;; amdgpu-corpus repo=pytorch/pytorch kind=compiled arch=gfx1250 opt=O3
	.amdgcn_target "amdgcn-amd-amdhsa--gfx1250"
	.amdhsa_code_object_version 6
	.section	.text._ZN7rocprim17ROCPRIM_400000_NS6detail17trampoline_kernelINS0_13kernel_configILj256ELj4ELj4294967295EEENS1_37radix_sort_block_sort_config_selectorIhNS0_10empty_typeEEEZNS1_21radix_sort_block_sortIS4_Lb1EPKhPhPS6_SC_NS0_19identity_decomposerEEE10hipError_tT1_T2_T3_T4_jRjT5_jjP12ihipStream_tbEUlT_E_NS1_11comp_targetILNS1_3genE0ELNS1_11target_archE4294967295ELNS1_3gpuE0ELNS1_3repE0EEENS1_44radix_sort_block_sort_config_static_selectorELNS0_4arch9wavefront6targetE0EEEvSF_,"axG",@progbits,_ZN7rocprim17ROCPRIM_400000_NS6detail17trampoline_kernelINS0_13kernel_configILj256ELj4ELj4294967295EEENS1_37radix_sort_block_sort_config_selectorIhNS0_10empty_typeEEEZNS1_21radix_sort_block_sortIS4_Lb1EPKhPhPS6_SC_NS0_19identity_decomposerEEE10hipError_tT1_T2_T3_T4_jRjT5_jjP12ihipStream_tbEUlT_E_NS1_11comp_targetILNS1_3genE0ELNS1_11target_archE4294967295ELNS1_3gpuE0ELNS1_3repE0EEENS1_44radix_sort_block_sort_config_static_selectorELNS0_4arch9wavefront6targetE0EEEvSF_,comdat
	.protected	_ZN7rocprim17ROCPRIM_400000_NS6detail17trampoline_kernelINS0_13kernel_configILj256ELj4ELj4294967295EEENS1_37radix_sort_block_sort_config_selectorIhNS0_10empty_typeEEEZNS1_21radix_sort_block_sortIS4_Lb1EPKhPhPS6_SC_NS0_19identity_decomposerEEE10hipError_tT1_T2_T3_T4_jRjT5_jjP12ihipStream_tbEUlT_E_NS1_11comp_targetILNS1_3genE0ELNS1_11target_archE4294967295ELNS1_3gpuE0ELNS1_3repE0EEENS1_44radix_sort_block_sort_config_static_selectorELNS0_4arch9wavefront6targetE0EEEvSF_ ; -- Begin function _ZN7rocprim17ROCPRIM_400000_NS6detail17trampoline_kernelINS0_13kernel_configILj256ELj4ELj4294967295EEENS1_37radix_sort_block_sort_config_selectorIhNS0_10empty_typeEEEZNS1_21radix_sort_block_sortIS4_Lb1EPKhPhPS6_SC_NS0_19identity_decomposerEEE10hipError_tT1_T2_T3_T4_jRjT5_jjP12ihipStream_tbEUlT_E_NS1_11comp_targetILNS1_3genE0ELNS1_11target_archE4294967295ELNS1_3gpuE0ELNS1_3repE0EEENS1_44radix_sort_block_sort_config_static_selectorELNS0_4arch9wavefront6targetE0EEEvSF_
	.globl	_ZN7rocprim17ROCPRIM_400000_NS6detail17trampoline_kernelINS0_13kernel_configILj256ELj4ELj4294967295EEENS1_37radix_sort_block_sort_config_selectorIhNS0_10empty_typeEEEZNS1_21radix_sort_block_sortIS4_Lb1EPKhPhPS6_SC_NS0_19identity_decomposerEEE10hipError_tT1_T2_T3_T4_jRjT5_jjP12ihipStream_tbEUlT_E_NS1_11comp_targetILNS1_3genE0ELNS1_11target_archE4294967295ELNS1_3gpuE0ELNS1_3repE0EEENS1_44radix_sort_block_sort_config_static_selectorELNS0_4arch9wavefront6targetE0EEEvSF_
	.p2align	8
	.type	_ZN7rocprim17ROCPRIM_400000_NS6detail17trampoline_kernelINS0_13kernel_configILj256ELj4ELj4294967295EEENS1_37radix_sort_block_sort_config_selectorIhNS0_10empty_typeEEEZNS1_21radix_sort_block_sortIS4_Lb1EPKhPhPS6_SC_NS0_19identity_decomposerEEE10hipError_tT1_T2_T3_T4_jRjT5_jjP12ihipStream_tbEUlT_E_NS1_11comp_targetILNS1_3genE0ELNS1_11target_archE4294967295ELNS1_3gpuE0ELNS1_3repE0EEENS1_44radix_sort_block_sort_config_static_selectorELNS0_4arch9wavefront6targetE0EEEvSF_,@function
_ZN7rocprim17ROCPRIM_400000_NS6detail17trampoline_kernelINS0_13kernel_configILj256ELj4ELj4294967295EEENS1_37radix_sort_block_sort_config_selectorIhNS0_10empty_typeEEEZNS1_21radix_sort_block_sortIS4_Lb1EPKhPhPS6_SC_NS0_19identity_decomposerEEE10hipError_tT1_T2_T3_T4_jRjT5_jjP12ihipStream_tbEUlT_E_NS1_11comp_targetILNS1_3genE0ELNS1_11target_archE4294967295ELNS1_3gpuE0ELNS1_3repE0EEENS1_44radix_sort_block_sort_config_static_selectorELNS0_4arch9wavefront6targetE0EEEvSF_: ; @_ZN7rocprim17ROCPRIM_400000_NS6detail17trampoline_kernelINS0_13kernel_configILj256ELj4ELj4294967295EEENS1_37radix_sort_block_sort_config_selectorIhNS0_10empty_typeEEEZNS1_21radix_sort_block_sortIS4_Lb1EPKhPhPS6_SC_NS0_19identity_decomposerEEE10hipError_tT1_T2_T3_T4_jRjT5_jjP12ihipStream_tbEUlT_E_NS1_11comp_targetILNS1_3genE0ELNS1_11target_archE4294967295ELNS1_3gpuE0ELNS1_3repE0EEENS1_44radix_sort_block_sort_config_static_selectorELNS0_4arch9wavefront6targetE0EEEvSF_
; %bb.0:
	s_clause 0x1
	s_load_b128 s[16:19], s[0:1], 0x0
	s_load_b32 s2, s[0:1], 0x20
	s_bfe_u32 s3, ttmp6, 0x4000c
	s_and_b32 s4, ttmp6, 15
	s_add_co_i32 s3, s3, 1
	s_getreg_b32 s5, hwreg(HW_REG_IB_STS2, 6, 4)
	s_mul_i32 s3, ttmp9, s3
	v_and_b32_e32 v8, 0x3ff, v0
	s_add_co_i32 s4, s4, s3
	s_cmp_eq_u32 s5, 0
	v_mbcnt_lo_u32_b32 v2, -1, 0
	s_cselect_b32 s3, ttmp9, s4
	v_dual_mov_b32 v3, 0 :: v_dual_lshlrev_b32 v1, 2, v8
	s_mov_b32 s21, 0
	s_lshl_b32 s20, s3, 10
	s_delay_alu instid0(VALU_DEP_1) | instskip(NEXT) | instid1(VALU_DEP_2)
	v_mov_b32_e32 v5, v3
	v_and_b32_e32 v4, 0x380, v1
	s_wait_kmcnt 0x0
	s_add_nc_u64 s[4:5], s[16:17], s[20:21]
	s_delay_alu instid0(SALU_CYCLE_1) | instskip(SKIP_1) | instid1(SALU_CYCLE_1)
	v_add_nc_u64_e32 v[6:7], s[4:5], v[2:3]
	s_lshr_b32 s4, s2, 10
	s_cmp_lg_u32 s3, s4
	s_cselect_b32 s25, -1, 0
	s_cmp_eq_u32 s3, s4
	s_delay_alu instid0(VALU_DEP_1)
	v_add_nc_u64_e32 v[6:7], v[6:7], v[4:5]
	s_mov_b32 s4, -1
	s_cbranch_scc1 .LBB0_2
; %bb.1:
	s_clause 0x2
	global_load_u8 v1, v[6:7], off offset:64
	global_load_u8 v5, v[6:7], off offset:32
	global_load_u8 v3, v[6:7], off
	s_mov_b32 s3, -1
	s_load_b64 s[22:23], s[0:1], 0x28
	s_sub_co_i32 s24, s2, s20
                                        ; implicit-def: $vgpr9
	s_cbranch_execnz .LBB0_10
	s_branch .LBB0_3
.LBB0_2:
	s_mov_b32 s3, s21
                                        ; implicit-def: $vgpr3
                                        ; implicit-def: $vgpr5
                                        ; implicit-def: $vgpr1
	s_load_b64 s[22:23], s[0:1], 0x28
	s_and_not1_b32 vcc_lo, exec_lo, s4
	s_sub_co_i32 s24, s2, s20
                                        ; implicit-def: $vgpr9
	s_cbranch_vccnz .LBB0_10
.LBB0_3:
	s_wait_loadcnt 0x2
	v_dual_mov_b32 v1, 0 :: v_dual_bitop2_b32 v10, v2, v4 bitop3:0x54
	s_wait_loadcnt 0x0
	v_dual_mov_b32 v3, 0 :: v_dual_mov_b32 v9, 0
	s_mov_b32 s2, exec_lo
	s_delay_alu instid0(VALU_DEP_2)
	v_cmpx_gt_u32_e64 s24, v10
	s_cbranch_execz .LBB0_5
; %bb.4:
	global_load_u8 v3, v[6:7], off
	v_mov_b32_e32 v9, 0
.LBB0_5:
	s_wait_xcnt 0x0
	s_or_b32 exec_lo, exec_lo, s2
	v_or_b32_e32 v5, 32, v10
	s_delay_alu instid0(VALU_DEP_1)
	v_cmp_gt_u32_e32 vcc_lo, s24, v5
	v_mov_b32_e32 v5, v1
	s_and_saveexec_b32 s2, vcc_lo
	s_cbranch_execz .LBB0_7
; %bb.6:
	global_load_u8 v5, v[6:7], off offset:32
.LBB0_7:
	s_wait_xcnt 0x0
	s_or_b32 exec_lo, exec_lo, s2
	v_or_b32_e32 v11, 64, v10
	s_mov_b32 s2, exec_lo
	s_delay_alu instid0(VALU_DEP_1)
	v_cmpx_gt_u32_e64 s24, v11
	s_cbranch_execz .LBB0_9
; %bb.8:
	global_load_u8 v1, v[6:7], off offset:64
.LBB0_9:
	s_wait_xcnt 0x0
	s_or_b32 exec_lo, exec_lo, s2
	v_or_b32_e32 v10, 0x60, v10
	s_delay_alu instid0(VALU_DEP_1)
	v_cmp_gt_u32_e64 s3, s24, v10
.LBB0_10:
	s_delay_alu instid0(VALU_DEP_1)
	s_and_saveexec_b32 s2, s3
	s_cbranch_execz .LBB0_12
; %bb.11:
	global_load_u8 v9, v[6:7], off offset:96
.LBB0_12:
	s_wait_xcnt 0x0
	s_or_b32 exec_lo, exec_lo, s2
	s_load_b32 s6, s[0:1], 0x3c
	v_bfe_u32 v7, v0, 10, 10
	v_bfe_u32 v0, v0, 20, 10
	s_wait_loadcnt 0x0
	v_xor_b32_e32 v5, -1, v5
	v_dual_lshrrev_b32 v14, 3, v8 :: v_dual_bitop2_b32 v6, -1, v9 bitop3:0x14
	s_get_pc_i64 s[4:5]
	s_add_nc_u64 s[4:5], s[4:5], _ZN7rocprim17ROCPRIM_400000_NS16block_radix_sortIhLj256ELj4ENS0_10empty_typeELj1ELj1ELj0ELNS0_26block_radix_rank_algorithmE1ELNS0_18block_padding_hintE2ELNS0_4arch9wavefront6targetE0EE19radix_bits_per_passE@rel64+4
	v_lshlrev_b32_e32 v9, 5, v8
	v_and_b32_e32 v12, 0x3e0, v8
	v_sub_co_u32 v13, s2, v2, 1
	v_lshlrev_b16 v5, 8, v5
	v_lshlrev_b16 v6, 8, v6
	s_load_b32 s26, s[4:5], 0x0
	s_delay_alu instid0(VALU_DEP_3)
	v_cmp_gt_i32_e32 vcc_lo, 0, v13
	v_and_b32_e32 v10, 15, v2
	v_bitop3_b16 v3, v3, v5, 0xff bitop3:0xce
	v_bitop3_b16 v1, v1, v6, 0xff bitop3:0xce
	v_and_b32_e32 v11, 16, v2
	s_mov_b32 s14, 0
	s_wait_kmcnt 0x0
	s_lshr_b32 s7, s6, 16
	v_cndmask_b32_e32 v5, v13, v2, vcc_lo
	v_mad_u32_u24 v0, v0, s7, v7
	s_and_b32 s7, s6, 0xffff
	v_min_u32_e32 v7, 0xe0, v12
	v_and_b32_e32 v3, 0xffff, v3
	v_lshlrev_b32_e32 v1, 16, v1
	v_mad_u32 v0, v0, s7, v8
	v_and_b32_e32 v17, 7, v2
	v_dual_lshlrev_b32 v15, 2, v5 :: v_dual_bitop2_b32 v6, 31, v7 bitop3:0x54
	v_and_b32_e32 v14, 0x7c, v14
	s_mov_b32 s15, s14
	s_mov_b32 s16, s14
	;; [unrolled: 1-line block ×3, first 2 shown]
	v_cmp_eq_u32_e64 s4, 0, v10
	v_cmp_lt_u32_e64 s5, 1, v10
	v_cmp_lt_u32_e64 s6, 3, v10
	v_lshrrev_b32_e32 v0, 3, v0
	v_cmp_lt_u32_e64 s7, 7, v10
	v_cmp_eq_u32_e64 s8, 0, v11
	v_mov_b64_e32 v[10:11], s[14:15]
	v_mov_b64_e32 v[12:13], s[16:17]
	v_and_b32_e32 v16, 0x1ffffffc, v0
	v_mul_i32_i24_e32 v0, 0xffffffe4, v8
	v_cmp_gt_u32_e64 s0, 8, v8
	v_cmp_lt_u32_e64 s1, 31, v8
	v_cmp_eq_u32_e64 s3, 0, v8
	v_cmp_eq_u32_e64 s9, v8, v6
	v_or_b32_e32 v20, v3, v1
	v_cmp_eq_u32_e64 s10, 0, v17
	v_cmp_lt_u32_e64 s11, 1, v17
	v_cmp_lt_u32_e64 s12, 3, v17
	v_dual_add_nc_u32 v17, -4, v14 :: v_dual_add_nc_u32 v18, v9, v0
	v_add_nc_u32_e32 v19, v2, v4
	s_add_co_i32 s27, s23, s22
	s_branch .LBB0_14
.LBB0_13:                               ;   in Loop: Header=BB0_14 Depth=1
	s_and_not1_b32 vcc_lo, exec_lo, s14
	s_mov_b32 s23, s13
	s_cbranch_vccz .LBB0_30
.LBB0_14:                               ; =>This Inner Loop Header: Depth=1
	v_and_b32_e32 v0, 0xff, v20
	s_min_u32 s13, s26, s23
	ds_store_2addr_b64 v9, v[10:11], v[12:13] offset0:4 offset1:5
	ds_store_2addr_b64 v9, v[10:11], v[12:13] offset0:6 offset1:7
	s_lshl_b32 s28, -1, s13
	s_wait_dscnt 0x0
	v_lshrrev_b32_e32 v0, s22, v0
	s_barrier_signal -1
	s_barrier_wait -1
	s_delay_alu instid0(VALU_DEP_1) | instskip(NEXT) | instid1(VALU_DEP_1)
	v_bitop3_b32 v2, v0, s28, v0 bitop3:0x30
	; wave barrier
	v_lshlrev_b32_e32 v3, 30, v2
	v_bitop3_b32 v1, v0, 1, s28 bitop3:0x40
	v_dual_lshlrev_b32 v4, 29, v2 :: v_dual_lshlrev_b32 v5, 28, v2
	v_dual_lshlrev_b32 v6, 27, v2 :: v_dual_lshlrev_b32 v7, 26, v2
	s_delay_alu instid0(VALU_DEP_3) | instskip(NEXT) | instid1(VALU_DEP_1)
	v_add_co_u32 v0, s13, v1, -1
	v_cndmask_b32_e64 v1, 0, 1, s13
	v_cmp_gt_i32_e64 s13, 0, v3
	v_cmp_gt_i32_e64 s14, 0, v4
	v_dual_lshlrev_b32 v21, 25, v2 :: v_dual_lshlrev_b32 v22, 24, v2
	s_delay_alu instid0(VALU_DEP_4)
	v_cmp_ne_u32_e32 vcc_lo, 0, v1
	v_not_b32_e32 v1, v3
	v_not_b32_e32 v3, v4
	;; [unrolled: 1-line block ×3, first 2 shown]
	v_cmp_gt_i32_e64 s15, 0, v5
	v_cmp_gt_i32_e64 s16, 0, v6
	v_dual_ashrrev_i32 v1, 31, v1 :: v_dual_bitop2_b32 v0, vcc_lo, v0 bitop3:0x14
	v_not_b32_e32 v5, v6
	v_dual_ashrrev_i32 v3, 31, v3 :: v_dual_ashrrev_i32 v4, 31, v4
	v_not_b32_e32 v6, v7
	s_delay_alu instid0(VALU_DEP_4) | instskip(SKIP_1) | instid1(VALU_DEP_4)
	v_xor_b32_e32 v1, s13, v1
	v_cmp_gt_i32_e64 s17, 0, v7
	v_dual_ashrrev_i32 v5, 31, v5 :: v_dual_bitop2_b32 v3, s14, v3 bitop3:0x14
	v_not_b32_e32 v7, v22
	v_ashrrev_i32_e32 v6, 31, v6
	v_bitop3_b32 v0, v0, v1, exec_lo bitop3:0x80
	v_not_b32_e32 v1, v21
	v_xor_b32_e32 v4, s15, v4
	v_xor_b32_e32 v5, s16, v5
	v_cmp_gt_i32_e32 vcc_lo, 0, v21
	v_cmp_gt_i32_e64 s13, 0, v22
	v_ashrrev_i32_e32 v1, 31, v1
	v_bitop3_b32 v0, v0, v4, v3 bitop3:0x80
	v_dual_ashrrev_i32 v3, 31, v7 :: v_dual_bitop2_b32 v4, s17, v6 bitop3:0x14
	s_delay_alu instid0(VALU_DEP_3) | instskip(NEXT) | instid1(VALU_DEP_2)
	v_xor_b32_e32 v1, vcc_lo, v1
	v_xor_b32_e32 v3, s13, v3
	s_delay_alu instid0(VALU_DEP_3) | instskip(NEXT) | instid1(VALU_DEP_1)
	v_bitop3_b32 v0, v0, v4, v5 bitop3:0x80
	v_bitop3_b32 v0, v0, v3, v1 bitop3:0x80
	v_lshlrev_b32_e32 v1, 5, v2
	s_delay_alu instid0(VALU_DEP_2) | instskip(SKIP_1) | instid1(VALU_DEP_3)
	v_mbcnt_lo_u32_b32 v21, v0, 0
	v_cmp_ne_u32_e64 s13, 0, v0
	v_add_nc_u32_e32 v22, v16, v1
	s_delay_alu instid0(VALU_DEP_3) | instskip(SKIP_1) | instid1(SALU_CYCLE_1)
	v_cmp_eq_u32_e32 vcc_lo, 0, v21
	s_and_b32 s14, s13, vcc_lo
	s_and_saveexec_b32 s13, s14
; %bb.15:                               ;   in Loop: Header=BB0_14 Depth=1
	v_bcnt_u32_b32 v0, v0, 0
	ds_store_b32 v22, v0 offset:32
; %bb.16:                               ;   in Loop: Header=BB0_14 Depth=1
	s_or_b32 exec_lo, exec_lo, s13
	v_bfe_u32 v0, v20, 8, 8
	s_not_b32 s28, s28
	; wave barrier
	s_delay_alu instid0(VALU_DEP_1) | instskip(NEXT) | instid1(VALU_DEP_1)
	v_lshrrev_b32_e32 v0, s22, v0
	v_and_b32_e32 v1, s28, v0
	s_delay_alu instid0(VALU_DEP_1) | instskip(SKIP_2) | instid1(VALU_DEP_2)
	v_lshlrev_b32_e32 v2, 5, v1
	v_bitop3_b32 v0, v0, 1, s28 bitop3:0x80
	v_lshlrev_b32_e32 v4, 30, v1
	v_add_co_u32 v0, s13, v0, -1
	s_delay_alu instid0(VALU_DEP_1) | instskip(NEXT) | instid1(VALU_DEP_1)
	v_cndmask_b32_e64 v3, 0, 1, s13
	v_cmp_ne_u32_e32 vcc_lo, 0, v3
	s_delay_alu instid0(VALU_DEP_4) | instskip(NEXT) | instid1(VALU_DEP_1)
	v_not_b32_e32 v3, v4
	v_dual_ashrrev_i32 v3, 31, v3 :: v_dual_bitop2_b32 v0, vcc_lo, v0 bitop3:0x14
	v_dual_lshlrev_b32 v5, 29, v1 :: v_dual_lshlrev_b32 v6, 28, v1
	v_dual_lshlrev_b32 v7, 27, v1 :: v_dual_lshlrev_b32 v23, 26, v1
	v_lshlrev_b32_e32 v24, 25, v1
	v_cmp_gt_i32_e64 s13, 0, v4
	s_delay_alu instid0(VALU_DEP_4)
	v_cmp_gt_i32_e64 s14, 0, v5
	v_not_b32_e32 v4, v5
	v_not_b32_e32 v5, v6
	v_lshlrev_b32_e32 v1, 24, v1
	v_cmp_gt_i32_e64 s15, 0, v6
	v_cmp_gt_i32_e64 s16, 0, v7
	v_not_b32_e32 v6, v7
	v_dual_ashrrev_i32 v4, 31, v4 :: v_dual_ashrrev_i32 v5, 31, v5
	v_xor_b32_e32 v3, s13, v3
	v_not_b32_e32 v7, v23
	v_cmp_gt_i32_e64 s17, 0, v23
	s_delay_alu instid0(VALU_DEP_4) | instskip(NEXT) | instid1(VALU_DEP_4)
	v_dual_ashrrev_i32 v6, 31, v6 :: v_dual_bitop2_b32 v4, s14, v4 bitop3:0x14
	v_bitop3_b32 v0, v0, v3, exec_lo bitop3:0x80
	s_delay_alu instid0(VALU_DEP_4)
	v_ashrrev_i32_e32 v3, 31, v7
	v_not_b32_e32 v7, v24
	v_xor_b32_e32 v5, s15, v5
	v_not_b32_e32 v23, v1
	v_xor_b32_e32 v6, s16, v6
	v_xor_b32_e32 v3, s17, v3
	v_cmp_gt_i32_e32 vcc_lo, 0, v24
	v_bitop3_b32 v0, v0, v5, v4 bitop3:0x80
	v_ashrrev_i32_e32 v4, 31, v7
	v_cmp_gt_i32_e64 s13, 0, v1
	v_dual_ashrrev_i32 v1, 31, v23 :: v_dual_add_nc_u32 v24, v16, v2
	s_delay_alu instid0(VALU_DEP_4) | instskip(NEXT) | instid1(VALU_DEP_4)
	v_bitop3_b32 v0, v0, v3, v6 bitop3:0x80
	v_xor_b32_e32 v2, vcc_lo, v4
	s_delay_alu instid0(VALU_DEP_3) | instskip(SKIP_2) | instid1(VALU_DEP_1)
	v_xor_b32_e32 v1, s13, v1
	ds_load_b32 v23, v24 offset:32
	; wave barrier
	v_bitop3_b32 v0, v0, v1, v2 bitop3:0x80
	v_mbcnt_lo_u32_b32 v25, v0, 0
	v_cmp_ne_u32_e64 s13, 0, v0
	s_delay_alu instid0(VALU_DEP_2) | instskip(SKIP_1) | instid1(SALU_CYCLE_1)
	v_cmp_eq_u32_e32 vcc_lo, 0, v25
	s_and_b32 s14, s13, vcc_lo
	s_and_saveexec_b32 s13, s14
	s_cbranch_execz .LBB0_18
; %bb.17:                               ;   in Loop: Header=BB0_14 Depth=1
	s_wait_dscnt 0x0
	v_bcnt_u32_b32 v0, v0, v23
	ds_store_b32 v24, v0 offset:32
.LBB0_18:                               ;   in Loop: Header=BB0_14 Depth=1
	s_or_b32 exec_lo, exec_lo, s13
	v_bfe_u32 v0, v20, 16, 8
	; wave barrier
	s_delay_alu instid0(VALU_DEP_1) | instskip(NEXT) | instid1(VALU_DEP_1)
	v_lshrrev_b32_e32 v0, s22, v0
	v_and_b32_e32 v1, s28, v0
	s_delay_alu instid0(VALU_DEP_1) | instskip(SKIP_2) | instid1(VALU_DEP_2)
	v_lshlrev_b32_e32 v2, 5, v1
	v_bitop3_b32 v0, v0, 1, s28 bitop3:0x80
	v_lshlrev_b32_e32 v4, 30, v1
	v_add_co_u32 v0, s13, v0, -1
	s_delay_alu instid0(VALU_DEP_1) | instskip(NEXT) | instid1(VALU_DEP_1)
	v_cndmask_b32_e64 v3, 0, 1, s13
	v_cmp_ne_u32_e32 vcc_lo, 0, v3
	s_delay_alu instid0(VALU_DEP_4) | instskip(NEXT) | instid1(VALU_DEP_1)
	v_not_b32_e32 v3, v4
	v_dual_ashrrev_i32 v3, 31, v3 :: v_dual_bitop2_b32 v0, vcc_lo, v0 bitop3:0x14
	v_dual_lshlrev_b32 v5, 29, v1 :: v_dual_lshlrev_b32 v6, 28, v1
	v_dual_lshlrev_b32 v7, 27, v1 :: v_dual_lshlrev_b32 v26, 26, v1
	v_lshlrev_b32_e32 v27, 25, v1
	v_cmp_gt_i32_e64 s13, 0, v4
	s_delay_alu instid0(VALU_DEP_4)
	v_cmp_gt_i32_e64 s14, 0, v5
	v_not_b32_e32 v4, v5
	v_not_b32_e32 v5, v6
	v_lshlrev_b32_e32 v1, 24, v1
	v_cmp_gt_i32_e64 s15, 0, v6
	v_cmp_gt_i32_e64 s16, 0, v7
	v_not_b32_e32 v6, v7
	v_not_b32_e32 v7, v26
	v_dual_ashrrev_i32 v4, 31, v4 :: v_dual_ashrrev_i32 v5, 31, v5
	s_delay_alu instid0(VALU_DEP_3) | instskip(SKIP_1) | instid1(VALU_DEP_3)
	v_dual_ashrrev_i32 v6, 31, v6 :: v_dual_bitop2_b32 v3, s13, v3 bitop3:0x14
	v_cmp_gt_i32_e64 s17, 0, v26
	v_dual_ashrrev_i32 v7, 31, v7 :: v_dual_bitop2_b32 v4, s14, v4 bitop3:0x14
	s_delay_alu instid0(VALU_DEP_3)
	v_bitop3_b32 v0, v0, v3, exec_lo bitop3:0x80
	v_not_b32_e32 v3, v27
	v_xor_b32_e32 v5, s15, v5
	v_not_b32_e32 v26, v1
	v_xor_b32_e32 v6, s16, v6
	v_xor_b32_e32 v7, s17, v7
	v_cmp_gt_i32_e32 vcc_lo, 0, v27
	v_ashrrev_i32_e32 v3, 31, v3
	v_bitop3_b32 v0, v0, v5, v4 bitop3:0x80
	v_cmp_gt_i32_e64 s13, 0, v1
	v_ashrrev_i32_e32 v1, 31, v26
	s_delay_alu instid0(VALU_DEP_4) | instskip(NEXT) | instid1(VALU_DEP_4)
	v_dual_add_nc_u32 v28, v16, v2 :: v_dual_bitop2_b32 v2, vcc_lo, v3 bitop3:0x14
	v_bitop3_b32 v0, v0, v7, v6 bitop3:0x80
	s_delay_alu instid0(VALU_DEP_3) | instskip(SKIP_2) | instid1(VALU_DEP_1)
	v_xor_b32_e32 v1, s13, v1
	ds_load_b32 v27, v28 offset:32
	; wave barrier
	v_bitop3_b32 v0, v0, v1, v2 bitop3:0x80
	v_mbcnt_lo_u32_b32 v29, v0, 0
	v_cmp_ne_u32_e64 s13, 0, v0
	s_delay_alu instid0(VALU_DEP_2) | instskip(SKIP_1) | instid1(SALU_CYCLE_1)
	v_cmp_eq_u32_e32 vcc_lo, 0, v29
	s_and_b32 s14, s13, vcc_lo
	s_and_saveexec_b32 s13, s14
	s_cbranch_execz .LBB0_20
; %bb.19:                               ;   in Loop: Header=BB0_14 Depth=1
	s_wait_dscnt 0x0
	v_bcnt_u32_b32 v0, v0, v27
	ds_store_b32 v28, v0 offset:32
.LBB0_20:                               ;   in Loop: Header=BB0_14 Depth=1
	s_or_b32 exec_lo, exec_lo, s13
	v_lshrrev_b32_e32 v26, 24, v20
	; wave barrier
	s_delay_alu instid0(VALU_DEP_1) | instskip(NEXT) | instid1(VALU_DEP_1)
	v_lshrrev_b32_e32 v0, s22, v26
	v_and_b32_e32 v1, s28, v0
	s_delay_alu instid0(VALU_DEP_1) | instskip(SKIP_1) | instid1(VALU_DEP_1)
	v_lshlrev_b32_e32 v4, 30, v1
	v_bitop3_b32 v0, v0, 1, s28 bitop3:0x80
	v_add_co_u32 v0, s13, v0, -1
	s_delay_alu instid0(VALU_DEP_1) | instskip(NEXT) | instid1(VALU_DEP_4)
	v_cndmask_b32_e64 v3, 0, 1, s13
	v_cmp_gt_i32_e64 s13, 0, v4
	s_delay_alu instid0(VALU_DEP_2) | instskip(SKIP_1) | instid1(VALU_DEP_1)
	v_cmp_ne_u32_e32 vcc_lo, 0, v3
	v_not_b32_e32 v3, v4
	v_dual_ashrrev_i32 v3, 31, v3 :: v_dual_lshlrev_b32 v5, 29, v1
	v_dual_lshlrev_b32 v6, 28, v1 :: v_dual_lshlrev_b32 v7, 27, v1
	v_dual_lshlrev_b32 v30, 26, v1 :: v_dual_lshlrev_b32 v2, 5, v1
	s_delay_alu instid0(VALU_DEP_3) | instskip(SKIP_1) | instid1(VALU_DEP_4)
	v_cmp_gt_i32_e64 s14, 0, v5
	v_not_b32_e32 v4, v5
	v_not_b32_e32 v5, v6
	v_dual_lshlrev_b32 v31, 25, v1 :: v_dual_lshlrev_b32 v1, 24, v1
	v_cmp_gt_i32_e64 s15, 0, v6
	v_cmp_gt_i32_e64 s16, 0, v7
	v_not_b32_e32 v6, v7
	v_not_b32_e32 v7, v30
	v_dual_ashrrev_i32 v5, 31, v5 :: v_dual_bitop2_b32 v0, vcc_lo, v0 bitop3:0x14
	v_dual_ashrrev_i32 v4, 31, v4 :: v_dual_bitop2_b32 v3, s13, v3 bitop3:0x14
	v_cmp_gt_i32_e64 s17, 0, v30
	s_delay_alu instid0(VALU_DEP_4)
	v_dual_ashrrev_i32 v6, 31, v6 :: v_dual_ashrrev_i32 v7, 31, v7
	v_not_b32_e32 v30, v1
	v_xor_b32_e32 v5, s15, v5
	v_bitop3_b32 v0, v0, v3, exec_lo bitop3:0x80
	v_not_b32_e32 v3, v31
	v_xor_b32_e32 v4, s14, v4
	v_xor_b32_e32 v6, s16, v6
	v_xor_b32_e32 v7, s17, v7
	v_cmp_gt_i32_e32 vcc_lo, 0, v31
	v_ashrrev_i32_e32 v3, 31, v3
	v_cmp_gt_i32_e64 s13, 0, v1
	v_ashrrev_i32_e32 v1, 31, v30
	v_bitop3_b32 v0, v0, v5, v4 bitop3:0x80
	s_delay_alu instid0(VALU_DEP_4) | instskip(NEXT) | instid1(VALU_DEP_3)
	v_dual_add_nc_u32 v31, v16, v2 :: v_dual_bitop2_b32 v2, vcc_lo, v3 bitop3:0x14
	v_xor_b32_e32 v1, s13, v1
	s_delay_alu instid0(VALU_DEP_3) | instskip(SKIP_2) | instid1(VALU_DEP_1)
	v_bitop3_b32 v0, v0, v7, v6 bitop3:0x80
	ds_load_b32 v30, v31 offset:32
	; wave barrier
	v_bitop3_b32 v0, v0, v1, v2 bitop3:0x80
	v_mbcnt_lo_u32_b32 v32, v0, 0
	v_cmp_ne_u32_e64 s13, 0, v0
	s_delay_alu instid0(VALU_DEP_2) | instskip(SKIP_1) | instid1(SALU_CYCLE_1)
	v_cmp_eq_u32_e32 vcc_lo, 0, v32
	s_and_b32 s14, s13, vcc_lo
	s_and_saveexec_b32 s13, s14
	s_cbranch_execz .LBB0_22
; %bb.21:                               ;   in Loop: Header=BB0_14 Depth=1
	s_wait_dscnt 0x0
	v_bcnt_u32_b32 v0, v0, v30
	ds_store_b32 v31, v0 offset:32
.LBB0_22:                               ;   in Loop: Header=BB0_14 Depth=1
	s_or_b32 exec_lo, exec_lo, s13
	; wave barrier
	s_wait_dscnt 0x0
	s_barrier_signal -1
	s_barrier_wait -1
	ds_load_2addr_b64 v[4:7], v9 offset0:4 offset1:5
	ds_load_2addr_b64 v[0:3], v9 offset0:6 offset1:7
	s_wait_dscnt 0x1
	v_add_nc_u32_e32 v33, v5, v4
	s_delay_alu instid0(VALU_DEP_1) | instskip(SKIP_1) | instid1(VALU_DEP_1)
	v_add3_u32 v33, v33, v6, v7
	s_wait_dscnt 0x0
	v_add3_u32 v33, v33, v0, v1
	s_delay_alu instid0(VALU_DEP_1) | instskip(NEXT) | instid1(VALU_DEP_1)
	v_add3_u32 v3, v33, v2, v3
	v_mov_b32_dpp v33, v3 row_shr:1 row_mask:0xf bank_mask:0xf
	s_delay_alu instid0(VALU_DEP_1) | instskip(NEXT) | instid1(VALU_DEP_1)
	v_cndmask_b32_e64 v33, v33, 0, s4
	v_add_nc_u32_e32 v3, v33, v3
	s_delay_alu instid0(VALU_DEP_1) | instskip(NEXT) | instid1(VALU_DEP_1)
	v_mov_b32_dpp v33, v3 row_shr:2 row_mask:0xf bank_mask:0xf
	v_cndmask_b32_e64 v33, 0, v33, s5
	s_delay_alu instid0(VALU_DEP_1) | instskip(NEXT) | instid1(VALU_DEP_1)
	v_add_nc_u32_e32 v3, v3, v33
	v_mov_b32_dpp v33, v3 row_shr:4 row_mask:0xf bank_mask:0xf
	s_delay_alu instid0(VALU_DEP_1) | instskip(NEXT) | instid1(VALU_DEP_1)
	v_cndmask_b32_e64 v33, 0, v33, s6
	v_add_nc_u32_e32 v3, v3, v33
	s_delay_alu instid0(VALU_DEP_1) | instskip(NEXT) | instid1(VALU_DEP_1)
	v_mov_b32_dpp v33, v3 row_shr:8 row_mask:0xf bank_mask:0xf
	v_cndmask_b32_e64 v33, 0, v33, s7
	s_delay_alu instid0(VALU_DEP_1) | instskip(SKIP_3) | instid1(VALU_DEP_1)
	v_add_nc_u32_e32 v3, v3, v33
	ds_swizzle_b32 v33, v3 offset:swizzle(BROADCAST,32,15)
	s_wait_dscnt 0x0
	v_cndmask_b32_e64 v33, v33, 0, s8
	v_add_nc_u32_e32 v3, v3, v33
	s_and_saveexec_b32 s13, s9
; %bb.23:                               ;   in Loop: Header=BB0_14 Depth=1
	ds_store_b32 v14, v3
; %bb.24:                               ;   in Loop: Header=BB0_14 Depth=1
	s_or_b32 exec_lo, exec_lo, s13
	s_wait_dscnt 0x0
	s_barrier_signal -1
	s_barrier_wait -1
	s_and_saveexec_b32 s13, s0
	s_cbranch_execz .LBB0_26
; %bb.25:                               ;   in Loop: Header=BB0_14 Depth=1
	ds_load_b32 v33, v18
	s_wait_dscnt 0x0
	v_mov_b32_dpp v34, v33 row_shr:1 row_mask:0xf bank_mask:0xf
	s_delay_alu instid0(VALU_DEP_1) | instskip(NEXT) | instid1(VALU_DEP_1)
	v_cndmask_b32_e64 v34, v34, 0, s10
	v_add_nc_u32_e32 v33, v34, v33
	s_delay_alu instid0(VALU_DEP_1) | instskip(NEXT) | instid1(VALU_DEP_1)
	v_mov_b32_dpp v34, v33 row_shr:2 row_mask:0xf bank_mask:0xf
	v_cndmask_b32_e64 v34, 0, v34, s11
	s_delay_alu instid0(VALU_DEP_1) | instskip(NEXT) | instid1(VALU_DEP_1)
	v_add_nc_u32_e32 v33, v33, v34
	v_mov_b32_dpp v34, v33 row_shr:4 row_mask:0xf bank_mask:0xf
	s_delay_alu instid0(VALU_DEP_1) | instskip(NEXT) | instid1(VALU_DEP_1)
	v_cndmask_b32_e64 v34, 0, v34, s12
	v_add_nc_u32_e32 v33, v33, v34
	ds_store_b32 v18, v33
.LBB0_26:                               ;   in Loop: Header=BB0_14 Depth=1
	s_or_b32 exec_lo, exec_lo, s13
	v_mov_b32_e32 v33, 0
	s_wait_dscnt 0x0
	s_barrier_signal -1
	s_barrier_wait -1
	s_and_saveexec_b32 s13, s1
; %bb.27:                               ;   in Loop: Header=BB0_14 Depth=1
	ds_load_b32 v33, v17
; %bb.28:                               ;   in Loop: Header=BB0_14 Depth=1
	s_or_b32 exec_lo, exec_lo, s13
	s_wait_dscnt 0x0
	v_add_nc_u32_e32 v3, v33, v3
	v_add_nc_u32_e32 v23, v25, v23
	s_add_co_i32 s22, s22, 8
	s_mov_b32 s14, -1
	s_cmp_ge_u32 s22, s27
	ds_bpermute_b32 v3, v15, v3
	s_wait_dscnt 0x0
	v_cndmask_b32_e64 v3, v3, v33, s2
	s_delay_alu instid0(VALU_DEP_1) | instskip(NEXT) | instid1(VALU_DEP_1)
	v_cndmask_b32_e64 v34, v3, 0, s3
	v_add_nc_u32_e32 v35, v34, v4
	s_delay_alu instid0(VALU_DEP_1) | instskip(NEXT) | instid1(VALU_DEP_1)
	v_add_nc_u32_e32 v4, v35, v5
	v_add_nc_u32_e32 v5, v4, v6
	s_delay_alu instid0(VALU_DEP_1) | instskip(NEXT) | instid1(VALU_DEP_1)
	v_add_nc_u32_e32 v6, v5, v7
	;; [unrolled: 3-line block ×3, first 2 shown]
	v_add_nc_u32_e32 v1, v0, v2
	ds_store_2addr_b64 v9, v[34:35], v[4:5] offset0:4 offset1:5
	ds_store_2addr_b64 v9, v[6:7], v[0:1] offset0:6 offset1:7
	s_wait_dscnt 0x0
	s_barrier_signal -1
	s_barrier_wait -1
	ds_load_b32 v6, v22 offset:32
	ds_load_b32 v5, v24 offset:32
	;; [unrolled: 1-line block ×4, first 2 shown]
	v_dual_mov_b32 v0, v20 :: v_dual_lshrrev_b32 v2, 16, v20
	v_dual_lshrrev_b32 v1, 8, v20 :: v_dual_add_nc_u32 v22, v29, v27
	v_add_nc_u32_e32 v7, v32, v30
	s_delay_alu instid0(VALU_DEP_3)
	v_readfirstlane_b32 s13, v0
	s_wait_dscnt 0x0
	s_cbranch_scc1 .LBB0_13
; %bb.29:                               ;   in Loop: Header=BB0_14 Depth=1
	v_dual_add_nc_u32 v24, v6, v21 :: v_dual_add_nc_u32 v28, v7, v3
	v_dual_add_nc_u32 v25, v23, v5 :: v_dual_add_nc_u32 v27, v22, v4
	s_barrier_signal -1
	s_barrier_wait -1
	ds_store_b8 v24, v20
	ds_store_b8 v25, v1
	;; [unrolled: 1-line block ×4, first 2 shown]
	s_wait_dscnt 0x0
	s_barrier_signal -1
	s_barrier_wait -1
	ds_load_u8 v20, v19 offset:96
	ds_load_u8 v24, v19 offset:64
	ds_load_u8 v25, v19
	ds_load_u8 v27, v19 offset:32
	s_add_co_i32 s13, s23, -8
	s_mov_b32 s14, 0
	s_wait_dscnt 0x0
	s_barrier_signal -1
	s_barrier_wait -1
	v_perm_b32 v20, v24, v20, 0xc0c0004
	v_perm_b32 v24, v25, v27, 0xc0c0004
	s_delay_alu instid0(VALU_DEP_1)
	v_lshl_or_b32 v20, v20, 16, v24
	s_branch .LBB0_13
.LBB0_30:
	v_dual_add_nc_u32 v6, v6, v21 :: v_dual_add_nc_u32 v3, v7, v3
	v_dual_add_nc_u32 v5, v23, v5 :: v_dual_add_nc_u32 v4, v22, v4
	s_barrier_signal -1
	s_barrier_wait -1
	ds_store_b8 v6, v0
	ds_store_b8 v5, v1
	;; [unrolled: 1-line block ×4, first 2 shown]
	s_wait_dscnt 0x0
	s_barrier_signal -1
	s_barrier_wait -1
	ds_load_u8 v3, v8
	ds_load_u8 v4, v8 offset:256
	ds_load_u8 v6, v8 offset:512
	;; [unrolled: 1-line block ×3, first 2 shown]
	v_mov_b32_e32 v9, 0
	s_add_nc_u64 s[0:1], s[18:19], s[20:21]
	s_and_not1_b32 vcc_lo, exec_lo, s25
	s_wait_dscnt 0x3
	v_xor_b32_e32 v5, -1, v3
	v_add_nc_u64_e32 v[0:1], s[0:1], v[8:9]
	s_wait_dscnt 0x2
	v_xor_b32_e32 v4, -1, v4
	s_wait_dscnt 0x1
	v_xor_b32_e32 v3, -1, v6
	s_mov_b32 s1, -1
	s_mov_b32 s0, 0
	s_cbranch_vccnz .LBB0_34
; %bb.31:
	s_mov_b32 s0, -1
	s_clause 0x2
	global_store_b8 v[0:1], v5, off
	global_store_b8 v[0:1], v4, off offset:256
	global_store_b8 v[0:1], v3, off offset:512
	s_cbranch_execz .LBB0_35
.LBB0_32:
	s_wait_xcnt 0x0
	s_and_saveexec_b32 s1, s0
	s_cbranch_execz .LBB0_42
.LBB0_33:
	s_wait_dscnt 0x0
	v_xor_b32_e32 v2, -1, v2
	global_store_b8 v[0:1], v2, off offset:768
	s_endpgm
.LBB0_34:
	s_and_not1_b32 vcc_lo, exec_lo, s1
	s_cbranch_vccnz .LBB0_32
.LBB0_35:
	s_mov_b32 s0, exec_lo
	s_wait_xcnt 0x0
	v_cmpx_gt_u32_e64 s24, v8
	s_cbranch_execz .LBB0_37
; %bb.36:
	global_store_b8 v[0:1], v5, off
.LBB0_37:
	s_wait_xcnt 0x0
	s_or_b32 exec_lo, exec_lo, s0
	v_add_nc_u32_e32 v5, 0x100, v8
	s_mov_b32 s0, exec_lo
	s_delay_alu instid0(VALU_DEP_1)
	v_cmpx_gt_u32_e64 s24, v5
	s_cbranch_execz .LBB0_39
; %bb.38:
	global_store_b8 v[0:1], v4, off offset:256
.LBB0_39:
	s_wait_xcnt 0x0
	s_or_b32 exec_lo, exec_lo, s0
	v_add_nc_u32_e32 v4, 0x200, v8
	s_mov_b32 s0, exec_lo
	s_delay_alu instid0(VALU_DEP_1)
	v_cmpx_gt_u32_e64 s24, v4
	s_cbranch_execz .LBB0_41
; %bb.40:
	global_store_b8 v[0:1], v3, off offset:512
.LBB0_41:
	s_wait_xcnt 0x0
	s_or_b32 exec_lo, exec_lo, s0
	v_add_nc_u32_e32 v3, 0x300, v8
	s_delay_alu instid0(VALU_DEP_1)
	v_cmp_gt_u32_e64 s0, s24, v3
	s_and_saveexec_b32 s1, s0
	s_cbranch_execnz .LBB0_33
.LBB0_42:
	s_endpgm
	.section	.rodata,"a",@progbits
	.p2align	6, 0x0
	.amdhsa_kernel _ZN7rocprim17ROCPRIM_400000_NS6detail17trampoline_kernelINS0_13kernel_configILj256ELj4ELj4294967295EEENS1_37radix_sort_block_sort_config_selectorIhNS0_10empty_typeEEEZNS1_21radix_sort_block_sortIS4_Lb1EPKhPhPS6_SC_NS0_19identity_decomposerEEE10hipError_tT1_T2_T3_T4_jRjT5_jjP12ihipStream_tbEUlT_E_NS1_11comp_targetILNS1_3genE0ELNS1_11target_archE4294967295ELNS1_3gpuE0ELNS1_3repE0EEENS1_44radix_sort_block_sort_config_static_selectorELNS0_4arch9wavefront6targetE0EEEvSF_
		.amdhsa_group_segment_fixed_size 8224
		.amdhsa_private_segment_fixed_size 0
		.amdhsa_kernarg_size 304
		.amdhsa_user_sgpr_count 2
		.amdhsa_user_sgpr_dispatch_ptr 0
		.amdhsa_user_sgpr_queue_ptr 0
		.amdhsa_user_sgpr_kernarg_segment_ptr 1
		.amdhsa_user_sgpr_dispatch_id 0
		.amdhsa_user_sgpr_kernarg_preload_length 0
		.amdhsa_user_sgpr_kernarg_preload_offset 0
		.amdhsa_user_sgpr_private_segment_size 0
		.amdhsa_wavefront_size32 1
		.amdhsa_uses_dynamic_stack 0
		.amdhsa_enable_private_segment 0
		.amdhsa_system_sgpr_workgroup_id_x 1
		.amdhsa_system_sgpr_workgroup_id_y 0
		.amdhsa_system_sgpr_workgroup_id_z 0
		.amdhsa_system_sgpr_workgroup_info 0
		.amdhsa_system_vgpr_workitem_id 2
		.amdhsa_next_free_vgpr 36
		.amdhsa_next_free_sgpr 29
		.amdhsa_named_barrier_count 0
		.amdhsa_reserve_vcc 1
		.amdhsa_float_round_mode_32 0
		.amdhsa_float_round_mode_16_64 0
		.amdhsa_float_denorm_mode_32 3
		.amdhsa_float_denorm_mode_16_64 3
		.amdhsa_fp16_overflow 0
		.amdhsa_memory_ordered 1
		.amdhsa_forward_progress 1
		.amdhsa_inst_pref_size 28
		.amdhsa_round_robin_scheduling 0
		.amdhsa_exception_fp_ieee_invalid_op 0
		.amdhsa_exception_fp_denorm_src 0
		.amdhsa_exception_fp_ieee_div_zero 0
		.amdhsa_exception_fp_ieee_overflow 0
		.amdhsa_exception_fp_ieee_underflow 0
		.amdhsa_exception_fp_ieee_inexact 0
		.amdhsa_exception_int_div_zero 0
	.end_amdhsa_kernel
	.section	.text._ZN7rocprim17ROCPRIM_400000_NS6detail17trampoline_kernelINS0_13kernel_configILj256ELj4ELj4294967295EEENS1_37radix_sort_block_sort_config_selectorIhNS0_10empty_typeEEEZNS1_21radix_sort_block_sortIS4_Lb1EPKhPhPS6_SC_NS0_19identity_decomposerEEE10hipError_tT1_T2_T3_T4_jRjT5_jjP12ihipStream_tbEUlT_E_NS1_11comp_targetILNS1_3genE0ELNS1_11target_archE4294967295ELNS1_3gpuE0ELNS1_3repE0EEENS1_44radix_sort_block_sort_config_static_selectorELNS0_4arch9wavefront6targetE0EEEvSF_,"axG",@progbits,_ZN7rocprim17ROCPRIM_400000_NS6detail17trampoline_kernelINS0_13kernel_configILj256ELj4ELj4294967295EEENS1_37radix_sort_block_sort_config_selectorIhNS0_10empty_typeEEEZNS1_21radix_sort_block_sortIS4_Lb1EPKhPhPS6_SC_NS0_19identity_decomposerEEE10hipError_tT1_T2_T3_T4_jRjT5_jjP12ihipStream_tbEUlT_E_NS1_11comp_targetILNS1_3genE0ELNS1_11target_archE4294967295ELNS1_3gpuE0ELNS1_3repE0EEENS1_44radix_sort_block_sort_config_static_selectorELNS0_4arch9wavefront6targetE0EEEvSF_,comdat
.Lfunc_end0:
	.size	_ZN7rocprim17ROCPRIM_400000_NS6detail17trampoline_kernelINS0_13kernel_configILj256ELj4ELj4294967295EEENS1_37radix_sort_block_sort_config_selectorIhNS0_10empty_typeEEEZNS1_21radix_sort_block_sortIS4_Lb1EPKhPhPS6_SC_NS0_19identity_decomposerEEE10hipError_tT1_T2_T3_T4_jRjT5_jjP12ihipStream_tbEUlT_E_NS1_11comp_targetILNS1_3genE0ELNS1_11target_archE4294967295ELNS1_3gpuE0ELNS1_3repE0EEENS1_44radix_sort_block_sort_config_static_selectorELNS0_4arch9wavefront6targetE0EEEvSF_, .Lfunc_end0-_ZN7rocprim17ROCPRIM_400000_NS6detail17trampoline_kernelINS0_13kernel_configILj256ELj4ELj4294967295EEENS1_37radix_sort_block_sort_config_selectorIhNS0_10empty_typeEEEZNS1_21radix_sort_block_sortIS4_Lb1EPKhPhPS6_SC_NS0_19identity_decomposerEEE10hipError_tT1_T2_T3_T4_jRjT5_jjP12ihipStream_tbEUlT_E_NS1_11comp_targetILNS1_3genE0ELNS1_11target_archE4294967295ELNS1_3gpuE0ELNS1_3repE0EEENS1_44radix_sort_block_sort_config_static_selectorELNS0_4arch9wavefront6targetE0EEEvSF_
                                        ; -- End function
	.set _ZN7rocprim17ROCPRIM_400000_NS6detail17trampoline_kernelINS0_13kernel_configILj256ELj4ELj4294967295EEENS1_37radix_sort_block_sort_config_selectorIhNS0_10empty_typeEEEZNS1_21radix_sort_block_sortIS4_Lb1EPKhPhPS6_SC_NS0_19identity_decomposerEEE10hipError_tT1_T2_T3_T4_jRjT5_jjP12ihipStream_tbEUlT_E_NS1_11comp_targetILNS1_3genE0ELNS1_11target_archE4294967295ELNS1_3gpuE0ELNS1_3repE0EEENS1_44radix_sort_block_sort_config_static_selectorELNS0_4arch9wavefront6targetE0EEEvSF_.num_vgpr, 36
	.set _ZN7rocprim17ROCPRIM_400000_NS6detail17trampoline_kernelINS0_13kernel_configILj256ELj4ELj4294967295EEENS1_37radix_sort_block_sort_config_selectorIhNS0_10empty_typeEEEZNS1_21radix_sort_block_sortIS4_Lb1EPKhPhPS6_SC_NS0_19identity_decomposerEEE10hipError_tT1_T2_T3_T4_jRjT5_jjP12ihipStream_tbEUlT_E_NS1_11comp_targetILNS1_3genE0ELNS1_11target_archE4294967295ELNS1_3gpuE0ELNS1_3repE0EEENS1_44radix_sort_block_sort_config_static_selectorELNS0_4arch9wavefront6targetE0EEEvSF_.num_agpr, 0
	.set _ZN7rocprim17ROCPRIM_400000_NS6detail17trampoline_kernelINS0_13kernel_configILj256ELj4ELj4294967295EEENS1_37radix_sort_block_sort_config_selectorIhNS0_10empty_typeEEEZNS1_21radix_sort_block_sortIS4_Lb1EPKhPhPS6_SC_NS0_19identity_decomposerEEE10hipError_tT1_T2_T3_T4_jRjT5_jjP12ihipStream_tbEUlT_E_NS1_11comp_targetILNS1_3genE0ELNS1_11target_archE4294967295ELNS1_3gpuE0ELNS1_3repE0EEENS1_44radix_sort_block_sort_config_static_selectorELNS0_4arch9wavefront6targetE0EEEvSF_.numbered_sgpr, 29
	.set _ZN7rocprim17ROCPRIM_400000_NS6detail17trampoline_kernelINS0_13kernel_configILj256ELj4ELj4294967295EEENS1_37radix_sort_block_sort_config_selectorIhNS0_10empty_typeEEEZNS1_21radix_sort_block_sortIS4_Lb1EPKhPhPS6_SC_NS0_19identity_decomposerEEE10hipError_tT1_T2_T3_T4_jRjT5_jjP12ihipStream_tbEUlT_E_NS1_11comp_targetILNS1_3genE0ELNS1_11target_archE4294967295ELNS1_3gpuE0ELNS1_3repE0EEENS1_44radix_sort_block_sort_config_static_selectorELNS0_4arch9wavefront6targetE0EEEvSF_.num_named_barrier, 0
	.set _ZN7rocprim17ROCPRIM_400000_NS6detail17trampoline_kernelINS0_13kernel_configILj256ELj4ELj4294967295EEENS1_37radix_sort_block_sort_config_selectorIhNS0_10empty_typeEEEZNS1_21radix_sort_block_sortIS4_Lb1EPKhPhPS6_SC_NS0_19identity_decomposerEEE10hipError_tT1_T2_T3_T4_jRjT5_jjP12ihipStream_tbEUlT_E_NS1_11comp_targetILNS1_3genE0ELNS1_11target_archE4294967295ELNS1_3gpuE0ELNS1_3repE0EEENS1_44radix_sort_block_sort_config_static_selectorELNS0_4arch9wavefront6targetE0EEEvSF_.private_seg_size, 0
	.set _ZN7rocprim17ROCPRIM_400000_NS6detail17trampoline_kernelINS0_13kernel_configILj256ELj4ELj4294967295EEENS1_37radix_sort_block_sort_config_selectorIhNS0_10empty_typeEEEZNS1_21radix_sort_block_sortIS4_Lb1EPKhPhPS6_SC_NS0_19identity_decomposerEEE10hipError_tT1_T2_T3_T4_jRjT5_jjP12ihipStream_tbEUlT_E_NS1_11comp_targetILNS1_3genE0ELNS1_11target_archE4294967295ELNS1_3gpuE0ELNS1_3repE0EEENS1_44radix_sort_block_sort_config_static_selectorELNS0_4arch9wavefront6targetE0EEEvSF_.uses_vcc, 1
	.set _ZN7rocprim17ROCPRIM_400000_NS6detail17trampoline_kernelINS0_13kernel_configILj256ELj4ELj4294967295EEENS1_37radix_sort_block_sort_config_selectorIhNS0_10empty_typeEEEZNS1_21radix_sort_block_sortIS4_Lb1EPKhPhPS6_SC_NS0_19identity_decomposerEEE10hipError_tT1_T2_T3_T4_jRjT5_jjP12ihipStream_tbEUlT_E_NS1_11comp_targetILNS1_3genE0ELNS1_11target_archE4294967295ELNS1_3gpuE0ELNS1_3repE0EEENS1_44radix_sort_block_sort_config_static_selectorELNS0_4arch9wavefront6targetE0EEEvSF_.uses_flat_scratch, 0
	.set _ZN7rocprim17ROCPRIM_400000_NS6detail17trampoline_kernelINS0_13kernel_configILj256ELj4ELj4294967295EEENS1_37radix_sort_block_sort_config_selectorIhNS0_10empty_typeEEEZNS1_21radix_sort_block_sortIS4_Lb1EPKhPhPS6_SC_NS0_19identity_decomposerEEE10hipError_tT1_T2_T3_T4_jRjT5_jjP12ihipStream_tbEUlT_E_NS1_11comp_targetILNS1_3genE0ELNS1_11target_archE4294967295ELNS1_3gpuE0ELNS1_3repE0EEENS1_44radix_sort_block_sort_config_static_selectorELNS0_4arch9wavefront6targetE0EEEvSF_.has_dyn_sized_stack, 0
	.set _ZN7rocprim17ROCPRIM_400000_NS6detail17trampoline_kernelINS0_13kernel_configILj256ELj4ELj4294967295EEENS1_37radix_sort_block_sort_config_selectorIhNS0_10empty_typeEEEZNS1_21radix_sort_block_sortIS4_Lb1EPKhPhPS6_SC_NS0_19identity_decomposerEEE10hipError_tT1_T2_T3_T4_jRjT5_jjP12ihipStream_tbEUlT_E_NS1_11comp_targetILNS1_3genE0ELNS1_11target_archE4294967295ELNS1_3gpuE0ELNS1_3repE0EEENS1_44radix_sort_block_sort_config_static_selectorELNS0_4arch9wavefront6targetE0EEEvSF_.has_recursion, 0
	.set _ZN7rocprim17ROCPRIM_400000_NS6detail17trampoline_kernelINS0_13kernel_configILj256ELj4ELj4294967295EEENS1_37radix_sort_block_sort_config_selectorIhNS0_10empty_typeEEEZNS1_21radix_sort_block_sortIS4_Lb1EPKhPhPS6_SC_NS0_19identity_decomposerEEE10hipError_tT1_T2_T3_T4_jRjT5_jjP12ihipStream_tbEUlT_E_NS1_11comp_targetILNS1_3genE0ELNS1_11target_archE4294967295ELNS1_3gpuE0ELNS1_3repE0EEENS1_44radix_sort_block_sort_config_static_selectorELNS0_4arch9wavefront6targetE0EEEvSF_.has_indirect_call, 0
	.section	.AMDGPU.csdata,"",@progbits
; Kernel info:
; codeLenInByte = 3568
; TotalNumSgprs: 31
; NumVgprs: 36
; ScratchSize: 0
; MemoryBound: 0
; FloatMode: 240
; IeeeMode: 1
; LDSByteSize: 8224 bytes/workgroup (compile time only)
; SGPRBlocks: 0
; VGPRBlocks: 2
; NumSGPRsForWavesPerEU: 31
; NumVGPRsForWavesPerEU: 36
; NamedBarCnt: 0
; Occupancy: 16
; WaveLimiterHint : 1
; COMPUTE_PGM_RSRC2:SCRATCH_EN: 0
; COMPUTE_PGM_RSRC2:USER_SGPR: 2
; COMPUTE_PGM_RSRC2:TRAP_HANDLER: 0
; COMPUTE_PGM_RSRC2:TGID_X_EN: 1
; COMPUTE_PGM_RSRC2:TGID_Y_EN: 0
; COMPUTE_PGM_RSRC2:TGID_Z_EN: 0
; COMPUTE_PGM_RSRC2:TIDIG_COMP_CNT: 2
	.section	.text._ZN7rocprim17ROCPRIM_400000_NS6detail17trampoline_kernelINS0_13kernel_configILj256ELj4ELj4294967295EEENS1_37radix_sort_block_sort_config_selectorIhNS0_10empty_typeEEEZNS1_21radix_sort_block_sortIS4_Lb1EPKhPhPS6_SC_NS0_19identity_decomposerEEE10hipError_tT1_T2_T3_T4_jRjT5_jjP12ihipStream_tbEUlT_E_NS1_11comp_targetILNS1_3genE5ELNS1_11target_archE942ELNS1_3gpuE9ELNS1_3repE0EEENS1_44radix_sort_block_sort_config_static_selectorELNS0_4arch9wavefront6targetE0EEEvSF_,"axG",@progbits,_ZN7rocprim17ROCPRIM_400000_NS6detail17trampoline_kernelINS0_13kernel_configILj256ELj4ELj4294967295EEENS1_37radix_sort_block_sort_config_selectorIhNS0_10empty_typeEEEZNS1_21radix_sort_block_sortIS4_Lb1EPKhPhPS6_SC_NS0_19identity_decomposerEEE10hipError_tT1_T2_T3_T4_jRjT5_jjP12ihipStream_tbEUlT_E_NS1_11comp_targetILNS1_3genE5ELNS1_11target_archE942ELNS1_3gpuE9ELNS1_3repE0EEENS1_44radix_sort_block_sort_config_static_selectorELNS0_4arch9wavefront6targetE0EEEvSF_,comdat
	.protected	_ZN7rocprim17ROCPRIM_400000_NS6detail17trampoline_kernelINS0_13kernel_configILj256ELj4ELj4294967295EEENS1_37radix_sort_block_sort_config_selectorIhNS0_10empty_typeEEEZNS1_21radix_sort_block_sortIS4_Lb1EPKhPhPS6_SC_NS0_19identity_decomposerEEE10hipError_tT1_T2_T3_T4_jRjT5_jjP12ihipStream_tbEUlT_E_NS1_11comp_targetILNS1_3genE5ELNS1_11target_archE942ELNS1_3gpuE9ELNS1_3repE0EEENS1_44radix_sort_block_sort_config_static_selectorELNS0_4arch9wavefront6targetE0EEEvSF_ ; -- Begin function _ZN7rocprim17ROCPRIM_400000_NS6detail17trampoline_kernelINS0_13kernel_configILj256ELj4ELj4294967295EEENS1_37radix_sort_block_sort_config_selectorIhNS0_10empty_typeEEEZNS1_21radix_sort_block_sortIS4_Lb1EPKhPhPS6_SC_NS0_19identity_decomposerEEE10hipError_tT1_T2_T3_T4_jRjT5_jjP12ihipStream_tbEUlT_E_NS1_11comp_targetILNS1_3genE5ELNS1_11target_archE942ELNS1_3gpuE9ELNS1_3repE0EEENS1_44radix_sort_block_sort_config_static_selectorELNS0_4arch9wavefront6targetE0EEEvSF_
	.globl	_ZN7rocprim17ROCPRIM_400000_NS6detail17trampoline_kernelINS0_13kernel_configILj256ELj4ELj4294967295EEENS1_37radix_sort_block_sort_config_selectorIhNS0_10empty_typeEEEZNS1_21radix_sort_block_sortIS4_Lb1EPKhPhPS6_SC_NS0_19identity_decomposerEEE10hipError_tT1_T2_T3_T4_jRjT5_jjP12ihipStream_tbEUlT_E_NS1_11comp_targetILNS1_3genE5ELNS1_11target_archE942ELNS1_3gpuE9ELNS1_3repE0EEENS1_44radix_sort_block_sort_config_static_selectorELNS0_4arch9wavefront6targetE0EEEvSF_
	.p2align	8
	.type	_ZN7rocprim17ROCPRIM_400000_NS6detail17trampoline_kernelINS0_13kernel_configILj256ELj4ELj4294967295EEENS1_37radix_sort_block_sort_config_selectorIhNS0_10empty_typeEEEZNS1_21radix_sort_block_sortIS4_Lb1EPKhPhPS6_SC_NS0_19identity_decomposerEEE10hipError_tT1_T2_T3_T4_jRjT5_jjP12ihipStream_tbEUlT_E_NS1_11comp_targetILNS1_3genE5ELNS1_11target_archE942ELNS1_3gpuE9ELNS1_3repE0EEENS1_44radix_sort_block_sort_config_static_selectorELNS0_4arch9wavefront6targetE0EEEvSF_,@function
_ZN7rocprim17ROCPRIM_400000_NS6detail17trampoline_kernelINS0_13kernel_configILj256ELj4ELj4294967295EEENS1_37radix_sort_block_sort_config_selectorIhNS0_10empty_typeEEEZNS1_21radix_sort_block_sortIS4_Lb1EPKhPhPS6_SC_NS0_19identity_decomposerEEE10hipError_tT1_T2_T3_T4_jRjT5_jjP12ihipStream_tbEUlT_E_NS1_11comp_targetILNS1_3genE5ELNS1_11target_archE942ELNS1_3gpuE9ELNS1_3repE0EEENS1_44radix_sort_block_sort_config_static_selectorELNS0_4arch9wavefront6targetE0EEEvSF_: ; @_ZN7rocprim17ROCPRIM_400000_NS6detail17trampoline_kernelINS0_13kernel_configILj256ELj4ELj4294967295EEENS1_37radix_sort_block_sort_config_selectorIhNS0_10empty_typeEEEZNS1_21radix_sort_block_sortIS4_Lb1EPKhPhPS6_SC_NS0_19identity_decomposerEEE10hipError_tT1_T2_T3_T4_jRjT5_jjP12ihipStream_tbEUlT_E_NS1_11comp_targetILNS1_3genE5ELNS1_11target_archE942ELNS1_3gpuE9ELNS1_3repE0EEENS1_44radix_sort_block_sort_config_static_selectorELNS0_4arch9wavefront6targetE0EEEvSF_
; %bb.0:
	.section	.rodata,"a",@progbits
	.p2align	6, 0x0
	.amdhsa_kernel _ZN7rocprim17ROCPRIM_400000_NS6detail17trampoline_kernelINS0_13kernel_configILj256ELj4ELj4294967295EEENS1_37radix_sort_block_sort_config_selectorIhNS0_10empty_typeEEEZNS1_21radix_sort_block_sortIS4_Lb1EPKhPhPS6_SC_NS0_19identity_decomposerEEE10hipError_tT1_T2_T3_T4_jRjT5_jjP12ihipStream_tbEUlT_E_NS1_11comp_targetILNS1_3genE5ELNS1_11target_archE942ELNS1_3gpuE9ELNS1_3repE0EEENS1_44radix_sort_block_sort_config_static_selectorELNS0_4arch9wavefront6targetE0EEEvSF_
		.amdhsa_group_segment_fixed_size 0
		.amdhsa_private_segment_fixed_size 0
		.amdhsa_kernarg_size 48
		.amdhsa_user_sgpr_count 2
		.amdhsa_user_sgpr_dispatch_ptr 0
		.amdhsa_user_sgpr_queue_ptr 0
		.amdhsa_user_sgpr_kernarg_segment_ptr 1
		.amdhsa_user_sgpr_dispatch_id 0
		.amdhsa_user_sgpr_kernarg_preload_length 0
		.amdhsa_user_sgpr_kernarg_preload_offset 0
		.amdhsa_user_sgpr_private_segment_size 0
		.amdhsa_wavefront_size32 1
		.amdhsa_uses_dynamic_stack 0
		.amdhsa_enable_private_segment 0
		.amdhsa_system_sgpr_workgroup_id_x 1
		.amdhsa_system_sgpr_workgroup_id_y 0
		.amdhsa_system_sgpr_workgroup_id_z 0
		.amdhsa_system_sgpr_workgroup_info 0
		.amdhsa_system_vgpr_workitem_id 0
		.amdhsa_next_free_vgpr 1
		.amdhsa_next_free_sgpr 1
		.amdhsa_named_barrier_count 0
		.amdhsa_reserve_vcc 0
		.amdhsa_float_round_mode_32 0
		.amdhsa_float_round_mode_16_64 0
		.amdhsa_float_denorm_mode_32 3
		.amdhsa_float_denorm_mode_16_64 3
		.amdhsa_fp16_overflow 0
		.amdhsa_memory_ordered 1
		.amdhsa_forward_progress 1
		.amdhsa_inst_pref_size 0
		.amdhsa_round_robin_scheduling 0
		.amdhsa_exception_fp_ieee_invalid_op 0
		.amdhsa_exception_fp_denorm_src 0
		.amdhsa_exception_fp_ieee_div_zero 0
		.amdhsa_exception_fp_ieee_overflow 0
		.amdhsa_exception_fp_ieee_underflow 0
		.amdhsa_exception_fp_ieee_inexact 0
		.amdhsa_exception_int_div_zero 0
	.end_amdhsa_kernel
	.section	.text._ZN7rocprim17ROCPRIM_400000_NS6detail17trampoline_kernelINS0_13kernel_configILj256ELj4ELj4294967295EEENS1_37radix_sort_block_sort_config_selectorIhNS0_10empty_typeEEEZNS1_21radix_sort_block_sortIS4_Lb1EPKhPhPS6_SC_NS0_19identity_decomposerEEE10hipError_tT1_T2_T3_T4_jRjT5_jjP12ihipStream_tbEUlT_E_NS1_11comp_targetILNS1_3genE5ELNS1_11target_archE942ELNS1_3gpuE9ELNS1_3repE0EEENS1_44radix_sort_block_sort_config_static_selectorELNS0_4arch9wavefront6targetE0EEEvSF_,"axG",@progbits,_ZN7rocprim17ROCPRIM_400000_NS6detail17trampoline_kernelINS0_13kernel_configILj256ELj4ELj4294967295EEENS1_37radix_sort_block_sort_config_selectorIhNS0_10empty_typeEEEZNS1_21radix_sort_block_sortIS4_Lb1EPKhPhPS6_SC_NS0_19identity_decomposerEEE10hipError_tT1_T2_T3_T4_jRjT5_jjP12ihipStream_tbEUlT_E_NS1_11comp_targetILNS1_3genE5ELNS1_11target_archE942ELNS1_3gpuE9ELNS1_3repE0EEENS1_44radix_sort_block_sort_config_static_selectorELNS0_4arch9wavefront6targetE0EEEvSF_,comdat
.Lfunc_end1:
	.size	_ZN7rocprim17ROCPRIM_400000_NS6detail17trampoline_kernelINS0_13kernel_configILj256ELj4ELj4294967295EEENS1_37radix_sort_block_sort_config_selectorIhNS0_10empty_typeEEEZNS1_21radix_sort_block_sortIS4_Lb1EPKhPhPS6_SC_NS0_19identity_decomposerEEE10hipError_tT1_T2_T3_T4_jRjT5_jjP12ihipStream_tbEUlT_E_NS1_11comp_targetILNS1_3genE5ELNS1_11target_archE942ELNS1_3gpuE9ELNS1_3repE0EEENS1_44radix_sort_block_sort_config_static_selectorELNS0_4arch9wavefront6targetE0EEEvSF_, .Lfunc_end1-_ZN7rocprim17ROCPRIM_400000_NS6detail17trampoline_kernelINS0_13kernel_configILj256ELj4ELj4294967295EEENS1_37radix_sort_block_sort_config_selectorIhNS0_10empty_typeEEEZNS1_21radix_sort_block_sortIS4_Lb1EPKhPhPS6_SC_NS0_19identity_decomposerEEE10hipError_tT1_T2_T3_T4_jRjT5_jjP12ihipStream_tbEUlT_E_NS1_11comp_targetILNS1_3genE5ELNS1_11target_archE942ELNS1_3gpuE9ELNS1_3repE0EEENS1_44radix_sort_block_sort_config_static_selectorELNS0_4arch9wavefront6targetE0EEEvSF_
                                        ; -- End function
	.set _ZN7rocprim17ROCPRIM_400000_NS6detail17trampoline_kernelINS0_13kernel_configILj256ELj4ELj4294967295EEENS1_37radix_sort_block_sort_config_selectorIhNS0_10empty_typeEEEZNS1_21radix_sort_block_sortIS4_Lb1EPKhPhPS6_SC_NS0_19identity_decomposerEEE10hipError_tT1_T2_T3_T4_jRjT5_jjP12ihipStream_tbEUlT_E_NS1_11comp_targetILNS1_3genE5ELNS1_11target_archE942ELNS1_3gpuE9ELNS1_3repE0EEENS1_44radix_sort_block_sort_config_static_selectorELNS0_4arch9wavefront6targetE0EEEvSF_.num_vgpr, 0
	.set _ZN7rocprim17ROCPRIM_400000_NS6detail17trampoline_kernelINS0_13kernel_configILj256ELj4ELj4294967295EEENS1_37radix_sort_block_sort_config_selectorIhNS0_10empty_typeEEEZNS1_21radix_sort_block_sortIS4_Lb1EPKhPhPS6_SC_NS0_19identity_decomposerEEE10hipError_tT1_T2_T3_T4_jRjT5_jjP12ihipStream_tbEUlT_E_NS1_11comp_targetILNS1_3genE5ELNS1_11target_archE942ELNS1_3gpuE9ELNS1_3repE0EEENS1_44radix_sort_block_sort_config_static_selectorELNS0_4arch9wavefront6targetE0EEEvSF_.num_agpr, 0
	.set _ZN7rocprim17ROCPRIM_400000_NS6detail17trampoline_kernelINS0_13kernel_configILj256ELj4ELj4294967295EEENS1_37radix_sort_block_sort_config_selectorIhNS0_10empty_typeEEEZNS1_21radix_sort_block_sortIS4_Lb1EPKhPhPS6_SC_NS0_19identity_decomposerEEE10hipError_tT1_T2_T3_T4_jRjT5_jjP12ihipStream_tbEUlT_E_NS1_11comp_targetILNS1_3genE5ELNS1_11target_archE942ELNS1_3gpuE9ELNS1_3repE0EEENS1_44radix_sort_block_sort_config_static_selectorELNS0_4arch9wavefront6targetE0EEEvSF_.numbered_sgpr, 0
	.set _ZN7rocprim17ROCPRIM_400000_NS6detail17trampoline_kernelINS0_13kernel_configILj256ELj4ELj4294967295EEENS1_37radix_sort_block_sort_config_selectorIhNS0_10empty_typeEEEZNS1_21radix_sort_block_sortIS4_Lb1EPKhPhPS6_SC_NS0_19identity_decomposerEEE10hipError_tT1_T2_T3_T4_jRjT5_jjP12ihipStream_tbEUlT_E_NS1_11comp_targetILNS1_3genE5ELNS1_11target_archE942ELNS1_3gpuE9ELNS1_3repE0EEENS1_44radix_sort_block_sort_config_static_selectorELNS0_4arch9wavefront6targetE0EEEvSF_.num_named_barrier, 0
	.set _ZN7rocprim17ROCPRIM_400000_NS6detail17trampoline_kernelINS0_13kernel_configILj256ELj4ELj4294967295EEENS1_37radix_sort_block_sort_config_selectorIhNS0_10empty_typeEEEZNS1_21radix_sort_block_sortIS4_Lb1EPKhPhPS6_SC_NS0_19identity_decomposerEEE10hipError_tT1_T2_T3_T4_jRjT5_jjP12ihipStream_tbEUlT_E_NS1_11comp_targetILNS1_3genE5ELNS1_11target_archE942ELNS1_3gpuE9ELNS1_3repE0EEENS1_44radix_sort_block_sort_config_static_selectorELNS0_4arch9wavefront6targetE0EEEvSF_.private_seg_size, 0
	.set _ZN7rocprim17ROCPRIM_400000_NS6detail17trampoline_kernelINS0_13kernel_configILj256ELj4ELj4294967295EEENS1_37radix_sort_block_sort_config_selectorIhNS0_10empty_typeEEEZNS1_21radix_sort_block_sortIS4_Lb1EPKhPhPS6_SC_NS0_19identity_decomposerEEE10hipError_tT1_T2_T3_T4_jRjT5_jjP12ihipStream_tbEUlT_E_NS1_11comp_targetILNS1_3genE5ELNS1_11target_archE942ELNS1_3gpuE9ELNS1_3repE0EEENS1_44radix_sort_block_sort_config_static_selectorELNS0_4arch9wavefront6targetE0EEEvSF_.uses_vcc, 0
	.set _ZN7rocprim17ROCPRIM_400000_NS6detail17trampoline_kernelINS0_13kernel_configILj256ELj4ELj4294967295EEENS1_37radix_sort_block_sort_config_selectorIhNS0_10empty_typeEEEZNS1_21radix_sort_block_sortIS4_Lb1EPKhPhPS6_SC_NS0_19identity_decomposerEEE10hipError_tT1_T2_T3_T4_jRjT5_jjP12ihipStream_tbEUlT_E_NS1_11comp_targetILNS1_3genE5ELNS1_11target_archE942ELNS1_3gpuE9ELNS1_3repE0EEENS1_44radix_sort_block_sort_config_static_selectorELNS0_4arch9wavefront6targetE0EEEvSF_.uses_flat_scratch, 0
	.set _ZN7rocprim17ROCPRIM_400000_NS6detail17trampoline_kernelINS0_13kernel_configILj256ELj4ELj4294967295EEENS1_37radix_sort_block_sort_config_selectorIhNS0_10empty_typeEEEZNS1_21radix_sort_block_sortIS4_Lb1EPKhPhPS6_SC_NS0_19identity_decomposerEEE10hipError_tT1_T2_T3_T4_jRjT5_jjP12ihipStream_tbEUlT_E_NS1_11comp_targetILNS1_3genE5ELNS1_11target_archE942ELNS1_3gpuE9ELNS1_3repE0EEENS1_44radix_sort_block_sort_config_static_selectorELNS0_4arch9wavefront6targetE0EEEvSF_.has_dyn_sized_stack, 0
	.set _ZN7rocprim17ROCPRIM_400000_NS6detail17trampoline_kernelINS0_13kernel_configILj256ELj4ELj4294967295EEENS1_37radix_sort_block_sort_config_selectorIhNS0_10empty_typeEEEZNS1_21radix_sort_block_sortIS4_Lb1EPKhPhPS6_SC_NS0_19identity_decomposerEEE10hipError_tT1_T2_T3_T4_jRjT5_jjP12ihipStream_tbEUlT_E_NS1_11comp_targetILNS1_3genE5ELNS1_11target_archE942ELNS1_3gpuE9ELNS1_3repE0EEENS1_44radix_sort_block_sort_config_static_selectorELNS0_4arch9wavefront6targetE0EEEvSF_.has_recursion, 0
	.set _ZN7rocprim17ROCPRIM_400000_NS6detail17trampoline_kernelINS0_13kernel_configILj256ELj4ELj4294967295EEENS1_37radix_sort_block_sort_config_selectorIhNS0_10empty_typeEEEZNS1_21radix_sort_block_sortIS4_Lb1EPKhPhPS6_SC_NS0_19identity_decomposerEEE10hipError_tT1_T2_T3_T4_jRjT5_jjP12ihipStream_tbEUlT_E_NS1_11comp_targetILNS1_3genE5ELNS1_11target_archE942ELNS1_3gpuE9ELNS1_3repE0EEENS1_44radix_sort_block_sort_config_static_selectorELNS0_4arch9wavefront6targetE0EEEvSF_.has_indirect_call, 0
	.section	.AMDGPU.csdata,"",@progbits
; Kernel info:
; codeLenInByte = 0
; TotalNumSgprs: 0
; NumVgprs: 0
; ScratchSize: 0
; MemoryBound: 0
; FloatMode: 240
; IeeeMode: 1
; LDSByteSize: 0 bytes/workgroup (compile time only)
; SGPRBlocks: 0
; VGPRBlocks: 0
; NumSGPRsForWavesPerEU: 1
; NumVGPRsForWavesPerEU: 1
; NamedBarCnt: 0
; Occupancy: 16
; WaveLimiterHint : 0
; COMPUTE_PGM_RSRC2:SCRATCH_EN: 0
; COMPUTE_PGM_RSRC2:USER_SGPR: 2
; COMPUTE_PGM_RSRC2:TRAP_HANDLER: 0
; COMPUTE_PGM_RSRC2:TGID_X_EN: 1
; COMPUTE_PGM_RSRC2:TGID_Y_EN: 0
; COMPUTE_PGM_RSRC2:TGID_Z_EN: 0
; COMPUTE_PGM_RSRC2:TIDIG_COMP_CNT: 0
	.section	.text._ZN7rocprim17ROCPRIM_400000_NS6detail17trampoline_kernelINS0_13kernel_configILj256ELj4ELj4294967295EEENS1_37radix_sort_block_sort_config_selectorIhNS0_10empty_typeEEEZNS1_21radix_sort_block_sortIS4_Lb1EPKhPhPS6_SC_NS0_19identity_decomposerEEE10hipError_tT1_T2_T3_T4_jRjT5_jjP12ihipStream_tbEUlT_E_NS1_11comp_targetILNS1_3genE4ELNS1_11target_archE910ELNS1_3gpuE8ELNS1_3repE0EEENS1_44radix_sort_block_sort_config_static_selectorELNS0_4arch9wavefront6targetE0EEEvSF_,"axG",@progbits,_ZN7rocprim17ROCPRIM_400000_NS6detail17trampoline_kernelINS0_13kernel_configILj256ELj4ELj4294967295EEENS1_37radix_sort_block_sort_config_selectorIhNS0_10empty_typeEEEZNS1_21radix_sort_block_sortIS4_Lb1EPKhPhPS6_SC_NS0_19identity_decomposerEEE10hipError_tT1_T2_T3_T4_jRjT5_jjP12ihipStream_tbEUlT_E_NS1_11comp_targetILNS1_3genE4ELNS1_11target_archE910ELNS1_3gpuE8ELNS1_3repE0EEENS1_44radix_sort_block_sort_config_static_selectorELNS0_4arch9wavefront6targetE0EEEvSF_,comdat
	.protected	_ZN7rocprim17ROCPRIM_400000_NS6detail17trampoline_kernelINS0_13kernel_configILj256ELj4ELj4294967295EEENS1_37radix_sort_block_sort_config_selectorIhNS0_10empty_typeEEEZNS1_21radix_sort_block_sortIS4_Lb1EPKhPhPS6_SC_NS0_19identity_decomposerEEE10hipError_tT1_T2_T3_T4_jRjT5_jjP12ihipStream_tbEUlT_E_NS1_11comp_targetILNS1_3genE4ELNS1_11target_archE910ELNS1_3gpuE8ELNS1_3repE0EEENS1_44radix_sort_block_sort_config_static_selectorELNS0_4arch9wavefront6targetE0EEEvSF_ ; -- Begin function _ZN7rocprim17ROCPRIM_400000_NS6detail17trampoline_kernelINS0_13kernel_configILj256ELj4ELj4294967295EEENS1_37radix_sort_block_sort_config_selectorIhNS0_10empty_typeEEEZNS1_21radix_sort_block_sortIS4_Lb1EPKhPhPS6_SC_NS0_19identity_decomposerEEE10hipError_tT1_T2_T3_T4_jRjT5_jjP12ihipStream_tbEUlT_E_NS1_11comp_targetILNS1_3genE4ELNS1_11target_archE910ELNS1_3gpuE8ELNS1_3repE0EEENS1_44radix_sort_block_sort_config_static_selectorELNS0_4arch9wavefront6targetE0EEEvSF_
	.globl	_ZN7rocprim17ROCPRIM_400000_NS6detail17trampoline_kernelINS0_13kernel_configILj256ELj4ELj4294967295EEENS1_37radix_sort_block_sort_config_selectorIhNS0_10empty_typeEEEZNS1_21radix_sort_block_sortIS4_Lb1EPKhPhPS6_SC_NS0_19identity_decomposerEEE10hipError_tT1_T2_T3_T4_jRjT5_jjP12ihipStream_tbEUlT_E_NS1_11comp_targetILNS1_3genE4ELNS1_11target_archE910ELNS1_3gpuE8ELNS1_3repE0EEENS1_44radix_sort_block_sort_config_static_selectorELNS0_4arch9wavefront6targetE0EEEvSF_
	.p2align	8
	.type	_ZN7rocprim17ROCPRIM_400000_NS6detail17trampoline_kernelINS0_13kernel_configILj256ELj4ELj4294967295EEENS1_37radix_sort_block_sort_config_selectorIhNS0_10empty_typeEEEZNS1_21radix_sort_block_sortIS4_Lb1EPKhPhPS6_SC_NS0_19identity_decomposerEEE10hipError_tT1_T2_T3_T4_jRjT5_jjP12ihipStream_tbEUlT_E_NS1_11comp_targetILNS1_3genE4ELNS1_11target_archE910ELNS1_3gpuE8ELNS1_3repE0EEENS1_44radix_sort_block_sort_config_static_selectorELNS0_4arch9wavefront6targetE0EEEvSF_,@function
_ZN7rocprim17ROCPRIM_400000_NS6detail17trampoline_kernelINS0_13kernel_configILj256ELj4ELj4294967295EEENS1_37radix_sort_block_sort_config_selectorIhNS0_10empty_typeEEEZNS1_21radix_sort_block_sortIS4_Lb1EPKhPhPS6_SC_NS0_19identity_decomposerEEE10hipError_tT1_T2_T3_T4_jRjT5_jjP12ihipStream_tbEUlT_E_NS1_11comp_targetILNS1_3genE4ELNS1_11target_archE910ELNS1_3gpuE8ELNS1_3repE0EEENS1_44radix_sort_block_sort_config_static_selectorELNS0_4arch9wavefront6targetE0EEEvSF_: ; @_ZN7rocprim17ROCPRIM_400000_NS6detail17trampoline_kernelINS0_13kernel_configILj256ELj4ELj4294967295EEENS1_37radix_sort_block_sort_config_selectorIhNS0_10empty_typeEEEZNS1_21radix_sort_block_sortIS4_Lb1EPKhPhPS6_SC_NS0_19identity_decomposerEEE10hipError_tT1_T2_T3_T4_jRjT5_jjP12ihipStream_tbEUlT_E_NS1_11comp_targetILNS1_3genE4ELNS1_11target_archE910ELNS1_3gpuE8ELNS1_3repE0EEENS1_44radix_sort_block_sort_config_static_selectorELNS0_4arch9wavefront6targetE0EEEvSF_
; %bb.0:
	.section	.rodata,"a",@progbits
	.p2align	6, 0x0
	.amdhsa_kernel _ZN7rocprim17ROCPRIM_400000_NS6detail17trampoline_kernelINS0_13kernel_configILj256ELj4ELj4294967295EEENS1_37radix_sort_block_sort_config_selectorIhNS0_10empty_typeEEEZNS1_21radix_sort_block_sortIS4_Lb1EPKhPhPS6_SC_NS0_19identity_decomposerEEE10hipError_tT1_T2_T3_T4_jRjT5_jjP12ihipStream_tbEUlT_E_NS1_11comp_targetILNS1_3genE4ELNS1_11target_archE910ELNS1_3gpuE8ELNS1_3repE0EEENS1_44radix_sort_block_sort_config_static_selectorELNS0_4arch9wavefront6targetE0EEEvSF_
		.amdhsa_group_segment_fixed_size 0
		.amdhsa_private_segment_fixed_size 0
		.amdhsa_kernarg_size 48
		.amdhsa_user_sgpr_count 2
		.amdhsa_user_sgpr_dispatch_ptr 0
		.amdhsa_user_sgpr_queue_ptr 0
		.amdhsa_user_sgpr_kernarg_segment_ptr 1
		.amdhsa_user_sgpr_dispatch_id 0
		.amdhsa_user_sgpr_kernarg_preload_length 0
		.amdhsa_user_sgpr_kernarg_preload_offset 0
		.amdhsa_user_sgpr_private_segment_size 0
		.amdhsa_wavefront_size32 1
		.amdhsa_uses_dynamic_stack 0
		.amdhsa_enable_private_segment 0
		.amdhsa_system_sgpr_workgroup_id_x 1
		.amdhsa_system_sgpr_workgroup_id_y 0
		.amdhsa_system_sgpr_workgroup_id_z 0
		.amdhsa_system_sgpr_workgroup_info 0
		.amdhsa_system_vgpr_workitem_id 0
		.amdhsa_next_free_vgpr 1
		.amdhsa_next_free_sgpr 1
		.amdhsa_named_barrier_count 0
		.amdhsa_reserve_vcc 0
		.amdhsa_float_round_mode_32 0
		.amdhsa_float_round_mode_16_64 0
		.amdhsa_float_denorm_mode_32 3
		.amdhsa_float_denorm_mode_16_64 3
		.amdhsa_fp16_overflow 0
		.amdhsa_memory_ordered 1
		.amdhsa_forward_progress 1
		.amdhsa_inst_pref_size 0
		.amdhsa_round_robin_scheduling 0
		.amdhsa_exception_fp_ieee_invalid_op 0
		.amdhsa_exception_fp_denorm_src 0
		.amdhsa_exception_fp_ieee_div_zero 0
		.amdhsa_exception_fp_ieee_overflow 0
		.amdhsa_exception_fp_ieee_underflow 0
		.amdhsa_exception_fp_ieee_inexact 0
		.amdhsa_exception_int_div_zero 0
	.end_amdhsa_kernel
	.section	.text._ZN7rocprim17ROCPRIM_400000_NS6detail17trampoline_kernelINS0_13kernel_configILj256ELj4ELj4294967295EEENS1_37radix_sort_block_sort_config_selectorIhNS0_10empty_typeEEEZNS1_21radix_sort_block_sortIS4_Lb1EPKhPhPS6_SC_NS0_19identity_decomposerEEE10hipError_tT1_T2_T3_T4_jRjT5_jjP12ihipStream_tbEUlT_E_NS1_11comp_targetILNS1_3genE4ELNS1_11target_archE910ELNS1_3gpuE8ELNS1_3repE0EEENS1_44radix_sort_block_sort_config_static_selectorELNS0_4arch9wavefront6targetE0EEEvSF_,"axG",@progbits,_ZN7rocprim17ROCPRIM_400000_NS6detail17trampoline_kernelINS0_13kernel_configILj256ELj4ELj4294967295EEENS1_37radix_sort_block_sort_config_selectorIhNS0_10empty_typeEEEZNS1_21radix_sort_block_sortIS4_Lb1EPKhPhPS6_SC_NS0_19identity_decomposerEEE10hipError_tT1_T2_T3_T4_jRjT5_jjP12ihipStream_tbEUlT_E_NS1_11comp_targetILNS1_3genE4ELNS1_11target_archE910ELNS1_3gpuE8ELNS1_3repE0EEENS1_44radix_sort_block_sort_config_static_selectorELNS0_4arch9wavefront6targetE0EEEvSF_,comdat
.Lfunc_end2:
	.size	_ZN7rocprim17ROCPRIM_400000_NS6detail17trampoline_kernelINS0_13kernel_configILj256ELj4ELj4294967295EEENS1_37radix_sort_block_sort_config_selectorIhNS0_10empty_typeEEEZNS1_21radix_sort_block_sortIS4_Lb1EPKhPhPS6_SC_NS0_19identity_decomposerEEE10hipError_tT1_T2_T3_T4_jRjT5_jjP12ihipStream_tbEUlT_E_NS1_11comp_targetILNS1_3genE4ELNS1_11target_archE910ELNS1_3gpuE8ELNS1_3repE0EEENS1_44radix_sort_block_sort_config_static_selectorELNS0_4arch9wavefront6targetE0EEEvSF_, .Lfunc_end2-_ZN7rocprim17ROCPRIM_400000_NS6detail17trampoline_kernelINS0_13kernel_configILj256ELj4ELj4294967295EEENS1_37radix_sort_block_sort_config_selectorIhNS0_10empty_typeEEEZNS1_21radix_sort_block_sortIS4_Lb1EPKhPhPS6_SC_NS0_19identity_decomposerEEE10hipError_tT1_T2_T3_T4_jRjT5_jjP12ihipStream_tbEUlT_E_NS1_11comp_targetILNS1_3genE4ELNS1_11target_archE910ELNS1_3gpuE8ELNS1_3repE0EEENS1_44radix_sort_block_sort_config_static_selectorELNS0_4arch9wavefront6targetE0EEEvSF_
                                        ; -- End function
	.set _ZN7rocprim17ROCPRIM_400000_NS6detail17trampoline_kernelINS0_13kernel_configILj256ELj4ELj4294967295EEENS1_37radix_sort_block_sort_config_selectorIhNS0_10empty_typeEEEZNS1_21radix_sort_block_sortIS4_Lb1EPKhPhPS6_SC_NS0_19identity_decomposerEEE10hipError_tT1_T2_T3_T4_jRjT5_jjP12ihipStream_tbEUlT_E_NS1_11comp_targetILNS1_3genE4ELNS1_11target_archE910ELNS1_3gpuE8ELNS1_3repE0EEENS1_44radix_sort_block_sort_config_static_selectorELNS0_4arch9wavefront6targetE0EEEvSF_.num_vgpr, 0
	.set _ZN7rocprim17ROCPRIM_400000_NS6detail17trampoline_kernelINS0_13kernel_configILj256ELj4ELj4294967295EEENS1_37radix_sort_block_sort_config_selectorIhNS0_10empty_typeEEEZNS1_21radix_sort_block_sortIS4_Lb1EPKhPhPS6_SC_NS0_19identity_decomposerEEE10hipError_tT1_T2_T3_T4_jRjT5_jjP12ihipStream_tbEUlT_E_NS1_11comp_targetILNS1_3genE4ELNS1_11target_archE910ELNS1_3gpuE8ELNS1_3repE0EEENS1_44radix_sort_block_sort_config_static_selectorELNS0_4arch9wavefront6targetE0EEEvSF_.num_agpr, 0
	.set _ZN7rocprim17ROCPRIM_400000_NS6detail17trampoline_kernelINS0_13kernel_configILj256ELj4ELj4294967295EEENS1_37radix_sort_block_sort_config_selectorIhNS0_10empty_typeEEEZNS1_21radix_sort_block_sortIS4_Lb1EPKhPhPS6_SC_NS0_19identity_decomposerEEE10hipError_tT1_T2_T3_T4_jRjT5_jjP12ihipStream_tbEUlT_E_NS1_11comp_targetILNS1_3genE4ELNS1_11target_archE910ELNS1_3gpuE8ELNS1_3repE0EEENS1_44radix_sort_block_sort_config_static_selectorELNS0_4arch9wavefront6targetE0EEEvSF_.numbered_sgpr, 0
	.set _ZN7rocprim17ROCPRIM_400000_NS6detail17trampoline_kernelINS0_13kernel_configILj256ELj4ELj4294967295EEENS1_37radix_sort_block_sort_config_selectorIhNS0_10empty_typeEEEZNS1_21radix_sort_block_sortIS4_Lb1EPKhPhPS6_SC_NS0_19identity_decomposerEEE10hipError_tT1_T2_T3_T4_jRjT5_jjP12ihipStream_tbEUlT_E_NS1_11comp_targetILNS1_3genE4ELNS1_11target_archE910ELNS1_3gpuE8ELNS1_3repE0EEENS1_44radix_sort_block_sort_config_static_selectorELNS0_4arch9wavefront6targetE0EEEvSF_.num_named_barrier, 0
	.set _ZN7rocprim17ROCPRIM_400000_NS6detail17trampoline_kernelINS0_13kernel_configILj256ELj4ELj4294967295EEENS1_37radix_sort_block_sort_config_selectorIhNS0_10empty_typeEEEZNS1_21radix_sort_block_sortIS4_Lb1EPKhPhPS6_SC_NS0_19identity_decomposerEEE10hipError_tT1_T2_T3_T4_jRjT5_jjP12ihipStream_tbEUlT_E_NS1_11comp_targetILNS1_3genE4ELNS1_11target_archE910ELNS1_3gpuE8ELNS1_3repE0EEENS1_44radix_sort_block_sort_config_static_selectorELNS0_4arch9wavefront6targetE0EEEvSF_.private_seg_size, 0
	.set _ZN7rocprim17ROCPRIM_400000_NS6detail17trampoline_kernelINS0_13kernel_configILj256ELj4ELj4294967295EEENS1_37radix_sort_block_sort_config_selectorIhNS0_10empty_typeEEEZNS1_21radix_sort_block_sortIS4_Lb1EPKhPhPS6_SC_NS0_19identity_decomposerEEE10hipError_tT1_T2_T3_T4_jRjT5_jjP12ihipStream_tbEUlT_E_NS1_11comp_targetILNS1_3genE4ELNS1_11target_archE910ELNS1_3gpuE8ELNS1_3repE0EEENS1_44radix_sort_block_sort_config_static_selectorELNS0_4arch9wavefront6targetE0EEEvSF_.uses_vcc, 0
	.set _ZN7rocprim17ROCPRIM_400000_NS6detail17trampoline_kernelINS0_13kernel_configILj256ELj4ELj4294967295EEENS1_37radix_sort_block_sort_config_selectorIhNS0_10empty_typeEEEZNS1_21radix_sort_block_sortIS4_Lb1EPKhPhPS6_SC_NS0_19identity_decomposerEEE10hipError_tT1_T2_T3_T4_jRjT5_jjP12ihipStream_tbEUlT_E_NS1_11comp_targetILNS1_3genE4ELNS1_11target_archE910ELNS1_3gpuE8ELNS1_3repE0EEENS1_44radix_sort_block_sort_config_static_selectorELNS0_4arch9wavefront6targetE0EEEvSF_.uses_flat_scratch, 0
	.set _ZN7rocprim17ROCPRIM_400000_NS6detail17trampoline_kernelINS0_13kernel_configILj256ELj4ELj4294967295EEENS1_37radix_sort_block_sort_config_selectorIhNS0_10empty_typeEEEZNS1_21radix_sort_block_sortIS4_Lb1EPKhPhPS6_SC_NS0_19identity_decomposerEEE10hipError_tT1_T2_T3_T4_jRjT5_jjP12ihipStream_tbEUlT_E_NS1_11comp_targetILNS1_3genE4ELNS1_11target_archE910ELNS1_3gpuE8ELNS1_3repE0EEENS1_44radix_sort_block_sort_config_static_selectorELNS0_4arch9wavefront6targetE0EEEvSF_.has_dyn_sized_stack, 0
	.set _ZN7rocprim17ROCPRIM_400000_NS6detail17trampoline_kernelINS0_13kernel_configILj256ELj4ELj4294967295EEENS1_37radix_sort_block_sort_config_selectorIhNS0_10empty_typeEEEZNS1_21radix_sort_block_sortIS4_Lb1EPKhPhPS6_SC_NS0_19identity_decomposerEEE10hipError_tT1_T2_T3_T4_jRjT5_jjP12ihipStream_tbEUlT_E_NS1_11comp_targetILNS1_3genE4ELNS1_11target_archE910ELNS1_3gpuE8ELNS1_3repE0EEENS1_44radix_sort_block_sort_config_static_selectorELNS0_4arch9wavefront6targetE0EEEvSF_.has_recursion, 0
	.set _ZN7rocprim17ROCPRIM_400000_NS6detail17trampoline_kernelINS0_13kernel_configILj256ELj4ELj4294967295EEENS1_37radix_sort_block_sort_config_selectorIhNS0_10empty_typeEEEZNS1_21radix_sort_block_sortIS4_Lb1EPKhPhPS6_SC_NS0_19identity_decomposerEEE10hipError_tT1_T2_T3_T4_jRjT5_jjP12ihipStream_tbEUlT_E_NS1_11comp_targetILNS1_3genE4ELNS1_11target_archE910ELNS1_3gpuE8ELNS1_3repE0EEENS1_44radix_sort_block_sort_config_static_selectorELNS0_4arch9wavefront6targetE0EEEvSF_.has_indirect_call, 0
	.section	.AMDGPU.csdata,"",@progbits
; Kernel info:
; codeLenInByte = 0
; TotalNumSgprs: 0
; NumVgprs: 0
; ScratchSize: 0
; MemoryBound: 0
; FloatMode: 240
; IeeeMode: 1
; LDSByteSize: 0 bytes/workgroup (compile time only)
; SGPRBlocks: 0
; VGPRBlocks: 0
; NumSGPRsForWavesPerEU: 1
; NumVGPRsForWavesPerEU: 1
; NamedBarCnt: 0
; Occupancy: 16
; WaveLimiterHint : 0
; COMPUTE_PGM_RSRC2:SCRATCH_EN: 0
; COMPUTE_PGM_RSRC2:USER_SGPR: 2
; COMPUTE_PGM_RSRC2:TRAP_HANDLER: 0
; COMPUTE_PGM_RSRC2:TGID_X_EN: 1
; COMPUTE_PGM_RSRC2:TGID_Y_EN: 0
; COMPUTE_PGM_RSRC2:TGID_Z_EN: 0
; COMPUTE_PGM_RSRC2:TIDIG_COMP_CNT: 0
	.section	.text._ZN7rocprim17ROCPRIM_400000_NS6detail17trampoline_kernelINS0_13kernel_configILj256ELj4ELj4294967295EEENS1_37radix_sort_block_sort_config_selectorIhNS0_10empty_typeEEEZNS1_21radix_sort_block_sortIS4_Lb1EPKhPhPS6_SC_NS0_19identity_decomposerEEE10hipError_tT1_T2_T3_T4_jRjT5_jjP12ihipStream_tbEUlT_E_NS1_11comp_targetILNS1_3genE3ELNS1_11target_archE908ELNS1_3gpuE7ELNS1_3repE0EEENS1_44radix_sort_block_sort_config_static_selectorELNS0_4arch9wavefront6targetE0EEEvSF_,"axG",@progbits,_ZN7rocprim17ROCPRIM_400000_NS6detail17trampoline_kernelINS0_13kernel_configILj256ELj4ELj4294967295EEENS1_37radix_sort_block_sort_config_selectorIhNS0_10empty_typeEEEZNS1_21radix_sort_block_sortIS4_Lb1EPKhPhPS6_SC_NS0_19identity_decomposerEEE10hipError_tT1_T2_T3_T4_jRjT5_jjP12ihipStream_tbEUlT_E_NS1_11comp_targetILNS1_3genE3ELNS1_11target_archE908ELNS1_3gpuE7ELNS1_3repE0EEENS1_44radix_sort_block_sort_config_static_selectorELNS0_4arch9wavefront6targetE0EEEvSF_,comdat
	.protected	_ZN7rocprim17ROCPRIM_400000_NS6detail17trampoline_kernelINS0_13kernel_configILj256ELj4ELj4294967295EEENS1_37radix_sort_block_sort_config_selectorIhNS0_10empty_typeEEEZNS1_21radix_sort_block_sortIS4_Lb1EPKhPhPS6_SC_NS0_19identity_decomposerEEE10hipError_tT1_T2_T3_T4_jRjT5_jjP12ihipStream_tbEUlT_E_NS1_11comp_targetILNS1_3genE3ELNS1_11target_archE908ELNS1_3gpuE7ELNS1_3repE0EEENS1_44radix_sort_block_sort_config_static_selectorELNS0_4arch9wavefront6targetE0EEEvSF_ ; -- Begin function _ZN7rocprim17ROCPRIM_400000_NS6detail17trampoline_kernelINS0_13kernel_configILj256ELj4ELj4294967295EEENS1_37radix_sort_block_sort_config_selectorIhNS0_10empty_typeEEEZNS1_21radix_sort_block_sortIS4_Lb1EPKhPhPS6_SC_NS0_19identity_decomposerEEE10hipError_tT1_T2_T3_T4_jRjT5_jjP12ihipStream_tbEUlT_E_NS1_11comp_targetILNS1_3genE3ELNS1_11target_archE908ELNS1_3gpuE7ELNS1_3repE0EEENS1_44radix_sort_block_sort_config_static_selectorELNS0_4arch9wavefront6targetE0EEEvSF_
	.globl	_ZN7rocprim17ROCPRIM_400000_NS6detail17trampoline_kernelINS0_13kernel_configILj256ELj4ELj4294967295EEENS1_37radix_sort_block_sort_config_selectorIhNS0_10empty_typeEEEZNS1_21radix_sort_block_sortIS4_Lb1EPKhPhPS6_SC_NS0_19identity_decomposerEEE10hipError_tT1_T2_T3_T4_jRjT5_jjP12ihipStream_tbEUlT_E_NS1_11comp_targetILNS1_3genE3ELNS1_11target_archE908ELNS1_3gpuE7ELNS1_3repE0EEENS1_44radix_sort_block_sort_config_static_selectorELNS0_4arch9wavefront6targetE0EEEvSF_
	.p2align	8
	.type	_ZN7rocprim17ROCPRIM_400000_NS6detail17trampoline_kernelINS0_13kernel_configILj256ELj4ELj4294967295EEENS1_37radix_sort_block_sort_config_selectorIhNS0_10empty_typeEEEZNS1_21radix_sort_block_sortIS4_Lb1EPKhPhPS6_SC_NS0_19identity_decomposerEEE10hipError_tT1_T2_T3_T4_jRjT5_jjP12ihipStream_tbEUlT_E_NS1_11comp_targetILNS1_3genE3ELNS1_11target_archE908ELNS1_3gpuE7ELNS1_3repE0EEENS1_44radix_sort_block_sort_config_static_selectorELNS0_4arch9wavefront6targetE0EEEvSF_,@function
_ZN7rocprim17ROCPRIM_400000_NS6detail17trampoline_kernelINS0_13kernel_configILj256ELj4ELj4294967295EEENS1_37radix_sort_block_sort_config_selectorIhNS0_10empty_typeEEEZNS1_21radix_sort_block_sortIS4_Lb1EPKhPhPS6_SC_NS0_19identity_decomposerEEE10hipError_tT1_T2_T3_T4_jRjT5_jjP12ihipStream_tbEUlT_E_NS1_11comp_targetILNS1_3genE3ELNS1_11target_archE908ELNS1_3gpuE7ELNS1_3repE0EEENS1_44radix_sort_block_sort_config_static_selectorELNS0_4arch9wavefront6targetE0EEEvSF_: ; @_ZN7rocprim17ROCPRIM_400000_NS6detail17trampoline_kernelINS0_13kernel_configILj256ELj4ELj4294967295EEENS1_37radix_sort_block_sort_config_selectorIhNS0_10empty_typeEEEZNS1_21radix_sort_block_sortIS4_Lb1EPKhPhPS6_SC_NS0_19identity_decomposerEEE10hipError_tT1_T2_T3_T4_jRjT5_jjP12ihipStream_tbEUlT_E_NS1_11comp_targetILNS1_3genE3ELNS1_11target_archE908ELNS1_3gpuE7ELNS1_3repE0EEENS1_44radix_sort_block_sort_config_static_selectorELNS0_4arch9wavefront6targetE0EEEvSF_
; %bb.0:
	.section	.rodata,"a",@progbits
	.p2align	6, 0x0
	.amdhsa_kernel _ZN7rocprim17ROCPRIM_400000_NS6detail17trampoline_kernelINS0_13kernel_configILj256ELj4ELj4294967295EEENS1_37radix_sort_block_sort_config_selectorIhNS0_10empty_typeEEEZNS1_21radix_sort_block_sortIS4_Lb1EPKhPhPS6_SC_NS0_19identity_decomposerEEE10hipError_tT1_T2_T3_T4_jRjT5_jjP12ihipStream_tbEUlT_E_NS1_11comp_targetILNS1_3genE3ELNS1_11target_archE908ELNS1_3gpuE7ELNS1_3repE0EEENS1_44radix_sort_block_sort_config_static_selectorELNS0_4arch9wavefront6targetE0EEEvSF_
		.amdhsa_group_segment_fixed_size 0
		.amdhsa_private_segment_fixed_size 0
		.amdhsa_kernarg_size 48
		.amdhsa_user_sgpr_count 2
		.amdhsa_user_sgpr_dispatch_ptr 0
		.amdhsa_user_sgpr_queue_ptr 0
		.amdhsa_user_sgpr_kernarg_segment_ptr 1
		.amdhsa_user_sgpr_dispatch_id 0
		.amdhsa_user_sgpr_kernarg_preload_length 0
		.amdhsa_user_sgpr_kernarg_preload_offset 0
		.amdhsa_user_sgpr_private_segment_size 0
		.amdhsa_wavefront_size32 1
		.amdhsa_uses_dynamic_stack 0
		.amdhsa_enable_private_segment 0
		.amdhsa_system_sgpr_workgroup_id_x 1
		.amdhsa_system_sgpr_workgroup_id_y 0
		.amdhsa_system_sgpr_workgroup_id_z 0
		.amdhsa_system_sgpr_workgroup_info 0
		.amdhsa_system_vgpr_workitem_id 0
		.amdhsa_next_free_vgpr 1
		.amdhsa_next_free_sgpr 1
		.amdhsa_named_barrier_count 0
		.amdhsa_reserve_vcc 0
		.amdhsa_float_round_mode_32 0
		.amdhsa_float_round_mode_16_64 0
		.amdhsa_float_denorm_mode_32 3
		.amdhsa_float_denorm_mode_16_64 3
		.amdhsa_fp16_overflow 0
		.amdhsa_memory_ordered 1
		.amdhsa_forward_progress 1
		.amdhsa_inst_pref_size 0
		.amdhsa_round_robin_scheduling 0
		.amdhsa_exception_fp_ieee_invalid_op 0
		.amdhsa_exception_fp_denorm_src 0
		.amdhsa_exception_fp_ieee_div_zero 0
		.amdhsa_exception_fp_ieee_overflow 0
		.amdhsa_exception_fp_ieee_underflow 0
		.amdhsa_exception_fp_ieee_inexact 0
		.amdhsa_exception_int_div_zero 0
	.end_amdhsa_kernel
	.section	.text._ZN7rocprim17ROCPRIM_400000_NS6detail17trampoline_kernelINS0_13kernel_configILj256ELj4ELj4294967295EEENS1_37radix_sort_block_sort_config_selectorIhNS0_10empty_typeEEEZNS1_21radix_sort_block_sortIS4_Lb1EPKhPhPS6_SC_NS0_19identity_decomposerEEE10hipError_tT1_T2_T3_T4_jRjT5_jjP12ihipStream_tbEUlT_E_NS1_11comp_targetILNS1_3genE3ELNS1_11target_archE908ELNS1_3gpuE7ELNS1_3repE0EEENS1_44radix_sort_block_sort_config_static_selectorELNS0_4arch9wavefront6targetE0EEEvSF_,"axG",@progbits,_ZN7rocprim17ROCPRIM_400000_NS6detail17trampoline_kernelINS0_13kernel_configILj256ELj4ELj4294967295EEENS1_37radix_sort_block_sort_config_selectorIhNS0_10empty_typeEEEZNS1_21radix_sort_block_sortIS4_Lb1EPKhPhPS6_SC_NS0_19identity_decomposerEEE10hipError_tT1_T2_T3_T4_jRjT5_jjP12ihipStream_tbEUlT_E_NS1_11comp_targetILNS1_3genE3ELNS1_11target_archE908ELNS1_3gpuE7ELNS1_3repE0EEENS1_44radix_sort_block_sort_config_static_selectorELNS0_4arch9wavefront6targetE0EEEvSF_,comdat
.Lfunc_end3:
	.size	_ZN7rocprim17ROCPRIM_400000_NS6detail17trampoline_kernelINS0_13kernel_configILj256ELj4ELj4294967295EEENS1_37radix_sort_block_sort_config_selectorIhNS0_10empty_typeEEEZNS1_21radix_sort_block_sortIS4_Lb1EPKhPhPS6_SC_NS0_19identity_decomposerEEE10hipError_tT1_T2_T3_T4_jRjT5_jjP12ihipStream_tbEUlT_E_NS1_11comp_targetILNS1_3genE3ELNS1_11target_archE908ELNS1_3gpuE7ELNS1_3repE0EEENS1_44radix_sort_block_sort_config_static_selectorELNS0_4arch9wavefront6targetE0EEEvSF_, .Lfunc_end3-_ZN7rocprim17ROCPRIM_400000_NS6detail17trampoline_kernelINS0_13kernel_configILj256ELj4ELj4294967295EEENS1_37radix_sort_block_sort_config_selectorIhNS0_10empty_typeEEEZNS1_21radix_sort_block_sortIS4_Lb1EPKhPhPS6_SC_NS0_19identity_decomposerEEE10hipError_tT1_T2_T3_T4_jRjT5_jjP12ihipStream_tbEUlT_E_NS1_11comp_targetILNS1_3genE3ELNS1_11target_archE908ELNS1_3gpuE7ELNS1_3repE0EEENS1_44radix_sort_block_sort_config_static_selectorELNS0_4arch9wavefront6targetE0EEEvSF_
                                        ; -- End function
	.set _ZN7rocprim17ROCPRIM_400000_NS6detail17trampoline_kernelINS0_13kernel_configILj256ELj4ELj4294967295EEENS1_37radix_sort_block_sort_config_selectorIhNS0_10empty_typeEEEZNS1_21radix_sort_block_sortIS4_Lb1EPKhPhPS6_SC_NS0_19identity_decomposerEEE10hipError_tT1_T2_T3_T4_jRjT5_jjP12ihipStream_tbEUlT_E_NS1_11comp_targetILNS1_3genE3ELNS1_11target_archE908ELNS1_3gpuE7ELNS1_3repE0EEENS1_44radix_sort_block_sort_config_static_selectorELNS0_4arch9wavefront6targetE0EEEvSF_.num_vgpr, 0
	.set _ZN7rocprim17ROCPRIM_400000_NS6detail17trampoline_kernelINS0_13kernel_configILj256ELj4ELj4294967295EEENS1_37radix_sort_block_sort_config_selectorIhNS0_10empty_typeEEEZNS1_21radix_sort_block_sortIS4_Lb1EPKhPhPS6_SC_NS0_19identity_decomposerEEE10hipError_tT1_T2_T3_T4_jRjT5_jjP12ihipStream_tbEUlT_E_NS1_11comp_targetILNS1_3genE3ELNS1_11target_archE908ELNS1_3gpuE7ELNS1_3repE0EEENS1_44radix_sort_block_sort_config_static_selectorELNS0_4arch9wavefront6targetE0EEEvSF_.num_agpr, 0
	.set _ZN7rocprim17ROCPRIM_400000_NS6detail17trampoline_kernelINS0_13kernel_configILj256ELj4ELj4294967295EEENS1_37radix_sort_block_sort_config_selectorIhNS0_10empty_typeEEEZNS1_21radix_sort_block_sortIS4_Lb1EPKhPhPS6_SC_NS0_19identity_decomposerEEE10hipError_tT1_T2_T3_T4_jRjT5_jjP12ihipStream_tbEUlT_E_NS1_11comp_targetILNS1_3genE3ELNS1_11target_archE908ELNS1_3gpuE7ELNS1_3repE0EEENS1_44radix_sort_block_sort_config_static_selectorELNS0_4arch9wavefront6targetE0EEEvSF_.numbered_sgpr, 0
	.set _ZN7rocprim17ROCPRIM_400000_NS6detail17trampoline_kernelINS0_13kernel_configILj256ELj4ELj4294967295EEENS1_37radix_sort_block_sort_config_selectorIhNS0_10empty_typeEEEZNS1_21radix_sort_block_sortIS4_Lb1EPKhPhPS6_SC_NS0_19identity_decomposerEEE10hipError_tT1_T2_T3_T4_jRjT5_jjP12ihipStream_tbEUlT_E_NS1_11comp_targetILNS1_3genE3ELNS1_11target_archE908ELNS1_3gpuE7ELNS1_3repE0EEENS1_44radix_sort_block_sort_config_static_selectorELNS0_4arch9wavefront6targetE0EEEvSF_.num_named_barrier, 0
	.set _ZN7rocprim17ROCPRIM_400000_NS6detail17trampoline_kernelINS0_13kernel_configILj256ELj4ELj4294967295EEENS1_37radix_sort_block_sort_config_selectorIhNS0_10empty_typeEEEZNS1_21radix_sort_block_sortIS4_Lb1EPKhPhPS6_SC_NS0_19identity_decomposerEEE10hipError_tT1_T2_T3_T4_jRjT5_jjP12ihipStream_tbEUlT_E_NS1_11comp_targetILNS1_3genE3ELNS1_11target_archE908ELNS1_3gpuE7ELNS1_3repE0EEENS1_44radix_sort_block_sort_config_static_selectorELNS0_4arch9wavefront6targetE0EEEvSF_.private_seg_size, 0
	.set _ZN7rocprim17ROCPRIM_400000_NS6detail17trampoline_kernelINS0_13kernel_configILj256ELj4ELj4294967295EEENS1_37radix_sort_block_sort_config_selectorIhNS0_10empty_typeEEEZNS1_21radix_sort_block_sortIS4_Lb1EPKhPhPS6_SC_NS0_19identity_decomposerEEE10hipError_tT1_T2_T3_T4_jRjT5_jjP12ihipStream_tbEUlT_E_NS1_11comp_targetILNS1_3genE3ELNS1_11target_archE908ELNS1_3gpuE7ELNS1_3repE0EEENS1_44radix_sort_block_sort_config_static_selectorELNS0_4arch9wavefront6targetE0EEEvSF_.uses_vcc, 0
	.set _ZN7rocprim17ROCPRIM_400000_NS6detail17trampoline_kernelINS0_13kernel_configILj256ELj4ELj4294967295EEENS1_37radix_sort_block_sort_config_selectorIhNS0_10empty_typeEEEZNS1_21radix_sort_block_sortIS4_Lb1EPKhPhPS6_SC_NS0_19identity_decomposerEEE10hipError_tT1_T2_T3_T4_jRjT5_jjP12ihipStream_tbEUlT_E_NS1_11comp_targetILNS1_3genE3ELNS1_11target_archE908ELNS1_3gpuE7ELNS1_3repE0EEENS1_44radix_sort_block_sort_config_static_selectorELNS0_4arch9wavefront6targetE0EEEvSF_.uses_flat_scratch, 0
	.set _ZN7rocprim17ROCPRIM_400000_NS6detail17trampoline_kernelINS0_13kernel_configILj256ELj4ELj4294967295EEENS1_37radix_sort_block_sort_config_selectorIhNS0_10empty_typeEEEZNS1_21radix_sort_block_sortIS4_Lb1EPKhPhPS6_SC_NS0_19identity_decomposerEEE10hipError_tT1_T2_T3_T4_jRjT5_jjP12ihipStream_tbEUlT_E_NS1_11comp_targetILNS1_3genE3ELNS1_11target_archE908ELNS1_3gpuE7ELNS1_3repE0EEENS1_44radix_sort_block_sort_config_static_selectorELNS0_4arch9wavefront6targetE0EEEvSF_.has_dyn_sized_stack, 0
	.set _ZN7rocprim17ROCPRIM_400000_NS6detail17trampoline_kernelINS0_13kernel_configILj256ELj4ELj4294967295EEENS1_37radix_sort_block_sort_config_selectorIhNS0_10empty_typeEEEZNS1_21radix_sort_block_sortIS4_Lb1EPKhPhPS6_SC_NS0_19identity_decomposerEEE10hipError_tT1_T2_T3_T4_jRjT5_jjP12ihipStream_tbEUlT_E_NS1_11comp_targetILNS1_3genE3ELNS1_11target_archE908ELNS1_3gpuE7ELNS1_3repE0EEENS1_44radix_sort_block_sort_config_static_selectorELNS0_4arch9wavefront6targetE0EEEvSF_.has_recursion, 0
	.set _ZN7rocprim17ROCPRIM_400000_NS6detail17trampoline_kernelINS0_13kernel_configILj256ELj4ELj4294967295EEENS1_37radix_sort_block_sort_config_selectorIhNS0_10empty_typeEEEZNS1_21radix_sort_block_sortIS4_Lb1EPKhPhPS6_SC_NS0_19identity_decomposerEEE10hipError_tT1_T2_T3_T4_jRjT5_jjP12ihipStream_tbEUlT_E_NS1_11comp_targetILNS1_3genE3ELNS1_11target_archE908ELNS1_3gpuE7ELNS1_3repE0EEENS1_44radix_sort_block_sort_config_static_selectorELNS0_4arch9wavefront6targetE0EEEvSF_.has_indirect_call, 0
	.section	.AMDGPU.csdata,"",@progbits
; Kernel info:
; codeLenInByte = 0
; TotalNumSgprs: 0
; NumVgprs: 0
; ScratchSize: 0
; MemoryBound: 0
; FloatMode: 240
; IeeeMode: 1
; LDSByteSize: 0 bytes/workgroup (compile time only)
; SGPRBlocks: 0
; VGPRBlocks: 0
; NumSGPRsForWavesPerEU: 1
; NumVGPRsForWavesPerEU: 1
; NamedBarCnt: 0
; Occupancy: 16
; WaveLimiterHint : 0
; COMPUTE_PGM_RSRC2:SCRATCH_EN: 0
; COMPUTE_PGM_RSRC2:USER_SGPR: 2
; COMPUTE_PGM_RSRC2:TRAP_HANDLER: 0
; COMPUTE_PGM_RSRC2:TGID_X_EN: 1
; COMPUTE_PGM_RSRC2:TGID_Y_EN: 0
; COMPUTE_PGM_RSRC2:TGID_Z_EN: 0
; COMPUTE_PGM_RSRC2:TIDIG_COMP_CNT: 0
	.section	.text._ZN7rocprim17ROCPRIM_400000_NS6detail17trampoline_kernelINS0_13kernel_configILj256ELj4ELj4294967295EEENS1_37radix_sort_block_sort_config_selectorIhNS0_10empty_typeEEEZNS1_21radix_sort_block_sortIS4_Lb1EPKhPhPS6_SC_NS0_19identity_decomposerEEE10hipError_tT1_T2_T3_T4_jRjT5_jjP12ihipStream_tbEUlT_E_NS1_11comp_targetILNS1_3genE2ELNS1_11target_archE906ELNS1_3gpuE6ELNS1_3repE0EEENS1_44radix_sort_block_sort_config_static_selectorELNS0_4arch9wavefront6targetE0EEEvSF_,"axG",@progbits,_ZN7rocprim17ROCPRIM_400000_NS6detail17trampoline_kernelINS0_13kernel_configILj256ELj4ELj4294967295EEENS1_37radix_sort_block_sort_config_selectorIhNS0_10empty_typeEEEZNS1_21radix_sort_block_sortIS4_Lb1EPKhPhPS6_SC_NS0_19identity_decomposerEEE10hipError_tT1_T2_T3_T4_jRjT5_jjP12ihipStream_tbEUlT_E_NS1_11comp_targetILNS1_3genE2ELNS1_11target_archE906ELNS1_3gpuE6ELNS1_3repE0EEENS1_44radix_sort_block_sort_config_static_selectorELNS0_4arch9wavefront6targetE0EEEvSF_,comdat
	.protected	_ZN7rocprim17ROCPRIM_400000_NS6detail17trampoline_kernelINS0_13kernel_configILj256ELj4ELj4294967295EEENS1_37radix_sort_block_sort_config_selectorIhNS0_10empty_typeEEEZNS1_21radix_sort_block_sortIS4_Lb1EPKhPhPS6_SC_NS0_19identity_decomposerEEE10hipError_tT1_T2_T3_T4_jRjT5_jjP12ihipStream_tbEUlT_E_NS1_11comp_targetILNS1_3genE2ELNS1_11target_archE906ELNS1_3gpuE6ELNS1_3repE0EEENS1_44radix_sort_block_sort_config_static_selectorELNS0_4arch9wavefront6targetE0EEEvSF_ ; -- Begin function _ZN7rocprim17ROCPRIM_400000_NS6detail17trampoline_kernelINS0_13kernel_configILj256ELj4ELj4294967295EEENS1_37radix_sort_block_sort_config_selectorIhNS0_10empty_typeEEEZNS1_21radix_sort_block_sortIS4_Lb1EPKhPhPS6_SC_NS0_19identity_decomposerEEE10hipError_tT1_T2_T3_T4_jRjT5_jjP12ihipStream_tbEUlT_E_NS1_11comp_targetILNS1_3genE2ELNS1_11target_archE906ELNS1_3gpuE6ELNS1_3repE0EEENS1_44radix_sort_block_sort_config_static_selectorELNS0_4arch9wavefront6targetE0EEEvSF_
	.globl	_ZN7rocprim17ROCPRIM_400000_NS6detail17trampoline_kernelINS0_13kernel_configILj256ELj4ELj4294967295EEENS1_37radix_sort_block_sort_config_selectorIhNS0_10empty_typeEEEZNS1_21radix_sort_block_sortIS4_Lb1EPKhPhPS6_SC_NS0_19identity_decomposerEEE10hipError_tT1_T2_T3_T4_jRjT5_jjP12ihipStream_tbEUlT_E_NS1_11comp_targetILNS1_3genE2ELNS1_11target_archE906ELNS1_3gpuE6ELNS1_3repE0EEENS1_44radix_sort_block_sort_config_static_selectorELNS0_4arch9wavefront6targetE0EEEvSF_
	.p2align	8
	.type	_ZN7rocprim17ROCPRIM_400000_NS6detail17trampoline_kernelINS0_13kernel_configILj256ELj4ELj4294967295EEENS1_37radix_sort_block_sort_config_selectorIhNS0_10empty_typeEEEZNS1_21radix_sort_block_sortIS4_Lb1EPKhPhPS6_SC_NS0_19identity_decomposerEEE10hipError_tT1_T2_T3_T4_jRjT5_jjP12ihipStream_tbEUlT_E_NS1_11comp_targetILNS1_3genE2ELNS1_11target_archE906ELNS1_3gpuE6ELNS1_3repE0EEENS1_44radix_sort_block_sort_config_static_selectorELNS0_4arch9wavefront6targetE0EEEvSF_,@function
_ZN7rocprim17ROCPRIM_400000_NS6detail17trampoline_kernelINS0_13kernel_configILj256ELj4ELj4294967295EEENS1_37radix_sort_block_sort_config_selectorIhNS0_10empty_typeEEEZNS1_21radix_sort_block_sortIS4_Lb1EPKhPhPS6_SC_NS0_19identity_decomposerEEE10hipError_tT1_T2_T3_T4_jRjT5_jjP12ihipStream_tbEUlT_E_NS1_11comp_targetILNS1_3genE2ELNS1_11target_archE906ELNS1_3gpuE6ELNS1_3repE0EEENS1_44radix_sort_block_sort_config_static_selectorELNS0_4arch9wavefront6targetE0EEEvSF_: ; @_ZN7rocprim17ROCPRIM_400000_NS6detail17trampoline_kernelINS0_13kernel_configILj256ELj4ELj4294967295EEENS1_37radix_sort_block_sort_config_selectorIhNS0_10empty_typeEEEZNS1_21radix_sort_block_sortIS4_Lb1EPKhPhPS6_SC_NS0_19identity_decomposerEEE10hipError_tT1_T2_T3_T4_jRjT5_jjP12ihipStream_tbEUlT_E_NS1_11comp_targetILNS1_3genE2ELNS1_11target_archE906ELNS1_3gpuE6ELNS1_3repE0EEENS1_44radix_sort_block_sort_config_static_selectorELNS0_4arch9wavefront6targetE0EEEvSF_
; %bb.0:
	.section	.rodata,"a",@progbits
	.p2align	6, 0x0
	.amdhsa_kernel _ZN7rocprim17ROCPRIM_400000_NS6detail17trampoline_kernelINS0_13kernel_configILj256ELj4ELj4294967295EEENS1_37radix_sort_block_sort_config_selectorIhNS0_10empty_typeEEEZNS1_21radix_sort_block_sortIS4_Lb1EPKhPhPS6_SC_NS0_19identity_decomposerEEE10hipError_tT1_T2_T3_T4_jRjT5_jjP12ihipStream_tbEUlT_E_NS1_11comp_targetILNS1_3genE2ELNS1_11target_archE906ELNS1_3gpuE6ELNS1_3repE0EEENS1_44radix_sort_block_sort_config_static_selectorELNS0_4arch9wavefront6targetE0EEEvSF_
		.amdhsa_group_segment_fixed_size 0
		.amdhsa_private_segment_fixed_size 0
		.amdhsa_kernarg_size 48
		.amdhsa_user_sgpr_count 2
		.amdhsa_user_sgpr_dispatch_ptr 0
		.amdhsa_user_sgpr_queue_ptr 0
		.amdhsa_user_sgpr_kernarg_segment_ptr 1
		.amdhsa_user_sgpr_dispatch_id 0
		.amdhsa_user_sgpr_kernarg_preload_length 0
		.amdhsa_user_sgpr_kernarg_preload_offset 0
		.amdhsa_user_sgpr_private_segment_size 0
		.amdhsa_wavefront_size32 1
		.amdhsa_uses_dynamic_stack 0
		.amdhsa_enable_private_segment 0
		.amdhsa_system_sgpr_workgroup_id_x 1
		.amdhsa_system_sgpr_workgroup_id_y 0
		.amdhsa_system_sgpr_workgroup_id_z 0
		.amdhsa_system_sgpr_workgroup_info 0
		.amdhsa_system_vgpr_workitem_id 0
		.amdhsa_next_free_vgpr 1
		.amdhsa_next_free_sgpr 1
		.amdhsa_named_barrier_count 0
		.amdhsa_reserve_vcc 0
		.amdhsa_float_round_mode_32 0
		.amdhsa_float_round_mode_16_64 0
		.amdhsa_float_denorm_mode_32 3
		.amdhsa_float_denorm_mode_16_64 3
		.amdhsa_fp16_overflow 0
		.amdhsa_memory_ordered 1
		.amdhsa_forward_progress 1
		.amdhsa_inst_pref_size 0
		.amdhsa_round_robin_scheduling 0
		.amdhsa_exception_fp_ieee_invalid_op 0
		.amdhsa_exception_fp_denorm_src 0
		.amdhsa_exception_fp_ieee_div_zero 0
		.amdhsa_exception_fp_ieee_overflow 0
		.amdhsa_exception_fp_ieee_underflow 0
		.amdhsa_exception_fp_ieee_inexact 0
		.amdhsa_exception_int_div_zero 0
	.end_amdhsa_kernel
	.section	.text._ZN7rocprim17ROCPRIM_400000_NS6detail17trampoline_kernelINS0_13kernel_configILj256ELj4ELj4294967295EEENS1_37radix_sort_block_sort_config_selectorIhNS0_10empty_typeEEEZNS1_21radix_sort_block_sortIS4_Lb1EPKhPhPS6_SC_NS0_19identity_decomposerEEE10hipError_tT1_T2_T3_T4_jRjT5_jjP12ihipStream_tbEUlT_E_NS1_11comp_targetILNS1_3genE2ELNS1_11target_archE906ELNS1_3gpuE6ELNS1_3repE0EEENS1_44radix_sort_block_sort_config_static_selectorELNS0_4arch9wavefront6targetE0EEEvSF_,"axG",@progbits,_ZN7rocprim17ROCPRIM_400000_NS6detail17trampoline_kernelINS0_13kernel_configILj256ELj4ELj4294967295EEENS1_37radix_sort_block_sort_config_selectorIhNS0_10empty_typeEEEZNS1_21radix_sort_block_sortIS4_Lb1EPKhPhPS6_SC_NS0_19identity_decomposerEEE10hipError_tT1_T2_T3_T4_jRjT5_jjP12ihipStream_tbEUlT_E_NS1_11comp_targetILNS1_3genE2ELNS1_11target_archE906ELNS1_3gpuE6ELNS1_3repE0EEENS1_44radix_sort_block_sort_config_static_selectorELNS0_4arch9wavefront6targetE0EEEvSF_,comdat
.Lfunc_end4:
	.size	_ZN7rocprim17ROCPRIM_400000_NS6detail17trampoline_kernelINS0_13kernel_configILj256ELj4ELj4294967295EEENS1_37radix_sort_block_sort_config_selectorIhNS0_10empty_typeEEEZNS1_21radix_sort_block_sortIS4_Lb1EPKhPhPS6_SC_NS0_19identity_decomposerEEE10hipError_tT1_T2_T3_T4_jRjT5_jjP12ihipStream_tbEUlT_E_NS1_11comp_targetILNS1_3genE2ELNS1_11target_archE906ELNS1_3gpuE6ELNS1_3repE0EEENS1_44radix_sort_block_sort_config_static_selectorELNS0_4arch9wavefront6targetE0EEEvSF_, .Lfunc_end4-_ZN7rocprim17ROCPRIM_400000_NS6detail17trampoline_kernelINS0_13kernel_configILj256ELj4ELj4294967295EEENS1_37radix_sort_block_sort_config_selectorIhNS0_10empty_typeEEEZNS1_21radix_sort_block_sortIS4_Lb1EPKhPhPS6_SC_NS0_19identity_decomposerEEE10hipError_tT1_T2_T3_T4_jRjT5_jjP12ihipStream_tbEUlT_E_NS1_11comp_targetILNS1_3genE2ELNS1_11target_archE906ELNS1_3gpuE6ELNS1_3repE0EEENS1_44radix_sort_block_sort_config_static_selectorELNS0_4arch9wavefront6targetE0EEEvSF_
                                        ; -- End function
	.set _ZN7rocprim17ROCPRIM_400000_NS6detail17trampoline_kernelINS0_13kernel_configILj256ELj4ELj4294967295EEENS1_37radix_sort_block_sort_config_selectorIhNS0_10empty_typeEEEZNS1_21radix_sort_block_sortIS4_Lb1EPKhPhPS6_SC_NS0_19identity_decomposerEEE10hipError_tT1_T2_T3_T4_jRjT5_jjP12ihipStream_tbEUlT_E_NS1_11comp_targetILNS1_3genE2ELNS1_11target_archE906ELNS1_3gpuE6ELNS1_3repE0EEENS1_44radix_sort_block_sort_config_static_selectorELNS0_4arch9wavefront6targetE0EEEvSF_.num_vgpr, 0
	.set _ZN7rocprim17ROCPRIM_400000_NS6detail17trampoline_kernelINS0_13kernel_configILj256ELj4ELj4294967295EEENS1_37radix_sort_block_sort_config_selectorIhNS0_10empty_typeEEEZNS1_21radix_sort_block_sortIS4_Lb1EPKhPhPS6_SC_NS0_19identity_decomposerEEE10hipError_tT1_T2_T3_T4_jRjT5_jjP12ihipStream_tbEUlT_E_NS1_11comp_targetILNS1_3genE2ELNS1_11target_archE906ELNS1_3gpuE6ELNS1_3repE0EEENS1_44radix_sort_block_sort_config_static_selectorELNS0_4arch9wavefront6targetE0EEEvSF_.num_agpr, 0
	.set _ZN7rocprim17ROCPRIM_400000_NS6detail17trampoline_kernelINS0_13kernel_configILj256ELj4ELj4294967295EEENS1_37radix_sort_block_sort_config_selectorIhNS0_10empty_typeEEEZNS1_21radix_sort_block_sortIS4_Lb1EPKhPhPS6_SC_NS0_19identity_decomposerEEE10hipError_tT1_T2_T3_T4_jRjT5_jjP12ihipStream_tbEUlT_E_NS1_11comp_targetILNS1_3genE2ELNS1_11target_archE906ELNS1_3gpuE6ELNS1_3repE0EEENS1_44radix_sort_block_sort_config_static_selectorELNS0_4arch9wavefront6targetE0EEEvSF_.numbered_sgpr, 0
	.set _ZN7rocprim17ROCPRIM_400000_NS6detail17trampoline_kernelINS0_13kernel_configILj256ELj4ELj4294967295EEENS1_37radix_sort_block_sort_config_selectorIhNS0_10empty_typeEEEZNS1_21radix_sort_block_sortIS4_Lb1EPKhPhPS6_SC_NS0_19identity_decomposerEEE10hipError_tT1_T2_T3_T4_jRjT5_jjP12ihipStream_tbEUlT_E_NS1_11comp_targetILNS1_3genE2ELNS1_11target_archE906ELNS1_3gpuE6ELNS1_3repE0EEENS1_44radix_sort_block_sort_config_static_selectorELNS0_4arch9wavefront6targetE0EEEvSF_.num_named_barrier, 0
	.set _ZN7rocprim17ROCPRIM_400000_NS6detail17trampoline_kernelINS0_13kernel_configILj256ELj4ELj4294967295EEENS1_37radix_sort_block_sort_config_selectorIhNS0_10empty_typeEEEZNS1_21radix_sort_block_sortIS4_Lb1EPKhPhPS6_SC_NS0_19identity_decomposerEEE10hipError_tT1_T2_T3_T4_jRjT5_jjP12ihipStream_tbEUlT_E_NS1_11comp_targetILNS1_3genE2ELNS1_11target_archE906ELNS1_3gpuE6ELNS1_3repE0EEENS1_44radix_sort_block_sort_config_static_selectorELNS0_4arch9wavefront6targetE0EEEvSF_.private_seg_size, 0
	.set _ZN7rocprim17ROCPRIM_400000_NS6detail17trampoline_kernelINS0_13kernel_configILj256ELj4ELj4294967295EEENS1_37radix_sort_block_sort_config_selectorIhNS0_10empty_typeEEEZNS1_21radix_sort_block_sortIS4_Lb1EPKhPhPS6_SC_NS0_19identity_decomposerEEE10hipError_tT1_T2_T3_T4_jRjT5_jjP12ihipStream_tbEUlT_E_NS1_11comp_targetILNS1_3genE2ELNS1_11target_archE906ELNS1_3gpuE6ELNS1_3repE0EEENS1_44radix_sort_block_sort_config_static_selectorELNS0_4arch9wavefront6targetE0EEEvSF_.uses_vcc, 0
	.set _ZN7rocprim17ROCPRIM_400000_NS6detail17trampoline_kernelINS0_13kernel_configILj256ELj4ELj4294967295EEENS1_37radix_sort_block_sort_config_selectorIhNS0_10empty_typeEEEZNS1_21radix_sort_block_sortIS4_Lb1EPKhPhPS6_SC_NS0_19identity_decomposerEEE10hipError_tT1_T2_T3_T4_jRjT5_jjP12ihipStream_tbEUlT_E_NS1_11comp_targetILNS1_3genE2ELNS1_11target_archE906ELNS1_3gpuE6ELNS1_3repE0EEENS1_44radix_sort_block_sort_config_static_selectorELNS0_4arch9wavefront6targetE0EEEvSF_.uses_flat_scratch, 0
	.set _ZN7rocprim17ROCPRIM_400000_NS6detail17trampoline_kernelINS0_13kernel_configILj256ELj4ELj4294967295EEENS1_37radix_sort_block_sort_config_selectorIhNS0_10empty_typeEEEZNS1_21radix_sort_block_sortIS4_Lb1EPKhPhPS6_SC_NS0_19identity_decomposerEEE10hipError_tT1_T2_T3_T4_jRjT5_jjP12ihipStream_tbEUlT_E_NS1_11comp_targetILNS1_3genE2ELNS1_11target_archE906ELNS1_3gpuE6ELNS1_3repE0EEENS1_44radix_sort_block_sort_config_static_selectorELNS0_4arch9wavefront6targetE0EEEvSF_.has_dyn_sized_stack, 0
	.set _ZN7rocprim17ROCPRIM_400000_NS6detail17trampoline_kernelINS0_13kernel_configILj256ELj4ELj4294967295EEENS1_37radix_sort_block_sort_config_selectorIhNS0_10empty_typeEEEZNS1_21radix_sort_block_sortIS4_Lb1EPKhPhPS6_SC_NS0_19identity_decomposerEEE10hipError_tT1_T2_T3_T4_jRjT5_jjP12ihipStream_tbEUlT_E_NS1_11comp_targetILNS1_3genE2ELNS1_11target_archE906ELNS1_3gpuE6ELNS1_3repE0EEENS1_44radix_sort_block_sort_config_static_selectorELNS0_4arch9wavefront6targetE0EEEvSF_.has_recursion, 0
	.set _ZN7rocprim17ROCPRIM_400000_NS6detail17trampoline_kernelINS0_13kernel_configILj256ELj4ELj4294967295EEENS1_37radix_sort_block_sort_config_selectorIhNS0_10empty_typeEEEZNS1_21radix_sort_block_sortIS4_Lb1EPKhPhPS6_SC_NS0_19identity_decomposerEEE10hipError_tT1_T2_T3_T4_jRjT5_jjP12ihipStream_tbEUlT_E_NS1_11comp_targetILNS1_3genE2ELNS1_11target_archE906ELNS1_3gpuE6ELNS1_3repE0EEENS1_44radix_sort_block_sort_config_static_selectorELNS0_4arch9wavefront6targetE0EEEvSF_.has_indirect_call, 0
	.section	.AMDGPU.csdata,"",@progbits
; Kernel info:
; codeLenInByte = 0
; TotalNumSgprs: 0
; NumVgprs: 0
; ScratchSize: 0
; MemoryBound: 0
; FloatMode: 240
; IeeeMode: 1
; LDSByteSize: 0 bytes/workgroup (compile time only)
; SGPRBlocks: 0
; VGPRBlocks: 0
; NumSGPRsForWavesPerEU: 1
; NumVGPRsForWavesPerEU: 1
; NamedBarCnt: 0
; Occupancy: 16
; WaveLimiterHint : 0
; COMPUTE_PGM_RSRC2:SCRATCH_EN: 0
; COMPUTE_PGM_RSRC2:USER_SGPR: 2
; COMPUTE_PGM_RSRC2:TRAP_HANDLER: 0
; COMPUTE_PGM_RSRC2:TGID_X_EN: 1
; COMPUTE_PGM_RSRC2:TGID_Y_EN: 0
; COMPUTE_PGM_RSRC2:TGID_Z_EN: 0
; COMPUTE_PGM_RSRC2:TIDIG_COMP_CNT: 0
	.section	.text._ZN7rocprim17ROCPRIM_400000_NS6detail17trampoline_kernelINS0_13kernel_configILj256ELj4ELj4294967295EEENS1_37radix_sort_block_sort_config_selectorIhNS0_10empty_typeEEEZNS1_21radix_sort_block_sortIS4_Lb1EPKhPhPS6_SC_NS0_19identity_decomposerEEE10hipError_tT1_T2_T3_T4_jRjT5_jjP12ihipStream_tbEUlT_E_NS1_11comp_targetILNS1_3genE10ELNS1_11target_archE1201ELNS1_3gpuE5ELNS1_3repE0EEENS1_44radix_sort_block_sort_config_static_selectorELNS0_4arch9wavefront6targetE0EEEvSF_,"axG",@progbits,_ZN7rocprim17ROCPRIM_400000_NS6detail17trampoline_kernelINS0_13kernel_configILj256ELj4ELj4294967295EEENS1_37radix_sort_block_sort_config_selectorIhNS0_10empty_typeEEEZNS1_21radix_sort_block_sortIS4_Lb1EPKhPhPS6_SC_NS0_19identity_decomposerEEE10hipError_tT1_T2_T3_T4_jRjT5_jjP12ihipStream_tbEUlT_E_NS1_11comp_targetILNS1_3genE10ELNS1_11target_archE1201ELNS1_3gpuE5ELNS1_3repE0EEENS1_44radix_sort_block_sort_config_static_selectorELNS0_4arch9wavefront6targetE0EEEvSF_,comdat
	.protected	_ZN7rocprim17ROCPRIM_400000_NS6detail17trampoline_kernelINS0_13kernel_configILj256ELj4ELj4294967295EEENS1_37radix_sort_block_sort_config_selectorIhNS0_10empty_typeEEEZNS1_21radix_sort_block_sortIS4_Lb1EPKhPhPS6_SC_NS0_19identity_decomposerEEE10hipError_tT1_T2_T3_T4_jRjT5_jjP12ihipStream_tbEUlT_E_NS1_11comp_targetILNS1_3genE10ELNS1_11target_archE1201ELNS1_3gpuE5ELNS1_3repE0EEENS1_44radix_sort_block_sort_config_static_selectorELNS0_4arch9wavefront6targetE0EEEvSF_ ; -- Begin function _ZN7rocprim17ROCPRIM_400000_NS6detail17trampoline_kernelINS0_13kernel_configILj256ELj4ELj4294967295EEENS1_37radix_sort_block_sort_config_selectorIhNS0_10empty_typeEEEZNS1_21radix_sort_block_sortIS4_Lb1EPKhPhPS6_SC_NS0_19identity_decomposerEEE10hipError_tT1_T2_T3_T4_jRjT5_jjP12ihipStream_tbEUlT_E_NS1_11comp_targetILNS1_3genE10ELNS1_11target_archE1201ELNS1_3gpuE5ELNS1_3repE0EEENS1_44radix_sort_block_sort_config_static_selectorELNS0_4arch9wavefront6targetE0EEEvSF_
	.globl	_ZN7rocprim17ROCPRIM_400000_NS6detail17trampoline_kernelINS0_13kernel_configILj256ELj4ELj4294967295EEENS1_37radix_sort_block_sort_config_selectorIhNS0_10empty_typeEEEZNS1_21radix_sort_block_sortIS4_Lb1EPKhPhPS6_SC_NS0_19identity_decomposerEEE10hipError_tT1_T2_T3_T4_jRjT5_jjP12ihipStream_tbEUlT_E_NS1_11comp_targetILNS1_3genE10ELNS1_11target_archE1201ELNS1_3gpuE5ELNS1_3repE0EEENS1_44radix_sort_block_sort_config_static_selectorELNS0_4arch9wavefront6targetE0EEEvSF_
	.p2align	8
	.type	_ZN7rocprim17ROCPRIM_400000_NS6detail17trampoline_kernelINS0_13kernel_configILj256ELj4ELj4294967295EEENS1_37radix_sort_block_sort_config_selectorIhNS0_10empty_typeEEEZNS1_21radix_sort_block_sortIS4_Lb1EPKhPhPS6_SC_NS0_19identity_decomposerEEE10hipError_tT1_T2_T3_T4_jRjT5_jjP12ihipStream_tbEUlT_E_NS1_11comp_targetILNS1_3genE10ELNS1_11target_archE1201ELNS1_3gpuE5ELNS1_3repE0EEENS1_44radix_sort_block_sort_config_static_selectorELNS0_4arch9wavefront6targetE0EEEvSF_,@function
_ZN7rocprim17ROCPRIM_400000_NS6detail17trampoline_kernelINS0_13kernel_configILj256ELj4ELj4294967295EEENS1_37radix_sort_block_sort_config_selectorIhNS0_10empty_typeEEEZNS1_21radix_sort_block_sortIS4_Lb1EPKhPhPS6_SC_NS0_19identity_decomposerEEE10hipError_tT1_T2_T3_T4_jRjT5_jjP12ihipStream_tbEUlT_E_NS1_11comp_targetILNS1_3genE10ELNS1_11target_archE1201ELNS1_3gpuE5ELNS1_3repE0EEENS1_44radix_sort_block_sort_config_static_selectorELNS0_4arch9wavefront6targetE0EEEvSF_: ; @_ZN7rocprim17ROCPRIM_400000_NS6detail17trampoline_kernelINS0_13kernel_configILj256ELj4ELj4294967295EEENS1_37radix_sort_block_sort_config_selectorIhNS0_10empty_typeEEEZNS1_21radix_sort_block_sortIS4_Lb1EPKhPhPS6_SC_NS0_19identity_decomposerEEE10hipError_tT1_T2_T3_T4_jRjT5_jjP12ihipStream_tbEUlT_E_NS1_11comp_targetILNS1_3genE10ELNS1_11target_archE1201ELNS1_3gpuE5ELNS1_3repE0EEENS1_44radix_sort_block_sort_config_static_selectorELNS0_4arch9wavefront6targetE0EEEvSF_
; %bb.0:
	.section	.rodata,"a",@progbits
	.p2align	6, 0x0
	.amdhsa_kernel _ZN7rocprim17ROCPRIM_400000_NS6detail17trampoline_kernelINS0_13kernel_configILj256ELj4ELj4294967295EEENS1_37radix_sort_block_sort_config_selectorIhNS0_10empty_typeEEEZNS1_21radix_sort_block_sortIS4_Lb1EPKhPhPS6_SC_NS0_19identity_decomposerEEE10hipError_tT1_T2_T3_T4_jRjT5_jjP12ihipStream_tbEUlT_E_NS1_11comp_targetILNS1_3genE10ELNS1_11target_archE1201ELNS1_3gpuE5ELNS1_3repE0EEENS1_44radix_sort_block_sort_config_static_selectorELNS0_4arch9wavefront6targetE0EEEvSF_
		.amdhsa_group_segment_fixed_size 0
		.amdhsa_private_segment_fixed_size 0
		.amdhsa_kernarg_size 48
		.amdhsa_user_sgpr_count 2
		.amdhsa_user_sgpr_dispatch_ptr 0
		.amdhsa_user_sgpr_queue_ptr 0
		.amdhsa_user_sgpr_kernarg_segment_ptr 1
		.amdhsa_user_sgpr_dispatch_id 0
		.amdhsa_user_sgpr_kernarg_preload_length 0
		.amdhsa_user_sgpr_kernarg_preload_offset 0
		.amdhsa_user_sgpr_private_segment_size 0
		.amdhsa_wavefront_size32 1
		.amdhsa_uses_dynamic_stack 0
		.amdhsa_enable_private_segment 0
		.amdhsa_system_sgpr_workgroup_id_x 1
		.amdhsa_system_sgpr_workgroup_id_y 0
		.amdhsa_system_sgpr_workgroup_id_z 0
		.amdhsa_system_sgpr_workgroup_info 0
		.amdhsa_system_vgpr_workitem_id 0
		.amdhsa_next_free_vgpr 1
		.amdhsa_next_free_sgpr 1
		.amdhsa_named_barrier_count 0
		.amdhsa_reserve_vcc 0
		.amdhsa_float_round_mode_32 0
		.amdhsa_float_round_mode_16_64 0
		.amdhsa_float_denorm_mode_32 3
		.amdhsa_float_denorm_mode_16_64 3
		.amdhsa_fp16_overflow 0
		.amdhsa_memory_ordered 1
		.amdhsa_forward_progress 1
		.amdhsa_inst_pref_size 0
		.amdhsa_round_robin_scheduling 0
		.amdhsa_exception_fp_ieee_invalid_op 0
		.amdhsa_exception_fp_denorm_src 0
		.amdhsa_exception_fp_ieee_div_zero 0
		.amdhsa_exception_fp_ieee_overflow 0
		.amdhsa_exception_fp_ieee_underflow 0
		.amdhsa_exception_fp_ieee_inexact 0
		.amdhsa_exception_int_div_zero 0
	.end_amdhsa_kernel
	.section	.text._ZN7rocprim17ROCPRIM_400000_NS6detail17trampoline_kernelINS0_13kernel_configILj256ELj4ELj4294967295EEENS1_37radix_sort_block_sort_config_selectorIhNS0_10empty_typeEEEZNS1_21radix_sort_block_sortIS4_Lb1EPKhPhPS6_SC_NS0_19identity_decomposerEEE10hipError_tT1_T2_T3_T4_jRjT5_jjP12ihipStream_tbEUlT_E_NS1_11comp_targetILNS1_3genE10ELNS1_11target_archE1201ELNS1_3gpuE5ELNS1_3repE0EEENS1_44radix_sort_block_sort_config_static_selectorELNS0_4arch9wavefront6targetE0EEEvSF_,"axG",@progbits,_ZN7rocprim17ROCPRIM_400000_NS6detail17trampoline_kernelINS0_13kernel_configILj256ELj4ELj4294967295EEENS1_37radix_sort_block_sort_config_selectorIhNS0_10empty_typeEEEZNS1_21radix_sort_block_sortIS4_Lb1EPKhPhPS6_SC_NS0_19identity_decomposerEEE10hipError_tT1_T2_T3_T4_jRjT5_jjP12ihipStream_tbEUlT_E_NS1_11comp_targetILNS1_3genE10ELNS1_11target_archE1201ELNS1_3gpuE5ELNS1_3repE0EEENS1_44radix_sort_block_sort_config_static_selectorELNS0_4arch9wavefront6targetE0EEEvSF_,comdat
.Lfunc_end5:
	.size	_ZN7rocprim17ROCPRIM_400000_NS6detail17trampoline_kernelINS0_13kernel_configILj256ELj4ELj4294967295EEENS1_37radix_sort_block_sort_config_selectorIhNS0_10empty_typeEEEZNS1_21radix_sort_block_sortIS4_Lb1EPKhPhPS6_SC_NS0_19identity_decomposerEEE10hipError_tT1_T2_T3_T4_jRjT5_jjP12ihipStream_tbEUlT_E_NS1_11comp_targetILNS1_3genE10ELNS1_11target_archE1201ELNS1_3gpuE5ELNS1_3repE0EEENS1_44radix_sort_block_sort_config_static_selectorELNS0_4arch9wavefront6targetE0EEEvSF_, .Lfunc_end5-_ZN7rocprim17ROCPRIM_400000_NS6detail17trampoline_kernelINS0_13kernel_configILj256ELj4ELj4294967295EEENS1_37radix_sort_block_sort_config_selectorIhNS0_10empty_typeEEEZNS1_21radix_sort_block_sortIS4_Lb1EPKhPhPS6_SC_NS0_19identity_decomposerEEE10hipError_tT1_T2_T3_T4_jRjT5_jjP12ihipStream_tbEUlT_E_NS1_11comp_targetILNS1_3genE10ELNS1_11target_archE1201ELNS1_3gpuE5ELNS1_3repE0EEENS1_44radix_sort_block_sort_config_static_selectorELNS0_4arch9wavefront6targetE0EEEvSF_
                                        ; -- End function
	.set _ZN7rocprim17ROCPRIM_400000_NS6detail17trampoline_kernelINS0_13kernel_configILj256ELj4ELj4294967295EEENS1_37radix_sort_block_sort_config_selectorIhNS0_10empty_typeEEEZNS1_21radix_sort_block_sortIS4_Lb1EPKhPhPS6_SC_NS0_19identity_decomposerEEE10hipError_tT1_T2_T3_T4_jRjT5_jjP12ihipStream_tbEUlT_E_NS1_11comp_targetILNS1_3genE10ELNS1_11target_archE1201ELNS1_3gpuE5ELNS1_3repE0EEENS1_44radix_sort_block_sort_config_static_selectorELNS0_4arch9wavefront6targetE0EEEvSF_.num_vgpr, 0
	.set _ZN7rocprim17ROCPRIM_400000_NS6detail17trampoline_kernelINS0_13kernel_configILj256ELj4ELj4294967295EEENS1_37radix_sort_block_sort_config_selectorIhNS0_10empty_typeEEEZNS1_21radix_sort_block_sortIS4_Lb1EPKhPhPS6_SC_NS0_19identity_decomposerEEE10hipError_tT1_T2_T3_T4_jRjT5_jjP12ihipStream_tbEUlT_E_NS1_11comp_targetILNS1_3genE10ELNS1_11target_archE1201ELNS1_3gpuE5ELNS1_3repE0EEENS1_44radix_sort_block_sort_config_static_selectorELNS0_4arch9wavefront6targetE0EEEvSF_.num_agpr, 0
	.set _ZN7rocprim17ROCPRIM_400000_NS6detail17trampoline_kernelINS0_13kernel_configILj256ELj4ELj4294967295EEENS1_37radix_sort_block_sort_config_selectorIhNS0_10empty_typeEEEZNS1_21radix_sort_block_sortIS4_Lb1EPKhPhPS6_SC_NS0_19identity_decomposerEEE10hipError_tT1_T2_T3_T4_jRjT5_jjP12ihipStream_tbEUlT_E_NS1_11comp_targetILNS1_3genE10ELNS1_11target_archE1201ELNS1_3gpuE5ELNS1_3repE0EEENS1_44radix_sort_block_sort_config_static_selectorELNS0_4arch9wavefront6targetE0EEEvSF_.numbered_sgpr, 0
	.set _ZN7rocprim17ROCPRIM_400000_NS6detail17trampoline_kernelINS0_13kernel_configILj256ELj4ELj4294967295EEENS1_37radix_sort_block_sort_config_selectorIhNS0_10empty_typeEEEZNS1_21radix_sort_block_sortIS4_Lb1EPKhPhPS6_SC_NS0_19identity_decomposerEEE10hipError_tT1_T2_T3_T4_jRjT5_jjP12ihipStream_tbEUlT_E_NS1_11comp_targetILNS1_3genE10ELNS1_11target_archE1201ELNS1_3gpuE5ELNS1_3repE0EEENS1_44radix_sort_block_sort_config_static_selectorELNS0_4arch9wavefront6targetE0EEEvSF_.num_named_barrier, 0
	.set _ZN7rocprim17ROCPRIM_400000_NS6detail17trampoline_kernelINS0_13kernel_configILj256ELj4ELj4294967295EEENS1_37radix_sort_block_sort_config_selectorIhNS0_10empty_typeEEEZNS1_21radix_sort_block_sortIS4_Lb1EPKhPhPS6_SC_NS0_19identity_decomposerEEE10hipError_tT1_T2_T3_T4_jRjT5_jjP12ihipStream_tbEUlT_E_NS1_11comp_targetILNS1_3genE10ELNS1_11target_archE1201ELNS1_3gpuE5ELNS1_3repE0EEENS1_44radix_sort_block_sort_config_static_selectorELNS0_4arch9wavefront6targetE0EEEvSF_.private_seg_size, 0
	.set _ZN7rocprim17ROCPRIM_400000_NS6detail17trampoline_kernelINS0_13kernel_configILj256ELj4ELj4294967295EEENS1_37radix_sort_block_sort_config_selectorIhNS0_10empty_typeEEEZNS1_21radix_sort_block_sortIS4_Lb1EPKhPhPS6_SC_NS0_19identity_decomposerEEE10hipError_tT1_T2_T3_T4_jRjT5_jjP12ihipStream_tbEUlT_E_NS1_11comp_targetILNS1_3genE10ELNS1_11target_archE1201ELNS1_3gpuE5ELNS1_3repE0EEENS1_44radix_sort_block_sort_config_static_selectorELNS0_4arch9wavefront6targetE0EEEvSF_.uses_vcc, 0
	.set _ZN7rocprim17ROCPRIM_400000_NS6detail17trampoline_kernelINS0_13kernel_configILj256ELj4ELj4294967295EEENS1_37radix_sort_block_sort_config_selectorIhNS0_10empty_typeEEEZNS1_21radix_sort_block_sortIS4_Lb1EPKhPhPS6_SC_NS0_19identity_decomposerEEE10hipError_tT1_T2_T3_T4_jRjT5_jjP12ihipStream_tbEUlT_E_NS1_11comp_targetILNS1_3genE10ELNS1_11target_archE1201ELNS1_3gpuE5ELNS1_3repE0EEENS1_44radix_sort_block_sort_config_static_selectorELNS0_4arch9wavefront6targetE0EEEvSF_.uses_flat_scratch, 0
	.set _ZN7rocprim17ROCPRIM_400000_NS6detail17trampoline_kernelINS0_13kernel_configILj256ELj4ELj4294967295EEENS1_37radix_sort_block_sort_config_selectorIhNS0_10empty_typeEEEZNS1_21radix_sort_block_sortIS4_Lb1EPKhPhPS6_SC_NS0_19identity_decomposerEEE10hipError_tT1_T2_T3_T4_jRjT5_jjP12ihipStream_tbEUlT_E_NS1_11comp_targetILNS1_3genE10ELNS1_11target_archE1201ELNS1_3gpuE5ELNS1_3repE0EEENS1_44radix_sort_block_sort_config_static_selectorELNS0_4arch9wavefront6targetE0EEEvSF_.has_dyn_sized_stack, 0
	.set _ZN7rocprim17ROCPRIM_400000_NS6detail17trampoline_kernelINS0_13kernel_configILj256ELj4ELj4294967295EEENS1_37radix_sort_block_sort_config_selectorIhNS0_10empty_typeEEEZNS1_21radix_sort_block_sortIS4_Lb1EPKhPhPS6_SC_NS0_19identity_decomposerEEE10hipError_tT1_T2_T3_T4_jRjT5_jjP12ihipStream_tbEUlT_E_NS1_11comp_targetILNS1_3genE10ELNS1_11target_archE1201ELNS1_3gpuE5ELNS1_3repE0EEENS1_44radix_sort_block_sort_config_static_selectorELNS0_4arch9wavefront6targetE0EEEvSF_.has_recursion, 0
	.set _ZN7rocprim17ROCPRIM_400000_NS6detail17trampoline_kernelINS0_13kernel_configILj256ELj4ELj4294967295EEENS1_37radix_sort_block_sort_config_selectorIhNS0_10empty_typeEEEZNS1_21radix_sort_block_sortIS4_Lb1EPKhPhPS6_SC_NS0_19identity_decomposerEEE10hipError_tT1_T2_T3_T4_jRjT5_jjP12ihipStream_tbEUlT_E_NS1_11comp_targetILNS1_3genE10ELNS1_11target_archE1201ELNS1_3gpuE5ELNS1_3repE0EEENS1_44radix_sort_block_sort_config_static_selectorELNS0_4arch9wavefront6targetE0EEEvSF_.has_indirect_call, 0
	.section	.AMDGPU.csdata,"",@progbits
; Kernel info:
; codeLenInByte = 0
; TotalNumSgprs: 0
; NumVgprs: 0
; ScratchSize: 0
; MemoryBound: 0
; FloatMode: 240
; IeeeMode: 1
; LDSByteSize: 0 bytes/workgroup (compile time only)
; SGPRBlocks: 0
; VGPRBlocks: 0
; NumSGPRsForWavesPerEU: 1
; NumVGPRsForWavesPerEU: 1
; NamedBarCnt: 0
; Occupancy: 16
; WaveLimiterHint : 0
; COMPUTE_PGM_RSRC2:SCRATCH_EN: 0
; COMPUTE_PGM_RSRC2:USER_SGPR: 2
; COMPUTE_PGM_RSRC2:TRAP_HANDLER: 0
; COMPUTE_PGM_RSRC2:TGID_X_EN: 1
; COMPUTE_PGM_RSRC2:TGID_Y_EN: 0
; COMPUTE_PGM_RSRC2:TGID_Z_EN: 0
; COMPUTE_PGM_RSRC2:TIDIG_COMP_CNT: 0
	.section	.text._ZN7rocprim17ROCPRIM_400000_NS6detail17trampoline_kernelINS0_13kernel_configILj256ELj4ELj4294967295EEENS1_37radix_sort_block_sort_config_selectorIhNS0_10empty_typeEEEZNS1_21radix_sort_block_sortIS4_Lb1EPKhPhPS6_SC_NS0_19identity_decomposerEEE10hipError_tT1_T2_T3_T4_jRjT5_jjP12ihipStream_tbEUlT_E_NS1_11comp_targetILNS1_3genE10ELNS1_11target_archE1200ELNS1_3gpuE4ELNS1_3repE0EEENS1_44radix_sort_block_sort_config_static_selectorELNS0_4arch9wavefront6targetE0EEEvSF_,"axG",@progbits,_ZN7rocprim17ROCPRIM_400000_NS6detail17trampoline_kernelINS0_13kernel_configILj256ELj4ELj4294967295EEENS1_37radix_sort_block_sort_config_selectorIhNS0_10empty_typeEEEZNS1_21radix_sort_block_sortIS4_Lb1EPKhPhPS6_SC_NS0_19identity_decomposerEEE10hipError_tT1_T2_T3_T4_jRjT5_jjP12ihipStream_tbEUlT_E_NS1_11comp_targetILNS1_3genE10ELNS1_11target_archE1200ELNS1_3gpuE4ELNS1_3repE0EEENS1_44radix_sort_block_sort_config_static_selectorELNS0_4arch9wavefront6targetE0EEEvSF_,comdat
	.protected	_ZN7rocprim17ROCPRIM_400000_NS6detail17trampoline_kernelINS0_13kernel_configILj256ELj4ELj4294967295EEENS1_37radix_sort_block_sort_config_selectorIhNS0_10empty_typeEEEZNS1_21radix_sort_block_sortIS4_Lb1EPKhPhPS6_SC_NS0_19identity_decomposerEEE10hipError_tT1_T2_T3_T4_jRjT5_jjP12ihipStream_tbEUlT_E_NS1_11comp_targetILNS1_3genE10ELNS1_11target_archE1200ELNS1_3gpuE4ELNS1_3repE0EEENS1_44radix_sort_block_sort_config_static_selectorELNS0_4arch9wavefront6targetE0EEEvSF_ ; -- Begin function _ZN7rocprim17ROCPRIM_400000_NS6detail17trampoline_kernelINS0_13kernel_configILj256ELj4ELj4294967295EEENS1_37radix_sort_block_sort_config_selectorIhNS0_10empty_typeEEEZNS1_21radix_sort_block_sortIS4_Lb1EPKhPhPS6_SC_NS0_19identity_decomposerEEE10hipError_tT1_T2_T3_T4_jRjT5_jjP12ihipStream_tbEUlT_E_NS1_11comp_targetILNS1_3genE10ELNS1_11target_archE1200ELNS1_3gpuE4ELNS1_3repE0EEENS1_44radix_sort_block_sort_config_static_selectorELNS0_4arch9wavefront6targetE0EEEvSF_
	.globl	_ZN7rocprim17ROCPRIM_400000_NS6detail17trampoline_kernelINS0_13kernel_configILj256ELj4ELj4294967295EEENS1_37radix_sort_block_sort_config_selectorIhNS0_10empty_typeEEEZNS1_21radix_sort_block_sortIS4_Lb1EPKhPhPS6_SC_NS0_19identity_decomposerEEE10hipError_tT1_T2_T3_T4_jRjT5_jjP12ihipStream_tbEUlT_E_NS1_11comp_targetILNS1_3genE10ELNS1_11target_archE1200ELNS1_3gpuE4ELNS1_3repE0EEENS1_44radix_sort_block_sort_config_static_selectorELNS0_4arch9wavefront6targetE0EEEvSF_
	.p2align	8
	.type	_ZN7rocprim17ROCPRIM_400000_NS6detail17trampoline_kernelINS0_13kernel_configILj256ELj4ELj4294967295EEENS1_37radix_sort_block_sort_config_selectorIhNS0_10empty_typeEEEZNS1_21radix_sort_block_sortIS4_Lb1EPKhPhPS6_SC_NS0_19identity_decomposerEEE10hipError_tT1_T2_T3_T4_jRjT5_jjP12ihipStream_tbEUlT_E_NS1_11comp_targetILNS1_3genE10ELNS1_11target_archE1200ELNS1_3gpuE4ELNS1_3repE0EEENS1_44radix_sort_block_sort_config_static_selectorELNS0_4arch9wavefront6targetE0EEEvSF_,@function
_ZN7rocprim17ROCPRIM_400000_NS6detail17trampoline_kernelINS0_13kernel_configILj256ELj4ELj4294967295EEENS1_37radix_sort_block_sort_config_selectorIhNS0_10empty_typeEEEZNS1_21radix_sort_block_sortIS4_Lb1EPKhPhPS6_SC_NS0_19identity_decomposerEEE10hipError_tT1_T2_T3_T4_jRjT5_jjP12ihipStream_tbEUlT_E_NS1_11comp_targetILNS1_3genE10ELNS1_11target_archE1200ELNS1_3gpuE4ELNS1_3repE0EEENS1_44radix_sort_block_sort_config_static_selectorELNS0_4arch9wavefront6targetE0EEEvSF_: ; @_ZN7rocprim17ROCPRIM_400000_NS6detail17trampoline_kernelINS0_13kernel_configILj256ELj4ELj4294967295EEENS1_37radix_sort_block_sort_config_selectorIhNS0_10empty_typeEEEZNS1_21radix_sort_block_sortIS4_Lb1EPKhPhPS6_SC_NS0_19identity_decomposerEEE10hipError_tT1_T2_T3_T4_jRjT5_jjP12ihipStream_tbEUlT_E_NS1_11comp_targetILNS1_3genE10ELNS1_11target_archE1200ELNS1_3gpuE4ELNS1_3repE0EEENS1_44radix_sort_block_sort_config_static_selectorELNS0_4arch9wavefront6targetE0EEEvSF_
; %bb.0:
	.section	.rodata,"a",@progbits
	.p2align	6, 0x0
	.amdhsa_kernel _ZN7rocprim17ROCPRIM_400000_NS6detail17trampoline_kernelINS0_13kernel_configILj256ELj4ELj4294967295EEENS1_37radix_sort_block_sort_config_selectorIhNS0_10empty_typeEEEZNS1_21radix_sort_block_sortIS4_Lb1EPKhPhPS6_SC_NS0_19identity_decomposerEEE10hipError_tT1_T2_T3_T4_jRjT5_jjP12ihipStream_tbEUlT_E_NS1_11comp_targetILNS1_3genE10ELNS1_11target_archE1200ELNS1_3gpuE4ELNS1_3repE0EEENS1_44radix_sort_block_sort_config_static_selectorELNS0_4arch9wavefront6targetE0EEEvSF_
		.amdhsa_group_segment_fixed_size 0
		.amdhsa_private_segment_fixed_size 0
		.amdhsa_kernarg_size 48
		.amdhsa_user_sgpr_count 2
		.amdhsa_user_sgpr_dispatch_ptr 0
		.amdhsa_user_sgpr_queue_ptr 0
		.amdhsa_user_sgpr_kernarg_segment_ptr 1
		.amdhsa_user_sgpr_dispatch_id 0
		.amdhsa_user_sgpr_kernarg_preload_length 0
		.amdhsa_user_sgpr_kernarg_preload_offset 0
		.amdhsa_user_sgpr_private_segment_size 0
		.amdhsa_wavefront_size32 1
		.amdhsa_uses_dynamic_stack 0
		.amdhsa_enable_private_segment 0
		.amdhsa_system_sgpr_workgroup_id_x 1
		.amdhsa_system_sgpr_workgroup_id_y 0
		.amdhsa_system_sgpr_workgroup_id_z 0
		.amdhsa_system_sgpr_workgroup_info 0
		.amdhsa_system_vgpr_workitem_id 0
		.amdhsa_next_free_vgpr 1
		.amdhsa_next_free_sgpr 1
		.amdhsa_named_barrier_count 0
		.amdhsa_reserve_vcc 0
		.amdhsa_float_round_mode_32 0
		.amdhsa_float_round_mode_16_64 0
		.amdhsa_float_denorm_mode_32 3
		.amdhsa_float_denorm_mode_16_64 3
		.amdhsa_fp16_overflow 0
		.amdhsa_memory_ordered 1
		.amdhsa_forward_progress 1
		.amdhsa_inst_pref_size 0
		.amdhsa_round_robin_scheduling 0
		.amdhsa_exception_fp_ieee_invalid_op 0
		.amdhsa_exception_fp_denorm_src 0
		.amdhsa_exception_fp_ieee_div_zero 0
		.amdhsa_exception_fp_ieee_overflow 0
		.amdhsa_exception_fp_ieee_underflow 0
		.amdhsa_exception_fp_ieee_inexact 0
		.amdhsa_exception_int_div_zero 0
	.end_amdhsa_kernel
	.section	.text._ZN7rocprim17ROCPRIM_400000_NS6detail17trampoline_kernelINS0_13kernel_configILj256ELj4ELj4294967295EEENS1_37radix_sort_block_sort_config_selectorIhNS0_10empty_typeEEEZNS1_21radix_sort_block_sortIS4_Lb1EPKhPhPS6_SC_NS0_19identity_decomposerEEE10hipError_tT1_T2_T3_T4_jRjT5_jjP12ihipStream_tbEUlT_E_NS1_11comp_targetILNS1_3genE10ELNS1_11target_archE1200ELNS1_3gpuE4ELNS1_3repE0EEENS1_44radix_sort_block_sort_config_static_selectorELNS0_4arch9wavefront6targetE0EEEvSF_,"axG",@progbits,_ZN7rocprim17ROCPRIM_400000_NS6detail17trampoline_kernelINS0_13kernel_configILj256ELj4ELj4294967295EEENS1_37radix_sort_block_sort_config_selectorIhNS0_10empty_typeEEEZNS1_21radix_sort_block_sortIS4_Lb1EPKhPhPS6_SC_NS0_19identity_decomposerEEE10hipError_tT1_T2_T3_T4_jRjT5_jjP12ihipStream_tbEUlT_E_NS1_11comp_targetILNS1_3genE10ELNS1_11target_archE1200ELNS1_3gpuE4ELNS1_3repE0EEENS1_44radix_sort_block_sort_config_static_selectorELNS0_4arch9wavefront6targetE0EEEvSF_,comdat
.Lfunc_end6:
	.size	_ZN7rocprim17ROCPRIM_400000_NS6detail17trampoline_kernelINS0_13kernel_configILj256ELj4ELj4294967295EEENS1_37radix_sort_block_sort_config_selectorIhNS0_10empty_typeEEEZNS1_21radix_sort_block_sortIS4_Lb1EPKhPhPS6_SC_NS0_19identity_decomposerEEE10hipError_tT1_T2_T3_T4_jRjT5_jjP12ihipStream_tbEUlT_E_NS1_11comp_targetILNS1_3genE10ELNS1_11target_archE1200ELNS1_3gpuE4ELNS1_3repE0EEENS1_44radix_sort_block_sort_config_static_selectorELNS0_4arch9wavefront6targetE0EEEvSF_, .Lfunc_end6-_ZN7rocprim17ROCPRIM_400000_NS6detail17trampoline_kernelINS0_13kernel_configILj256ELj4ELj4294967295EEENS1_37radix_sort_block_sort_config_selectorIhNS0_10empty_typeEEEZNS1_21radix_sort_block_sortIS4_Lb1EPKhPhPS6_SC_NS0_19identity_decomposerEEE10hipError_tT1_T2_T3_T4_jRjT5_jjP12ihipStream_tbEUlT_E_NS1_11comp_targetILNS1_3genE10ELNS1_11target_archE1200ELNS1_3gpuE4ELNS1_3repE0EEENS1_44radix_sort_block_sort_config_static_selectorELNS0_4arch9wavefront6targetE0EEEvSF_
                                        ; -- End function
	.set _ZN7rocprim17ROCPRIM_400000_NS6detail17trampoline_kernelINS0_13kernel_configILj256ELj4ELj4294967295EEENS1_37radix_sort_block_sort_config_selectorIhNS0_10empty_typeEEEZNS1_21radix_sort_block_sortIS4_Lb1EPKhPhPS6_SC_NS0_19identity_decomposerEEE10hipError_tT1_T2_T3_T4_jRjT5_jjP12ihipStream_tbEUlT_E_NS1_11comp_targetILNS1_3genE10ELNS1_11target_archE1200ELNS1_3gpuE4ELNS1_3repE0EEENS1_44radix_sort_block_sort_config_static_selectorELNS0_4arch9wavefront6targetE0EEEvSF_.num_vgpr, 0
	.set _ZN7rocprim17ROCPRIM_400000_NS6detail17trampoline_kernelINS0_13kernel_configILj256ELj4ELj4294967295EEENS1_37radix_sort_block_sort_config_selectorIhNS0_10empty_typeEEEZNS1_21radix_sort_block_sortIS4_Lb1EPKhPhPS6_SC_NS0_19identity_decomposerEEE10hipError_tT1_T2_T3_T4_jRjT5_jjP12ihipStream_tbEUlT_E_NS1_11comp_targetILNS1_3genE10ELNS1_11target_archE1200ELNS1_3gpuE4ELNS1_3repE0EEENS1_44radix_sort_block_sort_config_static_selectorELNS0_4arch9wavefront6targetE0EEEvSF_.num_agpr, 0
	.set _ZN7rocprim17ROCPRIM_400000_NS6detail17trampoline_kernelINS0_13kernel_configILj256ELj4ELj4294967295EEENS1_37radix_sort_block_sort_config_selectorIhNS0_10empty_typeEEEZNS1_21radix_sort_block_sortIS4_Lb1EPKhPhPS6_SC_NS0_19identity_decomposerEEE10hipError_tT1_T2_T3_T4_jRjT5_jjP12ihipStream_tbEUlT_E_NS1_11comp_targetILNS1_3genE10ELNS1_11target_archE1200ELNS1_3gpuE4ELNS1_3repE0EEENS1_44radix_sort_block_sort_config_static_selectorELNS0_4arch9wavefront6targetE0EEEvSF_.numbered_sgpr, 0
	.set _ZN7rocprim17ROCPRIM_400000_NS6detail17trampoline_kernelINS0_13kernel_configILj256ELj4ELj4294967295EEENS1_37radix_sort_block_sort_config_selectorIhNS0_10empty_typeEEEZNS1_21radix_sort_block_sortIS4_Lb1EPKhPhPS6_SC_NS0_19identity_decomposerEEE10hipError_tT1_T2_T3_T4_jRjT5_jjP12ihipStream_tbEUlT_E_NS1_11comp_targetILNS1_3genE10ELNS1_11target_archE1200ELNS1_3gpuE4ELNS1_3repE0EEENS1_44radix_sort_block_sort_config_static_selectorELNS0_4arch9wavefront6targetE0EEEvSF_.num_named_barrier, 0
	.set _ZN7rocprim17ROCPRIM_400000_NS6detail17trampoline_kernelINS0_13kernel_configILj256ELj4ELj4294967295EEENS1_37radix_sort_block_sort_config_selectorIhNS0_10empty_typeEEEZNS1_21radix_sort_block_sortIS4_Lb1EPKhPhPS6_SC_NS0_19identity_decomposerEEE10hipError_tT1_T2_T3_T4_jRjT5_jjP12ihipStream_tbEUlT_E_NS1_11comp_targetILNS1_3genE10ELNS1_11target_archE1200ELNS1_3gpuE4ELNS1_3repE0EEENS1_44radix_sort_block_sort_config_static_selectorELNS0_4arch9wavefront6targetE0EEEvSF_.private_seg_size, 0
	.set _ZN7rocprim17ROCPRIM_400000_NS6detail17trampoline_kernelINS0_13kernel_configILj256ELj4ELj4294967295EEENS1_37radix_sort_block_sort_config_selectorIhNS0_10empty_typeEEEZNS1_21radix_sort_block_sortIS4_Lb1EPKhPhPS6_SC_NS0_19identity_decomposerEEE10hipError_tT1_T2_T3_T4_jRjT5_jjP12ihipStream_tbEUlT_E_NS1_11comp_targetILNS1_3genE10ELNS1_11target_archE1200ELNS1_3gpuE4ELNS1_3repE0EEENS1_44radix_sort_block_sort_config_static_selectorELNS0_4arch9wavefront6targetE0EEEvSF_.uses_vcc, 0
	.set _ZN7rocprim17ROCPRIM_400000_NS6detail17trampoline_kernelINS0_13kernel_configILj256ELj4ELj4294967295EEENS1_37radix_sort_block_sort_config_selectorIhNS0_10empty_typeEEEZNS1_21radix_sort_block_sortIS4_Lb1EPKhPhPS6_SC_NS0_19identity_decomposerEEE10hipError_tT1_T2_T3_T4_jRjT5_jjP12ihipStream_tbEUlT_E_NS1_11comp_targetILNS1_3genE10ELNS1_11target_archE1200ELNS1_3gpuE4ELNS1_3repE0EEENS1_44radix_sort_block_sort_config_static_selectorELNS0_4arch9wavefront6targetE0EEEvSF_.uses_flat_scratch, 0
	.set _ZN7rocprim17ROCPRIM_400000_NS6detail17trampoline_kernelINS0_13kernel_configILj256ELj4ELj4294967295EEENS1_37radix_sort_block_sort_config_selectorIhNS0_10empty_typeEEEZNS1_21radix_sort_block_sortIS4_Lb1EPKhPhPS6_SC_NS0_19identity_decomposerEEE10hipError_tT1_T2_T3_T4_jRjT5_jjP12ihipStream_tbEUlT_E_NS1_11comp_targetILNS1_3genE10ELNS1_11target_archE1200ELNS1_3gpuE4ELNS1_3repE0EEENS1_44radix_sort_block_sort_config_static_selectorELNS0_4arch9wavefront6targetE0EEEvSF_.has_dyn_sized_stack, 0
	.set _ZN7rocprim17ROCPRIM_400000_NS6detail17trampoline_kernelINS0_13kernel_configILj256ELj4ELj4294967295EEENS1_37radix_sort_block_sort_config_selectorIhNS0_10empty_typeEEEZNS1_21radix_sort_block_sortIS4_Lb1EPKhPhPS6_SC_NS0_19identity_decomposerEEE10hipError_tT1_T2_T3_T4_jRjT5_jjP12ihipStream_tbEUlT_E_NS1_11comp_targetILNS1_3genE10ELNS1_11target_archE1200ELNS1_3gpuE4ELNS1_3repE0EEENS1_44radix_sort_block_sort_config_static_selectorELNS0_4arch9wavefront6targetE0EEEvSF_.has_recursion, 0
	.set _ZN7rocprim17ROCPRIM_400000_NS6detail17trampoline_kernelINS0_13kernel_configILj256ELj4ELj4294967295EEENS1_37radix_sort_block_sort_config_selectorIhNS0_10empty_typeEEEZNS1_21radix_sort_block_sortIS4_Lb1EPKhPhPS6_SC_NS0_19identity_decomposerEEE10hipError_tT1_T2_T3_T4_jRjT5_jjP12ihipStream_tbEUlT_E_NS1_11comp_targetILNS1_3genE10ELNS1_11target_archE1200ELNS1_3gpuE4ELNS1_3repE0EEENS1_44radix_sort_block_sort_config_static_selectorELNS0_4arch9wavefront6targetE0EEEvSF_.has_indirect_call, 0
	.section	.AMDGPU.csdata,"",@progbits
; Kernel info:
; codeLenInByte = 0
; TotalNumSgprs: 0
; NumVgprs: 0
; ScratchSize: 0
; MemoryBound: 0
; FloatMode: 240
; IeeeMode: 1
; LDSByteSize: 0 bytes/workgroup (compile time only)
; SGPRBlocks: 0
; VGPRBlocks: 0
; NumSGPRsForWavesPerEU: 1
; NumVGPRsForWavesPerEU: 1
; NamedBarCnt: 0
; Occupancy: 16
; WaveLimiterHint : 0
; COMPUTE_PGM_RSRC2:SCRATCH_EN: 0
; COMPUTE_PGM_RSRC2:USER_SGPR: 2
; COMPUTE_PGM_RSRC2:TRAP_HANDLER: 0
; COMPUTE_PGM_RSRC2:TGID_X_EN: 1
; COMPUTE_PGM_RSRC2:TGID_Y_EN: 0
; COMPUTE_PGM_RSRC2:TGID_Z_EN: 0
; COMPUTE_PGM_RSRC2:TIDIG_COMP_CNT: 0
	.section	.text._ZN7rocprim17ROCPRIM_400000_NS6detail17trampoline_kernelINS0_13kernel_configILj256ELj4ELj4294967295EEENS1_37radix_sort_block_sort_config_selectorIhNS0_10empty_typeEEEZNS1_21radix_sort_block_sortIS4_Lb1EPKhPhPS6_SC_NS0_19identity_decomposerEEE10hipError_tT1_T2_T3_T4_jRjT5_jjP12ihipStream_tbEUlT_E_NS1_11comp_targetILNS1_3genE9ELNS1_11target_archE1100ELNS1_3gpuE3ELNS1_3repE0EEENS1_44radix_sort_block_sort_config_static_selectorELNS0_4arch9wavefront6targetE0EEEvSF_,"axG",@progbits,_ZN7rocprim17ROCPRIM_400000_NS6detail17trampoline_kernelINS0_13kernel_configILj256ELj4ELj4294967295EEENS1_37radix_sort_block_sort_config_selectorIhNS0_10empty_typeEEEZNS1_21radix_sort_block_sortIS4_Lb1EPKhPhPS6_SC_NS0_19identity_decomposerEEE10hipError_tT1_T2_T3_T4_jRjT5_jjP12ihipStream_tbEUlT_E_NS1_11comp_targetILNS1_3genE9ELNS1_11target_archE1100ELNS1_3gpuE3ELNS1_3repE0EEENS1_44radix_sort_block_sort_config_static_selectorELNS0_4arch9wavefront6targetE0EEEvSF_,comdat
	.protected	_ZN7rocprim17ROCPRIM_400000_NS6detail17trampoline_kernelINS0_13kernel_configILj256ELj4ELj4294967295EEENS1_37radix_sort_block_sort_config_selectorIhNS0_10empty_typeEEEZNS1_21radix_sort_block_sortIS4_Lb1EPKhPhPS6_SC_NS0_19identity_decomposerEEE10hipError_tT1_T2_T3_T4_jRjT5_jjP12ihipStream_tbEUlT_E_NS1_11comp_targetILNS1_3genE9ELNS1_11target_archE1100ELNS1_3gpuE3ELNS1_3repE0EEENS1_44radix_sort_block_sort_config_static_selectorELNS0_4arch9wavefront6targetE0EEEvSF_ ; -- Begin function _ZN7rocprim17ROCPRIM_400000_NS6detail17trampoline_kernelINS0_13kernel_configILj256ELj4ELj4294967295EEENS1_37radix_sort_block_sort_config_selectorIhNS0_10empty_typeEEEZNS1_21radix_sort_block_sortIS4_Lb1EPKhPhPS6_SC_NS0_19identity_decomposerEEE10hipError_tT1_T2_T3_T4_jRjT5_jjP12ihipStream_tbEUlT_E_NS1_11comp_targetILNS1_3genE9ELNS1_11target_archE1100ELNS1_3gpuE3ELNS1_3repE0EEENS1_44radix_sort_block_sort_config_static_selectorELNS0_4arch9wavefront6targetE0EEEvSF_
	.globl	_ZN7rocprim17ROCPRIM_400000_NS6detail17trampoline_kernelINS0_13kernel_configILj256ELj4ELj4294967295EEENS1_37radix_sort_block_sort_config_selectorIhNS0_10empty_typeEEEZNS1_21radix_sort_block_sortIS4_Lb1EPKhPhPS6_SC_NS0_19identity_decomposerEEE10hipError_tT1_T2_T3_T4_jRjT5_jjP12ihipStream_tbEUlT_E_NS1_11comp_targetILNS1_3genE9ELNS1_11target_archE1100ELNS1_3gpuE3ELNS1_3repE0EEENS1_44radix_sort_block_sort_config_static_selectorELNS0_4arch9wavefront6targetE0EEEvSF_
	.p2align	8
	.type	_ZN7rocprim17ROCPRIM_400000_NS6detail17trampoline_kernelINS0_13kernel_configILj256ELj4ELj4294967295EEENS1_37radix_sort_block_sort_config_selectorIhNS0_10empty_typeEEEZNS1_21radix_sort_block_sortIS4_Lb1EPKhPhPS6_SC_NS0_19identity_decomposerEEE10hipError_tT1_T2_T3_T4_jRjT5_jjP12ihipStream_tbEUlT_E_NS1_11comp_targetILNS1_3genE9ELNS1_11target_archE1100ELNS1_3gpuE3ELNS1_3repE0EEENS1_44radix_sort_block_sort_config_static_selectorELNS0_4arch9wavefront6targetE0EEEvSF_,@function
_ZN7rocprim17ROCPRIM_400000_NS6detail17trampoline_kernelINS0_13kernel_configILj256ELj4ELj4294967295EEENS1_37radix_sort_block_sort_config_selectorIhNS0_10empty_typeEEEZNS1_21radix_sort_block_sortIS4_Lb1EPKhPhPS6_SC_NS0_19identity_decomposerEEE10hipError_tT1_T2_T3_T4_jRjT5_jjP12ihipStream_tbEUlT_E_NS1_11comp_targetILNS1_3genE9ELNS1_11target_archE1100ELNS1_3gpuE3ELNS1_3repE0EEENS1_44radix_sort_block_sort_config_static_selectorELNS0_4arch9wavefront6targetE0EEEvSF_: ; @_ZN7rocprim17ROCPRIM_400000_NS6detail17trampoline_kernelINS0_13kernel_configILj256ELj4ELj4294967295EEENS1_37radix_sort_block_sort_config_selectorIhNS0_10empty_typeEEEZNS1_21radix_sort_block_sortIS4_Lb1EPKhPhPS6_SC_NS0_19identity_decomposerEEE10hipError_tT1_T2_T3_T4_jRjT5_jjP12ihipStream_tbEUlT_E_NS1_11comp_targetILNS1_3genE9ELNS1_11target_archE1100ELNS1_3gpuE3ELNS1_3repE0EEENS1_44radix_sort_block_sort_config_static_selectorELNS0_4arch9wavefront6targetE0EEEvSF_
; %bb.0:
	.section	.rodata,"a",@progbits
	.p2align	6, 0x0
	.amdhsa_kernel _ZN7rocprim17ROCPRIM_400000_NS6detail17trampoline_kernelINS0_13kernel_configILj256ELj4ELj4294967295EEENS1_37radix_sort_block_sort_config_selectorIhNS0_10empty_typeEEEZNS1_21radix_sort_block_sortIS4_Lb1EPKhPhPS6_SC_NS0_19identity_decomposerEEE10hipError_tT1_T2_T3_T4_jRjT5_jjP12ihipStream_tbEUlT_E_NS1_11comp_targetILNS1_3genE9ELNS1_11target_archE1100ELNS1_3gpuE3ELNS1_3repE0EEENS1_44radix_sort_block_sort_config_static_selectorELNS0_4arch9wavefront6targetE0EEEvSF_
		.amdhsa_group_segment_fixed_size 0
		.amdhsa_private_segment_fixed_size 0
		.amdhsa_kernarg_size 48
		.amdhsa_user_sgpr_count 2
		.amdhsa_user_sgpr_dispatch_ptr 0
		.amdhsa_user_sgpr_queue_ptr 0
		.amdhsa_user_sgpr_kernarg_segment_ptr 1
		.amdhsa_user_sgpr_dispatch_id 0
		.amdhsa_user_sgpr_kernarg_preload_length 0
		.amdhsa_user_sgpr_kernarg_preload_offset 0
		.amdhsa_user_sgpr_private_segment_size 0
		.amdhsa_wavefront_size32 1
		.amdhsa_uses_dynamic_stack 0
		.amdhsa_enable_private_segment 0
		.amdhsa_system_sgpr_workgroup_id_x 1
		.amdhsa_system_sgpr_workgroup_id_y 0
		.amdhsa_system_sgpr_workgroup_id_z 0
		.amdhsa_system_sgpr_workgroup_info 0
		.amdhsa_system_vgpr_workitem_id 0
		.amdhsa_next_free_vgpr 1
		.amdhsa_next_free_sgpr 1
		.amdhsa_named_barrier_count 0
		.amdhsa_reserve_vcc 0
		.amdhsa_float_round_mode_32 0
		.amdhsa_float_round_mode_16_64 0
		.amdhsa_float_denorm_mode_32 3
		.amdhsa_float_denorm_mode_16_64 3
		.amdhsa_fp16_overflow 0
		.amdhsa_memory_ordered 1
		.amdhsa_forward_progress 1
		.amdhsa_inst_pref_size 0
		.amdhsa_round_robin_scheduling 0
		.amdhsa_exception_fp_ieee_invalid_op 0
		.amdhsa_exception_fp_denorm_src 0
		.amdhsa_exception_fp_ieee_div_zero 0
		.amdhsa_exception_fp_ieee_overflow 0
		.amdhsa_exception_fp_ieee_underflow 0
		.amdhsa_exception_fp_ieee_inexact 0
		.amdhsa_exception_int_div_zero 0
	.end_amdhsa_kernel
	.section	.text._ZN7rocprim17ROCPRIM_400000_NS6detail17trampoline_kernelINS0_13kernel_configILj256ELj4ELj4294967295EEENS1_37radix_sort_block_sort_config_selectorIhNS0_10empty_typeEEEZNS1_21radix_sort_block_sortIS4_Lb1EPKhPhPS6_SC_NS0_19identity_decomposerEEE10hipError_tT1_T2_T3_T4_jRjT5_jjP12ihipStream_tbEUlT_E_NS1_11comp_targetILNS1_3genE9ELNS1_11target_archE1100ELNS1_3gpuE3ELNS1_3repE0EEENS1_44radix_sort_block_sort_config_static_selectorELNS0_4arch9wavefront6targetE0EEEvSF_,"axG",@progbits,_ZN7rocprim17ROCPRIM_400000_NS6detail17trampoline_kernelINS0_13kernel_configILj256ELj4ELj4294967295EEENS1_37radix_sort_block_sort_config_selectorIhNS0_10empty_typeEEEZNS1_21radix_sort_block_sortIS4_Lb1EPKhPhPS6_SC_NS0_19identity_decomposerEEE10hipError_tT1_T2_T3_T4_jRjT5_jjP12ihipStream_tbEUlT_E_NS1_11comp_targetILNS1_3genE9ELNS1_11target_archE1100ELNS1_3gpuE3ELNS1_3repE0EEENS1_44radix_sort_block_sort_config_static_selectorELNS0_4arch9wavefront6targetE0EEEvSF_,comdat
.Lfunc_end7:
	.size	_ZN7rocprim17ROCPRIM_400000_NS6detail17trampoline_kernelINS0_13kernel_configILj256ELj4ELj4294967295EEENS1_37radix_sort_block_sort_config_selectorIhNS0_10empty_typeEEEZNS1_21radix_sort_block_sortIS4_Lb1EPKhPhPS6_SC_NS0_19identity_decomposerEEE10hipError_tT1_T2_T3_T4_jRjT5_jjP12ihipStream_tbEUlT_E_NS1_11comp_targetILNS1_3genE9ELNS1_11target_archE1100ELNS1_3gpuE3ELNS1_3repE0EEENS1_44radix_sort_block_sort_config_static_selectorELNS0_4arch9wavefront6targetE0EEEvSF_, .Lfunc_end7-_ZN7rocprim17ROCPRIM_400000_NS6detail17trampoline_kernelINS0_13kernel_configILj256ELj4ELj4294967295EEENS1_37radix_sort_block_sort_config_selectorIhNS0_10empty_typeEEEZNS1_21radix_sort_block_sortIS4_Lb1EPKhPhPS6_SC_NS0_19identity_decomposerEEE10hipError_tT1_T2_T3_T4_jRjT5_jjP12ihipStream_tbEUlT_E_NS1_11comp_targetILNS1_3genE9ELNS1_11target_archE1100ELNS1_3gpuE3ELNS1_3repE0EEENS1_44radix_sort_block_sort_config_static_selectorELNS0_4arch9wavefront6targetE0EEEvSF_
                                        ; -- End function
	.set _ZN7rocprim17ROCPRIM_400000_NS6detail17trampoline_kernelINS0_13kernel_configILj256ELj4ELj4294967295EEENS1_37radix_sort_block_sort_config_selectorIhNS0_10empty_typeEEEZNS1_21radix_sort_block_sortIS4_Lb1EPKhPhPS6_SC_NS0_19identity_decomposerEEE10hipError_tT1_T2_T3_T4_jRjT5_jjP12ihipStream_tbEUlT_E_NS1_11comp_targetILNS1_3genE9ELNS1_11target_archE1100ELNS1_3gpuE3ELNS1_3repE0EEENS1_44radix_sort_block_sort_config_static_selectorELNS0_4arch9wavefront6targetE0EEEvSF_.num_vgpr, 0
	.set _ZN7rocprim17ROCPRIM_400000_NS6detail17trampoline_kernelINS0_13kernel_configILj256ELj4ELj4294967295EEENS1_37radix_sort_block_sort_config_selectorIhNS0_10empty_typeEEEZNS1_21radix_sort_block_sortIS4_Lb1EPKhPhPS6_SC_NS0_19identity_decomposerEEE10hipError_tT1_T2_T3_T4_jRjT5_jjP12ihipStream_tbEUlT_E_NS1_11comp_targetILNS1_3genE9ELNS1_11target_archE1100ELNS1_3gpuE3ELNS1_3repE0EEENS1_44radix_sort_block_sort_config_static_selectorELNS0_4arch9wavefront6targetE0EEEvSF_.num_agpr, 0
	.set _ZN7rocprim17ROCPRIM_400000_NS6detail17trampoline_kernelINS0_13kernel_configILj256ELj4ELj4294967295EEENS1_37radix_sort_block_sort_config_selectorIhNS0_10empty_typeEEEZNS1_21radix_sort_block_sortIS4_Lb1EPKhPhPS6_SC_NS0_19identity_decomposerEEE10hipError_tT1_T2_T3_T4_jRjT5_jjP12ihipStream_tbEUlT_E_NS1_11comp_targetILNS1_3genE9ELNS1_11target_archE1100ELNS1_3gpuE3ELNS1_3repE0EEENS1_44radix_sort_block_sort_config_static_selectorELNS0_4arch9wavefront6targetE0EEEvSF_.numbered_sgpr, 0
	.set _ZN7rocprim17ROCPRIM_400000_NS6detail17trampoline_kernelINS0_13kernel_configILj256ELj4ELj4294967295EEENS1_37radix_sort_block_sort_config_selectorIhNS0_10empty_typeEEEZNS1_21radix_sort_block_sortIS4_Lb1EPKhPhPS6_SC_NS0_19identity_decomposerEEE10hipError_tT1_T2_T3_T4_jRjT5_jjP12ihipStream_tbEUlT_E_NS1_11comp_targetILNS1_3genE9ELNS1_11target_archE1100ELNS1_3gpuE3ELNS1_3repE0EEENS1_44radix_sort_block_sort_config_static_selectorELNS0_4arch9wavefront6targetE0EEEvSF_.num_named_barrier, 0
	.set _ZN7rocprim17ROCPRIM_400000_NS6detail17trampoline_kernelINS0_13kernel_configILj256ELj4ELj4294967295EEENS1_37radix_sort_block_sort_config_selectorIhNS0_10empty_typeEEEZNS1_21radix_sort_block_sortIS4_Lb1EPKhPhPS6_SC_NS0_19identity_decomposerEEE10hipError_tT1_T2_T3_T4_jRjT5_jjP12ihipStream_tbEUlT_E_NS1_11comp_targetILNS1_3genE9ELNS1_11target_archE1100ELNS1_3gpuE3ELNS1_3repE0EEENS1_44radix_sort_block_sort_config_static_selectorELNS0_4arch9wavefront6targetE0EEEvSF_.private_seg_size, 0
	.set _ZN7rocprim17ROCPRIM_400000_NS6detail17trampoline_kernelINS0_13kernel_configILj256ELj4ELj4294967295EEENS1_37radix_sort_block_sort_config_selectorIhNS0_10empty_typeEEEZNS1_21radix_sort_block_sortIS4_Lb1EPKhPhPS6_SC_NS0_19identity_decomposerEEE10hipError_tT1_T2_T3_T4_jRjT5_jjP12ihipStream_tbEUlT_E_NS1_11comp_targetILNS1_3genE9ELNS1_11target_archE1100ELNS1_3gpuE3ELNS1_3repE0EEENS1_44radix_sort_block_sort_config_static_selectorELNS0_4arch9wavefront6targetE0EEEvSF_.uses_vcc, 0
	.set _ZN7rocprim17ROCPRIM_400000_NS6detail17trampoline_kernelINS0_13kernel_configILj256ELj4ELj4294967295EEENS1_37radix_sort_block_sort_config_selectorIhNS0_10empty_typeEEEZNS1_21radix_sort_block_sortIS4_Lb1EPKhPhPS6_SC_NS0_19identity_decomposerEEE10hipError_tT1_T2_T3_T4_jRjT5_jjP12ihipStream_tbEUlT_E_NS1_11comp_targetILNS1_3genE9ELNS1_11target_archE1100ELNS1_3gpuE3ELNS1_3repE0EEENS1_44radix_sort_block_sort_config_static_selectorELNS0_4arch9wavefront6targetE0EEEvSF_.uses_flat_scratch, 0
	.set _ZN7rocprim17ROCPRIM_400000_NS6detail17trampoline_kernelINS0_13kernel_configILj256ELj4ELj4294967295EEENS1_37radix_sort_block_sort_config_selectorIhNS0_10empty_typeEEEZNS1_21radix_sort_block_sortIS4_Lb1EPKhPhPS6_SC_NS0_19identity_decomposerEEE10hipError_tT1_T2_T3_T4_jRjT5_jjP12ihipStream_tbEUlT_E_NS1_11comp_targetILNS1_3genE9ELNS1_11target_archE1100ELNS1_3gpuE3ELNS1_3repE0EEENS1_44radix_sort_block_sort_config_static_selectorELNS0_4arch9wavefront6targetE0EEEvSF_.has_dyn_sized_stack, 0
	.set _ZN7rocprim17ROCPRIM_400000_NS6detail17trampoline_kernelINS0_13kernel_configILj256ELj4ELj4294967295EEENS1_37radix_sort_block_sort_config_selectorIhNS0_10empty_typeEEEZNS1_21radix_sort_block_sortIS4_Lb1EPKhPhPS6_SC_NS0_19identity_decomposerEEE10hipError_tT1_T2_T3_T4_jRjT5_jjP12ihipStream_tbEUlT_E_NS1_11comp_targetILNS1_3genE9ELNS1_11target_archE1100ELNS1_3gpuE3ELNS1_3repE0EEENS1_44radix_sort_block_sort_config_static_selectorELNS0_4arch9wavefront6targetE0EEEvSF_.has_recursion, 0
	.set _ZN7rocprim17ROCPRIM_400000_NS6detail17trampoline_kernelINS0_13kernel_configILj256ELj4ELj4294967295EEENS1_37radix_sort_block_sort_config_selectorIhNS0_10empty_typeEEEZNS1_21radix_sort_block_sortIS4_Lb1EPKhPhPS6_SC_NS0_19identity_decomposerEEE10hipError_tT1_T2_T3_T4_jRjT5_jjP12ihipStream_tbEUlT_E_NS1_11comp_targetILNS1_3genE9ELNS1_11target_archE1100ELNS1_3gpuE3ELNS1_3repE0EEENS1_44radix_sort_block_sort_config_static_selectorELNS0_4arch9wavefront6targetE0EEEvSF_.has_indirect_call, 0
	.section	.AMDGPU.csdata,"",@progbits
; Kernel info:
; codeLenInByte = 0
; TotalNumSgprs: 0
; NumVgprs: 0
; ScratchSize: 0
; MemoryBound: 0
; FloatMode: 240
; IeeeMode: 1
; LDSByteSize: 0 bytes/workgroup (compile time only)
; SGPRBlocks: 0
; VGPRBlocks: 0
; NumSGPRsForWavesPerEU: 1
; NumVGPRsForWavesPerEU: 1
; NamedBarCnt: 0
; Occupancy: 16
; WaveLimiterHint : 0
; COMPUTE_PGM_RSRC2:SCRATCH_EN: 0
; COMPUTE_PGM_RSRC2:USER_SGPR: 2
; COMPUTE_PGM_RSRC2:TRAP_HANDLER: 0
; COMPUTE_PGM_RSRC2:TGID_X_EN: 1
; COMPUTE_PGM_RSRC2:TGID_Y_EN: 0
; COMPUTE_PGM_RSRC2:TGID_Z_EN: 0
; COMPUTE_PGM_RSRC2:TIDIG_COMP_CNT: 0
	.section	.text._ZN7rocprim17ROCPRIM_400000_NS6detail17trampoline_kernelINS0_13kernel_configILj256ELj4ELj4294967295EEENS1_37radix_sort_block_sort_config_selectorIhNS0_10empty_typeEEEZNS1_21radix_sort_block_sortIS4_Lb1EPKhPhPS6_SC_NS0_19identity_decomposerEEE10hipError_tT1_T2_T3_T4_jRjT5_jjP12ihipStream_tbEUlT_E_NS1_11comp_targetILNS1_3genE8ELNS1_11target_archE1030ELNS1_3gpuE2ELNS1_3repE0EEENS1_44radix_sort_block_sort_config_static_selectorELNS0_4arch9wavefront6targetE0EEEvSF_,"axG",@progbits,_ZN7rocprim17ROCPRIM_400000_NS6detail17trampoline_kernelINS0_13kernel_configILj256ELj4ELj4294967295EEENS1_37radix_sort_block_sort_config_selectorIhNS0_10empty_typeEEEZNS1_21radix_sort_block_sortIS4_Lb1EPKhPhPS6_SC_NS0_19identity_decomposerEEE10hipError_tT1_T2_T3_T4_jRjT5_jjP12ihipStream_tbEUlT_E_NS1_11comp_targetILNS1_3genE8ELNS1_11target_archE1030ELNS1_3gpuE2ELNS1_3repE0EEENS1_44radix_sort_block_sort_config_static_selectorELNS0_4arch9wavefront6targetE0EEEvSF_,comdat
	.protected	_ZN7rocprim17ROCPRIM_400000_NS6detail17trampoline_kernelINS0_13kernel_configILj256ELj4ELj4294967295EEENS1_37radix_sort_block_sort_config_selectorIhNS0_10empty_typeEEEZNS1_21radix_sort_block_sortIS4_Lb1EPKhPhPS6_SC_NS0_19identity_decomposerEEE10hipError_tT1_T2_T3_T4_jRjT5_jjP12ihipStream_tbEUlT_E_NS1_11comp_targetILNS1_3genE8ELNS1_11target_archE1030ELNS1_3gpuE2ELNS1_3repE0EEENS1_44radix_sort_block_sort_config_static_selectorELNS0_4arch9wavefront6targetE0EEEvSF_ ; -- Begin function _ZN7rocprim17ROCPRIM_400000_NS6detail17trampoline_kernelINS0_13kernel_configILj256ELj4ELj4294967295EEENS1_37radix_sort_block_sort_config_selectorIhNS0_10empty_typeEEEZNS1_21radix_sort_block_sortIS4_Lb1EPKhPhPS6_SC_NS0_19identity_decomposerEEE10hipError_tT1_T2_T3_T4_jRjT5_jjP12ihipStream_tbEUlT_E_NS1_11comp_targetILNS1_3genE8ELNS1_11target_archE1030ELNS1_3gpuE2ELNS1_3repE0EEENS1_44radix_sort_block_sort_config_static_selectorELNS0_4arch9wavefront6targetE0EEEvSF_
	.globl	_ZN7rocprim17ROCPRIM_400000_NS6detail17trampoline_kernelINS0_13kernel_configILj256ELj4ELj4294967295EEENS1_37radix_sort_block_sort_config_selectorIhNS0_10empty_typeEEEZNS1_21radix_sort_block_sortIS4_Lb1EPKhPhPS6_SC_NS0_19identity_decomposerEEE10hipError_tT1_T2_T3_T4_jRjT5_jjP12ihipStream_tbEUlT_E_NS1_11comp_targetILNS1_3genE8ELNS1_11target_archE1030ELNS1_3gpuE2ELNS1_3repE0EEENS1_44radix_sort_block_sort_config_static_selectorELNS0_4arch9wavefront6targetE0EEEvSF_
	.p2align	8
	.type	_ZN7rocprim17ROCPRIM_400000_NS6detail17trampoline_kernelINS0_13kernel_configILj256ELj4ELj4294967295EEENS1_37radix_sort_block_sort_config_selectorIhNS0_10empty_typeEEEZNS1_21radix_sort_block_sortIS4_Lb1EPKhPhPS6_SC_NS0_19identity_decomposerEEE10hipError_tT1_T2_T3_T4_jRjT5_jjP12ihipStream_tbEUlT_E_NS1_11comp_targetILNS1_3genE8ELNS1_11target_archE1030ELNS1_3gpuE2ELNS1_3repE0EEENS1_44radix_sort_block_sort_config_static_selectorELNS0_4arch9wavefront6targetE0EEEvSF_,@function
_ZN7rocprim17ROCPRIM_400000_NS6detail17trampoline_kernelINS0_13kernel_configILj256ELj4ELj4294967295EEENS1_37radix_sort_block_sort_config_selectorIhNS0_10empty_typeEEEZNS1_21radix_sort_block_sortIS4_Lb1EPKhPhPS6_SC_NS0_19identity_decomposerEEE10hipError_tT1_T2_T3_T4_jRjT5_jjP12ihipStream_tbEUlT_E_NS1_11comp_targetILNS1_3genE8ELNS1_11target_archE1030ELNS1_3gpuE2ELNS1_3repE0EEENS1_44radix_sort_block_sort_config_static_selectorELNS0_4arch9wavefront6targetE0EEEvSF_: ; @_ZN7rocprim17ROCPRIM_400000_NS6detail17trampoline_kernelINS0_13kernel_configILj256ELj4ELj4294967295EEENS1_37radix_sort_block_sort_config_selectorIhNS0_10empty_typeEEEZNS1_21radix_sort_block_sortIS4_Lb1EPKhPhPS6_SC_NS0_19identity_decomposerEEE10hipError_tT1_T2_T3_T4_jRjT5_jjP12ihipStream_tbEUlT_E_NS1_11comp_targetILNS1_3genE8ELNS1_11target_archE1030ELNS1_3gpuE2ELNS1_3repE0EEENS1_44radix_sort_block_sort_config_static_selectorELNS0_4arch9wavefront6targetE0EEEvSF_
; %bb.0:
	.section	.rodata,"a",@progbits
	.p2align	6, 0x0
	.amdhsa_kernel _ZN7rocprim17ROCPRIM_400000_NS6detail17trampoline_kernelINS0_13kernel_configILj256ELj4ELj4294967295EEENS1_37radix_sort_block_sort_config_selectorIhNS0_10empty_typeEEEZNS1_21radix_sort_block_sortIS4_Lb1EPKhPhPS6_SC_NS0_19identity_decomposerEEE10hipError_tT1_T2_T3_T4_jRjT5_jjP12ihipStream_tbEUlT_E_NS1_11comp_targetILNS1_3genE8ELNS1_11target_archE1030ELNS1_3gpuE2ELNS1_3repE0EEENS1_44radix_sort_block_sort_config_static_selectorELNS0_4arch9wavefront6targetE0EEEvSF_
		.amdhsa_group_segment_fixed_size 0
		.amdhsa_private_segment_fixed_size 0
		.amdhsa_kernarg_size 48
		.amdhsa_user_sgpr_count 2
		.amdhsa_user_sgpr_dispatch_ptr 0
		.amdhsa_user_sgpr_queue_ptr 0
		.amdhsa_user_sgpr_kernarg_segment_ptr 1
		.amdhsa_user_sgpr_dispatch_id 0
		.amdhsa_user_sgpr_kernarg_preload_length 0
		.amdhsa_user_sgpr_kernarg_preload_offset 0
		.amdhsa_user_sgpr_private_segment_size 0
		.amdhsa_wavefront_size32 1
		.amdhsa_uses_dynamic_stack 0
		.amdhsa_enable_private_segment 0
		.amdhsa_system_sgpr_workgroup_id_x 1
		.amdhsa_system_sgpr_workgroup_id_y 0
		.amdhsa_system_sgpr_workgroup_id_z 0
		.amdhsa_system_sgpr_workgroup_info 0
		.amdhsa_system_vgpr_workitem_id 0
		.amdhsa_next_free_vgpr 1
		.amdhsa_next_free_sgpr 1
		.amdhsa_named_barrier_count 0
		.amdhsa_reserve_vcc 0
		.amdhsa_float_round_mode_32 0
		.amdhsa_float_round_mode_16_64 0
		.amdhsa_float_denorm_mode_32 3
		.amdhsa_float_denorm_mode_16_64 3
		.amdhsa_fp16_overflow 0
		.amdhsa_memory_ordered 1
		.amdhsa_forward_progress 1
		.amdhsa_inst_pref_size 0
		.amdhsa_round_robin_scheduling 0
		.amdhsa_exception_fp_ieee_invalid_op 0
		.amdhsa_exception_fp_denorm_src 0
		.amdhsa_exception_fp_ieee_div_zero 0
		.amdhsa_exception_fp_ieee_overflow 0
		.amdhsa_exception_fp_ieee_underflow 0
		.amdhsa_exception_fp_ieee_inexact 0
		.amdhsa_exception_int_div_zero 0
	.end_amdhsa_kernel
	.section	.text._ZN7rocprim17ROCPRIM_400000_NS6detail17trampoline_kernelINS0_13kernel_configILj256ELj4ELj4294967295EEENS1_37radix_sort_block_sort_config_selectorIhNS0_10empty_typeEEEZNS1_21radix_sort_block_sortIS4_Lb1EPKhPhPS6_SC_NS0_19identity_decomposerEEE10hipError_tT1_T2_T3_T4_jRjT5_jjP12ihipStream_tbEUlT_E_NS1_11comp_targetILNS1_3genE8ELNS1_11target_archE1030ELNS1_3gpuE2ELNS1_3repE0EEENS1_44radix_sort_block_sort_config_static_selectorELNS0_4arch9wavefront6targetE0EEEvSF_,"axG",@progbits,_ZN7rocprim17ROCPRIM_400000_NS6detail17trampoline_kernelINS0_13kernel_configILj256ELj4ELj4294967295EEENS1_37radix_sort_block_sort_config_selectorIhNS0_10empty_typeEEEZNS1_21radix_sort_block_sortIS4_Lb1EPKhPhPS6_SC_NS0_19identity_decomposerEEE10hipError_tT1_T2_T3_T4_jRjT5_jjP12ihipStream_tbEUlT_E_NS1_11comp_targetILNS1_3genE8ELNS1_11target_archE1030ELNS1_3gpuE2ELNS1_3repE0EEENS1_44radix_sort_block_sort_config_static_selectorELNS0_4arch9wavefront6targetE0EEEvSF_,comdat
.Lfunc_end8:
	.size	_ZN7rocprim17ROCPRIM_400000_NS6detail17trampoline_kernelINS0_13kernel_configILj256ELj4ELj4294967295EEENS1_37radix_sort_block_sort_config_selectorIhNS0_10empty_typeEEEZNS1_21radix_sort_block_sortIS4_Lb1EPKhPhPS6_SC_NS0_19identity_decomposerEEE10hipError_tT1_T2_T3_T4_jRjT5_jjP12ihipStream_tbEUlT_E_NS1_11comp_targetILNS1_3genE8ELNS1_11target_archE1030ELNS1_3gpuE2ELNS1_3repE0EEENS1_44radix_sort_block_sort_config_static_selectorELNS0_4arch9wavefront6targetE0EEEvSF_, .Lfunc_end8-_ZN7rocprim17ROCPRIM_400000_NS6detail17trampoline_kernelINS0_13kernel_configILj256ELj4ELj4294967295EEENS1_37radix_sort_block_sort_config_selectorIhNS0_10empty_typeEEEZNS1_21radix_sort_block_sortIS4_Lb1EPKhPhPS6_SC_NS0_19identity_decomposerEEE10hipError_tT1_T2_T3_T4_jRjT5_jjP12ihipStream_tbEUlT_E_NS1_11comp_targetILNS1_3genE8ELNS1_11target_archE1030ELNS1_3gpuE2ELNS1_3repE0EEENS1_44radix_sort_block_sort_config_static_selectorELNS0_4arch9wavefront6targetE0EEEvSF_
                                        ; -- End function
	.set _ZN7rocprim17ROCPRIM_400000_NS6detail17trampoline_kernelINS0_13kernel_configILj256ELj4ELj4294967295EEENS1_37radix_sort_block_sort_config_selectorIhNS0_10empty_typeEEEZNS1_21radix_sort_block_sortIS4_Lb1EPKhPhPS6_SC_NS0_19identity_decomposerEEE10hipError_tT1_T2_T3_T4_jRjT5_jjP12ihipStream_tbEUlT_E_NS1_11comp_targetILNS1_3genE8ELNS1_11target_archE1030ELNS1_3gpuE2ELNS1_3repE0EEENS1_44radix_sort_block_sort_config_static_selectorELNS0_4arch9wavefront6targetE0EEEvSF_.num_vgpr, 0
	.set _ZN7rocprim17ROCPRIM_400000_NS6detail17trampoline_kernelINS0_13kernel_configILj256ELj4ELj4294967295EEENS1_37radix_sort_block_sort_config_selectorIhNS0_10empty_typeEEEZNS1_21radix_sort_block_sortIS4_Lb1EPKhPhPS6_SC_NS0_19identity_decomposerEEE10hipError_tT1_T2_T3_T4_jRjT5_jjP12ihipStream_tbEUlT_E_NS1_11comp_targetILNS1_3genE8ELNS1_11target_archE1030ELNS1_3gpuE2ELNS1_3repE0EEENS1_44radix_sort_block_sort_config_static_selectorELNS0_4arch9wavefront6targetE0EEEvSF_.num_agpr, 0
	.set _ZN7rocprim17ROCPRIM_400000_NS6detail17trampoline_kernelINS0_13kernel_configILj256ELj4ELj4294967295EEENS1_37radix_sort_block_sort_config_selectorIhNS0_10empty_typeEEEZNS1_21radix_sort_block_sortIS4_Lb1EPKhPhPS6_SC_NS0_19identity_decomposerEEE10hipError_tT1_T2_T3_T4_jRjT5_jjP12ihipStream_tbEUlT_E_NS1_11comp_targetILNS1_3genE8ELNS1_11target_archE1030ELNS1_3gpuE2ELNS1_3repE0EEENS1_44radix_sort_block_sort_config_static_selectorELNS0_4arch9wavefront6targetE0EEEvSF_.numbered_sgpr, 0
	.set _ZN7rocprim17ROCPRIM_400000_NS6detail17trampoline_kernelINS0_13kernel_configILj256ELj4ELj4294967295EEENS1_37radix_sort_block_sort_config_selectorIhNS0_10empty_typeEEEZNS1_21radix_sort_block_sortIS4_Lb1EPKhPhPS6_SC_NS0_19identity_decomposerEEE10hipError_tT1_T2_T3_T4_jRjT5_jjP12ihipStream_tbEUlT_E_NS1_11comp_targetILNS1_3genE8ELNS1_11target_archE1030ELNS1_3gpuE2ELNS1_3repE0EEENS1_44radix_sort_block_sort_config_static_selectorELNS0_4arch9wavefront6targetE0EEEvSF_.num_named_barrier, 0
	.set _ZN7rocprim17ROCPRIM_400000_NS6detail17trampoline_kernelINS0_13kernel_configILj256ELj4ELj4294967295EEENS1_37radix_sort_block_sort_config_selectorIhNS0_10empty_typeEEEZNS1_21radix_sort_block_sortIS4_Lb1EPKhPhPS6_SC_NS0_19identity_decomposerEEE10hipError_tT1_T2_T3_T4_jRjT5_jjP12ihipStream_tbEUlT_E_NS1_11comp_targetILNS1_3genE8ELNS1_11target_archE1030ELNS1_3gpuE2ELNS1_3repE0EEENS1_44radix_sort_block_sort_config_static_selectorELNS0_4arch9wavefront6targetE0EEEvSF_.private_seg_size, 0
	.set _ZN7rocprim17ROCPRIM_400000_NS6detail17trampoline_kernelINS0_13kernel_configILj256ELj4ELj4294967295EEENS1_37radix_sort_block_sort_config_selectorIhNS0_10empty_typeEEEZNS1_21radix_sort_block_sortIS4_Lb1EPKhPhPS6_SC_NS0_19identity_decomposerEEE10hipError_tT1_T2_T3_T4_jRjT5_jjP12ihipStream_tbEUlT_E_NS1_11comp_targetILNS1_3genE8ELNS1_11target_archE1030ELNS1_3gpuE2ELNS1_3repE0EEENS1_44radix_sort_block_sort_config_static_selectorELNS0_4arch9wavefront6targetE0EEEvSF_.uses_vcc, 0
	.set _ZN7rocprim17ROCPRIM_400000_NS6detail17trampoline_kernelINS0_13kernel_configILj256ELj4ELj4294967295EEENS1_37radix_sort_block_sort_config_selectorIhNS0_10empty_typeEEEZNS1_21radix_sort_block_sortIS4_Lb1EPKhPhPS6_SC_NS0_19identity_decomposerEEE10hipError_tT1_T2_T3_T4_jRjT5_jjP12ihipStream_tbEUlT_E_NS1_11comp_targetILNS1_3genE8ELNS1_11target_archE1030ELNS1_3gpuE2ELNS1_3repE0EEENS1_44radix_sort_block_sort_config_static_selectorELNS0_4arch9wavefront6targetE0EEEvSF_.uses_flat_scratch, 0
	.set _ZN7rocprim17ROCPRIM_400000_NS6detail17trampoline_kernelINS0_13kernel_configILj256ELj4ELj4294967295EEENS1_37radix_sort_block_sort_config_selectorIhNS0_10empty_typeEEEZNS1_21radix_sort_block_sortIS4_Lb1EPKhPhPS6_SC_NS0_19identity_decomposerEEE10hipError_tT1_T2_T3_T4_jRjT5_jjP12ihipStream_tbEUlT_E_NS1_11comp_targetILNS1_3genE8ELNS1_11target_archE1030ELNS1_3gpuE2ELNS1_3repE0EEENS1_44radix_sort_block_sort_config_static_selectorELNS0_4arch9wavefront6targetE0EEEvSF_.has_dyn_sized_stack, 0
	.set _ZN7rocprim17ROCPRIM_400000_NS6detail17trampoline_kernelINS0_13kernel_configILj256ELj4ELj4294967295EEENS1_37radix_sort_block_sort_config_selectorIhNS0_10empty_typeEEEZNS1_21radix_sort_block_sortIS4_Lb1EPKhPhPS6_SC_NS0_19identity_decomposerEEE10hipError_tT1_T2_T3_T4_jRjT5_jjP12ihipStream_tbEUlT_E_NS1_11comp_targetILNS1_3genE8ELNS1_11target_archE1030ELNS1_3gpuE2ELNS1_3repE0EEENS1_44radix_sort_block_sort_config_static_selectorELNS0_4arch9wavefront6targetE0EEEvSF_.has_recursion, 0
	.set _ZN7rocprim17ROCPRIM_400000_NS6detail17trampoline_kernelINS0_13kernel_configILj256ELj4ELj4294967295EEENS1_37radix_sort_block_sort_config_selectorIhNS0_10empty_typeEEEZNS1_21radix_sort_block_sortIS4_Lb1EPKhPhPS6_SC_NS0_19identity_decomposerEEE10hipError_tT1_T2_T3_T4_jRjT5_jjP12ihipStream_tbEUlT_E_NS1_11comp_targetILNS1_3genE8ELNS1_11target_archE1030ELNS1_3gpuE2ELNS1_3repE0EEENS1_44radix_sort_block_sort_config_static_selectorELNS0_4arch9wavefront6targetE0EEEvSF_.has_indirect_call, 0
	.section	.AMDGPU.csdata,"",@progbits
; Kernel info:
; codeLenInByte = 0
; TotalNumSgprs: 0
; NumVgprs: 0
; ScratchSize: 0
; MemoryBound: 0
; FloatMode: 240
; IeeeMode: 1
; LDSByteSize: 0 bytes/workgroup (compile time only)
; SGPRBlocks: 0
; VGPRBlocks: 0
; NumSGPRsForWavesPerEU: 1
; NumVGPRsForWavesPerEU: 1
; NamedBarCnt: 0
; Occupancy: 16
; WaveLimiterHint : 0
; COMPUTE_PGM_RSRC2:SCRATCH_EN: 0
; COMPUTE_PGM_RSRC2:USER_SGPR: 2
; COMPUTE_PGM_RSRC2:TRAP_HANDLER: 0
; COMPUTE_PGM_RSRC2:TGID_X_EN: 1
; COMPUTE_PGM_RSRC2:TGID_Y_EN: 0
; COMPUTE_PGM_RSRC2:TGID_Z_EN: 0
; COMPUTE_PGM_RSRC2:TIDIG_COMP_CNT: 0
	.section	.text._ZN7rocprim17ROCPRIM_400000_NS6detail44device_merge_sort_compile_time_verifier_archINS1_11comp_targetILNS1_3genE0ELNS1_11target_archE4294967295ELNS1_3gpuE0ELNS1_3repE0EEES8_NS1_28merge_sort_block_sort_configILj256ELj4ELNS0_20block_sort_algorithmE0EEENS0_14default_configENS1_37merge_sort_block_sort_config_selectorIhNS0_10empty_typeEEENS1_38merge_sort_block_merge_config_selectorIhSE_EEEEvv,"axG",@progbits,_ZN7rocprim17ROCPRIM_400000_NS6detail44device_merge_sort_compile_time_verifier_archINS1_11comp_targetILNS1_3genE0ELNS1_11target_archE4294967295ELNS1_3gpuE0ELNS1_3repE0EEES8_NS1_28merge_sort_block_sort_configILj256ELj4ELNS0_20block_sort_algorithmE0EEENS0_14default_configENS1_37merge_sort_block_sort_config_selectorIhNS0_10empty_typeEEENS1_38merge_sort_block_merge_config_selectorIhSE_EEEEvv,comdat
	.protected	_ZN7rocprim17ROCPRIM_400000_NS6detail44device_merge_sort_compile_time_verifier_archINS1_11comp_targetILNS1_3genE0ELNS1_11target_archE4294967295ELNS1_3gpuE0ELNS1_3repE0EEES8_NS1_28merge_sort_block_sort_configILj256ELj4ELNS0_20block_sort_algorithmE0EEENS0_14default_configENS1_37merge_sort_block_sort_config_selectorIhNS0_10empty_typeEEENS1_38merge_sort_block_merge_config_selectorIhSE_EEEEvv ; -- Begin function _ZN7rocprim17ROCPRIM_400000_NS6detail44device_merge_sort_compile_time_verifier_archINS1_11comp_targetILNS1_3genE0ELNS1_11target_archE4294967295ELNS1_3gpuE0ELNS1_3repE0EEES8_NS1_28merge_sort_block_sort_configILj256ELj4ELNS0_20block_sort_algorithmE0EEENS0_14default_configENS1_37merge_sort_block_sort_config_selectorIhNS0_10empty_typeEEENS1_38merge_sort_block_merge_config_selectorIhSE_EEEEvv
	.globl	_ZN7rocprim17ROCPRIM_400000_NS6detail44device_merge_sort_compile_time_verifier_archINS1_11comp_targetILNS1_3genE0ELNS1_11target_archE4294967295ELNS1_3gpuE0ELNS1_3repE0EEES8_NS1_28merge_sort_block_sort_configILj256ELj4ELNS0_20block_sort_algorithmE0EEENS0_14default_configENS1_37merge_sort_block_sort_config_selectorIhNS0_10empty_typeEEENS1_38merge_sort_block_merge_config_selectorIhSE_EEEEvv
	.p2align	8
	.type	_ZN7rocprim17ROCPRIM_400000_NS6detail44device_merge_sort_compile_time_verifier_archINS1_11comp_targetILNS1_3genE0ELNS1_11target_archE4294967295ELNS1_3gpuE0ELNS1_3repE0EEES8_NS1_28merge_sort_block_sort_configILj256ELj4ELNS0_20block_sort_algorithmE0EEENS0_14default_configENS1_37merge_sort_block_sort_config_selectorIhNS0_10empty_typeEEENS1_38merge_sort_block_merge_config_selectorIhSE_EEEEvv,@function
_ZN7rocprim17ROCPRIM_400000_NS6detail44device_merge_sort_compile_time_verifier_archINS1_11comp_targetILNS1_3genE0ELNS1_11target_archE4294967295ELNS1_3gpuE0ELNS1_3repE0EEES8_NS1_28merge_sort_block_sort_configILj256ELj4ELNS0_20block_sort_algorithmE0EEENS0_14default_configENS1_37merge_sort_block_sort_config_selectorIhNS0_10empty_typeEEENS1_38merge_sort_block_merge_config_selectorIhSE_EEEEvv: ; @_ZN7rocprim17ROCPRIM_400000_NS6detail44device_merge_sort_compile_time_verifier_archINS1_11comp_targetILNS1_3genE0ELNS1_11target_archE4294967295ELNS1_3gpuE0ELNS1_3repE0EEES8_NS1_28merge_sort_block_sort_configILj256ELj4ELNS0_20block_sort_algorithmE0EEENS0_14default_configENS1_37merge_sort_block_sort_config_selectorIhNS0_10empty_typeEEENS1_38merge_sort_block_merge_config_selectorIhSE_EEEEvv
; %bb.0:
	s_endpgm
	.section	.rodata,"a",@progbits
	.p2align	6, 0x0
	.amdhsa_kernel _ZN7rocprim17ROCPRIM_400000_NS6detail44device_merge_sort_compile_time_verifier_archINS1_11comp_targetILNS1_3genE0ELNS1_11target_archE4294967295ELNS1_3gpuE0ELNS1_3repE0EEES8_NS1_28merge_sort_block_sort_configILj256ELj4ELNS0_20block_sort_algorithmE0EEENS0_14default_configENS1_37merge_sort_block_sort_config_selectorIhNS0_10empty_typeEEENS1_38merge_sort_block_merge_config_selectorIhSE_EEEEvv
		.amdhsa_group_segment_fixed_size 0
		.amdhsa_private_segment_fixed_size 0
		.amdhsa_kernarg_size 0
		.amdhsa_user_sgpr_count 0
		.amdhsa_user_sgpr_dispatch_ptr 0
		.amdhsa_user_sgpr_queue_ptr 0
		.amdhsa_user_sgpr_kernarg_segment_ptr 0
		.amdhsa_user_sgpr_dispatch_id 0
		.amdhsa_user_sgpr_kernarg_preload_length 0
		.amdhsa_user_sgpr_kernarg_preload_offset 0
		.amdhsa_user_sgpr_private_segment_size 0
		.amdhsa_wavefront_size32 1
		.amdhsa_uses_dynamic_stack 0
		.amdhsa_enable_private_segment 0
		.amdhsa_system_sgpr_workgroup_id_x 1
		.amdhsa_system_sgpr_workgroup_id_y 0
		.amdhsa_system_sgpr_workgroup_id_z 0
		.amdhsa_system_sgpr_workgroup_info 0
		.amdhsa_system_vgpr_workitem_id 0
		.amdhsa_next_free_vgpr 1
		.amdhsa_next_free_sgpr 1
		.amdhsa_named_barrier_count 0
		.amdhsa_reserve_vcc 0
		.amdhsa_float_round_mode_32 0
		.amdhsa_float_round_mode_16_64 0
		.amdhsa_float_denorm_mode_32 3
		.amdhsa_float_denorm_mode_16_64 3
		.amdhsa_fp16_overflow 0
		.amdhsa_memory_ordered 1
		.amdhsa_forward_progress 1
		.amdhsa_inst_pref_size 1
		.amdhsa_round_robin_scheduling 0
		.amdhsa_exception_fp_ieee_invalid_op 0
		.amdhsa_exception_fp_denorm_src 0
		.amdhsa_exception_fp_ieee_div_zero 0
		.amdhsa_exception_fp_ieee_overflow 0
		.amdhsa_exception_fp_ieee_underflow 0
		.amdhsa_exception_fp_ieee_inexact 0
		.amdhsa_exception_int_div_zero 0
	.end_amdhsa_kernel
	.section	.text._ZN7rocprim17ROCPRIM_400000_NS6detail44device_merge_sort_compile_time_verifier_archINS1_11comp_targetILNS1_3genE0ELNS1_11target_archE4294967295ELNS1_3gpuE0ELNS1_3repE0EEES8_NS1_28merge_sort_block_sort_configILj256ELj4ELNS0_20block_sort_algorithmE0EEENS0_14default_configENS1_37merge_sort_block_sort_config_selectorIhNS0_10empty_typeEEENS1_38merge_sort_block_merge_config_selectorIhSE_EEEEvv,"axG",@progbits,_ZN7rocprim17ROCPRIM_400000_NS6detail44device_merge_sort_compile_time_verifier_archINS1_11comp_targetILNS1_3genE0ELNS1_11target_archE4294967295ELNS1_3gpuE0ELNS1_3repE0EEES8_NS1_28merge_sort_block_sort_configILj256ELj4ELNS0_20block_sort_algorithmE0EEENS0_14default_configENS1_37merge_sort_block_sort_config_selectorIhNS0_10empty_typeEEENS1_38merge_sort_block_merge_config_selectorIhSE_EEEEvv,comdat
.Lfunc_end9:
	.size	_ZN7rocprim17ROCPRIM_400000_NS6detail44device_merge_sort_compile_time_verifier_archINS1_11comp_targetILNS1_3genE0ELNS1_11target_archE4294967295ELNS1_3gpuE0ELNS1_3repE0EEES8_NS1_28merge_sort_block_sort_configILj256ELj4ELNS0_20block_sort_algorithmE0EEENS0_14default_configENS1_37merge_sort_block_sort_config_selectorIhNS0_10empty_typeEEENS1_38merge_sort_block_merge_config_selectorIhSE_EEEEvv, .Lfunc_end9-_ZN7rocprim17ROCPRIM_400000_NS6detail44device_merge_sort_compile_time_verifier_archINS1_11comp_targetILNS1_3genE0ELNS1_11target_archE4294967295ELNS1_3gpuE0ELNS1_3repE0EEES8_NS1_28merge_sort_block_sort_configILj256ELj4ELNS0_20block_sort_algorithmE0EEENS0_14default_configENS1_37merge_sort_block_sort_config_selectorIhNS0_10empty_typeEEENS1_38merge_sort_block_merge_config_selectorIhSE_EEEEvv
                                        ; -- End function
	.set _ZN7rocprim17ROCPRIM_400000_NS6detail44device_merge_sort_compile_time_verifier_archINS1_11comp_targetILNS1_3genE0ELNS1_11target_archE4294967295ELNS1_3gpuE0ELNS1_3repE0EEES8_NS1_28merge_sort_block_sort_configILj256ELj4ELNS0_20block_sort_algorithmE0EEENS0_14default_configENS1_37merge_sort_block_sort_config_selectorIhNS0_10empty_typeEEENS1_38merge_sort_block_merge_config_selectorIhSE_EEEEvv.num_vgpr, 0
	.set _ZN7rocprim17ROCPRIM_400000_NS6detail44device_merge_sort_compile_time_verifier_archINS1_11comp_targetILNS1_3genE0ELNS1_11target_archE4294967295ELNS1_3gpuE0ELNS1_3repE0EEES8_NS1_28merge_sort_block_sort_configILj256ELj4ELNS0_20block_sort_algorithmE0EEENS0_14default_configENS1_37merge_sort_block_sort_config_selectorIhNS0_10empty_typeEEENS1_38merge_sort_block_merge_config_selectorIhSE_EEEEvv.num_agpr, 0
	.set _ZN7rocprim17ROCPRIM_400000_NS6detail44device_merge_sort_compile_time_verifier_archINS1_11comp_targetILNS1_3genE0ELNS1_11target_archE4294967295ELNS1_3gpuE0ELNS1_3repE0EEES8_NS1_28merge_sort_block_sort_configILj256ELj4ELNS0_20block_sort_algorithmE0EEENS0_14default_configENS1_37merge_sort_block_sort_config_selectorIhNS0_10empty_typeEEENS1_38merge_sort_block_merge_config_selectorIhSE_EEEEvv.numbered_sgpr, 0
	.set _ZN7rocprim17ROCPRIM_400000_NS6detail44device_merge_sort_compile_time_verifier_archINS1_11comp_targetILNS1_3genE0ELNS1_11target_archE4294967295ELNS1_3gpuE0ELNS1_3repE0EEES8_NS1_28merge_sort_block_sort_configILj256ELj4ELNS0_20block_sort_algorithmE0EEENS0_14default_configENS1_37merge_sort_block_sort_config_selectorIhNS0_10empty_typeEEENS1_38merge_sort_block_merge_config_selectorIhSE_EEEEvv.num_named_barrier, 0
	.set _ZN7rocprim17ROCPRIM_400000_NS6detail44device_merge_sort_compile_time_verifier_archINS1_11comp_targetILNS1_3genE0ELNS1_11target_archE4294967295ELNS1_3gpuE0ELNS1_3repE0EEES8_NS1_28merge_sort_block_sort_configILj256ELj4ELNS0_20block_sort_algorithmE0EEENS0_14default_configENS1_37merge_sort_block_sort_config_selectorIhNS0_10empty_typeEEENS1_38merge_sort_block_merge_config_selectorIhSE_EEEEvv.private_seg_size, 0
	.set _ZN7rocprim17ROCPRIM_400000_NS6detail44device_merge_sort_compile_time_verifier_archINS1_11comp_targetILNS1_3genE0ELNS1_11target_archE4294967295ELNS1_3gpuE0ELNS1_3repE0EEES8_NS1_28merge_sort_block_sort_configILj256ELj4ELNS0_20block_sort_algorithmE0EEENS0_14default_configENS1_37merge_sort_block_sort_config_selectorIhNS0_10empty_typeEEENS1_38merge_sort_block_merge_config_selectorIhSE_EEEEvv.uses_vcc, 0
	.set _ZN7rocprim17ROCPRIM_400000_NS6detail44device_merge_sort_compile_time_verifier_archINS1_11comp_targetILNS1_3genE0ELNS1_11target_archE4294967295ELNS1_3gpuE0ELNS1_3repE0EEES8_NS1_28merge_sort_block_sort_configILj256ELj4ELNS0_20block_sort_algorithmE0EEENS0_14default_configENS1_37merge_sort_block_sort_config_selectorIhNS0_10empty_typeEEENS1_38merge_sort_block_merge_config_selectorIhSE_EEEEvv.uses_flat_scratch, 0
	.set _ZN7rocprim17ROCPRIM_400000_NS6detail44device_merge_sort_compile_time_verifier_archINS1_11comp_targetILNS1_3genE0ELNS1_11target_archE4294967295ELNS1_3gpuE0ELNS1_3repE0EEES8_NS1_28merge_sort_block_sort_configILj256ELj4ELNS0_20block_sort_algorithmE0EEENS0_14default_configENS1_37merge_sort_block_sort_config_selectorIhNS0_10empty_typeEEENS1_38merge_sort_block_merge_config_selectorIhSE_EEEEvv.has_dyn_sized_stack, 0
	.set _ZN7rocprim17ROCPRIM_400000_NS6detail44device_merge_sort_compile_time_verifier_archINS1_11comp_targetILNS1_3genE0ELNS1_11target_archE4294967295ELNS1_3gpuE0ELNS1_3repE0EEES8_NS1_28merge_sort_block_sort_configILj256ELj4ELNS0_20block_sort_algorithmE0EEENS0_14default_configENS1_37merge_sort_block_sort_config_selectorIhNS0_10empty_typeEEENS1_38merge_sort_block_merge_config_selectorIhSE_EEEEvv.has_recursion, 0
	.set _ZN7rocprim17ROCPRIM_400000_NS6detail44device_merge_sort_compile_time_verifier_archINS1_11comp_targetILNS1_3genE0ELNS1_11target_archE4294967295ELNS1_3gpuE0ELNS1_3repE0EEES8_NS1_28merge_sort_block_sort_configILj256ELj4ELNS0_20block_sort_algorithmE0EEENS0_14default_configENS1_37merge_sort_block_sort_config_selectorIhNS0_10empty_typeEEENS1_38merge_sort_block_merge_config_selectorIhSE_EEEEvv.has_indirect_call, 0
	.section	.AMDGPU.csdata,"",@progbits
; Kernel info:
; codeLenInByte = 4
; TotalNumSgprs: 0
; NumVgprs: 0
; ScratchSize: 0
; MemoryBound: 0
; FloatMode: 240
; IeeeMode: 1
; LDSByteSize: 0 bytes/workgroup (compile time only)
; SGPRBlocks: 0
; VGPRBlocks: 0
; NumSGPRsForWavesPerEU: 1
; NumVGPRsForWavesPerEU: 1
; NamedBarCnt: 0
; Occupancy: 16
; WaveLimiterHint : 0
; COMPUTE_PGM_RSRC2:SCRATCH_EN: 0
; COMPUTE_PGM_RSRC2:USER_SGPR: 0
; COMPUTE_PGM_RSRC2:TRAP_HANDLER: 0
; COMPUTE_PGM_RSRC2:TGID_X_EN: 1
; COMPUTE_PGM_RSRC2:TGID_Y_EN: 0
; COMPUTE_PGM_RSRC2:TGID_Z_EN: 0
; COMPUTE_PGM_RSRC2:TIDIG_COMP_CNT: 0
	.section	.text._ZN7rocprim17ROCPRIM_400000_NS6detail44device_merge_sort_compile_time_verifier_archINS1_11comp_targetILNS1_3genE5ELNS1_11target_archE942ELNS1_3gpuE9ELNS1_3repE0EEES8_NS1_28merge_sort_block_sort_configILj256ELj4ELNS0_20block_sort_algorithmE0EEENS0_14default_configENS1_37merge_sort_block_sort_config_selectorIhNS0_10empty_typeEEENS1_38merge_sort_block_merge_config_selectorIhSE_EEEEvv,"axG",@progbits,_ZN7rocprim17ROCPRIM_400000_NS6detail44device_merge_sort_compile_time_verifier_archINS1_11comp_targetILNS1_3genE5ELNS1_11target_archE942ELNS1_3gpuE9ELNS1_3repE0EEES8_NS1_28merge_sort_block_sort_configILj256ELj4ELNS0_20block_sort_algorithmE0EEENS0_14default_configENS1_37merge_sort_block_sort_config_selectorIhNS0_10empty_typeEEENS1_38merge_sort_block_merge_config_selectorIhSE_EEEEvv,comdat
	.protected	_ZN7rocprim17ROCPRIM_400000_NS6detail44device_merge_sort_compile_time_verifier_archINS1_11comp_targetILNS1_3genE5ELNS1_11target_archE942ELNS1_3gpuE9ELNS1_3repE0EEES8_NS1_28merge_sort_block_sort_configILj256ELj4ELNS0_20block_sort_algorithmE0EEENS0_14default_configENS1_37merge_sort_block_sort_config_selectorIhNS0_10empty_typeEEENS1_38merge_sort_block_merge_config_selectorIhSE_EEEEvv ; -- Begin function _ZN7rocprim17ROCPRIM_400000_NS6detail44device_merge_sort_compile_time_verifier_archINS1_11comp_targetILNS1_3genE5ELNS1_11target_archE942ELNS1_3gpuE9ELNS1_3repE0EEES8_NS1_28merge_sort_block_sort_configILj256ELj4ELNS0_20block_sort_algorithmE0EEENS0_14default_configENS1_37merge_sort_block_sort_config_selectorIhNS0_10empty_typeEEENS1_38merge_sort_block_merge_config_selectorIhSE_EEEEvv
	.globl	_ZN7rocprim17ROCPRIM_400000_NS6detail44device_merge_sort_compile_time_verifier_archINS1_11comp_targetILNS1_3genE5ELNS1_11target_archE942ELNS1_3gpuE9ELNS1_3repE0EEES8_NS1_28merge_sort_block_sort_configILj256ELj4ELNS0_20block_sort_algorithmE0EEENS0_14default_configENS1_37merge_sort_block_sort_config_selectorIhNS0_10empty_typeEEENS1_38merge_sort_block_merge_config_selectorIhSE_EEEEvv
	.p2align	8
	.type	_ZN7rocprim17ROCPRIM_400000_NS6detail44device_merge_sort_compile_time_verifier_archINS1_11comp_targetILNS1_3genE5ELNS1_11target_archE942ELNS1_3gpuE9ELNS1_3repE0EEES8_NS1_28merge_sort_block_sort_configILj256ELj4ELNS0_20block_sort_algorithmE0EEENS0_14default_configENS1_37merge_sort_block_sort_config_selectorIhNS0_10empty_typeEEENS1_38merge_sort_block_merge_config_selectorIhSE_EEEEvv,@function
_ZN7rocprim17ROCPRIM_400000_NS6detail44device_merge_sort_compile_time_verifier_archINS1_11comp_targetILNS1_3genE5ELNS1_11target_archE942ELNS1_3gpuE9ELNS1_3repE0EEES8_NS1_28merge_sort_block_sort_configILj256ELj4ELNS0_20block_sort_algorithmE0EEENS0_14default_configENS1_37merge_sort_block_sort_config_selectorIhNS0_10empty_typeEEENS1_38merge_sort_block_merge_config_selectorIhSE_EEEEvv: ; @_ZN7rocprim17ROCPRIM_400000_NS6detail44device_merge_sort_compile_time_verifier_archINS1_11comp_targetILNS1_3genE5ELNS1_11target_archE942ELNS1_3gpuE9ELNS1_3repE0EEES8_NS1_28merge_sort_block_sort_configILj256ELj4ELNS0_20block_sort_algorithmE0EEENS0_14default_configENS1_37merge_sort_block_sort_config_selectorIhNS0_10empty_typeEEENS1_38merge_sort_block_merge_config_selectorIhSE_EEEEvv
; %bb.0:
	s_endpgm
	.section	.rodata,"a",@progbits
	.p2align	6, 0x0
	.amdhsa_kernel _ZN7rocprim17ROCPRIM_400000_NS6detail44device_merge_sort_compile_time_verifier_archINS1_11comp_targetILNS1_3genE5ELNS1_11target_archE942ELNS1_3gpuE9ELNS1_3repE0EEES8_NS1_28merge_sort_block_sort_configILj256ELj4ELNS0_20block_sort_algorithmE0EEENS0_14default_configENS1_37merge_sort_block_sort_config_selectorIhNS0_10empty_typeEEENS1_38merge_sort_block_merge_config_selectorIhSE_EEEEvv
		.amdhsa_group_segment_fixed_size 0
		.amdhsa_private_segment_fixed_size 0
		.amdhsa_kernarg_size 0
		.amdhsa_user_sgpr_count 0
		.amdhsa_user_sgpr_dispatch_ptr 0
		.amdhsa_user_sgpr_queue_ptr 0
		.amdhsa_user_sgpr_kernarg_segment_ptr 0
		.amdhsa_user_sgpr_dispatch_id 0
		.amdhsa_user_sgpr_kernarg_preload_length 0
		.amdhsa_user_sgpr_kernarg_preload_offset 0
		.amdhsa_user_sgpr_private_segment_size 0
		.amdhsa_wavefront_size32 1
		.amdhsa_uses_dynamic_stack 0
		.amdhsa_enable_private_segment 0
		.amdhsa_system_sgpr_workgroup_id_x 1
		.amdhsa_system_sgpr_workgroup_id_y 0
		.amdhsa_system_sgpr_workgroup_id_z 0
		.amdhsa_system_sgpr_workgroup_info 0
		.amdhsa_system_vgpr_workitem_id 0
		.amdhsa_next_free_vgpr 1
		.amdhsa_next_free_sgpr 1
		.amdhsa_named_barrier_count 0
		.amdhsa_reserve_vcc 0
		.amdhsa_float_round_mode_32 0
		.amdhsa_float_round_mode_16_64 0
		.amdhsa_float_denorm_mode_32 3
		.amdhsa_float_denorm_mode_16_64 3
		.amdhsa_fp16_overflow 0
		.amdhsa_memory_ordered 1
		.amdhsa_forward_progress 1
		.amdhsa_inst_pref_size 1
		.amdhsa_round_robin_scheduling 0
		.amdhsa_exception_fp_ieee_invalid_op 0
		.amdhsa_exception_fp_denorm_src 0
		.amdhsa_exception_fp_ieee_div_zero 0
		.amdhsa_exception_fp_ieee_overflow 0
		.amdhsa_exception_fp_ieee_underflow 0
		.amdhsa_exception_fp_ieee_inexact 0
		.amdhsa_exception_int_div_zero 0
	.end_amdhsa_kernel
	.section	.text._ZN7rocprim17ROCPRIM_400000_NS6detail44device_merge_sort_compile_time_verifier_archINS1_11comp_targetILNS1_3genE5ELNS1_11target_archE942ELNS1_3gpuE9ELNS1_3repE0EEES8_NS1_28merge_sort_block_sort_configILj256ELj4ELNS0_20block_sort_algorithmE0EEENS0_14default_configENS1_37merge_sort_block_sort_config_selectorIhNS0_10empty_typeEEENS1_38merge_sort_block_merge_config_selectorIhSE_EEEEvv,"axG",@progbits,_ZN7rocprim17ROCPRIM_400000_NS6detail44device_merge_sort_compile_time_verifier_archINS1_11comp_targetILNS1_3genE5ELNS1_11target_archE942ELNS1_3gpuE9ELNS1_3repE0EEES8_NS1_28merge_sort_block_sort_configILj256ELj4ELNS0_20block_sort_algorithmE0EEENS0_14default_configENS1_37merge_sort_block_sort_config_selectorIhNS0_10empty_typeEEENS1_38merge_sort_block_merge_config_selectorIhSE_EEEEvv,comdat
.Lfunc_end10:
	.size	_ZN7rocprim17ROCPRIM_400000_NS6detail44device_merge_sort_compile_time_verifier_archINS1_11comp_targetILNS1_3genE5ELNS1_11target_archE942ELNS1_3gpuE9ELNS1_3repE0EEES8_NS1_28merge_sort_block_sort_configILj256ELj4ELNS0_20block_sort_algorithmE0EEENS0_14default_configENS1_37merge_sort_block_sort_config_selectorIhNS0_10empty_typeEEENS1_38merge_sort_block_merge_config_selectorIhSE_EEEEvv, .Lfunc_end10-_ZN7rocprim17ROCPRIM_400000_NS6detail44device_merge_sort_compile_time_verifier_archINS1_11comp_targetILNS1_3genE5ELNS1_11target_archE942ELNS1_3gpuE9ELNS1_3repE0EEES8_NS1_28merge_sort_block_sort_configILj256ELj4ELNS0_20block_sort_algorithmE0EEENS0_14default_configENS1_37merge_sort_block_sort_config_selectorIhNS0_10empty_typeEEENS1_38merge_sort_block_merge_config_selectorIhSE_EEEEvv
                                        ; -- End function
	.set _ZN7rocprim17ROCPRIM_400000_NS6detail44device_merge_sort_compile_time_verifier_archINS1_11comp_targetILNS1_3genE5ELNS1_11target_archE942ELNS1_3gpuE9ELNS1_3repE0EEES8_NS1_28merge_sort_block_sort_configILj256ELj4ELNS0_20block_sort_algorithmE0EEENS0_14default_configENS1_37merge_sort_block_sort_config_selectorIhNS0_10empty_typeEEENS1_38merge_sort_block_merge_config_selectorIhSE_EEEEvv.num_vgpr, 0
	.set _ZN7rocprim17ROCPRIM_400000_NS6detail44device_merge_sort_compile_time_verifier_archINS1_11comp_targetILNS1_3genE5ELNS1_11target_archE942ELNS1_3gpuE9ELNS1_3repE0EEES8_NS1_28merge_sort_block_sort_configILj256ELj4ELNS0_20block_sort_algorithmE0EEENS0_14default_configENS1_37merge_sort_block_sort_config_selectorIhNS0_10empty_typeEEENS1_38merge_sort_block_merge_config_selectorIhSE_EEEEvv.num_agpr, 0
	.set _ZN7rocprim17ROCPRIM_400000_NS6detail44device_merge_sort_compile_time_verifier_archINS1_11comp_targetILNS1_3genE5ELNS1_11target_archE942ELNS1_3gpuE9ELNS1_3repE0EEES8_NS1_28merge_sort_block_sort_configILj256ELj4ELNS0_20block_sort_algorithmE0EEENS0_14default_configENS1_37merge_sort_block_sort_config_selectorIhNS0_10empty_typeEEENS1_38merge_sort_block_merge_config_selectorIhSE_EEEEvv.numbered_sgpr, 0
	.set _ZN7rocprim17ROCPRIM_400000_NS6detail44device_merge_sort_compile_time_verifier_archINS1_11comp_targetILNS1_3genE5ELNS1_11target_archE942ELNS1_3gpuE9ELNS1_3repE0EEES8_NS1_28merge_sort_block_sort_configILj256ELj4ELNS0_20block_sort_algorithmE0EEENS0_14default_configENS1_37merge_sort_block_sort_config_selectorIhNS0_10empty_typeEEENS1_38merge_sort_block_merge_config_selectorIhSE_EEEEvv.num_named_barrier, 0
	.set _ZN7rocprim17ROCPRIM_400000_NS6detail44device_merge_sort_compile_time_verifier_archINS1_11comp_targetILNS1_3genE5ELNS1_11target_archE942ELNS1_3gpuE9ELNS1_3repE0EEES8_NS1_28merge_sort_block_sort_configILj256ELj4ELNS0_20block_sort_algorithmE0EEENS0_14default_configENS1_37merge_sort_block_sort_config_selectorIhNS0_10empty_typeEEENS1_38merge_sort_block_merge_config_selectorIhSE_EEEEvv.private_seg_size, 0
	.set _ZN7rocprim17ROCPRIM_400000_NS6detail44device_merge_sort_compile_time_verifier_archINS1_11comp_targetILNS1_3genE5ELNS1_11target_archE942ELNS1_3gpuE9ELNS1_3repE0EEES8_NS1_28merge_sort_block_sort_configILj256ELj4ELNS0_20block_sort_algorithmE0EEENS0_14default_configENS1_37merge_sort_block_sort_config_selectorIhNS0_10empty_typeEEENS1_38merge_sort_block_merge_config_selectorIhSE_EEEEvv.uses_vcc, 0
	.set _ZN7rocprim17ROCPRIM_400000_NS6detail44device_merge_sort_compile_time_verifier_archINS1_11comp_targetILNS1_3genE5ELNS1_11target_archE942ELNS1_3gpuE9ELNS1_3repE0EEES8_NS1_28merge_sort_block_sort_configILj256ELj4ELNS0_20block_sort_algorithmE0EEENS0_14default_configENS1_37merge_sort_block_sort_config_selectorIhNS0_10empty_typeEEENS1_38merge_sort_block_merge_config_selectorIhSE_EEEEvv.uses_flat_scratch, 0
	.set _ZN7rocprim17ROCPRIM_400000_NS6detail44device_merge_sort_compile_time_verifier_archINS1_11comp_targetILNS1_3genE5ELNS1_11target_archE942ELNS1_3gpuE9ELNS1_3repE0EEES8_NS1_28merge_sort_block_sort_configILj256ELj4ELNS0_20block_sort_algorithmE0EEENS0_14default_configENS1_37merge_sort_block_sort_config_selectorIhNS0_10empty_typeEEENS1_38merge_sort_block_merge_config_selectorIhSE_EEEEvv.has_dyn_sized_stack, 0
	.set _ZN7rocprim17ROCPRIM_400000_NS6detail44device_merge_sort_compile_time_verifier_archINS1_11comp_targetILNS1_3genE5ELNS1_11target_archE942ELNS1_3gpuE9ELNS1_3repE0EEES8_NS1_28merge_sort_block_sort_configILj256ELj4ELNS0_20block_sort_algorithmE0EEENS0_14default_configENS1_37merge_sort_block_sort_config_selectorIhNS0_10empty_typeEEENS1_38merge_sort_block_merge_config_selectorIhSE_EEEEvv.has_recursion, 0
	.set _ZN7rocprim17ROCPRIM_400000_NS6detail44device_merge_sort_compile_time_verifier_archINS1_11comp_targetILNS1_3genE5ELNS1_11target_archE942ELNS1_3gpuE9ELNS1_3repE0EEES8_NS1_28merge_sort_block_sort_configILj256ELj4ELNS0_20block_sort_algorithmE0EEENS0_14default_configENS1_37merge_sort_block_sort_config_selectorIhNS0_10empty_typeEEENS1_38merge_sort_block_merge_config_selectorIhSE_EEEEvv.has_indirect_call, 0
	.section	.AMDGPU.csdata,"",@progbits
; Kernel info:
; codeLenInByte = 4
; TotalNumSgprs: 0
; NumVgprs: 0
; ScratchSize: 0
; MemoryBound: 0
; FloatMode: 240
; IeeeMode: 1
; LDSByteSize: 0 bytes/workgroup (compile time only)
; SGPRBlocks: 0
; VGPRBlocks: 0
; NumSGPRsForWavesPerEU: 1
; NumVGPRsForWavesPerEU: 1
; NamedBarCnt: 0
; Occupancy: 16
; WaveLimiterHint : 0
; COMPUTE_PGM_RSRC2:SCRATCH_EN: 0
; COMPUTE_PGM_RSRC2:USER_SGPR: 0
; COMPUTE_PGM_RSRC2:TRAP_HANDLER: 0
; COMPUTE_PGM_RSRC2:TGID_X_EN: 1
; COMPUTE_PGM_RSRC2:TGID_Y_EN: 0
; COMPUTE_PGM_RSRC2:TGID_Z_EN: 0
; COMPUTE_PGM_RSRC2:TIDIG_COMP_CNT: 0
	.section	.text._ZN7rocprim17ROCPRIM_400000_NS6detail44device_merge_sort_compile_time_verifier_archINS1_11comp_targetILNS1_3genE4ELNS1_11target_archE910ELNS1_3gpuE8ELNS1_3repE0EEES8_NS1_28merge_sort_block_sort_configILj256ELj4ELNS0_20block_sort_algorithmE0EEENS0_14default_configENS1_37merge_sort_block_sort_config_selectorIhNS0_10empty_typeEEENS1_38merge_sort_block_merge_config_selectorIhSE_EEEEvv,"axG",@progbits,_ZN7rocprim17ROCPRIM_400000_NS6detail44device_merge_sort_compile_time_verifier_archINS1_11comp_targetILNS1_3genE4ELNS1_11target_archE910ELNS1_3gpuE8ELNS1_3repE0EEES8_NS1_28merge_sort_block_sort_configILj256ELj4ELNS0_20block_sort_algorithmE0EEENS0_14default_configENS1_37merge_sort_block_sort_config_selectorIhNS0_10empty_typeEEENS1_38merge_sort_block_merge_config_selectorIhSE_EEEEvv,comdat
	.protected	_ZN7rocprim17ROCPRIM_400000_NS6detail44device_merge_sort_compile_time_verifier_archINS1_11comp_targetILNS1_3genE4ELNS1_11target_archE910ELNS1_3gpuE8ELNS1_3repE0EEES8_NS1_28merge_sort_block_sort_configILj256ELj4ELNS0_20block_sort_algorithmE0EEENS0_14default_configENS1_37merge_sort_block_sort_config_selectorIhNS0_10empty_typeEEENS1_38merge_sort_block_merge_config_selectorIhSE_EEEEvv ; -- Begin function _ZN7rocprim17ROCPRIM_400000_NS6detail44device_merge_sort_compile_time_verifier_archINS1_11comp_targetILNS1_3genE4ELNS1_11target_archE910ELNS1_3gpuE8ELNS1_3repE0EEES8_NS1_28merge_sort_block_sort_configILj256ELj4ELNS0_20block_sort_algorithmE0EEENS0_14default_configENS1_37merge_sort_block_sort_config_selectorIhNS0_10empty_typeEEENS1_38merge_sort_block_merge_config_selectorIhSE_EEEEvv
	.globl	_ZN7rocprim17ROCPRIM_400000_NS6detail44device_merge_sort_compile_time_verifier_archINS1_11comp_targetILNS1_3genE4ELNS1_11target_archE910ELNS1_3gpuE8ELNS1_3repE0EEES8_NS1_28merge_sort_block_sort_configILj256ELj4ELNS0_20block_sort_algorithmE0EEENS0_14default_configENS1_37merge_sort_block_sort_config_selectorIhNS0_10empty_typeEEENS1_38merge_sort_block_merge_config_selectorIhSE_EEEEvv
	.p2align	8
	.type	_ZN7rocprim17ROCPRIM_400000_NS6detail44device_merge_sort_compile_time_verifier_archINS1_11comp_targetILNS1_3genE4ELNS1_11target_archE910ELNS1_3gpuE8ELNS1_3repE0EEES8_NS1_28merge_sort_block_sort_configILj256ELj4ELNS0_20block_sort_algorithmE0EEENS0_14default_configENS1_37merge_sort_block_sort_config_selectorIhNS0_10empty_typeEEENS1_38merge_sort_block_merge_config_selectorIhSE_EEEEvv,@function
_ZN7rocprim17ROCPRIM_400000_NS6detail44device_merge_sort_compile_time_verifier_archINS1_11comp_targetILNS1_3genE4ELNS1_11target_archE910ELNS1_3gpuE8ELNS1_3repE0EEES8_NS1_28merge_sort_block_sort_configILj256ELj4ELNS0_20block_sort_algorithmE0EEENS0_14default_configENS1_37merge_sort_block_sort_config_selectorIhNS0_10empty_typeEEENS1_38merge_sort_block_merge_config_selectorIhSE_EEEEvv: ; @_ZN7rocprim17ROCPRIM_400000_NS6detail44device_merge_sort_compile_time_verifier_archINS1_11comp_targetILNS1_3genE4ELNS1_11target_archE910ELNS1_3gpuE8ELNS1_3repE0EEES8_NS1_28merge_sort_block_sort_configILj256ELj4ELNS0_20block_sort_algorithmE0EEENS0_14default_configENS1_37merge_sort_block_sort_config_selectorIhNS0_10empty_typeEEENS1_38merge_sort_block_merge_config_selectorIhSE_EEEEvv
; %bb.0:
	s_endpgm
	.section	.rodata,"a",@progbits
	.p2align	6, 0x0
	.amdhsa_kernel _ZN7rocprim17ROCPRIM_400000_NS6detail44device_merge_sort_compile_time_verifier_archINS1_11comp_targetILNS1_3genE4ELNS1_11target_archE910ELNS1_3gpuE8ELNS1_3repE0EEES8_NS1_28merge_sort_block_sort_configILj256ELj4ELNS0_20block_sort_algorithmE0EEENS0_14default_configENS1_37merge_sort_block_sort_config_selectorIhNS0_10empty_typeEEENS1_38merge_sort_block_merge_config_selectorIhSE_EEEEvv
		.amdhsa_group_segment_fixed_size 0
		.amdhsa_private_segment_fixed_size 0
		.amdhsa_kernarg_size 0
		.amdhsa_user_sgpr_count 0
		.amdhsa_user_sgpr_dispatch_ptr 0
		.amdhsa_user_sgpr_queue_ptr 0
		.amdhsa_user_sgpr_kernarg_segment_ptr 0
		.amdhsa_user_sgpr_dispatch_id 0
		.amdhsa_user_sgpr_kernarg_preload_length 0
		.amdhsa_user_sgpr_kernarg_preload_offset 0
		.amdhsa_user_sgpr_private_segment_size 0
		.amdhsa_wavefront_size32 1
		.amdhsa_uses_dynamic_stack 0
		.amdhsa_enable_private_segment 0
		.amdhsa_system_sgpr_workgroup_id_x 1
		.amdhsa_system_sgpr_workgroup_id_y 0
		.amdhsa_system_sgpr_workgroup_id_z 0
		.amdhsa_system_sgpr_workgroup_info 0
		.amdhsa_system_vgpr_workitem_id 0
		.amdhsa_next_free_vgpr 1
		.amdhsa_next_free_sgpr 1
		.amdhsa_named_barrier_count 0
		.amdhsa_reserve_vcc 0
		.amdhsa_float_round_mode_32 0
		.amdhsa_float_round_mode_16_64 0
		.amdhsa_float_denorm_mode_32 3
		.amdhsa_float_denorm_mode_16_64 3
		.amdhsa_fp16_overflow 0
		.amdhsa_memory_ordered 1
		.amdhsa_forward_progress 1
		.amdhsa_inst_pref_size 1
		.amdhsa_round_robin_scheduling 0
		.amdhsa_exception_fp_ieee_invalid_op 0
		.amdhsa_exception_fp_denorm_src 0
		.amdhsa_exception_fp_ieee_div_zero 0
		.amdhsa_exception_fp_ieee_overflow 0
		.amdhsa_exception_fp_ieee_underflow 0
		.amdhsa_exception_fp_ieee_inexact 0
		.amdhsa_exception_int_div_zero 0
	.end_amdhsa_kernel
	.section	.text._ZN7rocprim17ROCPRIM_400000_NS6detail44device_merge_sort_compile_time_verifier_archINS1_11comp_targetILNS1_3genE4ELNS1_11target_archE910ELNS1_3gpuE8ELNS1_3repE0EEES8_NS1_28merge_sort_block_sort_configILj256ELj4ELNS0_20block_sort_algorithmE0EEENS0_14default_configENS1_37merge_sort_block_sort_config_selectorIhNS0_10empty_typeEEENS1_38merge_sort_block_merge_config_selectorIhSE_EEEEvv,"axG",@progbits,_ZN7rocprim17ROCPRIM_400000_NS6detail44device_merge_sort_compile_time_verifier_archINS1_11comp_targetILNS1_3genE4ELNS1_11target_archE910ELNS1_3gpuE8ELNS1_3repE0EEES8_NS1_28merge_sort_block_sort_configILj256ELj4ELNS0_20block_sort_algorithmE0EEENS0_14default_configENS1_37merge_sort_block_sort_config_selectorIhNS0_10empty_typeEEENS1_38merge_sort_block_merge_config_selectorIhSE_EEEEvv,comdat
.Lfunc_end11:
	.size	_ZN7rocprim17ROCPRIM_400000_NS6detail44device_merge_sort_compile_time_verifier_archINS1_11comp_targetILNS1_3genE4ELNS1_11target_archE910ELNS1_3gpuE8ELNS1_3repE0EEES8_NS1_28merge_sort_block_sort_configILj256ELj4ELNS0_20block_sort_algorithmE0EEENS0_14default_configENS1_37merge_sort_block_sort_config_selectorIhNS0_10empty_typeEEENS1_38merge_sort_block_merge_config_selectorIhSE_EEEEvv, .Lfunc_end11-_ZN7rocprim17ROCPRIM_400000_NS6detail44device_merge_sort_compile_time_verifier_archINS1_11comp_targetILNS1_3genE4ELNS1_11target_archE910ELNS1_3gpuE8ELNS1_3repE0EEES8_NS1_28merge_sort_block_sort_configILj256ELj4ELNS0_20block_sort_algorithmE0EEENS0_14default_configENS1_37merge_sort_block_sort_config_selectorIhNS0_10empty_typeEEENS1_38merge_sort_block_merge_config_selectorIhSE_EEEEvv
                                        ; -- End function
	.set _ZN7rocprim17ROCPRIM_400000_NS6detail44device_merge_sort_compile_time_verifier_archINS1_11comp_targetILNS1_3genE4ELNS1_11target_archE910ELNS1_3gpuE8ELNS1_3repE0EEES8_NS1_28merge_sort_block_sort_configILj256ELj4ELNS0_20block_sort_algorithmE0EEENS0_14default_configENS1_37merge_sort_block_sort_config_selectorIhNS0_10empty_typeEEENS1_38merge_sort_block_merge_config_selectorIhSE_EEEEvv.num_vgpr, 0
	.set _ZN7rocprim17ROCPRIM_400000_NS6detail44device_merge_sort_compile_time_verifier_archINS1_11comp_targetILNS1_3genE4ELNS1_11target_archE910ELNS1_3gpuE8ELNS1_3repE0EEES8_NS1_28merge_sort_block_sort_configILj256ELj4ELNS0_20block_sort_algorithmE0EEENS0_14default_configENS1_37merge_sort_block_sort_config_selectorIhNS0_10empty_typeEEENS1_38merge_sort_block_merge_config_selectorIhSE_EEEEvv.num_agpr, 0
	.set _ZN7rocprim17ROCPRIM_400000_NS6detail44device_merge_sort_compile_time_verifier_archINS1_11comp_targetILNS1_3genE4ELNS1_11target_archE910ELNS1_3gpuE8ELNS1_3repE0EEES8_NS1_28merge_sort_block_sort_configILj256ELj4ELNS0_20block_sort_algorithmE0EEENS0_14default_configENS1_37merge_sort_block_sort_config_selectorIhNS0_10empty_typeEEENS1_38merge_sort_block_merge_config_selectorIhSE_EEEEvv.numbered_sgpr, 0
	.set _ZN7rocprim17ROCPRIM_400000_NS6detail44device_merge_sort_compile_time_verifier_archINS1_11comp_targetILNS1_3genE4ELNS1_11target_archE910ELNS1_3gpuE8ELNS1_3repE0EEES8_NS1_28merge_sort_block_sort_configILj256ELj4ELNS0_20block_sort_algorithmE0EEENS0_14default_configENS1_37merge_sort_block_sort_config_selectorIhNS0_10empty_typeEEENS1_38merge_sort_block_merge_config_selectorIhSE_EEEEvv.num_named_barrier, 0
	.set _ZN7rocprim17ROCPRIM_400000_NS6detail44device_merge_sort_compile_time_verifier_archINS1_11comp_targetILNS1_3genE4ELNS1_11target_archE910ELNS1_3gpuE8ELNS1_3repE0EEES8_NS1_28merge_sort_block_sort_configILj256ELj4ELNS0_20block_sort_algorithmE0EEENS0_14default_configENS1_37merge_sort_block_sort_config_selectorIhNS0_10empty_typeEEENS1_38merge_sort_block_merge_config_selectorIhSE_EEEEvv.private_seg_size, 0
	.set _ZN7rocprim17ROCPRIM_400000_NS6detail44device_merge_sort_compile_time_verifier_archINS1_11comp_targetILNS1_3genE4ELNS1_11target_archE910ELNS1_3gpuE8ELNS1_3repE0EEES8_NS1_28merge_sort_block_sort_configILj256ELj4ELNS0_20block_sort_algorithmE0EEENS0_14default_configENS1_37merge_sort_block_sort_config_selectorIhNS0_10empty_typeEEENS1_38merge_sort_block_merge_config_selectorIhSE_EEEEvv.uses_vcc, 0
	.set _ZN7rocprim17ROCPRIM_400000_NS6detail44device_merge_sort_compile_time_verifier_archINS1_11comp_targetILNS1_3genE4ELNS1_11target_archE910ELNS1_3gpuE8ELNS1_3repE0EEES8_NS1_28merge_sort_block_sort_configILj256ELj4ELNS0_20block_sort_algorithmE0EEENS0_14default_configENS1_37merge_sort_block_sort_config_selectorIhNS0_10empty_typeEEENS1_38merge_sort_block_merge_config_selectorIhSE_EEEEvv.uses_flat_scratch, 0
	.set _ZN7rocprim17ROCPRIM_400000_NS6detail44device_merge_sort_compile_time_verifier_archINS1_11comp_targetILNS1_3genE4ELNS1_11target_archE910ELNS1_3gpuE8ELNS1_3repE0EEES8_NS1_28merge_sort_block_sort_configILj256ELj4ELNS0_20block_sort_algorithmE0EEENS0_14default_configENS1_37merge_sort_block_sort_config_selectorIhNS0_10empty_typeEEENS1_38merge_sort_block_merge_config_selectorIhSE_EEEEvv.has_dyn_sized_stack, 0
	.set _ZN7rocprim17ROCPRIM_400000_NS6detail44device_merge_sort_compile_time_verifier_archINS1_11comp_targetILNS1_3genE4ELNS1_11target_archE910ELNS1_3gpuE8ELNS1_3repE0EEES8_NS1_28merge_sort_block_sort_configILj256ELj4ELNS0_20block_sort_algorithmE0EEENS0_14default_configENS1_37merge_sort_block_sort_config_selectorIhNS0_10empty_typeEEENS1_38merge_sort_block_merge_config_selectorIhSE_EEEEvv.has_recursion, 0
	.set _ZN7rocprim17ROCPRIM_400000_NS6detail44device_merge_sort_compile_time_verifier_archINS1_11comp_targetILNS1_3genE4ELNS1_11target_archE910ELNS1_3gpuE8ELNS1_3repE0EEES8_NS1_28merge_sort_block_sort_configILj256ELj4ELNS0_20block_sort_algorithmE0EEENS0_14default_configENS1_37merge_sort_block_sort_config_selectorIhNS0_10empty_typeEEENS1_38merge_sort_block_merge_config_selectorIhSE_EEEEvv.has_indirect_call, 0
	.section	.AMDGPU.csdata,"",@progbits
; Kernel info:
; codeLenInByte = 4
; TotalNumSgprs: 0
; NumVgprs: 0
; ScratchSize: 0
; MemoryBound: 0
; FloatMode: 240
; IeeeMode: 1
; LDSByteSize: 0 bytes/workgroup (compile time only)
; SGPRBlocks: 0
; VGPRBlocks: 0
; NumSGPRsForWavesPerEU: 1
; NumVGPRsForWavesPerEU: 1
; NamedBarCnt: 0
; Occupancy: 16
; WaveLimiterHint : 0
; COMPUTE_PGM_RSRC2:SCRATCH_EN: 0
; COMPUTE_PGM_RSRC2:USER_SGPR: 0
; COMPUTE_PGM_RSRC2:TRAP_HANDLER: 0
; COMPUTE_PGM_RSRC2:TGID_X_EN: 1
; COMPUTE_PGM_RSRC2:TGID_Y_EN: 0
; COMPUTE_PGM_RSRC2:TGID_Z_EN: 0
; COMPUTE_PGM_RSRC2:TIDIG_COMP_CNT: 0
	.section	.text._ZN7rocprim17ROCPRIM_400000_NS6detail44device_merge_sort_compile_time_verifier_archINS1_11comp_targetILNS1_3genE3ELNS1_11target_archE908ELNS1_3gpuE7ELNS1_3repE0EEES8_NS1_28merge_sort_block_sort_configILj256ELj4ELNS0_20block_sort_algorithmE0EEENS0_14default_configENS1_37merge_sort_block_sort_config_selectorIhNS0_10empty_typeEEENS1_38merge_sort_block_merge_config_selectorIhSE_EEEEvv,"axG",@progbits,_ZN7rocprim17ROCPRIM_400000_NS6detail44device_merge_sort_compile_time_verifier_archINS1_11comp_targetILNS1_3genE3ELNS1_11target_archE908ELNS1_3gpuE7ELNS1_3repE0EEES8_NS1_28merge_sort_block_sort_configILj256ELj4ELNS0_20block_sort_algorithmE0EEENS0_14default_configENS1_37merge_sort_block_sort_config_selectorIhNS0_10empty_typeEEENS1_38merge_sort_block_merge_config_selectorIhSE_EEEEvv,comdat
	.protected	_ZN7rocprim17ROCPRIM_400000_NS6detail44device_merge_sort_compile_time_verifier_archINS1_11comp_targetILNS1_3genE3ELNS1_11target_archE908ELNS1_3gpuE7ELNS1_3repE0EEES8_NS1_28merge_sort_block_sort_configILj256ELj4ELNS0_20block_sort_algorithmE0EEENS0_14default_configENS1_37merge_sort_block_sort_config_selectorIhNS0_10empty_typeEEENS1_38merge_sort_block_merge_config_selectorIhSE_EEEEvv ; -- Begin function _ZN7rocprim17ROCPRIM_400000_NS6detail44device_merge_sort_compile_time_verifier_archINS1_11comp_targetILNS1_3genE3ELNS1_11target_archE908ELNS1_3gpuE7ELNS1_3repE0EEES8_NS1_28merge_sort_block_sort_configILj256ELj4ELNS0_20block_sort_algorithmE0EEENS0_14default_configENS1_37merge_sort_block_sort_config_selectorIhNS0_10empty_typeEEENS1_38merge_sort_block_merge_config_selectorIhSE_EEEEvv
	.globl	_ZN7rocprim17ROCPRIM_400000_NS6detail44device_merge_sort_compile_time_verifier_archINS1_11comp_targetILNS1_3genE3ELNS1_11target_archE908ELNS1_3gpuE7ELNS1_3repE0EEES8_NS1_28merge_sort_block_sort_configILj256ELj4ELNS0_20block_sort_algorithmE0EEENS0_14default_configENS1_37merge_sort_block_sort_config_selectorIhNS0_10empty_typeEEENS1_38merge_sort_block_merge_config_selectorIhSE_EEEEvv
	.p2align	8
	.type	_ZN7rocprim17ROCPRIM_400000_NS6detail44device_merge_sort_compile_time_verifier_archINS1_11comp_targetILNS1_3genE3ELNS1_11target_archE908ELNS1_3gpuE7ELNS1_3repE0EEES8_NS1_28merge_sort_block_sort_configILj256ELj4ELNS0_20block_sort_algorithmE0EEENS0_14default_configENS1_37merge_sort_block_sort_config_selectorIhNS0_10empty_typeEEENS1_38merge_sort_block_merge_config_selectorIhSE_EEEEvv,@function
_ZN7rocprim17ROCPRIM_400000_NS6detail44device_merge_sort_compile_time_verifier_archINS1_11comp_targetILNS1_3genE3ELNS1_11target_archE908ELNS1_3gpuE7ELNS1_3repE0EEES8_NS1_28merge_sort_block_sort_configILj256ELj4ELNS0_20block_sort_algorithmE0EEENS0_14default_configENS1_37merge_sort_block_sort_config_selectorIhNS0_10empty_typeEEENS1_38merge_sort_block_merge_config_selectorIhSE_EEEEvv: ; @_ZN7rocprim17ROCPRIM_400000_NS6detail44device_merge_sort_compile_time_verifier_archINS1_11comp_targetILNS1_3genE3ELNS1_11target_archE908ELNS1_3gpuE7ELNS1_3repE0EEES8_NS1_28merge_sort_block_sort_configILj256ELj4ELNS0_20block_sort_algorithmE0EEENS0_14default_configENS1_37merge_sort_block_sort_config_selectorIhNS0_10empty_typeEEENS1_38merge_sort_block_merge_config_selectorIhSE_EEEEvv
; %bb.0:
	s_endpgm
	.section	.rodata,"a",@progbits
	.p2align	6, 0x0
	.amdhsa_kernel _ZN7rocprim17ROCPRIM_400000_NS6detail44device_merge_sort_compile_time_verifier_archINS1_11comp_targetILNS1_3genE3ELNS1_11target_archE908ELNS1_3gpuE7ELNS1_3repE0EEES8_NS1_28merge_sort_block_sort_configILj256ELj4ELNS0_20block_sort_algorithmE0EEENS0_14default_configENS1_37merge_sort_block_sort_config_selectorIhNS0_10empty_typeEEENS1_38merge_sort_block_merge_config_selectorIhSE_EEEEvv
		.amdhsa_group_segment_fixed_size 0
		.amdhsa_private_segment_fixed_size 0
		.amdhsa_kernarg_size 0
		.amdhsa_user_sgpr_count 0
		.amdhsa_user_sgpr_dispatch_ptr 0
		.amdhsa_user_sgpr_queue_ptr 0
		.amdhsa_user_sgpr_kernarg_segment_ptr 0
		.amdhsa_user_sgpr_dispatch_id 0
		.amdhsa_user_sgpr_kernarg_preload_length 0
		.amdhsa_user_sgpr_kernarg_preload_offset 0
		.amdhsa_user_sgpr_private_segment_size 0
		.amdhsa_wavefront_size32 1
		.amdhsa_uses_dynamic_stack 0
		.amdhsa_enable_private_segment 0
		.amdhsa_system_sgpr_workgroup_id_x 1
		.amdhsa_system_sgpr_workgroup_id_y 0
		.amdhsa_system_sgpr_workgroup_id_z 0
		.amdhsa_system_sgpr_workgroup_info 0
		.amdhsa_system_vgpr_workitem_id 0
		.amdhsa_next_free_vgpr 1
		.amdhsa_next_free_sgpr 1
		.amdhsa_named_barrier_count 0
		.amdhsa_reserve_vcc 0
		.amdhsa_float_round_mode_32 0
		.amdhsa_float_round_mode_16_64 0
		.amdhsa_float_denorm_mode_32 3
		.amdhsa_float_denorm_mode_16_64 3
		.amdhsa_fp16_overflow 0
		.amdhsa_memory_ordered 1
		.amdhsa_forward_progress 1
		.amdhsa_inst_pref_size 1
		.amdhsa_round_robin_scheduling 0
		.amdhsa_exception_fp_ieee_invalid_op 0
		.amdhsa_exception_fp_denorm_src 0
		.amdhsa_exception_fp_ieee_div_zero 0
		.amdhsa_exception_fp_ieee_overflow 0
		.amdhsa_exception_fp_ieee_underflow 0
		.amdhsa_exception_fp_ieee_inexact 0
		.amdhsa_exception_int_div_zero 0
	.end_amdhsa_kernel
	.section	.text._ZN7rocprim17ROCPRIM_400000_NS6detail44device_merge_sort_compile_time_verifier_archINS1_11comp_targetILNS1_3genE3ELNS1_11target_archE908ELNS1_3gpuE7ELNS1_3repE0EEES8_NS1_28merge_sort_block_sort_configILj256ELj4ELNS0_20block_sort_algorithmE0EEENS0_14default_configENS1_37merge_sort_block_sort_config_selectorIhNS0_10empty_typeEEENS1_38merge_sort_block_merge_config_selectorIhSE_EEEEvv,"axG",@progbits,_ZN7rocprim17ROCPRIM_400000_NS6detail44device_merge_sort_compile_time_verifier_archINS1_11comp_targetILNS1_3genE3ELNS1_11target_archE908ELNS1_3gpuE7ELNS1_3repE0EEES8_NS1_28merge_sort_block_sort_configILj256ELj4ELNS0_20block_sort_algorithmE0EEENS0_14default_configENS1_37merge_sort_block_sort_config_selectorIhNS0_10empty_typeEEENS1_38merge_sort_block_merge_config_selectorIhSE_EEEEvv,comdat
.Lfunc_end12:
	.size	_ZN7rocprim17ROCPRIM_400000_NS6detail44device_merge_sort_compile_time_verifier_archINS1_11comp_targetILNS1_3genE3ELNS1_11target_archE908ELNS1_3gpuE7ELNS1_3repE0EEES8_NS1_28merge_sort_block_sort_configILj256ELj4ELNS0_20block_sort_algorithmE0EEENS0_14default_configENS1_37merge_sort_block_sort_config_selectorIhNS0_10empty_typeEEENS1_38merge_sort_block_merge_config_selectorIhSE_EEEEvv, .Lfunc_end12-_ZN7rocprim17ROCPRIM_400000_NS6detail44device_merge_sort_compile_time_verifier_archINS1_11comp_targetILNS1_3genE3ELNS1_11target_archE908ELNS1_3gpuE7ELNS1_3repE0EEES8_NS1_28merge_sort_block_sort_configILj256ELj4ELNS0_20block_sort_algorithmE0EEENS0_14default_configENS1_37merge_sort_block_sort_config_selectorIhNS0_10empty_typeEEENS1_38merge_sort_block_merge_config_selectorIhSE_EEEEvv
                                        ; -- End function
	.set _ZN7rocprim17ROCPRIM_400000_NS6detail44device_merge_sort_compile_time_verifier_archINS1_11comp_targetILNS1_3genE3ELNS1_11target_archE908ELNS1_3gpuE7ELNS1_3repE0EEES8_NS1_28merge_sort_block_sort_configILj256ELj4ELNS0_20block_sort_algorithmE0EEENS0_14default_configENS1_37merge_sort_block_sort_config_selectorIhNS0_10empty_typeEEENS1_38merge_sort_block_merge_config_selectorIhSE_EEEEvv.num_vgpr, 0
	.set _ZN7rocprim17ROCPRIM_400000_NS6detail44device_merge_sort_compile_time_verifier_archINS1_11comp_targetILNS1_3genE3ELNS1_11target_archE908ELNS1_3gpuE7ELNS1_3repE0EEES8_NS1_28merge_sort_block_sort_configILj256ELj4ELNS0_20block_sort_algorithmE0EEENS0_14default_configENS1_37merge_sort_block_sort_config_selectorIhNS0_10empty_typeEEENS1_38merge_sort_block_merge_config_selectorIhSE_EEEEvv.num_agpr, 0
	.set _ZN7rocprim17ROCPRIM_400000_NS6detail44device_merge_sort_compile_time_verifier_archINS1_11comp_targetILNS1_3genE3ELNS1_11target_archE908ELNS1_3gpuE7ELNS1_3repE0EEES8_NS1_28merge_sort_block_sort_configILj256ELj4ELNS0_20block_sort_algorithmE0EEENS0_14default_configENS1_37merge_sort_block_sort_config_selectorIhNS0_10empty_typeEEENS1_38merge_sort_block_merge_config_selectorIhSE_EEEEvv.numbered_sgpr, 0
	.set _ZN7rocprim17ROCPRIM_400000_NS6detail44device_merge_sort_compile_time_verifier_archINS1_11comp_targetILNS1_3genE3ELNS1_11target_archE908ELNS1_3gpuE7ELNS1_3repE0EEES8_NS1_28merge_sort_block_sort_configILj256ELj4ELNS0_20block_sort_algorithmE0EEENS0_14default_configENS1_37merge_sort_block_sort_config_selectorIhNS0_10empty_typeEEENS1_38merge_sort_block_merge_config_selectorIhSE_EEEEvv.num_named_barrier, 0
	.set _ZN7rocprim17ROCPRIM_400000_NS6detail44device_merge_sort_compile_time_verifier_archINS1_11comp_targetILNS1_3genE3ELNS1_11target_archE908ELNS1_3gpuE7ELNS1_3repE0EEES8_NS1_28merge_sort_block_sort_configILj256ELj4ELNS0_20block_sort_algorithmE0EEENS0_14default_configENS1_37merge_sort_block_sort_config_selectorIhNS0_10empty_typeEEENS1_38merge_sort_block_merge_config_selectorIhSE_EEEEvv.private_seg_size, 0
	.set _ZN7rocprim17ROCPRIM_400000_NS6detail44device_merge_sort_compile_time_verifier_archINS1_11comp_targetILNS1_3genE3ELNS1_11target_archE908ELNS1_3gpuE7ELNS1_3repE0EEES8_NS1_28merge_sort_block_sort_configILj256ELj4ELNS0_20block_sort_algorithmE0EEENS0_14default_configENS1_37merge_sort_block_sort_config_selectorIhNS0_10empty_typeEEENS1_38merge_sort_block_merge_config_selectorIhSE_EEEEvv.uses_vcc, 0
	.set _ZN7rocprim17ROCPRIM_400000_NS6detail44device_merge_sort_compile_time_verifier_archINS1_11comp_targetILNS1_3genE3ELNS1_11target_archE908ELNS1_3gpuE7ELNS1_3repE0EEES8_NS1_28merge_sort_block_sort_configILj256ELj4ELNS0_20block_sort_algorithmE0EEENS0_14default_configENS1_37merge_sort_block_sort_config_selectorIhNS0_10empty_typeEEENS1_38merge_sort_block_merge_config_selectorIhSE_EEEEvv.uses_flat_scratch, 0
	.set _ZN7rocprim17ROCPRIM_400000_NS6detail44device_merge_sort_compile_time_verifier_archINS1_11comp_targetILNS1_3genE3ELNS1_11target_archE908ELNS1_3gpuE7ELNS1_3repE0EEES8_NS1_28merge_sort_block_sort_configILj256ELj4ELNS0_20block_sort_algorithmE0EEENS0_14default_configENS1_37merge_sort_block_sort_config_selectorIhNS0_10empty_typeEEENS1_38merge_sort_block_merge_config_selectorIhSE_EEEEvv.has_dyn_sized_stack, 0
	.set _ZN7rocprim17ROCPRIM_400000_NS6detail44device_merge_sort_compile_time_verifier_archINS1_11comp_targetILNS1_3genE3ELNS1_11target_archE908ELNS1_3gpuE7ELNS1_3repE0EEES8_NS1_28merge_sort_block_sort_configILj256ELj4ELNS0_20block_sort_algorithmE0EEENS0_14default_configENS1_37merge_sort_block_sort_config_selectorIhNS0_10empty_typeEEENS1_38merge_sort_block_merge_config_selectorIhSE_EEEEvv.has_recursion, 0
	.set _ZN7rocprim17ROCPRIM_400000_NS6detail44device_merge_sort_compile_time_verifier_archINS1_11comp_targetILNS1_3genE3ELNS1_11target_archE908ELNS1_3gpuE7ELNS1_3repE0EEES8_NS1_28merge_sort_block_sort_configILj256ELj4ELNS0_20block_sort_algorithmE0EEENS0_14default_configENS1_37merge_sort_block_sort_config_selectorIhNS0_10empty_typeEEENS1_38merge_sort_block_merge_config_selectorIhSE_EEEEvv.has_indirect_call, 0
	.section	.AMDGPU.csdata,"",@progbits
; Kernel info:
; codeLenInByte = 4
; TotalNumSgprs: 0
; NumVgprs: 0
; ScratchSize: 0
; MemoryBound: 0
; FloatMode: 240
; IeeeMode: 1
; LDSByteSize: 0 bytes/workgroup (compile time only)
; SGPRBlocks: 0
; VGPRBlocks: 0
; NumSGPRsForWavesPerEU: 1
; NumVGPRsForWavesPerEU: 1
; NamedBarCnt: 0
; Occupancy: 16
; WaveLimiterHint : 0
; COMPUTE_PGM_RSRC2:SCRATCH_EN: 0
; COMPUTE_PGM_RSRC2:USER_SGPR: 0
; COMPUTE_PGM_RSRC2:TRAP_HANDLER: 0
; COMPUTE_PGM_RSRC2:TGID_X_EN: 1
; COMPUTE_PGM_RSRC2:TGID_Y_EN: 0
; COMPUTE_PGM_RSRC2:TGID_Z_EN: 0
; COMPUTE_PGM_RSRC2:TIDIG_COMP_CNT: 0
	.section	.text._ZN7rocprim17ROCPRIM_400000_NS6detail44device_merge_sort_compile_time_verifier_archINS1_11comp_targetILNS1_3genE2ELNS1_11target_archE906ELNS1_3gpuE6ELNS1_3repE0EEES8_NS1_28merge_sort_block_sort_configILj256ELj4ELNS0_20block_sort_algorithmE0EEENS0_14default_configENS1_37merge_sort_block_sort_config_selectorIhNS0_10empty_typeEEENS1_38merge_sort_block_merge_config_selectorIhSE_EEEEvv,"axG",@progbits,_ZN7rocprim17ROCPRIM_400000_NS6detail44device_merge_sort_compile_time_verifier_archINS1_11comp_targetILNS1_3genE2ELNS1_11target_archE906ELNS1_3gpuE6ELNS1_3repE0EEES8_NS1_28merge_sort_block_sort_configILj256ELj4ELNS0_20block_sort_algorithmE0EEENS0_14default_configENS1_37merge_sort_block_sort_config_selectorIhNS0_10empty_typeEEENS1_38merge_sort_block_merge_config_selectorIhSE_EEEEvv,comdat
	.protected	_ZN7rocprim17ROCPRIM_400000_NS6detail44device_merge_sort_compile_time_verifier_archINS1_11comp_targetILNS1_3genE2ELNS1_11target_archE906ELNS1_3gpuE6ELNS1_3repE0EEES8_NS1_28merge_sort_block_sort_configILj256ELj4ELNS0_20block_sort_algorithmE0EEENS0_14default_configENS1_37merge_sort_block_sort_config_selectorIhNS0_10empty_typeEEENS1_38merge_sort_block_merge_config_selectorIhSE_EEEEvv ; -- Begin function _ZN7rocprim17ROCPRIM_400000_NS6detail44device_merge_sort_compile_time_verifier_archINS1_11comp_targetILNS1_3genE2ELNS1_11target_archE906ELNS1_3gpuE6ELNS1_3repE0EEES8_NS1_28merge_sort_block_sort_configILj256ELj4ELNS0_20block_sort_algorithmE0EEENS0_14default_configENS1_37merge_sort_block_sort_config_selectorIhNS0_10empty_typeEEENS1_38merge_sort_block_merge_config_selectorIhSE_EEEEvv
	.globl	_ZN7rocprim17ROCPRIM_400000_NS6detail44device_merge_sort_compile_time_verifier_archINS1_11comp_targetILNS1_3genE2ELNS1_11target_archE906ELNS1_3gpuE6ELNS1_3repE0EEES8_NS1_28merge_sort_block_sort_configILj256ELj4ELNS0_20block_sort_algorithmE0EEENS0_14default_configENS1_37merge_sort_block_sort_config_selectorIhNS0_10empty_typeEEENS1_38merge_sort_block_merge_config_selectorIhSE_EEEEvv
	.p2align	8
	.type	_ZN7rocprim17ROCPRIM_400000_NS6detail44device_merge_sort_compile_time_verifier_archINS1_11comp_targetILNS1_3genE2ELNS1_11target_archE906ELNS1_3gpuE6ELNS1_3repE0EEES8_NS1_28merge_sort_block_sort_configILj256ELj4ELNS0_20block_sort_algorithmE0EEENS0_14default_configENS1_37merge_sort_block_sort_config_selectorIhNS0_10empty_typeEEENS1_38merge_sort_block_merge_config_selectorIhSE_EEEEvv,@function
_ZN7rocprim17ROCPRIM_400000_NS6detail44device_merge_sort_compile_time_verifier_archINS1_11comp_targetILNS1_3genE2ELNS1_11target_archE906ELNS1_3gpuE6ELNS1_3repE0EEES8_NS1_28merge_sort_block_sort_configILj256ELj4ELNS0_20block_sort_algorithmE0EEENS0_14default_configENS1_37merge_sort_block_sort_config_selectorIhNS0_10empty_typeEEENS1_38merge_sort_block_merge_config_selectorIhSE_EEEEvv: ; @_ZN7rocprim17ROCPRIM_400000_NS6detail44device_merge_sort_compile_time_verifier_archINS1_11comp_targetILNS1_3genE2ELNS1_11target_archE906ELNS1_3gpuE6ELNS1_3repE0EEES8_NS1_28merge_sort_block_sort_configILj256ELj4ELNS0_20block_sort_algorithmE0EEENS0_14default_configENS1_37merge_sort_block_sort_config_selectorIhNS0_10empty_typeEEENS1_38merge_sort_block_merge_config_selectorIhSE_EEEEvv
; %bb.0:
	s_endpgm
	.section	.rodata,"a",@progbits
	.p2align	6, 0x0
	.amdhsa_kernel _ZN7rocprim17ROCPRIM_400000_NS6detail44device_merge_sort_compile_time_verifier_archINS1_11comp_targetILNS1_3genE2ELNS1_11target_archE906ELNS1_3gpuE6ELNS1_3repE0EEES8_NS1_28merge_sort_block_sort_configILj256ELj4ELNS0_20block_sort_algorithmE0EEENS0_14default_configENS1_37merge_sort_block_sort_config_selectorIhNS0_10empty_typeEEENS1_38merge_sort_block_merge_config_selectorIhSE_EEEEvv
		.amdhsa_group_segment_fixed_size 0
		.amdhsa_private_segment_fixed_size 0
		.amdhsa_kernarg_size 0
		.amdhsa_user_sgpr_count 0
		.amdhsa_user_sgpr_dispatch_ptr 0
		.amdhsa_user_sgpr_queue_ptr 0
		.amdhsa_user_sgpr_kernarg_segment_ptr 0
		.amdhsa_user_sgpr_dispatch_id 0
		.amdhsa_user_sgpr_kernarg_preload_length 0
		.amdhsa_user_sgpr_kernarg_preload_offset 0
		.amdhsa_user_sgpr_private_segment_size 0
		.amdhsa_wavefront_size32 1
		.amdhsa_uses_dynamic_stack 0
		.amdhsa_enable_private_segment 0
		.amdhsa_system_sgpr_workgroup_id_x 1
		.amdhsa_system_sgpr_workgroup_id_y 0
		.amdhsa_system_sgpr_workgroup_id_z 0
		.amdhsa_system_sgpr_workgroup_info 0
		.amdhsa_system_vgpr_workitem_id 0
		.amdhsa_next_free_vgpr 1
		.amdhsa_next_free_sgpr 1
		.amdhsa_named_barrier_count 0
		.amdhsa_reserve_vcc 0
		.amdhsa_float_round_mode_32 0
		.amdhsa_float_round_mode_16_64 0
		.amdhsa_float_denorm_mode_32 3
		.amdhsa_float_denorm_mode_16_64 3
		.amdhsa_fp16_overflow 0
		.amdhsa_memory_ordered 1
		.amdhsa_forward_progress 1
		.amdhsa_inst_pref_size 1
		.amdhsa_round_robin_scheduling 0
		.amdhsa_exception_fp_ieee_invalid_op 0
		.amdhsa_exception_fp_denorm_src 0
		.amdhsa_exception_fp_ieee_div_zero 0
		.amdhsa_exception_fp_ieee_overflow 0
		.amdhsa_exception_fp_ieee_underflow 0
		.amdhsa_exception_fp_ieee_inexact 0
		.amdhsa_exception_int_div_zero 0
	.end_amdhsa_kernel
	.section	.text._ZN7rocprim17ROCPRIM_400000_NS6detail44device_merge_sort_compile_time_verifier_archINS1_11comp_targetILNS1_3genE2ELNS1_11target_archE906ELNS1_3gpuE6ELNS1_3repE0EEES8_NS1_28merge_sort_block_sort_configILj256ELj4ELNS0_20block_sort_algorithmE0EEENS0_14default_configENS1_37merge_sort_block_sort_config_selectorIhNS0_10empty_typeEEENS1_38merge_sort_block_merge_config_selectorIhSE_EEEEvv,"axG",@progbits,_ZN7rocprim17ROCPRIM_400000_NS6detail44device_merge_sort_compile_time_verifier_archINS1_11comp_targetILNS1_3genE2ELNS1_11target_archE906ELNS1_3gpuE6ELNS1_3repE0EEES8_NS1_28merge_sort_block_sort_configILj256ELj4ELNS0_20block_sort_algorithmE0EEENS0_14default_configENS1_37merge_sort_block_sort_config_selectorIhNS0_10empty_typeEEENS1_38merge_sort_block_merge_config_selectorIhSE_EEEEvv,comdat
.Lfunc_end13:
	.size	_ZN7rocprim17ROCPRIM_400000_NS6detail44device_merge_sort_compile_time_verifier_archINS1_11comp_targetILNS1_3genE2ELNS1_11target_archE906ELNS1_3gpuE6ELNS1_3repE0EEES8_NS1_28merge_sort_block_sort_configILj256ELj4ELNS0_20block_sort_algorithmE0EEENS0_14default_configENS1_37merge_sort_block_sort_config_selectorIhNS0_10empty_typeEEENS1_38merge_sort_block_merge_config_selectorIhSE_EEEEvv, .Lfunc_end13-_ZN7rocprim17ROCPRIM_400000_NS6detail44device_merge_sort_compile_time_verifier_archINS1_11comp_targetILNS1_3genE2ELNS1_11target_archE906ELNS1_3gpuE6ELNS1_3repE0EEES8_NS1_28merge_sort_block_sort_configILj256ELj4ELNS0_20block_sort_algorithmE0EEENS0_14default_configENS1_37merge_sort_block_sort_config_selectorIhNS0_10empty_typeEEENS1_38merge_sort_block_merge_config_selectorIhSE_EEEEvv
                                        ; -- End function
	.set _ZN7rocprim17ROCPRIM_400000_NS6detail44device_merge_sort_compile_time_verifier_archINS1_11comp_targetILNS1_3genE2ELNS1_11target_archE906ELNS1_3gpuE6ELNS1_3repE0EEES8_NS1_28merge_sort_block_sort_configILj256ELj4ELNS0_20block_sort_algorithmE0EEENS0_14default_configENS1_37merge_sort_block_sort_config_selectorIhNS0_10empty_typeEEENS1_38merge_sort_block_merge_config_selectorIhSE_EEEEvv.num_vgpr, 0
	.set _ZN7rocprim17ROCPRIM_400000_NS6detail44device_merge_sort_compile_time_verifier_archINS1_11comp_targetILNS1_3genE2ELNS1_11target_archE906ELNS1_3gpuE6ELNS1_3repE0EEES8_NS1_28merge_sort_block_sort_configILj256ELj4ELNS0_20block_sort_algorithmE0EEENS0_14default_configENS1_37merge_sort_block_sort_config_selectorIhNS0_10empty_typeEEENS1_38merge_sort_block_merge_config_selectorIhSE_EEEEvv.num_agpr, 0
	.set _ZN7rocprim17ROCPRIM_400000_NS6detail44device_merge_sort_compile_time_verifier_archINS1_11comp_targetILNS1_3genE2ELNS1_11target_archE906ELNS1_3gpuE6ELNS1_3repE0EEES8_NS1_28merge_sort_block_sort_configILj256ELj4ELNS0_20block_sort_algorithmE0EEENS0_14default_configENS1_37merge_sort_block_sort_config_selectorIhNS0_10empty_typeEEENS1_38merge_sort_block_merge_config_selectorIhSE_EEEEvv.numbered_sgpr, 0
	.set _ZN7rocprim17ROCPRIM_400000_NS6detail44device_merge_sort_compile_time_verifier_archINS1_11comp_targetILNS1_3genE2ELNS1_11target_archE906ELNS1_3gpuE6ELNS1_3repE0EEES8_NS1_28merge_sort_block_sort_configILj256ELj4ELNS0_20block_sort_algorithmE0EEENS0_14default_configENS1_37merge_sort_block_sort_config_selectorIhNS0_10empty_typeEEENS1_38merge_sort_block_merge_config_selectorIhSE_EEEEvv.num_named_barrier, 0
	.set _ZN7rocprim17ROCPRIM_400000_NS6detail44device_merge_sort_compile_time_verifier_archINS1_11comp_targetILNS1_3genE2ELNS1_11target_archE906ELNS1_3gpuE6ELNS1_3repE0EEES8_NS1_28merge_sort_block_sort_configILj256ELj4ELNS0_20block_sort_algorithmE0EEENS0_14default_configENS1_37merge_sort_block_sort_config_selectorIhNS0_10empty_typeEEENS1_38merge_sort_block_merge_config_selectorIhSE_EEEEvv.private_seg_size, 0
	.set _ZN7rocprim17ROCPRIM_400000_NS6detail44device_merge_sort_compile_time_verifier_archINS1_11comp_targetILNS1_3genE2ELNS1_11target_archE906ELNS1_3gpuE6ELNS1_3repE0EEES8_NS1_28merge_sort_block_sort_configILj256ELj4ELNS0_20block_sort_algorithmE0EEENS0_14default_configENS1_37merge_sort_block_sort_config_selectorIhNS0_10empty_typeEEENS1_38merge_sort_block_merge_config_selectorIhSE_EEEEvv.uses_vcc, 0
	.set _ZN7rocprim17ROCPRIM_400000_NS6detail44device_merge_sort_compile_time_verifier_archINS1_11comp_targetILNS1_3genE2ELNS1_11target_archE906ELNS1_3gpuE6ELNS1_3repE0EEES8_NS1_28merge_sort_block_sort_configILj256ELj4ELNS0_20block_sort_algorithmE0EEENS0_14default_configENS1_37merge_sort_block_sort_config_selectorIhNS0_10empty_typeEEENS1_38merge_sort_block_merge_config_selectorIhSE_EEEEvv.uses_flat_scratch, 0
	.set _ZN7rocprim17ROCPRIM_400000_NS6detail44device_merge_sort_compile_time_verifier_archINS1_11comp_targetILNS1_3genE2ELNS1_11target_archE906ELNS1_3gpuE6ELNS1_3repE0EEES8_NS1_28merge_sort_block_sort_configILj256ELj4ELNS0_20block_sort_algorithmE0EEENS0_14default_configENS1_37merge_sort_block_sort_config_selectorIhNS0_10empty_typeEEENS1_38merge_sort_block_merge_config_selectorIhSE_EEEEvv.has_dyn_sized_stack, 0
	.set _ZN7rocprim17ROCPRIM_400000_NS6detail44device_merge_sort_compile_time_verifier_archINS1_11comp_targetILNS1_3genE2ELNS1_11target_archE906ELNS1_3gpuE6ELNS1_3repE0EEES8_NS1_28merge_sort_block_sort_configILj256ELj4ELNS0_20block_sort_algorithmE0EEENS0_14default_configENS1_37merge_sort_block_sort_config_selectorIhNS0_10empty_typeEEENS1_38merge_sort_block_merge_config_selectorIhSE_EEEEvv.has_recursion, 0
	.set _ZN7rocprim17ROCPRIM_400000_NS6detail44device_merge_sort_compile_time_verifier_archINS1_11comp_targetILNS1_3genE2ELNS1_11target_archE906ELNS1_3gpuE6ELNS1_3repE0EEES8_NS1_28merge_sort_block_sort_configILj256ELj4ELNS0_20block_sort_algorithmE0EEENS0_14default_configENS1_37merge_sort_block_sort_config_selectorIhNS0_10empty_typeEEENS1_38merge_sort_block_merge_config_selectorIhSE_EEEEvv.has_indirect_call, 0
	.section	.AMDGPU.csdata,"",@progbits
; Kernel info:
; codeLenInByte = 4
; TotalNumSgprs: 0
; NumVgprs: 0
; ScratchSize: 0
; MemoryBound: 0
; FloatMode: 240
; IeeeMode: 1
; LDSByteSize: 0 bytes/workgroup (compile time only)
; SGPRBlocks: 0
; VGPRBlocks: 0
; NumSGPRsForWavesPerEU: 1
; NumVGPRsForWavesPerEU: 1
; NamedBarCnt: 0
; Occupancy: 16
; WaveLimiterHint : 0
; COMPUTE_PGM_RSRC2:SCRATCH_EN: 0
; COMPUTE_PGM_RSRC2:USER_SGPR: 0
; COMPUTE_PGM_RSRC2:TRAP_HANDLER: 0
; COMPUTE_PGM_RSRC2:TGID_X_EN: 1
; COMPUTE_PGM_RSRC2:TGID_Y_EN: 0
; COMPUTE_PGM_RSRC2:TGID_Z_EN: 0
; COMPUTE_PGM_RSRC2:TIDIG_COMP_CNT: 0
	.section	.text._ZN7rocprim17ROCPRIM_400000_NS6detail44device_merge_sort_compile_time_verifier_archINS1_11comp_targetILNS1_3genE10ELNS1_11target_archE1201ELNS1_3gpuE5ELNS1_3repE0EEES8_NS1_28merge_sort_block_sort_configILj256ELj4ELNS0_20block_sort_algorithmE0EEENS0_14default_configENS1_37merge_sort_block_sort_config_selectorIhNS0_10empty_typeEEENS1_38merge_sort_block_merge_config_selectorIhSE_EEEEvv,"axG",@progbits,_ZN7rocprim17ROCPRIM_400000_NS6detail44device_merge_sort_compile_time_verifier_archINS1_11comp_targetILNS1_3genE10ELNS1_11target_archE1201ELNS1_3gpuE5ELNS1_3repE0EEES8_NS1_28merge_sort_block_sort_configILj256ELj4ELNS0_20block_sort_algorithmE0EEENS0_14default_configENS1_37merge_sort_block_sort_config_selectorIhNS0_10empty_typeEEENS1_38merge_sort_block_merge_config_selectorIhSE_EEEEvv,comdat
	.protected	_ZN7rocprim17ROCPRIM_400000_NS6detail44device_merge_sort_compile_time_verifier_archINS1_11comp_targetILNS1_3genE10ELNS1_11target_archE1201ELNS1_3gpuE5ELNS1_3repE0EEES8_NS1_28merge_sort_block_sort_configILj256ELj4ELNS0_20block_sort_algorithmE0EEENS0_14default_configENS1_37merge_sort_block_sort_config_selectorIhNS0_10empty_typeEEENS1_38merge_sort_block_merge_config_selectorIhSE_EEEEvv ; -- Begin function _ZN7rocprim17ROCPRIM_400000_NS6detail44device_merge_sort_compile_time_verifier_archINS1_11comp_targetILNS1_3genE10ELNS1_11target_archE1201ELNS1_3gpuE5ELNS1_3repE0EEES8_NS1_28merge_sort_block_sort_configILj256ELj4ELNS0_20block_sort_algorithmE0EEENS0_14default_configENS1_37merge_sort_block_sort_config_selectorIhNS0_10empty_typeEEENS1_38merge_sort_block_merge_config_selectorIhSE_EEEEvv
	.globl	_ZN7rocprim17ROCPRIM_400000_NS6detail44device_merge_sort_compile_time_verifier_archINS1_11comp_targetILNS1_3genE10ELNS1_11target_archE1201ELNS1_3gpuE5ELNS1_3repE0EEES8_NS1_28merge_sort_block_sort_configILj256ELj4ELNS0_20block_sort_algorithmE0EEENS0_14default_configENS1_37merge_sort_block_sort_config_selectorIhNS0_10empty_typeEEENS1_38merge_sort_block_merge_config_selectorIhSE_EEEEvv
	.p2align	8
	.type	_ZN7rocprim17ROCPRIM_400000_NS6detail44device_merge_sort_compile_time_verifier_archINS1_11comp_targetILNS1_3genE10ELNS1_11target_archE1201ELNS1_3gpuE5ELNS1_3repE0EEES8_NS1_28merge_sort_block_sort_configILj256ELj4ELNS0_20block_sort_algorithmE0EEENS0_14default_configENS1_37merge_sort_block_sort_config_selectorIhNS0_10empty_typeEEENS1_38merge_sort_block_merge_config_selectorIhSE_EEEEvv,@function
_ZN7rocprim17ROCPRIM_400000_NS6detail44device_merge_sort_compile_time_verifier_archINS1_11comp_targetILNS1_3genE10ELNS1_11target_archE1201ELNS1_3gpuE5ELNS1_3repE0EEES8_NS1_28merge_sort_block_sort_configILj256ELj4ELNS0_20block_sort_algorithmE0EEENS0_14default_configENS1_37merge_sort_block_sort_config_selectorIhNS0_10empty_typeEEENS1_38merge_sort_block_merge_config_selectorIhSE_EEEEvv: ; @_ZN7rocprim17ROCPRIM_400000_NS6detail44device_merge_sort_compile_time_verifier_archINS1_11comp_targetILNS1_3genE10ELNS1_11target_archE1201ELNS1_3gpuE5ELNS1_3repE0EEES8_NS1_28merge_sort_block_sort_configILj256ELj4ELNS0_20block_sort_algorithmE0EEENS0_14default_configENS1_37merge_sort_block_sort_config_selectorIhNS0_10empty_typeEEENS1_38merge_sort_block_merge_config_selectorIhSE_EEEEvv
; %bb.0:
	s_endpgm
	.section	.rodata,"a",@progbits
	.p2align	6, 0x0
	.amdhsa_kernel _ZN7rocprim17ROCPRIM_400000_NS6detail44device_merge_sort_compile_time_verifier_archINS1_11comp_targetILNS1_3genE10ELNS1_11target_archE1201ELNS1_3gpuE5ELNS1_3repE0EEES8_NS1_28merge_sort_block_sort_configILj256ELj4ELNS0_20block_sort_algorithmE0EEENS0_14default_configENS1_37merge_sort_block_sort_config_selectorIhNS0_10empty_typeEEENS1_38merge_sort_block_merge_config_selectorIhSE_EEEEvv
		.amdhsa_group_segment_fixed_size 0
		.amdhsa_private_segment_fixed_size 0
		.amdhsa_kernarg_size 0
		.amdhsa_user_sgpr_count 0
		.amdhsa_user_sgpr_dispatch_ptr 0
		.amdhsa_user_sgpr_queue_ptr 0
		.amdhsa_user_sgpr_kernarg_segment_ptr 0
		.amdhsa_user_sgpr_dispatch_id 0
		.amdhsa_user_sgpr_kernarg_preload_length 0
		.amdhsa_user_sgpr_kernarg_preload_offset 0
		.amdhsa_user_sgpr_private_segment_size 0
		.amdhsa_wavefront_size32 1
		.amdhsa_uses_dynamic_stack 0
		.amdhsa_enable_private_segment 0
		.amdhsa_system_sgpr_workgroup_id_x 1
		.amdhsa_system_sgpr_workgroup_id_y 0
		.amdhsa_system_sgpr_workgroup_id_z 0
		.amdhsa_system_sgpr_workgroup_info 0
		.amdhsa_system_vgpr_workitem_id 0
		.amdhsa_next_free_vgpr 1
		.amdhsa_next_free_sgpr 1
		.amdhsa_named_barrier_count 0
		.amdhsa_reserve_vcc 0
		.amdhsa_float_round_mode_32 0
		.amdhsa_float_round_mode_16_64 0
		.amdhsa_float_denorm_mode_32 3
		.amdhsa_float_denorm_mode_16_64 3
		.amdhsa_fp16_overflow 0
		.amdhsa_memory_ordered 1
		.amdhsa_forward_progress 1
		.amdhsa_inst_pref_size 1
		.amdhsa_round_robin_scheduling 0
		.amdhsa_exception_fp_ieee_invalid_op 0
		.amdhsa_exception_fp_denorm_src 0
		.amdhsa_exception_fp_ieee_div_zero 0
		.amdhsa_exception_fp_ieee_overflow 0
		.amdhsa_exception_fp_ieee_underflow 0
		.amdhsa_exception_fp_ieee_inexact 0
		.amdhsa_exception_int_div_zero 0
	.end_amdhsa_kernel
	.section	.text._ZN7rocprim17ROCPRIM_400000_NS6detail44device_merge_sort_compile_time_verifier_archINS1_11comp_targetILNS1_3genE10ELNS1_11target_archE1201ELNS1_3gpuE5ELNS1_3repE0EEES8_NS1_28merge_sort_block_sort_configILj256ELj4ELNS0_20block_sort_algorithmE0EEENS0_14default_configENS1_37merge_sort_block_sort_config_selectorIhNS0_10empty_typeEEENS1_38merge_sort_block_merge_config_selectorIhSE_EEEEvv,"axG",@progbits,_ZN7rocprim17ROCPRIM_400000_NS6detail44device_merge_sort_compile_time_verifier_archINS1_11comp_targetILNS1_3genE10ELNS1_11target_archE1201ELNS1_3gpuE5ELNS1_3repE0EEES8_NS1_28merge_sort_block_sort_configILj256ELj4ELNS0_20block_sort_algorithmE0EEENS0_14default_configENS1_37merge_sort_block_sort_config_selectorIhNS0_10empty_typeEEENS1_38merge_sort_block_merge_config_selectorIhSE_EEEEvv,comdat
.Lfunc_end14:
	.size	_ZN7rocprim17ROCPRIM_400000_NS6detail44device_merge_sort_compile_time_verifier_archINS1_11comp_targetILNS1_3genE10ELNS1_11target_archE1201ELNS1_3gpuE5ELNS1_3repE0EEES8_NS1_28merge_sort_block_sort_configILj256ELj4ELNS0_20block_sort_algorithmE0EEENS0_14default_configENS1_37merge_sort_block_sort_config_selectorIhNS0_10empty_typeEEENS1_38merge_sort_block_merge_config_selectorIhSE_EEEEvv, .Lfunc_end14-_ZN7rocprim17ROCPRIM_400000_NS6detail44device_merge_sort_compile_time_verifier_archINS1_11comp_targetILNS1_3genE10ELNS1_11target_archE1201ELNS1_3gpuE5ELNS1_3repE0EEES8_NS1_28merge_sort_block_sort_configILj256ELj4ELNS0_20block_sort_algorithmE0EEENS0_14default_configENS1_37merge_sort_block_sort_config_selectorIhNS0_10empty_typeEEENS1_38merge_sort_block_merge_config_selectorIhSE_EEEEvv
                                        ; -- End function
	.set _ZN7rocprim17ROCPRIM_400000_NS6detail44device_merge_sort_compile_time_verifier_archINS1_11comp_targetILNS1_3genE10ELNS1_11target_archE1201ELNS1_3gpuE5ELNS1_3repE0EEES8_NS1_28merge_sort_block_sort_configILj256ELj4ELNS0_20block_sort_algorithmE0EEENS0_14default_configENS1_37merge_sort_block_sort_config_selectorIhNS0_10empty_typeEEENS1_38merge_sort_block_merge_config_selectorIhSE_EEEEvv.num_vgpr, 0
	.set _ZN7rocprim17ROCPRIM_400000_NS6detail44device_merge_sort_compile_time_verifier_archINS1_11comp_targetILNS1_3genE10ELNS1_11target_archE1201ELNS1_3gpuE5ELNS1_3repE0EEES8_NS1_28merge_sort_block_sort_configILj256ELj4ELNS0_20block_sort_algorithmE0EEENS0_14default_configENS1_37merge_sort_block_sort_config_selectorIhNS0_10empty_typeEEENS1_38merge_sort_block_merge_config_selectorIhSE_EEEEvv.num_agpr, 0
	.set _ZN7rocprim17ROCPRIM_400000_NS6detail44device_merge_sort_compile_time_verifier_archINS1_11comp_targetILNS1_3genE10ELNS1_11target_archE1201ELNS1_3gpuE5ELNS1_3repE0EEES8_NS1_28merge_sort_block_sort_configILj256ELj4ELNS0_20block_sort_algorithmE0EEENS0_14default_configENS1_37merge_sort_block_sort_config_selectorIhNS0_10empty_typeEEENS1_38merge_sort_block_merge_config_selectorIhSE_EEEEvv.numbered_sgpr, 0
	.set _ZN7rocprim17ROCPRIM_400000_NS6detail44device_merge_sort_compile_time_verifier_archINS1_11comp_targetILNS1_3genE10ELNS1_11target_archE1201ELNS1_3gpuE5ELNS1_3repE0EEES8_NS1_28merge_sort_block_sort_configILj256ELj4ELNS0_20block_sort_algorithmE0EEENS0_14default_configENS1_37merge_sort_block_sort_config_selectorIhNS0_10empty_typeEEENS1_38merge_sort_block_merge_config_selectorIhSE_EEEEvv.num_named_barrier, 0
	.set _ZN7rocprim17ROCPRIM_400000_NS6detail44device_merge_sort_compile_time_verifier_archINS1_11comp_targetILNS1_3genE10ELNS1_11target_archE1201ELNS1_3gpuE5ELNS1_3repE0EEES8_NS1_28merge_sort_block_sort_configILj256ELj4ELNS0_20block_sort_algorithmE0EEENS0_14default_configENS1_37merge_sort_block_sort_config_selectorIhNS0_10empty_typeEEENS1_38merge_sort_block_merge_config_selectorIhSE_EEEEvv.private_seg_size, 0
	.set _ZN7rocprim17ROCPRIM_400000_NS6detail44device_merge_sort_compile_time_verifier_archINS1_11comp_targetILNS1_3genE10ELNS1_11target_archE1201ELNS1_3gpuE5ELNS1_3repE0EEES8_NS1_28merge_sort_block_sort_configILj256ELj4ELNS0_20block_sort_algorithmE0EEENS0_14default_configENS1_37merge_sort_block_sort_config_selectorIhNS0_10empty_typeEEENS1_38merge_sort_block_merge_config_selectorIhSE_EEEEvv.uses_vcc, 0
	.set _ZN7rocprim17ROCPRIM_400000_NS6detail44device_merge_sort_compile_time_verifier_archINS1_11comp_targetILNS1_3genE10ELNS1_11target_archE1201ELNS1_3gpuE5ELNS1_3repE0EEES8_NS1_28merge_sort_block_sort_configILj256ELj4ELNS0_20block_sort_algorithmE0EEENS0_14default_configENS1_37merge_sort_block_sort_config_selectorIhNS0_10empty_typeEEENS1_38merge_sort_block_merge_config_selectorIhSE_EEEEvv.uses_flat_scratch, 0
	.set _ZN7rocprim17ROCPRIM_400000_NS6detail44device_merge_sort_compile_time_verifier_archINS1_11comp_targetILNS1_3genE10ELNS1_11target_archE1201ELNS1_3gpuE5ELNS1_3repE0EEES8_NS1_28merge_sort_block_sort_configILj256ELj4ELNS0_20block_sort_algorithmE0EEENS0_14default_configENS1_37merge_sort_block_sort_config_selectorIhNS0_10empty_typeEEENS1_38merge_sort_block_merge_config_selectorIhSE_EEEEvv.has_dyn_sized_stack, 0
	.set _ZN7rocprim17ROCPRIM_400000_NS6detail44device_merge_sort_compile_time_verifier_archINS1_11comp_targetILNS1_3genE10ELNS1_11target_archE1201ELNS1_3gpuE5ELNS1_3repE0EEES8_NS1_28merge_sort_block_sort_configILj256ELj4ELNS0_20block_sort_algorithmE0EEENS0_14default_configENS1_37merge_sort_block_sort_config_selectorIhNS0_10empty_typeEEENS1_38merge_sort_block_merge_config_selectorIhSE_EEEEvv.has_recursion, 0
	.set _ZN7rocprim17ROCPRIM_400000_NS6detail44device_merge_sort_compile_time_verifier_archINS1_11comp_targetILNS1_3genE10ELNS1_11target_archE1201ELNS1_3gpuE5ELNS1_3repE0EEES8_NS1_28merge_sort_block_sort_configILj256ELj4ELNS0_20block_sort_algorithmE0EEENS0_14default_configENS1_37merge_sort_block_sort_config_selectorIhNS0_10empty_typeEEENS1_38merge_sort_block_merge_config_selectorIhSE_EEEEvv.has_indirect_call, 0
	.section	.AMDGPU.csdata,"",@progbits
; Kernel info:
; codeLenInByte = 4
; TotalNumSgprs: 0
; NumVgprs: 0
; ScratchSize: 0
; MemoryBound: 0
; FloatMode: 240
; IeeeMode: 1
; LDSByteSize: 0 bytes/workgroup (compile time only)
; SGPRBlocks: 0
; VGPRBlocks: 0
; NumSGPRsForWavesPerEU: 1
; NumVGPRsForWavesPerEU: 1
; NamedBarCnt: 0
; Occupancy: 16
; WaveLimiterHint : 0
; COMPUTE_PGM_RSRC2:SCRATCH_EN: 0
; COMPUTE_PGM_RSRC2:USER_SGPR: 0
; COMPUTE_PGM_RSRC2:TRAP_HANDLER: 0
; COMPUTE_PGM_RSRC2:TGID_X_EN: 1
; COMPUTE_PGM_RSRC2:TGID_Y_EN: 0
; COMPUTE_PGM_RSRC2:TGID_Z_EN: 0
; COMPUTE_PGM_RSRC2:TIDIG_COMP_CNT: 0
	.section	.text._ZN7rocprim17ROCPRIM_400000_NS6detail44device_merge_sort_compile_time_verifier_archINS1_11comp_targetILNS1_3genE10ELNS1_11target_archE1200ELNS1_3gpuE4ELNS1_3repE0EEENS3_ILS4_10ELS5_1201ELS6_5ELS7_0EEENS1_28merge_sort_block_sort_configILj256ELj4ELNS0_20block_sort_algorithmE0EEENS0_14default_configENS1_37merge_sort_block_sort_config_selectorIhNS0_10empty_typeEEENS1_38merge_sort_block_merge_config_selectorIhSF_EEEEvv,"axG",@progbits,_ZN7rocprim17ROCPRIM_400000_NS6detail44device_merge_sort_compile_time_verifier_archINS1_11comp_targetILNS1_3genE10ELNS1_11target_archE1200ELNS1_3gpuE4ELNS1_3repE0EEENS3_ILS4_10ELS5_1201ELS6_5ELS7_0EEENS1_28merge_sort_block_sort_configILj256ELj4ELNS0_20block_sort_algorithmE0EEENS0_14default_configENS1_37merge_sort_block_sort_config_selectorIhNS0_10empty_typeEEENS1_38merge_sort_block_merge_config_selectorIhSF_EEEEvv,comdat
	.protected	_ZN7rocprim17ROCPRIM_400000_NS6detail44device_merge_sort_compile_time_verifier_archINS1_11comp_targetILNS1_3genE10ELNS1_11target_archE1200ELNS1_3gpuE4ELNS1_3repE0EEENS3_ILS4_10ELS5_1201ELS6_5ELS7_0EEENS1_28merge_sort_block_sort_configILj256ELj4ELNS0_20block_sort_algorithmE0EEENS0_14default_configENS1_37merge_sort_block_sort_config_selectorIhNS0_10empty_typeEEENS1_38merge_sort_block_merge_config_selectorIhSF_EEEEvv ; -- Begin function _ZN7rocprim17ROCPRIM_400000_NS6detail44device_merge_sort_compile_time_verifier_archINS1_11comp_targetILNS1_3genE10ELNS1_11target_archE1200ELNS1_3gpuE4ELNS1_3repE0EEENS3_ILS4_10ELS5_1201ELS6_5ELS7_0EEENS1_28merge_sort_block_sort_configILj256ELj4ELNS0_20block_sort_algorithmE0EEENS0_14default_configENS1_37merge_sort_block_sort_config_selectorIhNS0_10empty_typeEEENS1_38merge_sort_block_merge_config_selectorIhSF_EEEEvv
	.globl	_ZN7rocprim17ROCPRIM_400000_NS6detail44device_merge_sort_compile_time_verifier_archINS1_11comp_targetILNS1_3genE10ELNS1_11target_archE1200ELNS1_3gpuE4ELNS1_3repE0EEENS3_ILS4_10ELS5_1201ELS6_5ELS7_0EEENS1_28merge_sort_block_sort_configILj256ELj4ELNS0_20block_sort_algorithmE0EEENS0_14default_configENS1_37merge_sort_block_sort_config_selectorIhNS0_10empty_typeEEENS1_38merge_sort_block_merge_config_selectorIhSF_EEEEvv
	.p2align	8
	.type	_ZN7rocprim17ROCPRIM_400000_NS6detail44device_merge_sort_compile_time_verifier_archINS1_11comp_targetILNS1_3genE10ELNS1_11target_archE1200ELNS1_3gpuE4ELNS1_3repE0EEENS3_ILS4_10ELS5_1201ELS6_5ELS7_0EEENS1_28merge_sort_block_sort_configILj256ELj4ELNS0_20block_sort_algorithmE0EEENS0_14default_configENS1_37merge_sort_block_sort_config_selectorIhNS0_10empty_typeEEENS1_38merge_sort_block_merge_config_selectorIhSF_EEEEvv,@function
_ZN7rocprim17ROCPRIM_400000_NS6detail44device_merge_sort_compile_time_verifier_archINS1_11comp_targetILNS1_3genE10ELNS1_11target_archE1200ELNS1_3gpuE4ELNS1_3repE0EEENS3_ILS4_10ELS5_1201ELS6_5ELS7_0EEENS1_28merge_sort_block_sort_configILj256ELj4ELNS0_20block_sort_algorithmE0EEENS0_14default_configENS1_37merge_sort_block_sort_config_selectorIhNS0_10empty_typeEEENS1_38merge_sort_block_merge_config_selectorIhSF_EEEEvv: ; @_ZN7rocprim17ROCPRIM_400000_NS6detail44device_merge_sort_compile_time_verifier_archINS1_11comp_targetILNS1_3genE10ELNS1_11target_archE1200ELNS1_3gpuE4ELNS1_3repE0EEENS3_ILS4_10ELS5_1201ELS6_5ELS7_0EEENS1_28merge_sort_block_sort_configILj256ELj4ELNS0_20block_sort_algorithmE0EEENS0_14default_configENS1_37merge_sort_block_sort_config_selectorIhNS0_10empty_typeEEENS1_38merge_sort_block_merge_config_selectorIhSF_EEEEvv
; %bb.0:
	s_endpgm
	.section	.rodata,"a",@progbits
	.p2align	6, 0x0
	.amdhsa_kernel _ZN7rocprim17ROCPRIM_400000_NS6detail44device_merge_sort_compile_time_verifier_archINS1_11comp_targetILNS1_3genE10ELNS1_11target_archE1200ELNS1_3gpuE4ELNS1_3repE0EEENS3_ILS4_10ELS5_1201ELS6_5ELS7_0EEENS1_28merge_sort_block_sort_configILj256ELj4ELNS0_20block_sort_algorithmE0EEENS0_14default_configENS1_37merge_sort_block_sort_config_selectorIhNS0_10empty_typeEEENS1_38merge_sort_block_merge_config_selectorIhSF_EEEEvv
		.amdhsa_group_segment_fixed_size 0
		.amdhsa_private_segment_fixed_size 0
		.amdhsa_kernarg_size 0
		.amdhsa_user_sgpr_count 0
		.amdhsa_user_sgpr_dispatch_ptr 0
		.amdhsa_user_sgpr_queue_ptr 0
		.amdhsa_user_sgpr_kernarg_segment_ptr 0
		.amdhsa_user_sgpr_dispatch_id 0
		.amdhsa_user_sgpr_kernarg_preload_length 0
		.amdhsa_user_sgpr_kernarg_preload_offset 0
		.amdhsa_user_sgpr_private_segment_size 0
		.amdhsa_wavefront_size32 1
		.amdhsa_uses_dynamic_stack 0
		.amdhsa_enable_private_segment 0
		.amdhsa_system_sgpr_workgroup_id_x 1
		.amdhsa_system_sgpr_workgroup_id_y 0
		.amdhsa_system_sgpr_workgroup_id_z 0
		.amdhsa_system_sgpr_workgroup_info 0
		.amdhsa_system_vgpr_workitem_id 0
		.amdhsa_next_free_vgpr 1
		.amdhsa_next_free_sgpr 1
		.amdhsa_named_barrier_count 0
		.amdhsa_reserve_vcc 0
		.amdhsa_float_round_mode_32 0
		.amdhsa_float_round_mode_16_64 0
		.amdhsa_float_denorm_mode_32 3
		.amdhsa_float_denorm_mode_16_64 3
		.amdhsa_fp16_overflow 0
		.amdhsa_memory_ordered 1
		.amdhsa_forward_progress 1
		.amdhsa_inst_pref_size 1
		.amdhsa_round_robin_scheduling 0
		.amdhsa_exception_fp_ieee_invalid_op 0
		.amdhsa_exception_fp_denorm_src 0
		.amdhsa_exception_fp_ieee_div_zero 0
		.amdhsa_exception_fp_ieee_overflow 0
		.amdhsa_exception_fp_ieee_underflow 0
		.amdhsa_exception_fp_ieee_inexact 0
		.amdhsa_exception_int_div_zero 0
	.end_amdhsa_kernel
	.section	.text._ZN7rocprim17ROCPRIM_400000_NS6detail44device_merge_sort_compile_time_verifier_archINS1_11comp_targetILNS1_3genE10ELNS1_11target_archE1200ELNS1_3gpuE4ELNS1_3repE0EEENS3_ILS4_10ELS5_1201ELS6_5ELS7_0EEENS1_28merge_sort_block_sort_configILj256ELj4ELNS0_20block_sort_algorithmE0EEENS0_14default_configENS1_37merge_sort_block_sort_config_selectorIhNS0_10empty_typeEEENS1_38merge_sort_block_merge_config_selectorIhSF_EEEEvv,"axG",@progbits,_ZN7rocprim17ROCPRIM_400000_NS6detail44device_merge_sort_compile_time_verifier_archINS1_11comp_targetILNS1_3genE10ELNS1_11target_archE1200ELNS1_3gpuE4ELNS1_3repE0EEENS3_ILS4_10ELS5_1201ELS6_5ELS7_0EEENS1_28merge_sort_block_sort_configILj256ELj4ELNS0_20block_sort_algorithmE0EEENS0_14default_configENS1_37merge_sort_block_sort_config_selectorIhNS0_10empty_typeEEENS1_38merge_sort_block_merge_config_selectorIhSF_EEEEvv,comdat
.Lfunc_end15:
	.size	_ZN7rocprim17ROCPRIM_400000_NS6detail44device_merge_sort_compile_time_verifier_archINS1_11comp_targetILNS1_3genE10ELNS1_11target_archE1200ELNS1_3gpuE4ELNS1_3repE0EEENS3_ILS4_10ELS5_1201ELS6_5ELS7_0EEENS1_28merge_sort_block_sort_configILj256ELj4ELNS0_20block_sort_algorithmE0EEENS0_14default_configENS1_37merge_sort_block_sort_config_selectorIhNS0_10empty_typeEEENS1_38merge_sort_block_merge_config_selectorIhSF_EEEEvv, .Lfunc_end15-_ZN7rocprim17ROCPRIM_400000_NS6detail44device_merge_sort_compile_time_verifier_archINS1_11comp_targetILNS1_3genE10ELNS1_11target_archE1200ELNS1_3gpuE4ELNS1_3repE0EEENS3_ILS4_10ELS5_1201ELS6_5ELS7_0EEENS1_28merge_sort_block_sort_configILj256ELj4ELNS0_20block_sort_algorithmE0EEENS0_14default_configENS1_37merge_sort_block_sort_config_selectorIhNS0_10empty_typeEEENS1_38merge_sort_block_merge_config_selectorIhSF_EEEEvv
                                        ; -- End function
	.set _ZN7rocprim17ROCPRIM_400000_NS6detail44device_merge_sort_compile_time_verifier_archINS1_11comp_targetILNS1_3genE10ELNS1_11target_archE1200ELNS1_3gpuE4ELNS1_3repE0EEENS3_ILS4_10ELS5_1201ELS6_5ELS7_0EEENS1_28merge_sort_block_sort_configILj256ELj4ELNS0_20block_sort_algorithmE0EEENS0_14default_configENS1_37merge_sort_block_sort_config_selectorIhNS0_10empty_typeEEENS1_38merge_sort_block_merge_config_selectorIhSF_EEEEvv.num_vgpr, 0
	.set _ZN7rocprim17ROCPRIM_400000_NS6detail44device_merge_sort_compile_time_verifier_archINS1_11comp_targetILNS1_3genE10ELNS1_11target_archE1200ELNS1_3gpuE4ELNS1_3repE0EEENS3_ILS4_10ELS5_1201ELS6_5ELS7_0EEENS1_28merge_sort_block_sort_configILj256ELj4ELNS0_20block_sort_algorithmE0EEENS0_14default_configENS1_37merge_sort_block_sort_config_selectorIhNS0_10empty_typeEEENS1_38merge_sort_block_merge_config_selectorIhSF_EEEEvv.num_agpr, 0
	.set _ZN7rocprim17ROCPRIM_400000_NS6detail44device_merge_sort_compile_time_verifier_archINS1_11comp_targetILNS1_3genE10ELNS1_11target_archE1200ELNS1_3gpuE4ELNS1_3repE0EEENS3_ILS4_10ELS5_1201ELS6_5ELS7_0EEENS1_28merge_sort_block_sort_configILj256ELj4ELNS0_20block_sort_algorithmE0EEENS0_14default_configENS1_37merge_sort_block_sort_config_selectorIhNS0_10empty_typeEEENS1_38merge_sort_block_merge_config_selectorIhSF_EEEEvv.numbered_sgpr, 0
	.set _ZN7rocprim17ROCPRIM_400000_NS6detail44device_merge_sort_compile_time_verifier_archINS1_11comp_targetILNS1_3genE10ELNS1_11target_archE1200ELNS1_3gpuE4ELNS1_3repE0EEENS3_ILS4_10ELS5_1201ELS6_5ELS7_0EEENS1_28merge_sort_block_sort_configILj256ELj4ELNS0_20block_sort_algorithmE0EEENS0_14default_configENS1_37merge_sort_block_sort_config_selectorIhNS0_10empty_typeEEENS1_38merge_sort_block_merge_config_selectorIhSF_EEEEvv.num_named_barrier, 0
	.set _ZN7rocprim17ROCPRIM_400000_NS6detail44device_merge_sort_compile_time_verifier_archINS1_11comp_targetILNS1_3genE10ELNS1_11target_archE1200ELNS1_3gpuE4ELNS1_3repE0EEENS3_ILS4_10ELS5_1201ELS6_5ELS7_0EEENS1_28merge_sort_block_sort_configILj256ELj4ELNS0_20block_sort_algorithmE0EEENS0_14default_configENS1_37merge_sort_block_sort_config_selectorIhNS0_10empty_typeEEENS1_38merge_sort_block_merge_config_selectorIhSF_EEEEvv.private_seg_size, 0
	.set _ZN7rocprim17ROCPRIM_400000_NS6detail44device_merge_sort_compile_time_verifier_archINS1_11comp_targetILNS1_3genE10ELNS1_11target_archE1200ELNS1_3gpuE4ELNS1_3repE0EEENS3_ILS4_10ELS5_1201ELS6_5ELS7_0EEENS1_28merge_sort_block_sort_configILj256ELj4ELNS0_20block_sort_algorithmE0EEENS0_14default_configENS1_37merge_sort_block_sort_config_selectorIhNS0_10empty_typeEEENS1_38merge_sort_block_merge_config_selectorIhSF_EEEEvv.uses_vcc, 0
	.set _ZN7rocprim17ROCPRIM_400000_NS6detail44device_merge_sort_compile_time_verifier_archINS1_11comp_targetILNS1_3genE10ELNS1_11target_archE1200ELNS1_3gpuE4ELNS1_3repE0EEENS3_ILS4_10ELS5_1201ELS6_5ELS7_0EEENS1_28merge_sort_block_sort_configILj256ELj4ELNS0_20block_sort_algorithmE0EEENS0_14default_configENS1_37merge_sort_block_sort_config_selectorIhNS0_10empty_typeEEENS1_38merge_sort_block_merge_config_selectorIhSF_EEEEvv.uses_flat_scratch, 0
	.set _ZN7rocprim17ROCPRIM_400000_NS6detail44device_merge_sort_compile_time_verifier_archINS1_11comp_targetILNS1_3genE10ELNS1_11target_archE1200ELNS1_3gpuE4ELNS1_3repE0EEENS3_ILS4_10ELS5_1201ELS6_5ELS7_0EEENS1_28merge_sort_block_sort_configILj256ELj4ELNS0_20block_sort_algorithmE0EEENS0_14default_configENS1_37merge_sort_block_sort_config_selectorIhNS0_10empty_typeEEENS1_38merge_sort_block_merge_config_selectorIhSF_EEEEvv.has_dyn_sized_stack, 0
	.set _ZN7rocprim17ROCPRIM_400000_NS6detail44device_merge_sort_compile_time_verifier_archINS1_11comp_targetILNS1_3genE10ELNS1_11target_archE1200ELNS1_3gpuE4ELNS1_3repE0EEENS3_ILS4_10ELS5_1201ELS6_5ELS7_0EEENS1_28merge_sort_block_sort_configILj256ELj4ELNS0_20block_sort_algorithmE0EEENS0_14default_configENS1_37merge_sort_block_sort_config_selectorIhNS0_10empty_typeEEENS1_38merge_sort_block_merge_config_selectorIhSF_EEEEvv.has_recursion, 0
	.set _ZN7rocprim17ROCPRIM_400000_NS6detail44device_merge_sort_compile_time_verifier_archINS1_11comp_targetILNS1_3genE10ELNS1_11target_archE1200ELNS1_3gpuE4ELNS1_3repE0EEENS3_ILS4_10ELS5_1201ELS6_5ELS7_0EEENS1_28merge_sort_block_sort_configILj256ELj4ELNS0_20block_sort_algorithmE0EEENS0_14default_configENS1_37merge_sort_block_sort_config_selectorIhNS0_10empty_typeEEENS1_38merge_sort_block_merge_config_selectorIhSF_EEEEvv.has_indirect_call, 0
	.section	.AMDGPU.csdata,"",@progbits
; Kernel info:
; codeLenInByte = 4
; TotalNumSgprs: 0
; NumVgprs: 0
; ScratchSize: 0
; MemoryBound: 0
; FloatMode: 240
; IeeeMode: 1
; LDSByteSize: 0 bytes/workgroup (compile time only)
; SGPRBlocks: 0
; VGPRBlocks: 0
; NumSGPRsForWavesPerEU: 1
; NumVGPRsForWavesPerEU: 1
; NamedBarCnt: 0
; Occupancy: 16
; WaveLimiterHint : 0
; COMPUTE_PGM_RSRC2:SCRATCH_EN: 0
; COMPUTE_PGM_RSRC2:USER_SGPR: 0
; COMPUTE_PGM_RSRC2:TRAP_HANDLER: 0
; COMPUTE_PGM_RSRC2:TGID_X_EN: 1
; COMPUTE_PGM_RSRC2:TGID_Y_EN: 0
; COMPUTE_PGM_RSRC2:TGID_Z_EN: 0
; COMPUTE_PGM_RSRC2:TIDIG_COMP_CNT: 0
	.section	.text._ZN7rocprim17ROCPRIM_400000_NS6detail44device_merge_sort_compile_time_verifier_archINS1_11comp_targetILNS1_3genE9ELNS1_11target_archE1100ELNS1_3gpuE3ELNS1_3repE0EEES8_NS1_28merge_sort_block_sort_configILj256ELj4ELNS0_20block_sort_algorithmE0EEENS0_14default_configENS1_37merge_sort_block_sort_config_selectorIhNS0_10empty_typeEEENS1_38merge_sort_block_merge_config_selectorIhSE_EEEEvv,"axG",@progbits,_ZN7rocprim17ROCPRIM_400000_NS6detail44device_merge_sort_compile_time_verifier_archINS1_11comp_targetILNS1_3genE9ELNS1_11target_archE1100ELNS1_3gpuE3ELNS1_3repE0EEES8_NS1_28merge_sort_block_sort_configILj256ELj4ELNS0_20block_sort_algorithmE0EEENS0_14default_configENS1_37merge_sort_block_sort_config_selectorIhNS0_10empty_typeEEENS1_38merge_sort_block_merge_config_selectorIhSE_EEEEvv,comdat
	.protected	_ZN7rocprim17ROCPRIM_400000_NS6detail44device_merge_sort_compile_time_verifier_archINS1_11comp_targetILNS1_3genE9ELNS1_11target_archE1100ELNS1_3gpuE3ELNS1_3repE0EEES8_NS1_28merge_sort_block_sort_configILj256ELj4ELNS0_20block_sort_algorithmE0EEENS0_14default_configENS1_37merge_sort_block_sort_config_selectorIhNS0_10empty_typeEEENS1_38merge_sort_block_merge_config_selectorIhSE_EEEEvv ; -- Begin function _ZN7rocprim17ROCPRIM_400000_NS6detail44device_merge_sort_compile_time_verifier_archINS1_11comp_targetILNS1_3genE9ELNS1_11target_archE1100ELNS1_3gpuE3ELNS1_3repE0EEES8_NS1_28merge_sort_block_sort_configILj256ELj4ELNS0_20block_sort_algorithmE0EEENS0_14default_configENS1_37merge_sort_block_sort_config_selectorIhNS0_10empty_typeEEENS1_38merge_sort_block_merge_config_selectorIhSE_EEEEvv
	.globl	_ZN7rocprim17ROCPRIM_400000_NS6detail44device_merge_sort_compile_time_verifier_archINS1_11comp_targetILNS1_3genE9ELNS1_11target_archE1100ELNS1_3gpuE3ELNS1_3repE0EEES8_NS1_28merge_sort_block_sort_configILj256ELj4ELNS0_20block_sort_algorithmE0EEENS0_14default_configENS1_37merge_sort_block_sort_config_selectorIhNS0_10empty_typeEEENS1_38merge_sort_block_merge_config_selectorIhSE_EEEEvv
	.p2align	8
	.type	_ZN7rocprim17ROCPRIM_400000_NS6detail44device_merge_sort_compile_time_verifier_archINS1_11comp_targetILNS1_3genE9ELNS1_11target_archE1100ELNS1_3gpuE3ELNS1_3repE0EEES8_NS1_28merge_sort_block_sort_configILj256ELj4ELNS0_20block_sort_algorithmE0EEENS0_14default_configENS1_37merge_sort_block_sort_config_selectorIhNS0_10empty_typeEEENS1_38merge_sort_block_merge_config_selectorIhSE_EEEEvv,@function
_ZN7rocprim17ROCPRIM_400000_NS6detail44device_merge_sort_compile_time_verifier_archINS1_11comp_targetILNS1_3genE9ELNS1_11target_archE1100ELNS1_3gpuE3ELNS1_3repE0EEES8_NS1_28merge_sort_block_sort_configILj256ELj4ELNS0_20block_sort_algorithmE0EEENS0_14default_configENS1_37merge_sort_block_sort_config_selectorIhNS0_10empty_typeEEENS1_38merge_sort_block_merge_config_selectorIhSE_EEEEvv: ; @_ZN7rocprim17ROCPRIM_400000_NS6detail44device_merge_sort_compile_time_verifier_archINS1_11comp_targetILNS1_3genE9ELNS1_11target_archE1100ELNS1_3gpuE3ELNS1_3repE0EEES8_NS1_28merge_sort_block_sort_configILj256ELj4ELNS0_20block_sort_algorithmE0EEENS0_14default_configENS1_37merge_sort_block_sort_config_selectorIhNS0_10empty_typeEEENS1_38merge_sort_block_merge_config_selectorIhSE_EEEEvv
; %bb.0:
	s_endpgm
	.section	.rodata,"a",@progbits
	.p2align	6, 0x0
	.amdhsa_kernel _ZN7rocprim17ROCPRIM_400000_NS6detail44device_merge_sort_compile_time_verifier_archINS1_11comp_targetILNS1_3genE9ELNS1_11target_archE1100ELNS1_3gpuE3ELNS1_3repE0EEES8_NS1_28merge_sort_block_sort_configILj256ELj4ELNS0_20block_sort_algorithmE0EEENS0_14default_configENS1_37merge_sort_block_sort_config_selectorIhNS0_10empty_typeEEENS1_38merge_sort_block_merge_config_selectorIhSE_EEEEvv
		.amdhsa_group_segment_fixed_size 0
		.amdhsa_private_segment_fixed_size 0
		.amdhsa_kernarg_size 0
		.amdhsa_user_sgpr_count 0
		.amdhsa_user_sgpr_dispatch_ptr 0
		.amdhsa_user_sgpr_queue_ptr 0
		.amdhsa_user_sgpr_kernarg_segment_ptr 0
		.amdhsa_user_sgpr_dispatch_id 0
		.amdhsa_user_sgpr_kernarg_preload_length 0
		.amdhsa_user_sgpr_kernarg_preload_offset 0
		.amdhsa_user_sgpr_private_segment_size 0
		.amdhsa_wavefront_size32 1
		.amdhsa_uses_dynamic_stack 0
		.amdhsa_enable_private_segment 0
		.amdhsa_system_sgpr_workgroup_id_x 1
		.amdhsa_system_sgpr_workgroup_id_y 0
		.amdhsa_system_sgpr_workgroup_id_z 0
		.amdhsa_system_sgpr_workgroup_info 0
		.amdhsa_system_vgpr_workitem_id 0
		.amdhsa_next_free_vgpr 1
		.amdhsa_next_free_sgpr 1
		.amdhsa_named_barrier_count 0
		.amdhsa_reserve_vcc 0
		.amdhsa_float_round_mode_32 0
		.amdhsa_float_round_mode_16_64 0
		.amdhsa_float_denorm_mode_32 3
		.amdhsa_float_denorm_mode_16_64 3
		.amdhsa_fp16_overflow 0
		.amdhsa_memory_ordered 1
		.amdhsa_forward_progress 1
		.amdhsa_inst_pref_size 1
		.amdhsa_round_robin_scheduling 0
		.amdhsa_exception_fp_ieee_invalid_op 0
		.amdhsa_exception_fp_denorm_src 0
		.amdhsa_exception_fp_ieee_div_zero 0
		.amdhsa_exception_fp_ieee_overflow 0
		.amdhsa_exception_fp_ieee_underflow 0
		.amdhsa_exception_fp_ieee_inexact 0
		.amdhsa_exception_int_div_zero 0
	.end_amdhsa_kernel
	.section	.text._ZN7rocprim17ROCPRIM_400000_NS6detail44device_merge_sort_compile_time_verifier_archINS1_11comp_targetILNS1_3genE9ELNS1_11target_archE1100ELNS1_3gpuE3ELNS1_3repE0EEES8_NS1_28merge_sort_block_sort_configILj256ELj4ELNS0_20block_sort_algorithmE0EEENS0_14default_configENS1_37merge_sort_block_sort_config_selectorIhNS0_10empty_typeEEENS1_38merge_sort_block_merge_config_selectorIhSE_EEEEvv,"axG",@progbits,_ZN7rocprim17ROCPRIM_400000_NS6detail44device_merge_sort_compile_time_verifier_archINS1_11comp_targetILNS1_3genE9ELNS1_11target_archE1100ELNS1_3gpuE3ELNS1_3repE0EEES8_NS1_28merge_sort_block_sort_configILj256ELj4ELNS0_20block_sort_algorithmE0EEENS0_14default_configENS1_37merge_sort_block_sort_config_selectorIhNS0_10empty_typeEEENS1_38merge_sort_block_merge_config_selectorIhSE_EEEEvv,comdat
.Lfunc_end16:
	.size	_ZN7rocprim17ROCPRIM_400000_NS6detail44device_merge_sort_compile_time_verifier_archINS1_11comp_targetILNS1_3genE9ELNS1_11target_archE1100ELNS1_3gpuE3ELNS1_3repE0EEES8_NS1_28merge_sort_block_sort_configILj256ELj4ELNS0_20block_sort_algorithmE0EEENS0_14default_configENS1_37merge_sort_block_sort_config_selectorIhNS0_10empty_typeEEENS1_38merge_sort_block_merge_config_selectorIhSE_EEEEvv, .Lfunc_end16-_ZN7rocprim17ROCPRIM_400000_NS6detail44device_merge_sort_compile_time_verifier_archINS1_11comp_targetILNS1_3genE9ELNS1_11target_archE1100ELNS1_3gpuE3ELNS1_3repE0EEES8_NS1_28merge_sort_block_sort_configILj256ELj4ELNS0_20block_sort_algorithmE0EEENS0_14default_configENS1_37merge_sort_block_sort_config_selectorIhNS0_10empty_typeEEENS1_38merge_sort_block_merge_config_selectorIhSE_EEEEvv
                                        ; -- End function
	.set _ZN7rocprim17ROCPRIM_400000_NS6detail44device_merge_sort_compile_time_verifier_archINS1_11comp_targetILNS1_3genE9ELNS1_11target_archE1100ELNS1_3gpuE3ELNS1_3repE0EEES8_NS1_28merge_sort_block_sort_configILj256ELj4ELNS0_20block_sort_algorithmE0EEENS0_14default_configENS1_37merge_sort_block_sort_config_selectorIhNS0_10empty_typeEEENS1_38merge_sort_block_merge_config_selectorIhSE_EEEEvv.num_vgpr, 0
	.set _ZN7rocprim17ROCPRIM_400000_NS6detail44device_merge_sort_compile_time_verifier_archINS1_11comp_targetILNS1_3genE9ELNS1_11target_archE1100ELNS1_3gpuE3ELNS1_3repE0EEES8_NS1_28merge_sort_block_sort_configILj256ELj4ELNS0_20block_sort_algorithmE0EEENS0_14default_configENS1_37merge_sort_block_sort_config_selectorIhNS0_10empty_typeEEENS1_38merge_sort_block_merge_config_selectorIhSE_EEEEvv.num_agpr, 0
	.set _ZN7rocprim17ROCPRIM_400000_NS6detail44device_merge_sort_compile_time_verifier_archINS1_11comp_targetILNS1_3genE9ELNS1_11target_archE1100ELNS1_3gpuE3ELNS1_3repE0EEES8_NS1_28merge_sort_block_sort_configILj256ELj4ELNS0_20block_sort_algorithmE0EEENS0_14default_configENS1_37merge_sort_block_sort_config_selectorIhNS0_10empty_typeEEENS1_38merge_sort_block_merge_config_selectorIhSE_EEEEvv.numbered_sgpr, 0
	.set _ZN7rocprim17ROCPRIM_400000_NS6detail44device_merge_sort_compile_time_verifier_archINS1_11comp_targetILNS1_3genE9ELNS1_11target_archE1100ELNS1_3gpuE3ELNS1_3repE0EEES8_NS1_28merge_sort_block_sort_configILj256ELj4ELNS0_20block_sort_algorithmE0EEENS0_14default_configENS1_37merge_sort_block_sort_config_selectorIhNS0_10empty_typeEEENS1_38merge_sort_block_merge_config_selectorIhSE_EEEEvv.num_named_barrier, 0
	.set _ZN7rocprim17ROCPRIM_400000_NS6detail44device_merge_sort_compile_time_verifier_archINS1_11comp_targetILNS1_3genE9ELNS1_11target_archE1100ELNS1_3gpuE3ELNS1_3repE0EEES8_NS1_28merge_sort_block_sort_configILj256ELj4ELNS0_20block_sort_algorithmE0EEENS0_14default_configENS1_37merge_sort_block_sort_config_selectorIhNS0_10empty_typeEEENS1_38merge_sort_block_merge_config_selectorIhSE_EEEEvv.private_seg_size, 0
	.set _ZN7rocprim17ROCPRIM_400000_NS6detail44device_merge_sort_compile_time_verifier_archINS1_11comp_targetILNS1_3genE9ELNS1_11target_archE1100ELNS1_3gpuE3ELNS1_3repE0EEES8_NS1_28merge_sort_block_sort_configILj256ELj4ELNS0_20block_sort_algorithmE0EEENS0_14default_configENS1_37merge_sort_block_sort_config_selectorIhNS0_10empty_typeEEENS1_38merge_sort_block_merge_config_selectorIhSE_EEEEvv.uses_vcc, 0
	.set _ZN7rocprim17ROCPRIM_400000_NS6detail44device_merge_sort_compile_time_verifier_archINS1_11comp_targetILNS1_3genE9ELNS1_11target_archE1100ELNS1_3gpuE3ELNS1_3repE0EEES8_NS1_28merge_sort_block_sort_configILj256ELj4ELNS0_20block_sort_algorithmE0EEENS0_14default_configENS1_37merge_sort_block_sort_config_selectorIhNS0_10empty_typeEEENS1_38merge_sort_block_merge_config_selectorIhSE_EEEEvv.uses_flat_scratch, 0
	.set _ZN7rocprim17ROCPRIM_400000_NS6detail44device_merge_sort_compile_time_verifier_archINS1_11comp_targetILNS1_3genE9ELNS1_11target_archE1100ELNS1_3gpuE3ELNS1_3repE0EEES8_NS1_28merge_sort_block_sort_configILj256ELj4ELNS0_20block_sort_algorithmE0EEENS0_14default_configENS1_37merge_sort_block_sort_config_selectorIhNS0_10empty_typeEEENS1_38merge_sort_block_merge_config_selectorIhSE_EEEEvv.has_dyn_sized_stack, 0
	.set _ZN7rocprim17ROCPRIM_400000_NS6detail44device_merge_sort_compile_time_verifier_archINS1_11comp_targetILNS1_3genE9ELNS1_11target_archE1100ELNS1_3gpuE3ELNS1_3repE0EEES8_NS1_28merge_sort_block_sort_configILj256ELj4ELNS0_20block_sort_algorithmE0EEENS0_14default_configENS1_37merge_sort_block_sort_config_selectorIhNS0_10empty_typeEEENS1_38merge_sort_block_merge_config_selectorIhSE_EEEEvv.has_recursion, 0
	.set _ZN7rocprim17ROCPRIM_400000_NS6detail44device_merge_sort_compile_time_verifier_archINS1_11comp_targetILNS1_3genE9ELNS1_11target_archE1100ELNS1_3gpuE3ELNS1_3repE0EEES8_NS1_28merge_sort_block_sort_configILj256ELj4ELNS0_20block_sort_algorithmE0EEENS0_14default_configENS1_37merge_sort_block_sort_config_selectorIhNS0_10empty_typeEEENS1_38merge_sort_block_merge_config_selectorIhSE_EEEEvv.has_indirect_call, 0
	.section	.AMDGPU.csdata,"",@progbits
; Kernel info:
; codeLenInByte = 4
; TotalNumSgprs: 0
; NumVgprs: 0
; ScratchSize: 0
; MemoryBound: 0
; FloatMode: 240
; IeeeMode: 1
; LDSByteSize: 0 bytes/workgroup (compile time only)
; SGPRBlocks: 0
; VGPRBlocks: 0
; NumSGPRsForWavesPerEU: 1
; NumVGPRsForWavesPerEU: 1
; NamedBarCnt: 0
; Occupancy: 16
; WaveLimiterHint : 0
; COMPUTE_PGM_RSRC2:SCRATCH_EN: 0
; COMPUTE_PGM_RSRC2:USER_SGPR: 0
; COMPUTE_PGM_RSRC2:TRAP_HANDLER: 0
; COMPUTE_PGM_RSRC2:TGID_X_EN: 1
; COMPUTE_PGM_RSRC2:TGID_Y_EN: 0
; COMPUTE_PGM_RSRC2:TGID_Z_EN: 0
; COMPUTE_PGM_RSRC2:TIDIG_COMP_CNT: 0
	.section	.text._ZN7rocprim17ROCPRIM_400000_NS6detail44device_merge_sort_compile_time_verifier_archINS1_11comp_targetILNS1_3genE8ELNS1_11target_archE1030ELNS1_3gpuE2ELNS1_3repE0EEES8_NS1_28merge_sort_block_sort_configILj256ELj4ELNS0_20block_sort_algorithmE0EEENS0_14default_configENS1_37merge_sort_block_sort_config_selectorIhNS0_10empty_typeEEENS1_38merge_sort_block_merge_config_selectorIhSE_EEEEvv,"axG",@progbits,_ZN7rocprim17ROCPRIM_400000_NS6detail44device_merge_sort_compile_time_verifier_archINS1_11comp_targetILNS1_3genE8ELNS1_11target_archE1030ELNS1_3gpuE2ELNS1_3repE0EEES8_NS1_28merge_sort_block_sort_configILj256ELj4ELNS0_20block_sort_algorithmE0EEENS0_14default_configENS1_37merge_sort_block_sort_config_selectorIhNS0_10empty_typeEEENS1_38merge_sort_block_merge_config_selectorIhSE_EEEEvv,comdat
	.protected	_ZN7rocprim17ROCPRIM_400000_NS6detail44device_merge_sort_compile_time_verifier_archINS1_11comp_targetILNS1_3genE8ELNS1_11target_archE1030ELNS1_3gpuE2ELNS1_3repE0EEES8_NS1_28merge_sort_block_sort_configILj256ELj4ELNS0_20block_sort_algorithmE0EEENS0_14default_configENS1_37merge_sort_block_sort_config_selectorIhNS0_10empty_typeEEENS1_38merge_sort_block_merge_config_selectorIhSE_EEEEvv ; -- Begin function _ZN7rocprim17ROCPRIM_400000_NS6detail44device_merge_sort_compile_time_verifier_archINS1_11comp_targetILNS1_3genE8ELNS1_11target_archE1030ELNS1_3gpuE2ELNS1_3repE0EEES8_NS1_28merge_sort_block_sort_configILj256ELj4ELNS0_20block_sort_algorithmE0EEENS0_14default_configENS1_37merge_sort_block_sort_config_selectorIhNS0_10empty_typeEEENS1_38merge_sort_block_merge_config_selectorIhSE_EEEEvv
	.globl	_ZN7rocprim17ROCPRIM_400000_NS6detail44device_merge_sort_compile_time_verifier_archINS1_11comp_targetILNS1_3genE8ELNS1_11target_archE1030ELNS1_3gpuE2ELNS1_3repE0EEES8_NS1_28merge_sort_block_sort_configILj256ELj4ELNS0_20block_sort_algorithmE0EEENS0_14default_configENS1_37merge_sort_block_sort_config_selectorIhNS0_10empty_typeEEENS1_38merge_sort_block_merge_config_selectorIhSE_EEEEvv
	.p2align	8
	.type	_ZN7rocprim17ROCPRIM_400000_NS6detail44device_merge_sort_compile_time_verifier_archINS1_11comp_targetILNS1_3genE8ELNS1_11target_archE1030ELNS1_3gpuE2ELNS1_3repE0EEES8_NS1_28merge_sort_block_sort_configILj256ELj4ELNS0_20block_sort_algorithmE0EEENS0_14default_configENS1_37merge_sort_block_sort_config_selectorIhNS0_10empty_typeEEENS1_38merge_sort_block_merge_config_selectorIhSE_EEEEvv,@function
_ZN7rocprim17ROCPRIM_400000_NS6detail44device_merge_sort_compile_time_verifier_archINS1_11comp_targetILNS1_3genE8ELNS1_11target_archE1030ELNS1_3gpuE2ELNS1_3repE0EEES8_NS1_28merge_sort_block_sort_configILj256ELj4ELNS0_20block_sort_algorithmE0EEENS0_14default_configENS1_37merge_sort_block_sort_config_selectorIhNS0_10empty_typeEEENS1_38merge_sort_block_merge_config_selectorIhSE_EEEEvv: ; @_ZN7rocprim17ROCPRIM_400000_NS6detail44device_merge_sort_compile_time_verifier_archINS1_11comp_targetILNS1_3genE8ELNS1_11target_archE1030ELNS1_3gpuE2ELNS1_3repE0EEES8_NS1_28merge_sort_block_sort_configILj256ELj4ELNS0_20block_sort_algorithmE0EEENS0_14default_configENS1_37merge_sort_block_sort_config_selectorIhNS0_10empty_typeEEENS1_38merge_sort_block_merge_config_selectorIhSE_EEEEvv
; %bb.0:
	s_endpgm
	.section	.rodata,"a",@progbits
	.p2align	6, 0x0
	.amdhsa_kernel _ZN7rocprim17ROCPRIM_400000_NS6detail44device_merge_sort_compile_time_verifier_archINS1_11comp_targetILNS1_3genE8ELNS1_11target_archE1030ELNS1_3gpuE2ELNS1_3repE0EEES8_NS1_28merge_sort_block_sort_configILj256ELj4ELNS0_20block_sort_algorithmE0EEENS0_14default_configENS1_37merge_sort_block_sort_config_selectorIhNS0_10empty_typeEEENS1_38merge_sort_block_merge_config_selectorIhSE_EEEEvv
		.amdhsa_group_segment_fixed_size 0
		.amdhsa_private_segment_fixed_size 0
		.amdhsa_kernarg_size 0
		.amdhsa_user_sgpr_count 0
		.amdhsa_user_sgpr_dispatch_ptr 0
		.amdhsa_user_sgpr_queue_ptr 0
		.amdhsa_user_sgpr_kernarg_segment_ptr 0
		.amdhsa_user_sgpr_dispatch_id 0
		.amdhsa_user_sgpr_kernarg_preload_length 0
		.amdhsa_user_sgpr_kernarg_preload_offset 0
		.amdhsa_user_sgpr_private_segment_size 0
		.amdhsa_wavefront_size32 1
		.amdhsa_uses_dynamic_stack 0
		.amdhsa_enable_private_segment 0
		.amdhsa_system_sgpr_workgroup_id_x 1
		.amdhsa_system_sgpr_workgroup_id_y 0
		.amdhsa_system_sgpr_workgroup_id_z 0
		.amdhsa_system_sgpr_workgroup_info 0
		.amdhsa_system_vgpr_workitem_id 0
		.amdhsa_next_free_vgpr 1
		.amdhsa_next_free_sgpr 1
		.amdhsa_named_barrier_count 0
		.amdhsa_reserve_vcc 0
		.amdhsa_float_round_mode_32 0
		.amdhsa_float_round_mode_16_64 0
		.amdhsa_float_denorm_mode_32 3
		.amdhsa_float_denorm_mode_16_64 3
		.amdhsa_fp16_overflow 0
		.amdhsa_memory_ordered 1
		.amdhsa_forward_progress 1
		.amdhsa_inst_pref_size 1
		.amdhsa_round_robin_scheduling 0
		.amdhsa_exception_fp_ieee_invalid_op 0
		.amdhsa_exception_fp_denorm_src 0
		.amdhsa_exception_fp_ieee_div_zero 0
		.amdhsa_exception_fp_ieee_overflow 0
		.amdhsa_exception_fp_ieee_underflow 0
		.amdhsa_exception_fp_ieee_inexact 0
		.amdhsa_exception_int_div_zero 0
	.end_amdhsa_kernel
	.section	.text._ZN7rocprim17ROCPRIM_400000_NS6detail44device_merge_sort_compile_time_verifier_archINS1_11comp_targetILNS1_3genE8ELNS1_11target_archE1030ELNS1_3gpuE2ELNS1_3repE0EEES8_NS1_28merge_sort_block_sort_configILj256ELj4ELNS0_20block_sort_algorithmE0EEENS0_14default_configENS1_37merge_sort_block_sort_config_selectorIhNS0_10empty_typeEEENS1_38merge_sort_block_merge_config_selectorIhSE_EEEEvv,"axG",@progbits,_ZN7rocprim17ROCPRIM_400000_NS6detail44device_merge_sort_compile_time_verifier_archINS1_11comp_targetILNS1_3genE8ELNS1_11target_archE1030ELNS1_3gpuE2ELNS1_3repE0EEES8_NS1_28merge_sort_block_sort_configILj256ELj4ELNS0_20block_sort_algorithmE0EEENS0_14default_configENS1_37merge_sort_block_sort_config_selectorIhNS0_10empty_typeEEENS1_38merge_sort_block_merge_config_selectorIhSE_EEEEvv,comdat
.Lfunc_end17:
	.size	_ZN7rocprim17ROCPRIM_400000_NS6detail44device_merge_sort_compile_time_verifier_archINS1_11comp_targetILNS1_3genE8ELNS1_11target_archE1030ELNS1_3gpuE2ELNS1_3repE0EEES8_NS1_28merge_sort_block_sort_configILj256ELj4ELNS0_20block_sort_algorithmE0EEENS0_14default_configENS1_37merge_sort_block_sort_config_selectorIhNS0_10empty_typeEEENS1_38merge_sort_block_merge_config_selectorIhSE_EEEEvv, .Lfunc_end17-_ZN7rocprim17ROCPRIM_400000_NS6detail44device_merge_sort_compile_time_verifier_archINS1_11comp_targetILNS1_3genE8ELNS1_11target_archE1030ELNS1_3gpuE2ELNS1_3repE0EEES8_NS1_28merge_sort_block_sort_configILj256ELj4ELNS0_20block_sort_algorithmE0EEENS0_14default_configENS1_37merge_sort_block_sort_config_selectorIhNS0_10empty_typeEEENS1_38merge_sort_block_merge_config_selectorIhSE_EEEEvv
                                        ; -- End function
	.set _ZN7rocprim17ROCPRIM_400000_NS6detail44device_merge_sort_compile_time_verifier_archINS1_11comp_targetILNS1_3genE8ELNS1_11target_archE1030ELNS1_3gpuE2ELNS1_3repE0EEES8_NS1_28merge_sort_block_sort_configILj256ELj4ELNS0_20block_sort_algorithmE0EEENS0_14default_configENS1_37merge_sort_block_sort_config_selectorIhNS0_10empty_typeEEENS1_38merge_sort_block_merge_config_selectorIhSE_EEEEvv.num_vgpr, 0
	.set _ZN7rocprim17ROCPRIM_400000_NS6detail44device_merge_sort_compile_time_verifier_archINS1_11comp_targetILNS1_3genE8ELNS1_11target_archE1030ELNS1_3gpuE2ELNS1_3repE0EEES8_NS1_28merge_sort_block_sort_configILj256ELj4ELNS0_20block_sort_algorithmE0EEENS0_14default_configENS1_37merge_sort_block_sort_config_selectorIhNS0_10empty_typeEEENS1_38merge_sort_block_merge_config_selectorIhSE_EEEEvv.num_agpr, 0
	.set _ZN7rocprim17ROCPRIM_400000_NS6detail44device_merge_sort_compile_time_verifier_archINS1_11comp_targetILNS1_3genE8ELNS1_11target_archE1030ELNS1_3gpuE2ELNS1_3repE0EEES8_NS1_28merge_sort_block_sort_configILj256ELj4ELNS0_20block_sort_algorithmE0EEENS0_14default_configENS1_37merge_sort_block_sort_config_selectorIhNS0_10empty_typeEEENS1_38merge_sort_block_merge_config_selectorIhSE_EEEEvv.numbered_sgpr, 0
	.set _ZN7rocprim17ROCPRIM_400000_NS6detail44device_merge_sort_compile_time_verifier_archINS1_11comp_targetILNS1_3genE8ELNS1_11target_archE1030ELNS1_3gpuE2ELNS1_3repE0EEES8_NS1_28merge_sort_block_sort_configILj256ELj4ELNS0_20block_sort_algorithmE0EEENS0_14default_configENS1_37merge_sort_block_sort_config_selectorIhNS0_10empty_typeEEENS1_38merge_sort_block_merge_config_selectorIhSE_EEEEvv.num_named_barrier, 0
	.set _ZN7rocprim17ROCPRIM_400000_NS6detail44device_merge_sort_compile_time_verifier_archINS1_11comp_targetILNS1_3genE8ELNS1_11target_archE1030ELNS1_3gpuE2ELNS1_3repE0EEES8_NS1_28merge_sort_block_sort_configILj256ELj4ELNS0_20block_sort_algorithmE0EEENS0_14default_configENS1_37merge_sort_block_sort_config_selectorIhNS0_10empty_typeEEENS1_38merge_sort_block_merge_config_selectorIhSE_EEEEvv.private_seg_size, 0
	.set _ZN7rocprim17ROCPRIM_400000_NS6detail44device_merge_sort_compile_time_verifier_archINS1_11comp_targetILNS1_3genE8ELNS1_11target_archE1030ELNS1_3gpuE2ELNS1_3repE0EEES8_NS1_28merge_sort_block_sort_configILj256ELj4ELNS0_20block_sort_algorithmE0EEENS0_14default_configENS1_37merge_sort_block_sort_config_selectorIhNS0_10empty_typeEEENS1_38merge_sort_block_merge_config_selectorIhSE_EEEEvv.uses_vcc, 0
	.set _ZN7rocprim17ROCPRIM_400000_NS6detail44device_merge_sort_compile_time_verifier_archINS1_11comp_targetILNS1_3genE8ELNS1_11target_archE1030ELNS1_3gpuE2ELNS1_3repE0EEES8_NS1_28merge_sort_block_sort_configILj256ELj4ELNS0_20block_sort_algorithmE0EEENS0_14default_configENS1_37merge_sort_block_sort_config_selectorIhNS0_10empty_typeEEENS1_38merge_sort_block_merge_config_selectorIhSE_EEEEvv.uses_flat_scratch, 0
	.set _ZN7rocprim17ROCPRIM_400000_NS6detail44device_merge_sort_compile_time_verifier_archINS1_11comp_targetILNS1_3genE8ELNS1_11target_archE1030ELNS1_3gpuE2ELNS1_3repE0EEES8_NS1_28merge_sort_block_sort_configILj256ELj4ELNS0_20block_sort_algorithmE0EEENS0_14default_configENS1_37merge_sort_block_sort_config_selectorIhNS0_10empty_typeEEENS1_38merge_sort_block_merge_config_selectorIhSE_EEEEvv.has_dyn_sized_stack, 0
	.set _ZN7rocprim17ROCPRIM_400000_NS6detail44device_merge_sort_compile_time_verifier_archINS1_11comp_targetILNS1_3genE8ELNS1_11target_archE1030ELNS1_3gpuE2ELNS1_3repE0EEES8_NS1_28merge_sort_block_sort_configILj256ELj4ELNS0_20block_sort_algorithmE0EEENS0_14default_configENS1_37merge_sort_block_sort_config_selectorIhNS0_10empty_typeEEENS1_38merge_sort_block_merge_config_selectorIhSE_EEEEvv.has_recursion, 0
	.set _ZN7rocprim17ROCPRIM_400000_NS6detail44device_merge_sort_compile_time_verifier_archINS1_11comp_targetILNS1_3genE8ELNS1_11target_archE1030ELNS1_3gpuE2ELNS1_3repE0EEES8_NS1_28merge_sort_block_sort_configILj256ELj4ELNS0_20block_sort_algorithmE0EEENS0_14default_configENS1_37merge_sort_block_sort_config_selectorIhNS0_10empty_typeEEENS1_38merge_sort_block_merge_config_selectorIhSE_EEEEvv.has_indirect_call, 0
	.section	.AMDGPU.csdata,"",@progbits
; Kernel info:
; codeLenInByte = 4
; TotalNumSgprs: 0
; NumVgprs: 0
; ScratchSize: 0
; MemoryBound: 0
; FloatMode: 240
; IeeeMode: 1
; LDSByteSize: 0 bytes/workgroup (compile time only)
; SGPRBlocks: 0
; VGPRBlocks: 0
; NumSGPRsForWavesPerEU: 1
; NumVGPRsForWavesPerEU: 1
; NamedBarCnt: 0
; Occupancy: 16
; WaveLimiterHint : 0
; COMPUTE_PGM_RSRC2:SCRATCH_EN: 0
; COMPUTE_PGM_RSRC2:USER_SGPR: 0
; COMPUTE_PGM_RSRC2:TRAP_HANDLER: 0
; COMPUTE_PGM_RSRC2:TGID_X_EN: 1
; COMPUTE_PGM_RSRC2:TGID_Y_EN: 0
; COMPUTE_PGM_RSRC2:TGID_Z_EN: 0
; COMPUTE_PGM_RSRC2:TIDIG_COMP_CNT: 0
	.section	.text._ZN7rocprim17ROCPRIM_400000_NS6detail17trampoline_kernelINS0_14default_configENS1_38merge_sort_block_merge_config_selectorIhNS0_10empty_typeEEEZZNS1_27merge_sort_block_merge_implIS3_PhPS5_jNS1_19radix_merge_compareILb1ELb0EhNS0_19identity_decomposerEEEEE10hipError_tT0_T1_T2_jT3_P12ihipStream_tbPNSt15iterator_traitsISE_E10value_typeEPNSK_ISF_E10value_typeEPSG_NS1_7vsmem_tEENKUlT_SE_SF_SG_E_clIS8_S8_S9_S9_EESD_ST_SE_SF_SG_EUlST_E_NS1_11comp_targetILNS1_3genE0ELNS1_11target_archE4294967295ELNS1_3gpuE0ELNS1_3repE0EEENS1_48merge_mergepath_partition_config_static_selectorELNS0_4arch9wavefront6targetE0EEEvSF_,"axG",@progbits,_ZN7rocprim17ROCPRIM_400000_NS6detail17trampoline_kernelINS0_14default_configENS1_38merge_sort_block_merge_config_selectorIhNS0_10empty_typeEEEZZNS1_27merge_sort_block_merge_implIS3_PhPS5_jNS1_19radix_merge_compareILb1ELb0EhNS0_19identity_decomposerEEEEE10hipError_tT0_T1_T2_jT3_P12ihipStream_tbPNSt15iterator_traitsISE_E10value_typeEPNSK_ISF_E10value_typeEPSG_NS1_7vsmem_tEENKUlT_SE_SF_SG_E_clIS8_S8_S9_S9_EESD_ST_SE_SF_SG_EUlST_E_NS1_11comp_targetILNS1_3genE0ELNS1_11target_archE4294967295ELNS1_3gpuE0ELNS1_3repE0EEENS1_48merge_mergepath_partition_config_static_selectorELNS0_4arch9wavefront6targetE0EEEvSF_,comdat
	.protected	_ZN7rocprim17ROCPRIM_400000_NS6detail17trampoline_kernelINS0_14default_configENS1_38merge_sort_block_merge_config_selectorIhNS0_10empty_typeEEEZZNS1_27merge_sort_block_merge_implIS3_PhPS5_jNS1_19radix_merge_compareILb1ELb0EhNS0_19identity_decomposerEEEEE10hipError_tT0_T1_T2_jT3_P12ihipStream_tbPNSt15iterator_traitsISE_E10value_typeEPNSK_ISF_E10value_typeEPSG_NS1_7vsmem_tEENKUlT_SE_SF_SG_E_clIS8_S8_S9_S9_EESD_ST_SE_SF_SG_EUlST_E_NS1_11comp_targetILNS1_3genE0ELNS1_11target_archE4294967295ELNS1_3gpuE0ELNS1_3repE0EEENS1_48merge_mergepath_partition_config_static_selectorELNS0_4arch9wavefront6targetE0EEEvSF_ ; -- Begin function _ZN7rocprim17ROCPRIM_400000_NS6detail17trampoline_kernelINS0_14default_configENS1_38merge_sort_block_merge_config_selectorIhNS0_10empty_typeEEEZZNS1_27merge_sort_block_merge_implIS3_PhPS5_jNS1_19radix_merge_compareILb1ELb0EhNS0_19identity_decomposerEEEEE10hipError_tT0_T1_T2_jT3_P12ihipStream_tbPNSt15iterator_traitsISE_E10value_typeEPNSK_ISF_E10value_typeEPSG_NS1_7vsmem_tEENKUlT_SE_SF_SG_E_clIS8_S8_S9_S9_EESD_ST_SE_SF_SG_EUlST_E_NS1_11comp_targetILNS1_3genE0ELNS1_11target_archE4294967295ELNS1_3gpuE0ELNS1_3repE0EEENS1_48merge_mergepath_partition_config_static_selectorELNS0_4arch9wavefront6targetE0EEEvSF_
	.globl	_ZN7rocprim17ROCPRIM_400000_NS6detail17trampoline_kernelINS0_14default_configENS1_38merge_sort_block_merge_config_selectorIhNS0_10empty_typeEEEZZNS1_27merge_sort_block_merge_implIS3_PhPS5_jNS1_19radix_merge_compareILb1ELb0EhNS0_19identity_decomposerEEEEE10hipError_tT0_T1_T2_jT3_P12ihipStream_tbPNSt15iterator_traitsISE_E10value_typeEPNSK_ISF_E10value_typeEPSG_NS1_7vsmem_tEENKUlT_SE_SF_SG_E_clIS8_S8_S9_S9_EESD_ST_SE_SF_SG_EUlST_E_NS1_11comp_targetILNS1_3genE0ELNS1_11target_archE4294967295ELNS1_3gpuE0ELNS1_3repE0EEENS1_48merge_mergepath_partition_config_static_selectorELNS0_4arch9wavefront6targetE0EEEvSF_
	.p2align	8
	.type	_ZN7rocprim17ROCPRIM_400000_NS6detail17trampoline_kernelINS0_14default_configENS1_38merge_sort_block_merge_config_selectorIhNS0_10empty_typeEEEZZNS1_27merge_sort_block_merge_implIS3_PhPS5_jNS1_19radix_merge_compareILb1ELb0EhNS0_19identity_decomposerEEEEE10hipError_tT0_T1_T2_jT3_P12ihipStream_tbPNSt15iterator_traitsISE_E10value_typeEPNSK_ISF_E10value_typeEPSG_NS1_7vsmem_tEENKUlT_SE_SF_SG_E_clIS8_S8_S9_S9_EESD_ST_SE_SF_SG_EUlST_E_NS1_11comp_targetILNS1_3genE0ELNS1_11target_archE4294967295ELNS1_3gpuE0ELNS1_3repE0EEENS1_48merge_mergepath_partition_config_static_selectorELNS0_4arch9wavefront6targetE0EEEvSF_,@function
_ZN7rocprim17ROCPRIM_400000_NS6detail17trampoline_kernelINS0_14default_configENS1_38merge_sort_block_merge_config_selectorIhNS0_10empty_typeEEEZZNS1_27merge_sort_block_merge_implIS3_PhPS5_jNS1_19radix_merge_compareILb1ELb0EhNS0_19identity_decomposerEEEEE10hipError_tT0_T1_T2_jT3_P12ihipStream_tbPNSt15iterator_traitsISE_E10value_typeEPNSK_ISF_E10value_typeEPSG_NS1_7vsmem_tEENKUlT_SE_SF_SG_E_clIS8_S8_S9_S9_EESD_ST_SE_SF_SG_EUlST_E_NS1_11comp_targetILNS1_3genE0ELNS1_11target_archE4294967295ELNS1_3gpuE0ELNS1_3repE0EEENS1_48merge_mergepath_partition_config_static_selectorELNS0_4arch9wavefront6targetE0EEEvSF_: ; @_ZN7rocprim17ROCPRIM_400000_NS6detail17trampoline_kernelINS0_14default_configENS1_38merge_sort_block_merge_config_selectorIhNS0_10empty_typeEEEZZNS1_27merge_sort_block_merge_implIS3_PhPS5_jNS1_19radix_merge_compareILb1ELb0EhNS0_19identity_decomposerEEEEE10hipError_tT0_T1_T2_jT3_P12ihipStream_tbPNSt15iterator_traitsISE_E10value_typeEPNSK_ISF_E10value_typeEPSG_NS1_7vsmem_tEENKUlT_SE_SF_SG_E_clIS8_S8_S9_S9_EESD_ST_SE_SF_SG_EUlST_E_NS1_11comp_targetILNS1_3genE0ELNS1_11target_archE4294967295ELNS1_3gpuE0ELNS1_3repE0EEENS1_48merge_mergepath_partition_config_static_selectorELNS0_4arch9wavefront6targetE0EEEvSF_
; %bb.0:
	s_load_b32 s2, s[0:1], 0x0
	s_bfe_u32 s3, ttmp6, 0x4000c
	s_and_b32 s4, ttmp6, 15
	s_add_co_i32 s3, s3, 1
	s_getreg_b32 s5, hwreg(HW_REG_IB_STS2, 6, 4)
	s_mul_i32 s3, ttmp9, s3
	s_delay_alu instid0(SALU_CYCLE_1) | instskip(SKIP_2) | instid1(SALU_CYCLE_1)
	s_add_co_i32 s4, s4, s3
	s_cmp_eq_u32 s5, 0
	s_cselect_b32 s3, ttmp9, s4
	v_lshl_or_b32 v8, s3, 7, v0
	s_wait_kmcnt 0x0
	s_delay_alu instid0(VALU_DEP_1)
	v_cmp_gt_u32_e32 vcc_lo, s2, v8
	s_and_saveexec_b32 s2, vcc_lo
	s_cbranch_execz .LBB18_6
; %bb.1:
	s_load_b64 s[2:3], s[0:1], 0x4
	s_wait_kmcnt 0x0
	s_lshr_b32 s4, s2, 9
	s_delay_alu instid0(SALU_CYCLE_1) | instskip(NEXT) | instid1(SALU_CYCLE_1)
	s_and_b32 s4, s4, 0x7ffffe
	s_sub_co_i32 s5, 0, s4
	s_add_co_i32 s4, s4, -1
	s_delay_alu instid0(SALU_CYCLE_1) | instskip(SKIP_2) | instid1(VALU_DEP_1)
	v_and_b32_e32 v1, s4, v8
	v_and_b32_e32 v0, s5, v8
	s_mov_b32 s4, exec_lo
	v_dual_lshlrev_b32 v1, 10, v1 :: v_dual_lshlrev_b32 v0, 10, v0
	s_delay_alu instid0(VALU_DEP_1) | instskip(SKIP_1) | instid1(VALU_DEP_2)
	v_add_min_u32_e64 v2, v0, s2, s3
	v_min_u32_e32 v0, s3, v0
	v_add_min_u32_e64 v3, v2, s2, s3
	s_load_b64 s[2:3], s[0:1], 0x20
	s_delay_alu instid0(VALU_DEP_1) | instskip(NEXT) | instid1(VALU_DEP_1)
	v_dual_sub_nc_u32 v4, v3, v0 :: v_dual_sub_nc_u32 v3, v3, v2
	v_min_u32_e32 v10, v4, v1
	v_sub_nc_u32_e32 v1, v2, v0
	s_delay_alu instid0(VALU_DEP_2) | instskip(NEXT) | instid1(VALU_DEP_2)
	v_sub_nc_u32_e64 v9, v10, v3 clamp
	v_min_u32_e32 v11, v10, v1
	s_delay_alu instid0(VALU_DEP_1)
	v_cmpx_lt_u32_e64 v9, v11
	s_cbranch_execz .LBB18_5
; %bb.2:
	s_wait_xcnt 0x0
	s_load_b64 s[0:1], s[0:1], 0x10
	v_mov_b32_e32 v3, 0
	s_delay_alu instid0(VALU_DEP_1) | instskip(SKIP_1) | instid1(VALU_DEP_1)
	v_mov_b32_e32 v1, v3
	s_wait_kmcnt 0x0
	v_add_nc_u64_e32 v[4:5], s[0:1], v[0:1]
	v_add_nc_u64_e32 v[6:7], s[0:1], v[2:3]
	s_mov_b32 s0, 0
.LBB18_3:                               ; =>This Inner Loop Header: Depth=1
	v_add_nc_u32_e32 v1, v11, v9
	s_delay_alu instid0(VALU_DEP_1) | instskip(NEXT) | instid1(VALU_DEP_1)
	v_dual_mov_b32 v13, v3 :: v_dual_lshrrev_b32 v2, 1, v1
	v_xad_u32 v12, v2, -1, v10
	v_add_nc_u64_e32 v[14:15], v[4:5], v[2:3]
	s_delay_alu instid0(VALU_DEP_2)
	v_add_nc_u64_e32 v[12:13], v[6:7], v[12:13]
	s_clause 0x1
	global_load_u8 v1, v[14:15], off
	global_load_u8 v16, v[12:13], off
	s_wait_xcnt 0x0
	v_add_nc_u32_e32 v12, 1, v2
	s_wait_loadcnt 0x0
	v_cmp_gt_u16_e32 vcc_lo, v16, v1
	s_delay_alu instid0(VALU_DEP_2) | instskip(NEXT) | instid1(VALU_DEP_1)
	v_dual_cndmask_b32 v11, v11, v2, vcc_lo :: v_dual_cndmask_b32 v9, v12, v9, vcc_lo
	v_cmp_ge_u32_e32 vcc_lo, v9, v11
	s_or_b32 s0, vcc_lo, s0
	s_delay_alu instid0(SALU_CYCLE_1)
	s_and_not1_b32 exec_lo, exec_lo, s0
	s_cbranch_execnz .LBB18_3
; %bb.4:
	s_or_b32 exec_lo, exec_lo, s0
.LBB18_5:
	s_delay_alu instid0(SALU_CYCLE_1)
	s_or_b32 exec_lo, exec_lo, s4
	v_add_nc_u32_e32 v0, v9, v0
	s_wait_kmcnt 0x0
	global_store_b32 v8, v0, s[2:3] scale_offset
.LBB18_6:
	s_endpgm
	.section	.rodata,"a",@progbits
	.p2align	6, 0x0
	.amdhsa_kernel _ZN7rocprim17ROCPRIM_400000_NS6detail17trampoline_kernelINS0_14default_configENS1_38merge_sort_block_merge_config_selectorIhNS0_10empty_typeEEEZZNS1_27merge_sort_block_merge_implIS3_PhPS5_jNS1_19radix_merge_compareILb1ELb0EhNS0_19identity_decomposerEEEEE10hipError_tT0_T1_T2_jT3_P12ihipStream_tbPNSt15iterator_traitsISE_E10value_typeEPNSK_ISF_E10value_typeEPSG_NS1_7vsmem_tEENKUlT_SE_SF_SG_E_clIS8_S8_S9_S9_EESD_ST_SE_SF_SG_EUlST_E_NS1_11comp_targetILNS1_3genE0ELNS1_11target_archE4294967295ELNS1_3gpuE0ELNS1_3repE0EEENS1_48merge_mergepath_partition_config_static_selectorELNS0_4arch9wavefront6targetE0EEEvSF_
		.amdhsa_group_segment_fixed_size 0
		.amdhsa_private_segment_fixed_size 0
		.amdhsa_kernarg_size 40
		.amdhsa_user_sgpr_count 2
		.amdhsa_user_sgpr_dispatch_ptr 0
		.amdhsa_user_sgpr_queue_ptr 0
		.amdhsa_user_sgpr_kernarg_segment_ptr 1
		.amdhsa_user_sgpr_dispatch_id 0
		.amdhsa_user_sgpr_kernarg_preload_length 0
		.amdhsa_user_sgpr_kernarg_preload_offset 0
		.amdhsa_user_sgpr_private_segment_size 0
		.amdhsa_wavefront_size32 1
		.amdhsa_uses_dynamic_stack 0
		.amdhsa_enable_private_segment 0
		.amdhsa_system_sgpr_workgroup_id_x 1
		.amdhsa_system_sgpr_workgroup_id_y 0
		.amdhsa_system_sgpr_workgroup_id_z 0
		.amdhsa_system_sgpr_workgroup_info 0
		.amdhsa_system_vgpr_workitem_id 0
		.amdhsa_next_free_vgpr 17
		.amdhsa_next_free_sgpr 6
		.amdhsa_named_barrier_count 0
		.amdhsa_reserve_vcc 1
		.amdhsa_float_round_mode_32 0
		.amdhsa_float_round_mode_16_64 0
		.amdhsa_float_denorm_mode_32 3
		.amdhsa_float_denorm_mode_16_64 3
		.amdhsa_fp16_overflow 0
		.amdhsa_memory_ordered 1
		.amdhsa_forward_progress 1
		.amdhsa_inst_pref_size 4
		.amdhsa_round_robin_scheduling 0
		.amdhsa_exception_fp_ieee_invalid_op 0
		.amdhsa_exception_fp_denorm_src 0
		.amdhsa_exception_fp_ieee_div_zero 0
		.amdhsa_exception_fp_ieee_overflow 0
		.amdhsa_exception_fp_ieee_underflow 0
		.amdhsa_exception_fp_ieee_inexact 0
		.amdhsa_exception_int_div_zero 0
	.end_amdhsa_kernel
	.section	.text._ZN7rocprim17ROCPRIM_400000_NS6detail17trampoline_kernelINS0_14default_configENS1_38merge_sort_block_merge_config_selectorIhNS0_10empty_typeEEEZZNS1_27merge_sort_block_merge_implIS3_PhPS5_jNS1_19radix_merge_compareILb1ELb0EhNS0_19identity_decomposerEEEEE10hipError_tT0_T1_T2_jT3_P12ihipStream_tbPNSt15iterator_traitsISE_E10value_typeEPNSK_ISF_E10value_typeEPSG_NS1_7vsmem_tEENKUlT_SE_SF_SG_E_clIS8_S8_S9_S9_EESD_ST_SE_SF_SG_EUlST_E_NS1_11comp_targetILNS1_3genE0ELNS1_11target_archE4294967295ELNS1_3gpuE0ELNS1_3repE0EEENS1_48merge_mergepath_partition_config_static_selectorELNS0_4arch9wavefront6targetE0EEEvSF_,"axG",@progbits,_ZN7rocprim17ROCPRIM_400000_NS6detail17trampoline_kernelINS0_14default_configENS1_38merge_sort_block_merge_config_selectorIhNS0_10empty_typeEEEZZNS1_27merge_sort_block_merge_implIS3_PhPS5_jNS1_19radix_merge_compareILb1ELb0EhNS0_19identity_decomposerEEEEE10hipError_tT0_T1_T2_jT3_P12ihipStream_tbPNSt15iterator_traitsISE_E10value_typeEPNSK_ISF_E10value_typeEPSG_NS1_7vsmem_tEENKUlT_SE_SF_SG_E_clIS8_S8_S9_S9_EESD_ST_SE_SF_SG_EUlST_E_NS1_11comp_targetILNS1_3genE0ELNS1_11target_archE4294967295ELNS1_3gpuE0ELNS1_3repE0EEENS1_48merge_mergepath_partition_config_static_selectorELNS0_4arch9wavefront6targetE0EEEvSF_,comdat
.Lfunc_end18:
	.size	_ZN7rocprim17ROCPRIM_400000_NS6detail17trampoline_kernelINS0_14default_configENS1_38merge_sort_block_merge_config_selectorIhNS0_10empty_typeEEEZZNS1_27merge_sort_block_merge_implIS3_PhPS5_jNS1_19radix_merge_compareILb1ELb0EhNS0_19identity_decomposerEEEEE10hipError_tT0_T1_T2_jT3_P12ihipStream_tbPNSt15iterator_traitsISE_E10value_typeEPNSK_ISF_E10value_typeEPSG_NS1_7vsmem_tEENKUlT_SE_SF_SG_E_clIS8_S8_S9_S9_EESD_ST_SE_SF_SG_EUlST_E_NS1_11comp_targetILNS1_3genE0ELNS1_11target_archE4294967295ELNS1_3gpuE0ELNS1_3repE0EEENS1_48merge_mergepath_partition_config_static_selectorELNS0_4arch9wavefront6targetE0EEEvSF_, .Lfunc_end18-_ZN7rocprim17ROCPRIM_400000_NS6detail17trampoline_kernelINS0_14default_configENS1_38merge_sort_block_merge_config_selectorIhNS0_10empty_typeEEEZZNS1_27merge_sort_block_merge_implIS3_PhPS5_jNS1_19radix_merge_compareILb1ELb0EhNS0_19identity_decomposerEEEEE10hipError_tT0_T1_T2_jT3_P12ihipStream_tbPNSt15iterator_traitsISE_E10value_typeEPNSK_ISF_E10value_typeEPSG_NS1_7vsmem_tEENKUlT_SE_SF_SG_E_clIS8_S8_S9_S9_EESD_ST_SE_SF_SG_EUlST_E_NS1_11comp_targetILNS1_3genE0ELNS1_11target_archE4294967295ELNS1_3gpuE0ELNS1_3repE0EEENS1_48merge_mergepath_partition_config_static_selectorELNS0_4arch9wavefront6targetE0EEEvSF_
                                        ; -- End function
	.set _ZN7rocprim17ROCPRIM_400000_NS6detail17trampoline_kernelINS0_14default_configENS1_38merge_sort_block_merge_config_selectorIhNS0_10empty_typeEEEZZNS1_27merge_sort_block_merge_implIS3_PhPS5_jNS1_19radix_merge_compareILb1ELb0EhNS0_19identity_decomposerEEEEE10hipError_tT0_T1_T2_jT3_P12ihipStream_tbPNSt15iterator_traitsISE_E10value_typeEPNSK_ISF_E10value_typeEPSG_NS1_7vsmem_tEENKUlT_SE_SF_SG_E_clIS8_S8_S9_S9_EESD_ST_SE_SF_SG_EUlST_E_NS1_11comp_targetILNS1_3genE0ELNS1_11target_archE4294967295ELNS1_3gpuE0ELNS1_3repE0EEENS1_48merge_mergepath_partition_config_static_selectorELNS0_4arch9wavefront6targetE0EEEvSF_.num_vgpr, 17
	.set _ZN7rocprim17ROCPRIM_400000_NS6detail17trampoline_kernelINS0_14default_configENS1_38merge_sort_block_merge_config_selectorIhNS0_10empty_typeEEEZZNS1_27merge_sort_block_merge_implIS3_PhPS5_jNS1_19radix_merge_compareILb1ELb0EhNS0_19identity_decomposerEEEEE10hipError_tT0_T1_T2_jT3_P12ihipStream_tbPNSt15iterator_traitsISE_E10value_typeEPNSK_ISF_E10value_typeEPSG_NS1_7vsmem_tEENKUlT_SE_SF_SG_E_clIS8_S8_S9_S9_EESD_ST_SE_SF_SG_EUlST_E_NS1_11comp_targetILNS1_3genE0ELNS1_11target_archE4294967295ELNS1_3gpuE0ELNS1_3repE0EEENS1_48merge_mergepath_partition_config_static_selectorELNS0_4arch9wavefront6targetE0EEEvSF_.num_agpr, 0
	.set _ZN7rocprim17ROCPRIM_400000_NS6detail17trampoline_kernelINS0_14default_configENS1_38merge_sort_block_merge_config_selectorIhNS0_10empty_typeEEEZZNS1_27merge_sort_block_merge_implIS3_PhPS5_jNS1_19radix_merge_compareILb1ELb0EhNS0_19identity_decomposerEEEEE10hipError_tT0_T1_T2_jT3_P12ihipStream_tbPNSt15iterator_traitsISE_E10value_typeEPNSK_ISF_E10value_typeEPSG_NS1_7vsmem_tEENKUlT_SE_SF_SG_E_clIS8_S8_S9_S9_EESD_ST_SE_SF_SG_EUlST_E_NS1_11comp_targetILNS1_3genE0ELNS1_11target_archE4294967295ELNS1_3gpuE0ELNS1_3repE0EEENS1_48merge_mergepath_partition_config_static_selectorELNS0_4arch9wavefront6targetE0EEEvSF_.numbered_sgpr, 6
	.set _ZN7rocprim17ROCPRIM_400000_NS6detail17trampoline_kernelINS0_14default_configENS1_38merge_sort_block_merge_config_selectorIhNS0_10empty_typeEEEZZNS1_27merge_sort_block_merge_implIS3_PhPS5_jNS1_19radix_merge_compareILb1ELb0EhNS0_19identity_decomposerEEEEE10hipError_tT0_T1_T2_jT3_P12ihipStream_tbPNSt15iterator_traitsISE_E10value_typeEPNSK_ISF_E10value_typeEPSG_NS1_7vsmem_tEENKUlT_SE_SF_SG_E_clIS8_S8_S9_S9_EESD_ST_SE_SF_SG_EUlST_E_NS1_11comp_targetILNS1_3genE0ELNS1_11target_archE4294967295ELNS1_3gpuE0ELNS1_3repE0EEENS1_48merge_mergepath_partition_config_static_selectorELNS0_4arch9wavefront6targetE0EEEvSF_.num_named_barrier, 0
	.set _ZN7rocprim17ROCPRIM_400000_NS6detail17trampoline_kernelINS0_14default_configENS1_38merge_sort_block_merge_config_selectorIhNS0_10empty_typeEEEZZNS1_27merge_sort_block_merge_implIS3_PhPS5_jNS1_19radix_merge_compareILb1ELb0EhNS0_19identity_decomposerEEEEE10hipError_tT0_T1_T2_jT3_P12ihipStream_tbPNSt15iterator_traitsISE_E10value_typeEPNSK_ISF_E10value_typeEPSG_NS1_7vsmem_tEENKUlT_SE_SF_SG_E_clIS8_S8_S9_S9_EESD_ST_SE_SF_SG_EUlST_E_NS1_11comp_targetILNS1_3genE0ELNS1_11target_archE4294967295ELNS1_3gpuE0ELNS1_3repE0EEENS1_48merge_mergepath_partition_config_static_selectorELNS0_4arch9wavefront6targetE0EEEvSF_.private_seg_size, 0
	.set _ZN7rocprim17ROCPRIM_400000_NS6detail17trampoline_kernelINS0_14default_configENS1_38merge_sort_block_merge_config_selectorIhNS0_10empty_typeEEEZZNS1_27merge_sort_block_merge_implIS3_PhPS5_jNS1_19radix_merge_compareILb1ELb0EhNS0_19identity_decomposerEEEEE10hipError_tT0_T1_T2_jT3_P12ihipStream_tbPNSt15iterator_traitsISE_E10value_typeEPNSK_ISF_E10value_typeEPSG_NS1_7vsmem_tEENKUlT_SE_SF_SG_E_clIS8_S8_S9_S9_EESD_ST_SE_SF_SG_EUlST_E_NS1_11comp_targetILNS1_3genE0ELNS1_11target_archE4294967295ELNS1_3gpuE0ELNS1_3repE0EEENS1_48merge_mergepath_partition_config_static_selectorELNS0_4arch9wavefront6targetE0EEEvSF_.uses_vcc, 1
	.set _ZN7rocprim17ROCPRIM_400000_NS6detail17trampoline_kernelINS0_14default_configENS1_38merge_sort_block_merge_config_selectorIhNS0_10empty_typeEEEZZNS1_27merge_sort_block_merge_implIS3_PhPS5_jNS1_19radix_merge_compareILb1ELb0EhNS0_19identity_decomposerEEEEE10hipError_tT0_T1_T2_jT3_P12ihipStream_tbPNSt15iterator_traitsISE_E10value_typeEPNSK_ISF_E10value_typeEPSG_NS1_7vsmem_tEENKUlT_SE_SF_SG_E_clIS8_S8_S9_S9_EESD_ST_SE_SF_SG_EUlST_E_NS1_11comp_targetILNS1_3genE0ELNS1_11target_archE4294967295ELNS1_3gpuE0ELNS1_3repE0EEENS1_48merge_mergepath_partition_config_static_selectorELNS0_4arch9wavefront6targetE0EEEvSF_.uses_flat_scratch, 0
	.set _ZN7rocprim17ROCPRIM_400000_NS6detail17trampoline_kernelINS0_14default_configENS1_38merge_sort_block_merge_config_selectorIhNS0_10empty_typeEEEZZNS1_27merge_sort_block_merge_implIS3_PhPS5_jNS1_19radix_merge_compareILb1ELb0EhNS0_19identity_decomposerEEEEE10hipError_tT0_T1_T2_jT3_P12ihipStream_tbPNSt15iterator_traitsISE_E10value_typeEPNSK_ISF_E10value_typeEPSG_NS1_7vsmem_tEENKUlT_SE_SF_SG_E_clIS8_S8_S9_S9_EESD_ST_SE_SF_SG_EUlST_E_NS1_11comp_targetILNS1_3genE0ELNS1_11target_archE4294967295ELNS1_3gpuE0ELNS1_3repE0EEENS1_48merge_mergepath_partition_config_static_selectorELNS0_4arch9wavefront6targetE0EEEvSF_.has_dyn_sized_stack, 0
	.set _ZN7rocprim17ROCPRIM_400000_NS6detail17trampoline_kernelINS0_14default_configENS1_38merge_sort_block_merge_config_selectorIhNS0_10empty_typeEEEZZNS1_27merge_sort_block_merge_implIS3_PhPS5_jNS1_19radix_merge_compareILb1ELb0EhNS0_19identity_decomposerEEEEE10hipError_tT0_T1_T2_jT3_P12ihipStream_tbPNSt15iterator_traitsISE_E10value_typeEPNSK_ISF_E10value_typeEPSG_NS1_7vsmem_tEENKUlT_SE_SF_SG_E_clIS8_S8_S9_S9_EESD_ST_SE_SF_SG_EUlST_E_NS1_11comp_targetILNS1_3genE0ELNS1_11target_archE4294967295ELNS1_3gpuE0ELNS1_3repE0EEENS1_48merge_mergepath_partition_config_static_selectorELNS0_4arch9wavefront6targetE0EEEvSF_.has_recursion, 0
	.set _ZN7rocprim17ROCPRIM_400000_NS6detail17trampoline_kernelINS0_14default_configENS1_38merge_sort_block_merge_config_selectorIhNS0_10empty_typeEEEZZNS1_27merge_sort_block_merge_implIS3_PhPS5_jNS1_19radix_merge_compareILb1ELb0EhNS0_19identity_decomposerEEEEE10hipError_tT0_T1_T2_jT3_P12ihipStream_tbPNSt15iterator_traitsISE_E10value_typeEPNSK_ISF_E10value_typeEPSG_NS1_7vsmem_tEENKUlT_SE_SF_SG_E_clIS8_S8_S9_S9_EESD_ST_SE_SF_SG_EUlST_E_NS1_11comp_targetILNS1_3genE0ELNS1_11target_archE4294967295ELNS1_3gpuE0ELNS1_3repE0EEENS1_48merge_mergepath_partition_config_static_selectorELNS0_4arch9wavefront6targetE0EEEvSF_.has_indirect_call, 0
	.section	.AMDGPU.csdata,"",@progbits
; Kernel info:
; codeLenInByte = 420
; TotalNumSgprs: 8
; NumVgprs: 17
; ScratchSize: 0
; MemoryBound: 0
; FloatMode: 240
; IeeeMode: 1
; LDSByteSize: 0 bytes/workgroup (compile time only)
; SGPRBlocks: 0
; VGPRBlocks: 1
; NumSGPRsForWavesPerEU: 8
; NumVGPRsForWavesPerEU: 17
; NamedBarCnt: 0
; Occupancy: 16
; WaveLimiterHint : 0
; COMPUTE_PGM_RSRC2:SCRATCH_EN: 0
; COMPUTE_PGM_RSRC2:USER_SGPR: 2
; COMPUTE_PGM_RSRC2:TRAP_HANDLER: 0
; COMPUTE_PGM_RSRC2:TGID_X_EN: 1
; COMPUTE_PGM_RSRC2:TGID_Y_EN: 0
; COMPUTE_PGM_RSRC2:TGID_Z_EN: 0
; COMPUTE_PGM_RSRC2:TIDIG_COMP_CNT: 0
	.section	.text._ZN7rocprim17ROCPRIM_400000_NS6detail17trampoline_kernelINS0_14default_configENS1_38merge_sort_block_merge_config_selectorIhNS0_10empty_typeEEEZZNS1_27merge_sort_block_merge_implIS3_PhPS5_jNS1_19radix_merge_compareILb1ELb0EhNS0_19identity_decomposerEEEEE10hipError_tT0_T1_T2_jT3_P12ihipStream_tbPNSt15iterator_traitsISE_E10value_typeEPNSK_ISF_E10value_typeEPSG_NS1_7vsmem_tEENKUlT_SE_SF_SG_E_clIS8_S8_S9_S9_EESD_ST_SE_SF_SG_EUlST_E_NS1_11comp_targetILNS1_3genE10ELNS1_11target_archE1201ELNS1_3gpuE5ELNS1_3repE0EEENS1_48merge_mergepath_partition_config_static_selectorELNS0_4arch9wavefront6targetE0EEEvSF_,"axG",@progbits,_ZN7rocprim17ROCPRIM_400000_NS6detail17trampoline_kernelINS0_14default_configENS1_38merge_sort_block_merge_config_selectorIhNS0_10empty_typeEEEZZNS1_27merge_sort_block_merge_implIS3_PhPS5_jNS1_19radix_merge_compareILb1ELb0EhNS0_19identity_decomposerEEEEE10hipError_tT0_T1_T2_jT3_P12ihipStream_tbPNSt15iterator_traitsISE_E10value_typeEPNSK_ISF_E10value_typeEPSG_NS1_7vsmem_tEENKUlT_SE_SF_SG_E_clIS8_S8_S9_S9_EESD_ST_SE_SF_SG_EUlST_E_NS1_11comp_targetILNS1_3genE10ELNS1_11target_archE1201ELNS1_3gpuE5ELNS1_3repE0EEENS1_48merge_mergepath_partition_config_static_selectorELNS0_4arch9wavefront6targetE0EEEvSF_,comdat
	.protected	_ZN7rocprim17ROCPRIM_400000_NS6detail17trampoline_kernelINS0_14default_configENS1_38merge_sort_block_merge_config_selectorIhNS0_10empty_typeEEEZZNS1_27merge_sort_block_merge_implIS3_PhPS5_jNS1_19radix_merge_compareILb1ELb0EhNS0_19identity_decomposerEEEEE10hipError_tT0_T1_T2_jT3_P12ihipStream_tbPNSt15iterator_traitsISE_E10value_typeEPNSK_ISF_E10value_typeEPSG_NS1_7vsmem_tEENKUlT_SE_SF_SG_E_clIS8_S8_S9_S9_EESD_ST_SE_SF_SG_EUlST_E_NS1_11comp_targetILNS1_3genE10ELNS1_11target_archE1201ELNS1_3gpuE5ELNS1_3repE0EEENS1_48merge_mergepath_partition_config_static_selectorELNS0_4arch9wavefront6targetE0EEEvSF_ ; -- Begin function _ZN7rocprim17ROCPRIM_400000_NS6detail17trampoline_kernelINS0_14default_configENS1_38merge_sort_block_merge_config_selectorIhNS0_10empty_typeEEEZZNS1_27merge_sort_block_merge_implIS3_PhPS5_jNS1_19radix_merge_compareILb1ELb0EhNS0_19identity_decomposerEEEEE10hipError_tT0_T1_T2_jT3_P12ihipStream_tbPNSt15iterator_traitsISE_E10value_typeEPNSK_ISF_E10value_typeEPSG_NS1_7vsmem_tEENKUlT_SE_SF_SG_E_clIS8_S8_S9_S9_EESD_ST_SE_SF_SG_EUlST_E_NS1_11comp_targetILNS1_3genE10ELNS1_11target_archE1201ELNS1_3gpuE5ELNS1_3repE0EEENS1_48merge_mergepath_partition_config_static_selectorELNS0_4arch9wavefront6targetE0EEEvSF_
	.globl	_ZN7rocprim17ROCPRIM_400000_NS6detail17trampoline_kernelINS0_14default_configENS1_38merge_sort_block_merge_config_selectorIhNS0_10empty_typeEEEZZNS1_27merge_sort_block_merge_implIS3_PhPS5_jNS1_19radix_merge_compareILb1ELb0EhNS0_19identity_decomposerEEEEE10hipError_tT0_T1_T2_jT3_P12ihipStream_tbPNSt15iterator_traitsISE_E10value_typeEPNSK_ISF_E10value_typeEPSG_NS1_7vsmem_tEENKUlT_SE_SF_SG_E_clIS8_S8_S9_S9_EESD_ST_SE_SF_SG_EUlST_E_NS1_11comp_targetILNS1_3genE10ELNS1_11target_archE1201ELNS1_3gpuE5ELNS1_3repE0EEENS1_48merge_mergepath_partition_config_static_selectorELNS0_4arch9wavefront6targetE0EEEvSF_
	.p2align	8
	.type	_ZN7rocprim17ROCPRIM_400000_NS6detail17trampoline_kernelINS0_14default_configENS1_38merge_sort_block_merge_config_selectorIhNS0_10empty_typeEEEZZNS1_27merge_sort_block_merge_implIS3_PhPS5_jNS1_19radix_merge_compareILb1ELb0EhNS0_19identity_decomposerEEEEE10hipError_tT0_T1_T2_jT3_P12ihipStream_tbPNSt15iterator_traitsISE_E10value_typeEPNSK_ISF_E10value_typeEPSG_NS1_7vsmem_tEENKUlT_SE_SF_SG_E_clIS8_S8_S9_S9_EESD_ST_SE_SF_SG_EUlST_E_NS1_11comp_targetILNS1_3genE10ELNS1_11target_archE1201ELNS1_3gpuE5ELNS1_3repE0EEENS1_48merge_mergepath_partition_config_static_selectorELNS0_4arch9wavefront6targetE0EEEvSF_,@function
_ZN7rocprim17ROCPRIM_400000_NS6detail17trampoline_kernelINS0_14default_configENS1_38merge_sort_block_merge_config_selectorIhNS0_10empty_typeEEEZZNS1_27merge_sort_block_merge_implIS3_PhPS5_jNS1_19radix_merge_compareILb1ELb0EhNS0_19identity_decomposerEEEEE10hipError_tT0_T1_T2_jT3_P12ihipStream_tbPNSt15iterator_traitsISE_E10value_typeEPNSK_ISF_E10value_typeEPSG_NS1_7vsmem_tEENKUlT_SE_SF_SG_E_clIS8_S8_S9_S9_EESD_ST_SE_SF_SG_EUlST_E_NS1_11comp_targetILNS1_3genE10ELNS1_11target_archE1201ELNS1_3gpuE5ELNS1_3repE0EEENS1_48merge_mergepath_partition_config_static_selectorELNS0_4arch9wavefront6targetE0EEEvSF_: ; @_ZN7rocprim17ROCPRIM_400000_NS6detail17trampoline_kernelINS0_14default_configENS1_38merge_sort_block_merge_config_selectorIhNS0_10empty_typeEEEZZNS1_27merge_sort_block_merge_implIS3_PhPS5_jNS1_19radix_merge_compareILb1ELb0EhNS0_19identity_decomposerEEEEE10hipError_tT0_T1_T2_jT3_P12ihipStream_tbPNSt15iterator_traitsISE_E10value_typeEPNSK_ISF_E10value_typeEPSG_NS1_7vsmem_tEENKUlT_SE_SF_SG_E_clIS8_S8_S9_S9_EESD_ST_SE_SF_SG_EUlST_E_NS1_11comp_targetILNS1_3genE10ELNS1_11target_archE1201ELNS1_3gpuE5ELNS1_3repE0EEENS1_48merge_mergepath_partition_config_static_selectorELNS0_4arch9wavefront6targetE0EEEvSF_
; %bb.0:
	.section	.rodata,"a",@progbits
	.p2align	6, 0x0
	.amdhsa_kernel _ZN7rocprim17ROCPRIM_400000_NS6detail17trampoline_kernelINS0_14default_configENS1_38merge_sort_block_merge_config_selectorIhNS0_10empty_typeEEEZZNS1_27merge_sort_block_merge_implIS3_PhPS5_jNS1_19radix_merge_compareILb1ELb0EhNS0_19identity_decomposerEEEEE10hipError_tT0_T1_T2_jT3_P12ihipStream_tbPNSt15iterator_traitsISE_E10value_typeEPNSK_ISF_E10value_typeEPSG_NS1_7vsmem_tEENKUlT_SE_SF_SG_E_clIS8_S8_S9_S9_EESD_ST_SE_SF_SG_EUlST_E_NS1_11comp_targetILNS1_3genE10ELNS1_11target_archE1201ELNS1_3gpuE5ELNS1_3repE0EEENS1_48merge_mergepath_partition_config_static_selectorELNS0_4arch9wavefront6targetE0EEEvSF_
		.amdhsa_group_segment_fixed_size 0
		.amdhsa_private_segment_fixed_size 0
		.amdhsa_kernarg_size 40
		.amdhsa_user_sgpr_count 2
		.amdhsa_user_sgpr_dispatch_ptr 0
		.amdhsa_user_sgpr_queue_ptr 0
		.amdhsa_user_sgpr_kernarg_segment_ptr 1
		.amdhsa_user_sgpr_dispatch_id 0
		.amdhsa_user_sgpr_kernarg_preload_length 0
		.amdhsa_user_sgpr_kernarg_preload_offset 0
		.amdhsa_user_sgpr_private_segment_size 0
		.amdhsa_wavefront_size32 1
		.amdhsa_uses_dynamic_stack 0
		.amdhsa_enable_private_segment 0
		.amdhsa_system_sgpr_workgroup_id_x 1
		.amdhsa_system_sgpr_workgroup_id_y 0
		.amdhsa_system_sgpr_workgroup_id_z 0
		.amdhsa_system_sgpr_workgroup_info 0
		.amdhsa_system_vgpr_workitem_id 0
		.amdhsa_next_free_vgpr 1
		.amdhsa_next_free_sgpr 1
		.amdhsa_named_barrier_count 0
		.amdhsa_reserve_vcc 0
		.amdhsa_float_round_mode_32 0
		.amdhsa_float_round_mode_16_64 0
		.amdhsa_float_denorm_mode_32 3
		.amdhsa_float_denorm_mode_16_64 3
		.amdhsa_fp16_overflow 0
		.amdhsa_memory_ordered 1
		.amdhsa_forward_progress 1
		.amdhsa_inst_pref_size 0
		.amdhsa_round_robin_scheduling 0
		.amdhsa_exception_fp_ieee_invalid_op 0
		.amdhsa_exception_fp_denorm_src 0
		.amdhsa_exception_fp_ieee_div_zero 0
		.amdhsa_exception_fp_ieee_overflow 0
		.amdhsa_exception_fp_ieee_underflow 0
		.amdhsa_exception_fp_ieee_inexact 0
		.amdhsa_exception_int_div_zero 0
	.end_amdhsa_kernel
	.section	.text._ZN7rocprim17ROCPRIM_400000_NS6detail17trampoline_kernelINS0_14default_configENS1_38merge_sort_block_merge_config_selectorIhNS0_10empty_typeEEEZZNS1_27merge_sort_block_merge_implIS3_PhPS5_jNS1_19radix_merge_compareILb1ELb0EhNS0_19identity_decomposerEEEEE10hipError_tT0_T1_T2_jT3_P12ihipStream_tbPNSt15iterator_traitsISE_E10value_typeEPNSK_ISF_E10value_typeEPSG_NS1_7vsmem_tEENKUlT_SE_SF_SG_E_clIS8_S8_S9_S9_EESD_ST_SE_SF_SG_EUlST_E_NS1_11comp_targetILNS1_3genE10ELNS1_11target_archE1201ELNS1_3gpuE5ELNS1_3repE0EEENS1_48merge_mergepath_partition_config_static_selectorELNS0_4arch9wavefront6targetE0EEEvSF_,"axG",@progbits,_ZN7rocprim17ROCPRIM_400000_NS6detail17trampoline_kernelINS0_14default_configENS1_38merge_sort_block_merge_config_selectorIhNS0_10empty_typeEEEZZNS1_27merge_sort_block_merge_implIS3_PhPS5_jNS1_19radix_merge_compareILb1ELb0EhNS0_19identity_decomposerEEEEE10hipError_tT0_T1_T2_jT3_P12ihipStream_tbPNSt15iterator_traitsISE_E10value_typeEPNSK_ISF_E10value_typeEPSG_NS1_7vsmem_tEENKUlT_SE_SF_SG_E_clIS8_S8_S9_S9_EESD_ST_SE_SF_SG_EUlST_E_NS1_11comp_targetILNS1_3genE10ELNS1_11target_archE1201ELNS1_3gpuE5ELNS1_3repE0EEENS1_48merge_mergepath_partition_config_static_selectorELNS0_4arch9wavefront6targetE0EEEvSF_,comdat
.Lfunc_end19:
	.size	_ZN7rocprim17ROCPRIM_400000_NS6detail17trampoline_kernelINS0_14default_configENS1_38merge_sort_block_merge_config_selectorIhNS0_10empty_typeEEEZZNS1_27merge_sort_block_merge_implIS3_PhPS5_jNS1_19radix_merge_compareILb1ELb0EhNS0_19identity_decomposerEEEEE10hipError_tT0_T1_T2_jT3_P12ihipStream_tbPNSt15iterator_traitsISE_E10value_typeEPNSK_ISF_E10value_typeEPSG_NS1_7vsmem_tEENKUlT_SE_SF_SG_E_clIS8_S8_S9_S9_EESD_ST_SE_SF_SG_EUlST_E_NS1_11comp_targetILNS1_3genE10ELNS1_11target_archE1201ELNS1_3gpuE5ELNS1_3repE0EEENS1_48merge_mergepath_partition_config_static_selectorELNS0_4arch9wavefront6targetE0EEEvSF_, .Lfunc_end19-_ZN7rocprim17ROCPRIM_400000_NS6detail17trampoline_kernelINS0_14default_configENS1_38merge_sort_block_merge_config_selectorIhNS0_10empty_typeEEEZZNS1_27merge_sort_block_merge_implIS3_PhPS5_jNS1_19radix_merge_compareILb1ELb0EhNS0_19identity_decomposerEEEEE10hipError_tT0_T1_T2_jT3_P12ihipStream_tbPNSt15iterator_traitsISE_E10value_typeEPNSK_ISF_E10value_typeEPSG_NS1_7vsmem_tEENKUlT_SE_SF_SG_E_clIS8_S8_S9_S9_EESD_ST_SE_SF_SG_EUlST_E_NS1_11comp_targetILNS1_3genE10ELNS1_11target_archE1201ELNS1_3gpuE5ELNS1_3repE0EEENS1_48merge_mergepath_partition_config_static_selectorELNS0_4arch9wavefront6targetE0EEEvSF_
                                        ; -- End function
	.set _ZN7rocprim17ROCPRIM_400000_NS6detail17trampoline_kernelINS0_14default_configENS1_38merge_sort_block_merge_config_selectorIhNS0_10empty_typeEEEZZNS1_27merge_sort_block_merge_implIS3_PhPS5_jNS1_19radix_merge_compareILb1ELb0EhNS0_19identity_decomposerEEEEE10hipError_tT0_T1_T2_jT3_P12ihipStream_tbPNSt15iterator_traitsISE_E10value_typeEPNSK_ISF_E10value_typeEPSG_NS1_7vsmem_tEENKUlT_SE_SF_SG_E_clIS8_S8_S9_S9_EESD_ST_SE_SF_SG_EUlST_E_NS1_11comp_targetILNS1_3genE10ELNS1_11target_archE1201ELNS1_3gpuE5ELNS1_3repE0EEENS1_48merge_mergepath_partition_config_static_selectorELNS0_4arch9wavefront6targetE0EEEvSF_.num_vgpr, 0
	.set _ZN7rocprim17ROCPRIM_400000_NS6detail17trampoline_kernelINS0_14default_configENS1_38merge_sort_block_merge_config_selectorIhNS0_10empty_typeEEEZZNS1_27merge_sort_block_merge_implIS3_PhPS5_jNS1_19radix_merge_compareILb1ELb0EhNS0_19identity_decomposerEEEEE10hipError_tT0_T1_T2_jT3_P12ihipStream_tbPNSt15iterator_traitsISE_E10value_typeEPNSK_ISF_E10value_typeEPSG_NS1_7vsmem_tEENKUlT_SE_SF_SG_E_clIS8_S8_S9_S9_EESD_ST_SE_SF_SG_EUlST_E_NS1_11comp_targetILNS1_3genE10ELNS1_11target_archE1201ELNS1_3gpuE5ELNS1_3repE0EEENS1_48merge_mergepath_partition_config_static_selectorELNS0_4arch9wavefront6targetE0EEEvSF_.num_agpr, 0
	.set _ZN7rocprim17ROCPRIM_400000_NS6detail17trampoline_kernelINS0_14default_configENS1_38merge_sort_block_merge_config_selectorIhNS0_10empty_typeEEEZZNS1_27merge_sort_block_merge_implIS3_PhPS5_jNS1_19radix_merge_compareILb1ELb0EhNS0_19identity_decomposerEEEEE10hipError_tT0_T1_T2_jT3_P12ihipStream_tbPNSt15iterator_traitsISE_E10value_typeEPNSK_ISF_E10value_typeEPSG_NS1_7vsmem_tEENKUlT_SE_SF_SG_E_clIS8_S8_S9_S9_EESD_ST_SE_SF_SG_EUlST_E_NS1_11comp_targetILNS1_3genE10ELNS1_11target_archE1201ELNS1_3gpuE5ELNS1_3repE0EEENS1_48merge_mergepath_partition_config_static_selectorELNS0_4arch9wavefront6targetE0EEEvSF_.numbered_sgpr, 0
	.set _ZN7rocprim17ROCPRIM_400000_NS6detail17trampoline_kernelINS0_14default_configENS1_38merge_sort_block_merge_config_selectorIhNS0_10empty_typeEEEZZNS1_27merge_sort_block_merge_implIS3_PhPS5_jNS1_19radix_merge_compareILb1ELb0EhNS0_19identity_decomposerEEEEE10hipError_tT0_T1_T2_jT3_P12ihipStream_tbPNSt15iterator_traitsISE_E10value_typeEPNSK_ISF_E10value_typeEPSG_NS1_7vsmem_tEENKUlT_SE_SF_SG_E_clIS8_S8_S9_S9_EESD_ST_SE_SF_SG_EUlST_E_NS1_11comp_targetILNS1_3genE10ELNS1_11target_archE1201ELNS1_3gpuE5ELNS1_3repE0EEENS1_48merge_mergepath_partition_config_static_selectorELNS0_4arch9wavefront6targetE0EEEvSF_.num_named_barrier, 0
	.set _ZN7rocprim17ROCPRIM_400000_NS6detail17trampoline_kernelINS0_14default_configENS1_38merge_sort_block_merge_config_selectorIhNS0_10empty_typeEEEZZNS1_27merge_sort_block_merge_implIS3_PhPS5_jNS1_19radix_merge_compareILb1ELb0EhNS0_19identity_decomposerEEEEE10hipError_tT0_T1_T2_jT3_P12ihipStream_tbPNSt15iterator_traitsISE_E10value_typeEPNSK_ISF_E10value_typeEPSG_NS1_7vsmem_tEENKUlT_SE_SF_SG_E_clIS8_S8_S9_S9_EESD_ST_SE_SF_SG_EUlST_E_NS1_11comp_targetILNS1_3genE10ELNS1_11target_archE1201ELNS1_3gpuE5ELNS1_3repE0EEENS1_48merge_mergepath_partition_config_static_selectorELNS0_4arch9wavefront6targetE0EEEvSF_.private_seg_size, 0
	.set _ZN7rocprim17ROCPRIM_400000_NS6detail17trampoline_kernelINS0_14default_configENS1_38merge_sort_block_merge_config_selectorIhNS0_10empty_typeEEEZZNS1_27merge_sort_block_merge_implIS3_PhPS5_jNS1_19radix_merge_compareILb1ELb0EhNS0_19identity_decomposerEEEEE10hipError_tT0_T1_T2_jT3_P12ihipStream_tbPNSt15iterator_traitsISE_E10value_typeEPNSK_ISF_E10value_typeEPSG_NS1_7vsmem_tEENKUlT_SE_SF_SG_E_clIS8_S8_S9_S9_EESD_ST_SE_SF_SG_EUlST_E_NS1_11comp_targetILNS1_3genE10ELNS1_11target_archE1201ELNS1_3gpuE5ELNS1_3repE0EEENS1_48merge_mergepath_partition_config_static_selectorELNS0_4arch9wavefront6targetE0EEEvSF_.uses_vcc, 0
	.set _ZN7rocprim17ROCPRIM_400000_NS6detail17trampoline_kernelINS0_14default_configENS1_38merge_sort_block_merge_config_selectorIhNS0_10empty_typeEEEZZNS1_27merge_sort_block_merge_implIS3_PhPS5_jNS1_19radix_merge_compareILb1ELb0EhNS0_19identity_decomposerEEEEE10hipError_tT0_T1_T2_jT3_P12ihipStream_tbPNSt15iterator_traitsISE_E10value_typeEPNSK_ISF_E10value_typeEPSG_NS1_7vsmem_tEENKUlT_SE_SF_SG_E_clIS8_S8_S9_S9_EESD_ST_SE_SF_SG_EUlST_E_NS1_11comp_targetILNS1_3genE10ELNS1_11target_archE1201ELNS1_3gpuE5ELNS1_3repE0EEENS1_48merge_mergepath_partition_config_static_selectorELNS0_4arch9wavefront6targetE0EEEvSF_.uses_flat_scratch, 0
	.set _ZN7rocprim17ROCPRIM_400000_NS6detail17trampoline_kernelINS0_14default_configENS1_38merge_sort_block_merge_config_selectorIhNS0_10empty_typeEEEZZNS1_27merge_sort_block_merge_implIS3_PhPS5_jNS1_19radix_merge_compareILb1ELb0EhNS0_19identity_decomposerEEEEE10hipError_tT0_T1_T2_jT3_P12ihipStream_tbPNSt15iterator_traitsISE_E10value_typeEPNSK_ISF_E10value_typeEPSG_NS1_7vsmem_tEENKUlT_SE_SF_SG_E_clIS8_S8_S9_S9_EESD_ST_SE_SF_SG_EUlST_E_NS1_11comp_targetILNS1_3genE10ELNS1_11target_archE1201ELNS1_3gpuE5ELNS1_3repE0EEENS1_48merge_mergepath_partition_config_static_selectorELNS0_4arch9wavefront6targetE0EEEvSF_.has_dyn_sized_stack, 0
	.set _ZN7rocprim17ROCPRIM_400000_NS6detail17trampoline_kernelINS0_14default_configENS1_38merge_sort_block_merge_config_selectorIhNS0_10empty_typeEEEZZNS1_27merge_sort_block_merge_implIS3_PhPS5_jNS1_19radix_merge_compareILb1ELb0EhNS0_19identity_decomposerEEEEE10hipError_tT0_T1_T2_jT3_P12ihipStream_tbPNSt15iterator_traitsISE_E10value_typeEPNSK_ISF_E10value_typeEPSG_NS1_7vsmem_tEENKUlT_SE_SF_SG_E_clIS8_S8_S9_S9_EESD_ST_SE_SF_SG_EUlST_E_NS1_11comp_targetILNS1_3genE10ELNS1_11target_archE1201ELNS1_3gpuE5ELNS1_3repE0EEENS1_48merge_mergepath_partition_config_static_selectorELNS0_4arch9wavefront6targetE0EEEvSF_.has_recursion, 0
	.set _ZN7rocprim17ROCPRIM_400000_NS6detail17trampoline_kernelINS0_14default_configENS1_38merge_sort_block_merge_config_selectorIhNS0_10empty_typeEEEZZNS1_27merge_sort_block_merge_implIS3_PhPS5_jNS1_19radix_merge_compareILb1ELb0EhNS0_19identity_decomposerEEEEE10hipError_tT0_T1_T2_jT3_P12ihipStream_tbPNSt15iterator_traitsISE_E10value_typeEPNSK_ISF_E10value_typeEPSG_NS1_7vsmem_tEENKUlT_SE_SF_SG_E_clIS8_S8_S9_S9_EESD_ST_SE_SF_SG_EUlST_E_NS1_11comp_targetILNS1_3genE10ELNS1_11target_archE1201ELNS1_3gpuE5ELNS1_3repE0EEENS1_48merge_mergepath_partition_config_static_selectorELNS0_4arch9wavefront6targetE0EEEvSF_.has_indirect_call, 0
	.section	.AMDGPU.csdata,"",@progbits
; Kernel info:
; codeLenInByte = 0
; TotalNumSgprs: 0
; NumVgprs: 0
; ScratchSize: 0
; MemoryBound: 0
; FloatMode: 240
; IeeeMode: 1
; LDSByteSize: 0 bytes/workgroup (compile time only)
; SGPRBlocks: 0
; VGPRBlocks: 0
; NumSGPRsForWavesPerEU: 1
; NumVGPRsForWavesPerEU: 1
; NamedBarCnt: 0
; Occupancy: 16
; WaveLimiterHint : 0
; COMPUTE_PGM_RSRC2:SCRATCH_EN: 0
; COMPUTE_PGM_RSRC2:USER_SGPR: 2
; COMPUTE_PGM_RSRC2:TRAP_HANDLER: 0
; COMPUTE_PGM_RSRC2:TGID_X_EN: 1
; COMPUTE_PGM_RSRC2:TGID_Y_EN: 0
; COMPUTE_PGM_RSRC2:TGID_Z_EN: 0
; COMPUTE_PGM_RSRC2:TIDIG_COMP_CNT: 0
	.section	.text._ZN7rocprim17ROCPRIM_400000_NS6detail17trampoline_kernelINS0_14default_configENS1_38merge_sort_block_merge_config_selectorIhNS0_10empty_typeEEEZZNS1_27merge_sort_block_merge_implIS3_PhPS5_jNS1_19radix_merge_compareILb1ELb0EhNS0_19identity_decomposerEEEEE10hipError_tT0_T1_T2_jT3_P12ihipStream_tbPNSt15iterator_traitsISE_E10value_typeEPNSK_ISF_E10value_typeEPSG_NS1_7vsmem_tEENKUlT_SE_SF_SG_E_clIS8_S8_S9_S9_EESD_ST_SE_SF_SG_EUlST_E_NS1_11comp_targetILNS1_3genE5ELNS1_11target_archE942ELNS1_3gpuE9ELNS1_3repE0EEENS1_48merge_mergepath_partition_config_static_selectorELNS0_4arch9wavefront6targetE0EEEvSF_,"axG",@progbits,_ZN7rocprim17ROCPRIM_400000_NS6detail17trampoline_kernelINS0_14default_configENS1_38merge_sort_block_merge_config_selectorIhNS0_10empty_typeEEEZZNS1_27merge_sort_block_merge_implIS3_PhPS5_jNS1_19radix_merge_compareILb1ELb0EhNS0_19identity_decomposerEEEEE10hipError_tT0_T1_T2_jT3_P12ihipStream_tbPNSt15iterator_traitsISE_E10value_typeEPNSK_ISF_E10value_typeEPSG_NS1_7vsmem_tEENKUlT_SE_SF_SG_E_clIS8_S8_S9_S9_EESD_ST_SE_SF_SG_EUlST_E_NS1_11comp_targetILNS1_3genE5ELNS1_11target_archE942ELNS1_3gpuE9ELNS1_3repE0EEENS1_48merge_mergepath_partition_config_static_selectorELNS0_4arch9wavefront6targetE0EEEvSF_,comdat
	.protected	_ZN7rocprim17ROCPRIM_400000_NS6detail17trampoline_kernelINS0_14default_configENS1_38merge_sort_block_merge_config_selectorIhNS0_10empty_typeEEEZZNS1_27merge_sort_block_merge_implIS3_PhPS5_jNS1_19radix_merge_compareILb1ELb0EhNS0_19identity_decomposerEEEEE10hipError_tT0_T1_T2_jT3_P12ihipStream_tbPNSt15iterator_traitsISE_E10value_typeEPNSK_ISF_E10value_typeEPSG_NS1_7vsmem_tEENKUlT_SE_SF_SG_E_clIS8_S8_S9_S9_EESD_ST_SE_SF_SG_EUlST_E_NS1_11comp_targetILNS1_3genE5ELNS1_11target_archE942ELNS1_3gpuE9ELNS1_3repE0EEENS1_48merge_mergepath_partition_config_static_selectorELNS0_4arch9wavefront6targetE0EEEvSF_ ; -- Begin function _ZN7rocprim17ROCPRIM_400000_NS6detail17trampoline_kernelINS0_14default_configENS1_38merge_sort_block_merge_config_selectorIhNS0_10empty_typeEEEZZNS1_27merge_sort_block_merge_implIS3_PhPS5_jNS1_19radix_merge_compareILb1ELb0EhNS0_19identity_decomposerEEEEE10hipError_tT0_T1_T2_jT3_P12ihipStream_tbPNSt15iterator_traitsISE_E10value_typeEPNSK_ISF_E10value_typeEPSG_NS1_7vsmem_tEENKUlT_SE_SF_SG_E_clIS8_S8_S9_S9_EESD_ST_SE_SF_SG_EUlST_E_NS1_11comp_targetILNS1_3genE5ELNS1_11target_archE942ELNS1_3gpuE9ELNS1_3repE0EEENS1_48merge_mergepath_partition_config_static_selectorELNS0_4arch9wavefront6targetE0EEEvSF_
	.globl	_ZN7rocprim17ROCPRIM_400000_NS6detail17trampoline_kernelINS0_14default_configENS1_38merge_sort_block_merge_config_selectorIhNS0_10empty_typeEEEZZNS1_27merge_sort_block_merge_implIS3_PhPS5_jNS1_19radix_merge_compareILb1ELb0EhNS0_19identity_decomposerEEEEE10hipError_tT0_T1_T2_jT3_P12ihipStream_tbPNSt15iterator_traitsISE_E10value_typeEPNSK_ISF_E10value_typeEPSG_NS1_7vsmem_tEENKUlT_SE_SF_SG_E_clIS8_S8_S9_S9_EESD_ST_SE_SF_SG_EUlST_E_NS1_11comp_targetILNS1_3genE5ELNS1_11target_archE942ELNS1_3gpuE9ELNS1_3repE0EEENS1_48merge_mergepath_partition_config_static_selectorELNS0_4arch9wavefront6targetE0EEEvSF_
	.p2align	8
	.type	_ZN7rocprim17ROCPRIM_400000_NS6detail17trampoline_kernelINS0_14default_configENS1_38merge_sort_block_merge_config_selectorIhNS0_10empty_typeEEEZZNS1_27merge_sort_block_merge_implIS3_PhPS5_jNS1_19radix_merge_compareILb1ELb0EhNS0_19identity_decomposerEEEEE10hipError_tT0_T1_T2_jT3_P12ihipStream_tbPNSt15iterator_traitsISE_E10value_typeEPNSK_ISF_E10value_typeEPSG_NS1_7vsmem_tEENKUlT_SE_SF_SG_E_clIS8_S8_S9_S9_EESD_ST_SE_SF_SG_EUlST_E_NS1_11comp_targetILNS1_3genE5ELNS1_11target_archE942ELNS1_3gpuE9ELNS1_3repE0EEENS1_48merge_mergepath_partition_config_static_selectorELNS0_4arch9wavefront6targetE0EEEvSF_,@function
_ZN7rocprim17ROCPRIM_400000_NS6detail17trampoline_kernelINS0_14default_configENS1_38merge_sort_block_merge_config_selectorIhNS0_10empty_typeEEEZZNS1_27merge_sort_block_merge_implIS3_PhPS5_jNS1_19radix_merge_compareILb1ELb0EhNS0_19identity_decomposerEEEEE10hipError_tT0_T1_T2_jT3_P12ihipStream_tbPNSt15iterator_traitsISE_E10value_typeEPNSK_ISF_E10value_typeEPSG_NS1_7vsmem_tEENKUlT_SE_SF_SG_E_clIS8_S8_S9_S9_EESD_ST_SE_SF_SG_EUlST_E_NS1_11comp_targetILNS1_3genE5ELNS1_11target_archE942ELNS1_3gpuE9ELNS1_3repE0EEENS1_48merge_mergepath_partition_config_static_selectorELNS0_4arch9wavefront6targetE0EEEvSF_: ; @_ZN7rocprim17ROCPRIM_400000_NS6detail17trampoline_kernelINS0_14default_configENS1_38merge_sort_block_merge_config_selectorIhNS0_10empty_typeEEEZZNS1_27merge_sort_block_merge_implIS3_PhPS5_jNS1_19radix_merge_compareILb1ELb0EhNS0_19identity_decomposerEEEEE10hipError_tT0_T1_T2_jT3_P12ihipStream_tbPNSt15iterator_traitsISE_E10value_typeEPNSK_ISF_E10value_typeEPSG_NS1_7vsmem_tEENKUlT_SE_SF_SG_E_clIS8_S8_S9_S9_EESD_ST_SE_SF_SG_EUlST_E_NS1_11comp_targetILNS1_3genE5ELNS1_11target_archE942ELNS1_3gpuE9ELNS1_3repE0EEENS1_48merge_mergepath_partition_config_static_selectorELNS0_4arch9wavefront6targetE0EEEvSF_
; %bb.0:
	.section	.rodata,"a",@progbits
	.p2align	6, 0x0
	.amdhsa_kernel _ZN7rocprim17ROCPRIM_400000_NS6detail17trampoline_kernelINS0_14default_configENS1_38merge_sort_block_merge_config_selectorIhNS0_10empty_typeEEEZZNS1_27merge_sort_block_merge_implIS3_PhPS5_jNS1_19radix_merge_compareILb1ELb0EhNS0_19identity_decomposerEEEEE10hipError_tT0_T1_T2_jT3_P12ihipStream_tbPNSt15iterator_traitsISE_E10value_typeEPNSK_ISF_E10value_typeEPSG_NS1_7vsmem_tEENKUlT_SE_SF_SG_E_clIS8_S8_S9_S9_EESD_ST_SE_SF_SG_EUlST_E_NS1_11comp_targetILNS1_3genE5ELNS1_11target_archE942ELNS1_3gpuE9ELNS1_3repE0EEENS1_48merge_mergepath_partition_config_static_selectorELNS0_4arch9wavefront6targetE0EEEvSF_
		.amdhsa_group_segment_fixed_size 0
		.amdhsa_private_segment_fixed_size 0
		.amdhsa_kernarg_size 40
		.amdhsa_user_sgpr_count 2
		.amdhsa_user_sgpr_dispatch_ptr 0
		.amdhsa_user_sgpr_queue_ptr 0
		.amdhsa_user_sgpr_kernarg_segment_ptr 1
		.amdhsa_user_sgpr_dispatch_id 0
		.amdhsa_user_sgpr_kernarg_preload_length 0
		.amdhsa_user_sgpr_kernarg_preload_offset 0
		.amdhsa_user_sgpr_private_segment_size 0
		.amdhsa_wavefront_size32 1
		.amdhsa_uses_dynamic_stack 0
		.amdhsa_enable_private_segment 0
		.amdhsa_system_sgpr_workgroup_id_x 1
		.amdhsa_system_sgpr_workgroup_id_y 0
		.amdhsa_system_sgpr_workgroup_id_z 0
		.amdhsa_system_sgpr_workgroup_info 0
		.amdhsa_system_vgpr_workitem_id 0
		.amdhsa_next_free_vgpr 1
		.amdhsa_next_free_sgpr 1
		.amdhsa_named_barrier_count 0
		.amdhsa_reserve_vcc 0
		.amdhsa_float_round_mode_32 0
		.amdhsa_float_round_mode_16_64 0
		.amdhsa_float_denorm_mode_32 3
		.amdhsa_float_denorm_mode_16_64 3
		.amdhsa_fp16_overflow 0
		.amdhsa_memory_ordered 1
		.amdhsa_forward_progress 1
		.amdhsa_inst_pref_size 0
		.amdhsa_round_robin_scheduling 0
		.amdhsa_exception_fp_ieee_invalid_op 0
		.amdhsa_exception_fp_denorm_src 0
		.amdhsa_exception_fp_ieee_div_zero 0
		.amdhsa_exception_fp_ieee_overflow 0
		.amdhsa_exception_fp_ieee_underflow 0
		.amdhsa_exception_fp_ieee_inexact 0
		.amdhsa_exception_int_div_zero 0
	.end_amdhsa_kernel
	.section	.text._ZN7rocprim17ROCPRIM_400000_NS6detail17trampoline_kernelINS0_14default_configENS1_38merge_sort_block_merge_config_selectorIhNS0_10empty_typeEEEZZNS1_27merge_sort_block_merge_implIS3_PhPS5_jNS1_19radix_merge_compareILb1ELb0EhNS0_19identity_decomposerEEEEE10hipError_tT0_T1_T2_jT3_P12ihipStream_tbPNSt15iterator_traitsISE_E10value_typeEPNSK_ISF_E10value_typeEPSG_NS1_7vsmem_tEENKUlT_SE_SF_SG_E_clIS8_S8_S9_S9_EESD_ST_SE_SF_SG_EUlST_E_NS1_11comp_targetILNS1_3genE5ELNS1_11target_archE942ELNS1_3gpuE9ELNS1_3repE0EEENS1_48merge_mergepath_partition_config_static_selectorELNS0_4arch9wavefront6targetE0EEEvSF_,"axG",@progbits,_ZN7rocprim17ROCPRIM_400000_NS6detail17trampoline_kernelINS0_14default_configENS1_38merge_sort_block_merge_config_selectorIhNS0_10empty_typeEEEZZNS1_27merge_sort_block_merge_implIS3_PhPS5_jNS1_19radix_merge_compareILb1ELb0EhNS0_19identity_decomposerEEEEE10hipError_tT0_T1_T2_jT3_P12ihipStream_tbPNSt15iterator_traitsISE_E10value_typeEPNSK_ISF_E10value_typeEPSG_NS1_7vsmem_tEENKUlT_SE_SF_SG_E_clIS8_S8_S9_S9_EESD_ST_SE_SF_SG_EUlST_E_NS1_11comp_targetILNS1_3genE5ELNS1_11target_archE942ELNS1_3gpuE9ELNS1_3repE0EEENS1_48merge_mergepath_partition_config_static_selectorELNS0_4arch9wavefront6targetE0EEEvSF_,comdat
.Lfunc_end20:
	.size	_ZN7rocprim17ROCPRIM_400000_NS6detail17trampoline_kernelINS0_14default_configENS1_38merge_sort_block_merge_config_selectorIhNS0_10empty_typeEEEZZNS1_27merge_sort_block_merge_implIS3_PhPS5_jNS1_19radix_merge_compareILb1ELb0EhNS0_19identity_decomposerEEEEE10hipError_tT0_T1_T2_jT3_P12ihipStream_tbPNSt15iterator_traitsISE_E10value_typeEPNSK_ISF_E10value_typeEPSG_NS1_7vsmem_tEENKUlT_SE_SF_SG_E_clIS8_S8_S9_S9_EESD_ST_SE_SF_SG_EUlST_E_NS1_11comp_targetILNS1_3genE5ELNS1_11target_archE942ELNS1_3gpuE9ELNS1_3repE0EEENS1_48merge_mergepath_partition_config_static_selectorELNS0_4arch9wavefront6targetE0EEEvSF_, .Lfunc_end20-_ZN7rocprim17ROCPRIM_400000_NS6detail17trampoline_kernelINS0_14default_configENS1_38merge_sort_block_merge_config_selectorIhNS0_10empty_typeEEEZZNS1_27merge_sort_block_merge_implIS3_PhPS5_jNS1_19radix_merge_compareILb1ELb0EhNS0_19identity_decomposerEEEEE10hipError_tT0_T1_T2_jT3_P12ihipStream_tbPNSt15iterator_traitsISE_E10value_typeEPNSK_ISF_E10value_typeEPSG_NS1_7vsmem_tEENKUlT_SE_SF_SG_E_clIS8_S8_S9_S9_EESD_ST_SE_SF_SG_EUlST_E_NS1_11comp_targetILNS1_3genE5ELNS1_11target_archE942ELNS1_3gpuE9ELNS1_3repE0EEENS1_48merge_mergepath_partition_config_static_selectorELNS0_4arch9wavefront6targetE0EEEvSF_
                                        ; -- End function
	.set _ZN7rocprim17ROCPRIM_400000_NS6detail17trampoline_kernelINS0_14default_configENS1_38merge_sort_block_merge_config_selectorIhNS0_10empty_typeEEEZZNS1_27merge_sort_block_merge_implIS3_PhPS5_jNS1_19radix_merge_compareILb1ELb0EhNS0_19identity_decomposerEEEEE10hipError_tT0_T1_T2_jT3_P12ihipStream_tbPNSt15iterator_traitsISE_E10value_typeEPNSK_ISF_E10value_typeEPSG_NS1_7vsmem_tEENKUlT_SE_SF_SG_E_clIS8_S8_S9_S9_EESD_ST_SE_SF_SG_EUlST_E_NS1_11comp_targetILNS1_3genE5ELNS1_11target_archE942ELNS1_3gpuE9ELNS1_3repE0EEENS1_48merge_mergepath_partition_config_static_selectorELNS0_4arch9wavefront6targetE0EEEvSF_.num_vgpr, 0
	.set _ZN7rocprim17ROCPRIM_400000_NS6detail17trampoline_kernelINS0_14default_configENS1_38merge_sort_block_merge_config_selectorIhNS0_10empty_typeEEEZZNS1_27merge_sort_block_merge_implIS3_PhPS5_jNS1_19radix_merge_compareILb1ELb0EhNS0_19identity_decomposerEEEEE10hipError_tT0_T1_T2_jT3_P12ihipStream_tbPNSt15iterator_traitsISE_E10value_typeEPNSK_ISF_E10value_typeEPSG_NS1_7vsmem_tEENKUlT_SE_SF_SG_E_clIS8_S8_S9_S9_EESD_ST_SE_SF_SG_EUlST_E_NS1_11comp_targetILNS1_3genE5ELNS1_11target_archE942ELNS1_3gpuE9ELNS1_3repE0EEENS1_48merge_mergepath_partition_config_static_selectorELNS0_4arch9wavefront6targetE0EEEvSF_.num_agpr, 0
	.set _ZN7rocprim17ROCPRIM_400000_NS6detail17trampoline_kernelINS0_14default_configENS1_38merge_sort_block_merge_config_selectorIhNS0_10empty_typeEEEZZNS1_27merge_sort_block_merge_implIS3_PhPS5_jNS1_19radix_merge_compareILb1ELb0EhNS0_19identity_decomposerEEEEE10hipError_tT0_T1_T2_jT3_P12ihipStream_tbPNSt15iterator_traitsISE_E10value_typeEPNSK_ISF_E10value_typeEPSG_NS1_7vsmem_tEENKUlT_SE_SF_SG_E_clIS8_S8_S9_S9_EESD_ST_SE_SF_SG_EUlST_E_NS1_11comp_targetILNS1_3genE5ELNS1_11target_archE942ELNS1_3gpuE9ELNS1_3repE0EEENS1_48merge_mergepath_partition_config_static_selectorELNS0_4arch9wavefront6targetE0EEEvSF_.numbered_sgpr, 0
	.set _ZN7rocprim17ROCPRIM_400000_NS6detail17trampoline_kernelINS0_14default_configENS1_38merge_sort_block_merge_config_selectorIhNS0_10empty_typeEEEZZNS1_27merge_sort_block_merge_implIS3_PhPS5_jNS1_19radix_merge_compareILb1ELb0EhNS0_19identity_decomposerEEEEE10hipError_tT0_T1_T2_jT3_P12ihipStream_tbPNSt15iterator_traitsISE_E10value_typeEPNSK_ISF_E10value_typeEPSG_NS1_7vsmem_tEENKUlT_SE_SF_SG_E_clIS8_S8_S9_S9_EESD_ST_SE_SF_SG_EUlST_E_NS1_11comp_targetILNS1_3genE5ELNS1_11target_archE942ELNS1_3gpuE9ELNS1_3repE0EEENS1_48merge_mergepath_partition_config_static_selectorELNS0_4arch9wavefront6targetE0EEEvSF_.num_named_barrier, 0
	.set _ZN7rocprim17ROCPRIM_400000_NS6detail17trampoline_kernelINS0_14default_configENS1_38merge_sort_block_merge_config_selectorIhNS0_10empty_typeEEEZZNS1_27merge_sort_block_merge_implIS3_PhPS5_jNS1_19radix_merge_compareILb1ELb0EhNS0_19identity_decomposerEEEEE10hipError_tT0_T1_T2_jT3_P12ihipStream_tbPNSt15iterator_traitsISE_E10value_typeEPNSK_ISF_E10value_typeEPSG_NS1_7vsmem_tEENKUlT_SE_SF_SG_E_clIS8_S8_S9_S9_EESD_ST_SE_SF_SG_EUlST_E_NS1_11comp_targetILNS1_3genE5ELNS1_11target_archE942ELNS1_3gpuE9ELNS1_3repE0EEENS1_48merge_mergepath_partition_config_static_selectorELNS0_4arch9wavefront6targetE0EEEvSF_.private_seg_size, 0
	.set _ZN7rocprim17ROCPRIM_400000_NS6detail17trampoline_kernelINS0_14default_configENS1_38merge_sort_block_merge_config_selectorIhNS0_10empty_typeEEEZZNS1_27merge_sort_block_merge_implIS3_PhPS5_jNS1_19radix_merge_compareILb1ELb0EhNS0_19identity_decomposerEEEEE10hipError_tT0_T1_T2_jT3_P12ihipStream_tbPNSt15iterator_traitsISE_E10value_typeEPNSK_ISF_E10value_typeEPSG_NS1_7vsmem_tEENKUlT_SE_SF_SG_E_clIS8_S8_S9_S9_EESD_ST_SE_SF_SG_EUlST_E_NS1_11comp_targetILNS1_3genE5ELNS1_11target_archE942ELNS1_3gpuE9ELNS1_3repE0EEENS1_48merge_mergepath_partition_config_static_selectorELNS0_4arch9wavefront6targetE0EEEvSF_.uses_vcc, 0
	.set _ZN7rocprim17ROCPRIM_400000_NS6detail17trampoline_kernelINS0_14default_configENS1_38merge_sort_block_merge_config_selectorIhNS0_10empty_typeEEEZZNS1_27merge_sort_block_merge_implIS3_PhPS5_jNS1_19radix_merge_compareILb1ELb0EhNS0_19identity_decomposerEEEEE10hipError_tT0_T1_T2_jT3_P12ihipStream_tbPNSt15iterator_traitsISE_E10value_typeEPNSK_ISF_E10value_typeEPSG_NS1_7vsmem_tEENKUlT_SE_SF_SG_E_clIS8_S8_S9_S9_EESD_ST_SE_SF_SG_EUlST_E_NS1_11comp_targetILNS1_3genE5ELNS1_11target_archE942ELNS1_3gpuE9ELNS1_3repE0EEENS1_48merge_mergepath_partition_config_static_selectorELNS0_4arch9wavefront6targetE0EEEvSF_.uses_flat_scratch, 0
	.set _ZN7rocprim17ROCPRIM_400000_NS6detail17trampoline_kernelINS0_14default_configENS1_38merge_sort_block_merge_config_selectorIhNS0_10empty_typeEEEZZNS1_27merge_sort_block_merge_implIS3_PhPS5_jNS1_19radix_merge_compareILb1ELb0EhNS0_19identity_decomposerEEEEE10hipError_tT0_T1_T2_jT3_P12ihipStream_tbPNSt15iterator_traitsISE_E10value_typeEPNSK_ISF_E10value_typeEPSG_NS1_7vsmem_tEENKUlT_SE_SF_SG_E_clIS8_S8_S9_S9_EESD_ST_SE_SF_SG_EUlST_E_NS1_11comp_targetILNS1_3genE5ELNS1_11target_archE942ELNS1_3gpuE9ELNS1_3repE0EEENS1_48merge_mergepath_partition_config_static_selectorELNS0_4arch9wavefront6targetE0EEEvSF_.has_dyn_sized_stack, 0
	.set _ZN7rocprim17ROCPRIM_400000_NS6detail17trampoline_kernelINS0_14default_configENS1_38merge_sort_block_merge_config_selectorIhNS0_10empty_typeEEEZZNS1_27merge_sort_block_merge_implIS3_PhPS5_jNS1_19radix_merge_compareILb1ELb0EhNS0_19identity_decomposerEEEEE10hipError_tT0_T1_T2_jT3_P12ihipStream_tbPNSt15iterator_traitsISE_E10value_typeEPNSK_ISF_E10value_typeEPSG_NS1_7vsmem_tEENKUlT_SE_SF_SG_E_clIS8_S8_S9_S9_EESD_ST_SE_SF_SG_EUlST_E_NS1_11comp_targetILNS1_3genE5ELNS1_11target_archE942ELNS1_3gpuE9ELNS1_3repE0EEENS1_48merge_mergepath_partition_config_static_selectorELNS0_4arch9wavefront6targetE0EEEvSF_.has_recursion, 0
	.set _ZN7rocprim17ROCPRIM_400000_NS6detail17trampoline_kernelINS0_14default_configENS1_38merge_sort_block_merge_config_selectorIhNS0_10empty_typeEEEZZNS1_27merge_sort_block_merge_implIS3_PhPS5_jNS1_19radix_merge_compareILb1ELb0EhNS0_19identity_decomposerEEEEE10hipError_tT0_T1_T2_jT3_P12ihipStream_tbPNSt15iterator_traitsISE_E10value_typeEPNSK_ISF_E10value_typeEPSG_NS1_7vsmem_tEENKUlT_SE_SF_SG_E_clIS8_S8_S9_S9_EESD_ST_SE_SF_SG_EUlST_E_NS1_11comp_targetILNS1_3genE5ELNS1_11target_archE942ELNS1_3gpuE9ELNS1_3repE0EEENS1_48merge_mergepath_partition_config_static_selectorELNS0_4arch9wavefront6targetE0EEEvSF_.has_indirect_call, 0
	.section	.AMDGPU.csdata,"",@progbits
; Kernel info:
; codeLenInByte = 0
; TotalNumSgprs: 0
; NumVgprs: 0
; ScratchSize: 0
; MemoryBound: 0
; FloatMode: 240
; IeeeMode: 1
; LDSByteSize: 0 bytes/workgroup (compile time only)
; SGPRBlocks: 0
; VGPRBlocks: 0
; NumSGPRsForWavesPerEU: 1
; NumVGPRsForWavesPerEU: 1
; NamedBarCnt: 0
; Occupancy: 16
; WaveLimiterHint : 0
; COMPUTE_PGM_RSRC2:SCRATCH_EN: 0
; COMPUTE_PGM_RSRC2:USER_SGPR: 2
; COMPUTE_PGM_RSRC2:TRAP_HANDLER: 0
; COMPUTE_PGM_RSRC2:TGID_X_EN: 1
; COMPUTE_PGM_RSRC2:TGID_Y_EN: 0
; COMPUTE_PGM_RSRC2:TGID_Z_EN: 0
; COMPUTE_PGM_RSRC2:TIDIG_COMP_CNT: 0
	.section	.text._ZN7rocprim17ROCPRIM_400000_NS6detail17trampoline_kernelINS0_14default_configENS1_38merge_sort_block_merge_config_selectorIhNS0_10empty_typeEEEZZNS1_27merge_sort_block_merge_implIS3_PhPS5_jNS1_19radix_merge_compareILb1ELb0EhNS0_19identity_decomposerEEEEE10hipError_tT0_T1_T2_jT3_P12ihipStream_tbPNSt15iterator_traitsISE_E10value_typeEPNSK_ISF_E10value_typeEPSG_NS1_7vsmem_tEENKUlT_SE_SF_SG_E_clIS8_S8_S9_S9_EESD_ST_SE_SF_SG_EUlST_E_NS1_11comp_targetILNS1_3genE4ELNS1_11target_archE910ELNS1_3gpuE8ELNS1_3repE0EEENS1_48merge_mergepath_partition_config_static_selectorELNS0_4arch9wavefront6targetE0EEEvSF_,"axG",@progbits,_ZN7rocprim17ROCPRIM_400000_NS6detail17trampoline_kernelINS0_14default_configENS1_38merge_sort_block_merge_config_selectorIhNS0_10empty_typeEEEZZNS1_27merge_sort_block_merge_implIS3_PhPS5_jNS1_19radix_merge_compareILb1ELb0EhNS0_19identity_decomposerEEEEE10hipError_tT0_T1_T2_jT3_P12ihipStream_tbPNSt15iterator_traitsISE_E10value_typeEPNSK_ISF_E10value_typeEPSG_NS1_7vsmem_tEENKUlT_SE_SF_SG_E_clIS8_S8_S9_S9_EESD_ST_SE_SF_SG_EUlST_E_NS1_11comp_targetILNS1_3genE4ELNS1_11target_archE910ELNS1_3gpuE8ELNS1_3repE0EEENS1_48merge_mergepath_partition_config_static_selectorELNS0_4arch9wavefront6targetE0EEEvSF_,comdat
	.protected	_ZN7rocprim17ROCPRIM_400000_NS6detail17trampoline_kernelINS0_14default_configENS1_38merge_sort_block_merge_config_selectorIhNS0_10empty_typeEEEZZNS1_27merge_sort_block_merge_implIS3_PhPS5_jNS1_19radix_merge_compareILb1ELb0EhNS0_19identity_decomposerEEEEE10hipError_tT0_T1_T2_jT3_P12ihipStream_tbPNSt15iterator_traitsISE_E10value_typeEPNSK_ISF_E10value_typeEPSG_NS1_7vsmem_tEENKUlT_SE_SF_SG_E_clIS8_S8_S9_S9_EESD_ST_SE_SF_SG_EUlST_E_NS1_11comp_targetILNS1_3genE4ELNS1_11target_archE910ELNS1_3gpuE8ELNS1_3repE0EEENS1_48merge_mergepath_partition_config_static_selectorELNS0_4arch9wavefront6targetE0EEEvSF_ ; -- Begin function _ZN7rocprim17ROCPRIM_400000_NS6detail17trampoline_kernelINS0_14default_configENS1_38merge_sort_block_merge_config_selectorIhNS0_10empty_typeEEEZZNS1_27merge_sort_block_merge_implIS3_PhPS5_jNS1_19radix_merge_compareILb1ELb0EhNS0_19identity_decomposerEEEEE10hipError_tT0_T1_T2_jT3_P12ihipStream_tbPNSt15iterator_traitsISE_E10value_typeEPNSK_ISF_E10value_typeEPSG_NS1_7vsmem_tEENKUlT_SE_SF_SG_E_clIS8_S8_S9_S9_EESD_ST_SE_SF_SG_EUlST_E_NS1_11comp_targetILNS1_3genE4ELNS1_11target_archE910ELNS1_3gpuE8ELNS1_3repE0EEENS1_48merge_mergepath_partition_config_static_selectorELNS0_4arch9wavefront6targetE0EEEvSF_
	.globl	_ZN7rocprim17ROCPRIM_400000_NS6detail17trampoline_kernelINS0_14default_configENS1_38merge_sort_block_merge_config_selectorIhNS0_10empty_typeEEEZZNS1_27merge_sort_block_merge_implIS3_PhPS5_jNS1_19radix_merge_compareILb1ELb0EhNS0_19identity_decomposerEEEEE10hipError_tT0_T1_T2_jT3_P12ihipStream_tbPNSt15iterator_traitsISE_E10value_typeEPNSK_ISF_E10value_typeEPSG_NS1_7vsmem_tEENKUlT_SE_SF_SG_E_clIS8_S8_S9_S9_EESD_ST_SE_SF_SG_EUlST_E_NS1_11comp_targetILNS1_3genE4ELNS1_11target_archE910ELNS1_3gpuE8ELNS1_3repE0EEENS1_48merge_mergepath_partition_config_static_selectorELNS0_4arch9wavefront6targetE0EEEvSF_
	.p2align	8
	.type	_ZN7rocprim17ROCPRIM_400000_NS6detail17trampoline_kernelINS0_14default_configENS1_38merge_sort_block_merge_config_selectorIhNS0_10empty_typeEEEZZNS1_27merge_sort_block_merge_implIS3_PhPS5_jNS1_19radix_merge_compareILb1ELb0EhNS0_19identity_decomposerEEEEE10hipError_tT0_T1_T2_jT3_P12ihipStream_tbPNSt15iterator_traitsISE_E10value_typeEPNSK_ISF_E10value_typeEPSG_NS1_7vsmem_tEENKUlT_SE_SF_SG_E_clIS8_S8_S9_S9_EESD_ST_SE_SF_SG_EUlST_E_NS1_11comp_targetILNS1_3genE4ELNS1_11target_archE910ELNS1_3gpuE8ELNS1_3repE0EEENS1_48merge_mergepath_partition_config_static_selectorELNS0_4arch9wavefront6targetE0EEEvSF_,@function
_ZN7rocprim17ROCPRIM_400000_NS6detail17trampoline_kernelINS0_14default_configENS1_38merge_sort_block_merge_config_selectorIhNS0_10empty_typeEEEZZNS1_27merge_sort_block_merge_implIS3_PhPS5_jNS1_19radix_merge_compareILb1ELb0EhNS0_19identity_decomposerEEEEE10hipError_tT0_T1_T2_jT3_P12ihipStream_tbPNSt15iterator_traitsISE_E10value_typeEPNSK_ISF_E10value_typeEPSG_NS1_7vsmem_tEENKUlT_SE_SF_SG_E_clIS8_S8_S9_S9_EESD_ST_SE_SF_SG_EUlST_E_NS1_11comp_targetILNS1_3genE4ELNS1_11target_archE910ELNS1_3gpuE8ELNS1_3repE0EEENS1_48merge_mergepath_partition_config_static_selectorELNS0_4arch9wavefront6targetE0EEEvSF_: ; @_ZN7rocprim17ROCPRIM_400000_NS6detail17trampoline_kernelINS0_14default_configENS1_38merge_sort_block_merge_config_selectorIhNS0_10empty_typeEEEZZNS1_27merge_sort_block_merge_implIS3_PhPS5_jNS1_19radix_merge_compareILb1ELb0EhNS0_19identity_decomposerEEEEE10hipError_tT0_T1_T2_jT3_P12ihipStream_tbPNSt15iterator_traitsISE_E10value_typeEPNSK_ISF_E10value_typeEPSG_NS1_7vsmem_tEENKUlT_SE_SF_SG_E_clIS8_S8_S9_S9_EESD_ST_SE_SF_SG_EUlST_E_NS1_11comp_targetILNS1_3genE4ELNS1_11target_archE910ELNS1_3gpuE8ELNS1_3repE0EEENS1_48merge_mergepath_partition_config_static_selectorELNS0_4arch9wavefront6targetE0EEEvSF_
; %bb.0:
	.section	.rodata,"a",@progbits
	.p2align	6, 0x0
	.amdhsa_kernel _ZN7rocprim17ROCPRIM_400000_NS6detail17trampoline_kernelINS0_14default_configENS1_38merge_sort_block_merge_config_selectorIhNS0_10empty_typeEEEZZNS1_27merge_sort_block_merge_implIS3_PhPS5_jNS1_19radix_merge_compareILb1ELb0EhNS0_19identity_decomposerEEEEE10hipError_tT0_T1_T2_jT3_P12ihipStream_tbPNSt15iterator_traitsISE_E10value_typeEPNSK_ISF_E10value_typeEPSG_NS1_7vsmem_tEENKUlT_SE_SF_SG_E_clIS8_S8_S9_S9_EESD_ST_SE_SF_SG_EUlST_E_NS1_11comp_targetILNS1_3genE4ELNS1_11target_archE910ELNS1_3gpuE8ELNS1_3repE0EEENS1_48merge_mergepath_partition_config_static_selectorELNS0_4arch9wavefront6targetE0EEEvSF_
		.amdhsa_group_segment_fixed_size 0
		.amdhsa_private_segment_fixed_size 0
		.amdhsa_kernarg_size 40
		.amdhsa_user_sgpr_count 2
		.amdhsa_user_sgpr_dispatch_ptr 0
		.amdhsa_user_sgpr_queue_ptr 0
		.amdhsa_user_sgpr_kernarg_segment_ptr 1
		.amdhsa_user_sgpr_dispatch_id 0
		.amdhsa_user_sgpr_kernarg_preload_length 0
		.amdhsa_user_sgpr_kernarg_preload_offset 0
		.amdhsa_user_sgpr_private_segment_size 0
		.amdhsa_wavefront_size32 1
		.amdhsa_uses_dynamic_stack 0
		.amdhsa_enable_private_segment 0
		.amdhsa_system_sgpr_workgroup_id_x 1
		.amdhsa_system_sgpr_workgroup_id_y 0
		.amdhsa_system_sgpr_workgroup_id_z 0
		.amdhsa_system_sgpr_workgroup_info 0
		.amdhsa_system_vgpr_workitem_id 0
		.amdhsa_next_free_vgpr 1
		.amdhsa_next_free_sgpr 1
		.amdhsa_named_barrier_count 0
		.amdhsa_reserve_vcc 0
		.amdhsa_float_round_mode_32 0
		.amdhsa_float_round_mode_16_64 0
		.amdhsa_float_denorm_mode_32 3
		.amdhsa_float_denorm_mode_16_64 3
		.amdhsa_fp16_overflow 0
		.amdhsa_memory_ordered 1
		.amdhsa_forward_progress 1
		.amdhsa_inst_pref_size 0
		.amdhsa_round_robin_scheduling 0
		.amdhsa_exception_fp_ieee_invalid_op 0
		.amdhsa_exception_fp_denorm_src 0
		.amdhsa_exception_fp_ieee_div_zero 0
		.amdhsa_exception_fp_ieee_overflow 0
		.amdhsa_exception_fp_ieee_underflow 0
		.amdhsa_exception_fp_ieee_inexact 0
		.amdhsa_exception_int_div_zero 0
	.end_amdhsa_kernel
	.section	.text._ZN7rocprim17ROCPRIM_400000_NS6detail17trampoline_kernelINS0_14default_configENS1_38merge_sort_block_merge_config_selectorIhNS0_10empty_typeEEEZZNS1_27merge_sort_block_merge_implIS3_PhPS5_jNS1_19radix_merge_compareILb1ELb0EhNS0_19identity_decomposerEEEEE10hipError_tT0_T1_T2_jT3_P12ihipStream_tbPNSt15iterator_traitsISE_E10value_typeEPNSK_ISF_E10value_typeEPSG_NS1_7vsmem_tEENKUlT_SE_SF_SG_E_clIS8_S8_S9_S9_EESD_ST_SE_SF_SG_EUlST_E_NS1_11comp_targetILNS1_3genE4ELNS1_11target_archE910ELNS1_3gpuE8ELNS1_3repE0EEENS1_48merge_mergepath_partition_config_static_selectorELNS0_4arch9wavefront6targetE0EEEvSF_,"axG",@progbits,_ZN7rocprim17ROCPRIM_400000_NS6detail17trampoline_kernelINS0_14default_configENS1_38merge_sort_block_merge_config_selectorIhNS0_10empty_typeEEEZZNS1_27merge_sort_block_merge_implIS3_PhPS5_jNS1_19radix_merge_compareILb1ELb0EhNS0_19identity_decomposerEEEEE10hipError_tT0_T1_T2_jT3_P12ihipStream_tbPNSt15iterator_traitsISE_E10value_typeEPNSK_ISF_E10value_typeEPSG_NS1_7vsmem_tEENKUlT_SE_SF_SG_E_clIS8_S8_S9_S9_EESD_ST_SE_SF_SG_EUlST_E_NS1_11comp_targetILNS1_3genE4ELNS1_11target_archE910ELNS1_3gpuE8ELNS1_3repE0EEENS1_48merge_mergepath_partition_config_static_selectorELNS0_4arch9wavefront6targetE0EEEvSF_,comdat
.Lfunc_end21:
	.size	_ZN7rocprim17ROCPRIM_400000_NS6detail17trampoline_kernelINS0_14default_configENS1_38merge_sort_block_merge_config_selectorIhNS0_10empty_typeEEEZZNS1_27merge_sort_block_merge_implIS3_PhPS5_jNS1_19radix_merge_compareILb1ELb0EhNS0_19identity_decomposerEEEEE10hipError_tT0_T1_T2_jT3_P12ihipStream_tbPNSt15iterator_traitsISE_E10value_typeEPNSK_ISF_E10value_typeEPSG_NS1_7vsmem_tEENKUlT_SE_SF_SG_E_clIS8_S8_S9_S9_EESD_ST_SE_SF_SG_EUlST_E_NS1_11comp_targetILNS1_3genE4ELNS1_11target_archE910ELNS1_3gpuE8ELNS1_3repE0EEENS1_48merge_mergepath_partition_config_static_selectorELNS0_4arch9wavefront6targetE0EEEvSF_, .Lfunc_end21-_ZN7rocprim17ROCPRIM_400000_NS6detail17trampoline_kernelINS0_14default_configENS1_38merge_sort_block_merge_config_selectorIhNS0_10empty_typeEEEZZNS1_27merge_sort_block_merge_implIS3_PhPS5_jNS1_19radix_merge_compareILb1ELb0EhNS0_19identity_decomposerEEEEE10hipError_tT0_T1_T2_jT3_P12ihipStream_tbPNSt15iterator_traitsISE_E10value_typeEPNSK_ISF_E10value_typeEPSG_NS1_7vsmem_tEENKUlT_SE_SF_SG_E_clIS8_S8_S9_S9_EESD_ST_SE_SF_SG_EUlST_E_NS1_11comp_targetILNS1_3genE4ELNS1_11target_archE910ELNS1_3gpuE8ELNS1_3repE0EEENS1_48merge_mergepath_partition_config_static_selectorELNS0_4arch9wavefront6targetE0EEEvSF_
                                        ; -- End function
	.set _ZN7rocprim17ROCPRIM_400000_NS6detail17trampoline_kernelINS0_14default_configENS1_38merge_sort_block_merge_config_selectorIhNS0_10empty_typeEEEZZNS1_27merge_sort_block_merge_implIS3_PhPS5_jNS1_19radix_merge_compareILb1ELb0EhNS0_19identity_decomposerEEEEE10hipError_tT0_T1_T2_jT3_P12ihipStream_tbPNSt15iterator_traitsISE_E10value_typeEPNSK_ISF_E10value_typeEPSG_NS1_7vsmem_tEENKUlT_SE_SF_SG_E_clIS8_S8_S9_S9_EESD_ST_SE_SF_SG_EUlST_E_NS1_11comp_targetILNS1_3genE4ELNS1_11target_archE910ELNS1_3gpuE8ELNS1_3repE0EEENS1_48merge_mergepath_partition_config_static_selectorELNS0_4arch9wavefront6targetE0EEEvSF_.num_vgpr, 0
	.set _ZN7rocprim17ROCPRIM_400000_NS6detail17trampoline_kernelINS0_14default_configENS1_38merge_sort_block_merge_config_selectorIhNS0_10empty_typeEEEZZNS1_27merge_sort_block_merge_implIS3_PhPS5_jNS1_19radix_merge_compareILb1ELb0EhNS0_19identity_decomposerEEEEE10hipError_tT0_T1_T2_jT3_P12ihipStream_tbPNSt15iterator_traitsISE_E10value_typeEPNSK_ISF_E10value_typeEPSG_NS1_7vsmem_tEENKUlT_SE_SF_SG_E_clIS8_S8_S9_S9_EESD_ST_SE_SF_SG_EUlST_E_NS1_11comp_targetILNS1_3genE4ELNS1_11target_archE910ELNS1_3gpuE8ELNS1_3repE0EEENS1_48merge_mergepath_partition_config_static_selectorELNS0_4arch9wavefront6targetE0EEEvSF_.num_agpr, 0
	.set _ZN7rocprim17ROCPRIM_400000_NS6detail17trampoline_kernelINS0_14default_configENS1_38merge_sort_block_merge_config_selectorIhNS0_10empty_typeEEEZZNS1_27merge_sort_block_merge_implIS3_PhPS5_jNS1_19radix_merge_compareILb1ELb0EhNS0_19identity_decomposerEEEEE10hipError_tT0_T1_T2_jT3_P12ihipStream_tbPNSt15iterator_traitsISE_E10value_typeEPNSK_ISF_E10value_typeEPSG_NS1_7vsmem_tEENKUlT_SE_SF_SG_E_clIS8_S8_S9_S9_EESD_ST_SE_SF_SG_EUlST_E_NS1_11comp_targetILNS1_3genE4ELNS1_11target_archE910ELNS1_3gpuE8ELNS1_3repE0EEENS1_48merge_mergepath_partition_config_static_selectorELNS0_4arch9wavefront6targetE0EEEvSF_.numbered_sgpr, 0
	.set _ZN7rocprim17ROCPRIM_400000_NS6detail17trampoline_kernelINS0_14default_configENS1_38merge_sort_block_merge_config_selectorIhNS0_10empty_typeEEEZZNS1_27merge_sort_block_merge_implIS3_PhPS5_jNS1_19radix_merge_compareILb1ELb0EhNS0_19identity_decomposerEEEEE10hipError_tT0_T1_T2_jT3_P12ihipStream_tbPNSt15iterator_traitsISE_E10value_typeEPNSK_ISF_E10value_typeEPSG_NS1_7vsmem_tEENKUlT_SE_SF_SG_E_clIS8_S8_S9_S9_EESD_ST_SE_SF_SG_EUlST_E_NS1_11comp_targetILNS1_3genE4ELNS1_11target_archE910ELNS1_3gpuE8ELNS1_3repE0EEENS1_48merge_mergepath_partition_config_static_selectorELNS0_4arch9wavefront6targetE0EEEvSF_.num_named_barrier, 0
	.set _ZN7rocprim17ROCPRIM_400000_NS6detail17trampoline_kernelINS0_14default_configENS1_38merge_sort_block_merge_config_selectorIhNS0_10empty_typeEEEZZNS1_27merge_sort_block_merge_implIS3_PhPS5_jNS1_19radix_merge_compareILb1ELb0EhNS0_19identity_decomposerEEEEE10hipError_tT0_T1_T2_jT3_P12ihipStream_tbPNSt15iterator_traitsISE_E10value_typeEPNSK_ISF_E10value_typeEPSG_NS1_7vsmem_tEENKUlT_SE_SF_SG_E_clIS8_S8_S9_S9_EESD_ST_SE_SF_SG_EUlST_E_NS1_11comp_targetILNS1_3genE4ELNS1_11target_archE910ELNS1_3gpuE8ELNS1_3repE0EEENS1_48merge_mergepath_partition_config_static_selectorELNS0_4arch9wavefront6targetE0EEEvSF_.private_seg_size, 0
	.set _ZN7rocprim17ROCPRIM_400000_NS6detail17trampoline_kernelINS0_14default_configENS1_38merge_sort_block_merge_config_selectorIhNS0_10empty_typeEEEZZNS1_27merge_sort_block_merge_implIS3_PhPS5_jNS1_19radix_merge_compareILb1ELb0EhNS0_19identity_decomposerEEEEE10hipError_tT0_T1_T2_jT3_P12ihipStream_tbPNSt15iterator_traitsISE_E10value_typeEPNSK_ISF_E10value_typeEPSG_NS1_7vsmem_tEENKUlT_SE_SF_SG_E_clIS8_S8_S9_S9_EESD_ST_SE_SF_SG_EUlST_E_NS1_11comp_targetILNS1_3genE4ELNS1_11target_archE910ELNS1_3gpuE8ELNS1_3repE0EEENS1_48merge_mergepath_partition_config_static_selectorELNS0_4arch9wavefront6targetE0EEEvSF_.uses_vcc, 0
	.set _ZN7rocprim17ROCPRIM_400000_NS6detail17trampoline_kernelINS0_14default_configENS1_38merge_sort_block_merge_config_selectorIhNS0_10empty_typeEEEZZNS1_27merge_sort_block_merge_implIS3_PhPS5_jNS1_19radix_merge_compareILb1ELb0EhNS0_19identity_decomposerEEEEE10hipError_tT0_T1_T2_jT3_P12ihipStream_tbPNSt15iterator_traitsISE_E10value_typeEPNSK_ISF_E10value_typeEPSG_NS1_7vsmem_tEENKUlT_SE_SF_SG_E_clIS8_S8_S9_S9_EESD_ST_SE_SF_SG_EUlST_E_NS1_11comp_targetILNS1_3genE4ELNS1_11target_archE910ELNS1_3gpuE8ELNS1_3repE0EEENS1_48merge_mergepath_partition_config_static_selectorELNS0_4arch9wavefront6targetE0EEEvSF_.uses_flat_scratch, 0
	.set _ZN7rocprim17ROCPRIM_400000_NS6detail17trampoline_kernelINS0_14default_configENS1_38merge_sort_block_merge_config_selectorIhNS0_10empty_typeEEEZZNS1_27merge_sort_block_merge_implIS3_PhPS5_jNS1_19radix_merge_compareILb1ELb0EhNS0_19identity_decomposerEEEEE10hipError_tT0_T1_T2_jT3_P12ihipStream_tbPNSt15iterator_traitsISE_E10value_typeEPNSK_ISF_E10value_typeEPSG_NS1_7vsmem_tEENKUlT_SE_SF_SG_E_clIS8_S8_S9_S9_EESD_ST_SE_SF_SG_EUlST_E_NS1_11comp_targetILNS1_3genE4ELNS1_11target_archE910ELNS1_3gpuE8ELNS1_3repE0EEENS1_48merge_mergepath_partition_config_static_selectorELNS0_4arch9wavefront6targetE0EEEvSF_.has_dyn_sized_stack, 0
	.set _ZN7rocprim17ROCPRIM_400000_NS6detail17trampoline_kernelINS0_14default_configENS1_38merge_sort_block_merge_config_selectorIhNS0_10empty_typeEEEZZNS1_27merge_sort_block_merge_implIS3_PhPS5_jNS1_19radix_merge_compareILb1ELb0EhNS0_19identity_decomposerEEEEE10hipError_tT0_T1_T2_jT3_P12ihipStream_tbPNSt15iterator_traitsISE_E10value_typeEPNSK_ISF_E10value_typeEPSG_NS1_7vsmem_tEENKUlT_SE_SF_SG_E_clIS8_S8_S9_S9_EESD_ST_SE_SF_SG_EUlST_E_NS1_11comp_targetILNS1_3genE4ELNS1_11target_archE910ELNS1_3gpuE8ELNS1_3repE0EEENS1_48merge_mergepath_partition_config_static_selectorELNS0_4arch9wavefront6targetE0EEEvSF_.has_recursion, 0
	.set _ZN7rocprim17ROCPRIM_400000_NS6detail17trampoline_kernelINS0_14default_configENS1_38merge_sort_block_merge_config_selectorIhNS0_10empty_typeEEEZZNS1_27merge_sort_block_merge_implIS3_PhPS5_jNS1_19radix_merge_compareILb1ELb0EhNS0_19identity_decomposerEEEEE10hipError_tT0_T1_T2_jT3_P12ihipStream_tbPNSt15iterator_traitsISE_E10value_typeEPNSK_ISF_E10value_typeEPSG_NS1_7vsmem_tEENKUlT_SE_SF_SG_E_clIS8_S8_S9_S9_EESD_ST_SE_SF_SG_EUlST_E_NS1_11comp_targetILNS1_3genE4ELNS1_11target_archE910ELNS1_3gpuE8ELNS1_3repE0EEENS1_48merge_mergepath_partition_config_static_selectorELNS0_4arch9wavefront6targetE0EEEvSF_.has_indirect_call, 0
	.section	.AMDGPU.csdata,"",@progbits
; Kernel info:
; codeLenInByte = 0
; TotalNumSgprs: 0
; NumVgprs: 0
; ScratchSize: 0
; MemoryBound: 0
; FloatMode: 240
; IeeeMode: 1
; LDSByteSize: 0 bytes/workgroup (compile time only)
; SGPRBlocks: 0
; VGPRBlocks: 0
; NumSGPRsForWavesPerEU: 1
; NumVGPRsForWavesPerEU: 1
; NamedBarCnt: 0
; Occupancy: 16
; WaveLimiterHint : 0
; COMPUTE_PGM_RSRC2:SCRATCH_EN: 0
; COMPUTE_PGM_RSRC2:USER_SGPR: 2
; COMPUTE_PGM_RSRC2:TRAP_HANDLER: 0
; COMPUTE_PGM_RSRC2:TGID_X_EN: 1
; COMPUTE_PGM_RSRC2:TGID_Y_EN: 0
; COMPUTE_PGM_RSRC2:TGID_Z_EN: 0
; COMPUTE_PGM_RSRC2:TIDIG_COMP_CNT: 0
	.section	.text._ZN7rocprim17ROCPRIM_400000_NS6detail17trampoline_kernelINS0_14default_configENS1_38merge_sort_block_merge_config_selectorIhNS0_10empty_typeEEEZZNS1_27merge_sort_block_merge_implIS3_PhPS5_jNS1_19radix_merge_compareILb1ELb0EhNS0_19identity_decomposerEEEEE10hipError_tT0_T1_T2_jT3_P12ihipStream_tbPNSt15iterator_traitsISE_E10value_typeEPNSK_ISF_E10value_typeEPSG_NS1_7vsmem_tEENKUlT_SE_SF_SG_E_clIS8_S8_S9_S9_EESD_ST_SE_SF_SG_EUlST_E_NS1_11comp_targetILNS1_3genE3ELNS1_11target_archE908ELNS1_3gpuE7ELNS1_3repE0EEENS1_48merge_mergepath_partition_config_static_selectorELNS0_4arch9wavefront6targetE0EEEvSF_,"axG",@progbits,_ZN7rocprim17ROCPRIM_400000_NS6detail17trampoline_kernelINS0_14default_configENS1_38merge_sort_block_merge_config_selectorIhNS0_10empty_typeEEEZZNS1_27merge_sort_block_merge_implIS3_PhPS5_jNS1_19radix_merge_compareILb1ELb0EhNS0_19identity_decomposerEEEEE10hipError_tT0_T1_T2_jT3_P12ihipStream_tbPNSt15iterator_traitsISE_E10value_typeEPNSK_ISF_E10value_typeEPSG_NS1_7vsmem_tEENKUlT_SE_SF_SG_E_clIS8_S8_S9_S9_EESD_ST_SE_SF_SG_EUlST_E_NS1_11comp_targetILNS1_3genE3ELNS1_11target_archE908ELNS1_3gpuE7ELNS1_3repE0EEENS1_48merge_mergepath_partition_config_static_selectorELNS0_4arch9wavefront6targetE0EEEvSF_,comdat
	.protected	_ZN7rocprim17ROCPRIM_400000_NS6detail17trampoline_kernelINS0_14default_configENS1_38merge_sort_block_merge_config_selectorIhNS0_10empty_typeEEEZZNS1_27merge_sort_block_merge_implIS3_PhPS5_jNS1_19radix_merge_compareILb1ELb0EhNS0_19identity_decomposerEEEEE10hipError_tT0_T1_T2_jT3_P12ihipStream_tbPNSt15iterator_traitsISE_E10value_typeEPNSK_ISF_E10value_typeEPSG_NS1_7vsmem_tEENKUlT_SE_SF_SG_E_clIS8_S8_S9_S9_EESD_ST_SE_SF_SG_EUlST_E_NS1_11comp_targetILNS1_3genE3ELNS1_11target_archE908ELNS1_3gpuE7ELNS1_3repE0EEENS1_48merge_mergepath_partition_config_static_selectorELNS0_4arch9wavefront6targetE0EEEvSF_ ; -- Begin function _ZN7rocprim17ROCPRIM_400000_NS6detail17trampoline_kernelINS0_14default_configENS1_38merge_sort_block_merge_config_selectorIhNS0_10empty_typeEEEZZNS1_27merge_sort_block_merge_implIS3_PhPS5_jNS1_19radix_merge_compareILb1ELb0EhNS0_19identity_decomposerEEEEE10hipError_tT0_T1_T2_jT3_P12ihipStream_tbPNSt15iterator_traitsISE_E10value_typeEPNSK_ISF_E10value_typeEPSG_NS1_7vsmem_tEENKUlT_SE_SF_SG_E_clIS8_S8_S9_S9_EESD_ST_SE_SF_SG_EUlST_E_NS1_11comp_targetILNS1_3genE3ELNS1_11target_archE908ELNS1_3gpuE7ELNS1_3repE0EEENS1_48merge_mergepath_partition_config_static_selectorELNS0_4arch9wavefront6targetE0EEEvSF_
	.globl	_ZN7rocprim17ROCPRIM_400000_NS6detail17trampoline_kernelINS0_14default_configENS1_38merge_sort_block_merge_config_selectorIhNS0_10empty_typeEEEZZNS1_27merge_sort_block_merge_implIS3_PhPS5_jNS1_19radix_merge_compareILb1ELb0EhNS0_19identity_decomposerEEEEE10hipError_tT0_T1_T2_jT3_P12ihipStream_tbPNSt15iterator_traitsISE_E10value_typeEPNSK_ISF_E10value_typeEPSG_NS1_7vsmem_tEENKUlT_SE_SF_SG_E_clIS8_S8_S9_S9_EESD_ST_SE_SF_SG_EUlST_E_NS1_11comp_targetILNS1_3genE3ELNS1_11target_archE908ELNS1_3gpuE7ELNS1_3repE0EEENS1_48merge_mergepath_partition_config_static_selectorELNS0_4arch9wavefront6targetE0EEEvSF_
	.p2align	8
	.type	_ZN7rocprim17ROCPRIM_400000_NS6detail17trampoline_kernelINS0_14default_configENS1_38merge_sort_block_merge_config_selectorIhNS0_10empty_typeEEEZZNS1_27merge_sort_block_merge_implIS3_PhPS5_jNS1_19radix_merge_compareILb1ELb0EhNS0_19identity_decomposerEEEEE10hipError_tT0_T1_T2_jT3_P12ihipStream_tbPNSt15iterator_traitsISE_E10value_typeEPNSK_ISF_E10value_typeEPSG_NS1_7vsmem_tEENKUlT_SE_SF_SG_E_clIS8_S8_S9_S9_EESD_ST_SE_SF_SG_EUlST_E_NS1_11comp_targetILNS1_3genE3ELNS1_11target_archE908ELNS1_3gpuE7ELNS1_3repE0EEENS1_48merge_mergepath_partition_config_static_selectorELNS0_4arch9wavefront6targetE0EEEvSF_,@function
_ZN7rocprim17ROCPRIM_400000_NS6detail17trampoline_kernelINS0_14default_configENS1_38merge_sort_block_merge_config_selectorIhNS0_10empty_typeEEEZZNS1_27merge_sort_block_merge_implIS3_PhPS5_jNS1_19radix_merge_compareILb1ELb0EhNS0_19identity_decomposerEEEEE10hipError_tT0_T1_T2_jT3_P12ihipStream_tbPNSt15iterator_traitsISE_E10value_typeEPNSK_ISF_E10value_typeEPSG_NS1_7vsmem_tEENKUlT_SE_SF_SG_E_clIS8_S8_S9_S9_EESD_ST_SE_SF_SG_EUlST_E_NS1_11comp_targetILNS1_3genE3ELNS1_11target_archE908ELNS1_3gpuE7ELNS1_3repE0EEENS1_48merge_mergepath_partition_config_static_selectorELNS0_4arch9wavefront6targetE0EEEvSF_: ; @_ZN7rocprim17ROCPRIM_400000_NS6detail17trampoline_kernelINS0_14default_configENS1_38merge_sort_block_merge_config_selectorIhNS0_10empty_typeEEEZZNS1_27merge_sort_block_merge_implIS3_PhPS5_jNS1_19radix_merge_compareILb1ELb0EhNS0_19identity_decomposerEEEEE10hipError_tT0_T1_T2_jT3_P12ihipStream_tbPNSt15iterator_traitsISE_E10value_typeEPNSK_ISF_E10value_typeEPSG_NS1_7vsmem_tEENKUlT_SE_SF_SG_E_clIS8_S8_S9_S9_EESD_ST_SE_SF_SG_EUlST_E_NS1_11comp_targetILNS1_3genE3ELNS1_11target_archE908ELNS1_3gpuE7ELNS1_3repE0EEENS1_48merge_mergepath_partition_config_static_selectorELNS0_4arch9wavefront6targetE0EEEvSF_
; %bb.0:
	.section	.rodata,"a",@progbits
	.p2align	6, 0x0
	.amdhsa_kernel _ZN7rocprim17ROCPRIM_400000_NS6detail17trampoline_kernelINS0_14default_configENS1_38merge_sort_block_merge_config_selectorIhNS0_10empty_typeEEEZZNS1_27merge_sort_block_merge_implIS3_PhPS5_jNS1_19radix_merge_compareILb1ELb0EhNS0_19identity_decomposerEEEEE10hipError_tT0_T1_T2_jT3_P12ihipStream_tbPNSt15iterator_traitsISE_E10value_typeEPNSK_ISF_E10value_typeEPSG_NS1_7vsmem_tEENKUlT_SE_SF_SG_E_clIS8_S8_S9_S9_EESD_ST_SE_SF_SG_EUlST_E_NS1_11comp_targetILNS1_3genE3ELNS1_11target_archE908ELNS1_3gpuE7ELNS1_3repE0EEENS1_48merge_mergepath_partition_config_static_selectorELNS0_4arch9wavefront6targetE0EEEvSF_
		.amdhsa_group_segment_fixed_size 0
		.amdhsa_private_segment_fixed_size 0
		.amdhsa_kernarg_size 40
		.amdhsa_user_sgpr_count 2
		.amdhsa_user_sgpr_dispatch_ptr 0
		.amdhsa_user_sgpr_queue_ptr 0
		.amdhsa_user_sgpr_kernarg_segment_ptr 1
		.amdhsa_user_sgpr_dispatch_id 0
		.amdhsa_user_sgpr_kernarg_preload_length 0
		.amdhsa_user_sgpr_kernarg_preload_offset 0
		.amdhsa_user_sgpr_private_segment_size 0
		.amdhsa_wavefront_size32 1
		.amdhsa_uses_dynamic_stack 0
		.amdhsa_enable_private_segment 0
		.amdhsa_system_sgpr_workgroup_id_x 1
		.amdhsa_system_sgpr_workgroup_id_y 0
		.amdhsa_system_sgpr_workgroup_id_z 0
		.amdhsa_system_sgpr_workgroup_info 0
		.amdhsa_system_vgpr_workitem_id 0
		.amdhsa_next_free_vgpr 1
		.amdhsa_next_free_sgpr 1
		.amdhsa_named_barrier_count 0
		.amdhsa_reserve_vcc 0
		.amdhsa_float_round_mode_32 0
		.amdhsa_float_round_mode_16_64 0
		.amdhsa_float_denorm_mode_32 3
		.amdhsa_float_denorm_mode_16_64 3
		.amdhsa_fp16_overflow 0
		.amdhsa_memory_ordered 1
		.amdhsa_forward_progress 1
		.amdhsa_inst_pref_size 0
		.amdhsa_round_robin_scheduling 0
		.amdhsa_exception_fp_ieee_invalid_op 0
		.amdhsa_exception_fp_denorm_src 0
		.amdhsa_exception_fp_ieee_div_zero 0
		.amdhsa_exception_fp_ieee_overflow 0
		.amdhsa_exception_fp_ieee_underflow 0
		.amdhsa_exception_fp_ieee_inexact 0
		.amdhsa_exception_int_div_zero 0
	.end_amdhsa_kernel
	.section	.text._ZN7rocprim17ROCPRIM_400000_NS6detail17trampoline_kernelINS0_14default_configENS1_38merge_sort_block_merge_config_selectorIhNS0_10empty_typeEEEZZNS1_27merge_sort_block_merge_implIS3_PhPS5_jNS1_19radix_merge_compareILb1ELb0EhNS0_19identity_decomposerEEEEE10hipError_tT0_T1_T2_jT3_P12ihipStream_tbPNSt15iterator_traitsISE_E10value_typeEPNSK_ISF_E10value_typeEPSG_NS1_7vsmem_tEENKUlT_SE_SF_SG_E_clIS8_S8_S9_S9_EESD_ST_SE_SF_SG_EUlST_E_NS1_11comp_targetILNS1_3genE3ELNS1_11target_archE908ELNS1_3gpuE7ELNS1_3repE0EEENS1_48merge_mergepath_partition_config_static_selectorELNS0_4arch9wavefront6targetE0EEEvSF_,"axG",@progbits,_ZN7rocprim17ROCPRIM_400000_NS6detail17trampoline_kernelINS0_14default_configENS1_38merge_sort_block_merge_config_selectorIhNS0_10empty_typeEEEZZNS1_27merge_sort_block_merge_implIS3_PhPS5_jNS1_19radix_merge_compareILb1ELb0EhNS0_19identity_decomposerEEEEE10hipError_tT0_T1_T2_jT3_P12ihipStream_tbPNSt15iterator_traitsISE_E10value_typeEPNSK_ISF_E10value_typeEPSG_NS1_7vsmem_tEENKUlT_SE_SF_SG_E_clIS8_S8_S9_S9_EESD_ST_SE_SF_SG_EUlST_E_NS1_11comp_targetILNS1_3genE3ELNS1_11target_archE908ELNS1_3gpuE7ELNS1_3repE0EEENS1_48merge_mergepath_partition_config_static_selectorELNS0_4arch9wavefront6targetE0EEEvSF_,comdat
.Lfunc_end22:
	.size	_ZN7rocprim17ROCPRIM_400000_NS6detail17trampoline_kernelINS0_14default_configENS1_38merge_sort_block_merge_config_selectorIhNS0_10empty_typeEEEZZNS1_27merge_sort_block_merge_implIS3_PhPS5_jNS1_19radix_merge_compareILb1ELb0EhNS0_19identity_decomposerEEEEE10hipError_tT0_T1_T2_jT3_P12ihipStream_tbPNSt15iterator_traitsISE_E10value_typeEPNSK_ISF_E10value_typeEPSG_NS1_7vsmem_tEENKUlT_SE_SF_SG_E_clIS8_S8_S9_S9_EESD_ST_SE_SF_SG_EUlST_E_NS1_11comp_targetILNS1_3genE3ELNS1_11target_archE908ELNS1_3gpuE7ELNS1_3repE0EEENS1_48merge_mergepath_partition_config_static_selectorELNS0_4arch9wavefront6targetE0EEEvSF_, .Lfunc_end22-_ZN7rocprim17ROCPRIM_400000_NS6detail17trampoline_kernelINS0_14default_configENS1_38merge_sort_block_merge_config_selectorIhNS0_10empty_typeEEEZZNS1_27merge_sort_block_merge_implIS3_PhPS5_jNS1_19radix_merge_compareILb1ELb0EhNS0_19identity_decomposerEEEEE10hipError_tT0_T1_T2_jT3_P12ihipStream_tbPNSt15iterator_traitsISE_E10value_typeEPNSK_ISF_E10value_typeEPSG_NS1_7vsmem_tEENKUlT_SE_SF_SG_E_clIS8_S8_S9_S9_EESD_ST_SE_SF_SG_EUlST_E_NS1_11comp_targetILNS1_3genE3ELNS1_11target_archE908ELNS1_3gpuE7ELNS1_3repE0EEENS1_48merge_mergepath_partition_config_static_selectorELNS0_4arch9wavefront6targetE0EEEvSF_
                                        ; -- End function
	.set _ZN7rocprim17ROCPRIM_400000_NS6detail17trampoline_kernelINS0_14default_configENS1_38merge_sort_block_merge_config_selectorIhNS0_10empty_typeEEEZZNS1_27merge_sort_block_merge_implIS3_PhPS5_jNS1_19radix_merge_compareILb1ELb0EhNS0_19identity_decomposerEEEEE10hipError_tT0_T1_T2_jT3_P12ihipStream_tbPNSt15iterator_traitsISE_E10value_typeEPNSK_ISF_E10value_typeEPSG_NS1_7vsmem_tEENKUlT_SE_SF_SG_E_clIS8_S8_S9_S9_EESD_ST_SE_SF_SG_EUlST_E_NS1_11comp_targetILNS1_3genE3ELNS1_11target_archE908ELNS1_3gpuE7ELNS1_3repE0EEENS1_48merge_mergepath_partition_config_static_selectorELNS0_4arch9wavefront6targetE0EEEvSF_.num_vgpr, 0
	.set _ZN7rocprim17ROCPRIM_400000_NS6detail17trampoline_kernelINS0_14default_configENS1_38merge_sort_block_merge_config_selectorIhNS0_10empty_typeEEEZZNS1_27merge_sort_block_merge_implIS3_PhPS5_jNS1_19radix_merge_compareILb1ELb0EhNS0_19identity_decomposerEEEEE10hipError_tT0_T1_T2_jT3_P12ihipStream_tbPNSt15iterator_traitsISE_E10value_typeEPNSK_ISF_E10value_typeEPSG_NS1_7vsmem_tEENKUlT_SE_SF_SG_E_clIS8_S8_S9_S9_EESD_ST_SE_SF_SG_EUlST_E_NS1_11comp_targetILNS1_3genE3ELNS1_11target_archE908ELNS1_3gpuE7ELNS1_3repE0EEENS1_48merge_mergepath_partition_config_static_selectorELNS0_4arch9wavefront6targetE0EEEvSF_.num_agpr, 0
	.set _ZN7rocprim17ROCPRIM_400000_NS6detail17trampoline_kernelINS0_14default_configENS1_38merge_sort_block_merge_config_selectorIhNS0_10empty_typeEEEZZNS1_27merge_sort_block_merge_implIS3_PhPS5_jNS1_19radix_merge_compareILb1ELb0EhNS0_19identity_decomposerEEEEE10hipError_tT0_T1_T2_jT3_P12ihipStream_tbPNSt15iterator_traitsISE_E10value_typeEPNSK_ISF_E10value_typeEPSG_NS1_7vsmem_tEENKUlT_SE_SF_SG_E_clIS8_S8_S9_S9_EESD_ST_SE_SF_SG_EUlST_E_NS1_11comp_targetILNS1_3genE3ELNS1_11target_archE908ELNS1_3gpuE7ELNS1_3repE0EEENS1_48merge_mergepath_partition_config_static_selectorELNS0_4arch9wavefront6targetE0EEEvSF_.numbered_sgpr, 0
	.set _ZN7rocprim17ROCPRIM_400000_NS6detail17trampoline_kernelINS0_14default_configENS1_38merge_sort_block_merge_config_selectorIhNS0_10empty_typeEEEZZNS1_27merge_sort_block_merge_implIS3_PhPS5_jNS1_19radix_merge_compareILb1ELb0EhNS0_19identity_decomposerEEEEE10hipError_tT0_T1_T2_jT3_P12ihipStream_tbPNSt15iterator_traitsISE_E10value_typeEPNSK_ISF_E10value_typeEPSG_NS1_7vsmem_tEENKUlT_SE_SF_SG_E_clIS8_S8_S9_S9_EESD_ST_SE_SF_SG_EUlST_E_NS1_11comp_targetILNS1_3genE3ELNS1_11target_archE908ELNS1_3gpuE7ELNS1_3repE0EEENS1_48merge_mergepath_partition_config_static_selectorELNS0_4arch9wavefront6targetE0EEEvSF_.num_named_barrier, 0
	.set _ZN7rocprim17ROCPRIM_400000_NS6detail17trampoline_kernelINS0_14default_configENS1_38merge_sort_block_merge_config_selectorIhNS0_10empty_typeEEEZZNS1_27merge_sort_block_merge_implIS3_PhPS5_jNS1_19radix_merge_compareILb1ELb0EhNS0_19identity_decomposerEEEEE10hipError_tT0_T1_T2_jT3_P12ihipStream_tbPNSt15iterator_traitsISE_E10value_typeEPNSK_ISF_E10value_typeEPSG_NS1_7vsmem_tEENKUlT_SE_SF_SG_E_clIS8_S8_S9_S9_EESD_ST_SE_SF_SG_EUlST_E_NS1_11comp_targetILNS1_3genE3ELNS1_11target_archE908ELNS1_3gpuE7ELNS1_3repE0EEENS1_48merge_mergepath_partition_config_static_selectorELNS0_4arch9wavefront6targetE0EEEvSF_.private_seg_size, 0
	.set _ZN7rocprim17ROCPRIM_400000_NS6detail17trampoline_kernelINS0_14default_configENS1_38merge_sort_block_merge_config_selectorIhNS0_10empty_typeEEEZZNS1_27merge_sort_block_merge_implIS3_PhPS5_jNS1_19radix_merge_compareILb1ELb0EhNS0_19identity_decomposerEEEEE10hipError_tT0_T1_T2_jT3_P12ihipStream_tbPNSt15iterator_traitsISE_E10value_typeEPNSK_ISF_E10value_typeEPSG_NS1_7vsmem_tEENKUlT_SE_SF_SG_E_clIS8_S8_S9_S9_EESD_ST_SE_SF_SG_EUlST_E_NS1_11comp_targetILNS1_3genE3ELNS1_11target_archE908ELNS1_3gpuE7ELNS1_3repE0EEENS1_48merge_mergepath_partition_config_static_selectorELNS0_4arch9wavefront6targetE0EEEvSF_.uses_vcc, 0
	.set _ZN7rocprim17ROCPRIM_400000_NS6detail17trampoline_kernelINS0_14default_configENS1_38merge_sort_block_merge_config_selectorIhNS0_10empty_typeEEEZZNS1_27merge_sort_block_merge_implIS3_PhPS5_jNS1_19radix_merge_compareILb1ELb0EhNS0_19identity_decomposerEEEEE10hipError_tT0_T1_T2_jT3_P12ihipStream_tbPNSt15iterator_traitsISE_E10value_typeEPNSK_ISF_E10value_typeEPSG_NS1_7vsmem_tEENKUlT_SE_SF_SG_E_clIS8_S8_S9_S9_EESD_ST_SE_SF_SG_EUlST_E_NS1_11comp_targetILNS1_3genE3ELNS1_11target_archE908ELNS1_3gpuE7ELNS1_3repE0EEENS1_48merge_mergepath_partition_config_static_selectorELNS0_4arch9wavefront6targetE0EEEvSF_.uses_flat_scratch, 0
	.set _ZN7rocprim17ROCPRIM_400000_NS6detail17trampoline_kernelINS0_14default_configENS1_38merge_sort_block_merge_config_selectorIhNS0_10empty_typeEEEZZNS1_27merge_sort_block_merge_implIS3_PhPS5_jNS1_19radix_merge_compareILb1ELb0EhNS0_19identity_decomposerEEEEE10hipError_tT0_T1_T2_jT3_P12ihipStream_tbPNSt15iterator_traitsISE_E10value_typeEPNSK_ISF_E10value_typeEPSG_NS1_7vsmem_tEENKUlT_SE_SF_SG_E_clIS8_S8_S9_S9_EESD_ST_SE_SF_SG_EUlST_E_NS1_11comp_targetILNS1_3genE3ELNS1_11target_archE908ELNS1_3gpuE7ELNS1_3repE0EEENS1_48merge_mergepath_partition_config_static_selectorELNS0_4arch9wavefront6targetE0EEEvSF_.has_dyn_sized_stack, 0
	.set _ZN7rocprim17ROCPRIM_400000_NS6detail17trampoline_kernelINS0_14default_configENS1_38merge_sort_block_merge_config_selectorIhNS0_10empty_typeEEEZZNS1_27merge_sort_block_merge_implIS3_PhPS5_jNS1_19radix_merge_compareILb1ELb0EhNS0_19identity_decomposerEEEEE10hipError_tT0_T1_T2_jT3_P12ihipStream_tbPNSt15iterator_traitsISE_E10value_typeEPNSK_ISF_E10value_typeEPSG_NS1_7vsmem_tEENKUlT_SE_SF_SG_E_clIS8_S8_S9_S9_EESD_ST_SE_SF_SG_EUlST_E_NS1_11comp_targetILNS1_3genE3ELNS1_11target_archE908ELNS1_3gpuE7ELNS1_3repE0EEENS1_48merge_mergepath_partition_config_static_selectorELNS0_4arch9wavefront6targetE0EEEvSF_.has_recursion, 0
	.set _ZN7rocprim17ROCPRIM_400000_NS6detail17trampoline_kernelINS0_14default_configENS1_38merge_sort_block_merge_config_selectorIhNS0_10empty_typeEEEZZNS1_27merge_sort_block_merge_implIS3_PhPS5_jNS1_19radix_merge_compareILb1ELb0EhNS0_19identity_decomposerEEEEE10hipError_tT0_T1_T2_jT3_P12ihipStream_tbPNSt15iterator_traitsISE_E10value_typeEPNSK_ISF_E10value_typeEPSG_NS1_7vsmem_tEENKUlT_SE_SF_SG_E_clIS8_S8_S9_S9_EESD_ST_SE_SF_SG_EUlST_E_NS1_11comp_targetILNS1_3genE3ELNS1_11target_archE908ELNS1_3gpuE7ELNS1_3repE0EEENS1_48merge_mergepath_partition_config_static_selectorELNS0_4arch9wavefront6targetE0EEEvSF_.has_indirect_call, 0
	.section	.AMDGPU.csdata,"",@progbits
; Kernel info:
; codeLenInByte = 0
; TotalNumSgprs: 0
; NumVgprs: 0
; ScratchSize: 0
; MemoryBound: 0
; FloatMode: 240
; IeeeMode: 1
; LDSByteSize: 0 bytes/workgroup (compile time only)
; SGPRBlocks: 0
; VGPRBlocks: 0
; NumSGPRsForWavesPerEU: 1
; NumVGPRsForWavesPerEU: 1
; NamedBarCnt: 0
; Occupancy: 16
; WaveLimiterHint : 0
; COMPUTE_PGM_RSRC2:SCRATCH_EN: 0
; COMPUTE_PGM_RSRC2:USER_SGPR: 2
; COMPUTE_PGM_RSRC2:TRAP_HANDLER: 0
; COMPUTE_PGM_RSRC2:TGID_X_EN: 1
; COMPUTE_PGM_RSRC2:TGID_Y_EN: 0
; COMPUTE_PGM_RSRC2:TGID_Z_EN: 0
; COMPUTE_PGM_RSRC2:TIDIG_COMP_CNT: 0
	.section	.text._ZN7rocprim17ROCPRIM_400000_NS6detail17trampoline_kernelINS0_14default_configENS1_38merge_sort_block_merge_config_selectorIhNS0_10empty_typeEEEZZNS1_27merge_sort_block_merge_implIS3_PhPS5_jNS1_19radix_merge_compareILb1ELb0EhNS0_19identity_decomposerEEEEE10hipError_tT0_T1_T2_jT3_P12ihipStream_tbPNSt15iterator_traitsISE_E10value_typeEPNSK_ISF_E10value_typeEPSG_NS1_7vsmem_tEENKUlT_SE_SF_SG_E_clIS8_S8_S9_S9_EESD_ST_SE_SF_SG_EUlST_E_NS1_11comp_targetILNS1_3genE2ELNS1_11target_archE906ELNS1_3gpuE6ELNS1_3repE0EEENS1_48merge_mergepath_partition_config_static_selectorELNS0_4arch9wavefront6targetE0EEEvSF_,"axG",@progbits,_ZN7rocprim17ROCPRIM_400000_NS6detail17trampoline_kernelINS0_14default_configENS1_38merge_sort_block_merge_config_selectorIhNS0_10empty_typeEEEZZNS1_27merge_sort_block_merge_implIS3_PhPS5_jNS1_19radix_merge_compareILb1ELb0EhNS0_19identity_decomposerEEEEE10hipError_tT0_T1_T2_jT3_P12ihipStream_tbPNSt15iterator_traitsISE_E10value_typeEPNSK_ISF_E10value_typeEPSG_NS1_7vsmem_tEENKUlT_SE_SF_SG_E_clIS8_S8_S9_S9_EESD_ST_SE_SF_SG_EUlST_E_NS1_11comp_targetILNS1_3genE2ELNS1_11target_archE906ELNS1_3gpuE6ELNS1_3repE0EEENS1_48merge_mergepath_partition_config_static_selectorELNS0_4arch9wavefront6targetE0EEEvSF_,comdat
	.protected	_ZN7rocprim17ROCPRIM_400000_NS6detail17trampoline_kernelINS0_14default_configENS1_38merge_sort_block_merge_config_selectorIhNS0_10empty_typeEEEZZNS1_27merge_sort_block_merge_implIS3_PhPS5_jNS1_19radix_merge_compareILb1ELb0EhNS0_19identity_decomposerEEEEE10hipError_tT0_T1_T2_jT3_P12ihipStream_tbPNSt15iterator_traitsISE_E10value_typeEPNSK_ISF_E10value_typeEPSG_NS1_7vsmem_tEENKUlT_SE_SF_SG_E_clIS8_S8_S9_S9_EESD_ST_SE_SF_SG_EUlST_E_NS1_11comp_targetILNS1_3genE2ELNS1_11target_archE906ELNS1_3gpuE6ELNS1_3repE0EEENS1_48merge_mergepath_partition_config_static_selectorELNS0_4arch9wavefront6targetE0EEEvSF_ ; -- Begin function _ZN7rocprim17ROCPRIM_400000_NS6detail17trampoline_kernelINS0_14default_configENS1_38merge_sort_block_merge_config_selectorIhNS0_10empty_typeEEEZZNS1_27merge_sort_block_merge_implIS3_PhPS5_jNS1_19radix_merge_compareILb1ELb0EhNS0_19identity_decomposerEEEEE10hipError_tT0_T1_T2_jT3_P12ihipStream_tbPNSt15iterator_traitsISE_E10value_typeEPNSK_ISF_E10value_typeEPSG_NS1_7vsmem_tEENKUlT_SE_SF_SG_E_clIS8_S8_S9_S9_EESD_ST_SE_SF_SG_EUlST_E_NS1_11comp_targetILNS1_3genE2ELNS1_11target_archE906ELNS1_3gpuE6ELNS1_3repE0EEENS1_48merge_mergepath_partition_config_static_selectorELNS0_4arch9wavefront6targetE0EEEvSF_
	.globl	_ZN7rocprim17ROCPRIM_400000_NS6detail17trampoline_kernelINS0_14default_configENS1_38merge_sort_block_merge_config_selectorIhNS0_10empty_typeEEEZZNS1_27merge_sort_block_merge_implIS3_PhPS5_jNS1_19radix_merge_compareILb1ELb0EhNS0_19identity_decomposerEEEEE10hipError_tT0_T1_T2_jT3_P12ihipStream_tbPNSt15iterator_traitsISE_E10value_typeEPNSK_ISF_E10value_typeEPSG_NS1_7vsmem_tEENKUlT_SE_SF_SG_E_clIS8_S8_S9_S9_EESD_ST_SE_SF_SG_EUlST_E_NS1_11comp_targetILNS1_3genE2ELNS1_11target_archE906ELNS1_3gpuE6ELNS1_3repE0EEENS1_48merge_mergepath_partition_config_static_selectorELNS0_4arch9wavefront6targetE0EEEvSF_
	.p2align	8
	.type	_ZN7rocprim17ROCPRIM_400000_NS6detail17trampoline_kernelINS0_14default_configENS1_38merge_sort_block_merge_config_selectorIhNS0_10empty_typeEEEZZNS1_27merge_sort_block_merge_implIS3_PhPS5_jNS1_19radix_merge_compareILb1ELb0EhNS0_19identity_decomposerEEEEE10hipError_tT0_T1_T2_jT3_P12ihipStream_tbPNSt15iterator_traitsISE_E10value_typeEPNSK_ISF_E10value_typeEPSG_NS1_7vsmem_tEENKUlT_SE_SF_SG_E_clIS8_S8_S9_S9_EESD_ST_SE_SF_SG_EUlST_E_NS1_11comp_targetILNS1_3genE2ELNS1_11target_archE906ELNS1_3gpuE6ELNS1_3repE0EEENS1_48merge_mergepath_partition_config_static_selectorELNS0_4arch9wavefront6targetE0EEEvSF_,@function
_ZN7rocprim17ROCPRIM_400000_NS6detail17trampoline_kernelINS0_14default_configENS1_38merge_sort_block_merge_config_selectorIhNS0_10empty_typeEEEZZNS1_27merge_sort_block_merge_implIS3_PhPS5_jNS1_19radix_merge_compareILb1ELb0EhNS0_19identity_decomposerEEEEE10hipError_tT0_T1_T2_jT3_P12ihipStream_tbPNSt15iterator_traitsISE_E10value_typeEPNSK_ISF_E10value_typeEPSG_NS1_7vsmem_tEENKUlT_SE_SF_SG_E_clIS8_S8_S9_S9_EESD_ST_SE_SF_SG_EUlST_E_NS1_11comp_targetILNS1_3genE2ELNS1_11target_archE906ELNS1_3gpuE6ELNS1_3repE0EEENS1_48merge_mergepath_partition_config_static_selectorELNS0_4arch9wavefront6targetE0EEEvSF_: ; @_ZN7rocprim17ROCPRIM_400000_NS6detail17trampoline_kernelINS0_14default_configENS1_38merge_sort_block_merge_config_selectorIhNS0_10empty_typeEEEZZNS1_27merge_sort_block_merge_implIS3_PhPS5_jNS1_19radix_merge_compareILb1ELb0EhNS0_19identity_decomposerEEEEE10hipError_tT0_T1_T2_jT3_P12ihipStream_tbPNSt15iterator_traitsISE_E10value_typeEPNSK_ISF_E10value_typeEPSG_NS1_7vsmem_tEENKUlT_SE_SF_SG_E_clIS8_S8_S9_S9_EESD_ST_SE_SF_SG_EUlST_E_NS1_11comp_targetILNS1_3genE2ELNS1_11target_archE906ELNS1_3gpuE6ELNS1_3repE0EEENS1_48merge_mergepath_partition_config_static_selectorELNS0_4arch9wavefront6targetE0EEEvSF_
; %bb.0:
	.section	.rodata,"a",@progbits
	.p2align	6, 0x0
	.amdhsa_kernel _ZN7rocprim17ROCPRIM_400000_NS6detail17trampoline_kernelINS0_14default_configENS1_38merge_sort_block_merge_config_selectorIhNS0_10empty_typeEEEZZNS1_27merge_sort_block_merge_implIS3_PhPS5_jNS1_19radix_merge_compareILb1ELb0EhNS0_19identity_decomposerEEEEE10hipError_tT0_T1_T2_jT3_P12ihipStream_tbPNSt15iterator_traitsISE_E10value_typeEPNSK_ISF_E10value_typeEPSG_NS1_7vsmem_tEENKUlT_SE_SF_SG_E_clIS8_S8_S9_S9_EESD_ST_SE_SF_SG_EUlST_E_NS1_11comp_targetILNS1_3genE2ELNS1_11target_archE906ELNS1_3gpuE6ELNS1_3repE0EEENS1_48merge_mergepath_partition_config_static_selectorELNS0_4arch9wavefront6targetE0EEEvSF_
		.amdhsa_group_segment_fixed_size 0
		.amdhsa_private_segment_fixed_size 0
		.amdhsa_kernarg_size 40
		.amdhsa_user_sgpr_count 2
		.amdhsa_user_sgpr_dispatch_ptr 0
		.amdhsa_user_sgpr_queue_ptr 0
		.amdhsa_user_sgpr_kernarg_segment_ptr 1
		.amdhsa_user_sgpr_dispatch_id 0
		.amdhsa_user_sgpr_kernarg_preload_length 0
		.amdhsa_user_sgpr_kernarg_preload_offset 0
		.amdhsa_user_sgpr_private_segment_size 0
		.amdhsa_wavefront_size32 1
		.amdhsa_uses_dynamic_stack 0
		.amdhsa_enable_private_segment 0
		.amdhsa_system_sgpr_workgroup_id_x 1
		.amdhsa_system_sgpr_workgroup_id_y 0
		.amdhsa_system_sgpr_workgroup_id_z 0
		.amdhsa_system_sgpr_workgroup_info 0
		.amdhsa_system_vgpr_workitem_id 0
		.amdhsa_next_free_vgpr 1
		.amdhsa_next_free_sgpr 1
		.amdhsa_named_barrier_count 0
		.amdhsa_reserve_vcc 0
		.amdhsa_float_round_mode_32 0
		.amdhsa_float_round_mode_16_64 0
		.amdhsa_float_denorm_mode_32 3
		.amdhsa_float_denorm_mode_16_64 3
		.amdhsa_fp16_overflow 0
		.amdhsa_memory_ordered 1
		.amdhsa_forward_progress 1
		.amdhsa_inst_pref_size 0
		.amdhsa_round_robin_scheduling 0
		.amdhsa_exception_fp_ieee_invalid_op 0
		.amdhsa_exception_fp_denorm_src 0
		.amdhsa_exception_fp_ieee_div_zero 0
		.amdhsa_exception_fp_ieee_overflow 0
		.amdhsa_exception_fp_ieee_underflow 0
		.amdhsa_exception_fp_ieee_inexact 0
		.amdhsa_exception_int_div_zero 0
	.end_amdhsa_kernel
	.section	.text._ZN7rocprim17ROCPRIM_400000_NS6detail17trampoline_kernelINS0_14default_configENS1_38merge_sort_block_merge_config_selectorIhNS0_10empty_typeEEEZZNS1_27merge_sort_block_merge_implIS3_PhPS5_jNS1_19radix_merge_compareILb1ELb0EhNS0_19identity_decomposerEEEEE10hipError_tT0_T1_T2_jT3_P12ihipStream_tbPNSt15iterator_traitsISE_E10value_typeEPNSK_ISF_E10value_typeEPSG_NS1_7vsmem_tEENKUlT_SE_SF_SG_E_clIS8_S8_S9_S9_EESD_ST_SE_SF_SG_EUlST_E_NS1_11comp_targetILNS1_3genE2ELNS1_11target_archE906ELNS1_3gpuE6ELNS1_3repE0EEENS1_48merge_mergepath_partition_config_static_selectorELNS0_4arch9wavefront6targetE0EEEvSF_,"axG",@progbits,_ZN7rocprim17ROCPRIM_400000_NS6detail17trampoline_kernelINS0_14default_configENS1_38merge_sort_block_merge_config_selectorIhNS0_10empty_typeEEEZZNS1_27merge_sort_block_merge_implIS3_PhPS5_jNS1_19radix_merge_compareILb1ELb0EhNS0_19identity_decomposerEEEEE10hipError_tT0_T1_T2_jT3_P12ihipStream_tbPNSt15iterator_traitsISE_E10value_typeEPNSK_ISF_E10value_typeEPSG_NS1_7vsmem_tEENKUlT_SE_SF_SG_E_clIS8_S8_S9_S9_EESD_ST_SE_SF_SG_EUlST_E_NS1_11comp_targetILNS1_3genE2ELNS1_11target_archE906ELNS1_3gpuE6ELNS1_3repE0EEENS1_48merge_mergepath_partition_config_static_selectorELNS0_4arch9wavefront6targetE0EEEvSF_,comdat
.Lfunc_end23:
	.size	_ZN7rocprim17ROCPRIM_400000_NS6detail17trampoline_kernelINS0_14default_configENS1_38merge_sort_block_merge_config_selectorIhNS0_10empty_typeEEEZZNS1_27merge_sort_block_merge_implIS3_PhPS5_jNS1_19radix_merge_compareILb1ELb0EhNS0_19identity_decomposerEEEEE10hipError_tT0_T1_T2_jT3_P12ihipStream_tbPNSt15iterator_traitsISE_E10value_typeEPNSK_ISF_E10value_typeEPSG_NS1_7vsmem_tEENKUlT_SE_SF_SG_E_clIS8_S8_S9_S9_EESD_ST_SE_SF_SG_EUlST_E_NS1_11comp_targetILNS1_3genE2ELNS1_11target_archE906ELNS1_3gpuE6ELNS1_3repE0EEENS1_48merge_mergepath_partition_config_static_selectorELNS0_4arch9wavefront6targetE0EEEvSF_, .Lfunc_end23-_ZN7rocprim17ROCPRIM_400000_NS6detail17trampoline_kernelINS0_14default_configENS1_38merge_sort_block_merge_config_selectorIhNS0_10empty_typeEEEZZNS1_27merge_sort_block_merge_implIS3_PhPS5_jNS1_19radix_merge_compareILb1ELb0EhNS0_19identity_decomposerEEEEE10hipError_tT0_T1_T2_jT3_P12ihipStream_tbPNSt15iterator_traitsISE_E10value_typeEPNSK_ISF_E10value_typeEPSG_NS1_7vsmem_tEENKUlT_SE_SF_SG_E_clIS8_S8_S9_S9_EESD_ST_SE_SF_SG_EUlST_E_NS1_11comp_targetILNS1_3genE2ELNS1_11target_archE906ELNS1_3gpuE6ELNS1_3repE0EEENS1_48merge_mergepath_partition_config_static_selectorELNS0_4arch9wavefront6targetE0EEEvSF_
                                        ; -- End function
	.set _ZN7rocprim17ROCPRIM_400000_NS6detail17trampoline_kernelINS0_14default_configENS1_38merge_sort_block_merge_config_selectorIhNS0_10empty_typeEEEZZNS1_27merge_sort_block_merge_implIS3_PhPS5_jNS1_19radix_merge_compareILb1ELb0EhNS0_19identity_decomposerEEEEE10hipError_tT0_T1_T2_jT3_P12ihipStream_tbPNSt15iterator_traitsISE_E10value_typeEPNSK_ISF_E10value_typeEPSG_NS1_7vsmem_tEENKUlT_SE_SF_SG_E_clIS8_S8_S9_S9_EESD_ST_SE_SF_SG_EUlST_E_NS1_11comp_targetILNS1_3genE2ELNS1_11target_archE906ELNS1_3gpuE6ELNS1_3repE0EEENS1_48merge_mergepath_partition_config_static_selectorELNS0_4arch9wavefront6targetE0EEEvSF_.num_vgpr, 0
	.set _ZN7rocprim17ROCPRIM_400000_NS6detail17trampoline_kernelINS0_14default_configENS1_38merge_sort_block_merge_config_selectorIhNS0_10empty_typeEEEZZNS1_27merge_sort_block_merge_implIS3_PhPS5_jNS1_19radix_merge_compareILb1ELb0EhNS0_19identity_decomposerEEEEE10hipError_tT0_T1_T2_jT3_P12ihipStream_tbPNSt15iterator_traitsISE_E10value_typeEPNSK_ISF_E10value_typeEPSG_NS1_7vsmem_tEENKUlT_SE_SF_SG_E_clIS8_S8_S9_S9_EESD_ST_SE_SF_SG_EUlST_E_NS1_11comp_targetILNS1_3genE2ELNS1_11target_archE906ELNS1_3gpuE6ELNS1_3repE0EEENS1_48merge_mergepath_partition_config_static_selectorELNS0_4arch9wavefront6targetE0EEEvSF_.num_agpr, 0
	.set _ZN7rocprim17ROCPRIM_400000_NS6detail17trampoline_kernelINS0_14default_configENS1_38merge_sort_block_merge_config_selectorIhNS0_10empty_typeEEEZZNS1_27merge_sort_block_merge_implIS3_PhPS5_jNS1_19radix_merge_compareILb1ELb0EhNS0_19identity_decomposerEEEEE10hipError_tT0_T1_T2_jT3_P12ihipStream_tbPNSt15iterator_traitsISE_E10value_typeEPNSK_ISF_E10value_typeEPSG_NS1_7vsmem_tEENKUlT_SE_SF_SG_E_clIS8_S8_S9_S9_EESD_ST_SE_SF_SG_EUlST_E_NS1_11comp_targetILNS1_3genE2ELNS1_11target_archE906ELNS1_3gpuE6ELNS1_3repE0EEENS1_48merge_mergepath_partition_config_static_selectorELNS0_4arch9wavefront6targetE0EEEvSF_.numbered_sgpr, 0
	.set _ZN7rocprim17ROCPRIM_400000_NS6detail17trampoline_kernelINS0_14default_configENS1_38merge_sort_block_merge_config_selectorIhNS0_10empty_typeEEEZZNS1_27merge_sort_block_merge_implIS3_PhPS5_jNS1_19radix_merge_compareILb1ELb0EhNS0_19identity_decomposerEEEEE10hipError_tT0_T1_T2_jT3_P12ihipStream_tbPNSt15iterator_traitsISE_E10value_typeEPNSK_ISF_E10value_typeEPSG_NS1_7vsmem_tEENKUlT_SE_SF_SG_E_clIS8_S8_S9_S9_EESD_ST_SE_SF_SG_EUlST_E_NS1_11comp_targetILNS1_3genE2ELNS1_11target_archE906ELNS1_3gpuE6ELNS1_3repE0EEENS1_48merge_mergepath_partition_config_static_selectorELNS0_4arch9wavefront6targetE0EEEvSF_.num_named_barrier, 0
	.set _ZN7rocprim17ROCPRIM_400000_NS6detail17trampoline_kernelINS0_14default_configENS1_38merge_sort_block_merge_config_selectorIhNS0_10empty_typeEEEZZNS1_27merge_sort_block_merge_implIS3_PhPS5_jNS1_19radix_merge_compareILb1ELb0EhNS0_19identity_decomposerEEEEE10hipError_tT0_T1_T2_jT3_P12ihipStream_tbPNSt15iterator_traitsISE_E10value_typeEPNSK_ISF_E10value_typeEPSG_NS1_7vsmem_tEENKUlT_SE_SF_SG_E_clIS8_S8_S9_S9_EESD_ST_SE_SF_SG_EUlST_E_NS1_11comp_targetILNS1_3genE2ELNS1_11target_archE906ELNS1_3gpuE6ELNS1_3repE0EEENS1_48merge_mergepath_partition_config_static_selectorELNS0_4arch9wavefront6targetE0EEEvSF_.private_seg_size, 0
	.set _ZN7rocprim17ROCPRIM_400000_NS6detail17trampoline_kernelINS0_14default_configENS1_38merge_sort_block_merge_config_selectorIhNS0_10empty_typeEEEZZNS1_27merge_sort_block_merge_implIS3_PhPS5_jNS1_19radix_merge_compareILb1ELb0EhNS0_19identity_decomposerEEEEE10hipError_tT0_T1_T2_jT3_P12ihipStream_tbPNSt15iterator_traitsISE_E10value_typeEPNSK_ISF_E10value_typeEPSG_NS1_7vsmem_tEENKUlT_SE_SF_SG_E_clIS8_S8_S9_S9_EESD_ST_SE_SF_SG_EUlST_E_NS1_11comp_targetILNS1_3genE2ELNS1_11target_archE906ELNS1_3gpuE6ELNS1_3repE0EEENS1_48merge_mergepath_partition_config_static_selectorELNS0_4arch9wavefront6targetE0EEEvSF_.uses_vcc, 0
	.set _ZN7rocprim17ROCPRIM_400000_NS6detail17trampoline_kernelINS0_14default_configENS1_38merge_sort_block_merge_config_selectorIhNS0_10empty_typeEEEZZNS1_27merge_sort_block_merge_implIS3_PhPS5_jNS1_19radix_merge_compareILb1ELb0EhNS0_19identity_decomposerEEEEE10hipError_tT0_T1_T2_jT3_P12ihipStream_tbPNSt15iterator_traitsISE_E10value_typeEPNSK_ISF_E10value_typeEPSG_NS1_7vsmem_tEENKUlT_SE_SF_SG_E_clIS8_S8_S9_S9_EESD_ST_SE_SF_SG_EUlST_E_NS1_11comp_targetILNS1_3genE2ELNS1_11target_archE906ELNS1_3gpuE6ELNS1_3repE0EEENS1_48merge_mergepath_partition_config_static_selectorELNS0_4arch9wavefront6targetE0EEEvSF_.uses_flat_scratch, 0
	.set _ZN7rocprim17ROCPRIM_400000_NS6detail17trampoline_kernelINS0_14default_configENS1_38merge_sort_block_merge_config_selectorIhNS0_10empty_typeEEEZZNS1_27merge_sort_block_merge_implIS3_PhPS5_jNS1_19radix_merge_compareILb1ELb0EhNS0_19identity_decomposerEEEEE10hipError_tT0_T1_T2_jT3_P12ihipStream_tbPNSt15iterator_traitsISE_E10value_typeEPNSK_ISF_E10value_typeEPSG_NS1_7vsmem_tEENKUlT_SE_SF_SG_E_clIS8_S8_S9_S9_EESD_ST_SE_SF_SG_EUlST_E_NS1_11comp_targetILNS1_3genE2ELNS1_11target_archE906ELNS1_3gpuE6ELNS1_3repE0EEENS1_48merge_mergepath_partition_config_static_selectorELNS0_4arch9wavefront6targetE0EEEvSF_.has_dyn_sized_stack, 0
	.set _ZN7rocprim17ROCPRIM_400000_NS6detail17trampoline_kernelINS0_14default_configENS1_38merge_sort_block_merge_config_selectorIhNS0_10empty_typeEEEZZNS1_27merge_sort_block_merge_implIS3_PhPS5_jNS1_19radix_merge_compareILb1ELb0EhNS0_19identity_decomposerEEEEE10hipError_tT0_T1_T2_jT3_P12ihipStream_tbPNSt15iterator_traitsISE_E10value_typeEPNSK_ISF_E10value_typeEPSG_NS1_7vsmem_tEENKUlT_SE_SF_SG_E_clIS8_S8_S9_S9_EESD_ST_SE_SF_SG_EUlST_E_NS1_11comp_targetILNS1_3genE2ELNS1_11target_archE906ELNS1_3gpuE6ELNS1_3repE0EEENS1_48merge_mergepath_partition_config_static_selectorELNS0_4arch9wavefront6targetE0EEEvSF_.has_recursion, 0
	.set _ZN7rocprim17ROCPRIM_400000_NS6detail17trampoline_kernelINS0_14default_configENS1_38merge_sort_block_merge_config_selectorIhNS0_10empty_typeEEEZZNS1_27merge_sort_block_merge_implIS3_PhPS5_jNS1_19radix_merge_compareILb1ELb0EhNS0_19identity_decomposerEEEEE10hipError_tT0_T1_T2_jT3_P12ihipStream_tbPNSt15iterator_traitsISE_E10value_typeEPNSK_ISF_E10value_typeEPSG_NS1_7vsmem_tEENKUlT_SE_SF_SG_E_clIS8_S8_S9_S9_EESD_ST_SE_SF_SG_EUlST_E_NS1_11comp_targetILNS1_3genE2ELNS1_11target_archE906ELNS1_3gpuE6ELNS1_3repE0EEENS1_48merge_mergepath_partition_config_static_selectorELNS0_4arch9wavefront6targetE0EEEvSF_.has_indirect_call, 0
	.section	.AMDGPU.csdata,"",@progbits
; Kernel info:
; codeLenInByte = 0
; TotalNumSgprs: 0
; NumVgprs: 0
; ScratchSize: 0
; MemoryBound: 0
; FloatMode: 240
; IeeeMode: 1
; LDSByteSize: 0 bytes/workgroup (compile time only)
; SGPRBlocks: 0
; VGPRBlocks: 0
; NumSGPRsForWavesPerEU: 1
; NumVGPRsForWavesPerEU: 1
; NamedBarCnt: 0
; Occupancy: 16
; WaveLimiterHint : 0
; COMPUTE_PGM_RSRC2:SCRATCH_EN: 0
; COMPUTE_PGM_RSRC2:USER_SGPR: 2
; COMPUTE_PGM_RSRC2:TRAP_HANDLER: 0
; COMPUTE_PGM_RSRC2:TGID_X_EN: 1
; COMPUTE_PGM_RSRC2:TGID_Y_EN: 0
; COMPUTE_PGM_RSRC2:TGID_Z_EN: 0
; COMPUTE_PGM_RSRC2:TIDIG_COMP_CNT: 0
	.section	.text._ZN7rocprim17ROCPRIM_400000_NS6detail17trampoline_kernelINS0_14default_configENS1_38merge_sort_block_merge_config_selectorIhNS0_10empty_typeEEEZZNS1_27merge_sort_block_merge_implIS3_PhPS5_jNS1_19radix_merge_compareILb1ELb0EhNS0_19identity_decomposerEEEEE10hipError_tT0_T1_T2_jT3_P12ihipStream_tbPNSt15iterator_traitsISE_E10value_typeEPNSK_ISF_E10value_typeEPSG_NS1_7vsmem_tEENKUlT_SE_SF_SG_E_clIS8_S8_S9_S9_EESD_ST_SE_SF_SG_EUlST_E_NS1_11comp_targetILNS1_3genE9ELNS1_11target_archE1100ELNS1_3gpuE3ELNS1_3repE0EEENS1_48merge_mergepath_partition_config_static_selectorELNS0_4arch9wavefront6targetE0EEEvSF_,"axG",@progbits,_ZN7rocprim17ROCPRIM_400000_NS6detail17trampoline_kernelINS0_14default_configENS1_38merge_sort_block_merge_config_selectorIhNS0_10empty_typeEEEZZNS1_27merge_sort_block_merge_implIS3_PhPS5_jNS1_19radix_merge_compareILb1ELb0EhNS0_19identity_decomposerEEEEE10hipError_tT0_T1_T2_jT3_P12ihipStream_tbPNSt15iterator_traitsISE_E10value_typeEPNSK_ISF_E10value_typeEPSG_NS1_7vsmem_tEENKUlT_SE_SF_SG_E_clIS8_S8_S9_S9_EESD_ST_SE_SF_SG_EUlST_E_NS1_11comp_targetILNS1_3genE9ELNS1_11target_archE1100ELNS1_3gpuE3ELNS1_3repE0EEENS1_48merge_mergepath_partition_config_static_selectorELNS0_4arch9wavefront6targetE0EEEvSF_,comdat
	.protected	_ZN7rocprim17ROCPRIM_400000_NS6detail17trampoline_kernelINS0_14default_configENS1_38merge_sort_block_merge_config_selectorIhNS0_10empty_typeEEEZZNS1_27merge_sort_block_merge_implIS3_PhPS5_jNS1_19radix_merge_compareILb1ELb0EhNS0_19identity_decomposerEEEEE10hipError_tT0_T1_T2_jT3_P12ihipStream_tbPNSt15iterator_traitsISE_E10value_typeEPNSK_ISF_E10value_typeEPSG_NS1_7vsmem_tEENKUlT_SE_SF_SG_E_clIS8_S8_S9_S9_EESD_ST_SE_SF_SG_EUlST_E_NS1_11comp_targetILNS1_3genE9ELNS1_11target_archE1100ELNS1_3gpuE3ELNS1_3repE0EEENS1_48merge_mergepath_partition_config_static_selectorELNS0_4arch9wavefront6targetE0EEEvSF_ ; -- Begin function _ZN7rocprim17ROCPRIM_400000_NS6detail17trampoline_kernelINS0_14default_configENS1_38merge_sort_block_merge_config_selectorIhNS0_10empty_typeEEEZZNS1_27merge_sort_block_merge_implIS3_PhPS5_jNS1_19radix_merge_compareILb1ELb0EhNS0_19identity_decomposerEEEEE10hipError_tT0_T1_T2_jT3_P12ihipStream_tbPNSt15iterator_traitsISE_E10value_typeEPNSK_ISF_E10value_typeEPSG_NS1_7vsmem_tEENKUlT_SE_SF_SG_E_clIS8_S8_S9_S9_EESD_ST_SE_SF_SG_EUlST_E_NS1_11comp_targetILNS1_3genE9ELNS1_11target_archE1100ELNS1_3gpuE3ELNS1_3repE0EEENS1_48merge_mergepath_partition_config_static_selectorELNS0_4arch9wavefront6targetE0EEEvSF_
	.globl	_ZN7rocprim17ROCPRIM_400000_NS6detail17trampoline_kernelINS0_14default_configENS1_38merge_sort_block_merge_config_selectorIhNS0_10empty_typeEEEZZNS1_27merge_sort_block_merge_implIS3_PhPS5_jNS1_19radix_merge_compareILb1ELb0EhNS0_19identity_decomposerEEEEE10hipError_tT0_T1_T2_jT3_P12ihipStream_tbPNSt15iterator_traitsISE_E10value_typeEPNSK_ISF_E10value_typeEPSG_NS1_7vsmem_tEENKUlT_SE_SF_SG_E_clIS8_S8_S9_S9_EESD_ST_SE_SF_SG_EUlST_E_NS1_11comp_targetILNS1_3genE9ELNS1_11target_archE1100ELNS1_3gpuE3ELNS1_3repE0EEENS1_48merge_mergepath_partition_config_static_selectorELNS0_4arch9wavefront6targetE0EEEvSF_
	.p2align	8
	.type	_ZN7rocprim17ROCPRIM_400000_NS6detail17trampoline_kernelINS0_14default_configENS1_38merge_sort_block_merge_config_selectorIhNS0_10empty_typeEEEZZNS1_27merge_sort_block_merge_implIS3_PhPS5_jNS1_19radix_merge_compareILb1ELb0EhNS0_19identity_decomposerEEEEE10hipError_tT0_T1_T2_jT3_P12ihipStream_tbPNSt15iterator_traitsISE_E10value_typeEPNSK_ISF_E10value_typeEPSG_NS1_7vsmem_tEENKUlT_SE_SF_SG_E_clIS8_S8_S9_S9_EESD_ST_SE_SF_SG_EUlST_E_NS1_11comp_targetILNS1_3genE9ELNS1_11target_archE1100ELNS1_3gpuE3ELNS1_3repE0EEENS1_48merge_mergepath_partition_config_static_selectorELNS0_4arch9wavefront6targetE0EEEvSF_,@function
_ZN7rocprim17ROCPRIM_400000_NS6detail17trampoline_kernelINS0_14default_configENS1_38merge_sort_block_merge_config_selectorIhNS0_10empty_typeEEEZZNS1_27merge_sort_block_merge_implIS3_PhPS5_jNS1_19radix_merge_compareILb1ELb0EhNS0_19identity_decomposerEEEEE10hipError_tT0_T1_T2_jT3_P12ihipStream_tbPNSt15iterator_traitsISE_E10value_typeEPNSK_ISF_E10value_typeEPSG_NS1_7vsmem_tEENKUlT_SE_SF_SG_E_clIS8_S8_S9_S9_EESD_ST_SE_SF_SG_EUlST_E_NS1_11comp_targetILNS1_3genE9ELNS1_11target_archE1100ELNS1_3gpuE3ELNS1_3repE0EEENS1_48merge_mergepath_partition_config_static_selectorELNS0_4arch9wavefront6targetE0EEEvSF_: ; @_ZN7rocprim17ROCPRIM_400000_NS6detail17trampoline_kernelINS0_14default_configENS1_38merge_sort_block_merge_config_selectorIhNS0_10empty_typeEEEZZNS1_27merge_sort_block_merge_implIS3_PhPS5_jNS1_19radix_merge_compareILb1ELb0EhNS0_19identity_decomposerEEEEE10hipError_tT0_T1_T2_jT3_P12ihipStream_tbPNSt15iterator_traitsISE_E10value_typeEPNSK_ISF_E10value_typeEPSG_NS1_7vsmem_tEENKUlT_SE_SF_SG_E_clIS8_S8_S9_S9_EESD_ST_SE_SF_SG_EUlST_E_NS1_11comp_targetILNS1_3genE9ELNS1_11target_archE1100ELNS1_3gpuE3ELNS1_3repE0EEENS1_48merge_mergepath_partition_config_static_selectorELNS0_4arch9wavefront6targetE0EEEvSF_
; %bb.0:
	.section	.rodata,"a",@progbits
	.p2align	6, 0x0
	.amdhsa_kernel _ZN7rocprim17ROCPRIM_400000_NS6detail17trampoline_kernelINS0_14default_configENS1_38merge_sort_block_merge_config_selectorIhNS0_10empty_typeEEEZZNS1_27merge_sort_block_merge_implIS3_PhPS5_jNS1_19radix_merge_compareILb1ELb0EhNS0_19identity_decomposerEEEEE10hipError_tT0_T1_T2_jT3_P12ihipStream_tbPNSt15iterator_traitsISE_E10value_typeEPNSK_ISF_E10value_typeEPSG_NS1_7vsmem_tEENKUlT_SE_SF_SG_E_clIS8_S8_S9_S9_EESD_ST_SE_SF_SG_EUlST_E_NS1_11comp_targetILNS1_3genE9ELNS1_11target_archE1100ELNS1_3gpuE3ELNS1_3repE0EEENS1_48merge_mergepath_partition_config_static_selectorELNS0_4arch9wavefront6targetE0EEEvSF_
		.amdhsa_group_segment_fixed_size 0
		.amdhsa_private_segment_fixed_size 0
		.amdhsa_kernarg_size 40
		.amdhsa_user_sgpr_count 2
		.amdhsa_user_sgpr_dispatch_ptr 0
		.amdhsa_user_sgpr_queue_ptr 0
		.amdhsa_user_sgpr_kernarg_segment_ptr 1
		.amdhsa_user_sgpr_dispatch_id 0
		.amdhsa_user_sgpr_kernarg_preload_length 0
		.amdhsa_user_sgpr_kernarg_preload_offset 0
		.amdhsa_user_sgpr_private_segment_size 0
		.amdhsa_wavefront_size32 1
		.amdhsa_uses_dynamic_stack 0
		.amdhsa_enable_private_segment 0
		.amdhsa_system_sgpr_workgroup_id_x 1
		.amdhsa_system_sgpr_workgroup_id_y 0
		.amdhsa_system_sgpr_workgroup_id_z 0
		.amdhsa_system_sgpr_workgroup_info 0
		.amdhsa_system_vgpr_workitem_id 0
		.amdhsa_next_free_vgpr 1
		.amdhsa_next_free_sgpr 1
		.amdhsa_named_barrier_count 0
		.amdhsa_reserve_vcc 0
		.amdhsa_float_round_mode_32 0
		.amdhsa_float_round_mode_16_64 0
		.amdhsa_float_denorm_mode_32 3
		.amdhsa_float_denorm_mode_16_64 3
		.amdhsa_fp16_overflow 0
		.amdhsa_memory_ordered 1
		.amdhsa_forward_progress 1
		.amdhsa_inst_pref_size 0
		.amdhsa_round_robin_scheduling 0
		.amdhsa_exception_fp_ieee_invalid_op 0
		.amdhsa_exception_fp_denorm_src 0
		.amdhsa_exception_fp_ieee_div_zero 0
		.amdhsa_exception_fp_ieee_overflow 0
		.amdhsa_exception_fp_ieee_underflow 0
		.amdhsa_exception_fp_ieee_inexact 0
		.amdhsa_exception_int_div_zero 0
	.end_amdhsa_kernel
	.section	.text._ZN7rocprim17ROCPRIM_400000_NS6detail17trampoline_kernelINS0_14default_configENS1_38merge_sort_block_merge_config_selectorIhNS0_10empty_typeEEEZZNS1_27merge_sort_block_merge_implIS3_PhPS5_jNS1_19radix_merge_compareILb1ELb0EhNS0_19identity_decomposerEEEEE10hipError_tT0_T1_T2_jT3_P12ihipStream_tbPNSt15iterator_traitsISE_E10value_typeEPNSK_ISF_E10value_typeEPSG_NS1_7vsmem_tEENKUlT_SE_SF_SG_E_clIS8_S8_S9_S9_EESD_ST_SE_SF_SG_EUlST_E_NS1_11comp_targetILNS1_3genE9ELNS1_11target_archE1100ELNS1_3gpuE3ELNS1_3repE0EEENS1_48merge_mergepath_partition_config_static_selectorELNS0_4arch9wavefront6targetE0EEEvSF_,"axG",@progbits,_ZN7rocprim17ROCPRIM_400000_NS6detail17trampoline_kernelINS0_14default_configENS1_38merge_sort_block_merge_config_selectorIhNS0_10empty_typeEEEZZNS1_27merge_sort_block_merge_implIS3_PhPS5_jNS1_19radix_merge_compareILb1ELb0EhNS0_19identity_decomposerEEEEE10hipError_tT0_T1_T2_jT3_P12ihipStream_tbPNSt15iterator_traitsISE_E10value_typeEPNSK_ISF_E10value_typeEPSG_NS1_7vsmem_tEENKUlT_SE_SF_SG_E_clIS8_S8_S9_S9_EESD_ST_SE_SF_SG_EUlST_E_NS1_11comp_targetILNS1_3genE9ELNS1_11target_archE1100ELNS1_3gpuE3ELNS1_3repE0EEENS1_48merge_mergepath_partition_config_static_selectorELNS0_4arch9wavefront6targetE0EEEvSF_,comdat
.Lfunc_end24:
	.size	_ZN7rocprim17ROCPRIM_400000_NS6detail17trampoline_kernelINS0_14default_configENS1_38merge_sort_block_merge_config_selectorIhNS0_10empty_typeEEEZZNS1_27merge_sort_block_merge_implIS3_PhPS5_jNS1_19radix_merge_compareILb1ELb0EhNS0_19identity_decomposerEEEEE10hipError_tT0_T1_T2_jT3_P12ihipStream_tbPNSt15iterator_traitsISE_E10value_typeEPNSK_ISF_E10value_typeEPSG_NS1_7vsmem_tEENKUlT_SE_SF_SG_E_clIS8_S8_S9_S9_EESD_ST_SE_SF_SG_EUlST_E_NS1_11comp_targetILNS1_3genE9ELNS1_11target_archE1100ELNS1_3gpuE3ELNS1_3repE0EEENS1_48merge_mergepath_partition_config_static_selectorELNS0_4arch9wavefront6targetE0EEEvSF_, .Lfunc_end24-_ZN7rocprim17ROCPRIM_400000_NS6detail17trampoline_kernelINS0_14default_configENS1_38merge_sort_block_merge_config_selectorIhNS0_10empty_typeEEEZZNS1_27merge_sort_block_merge_implIS3_PhPS5_jNS1_19radix_merge_compareILb1ELb0EhNS0_19identity_decomposerEEEEE10hipError_tT0_T1_T2_jT3_P12ihipStream_tbPNSt15iterator_traitsISE_E10value_typeEPNSK_ISF_E10value_typeEPSG_NS1_7vsmem_tEENKUlT_SE_SF_SG_E_clIS8_S8_S9_S9_EESD_ST_SE_SF_SG_EUlST_E_NS1_11comp_targetILNS1_3genE9ELNS1_11target_archE1100ELNS1_3gpuE3ELNS1_3repE0EEENS1_48merge_mergepath_partition_config_static_selectorELNS0_4arch9wavefront6targetE0EEEvSF_
                                        ; -- End function
	.set _ZN7rocprim17ROCPRIM_400000_NS6detail17trampoline_kernelINS0_14default_configENS1_38merge_sort_block_merge_config_selectorIhNS0_10empty_typeEEEZZNS1_27merge_sort_block_merge_implIS3_PhPS5_jNS1_19radix_merge_compareILb1ELb0EhNS0_19identity_decomposerEEEEE10hipError_tT0_T1_T2_jT3_P12ihipStream_tbPNSt15iterator_traitsISE_E10value_typeEPNSK_ISF_E10value_typeEPSG_NS1_7vsmem_tEENKUlT_SE_SF_SG_E_clIS8_S8_S9_S9_EESD_ST_SE_SF_SG_EUlST_E_NS1_11comp_targetILNS1_3genE9ELNS1_11target_archE1100ELNS1_3gpuE3ELNS1_3repE0EEENS1_48merge_mergepath_partition_config_static_selectorELNS0_4arch9wavefront6targetE0EEEvSF_.num_vgpr, 0
	.set _ZN7rocprim17ROCPRIM_400000_NS6detail17trampoline_kernelINS0_14default_configENS1_38merge_sort_block_merge_config_selectorIhNS0_10empty_typeEEEZZNS1_27merge_sort_block_merge_implIS3_PhPS5_jNS1_19radix_merge_compareILb1ELb0EhNS0_19identity_decomposerEEEEE10hipError_tT0_T1_T2_jT3_P12ihipStream_tbPNSt15iterator_traitsISE_E10value_typeEPNSK_ISF_E10value_typeEPSG_NS1_7vsmem_tEENKUlT_SE_SF_SG_E_clIS8_S8_S9_S9_EESD_ST_SE_SF_SG_EUlST_E_NS1_11comp_targetILNS1_3genE9ELNS1_11target_archE1100ELNS1_3gpuE3ELNS1_3repE0EEENS1_48merge_mergepath_partition_config_static_selectorELNS0_4arch9wavefront6targetE0EEEvSF_.num_agpr, 0
	.set _ZN7rocprim17ROCPRIM_400000_NS6detail17trampoline_kernelINS0_14default_configENS1_38merge_sort_block_merge_config_selectorIhNS0_10empty_typeEEEZZNS1_27merge_sort_block_merge_implIS3_PhPS5_jNS1_19radix_merge_compareILb1ELb0EhNS0_19identity_decomposerEEEEE10hipError_tT0_T1_T2_jT3_P12ihipStream_tbPNSt15iterator_traitsISE_E10value_typeEPNSK_ISF_E10value_typeEPSG_NS1_7vsmem_tEENKUlT_SE_SF_SG_E_clIS8_S8_S9_S9_EESD_ST_SE_SF_SG_EUlST_E_NS1_11comp_targetILNS1_3genE9ELNS1_11target_archE1100ELNS1_3gpuE3ELNS1_3repE0EEENS1_48merge_mergepath_partition_config_static_selectorELNS0_4arch9wavefront6targetE0EEEvSF_.numbered_sgpr, 0
	.set _ZN7rocprim17ROCPRIM_400000_NS6detail17trampoline_kernelINS0_14default_configENS1_38merge_sort_block_merge_config_selectorIhNS0_10empty_typeEEEZZNS1_27merge_sort_block_merge_implIS3_PhPS5_jNS1_19radix_merge_compareILb1ELb0EhNS0_19identity_decomposerEEEEE10hipError_tT0_T1_T2_jT3_P12ihipStream_tbPNSt15iterator_traitsISE_E10value_typeEPNSK_ISF_E10value_typeEPSG_NS1_7vsmem_tEENKUlT_SE_SF_SG_E_clIS8_S8_S9_S9_EESD_ST_SE_SF_SG_EUlST_E_NS1_11comp_targetILNS1_3genE9ELNS1_11target_archE1100ELNS1_3gpuE3ELNS1_3repE0EEENS1_48merge_mergepath_partition_config_static_selectorELNS0_4arch9wavefront6targetE0EEEvSF_.num_named_barrier, 0
	.set _ZN7rocprim17ROCPRIM_400000_NS6detail17trampoline_kernelINS0_14default_configENS1_38merge_sort_block_merge_config_selectorIhNS0_10empty_typeEEEZZNS1_27merge_sort_block_merge_implIS3_PhPS5_jNS1_19radix_merge_compareILb1ELb0EhNS0_19identity_decomposerEEEEE10hipError_tT0_T1_T2_jT3_P12ihipStream_tbPNSt15iterator_traitsISE_E10value_typeEPNSK_ISF_E10value_typeEPSG_NS1_7vsmem_tEENKUlT_SE_SF_SG_E_clIS8_S8_S9_S9_EESD_ST_SE_SF_SG_EUlST_E_NS1_11comp_targetILNS1_3genE9ELNS1_11target_archE1100ELNS1_3gpuE3ELNS1_3repE0EEENS1_48merge_mergepath_partition_config_static_selectorELNS0_4arch9wavefront6targetE0EEEvSF_.private_seg_size, 0
	.set _ZN7rocprim17ROCPRIM_400000_NS6detail17trampoline_kernelINS0_14default_configENS1_38merge_sort_block_merge_config_selectorIhNS0_10empty_typeEEEZZNS1_27merge_sort_block_merge_implIS3_PhPS5_jNS1_19radix_merge_compareILb1ELb0EhNS0_19identity_decomposerEEEEE10hipError_tT0_T1_T2_jT3_P12ihipStream_tbPNSt15iterator_traitsISE_E10value_typeEPNSK_ISF_E10value_typeEPSG_NS1_7vsmem_tEENKUlT_SE_SF_SG_E_clIS8_S8_S9_S9_EESD_ST_SE_SF_SG_EUlST_E_NS1_11comp_targetILNS1_3genE9ELNS1_11target_archE1100ELNS1_3gpuE3ELNS1_3repE0EEENS1_48merge_mergepath_partition_config_static_selectorELNS0_4arch9wavefront6targetE0EEEvSF_.uses_vcc, 0
	.set _ZN7rocprim17ROCPRIM_400000_NS6detail17trampoline_kernelINS0_14default_configENS1_38merge_sort_block_merge_config_selectorIhNS0_10empty_typeEEEZZNS1_27merge_sort_block_merge_implIS3_PhPS5_jNS1_19radix_merge_compareILb1ELb0EhNS0_19identity_decomposerEEEEE10hipError_tT0_T1_T2_jT3_P12ihipStream_tbPNSt15iterator_traitsISE_E10value_typeEPNSK_ISF_E10value_typeEPSG_NS1_7vsmem_tEENKUlT_SE_SF_SG_E_clIS8_S8_S9_S9_EESD_ST_SE_SF_SG_EUlST_E_NS1_11comp_targetILNS1_3genE9ELNS1_11target_archE1100ELNS1_3gpuE3ELNS1_3repE0EEENS1_48merge_mergepath_partition_config_static_selectorELNS0_4arch9wavefront6targetE0EEEvSF_.uses_flat_scratch, 0
	.set _ZN7rocprim17ROCPRIM_400000_NS6detail17trampoline_kernelINS0_14default_configENS1_38merge_sort_block_merge_config_selectorIhNS0_10empty_typeEEEZZNS1_27merge_sort_block_merge_implIS3_PhPS5_jNS1_19radix_merge_compareILb1ELb0EhNS0_19identity_decomposerEEEEE10hipError_tT0_T1_T2_jT3_P12ihipStream_tbPNSt15iterator_traitsISE_E10value_typeEPNSK_ISF_E10value_typeEPSG_NS1_7vsmem_tEENKUlT_SE_SF_SG_E_clIS8_S8_S9_S9_EESD_ST_SE_SF_SG_EUlST_E_NS1_11comp_targetILNS1_3genE9ELNS1_11target_archE1100ELNS1_3gpuE3ELNS1_3repE0EEENS1_48merge_mergepath_partition_config_static_selectorELNS0_4arch9wavefront6targetE0EEEvSF_.has_dyn_sized_stack, 0
	.set _ZN7rocprim17ROCPRIM_400000_NS6detail17trampoline_kernelINS0_14default_configENS1_38merge_sort_block_merge_config_selectorIhNS0_10empty_typeEEEZZNS1_27merge_sort_block_merge_implIS3_PhPS5_jNS1_19radix_merge_compareILb1ELb0EhNS0_19identity_decomposerEEEEE10hipError_tT0_T1_T2_jT3_P12ihipStream_tbPNSt15iterator_traitsISE_E10value_typeEPNSK_ISF_E10value_typeEPSG_NS1_7vsmem_tEENKUlT_SE_SF_SG_E_clIS8_S8_S9_S9_EESD_ST_SE_SF_SG_EUlST_E_NS1_11comp_targetILNS1_3genE9ELNS1_11target_archE1100ELNS1_3gpuE3ELNS1_3repE0EEENS1_48merge_mergepath_partition_config_static_selectorELNS0_4arch9wavefront6targetE0EEEvSF_.has_recursion, 0
	.set _ZN7rocprim17ROCPRIM_400000_NS6detail17trampoline_kernelINS0_14default_configENS1_38merge_sort_block_merge_config_selectorIhNS0_10empty_typeEEEZZNS1_27merge_sort_block_merge_implIS3_PhPS5_jNS1_19radix_merge_compareILb1ELb0EhNS0_19identity_decomposerEEEEE10hipError_tT0_T1_T2_jT3_P12ihipStream_tbPNSt15iterator_traitsISE_E10value_typeEPNSK_ISF_E10value_typeEPSG_NS1_7vsmem_tEENKUlT_SE_SF_SG_E_clIS8_S8_S9_S9_EESD_ST_SE_SF_SG_EUlST_E_NS1_11comp_targetILNS1_3genE9ELNS1_11target_archE1100ELNS1_3gpuE3ELNS1_3repE0EEENS1_48merge_mergepath_partition_config_static_selectorELNS0_4arch9wavefront6targetE0EEEvSF_.has_indirect_call, 0
	.section	.AMDGPU.csdata,"",@progbits
; Kernel info:
; codeLenInByte = 0
; TotalNumSgprs: 0
; NumVgprs: 0
; ScratchSize: 0
; MemoryBound: 0
; FloatMode: 240
; IeeeMode: 1
; LDSByteSize: 0 bytes/workgroup (compile time only)
; SGPRBlocks: 0
; VGPRBlocks: 0
; NumSGPRsForWavesPerEU: 1
; NumVGPRsForWavesPerEU: 1
; NamedBarCnt: 0
; Occupancy: 16
; WaveLimiterHint : 0
; COMPUTE_PGM_RSRC2:SCRATCH_EN: 0
; COMPUTE_PGM_RSRC2:USER_SGPR: 2
; COMPUTE_PGM_RSRC2:TRAP_HANDLER: 0
; COMPUTE_PGM_RSRC2:TGID_X_EN: 1
; COMPUTE_PGM_RSRC2:TGID_Y_EN: 0
; COMPUTE_PGM_RSRC2:TGID_Z_EN: 0
; COMPUTE_PGM_RSRC2:TIDIG_COMP_CNT: 0
	.section	.text._ZN7rocprim17ROCPRIM_400000_NS6detail17trampoline_kernelINS0_14default_configENS1_38merge_sort_block_merge_config_selectorIhNS0_10empty_typeEEEZZNS1_27merge_sort_block_merge_implIS3_PhPS5_jNS1_19radix_merge_compareILb1ELb0EhNS0_19identity_decomposerEEEEE10hipError_tT0_T1_T2_jT3_P12ihipStream_tbPNSt15iterator_traitsISE_E10value_typeEPNSK_ISF_E10value_typeEPSG_NS1_7vsmem_tEENKUlT_SE_SF_SG_E_clIS8_S8_S9_S9_EESD_ST_SE_SF_SG_EUlST_E_NS1_11comp_targetILNS1_3genE8ELNS1_11target_archE1030ELNS1_3gpuE2ELNS1_3repE0EEENS1_48merge_mergepath_partition_config_static_selectorELNS0_4arch9wavefront6targetE0EEEvSF_,"axG",@progbits,_ZN7rocprim17ROCPRIM_400000_NS6detail17trampoline_kernelINS0_14default_configENS1_38merge_sort_block_merge_config_selectorIhNS0_10empty_typeEEEZZNS1_27merge_sort_block_merge_implIS3_PhPS5_jNS1_19radix_merge_compareILb1ELb0EhNS0_19identity_decomposerEEEEE10hipError_tT0_T1_T2_jT3_P12ihipStream_tbPNSt15iterator_traitsISE_E10value_typeEPNSK_ISF_E10value_typeEPSG_NS1_7vsmem_tEENKUlT_SE_SF_SG_E_clIS8_S8_S9_S9_EESD_ST_SE_SF_SG_EUlST_E_NS1_11comp_targetILNS1_3genE8ELNS1_11target_archE1030ELNS1_3gpuE2ELNS1_3repE0EEENS1_48merge_mergepath_partition_config_static_selectorELNS0_4arch9wavefront6targetE0EEEvSF_,comdat
	.protected	_ZN7rocprim17ROCPRIM_400000_NS6detail17trampoline_kernelINS0_14default_configENS1_38merge_sort_block_merge_config_selectorIhNS0_10empty_typeEEEZZNS1_27merge_sort_block_merge_implIS3_PhPS5_jNS1_19radix_merge_compareILb1ELb0EhNS0_19identity_decomposerEEEEE10hipError_tT0_T1_T2_jT3_P12ihipStream_tbPNSt15iterator_traitsISE_E10value_typeEPNSK_ISF_E10value_typeEPSG_NS1_7vsmem_tEENKUlT_SE_SF_SG_E_clIS8_S8_S9_S9_EESD_ST_SE_SF_SG_EUlST_E_NS1_11comp_targetILNS1_3genE8ELNS1_11target_archE1030ELNS1_3gpuE2ELNS1_3repE0EEENS1_48merge_mergepath_partition_config_static_selectorELNS0_4arch9wavefront6targetE0EEEvSF_ ; -- Begin function _ZN7rocprim17ROCPRIM_400000_NS6detail17trampoline_kernelINS0_14default_configENS1_38merge_sort_block_merge_config_selectorIhNS0_10empty_typeEEEZZNS1_27merge_sort_block_merge_implIS3_PhPS5_jNS1_19radix_merge_compareILb1ELb0EhNS0_19identity_decomposerEEEEE10hipError_tT0_T1_T2_jT3_P12ihipStream_tbPNSt15iterator_traitsISE_E10value_typeEPNSK_ISF_E10value_typeEPSG_NS1_7vsmem_tEENKUlT_SE_SF_SG_E_clIS8_S8_S9_S9_EESD_ST_SE_SF_SG_EUlST_E_NS1_11comp_targetILNS1_3genE8ELNS1_11target_archE1030ELNS1_3gpuE2ELNS1_3repE0EEENS1_48merge_mergepath_partition_config_static_selectorELNS0_4arch9wavefront6targetE0EEEvSF_
	.globl	_ZN7rocprim17ROCPRIM_400000_NS6detail17trampoline_kernelINS0_14default_configENS1_38merge_sort_block_merge_config_selectorIhNS0_10empty_typeEEEZZNS1_27merge_sort_block_merge_implIS3_PhPS5_jNS1_19radix_merge_compareILb1ELb0EhNS0_19identity_decomposerEEEEE10hipError_tT0_T1_T2_jT3_P12ihipStream_tbPNSt15iterator_traitsISE_E10value_typeEPNSK_ISF_E10value_typeEPSG_NS1_7vsmem_tEENKUlT_SE_SF_SG_E_clIS8_S8_S9_S9_EESD_ST_SE_SF_SG_EUlST_E_NS1_11comp_targetILNS1_3genE8ELNS1_11target_archE1030ELNS1_3gpuE2ELNS1_3repE0EEENS1_48merge_mergepath_partition_config_static_selectorELNS0_4arch9wavefront6targetE0EEEvSF_
	.p2align	8
	.type	_ZN7rocprim17ROCPRIM_400000_NS6detail17trampoline_kernelINS0_14default_configENS1_38merge_sort_block_merge_config_selectorIhNS0_10empty_typeEEEZZNS1_27merge_sort_block_merge_implIS3_PhPS5_jNS1_19radix_merge_compareILb1ELb0EhNS0_19identity_decomposerEEEEE10hipError_tT0_T1_T2_jT3_P12ihipStream_tbPNSt15iterator_traitsISE_E10value_typeEPNSK_ISF_E10value_typeEPSG_NS1_7vsmem_tEENKUlT_SE_SF_SG_E_clIS8_S8_S9_S9_EESD_ST_SE_SF_SG_EUlST_E_NS1_11comp_targetILNS1_3genE8ELNS1_11target_archE1030ELNS1_3gpuE2ELNS1_3repE0EEENS1_48merge_mergepath_partition_config_static_selectorELNS0_4arch9wavefront6targetE0EEEvSF_,@function
_ZN7rocprim17ROCPRIM_400000_NS6detail17trampoline_kernelINS0_14default_configENS1_38merge_sort_block_merge_config_selectorIhNS0_10empty_typeEEEZZNS1_27merge_sort_block_merge_implIS3_PhPS5_jNS1_19radix_merge_compareILb1ELb0EhNS0_19identity_decomposerEEEEE10hipError_tT0_T1_T2_jT3_P12ihipStream_tbPNSt15iterator_traitsISE_E10value_typeEPNSK_ISF_E10value_typeEPSG_NS1_7vsmem_tEENKUlT_SE_SF_SG_E_clIS8_S8_S9_S9_EESD_ST_SE_SF_SG_EUlST_E_NS1_11comp_targetILNS1_3genE8ELNS1_11target_archE1030ELNS1_3gpuE2ELNS1_3repE0EEENS1_48merge_mergepath_partition_config_static_selectorELNS0_4arch9wavefront6targetE0EEEvSF_: ; @_ZN7rocprim17ROCPRIM_400000_NS6detail17trampoline_kernelINS0_14default_configENS1_38merge_sort_block_merge_config_selectorIhNS0_10empty_typeEEEZZNS1_27merge_sort_block_merge_implIS3_PhPS5_jNS1_19radix_merge_compareILb1ELb0EhNS0_19identity_decomposerEEEEE10hipError_tT0_T1_T2_jT3_P12ihipStream_tbPNSt15iterator_traitsISE_E10value_typeEPNSK_ISF_E10value_typeEPSG_NS1_7vsmem_tEENKUlT_SE_SF_SG_E_clIS8_S8_S9_S9_EESD_ST_SE_SF_SG_EUlST_E_NS1_11comp_targetILNS1_3genE8ELNS1_11target_archE1030ELNS1_3gpuE2ELNS1_3repE0EEENS1_48merge_mergepath_partition_config_static_selectorELNS0_4arch9wavefront6targetE0EEEvSF_
; %bb.0:
	.section	.rodata,"a",@progbits
	.p2align	6, 0x0
	.amdhsa_kernel _ZN7rocprim17ROCPRIM_400000_NS6detail17trampoline_kernelINS0_14default_configENS1_38merge_sort_block_merge_config_selectorIhNS0_10empty_typeEEEZZNS1_27merge_sort_block_merge_implIS3_PhPS5_jNS1_19radix_merge_compareILb1ELb0EhNS0_19identity_decomposerEEEEE10hipError_tT0_T1_T2_jT3_P12ihipStream_tbPNSt15iterator_traitsISE_E10value_typeEPNSK_ISF_E10value_typeEPSG_NS1_7vsmem_tEENKUlT_SE_SF_SG_E_clIS8_S8_S9_S9_EESD_ST_SE_SF_SG_EUlST_E_NS1_11comp_targetILNS1_3genE8ELNS1_11target_archE1030ELNS1_3gpuE2ELNS1_3repE0EEENS1_48merge_mergepath_partition_config_static_selectorELNS0_4arch9wavefront6targetE0EEEvSF_
		.amdhsa_group_segment_fixed_size 0
		.amdhsa_private_segment_fixed_size 0
		.amdhsa_kernarg_size 40
		.amdhsa_user_sgpr_count 2
		.amdhsa_user_sgpr_dispatch_ptr 0
		.amdhsa_user_sgpr_queue_ptr 0
		.amdhsa_user_sgpr_kernarg_segment_ptr 1
		.amdhsa_user_sgpr_dispatch_id 0
		.amdhsa_user_sgpr_kernarg_preload_length 0
		.amdhsa_user_sgpr_kernarg_preload_offset 0
		.amdhsa_user_sgpr_private_segment_size 0
		.amdhsa_wavefront_size32 1
		.amdhsa_uses_dynamic_stack 0
		.amdhsa_enable_private_segment 0
		.amdhsa_system_sgpr_workgroup_id_x 1
		.amdhsa_system_sgpr_workgroup_id_y 0
		.amdhsa_system_sgpr_workgroup_id_z 0
		.amdhsa_system_sgpr_workgroup_info 0
		.amdhsa_system_vgpr_workitem_id 0
		.amdhsa_next_free_vgpr 1
		.amdhsa_next_free_sgpr 1
		.amdhsa_named_barrier_count 0
		.amdhsa_reserve_vcc 0
		.amdhsa_float_round_mode_32 0
		.amdhsa_float_round_mode_16_64 0
		.amdhsa_float_denorm_mode_32 3
		.amdhsa_float_denorm_mode_16_64 3
		.amdhsa_fp16_overflow 0
		.amdhsa_memory_ordered 1
		.amdhsa_forward_progress 1
		.amdhsa_inst_pref_size 0
		.amdhsa_round_robin_scheduling 0
		.amdhsa_exception_fp_ieee_invalid_op 0
		.amdhsa_exception_fp_denorm_src 0
		.amdhsa_exception_fp_ieee_div_zero 0
		.amdhsa_exception_fp_ieee_overflow 0
		.amdhsa_exception_fp_ieee_underflow 0
		.amdhsa_exception_fp_ieee_inexact 0
		.amdhsa_exception_int_div_zero 0
	.end_amdhsa_kernel
	.section	.text._ZN7rocprim17ROCPRIM_400000_NS6detail17trampoline_kernelINS0_14default_configENS1_38merge_sort_block_merge_config_selectorIhNS0_10empty_typeEEEZZNS1_27merge_sort_block_merge_implIS3_PhPS5_jNS1_19radix_merge_compareILb1ELb0EhNS0_19identity_decomposerEEEEE10hipError_tT0_T1_T2_jT3_P12ihipStream_tbPNSt15iterator_traitsISE_E10value_typeEPNSK_ISF_E10value_typeEPSG_NS1_7vsmem_tEENKUlT_SE_SF_SG_E_clIS8_S8_S9_S9_EESD_ST_SE_SF_SG_EUlST_E_NS1_11comp_targetILNS1_3genE8ELNS1_11target_archE1030ELNS1_3gpuE2ELNS1_3repE0EEENS1_48merge_mergepath_partition_config_static_selectorELNS0_4arch9wavefront6targetE0EEEvSF_,"axG",@progbits,_ZN7rocprim17ROCPRIM_400000_NS6detail17trampoline_kernelINS0_14default_configENS1_38merge_sort_block_merge_config_selectorIhNS0_10empty_typeEEEZZNS1_27merge_sort_block_merge_implIS3_PhPS5_jNS1_19radix_merge_compareILb1ELb0EhNS0_19identity_decomposerEEEEE10hipError_tT0_T1_T2_jT3_P12ihipStream_tbPNSt15iterator_traitsISE_E10value_typeEPNSK_ISF_E10value_typeEPSG_NS1_7vsmem_tEENKUlT_SE_SF_SG_E_clIS8_S8_S9_S9_EESD_ST_SE_SF_SG_EUlST_E_NS1_11comp_targetILNS1_3genE8ELNS1_11target_archE1030ELNS1_3gpuE2ELNS1_3repE0EEENS1_48merge_mergepath_partition_config_static_selectorELNS0_4arch9wavefront6targetE0EEEvSF_,comdat
.Lfunc_end25:
	.size	_ZN7rocprim17ROCPRIM_400000_NS6detail17trampoline_kernelINS0_14default_configENS1_38merge_sort_block_merge_config_selectorIhNS0_10empty_typeEEEZZNS1_27merge_sort_block_merge_implIS3_PhPS5_jNS1_19radix_merge_compareILb1ELb0EhNS0_19identity_decomposerEEEEE10hipError_tT0_T1_T2_jT3_P12ihipStream_tbPNSt15iterator_traitsISE_E10value_typeEPNSK_ISF_E10value_typeEPSG_NS1_7vsmem_tEENKUlT_SE_SF_SG_E_clIS8_S8_S9_S9_EESD_ST_SE_SF_SG_EUlST_E_NS1_11comp_targetILNS1_3genE8ELNS1_11target_archE1030ELNS1_3gpuE2ELNS1_3repE0EEENS1_48merge_mergepath_partition_config_static_selectorELNS0_4arch9wavefront6targetE0EEEvSF_, .Lfunc_end25-_ZN7rocprim17ROCPRIM_400000_NS6detail17trampoline_kernelINS0_14default_configENS1_38merge_sort_block_merge_config_selectorIhNS0_10empty_typeEEEZZNS1_27merge_sort_block_merge_implIS3_PhPS5_jNS1_19radix_merge_compareILb1ELb0EhNS0_19identity_decomposerEEEEE10hipError_tT0_T1_T2_jT3_P12ihipStream_tbPNSt15iterator_traitsISE_E10value_typeEPNSK_ISF_E10value_typeEPSG_NS1_7vsmem_tEENKUlT_SE_SF_SG_E_clIS8_S8_S9_S9_EESD_ST_SE_SF_SG_EUlST_E_NS1_11comp_targetILNS1_3genE8ELNS1_11target_archE1030ELNS1_3gpuE2ELNS1_3repE0EEENS1_48merge_mergepath_partition_config_static_selectorELNS0_4arch9wavefront6targetE0EEEvSF_
                                        ; -- End function
	.set _ZN7rocprim17ROCPRIM_400000_NS6detail17trampoline_kernelINS0_14default_configENS1_38merge_sort_block_merge_config_selectorIhNS0_10empty_typeEEEZZNS1_27merge_sort_block_merge_implIS3_PhPS5_jNS1_19radix_merge_compareILb1ELb0EhNS0_19identity_decomposerEEEEE10hipError_tT0_T1_T2_jT3_P12ihipStream_tbPNSt15iterator_traitsISE_E10value_typeEPNSK_ISF_E10value_typeEPSG_NS1_7vsmem_tEENKUlT_SE_SF_SG_E_clIS8_S8_S9_S9_EESD_ST_SE_SF_SG_EUlST_E_NS1_11comp_targetILNS1_3genE8ELNS1_11target_archE1030ELNS1_3gpuE2ELNS1_3repE0EEENS1_48merge_mergepath_partition_config_static_selectorELNS0_4arch9wavefront6targetE0EEEvSF_.num_vgpr, 0
	.set _ZN7rocprim17ROCPRIM_400000_NS6detail17trampoline_kernelINS0_14default_configENS1_38merge_sort_block_merge_config_selectorIhNS0_10empty_typeEEEZZNS1_27merge_sort_block_merge_implIS3_PhPS5_jNS1_19radix_merge_compareILb1ELb0EhNS0_19identity_decomposerEEEEE10hipError_tT0_T1_T2_jT3_P12ihipStream_tbPNSt15iterator_traitsISE_E10value_typeEPNSK_ISF_E10value_typeEPSG_NS1_7vsmem_tEENKUlT_SE_SF_SG_E_clIS8_S8_S9_S9_EESD_ST_SE_SF_SG_EUlST_E_NS1_11comp_targetILNS1_3genE8ELNS1_11target_archE1030ELNS1_3gpuE2ELNS1_3repE0EEENS1_48merge_mergepath_partition_config_static_selectorELNS0_4arch9wavefront6targetE0EEEvSF_.num_agpr, 0
	.set _ZN7rocprim17ROCPRIM_400000_NS6detail17trampoline_kernelINS0_14default_configENS1_38merge_sort_block_merge_config_selectorIhNS0_10empty_typeEEEZZNS1_27merge_sort_block_merge_implIS3_PhPS5_jNS1_19radix_merge_compareILb1ELb0EhNS0_19identity_decomposerEEEEE10hipError_tT0_T1_T2_jT3_P12ihipStream_tbPNSt15iterator_traitsISE_E10value_typeEPNSK_ISF_E10value_typeEPSG_NS1_7vsmem_tEENKUlT_SE_SF_SG_E_clIS8_S8_S9_S9_EESD_ST_SE_SF_SG_EUlST_E_NS1_11comp_targetILNS1_3genE8ELNS1_11target_archE1030ELNS1_3gpuE2ELNS1_3repE0EEENS1_48merge_mergepath_partition_config_static_selectorELNS0_4arch9wavefront6targetE0EEEvSF_.numbered_sgpr, 0
	.set _ZN7rocprim17ROCPRIM_400000_NS6detail17trampoline_kernelINS0_14default_configENS1_38merge_sort_block_merge_config_selectorIhNS0_10empty_typeEEEZZNS1_27merge_sort_block_merge_implIS3_PhPS5_jNS1_19radix_merge_compareILb1ELb0EhNS0_19identity_decomposerEEEEE10hipError_tT0_T1_T2_jT3_P12ihipStream_tbPNSt15iterator_traitsISE_E10value_typeEPNSK_ISF_E10value_typeEPSG_NS1_7vsmem_tEENKUlT_SE_SF_SG_E_clIS8_S8_S9_S9_EESD_ST_SE_SF_SG_EUlST_E_NS1_11comp_targetILNS1_3genE8ELNS1_11target_archE1030ELNS1_3gpuE2ELNS1_3repE0EEENS1_48merge_mergepath_partition_config_static_selectorELNS0_4arch9wavefront6targetE0EEEvSF_.num_named_barrier, 0
	.set _ZN7rocprim17ROCPRIM_400000_NS6detail17trampoline_kernelINS0_14default_configENS1_38merge_sort_block_merge_config_selectorIhNS0_10empty_typeEEEZZNS1_27merge_sort_block_merge_implIS3_PhPS5_jNS1_19radix_merge_compareILb1ELb0EhNS0_19identity_decomposerEEEEE10hipError_tT0_T1_T2_jT3_P12ihipStream_tbPNSt15iterator_traitsISE_E10value_typeEPNSK_ISF_E10value_typeEPSG_NS1_7vsmem_tEENKUlT_SE_SF_SG_E_clIS8_S8_S9_S9_EESD_ST_SE_SF_SG_EUlST_E_NS1_11comp_targetILNS1_3genE8ELNS1_11target_archE1030ELNS1_3gpuE2ELNS1_3repE0EEENS1_48merge_mergepath_partition_config_static_selectorELNS0_4arch9wavefront6targetE0EEEvSF_.private_seg_size, 0
	.set _ZN7rocprim17ROCPRIM_400000_NS6detail17trampoline_kernelINS0_14default_configENS1_38merge_sort_block_merge_config_selectorIhNS0_10empty_typeEEEZZNS1_27merge_sort_block_merge_implIS3_PhPS5_jNS1_19radix_merge_compareILb1ELb0EhNS0_19identity_decomposerEEEEE10hipError_tT0_T1_T2_jT3_P12ihipStream_tbPNSt15iterator_traitsISE_E10value_typeEPNSK_ISF_E10value_typeEPSG_NS1_7vsmem_tEENKUlT_SE_SF_SG_E_clIS8_S8_S9_S9_EESD_ST_SE_SF_SG_EUlST_E_NS1_11comp_targetILNS1_3genE8ELNS1_11target_archE1030ELNS1_3gpuE2ELNS1_3repE0EEENS1_48merge_mergepath_partition_config_static_selectorELNS0_4arch9wavefront6targetE0EEEvSF_.uses_vcc, 0
	.set _ZN7rocprim17ROCPRIM_400000_NS6detail17trampoline_kernelINS0_14default_configENS1_38merge_sort_block_merge_config_selectorIhNS0_10empty_typeEEEZZNS1_27merge_sort_block_merge_implIS3_PhPS5_jNS1_19radix_merge_compareILb1ELb0EhNS0_19identity_decomposerEEEEE10hipError_tT0_T1_T2_jT3_P12ihipStream_tbPNSt15iterator_traitsISE_E10value_typeEPNSK_ISF_E10value_typeEPSG_NS1_7vsmem_tEENKUlT_SE_SF_SG_E_clIS8_S8_S9_S9_EESD_ST_SE_SF_SG_EUlST_E_NS1_11comp_targetILNS1_3genE8ELNS1_11target_archE1030ELNS1_3gpuE2ELNS1_3repE0EEENS1_48merge_mergepath_partition_config_static_selectorELNS0_4arch9wavefront6targetE0EEEvSF_.uses_flat_scratch, 0
	.set _ZN7rocprim17ROCPRIM_400000_NS6detail17trampoline_kernelINS0_14default_configENS1_38merge_sort_block_merge_config_selectorIhNS0_10empty_typeEEEZZNS1_27merge_sort_block_merge_implIS3_PhPS5_jNS1_19radix_merge_compareILb1ELb0EhNS0_19identity_decomposerEEEEE10hipError_tT0_T1_T2_jT3_P12ihipStream_tbPNSt15iterator_traitsISE_E10value_typeEPNSK_ISF_E10value_typeEPSG_NS1_7vsmem_tEENKUlT_SE_SF_SG_E_clIS8_S8_S9_S9_EESD_ST_SE_SF_SG_EUlST_E_NS1_11comp_targetILNS1_3genE8ELNS1_11target_archE1030ELNS1_3gpuE2ELNS1_3repE0EEENS1_48merge_mergepath_partition_config_static_selectorELNS0_4arch9wavefront6targetE0EEEvSF_.has_dyn_sized_stack, 0
	.set _ZN7rocprim17ROCPRIM_400000_NS6detail17trampoline_kernelINS0_14default_configENS1_38merge_sort_block_merge_config_selectorIhNS0_10empty_typeEEEZZNS1_27merge_sort_block_merge_implIS3_PhPS5_jNS1_19radix_merge_compareILb1ELb0EhNS0_19identity_decomposerEEEEE10hipError_tT0_T1_T2_jT3_P12ihipStream_tbPNSt15iterator_traitsISE_E10value_typeEPNSK_ISF_E10value_typeEPSG_NS1_7vsmem_tEENKUlT_SE_SF_SG_E_clIS8_S8_S9_S9_EESD_ST_SE_SF_SG_EUlST_E_NS1_11comp_targetILNS1_3genE8ELNS1_11target_archE1030ELNS1_3gpuE2ELNS1_3repE0EEENS1_48merge_mergepath_partition_config_static_selectorELNS0_4arch9wavefront6targetE0EEEvSF_.has_recursion, 0
	.set _ZN7rocprim17ROCPRIM_400000_NS6detail17trampoline_kernelINS0_14default_configENS1_38merge_sort_block_merge_config_selectorIhNS0_10empty_typeEEEZZNS1_27merge_sort_block_merge_implIS3_PhPS5_jNS1_19radix_merge_compareILb1ELb0EhNS0_19identity_decomposerEEEEE10hipError_tT0_T1_T2_jT3_P12ihipStream_tbPNSt15iterator_traitsISE_E10value_typeEPNSK_ISF_E10value_typeEPSG_NS1_7vsmem_tEENKUlT_SE_SF_SG_E_clIS8_S8_S9_S9_EESD_ST_SE_SF_SG_EUlST_E_NS1_11comp_targetILNS1_3genE8ELNS1_11target_archE1030ELNS1_3gpuE2ELNS1_3repE0EEENS1_48merge_mergepath_partition_config_static_selectorELNS0_4arch9wavefront6targetE0EEEvSF_.has_indirect_call, 0
	.section	.AMDGPU.csdata,"",@progbits
; Kernel info:
; codeLenInByte = 0
; TotalNumSgprs: 0
; NumVgprs: 0
; ScratchSize: 0
; MemoryBound: 0
; FloatMode: 240
; IeeeMode: 1
; LDSByteSize: 0 bytes/workgroup (compile time only)
; SGPRBlocks: 0
; VGPRBlocks: 0
; NumSGPRsForWavesPerEU: 1
; NumVGPRsForWavesPerEU: 1
; NamedBarCnt: 0
; Occupancy: 16
; WaveLimiterHint : 0
; COMPUTE_PGM_RSRC2:SCRATCH_EN: 0
; COMPUTE_PGM_RSRC2:USER_SGPR: 2
; COMPUTE_PGM_RSRC2:TRAP_HANDLER: 0
; COMPUTE_PGM_RSRC2:TGID_X_EN: 1
; COMPUTE_PGM_RSRC2:TGID_Y_EN: 0
; COMPUTE_PGM_RSRC2:TGID_Z_EN: 0
; COMPUTE_PGM_RSRC2:TIDIG_COMP_CNT: 0
	.section	.text._ZN7rocprim17ROCPRIM_400000_NS6detail17trampoline_kernelINS0_14default_configENS1_38merge_sort_block_merge_config_selectorIhNS0_10empty_typeEEEZZNS1_27merge_sort_block_merge_implIS3_PhPS5_jNS1_19radix_merge_compareILb1ELb0EhNS0_19identity_decomposerEEEEE10hipError_tT0_T1_T2_jT3_P12ihipStream_tbPNSt15iterator_traitsISE_E10value_typeEPNSK_ISF_E10value_typeEPSG_NS1_7vsmem_tEENKUlT_SE_SF_SG_E_clIS8_S8_S9_S9_EESD_ST_SE_SF_SG_EUlST_E0_NS1_11comp_targetILNS1_3genE0ELNS1_11target_archE4294967295ELNS1_3gpuE0ELNS1_3repE0EEENS1_38merge_mergepath_config_static_selectorELNS0_4arch9wavefront6targetE0EEEvSF_,"axG",@progbits,_ZN7rocprim17ROCPRIM_400000_NS6detail17trampoline_kernelINS0_14default_configENS1_38merge_sort_block_merge_config_selectorIhNS0_10empty_typeEEEZZNS1_27merge_sort_block_merge_implIS3_PhPS5_jNS1_19radix_merge_compareILb1ELb0EhNS0_19identity_decomposerEEEEE10hipError_tT0_T1_T2_jT3_P12ihipStream_tbPNSt15iterator_traitsISE_E10value_typeEPNSK_ISF_E10value_typeEPSG_NS1_7vsmem_tEENKUlT_SE_SF_SG_E_clIS8_S8_S9_S9_EESD_ST_SE_SF_SG_EUlST_E0_NS1_11comp_targetILNS1_3genE0ELNS1_11target_archE4294967295ELNS1_3gpuE0ELNS1_3repE0EEENS1_38merge_mergepath_config_static_selectorELNS0_4arch9wavefront6targetE0EEEvSF_,comdat
	.protected	_ZN7rocprim17ROCPRIM_400000_NS6detail17trampoline_kernelINS0_14default_configENS1_38merge_sort_block_merge_config_selectorIhNS0_10empty_typeEEEZZNS1_27merge_sort_block_merge_implIS3_PhPS5_jNS1_19radix_merge_compareILb1ELb0EhNS0_19identity_decomposerEEEEE10hipError_tT0_T1_T2_jT3_P12ihipStream_tbPNSt15iterator_traitsISE_E10value_typeEPNSK_ISF_E10value_typeEPSG_NS1_7vsmem_tEENKUlT_SE_SF_SG_E_clIS8_S8_S9_S9_EESD_ST_SE_SF_SG_EUlST_E0_NS1_11comp_targetILNS1_3genE0ELNS1_11target_archE4294967295ELNS1_3gpuE0ELNS1_3repE0EEENS1_38merge_mergepath_config_static_selectorELNS0_4arch9wavefront6targetE0EEEvSF_ ; -- Begin function _ZN7rocprim17ROCPRIM_400000_NS6detail17trampoline_kernelINS0_14default_configENS1_38merge_sort_block_merge_config_selectorIhNS0_10empty_typeEEEZZNS1_27merge_sort_block_merge_implIS3_PhPS5_jNS1_19radix_merge_compareILb1ELb0EhNS0_19identity_decomposerEEEEE10hipError_tT0_T1_T2_jT3_P12ihipStream_tbPNSt15iterator_traitsISE_E10value_typeEPNSK_ISF_E10value_typeEPSG_NS1_7vsmem_tEENKUlT_SE_SF_SG_E_clIS8_S8_S9_S9_EESD_ST_SE_SF_SG_EUlST_E0_NS1_11comp_targetILNS1_3genE0ELNS1_11target_archE4294967295ELNS1_3gpuE0ELNS1_3repE0EEENS1_38merge_mergepath_config_static_selectorELNS0_4arch9wavefront6targetE0EEEvSF_
	.globl	_ZN7rocprim17ROCPRIM_400000_NS6detail17trampoline_kernelINS0_14default_configENS1_38merge_sort_block_merge_config_selectorIhNS0_10empty_typeEEEZZNS1_27merge_sort_block_merge_implIS3_PhPS5_jNS1_19radix_merge_compareILb1ELb0EhNS0_19identity_decomposerEEEEE10hipError_tT0_T1_T2_jT3_P12ihipStream_tbPNSt15iterator_traitsISE_E10value_typeEPNSK_ISF_E10value_typeEPSG_NS1_7vsmem_tEENKUlT_SE_SF_SG_E_clIS8_S8_S9_S9_EESD_ST_SE_SF_SG_EUlST_E0_NS1_11comp_targetILNS1_3genE0ELNS1_11target_archE4294967295ELNS1_3gpuE0ELNS1_3repE0EEENS1_38merge_mergepath_config_static_selectorELNS0_4arch9wavefront6targetE0EEEvSF_
	.p2align	8
	.type	_ZN7rocprim17ROCPRIM_400000_NS6detail17trampoline_kernelINS0_14default_configENS1_38merge_sort_block_merge_config_selectorIhNS0_10empty_typeEEEZZNS1_27merge_sort_block_merge_implIS3_PhPS5_jNS1_19radix_merge_compareILb1ELb0EhNS0_19identity_decomposerEEEEE10hipError_tT0_T1_T2_jT3_P12ihipStream_tbPNSt15iterator_traitsISE_E10value_typeEPNSK_ISF_E10value_typeEPSG_NS1_7vsmem_tEENKUlT_SE_SF_SG_E_clIS8_S8_S9_S9_EESD_ST_SE_SF_SG_EUlST_E0_NS1_11comp_targetILNS1_3genE0ELNS1_11target_archE4294967295ELNS1_3gpuE0ELNS1_3repE0EEENS1_38merge_mergepath_config_static_selectorELNS0_4arch9wavefront6targetE0EEEvSF_,@function
_ZN7rocprim17ROCPRIM_400000_NS6detail17trampoline_kernelINS0_14default_configENS1_38merge_sort_block_merge_config_selectorIhNS0_10empty_typeEEEZZNS1_27merge_sort_block_merge_implIS3_PhPS5_jNS1_19radix_merge_compareILb1ELb0EhNS0_19identity_decomposerEEEEE10hipError_tT0_T1_T2_jT3_P12ihipStream_tbPNSt15iterator_traitsISE_E10value_typeEPNSK_ISF_E10value_typeEPSG_NS1_7vsmem_tEENKUlT_SE_SF_SG_E_clIS8_S8_S9_S9_EESD_ST_SE_SF_SG_EUlST_E0_NS1_11comp_targetILNS1_3genE0ELNS1_11target_archE4294967295ELNS1_3gpuE0ELNS1_3repE0EEENS1_38merge_mergepath_config_static_selectorELNS0_4arch9wavefront6targetE0EEEvSF_: ; @_ZN7rocprim17ROCPRIM_400000_NS6detail17trampoline_kernelINS0_14default_configENS1_38merge_sort_block_merge_config_selectorIhNS0_10empty_typeEEEZZNS1_27merge_sort_block_merge_implIS3_PhPS5_jNS1_19radix_merge_compareILb1ELb0EhNS0_19identity_decomposerEEEEE10hipError_tT0_T1_T2_jT3_P12ihipStream_tbPNSt15iterator_traitsISE_E10value_typeEPNSK_ISF_E10value_typeEPSG_NS1_7vsmem_tEENKUlT_SE_SF_SG_E_clIS8_S8_S9_S9_EESD_ST_SE_SF_SG_EUlST_E0_NS1_11comp_targetILNS1_3genE0ELNS1_11target_archE4294967295ELNS1_3gpuE0ELNS1_3repE0EEENS1_38merge_mergepath_config_static_selectorELNS0_4arch9wavefront6targetE0EEEvSF_
; %bb.0:
	s_bfe_u32 s2, ttmp6, 0x40010
	s_and_b32 s4, ttmp7, 0xffff
	s_add_co_i32 s5, s2, 1
	s_clause 0x1
	s_load_b32 s6, s[0:1], 0x30
	s_load_b64 s[2:3], s[0:1], 0x40
	s_bfe_u32 s8, ttmp6, 0x4000c
	s_mul_i32 s5, s4, s5
	s_bfe_u32 s7, ttmp6, 0x40004
	s_add_co_i32 s8, s8, 1
	s_bfe_u32 s9, ttmp6, 0x40014
	s_add_co_i32 s7, s7, s5
	s_and_b32 s5, ttmp6, 15
	s_mul_i32 s8, ttmp9, s8
	s_lshr_b32 s10, ttmp7, 16
	s_add_co_i32 s9, s9, 1
	s_add_co_i32 s5, s5, s8
	s_mul_i32 s8, s10, s9
	s_bfe_u32 s9, ttmp6, 0x40008
	s_getreg_b32 s11, hwreg(HW_REG_IB_STS2, 6, 4)
	s_add_co_i32 s9, s9, s8
	s_cmp_eq_u32 s11, 0
	s_cselect_b32 s8, s10, s9
	s_cselect_b32 s4, s4, s7
	s_wait_kmcnt 0x0
	s_mul_i32 s8, s3, s8
	s_cselect_b32 s3, ttmp9, s5
	s_add_co_i32 s4, s8, s4
	s_mov_b32 s5, 0
	s_mul_i32 s4, s4, s2
	s_delay_alu instid0(SALU_CYCLE_1) | instskip(NEXT) | instid1(SALU_CYCLE_1)
	s_add_co_i32 s4, s4, s3
	s_cmp_ge_u32 s4, s6
	s_cbranch_scc1 .LBB26_49
; %bb.1:
	v_mov_b32_e32 v1, 0
	s_add_nc_u64 s[6:7], s[0:1], 64
	global_load_b32 v2, v1, s[6:7] offset:14
	s_clause 0x2
	s_load_b64 s[8:9], s[0:1], 0x28
	s_load_b64 s[10:11], s[0:1], 0x38
	;; [unrolled: 1-line block ×3, first 2 shown]
	s_wait_kmcnt 0x0
	s_lshr_b32 s20, s8, 10
	s_delay_alu instid0(SALU_CYCLE_1) | instskip(SKIP_2) | instid1(SALU_CYCLE_1)
	s_cmp_lg_u32 s4, s20
	s_cselect_b32 s14, -1, 0
	s_lshl_b64 s[16:17], s[4:5], 2
	s_add_nc_u64 s[10:11], s[10:11], s[16:17]
	s_load_b64 s[16:17], s[10:11], 0x0
	s_wait_xcnt 0x0
	s_lshr_b32 s10, s9, 9
	s_delay_alu instid0(SALU_CYCLE_1) | instskip(NEXT) | instid1(SALU_CYCLE_1)
	s_and_b32 s10, s10, 0x7ffffe
	s_sub_co_i32 s11, 0, s10
	s_lshl_b32 s10, s4, 10
	s_and_b32 s15, s4, s11
	s_or_b32 s11, s4, s11
	s_lshl_b32 s18, s15, 11
	s_lshl_b32 s15, s15, 10
	s_add_co_i32 s18, s18, s9
	s_sub_co_i32 s19, s10, s15
	s_sub_co_i32 s15, s18, s15
	s_add_co_i32 s18, s18, s19
	s_min_u32 s19, s8, s15
	s_add_co_i32 s15, s15, s9
	s_wait_kmcnt 0x0
	s_sub_co_i32 s9, s18, s16
	s_sub_co_i32 s21, s18, s17
	s_min_u32 s18, s8, s9
	s_addk_co_i32 s21, 0x400
	s_cmp_eq_u32 s11, -1
	s_cselect_b32 s9, s15, s21
	s_cselect_b32 s11, s19, s17
	s_min_u32 s15, s9, s8
	s_sub_co_i32 s9, s11, s16
	s_sub_co_i32 s15, s15, s18
	s_cmp_lt_u32 s3, s2
	s_mov_b32 s3, s5
	s_cselect_b32 s2, 12, 18
	s_mov_b32 s17, s5
	s_add_nc_u64 s[2:3], s[6:7], s[2:3]
	s_mov_b32 s19, s5
	s_load_u16 s2, s[2:3], 0x0
	s_add_nc_u64 s[6:7], s[12:13], s[16:17]
	s_cmp_eq_u32 s4, s20
	s_add_nc_u64 s[12:13], s[12:13], s[18:19]
	s_wait_loadcnt 0x0
	v_lshrrev_b32_e32 v3, 16, v2
	v_and_b32_e32 v2, 0xffff, v2
	s_delay_alu instid0(VALU_DEP_1) | instskip(SKIP_1) | instid1(VALU_DEP_1)
	v_mul_lo_u32 v2, v2, v3
	s_wait_kmcnt 0x0
	v_mul_lo_u32 v8, v2, s2
	s_mov_b32 s2, -1
	s_delay_alu instid0(VALU_DEP_1) | instskip(NEXT) | instid1(VALU_DEP_1)
	v_add_nc_u32_e32 v6, v8, v0
	v_add_nc_u32_e32 v4, v6, v8
	s_cbranch_scc1 .LBB26_3
; %bb.2:
	v_sub_co_u32 v10, vcc_lo, v0, s9
	v_dual_mov_b32 v11, v1 :: v_dual_mov_b32 v7, v1
	v_add_nc_u64_e32 v[2:3], s[6:7], v[0:1]
	v_sub_co_u32 v14, s2, v6, s9
	s_delay_alu instid0(VALU_DEP_3) | instskip(SKIP_3) | instid1(VALU_DEP_3)
	v_add_nc_u64_e32 v[10:11], s[12:13], v[10:11]
	v_dual_mov_b32 v15, v1 :: v_dual_mov_b32 v5, v1
	v_add_nc_u64_e32 v[12:13], s[6:7], v[6:7]
	v_dual_mov_b32 v17, v1 :: v_dual_add_nc_u32 v18, v4, v8
	v_add_nc_u64_e32 v[14:15], s[12:13], v[14:15]
	v_dual_cndmask_b32 v3, v11, v3 :: v_dual_cndmask_b32 v2, v10, v2
	v_sub_co_u32 v16, vcc_lo, v4, s9
	v_add_nc_u64_e32 v[10:11], s[6:7], v[4:5]
	s_delay_alu instid0(VALU_DEP_4) | instskip(SKIP_1) | instid1(VALU_DEP_4)
	v_dual_mov_b32 v19, v1 :: v_dual_cndmask_b32 v13, v15, v13, s2
	v_dual_cndmask_b32 v12, v14, v12, s2 :: v_dual_mov_b32 v25, v1
	v_add_nc_u64_e32 v[14:15], s[12:13], v[16:17]
	v_add_nc_u32_e32 v16, v18, v8
	s_delay_alu instid0(VALU_DEP_4)
	v_add_nc_u64_e32 v[20:21], s[6:7], v[18:19]
	v_sub_co_u32 v18, s2, v18, s9
	s_add_co_i32 s11, s15, s9
	v_dual_mov_b32 v27, v1 :: v_dual_cndmask_b32 v11, v15, v11, vcc_lo
	v_add_nc_u64_e32 v[22:23], s[6:7], v[16:17]
	v_sub_co_u32 v24, s3, v16, s9
	v_dual_add_nc_u32 v16, v16, v8 :: v_dual_cndmask_b32 v10, v14, v10, vcc_lo
	v_mov_b32_e32 v29, v1
	v_add_nc_u64_e32 v[14:15], s[12:13], v[18:19]
	s_delay_alu instid0(VALU_DEP_4) | instskip(NEXT) | instid1(VALU_DEP_4)
	v_add_nc_u64_e32 v[18:19], s[12:13], v[24:25]
	v_add_nc_u32_e32 v26, v16, v8
	v_add_nc_u64_e32 v[24:25], s[6:7], v[16:17]
	v_sub_co_u32 v16, vcc_lo, v16, s9
	s_delay_alu instid0(VALU_DEP_3) | instskip(SKIP_2) | instid1(VALU_DEP_4)
	v_add_nc_u32_e32 v28, v26, v8
	v_add_nc_u64_e32 v[30:31], s[6:7], v[26:27]
	v_sub_co_u32 v26, s4, v26, s9
	v_add_nc_u64_e32 v[16:17], s[12:13], v[16:17]
	s_delay_alu instid0(VALU_DEP_4) | instskip(SKIP_3) | instid1(VALU_DEP_3)
	v_add_nc_u64_e32 v[32:33], s[6:7], v[28:29]
	v_sub_co_u32 v28, s5, v28, s9
	v_dual_cndmask_b32 v15, v15, v21, s2 :: v_dual_cndmask_b32 v14, v14, v20, s2
	v_add_nc_u64_e32 v[26:27], s[12:13], v[26:27]
	v_add_nc_u64_e32 v[20:21], s[12:13], v[28:29]
	v_dual_cndmask_b32 v19, v19, v23, s3 :: v_dual_cndmask_b32 v18, v18, v22, s3
	v_dual_cndmask_b32 v17, v17, v25 :: v_dual_cndmask_b32 v16, v16, v24
	s_delay_alu instid0(VALU_DEP_4) | instskip(NEXT) | instid1(VALU_DEP_4)
	v_dual_cndmask_b32 v23, v27, v31, s4 :: v_dual_cndmask_b32 v22, v26, v30, s4
	v_dual_cndmask_b32 v21, v21, v33, s5 :: v_dual_cndmask_b32 v20, v20, v32, s5
	global_load_u8 v1, v[2:3], off
	global_load_u8 v5, v[12:13], off
	;; [unrolled: 1-line block ×8, first 2 shown]
	s_wait_loadcnt 0x6
	v_perm_b32 v1, v1, v5, 0xc0c0004
	s_wait_loadcnt 0x4
	v_perm_b32 v2, v7, v9, 0xc0c0004
	;; [unrolled: 2-line block ×4, first 2 shown]
	v_lshl_or_b32 v2, v2, 16, v1
	s_delay_alu instid0(VALU_DEP_2)
	v_lshl_or_b32 v3, v5, 16, v3
	s_cbranch_execz .LBB26_4
	s_branch .LBB26_19
.LBB26_3:
                                        ; implicit-def: $vgpr2_vgpr3
                                        ; implicit-def: $sgpr11
	s_and_not1_b32 vcc_lo, exec_lo, s2
	s_cbranch_vccnz .LBB26_19
.LBB26_4:
	v_mov_b64_e32 v[2:3], 0
	s_add_co_i32 s11, s15, s9
	s_mov_b32 s2, exec_lo
	v_cmpx_gt_u32_e64 s11, v0
	s_cbranch_execnz .LBB26_50
; %bb.5:
	s_or_b32 exec_lo, exec_lo, s2
	s_delay_alu instid0(SALU_CYCLE_1)
	s_mov_b32 s2, exec_lo
	v_cmpx_gt_u32_e64 s11, v6
	s_cbranch_execnz .LBB26_51
.LBB26_6:
	s_or_b32 exec_lo, exec_lo, s2
	s_delay_alu instid0(SALU_CYCLE_1)
	s_mov_b32 s2, exec_lo
	v_cmpx_gt_u32_e64 s11, v4
	s_cbranch_execz .LBB26_8
.LBB26_7:
	v_sub_co_u32 v10, vcc_lo, v4, s9
	v_mov_b32_e32 v5, 0
	s_delay_alu instid0(VALU_DEP_1) | instskip(SKIP_1) | instid1(VALU_DEP_1)
	v_add_nc_u64_e32 v[6:7], s[6:7], v[4:5]
	v_mov_b32_e32 v11, v5
	v_add_nc_u64_e32 v[10:11], s[12:13], v[10:11]
	s_delay_alu instid0(VALU_DEP_1) | instskip(SKIP_3) | instid1(VALU_DEP_1)
	v_dual_cndmask_b32 v7, v11, v7 :: v_dual_cndmask_b32 v6, v10, v6
	global_load_u8 v1, v[6:7], off
	s_wait_loadcnt 0x0
	v_perm_b32 v1, v1, v2, 0xc0c0304
	v_lshlrev_b32_e32 v1, 16, v1
	s_delay_alu instid0(VALU_DEP_1)
	v_and_or_b32 v2, 0xffff, v2, v1
.LBB26_8:
	s_or_b32 exec_lo, exec_lo, s2
	v_add_nc_u32_e32 v4, v4, v8
	s_mov_b32 s2, exec_lo
	s_delay_alu instid0(VALU_DEP_1)
	v_cmpx_gt_u32_e64 s11, v4
	s_cbranch_execz .LBB26_10
; %bb.9:
	v_sub_co_u32 v10, vcc_lo, v4, s9
	v_mov_b32_e32 v5, 0
	s_delay_alu instid0(VALU_DEP_1) | instskip(SKIP_1) | instid1(VALU_DEP_1)
	v_add_nc_u64_e32 v[6:7], s[6:7], v[4:5]
	v_mov_b32_e32 v11, v5
	v_add_nc_u64_e32 v[10:11], s[12:13], v[10:11]
	s_delay_alu instid0(VALU_DEP_1) | instskip(SKIP_3) | instid1(VALU_DEP_1)
	v_dual_cndmask_b32 v7, v11, v7 :: v_dual_cndmask_b32 v6, v10, v6
	global_load_u8 v1, v[6:7], off
	s_wait_loadcnt 0x0
	v_perm_b32 v1, v2, v1, 0xc0c0006
	v_lshlrev_b32_e32 v1, 16, v1
	s_delay_alu instid0(VALU_DEP_1)
	v_and_or_b32 v2, 0xffff, v2, v1
.LBB26_10:
	s_or_b32 exec_lo, exec_lo, s2
	v_add_nc_u32_e32 v4, v4, v8
	s_mov_b32 s2, exec_lo
	s_delay_alu instid0(VALU_DEP_1)
	v_cmpx_gt_u32_e64 s11, v4
	s_cbranch_execz .LBB26_12
; %bb.11:
	v_sub_co_u32 v10, vcc_lo, v4, s9
	v_mov_b32_e32 v5, 0
	s_delay_alu instid0(VALU_DEP_1) | instskip(SKIP_1) | instid1(VALU_DEP_1)
	v_add_nc_u64_e32 v[6:7], s[6:7], v[4:5]
	v_mov_b32_e32 v11, v5
	v_add_nc_u64_e32 v[10:11], s[12:13], v[10:11]
	s_delay_alu instid0(VALU_DEP_1)
	v_dual_cndmask_b32 v7, v11, v7 :: v_dual_cndmask_b32 v6, v10, v6
	global_load_u8 v1, v[6:7], off
	s_wait_loadcnt 0x0
	v_perm_b32 v3, v1, v3, 0x3020104
.LBB26_12:
	s_or_b32 exec_lo, exec_lo, s2
	v_add_nc_u32_e32 v4, v4, v8
	s_mov_b32 s2, exec_lo
	s_delay_alu instid0(VALU_DEP_1)
	v_cmpx_gt_u32_e64 s11, v4
	s_cbranch_execz .LBB26_14
; %bb.13:
	v_sub_co_u32 v10, vcc_lo, v4, s9
	v_mov_b32_e32 v5, 0
	s_delay_alu instid0(VALU_DEP_1) | instskip(SKIP_1) | instid1(VALU_DEP_1)
	v_add_nc_u64_e32 v[6:7], s[6:7], v[4:5]
	v_mov_b32_e32 v11, v5
	v_add_nc_u64_e32 v[10:11], s[12:13], v[10:11]
	s_delay_alu instid0(VALU_DEP_1)
	v_dual_cndmask_b32 v7, v11, v7 :: v_dual_cndmask_b32 v6, v10, v6
	global_load_u8 v1, v[6:7], off
	s_wait_loadcnt 0x0
	v_perm_b32 v3, v3, v1, 0x7060004
.LBB26_14:
	;; [unrolled: 19-line block ×3, first 2 shown]
	s_or_b32 exec_lo, exec_lo, s2
	v_add_nc_u32_e32 v4, v4, v8
	s_mov_b32 s2, exec_lo
	s_delay_alu instid0(VALU_DEP_1)
	v_cmpx_gt_u32_e64 s11, v4
	s_cbranch_execz .LBB26_18
; %bb.17:
	v_mov_b32_e32 v5, 0
	s_delay_alu instid0(VALU_DEP_1) | instskip(SKIP_1) | instid1(VALU_DEP_1)
	v_add_nc_u64_e32 v[6:7], s[6:7], v[4:5]
	v_sub_co_u32 v4, vcc_lo, v4, s9
	v_add_nc_u64_e32 v[4:5], s[12:13], v[4:5]
	s_delay_alu instid0(VALU_DEP_1)
	v_dual_cndmask_b32 v5, v5, v7 :: v_dual_cndmask_b32 v4, v4, v6
	global_load_u8 v1, v[4:5], off
	s_wait_loadcnt 0x0
	v_perm_b32 v3, v3, v1, 0x60504
.LBB26_18:
	s_or_b32 exec_lo, exec_lo, s2
.LBB26_19:
	s_load_b64 s[12:13], s[0:1], 0x10
	v_dual_lshlrev_b32 v6, 3, v0 :: v_dual_lshrrev_b32 v7, 8, v2
	s_delay_alu instid0(VALU_DEP_2) | instskip(SKIP_1) | instid1(VALU_DEP_3)
	v_lshrrev_b64 v[4:5], 24, v[2:3]
	v_dual_lshrrev_b32 v8, 16, v2 :: v_dual_lshrrev_b32 v5, 8, v3
	v_min_u32_e32 v1, s11, v6
	v_dual_lshrrev_b32 v9, 16, v3 :: v_dual_lshrrev_b32 v11, 24, v3
	s_wait_xcnt 0x0
	s_mov_b32 s0, exec_lo
	ds_store_b8 v0, v2
	ds_store_b8 v0, v7 offset:128
	ds_store_b8 v0, v8 offset:256
	;; [unrolled: 1-line block ×7, first 2 shown]
	v_sub_nc_u32_e64 v10, v1, s15 clamp
	v_min_u32_e32 v12, s9, v1
	s_wait_dscnt 0x0
	s_barrier_signal -1
	s_barrier_wait -1
	s_delay_alu instid0(VALU_DEP_1)
	v_cmpx_lt_u32_e64 v10, v12
	s_cbranch_execz .LBB26_23
; %bb.20:
	v_add_nc_u32_e32 v13, s9, v1
	s_mov_b32 s1, 0
.LBB26_21:                              ; =>This Inner Loop Header: Depth=1
	v_add_nc_u32_e32 v14, v12, v10
	s_delay_alu instid0(VALU_DEP_1) | instskip(NEXT) | instid1(VALU_DEP_1)
	v_lshrrev_b32_e32 v14, 1, v14
	v_xad_u32 v15, v14, -1, v13
	ds_load_u8 v16, v14
	ds_load_u8 v15, v15
	s_wait_dscnt 0x0
	v_cmp_gt_u16_e32 vcc_lo, v15, v16
	v_dual_cndmask_b32 v12, v12, v14 :: v_dual_add_nc_u32 v17, 1, v14
	s_delay_alu instid0(VALU_DEP_1) | instskip(NEXT) | instid1(VALU_DEP_1)
	v_cndmask_b32_e32 v10, v17, v10, vcc_lo
	v_cmp_ge_u32_e32 vcc_lo, v10, v12
	s_or_b32 s1, vcc_lo, s1
	s_delay_alu instid0(SALU_CYCLE_1)
	s_and_not1_b32 exec_lo, exec_lo, s1
	s_cbranch_execnz .LBB26_21
; %bb.22:
	s_or_b32 exec_lo, exec_lo, s1
.LBB26_23:
	s_delay_alu instid0(SALU_CYCLE_1) | instskip(SKIP_2) | instid1(VALU_DEP_2)
	s_or_b32 exec_lo, exec_lo, s0
	v_sub_nc_u32_e32 v1, v1, v10
	v_cmp_ge_u32_e32 vcc_lo, s9, v10
	v_add_nc_u32_e32 v12, s9, v1
	s_delay_alu instid0(VALU_DEP_1) | instskip(SKIP_1) | instid1(SALU_CYCLE_1)
	v_cmp_ge_u32_e64 s0, s11, v12
	s_or_b32 s0, vcc_lo, s0
	s_and_saveexec_b32 s15, s0
	s_cbranch_execz .LBB26_29
; %bb.24:
	v_cmp_gt_u32_e32 vcc_lo, s9, v10
                                        ; implicit-def: $vgpr1
	s_and_saveexec_b32 s0, vcc_lo
; %bb.25:
	ds_load_u8 v1, v10
; %bb.26:
	s_or_b32 exec_lo, exec_lo, s0
	v_cmp_le_u32_e64 s0, s11, v12
	s_mov_b32 s2, exec_lo
                                        ; implicit-def: $vgpr2
	v_cmpx_gt_u32_e64 s11, v12
; %bb.27:
	ds_load_u8 v2, v12
; %bb.28:
	s_or_b32 exec_lo, exec_lo, s2
	s_wait_dscnt 0x0
	v_and_b32_e32 v3, 0xff, v1
	v_and_b32_e32 v4, 0xff, v2
	s_delay_alu instid0(VALU_DEP_1) | instskip(SKIP_1) | instid1(SALU_CYCLE_1)
	v_cmp_le_u16_e64 s1, v4, v3
	s_and_b32 s1, vcc_lo, s1
	s_or_b32 vcc_lo, s0, s1
	v_dual_mov_b32 v3, s9 :: v_dual_cndmask_b32 v4, v12, v10
	s_delay_alu instid0(VALU_DEP_1) | instskip(NEXT) | instid1(VALU_DEP_1)
	v_dual_cndmask_b32 v5, s11, v3 :: v_dual_add_nc_u32 v4, 1, v4
	v_add_min_u32_e64 v5, v5, -1, v4
	v_cndmask_b32_e32 v8, v10, v4, vcc_lo
	v_cndmask_b32_e32 v4, v4, v12, vcc_lo
	ds_load_u8 v5, v5
	v_cmp_gt_u32_e64 s0, s9, v8
	v_cmp_le_u32_e64 s2, s11, v4
	s_wait_dscnt 0x0
	v_cndmask_b32_e32 v7, v5, v2, vcc_lo
	v_cndmask_b32_e32 v5, v1, v5, vcc_lo
	;; [unrolled: 1-line block ×3, first 2 shown]
	s_delay_alu instid0(VALU_DEP_3) | instskip(NEXT) | instid1(VALU_DEP_3)
	v_and_b32_e32 v9, 0xff, v7
	v_and_b32_e32 v10, 0xff, v5
	s_delay_alu instid0(VALU_DEP_1) | instskip(SKIP_1) | instid1(SALU_CYCLE_1)
	v_cmp_le_u16_e64 s1, v9, v10
	s_and_b32 s0, s0, s1
	s_or_b32 s0, s2, s0
	s_delay_alu instid0(SALU_CYCLE_1) | instskip(NEXT) | instid1(VALU_DEP_1)
	v_cndmask_b32_e64 v9, v4, v8, s0
	v_dual_cndmask_b32 v10, s11, v3, s0 :: v_dual_add_nc_u32 v9, 1, v9
	s_delay_alu instid0(VALU_DEP_1)
	v_add_min_u32_e64 v10, v10, -1, v9
	v_dual_cndmask_b32 v8, v8, v9, s0 :: v_dual_cndmask_b32 v4, v9, v4, s0
	ds_load_u8 v10, v10
	v_cmp_gt_u32_e64 s1, s9, v8
	v_cmp_le_u32_e64 s3, s11, v4
	s_wait_dscnt 0x0
	v_dual_cndmask_b32 v11, v10, v7, s0 :: v_dual_cndmask_b32 v10, v5, v10, s0
	v_cndmask_b32_e64 v7, v7, v5, s0
	s_delay_alu instid0(VALU_DEP_2) | instskip(NEXT) | instid1(VALU_DEP_3)
	v_and_b32_e32 v12, 0xff, v11
	v_and_b32_e32 v13, 0xff, v10
	s_delay_alu instid0(VALU_DEP_1) | instskip(SKIP_1) | instid1(SALU_CYCLE_1)
	v_cmp_le_u16_e64 s2, v12, v13
	s_and_b32 s1, s1, s2
	s_or_b32 s1, s3, s1
	s_delay_alu instid0(SALU_CYCLE_1) | instskip(NEXT) | instid1(VALU_DEP_1)
	v_cndmask_b32_e64 v9, v4, v8, s1
	v_dual_cndmask_b32 v12, s11, v3, s1 :: v_dual_add_nc_u32 v9, 1, v9
	s_delay_alu instid0(VALU_DEP_1)
	v_add_min_u32_e64 v12, v12, -1, v9
	v_dual_cndmask_b32 v8, v8, v9, s1 :: v_dual_cndmask_b32 v4, v9, v4, s1
	ds_load_u8 v12, v12
	v_cmp_gt_u32_e64 s2, s9, v8
	v_cmp_le_u32_e64 s4, s11, v4
	s_wait_dscnt 0x0
	v_dual_cndmask_b32 v13, v12, v11, s1 :: v_dual_cndmask_b32 v12, v10, v12, s1
	s_delay_alu instid0(VALU_DEP_1) | instskip(NEXT) | instid1(VALU_DEP_2)
	v_and_b32_e32 v14, 0xff, v13
	v_and_b32_e32 v15, 0xff, v12
	s_delay_alu instid0(VALU_DEP_1) | instskip(SKIP_1) | instid1(SALU_CYCLE_1)
	v_cmp_le_u16_e64 s3, v14, v15
	s_and_b32 s2, s2, s3
	s_or_b32 s2, s4, s2
	s_delay_alu instid0(SALU_CYCLE_1) | instskip(NEXT) | instid1(VALU_DEP_1)
	v_cndmask_b32_e64 v9, v4, v8, s2
	v_dual_cndmask_b32 v14, s11, v3, s2 :: v_dual_add_nc_u32 v9, 1, v9
	s_delay_alu instid0(VALU_DEP_1)
	v_add_min_u32_e64 v14, v14, -1, v9
	v_cndmask_b32_e64 v4, v9, v4, s2
	ds_load_u8 v14, v14
	v_cmp_le_u32_e64 s5, s11, v4
	s_wait_dscnt 0x0
	v_dual_cndmask_b32 v15, v14, v13, s2 :: v_dual_cndmask_b32 v14, v12, v14, s2
	v_cndmask_b32_e64 v8, v8, v9, s2
	s_delay_alu instid0(VALU_DEP_2) | instskip(NEXT) | instid1(VALU_DEP_3)
	v_and_b32_e32 v16, 0xff, v15
	v_and_b32_e32 v17, 0xff, v14
	s_delay_alu instid0(VALU_DEP_3) | instskip(NEXT) | instid1(VALU_DEP_2)
	v_cmp_gt_u32_e64 s3, s9, v8
	v_cmp_le_u16_e64 s4, v16, v17
	s_and_b32 s3, s3, s4
	s_delay_alu instid0(SALU_CYCLE_1) | instskip(NEXT) | instid1(SALU_CYCLE_1)
	s_or_b32 s3, s5, s3
	v_cndmask_b32_e64 v9, v4, v8, s3
	s_delay_alu instid0(VALU_DEP_1) | instskip(NEXT) | instid1(VALU_DEP_1)
	v_dual_cndmask_b32 v16, s11, v3, s3 :: v_dual_add_nc_u32 v9, 1, v9
	v_add_min_u32_e64 v16, v16, -1, v9
	v_cndmask_b32_e64 v4, v9, v4, s3
	ds_load_u8 v16, v16
	v_cmp_le_u32_e64 s6, s11, v4
	s_wait_dscnt 0x0
	v_dual_cndmask_b32 v17, v16, v15, s3 :: v_dual_cndmask_b32 v16, v14, v16, s3
	v_cndmask_b32_e64 v8, v8, v9, s3
	s_delay_alu instid0(VALU_DEP_2) | instskip(NEXT) | instid1(VALU_DEP_3)
	v_and_b32_e32 v18, 0xff, v17
	v_and_b32_e32 v19, 0xff, v16
	s_delay_alu instid0(VALU_DEP_3) | instskip(NEXT) | instid1(VALU_DEP_2)
	v_cmp_gt_u32_e64 s4, s9, v8
	v_cmp_le_u16_e64 s5, v18, v19
	s_and_b32 s4, s4, s5
	s_delay_alu instid0(SALU_CYCLE_1) | instskip(NEXT) | instid1(SALU_CYCLE_1)
	s_or_b32 s4, s6, s4
	v_cndmask_b32_e64 v9, v4, v8, s4
	s_delay_alu instid0(VALU_DEP_1) | instskip(NEXT) | instid1(VALU_DEP_1)
	v_dual_cndmask_b32 v18, s11, v3, s4 :: v_dual_add_nc_u32 v9, 1, v9
	v_add_min_u32_e64 v18, v18, -1, v9
	v_dual_cndmask_b32 v4, v9, v4, s4 :: v_dual_cndmask_b32 v8, v8, v9, s4
	ds_load_u8 v18, v18
	v_cmp_le_u32_e64 s7, s11, v4
	v_cmp_gt_u32_e64 s5, s9, v8
	s_wait_dscnt 0x0
	v_dual_cndmask_b32 v19, v18, v17, s4 :: v_dual_cndmask_b32 v18, v16, v18, s4
	s_delay_alu instid0(VALU_DEP_1) | instskip(NEXT) | instid1(VALU_DEP_2)
	v_and_b32_e32 v20, 0xff, v19
	v_and_b32_e32 v21, 0xff, v18
	s_delay_alu instid0(VALU_DEP_1) | instskip(SKIP_1) | instid1(SALU_CYCLE_1)
	v_cmp_le_u16_e64 s6, v20, v21
	s_and_b32 s5, s5, s6
	s_or_b32 s5, s7, s5
	s_delay_alu instid0(SALU_CYCLE_1) | instskip(NEXT) | instid1(VALU_DEP_1)
	v_cndmask_b32_e64 v9, v4, v8, s5
	v_dual_cndmask_b32 v3, s11, v3, s5 :: v_dual_add_nc_u32 v9, 1, v9
	s_delay_alu instid0(VALU_DEP_1)
	v_add_min_u32_e64 v3, v3, -1, v9
	v_dual_cndmask_b32 v5, v9, v4, s5 :: v_dual_cndmask_b32 v1, v8, v9, s5
	v_dual_cndmask_b32 v8, v11, v10, s1 :: v_dual_cndmask_b32 v4, v13, v12, s2
	ds_load_u8 v3, v3
	v_cmp_le_u32_e64 s1, s11, v5
	v_cmp_gt_u32_e32 vcc_lo, s9, v1
	v_dual_cndmask_b32 v5, v17, v16, s4 :: v_dual_cndmask_b32 v9, v19, v18, s5
	s_wait_dscnt 0x0
	v_cndmask_b32_e64 v20, v3, v19, s5
	v_cndmask_b32_e64 v21, v18, v3, s5
	s_delay_alu instid0(VALU_DEP_2) | instskip(NEXT) | instid1(VALU_DEP_2)
	v_and_b32_e32 v3, 0xff, v20
	v_and_b32_e32 v22, 0xff, v21
	s_delay_alu instid0(VALU_DEP_1) | instskip(SKIP_2) | instid1(SALU_CYCLE_1)
	v_cmp_le_u16_e64 s0, v3, v22
	v_cndmask_b32_e64 v3, v15, v14, s3
	s_and_b32 s0, vcc_lo, s0
	s_or_b32 vcc_lo, s1, s0
	v_cndmask_b32_e32 v11, v20, v21, vcc_lo
.LBB26_29:
	s_or_b32 exec_lo, exec_lo, s15
	v_dual_mov_b32 v1, 0 :: v_dual_lshrrev_b32 v10, 2, v0
	v_perm_b32 v3, v3, v5, 0xc0c0004
	s_delay_alu instid0(VALU_DEP_3) | instskip(SKIP_1) | instid1(VALU_DEP_4)
	v_perm_b32 v5, v9, v11, 0xc0c0004
	v_perm_b32 v2, v2, v7, 0xc0c0004
	v_and_b32_e32 v10, 28, v10
	v_perm_b32 v4, v8, v4, 0xc0c0004
	s_mov_b32 s11, 0
	v_lshl_or_b32 v3, v5, 16, v3
	s_wait_kmcnt 0x0
	s_add_nc_u64 s[0:1], s[12:13], s[10:11]
	v_lshl_or_b32 v2, v4, 16, v2
	v_dual_add_nc_u32 v4, 4, v0 :: v_dual_add_nc_u32 v6, v10, v6
	v_add_nc_u32_e32 v5, 8, v0
	s_barrier_signal -1
	s_barrier_wait -1
	s_barrier_signal -1
	s_barrier_wait -1
	ds_store_2addr_b32 v6, v2, v3 offset1:1
	v_add_nc_u64_e32 v[2:3], s[0:1], v[0:1]
	v_dual_add_nc_u32 v6, 12, v0 :: v_dual_add_nc_u32 v7, 16, v0
	v_dual_add_nc_u32 v8, 20, v0 :: v_dual_add_nc_u32 v9, 24, v0
	v_add_nc_u32_e32 v10, 28, v0
	s_and_b32 vcc_lo, exec_lo, s14
	s_wait_dscnt 0x0
	s_cbranch_vccz .LBB26_31
; %bb.30:
	s_barrier_signal -1
	s_barrier_wait -1
	ds_load_u8 v11, v0
	ds_load_u8 v12, v4 offset:128
	ds_load_u8 v13, v5 offset:256
	;; [unrolled: 1-line block ×7, first 2 shown]
	s_mov_b32 s11, -1
	s_wait_dscnt 0x7
	global_store_b8 v[2:3], v11, off
	s_wait_dscnt 0x6
	global_store_b8 v[2:3], v12, off offset:128
	s_wait_dscnt 0x5
	global_store_b8 v[2:3], v13, off offset:256
	;; [unrolled: 2-line block ×6, first 2 shown]
	s_cbranch_execz .LBB26_32
	s_branch .LBB26_47
.LBB26_31:
                                        ; implicit-def: $vgpr1
.LBB26_32:
	s_barrier_signal -1
	s_barrier_wait -1
	s_wait_storecnt_dscnt 0x0
	s_wait_xcnt 0x4
	ds_load_u8 v13, v4 offset:128
	ds_load_u8 v12, v5 offset:256
	;; [unrolled: 1-line block ×7, first 2 shown]
	v_or_b32_e32 v7, 0x80, v0
	s_sub_co_i32 s0, s8, s10
	s_mov_b32 s1, exec_lo
	s_wait_xcnt 0x0
	v_cmpx_gt_u32_e64 s0, v0
	s_cbranch_execz .LBB26_34
; %bb.33:
	ds_load_u8 v8, v0
	s_wait_dscnt 0x0
	global_store_b8 v[2:3], v8, off
.LBB26_34:
	s_wait_xcnt 0x0
	s_or_b32 exec_lo, exec_lo, s1
	v_or_b32_e32 v8, 0x100, v0
	s_mov_b32 s1, exec_lo
	v_cmpx_gt_u32_e64 s0, v7
	s_cbranch_execz .LBB26_36
; %bb.35:
	s_wait_dscnt 0x6
	global_store_b8 v[2:3], v13, off offset:128
.LBB26_36:
	s_wait_xcnt 0x0
	s_or_b32 exec_lo, exec_lo, s1
	v_or_b32_e32 v7, 0x180, v0
	s_mov_b32 s1, exec_lo
	v_cmpx_gt_u32_e64 s0, v8
	s_cbranch_execz .LBB26_38
; %bb.37:
	s_wait_dscnt 0x5
	global_store_b8 v[2:3], v12, off offset:256
.LBB26_38:
	;; [unrolled: 10-line block ×4, first 2 shown]
	s_wait_xcnt 0x0
	s_or_b32 exec_lo, exec_lo, s1
	s_wait_dscnt 0x3
	v_or_b32_e32 v6, 0x300, v0
	s_mov_b32 s1, exec_lo
	v_cmpx_gt_u32_e64 s0, v7
	s_cbranch_execz .LBB26_44
; %bb.43:
	s_wait_dscnt 0x2
	global_store_b8 v[2:3], v5, off offset:640
.LBB26_44:
	s_wait_xcnt 0x0
	s_or_b32 exec_lo, exec_lo, s1
	v_or_b32_e32 v0, 0x380, v0
	s_mov_b32 s1, exec_lo
	v_cmpx_gt_u32_e64 s0, v6
	s_cbranch_execz .LBB26_46
; %bb.45:
	s_wait_dscnt 0x1
	global_store_b8 v[2:3], v4, off offset:768
.LBB26_46:
	s_wait_xcnt 0x0
	s_or_b32 exec_lo, exec_lo, s1
	v_cmp_gt_u32_e64 s11, s0, v0
.LBB26_47:
	s_wait_xcnt 0x0
	s_delay_alu instid0(VALU_DEP_1)
	s_and_saveexec_b32 s0, s11
	s_cbranch_execz .LBB26_49
; %bb.48:
	s_wait_dscnt 0x0
	global_store_b8 v[2:3], v1, off offset:896
.LBB26_49:
	s_endpgm
.LBB26_50:
	v_sub_co_u32 v10, vcc_lo, v0, s9
	v_mov_b32_e32 v1, 0
	s_mov_b32 s3, 0
	s_delay_alu instid0(VALU_DEP_1) | instskip(SKIP_1) | instid1(VALU_DEP_1)
	v_add_nc_u64_e32 v[2:3], s[6:7], v[0:1]
	v_mov_b32_e32 v11, v1
	v_add_nc_u64_e32 v[10:11], s[12:13], v[10:11]
	s_delay_alu instid0(VALU_DEP_1)
	v_dual_cndmask_b32 v3, v11, v3 :: v_dual_cndmask_b32 v2, v10, v2
	global_load_u8 v1, v[2:3], off
	s_wait_xcnt 0x0
	v_mov_b32_e32 v3, s3
	s_wait_loadcnt 0x0
	v_and_b32_e32 v2, 0xffff, v1
	s_or_b32 exec_lo, exec_lo, s2
	s_delay_alu instid0(SALU_CYCLE_1)
	s_mov_b32 s2, exec_lo
	v_cmpx_gt_u32_e64 s11, v6
	s_cbranch_execz .LBB26_6
.LBB26_51:
	v_mov_b32_e32 v7, 0
	s_delay_alu instid0(VALU_DEP_1) | instskip(SKIP_1) | instid1(VALU_DEP_1)
	v_add_nc_u64_e32 v[10:11], s[6:7], v[6:7]
	v_sub_co_u32 v6, vcc_lo, v6, s9
	v_add_nc_u64_e32 v[6:7], s[12:13], v[6:7]
	s_delay_alu instid0(VALU_DEP_1) | instskip(SKIP_4) | instid1(SALU_CYCLE_1)
	v_dual_cndmask_b32 v7, v7, v11 :: v_dual_cndmask_b32 v6, v6, v10
	global_load_u8 v1, v[6:7], off
	s_wait_loadcnt 0x0
	v_perm_b32 v2, v2, v1, 0x7060004
	s_or_b32 exec_lo, exec_lo, s2
	s_mov_b32 s2, exec_lo
	v_cmpx_gt_u32_e64 s11, v4
	s_cbranch_execnz .LBB26_7
	s_branch .LBB26_8
	.section	.rodata,"a",@progbits
	.p2align	6, 0x0
	.amdhsa_kernel _ZN7rocprim17ROCPRIM_400000_NS6detail17trampoline_kernelINS0_14default_configENS1_38merge_sort_block_merge_config_selectorIhNS0_10empty_typeEEEZZNS1_27merge_sort_block_merge_implIS3_PhPS5_jNS1_19radix_merge_compareILb1ELb0EhNS0_19identity_decomposerEEEEE10hipError_tT0_T1_T2_jT3_P12ihipStream_tbPNSt15iterator_traitsISE_E10value_typeEPNSK_ISF_E10value_typeEPSG_NS1_7vsmem_tEENKUlT_SE_SF_SG_E_clIS8_S8_S9_S9_EESD_ST_SE_SF_SG_EUlST_E0_NS1_11comp_targetILNS1_3genE0ELNS1_11target_archE4294967295ELNS1_3gpuE0ELNS1_3repE0EEENS1_38merge_mergepath_config_static_selectorELNS0_4arch9wavefront6targetE0EEEvSF_
		.amdhsa_group_segment_fixed_size 1056
		.amdhsa_private_segment_fixed_size 0
		.amdhsa_kernarg_size 320
		.amdhsa_user_sgpr_count 2
		.amdhsa_user_sgpr_dispatch_ptr 0
		.amdhsa_user_sgpr_queue_ptr 0
		.amdhsa_user_sgpr_kernarg_segment_ptr 1
		.amdhsa_user_sgpr_dispatch_id 0
		.amdhsa_user_sgpr_kernarg_preload_length 0
		.amdhsa_user_sgpr_kernarg_preload_offset 0
		.amdhsa_user_sgpr_private_segment_size 0
		.amdhsa_wavefront_size32 1
		.amdhsa_uses_dynamic_stack 0
		.amdhsa_enable_private_segment 0
		.amdhsa_system_sgpr_workgroup_id_x 1
		.amdhsa_system_sgpr_workgroup_id_y 1
		.amdhsa_system_sgpr_workgroup_id_z 1
		.amdhsa_system_sgpr_workgroup_info 0
		.amdhsa_system_vgpr_workitem_id 0
		.amdhsa_next_free_vgpr 34
		.amdhsa_next_free_sgpr 22
		.amdhsa_named_barrier_count 0
		.amdhsa_reserve_vcc 1
		.amdhsa_float_round_mode_32 0
		.amdhsa_float_round_mode_16_64 0
		.amdhsa_float_denorm_mode_32 3
		.amdhsa_float_denorm_mode_16_64 3
		.amdhsa_fp16_overflow 0
		.amdhsa_memory_ordered 1
		.amdhsa_forward_progress 1
		.amdhsa_inst_pref_size 32
		.amdhsa_round_robin_scheduling 0
		.amdhsa_exception_fp_ieee_invalid_op 0
		.amdhsa_exception_fp_denorm_src 0
		.amdhsa_exception_fp_ieee_div_zero 0
		.amdhsa_exception_fp_ieee_overflow 0
		.amdhsa_exception_fp_ieee_underflow 0
		.amdhsa_exception_fp_ieee_inexact 0
		.amdhsa_exception_int_div_zero 0
	.end_amdhsa_kernel
	.section	.text._ZN7rocprim17ROCPRIM_400000_NS6detail17trampoline_kernelINS0_14default_configENS1_38merge_sort_block_merge_config_selectorIhNS0_10empty_typeEEEZZNS1_27merge_sort_block_merge_implIS3_PhPS5_jNS1_19radix_merge_compareILb1ELb0EhNS0_19identity_decomposerEEEEE10hipError_tT0_T1_T2_jT3_P12ihipStream_tbPNSt15iterator_traitsISE_E10value_typeEPNSK_ISF_E10value_typeEPSG_NS1_7vsmem_tEENKUlT_SE_SF_SG_E_clIS8_S8_S9_S9_EESD_ST_SE_SF_SG_EUlST_E0_NS1_11comp_targetILNS1_3genE0ELNS1_11target_archE4294967295ELNS1_3gpuE0ELNS1_3repE0EEENS1_38merge_mergepath_config_static_selectorELNS0_4arch9wavefront6targetE0EEEvSF_,"axG",@progbits,_ZN7rocprim17ROCPRIM_400000_NS6detail17trampoline_kernelINS0_14default_configENS1_38merge_sort_block_merge_config_selectorIhNS0_10empty_typeEEEZZNS1_27merge_sort_block_merge_implIS3_PhPS5_jNS1_19radix_merge_compareILb1ELb0EhNS0_19identity_decomposerEEEEE10hipError_tT0_T1_T2_jT3_P12ihipStream_tbPNSt15iterator_traitsISE_E10value_typeEPNSK_ISF_E10value_typeEPSG_NS1_7vsmem_tEENKUlT_SE_SF_SG_E_clIS8_S8_S9_S9_EESD_ST_SE_SF_SG_EUlST_E0_NS1_11comp_targetILNS1_3genE0ELNS1_11target_archE4294967295ELNS1_3gpuE0ELNS1_3repE0EEENS1_38merge_mergepath_config_static_selectorELNS0_4arch9wavefront6targetE0EEEvSF_,comdat
.Lfunc_end26:
	.size	_ZN7rocprim17ROCPRIM_400000_NS6detail17trampoline_kernelINS0_14default_configENS1_38merge_sort_block_merge_config_selectorIhNS0_10empty_typeEEEZZNS1_27merge_sort_block_merge_implIS3_PhPS5_jNS1_19radix_merge_compareILb1ELb0EhNS0_19identity_decomposerEEEEE10hipError_tT0_T1_T2_jT3_P12ihipStream_tbPNSt15iterator_traitsISE_E10value_typeEPNSK_ISF_E10value_typeEPSG_NS1_7vsmem_tEENKUlT_SE_SF_SG_E_clIS8_S8_S9_S9_EESD_ST_SE_SF_SG_EUlST_E0_NS1_11comp_targetILNS1_3genE0ELNS1_11target_archE4294967295ELNS1_3gpuE0ELNS1_3repE0EEENS1_38merge_mergepath_config_static_selectorELNS0_4arch9wavefront6targetE0EEEvSF_, .Lfunc_end26-_ZN7rocprim17ROCPRIM_400000_NS6detail17trampoline_kernelINS0_14default_configENS1_38merge_sort_block_merge_config_selectorIhNS0_10empty_typeEEEZZNS1_27merge_sort_block_merge_implIS3_PhPS5_jNS1_19radix_merge_compareILb1ELb0EhNS0_19identity_decomposerEEEEE10hipError_tT0_T1_T2_jT3_P12ihipStream_tbPNSt15iterator_traitsISE_E10value_typeEPNSK_ISF_E10value_typeEPSG_NS1_7vsmem_tEENKUlT_SE_SF_SG_E_clIS8_S8_S9_S9_EESD_ST_SE_SF_SG_EUlST_E0_NS1_11comp_targetILNS1_3genE0ELNS1_11target_archE4294967295ELNS1_3gpuE0ELNS1_3repE0EEENS1_38merge_mergepath_config_static_selectorELNS0_4arch9wavefront6targetE0EEEvSF_
                                        ; -- End function
	.set _ZN7rocprim17ROCPRIM_400000_NS6detail17trampoline_kernelINS0_14default_configENS1_38merge_sort_block_merge_config_selectorIhNS0_10empty_typeEEEZZNS1_27merge_sort_block_merge_implIS3_PhPS5_jNS1_19radix_merge_compareILb1ELb0EhNS0_19identity_decomposerEEEEE10hipError_tT0_T1_T2_jT3_P12ihipStream_tbPNSt15iterator_traitsISE_E10value_typeEPNSK_ISF_E10value_typeEPSG_NS1_7vsmem_tEENKUlT_SE_SF_SG_E_clIS8_S8_S9_S9_EESD_ST_SE_SF_SG_EUlST_E0_NS1_11comp_targetILNS1_3genE0ELNS1_11target_archE4294967295ELNS1_3gpuE0ELNS1_3repE0EEENS1_38merge_mergepath_config_static_selectorELNS0_4arch9wavefront6targetE0EEEvSF_.num_vgpr, 34
	.set _ZN7rocprim17ROCPRIM_400000_NS6detail17trampoline_kernelINS0_14default_configENS1_38merge_sort_block_merge_config_selectorIhNS0_10empty_typeEEEZZNS1_27merge_sort_block_merge_implIS3_PhPS5_jNS1_19radix_merge_compareILb1ELb0EhNS0_19identity_decomposerEEEEE10hipError_tT0_T1_T2_jT3_P12ihipStream_tbPNSt15iterator_traitsISE_E10value_typeEPNSK_ISF_E10value_typeEPSG_NS1_7vsmem_tEENKUlT_SE_SF_SG_E_clIS8_S8_S9_S9_EESD_ST_SE_SF_SG_EUlST_E0_NS1_11comp_targetILNS1_3genE0ELNS1_11target_archE4294967295ELNS1_3gpuE0ELNS1_3repE0EEENS1_38merge_mergepath_config_static_selectorELNS0_4arch9wavefront6targetE0EEEvSF_.num_agpr, 0
	.set _ZN7rocprim17ROCPRIM_400000_NS6detail17trampoline_kernelINS0_14default_configENS1_38merge_sort_block_merge_config_selectorIhNS0_10empty_typeEEEZZNS1_27merge_sort_block_merge_implIS3_PhPS5_jNS1_19radix_merge_compareILb1ELb0EhNS0_19identity_decomposerEEEEE10hipError_tT0_T1_T2_jT3_P12ihipStream_tbPNSt15iterator_traitsISE_E10value_typeEPNSK_ISF_E10value_typeEPSG_NS1_7vsmem_tEENKUlT_SE_SF_SG_E_clIS8_S8_S9_S9_EESD_ST_SE_SF_SG_EUlST_E0_NS1_11comp_targetILNS1_3genE0ELNS1_11target_archE4294967295ELNS1_3gpuE0ELNS1_3repE0EEENS1_38merge_mergepath_config_static_selectorELNS0_4arch9wavefront6targetE0EEEvSF_.numbered_sgpr, 22
	.set _ZN7rocprim17ROCPRIM_400000_NS6detail17trampoline_kernelINS0_14default_configENS1_38merge_sort_block_merge_config_selectorIhNS0_10empty_typeEEEZZNS1_27merge_sort_block_merge_implIS3_PhPS5_jNS1_19radix_merge_compareILb1ELb0EhNS0_19identity_decomposerEEEEE10hipError_tT0_T1_T2_jT3_P12ihipStream_tbPNSt15iterator_traitsISE_E10value_typeEPNSK_ISF_E10value_typeEPSG_NS1_7vsmem_tEENKUlT_SE_SF_SG_E_clIS8_S8_S9_S9_EESD_ST_SE_SF_SG_EUlST_E0_NS1_11comp_targetILNS1_3genE0ELNS1_11target_archE4294967295ELNS1_3gpuE0ELNS1_3repE0EEENS1_38merge_mergepath_config_static_selectorELNS0_4arch9wavefront6targetE0EEEvSF_.num_named_barrier, 0
	.set _ZN7rocprim17ROCPRIM_400000_NS6detail17trampoline_kernelINS0_14default_configENS1_38merge_sort_block_merge_config_selectorIhNS0_10empty_typeEEEZZNS1_27merge_sort_block_merge_implIS3_PhPS5_jNS1_19radix_merge_compareILb1ELb0EhNS0_19identity_decomposerEEEEE10hipError_tT0_T1_T2_jT3_P12ihipStream_tbPNSt15iterator_traitsISE_E10value_typeEPNSK_ISF_E10value_typeEPSG_NS1_7vsmem_tEENKUlT_SE_SF_SG_E_clIS8_S8_S9_S9_EESD_ST_SE_SF_SG_EUlST_E0_NS1_11comp_targetILNS1_3genE0ELNS1_11target_archE4294967295ELNS1_3gpuE0ELNS1_3repE0EEENS1_38merge_mergepath_config_static_selectorELNS0_4arch9wavefront6targetE0EEEvSF_.private_seg_size, 0
	.set _ZN7rocprim17ROCPRIM_400000_NS6detail17trampoline_kernelINS0_14default_configENS1_38merge_sort_block_merge_config_selectorIhNS0_10empty_typeEEEZZNS1_27merge_sort_block_merge_implIS3_PhPS5_jNS1_19radix_merge_compareILb1ELb0EhNS0_19identity_decomposerEEEEE10hipError_tT0_T1_T2_jT3_P12ihipStream_tbPNSt15iterator_traitsISE_E10value_typeEPNSK_ISF_E10value_typeEPSG_NS1_7vsmem_tEENKUlT_SE_SF_SG_E_clIS8_S8_S9_S9_EESD_ST_SE_SF_SG_EUlST_E0_NS1_11comp_targetILNS1_3genE0ELNS1_11target_archE4294967295ELNS1_3gpuE0ELNS1_3repE0EEENS1_38merge_mergepath_config_static_selectorELNS0_4arch9wavefront6targetE0EEEvSF_.uses_vcc, 1
	.set _ZN7rocprim17ROCPRIM_400000_NS6detail17trampoline_kernelINS0_14default_configENS1_38merge_sort_block_merge_config_selectorIhNS0_10empty_typeEEEZZNS1_27merge_sort_block_merge_implIS3_PhPS5_jNS1_19radix_merge_compareILb1ELb0EhNS0_19identity_decomposerEEEEE10hipError_tT0_T1_T2_jT3_P12ihipStream_tbPNSt15iterator_traitsISE_E10value_typeEPNSK_ISF_E10value_typeEPSG_NS1_7vsmem_tEENKUlT_SE_SF_SG_E_clIS8_S8_S9_S9_EESD_ST_SE_SF_SG_EUlST_E0_NS1_11comp_targetILNS1_3genE0ELNS1_11target_archE4294967295ELNS1_3gpuE0ELNS1_3repE0EEENS1_38merge_mergepath_config_static_selectorELNS0_4arch9wavefront6targetE0EEEvSF_.uses_flat_scratch, 0
	.set _ZN7rocprim17ROCPRIM_400000_NS6detail17trampoline_kernelINS0_14default_configENS1_38merge_sort_block_merge_config_selectorIhNS0_10empty_typeEEEZZNS1_27merge_sort_block_merge_implIS3_PhPS5_jNS1_19radix_merge_compareILb1ELb0EhNS0_19identity_decomposerEEEEE10hipError_tT0_T1_T2_jT3_P12ihipStream_tbPNSt15iterator_traitsISE_E10value_typeEPNSK_ISF_E10value_typeEPSG_NS1_7vsmem_tEENKUlT_SE_SF_SG_E_clIS8_S8_S9_S9_EESD_ST_SE_SF_SG_EUlST_E0_NS1_11comp_targetILNS1_3genE0ELNS1_11target_archE4294967295ELNS1_3gpuE0ELNS1_3repE0EEENS1_38merge_mergepath_config_static_selectorELNS0_4arch9wavefront6targetE0EEEvSF_.has_dyn_sized_stack, 0
	.set _ZN7rocprim17ROCPRIM_400000_NS6detail17trampoline_kernelINS0_14default_configENS1_38merge_sort_block_merge_config_selectorIhNS0_10empty_typeEEEZZNS1_27merge_sort_block_merge_implIS3_PhPS5_jNS1_19radix_merge_compareILb1ELb0EhNS0_19identity_decomposerEEEEE10hipError_tT0_T1_T2_jT3_P12ihipStream_tbPNSt15iterator_traitsISE_E10value_typeEPNSK_ISF_E10value_typeEPSG_NS1_7vsmem_tEENKUlT_SE_SF_SG_E_clIS8_S8_S9_S9_EESD_ST_SE_SF_SG_EUlST_E0_NS1_11comp_targetILNS1_3genE0ELNS1_11target_archE4294967295ELNS1_3gpuE0ELNS1_3repE0EEENS1_38merge_mergepath_config_static_selectorELNS0_4arch9wavefront6targetE0EEEvSF_.has_recursion, 0
	.set _ZN7rocprim17ROCPRIM_400000_NS6detail17trampoline_kernelINS0_14default_configENS1_38merge_sort_block_merge_config_selectorIhNS0_10empty_typeEEEZZNS1_27merge_sort_block_merge_implIS3_PhPS5_jNS1_19radix_merge_compareILb1ELb0EhNS0_19identity_decomposerEEEEE10hipError_tT0_T1_T2_jT3_P12ihipStream_tbPNSt15iterator_traitsISE_E10value_typeEPNSK_ISF_E10value_typeEPSG_NS1_7vsmem_tEENKUlT_SE_SF_SG_E_clIS8_S8_S9_S9_EESD_ST_SE_SF_SG_EUlST_E0_NS1_11comp_targetILNS1_3genE0ELNS1_11target_archE4294967295ELNS1_3gpuE0ELNS1_3repE0EEENS1_38merge_mergepath_config_static_selectorELNS0_4arch9wavefront6targetE0EEEvSF_.has_indirect_call, 0
	.section	.AMDGPU.csdata,"",@progbits
; Kernel info:
; codeLenInByte = 4016
; TotalNumSgprs: 24
; NumVgprs: 34
; ScratchSize: 0
; MemoryBound: 0
; FloatMode: 240
; IeeeMode: 1
; LDSByteSize: 1056 bytes/workgroup (compile time only)
; SGPRBlocks: 0
; VGPRBlocks: 2
; NumSGPRsForWavesPerEU: 24
; NumVGPRsForWavesPerEU: 34
; NamedBarCnt: 0
; Occupancy: 16
; WaveLimiterHint : 1
; COMPUTE_PGM_RSRC2:SCRATCH_EN: 0
; COMPUTE_PGM_RSRC2:USER_SGPR: 2
; COMPUTE_PGM_RSRC2:TRAP_HANDLER: 0
; COMPUTE_PGM_RSRC2:TGID_X_EN: 1
; COMPUTE_PGM_RSRC2:TGID_Y_EN: 1
; COMPUTE_PGM_RSRC2:TGID_Z_EN: 1
; COMPUTE_PGM_RSRC2:TIDIG_COMP_CNT: 0
	.section	.text._ZN7rocprim17ROCPRIM_400000_NS6detail17trampoline_kernelINS0_14default_configENS1_38merge_sort_block_merge_config_selectorIhNS0_10empty_typeEEEZZNS1_27merge_sort_block_merge_implIS3_PhPS5_jNS1_19radix_merge_compareILb1ELb0EhNS0_19identity_decomposerEEEEE10hipError_tT0_T1_T2_jT3_P12ihipStream_tbPNSt15iterator_traitsISE_E10value_typeEPNSK_ISF_E10value_typeEPSG_NS1_7vsmem_tEENKUlT_SE_SF_SG_E_clIS8_S8_S9_S9_EESD_ST_SE_SF_SG_EUlST_E0_NS1_11comp_targetILNS1_3genE10ELNS1_11target_archE1201ELNS1_3gpuE5ELNS1_3repE0EEENS1_38merge_mergepath_config_static_selectorELNS0_4arch9wavefront6targetE0EEEvSF_,"axG",@progbits,_ZN7rocprim17ROCPRIM_400000_NS6detail17trampoline_kernelINS0_14default_configENS1_38merge_sort_block_merge_config_selectorIhNS0_10empty_typeEEEZZNS1_27merge_sort_block_merge_implIS3_PhPS5_jNS1_19radix_merge_compareILb1ELb0EhNS0_19identity_decomposerEEEEE10hipError_tT0_T1_T2_jT3_P12ihipStream_tbPNSt15iterator_traitsISE_E10value_typeEPNSK_ISF_E10value_typeEPSG_NS1_7vsmem_tEENKUlT_SE_SF_SG_E_clIS8_S8_S9_S9_EESD_ST_SE_SF_SG_EUlST_E0_NS1_11comp_targetILNS1_3genE10ELNS1_11target_archE1201ELNS1_3gpuE5ELNS1_3repE0EEENS1_38merge_mergepath_config_static_selectorELNS0_4arch9wavefront6targetE0EEEvSF_,comdat
	.protected	_ZN7rocprim17ROCPRIM_400000_NS6detail17trampoline_kernelINS0_14default_configENS1_38merge_sort_block_merge_config_selectorIhNS0_10empty_typeEEEZZNS1_27merge_sort_block_merge_implIS3_PhPS5_jNS1_19radix_merge_compareILb1ELb0EhNS0_19identity_decomposerEEEEE10hipError_tT0_T1_T2_jT3_P12ihipStream_tbPNSt15iterator_traitsISE_E10value_typeEPNSK_ISF_E10value_typeEPSG_NS1_7vsmem_tEENKUlT_SE_SF_SG_E_clIS8_S8_S9_S9_EESD_ST_SE_SF_SG_EUlST_E0_NS1_11comp_targetILNS1_3genE10ELNS1_11target_archE1201ELNS1_3gpuE5ELNS1_3repE0EEENS1_38merge_mergepath_config_static_selectorELNS0_4arch9wavefront6targetE0EEEvSF_ ; -- Begin function _ZN7rocprim17ROCPRIM_400000_NS6detail17trampoline_kernelINS0_14default_configENS1_38merge_sort_block_merge_config_selectorIhNS0_10empty_typeEEEZZNS1_27merge_sort_block_merge_implIS3_PhPS5_jNS1_19radix_merge_compareILb1ELb0EhNS0_19identity_decomposerEEEEE10hipError_tT0_T1_T2_jT3_P12ihipStream_tbPNSt15iterator_traitsISE_E10value_typeEPNSK_ISF_E10value_typeEPSG_NS1_7vsmem_tEENKUlT_SE_SF_SG_E_clIS8_S8_S9_S9_EESD_ST_SE_SF_SG_EUlST_E0_NS1_11comp_targetILNS1_3genE10ELNS1_11target_archE1201ELNS1_3gpuE5ELNS1_3repE0EEENS1_38merge_mergepath_config_static_selectorELNS0_4arch9wavefront6targetE0EEEvSF_
	.globl	_ZN7rocprim17ROCPRIM_400000_NS6detail17trampoline_kernelINS0_14default_configENS1_38merge_sort_block_merge_config_selectorIhNS0_10empty_typeEEEZZNS1_27merge_sort_block_merge_implIS3_PhPS5_jNS1_19radix_merge_compareILb1ELb0EhNS0_19identity_decomposerEEEEE10hipError_tT0_T1_T2_jT3_P12ihipStream_tbPNSt15iterator_traitsISE_E10value_typeEPNSK_ISF_E10value_typeEPSG_NS1_7vsmem_tEENKUlT_SE_SF_SG_E_clIS8_S8_S9_S9_EESD_ST_SE_SF_SG_EUlST_E0_NS1_11comp_targetILNS1_3genE10ELNS1_11target_archE1201ELNS1_3gpuE5ELNS1_3repE0EEENS1_38merge_mergepath_config_static_selectorELNS0_4arch9wavefront6targetE0EEEvSF_
	.p2align	8
	.type	_ZN7rocprim17ROCPRIM_400000_NS6detail17trampoline_kernelINS0_14default_configENS1_38merge_sort_block_merge_config_selectorIhNS0_10empty_typeEEEZZNS1_27merge_sort_block_merge_implIS3_PhPS5_jNS1_19radix_merge_compareILb1ELb0EhNS0_19identity_decomposerEEEEE10hipError_tT0_T1_T2_jT3_P12ihipStream_tbPNSt15iterator_traitsISE_E10value_typeEPNSK_ISF_E10value_typeEPSG_NS1_7vsmem_tEENKUlT_SE_SF_SG_E_clIS8_S8_S9_S9_EESD_ST_SE_SF_SG_EUlST_E0_NS1_11comp_targetILNS1_3genE10ELNS1_11target_archE1201ELNS1_3gpuE5ELNS1_3repE0EEENS1_38merge_mergepath_config_static_selectorELNS0_4arch9wavefront6targetE0EEEvSF_,@function
_ZN7rocprim17ROCPRIM_400000_NS6detail17trampoline_kernelINS0_14default_configENS1_38merge_sort_block_merge_config_selectorIhNS0_10empty_typeEEEZZNS1_27merge_sort_block_merge_implIS3_PhPS5_jNS1_19radix_merge_compareILb1ELb0EhNS0_19identity_decomposerEEEEE10hipError_tT0_T1_T2_jT3_P12ihipStream_tbPNSt15iterator_traitsISE_E10value_typeEPNSK_ISF_E10value_typeEPSG_NS1_7vsmem_tEENKUlT_SE_SF_SG_E_clIS8_S8_S9_S9_EESD_ST_SE_SF_SG_EUlST_E0_NS1_11comp_targetILNS1_3genE10ELNS1_11target_archE1201ELNS1_3gpuE5ELNS1_3repE0EEENS1_38merge_mergepath_config_static_selectorELNS0_4arch9wavefront6targetE0EEEvSF_: ; @_ZN7rocprim17ROCPRIM_400000_NS6detail17trampoline_kernelINS0_14default_configENS1_38merge_sort_block_merge_config_selectorIhNS0_10empty_typeEEEZZNS1_27merge_sort_block_merge_implIS3_PhPS5_jNS1_19radix_merge_compareILb1ELb0EhNS0_19identity_decomposerEEEEE10hipError_tT0_T1_T2_jT3_P12ihipStream_tbPNSt15iterator_traitsISE_E10value_typeEPNSK_ISF_E10value_typeEPSG_NS1_7vsmem_tEENKUlT_SE_SF_SG_E_clIS8_S8_S9_S9_EESD_ST_SE_SF_SG_EUlST_E0_NS1_11comp_targetILNS1_3genE10ELNS1_11target_archE1201ELNS1_3gpuE5ELNS1_3repE0EEENS1_38merge_mergepath_config_static_selectorELNS0_4arch9wavefront6targetE0EEEvSF_
; %bb.0:
	.section	.rodata,"a",@progbits
	.p2align	6, 0x0
	.amdhsa_kernel _ZN7rocprim17ROCPRIM_400000_NS6detail17trampoline_kernelINS0_14default_configENS1_38merge_sort_block_merge_config_selectorIhNS0_10empty_typeEEEZZNS1_27merge_sort_block_merge_implIS3_PhPS5_jNS1_19radix_merge_compareILb1ELb0EhNS0_19identity_decomposerEEEEE10hipError_tT0_T1_T2_jT3_P12ihipStream_tbPNSt15iterator_traitsISE_E10value_typeEPNSK_ISF_E10value_typeEPSG_NS1_7vsmem_tEENKUlT_SE_SF_SG_E_clIS8_S8_S9_S9_EESD_ST_SE_SF_SG_EUlST_E0_NS1_11comp_targetILNS1_3genE10ELNS1_11target_archE1201ELNS1_3gpuE5ELNS1_3repE0EEENS1_38merge_mergepath_config_static_selectorELNS0_4arch9wavefront6targetE0EEEvSF_
		.amdhsa_group_segment_fixed_size 0
		.amdhsa_private_segment_fixed_size 0
		.amdhsa_kernarg_size 64
		.amdhsa_user_sgpr_count 2
		.amdhsa_user_sgpr_dispatch_ptr 0
		.amdhsa_user_sgpr_queue_ptr 0
		.amdhsa_user_sgpr_kernarg_segment_ptr 1
		.amdhsa_user_sgpr_dispatch_id 0
		.amdhsa_user_sgpr_kernarg_preload_length 0
		.amdhsa_user_sgpr_kernarg_preload_offset 0
		.amdhsa_user_sgpr_private_segment_size 0
		.amdhsa_wavefront_size32 1
		.amdhsa_uses_dynamic_stack 0
		.amdhsa_enable_private_segment 0
		.amdhsa_system_sgpr_workgroup_id_x 1
		.amdhsa_system_sgpr_workgroup_id_y 0
		.amdhsa_system_sgpr_workgroup_id_z 0
		.amdhsa_system_sgpr_workgroup_info 0
		.amdhsa_system_vgpr_workitem_id 0
		.amdhsa_next_free_vgpr 1
		.amdhsa_next_free_sgpr 1
		.amdhsa_named_barrier_count 0
		.amdhsa_reserve_vcc 0
		.amdhsa_float_round_mode_32 0
		.amdhsa_float_round_mode_16_64 0
		.amdhsa_float_denorm_mode_32 3
		.amdhsa_float_denorm_mode_16_64 3
		.amdhsa_fp16_overflow 0
		.amdhsa_memory_ordered 1
		.amdhsa_forward_progress 1
		.amdhsa_inst_pref_size 0
		.amdhsa_round_robin_scheduling 0
		.amdhsa_exception_fp_ieee_invalid_op 0
		.amdhsa_exception_fp_denorm_src 0
		.amdhsa_exception_fp_ieee_div_zero 0
		.amdhsa_exception_fp_ieee_overflow 0
		.amdhsa_exception_fp_ieee_underflow 0
		.amdhsa_exception_fp_ieee_inexact 0
		.amdhsa_exception_int_div_zero 0
	.end_amdhsa_kernel
	.section	.text._ZN7rocprim17ROCPRIM_400000_NS6detail17trampoline_kernelINS0_14default_configENS1_38merge_sort_block_merge_config_selectorIhNS0_10empty_typeEEEZZNS1_27merge_sort_block_merge_implIS3_PhPS5_jNS1_19radix_merge_compareILb1ELb0EhNS0_19identity_decomposerEEEEE10hipError_tT0_T1_T2_jT3_P12ihipStream_tbPNSt15iterator_traitsISE_E10value_typeEPNSK_ISF_E10value_typeEPSG_NS1_7vsmem_tEENKUlT_SE_SF_SG_E_clIS8_S8_S9_S9_EESD_ST_SE_SF_SG_EUlST_E0_NS1_11comp_targetILNS1_3genE10ELNS1_11target_archE1201ELNS1_3gpuE5ELNS1_3repE0EEENS1_38merge_mergepath_config_static_selectorELNS0_4arch9wavefront6targetE0EEEvSF_,"axG",@progbits,_ZN7rocprim17ROCPRIM_400000_NS6detail17trampoline_kernelINS0_14default_configENS1_38merge_sort_block_merge_config_selectorIhNS0_10empty_typeEEEZZNS1_27merge_sort_block_merge_implIS3_PhPS5_jNS1_19radix_merge_compareILb1ELb0EhNS0_19identity_decomposerEEEEE10hipError_tT0_T1_T2_jT3_P12ihipStream_tbPNSt15iterator_traitsISE_E10value_typeEPNSK_ISF_E10value_typeEPSG_NS1_7vsmem_tEENKUlT_SE_SF_SG_E_clIS8_S8_S9_S9_EESD_ST_SE_SF_SG_EUlST_E0_NS1_11comp_targetILNS1_3genE10ELNS1_11target_archE1201ELNS1_3gpuE5ELNS1_3repE0EEENS1_38merge_mergepath_config_static_selectorELNS0_4arch9wavefront6targetE0EEEvSF_,comdat
.Lfunc_end27:
	.size	_ZN7rocprim17ROCPRIM_400000_NS6detail17trampoline_kernelINS0_14default_configENS1_38merge_sort_block_merge_config_selectorIhNS0_10empty_typeEEEZZNS1_27merge_sort_block_merge_implIS3_PhPS5_jNS1_19radix_merge_compareILb1ELb0EhNS0_19identity_decomposerEEEEE10hipError_tT0_T1_T2_jT3_P12ihipStream_tbPNSt15iterator_traitsISE_E10value_typeEPNSK_ISF_E10value_typeEPSG_NS1_7vsmem_tEENKUlT_SE_SF_SG_E_clIS8_S8_S9_S9_EESD_ST_SE_SF_SG_EUlST_E0_NS1_11comp_targetILNS1_3genE10ELNS1_11target_archE1201ELNS1_3gpuE5ELNS1_3repE0EEENS1_38merge_mergepath_config_static_selectorELNS0_4arch9wavefront6targetE0EEEvSF_, .Lfunc_end27-_ZN7rocprim17ROCPRIM_400000_NS6detail17trampoline_kernelINS0_14default_configENS1_38merge_sort_block_merge_config_selectorIhNS0_10empty_typeEEEZZNS1_27merge_sort_block_merge_implIS3_PhPS5_jNS1_19radix_merge_compareILb1ELb0EhNS0_19identity_decomposerEEEEE10hipError_tT0_T1_T2_jT3_P12ihipStream_tbPNSt15iterator_traitsISE_E10value_typeEPNSK_ISF_E10value_typeEPSG_NS1_7vsmem_tEENKUlT_SE_SF_SG_E_clIS8_S8_S9_S9_EESD_ST_SE_SF_SG_EUlST_E0_NS1_11comp_targetILNS1_3genE10ELNS1_11target_archE1201ELNS1_3gpuE5ELNS1_3repE0EEENS1_38merge_mergepath_config_static_selectorELNS0_4arch9wavefront6targetE0EEEvSF_
                                        ; -- End function
	.set _ZN7rocprim17ROCPRIM_400000_NS6detail17trampoline_kernelINS0_14default_configENS1_38merge_sort_block_merge_config_selectorIhNS0_10empty_typeEEEZZNS1_27merge_sort_block_merge_implIS3_PhPS5_jNS1_19radix_merge_compareILb1ELb0EhNS0_19identity_decomposerEEEEE10hipError_tT0_T1_T2_jT3_P12ihipStream_tbPNSt15iterator_traitsISE_E10value_typeEPNSK_ISF_E10value_typeEPSG_NS1_7vsmem_tEENKUlT_SE_SF_SG_E_clIS8_S8_S9_S9_EESD_ST_SE_SF_SG_EUlST_E0_NS1_11comp_targetILNS1_3genE10ELNS1_11target_archE1201ELNS1_3gpuE5ELNS1_3repE0EEENS1_38merge_mergepath_config_static_selectorELNS0_4arch9wavefront6targetE0EEEvSF_.num_vgpr, 0
	.set _ZN7rocprim17ROCPRIM_400000_NS6detail17trampoline_kernelINS0_14default_configENS1_38merge_sort_block_merge_config_selectorIhNS0_10empty_typeEEEZZNS1_27merge_sort_block_merge_implIS3_PhPS5_jNS1_19radix_merge_compareILb1ELb0EhNS0_19identity_decomposerEEEEE10hipError_tT0_T1_T2_jT3_P12ihipStream_tbPNSt15iterator_traitsISE_E10value_typeEPNSK_ISF_E10value_typeEPSG_NS1_7vsmem_tEENKUlT_SE_SF_SG_E_clIS8_S8_S9_S9_EESD_ST_SE_SF_SG_EUlST_E0_NS1_11comp_targetILNS1_3genE10ELNS1_11target_archE1201ELNS1_3gpuE5ELNS1_3repE0EEENS1_38merge_mergepath_config_static_selectorELNS0_4arch9wavefront6targetE0EEEvSF_.num_agpr, 0
	.set _ZN7rocprim17ROCPRIM_400000_NS6detail17trampoline_kernelINS0_14default_configENS1_38merge_sort_block_merge_config_selectorIhNS0_10empty_typeEEEZZNS1_27merge_sort_block_merge_implIS3_PhPS5_jNS1_19radix_merge_compareILb1ELb0EhNS0_19identity_decomposerEEEEE10hipError_tT0_T1_T2_jT3_P12ihipStream_tbPNSt15iterator_traitsISE_E10value_typeEPNSK_ISF_E10value_typeEPSG_NS1_7vsmem_tEENKUlT_SE_SF_SG_E_clIS8_S8_S9_S9_EESD_ST_SE_SF_SG_EUlST_E0_NS1_11comp_targetILNS1_3genE10ELNS1_11target_archE1201ELNS1_3gpuE5ELNS1_3repE0EEENS1_38merge_mergepath_config_static_selectorELNS0_4arch9wavefront6targetE0EEEvSF_.numbered_sgpr, 0
	.set _ZN7rocprim17ROCPRIM_400000_NS6detail17trampoline_kernelINS0_14default_configENS1_38merge_sort_block_merge_config_selectorIhNS0_10empty_typeEEEZZNS1_27merge_sort_block_merge_implIS3_PhPS5_jNS1_19radix_merge_compareILb1ELb0EhNS0_19identity_decomposerEEEEE10hipError_tT0_T1_T2_jT3_P12ihipStream_tbPNSt15iterator_traitsISE_E10value_typeEPNSK_ISF_E10value_typeEPSG_NS1_7vsmem_tEENKUlT_SE_SF_SG_E_clIS8_S8_S9_S9_EESD_ST_SE_SF_SG_EUlST_E0_NS1_11comp_targetILNS1_3genE10ELNS1_11target_archE1201ELNS1_3gpuE5ELNS1_3repE0EEENS1_38merge_mergepath_config_static_selectorELNS0_4arch9wavefront6targetE0EEEvSF_.num_named_barrier, 0
	.set _ZN7rocprim17ROCPRIM_400000_NS6detail17trampoline_kernelINS0_14default_configENS1_38merge_sort_block_merge_config_selectorIhNS0_10empty_typeEEEZZNS1_27merge_sort_block_merge_implIS3_PhPS5_jNS1_19radix_merge_compareILb1ELb0EhNS0_19identity_decomposerEEEEE10hipError_tT0_T1_T2_jT3_P12ihipStream_tbPNSt15iterator_traitsISE_E10value_typeEPNSK_ISF_E10value_typeEPSG_NS1_7vsmem_tEENKUlT_SE_SF_SG_E_clIS8_S8_S9_S9_EESD_ST_SE_SF_SG_EUlST_E0_NS1_11comp_targetILNS1_3genE10ELNS1_11target_archE1201ELNS1_3gpuE5ELNS1_3repE0EEENS1_38merge_mergepath_config_static_selectorELNS0_4arch9wavefront6targetE0EEEvSF_.private_seg_size, 0
	.set _ZN7rocprim17ROCPRIM_400000_NS6detail17trampoline_kernelINS0_14default_configENS1_38merge_sort_block_merge_config_selectorIhNS0_10empty_typeEEEZZNS1_27merge_sort_block_merge_implIS3_PhPS5_jNS1_19radix_merge_compareILb1ELb0EhNS0_19identity_decomposerEEEEE10hipError_tT0_T1_T2_jT3_P12ihipStream_tbPNSt15iterator_traitsISE_E10value_typeEPNSK_ISF_E10value_typeEPSG_NS1_7vsmem_tEENKUlT_SE_SF_SG_E_clIS8_S8_S9_S9_EESD_ST_SE_SF_SG_EUlST_E0_NS1_11comp_targetILNS1_3genE10ELNS1_11target_archE1201ELNS1_3gpuE5ELNS1_3repE0EEENS1_38merge_mergepath_config_static_selectorELNS0_4arch9wavefront6targetE0EEEvSF_.uses_vcc, 0
	.set _ZN7rocprim17ROCPRIM_400000_NS6detail17trampoline_kernelINS0_14default_configENS1_38merge_sort_block_merge_config_selectorIhNS0_10empty_typeEEEZZNS1_27merge_sort_block_merge_implIS3_PhPS5_jNS1_19radix_merge_compareILb1ELb0EhNS0_19identity_decomposerEEEEE10hipError_tT0_T1_T2_jT3_P12ihipStream_tbPNSt15iterator_traitsISE_E10value_typeEPNSK_ISF_E10value_typeEPSG_NS1_7vsmem_tEENKUlT_SE_SF_SG_E_clIS8_S8_S9_S9_EESD_ST_SE_SF_SG_EUlST_E0_NS1_11comp_targetILNS1_3genE10ELNS1_11target_archE1201ELNS1_3gpuE5ELNS1_3repE0EEENS1_38merge_mergepath_config_static_selectorELNS0_4arch9wavefront6targetE0EEEvSF_.uses_flat_scratch, 0
	.set _ZN7rocprim17ROCPRIM_400000_NS6detail17trampoline_kernelINS0_14default_configENS1_38merge_sort_block_merge_config_selectorIhNS0_10empty_typeEEEZZNS1_27merge_sort_block_merge_implIS3_PhPS5_jNS1_19radix_merge_compareILb1ELb0EhNS0_19identity_decomposerEEEEE10hipError_tT0_T1_T2_jT3_P12ihipStream_tbPNSt15iterator_traitsISE_E10value_typeEPNSK_ISF_E10value_typeEPSG_NS1_7vsmem_tEENKUlT_SE_SF_SG_E_clIS8_S8_S9_S9_EESD_ST_SE_SF_SG_EUlST_E0_NS1_11comp_targetILNS1_3genE10ELNS1_11target_archE1201ELNS1_3gpuE5ELNS1_3repE0EEENS1_38merge_mergepath_config_static_selectorELNS0_4arch9wavefront6targetE0EEEvSF_.has_dyn_sized_stack, 0
	.set _ZN7rocprim17ROCPRIM_400000_NS6detail17trampoline_kernelINS0_14default_configENS1_38merge_sort_block_merge_config_selectorIhNS0_10empty_typeEEEZZNS1_27merge_sort_block_merge_implIS3_PhPS5_jNS1_19radix_merge_compareILb1ELb0EhNS0_19identity_decomposerEEEEE10hipError_tT0_T1_T2_jT3_P12ihipStream_tbPNSt15iterator_traitsISE_E10value_typeEPNSK_ISF_E10value_typeEPSG_NS1_7vsmem_tEENKUlT_SE_SF_SG_E_clIS8_S8_S9_S9_EESD_ST_SE_SF_SG_EUlST_E0_NS1_11comp_targetILNS1_3genE10ELNS1_11target_archE1201ELNS1_3gpuE5ELNS1_3repE0EEENS1_38merge_mergepath_config_static_selectorELNS0_4arch9wavefront6targetE0EEEvSF_.has_recursion, 0
	.set _ZN7rocprim17ROCPRIM_400000_NS6detail17trampoline_kernelINS0_14default_configENS1_38merge_sort_block_merge_config_selectorIhNS0_10empty_typeEEEZZNS1_27merge_sort_block_merge_implIS3_PhPS5_jNS1_19radix_merge_compareILb1ELb0EhNS0_19identity_decomposerEEEEE10hipError_tT0_T1_T2_jT3_P12ihipStream_tbPNSt15iterator_traitsISE_E10value_typeEPNSK_ISF_E10value_typeEPSG_NS1_7vsmem_tEENKUlT_SE_SF_SG_E_clIS8_S8_S9_S9_EESD_ST_SE_SF_SG_EUlST_E0_NS1_11comp_targetILNS1_3genE10ELNS1_11target_archE1201ELNS1_3gpuE5ELNS1_3repE0EEENS1_38merge_mergepath_config_static_selectorELNS0_4arch9wavefront6targetE0EEEvSF_.has_indirect_call, 0
	.section	.AMDGPU.csdata,"",@progbits
; Kernel info:
; codeLenInByte = 0
; TotalNumSgprs: 0
; NumVgprs: 0
; ScratchSize: 0
; MemoryBound: 0
; FloatMode: 240
; IeeeMode: 1
; LDSByteSize: 0 bytes/workgroup (compile time only)
; SGPRBlocks: 0
; VGPRBlocks: 0
; NumSGPRsForWavesPerEU: 1
; NumVGPRsForWavesPerEU: 1
; NamedBarCnt: 0
; Occupancy: 16
; WaveLimiterHint : 0
; COMPUTE_PGM_RSRC2:SCRATCH_EN: 0
; COMPUTE_PGM_RSRC2:USER_SGPR: 2
; COMPUTE_PGM_RSRC2:TRAP_HANDLER: 0
; COMPUTE_PGM_RSRC2:TGID_X_EN: 1
; COMPUTE_PGM_RSRC2:TGID_Y_EN: 0
; COMPUTE_PGM_RSRC2:TGID_Z_EN: 0
; COMPUTE_PGM_RSRC2:TIDIG_COMP_CNT: 0
	.section	.text._ZN7rocprim17ROCPRIM_400000_NS6detail17trampoline_kernelINS0_14default_configENS1_38merge_sort_block_merge_config_selectorIhNS0_10empty_typeEEEZZNS1_27merge_sort_block_merge_implIS3_PhPS5_jNS1_19radix_merge_compareILb1ELb0EhNS0_19identity_decomposerEEEEE10hipError_tT0_T1_T2_jT3_P12ihipStream_tbPNSt15iterator_traitsISE_E10value_typeEPNSK_ISF_E10value_typeEPSG_NS1_7vsmem_tEENKUlT_SE_SF_SG_E_clIS8_S8_S9_S9_EESD_ST_SE_SF_SG_EUlST_E0_NS1_11comp_targetILNS1_3genE5ELNS1_11target_archE942ELNS1_3gpuE9ELNS1_3repE0EEENS1_38merge_mergepath_config_static_selectorELNS0_4arch9wavefront6targetE0EEEvSF_,"axG",@progbits,_ZN7rocprim17ROCPRIM_400000_NS6detail17trampoline_kernelINS0_14default_configENS1_38merge_sort_block_merge_config_selectorIhNS0_10empty_typeEEEZZNS1_27merge_sort_block_merge_implIS3_PhPS5_jNS1_19radix_merge_compareILb1ELb0EhNS0_19identity_decomposerEEEEE10hipError_tT0_T1_T2_jT3_P12ihipStream_tbPNSt15iterator_traitsISE_E10value_typeEPNSK_ISF_E10value_typeEPSG_NS1_7vsmem_tEENKUlT_SE_SF_SG_E_clIS8_S8_S9_S9_EESD_ST_SE_SF_SG_EUlST_E0_NS1_11comp_targetILNS1_3genE5ELNS1_11target_archE942ELNS1_3gpuE9ELNS1_3repE0EEENS1_38merge_mergepath_config_static_selectorELNS0_4arch9wavefront6targetE0EEEvSF_,comdat
	.protected	_ZN7rocprim17ROCPRIM_400000_NS6detail17trampoline_kernelINS0_14default_configENS1_38merge_sort_block_merge_config_selectorIhNS0_10empty_typeEEEZZNS1_27merge_sort_block_merge_implIS3_PhPS5_jNS1_19radix_merge_compareILb1ELb0EhNS0_19identity_decomposerEEEEE10hipError_tT0_T1_T2_jT3_P12ihipStream_tbPNSt15iterator_traitsISE_E10value_typeEPNSK_ISF_E10value_typeEPSG_NS1_7vsmem_tEENKUlT_SE_SF_SG_E_clIS8_S8_S9_S9_EESD_ST_SE_SF_SG_EUlST_E0_NS1_11comp_targetILNS1_3genE5ELNS1_11target_archE942ELNS1_3gpuE9ELNS1_3repE0EEENS1_38merge_mergepath_config_static_selectorELNS0_4arch9wavefront6targetE0EEEvSF_ ; -- Begin function _ZN7rocprim17ROCPRIM_400000_NS6detail17trampoline_kernelINS0_14default_configENS1_38merge_sort_block_merge_config_selectorIhNS0_10empty_typeEEEZZNS1_27merge_sort_block_merge_implIS3_PhPS5_jNS1_19radix_merge_compareILb1ELb0EhNS0_19identity_decomposerEEEEE10hipError_tT0_T1_T2_jT3_P12ihipStream_tbPNSt15iterator_traitsISE_E10value_typeEPNSK_ISF_E10value_typeEPSG_NS1_7vsmem_tEENKUlT_SE_SF_SG_E_clIS8_S8_S9_S9_EESD_ST_SE_SF_SG_EUlST_E0_NS1_11comp_targetILNS1_3genE5ELNS1_11target_archE942ELNS1_3gpuE9ELNS1_3repE0EEENS1_38merge_mergepath_config_static_selectorELNS0_4arch9wavefront6targetE0EEEvSF_
	.globl	_ZN7rocprim17ROCPRIM_400000_NS6detail17trampoline_kernelINS0_14default_configENS1_38merge_sort_block_merge_config_selectorIhNS0_10empty_typeEEEZZNS1_27merge_sort_block_merge_implIS3_PhPS5_jNS1_19radix_merge_compareILb1ELb0EhNS0_19identity_decomposerEEEEE10hipError_tT0_T1_T2_jT3_P12ihipStream_tbPNSt15iterator_traitsISE_E10value_typeEPNSK_ISF_E10value_typeEPSG_NS1_7vsmem_tEENKUlT_SE_SF_SG_E_clIS8_S8_S9_S9_EESD_ST_SE_SF_SG_EUlST_E0_NS1_11comp_targetILNS1_3genE5ELNS1_11target_archE942ELNS1_3gpuE9ELNS1_3repE0EEENS1_38merge_mergepath_config_static_selectorELNS0_4arch9wavefront6targetE0EEEvSF_
	.p2align	8
	.type	_ZN7rocprim17ROCPRIM_400000_NS6detail17trampoline_kernelINS0_14default_configENS1_38merge_sort_block_merge_config_selectorIhNS0_10empty_typeEEEZZNS1_27merge_sort_block_merge_implIS3_PhPS5_jNS1_19radix_merge_compareILb1ELb0EhNS0_19identity_decomposerEEEEE10hipError_tT0_T1_T2_jT3_P12ihipStream_tbPNSt15iterator_traitsISE_E10value_typeEPNSK_ISF_E10value_typeEPSG_NS1_7vsmem_tEENKUlT_SE_SF_SG_E_clIS8_S8_S9_S9_EESD_ST_SE_SF_SG_EUlST_E0_NS1_11comp_targetILNS1_3genE5ELNS1_11target_archE942ELNS1_3gpuE9ELNS1_3repE0EEENS1_38merge_mergepath_config_static_selectorELNS0_4arch9wavefront6targetE0EEEvSF_,@function
_ZN7rocprim17ROCPRIM_400000_NS6detail17trampoline_kernelINS0_14default_configENS1_38merge_sort_block_merge_config_selectorIhNS0_10empty_typeEEEZZNS1_27merge_sort_block_merge_implIS3_PhPS5_jNS1_19radix_merge_compareILb1ELb0EhNS0_19identity_decomposerEEEEE10hipError_tT0_T1_T2_jT3_P12ihipStream_tbPNSt15iterator_traitsISE_E10value_typeEPNSK_ISF_E10value_typeEPSG_NS1_7vsmem_tEENKUlT_SE_SF_SG_E_clIS8_S8_S9_S9_EESD_ST_SE_SF_SG_EUlST_E0_NS1_11comp_targetILNS1_3genE5ELNS1_11target_archE942ELNS1_3gpuE9ELNS1_3repE0EEENS1_38merge_mergepath_config_static_selectorELNS0_4arch9wavefront6targetE0EEEvSF_: ; @_ZN7rocprim17ROCPRIM_400000_NS6detail17trampoline_kernelINS0_14default_configENS1_38merge_sort_block_merge_config_selectorIhNS0_10empty_typeEEEZZNS1_27merge_sort_block_merge_implIS3_PhPS5_jNS1_19radix_merge_compareILb1ELb0EhNS0_19identity_decomposerEEEEE10hipError_tT0_T1_T2_jT3_P12ihipStream_tbPNSt15iterator_traitsISE_E10value_typeEPNSK_ISF_E10value_typeEPSG_NS1_7vsmem_tEENKUlT_SE_SF_SG_E_clIS8_S8_S9_S9_EESD_ST_SE_SF_SG_EUlST_E0_NS1_11comp_targetILNS1_3genE5ELNS1_11target_archE942ELNS1_3gpuE9ELNS1_3repE0EEENS1_38merge_mergepath_config_static_selectorELNS0_4arch9wavefront6targetE0EEEvSF_
; %bb.0:
	.section	.rodata,"a",@progbits
	.p2align	6, 0x0
	.amdhsa_kernel _ZN7rocprim17ROCPRIM_400000_NS6detail17trampoline_kernelINS0_14default_configENS1_38merge_sort_block_merge_config_selectorIhNS0_10empty_typeEEEZZNS1_27merge_sort_block_merge_implIS3_PhPS5_jNS1_19radix_merge_compareILb1ELb0EhNS0_19identity_decomposerEEEEE10hipError_tT0_T1_T2_jT3_P12ihipStream_tbPNSt15iterator_traitsISE_E10value_typeEPNSK_ISF_E10value_typeEPSG_NS1_7vsmem_tEENKUlT_SE_SF_SG_E_clIS8_S8_S9_S9_EESD_ST_SE_SF_SG_EUlST_E0_NS1_11comp_targetILNS1_3genE5ELNS1_11target_archE942ELNS1_3gpuE9ELNS1_3repE0EEENS1_38merge_mergepath_config_static_selectorELNS0_4arch9wavefront6targetE0EEEvSF_
		.amdhsa_group_segment_fixed_size 0
		.amdhsa_private_segment_fixed_size 0
		.amdhsa_kernarg_size 64
		.amdhsa_user_sgpr_count 2
		.amdhsa_user_sgpr_dispatch_ptr 0
		.amdhsa_user_sgpr_queue_ptr 0
		.amdhsa_user_sgpr_kernarg_segment_ptr 1
		.amdhsa_user_sgpr_dispatch_id 0
		.amdhsa_user_sgpr_kernarg_preload_length 0
		.amdhsa_user_sgpr_kernarg_preload_offset 0
		.amdhsa_user_sgpr_private_segment_size 0
		.amdhsa_wavefront_size32 1
		.amdhsa_uses_dynamic_stack 0
		.amdhsa_enable_private_segment 0
		.amdhsa_system_sgpr_workgroup_id_x 1
		.amdhsa_system_sgpr_workgroup_id_y 0
		.amdhsa_system_sgpr_workgroup_id_z 0
		.amdhsa_system_sgpr_workgroup_info 0
		.amdhsa_system_vgpr_workitem_id 0
		.amdhsa_next_free_vgpr 1
		.amdhsa_next_free_sgpr 1
		.amdhsa_named_barrier_count 0
		.amdhsa_reserve_vcc 0
		.amdhsa_float_round_mode_32 0
		.amdhsa_float_round_mode_16_64 0
		.amdhsa_float_denorm_mode_32 3
		.amdhsa_float_denorm_mode_16_64 3
		.amdhsa_fp16_overflow 0
		.amdhsa_memory_ordered 1
		.amdhsa_forward_progress 1
		.amdhsa_inst_pref_size 0
		.amdhsa_round_robin_scheduling 0
		.amdhsa_exception_fp_ieee_invalid_op 0
		.amdhsa_exception_fp_denorm_src 0
		.amdhsa_exception_fp_ieee_div_zero 0
		.amdhsa_exception_fp_ieee_overflow 0
		.amdhsa_exception_fp_ieee_underflow 0
		.amdhsa_exception_fp_ieee_inexact 0
		.amdhsa_exception_int_div_zero 0
	.end_amdhsa_kernel
	.section	.text._ZN7rocprim17ROCPRIM_400000_NS6detail17trampoline_kernelINS0_14default_configENS1_38merge_sort_block_merge_config_selectorIhNS0_10empty_typeEEEZZNS1_27merge_sort_block_merge_implIS3_PhPS5_jNS1_19radix_merge_compareILb1ELb0EhNS0_19identity_decomposerEEEEE10hipError_tT0_T1_T2_jT3_P12ihipStream_tbPNSt15iterator_traitsISE_E10value_typeEPNSK_ISF_E10value_typeEPSG_NS1_7vsmem_tEENKUlT_SE_SF_SG_E_clIS8_S8_S9_S9_EESD_ST_SE_SF_SG_EUlST_E0_NS1_11comp_targetILNS1_3genE5ELNS1_11target_archE942ELNS1_3gpuE9ELNS1_3repE0EEENS1_38merge_mergepath_config_static_selectorELNS0_4arch9wavefront6targetE0EEEvSF_,"axG",@progbits,_ZN7rocprim17ROCPRIM_400000_NS6detail17trampoline_kernelINS0_14default_configENS1_38merge_sort_block_merge_config_selectorIhNS0_10empty_typeEEEZZNS1_27merge_sort_block_merge_implIS3_PhPS5_jNS1_19radix_merge_compareILb1ELb0EhNS0_19identity_decomposerEEEEE10hipError_tT0_T1_T2_jT3_P12ihipStream_tbPNSt15iterator_traitsISE_E10value_typeEPNSK_ISF_E10value_typeEPSG_NS1_7vsmem_tEENKUlT_SE_SF_SG_E_clIS8_S8_S9_S9_EESD_ST_SE_SF_SG_EUlST_E0_NS1_11comp_targetILNS1_3genE5ELNS1_11target_archE942ELNS1_3gpuE9ELNS1_3repE0EEENS1_38merge_mergepath_config_static_selectorELNS0_4arch9wavefront6targetE0EEEvSF_,comdat
.Lfunc_end28:
	.size	_ZN7rocprim17ROCPRIM_400000_NS6detail17trampoline_kernelINS0_14default_configENS1_38merge_sort_block_merge_config_selectorIhNS0_10empty_typeEEEZZNS1_27merge_sort_block_merge_implIS3_PhPS5_jNS1_19radix_merge_compareILb1ELb0EhNS0_19identity_decomposerEEEEE10hipError_tT0_T1_T2_jT3_P12ihipStream_tbPNSt15iterator_traitsISE_E10value_typeEPNSK_ISF_E10value_typeEPSG_NS1_7vsmem_tEENKUlT_SE_SF_SG_E_clIS8_S8_S9_S9_EESD_ST_SE_SF_SG_EUlST_E0_NS1_11comp_targetILNS1_3genE5ELNS1_11target_archE942ELNS1_3gpuE9ELNS1_3repE0EEENS1_38merge_mergepath_config_static_selectorELNS0_4arch9wavefront6targetE0EEEvSF_, .Lfunc_end28-_ZN7rocprim17ROCPRIM_400000_NS6detail17trampoline_kernelINS0_14default_configENS1_38merge_sort_block_merge_config_selectorIhNS0_10empty_typeEEEZZNS1_27merge_sort_block_merge_implIS3_PhPS5_jNS1_19radix_merge_compareILb1ELb0EhNS0_19identity_decomposerEEEEE10hipError_tT0_T1_T2_jT3_P12ihipStream_tbPNSt15iterator_traitsISE_E10value_typeEPNSK_ISF_E10value_typeEPSG_NS1_7vsmem_tEENKUlT_SE_SF_SG_E_clIS8_S8_S9_S9_EESD_ST_SE_SF_SG_EUlST_E0_NS1_11comp_targetILNS1_3genE5ELNS1_11target_archE942ELNS1_3gpuE9ELNS1_3repE0EEENS1_38merge_mergepath_config_static_selectorELNS0_4arch9wavefront6targetE0EEEvSF_
                                        ; -- End function
	.set _ZN7rocprim17ROCPRIM_400000_NS6detail17trampoline_kernelINS0_14default_configENS1_38merge_sort_block_merge_config_selectorIhNS0_10empty_typeEEEZZNS1_27merge_sort_block_merge_implIS3_PhPS5_jNS1_19radix_merge_compareILb1ELb0EhNS0_19identity_decomposerEEEEE10hipError_tT0_T1_T2_jT3_P12ihipStream_tbPNSt15iterator_traitsISE_E10value_typeEPNSK_ISF_E10value_typeEPSG_NS1_7vsmem_tEENKUlT_SE_SF_SG_E_clIS8_S8_S9_S9_EESD_ST_SE_SF_SG_EUlST_E0_NS1_11comp_targetILNS1_3genE5ELNS1_11target_archE942ELNS1_3gpuE9ELNS1_3repE0EEENS1_38merge_mergepath_config_static_selectorELNS0_4arch9wavefront6targetE0EEEvSF_.num_vgpr, 0
	.set _ZN7rocprim17ROCPRIM_400000_NS6detail17trampoline_kernelINS0_14default_configENS1_38merge_sort_block_merge_config_selectorIhNS0_10empty_typeEEEZZNS1_27merge_sort_block_merge_implIS3_PhPS5_jNS1_19radix_merge_compareILb1ELb0EhNS0_19identity_decomposerEEEEE10hipError_tT0_T1_T2_jT3_P12ihipStream_tbPNSt15iterator_traitsISE_E10value_typeEPNSK_ISF_E10value_typeEPSG_NS1_7vsmem_tEENKUlT_SE_SF_SG_E_clIS8_S8_S9_S9_EESD_ST_SE_SF_SG_EUlST_E0_NS1_11comp_targetILNS1_3genE5ELNS1_11target_archE942ELNS1_3gpuE9ELNS1_3repE0EEENS1_38merge_mergepath_config_static_selectorELNS0_4arch9wavefront6targetE0EEEvSF_.num_agpr, 0
	.set _ZN7rocprim17ROCPRIM_400000_NS6detail17trampoline_kernelINS0_14default_configENS1_38merge_sort_block_merge_config_selectorIhNS0_10empty_typeEEEZZNS1_27merge_sort_block_merge_implIS3_PhPS5_jNS1_19radix_merge_compareILb1ELb0EhNS0_19identity_decomposerEEEEE10hipError_tT0_T1_T2_jT3_P12ihipStream_tbPNSt15iterator_traitsISE_E10value_typeEPNSK_ISF_E10value_typeEPSG_NS1_7vsmem_tEENKUlT_SE_SF_SG_E_clIS8_S8_S9_S9_EESD_ST_SE_SF_SG_EUlST_E0_NS1_11comp_targetILNS1_3genE5ELNS1_11target_archE942ELNS1_3gpuE9ELNS1_3repE0EEENS1_38merge_mergepath_config_static_selectorELNS0_4arch9wavefront6targetE0EEEvSF_.numbered_sgpr, 0
	.set _ZN7rocprim17ROCPRIM_400000_NS6detail17trampoline_kernelINS0_14default_configENS1_38merge_sort_block_merge_config_selectorIhNS0_10empty_typeEEEZZNS1_27merge_sort_block_merge_implIS3_PhPS5_jNS1_19radix_merge_compareILb1ELb0EhNS0_19identity_decomposerEEEEE10hipError_tT0_T1_T2_jT3_P12ihipStream_tbPNSt15iterator_traitsISE_E10value_typeEPNSK_ISF_E10value_typeEPSG_NS1_7vsmem_tEENKUlT_SE_SF_SG_E_clIS8_S8_S9_S9_EESD_ST_SE_SF_SG_EUlST_E0_NS1_11comp_targetILNS1_3genE5ELNS1_11target_archE942ELNS1_3gpuE9ELNS1_3repE0EEENS1_38merge_mergepath_config_static_selectorELNS0_4arch9wavefront6targetE0EEEvSF_.num_named_barrier, 0
	.set _ZN7rocprim17ROCPRIM_400000_NS6detail17trampoline_kernelINS0_14default_configENS1_38merge_sort_block_merge_config_selectorIhNS0_10empty_typeEEEZZNS1_27merge_sort_block_merge_implIS3_PhPS5_jNS1_19radix_merge_compareILb1ELb0EhNS0_19identity_decomposerEEEEE10hipError_tT0_T1_T2_jT3_P12ihipStream_tbPNSt15iterator_traitsISE_E10value_typeEPNSK_ISF_E10value_typeEPSG_NS1_7vsmem_tEENKUlT_SE_SF_SG_E_clIS8_S8_S9_S9_EESD_ST_SE_SF_SG_EUlST_E0_NS1_11comp_targetILNS1_3genE5ELNS1_11target_archE942ELNS1_3gpuE9ELNS1_3repE0EEENS1_38merge_mergepath_config_static_selectorELNS0_4arch9wavefront6targetE0EEEvSF_.private_seg_size, 0
	.set _ZN7rocprim17ROCPRIM_400000_NS6detail17trampoline_kernelINS0_14default_configENS1_38merge_sort_block_merge_config_selectorIhNS0_10empty_typeEEEZZNS1_27merge_sort_block_merge_implIS3_PhPS5_jNS1_19radix_merge_compareILb1ELb0EhNS0_19identity_decomposerEEEEE10hipError_tT0_T1_T2_jT3_P12ihipStream_tbPNSt15iterator_traitsISE_E10value_typeEPNSK_ISF_E10value_typeEPSG_NS1_7vsmem_tEENKUlT_SE_SF_SG_E_clIS8_S8_S9_S9_EESD_ST_SE_SF_SG_EUlST_E0_NS1_11comp_targetILNS1_3genE5ELNS1_11target_archE942ELNS1_3gpuE9ELNS1_3repE0EEENS1_38merge_mergepath_config_static_selectorELNS0_4arch9wavefront6targetE0EEEvSF_.uses_vcc, 0
	.set _ZN7rocprim17ROCPRIM_400000_NS6detail17trampoline_kernelINS0_14default_configENS1_38merge_sort_block_merge_config_selectorIhNS0_10empty_typeEEEZZNS1_27merge_sort_block_merge_implIS3_PhPS5_jNS1_19radix_merge_compareILb1ELb0EhNS0_19identity_decomposerEEEEE10hipError_tT0_T1_T2_jT3_P12ihipStream_tbPNSt15iterator_traitsISE_E10value_typeEPNSK_ISF_E10value_typeEPSG_NS1_7vsmem_tEENKUlT_SE_SF_SG_E_clIS8_S8_S9_S9_EESD_ST_SE_SF_SG_EUlST_E0_NS1_11comp_targetILNS1_3genE5ELNS1_11target_archE942ELNS1_3gpuE9ELNS1_3repE0EEENS1_38merge_mergepath_config_static_selectorELNS0_4arch9wavefront6targetE0EEEvSF_.uses_flat_scratch, 0
	.set _ZN7rocprim17ROCPRIM_400000_NS6detail17trampoline_kernelINS0_14default_configENS1_38merge_sort_block_merge_config_selectorIhNS0_10empty_typeEEEZZNS1_27merge_sort_block_merge_implIS3_PhPS5_jNS1_19radix_merge_compareILb1ELb0EhNS0_19identity_decomposerEEEEE10hipError_tT0_T1_T2_jT3_P12ihipStream_tbPNSt15iterator_traitsISE_E10value_typeEPNSK_ISF_E10value_typeEPSG_NS1_7vsmem_tEENKUlT_SE_SF_SG_E_clIS8_S8_S9_S9_EESD_ST_SE_SF_SG_EUlST_E0_NS1_11comp_targetILNS1_3genE5ELNS1_11target_archE942ELNS1_3gpuE9ELNS1_3repE0EEENS1_38merge_mergepath_config_static_selectorELNS0_4arch9wavefront6targetE0EEEvSF_.has_dyn_sized_stack, 0
	.set _ZN7rocprim17ROCPRIM_400000_NS6detail17trampoline_kernelINS0_14default_configENS1_38merge_sort_block_merge_config_selectorIhNS0_10empty_typeEEEZZNS1_27merge_sort_block_merge_implIS3_PhPS5_jNS1_19radix_merge_compareILb1ELb0EhNS0_19identity_decomposerEEEEE10hipError_tT0_T1_T2_jT3_P12ihipStream_tbPNSt15iterator_traitsISE_E10value_typeEPNSK_ISF_E10value_typeEPSG_NS1_7vsmem_tEENKUlT_SE_SF_SG_E_clIS8_S8_S9_S9_EESD_ST_SE_SF_SG_EUlST_E0_NS1_11comp_targetILNS1_3genE5ELNS1_11target_archE942ELNS1_3gpuE9ELNS1_3repE0EEENS1_38merge_mergepath_config_static_selectorELNS0_4arch9wavefront6targetE0EEEvSF_.has_recursion, 0
	.set _ZN7rocprim17ROCPRIM_400000_NS6detail17trampoline_kernelINS0_14default_configENS1_38merge_sort_block_merge_config_selectorIhNS0_10empty_typeEEEZZNS1_27merge_sort_block_merge_implIS3_PhPS5_jNS1_19radix_merge_compareILb1ELb0EhNS0_19identity_decomposerEEEEE10hipError_tT0_T1_T2_jT3_P12ihipStream_tbPNSt15iterator_traitsISE_E10value_typeEPNSK_ISF_E10value_typeEPSG_NS1_7vsmem_tEENKUlT_SE_SF_SG_E_clIS8_S8_S9_S9_EESD_ST_SE_SF_SG_EUlST_E0_NS1_11comp_targetILNS1_3genE5ELNS1_11target_archE942ELNS1_3gpuE9ELNS1_3repE0EEENS1_38merge_mergepath_config_static_selectorELNS0_4arch9wavefront6targetE0EEEvSF_.has_indirect_call, 0
	.section	.AMDGPU.csdata,"",@progbits
; Kernel info:
; codeLenInByte = 0
; TotalNumSgprs: 0
; NumVgprs: 0
; ScratchSize: 0
; MemoryBound: 0
; FloatMode: 240
; IeeeMode: 1
; LDSByteSize: 0 bytes/workgroup (compile time only)
; SGPRBlocks: 0
; VGPRBlocks: 0
; NumSGPRsForWavesPerEU: 1
; NumVGPRsForWavesPerEU: 1
; NamedBarCnt: 0
; Occupancy: 16
; WaveLimiterHint : 0
; COMPUTE_PGM_RSRC2:SCRATCH_EN: 0
; COMPUTE_PGM_RSRC2:USER_SGPR: 2
; COMPUTE_PGM_RSRC2:TRAP_HANDLER: 0
; COMPUTE_PGM_RSRC2:TGID_X_EN: 1
; COMPUTE_PGM_RSRC2:TGID_Y_EN: 0
; COMPUTE_PGM_RSRC2:TGID_Z_EN: 0
; COMPUTE_PGM_RSRC2:TIDIG_COMP_CNT: 0
	.section	.text._ZN7rocprim17ROCPRIM_400000_NS6detail17trampoline_kernelINS0_14default_configENS1_38merge_sort_block_merge_config_selectorIhNS0_10empty_typeEEEZZNS1_27merge_sort_block_merge_implIS3_PhPS5_jNS1_19radix_merge_compareILb1ELb0EhNS0_19identity_decomposerEEEEE10hipError_tT0_T1_T2_jT3_P12ihipStream_tbPNSt15iterator_traitsISE_E10value_typeEPNSK_ISF_E10value_typeEPSG_NS1_7vsmem_tEENKUlT_SE_SF_SG_E_clIS8_S8_S9_S9_EESD_ST_SE_SF_SG_EUlST_E0_NS1_11comp_targetILNS1_3genE4ELNS1_11target_archE910ELNS1_3gpuE8ELNS1_3repE0EEENS1_38merge_mergepath_config_static_selectorELNS0_4arch9wavefront6targetE0EEEvSF_,"axG",@progbits,_ZN7rocprim17ROCPRIM_400000_NS6detail17trampoline_kernelINS0_14default_configENS1_38merge_sort_block_merge_config_selectorIhNS0_10empty_typeEEEZZNS1_27merge_sort_block_merge_implIS3_PhPS5_jNS1_19radix_merge_compareILb1ELb0EhNS0_19identity_decomposerEEEEE10hipError_tT0_T1_T2_jT3_P12ihipStream_tbPNSt15iterator_traitsISE_E10value_typeEPNSK_ISF_E10value_typeEPSG_NS1_7vsmem_tEENKUlT_SE_SF_SG_E_clIS8_S8_S9_S9_EESD_ST_SE_SF_SG_EUlST_E0_NS1_11comp_targetILNS1_3genE4ELNS1_11target_archE910ELNS1_3gpuE8ELNS1_3repE0EEENS1_38merge_mergepath_config_static_selectorELNS0_4arch9wavefront6targetE0EEEvSF_,comdat
	.protected	_ZN7rocprim17ROCPRIM_400000_NS6detail17trampoline_kernelINS0_14default_configENS1_38merge_sort_block_merge_config_selectorIhNS0_10empty_typeEEEZZNS1_27merge_sort_block_merge_implIS3_PhPS5_jNS1_19radix_merge_compareILb1ELb0EhNS0_19identity_decomposerEEEEE10hipError_tT0_T1_T2_jT3_P12ihipStream_tbPNSt15iterator_traitsISE_E10value_typeEPNSK_ISF_E10value_typeEPSG_NS1_7vsmem_tEENKUlT_SE_SF_SG_E_clIS8_S8_S9_S9_EESD_ST_SE_SF_SG_EUlST_E0_NS1_11comp_targetILNS1_3genE4ELNS1_11target_archE910ELNS1_3gpuE8ELNS1_3repE0EEENS1_38merge_mergepath_config_static_selectorELNS0_4arch9wavefront6targetE0EEEvSF_ ; -- Begin function _ZN7rocprim17ROCPRIM_400000_NS6detail17trampoline_kernelINS0_14default_configENS1_38merge_sort_block_merge_config_selectorIhNS0_10empty_typeEEEZZNS1_27merge_sort_block_merge_implIS3_PhPS5_jNS1_19radix_merge_compareILb1ELb0EhNS0_19identity_decomposerEEEEE10hipError_tT0_T1_T2_jT3_P12ihipStream_tbPNSt15iterator_traitsISE_E10value_typeEPNSK_ISF_E10value_typeEPSG_NS1_7vsmem_tEENKUlT_SE_SF_SG_E_clIS8_S8_S9_S9_EESD_ST_SE_SF_SG_EUlST_E0_NS1_11comp_targetILNS1_3genE4ELNS1_11target_archE910ELNS1_3gpuE8ELNS1_3repE0EEENS1_38merge_mergepath_config_static_selectorELNS0_4arch9wavefront6targetE0EEEvSF_
	.globl	_ZN7rocprim17ROCPRIM_400000_NS6detail17trampoline_kernelINS0_14default_configENS1_38merge_sort_block_merge_config_selectorIhNS0_10empty_typeEEEZZNS1_27merge_sort_block_merge_implIS3_PhPS5_jNS1_19radix_merge_compareILb1ELb0EhNS0_19identity_decomposerEEEEE10hipError_tT0_T1_T2_jT3_P12ihipStream_tbPNSt15iterator_traitsISE_E10value_typeEPNSK_ISF_E10value_typeEPSG_NS1_7vsmem_tEENKUlT_SE_SF_SG_E_clIS8_S8_S9_S9_EESD_ST_SE_SF_SG_EUlST_E0_NS1_11comp_targetILNS1_3genE4ELNS1_11target_archE910ELNS1_3gpuE8ELNS1_3repE0EEENS1_38merge_mergepath_config_static_selectorELNS0_4arch9wavefront6targetE0EEEvSF_
	.p2align	8
	.type	_ZN7rocprim17ROCPRIM_400000_NS6detail17trampoline_kernelINS0_14default_configENS1_38merge_sort_block_merge_config_selectorIhNS0_10empty_typeEEEZZNS1_27merge_sort_block_merge_implIS3_PhPS5_jNS1_19radix_merge_compareILb1ELb0EhNS0_19identity_decomposerEEEEE10hipError_tT0_T1_T2_jT3_P12ihipStream_tbPNSt15iterator_traitsISE_E10value_typeEPNSK_ISF_E10value_typeEPSG_NS1_7vsmem_tEENKUlT_SE_SF_SG_E_clIS8_S8_S9_S9_EESD_ST_SE_SF_SG_EUlST_E0_NS1_11comp_targetILNS1_3genE4ELNS1_11target_archE910ELNS1_3gpuE8ELNS1_3repE0EEENS1_38merge_mergepath_config_static_selectorELNS0_4arch9wavefront6targetE0EEEvSF_,@function
_ZN7rocprim17ROCPRIM_400000_NS6detail17trampoline_kernelINS0_14default_configENS1_38merge_sort_block_merge_config_selectorIhNS0_10empty_typeEEEZZNS1_27merge_sort_block_merge_implIS3_PhPS5_jNS1_19radix_merge_compareILb1ELb0EhNS0_19identity_decomposerEEEEE10hipError_tT0_T1_T2_jT3_P12ihipStream_tbPNSt15iterator_traitsISE_E10value_typeEPNSK_ISF_E10value_typeEPSG_NS1_7vsmem_tEENKUlT_SE_SF_SG_E_clIS8_S8_S9_S9_EESD_ST_SE_SF_SG_EUlST_E0_NS1_11comp_targetILNS1_3genE4ELNS1_11target_archE910ELNS1_3gpuE8ELNS1_3repE0EEENS1_38merge_mergepath_config_static_selectorELNS0_4arch9wavefront6targetE0EEEvSF_: ; @_ZN7rocprim17ROCPRIM_400000_NS6detail17trampoline_kernelINS0_14default_configENS1_38merge_sort_block_merge_config_selectorIhNS0_10empty_typeEEEZZNS1_27merge_sort_block_merge_implIS3_PhPS5_jNS1_19radix_merge_compareILb1ELb0EhNS0_19identity_decomposerEEEEE10hipError_tT0_T1_T2_jT3_P12ihipStream_tbPNSt15iterator_traitsISE_E10value_typeEPNSK_ISF_E10value_typeEPSG_NS1_7vsmem_tEENKUlT_SE_SF_SG_E_clIS8_S8_S9_S9_EESD_ST_SE_SF_SG_EUlST_E0_NS1_11comp_targetILNS1_3genE4ELNS1_11target_archE910ELNS1_3gpuE8ELNS1_3repE0EEENS1_38merge_mergepath_config_static_selectorELNS0_4arch9wavefront6targetE0EEEvSF_
; %bb.0:
	.section	.rodata,"a",@progbits
	.p2align	6, 0x0
	.amdhsa_kernel _ZN7rocprim17ROCPRIM_400000_NS6detail17trampoline_kernelINS0_14default_configENS1_38merge_sort_block_merge_config_selectorIhNS0_10empty_typeEEEZZNS1_27merge_sort_block_merge_implIS3_PhPS5_jNS1_19radix_merge_compareILb1ELb0EhNS0_19identity_decomposerEEEEE10hipError_tT0_T1_T2_jT3_P12ihipStream_tbPNSt15iterator_traitsISE_E10value_typeEPNSK_ISF_E10value_typeEPSG_NS1_7vsmem_tEENKUlT_SE_SF_SG_E_clIS8_S8_S9_S9_EESD_ST_SE_SF_SG_EUlST_E0_NS1_11comp_targetILNS1_3genE4ELNS1_11target_archE910ELNS1_3gpuE8ELNS1_3repE0EEENS1_38merge_mergepath_config_static_selectorELNS0_4arch9wavefront6targetE0EEEvSF_
		.amdhsa_group_segment_fixed_size 0
		.amdhsa_private_segment_fixed_size 0
		.amdhsa_kernarg_size 64
		.amdhsa_user_sgpr_count 2
		.amdhsa_user_sgpr_dispatch_ptr 0
		.amdhsa_user_sgpr_queue_ptr 0
		.amdhsa_user_sgpr_kernarg_segment_ptr 1
		.amdhsa_user_sgpr_dispatch_id 0
		.amdhsa_user_sgpr_kernarg_preload_length 0
		.amdhsa_user_sgpr_kernarg_preload_offset 0
		.amdhsa_user_sgpr_private_segment_size 0
		.amdhsa_wavefront_size32 1
		.amdhsa_uses_dynamic_stack 0
		.amdhsa_enable_private_segment 0
		.amdhsa_system_sgpr_workgroup_id_x 1
		.amdhsa_system_sgpr_workgroup_id_y 0
		.amdhsa_system_sgpr_workgroup_id_z 0
		.amdhsa_system_sgpr_workgroup_info 0
		.amdhsa_system_vgpr_workitem_id 0
		.amdhsa_next_free_vgpr 1
		.amdhsa_next_free_sgpr 1
		.amdhsa_named_barrier_count 0
		.amdhsa_reserve_vcc 0
		.amdhsa_float_round_mode_32 0
		.amdhsa_float_round_mode_16_64 0
		.amdhsa_float_denorm_mode_32 3
		.amdhsa_float_denorm_mode_16_64 3
		.amdhsa_fp16_overflow 0
		.amdhsa_memory_ordered 1
		.amdhsa_forward_progress 1
		.amdhsa_inst_pref_size 0
		.amdhsa_round_robin_scheduling 0
		.amdhsa_exception_fp_ieee_invalid_op 0
		.amdhsa_exception_fp_denorm_src 0
		.amdhsa_exception_fp_ieee_div_zero 0
		.amdhsa_exception_fp_ieee_overflow 0
		.amdhsa_exception_fp_ieee_underflow 0
		.amdhsa_exception_fp_ieee_inexact 0
		.amdhsa_exception_int_div_zero 0
	.end_amdhsa_kernel
	.section	.text._ZN7rocprim17ROCPRIM_400000_NS6detail17trampoline_kernelINS0_14default_configENS1_38merge_sort_block_merge_config_selectorIhNS0_10empty_typeEEEZZNS1_27merge_sort_block_merge_implIS3_PhPS5_jNS1_19radix_merge_compareILb1ELb0EhNS0_19identity_decomposerEEEEE10hipError_tT0_T1_T2_jT3_P12ihipStream_tbPNSt15iterator_traitsISE_E10value_typeEPNSK_ISF_E10value_typeEPSG_NS1_7vsmem_tEENKUlT_SE_SF_SG_E_clIS8_S8_S9_S9_EESD_ST_SE_SF_SG_EUlST_E0_NS1_11comp_targetILNS1_3genE4ELNS1_11target_archE910ELNS1_3gpuE8ELNS1_3repE0EEENS1_38merge_mergepath_config_static_selectorELNS0_4arch9wavefront6targetE0EEEvSF_,"axG",@progbits,_ZN7rocprim17ROCPRIM_400000_NS6detail17trampoline_kernelINS0_14default_configENS1_38merge_sort_block_merge_config_selectorIhNS0_10empty_typeEEEZZNS1_27merge_sort_block_merge_implIS3_PhPS5_jNS1_19radix_merge_compareILb1ELb0EhNS0_19identity_decomposerEEEEE10hipError_tT0_T1_T2_jT3_P12ihipStream_tbPNSt15iterator_traitsISE_E10value_typeEPNSK_ISF_E10value_typeEPSG_NS1_7vsmem_tEENKUlT_SE_SF_SG_E_clIS8_S8_S9_S9_EESD_ST_SE_SF_SG_EUlST_E0_NS1_11comp_targetILNS1_3genE4ELNS1_11target_archE910ELNS1_3gpuE8ELNS1_3repE0EEENS1_38merge_mergepath_config_static_selectorELNS0_4arch9wavefront6targetE0EEEvSF_,comdat
.Lfunc_end29:
	.size	_ZN7rocprim17ROCPRIM_400000_NS6detail17trampoline_kernelINS0_14default_configENS1_38merge_sort_block_merge_config_selectorIhNS0_10empty_typeEEEZZNS1_27merge_sort_block_merge_implIS3_PhPS5_jNS1_19radix_merge_compareILb1ELb0EhNS0_19identity_decomposerEEEEE10hipError_tT0_T1_T2_jT3_P12ihipStream_tbPNSt15iterator_traitsISE_E10value_typeEPNSK_ISF_E10value_typeEPSG_NS1_7vsmem_tEENKUlT_SE_SF_SG_E_clIS8_S8_S9_S9_EESD_ST_SE_SF_SG_EUlST_E0_NS1_11comp_targetILNS1_3genE4ELNS1_11target_archE910ELNS1_3gpuE8ELNS1_3repE0EEENS1_38merge_mergepath_config_static_selectorELNS0_4arch9wavefront6targetE0EEEvSF_, .Lfunc_end29-_ZN7rocprim17ROCPRIM_400000_NS6detail17trampoline_kernelINS0_14default_configENS1_38merge_sort_block_merge_config_selectorIhNS0_10empty_typeEEEZZNS1_27merge_sort_block_merge_implIS3_PhPS5_jNS1_19radix_merge_compareILb1ELb0EhNS0_19identity_decomposerEEEEE10hipError_tT0_T1_T2_jT3_P12ihipStream_tbPNSt15iterator_traitsISE_E10value_typeEPNSK_ISF_E10value_typeEPSG_NS1_7vsmem_tEENKUlT_SE_SF_SG_E_clIS8_S8_S9_S9_EESD_ST_SE_SF_SG_EUlST_E0_NS1_11comp_targetILNS1_3genE4ELNS1_11target_archE910ELNS1_3gpuE8ELNS1_3repE0EEENS1_38merge_mergepath_config_static_selectorELNS0_4arch9wavefront6targetE0EEEvSF_
                                        ; -- End function
	.set _ZN7rocprim17ROCPRIM_400000_NS6detail17trampoline_kernelINS0_14default_configENS1_38merge_sort_block_merge_config_selectorIhNS0_10empty_typeEEEZZNS1_27merge_sort_block_merge_implIS3_PhPS5_jNS1_19radix_merge_compareILb1ELb0EhNS0_19identity_decomposerEEEEE10hipError_tT0_T1_T2_jT3_P12ihipStream_tbPNSt15iterator_traitsISE_E10value_typeEPNSK_ISF_E10value_typeEPSG_NS1_7vsmem_tEENKUlT_SE_SF_SG_E_clIS8_S8_S9_S9_EESD_ST_SE_SF_SG_EUlST_E0_NS1_11comp_targetILNS1_3genE4ELNS1_11target_archE910ELNS1_3gpuE8ELNS1_3repE0EEENS1_38merge_mergepath_config_static_selectorELNS0_4arch9wavefront6targetE0EEEvSF_.num_vgpr, 0
	.set _ZN7rocprim17ROCPRIM_400000_NS6detail17trampoline_kernelINS0_14default_configENS1_38merge_sort_block_merge_config_selectorIhNS0_10empty_typeEEEZZNS1_27merge_sort_block_merge_implIS3_PhPS5_jNS1_19radix_merge_compareILb1ELb0EhNS0_19identity_decomposerEEEEE10hipError_tT0_T1_T2_jT3_P12ihipStream_tbPNSt15iterator_traitsISE_E10value_typeEPNSK_ISF_E10value_typeEPSG_NS1_7vsmem_tEENKUlT_SE_SF_SG_E_clIS8_S8_S9_S9_EESD_ST_SE_SF_SG_EUlST_E0_NS1_11comp_targetILNS1_3genE4ELNS1_11target_archE910ELNS1_3gpuE8ELNS1_3repE0EEENS1_38merge_mergepath_config_static_selectorELNS0_4arch9wavefront6targetE0EEEvSF_.num_agpr, 0
	.set _ZN7rocprim17ROCPRIM_400000_NS6detail17trampoline_kernelINS0_14default_configENS1_38merge_sort_block_merge_config_selectorIhNS0_10empty_typeEEEZZNS1_27merge_sort_block_merge_implIS3_PhPS5_jNS1_19radix_merge_compareILb1ELb0EhNS0_19identity_decomposerEEEEE10hipError_tT0_T1_T2_jT3_P12ihipStream_tbPNSt15iterator_traitsISE_E10value_typeEPNSK_ISF_E10value_typeEPSG_NS1_7vsmem_tEENKUlT_SE_SF_SG_E_clIS8_S8_S9_S9_EESD_ST_SE_SF_SG_EUlST_E0_NS1_11comp_targetILNS1_3genE4ELNS1_11target_archE910ELNS1_3gpuE8ELNS1_3repE0EEENS1_38merge_mergepath_config_static_selectorELNS0_4arch9wavefront6targetE0EEEvSF_.numbered_sgpr, 0
	.set _ZN7rocprim17ROCPRIM_400000_NS6detail17trampoline_kernelINS0_14default_configENS1_38merge_sort_block_merge_config_selectorIhNS0_10empty_typeEEEZZNS1_27merge_sort_block_merge_implIS3_PhPS5_jNS1_19radix_merge_compareILb1ELb0EhNS0_19identity_decomposerEEEEE10hipError_tT0_T1_T2_jT3_P12ihipStream_tbPNSt15iterator_traitsISE_E10value_typeEPNSK_ISF_E10value_typeEPSG_NS1_7vsmem_tEENKUlT_SE_SF_SG_E_clIS8_S8_S9_S9_EESD_ST_SE_SF_SG_EUlST_E0_NS1_11comp_targetILNS1_3genE4ELNS1_11target_archE910ELNS1_3gpuE8ELNS1_3repE0EEENS1_38merge_mergepath_config_static_selectorELNS0_4arch9wavefront6targetE0EEEvSF_.num_named_barrier, 0
	.set _ZN7rocprim17ROCPRIM_400000_NS6detail17trampoline_kernelINS0_14default_configENS1_38merge_sort_block_merge_config_selectorIhNS0_10empty_typeEEEZZNS1_27merge_sort_block_merge_implIS3_PhPS5_jNS1_19radix_merge_compareILb1ELb0EhNS0_19identity_decomposerEEEEE10hipError_tT0_T1_T2_jT3_P12ihipStream_tbPNSt15iterator_traitsISE_E10value_typeEPNSK_ISF_E10value_typeEPSG_NS1_7vsmem_tEENKUlT_SE_SF_SG_E_clIS8_S8_S9_S9_EESD_ST_SE_SF_SG_EUlST_E0_NS1_11comp_targetILNS1_3genE4ELNS1_11target_archE910ELNS1_3gpuE8ELNS1_3repE0EEENS1_38merge_mergepath_config_static_selectorELNS0_4arch9wavefront6targetE0EEEvSF_.private_seg_size, 0
	.set _ZN7rocprim17ROCPRIM_400000_NS6detail17trampoline_kernelINS0_14default_configENS1_38merge_sort_block_merge_config_selectorIhNS0_10empty_typeEEEZZNS1_27merge_sort_block_merge_implIS3_PhPS5_jNS1_19radix_merge_compareILb1ELb0EhNS0_19identity_decomposerEEEEE10hipError_tT0_T1_T2_jT3_P12ihipStream_tbPNSt15iterator_traitsISE_E10value_typeEPNSK_ISF_E10value_typeEPSG_NS1_7vsmem_tEENKUlT_SE_SF_SG_E_clIS8_S8_S9_S9_EESD_ST_SE_SF_SG_EUlST_E0_NS1_11comp_targetILNS1_3genE4ELNS1_11target_archE910ELNS1_3gpuE8ELNS1_3repE0EEENS1_38merge_mergepath_config_static_selectorELNS0_4arch9wavefront6targetE0EEEvSF_.uses_vcc, 0
	.set _ZN7rocprim17ROCPRIM_400000_NS6detail17trampoline_kernelINS0_14default_configENS1_38merge_sort_block_merge_config_selectorIhNS0_10empty_typeEEEZZNS1_27merge_sort_block_merge_implIS3_PhPS5_jNS1_19radix_merge_compareILb1ELb0EhNS0_19identity_decomposerEEEEE10hipError_tT0_T1_T2_jT3_P12ihipStream_tbPNSt15iterator_traitsISE_E10value_typeEPNSK_ISF_E10value_typeEPSG_NS1_7vsmem_tEENKUlT_SE_SF_SG_E_clIS8_S8_S9_S9_EESD_ST_SE_SF_SG_EUlST_E0_NS1_11comp_targetILNS1_3genE4ELNS1_11target_archE910ELNS1_3gpuE8ELNS1_3repE0EEENS1_38merge_mergepath_config_static_selectorELNS0_4arch9wavefront6targetE0EEEvSF_.uses_flat_scratch, 0
	.set _ZN7rocprim17ROCPRIM_400000_NS6detail17trampoline_kernelINS0_14default_configENS1_38merge_sort_block_merge_config_selectorIhNS0_10empty_typeEEEZZNS1_27merge_sort_block_merge_implIS3_PhPS5_jNS1_19radix_merge_compareILb1ELb0EhNS0_19identity_decomposerEEEEE10hipError_tT0_T1_T2_jT3_P12ihipStream_tbPNSt15iterator_traitsISE_E10value_typeEPNSK_ISF_E10value_typeEPSG_NS1_7vsmem_tEENKUlT_SE_SF_SG_E_clIS8_S8_S9_S9_EESD_ST_SE_SF_SG_EUlST_E0_NS1_11comp_targetILNS1_3genE4ELNS1_11target_archE910ELNS1_3gpuE8ELNS1_3repE0EEENS1_38merge_mergepath_config_static_selectorELNS0_4arch9wavefront6targetE0EEEvSF_.has_dyn_sized_stack, 0
	.set _ZN7rocprim17ROCPRIM_400000_NS6detail17trampoline_kernelINS0_14default_configENS1_38merge_sort_block_merge_config_selectorIhNS0_10empty_typeEEEZZNS1_27merge_sort_block_merge_implIS3_PhPS5_jNS1_19radix_merge_compareILb1ELb0EhNS0_19identity_decomposerEEEEE10hipError_tT0_T1_T2_jT3_P12ihipStream_tbPNSt15iterator_traitsISE_E10value_typeEPNSK_ISF_E10value_typeEPSG_NS1_7vsmem_tEENKUlT_SE_SF_SG_E_clIS8_S8_S9_S9_EESD_ST_SE_SF_SG_EUlST_E0_NS1_11comp_targetILNS1_3genE4ELNS1_11target_archE910ELNS1_3gpuE8ELNS1_3repE0EEENS1_38merge_mergepath_config_static_selectorELNS0_4arch9wavefront6targetE0EEEvSF_.has_recursion, 0
	.set _ZN7rocprim17ROCPRIM_400000_NS6detail17trampoline_kernelINS0_14default_configENS1_38merge_sort_block_merge_config_selectorIhNS0_10empty_typeEEEZZNS1_27merge_sort_block_merge_implIS3_PhPS5_jNS1_19radix_merge_compareILb1ELb0EhNS0_19identity_decomposerEEEEE10hipError_tT0_T1_T2_jT3_P12ihipStream_tbPNSt15iterator_traitsISE_E10value_typeEPNSK_ISF_E10value_typeEPSG_NS1_7vsmem_tEENKUlT_SE_SF_SG_E_clIS8_S8_S9_S9_EESD_ST_SE_SF_SG_EUlST_E0_NS1_11comp_targetILNS1_3genE4ELNS1_11target_archE910ELNS1_3gpuE8ELNS1_3repE0EEENS1_38merge_mergepath_config_static_selectorELNS0_4arch9wavefront6targetE0EEEvSF_.has_indirect_call, 0
	.section	.AMDGPU.csdata,"",@progbits
; Kernel info:
; codeLenInByte = 0
; TotalNumSgprs: 0
; NumVgprs: 0
; ScratchSize: 0
; MemoryBound: 0
; FloatMode: 240
; IeeeMode: 1
; LDSByteSize: 0 bytes/workgroup (compile time only)
; SGPRBlocks: 0
; VGPRBlocks: 0
; NumSGPRsForWavesPerEU: 1
; NumVGPRsForWavesPerEU: 1
; NamedBarCnt: 0
; Occupancy: 16
; WaveLimiterHint : 0
; COMPUTE_PGM_RSRC2:SCRATCH_EN: 0
; COMPUTE_PGM_RSRC2:USER_SGPR: 2
; COMPUTE_PGM_RSRC2:TRAP_HANDLER: 0
; COMPUTE_PGM_RSRC2:TGID_X_EN: 1
; COMPUTE_PGM_RSRC2:TGID_Y_EN: 0
; COMPUTE_PGM_RSRC2:TGID_Z_EN: 0
; COMPUTE_PGM_RSRC2:TIDIG_COMP_CNT: 0
	.section	.text._ZN7rocprim17ROCPRIM_400000_NS6detail17trampoline_kernelINS0_14default_configENS1_38merge_sort_block_merge_config_selectorIhNS0_10empty_typeEEEZZNS1_27merge_sort_block_merge_implIS3_PhPS5_jNS1_19radix_merge_compareILb1ELb0EhNS0_19identity_decomposerEEEEE10hipError_tT0_T1_T2_jT3_P12ihipStream_tbPNSt15iterator_traitsISE_E10value_typeEPNSK_ISF_E10value_typeEPSG_NS1_7vsmem_tEENKUlT_SE_SF_SG_E_clIS8_S8_S9_S9_EESD_ST_SE_SF_SG_EUlST_E0_NS1_11comp_targetILNS1_3genE3ELNS1_11target_archE908ELNS1_3gpuE7ELNS1_3repE0EEENS1_38merge_mergepath_config_static_selectorELNS0_4arch9wavefront6targetE0EEEvSF_,"axG",@progbits,_ZN7rocprim17ROCPRIM_400000_NS6detail17trampoline_kernelINS0_14default_configENS1_38merge_sort_block_merge_config_selectorIhNS0_10empty_typeEEEZZNS1_27merge_sort_block_merge_implIS3_PhPS5_jNS1_19radix_merge_compareILb1ELb0EhNS0_19identity_decomposerEEEEE10hipError_tT0_T1_T2_jT3_P12ihipStream_tbPNSt15iterator_traitsISE_E10value_typeEPNSK_ISF_E10value_typeEPSG_NS1_7vsmem_tEENKUlT_SE_SF_SG_E_clIS8_S8_S9_S9_EESD_ST_SE_SF_SG_EUlST_E0_NS1_11comp_targetILNS1_3genE3ELNS1_11target_archE908ELNS1_3gpuE7ELNS1_3repE0EEENS1_38merge_mergepath_config_static_selectorELNS0_4arch9wavefront6targetE0EEEvSF_,comdat
	.protected	_ZN7rocprim17ROCPRIM_400000_NS6detail17trampoline_kernelINS0_14default_configENS1_38merge_sort_block_merge_config_selectorIhNS0_10empty_typeEEEZZNS1_27merge_sort_block_merge_implIS3_PhPS5_jNS1_19radix_merge_compareILb1ELb0EhNS0_19identity_decomposerEEEEE10hipError_tT0_T1_T2_jT3_P12ihipStream_tbPNSt15iterator_traitsISE_E10value_typeEPNSK_ISF_E10value_typeEPSG_NS1_7vsmem_tEENKUlT_SE_SF_SG_E_clIS8_S8_S9_S9_EESD_ST_SE_SF_SG_EUlST_E0_NS1_11comp_targetILNS1_3genE3ELNS1_11target_archE908ELNS1_3gpuE7ELNS1_3repE0EEENS1_38merge_mergepath_config_static_selectorELNS0_4arch9wavefront6targetE0EEEvSF_ ; -- Begin function _ZN7rocprim17ROCPRIM_400000_NS6detail17trampoline_kernelINS0_14default_configENS1_38merge_sort_block_merge_config_selectorIhNS0_10empty_typeEEEZZNS1_27merge_sort_block_merge_implIS3_PhPS5_jNS1_19radix_merge_compareILb1ELb0EhNS0_19identity_decomposerEEEEE10hipError_tT0_T1_T2_jT3_P12ihipStream_tbPNSt15iterator_traitsISE_E10value_typeEPNSK_ISF_E10value_typeEPSG_NS1_7vsmem_tEENKUlT_SE_SF_SG_E_clIS8_S8_S9_S9_EESD_ST_SE_SF_SG_EUlST_E0_NS1_11comp_targetILNS1_3genE3ELNS1_11target_archE908ELNS1_3gpuE7ELNS1_3repE0EEENS1_38merge_mergepath_config_static_selectorELNS0_4arch9wavefront6targetE0EEEvSF_
	.globl	_ZN7rocprim17ROCPRIM_400000_NS6detail17trampoline_kernelINS0_14default_configENS1_38merge_sort_block_merge_config_selectorIhNS0_10empty_typeEEEZZNS1_27merge_sort_block_merge_implIS3_PhPS5_jNS1_19radix_merge_compareILb1ELb0EhNS0_19identity_decomposerEEEEE10hipError_tT0_T1_T2_jT3_P12ihipStream_tbPNSt15iterator_traitsISE_E10value_typeEPNSK_ISF_E10value_typeEPSG_NS1_7vsmem_tEENKUlT_SE_SF_SG_E_clIS8_S8_S9_S9_EESD_ST_SE_SF_SG_EUlST_E0_NS1_11comp_targetILNS1_3genE3ELNS1_11target_archE908ELNS1_3gpuE7ELNS1_3repE0EEENS1_38merge_mergepath_config_static_selectorELNS0_4arch9wavefront6targetE0EEEvSF_
	.p2align	8
	.type	_ZN7rocprim17ROCPRIM_400000_NS6detail17trampoline_kernelINS0_14default_configENS1_38merge_sort_block_merge_config_selectorIhNS0_10empty_typeEEEZZNS1_27merge_sort_block_merge_implIS3_PhPS5_jNS1_19radix_merge_compareILb1ELb0EhNS0_19identity_decomposerEEEEE10hipError_tT0_T1_T2_jT3_P12ihipStream_tbPNSt15iterator_traitsISE_E10value_typeEPNSK_ISF_E10value_typeEPSG_NS1_7vsmem_tEENKUlT_SE_SF_SG_E_clIS8_S8_S9_S9_EESD_ST_SE_SF_SG_EUlST_E0_NS1_11comp_targetILNS1_3genE3ELNS1_11target_archE908ELNS1_3gpuE7ELNS1_3repE0EEENS1_38merge_mergepath_config_static_selectorELNS0_4arch9wavefront6targetE0EEEvSF_,@function
_ZN7rocprim17ROCPRIM_400000_NS6detail17trampoline_kernelINS0_14default_configENS1_38merge_sort_block_merge_config_selectorIhNS0_10empty_typeEEEZZNS1_27merge_sort_block_merge_implIS3_PhPS5_jNS1_19radix_merge_compareILb1ELb0EhNS0_19identity_decomposerEEEEE10hipError_tT0_T1_T2_jT3_P12ihipStream_tbPNSt15iterator_traitsISE_E10value_typeEPNSK_ISF_E10value_typeEPSG_NS1_7vsmem_tEENKUlT_SE_SF_SG_E_clIS8_S8_S9_S9_EESD_ST_SE_SF_SG_EUlST_E0_NS1_11comp_targetILNS1_3genE3ELNS1_11target_archE908ELNS1_3gpuE7ELNS1_3repE0EEENS1_38merge_mergepath_config_static_selectorELNS0_4arch9wavefront6targetE0EEEvSF_: ; @_ZN7rocprim17ROCPRIM_400000_NS6detail17trampoline_kernelINS0_14default_configENS1_38merge_sort_block_merge_config_selectorIhNS0_10empty_typeEEEZZNS1_27merge_sort_block_merge_implIS3_PhPS5_jNS1_19radix_merge_compareILb1ELb0EhNS0_19identity_decomposerEEEEE10hipError_tT0_T1_T2_jT3_P12ihipStream_tbPNSt15iterator_traitsISE_E10value_typeEPNSK_ISF_E10value_typeEPSG_NS1_7vsmem_tEENKUlT_SE_SF_SG_E_clIS8_S8_S9_S9_EESD_ST_SE_SF_SG_EUlST_E0_NS1_11comp_targetILNS1_3genE3ELNS1_11target_archE908ELNS1_3gpuE7ELNS1_3repE0EEENS1_38merge_mergepath_config_static_selectorELNS0_4arch9wavefront6targetE0EEEvSF_
; %bb.0:
	.section	.rodata,"a",@progbits
	.p2align	6, 0x0
	.amdhsa_kernel _ZN7rocprim17ROCPRIM_400000_NS6detail17trampoline_kernelINS0_14default_configENS1_38merge_sort_block_merge_config_selectorIhNS0_10empty_typeEEEZZNS1_27merge_sort_block_merge_implIS3_PhPS5_jNS1_19radix_merge_compareILb1ELb0EhNS0_19identity_decomposerEEEEE10hipError_tT0_T1_T2_jT3_P12ihipStream_tbPNSt15iterator_traitsISE_E10value_typeEPNSK_ISF_E10value_typeEPSG_NS1_7vsmem_tEENKUlT_SE_SF_SG_E_clIS8_S8_S9_S9_EESD_ST_SE_SF_SG_EUlST_E0_NS1_11comp_targetILNS1_3genE3ELNS1_11target_archE908ELNS1_3gpuE7ELNS1_3repE0EEENS1_38merge_mergepath_config_static_selectorELNS0_4arch9wavefront6targetE0EEEvSF_
		.amdhsa_group_segment_fixed_size 0
		.amdhsa_private_segment_fixed_size 0
		.amdhsa_kernarg_size 64
		.amdhsa_user_sgpr_count 2
		.amdhsa_user_sgpr_dispatch_ptr 0
		.amdhsa_user_sgpr_queue_ptr 0
		.amdhsa_user_sgpr_kernarg_segment_ptr 1
		.amdhsa_user_sgpr_dispatch_id 0
		.amdhsa_user_sgpr_kernarg_preload_length 0
		.amdhsa_user_sgpr_kernarg_preload_offset 0
		.amdhsa_user_sgpr_private_segment_size 0
		.amdhsa_wavefront_size32 1
		.amdhsa_uses_dynamic_stack 0
		.amdhsa_enable_private_segment 0
		.amdhsa_system_sgpr_workgroup_id_x 1
		.amdhsa_system_sgpr_workgroup_id_y 0
		.amdhsa_system_sgpr_workgroup_id_z 0
		.amdhsa_system_sgpr_workgroup_info 0
		.amdhsa_system_vgpr_workitem_id 0
		.amdhsa_next_free_vgpr 1
		.amdhsa_next_free_sgpr 1
		.amdhsa_named_barrier_count 0
		.amdhsa_reserve_vcc 0
		.amdhsa_float_round_mode_32 0
		.amdhsa_float_round_mode_16_64 0
		.amdhsa_float_denorm_mode_32 3
		.amdhsa_float_denorm_mode_16_64 3
		.amdhsa_fp16_overflow 0
		.amdhsa_memory_ordered 1
		.amdhsa_forward_progress 1
		.amdhsa_inst_pref_size 0
		.amdhsa_round_robin_scheduling 0
		.amdhsa_exception_fp_ieee_invalid_op 0
		.amdhsa_exception_fp_denorm_src 0
		.amdhsa_exception_fp_ieee_div_zero 0
		.amdhsa_exception_fp_ieee_overflow 0
		.amdhsa_exception_fp_ieee_underflow 0
		.amdhsa_exception_fp_ieee_inexact 0
		.amdhsa_exception_int_div_zero 0
	.end_amdhsa_kernel
	.section	.text._ZN7rocprim17ROCPRIM_400000_NS6detail17trampoline_kernelINS0_14default_configENS1_38merge_sort_block_merge_config_selectorIhNS0_10empty_typeEEEZZNS1_27merge_sort_block_merge_implIS3_PhPS5_jNS1_19radix_merge_compareILb1ELb0EhNS0_19identity_decomposerEEEEE10hipError_tT0_T1_T2_jT3_P12ihipStream_tbPNSt15iterator_traitsISE_E10value_typeEPNSK_ISF_E10value_typeEPSG_NS1_7vsmem_tEENKUlT_SE_SF_SG_E_clIS8_S8_S9_S9_EESD_ST_SE_SF_SG_EUlST_E0_NS1_11comp_targetILNS1_3genE3ELNS1_11target_archE908ELNS1_3gpuE7ELNS1_3repE0EEENS1_38merge_mergepath_config_static_selectorELNS0_4arch9wavefront6targetE0EEEvSF_,"axG",@progbits,_ZN7rocprim17ROCPRIM_400000_NS6detail17trampoline_kernelINS0_14default_configENS1_38merge_sort_block_merge_config_selectorIhNS0_10empty_typeEEEZZNS1_27merge_sort_block_merge_implIS3_PhPS5_jNS1_19radix_merge_compareILb1ELb0EhNS0_19identity_decomposerEEEEE10hipError_tT0_T1_T2_jT3_P12ihipStream_tbPNSt15iterator_traitsISE_E10value_typeEPNSK_ISF_E10value_typeEPSG_NS1_7vsmem_tEENKUlT_SE_SF_SG_E_clIS8_S8_S9_S9_EESD_ST_SE_SF_SG_EUlST_E0_NS1_11comp_targetILNS1_3genE3ELNS1_11target_archE908ELNS1_3gpuE7ELNS1_3repE0EEENS1_38merge_mergepath_config_static_selectorELNS0_4arch9wavefront6targetE0EEEvSF_,comdat
.Lfunc_end30:
	.size	_ZN7rocprim17ROCPRIM_400000_NS6detail17trampoline_kernelINS0_14default_configENS1_38merge_sort_block_merge_config_selectorIhNS0_10empty_typeEEEZZNS1_27merge_sort_block_merge_implIS3_PhPS5_jNS1_19radix_merge_compareILb1ELb0EhNS0_19identity_decomposerEEEEE10hipError_tT0_T1_T2_jT3_P12ihipStream_tbPNSt15iterator_traitsISE_E10value_typeEPNSK_ISF_E10value_typeEPSG_NS1_7vsmem_tEENKUlT_SE_SF_SG_E_clIS8_S8_S9_S9_EESD_ST_SE_SF_SG_EUlST_E0_NS1_11comp_targetILNS1_3genE3ELNS1_11target_archE908ELNS1_3gpuE7ELNS1_3repE0EEENS1_38merge_mergepath_config_static_selectorELNS0_4arch9wavefront6targetE0EEEvSF_, .Lfunc_end30-_ZN7rocprim17ROCPRIM_400000_NS6detail17trampoline_kernelINS0_14default_configENS1_38merge_sort_block_merge_config_selectorIhNS0_10empty_typeEEEZZNS1_27merge_sort_block_merge_implIS3_PhPS5_jNS1_19radix_merge_compareILb1ELb0EhNS0_19identity_decomposerEEEEE10hipError_tT0_T1_T2_jT3_P12ihipStream_tbPNSt15iterator_traitsISE_E10value_typeEPNSK_ISF_E10value_typeEPSG_NS1_7vsmem_tEENKUlT_SE_SF_SG_E_clIS8_S8_S9_S9_EESD_ST_SE_SF_SG_EUlST_E0_NS1_11comp_targetILNS1_3genE3ELNS1_11target_archE908ELNS1_3gpuE7ELNS1_3repE0EEENS1_38merge_mergepath_config_static_selectorELNS0_4arch9wavefront6targetE0EEEvSF_
                                        ; -- End function
	.set _ZN7rocprim17ROCPRIM_400000_NS6detail17trampoline_kernelINS0_14default_configENS1_38merge_sort_block_merge_config_selectorIhNS0_10empty_typeEEEZZNS1_27merge_sort_block_merge_implIS3_PhPS5_jNS1_19radix_merge_compareILb1ELb0EhNS0_19identity_decomposerEEEEE10hipError_tT0_T1_T2_jT3_P12ihipStream_tbPNSt15iterator_traitsISE_E10value_typeEPNSK_ISF_E10value_typeEPSG_NS1_7vsmem_tEENKUlT_SE_SF_SG_E_clIS8_S8_S9_S9_EESD_ST_SE_SF_SG_EUlST_E0_NS1_11comp_targetILNS1_3genE3ELNS1_11target_archE908ELNS1_3gpuE7ELNS1_3repE0EEENS1_38merge_mergepath_config_static_selectorELNS0_4arch9wavefront6targetE0EEEvSF_.num_vgpr, 0
	.set _ZN7rocprim17ROCPRIM_400000_NS6detail17trampoline_kernelINS0_14default_configENS1_38merge_sort_block_merge_config_selectorIhNS0_10empty_typeEEEZZNS1_27merge_sort_block_merge_implIS3_PhPS5_jNS1_19radix_merge_compareILb1ELb0EhNS0_19identity_decomposerEEEEE10hipError_tT0_T1_T2_jT3_P12ihipStream_tbPNSt15iterator_traitsISE_E10value_typeEPNSK_ISF_E10value_typeEPSG_NS1_7vsmem_tEENKUlT_SE_SF_SG_E_clIS8_S8_S9_S9_EESD_ST_SE_SF_SG_EUlST_E0_NS1_11comp_targetILNS1_3genE3ELNS1_11target_archE908ELNS1_3gpuE7ELNS1_3repE0EEENS1_38merge_mergepath_config_static_selectorELNS0_4arch9wavefront6targetE0EEEvSF_.num_agpr, 0
	.set _ZN7rocprim17ROCPRIM_400000_NS6detail17trampoline_kernelINS0_14default_configENS1_38merge_sort_block_merge_config_selectorIhNS0_10empty_typeEEEZZNS1_27merge_sort_block_merge_implIS3_PhPS5_jNS1_19radix_merge_compareILb1ELb0EhNS0_19identity_decomposerEEEEE10hipError_tT0_T1_T2_jT3_P12ihipStream_tbPNSt15iterator_traitsISE_E10value_typeEPNSK_ISF_E10value_typeEPSG_NS1_7vsmem_tEENKUlT_SE_SF_SG_E_clIS8_S8_S9_S9_EESD_ST_SE_SF_SG_EUlST_E0_NS1_11comp_targetILNS1_3genE3ELNS1_11target_archE908ELNS1_3gpuE7ELNS1_3repE0EEENS1_38merge_mergepath_config_static_selectorELNS0_4arch9wavefront6targetE0EEEvSF_.numbered_sgpr, 0
	.set _ZN7rocprim17ROCPRIM_400000_NS6detail17trampoline_kernelINS0_14default_configENS1_38merge_sort_block_merge_config_selectorIhNS0_10empty_typeEEEZZNS1_27merge_sort_block_merge_implIS3_PhPS5_jNS1_19radix_merge_compareILb1ELb0EhNS0_19identity_decomposerEEEEE10hipError_tT0_T1_T2_jT3_P12ihipStream_tbPNSt15iterator_traitsISE_E10value_typeEPNSK_ISF_E10value_typeEPSG_NS1_7vsmem_tEENKUlT_SE_SF_SG_E_clIS8_S8_S9_S9_EESD_ST_SE_SF_SG_EUlST_E0_NS1_11comp_targetILNS1_3genE3ELNS1_11target_archE908ELNS1_3gpuE7ELNS1_3repE0EEENS1_38merge_mergepath_config_static_selectorELNS0_4arch9wavefront6targetE0EEEvSF_.num_named_barrier, 0
	.set _ZN7rocprim17ROCPRIM_400000_NS6detail17trampoline_kernelINS0_14default_configENS1_38merge_sort_block_merge_config_selectorIhNS0_10empty_typeEEEZZNS1_27merge_sort_block_merge_implIS3_PhPS5_jNS1_19radix_merge_compareILb1ELb0EhNS0_19identity_decomposerEEEEE10hipError_tT0_T1_T2_jT3_P12ihipStream_tbPNSt15iterator_traitsISE_E10value_typeEPNSK_ISF_E10value_typeEPSG_NS1_7vsmem_tEENKUlT_SE_SF_SG_E_clIS8_S8_S9_S9_EESD_ST_SE_SF_SG_EUlST_E0_NS1_11comp_targetILNS1_3genE3ELNS1_11target_archE908ELNS1_3gpuE7ELNS1_3repE0EEENS1_38merge_mergepath_config_static_selectorELNS0_4arch9wavefront6targetE0EEEvSF_.private_seg_size, 0
	.set _ZN7rocprim17ROCPRIM_400000_NS6detail17trampoline_kernelINS0_14default_configENS1_38merge_sort_block_merge_config_selectorIhNS0_10empty_typeEEEZZNS1_27merge_sort_block_merge_implIS3_PhPS5_jNS1_19radix_merge_compareILb1ELb0EhNS0_19identity_decomposerEEEEE10hipError_tT0_T1_T2_jT3_P12ihipStream_tbPNSt15iterator_traitsISE_E10value_typeEPNSK_ISF_E10value_typeEPSG_NS1_7vsmem_tEENKUlT_SE_SF_SG_E_clIS8_S8_S9_S9_EESD_ST_SE_SF_SG_EUlST_E0_NS1_11comp_targetILNS1_3genE3ELNS1_11target_archE908ELNS1_3gpuE7ELNS1_3repE0EEENS1_38merge_mergepath_config_static_selectorELNS0_4arch9wavefront6targetE0EEEvSF_.uses_vcc, 0
	.set _ZN7rocprim17ROCPRIM_400000_NS6detail17trampoline_kernelINS0_14default_configENS1_38merge_sort_block_merge_config_selectorIhNS0_10empty_typeEEEZZNS1_27merge_sort_block_merge_implIS3_PhPS5_jNS1_19radix_merge_compareILb1ELb0EhNS0_19identity_decomposerEEEEE10hipError_tT0_T1_T2_jT3_P12ihipStream_tbPNSt15iterator_traitsISE_E10value_typeEPNSK_ISF_E10value_typeEPSG_NS1_7vsmem_tEENKUlT_SE_SF_SG_E_clIS8_S8_S9_S9_EESD_ST_SE_SF_SG_EUlST_E0_NS1_11comp_targetILNS1_3genE3ELNS1_11target_archE908ELNS1_3gpuE7ELNS1_3repE0EEENS1_38merge_mergepath_config_static_selectorELNS0_4arch9wavefront6targetE0EEEvSF_.uses_flat_scratch, 0
	.set _ZN7rocprim17ROCPRIM_400000_NS6detail17trampoline_kernelINS0_14default_configENS1_38merge_sort_block_merge_config_selectorIhNS0_10empty_typeEEEZZNS1_27merge_sort_block_merge_implIS3_PhPS5_jNS1_19radix_merge_compareILb1ELb0EhNS0_19identity_decomposerEEEEE10hipError_tT0_T1_T2_jT3_P12ihipStream_tbPNSt15iterator_traitsISE_E10value_typeEPNSK_ISF_E10value_typeEPSG_NS1_7vsmem_tEENKUlT_SE_SF_SG_E_clIS8_S8_S9_S9_EESD_ST_SE_SF_SG_EUlST_E0_NS1_11comp_targetILNS1_3genE3ELNS1_11target_archE908ELNS1_3gpuE7ELNS1_3repE0EEENS1_38merge_mergepath_config_static_selectorELNS0_4arch9wavefront6targetE0EEEvSF_.has_dyn_sized_stack, 0
	.set _ZN7rocprim17ROCPRIM_400000_NS6detail17trampoline_kernelINS0_14default_configENS1_38merge_sort_block_merge_config_selectorIhNS0_10empty_typeEEEZZNS1_27merge_sort_block_merge_implIS3_PhPS5_jNS1_19radix_merge_compareILb1ELb0EhNS0_19identity_decomposerEEEEE10hipError_tT0_T1_T2_jT3_P12ihipStream_tbPNSt15iterator_traitsISE_E10value_typeEPNSK_ISF_E10value_typeEPSG_NS1_7vsmem_tEENKUlT_SE_SF_SG_E_clIS8_S8_S9_S9_EESD_ST_SE_SF_SG_EUlST_E0_NS1_11comp_targetILNS1_3genE3ELNS1_11target_archE908ELNS1_3gpuE7ELNS1_3repE0EEENS1_38merge_mergepath_config_static_selectorELNS0_4arch9wavefront6targetE0EEEvSF_.has_recursion, 0
	.set _ZN7rocprim17ROCPRIM_400000_NS6detail17trampoline_kernelINS0_14default_configENS1_38merge_sort_block_merge_config_selectorIhNS0_10empty_typeEEEZZNS1_27merge_sort_block_merge_implIS3_PhPS5_jNS1_19radix_merge_compareILb1ELb0EhNS0_19identity_decomposerEEEEE10hipError_tT0_T1_T2_jT3_P12ihipStream_tbPNSt15iterator_traitsISE_E10value_typeEPNSK_ISF_E10value_typeEPSG_NS1_7vsmem_tEENKUlT_SE_SF_SG_E_clIS8_S8_S9_S9_EESD_ST_SE_SF_SG_EUlST_E0_NS1_11comp_targetILNS1_3genE3ELNS1_11target_archE908ELNS1_3gpuE7ELNS1_3repE0EEENS1_38merge_mergepath_config_static_selectorELNS0_4arch9wavefront6targetE0EEEvSF_.has_indirect_call, 0
	.section	.AMDGPU.csdata,"",@progbits
; Kernel info:
; codeLenInByte = 0
; TotalNumSgprs: 0
; NumVgprs: 0
; ScratchSize: 0
; MemoryBound: 0
; FloatMode: 240
; IeeeMode: 1
; LDSByteSize: 0 bytes/workgroup (compile time only)
; SGPRBlocks: 0
; VGPRBlocks: 0
; NumSGPRsForWavesPerEU: 1
; NumVGPRsForWavesPerEU: 1
; NamedBarCnt: 0
; Occupancy: 16
; WaveLimiterHint : 0
; COMPUTE_PGM_RSRC2:SCRATCH_EN: 0
; COMPUTE_PGM_RSRC2:USER_SGPR: 2
; COMPUTE_PGM_RSRC2:TRAP_HANDLER: 0
; COMPUTE_PGM_RSRC2:TGID_X_EN: 1
; COMPUTE_PGM_RSRC2:TGID_Y_EN: 0
; COMPUTE_PGM_RSRC2:TGID_Z_EN: 0
; COMPUTE_PGM_RSRC2:TIDIG_COMP_CNT: 0
	.section	.text._ZN7rocprim17ROCPRIM_400000_NS6detail17trampoline_kernelINS0_14default_configENS1_38merge_sort_block_merge_config_selectorIhNS0_10empty_typeEEEZZNS1_27merge_sort_block_merge_implIS3_PhPS5_jNS1_19radix_merge_compareILb1ELb0EhNS0_19identity_decomposerEEEEE10hipError_tT0_T1_T2_jT3_P12ihipStream_tbPNSt15iterator_traitsISE_E10value_typeEPNSK_ISF_E10value_typeEPSG_NS1_7vsmem_tEENKUlT_SE_SF_SG_E_clIS8_S8_S9_S9_EESD_ST_SE_SF_SG_EUlST_E0_NS1_11comp_targetILNS1_3genE2ELNS1_11target_archE906ELNS1_3gpuE6ELNS1_3repE0EEENS1_38merge_mergepath_config_static_selectorELNS0_4arch9wavefront6targetE0EEEvSF_,"axG",@progbits,_ZN7rocprim17ROCPRIM_400000_NS6detail17trampoline_kernelINS0_14default_configENS1_38merge_sort_block_merge_config_selectorIhNS0_10empty_typeEEEZZNS1_27merge_sort_block_merge_implIS3_PhPS5_jNS1_19radix_merge_compareILb1ELb0EhNS0_19identity_decomposerEEEEE10hipError_tT0_T1_T2_jT3_P12ihipStream_tbPNSt15iterator_traitsISE_E10value_typeEPNSK_ISF_E10value_typeEPSG_NS1_7vsmem_tEENKUlT_SE_SF_SG_E_clIS8_S8_S9_S9_EESD_ST_SE_SF_SG_EUlST_E0_NS1_11comp_targetILNS1_3genE2ELNS1_11target_archE906ELNS1_3gpuE6ELNS1_3repE0EEENS1_38merge_mergepath_config_static_selectorELNS0_4arch9wavefront6targetE0EEEvSF_,comdat
	.protected	_ZN7rocprim17ROCPRIM_400000_NS6detail17trampoline_kernelINS0_14default_configENS1_38merge_sort_block_merge_config_selectorIhNS0_10empty_typeEEEZZNS1_27merge_sort_block_merge_implIS3_PhPS5_jNS1_19radix_merge_compareILb1ELb0EhNS0_19identity_decomposerEEEEE10hipError_tT0_T1_T2_jT3_P12ihipStream_tbPNSt15iterator_traitsISE_E10value_typeEPNSK_ISF_E10value_typeEPSG_NS1_7vsmem_tEENKUlT_SE_SF_SG_E_clIS8_S8_S9_S9_EESD_ST_SE_SF_SG_EUlST_E0_NS1_11comp_targetILNS1_3genE2ELNS1_11target_archE906ELNS1_3gpuE6ELNS1_3repE0EEENS1_38merge_mergepath_config_static_selectorELNS0_4arch9wavefront6targetE0EEEvSF_ ; -- Begin function _ZN7rocprim17ROCPRIM_400000_NS6detail17trampoline_kernelINS0_14default_configENS1_38merge_sort_block_merge_config_selectorIhNS0_10empty_typeEEEZZNS1_27merge_sort_block_merge_implIS3_PhPS5_jNS1_19radix_merge_compareILb1ELb0EhNS0_19identity_decomposerEEEEE10hipError_tT0_T1_T2_jT3_P12ihipStream_tbPNSt15iterator_traitsISE_E10value_typeEPNSK_ISF_E10value_typeEPSG_NS1_7vsmem_tEENKUlT_SE_SF_SG_E_clIS8_S8_S9_S9_EESD_ST_SE_SF_SG_EUlST_E0_NS1_11comp_targetILNS1_3genE2ELNS1_11target_archE906ELNS1_3gpuE6ELNS1_3repE0EEENS1_38merge_mergepath_config_static_selectorELNS0_4arch9wavefront6targetE0EEEvSF_
	.globl	_ZN7rocprim17ROCPRIM_400000_NS6detail17trampoline_kernelINS0_14default_configENS1_38merge_sort_block_merge_config_selectorIhNS0_10empty_typeEEEZZNS1_27merge_sort_block_merge_implIS3_PhPS5_jNS1_19radix_merge_compareILb1ELb0EhNS0_19identity_decomposerEEEEE10hipError_tT0_T1_T2_jT3_P12ihipStream_tbPNSt15iterator_traitsISE_E10value_typeEPNSK_ISF_E10value_typeEPSG_NS1_7vsmem_tEENKUlT_SE_SF_SG_E_clIS8_S8_S9_S9_EESD_ST_SE_SF_SG_EUlST_E0_NS1_11comp_targetILNS1_3genE2ELNS1_11target_archE906ELNS1_3gpuE6ELNS1_3repE0EEENS1_38merge_mergepath_config_static_selectorELNS0_4arch9wavefront6targetE0EEEvSF_
	.p2align	8
	.type	_ZN7rocprim17ROCPRIM_400000_NS6detail17trampoline_kernelINS0_14default_configENS1_38merge_sort_block_merge_config_selectorIhNS0_10empty_typeEEEZZNS1_27merge_sort_block_merge_implIS3_PhPS5_jNS1_19radix_merge_compareILb1ELb0EhNS0_19identity_decomposerEEEEE10hipError_tT0_T1_T2_jT3_P12ihipStream_tbPNSt15iterator_traitsISE_E10value_typeEPNSK_ISF_E10value_typeEPSG_NS1_7vsmem_tEENKUlT_SE_SF_SG_E_clIS8_S8_S9_S9_EESD_ST_SE_SF_SG_EUlST_E0_NS1_11comp_targetILNS1_3genE2ELNS1_11target_archE906ELNS1_3gpuE6ELNS1_3repE0EEENS1_38merge_mergepath_config_static_selectorELNS0_4arch9wavefront6targetE0EEEvSF_,@function
_ZN7rocprim17ROCPRIM_400000_NS6detail17trampoline_kernelINS0_14default_configENS1_38merge_sort_block_merge_config_selectorIhNS0_10empty_typeEEEZZNS1_27merge_sort_block_merge_implIS3_PhPS5_jNS1_19radix_merge_compareILb1ELb0EhNS0_19identity_decomposerEEEEE10hipError_tT0_T1_T2_jT3_P12ihipStream_tbPNSt15iterator_traitsISE_E10value_typeEPNSK_ISF_E10value_typeEPSG_NS1_7vsmem_tEENKUlT_SE_SF_SG_E_clIS8_S8_S9_S9_EESD_ST_SE_SF_SG_EUlST_E0_NS1_11comp_targetILNS1_3genE2ELNS1_11target_archE906ELNS1_3gpuE6ELNS1_3repE0EEENS1_38merge_mergepath_config_static_selectorELNS0_4arch9wavefront6targetE0EEEvSF_: ; @_ZN7rocprim17ROCPRIM_400000_NS6detail17trampoline_kernelINS0_14default_configENS1_38merge_sort_block_merge_config_selectorIhNS0_10empty_typeEEEZZNS1_27merge_sort_block_merge_implIS3_PhPS5_jNS1_19radix_merge_compareILb1ELb0EhNS0_19identity_decomposerEEEEE10hipError_tT0_T1_T2_jT3_P12ihipStream_tbPNSt15iterator_traitsISE_E10value_typeEPNSK_ISF_E10value_typeEPSG_NS1_7vsmem_tEENKUlT_SE_SF_SG_E_clIS8_S8_S9_S9_EESD_ST_SE_SF_SG_EUlST_E0_NS1_11comp_targetILNS1_3genE2ELNS1_11target_archE906ELNS1_3gpuE6ELNS1_3repE0EEENS1_38merge_mergepath_config_static_selectorELNS0_4arch9wavefront6targetE0EEEvSF_
; %bb.0:
	.section	.rodata,"a",@progbits
	.p2align	6, 0x0
	.amdhsa_kernel _ZN7rocprim17ROCPRIM_400000_NS6detail17trampoline_kernelINS0_14default_configENS1_38merge_sort_block_merge_config_selectorIhNS0_10empty_typeEEEZZNS1_27merge_sort_block_merge_implIS3_PhPS5_jNS1_19radix_merge_compareILb1ELb0EhNS0_19identity_decomposerEEEEE10hipError_tT0_T1_T2_jT3_P12ihipStream_tbPNSt15iterator_traitsISE_E10value_typeEPNSK_ISF_E10value_typeEPSG_NS1_7vsmem_tEENKUlT_SE_SF_SG_E_clIS8_S8_S9_S9_EESD_ST_SE_SF_SG_EUlST_E0_NS1_11comp_targetILNS1_3genE2ELNS1_11target_archE906ELNS1_3gpuE6ELNS1_3repE0EEENS1_38merge_mergepath_config_static_selectorELNS0_4arch9wavefront6targetE0EEEvSF_
		.amdhsa_group_segment_fixed_size 0
		.amdhsa_private_segment_fixed_size 0
		.amdhsa_kernarg_size 64
		.amdhsa_user_sgpr_count 2
		.amdhsa_user_sgpr_dispatch_ptr 0
		.amdhsa_user_sgpr_queue_ptr 0
		.amdhsa_user_sgpr_kernarg_segment_ptr 1
		.amdhsa_user_sgpr_dispatch_id 0
		.amdhsa_user_sgpr_kernarg_preload_length 0
		.amdhsa_user_sgpr_kernarg_preload_offset 0
		.amdhsa_user_sgpr_private_segment_size 0
		.amdhsa_wavefront_size32 1
		.amdhsa_uses_dynamic_stack 0
		.amdhsa_enable_private_segment 0
		.amdhsa_system_sgpr_workgroup_id_x 1
		.amdhsa_system_sgpr_workgroup_id_y 0
		.amdhsa_system_sgpr_workgroup_id_z 0
		.amdhsa_system_sgpr_workgroup_info 0
		.amdhsa_system_vgpr_workitem_id 0
		.amdhsa_next_free_vgpr 1
		.amdhsa_next_free_sgpr 1
		.amdhsa_named_barrier_count 0
		.amdhsa_reserve_vcc 0
		.amdhsa_float_round_mode_32 0
		.amdhsa_float_round_mode_16_64 0
		.amdhsa_float_denorm_mode_32 3
		.amdhsa_float_denorm_mode_16_64 3
		.amdhsa_fp16_overflow 0
		.amdhsa_memory_ordered 1
		.amdhsa_forward_progress 1
		.amdhsa_inst_pref_size 0
		.amdhsa_round_robin_scheduling 0
		.amdhsa_exception_fp_ieee_invalid_op 0
		.amdhsa_exception_fp_denorm_src 0
		.amdhsa_exception_fp_ieee_div_zero 0
		.amdhsa_exception_fp_ieee_overflow 0
		.amdhsa_exception_fp_ieee_underflow 0
		.amdhsa_exception_fp_ieee_inexact 0
		.amdhsa_exception_int_div_zero 0
	.end_amdhsa_kernel
	.section	.text._ZN7rocprim17ROCPRIM_400000_NS6detail17trampoline_kernelINS0_14default_configENS1_38merge_sort_block_merge_config_selectorIhNS0_10empty_typeEEEZZNS1_27merge_sort_block_merge_implIS3_PhPS5_jNS1_19radix_merge_compareILb1ELb0EhNS0_19identity_decomposerEEEEE10hipError_tT0_T1_T2_jT3_P12ihipStream_tbPNSt15iterator_traitsISE_E10value_typeEPNSK_ISF_E10value_typeEPSG_NS1_7vsmem_tEENKUlT_SE_SF_SG_E_clIS8_S8_S9_S9_EESD_ST_SE_SF_SG_EUlST_E0_NS1_11comp_targetILNS1_3genE2ELNS1_11target_archE906ELNS1_3gpuE6ELNS1_3repE0EEENS1_38merge_mergepath_config_static_selectorELNS0_4arch9wavefront6targetE0EEEvSF_,"axG",@progbits,_ZN7rocprim17ROCPRIM_400000_NS6detail17trampoline_kernelINS0_14default_configENS1_38merge_sort_block_merge_config_selectorIhNS0_10empty_typeEEEZZNS1_27merge_sort_block_merge_implIS3_PhPS5_jNS1_19radix_merge_compareILb1ELb0EhNS0_19identity_decomposerEEEEE10hipError_tT0_T1_T2_jT3_P12ihipStream_tbPNSt15iterator_traitsISE_E10value_typeEPNSK_ISF_E10value_typeEPSG_NS1_7vsmem_tEENKUlT_SE_SF_SG_E_clIS8_S8_S9_S9_EESD_ST_SE_SF_SG_EUlST_E0_NS1_11comp_targetILNS1_3genE2ELNS1_11target_archE906ELNS1_3gpuE6ELNS1_3repE0EEENS1_38merge_mergepath_config_static_selectorELNS0_4arch9wavefront6targetE0EEEvSF_,comdat
.Lfunc_end31:
	.size	_ZN7rocprim17ROCPRIM_400000_NS6detail17trampoline_kernelINS0_14default_configENS1_38merge_sort_block_merge_config_selectorIhNS0_10empty_typeEEEZZNS1_27merge_sort_block_merge_implIS3_PhPS5_jNS1_19radix_merge_compareILb1ELb0EhNS0_19identity_decomposerEEEEE10hipError_tT0_T1_T2_jT3_P12ihipStream_tbPNSt15iterator_traitsISE_E10value_typeEPNSK_ISF_E10value_typeEPSG_NS1_7vsmem_tEENKUlT_SE_SF_SG_E_clIS8_S8_S9_S9_EESD_ST_SE_SF_SG_EUlST_E0_NS1_11comp_targetILNS1_3genE2ELNS1_11target_archE906ELNS1_3gpuE6ELNS1_3repE0EEENS1_38merge_mergepath_config_static_selectorELNS0_4arch9wavefront6targetE0EEEvSF_, .Lfunc_end31-_ZN7rocprim17ROCPRIM_400000_NS6detail17trampoline_kernelINS0_14default_configENS1_38merge_sort_block_merge_config_selectorIhNS0_10empty_typeEEEZZNS1_27merge_sort_block_merge_implIS3_PhPS5_jNS1_19radix_merge_compareILb1ELb0EhNS0_19identity_decomposerEEEEE10hipError_tT0_T1_T2_jT3_P12ihipStream_tbPNSt15iterator_traitsISE_E10value_typeEPNSK_ISF_E10value_typeEPSG_NS1_7vsmem_tEENKUlT_SE_SF_SG_E_clIS8_S8_S9_S9_EESD_ST_SE_SF_SG_EUlST_E0_NS1_11comp_targetILNS1_3genE2ELNS1_11target_archE906ELNS1_3gpuE6ELNS1_3repE0EEENS1_38merge_mergepath_config_static_selectorELNS0_4arch9wavefront6targetE0EEEvSF_
                                        ; -- End function
	.set _ZN7rocprim17ROCPRIM_400000_NS6detail17trampoline_kernelINS0_14default_configENS1_38merge_sort_block_merge_config_selectorIhNS0_10empty_typeEEEZZNS1_27merge_sort_block_merge_implIS3_PhPS5_jNS1_19radix_merge_compareILb1ELb0EhNS0_19identity_decomposerEEEEE10hipError_tT0_T1_T2_jT3_P12ihipStream_tbPNSt15iterator_traitsISE_E10value_typeEPNSK_ISF_E10value_typeEPSG_NS1_7vsmem_tEENKUlT_SE_SF_SG_E_clIS8_S8_S9_S9_EESD_ST_SE_SF_SG_EUlST_E0_NS1_11comp_targetILNS1_3genE2ELNS1_11target_archE906ELNS1_3gpuE6ELNS1_3repE0EEENS1_38merge_mergepath_config_static_selectorELNS0_4arch9wavefront6targetE0EEEvSF_.num_vgpr, 0
	.set _ZN7rocprim17ROCPRIM_400000_NS6detail17trampoline_kernelINS0_14default_configENS1_38merge_sort_block_merge_config_selectorIhNS0_10empty_typeEEEZZNS1_27merge_sort_block_merge_implIS3_PhPS5_jNS1_19radix_merge_compareILb1ELb0EhNS0_19identity_decomposerEEEEE10hipError_tT0_T1_T2_jT3_P12ihipStream_tbPNSt15iterator_traitsISE_E10value_typeEPNSK_ISF_E10value_typeEPSG_NS1_7vsmem_tEENKUlT_SE_SF_SG_E_clIS8_S8_S9_S9_EESD_ST_SE_SF_SG_EUlST_E0_NS1_11comp_targetILNS1_3genE2ELNS1_11target_archE906ELNS1_3gpuE6ELNS1_3repE0EEENS1_38merge_mergepath_config_static_selectorELNS0_4arch9wavefront6targetE0EEEvSF_.num_agpr, 0
	.set _ZN7rocprim17ROCPRIM_400000_NS6detail17trampoline_kernelINS0_14default_configENS1_38merge_sort_block_merge_config_selectorIhNS0_10empty_typeEEEZZNS1_27merge_sort_block_merge_implIS3_PhPS5_jNS1_19radix_merge_compareILb1ELb0EhNS0_19identity_decomposerEEEEE10hipError_tT0_T1_T2_jT3_P12ihipStream_tbPNSt15iterator_traitsISE_E10value_typeEPNSK_ISF_E10value_typeEPSG_NS1_7vsmem_tEENKUlT_SE_SF_SG_E_clIS8_S8_S9_S9_EESD_ST_SE_SF_SG_EUlST_E0_NS1_11comp_targetILNS1_3genE2ELNS1_11target_archE906ELNS1_3gpuE6ELNS1_3repE0EEENS1_38merge_mergepath_config_static_selectorELNS0_4arch9wavefront6targetE0EEEvSF_.numbered_sgpr, 0
	.set _ZN7rocprim17ROCPRIM_400000_NS6detail17trampoline_kernelINS0_14default_configENS1_38merge_sort_block_merge_config_selectorIhNS0_10empty_typeEEEZZNS1_27merge_sort_block_merge_implIS3_PhPS5_jNS1_19radix_merge_compareILb1ELb0EhNS0_19identity_decomposerEEEEE10hipError_tT0_T1_T2_jT3_P12ihipStream_tbPNSt15iterator_traitsISE_E10value_typeEPNSK_ISF_E10value_typeEPSG_NS1_7vsmem_tEENKUlT_SE_SF_SG_E_clIS8_S8_S9_S9_EESD_ST_SE_SF_SG_EUlST_E0_NS1_11comp_targetILNS1_3genE2ELNS1_11target_archE906ELNS1_3gpuE6ELNS1_3repE0EEENS1_38merge_mergepath_config_static_selectorELNS0_4arch9wavefront6targetE0EEEvSF_.num_named_barrier, 0
	.set _ZN7rocprim17ROCPRIM_400000_NS6detail17trampoline_kernelINS0_14default_configENS1_38merge_sort_block_merge_config_selectorIhNS0_10empty_typeEEEZZNS1_27merge_sort_block_merge_implIS3_PhPS5_jNS1_19radix_merge_compareILb1ELb0EhNS0_19identity_decomposerEEEEE10hipError_tT0_T1_T2_jT3_P12ihipStream_tbPNSt15iterator_traitsISE_E10value_typeEPNSK_ISF_E10value_typeEPSG_NS1_7vsmem_tEENKUlT_SE_SF_SG_E_clIS8_S8_S9_S9_EESD_ST_SE_SF_SG_EUlST_E0_NS1_11comp_targetILNS1_3genE2ELNS1_11target_archE906ELNS1_3gpuE6ELNS1_3repE0EEENS1_38merge_mergepath_config_static_selectorELNS0_4arch9wavefront6targetE0EEEvSF_.private_seg_size, 0
	.set _ZN7rocprim17ROCPRIM_400000_NS6detail17trampoline_kernelINS0_14default_configENS1_38merge_sort_block_merge_config_selectorIhNS0_10empty_typeEEEZZNS1_27merge_sort_block_merge_implIS3_PhPS5_jNS1_19radix_merge_compareILb1ELb0EhNS0_19identity_decomposerEEEEE10hipError_tT0_T1_T2_jT3_P12ihipStream_tbPNSt15iterator_traitsISE_E10value_typeEPNSK_ISF_E10value_typeEPSG_NS1_7vsmem_tEENKUlT_SE_SF_SG_E_clIS8_S8_S9_S9_EESD_ST_SE_SF_SG_EUlST_E0_NS1_11comp_targetILNS1_3genE2ELNS1_11target_archE906ELNS1_3gpuE6ELNS1_3repE0EEENS1_38merge_mergepath_config_static_selectorELNS0_4arch9wavefront6targetE0EEEvSF_.uses_vcc, 0
	.set _ZN7rocprim17ROCPRIM_400000_NS6detail17trampoline_kernelINS0_14default_configENS1_38merge_sort_block_merge_config_selectorIhNS0_10empty_typeEEEZZNS1_27merge_sort_block_merge_implIS3_PhPS5_jNS1_19radix_merge_compareILb1ELb0EhNS0_19identity_decomposerEEEEE10hipError_tT0_T1_T2_jT3_P12ihipStream_tbPNSt15iterator_traitsISE_E10value_typeEPNSK_ISF_E10value_typeEPSG_NS1_7vsmem_tEENKUlT_SE_SF_SG_E_clIS8_S8_S9_S9_EESD_ST_SE_SF_SG_EUlST_E0_NS1_11comp_targetILNS1_3genE2ELNS1_11target_archE906ELNS1_3gpuE6ELNS1_3repE0EEENS1_38merge_mergepath_config_static_selectorELNS0_4arch9wavefront6targetE0EEEvSF_.uses_flat_scratch, 0
	.set _ZN7rocprim17ROCPRIM_400000_NS6detail17trampoline_kernelINS0_14default_configENS1_38merge_sort_block_merge_config_selectorIhNS0_10empty_typeEEEZZNS1_27merge_sort_block_merge_implIS3_PhPS5_jNS1_19radix_merge_compareILb1ELb0EhNS0_19identity_decomposerEEEEE10hipError_tT0_T1_T2_jT3_P12ihipStream_tbPNSt15iterator_traitsISE_E10value_typeEPNSK_ISF_E10value_typeEPSG_NS1_7vsmem_tEENKUlT_SE_SF_SG_E_clIS8_S8_S9_S9_EESD_ST_SE_SF_SG_EUlST_E0_NS1_11comp_targetILNS1_3genE2ELNS1_11target_archE906ELNS1_3gpuE6ELNS1_3repE0EEENS1_38merge_mergepath_config_static_selectorELNS0_4arch9wavefront6targetE0EEEvSF_.has_dyn_sized_stack, 0
	.set _ZN7rocprim17ROCPRIM_400000_NS6detail17trampoline_kernelINS0_14default_configENS1_38merge_sort_block_merge_config_selectorIhNS0_10empty_typeEEEZZNS1_27merge_sort_block_merge_implIS3_PhPS5_jNS1_19radix_merge_compareILb1ELb0EhNS0_19identity_decomposerEEEEE10hipError_tT0_T1_T2_jT3_P12ihipStream_tbPNSt15iterator_traitsISE_E10value_typeEPNSK_ISF_E10value_typeEPSG_NS1_7vsmem_tEENKUlT_SE_SF_SG_E_clIS8_S8_S9_S9_EESD_ST_SE_SF_SG_EUlST_E0_NS1_11comp_targetILNS1_3genE2ELNS1_11target_archE906ELNS1_3gpuE6ELNS1_3repE0EEENS1_38merge_mergepath_config_static_selectorELNS0_4arch9wavefront6targetE0EEEvSF_.has_recursion, 0
	.set _ZN7rocprim17ROCPRIM_400000_NS6detail17trampoline_kernelINS0_14default_configENS1_38merge_sort_block_merge_config_selectorIhNS0_10empty_typeEEEZZNS1_27merge_sort_block_merge_implIS3_PhPS5_jNS1_19radix_merge_compareILb1ELb0EhNS0_19identity_decomposerEEEEE10hipError_tT0_T1_T2_jT3_P12ihipStream_tbPNSt15iterator_traitsISE_E10value_typeEPNSK_ISF_E10value_typeEPSG_NS1_7vsmem_tEENKUlT_SE_SF_SG_E_clIS8_S8_S9_S9_EESD_ST_SE_SF_SG_EUlST_E0_NS1_11comp_targetILNS1_3genE2ELNS1_11target_archE906ELNS1_3gpuE6ELNS1_3repE0EEENS1_38merge_mergepath_config_static_selectorELNS0_4arch9wavefront6targetE0EEEvSF_.has_indirect_call, 0
	.section	.AMDGPU.csdata,"",@progbits
; Kernel info:
; codeLenInByte = 0
; TotalNumSgprs: 0
; NumVgprs: 0
; ScratchSize: 0
; MemoryBound: 0
; FloatMode: 240
; IeeeMode: 1
; LDSByteSize: 0 bytes/workgroup (compile time only)
; SGPRBlocks: 0
; VGPRBlocks: 0
; NumSGPRsForWavesPerEU: 1
; NumVGPRsForWavesPerEU: 1
; NamedBarCnt: 0
; Occupancy: 16
; WaveLimiterHint : 0
; COMPUTE_PGM_RSRC2:SCRATCH_EN: 0
; COMPUTE_PGM_RSRC2:USER_SGPR: 2
; COMPUTE_PGM_RSRC2:TRAP_HANDLER: 0
; COMPUTE_PGM_RSRC2:TGID_X_EN: 1
; COMPUTE_PGM_RSRC2:TGID_Y_EN: 0
; COMPUTE_PGM_RSRC2:TGID_Z_EN: 0
; COMPUTE_PGM_RSRC2:TIDIG_COMP_CNT: 0
	.section	.text._ZN7rocprim17ROCPRIM_400000_NS6detail17trampoline_kernelINS0_14default_configENS1_38merge_sort_block_merge_config_selectorIhNS0_10empty_typeEEEZZNS1_27merge_sort_block_merge_implIS3_PhPS5_jNS1_19radix_merge_compareILb1ELb0EhNS0_19identity_decomposerEEEEE10hipError_tT0_T1_T2_jT3_P12ihipStream_tbPNSt15iterator_traitsISE_E10value_typeEPNSK_ISF_E10value_typeEPSG_NS1_7vsmem_tEENKUlT_SE_SF_SG_E_clIS8_S8_S9_S9_EESD_ST_SE_SF_SG_EUlST_E0_NS1_11comp_targetILNS1_3genE9ELNS1_11target_archE1100ELNS1_3gpuE3ELNS1_3repE0EEENS1_38merge_mergepath_config_static_selectorELNS0_4arch9wavefront6targetE0EEEvSF_,"axG",@progbits,_ZN7rocprim17ROCPRIM_400000_NS6detail17trampoline_kernelINS0_14default_configENS1_38merge_sort_block_merge_config_selectorIhNS0_10empty_typeEEEZZNS1_27merge_sort_block_merge_implIS3_PhPS5_jNS1_19radix_merge_compareILb1ELb0EhNS0_19identity_decomposerEEEEE10hipError_tT0_T1_T2_jT3_P12ihipStream_tbPNSt15iterator_traitsISE_E10value_typeEPNSK_ISF_E10value_typeEPSG_NS1_7vsmem_tEENKUlT_SE_SF_SG_E_clIS8_S8_S9_S9_EESD_ST_SE_SF_SG_EUlST_E0_NS1_11comp_targetILNS1_3genE9ELNS1_11target_archE1100ELNS1_3gpuE3ELNS1_3repE0EEENS1_38merge_mergepath_config_static_selectorELNS0_4arch9wavefront6targetE0EEEvSF_,comdat
	.protected	_ZN7rocprim17ROCPRIM_400000_NS6detail17trampoline_kernelINS0_14default_configENS1_38merge_sort_block_merge_config_selectorIhNS0_10empty_typeEEEZZNS1_27merge_sort_block_merge_implIS3_PhPS5_jNS1_19radix_merge_compareILb1ELb0EhNS0_19identity_decomposerEEEEE10hipError_tT0_T1_T2_jT3_P12ihipStream_tbPNSt15iterator_traitsISE_E10value_typeEPNSK_ISF_E10value_typeEPSG_NS1_7vsmem_tEENKUlT_SE_SF_SG_E_clIS8_S8_S9_S9_EESD_ST_SE_SF_SG_EUlST_E0_NS1_11comp_targetILNS1_3genE9ELNS1_11target_archE1100ELNS1_3gpuE3ELNS1_3repE0EEENS1_38merge_mergepath_config_static_selectorELNS0_4arch9wavefront6targetE0EEEvSF_ ; -- Begin function _ZN7rocprim17ROCPRIM_400000_NS6detail17trampoline_kernelINS0_14default_configENS1_38merge_sort_block_merge_config_selectorIhNS0_10empty_typeEEEZZNS1_27merge_sort_block_merge_implIS3_PhPS5_jNS1_19radix_merge_compareILb1ELb0EhNS0_19identity_decomposerEEEEE10hipError_tT0_T1_T2_jT3_P12ihipStream_tbPNSt15iterator_traitsISE_E10value_typeEPNSK_ISF_E10value_typeEPSG_NS1_7vsmem_tEENKUlT_SE_SF_SG_E_clIS8_S8_S9_S9_EESD_ST_SE_SF_SG_EUlST_E0_NS1_11comp_targetILNS1_3genE9ELNS1_11target_archE1100ELNS1_3gpuE3ELNS1_3repE0EEENS1_38merge_mergepath_config_static_selectorELNS0_4arch9wavefront6targetE0EEEvSF_
	.globl	_ZN7rocprim17ROCPRIM_400000_NS6detail17trampoline_kernelINS0_14default_configENS1_38merge_sort_block_merge_config_selectorIhNS0_10empty_typeEEEZZNS1_27merge_sort_block_merge_implIS3_PhPS5_jNS1_19radix_merge_compareILb1ELb0EhNS0_19identity_decomposerEEEEE10hipError_tT0_T1_T2_jT3_P12ihipStream_tbPNSt15iterator_traitsISE_E10value_typeEPNSK_ISF_E10value_typeEPSG_NS1_7vsmem_tEENKUlT_SE_SF_SG_E_clIS8_S8_S9_S9_EESD_ST_SE_SF_SG_EUlST_E0_NS1_11comp_targetILNS1_3genE9ELNS1_11target_archE1100ELNS1_3gpuE3ELNS1_3repE0EEENS1_38merge_mergepath_config_static_selectorELNS0_4arch9wavefront6targetE0EEEvSF_
	.p2align	8
	.type	_ZN7rocprim17ROCPRIM_400000_NS6detail17trampoline_kernelINS0_14default_configENS1_38merge_sort_block_merge_config_selectorIhNS0_10empty_typeEEEZZNS1_27merge_sort_block_merge_implIS3_PhPS5_jNS1_19radix_merge_compareILb1ELb0EhNS0_19identity_decomposerEEEEE10hipError_tT0_T1_T2_jT3_P12ihipStream_tbPNSt15iterator_traitsISE_E10value_typeEPNSK_ISF_E10value_typeEPSG_NS1_7vsmem_tEENKUlT_SE_SF_SG_E_clIS8_S8_S9_S9_EESD_ST_SE_SF_SG_EUlST_E0_NS1_11comp_targetILNS1_3genE9ELNS1_11target_archE1100ELNS1_3gpuE3ELNS1_3repE0EEENS1_38merge_mergepath_config_static_selectorELNS0_4arch9wavefront6targetE0EEEvSF_,@function
_ZN7rocprim17ROCPRIM_400000_NS6detail17trampoline_kernelINS0_14default_configENS1_38merge_sort_block_merge_config_selectorIhNS0_10empty_typeEEEZZNS1_27merge_sort_block_merge_implIS3_PhPS5_jNS1_19radix_merge_compareILb1ELb0EhNS0_19identity_decomposerEEEEE10hipError_tT0_T1_T2_jT3_P12ihipStream_tbPNSt15iterator_traitsISE_E10value_typeEPNSK_ISF_E10value_typeEPSG_NS1_7vsmem_tEENKUlT_SE_SF_SG_E_clIS8_S8_S9_S9_EESD_ST_SE_SF_SG_EUlST_E0_NS1_11comp_targetILNS1_3genE9ELNS1_11target_archE1100ELNS1_3gpuE3ELNS1_3repE0EEENS1_38merge_mergepath_config_static_selectorELNS0_4arch9wavefront6targetE0EEEvSF_: ; @_ZN7rocprim17ROCPRIM_400000_NS6detail17trampoline_kernelINS0_14default_configENS1_38merge_sort_block_merge_config_selectorIhNS0_10empty_typeEEEZZNS1_27merge_sort_block_merge_implIS3_PhPS5_jNS1_19radix_merge_compareILb1ELb0EhNS0_19identity_decomposerEEEEE10hipError_tT0_T1_T2_jT3_P12ihipStream_tbPNSt15iterator_traitsISE_E10value_typeEPNSK_ISF_E10value_typeEPSG_NS1_7vsmem_tEENKUlT_SE_SF_SG_E_clIS8_S8_S9_S9_EESD_ST_SE_SF_SG_EUlST_E0_NS1_11comp_targetILNS1_3genE9ELNS1_11target_archE1100ELNS1_3gpuE3ELNS1_3repE0EEENS1_38merge_mergepath_config_static_selectorELNS0_4arch9wavefront6targetE0EEEvSF_
; %bb.0:
	.section	.rodata,"a",@progbits
	.p2align	6, 0x0
	.amdhsa_kernel _ZN7rocprim17ROCPRIM_400000_NS6detail17trampoline_kernelINS0_14default_configENS1_38merge_sort_block_merge_config_selectorIhNS0_10empty_typeEEEZZNS1_27merge_sort_block_merge_implIS3_PhPS5_jNS1_19radix_merge_compareILb1ELb0EhNS0_19identity_decomposerEEEEE10hipError_tT0_T1_T2_jT3_P12ihipStream_tbPNSt15iterator_traitsISE_E10value_typeEPNSK_ISF_E10value_typeEPSG_NS1_7vsmem_tEENKUlT_SE_SF_SG_E_clIS8_S8_S9_S9_EESD_ST_SE_SF_SG_EUlST_E0_NS1_11comp_targetILNS1_3genE9ELNS1_11target_archE1100ELNS1_3gpuE3ELNS1_3repE0EEENS1_38merge_mergepath_config_static_selectorELNS0_4arch9wavefront6targetE0EEEvSF_
		.amdhsa_group_segment_fixed_size 0
		.amdhsa_private_segment_fixed_size 0
		.amdhsa_kernarg_size 64
		.amdhsa_user_sgpr_count 2
		.amdhsa_user_sgpr_dispatch_ptr 0
		.amdhsa_user_sgpr_queue_ptr 0
		.amdhsa_user_sgpr_kernarg_segment_ptr 1
		.amdhsa_user_sgpr_dispatch_id 0
		.amdhsa_user_sgpr_kernarg_preload_length 0
		.amdhsa_user_sgpr_kernarg_preload_offset 0
		.amdhsa_user_sgpr_private_segment_size 0
		.amdhsa_wavefront_size32 1
		.amdhsa_uses_dynamic_stack 0
		.amdhsa_enable_private_segment 0
		.amdhsa_system_sgpr_workgroup_id_x 1
		.amdhsa_system_sgpr_workgroup_id_y 0
		.amdhsa_system_sgpr_workgroup_id_z 0
		.amdhsa_system_sgpr_workgroup_info 0
		.amdhsa_system_vgpr_workitem_id 0
		.amdhsa_next_free_vgpr 1
		.amdhsa_next_free_sgpr 1
		.amdhsa_named_barrier_count 0
		.amdhsa_reserve_vcc 0
		.amdhsa_float_round_mode_32 0
		.amdhsa_float_round_mode_16_64 0
		.amdhsa_float_denorm_mode_32 3
		.amdhsa_float_denorm_mode_16_64 3
		.amdhsa_fp16_overflow 0
		.amdhsa_memory_ordered 1
		.amdhsa_forward_progress 1
		.amdhsa_inst_pref_size 0
		.amdhsa_round_robin_scheduling 0
		.amdhsa_exception_fp_ieee_invalid_op 0
		.amdhsa_exception_fp_denorm_src 0
		.amdhsa_exception_fp_ieee_div_zero 0
		.amdhsa_exception_fp_ieee_overflow 0
		.amdhsa_exception_fp_ieee_underflow 0
		.amdhsa_exception_fp_ieee_inexact 0
		.amdhsa_exception_int_div_zero 0
	.end_amdhsa_kernel
	.section	.text._ZN7rocprim17ROCPRIM_400000_NS6detail17trampoline_kernelINS0_14default_configENS1_38merge_sort_block_merge_config_selectorIhNS0_10empty_typeEEEZZNS1_27merge_sort_block_merge_implIS3_PhPS5_jNS1_19radix_merge_compareILb1ELb0EhNS0_19identity_decomposerEEEEE10hipError_tT0_T1_T2_jT3_P12ihipStream_tbPNSt15iterator_traitsISE_E10value_typeEPNSK_ISF_E10value_typeEPSG_NS1_7vsmem_tEENKUlT_SE_SF_SG_E_clIS8_S8_S9_S9_EESD_ST_SE_SF_SG_EUlST_E0_NS1_11comp_targetILNS1_3genE9ELNS1_11target_archE1100ELNS1_3gpuE3ELNS1_3repE0EEENS1_38merge_mergepath_config_static_selectorELNS0_4arch9wavefront6targetE0EEEvSF_,"axG",@progbits,_ZN7rocprim17ROCPRIM_400000_NS6detail17trampoline_kernelINS0_14default_configENS1_38merge_sort_block_merge_config_selectorIhNS0_10empty_typeEEEZZNS1_27merge_sort_block_merge_implIS3_PhPS5_jNS1_19radix_merge_compareILb1ELb0EhNS0_19identity_decomposerEEEEE10hipError_tT0_T1_T2_jT3_P12ihipStream_tbPNSt15iterator_traitsISE_E10value_typeEPNSK_ISF_E10value_typeEPSG_NS1_7vsmem_tEENKUlT_SE_SF_SG_E_clIS8_S8_S9_S9_EESD_ST_SE_SF_SG_EUlST_E0_NS1_11comp_targetILNS1_3genE9ELNS1_11target_archE1100ELNS1_3gpuE3ELNS1_3repE0EEENS1_38merge_mergepath_config_static_selectorELNS0_4arch9wavefront6targetE0EEEvSF_,comdat
.Lfunc_end32:
	.size	_ZN7rocprim17ROCPRIM_400000_NS6detail17trampoline_kernelINS0_14default_configENS1_38merge_sort_block_merge_config_selectorIhNS0_10empty_typeEEEZZNS1_27merge_sort_block_merge_implIS3_PhPS5_jNS1_19radix_merge_compareILb1ELb0EhNS0_19identity_decomposerEEEEE10hipError_tT0_T1_T2_jT3_P12ihipStream_tbPNSt15iterator_traitsISE_E10value_typeEPNSK_ISF_E10value_typeEPSG_NS1_7vsmem_tEENKUlT_SE_SF_SG_E_clIS8_S8_S9_S9_EESD_ST_SE_SF_SG_EUlST_E0_NS1_11comp_targetILNS1_3genE9ELNS1_11target_archE1100ELNS1_3gpuE3ELNS1_3repE0EEENS1_38merge_mergepath_config_static_selectorELNS0_4arch9wavefront6targetE0EEEvSF_, .Lfunc_end32-_ZN7rocprim17ROCPRIM_400000_NS6detail17trampoline_kernelINS0_14default_configENS1_38merge_sort_block_merge_config_selectorIhNS0_10empty_typeEEEZZNS1_27merge_sort_block_merge_implIS3_PhPS5_jNS1_19radix_merge_compareILb1ELb0EhNS0_19identity_decomposerEEEEE10hipError_tT0_T1_T2_jT3_P12ihipStream_tbPNSt15iterator_traitsISE_E10value_typeEPNSK_ISF_E10value_typeEPSG_NS1_7vsmem_tEENKUlT_SE_SF_SG_E_clIS8_S8_S9_S9_EESD_ST_SE_SF_SG_EUlST_E0_NS1_11comp_targetILNS1_3genE9ELNS1_11target_archE1100ELNS1_3gpuE3ELNS1_3repE0EEENS1_38merge_mergepath_config_static_selectorELNS0_4arch9wavefront6targetE0EEEvSF_
                                        ; -- End function
	.set _ZN7rocprim17ROCPRIM_400000_NS6detail17trampoline_kernelINS0_14default_configENS1_38merge_sort_block_merge_config_selectorIhNS0_10empty_typeEEEZZNS1_27merge_sort_block_merge_implIS3_PhPS5_jNS1_19radix_merge_compareILb1ELb0EhNS0_19identity_decomposerEEEEE10hipError_tT0_T1_T2_jT3_P12ihipStream_tbPNSt15iterator_traitsISE_E10value_typeEPNSK_ISF_E10value_typeEPSG_NS1_7vsmem_tEENKUlT_SE_SF_SG_E_clIS8_S8_S9_S9_EESD_ST_SE_SF_SG_EUlST_E0_NS1_11comp_targetILNS1_3genE9ELNS1_11target_archE1100ELNS1_3gpuE3ELNS1_3repE0EEENS1_38merge_mergepath_config_static_selectorELNS0_4arch9wavefront6targetE0EEEvSF_.num_vgpr, 0
	.set _ZN7rocprim17ROCPRIM_400000_NS6detail17trampoline_kernelINS0_14default_configENS1_38merge_sort_block_merge_config_selectorIhNS0_10empty_typeEEEZZNS1_27merge_sort_block_merge_implIS3_PhPS5_jNS1_19radix_merge_compareILb1ELb0EhNS0_19identity_decomposerEEEEE10hipError_tT0_T1_T2_jT3_P12ihipStream_tbPNSt15iterator_traitsISE_E10value_typeEPNSK_ISF_E10value_typeEPSG_NS1_7vsmem_tEENKUlT_SE_SF_SG_E_clIS8_S8_S9_S9_EESD_ST_SE_SF_SG_EUlST_E0_NS1_11comp_targetILNS1_3genE9ELNS1_11target_archE1100ELNS1_3gpuE3ELNS1_3repE0EEENS1_38merge_mergepath_config_static_selectorELNS0_4arch9wavefront6targetE0EEEvSF_.num_agpr, 0
	.set _ZN7rocprim17ROCPRIM_400000_NS6detail17trampoline_kernelINS0_14default_configENS1_38merge_sort_block_merge_config_selectorIhNS0_10empty_typeEEEZZNS1_27merge_sort_block_merge_implIS3_PhPS5_jNS1_19radix_merge_compareILb1ELb0EhNS0_19identity_decomposerEEEEE10hipError_tT0_T1_T2_jT3_P12ihipStream_tbPNSt15iterator_traitsISE_E10value_typeEPNSK_ISF_E10value_typeEPSG_NS1_7vsmem_tEENKUlT_SE_SF_SG_E_clIS8_S8_S9_S9_EESD_ST_SE_SF_SG_EUlST_E0_NS1_11comp_targetILNS1_3genE9ELNS1_11target_archE1100ELNS1_3gpuE3ELNS1_3repE0EEENS1_38merge_mergepath_config_static_selectorELNS0_4arch9wavefront6targetE0EEEvSF_.numbered_sgpr, 0
	.set _ZN7rocprim17ROCPRIM_400000_NS6detail17trampoline_kernelINS0_14default_configENS1_38merge_sort_block_merge_config_selectorIhNS0_10empty_typeEEEZZNS1_27merge_sort_block_merge_implIS3_PhPS5_jNS1_19radix_merge_compareILb1ELb0EhNS0_19identity_decomposerEEEEE10hipError_tT0_T1_T2_jT3_P12ihipStream_tbPNSt15iterator_traitsISE_E10value_typeEPNSK_ISF_E10value_typeEPSG_NS1_7vsmem_tEENKUlT_SE_SF_SG_E_clIS8_S8_S9_S9_EESD_ST_SE_SF_SG_EUlST_E0_NS1_11comp_targetILNS1_3genE9ELNS1_11target_archE1100ELNS1_3gpuE3ELNS1_3repE0EEENS1_38merge_mergepath_config_static_selectorELNS0_4arch9wavefront6targetE0EEEvSF_.num_named_barrier, 0
	.set _ZN7rocprim17ROCPRIM_400000_NS6detail17trampoline_kernelINS0_14default_configENS1_38merge_sort_block_merge_config_selectorIhNS0_10empty_typeEEEZZNS1_27merge_sort_block_merge_implIS3_PhPS5_jNS1_19radix_merge_compareILb1ELb0EhNS0_19identity_decomposerEEEEE10hipError_tT0_T1_T2_jT3_P12ihipStream_tbPNSt15iterator_traitsISE_E10value_typeEPNSK_ISF_E10value_typeEPSG_NS1_7vsmem_tEENKUlT_SE_SF_SG_E_clIS8_S8_S9_S9_EESD_ST_SE_SF_SG_EUlST_E0_NS1_11comp_targetILNS1_3genE9ELNS1_11target_archE1100ELNS1_3gpuE3ELNS1_3repE0EEENS1_38merge_mergepath_config_static_selectorELNS0_4arch9wavefront6targetE0EEEvSF_.private_seg_size, 0
	.set _ZN7rocprim17ROCPRIM_400000_NS6detail17trampoline_kernelINS0_14default_configENS1_38merge_sort_block_merge_config_selectorIhNS0_10empty_typeEEEZZNS1_27merge_sort_block_merge_implIS3_PhPS5_jNS1_19radix_merge_compareILb1ELb0EhNS0_19identity_decomposerEEEEE10hipError_tT0_T1_T2_jT3_P12ihipStream_tbPNSt15iterator_traitsISE_E10value_typeEPNSK_ISF_E10value_typeEPSG_NS1_7vsmem_tEENKUlT_SE_SF_SG_E_clIS8_S8_S9_S9_EESD_ST_SE_SF_SG_EUlST_E0_NS1_11comp_targetILNS1_3genE9ELNS1_11target_archE1100ELNS1_3gpuE3ELNS1_3repE0EEENS1_38merge_mergepath_config_static_selectorELNS0_4arch9wavefront6targetE0EEEvSF_.uses_vcc, 0
	.set _ZN7rocprim17ROCPRIM_400000_NS6detail17trampoline_kernelINS0_14default_configENS1_38merge_sort_block_merge_config_selectorIhNS0_10empty_typeEEEZZNS1_27merge_sort_block_merge_implIS3_PhPS5_jNS1_19radix_merge_compareILb1ELb0EhNS0_19identity_decomposerEEEEE10hipError_tT0_T1_T2_jT3_P12ihipStream_tbPNSt15iterator_traitsISE_E10value_typeEPNSK_ISF_E10value_typeEPSG_NS1_7vsmem_tEENKUlT_SE_SF_SG_E_clIS8_S8_S9_S9_EESD_ST_SE_SF_SG_EUlST_E0_NS1_11comp_targetILNS1_3genE9ELNS1_11target_archE1100ELNS1_3gpuE3ELNS1_3repE0EEENS1_38merge_mergepath_config_static_selectorELNS0_4arch9wavefront6targetE0EEEvSF_.uses_flat_scratch, 0
	.set _ZN7rocprim17ROCPRIM_400000_NS6detail17trampoline_kernelINS0_14default_configENS1_38merge_sort_block_merge_config_selectorIhNS0_10empty_typeEEEZZNS1_27merge_sort_block_merge_implIS3_PhPS5_jNS1_19radix_merge_compareILb1ELb0EhNS0_19identity_decomposerEEEEE10hipError_tT0_T1_T2_jT3_P12ihipStream_tbPNSt15iterator_traitsISE_E10value_typeEPNSK_ISF_E10value_typeEPSG_NS1_7vsmem_tEENKUlT_SE_SF_SG_E_clIS8_S8_S9_S9_EESD_ST_SE_SF_SG_EUlST_E0_NS1_11comp_targetILNS1_3genE9ELNS1_11target_archE1100ELNS1_3gpuE3ELNS1_3repE0EEENS1_38merge_mergepath_config_static_selectorELNS0_4arch9wavefront6targetE0EEEvSF_.has_dyn_sized_stack, 0
	.set _ZN7rocprim17ROCPRIM_400000_NS6detail17trampoline_kernelINS0_14default_configENS1_38merge_sort_block_merge_config_selectorIhNS0_10empty_typeEEEZZNS1_27merge_sort_block_merge_implIS3_PhPS5_jNS1_19radix_merge_compareILb1ELb0EhNS0_19identity_decomposerEEEEE10hipError_tT0_T1_T2_jT3_P12ihipStream_tbPNSt15iterator_traitsISE_E10value_typeEPNSK_ISF_E10value_typeEPSG_NS1_7vsmem_tEENKUlT_SE_SF_SG_E_clIS8_S8_S9_S9_EESD_ST_SE_SF_SG_EUlST_E0_NS1_11comp_targetILNS1_3genE9ELNS1_11target_archE1100ELNS1_3gpuE3ELNS1_3repE0EEENS1_38merge_mergepath_config_static_selectorELNS0_4arch9wavefront6targetE0EEEvSF_.has_recursion, 0
	.set _ZN7rocprim17ROCPRIM_400000_NS6detail17trampoline_kernelINS0_14default_configENS1_38merge_sort_block_merge_config_selectorIhNS0_10empty_typeEEEZZNS1_27merge_sort_block_merge_implIS3_PhPS5_jNS1_19radix_merge_compareILb1ELb0EhNS0_19identity_decomposerEEEEE10hipError_tT0_T1_T2_jT3_P12ihipStream_tbPNSt15iterator_traitsISE_E10value_typeEPNSK_ISF_E10value_typeEPSG_NS1_7vsmem_tEENKUlT_SE_SF_SG_E_clIS8_S8_S9_S9_EESD_ST_SE_SF_SG_EUlST_E0_NS1_11comp_targetILNS1_3genE9ELNS1_11target_archE1100ELNS1_3gpuE3ELNS1_3repE0EEENS1_38merge_mergepath_config_static_selectorELNS0_4arch9wavefront6targetE0EEEvSF_.has_indirect_call, 0
	.section	.AMDGPU.csdata,"",@progbits
; Kernel info:
; codeLenInByte = 0
; TotalNumSgprs: 0
; NumVgprs: 0
; ScratchSize: 0
; MemoryBound: 0
; FloatMode: 240
; IeeeMode: 1
; LDSByteSize: 0 bytes/workgroup (compile time only)
; SGPRBlocks: 0
; VGPRBlocks: 0
; NumSGPRsForWavesPerEU: 1
; NumVGPRsForWavesPerEU: 1
; NamedBarCnt: 0
; Occupancy: 16
; WaveLimiterHint : 0
; COMPUTE_PGM_RSRC2:SCRATCH_EN: 0
; COMPUTE_PGM_RSRC2:USER_SGPR: 2
; COMPUTE_PGM_RSRC2:TRAP_HANDLER: 0
; COMPUTE_PGM_RSRC2:TGID_X_EN: 1
; COMPUTE_PGM_RSRC2:TGID_Y_EN: 0
; COMPUTE_PGM_RSRC2:TGID_Z_EN: 0
; COMPUTE_PGM_RSRC2:TIDIG_COMP_CNT: 0
	.section	.text._ZN7rocprim17ROCPRIM_400000_NS6detail17trampoline_kernelINS0_14default_configENS1_38merge_sort_block_merge_config_selectorIhNS0_10empty_typeEEEZZNS1_27merge_sort_block_merge_implIS3_PhPS5_jNS1_19radix_merge_compareILb1ELb0EhNS0_19identity_decomposerEEEEE10hipError_tT0_T1_T2_jT3_P12ihipStream_tbPNSt15iterator_traitsISE_E10value_typeEPNSK_ISF_E10value_typeEPSG_NS1_7vsmem_tEENKUlT_SE_SF_SG_E_clIS8_S8_S9_S9_EESD_ST_SE_SF_SG_EUlST_E0_NS1_11comp_targetILNS1_3genE8ELNS1_11target_archE1030ELNS1_3gpuE2ELNS1_3repE0EEENS1_38merge_mergepath_config_static_selectorELNS0_4arch9wavefront6targetE0EEEvSF_,"axG",@progbits,_ZN7rocprim17ROCPRIM_400000_NS6detail17trampoline_kernelINS0_14default_configENS1_38merge_sort_block_merge_config_selectorIhNS0_10empty_typeEEEZZNS1_27merge_sort_block_merge_implIS3_PhPS5_jNS1_19radix_merge_compareILb1ELb0EhNS0_19identity_decomposerEEEEE10hipError_tT0_T1_T2_jT3_P12ihipStream_tbPNSt15iterator_traitsISE_E10value_typeEPNSK_ISF_E10value_typeEPSG_NS1_7vsmem_tEENKUlT_SE_SF_SG_E_clIS8_S8_S9_S9_EESD_ST_SE_SF_SG_EUlST_E0_NS1_11comp_targetILNS1_3genE8ELNS1_11target_archE1030ELNS1_3gpuE2ELNS1_3repE0EEENS1_38merge_mergepath_config_static_selectorELNS0_4arch9wavefront6targetE0EEEvSF_,comdat
	.protected	_ZN7rocprim17ROCPRIM_400000_NS6detail17trampoline_kernelINS0_14default_configENS1_38merge_sort_block_merge_config_selectorIhNS0_10empty_typeEEEZZNS1_27merge_sort_block_merge_implIS3_PhPS5_jNS1_19radix_merge_compareILb1ELb0EhNS0_19identity_decomposerEEEEE10hipError_tT0_T1_T2_jT3_P12ihipStream_tbPNSt15iterator_traitsISE_E10value_typeEPNSK_ISF_E10value_typeEPSG_NS1_7vsmem_tEENKUlT_SE_SF_SG_E_clIS8_S8_S9_S9_EESD_ST_SE_SF_SG_EUlST_E0_NS1_11comp_targetILNS1_3genE8ELNS1_11target_archE1030ELNS1_3gpuE2ELNS1_3repE0EEENS1_38merge_mergepath_config_static_selectorELNS0_4arch9wavefront6targetE0EEEvSF_ ; -- Begin function _ZN7rocprim17ROCPRIM_400000_NS6detail17trampoline_kernelINS0_14default_configENS1_38merge_sort_block_merge_config_selectorIhNS0_10empty_typeEEEZZNS1_27merge_sort_block_merge_implIS3_PhPS5_jNS1_19radix_merge_compareILb1ELb0EhNS0_19identity_decomposerEEEEE10hipError_tT0_T1_T2_jT3_P12ihipStream_tbPNSt15iterator_traitsISE_E10value_typeEPNSK_ISF_E10value_typeEPSG_NS1_7vsmem_tEENKUlT_SE_SF_SG_E_clIS8_S8_S9_S9_EESD_ST_SE_SF_SG_EUlST_E0_NS1_11comp_targetILNS1_3genE8ELNS1_11target_archE1030ELNS1_3gpuE2ELNS1_3repE0EEENS1_38merge_mergepath_config_static_selectorELNS0_4arch9wavefront6targetE0EEEvSF_
	.globl	_ZN7rocprim17ROCPRIM_400000_NS6detail17trampoline_kernelINS0_14default_configENS1_38merge_sort_block_merge_config_selectorIhNS0_10empty_typeEEEZZNS1_27merge_sort_block_merge_implIS3_PhPS5_jNS1_19radix_merge_compareILb1ELb0EhNS0_19identity_decomposerEEEEE10hipError_tT0_T1_T2_jT3_P12ihipStream_tbPNSt15iterator_traitsISE_E10value_typeEPNSK_ISF_E10value_typeEPSG_NS1_7vsmem_tEENKUlT_SE_SF_SG_E_clIS8_S8_S9_S9_EESD_ST_SE_SF_SG_EUlST_E0_NS1_11comp_targetILNS1_3genE8ELNS1_11target_archE1030ELNS1_3gpuE2ELNS1_3repE0EEENS1_38merge_mergepath_config_static_selectorELNS0_4arch9wavefront6targetE0EEEvSF_
	.p2align	8
	.type	_ZN7rocprim17ROCPRIM_400000_NS6detail17trampoline_kernelINS0_14default_configENS1_38merge_sort_block_merge_config_selectorIhNS0_10empty_typeEEEZZNS1_27merge_sort_block_merge_implIS3_PhPS5_jNS1_19radix_merge_compareILb1ELb0EhNS0_19identity_decomposerEEEEE10hipError_tT0_T1_T2_jT3_P12ihipStream_tbPNSt15iterator_traitsISE_E10value_typeEPNSK_ISF_E10value_typeEPSG_NS1_7vsmem_tEENKUlT_SE_SF_SG_E_clIS8_S8_S9_S9_EESD_ST_SE_SF_SG_EUlST_E0_NS1_11comp_targetILNS1_3genE8ELNS1_11target_archE1030ELNS1_3gpuE2ELNS1_3repE0EEENS1_38merge_mergepath_config_static_selectorELNS0_4arch9wavefront6targetE0EEEvSF_,@function
_ZN7rocprim17ROCPRIM_400000_NS6detail17trampoline_kernelINS0_14default_configENS1_38merge_sort_block_merge_config_selectorIhNS0_10empty_typeEEEZZNS1_27merge_sort_block_merge_implIS3_PhPS5_jNS1_19radix_merge_compareILb1ELb0EhNS0_19identity_decomposerEEEEE10hipError_tT0_T1_T2_jT3_P12ihipStream_tbPNSt15iterator_traitsISE_E10value_typeEPNSK_ISF_E10value_typeEPSG_NS1_7vsmem_tEENKUlT_SE_SF_SG_E_clIS8_S8_S9_S9_EESD_ST_SE_SF_SG_EUlST_E0_NS1_11comp_targetILNS1_3genE8ELNS1_11target_archE1030ELNS1_3gpuE2ELNS1_3repE0EEENS1_38merge_mergepath_config_static_selectorELNS0_4arch9wavefront6targetE0EEEvSF_: ; @_ZN7rocprim17ROCPRIM_400000_NS6detail17trampoline_kernelINS0_14default_configENS1_38merge_sort_block_merge_config_selectorIhNS0_10empty_typeEEEZZNS1_27merge_sort_block_merge_implIS3_PhPS5_jNS1_19radix_merge_compareILb1ELb0EhNS0_19identity_decomposerEEEEE10hipError_tT0_T1_T2_jT3_P12ihipStream_tbPNSt15iterator_traitsISE_E10value_typeEPNSK_ISF_E10value_typeEPSG_NS1_7vsmem_tEENKUlT_SE_SF_SG_E_clIS8_S8_S9_S9_EESD_ST_SE_SF_SG_EUlST_E0_NS1_11comp_targetILNS1_3genE8ELNS1_11target_archE1030ELNS1_3gpuE2ELNS1_3repE0EEENS1_38merge_mergepath_config_static_selectorELNS0_4arch9wavefront6targetE0EEEvSF_
; %bb.0:
	.section	.rodata,"a",@progbits
	.p2align	6, 0x0
	.amdhsa_kernel _ZN7rocprim17ROCPRIM_400000_NS6detail17trampoline_kernelINS0_14default_configENS1_38merge_sort_block_merge_config_selectorIhNS0_10empty_typeEEEZZNS1_27merge_sort_block_merge_implIS3_PhPS5_jNS1_19radix_merge_compareILb1ELb0EhNS0_19identity_decomposerEEEEE10hipError_tT0_T1_T2_jT3_P12ihipStream_tbPNSt15iterator_traitsISE_E10value_typeEPNSK_ISF_E10value_typeEPSG_NS1_7vsmem_tEENKUlT_SE_SF_SG_E_clIS8_S8_S9_S9_EESD_ST_SE_SF_SG_EUlST_E0_NS1_11comp_targetILNS1_3genE8ELNS1_11target_archE1030ELNS1_3gpuE2ELNS1_3repE0EEENS1_38merge_mergepath_config_static_selectorELNS0_4arch9wavefront6targetE0EEEvSF_
		.amdhsa_group_segment_fixed_size 0
		.amdhsa_private_segment_fixed_size 0
		.amdhsa_kernarg_size 64
		.amdhsa_user_sgpr_count 2
		.amdhsa_user_sgpr_dispatch_ptr 0
		.amdhsa_user_sgpr_queue_ptr 0
		.amdhsa_user_sgpr_kernarg_segment_ptr 1
		.amdhsa_user_sgpr_dispatch_id 0
		.amdhsa_user_sgpr_kernarg_preload_length 0
		.amdhsa_user_sgpr_kernarg_preload_offset 0
		.amdhsa_user_sgpr_private_segment_size 0
		.amdhsa_wavefront_size32 1
		.amdhsa_uses_dynamic_stack 0
		.amdhsa_enable_private_segment 0
		.amdhsa_system_sgpr_workgroup_id_x 1
		.amdhsa_system_sgpr_workgroup_id_y 0
		.amdhsa_system_sgpr_workgroup_id_z 0
		.amdhsa_system_sgpr_workgroup_info 0
		.amdhsa_system_vgpr_workitem_id 0
		.amdhsa_next_free_vgpr 1
		.amdhsa_next_free_sgpr 1
		.amdhsa_named_barrier_count 0
		.amdhsa_reserve_vcc 0
		.amdhsa_float_round_mode_32 0
		.amdhsa_float_round_mode_16_64 0
		.amdhsa_float_denorm_mode_32 3
		.amdhsa_float_denorm_mode_16_64 3
		.amdhsa_fp16_overflow 0
		.amdhsa_memory_ordered 1
		.amdhsa_forward_progress 1
		.amdhsa_inst_pref_size 0
		.amdhsa_round_robin_scheduling 0
		.amdhsa_exception_fp_ieee_invalid_op 0
		.amdhsa_exception_fp_denorm_src 0
		.amdhsa_exception_fp_ieee_div_zero 0
		.amdhsa_exception_fp_ieee_overflow 0
		.amdhsa_exception_fp_ieee_underflow 0
		.amdhsa_exception_fp_ieee_inexact 0
		.amdhsa_exception_int_div_zero 0
	.end_amdhsa_kernel
	.section	.text._ZN7rocprim17ROCPRIM_400000_NS6detail17trampoline_kernelINS0_14default_configENS1_38merge_sort_block_merge_config_selectorIhNS0_10empty_typeEEEZZNS1_27merge_sort_block_merge_implIS3_PhPS5_jNS1_19radix_merge_compareILb1ELb0EhNS0_19identity_decomposerEEEEE10hipError_tT0_T1_T2_jT3_P12ihipStream_tbPNSt15iterator_traitsISE_E10value_typeEPNSK_ISF_E10value_typeEPSG_NS1_7vsmem_tEENKUlT_SE_SF_SG_E_clIS8_S8_S9_S9_EESD_ST_SE_SF_SG_EUlST_E0_NS1_11comp_targetILNS1_3genE8ELNS1_11target_archE1030ELNS1_3gpuE2ELNS1_3repE0EEENS1_38merge_mergepath_config_static_selectorELNS0_4arch9wavefront6targetE0EEEvSF_,"axG",@progbits,_ZN7rocprim17ROCPRIM_400000_NS6detail17trampoline_kernelINS0_14default_configENS1_38merge_sort_block_merge_config_selectorIhNS0_10empty_typeEEEZZNS1_27merge_sort_block_merge_implIS3_PhPS5_jNS1_19radix_merge_compareILb1ELb0EhNS0_19identity_decomposerEEEEE10hipError_tT0_T1_T2_jT3_P12ihipStream_tbPNSt15iterator_traitsISE_E10value_typeEPNSK_ISF_E10value_typeEPSG_NS1_7vsmem_tEENKUlT_SE_SF_SG_E_clIS8_S8_S9_S9_EESD_ST_SE_SF_SG_EUlST_E0_NS1_11comp_targetILNS1_3genE8ELNS1_11target_archE1030ELNS1_3gpuE2ELNS1_3repE0EEENS1_38merge_mergepath_config_static_selectorELNS0_4arch9wavefront6targetE0EEEvSF_,comdat
.Lfunc_end33:
	.size	_ZN7rocprim17ROCPRIM_400000_NS6detail17trampoline_kernelINS0_14default_configENS1_38merge_sort_block_merge_config_selectorIhNS0_10empty_typeEEEZZNS1_27merge_sort_block_merge_implIS3_PhPS5_jNS1_19radix_merge_compareILb1ELb0EhNS0_19identity_decomposerEEEEE10hipError_tT0_T1_T2_jT3_P12ihipStream_tbPNSt15iterator_traitsISE_E10value_typeEPNSK_ISF_E10value_typeEPSG_NS1_7vsmem_tEENKUlT_SE_SF_SG_E_clIS8_S8_S9_S9_EESD_ST_SE_SF_SG_EUlST_E0_NS1_11comp_targetILNS1_3genE8ELNS1_11target_archE1030ELNS1_3gpuE2ELNS1_3repE0EEENS1_38merge_mergepath_config_static_selectorELNS0_4arch9wavefront6targetE0EEEvSF_, .Lfunc_end33-_ZN7rocprim17ROCPRIM_400000_NS6detail17trampoline_kernelINS0_14default_configENS1_38merge_sort_block_merge_config_selectorIhNS0_10empty_typeEEEZZNS1_27merge_sort_block_merge_implIS3_PhPS5_jNS1_19radix_merge_compareILb1ELb0EhNS0_19identity_decomposerEEEEE10hipError_tT0_T1_T2_jT3_P12ihipStream_tbPNSt15iterator_traitsISE_E10value_typeEPNSK_ISF_E10value_typeEPSG_NS1_7vsmem_tEENKUlT_SE_SF_SG_E_clIS8_S8_S9_S9_EESD_ST_SE_SF_SG_EUlST_E0_NS1_11comp_targetILNS1_3genE8ELNS1_11target_archE1030ELNS1_3gpuE2ELNS1_3repE0EEENS1_38merge_mergepath_config_static_selectorELNS0_4arch9wavefront6targetE0EEEvSF_
                                        ; -- End function
	.set _ZN7rocprim17ROCPRIM_400000_NS6detail17trampoline_kernelINS0_14default_configENS1_38merge_sort_block_merge_config_selectorIhNS0_10empty_typeEEEZZNS1_27merge_sort_block_merge_implIS3_PhPS5_jNS1_19radix_merge_compareILb1ELb0EhNS0_19identity_decomposerEEEEE10hipError_tT0_T1_T2_jT3_P12ihipStream_tbPNSt15iterator_traitsISE_E10value_typeEPNSK_ISF_E10value_typeEPSG_NS1_7vsmem_tEENKUlT_SE_SF_SG_E_clIS8_S8_S9_S9_EESD_ST_SE_SF_SG_EUlST_E0_NS1_11comp_targetILNS1_3genE8ELNS1_11target_archE1030ELNS1_3gpuE2ELNS1_3repE0EEENS1_38merge_mergepath_config_static_selectorELNS0_4arch9wavefront6targetE0EEEvSF_.num_vgpr, 0
	.set _ZN7rocprim17ROCPRIM_400000_NS6detail17trampoline_kernelINS0_14default_configENS1_38merge_sort_block_merge_config_selectorIhNS0_10empty_typeEEEZZNS1_27merge_sort_block_merge_implIS3_PhPS5_jNS1_19radix_merge_compareILb1ELb0EhNS0_19identity_decomposerEEEEE10hipError_tT0_T1_T2_jT3_P12ihipStream_tbPNSt15iterator_traitsISE_E10value_typeEPNSK_ISF_E10value_typeEPSG_NS1_7vsmem_tEENKUlT_SE_SF_SG_E_clIS8_S8_S9_S9_EESD_ST_SE_SF_SG_EUlST_E0_NS1_11comp_targetILNS1_3genE8ELNS1_11target_archE1030ELNS1_3gpuE2ELNS1_3repE0EEENS1_38merge_mergepath_config_static_selectorELNS0_4arch9wavefront6targetE0EEEvSF_.num_agpr, 0
	.set _ZN7rocprim17ROCPRIM_400000_NS6detail17trampoline_kernelINS0_14default_configENS1_38merge_sort_block_merge_config_selectorIhNS0_10empty_typeEEEZZNS1_27merge_sort_block_merge_implIS3_PhPS5_jNS1_19radix_merge_compareILb1ELb0EhNS0_19identity_decomposerEEEEE10hipError_tT0_T1_T2_jT3_P12ihipStream_tbPNSt15iterator_traitsISE_E10value_typeEPNSK_ISF_E10value_typeEPSG_NS1_7vsmem_tEENKUlT_SE_SF_SG_E_clIS8_S8_S9_S9_EESD_ST_SE_SF_SG_EUlST_E0_NS1_11comp_targetILNS1_3genE8ELNS1_11target_archE1030ELNS1_3gpuE2ELNS1_3repE0EEENS1_38merge_mergepath_config_static_selectorELNS0_4arch9wavefront6targetE0EEEvSF_.numbered_sgpr, 0
	.set _ZN7rocprim17ROCPRIM_400000_NS6detail17trampoline_kernelINS0_14default_configENS1_38merge_sort_block_merge_config_selectorIhNS0_10empty_typeEEEZZNS1_27merge_sort_block_merge_implIS3_PhPS5_jNS1_19radix_merge_compareILb1ELb0EhNS0_19identity_decomposerEEEEE10hipError_tT0_T1_T2_jT3_P12ihipStream_tbPNSt15iterator_traitsISE_E10value_typeEPNSK_ISF_E10value_typeEPSG_NS1_7vsmem_tEENKUlT_SE_SF_SG_E_clIS8_S8_S9_S9_EESD_ST_SE_SF_SG_EUlST_E0_NS1_11comp_targetILNS1_3genE8ELNS1_11target_archE1030ELNS1_3gpuE2ELNS1_3repE0EEENS1_38merge_mergepath_config_static_selectorELNS0_4arch9wavefront6targetE0EEEvSF_.num_named_barrier, 0
	.set _ZN7rocprim17ROCPRIM_400000_NS6detail17trampoline_kernelINS0_14default_configENS1_38merge_sort_block_merge_config_selectorIhNS0_10empty_typeEEEZZNS1_27merge_sort_block_merge_implIS3_PhPS5_jNS1_19radix_merge_compareILb1ELb0EhNS0_19identity_decomposerEEEEE10hipError_tT0_T1_T2_jT3_P12ihipStream_tbPNSt15iterator_traitsISE_E10value_typeEPNSK_ISF_E10value_typeEPSG_NS1_7vsmem_tEENKUlT_SE_SF_SG_E_clIS8_S8_S9_S9_EESD_ST_SE_SF_SG_EUlST_E0_NS1_11comp_targetILNS1_3genE8ELNS1_11target_archE1030ELNS1_3gpuE2ELNS1_3repE0EEENS1_38merge_mergepath_config_static_selectorELNS0_4arch9wavefront6targetE0EEEvSF_.private_seg_size, 0
	.set _ZN7rocprim17ROCPRIM_400000_NS6detail17trampoline_kernelINS0_14default_configENS1_38merge_sort_block_merge_config_selectorIhNS0_10empty_typeEEEZZNS1_27merge_sort_block_merge_implIS3_PhPS5_jNS1_19radix_merge_compareILb1ELb0EhNS0_19identity_decomposerEEEEE10hipError_tT0_T1_T2_jT3_P12ihipStream_tbPNSt15iterator_traitsISE_E10value_typeEPNSK_ISF_E10value_typeEPSG_NS1_7vsmem_tEENKUlT_SE_SF_SG_E_clIS8_S8_S9_S9_EESD_ST_SE_SF_SG_EUlST_E0_NS1_11comp_targetILNS1_3genE8ELNS1_11target_archE1030ELNS1_3gpuE2ELNS1_3repE0EEENS1_38merge_mergepath_config_static_selectorELNS0_4arch9wavefront6targetE0EEEvSF_.uses_vcc, 0
	.set _ZN7rocprim17ROCPRIM_400000_NS6detail17trampoline_kernelINS0_14default_configENS1_38merge_sort_block_merge_config_selectorIhNS0_10empty_typeEEEZZNS1_27merge_sort_block_merge_implIS3_PhPS5_jNS1_19radix_merge_compareILb1ELb0EhNS0_19identity_decomposerEEEEE10hipError_tT0_T1_T2_jT3_P12ihipStream_tbPNSt15iterator_traitsISE_E10value_typeEPNSK_ISF_E10value_typeEPSG_NS1_7vsmem_tEENKUlT_SE_SF_SG_E_clIS8_S8_S9_S9_EESD_ST_SE_SF_SG_EUlST_E0_NS1_11comp_targetILNS1_3genE8ELNS1_11target_archE1030ELNS1_3gpuE2ELNS1_3repE0EEENS1_38merge_mergepath_config_static_selectorELNS0_4arch9wavefront6targetE0EEEvSF_.uses_flat_scratch, 0
	.set _ZN7rocprim17ROCPRIM_400000_NS6detail17trampoline_kernelINS0_14default_configENS1_38merge_sort_block_merge_config_selectorIhNS0_10empty_typeEEEZZNS1_27merge_sort_block_merge_implIS3_PhPS5_jNS1_19radix_merge_compareILb1ELb0EhNS0_19identity_decomposerEEEEE10hipError_tT0_T1_T2_jT3_P12ihipStream_tbPNSt15iterator_traitsISE_E10value_typeEPNSK_ISF_E10value_typeEPSG_NS1_7vsmem_tEENKUlT_SE_SF_SG_E_clIS8_S8_S9_S9_EESD_ST_SE_SF_SG_EUlST_E0_NS1_11comp_targetILNS1_3genE8ELNS1_11target_archE1030ELNS1_3gpuE2ELNS1_3repE0EEENS1_38merge_mergepath_config_static_selectorELNS0_4arch9wavefront6targetE0EEEvSF_.has_dyn_sized_stack, 0
	.set _ZN7rocprim17ROCPRIM_400000_NS6detail17trampoline_kernelINS0_14default_configENS1_38merge_sort_block_merge_config_selectorIhNS0_10empty_typeEEEZZNS1_27merge_sort_block_merge_implIS3_PhPS5_jNS1_19radix_merge_compareILb1ELb0EhNS0_19identity_decomposerEEEEE10hipError_tT0_T1_T2_jT3_P12ihipStream_tbPNSt15iterator_traitsISE_E10value_typeEPNSK_ISF_E10value_typeEPSG_NS1_7vsmem_tEENKUlT_SE_SF_SG_E_clIS8_S8_S9_S9_EESD_ST_SE_SF_SG_EUlST_E0_NS1_11comp_targetILNS1_3genE8ELNS1_11target_archE1030ELNS1_3gpuE2ELNS1_3repE0EEENS1_38merge_mergepath_config_static_selectorELNS0_4arch9wavefront6targetE0EEEvSF_.has_recursion, 0
	.set _ZN7rocprim17ROCPRIM_400000_NS6detail17trampoline_kernelINS0_14default_configENS1_38merge_sort_block_merge_config_selectorIhNS0_10empty_typeEEEZZNS1_27merge_sort_block_merge_implIS3_PhPS5_jNS1_19radix_merge_compareILb1ELb0EhNS0_19identity_decomposerEEEEE10hipError_tT0_T1_T2_jT3_P12ihipStream_tbPNSt15iterator_traitsISE_E10value_typeEPNSK_ISF_E10value_typeEPSG_NS1_7vsmem_tEENKUlT_SE_SF_SG_E_clIS8_S8_S9_S9_EESD_ST_SE_SF_SG_EUlST_E0_NS1_11comp_targetILNS1_3genE8ELNS1_11target_archE1030ELNS1_3gpuE2ELNS1_3repE0EEENS1_38merge_mergepath_config_static_selectorELNS0_4arch9wavefront6targetE0EEEvSF_.has_indirect_call, 0
	.section	.AMDGPU.csdata,"",@progbits
; Kernel info:
; codeLenInByte = 0
; TotalNumSgprs: 0
; NumVgprs: 0
; ScratchSize: 0
; MemoryBound: 0
; FloatMode: 240
; IeeeMode: 1
; LDSByteSize: 0 bytes/workgroup (compile time only)
; SGPRBlocks: 0
; VGPRBlocks: 0
; NumSGPRsForWavesPerEU: 1
; NumVGPRsForWavesPerEU: 1
; NamedBarCnt: 0
; Occupancy: 16
; WaveLimiterHint : 0
; COMPUTE_PGM_RSRC2:SCRATCH_EN: 0
; COMPUTE_PGM_RSRC2:USER_SGPR: 2
; COMPUTE_PGM_RSRC2:TRAP_HANDLER: 0
; COMPUTE_PGM_RSRC2:TGID_X_EN: 1
; COMPUTE_PGM_RSRC2:TGID_Y_EN: 0
; COMPUTE_PGM_RSRC2:TGID_Z_EN: 0
; COMPUTE_PGM_RSRC2:TIDIG_COMP_CNT: 0
	.section	.text._ZN7rocprim17ROCPRIM_400000_NS6detail17trampoline_kernelINS0_14default_configENS1_38merge_sort_block_merge_config_selectorIhNS0_10empty_typeEEEZZNS1_27merge_sort_block_merge_implIS3_PhPS5_jNS1_19radix_merge_compareILb1ELb0EhNS0_19identity_decomposerEEEEE10hipError_tT0_T1_T2_jT3_P12ihipStream_tbPNSt15iterator_traitsISE_E10value_typeEPNSK_ISF_E10value_typeEPSG_NS1_7vsmem_tEENKUlT_SE_SF_SG_E_clIS8_S8_S9_S9_EESD_ST_SE_SF_SG_EUlST_E1_NS1_11comp_targetILNS1_3genE0ELNS1_11target_archE4294967295ELNS1_3gpuE0ELNS1_3repE0EEENS1_36merge_oddeven_config_static_selectorELNS0_4arch9wavefront6targetE0EEEvSF_,"axG",@progbits,_ZN7rocprim17ROCPRIM_400000_NS6detail17trampoline_kernelINS0_14default_configENS1_38merge_sort_block_merge_config_selectorIhNS0_10empty_typeEEEZZNS1_27merge_sort_block_merge_implIS3_PhPS5_jNS1_19radix_merge_compareILb1ELb0EhNS0_19identity_decomposerEEEEE10hipError_tT0_T1_T2_jT3_P12ihipStream_tbPNSt15iterator_traitsISE_E10value_typeEPNSK_ISF_E10value_typeEPSG_NS1_7vsmem_tEENKUlT_SE_SF_SG_E_clIS8_S8_S9_S9_EESD_ST_SE_SF_SG_EUlST_E1_NS1_11comp_targetILNS1_3genE0ELNS1_11target_archE4294967295ELNS1_3gpuE0ELNS1_3repE0EEENS1_36merge_oddeven_config_static_selectorELNS0_4arch9wavefront6targetE0EEEvSF_,comdat
	.protected	_ZN7rocprim17ROCPRIM_400000_NS6detail17trampoline_kernelINS0_14default_configENS1_38merge_sort_block_merge_config_selectorIhNS0_10empty_typeEEEZZNS1_27merge_sort_block_merge_implIS3_PhPS5_jNS1_19radix_merge_compareILb1ELb0EhNS0_19identity_decomposerEEEEE10hipError_tT0_T1_T2_jT3_P12ihipStream_tbPNSt15iterator_traitsISE_E10value_typeEPNSK_ISF_E10value_typeEPSG_NS1_7vsmem_tEENKUlT_SE_SF_SG_E_clIS8_S8_S9_S9_EESD_ST_SE_SF_SG_EUlST_E1_NS1_11comp_targetILNS1_3genE0ELNS1_11target_archE4294967295ELNS1_3gpuE0ELNS1_3repE0EEENS1_36merge_oddeven_config_static_selectorELNS0_4arch9wavefront6targetE0EEEvSF_ ; -- Begin function _ZN7rocprim17ROCPRIM_400000_NS6detail17trampoline_kernelINS0_14default_configENS1_38merge_sort_block_merge_config_selectorIhNS0_10empty_typeEEEZZNS1_27merge_sort_block_merge_implIS3_PhPS5_jNS1_19radix_merge_compareILb1ELb0EhNS0_19identity_decomposerEEEEE10hipError_tT0_T1_T2_jT3_P12ihipStream_tbPNSt15iterator_traitsISE_E10value_typeEPNSK_ISF_E10value_typeEPSG_NS1_7vsmem_tEENKUlT_SE_SF_SG_E_clIS8_S8_S9_S9_EESD_ST_SE_SF_SG_EUlST_E1_NS1_11comp_targetILNS1_3genE0ELNS1_11target_archE4294967295ELNS1_3gpuE0ELNS1_3repE0EEENS1_36merge_oddeven_config_static_selectorELNS0_4arch9wavefront6targetE0EEEvSF_
	.globl	_ZN7rocprim17ROCPRIM_400000_NS6detail17trampoline_kernelINS0_14default_configENS1_38merge_sort_block_merge_config_selectorIhNS0_10empty_typeEEEZZNS1_27merge_sort_block_merge_implIS3_PhPS5_jNS1_19radix_merge_compareILb1ELb0EhNS0_19identity_decomposerEEEEE10hipError_tT0_T1_T2_jT3_P12ihipStream_tbPNSt15iterator_traitsISE_E10value_typeEPNSK_ISF_E10value_typeEPSG_NS1_7vsmem_tEENKUlT_SE_SF_SG_E_clIS8_S8_S9_S9_EESD_ST_SE_SF_SG_EUlST_E1_NS1_11comp_targetILNS1_3genE0ELNS1_11target_archE4294967295ELNS1_3gpuE0ELNS1_3repE0EEENS1_36merge_oddeven_config_static_selectorELNS0_4arch9wavefront6targetE0EEEvSF_
	.p2align	8
	.type	_ZN7rocprim17ROCPRIM_400000_NS6detail17trampoline_kernelINS0_14default_configENS1_38merge_sort_block_merge_config_selectorIhNS0_10empty_typeEEEZZNS1_27merge_sort_block_merge_implIS3_PhPS5_jNS1_19radix_merge_compareILb1ELb0EhNS0_19identity_decomposerEEEEE10hipError_tT0_T1_T2_jT3_P12ihipStream_tbPNSt15iterator_traitsISE_E10value_typeEPNSK_ISF_E10value_typeEPSG_NS1_7vsmem_tEENKUlT_SE_SF_SG_E_clIS8_S8_S9_S9_EESD_ST_SE_SF_SG_EUlST_E1_NS1_11comp_targetILNS1_3genE0ELNS1_11target_archE4294967295ELNS1_3gpuE0ELNS1_3repE0EEENS1_36merge_oddeven_config_static_selectorELNS0_4arch9wavefront6targetE0EEEvSF_,@function
_ZN7rocprim17ROCPRIM_400000_NS6detail17trampoline_kernelINS0_14default_configENS1_38merge_sort_block_merge_config_selectorIhNS0_10empty_typeEEEZZNS1_27merge_sort_block_merge_implIS3_PhPS5_jNS1_19radix_merge_compareILb1ELb0EhNS0_19identity_decomposerEEEEE10hipError_tT0_T1_T2_jT3_P12ihipStream_tbPNSt15iterator_traitsISE_E10value_typeEPNSK_ISF_E10value_typeEPSG_NS1_7vsmem_tEENKUlT_SE_SF_SG_E_clIS8_S8_S9_S9_EESD_ST_SE_SF_SG_EUlST_E1_NS1_11comp_targetILNS1_3genE0ELNS1_11target_archE4294967295ELNS1_3gpuE0ELNS1_3repE0EEENS1_36merge_oddeven_config_static_selectorELNS0_4arch9wavefront6targetE0EEEvSF_: ; @_ZN7rocprim17ROCPRIM_400000_NS6detail17trampoline_kernelINS0_14default_configENS1_38merge_sort_block_merge_config_selectorIhNS0_10empty_typeEEEZZNS1_27merge_sort_block_merge_implIS3_PhPS5_jNS1_19radix_merge_compareILb1ELb0EhNS0_19identity_decomposerEEEEE10hipError_tT0_T1_T2_jT3_P12ihipStream_tbPNSt15iterator_traitsISE_E10value_typeEPNSK_ISF_E10value_typeEPSG_NS1_7vsmem_tEENKUlT_SE_SF_SG_E_clIS8_S8_S9_S9_EESD_ST_SE_SF_SG_EUlST_E1_NS1_11comp_targetILNS1_3genE0ELNS1_11target_archE4294967295ELNS1_3gpuE0ELNS1_3repE0EEENS1_36merge_oddeven_config_static_selectorELNS0_4arch9wavefront6targetE0EEEvSF_
; %bb.0:
	s_load_b32 s10, s[0:1], 0x20
	s_bfe_u32 s2, ttmp6, 0x4000c
	s_and_b32 s3, ttmp6, 15
	s_add_co_i32 s2, s2, 1
	s_getreg_b32 s4, hwreg(HW_REG_IB_STS2, 6, 4)
	s_mul_i32 s2, ttmp9, s2
	s_mov_b32 s9, 0
	s_add_co_i32 s3, s3, s2
	s_cmp_eq_u32 s4, 0
	s_cselect_b32 s13, ttmp9, s3
	s_wait_kmcnt 0x0
	s_lshr_b32 s2, s10, 8
	s_delay_alu instid0(SALU_CYCLE_1) | instskip(SKIP_4) | instid1(SALU_CYCLE_1)
	s_cmp_lg_u32 s13, s2
	s_cselect_b32 s3, -1, 0
	s_cmp_eq_u32 s13, s2
	s_cselect_b32 s11, -1, 0
	s_lshl_b32 s8, s13, 8
	s_sub_co_i32 s2, s10, s8
	s_delay_alu instid0(SALU_CYCLE_1) | instskip(SKIP_1) | instid1(SALU_CYCLE_1)
	v_cmp_gt_u32_e64 s2, s2, v0
	s_or_b32 s4, s3, s2
	s_and_saveexec_b32 s5, s4
	s_cbranch_execz .LBB34_20
; %bb.1:
	s_clause 0x1
	s_load_b128 s[4:7], s[0:1], 0x0
	s_load_b32 s12, s[0:1], 0x24
	v_add_nc_u32_e32 v2, s8, v0
	s_wait_kmcnt 0x0
	s_add_nc_u64 s[0:1], s[4:5], s[8:9]
	global_load_u8 v1, v0, s[0:1]
	s_wait_xcnt 0x0
	s_lshr_b32 s0, s12, 8
	s_delay_alu instid0(SALU_CYCLE_1) | instskip(NEXT) | instid1(SALU_CYCLE_1)
	s_sub_co_i32 s1, 0, s0
	s_and_b32 s1, s13, s1
	s_delay_alu instid0(SALU_CYCLE_1) | instskip(SKIP_4) | instid1(SALU_CYCLE_1)
	s_and_b32 s0, s1, s0
	s_lshl_b32 s13, s1, 8
	s_sub_co_i32 s1, 0, s12
	s_cmp_eq_u32 s0, 0
	s_cselect_b32 s0, -1, 0
	s_and_b32 s14, s0, exec_lo
	s_cselect_b32 s1, s12, s1
	s_delay_alu instid0(SALU_CYCLE_1) | instskip(NEXT) | instid1(SALU_CYCLE_1)
	s_add_co_i32 s1, s1, s13
	s_cmp_gt_u32 s10, s1
	s_cbranch_scc1 .LBB34_3
; %bb.2:
	v_cmp_gt_u32_e32 vcc_lo, s10, v2
	s_or_b32 s8, vcc_lo, s3
	s_delay_alu instid0(SALU_CYCLE_1)
	s_and_b32 s9, s8, exec_lo
	s_cbranch_execz .LBB34_4
	s_branch .LBB34_18
.LBB34_3:
.LBB34_4:
	s_min_u32 s3, s1, s10
	s_and_b32 vcc_lo, exec_lo, s11
	s_add_co_i32 s8, s13, s3
	s_add_co_i32 s12, s3, s12
	v_subrev_nc_u32_e32 v0, s8, v2
	s_min_u32 s8, s13, s3
	s_delay_alu instid0(VALU_DEP_1) | instid1(SALU_CYCLE_1)
	v_add_nc_u32_e32 v0, s8, v0
	s_min_u32 s8, s12, s10
	s_cbranch_vccz .LBB34_12
; %bb.5:
                                        ; implicit-def: $vgpr2
	s_and_saveexec_b32 s10, s2
	s_cbranch_execz .LBB34_11
; %bb.6:
	v_mov_b32_e32 v2, s3
	s_cmp_ge_u32 s1, s8
	s_cbranch_scc1 .LBB34_10
; %bb.7:
	v_dual_mov_b32 v3, s8 :: v_dual_mov_b32 v2, s3
	s_wait_loadcnt 0x0
	v_and_b32_e32 v4, 0xff, v1
	s_mov_b32 s2, 0
.LBB34_8:                               ; =>This Inner Loop Header: Depth=1
	s_delay_alu instid0(VALU_DEP_2) | instskip(NEXT) | instid1(VALU_DEP_1)
	v_add_nc_u32_e32 v5, v2, v3
	v_lshrrev_b32_e32 v5, 1, v5
	global_load_u8 v6, v5, s[4:5]
	s_wait_loadcnt 0x0
	v_cmp_gt_u16_e32 vcc_lo, v6, v4
	v_cndmask_b32_e64 v7, 0, 1, vcc_lo
	v_cmp_le_u16_e32 vcc_lo, v4, v6
	v_cndmask_b32_e64 v6, 0, 1, vcc_lo
	s_delay_alu instid0(VALU_DEP_1) | instskip(NEXT) | instid1(VALU_DEP_1)
	v_cndmask_b32_e64 v6, v6, v7, s0
	v_and_b32_e32 v6, 1, v6
	s_delay_alu instid0(VALU_DEP_1) | instskip(SKIP_1) | instid1(VALU_DEP_1)
	v_cmp_eq_u32_e32 vcc_lo, 1, v6
	v_dual_add_nc_u32 v7, 1, v5 :: v_dual_cndmask_b32 v3, v5, v3, vcc_lo
	v_cndmask_b32_e32 v2, v2, v7, vcc_lo
	s_delay_alu instid0(VALU_DEP_1) | instskip(SKIP_1) | instid1(SALU_CYCLE_1)
	v_cmp_ge_u32_e32 vcc_lo, v2, v3
	s_or_b32 s2, vcc_lo, s2
	s_and_not1_b32 exec_lo, exec_lo, s2
	s_cbranch_execnz .LBB34_8
; %bb.9:
	s_or_b32 exec_lo, exec_lo, s2
.LBB34_10:
	s_delay_alu instid0(VALU_DEP_1)
	v_add_nc_u32_e32 v2, v2, v0
	s_or_b32 s9, s9, exec_lo
.LBB34_11:
	s_or_b32 exec_lo, exec_lo, s10
	s_branch .LBB34_18
.LBB34_12:
                                        ; implicit-def: $vgpr2
	s_cbranch_execz .LBB34_18
; %bb.13:
	v_mov_b32_e32 v2, s3
	s_cmp_ge_u32 s1, s8
	s_cbranch_scc1 .LBB34_17
; %bb.14:
	v_dual_mov_b32 v3, s8 :: v_dual_mov_b32 v2, s3
	s_wait_loadcnt 0x0
	v_and_b32_e32 v4, 0xff, v1
	s_mov_b32 s1, 0
.LBB34_15:                              ; =>This Inner Loop Header: Depth=1
	s_delay_alu instid0(VALU_DEP_2) | instskip(NEXT) | instid1(VALU_DEP_1)
	v_add_nc_u32_e32 v5, v2, v3
	v_lshrrev_b32_e32 v5, 1, v5
	global_load_u8 v6, v5, s[4:5]
	s_wait_loadcnt 0x0
	v_cmp_gt_u16_e32 vcc_lo, v6, v4
	v_cndmask_b32_e64 v7, 0, 1, vcc_lo
	v_cmp_le_u16_e32 vcc_lo, v4, v6
	v_cndmask_b32_e64 v6, 0, 1, vcc_lo
	s_delay_alu instid0(VALU_DEP_1) | instskip(NEXT) | instid1(VALU_DEP_1)
	v_cndmask_b32_e64 v6, v6, v7, s0
	v_and_b32_e32 v6, 1, v6
	s_delay_alu instid0(VALU_DEP_1) | instskip(SKIP_1) | instid1(VALU_DEP_1)
	v_cmp_eq_u32_e32 vcc_lo, 1, v6
	v_dual_add_nc_u32 v7, 1, v5 :: v_dual_cndmask_b32 v3, v5, v3, vcc_lo
	v_cndmask_b32_e32 v2, v2, v7, vcc_lo
	s_delay_alu instid0(VALU_DEP_1) | instskip(SKIP_1) | instid1(SALU_CYCLE_1)
	v_cmp_ge_u32_e32 vcc_lo, v2, v3
	s_or_b32 s1, vcc_lo, s1
	s_and_not1_b32 exec_lo, exec_lo, s1
	s_cbranch_execnz .LBB34_15
; %bb.16:
	s_or_b32 exec_lo, exec_lo, s1
.LBB34_17:
	s_delay_alu instid0(VALU_DEP_1)
	v_add_nc_u32_e32 v2, v2, v0
	s_mov_b32 s9, -1
.LBB34_18:
	s_delay_alu instid0(SALU_CYCLE_1)
	s_and_b32 exec_lo, exec_lo, s9
	s_cbranch_execz .LBB34_20
; %bb.19:
	s_wait_loadcnt 0x0
	global_store_b8 v2, v1, s[6:7]
.LBB34_20:
	s_endpgm
	.section	.rodata,"a",@progbits
	.p2align	6, 0x0
	.amdhsa_kernel _ZN7rocprim17ROCPRIM_400000_NS6detail17trampoline_kernelINS0_14default_configENS1_38merge_sort_block_merge_config_selectorIhNS0_10empty_typeEEEZZNS1_27merge_sort_block_merge_implIS3_PhPS5_jNS1_19radix_merge_compareILb1ELb0EhNS0_19identity_decomposerEEEEE10hipError_tT0_T1_T2_jT3_P12ihipStream_tbPNSt15iterator_traitsISE_E10value_typeEPNSK_ISF_E10value_typeEPSG_NS1_7vsmem_tEENKUlT_SE_SF_SG_E_clIS8_S8_S9_S9_EESD_ST_SE_SF_SG_EUlST_E1_NS1_11comp_targetILNS1_3genE0ELNS1_11target_archE4294967295ELNS1_3gpuE0ELNS1_3repE0EEENS1_36merge_oddeven_config_static_selectorELNS0_4arch9wavefront6targetE0EEEvSF_
		.amdhsa_group_segment_fixed_size 0
		.amdhsa_private_segment_fixed_size 0
		.amdhsa_kernarg_size 48
		.amdhsa_user_sgpr_count 2
		.amdhsa_user_sgpr_dispatch_ptr 0
		.amdhsa_user_sgpr_queue_ptr 0
		.amdhsa_user_sgpr_kernarg_segment_ptr 1
		.amdhsa_user_sgpr_dispatch_id 0
		.amdhsa_user_sgpr_kernarg_preload_length 0
		.amdhsa_user_sgpr_kernarg_preload_offset 0
		.amdhsa_user_sgpr_private_segment_size 0
		.amdhsa_wavefront_size32 1
		.amdhsa_uses_dynamic_stack 0
		.amdhsa_enable_private_segment 0
		.amdhsa_system_sgpr_workgroup_id_x 1
		.amdhsa_system_sgpr_workgroup_id_y 0
		.amdhsa_system_sgpr_workgroup_id_z 0
		.amdhsa_system_sgpr_workgroup_info 0
		.amdhsa_system_vgpr_workitem_id 0
		.amdhsa_next_free_vgpr 8
		.amdhsa_next_free_sgpr 15
		.amdhsa_named_barrier_count 0
		.amdhsa_reserve_vcc 1
		.amdhsa_float_round_mode_32 0
		.amdhsa_float_round_mode_16_64 0
		.amdhsa_float_denorm_mode_32 3
		.amdhsa_float_denorm_mode_16_64 3
		.amdhsa_fp16_overflow 0
		.amdhsa_memory_ordered 1
		.amdhsa_forward_progress 1
		.amdhsa_inst_pref_size 6
		.amdhsa_round_robin_scheduling 0
		.amdhsa_exception_fp_ieee_invalid_op 0
		.amdhsa_exception_fp_denorm_src 0
		.amdhsa_exception_fp_ieee_div_zero 0
		.amdhsa_exception_fp_ieee_overflow 0
		.amdhsa_exception_fp_ieee_underflow 0
		.amdhsa_exception_fp_ieee_inexact 0
		.amdhsa_exception_int_div_zero 0
	.end_amdhsa_kernel
	.section	.text._ZN7rocprim17ROCPRIM_400000_NS6detail17trampoline_kernelINS0_14default_configENS1_38merge_sort_block_merge_config_selectorIhNS0_10empty_typeEEEZZNS1_27merge_sort_block_merge_implIS3_PhPS5_jNS1_19radix_merge_compareILb1ELb0EhNS0_19identity_decomposerEEEEE10hipError_tT0_T1_T2_jT3_P12ihipStream_tbPNSt15iterator_traitsISE_E10value_typeEPNSK_ISF_E10value_typeEPSG_NS1_7vsmem_tEENKUlT_SE_SF_SG_E_clIS8_S8_S9_S9_EESD_ST_SE_SF_SG_EUlST_E1_NS1_11comp_targetILNS1_3genE0ELNS1_11target_archE4294967295ELNS1_3gpuE0ELNS1_3repE0EEENS1_36merge_oddeven_config_static_selectorELNS0_4arch9wavefront6targetE0EEEvSF_,"axG",@progbits,_ZN7rocprim17ROCPRIM_400000_NS6detail17trampoline_kernelINS0_14default_configENS1_38merge_sort_block_merge_config_selectorIhNS0_10empty_typeEEEZZNS1_27merge_sort_block_merge_implIS3_PhPS5_jNS1_19radix_merge_compareILb1ELb0EhNS0_19identity_decomposerEEEEE10hipError_tT0_T1_T2_jT3_P12ihipStream_tbPNSt15iterator_traitsISE_E10value_typeEPNSK_ISF_E10value_typeEPSG_NS1_7vsmem_tEENKUlT_SE_SF_SG_E_clIS8_S8_S9_S9_EESD_ST_SE_SF_SG_EUlST_E1_NS1_11comp_targetILNS1_3genE0ELNS1_11target_archE4294967295ELNS1_3gpuE0ELNS1_3repE0EEENS1_36merge_oddeven_config_static_selectorELNS0_4arch9wavefront6targetE0EEEvSF_,comdat
.Lfunc_end34:
	.size	_ZN7rocprim17ROCPRIM_400000_NS6detail17trampoline_kernelINS0_14default_configENS1_38merge_sort_block_merge_config_selectorIhNS0_10empty_typeEEEZZNS1_27merge_sort_block_merge_implIS3_PhPS5_jNS1_19radix_merge_compareILb1ELb0EhNS0_19identity_decomposerEEEEE10hipError_tT0_T1_T2_jT3_P12ihipStream_tbPNSt15iterator_traitsISE_E10value_typeEPNSK_ISF_E10value_typeEPSG_NS1_7vsmem_tEENKUlT_SE_SF_SG_E_clIS8_S8_S9_S9_EESD_ST_SE_SF_SG_EUlST_E1_NS1_11comp_targetILNS1_3genE0ELNS1_11target_archE4294967295ELNS1_3gpuE0ELNS1_3repE0EEENS1_36merge_oddeven_config_static_selectorELNS0_4arch9wavefront6targetE0EEEvSF_, .Lfunc_end34-_ZN7rocprim17ROCPRIM_400000_NS6detail17trampoline_kernelINS0_14default_configENS1_38merge_sort_block_merge_config_selectorIhNS0_10empty_typeEEEZZNS1_27merge_sort_block_merge_implIS3_PhPS5_jNS1_19radix_merge_compareILb1ELb0EhNS0_19identity_decomposerEEEEE10hipError_tT0_T1_T2_jT3_P12ihipStream_tbPNSt15iterator_traitsISE_E10value_typeEPNSK_ISF_E10value_typeEPSG_NS1_7vsmem_tEENKUlT_SE_SF_SG_E_clIS8_S8_S9_S9_EESD_ST_SE_SF_SG_EUlST_E1_NS1_11comp_targetILNS1_3genE0ELNS1_11target_archE4294967295ELNS1_3gpuE0ELNS1_3repE0EEENS1_36merge_oddeven_config_static_selectorELNS0_4arch9wavefront6targetE0EEEvSF_
                                        ; -- End function
	.set _ZN7rocprim17ROCPRIM_400000_NS6detail17trampoline_kernelINS0_14default_configENS1_38merge_sort_block_merge_config_selectorIhNS0_10empty_typeEEEZZNS1_27merge_sort_block_merge_implIS3_PhPS5_jNS1_19radix_merge_compareILb1ELb0EhNS0_19identity_decomposerEEEEE10hipError_tT0_T1_T2_jT3_P12ihipStream_tbPNSt15iterator_traitsISE_E10value_typeEPNSK_ISF_E10value_typeEPSG_NS1_7vsmem_tEENKUlT_SE_SF_SG_E_clIS8_S8_S9_S9_EESD_ST_SE_SF_SG_EUlST_E1_NS1_11comp_targetILNS1_3genE0ELNS1_11target_archE4294967295ELNS1_3gpuE0ELNS1_3repE0EEENS1_36merge_oddeven_config_static_selectorELNS0_4arch9wavefront6targetE0EEEvSF_.num_vgpr, 8
	.set _ZN7rocprim17ROCPRIM_400000_NS6detail17trampoline_kernelINS0_14default_configENS1_38merge_sort_block_merge_config_selectorIhNS0_10empty_typeEEEZZNS1_27merge_sort_block_merge_implIS3_PhPS5_jNS1_19radix_merge_compareILb1ELb0EhNS0_19identity_decomposerEEEEE10hipError_tT0_T1_T2_jT3_P12ihipStream_tbPNSt15iterator_traitsISE_E10value_typeEPNSK_ISF_E10value_typeEPSG_NS1_7vsmem_tEENKUlT_SE_SF_SG_E_clIS8_S8_S9_S9_EESD_ST_SE_SF_SG_EUlST_E1_NS1_11comp_targetILNS1_3genE0ELNS1_11target_archE4294967295ELNS1_3gpuE0ELNS1_3repE0EEENS1_36merge_oddeven_config_static_selectorELNS0_4arch9wavefront6targetE0EEEvSF_.num_agpr, 0
	.set _ZN7rocprim17ROCPRIM_400000_NS6detail17trampoline_kernelINS0_14default_configENS1_38merge_sort_block_merge_config_selectorIhNS0_10empty_typeEEEZZNS1_27merge_sort_block_merge_implIS3_PhPS5_jNS1_19radix_merge_compareILb1ELb0EhNS0_19identity_decomposerEEEEE10hipError_tT0_T1_T2_jT3_P12ihipStream_tbPNSt15iterator_traitsISE_E10value_typeEPNSK_ISF_E10value_typeEPSG_NS1_7vsmem_tEENKUlT_SE_SF_SG_E_clIS8_S8_S9_S9_EESD_ST_SE_SF_SG_EUlST_E1_NS1_11comp_targetILNS1_3genE0ELNS1_11target_archE4294967295ELNS1_3gpuE0ELNS1_3repE0EEENS1_36merge_oddeven_config_static_selectorELNS0_4arch9wavefront6targetE0EEEvSF_.numbered_sgpr, 15
	.set _ZN7rocprim17ROCPRIM_400000_NS6detail17trampoline_kernelINS0_14default_configENS1_38merge_sort_block_merge_config_selectorIhNS0_10empty_typeEEEZZNS1_27merge_sort_block_merge_implIS3_PhPS5_jNS1_19radix_merge_compareILb1ELb0EhNS0_19identity_decomposerEEEEE10hipError_tT0_T1_T2_jT3_P12ihipStream_tbPNSt15iterator_traitsISE_E10value_typeEPNSK_ISF_E10value_typeEPSG_NS1_7vsmem_tEENKUlT_SE_SF_SG_E_clIS8_S8_S9_S9_EESD_ST_SE_SF_SG_EUlST_E1_NS1_11comp_targetILNS1_3genE0ELNS1_11target_archE4294967295ELNS1_3gpuE0ELNS1_3repE0EEENS1_36merge_oddeven_config_static_selectorELNS0_4arch9wavefront6targetE0EEEvSF_.num_named_barrier, 0
	.set _ZN7rocprim17ROCPRIM_400000_NS6detail17trampoline_kernelINS0_14default_configENS1_38merge_sort_block_merge_config_selectorIhNS0_10empty_typeEEEZZNS1_27merge_sort_block_merge_implIS3_PhPS5_jNS1_19radix_merge_compareILb1ELb0EhNS0_19identity_decomposerEEEEE10hipError_tT0_T1_T2_jT3_P12ihipStream_tbPNSt15iterator_traitsISE_E10value_typeEPNSK_ISF_E10value_typeEPSG_NS1_7vsmem_tEENKUlT_SE_SF_SG_E_clIS8_S8_S9_S9_EESD_ST_SE_SF_SG_EUlST_E1_NS1_11comp_targetILNS1_3genE0ELNS1_11target_archE4294967295ELNS1_3gpuE0ELNS1_3repE0EEENS1_36merge_oddeven_config_static_selectorELNS0_4arch9wavefront6targetE0EEEvSF_.private_seg_size, 0
	.set _ZN7rocprim17ROCPRIM_400000_NS6detail17trampoline_kernelINS0_14default_configENS1_38merge_sort_block_merge_config_selectorIhNS0_10empty_typeEEEZZNS1_27merge_sort_block_merge_implIS3_PhPS5_jNS1_19radix_merge_compareILb1ELb0EhNS0_19identity_decomposerEEEEE10hipError_tT0_T1_T2_jT3_P12ihipStream_tbPNSt15iterator_traitsISE_E10value_typeEPNSK_ISF_E10value_typeEPSG_NS1_7vsmem_tEENKUlT_SE_SF_SG_E_clIS8_S8_S9_S9_EESD_ST_SE_SF_SG_EUlST_E1_NS1_11comp_targetILNS1_3genE0ELNS1_11target_archE4294967295ELNS1_3gpuE0ELNS1_3repE0EEENS1_36merge_oddeven_config_static_selectorELNS0_4arch9wavefront6targetE0EEEvSF_.uses_vcc, 1
	.set _ZN7rocprim17ROCPRIM_400000_NS6detail17trampoline_kernelINS0_14default_configENS1_38merge_sort_block_merge_config_selectorIhNS0_10empty_typeEEEZZNS1_27merge_sort_block_merge_implIS3_PhPS5_jNS1_19radix_merge_compareILb1ELb0EhNS0_19identity_decomposerEEEEE10hipError_tT0_T1_T2_jT3_P12ihipStream_tbPNSt15iterator_traitsISE_E10value_typeEPNSK_ISF_E10value_typeEPSG_NS1_7vsmem_tEENKUlT_SE_SF_SG_E_clIS8_S8_S9_S9_EESD_ST_SE_SF_SG_EUlST_E1_NS1_11comp_targetILNS1_3genE0ELNS1_11target_archE4294967295ELNS1_3gpuE0ELNS1_3repE0EEENS1_36merge_oddeven_config_static_selectorELNS0_4arch9wavefront6targetE0EEEvSF_.uses_flat_scratch, 0
	.set _ZN7rocprim17ROCPRIM_400000_NS6detail17trampoline_kernelINS0_14default_configENS1_38merge_sort_block_merge_config_selectorIhNS0_10empty_typeEEEZZNS1_27merge_sort_block_merge_implIS3_PhPS5_jNS1_19radix_merge_compareILb1ELb0EhNS0_19identity_decomposerEEEEE10hipError_tT0_T1_T2_jT3_P12ihipStream_tbPNSt15iterator_traitsISE_E10value_typeEPNSK_ISF_E10value_typeEPSG_NS1_7vsmem_tEENKUlT_SE_SF_SG_E_clIS8_S8_S9_S9_EESD_ST_SE_SF_SG_EUlST_E1_NS1_11comp_targetILNS1_3genE0ELNS1_11target_archE4294967295ELNS1_3gpuE0ELNS1_3repE0EEENS1_36merge_oddeven_config_static_selectorELNS0_4arch9wavefront6targetE0EEEvSF_.has_dyn_sized_stack, 0
	.set _ZN7rocprim17ROCPRIM_400000_NS6detail17trampoline_kernelINS0_14default_configENS1_38merge_sort_block_merge_config_selectorIhNS0_10empty_typeEEEZZNS1_27merge_sort_block_merge_implIS3_PhPS5_jNS1_19radix_merge_compareILb1ELb0EhNS0_19identity_decomposerEEEEE10hipError_tT0_T1_T2_jT3_P12ihipStream_tbPNSt15iterator_traitsISE_E10value_typeEPNSK_ISF_E10value_typeEPSG_NS1_7vsmem_tEENKUlT_SE_SF_SG_E_clIS8_S8_S9_S9_EESD_ST_SE_SF_SG_EUlST_E1_NS1_11comp_targetILNS1_3genE0ELNS1_11target_archE4294967295ELNS1_3gpuE0ELNS1_3repE0EEENS1_36merge_oddeven_config_static_selectorELNS0_4arch9wavefront6targetE0EEEvSF_.has_recursion, 0
	.set _ZN7rocprim17ROCPRIM_400000_NS6detail17trampoline_kernelINS0_14default_configENS1_38merge_sort_block_merge_config_selectorIhNS0_10empty_typeEEEZZNS1_27merge_sort_block_merge_implIS3_PhPS5_jNS1_19radix_merge_compareILb1ELb0EhNS0_19identity_decomposerEEEEE10hipError_tT0_T1_T2_jT3_P12ihipStream_tbPNSt15iterator_traitsISE_E10value_typeEPNSK_ISF_E10value_typeEPSG_NS1_7vsmem_tEENKUlT_SE_SF_SG_E_clIS8_S8_S9_S9_EESD_ST_SE_SF_SG_EUlST_E1_NS1_11comp_targetILNS1_3genE0ELNS1_11target_archE4294967295ELNS1_3gpuE0ELNS1_3repE0EEENS1_36merge_oddeven_config_static_selectorELNS0_4arch9wavefront6targetE0EEEvSF_.has_indirect_call, 0
	.section	.AMDGPU.csdata,"",@progbits
; Kernel info:
; codeLenInByte = 664
; TotalNumSgprs: 17
; NumVgprs: 8
; ScratchSize: 0
; MemoryBound: 0
; FloatMode: 240
; IeeeMode: 1
; LDSByteSize: 0 bytes/workgroup (compile time only)
; SGPRBlocks: 0
; VGPRBlocks: 0
; NumSGPRsForWavesPerEU: 17
; NumVGPRsForWavesPerEU: 8
; NamedBarCnt: 0
; Occupancy: 16
; WaveLimiterHint : 0
; COMPUTE_PGM_RSRC2:SCRATCH_EN: 0
; COMPUTE_PGM_RSRC2:USER_SGPR: 2
; COMPUTE_PGM_RSRC2:TRAP_HANDLER: 0
; COMPUTE_PGM_RSRC2:TGID_X_EN: 1
; COMPUTE_PGM_RSRC2:TGID_Y_EN: 0
; COMPUTE_PGM_RSRC2:TGID_Z_EN: 0
; COMPUTE_PGM_RSRC2:TIDIG_COMP_CNT: 0
	.section	.text._ZN7rocprim17ROCPRIM_400000_NS6detail17trampoline_kernelINS0_14default_configENS1_38merge_sort_block_merge_config_selectorIhNS0_10empty_typeEEEZZNS1_27merge_sort_block_merge_implIS3_PhPS5_jNS1_19radix_merge_compareILb1ELb0EhNS0_19identity_decomposerEEEEE10hipError_tT0_T1_T2_jT3_P12ihipStream_tbPNSt15iterator_traitsISE_E10value_typeEPNSK_ISF_E10value_typeEPSG_NS1_7vsmem_tEENKUlT_SE_SF_SG_E_clIS8_S8_S9_S9_EESD_ST_SE_SF_SG_EUlST_E1_NS1_11comp_targetILNS1_3genE10ELNS1_11target_archE1201ELNS1_3gpuE5ELNS1_3repE0EEENS1_36merge_oddeven_config_static_selectorELNS0_4arch9wavefront6targetE0EEEvSF_,"axG",@progbits,_ZN7rocprim17ROCPRIM_400000_NS6detail17trampoline_kernelINS0_14default_configENS1_38merge_sort_block_merge_config_selectorIhNS0_10empty_typeEEEZZNS1_27merge_sort_block_merge_implIS3_PhPS5_jNS1_19radix_merge_compareILb1ELb0EhNS0_19identity_decomposerEEEEE10hipError_tT0_T1_T2_jT3_P12ihipStream_tbPNSt15iterator_traitsISE_E10value_typeEPNSK_ISF_E10value_typeEPSG_NS1_7vsmem_tEENKUlT_SE_SF_SG_E_clIS8_S8_S9_S9_EESD_ST_SE_SF_SG_EUlST_E1_NS1_11comp_targetILNS1_3genE10ELNS1_11target_archE1201ELNS1_3gpuE5ELNS1_3repE0EEENS1_36merge_oddeven_config_static_selectorELNS0_4arch9wavefront6targetE0EEEvSF_,comdat
	.protected	_ZN7rocprim17ROCPRIM_400000_NS6detail17trampoline_kernelINS0_14default_configENS1_38merge_sort_block_merge_config_selectorIhNS0_10empty_typeEEEZZNS1_27merge_sort_block_merge_implIS3_PhPS5_jNS1_19radix_merge_compareILb1ELb0EhNS0_19identity_decomposerEEEEE10hipError_tT0_T1_T2_jT3_P12ihipStream_tbPNSt15iterator_traitsISE_E10value_typeEPNSK_ISF_E10value_typeEPSG_NS1_7vsmem_tEENKUlT_SE_SF_SG_E_clIS8_S8_S9_S9_EESD_ST_SE_SF_SG_EUlST_E1_NS1_11comp_targetILNS1_3genE10ELNS1_11target_archE1201ELNS1_3gpuE5ELNS1_3repE0EEENS1_36merge_oddeven_config_static_selectorELNS0_4arch9wavefront6targetE0EEEvSF_ ; -- Begin function _ZN7rocprim17ROCPRIM_400000_NS6detail17trampoline_kernelINS0_14default_configENS1_38merge_sort_block_merge_config_selectorIhNS0_10empty_typeEEEZZNS1_27merge_sort_block_merge_implIS3_PhPS5_jNS1_19radix_merge_compareILb1ELb0EhNS0_19identity_decomposerEEEEE10hipError_tT0_T1_T2_jT3_P12ihipStream_tbPNSt15iterator_traitsISE_E10value_typeEPNSK_ISF_E10value_typeEPSG_NS1_7vsmem_tEENKUlT_SE_SF_SG_E_clIS8_S8_S9_S9_EESD_ST_SE_SF_SG_EUlST_E1_NS1_11comp_targetILNS1_3genE10ELNS1_11target_archE1201ELNS1_3gpuE5ELNS1_3repE0EEENS1_36merge_oddeven_config_static_selectorELNS0_4arch9wavefront6targetE0EEEvSF_
	.globl	_ZN7rocprim17ROCPRIM_400000_NS6detail17trampoline_kernelINS0_14default_configENS1_38merge_sort_block_merge_config_selectorIhNS0_10empty_typeEEEZZNS1_27merge_sort_block_merge_implIS3_PhPS5_jNS1_19radix_merge_compareILb1ELb0EhNS0_19identity_decomposerEEEEE10hipError_tT0_T1_T2_jT3_P12ihipStream_tbPNSt15iterator_traitsISE_E10value_typeEPNSK_ISF_E10value_typeEPSG_NS1_7vsmem_tEENKUlT_SE_SF_SG_E_clIS8_S8_S9_S9_EESD_ST_SE_SF_SG_EUlST_E1_NS1_11comp_targetILNS1_3genE10ELNS1_11target_archE1201ELNS1_3gpuE5ELNS1_3repE0EEENS1_36merge_oddeven_config_static_selectorELNS0_4arch9wavefront6targetE0EEEvSF_
	.p2align	8
	.type	_ZN7rocprim17ROCPRIM_400000_NS6detail17trampoline_kernelINS0_14default_configENS1_38merge_sort_block_merge_config_selectorIhNS0_10empty_typeEEEZZNS1_27merge_sort_block_merge_implIS3_PhPS5_jNS1_19radix_merge_compareILb1ELb0EhNS0_19identity_decomposerEEEEE10hipError_tT0_T1_T2_jT3_P12ihipStream_tbPNSt15iterator_traitsISE_E10value_typeEPNSK_ISF_E10value_typeEPSG_NS1_7vsmem_tEENKUlT_SE_SF_SG_E_clIS8_S8_S9_S9_EESD_ST_SE_SF_SG_EUlST_E1_NS1_11comp_targetILNS1_3genE10ELNS1_11target_archE1201ELNS1_3gpuE5ELNS1_3repE0EEENS1_36merge_oddeven_config_static_selectorELNS0_4arch9wavefront6targetE0EEEvSF_,@function
_ZN7rocprim17ROCPRIM_400000_NS6detail17trampoline_kernelINS0_14default_configENS1_38merge_sort_block_merge_config_selectorIhNS0_10empty_typeEEEZZNS1_27merge_sort_block_merge_implIS3_PhPS5_jNS1_19radix_merge_compareILb1ELb0EhNS0_19identity_decomposerEEEEE10hipError_tT0_T1_T2_jT3_P12ihipStream_tbPNSt15iterator_traitsISE_E10value_typeEPNSK_ISF_E10value_typeEPSG_NS1_7vsmem_tEENKUlT_SE_SF_SG_E_clIS8_S8_S9_S9_EESD_ST_SE_SF_SG_EUlST_E1_NS1_11comp_targetILNS1_3genE10ELNS1_11target_archE1201ELNS1_3gpuE5ELNS1_3repE0EEENS1_36merge_oddeven_config_static_selectorELNS0_4arch9wavefront6targetE0EEEvSF_: ; @_ZN7rocprim17ROCPRIM_400000_NS6detail17trampoline_kernelINS0_14default_configENS1_38merge_sort_block_merge_config_selectorIhNS0_10empty_typeEEEZZNS1_27merge_sort_block_merge_implIS3_PhPS5_jNS1_19radix_merge_compareILb1ELb0EhNS0_19identity_decomposerEEEEE10hipError_tT0_T1_T2_jT3_P12ihipStream_tbPNSt15iterator_traitsISE_E10value_typeEPNSK_ISF_E10value_typeEPSG_NS1_7vsmem_tEENKUlT_SE_SF_SG_E_clIS8_S8_S9_S9_EESD_ST_SE_SF_SG_EUlST_E1_NS1_11comp_targetILNS1_3genE10ELNS1_11target_archE1201ELNS1_3gpuE5ELNS1_3repE0EEENS1_36merge_oddeven_config_static_selectorELNS0_4arch9wavefront6targetE0EEEvSF_
; %bb.0:
	.section	.rodata,"a",@progbits
	.p2align	6, 0x0
	.amdhsa_kernel _ZN7rocprim17ROCPRIM_400000_NS6detail17trampoline_kernelINS0_14default_configENS1_38merge_sort_block_merge_config_selectorIhNS0_10empty_typeEEEZZNS1_27merge_sort_block_merge_implIS3_PhPS5_jNS1_19radix_merge_compareILb1ELb0EhNS0_19identity_decomposerEEEEE10hipError_tT0_T1_T2_jT3_P12ihipStream_tbPNSt15iterator_traitsISE_E10value_typeEPNSK_ISF_E10value_typeEPSG_NS1_7vsmem_tEENKUlT_SE_SF_SG_E_clIS8_S8_S9_S9_EESD_ST_SE_SF_SG_EUlST_E1_NS1_11comp_targetILNS1_3genE10ELNS1_11target_archE1201ELNS1_3gpuE5ELNS1_3repE0EEENS1_36merge_oddeven_config_static_selectorELNS0_4arch9wavefront6targetE0EEEvSF_
		.amdhsa_group_segment_fixed_size 0
		.amdhsa_private_segment_fixed_size 0
		.amdhsa_kernarg_size 48
		.amdhsa_user_sgpr_count 2
		.amdhsa_user_sgpr_dispatch_ptr 0
		.amdhsa_user_sgpr_queue_ptr 0
		.amdhsa_user_sgpr_kernarg_segment_ptr 1
		.amdhsa_user_sgpr_dispatch_id 0
		.amdhsa_user_sgpr_kernarg_preload_length 0
		.amdhsa_user_sgpr_kernarg_preload_offset 0
		.amdhsa_user_sgpr_private_segment_size 0
		.amdhsa_wavefront_size32 1
		.amdhsa_uses_dynamic_stack 0
		.amdhsa_enable_private_segment 0
		.amdhsa_system_sgpr_workgroup_id_x 1
		.amdhsa_system_sgpr_workgroup_id_y 0
		.amdhsa_system_sgpr_workgroup_id_z 0
		.amdhsa_system_sgpr_workgroup_info 0
		.amdhsa_system_vgpr_workitem_id 0
		.amdhsa_next_free_vgpr 1
		.amdhsa_next_free_sgpr 1
		.amdhsa_named_barrier_count 0
		.amdhsa_reserve_vcc 0
		.amdhsa_float_round_mode_32 0
		.amdhsa_float_round_mode_16_64 0
		.amdhsa_float_denorm_mode_32 3
		.amdhsa_float_denorm_mode_16_64 3
		.amdhsa_fp16_overflow 0
		.amdhsa_memory_ordered 1
		.amdhsa_forward_progress 1
		.amdhsa_inst_pref_size 0
		.amdhsa_round_robin_scheduling 0
		.amdhsa_exception_fp_ieee_invalid_op 0
		.amdhsa_exception_fp_denorm_src 0
		.amdhsa_exception_fp_ieee_div_zero 0
		.amdhsa_exception_fp_ieee_overflow 0
		.amdhsa_exception_fp_ieee_underflow 0
		.amdhsa_exception_fp_ieee_inexact 0
		.amdhsa_exception_int_div_zero 0
	.end_amdhsa_kernel
	.section	.text._ZN7rocprim17ROCPRIM_400000_NS6detail17trampoline_kernelINS0_14default_configENS1_38merge_sort_block_merge_config_selectorIhNS0_10empty_typeEEEZZNS1_27merge_sort_block_merge_implIS3_PhPS5_jNS1_19radix_merge_compareILb1ELb0EhNS0_19identity_decomposerEEEEE10hipError_tT0_T1_T2_jT3_P12ihipStream_tbPNSt15iterator_traitsISE_E10value_typeEPNSK_ISF_E10value_typeEPSG_NS1_7vsmem_tEENKUlT_SE_SF_SG_E_clIS8_S8_S9_S9_EESD_ST_SE_SF_SG_EUlST_E1_NS1_11comp_targetILNS1_3genE10ELNS1_11target_archE1201ELNS1_3gpuE5ELNS1_3repE0EEENS1_36merge_oddeven_config_static_selectorELNS0_4arch9wavefront6targetE0EEEvSF_,"axG",@progbits,_ZN7rocprim17ROCPRIM_400000_NS6detail17trampoline_kernelINS0_14default_configENS1_38merge_sort_block_merge_config_selectorIhNS0_10empty_typeEEEZZNS1_27merge_sort_block_merge_implIS3_PhPS5_jNS1_19radix_merge_compareILb1ELb0EhNS0_19identity_decomposerEEEEE10hipError_tT0_T1_T2_jT3_P12ihipStream_tbPNSt15iterator_traitsISE_E10value_typeEPNSK_ISF_E10value_typeEPSG_NS1_7vsmem_tEENKUlT_SE_SF_SG_E_clIS8_S8_S9_S9_EESD_ST_SE_SF_SG_EUlST_E1_NS1_11comp_targetILNS1_3genE10ELNS1_11target_archE1201ELNS1_3gpuE5ELNS1_3repE0EEENS1_36merge_oddeven_config_static_selectorELNS0_4arch9wavefront6targetE0EEEvSF_,comdat
.Lfunc_end35:
	.size	_ZN7rocprim17ROCPRIM_400000_NS6detail17trampoline_kernelINS0_14default_configENS1_38merge_sort_block_merge_config_selectorIhNS0_10empty_typeEEEZZNS1_27merge_sort_block_merge_implIS3_PhPS5_jNS1_19radix_merge_compareILb1ELb0EhNS0_19identity_decomposerEEEEE10hipError_tT0_T1_T2_jT3_P12ihipStream_tbPNSt15iterator_traitsISE_E10value_typeEPNSK_ISF_E10value_typeEPSG_NS1_7vsmem_tEENKUlT_SE_SF_SG_E_clIS8_S8_S9_S9_EESD_ST_SE_SF_SG_EUlST_E1_NS1_11comp_targetILNS1_3genE10ELNS1_11target_archE1201ELNS1_3gpuE5ELNS1_3repE0EEENS1_36merge_oddeven_config_static_selectorELNS0_4arch9wavefront6targetE0EEEvSF_, .Lfunc_end35-_ZN7rocprim17ROCPRIM_400000_NS6detail17trampoline_kernelINS0_14default_configENS1_38merge_sort_block_merge_config_selectorIhNS0_10empty_typeEEEZZNS1_27merge_sort_block_merge_implIS3_PhPS5_jNS1_19radix_merge_compareILb1ELb0EhNS0_19identity_decomposerEEEEE10hipError_tT0_T1_T2_jT3_P12ihipStream_tbPNSt15iterator_traitsISE_E10value_typeEPNSK_ISF_E10value_typeEPSG_NS1_7vsmem_tEENKUlT_SE_SF_SG_E_clIS8_S8_S9_S9_EESD_ST_SE_SF_SG_EUlST_E1_NS1_11comp_targetILNS1_3genE10ELNS1_11target_archE1201ELNS1_3gpuE5ELNS1_3repE0EEENS1_36merge_oddeven_config_static_selectorELNS0_4arch9wavefront6targetE0EEEvSF_
                                        ; -- End function
	.set _ZN7rocprim17ROCPRIM_400000_NS6detail17trampoline_kernelINS0_14default_configENS1_38merge_sort_block_merge_config_selectorIhNS0_10empty_typeEEEZZNS1_27merge_sort_block_merge_implIS3_PhPS5_jNS1_19radix_merge_compareILb1ELb0EhNS0_19identity_decomposerEEEEE10hipError_tT0_T1_T2_jT3_P12ihipStream_tbPNSt15iterator_traitsISE_E10value_typeEPNSK_ISF_E10value_typeEPSG_NS1_7vsmem_tEENKUlT_SE_SF_SG_E_clIS8_S8_S9_S9_EESD_ST_SE_SF_SG_EUlST_E1_NS1_11comp_targetILNS1_3genE10ELNS1_11target_archE1201ELNS1_3gpuE5ELNS1_3repE0EEENS1_36merge_oddeven_config_static_selectorELNS0_4arch9wavefront6targetE0EEEvSF_.num_vgpr, 0
	.set _ZN7rocprim17ROCPRIM_400000_NS6detail17trampoline_kernelINS0_14default_configENS1_38merge_sort_block_merge_config_selectorIhNS0_10empty_typeEEEZZNS1_27merge_sort_block_merge_implIS3_PhPS5_jNS1_19radix_merge_compareILb1ELb0EhNS0_19identity_decomposerEEEEE10hipError_tT0_T1_T2_jT3_P12ihipStream_tbPNSt15iterator_traitsISE_E10value_typeEPNSK_ISF_E10value_typeEPSG_NS1_7vsmem_tEENKUlT_SE_SF_SG_E_clIS8_S8_S9_S9_EESD_ST_SE_SF_SG_EUlST_E1_NS1_11comp_targetILNS1_3genE10ELNS1_11target_archE1201ELNS1_3gpuE5ELNS1_3repE0EEENS1_36merge_oddeven_config_static_selectorELNS0_4arch9wavefront6targetE0EEEvSF_.num_agpr, 0
	.set _ZN7rocprim17ROCPRIM_400000_NS6detail17trampoline_kernelINS0_14default_configENS1_38merge_sort_block_merge_config_selectorIhNS0_10empty_typeEEEZZNS1_27merge_sort_block_merge_implIS3_PhPS5_jNS1_19radix_merge_compareILb1ELb0EhNS0_19identity_decomposerEEEEE10hipError_tT0_T1_T2_jT3_P12ihipStream_tbPNSt15iterator_traitsISE_E10value_typeEPNSK_ISF_E10value_typeEPSG_NS1_7vsmem_tEENKUlT_SE_SF_SG_E_clIS8_S8_S9_S9_EESD_ST_SE_SF_SG_EUlST_E1_NS1_11comp_targetILNS1_3genE10ELNS1_11target_archE1201ELNS1_3gpuE5ELNS1_3repE0EEENS1_36merge_oddeven_config_static_selectorELNS0_4arch9wavefront6targetE0EEEvSF_.numbered_sgpr, 0
	.set _ZN7rocprim17ROCPRIM_400000_NS6detail17trampoline_kernelINS0_14default_configENS1_38merge_sort_block_merge_config_selectorIhNS0_10empty_typeEEEZZNS1_27merge_sort_block_merge_implIS3_PhPS5_jNS1_19radix_merge_compareILb1ELb0EhNS0_19identity_decomposerEEEEE10hipError_tT0_T1_T2_jT3_P12ihipStream_tbPNSt15iterator_traitsISE_E10value_typeEPNSK_ISF_E10value_typeEPSG_NS1_7vsmem_tEENKUlT_SE_SF_SG_E_clIS8_S8_S9_S9_EESD_ST_SE_SF_SG_EUlST_E1_NS1_11comp_targetILNS1_3genE10ELNS1_11target_archE1201ELNS1_3gpuE5ELNS1_3repE0EEENS1_36merge_oddeven_config_static_selectorELNS0_4arch9wavefront6targetE0EEEvSF_.num_named_barrier, 0
	.set _ZN7rocprim17ROCPRIM_400000_NS6detail17trampoline_kernelINS0_14default_configENS1_38merge_sort_block_merge_config_selectorIhNS0_10empty_typeEEEZZNS1_27merge_sort_block_merge_implIS3_PhPS5_jNS1_19radix_merge_compareILb1ELb0EhNS0_19identity_decomposerEEEEE10hipError_tT0_T1_T2_jT3_P12ihipStream_tbPNSt15iterator_traitsISE_E10value_typeEPNSK_ISF_E10value_typeEPSG_NS1_7vsmem_tEENKUlT_SE_SF_SG_E_clIS8_S8_S9_S9_EESD_ST_SE_SF_SG_EUlST_E1_NS1_11comp_targetILNS1_3genE10ELNS1_11target_archE1201ELNS1_3gpuE5ELNS1_3repE0EEENS1_36merge_oddeven_config_static_selectorELNS0_4arch9wavefront6targetE0EEEvSF_.private_seg_size, 0
	.set _ZN7rocprim17ROCPRIM_400000_NS6detail17trampoline_kernelINS0_14default_configENS1_38merge_sort_block_merge_config_selectorIhNS0_10empty_typeEEEZZNS1_27merge_sort_block_merge_implIS3_PhPS5_jNS1_19radix_merge_compareILb1ELb0EhNS0_19identity_decomposerEEEEE10hipError_tT0_T1_T2_jT3_P12ihipStream_tbPNSt15iterator_traitsISE_E10value_typeEPNSK_ISF_E10value_typeEPSG_NS1_7vsmem_tEENKUlT_SE_SF_SG_E_clIS8_S8_S9_S9_EESD_ST_SE_SF_SG_EUlST_E1_NS1_11comp_targetILNS1_3genE10ELNS1_11target_archE1201ELNS1_3gpuE5ELNS1_3repE0EEENS1_36merge_oddeven_config_static_selectorELNS0_4arch9wavefront6targetE0EEEvSF_.uses_vcc, 0
	.set _ZN7rocprim17ROCPRIM_400000_NS6detail17trampoline_kernelINS0_14default_configENS1_38merge_sort_block_merge_config_selectorIhNS0_10empty_typeEEEZZNS1_27merge_sort_block_merge_implIS3_PhPS5_jNS1_19radix_merge_compareILb1ELb0EhNS0_19identity_decomposerEEEEE10hipError_tT0_T1_T2_jT3_P12ihipStream_tbPNSt15iterator_traitsISE_E10value_typeEPNSK_ISF_E10value_typeEPSG_NS1_7vsmem_tEENKUlT_SE_SF_SG_E_clIS8_S8_S9_S9_EESD_ST_SE_SF_SG_EUlST_E1_NS1_11comp_targetILNS1_3genE10ELNS1_11target_archE1201ELNS1_3gpuE5ELNS1_3repE0EEENS1_36merge_oddeven_config_static_selectorELNS0_4arch9wavefront6targetE0EEEvSF_.uses_flat_scratch, 0
	.set _ZN7rocprim17ROCPRIM_400000_NS6detail17trampoline_kernelINS0_14default_configENS1_38merge_sort_block_merge_config_selectorIhNS0_10empty_typeEEEZZNS1_27merge_sort_block_merge_implIS3_PhPS5_jNS1_19radix_merge_compareILb1ELb0EhNS0_19identity_decomposerEEEEE10hipError_tT0_T1_T2_jT3_P12ihipStream_tbPNSt15iterator_traitsISE_E10value_typeEPNSK_ISF_E10value_typeEPSG_NS1_7vsmem_tEENKUlT_SE_SF_SG_E_clIS8_S8_S9_S9_EESD_ST_SE_SF_SG_EUlST_E1_NS1_11comp_targetILNS1_3genE10ELNS1_11target_archE1201ELNS1_3gpuE5ELNS1_3repE0EEENS1_36merge_oddeven_config_static_selectorELNS0_4arch9wavefront6targetE0EEEvSF_.has_dyn_sized_stack, 0
	.set _ZN7rocprim17ROCPRIM_400000_NS6detail17trampoline_kernelINS0_14default_configENS1_38merge_sort_block_merge_config_selectorIhNS0_10empty_typeEEEZZNS1_27merge_sort_block_merge_implIS3_PhPS5_jNS1_19radix_merge_compareILb1ELb0EhNS0_19identity_decomposerEEEEE10hipError_tT0_T1_T2_jT3_P12ihipStream_tbPNSt15iterator_traitsISE_E10value_typeEPNSK_ISF_E10value_typeEPSG_NS1_7vsmem_tEENKUlT_SE_SF_SG_E_clIS8_S8_S9_S9_EESD_ST_SE_SF_SG_EUlST_E1_NS1_11comp_targetILNS1_3genE10ELNS1_11target_archE1201ELNS1_3gpuE5ELNS1_3repE0EEENS1_36merge_oddeven_config_static_selectorELNS0_4arch9wavefront6targetE0EEEvSF_.has_recursion, 0
	.set _ZN7rocprim17ROCPRIM_400000_NS6detail17trampoline_kernelINS0_14default_configENS1_38merge_sort_block_merge_config_selectorIhNS0_10empty_typeEEEZZNS1_27merge_sort_block_merge_implIS3_PhPS5_jNS1_19radix_merge_compareILb1ELb0EhNS0_19identity_decomposerEEEEE10hipError_tT0_T1_T2_jT3_P12ihipStream_tbPNSt15iterator_traitsISE_E10value_typeEPNSK_ISF_E10value_typeEPSG_NS1_7vsmem_tEENKUlT_SE_SF_SG_E_clIS8_S8_S9_S9_EESD_ST_SE_SF_SG_EUlST_E1_NS1_11comp_targetILNS1_3genE10ELNS1_11target_archE1201ELNS1_3gpuE5ELNS1_3repE0EEENS1_36merge_oddeven_config_static_selectorELNS0_4arch9wavefront6targetE0EEEvSF_.has_indirect_call, 0
	.section	.AMDGPU.csdata,"",@progbits
; Kernel info:
; codeLenInByte = 0
; TotalNumSgprs: 0
; NumVgprs: 0
; ScratchSize: 0
; MemoryBound: 0
; FloatMode: 240
; IeeeMode: 1
; LDSByteSize: 0 bytes/workgroup (compile time only)
; SGPRBlocks: 0
; VGPRBlocks: 0
; NumSGPRsForWavesPerEU: 1
; NumVGPRsForWavesPerEU: 1
; NamedBarCnt: 0
; Occupancy: 16
; WaveLimiterHint : 0
; COMPUTE_PGM_RSRC2:SCRATCH_EN: 0
; COMPUTE_PGM_RSRC2:USER_SGPR: 2
; COMPUTE_PGM_RSRC2:TRAP_HANDLER: 0
; COMPUTE_PGM_RSRC2:TGID_X_EN: 1
; COMPUTE_PGM_RSRC2:TGID_Y_EN: 0
; COMPUTE_PGM_RSRC2:TGID_Z_EN: 0
; COMPUTE_PGM_RSRC2:TIDIG_COMP_CNT: 0
	.section	.text._ZN7rocprim17ROCPRIM_400000_NS6detail17trampoline_kernelINS0_14default_configENS1_38merge_sort_block_merge_config_selectorIhNS0_10empty_typeEEEZZNS1_27merge_sort_block_merge_implIS3_PhPS5_jNS1_19radix_merge_compareILb1ELb0EhNS0_19identity_decomposerEEEEE10hipError_tT0_T1_T2_jT3_P12ihipStream_tbPNSt15iterator_traitsISE_E10value_typeEPNSK_ISF_E10value_typeEPSG_NS1_7vsmem_tEENKUlT_SE_SF_SG_E_clIS8_S8_S9_S9_EESD_ST_SE_SF_SG_EUlST_E1_NS1_11comp_targetILNS1_3genE5ELNS1_11target_archE942ELNS1_3gpuE9ELNS1_3repE0EEENS1_36merge_oddeven_config_static_selectorELNS0_4arch9wavefront6targetE0EEEvSF_,"axG",@progbits,_ZN7rocprim17ROCPRIM_400000_NS6detail17trampoline_kernelINS0_14default_configENS1_38merge_sort_block_merge_config_selectorIhNS0_10empty_typeEEEZZNS1_27merge_sort_block_merge_implIS3_PhPS5_jNS1_19radix_merge_compareILb1ELb0EhNS0_19identity_decomposerEEEEE10hipError_tT0_T1_T2_jT3_P12ihipStream_tbPNSt15iterator_traitsISE_E10value_typeEPNSK_ISF_E10value_typeEPSG_NS1_7vsmem_tEENKUlT_SE_SF_SG_E_clIS8_S8_S9_S9_EESD_ST_SE_SF_SG_EUlST_E1_NS1_11comp_targetILNS1_3genE5ELNS1_11target_archE942ELNS1_3gpuE9ELNS1_3repE0EEENS1_36merge_oddeven_config_static_selectorELNS0_4arch9wavefront6targetE0EEEvSF_,comdat
	.protected	_ZN7rocprim17ROCPRIM_400000_NS6detail17trampoline_kernelINS0_14default_configENS1_38merge_sort_block_merge_config_selectorIhNS0_10empty_typeEEEZZNS1_27merge_sort_block_merge_implIS3_PhPS5_jNS1_19radix_merge_compareILb1ELb0EhNS0_19identity_decomposerEEEEE10hipError_tT0_T1_T2_jT3_P12ihipStream_tbPNSt15iterator_traitsISE_E10value_typeEPNSK_ISF_E10value_typeEPSG_NS1_7vsmem_tEENKUlT_SE_SF_SG_E_clIS8_S8_S9_S9_EESD_ST_SE_SF_SG_EUlST_E1_NS1_11comp_targetILNS1_3genE5ELNS1_11target_archE942ELNS1_3gpuE9ELNS1_3repE0EEENS1_36merge_oddeven_config_static_selectorELNS0_4arch9wavefront6targetE0EEEvSF_ ; -- Begin function _ZN7rocprim17ROCPRIM_400000_NS6detail17trampoline_kernelINS0_14default_configENS1_38merge_sort_block_merge_config_selectorIhNS0_10empty_typeEEEZZNS1_27merge_sort_block_merge_implIS3_PhPS5_jNS1_19radix_merge_compareILb1ELb0EhNS0_19identity_decomposerEEEEE10hipError_tT0_T1_T2_jT3_P12ihipStream_tbPNSt15iterator_traitsISE_E10value_typeEPNSK_ISF_E10value_typeEPSG_NS1_7vsmem_tEENKUlT_SE_SF_SG_E_clIS8_S8_S9_S9_EESD_ST_SE_SF_SG_EUlST_E1_NS1_11comp_targetILNS1_3genE5ELNS1_11target_archE942ELNS1_3gpuE9ELNS1_3repE0EEENS1_36merge_oddeven_config_static_selectorELNS0_4arch9wavefront6targetE0EEEvSF_
	.globl	_ZN7rocprim17ROCPRIM_400000_NS6detail17trampoline_kernelINS0_14default_configENS1_38merge_sort_block_merge_config_selectorIhNS0_10empty_typeEEEZZNS1_27merge_sort_block_merge_implIS3_PhPS5_jNS1_19radix_merge_compareILb1ELb0EhNS0_19identity_decomposerEEEEE10hipError_tT0_T1_T2_jT3_P12ihipStream_tbPNSt15iterator_traitsISE_E10value_typeEPNSK_ISF_E10value_typeEPSG_NS1_7vsmem_tEENKUlT_SE_SF_SG_E_clIS8_S8_S9_S9_EESD_ST_SE_SF_SG_EUlST_E1_NS1_11comp_targetILNS1_3genE5ELNS1_11target_archE942ELNS1_3gpuE9ELNS1_3repE0EEENS1_36merge_oddeven_config_static_selectorELNS0_4arch9wavefront6targetE0EEEvSF_
	.p2align	8
	.type	_ZN7rocprim17ROCPRIM_400000_NS6detail17trampoline_kernelINS0_14default_configENS1_38merge_sort_block_merge_config_selectorIhNS0_10empty_typeEEEZZNS1_27merge_sort_block_merge_implIS3_PhPS5_jNS1_19radix_merge_compareILb1ELb0EhNS0_19identity_decomposerEEEEE10hipError_tT0_T1_T2_jT3_P12ihipStream_tbPNSt15iterator_traitsISE_E10value_typeEPNSK_ISF_E10value_typeEPSG_NS1_7vsmem_tEENKUlT_SE_SF_SG_E_clIS8_S8_S9_S9_EESD_ST_SE_SF_SG_EUlST_E1_NS1_11comp_targetILNS1_3genE5ELNS1_11target_archE942ELNS1_3gpuE9ELNS1_3repE0EEENS1_36merge_oddeven_config_static_selectorELNS0_4arch9wavefront6targetE0EEEvSF_,@function
_ZN7rocprim17ROCPRIM_400000_NS6detail17trampoline_kernelINS0_14default_configENS1_38merge_sort_block_merge_config_selectorIhNS0_10empty_typeEEEZZNS1_27merge_sort_block_merge_implIS3_PhPS5_jNS1_19radix_merge_compareILb1ELb0EhNS0_19identity_decomposerEEEEE10hipError_tT0_T1_T2_jT3_P12ihipStream_tbPNSt15iterator_traitsISE_E10value_typeEPNSK_ISF_E10value_typeEPSG_NS1_7vsmem_tEENKUlT_SE_SF_SG_E_clIS8_S8_S9_S9_EESD_ST_SE_SF_SG_EUlST_E1_NS1_11comp_targetILNS1_3genE5ELNS1_11target_archE942ELNS1_3gpuE9ELNS1_3repE0EEENS1_36merge_oddeven_config_static_selectorELNS0_4arch9wavefront6targetE0EEEvSF_: ; @_ZN7rocprim17ROCPRIM_400000_NS6detail17trampoline_kernelINS0_14default_configENS1_38merge_sort_block_merge_config_selectorIhNS0_10empty_typeEEEZZNS1_27merge_sort_block_merge_implIS3_PhPS5_jNS1_19radix_merge_compareILb1ELb0EhNS0_19identity_decomposerEEEEE10hipError_tT0_T1_T2_jT3_P12ihipStream_tbPNSt15iterator_traitsISE_E10value_typeEPNSK_ISF_E10value_typeEPSG_NS1_7vsmem_tEENKUlT_SE_SF_SG_E_clIS8_S8_S9_S9_EESD_ST_SE_SF_SG_EUlST_E1_NS1_11comp_targetILNS1_3genE5ELNS1_11target_archE942ELNS1_3gpuE9ELNS1_3repE0EEENS1_36merge_oddeven_config_static_selectorELNS0_4arch9wavefront6targetE0EEEvSF_
; %bb.0:
	.section	.rodata,"a",@progbits
	.p2align	6, 0x0
	.amdhsa_kernel _ZN7rocprim17ROCPRIM_400000_NS6detail17trampoline_kernelINS0_14default_configENS1_38merge_sort_block_merge_config_selectorIhNS0_10empty_typeEEEZZNS1_27merge_sort_block_merge_implIS3_PhPS5_jNS1_19radix_merge_compareILb1ELb0EhNS0_19identity_decomposerEEEEE10hipError_tT0_T1_T2_jT3_P12ihipStream_tbPNSt15iterator_traitsISE_E10value_typeEPNSK_ISF_E10value_typeEPSG_NS1_7vsmem_tEENKUlT_SE_SF_SG_E_clIS8_S8_S9_S9_EESD_ST_SE_SF_SG_EUlST_E1_NS1_11comp_targetILNS1_3genE5ELNS1_11target_archE942ELNS1_3gpuE9ELNS1_3repE0EEENS1_36merge_oddeven_config_static_selectorELNS0_4arch9wavefront6targetE0EEEvSF_
		.amdhsa_group_segment_fixed_size 0
		.amdhsa_private_segment_fixed_size 0
		.amdhsa_kernarg_size 48
		.amdhsa_user_sgpr_count 2
		.amdhsa_user_sgpr_dispatch_ptr 0
		.amdhsa_user_sgpr_queue_ptr 0
		.amdhsa_user_sgpr_kernarg_segment_ptr 1
		.amdhsa_user_sgpr_dispatch_id 0
		.amdhsa_user_sgpr_kernarg_preload_length 0
		.amdhsa_user_sgpr_kernarg_preload_offset 0
		.amdhsa_user_sgpr_private_segment_size 0
		.amdhsa_wavefront_size32 1
		.amdhsa_uses_dynamic_stack 0
		.amdhsa_enable_private_segment 0
		.amdhsa_system_sgpr_workgroup_id_x 1
		.amdhsa_system_sgpr_workgroup_id_y 0
		.amdhsa_system_sgpr_workgroup_id_z 0
		.amdhsa_system_sgpr_workgroup_info 0
		.amdhsa_system_vgpr_workitem_id 0
		.amdhsa_next_free_vgpr 1
		.amdhsa_next_free_sgpr 1
		.amdhsa_named_barrier_count 0
		.amdhsa_reserve_vcc 0
		.amdhsa_float_round_mode_32 0
		.amdhsa_float_round_mode_16_64 0
		.amdhsa_float_denorm_mode_32 3
		.amdhsa_float_denorm_mode_16_64 3
		.amdhsa_fp16_overflow 0
		.amdhsa_memory_ordered 1
		.amdhsa_forward_progress 1
		.amdhsa_inst_pref_size 0
		.amdhsa_round_robin_scheduling 0
		.amdhsa_exception_fp_ieee_invalid_op 0
		.amdhsa_exception_fp_denorm_src 0
		.amdhsa_exception_fp_ieee_div_zero 0
		.amdhsa_exception_fp_ieee_overflow 0
		.amdhsa_exception_fp_ieee_underflow 0
		.amdhsa_exception_fp_ieee_inexact 0
		.amdhsa_exception_int_div_zero 0
	.end_amdhsa_kernel
	.section	.text._ZN7rocprim17ROCPRIM_400000_NS6detail17trampoline_kernelINS0_14default_configENS1_38merge_sort_block_merge_config_selectorIhNS0_10empty_typeEEEZZNS1_27merge_sort_block_merge_implIS3_PhPS5_jNS1_19radix_merge_compareILb1ELb0EhNS0_19identity_decomposerEEEEE10hipError_tT0_T1_T2_jT3_P12ihipStream_tbPNSt15iterator_traitsISE_E10value_typeEPNSK_ISF_E10value_typeEPSG_NS1_7vsmem_tEENKUlT_SE_SF_SG_E_clIS8_S8_S9_S9_EESD_ST_SE_SF_SG_EUlST_E1_NS1_11comp_targetILNS1_3genE5ELNS1_11target_archE942ELNS1_3gpuE9ELNS1_3repE0EEENS1_36merge_oddeven_config_static_selectorELNS0_4arch9wavefront6targetE0EEEvSF_,"axG",@progbits,_ZN7rocprim17ROCPRIM_400000_NS6detail17trampoline_kernelINS0_14default_configENS1_38merge_sort_block_merge_config_selectorIhNS0_10empty_typeEEEZZNS1_27merge_sort_block_merge_implIS3_PhPS5_jNS1_19radix_merge_compareILb1ELb0EhNS0_19identity_decomposerEEEEE10hipError_tT0_T1_T2_jT3_P12ihipStream_tbPNSt15iterator_traitsISE_E10value_typeEPNSK_ISF_E10value_typeEPSG_NS1_7vsmem_tEENKUlT_SE_SF_SG_E_clIS8_S8_S9_S9_EESD_ST_SE_SF_SG_EUlST_E1_NS1_11comp_targetILNS1_3genE5ELNS1_11target_archE942ELNS1_3gpuE9ELNS1_3repE0EEENS1_36merge_oddeven_config_static_selectorELNS0_4arch9wavefront6targetE0EEEvSF_,comdat
.Lfunc_end36:
	.size	_ZN7rocprim17ROCPRIM_400000_NS6detail17trampoline_kernelINS0_14default_configENS1_38merge_sort_block_merge_config_selectorIhNS0_10empty_typeEEEZZNS1_27merge_sort_block_merge_implIS3_PhPS5_jNS1_19radix_merge_compareILb1ELb0EhNS0_19identity_decomposerEEEEE10hipError_tT0_T1_T2_jT3_P12ihipStream_tbPNSt15iterator_traitsISE_E10value_typeEPNSK_ISF_E10value_typeEPSG_NS1_7vsmem_tEENKUlT_SE_SF_SG_E_clIS8_S8_S9_S9_EESD_ST_SE_SF_SG_EUlST_E1_NS1_11comp_targetILNS1_3genE5ELNS1_11target_archE942ELNS1_3gpuE9ELNS1_3repE0EEENS1_36merge_oddeven_config_static_selectorELNS0_4arch9wavefront6targetE0EEEvSF_, .Lfunc_end36-_ZN7rocprim17ROCPRIM_400000_NS6detail17trampoline_kernelINS0_14default_configENS1_38merge_sort_block_merge_config_selectorIhNS0_10empty_typeEEEZZNS1_27merge_sort_block_merge_implIS3_PhPS5_jNS1_19radix_merge_compareILb1ELb0EhNS0_19identity_decomposerEEEEE10hipError_tT0_T1_T2_jT3_P12ihipStream_tbPNSt15iterator_traitsISE_E10value_typeEPNSK_ISF_E10value_typeEPSG_NS1_7vsmem_tEENKUlT_SE_SF_SG_E_clIS8_S8_S9_S9_EESD_ST_SE_SF_SG_EUlST_E1_NS1_11comp_targetILNS1_3genE5ELNS1_11target_archE942ELNS1_3gpuE9ELNS1_3repE0EEENS1_36merge_oddeven_config_static_selectorELNS0_4arch9wavefront6targetE0EEEvSF_
                                        ; -- End function
	.set _ZN7rocprim17ROCPRIM_400000_NS6detail17trampoline_kernelINS0_14default_configENS1_38merge_sort_block_merge_config_selectorIhNS0_10empty_typeEEEZZNS1_27merge_sort_block_merge_implIS3_PhPS5_jNS1_19radix_merge_compareILb1ELb0EhNS0_19identity_decomposerEEEEE10hipError_tT0_T1_T2_jT3_P12ihipStream_tbPNSt15iterator_traitsISE_E10value_typeEPNSK_ISF_E10value_typeEPSG_NS1_7vsmem_tEENKUlT_SE_SF_SG_E_clIS8_S8_S9_S9_EESD_ST_SE_SF_SG_EUlST_E1_NS1_11comp_targetILNS1_3genE5ELNS1_11target_archE942ELNS1_3gpuE9ELNS1_3repE0EEENS1_36merge_oddeven_config_static_selectorELNS0_4arch9wavefront6targetE0EEEvSF_.num_vgpr, 0
	.set _ZN7rocprim17ROCPRIM_400000_NS6detail17trampoline_kernelINS0_14default_configENS1_38merge_sort_block_merge_config_selectorIhNS0_10empty_typeEEEZZNS1_27merge_sort_block_merge_implIS3_PhPS5_jNS1_19radix_merge_compareILb1ELb0EhNS0_19identity_decomposerEEEEE10hipError_tT0_T1_T2_jT3_P12ihipStream_tbPNSt15iterator_traitsISE_E10value_typeEPNSK_ISF_E10value_typeEPSG_NS1_7vsmem_tEENKUlT_SE_SF_SG_E_clIS8_S8_S9_S9_EESD_ST_SE_SF_SG_EUlST_E1_NS1_11comp_targetILNS1_3genE5ELNS1_11target_archE942ELNS1_3gpuE9ELNS1_3repE0EEENS1_36merge_oddeven_config_static_selectorELNS0_4arch9wavefront6targetE0EEEvSF_.num_agpr, 0
	.set _ZN7rocprim17ROCPRIM_400000_NS6detail17trampoline_kernelINS0_14default_configENS1_38merge_sort_block_merge_config_selectorIhNS0_10empty_typeEEEZZNS1_27merge_sort_block_merge_implIS3_PhPS5_jNS1_19radix_merge_compareILb1ELb0EhNS0_19identity_decomposerEEEEE10hipError_tT0_T1_T2_jT3_P12ihipStream_tbPNSt15iterator_traitsISE_E10value_typeEPNSK_ISF_E10value_typeEPSG_NS1_7vsmem_tEENKUlT_SE_SF_SG_E_clIS8_S8_S9_S9_EESD_ST_SE_SF_SG_EUlST_E1_NS1_11comp_targetILNS1_3genE5ELNS1_11target_archE942ELNS1_3gpuE9ELNS1_3repE0EEENS1_36merge_oddeven_config_static_selectorELNS0_4arch9wavefront6targetE0EEEvSF_.numbered_sgpr, 0
	.set _ZN7rocprim17ROCPRIM_400000_NS6detail17trampoline_kernelINS0_14default_configENS1_38merge_sort_block_merge_config_selectorIhNS0_10empty_typeEEEZZNS1_27merge_sort_block_merge_implIS3_PhPS5_jNS1_19radix_merge_compareILb1ELb0EhNS0_19identity_decomposerEEEEE10hipError_tT0_T1_T2_jT3_P12ihipStream_tbPNSt15iterator_traitsISE_E10value_typeEPNSK_ISF_E10value_typeEPSG_NS1_7vsmem_tEENKUlT_SE_SF_SG_E_clIS8_S8_S9_S9_EESD_ST_SE_SF_SG_EUlST_E1_NS1_11comp_targetILNS1_3genE5ELNS1_11target_archE942ELNS1_3gpuE9ELNS1_3repE0EEENS1_36merge_oddeven_config_static_selectorELNS0_4arch9wavefront6targetE0EEEvSF_.num_named_barrier, 0
	.set _ZN7rocprim17ROCPRIM_400000_NS6detail17trampoline_kernelINS0_14default_configENS1_38merge_sort_block_merge_config_selectorIhNS0_10empty_typeEEEZZNS1_27merge_sort_block_merge_implIS3_PhPS5_jNS1_19radix_merge_compareILb1ELb0EhNS0_19identity_decomposerEEEEE10hipError_tT0_T1_T2_jT3_P12ihipStream_tbPNSt15iterator_traitsISE_E10value_typeEPNSK_ISF_E10value_typeEPSG_NS1_7vsmem_tEENKUlT_SE_SF_SG_E_clIS8_S8_S9_S9_EESD_ST_SE_SF_SG_EUlST_E1_NS1_11comp_targetILNS1_3genE5ELNS1_11target_archE942ELNS1_3gpuE9ELNS1_3repE0EEENS1_36merge_oddeven_config_static_selectorELNS0_4arch9wavefront6targetE0EEEvSF_.private_seg_size, 0
	.set _ZN7rocprim17ROCPRIM_400000_NS6detail17trampoline_kernelINS0_14default_configENS1_38merge_sort_block_merge_config_selectorIhNS0_10empty_typeEEEZZNS1_27merge_sort_block_merge_implIS3_PhPS5_jNS1_19radix_merge_compareILb1ELb0EhNS0_19identity_decomposerEEEEE10hipError_tT0_T1_T2_jT3_P12ihipStream_tbPNSt15iterator_traitsISE_E10value_typeEPNSK_ISF_E10value_typeEPSG_NS1_7vsmem_tEENKUlT_SE_SF_SG_E_clIS8_S8_S9_S9_EESD_ST_SE_SF_SG_EUlST_E1_NS1_11comp_targetILNS1_3genE5ELNS1_11target_archE942ELNS1_3gpuE9ELNS1_3repE0EEENS1_36merge_oddeven_config_static_selectorELNS0_4arch9wavefront6targetE0EEEvSF_.uses_vcc, 0
	.set _ZN7rocprim17ROCPRIM_400000_NS6detail17trampoline_kernelINS0_14default_configENS1_38merge_sort_block_merge_config_selectorIhNS0_10empty_typeEEEZZNS1_27merge_sort_block_merge_implIS3_PhPS5_jNS1_19radix_merge_compareILb1ELb0EhNS0_19identity_decomposerEEEEE10hipError_tT0_T1_T2_jT3_P12ihipStream_tbPNSt15iterator_traitsISE_E10value_typeEPNSK_ISF_E10value_typeEPSG_NS1_7vsmem_tEENKUlT_SE_SF_SG_E_clIS8_S8_S9_S9_EESD_ST_SE_SF_SG_EUlST_E1_NS1_11comp_targetILNS1_3genE5ELNS1_11target_archE942ELNS1_3gpuE9ELNS1_3repE0EEENS1_36merge_oddeven_config_static_selectorELNS0_4arch9wavefront6targetE0EEEvSF_.uses_flat_scratch, 0
	.set _ZN7rocprim17ROCPRIM_400000_NS6detail17trampoline_kernelINS0_14default_configENS1_38merge_sort_block_merge_config_selectorIhNS0_10empty_typeEEEZZNS1_27merge_sort_block_merge_implIS3_PhPS5_jNS1_19radix_merge_compareILb1ELb0EhNS0_19identity_decomposerEEEEE10hipError_tT0_T1_T2_jT3_P12ihipStream_tbPNSt15iterator_traitsISE_E10value_typeEPNSK_ISF_E10value_typeEPSG_NS1_7vsmem_tEENKUlT_SE_SF_SG_E_clIS8_S8_S9_S9_EESD_ST_SE_SF_SG_EUlST_E1_NS1_11comp_targetILNS1_3genE5ELNS1_11target_archE942ELNS1_3gpuE9ELNS1_3repE0EEENS1_36merge_oddeven_config_static_selectorELNS0_4arch9wavefront6targetE0EEEvSF_.has_dyn_sized_stack, 0
	.set _ZN7rocprim17ROCPRIM_400000_NS6detail17trampoline_kernelINS0_14default_configENS1_38merge_sort_block_merge_config_selectorIhNS0_10empty_typeEEEZZNS1_27merge_sort_block_merge_implIS3_PhPS5_jNS1_19radix_merge_compareILb1ELb0EhNS0_19identity_decomposerEEEEE10hipError_tT0_T1_T2_jT3_P12ihipStream_tbPNSt15iterator_traitsISE_E10value_typeEPNSK_ISF_E10value_typeEPSG_NS1_7vsmem_tEENKUlT_SE_SF_SG_E_clIS8_S8_S9_S9_EESD_ST_SE_SF_SG_EUlST_E1_NS1_11comp_targetILNS1_3genE5ELNS1_11target_archE942ELNS1_3gpuE9ELNS1_3repE0EEENS1_36merge_oddeven_config_static_selectorELNS0_4arch9wavefront6targetE0EEEvSF_.has_recursion, 0
	.set _ZN7rocprim17ROCPRIM_400000_NS6detail17trampoline_kernelINS0_14default_configENS1_38merge_sort_block_merge_config_selectorIhNS0_10empty_typeEEEZZNS1_27merge_sort_block_merge_implIS3_PhPS5_jNS1_19radix_merge_compareILb1ELb0EhNS0_19identity_decomposerEEEEE10hipError_tT0_T1_T2_jT3_P12ihipStream_tbPNSt15iterator_traitsISE_E10value_typeEPNSK_ISF_E10value_typeEPSG_NS1_7vsmem_tEENKUlT_SE_SF_SG_E_clIS8_S8_S9_S9_EESD_ST_SE_SF_SG_EUlST_E1_NS1_11comp_targetILNS1_3genE5ELNS1_11target_archE942ELNS1_3gpuE9ELNS1_3repE0EEENS1_36merge_oddeven_config_static_selectorELNS0_4arch9wavefront6targetE0EEEvSF_.has_indirect_call, 0
	.section	.AMDGPU.csdata,"",@progbits
; Kernel info:
; codeLenInByte = 0
; TotalNumSgprs: 0
; NumVgprs: 0
; ScratchSize: 0
; MemoryBound: 0
; FloatMode: 240
; IeeeMode: 1
; LDSByteSize: 0 bytes/workgroup (compile time only)
; SGPRBlocks: 0
; VGPRBlocks: 0
; NumSGPRsForWavesPerEU: 1
; NumVGPRsForWavesPerEU: 1
; NamedBarCnt: 0
; Occupancy: 16
; WaveLimiterHint : 0
; COMPUTE_PGM_RSRC2:SCRATCH_EN: 0
; COMPUTE_PGM_RSRC2:USER_SGPR: 2
; COMPUTE_PGM_RSRC2:TRAP_HANDLER: 0
; COMPUTE_PGM_RSRC2:TGID_X_EN: 1
; COMPUTE_PGM_RSRC2:TGID_Y_EN: 0
; COMPUTE_PGM_RSRC2:TGID_Z_EN: 0
; COMPUTE_PGM_RSRC2:TIDIG_COMP_CNT: 0
	.section	.text._ZN7rocprim17ROCPRIM_400000_NS6detail17trampoline_kernelINS0_14default_configENS1_38merge_sort_block_merge_config_selectorIhNS0_10empty_typeEEEZZNS1_27merge_sort_block_merge_implIS3_PhPS5_jNS1_19radix_merge_compareILb1ELb0EhNS0_19identity_decomposerEEEEE10hipError_tT0_T1_T2_jT3_P12ihipStream_tbPNSt15iterator_traitsISE_E10value_typeEPNSK_ISF_E10value_typeEPSG_NS1_7vsmem_tEENKUlT_SE_SF_SG_E_clIS8_S8_S9_S9_EESD_ST_SE_SF_SG_EUlST_E1_NS1_11comp_targetILNS1_3genE4ELNS1_11target_archE910ELNS1_3gpuE8ELNS1_3repE0EEENS1_36merge_oddeven_config_static_selectorELNS0_4arch9wavefront6targetE0EEEvSF_,"axG",@progbits,_ZN7rocprim17ROCPRIM_400000_NS6detail17trampoline_kernelINS0_14default_configENS1_38merge_sort_block_merge_config_selectorIhNS0_10empty_typeEEEZZNS1_27merge_sort_block_merge_implIS3_PhPS5_jNS1_19radix_merge_compareILb1ELb0EhNS0_19identity_decomposerEEEEE10hipError_tT0_T1_T2_jT3_P12ihipStream_tbPNSt15iterator_traitsISE_E10value_typeEPNSK_ISF_E10value_typeEPSG_NS1_7vsmem_tEENKUlT_SE_SF_SG_E_clIS8_S8_S9_S9_EESD_ST_SE_SF_SG_EUlST_E1_NS1_11comp_targetILNS1_3genE4ELNS1_11target_archE910ELNS1_3gpuE8ELNS1_3repE0EEENS1_36merge_oddeven_config_static_selectorELNS0_4arch9wavefront6targetE0EEEvSF_,comdat
	.protected	_ZN7rocprim17ROCPRIM_400000_NS6detail17trampoline_kernelINS0_14default_configENS1_38merge_sort_block_merge_config_selectorIhNS0_10empty_typeEEEZZNS1_27merge_sort_block_merge_implIS3_PhPS5_jNS1_19radix_merge_compareILb1ELb0EhNS0_19identity_decomposerEEEEE10hipError_tT0_T1_T2_jT3_P12ihipStream_tbPNSt15iterator_traitsISE_E10value_typeEPNSK_ISF_E10value_typeEPSG_NS1_7vsmem_tEENKUlT_SE_SF_SG_E_clIS8_S8_S9_S9_EESD_ST_SE_SF_SG_EUlST_E1_NS1_11comp_targetILNS1_3genE4ELNS1_11target_archE910ELNS1_3gpuE8ELNS1_3repE0EEENS1_36merge_oddeven_config_static_selectorELNS0_4arch9wavefront6targetE0EEEvSF_ ; -- Begin function _ZN7rocprim17ROCPRIM_400000_NS6detail17trampoline_kernelINS0_14default_configENS1_38merge_sort_block_merge_config_selectorIhNS0_10empty_typeEEEZZNS1_27merge_sort_block_merge_implIS3_PhPS5_jNS1_19radix_merge_compareILb1ELb0EhNS0_19identity_decomposerEEEEE10hipError_tT0_T1_T2_jT3_P12ihipStream_tbPNSt15iterator_traitsISE_E10value_typeEPNSK_ISF_E10value_typeEPSG_NS1_7vsmem_tEENKUlT_SE_SF_SG_E_clIS8_S8_S9_S9_EESD_ST_SE_SF_SG_EUlST_E1_NS1_11comp_targetILNS1_3genE4ELNS1_11target_archE910ELNS1_3gpuE8ELNS1_3repE0EEENS1_36merge_oddeven_config_static_selectorELNS0_4arch9wavefront6targetE0EEEvSF_
	.globl	_ZN7rocprim17ROCPRIM_400000_NS6detail17trampoline_kernelINS0_14default_configENS1_38merge_sort_block_merge_config_selectorIhNS0_10empty_typeEEEZZNS1_27merge_sort_block_merge_implIS3_PhPS5_jNS1_19radix_merge_compareILb1ELb0EhNS0_19identity_decomposerEEEEE10hipError_tT0_T1_T2_jT3_P12ihipStream_tbPNSt15iterator_traitsISE_E10value_typeEPNSK_ISF_E10value_typeEPSG_NS1_7vsmem_tEENKUlT_SE_SF_SG_E_clIS8_S8_S9_S9_EESD_ST_SE_SF_SG_EUlST_E1_NS1_11comp_targetILNS1_3genE4ELNS1_11target_archE910ELNS1_3gpuE8ELNS1_3repE0EEENS1_36merge_oddeven_config_static_selectorELNS0_4arch9wavefront6targetE0EEEvSF_
	.p2align	8
	.type	_ZN7rocprim17ROCPRIM_400000_NS6detail17trampoline_kernelINS0_14default_configENS1_38merge_sort_block_merge_config_selectorIhNS0_10empty_typeEEEZZNS1_27merge_sort_block_merge_implIS3_PhPS5_jNS1_19radix_merge_compareILb1ELb0EhNS0_19identity_decomposerEEEEE10hipError_tT0_T1_T2_jT3_P12ihipStream_tbPNSt15iterator_traitsISE_E10value_typeEPNSK_ISF_E10value_typeEPSG_NS1_7vsmem_tEENKUlT_SE_SF_SG_E_clIS8_S8_S9_S9_EESD_ST_SE_SF_SG_EUlST_E1_NS1_11comp_targetILNS1_3genE4ELNS1_11target_archE910ELNS1_3gpuE8ELNS1_3repE0EEENS1_36merge_oddeven_config_static_selectorELNS0_4arch9wavefront6targetE0EEEvSF_,@function
_ZN7rocprim17ROCPRIM_400000_NS6detail17trampoline_kernelINS0_14default_configENS1_38merge_sort_block_merge_config_selectorIhNS0_10empty_typeEEEZZNS1_27merge_sort_block_merge_implIS3_PhPS5_jNS1_19radix_merge_compareILb1ELb0EhNS0_19identity_decomposerEEEEE10hipError_tT0_T1_T2_jT3_P12ihipStream_tbPNSt15iterator_traitsISE_E10value_typeEPNSK_ISF_E10value_typeEPSG_NS1_7vsmem_tEENKUlT_SE_SF_SG_E_clIS8_S8_S9_S9_EESD_ST_SE_SF_SG_EUlST_E1_NS1_11comp_targetILNS1_3genE4ELNS1_11target_archE910ELNS1_3gpuE8ELNS1_3repE0EEENS1_36merge_oddeven_config_static_selectorELNS0_4arch9wavefront6targetE0EEEvSF_: ; @_ZN7rocprim17ROCPRIM_400000_NS6detail17trampoline_kernelINS0_14default_configENS1_38merge_sort_block_merge_config_selectorIhNS0_10empty_typeEEEZZNS1_27merge_sort_block_merge_implIS3_PhPS5_jNS1_19radix_merge_compareILb1ELb0EhNS0_19identity_decomposerEEEEE10hipError_tT0_T1_T2_jT3_P12ihipStream_tbPNSt15iterator_traitsISE_E10value_typeEPNSK_ISF_E10value_typeEPSG_NS1_7vsmem_tEENKUlT_SE_SF_SG_E_clIS8_S8_S9_S9_EESD_ST_SE_SF_SG_EUlST_E1_NS1_11comp_targetILNS1_3genE4ELNS1_11target_archE910ELNS1_3gpuE8ELNS1_3repE0EEENS1_36merge_oddeven_config_static_selectorELNS0_4arch9wavefront6targetE0EEEvSF_
; %bb.0:
	.section	.rodata,"a",@progbits
	.p2align	6, 0x0
	.amdhsa_kernel _ZN7rocprim17ROCPRIM_400000_NS6detail17trampoline_kernelINS0_14default_configENS1_38merge_sort_block_merge_config_selectorIhNS0_10empty_typeEEEZZNS1_27merge_sort_block_merge_implIS3_PhPS5_jNS1_19radix_merge_compareILb1ELb0EhNS0_19identity_decomposerEEEEE10hipError_tT0_T1_T2_jT3_P12ihipStream_tbPNSt15iterator_traitsISE_E10value_typeEPNSK_ISF_E10value_typeEPSG_NS1_7vsmem_tEENKUlT_SE_SF_SG_E_clIS8_S8_S9_S9_EESD_ST_SE_SF_SG_EUlST_E1_NS1_11comp_targetILNS1_3genE4ELNS1_11target_archE910ELNS1_3gpuE8ELNS1_3repE0EEENS1_36merge_oddeven_config_static_selectorELNS0_4arch9wavefront6targetE0EEEvSF_
		.amdhsa_group_segment_fixed_size 0
		.amdhsa_private_segment_fixed_size 0
		.amdhsa_kernarg_size 48
		.amdhsa_user_sgpr_count 2
		.amdhsa_user_sgpr_dispatch_ptr 0
		.amdhsa_user_sgpr_queue_ptr 0
		.amdhsa_user_sgpr_kernarg_segment_ptr 1
		.amdhsa_user_sgpr_dispatch_id 0
		.amdhsa_user_sgpr_kernarg_preload_length 0
		.amdhsa_user_sgpr_kernarg_preload_offset 0
		.amdhsa_user_sgpr_private_segment_size 0
		.amdhsa_wavefront_size32 1
		.amdhsa_uses_dynamic_stack 0
		.amdhsa_enable_private_segment 0
		.amdhsa_system_sgpr_workgroup_id_x 1
		.amdhsa_system_sgpr_workgroup_id_y 0
		.amdhsa_system_sgpr_workgroup_id_z 0
		.amdhsa_system_sgpr_workgroup_info 0
		.amdhsa_system_vgpr_workitem_id 0
		.amdhsa_next_free_vgpr 1
		.amdhsa_next_free_sgpr 1
		.amdhsa_named_barrier_count 0
		.amdhsa_reserve_vcc 0
		.amdhsa_float_round_mode_32 0
		.amdhsa_float_round_mode_16_64 0
		.amdhsa_float_denorm_mode_32 3
		.amdhsa_float_denorm_mode_16_64 3
		.amdhsa_fp16_overflow 0
		.amdhsa_memory_ordered 1
		.amdhsa_forward_progress 1
		.amdhsa_inst_pref_size 0
		.amdhsa_round_robin_scheduling 0
		.amdhsa_exception_fp_ieee_invalid_op 0
		.amdhsa_exception_fp_denorm_src 0
		.amdhsa_exception_fp_ieee_div_zero 0
		.amdhsa_exception_fp_ieee_overflow 0
		.amdhsa_exception_fp_ieee_underflow 0
		.amdhsa_exception_fp_ieee_inexact 0
		.amdhsa_exception_int_div_zero 0
	.end_amdhsa_kernel
	.section	.text._ZN7rocprim17ROCPRIM_400000_NS6detail17trampoline_kernelINS0_14default_configENS1_38merge_sort_block_merge_config_selectorIhNS0_10empty_typeEEEZZNS1_27merge_sort_block_merge_implIS3_PhPS5_jNS1_19radix_merge_compareILb1ELb0EhNS0_19identity_decomposerEEEEE10hipError_tT0_T1_T2_jT3_P12ihipStream_tbPNSt15iterator_traitsISE_E10value_typeEPNSK_ISF_E10value_typeEPSG_NS1_7vsmem_tEENKUlT_SE_SF_SG_E_clIS8_S8_S9_S9_EESD_ST_SE_SF_SG_EUlST_E1_NS1_11comp_targetILNS1_3genE4ELNS1_11target_archE910ELNS1_3gpuE8ELNS1_3repE0EEENS1_36merge_oddeven_config_static_selectorELNS0_4arch9wavefront6targetE0EEEvSF_,"axG",@progbits,_ZN7rocprim17ROCPRIM_400000_NS6detail17trampoline_kernelINS0_14default_configENS1_38merge_sort_block_merge_config_selectorIhNS0_10empty_typeEEEZZNS1_27merge_sort_block_merge_implIS3_PhPS5_jNS1_19radix_merge_compareILb1ELb0EhNS0_19identity_decomposerEEEEE10hipError_tT0_T1_T2_jT3_P12ihipStream_tbPNSt15iterator_traitsISE_E10value_typeEPNSK_ISF_E10value_typeEPSG_NS1_7vsmem_tEENKUlT_SE_SF_SG_E_clIS8_S8_S9_S9_EESD_ST_SE_SF_SG_EUlST_E1_NS1_11comp_targetILNS1_3genE4ELNS1_11target_archE910ELNS1_3gpuE8ELNS1_3repE0EEENS1_36merge_oddeven_config_static_selectorELNS0_4arch9wavefront6targetE0EEEvSF_,comdat
.Lfunc_end37:
	.size	_ZN7rocprim17ROCPRIM_400000_NS6detail17trampoline_kernelINS0_14default_configENS1_38merge_sort_block_merge_config_selectorIhNS0_10empty_typeEEEZZNS1_27merge_sort_block_merge_implIS3_PhPS5_jNS1_19radix_merge_compareILb1ELb0EhNS0_19identity_decomposerEEEEE10hipError_tT0_T1_T2_jT3_P12ihipStream_tbPNSt15iterator_traitsISE_E10value_typeEPNSK_ISF_E10value_typeEPSG_NS1_7vsmem_tEENKUlT_SE_SF_SG_E_clIS8_S8_S9_S9_EESD_ST_SE_SF_SG_EUlST_E1_NS1_11comp_targetILNS1_3genE4ELNS1_11target_archE910ELNS1_3gpuE8ELNS1_3repE0EEENS1_36merge_oddeven_config_static_selectorELNS0_4arch9wavefront6targetE0EEEvSF_, .Lfunc_end37-_ZN7rocprim17ROCPRIM_400000_NS6detail17trampoline_kernelINS0_14default_configENS1_38merge_sort_block_merge_config_selectorIhNS0_10empty_typeEEEZZNS1_27merge_sort_block_merge_implIS3_PhPS5_jNS1_19radix_merge_compareILb1ELb0EhNS0_19identity_decomposerEEEEE10hipError_tT0_T1_T2_jT3_P12ihipStream_tbPNSt15iterator_traitsISE_E10value_typeEPNSK_ISF_E10value_typeEPSG_NS1_7vsmem_tEENKUlT_SE_SF_SG_E_clIS8_S8_S9_S9_EESD_ST_SE_SF_SG_EUlST_E1_NS1_11comp_targetILNS1_3genE4ELNS1_11target_archE910ELNS1_3gpuE8ELNS1_3repE0EEENS1_36merge_oddeven_config_static_selectorELNS0_4arch9wavefront6targetE0EEEvSF_
                                        ; -- End function
	.set _ZN7rocprim17ROCPRIM_400000_NS6detail17trampoline_kernelINS0_14default_configENS1_38merge_sort_block_merge_config_selectorIhNS0_10empty_typeEEEZZNS1_27merge_sort_block_merge_implIS3_PhPS5_jNS1_19radix_merge_compareILb1ELb0EhNS0_19identity_decomposerEEEEE10hipError_tT0_T1_T2_jT3_P12ihipStream_tbPNSt15iterator_traitsISE_E10value_typeEPNSK_ISF_E10value_typeEPSG_NS1_7vsmem_tEENKUlT_SE_SF_SG_E_clIS8_S8_S9_S9_EESD_ST_SE_SF_SG_EUlST_E1_NS1_11comp_targetILNS1_3genE4ELNS1_11target_archE910ELNS1_3gpuE8ELNS1_3repE0EEENS1_36merge_oddeven_config_static_selectorELNS0_4arch9wavefront6targetE0EEEvSF_.num_vgpr, 0
	.set _ZN7rocprim17ROCPRIM_400000_NS6detail17trampoline_kernelINS0_14default_configENS1_38merge_sort_block_merge_config_selectorIhNS0_10empty_typeEEEZZNS1_27merge_sort_block_merge_implIS3_PhPS5_jNS1_19radix_merge_compareILb1ELb0EhNS0_19identity_decomposerEEEEE10hipError_tT0_T1_T2_jT3_P12ihipStream_tbPNSt15iterator_traitsISE_E10value_typeEPNSK_ISF_E10value_typeEPSG_NS1_7vsmem_tEENKUlT_SE_SF_SG_E_clIS8_S8_S9_S9_EESD_ST_SE_SF_SG_EUlST_E1_NS1_11comp_targetILNS1_3genE4ELNS1_11target_archE910ELNS1_3gpuE8ELNS1_3repE0EEENS1_36merge_oddeven_config_static_selectorELNS0_4arch9wavefront6targetE0EEEvSF_.num_agpr, 0
	.set _ZN7rocprim17ROCPRIM_400000_NS6detail17trampoline_kernelINS0_14default_configENS1_38merge_sort_block_merge_config_selectorIhNS0_10empty_typeEEEZZNS1_27merge_sort_block_merge_implIS3_PhPS5_jNS1_19radix_merge_compareILb1ELb0EhNS0_19identity_decomposerEEEEE10hipError_tT0_T1_T2_jT3_P12ihipStream_tbPNSt15iterator_traitsISE_E10value_typeEPNSK_ISF_E10value_typeEPSG_NS1_7vsmem_tEENKUlT_SE_SF_SG_E_clIS8_S8_S9_S9_EESD_ST_SE_SF_SG_EUlST_E1_NS1_11comp_targetILNS1_3genE4ELNS1_11target_archE910ELNS1_3gpuE8ELNS1_3repE0EEENS1_36merge_oddeven_config_static_selectorELNS0_4arch9wavefront6targetE0EEEvSF_.numbered_sgpr, 0
	.set _ZN7rocprim17ROCPRIM_400000_NS6detail17trampoline_kernelINS0_14default_configENS1_38merge_sort_block_merge_config_selectorIhNS0_10empty_typeEEEZZNS1_27merge_sort_block_merge_implIS3_PhPS5_jNS1_19radix_merge_compareILb1ELb0EhNS0_19identity_decomposerEEEEE10hipError_tT0_T1_T2_jT3_P12ihipStream_tbPNSt15iterator_traitsISE_E10value_typeEPNSK_ISF_E10value_typeEPSG_NS1_7vsmem_tEENKUlT_SE_SF_SG_E_clIS8_S8_S9_S9_EESD_ST_SE_SF_SG_EUlST_E1_NS1_11comp_targetILNS1_3genE4ELNS1_11target_archE910ELNS1_3gpuE8ELNS1_3repE0EEENS1_36merge_oddeven_config_static_selectorELNS0_4arch9wavefront6targetE0EEEvSF_.num_named_barrier, 0
	.set _ZN7rocprim17ROCPRIM_400000_NS6detail17trampoline_kernelINS0_14default_configENS1_38merge_sort_block_merge_config_selectorIhNS0_10empty_typeEEEZZNS1_27merge_sort_block_merge_implIS3_PhPS5_jNS1_19radix_merge_compareILb1ELb0EhNS0_19identity_decomposerEEEEE10hipError_tT0_T1_T2_jT3_P12ihipStream_tbPNSt15iterator_traitsISE_E10value_typeEPNSK_ISF_E10value_typeEPSG_NS1_7vsmem_tEENKUlT_SE_SF_SG_E_clIS8_S8_S9_S9_EESD_ST_SE_SF_SG_EUlST_E1_NS1_11comp_targetILNS1_3genE4ELNS1_11target_archE910ELNS1_3gpuE8ELNS1_3repE0EEENS1_36merge_oddeven_config_static_selectorELNS0_4arch9wavefront6targetE0EEEvSF_.private_seg_size, 0
	.set _ZN7rocprim17ROCPRIM_400000_NS6detail17trampoline_kernelINS0_14default_configENS1_38merge_sort_block_merge_config_selectorIhNS0_10empty_typeEEEZZNS1_27merge_sort_block_merge_implIS3_PhPS5_jNS1_19radix_merge_compareILb1ELb0EhNS0_19identity_decomposerEEEEE10hipError_tT0_T1_T2_jT3_P12ihipStream_tbPNSt15iterator_traitsISE_E10value_typeEPNSK_ISF_E10value_typeEPSG_NS1_7vsmem_tEENKUlT_SE_SF_SG_E_clIS8_S8_S9_S9_EESD_ST_SE_SF_SG_EUlST_E1_NS1_11comp_targetILNS1_3genE4ELNS1_11target_archE910ELNS1_3gpuE8ELNS1_3repE0EEENS1_36merge_oddeven_config_static_selectorELNS0_4arch9wavefront6targetE0EEEvSF_.uses_vcc, 0
	.set _ZN7rocprim17ROCPRIM_400000_NS6detail17trampoline_kernelINS0_14default_configENS1_38merge_sort_block_merge_config_selectorIhNS0_10empty_typeEEEZZNS1_27merge_sort_block_merge_implIS3_PhPS5_jNS1_19radix_merge_compareILb1ELb0EhNS0_19identity_decomposerEEEEE10hipError_tT0_T1_T2_jT3_P12ihipStream_tbPNSt15iterator_traitsISE_E10value_typeEPNSK_ISF_E10value_typeEPSG_NS1_7vsmem_tEENKUlT_SE_SF_SG_E_clIS8_S8_S9_S9_EESD_ST_SE_SF_SG_EUlST_E1_NS1_11comp_targetILNS1_3genE4ELNS1_11target_archE910ELNS1_3gpuE8ELNS1_3repE0EEENS1_36merge_oddeven_config_static_selectorELNS0_4arch9wavefront6targetE0EEEvSF_.uses_flat_scratch, 0
	.set _ZN7rocprim17ROCPRIM_400000_NS6detail17trampoline_kernelINS0_14default_configENS1_38merge_sort_block_merge_config_selectorIhNS0_10empty_typeEEEZZNS1_27merge_sort_block_merge_implIS3_PhPS5_jNS1_19radix_merge_compareILb1ELb0EhNS0_19identity_decomposerEEEEE10hipError_tT0_T1_T2_jT3_P12ihipStream_tbPNSt15iterator_traitsISE_E10value_typeEPNSK_ISF_E10value_typeEPSG_NS1_7vsmem_tEENKUlT_SE_SF_SG_E_clIS8_S8_S9_S9_EESD_ST_SE_SF_SG_EUlST_E1_NS1_11comp_targetILNS1_3genE4ELNS1_11target_archE910ELNS1_3gpuE8ELNS1_3repE0EEENS1_36merge_oddeven_config_static_selectorELNS0_4arch9wavefront6targetE0EEEvSF_.has_dyn_sized_stack, 0
	.set _ZN7rocprim17ROCPRIM_400000_NS6detail17trampoline_kernelINS0_14default_configENS1_38merge_sort_block_merge_config_selectorIhNS0_10empty_typeEEEZZNS1_27merge_sort_block_merge_implIS3_PhPS5_jNS1_19radix_merge_compareILb1ELb0EhNS0_19identity_decomposerEEEEE10hipError_tT0_T1_T2_jT3_P12ihipStream_tbPNSt15iterator_traitsISE_E10value_typeEPNSK_ISF_E10value_typeEPSG_NS1_7vsmem_tEENKUlT_SE_SF_SG_E_clIS8_S8_S9_S9_EESD_ST_SE_SF_SG_EUlST_E1_NS1_11comp_targetILNS1_3genE4ELNS1_11target_archE910ELNS1_3gpuE8ELNS1_3repE0EEENS1_36merge_oddeven_config_static_selectorELNS0_4arch9wavefront6targetE0EEEvSF_.has_recursion, 0
	.set _ZN7rocprim17ROCPRIM_400000_NS6detail17trampoline_kernelINS0_14default_configENS1_38merge_sort_block_merge_config_selectorIhNS0_10empty_typeEEEZZNS1_27merge_sort_block_merge_implIS3_PhPS5_jNS1_19radix_merge_compareILb1ELb0EhNS0_19identity_decomposerEEEEE10hipError_tT0_T1_T2_jT3_P12ihipStream_tbPNSt15iterator_traitsISE_E10value_typeEPNSK_ISF_E10value_typeEPSG_NS1_7vsmem_tEENKUlT_SE_SF_SG_E_clIS8_S8_S9_S9_EESD_ST_SE_SF_SG_EUlST_E1_NS1_11comp_targetILNS1_3genE4ELNS1_11target_archE910ELNS1_3gpuE8ELNS1_3repE0EEENS1_36merge_oddeven_config_static_selectorELNS0_4arch9wavefront6targetE0EEEvSF_.has_indirect_call, 0
	.section	.AMDGPU.csdata,"",@progbits
; Kernel info:
; codeLenInByte = 0
; TotalNumSgprs: 0
; NumVgprs: 0
; ScratchSize: 0
; MemoryBound: 0
; FloatMode: 240
; IeeeMode: 1
; LDSByteSize: 0 bytes/workgroup (compile time only)
; SGPRBlocks: 0
; VGPRBlocks: 0
; NumSGPRsForWavesPerEU: 1
; NumVGPRsForWavesPerEU: 1
; NamedBarCnt: 0
; Occupancy: 16
; WaveLimiterHint : 0
; COMPUTE_PGM_RSRC2:SCRATCH_EN: 0
; COMPUTE_PGM_RSRC2:USER_SGPR: 2
; COMPUTE_PGM_RSRC2:TRAP_HANDLER: 0
; COMPUTE_PGM_RSRC2:TGID_X_EN: 1
; COMPUTE_PGM_RSRC2:TGID_Y_EN: 0
; COMPUTE_PGM_RSRC2:TGID_Z_EN: 0
; COMPUTE_PGM_RSRC2:TIDIG_COMP_CNT: 0
	.section	.text._ZN7rocprim17ROCPRIM_400000_NS6detail17trampoline_kernelINS0_14default_configENS1_38merge_sort_block_merge_config_selectorIhNS0_10empty_typeEEEZZNS1_27merge_sort_block_merge_implIS3_PhPS5_jNS1_19radix_merge_compareILb1ELb0EhNS0_19identity_decomposerEEEEE10hipError_tT0_T1_T2_jT3_P12ihipStream_tbPNSt15iterator_traitsISE_E10value_typeEPNSK_ISF_E10value_typeEPSG_NS1_7vsmem_tEENKUlT_SE_SF_SG_E_clIS8_S8_S9_S9_EESD_ST_SE_SF_SG_EUlST_E1_NS1_11comp_targetILNS1_3genE3ELNS1_11target_archE908ELNS1_3gpuE7ELNS1_3repE0EEENS1_36merge_oddeven_config_static_selectorELNS0_4arch9wavefront6targetE0EEEvSF_,"axG",@progbits,_ZN7rocprim17ROCPRIM_400000_NS6detail17trampoline_kernelINS0_14default_configENS1_38merge_sort_block_merge_config_selectorIhNS0_10empty_typeEEEZZNS1_27merge_sort_block_merge_implIS3_PhPS5_jNS1_19radix_merge_compareILb1ELb0EhNS0_19identity_decomposerEEEEE10hipError_tT0_T1_T2_jT3_P12ihipStream_tbPNSt15iterator_traitsISE_E10value_typeEPNSK_ISF_E10value_typeEPSG_NS1_7vsmem_tEENKUlT_SE_SF_SG_E_clIS8_S8_S9_S9_EESD_ST_SE_SF_SG_EUlST_E1_NS1_11comp_targetILNS1_3genE3ELNS1_11target_archE908ELNS1_3gpuE7ELNS1_3repE0EEENS1_36merge_oddeven_config_static_selectorELNS0_4arch9wavefront6targetE0EEEvSF_,comdat
	.protected	_ZN7rocprim17ROCPRIM_400000_NS6detail17trampoline_kernelINS0_14default_configENS1_38merge_sort_block_merge_config_selectorIhNS0_10empty_typeEEEZZNS1_27merge_sort_block_merge_implIS3_PhPS5_jNS1_19radix_merge_compareILb1ELb0EhNS0_19identity_decomposerEEEEE10hipError_tT0_T1_T2_jT3_P12ihipStream_tbPNSt15iterator_traitsISE_E10value_typeEPNSK_ISF_E10value_typeEPSG_NS1_7vsmem_tEENKUlT_SE_SF_SG_E_clIS8_S8_S9_S9_EESD_ST_SE_SF_SG_EUlST_E1_NS1_11comp_targetILNS1_3genE3ELNS1_11target_archE908ELNS1_3gpuE7ELNS1_3repE0EEENS1_36merge_oddeven_config_static_selectorELNS0_4arch9wavefront6targetE0EEEvSF_ ; -- Begin function _ZN7rocprim17ROCPRIM_400000_NS6detail17trampoline_kernelINS0_14default_configENS1_38merge_sort_block_merge_config_selectorIhNS0_10empty_typeEEEZZNS1_27merge_sort_block_merge_implIS3_PhPS5_jNS1_19radix_merge_compareILb1ELb0EhNS0_19identity_decomposerEEEEE10hipError_tT0_T1_T2_jT3_P12ihipStream_tbPNSt15iterator_traitsISE_E10value_typeEPNSK_ISF_E10value_typeEPSG_NS1_7vsmem_tEENKUlT_SE_SF_SG_E_clIS8_S8_S9_S9_EESD_ST_SE_SF_SG_EUlST_E1_NS1_11comp_targetILNS1_3genE3ELNS1_11target_archE908ELNS1_3gpuE7ELNS1_3repE0EEENS1_36merge_oddeven_config_static_selectorELNS0_4arch9wavefront6targetE0EEEvSF_
	.globl	_ZN7rocprim17ROCPRIM_400000_NS6detail17trampoline_kernelINS0_14default_configENS1_38merge_sort_block_merge_config_selectorIhNS0_10empty_typeEEEZZNS1_27merge_sort_block_merge_implIS3_PhPS5_jNS1_19radix_merge_compareILb1ELb0EhNS0_19identity_decomposerEEEEE10hipError_tT0_T1_T2_jT3_P12ihipStream_tbPNSt15iterator_traitsISE_E10value_typeEPNSK_ISF_E10value_typeEPSG_NS1_7vsmem_tEENKUlT_SE_SF_SG_E_clIS8_S8_S9_S9_EESD_ST_SE_SF_SG_EUlST_E1_NS1_11comp_targetILNS1_3genE3ELNS1_11target_archE908ELNS1_3gpuE7ELNS1_3repE0EEENS1_36merge_oddeven_config_static_selectorELNS0_4arch9wavefront6targetE0EEEvSF_
	.p2align	8
	.type	_ZN7rocprim17ROCPRIM_400000_NS6detail17trampoline_kernelINS0_14default_configENS1_38merge_sort_block_merge_config_selectorIhNS0_10empty_typeEEEZZNS1_27merge_sort_block_merge_implIS3_PhPS5_jNS1_19radix_merge_compareILb1ELb0EhNS0_19identity_decomposerEEEEE10hipError_tT0_T1_T2_jT3_P12ihipStream_tbPNSt15iterator_traitsISE_E10value_typeEPNSK_ISF_E10value_typeEPSG_NS1_7vsmem_tEENKUlT_SE_SF_SG_E_clIS8_S8_S9_S9_EESD_ST_SE_SF_SG_EUlST_E1_NS1_11comp_targetILNS1_3genE3ELNS1_11target_archE908ELNS1_3gpuE7ELNS1_3repE0EEENS1_36merge_oddeven_config_static_selectorELNS0_4arch9wavefront6targetE0EEEvSF_,@function
_ZN7rocprim17ROCPRIM_400000_NS6detail17trampoline_kernelINS0_14default_configENS1_38merge_sort_block_merge_config_selectorIhNS0_10empty_typeEEEZZNS1_27merge_sort_block_merge_implIS3_PhPS5_jNS1_19radix_merge_compareILb1ELb0EhNS0_19identity_decomposerEEEEE10hipError_tT0_T1_T2_jT3_P12ihipStream_tbPNSt15iterator_traitsISE_E10value_typeEPNSK_ISF_E10value_typeEPSG_NS1_7vsmem_tEENKUlT_SE_SF_SG_E_clIS8_S8_S9_S9_EESD_ST_SE_SF_SG_EUlST_E1_NS1_11comp_targetILNS1_3genE3ELNS1_11target_archE908ELNS1_3gpuE7ELNS1_3repE0EEENS1_36merge_oddeven_config_static_selectorELNS0_4arch9wavefront6targetE0EEEvSF_: ; @_ZN7rocprim17ROCPRIM_400000_NS6detail17trampoline_kernelINS0_14default_configENS1_38merge_sort_block_merge_config_selectorIhNS0_10empty_typeEEEZZNS1_27merge_sort_block_merge_implIS3_PhPS5_jNS1_19radix_merge_compareILb1ELb0EhNS0_19identity_decomposerEEEEE10hipError_tT0_T1_T2_jT3_P12ihipStream_tbPNSt15iterator_traitsISE_E10value_typeEPNSK_ISF_E10value_typeEPSG_NS1_7vsmem_tEENKUlT_SE_SF_SG_E_clIS8_S8_S9_S9_EESD_ST_SE_SF_SG_EUlST_E1_NS1_11comp_targetILNS1_3genE3ELNS1_11target_archE908ELNS1_3gpuE7ELNS1_3repE0EEENS1_36merge_oddeven_config_static_selectorELNS0_4arch9wavefront6targetE0EEEvSF_
; %bb.0:
	.section	.rodata,"a",@progbits
	.p2align	6, 0x0
	.amdhsa_kernel _ZN7rocprim17ROCPRIM_400000_NS6detail17trampoline_kernelINS0_14default_configENS1_38merge_sort_block_merge_config_selectorIhNS0_10empty_typeEEEZZNS1_27merge_sort_block_merge_implIS3_PhPS5_jNS1_19radix_merge_compareILb1ELb0EhNS0_19identity_decomposerEEEEE10hipError_tT0_T1_T2_jT3_P12ihipStream_tbPNSt15iterator_traitsISE_E10value_typeEPNSK_ISF_E10value_typeEPSG_NS1_7vsmem_tEENKUlT_SE_SF_SG_E_clIS8_S8_S9_S9_EESD_ST_SE_SF_SG_EUlST_E1_NS1_11comp_targetILNS1_3genE3ELNS1_11target_archE908ELNS1_3gpuE7ELNS1_3repE0EEENS1_36merge_oddeven_config_static_selectorELNS0_4arch9wavefront6targetE0EEEvSF_
		.amdhsa_group_segment_fixed_size 0
		.amdhsa_private_segment_fixed_size 0
		.amdhsa_kernarg_size 48
		.amdhsa_user_sgpr_count 2
		.amdhsa_user_sgpr_dispatch_ptr 0
		.amdhsa_user_sgpr_queue_ptr 0
		.amdhsa_user_sgpr_kernarg_segment_ptr 1
		.amdhsa_user_sgpr_dispatch_id 0
		.amdhsa_user_sgpr_kernarg_preload_length 0
		.amdhsa_user_sgpr_kernarg_preload_offset 0
		.amdhsa_user_sgpr_private_segment_size 0
		.amdhsa_wavefront_size32 1
		.amdhsa_uses_dynamic_stack 0
		.amdhsa_enable_private_segment 0
		.amdhsa_system_sgpr_workgroup_id_x 1
		.amdhsa_system_sgpr_workgroup_id_y 0
		.amdhsa_system_sgpr_workgroup_id_z 0
		.amdhsa_system_sgpr_workgroup_info 0
		.amdhsa_system_vgpr_workitem_id 0
		.amdhsa_next_free_vgpr 1
		.amdhsa_next_free_sgpr 1
		.amdhsa_named_barrier_count 0
		.amdhsa_reserve_vcc 0
		.amdhsa_float_round_mode_32 0
		.amdhsa_float_round_mode_16_64 0
		.amdhsa_float_denorm_mode_32 3
		.amdhsa_float_denorm_mode_16_64 3
		.amdhsa_fp16_overflow 0
		.amdhsa_memory_ordered 1
		.amdhsa_forward_progress 1
		.amdhsa_inst_pref_size 0
		.amdhsa_round_robin_scheduling 0
		.amdhsa_exception_fp_ieee_invalid_op 0
		.amdhsa_exception_fp_denorm_src 0
		.amdhsa_exception_fp_ieee_div_zero 0
		.amdhsa_exception_fp_ieee_overflow 0
		.amdhsa_exception_fp_ieee_underflow 0
		.amdhsa_exception_fp_ieee_inexact 0
		.amdhsa_exception_int_div_zero 0
	.end_amdhsa_kernel
	.section	.text._ZN7rocprim17ROCPRIM_400000_NS6detail17trampoline_kernelINS0_14default_configENS1_38merge_sort_block_merge_config_selectorIhNS0_10empty_typeEEEZZNS1_27merge_sort_block_merge_implIS3_PhPS5_jNS1_19radix_merge_compareILb1ELb0EhNS0_19identity_decomposerEEEEE10hipError_tT0_T1_T2_jT3_P12ihipStream_tbPNSt15iterator_traitsISE_E10value_typeEPNSK_ISF_E10value_typeEPSG_NS1_7vsmem_tEENKUlT_SE_SF_SG_E_clIS8_S8_S9_S9_EESD_ST_SE_SF_SG_EUlST_E1_NS1_11comp_targetILNS1_3genE3ELNS1_11target_archE908ELNS1_3gpuE7ELNS1_3repE0EEENS1_36merge_oddeven_config_static_selectorELNS0_4arch9wavefront6targetE0EEEvSF_,"axG",@progbits,_ZN7rocprim17ROCPRIM_400000_NS6detail17trampoline_kernelINS0_14default_configENS1_38merge_sort_block_merge_config_selectorIhNS0_10empty_typeEEEZZNS1_27merge_sort_block_merge_implIS3_PhPS5_jNS1_19radix_merge_compareILb1ELb0EhNS0_19identity_decomposerEEEEE10hipError_tT0_T1_T2_jT3_P12ihipStream_tbPNSt15iterator_traitsISE_E10value_typeEPNSK_ISF_E10value_typeEPSG_NS1_7vsmem_tEENKUlT_SE_SF_SG_E_clIS8_S8_S9_S9_EESD_ST_SE_SF_SG_EUlST_E1_NS1_11comp_targetILNS1_3genE3ELNS1_11target_archE908ELNS1_3gpuE7ELNS1_3repE0EEENS1_36merge_oddeven_config_static_selectorELNS0_4arch9wavefront6targetE0EEEvSF_,comdat
.Lfunc_end38:
	.size	_ZN7rocprim17ROCPRIM_400000_NS6detail17trampoline_kernelINS0_14default_configENS1_38merge_sort_block_merge_config_selectorIhNS0_10empty_typeEEEZZNS1_27merge_sort_block_merge_implIS3_PhPS5_jNS1_19radix_merge_compareILb1ELb0EhNS0_19identity_decomposerEEEEE10hipError_tT0_T1_T2_jT3_P12ihipStream_tbPNSt15iterator_traitsISE_E10value_typeEPNSK_ISF_E10value_typeEPSG_NS1_7vsmem_tEENKUlT_SE_SF_SG_E_clIS8_S8_S9_S9_EESD_ST_SE_SF_SG_EUlST_E1_NS1_11comp_targetILNS1_3genE3ELNS1_11target_archE908ELNS1_3gpuE7ELNS1_3repE0EEENS1_36merge_oddeven_config_static_selectorELNS0_4arch9wavefront6targetE0EEEvSF_, .Lfunc_end38-_ZN7rocprim17ROCPRIM_400000_NS6detail17trampoline_kernelINS0_14default_configENS1_38merge_sort_block_merge_config_selectorIhNS0_10empty_typeEEEZZNS1_27merge_sort_block_merge_implIS3_PhPS5_jNS1_19radix_merge_compareILb1ELb0EhNS0_19identity_decomposerEEEEE10hipError_tT0_T1_T2_jT3_P12ihipStream_tbPNSt15iterator_traitsISE_E10value_typeEPNSK_ISF_E10value_typeEPSG_NS1_7vsmem_tEENKUlT_SE_SF_SG_E_clIS8_S8_S9_S9_EESD_ST_SE_SF_SG_EUlST_E1_NS1_11comp_targetILNS1_3genE3ELNS1_11target_archE908ELNS1_3gpuE7ELNS1_3repE0EEENS1_36merge_oddeven_config_static_selectorELNS0_4arch9wavefront6targetE0EEEvSF_
                                        ; -- End function
	.set _ZN7rocprim17ROCPRIM_400000_NS6detail17trampoline_kernelINS0_14default_configENS1_38merge_sort_block_merge_config_selectorIhNS0_10empty_typeEEEZZNS1_27merge_sort_block_merge_implIS3_PhPS5_jNS1_19radix_merge_compareILb1ELb0EhNS0_19identity_decomposerEEEEE10hipError_tT0_T1_T2_jT3_P12ihipStream_tbPNSt15iterator_traitsISE_E10value_typeEPNSK_ISF_E10value_typeEPSG_NS1_7vsmem_tEENKUlT_SE_SF_SG_E_clIS8_S8_S9_S9_EESD_ST_SE_SF_SG_EUlST_E1_NS1_11comp_targetILNS1_3genE3ELNS1_11target_archE908ELNS1_3gpuE7ELNS1_3repE0EEENS1_36merge_oddeven_config_static_selectorELNS0_4arch9wavefront6targetE0EEEvSF_.num_vgpr, 0
	.set _ZN7rocprim17ROCPRIM_400000_NS6detail17trampoline_kernelINS0_14default_configENS1_38merge_sort_block_merge_config_selectorIhNS0_10empty_typeEEEZZNS1_27merge_sort_block_merge_implIS3_PhPS5_jNS1_19radix_merge_compareILb1ELb0EhNS0_19identity_decomposerEEEEE10hipError_tT0_T1_T2_jT3_P12ihipStream_tbPNSt15iterator_traitsISE_E10value_typeEPNSK_ISF_E10value_typeEPSG_NS1_7vsmem_tEENKUlT_SE_SF_SG_E_clIS8_S8_S9_S9_EESD_ST_SE_SF_SG_EUlST_E1_NS1_11comp_targetILNS1_3genE3ELNS1_11target_archE908ELNS1_3gpuE7ELNS1_3repE0EEENS1_36merge_oddeven_config_static_selectorELNS0_4arch9wavefront6targetE0EEEvSF_.num_agpr, 0
	.set _ZN7rocprim17ROCPRIM_400000_NS6detail17trampoline_kernelINS0_14default_configENS1_38merge_sort_block_merge_config_selectorIhNS0_10empty_typeEEEZZNS1_27merge_sort_block_merge_implIS3_PhPS5_jNS1_19radix_merge_compareILb1ELb0EhNS0_19identity_decomposerEEEEE10hipError_tT0_T1_T2_jT3_P12ihipStream_tbPNSt15iterator_traitsISE_E10value_typeEPNSK_ISF_E10value_typeEPSG_NS1_7vsmem_tEENKUlT_SE_SF_SG_E_clIS8_S8_S9_S9_EESD_ST_SE_SF_SG_EUlST_E1_NS1_11comp_targetILNS1_3genE3ELNS1_11target_archE908ELNS1_3gpuE7ELNS1_3repE0EEENS1_36merge_oddeven_config_static_selectorELNS0_4arch9wavefront6targetE0EEEvSF_.numbered_sgpr, 0
	.set _ZN7rocprim17ROCPRIM_400000_NS6detail17trampoline_kernelINS0_14default_configENS1_38merge_sort_block_merge_config_selectorIhNS0_10empty_typeEEEZZNS1_27merge_sort_block_merge_implIS3_PhPS5_jNS1_19radix_merge_compareILb1ELb0EhNS0_19identity_decomposerEEEEE10hipError_tT0_T1_T2_jT3_P12ihipStream_tbPNSt15iterator_traitsISE_E10value_typeEPNSK_ISF_E10value_typeEPSG_NS1_7vsmem_tEENKUlT_SE_SF_SG_E_clIS8_S8_S9_S9_EESD_ST_SE_SF_SG_EUlST_E1_NS1_11comp_targetILNS1_3genE3ELNS1_11target_archE908ELNS1_3gpuE7ELNS1_3repE0EEENS1_36merge_oddeven_config_static_selectorELNS0_4arch9wavefront6targetE0EEEvSF_.num_named_barrier, 0
	.set _ZN7rocprim17ROCPRIM_400000_NS6detail17trampoline_kernelINS0_14default_configENS1_38merge_sort_block_merge_config_selectorIhNS0_10empty_typeEEEZZNS1_27merge_sort_block_merge_implIS3_PhPS5_jNS1_19radix_merge_compareILb1ELb0EhNS0_19identity_decomposerEEEEE10hipError_tT0_T1_T2_jT3_P12ihipStream_tbPNSt15iterator_traitsISE_E10value_typeEPNSK_ISF_E10value_typeEPSG_NS1_7vsmem_tEENKUlT_SE_SF_SG_E_clIS8_S8_S9_S9_EESD_ST_SE_SF_SG_EUlST_E1_NS1_11comp_targetILNS1_3genE3ELNS1_11target_archE908ELNS1_3gpuE7ELNS1_3repE0EEENS1_36merge_oddeven_config_static_selectorELNS0_4arch9wavefront6targetE0EEEvSF_.private_seg_size, 0
	.set _ZN7rocprim17ROCPRIM_400000_NS6detail17trampoline_kernelINS0_14default_configENS1_38merge_sort_block_merge_config_selectorIhNS0_10empty_typeEEEZZNS1_27merge_sort_block_merge_implIS3_PhPS5_jNS1_19radix_merge_compareILb1ELb0EhNS0_19identity_decomposerEEEEE10hipError_tT0_T1_T2_jT3_P12ihipStream_tbPNSt15iterator_traitsISE_E10value_typeEPNSK_ISF_E10value_typeEPSG_NS1_7vsmem_tEENKUlT_SE_SF_SG_E_clIS8_S8_S9_S9_EESD_ST_SE_SF_SG_EUlST_E1_NS1_11comp_targetILNS1_3genE3ELNS1_11target_archE908ELNS1_3gpuE7ELNS1_3repE0EEENS1_36merge_oddeven_config_static_selectorELNS0_4arch9wavefront6targetE0EEEvSF_.uses_vcc, 0
	.set _ZN7rocprim17ROCPRIM_400000_NS6detail17trampoline_kernelINS0_14default_configENS1_38merge_sort_block_merge_config_selectorIhNS0_10empty_typeEEEZZNS1_27merge_sort_block_merge_implIS3_PhPS5_jNS1_19radix_merge_compareILb1ELb0EhNS0_19identity_decomposerEEEEE10hipError_tT0_T1_T2_jT3_P12ihipStream_tbPNSt15iterator_traitsISE_E10value_typeEPNSK_ISF_E10value_typeEPSG_NS1_7vsmem_tEENKUlT_SE_SF_SG_E_clIS8_S8_S9_S9_EESD_ST_SE_SF_SG_EUlST_E1_NS1_11comp_targetILNS1_3genE3ELNS1_11target_archE908ELNS1_3gpuE7ELNS1_3repE0EEENS1_36merge_oddeven_config_static_selectorELNS0_4arch9wavefront6targetE0EEEvSF_.uses_flat_scratch, 0
	.set _ZN7rocprim17ROCPRIM_400000_NS6detail17trampoline_kernelINS0_14default_configENS1_38merge_sort_block_merge_config_selectorIhNS0_10empty_typeEEEZZNS1_27merge_sort_block_merge_implIS3_PhPS5_jNS1_19radix_merge_compareILb1ELb0EhNS0_19identity_decomposerEEEEE10hipError_tT0_T1_T2_jT3_P12ihipStream_tbPNSt15iterator_traitsISE_E10value_typeEPNSK_ISF_E10value_typeEPSG_NS1_7vsmem_tEENKUlT_SE_SF_SG_E_clIS8_S8_S9_S9_EESD_ST_SE_SF_SG_EUlST_E1_NS1_11comp_targetILNS1_3genE3ELNS1_11target_archE908ELNS1_3gpuE7ELNS1_3repE0EEENS1_36merge_oddeven_config_static_selectorELNS0_4arch9wavefront6targetE0EEEvSF_.has_dyn_sized_stack, 0
	.set _ZN7rocprim17ROCPRIM_400000_NS6detail17trampoline_kernelINS0_14default_configENS1_38merge_sort_block_merge_config_selectorIhNS0_10empty_typeEEEZZNS1_27merge_sort_block_merge_implIS3_PhPS5_jNS1_19radix_merge_compareILb1ELb0EhNS0_19identity_decomposerEEEEE10hipError_tT0_T1_T2_jT3_P12ihipStream_tbPNSt15iterator_traitsISE_E10value_typeEPNSK_ISF_E10value_typeEPSG_NS1_7vsmem_tEENKUlT_SE_SF_SG_E_clIS8_S8_S9_S9_EESD_ST_SE_SF_SG_EUlST_E1_NS1_11comp_targetILNS1_3genE3ELNS1_11target_archE908ELNS1_3gpuE7ELNS1_3repE0EEENS1_36merge_oddeven_config_static_selectorELNS0_4arch9wavefront6targetE0EEEvSF_.has_recursion, 0
	.set _ZN7rocprim17ROCPRIM_400000_NS6detail17trampoline_kernelINS0_14default_configENS1_38merge_sort_block_merge_config_selectorIhNS0_10empty_typeEEEZZNS1_27merge_sort_block_merge_implIS3_PhPS5_jNS1_19radix_merge_compareILb1ELb0EhNS0_19identity_decomposerEEEEE10hipError_tT0_T1_T2_jT3_P12ihipStream_tbPNSt15iterator_traitsISE_E10value_typeEPNSK_ISF_E10value_typeEPSG_NS1_7vsmem_tEENKUlT_SE_SF_SG_E_clIS8_S8_S9_S9_EESD_ST_SE_SF_SG_EUlST_E1_NS1_11comp_targetILNS1_3genE3ELNS1_11target_archE908ELNS1_3gpuE7ELNS1_3repE0EEENS1_36merge_oddeven_config_static_selectorELNS0_4arch9wavefront6targetE0EEEvSF_.has_indirect_call, 0
	.section	.AMDGPU.csdata,"",@progbits
; Kernel info:
; codeLenInByte = 0
; TotalNumSgprs: 0
; NumVgprs: 0
; ScratchSize: 0
; MemoryBound: 0
; FloatMode: 240
; IeeeMode: 1
; LDSByteSize: 0 bytes/workgroup (compile time only)
; SGPRBlocks: 0
; VGPRBlocks: 0
; NumSGPRsForWavesPerEU: 1
; NumVGPRsForWavesPerEU: 1
; NamedBarCnt: 0
; Occupancy: 16
; WaveLimiterHint : 0
; COMPUTE_PGM_RSRC2:SCRATCH_EN: 0
; COMPUTE_PGM_RSRC2:USER_SGPR: 2
; COMPUTE_PGM_RSRC2:TRAP_HANDLER: 0
; COMPUTE_PGM_RSRC2:TGID_X_EN: 1
; COMPUTE_PGM_RSRC2:TGID_Y_EN: 0
; COMPUTE_PGM_RSRC2:TGID_Z_EN: 0
; COMPUTE_PGM_RSRC2:TIDIG_COMP_CNT: 0
	.section	.text._ZN7rocprim17ROCPRIM_400000_NS6detail17trampoline_kernelINS0_14default_configENS1_38merge_sort_block_merge_config_selectorIhNS0_10empty_typeEEEZZNS1_27merge_sort_block_merge_implIS3_PhPS5_jNS1_19radix_merge_compareILb1ELb0EhNS0_19identity_decomposerEEEEE10hipError_tT0_T1_T2_jT3_P12ihipStream_tbPNSt15iterator_traitsISE_E10value_typeEPNSK_ISF_E10value_typeEPSG_NS1_7vsmem_tEENKUlT_SE_SF_SG_E_clIS8_S8_S9_S9_EESD_ST_SE_SF_SG_EUlST_E1_NS1_11comp_targetILNS1_3genE2ELNS1_11target_archE906ELNS1_3gpuE6ELNS1_3repE0EEENS1_36merge_oddeven_config_static_selectorELNS0_4arch9wavefront6targetE0EEEvSF_,"axG",@progbits,_ZN7rocprim17ROCPRIM_400000_NS6detail17trampoline_kernelINS0_14default_configENS1_38merge_sort_block_merge_config_selectorIhNS0_10empty_typeEEEZZNS1_27merge_sort_block_merge_implIS3_PhPS5_jNS1_19radix_merge_compareILb1ELb0EhNS0_19identity_decomposerEEEEE10hipError_tT0_T1_T2_jT3_P12ihipStream_tbPNSt15iterator_traitsISE_E10value_typeEPNSK_ISF_E10value_typeEPSG_NS1_7vsmem_tEENKUlT_SE_SF_SG_E_clIS8_S8_S9_S9_EESD_ST_SE_SF_SG_EUlST_E1_NS1_11comp_targetILNS1_3genE2ELNS1_11target_archE906ELNS1_3gpuE6ELNS1_3repE0EEENS1_36merge_oddeven_config_static_selectorELNS0_4arch9wavefront6targetE0EEEvSF_,comdat
	.protected	_ZN7rocprim17ROCPRIM_400000_NS6detail17trampoline_kernelINS0_14default_configENS1_38merge_sort_block_merge_config_selectorIhNS0_10empty_typeEEEZZNS1_27merge_sort_block_merge_implIS3_PhPS5_jNS1_19radix_merge_compareILb1ELb0EhNS0_19identity_decomposerEEEEE10hipError_tT0_T1_T2_jT3_P12ihipStream_tbPNSt15iterator_traitsISE_E10value_typeEPNSK_ISF_E10value_typeEPSG_NS1_7vsmem_tEENKUlT_SE_SF_SG_E_clIS8_S8_S9_S9_EESD_ST_SE_SF_SG_EUlST_E1_NS1_11comp_targetILNS1_3genE2ELNS1_11target_archE906ELNS1_3gpuE6ELNS1_3repE0EEENS1_36merge_oddeven_config_static_selectorELNS0_4arch9wavefront6targetE0EEEvSF_ ; -- Begin function _ZN7rocprim17ROCPRIM_400000_NS6detail17trampoline_kernelINS0_14default_configENS1_38merge_sort_block_merge_config_selectorIhNS0_10empty_typeEEEZZNS1_27merge_sort_block_merge_implIS3_PhPS5_jNS1_19radix_merge_compareILb1ELb0EhNS0_19identity_decomposerEEEEE10hipError_tT0_T1_T2_jT3_P12ihipStream_tbPNSt15iterator_traitsISE_E10value_typeEPNSK_ISF_E10value_typeEPSG_NS1_7vsmem_tEENKUlT_SE_SF_SG_E_clIS8_S8_S9_S9_EESD_ST_SE_SF_SG_EUlST_E1_NS1_11comp_targetILNS1_3genE2ELNS1_11target_archE906ELNS1_3gpuE6ELNS1_3repE0EEENS1_36merge_oddeven_config_static_selectorELNS0_4arch9wavefront6targetE0EEEvSF_
	.globl	_ZN7rocprim17ROCPRIM_400000_NS6detail17trampoline_kernelINS0_14default_configENS1_38merge_sort_block_merge_config_selectorIhNS0_10empty_typeEEEZZNS1_27merge_sort_block_merge_implIS3_PhPS5_jNS1_19radix_merge_compareILb1ELb0EhNS0_19identity_decomposerEEEEE10hipError_tT0_T1_T2_jT3_P12ihipStream_tbPNSt15iterator_traitsISE_E10value_typeEPNSK_ISF_E10value_typeEPSG_NS1_7vsmem_tEENKUlT_SE_SF_SG_E_clIS8_S8_S9_S9_EESD_ST_SE_SF_SG_EUlST_E1_NS1_11comp_targetILNS1_3genE2ELNS1_11target_archE906ELNS1_3gpuE6ELNS1_3repE0EEENS1_36merge_oddeven_config_static_selectorELNS0_4arch9wavefront6targetE0EEEvSF_
	.p2align	8
	.type	_ZN7rocprim17ROCPRIM_400000_NS6detail17trampoline_kernelINS0_14default_configENS1_38merge_sort_block_merge_config_selectorIhNS0_10empty_typeEEEZZNS1_27merge_sort_block_merge_implIS3_PhPS5_jNS1_19radix_merge_compareILb1ELb0EhNS0_19identity_decomposerEEEEE10hipError_tT0_T1_T2_jT3_P12ihipStream_tbPNSt15iterator_traitsISE_E10value_typeEPNSK_ISF_E10value_typeEPSG_NS1_7vsmem_tEENKUlT_SE_SF_SG_E_clIS8_S8_S9_S9_EESD_ST_SE_SF_SG_EUlST_E1_NS1_11comp_targetILNS1_3genE2ELNS1_11target_archE906ELNS1_3gpuE6ELNS1_3repE0EEENS1_36merge_oddeven_config_static_selectorELNS0_4arch9wavefront6targetE0EEEvSF_,@function
_ZN7rocprim17ROCPRIM_400000_NS6detail17trampoline_kernelINS0_14default_configENS1_38merge_sort_block_merge_config_selectorIhNS0_10empty_typeEEEZZNS1_27merge_sort_block_merge_implIS3_PhPS5_jNS1_19radix_merge_compareILb1ELb0EhNS0_19identity_decomposerEEEEE10hipError_tT0_T1_T2_jT3_P12ihipStream_tbPNSt15iterator_traitsISE_E10value_typeEPNSK_ISF_E10value_typeEPSG_NS1_7vsmem_tEENKUlT_SE_SF_SG_E_clIS8_S8_S9_S9_EESD_ST_SE_SF_SG_EUlST_E1_NS1_11comp_targetILNS1_3genE2ELNS1_11target_archE906ELNS1_3gpuE6ELNS1_3repE0EEENS1_36merge_oddeven_config_static_selectorELNS0_4arch9wavefront6targetE0EEEvSF_: ; @_ZN7rocprim17ROCPRIM_400000_NS6detail17trampoline_kernelINS0_14default_configENS1_38merge_sort_block_merge_config_selectorIhNS0_10empty_typeEEEZZNS1_27merge_sort_block_merge_implIS3_PhPS5_jNS1_19radix_merge_compareILb1ELb0EhNS0_19identity_decomposerEEEEE10hipError_tT0_T1_T2_jT3_P12ihipStream_tbPNSt15iterator_traitsISE_E10value_typeEPNSK_ISF_E10value_typeEPSG_NS1_7vsmem_tEENKUlT_SE_SF_SG_E_clIS8_S8_S9_S9_EESD_ST_SE_SF_SG_EUlST_E1_NS1_11comp_targetILNS1_3genE2ELNS1_11target_archE906ELNS1_3gpuE6ELNS1_3repE0EEENS1_36merge_oddeven_config_static_selectorELNS0_4arch9wavefront6targetE0EEEvSF_
; %bb.0:
	.section	.rodata,"a",@progbits
	.p2align	6, 0x0
	.amdhsa_kernel _ZN7rocprim17ROCPRIM_400000_NS6detail17trampoline_kernelINS0_14default_configENS1_38merge_sort_block_merge_config_selectorIhNS0_10empty_typeEEEZZNS1_27merge_sort_block_merge_implIS3_PhPS5_jNS1_19radix_merge_compareILb1ELb0EhNS0_19identity_decomposerEEEEE10hipError_tT0_T1_T2_jT3_P12ihipStream_tbPNSt15iterator_traitsISE_E10value_typeEPNSK_ISF_E10value_typeEPSG_NS1_7vsmem_tEENKUlT_SE_SF_SG_E_clIS8_S8_S9_S9_EESD_ST_SE_SF_SG_EUlST_E1_NS1_11comp_targetILNS1_3genE2ELNS1_11target_archE906ELNS1_3gpuE6ELNS1_3repE0EEENS1_36merge_oddeven_config_static_selectorELNS0_4arch9wavefront6targetE0EEEvSF_
		.amdhsa_group_segment_fixed_size 0
		.amdhsa_private_segment_fixed_size 0
		.amdhsa_kernarg_size 48
		.amdhsa_user_sgpr_count 2
		.amdhsa_user_sgpr_dispatch_ptr 0
		.amdhsa_user_sgpr_queue_ptr 0
		.amdhsa_user_sgpr_kernarg_segment_ptr 1
		.amdhsa_user_sgpr_dispatch_id 0
		.amdhsa_user_sgpr_kernarg_preload_length 0
		.amdhsa_user_sgpr_kernarg_preload_offset 0
		.amdhsa_user_sgpr_private_segment_size 0
		.amdhsa_wavefront_size32 1
		.amdhsa_uses_dynamic_stack 0
		.amdhsa_enable_private_segment 0
		.amdhsa_system_sgpr_workgroup_id_x 1
		.amdhsa_system_sgpr_workgroup_id_y 0
		.amdhsa_system_sgpr_workgroup_id_z 0
		.amdhsa_system_sgpr_workgroup_info 0
		.amdhsa_system_vgpr_workitem_id 0
		.amdhsa_next_free_vgpr 1
		.amdhsa_next_free_sgpr 1
		.amdhsa_named_barrier_count 0
		.amdhsa_reserve_vcc 0
		.amdhsa_float_round_mode_32 0
		.amdhsa_float_round_mode_16_64 0
		.amdhsa_float_denorm_mode_32 3
		.amdhsa_float_denorm_mode_16_64 3
		.amdhsa_fp16_overflow 0
		.amdhsa_memory_ordered 1
		.amdhsa_forward_progress 1
		.amdhsa_inst_pref_size 0
		.amdhsa_round_robin_scheduling 0
		.amdhsa_exception_fp_ieee_invalid_op 0
		.amdhsa_exception_fp_denorm_src 0
		.amdhsa_exception_fp_ieee_div_zero 0
		.amdhsa_exception_fp_ieee_overflow 0
		.amdhsa_exception_fp_ieee_underflow 0
		.amdhsa_exception_fp_ieee_inexact 0
		.amdhsa_exception_int_div_zero 0
	.end_amdhsa_kernel
	.section	.text._ZN7rocprim17ROCPRIM_400000_NS6detail17trampoline_kernelINS0_14default_configENS1_38merge_sort_block_merge_config_selectorIhNS0_10empty_typeEEEZZNS1_27merge_sort_block_merge_implIS3_PhPS5_jNS1_19radix_merge_compareILb1ELb0EhNS0_19identity_decomposerEEEEE10hipError_tT0_T1_T2_jT3_P12ihipStream_tbPNSt15iterator_traitsISE_E10value_typeEPNSK_ISF_E10value_typeEPSG_NS1_7vsmem_tEENKUlT_SE_SF_SG_E_clIS8_S8_S9_S9_EESD_ST_SE_SF_SG_EUlST_E1_NS1_11comp_targetILNS1_3genE2ELNS1_11target_archE906ELNS1_3gpuE6ELNS1_3repE0EEENS1_36merge_oddeven_config_static_selectorELNS0_4arch9wavefront6targetE0EEEvSF_,"axG",@progbits,_ZN7rocprim17ROCPRIM_400000_NS6detail17trampoline_kernelINS0_14default_configENS1_38merge_sort_block_merge_config_selectorIhNS0_10empty_typeEEEZZNS1_27merge_sort_block_merge_implIS3_PhPS5_jNS1_19radix_merge_compareILb1ELb0EhNS0_19identity_decomposerEEEEE10hipError_tT0_T1_T2_jT3_P12ihipStream_tbPNSt15iterator_traitsISE_E10value_typeEPNSK_ISF_E10value_typeEPSG_NS1_7vsmem_tEENKUlT_SE_SF_SG_E_clIS8_S8_S9_S9_EESD_ST_SE_SF_SG_EUlST_E1_NS1_11comp_targetILNS1_3genE2ELNS1_11target_archE906ELNS1_3gpuE6ELNS1_3repE0EEENS1_36merge_oddeven_config_static_selectorELNS0_4arch9wavefront6targetE0EEEvSF_,comdat
.Lfunc_end39:
	.size	_ZN7rocprim17ROCPRIM_400000_NS6detail17trampoline_kernelINS0_14default_configENS1_38merge_sort_block_merge_config_selectorIhNS0_10empty_typeEEEZZNS1_27merge_sort_block_merge_implIS3_PhPS5_jNS1_19radix_merge_compareILb1ELb0EhNS0_19identity_decomposerEEEEE10hipError_tT0_T1_T2_jT3_P12ihipStream_tbPNSt15iterator_traitsISE_E10value_typeEPNSK_ISF_E10value_typeEPSG_NS1_7vsmem_tEENKUlT_SE_SF_SG_E_clIS8_S8_S9_S9_EESD_ST_SE_SF_SG_EUlST_E1_NS1_11comp_targetILNS1_3genE2ELNS1_11target_archE906ELNS1_3gpuE6ELNS1_3repE0EEENS1_36merge_oddeven_config_static_selectorELNS0_4arch9wavefront6targetE0EEEvSF_, .Lfunc_end39-_ZN7rocprim17ROCPRIM_400000_NS6detail17trampoline_kernelINS0_14default_configENS1_38merge_sort_block_merge_config_selectorIhNS0_10empty_typeEEEZZNS1_27merge_sort_block_merge_implIS3_PhPS5_jNS1_19radix_merge_compareILb1ELb0EhNS0_19identity_decomposerEEEEE10hipError_tT0_T1_T2_jT3_P12ihipStream_tbPNSt15iterator_traitsISE_E10value_typeEPNSK_ISF_E10value_typeEPSG_NS1_7vsmem_tEENKUlT_SE_SF_SG_E_clIS8_S8_S9_S9_EESD_ST_SE_SF_SG_EUlST_E1_NS1_11comp_targetILNS1_3genE2ELNS1_11target_archE906ELNS1_3gpuE6ELNS1_3repE0EEENS1_36merge_oddeven_config_static_selectorELNS0_4arch9wavefront6targetE0EEEvSF_
                                        ; -- End function
	.set _ZN7rocprim17ROCPRIM_400000_NS6detail17trampoline_kernelINS0_14default_configENS1_38merge_sort_block_merge_config_selectorIhNS0_10empty_typeEEEZZNS1_27merge_sort_block_merge_implIS3_PhPS5_jNS1_19radix_merge_compareILb1ELb0EhNS0_19identity_decomposerEEEEE10hipError_tT0_T1_T2_jT3_P12ihipStream_tbPNSt15iterator_traitsISE_E10value_typeEPNSK_ISF_E10value_typeEPSG_NS1_7vsmem_tEENKUlT_SE_SF_SG_E_clIS8_S8_S9_S9_EESD_ST_SE_SF_SG_EUlST_E1_NS1_11comp_targetILNS1_3genE2ELNS1_11target_archE906ELNS1_3gpuE6ELNS1_3repE0EEENS1_36merge_oddeven_config_static_selectorELNS0_4arch9wavefront6targetE0EEEvSF_.num_vgpr, 0
	.set _ZN7rocprim17ROCPRIM_400000_NS6detail17trampoline_kernelINS0_14default_configENS1_38merge_sort_block_merge_config_selectorIhNS0_10empty_typeEEEZZNS1_27merge_sort_block_merge_implIS3_PhPS5_jNS1_19radix_merge_compareILb1ELb0EhNS0_19identity_decomposerEEEEE10hipError_tT0_T1_T2_jT3_P12ihipStream_tbPNSt15iterator_traitsISE_E10value_typeEPNSK_ISF_E10value_typeEPSG_NS1_7vsmem_tEENKUlT_SE_SF_SG_E_clIS8_S8_S9_S9_EESD_ST_SE_SF_SG_EUlST_E1_NS1_11comp_targetILNS1_3genE2ELNS1_11target_archE906ELNS1_3gpuE6ELNS1_3repE0EEENS1_36merge_oddeven_config_static_selectorELNS0_4arch9wavefront6targetE0EEEvSF_.num_agpr, 0
	.set _ZN7rocprim17ROCPRIM_400000_NS6detail17trampoline_kernelINS0_14default_configENS1_38merge_sort_block_merge_config_selectorIhNS0_10empty_typeEEEZZNS1_27merge_sort_block_merge_implIS3_PhPS5_jNS1_19radix_merge_compareILb1ELb0EhNS0_19identity_decomposerEEEEE10hipError_tT0_T1_T2_jT3_P12ihipStream_tbPNSt15iterator_traitsISE_E10value_typeEPNSK_ISF_E10value_typeEPSG_NS1_7vsmem_tEENKUlT_SE_SF_SG_E_clIS8_S8_S9_S9_EESD_ST_SE_SF_SG_EUlST_E1_NS1_11comp_targetILNS1_3genE2ELNS1_11target_archE906ELNS1_3gpuE6ELNS1_3repE0EEENS1_36merge_oddeven_config_static_selectorELNS0_4arch9wavefront6targetE0EEEvSF_.numbered_sgpr, 0
	.set _ZN7rocprim17ROCPRIM_400000_NS6detail17trampoline_kernelINS0_14default_configENS1_38merge_sort_block_merge_config_selectorIhNS0_10empty_typeEEEZZNS1_27merge_sort_block_merge_implIS3_PhPS5_jNS1_19radix_merge_compareILb1ELb0EhNS0_19identity_decomposerEEEEE10hipError_tT0_T1_T2_jT3_P12ihipStream_tbPNSt15iterator_traitsISE_E10value_typeEPNSK_ISF_E10value_typeEPSG_NS1_7vsmem_tEENKUlT_SE_SF_SG_E_clIS8_S8_S9_S9_EESD_ST_SE_SF_SG_EUlST_E1_NS1_11comp_targetILNS1_3genE2ELNS1_11target_archE906ELNS1_3gpuE6ELNS1_3repE0EEENS1_36merge_oddeven_config_static_selectorELNS0_4arch9wavefront6targetE0EEEvSF_.num_named_barrier, 0
	.set _ZN7rocprim17ROCPRIM_400000_NS6detail17trampoline_kernelINS0_14default_configENS1_38merge_sort_block_merge_config_selectorIhNS0_10empty_typeEEEZZNS1_27merge_sort_block_merge_implIS3_PhPS5_jNS1_19radix_merge_compareILb1ELb0EhNS0_19identity_decomposerEEEEE10hipError_tT0_T1_T2_jT3_P12ihipStream_tbPNSt15iterator_traitsISE_E10value_typeEPNSK_ISF_E10value_typeEPSG_NS1_7vsmem_tEENKUlT_SE_SF_SG_E_clIS8_S8_S9_S9_EESD_ST_SE_SF_SG_EUlST_E1_NS1_11comp_targetILNS1_3genE2ELNS1_11target_archE906ELNS1_3gpuE6ELNS1_3repE0EEENS1_36merge_oddeven_config_static_selectorELNS0_4arch9wavefront6targetE0EEEvSF_.private_seg_size, 0
	.set _ZN7rocprim17ROCPRIM_400000_NS6detail17trampoline_kernelINS0_14default_configENS1_38merge_sort_block_merge_config_selectorIhNS0_10empty_typeEEEZZNS1_27merge_sort_block_merge_implIS3_PhPS5_jNS1_19radix_merge_compareILb1ELb0EhNS0_19identity_decomposerEEEEE10hipError_tT0_T1_T2_jT3_P12ihipStream_tbPNSt15iterator_traitsISE_E10value_typeEPNSK_ISF_E10value_typeEPSG_NS1_7vsmem_tEENKUlT_SE_SF_SG_E_clIS8_S8_S9_S9_EESD_ST_SE_SF_SG_EUlST_E1_NS1_11comp_targetILNS1_3genE2ELNS1_11target_archE906ELNS1_3gpuE6ELNS1_3repE0EEENS1_36merge_oddeven_config_static_selectorELNS0_4arch9wavefront6targetE0EEEvSF_.uses_vcc, 0
	.set _ZN7rocprim17ROCPRIM_400000_NS6detail17trampoline_kernelINS0_14default_configENS1_38merge_sort_block_merge_config_selectorIhNS0_10empty_typeEEEZZNS1_27merge_sort_block_merge_implIS3_PhPS5_jNS1_19radix_merge_compareILb1ELb0EhNS0_19identity_decomposerEEEEE10hipError_tT0_T1_T2_jT3_P12ihipStream_tbPNSt15iterator_traitsISE_E10value_typeEPNSK_ISF_E10value_typeEPSG_NS1_7vsmem_tEENKUlT_SE_SF_SG_E_clIS8_S8_S9_S9_EESD_ST_SE_SF_SG_EUlST_E1_NS1_11comp_targetILNS1_3genE2ELNS1_11target_archE906ELNS1_3gpuE6ELNS1_3repE0EEENS1_36merge_oddeven_config_static_selectorELNS0_4arch9wavefront6targetE0EEEvSF_.uses_flat_scratch, 0
	.set _ZN7rocprim17ROCPRIM_400000_NS6detail17trampoline_kernelINS0_14default_configENS1_38merge_sort_block_merge_config_selectorIhNS0_10empty_typeEEEZZNS1_27merge_sort_block_merge_implIS3_PhPS5_jNS1_19radix_merge_compareILb1ELb0EhNS0_19identity_decomposerEEEEE10hipError_tT0_T1_T2_jT3_P12ihipStream_tbPNSt15iterator_traitsISE_E10value_typeEPNSK_ISF_E10value_typeEPSG_NS1_7vsmem_tEENKUlT_SE_SF_SG_E_clIS8_S8_S9_S9_EESD_ST_SE_SF_SG_EUlST_E1_NS1_11comp_targetILNS1_3genE2ELNS1_11target_archE906ELNS1_3gpuE6ELNS1_3repE0EEENS1_36merge_oddeven_config_static_selectorELNS0_4arch9wavefront6targetE0EEEvSF_.has_dyn_sized_stack, 0
	.set _ZN7rocprim17ROCPRIM_400000_NS6detail17trampoline_kernelINS0_14default_configENS1_38merge_sort_block_merge_config_selectorIhNS0_10empty_typeEEEZZNS1_27merge_sort_block_merge_implIS3_PhPS5_jNS1_19radix_merge_compareILb1ELb0EhNS0_19identity_decomposerEEEEE10hipError_tT0_T1_T2_jT3_P12ihipStream_tbPNSt15iterator_traitsISE_E10value_typeEPNSK_ISF_E10value_typeEPSG_NS1_7vsmem_tEENKUlT_SE_SF_SG_E_clIS8_S8_S9_S9_EESD_ST_SE_SF_SG_EUlST_E1_NS1_11comp_targetILNS1_3genE2ELNS1_11target_archE906ELNS1_3gpuE6ELNS1_3repE0EEENS1_36merge_oddeven_config_static_selectorELNS0_4arch9wavefront6targetE0EEEvSF_.has_recursion, 0
	.set _ZN7rocprim17ROCPRIM_400000_NS6detail17trampoline_kernelINS0_14default_configENS1_38merge_sort_block_merge_config_selectorIhNS0_10empty_typeEEEZZNS1_27merge_sort_block_merge_implIS3_PhPS5_jNS1_19radix_merge_compareILb1ELb0EhNS0_19identity_decomposerEEEEE10hipError_tT0_T1_T2_jT3_P12ihipStream_tbPNSt15iterator_traitsISE_E10value_typeEPNSK_ISF_E10value_typeEPSG_NS1_7vsmem_tEENKUlT_SE_SF_SG_E_clIS8_S8_S9_S9_EESD_ST_SE_SF_SG_EUlST_E1_NS1_11comp_targetILNS1_3genE2ELNS1_11target_archE906ELNS1_3gpuE6ELNS1_3repE0EEENS1_36merge_oddeven_config_static_selectorELNS0_4arch9wavefront6targetE0EEEvSF_.has_indirect_call, 0
	.section	.AMDGPU.csdata,"",@progbits
; Kernel info:
; codeLenInByte = 0
; TotalNumSgprs: 0
; NumVgprs: 0
; ScratchSize: 0
; MemoryBound: 0
; FloatMode: 240
; IeeeMode: 1
; LDSByteSize: 0 bytes/workgroup (compile time only)
; SGPRBlocks: 0
; VGPRBlocks: 0
; NumSGPRsForWavesPerEU: 1
; NumVGPRsForWavesPerEU: 1
; NamedBarCnt: 0
; Occupancy: 16
; WaveLimiterHint : 0
; COMPUTE_PGM_RSRC2:SCRATCH_EN: 0
; COMPUTE_PGM_RSRC2:USER_SGPR: 2
; COMPUTE_PGM_RSRC2:TRAP_HANDLER: 0
; COMPUTE_PGM_RSRC2:TGID_X_EN: 1
; COMPUTE_PGM_RSRC2:TGID_Y_EN: 0
; COMPUTE_PGM_RSRC2:TGID_Z_EN: 0
; COMPUTE_PGM_RSRC2:TIDIG_COMP_CNT: 0
	.section	.text._ZN7rocprim17ROCPRIM_400000_NS6detail17trampoline_kernelINS0_14default_configENS1_38merge_sort_block_merge_config_selectorIhNS0_10empty_typeEEEZZNS1_27merge_sort_block_merge_implIS3_PhPS5_jNS1_19radix_merge_compareILb1ELb0EhNS0_19identity_decomposerEEEEE10hipError_tT0_T1_T2_jT3_P12ihipStream_tbPNSt15iterator_traitsISE_E10value_typeEPNSK_ISF_E10value_typeEPSG_NS1_7vsmem_tEENKUlT_SE_SF_SG_E_clIS8_S8_S9_S9_EESD_ST_SE_SF_SG_EUlST_E1_NS1_11comp_targetILNS1_3genE9ELNS1_11target_archE1100ELNS1_3gpuE3ELNS1_3repE0EEENS1_36merge_oddeven_config_static_selectorELNS0_4arch9wavefront6targetE0EEEvSF_,"axG",@progbits,_ZN7rocprim17ROCPRIM_400000_NS6detail17trampoline_kernelINS0_14default_configENS1_38merge_sort_block_merge_config_selectorIhNS0_10empty_typeEEEZZNS1_27merge_sort_block_merge_implIS3_PhPS5_jNS1_19radix_merge_compareILb1ELb0EhNS0_19identity_decomposerEEEEE10hipError_tT0_T1_T2_jT3_P12ihipStream_tbPNSt15iterator_traitsISE_E10value_typeEPNSK_ISF_E10value_typeEPSG_NS1_7vsmem_tEENKUlT_SE_SF_SG_E_clIS8_S8_S9_S9_EESD_ST_SE_SF_SG_EUlST_E1_NS1_11comp_targetILNS1_3genE9ELNS1_11target_archE1100ELNS1_3gpuE3ELNS1_3repE0EEENS1_36merge_oddeven_config_static_selectorELNS0_4arch9wavefront6targetE0EEEvSF_,comdat
	.protected	_ZN7rocprim17ROCPRIM_400000_NS6detail17trampoline_kernelINS0_14default_configENS1_38merge_sort_block_merge_config_selectorIhNS0_10empty_typeEEEZZNS1_27merge_sort_block_merge_implIS3_PhPS5_jNS1_19radix_merge_compareILb1ELb0EhNS0_19identity_decomposerEEEEE10hipError_tT0_T1_T2_jT3_P12ihipStream_tbPNSt15iterator_traitsISE_E10value_typeEPNSK_ISF_E10value_typeEPSG_NS1_7vsmem_tEENKUlT_SE_SF_SG_E_clIS8_S8_S9_S9_EESD_ST_SE_SF_SG_EUlST_E1_NS1_11comp_targetILNS1_3genE9ELNS1_11target_archE1100ELNS1_3gpuE3ELNS1_3repE0EEENS1_36merge_oddeven_config_static_selectorELNS0_4arch9wavefront6targetE0EEEvSF_ ; -- Begin function _ZN7rocprim17ROCPRIM_400000_NS6detail17trampoline_kernelINS0_14default_configENS1_38merge_sort_block_merge_config_selectorIhNS0_10empty_typeEEEZZNS1_27merge_sort_block_merge_implIS3_PhPS5_jNS1_19radix_merge_compareILb1ELb0EhNS0_19identity_decomposerEEEEE10hipError_tT0_T1_T2_jT3_P12ihipStream_tbPNSt15iterator_traitsISE_E10value_typeEPNSK_ISF_E10value_typeEPSG_NS1_7vsmem_tEENKUlT_SE_SF_SG_E_clIS8_S8_S9_S9_EESD_ST_SE_SF_SG_EUlST_E1_NS1_11comp_targetILNS1_3genE9ELNS1_11target_archE1100ELNS1_3gpuE3ELNS1_3repE0EEENS1_36merge_oddeven_config_static_selectorELNS0_4arch9wavefront6targetE0EEEvSF_
	.globl	_ZN7rocprim17ROCPRIM_400000_NS6detail17trampoline_kernelINS0_14default_configENS1_38merge_sort_block_merge_config_selectorIhNS0_10empty_typeEEEZZNS1_27merge_sort_block_merge_implIS3_PhPS5_jNS1_19radix_merge_compareILb1ELb0EhNS0_19identity_decomposerEEEEE10hipError_tT0_T1_T2_jT3_P12ihipStream_tbPNSt15iterator_traitsISE_E10value_typeEPNSK_ISF_E10value_typeEPSG_NS1_7vsmem_tEENKUlT_SE_SF_SG_E_clIS8_S8_S9_S9_EESD_ST_SE_SF_SG_EUlST_E1_NS1_11comp_targetILNS1_3genE9ELNS1_11target_archE1100ELNS1_3gpuE3ELNS1_3repE0EEENS1_36merge_oddeven_config_static_selectorELNS0_4arch9wavefront6targetE0EEEvSF_
	.p2align	8
	.type	_ZN7rocprim17ROCPRIM_400000_NS6detail17trampoline_kernelINS0_14default_configENS1_38merge_sort_block_merge_config_selectorIhNS0_10empty_typeEEEZZNS1_27merge_sort_block_merge_implIS3_PhPS5_jNS1_19radix_merge_compareILb1ELb0EhNS0_19identity_decomposerEEEEE10hipError_tT0_T1_T2_jT3_P12ihipStream_tbPNSt15iterator_traitsISE_E10value_typeEPNSK_ISF_E10value_typeEPSG_NS1_7vsmem_tEENKUlT_SE_SF_SG_E_clIS8_S8_S9_S9_EESD_ST_SE_SF_SG_EUlST_E1_NS1_11comp_targetILNS1_3genE9ELNS1_11target_archE1100ELNS1_3gpuE3ELNS1_3repE0EEENS1_36merge_oddeven_config_static_selectorELNS0_4arch9wavefront6targetE0EEEvSF_,@function
_ZN7rocprim17ROCPRIM_400000_NS6detail17trampoline_kernelINS0_14default_configENS1_38merge_sort_block_merge_config_selectorIhNS0_10empty_typeEEEZZNS1_27merge_sort_block_merge_implIS3_PhPS5_jNS1_19radix_merge_compareILb1ELb0EhNS0_19identity_decomposerEEEEE10hipError_tT0_T1_T2_jT3_P12ihipStream_tbPNSt15iterator_traitsISE_E10value_typeEPNSK_ISF_E10value_typeEPSG_NS1_7vsmem_tEENKUlT_SE_SF_SG_E_clIS8_S8_S9_S9_EESD_ST_SE_SF_SG_EUlST_E1_NS1_11comp_targetILNS1_3genE9ELNS1_11target_archE1100ELNS1_3gpuE3ELNS1_3repE0EEENS1_36merge_oddeven_config_static_selectorELNS0_4arch9wavefront6targetE0EEEvSF_: ; @_ZN7rocprim17ROCPRIM_400000_NS6detail17trampoline_kernelINS0_14default_configENS1_38merge_sort_block_merge_config_selectorIhNS0_10empty_typeEEEZZNS1_27merge_sort_block_merge_implIS3_PhPS5_jNS1_19radix_merge_compareILb1ELb0EhNS0_19identity_decomposerEEEEE10hipError_tT0_T1_T2_jT3_P12ihipStream_tbPNSt15iterator_traitsISE_E10value_typeEPNSK_ISF_E10value_typeEPSG_NS1_7vsmem_tEENKUlT_SE_SF_SG_E_clIS8_S8_S9_S9_EESD_ST_SE_SF_SG_EUlST_E1_NS1_11comp_targetILNS1_3genE9ELNS1_11target_archE1100ELNS1_3gpuE3ELNS1_3repE0EEENS1_36merge_oddeven_config_static_selectorELNS0_4arch9wavefront6targetE0EEEvSF_
; %bb.0:
	.section	.rodata,"a",@progbits
	.p2align	6, 0x0
	.amdhsa_kernel _ZN7rocprim17ROCPRIM_400000_NS6detail17trampoline_kernelINS0_14default_configENS1_38merge_sort_block_merge_config_selectorIhNS0_10empty_typeEEEZZNS1_27merge_sort_block_merge_implIS3_PhPS5_jNS1_19radix_merge_compareILb1ELb0EhNS0_19identity_decomposerEEEEE10hipError_tT0_T1_T2_jT3_P12ihipStream_tbPNSt15iterator_traitsISE_E10value_typeEPNSK_ISF_E10value_typeEPSG_NS1_7vsmem_tEENKUlT_SE_SF_SG_E_clIS8_S8_S9_S9_EESD_ST_SE_SF_SG_EUlST_E1_NS1_11comp_targetILNS1_3genE9ELNS1_11target_archE1100ELNS1_3gpuE3ELNS1_3repE0EEENS1_36merge_oddeven_config_static_selectorELNS0_4arch9wavefront6targetE0EEEvSF_
		.amdhsa_group_segment_fixed_size 0
		.amdhsa_private_segment_fixed_size 0
		.amdhsa_kernarg_size 48
		.amdhsa_user_sgpr_count 2
		.amdhsa_user_sgpr_dispatch_ptr 0
		.amdhsa_user_sgpr_queue_ptr 0
		.amdhsa_user_sgpr_kernarg_segment_ptr 1
		.amdhsa_user_sgpr_dispatch_id 0
		.amdhsa_user_sgpr_kernarg_preload_length 0
		.amdhsa_user_sgpr_kernarg_preload_offset 0
		.amdhsa_user_sgpr_private_segment_size 0
		.amdhsa_wavefront_size32 1
		.amdhsa_uses_dynamic_stack 0
		.amdhsa_enable_private_segment 0
		.amdhsa_system_sgpr_workgroup_id_x 1
		.amdhsa_system_sgpr_workgroup_id_y 0
		.amdhsa_system_sgpr_workgroup_id_z 0
		.amdhsa_system_sgpr_workgroup_info 0
		.amdhsa_system_vgpr_workitem_id 0
		.amdhsa_next_free_vgpr 1
		.amdhsa_next_free_sgpr 1
		.amdhsa_named_barrier_count 0
		.amdhsa_reserve_vcc 0
		.amdhsa_float_round_mode_32 0
		.amdhsa_float_round_mode_16_64 0
		.amdhsa_float_denorm_mode_32 3
		.amdhsa_float_denorm_mode_16_64 3
		.amdhsa_fp16_overflow 0
		.amdhsa_memory_ordered 1
		.amdhsa_forward_progress 1
		.amdhsa_inst_pref_size 0
		.amdhsa_round_robin_scheduling 0
		.amdhsa_exception_fp_ieee_invalid_op 0
		.amdhsa_exception_fp_denorm_src 0
		.amdhsa_exception_fp_ieee_div_zero 0
		.amdhsa_exception_fp_ieee_overflow 0
		.amdhsa_exception_fp_ieee_underflow 0
		.amdhsa_exception_fp_ieee_inexact 0
		.amdhsa_exception_int_div_zero 0
	.end_amdhsa_kernel
	.section	.text._ZN7rocprim17ROCPRIM_400000_NS6detail17trampoline_kernelINS0_14default_configENS1_38merge_sort_block_merge_config_selectorIhNS0_10empty_typeEEEZZNS1_27merge_sort_block_merge_implIS3_PhPS5_jNS1_19radix_merge_compareILb1ELb0EhNS0_19identity_decomposerEEEEE10hipError_tT0_T1_T2_jT3_P12ihipStream_tbPNSt15iterator_traitsISE_E10value_typeEPNSK_ISF_E10value_typeEPSG_NS1_7vsmem_tEENKUlT_SE_SF_SG_E_clIS8_S8_S9_S9_EESD_ST_SE_SF_SG_EUlST_E1_NS1_11comp_targetILNS1_3genE9ELNS1_11target_archE1100ELNS1_3gpuE3ELNS1_3repE0EEENS1_36merge_oddeven_config_static_selectorELNS0_4arch9wavefront6targetE0EEEvSF_,"axG",@progbits,_ZN7rocprim17ROCPRIM_400000_NS6detail17trampoline_kernelINS0_14default_configENS1_38merge_sort_block_merge_config_selectorIhNS0_10empty_typeEEEZZNS1_27merge_sort_block_merge_implIS3_PhPS5_jNS1_19radix_merge_compareILb1ELb0EhNS0_19identity_decomposerEEEEE10hipError_tT0_T1_T2_jT3_P12ihipStream_tbPNSt15iterator_traitsISE_E10value_typeEPNSK_ISF_E10value_typeEPSG_NS1_7vsmem_tEENKUlT_SE_SF_SG_E_clIS8_S8_S9_S9_EESD_ST_SE_SF_SG_EUlST_E1_NS1_11comp_targetILNS1_3genE9ELNS1_11target_archE1100ELNS1_3gpuE3ELNS1_3repE0EEENS1_36merge_oddeven_config_static_selectorELNS0_4arch9wavefront6targetE0EEEvSF_,comdat
.Lfunc_end40:
	.size	_ZN7rocprim17ROCPRIM_400000_NS6detail17trampoline_kernelINS0_14default_configENS1_38merge_sort_block_merge_config_selectorIhNS0_10empty_typeEEEZZNS1_27merge_sort_block_merge_implIS3_PhPS5_jNS1_19radix_merge_compareILb1ELb0EhNS0_19identity_decomposerEEEEE10hipError_tT0_T1_T2_jT3_P12ihipStream_tbPNSt15iterator_traitsISE_E10value_typeEPNSK_ISF_E10value_typeEPSG_NS1_7vsmem_tEENKUlT_SE_SF_SG_E_clIS8_S8_S9_S9_EESD_ST_SE_SF_SG_EUlST_E1_NS1_11comp_targetILNS1_3genE9ELNS1_11target_archE1100ELNS1_3gpuE3ELNS1_3repE0EEENS1_36merge_oddeven_config_static_selectorELNS0_4arch9wavefront6targetE0EEEvSF_, .Lfunc_end40-_ZN7rocprim17ROCPRIM_400000_NS6detail17trampoline_kernelINS0_14default_configENS1_38merge_sort_block_merge_config_selectorIhNS0_10empty_typeEEEZZNS1_27merge_sort_block_merge_implIS3_PhPS5_jNS1_19radix_merge_compareILb1ELb0EhNS0_19identity_decomposerEEEEE10hipError_tT0_T1_T2_jT3_P12ihipStream_tbPNSt15iterator_traitsISE_E10value_typeEPNSK_ISF_E10value_typeEPSG_NS1_7vsmem_tEENKUlT_SE_SF_SG_E_clIS8_S8_S9_S9_EESD_ST_SE_SF_SG_EUlST_E1_NS1_11comp_targetILNS1_3genE9ELNS1_11target_archE1100ELNS1_3gpuE3ELNS1_3repE0EEENS1_36merge_oddeven_config_static_selectorELNS0_4arch9wavefront6targetE0EEEvSF_
                                        ; -- End function
	.set _ZN7rocprim17ROCPRIM_400000_NS6detail17trampoline_kernelINS0_14default_configENS1_38merge_sort_block_merge_config_selectorIhNS0_10empty_typeEEEZZNS1_27merge_sort_block_merge_implIS3_PhPS5_jNS1_19radix_merge_compareILb1ELb0EhNS0_19identity_decomposerEEEEE10hipError_tT0_T1_T2_jT3_P12ihipStream_tbPNSt15iterator_traitsISE_E10value_typeEPNSK_ISF_E10value_typeEPSG_NS1_7vsmem_tEENKUlT_SE_SF_SG_E_clIS8_S8_S9_S9_EESD_ST_SE_SF_SG_EUlST_E1_NS1_11comp_targetILNS1_3genE9ELNS1_11target_archE1100ELNS1_3gpuE3ELNS1_3repE0EEENS1_36merge_oddeven_config_static_selectorELNS0_4arch9wavefront6targetE0EEEvSF_.num_vgpr, 0
	.set _ZN7rocprim17ROCPRIM_400000_NS6detail17trampoline_kernelINS0_14default_configENS1_38merge_sort_block_merge_config_selectorIhNS0_10empty_typeEEEZZNS1_27merge_sort_block_merge_implIS3_PhPS5_jNS1_19radix_merge_compareILb1ELb0EhNS0_19identity_decomposerEEEEE10hipError_tT0_T1_T2_jT3_P12ihipStream_tbPNSt15iterator_traitsISE_E10value_typeEPNSK_ISF_E10value_typeEPSG_NS1_7vsmem_tEENKUlT_SE_SF_SG_E_clIS8_S8_S9_S9_EESD_ST_SE_SF_SG_EUlST_E1_NS1_11comp_targetILNS1_3genE9ELNS1_11target_archE1100ELNS1_3gpuE3ELNS1_3repE0EEENS1_36merge_oddeven_config_static_selectorELNS0_4arch9wavefront6targetE0EEEvSF_.num_agpr, 0
	.set _ZN7rocprim17ROCPRIM_400000_NS6detail17trampoline_kernelINS0_14default_configENS1_38merge_sort_block_merge_config_selectorIhNS0_10empty_typeEEEZZNS1_27merge_sort_block_merge_implIS3_PhPS5_jNS1_19radix_merge_compareILb1ELb0EhNS0_19identity_decomposerEEEEE10hipError_tT0_T1_T2_jT3_P12ihipStream_tbPNSt15iterator_traitsISE_E10value_typeEPNSK_ISF_E10value_typeEPSG_NS1_7vsmem_tEENKUlT_SE_SF_SG_E_clIS8_S8_S9_S9_EESD_ST_SE_SF_SG_EUlST_E1_NS1_11comp_targetILNS1_3genE9ELNS1_11target_archE1100ELNS1_3gpuE3ELNS1_3repE0EEENS1_36merge_oddeven_config_static_selectorELNS0_4arch9wavefront6targetE0EEEvSF_.numbered_sgpr, 0
	.set _ZN7rocprim17ROCPRIM_400000_NS6detail17trampoline_kernelINS0_14default_configENS1_38merge_sort_block_merge_config_selectorIhNS0_10empty_typeEEEZZNS1_27merge_sort_block_merge_implIS3_PhPS5_jNS1_19radix_merge_compareILb1ELb0EhNS0_19identity_decomposerEEEEE10hipError_tT0_T1_T2_jT3_P12ihipStream_tbPNSt15iterator_traitsISE_E10value_typeEPNSK_ISF_E10value_typeEPSG_NS1_7vsmem_tEENKUlT_SE_SF_SG_E_clIS8_S8_S9_S9_EESD_ST_SE_SF_SG_EUlST_E1_NS1_11comp_targetILNS1_3genE9ELNS1_11target_archE1100ELNS1_3gpuE3ELNS1_3repE0EEENS1_36merge_oddeven_config_static_selectorELNS0_4arch9wavefront6targetE0EEEvSF_.num_named_barrier, 0
	.set _ZN7rocprim17ROCPRIM_400000_NS6detail17trampoline_kernelINS0_14default_configENS1_38merge_sort_block_merge_config_selectorIhNS0_10empty_typeEEEZZNS1_27merge_sort_block_merge_implIS3_PhPS5_jNS1_19radix_merge_compareILb1ELb0EhNS0_19identity_decomposerEEEEE10hipError_tT0_T1_T2_jT3_P12ihipStream_tbPNSt15iterator_traitsISE_E10value_typeEPNSK_ISF_E10value_typeEPSG_NS1_7vsmem_tEENKUlT_SE_SF_SG_E_clIS8_S8_S9_S9_EESD_ST_SE_SF_SG_EUlST_E1_NS1_11comp_targetILNS1_3genE9ELNS1_11target_archE1100ELNS1_3gpuE3ELNS1_3repE0EEENS1_36merge_oddeven_config_static_selectorELNS0_4arch9wavefront6targetE0EEEvSF_.private_seg_size, 0
	.set _ZN7rocprim17ROCPRIM_400000_NS6detail17trampoline_kernelINS0_14default_configENS1_38merge_sort_block_merge_config_selectorIhNS0_10empty_typeEEEZZNS1_27merge_sort_block_merge_implIS3_PhPS5_jNS1_19radix_merge_compareILb1ELb0EhNS0_19identity_decomposerEEEEE10hipError_tT0_T1_T2_jT3_P12ihipStream_tbPNSt15iterator_traitsISE_E10value_typeEPNSK_ISF_E10value_typeEPSG_NS1_7vsmem_tEENKUlT_SE_SF_SG_E_clIS8_S8_S9_S9_EESD_ST_SE_SF_SG_EUlST_E1_NS1_11comp_targetILNS1_3genE9ELNS1_11target_archE1100ELNS1_3gpuE3ELNS1_3repE0EEENS1_36merge_oddeven_config_static_selectorELNS0_4arch9wavefront6targetE0EEEvSF_.uses_vcc, 0
	.set _ZN7rocprim17ROCPRIM_400000_NS6detail17trampoline_kernelINS0_14default_configENS1_38merge_sort_block_merge_config_selectorIhNS0_10empty_typeEEEZZNS1_27merge_sort_block_merge_implIS3_PhPS5_jNS1_19radix_merge_compareILb1ELb0EhNS0_19identity_decomposerEEEEE10hipError_tT0_T1_T2_jT3_P12ihipStream_tbPNSt15iterator_traitsISE_E10value_typeEPNSK_ISF_E10value_typeEPSG_NS1_7vsmem_tEENKUlT_SE_SF_SG_E_clIS8_S8_S9_S9_EESD_ST_SE_SF_SG_EUlST_E1_NS1_11comp_targetILNS1_3genE9ELNS1_11target_archE1100ELNS1_3gpuE3ELNS1_3repE0EEENS1_36merge_oddeven_config_static_selectorELNS0_4arch9wavefront6targetE0EEEvSF_.uses_flat_scratch, 0
	.set _ZN7rocprim17ROCPRIM_400000_NS6detail17trampoline_kernelINS0_14default_configENS1_38merge_sort_block_merge_config_selectorIhNS0_10empty_typeEEEZZNS1_27merge_sort_block_merge_implIS3_PhPS5_jNS1_19radix_merge_compareILb1ELb0EhNS0_19identity_decomposerEEEEE10hipError_tT0_T1_T2_jT3_P12ihipStream_tbPNSt15iterator_traitsISE_E10value_typeEPNSK_ISF_E10value_typeEPSG_NS1_7vsmem_tEENKUlT_SE_SF_SG_E_clIS8_S8_S9_S9_EESD_ST_SE_SF_SG_EUlST_E1_NS1_11comp_targetILNS1_3genE9ELNS1_11target_archE1100ELNS1_3gpuE3ELNS1_3repE0EEENS1_36merge_oddeven_config_static_selectorELNS0_4arch9wavefront6targetE0EEEvSF_.has_dyn_sized_stack, 0
	.set _ZN7rocprim17ROCPRIM_400000_NS6detail17trampoline_kernelINS0_14default_configENS1_38merge_sort_block_merge_config_selectorIhNS0_10empty_typeEEEZZNS1_27merge_sort_block_merge_implIS3_PhPS5_jNS1_19radix_merge_compareILb1ELb0EhNS0_19identity_decomposerEEEEE10hipError_tT0_T1_T2_jT3_P12ihipStream_tbPNSt15iterator_traitsISE_E10value_typeEPNSK_ISF_E10value_typeEPSG_NS1_7vsmem_tEENKUlT_SE_SF_SG_E_clIS8_S8_S9_S9_EESD_ST_SE_SF_SG_EUlST_E1_NS1_11comp_targetILNS1_3genE9ELNS1_11target_archE1100ELNS1_3gpuE3ELNS1_3repE0EEENS1_36merge_oddeven_config_static_selectorELNS0_4arch9wavefront6targetE0EEEvSF_.has_recursion, 0
	.set _ZN7rocprim17ROCPRIM_400000_NS6detail17trampoline_kernelINS0_14default_configENS1_38merge_sort_block_merge_config_selectorIhNS0_10empty_typeEEEZZNS1_27merge_sort_block_merge_implIS3_PhPS5_jNS1_19radix_merge_compareILb1ELb0EhNS0_19identity_decomposerEEEEE10hipError_tT0_T1_T2_jT3_P12ihipStream_tbPNSt15iterator_traitsISE_E10value_typeEPNSK_ISF_E10value_typeEPSG_NS1_7vsmem_tEENKUlT_SE_SF_SG_E_clIS8_S8_S9_S9_EESD_ST_SE_SF_SG_EUlST_E1_NS1_11comp_targetILNS1_3genE9ELNS1_11target_archE1100ELNS1_3gpuE3ELNS1_3repE0EEENS1_36merge_oddeven_config_static_selectorELNS0_4arch9wavefront6targetE0EEEvSF_.has_indirect_call, 0
	.section	.AMDGPU.csdata,"",@progbits
; Kernel info:
; codeLenInByte = 0
; TotalNumSgprs: 0
; NumVgprs: 0
; ScratchSize: 0
; MemoryBound: 0
; FloatMode: 240
; IeeeMode: 1
; LDSByteSize: 0 bytes/workgroup (compile time only)
; SGPRBlocks: 0
; VGPRBlocks: 0
; NumSGPRsForWavesPerEU: 1
; NumVGPRsForWavesPerEU: 1
; NamedBarCnt: 0
; Occupancy: 16
; WaveLimiterHint : 0
; COMPUTE_PGM_RSRC2:SCRATCH_EN: 0
; COMPUTE_PGM_RSRC2:USER_SGPR: 2
; COMPUTE_PGM_RSRC2:TRAP_HANDLER: 0
; COMPUTE_PGM_RSRC2:TGID_X_EN: 1
; COMPUTE_PGM_RSRC2:TGID_Y_EN: 0
; COMPUTE_PGM_RSRC2:TGID_Z_EN: 0
; COMPUTE_PGM_RSRC2:TIDIG_COMP_CNT: 0
	.section	.text._ZN7rocprim17ROCPRIM_400000_NS6detail17trampoline_kernelINS0_14default_configENS1_38merge_sort_block_merge_config_selectorIhNS0_10empty_typeEEEZZNS1_27merge_sort_block_merge_implIS3_PhPS5_jNS1_19radix_merge_compareILb1ELb0EhNS0_19identity_decomposerEEEEE10hipError_tT0_T1_T2_jT3_P12ihipStream_tbPNSt15iterator_traitsISE_E10value_typeEPNSK_ISF_E10value_typeEPSG_NS1_7vsmem_tEENKUlT_SE_SF_SG_E_clIS8_S8_S9_S9_EESD_ST_SE_SF_SG_EUlST_E1_NS1_11comp_targetILNS1_3genE8ELNS1_11target_archE1030ELNS1_3gpuE2ELNS1_3repE0EEENS1_36merge_oddeven_config_static_selectorELNS0_4arch9wavefront6targetE0EEEvSF_,"axG",@progbits,_ZN7rocprim17ROCPRIM_400000_NS6detail17trampoline_kernelINS0_14default_configENS1_38merge_sort_block_merge_config_selectorIhNS0_10empty_typeEEEZZNS1_27merge_sort_block_merge_implIS3_PhPS5_jNS1_19radix_merge_compareILb1ELb0EhNS0_19identity_decomposerEEEEE10hipError_tT0_T1_T2_jT3_P12ihipStream_tbPNSt15iterator_traitsISE_E10value_typeEPNSK_ISF_E10value_typeEPSG_NS1_7vsmem_tEENKUlT_SE_SF_SG_E_clIS8_S8_S9_S9_EESD_ST_SE_SF_SG_EUlST_E1_NS1_11comp_targetILNS1_3genE8ELNS1_11target_archE1030ELNS1_3gpuE2ELNS1_3repE0EEENS1_36merge_oddeven_config_static_selectorELNS0_4arch9wavefront6targetE0EEEvSF_,comdat
	.protected	_ZN7rocprim17ROCPRIM_400000_NS6detail17trampoline_kernelINS0_14default_configENS1_38merge_sort_block_merge_config_selectorIhNS0_10empty_typeEEEZZNS1_27merge_sort_block_merge_implIS3_PhPS5_jNS1_19radix_merge_compareILb1ELb0EhNS0_19identity_decomposerEEEEE10hipError_tT0_T1_T2_jT3_P12ihipStream_tbPNSt15iterator_traitsISE_E10value_typeEPNSK_ISF_E10value_typeEPSG_NS1_7vsmem_tEENKUlT_SE_SF_SG_E_clIS8_S8_S9_S9_EESD_ST_SE_SF_SG_EUlST_E1_NS1_11comp_targetILNS1_3genE8ELNS1_11target_archE1030ELNS1_3gpuE2ELNS1_3repE0EEENS1_36merge_oddeven_config_static_selectorELNS0_4arch9wavefront6targetE0EEEvSF_ ; -- Begin function _ZN7rocprim17ROCPRIM_400000_NS6detail17trampoline_kernelINS0_14default_configENS1_38merge_sort_block_merge_config_selectorIhNS0_10empty_typeEEEZZNS1_27merge_sort_block_merge_implIS3_PhPS5_jNS1_19radix_merge_compareILb1ELb0EhNS0_19identity_decomposerEEEEE10hipError_tT0_T1_T2_jT3_P12ihipStream_tbPNSt15iterator_traitsISE_E10value_typeEPNSK_ISF_E10value_typeEPSG_NS1_7vsmem_tEENKUlT_SE_SF_SG_E_clIS8_S8_S9_S9_EESD_ST_SE_SF_SG_EUlST_E1_NS1_11comp_targetILNS1_3genE8ELNS1_11target_archE1030ELNS1_3gpuE2ELNS1_3repE0EEENS1_36merge_oddeven_config_static_selectorELNS0_4arch9wavefront6targetE0EEEvSF_
	.globl	_ZN7rocprim17ROCPRIM_400000_NS6detail17trampoline_kernelINS0_14default_configENS1_38merge_sort_block_merge_config_selectorIhNS0_10empty_typeEEEZZNS1_27merge_sort_block_merge_implIS3_PhPS5_jNS1_19radix_merge_compareILb1ELb0EhNS0_19identity_decomposerEEEEE10hipError_tT0_T1_T2_jT3_P12ihipStream_tbPNSt15iterator_traitsISE_E10value_typeEPNSK_ISF_E10value_typeEPSG_NS1_7vsmem_tEENKUlT_SE_SF_SG_E_clIS8_S8_S9_S9_EESD_ST_SE_SF_SG_EUlST_E1_NS1_11comp_targetILNS1_3genE8ELNS1_11target_archE1030ELNS1_3gpuE2ELNS1_3repE0EEENS1_36merge_oddeven_config_static_selectorELNS0_4arch9wavefront6targetE0EEEvSF_
	.p2align	8
	.type	_ZN7rocprim17ROCPRIM_400000_NS6detail17trampoline_kernelINS0_14default_configENS1_38merge_sort_block_merge_config_selectorIhNS0_10empty_typeEEEZZNS1_27merge_sort_block_merge_implIS3_PhPS5_jNS1_19radix_merge_compareILb1ELb0EhNS0_19identity_decomposerEEEEE10hipError_tT0_T1_T2_jT3_P12ihipStream_tbPNSt15iterator_traitsISE_E10value_typeEPNSK_ISF_E10value_typeEPSG_NS1_7vsmem_tEENKUlT_SE_SF_SG_E_clIS8_S8_S9_S9_EESD_ST_SE_SF_SG_EUlST_E1_NS1_11comp_targetILNS1_3genE8ELNS1_11target_archE1030ELNS1_3gpuE2ELNS1_3repE0EEENS1_36merge_oddeven_config_static_selectorELNS0_4arch9wavefront6targetE0EEEvSF_,@function
_ZN7rocprim17ROCPRIM_400000_NS6detail17trampoline_kernelINS0_14default_configENS1_38merge_sort_block_merge_config_selectorIhNS0_10empty_typeEEEZZNS1_27merge_sort_block_merge_implIS3_PhPS5_jNS1_19radix_merge_compareILb1ELb0EhNS0_19identity_decomposerEEEEE10hipError_tT0_T1_T2_jT3_P12ihipStream_tbPNSt15iterator_traitsISE_E10value_typeEPNSK_ISF_E10value_typeEPSG_NS1_7vsmem_tEENKUlT_SE_SF_SG_E_clIS8_S8_S9_S9_EESD_ST_SE_SF_SG_EUlST_E1_NS1_11comp_targetILNS1_3genE8ELNS1_11target_archE1030ELNS1_3gpuE2ELNS1_3repE0EEENS1_36merge_oddeven_config_static_selectorELNS0_4arch9wavefront6targetE0EEEvSF_: ; @_ZN7rocprim17ROCPRIM_400000_NS6detail17trampoline_kernelINS0_14default_configENS1_38merge_sort_block_merge_config_selectorIhNS0_10empty_typeEEEZZNS1_27merge_sort_block_merge_implIS3_PhPS5_jNS1_19radix_merge_compareILb1ELb0EhNS0_19identity_decomposerEEEEE10hipError_tT0_T1_T2_jT3_P12ihipStream_tbPNSt15iterator_traitsISE_E10value_typeEPNSK_ISF_E10value_typeEPSG_NS1_7vsmem_tEENKUlT_SE_SF_SG_E_clIS8_S8_S9_S9_EESD_ST_SE_SF_SG_EUlST_E1_NS1_11comp_targetILNS1_3genE8ELNS1_11target_archE1030ELNS1_3gpuE2ELNS1_3repE0EEENS1_36merge_oddeven_config_static_selectorELNS0_4arch9wavefront6targetE0EEEvSF_
; %bb.0:
	.section	.rodata,"a",@progbits
	.p2align	6, 0x0
	.amdhsa_kernel _ZN7rocprim17ROCPRIM_400000_NS6detail17trampoline_kernelINS0_14default_configENS1_38merge_sort_block_merge_config_selectorIhNS0_10empty_typeEEEZZNS1_27merge_sort_block_merge_implIS3_PhPS5_jNS1_19radix_merge_compareILb1ELb0EhNS0_19identity_decomposerEEEEE10hipError_tT0_T1_T2_jT3_P12ihipStream_tbPNSt15iterator_traitsISE_E10value_typeEPNSK_ISF_E10value_typeEPSG_NS1_7vsmem_tEENKUlT_SE_SF_SG_E_clIS8_S8_S9_S9_EESD_ST_SE_SF_SG_EUlST_E1_NS1_11comp_targetILNS1_3genE8ELNS1_11target_archE1030ELNS1_3gpuE2ELNS1_3repE0EEENS1_36merge_oddeven_config_static_selectorELNS0_4arch9wavefront6targetE0EEEvSF_
		.amdhsa_group_segment_fixed_size 0
		.amdhsa_private_segment_fixed_size 0
		.amdhsa_kernarg_size 48
		.amdhsa_user_sgpr_count 2
		.amdhsa_user_sgpr_dispatch_ptr 0
		.amdhsa_user_sgpr_queue_ptr 0
		.amdhsa_user_sgpr_kernarg_segment_ptr 1
		.amdhsa_user_sgpr_dispatch_id 0
		.amdhsa_user_sgpr_kernarg_preload_length 0
		.amdhsa_user_sgpr_kernarg_preload_offset 0
		.amdhsa_user_sgpr_private_segment_size 0
		.amdhsa_wavefront_size32 1
		.amdhsa_uses_dynamic_stack 0
		.amdhsa_enable_private_segment 0
		.amdhsa_system_sgpr_workgroup_id_x 1
		.amdhsa_system_sgpr_workgroup_id_y 0
		.amdhsa_system_sgpr_workgroup_id_z 0
		.amdhsa_system_sgpr_workgroup_info 0
		.amdhsa_system_vgpr_workitem_id 0
		.amdhsa_next_free_vgpr 1
		.amdhsa_next_free_sgpr 1
		.amdhsa_named_barrier_count 0
		.amdhsa_reserve_vcc 0
		.amdhsa_float_round_mode_32 0
		.amdhsa_float_round_mode_16_64 0
		.amdhsa_float_denorm_mode_32 3
		.amdhsa_float_denorm_mode_16_64 3
		.amdhsa_fp16_overflow 0
		.amdhsa_memory_ordered 1
		.amdhsa_forward_progress 1
		.amdhsa_inst_pref_size 0
		.amdhsa_round_robin_scheduling 0
		.amdhsa_exception_fp_ieee_invalid_op 0
		.amdhsa_exception_fp_denorm_src 0
		.amdhsa_exception_fp_ieee_div_zero 0
		.amdhsa_exception_fp_ieee_overflow 0
		.amdhsa_exception_fp_ieee_underflow 0
		.amdhsa_exception_fp_ieee_inexact 0
		.amdhsa_exception_int_div_zero 0
	.end_amdhsa_kernel
	.section	.text._ZN7rocprim17ROCPRIM_400000_NS6detail17trampoline_kernelINS0_14default_configENS1_38merge_sort_block_merge_config_selectorIhNS0_10empty_typeEEEZZNS1_27merge_sort_block_merge_implIS3_PhPS5_jNS1_19radix_merge_compareILb1ELb0EhNS0_19identity_decomposerEEEEE10hipError_tT0_T1_T2_jT3_P12ihipStream_tbPNSt15iterator_traitsISE_E10value_typeEPNSK_ISF_E10value_typeEPSG_NS1_7vsmem_tEENKUlT_SE_SF_SG_E_clIS8_S8_S9_S9_EESD_ST_SE_SF_SG_EUlST_E1_NS1_11comp_targetILNS1_3genE8ELNS1_11target_archE1030ELNS1_3gpuE2ELNS1_3repE0EEENS1_36merge_oddeven_config_static_selectorELNS0_4arch9wavefront6targetE0EEEvSF_,"axG",@progbits,_ZN7rocprim17ROCPRIM_400000_NS6detail17trampoline_kernelINS0_14default_configENS1_38merge_sort_block_merge_config_selectorIhNS0_10empty_typeEEEZZNS1_27merge_sort_block_merge_implIS3_PhPS5_jNS1_19radix_merge_compareILb1ELb0EhNS0_19identity_decomposerEEEEE10hipError_tT0_T1_T2_jT3_P12ihipStream_tbPNSt15iterator_traitsISE_E10value_typeEPNSK_ISF_E10value_typeEPSG_NS1_7vsmem_tEENKUlT_SE_SF_SG_E_clIS8_S8_S9_S9_EESD_ST_SE_SF_SG_EUlST_E1_NS1_11comp_targetILNS1_3genE8ELNS1_11target_archE1030ELNS1_3gpuE2ELNS1_3repE0EEENS1_36merge_oddeven_config_static_selectorELNS0_4arch9wavefront6targetE0EEEvSF_,comdat
.Lfunc_end41:
	.size	_ZN7rocprim17ROCPRIM_400000_NS6detail17trampoline_kernelINS0_14default_configENS1_38merge_sort_block_merge_config_selectorIhNS0_10empty_typeEEEZZNS1_27merge_sort_block_merge_implIS3_PhPS5_jNS1_19radix_merge_compareILb1ELb0EhNS0_19identity_decomposerEEEEE10hipError_tT0_T1_T2_jT3_P12ihipStream_tbPNSt15iterator_traitsISE_E10value_typeEPNSK_ISF_E10value_typeEPSG_NS1_7vsmem_tEENKUlT_SE_SF_SG_E_clIS8_S8_S9_S9_EESD_ST_SE_SF_SG_EUlST_E1_NS1_11comp_targetILNS1_3genE8ELNS1_11target_archE1030ELNS1_3gpuE2ELNS1_3repE0EEENS1_36merge_oddeven_config_static_selectorELNS0_4arch9wavefront6targetE0EEEvSF_, .Lfunc_end41-_ZN7rocprim17ROCPRIM_400000_NS6detail17trampoline_kernelINS0_14default_configENS1_38merge_sort_block_merge_config_selectorIhNS0_10empty_typeEEEZZNS1_27merge_sort_block_merge_implIS3_PhPS5_jNS1_19radix_merge_compareILb1ELb0EhNS0_19identity_decomposerEEEEE10hipError_tT0_T1_T2_jT3_P12ihipStream_tbPNSt15iterator_traitsISE_E10value_typeEPNSK_ISF_E10value_typeEPSG_NS1_7vsmem_tEENKUlT_SE_SF_SG_E_clIS8_S8_S9_S9_EESD_ST_SE_SF_SG_EUlST_E1_NS1_11comp_targetILNS1_3genE8ELNS1_11target_archE1030ELNS1_3gpuE2ELNS1_3repE0EEENS1_36merge_oddeven_config_static_selectorELNS0_4arch9wavefront6targetE0EEEvSF_
                                        ; -- End function
	.set _ZN7rocprim17ROCPRIM_400000_NS6detail17trampoline_kernelINS0_14default_configENS1_38merge_sort_block_merge_config_selectorIhNS0_10empty_typeEEEZZNS1_27merge_sort_block_merge_implIS3_PhPS5_jNS1_19radix_merge_compareILb1ELb0EhNS0_19identity_decomposerEEEEE10hipError_tT0_T1_T2_jT3_P12ihipStream_tbPNSt15iterator_traitsISE_E10value_typeEPNSK_ISF_E10value_typeEPSG_NS1_7vsmem_tEENKUlT_SE_SF_SG_E_clIS8_S8_S9_S9_EESD_ST_SE_SF_SG_EUlST_E1_NS1_11comp_targetILNS1_3genE8ELNS1_11target_archE1030ELNS1_3gpuE2ELNS1_3repE0EEENS1_36merge_oddeven_config_static_selectorELNS0_4arch9wavefront6targetE0EEEvSF_.num_vgpr, 0
	.set _ZN7rocprim17ROCPRIM_400000_NS6detail17trampoline_kernelINS0_14default_configENS1_38merge_sort_block_merge_config_selectorIhNS0_10empty_typeEEEZZNS1_27merge_sort_block_merge_implIS3_PhPS5_jNS1_19radix_merge_compareILb1ELb0EhNS0_19identity_decomposerEEEEE10hipError_tT0_T1_T2_jT3_P12ihipStream_tbPNSt15iterator_traitsISE_E10value_typeEPNSK_ISF_E10value_typeEPSG_NS1_7vsmem_tEENKUlT_SE_SF_SG_E_clIS8_S8_S9_S9_EESD_ST_SE_SF_SG_EUlST_E1_NS1_11comp_targetILNS1_3genE8ELNS1_11target_archE1030ELNS1_3gpuE2ELNS1_3repE0EEENS1_36merge_oddeven_config_static_selectorELNS0_4arch9wavefront6targetE0EEEvSF_.num_agpr, 0
	.set _ZN7rocprim17ROCPRIM_400000_NS6detail17trampoline_kernelINS0_14default_configENS1_38merge_sort_block_merge_config_selectorIhNS0_10empty_typeEEEZZNS1_27merge_sort_block_merge_implIS3_PhPS5_jNS1_19radix_merge_compareILb1ELb0EhNS0_19identity_decomposerEEEEE10hipError_tT0_T1_T2_jT3_P12ihipStream_tbPNSt15iterator_traitsISE_E10value_typeEPNSK_ISF_E10value_typeEPSG_NS1_7vsmem_tEENKUlT_SE_SF_SG_E_clIS8_S8_S9_S9_EESD_ST_SE_SF_SG_EUlST_E1_NS1_11comp_targetILNS1_3genE8ELNS1_11target_archE1030ELNS1_3gpuE2ELNS1_3repE0EEENS1_36merge_oddeven_config_static_selectorELNS0_4arch9wavefront6targetE0EEEvSF_.numbered_sgpr, 0
	.set _ZN7rocprim17ROCPRIM_400000_NS6detail17trampoline_kernelINS0_14default_configENS1_38merge_sort_block_merge_config_selectorIhNS0_10empty_typeEEEZZNS1_27merge_sort_block_merge_implIS3_PhPS5_jNS1_19radix_merge_compareILb1ELb0EhNS0_19identity_decomposerEEEEE10hipError_tT0_T1_T2_jT3_P12ihipStream_tbPNSt15iterator_traitsISE_E10value_typeEPNSK_ISF_E10value_typeEPSG_NS1_7vsmem_tEENKUlT_SE_SF_SG_E_clIS8_S8_S9_S9_EESD_ST_SE_SF_SG_EUlST_E1_NS1_11comp_targetILNS1_3genE8ELNS1_11target_archE1030ELNS1_3gpuE2ELNS1_3repE0EEENS1_36merge_oddeven_config_static_selectorELNS0_4arch9wavefront6targetE0EEEvSF_.num_named_barrier, 0
	.set _ZN7rocprim17ROCPRIM_400000_NS6detail17trampoline_kernelINS0_14default_configENS1_38merge_sort_block_merge_config_selectorIhNS0_10empty_typeEEEZZNS1_27merge_sort_block_merge_implIS3_PhPS5_jNS1_19radix_merge_compareILb1ELb0EhNS0_19identity_decomposerEEEEE10hipError_tT0_T1_T2_jT3_P12ihipStream_tbPNSt15iterator_traitsISE_E10value_typeEPNSK_ISF_E10value_typeEPSG_NS1_7vsmem_tEENKUlT_SE_SF_SG_E_clIS8_S8_S9_S9_EESD_ST_SE_SF_SG_EUlST_E1_NS1_11comp_targetILNS1_3genE8ELNS1_11target_archE1030ELNS1_3gpuE2ELNS1_3repE0EEENS1_36merge_oddeven_config_static_selectorELNS0_4arch9wavefront6targetE0EEEvSF_.private_seg_size, 0
	.set _ZN7rocprim17ROCPRIM_400000_NS6detail17trampoline_kernelINS0_14default_configENS1_38merge_sort_block_merge_config_selectorIhNS0_10empty_typeEEEZZNS1_27merge_sort_block_merge_implIS3_PhPS5_jNS1_19radix_merge_compareILb1ELb0EhNS0_19identity_decomposerEEEEE10hipError_tT0_T1_T2_jT3_P12ihipStream_tbPNSt15iterator_traitsISE_E10value_typeEPNSK_ISF_E10value_typeEPSG_NS1_7vsmem_tEENKUlT_SE_SF_SG_E_clIS8_S8_S9_S9_EESD_ST_SE_SF_SG_EUlST_E1_NS1_11comp_targetILNS1_3genE8ELNS1_11target_archE1030ELNS1_3gpuE2ELNS1_3repE0EEENS1_36merge_oddeven_config_static_selectorELNS0_4arch9wavefront6targetE0EEEvSF_.uses_vcc, 0
	.set _ZN7rocprim17ROCPRIM_400000_NS6detail17trampoline_kernelINS0_14default_configENS1_38merge_sort_block_merge_config_selectorIhNS0_10empty_typeEEEZZNS1_27merge_sort_block_merge_implIS3_PhPS5_jNS1_19radix_merge_compareILb1ELb0EhNS0_19identity_decomposerEEEEE10hipError_tT0_T1_T2_jT3_P12ihipStream_tbPNSt15iterator_traitsISE_E10value_typeEPNSK_ISF_E10value_typeEPSG_NS1_7vsmem_tEENKUlT_SE_SF_SG_E_clIS8_S8_S9_S9_EESD_ST_SE_SF_SG_EUlST_E1_NS1_11comp_targetILNS1_3genE8ELNS1_11target_archE1030ELNS1_3gpuE2ELNS1_3repE0EEENS1_36merge_oddeven_config_static_selectorELNS0_4arch9wavefront6targetE0EEEvSF_.uses_flat_scratch, 0
	.set _ZN7rocprim17ROCPRIM_400000_NS6detail17trampoline_kernelINS0_14default_configENS1_38merge_sort_block_merge_config_selectorIhNS0_10empty_typeEEEZZNS1_27merge_sort_block_merge_implIS3_PhPS5_jNS1_19radix_merge_compareILb1ELb0EhNS0_19identity_decomposerEEEEE10hipError_tT0_T1_T2_jT3_P12ihipStream_tbPNSt15iterator_traitsISE_E10value_typeEPNSK_ISF_E10value_typeEPSG_NS1_7vsmem_tEENKUlT_SE_SF_SG_E_clIS8_S8_S9_S9_EESD_ST_SE_SF_SG_EUlST_E1_NS1_11comp_targetILNS1_3genE8ELNS1_11target_archE1030ELNS1_3gpuE2ELNS1_3repE0EEENS1_36merge_oddeven_config_static_selectorELNS0_4arch9wavefront6targetE0EEEvSF_.has_dyn_sized_stack, 0
	.set _ZN7rocprim17ROCPRIM_400000_NS6detail17trampoline_kernelINS0_14default_configENS1_38merge_sort_block_merge_config_selectorIhNS0_10empty_typeEEEZZNS1_27merge_sort_block_merge_implIS3_PhPS5_jNS1_19radix_merge_compareILb1ELb0EhNS0_19identity_decomposerEEEEE10hipError_tT0_T1_T2_jT3_P12ihipStream_tbPNSt15iterator_traitsISE_E10value_typeEPNSK_ISF_E10value_typeEPSG_NS1_7vsmem_tEENKUlT_SE_SF_SG_E_clIS8_S8_S9_S9_EESD_ST_SE_SF_SG_EUlST_E1_NS1_11comp_targetILNS1_3genE8ELNS1_11target_archE1030ELNS1_3gpuE2ELNS1_3repE0EEENS1_36merge_oddeven_config_static_selectorELNS0_4arch9wavefront6targetE0EEEvSF_.has_recursion, 0
	.set _ZN7rocprim17ROCPRIM_400000_NS6detail17trampoline_kernelINS0_14default_configENS1_38merge_sort_block_merge_config_selectorIhNS0_10empty_typeEEEZZNS1_27merge_sort_block_merge_implIS3_PhPS5_jNS1_19radix_merge_compareILb1ELb0EhNS0_19identity_decomposerEEEEE10hipError_tT0_T1_T2_jT3_P12ihipStream_tbPNSt15iterator_traitsISE_E10value_typeEPNSK_ISF_E10value_typeEPSG_NS1_7vsmem_tEENKUlT_SE_SF_SG_E_clIS8_S8_S9_S9_EESD_ST_SE_SF_SG_EUlST_E1_NS1_11comp_targetILNS1_3genE8ELNS1_11target_archE1030ELNS1_3gpuE2ELNS1_3repE0EEENS1_36merge_oddeven_config_static_selectorELNS0_4arch9wavefront6targetE0EEEvSF_.has_indirect_call, 0
	.section	.AMDGPU.csdata,"",@progbits
; Kernel info:
; codeLenInByte = 0
; TotalNumSgprs: 0
; NumVgprs: 0
; ScratchSize: 0
; MemoryBound: 0
; FloatMode: 240
; IeeeMode: 1
; LDSByteSize: 0 bytes/workgroup (compile time only)
; SGPRBlocks: 0
; VGPRBlocks: 0
; NumSGPRsForWavesPerEU: 1
; NumVGPRsForWavesPerEU: 1
; NamedBarCnt: 0
; Occupancy: 16
; WaveLimiterHint : 0
; COMPUTE_PGM_RSRC2:SCRATCH_EN: 0
; COMPUTE_PGM_RSRC2:USER_SGPR: 2
; COMPUTE_PGM_RSRC2:TRAP_HANDLER: 0
; COMPUTE_PGM_RSRC2:TGID_X_EN: 1
; COMPUTE_PGM_RSRC2:TGID_Y_EN: 0
; COMPUTE_PGM_RSRC2:TGID_Z_EN: 0
; COMPUTE_PGM_RSRC2:TIDIG_COMP_CNT: 0
	.section	.text._ZN7rocprim17ROCPRIM_400000_NS6detail17trampoline_kernelINS0_14default_configENS1_25transform_config_selectorIhLb1EEEZNS1_14transform_implILb1ES3_S5_PhS7_NS0_8identityIhEEEE10hipError_tT2_T3_mT4_P12ihipStream_tbEUlT_E_NS1_11comp_targetILNS1_3genE0ELNS1_11target_archE4294967295ELNS1_3gpuE0ELNS1_3repE0EEENS1_30default_config_static_selectorELNS0_4arch9wavefront6targetE0EEEvT1_,"axG",@progbits,_ZN7rocprim17ROCPRIM_400000_NS6detail17trampoline_kernelINS0_14default_configENS1_25transform_config_selectorIhLb1EEEZNS1_14transform_implILb1ES3_S5_PhS7_NS0_8identityIhEEEE10hipError_tT2_T3_mT4_P12ihipStream_tbEUlT_E_NS1_11comp_targetILNS1_3genE0ELNS1_11target_archE4294967295ELNS1_3gpuE0ELNS1_3repE0EEENS1_30default_config_static_selectorELNS0_4arch9wavefront6targetE0EEEvT1_,comdat
	.protected	_ZN7rocprim17ROCPRIM_400000_NS6detail17trampoline_kernelINS0_14default_configENS1_25transform_config_selectorIhLb1EEEZNS1_14transform_implILb1ES3_S5_PhS7_NS0_8identityIhEEEE10hipError_tT2_T3_mT4_P12ihipStream_tbEUlT_E_NS1_11comp_targetILNS1_3genE0ELNS1_11target_archE4294967295ELNS1_3gpuE0ELNS1_3repE0EEENS1_30default_config_static_selectorELNS0_4arch9wavefront6targetE0EEEvT1_ ; -- Begin function _ZN7rocprim17ROCPRIM_400000_NS6detail17trampoline_kernelINS0_14default_configENS1_25transform_config_selectorIhLb1EEEZNS1_14transform_implILb1ES3_S5_PhS7_NS0_8identityIhEEEE10hipError_tT2_T3_mT4_P12ihipStream_tbEUlT_E_NS1_11comp_targetILNS1_3genE0ELNS1_11target_archE4294967295ELNS1_3gpuE0ELNS1_3repE0EEENS1_30default_config_static_selectorELNS0_4arch9wavefront6targetE0EEEvT1_
	.globl	_ZN7rocprim17ROCPRIM_400000_NS6detail17trampoline_kernelINS0_14default_configENS1_25transform_config_selectorIhLb1EEEZNS1_14transform_implILb1ES3_S5_PhS7_NS0_8identityIhEEEE10hipError_tT2_T3_mT4_P12ihipStream_tbEUlT_E_NS1_11comp_targetILNS1_3genE0ELNS1_11target_archE4294967295ELNS1_3gpuE0ELNS1_3repE0EEENS1_30default_config_static_selectorELNS0_4arch9wavefront6targetE0EEEvT1_
	.p2align	8
	.type	_ZN7rocprim17ROCPRIM_400000_NS6detail17trampoline_kernelINS0_14default_configENS1_25transform_config_selectorIhLb1EEEZNS1_14transform_implILb1ES3_S5_PhS7_NS0_8identityIhEEEE10hipError_tT2_T3_mT4_P12ihipStream_tbEUlT_E_NS1_11comp_targetILNS1_3genE0ELNS1_11target_archE4294967295ELNS1_3gpuE0ELNS1_3repE0EEENS1_30default_config_static_selectorELNS0_4arch9wavefront6targetE0EEEvT1_,@function
_ZN7rocprim17ROCPRIM_400000_NS6detail17trampoline_kernelINS0_14default_configENS1_25transform_config_selectorIhLb1EEEZNS1_14transform_implILb1ES3_S5_PhS7_NS0_8identityIhEEEE10hipError_tT2_T3_mT4_P12ihipStream_tbEUlT_E_NS1_11comp_targetILNS1_3genE0ELNS1_11target_archE4294967295ELNS1_3gpuE0ELNS1_3repE0EEENS1_30default_config_static_selectorELNS0_4arch9wavefront6targetE0EEEvT1_: ; @_ZN7rocprim17ROCPRIM_400000_NS6detail17trampoline_kernelINS0_14default_configENS1_25transform_config_selectorIhLb1EEEZNS1_14transform_implILb1ES3_S5_PhS7_NS0_8identityIhEEEE10hipError_tT2_T3_mT4_P12ihipStream_tbEUlT_E_NS1_11comp_targetILNS1_3genE0ELNS1_11target_archE4294967295ELNS1_3gpuE0ELNS1_3repE0EEENS1_30default_config_static_selectorELNS0_4arch9wavefront6targetE0EEEvT1_
; %bb.0:
	s_clause 0x1
	s_load_b256 s[4:11], s[0:1], 0x0
	s_load_b32 s3, s[0:1], 0x28
	s_wait_xcnt 0x0
	s_bfe_u32 s0, ttmp6, 0x4000c
	s_and_b32 s1, ttmp6, 15
	s_add_co_i32 s0, s0, 1
	s_getreg_b32 s2, hwreg(HW_REG_IB_STS2, 6, 4)
	s_mul_i32 s0, ttmp9, s0
	s_delay_alu instid0(SALU_CYCLE_1)
	s_add_co_i32 s0, s1, s0
	s_cmp_eq_u32 s2, 0
	s_mov_b32 s1, 0
	s_wait_kmcnt 0x0
	s_cselect_b32 s9, ttmp9, s0
	s_mov_b32 s2, -1
	s_lshl_b32 s0, s9, 10
	s_add_nc_u64 s[4:5], s[4:5], s[6:7]
	s_add_nc_u64 s[6:7], s[10:11], s[6:7]
	s_add_co_i32 s3, s3, -1
	s_add_nc_u64 s[12:13], s[4:5], s[0:1]
	s_cmp_lg_u32 s9, s3
	s_add_nc_u64 s[10:11], s[6:7], s[0:1]
	s_cbranch_scc0 .LBB42_2
; %bb.1:
	global_load_b64 v[2:3], v0, s[12:13] scale_offset th:TH_LOAD_NT
	s_mov_b32 s2, 0
	s_wait_loadcnt 0x0
	global_store_b64 v0, v[2:3], s[10:11] scale_offset
.LBB42_2:
	s_and_not1_b32 vcc_lo, exec_lo, s2
	s_cbranch_vccnz .LBB42_33
; %bb.3:
	s_sub_co_i32 s7, s8, s0
	v_dual_mov_b32 v4, 0 :: v_dual_mov_b32 v5, 0
	v_cmp_gt_u32_e32 vcc_lo, s7, v0
	v_dual_mov_b32 v10, 0 :: v_dual_mov_b32 v6, 0
	v_dual_mov_b32 v7, 0 :: v_dual_mov_b32 v8, 0
	v_mov_b32_e32 v9, 0
	s_wait_xcnt 0x0
	s_and_saveexec_b32 s0, vcc_lo
	s_cbranch_execz .LBB42_5
; %bb.4:
	global_load_u8 v5, v0, s[12:13]
	v_dual_mov_b32 v10, 0 :: v_dual_mov_b32 v6, 0
	v_dual_mov_b32 v7, 0 :: v_dual_mov_b32 v8, 0
	v_mov_b32_e32 v9, 0
.LBB42_5:
	s_wait_xcnt 0x0
	s_or_b32 exec_lo, exec_lo, s0
	v_or_b32_e32 v1, 0x80, v0
	v_mov_b32_e32 v11, v4
	s_delay_alu instid0(VALU_DEP_2)
	v_cmp_gt_u32_e64 s0, s7, v1
	s_and_saveexec_b32 s1, s0
	s_cbranch_execz .LBB42_7
; %bb.6:
	global_load_u8 v11, v0, s[12:13] offset:128
.LBB42_7:
	s_wait_xcnt 0x0
	s_or_b32 exec_lo, exec_lo, s1
	v_or_b32_e32 v1, 0x100, v0
	s_delay_alu instid0(VALU_DEP_1)
	v_cmp_gt_u32_e64 s1, s7, v1
	s_and_saveexec_b32 s2, s1
	s_cbranch_execz .LBB42_9
; %bb.8:
	global_load_u8 v4, v0, s[12:13] offset:256
.LBB42_9:
	s_wait_xcnt 0x0
	s_or_b32 exec_lo, exec_lo, s2
	v_or_b32_e32 v1, 0x180, v0
	s_delay_alu instid0(VALU_DEP_1)
	;; [unrolled: 10-line block ×5, first 2 shown]
	v_cmp_gt_u32_e64 s5, s7, v1
	s_and_saveexec_b32 s6, s5
	s_cbranch_execz .LBB42_17
; %bb.16:
	global_load_u8 v8, v0, s[12:13] offset:768
.LBB42_17:
	s_wait_xcnt 0x0
	s_or_b32 exec_lo, exec_lo, s6
	v_or_b32_e32 v1, 0x380, v0
	s_delay_alu instid0(VALU_DEP_1) | instskip(SKIP_3) | instid1(SALU_CYCLE_1)
	v_cmp_gt_u32_e64 s6, s7, v1
	v_cmp_le_u32_e64 s7, s7, v1
	v_mov_b32_e32 v1, 0
	s_and_saveexec_b32 s8, s7
	s_xor_b32 s7, exec_lo, s8
	s_delay_alu instid0(SALU_CYCLE_1)
	s_and_not1_saveexec_b32 s7, s7
	s_cbranch_execz .LBB42_19
; %bb.18:
	v_add_nc_u64_e32 v[2:3], s[12:13], v[0:1]
	global_load_u8 v9, v[2:3], off offset:896
.LBB42_19:
	s_wait_xcnt 0x0
	s_or_b32 exec_lo, exec_lo, s7
	s_wait_loadcnt 0x0
	v_and_b32_e32 v2, 0xff, v5
	v_add_nc_u64_e32 v[0:1], s[10:11], v[0:1]
	s_delay_alu instid0(VALU_DEP_2) | instskip(NEXT) | instid1(VALU_DEP_1)
	v_and_b32_e32 v2, 0xffff, v2
	v_dual_mov_b32 v3, 0 :: v_dual_cndmask_b32 v2, 0, v2
	s_and_saveexec_b32 s7, vcc_lo
	s_cbranch_execz .LBB42_21
; %bb.20:
	global_store_b8 v[0:1], v2, off
.LBB42_21:
	s_wait_xcnt 0x0
	s_or_b32 exec_lo, exec_lo, s7
	v_perm_b32 v5, v5, v11, 0xc0c0004
	v_perm_b32 v4, v4, v10, 0xc0c0004
	s_delay_alu instid0(VALU_DEP_1) | instskip(NEXT) | instid1(VALU_DEP_1)
	v_lshl_or_b32 v10, v4, 16, v5
	v_cndmask_b32_e64 v4, v2, v10, s0
	s_delay_alu instid0(VALU_DEP_1)
	v_lshrrev_b32_e32 v11, 8, v4
	s_and_saveexec_b32 s7, s0
	s_cbranch_execz .LBB42_23
; %bb.22:
	global_store_b8 v[0:1], v11, off offset:128
.LBB42_23:
	s_wait_xcnt 0x0
	s_or_b32 exec_lo, exec_lo, s7
	v_bitop3_b16 v4, v2, v4, 0xff00 bitop3:0xf8
	s_delay_alu instid0(VALU_DEP_1) | instskip(SKIP_1) | instid1(VALU_DEP_2)
	v_and_b32_e32 v12, 0xffff, v4
	v_lshrrev_b64 v[4:5], 24, v[2:3]
	v_cndmask_b32_e64 v3, v12, v10, s1
	s_and_saveexec_b32 s0, s1
	s_cbranch_execz .LBB42_25
; %bb.24:
	global_store_d16_hi_b8 v[0:1], v3, off offset:256
.LBB42_25:
	s_wait_xcnt 0x0
	s_or_b32 exec_lo, exec_lo, s0
	v_lshlrev_b16 v5, 8, v11
	v_perm_b32 v3, v3, v4, 0xc0c0006
	v_perm_b32 v4, v6, v7, 0xc0c0004
	s_delay_alu instid0(VALU_DEP_3) | instskip(NEXT) | instid1(VALU_DEP_1)
	v_or_b32_e32 v2, v2, v5
	v_and_b32_e32 v2, 0xffff, v2
	s_delay_alu instid0(VALU_DEP_1) | instskip(SKIP_1) | instid1(VALU_DEP_2)
	v_lshl_or_b32 v2, v3, 16, v2
	v_perm_b32 v3, v8, v9, 0xc0c0004
	v_cndmask_b32_e64 v2, v2, v10, s2
	s_delay_alu instid0(VALU_DEP_2)
	v_lshl_or_b32 v3, v3, 16, v4
	s_and_saveexec_b32 s0, s2
	s_cbranch_execz .LBB42_27
; %bb.26:
	s_delay_alu instid0(VALU_DEP_2)
	v_lshrrev_b32_e32 v2, 24, v2
	global_store_b8 v[0:1], v2, off offset:384
.LBB42_27:
	s_wait_xcnt 0x0
	s_or_b32 exec_lo, exec_lo, s0
	v_cndmask_b32_e64 v2, 0, v3, s3
	s_and_saveexec_b32 s0, s3
	s_cbranch_execz .LBB42_29
; %bb.28:
	global_store_b8 v[0:1], v2, off offset:512
.LBB42_29:
	s_wait_xcnt 0x0
	s_or_b32 exec_lo, exec_lo, s0
	v_and_b32_e32 v4, 0xff, v2
	s_delay_alu instid0(VALU_DEP_1) | instskip(NEXT) | instid1(VALU_DEP_1)
	v_cndmask_b32_e64 v4, v4, v3, s4
	v_lshrrev_b32_e32 v4, 8, v4
	s_and_saveexec_b32 s0, s4
	s_cbranch_execnz .LBB42_34
; %bb.30:
	s_or_b32 exec_lo, exec_lo, s0
	s_delay_alu instid0(VALU_DEP_1)
	v_perm_b32 v2, v2, v4, 0xc0c0004
	s_and_saveexec_b32 s0, s5
	s_cbranch_execnz .LBB42_35
.LBB42_31:
	s_or_b32 exec_lo, exec_lo, s0
	s_and_saveexec_b32 s0, s6
	s_cbranch_execz .LBB42_33
.LBB42_32:
	v_cndmask_b32_e64 v2, v2, v3, s6
	s_delay_alu instid0(VALU_DEP_1)
	v_lshrrev_b32_e32 v2, 24, v2
	global_store_b8 v[0:1], v2, off offset:896
.LBB42_33:
	s_endpgm
.LBB42_34:
	global_store_b8 v[0:1], v4, off offset:640
	s_wait_xcnt 0x0
	s_or_b32 exec_lo, exec_lo, s0
	v_perm_b32 v2, v2, v4, 0xc0c0004
	s_and_saveexec_b32 s0, s5
	s_cbranch_execz .LBB42_31
.LBB42_35:
	s_delay_alu instid0(VALU_DEP_1)
	v_cndmask_b32_e64 v4, v2, v3, s5
	global_store_d16_hi_b8 v[0:1], v4, off offset:768
	s_wait_xcnt 0x0
	s_or_b32 exec_lo, exec_lo, s0
	s_and_saveexec_b32 s0, s6
	s_cbranch_execnz .LBB42_32
	s_branch .LBB42_33
	.section	.rodata,"a",@progbits
	.p2align	6, 0x0
	.amdhsa_kernel _ZN7rocprim17ROCPRIM_400000_NS6detail17trampoline_kernelINS0_14default_configENS1_25transform_config_selectorIhLb1EEEZNS1_14transform_implILb1ES3_S5_PhS7_NS0_8identityIhEEEE10hipError_tT2_T3_mT4_P12ihipStream_tbEUlT_E_NS1_11comp_targetILNS1_3genE0ELNS1_11target_archE4294967295ELNS1_3gpuE0ELNS1_3repE0EEENS1_30default_config_static_selectorELNS0_4arch9wavefront6targetE0EEEvT1_
		.amdhsa_group_segment_fixed_size 0
		.amdhsa_private_segment_fixed_size 0
		.amdhsa_kernarg_size 296
		.amdhsa_user_sgpr_count 2
		.amdhsa_user_sgpr_dispatch_ptr 0
		.amdhsa_user_sgpr_queue_ptr 0
		.amdhsa_user_sgpr_kernarg_segment_ptr 1
		.amdhsa_user_sgpr_dispatch_id 0
		.amdhsa_user_sgpr_kernarg_preload_length 0
		.amdhsa_user_sgpr_kernarg_preload_offset 0
		.amdhsa_user_sgpr_private_segment_size 0
		.amdhsa_wavefront_size32 1
		.amdhsa_uses_dynamic_stack 0
		.amdhsa_enable_private_segment 0
		.amdhsa_system_sgpr_workgroup_id_x 1
		.amdhsa_system_sgpr_workgroup_id_y 0
		.amdhsa_system_sgpr_workgroup_id_z 0
		.amdhsa_system_sgpr_workgroup_info 0
		.amdhsa_system_vgpr_workitem_id 0
		.amdhsa_next_free_vgpr 13
		.amdhsa_next_free_sgpr 14
		.amdhsa_named_barrier_count 0
		.amdhsa_reserve_vcc 1
		.amdhsa_float_round_mode_32 0
		.amdhsa_float_round_mode_16_64 0
		.amdhsa_float_denorm_mode_32 3
		.amdhsa_float_denorm_mode_16_64 3
		.amdhsa_fp16_overflow 0
		.amdhsa_memory_ordered 1
		.amdhsa_forward_progress 1
		.amdhsa_inst_pref_size 10
		.amdhsa_round_robin_scheduling 0
		.amdhsa_exception_fp_ieee_invalid_op 0
		.amdhsa_exception_fp_denorm_src 0
		.amdhsa_exception_fp_ieee_div_zero 0
		.amdhsa_exception_fp_ieee_overflow 0
		.amdhsa_exception_fp_ieee_underflow 0
		.amdhsa_exception_fp_ieee_inexact 0
		.amdhsa_exception_int_div_zero 0
	.end_amdhsa_kernel
	.section	.text._ZN7rocprim17ROCPRIM_400000_NS6detail17trampoline_kernelINS0_14default_configENS1_25transform_config_selectorIhLb1EEEZNS1_14transform_implILb1ES3_S5_PhS7_NS0_8identityIhEEEE10hipError_tT2_T3_mT4_P12ihipStream_tbEUlT_E_NS1_11comp_targetILNS1_3genE0ELNS1_11target_archE4294967295ELNS1_3gpuE0ELNS1_3repE0EEENS1_30default_config_static_selectorELNS0_4arch9wavefront6targetE0EEEvT1_,"axG",@progbits,_ZN7rocprim17ROCPRIM_400000_NS6detail17trampoline_kernelINS0_14default_configENS1_25transform_config_selectorIhLb1EEEZNS1_14transform_implILb1ES3_S5_PhS7_NS0_8identityIhEEEE10hipError_tT2_T3_mT4_P12ihipStream_tbEUlT_E_NS1_11comp_targetILNS1_3genE0ELNS1_11target_archE4294967295ELNS1_3gpuE0ELNS1_3repE0EEENS1_30default_config_static_selectorELNS0_4arch9wavefront6targetE0EEEvT1_,comdat
.Lfunc_end42:
	.size	_ZN7rocprim17ROCPRIM_400000_NS6detail17trampoline_kernelINS0_14default_configENS1_25transform_config_selectorIhLb1EEEZNS1_14transform_implILb1ES3_S5_PhS7_NS0_8identityIhEEEE10hipError_tT2_T3_mT4_P12ihipStream_tbEUlT_E_NS1_11comp_targetILNS1_3genE0ELNS1_11target_archE4294967295ELNS1_3gpuE0ELNS1_3repE0EEENS1_30default_config_static_selectorELNS0_4arch9wavefront6targetE0EEEvT1_, .Lfunc_end42-_ZN7rocprim17ROCPRIM_400000_NS6detail17trampoline_kernelINS0_14default_configENS1_25transform_config_selectorIhLb1EEEZNS1_14transform_implILb1ES3_S5_PhS7_NS0_8identityIhEEEE10hipError_tT2_T3_mT4_P12ihipStream_tbEUlT_E_NS1_11comp_targetILNS1_3genE0ELNS1_11target_archE4294967295ELNS1_3gpuE0ELNS1_3repE0EEENS1_30default_config_static_selectorELNS0_4arch9wavefront6targetE0EEEvT1_
                                        ; -- End function
	.set _ZN7rocprim17ROCPRIM_400000_NS6detail17trampoline_kernelINS0_14default_configENS1_25transform_config_selectorIhLb1EEEZNS1_14transform_implILb1ES3_S5_PhS7_NS0_8identityIhEEEE10hipError_tT2_T3_mT4_P12ihipStream_tbEUlT_E_NS1_11comp_targetILNS1_3genE0ELNS1_11target_archE4294967295ELNS1_3gpuE0ELNS1_3repE0EEENS1_30default_config_static_selectorELNS0_4arch9wavefront6targetE0EEEvT1_.num_vgpr, 13
	.set _ZN7rocprim17ROCPRIM_400000_NS6detail17trampoline_kernelINS0_14default_configENS1_25transform_config_selectorIhLb1EEEZNS1_14transform_implILb1ES3_S5_PhS7_NS0_8identityIhEEEE10hipError_tT2_T3_mT4_P12ihipStream_tbEUlT_E_NS1_11comp_targetILNS1_3genE0ELNS1_11target_archE4294967295ELNS1_3gpuE0ELNS1_3repE0EEENS1_30default_config_static_selectorELNS0_4arch9wavefront6targetE0EEEvT1_.num_agpr, 0
	.set _ZN7rocprim17ROCPRIM_400000_NS6detail17trampoline_kernelINS0_14default_configENS1_25transform_config_selectorIhLb1EEEZNS1_14transform_implILb1ES3_S5_PhS7_NS0_8identityIhEEEE10hipError_tT2_T3_mT4_P12ihipStream_tbEUlT_E_NS1_11comp_targetILNS1_3genE0ELNS1_11target_archE4294967295ELNS1_3gpuE0ELNS1_3repE0EEENS1_30default_config_static_selectorELNS0_4arch9wavefront6targetE0EEEvT1_.numbered_sgpr, 14
	.set _ZN7rocprim17ROCPRIM_400000_NS6detail17trampoline_kernelINS0_14default_configENS1_25transform_config_selectorIhLb1EEEZNS1_14transform_implILb1ES3_S5_PhS7_NS0_8identityIhEEEE10hipError_tT2_T3_mT4_P12ihipStream_tbEUlT_E_NS1_11comp_targetILNS1_3genE0ELNS1_11target_archE4294967295ELNS1_3gpuE0ELNS1_3repE0EEENS1_30default_config_static_selectorELNS0_4arch9wavefront6targetE0EEEvT1_.num_named_barrier, 0
	.set _ZN7rocprim17ROCPRIM_400000_NS6detail17trampoline_kernelINS0_14default_configENS1_25transform_config_selectorIhLb1EEEZNS1_14transform_implILb1ES3_S5_PhS7_NS0_8identityIhEEEE10hipError_tT2_T3_mT4_P12ihipStream_tbEUlT_E_NS1_11comp_targetILNS1_3genE0ELNS1_11target_archE4294967295ELNS1_3gpuE0ELNS1_3repE0EEENS1_30default_config_static_selectorELNS0_4arch9wavefront6targetE0EEEvT1_.private_seg_size, 0
	.set _ZN7rocprim17ROCPRIM_400000_NS6detail17trampoline_kernelINS0_14default_configENS1_25transform_config_selectorIhLb1EEEZNS1_14transform_implILb1ES3_S5_PhS7_NS0_8identityIhEEEE10hipError_tT2_T3_mT4_P12ihipStream_tbEUlT_E_NS1_11comp_targetILNS1_3genE0ELNS1_11target_archE4294967295ELNS1_3gpuE0ELNS1_3repE0EEENS1_30default_config_static_selectorELNS0_4arch9wavefront6targetE0EEEvT1_.uses_vcc, 1
	.set _ZN7rocprim17ROCPRIM_400000_NS6detail17trampoline_kernelINS0_14default_configENS1_25transform_config_selectorIhLb1EEEZNS1_14transform_implILb1ES3_S5_PhS7_NS0_8identityIhEEEE10hipError_tT2_T3_mT4_P12ihipStream_tbEUlT_E_NS1_11comp_targetILNS1_3genE0ELNS1_11target_archE4294967295ELNS1_3gpuE0ELNS1_3repE0EEENS1_30default_config_static_selectorELNS0_4arch9wavefront6targetE0EEEvT1_.uses_flat_scratch, 0
	.set _ZN7rocprim17ROCPRIM_400000_NS6detail17trampoline_kernelINS0_14default_configENS1_25transform_config_selectorIhLb1EEEZNS1_14transform_implILb1ES3_S5_PhS7_NS0_8identityIhEEEE10hipError_tT2_T3_mT4_P12ihipStream_tbEUlT_E_NS1_11comp_targetILNS1_3genE0ELNS1_11target_archE4294967295ELNS1_3gpuE0ELNS1_3repE0EEENS1_30default_config_static_selectorELNS0_4arch9wavefront6targetE0EEEvT1_.has_dyn_sized_stack, 0
	.set _ZN7rocprim17ROCPRIM_400000_NS6detail17trampoline_kernelINS0_14default_configENS1_25transform_config_selectorIhLb1EEEZNS1_14transform_implILb1ES3_S5_PhS7_NS0_8identityIhEEEE10hipError_tT2_T3_mT4_P12ihipStream_tbEUlT_E_NS1_11comp_targetILNS1_3genE0ELNS1_11target_archE4294967295ELNS1_3gpuE0ELNS1_3repE0EEENS1_30default_config_static_selectorELNS0_4arch9wavefront6targetE0EEEvT1_.has_recursion, 0
	.set _ZN7rocprim17ROCPRIM_400000_NS6detail17trampoline_kernelINS0_14default_configENS1_25transform_config_selectorIhLb1EEEZNS1_14transform_implILb1ES3_S5_PhS7_NS0_8identityIhEEEE10hipError_tT2_T3_mT4_P12ihipStream_tbEUlT_E_NS1_11comp_targetILNS1_3genE0ELNS1_11target_archE4294967295ELNS1_3gpuE0ELNS1_3repE0EEENS1_30default_config_static_selectorELNS0_4arch9wavefront6targetE0EEEvT1_.has_indirect_call, 0
	.section	.AMDGPU.csdata,"",@progbits
; Kernel info:
; codeLenInByte = 1176
; TotalNumSgprs: 16
; NumVgprs: 13
; ScratchSize: 0
; MemoryBound: 0
; FloatMode: 240
; IeeeMode: 1
; LDSByteSize: 0 bytes/workgroup (compile time only)
; SGPRBlocks: 0
; VGPRBlocks: 0
; NumSGPRsForWavesPerEU: 16
; NumVGPRsForWavesPerEU: 13
; NamedBarCnt: 0
; Occupancy: 16
; WaveLimiterHint : 0
; COMPUTE_PGM_RSRC2:SCRATCH_EN: 0
; COMPUTE_PGM_RSRC2:USER_SGPR: 2
; COMPUTE_PGM_RSRC2:TRAP_HANDLER: 0
; COMPUTE_PGM_RSRC2:TGID_X_EN: 1
; COMPUTE_PGM_RSRC2:TGID_Y_EN: 0
; COMPUTE_PGM_RSRC2:TGID_Z_EN: 0
; COMPUTE_PGM_RSRC2:TIDIG_COMP_CNT: 0
	.section	.text._ZN7rocprim17ROCPRIM_400000_NS6detail17trampoline_kernelINS0_14default_configENS1_25transform_config_selectorIhLb1EEEZNS1_14transform_implILb1ES3_S5_PhS7_NS0_8identityIhEEEE10hipError_tT2_T3_mT4_P12ihipStream_tbEUlT_E_NS1_11comp_targetILNS1_3genE10ELNS1_11target_archE1201ELNS1_3gpuE5ELNS1_3repE0EEENS1_30default_config_static_selectorELNS0_4arch9wavefront6targetE0EEEvT1_,"axG",@progbits,_ZN7rocprim17ROCPRIM_400000_NS6detail17trampoline_kernelINS0_14default_configENS1_25transform_config_selectorIhLb1EEEZNS1_14transform_implILb1ES3_S5_PhS7_NS0_8identityIhEEEE10hipError_tT2_T3_mT4_P12ihipStream_tbEUlT_E_NS1_11comp_targetILNS1_3genE10ELNS1_11target_archE1201ELNS1_3gpuE5ELNS1_3repE0EEENS1_30default_config_static_selectorELNS0_4arch9wavefront6targetE0EEEvT1_,comdat
	.protected	_ZN7rocprim17ROCPRIM_400000_NS6detail17trampoline_kernelINS0_14default_configENS1_25transform_config_selectorIhLb1EEEZNS1_14transform_implILb1ES3_S5_PhS7_NS0_8identityIhEEEE10hipError_tT2_T3_mT4_P12ihipStream_tbEUlT_E_NS1_11comp_targetILNS1_3genE10ELNS1_11target_archE1201ELNS1_3gpuE5ELNS1_3repE0EEENS1_30default_config_static_selectorELNS0_4arch9wavefront6targetE0EEEvT1_ ; -- Begin function _ZN7rocprim17ROCPRIM_400000_NS6detail17trampoline_kernelINS0_14default_configENS1_25transform_config_selectorIhLb1EEEZNS1_14transform_implILb1ES3_S5_PhS7_NS0_8identityIhEEEE10hipError_tT2_T3_mT4_P12ihipStream_tbEUlT_E_NS1_11comp_targetILNS1_3genE10ELNS1_11target_archE1201ELNS1_3gpuE5ELNS1_3repE0EEENS1_30default_config_static_selectorELNS0_4arch9wavefront6targetE0EEEvT1_
	.globl	_ZN7rocprim17ROCPRIM_400000_NS6detail17trampoline_kernelINS0_14default_configENS1_25transform_config_selectorIhLb1EEEZNS1_14transform_implILb1ES3_S5_PhS7_NS0_8identityIhEEEE10hipError_tT2_T3_mT4_P12ihipStream_tbEUlT_E_NS1_11comp_targetILNS1_3genE10ELNS1_11target_archE1201ELNS1_3gpuE5ELNS1_3repE0EEENS1_30default_config_static_selectorELNS0_4arch9wavefront6targetE0EEEvT1_
	.p2align	8
	.type	_ZN7rocprim17ROCPRIM_400000_NS6detail17trampoline_kernelINS0_14default_configENS1_25transform_config_selectorIhLb1EEEZNS1_14transform_implILb1ES3_S5_PhS7_NS0_8identityIhEEEE10hipError_tT2_T3_mT4_P12ihipStream_tbEUlT_E_NS1_11comp_targetILNS1_3genE10ELNS1_11target_archE1201ELNS1_3gpuE5ELNS1_3repE0EEENS1_30default_config_static_selectorELNS0_4arch9wavefront6targetE0EEEvT1_,@function
_ZN7rocprim17ROCPRIM_400000_NS6detail17trampoline_kernelINS0_14default_configENS1_25transform_config_selectorIhLb1EEEZNS1_14transform_implILb1ES3_S5_PhS7_NS0_8identityIhEEEE10hipError_tT2_T3_mT4_P12ihipStream_tbEUlT_E_NS1_11comp_targetILNS1_3genE10ELNS1_11target_archE1201ELNS1_3gpuE5ELNS1_3repE0EEENS1_30default_config_static_selectorELNS0_4arch9wavefront6targetE0EEEvT1_: ; @_ZN7rocprim17ROCPRIM_400000_NS6detail17trampoline_kernelINS0_14default_configENS1_25transform_config_selectorIhLb1EEEZNS1_14transform_implILb1ES3_S5_PhS7_NS0_8identityIhEEEE10hipError_tT2_T3_mT4_P12ihipStream_tbEUlT_E_NS1_11comp_targetILNS1_3genE10ELNS1_11target_archE1201ELNS1_3gpuE5ELNS1_3repE0EEENS1_30default_config_static_selectorELNS0_4arch9wavefront6targetE0EEEvT1_
; %bb.0:
	.section	.rodata,"a",@progbits
	.p2align	6, 0x0
	.amdhsa_kernel _ZN7rocprim17ROCPRIM_400000_NS6detail17trampoline_kernelINS0_14default_configENS1_25transform_config_selectorIhLb1EEEZNS1_14transform_implILb1ES3_S5_PhS7_NS0_8identityIhEEEE10hipError_tT2_T3_mT4_P12ihipStream_tbEUlT_E_NS1_11comp_targetILNS1_3genE10ELNS1_11target_archE1201ELNS1_3gpuE5ELNS1_3repE0EEENS1_30default_config_static_selectorELNS0_4arch9wavefront6targetE0EEEvT1_
		.amdhsa_group_segment_fixed_size 0
		.amdhsa_private_segment_fixed_size 0
		.amdhsa_kernarg_size 40
		.amdhsa_user_sgpr_count 2
		.amdhsa_user_sgpr_dispatch_ptr 0
		.amdhsa_user_sgpr_queue_ptr 0
		.amdhsa_user_sgpr_kernarg_segment_ptr 1
		.amdhsa_user_sgpr_dispatch_id 0
		.amdhsa_user_sgpr_kernarg_preload_length 0
		.amdhsa_user_sgpr_kernarg_preload_offset 0
		.amdhsa_user_sgpr_private_segment_size 0
		.amdhsa_wavefront_size32 1
		.amdhsa_uses_dynamic_stack 0
		.amdhsa_enable_private_segment 0
		.amdhsa_system_sgpr_workgroup_id_x 1
		.amdhsa_system_sgpr_workgroup_id_y 0
		.amdhsa_system_sgpr_workgroup_id_z 0
		.amdhsa_system_sgpr_workgroup_info 0
		.amdhsa_system_vgpr_workitem_id 0
		.amdhsa_next_free_vgpr 1
		.amdhsa_next_free_sgpr 1
		.amdhsa_named_barrier_count 0
		.amdhsa_reserve_vcc 0
		.amdhsa_float_round_mode_32 0
		.amdhsa_float_round_mode_16_64 0
		.amdhsa_float_denorm_mode_32 3
		.amdhsa_float_denorm_mode_16_64 3
		.amdhsa_fp16_overflow 0
		.amdhsa_memory_ordered 1
		.amdhsa_forward_progress 1
		.amdhsa_inst_pref_size 0
		.amdhsa_round_robin_scheduling 0
		.amdhsa_exception_fp_ieee_invalid_op 0
		.amdhsa_exception_fp_denorm_src 0
		.amdhsa_exception_fp_ieee_div_zero 0
		.amdhsa_exception_fp_ieee_overflow 0
		.amdhsa_exception_fp_ieee_underflow 0
		.amdhsa_exception_fp_ieee_inexact 0
		.amdhsa_exception_int_div_zero 0
	.end_amdhsa_kernel
	.section	.text._ZN7rocprim17ROCPRIM_400000_NS6detail17trampoline_kernelINS0_14default_configENS1_25transform_config_selectorIhLb1EEEZNS1_14transform_implILb1ES3_S5_PhS7_NS0_8identityIhEEEE10hipError_tT2_T3_mT4_P12ihipStream_tbEUlT_E_NS1_11comp_targetILNS1_3genE10ELNS1_11target_archE1201ELNS1_3gpuE5ELNS1_3repE0EEENS1_30default_config_static_selectorELNS0_4arch9wavefront6targetE0EEEvT1_,"axG",@progbits,_ZN7rocprim17ROCPRIM_400000_NS6detail17trampoline_kernelINS0_14default_configENS1_25transform_config_selectorIhLb1EEEZNS1_14transform_implILb1ES3_S5_PhS7_NS0_8identityIhEEEE10hipError_tT2_T3_mT4_P12ihipStream_tbEUlT_E_NS1_11comp_targetILNS1_3genE10ELNS1_11target_archE1201ELNS1_3gpuE5ELNS1_3repE0EEENS1_30default_config_static_selectorELNS0_4arch9wavefront6targetE0EEEvT1_,comdat
.Lfunc_end43:
	.size	_ZN7rocprim17ROCPRIM_400000_NS6detail17trampoline_kernelINS0_14default_configENS1_25transform_config_selectorIhLb1EEEZNS1_14transform_implILb1ES3_S5_PhS7_NS0_8identityIhEEEE10hipError_tT2_T3_mT4_P12ihipStream_tbEUlT_E_NS1_11comp_targetILNS1_3genE10ELNS1_11target_archE1201ELNS1_3gpuE5ELNS1_3repE0EEENS1_30default_config_static_selectorELNS0_4arch9wavefront6targetE0EEEvT1_, .Lfunc_end43-_ZN7rocprim17ROCPRIM_400000_NS6detail17trampoline_kernelINS0_14default_configENS1_25transform_config_selectorIhLb1EEEZNS1_14transform_implILb1ES3_S5_PhS7_NS0_8identityIhEEEE10hipError_tT2_T3_mT4_P12ihipStream_tbEUlT_E_NS1_11comp_targetILNS1_3genE10ELNS1_11target_archE1201ELNS1_3gpuE5ELNS1_3repE0EEENS1_30default_config_static_selectorELNS0_4arch9wavefront6targetE0EEEvT1_
                                        ; -- End function
	.set _ZN7rocprim17ROCPRIM_400000_NS6detail17trampoline_kernelINS0_14default_configENS1_25transform_config_selectorIhLb1EEEZNS1_14transform_implILb1ES3_S5_PhS7_NS0_8identityIhEEEE10hipError_tT2_T3_mT4_P12ihipStream_tbEUlT_E_NS1_11comp_targetILNS1_3genE10ELNS1_11target_archE1201ELNS1_3gpuE5ELNS1_3repE0EEENS1_30default_config_static_selectorELNS0_4arch9wavefront6targetE0EEEvT1_.num_vgpr, 0
	.set _ZN7rocprim17ROCPRIM_400000_NS6detail17trampoline_kernelINS0_14default_configENS1_25transform_config_selectorIhLb1EEEZNS1_14transform_implILb1ES3_S5_PhS7_NS0_8identityIhEEEE10hipError_tT2_T3_mT4_P12ihipStream_tbEUlT_E_NS1_11comp_targetILNS1_3genE10ELNS1_11target_archE1201ELNS1_3gpuE5ELNS1_3repE0EEENS1_30default_config_static_selectorELNS0_4arch9wavefront6targetE0EEEvT1_.num_agpr, 0
	.set _ZN7rocprim17ROCPRIM_400000_NS6detail17trampoline_kernelINS0_14default_configENS1_25transform_config_selectorIhLb1EEEZNS1_14transform_implILb1ES3_S5_PhS7_NS0_8identityIhEEEE10hipError_tT2_T3_mT4_P12ihipStream_tbEUlT_E_NS1_11comp_targetILNS1_3genE10ELNS1_11target_archE1201ELNS1_3gpuE5ELNS1_3repE0EEENS1_30default_config_static_selectorELNS0_4arch9wavefront6targetE0EEEvT1_.numbered_sgpr, 0
	.set _ZN7rocprim17ROCPRIM_400000_NS6detail17trampoline_kernelINS0_14default_configENS1_25transform_config_selectorIhLb1EEEZNS1_14transform_implILb1ES3_S5_PhS7_NS0_8identityIhEEEE10hipError_tT2_T3_mT4_P12ihipStream_tbEUlT_E_NS1_11comp_targetILNS1_3genE10ELNS1_11target_archE1201ELNS1_3gpuE5ELNS1_3repE0EEENS1_30default_config_static_selectorELNS0_4arch9wavefront6targetE0EEEvT1_.num_named_barrier, 0
	.set _ZN7rocprim17ROCPRIM_400000_NS6detail17trampoline_kernelINS0_14default_configENS1_25transform_config_selectorIhLb1EEEZNS1_14transform_implILb1ES3_S5_PhS7_NS0_8identityIhEEEE10hipError_tT2_T3_mT4_P12ihipStream_tbEUlT_E_NS1_11comp_targetILNS1_3genE10ELNS1_11target_archE1201ELNS1_3gpuE5ELNS1_3repE0EEENS1_30default_config_static_selectorELNS0_4arch9wavefront6targetE0EEEvT1_.private_seg_size, 0
	.set _ZN7rocprim17ROCPRIM_400000_NS6detail17trampoline_kernelINS0_14default_configENS1_25transform_config_selectorIhLb1EEEZNS1_14transform_implILb1ES3_S5_PhS7_NS0_8identityIhEEEE10hipError_tT2_T3_mT4_P12ihipStream_tbEUlT_E_NS1_11comp_targetILNS1_3genE10ELNS1_11target_archE1201ELNS1_3gpuE5ELNS1_3repE0EEENS1_30default_config_static_selectorELNS0_4arch9wavefront6targetE0EEEvT1_.uses_vcc, 0
	.set _ZN7rocprim17ROCPRIM_400000_NS6detail17trampoline_kernelINS0_14default_configENS1_25transform_config_selectorIhLb1EEEZNS1_14transform_implILb1ES3_S5_PhS7_NS0_8identityIhEEEE10hipError_tT2_T3_mT4_P12ihipStream_tbEUlT_E_NS1_11comp_targetILNS1_3genE10ELNS1_11target_archE1201ELNS1_3gpuE5ELNS1_3repE0EEENS1_30default_config_static_selectorELNS0_4arch9wavefront6targetE0EEEvT1_.uses_flat_scratch, 0
	.set _ZN7rocprim17ROCPRIM_400000_NS6detail17trampoline_kernelINS0_14default_configENS1_25transform_config_selectorIhLb1EEEZNS1_14transform_implILb1ES3_S5_PhS7_NS0_8identityIhEEEE10hipError_tT2_T3_mT4_P12ihipStream_tbEUlT_E_NS1_11comp_targetILNS1_3genE10ELNS1_11target_archE1201ELNS1_3gpuE5ELNS1_3repE0EEENS1_30default_config_static_selectorELNS0_4arch9wavefront6targetE0EEEvT1_.has_dyn_sized_stack, 0
	.set _ZN7rocprim17ROCPRIM_400000_NS6detail17trampoline_kernelINS0_14default_configENS1_25transform_config_selectorIhLb1EEEZNS1_14transform_implILb1ES3_S5_PhS7_NS0_8identityIhEEEE10hipError_tT2_T3_mT4_P12ihipStream_tbEUlT_E_NS1_11comp_targetILNS1_3genE10ELNS1_11target_archE1201ELNS1_3gpuE5ELNS1_3repE0EEENS1_30default_config_static_selectorELNS0_4arch9wavefront6targetE0EEEvT1_.has_recursion, 0
	.set _ZN7rocprim17ROCPRIM_400000_NS6detail17trampoline_kernelINS0_14default_configENS1_25transform_config_selectorIhLb1EEEZNS1_14transform_implILb1ES3_S5_PhS7_NS0_8identityIhEEEE10hipError_tT2_T3_mT4_P12ihipStream_tbEUlT_E_NS1_11comp_targetILNS1_3genE10ELNS1_11target_archE1201ELNS1_3gpuE5ELNS1_3repE0EEENS1_30default_config_static_selectorELNS0_4arch9wavefront6targetE0EEEvT1_.has_indirect_call, 0
	.section	.AMDGPU.csdata,"",@progbits
; Kernel info:
; codeLenInByte = 0
; TotalNumSgprs: 0
; NumVgprs: 0
; ScratchSize: 0
; MemoryBound: 0
; FloatMode: 240
; IeeeMode: 1
; LDSByteSize: 0 bytes/workgroup (compile time only)
; SGPRBlocks: 0
; VGPRBlocks: 0
; NumSGPRsForWavesPerEU: 1
; NumVGPRsForWavesPerEU: 1
; NamedBarCnt: 0
; Occupancy: 16
; WaveLimiterHint : 0
; COMPUTE_PGM_RSRC2:SCRATCH_EN: 0
; COMPUTE_PGM_RSRC2:USER_SGPR: 2
; COMPUTE_PGM_RSRC2:TRAP_HANDLER: 0
; COMPUTE_PGM_RSRC2:TGID_X_EN: 1
; COMPUTE_PGM_RSRC2:TGID_Y_EN: 0
; COMPUTE_PGM_RSRC2:TGID_Z_EN: 0
; COMPUTE_PGM_RSRC2:TIDIG_COMP_CNT: 0
	.section	.text._ZN7rocprim17ROCPRIM_400000_NS6detail17trampoline_kernelINS0_14default_configENS1_25transform_config_selectorIhLb1EEEZNS1_14transform_implILb1ES3_S5_PhS7_NS0_8identityIhEEEE10hipError_tT2_T3_mT4_P12ihipStream_tbEUlT_E_NS1_11comp_targetILNS1_3genE5ELNS1_11target_archE942ELNS1_3gpuE9ELNS1_3repE0EEENS1_30default_config_static_selectorELNS0_4arch9wavefront6targetE0EEEvT1_,"axG",@progbits,_ZN7rocprim17ROCPRIM_400000_NS6detail17trampoline_kernelINS0_14default_configENS1_25transform_config_selectorIhLb1EEEZNS1_14transform_implILb1ES3_S5_PhS7_NS0_8identityIhEEEE10hipError_tT2_T3_mT4_P12ihipStream_tbEUlT_E_NS1_11comp_targetILNS1_3genE5ELNS1_11target_archE942ELNS1_3gpuE9ELNS1_3repE0EEENS1_30default_config_static_selectorELNS0_4arch9wavefront6targetE0EEEvT1_,comdat
	.protected	_ZN7rocprim17ROCPRIM_400000_NS6detail17trampoline_kernelINS0_14default_configENS1_25transform_config_selectorIhLb1EEEZNS1_14transform_implILb1ES3_S5_PhS7_NS0_8identityIhEEEE10hipError_tT2_T3_mT4_P12ihipStream_tbEUlT_E_NS1_11comp_targetILNS1_3genE5ELNS1_11target_archE942ELNS1_3gpuE9ELNS1_3repE0EEENS1_30default_config_static_selectorELNS0_4arch9wavefront6targetE0EEEvT1_ ; -- Begin function _ZN7rocprim17ROCPRIM_400000_NS6detail17trampoline_kernelINS0_14default_configENS1_25transform_config_selectorIhLb1EEEZNS1_14transform_implILb1ES3_S5_PhS7_NS0_8identityIhEEEE10hipError_tT2_T3_mT4_P12ihipStream_tbEUlT_E_NS1_11comp_targetILNS1_3genE5ELNS1_11target_archE942ELNS1_3gpuE9ELNS1_3repE0EEENS1_30default_config_static_selectorELNS0_4arch9wavefront6targetE0EEEvT1_
	.globl	_ZN7rocprim17ROCPRIM_400000_NS6detail17trampoline_kernelINS0_14default_configENS1_25transform_config_selectorIhLb1EEEZNS1_14transform_implILb1ES3_S5_PhS7_NS0_8identityIhEEEE10hipError_tT2_T3_mT4_P12ihipStream_tbEUlT_E_NS1_11comp_targetILNS1_3genE5ELNS1_11target_archE942ELNS1_3gpuE9ELNS1_3repE0EEENS1_30default_config_static_selectorELNS0_4arch9wavefront6targetE0EEEvT1_
	.p2align	8
	.type	_ZN7rocprim17ROCPRIM_400000_NS6detail17trampoline_kernelINS0_14default_configENS1_25transform_config_selectorIhLb1EEEZNS1_14transform_implILb1ES3_S5_PhS7_NS0_8identityIhEEEE10hipError_tT2_T3_mT4_P12ihipStream_tbEUlT_E_NS1_11comp_targetILNS1_3genE5ELNS1_11target_archE942ELNS1_3gpuE9ELNS1_3repE0EEENS1_30default_config_static_selectorELNS0_4arch9wavefront6targetE0EEEvT1_,@function
_ZN7rocprim17ROCPRIM_400000_NS6detail17trampoline_kernelINS0_14default_configENS1_25transform_config_selectorIhLb1EEEZNS1_14transform_implILb1ES3_S5_PhS7_NS0_8identityIhEEEE10hipError_tT2_T3_mT4_P12ihipStream_tbEUlT_E_NS1_11comp_targetILNS1_3genE5ELNS1_11target_archE942ELNS1_3gpuE9ELNS1_3repE0EEENS1_30default_config_static_selectorELNS0_4arch9wavefront6targetE0EEEvT1_: ; @_ZN7rocprim17ROCPRIM_400000_NS6detail17trampoline_kernelINS0_14default_configENS1_25transform_config_selectorIhLb1EEEZNS1_14transform_implILb1ES3_S5_PhS7_NS0_8identityIhEEEE10hipError_tT2_T3_mT4_P12ihipStream_tbEUlT_E_NS1_11comp_targetILNS1_3genE5ELNS1_11target_archE942ELNS1_3gpuE9ELNS1_3repE0EEENS1_30default_config_static_selectorELNS0_4arch9wavefront6targetE0EEEvT1_
; %bb.0:
	.section	.rodata,"a",@progbits
	.p2align	6, 0x0
	.amdhsa_kernel _ZN7rocprim17ROCPRIM_400000_NS6detail17trampoline_kernelINS0_14default_configENS1_25transform_config_selectorIhLb1EEEZNS1_14transform_implILb1ES3_S5_PhS7_NS0_8identityIhEEEE10hipError_tT2_T3_mT4_P12ihipStream_tbEUlT_E_NS1_11comp_targetILNS1_3genE5ELNS1_11target_archE942ELNS1_3gpuE9ELNS1_3repE0EEENS1_30default_config_static_selectorELNS0_4arch9wavefront6targetE0EEEvT1_
		.amdhsa_group_segment_fixed_size 0
		.amdhsa_private_segment_fixed_size 0
		.amdhsa_kernarg_size 40
		.amdhsa_user_sgpr_count 2
		.amdhsa_user_sgpr_dispatch_ptr 0
		.amdhsa_user_sgpr_queue_ptr 0
		.amdhsa_user_sgpr_kernarg_segment_ptr 1
		.amdhsa_user_sgpr_dispatch_id 0
		.amdhsa_user_sgpr_kernarg_preload_length 0
		.amdhsa_user_sgpr_kernarg_preload_offset 0
		.amdhsa_user_sgpr_private_segment_size 0
		.amdhsa_wavefront_size32 1
		.amdhsa_uses_dynamic_stack 0
		.amdhsa_enable_private_segment 0
		.amdhsa_system_sgpr_workgroup_id_x 1
		.amdhsa_system_sgpr_workgroup_id_y 0
		.amdhsa_system_sgpr_workgroup_id_z 0
		.amdhsa_system_sgpr_workgroup_info 0
		.amdhsa_system_vgpr_workitem_id 0
		.amdhsa_next_free_vgpr 1
		.amdhsa_next_free_sgpr 1
		.amdhsa_named_barrier_count 0
		.amdhsa_reserve_vcc 0
		.amdhsa_float_round_mode_32 0
		.amdhsa_float_round_mode_16_64 0
		.amdhsa_float_denorm_mode_32 3
		.amdhsa_float_denorm_mode_16_64 3
		.amdhsa_fp16_overflow 0
		.amdhsa_memory_ordered 1
		.amdhsa_forward_progress 1
		.amdhsa_inst_pref_size 0
		.amdhsa_round_robin_scheduling 0
		.amdhsa_exception_fp_ieee_invalid_op 0
		.amdhsa_exception_fp_denorm_src 0
		.amdhsa_exception_fp_ieee_div_zero 0
		.amdhsa_exception_fp_ieee_overflow 0
		.amdhsa_exception_fp_ieee_underflow 0
		.amdhsa_exception_fp_ieee_inexact 0
		.amdhsa_exception_int_div_zero 0
	.end_amdhsa_kernel
	.section	.text._ZN7rocprim17ROCPRIM_400000_NS6detail17trampoline_kernelINS0_14default_configENS1_25transform_config_selectorIhLb1EEEZNS1_14transform_implILb1ES3_S5_PhS7_NS0_8identityIhEEEE10hipError_tT2_T3_mT4_P12ihipStream_tbEUlT_E_NS1_11comp_targetILNS1_3genE5ELNS1_11target_archE942ELNS1_3gpuE9ELNS1_3repE0EEENS1_30default_config_static_selectorELNS0_4arch9wavefront6targetE0EEEvT1_,"axG",@progbits,_ZN7rocprim17ROCPRIM_400000_NS6detail17trampoline_kernelINS0_14default_configENS1_25transform_config_selectorIhLb1EEEZNS1_14transform_implILb1ES3_S5_PhS7_NS0_8identityIhEEEE10hipError_tT2_T3_mT4_P12ihipStream_tbEUlT_E_NS1_11comp_targetILNS1_3genE5ELNS1_11target_archE942ELNS1_3gpuE9ELNS1_3repE0EEENS1_30default_config_static_selectorELNS0_4arch9wavefront6targetE0EEEvT1_,comdat
.Lfunc_end44:
	.size	_ZN7rocprim17ROCPRIM_400000_NS6detail17trampoline_kernelINS0_14default_configENS1_25transform_config_selectorIhLb1EEEZNS1_14transform_implILb1ES3_S5_PhS7_NS0_8identityIhEEEE10hipError_tT2_T3_mT4_P12ihipStream_tbEUlT_E_NS1_11comp_targetILNS1_3genE5ELNS1_11target_archE942ELNS1_3gpuE9ELNS1_3repE0EEENS1_30default_config_static_selectorELNS0_4arch9wavefront6targetE0EEEvT1_, .Lfunc_end44-_ZN7rocprim17ROCPRIM_400000_NS6detail17trampoline_kernelINS0_14default_configENS1_25transform_config_selectorIhLb1EEEZNS1_14transform_implILb1ES3_S5_PhS7_NS0_8identityIhEEEE10hipError_tT2_T3_mT4_P12ihipStream_tbEUlT_E_NS1_11comp_targetILNS1_3genE5ELNS1_11target_archE942ELNS1_3gpuE9ELNS1_3repE0EEENS1_30default_config_static_selectorELNS0_4arch9wavefront6targetE0EEEvT1_
                                        ; -- End function
	.set _ZN7rocprim17ROCPRIM_400000_NS6detail17trampoline_kernelINS0_14default_configENS1_25transform_config_selectorIhLb1EEEZNS1_14transform_implILb1ES3_S5_PhS7_NS0_8identityIhEEEE10hipError_tT2_T3_mT4_P12ihipStream_tbEUlT_E_NS1_11comp_targetILNS1_3genE5ELNS1_11target_archE942ELNS1_3gpuE9ELNS1_3repE0EEENS1_30default_config_static_selectorELNS0_4arch9wavefront6targetE0EEEvT1_.num_vgpr, 0
	.set _ZN7rocprim17ROCPRIM_400000_NS6detail17trampoline_kernelINS0_14default_configENS1_25transform_config_selectorIhLb1EEEZNS1_14transform_implILb1ES3_S5_PhS7_NS0_8identityIhEEEE10hipError_tT2_T3_mT4_P12ihipStream_tbEUlT_E_NS1_11comp_targetILNS1_3genE5ELNS1_11target_archE942ELNS1_3gpuE9ELNS1_3repE0EEENS1_30default_config_static_selectorELNS0_4arch9wavefront6targetE0EEEvT1_.num_agpr, 0
	.set _ZN7rocprim17ROCPRIM_400000_NS6detail17trampoline_kernelINS0_14default_configENS1_25transform_config_selectorIhLb1EEEZNS1_14transform_implILb1ES3_S5_PhS7_NS0_8identityIhEEEE10hipError_tT2_T3_mT4_P12ihipStream_tbEUlT_E_NS1_11comp_targetILNS1_3genE5ELNS1_11target_archE942ELNS1_3gpuE9ELNS1_3repE0EEENS1_30default_config_static_selectorELNS0_4arch9wavefront6targetE0EEEvT1_.numbered_sgpr, 0
	.set _ZN7rocprim17ROCPRIM_400000_NS6detail17trampoline_kernelINS0_14default_configENS1_25transform_config_selectorIhLb1EEEZNS1_14transform_implILb1ES3_S5_PhS7_NS0_8identityIhEEEE10hipError_tT2_T3_mT4_P12ihipStream_tbEUlT_E_NS1_11comp_targetILNS1_3genE5ELNS1_11target_archE942ELNS1_3gpuE9ELNS1_3repE0EEENS1_30default_config_static_selectorELNS0_4arch9wavefront6targetE0EEEvT1_.num_named_barrier, 0
	.set _ZN7rocprim17ROCPRIM_400000_NS6detail17trampoline_kernelINS0_14default_configENS1_25transform_config_selectorIhLb1EEEZNS1_14transform_implILb1ES3_S5_PhS7_NS0_8identityIhEEEE10hipError_tT2_T3_mT4_P12ihipStream_tbEUlT_E_NS1_11comp_targetILNS1_3genE5ELNS1_11target_archE942ELNS1_3gpuE9ELNS1_3repE0EEENS1_30default_config_static_selectorELNS0_4arch9wavefront6targetE0EEEvT1_.private_seg_size, 0
	.set _ZN7rocprim17ROCPRIM_400000_NS6detail17trampoline_kernelINS0_14default_configENS1_25transform_config_selectorIhLb1EEEZNS1_14transform_implILb1ES3_S5_PhS7_NS0_8identityIhEEEE10hipError_tT2_T3_mT4_P12ihipStream_tbEUlT_E_NS1_11comp_targetILNS1_3genE5ELNS1_11target_archE942ELNS1_3gpuE9ELNS1_3repE0EEENS1_30default_config_static_selectorELNS0_4arch9wavefront6targetE0EEEvT1_.uses_vcc, 0
	.set _ZN7rocprim17ROCPRIM_400000_NS6detail17trampoline_kernelINS0_14default_configENS1_25transform_config_selectorIhLb1EEEZNS1_14transform_implILb1ES3_S5_PhS7_NS0_8identityIhEEEE10hipError_tT2_T3_mT4_P12ihipStream_tbEUlT_E_NS1_11comp_targetILNS1_3genE5ELNS1_11target_archE942ELNS1_3gpuE9ELNS1_3repE0EEENS1_30default_config_static_selectorELNS0_4arch9wavefront6targetE0EEEvT1_.uses_flat_scratch, 0
	.set _ZN7rocprim17ROCPRIM_400000_NS6detail17trampoline_kernelINS0_14default_configENS1_25transform_config_selectorIhLb1EEEZNS1_14transform_implILb1ES3_S5_PhS7_NS0_8identityIhEEEE10hipError_tT2_T3_mT4_P12ihipStream_tbEUlT_E_NS1_11comp_targetILNS1_3genE5ELNS1_11target_archE942ELNS1_3gpuE9ELNS1_3repE0EEENS1_30default_config_static_selectorELNS0_4arch9wavefront6targetE0EEEvT1_.has_dyn_sized_stack, 0
	.set _ZN7rocprim17ROCPRIM_400000_NS6detail17trampoline_kernelINS0_14default_configENS1_25transform_config_selectorIhLb1EEEZNS1_14transform_implILb1ES3_S5_PhS7_NS0_8identityIhEEEE10hipError_tT2_T3_mT4_P12ihipStream_tbEUlT_E_NS1_11comp_targetILNS1_3genE5ELNS1_11target_archE942ELNS1_3gpuE9ELNS1_3repE0EEENS1_30default_config_static_selectorELNS0_4arch9wavefront6targetE0EEEvT1_.has_recursion, 0
	.set _ZN7rocprim17ROCPRIM_400000_NS6detail17trampoline_kernelINS0_14default_configENS1_25transform_config_selectorIhLb1EEEZNS1_14transform_implILb1ES3_S5_PhS7_NS0_8identityIhEEEE10hipError_tT2_T3_mT4_P12ihipStream_tbEUlT_E_NS1_11comp_targetILNS1_3genE5ELNS1_11target_archE942ELNS1_3gpuE9ELNS1_3repE0EEENS1_30default_config_static_selectorELNS0_4arch9wavefront6targetE0EEEvT1_.has_indirect_call, 0
	.section	.AMDGPU.csdata,"",@progbits
; Kernel info:
; codeLenInByte = 0
; TotalNumSgprs: 0
; NumVgprs: 0
; ScratchSize: 0
; MemoryBound: 0
; FloatMode: 240
; IeeeMode: 1
; LDSByteSize: 0 bytes/workgroup (compile time only)
; SGPRBlocks: 0
; VGPRBlocks: 0
; NumSGPRsForWavesPerEU: 1
; NumVGPRsForWavesPerEU: 1
; NamedBarCnt: 0
; Occupancy: 16
; WaveLimiterHint : 0
; COMPUTE_PGM_RSRC2:SCRATCH_EN: 0
; COMPUTE_PGM_RSRC2:USER_SGPR: 2
; COMPUTE_PGM_RSRC2:TRAP_HANDLER: 0
; COMPUTE_PGM_RSRC2:TGID_X_EN: 1
; COMPUTE_PGM_RSRC2:TGID_Y_EN: 0
; COMPUTE_PGM_RSRC2:TGID_Z_EN: 0
; COMPUTE_PGM_RSRC2:TIDIG_COMP_CNT: 0
	.section	.text._ZN7rocprim17ROCPRIM_400000_NS6detail17trampoline_kernelINS0_14default_configENS1_25transform_config_selectorIhLb1EEEZNS1_14transform_implILb1ES3_S5_PhS7_NS0_8identityIhEEEE10hipError_tT2_T3_mT4_P12ihipStream_tbEUlT_E_NS1_11comp_targetILNS1_3genE4ELNS1_11target_archE910ELNS1_3gpuE8ELNS1_3repE0EEENS1_30default_config_static_selectorELNS0_4arch9wavefront6targetE0EEEvT1_,"axG",@progbits,_ZN7rocprim17ROCPRIM_400000_NS6detail17trampoline_kernelINS0_14default_configENS1_25transform_config_selectorIhLb1EEEZNS1_14transform_implILb1ES3_S5_PhS7_NS0_8identityIhEEEE10hipError_tT2_T3_mT4_P12ihipStream_tbEUlT_E_NS1_11comp_targetILNS1_3genE4ELNS1_11target_archE910ELNS1_3gpuE8ELNS1_3repE0EEENS1_30default_config_static_selectorELNS0_4arch9wavefront6targetE0EEEvT1_,comdat
	.protected	_ZN7rocprim17ROCPRIM_400000_NS6detail17trampoline_kernelINS0_14default_configENS1_25transform_config_selectorIhLb1EEEZNS1_14transform_implILb1ES3_S5_PhS7_NS0_8identityIhEEEE10hipError_tT2_T3_mT4_P12ihipStream_tbEUlT_E_NS1_11comp_targetILNS1_3genE4ELNS1_11target_archE910ELNS1_3gpuE8ELNS1_3repE0EEENS1_30default_config_static_selectorELNS0_4arch9wavefront6targetE0EEEvT1_ ; -- Begin function _ZN7rocprim17ROCPRIM_400000_NS6detail17trampoline_kernelINS0_14default_configENS1_25transform_config_selectorIhLb1EEEZNS1_14transform_implILb1ES3_S5_PhS7_NS0_8identityIhEEEE10hipError_tT2_T3_mT4_P12ihipStream_tbEUlT_E_NS1_11comp_targetILNS1_3genE4ELNS1_11target_archE910ELNS1_3gpuE8ELNS1_3repE0EEENS1_30default_config_static_selectorELNS0_4arch9wavefront6targetE0EEEvT1_
	.globl	_ZN7rocprim17ROCPRIM_400000_NS6detail17trampoline_kernelINS0_14default_configENS1_25transform_config_selectorIhLb1EEEZNS1_14transform_implILb1ES3_S5_PhS7_NS0_8identityIhEEEE10hipError_tT2_T3_mT4_P12ihipStream_tbEUlT_E_NS1_11comp_targetILNS1_3genE4ELNS1_11target_archE910ELNS1_3gpuE8ELNS1_3repE0EEENS1_30default_config_static_selectorELNS0_4arch9wavefront6targetE0EEEvT1_
	.p2align	8
	.type	_ZN7rocprim17ROCPRIM_400000_NS6detail17trampoline_kernelINS0_14default_configENS1_25transform_config_selectorIhLb1EEEZNS1_14transform_implILb1ES3_S5_PhS7_NS0_8identityIhEEEE10hipError_tT2_T3_mT4_P12ihipStream_tbEUlT_E_NS1_11comp_targetILNS1_3genE4ELNS1_11target_archE910ELNS1_3gpuE8ELNS1_3repE0EEENS1_30default_config_static_selectorELNS0_4arch9wavefront6targetE0EEEvT1_,@function
_ZN7rocprim17ROCPRIM_400000_NS6detail17trampoline_kernelINS0_14default_configENS1_25transform_config_selectorIhLb1EEEZNS1_14transform_implILb1ES3_S5_PhS7_NS0_8identityIhEEEE10hipError_tT2_T3_mT4_P12ihipStream_tbEUlT_E_NS1_11comp_targetILNS1_3genE4ELNS1_11target_archE910ELNS1_3gpuE8ELNS1_3repE0EEENS1_30default_config_static_selectorELNS0_4arch9wavefront6targetE0EEEvT1_: ; @_ZN7rocprim17ROCPRIM_400000_NS6detail17trampoline_kernelINS0_14default_configENS1_25transform_config_selectorIhLb1EEEZNS1_14transform_implILb1ES3_S5_PhS7_NS0_8identityIhEEEE10hipError_tT2_T3_mT4_P12ihipStream_tbEUlT_E_NS1_11comp_targetILNS1_3genE4ELNS1_11target_archE910ELNS1_3gpuE8ELNS1_3repE0EEENS1_30default_config_static_selectorELNS0_4arch9wavefront6targetE0EEEvT1_
; %bb.0:
	.section	.rodata,"a",@progbits
	.p2align	6, 0x0
	.amdhsa_kernel _ZN7rocprim17ROCPRIM_400000_NS6detail17trampoline_kernelINS0_14default_configENS1_25transform_config_selectorIhLb1EEEZNS1_14transform_implILb1ES3_S5_PhS7_NS0_8identityIhEEEE10hipError_tT2_T3_mT4_P12ihipStream_tbEUlT_E_NS1_11comp_targetILNS1_3genE4ELNS1_11target_archE910ELNS1_3gpuE8ELNS1_3repE0EEENS1_30default_config_static_selectorELNS0_4arch9wavefront6targetE0EEEvT1_
		.amdhsa_group_segment_fixed_size 0
		.amdhsa_private_segment_fixed_size 0
		.amdhsa_kernarg_size 40
		.amdhsa_user_sgpr_count 2
		.amdhsa_user_sgpr_dispatch_ptr 0
		.amdhsa_user_sgpr_queue_ptr 0
		.amdhsa_user_sgpr_kernarg_segment_ptr 1
		.amdhsa_user_sgpr_dispatch_id 0
		.amdhsa_user_sgpr_kernarg_preload_length 0
		.amdhsa_user_sgpr_kernarg_preload_offset 0
		.amdhsa_user_sgpr_private_segment_size 0
		.amdhsa_wavefront_size32 1
		.amdhsa_uses_dynamic_stack 0
		.amdhsa_enable_private_segment 0
		.amdhsa_system_sgpr_workgroup_id_x 1
		.amdhsa_system_sgpr_workgroup_id_y 0
		.amdhsa_system_sgpr_workgroup_id_z 0
		.amdhsa_system_sgpr_workgroup_info 0
		.amdhsa_system_vgpr_workitem_id 0
		.amdhsa_next_free_vgpr 1
		.amdhsa_next_free_sgpr 1
		.amdhsa_named_barrier_count 0
		.amdhsa_reserve_vcc 0
		.amdhsa_float_round_mode_32 0
		.amdhsa_float_round_mode_16_64 0
		.amdhsa_float_denorm_mode_32 3
		.amdhsa_float_denorm_mode_16_64 3
		.amdhsa_fp16_overflow 0
		.amdhsa_memory_ordered 1
		.amdhsa_forward_progress 1
		.amdhsa_inst_pref_size 0
		.amdhsa_round_robin_scheduling 0
		.amdhsa_exception_fp_ieee_invalid_op 0
		.amdhsa_exception_fp_denorm_src 0
		.amdhsa_exception_fp_ieee_div_zero 0
		.amdhsa_exception_fp_ieee_overflow 0
		.amdhsa_exception_fp_ieee_underflow 0
		.amdhsa_exception_fp_ieee_inexact 0
		.amdhsa_exception_int_div_zero 0
	.end_amdhsa_kernel
	.section	.text._ZN7rocprim17ROCPRIM_400000_NS6detail17trampoline_kernelINS0_14default_configENS1_25transform_config_selectorIhLb1EEEZNS1_14transform_implILb1ES3_S5_PhS7_NS0_8identityIhEEEE10hipError_tT2_T3_mT4_P12ihipStream_tbEUlT_E_NS1_11comp_targetILNS1_3genE4ELNS1_11target_archE910ELNS1_3gpuE8ELNS1_3repE0EEENS1_30default_config_static_selectorELNS0_4arch9wavefront6targetE0EEEvT1_,"axG",@progbits,_ZN7rocprim17ROCPRIM_400000_NS6detail17trampoline_kernelINS0_14default_configENS1_25transform_config_selectorIhLb1EEEZNS1_14transform_implILb1ES3_S5_PhS7_NS0_8identityIhEEEE10hipError_tT2_T3_mT4_P12ihipStream_tbEUlT_E_NS1_11comp_targetILNS1_3genE4ELNS1_11target_archE910ELNS1_3gpuE8ELNS1_3repE0EEENS1_30default_config_static_selectorELNS0_4arch9wavefront6targetE0EEEvT1_,comdat
.Lfunc_end45:
	.size	_ZN7rocprim17ROCPRIM_400000_NS6detail17trampoline_kernelINS0_14default_configENS1_25transform_config_selectorIhLb1EEEZNS1_14transform_implILb1ES3_S5_PhS7_NS0_8identityIhEEEE10hipError_tT2_T3_mT4_P12ihipStream_tbEUlT_E_NS1_11comp_targetILNS1_3genE4ELNS1_11target_archE910ELNS1_3gpuE8ELNS1_3repE0EEENS1_30default_config_static_selectorELNS0_4arch9wavefront6targetE0EEEvT1_, .Lfunc_end45-_ZN7rocprim17ROCPRIM_400000_NS6detail17trampoline_kernelINS0_14default_configENS1_25transform_config_selectorIhLb1EEEZNS1_14transform_implILb1ES3_S5_PhS7_NS0_8identityIhEEEE10hipError_tT2_T3_mT4_P12ihipStream_tbEUlT_E_NS1_11comp_targetILNS1_3genE4ELNS1_11target_archE910ELNS1_3gpuE8ELNS1_3repE0EEENS1_30default_config_static_selectorELNS0_4arch9wavefront6targetE0EEEvT1_
                                        ; -- End function
	.set _ZN7rocprim17ROCPRIM_400000_NS6detail17trampoline_kernelINS0_14default_configENS1_25transform_config_selectorIhLb1EEEZNS1_14transform_implILb1ES3_S5_PhS7_NS0_8identityIhEEEE10hipError_tT2_T3_mT4_P12ihipStream_tbEUlT_E_NS1_11comp_targetILNS1_3genE4ELNS1_11target_archE910ELNS1_3gpuE8ELNS1_3repE0EEENS1_30default_config_static_selectorELNS0_4arch9wavefront6targetE0EEEvT1_.num_vgpr, 0
	.set _ZN7rocprim17ROCPRIM_400000_NS6detail17trampoline_kernelINS0_14default_configENS1_25transform_config_selectorIhLb1EEEZNS1_14transform_implILb1ES3_S5_PhS7_NS0_8identityIhEEEE10hipError_tT2_T3_mT4_P12ihipStream_tbEUlT_E_NS1_11comp_targetILNS1_3genE4ELNS1_11target_archE910ELNS1_3gpuE8ELNS1_3repE0EEENS1_30default_config_static_selectorELNS0_4arch9wavefront6targetE0EEEvT1_.num_agpr, 0
	.set _ZN7rocprim17ROCPRIM_400000_NS6detail17trampoline_kernelINS0_14default_configENS1_25transform_config_selectorIhLb1EEEZNS1_14transform_implILb1ES3_S5_PhS7_NS0_8identityIhEEEE10hipError_tT2_T3_mT4_P12ihipStream_tbEUlT_E_NS1_11comp_targetILNS1_3genE4ELNS1_11target_archE910ELNS1_3gpuE8ELNS1_3repE0EEENS1_30default_config_static_selectorELNS0_4arch9wavefront6targetE0EEEvT1_.numbered_sgpr, 0
	.set _ZN7rocprim17ROCPRIM_400000_NS6detail17trampoline_kernelINS0_14default_configENS1_25transform_config_selectorIhLb1EEEZNS1_14transform_implILb1ES3_S5_PhS7_NS0_8identityIhEEEE10hipError_tT2_T3_mT4_P12ihipStream_tbEUlT_E_NS1_11comp_targetILNS1_3genE4ELNS1_11target_archE910ELNS1_3gpuE8ELNS1_3repE0EEENS1_30default_config_static_selectorELNS0_4arch9wavefront6targetE0EEEvT1_.num_named_barrier, 0
	.set _ZN7rocprim17ROCPRIM_400000_NS6detail17trampoline_kernelINS0_14default_configENS1_25transform_config_selectorIhLb1EEEZNS1_14transform_implILb1ES3_S5_PhS7_NS0_8identityIhEEEE10hipError_tT2_T3_mT4_P12ihipStream_tbEUlT_E_NS1_11comp_targetILNS1_3genE4ELNS1_11target_archE910ELNS1_3gpuE8ELNS1_3repE0EEENS1_30default_config_static_selectorELNS0_4arch9wavefront6targetE0EEEvT1_.private_seg_size, 0
	.set _ZN7rocprim17ROCPRIM_400000_NS6detail17trampoline_kernelINS0_14default_configENS1_25transform_config_selectorIhLb1EEEZNS1_14transform_implILb1ES3_S5_PhS7_NS0_8identityIhEEEE10hipError_tT2_T3_mT4_P12ihipStream_tbEUlT_E_NS1_11comp_targetILNS1_3genE4ELNS1_11target_archE910ELNS1_3gpuE8ELNS1_3repE0EEENS1_30default_config_static_selectorELNS0_4arch9wavefront6targetE0EEEvT1_.uses_vcc, 0
	.set _ZN7rocprim17ROCPRIM_400000_NS6detail17trampoline_kernelINS0_14default_configENS1_25transform_config_selectorIhLb1EEEZNS1_14transform_implILb1ES3_S5_PhS7_NS0_8identityIhEEEE10hipError_tT2_T3_mT4_P12ihipStream_tbEUlT_E_NS1_11comp_targetILNS1_3genE4ELNS1_11target_archE910ELNS1_3gpuE8ELNS1_3repE0EEENS1_30default_config_static_selectorELNS0_4arch9wavefront6targetE0EEEvT1_.uses_flat_scratch, 0
	.set _ZN7rocprim17ROCPRIM_400000_NS6detail17trampoline_kernelINS0_14default_configENS1_25transform_config_selectorIhLb1EEEZNS1_14transform_implILb1ES3_S5_PhS7_NS0_8identityIhEEEE10hipError_tT2_T3_mT4_P12ihipStream_tbEUlT_E_NS1_11comp_targetILNS1_3genE4ELNS1_11target_archE910ELNS1_3gpuE8ELNS1_3repE0EEENS1_30default_config_static_selectorELNS0_4arch9wavefront6targetE0EEEvT1_.has_dyn_sized_stack, 0
	.set _ZN7rocprim17ROCPRIM_400000_NS6detail17trampoline_kernelINS0_14default_configENS1_25transform_config_selectorIhLb1EEEZNS1_14transform_implILb1ES3_S5_PhS7_NS0_8identityIhEEEE10hipError_tT2_T3_mT4_P12ihipStream_tbEUlT_E_NS1_11comp_targetILNS1_3genE4ELNS1_11target_archE910ELNS1_3gpuE8ELNS1_3repE0EEENS1_30default_config_static_selectorELNS0_4arch9wavefront6targetE0EEEvT1_.has_recursion, 0
	.set _ZN7rocprim17ROCPRIM_400000_NS6detail17trampoline_kernelINS0_14default_configENS1_25transform_config_selectorIhLb1EEEZNS1_14transform_implILb1ES3_S5_PhS7_NS0_8identityIhEEEE10hipError_tT2_T3_mT4_P12ihipStream_tbEUlT_E_NS1_11comp_targetILNS1_3genE4ELNS1_11target_archE910ELNS1_3gpuE8ELNS1_3repE0EEENS1_30default_config_static_selectorELNS0_4arch9wavefront6targetE0EEEvT1_.has_indirect_call, 0
	.section	.AMDGPU.csdata,"",@progbits
; Kernel info:
; codeLenInByte = 0
; TotalNumSgprs: 0
; NumVgprs: 0
; ScratchSize: 0
; MemoryBound: 0
; FloatMode: 240
; IeeeMode: 1
; LDSByteSize: 0 bytes/workgroup (compile time only)
; SGPRBlocks: 0
; VGPRBlocks: 0
; NumSGPRsForWavesPerEU: 1
; NumVGPRsForWavesPerEU: 1
; NamedBarCnt: 0
; Occupancy: 16
; WaveLimiterHint : 0
; COMPUTE_PGM_RSRC2:SCRATCH_EN: 0
; COMPUTE_PGM_RSRC2:USER_SGPR: 2
; COMPUTE_PGM_RSRC2:TRAP_HANDLER: 0
; COMPUTE_PGM_RSRC2:TGID_X_EN: 1
; COMPUTE_PGM_RSRC2:TGID_Y_EN: 0
; COMPUTE_PGM_RSRC2:TGID_Z_EN: 0
; COMPUTE_PGM_RSRC2:TIDIG_COMP_CNT: 0
	.section	.text._ZN7rocprim17ROCPRIM_400000_NS6detail17trampoline_kernelINS0_14default_configENS1_25transform_config_selectorIhLb1EEEZNS1_14transform_implILb1ES3_S5_PhS7_NS0_8identityIhEEEE10hipError_tT2_T3_mT4_P12ihipStream_tbEUlT_E_NS1_11comp_targetILNS1_3genE3ELNS1_11target_archE908ELNS1_3gpuE7ELNS1_3repE0EEENS1_30default_config_static_selectorELNS0_4arch9wavefront6targetE0EEEvT1_,"axG",@progbits,_ZN7rocprim17ROCPRIM_400000_NS6detail17trampoline_kernelINS0_14default_configENS1_25transform_config_selectorIhLb1EEEZNS1_14transform_implILb1ES3_S5_PhS7_NS0_8identityIhEEEE10hipError_tT2_T3_mT4_P12ihipStream_tbEUlT_E_NS1_11comp_targetILNS1_3genE3ELNS1_11target_archE908ELNS1_3gpuE7ELNS1_3repE0EEENS1_30default_config_static_selectorELNS0_4arch9wavefront6targetE0EEEvT1_,comdat
	.protected	_ZN7rocprim17ROCPRIM_400000_NS6detail17trampoline_kernelINS0_14default_configENS1_25transform_config_selectorIhLb1EEEZNS1_14transform_implILb1ES3_S5_PhS7_NS0_8identityIhEEEE10hipError_tT2_T3_mT4_P12ihipStream_tbEUlT_E_NS1_11comp_targetILNS1_3genE3ELNS1_11target_archE908ELNS1_3gpuE7ELNS1_3repE0EEENS1_30default_config_static_selectorELNS0_4arch9wavefront6targetE0EEEvT1_ ; -- Begin function _ZN7rocprim17ROCPRIM_400000_NS6detail17trampoline_kernelINS0_14default_configENS1_25transform_config_selectorIhLb1EEEZNS1_14transform_implILb1ES3_S5_PhS7_NS0_8identityIhEEEE10hipError_tT2_T3_mT4_P12ihipStream_tbEUlT_E_NS1_11comp_targetILNS1_3genE3ELNS1_11target_archE908ELNS1_3gpuE7ELNS1_3repE0EEENS1_30default_config_static_selectorELNS0_4arch9wavefront6targetE0EEEvT1_
	.globl	_ZN7rocprim17ROCPRIM_400000_NS6detail17trampoline_kernelINS0_14default_configENS1_25transform_config_selectorIhLb1EEEZNS1_14transform_implILb1ES3_S5_PhS7_NS0_8identityIhEEEE10hipError_tT2_T3_mT4_P12ihipStream_tbEUlT_E_NS1_11comp_targetILNS1_3genE3ELNS1_11target_archE908ELNS1_3gpuE7ELNS1_3repE0EEENS1_30default_config_static_selectorELNS0_4arch9wavefront6targetE0EEEvT1_
	.p2align	8
	.type	_ZN7rocprim17ROCPRIM_400000_NS6detail17trampoline_kernelINS0_14default_configENS1_25transform_config_selectorIhLb1EEEZNS1_14transform_implILb1ES3_S5_PhS7_NS0_8identityIhEEEE10hipError_tT2_T3_mT4_P12ihipStream_tbEUlT_E_NS1_11comp_targetILNS1_3genE3ELNS1_11target_archE908ELNS1_3gpuE7ELNS1_3repE0EEENS1_30default_config_static_selectorELNS0_4arch9wavefront6targetE0EEEvT1_,@function
_ZN7rocprim17ROCPRIM_400000_NS6detail17trampoline_kernelINS0_14default_configENS1_25transform_config_selectorIhLb1EEEZNS1_14transform_implILb1ES3_S5_PhS7_NS0_8identityIhEEEE10hipError_tT2_T3_mT4_P12ihipStream_tbEUlT_E_NS1_11comp_targetILNS1_3genE3ELNS1_11target_archE908ELNS1_3gpuE7ELNS1_3repE0EEENS1_30default_config_static_selectorELNS0_4arch9wavefront6targetE0EEEvT1_: ; @_ZN7rocprim17ROCPRIM_400000_NS6detail17trampoline_kernelINS0_14default_configENS1_25transform_config_selectorIhLb1EEEZNS1_14transform_implILb1ES3_S5_PhS7_NS0_8identityIhEEEE10hipError_tT2_T3_mT4_P12ihipStream_tbEUlT_E_NS1_11comp_targetILNS1_3genE3ELNS1_11target_archE908ELNS1_3gpuE7ELNS1_3repE0EEENS1_30default_config_static_selectorELNS0_4arch9wavefront6targetE0EEEvT1_
; %bb.0:
	.section	.rodata,"a",@progbits
	.p2align	6, 0x0
	.amdhsa_kernel _ZN7rocprim17ROCPRIM_400000_NS6detail17trampoline_kernelINS0_14default_configENS1_25transform_config_selectorIhLb1EEEZNS1_14transform_implILb1ES3_S5_PhS7_NS0_8identityIhEEEE10hipError_tT2_T3_mT4_P12ihipStream_tbEUlT_E_NS1_11comp_targetILNS1_3genE3ELNS1_11target_archE908ELNS1_3gpuE7ELNS1_3repE0EEENS1_30default_config_static_selectorELNS0_4arch9wavefront6targetE0EEEvT1_
		.amdhsa_group_segment_fixed_size 0
		.amdhsa_private_segment_fixed_size 0
		.amdhsa_kernarg_size 40
		.amdhsa_user_sgpr_count 2
		.amdhsa_user_sgpr_dispatch_ptr 0
		.amdhsa_user_sgpr_queue_ptr 0
		.amdhsa_user_sgpr_kernarg_segment_ptr 1
		.amdhsa_user_sgpr_dispatch_id 0
		.amdhsa_user_sgpr_kernarg_preload_length 0
		.amdhsa_user_sgpr_kernarg_preload_offset 0
		.amdhsa_user_sgpr_private_segment_size 0
		.amdhsa_wavefront_size32 1
		.amdhsa_uses_dynamic_stack 0
		.amdhsa_enable_private_segment 0
		.amdhsa_system_sgpr_workgroup_id_x 1
		.amdhsa_system_sgpr_workgroup_id_y 0
		.amdhsa_system_sgpr_workgroup_id_z 0
		.amdhsa_system_sgpr_workgroup_info 0
		.amdhsa_system_vgpr_workitem_id 0
		.amdhsa_next_free_vgpr 1
		.amdhsa_next_free_sgpr 1
		.amdhsa_named_barrier_count 0
		.amdhsa_reserve_vcc 0
		.amdhsa_float_round_mode_32 0
		.amdhsa_float_round_mode_16_64 0
		.amdhsa_float_denorm_mode_32 3
		.amdhsa_float_denorm_mode_16_64 3
		.amdhsa_fp16_overflow 0
		.amdhsa_memory_ordered 1
		.amdhsa_forward_progress 1
		.amdhsa_inst_pref_size 0
		.amdhsa_round_robin_scheduling 0
		.amdhsa_exception_fp_ieee_invalid_op 0
		.amdhsa_exception_fp_denorm_src 0
		.amdhsa_exception_fp_ieee_div_zero 0
		.amdhsa_exception_fp_ieee_overflow 0
		.amdhsa_exception_fp_ieee_underflow 0
		.amdhsa_exception_fp_ieee_inexact 0
		.amdhsa_exception_int_div_zero 0
	.end_amdhsa_kernel
	.section	.text._ZN7rocprim17ROCPRIM_400000_NS6detail17trampoline_kernelINS0_14default_configENS1_25transform_config_selectorIhLb1EEEZNS1_14transform_implILb1ES3_S5_PhS7_NS0_8identityIhEEEE10hipError_tT2_T3_mT4_P12ihipStream_tbEUlT_E_NS1_11comp_targetILNS1_3genE3ELNS1_11target_archE908ELNS1_3gpuE7ELNS1_3repE0EEENS1_30default_config_static_selectorELNS0_4arch9wavefront6targetE0EEEvT1_,"axG",@progbits,_ZN7rocprim17ROCPRIM_400000_NS6detail17trampoline_kernelINS0_14default_configENS1_25transform_config_selectorIhLb1EEEZNS1_14transform_implILb1ES3_S5_PhS7_NS0_8identityIhEEEE10hipError_tT2_T3_mT4_P12ihipStream_tbEUlT_E_NS1_11comp_targetILNS1_3genE3ELNS1_11target_archE908ELNS1_3gpuE7ELNS1_3repE0EEENS1_30default_config_static_selectorELNS0_4arch9wavefront6targetE0EEEvT1_,comdat
.Lfunc_end46:
	.size	_ZN7rocprim17ROCPRIM_400000_NS6detail17trampoline_kernelINS0_14default_configENS1_25transform_config_selectorIhLb1EEEZNS1_14transform_implILb1ES3_S5_PhS7_NS0_8identityIhEEEE10hipError_tT2_T3_mT4_P12ihipStream_tbEUlT_E_NS1_11comp_targetILNS1_3genE3ELNS1_11target_archE908ELNS1_3gpuE7ELNS1_3repE0EEENS1_30default_config_static_selectorELNS0_4arch9wavefront6targetE0EEEvT1_, .Lfunc_end46-_ZN7rocprim17ROCPRIM_400000_NS6detail17trampoline_kernelINS0_14default_configENS1_25transform_config_selectorIhLb1EEEZNS1_14transform_implILb1ES3_S5_PhS7_NS0_8identityIhEEEE10hipError_tT2_T3_mT4_P12ihipStream_tbEUlT_E_NS1_11comp_targetILNS1_3genE3ELNS1_11target_archE908ELNS1_3gpuE7ELNS1_3repE0EEENS1_30default_config_static_selectorELNS0_4arch9wavefront6targetE0EEEvT1_
                                        ; -- End function
	.set _ZN7rocprim17ROCPRIM_400000_NS6detail17trampoline_kernelINS0_14default_configENS1_25transform_config_selectorIhLb1EEEZNS1_14transform_implILb1ES3_S5_PhS7_NS0_8identityIhEEEE10hipError_tT2_T3_mT4_P12ihipStream_tbEUlT_E_NS1_11comp_targetILNS1_3genE3ELNS1_11target_archE908ELNS1_3gpuE7ELNS1_3repE0EEENS1_30default_config_static_selectorELNS0_4arch9wavefront6targetE0EEEvT1_.num_vgpr, 0
	.set _ZN7rocprim17ROCPRIM_400000_NS6detail17trampoline_kernelINS0_14default_configENS1_25transform_config_selectorIhLb1EEEZNS1_14transform_implILb1ES3_S5_PhS7_NS0_8identityIhEEEE10hipError_tT2_T3_mT4_P12ihipStream_tbEUlT_E_NS1_11comp_targetILNS1_3genE3ELNS1_11target_archE908ELNS1_3gpuE7ELNS1_3repE0EEENS1_30default_config_static_selectorELNS0_4arch9wavefront6targetE0EEEvT1_.num_agpr, 0
	.set _ZN7rocprim17ROCPRIM_400000_NS6detail17trampoline_kernelINS0_14default_configENS1_25transform_config_selectorIhLb1EEEZNS1_14transform_implILb1ES3_S5_PhS7_NS0_8identityIhEEEE10hipError_tT2_T3_mT4_P12ihipStream_tbEUlT_E_NS1_11comp_targetILNS1_3genE3ELNS1_11target_archE908ELNS1_3gpuE7ELNS1_3repE0EEENS1_30default_config_static_selectorELNS0_4arch9wavefront6targetE0EEEvT1_.numbered_sgpr, 0
	.set _ZN7rocprim17ROCPRIM_400000_NS6detail17trampoline_kernelINS0_14default_configENS1_25transform_config_selectorIhLb1EEEZNS1_14transform_implILb1ES3_S5_PhS7_NS0_8identityIhEEEE10hipError_tT2_T3_mT4_P12ihipStream_tbEUlT_E_NS1_11comp_targetILNS1_3genE3ELNS1_11target_archE908ELNS1_3gpuE7ELNS1_3repE0EEENS1_30default_config_static_selectorELNS0_4arch9wavefront6targetE0EEEvT1_.num_named_barrier, 0
	.set _ZN7rocprim17ROCPRIM_400000_NS6detail17trampoline_kernelINS0_14default_configENS1_25transform_config_selectorIhLb1EEEZNS1_14transform_implILb1ES3_S5_PhS7_NS0_8identityIhEEEE10hipError_tT2_T3_mT4_P12ihipStream_tbEUlT_E_NS1_11comp_targetILNS1_3genE3ELNS1_11target_archE908ELNS1_3gpuE7ELNS1_3repE0EEENS1_30default_config_static_selectorELNS0_4arch9wavefront6targetE0EEEvT1_.private_seg_size, 0
	.set _ZN7rocprim17ROCPRIM_400000_NS6detail17trampoline_kernelINS0_14default_configENS1_25transform_config_selectorIhLb1EEEZNS1_14transform_implILb1ES3_S5_PhS7_NS0_8identityIhEEEE10hipError_tT2_T3_mT4_P12ihipStream_tbEUlT_E_NS1_11comp_targetILNS1_3genE3ELNS1_11target_archE908ELNS1_3gpuE7ELNS1_3repE0EEENS1_30default_config_static_selectorELNS0_4arch9wavefront6targetE0EEEvT1_.uses_vcc, 0
	.set _ZN7rocprim17ROCPRIM_400000_NS6detail17trampoline_kernelINS0_14default_configENS1_25transform_config_selectorIhLb1EEEZNS1_14transform_implILb1ES3_S5_PhS7_NS0_8identityIhEEEE10hipError_tT2_T3_mT4_P12ihipStream_tbEUlT_E_NS1_11comp_targetILNS1_3genE3ELNS1_11target_archE908ELNS1_3gpuE7ELNS1_3repE0EEENS1_30default_config_static_selectorELNS0_4arch9wavefront6targetE0EEEvT1_.uses_flat_scratch, 0
	.set _ZN7rocprim17ROCPRIM_400000_NS6detail17trampoline_kernelINS0_14default_configENS1_25transform_config_selectorIhLb1EEEZNS1_14transform_implILb1ES3_S5_PhS7_NS0_8identityIhEEEE10hipError_tT2_T3_mT4_P12ihipStream_tbEUlT_E_NS1_11comp_targetILNS1_3genE3ELNS1_11target_archE908ELNS1_3gpuE7ELNS1_3repE0EEENS1_30default_config_static_selectorELNS0_4arch9wavefront6targetE0EEEvT1_.has_dyn_sized_stack, 0
	.set _ZN7rocprim17ROCPRIM_400000_NS6detail17trampoline_kernelINS0_14default_configENS1_25transform_config_selectorIhLb1EEEZNS1_14transform_implILb1ES3_S5_PhS7_NS0_8identityIhEEEE10hipError_tT2_T3_mT4_P12ihipStream_tbEUlT_E_NS1_11comp_targetILNS1_3genE3ELNS1_11target_archE908ELNS1_3gpuE7ELNS1_3repE0EEENS1_30default_config_static_selectorELNS0_4arch9wavefront6targetE0EEEvT1_.has_recursion, 0
	.set _ZN7rocprim17ROCPRIM_400000_NS6detail17trampoline_kernelINS0_14default_configENS1_25transform_config_selectorIhLb1EEEZNS1_14transform_implILb1ES3_S5_PhS7_NS0_8identityIhEEEE10hipError_tT2_T3_mT4_P12ihipStream_tbEUlT_E_NS1_11comp_targetILNS1_3genE3ELNS1_11target_archE908ELNS1_3gpuE7ELNS1_3repE0EEENS1_30default_config_static_selectorELNS0_4arch9wavefront6targetE0EEEvT1_.has_indirect_call, 0
	.section	.AMDGPU.csdata,"",@progbits
; Kernel info:
; codeLenInByte = 0
; TotalNumSgprs: 0
; NumVgprs: 0
; ScratchSize: 0
; MemoryBound: 0
; FloatMode: 240
; IeeeMode: 1
; LDSByteSize: 0 bytes/workgroup (compile time only)
; SGPRBlocks: 0
; VGPRBlocks: 0
; NumSGPRsForWavesPerEU: 1
; NumVGPRsForWavesPerEU: 1
; NamedBarCnt: 0
; Occupancy: 16
; WaveLimiterHint : 0
; COMPUTE_PGM_RSRC2:SCRATCH_EN: 0
; COMPUTE_PGM_RSRC2:USER_SGPR: 2
; COMPUTE_PGM_RSRC2:TRAP_HANDLER: 0
; COMPUTE_PGM_RSRC2:TGID_X_EN: 1
; COMPUTE_PGM_RSRC2:TGID_Y_EN: 0
; COMPUTE_PGM_RSRC2:TGID_Z_EN: 0
; COMPUTE_PGM_RSRC2:TIDIG_COMP_CNT: 0
	.section	.text._ZN7rocprim17ROCPRIM_400000_NS6detail17trampoline_kernelINS0_14default_configENS1_25transform_config_selectorIhLb1EEEZNS1_14transform_implILb1ES3_S5_PhS7_NS0_8identityIhEEEE10hipError_tT2_T3_mT4_P12ihipStream_tbEUlT_E_NS1_11comp_targetILNS1_3genE2ELNS1_11target_archE906ELNS1_3gpuE6ELNS1_3repE0EEENS1_30default_config_static_selectorELNS0_4arch9wavefront6targetE0EEEvT1_,"axG",@progbits,_ZN7rocprim17ROCPRIM_400000_NS6detail17trampoline_kernelINS0_14default_configENS1_25transform_config_selectorIhLb1EEEZNS1_14transform_implILb1ES3_S5_PhS7_NS0_8identityIhEEEE10hipError_tT2_T3_mT4_P12ihipStream_tbEUlT_E_NS1_11comp_targetILNS1_3genE2ELNS1_11target_archE906ELNS1_3gpuE6ELNS1_3repE0EEENS1_30default_config_static_selectorELNS0_4arch9wavefront6targetE0EEEvT1_,comdat
	.protected	_ZN7rocprim17ROCPRIM_400000_NS6detail17trampoline_kernelINS0_14default_configENS1_25transform_config_selectorIhLb1EEEZNS1_14transform_implILb1ES3_S5_PhS7_NS0_8identityIhEEEE10hipError_tT2_T3_mT4_P12ihipStream_tbEUlT_E_NS1_11comp_targetILNS1_3genE2ELNS1_11target_archE906ELNS1_3gpuE6ELNS1_3repE0EEENS1_30default_config_static_selectorELNS0_4arch9wavefront6targetE0EEEvT1_ ; -- Begin function _ZN7rocprim17ROCPRIM_400000_NS6detail17trampoline_kernelINS0_14default_configENS1_25transform_config_selectorIhLb1EEEZNS1_14transform_implILb1ES3_S5_PhS7_NS0_8identityIhEEEE10hipError_tT2_T3_mT4_P12ihipStream_tbEUlT_E_NS1_11comp_targetILNS1_3genE2ELNS1_11target_archE906ELNS1_3gpuE6ELNS1_3repE0EEENS1_30default_config_static_selectorELNS0_4arch9wavefront6targetE0EEEvT1_
	.globl	_ZN7rocprim17ROCPRIM_400000_NS6detail17trampoline_kernelINS0_14default_configENS1_25transform_config_selectorIhLb1EEEZNS1_14transform_implILb1ES3_S5_PhS7_NS0_8identityIhEEEE10hipError_tT2_T3_mT4_P12ihipStream_tbEUlT_E_NS1_11comp_targetILNS1_3genE2ELNS1_11target_archE906ELNS1_3gpuE6ELNS1_3repE0EEENS1_30default_config_static_selectorELNS0_4arch9wavefront6targetE0EEEvT1_
	.p2align	8
	.type	_ZN7rocprim17ROCPRIM_400000_NS6detail17trampoline_kernelINS0_14default_configENS1_25transform_config_selectorIhLb1EEEZNS1_14transform_implILb1ES3_S5_PhS7_NS0_8identityIhEEEE10hipError_tT2_T3_mT4_P12ihipStream_tbEUlT_E_NS1_11comp_targetILNS1_3genE2ELNS1_11target_archE906ELNS1_3gpuE6ELNS1_3repE0EEENS1_30default_config_static_selectorELNS0_4arch9wavefront6targetE0EEEvT1_,@function
_ZN7rocprim17ROCPRIM_400000_NS6detail17trampoline_kernelINS0_14default_configENS1_25transform_config_selectorIhLb1EEEZNS1_14transform_implILb1ES3_S5_PhS7_NS0_8identityIhEEEE10hipError_tT2_T3_mT4_P12ihipStream_tbEUlT_E_NS1_11comp_targetILNS1_3genE2ELNS1_11target_archE906ELNS1_3gpuE6ELNS1_3repE0EEENS1_30default_config_static_selectorELNS0_4arch9wavefront6targetE0EEEvT1_: ; @_ZN7rocprim17ROCPRIM_400000_NS6detail17trampoline_kernelINS0_14default_configENS1_25transform_config_selectorIhLb1EEEZNS1_14transform_implILb1ES3_S5_PhS7_NS0_8identityIhEEEE10hipError_tT2_T3_mT4_P12ihipStream_tbEUlT_E_NS1_11comp_targetILNS1_3genE2ELNS1_11target_archE906ELNS1_3gpuE6ELNS1_3repE0EEENS1_30default_config_static_selectorELNS0_4arch9wavefront6targetE0EEEvT1_
; %bb.0:
	.section	.rodata,"a",@progbits
	.p2align	6, 0x0
	.amdhsa_kernel _ZN7rocprim17ROCPRIM_400000_NS6detail17trampoline_kernelINS0_14default_configENS1_25transform_config_selectorIhLb1EEEZNS1_14transform_implILb1ES3_S5_PhS7_NS0_8identityIhEEEE10hipError_tT2_T3_mT4_P12ihipStream_tbEUlT_E_NS1_11comp_targetILNS1_3genE2ELNS1_11target_archE906ELNS1_3gpuE6ELNS1_3repE0EEENS1_30default_config_static_selectorELNS0_4arch9wavefront6targetE0EEEvT1_
		.amdhsa_group_segment_fixed_size 0
		.amdhsa_private_segment_fixed_size 0
		.amdhsa_kernarg_size 40
		.amdhsa_user_sgpr_count 2
		.amdhsa_user_sgpr_dispatch_ptr 0
		.amdhsa_user_sgpr_queue_ptr 0
		.amdhsa_user_sgpr_kernarg_segment_ptr 1
		.amdhsa_user_sgpr_dispatch_id 0
		.amdhsa_user_sgpr_kernarg_preload_length 0
		.amdhsa_user_sgpr_kernarg_preload_offset 0
		.amdhsa_user_sgpr_private_segment_size 0
		.amdhsa_wavefront_size32 1
		.amdhsa_uses_dynamic_stack 0
		.amdhsa_enable_private_segment 0
		.amdhsa_system_sgpr_workgroup_id_x 1
		.amdhsa_system_sgpr_workgroup_id_y 0
		.amdhsa_system_sgpr_workgroup_id_z 0
		.amdhsa_system_sgpr_workgroup_info 0
		.amdhsa_system_vgpr_workitem_id 0
		.amdhsa_next_free_vgpr 1
		.amdhsa_next_free_sgpr 1
		.amdhsa_named_barrier_count 0
		.amdhsa_reserve_vcc 0
		.amdhsa_float_round_mode_32 0
		.amdhsa_float_round_mode_16_64 0
		.amdhsa_float_denorm_mode_32 3
		.amdhsa_float_denorm_mode_16_64 3
		.amdhsa_fp16_overflow 0
		.amdhsa_memory_ordered 1
		.amdhsa_forward_progress 1
		.amdhsa_inst_pref_size 0
		.amdhsa_round_robin_scheduling 0
		.amdhsa_exception_fp_ieee_invalid_op 0
		.amdhsa_exception_fp_denorm_src 0
		.amdhsa_exception_fp_ieee_div_zero 0
		.amdhsa_exception_fp_ieee_overflow 0
		.amdhsa_exception_fp_ieee_underflow 0
		.amdhsa_exception_fp_ieee_inexact 0
		.amdhsa_exception_int_div_zero 0
	.end_amdhsa_kernel
	.section	.text._ZN7rocprim17ROCPRIM_400000_NS6detail17trampoline_kernelINS0_14default_configENS1_25transform_config_selectorIhLb1EEEZNS1_14transform_implILb1ES3_S5_PhS7_NS0_8identityIhEEEE10hipError_tT2_T3_mT4_P12ihipStream_tbEUlT_E_NS1_11comp_targetILNS1_3genE2ELNS1_11target_archE906ELNS1_3gpuE6ELNS1_3repE0EEENS1_30default_config_static_selectorELNS0_4arch9wavefront6targetE0EEEvT1_,"axG",@progbits,_ZN7rocprim17ROCPRIM_400000_NS6detail17trampoline_kernelINS0_14default_configENS1_25transform_config_selectorIhLb1EEEZNS1_14transform_implILb1ES3_S5_PhS7_NS0_8identityIhEEEE10hipError_tT2_T3_mT4_P12ihipStream_tbEUlT_E_NS1_11comp_targetILNS1_3genE2ELNS1_11target_archE906ELNS1_3gpuE6ELNS1_3repE0EEENS1_30default_config_static_selectorELNS0_4arch9wavefront6targetE0EEEvT1_,comdat
.Lfunc_end47:
	.size	_ZN7rocprim17ROCPRIM_400000_NS6detail17trampoline_kernelINS0_14default_configENS1_25transform_config_selectorIhLb1EEEZNS1_14transform_implILb1ES3_S5_PhS7_NS0_8identityIhEEEE10hipError_tT2_T3_mT4_P12ihipStream_tbEUlT_E_NS1_11comp_targetILNS1_3genE2ELNS1_11target_archE906ELNS1_3gpuE6ELNS1_3repE0EEENS1_30default_config_static_selectorELNS0_4arch9wavefront6targetE0EEEvT1_, .Lfunc_end47-_ZN7rocprim17ROCPRIM_400000_NS6detail17trampoline_kernelINS0_14default_configENS1_25transform_config_selectorIhLb1EEEZNS1_14transform_implILb1ES3_S5_PhS7_NS0_8identityIhEEEE10hipError_tT2_T3_mT4_P12ihipStream_tbEUlT_E_NS1_11comp_targetILNS1_3genE2ELNS1_11target_archE906ELNS1_3gpuE6ELNS1_3repE0EEENS1_30default_config_static_selectorELNS0_4arch9wavefront6targetE0EEEvT1_
                                        ; -- End function
	.set _ZN7rocprim17ROCPRIM_400000_NS6detail17trampoline_kernelINS0_14default_configENS1_25transform_config_selectorIhLb1EEEZNS1_14transform_implILb1ES3_S5_PhS7_NS0_8identityIhEEEE10hipError_tT2_T3_mT4_P12ihipStream_tbEUlT_E_NS1_11comp_targetILNS1_3genE2ELNS1_11target_archE906ELNS1_3gpuE6ELNS1_3repE0EEENS1_30default_config_static_selectorELNS0_4arch9wavefront6targetE0EEEvT1_.num_vgpr, 0
	.set _ZN7rocprim17ROCPRIM_400000_NS6detail17trampoline_kernelINS0_14default_configENS1_25transform_config_selectorIhLb1EEEZNS1_14transform_implILb1ES3_S5_PhS7_NS0_8identityIhEEEE10hipError_tT2_T3_mT4_P12ihipStream_tbEUlT_E_NS1_11comp_targetILNS1_3genE2ELNS1_11target_archE906ELNS1_3gpuE6ELNS1_3repE0EEENS1_30default_config_static_selectorELNS0_4arch9wavefront6targetE0EEEvT1_.num_agpr, 0
	.set _ZN7rocprim17ROCPRIM_400000_NS6detail17trampoline_kernelINS0_14default_configENS1_25transform_config_selectorIhLb1EEEZNS1_14transform_implILb1ES3_S5_PhS7_NS0_8identityIhEEEE10hipError_tT2_T3_mT4_P12ihipStream_tbEUlT_E_NS1_11comp_targetILNS1_3genE2ELNS1_11target_archE906ELNS1_3gpuE6ELNS1_3repE0EEENS1_30default_config_static_selectorELNS0_4arch9wavefront6targetE0EEEvT1_.numbered_sgpr, 0
	.set _ZN7rocprim17ROCPRIM_400000_NS6detail17trampoline_kernelINS0_14default_configENS1_25transform_config_selectorIhLb1EEEZNS1_14transform_implILb1ES3_S5_PhS7_NS0_8identityIhEEEE10hipError_tT2_T3_mT4_P12ihipStream_tbEUlT_E_NS1_11comp_targetILNS1_3genE2ELNS1_11target_archE906ELNS1_3gpuE6ELNS1_3repE0EEENS1_30default_config_static_selectorELNS0_4arch9wavefront6targetE0EEEvT1_.num_named_barrier, 0
	.set _ZN7rocprim17ROCPRIM_400000_NS6detail17trampoline_kernelINS0_14default_configENS1_25transform_config_selectorIhLb1EEEZNS1_14transform_implILb1ES3_S5_PhS7_NS0_8identityIhEEEE10hipError_tT2_T3_mT4_P12ihipStream_tbEUlT_E_NS1_11comp_targetILNS1_3genE2ELNS1_11target_archE906ELNS1_3gpuE6ELNS1_3repE0EEENS1_30default_config_static_selectorELNS0_4arch9wavefront6targetE0EEEvT1_.private_seg_size, 0
	.set _ZN7rocprim17ROCPRIM_400000_NS6detail17trampoline_kernelINS0_14default_configENS1_25transform_config_selectorIhLb1EEEZNS1_14transform_implILb1ES3_S5_PhS7_NS0_8identityIhEEEE10hipError_tT2_T3_mT4_P12ihipStream_tbEUlT_E_NS1_11comp_targetILNS1_3genE2ELNS1_11target_archE906ELNS1_3gpuE6ELNS1_3repE0EEENS1_30default_config_static_selectorELNS0_4arch9wavefront6targetE0EEEvT1_.uses_vcc, 0
	.set _ZN7rocprim17ROCPRIM_400000_NS6detail17trampoline_kernelINS0_14default_configENS1_25transform_config_selectorIhLb1EEEZNS1_14transform_implILb1ES3_S5_PhS7_NS0_8identityIhEEEE10hipError_tT2_T3_mT4_P12ihipStream_tbEUlT_E_NS1_11comp_targetILNS1_3genE2ELNS1_11target_archE906ELNS1_3gpuE6ELNS1_3repE0EEENS1_30default_config_static_selectorELNS0_4arch9wavefront6targetE0EEEvT1_.uses_flat_scratch, 0
	.set _ZN7rocprim17ROCPRIM_400000_NS6detail17trampoline_kernelINS0_14default_configENS1_25transform_config_selectorIhLb1EEEZNS1_14transform_implILb1ES3_S5_PhS7_NS0_8identityIhEEEE10hipError_tT2_T3_mT4_P12ihipStream_tbEUlT_E_NS1_11comp_targetILNS1_3genE2ELNS1_11target_archE906ELNS1_3gpuE6ELNS1_3repE0EEENS1_30default_config_static_selectorELNS0_4arch9wavefront6targetE0EEEvT1_.has_dyn_sized_stack, 0
	.set _ZN7rocprim17ROCPRIM_400000_NS6detail17trampoline_kernelINS0_14default_configENS1_25transform_config_selectorIhLb1EEEZNS1_14transform_implILb1ES3_S5_PhS7_NS0_8identityIhEEEE10hipError_tT2_T3_mT4_P12ihipStream_tbEUlT_E_NS1_11comp_targetILNS1_3genE2ELNS1_11target_archE906ELNS1_3gpuE6ELNS1_3repE0EEENS1_30default_config_static_selectorELNS0_4arch9wavefront6targetE0EEEvT1_.has_recursion, 0
	.set _ZN7rocprim17ROCPRIM_400000_NS6detail17trampoline_kernelINS0_14default_configENS1_25transform_config_selectorIhLb1EEEZNS1_14transform_implILb1ES3_S5_PhS7_NS0_8identityIhEEEE10hipError_tT2_T3_mT4_P12ihipStream_tbEUlT_E_NS1_11comp_targetILNS1_3genE2ELNS1_11target_archE906ELNS1_3gpuE6ELNS1_3repE0EEENS1_30default_config_static_selectorELNS0_4arch9wavefront6targetE0EEEvT1_.has_indirect_call, 0
	.section	.AMDGPU.csdata,"",@progbits
; Kernel info:
; codeLenInByte = 0
; TotalNumSgprs: 0
; NumVgprs: 0
; ScratchSize: 0
; MemoryBound: 0
; FloatMode: 240
; IeeeMode: 1
; LDSByteSize: 0 bytes/workgroup (compile time only)
; SGPRBlocks: 0
; VGPRBlocks: 0
; NumSGPRsForWavesPerEU: 1
; NumVGPRsForWavesPerEU: 1
; NamedBarCnt: 0
; Occupancy: 16
; WaveLimiterHint : 0
; COMPUTE_PGM_RSRC2:SCRATCH_EN: 0
; COMPUTE_PGM_RSRC2:USER_SGPR: 2
; COMPUTE_PGM_RSRC2:TRAP_HANDLER: 0
; COMPUTE_PGM_RSRC2:TGID_X_EN: 1
; COMPUTE_PGM_RSRC2:TGID_Y_EN: 0
; COMPUTE_PGM_RSRC2:TGID_Z_EN: 0
; COMPUTE_PGM_RSRC2:TIDIG_COMP_CNT: 0
	.section	.text._ZN7rocprim17ROCPRIM_400000_NS6detail17trampoline_kernelINS0_14default_configENS1_25transform_config_selectorIhLb1EEEZNS1_14transform_implILb1ES3_S5_PhS7_NS0_8identityIhEEEE10hipError_tT2_T3_mT4_P12ihipStream_tbEUlT_E_NS1_11comp_targetILNS1_3genE9ELNS1_11target_archE1100ELNS1_3gpuE3ELNS1_3repE0EEENS1_30default_config_static_selectorELNS0_4arch9wavefront6targetE0EEEvT1_,"axG",@progbits,_ZN7rocprim17ROCPRIM_400000_NS6detail17trampoline_kernelINS0_14default_configENS1_25transform_config_selectorIhLb1EEEZNS1_14transform_implILb1ES3_S5_PhS7_NS0_8identityIhEEEE10hipError_tT2_T3_mT4_P12ihipStream_tbEUlT_E_NS1_11comp_targetILNS1_3genE9ELNS1_11target_archE1100ELNS1_3gpuE3ELNS1_3repE0EEENS1_30default_config_static_selectorELNS0_4arch9wavefront6targetE0EEEvT1_,comdat
	.protected	_ZN7rocprim17ROCPRIM_400000_NS6detail17trampoline_kernelINS0_14default_configENS1_25transform_config_selectorIhLb1EEEZNS1_14transform_implILb1ES3_S5_PhS7_NS0_8identityIhEEEE10hipError_tT2_T3_mT4_P12ihipStream_tbEUlT_E_NS1_11comp_targetILNS1_3genE9ELNS1_11target_archE1100ELNS1_3gpuE3ELNS1_3repE0EEENS1_30default_config_static_selectorELNS0_4arch9wavefront6targetE0EEEvT1_ ; -- Begin function _ZN7rocprim17ROCPRIM_400000_NS6detail17trampoline_kernelINS0_14default_configENS1_25transform_config_selectorIhLb1EEEZNS1_14transform_implILb1ES3_S5_PhS7_NS0_8identityIhEEEE10hipError_tT2_T3_mT4_P12ihipStream_tbEUlT_E_NS1_11comp_targetILNS1_3genE9ELNS1_11target_archE1100ELNS1_3gpuE3ELNS1_3repE0EEENS1_30default_config_static_selectorELNS0_4arch9wavefront6targetE0EEEvT1_
	.globl	_ZN7rocprim17ROCPRIM_400000_NS6detail17trampoline_kernelINS0_14default_configENS1_25transform_config_selectorIhLb1EEEZNS1_14transform_implILb1ES3_S5_PhS7_NS0_8identityIhEEEE10hipError_tT2_T3_mT4_P12ihipStream_tbEUlT_E_NS1_11comp_targetILNS1_3genE9ELNS1_11target_archE1100ELNS1_3gpuE3ELNS1_3repE0EEENS1_30default_config_static_selectorELNS0_4arch9wavefront6targetE0EEEvT1_
	.p2align	8
	.type	_ZN7rocprim17ROCPRIM_400000_NS6detail17trampoline_kernelINS0_14default_configENS1_25transform_config_selectorIhLb1EEEZNS1_14transform_implILb1ES3_S5_PhS7_NS0_8identityIhEEEE10hipError_tT2_T3_mT4_P12ihipStream_tbEUlT_E_NS1_11comp_targetILNS1_3genE9ELNS1_11target_archE1100ELNS1_3gpuE3ELNS1_3repE0EEENS1_30default_config_static_selectorELNS0_4arch9wavefront6targetE0EEEvT1_,@function
_ZN7rocprim17ROCPRIM_400000_NS6detail17trampoline_kernelINS0_14default_configENS1_25transform_config_selectorIhLb1EEEZNS1_14transform_implILb1ES3_S5_PhS7_NS0_8identityIhEEEE10hipError_tT2_T3_mT4_P12ihipStream_tbEUlT_E_NS1_11comp_targetILNS1_3genE9ELNS1_11target_archE1100ELNS1_3gpuE3ELNS1_3repE0EEENS1_30default_config_static_selectorELNS0_4arch9wavefront6targetE0EEEvT1_: ; @_ZN7rocprim17ROCPRIM_400000_NS6detail17trampoline_kernelINS0_14default_configENS1_25transform_config_selectorIhLb1EEEZNS1_14transform_implILb1ES3_S5_PhS7_NS0_8identityIhEEEE10hipError_tT2_T3_mT4_P12ihipStream_tbEUlT_E_NS1_11comp_targetILNS1_3genE9ELNS1_11target_archE1100ELNS1_3gpuE3ELNS1_3repE0EEENS1_30default_config_static_selectorELNS0_4arch9wavefront6targetE0EEEvT1_
; %bb.0:
	.section	.rodata,"a",@progbits
	.p2align	6, 0x0
	.amdhsa_kernel _ZN7rocprim17ROCPRIM_400000_NS6detail17trampoline_kernelINS0_14default_configENS1_25transform_config_selectorIhLb1EEEZNS1_14transform_implILb1ES3_S5_PhS7_NS0_8identityIhEEEE10hipError_tT2_T3_mT4_P12ihipStream_tbEUlT_E_NS1_11comp_targetILNS1_3genE9ELNS1_11target_archE1100ELNS1_3gpuE3ELNS1_3repE0EEENS1_30default_config_static_selectorELNS0_4arch9wavefront6targetE0EEEvT1_
		.amdhsa_group_segment_fixed_size 0
		.amdhsa_private_segment_fixed_size 0
		.amdhsa_kernarg_size 40
		.amdhsa_user_sgpr_count 2
		.amdhsa_user_sgpr_dispatch_ptr 0
		.amdhsa_user_sgpr_queue_ptr 0
		.amdhsa_user_sgpr_kernarg_segment_ptr 1
		.amdhsa_user_sgpr_dispatch_id 0
		.amdhsa_user_sgpr_kernarg_preload_length 0
		.amdhsa_user_sgpr_kernarg_preload_offset 0
		.amdhsa_user_sgpr_private_segment_size 0
		.amdhsa_wavefront_size32 1
		.amdhsa_uses_dynamic_stack 0
		.amdhsa_enable_private_segment 0
		.amdhsa_system_sgpr_workgroup_id_x 1
		.amdhsa_system_sgpr_workgroup_id_y 0
		.amdhsa_system_sgpr_workgroup_id_z 0
		.amdhsa_system_sgpr_workgroup_info 0
		.amdhsa_system_vgpr_workitem_id 0
		.amdhsa_next_free_vgpr 1
		.amdhsa_next_free_sgpr 1
		.amdhsa_named_barrier_count 0
		.amdhsa_reserve_vcc 0
		.amdhsa_float_round_mode_32 0
		.amdhsa_float_round_mode_16_64 0
		.amdhsa_float_denorm_mode_32 3
		.amdhsa_float_denorm_mode_16_64 3
		.amdhsa_fp16_overflow 0
		.amdhsa_memory_ordered 1
		.amdhsa_forward_progress 1
		.amdhsa_inst_pref_size 0
		.amdhsa_round_robin_scheduling 0
		.amdhsa_exception_fp_ieee_invalid_op 0
		.amdhsa_exception_fp_denorm_src 0
		.amdhsa_exception_fp_ieee_div_zero 0
		.amdhsa_exception_fp_ieee_overflow 0
		.amdhsa_exception_fp_ieee_underflow 0
		.amdhsa_exception_fp_ieee_inexact 0
		.amdhsa_exception_int_div_zero 0
	.end_amdhsa_kernel
	.section	.text._ZN7rocprim17ROCPRIM_400000_NS6detail17trampoline_kernelINS0_14default_configENS1_25transform_config_selectorIhLb1EEEZNS1_14transform_implILb1ES3_S5_PhS7_NS0_8identityIhEEEE10hipError_tT2_T3_mT4_P12ihipStream_tbEUlT_E_NS1_11comp_targetILNS1_3genE9ELNS1_11target_archE1100ELNS1_3gpuE3ELNS1_3repE0EEENS1_30default_config_static_selectorELNS0_4arch9wavefront6targetE0EEEvT1_,"axG",@progbits,_ZN7rocprim17ROCPRIM_400000_NS6detail17trampoline_kernelINS0_14default_configENS1_25transform_config_selectorIhLb1EEEZNS1_14transform_implILb1ES3_S5_PhS7_NS0_8identityIhEEEE10hipError_tT2_T3_mT4_P12ihipStream_tbEUlT_E_NS1_11comp_targetILNS1_3genE9ELNS1_11target_archE1100ELNS1_3gpuE3ELNS1_3repE0EEENS1_30default_config_static_selectorELNS0_4arch9wavefront6targetE0EEEvT1_,comdat
.Lfunc_end48:
	.size	_ZN7rocprim17ROCPRIM_400000_NS6detail17trampoline_kernelINS0_14default_configENS1_25transform_config_selectorIhLb1EEEZNS1_14transform_implILb1ES3_S5_PhS7_NS0_8identityIhEEEE10hipError_tT2_T3_mT4_P12ihipStream_tbEUlT_E_NS1_11comp_targetILNS1_3genE9ELNS1_11target_archE1100ELNS1_3gpuE3ELNS1_3repE0EEENS1_30default_config_static_selectorELNS0_4arch9wavefront6targetE0EEEvT1_, .Lfunc_end48-_ZN7rocprim17ROCPRIM_400000_NS6detail17trampoline_kernelINS0_14default_configENS1_25transform_config_selectorIhLb1EEEZNS1_14transform_implILb1ES3_S5_PhS7_NS0_8identityIhEEEE10hipError_tT2_T3_mT4_P12ihipStream_tbEUlT_E_NS1_11comp_targetILNS1_3genE9ELNS1_11target_archE1100ELNS1_3gpuE3ELNS1_3repE0EEENS1_30default_config_static_selectorELNS0_4arch9wavefront6targetE0EEEvT1_
                                        ; -- End function
	.set _ZN7rocprim17ROCPRIM_400000_NS6detail17trampoline_kernelINS0_14default_configENS1_25transform_config_selectorIhLb1EEEZNS1_14transform_implILb1ES3_S5_PhS7_NS0_8identityIhEEEE10hipError_tT2_T3_mT4_P12ihipStream_tbEUlT_E_NS1_11comp_targetILNS1_3genE9ELNS1_11target_archE1100ELNS1_3gpuE3ELNS1_3repE0EEENS1_30default_config_static_selectorELNS0_4arch9wavefront6targetE0EEEvT1_.num_vgpr, 0
	.set _ZN7rocprim17ROCPRIM_400000_NS6detail17trampoline_kernelINS0_14default_configENS1_25transform_config_selectorIhLb1EEEZNS1_14transform_implILb1ES3_S5_PhS7_NS0_8identityIhEEEE10hipError_tT2_T3_mT4_P12ihipStream_tbEUlT_E_NS1_11comp_targetILNS1_3genE9ELNS1_11target_archE1100ELNS1_3gpuE3ELNS1_3repE0EEENS1_30default_config_static_selectorELNS0_4arch9wavefront6targetE0EEEvT1_.num_agpr, 0
	.set _ZN7rocprim17ROCPRIM_400000_NS6detail17trampoline_kernelINS0_14default_configENS1_25transform_config_selectorIhLb1EEEZNS1_14transform_implILb1ES3_S5_PhS7_NS0_8identityIhEEEE10hipError_tT2_T3_mT4_P12ihipStream_tbEUlT_E_NS1_11comp_targetILNS1_3genE9ELNS1_11target_archE1100ELNS1_3gpuE3ELNS1_3repE0EEENS1_30default_config_static_selectorELNS0_4arch9wavefront6targetE0EEEvT1_.numbered_sgpr, 0
	.set _ZN7rocprim17ROCPRIM_400000_NS6detail17trampoline_kernelINS0_14default_configENS1_25transform_config_selectorIhLb1EEEZNS1_14transform_implILb1ES3_S5_PhS7_NS0_8identityIhEEEE10hipError_tT2_T3_mT4_P12ihipStream_tbEUlT_E_NS1_11comp_targetILNS1_3genE9ELNS1_11target_archE1100ELNS1_3gpuE3ELNS1_3repE0EEENS1_30default_config_static_selectorELNS0_4arch9wavefront6targetE0EEEvT1_.num_named_barrier, 0
	.set _ZN7rocprim17ROCPRIM_400000_NS6detail17trampoline_kernelINS0_14default_configENS1_25transform_config_selectorIhLb1EEEZNS1_14transform_implILb1ES3_S5_PhS7_NS0_8identityIhEEEE10hipError_tT2_T3_mT4_P12ihipStream_tbEUlT_E_NS1_11comp_targetILNS1_3genE9ELNS1_11target_archE1100ELNS1_3gpuE3ELNS1_3repE0EEENS1_30default_config_static_selectorELNS0_4arch9wavefront6targetE0EEEvT1_.private_seg_size, 0
	.set _ZN7rocprim17ROCPRIM_400000_NS6detail17trampoline_kernelINS0_14default_configENS1_25transform_config_selectorIhLb1EEEZNS1_14transform_implILb1ES3_S5_PhS7_NS0_8identityIhEEEE10hipError_tT2_T3_mT4_P12ihipStream_tbEUlT_E_NS1_11comp_targetILNS1_3genE9ELNS1_11target_archE1100ELNS1_3gpuE3ELNS1_3repE0EEENS1_30default_config_static_selectorELNS0_4arch9wavefront6targetE0EEEvT1_.uses_vcc, 0
	.set _ZN7rocprim17ROCPRIM_400000_NS6detail17trampoline_kernelINS0_14default_configENS1_25transform_config_selectorIhLb1EEEZNS1_14transform_implILb1ES3_S5_PhS7_NS0_8identityIhEEEE10hipError_tT2_T3_mT4_P12ihipStream_tbEUlT_E_NS1_11comp_targetILNS1_3genE9ELNS1_11target_archE1100ELNS1_3gpuE3ELNS1_3repE0EEENS1_30default_config_static_selectorELNS0_4arch9wavefront6targetE0EEEvT1_.uses_flat_scratch, 0
	.set _ZN7rocprim17ROCPRIM_400000_NS6detail17trampoline_kernelINS0_14default_configENS1_25transform_config_selectorIhLb1EEEZNS1_14transform_implILb1ES3_S5_PhS7_NS0_8identityIhEEEE10hipError_tT2_T3_mT4_P12ihipStream_tbEUlT_E_NS1_11comp_targetILNS1_3genE9ELNS1_11target_archE1100ELNS1_3gpuE3ELNS1_3repE0EEENS1_30default_config_static_selectorELNS0_4arch9wavefront6targetE0EEEvT1_.has_dyn_sized_stack, 0
	.set _ZN7rocprim17ROCPRIM_400000_NS6detail17trampoline_kernelINS0_14default_configENS1_25transform_config_selectorIhLb1EEEZNS1_14transform_implILb1ES3_S5_PhS7_NS0_8identityIhEEEE10hipError_tT2_T3_mT4_P12ihipStream_tbEUlT_E_NS1_11comp_targetILNS1_3genE9ELNS1_11target_archE1100ELNS1_3gpuE3ELNS1_3repE0EEENS1_30default_config_static_selectorELNS0_4arch9wavefront6targetE0EEEvT1_.has_recursion, 0
	.set _ZN7rocprim17ROCPRIM_400000_NS6detail17trampoline_kernelINS0_14default_configENS1_25transform_config_selectorIhLb1EEEZNS1_14transform_implILb1ES3_S5_PhS7_NS0_8identityIhEEEE10hipError_tT2_T3_mT4_P12ihipStream_tbEUlT_E_NS1_11comp_targetILNS1_3genE9ELNS1_11target_archE1100ELNS1_3gpuE3ELNS1_3repE0EEENS1_30default_config_static_selectorELNS0_4arch9wavefront6targetE0EEEvT1_.has_indirect_call, 0
	.section	.AMDGPU.csdata,"",@progbits
; Kernel info:
; codeLenInByte = 0
; TotalNumSgprs: 0
; NumVgprs: 0
; ScratchSize: 0
; MemoryBound: 0
; FloatMode: 240
; IeeeMode: 1
; LDSByteSize: 0 bytes/workgroup (compile time only)
; SGPRBlocks: 0
; VGPRBlocks: 0
; NumSGPRsForWavesPerEU: 1
; NumVGPRsForWavesPerEU: 1
; NamedBarCnt: 0
; Occupancy: 16
; WaveLimiterHint : 0
; COMPUTE_PGM_RSRC2:SCRATCH_EN: 0
; COMPUTE_PGM_RSRC2:USER_SGPR: 2
; COMPUTE_PGM_RSRC2:TRAP_HANDLER: 0
; COMPUTE_PGM_RSRC2:TGID_X_EN: 1
; COMPUTE_PGM_RSRC2:TGID_Y_EN: 0
; COMPUTE_PGM_RSRC2:TGID_Z_EN: 0
; COMPUTE_PGM_RSRC2:TIDIG_COMP_CNT: 0
	.section	.text._ZN7rocprim17ROCPRIM_400000_NS6detail17trampoline_kernelINS0_14default_configENS1_25transform_config_selectorIhLb1EEEZNS1_14transform_implILb1ES3_S5_PhS7_NS0_8identityIhEEEE10hipError_tT2_T3_mT4_P12ihipStream_tbEUlT_E_NS1_11comp_targetILNS1_3genE8ELNS1_11target_archE1030ELNS1_3gpuE2ELNS1_3repE0EEENS1_30default_config_static_selectorELNS0_4arch9wavefront6targetE0EEEvT1_,"axG",@progbits,_ZN7rocprim17ROCPRIM_400000_NS6detail17trampoline_kernelINS0_14default_configENS1_25transform_config_selectorIhLb1EEEZNS1_14transform_implILb1ES3_S5_PhS7_NS0_8identityIhEEEE10hipError_tT2_T3_mT4_P12ihipStream_tbEUlT_E_NS1_11comp_targetILNS1_3genE8ELNS1_11target_archE1030ELNS1_3gpuE2ELNS1_3repE0EEENS1_30default_config_static_selectorELNS0_4arch9wavefront6targetE0EEEvT1_,comdat
	.protected	_ZN7rocprim17ROCPRIM_400000_NS6detail17trampoline_kernelINS0_14default_configENS1_25transform_config_selectorIhLb1EEEZNS1_14transform_implILb1ES3_S5_PhS7_NS0_8identityIhEEEE10hipError_tT2_T3_mT4_P12ihipStream_tbEUlT_E_NS1_11comp_targetILNS1_3genE8ELNS1_11target_archE1030ELNS1_3gpuE2ELNS1_3repE0EEENS1_30default_config_static_selectorELNS0_4arch9wavefront6targetE0EEEvT1_ ; -- Begin function _ZN7rocprim17ROCPRIM_400000_NS6detail17trampoline_kernelINS0_14default_configENS1_25transform_config_selectorIhLb1EEEZNS1_14transform_implILb1ES3_S5_PhS7_NS0_8identityIhEEEE10hipError_tT2_T3_mT4_P12ihipStream_tbEUlT_E_NS1_11comp_targetILNS1_3genE8ELNS1_11target_archE1030ELNS1_3gpuE2ELNS1_3repE0EEENS1_30default_config_static_selectorELNS0_4arch9wavefront6targetE0EEEvT1_
	.globl	_ZN7rocprim17ROCPRIM_400000_NS6detail17trampoline_kernelINS0_14default_configENS1_25transform_config_selectorIhLb1EEEZNS1_14transform_implILb1ES3_S5_PhS7_NS0_8identityIhEEEE10hipError_tT2_T3_mT4_P12ihipStream_tbEUlT_E_NS1_11comp_targetILNS1_3genE8ELNS1_11target_archE1030ELNS1_3gpuE2ELNS1_3repE0EEENS1_30default_config_static_selectorELNS0_4arch9wavefront6targetE0EEEvT1_
	.p2align	8
	.type	_ZN7rocprim17ROCPRIM_400000_NS6detail17trampoline_kernelINS0_14default_configENS1_25transform_config_selectorIhLb1EEEZNS1_14transform_implILb1ES3_S5_PhS7_NS0_8identityIhEEEE10hipError_tT2_T3_mT4_P12ihipStream_tbEUlT_E_NS1_11comp_targetILNS1_3genE8ELNS1_11target_archE1030ELNS1_3gpuE2ELNS1_3repE0EEENS1_30default_config_static_selectorELNS0_4arch9wavefront6targetE0EEEvT1_,@function
_ZN7rocprim17ROCPRIM_400000_NS6detail17trampoline_kernelINS0_14default_configENS1_25transform_config_selectorIhLb1EEEZNS1_14transform_implILb1ES3_S5_PhS7_NS0_8identityIhEEEE10hipError_tT2_T3_mT4_P12ihipStream_tbEUlT_E_NS1_11comp_targetILNS1_3genE8ELNS1_11target_archE1030ELNS1_3gpuE2ELNS1_3repE0EEENS1_30default_config_static_selectorELNS0_4arch9wavefront6targetE0EEEvT1_: ; @_ZN7rocprim17ROCPRIM_400000_NS6detail17trampoline_kernelINS0_14default_configENS1_25transform_config_selectorIhLb1EEEZNS1_14transform_implILb1ES3_S5_PhS7_NS0_8identityIhEEEE10hipError_tT2_T3_mT4_P12ihipStream_tbEUlT_E_NS1_11comp_targetILNS1_3genE8ELNS1_11target_archE1030ELNS1_3gpuE2ELNS1_3repE0EEENS1_30default_config_static_selectorELNS0_4arch9wavefront6targetE0EEEvT1_
; %bb.0:
	.section	.rodata,"a",@progbits
	.p2align	6, 0x0
	.amdhsa_kernel _ZN7rocprim17ROCPRIM_400000_NS6detail17trampoline_kernelINS0_14default_configENS1_25transform_config_selectorIhLb1EEEZNS1_14transform_implILb1ES3_S5_PhS7_NS0_8identityIhEEEE10hipError_tT2_T3_mT4_P12ihipStream_tbEUlT_E_NS1_11comp_targetILNS1_3genE8ELNS1_11target_archE1030ELNS1_3gpuE2ELNS1_3repE0EEENS1_30default_config_static_selectorELNS0_4arch9wavefront6targetE0EEEvT1_
		.amdhsa_group_segment_fixed_size 0
		.amdhsa_private_segment_fixed_size 0
		.amdhsa_kernarg_size 40
		.amdhsa_user_sgpr_count 2
		.amdhsa_user_sgpr_dispatch_ptr 0
		.amdhsa_user_sgpr_queue_ptr 0
		.amdhsa_user_sgpr_kernarg_segment_ptr 1
		.amdhsa_user_sgpr_dispatch_id 0
		.amdhsa_user_sgpr_kernarg_preload_length 0
		.amdhsa_user_sgpr_kernarg_preload_offset 0
		.amdhsa_user_sgpr_private_segment_size 0
		.amdhsa_wavefront_size32 1
		.amdhsa_uses_dynamic_stack 0
		.amdhsa_enable_private_segment 0
		.amdhsa_system_sgpr_workgroup_id_x 1
		.amdhsa_system_sgpr_workgroup_id_y 0
		.amdhsa_system_sgpr_workgroup_id_z 0
		.amdhsa_system_sgpr_workgroup_info 0
		.amdhsa_system_vgpr_workitem_id 0
		.amdhsa_next_free_vgpr 1
		.amdhsa_next_free_sgpr 1
		.amdhsa_named_barrier_count 0
		.amdhsa_reserve_vcc 0
		.amdhsa_float_round_mode_32 0
		.amdhsa_float_round_mode_16_64 0
		.amdhsa_float_denorm_mode_32 3
		.amdhsa_float_denorm_mode_16_64 3
		.amdhsa_fp16_overflow 0
		.amdhsa_memory_ordered 1
		.amdhsa_forward_progress 1
		.amdhsa_inst_pref_size 0
		.amdhsa_round_robin_scheduling 0
		.amdhsa_exception_fp_ieee_invalid_op 0
		.amdhsa_exception_fp_denorm_src 0
		.amdhsa_exception_fp_ieee_div_zero 0
		.amdhsa_exception_fp_ieee_overflow 0
		.amdhsa_exception_fp_ieee_underflow 0
		.amdhsa_exception_fp_ieee_inexact 0
		.amdhsa_exception_int_div_zero 0
	.end_amdhsa_kernel
	.section	.text._ZN7rocprim17ROCPRIM_400000_NS6detail17trampoline_kernelINS0_14default_configENS1_25transform_config_selectorIhLb1EEEZNS1_14transform_implILb1ES3_S5_PhS7_NS0_8identityIhEEEE10hipError_tT2_T3_mT4_P12ihipStream_tbEUlT_E_NS1_11comp_targetILNS1_3genE8ELNS1_11target_archE1030ELNS1_3gpuE2ELNS1_3repE0EEENS1_30default_config_static_selectorELNS0_4arch9wavefront6targetE0EEEvT1_,"axG",@progbits,_ZN7rocprim17ROCPRIM_400000_NS6detail17trampoline_kernelINS0_14default_configENS1_25transform_config_selectorIhLb1EEEZNS1_14transform_implILb1ES3_S5_PhS7_NS0_8identityIhEEEE10hipError_tT2_T3_mT4_P12ihipStream_tbEUlT_E_NS1_11comp_targetILNS1_3genE8ELNS1_11target_archE1030ELNS1_3gpuE2ELNS1_3repE0EEENS1_30default_config_static_selectorELNS0_4arch9wavefront6targetE0EEEvT1_,comdat
.Lfunc_end49:
	.size	_ZN7rocprim17ROCPRIM_400000_NS6detail17trampoline_kernelINS0_14default_configENS1_25transform_config_selectorIhLb1EEEZNS1_14transform_implILb1ES3_S5_PhS7_NS0_8identityIhEEEE10hipError_tT2_T3_mT4_P12ihipStream_tbEUlT_E_NS1_11comp_targetILNS1_3genE8ELNS1_11target_archE1030ELNS1_3gpuE2ELNS1_3repE0EEENS1_30default_config_static_selectorELNS0_4arch9wavefront6targetE0EEEvT1_, .Lfunc_end49-_ZN7rocprim17ROCPRIM_400000_NS6detail17trampoline_kernelINS0_14default_configENS1_25transform_config_selectorIhLb1EEEZNS1_14transform_implILb1ES3_S5_PhS7_NS0_8identityIhEEEE10hipError_tT2_T3_mT4_P12ihipStream_tbEUlT_E_NS1_11comp_targetILNS1_3genE8ELNS1_11target_archE1030ELNS1_3gpuE2ELNS1_3repE0EEENS1_30default_config_static_selectorELNS0_4arch9wavefront6targetE0EEEvT1_
                                        ; -- End function
	.set _ZN7rocprim17ROCPRIM_400000_NS6detail17trampoline_kernelINS0_14default_configENS1_25transform_config_selectorIhLb1EEEZNS1_14transform_implILb1ES3_S5_PhS7_NS0_8identityIhEEEE10hipError_tT2_T3_mT4_P12ihipStream_tbEUlT_E_NS1_11comp_targetILNS1_3genE8ELNS1_11target_archE1030ELNS1_3gpuE2ELNS1_3repE0EEENS1_30default_config_static_selectorELNS0_4arch9wavefront6targetE0EEEvT1_.num_vgpr, 0
	.set _ZN7rocprim17ROCPRIM_400000_NS6detail17trampoline_kernelINS0_14default_configENS1_25transform_config_selectorIhLb1EEEZNS1_14transform_implILb1ES3_S5_PhS7_NS0_8identityIhEEEE10hipError_tT2_T3_mT4_P12ihipStream_tbEUlT_E_NS1_11comp_targetILNS1_3genE8ELNS1_11target_archE1030ELNS1_3gpuE2ELNS1_3repE0EEENS1_30default_config_static_selectorELNS0_4arch9wavefront6targetE0EEEvT1_.num_agpr, 0
	.set _ZN7rocprim17ROCPRIM_400000_NS6detail17trampoline_kernelINS0_14default_configENS1_25transform_config_selectorIhLb1EEEZNS1_14transform_implILb1ES3_S5_PhS7_NS0_8identityIhEEEE10hipError_tT2_T3_mT4_P12ihipStream_tbEUlT_E_NS1_11comp_targetILNS1_3genE8ELNS1_11target_archE1030ELNS1_3gpuE2ELNS1_3repE0EEENS1_30default_config_static_selectorELNS0_4arch9wavefront6targetE0EEEvT1_.numbered_sgpr, 0
	.set _ZN7rocprim17ROCPRIM_400000_NS6detail17trampoline_kernelINS0_14default_configENS1_25transform_config_selectorIhLb1EEEZNS1_14transform_implILb1ES3_S5_PhS7_NS0_8identityIhEEEE10hipError_tT2_T3_mT4_P12ihipStream_tbEUlT_E_NS1_11comp_targetILNS1_3genE8ELNS1_11target_archE1030ELNS1_3gpuE2ELNS1_3repE0EEENS1_30default_config_static_selectorELNS0_4arch9wavefront6targetE0EEEvT1_.num_named_barrier, 0
	.set _ZN7rocprim17ROCPRIM_400000_NS6detail17trampoline_kernelINS0_14default_configENS1_25transform_config_selectorIhLb1EEEZNS1_14transform_implILb1ES3_S5_PhS7_NS0_8identityIhEEEE10hipError_tT2_T3_mT4_P12ihipStream_tbEUlT_E_NS1_11comp_targetILNS1_3genE8ELNS1_11target_archE1030ELNS1_3gpuE2ELNS1_3repE0EEENS1_30default_config_static_selectorELNS0_4arch9wavefront6targetE0EEEvT1_.private_seg_size, 0
	.set _ZN7rocprim17ROCPRIM_400000_NS6detail17trampoline_kernelINS0_14default_configENS1_25transform_config_selectorIhLb1EEEZNS1_14transform_implILb1ES3_S5_PhS7_NS0_8identityIhEEEE10hipError_tT2_T3_mT4_P12ihipStream_tbEUlT_E_NS1_11comp_targetILNS1_3genE8ELNS1_11target_archE1030ELNS1_3gpuE2ELNS1_3repE0EEENS1_30default_config_static_selectorELNS0_4arch9wavefront6targetE0EEEvT1_.uses_vcc, 0
	.set _ZN7rocprim17ROCPRIM_400000_NS6detail17trampoline_kernelINS0_14default_configENS1_25transform_config_selectorIhLb1EEEZNS1_14transform_implILb1ES3_S5_PhS7_NS0_8identityIhEEEE10hipError_tT2_T3_mT4_P12ihipStream_tbEUlT_E_NS1_11comp_targetILNS1_3genE8ELNS1_11target_archE1030ELNS1_3gpuE2ELNS1_3repE0EEENS1_30default_config_static_selectorELNS0_4arch9wavefront6targetE0EEEvT1_.uses_flat_scratch, 0
	.set _ZN7rocprim17ROCPRIM_400000_NS6detail17trampoline_kernelINS0_14default_configENS1_25transform_config_selectorIhLb1EEEZNS1_14transform_implILb1ES3_S5_PhS7_NS0_8identityIhEEEE10hipError_tT2_T3_mT4_P12ihipStream_tbEUlT_E_NS1_11comp_targetILNS1_3genE8ELNS1_11target_archE1030ELNS1_3gpuE2ELNS1_3repE0EEENS1_30default_config_static_selectorELNS0_4arch9wavefront6targetE0EEEvT1_.has_dyn_sized_stack, 0
	.set _ZN7rocprim17ROCPRIM_400000_NS6detail17trampoline_kernelINS0_14default_configENS1_25transform_config_selectorIhLb1EEEZNS1_14transform_implILb1ES3_S5_PhS7_NS0_8identityIhEEEE10hipError_tT2_T3_mT4_P12ihipStream_tbEUlT_E_NS1_11comp_targetILNS1_3genE8ELNS1_11target_archE1030ELNS1_3gpuE2ELNS1_3repE0EEENS1_30default_config_static_selectorELNS0_4arch9wavefront6targetE0EEEvT1_.has_recursion, 0
	.set _ZN7rocprim17ROCPRIM_400000_NS6detail17trampoline_kernelINS0_14default_configENS1_25transform_config_selectorIhLb1EEEZNS1_14transform_implILb1ES3_S5_PhS7_NS0_8identityIhEEEE10hipError_tT2_T3_mT4_P12ihipStream_tbEUlT_E_NS1_11comp_targetILNS1_3genE8ELNS1_11target_archE1030ELNS1_3gpuE2ELNS1_3repE0EEENS1_30default_config_static_selectorELNS0_4arch9wavefront6targetE0EEEvT1_.has_indirect_call, 0
	.section	.AMDGPU.csdata,"",@progbits
; Kernel info:
; codeLenInByte = 0
; TotalNumSgprs: 0
; NumVgprs: 0
; ScratchSize: 0
; MemoryBound: 0
; FloatMode: 240
; IeeeMode: 1
; LDSByteSize: 0 bytes/workgroup (compile time only)
; SGPRBlocks: 0
; VGPRBlocks: 0
; NumSGPRsForWavesPerEU: 1
; NumVGPRsForWavesPerEU: 1
; NamedBarCnt: 0
; Occupancy: 16
; WaveLimiterHint : 0
; COMPUTE_PGM_RSRC2:SCRATCH_EN: 0
; COMPUTE_PGM_RSRC2:USER_SGPR: 2
; COMPUTE_PGM_RSRC2:TRAP_HANDLER: 0
; COMPUTE_PGM_RSRC2:TGID_X_EN: 1
; COMPUTE_PGM_RSRC2:TGID_Y_EN: 0
; COMPUTE_PGM_RSRC2:TGID_Z_EN: 0
; COMPUTE_PGM_RSRC2:TIDIG_COMP_CNT: 0
	.section	.text._ZN7rocprim17ROCPRIM_400000_NS6detail17trampoline_kernelINS0_14default_configENS1_25transform_config_selectorINS0_10empty_typeELb1EEEZNS1_14transform_implILb1ES3_S6_PS5_S8_NS0_8identityIS5_EEEE10hipError_tT2_T3_mT4_P12ihipStream_tbEUlT_E_NS1_11comp_targetILNS1_3genE0ELNS1_11target_archE4294967295ELNS1_3gpuE0ELNS1_3repE0EEENS1_30default_config_static_selectorELNS0_4arch9wavefront6targetE0EEEvT1_,"axG",@progbits,_ZN7rocprim17ROCPRIM_400000_NS6detail17trampoline_kernelINS0_14default_configENS1_25transform_config_selectorINS0_10empty_typeELb1EEEZNS1_14transform_implILb1ES3_S6_PS5_S8_NS0_8identityIS5_EEEE10hipError_tT2_T3_mT4_P12ihipStream_tbEUlT_E_NS1_11comp_targetILNS1_3genE0ELNS1_11target_archE4294967295ELNS1_3gpuE0ELNS1_3repE0EEENS1_30default_config_static_selectorELNS0_4arch9wavefront6targetE0EEEvT1_,comdat
	.protected	_ZN7rocprim17ROCPRIM_400000_NS6detail17trampoline_kernelINS0_14default_configENS1_25transform_config_selectorINS0_10empty_typeELb1EEEZNS1_14transform_implILb1ES3_S6_PS5_S8_NS0_8identityIS5_EEEE10hipError_tT2_T3_mT4_P12ihipStream_tbEUlT_E_NS1_11comp_targetILNS1_3genE0ELNS1_11target_archE4294967295ELNS1_3gpuE0ELNS1_3repE0EEENS1_30default_config_static_selectorELNS0_4arch9wavefront6targetE0EEEvT1_ ; -- Begin function _ZN7rocprim17ROCPRIM_400000_NS6detail17trampoline_kernelINS0_14default_configENS1_25transform_config_selectorINS0_10empty_typeELb1EEEZNS1_14transform_implILb1ES3_S6_PS5_S8_NS0_8identityIS5_EEEE10hipError_tT2_T3_mT4_P12ihipStream_tbEUlT_E_NS1_11comp_targetILNS1_3genE0ELNS1_11target_archE4294967295ELNS1_3gpuE0ELNS1_3repE0EEENS1_30default_config_static_selectorELNS0_4arch9wavefront6targetE0EEEvT1_
	.globl	_ZN7rocprim17ROCPRIM_400000_NS6detail17trampoline_kernelINS0_14default_configENS1_25transform_config_selectorINS0_10empty_typeELb1EEEZNS1_14transform_implILb1ES3_S6_PS5_S8_NS0_8identityIS5_EEEE10hipError_tT2_T3_mT4_P12ihipStream_tbEUlT_E_NS1_11comp_targetILNS1_3genE0ELNS1_11target_archE4294967295ELNS1_3gpuE0ELNS1_3repE0EEENS1_30default_config_static_selectorELNS0_4arch9wavefront6targetE0EEEvT1_
	.p2align	8
	.type	_ZN7rocprim17ROCPRIM_400000_NS6detail17trampoline_kernelINS0_14default_configENS1_25transform_config_selectorINS0_10empty_typeELb1EEEZNS1_14transform_implILb1ES3_S6_PS5_S8_NS0_8identityIS5_EEEE10hipError_tT2_T3_mT4_P12ihipStream_tbEUlT_E_NS1_11comp_targetILNS1_3genE0ELNS1_11target_archE4294967295ELNS1_3gpuE0ELNS1_3repE0EEENS1_30default_config_static_selectorELNS0_4arch9wavefront6targetE0EEEvT1_,@function
_ZN7rocprim17ROCPRIM_400000_NS6detail17trampoline_kernelINS0_14default_configENS1_25transform_config_selectorINS0_10empty_typeELb1EEEZNS1_14transform_implILb1ES3_S6_PS5_S8_NS0_8identityIS5_EEEE10hipError_tT2_T3_mT4_P12ihipStream_tbEUlT_E_NS1_11comp_targetILNS1_3genE0ELNS1_11target_archE4294967295ELNS1_3gpuE0ELNS1_3repE0EEENS1_30default_config_static_selectorELNS0_4arch9wavefront6targetE0EEEvT1_: ; @_ZN7rocprim17ROCPRIM_400000_NS6detail17trampoline_kernelINS0_14default_configENS1_25transform_config_selectorINS0_10empty_typeELb1EEEZNS1_14transform_implILb1ES3_S6_PS5_S8_NS0_8identityIS5_EEEE10hipError_tT2_T3_mT4_P12ihipStream_tbEUlT_E_NS1_11comp_targetILNS1_3genE0ELNS1_11target_archE4294967295ELNS1_3gpuE0ELNS1_3repE0EEENS1_30default_config_static_selectorELNS0_4arch9wavefront6targetE0EEEvT1_
; %bb.0:
	s_endpgm
	.section	.rodata,"a",@progbits
	.p2align	6, 0x0
	.amdhsa_kernel _ZN7rocprim17ROCPRIM_400000_NS6detail17trampoline_kernelINS0_14default_configENS1_25transform_config_selectorINS0_10empty_typeELb1EEEZNS1_14transform_implILb1ES3_S6_PS5_S8_NS0_8identityIS5_EEEE10hipError_tT2_T3_mT4_P12ihipStream_tbEUlT_E_NS1_11comp_targetILNS1_3genE0ELNS1_11target_archE4294967295ELNS1_3gpuE0ELNS1_3repE0EEENS1_30default_config_static_selectorELNS0_4arch9wavefront6targetE0EEEvT1_
		.amdhsa_group_segment_fixed_size 0
		.amdhsa_private_segment_fixed_size 0
		.amdhsa_kernarg_size 40
		.amdhsa_user_sgpr_count 2
		.amdhsa_user_sgpr_dispatch_ptr 0
		.amdhsa_user_sgpr_queue_ptr 0
		.amdhsa_user_sgpr_kernarg_segment_ptr 1
		.amdhsa_user_sgpr_dispatch_id 0
		.amdhsa_user_sgpr_kernarg_preload_length 0
		.amdhsa_user_sgpr_kernarg_preload_offset 0
		.amdhsa_user_sgpr_private_segment_size 0
		.amdhsa_wavefront_size32 1
		.amdhsa_uses_dynamic_stack 0
		.amdhsa_enable_private_segment 0
		.amdhsa_system_sgpr_workgroup_id_x 1
		.amdhsa_system_sgpr_workgroup_id_y 0
		.amdhsa_system_sgpr_workgroup_id_z 0
		.amdhsa_system_sgpr_workgroup_info 0
		.amdhsa_system_vgpr_workitem_id 0
		.amdhsa_next_free_vgpr 1
		.amdhsa_next_free_sgpr 1
		.amdhsa_named_barrier_count 0
		.amdhsa_reserve_vcc 0
		.amdhsa_float_round_mode_32 0
		.amdhsa_float_round_mode_16_64 0
		.amdhsa_float_denorm_mode_32 3
		.amdhsa_float_denorm_mode_16_64 3
		.amdhsa_fp16_overflow 0
		.amdhsa_memory_ordered 1
		.amdhsa_forward_progress 1
		.amdhsa_inst_pref_size 1
		.amdhsa_round_robin_scheduling 0
		.amdhsa_exception_fp_ieee_invalid_op 0
		.amdhsa_exception_fp_denorm_src 0
		.amdhsa_exception_fp_ieee_div_zero 0
		.amdhsa_exception_fp_ieee_overflow 0
		.amdhsa_exception_fp_ieee_underflow 0
		.amdhsa_exception_fp_ieee_inexact 0
		.amdhsa_exception_int_div_zero 0
	.end_amdhsa_kernel
	.section	.text._ZN7rocprim17ROCPRIM_400000_NS6detail17trampoline_kernelINS0_14default_configENS1_25transform_config_selectorINS0_10empty_typeELb1EEEZNS1_14transform_implILb1ES3_S6_PS5_S8_NS0_8identityIS5_EEEE10hipError_tT2_T3_mT4_P12ihipStream_tbEUlT_E_NS1_11comp_targetILNS1_3genE0ELNS1_11target_archE4294967295ELNS1_3gpuE0ELNS1_3repE0EEENS1_30default_config_static_selectorELNS0_4arch9wavefront6targetE0EEEvT1_,"axG",@progbits,_ZN7rocprim17ROCPRIM_400000_NS6detail17trampoline_kernelINS0_14default_configENS1_25transform_config_selectorINS0_10empty_typeELb1EEEZNS1_14transform_implILb1ES3_S6_PS5_S8_NS0_8identityIS5_EEEE10hipError_tT2_T3_mT4_P12ihipStream_tbEUlT_E_NS1_11comp_targetILNS1_3genE0ELNS1_11target_archE4294967295ELNS1_3gpuE0ELNS1_3repE0EEENS1_30default_config_static_selectorELNS0_4arch9wavefront6targetE0EEEvT1_,comdat
.Lfunc_end50:
	.size	_ZN7rocprim17ROCPRIM_400000_NS6detail17trampoline_kernelINS0_14default_configENS1_25transform_config_selectorINS0_10empty_typeELb1EEEZNS1_14transform_implILb1ES3_S6_PS5_S8_NS0_8identityIS5_EEEE10hipError_tT2_T3_mT4_P12ihipStream_tbEUlT_E_NS1_11comp_targetILNS1_3genE0ELNS1_11target_archE4294967295ELNS1_3gpuE0ELNS1_3repE0EEENS1_30default_config_static_selectorELNS0_4arch9wavefront6targetE0EEEvT1_, .Lfunc_end50-_ZN7rocprim17ROCPRIM_400000_NS6detail17trampoline_kernelINS0_14default_configENS1_25transform_config_selectorINS0_10empty_typeELb1EEEZNS1_14transform_implILb1ES3_S6_PS5_S8_NS0_8identityIS5_EEEE10hipError_tT2_T3_mT4_P12ihipStream_tbEUlT_E_NS1_11comp_targetILNS1_3genE0ELNS1_11target_archE4294967295ELNS1_3gpuE0ELNS1_3repE0EEENS1_30default_config_static_selectorELNS0_4arch9wavefront6targetE0EEEvT1_
                                        ; -- End function
	.set _ZN7rocprim17ROCPRIM_400000_NS6detail17trampoline_kernelINS0_14default_configENS1_25transform_config_selectorINS0_10empty_typeELb1EEEZNS1_14transform_implILb1ES3_S6_PS5_S8_NS0_8identityIS5_EEEE10hipError_tT2_T3_mT4_P12ihipStream_tbEUlT_E_NS1_11comp_targetILNS1_3genE0ELNS1_11target_archE4294967295ELNS1_3gpuE0ELNS1_3repE0EEENS1_30default_config_static_selectorELNS0_4arch9wavefront6targetE0EEEvT1_.num_vgpr, 0
	.set _ZN7rocprim17ROCPRIM_400000_NS6detail17trampoline_kernelINS0_14default_configENS1_25transform_config_selectorINS0_10empty_typeELb1EEEZNS1_14transform_implILb1ES3_S6_PS5_S8_NS0_8identityIS5_EEEE10hipError_tT2_T3_mT4_P12ihipStream_tbEUlT_E_NS1_11comp_targetILNS1_3genE0ELNS1_11target_archE4294967295ELNS1_3gpuE0ELNS1_3repE0EEENS1_30default_config_static_selectorELNS0_4arch9wavefront6targetE0EEEvT1_.num_agpr, 0
	.set _ZN7rocprim17ROCPRIM_400000_NS6detail17trampoline_kernelINS0_14default_configENS1_25transform_config_selectorINS0_10empty_typeELb1EEEZNS1_14transform_implILb1ES3_S6_PS5_S8_NS0_8identityIS5_EEEE10hipError_tT2_T3_mT4_P12ihipStream_tbEUlT_E_NS1_11comp_targetILNS1_3genE0ELNS1_11target_archE4294967295ELNS1_3gpuE0ELNS1_3repE0EEENS1_30default_config_static_selectorELNS0_4arch9wavefront6targetE0EEEvT1_.numbered_sgpr, 0
	.set _ZN7rocprim17ROCPRIM_400000_NS6detail17trampoline_kernelINS0_14default_configENS1_25transform_config_selectorINS0_10empty_typeELb1EEEZNS1_14transform_implILb1ES3_S6_PS5_S8_NS0_8identityIS5_EEEE10hipError_tT2_T3_mT4_P12ihipStream_tbEUlT_E_NS1_11comp_targetILNS1_3genE0ELNS1_11target_archE4294967295ELNS1_3gpuE0ELNS1_3repE0EEENS1_30default_config_static_selectorELNS0_4arch9wavefront6targetE0EEEvT1_.num_named_barrier, 0
	.set _ZN7rocprim17ROCPRIM_400000_NS6detail17trampoline_kernelINS0_14default_configENS1_25transform_config_selectorINS0_10empty_typeELb1EEEZNS1_14transform_implILb1ES3_S6_PS5_S8_NS0_8identityIS5_EEEE10hipError_tT2_T3_mT4_P12ihipStream_tbEUlT_E_NS1_11comp_targetILNS1_3genE0ELNS1_11target_archE4294967295ELNS1_3gpuE0ELNS1_3repE0EEENS1_30default_config_static_selectorELNS0_4arch9wavefront6targetE0EEEvT1_.private_seg_size, 0
	.set _ZN7rocprim17ROCPRIM_400000_NS6detail17trampoline_kernelINS0_14default_configENS1_25transform_config_selectorINS0_10empty_typeELb1EEEZNS1_14transform_implILb1ES3_S6_PS5_S8_NS0_8identityIS5_EEEE10hipError_tT2_T3_mT4_P12ihipStream_tbEUlT_E_NS1_11comp_targetILNS1_3genE0ELNS1_11target_archE4294967295ELNS1_3gpuE0ELNS1_3repE0EEENS1_30default_config_static_selectorELNS0_4arch9wavefront6targetE0EEEvT1_.uses_vcc, 0
	.set _ZN7rocprim17ROCPRIM_400000_NS6detail17trampoline_kernelINS0_14default_configENS1_25transform_config_selectorINS0_10empty_typeELb1EEEZNS1_14transform_implILb1ES3_S6_PS5_S8_NS0_8identityIS5_EEEE10hipError_tT2_T3_mT4_P12ihipStream_tbEUlT_E_NS1_11comp_targetILNS1_3genE0ELNS1_11target_archE4294967295ELNS1_3gpuE0ELNS1_3repE0EEENS1_30default_config_static_selectorELNS0_4arch9wavefront6targetE0EEEvT1_.uses_flat_scratch, 0
	.set _ZN7rocprim17ROCPRIM_400000_NS6detail17trampoline_kernelINS0_14default_configENS1_25transform_config_selectorINS0_10empty_typeELb1EEEZNS1_14transform_implILb1ES3_S6_PS5_S8_NS0_8identityIS5_EEEE10hipError_tT2_T3_mT4_P12ihipStream_tbEUlT_E_NS1_11comp_targetILNS1_3genE0ELNS1_11target_archE4294967295ELNS1_3gpuE0ELNS1_3repE0EEENS1_30default_config_static_selectorELNS0_4arch9wavefront6targetE0EEEvT1_.has_dyn_sized_stack, 0
	.set _ZN7rocprim17ROCPRIM_400000_NS6detail17trampoline_kernelINS0_14default_configENS1_25transform_config_selectorINS0_10empty_typeELb1EEEZNS1_14transform_implILb1ES3_S6_PS5_S8_NS0_8identityIS5_EEEE10hipError_tT2_T3_mT4_P12ihipStream_tbEUlT_E_NS1_11comp_targetILNS1_3genE0ELNS1_11target_archE4294967295ELNS1_3gpuE0ELNS1_3repE0EEENS1_30default_config_static_selectorELNS0_4arch9wavefront6targetE0EEEvT1_.has_recursion, 0
	.set _ZN7rocprim17ROCPRIM_400000_NS6detail17trampoline_kernelINS0_14default_configENS1_25transform_config_selectorINS0_10empty_typeELb1EEEZNS1_14transform_implILb1ES3_S6_PS5_S8_NS0_8identityIS5_EEEE10hipError_tT2_T3_mT4_P12ihipStream_tbEUlT_E_NS1_11comp_targetILNS1_3genE0ELNS1_11target_archE4294967295ELNS1_3gpuE0ELNS1_3repE0EEENS1_30default_config_static_selectorELNS0_4arch9wavefront6targetE0EEEvT1_.has_indirect_call, 0
	.section	.AMDGPU.csdata,"",@progbits
; Kernel info:
; codeLenInByte = 4
; TotalNumSgprs: 0
; NumVgprs: 0
; ScratchSize: 0
; MemoryBound: 0
; FloatMode: 240
; IeeeMode: 1
; LDSByteSize: 0 bytes/workgroup (compile time only)
; SGPRBlocks: 0
; VGPRBlocks: 0
; NumSGPRsForWavesPerEU: 1
; NumVGPRsForWavesPerEU: 1
; NamedBarCnt: 0
; Occupancy: 16
; WaveLimiterHint : 0
; COMPUTE_PGM_RSRC2:SCRATCH_EN: 0
; COMPUTE_PGM_RSRC2:USER_SGPR: 2
; COMPUTE_PGM_RSRC2:TRAP_HANDLER: 0
; COMPUTE_PGM_RSRC2:TGID_X_EN: 1
; COMPUTE_PGM_RSRC2:TGID_Y_EN: 0
; COMPUTE_PGM_RSRC2:TGID_Z_EN: 0
; COMPUTE_PGM_RSRC2:TIDIG_COMP_CNT: 0
	.section	.text._ZN7rocprim17ROCPRIM_400000_NS6detail17trampoline_kernelINS0_14default_configENS1_25transform_config_selectorINS0_10empty_typeELb1EEEZNS1_14transform_implILb1ES3_S6_PS5_S8_NS0_8identityIS5_EEEE10hipError_tT2_T3_mT4_P12ihipStream_tbEUlT_E_NS1_11comp_targetILNS1_3genE10ELNS1_11target_archE1201ELNS1_3gpuE5ELNS1_3repE0EEENS1_30default_config_static_selectorELNS0_4arch9wavefront6targetE0EEEvT1_,"axG",@progbits,_ZN7rocprim17ROCPRIM_400000_NS6detail17trampoline_kernelINS0_14default_configENS1_25transform_config_selectorINS0_10empty_typeELb1EEEZNS1_14transform_implILb1ES3_S6_PS5_S8_NS0_8identityIS5_EEEE10hipError_tT2_T3_mT4_P12ihipStream_tbEUlT_E_NS1_11comp_targetILNS1_3genE10ELNS1_11target_archE1201ELNS1_3gpuE5ELNS1_3repE0EEENS1_30default_config_static_selectorELNS0_4arch9wavefront6targetE0EEEvT1_,comdat
	.protected	_ZN7rocprim17ROCPRIM_400000_NS6detail17trampoline_kernelINS0_14default_configENS1_25transform_config_selectorINS0_10empty_typeELb1EEEZNS1_14transform_implILb1ES3_S6_PS5_S8_NS0_8identityIS5_EEEE10hipError_tT2_T3_mT4_P12ihipStream_tbEUlT_E_NS1_11comp_targetILNS1_3genE10ELNS1_11target_archE1201ELNS1_3gpuE5ELNS1_3repE0EEENS1_30default_config_static_selectorELNS0_4arch9wavefront6targetE0EEEvT1_ ; -- Begin function _ZN7rocprim17ROCPRIM_400000_NS6detail17trampoline_kernelINS0_14default_configENS1_25transform_config_selectorINS0_10empty_typeELb1EEEZNS1_14transform_implILb1ES3_S6_PS5_S8_NS0_8identityIS5_EEEE10hipError_tT2_T3_mT4_P12ihipStream_tbEUlT_E_NS1_11comp_targetILNS1_3genE10ELNS1_11target_archE1201ELNS1_3gpuE5ELNS1_3repE0EEENS1_30default_config_static_selectorELNS0_4arch9wavefront6targetE0EEEvT1_
	.globl	_ZN7rocprim17ROCPRIM_400000_NS6detail17trampoline_kernelINS0_14default_configENS1_25transform_config_selectorINS0_10empty_typeELb1EEEZNS1_14transform_implILb1ES3_S6_PS5_S8_NS0_8identityIS5_EEEE10hipError_tT2_T3_mT4_P12ihipStream_tbEUlT_E_NS1_11comp_targetILNS1_3genE10ELNS1_11target_archE1201ELNS1_3gpuE5ELNS1_3repE0EEENS1_30default_config_static_selectorELNS0_4arch9wavefront6targetE0EEEvT1_
	.p2align	8
	.type	_ZN7rocprim17ROCPRIM_400000_NS6detail17trampoline_kernelINS0_14default_configENS1_25transform_config_selectorINS0_10empty_typeELb1EEEZNS1_14transform_implILb1ES3_S6_PS5_S8_NS0_8identityIS5_EEEE10hipError_tT2_T3_mT4_P12ihipStream_tbEUlT_E_NS1_11comp_targetILNS1_3genE10ELNS1_11target_archE1201ELNS1_3gpuE5ELNS1_3repE0EEENS1_30default_config_static_selectorELNS0_4arch9wavefront6targetE0EEEvT1_,@function
_ZN7rocprim17ROCPRIM_400000_NS6detail17trampoline_kernelINS0_14default_configENS1_25transform_config_selectorINS0_10empty_typeELb1EEEZNS1_14transform_implILb1ES3_S6_PS5_S8_NS0_8identityIS5_EEEE10hipError_tT2_T3_mT4_P12ihipStream_tbEUlT_E_NS1_11comp_targetILNS1_3genE10ELNS1_11target_archE1201ELNS1_3gpuE5ELNS1_3repE0EEENS1_30default_config_static_selectorELNS0_4arch9wavefront6targetE0EEEvT1_: ; @_ZN7rocprim17ROCPRIM_400000_NS6detail17trampoline_kernelINS0_14default_configENS1_25transform_config_selectorINS0_10empty_typeELb1EEEZNS1_14transform_implILb1ES3_S6_PS5_S8_NS0_8identityIS5_EEEE10hipError_tT2_T3_mT4_P12ihipStream_tbEUlT_E_NS1_11comp_targetILNS1_3genE10ELNS1_11target_archE1201ELNS1_3gpuE5ELNS1_3repE0EEENS1_30default_config_static_selectorELNS0_4arch9wavefront6targetE0EEEvT1_
; %bb.0:
	.section	.rodata,"a",@progbits
	.p2align	6, 0x0
	.amdhsa_kernel _ZN7rocprim17ROCPRIM_400000_NS6detail17trampoline_kernelINS0_14default_configENS1_25transform_config_selectorINS0_10empty_typeELb1EEEZNS1_14transform_implILb1ES3_S6_PS5_S8_NS0_8identityIS5_EEEE10hipError_tT2_T3_mT4_P12ihipStream_tbEUlT_E_NS1_11comp_targetILNS1_3genE10ELNS1_11target_archE1201ELNS1_3gpuE5ELNS1_3repE0EEENS1_30default_config_static_selectorELNS0_4arch9wavefront6targetE0EEEvT1_
		.amdhsa_group_segment_fixed_size 0
		.amdhsa_private_segment_fixed_size 0
		.amdhsa_kernarg_size 40
		.amdhsa_user_sgpr_count 2
		.amdhsa_user_sgpr_dispatch_ptr 0
		.amdhsa_user_sgpr_queue_ptr 0
		.amdhsa_user_sgpr_kernarg_segment_ptr 1
		.amdhsa_user_sgpr_dispatch_id 0
		.amdhsa_user_sgpr_kernarg_preload_length 0
		.amdhsa_user_sgpr_kernarg_preload_offset 0
		.amdhsa_user_sgpr_private_segment_size 0
		.amdhsa_wavefront_size32 1
		.amdhsa_uses_dynamic_stack 0
		.amdhsa_enable_private_segment 0
		.amdhsa_system_sgpr_workgroup_id_x 1
		.amdhsa_system_sgpr_workgroup_id_y 0
		.amdhsa_system_sgpr_workgroup_id_z 0
		.amdhsa_system_sgpr_workgroup_info 0
		.amdhsa_system_vgpr_workitem_id 0
		.amdhsa_next_free_vgpr 1
		.amdhsa_next_free_sgpr 1
		.amdhsa_named_barrier_count 0
		.amdhsa_reserve_vcc 0
		.amdhsa_float_round_mode_32 0
		.amdhsa_float_round_mode_16_64 0
		.amdhsa_float_denorm_mode_32 3
		.amdhsa_float_denorm_mode_16_64 3
		.amdhsa_fp16_overflow 0
		.amdhsa_memory_ordered 1
		.amdhsa_forward_progress 1
		.amdhsa_inst_pref_size 0
		.amdhsa_round_robin_scheduling 0
		.amdhsa_exception_fp_ieee_invalid_op 0
		.amdhsa_exception_fp_denorm_src 0
		.amdhsa_exception_fp_ieee_div_zero 0
		.amdhsa_exception_fp_ieee_overflow 0
		.amdhsa_exception_fp_ieee_underflow 0
		.amdhsa_exception_fp_ieee_inexact 0
		.amdhsa_exception_int_div_zero 0
	.end_amdhsa_kernel
	.section	.text._ZN7rocprim17ROCPRIM_400000_NS6detail17trampoline_kernelINS0_14default_configENS1_25transform_config_selectorINS0_10empty_typeELb1EEEZNS1_14transform_implILb1ES3_S6_PS5_S8_NS0_8identityIS5_EEEE10hipError_tT2_T3_mT4_P12ihipStream_tbEUlT_E_NS1_11comp_targetILNS1_3genE10ELNS1_11target_archE1201ELNS1_3gpuE5ELNS1_3repE0EEENS1_30default_config_static_selectorELNS0_4arch9wavefront6targetE0EEEvT1_,"axG",@progbits,_ZN7rocprim17ROCPRIM_400000_NS6detail17trampoline_kernelINS0_14default_configENS1_25transform_config_selectorINS0_10empty_typeELb1EEEZNS1_14transform_implILb1ES3_S6_PS5_S8_NS0_8identityIS5_EEEE10hipError_tT2_T3_mT4_P12ihipStream_tbEUlT_E_NS1_11comp_targetILNS1_3genE10ELNS1_11target_archE1201ELNS1_3gpuE5ELNS1_3repE0EEENS1_30default_config_static_selectorELNS0_4arch9wavefront6targetE0EEEvT1_,comdat
.Lfunc_end51:
	.size	_ZN7rocprim17ROCPRIM_400000_NS6detail17trampoline_kernelINS0_14default_configENS1_25transform_config_selectorINS0_10empty_typeELb1EEEZNS1_14transform_implILb1ES3_S6_PS5_S8_NS0_8identityIS5_EEEE10hipError_tT2_T3_mT4_P12ihipStream_tbEUlT_E_NS1_11comp_targetILNS1_3genE10ELNS1_11target_archE1201ELNS1_3gpuE5ELNS1_3repE0EEENS1_30default_config_static_selectorELNS0_4arch9wavefront6targetE0EEEvT1_, .Lfunc_end51-_ZN7rocprim17ROCPRIM_400000_NS6detail17trampoline_kernelINS0_14default_configENS1_25transform_config_selectorINS0_10empty_typeELb1EEEZNS1_14transform_implILb1ES3_S6_PS5_S8_NS0_8identityIS5_EEEE10hipError_tT2_T3_mT4_P12ihipStream_tbEUlT_E_NS1_11comp_targetILNS1_3genE10ELNS1_11target_archE1201ELNS1_3gpuE5ELNS1_3repE0EEENS1_30default_config_static_selectorELNS0_4arch9wavefront6targetE0EEEvT1_
                                        ; -- End function
	.set _ZN7rocprim17ROCPRIM_400000_NS6detail17trampoline_kernelINS0_14default_configENS1_25transform_config_selectorINS0_10empty_typeELb1EEEZNS1_14transform_implILb1ES3_S6_PS5_S8_NS0_8identityIS5_EEEE10hipError_tT2_T3_mT4_P12ihipStream_tbEUlT_E_NS1_11comp_targetILNS1_3genE10ELNS1_11target_archE1201ELNS1_3gpuE5ELNS1_3repE0EEENS1_30default_config_static_selectorELNS0_4arch9wavefront6targetE0EEEvT1_.num_vgpr, 0
	.set _ZN7rocprim17ROCPRIM_400000_NS6detail17trampoline_kernelINS0_14default_configENS1_25transform_config_selectorINS0_10empty_typeELb1EEEZNS1_14transform_implILb1ES3_S6_PS5_S8_NS0_8identityIS5_EEEE10hipError_tT2_T3_mT4_P12ihipStream_tbEUlT_E_NS1_11comp_targetILNS1_3genE10ELNS1_11target_archE1201ELNS1_3gpuE5ELNS1_3repE0EEENS1_30default_config_static_selectorELNS0_4arch9wavefront6targetE0EEEvT1_.num_agpr, 0
	.set _ZN7rocprim17ROCPRIM_400000_NS6detail17trampoline_kernelINS0_14default_configENS1_25transform_config_selectorINS0_10empty_typeELb1EEEZNS1_14transform_implILb1ES3_S6_PS5_S8_NS0_8identityIS5_EEEE10hipError_tT2_T3_mT4_P12ihipStream_tbEUlT_E_NS1_11comp_targetILNS1_3genE10ELNS1_11target_archE1201ELNS1_3gpuE5ELNS1_3repE0EEENS1_30default_config_static_selectorELNS0_4arch9wavefront6targetE0EEEvT1_.numbered_sgpr, 0
	.set _ZN7rocprim17ROCPRIM_400000_NS6detail17trampoline_kernelINS0_14default_configENS1_25transform_config_selectorINS0_10empty_typeELb1EEEZNS1_14transform_implILb1ES3_S6_PS5_S8_NS0_8identityIS5_EEEE10hipError_tT2_T3_mT4_P12ihipStream_tbEUlT_E_NS1_11comp_targetILNS1_3genE10ELNS1_11target_archE1201ELNS1_3gpuE5ELNS1_3repE0EEENS1_30default_config_static_selectorELNS0_4arch9wavefront6targetE0EEEvT1_.num_named_barrier, 0
	.set _ZN7rocprim17ROCPRIM_400000_NS6detail17trampoline_kernelINS0_14default_configENS1_25transform_config_selectorINS0_10empty_typeELb1EEEZNS1_14transform_implILb1ES3_S6_PS5_S8_NS0_8identityIS5_EEEE10hipError_tT2_T3_mT4_P12ihipStream_tbEUlT_E_NS1_11comp_targetILNS1_3genE10ELNS1_11target_archE1201ELNS1_3gpuE5ELNS1_3repE0EEENS1_30default_config_static_selectorELNS0_4arch9wavefront6targetE0EEEvT1_.private_seg_size, 0
	.set _ZN7rocprim17ROCPRIM_400000_NS6detail17trampoline_kernelINS0_14default_configENS1_25transform_config_selectorINS0_10empty_typeELb1EEEZNS1_14transform_implILb1ES3_S6_PS5_S8_NS0_8identityIS5_EEEE10hipError_tT2_T3_mT4_P12ihipStream_tbEUlT_E_NS1_11comp_targetILNS1_3genE10ELNS1_11target_archE1201ELNS1_3gpuE5ELNS1_3repE0EEENS1_30default_config_static_selectorELNS0_4arch9wavefront6targetE0EEEvT1_.uses_vcc, 0
	.set _ZN7rocprim17ROCPRIM_400000_NS6detail17trampoline_kernelINS0_14default_configENS1_25transform_config_selectorINS0_10empty_typeELb1EEEZNS1_14transform_implILb1ES3_S6_PS5_S8_NS0_8identityIS5_EEEE10hipError_tT2_T3_mT4_P12ihipStream_tbEUlT_E_NS1_11comp_targetILNS1_3genE10ELNS1_11target_archE1201ELNS1_3gpuE5ELNS1_3repE0EEENS1_30default_config_static_selectorELNS0_4arch9wavefront6targetE0EEEvT1_.uses_flat_scratch, 0
	.set _ZN7rocprim17ROCPRIM_400000_NS6detail17trampoline_kernelINS0_14default_configENS1_25transform_config_selectorINS0_10empty_typeELb1EEEZNS1_14transform_implILb1ES3_S6_PS5_S8_NS0_8identityIS5_EEEE10hipError_tT2_T3_mT4_P12ihipStream_tbEUlT_E_NS1_11comp_targetILNS1_3genE10ELNS1_11target_archE1201ELNS1_3gpuE5ELNS1_3repE0EEENS1_30default_config_static_selectorELNS0_4arch9wavefront6targetE0EEEvT1_.has_dyn_sized_stack, 0
	.set _ZN7rocprim17ROCPRIM_400000_NS6detail17trampoline_kernelINS0_14default_configENS1_25transform_config_selectorINS0_10empty_typeELb1EEEZNS1_14transform_implILb1ES3_S6_PS5_S8_NS0_8identityIS5_EEEE10hipError_tT2_T3_mT4_P12ihipStream_tbEUlT_E_NS1_11comp_targetILNS1_3genE10ELNS1_11target_archE1201ELNS1_3gpuE5ELNS1_3repE0EEENS1_30default_config_static_selectorELNS0_4arch9wavefront6targetE0EEEvT1_.has_recursion, 0
	.set _ZN7rocprim17ROCPRIM_400000_NS6detail17trampoline_kernelINS0_14default_configENS1_25transform_config_selectorINS0_10empty_typeELb1EEEZNS1_14transform_implILb1ES3_S6_PS5_S8_NS0_8identityIS5_EEEE10hipError_tT2_T3_mT4_P12ihipStream_tbEUlT_E_NS1_11comp_targetILNS1_3genE10ELNS1_11target_archE1201ELNS1_3gpuE5ELNS1_3repE0EEENS1_30default_config_static_selectorELNS0_4arch9wavefront6targetE0EEEvT1_.has_indirect_call, 0
	.section	.AMDGPU.csdata,"",@progbits
; Kernel info:
; codeLenInByte = 0
; TotalNumSgprs: 0
; NumVgprs: 0
; ScratchSize: 0
; MemoryBound: 0
; FloatMode: 240
; IeeeMode: 1
; LDSByteSize: 0 bytes/workgroup (compile time only)
; SGPRBlocks: 0
; VGPRBlocks: 0
; NumSGPRsForWavesPerEU: 1
; NumVGPRsForWavesPerEU: 1
; NamedBarCnt: 0
; Occupancy: 16
; WaveLimiterHint : 0
; COMPUTE_PGM_RSRC2:SCRATCH_EN: 0
; COMPUTE_PGM_RSRC2:USER_SGPR: 2
; COMPUTE_PGM_RSRC2:TRAP_HANDLER: 0
; COMPUTE_PGM_RSRC2:TGID_X_EN: 1
; COMPUTE_PGM_RSRC2:TGID_Y_EN: 0
; COMPUTE_PGM_RSRC2:TGID_Z_EN: 0
; COMPUTE_PGM_RSRC2:TIDIG_COMP_CNT: 0
	.section	.text._ZN7rocprim17ROCPRIM_400000_NS6detail17trampoline_kernelINS0_14default_configENS1_25transform_config_selectorINS0_10empty_typeELb1EEEZNS1_14transform_implILb1ES3_S6_PS5_S8_NS0_8identityIS5_EEEE10hipError_tT2_T3_mT4_P12ihipStream_tbEUlT_E_NS1_11comp_targetILNS1_3genE5ELNS1_11target_archE942ELNS1_3gpuE9ELNS1_3repE0EEENS1_30default_config_static_selectorELNS0_4arch9wavefront6targetE0EEEvT1_,"axG",@progbits,_ZN7rocprim17ROCPRIM_400000_NS6detail17trampoline_kernelINS0_14default_configENS1_25transform_config_selectorINS0_10empty_typeELb1EEEZNS1_14transform_implILb1ES3_S6_PS5_S8_NS0_8identityIS5_EEEE10hipError_tT2_T3_mT4_P12ihipStream_tbEUlT_E_NS1_11comp_targetILNS1_3genE5ELNS1_11target_archE942ELNS1_3gpuE9ELNS1_3repE0EEENS1_30default_config_static_selectorELNS0_4arch9wavefront6targetE0EEEvT1_,comdat
	.protected	_ZN7rocprim17ROCPRIM_400000_NS6detail17trampoline_kernelINS0_14default_configENS1_25transform_config_selectorINS0_10empty_typeELb1EEEZNS1_14transform_implILb1ES3_S6_PS5_S8_NS0_8identityIS5_EEEE10hipError_tT2_T3_mT4_P12ihipStream_tbEUlT_E_NS1_11comp_targetILNS1_3genE5ELNS1_11target_archE942ELNS1_3gpuE9ELNS1_3repE0EEENS1_30default_config_static_selectorELNS0_4arch9wavefront6targetE0EEEvT1_ ; -- Begin function _ZN7rocprim17ROCPRIM_400000_NS6detail17trampoline_kernelINS0_14default_configENS1_25transform_config_selectorINS0_10empty_typeELb1EEEZNS1_14transform_implILb1ES3_S6_PS5_S8_NS0_8identityIS5_EEEE10hipError_tT2_T3_mT4_P12ihipStream_tbEUlT_E_NS1_11comp_targetILNS1_3genE5ELNS1_11target_archE942ELNS1_3gpuE9ELNS1_3repE0EEENS1_30default_config_static_selectorELNS0_4arch9wavefront6targetE0EEEvT1_
	.globl	_ZN7rocprim17ROCPRIM_400000_NS6detail17trampoline_kernelINS0_14default_configENS1_25transform_config_selectorINS0_10empty_typeELb1EEEZNS1_14transform_implILb1ES3_S6_PS5_S8_NS0_8identityIS5_EEEE10hipError_tT2_T3_mT4_P12ihipStream_tbEUlT_E_NS1_11comp_targetILNS1_3genE5ELNS1_11target_archE942ELNS1_3gpuE9ELNS1_3repE0EEENS1_30default_config_static_selectorELNS0_4arch9wavefront6targetE0EEEvT1_
	.p2align	8
	.type	_ZN7rocprim17ROCPRIM_400000_NS6detail17trampoline_kernelINS0_14default_configENS1_25transform_config_selectorINS0_10empty_typeELb1EEEZNS1_14transform_implILb1ES3_S6_PS5_S8_NS0_8identityIS5_EEEE10hipError_tT2_T3_mT4_P12ihipStream_tbEUlT_E_NS1_11comp_targetILNS1_3genE5ELNS1_11target_archE942ELNS1_3gpuE9ELNS1_3repE0EEENS1_30default_config_static_selectorELNS0_4arch9wavefront6targetE0EEEvT1_,@function
_ZN7rocprim17ROCPRIM_400000_NS6detail17trampoline_kernelINS0_14default_configENS1_25transform_config_selectorINS0_10empty_typeELb1EEEZNS1_14transform_implILb1ES3_S6_PS5_S8_NS0_8identityIS5_EEEE10hipError_tT2_T3_mT4_P12ihipStream_tbEUlT_E_NS1_11comp_targetILNS1_3genE5ELNS1_11target_archE942ELNS1_3gpuE9ELNS1_3repE0EEENS1_30default_config_static_selectorELNS0_4arch9wavefront6targetE0EEEvT1_: ; @_ZN7rocprim17ROCPRIM_400000_NS6detail17trampoline_kernelINS0_14default_configENS1_25transform_config_selectorINS0_10empty_typeELb1EEEZNS1_14transform_implILb1ES3_S6_PS5_S8_NS0_8identityIS5_EEEE10hipError_tT2_T3_mT4_P12ihipStream_tbEUlT_E_NS1_11comp_targetILNS1_3genE5ELNS1_11target_archE942ELNS1_3gpuE9ELNS1_3repE0EEENS1_30default_config_static_selectorELNS0_4arch9wavefront6targetE0EEEvT1_
; %bb.0:
	.section	.rodata,"a",@progbits
	.p2align	6, 0x0
	.amdhsa_kernel _ZN7rocprim17ROCPRIM_400000_NS6detail17trampoline_kernelINS0_14default_configENS1_25transform_config_selectorINS0_10empty_typeELb1EEEZNS1_14transform_implILb1ES3_S6_PS5_S8_NS0_8identityIS5_EEEE10hipError_tT2_T3_mT4_P12ihipStream_tbEUlT_E_NS1_11comp_targetILNS1_3genE5ELNS1_11target_archE942ELNS1_3gpuE9ELNS1_3repE0EEENS1_30default_config_static_selectorELNS0_4arch9wavefront6targetE0EEEvT1_
		.amdhsa_group_segment_fixed_size 0
		.amdhsa_private_segment_fixed_size 0
		.amdhsa_kernarg_size 40
		.amdhsa_user_sgpr_count 2
		.amdhsa_user_sgpr_dispatch_ptr 0
		.amdhsa_user_sgpr_queue_ptr 0
		.amdhsa_user_sgpr_kernarg_segment_ptr 1
		.amdhsa_user_sgpr_dispatch_id 0
		.amdhsa_user_sgpr_kernarg_preload_length 0
		.amdhsa_user_sgpr_kernarg_preload_offset 0
		.amdhsa_user_sgpr_private_segment_size 0
		.amdhsa_wavefront_size32 1
		.amdhsa_uses_dynamic_stack 0
		.amdhsa_enable_private_segment 0
		.amdhsa_system_sgpr_workgroup_id_x 1
		.amdhsa_system_sgpr_workgroup_id_y 0
		.amdhsa_system_sgpr_workgroup_id_z 0
		.amdhsa_system_sgpr_workgroup_info 0
		.amdhsa_system_vgpr_workitem_id 0
		.amdhsa_next_free_vgpr 1
		.amdhsa_next_free_sgpr 1
		.amdhsa_named_barrier_count 0
		.amdhsa_reserve_vcc 0
		.amdhsa_float_round_mode_32 0
		.amdhsa_float_round_mode_16_64 0
		.amdhsa_float_denorm_mode_32 3
		.amdhsa_float_denorm_mode_16_64 3
		.amdhsa_fp16_overflow 0
		.amdhsa_memory_ordered 1
		.amdhsa_forward_progress 1
		.amdhsa_inst_pref_size 0
		.amdhsa_round_robin_scheduling 0
		.amdhsa_exception_fp_ieee_invalid_op 0
		.amdhsa_exception_fp_denorm_src 0
		.amdhsa_exception_fp_ieee_div_zero 0
		.amdhsa_exception_fp_ieee_overflow 0
		.amdhsa_exception_fp_ieee_underflow 0
		.amdhsa_exception_fp_ieee_inexact 0
		.amdhsa_exception_int_div_zero 0
	.end_amdhsa_kernel
	.section	.text._ZN7rocprim17ROCPRIM_400000_NS6detail17trampoline_kernelINS0_14default_configENS1_25transform_config_selectorINS0_10empty_typeELb1EEEZNS1_14transform_implILb1ES3_S6_PS5_S8_NS0_8identityIS5_EEEE10hipError_tT2_T3_mT4_P12ihipStream_tbEUlT_E_NS1_11comp_targetILNS1_3genE5ELNS1_11target_archE942ELNS1_3gpuE9ELNS1_3repE0EEENS1_30default_config_static_selectorELNS0_4arch9wavefront6targetE0EEEvT1_,"axG",@progbits,_ZN7rocprim17ROCPRIM_400000_NS6detail17trampoline_kernelINS0_14default_configENS1_25transform_config_selectorINS0_10empty_typeELb1EEEZNS1_14transform_implILb1ES3_S6_PS5_S8_NS0_8identityIS5_EEEE10hipError_tT2_T3_mT4_P12ihipStream_tbEUlT_E_NS1_11comp_targetILNS1_3genE5ELNS1_11target_archE942ELNS1_3gpuE9ELNS1_3repE0EEENS1_30default_config_static_selectorELNS0_4arch9wavefront6targetE0EEEvT1_,comdat
.Lfunc_end52:
	.size	_ZN7rocprim17ROCPRIM_400000_NS6detail17trampoline_kernelINS0_14default_configENS1_25transform_config_selectorINS0_10empty_typeELb1EEEZNS1_14transform_implILb1ES3_S6_PS5_S8_NS0_8identityIS5_EEEE10hipError_tT2_T3_mT4_P12ihipStream_tbEUlT_E_NS1_11comp_targetILNS1_3genE5ELNS1_11target_archE942ELNS1_3gpuE9ELNS1_3repE0EEENS1_30default_config_static_selectorELNS0_4arch9wavefront6targetE0EEEvT1_, .Lfunc_end52-_ZN7rocprim17ROCPRIM_400000_NS6detail17trampoline_kernelINS0_14default_configENS1_25transform_config_selectorINS0_10empty_typeELb1EEEZNS1_14transform_implILb1ES3_S6_PS5_S8_NS0_8identityIS5_EEEE10hipError_tT2_T3_mT4_P12ihipStream_tbEUlT_E_NS1_11comp_targetILNS1_3genE5ELNS1_11target_archE942ELNS1_3gpuE9ELNS1_3repE0EEENS1_30default_config_static_selectorELNS0_4arch9wavefront6targetE0EEEvT1_
                                        ; -- End function
	.set _ZN7rocprim17ROCPRIM_400000_NS6detail17trampoline_kernelINS0_14default_configENS1_25transform_config_selectorINS0_10empty_typeELb1EEEZNS1_14transform_implILb1ES3_S6_PS5_S8_NS0_8identityIS5_EEEE10hipError_tT2_T3_mT4_P12ihipStream_tbEUlT_E_NS1_11comp_targetILNS1_3genE5ELNS1_11target_archE942ELNS1_3gpuE9ELNS1_3repE0EEENS1_30default_config_static_selectorELNS0_4arch9wavefront6targetE0EEEvT1_.num_vgpr, 0
	.set _ZN7rocprim17ROCPRIM_400000_NS6detail17trampoline_kernelINS0_14default_configENS1_25transform_config_selectorINS0_10empty_typeELb1EEEZNS1_14transform_implILb1ES3_S6_PS5_S8_NS0_8identityIS5_EEEE10hipError_tT2_T3_mT4_P12ihipStream_tbEUlT_E_NS1_11comp_targetILNS1_3genE5ELNS1_11target_archE942ELNS1_3gpuE9ELNS1_3repE0EEENS1_30default_config_static_selectorELNS0_4arch9wavefront6targetE0EEEvT1_.num_agpr, 0
	.set _ZN7rocprim17ROCPRIM_400000_NS6detail17trampoline_kernelINS0_14default_configENS1_25transform_config_selectorINS0_10empty_typeELb1EEEZNS1_14transform_implILb1ES3_S6_PS5_S8_NS0_8identityIS5_EEEE10hipError_tT2_T3_mT4_P12ihipStream_tbEUlT_E_NS1_11comp_targetILNS1_3genE5ELNS1_11target_archE942ELNS1_3gpuE9ELNS1_3repE0EEENS1_30default_config_static_selectorELNS0_4arch9wavefront6targetE0EEEvT1_.numbered_sgpr, 0
	.set _ZN7rocprim17ROCPRIM_400000_NS6detail17trampoline_kernelINS0_14default_configENS1_25transform_config_selectorINS0_10empty_typeELb1EEEZNS1_14transform_implILb1ES3_S6_PS5_S8_NS0_8identityIS5_EEEE10hipError_tT2_T3_mT4_P12ihipStream_tbEUlT_E_NS1_11comp_targetILNS1_3genE5ELNS1_11target_archE942ELNS1_3gpuE9ELNS1_3repE0EEENS1_30default_config_static_selectorELNS0_4arch9wavefront6targetE0EEEvT1_.num_named_barrier, 0
	.set _ZN7rocprim17ROCPRIM_400000_NS6detail17trampoline_kernelINS0_14default_configENS1_25transform_config_selectorINS0_10empty_typeELb1EEEZNS1_14transform_implILb1ES3_S6_PS5_S8_NS0_8identityIS5_EEEE10hipError_tT2_T3_mT4_P12ihipStream_tbEUlT_E_NS1_11comp_targetILNS1_3genE5ELNS1_11target_archE942ELNS1_3gpuE9ELNS1_3repE0EEENS1_30default_config_static_selectorELNS0_4arch9wavefront6targetE0EEEvT1_.private_seg_size, 0
	.set _ZN7rocprim17ROCPRIM_400000_NS6detail17trampoline_kernelINS0_14default_configENS1_25transform_config_selectorINS0_10empty_typeELb1EEEZNS1_14transform_implILb1ES3_S6_PS5_S8_NS0_8identityIS5_EEEE10hipError_tT2_T3_mT4_P12ihipStream_tbEUlT_E_NS1_11comp_targetILNS1_3genE5ELNS1_11target_archE942ELNS1_3gpuE9ELNS1_3repE0EEENS1_30default_config_static_selectorELNS0_4arch9wavefront6targetE0EEEvT1_.uses_vcc, 0
	.set _ZN7rocprim17ROCPRIM_400000_NS6detail17trampoline_kernelINS0_14default_configENS1_25transform_config_selectorINS0_10empty_typeELb1EEEZNS1_14transform_implILb1ES3_S6_PS5_S8_NS0_8identityIS5_EEEE10hipError_tT2_T3_mT4_P12ihipStream_tbEUlT_E_NS1_11comp_targetILNS1_3genE5ELNS1_11target_archE942ELNS1_3gpuE9ELNS1_3repE0EEENS1_30default_config_static_selectorELNS0_4arch9wavefront6targetE0EEEvT1_.uses_flat_scratch, 0
	.set _ZN7rocprim17ROCPRIM_400000_NS6detail17trampoline_kernelINS0_14default_configENS1_25transform_config_selectorINS0_10empty_typeELb1EEEZNS1_14transform_implILb1ES3_S6_PS5_S8_NS0_8identityIS5_EEEE10hipError_tT2_T3_mT4_P12ihipStream_tbEUlT_E_NS1_11comp_targetILNS1_3genE5ELNS1_11target_archE942ELNS1_3gpuE9ELNS1_3repE0EEENS1_30default_config_static_selectorELNS0_4arch9wavefront6targetE0EEEvT1_.has_dyn_sized_stack, 0
	.set _ZN7rocprim17ROCPRIM_400000_NS6detail17trampoline_kernelINS0_14default_configENS1_25transform_config_selectorINS0_10empty_typeELb1EEEZNS1_14transform_implILb1ES3_S6_PS5_S8_NS0_8identityIS5_EEEE10hipError_tT2_T3_mT4_P12ihipStream_tbEUlT_E_NS1_11comp_targetILNS1_3genE5ELNS1_11target_archE942ELNS1_3gpuE9ELNS1_3repE0EEENS1_30default_config_static_selectorELNS0_4arch9wavefront6targetE0EEEvT1_.has_recursion, 0
	.set _ZN7rocprim17ROCPRIM_400000_NS6detail17trampoline_kernelINS0_14default_configENS1_25transform_config_selectorINS0_10empty_typeELb1EEEZNS1_14transform_implILb1ES3_S6_PS5_S8_NS0_8identityIS5_EEEE10hipError_tT2_T3_mT4_P12ihipStream_tbEUlT_E_NS1_11comp_targetILNS1_3genE5ELNS1_11target_archE942ELNS1_3gpuE9ELNS1_3repE0EEENS1_30default_config_static_selectorELNS0_4arch9wavefront6targetE0EEEvT1_.has_indirect_call, 0
	.section	.AMDGPU.csdata,"",@progbits
; Kernel info:
; codeLenInByte = 0
; TotalNumSgprs: 0
; NumVgprs: 0
; ScratchSize: 0
; MemoryBound: 0
; FloatMode: 240
; IeeeMode: 1
; LDSByteSize: 0 bytes/workgroup (compile time only)
; SGPRBlocks: 0
; VGPRBlocks: 0
; NumSGPRsForWavesPerEU: 1
; NumVGPRsForWavesPerEU: 1
; NamedBarCnt: 0
; Occupancy: 16
; WaveLimiterHint : 0
; COMPUTE_PGM_RSRC2:SCRATCH_EN: 0
; COMPUTE_PGM_RSRC2:USER_SGPR: 2
; COMPUTE_PGM_RSRC2:TRAP_HANDLER: 0
; COMPUTE_PGM_RSRC2:TGID_X_EN: 1
; COMPUTE_PGM_RSRC2:TGID_Y_EN: 0
; COMPUTE_PGM_RSRC2:TGID_Z_EN: 0
; COMPUTE_PGM_RSRC2:TIDIG_COMP_CNT: 0
	.section	.text._ZN7rocprim17ROCPRIM_400000_NS6detail17trampoline_kernelINS0_14default_configENS1_25transform_config_selectorINS0_10empty_typeELb1EEEZNS1_14transform_implILb1ES3_S6_PS5_S8_NS0_8identityIS5_EEEE10hipError_tT2_T3_mT4_P12ihipStream_tbEUlT_E_NS1_11comp_targetILNS1_3genE4ELNS1_11target_archE910ELNS1_3gpuE8ELNS1_3repE0EEENS1_30default_config_static_selectorELNS0_4arch9wavefront6targetE0EEEvT1_,"axG",@progbits,_ZN7rocprim17ROCPRIM_400000_NS6detail17trampoline_kernelINS0_14default_configENS1_25transform_config_selectorINS0_10empty_typeELb1EEEZNS1_14transform_implILb1ES3_S6_PS5_S8_NS0_8identityIS5_EEEE10hipError_tT2_T3_mT4_P12ihipStream_tbEUlT_E_NS1_11comp_targetILNS1_3genE4ELNS1_11target_archE910ELNS1_3gpuE8ELNS1_3repE0EEENS1_30default_config_static_selectorELNS0_4arch9wavefront6targetE0EEEvT1_,comdat
	.protected	_ZN7rocprim17ROCPRIM_400000_NS6detail17trampoline_kernelINS0_14default_configENS1_25transform_config_selectorINS0_10empty_typeELb1EEEZNS1_14transform_implILb1ES3_S6_PS5_S8_NS0_8identityIS5_EEEE10hipError_tT2_T3_mT4_P12ihipStream_tbEUlT_E_NS1_11comp_targetILNS1_3genE4ELNS1_11target_archE910ELNS1_3gpuE8ELNS1_3repE0EEENS1_30default_config_static_selectorELNS0_4arch9wavefront6targetE0EEEvT1_ ; -- Begin function _ZN7rocprim17ROCPRIM_400000_NS6detail17trampoline_kernelINS0_14default_configENS1_25transform_config_selectorINS0_10empty_typeELb1EEEZNS1_14transform_implILb1ES3_S6_PS5_S8_NS0_8identityIS5_EEEE10hipError_tT2_T3_mT4_P12ihipStream_tbEUlT_E_NS1_11comp_targetILNS1_3genE4ELNS1_11target_archE910ELNS1_3gpuE8ELNS1_3repE0EEENS1_30default_config_static_selectorELNS0_4arch9wavefront6targetE0EEEvT1_
	.globl	_ZN7rocprim17ROCPRIM_400000_NS6detail17trampoline_kernelINS0_14default_configENS1_25transform_config_selectorINS0_10empty_typeELb1EEEZNS1_14transform_implILb1ES3_S6_PS5_S8_NS0_8identityIS5_EEEE10hipError_tT2_T3_mT4_P12ihipStream_tbEUlT_E_NS1_11comp_targetILNS1_3genE4ELNS1_11target_archE910ELNS1_3gpuE8ELNS1_3repE0EEENS1_30default_config_static_selectorELNS0_4arch9wavefront6targetE0EEEvT1_
	.p2align	8
	.type	_ZN7rocprim17ROCPRIM_400000_NS6detail17trampoline_kernelINS0_14default_configENS1_25transform_config_selectorINS0_10empty_typeELb1EEEZNS1_14transform_implILb1ES3_S6_PS5_S8_NS0_8identityIS5_EEEE10hipError_tT2_T3_mT4_P12ihipStream_tbEUlT_E_NS1_11comp_targetILNS1_3genE4ELNS1_11target_archE910ELNS1_3gpuE8ELNS1_3repE0EEENS1_30default_config_static_selectorELNS0_4arch9wavefront6targetE0EEEvT1_,@function
_ZN7rocprim17ROCPRIM_400000_NS6detail17trampoline_kernelINS0_14default_configENS1_25transform_config_selectorINS0_10empty_typeELb1EEEZNS1_14transform_implILb1ES3_S6_PS5_S8_NS0_8identityIS5_EEEE10hipError_tT2_T3_mT4_P12ihipStream_tbEUlT_E_NS1_11comp_targetILNS1_3genE4ELNS1_11target_archE910ELNS1_3gpuE8ELNS1_3repE0EEENS1_30default_config_static_selectorELNS0_4arch9wavefront6targetE0EEEvT1_: ; @_ZN7rocprim17ROCPRIM_400000_NS6detail17trampoline_kernelINS0_14default_configENS1_25transform_config_selectorINS0_10empty_typeELb1EEEZNS1_14transform_implILb1ES3_S6_PS5_S8_NS0_8identityIS5_EEEE10hipError_tT2_T3_mT4_P12ihipStream_tbEUlT_E_NS1_11comp_targetILNS1_3genE4ELNS1_11target_archE910ELNS1_3gpuE8ELNS1_3repE0EEENS1_30default_config_static_selectorELNS0_4arch9wavefront6targetE0EEEvT1_
; %bb.0:
	.section	.rodata,"a",@progbits
	.p2align	6, 0x0
	.amdhsa_kernel _ZN7rocprim17ROCPRIM_400000_NS6detail17trampoline_kernelINS0_14default_configENS1_25transform_config_selectorINS0_10empty_typeELb1EEEZNS1_14transform_implILb1ES3_S6_PS5_S8_NS0_8identityIS5_EEEE10hipError_tT2_T3_mT4_P12ihipStream_tbEUlT_E_NS1_11comp_targetILNS1_3genE4ELNS1_11target_archE910ELNS1_3gpuE8ELNS1_3repE0EEENS1_30default_config_static_selectorELNS0_4arch9wavefront6targetE0EEEvT1_
		.amdhsa_group_segment_fixed_size 0
		.amdhsa_private_segment_fixed_size 0
		.amdhsa_kernarg_size 40
		.amdhsa_user_sgpr_count 2
		.amdhsa_user_sgpr_dispatch_ptr 0
		.amdhsa_user_sgpr_queue_ptr 0
		.amdhsa_user_sgpr_kernarg_segment_ptr 1
		.amdhsa_user_sgpr_dispatch_id 0
		.amdhsa_user_sgpr_kernarg_preload_length 0
		.amdhsa_user_sgpr_kernarg_preload_offset 0
		.amdhsa_user_sgpr_private_segment_size 0
		.amdhsa_wavefront_size32 1
		.amdhsa_uses_dynamic_stack 0
		.amdhsa_enable_private_segment 0
		.amdhsa_system_sgpr_workgroup_id_x 1
		.amdhsa_system_sgpr_workgroup_id_y 0
		.amdhsa_system_sgpr_workgroup_id_z 0
		.amdhsa_system_sgpr_workgroup_info 0
		.amdhsa_system_vgpr_workitem_id 0
		.amdhsa_next_free_vgpr 1
		.amdhsa_next_free_sgpr 1
		.amdhsa_named_barrier_count 0
		.amdhsa_reserve_vcc 0
		.amdhsa_float_round_mode_32 0
		.amdhsa_float_round_mode_16_64 0
		.amdhsa_float_denorm_mode_32 3
		.amdhsa_float_denorm_mode_16_64 3
		.amdhsa_fp16_overflow 0
		.amdhsa_memory_ordered 1
		.amdhsa_forward_progress 1
		.amdhsa_inst_pref_size 0
		.amdhsa_round_robin_scheduling 0
		.amdhsa_exception_fp_ieee_invalid_op 0
		.amdhsa_exception_fp_denorm_src 0
		.amdhsa_exception_fp_ieee_div_zero 0
		.amdhsa_exception_fp_ieee_overflow 0
		.amdhsa_exception_fp_ieee_underflow 0
		.amdhsa_exception_fp_ieee_inexact 0
		.amdhsa_exception_int_div_zero 0
	.end_amdhsa_kernel
	.section	.text._ZN7rocprim17ROCPRIM_400000_NS6detail17trampoline_kernelINS0_14default_configENS1_25transform_config_selectorINS0_10empty_typeELb1EEEZNS1_14transform_implILb1ES3_S6_PS5_S8_NS0_8identityIS5_EEEE10hipError_tT2_T3_mT4_P12ihipStream_tbEUlT_E_NS1_11comp_targetILNS1_3genE4ELNS1_11target_archE910ELNS1_3gpuE8ELNS1_3repE0EEENS1_30default_config_static_selectorELNS0_4arch9wavefront6targetE0EEEvT1_,"axG",@progbits,_ZN7rocprim17ROCPRIM_400000_NS6detail17trampoline_kernelINS0_14default_configENS1_25transform_config_selectorINS0_10empty_typeELb1EEEZNS1_14transform_implILb1ES3_S6_PS5_S8_NS0_8identityIS5_EEEE10hipError_tT2_T3_mT4_P12ihipStream_tbEUlT_E_NS1_11comp_targetILNS1_3genE4ELNS1_11target_archE910ELNS1_3gpuE8ELNS1_3repE0EEENS1_30default_config_static_selectorELNS0_4arch9wavefront6targetE0EEEvT1_,comdat
.Lfunc_end53:
	.size	_ZN7rocprim17ROCPRIM_400000_NS6detail17trampoline_kernelINS0_14default_configENS1_25transform_config_selectorINS0_10empty_typeELb1EEEZNS1_14transform_implILb1ES3_S6_PS5_S8_NS0_8identityIS5_EEEE10hipError_tT2_T3_mT4_P12ihipStream_tbEUlT_E_NS1_11comp_targetILNS1_3genE4ELNS1_11target_archE910ELNS1_3gpuE8ELNS1_3repE0EEENS1_30default_config_static_selectorELNS0_4arch9wavefront6targetE0EEEvT1_, .Lfunc_end53-_ZN7rocprim17ROCPRIM_400000_NS6detail17trampoline_kernelINS0_14default_configENS1_25transform_config_selectorINS0_10empty_typeELb1EEEZNS1_14transform_implILb1ES3_S6_PS5_S8_NS0_8identityIS5_EEEE10hipError_tT2_T3_mT4_P12ihipStream_tbEUlT_E_NS1_11comp_targetILNS1_3genE4ELNS1_11target_archE910ELNS1_3gpuE8ELNS1_3repE0EEENS1_30default_config_static_selectorELNS0_4arch9wavefront6targetE0EEEvT1_
                                        ; -- End function
	.set _ZN7rocprim17ROCPRIM_400000_NS6detail17trampoline_kernelINS0_14default_configENS1_25transform_config_selectorINS0_10empty_typeELb1EEEZNS1_14transform_implILb1ES3_S6_PS5_S8_NS0_8identityIS5_EEEE10hipError_tT2_T3_mT4_P12ihipStream_tbEUlT_E_NS1_11comp_targetILNS1_3genE4ELNS1_11target_archE910ELNS1_3gpuE8ELNS1_3repE0EEENS1_30default_config_static_selectorELNS0_4arch9wavefront6targetE0EEEvT1_.num_vgpr, 0
	.set _ZN7rocprim17ROCPRIM_400000_NS6detail17trampoline_kernelINS0_14default_configENS1_25transform_config_selectorINS0_10empty_typeELb1EEEZNS1_14transform_implILb1ES3_S6_PS5_S8_NS0_8identityIS5_EEEE10hipError_tT2_T3_mT4_P12ihipStream_tbEUlT_E_NS1_11comp_targetILNS1_3genE4ELNS1_11target_archE910ELNS1_3gpuE8ELNS1_3repE0EEENS1_30default_config_static_selectorELNS0_4arch9wavefront6targetE0EEEvT1_.num_agpr, 0
	.set _ZN7rocprim17ROCPRIM_400000_NS6detail17trampoline_kernelINS0_14default_configENS1_25transform_config_selectorINS0_10empty_typeELb1EEEZNS1_14transform_implILb1ES3_S6_PS5_S8_NS0_8identityIS5_EEEE10hipError_tT2_T3_mT4_P12ihipStream_tbEUlT_E_NS1_11comp_targetILNS1_3genE4ELNS1_11target_archE910ELNS1_3gpuE8ELNS1_3repE0EEENS1_30default_config_static_selectorELNS0_4arch9wavefront6targetE0EEEvT1_.numbered_sgpr, 0
	.set _ZN7rocprim17ROCPRIM_400000_NS6detail17trampoline_kernelINS0_14default_configENS1_25transform_config_selectorINS0_10empty_typeELb1EEEZNS1_14transform_implILb1ES3_S6_PS5_S8_NS0_8identityIS5_EEEE10hipError_tT2_T3_mT4_P12ihipStream_tbEUlT_E_NS1_11comp_targetILNS1_3genE4ELNS1_11target_archE910ELNS1_3gpuE8ELNS1_3repE0EEENS1_30default_config_static_selectorELNS0_4arch9wavefront6targetE0EEEvT1_.num_named_barrier, 0
	.set _ZN7rocprim17ROCPRIM_400000_NS6detail17trampoline_kernelINS0_14default_configENS1_25transform_config_selectorINS0_10empty_typeELb1EEEZNS1_14transform_implILb1ES3_S6_PS5_S8_NS0_8identityIS5_EEEE10hipError_tT2_T3_mT4_P12ihipStream_tbEUlT_E_NS1_11comp_targetILNS1_3genE4ELNS1_11target_archE910ELNS1_3gpuE8ELNS1_3repE0EEENS1_30default_config_static_selectorELNS0_4arch9wavefront6targetE0EEEvT1_.private_seg_size, 0
	.set _ZN7rocprim17ROCPRIM_400000_NS6detail17trampoline_kernelINS0_14default_configENS1_25transform_config_selectorINS0_10empty_typeELb1EEEZNS1_14transform_implILb1ES3_S6_PS5_S8_NS0_8identityIS5_EEEE10hipError_tT2_T3_mT4_P12ihipStream_tbEUlT_E_NS1_11comp_targetILNS1_3genE4ELNS1_11target_archE910ELNS1_3gpuE8ELNS1_3repE0EEENS1_30default_config_static_selectorELNS0_4arch9wavefront6targetE0EEEvT1_.uses_vcc, 0
	.set _ZN7rocprim17ROCPRIM_400000_NS6detail17trampoline_kernelINS0_14default_configENS1_25transform_config_selectorINS0_10empty_typeELb1EEEZNS1_14transform_implILb1ES3_S6_PS5_S8_NS0_8identityIS5_EEEE10hipError_tT2_T3_mT4_P12ihipStream_tbEUlT_E_NS1_11comp_targetILNS1_3genE4ELNS1_11target_archE910ELNS1_3gpuE8ELNS1_3repE0EEENS1_30default_config_static_selectorELNS0_4arch9wavefront6targetE0EEEvT1_.uses_flat_scratch, 0
	.set _ZN7rocprim17ROCPRIM_400000_NS6detail17trampoline_kernelINS0_14default_configENS1_25transform_config_selectorINS0_10empty_typeELb1EEEZNS1_14transform_implILb1ES3_S6_PS5_S8_NS0_8identityIS5_EEEE10hipError_tT2_T3_mT4_P12ihipStream_tbEUlT_E_NS1_11comp_targetILNS1_3genE4ELNS1_11target_archE910ELNS1_3gpuE8ELNS1_3repE0EEENS1_30default_config_static_selectorELNS0_4arch9wavefront6targetE0EEEvT1_.has_dyn_sized_stack, 0
	.set _ZN7rocprim17ROCPRIM_400000_NS6detail17trampoline_kernelINS0_14default_configENS1_25transform_config_selectorINS0_10empty_typeELb1EEEZNS1_14transform_implILb1ES3_S6_PS5_S8_NS0_8identityIS5_EEEE10hipError_tT2_T3_mT4_P12ihipStream_tbEUlT_E_NS1_11comp_targetILNS1_3genE4ELNS1_11target_archE910ELNS1_3gpuE8ELNS1_3repE0EEENS1_30default_config_static_selectorELNS0_4arch9wavefront6targetE0EEEvT1_.has_recursion, 0
	.set _ZN7rocprim17ROCPRIM_400000_NS6detail17trampoline_kernelINS0_14default_configENS1_25transform_config_selectorINS0_10empty_typeELb1EEEZNS1_14transform_implILb1ES3_S6_PS5_S8_NS0_8identityIS5_EEEE10hipError_tT2_T3_mT4_P12ihipStream_tbEUlT_E_NS1_11comp_targetILNS1_3genE4ELNS1_11target_archE910ELNS1_3gpuE8ELNS1_3repE0EEENS1_30default_config_static_selectorELNS0_4arch9wavefront6targetE0EEEvT1_.has_indirect_call, 0
	.section	.AMDGPU.csdata,"",@progbits
; Kernel info:
; codeLenInByte = 0
; TotalNumSgprs: 0
; NumVgprs: 0
; ScratchSize: 0
; MemoryBound: 0
; FloatMode: 240
; IeeeMode: 1
; LDSByteSize: 0 bytes/workgroup (compile time only)
; SGPRBlocks: 0
; VGPRBlocks: 0
; NumSGPRsForWavesPerEU: 1
; NumVGPRsForWavesPerEU: 1
; NamedBarCnt: 0
; Occupancy: 16
; WaveLimiterHint : 0
; COMPUTE_PGM_RSRC2:SCRATCH_EN: 0
; COMPUTE_PGM_RSRC2:USER_SGPR: 2
; COMPUTE_PGM_RSRC2:TRAP_HANDLER: 0
; COMPUTE_PGM_RSRC2:TGID_X_EN: 1
; COMPUTE_PGM_RSRC2:TGID_Y_EN: 0
; COMPUTE_PGM_RSRC2:TGID_Z_EN: 0
; COMPUTE_PGM_RSRC2:TIDIG_COMP_CNT: 0
	.section	.text._ZN7rocprim17ROCPRIM_400000_NS6detail17trampoline_kernelINS0_14default_configENS1_25transform_config_selectorINS0_10empty_typeELb1EEEZNS1_14transform_implILb1ES3_S6_PS5_S8_NS0_8identityIS5_EEEE10hipError_tT2_T3_mT4_P12ihipStream_tbEUlT_E_NS1_11comp_targetILNS1_3genE3ELNS1_11target_archE908ELNS1_3gpuE7ELNS1_3repE0EEENS1_30default_config_static_selectorELNS0_4arch9wavefront6targetE0EEEvT1_,"axG",@progbits,_ZN7rocprim17ROCPRIM_400000_NS6detail17trampoline_kernelINS0_14default_configENS1_25transform_config_selectorINS0_10empty_typeELb1EEEZNS1_14transform_implILb1ES3_S6_PS5_S8_NS0_8identityIS5_EEEE10hipError_tT2_T3_mT4_P12ihipStream_tbEUlT_E_NS1_11comp_targetILNS1_3genE3ELNS1_11target_archE908ELNS1_3gpuE7ELNS1_3repE0EEENS1_30default_config_static_selectorELNS0_4arch9wavefront6targetE0EEEvT1_,comdat
	.protected	_ZN7rocprim17ROCPRIM_400000_NS6detail17trampoline_kernelINS0_14default_configENS1_25transform_config_selectorINS0_10empty_typeELb1EEEZNS1_14transform_implILb1ES3_S6_PS5_S8_NS0_8identityIS5_EEEE10hipError_tT2_T3_mT4_P12ihipStream_tbEUlT_E_NS1_11comp_targetILNS1_3genE3ELNS1_11target_archE908ELNS1_3gpuE7ELNS1_3repE0EEENS1_30default_config_static_selectorELNS0_4arch9wavefront6targetE0EEEvT1_ ; -- Begin function _ZN7rocprim17ROCPRIM_400000_NS6detail17trampoline_kernelINS0_14default_configENS1_25transform_config_selectorINS0_10empty_typeELb1EEEZNS1_14transform_implILb1ES3_S6_PS5_S8_NS0_8identityIS5_EEEE10hipError_tT2_T3_mT4_P12ihipStream_tbEUlT_E_NS1_11comp_targetILNS1_3genE3ELNS1_11target_archE908ELNS1_3gpuE7ELNS1_3repE0EEENS1_30default_config_static_selectorELNS0_4arch9wavefront6targetE0EEEvT1_
	.globl	_ZN7rocprim17ROCPRIM_400000_NS6detail17trampoline_kernelINS0_14default_configENS1_25transform_config_selectorINS0_10empty_typeELb1EEEZNS1_14transform_implILb1ES3_S6_PS5_S8_NS0_8identityIS5_EEEE10hipError_tT2_T3_mT4_P12ihipStream_tbEUlT_E_NS1_11comp_targetILNS1_3genE3ELNS1_11target_archE908ELNS1_3gpuE7ELNS1_3repE0EEENS1_30default_config_static_selectorELNS0_4arch9wavefront6targetE0EEEvT1_
	.p2align	8
	.type	_ZN7rocprim17ROCPRIM_400000_NS6detail17trampoline_kernelINS0_14default_configENS1_25transform_config_selectorINS0_10empty_typeELb1EEEZNS1_14transform_implILb1ES3_S6_PS5_S8_NS0_8identityIS5_EEEE10hipError_tT2_T3_mT4_P12ihipStream_tbEUlT_E_NS1_11comp_targetILNS1_3genE3ELNS1_11target_archE908ELNS1_3gpuE7ELNS1_3repE0EEENS1_30default_config_static_selectorELNS0_4arch9wavefront6targetE0EEEvT1_,@function
_ZN7rocprim17ROCPRIM_400000_NS6detail17trampoline_kernelINS0_14default_configENS1_25transform_config_selectorINS0_10empty_typeELb1EEEZNS1_14transform_implILb1ES3_S6_PS5_S8_NS0_8identityIS5_EEEE10hipError_tT2_T3_mT4_P12ihipStream_tbEUlT_E_NS1_11comp_targetILNS1_3genE3ELNS1_11target_archE908ELNS1_3gpuE7ELNS1_3repE0EEENS1_30default_config_static_selectorELNS0_4arch9wavefront6targetE0EEEvT1_: ; @_ZN7rocprim17ROCPRIM_400000_NS6detail17trampoline_kernelINS0_14default_configENS1_25transform_config_selectorINS0_10empty_typeELb1EEEZNS1_14transform_implILb1ES3_S6_PS5_S8_NS0_8identityIS5_EEEE10hipError_tT2_T3_mT4_P12ihipStream_tbEUlT_E_NS1_11comp_targetILNS1_3genE3ELNS1_11target_archE908ELNS1_3gpuE7ELNS1_3repE0EEENS1_30default_config_static_selectorELNS0_4arch9wavefront6targetE0EEEvT1_
; %bb.0:
	.section	.rodata,"a",@progbits
	.p2align	6, 0x0
	.amdhsa_kernel _ZN7rocprim17ROCPRIM_400000_NS6detail17trampoline_kernelINS0_14default_configENS1_25transform_config_selectorINS0_10empty_typeELb1EEEZNS1_14transform_implILb1ES3_S6_PS5_S8_NS0_8identityIS5_EEEE10hipError_tT2_T3_mT4_P12ihipStream_tbEUlT_E_NS1_11comp_targetILNS1_3genE3ELNS1_11target_archE908ELNS1_3gpuE7ELNS1_3repE0EEENS1_30default_config_static_selectorELNS0_4arch9wavefront6targetE0EEEvT1_
		.amdhsa_group_segment_fixed_size 0
		.amdhsa_private_segment_fixed_size 0
		.amdhsa_kernarg_size 40
		.amdhsa_user_sgpr_count 2
		.amdhsa_user_sgpr_dispatch_ptr 0
		.amdhsa_user_sgpr_queue_ptr 0
		.amdhsa_user_sgpr_kernarg_segment_ptr 1
		.amdhsa_user_sgpr_dispatch_id 0
		.amdhsa_user_sgpr_kernarg_preload_length 0
		.amdhsa_user_sgpr_kernarg_preload_offset 0
		.amdhsa_user_sgpr_private_segment_size 0
		.amdhsa_wavefront_size32 1
		.amdhsa_uses_dynamic_stack 0
		.amdhsa_enable_private_segment 0
		.amdhsa_system_sgpr_workgroup_id_x 1
		.amdhsa_system_sgpr_workgroup_id_y 0
		.amdhsa_system_sgpr_workgroup_id_z 0
		.amdhsa_system_sgpr_workgroup_info 0
		.amdhsa_system_vgpr_workitem_id 0
		.amdhsa_next_free_vgpr 1
		.amdhsa_next_free_sgpr 1
		.amdhsa_named_barrier_count 0
		.amdhsa_reserve_vcc 0
		.amdhsa_float_round_mode_32 0
		.amdhsa_float_round_mode_16_64 0
		.amdhsa_float_denorm_mode_32 3
		.amdhsa_float_denorm_mode_16_64 3
		.amdhsa_fp16_overflow 0
		.amdhsa_memory_ordered 1
		.amdhsa_forward_progress 1
		.amdhsa_inst_pref_size 0
		.amdhsa_round_robin_scheduling 0
		.amdhsa_exception_fp_ieee_invalid_op 0
		.amdhsa_exception_fp_denorm_src 0
		.amdhsa_exception_fp_ieee_div_zero 0
		.amdhsa_exception_fp_ieee_overflow 0
		.amdhsa_exception_fp_ieee_underflow 0
		.amdhsa_exception_fp_ieee_inexact 0
		.amdhsa_exception_int_div_zero 0
	.end_amdhsa_kernel
	.section	.text._ZN7rocprim17ROCPRIM_400000_NS6detail17trampoline_kernelINS0_14default_configENS1_25transform_config_selectorINS0_10empty_typeELb1EEEZNS1_14transform_implILb1ES3_S6_PS5_S8_NS0_8identityIS5_EEEE10hipError_tT2_T3_mT4_P12ihipStream_tbEUlT_E_NS1_11comp_targetILNS1_3genE3ELNS1_11target_archE908ELNS1_3gpuE7ELNS1_3repE0EEENS1_30default_config_static_selectorELNS0_4arch9wavefront6targetE0EEEvT1_,"axG",@progbits,_ZN7rocprim17ROCPRIM_400000_NS6detail17trampoline_kernelINS0_14default_configENS1_25transform_config_selectorINS0_10empty_typeELb1EEEZNS1_14transform_implILb1ES3_S6_PS5_S8_NS0_8identityIS5_EEEE10hipError_tT2_T3_mT4_P12ihipStream_tbEUlT_E_NS1_11comp_targetILNS1_3genE3ELNS1_11target_archE908ELNS1_3gpuE7ELNS1_3repE0EEENS1_30default_config_static_selectorELNS0_4arch9wavefront6targetE0EEEvT1_,comdat
.Lfunc_end54:
	.size	_ZN7rocprim17ROCPRIM_400000_NS6detail17trampoline_kernelINS0_14default_configENS1_25transform_config_selectorINS0_10empty_typeELb1EEEZNS1_14transform_implILb1ES3_S6_PS5_S8_NS0_8identityIS5_EEEE10hipError_tT2_T3_mT4_P12ihipStream_tbEUlT_E_NS1_11comp_targetILNS1_3genE3ELNS1_11target_archE908ELNS1_3gpuE7ELNS1_3repE0EEENS1_30default_config_static_selectorELNS0_4arch9wavefront6targetE0EEEvT1_, .Lfunc_end54-_ZN7rocprim17ROCPRIM_400000_NS6detail17trampoline_kernelINS0_14default_configENS1_25transform_config_selectorINS0_10empty_typeELb1EEEZNS1_14transform_implILb1ES3_S6_PS5_S8_NS0_8identityIS5_EEEE10hipError_tT2_T3_mT4_P12ihipStream_tbEUlT_E_NS1_11comp_targetILNS1_3genE3ELNS1_11target_archE908ELNS1_3gpuE7ELNS1_3repE0EEENS1_30default_config_static_selectorELNS0_4arch9wavefront6targetE0EEEvT1_
                                        ; -- End function
	.set _ZN7rocprim17ROCPRIM_400000_NS6detail17trampoline_kernelINS0_14default_configENS1_25transform_config_selectorINS0_10empty_typeELb1EEEZNS1_14transform_implILb1ES3_S6_PS5_S8_NS0_8identityIS5_EEEE10hipError_tT2_T3_mT4_P12ihipStream_tbEUlT_E_NS1_11comp_targetILNS1_3genE3ELNS1_11target_archE908ELNS1_3gpuE7ELNS1_3repE0EEENS1_30default_config_static_selectorELNS0_4arch9wavefront6targetE0EEEvT1_.num_vgpr, 0
	.set _ZN7rocprim17ROCPRIM_400000_NS6detail17trampoline_kernelINS0_14default_configENS1_25transform_config_selectorINS0_10empty_typeELb1EEEZNS1_14transform_implILb1ES3_S6_PS5_S8_NS0_8identityIS5_EEEE10hipError_tT2_T3_mT4_P12ihipStream_tbEUlT_E_NS1_11comp_targetILNS1_3genE3ELNS1_11target_archE908ELNS1_3gpuE7ELNS1_3repE0EEENS1_30default_config_static_selectorELNS0_4arch9wavefront6targetE0EEEvT1_.num_agpr, 0
	.set _ZN7rocprim17ROCPRIM_400000_NS6detail17trampoline_kernelINS0_14default_configENS1_25transform_config_selectorINS0_10empty_typeELb1EEEZNS1_14transform_implILb1ES3_S6_PS5_S8_NS0_8identityIS5_EEEE10hipError_tT2_T3_mT4_P12ihipStream_tbEUlT_E_NS1_11comp_targetILNS1_3genE3ELNS1_11target_archE908ELNS1_3gpuE7ELNS1_3repE0EEENS1_30default_config_static_selectorELNS0_4arch9wavefront6targetE0EEEvT1_.numbered_sgpr, 0
	.set _ZN7rocprim17ROCPRIM_400000_NS6detail17trampoline_kernelINS0_14default_configENS1_25transform_config_selectorINS0_10empty_typeELb1EEEZNS1_14transform_implILb1ES3_S6_PS5_S8_NS0_8identityIS5_EEEE10hipError_tT2_T3_mT4_P12ihipStream_tbEUlT_E_NS1_11comp_targetILNS1_3genE3ELNS1_11target_archE908ELNS1_3gpuE7ELNS1_3repE0EEENS1_30default_config_static_selectorELNS0_4arch9wavefront6targetE0EEEvT1_.num_named_barrier, 0
	.set _ZN7rocprim17ROCPRIM_400000_NS6detail17trampoline_kernelINS0_14default_configENS1_25transform_config_selectorINS0_10empty_typeELb1EEEZNS1_14transform_implILb1ES3_S6_PS5_S8_NS0_8identityIS5_EEEE10hipError_tT2_T3_mT4_P12ihipStream_tbEUlT_E_NS1_11comp_targetILNS1_3genE3ELNS1_11target_archE908ELNS1_3gpuE7ELNS1_3repE0EEENS1_30default_config_static_selectorELNS0_4arch9wavefront6targetE0EEEvT1_.private_seg_size, 0
	.set _ZN7rocprim17ROCPRIM_400000_NS6detail17trampoline_kernelINS0_14default_configENS1_25transform_config_selectorINS0_10empty_typeELb1EEEZNS1_14transform_implILb1ES3_S6_PS5_S8_NS0_8identityIS5_EEEE10hipError_tT2_T3_mT4_P12ihipStream_tbEUlT_E_NS1_11comp_targetILNS1_3genE3ELNS1_11target_archE908ELNS1_3gpuE7ELNS1_3repE0EEENS1_30default_config_static_selectorELNS0_4arch9wavefront6targetE0EEEvT1_.uses_vcc, 0
	.set _ZN7rocprim17ROCPRIM_400000_NS6detail17trampoline_kernelINS0_14default_configENS1_25transform_config_selectorINS0_10empty_typeELb1EEEZNS1_14transform_implILb1ES3_S6_PS5_S8_NS0_8identityIS5_EEEE10hipError_tT2_T3_mT4_P12ihipStream_tbEUlT_E_NS1_11comp_targetILNS1_3genE3ELNS1_11target_archE908ELNS1_3gpuE7ELNS1_3repE0EEENS1_30default_config_static_selectorELNS0_4arch9wavefront6targetE0EEEvT1_.uses_flat_scratch, 0
	.set _ZN7rocprim17ROCPRIM_400000_NS6detail17trampoline_kernelINS0_14default_configENS1_25transform_config_selectorINS0_10empty_typeELb1EEEZNS1_14transform_implILb1ES3_S6_PS5_S8_NS0_8identityIS5_EEEE10hipError_tT2_T3_mT4_P12ihipStream_tbEUlT_E_NS1_11comp_targetILNS1_3genE3ELNS1_11target_archE908ELNS1_3gpuE7ELNS1_3repE0EEENS1_30default_config_static_selectorELNS0_4arch9wavefront6targetE0EEEvT1_.has_dyn_sized_stack, 0
	.set _ZN7rocprim17ROCPRIM_400000_NS6detail17trampoline_kernelINS0_14default_configENS1_25transform_config_selectorINS0_10empty_typeELb1EEEZNS1_14transform_implILb1ES3_S6_PS5_S8_NS0_8identityIS5_EEEE10hipError_tT2_T3_mT4_P12ihipStream_tbEUlT_E_NS1_11comp_targetILNS1_3genE3ELNS1_11target_archE908ELNS1_3gpuE7ELNS1_3repE0EEENS1_30default_config_static_selectorELNS0_4arch9wavefront6targetE0EEEvT1_.has_recursion, 0
	.set _ZN7rocprim17ROCPRIM_400000_NS6detail17trampoline_kernelINS0_14default_configENS1_25transform_config_selectorINS0_10empty_typeELb1EEEZNS1_14transform_implILb1ES3_S6_PS5_S8_NS0_8identityIS5_EEEE10hipError_tT2_T3_mT4_P12ihipStream_tbEUlT_E_NS1_11comp_targetILNS1_3genE3ELNS1_11target_archE908ELNS1_3gpuE7ELNS1_3repE0EEENS1_30default_config_static_selectorELNS0_4arch9wavefront6targetE0EEEvT1_.has_indirect_call, 0
	.section	.AMDGPU.csdata,"",@progbits
; Kernel info:
; codeLenInByte = 0
; TotalNumSgprs: 0
; NumVgprs: 0
; ScratchSize: 0
; MemoryBound: 0
; FloatMode: 240
; IeeeMode: 1
; LDSByteSize: 0 bytes/workgroup (compile time only)
; SGPRBlocks: 0
; VGPRBlocks: 0
; NumSGPRsForWavesPerEU: 1
; NumVGPRsForWavesPerEU: 1
; NamedBarCnt: 0
; Occupancy: 16
; WaveLimiterHint : 0
; COMPUTE_PGM_RSRC2:SCRATCH_EN: 0
; COMPUTE_PGM_RSRC2:USER_SGPR: 2
; COMPUTE_PGM_RSRC2:TRAP_HANDLER: 0
; COMPUTE_PGM_RSRC2:TGID_X_EN: 1
; COMPUTE_PGM_RSRC2:TGID_Y_EN: 0
; COMPUTE_PGM_RSRC2:TGID_Z_EN: 0
; COMPUTE_PGM_RSRC2:TIDIG_COMP_CNT: 0
	.section	.text._ZN7rocprim17ROCPRIM_400000_NS6detail17trampoline_kernelINS0_14default_configENS1_25transform_config_selectorINS0_10empty_typeELb1EEEZNS1_14transform_implILb1ES3_S6_PS5_S8_NS0_8identityIS5_EEEE10hipError_tT2_T3_mT4_P12ihipStream_tbEUlT_E_NS1_11comp_targetILNS1_3genE2ELNS1_11target_archE906ELNS1_3gpuE6ELNS1_3repE0EEENS1_30default_config_static_selectorELNS0_4arch9wavefront6targetE0EEEvT1_,"axG",@progbits,_ZN7rocprim17ROCPRIM_400000_NS6detail17trampoline_kernelINS0_14default_configENS1_25transform_config_selectorINS0_10empty_typeELb1EEEZNS1_14transform_implILb1ES3_S6_PS5_S8_NS0_8identityIS5_EEEE10hipError_tT2_T3_mT4_P12ihipStream_tbEUlT_E_NS1_11comp_targetILNS1_3genE2ELNS1_11target_archE906ELNS1_3gpuE6ELNS1_3repE0EEENS1_30default_config_static_selectorELNS0_4arch9wavefront6targetE0EEEvT1_,comdat
	.protected	_ZN7rocprim17ROCPRIM_400000_NS6detail17trampoline_kernelINS0_14default_configENS1_25transform_config_selectorINS0_10empty_typeELb1EEEZNS1_14transform_implILb1ES3_S6_PS5_S8_NS0_8identityIS5_EEEE10hipError_tT2_T3_mT4_P12ihipStream_tbEUlT_E_NS1_11comp_targetILNS1_3genE2ELNS1_11target_archE906ELNS1_3gpuE6ELNS1_3repE0EEENS1_30default_config_static_selectorELNS0_4arch9wavefront6targetE0EEEvT1_ ; -- Begin function _ZN7rocprim17ROCPRIM_400000_NS6detail17trampoline_kernelINS0_14default_configENS1_25transform_config_selectorINS0_10empty_typeELb1EEEZNS1_14transform_implILb1ES3_S6_PS5_S8_NS0_8identityIS5_EEEE10hipError_tT2_T3_mT4_P12ihipStream_tbEUlT_E_NS1_11comp_targetILNS1_3genE2ELNS1_11target_archE906ELNS1_3gpuE6ELNS1_3repE0EEENS1_30default_config_static_selectorELNS0_4arch9wavefront6targetE0EEEvT1_
	.globl	_ZN7rocprim17ROCPRIM_400000_NS6detail17trampoline_kernelINS0_14default_configENS1_25transform_config_selectorINS0_10empty_typeELb1EEEZNS1_14transform_implILb1ES3_S6_PS5_S8_NS0_8identityIS5_EEEE10hipError_tT2_T3_mT4_P12ihipStream_tbEUlT_E_NS1_11comp_targetILNS1_3genE2ELNS1_11target_archE906ELNS1_3gpuE6ELNS1_3repE0EEENS1_30default_config_static_selectorELNS0_4arch9wavefront6targetE0EEEvT1_
	.p2align	8
	.type	_ZN7rocprim17ROCPRIM_400000_NS6detail17trampoline_kernelINS0_14default_configENS1_25transform_config_selectorINS0_10empty_typeELb1EEEZNS1_14transform_implILb1ES3_S6_PS5_S8_NS0_8identityIS5_EEEE10hipError_tT2_T3_mT4_P12ihipStream_tbEUlT_E_NS1_11comp_targetILNS1_3genE2ELNS1_11target_archE906ELNS1_3gpuE6ELNS1_3repE0EEENS1_30default_config_static_selectorELNS0_4arch9wavefront6targetE0EEEvT1_,@function
_ZN7rocprim17ROCPRIM_400000_NS6detail17trampoline_kernelINS0_14default_configENS1_25transform_config_selectorINS0_10empty_typeELb1EEEZNS1_14transform_implILb1ES3_S6_PS5_S8_NS0_8identityIS5_EEEE10hipError_tT2_T3_mT4_P12ihipStream_tbEUlT_E_NS1_11comp_targetILNS1_3genE2ELNS1_11target_archE906ELNS1_3gpuE6ELNS1_3repE0EEENS1_30default_config_static_selectorELNS0_4arch9wavefront6targetE0EEEvT1_: ; @_ZN7rocprim17ROCPRIM_400000_NS6detail17trampoline_kernelINS0_14default_configENS1_25transform_config_selectorINS0_10empty_typeELb1EEEZNS1_14transform_implILb1ES3_S6_PS5_S8_NS0_8identityIS5_EEEE10hipError_tT2_T3_mT4_P12ihipStream_tbEUlT_E_NS1_11comp_targetILNS1_3genE2ELNS1_11target_archE906ELNS1_3gpuE6ELNS1_3repE0EEENS1_30default_config_static_selectorELNS0_4arch9wavefront6targetE0EEEvT1_
; %bb.0:
	.section	.rodata,"a",@progbits
	.p2align	6, 0x0
	.amdhsa_kernel _ZN7rocprim17ROCPRIM_400000_NS6detail17trampoline_kernelINS0_14default_configENS1_25transform_config_selectorINS0_10empty_typeELb1EEEZNS1_14transform_implILb1ES3_S6_PS5_S8_NS0_8identityIS5_EEEE10hipError_tT2_T3_mT4_P12ihipStream_tbEUlT_E_NS1_11comp_targetILNS1_3genE2ELNS1_11target_archE906ELNS1_3gpuE6ELNS1_3repE0EEENS1_30default_config_static_selectorELNS0_4arch9wavefront6targetE0EEEvT1_
		.amdhsa_group_segment_fixed_size 0
		.amdhsa_private_segment_fixed_size 0
		.amdhsa_kernarg_size 40
		.amdhsa_user_sgpr_count 2
		.amdhsa_user_sgpr_dispatch_ptr 0
		.amdhsa_user_sgpr_queue_ptr 0
		.amdhsa_user_sgpr_kernarg_segment_ptr 1
		.amdhsa_user_sgpr_dispatch_id 0
		.amdhsa_user_sgpr_kernarg_preload_length 0
		.amdhsa_user_sgpr_kernarg_preload_offset 0
		.amdhsa_user_sgpr_private_segment_size 0
		.amdhsa_wavefront_size32 1
		.amdhsa_uses_dynamic_stack 0
		.amdhsa_enable_private_segment 0
		.amdhsa_system_sgpr_workgroup_id_x 1
		.amdhsa_system_sgpr_workgroup_id_y 0
		.amdhsa_system_sgpr_workgroup_id_z 0
		.amdhsa_system_sgpr_workgroup_info 0
		.amdhsa_system_vgpr_workitem_id 0
		.amdhsa_next_free_vgpr 1
		.amdhsa_next_free_sgpr 1
		.amdhsa_named_barrier_count 0
		.amdhsa_reserve_vcc 0
		.amdhsa_float_round_mode_32 0
		.amdhsa_float_round_mode_16_64 0
		.amdhsa_float_denorm_mode_32 3
		.amdhsa_float_denorm_mode_16_64 3
		.amdhsa_fp16_overflow 0
		.amdhsa_memory_ordered 1
		.amdhsa_forward_progress 1
		.amdhsa_inst_pref_size 0
		.amdhsa_round_robin_scheduling 0
		.amdhsa_exception_fp_ieee_invalid_op 0
		.amdhsa_exception_fp_denorm_src 0
		.amdhsa_exception_fp_ieee_div_zero 0
		.amdhsa_exception_fp_ieee_overflow 0
		.amdhsa_exception_fp_ieee_underflow 0
		.amdhsa_exception_fp_ieee_inexact 0
		.amdhsa_exception_int_div_zero 0
	.end_amdhsa_kernel
	.section	.text._ZN7rocprim17ROCPRIM_400000_NS6detail17trampoline_kernelINS0_14default_configENS1_25transform_config_selectorINS0_10empty_typeELb1EEEZNS1_14transform_implILb1ES3_S6_PS5_S8_NS0_8identityIS5_EEEE10hipError_tT2_T3_mT4_P12ihipStream_tbEUlT_E_NS1_11comp_targetILNS1_3genE2ELNS1_11target_archE906ELNS1_3gpuE6ELNS1_3repE0EEENS1_30default_config_static_selectorELNS0_4arch9wavefront6targetE0EEEvT1_,"axG",@progbits,_ZN7rocprim17ROCPRIM_400000_NS6detail17trampoline_kernelINS0_14default_configENS1_25transform_config_selectorINS0_10empty_typeELb1EEEZNS1_14transform_implILb1ES3_S6_PS5_S8_NS0_8identityIS5_EEEE10hipError_tT2_T3_mT4_P12ihipStream_tbEUlT_E_NS1_11comp_targetILNS1_3genE2ELNS1_11target_archE906ELNS1_3gpuE6ELNS1_3repE0EEENS1_30default_config_static_selectorELNS0_4arch9wavefront6targetE0EEEvT1_,comdat
.Lfunc_end55:
	.size	_ZN7rocprim17ROCPRIM_400000_NS6detail17trampoline_kernelINS0_14default_configENS1_25transform_config_selectorINS0_10empty_typeELb1EEEZNS1_14transform_implILb1ES3_S6_PS5_S8_NS0_8identityIS5_EEEE10hipError_tT2_T3_mT4_P12ihipStream_tbEUlT_E_NS1_11comp_targetILNS1_3genE2ELNS1_11target_archE906ELNS1_3gpuE6ELNS1_3repE0EEENS1_30default_config_static_selectorELNS0_4arch9wavefront6targetE0EEEvT1_, .Lfunc_end55-_ZN7rocprim17ROCPRIM_400000_NS6detail17trampoline_kernelINS0_14default_configENS1_25transform_config_selectorINS0_10empty_typeELb1EEEZNS1_14transform_implILb1ES3_S6_PS5_S8_NS0_8identityIS5_EEEE10hipError_tT2_T3_mT4_P12ihipStream_tbEUlT_E_NS1_11comp_targetILNS1_3genE2ELNS1_11target_archE906ELNS1_3gpuE6ELNS1_3repE0EEENS1_30default_config_static_selectorELNS0_4arch9wavefront6targetE0EEEvT1_
                                        ; -- End function
	.set _ZN7rocprim17ROCPRIM_400000_NS6detail17trampoline_kernelINS0_14default_configENS1_25transform_config_selectorINS0_10empty_typeELb1EEEZNS1_14transform_implILb1ES3_S6_PS5_S8_NS0_8identityIS5_EEEE10hipError_tT2_T3_mT4_P12ihipStream_tbEUlT_E_NS1_11comp_targetILNS1_3genE2ELNS1_11target_archE906ELNS1_3gpuE6ELNS1_3repE0EEENS1_30default_config_static_selectorELNS0_4arch9wavefront6targetE0EEEvT1_.num_vgpr, 0
	.set _ZN7rocprim17ROCPRIM_400000_NS6detail17trampoline_kernelINS0_14default_configENS1_25transform_config_selectorINS0_10empty_typeELb1EEEZNS1_14transform_implILb1ES3_S6_PS5_S8_NS0_8identityIS5_EEEE10hipError_tT2_T3_mT4_P12ihipStream_tbEUlT_E_NS1_11comp_targetILNS1_3genE2ELNS1_11target_archE906ELNS1_3gpuE6ELNS1_3repE0EEENS1_30default_config_static_selectorELNS0_4arch9wavefront6targetE0EEEvT1_.num_agpr, 0
	.set _ZN7rocprim17ROCPRIM_400000_NS6detail17trampoline_kernelINS0_14default_configENS1_25transform_config_selectorINS0_10empty_typeELb1EEEZNS1_14transform_implILb1ES3_S6_PS5_S8_NS0_8identityIS5_EEEE10hipError_tT2_T3_mT4_P12ihipStream_tbEUlT_E_NS1_11comp_targetILNS1_3genE2ELNS1_11target_archE906ELNS1_3gpuE6ELNS1_3repE0EEENS1_30default_config_static_selectorELNS0_4arch9wavefront6targetE0EEEvT1_.numbered_sgpr, 0
	.set _ZN7rocprim17ROCPRIM_400000_NS6detail17trampoline_kernelINS0_14default_configENS1_25transform_config_selectorINS0_10empty_typeELb1EEEZNS1_14transform_implILb1ES3_S6_PS5_S8_NS0_8identityIS5_EEEE10hipError_tT2_T3_mT4_P12ihipStream_tbEUlT_E_NS1_11comp_targetILNS1_3genE2ELNS1_11target_archE906ELNS1_3gpuE6ELNS1_3repE0EEENS1_30default_config_static_selectorELNS0_4arch9wavefront6targetE0EEEvT1_.num_named_barrier, 0
	.set _ZN7rocprim17ROCPRIM_400000_NS6detail17trampoline_kernelINS0_14default_configENS1_25transform_config_selectorINS0_10empty_typeELb1EEEZNS1_14transform_implILb1ES3_S6_PS5_S8_NS0_8identityIS5_EEEE10hipError_tT2_T3_mT4_P12ihipStream_tbEUlT_E_NS1_11comp_targetILNS1_3genE2ELNS1_11target_archE906ELNS1_3gpuE6ELNS1_3repE0EEENS1_30default_config_static_selectorELNS0_4arch9wavefront6targetE0EEEvT1_.private_seg_size, 0
	.set _ZN7rocprim17ROCPRIM_400000_NS6detail17trampoline_kernelINS0_14default_configENS1_25transform_config_selectorINS0_10empty_typeELb1EEEZNS1_14transform_implILb1ES3_S6_PS5_S8_NS0_8identityIS5_EEEE10hipError_tT2_T3_mT4_P12ihipStream_tbEUlT_E_NS1_11comp_targetILNS1_3genE2ELNS1_11target_archE906ELNS1_3gpuE6ELNS1_3repE0EEENS1_30default_config_static_selectorELNS0_4arch9wavefront6targetE0EEEvT1_.uses_vcc, 0
	.set _ZN7rocprim17ROCPRIM_400000_NS6detail17trampoline_kernelINS0_14default_configENS1_25transform_config_selectorINS0_10empty_typeELb1EEEZNS1_14transform_implILb1ES3_S6_PS5_S8_NS0_8identityIS5_EEEE10hipError_tT2_T3_mT4_P12ihipStream_tbEUlT_E_NS1_11comp_targetILNS1_3genE2ELNS1_11target_archE906ELNS1_3gpuE6ELNS1_3repE0EEENS1_30default_config_static_selectorELNS0_4arch9wavefront6targetE0EEEvT1_.uses_flat_scratch, 0
	.set _ZN7rocprim17ROCPRIM_400000_NS6detail17trampoline_kernelINS0_14default_configENS1_25transform_config_selectorINS0_10empty_typeELb1EEEZNS1_14transform_implILb1ES3_S6_PS5_S8_NS0_8identityIS5_EEEE10hipError_tT2_T3_mT4_P12ihipStream_tbEUlT_E_NS1_11comp_targetILNS1_3genE2ELNS1_11target_archE906ELNS1_3gpuE6ELNS1_3repE0EEENS1_30default_config_static_selectorELNS0_4arch9wavefront6targetE0EEEvT1_.has_dyn_sized_stack, 0
	.set _ZN7rocprim17ROCPRIM_400000_NS6detail17trampoline_kernelINS0_14default_configENS1_25transform_config_selectorINS0_10empty_typeELb1EEEZNS1_14transform_implILb1ES3_S6_PS5_S8_NS0_8identityIS5_EEEE10hipError_tT2_T3_mT4_P12ihipStream_tbEUlT_E_NS1_11comp_targetILNS1_3genE2ELNS1_11target_archE906ELNS1_3gpuE6ELNS1_3repE0EEENS1_30default_config_static_selectorELNS0_4arch9wavefront6targetE0EEEvT1_.has_recursion, 0
	.set _ZN7rocprim17ROCPRIM_400000_NS6detail17trampoline_kernelINS0_14default_configENS1_25transform_config_selectorINS0_10empty_typeELb1EEEZNS1_14transform_implILb1ES3_S6_PS5_S8_NS0_8identityIS5_EEEE10hipError_tT2_T3_mT4_P12ihipStream_tbEUlT_E_NS1_11comp_targetILNS1_3genE2ELNS1_11target_archE906ELNS1_3gpuE6ELNS1_3repE0EEENS1_30default_config_static_selectorELNS0_4arch9wavefront6targetE0EEEvT1_.has_indirect_call, 0
	.section	.AMDGPU.csdata,"",@progbits
; Kernel info:
; codeLenInByte = 0
; TotalNumSgprs: 0
; NumVgprs: 0
; ScratchSize: 0
; MemoryBound: 0
; FloatMode: 240
; IeeeMode: 1
; LDSByteSize: 0 bytes/workgroup (compile time only)
; SGPRBlocks: 0
; VGPRBlocks: 0
; NumSGPRsForWavesPerEU: 1
; NumVGPRsForWavesPerEU: 1
; NamedBarCnt: 0
; Occupancy: 16
; WaveLimiterHint : 0
; COMPUTE_PGM_RSRC2:SCRATCH_EN: 0
; COMPUTE_PGM_RSRC2:USER_SGPR: 2
; COMPUTE_PGM_RSRC2:TRAP_HANDLER: 0
; COMPUTE_PGM_RSRC2:TGID_X_EN: 1
; COMPUTE_PGM_RSRC2:TGID_Y_EN: 0
; COMPUTE_PGM_RSRC2:TGID_Z_EN: 0
; COMPUTE_PGM_RSRC2:TIDIG_COMP_CNT: 0
	.section	.text._ZN7rocprim17ROCPRIM_400000_NS6detail17trampoline_kernelINS0_14default_configENS1_25transform_config_selectorINS0_10empty_typeELb1EEEZNS1_14transform_implILb1ES3_S6_PS5_S8_NS0_8identityIS5_EEEE10hipError_tT2_T3_mT4_P12ihipStream_tbEUlT_E_NS1_11comp_targetILNS1_3genE9ELNS1_11target_archE1100ELNS1_3gpuE3ELNS1_3repE0EEENS1_30default_config_static_selectorELNS0_4arch9wavefront6targetE0EEEvT1_,"axG",@progbits,_ZN7rocprim17ROCPRIM_400000_NS6detail17trampoline_kernelINS0_14default_configENS1_25transform_config_selectorINS0_10empty_typeELb1EEEZNS1_14transform_implILb1ES3_S6_PS5_S8_NS0_8identityIS5_EEEE10hipError_tT2_T3_mT4_P12ihipStream_tbEUlT_E_NS1_11comp_targetILNS1_3genE9ELNS1_11target_archE1100ELNS1_3gpuE3ELNS1_3repE0EEENS1_30default_config_static_selectorELNS0_4arch9wavefront6targetE0EEEvT1_,comdat
	.protected	_ZN7rocprim17ROCPRIM_400000_NS6detail17trampoline_kernelINS0_14default_configENS1_25transform_config_selectorINS0_10empty_typeELb1EEEZNS1_14transform_implILb1ES3_S6_PS5_S8_NS0_8identityIS5_EEEE10hipError_tT2_T3_mT4_P12ihipStream_tbEUlT_E_NS1_11comp_targetILNS1_3genE9ELNS1_11target_archE1100ELNS1_3gpuE3ELNS1_3repE0EEENS1_30default_config_static_selectorELNS0_4arch9wavefront6targetE0EEEvT1_ ; -- Begin function _ZN7rocprim17ROCPRIM_400000_NS6detail17trampoline_kernelINS0_14default_configENS1_25transform_config_selectorINS0_10empty_typeELb1EEEZNS1_14transform_implILb1ES3_S6_PS5_S8_NS0_8identityIS5_EEEE10hipError_tT2_T3_mT4_P12ihipStream_tbEUlT_E_NS1_11comp_targetILNS1_3genE9ELNS1_11target_archE1100ELNS1_3gpuE3ELNS1_3repE0EEENS1_30default_config_static_selectorELNS0_4arch9wavefront6targetE0EEEvT1_
	.globl	_ZN7rocprim17ROCPRIM_400000_NS6detail17trampoline_kernelINS0_14default_configENS1_25transform_config_selectorINS0_10empty_typeELb1EEEZNS1_14transform_implILb1ES3_S6_PS5_S8_NS0_8identityIS5_EEEE10hipError_tT2_T3_mT4_P12ihipStream_tbEUlT_E_NS1_11comp_targetILNS1_3genE9ELNS1_11target_archE1100ELNS1_3gpuE3ELNS1_3repE0EEENS1_30default_config_static_selectorELNS0_4arch9wavefront6targetE0EEEvT1_
	.p2align	8
	.type	_ZN7rocprim17ROCPRIM_400000_NS6detail17trampoline_kernelINS0_14default_configENS1_25transform_config_selectorINS0_10empty_typeELb1EEEZNS1_14transform_implILb1ES3_S6_PS5_S8_NS0_8identityIS5_EEEE10hipError_tT2_T3_mT4_P12ihipStream_tbEUlT_E_NS1_11comp_targetILNS1_3genE9ELNS1_11target_archE1100ELNS1_3gpuE3ELNS1_3repE0EEENS1_30default_config_static_selectorELNS0_4arch9wavefront6targetE0EEEvT1_,@function
_ZN7rocprim17ROCPRIM_400000_NS6detail17trampoline_kernelINS0_14default_configENS1_25transform_config_selectorINS0_10empty_typeELb1EEEZNS1_14transform_implILb1ES3_S6_PS5_S8_NS0_8identityIS5_EEEE10hipError_tT2_T3_mT4_P12ihipStream_tbEUlT_E_NS1_11comp_targetILNS1_3genE9ELNS1_11target_archE1100ELNS1_3gpuE3ELNS1_3repE0EEENS1_30default_config_static_selectorELNS0_4arch9wavefront6targetE0EEEvT1_: ; @_ZN7rocprim17ROCPRIM_400000_NS6detail17trampoline_kernelINS0_14default_configENS1_25transform_config_selectorINS0_10empty_typeELb1EEEZNS1_14transform_implILb1ES3_S6_PS5_S8_NS0_8identityIS5_EEEE10hipError_tT2_T3_mT4_P12ihipStream_tbEUlT_E_NS1_11comp_targetILNS1_3genE9ELNS1_11target_archE1100ELNS1_3gpuE3ELNS1_3repE0EEENS1_30default_config_static_selectorELNS0_4arch9wavefront6targetE0EEEvT1_
; %bb.0:
	.section	.rodata,"a",@progbits
	.p2align	6, 0x0
	.amdhsa_kernel _ZN7rocprim17ROCPRIM_400000_NS6detail17trampoline_kernelINS0_14default_configENS1_25transform_config_selectorINS0_10empty_typeELb1EEEZNS1_14transform_implILb1ES3_S6_PS5_S8_NS0_8identityIS5_EEEE10hipError_tT2_T3_mT4_P12ihipStream_tbEUlT_E_NS1_11comp_targetILNS1_3genE9ELNS1_11target_archE1100ELNS1_3gpuE3ELNS1_3repE0EEENS1_30default_config_static_selectorELNS0_4arch9wavefront6targetE0EEEvT1_
		.amdhsa_group_segment_fixed_size 0
		.amdhsa_private_segment_fixed_size 0
		.amdhsa_kernarg_size 40
		.amdhsa_user_sgpr_count 2
		.amdhsa_user_sgpr_dispatch_ptr 0
		.amdhsa_user_sgpr_queue_ptr 0
		.amdhsa_user_sgpr_kernarg_segment_ptr 1
		.amdhsa_user_sgpr_dispatch_id 0
		.amdhsa_user_sgpr_kernarg_preload_length 0
		.amdhsa_user_sgpr_kernarg_preload_offset 0
		.amdhsa_user_sgpr_private_segment_size 0
		.amdhsa_wavefront_size32 1
		.amdhsa_uses_dynamic_stack 0
		.amdhsa_enable_private_segment 0
		.amdhsa_system_sgpr_workgroup_id_x 1
		.amdhsa_system_sgpr_workgroup_id_y 0
		.amdhsa_system_sgpr_workgroup_id_z 0
		.amdhsa_system_sgpr_workgroup_info 0
		.amdhsa_system_vgpr_workitem_id 0
		.amdhsa_next_free_vgpr 1
		.amdhsa_next_free_sgpr 1
		.amdhsa_named_barrier_count 0
		.amdhsa_reserve_vcc 0
		.amdhsa_float_round_mode_32 0
		.amdhsa_float_round_mode_16_64 0
		.amdhsa_float_denorm_mode_32 3
		.amdhsa_float_denorm_mode_16_64 3
		.amdhsa_fp16_overflow 0
		.amdhsa_memory_ordered 1
		.amdhsa_forward_progress 1
		.amdhsa_inst_pref_size 0
		.amdhsa_round_robin_scheduling 0
		.amdhsa_exception_fp_ieee_invalid_op 0
		.amdhsa_exception_fp_denorm_src 0
		.amdhsa_exception_fp_ieee_div_zero 0
		.amdhsa_exception_fp_ieee_overflow 0
		.amdhsa_exception_fp_ieee_underflow 0
		.amdhsa_exception_fp_ieee_inexact 0
		.amdhsa_exception_int_div_zero 0
	.end_amdhsa_kernel
	.section	.text._ZN7rocprim17ROCPRIM_400000_NS6detail17trampoline_kernelINS0_14default_configENS1_25transform_config_selectorINS0_10empty_typeELb1EEEZNS1_14transform_implILb1ES3_S6_PS5_S8_NS0_8identityIS5_EEEE10hipError_tT2_T3_mT4_P12ihipStream_tbEUlT_E_NS1_11comp_targetILNS1_3genE9ELNS1_11target_archE1100ELNS1_3gpuE3ELNS1_3repE0EEENS1_30default_config_static_selectorELNS0_4arch9wavefront6targetE0EEEvT1_,"axG",@progbits,_ZN7rocprim17ROCPRIM_400000_NS6detail17trampoline_kernelINS0_14default_configENS1_25transform_config_selectorINS0_10empty_typeELb1EEEZNS1_14transform_implILb1ES3_S6_PS5_S8_NS0_8identityIS5_EEEE10hipError_tT2_T3_mT4_P12ihipStream_tbEUlT_E_NS1_11comp_targetILNS1_3genE9ELNS1_11target_archE1100ELNS1_3gpuE3ELNS1_3repE0EEENS1_30default_config_static_selectorELNS0_4arch9wavefront6targetE0EEEvT1_,comdat
.Lfunc_end56:
	.size	_ZN7rocprim17ROCPRIM_400000_NS6detail17trampoline_kernelINS0_14default_configENS1_25transform_config_selectorINS0_10empty_typeELb1EEEZNS1_14transform_implILb1ES3_S6_PS5_S8_NS0_8identityIS5_EEEE10hipError_tT2_T3_mT4_P12ihipStream_tbEUlT_E_NS1_11comp_targetILNS1_3genE9ELNS1_11target_archE1100ELNS1_3gpuE3ELNS1_3repE0EEENS1_30default_config_static_selectorELNS0_4arch9wavefront6targetE0EEEvT1_, .Lfunc_end56-_ZN7rocprim17ROCPRIM_400000_NS6detail17trampoline_kernelINS0_14default_configENS1_25transform_config_selectorINS0_10empty_typeELb1EEEZNS1_14transform_implILb1ES3_S6_PS5_S8_NS0_8identityIS5_EEEE10hipError_tT2_T3_mT4_P12ihipStream_tbEUlT_E_NS1_11comp_targetILNS1_3genE9ELNS1_11target_archE1100ELNS1_3gpuE3ELNS1_3repE0EEENS1_30default_config_static_selectorELNS0_4arch9wavefront6targetE0EEEvT1_
                                        ; -- End function
	.set _ZN7rocprim17ROCPRIM_400000_NS6detail17trampoline_kernelINS0_14default_configENS1_25transform_config_selectorINS0_10empty_typeELb1EEEZNS1_14transform_implILb1ES3_S6_PS5_S8_NS0_8identityIS5_EEEE10hipError_tT2_T3_mT4_P12ihipStream_tbEUlT_E_NS1_11comp_targetILNS1_3genE9ELNS1_11target_archE1100ELNS1_3gpuE3ELNS1_3repE0EEENS1_30default_config_static_selectorELNS0_4arch9wavefront6targetE0EEEvT1_.num_vgpr, 0
	.set _ZN7rocprim17ROCPRIM_400000_NS6detail17trampoline_kernelINS0_14default_configENS1_25transform_config_selectorINS0_10empty_typeELb1EEEZNS1_14transform_implILb1ES3_S6_PS5_S8_NS0_8identityIS5_EEEE10hipError_tT2_T3_mT4_P12ihipStream_tbEUlT_E_NS1_11comp_targetILNS1_3genE9ELNS1_11target_archE1100ELNS1_3gpuE3ELNS1_3repE0EEENS1_30default_config_static_selectorELNS0_4arch9wavefront6targetE0EEEvT1_.num_agpr, 0
	.set _ZN7rocprim17ROCPRIM_400000_NS6detail17trampoline_kernelINS0_14default_configENS1_25transform_config_selectorINS0_10empty_typeELb1EEEZNS1_14transform_implILb1ES3_S6_PS5_S8_NS0_8identityIS5_EEEE10hipError_tT2_T3_mT4_P12ihipStream_tbEUlT_E_NS1_11comp_targetILNS1_3genE9ELNS1_11target_archE1100ELNS1_3gpuE3ELNS1_3repE0EEENS1_30default_config_static_selectorELNS0_4arch9wavefront6targetE0EEEvT1_.numbered_sgpr, 0
	.set _ZN7rocprim17ROCPRIM_400000_NS6detail17trampoline_kernelINS0_14default_configENS1_25transform_config_selectorINS0_10empty_typeELb1EEEZNS1_14transform_implILb1ES3_S6_PS5_S8_NS0_8identityIS5_EEEE10hipError_tT2_T3_mT4_P12ihipStream_tbEUlT_E_NS1_11comp_targetILNS1_3genE9ELNS1_11target_archE1100ELNS1_3gpuE3ELNS1_3repE0EEENS1_30default_config_static_selectorELNS0_4arch9wavefront6targetE0EEEvT1_.num_named_barrier, 0
	.set _ZN7rocprim17ROCPRIM_400000_NS6detail17trampoline_kernelINS0_14default_configENS1_25transform_config_selectorINS0_10empty_typeELb1EEEZNS1_14transform_implILb1ES3_S6_PS5_S8_NS0_8identityIS5_EEEE10hipError_tT2_T3_mT4_P12ihipStream_tbEUlT_E_NS1_11comp_targetILNS1_3genE9ELNS1_11target_archE1100ELNS1_3gpuE3ELNS1_3repE0EEENS1_30default_config_static_selectorELNS0_4arch9wavefront6targetE0EEEvT1_.private_seg_size, 0
	.set _ZN7rocprim17ROCPRIM_400000_NS6detail17trampoline_kernelINS0_14default_configENS1_25transform_config_selectorINS0_10empty_typeELb1EEEZNS1_14transform_implILb1ES3_S6_PS5_S8_NS0_8identityIS5_EEEE10hipError_tT2_T3_mT4_P12ihipStream_tbEUlT_E_NS1_11comp_targetILNS1_3genE9ELNS1_11target_archE1100ELNS1_3gpuE3ELNS1_3repE0EEENS1_30default_config_static_selectorELNS0_4arch9wavefront6targetE0EEEvT1_.uses_vcc, 0
	.set _ZN7rocprim17ROCPRIM_400000_NS6detail17trampoline_kernelINS0_14default_configENS1_25transform_config_selectorINS0_10empty_typeELb1EEEZNS1_14transform_implILb1ES3_S6_PS5_S8_NS0_8identityIS5_EEEE10hipError_tT2_T3_mT4_P12ihipStream_tbEUlT_E_NS1_11comp_targetILNS1_3genE9ELNS1_11target_archE1100ELNS1_3gpuE3ELNS1_3repE0EEENS1_30default_config_static_selectorELNS0_4arch9wavefront6targetE0EEEvT1_.uses_flat_scratch, 0
	.set _ZN7rocprim17ROCPRIM_400000_NS6detail17trampoline_kernelINS0_14default_configENS1_25transform_config_selectorINS0_10empty_typeELb1EEEZNS1_14transform_implILb1ES3_S6_PS5_S8_NS0_8identityIS5_EEEE10hipError_tT2_T3_mT4_P12ihipStream_tbEUlT_E_NS1_11comp_targetILNS1_3genE9ELNS1_11target_archE1100ELNS1_3gpuE3ELNS1_3repE0EEENS1_30default_config_static_selectorELNS0_4arch9wavefront6targetE0EEEvT1_.has_dyn_sized_stack, 0
	.set _ZN7rocprim17ROCPRIM_400000_NS6detail17trampoline_kernelINS0_14default_configENS1_25transform_config_selectorINS0_10empty_typeELb1EEEZNS1_14transform_implILb1ES3_S6_PS5_S8_NS0_8identityIS5_EEEE10hipError_tT2_T3_mT4_P12ihipStream_tbEUlT_E_NS1_11comp_targetILNS1_3genE9ELNS1_11target_archE1100ELNS1_3gpuE3ELNS1_3repE0EEENS1_30default_config_static_selectorELNS0_4arch9wavefront6targetE0EEEvT1_.has_recursion, 0
	.set _ZN7rocprim17ROCPRIM_400000_NS6detail17trampoline_kernelINS0_14default_configENS1_25transform_config_selectorINS0_10empty_typeELb1EEEZNS1_14transform_implILb1ES3_S6_PS5_S8_NS0_8identityIS5_EEEE10hipError_tT2_T3_mT4_P12ihipStream_tbEUlT_E_NS1_11comp_targetILNS1_3genE9ELNS1_11target_archE1100ELNS1_3gpuE3ELNS1_3repE0EEENS1_30default_config_static_selectorELNS0_4arch9wavefront6targetE0EEEvT1_.has_indirect_call, 0
	.section	.AMDGPU.csdata,"",@progbits
; Kernel info:
; codeLenInByte = 0
; TotalNumSgprs: 0
; NumVgprs: 0
; ScratchSize: 0
; MemoryBound: 0
; FloatMode: 240
; IeeeMode: 1
; LDSByteSize: 0 bytes/workgroup (compile time only)
; SGPRBlocks: 0
; VGPRBlocks: 0
; NumSGPRsForWavesPerEU: 1
; NumVGPRsForWavesPerEU: 1
; NamedBarCnt: 0
; Occupancy: 16
; WaveLimiterHint : 0
; COMPUTE_PGM_RSRC2:SCRATCH_EN: 0
; COMPUTE_PGM_RSRC2:USER_SGPR: 2
; COMPUTE_PGM_RSRC2:TRAP_HANDLER: 0
; COMPUTE_PGM_RSRC2:TGID_X_EN: 1
; COMPUTE_PGM_RSRC2:TGID_Y_EN: 0
; COMPUTE_PGM_RSRC2:TGID_Z_EN: 0
; COMPUTE_PGM_RSRC2:TIDIG_COMP_CNT: 0
	.section	.text._ZN7rocprim17ROCPRIM_400000_NS6detail17trampoline_kernelINS0_14default_configENS1_25transform_config_selectorINS0_10empty_typeELb1EEEZNS1_14transform_implILb1ES3_S6_PS5_S8_NS0_8identityIS5_EEEE10hipError_tT2_T3_mT4_P12ihipStream_tbEUlT_E_NS1_11comp_targetILNS1_3genE8ELNS1_11target_archE1030ELNS1_3gpuE2ELNS1_3repE0EEENS1_30default_config_static_selectorELNS0_4arch9wavefront6targetE0EEEvT1_,"axG",@progbits,_ZN7rocprim17ROCPRIM_400000_NS6detail17trampoline_kernelINS0_14default_configENS1_25transform_config_selectorINS0_10empty_typeELb1EEEZNS1_14transform_implILb1ES3_S6_PS5_S8_NS0_8identityIS5_EEEE10hipError_tT2_T3_mT4_P12ihipStream_tbEUlT_E_NS1_11comp_targetILNS1_3genE8ELNS1_11target_archE1030ELNS1_3gpuE2ELNS1_3repE0EEENS1_30default_config_static_selectorELNS0_4arch9wavefront6targetE0EEEvT1_,comdat
	.protected	_ZN7rocprim17ROCPRIM_400000_NS6detail17trampoline_kernelINS0_14default_configENS1_25transform_config_selectorINS0_10empty_typeELb1EEEZNS1_14transform_implILb1ES3_S6_PS5_S8_NS0_8identityIS5_EEEE10hipError_tT2_T3_mT4_P12ihipStream_tbEUlT_E_NS1_11comp_targetILNS1_3genE8ELNS1_11target_archE1030ELNS1_3gpuE2ELNS1_3repE0EEENS1_30default_config_static_selectorELNS0_4arch9wavefront6targetE0EEEvT1_ ; -- Begin function _ZN7rocprim17ROCPRIM_400000_NS6detail17trampoline_kernelINS0_14default_configENS1_25transform_config_selectorINS0_10empty_typeELb1EEEZNS1_14transform_implILb1ES3_S6_PS5_S8_NS0_8identityIS5_EEEE10hipError_tT2_T3_mT4_P12ihipStream_tbEUlT_E_NS1_11comp_targetILNS1_3genE8ELNS1_11target_archE1030ELNS1_3gpuE2ELNS1_3repE0EEENS1_30default_config_static_selectorELNS0_4arch9wavefront6targetE0EEEvT1_
	.globl	_ZN7rocprim17ROCPRIM_400000_NS6detail17trampoline_kernelINS0_14default_configENS1_25transform_config_selectorINS0_10empty_typeELb1EEEZNS1_14transform_implILb1ES3_S6_PS5_S8_NS0_8identityIS5_EEEE10hipError_tT2_T3_mT4_P12ihipStream_tbEUlT_E_NS1_11comp_targetILNS1_3genE8ELNS1_11target_archE1030ELNS1_3gpuE2ELNS1_3repE0EEENS1_30default_config_static_selectorELNS0_4arch9wavefront6targetE0EEEvT1_
	.p2align	8
	.type	_ZN7rocprim17ROCPRIM_400000_NS6detail17trampoline_kernelINS0_14default_configENS1_25transform_config_selectorINS0_10empty_typeELb1EEEZNS1_14transform_implILb1ES3_S6_PS5_S8_NS0_8identityIS5_EEEE10hipError_tT2_T3_mT4_P12ihipStream_tbEUlT_E_NS1_11comp_targetILNS1_3genE8ELNS1_11target_archE1030ELNS1_3gpuE2ELNS1_3repE0EEENS1_30default_config_static_selectorELNS0_4arch9wavefront6targetE0EEEvT1_,@function
_ZN7rocprim17ROCPRIM_400000_NS6detail17trampoline_kernelINS0_14default_configENS1_25transform_config_selectorINS0_10empty_typeELb1EEEZNS1_14transform_implILb1ES3_S6_PS5_S8_NS0_8identityIS5_EEEE10hipError_tT2_T3_mT4_P12ihipStream_tbEUlT_E_NS1_11comp_targetILNS1_3genE8ELNS1_11target_archE1030ELNS1_3gpuE2ELNS1_3repE0EEENS1_30default_config_static_selectorELNS0_4arch9wavefront6targetE0EEEvT1_: ; @_ZN7rocprim17ROCPRIM_400000_NS6detail17trampoline_kernelINS0_14default_configENS1_25transform_config_selectorINS0_10empty_typeELb1EEEZNS1_14transform_implILb1ES3_S6_PS5_S8_NS0_8identityIS5_EEEE10hipError_tT2_T3_mT4_P12ihipStream_tbEUlT_E_NS1_11comp_targetILNS1_3genE8ELNS1_11target_archE1030ELNS1_3gpuE2ELNS1_3repE0EEENS1_30default_config_static_selectorELNS0_4arch9wavefront6targetE0EEEvT1_
; %bb.0:
	.section	.rodata,"a",@progbits
	.p2align	6, 0x0
	.amdhsa_kernel _ZN7rocprim17ROCPRIM_400000_NS6detail17trampoline_kernelINS0_14default_configENS1_25transform_config_selectorINS0_10empty_typeELb1EEEZNS1_14transform_implILb1ES3_S6_PS5_S8_NS0_8identityIS5_EEEE10hipError_tT2_T3_mT4_P12ihipStream_tbEUlT_E_NS1_11comp_targetILNS1_3genE8ELNS1_11target_archE1030ELNS1_3gpuE2ELNS1_3repE0EEENS1_30default_config_static_selectorELNS0_4arch9wavefront6targetE0EEEvT1_
		.amdhsa_group_segment_fixed_size 0
		.amdhsa_private_segment_fixed_size 0
		.amdhsa_kernarg_size 40
		.amdhsa_user_sgpr_count 2
		.amdhsa_user_sgpr_dispatch_ptr 0
		.amdhsa_user_sgpr_queue_ptr 0
		.amdhsa_user_sgpr_kernarg_segment_ptr 1
		.amdhsa_user_sgpr_dispatch_id 0
		.amdhsa_user_sgpr_kernarg_preload_length 0
		.amdhsa_user_sgpr_kernarg_preload_offset 0
		.amdhsa_user_sgpr_private_segment_size 0
		.amdhsa_wavefront_size32 1
		.amdhsa_uses_dynamic_stack 0
		.amdhsa_enable_private_segment 0
		.amdhsa_system_sgpr_workgroup_id_x 1
		.amdhsa_system_sgpr_workgroup_id_y 0
		.amdhsa_system_sgpr_workgroup_id_z 0
		.amdhsa_system_sgpr_workgroup_info 0
		.amdhsa_system_vgpr_workitem_id 0
		.amdhsa_next_free_vgpr 1
		.amdhsa_next_free_sgpr 1
		.amdhsa_named_barrier_count 0
		.amdhsa_reserve_vcc 0
		.amdhsa_float_round_mode_32 0
		.amdhsa_float_round_mode_16_64 0
		.amdhsa_float_denorm_mode_32 3
		.amdhsa_float_denorm_mode_16_64 3
		.amdhsa_fp16_overflow 0
		.amdhsa_memory_ordered 1
		.amdhsa_forward_progress 1
		.amdhsa_inst_pref_size 0
		.amdhsa_round_robin_scheduling 0
		.amdhsa_exception_fp_ieee_invalid_op 0
		.amdhsa_exception_fp_denorm_src 0
		.amdhsa_exception_fp_ieee_div_zero 0
		.amdhsa_exception_fp_ieee_overflow 0
		.amdhsa_exception_fp_ieee_underflow 0
		.amdhsa_exception_fp_ieee_inexact 0
		.amdhsa_exception_int_div_zero 0
	.end_amdhsa_kernel
	.section	.text._ZN7rocprim17ROCPRIM_400000_NS6detail17trampoline_kernelINS0_14default_configENS1_25transform_config_selectorINS0_10empty_typeELb1EEEZNS1_14transform_implILb1ES3_S6_PS5_S8_NS0_8identityIS5_EEEE10hipError_tT2_T3_mT4_P12ihipStream_tbEUlT_E_NS1_11comp_targetILNS1_3genE8ELNS1_11target_archE1030ELNS1_3gpuE2ELNS1_3repE0EEENS1_30default_config_static_selectorELNS0_4arch9wavefront6targetE0EEEvT1_,"axG",@progbits,_ZN7rocprim17ROCPRIM_400000_NS6detail17trampoline_kernelINS0_14default_configENS1_25transform_config_selectorINS0_10empty_typeELb1EEEZNS1_14transform_implILb1ES3_S6_PS5_S8_NS0_8identityIS5_EEEE10hipError_tT2_T3_mT4_P12ihipStream_tbEUlT_E_NS1_11comp_targetILNS1_3genE8ELNS1_11target_archE1030ELNS1_3gpuE2ELNS1_3repE0EEENS1_30default_config_static_selectorELNS0_4arch9wavefront6targetE0EEEvT1_,comdat
.Lfunc_end57:
	.size	_ZN7rocprim17ROCPRIM_400000_NS6detail17trampoline_kernelINS0_14default_configENS1_25transform_config_selectorINS0_10empty_typeELb1EEEZNS1_14transform_implILb1ES3_S6_PS5_S8_NS0_8identityIS5_EEEE10hipError_tT2_T3_mT4_P12ihipStream_tbEUlT_E_NS1_11comp_targetILNS1_3genE8ELNS1_11target_archE1030ELNS1_3gpuE2ELNS1_3repE0EEENS1_30default_config_static_selectorELNS0_4arch9wavefront6targetE0EEEvT1_, .Lfunc_end57-_ZN7rocprim17ROCPRIM_400000_NS6detail17trampoline_kernelINS0_14default_configENS1_25transform_config_selectorINS0_10empty_typeELb1EEEZNS1_14transform_implILb1ES3_S6_PS5_S8_NS0_8identityIS5_EEEE10hipError_tT2_T3_mT4_P12ihipStream_tbEUlT_E_NS1_11comp_targetILNS1_3genE8ELNS1_11target_archE1030ELNS1_3gpuE2ELNS1_3repE0EEENS1_30default_config_static_selectorELNS0_4arch9wavefront6targetE0EEEvT1_
                                        ; -- End function
	.set _ZN7rocprim17ROCPRIM_400000_NS6detail17trampoline_kernelINS0_14default_configENS1_25transform_config_selectorINS0_10empty_typeELb1EEEZNS1_14transform_implILb1ES3_S6_PS5_S8_NS0_8identityIS5_EEEE10hipError_tT2_T3_mT4_P12ihipStream_tbEUlT_E_NS1_11comp_targetILNS1_3genE8ELNS1_11target_archE1030ELNS1_3gpuE2ELNS1_3repE0EEENS1_30default_config_static_selectorELNS0_4arch9wavefront6targetE0EEEvT1_.num_vgpr, 0
	.set _ZN7rocprim17ROCPRIM_400000_NS6detail17trampoline_kernelINS0_14default_configENS1_25transform_config_selectorINS0_10empty_typeELb1EEEZNS1_14transform_implILb1ES3_S6_PS5_S8_NS0_8identityIS5_EEEE10hipError_tT2_T3_mT4_P12ihipStream_tbEUlT_E_NS1_11comp_targetILNS1_3genE8ELNS1_11target_archE1030ELNS1_3gpuE2ELNS1_3repE0EEENS1_30default_config_static_selectorELNS0_4arch9wavefront6targetE0EEEvT1_.num_agpr, 0
	.set _ZN7rocprim17ROCPRIM_400000_NS6detail17trampoline_kernelINS0_14default_configENS1_25transform_config_selectorINS0_10empty_typeELb1EEEZNS1_14transform_implILb1ES3_S6_PS5_S8_NS0_8identityIS5_EEEE10hipError_tT2_T3_mT4_P12ihipStream_tbEUlT_E_NS1_11comp_targetILNS1_3genE8ELNS1_11target_archE1030ELNS1_3gpuE2ELNS1_3repE0EEENS1_30default_config_static_selectorELNS0_4arch9wavefront6targetE0EEEvT1_.numbered_sgpr, 0
	.set _ZN7rocprim17ROCPRIM_400000_NS6detail17trampoline_kernelINS0_14default_configENS1_25transform_config_selectorINS0_10empty_typeELb1EEEZNS1_14transform_implILb1ES3_S6_PS5_S8_NS0_8identityIS5_EEEE10hipError_tT2_T3_mT4_P12ihipStream_tbEUlT_E_NS1_11comp_targetILNS1_3genE8ELNS1_11target_archE1030ELNS1_3gpuE2ELNS1_3repE0EEENS1_30default_config_static_selectorELNS0_4arch9wavefront6targetE0EEEvT1_.num_named_barrier, 0
	.set _ZN7rocprim17ROCPRIM_400000_NS6detail17trampoline_kernelINS0_14default_configENS1_25transform_config_selectorINS0_10empty_typeELb1EEEZNS1_14transform_implILb1ES3_S6_PS5_S8_NS0_8identityIS5_EEEE10hipError_tT2_T3_mT4_P12ihipStream_tbEUlT_E_NS1_11comp_targetILNS1_3genE8ELNS1_11target_archE1030ELNS1_3gpuE2ELNS1_3repE0EEENS1_30default_config_static_selectorELNS0_4arch9wavefront6targetE0EEEvT1_.private_seg_size, 0
	.set _ZN7rocprim17ROCPRIM_400000_NS6detail17trampoline_kernelINS0_14default_configENS1_25transform_config_selectorINS0_10empty_typeELb1EEEZNS1_14transform_implILb1ES3_S6_PS5_S8_NS0_8identityIS5_EEEE10hipError_tT2_T3_mT4_P12ihipStream_tbEUlT_E_NS1_11comp_targetILNS1_3genE8ELNS1_11target_archE1030ELNS1_3gpuE2ELNS1_3repE0EEENS1_30default_config_static_selectorELNS0_4arch9wavefront6targetE0EEEvT1_.uses_vcc, 0
	.set _ZN7rocprim17ROCPRIM_400000_NS6detail17trampoline_kernelINS0_14default_configENS1_25transform_config_selectorINS0_10empty_typeELb1EEEZNS1_14transform_implILb1ES3_S6_PS5_S8_NS0_8identityIS5_EEEE10hipError_tT2_T3_mT4_P12ihipStream_tbEUlT_E_NS1_11comp_targetILNS1_3genE8ELNS1_11target_archE1030ELNS1_3gpuE2ELNS1_3repE0EEENS1_30default_config_static_selectorELNS0_4arch9wavefront6targetE0EEEvT1_.uses_flat_scratch, 0
	.set _ZN7rocprim17ROCPRIM_400000_NS6detail17trampoline_kernelINS0_14default_configENS1_25transform_config_selectorINS0_10empty_typeELb1EEEZNS1_14transform_implILb1ES3_S6_PS5_S8_NS0_8identityIS5_EEEE10hipError_tT2_T3_mT4_P12ihipStream_tbEUlT_E_NS1_11comp_targetILNS1_3genE8ELNS1_11target_archE1030ELNS1_3gpuE2ELNS1_3repE0EEENS1_30default_config_static_selectorELNS0_4arch9wavefront6targetE0EEEvT1_.has_dyn_sized_stack, 0
	.set _ZN7rocprim17ROCPRIM_400000_NS6detail17trampoline_kernelINS0_14default_configENS1_25transform_config_selectorINS0_10empty_typeELb1EEEZNS1_14transform_implILb1ES3_S6_PS5_S8_NS0_8identityIS5_EEEE10hipError_tT2_T3_mT4_P12ihipStream_tbEUlT_E_NS1_11comp_targetILNS1_3genE8ELNS1_11target_archE1030ELNS1_3gpuE2ELNS1_3repE0EEENS1_30default_config_static_selectorELNS0_4arch9wavefront6targetE0EEEvT1_.has_recursion, 0
	.set _ZN7rocprim17ROCPRIM_400000_NS6detail17trampoline_kernelINS0_14default_configENS1_25transform_config_selectorINS0_10empty_typeELb1EEEZNS1_14transform_implILb1ES3_S6_PS5_S8_NS0_8identityIS5_EEEE10hipError_tT2_T3_mT4_P12ihipStream_tbEUlT_E_NS1_11comp_targetILNS1_3genE8ELNS1_11target_archE1030ELNS1_3gpuE2ELNS1_3repE0EEENS1_30default_config_static_selectorELNS0_4arch9wavefront6targetE0EEEvT1_.has_indirect_call, 0
	.section	.AMDGPU.csdata,"",@progbits
; Kernel info:
; codeLenInByte = 0
; TotalNumSgprs: 0
; NumVgprs: 0
; ScratchSize: 0
; MemoryBound: 0
; FloatMode: 240
; IeeeMode: 1
; LDSByteSize: 0 bytes/workgroup (compile time only)
; SGPRBlocks: 0
; VGPRBlocks: 0
; NumSGPRsForWavesPerEU: 1
; NumVGPRsForWavesPerEU: 1
; NamedBarCnt: 0
; Occupancy: 16
; WaveLimiterHint : 0
; COMPUTE_PGM_RSRC2:SCRATCH_EN: 0
; COMPUTE_PGM_RSRC2:USER_SGPR: 2
; COMPUTE_PGM_RSRC2:TRAP_HANDLER: 0
; COMPUTE_PGM_RSRC2:TGID_X_EN: 1
; COMPUTE_PGM_RSRC2:TGID_Y_EN: 0
; COMPUTE_PGM_RSRC2:TGID_Z_EN: 0
; COMPUTE_PGM_RSRC2:TIDIG_COMP_CNT: 0
	.section	.text._ZN7rocprim17ROCPRIM_400000_NS6detail17trampoline_kernelINS0_14default_configENS1_38merge_sort_block_merge_config_selectorIhNS0_10empty_typeEEEZZNS1_27merge_sort_block_merge_implIS3_PhPS5_jNS1_19radix_merge_compareILb1ELb1EhNS0_19identity_decomposerEEEEE10hipError_tT0_T1_T2_jT3_P12ihipStream_tbPNSt15iterator_traitsISE_E10value_typeEPNSK_ISF_E10value_typeEPSG_NS1_7vsmem_tEENKUlT_SE_SF_SG_E_clIS8_S8_S9_S9_EESD_ST_SE_SF_SG_EUlST_E_NS1_11comp_targetILNS1_3genE0ELNS1_11target_archE4294967295ELNS1_3gpuE0ELNS1_3repE0EEENS1_48merge_mergepath_partition_config_static_selectorELNS0_4arch9wavefront6targetE0EEEvSF_,"axG",@progbits,_ZN7rocprim17ROCPRIM_400000_NS6detail17trampoline_kernelINS0_14default_configENS1_38merge_sort_block_merge_config_selectorIhNS0_10empty_typeEEEZZNS1_27merge_sort_block_merge_implIS3_PhPS5_jNS1_19radix_merge_compareILb1ELb1EhNS0_19identity_decomposerEEEEE10hipError_tT0_T1_T2_jT3_P12ihipStream_tbPNSt15iterator_traitsISE_E10value_typeEPNSK_ISF_E10value_typeEPSG_NS1_7vsmem_tEENKUlT_SE_SF_SG_E_clIS8_S8_S9_S9_EESD_ST_SE_SF_SG_EUlST_E_NS1_11comp_targetILNS1_3genE0ELNS1_11target_archE4294967295ELNS1_3gpuE0ELNS1_3repE0EEENS1_48merge_mergepath_partition_config_static_selectorELNS0_4arch9wavefront6targetE0EEEvSF_,comdat
	.protected	_ZN7rocprim17ROCPRIM_400000_NS6detail17trampoline_kernelINS0_14default_configENS1_38merge_sort_block_merge_config_selectorIhNS0_10empty_typeEEEZZNS1_27merge_sort_block_merge_implIS3_PhPS5_jNS1_19radix_merge_compareILb1ELb1EhNS0_19identity_decomposerEEEEE10hipError_tT0_T1_T2_jT3_P12ihipStream_tbPNSt15iterator_traitsISE_E10value_typeEPNSK_ISF_E10value_typeEPSG_NS1_7vsmem_tEENKUlT_SE_SF_SG_E_clIS8_S8_S9_S9_EESD_ST_SE_SF_SG_EUlST_E_NS1_11comp_targetILNS1_3genE0ELNS1_11target_archE4294967295ELNS1_3gpuE0ELNS1_3repE0EEENS1_48merge_mergepath_partition_config_static_selectorELNS0_4arch9wavefront6targetE0EEEvSF_ ; -- Begin function _ZN7rocprim17ROCPRIM_400000_NS6detail17trampoline_kernelINS0_14default_configENS1_38merge_sort_block_merge_config_selectorIhNS0_10empty_typeEEEZZNS1_27merge_sort_block_merge_implIS3_PhPS5_jNS1_19radix_merge_compareILb1ELb1EhNS0_19identity_decomposerEEEEE10hipError_tT0_T1_T2_jT3_P12ihipStream_tbPNSt15iterator_traitsISE_E10value_typeEPNSK_ISF_E10value_typeEPSG_NS1_7vsmem_tEENKUlT_SE_SF_SG_E_clIS8_S8_S9_S9_EESD_ST_SE_SF_SG_EUlST_E_NS1_11comp_targetILNS1_3genE0ELNS1_11target_archE4294967295ELNS1_3gpuE0ELNS1_3repE0EEENS1_48merge_mergepath_partition_config_static_selectorELNS0_4arch9wavefront6targetE0EEEvSF_
	.globl	_ZN7rocprim17ROCPRIM_400000_NS6detail17trampoline_kernelINS0_14default_configENS1_38merge_sort_block_merge_config_selectorIhNS0_10empty_typeEEEZZNS1_27merge_sort_block_merge_implIS3_PhPS5_jNS1_19radix_merge_compareILb1ELb1EhNS0_19identity_decomposerEEEEE10hipError_tT0_T1_T2_jT3_P12ihipStream_tbPNSt15iterator_traitsISE_E10value_typeEPNSK_ISF_E10value_typeEPSG_NS1_7vsmem_tEENKUlT_SE_SF_SG_E_clIS8_S8_S9_S9_EESD_ST_SE_SF_SG_EUlST_E_NS1_11comp_targetILNS1_3genE0ELNS1_11target_archE4294967295ELNS1_3gpuE0ELNS1_3repE0EEENS1_48merge_mergepath_partition_config_static_selectorELNS0_4arch9wavefront6targetE0EEEvSF_
	.p2align	8
	.type	_ZN7rocprim17ROCPRIM_400000_NS6detail17trampoline_kernelINS0_14default_configENS1_38merge_sort_block_merge_config_selectorIhNS0_10empty_typeEEEZZNS1_27merge_sort_block_merge_implIS3_PhPS5_jNS1_19radix_merge_compareILb1ELb1EhNS0_19identity_decomposerEEEEE10hipError_tT0_T1_T2_jT3_P12ihipStream_tbPNSt15iterator_traitsISE_E10value_typeEPNSK_ISF_E10value_typeEPSG_NS1_7vsmem_tEENKUlT_SE_SF_SG_E_clIS8_S8_S9_S9_EESD_ST_SE_SF_SG_EUlST_E_NS1_11comp_targetILNS1_3genE0ELNS1_11target_archE4294967295ELNS1_3gpuE0ELNS1_3repE0EEENS1_48merge_mergepath_partition_config_static_selectorELNS0_4arch9wavefront6targetE0EEEvSF_,@function
_ZN7rocprim17ROCPRIM_400000_NS6detail17trampoline_kernelINS0_14default_configENS1_38merge_sort_block_merge_config_selectorIhNS0_10empty_typeEEEZZNS1_27merge_sort_block_merge_implIS3_PhPS5_jNS1_19radix_merge_compareILb1ELb1EhNS0_19identity_decomposerEEEEE10hipError_tT0_T1_T2_jT3_P12ihipStream_tbPNSt15iterator_traitsISE_E10value_typeEPNSK_ISF_E10value_typeEPSG_NS1_7vsmem_tEENKUlT_SE_SF_SG_E_clIS8_S8_S9_S9_EESD_ST_SE_SF_SG_EUlST_E_NS1_11comp_targetILNS1_3genE0ELNS1_11target_archE4294967295ELNS1_3gpuE0ELNS1_3repE0EEENS1_48merge_mergepath_partition_config_static_selectorELNS0_4arch9wavefront6targetE0EEEvSF_: ; @_ZN7rocprim17ROCPRIM_400000_NS6detail17trampoline_kernelINS0_14default_configENS1_38merge_sort_block_merge_config_selectorIhNS0_10empty_typeEEEZZNS1_27merge_sort_block_merge_implIS3_PhPS5_jNS1_19radix_merge_compareILb1ELb1EhNS0_19identity_decomposerEEEEE10hipError_tT0_T1_T2_jT3_P12ihipStream_tbPNSt15iterator_traitsISE_E10value_typeEPNSK_ISF_E10value_typeEPSG_NS1_7vsmem_tEENKUlT_SE_SF_SG_E_clIS8_S8_S9_S9_EESD_ST_SE_SF_SG_EUlST_E_NS1_11comp_targetILNS1_3genE0ELNS1_11target_archE4294967295ELNS1_3gpuE0ELNS1_3repE0EEENS1_48merge_mergepath_partition_config_static_selectorELNS0_4arch9wavefront6targetE0EEEvSF_
; %bb.0:
	s_load_b32 s2, s[0:1], 0x0
	s_bfe_u32 s3, ttmp6, 0x4000c
	s_and_b32 s4, ttmp6, 15
	s_add_co_i32 s3, s3, 1
	s_getreg_b32 s5, hwreg(HW_REG_IB_STS2, 6, 4)
	s_mul_i32 s3, ttmp9, s3
	s_delay_alu instid0(SALU_CYCLE_1) | instskip(SKIP_2) | instid1(SALU_CYCLE_1)
	s_add_co_i32 s4, s4, s3
	s_cmp_eq_u32 s5, 0
	s_cselect_b32 s3, ttmp9, s4
	v_lshl_or_b32 v8, s3, 7, v0
	s_wait_kmcnt 0x0
	s_delay_alu instid0(VALU_DEP_1)
	v_cmp_gt_u32_e32 vcc_lo, s2, v8
	s_and_saveexec_b32 s2, vcc_lo
	s_cbranch_execz .LBB58_6
; %bb.1:
	s_load_b64 s[2:3], s[0:1], 0x4
	s_mov_b32 s7, exec_lo
	s_wait_kmcnt 0x0
	s_lshr_b32 s4, s2, 9
	s_delay_alu instid0(SALU_CYCLE_1) | instskip(NEXT) | instid1(SALU_CYCLE_1)
	s_and_b32 s4, s4, 0x7ffffe
	s_sub_co_i32 s5, 0, s4
	s_add_co_i32 s4, s4, -1
	s_delay_alu instid0(SALU_CYCLE_1) | instskip(NEXT) | instid1(VALU_DEP_1)
	v_and_b32_e32 v1, s4, v8
	v_dual_lshlrev_b32 v1, 10, v1 :: v_dual_bitop2_b32 v0, s5, v8 bitop3:0x40
	s_delay_alu instid0(VALU_DEP_1) | instskip(NEXT) | instid1(VALU_DEP_1)
	v_lshlrev_b32_e32 v0, 10, v0
	v_add_min_u32_e64 v2, v0, s2, s3
	v_min_u32_e32 v0, s3, v0
	s_delay_alu instid0(VALU_DEP_2) | instskip(SKIP_1) | instid1(VALU_DEP_1)
	v_add_min_u32_e64 v3, v2, s2, s3
	s_load_b64 s[2:3], s[0:1], 0x20
	v_dual_sub_nc_u32 v4, v3, v0 :: v_dual_sub_nc_u32 v3, v3, v2
	s_delay_alu instid0(VALU_DEP_1) | instskip(SKIP_1) | instid1(VALU_DEP_2)
	v_min_u32_e32 v10, v4, v1
	v_sub_nc_u32_e32 v1, v2, v0
	v_sub_nc_u32_e64 v9, v10, v3 clamp
	s_delay_alu instid0(VALU_DEP_2) | instskip(NEXT) | instid1(VALU_DEP_1)
	v_min_u32_e32 v11, v10, v1
	v_cmpx_lt_u32_e64 v9, v11
	s_cbranch_execz .LBB58_5
; %bb.2:
	s_load_b96 s[4:6], s[0:1], 0x10
	v_mov_b32_e32 v3, 0
	s_wait_xcnt 0x0
	s_mov_b32 s0, 0
	s_delay_alu instid0(VALU_DEP_1) | instskip(SKIP_1) | instid1(VALU_DEP_1)
	v_mov_b32_e32 v1, v3
	s_wait_kmcnt 0x0
	v_add_nc_u64_e32 v[4:5], s[4:5], v[0:1]
	v_add_nc_u64_e32 v[6:7], s[4:5], v[2:3]
.LBB58_3:                               ; =>This Inner Loop Header: Depth=1
	v_add_nc_u32_e32 v1, v11, v9
	s_delay_alu instid0(VALU_DEP_1) | instskip(NEXT) | instid1(VALU_DEP_1)
	v_dual_mov_b32 v13, v3 :: v_dual_lshrrev_b32 v2, 1, v1
	v_xad_u32 v12, v2, -1, v10
	v_add_nc_u64_e32 v[14:15], v[4:5], v[2:3]
	s_delay_alu instid0(VALU_DEP_2)
	v_add_nc_u64_e32 v[12:13], v[6:7], v[12:13]
	s_clause 0x1
	global_load_u8 v1, v[14:15], off
	global_load_u8 v16, v[12:13], off
	s_wait_xcnt 0x0
	v_add_nc_u32_e32 v13, 1, v2
	s_wait_loadcnt 0x1
	v_bitop3_b16 v1, v1, 0xff, s6 bitop3:0x80
	s_wait_loadcnt 0x0
	v_bitop3_b16 v12, v16, 0xff, s6 bitop3:0x80
	s_delay_alu instid0(VALU_DEP_1) | instskip(SKIP_1) | instid1(VALU_DEP_1)
	v_cmp_gt_u16_e32 vcc_lo, v12, v1
	v_dual_cndmask_b32 v11, v11, v2, vcc_lo :: v_dual_cndmask_b32 v9, v13, v9, vcc_lo
	v_cmp_ge_u32_e32 vcc_lo, v9, v11
	s_or_b32 s0, vcc_lo, s0
	s_delay_alu instid0(SALU_CYCLE_1)
	s_and_not1_b32 exec_lo, exec_lo, s0
	s_cbranch_execnz .LBB58_3
; %bb.4:
	s_or_b32 exec_lo, exec_lo, s0
.LBB58_5:
	s_delay_alu instid0(SALU_CYCLE_1)
	s_or_b32 exec_lo, exec_lo, s7
	v_add_nc_u32_e32 v0, v9, v0
	s_wait_kmcnt 0x0
	global_store_b32 v8, v0, s[2:3] scale_offset
.LBB58_6:
	s_endpgm
	.section	.rodata,"a",@progbits
	.p2align	6, 0x0
	.amdhsa_kernel _ZN7rocprim17ROCPRIM_400000_NS6detail17trampoline_kernelINS0_14default_configENS1_38merge_sort_block_merge_config_selectorIhNS0_10empty_typeEEEZZNS1_27merge_sort_block_merge_implIS3_PhPS5_jNS1_19radix_merge_compareILb1ELb1EhNS0_19identity_decomposerEEEEE10hipError_tT0_T1_T2_jT3_P12ihipStream_tbPNSt15iterator_traitsISE_E10value_typeEPNSK_ISF_E10value_typeEPSG_NS1_7vsmem_tEENKUlT_SE_SF_SG_E_clIS8_S8_S9_S9_EESD_ST_SE_SF_SG_EUlST_E_NS1_11comp_targetILNS1_3genE0ELNS1_11target_archE4294967295ELNS1_3gpuE0ELNS1_3repE0EEENS1_48merge_mergepath_partition_config_static_selectorELNS0_4arch9wavefront6targetE0EEEvSF_
		.amdhsa_group_segment_fixed_size 0
		.amdhsa_private_segment_fixed_size 0
		.amdhsa_kernarg_size 40
		.amdhsa_user_sgpr_count 2
		.amdhsa_user_sgpr_dispatch_ptr 0
		.amdhsa_user_sgpr_queue_ptr 0
		.amdhsa_user_sgpr_kernarg_segment_ptr 1
		.amdhsa_user_sgpr_dispatch_id 0
		.amdhsa_user_sgpr_kernarg_preload_length 0
		.amdhsa_user_sgpr_kernarg_preload_offset 0
		.amdhsa_user_sgpr_private_segment_size 0
		.amdhsa_wavefront_size32 1
		.amdhsa_uses_dynamic_stack 0
		.amdhsa_enable_private_segment 0
		.amdhsa_system_sgpr_workgroup_id_x 1
		.amdhsa_system_sgpr_workgroup_id_y 0
		.amdhsa_system_sgpr_workgroup_id_z 0
		.amdhsa_system_sgpr_workgroup_info 0
		.amdhsa_system_vgpr_workitem_id 0
		.amdhsa_next_free_vgpr 17
		.amdhsa_next_free_sgpr 8
		.amdhsa_named_barrier_count 0
		.amdhsa_reserve_vcc 1
		.amdhsa_float_round_mode_32 0
		.amdhsa_float_round_mode_16_64 0
		.amdhsa_float_denorm_mode_32 3
		.amdhsa_float_denorm_mode_16_64 3
		.amdhsa_fp16_overflow 0
		.amdhsa_memory_ordered 1
		.amdhsa_forward_progress 1
		.amdhsa_inst_pref_size 4
		.amdhsa_round_robin_scheduling 0
		.amdhsa_exception_fp_ieee_invalid_op 0
		.amdhsa_exception_fp_denorm_src 0
		.amdhsa_exception_fp_ieee_div_zero 0
		.amdhsa_exception_fp_ieee_overflow 0
		.amdhsa_exception_fp_ieee_underflow 0
		.amdhsa_exception_fp_ieee_inexact 0
		.amdhsa_exception_int_div_zero 0
	.end_amdhsa_kernel
	.section	.text._ZN7rocprim17ROCPRIM_400000_NS6detail17trampoline_kernelINS0_14default_configENS1_38merge_sort_block_merge_config_selectorIhNS0_10empty_typeEEEZZNS1_27merge_sort_block_merge_implIS3_PhPS5_jNS1_19radix_merge_compareILb1ELb1EhNS0_19identity_decomposerEEEEE10hipError_tT0_T1_T2_jT3_P12ihipStream_tbPNSt15iterator_traitsISE_E10value_typeEPNSK_ISF_E10value_typeEPSG_NS1_7vsmem_tEENKUlT_SE_SF_SG_E_clIS8_S8_S9_S9_EESD_ST_SE_SF_SG_EUlST_E_NS1_11comp_targetILNS1_3genE0ELNS1_11target_archE4294967295ELNS1_3gpuE0ELNS1_3repE0EEENS1_48merge_mergepath_partition_config_static_selectorELNS0_4arch9wavefront6targetE0EEEvSF_,"axG",@progbits,_ZN7rocprim17ROCPRIM_400000_NS6detail17trampoline_kernelINS0_14default_configENS1_38merge_sort_block_merge_config_selectorIhNS0_10empty_typeEEEZZNS1_27merge_sort_block_merge_implIS3_PhPS5_jNS1_19radix_merge_compareILb1ELb1EhNS0_19identity_decomposerEEEEE10hipError_tT0_T1_T2_jT3_P12ihipStream_tbPNSt15iterator_traitsISE_E10value_typeEPNSK_ISF_E10value_typeEPSG_NS1_7vsmem_tEENKUlT_SE_SF_SG_E_clIS8_S8_S9_S9_EESD_ST_SE_SF_SG_EUlST_E_NS1_11comp_targetILNS1_3genE0ELNS1_11target_archE4294967295ELNS1_3gpuE0ELNS1_3repE0EEENS1_48merge_mergepath_partition_config_static_selectorELNS0_4arch9wavefront6targetE0EEEvSF_,comdat
.Lfunc_end58:
	.size	_ZN7rocprim17ROCPRIM_400000_NS6detail17trampoline_kernelINS0_14default_configENS1_38merge_sort_block_merge_config_selectorIhNS0_10empty_typeEEEZZNS1_27merge_sort_block_merge_implIS3_PhPS5_jNS1_19radix_merge_compareILb1ELb1EhNS0_19identity_decomposerEEEEE10hipError_tT0_T1_T2_jT3_P12ihipStream_tbPNSt15iterator_traitsISE_E10value_typeEPNSK_ISF_E10value_typeEPSG_NS1_7vsmem_tEENKUlT_SE_SF_SG_E_clIS8_S8_S9_S9_EESD_ST_SE_SF_SG_EUlST_E_NS1_11comp_targetILNS1_3genE0ELNS1_11target_archE4294967295ELNS1_3gpuE0ELNS1_3repE0EEENS1_48merge_mergepath_partition_config_static_selectorELNS0_4arch9wavefront6targetE0EEEvSF_, .Lfunc_end58-_ZN7rocprim17ROCPRIM_400000_NS6detail17trampoline_kernelINS0_14default_configENS1_38merge_sort_block_merge_config_selectorIhNS0_10empty_typeEEEZZNS1_27merge_sort_block_merge_implIS3_PhPS5_jNS1_19radix_merge_compareILb1ELb1EhNS0_19identity_decomposerEEEEE10hipError_tT0_T1_T2_jT3_P12ihipStream_tbPNSt15iterator_traitsISE_E10value_typeEPNSK_ISF_E10value_typeEPSG_NS1_7vsmem_tEENKUlT_SE_SF_SG_E_clIS8_S8_S9_S9_EESD_ST_SE_SF_SG_EUlST_E_NS1_11comp_targetILNS1_3genE0ELNS1_11target_archE4294967295ELNS1_3gpuE0ELNS1_3repE0EEENS1_48merge_mergepath_partition_config_static_selectorELNS0_4arch9wavefront6targetE0EEEvSF_
                                        ; -- End function
	.set _ZN7rocprim17ROCPRIM_400000_NS6detail17trampoline_kernelINS0_14default_configENS1_38merge_sort_block_merge_config_selectorIhNS0_10empty_typeEEEZZNS1_27merge_sort_block_merge_implIS3_PhPS5_jNS1_19radix_merge_compareILb1ELb1EhNS0_19identity_decomposerEEEEE10hipError_tT0_T1_T2_jT3_P12ihipStream_tbPNSt15iterator_traitsISE_E10value_typeEPNSK_ISF_E10value_typeEPSG_NS1_7vsmem_tEENKUlT_SE_SF_SG_E_clIS8_S8_S9_S9_EESD_ST_SE_SF_SG_EUlST_E_NS1_11comp_targetILNS1_3genE0ELNS1_11target_archE4294967295ELNS1_3gpuE0ELNS1_3repE0EEENS1_48merge_mergepath_partition_config_static_selectorELNS0_4arch9wavefront6targetE0EEEvSF_.num_vgpr, 17
	.set _ZN7rocprim17ROCPRIM_400000_NS6detail17trampoline_kernelINS0_14default_configENS1_38merge_sort_block_merge_config_selectorIhNS0_10empty_typeEEEZZNS1_27merge_sort_block_merge_implIS3_PhPS5_jNS1_19radix_merge_compareILb1ELb1EhNS0_19identity_decomposerEEEEE10hipError_tT0_T1_T2_jT3_P12ihipStream_tbPNSt15iterator_traitsISE_E10value_typeEPNSK_ISF_E10value_typeEPSG_NS1_7vsmem_tEENKUlT_SE_SF_SG_E_clIS8_S8_S9_S9_EESD_ST_SE_SF_SG_EUlST_E_NS1_11comp_targetILNS1_3genE0ELNS1_11target_archE4294967295ELNS1_3gpuE0ELNS1_3repE0EEENS1_48merge_mergepath_partition_config_static_selectorELNS0_4arch9wavefront6targetE0EEEvSF_.num_agpr, 0
	.set _ZN7rocprim17ROCPRIM_400000_NS6detail17trampoline_kernelINS0_14default_configENS1_38merge_sort_block_merge_config_selectorIhNS0_10empty_typeEEEZZNS1_27merge_sort_block_merge_implIS3_PhPS5_jNS1_19radix_merge_compareILb1ELb1EhNS0_19identity_decomposerEEEEE10hipError_tT0_T1_T2_jT3_P12ihipStream_tbPNSt15iterator_traitsISE_E10value_typeEPNSK_ISF_E10value_typeEPSG_NS1_7vsmem_tEENKUlT_SE_SF_SG_E_clIS8_S8_S9_S9_EESD_ST_SE_SF_SG_EUlST_E_NS1_11comp_targetILNS1_3genE0ELNS1_11target_archE4294967295ELNS1_3gpuE0ELNS1_3repE0EEENS1_48merge_mergepath_partition_config_static_selectorELNS0_4arch9wavefront6targetE0EEEvSF_.numbered_sgpr, 8
	.set _ZN7rocprim17ROCPRIM_400000_NS6detail17trampoline_kernelINS0_14default_configENS1_38merge_sort_block_merge_config_selectorIhNS0_10empty_typeEEEZZNS1_27merge_sort_block_merge_implIS3_PhPS5_jNS1_19radix_merge_compareILb1ELb1EhNS0_19identity_decomposerEEEEE10hipError_tT0_T1_T2_jT3_P12ihipStream_tbPNSt15iterator_traitsISE_E10value_typeEPNSK_ISF_E10value_typeEPSG_NS1_7vsmem_tEENKUlT_SE_SF_SG_E_clIS8_S8_S9_S9_EESD_ST_SE_SF_SG_EUlST_E_NS1_11comp_targetILNS1_3genE0ELNS1_11target_archE4294967295ELNS1_3gpuE0ELNS1_3repE0EEENS1_48merge_mergepath_partition_config_static_selectorELNS0_4arch9wavefront6targetE0EEEvSF_.num_named_barrier, 0
	.set _ZN7rocprim17ROCPRIM_400000_NS6detail17trampoline_kernelINS0_14default_configENS1_38merge_sort_block_merge_config_selectorIhNS0_10empty_typeEEEZZNS1_27merge_sort_block_merge_implIS3_PhPS5_jNS1_19radix_merge_compareILb1ELb1EhNS0_19identity_decomposerEEEEE10hipError_tT0_T1_T2_jT3_P12ihipStream_tbPNSt15iterator_traitsISE_E10value_typeEPNSK_ISF_E10value_typeEPSG_NS1_7vsmem_tEENKUlT_SE_SF_SG_E_clIS8_S8_S9_S9_EESD_ST_SE_SF_SG_EUlST_E_NS1_11comp_targetILNS1_3genE0ELNS1_11target_archE4294967295ELNS1_3gpuE0ELNS1_3repE0EEENS1_48merge_mergepath_partition_config_static_selectorELNS0_4arch9wavefront6targetE0EEEvSF_.private_seg_size, 0
	.set _ZN7rocprim17ROCPRIM_400000_NS6detail17trampoline_kernelINS0_14default_configENS1_38merge_sort_block_merge_config_selectorIhNS0_10empty_typeEEEZZNS1_27merge_sort_block_merge_implIS3_PhPS5_jNS1_19radix_merge_compareILb1ELb1EhNS0_19identity_decomposerEEEEE10hipError_tT0_T1_T2_jT3_P12ihipStream_tbPNSt15iterator_traitsISE_E10value_typeEPNSK_ISF_E10value_typeEPSG_NS1_7vsmem_tEENKUlT_SE_SF_SG_E_clIS8_S8_S9_S9_EESD_ST_SE_SF_SG_EUlST_E_NS1_11comp_targetILNS1_3genE0ELNS1_11target_archE4294967295ELNS1_3gpuE0ELNS1_3repE0EEENS1_48merge_mergepath_partition_config_static_selectorELNS0_4arch9wavefront6targetE0EEEvSF_.uses_vcc, 1
	.set _ZN7rocprim17ROCPRIM_400000_NS6detail17trampoline_kernelINS0_14default_configENS1_38merge_sort_block_merge_config_selectorIhNS0_10empty_typeEEEZZNS1_27merge_sort_block_merge_implIS3_PhPS5_jNS1_19radix_merge_compareILb1ELb1EhNS0_19identity_decomposerEEEEE10hipError_tT0_T1_T2_jT3_P12ihipStream_tbPNSt15iterator_traitsISE_E10value_typeEPNSK_ISF_E10value_typeEPSG_NS1_7vsmem_tEENKUlT_SE_SF_SG_E_clIS8_S8_S9_S9_EESD_ST_SE_SF_SG_EUlST_E_NS1_11comp_targetILNS1_3genE0ELNS1_11target_archE4294967295ELNS1_3gpuE0ELNS1_3repE0EEENS1_48merge_mergepath_partition_config_static_selectorELNS0_4arch9wavefront6targetE0EEEvSF_.uses_flat_scratch, 0
	.set _ZN7rocprim17ROCPRIM_400000_NS6detail17trampoline_kernelINS0_14default_configENS1_38merge_sort_block_merge_config_selectorIhNS0_10empty_typeEEEZZNS1_27merge_sort_block_merge_implIS3_PhPS5_jNS1_19radix_merge_compareILb1ELb1EhNS0_19identity_decomposerEEEEE10hipError_tT0_T1_T2_jT3_P12ihipStream_tbPNSt15iterator_traitsISE_E10value_typeEPNSK_ISF_E10value_typeEPSG_NS1_7vsmem_tEENKUlT_SE_SF_SG_E_clIS8_S8_S9_S9_EESD_ST_SE_SF_SG_EUlST_E_NS1_11comp_targetILNS1_3genE0ELNS1_11target_archE4294967295ELNS1_3gpuE0ELNS1_3repE0EEENS1_48merge_mergepath_partition_config_static_selectorELNS0_4arch9wavefront6targetE0EEEvSF_.has_dyn_sized_stack, 0
	.set _ZN7rocprim17ROCPRIM_400000_NS6detail17trampoline_kernelINS0_14default_configENS1_38merge_sort_block_merge_config_selectorIhNS0_10empty_typeEEEZZNS1_27merge_sort_block_merge_implIS3_PhPS5_jNS1_19radix_merge_compareILb1ELb1EhNS0_19identity_decomposerEEEEE10hipError_tT0_T1_T2_jT3_P12ihipStream_tbPNSt15iterator_traitsISE_E10value_typeEPNSK_ISF_E10value_typeEPSG_NS1_7vsmem_tEENKUlT_SE_SF_SG_E_clIS8_S8_S9_S9_EESD_ST_SE_SF_SG_EUlST_E_NS1_11comp_targetILNS1_3genE0ELNS1_11target_archE4294967295ELNS1_3gpuE0ELNS1_3repE0EEENS1_48merge_mergepath_partition_config_static_selectorELNS0_4arch9wavefront6targetE0EEEvSF_.has_recursion, 0
	.set _ZN7rocprim17ROCPRIM_400000_NS6detail17trampoline_kernelINS0_14default_configENS1_38merge_sort_block_merge_config_selectorIhNS0_10empty_typeEEEZZNS1_27merge_sort_block_merge_implIS3_PhPS5_jNS1_19radix_merge_compareILb1ELb1EhNS0_19identity_decomposerEEEEE10hipError_tT0_T1_T2_jT3_P12ihipStream_tbPNSt15iterator_traitsISE_E10value_typeEPNSK_ISF_E10value_typeEPSG_NS1_7vsmem_tEENKUlT_SE_SF_SG_E_clIS8_S8_S9_S9_EESD_ST_SE_SF_SG_EUlST_E_NS1_11comp_targetILNS1_3genE0ELNS1_11target_archE4294967295ELNS1_3gpuE0ELNS1_3repE0EEENS1_48merge_mergepath_partition_config_static_selectorELNS0_4arch9wavefront6targetE0EEEvSF_.has_indirect_call, 0
	.section	.AMDGPU.csdata,"",@progbits
; Kernel info:
; codeLenInByte = 448
; TotalNumSgprs: 10
; NumVgprs: 17
; ScratchSize: 0
; MemoryBound: 0
; FloatMode: 240
; IeeeMode: 1
; LDSByteSize: 0 bytes/workgroup (compile time only)
; SGPRBlocks: 0
; VGPRBlocks: 1
; NumSGPRsForWavesPerEU: 10
; NumVGPRsForWavesPerEU: 17
; NamedBarCnt: 0
; Occupancy: 16
; WaveLimiterHint : 0
; COMPUTE_PGM_RSRC2:SCRATCH_EN: 0
; COMPUTE_PGM_RSRC2:USER_SGPR: 2
; COMPUTE_PGM_RSRC2:TRAP_HANDLER: 0
; COMPUTE_PGM_RSRC2:TGID_X_EN: 1
; COMPUTE_PGM_RSRC2:TGID_Y_EN: 0
; COMPUTE_PGM_RSRC2:TGID_Z_EN: 0
; COMPUTE_PGM_RSRC2:TIDIG_COMP_CNT: 0
	.section	.text._ZN7rocprim17ROCPRIM_400000_NS6detail17trampoline_kernelINS0_14default_configENS1_38merge_sort_block_merge_config_selectorIhNS0_10empty_typeEEEZZNS1_27merge_sort_block_merge_implIS3_PhPS5_jNS1_19radix_merge_compareILb1ELb1EhNS0_19identity_decomposerEEEEE10hipError_tT0_T1_T2_jT3_P12ihipStream_tbPNSt15iterator_traitsISE_E10value_typeEPNSK_ISF_E10value_typeEPSG_NS1_7vsmem_tEENKUlT_SE_SF_SG_E_clIS8_S8_S9_S9_EESD_ST_SE_SF_SG_EUlST_E_NS1_11comp_targetILNS1_3genE10ELNS1_11target_archE1201ELNS1_3gpuE5ELNS1_3repE0EEENS1_48merge_mergepath_partition_config_static_selectorELNS0_4arch9wavefront6targetE0EEEvSF_,"axG",@progbits,_ZN7rocprim17ROCPRIM_400000_NS6detail17trampoline_kernelINS0_14default_configENS1_38merge_sort_block_merge_config_selectorIhNS0_10empty_typeEEEZZNS1_27merge_sort_block_merge_implIS3_PhPS5_jNS1_19radix_merge_compareILb1ELb1EhNS0_19identity_decomposerEEEEE10hipError_tT0_T1_T2_jT3_P12ihipStream_tbPNSt15iterator_traitsISE_E10value_typeEPNSK_ISF_E10value_typeEPSG_NS1_7vsmem_tEENKUlT_SE_SF_SG_E_clIS8_S8_S9_S9_EESD_ST_SE_SF_SG_EUlST_E_NS1_11comp_targetILNS1_3genE10ELNS1_11target_archE1201ELNS1_3gpuE5ELNS1_3repE0EEENS1_48merge_mergepath_partition_config_static_selectorELNS0_4arch9wavefront6targetE0EEEvSF_,comdat
	.protected	_ZN7rocprim17ROCPRIM_400000_NS6detail17trampoline_kernelINS0_14default_configENS1_38merge_sort_block_merge_config_selectorIhNS0_10empty_typeEEEZZNS1_27merge_sort_block_merge_implIS3_PhPS5_jNS1_19radix_merge_compareILb1ELb1EhNS0_19identity_decomposerEEEEE10hipError_tT0_T1_T2_jT3_P12ihipStream_tbPNSt15iterator_traitsISE_E10value_typeEPNSK_ISF_E10value_typeEPSG_NS1_7vsmem_tEENKUlT_SE_SF_SG_E_clIS8_S8_S9_S9_EESD_ST_SE_SF_SG_EUlST_E_NS1_11comp_targetILNS1_3genE10ELNS1_11target_archE1201ELNS1_3gpuE5ELNS1_3repE0EEENS1_48merge_mergepath_partition_config_static_selectorELNS0_4arch9wavefront6targetE0EEEvSF_ ; -- Begin function _ZN7rocprim17ROCPRIM_400000_NS6detail17trampoline_kernelINS0_14default_configENS1_38merge_sort_block_merge_config_selectorIhNS0_10empty_typeEEEZZNS1_27merge_sort_block_merge_implIS3_PhPS5_jNS1_19radix_merge_compareILb1ELb1EhNS0_19identity_decomposerEEEEE10hipError_tT0_T1_T2_jT3_P12ihipStream_tbPNSt15iterator_traitsISE_E10value_typeEPNSK_ISF_E10value_typeEPSG_NS1_7vsmem_tEENKUlT_SE_SF_SG_E_clIS8_S8_S9_S9_EESD_ST_SE_SF_SG_EUlST_E_NS1_11comp_targetILNS1_3genE10ELNS1_11target_archE1201ELNS1_3gpuE5ELNS1_3repE0EEENS1_48merge_mergepath_partition_config_static_selectorELNS0_4arch9wavefront6targetE0EEEvSF_
	.globl	_ZN7rocprim17ROCPRIM_400000_NS6detail17trampoline_kernelINS0_14default_configENS1_38merge_sort_block_merge_config_selectorIhNS0_10empty_typeEEEZZNS1_27merge_sort_block_merge_implIS3_PhPS5_jNS1_19radix_merge_compareILb1ELb1EhNS0_19identity_decomposerEEEEE10hipError_tT0_T1_T2_jT3_P12ihipStream_tbPNSt15iterator_traitsISE_E10value_typeEPNSK_ISF_E10value_typeEPSG_NS1_7vsmem_tEENKUlT_SE_SF_SG_E_clIS8_S8_S9_S9_EESD_ST_SE_SF_SG_EUlST_E_NS1_11comp_targetILNS1_3genE10ELNS1_11target_archE1201ELNS1_3gpuE5ELNS1_3repE0EEENS1_48merge_mergepath_partition_config_static_selectorELNS0_4arch9wavefront6targetE0EEEvSF_
	.p2align	8
	.type	_ZN7rocprim17ROCPRIM_400000_NS6detail17trampoline_kernelINS0_14default_configENS1_38merge_sort_block_merge_config_selectorIhNS0_10empty_typeEEEZZNS1_27merge_sort_block_merge_implIS3_PhPS5_jNS1_19radix_merge_compareILb1ELb1EhNS0_19identity_decomposerEEEEE10hipError_tT0_T1_T2_jT3_P12ihipStream_tbPNSt15iterator_traitsISE_E10value_typeEPNSK_ISF_E10value_typeEPSG_NS1_7vsmem_tEENKUlT_SE_SF_SG_E_clIS8_S8_S9_S9_EESD_ST_SE_SF_SG_EUlST_E_NS1_11comp_targetILNS1_3genE10ELNS1_11target_archE1201ELNS1_3gpuE5ELNS1_3repE0EEENS1_48merge_mergepath_partition_config_static_selectorELNS0_4arch9wavefront6targetE0EEEvSF_,@function
_ZN7rocprim17ROCPRIM_400000_NS6detail17trampoline_kernelINS0_14default_configENS1_38merge_sort_block_merge_config_selectorIhNS0_10empty_typeEEEZZNS1_27merge_sort_block_merge_implIS3_PhPS5_jNS1_19radix_merge_compareILb1ELb1EhNS0_19identity_decomposerEEEEE10hipError_tT0_T1_T2_jT3_P12ihipStream_tbPNSt15iterator_traitsISE_E10value_typeEPNSK_ISF_E10value_typeEPSG_NS1_7vsmem_tEENKUlT_SE_SF_SG_E_clIS8_S8_S9_S9_EESD_ST_SE_SF_SG_EUlST_E_NS1_11comp_targetILNS1_3genE10ELNS1_11target_archE1201ELNS1_3gpuE5ELNS1_3repE0EEENS1_48merge_mergepath_partition_config_static_selectorELNS0_4arch9wavefront6targetE0EEEvSF_: ; @_ZN7rocprim17ROCPRIM_400000_NS6detail17trampoline_kernelINS0_14default_configENS1_38merge_sort_block_merge_config_selectorIhNS0_10empty_typeEEEZZNS1_27merge_sort_block_merge_implIS3_PhPS5_jNS1_19radix_merge_compareILb1ELb1EhNS0_19identity_decomposerEEEEE10hipError_tT0_T1_T2_jT3_P12ihipStream_tbPNSt15iterator_traitsISE_E10value_typeEPNSK_ISF_E10value_typeEPSG_NS1_7vsmem_tEENKUlT_SE_SF_SG_E_clIS8_S8_S9_S9_EESD_ST_SE_SF_SG_EUlST_E_NS1_11comp_targetILNS1_3genE10ELNS1_11target_archE1201ELNS1_3gpuE5ELNS1_3repE0EEENS1_48merge_mergepath_partition_config_static_selectorELNS0_4arch9wavefront6targetE0EEEvSF_
; %bb.0:
	.section	.rodata,"a",@progbits
	.p2align	6, 0x0
	.amdhsa_kernel _ZN7rocprim17ROCPRIM_400000_NS6detail17trampoline_kernelINS0_14default_configENS1_38merge_sort_block_merge_config_selectorIhNS0_10empty_typeEEEZZNS1_27merge_sort_block_merge_implIS3_PhPS5_jNS1_19radix_merge_compareILb1ELb1EhNS0_19identity_decomposerEEEEE10hipError_tT0_T1_T2_jT3_P12ihipStream_tbPNSt15iterator_traitsISE_E10value_typeEPNSK_ISF_E10value_typeEPSG_NS1_7vsmem_tEENKUlT_SE_SF_SG_E_clIS8_S8_S9_S9_EESD_ST_SE_SF_SG_EUlST_E_NS1_11comp_targetILNS1_3genE10ELNS1_11target_archE1201ELNS1_3gpuE5ELNS1_3repE0EEENS1_48merge_mergepath_partition_config_static_selectorELNS0_4arch9wavefront6targetE0EEEvSF_
		.amdhsa_group_segment_fixed_size 0
		.amdhsa_private_segment_fixed_size 0
		.amdhsa_kernarg_size 40
		.amdhsa_user_sgpr_count 2
		.amdhsa_user_sgpr_dispatch_ptr 0
		.amdhsa_user_sgpr_queue_ptr 0
		.amdhsa_user_sgpr_kernarg_segment_ptr 1
		.amdhsa_user_sgpr_dispatch_id 0
		.amdhsa_user_sgpr_kernarg_preload_length 0
		.amdhsa_user_sgpr_kernarg_preload_offset 0
		.amdhsa_user_sgpr_private_segment_size 0
		.amdhsa_wavefront_size32 1
		.amdhsa_uses_dynamic_stack 0
		.amdhsa_enable_private_segment 0
		.amdhsa_system_sgpr_workgroup_id_x 1
		.amdhsa_system_sgpr_workgroup_id_y 0
		.amdhsa_system_sgpr_workgroup_id_z 0
		.amdhsa_system_sgpr_workgroup_info 0
		.amdhsa_system_vgpr_workitem_id 0
		.amdhsa_next_free_vgpr 1
		.amdhsa_next_free_sgpr 1
		.amdhsa_named_barrier_count 0
		.amdhsa_reserve_vcc 0
		.amdhsa_float_round_mode_32 0
		.amdhsa_float_round_mode_16_64 0
		.amdhsa_float_denorm_mode_32 3
		.amdhsa_float_denorm_mode_16_64 3
		.amdhsa_fp16_overflow 0
		.amdhsa_memory_ordered 1
		.amdhsa_forward_progress 1
		.amdhsa_inst_pref_size 0
		.amdhsa_round_robin_scheduling 0
		.amdhsa_exception_fp_ieee_invalid_op 0
		.amdhsa_exception_fp_denorm_src 0
		.amdhsa_exception_fp_ieee_div_zero 0
		.amdhsa_exception_fp_ieee_overflow 0
		.amdhsa_exception_fp_ieee_underflow 0
		.amdhsa_exception_fp_ieee_inexact 0
		.amdhsa_exception_int_div_zero 0
	.end_amdhsa_kernel
	.section	.text._ZN7rocprim17ROCPRIM_400000_NS6detail17trampoline_kernelINS0_14default_configENS1_38merge_sort_block_merge_config_selectorIhNS0_10empty_typeEEEZZNS1_27merge_sort_block_merge_implIS3_PhPS5_jNS1_19radix_merge_compareILb1ELb1EhNS0_19identity_decomposerEEEEE10hipError_tT0_T1_T2_jT3_P12ihipStream_tbPNSt15iterator_traitsISE_E10value_typeEPNSK_ISF_E10value_typeEPSG_NS1_7vsmem_tEENKUlT_SE_SF_SG_E_clIS8_S8_S9_S9_EESD_ST_SE_SF_SG_EUlST_E_NS1_11comp_targetILNS1_3genE10ELNS1_11target_archE1201ELNS1_3gpuE5ELNS1_3repE0EEENS1_48merge_mergepath_partition_config_static_selectorELNS0_4arch9wavefront6targetE0EEEvSF_,"axG",@progbits,_ZN7rocprim17ROCPRIM_400000_NS6detail17trampoline_kernelINS0_14default_configENS1_38merge_sort_block_merge_config_selectorIhNS0_10empty_typeEEEZZNS1_27merge_sort_block_merge_implIS3_PhPS5_jNS1_19radix_merge_compareILb1ELb1EhNS0_19identity_decomposerEEEEE10hipError_tT0_T1_T2_jT3_P12ihipStream_tbPNSt15iterator_traitsISE_E10value_typeEPNSK_ISF_E10value_typeEPSG_NS1_7vsmem_tEENKUlT_SE_SF_SG_E_clIS8_S8_S9_S9_EESD_ST_SE_SF_SG_EUlST_E_NS1_11comp_targetILNS1_3genE10ELNS1_11target_archE1201ELNS1_3gpuE5ELNS1_3repE0EEENS1_48merge_mergepath_partition_config_static_selectorELNS0_4arch9wavefront6targetE0EEEvSF_,comdat
.Lfunc_end59:
	.size	_ZN7rocprim17ROCPRIM_400000_NS6detail17trampoline_kernelINS0_14default_configENS1_38merge_sort_block_merge_config_selectorIhNS0_10empty_typeEEEZZNS1_27merge_sort_block_merge_implIS3_PhPS5_jNS1_19radix_merge_compareILb1ELb1EhNS0_19identity_decomposerEEEEE10hipError_tT0_T1_T2_jT3_P12ihipStream_tbPNSt15iterator_traitsISE_E10value_typeEPNSK_ISF_E10value_typeEPSG_NS1_7vsmem_tEENKUlT_SE_SF_SG_E_clIS8_S8_S9_S9_EESD_ST_SE_SF_SG_EUlST_E_NS1_11comp_targetILNS1_3genE10ELNS1_11target_archE1201ELNS1_3gpuE5ELNS1_3repE0EEENS1_48merge_mergepath_partition_config_static_selectorELNS0_4arch9wavefront6targetE0EEEvSF_, .Lfunc_end59-_ZN7rocprim17ROCPRIM_400000_NS6detail17trampoline_kernelINS0_14default_configENS1_38merge_sort_block_merge_config_selectorIhNS0_10empty_typeEEEZZNS1_27merge_sort_block_merge_implIS3_PhPS5_jNS1_19radix_merge_compareILb1ELb1EhNS0_19identity_decomposerEEEEE10hipError_tT0_T1_T2_jT3_P12ihipStream_tbPNSt15iterator_traitsISE_E10value_typeEPNSK_ISF_E10value_typeEPSG_NS1_7vsmem_tEENKUlT_SE_SF_SG_E_clIS8_S8_S9_S9_EESD_ST_SE_SF_SG_EUlST_E_NS1_11comp_targetILNS1_3genE10ELNS1_11target_archE1201ELNS1_3gpuE5ELNS1_3repE0EEENS1_48merge_mergepath_partition_config_static_selectorELNS0_4arch9wavefront6targetE0EEEvSF_
                                        ; -- End function
	.set _ZN7rocprim17ROCPRIM_400000_NS6detail17trampoline_kernelINS0_14default_configENS1_38merge_sort_block_merge_config_selectorIhNS0_10empty_typeEEEZZNS1_27merge_sort_block_merge_implIS3_PhPS5_jNS1_19radix_merge_compareILb1ELb1EhNS0_19identity_decomposerEEEEE10hipError_tT0_T1_T2_jT3_P12ihipStream_tbPNSt15iterator_traitsISE_E10value_typeEPNSK_ISF_E10value_typeEPSG_NS1_7vsmem_tEENKUlT_SE_SF_SG_E_clIS8_S8_S9_S9_EESD_ST_SE_SF_SG_EUlST_E_NS1_11comp_targetILNS1_3genE10ELNS1_11target_archE1201ELNS1_3gpuE5ELNS1_3repE0EEENS1_48merge_mergepath_partition_config_static_selectorELNS0_4arch9wavefront6targetE0EEEvSF_.num_vgpr, 0
	.set _ZN7rocprim17ROCPRIM_400000_NS6detail17trampoline_kernelINS0_14default_configENS1_38merge_sort_block_merge_config_selectorIhNS0_10empty_typeEEEZZNS1_27merge_sort_block_merge_implIS3_PhPS5_jNS1_19radix_merge_compareILb1ELb1EhNS0_19identity_decomposerEEEEE10hipError_tT0_T1_T2_jT3_P12ihipStream_tbPNSt15iterator_traitsISE_E10value_typeEPNSK_ISF_E10value_typeEPSG_NS1_7vsmem_tEENKUlT_SE_SF_SG_E_clIS8_S8_S9_S9_EESD_ST_SE_SF_SG_EUlST_E_NS1_11comp_targetILNS1_3genE10ELNS1_11target_archE1201ELNS1_3gpuE5ELNS1_3repE0EEENS1_48merge_mergepath_partition_config_static_selectorELNS0_4arch9wavefront6targetE0EEEvSF_.num_agpr, 0
	.set _ZN7rocprim17ROCPRIM_400000_NS6detail17trampoline_kernelINS0_14default_configENS1_38merge_sort_block_merge_config_selectorIhNS0_10empty_typeEEEZZNS1_27merge_sort_block_merge_implIS3_PhPS5_jNS1_19radix_merge_compareILb1ELb1EhNS0_19identity_decomposerEEEEE10hipError_tT0_T1_T2_jT3_P12ihipStream_tbPNSt15iterator_traitsISE_E10value_typeEPNSK_ISF_E10value_typeEPSG_NS1_7vsmem_tEENKUlT_SE_SF_SG_E_clIS8_S8_S9_S9_EESD_ST_SE_SF_SG_EUlST_E_NS1_11comp_targetILNS1_3genE10ELNS1_11target_archE1201ELNS1_3gpuE5ELNS1_3repE0EEENS1_48merge_mergepath_partition_config_static_selectorELNS0_4arch9wavefront6targetE0EEEvSF_.numbered_sgpr, 0
	.set _ZN7rocprim17ROCPRIM_400000_NS6detail17trampoline_kernelINS0_14default_configENS1_38merge_sort_block_merge_config_selectorIhNS0_10empty_typeEEEZZNS1_27merge_sort_block_merge_implIS3_PhPS5_jNS1_19radix_merge_compareILb1ELb1EhNS0_19identity_decomposerEEEEE10hipError_tT0_T1_T2_jT3_P12ihipStream_tbPNSt15iterator_traitsISE_E10value_typeEPNSK_ISF_E10value_typeEPSG_NS1_7vsmem_tEENKUlT_SE_SF_SG_E_clIS8_S8_S9_S9_EESD_ST_SE_SF_SG_EUlST_E_NS1_11comp_targetILNS1_3genE10ELNS1_11target_archE1201ELNS1_3gpuE5ELNS1_3repE0EEENS1_48merge_mergepath_partition_config_static_selectorELNS0_4arch9wavefront6targetE0EEEvSF_.num_named_barrier, 0
	.set _ZN7rocprim17ROCPRIM_400000_NS6detail17trampoline_kernelINS0_14default_configENS1_38merge_sort_block_merge_config_selectorIhNS0_10empty_typeEEEZZNS1_27merge_sort_block_merge_implIS3_PhPS5_jNS1_19radix_merge_compareILb1ELb1EhNS0_19identity_decomposerEEEEE10hipError_tT0_T1_T2_jT3_P12ihipStream_tbPNSt15iterator_traitsISE_E10value_typeEPNSK_ISF_E10value_typeEPSG_NS1_7vsmem_tEENKUlT_SE_SF_SG_E_clIS8_S8_S9_S9_EESD_ST_SE_SF_SG_EUlST_E_NS1_11comp_targetILNS1_3genE10ELNS1_11target_archE1201ELNS1_3gpuE5ELNS1_3repE0EEENS1_48merge_mergepath_partition_config_static_selectorELNS0_4arch9wavefront6targetE0EEEvSF_.private_seg_size, 0
	.set _ZN7rocprim17ROCPRIM_400000_NS6detail17trampoline_kernelINS0_14default_configENS1_38merge_sort_block_merge_config_selectorIhNS0_10empty_typeEEEZZNS1_27merge_sort_block_merge_implIS3_PhPS5_jNS1_19radix_merge_compareILb1ELb1EhNS0_19identity_decomposerEEEEE10hipError_tT0_T1_T2_jT3_P12ihipStream_tbPNSt15iterator_traitsISE_E10value_typeEPNSK_ISF_E10value_typeEPSG_NS1_7vsmem_tEENKUlT_SE_SF_SG_E_clIS8_S8_S9_S9_EESD_ST_SE_SF_SG_EUlST_E_NS1_11comp_targetILNS1_3genE10ELNS1_11target_archE1201ELNS1_3gpuE5ELNS1_3repE0EEENS1_48merge_mergepath_partition_config_static_selectorELNS0_4arch9wavefront6targetE0EEEvSF_.uses_vcc, 0
	.set _ZN7rocprim17ROCPRIM_400000_NS6detail17trampoline_kernelINS0_14default_configENS1_38merge_sort_block_merge_config_selectorIhNS0_10empty_typeEEEZZNS1_27merge_sort_block_merge_implIS3_PhPS5_jNS1_19radix_merge_compareILb1ELb1EhNS0_19identity_decomposerEEEEE10hipError_tT0_T1_T2_jT3_P12ihipStream_tbPNSt15iterator_traitsISE_E10value_typeEPNSK_ISF_E10value_typeEPSG_NS1_7vsmem_tEENKUlT_SE_SF_SG_E_clIS8_S8_S9_S9_EESD_ST_SE_SF_SG_EUlST_E_NS1_11comp_targetILNS1_3genE10ELNS1_11target_archE1201ELNS1_3gpuE5ELNS1_3repE0EEENS1_48merge_mergepath_partition_config_static_selectorELNS0_4arch9wavefront6targetE0EEEvSF_.uses_flat_scratch, 0
	.set _ZN7rocprim17ROCPRIM_400000_NS6detail17trampoline_kernelINS0_14default_configENS1_38merge_sort_block_merge_config_selectorIhNS0_10empty_typeEEEZZNS1_27merge_sort_block_merge_implIS3_PhPS5_jNS1_19radix_merge_compareILb1ELb1EhNS0_19identity_decomposerEEEEE10hipError_tT0_T1_T2_jT3_P12ihipStream_tbPNSt15iterator_traitsISE_E10value_typeEPNSK_ISF_E10value_typeEPSG_NS1_7vsmem_tEENKUlT_SE_SF_SG_E_clIS8_S8_S9_S9_EESD_ST_SE_SF_SG_EUlST_E_NS1_11comp_targetILNS1_3genE10ELNS1_11target_archE1201ELNS1_3gpuE5ELNS1_3repE0EEENS1_48merge_mergepath_partition_config_static_selectorELNS0_4arch9wavefront6targetE0EEEvSF_.has_dyn_sized_stack, 0
	.set _ZN7rocprim17ROCPRIM_400000_NS6detail17trampoline_kernelINS0_14default_configENS1_38merge_sort_block_merge_config_selectorIhNS0_10empty_typeEEEZZNS1_27merge_sort_block_merge_implIS3_PhPS5_jNS1_19radix_merge_compareILb1ELb1EhNS0_19identity_decomposerEEEEE10hipError_tT0_T1_T2_jT3_P12ihipStream_tbPNSt15iterator_traitsISE_E10value_typeEPNSK_ISF_E10value_typeEPSG_NS1_7vsmem_tEENKUlT_SE_SF_SG_E_clIS8_S8_S9_S9_EESD_ST_SE_SF_SG_EUlST_E_NS1_11comp_targetILNS1_3genE10ELNS1_11target_archE1201ELNS1_3gpuE5ELNS1_3repE0EEENS1_48merge_mergepath_partition_config_static_selectorELNS0_4arch9wavefront6targetE0EEEvSF_.has_recursion, 0
	.set _ZN7rocprim17ROCPRIM_400000_NS6detail17trampoline_kernelINS0_14default_configENS1_38merge_sort_block_merge_config_selectorIhNS0_10empty_typeEEEZZNS1_27merge_sort_block_merge_implIS3_PhPS5_jNS1_19radix_merge_compareILb1ELb1EhNS0_19identity_decomposerEEEEE10hipError_tT0_T1_T2_jT3_P12ihipStream_tbPNSt15iterator_traitsISE_E10value_typeEPNSK_ISF_E10value_typeEPSG_NS1_7vsmem_tEENKUlT_SE_SF_SG_E_clIS8_S8_S9_S9_EESD_ST_SE_SF_SG_EUlST_E_NS1_11comp_targetILNS1_3genE10ELNS1_11target_archE1201ELNS1_3gpuE5ELNS1_3repE0EEENS1_48merge_mergepath_partition_config_static_selectorELNS0_4arch9wavefront6targetE0EEEvSF_.has_indirect_call, 0
	.section	.AMDGPU.csdata,"",@progbits
; Kernel info:
; codeLenInByte = 0
; TotalNumSgprs: 0
; NumVgprs: 0
; ScratchSize: 0
; MemoryBound: 0
; FloatMode: 240
; IeeeMode: 1
; LDSByteSize: 0 bytes/workgroup (compile time only)
; SGPRBlocks: 0
; VGPRBlocks: 0
; NumSGPRsForWavesPerEU: 1
; NumVGPRsForWavesPerEU: 1
; NamedBarCnt: 0
; Occupancy: 16
; WaveLimiterHint : 0
; COMPUTE_PGM_RSRC2:SCRATCH_EN: 0
; COMPUTE_PGM_RSRC2:USER_SGPR: 2
; COMPUTE_PGM_RSRC2:TRAP_HANDLER: 0
; COMPUTE_PGM_RSRC2:TGID_X_EN: 1
; COMPUTE_PGM_RSRC2:TGID_Y_EN: 0
; COMPUTE_PGM_RSRC2:TGID_Z_EN: 0
; COMPUTE_PGM_RSRC2:TIDIG_COMP_CNT: 0
	.section	.text._ZN7rocprim17ROCPRIM_400000_NS6detail17trampoline_kernelINS0_14default_configENS1_38merge_sort_block_merge_config_selectorIhNS0_10empty_typeEEEZZNS1_27merge_sort_block_merge_implIS3_PhPS5_jNS1_19radix_merge_compareILb1ELb1EhNS0_19identity_decomposerEEEEE10hipError_tT0_T1_T2_jT3_P12ihipStream_tbPNSt15iterator_traitsISE_E10value_typeEPNSK_ISF_E10value_typeEPSG_NS1_7vsmem_tEENKUlT_SE_SF_SG_E_clIS8_S8_S9_S9_EESD_ST_SE_SF_SG_EUlST_E_NS1_11comp_targetILNS1_3genE5ELNS1_11target_archE942ELNS1_3gpuE9ELNS1_3repE0EEENS1_48merge_mergepath_partition_config_static_selectorELNS0_4arch9wavefront6targetE0EEEvSF_,"axG",@progbits,_ZN7rocprim17ROCPRIM_400000_NS6detail17trampoline_kernelINS0_14default_configENS1_38merge_sort_block_merge_config_selectorIhNS0_10empty_typeEEEZZNS1_27merge_sort_block_merge_implIS3_PhPS5_jNS1_19radix_merge_compareILb1ELb1EhNS0_19identity_decomposerEEEEE10hipError_tT0_T1_T2_jT3_P12ihipStream_tbPNSt15iterator_traitsISE_E10value_typeEPNSK_ISF_E10value_typeEPSG_NS1_7vsmem_tEENKUlT_SE_SF_SG_E_clIS8_S8_S9_S9_EESD_ST_SE_SF_SG_EUlST_E_NS1_11comp_targetILNS1_3genE5ELNS1_11target_archE942ELNS1_3gpuE9ELNS1_3repE0EEENS1_48merge_mergepath_partition_config_static_selectorELNS0_4arch9wavefront6targetE0EEEvSF_,comdat
	.protected	_ZN7rocprim17ROCPRIM_400000_NS6detail17trampoline_kernelINS0_14default_configENS1_38merge_sort_block_merge_config_selectorIhNS0_10empty_typeEEEZZNS1_27merge_sort_block_merge_implIS3_PhPS5_jNS1_19radix_merge_compareILb1ELb1EhNS0_19identity_decomposerEEEEE10hipError_tT0_T1_T2_jT3_P12ihipStream_tbPNSt15iterator_traitsISE_E10value_typeEPNSK_ISF_E10value_typeEPSG_NS1_7vsmem_tEENKUlT_SE_SF_SG_E_clIS8_S8_S9_S9_EESD_ST_SE_SF_SG_EUlST_E_NS1_11comp_targetILNS1_3genE5ELNS1_11target_archE942ELNS1_3gpuE9ELNS1_3repE0EEENS1_48merge_mergepath_partition_config_static_selectorELNS0_4arch9wavefront6targetE0EEEvSF_ ; -- Begin function _ZN7rocprim17ROCPRIM_400000_NS6detail17trampoline_kernelINS0_14default_configENS1_38merge_sort_block_merge_config_selectorIhNS0_10empty_typeEEEZZNS1_27merge_sort_block_merge_implIS3_PhPS5_jNS1_19radix_merge_compareILb1ELb1EhNS0_19identity_decomposerEEEEE10hipError_tT0_T1_T2_jT3_P12ihipStream_tbPNSt15iterator_traitsISE_E10value_typeEPNSK_ISF_E10value_typeEPSG_NS1_7vsmem_tEENKUlT_SE_SF_SG_E_clIS8_S8_S9_S9_EESD_ST_SE_SF_SG_EUlST_E_NS1_11comp_targetILNS1_3genE5ELNS1_11target_archE942ELNS1_3gpuE9ELNS1_3repE0EEENS1_48merge_mergepath_partition_config_static_selectorELNS0_4arch9wavefront6targetE0EEEvSF_
	.globl	_ZN7rocprim17ROCPRIM_400000_NS6detail17trampoline_kernelINS0_14default_configENS1_38merge_sort_block_merge_config_selectorIhNS0_10empty_typeEEEZZNS1_27merge_sort_block_merge_implIS3_PhPS5_jNS1_19radix_merge_compareILb1ELb1EhNS0_19identity_decomposerEEEEE10hipError_tT0_T1_T2_jT3_P12ihipStream_tbPNSt15iterator_traitsISE_E10value_typeEPNSK_ISF_E10value_typeEPSG_NS1_7vsmem_tEENKUlT_SE_SF_SG_E_clIS8_S8_S9_S9_EESD_ST_SE_SF_SG_EUlST_E_NS1_11comp_targetILNS1_3genE5ELNS1_11target_archE942ELNS1_3gpuE9ELNS1_3repE0EEENS1_48merge_mergepath_partition_config_static_selectorELNS0_4arch9wavefront6targetE0EEEvSF_
	.p2align	8
	.type	_ZN7rocprim17ROCPRIM_400000_NS6detail17trampoline_kernelINS0_14default_configENS1_38merge_sort_block_merge_config_selectorIhNS0_10empty_typeEEEZZNS1_27merge_sort_block_merge_implIS3_PhPS5_jNS1_19radix_merge_compareILb1ELb1EhNS0_19identity_decomposerEEEEE10hipError_tT0_T1_T2_jT3_P12ihipStream_tbPNSt15iterator_traitsISE_E10value_typeEPNSK_ISF_E10value_typeEPSG_NS1_7vsmem_tEENKUlT_SE_SF_SG_E_clIS8_S8_S9_S9_EESD_ST_SE_SF_SG_EUlST_E_NS1_11comp_targetILNS1_3genE5ELNS1_11target_archE942ELNS1_3gpuE9ELNS1_3repE0EEENS1_48merge_mergepath_partition_config_static_selectorELNS0_4arch9wavefront6targetE0EEEvSF_,@function
_ZN7rocprim17ROCPRIM_400000_NS6detail17trampoline_kernelINS0_14default_configENS1_38merge_sort_block_merge_config_selectorIhNS0_10empty_typeEEEZZNS1_27merge_sort_block_merge_implIS3_PhPS5_jNS1_19radix_merge_compareILb1ELb1EhNS0_19identity_decomposerEEEEE10hipError_tT0_T1_T2_jT3_P12ihipStream_tbPNSt15iterator_traitsISE_E10value_typeEPNSK_ISF_E10value_typeEPSG_NS1_7vsmem_tEENKUlT_SE_SF_SG_E_clIS8_S8_S9_S9_EESD_ST_SE_SF_SG_EUlST_E_NS1_11comp_targetILNS1_3genE5ELNS1_11target_archE942ELNS1_3gpuE9ELNS1_3repE0EEENS1_48merge_mergepath_partition_config_static_selectorELNS0_4arch9wavefront6targetE0EEEvSF_: ; @_ZN7rocprim17ROCPRIM_400000_NS6detail17trampoline_kernelINS0_14default_configENS1_38merge_sort_block_merge_config_selectorIhNS0_10empty_typeEEEZZNS1_27merge_sort_block_merge_implIS3_PhPS5_jNS1_19radix_merge_compareILb1ELb1EhNS0_19identity_decomposerEEEEE10hipError_tT0_T1_T2_jT3_P12ihipStream_tbPNSt15iterator_traitsISE_E10value_typeEPNSK_ISF_E10value_typeEPSG_NS1_7vsmem_tEENKUlT_SE_SF_SG_E_clIS8_S8_S9_S9_EESD_ST_SE_SF_SG_EUlST_E_NS1_11comp_targetILNS1_3genE5ELNS1_11target_archE942ELNS1_3gpuE9ELNS1_3repE0EEENS1_48merge_mergepath_partition_config_static_selectorELNS0_4arch9wavefront6targetE0EEEvSF_
; %bb.0:
	.section	.rodata,"a",@progbits
	.p2align	6, 0x0
	.amdhsa_kernel _ZN7rocprim17ROCPRIM_400000_NS6detail17trampoline_kernelINS0_14default_configENS1_38merge_sort_block_merge_config_selectorIhNS0_10empty_typeEEEZZNS1_27merge_sort_block_merge_implIS3_PhPS5_jNS1_19radix_merge_compareILb1ELb1EhNS0_19identity_decomposerEEEEE10hipError_tT0_T1_T2_jT3_P12ihipStream_tbPNSt15iterator_traitsISE_E10value_typeEPNSK_ISF_E10value_typeEPSG_NS1_7vsmem_tEENKUlT_SE_SF_SG_E_clIS8_S8_S9_S9_EESD_ST_SE_SF_SG_EUlST_E_NS1_11comp_targetILNS1_3genE5ELNS1_11target_archE942ELNS1_3gpuE9ELNS1_3repE0EEENS1_48merge_mergepath_partition_config_static_selectorELNS0_4arch9wavefront6targetE0EEEvSF_
		.amdhsa_group_segment_fixed_size 0
		.amdhsa_private_segment_fixed_size 0
		.amdhsa_kernarg_size 40
		.amdhsa_user_sgpr_count 2
		.amdhsa_user_sgpr_dispatch_ptr 0
		.amdhsa_user_sgpr_queue_ptr 0
		.amdhsa_user_sgpr_kernarg_segment_ptr 1
		.amdhsa_user_sgpr_dispatch_id 0
		.amdhsa_user_sgpr_kernarg_preload_length 0
		.amdhsa_user_sgpr_kernarg_preload_offset 0
		.amdhsa_user_sgpr_private_segment_size 0
		.amdhsa_wavefront_size32 1
		.amdhsa_uses_dynamic_stack 0
		.amdhsa_enable_private_segment 0
		.amdhsa_system_sgpr_workgroup_id_x 1
		.amdhsa_system_sgpr_workgroup_id_y 0
		.amdhsa_system_sgpr_workgroup_id_z 0
		.amdhsa_system_sgpr_workgroup_info 0
		.amdhsa_system_vgpr_workitem_id 0
		.amdhsa_next_free_vgpr 1
		.amdhsa_next_free_sgpr 1
		.amdhsa_named_barrier_count 0
		.amdhsa_reserve_vcc 0
		.amdhsa_float_round_mode_32 0
		.amdhsa_float_round_mode_16_64 0
		.amdhsa_float_denorm_mode_32 3
		.amdhsa_float_denorm_mode_16_64 3
		.amdhsa_fp16_overflow 0
		.amdhsa_memory_ordered 1
		.amdhsa_forward_progress 1
		.amdhsa_inst_pref_size 0
		.amdhsa_round_robin_scheduling 0
		.amdhsa_exception_fp_ieee_invalid_op 0
		.amdhsa_exception_fp_denorm_src 0
		.amdhsa_exception_fp_ieee_div_zero 0
		.amdhsa_exception_fp_ieee_overflow 0
		.amdhsa_exception_fp_ieee_underflow 0
		.amdhsa_exception_fp_ieee_inexact 0
		.amdhsa_exception_int_div_zero 0
	.end_amdhsa_kernel
	.section	.text._ZN7rocprim17ROCPRIM_400000_NS6detail17trampoline_kernelINS0_14default_configENS1_38merge_sort_block_merge_config_selectorIhNS0_10empty_typeEEEZZNS1_27merge_sort_block_merge_implIS3_PhPS5_jNS1_19radix_merge_compareILb1ELb1EhNS0_19identity_decomposerEEEEE10hipError_tT0_T1_T2_jT3_P12ihipStream_tbPNSt15iterator_traitsISE_E10value_typeEPNSK_ISF_E10value_typeEPSG_NS1_7vsmem_tEENKUlT_SE_SF_SG_E_clIS8_S8_S9_S9_EESD_ST_SE_SF_SG_EUlST_E_NS1_11comp_targetILNS1_3genE5ELNS1_11target_archE942ELNS1_3gpuE9ELNS1_3repE0EEENS1_48merge_mergepath_partition_config_static_selectorELNS0_4arch9wavefront6targetE0EEEvSF_,"axG",@progbits,_ZN7rocprim17ROCPRIM_400000_NS6detail17trampoline_kernelINS0_14default_configENS1_38merge_sort_block_merge_config_selectorIhNS0_10empty_typeEEEZZNS1_27merge_sort_block_merge_implIS3_PhPS5_jNS1_19radix_merge_compareILb1ELb1EhNS0_19identity_decomposerEEEEE10hipError_tT0_T1_T2_jT3_P12ihipStream_tbPNSt15iterator_traitsISE_E10value_typeEPNSK_ISF_E10value_typeEPSG_NS1_7vsmem_tEENKUlT_SE_SF_SG_E_clIS8_S8_S9_S9_EESD_ST_SE_SF_SG_EUlST_E_NS1_11comp_targetILNS1_3genE5ELNS1_11target_archE942ELNS1_3gpuE9ELNS1_3repE0EEENS1_48merge_mergepath_partition_config_static_selectorELNS0_4arch9wavefront6targetE0EEEvSF_,comdat
.Lfunc_end60:
	.size	_ZN7rocprim17ROCPRIM_400000_NS6detail17trampoline_kernelINS0_14default_configENS1_38merge_sort_block_merge_config_selectorIhNS0_10empty_typeEEEZZNS1_27merge_sort_block_merge_implIS3_PhPS5_jNS1_19radix_merge_compareILb1ELb1EhNS0_19identity_decomposerEEEEE10hipError_tT0_T1_T2_jT3_P12ihipStream_tbPNSt15iterator_traitsISE_E10value_typeEPNSK_ISF_E10value_typeEPSG_NS1_7vsmem_tEENKUlT_SE_SF_SG_E_clIS8_S8_S9_S9_EESD_ST_SE_SF_SG_EUlST_E_NS1_11comp_targetILNS1_3genE5ELNS1_11target_archE942ELNS1_3gpuE9ELNS1_3repE0EEENS1_48merge_mergepath_partition_config_static_selectorELNS0_4arch9wavefront6targetE0EEEvSF_, .Lfunc_end60-_ZN7rocprim17ROCPRIM_400000_NS6detail17trampoline_kernelINS0_14default_configENS1_38merge_sort_block_merge_config_selectorIhNS0_10empty_typeEEEZZNS1_27merge_sort_block_merge_implIS3_PhPS5_jNS1_19radix_merge_compareILb1ELb1EhNS0_19identity_decomposerEEEEE10hipError_tT0_T1_T2_jT3_P12ihipStream_tbPNSt15iterator_traitsISE_E10value_typeEPNSK_ISF_E10value_typeEPSG_NS1_7vsmem_tEENKUlT_SE_SF_SG_E_clIS8_S8_S9_S9_EESD_ST_SE_SF_SG_EUlST_E_NS1_11comp_targetILNS1_3genE5ELNS1_11target_archE942ELNS1_3gpuE9ELNS1_3repE0EEENS1_48merge_mergepath_partition_config_static_selectorELNS0_4arch9wavefront6targetE0EEEvSF_
                                        ; -- End function
	.set _ZN7rocprim17ROCPRIM_400000_NS6detail17trampoline_kernelINS0_14default_configENS1_38merge_sort_block_merge_config_selectorIhNS0_10empty_typeEEEZZNS1_27merge_sort_block_merge_implIS3_PhPS5_jNS1_19radix_merge_compareILb1ELb1EhNS0_19identity_decomposerEEEEE10hipError_tT0_T1_T2_jT3_P12ihipStream_tbPNSt15iterator_traitsISE_E10value_typeEPNSK_ISF_E10value_typeEPSG_NS1_7vsmem_tEENKUlT_SE_SF_SG_E_clIS8_S8_S9_S9_EESD_ST_SE_SF_SG_EUlST_E_NS1_11comp_targetILNS1_3genE5ELNS1_11target_archE942ELNS1_3gpuE9ELNS1_3repE0EEENS1_48merge_mergepath_partition_config_static_selectorELNS0_4arch9wavefront6targetE0EEEvSF_.num_vgpr, 0
	.set _ZN7rocprim17ROCPRIM_400000_NS6detail17trampoline_kernelINS0_14default_configENS1_38merge_sort_block_merge_config_selectorIhNS0_10empty_typeEEEZZNS1_27merge_sort_block_merge_implIS3_PhPS5_jNS1_19radix_merge_compareILb1ELb1EhNS0_19identity_decomposerEEEEE10hipError_tT0_T1_T2_jT3_P12ihipStream_tbPNSt15iterator_traitsISE_E10value_typeEPNSK_ISF_E10value_typeEPSG_NS1_7vsmem_tEENKUlT_SE_SF_SG_E_clIS8_S8_S9_S9_EESD_ST_SE_SF_SG_EUlST_E_NS1_11comp_targetILNS1_3genE5ELNS1_11target_archE942ELNS1_3gpuE9ELNS1_3repE0EEENS1_48merge_mergepath_partition_config_static_selectorELNS0_4arch9wavefront6targetE0EEEvSF_.num_agpr, 0
	.set _ZN7rocprim17ROCPRIM_400000_NS6detail17trampoline_kernelINS0_14default_configENS1_38merge_sort_block_merge_config_selectorIhNS0_10empty_typeEEEZZNS1_27merge_sort_block_merge_implIS3_PhPS5_jNS1_19radix_merge_compareILb1ELb1EhNS0_19identity_decomposerEEEEE10hipError_tT0_T1_T2_jT3_P12ihipStream_tbPNSt15iterator_traitsISE_E10value_typeEPNSK_ISF_E10value_typeEPSG_NS1_7vsmem_tEENKUlT_SE_SF_SG_E_clIS8_S8_S9_S9_EESD_ST_SE_SF_SG_EUlST_E_NS1_11comp_targetILNS1_3genE5ELNS1_11target_archE942ELNS1_3gpuE9ELNS1_3repE0EEENS1_48merge_mergepath_partition_config_static_selectorELNS0_4arch9wavefront6targetE0EEEvSF_.numbered_sgpr, 0
	.set _ZN7rocprim17ROCPRIM_400000_NS6detail17trampoline_kernelINS0_14default_configENS1_38merge_sort_block_merge_config_selectorIhNS0_10empty_typeEEEZZNS1_27merge_sort_block_merge_implIS3_PhPS5_jNS1_19radix_merge_compareILb1ELb1EhNS0_19identity_decomposerEEEEE10hipError_tT0_T1_T2_jT3_P12ihipStream_tbPNSt15iterator_traitsISE_E10value_typeEPNSK_ISF_E10value_typeEPSG_NS1_7vsmem_tEENKUlT_SE_SF_SG_E_clIS8_S8_S9_S9_EESD_ST_SE_SF_SG_EUlST_E_NS1_11comp_targetILNS1_3genE5ELNS1_11target_archE942ELNS1_3gpuE9ELNS1_3repE0EEENS1_48merge_mergepath_partition_config_static_selectorELNS0_4arch9wavefront6targetE0EEEvSF_.num_named_barrier, 0
	.set _ZN7rocprim17ROCPRIM_400000_NS6detail17trampoline_kernelINS0_14default_configENS1_38merge_sort_block_merge_config_selectorIhNS0_10empty_typeEEEZZNS1_27merge_sort_block_merge_implIS3_PhPS5_jNS1_19radix_merge_compareILb1ELb1EhNS0_19identity_decomposerEEEEE10hipError_tT0_T1_T2_jT3_P12ihipStream_tbPNSt15iterator_traitsISE_E10value_typeEPNSK_ISF_E10value_typeEPSG_NS1_7vsmem_tEENKUlT_SE_SF_SG_E_clIS8_S8_S9_S9_EESD_ST_SE_SF_SG_EUlST_E_NS1_11comp_targetILNS1_3genE5ELNS1_11target_archE942ELNS1_3gpuE9ELNS1_3repE0EEENS1_48merge_mergepath_partition_config_static_selectorELNS0_4arch9wavefront6targetE0EEEvSF_.private_seg_size, 0
	.set _ZN7rocprim17ROCPRIM_400000_NS6detail17trampoline_kernelINS0_14default_configENS1_38merge_sort_block_merge_config_selectorIhNS0_10empty_typeEEEZZNS1_27merge_sort_block_merge_implIS3_PhPS5_jNS1_19radix_merge_compareILb1ELb1EhNS0_19identity_decomposerEEEEE10hipError_tT0_T1_T2_jT3_P12ihipStream_tbPNSt15iterator_traitsISE_E10value_typeEPNSK_ISF_E10value_typeEPSG_NS1_7vsmem_tEENKUlT_SE_SF_SG_E_clIS8_S8_S9_S9_EESD_ST_SE_SF_SG_EUlST_E_NS1_11comp_targetILNS1_3genE5ELNS1_11target_archE942ELNS1_3gpuE9ELNS1_3repE0EEENS1_48merge_mergepath_partition_config_static_selectorELNS0_4arch9wavefront6targetE0EEEvSF_.uses_vcc, 0
	.set _ZN7rocprim17ROCPRIM_400000_NS6detail17trampoline_kernelINS0_14default_configENS1_38merge_sort_block_merge_config_selectorIhNS0_10empty_typeEEEZZNS1_27merge_sort_block_merge_implIS3_PhPS5_jNS1_19radix_merge_compareILb1ELb1EhNS0_19identity_decomposerEEEEE10hipError_tT0_T1_T2_jT3_P12ihipStream_tbPNSt15iterator_traitsISE_E10value_typeEPNSK_ISF_E10value_typeEPSG_NS1_7vsmem_tEENKUlT_SE_SF_SG_E_clIS8_S8_S9_S9_EESD_ST_SE_SF_SG_EUlST_E_NS1_11comp_targetILNS1_3genE5ELNS1_11target_archE942ELNS1_3gpuE9ELNS1_3repE0EEENS1_48merge_mergepath_partition_config_static_selectorELNS0_4arch9wavefront6targetE0EEEvSF_.uses_flat_scratch, 0
	.set _ZN7rocprim17ROCPRIM_400000_NS6detail17trampoline_kernelINS0_14default_configENS1_38merge_sort_block_merge_config_selectorIhNS0_10empty_typeEEEZZNS1_27merge_sort_block_merge_implIS3_PhPS5_jNS1_19radix_merge_compareILb1ELb1EhNS0_19identity_decomposerEEEEE10hipError_tT0_T1_T2_jT3_P12ihipStream_tbPNSt15iterator_traitsISE_E10value_typeEPNSK_ISF_E10value_typeEPSG_NS1_7vsmem_tEENKUlT_SE_SF_SG_E_clIS8_S8_S9_S9_EESD_ST_SE_SF_SG_EUlST_E_NS1_11comp_targetILNS1_3genE5ELNS1_11target_archE942ELNS1_3gpuE9ELNS1_3repE0EEENS1_48merge_mergepath_partition_config_static_selectorELNS0_4arch9wavefront6targetE0EEEvSF_.has_dyn_sized_stack, 0
	.set _ZN7rocprim17ROCPRIM_400000_NS6detail17trampoline_kernelINS0_14default_configENS1_38merge_sort_block_merge_config_selectorIhNS0_10empty_typeEEEZZNS1_27merge_sort_block_merge_implIS3_PhPS5_jNS1_19radix_merge_compareILb1ELb1EhNS0_19identity_decomposerEEEEE10hipError_tT0_T1_T2_jT3_P12ihipStream_tbPNSt15iterator_traitsISE_E10value_typeEPNSK_ISF_E10value_typeEPSG_NS1_7vsmem_tEENKUlT_SE_SF_SG_E_clIS8_S8_S9_S9_EESD_ST_SE_SF_SG_EUlST_E_NS1_11comp_targetILNS1_3genE5ELNS1_11target_archE942ELNS1_3gpuE9ELNS1_3repE0EEENS1_48merge_mergepath_partition_config_static_selectorELNS0_4arch9wavefront6targetE0EEEvSF_.has_recursion, 0
	.set _ZN7rocprim17ROCPRIM_400000_NS6detail17trampoline_kernelINS0_14default_configENS1_38merge_sort_block_merge_config_selectorIhNS0_10empty_typeEEEZZNS1_27merge_sort_block_merge_implIS3_PhPS5_jNS1_19radix_merge_compareILb1ELb1EhNS0_19identity_decomposerEEEEE10hipError_tT0_T1_T2_jT3_P12ihipStream_tbPNSt15iterator_traitsISE_E10value_typeEPNSK_ISF_E10value_typeEPSG_NS1_7vsmem_tEENKUlT_SE_SF_SG_E_clIS8_S8_S9_S9_EESD_ST_SE_SF_SG_EUlST_E_NS1_11comp_targetILNS1_3genE5ELNS1_11target_archE942ELNS1_3gpuE9ELNS1_3repE0EEENS1_48merge_mergepath_partition_config_static_selectorELNS0_4arch9wavefront6targetE0EEEvSF_.has_indirect_call, 0
	.section	.AMDGPU.csdata,"",@progbits
; Kernel info:
; codeLenInByte = 0
; TotalNumSgprs: 0
; NumVgprs: 0
; ScratchSize: 0
; MemoryBound: 0
; FloatMode: 240
; IeeeMode: 1
; LDSByteSize: 0 bytes/workgroup (compile time only)
; SGPRBlocks: 0
; VGPRBlocks: 0
; NumSGPRsForWavesPerEU: 1
; NumVGPRsForWavesPerEU: 1
; NamedBarCnt: 0
; Occupancy: 16
; WaveLimiterHint : 0
; COMPUTE_PGM_RSRC2:SCRATCH_EN: 0
; COMPUTE_PGM_RSRC2:USER_SGPR: 2
; COMPUTE_PGM_RSRC2:TRAP_HANDLER: 0
; COMPUTE_PGM_RSRC2:TGID_X_EN: 1
; COMPUTE_PGM_RSRC2:TGID_Y_EN: 0
; COMPUTE_PGM_RSRC2:TGID_Z_EN: 0
; COMPUTE_PGM_RSRC2:TIDIG_COMP_CNT: 0
	.section	.text._ZN7rocprim17ROCPRIM_400000_NS6detail17trampoline_kernelINS0_14default_configENS1_38merge_sort_block_merge_config_selectorIhNS0_10empty_typeEEEZZNS1_27merge_sort_block_merge_implIS3_PhPS5_jNS1_19radix_merge_compareILb1ELb1EhNS0_19identity_decomposerEEEEE10hipError_tT0_T1_T2_jT3_P12ihipStream_tbPNSt15iterator_traitsISE_E10value_typeEPNSK_ISF_E10value_typeEPSG_NS1_7vsmem_tEENKUlT_SE_SF_SG_E_clIS8_S8_S9_S9_EESD_ST_SE_SF_SG_EUlST_E_NS1_11comp_targetILNS1_3genE4ELNS1_11target_archE910ELNS1_3gpuE8ELNS1_3repE0EEENS1_48merge_mergepath_partition_config_static_selectorELNS0_4arch9wavefront6targetE0EEEvSF_,"axG",@progbits,_ZN7rocprim17ROCPRIM_400000_NS6detail17trampoline_kernelINS0_14default_configENS1_38merge_sort_block_merge_config_selectorIhNS0_10empty_typeEEEZZNS1_27merge_sort_block_merge_implIS3_PhPS5_jNS1_19radix_merge_compareILb1ELb1EhNS0_19identity_decomposerEEEEE10hipError_tT0_T1_T2_jT3_P12ihipStream_tbPNSt15iterator_traitsISE_E10value_typeEPNSK_ISF_E10value_typeEPSG_NS1_7vsmem_tEENKUlT_SE_SF_SG_E_clIS8_S8_S9_S9_EESD_ST_SE_SF_SG_EUlST_E_NS1_11comp_targetILNS1_3genE4ELNS1_11target_archE910ELNS1_3gpuE8ELNS1_3repE0EEENS1_48merge_mergepath_partition_config_static_selectorELNS0_4arch9wavefront6targetE0EEEvSF_,comdat
	.protected	_ZN7rocprim17ROCPRIM_400000_NS6detail17trampoline_kernelINS0_14default_configENS1_38merge_sort_block_merge_config_selectorIhNS0_10empty_typeEEEZZNS1_27merge_sort_block_merge_implIS3_PhPS5_jNS1_19radix_merge_compareILb1ELb1EhNS0_19identity_decomposerEEEEE10hipError_tT0_T1_T2_jT3_P12ihipStream_tbPNSt15iterator_traitsISE_E10value_typeEPNSK_ISF_E10value_typeEPSG_NS1_7vsmem_tEENKUlT_SE_SF_SG_E_clIS8_S8_S9_S9_EESD_ST_SE_SF_SG_EUlST_E_NS1_11comp_targetILNS1_3genE4ELNS1_11target_archE910ELNS1_3gpuE8ELNS1_3repE0EEENS1_48merge_mergepath_partition_config_static_selectorELNS0_4arch9wavefront6targetE0EEEvSF_ ; -- Begin function _ZN7rocprim17ROCPRIM_400000_NS6detail17trampoline_kernelINS0_14default_configENS1_38merge_sort_block_merge_config_selectorIhNS0_10empty_typeEEEZZNS1_27merge_sort_block_merge_implIS3_PhPS5_jNS1_19radix_merge_compareILb1ELb1EhNS0_19identity_decomposerEEEEE10hipError_tT0_T1_T2_jT3_P12ihipStream_tbPNSt15iterator_traitsISE_E10value_typeEPNSK_ISF_E10value_typeEPSG_NS1_7vsmem_tEENKUlT_SE_SF_SG_E_clIS8_S8_S9_S9_EESD_ST_SE_SF_SG_EUlST_E_NS1_11comp_targetILNS1_3genE4ELNS1_11target_archE910ELNS1_3gpuE8ELNS1_3repE0EEENS1_48merge_mergepath_partition_config_static_selectorELNS0_4arch9wavefront6targetE0EEEvSF_
	.globl	_ZN7rocprim17ROCPRIM_400000_NS6detail17trampoline_kernelINS0_14default_configENS1_38merge_sort_block_merge_config_selectorIhNS0_10empty_typeEEEZZNS1_27merge_sort_block_merge_implIS3_PhPS5_jNS1_19radix_merge_compareILb1ELb1EhNS0_19identity_decomposerEEEEE10hipError_tT0_T1_T2_jT3_P12ihipStream_tbPNSt15iterator_traitsISE_E10value_typeEPNSK_ISF_E10value_typeEPSG_NS1_7vsmem_tEENKUlT_SE_SF_SG_E_clIS8_S8_S9_S9_EESD_ST_SE_SF_SG_EUlST_E_NS1_11comp_targetILNS1_3genE4ELNS1_11target_archE910ELNS1_3gpuE8ELNS1_3repE0EEENS1_48merge_mergepath_partition_config_static_selectorELNS0_4arch9wavefront6targetE0EEEvSF_
	.p2align	8
	.type	_ZN7rocprim17ROCPRIM_400000_NS6detail17trampoline_kernelINS0_14default_configENS1_38merge_sort_block_merge_config_selectorIhNS0_10empty_typeEEEZZNS1_27merge_sort_block_merge_implIS3_PhPS5_jNS1_19radix_merge_compareILb1ELb1EhNS0_19identity_decomposerEEEEE10hipError_tT0_T1_T2_jT3_P12ihipStream_tbPNSt15iterator_traitsISE_E10value_typeEPNSK_ISF_E10value_typeEPSG_NS1_7vsmem_tEENKUlT_SE_SF_SG_E_clIS8_S8_S9_S9_EESD_ST_SE_SF_SG_EUlST_E_NS1_11comp_targetILNS1_3genE4ELNS1_11target_archE910ELNS1_3gpuE8ELNS1_3repE0EEENS1_48merge_mergepath_partition_config_static_selectorELNS0_4arch9wavefront6targetE0EEEvSF_,@function
_ZN7rocprim17ROCPRIM_400000_NS6detail17trampoline_kernelINS0_14default_configENS1_38merge_sort_block_merge_config_selectorIhNS0_10empty_typeEEEZZNS1_27merge_sort_block_merge_implIS3_PhPS5_jNS1_19radix_merge_compareILb1ELb1EhNS0_19identity_decomposerEEEEE10hipError_tT0_T1_T2_jT3_P12ihipStream_tbPNSt15iterator_traitsISE_E10value_typeEPNSK_ISF_E10value_typeEPSG_NS1_7vsmem_tEENKUlT_SE_SF_SG_E_clIS8_S8_S9_S9_EESD_ST_SE_SF_SG_EUlST_E_NS1_11comp_targetILNS1_3genE4ELNS1_11target_archE910ELNS1_3gpuE8ELNS1_3repE0EEENS1_48merge_mergepath_partition_config_static_selectorELNS0_4arch9wavefront6targetE0EEEvSF_: ; @_ZN7rocprim17ROCPRIM_400000_NS6detail17trampoline_kernelINS0_14default_configENS1_38merge_sort_block_merge_config_selectorIhNS0_10empty_typeEEEZZNS1_27merge_sort_block_merge_implIS3_PhPS5_jNS1_19radix_merge_compareILb1ELb1EhNS0_19identity_decomposerEEEEE10hipError_tT0_T1_T2_jT3_P12ihipStream_tbPNSt15iterator_traitsISE_E10value_typeEPNSK_ISF_E10value_typeEPSG_NS1_7vsmem_tEENKUlT_SE_SF_SG_E_clIS8_S8_S9_S9_EESD_ST_SE_SF_SG_EUlST_E_NS1_11comp_targetILNS1_3genE4ELNS1_11target_archE910ELNS1_3gpuE8ELNS1_3repE0EEENS1_48merge_mergepath_partition_config_static_selectorELNS0_4arch9wavefront6targetE0EEEvSF_
; %bb.0:
	.section	.rodata,"a",@progbits
	.p2align	6, 0x0
	.amdhsa_kernel _ZN7rocprim17ROCPRIM_400000_NS6detail17trampoline_kernelINS0_14default_configENS1_38merge_sort_block_merge_config_selectorIhNS0_10empty_typeEEEZZNS1_27merge_sort_block_merge_implIS3_PhPS5_jNS1_19radix_merge_compareILb1ELb1EhNS0_19identity_decomposerEEEEE10hipError_tT0_T1_T2_jT3_P12ihipStream_tbPNSt15iterator_traitsISE_E10value_typeEPNSK_ISF_E10value_typeEPSG_NS1_7vsmem_tEENKUlT_SE_SF_SG_E_clIS8_S8_S9_S9_EESD_ST_SE_SF_SG_EUlST_E_NS1_11comp_targetILNS1_3genE4ELNS1_11target_archE910ELNS1_3gpuE8ELNS1_3repE0EEENS1_48merge_mergepath_partition_config_static_selectorELNS0_4arch9wavefront6targetE0EEEvSF_
		.amdhsa_group_segment_fixed_size 0
		.amdhsa_private_segment_fixed_size 0
		.amdhsa_kernarg_size 40
		.amdhsa_user_sgpr_count 2
		.amdhsa_user_sgpr_dispatch_ptr 0
		.amdhsa_user_sgpr_queue_ptr 0
		.amdhsa_user_sgpr_kernarg_segment_ptr 1
		.amdhsa_user_sgpr_dispatch_id 0
		.amdhsa_user_sgpr_kernarg_preload_length 0
		.amdhsa_user_sgpr_kernarg_preload_offset 0
		.amdhsa_user_sgpr_private_segment_size 0
		.amdhsa_wavefront_size32 1
		.amdhsa_uses_dynamic_stack 0
		.amdhsa_enable_private_segment 0
		.amdhsa_system_sgpr_workgroup_id_x 1
		.amdhsa_system_sgpr_workgroup_id_y 0
		.amdhsa_system_sgpr_workgroup_id_z 0
		.amdhsa_system_sgpr_workgroup_info 0
		.amdhsa_system_vgpr_workitem_id 0
		.amdhsa_next_free_vgpr 1
		.amdhsa_next_free_sgpr 1
		.amdhsa_named_barrier_count 0
		.amdhsa_reserve_vcc 0
		.amdhsa_float_round_mode_32 0
		.amdhsa_float_round_mode_16_64 0
		.amdhsa_float_denorm_mode_32 3
		.amdhsa_float_denorm_mode_16_64 3
		.amdhsa_fp16_overflow 0
		.amdhsa_memory_ordered 1
		.amdhsa_forward_progress 1
		.amdhsa_inst_pref_size 0
		.amdhsa_round_robin_scheduling 0
		.amdhsa_exception_fp_ieee_invalid_op 0
		.amdhsa_exception_fp_denorm_src 0
		.amdhsa_exception_fp_ieee_div_zero 0
		.amdhsa_exception_fp_ieee_overflow 0
		.amdhsa_exception_fp_ieee_underflow 0
		.amdhsa_exception_fp_ieee_inexact 0
		.amdhsa_exception_int_div_zero 0
	.end_amdhsa_kernel
	.section	.text._ZN7rocprim17ROCPRIM_400000_NS6detail17trampoline_kernelINS0_14default_configENS1_38merge_sort_block_merge_config_selectorIhNS0_10empty_typeEEEZZNS1_27merge_sort_block_merge_implIS3_PhPS5_jNS1_19radix_merge_compareILb1ELb1EhNS0_19identity_decomposerEEEEE10hipError_tT0_T1_T2_jT3_P12ihipStream_tbPNSt15iterator_traitsISE_E10value_typeEPNSK_ISF_E10value_typeEPSG_NS1_7vsmem_tEENKUlT_SE_SF_SG_E_clIS8_S8_S9_S9_EESD_ST_SE_SF_SG_EUlST_E_NS1_11comp_targetILNS1_3genE4ELNS1_11target_archE910ELNS1_3gpuE8ELNS1_3repE0EEENS1_48merge_mergepath_partition_config_static_selectorELNS0_4arch9wavefront6targetE0EEEvSF_,"axG",@progbits,_ZN7rocprim17ROCPRIM_400000_NS6detail17trampoline_kernelINS0_14default_configENS1_38merge_sort_block_merge_config_selectorIhNS0_10empty_typeEEEZZNS1_27merge_sort_block_merge_implIS3_PhPS5_jNS1_19radix_merge_compareILb1ELb1EhNS0_19identity_decomposerEEEEE10hipError_tT0_T1_T2_jT3_P12ihipStream_tbPNSt15iterator_traitsISE_E10value_typeEPNSK_ISF_E10value_typeEPSG_NS1_7vsmem_tEENKUlT_SE_SF_SG_E_clIS8_S8_S9_S9_EESD_ST_SE_SF_SG_EUlST_E_NS1_11comp_targetILNS1_3genE4ELNS1_11target_archE910ELNS1_3gpuE8ELNS1_3repE0EEENS1_48merge_mergepath_partition_config_static_selectorELNS0_4arch9wavefront6targetE0EEEvSF_,comdat
.Lfunc_end61:
	.size	_ZN7rocprim17ROCPRIM_400000_NS6detail17trampoline_kernelINS0_14default_configENS1_38merge_sort_block_merge_config_selectorIhNS0_10empty_typeEEEZZNS1_27merge_sort_block_merge_implIS3_PhPS5_jNS1_19radix_merge_compareILb1ELb1EhNS0_19identity_decomposerEEEEE10hipError_tT0_T1_T2_jT3_P12ihipStream_tbPNSt15iterator_traitsISE_E10value_typeEPNSK_ISF_E10value_typeEPSG_NS1_7vsmem_tEENKUlT_SE_SF_SG_E_clIS8_S8_S9_S9_EESD_ST_SE_SF_SG_EUlST_E_NS1_11comp_targetILNS1_3genE4ELNS1_11target_archE910ELNS1_3gpuE8ELNS1_3repE0EEENS1_48merge_mergepath_partition_config_static_selectorELNS0_4arch9wavefront6targetE0EEEvSF_, .Lfunc_end61-_ZN7rocprim17ROCPRIM_400000_NS6detail17trampoline_kernelINS0_14default_configENS1_38merge_sort_block_merge_config_selectorIhNS0_10empty_typeEEEZZNS1_27merge_sort_block_merge_implIS3_PhPS5_jNS1_19radix_merge_compareILb1ELb1EhNS0_19identity_decomposerEEEEE10hipError_tT0_T1_T2_jT3_P12ihipStream_tbPNSt15iterator_traitsISE_E10value_typeEPNSK_ISF_E10value_typeEPSG_NS1_7vsmem_tEENKUlT_SE_SF_SG_E_clIS8_S8_S9_S9_EESD_ST_SE_SF_SG_EUlST_E_NS1_11comp_targetILNS1_3genE4ELNS1_11target_archE910ELNS1_3gpuE8ELNS1_3repE0EEENS1_48merge_mergepath_partition_config_static_selectorELNS0_4arch9wavefront6targetE0EEEvSF_
                                        ; -- End function
	.set _ZN7rocprim17ROCPRIM_400000_NS6detail17trampoline_kernelINS0_14default_configENS1_38merge_sort_block_merge_config_selectorIhNS0_10empty_typeEEEZZNS1_27merge_sort_block_merge_implIS3_PhPS5_jNS1_19radix_merge_compareILb1ELb1EhNS0_19identity_decomposerEEEEE10hipError_tT0_T1_T2_jT3_P12ihipStream_tbPNSt15iterator_traitsISE_E10value_typeEPNSK_ISF_E10value_typeEPSG_NS1_7vsmem_tEENKUlT_SE_SF_SG_E_clIS8_S8_S9_S9_EESD_ST_SE_SF_SG_EUlST_E_NS1_11comp_targetILNS1_3genE4ELNS1_11target_archE910ELNS1_3gpuE8ELNS1_3repE0EEENS1_48merge_mergepath_partition_config_static_selectorELNS0_4arch9wavefront6targetE0EEEvSF_.num_vgpr, 0
	.set _ZN7rocprim17ROCPRIM_400000_NS6detail17trampoline_kernelINS0_14default_configENS1_38merge_sort_block_merge_config_selectorIhNS0_10empty_typeEEEZZNS1_27merge_sort_block_merge_implIS3_PhPS5_jNS1_19radix_merge_compareILb1ELb1EhNS0_19identity_decomposerEEEEE10hipError_tT0_T1_T2_jT3_P12ihipStream_tbPNSt15iterator_traitsISE_E10value_typeEPNSK_ISF_E10value_typeEPSG_NS1_7vsmem_tEENKUlT_SE_SF_SG_E_clIS8_S8_S9_S9_EESD_ST_SE_SF_SG_EUlST_E_NS1_11comp_targetILNS1_3genE4ELNS1_11target_archE910ELNS1_3gpuE8ELNS1_3repE0EEENS1_48merge_mergepath_partition_config_static_selectorELNS0_4arch9wavefront6targetE0EEEvSF_.num_agpr, 0
	.set _ZN7rocprim17ROCPRIM_400000_NS6detail17trampoline_kernelINS0_14default_configENS1_38merge_sort_block_merge_config_selectorIhNS0_10empty_typeEEEZZNS1_27merge_sort_block_merge_implIS3_PhPS5_jNS1_19radix_merge_compareILb1ELb1EhNS0_19identity_decomposerEEEEE10hipError_tT0_T1_T2_jT3_P12ihipStream_tbPNSt15iterator_traitsISE_E10value_typeEPNSK_ISF_E10value_typeEPSG_NS1_7vsmem_tEENKUlT_SE_SF_SG_E_clIS8_S8_S9_S9_EESD_ST_SE_SF_SG_EUlST_E_NS1_11comp_targetILNS1_3genE4ELNS1_11target_archE910ELNS1_3gpuE8ELNS1_3repE0EEENS1_48merge_mergepath_partition_config_static_selectorELNS0_4arch9wavefront6targetE0EEEvSF_.numbered_sgpr, 0
	.set _ZN7rocprim17ROCPRIM_400000_NS6detail17trampoline_kernelINS0_14default_configENS1_38merge_sort_block_merge_config_selectorIhNS0_10empty_typeEEEZZNS1_27merge_sort_block_merge_implIS3_PhPS5_jNS1_19radix_merge_compareILb1ELb1EhNS0_19identity_decomposerEEEEE10hipError_tT0_T1_T2_jT3_P12ihipStream_tbPNSt15iterator_traitsISE_E10value_typeEPNSK_ISF_E10value_typeEPSG_NS1_7vsmem_tEENKUlT_SE_SF_SG_E_clIS8_S8_S9_S9_EESD_ST_SE_SF_SG_EUlST_E_NS1_11comp_targetILNS1_3genE4ELNS1_11target_archE910ELNS1_3gpuE8ELNS1_3repE0EEENS1_48merge_mergepath_partition_config_static_selectorELNS0_4arch9wavefront6targetE0EEEvSF_.num_named_barrier, 0
	.set _ZN7rocprim17ROCPRIM_400000_NS6detail17trampoline_kernelINS0_14default_configENS1_38merge_sort_block_merge_config_selectorIhNS0_10empty_typeEEEZZNS1_27merge_sort_block_merge_implIS3_PhPS5_jNS1_19radix_merge_compareILb1ELb1EhNS0_19identity_decomposerEEEEE10hipError_tT0_T1_T2_jT3_P12ihipStream_tbPNSt15iterator_traitsISE_E10value_typeEPNSK_ISF_E10value_typeEPSG_NS1_7vsmem_tEENKUlT_SE_SF_SG_E_clIS8_S8_S9_S9_EESD_ST_SE_SF_SG_EUlST_E_NS1_11comp_targetILNS1_3genE4ELNS1_11target_archE910ELNS1_3gpuE8ELNS1_3repE0EEENS1_48merge_mergepath_partition_config_static_selectorELNS0_4arch9wavefront6targetE0EEEvSF_.private_seg_size, 0
	.set _ZN7rocprim17ROCPRIM_400000_NS6detail17trampoline_kernelINS0_14default_configENS1_38merge_sort_block_merge_config_selectorIhNS0_10empty_typeEEEZZNS1_27merge_sort_block_merge_implIS3_PhPS5_jNS1_19radix_merge_compareILb1ELb1EhNS0_19identity_decomposerEEEEE10hipError_tT0_T1_T2_jT3_P12ihipStream_tbPNSt15iterator_traitsISE_E10value_typeEPNSK_ISF_E10value_typeEPSG_NS1_7vsmem_tEENKUlT_SE_SF_SG_E_clIS8_S8_S9_S9_EESD_ST_SE_SF_SG_EUlST_E_NS1_11comp_targetILNS1_3genE4ELNS1_11target_archE910ELNS1_3gpuE8ELNS1_3repE0EEENS1_48merge_mergepath_partition_config_static_selectorELNS0_4arch9wavefront6targetE0EEEvSF_.uses_vcc, 0
	.set _ZN7rocprim17ROCPRIM_400000_NS6detail17trampoline_kernelINS0_14default_configENS1_38merge_sort_block_merge_config_selectorIhNS0_10empty_typeEEEZZNS1_27merge_sort_block_merge_implIS3_PhPS5_jNS1_19radix_merge_compareILb1ELb1EhNS0_19identity_decomposerEEEEE10hipError_tT0_T1_T2_jT3_P12ihipStream_tbPNSt15iterator_traitsISE_E10value_typeEPNSK_ISF_E10value_typeEPSG_NS1_7vsmem_tEENKUlT_SE_SF_SG_E_clIS8_S8_S9_S9_EESD_ST_SE_SF_SG_EUlST_E_NS1_11comp_targetILNS1_3genE4ELNS1_11target_archE910ELNS1_3gpuE8ELNS1_3repE0EEENS1_48merge_mergepath_partition_config_static_selectorELNS0_4arch9wavefront6targetE0EEEvSF_.uses_flat_scratch, 0
	.set _ZN7rocprim17ROCPRIM_400000_NS6detail17trampoline_kernelINS0_14default_configENS1_38merge_sort_block_merge_config_selectorIhNS0_10empty_typeEEEZZNS1_27merge_sort_block_merge_implIS3_PhPS5_jNS1_19radix_merge_compareILb1ELb1EhNS0_19identity_decomposerEEEEE10hipError_tT0_T1_T2_jT3_P12ihipStream_tbPNSt15iterator_traitsISE_E10value_typeEPNSK_ISF_E10value_typeEPSG_NS1_7vsmem_tEENKUlT_SE_SF_SG_E_clIS8_S8_S9_S9_EESD_ST_SE_SF_SG_EUlST_E_NS1_11comp_targetILNS1_3genE4ELNS1_11target_archE910ELNS1_3gpuE8ELNS1_3repE0EEENS1_48merge_mergepath_partition_config_static_selectorELNS0_4arch9wavefront6targetE0EEEvSF_.has_dyn_sized_stack, 0
	.set _ZN7rocprim17ROCPRIM_400000_NS6detail17trampoline_kernelINS0_14default_configENS1_38merge_sort_block_merge_config_selectorIhNS0_10empty_typeEEEZZNS1_27merge_sort_block_merge_implIS3_PhPS5_jNS1_19radix_merge_compareILb1ELb1EhNS0_19identity_decomposerEEEEE10hipError_tT0_T1_T2_jT3_P12ihipStream_tbPNSt15iterator_traitsISE_E10value_typeEPNSK_ISF_E10value_typeEPSG_NS1_7vsmem_tEENKUlT_SE_SF_SG_E_clIS8_S8_S9_S9_EESD_ST_SE_SF_SG_EUlST_E_NS1_11comp_targetILNS1_3genE4ELNS1_11target_archE910ELNS1_3gpuE8ELNS1_3repE0EEENS1_48merge_mergepath_partition_config_static_selectorELNS0_4arch9wavefront6targetE0EEEvSF_.has_recursion, 0
	.set _ZN7rocprim17ROCPRIM_400000_NS6detail17trampoline_kernelINS0_14default_configENS1_38merge_sort_block_merge_config_selectorIhNS0_10empty_typeEEEZZNS1_27merge_sort_block_merge_implIS3_PhPS5_jNS1_19radix_merge_compareILb1ELb1EhNS0_19identity_decomposerEEEEE10hipError_tT0_T1_T2_jT3_P12ihipStream_tbPNSt15iterator_traitsISE_E10value_typeEPNSK_ISF_E10value_typeEPSG_NS1_7vsmem_tEENKUlT_SE_SF_SG_E_clIS8_S8_S9_S9_EESD_ST_SE_SF_SG_EUlST_E_NS1_11comp_targetILNS1_3genE4ELNS1_11target_archE910ELNS1_3gpuE8ELNS1_3repE0EEENS1_48merge_mergepath_partition_config_static_selectorELNS0_4arch9wavefront6targetE0EEEvSF_.has_indirect_call, 0
	.section	.AMDGPU.csdata,"",@progbits
; Kernel info:
; codeLenInByte = 0
; TotalNumSgprs: 0
; NumVgprs: 0
; ScratchSize: 0
; MemoryBound: 0
; FloatMode: 240
; IeeeMode: 1
; LDSByteSize: 0 bytes/workgroup (compile time only)
; SGPRBlocks: 0
; VGPRBlocks: 0
; NumSGPRsForWavesPerEU: 1
; NumVGPRsForWavesPerEU: 1
; NamedBarCnt: 0
; Occupancy: 16
; WaveLimiterHint : 0
; COMPUTE_PGM_RSRC2:SCRATCH_EN: 0
; COMPUTE_PGM_RSRC2:USER_SGPR: 2
; COMPUTE_PGM_RSRC2:TRAP_HANDLER: 0
; COMPUTE_PGM_RSRC2:TGID_X_EN: 1
; COMPUTE_PGM_RSRC2:TGID_Y_EN: 0
; COMPUTE_PGM_RSRC2:TGID_Z_EN: 0
; COMPUTE_PGM_RSRC2:TIDIG_COMP_CNT: 0
	.section	.text._ZN7rocprim17ROCPRIM_400000_NS6detail17trampoline_kernelINS0_14default_configENS1_38merge_sort_block_merge_config_selectorIhNS0_10empty_typeEEEZZNS1_27merge_sort_block_merge_implIS3_PhPS5_jNS1_19radix_merge_compareILb1ELb1EhNS0_19identity_decomposerEEEEE10hipError_tT0_T1_T2_jT3_P12ihipStream_tbPNSt15iterator_traitsISE_E10value_typeEPNSK_ISF_E10value_typeEPSG_NS1_7vsmem_tEENKUlT_SE_SF_SG_E_clIS8_S8_S9_S9_EESD_ST_SE_SF_SG_EUlST_E_NS1_11comp_targetILNS1_3genE3ELNS1_11target_archE908ELNS1_3gpuE7ELNS1_3repE0EEENS1_48merge_mergepath_partition_config_static_selectorELNS0_4arch9wavefront6targetE0EEEvSF_,"axG",@progbits,_ZN7rocprim17ROCPRIM_400000_NS6detail17trampoline_kernelINS0_14default_configENS1_38merge_sort_block_merge_config_selectorIhNS0_10empty_typeEEEZZNS1_27merge_sort_block_merge_implIS3_PhPS5_jNS1_19radix_merge_compareILb1ELb1EhNS0_19identity_decomposerEEEEE10hipError_tT0_T1_T2_jT3_P12ihipStream_tbPNSt15iterator_traitsISE_E10value_typeEPNSK_ISF_E10value_typeEPSG_NS1_7vsmem_tEENKUlT_SE_SF_SG_E_clIS8_S8_S9_S9_EESD_ST_SE_SF_SG_EUlST_E_NS1_11comp_targetILNS1_3genE3ELNS1_11target_archE908ELNS1_3gpuE7ELNS1_3repE0EEENS1_48merge_mergepath_partition_config_static_selectorELNS0_4arch9wavefront6targetE0EEEvSF_,comdat
	.protected	_ZN7rocprim17ROCPRIM_400000_NS6detail17trampoline_kernelINS0_14default_configENS1_38merge_sort_block_merge_config_selectorIhNS0_10empty_typeEEEZZNS1_27merge_sort_block_merge_implIS3_PhPS5_jNS1_19radix_merge_compareILb1ELb1EhNS0_19identity_decomposerEEEEE10hipError_tT0_T1_T2_jT3_P12ihipStream_tbPNSt15iterator_traitsISE_E10value_typeEPNSK_ISF_E10value_typeEPSG_NS1_7vsmem_tEENKUlT_SE_SF_SG_E_clIS8_S8_S9_S9_EESD_ST_SE_SF_SG_EUlST_E_NS1_11comp_targetILNS1_3genE3ELNS1_11target_archE908ELNS1_3gpuE7ELNS1_3repE0EEENS1_48merge_mergepath_partition_config_static_selectorELNS0_4arch9wavefront6targetE0EEEvSF_ ; -- Begin function _ZN7rocprim17ROCPRIM_400000_NS6detail17trampoline_kernelINS0_14default_configENS1_38merge_sort_block_merge_config_selectorIhNS0_10empty_typeEEEZZNS1_27merge_sort_block_merge_implIS3_PhPS5_jNS1_19radix_merge_compareILb1ELb1EhNS0_19identity_decomposerEEEEE10hipError_tT0_T1_T2_jT3_P12ihipStream_tbPNSt15iterator_traitsISE_E10value_typeEPNSK_ISF_E10value_typeEPSG_NS1_7vsmem_tEENKUlT_SE_SF_SG_E_clIS8_S8_S9_S9_EESD_ST_SE_SF_SG_EUlST_E_NS1_11comp_targetILNS1_3genE3ELNS1_11target_archE908ELNS1_3gpuE7ELNS1_3repE0EEENS1_48merge_mergepath_partition_config_static_selectorELNS0_4arch9wavefront6targetE0EEEvSF_
	.globl	_ZN7rocprim17ROCPRIM_400000_NS6detail17trampoline_kernelINS0_14default_configENS1_38merge_sort_block_merge_config_selectorIhNS0_10empty_typeEEEZZNS1_27merge_sort_block_merge_implIS3_PhPS5_jNS1_19radix_merge_compareILb1ELb1EhNS0_19identity_decomposerEEEEE10hipError_tT0_T1_T2_jT3_P12ihipStream_tbPNSt15iterator_traitsISE_E10value_typeEPNSK_ISF_E10value_typeEPSG_NS1_7vsmem_tEENKUlT_SE_SF_SG_E_clIS8_S8_S9_S9_EESD_ST_SE_SF_SG_EUlST_E_NS1_11comp_targetILNS1_3genE3ELNS1_11target_archE908ELNS1_3gpuE7ELNS1_3repE0EEENS1_48merge_mergepath_partition_config_static_selectorELNS0_4arch9wavefront6targetE0EEEvSF_
	.p2align	8
	.type	_ZN7rocprim17ROCPRIM_400000_NS6detail17trampoline_kernelINS0_14default_configENS1_38merge_sort_block_merge_config_selectorIhNS0_10empty_typeEEEZZNS1_27merge_sort_block_merge_implIS3_PhPS5_jNS1_19radix_merge_compareILb1ELb1EhNS0_19identity_decomposerEEEEE10hipError_tT0_T1_T2_jT3_P12ihipStream_tbPNSt15iterator_traitsISE_E10value_typeEPNSK_ISF_E10value_typeEPSG_NS1_7vsmem_tEENKUlT_SE_SF_SG_E_clIS8_S8_S9_S9_EESD_ST_SE_SF_SG_EUlST_E_NS1_11comp_targetILNS1_3genE3ELNS1_11target_archE908ELNS1_3gpuE7ELNS1_3repE0EEENS1_48merge_mergepath_partition_config_static_selectorELNS0_4arch9wavefront6targetE0EEEvSF_,@function
_ZN7rocprim17ROCPRIM_400000_NS6detail17trampoline_kernelINS0_14default_configENS1_38merge_sort_block_merge_config_selectorIhNS0_10empty_typeEEEZZNS1_27merge_sort_block_merge_implIS3_PhPS5_jNS1_19radix_merge_compareILb1ELb1EhNS0_19identity_decomposerEEEEE10hipError_tT0_T1_T2_jT3_P12ihipStream_tbPNSt15iterator_traitsISE_E10value_typeEPNSK_ISF_E10value_typeEPSG_NS1_7vsmem_tEENKUlT_SE_SF_SG_E_clIS8_S8_S9_S9_EESD_ST_SE_SF_SG_EUlST_E_NS1_11comp_targetILNS1_3genE3ELNS1_11target_archE908ELNS1_3gpuE7ELNS1_3repE0EEENS1_48merge_mergepath_partition_config_static_selectorELNS0_4arch9wavefront6targetE0EEEvSF_: ; @_ZN7rocprim17ROCPRIM_400000_NS6detail17trampoline_kernelINS0_14default_configENS1_38merge_sort_block_merge_config_selectorIhNS0_10empty_typeEEEZZNS1_27merge_sort_block_merge_implIS3_PhPS5_jNS1_19radix_merge_compareILb1ELb1EhNS0_19identity_decomposerEEEEE10hipError_tT0_T1_T2_jT3_P12ihipStream_tbPNSt15iterator_traitsISE_E10value_typeEPNSK_ISF_E10value_typeEPSG_NS1_7vsmem_tEENKUlT_SE_SF_SG_E_clIS8_S8_S9_S9_EESD_ST_SE_SF_SG_EUlST_E_NS1_11comp_targetILNS1_3genE3ELNS1_11target_archE908ELNS1_3gpuE7ELNS1_3repE0EEENS1_48merge_mergepath_partition_config_static_selectorELNS0_4arch9wavefront6targetE0EEEvSF_
; %bb.0:
	.section	.rodata,"a",@progbits
	.p2align	6, 0x0
	.amdhsa_kernel _ZN7rocprim17ROCPRIM_400000_NS6detail17trampoline_kernelINS0_14default_configENS1_38merge_sort_block_merge_config_selectorIhNS0_10empty_typeEEEZZNS1_27merge_sort_block_merge_implIS3_PhPS5_jNS1_19radix_merge_compareILb1ELb1EhNS0_19identity_decomposerEEEEE10hipError_tT0_T1_T2_jT3_P12ihipStream_tbPNSt15iterator_traitsISE_E10value_typeEPNSK_ISF_E10value_typeEPSG_NS1_7vsmem_tEENKUlT_SE_SF_SG_E_clIS8_S8_S9_S9_EESD_ST_SE_SF_SG_EUlST_E_NS1_11comp_targetILNS1_3genE3ELNS1_11target_archE908ELNS1_3gpuE7ELNS1_3repE0EEENS1_48merge_mergepath_partition_config_static_selectorELNS0_4arch9wavefront6targetE0EEEvSF_
		.amdhsa_group_segment_fixed_size 0
		.amdhsa_private_segment_fixed_size 0
		.amdhsa_kernarg_size 40
		.amdhsa_user_sgpr_count 2
		.amdhsa_user_sgpr_dispatch_ptr 0
		.amdhsa_user_sgpr_queue_ptr 0
		.amdhsa_user_sgpr_kernarg_segment_ptr 1
		.amdhsa_user_sgpr_dispatch_id 0
		.amdhsa_user_sgpr_kernarg_preload_length 0
		.amdhsa_user_sgpr_kernarg_preload_offset 0
		.amdhsa_user_sgpr_private_segment_size 0
		.amdhsa_wavefront_size32 1
		.amdhsa_uses_dynamic_stack 0
		.amdhsa_enable_private_segment 0
		.amdhsa_system_sgpr_workgroup_id_x 1
		.amdhsa_system_sgpr_workgroup_id_y 0
		.amdhsa_system_sgpr_workgroup_id_z 0
		.amdhsa_system_sgpr_workgroup_info 0
		.amdhsa_system_vgpr_workitem_id 0
		.amdhsa_next_free_vgpr 1
		.amdhsa_next_free_sgpr 1
		.amdhsa_named_barrier_count 0
		.amdhsa_reserve_vcc 0
		.amdhsa_float_round_mode_32 0
		.amdhsa_float_round_mode_16_64 0
		.amdhsa_float_denorm_mode_32 3
		.amdhsa_float_denorm_mode_16_64 3
		.amdhsa_fp16_overflow 0
		.amdhsa_memory_ordered 1
		.amdhsa_forward_progress 1
		.amdhsa_inst_pref_size 0
		.amdhsa_round_robin_scheduling 0
		.amdhsa_exception_fp_ieee_invalid_op 0
		.amdhsa_exception_fp_denorm_src 0
		.amdhsa_exception_fp_ieee_div_zero 0
		.amdhsa_exception_fp_ieee_overflow 0
		.amdhsa_exception_fp_ieee_underflow 0
		.amdhsa_exception_fp_ieee_inexact 0
		.amdhsa_exception_int_div_zero 0
	.end_amdhsa_kernel
	.section	.text._ZN7rocprim17ROCPRIM_400000_NS6detail17trampoline_kernelINS0_14default_configENS1_38merge_sort_block_merge_config_selectorIhNS0_10empty_typeEEEZZNS1_27merge_sort_block_merge_implIS3_PhPS5_jNS1_19radix_merge_compareILb1ELb1EhNS0_19identity_decomposerEEEEE10hipError_tT0_T1_T2_jT3_P12ihipStream_tbPNSt15iterator_traitsISE_E10value_typeEPNSK_ISF_E10value_typeEPSG_NS1_7vsmem_tEENKUlT_SE_SF_SG_E_clIS8_S8_S9_S9_EESD_ST_SE_SF_SG_EUlST_E_NS1_11comp_targetILNS1_3genE3ELNS1_11target_archE908ELNS1_3gpuE7ELNS1_3repE0EEENS1_48merge_mergepath_partition_config_static_selectorELNS0_4arch9wavefront6targetE0EEEvSF_,"axG",@progbits,_ZN7rocprim17ROCPRIM_400000_NS6detail17trampoline_kernelINS0_14default_configENS1_38merge_sort_block_merge_config_selectorIhNS0_10empty_typeEEEZZNS1_27merge_sort_block_merge_implIS3_PhPS5_jNS1_19radix_merge_compareILb1ELb1EhNS0_19identity_decomposerEEEEE10hipError_tT0_T1_T2_jT3_P12ihipStream_tbPNSt15iterator_traitsISE_E10value_typeEPNSK_ISF_E10value_typeEPSG_NS1_7vsmem_tEENKUlT_SE_SF_SG_E_clIS8_S8_S9_S9_EESD_ST_SE_SF_SG_EUlST_E_NS1_11comp_targetILNS1_3genE3ELNS1_11target_archE908ELNS1_3gpuE7ELNS1_3repE0EEENS1_48merge_mergepath_partition_config_static_selectorELNS0_4arch9wavefront6targetE0EEEvSF_,comdat
.Lfunc_end62:
	.size	_ZN7rocprim17ROCPRIM_400000_NS6detail17trampoline_kernelINS0_14default_configENS1_38merge_sort_block_merge_config_selectorIhNS0_10empty_typeEEEZZNS1_27merge_sort_block_merge_implIS3_PhPS5_jNS1_19radix_merge_compareILb1ELb1EhNS0_19identity_decomposerEEEEE10hipError_tT0_T1_T2_jT3_P12ihipStream_tbPNSt15iterator_traitsISE_E10value_typeEPNSK_ISF_E10value_typeEPSG_NS1_7vsmem_tEENKUlT_SE_SF_SG_E_clIS8_S8_S9_S9_EESD_ST_SE_SF_SG_EUlST_E_NS1_11comp_targetILNS1_3genE3ELNS1_11target_archE908ELNS1_3gpuE7ELNS1_3repE0EEENS1_48merge_mergepath_partition_config_static_selectorELNS0_4arch9wavefront6targetE0EEEvSF_, .Lfunc_end62-_ZN7rocprim17ROCPRIM_400000_NS6detail17trampoline_kernelINS0_14default_configENS1_38merge_sort_block_merge_config_selectorIhNS0_10empty_typeEEEZZNS1_27merge_sort_block_merge_implIS3_PhPS5_jNS1_19radix_merge_compareILb1ELb1EhNS0_19identity_decomposerEEEEE10hipError_tT0_T1_T2_jT3_P12ihipStream_tbPNSt15iterator_traitsISE_E10value_typeEPNSK_ISF_E10value_typeEPSG_NS1_7vsmem_tEENKUlT_SE_SF_SG_E_clIS8_S8_S9_S9_EESD_ST_SE_SF_SG_EUlST_E_NS1_11comp_targetILNS1_3genE3ELNS1_11target_archE908ELNS1_3gpuE7ELNS1_3repE0EEENS1_48merge_mergepath_partition_config_static_selectorELNS0_4arch9wavefront6targetE0EEEvSF_
                                        ; -- End function
	.set _ZN7rocprim17ROCPRIM_400000_NS6detail17trampoline_kernelINS0_14default_configENS1_38merge_sort_block_merge_config_selectorIhNS0_10empty_typeEEEZZNS1_27merge_sort_block_merge_implIS3_PhPS5_jNS1_19radix_merge_compareILb1ELb1EhNS0_19identity_decomposerEEEEE10hipError_tT0_T1_T2_jT3_P12ihipStream_tbPNSt15iterator_traitsISE_E10value_typeEPNSK_ISF_E10value_typeEPSG_NS1_7vsmem_tEENKUlT_SE_SF_SG_E_clIS8_S8_S9_S9_EESD_ST_SE_SF_SG_EUlST_E_NS1_11comp_targetILNS1_3genE3ELNS1_11target_archE908ELNS1_3gpuE7ELNS1_3repE0EEENS1_48merge_mergepath_partition_config_static_selectorELNS0_4arch9wavefront6targetE0EEEvSF_.num_vgpr, 0
	.set _ZN7rocprim17ROCPRIM_400000_NS6detail17trampoline_kernelINS0_14default_configENS1_38merge_sort_block_merge_config_selectorIhNS0_10empty_typeEEEZZNS1_27merge_sort_block_merge_implIS3_PhPS5_jNS1_19radix_merge_compareILb1ELb1EhNS0_19identity_decomposerEEEEE10hipError_tT0_T1_T2_jT3_P12ihipStream_tbPNSt15iterator_traitsISE_E10value_typeEPNSK_ISF_E10value_typeEPSG_NS1_7vsmem_tEENKUlT_SE_SF_SG_E_clIS8_S8_S9_S9_EESD_ST_SE_SF_SG_EUlST_E_NS1_11comp_targetILNS1_3genE3ELNS1_11target_archE908ELNS1_3gpuE7ELNS1_3repE0EEENS1_48merge_mergepath_partition_config_static_selectorELNS0_4arch9wavefront6targetE0EEEvSF_.num_agpr, 0
	.set _ZN7rocprim17ROCPRIM_400000_NS6detail17trampoline_kernelINS0_14default_configENS1_38merge_sort_block_merge_config_selectorIhNS0_10empty_typeEEEZZNS1_27merge_sort_block_merge_implIS3_PhPS5_jNS1_19radix_merge_compareILb1ELb1EhNS0_19identity_decomposerEEEEE10hipError_tT0_T1_T2_jT3_P12ihipStream_tbPNSt15iterator_traitsISE_E10value_typeEPNSK_ISF_E10value_typeEPSG_NS1_7vsmem_tEENKUlT_SE_SF_SG_E_clIS8_S8_S9_S9_EESD_ST_SE_SF_SG_EUlST_E_NS1_11comp_targetILNS1_3genE3ELNS1_11target_archE908ELNS1_3gpuE7ELNS1_3repE0EEENS1_48merge_mergepath_partition_config_static_selectorELNS0_4arch9wavefront6targetE0EEEvSF_.numbered_sgpr, 0
	.set _ZN7rocprim17ROCPRIM_400000_NS6detail17trampoline_kernelINS0_14default_configENS1_38merge_sort_block_merge_config_selectorIhNS0_10empty_typeEEEZZNS1_27merge_sort_block_merge_implIS3_PhPS5_jNS1_19radix_merge_compareILb1ELb1EhNS0_19identity_decomposerEEEEE10hipError_tT0_T1_T2_jT3_P12ihipStream_tbPNSt15iterator_traitsISE_E10value_typeEPNSK_ISF_E10value_typeEPSG_NS1_7vsmem_tEENKUlT_SE_SF_SG_E_clIS8_S8_S9_S9_EESD_ST_SE_SF_SG_EUlST_E_NS1_11comp_targetILNS1_3genE3ELNS1_11target_archE908ELNS1_3gpuE7ELNS1_3repE0EEENS1_48merge_mergepath_partition_config_static_selectorELNS0_4arch9wavefront6targetE0EEEvSF_.num_named_barrier, 0
	.set _ZN7rocprim17ROCPRIM_400000_NS6detail17trampoline_kernelINS0_14default_configENS1_38merge_sort_block_merge_config_selectorIhNS0_10empty_typeEEEZZNS1_27merge_sort_block_merge_implIS3_PhPS5_jNS1_19radix_merge_compareILb1ELb1EhNS0_19identity_decomposerEEEEE10hipError_tT0_T1_T2_jT3_P12ihipStream_tbPNSt15iterator_traitsISE_E10value_typeEPNSK_ISF_E10value_typeEPSG_NS1_7vsmem_tEENKUlT_SE_SF_SG_E_clIS8_S8_S9_S9_EESD_ST_SE_SF_SG_EUlST_E_NS1_11comp_targetILNS1_3genE3ELNS1_11target_archE908ELNS1_3gpuE7ELNS1_3repE0EEENS1_48merge_mergepath_partition_config_static_selectorELNS0_4arch9wavefront6targetE0EEEvSF_.private_seg_size, 0
	.set _ZN7rocprim17ROCPRIM_400000_NS6detail17trampoline_kernelINS0_14default_configENS1_38merge_sort_block_merge_config_selectorIhNS0_10empty_typeEEEZZNS1_27merge_sort_block_merge_implIS3_PhPS5_jNS1_19radix_merge_compareILb1ELb1EhNS0_19identity_decomposerEEEEE10hipError_tT0_T1_T2_jT3_P12ihipStream_tbPNSt15iterator_traitsISE_E10value_typeEPNSK_ISF_E10value_typeEPSG_NS1_7vsmem_tEENKUlT_SE_SF_SG_E_clIS8_S8_S9_S9_EESD_ST_SE_SF_SG_EUlST_E_NS1_11comp_targetILNS1_3genE3ELNS1_11target_archE908ELNS1_3gpuE7ELNS1_3repE0EEENS1_48merge_mergepath_partition_config_static_selectorELNS0_4arch9wavefront6targetE0EEEvSF_.uses_vcc, 0
	.set _ZN7rocprim17ROCPRIM_400000_NS6detail17trampoline_kernelINS0_14default_configENS1_38merge_sort_block_merge_config_selectorIhNS0_10empty_typeEEEZZNS1_27merge_sort_block_merge_implIS3_PhPS5_jNS1_19radix_merge_compareILb1ELb1EhNS0_19identity_decomposerEEEEE10hipError_tT0_T1_T2_jT3_P12ihipStream_tbPNSt15iterator_traitsISE_E10value_typeEPNSK_ISF_E10value_typeEPSG_NS1_7vsmem_tEENKUlT_SE_SF_SG_E_clIS8_S8_S9_S9_EESD_ST_SE_SF_SG_EUlST_E_NS1_11comp_targetILNS1_3genE3ELNS1_11target_archE908ELNS1_3gpuE7ELNS1_3repE0EEENS1_48merge_mergepath_partition_config_static_selectorELNS0_4arch9wavefront6targetE0EEEvSF_.uses_flat_scratch, 0
	.set _ZN7rocprim17ROCPRIM_400000_NS6detail17trampoline_kernelINS0_14default_configENS1_38merge_sort_block_merge_config_selectorIhNS0_10empty_typeEEEZZNS1_27merge_sort_block_merge_implIS3_PhPS5_jNS1_19radix_merge_compareILb1ELb1EhNS0_19identity_decomposerEEEEE10hipError_tT0_T1_T2_jT3_P12ihipStream_tbPNSt15iterator_traitsISE_E10value_typeEPNSK_ISF_E10value_typeEPSG_NS1_7vsmem_tEENKUlT_SE_SF_SG_E_clIS8_S8_S9_S9_EESD_ST_SE_SF_SG_EUlST_E_NS1_11comp_targetILNS1_3genE3ELNS1_11target_archE908ELNS1_3gpuE7ELNS1_3repE0EEENS1_48merge_mergepath_partition_config_static_selectorELNS0_4arch9wavefront6targetE0EEEvSF_.has_dyn_sized_stack, 0
	.set _ZN7rocprim17ROCPRIM_400000_NS6detail17trampoline_kernelINS0_14default_configENS1_38merge_sort_block_merge_config_selectorIhNS0_10empty_typeEEEZZNS1_27merge_sort_block_merge_implIS3_PhPS5_jNS1_19radix_merge_compareILb1ELb1EhNS0_19identity_decomposerEEEEE10hipError_tT0_T1_T2_jT3_P12ihipStream_tbPNSt15iterator_traitsISE_E10value_typeEPNSK_ISF_E10value_typeEPSG_NS1_7vsmem_tEENKUlT_SE_SF_SG_E_clIS8_S8_S9_S9_EESD_ST_SE_SF_SG_EUlST_E_NS1_11comp_targetILNS1_3genE3ELNS1_11target_archE908ELNS1_3gpuE7ELNS1_3repE0EEENS1_48merge_mergepath_partition_config_static_selectorELNS0_4arch9wavefront6targetE0EEEvSF_.has_recursion, 0
	.set _ZN7rocprim17ROCPRIM_400000_NS6detail17trampoline_kernelINS0_14default_configENS1_38merge_sort_block_merge_config_selectorIhNS0_10empty_typeEEEZZNS1_27merge_sort_block_merge_implIS3_PhPS5_jNS1_19radix_merge_compareILb1ELb1EhNS0_19identity_decomposerEEEEE10hipError_tT0_T1_T2_jT3_P12ihipStream_tbPNSt15iterator_traitsISE_E10value_typeEPNSK_ISF_E10value_typeEPSG_NS1_7vsmem_tEENKUlT_SE_SF_SG_E_clIS8_S8_S9_S9_EESD_ST_SE_SF_SG_EUlST_E_NS1_11comp_targetILNS1_3genE3ELNS1_11target_archE908ELNS1_3gpuE7ELNS1_3repE0EEENS1_48merge_mergepath_partition_config_static_selectorELNS0_4arch9wavefront6targetE0EEEvSF_.has_indirect_call, 0
	.section	.AMDGPU.csdata,"",@progbits
; Kernel info:
; codeLenInByte = 0
; TotalNumSgprs: 0
; NumVgprs: 0
; ScratchSize: 0
; MemoryBound: 0
; FloatMode: 240
; IeeeMode: 1
; LDSByteSize: 0 bytes/workgroup (compile time only)
; SGPRBlocks: 0
; VGPRBlocks: 0
; NumSGPRsForWavesPerEU: 1
; NumVGPRsForWavesPerEU: 1
; NamedBarCnt: 0
; Occupancy: 16
; WaveLimiterHint : 0
; COMPUTE_PGM_RSRC2:SCRATCH_EN: 0
; COMPUTE_PGM_RSRC2:USER_SGPR: 2
; COMPUTE_PGM_RSRC2:TRAP_HANDLER: 0
; COMPUTE_PGM_RSRC2:TGID_X_EN: 1
; COMPUTE_PGM_RSRC2:TGID_Y_EN: 0
; COMPUTE_PGM_RSRC2:TGID_Z_EN: 0
; COMPUTE_PGM_RSRC2:TIDIG_COMP_CNT: 0
	.section	.text._ZN7rocprim17ROCPRIM_400000_NS6detail17trampoline_kernelINS0_14default_configENS1_38merge_sort_block_merge_config_selectorIhNS0_10empty_typeEEEZZNS1_27merge_sort_block_merge_implIS3_PhPS5_jNS1_19radix_merge_compareILb1ELb1EhNS0_19identity_decomposerEEEEE10hipError_tT0_T1_T2_jT3_P12ihipStream_tbPNSt15iterator_traitsISE_E10value_typeEPNSK_ISF_E10value_typeEPSG_NS1_7vsmem_tEENKUlT_SE_SF_SG_E_clIS8_S8_S9_S9_EESD_ST_SE_SF_SG_EUlST_E_NS1_11comp_targetILNS1_3genE2ELNS1_11target_archE906ELNS1_3gpuE6ELNS1_3repE0EEENS1_48merge_mergepath_partition_config_static_selectorELNS0_4arch9wavefront6targetE0EEEvSF_,"axG",@progbits,_ZN7rocprim17ROCPRIM_400000_NS6detail17trampoline_kernelINS0_14default_configENS1_38merge_sort_block_merge_config_selectorIhNS0_10empty_typeEEEZZNS1_27merge_sort_block_merge_implIS3_PhPS5_jNS1_19radix_merge_compareILb1ELb1EhNS0_19identity_decomposerEEEEE10hipError_tT0_T1_T2_jT3_P12ihipStream_tbPNSt15iterator_traitsISE_E10value_typeEPNSK_ISF_E10value_typeEPSG_NS1_7vsmem_tEENKUlT_SE_SF_SG_E_clIS8_S8_S9_S9_EESD_ST_SE_SF_SG_EUlST_E_NS1_11comp_targetILNS1_3genE2ELNS1_11target_archE906ELNS1_3gpuE6ELNS1_3repE0EEENS1_48merge_mergepath_partition_config_static_selectorELNS0_4arch9wavefront6targetE0EEEvSF_,comdat
	.protected	_ZN7rocprim17ROCPRIM_400000_NS6detail17trampoline_kernelINS0_14default_configENS1_38merge_sort_block_merge_config_selectorIhNS0_10empty_typeEEEZZNS1_27merge_sort_block_merge_implIS3_PhPS5_jNS1_19radix_merge_compareILb1ELb1EhNS0_19identity_decomposerEEEEE10hipError_tT0_T1_T2_jT3_P12ihipStream_tbPNSt15iterator_traitsISE_E10value_typeEPNSK_ISF_E10value_typeEPSG_NS1_7vsmem_tEENKUlT_SE_SF_SG_E_clIS8_S8_S9_S9_EESD_ST_SE_SF_SG_EUlST_E_NS1_11comp_targetILNS1_3genE2ELNS1_11target_archE906ELNS1_3gpuE6ELNS1_3repE0EEENS1_48merge_mergepath_partition_config_static_selectorELNS0_4arch9wavefront6targetE0EEEvSF_ ; -- Begin function _ZN7rocprim17ROCPRIM_400000_NS6detail17trampoline_kernelINS0_14default_configENS1_38merge_sort_block_merge_config_selectorIhNS0_10empty_typeEEEZZNS1_27merge_sort_block_merge_implIS3_PhPS5_jNS1_19radix_merge_compareILb1ELb1EhNS0_19identity_decomposerEEEEE10hipError_tT0_T1_T2_jT3_P12ihipStream_tbPNSt15iterator_traitsISE_E10value_typeEPNSK_ISF_E10value_typeEPSG_NS1_7vsmem_tEENKUlT_SE_SF_SG_E_clIS8_S8_S9_S9_EESD_ST_SE_SF_SG_EUlST_E_NS1_11comp_targetILNS1_3genE2ELNS1_11target_archE906ELNS1_3gpuE6ELNS1_3repE0EEENS1_48merge_mergepath_partition_config_static_selectorELNS0_4arch9wavefront6targetE0EEEvSF_
	.globl	_ZN7rocprim17ROCPRIM_400000_NS6detail17trampoline_kernelINS0_14default_configENS1_38merge_sort_block_merge_config_selectorIhNS0_10empty_typeEEEZZNS1_27merge_sort_block_merge_implIS3_PhPS5_jNS1_19radix_merge_compareILb1ELb1EhNS0_19identity_decomposerEEEEE10hipError_tT0_T1_T2_jT3_P12ihipStream_tbPNSt15iterator_traitsISE_E10value_typeEPNSK_ISF_E10value_typeEPSG_NS1_7vsmem_tEENKUlT_SE_SF_SG_E_clIS8_S8_S9_S9_EESD_ST_SE_SF_SG_EUlST_E_NS1_11comp_targetILNS1_3genE2ELNS1_11target_archE906ELNS1_3gpuE6ELNS1_3repE0EEENS1_48merge_mergepath_partition_config_static_selectorELNS0_4arch9wavefront6targetE0EEEvSF_
	.p2align	8
	.type	_ZN7rocprim17ROCPRIM_400000_NS6detail17trampoline_kernelINS0_14default_configENS1_38merge_sort_block_merge_config_selectorIhNS0_10empty_typeEEEZZNS1_27merge_sort_block_merge_implIS3_PhPS5_jNS1_19radix_merge_compareILb1ELb1EhNS0_19identity_decomposerEEEEE10hipError_tT0_T1_T2_jT3_P12ihipStream_tbPNSt15iterator_traitsISE_E10value_typeEPNSK_ISF_E10value_typeEPSG_NS1_7vsmem_tEENKUlT_SE_SF_SG_E_clIS8_S8_S9_S9_EESD_ST_SE_SF_SG_EUlST_E_NS1_11comp_targetILNS1_3genE2ELNS1_11target_archE906ELNS1_3gpuE6ELNS1_3repE0EEENS1_48merge_mergepath_partition_config_static_selectorELNS0_4arch9wavefront6targetE0EEEvSF_,@function
_ZN7rocprim17ROCPRIM_400000_NS6detail17trampoline_kernelINS0_14default_configENS1_38merge_sort_block_merge_config_selectorIhNS0_10empty_typeEEEZZNS1_27merge_sort_block_merge_implIS3_PhPS5_jNS1_19radix_merge_compareILb1ELb1EhNS0_19identity_decomposerEEEEE10hipError_tT0_T1_T2_jT3_P12ihipStream_tbPNSt15iterator_traitsISE_E10value_typeEPNSK_ISF_E10value_typeEPSG_NS1_7vsmem_tEENKUlT_SE_SF_SG_E_clIS8_S8_S9_S9_EESD_ST_SE_SF_SG_EUlST_E_NS1_11comp_targetILNS1_3genE2ELNS1_11target_archE906ELNS1_3gpuE6ELNS1_3repE0EEENS1_48merge_mergepath_partition_config_static_selectorELNS0_4arch9wavefront6targetE0EEEvSF_: ; @_ZN7rocprim17ROCPRIM_400000_NS6detail17trampoline_kernelINS0_14default_configENS1_38merge_sort_block_merge_config_selectorIhNS0_10empty_typeEEEZZNS1_27merge_sort_block_merge_implIS3_PhPS5_jNS1_19radix_merge_compareILb1ELb1EhNS0_19identity_decomposerEEEEE10hipError_tT0_T1_T2_jT3_P12ihipStream_tbPNSt15iterator_traitsISE_E10value_typeEPNSK_ISF_E10value_typeEPSG_NS1_7vsmem_tEENKUlT_SE_SF_SG_E_clIS8_S8_S9_S9_EESD_ST_SE_SF_SG_EUlST_E_NS1_11comp_targetILNS1_3genE2ELNS1_11target_archE906ELNS1_3gpuE6ELNS1_3repE0EEENS1_48merge_mergepath_partition_config_static_selectorELNS0_4arch9wavefront6targetE0EEEvSF_
; %bb.0:
	.section	.rodata,"a",@progbits
	.p2align	6, 0x0
	.amdhsa_kernel _ZN7rocprim17ROCPRIM_400000_NS6detail17trampoline_kernelINS0_14default_configENS1_38merge_sort_block_merge_config_selectorIhNS0_10empty_typeEEEZZNS1_27merge_sort_block_merge_implIS3_PhPS5_jNS1_19radix_merge_compareILb1ELb1EhNS0_19identity_decomposerEEEEE10hipError_tT0_T1_T2_jT3_P12ihipStream_tbPNSt15iterator_traitsISE_E10value_typeEPNSK_ISF_E10value_typeEPSG_NS1_7vsmem_tEENKUlT_SE_SF_SG_E_clIS8_S8_S9_S9_EESD_ST_SE_SF_SG_EUlST_E_NS1_11comp_targetILNS1_3genE2ELNS1_11target_archE906ELNS1_3gpuE6ELNS1_3repE0EEENS1_48merge_mergepath_partition_config_static_selectorELNS0_4arch9wavefront6targetE0EEEvSF_
		.amdhsa_group_segment_fixed_size 0
		.amdhsa_private_segment_fixed_size 0
		.amdhsa_kernarg_size 40
		.amdhsa_user_sgpr_count 2
		.amdhsa_user_sgpr_dispatch_ptr 0
		.amdhsa_user_sgpr_queue_ptr 0
		.amdhsa_user_sgpr_kernarg_segment_ptr 1
		.amdhsa_user_sgpr_dispatch_id 0
		.amdhsa_user_sgpr_kernarg_preload_length 0
		.amdhsa_user_sgpr_kernarg_preload_offset 0
		.amdhsa_user_sgpr_private_segment_size 0
		.amdhsa_wavefront_size32 1
		.amdhsa_uses_dynamic_stack 0
		.amdhsa_enable_private_segment 0
		.amdhsa_system_sgpr_workgroup_id_x 1
		.amdhsa_system_sgpr_workgroup_id_y 0
		.amdhsa_system_sgpr_workgroup_id_z 0
		.amdhsa_system_sgpr_workgroup_info 0
		.amdhsa_system_vgpr_workitem_id 0
		.amdhsa_next_free_vgpr 1
		.amdhsa_next_free_sgpr 1
		.amdhsa_named_barrier_count 0
		.amdhsa_reserve_vcc 0
		.amdhsa_float_round_mode_32 0
		.amdhsa_float_round_mode_16_64 0
		.amdhsa_float_denorm_mode_32 3
		.amdhsa_float_denorm_mode_16_64 3
		.amdhsa_fp16_overflow 0
		.amdhsa_memory_ordered 1
		.amdhsa_forward_progress 1
		.amdhsa_inst_pref_size 0
		.amdhsa_round_robin_scheduling 0
		.amdhsa_exception_fp_ieee_invalid_op 0
		.amdhsa_exception_fp_denorm_src 0
		.amdhsa_exception_fp_ieee_div_zero 0
		.amdhsa_exception_fp_ieee_overflow 0
		.amdhsa_exception_fp_ieee_underflow 0
		.amdhsa_exception_fp_ieee_inexact 0
		.amdhsa_exception_int_div_zero 0
	.end_amdhsa_kernel
	.section	.text._ZN7rocprim17ROCPRIM_400000_NS6detail17trampoline_kernelINS0_14default_configENS1_38merge_sort_block_merge_config_selectorIhNS0_10empty_typeEEEZZNS1_27merge_sort_block_merge_implIS3_PhPS5_jNS1_19radix_merge_compareILb1ELb1EhNS0_19identity_decomposerEEEEE10hipError_tT0_T1_T2_jT3_P12ihipStream_tbPNSt15iterator_traitsISE_E10value_typeEPNSK_ISF_E10value_typeEPSG_NS1_7vsmem_tEENKUlT_SE_SF_SG_E_clIS8_S8_S9_S9_EESD_ST_SE_SF_SG_EUlST_E_NS1_11comp_targetILNS1_3genE2ELNS1_11target_archE906ELNS1_3gpuE6ELNS1_3repE0EEENS1_48merge_mergepath_partition_config_static_selectorELNS0_4arch9wavefront6targetE0EEEvSF_,"axG",@progbits,_ZN7rocprim17ROCPRIM_400000_NS6detail17trampoline_kernelINS0_14default_configENS1_38merge_sort_block_merge_config_selectorIhNS0_10empty_typeEEEZZNS1_27merge_sort_block_merge_implIS3_PhPS5_jNS1_19radix_merge_compareILb1ELb1EhNS0_19identity_decomposerEEEEE10hipError_tT0_T1_T2_jT3_P12ihipStream_tbPNSt15iterator_traitsISE_E10value_typeEPNSK_ISF_E10value_typeEPSG_NS1_7vsmem_tEENKUlT_SE_SF_SG_E_clIS8_S8_S9_S9_EESD_ST_SE_SF_SG_EUlST_E_NS1_11comp_targetILNS1_3genE2ELNS1_11target_archE906ELNS1_3gpuE6ELNS1_3repE0EEENS1_48merge_mergepath_partition_config_static_selectorELNS0_4arch9wavefront6targetE0EEEvSF_,comdat
.Lfunc_end63:
	.size	_ZN7rocprim17ROCPRIM_400000_NS6detail17trampoline_kernelINS0_14default_configENS1_38merge_sort_block_merge_config_selectorIhNS0_10empty_typeEEEZZNS1_27merge_sort_block_merge_implIS3_PhPS5_jNS1_19radix_merge_compareILb1ELb1EhNS0_19identity_decomposerEEEEE10hipError_tT0_T1_T2_jT3_P12ihipStream_tbPNSt15iterator_traitsISE_E10value_typeEPNSK_ISF_E10value_typeEPSG_NS1_7vsmem_tEENKUlT_SE_SF_SG_E_clIS8_S8_S9_S9_EESD_ST_SE_SF_SG_EUlST_E_NS1_11comp_targetILNS1_3genE2ELNS1_11target_archE906ELNS1_3gpuE6ELNS1_3repE0EEENS1_48merge_mergepath_partition_config_static_selectorELNS0_4arch9wavefront6targetE0EEEvSF_, .Lfunc_end63-_ZN7rocprim17ROCPRIM_400000_NS6detail17trampoline_kernelINS0_14default_configENS1_38merge_sort_block_merge_config_selectorIhNS0_10empty_typeEEEZZNS1_27merge_sort_block_merge_implIS3_PhPS5_jNS1_19radix_merge_compareILb1ELb1EhNS0_19identity_decomposerEEEEE10hipError_tT0_T1_T2_jT3_P12ihipStream_tbPNSt15iterator_traitsISE_E10value_typeEPNSK_ISF_E10value_typeEPSG_NS1_7vsmem_tEENKUlT_SE_SF_SG_E_clIS8_S8_S9_S9_EESD_ST_SE_SF_SG_EUlST_E_NS1_11comp_targetILNS1_3genE2ELNS1_11target_archE906ELNS1_3gpuE6ELNS1_3repE0EEENS1_48merge_mergepath_partition_config_static_selectorELNS0_4arch9wavefront6targetE0EEEvSF_
                                        ; -- End function
	.set _ZN7rocprim17ROCPRIM_400000_NS6detail17trampoline_kernelINS0_14default_configENS1_38merge_sort_block_merge_config_selectorIhNS0_10empty_typeEEEZZNS1_27merge_sort_block_merge_implIS3_PhPS5_jNS1_19radix_merge_compareILb1ELb1EhNS0_19identity_decomposerEEEEE10hipError_tT0_T1_T2_jT3_P12ihipStream_tbPNSt15iterator_traitsISE_E10value_typeEPNSK_ISF_E10value_typeEPSG_NS1_7vsmem_tEENKUlT_SE_SF_SG_E_clIS8_S8_S9_S9_EESD_ST_SE_SF_SG_EUlST_E_NS1_11comp_targetILNS1_3genE2ELNS1_11target_archE906ELNS1_3gpuE6ELNS1_3repE0EEENS1_48merge_mergepath_partition_config_static_selectorELNS0_4arch9wavefront6targetE0EEEvSF_.num_vgpr, 0
	.set _ZN7rocprim17ROCPRIM_400000_NS6detail17trampoline_kernelINS0_14default_configENS1_38merge_sort_block_merge_config_selectorIhNS0_10empty_typeEEEZZNS1_27merge_sort_block_merge_implIS3_PhPS5_jNS1_19radix_merge_compareILb1ELb1EhNS0_19identity_decomposerEEEEE10hipError_tT0_T1_T2_jT3_P12ihipStream_tbPNSt15iterator_traitsISE_E10value_typeEPNSK_ISF_E10value_typeEPSG_NS1_7vsmem_tEENKUlT_SE_SF_SG_E_clIS8_S8_S9_S9_EESD_ST_SE_SF_SG_EUlST_E_NS1_11comp_targetILNS1_3genE2ELNS1_11target_archE906ELNS1_3gpuE6ELNS1_3repE0EEENS1_48merge_mergepath_partition_config_static_selectorELNS0_4arch9wavefront6targetE0EEEvSF_.num_agpr, 0
	.set _ZN7rocprim17ROCPRIM_400000_NS6detail17trampoline_kernelINS0_14default_configENS1_38merge_sort_block_merge_config_selectorIhNS0_10empty_typeEEEZZNS1_27merge_sort_block_merge_implIS3_PhPS5_jNS1_19radix_merge_compareILb1ELb1EhNS0_19identity_decomposerEEEEE10hipError_tT0_T1_T2_jT3_P12ihipStream_tbPNSt15iterator_traitsISE_E10value_typeEPNSK_ISF_E10value_typeEPSG_NS1_7vsmem_tEENKUlT_SE_SF_SG_E_clIS8_S8_S9_S9_EESD_ST_SE_SF_SG_EUlST_E_NS1_11comp_targetILNS1_3genE2ELNS1_11target_archE906ELNS1_3gpuE6ELNS1_3repE0EEENS1_48merge_mergepath_partition_config_static_selectorELNS0_4arch9wavefront6targetE0EEEvSF_.numbered_sgpr, 0
	.set _ZN7rocprim17ROCPRIM_400000_NS6detail17trampoline_kernelINS0_14default_configENS1_38merge_sort_block_merge_config_selectorIhNS0_10empty_typeEEEZZNS1_27merge_sort_block_merge_implIS3_PhPS5_jNS1_19radix_merge_compareILb1ELb1EhNS0_19identity_decomposerEEEEE10hipError_tT0_T1_T2_jT3_P12ihipStream_tbPNSt15iterator_traitsISE_E10value_typeEPNSK_ISF_E10value_typeEPSG_NS1_7vsmem_tEENKUlT_SE_SF_SG_E_clIS8_S8_S9_S9_EESD_ST_SE_SF_SG_EUlST_E_NS1_11comp_targetILNS1_3genE2ELNS1_11target_archE906ELNS1_3gpuE6ELNS1_3repE0EEENS1_48merge_mergepath_partition_config_static_selectorELNS0_4arch9wavefront6targetE0EEEvSF_.num_named_barrier, 0
	.set _ZN7rocprim17ROCPRIM_400000_NS6detail17trampoline_kernelINS0_14default_configENS1_38merge_sort_block_merge_config_selectorIhNS0_10empty_typeEEEZZNS1_27merge_sort_block_merge_implIS3_PhPS5_jNS1_19radix_merge_compareILb1ELb1EhNS0_19identity_decomposerEEEEE10hipError_tT0_T1_T2_jT3_P12ihipStream_tbPNSt15iterator_traitsISE_E10value_typeEPNSK_ISF_E10value_typeEPSG_NS1_7vsmem_tEENKUlT_SE_SF_SG_E_clIS8_S8_S9_S9_EESD_ST_SE_SF_SG_EUlST_E_NS1_11comp_targetILNS1_3genE2ELNS1_11target_archE906ELNS1_3gpuE6ELNS1_3repE0EEENS1_48merge_mergepath_partition_config_static_selectorELNS0_4arch9wavefront6targetE0EEEvSF_.private_seg_size, 0
	.set _ZN7rocprim17ROCPRIM_400000_NS6detail17trampoline_kernelINS0_14default_configENS1_38merge_sort_block_merge_config_selectorIhNS0_10empty_typeEEEZZNS1_27merge_sort_block_merge_implIS3_PhPS5_jNS1_19radix_merge_compareILb1ELb1EhNS0_19identity_decomposerEEEEE10hipError_tT0_T1_T2_jT3_P12ihipStream_tbPNSt15iterator_traitsISE_E10value_typeEPNSK_ISF_E10value_typeEPSG_NS1_7vsmem_tEENKUlT_SE_SF_SG_E_clIS8_S8_S9_S9_EESD_ST_SE_SF_SG_EUlST_E_NS1_11comp_targetILNS1_3genE2ELNS1_11target_archE906ELNS1_3gpuE6ELNS1_3repE0EEENS1_48merge_mergepath_partition_config_static_selectorELNS0_4arch9wavefront6targetE0EEEvSF_.uses_vcc, 0
	.set _ZN7rocprim17ROCPRIM_400000_NS6detail17trampoline_kernelINS0_14default_configENS1_38merge_sort_block_merge_config_selectorIhNS0_10empty_typeEEEZZNS1_27merge_sort_block_merge_implIS3_PhPS5_jNS1_19radix_merge_compareILb1ELb1EhNS0_19identity_decomposerEEEEE10hipError_tT0_T1_T2_jT3_P12ihipStream_tbPNSt15iterator_traitsISE_E10value_typeEPNSK_ISF_E10value_typeEPSG_NS1_7vsmem_tEENKUlT_SE_SF_SG_E_clIS8_S8_S9_S9_EESD_ST_SE_SF_SG_EUlST_E_NS1_11comp_targetILNS1_3genE2ELNS1_11target_archE906ELNS1_3gpuE6ELNS1_3repE0EEENS1_48merge_mergepath_partition_config_static_selectorELNS0_4arch9wavefront6targetE0EEEvSF_.uses_flat_scratch, 0
	.set _ZN7rocprim17ROCPRIM_400000_NS6detail17trampoline_kernelINS0_14default_configENS1_38merge_sort_block_merge_config_selectorIhNS0_10empty_typeEEEZZNS1_27merge_sort_block_merge_implIS3_PhPS5_jNS1_19radix_merge_compareILb1ELb1EhNS0_19identity_decomposerEEEEE10hipError_tT0_T1_T2_jT3_P12ihipStream_tbPNSt15iterator_traitsISE_E10value_typeEPNSK_ISF_E10value_typeEPSG_NS1_7vsmem_tEENKUlT_SE_SF_SG_E_clIS8_S8_S9_S9_EESD_ST_SE_SF_SG_EUlST_E_NS1_11comp_targetILNS1_3genE2ELNS1_11target_archE906ELNS1_3gpuE6ELNS1_3repE0EEENS1_48merge_mergepath_partition_config_static_selectorELNS0_4arch9wavefront6targetE0EEEvSF_.has_dyn_sized_stack, 0
	.set _ZN7rocprim17ROCPRIM_400000_NS6detail17trampoline_kernelINS0_14default_configENS1_38merge_sort_block_merge_config_selectorIhNS0_10empty_typeEEEZZNS1_27merge_sort_block_merge_implIS3_PhPS5_jNS1_19radix_merge_compareILb1ELb1EhNS0_19identity_decomposerEEEEE10hipError_tT0_T1_T2_jT3_P12ihipStream_tbPNSt15iterator_traitsISE_E10value_typeEPNSK_ISF_E10value_typeEPSG_NS1_7vsmem_tEENKUlT_SE_SF_SG_E_clIS8_S8_S9_S9_EESD_ST_SE_SF_SG_EUlST_E_NS1_11comp_targetILNS1_3genE2ELNS1_11target_archE906ELNS1_3gpuE6ELNS1_3repE0EEENS1_48merge_mergepath_partition_config_static_selectorELNS0_4arch9wavefront6targetE0EEEvSF_.has_recursion, 0
	.set _ZN7rocprim17ROCPRIM_400000_NS6detail17trampoline_kernelINS0_14default_configENS1_38merge_sort_block_merge_config_selectorIhNS0_10empty_typeEEEZZNS1_27merge_sort_block_merge_implIS3_PhPS5_jNS1_19radix_merge_compareILb1ELb1EhNS0_19identity_decomposerEEEEE10hipError_tT0_T1_T2_jT3_P12ihipStream_tbPNSt15iterator_traitsISE_E10value_typeEPNSK_ISF_E10value_typeEPSG_NS1_7vsmem_tEENKUlT_SE_SF_SG_E_clIS8_S8_S9_S9_EESD_ST_SE_SF_SG_EUlST_E_NS1_11comp_targetILNS1_3genE2ELNS1_11target_archE906ELNS1_3gpuE6ELNS1_3repE0EEENS1_48merge_mergepath_partition_config_static_selectorELNS0_4arch9wavefront6targetE0EEEvSF_.has_indirect_call, 0
	.section	.AMDGPU.csdata,"",@progbits
; Kernel info:
; codeLenInByte = 0
; TotalNumSgprs: 0
; NumVgprs: 0
; ScratchSize: 0
; MemoryBound: 0
; FloatMode: 240
; IeeeMode: 1
; LDSByteSize: 0 bytes/workgroup (compile time only)
; SGPRBlocks: 0
; VGPRBlocks: 0
; NumSGPRsForWavesPerEU: 1
; NumVGPRsForWavesPerEU: 1
; NamedBarCnt: 0
; Occupancy: 16
; WaveLimiterHint : 0
; COMPUTE_PGM_RSRC2:SCRATCH_EN: 0
; COMPUTE_PGM_RSRC2:USER_SGPR: 2
; COMPUTE_PGM_RSRC2:TRAP_HANDLER: 0
; COMPUTE_PGM_RSRC2:TGID_X_EN: 1
; COMPUTE_PGM_RSRC2:TGID_Y_EN: 0
; COMPUTE_PGM_RSRC2:TGID_Z_EN: 0
; COMPUTE_PGM_RSRC2:TIDIG_COMP_CNT: 0
	.section	.text._ZN7rocprim17ROCPRIM_400000_NS6detail17trampoline_kernelINS0_14default_configENS1_38merge_sort_block_merge_config_selectorIhNS0_10empty_typeEEEZZNS1_27merge_sort_block_merge_implIS3_PhPS5_jNS1_19radix_merge_compareILb1ELb1EhNS0_19identity_decomposerEEEEE10hipError_tT0_T1_T2_jT3_P12ihipStream_tbPNSt15iterator_traitsISE_E10value_typeEPNSK_ISF_E10value_typeEPSG_NS1_7vsmem_tEENKUlT_SE_SF_SG_E_clIS8_S8_S9_S9_EESD_ST_SE_SF_SG_EUlST_E_NS1_11comp_targetILNS1_3genE9ELNS1_11target_archE1100ELNS1_3gpuE3ELNS1_3repE0EEENS1_48merge_mergepath_partition_config_static_selectorELNS0_4arch9wavefront6targetE0EEEvSF_,"axG",@progbits,_ZN7rocprim17ROCPRIM_400000_NS6detail17trampoline_kernelINS0_14default_configENS1_38merge_sort_block_merge_config_selectorIhNS0_10empty_typeEEEZZNS1_27merge_sort_block_merge_implIS3_PhPS5_jNS1_19radix_merge_compareILb1ELb1EhNS0_19identity_decomposerEEEEE10hipError_tT0_T1_T2_jT3_P12ihipStream_tbPNSt15iterator_traitsISE_E10value_typeEPNSK_ISF_E10value_typeEPSG_NS1_7vsmem_tEENKUlT_SE_SF_SG_E_clIS8_S8_S9_S9_EESD_ST_SE_SF_SG_EUlST_E_NS1_11comp_targetILNS1_3genE9ELNS1_11target_archE1100ELNS1_3gpuE3ELNS1_3repE0EEENS1_48merge_mergepath_partition_config_static_selectorELNS0_4arch9wavefront6targetE0EEEvSF_,comdat
	.protected	_ZN7rocprim17ROCPRIM_400000_NS6detail17trampoline_kernelINS0_14default_configENS1_38merge_sort_block_merge_config_selectorIhNS0_10empty_typeEEEZZNS1_27merge_sort_block_merge_implIS3_PhPS5_jNS1_19radix_merge_compareILb1ELb1EhNS0_19identity_decomposerEEEEE10hipError_tT0_T1_T2_jT3_P12ihipStream_tbPNSt15iterator_traitsISE_E10value_typeEPNSK_ISF_E10value_typeEPSG_NS1_7vsmem_tEENKUlT_SE_SF_SG_E_clIS8_S8_S9_S9_EESD_ST_SE_SF_SG_EUlST_E_NS1_11comp_targetILNS1_3genE9ELNS1_11target_archE1100ELNS1_3gpuE3ELNS1_3repE0EEENS1_48merge_mergepath_partition_config_static_selectorELNS0_4arch9wavefront6targetE0EEEvSF_ ; -- Begin function _ZN7rocprim17ROCPRIM_400000_NS6detail17trampoline_kernelINS0_14default_configENS1_38merge_sort_block_merge_config_selectorIhNS0_10empty_typeEEEZZNS1_27merge_sort_block_merge_implIS3_PhPS5_jNS1_19radix_merge_compareILb1ELb1EhNS0_19identity_decomposerEEEEE10hipError_tT0_T1_T2_jT3_P12ihipStream_tbPNSt15iterator_traitsISE_E10value_typeEPNSK_ISF_E10value_typeEPSG_NS1_7vsmem_tEENKUlT_SE_SF_SG_E_clIS8_S8_S9_S9_EESD_ST_SE_SF_SG_EUlST_E_NS1_11comp_targetILNS1_3genE9ELNS1_11target_archE1100ELNS1_3gpuE3ELNS1_3repE0EEENS1_48merge_mergepath_partition_config_static_selectorELNS0_4arch9wavefront6targetE0EEEvSF_
	.globl	_ZN7rocprim17ROCPRIM_400000_NS6detail17trampoline_kernelINS0_14default_configENS1_38merge_sort_block_merge_config_selectorIhNS0_10empty_typeEEEZZNS1_27merge_sort_block_merge_implIS3_PhPS5_jNS1_19radix_merge_compareILb1ELb1EhNS0_19identity_decomposerEEEEE10hipError_tT0_T1_T2_jT3_P12ihipStream_tbPNSt15iterator_traitsISE_E10value_typeEPNSK_ISF_E10value_typeEPSG_NS1_7vsmem_tEENKUlT_SE_SF_SG_E_clIS8_S8_S9_S9_EESD_ST_SE_SF_SG_EUlST_E_NS1_11comp_targetILNS1_3genE9ELNS1_11target_archE1100ELNS1_3gpuE3ELNS1_3repE0EEENS1_48merge_mergepath_partition_config_static_selectorELNS0_4arch9wavefront6targetE0EEEvSF_
	.p2align	8
	.type	_ZN7rocprim17ROCPRIM_400000_NS6detail17trampoline_kernelINS0_14default_configENS1_38merge_sort_block_merge_config_selectorIhNS0_10empty_typeEEEZZNS1_27merge_sort_block_merge_implIS3_PhPS5_jNS1_19radix_merge_compareILb1ELb1EhNS0_19identity_decomposerEEEEE10hipError_tT0_T1_T2_jT3_P12ihipStream_tbPNSt15iterator_traitsISE_E10value_typeEPNSK_ISF_E10value_typeEPSG_NS1_7vsmem_tEENKUlT_SE_SF_SG_E_clIS8_S8_S9_S9_EESD_ST_SE_SF_SG_EUlST_E_NS1_11comp_targetILNS1_3genE9ELNS1_11target_archE1100ELNS1_3gpuE3ELNS1_3repE0EEENS1_48merge_mergepath_partition_config_static_selectorELNS0_4arch9wavefront6targetE0EEEvSF_,@function
_ZN7rocprim17ROCPRIM_400000_NS6detail17trampoline_kernelINS0_14default_configENS1_38merge_sort_block_merge_config_selectorIhNS0_10empty_typeEEEZZNS1_27merge_sort_block_merge_implIS3_PhPS5_jNS1_19radix_merge_compareILb1ELb1EhNS0_19identity_decomposerEEEEE10hipError_tT0_T1_T2_jT3_P12ihipStream_tbPNSt15iterator_traitsISE_E10value_typeEPNSK_ISF_E10value_typeEPSG_NS1_7vsmem_tEENKUlT_SE_SF_SG_E_clIS8_S8_S9_S9_EESD_ST_SE_SF_SG_EUlST_E_NS1_11comp_targetILNS1_3genE9ELNS1_11target_archE1100ELNS1_3gpuE3ELNS1_3repE0EEENS1_48merge_mergepath_partition_config_static_selectorELNS0_4arch9wavefront6targetE0EEEvSF_: ; @_ZN7rocprim17ROCPRIM_400000_NS6detail17trampoline_kernelINS0_14default_configENS1_38merge_sort_block_merge_config_selectorIhNS0_10empty_typeEEEZZNS1_27merge_sort_block_merge_implIS3_PhPS5_jNS1_19radix_merge_compareILb1ELb1EhNS0_19identity_decomposerEEEEE10hipError_tT0_T1_T2_jT3_P12ihipStream_tbPNSt15iterator_traitsISE_E10value_typeEPNSK_ISF_E10value_typeEPSG_NS1_7vsmem_tEENKUlT_SE_SF_SG_E_clIS8_S8_S9_S9_EESD_ST_SE_SF_SG_EUlST_E_NS1_11comp_targetILNS1_3genE9ELNS1_11target_archE1100ELNS1_3gpuE3ELNS1_3repE0EEENS1_48merge_mergepath_partition_config_static_selectorELNS0_4arch9wavefront6targetE0EEEvSF_
; %bb.0:
	.section	.rodata,"a",@progbits
	.p2align	6, 0x0
	.amdhsa_kernel _ZN7rocprim17ROCPRIM_400000_NS6detail17trampoline_kernelINS0_14default_configENS1_38merge_sort_block_merge_config_selectorIhNS0_10empty_typeEEEZZNS1_27merge_sort_block_merge_implIS3_PhPS5_jNS1_19radix_merge_compareILb1ELb1EhNS0_19identity_decomposerEEEEE10hipError_tT0_T1_T2_jT3_P12ihipStream_tbPNSt15iterator_traitsISE_E10value_typeEPNSK_ISF_E10value_typeEPSG_NS1_7vsmem_tEENKUlT_SE_SF_SG_E_clIS8_S8_S9_S9_EESD_ST_SE_SF_SG_EUlST_E_NS1_11comp_targetILNS1_3genE9ELNS1_11target_archE1100ELNS1_3gpuE3ELNS1_3repE0EEENS1_48merge_mergepath_partition_config_static_selectorELNS0_4arch9wavefront6targetE0EEEvSF_
		.amdhsa_group_segment_fixed_size 0
		.amdhsa_private_segment_fixed_size 0
		.amdhsa_kernarg_size 40
		.amdhsa_user_sgpr_count 2
		.amdhsa_user_sgpr_dispatch_ptr 0
		.amdhsa_user_sgpr_queue_ptr 0
		.amdhsa_user_sgpr_kernarg_segment_ptr 1
		.amdhsa_user_sgpr_dispatch_id 0
		.amdhsa_user_sgpr_kernarg_preload_length 0
		.amdhsa_user_sgpr_kernarg_preload_offset 0
		.amdhsa_user_sgpr_private_segment_size 0
		.amdhsa_wavefront_size32 1
		.amdhsa_uses_dynamic_stack 0
		.amdhsa_enable_private_segment 0
		.amdhsa_system_sgpr_workgroup_id_x 1
		.amdhsa_system_sgpr_workgroup_id_y 0
		.amdhsa_system_sgpr_workgroup_id_z 0
		.amdhsa_system_sgpr_workgroup_info 0
		.amdhsa_system_vgpr_workitem_id 0
		.amdhsa_next_free_vgpr 1
		.amdhsa_next_free_sgpr 1
		.amdhsa_named_barrier_count 0
		.amdhsa_reserve_vcc 0
		.amdhsa_float_round_mode_32 0
		.amdhsa_float_round_mode_16_64 0
		.amdhsa_float_denorm_mode_32 3
		.amdhsa_float_denorm_mode_16_64 3
		.amdhsa_fp16_overflow 0
		.amdhsa_memory_ordered 1
		.amdhsa_forward_progress 1
		.amdhsa_inst_pref_size 0
		.amdhsa_round_robin_scheduling 0
		.amdhsa_exception_fp_ieee_invalid_op 0
		.amdhsa_exception_fp_denorm_src 0
		.amdhsa_exception_fp_ieee_div_zero 0
		.amdhsa_exception_fp_ieee_overflow 0
		.amdhsa_exception_fp_ieee_underflow 0
		.amdhsa_exception_fp_ieee_inexact 0
		.amdhsa_exception_int_div_zero 0
	.end_amdhsa_kernel
	.section	.text._ZN7rocprim17ROCPRIM_400000_NS6detail17trampoline_kernelINS0_14default_configENS1_38merge_sort_block_merge_config_selectorIhNS0_10empty_typeEEEZZNS1_27merge_sort_block_merge_implIS3_PhPS5_jNS1_19radix_merge_compareILb1ELb1EhNS0_19identity_decomposerEEEEE10hipError_tT0_T1_T2_jT3_P12ihipStream_tbPNSt15iterator_traitsISE_E10value_typeEPNSK_ISF_E10value_typeEPSG_NS1_7vsmem_tEENKUlT_SE_SF_SG_E_clIS8_S8_S9_S9_EESD_ST_SE_SF_SG_EUlST_E_NS1_11comp_targetILNS1_3genE9ELNS1_11target_archE1100ELNS1_3gpuE3ELNS1_3repE0EEENS1_48merge_mergepath_partition_config_static_selectorELNS0_4arch9wavefront6targetE0EEEvSF_,"axG",@progbits,_ZN7rocprim17ROCPRIM_400000_NS6detail17trampoline_kernelINS0_14default_configENS1_38merge_sort_block_merge_config_selectorIhNS0_10empty_typeEEEZZNS1_27merge_sort_block_merge_implIS3_PhPS5_jNS1_19radix_merge_compareILb1ELb1EhNS0_19identity_decomposerEEEEE10hipError_tT0_T1_T2_jT3_P12ihipStream_tbPNSt15iterator_traitsISE_E10value_typeEPNSK_ISF_E10value_typeEPSG_NS1_7vsmem_tEENKUlT_SE_SF_SG_E_clIS8_S8_S9_S9_EESD_ST_SE_SF_SG_EUlST_E_NS1_11comp_targetILNS1_3genE9ELNS1_11target_archE1100ELNS1_3gpuE3ELNS1_3repE0EEENS1_48merge_mergepath_partition_config_static_selectorELNS0_4arch9wavefront6targetE0EEEvSF_,comdat
.Lfunc_end64:
	.size	_ZN7rocprim17ROCPRIM_400000_NS6detail17trampoline_kernelINS0_14default_configENS1_38merge_sort_block_merge_config_selectorIhNS0_10empty_typeEEEZZNS1_27merge_sort_block_merge_implIS3_PhPS5_jNS1_19radix_merge_compareILb1ELb1EhNS0_19identity_decomposerEEEEE10hipError_tT0_T1_T2_jT3_P12ihipStream_tbPNSt15iterator_traitsISE_E10value_typeEPNSK_ISF_E10value_typeEPSG_NS1_7vsmem_tEENKUlT_SE_SF_SG_E_clIS8_S8_S9_S9_EESD_ST_SE_SF_SG_EUlST_E_NS1_11comp_targetILNS1_3genE9ELNS1_11target_archE1100ELNS1_3gpuE3ELNS1_3repE0EEENS1_48merge_mergepath_partition_config_static_selectorELNS0_4arch9wavefront6targetE0EEEvSF_, .Lfunc_end64-_ZN7rocprim17ROCPRIM_400000_NS6detail17trampoline_kernelINS0_14default_configENS1_38merge_sort_block_merge_config_selectorIhNS0_10empty_typeEEEZZNS1_27merge_sort_block_merge_implIS3_PhPS5_jNS1_19radix_merge_compareILb1ELb1EhNS0_19identity_decomposerEEEEE10hipError_tT0_T1_T2_jT3_P12ihipStream_tbPNSt15iterator_traitsISE_E10value_typeEPNSK_ISF_E10value_typeEPSG_NS1_7vsmem_tEENKUlT_SE_SF_SG_E_clIS8_S8_S9_S9_EESD_ST_SE_SF_SG_EUlST_E_NS1_11comp_targetILNS1_3genE9ELNS1_11target_archE1100ELNS1_3gpuE3ELNS1_3repE0EEENS1_48merge_mergepath_partition_config_static_selectorELNS0_4arch9wavefront6targetE0EEEvSF_
                                        ; -- End function
	.set _ZN7rocprim17ROCPRIM_400000_NS6detail17trampoline_kernelINS0_14default_configENS1_38merge_sort_block_merge_config_selectorIhNS0_10empty_typeEEEZZNS1_27merge_sort_block_merge_implIS3_PhPS5_jNS1_19radix_merge_compareILb1ELb1EhNS0_19identity_decomposerEEEEE10hipError_tT0_T1_T2_jT3_P12ihipStream_tbPNSt15iterator_traitsISE_E10value_typeEPNSK_ISF_E10value_typeEPSG_NS1_7vsmem_tEENKUlT_SE_SF_SG_E_clIS8_S8_S9_S9_EESD_ST_SE_SF_SG_EUlST_E_NS1_11comp_targetILNS1_3genE9ELNS1_11target_archE1100ELNS1_3gpuE3ELNS1_3repE0EEENS1_48merge_mergepath_partition_config_static_selectorELNS0_4arch9wavefront6targetE0EEEvSF_.num_vgpr, 0
	.set _ZN7rocprim17ROCPRIM_400000_NS6detail17trampoline_kernelINS0_14default_configENS1_38merge_sort_block_merge_config_selectorIhNS0_10empty_typeEEEZZNS1_27merge_sort_block_merge_implIS3_PhPS5_jNS1_19radix_merge_compareILb1ELb1EhNS0_19identity_decomposerEEEEE10hipError_tT0_T1_T2_jT3_P12ihipStream_tbPNSt15iterator_traitsISE_E10value_typeEPNSK_ISF_E10value_typeEPSG_NS1_7vsmem_tEENKUlT_SE_SF_SG_E_clIS8_S8_S9_S9_EESD_ST_SE_SF_SG_EUlST_E_NS1_11comp_targetILNS1_3genE9ELNS1_11target_archE1100ELNS1_3gpuE3ELNS1_3repE0EEENS1_48merge_mergepath_partition_config_static_selectorELNS0_4arch9wavefront6targetE0EEEvSF_.num_agpr, 0
	.set _ZN7rocprim17ROCPRIM_400000_NS6detail17trampoline_kernelINS0_14default_configENS1_38merge_sort_block_merge_config_selectorIhNS0_10empty_typeEEEZZNS1_27merge_sort_block_merge_implIS3_PhPS5_jNS1_19radix_merge_compareILb1ELb1EhNS0_19identity_decomposerEEEEE10hipError_tT0_T1_T2_jT3_P12ihipStream_tbPNSt15iterator_traitsISE_E10value_typeEPNSK_ISF_E10value_typeEPSG_NS1_7vsmem_tEENKUlT_SE_SF_SG_E_clIS8_S8_S9_S9_EESD_ST_SE_SF_SG_EUlST_E_NS1_11comp_targetILNS1_3genE9ELNS1_11target_archE1100ELNS1_3gpuE3ELNS1_3repE0EEENS1_48merge_mergepath_partition_config_static_selectorELNS0_4arch9wavefront6targetE0EEEvSF_.numbered_sgpr, 0
	.set _ZN7rocprim17ROCPRIM_400000_NS6detail17trampoline_kernelINS0_14default_configENS1_38merge_sort_block_merge_config_selectorIhNS0_10empty_typeEEEZZNS1_27merge_sort_block_merge_implIS3_PhPS5_jNS1_19radix_merge_compareILb1ELb1EhNS0_19identity_decomposerEEEEE10hipError_tT0_T1_T2_jT3_P12ihipStream_tbPNSt15iterator_traitsISE_E10value_typeEPNSK_ISF_E10value_typeEPSG_NS1_7vsmem_tEENKUlT_SE_SF_SG_E_clIS8_S8_S9_S9_EESD_ST_SE_SF_SG_EUlST_E_NS1_11comp_targetILNS1_3genE9ELNS1_11target_archE1100ELNS1_3gpuE3ELNS1_3repE0EEENS1_48merge_mergepath_partition_config_static_selectorELNS0_4arch9wavefront6targetE0EEEvSF_.num_named_barrier, 0
	.set _ZN7rocprim17ROCPRIM_400000_NS6detail17trampoline_kernelINS0_14default_configENS1_38merge_sort_block_merge_config_selectorIhNS0_10empty_typeEEEZZNS1_27merge_sort_block_merge_implIS3_PhPS5_jNS1_19radix_merge_compareILb1ELb1EhNS0_19identity_decomposerEEEEE10hipError_tT0_T1_T2_jT3_P12ihipStream_tbPNSt15iterator_traitsISE_E10value_typeEPNSK_ISF_E10value_typeEPSG_NS1_7vsmem_tEENKUlT_SE_SF_SG_E_clIS8_S8_S9_S9_EESD_ST_SE_SF_SG_EUlST_E_NS1_11comp_targetILNS1_3genE9ELNS1_11target_archE1100ELNS1_3gpuE3ELNS1_3repE0EEENS1_48merge_mergepath_partition_config_static_selectorELNS0_4arch9wavefront6targetE0EEEvSF_.private_seg_size, 0
	.set _ZN7rocprim17ROCPRIM_400000_NS6detail17trampoline_kernelINS0_14default_configENS1_38merge_sort_block_merge_config_selectorIhNS0_10empty_typeEEEZZNS1_27merge_sort_block_merge_implIS3_PhPS5_jNS1_19radix_merge_compareILb1ELb1EhNS0_19identity_decomposerEEEEE10hipError_tT0_T1_T2_jT3_P12ihipStream_tbPNSt15iterator_traitsISE_E10value_typeEPNSK_ISF_E10value_typeEPSG_NS1_7vsmem_tEENKUlT_SE_SF_SG_E_clIS8_S8_S9_S9_EESD_ST_SE_SF_SG_EUlST_E_NS1_11comp_targetILNS1_3genE9ELNS1_11target_archE1100ELNS1_3gpuE3ELNS1_3repE0EEENS1_48merge_mergepath_partition_config_static_selectorELNS0_4arch9wavefront6targetE0EEEvSF_.uses_vcc, 0
	.set _ZN7rocprim17ROCPRIM_400000_NS6detail17trampoline_kernelINS0_14default_configENS1_38merge_sort_block_merge_config_selectorIhNS0_10empty_typeEEEZZNS1_27merge_sort_block_merge_implIS3_PhPS5_jNS1_19radix_merge_compareILb1ELb1EhNS0_19identity_decomposerEEEEE10hipError_tT0_T1_T2_jT3_P12ihipStream_tbPNSt15iterator_traitsISE_E10value_typeEPNSK_ISF_E10value_typeEPSG_NS1_7vsmem_tEENKUlT_SE_SF_SG_E_clIS8_S8_S9_S9_EESD_ST_SE_SF_SG_EUlST_E_NS1_11comp_targetILNS1_3genE9ELNS1_11target_archE1100ELNS1_3gpuE3ELNS1_3repE0EEENS1_48merge_mergepath_partition_config_static_selectorELNS0_4arch9wavefront6targetE0EEEvSF_.uses_flat_scratch, 0
	.set _ZN7rocprim17ROCPRIM_400000_NS6detail17trampoline_kernelINS0_14default_configENS1_38merge_sort_block_merge_config_selectorIhNS0_10empty_typeEEEZZNS1_27merge_sort_block_merge_implIS3_PhPS5_jNS1_19radix_merge_compareILb1ELb1EhNS0_19identity_decomposerEEEEE10hipError_tT0_T1_T2_jT3_P12ihipStream_tbPNSt15iterator_traitsISE_E10value_typeEPNSK_ISF_E10value_typeEPSG_NS1_7vsmem_tEENKUlT_SE_SF_SG_E_clIS8_S8_S9_S9_EESD_ST_SE_SF_SG_EUlST_E_NS1_11comp_targetILNS1_3genE9ELNS1_11target_archE1100ELNS1_3gpuE3ELNS1_3repE0EEENS1_48merge_mergepath_partition_config_static_selectorELNS0_4arch9wavefront6targetE0EEEvSF_.has_dyn_sized_stack, 0
	.set _ZN7rocprim17ROCPRIM_400000_NS6detail17trampoline_kernelINS0_14default_configENS1_38merge_sort_block_merge_config_selectorIhNS0_10empty_typeEEEZZNS1_27merge_sort_block_merge_implIS3_PhPS5_jNS1_19radix_merge_compareILb1ELb1EhNS0_19identity_decomposerEEEEE10hipError_tT0_T1_T2_jT3_P12ihipStream_tbPNSt15iterator_traitsISE_E10value_typeEPNSK_ISF_E10value_typeEPSG_NS1_7vsmem_tEENKUlT_SE_SF_SG_E_clIS8_S8_S9_S9_EESD_ST_SE_SF_SG_EUlST_E_NS1_11comp_targetILNS1_3genE9ELNS1_11target_archE1100ELNS1_3gpuE3ELNS1_3repE0EEENS1_48merge_mergepath_partition_config_static_selectorELNS0_4arch9wavefront6targetE0EEEvSF_.has_recursion, 0
	.set _ZN7rocprim17ROCPRIM_400000_NS6detail17trampoline_kernelINS0_14default_configENS1_38merge_sort_block_merge_config_selectorIhNS0_10empty_typeEEEZZNS1_27merge_sort_block_merge_implIS3_PhPS5_jNS1_19radix_merge_compareILb1ELb1EhNS0_19identity_decomposerEEEEE10hipError_tT0_T1_T2_jT3_P12ihipStream_tbPNSt15iterator_traitsISE_E10value_typeEPNSK_ISF_E10value_typeEPSG_NS1_7vsmem_tEENKUlT_SE_SF_SG_E_clIS8_S8_S9_S9_EESD_ST_SE_SF_SG_EUlST_E_NS1_11comp_targetILNS1_3genE9ELNS1_11target_archE1100ELNS1_3gpuE3ELNS1_3repE0EEENS1_48merge_mergepath_partition_config_static_selectorELNS0_4arch9wavefront6targetE0EEEvSF_.has_indirect_call, 0
	.section	.AMDGPU.csdata,"",@progbits
; Kernel info:
; codeLenInByte = 0
; TotalNumSgprs: 0
; NumVgprs: 0
; ScratchSize: 0
; MemoryBound: 0
; FloatMode: 240
; IeeeMode: 1
; LDSByteSize: 0 bytes/workgroup (compile time only)
; SGPRBlocks: 0
; VGPRBlocks: 0
; NumSGPRsForWavesPerEU: 1
; NumVGPRsForWavesPerEU: 1
; NamedBarCnt: 0
; Occupancy: 16
; WaveLimiterHint : 0
; COMPUTE_PGM_RSRC2:SCRATCH_EN: 0
; COMPUTE_PGM_RSRC2:USER_SGPR: 2
; COMPUTE_PGM_RSRC2:TRAP_HANDLER: 0
; COMPUTE_PGM_RSRC2:TGID_X_EN: 1
; COMPUTE_PGM_RSRC2:TGID_Y_EN: 0
; COMPUTE_PGM_RSRC2:TGID_Z_EN: 0
; COMPUTE_PGM_RSRC2:TIDIG_COMP_CNT: 0
	.section	.text._ZN7rocprim17ROCPRIM_400000_NS6detail17trampoline_kernelINS0_14default_configENS1_38merge_sort_block_merge_config_selectorIhNS0_10empty_typeEEEZZNS1_27merge_sort_block_merge_implIS3_PhPS5_jNS1_19radix_merge_compareILb1ELb1EhNS0_19identity_decomposerEEEEE10hipError_tT0_T1_T2_jT3_P12ihipStream_tbPNSt15iterator_traitsISE_E10value_typeEPNSK_ISF_E10value_typeEPSG_NS1_7vsmem_tEENKUlT_SE_SF_SG_E_clIS8_S8_S9_S9_EESD_ST_SE_SF_SG_EUlST_E_NS1_11comp_targetILNS1_3genE8ELNS1_11target_archE1030ELNS1_3gpuE2ELNS1_3repE0EEENS1_48merge_mergepath_partition_config_static_selectorELNS0_4arch9wavefront6targetE0EEEvSF_,"axG",@progbits,_ZN7rocprim17ROCPRIM_400000_NS6detail17trampoline_kernelINS0_14default_configENS1_38merge_sort_block_merge_config_selectorIhNS0_10empty_typeEEEZZNS1_27merge_sort_block_merge_implIS3_PhPS5_jNS1_19radix_merge_compareILb1ELb1EhNS0_19identity_decomposerEEEEE10hipError_tT0_T1_T2_jT3_P12ihipStream_tbPNSt15iterator_traitsISE_E10value_typeEPNSK_ISF_E10value_typeEPSG_NS1_7vsmem_tEENKUlT_SE_SF_SG_E_clIS8_S8_S9_S9_EESD_ST_SE_SF_SG_EUlST_E_NS1_11comp_targetILNS1_3genE8ELNS1_11target_archE1030ELNS1_3gpuE2ELNS1_3repE0EEENS1_48merge_mergepath_partition_config_static_selectorELNS0_4arch9wavefront6targetE0EEEvSF_,comdat
	.protected	_ZN7rocprim17ROCPRIM_400000_NS6detail17trampoline_kernelINS0_14default_configENS1_38merge_sort_block_merge_config_selectorIhNS0_10empty_typeEEEZZNS1_27merge_sort_block_merge_implIS3_PhPS5_jNS1_19radix_merge_compareILb1ELb1EhNS0_19identity_decomposerEEEEE10hipError_tT0_T1_T2_jT3_P12ihipStream_tbPNSt15iterator_traitsISE_E10value_typeEPNSK_ISF_E10value_typeEPSG_NS1_7vsmem_tEENKUlT_SE_SF_SG_E_clIS8_S8_S9_S9_EESD_ST_SE_SF_SG_EUlST_E_NS1_11comp_targetILNS1_3genE8ELNS1_11target_archE1030ELNS1_3gpuE2ELNS1_3repE0EEENS1_48merge_mergepath_partition_config_static_selectorELNS0_4arch9wavefront6targetE0EEEvSF_ ; -- Begin function _ZN7rocprim17ROCPRIM_400000_NS6detail17trampoline_kernelINS0_14default_configENS1_38merge_sort_block_merge_config_selectorIhNS0_10empty_typeEEEZZNS1_27merge_sort_block_merge_implIS3_PhPS5_jNS1_19radix_merge_compareILb1ELb1EhNS0_19identity_decomposerEEEEE10hipError_tT0_T1_T2_jT3_P12ihipStream_tbPNSt15iterator_traitsISE_E10value_typeEPNSK_ISF_E10value_typeEPSG_NS1_7vsmem_tEENKUlT_SE_SF_SG_E_clIS8_S8_S9_S9_EESD_ST_SE_SF_SG_EUlST_E_NS1_11comp_targetILNS1_3genE8ELNS1_11target_archE1030ELNS1_3gpuE2ELNS1_3repE0EEENS1_48merge_mergepath_partition_config_static_selectorELNS0_4arch9wavefront6targetE0EEEvSF_
	.globl	_ZN7rocprim17ROCPRIM_400000_NS6detail17trampoline_kernelINS0_14default_configENS1_38merge_sort_block_merge_config_selectorIhNS0_10empty_typeEEEZZNS1_27merge_sort_block_merge_implIS3_PhPS5_jNS1_19radix_merge_compareILb1ELb1EhNS0_19identity_decomposerEEEEE10hipError_tT0_T1_T2_jT3_P12ihipStream_tbPNSt15iterator_traitsISE_E10value_typeEPNSK_ISF_E10value_typeEPSG_NS1_7vsmem_tEENKUlT_SE_SF_SG_E_clIS8_S8_S9_S9_EESD_ST_SE_SF_SG_EUlST_E_NS1_11comp_targetILNS1_3genE8ELNS1_11target_archE1030ELNS1_3gpuE2ELNS1_3repE0EEENS1_48merge_mergepath_partition_config_static_selectorELNS0_4arch9wavefront6targetE0EEEvSF_
	.p2align	8
	.type	_ZN7rocprim17ROCPRIM_400000_NS6detail17trampoline_kernelINS0_14default_configENS1_38merge_sort_block_merge_config_selectorIhNS0_10empty_typeEEEZZNS1_27merge_sort_block_merge_implIS3_PhPS5_jNS1_19radix_merge_compareILb1ELb1EhNS0_19identity_decomposerEEEEE10hipError_tT0_T1_T2_jT3_P12ihipStream_tbPNSt15iterator_traitsISE_E10value_typeEPNSK_ISF_E10value_typeEPSG_NS1_7vsmem_tEENKUlT_SE_SF_SG_E_clIS8_S8_S9_S9_EESD_ST_SE_SF_SG_EUlST_E_NS1_11comp_targetILNS1_3genE8ELNS1_11target_archE1030ELNS1_3gpuE2ELNS1_3repE0EEENS1_48merge_mergepath_partition_config_static_selectorELNS0_4arch9wavefront6targetE0EEEvSF_,@function
_ZN7rocprim17ROCPRIM_400000_NS6detail17trampoline_kernelINS0_14default_configENS1_38merge_sort_block_merge_config_selectorIhNS0_10empty_typeEEEZZNS1_27merge_sort_block_merge_implIS3_PhPS5_jNS1_19radix_merge_compareILb1ELb1EhNS0_19identity_decomposerEEEEE10hipError_tT0_T1_T2_jT3_P12ihipStream_tbPNSt15iterator_traitsISE_E10value_typeEPNSK_ISF_E10value_typeEPSG_NS1_7vsmem_tEENKUlT_SE_SF_SG_E_clIS8_S8_S9_S9_EESD_ST_SE_SF_SG_EUlST_E_NS1_11comp_targetILNS1_3genE8ELNS1_11target_archE1030ELNS1_3gpuE2ELNS1_3repE0EEENS1_48merge_mergepath_partition_config_static_selectorELNS0_4arch9wavefront6targetE0EEEvSF_: ; @_ZN7rocprim17ROCPRIM_400000_NS6detail17trampoline_kernelINS0_14default_configENS1_38merge_sort_block_merge_config_selectorIhNS0_10empty_typeEEEZZNS1_27merge_sort_block_merge_implIS3_PhPS5_jNS1_19radix_merge_compareILb1ELb1EhNS0_19identity_decomposerEEEEE10hipError_tT0_T1_T2_jT3_P12ihipStream_tbPNSt15iterator_traitsISE_E10value_typeEPNSK_ISF_E10value_typeEPSG_NS1_7vsmem_tEENKUlT_SE_SF_SG_E_clIS8_S8_S9_S9_EESD_ST_SE_SF_SG_EUlST_E_NS1_11comp_targetILNS1_3genE8ELNS1_11target_archE1030ELNS1_3gpuE2ELNS1_3repE0EEENS1_48merge_mergepath_partition_config_static_selectorELNS0_4arch9wavefront6targetE0EEEvSF_
; %bb.0:
	.section	.rodata,"a",@progbits
	.p2align	6, 0x0
	.amdhsa_kernel _ZN7rocprim17ROCPRIM_400000_NS6detail17trampoline_kernelINS0_14default_configENS1_38merge_sort_block_merge_config_selectorIhNS0_10empty_typeEEEZZNS1_27merge_sort_block_merge_implIS3_PhPS5_jNS1_19radix_merge_compareILb1ELb1EhNS0_19identity_decomposerEEEEE10hipError_tT0_T1_T2_jT3_P12ihipStream_tbPNSt15iterator_traitsISE_E10value_typeEPNSK_ISF_E10value_typeEPSG_NS1_7vsmem_tEENKUlT_SE_SF_SG_E_clIS8_S8_S9_S9_EESD_ST_SE_SF_SG_EUlST_E_NS1_11comp_targetILNS1_3genE8ELNS1_11target_archE1030ELNS1_3gpuE2ELNS1_3repE0EEENS1_48merge_mergepath_partition_config_static_selectorELNS0_4arch9wavefront6targetE0EEEvSF_
		.amdhsa_group_segment_fixed_size 0
		.amdhsa_private_segment_fixed_size 0
		.amdhsa_kernarg_size 40
		.amdhsa_user_sgpr_count 2
		.amdhsa_user_sgpr_dispatch_ptr 0
		.amdhsa_user_sgpr_queue_ptr 0
		.amdhsa_user_sgpr_kernarg_segment_ptr 1
		.amdhsa_user_sgpr_dispatch_id 0
		.amdhsa_user_sgpr_kernarg_preload_length 0
		.amdhsa_user_sgpr_kernarg_preload_offset 0
		.amdhsa_user_sgpr_private_segment_size 0
		.amdhsa_wavefront_size32 1
		.amdhsa_uses_dynamic_stack 0
		.amdhsa_enable_private_segment 0
		.amdhsa_system_sgpr_workgroup_id_x 1
		.amdhsa_system_sgpr_workgroup_id_y 0
		.amdhsa_system_sgpr_workgroup_id_z 0
		.amdhsa_system_sgpr_workgroup_info 0
		.amdhsa_system_vgpr_workitem_id 0
		.amdhsa_next_free_vgpr 1
		.amdhsa_next_free_sgpr 1
		.amdhsa_named_barrier_count 0
		.amdhsa_reserve_vcc 0
		.amdhsa_float_round_mode_32 0
		.amdhsa_float_round_mode_16_64 0
		.amdhsa_float_denorm_mode_32 3
		.amdhsa_float_denorm_mode_16_64 3
		.amdhsa_fp16_overflow 0
		.amdhsa_memory_ordered 1
		.amdhsa_forward_progress 1
		.amdhsa_inst_pref_size 0
		.amdhsa_round_robin_scheduling 0
		.amdhsa_exception_fp_ieee_invalid_op 0
		.amdhsa_exception_fp_denorm_src 0
		.amdhsa_exception_fp_ieee_div_zero 0
		.amdhsa_exception_fp_ieee_overflow 0
		.amdhsa_exception_fp_ieee_underflow 0
		.amdhsa_exception_fp_ieee_inexact 0
		.amdhsa_exception_int_div_zero 0
	.end_amdhsa_kernel
	.section	.text._ZN7rocprim17ROCPRIM_400000_NS6detail17trampoline_kernelINS0_14default_configENS1_38merge_sort_block_merge_config_selectorIhNS0_10empty_typeEEEZZNS1_27merge_sort_block_merge_implIS3_PhPS5_jNS1_19radix_merge_compareILb1ELb1EhNS0_19identity_decomposerEEEEE10hipError_tT0_T1_T2_jT3_P12ihipStream_tbPNSt15iterator_traitsISE_E10value_typeEPNSK_ISF_E10value_typeEPSG_NS1_7vsmem_tEENKUlT_SE_SF_SG_E_clIS8_S8_S9_S9_EESD_ST_SE_SF_SG_EUlST_E_NS1_11comp_targetILNS1_3genE8ELNS1_11target_archE1030ELNS1_3gpuE2ELNS1_3repE0EEENS1_48merge_mergepath_partition_config_static_selectorELNS0_4arch9wavefront6targetE0EEEvSF_,"axG",@progbits,_ZN7rocprim17ROCPRIM_400000_NS6detail17trampoline_kernelINS0_14default_configENS1_38merge_sort_block_merge_config_selectorIhNS0_10empty_typeEEEZZNS1_27merge_sort_block_merge_implIS3_PhPS5_jNS1_19radix_merge_compareILb1ELb1EhNS0_19identity_decomposerEEEEE10hipError_tT0_T1_T2_jT3_P12ihipStream_tbPNSt15iterator_traitsISE_E10value_typeEPNSK_ISF_E10value_typeEPSG_NS1_7vsmem_tEENKUlT_SE_SF_SG_E_clIS8_S8_S9_S9_EESD_ST_SE_SF_SG_EUlST_E_NS1_11comp_targetILNS1_3genE8ELNS1_11target_archE1030ELNS1_3gpuE2ELNS1_3repE0EEENS1_48merge_mergepath_partition_config_static_selectorELNS0_4arch9wavefront6targetE0EEEvSF_,comdat
.Lfunc_end65:
	.size	_ZN7rocprim17ROCPRIM_400000_NS6detail17trampoline_kernelINS0_14default_configENS1_38merge_sort_block_merge_config_selectorIhNS0_10empty_typeEEEZZNS1_27merge_sort_block_merge_implIS3_PhPS5_jNS1_19radix_merge_compareILb1ELb1EhNS0_19identity_decomposerEEEEE10hipError_tT0_T1_T2_jT3_P12ihipStream_tbPNSt15iterator_traitsISE_E10value_typeEPNSK_ISF_E10value_typeEPSG_NS1_7vsmem_tEENKUlT_SE_SF_SG_E_clIS8_S8_S9_S9_EESD_ST_SE_SF_SG_EUlST_E_NS1_11comp_targetILNS1_3genE8ELNS1_11target_archE1030ELNS1_3gpuE2ELNS1_3repE0EEENS1_48merge_mergepath_partition_config_static_selectorELNS0_4arch9wavefront6targetE0EEEvSF_, .Lfunc_end65-_ZN7rocprim17ROCPRIM_400000_NS6detail17trampoline_kernelINS0_14default_configENS1_38merge_sort_block_merge_config_selectorIhNS0_10empty_typeEEEZZNS1_27merge_sort_block_merge_implIS3_PhPS5_jNS1_19radix_merge_compareILb1ELb1EhNS0_19identity_decomposerEEEEE10hipError_tT0_T1_T2_jT3_P12ihipStream_tbPNSt15iterator_traitsISE_E10value_typeEPNSK_ISF_E10value_typeEPSG_NS1_7vsmem_tEENKUlT_SE_SF_SG_E_clIS8_S8_S9_S9_EESD_ST_SE_SF_SG_EUlST_E_NS1_11comp_targetILNS1_3genE8ELNS1_11target_archE1030ELNS1_3gpuE2ELNS1_3repE0EEENS1_48merge_mergepath_partition_config_static_selectorELNS0_4arch9wavefront6targetE0EEEvSF_
                                        ; -- End function
	.set _ZN7rocprim17ROCPRIM_400000_NS6detail17trampoline_kernelINS0_14default_configENS1_38merge_sort_block_merge_config_selectorIhNS0_10empty_typeEEEZZNS1_27merge_sort_block_merge_implIS3_PhPS5_jNS1_19radix_merge_compareILb1ELb1EhNS0_19identity_decomposerEEEEE10hipError_tT0_T1_T2_jT3_P12ihipStream_tbPNSt15iterator_traitsISE_E10value_typeEPNSK_ISF_E10value_typeEPSG_NS1_7vsmem_tEENKUlT_SE_SF_SG_E_clIS8_S8_S9_S9_EESD_ST_SE_SF_SG_EUlST_E_NS1_11comp_targetILNS1_3genE8ELNS1_11target_archE1030ELNS1_3gpuE2ELNS1_3repE0EEENS1_48merge_mergepath_partition_config_static_selectorELNS0_4arch9wavefront6targetE0EEEvSF_.num_vgpr, 0
	.set _ZN7rocprim17ROCPRIM_400000_NS6detail17trampoline_kernelINS0_14default_configENS1_38merge_sort_block_merge_config_selectorIhNS0_10empty_typeEEEZZNS1_27merge_sort_block_merge_implIS3_PhPS5_jNS1_19radix_merge_compareILb1ELb1EhNS0_19identity_decomposerEEEEE10hipError_tT0_T1_T2_jT3_P12ihipStream_tbPNSt15iterator_traitsISE_E10value_typeEPNSK_ISF_E10value_typeEPSG_NS1_7vsmem_tEENKUlT_SE_SF_SG_E_clIS8_S8_S9_S9_EESD_ST_SE_SF_SG_EUlST_E_NS1_11comp_targetILNS1_3genE8ELNS1_11target_archE1030ELNS1_3gpuE2ELNS1_3repE0EEENS1_48merge_mergepath_partition_config_static_selectorELNS0_4arch9wavefront6targetE0EEEvSF_.num_agpr, 0
	.set _ZN7rocprim17ROCPRIM_400000_NS6detail17trampoline_kernelINS0_14default_configENS1_38merge_sort_block_merge_config_selectorIhNS0_10empty_typeEEEZZNS1_27merge_sort_block_merge_implIS3_PhPS5_jNS1_19radix_merge_compareILb1ELb1EhNS0_19identity_decomposerEEEEE10hipError_tT0_T1_T2_jT3_P12ihipStream_tbPNSt15iterator_traitsISE_E10value_typeEPNSK_ISF_E10value_typeEPSG_NS1_7vsmem_tEENKUlT_SE_SF_SG_E_clIS8_S8_S9_S9_EESD_ST_SE_SF_SG_EUlST_E_NS1_11comp_targetILNS1_3genE8ELNS1_11target_archE1030ELNS1_3gpuE2ELNS1_3repE0EEENS1_48merge_mergepath_partition_config_static_selectorELNS0_4arch9wavefront6targetE0EEEvSF_.numbered_sgpr, 0
	.set _ZN7rocprim17ROCPRIM_400000_NS6detail17trampoline_kernelINS0_14default_configENS1_38merge_sort_block_merge_config_selectorIhNS0_10empty_typeEEEZZNS1_27merge_sort_block_merge_implIS3_PhPS5_jNS1_19radix_merge_compareILb1ELb1EhNS0_19identity_decomposerEEEEE10hipError_tT0_T1_T2_jT3_P12ihipStream_tbPNSt15iterator_traitsISE_E10value_typeEPNSK_ISF_E10value_typeEPSG_NS1_7vsmem_tEENKUlT_SE_SF_SG_E_clIS8_S8_S9_S9_EESD_ST_SE_SF_SG_EUlST_E_NS1_11comp_targetILNS1_3genE8ELNS1_11target_archE1030ELNS1_3gpuE2ELNS1_3repE0EEENS1_48merge_mergepath_partition_config_static_selectorELNS0_4arch9wavefront6targetE0EEEvSF_.num_named_barrier, 0
	.set _ZN7rocprim17ROCPRIM_400000_NS6detail17trampoline_kernelINS0_14default_configENS1_38merge_sort_block_merge_config_selectorIhNS0_10empty_typeEEEZZNS1_27merge_sort_block_merge_implIS3_PhPS5_jNS1_19radix_merge_compareILb1ELb1EhNS0_19identity_decomposerEEEEE10hipError_tT0_T1_T2_jT3_P12ihipStream_tbPNSt15iterator_traitsISE_E10value_typeEPNSK_ISF_E10value_typeEPSG_NS1_7vsmem_tEENKUlT_SE_SF_SG_E_clIS8_S8_S9_S9_EESD_ST_SE_SF_SG_EUlST_E_NS1_11comp_targetILNS1_3genE8ELNS1_11target_archE1030ELNS1_3gpuE2ELNS1_3repE0EEENS1_48merge_mergepath_partition_config_static_selectorELNS0_4arch9wavefront6targetE0EEEvSF_.private_seg_size, 0
	.set _ZN7rocprim17ROCPRIM_400000_NS6detail17trampoline_kernelINS0_14default_configENS1_38merge_sort_block_merge_config_selectorIhNS0_10empty_typeEEEZZNS1_27merge_sort_block_merge_implIS3_PhPS5_jNS1_19radix_merge_compareILb1ELb1EhNS0_19identity_decomposerEEEEE10hipError_tT0_T1_T2_jT3_P12ihipStream_tbPNSt15iterator_traitsISE_E10value_typeEPNSK_ISF_E10value_typeEPSG_NS1_7vsmem_tEENKUlT_SE_SF_SG_E_clIS8_S8_S9_S9_EESD_ST_SE_SF_SG_EUlST_E_NS1_11comp_targetILNS1_3genE8ELNS1_11target_archE1030ELNS1_3gpuE2ELNS1_3repE0EEENS1_48merge_mergepath_partition_config_static_selectorELNS0_4arch9wavefront6targetE0EEEvSF_.uses_vcc, 0
	.set _ZN7rocprim17ROCPRIM_400000_NS6detail17trampoline_kernelINS0_14default_configENS1_38merge_sort_block_merge_config_selectorIhNS0_10empty_typeEEEZZNS1_27merge_sort_block_merge_implIS3_PhPS5_jNS1_19radix_merge_compareILb1ELb1EhNS0_19identity_decomposerEEEEE10hipError_tT0_T1_T2_jT3_P12ihipStream_tbPNSt15iterator_traitsISE_E10value_typeEPNSK_ISF_E10value_typeEPSG_NS1_7vsmem_tEENKUlT_SE_SF_SG_E_clIS8_S8_S9_S9_EESD_ST_SE_SF_SG_EUlST_E_NS1_11comp_targetILNS1_3genE8ELNS1_11target_archE1030ELNS1_3gpuE2ELNS1_3repE0EEENS1_48merge_mergepath_partition_config_static_selectorELNS0_4arch9wavefront6targetE0EEEvSF_.uses_flat_scratch, 0
	.set _ZN7rocprim17ROCPRIM_400000_NS6detail17trampoline_kernelINS0_14default_configENS1_38merge_sort_block_merge_config_selectorIhNS0_10empty_typeEEEZZNS1_27merge_sort_block_merge_implIS3_PhPS5_jNS1_19radix_merge_compareILb1ELb1EhNS0_19identity_decomposerEEEEE10hipError_tT0_T1_T2_jT3_P12ihipStream_tbPNSt15iterator_traitsISE_E10value_typeEPNSK_ISF_E10value_typeEPSG_NS1_7vsmem_tEENKUlT_SE_SF_SG_E_clIS8_S8_S9_S9_EESD_ST_SE_SF_SG_EUlST_E_NS1_11comp_targetILNS1_3genE8ELNS1_11target_archE1030ELNS1_3gpuE2ELNS1_3repE0EEENS1_48merge_mergepath_partition_config_static_selectorELNS0_4arch9wavefront6targetE0EEEvSF_.has_dyn_sized_stack, 0
	.set _ZN7rocprim17ROCPRIM_400000_NS6detail17trampoline_kernelINS0_14default_configENS1_38merge_sort_block_merge_config_selectorIhNS0_10empty_typeEEEZZNS1_27merge_sort_block_merge_implIS3_PhPS5_jNS1_19radix_merge_compareILb1ELb1EhNS0_19identity_decomposerEEEEE10hipError_tT0_T1_T2_jT3_P12ihipStream_tbPNSt15iterator_traitsISE_E10value_typeEPNSK_ISF_E10value_typeEPSG_NS1_7vsmem_tEENKUlT_SE_SF_SG_E_clIS8_S8_S9_S9_EESD_ST_SE_SF_SG_EUlST_E_NS1_11comp_targetILNS1_3genE8ELNS1_11target_archE1030ELNS1_3gpuE2ELNS1_3repE0EEENS1_48merge_mergepath_partition_config_static_selectorELNS0_4arch9wavefront6targetE0EEEvSF_.has_recursion, 0
	.set _ZN7rocprim17ROCPRIM_400000_NS6detail17trampoline_kernelINS0_14default_configENS1_38merge_sort_block_merge_config_selectorIhNS0_10empty_typeEEEZZNS1_27merge_sort_block_merge_implIS3_PhPS5_jNS1_19radix_merge_compareILb1ELb1EhNS0_19identity_decomposerEEEEE10hipError_tT0_T1_T2_jT3_P12ihipStream_tbPNSt15iterator_traitsISE_E10value_typeEPNSK_ISF_E10value_typeEPSG_NS1_7vsmem_tEENKUlT_SE_SF_SG_E_clIS8_S8_S9_S9_EESD_ST_SE_SF_SG_EUlST_E_NS1_11comp_targetILNS1_3genE8ELNS1_11target_archE1030ELNS1_3gpuE2ELNS1_3repE0EEENS1_48merge_mergepath_partition_config_static_selectorELNS0_4arch9wavefront6targetE0EEEvSF_.has_indirect_call, 0
	.section	.AMDGPU.csdata,"",@progbits
; Kernel info:
; codeLenInByte = 0
; TotalNumSgprs: 0
; NumVgprs: 0
; ScratchSize: 0
; MemoryBound: 0
; FloatMode: 240
; IeeeMode: 1
; LDSByteSize: 0 bytes/workgroup (compile time only)
; SGPRBlocks: 0
; VGPRBlocks: 0
; NumSGPRsForWavesPerEU: 1
; NumVGPRsForWavesPerEU: 1
; NamedBarCnt: 0
; Occupancy: 16
; WaveLimiterHint : 0
; COMPUTE_PGM_RSRC2:SCRATCH_EN: 0
; COMPUTE_PGM_RSRC2:USER_SGPR: 2
; COMPUTE_PGM_RSRC2:TRAP_HANDLER: 0
; COMPUTE_PGM_RSRC2:TGID_X_EN: 1
; COMPUTE_PGM_RSRC2:TGID_Y_EN: 0
; COMPUTE_PGM_RSRC2:TGID_Z_EN: 0
; COMPUTE_PGM_RSRC2:TIDIG_COMP_CNT: 0
	.section	.text._ZN7rocprim17ROCPRIM_400000_NS6detail17trampoline_kernelINS0_14default_configENS1_38merge_sort_block_merge_config_selectorIhNS0_10empty_typeEEEZZNS1_27merge_sort_block_merge_implIS3_PhPS5_jNS1_19radix_merge_compareILb1ELb1EhNS0_19identity_decomposerEEEEE10hipError_tT0_T1_T2_jT3_P12ihipStream_tbPNSt15iterator_traitsISE_E10value_typeEPNSK_ISF_E10value_typeEPSG_NS1_7vsmem_tEENKUlT_SE_SF_SG_E_clIS8_S8_S9_S9_EESD_ST_SE_SF_SG_EUlST_E0_NS1_11comp_targetILNS1_3genE0ELNS1_11target_archE4294967295ELNS1_3gpuE0ELNS1_3repE0EEENS1_38merge_mergepath_config_static_selectorELNS0_4arch9wavefront6targetE0EEEvSF_,"axG",@progbits,_ZN7rocprim17ROCPRIM_400000_NS6detail17trampoline_kernelINS0_14default_configENS1_38merge_sort_block_merge_config_selectorIhNS0_10empty_typeEEEZZNS1_27merge_sort_block_merge_implIS3_PhPS5_jNS1_19radix_merge_compareILb1ELb1EhNS0_19identity_decomposerEEEEE10hipError_tT0_T1_T2_jT3_P12ihipStream_tbPNSt15iterator_traitsISE_E10value_typeEPNSK_ISF_E10value_typeEPSG_NS1_7vsmem_tEENKUlT_SE_SF_SG_E_clIS8_S8_S9_S9_EESD_ST_SE_SF_SG_EUlST_E0_NS1_11comp_targetILNS1_3genE0ELNS1_11target_archE4294967295ELNS1_3gpuE0ELNS1_3repE0EEENS1_38merge_mergepath_config_static_selectorELNS0_4arch9wavefront6targetE0EEEvSF_,comdat
	.protected	_ZN7rocprim17ROCPRIM_400000_NS6detail17trampoline_kernelINS0_14default_configENS1_38merge_sort_block_merge_config_selectorIhNS0_10empty_typeEEEZZNS1_27merge_sort_block_merge_implIS3_PhPS5_jNS1_19radix_merge_compareILb1ELb1EhNS0_19identity_decomposerEEEEE10hipError_tT0_T1_T2_jT3_P12ihipStream_tbPNSt15iterator_traitsISE_E10value_typeEPNSK_ISF_E10value_typeEPSG_NS1_7vsmem_tEENKUlT_SE_SF_SG_E_clIS8_S8_S9_S9_EESD_ST_SE_SF_SG_EUlST_E0_NS1_11comp_targetILNS1_3genE0ELNS1_11target_archE4294967295ELNS1_3gpuE0ELNS1_3repE0EEENS1_38merge_mergepath_config_static_selectorELNS0_4arch9wavefront6targetE0EEEvSF_ ; -- Begin function _ZN7rocprim17ROCPRIM_400000_NS6detail17trampoline_kernelINS0_14default_configENS1_38merge_sort_block_merge_config_selectorIhNS0_10empty_typeEEEZZNS1_27merge_sort_block_merge_implIS3_PhPS5_jNS1_19radix_merge_compareILb1ELb1EhNS0_19identity_decomposerEEEEE10hipError_tT0_T1_T2_jT3_P12ihipStream_tbPNSt15iterator_traitsISE_E10value_typeEPNSK_ISF_E10value_typeEPSG_NS1_7vsmem_tEENKUlT_SE_SF_SG_E_clIS8_S8_S9_S9_EESD_ST_SE_SF_SG_EUlST_E0_NS1_11comp_targetILNS1_3genE0ELNS1_11target_archE4294967295ELNS1_3gpuE0ELNS1_3repE0EEENS1_38merge_mergepath_config_static_selectorELNS0_4arch9wavefront6targetE0EEEvSF_
	.globl	_ZN7rocprim17ROCPRIM_400000_NS6detail17trampoline_kernelINS0_14default_configENS1_38merge_sort_block_merge_config_selectorIhNS0_10empty_typeEEEZZNS1_27merge_sort_block_merge_implIS3_PhPS5_jNS1_19radix_merge_compareILb1ELb1EhNS0_19identity_decomposerEEEEE10hipError_tT0_T1_T2_jT3_P12ihipStream_tbPNSt15iterator_traitsISE_E10value_typeEPNSK_ISF_E10value_typeEPSG_NS1_7vsmem_tEENKUlT_SE_SF_SG_E_clIS8_S8_S9_S9_EESD_ST_SE_SF_SG_EUlST_E0_NS1_11comp_targetILNS1_3genE0ELNS1_11target_archE4294967295ELNS1_3gpuE0ELNS1_3repE0EEENS1_38merge_mergepath_config_static_selectorELNS0_4arch9wavefront6targetE0EEEvSF_
	.p2align	8
	.type	_ZN7rocprim17ROCPRIM_400000_NS6detail17trampoline_kernelINS0_14default_configENS1_38merge_sort_block_merge_config_selectorIhNS0_10empty_typeEEEZZNS1_27merge_sort_block_merge_implIS3_PhPS5_jNS1_19radix_merge_compareILb1ELb1EhNS0_19identity_decomposerEEEEE10hipError_tT0_T1_T2_jT3_P12ihipStream_tbPNSt15iterator_traitsISE_E10value_typeEPNSK_ISF_E10value_typeEPSG_NS1_7vsmem_tEENKUlT_SE_SF_SG_E_clIS8_S8_S9_S9_EESD_ST_SE_SF_SG_EUlST_E0_NS1_11comp_targetILNS1_3genE0ELNS1_11target_archE4294967295ELNS1_3gpuE0ELNS1_3repE0EEENS1_38merge_mergepath_config_static_selectorELNS0_4arch9wavefront6targetE0EEEvSF_,@function
_ZN7rocprim17ROCPRIM_400000_NS6detail17trampoline_kernelINS0_14default_configENS1_38merge_sort_block_merge_config_selectorIhNS0_10empty_typeEEEZZNS1_27merge_sort_block_merge_implIS3_PhPS5_jNS1_19radix_merge_compareILb1ELb1EhNS0_19identity_decomposerEEEEE10hipError_tT0_T1_T2_jT3_P12ihipStream_tbPNSt15iterator_traitsISE_E10value_typeEPNSK_ISF_E10value_typeEPSG_NS1_7vsmem_tEENKUlT_SE_SF_SG_E_clIS8_S8_S9_S9_EESD_ST_SE_SF_SG_EUlST_E0_NS1_11comp_targetILNS1_3genE0ELNS1_11target_archE4294967295ELNS1_3gpuE0ELNS1_3repE0EEENS1_38merge_mergepath_config_static_selectorELNS0_4arch9wavefront6targetE0EEEvSF_: ; @_ZN7rocprim17ROCPRIM_400000_NS6detail17trampoline_kernelINS0_14default_configENS1_38merge_sort_block_merge_config_selectorIhNS0_10empty_typeEEEZZNS1_27merge_sort_block_merge_implIS3_PhPS5_jNS1_19radix_merge_compareILb1ELb1EhNS0_19identity_decomposerEEEEE10hipError_tT0_T1_T2_jT3_P12ihipStream_tbPNSt15iterator_traitsISE_E10value_typeEPNSK_ISF_E10value_typeEPSG_NS1_7vsmem_tEENKUlT_SE_SF_SG_E_clIS8_S8_S9_S9_EESD_ST_SE_SF_SG_EUlST_E0_NS1_11comp_targetILNS1_3genE0ELNS1_11target_archE4294967295ELNS1_3gpuE0ELNS1_3repE0EEENS1_38merge_mergepath_config_static_selectorELNS0_4arch9wavefront6targetE0EEEvSF_
; %bb.0:
	s_bfe_u32 s2, ttmp6, 0x40010
	s_and_b32 s4, ttmp7, 0xffff
	s_add_co_i32 s5, s2, 1
	s_clause 0x1
	s_load_b32 s6, s[0:1], 0x30
	s_load_b64 s[2:3], s[0:1], 0x40
	s_bfe_u32 s8, ttmp6, 0x4000c
	s_mul_i32 s5, s4, s5
	s_bfe_u32 s7, ttmp6, 0x40004
	s_add_co_i32 s8, s8, 1
	s_bfe_u32 s9, ttmp6, 0x40014
	s_add_co_i32 s7, s7, s5
	s_and_b32 s5, ttmp6, 15
	s_mul_i32 s8, ttmp9, s8
	s_lshr_b32 s10, ttmp7, 16
	s_add_co_i32 s9, s9, 1
	s_add_co_i32 s5, s5, s8
	s_mul_i32 s8, s10, s9
	s_bfe_u32 s9, ttmp6, 0x40008
	s_getreg_b32 s11, hwreg(HW_REG_IB_STS2, 6, 4)
	s_add_co_i32 s9, s9, s8
	s_cmp_eq_u32 s11, 0
	s_cselect_b32 s8, s10, s9
	s_cselect_b32 s4, s4, s7
	s_wait_kmcnt 0x0
	s_mul_i32 s8, s3, s8
	s_cselect_b32 s3, ttmp9, s5
	s_add_co_i32 s4, s8, s4
	s_mov_b32 s5, 0
	s_mul_i32 s4, s4, s2
	s_delay_alu instid0(SALU_CYCLE_1) | instskip(NEXT) | instid1(SALU_CYCLE_1)
	s_add_co_i32 s4, s4, s3
	s_cmp_ge_u32 s4, s6
	s_cbranch_scc1 .LBB66_49
; %bb.1:
	v_mov_b32_e32 v1, 0
	s_add_nc_u64 s[6:7], s[0:1], 64
	global_load_b32 v2, v1, s[6:7] offset:14
	s_clause 0x2
	s_load_b64 s[8:9], s[0:1], 0x28
	s_load_b64 s[10:11], s[0:1], 0x38
	;; [unrolled: 1-line block ×3, first 2 shown]
	s_wait_kmcnt 0x0
	s_lshr_b32 s20, s8, 10
	s_delay_alu instid0(SALU_CYCLE_1) | instskip(SKIP_2) | instid1(SALU_CYCLE_1)
	s_cmp_lg_u32 s4, s20
	s_cselect_b32 s14, -1, 0
	s_lshl_b64 s[16:17], s[4:5], 2
	s_add_nc_u64 s[10:11], s[10:11], s[16:17]
	s_load_b64 s[16:17], s[10:11], 0x0
	s_wait_xcnt 0x0
	s_lshr_b32 s10, s9, 9
	s_delay_alu instid0(SALU_CYCLE_1) | instskip(NEXT) | instid1(SALU_CYCLE_1)
	s_and_b32 s10, s10, 0x7ffffe
	s_sub_co_i32 s11, 0, s10
	s_lshl_b32 s10, s4, 10
	s_and_b32 s15, s4, s11
	s_or_b32 s11, s4, s11
	s_lshl_b32 s18, s15, 11
	s_lshl_b32 s15, s15, 10
	s_add_co_i32 s18, s18, s9
	s_sub_co_i32 s19, s10, s15
	s_sub_co_i32 s15, s18, s15
	s_add_co_i32 s18, s18, s19
	s_min_u32 s19, s8, s15
	s_add_co_i32 s15, s15, s9
	s_wait_kmcnt 0x0
	s_sub_co_i32 s9, s18, s16
	s_sub_co_i32 s21, s18, s17
	s_min_u32 s18, s8, s9
	s_addk_co_i32 s21, 0x400
	s_cmp_eq_u32 s11, -1
	s_cselect_b32 s9, s15, s21
	s_cselect_b32 s11, s19, s17
	s_min_u32 s15, s9, s8
	s_sub_co_i32 s9, s11, s16
	s_sub_co_i32 s15, s15, s18
	s_cmp_lt_u32 s3, s2
	s_mov_b32 s3, s5
	s_cselect_b32 s2, 12, 18
	s_mov_b32 s17, s5
	s_add_nc_u64 s[2:3], s[6:7], s[2:3]
	s_mov_b32 s19, s5
	s_load_u16 s2, s[2:3], 0x0
	s_add_nc_u64 s[6:7], s[12:13], s[16:17]
	s_cmp_eq_u32 s4, s20
	s_add_nc_u64 s[12:13], s[12:13], s[18:19]
	s_wait_loadcnt 0x0
	v_lshrrev_b32_e32 v3, 16, v2
	v_and_b32_e32 v2, 0xffff, v2
	s_delay_alu instid0(VALU_DEP_1) | instskip(SKIP_1) | instid1(VALU_DEP_1)
	v_mul_lo_u32 v2, v2, v3
	s_wait_kmcnt 0x0
	v_mul_lo_u32 v8, v2, s2
	s_mov_b32 s2, -1
	s_delay_alu instid0(VALU_DEP_1) | instskip(NEXT) | instid1(VALU_DEP_1)
	v_add_nc_u32_e32 v6, v8, v0
	v_add_nc_u32_e32 v4, v6, v8
	s_cbranch_scc1 .LBB66_3
; %bb.2:
	v_sub_co_u32 v10, vcc_lo, v0, s9
	v_dual_mov_b32 v11, v1 :: v_dual_mov_b32 v7, v1
	v_add_nc_u64_e32 v[2:3], s[6:7], v[0:1]
	v_sub_co_u32 v14, s2, v6, s9
	s_delay_alu instid0(VALU_DEP_3) | instskip(SKIP_3) | instid1(VALU_DEP_3)
	v_add_nc_u64_e32 v[10:11], s[12:13], v[10:11]
	v_dual_mov_b32 v15, v1 :: v_dual_mov_b32 v5, v1
	v_add_nc_u64_e32 v[12:13], s[6:7], v[6:7]
	v_dual_mov_b32 v17, v1 :: v_dual_add_nc_u32 v18, v4, v8
	v_add_nc_u64_e32 v[14:15], s[12:13], v[14:15]
	v_dual_cndmask_b32 v3, v11, v3 :: v_dual_cndmask_b32 v2, v10, v2
	v_sub_co_u32 v16, vcc_lo, v4, s9
	v_add_nc_u64_e32 v[10:11], s[6:7], v[4:5]
	s_delay_alu instid0(VALU_DEP_4) | instskip(SKIP_1) | instid1(VALU_DEP_4)
	v_dual_mov_b32 v19, v1 :: v_dual_cndmask_b32 v13, v15, v13, s2
	v_dual_cndmask_b32 v12, v14, v12, s2 :: v_dual_mov_b32 v25, v1
	v_add_nc_u64_e32 v[14:15], s[12:13], v[16:17]
	v_add_nc_u32_e32 v16, v18, v8
	s_delay_alu instid0(VALU_DEP_4)
	v_add_nc_u64_e32 v[20:21], s[6:7], v[18:19]
	v_sub_co_u32 v18, s2, v18, s9
	s_add_co_i32 s11, s15, s9
	v_dual_mov_b32 v27, v1 :: v_dual_cndmask_b32 v11, v15, v11, vcc_lo
	v_add_nc_u64_e32 v[22:23], s[6:7], v[16:17]
	v_sub_co_u32 v24, s3, v16, s9
	v_dual_add_nc_u32 v16, v16, v8 :: v_dual_cndmask_b32 v10, v14, v10, vcc_lo
	v_mov_b32_e32 v29, v1
	v_add_nc_u64_e32 v[14:15], s[12:13], v[18:19]
	s_delay_alu instid0(VALU_DEP_4) | instskip(NEXT) | instid1(VALU_DEP_4)
	v_add_nc_u64_e32 v[18:19], s[12:13], v[24:25]
	v_add_nc_u32_e32 v26, v16, v8
	v_add_nc_u64_e32 v[24:25], s[6:7], v[16:17]
	v_sub_co_u32 v16, vcc_lo, v16, s9
	s_delay_alu instid0(VALU_DEP_3) | instskip(SKIP_2) | instid1(VALU_DEP_4)
	v_add_nc_u32_e32 v28, v26, v8
	v_add_nc_u64_e32 v[30:31], s[6:7], v[26:27]
	v_sub_co_u32 v26, s4, v26, s9
	v_add_nc_u64_e32 v[16:17], s[12:13], v[16:17]
	s_delay_alu instid0(VALU_DEP_4) | instskip(SKIP_3) | instid1(VALU_DEP_3)
	v_add_nc_u64_e32 v[32:33], s[6:7], v[28:29]
	v_sub_co_u32 v28, s5, v28, s9
	v_dual_cndmask_b32 v15, v15, v21, s2 :: v_dual_cndmask_b32 v14, v14, v20, s2
	v_add_nc_u64_e32 v[26:27], s[12:13], v[26:27]
	v_add_nc_u64_e32 v[20:21], s[12:13], v[28:29]
	v_dual_cndmask_b32 v19, v19, v23, s3 :: v_dual_cndmask_b32 v18, v18, v22, s3
	v_dual_cndmask_b32 v17, v17, v25 :: v_dual_cndmask_b32 v16, v16, v24
	s_delay_alu instid0(VALU_DEP_4) | instskip(NEXT) | instid1(VALU_DEP_4)
	v_dual_cndmask_b32 v23, v27, v31, s4 :: v_dual_cndmask_b32 v22, v26, v30, s4
	v_dual_cndmask_b32 v21, v21, v33, s5 :: v_dual_cndmask_b32 v20, v20, v32, s5
	global_load_u8 v1, v[2:3], off
	global_load_u8 v5, v[12:13], off
	;; [unrolled: 1-line block ×8, first 2 shown]
	s_wait_loadcnt 0x6
	v_perm_b32 v1, v1, v5, 0xc0c0004
	s_wait_loadcnt 0x4
	v_perm_b32 v2, v7, v9, 0xc0c0004
	;; [unrolled: 2-line block ×4, first 2 shown]
	v_lshl_or_b32 v2, v2, 16, v1
	s_delay_alu instid0(VALU_DEP_2)
	v_lshl_or_b32 v3, v5, 16, v3
	s_cbranch_execz .LBB66_4
	s_branch .LBB66_19
.LBB66_3:
                                        ; implicit-def: $vgpr2_vgpr3
                                        ; implicit-def: $sgpr11
	s_and_not1_b32 vcc_lo, exec_lo, s2
	s_cbranch_vccnz .LBB66_19
.LBB66_4:
	v_mov_b64_e32 v[2:3], 0
	s_add_co_i32 s11, s15, s9
	s_mov_b32 s2, exec_lo
	v_cmpx_gt_u32_e64 s11, v0
	s_cbranch_execnz .LBB66_50
; %bb.5:
	s_or_b32 exec_lo, exec_lo, s2
	s_delay_alu instid0(SALU_CYCLE_1)
	s_mov_b32 s2, exec_lo
	v_cmpx_gt_u32_e64 s11, v6
	s_cbranch_execnz .LBB66_51
.LBB66_6:
	s_or_b32 exec_lo, exec_lo, s2
	s_delay_alu instid0(SALU_CYCLE_1)
	s_mov_b32 s2, exec_lo
	v_cmpx_gt_u32_e64 s11, v4
	s_cbranch_execz .LBB66_8
.LBB66_7:
	v_sub_co_u32 v10, vcc_lo, v4, s9
	v_mov_b32_e32 v5, 0
	s_delay_alu instid0(VALU_DEP_1) | instskip(SKIP_1) | instid1(VALU_DEP_1)
	v_add_nc_u64_e32 v[6:7], s[6:7], v[4:5]
	v_mov_b32_e32 v11, v5
	v_add_nc_u64_e32 v[10:11], s[12:13], v[10:11]
	s_delay_alu instid0(VALU_DEP_1) | instskip(SKIP_3) | instid1(VALU_DEP_1)
	v_dual_cndmask_b32 v7, v11, v7 :: v_dual_cndmask_b32 v6, v10, v6
	global_load_u8 v1, v[6:7], off
	s_wait_loadcnt 0x0
	v_perm_b32 v1, v1, v2, 0xc0c0304
	v_lshlrev_b32_e32 v1, 16, v1
	s_delay_alu instid0(VALU_DEP_1)
	v_and_or_b32 v2, 0xffff, v2, v1
.LBB66_8:
	s_or_b32 exec_lo, exec_lo, s2
	v_add_nc_u32_e32 v4, v4, v8
	s_mov_b32 s2, exec_lo
	s_delay_alu instid0(VALU_DEP_1)
	v_cmpx_gt_u32_e64 s11, v4
	s_cbranch_execz .LBB66_10
; %bb.9:
	v_sub_co_u32 v10, vcc_lo, v4, s9
	v_mov_b32_e32 v5, 0
	s_delay_alu instid0(VALU_DEP_1) | instskip(SKIP_1) | instid1(VALU_DEP_1)
	v_add_nc_u64_e32 v[6:7], s[6:7], v[4:5]
	v_mov_b32_e32 v11, v5
	v_add_nc_u64_e32 v[10:11], s[12:13], v[10:11]
	s_delay_alu instid0(VALU_DEP_1) | instskip(SKIP_3) | instid1(VALU_DEP_1)
	v_dual_cndmask_b32 v7, v11, v7 :: v_dual_cndmask_b32 v6, v10, v6
	global_load_u8 v1, v[6:7], off
	s_wait_loadcnt 0x0
	v_perm_b32 v1, v2, v1, 0xc0c0006
	v_lshlrev_b32_e32 v1, 16, v1
	s_delay_alu instid0(VALU_DEP_1)
	v_and_or_b32 v2, 0xffff, v2, v1
.LBB66_10:
	s_or_b32 exec_lo, exec_lo, s2
	v_add_nc_u32_e32 v4, v4, v8
	s_mov_b32 s2, exec_lo
	s_delay_alu instid0(VALU_DEP_1)
	v_cmpx_gt_u32_e64 s11, v4
	s_cbranch_execz .LBB66_12
; %bb.11:
	v_sub_co_u32 v10, vcc_lo, v4, s9
	v_mov_b32_e32 v5, 0
	s_delay_alu instid0(VALU_DEP_1) | instskip(SKIP_1) | instid1(VALU_DEP_1)
	v_add_nc_u64_e32 v[6:7], s[6:7], v[4:5]
	v_mov_b32_e32 v11, v5
	v_add_nc_u64_e32 v[10:11], s[12:13], v[10:11]
	s_delay_alu instid0(VALU_DEP_1)
	v_dual_cndmask_b32 v7, v11, v7 :: v_dual_cndmask_b32 v6, v10, v6
	global_load_u8 v1, v[6:7], off
	s_wait_loadcnt 0x0
	v_perm_b32 v3, v1, v3, 0x3020104
.LBB66_12:
	s_or_b32 exec_lo, exec_lo, s2
	v_add_nc_u32_e32 v4, v4, v8
	s_mov_b32 s2, exec_lo
	s_delay_alu instid0(VALU_DEP_1)
	v_cmpx_gt_u32_e64 s11, v4
	s_cbranch_execz .LBB66_14
; %bb.13:
	v_sub_co_u32 v10, vcc_lo, v4, s9
	v_mov_b32_e32 v5, 0
	s_delay_alu instid0(VALU_DEP_1) | instskip(SKIP_1) | instid1(VALU_DEP_1)
	v_add_nc_u64_e32 v[6:7], s[6:7], v[4:5]
	v_mov_b32_e32 v11, v5
	v_add_nc_u64_e32 v[10:11], s[12:13], v[10:11]
	s_delay_alu instid0(VALU_DEP_1)
	v_dual_cndmask_b32 v7, v11, v7 :: v_dual_cndmask_b32 v6, v10, v6
	global_load_u8 v1, v[6:7], off
	s_wait_loadcnt 0x0
	v_perm_b32 v3, v3, v1, 0x7060004
.LBB66_14:
	;; [unrolled: 19-line block ×3, first 2 shown]
	s_or_b32 exec_lo, exec_lo, s2
	v_add_nc_u32_e32 v4, v4, v8
	s_mov_b32 s2, exec_lo
	s_delay_alu instid0(VALU_DEP_1)
	v_cmpx_gt_u32_e64 s11, v4
	s_cbranch_execz .LBB66_18
; %bb.17:
	v_mov_b32_e32 v5, 0
	s_delay_alu instid0(VALU_DEP_1) | instskip(SKIP_1) | instid1(VALU_DEP_1)
	v_add_nc_u64_e32 v[6:7], s[6:7], v[4:5]
	v_sub_co_u32 v4, vcc_lo, v4, s9
	v_add_nc_u64_e32 v[4:5], s[12:13], v[4:5]
	s_delay_alu instid0(VALU_DEP_1)
	v_dual_cndmask_b32 v5, v5, v7 :: v_dual_cndmask_b32 v4, v4, v6
	global_load_u8 v1, v[4:5], off
	s_wait_loadcnt 0x0
	v_perm_b32 v3, v3, v1, 0x60504
.LBB66_18:
	s_or_b32 exec_lo, exec_lo, s2
.LBB66_19:
	s_clause 0x1
	s_load_b64 s[12:13], s[0:1], 0x10
	s_load_b32 s16, s[0:1], 0x34
	v_dual_lshlrev_b32 v6, 3, v0 :: v_dual_lshrrev_b32 v7, 8, v2
	v_lshrrev_b64 v[4:5], 24, v[2:3]
	v_dual_lshrrev_b32 v8, 16, v2 :: v_dual_lshrrev_b32 v5, 8, v3
	s_delay_alu instid0(VALU_DEP_3)
	v_min_u32_e32 v1, s11, v6
	v_dual_lshrrev_b32 v9, 16, v3 :: v_dual_lshrrev_b32 v11, 24, v3
	s_wait_xcnt 0x0
	s_mov_b32 s0, exec_lo
	ds_store_b8 v0, v2
	ds_store_b8 v0, v7 offset:128
	ds_store_b8 v0, v8 offset:256
	;; [unrolled: 1-line block ×7, first 2 shown]
	v_sub_nc_u32_e64 v10, v1, s15 clamp
	v_min_u32_e32 v12, s9, v1
	s_wait_dscnt 0x0
	s_barrier_signal -1
	s_barrier_wait -1
	s_delay_alu instid0(VALU_DEP_1)
	v_cmpx_lt_u32_e64 v10, v12
	s_cbranch_execz .LBB66_23
; %bb.20:
	v_add_nc_u32_e32 v13, s9, v1
	s_mov_b32 s1, 0
.LBB66_21:                              ; =>This Inner Loop Header: Depth=1
	v_add_nc_u32_e32 v14, v12, v10
	s_delay_alu instid0(VALU_DEP_1) | instskip(NEXT) | instid1(VALU_DEP_1)
	v_lshrrev_b32_e32 v14, 1, v14
	v_xad_u32 v15, v14, -1, v13
	ds_load_u8 v16, v14
	ds_load_u8 v15, v15
	s_wait_dscnt 0x1
	s_wait_kmcnt 0x0
	v_bitop3_b16 v16, v16, 0xff, s16 bitop3:0x80
	s_wait_dscnt 0x0
	v_bitop3_b16 v15, v15, 0xff, s16 bitop3:0x80
	s_delay_alu instid0(VALU_DEP_1) | instskip(SKIP_1) | instid1(VALU_DEP_1)
	v_cmp_gt_u16_e32 vcc_lo, v15, v16
	v_dual_cndmask_b32 v12, v12, v14 :: v_dual_add_nc_u32 v17, 1, v14
	v_cndmask_b32_e32 v10, v17, v10, vcc_lo
	s_delay_alu instid0(VALU_DEP_1) | instskip(SKIP_1) | instid1(SALU_CYCLE_1)
	v_cmp_ge_u32_e32 vcc_lo, v10, v12
	s_or_b32 s1, vcc_lo, s1
	s_and_not1_b32 exec_lo, exec_lo, s1
	s_cbranch_execnz .LBB66_21
; %bb.22:
	s_or_b32 exec_lo, exec_lo, s1
.LBB66_23:
	s_delay_alu instid0(SALU_CYCLE_1) | instskip(SKIP_2) | instid1(VALU_DEP_2)
	s_or_b32 exec_lo, exec_lo, s0
	v_sub_nc_u32_e32 v1, v1, v10
	v_cmp_ge_u32_e32 vcc_lo, s9, v10
	v_add_nc_u32_e32 v12, s9, v1
	s_delay_alu instid0(VALU_DEP_1) | instskip(SKIP_1) | instid1(SALU_CYCLE_1)
	v_cmp_ge_u32_e64 s0, s11, v12
	s_or_b32 s0, vcc_lo, s0
	s_and_saveexec_b32 s15, s0
	s_cbranch_execz .LBB66_29
; %bb.24:
	v_cmp_gt_u32_e32 vcc_lo, s9, v10
                                        ; implicit-def: $vgpr1
	s_and_saveexec_b32 s0, vcc_lo
; %bb.25:
	ds_load_u8 v1, v10
; %bb.26:
	s_or_b32 exec_lo, exec_lo, s0
	v_cmp_le_u32_e64 s0, s11, v12
	s_mov_b32 s2, exec_lo
                                        ; implicit-def: $vgpr2
	v_cmpx_gt_u32_e64 s11, v12
; %bb.27:
	ds_load_u8 v2, v12
; %bb.28:
	s_or_b32 exec_lo, exec_lo, s2
	s_wait_dscnt 0x0
	s_wait_kmcnt 0x0
	v_bitop3_b16 v3, v2, 0xff, s16 bitop3:0x80
	v_bitop3_b16 v4, v1, 0xff, s16 bitop3:0x80
	s_delay_alu instid0(VALU_DEP_1) | instskip(SKIP_1) | instid1(SALU_CYCLE_1)
	v_cmp_le_u16_e64 s1, v3, v4
	s_and_b32 s1, vcc_lo, s1
	s_or_b32 vcc_lo, s0, s1
	v_dual_mov_b32 v3, s9 :: v_dual_cndmask_b32 v4, v12, v10
	s_delay_alu instid0(VALU_DEP_1) | instskip(NEXT) | instid1(VALU_DEP_1)
	v_dual_cndmask_b32 v5, s11, v3 :: v_dual_add_nc_u32 v4, 1, v4
	v_add_min_u32_e64 v5, v5, -1, v4
	v_cndmask_b32_e32 v8, v10, v4, vcc_lo
	v_cndmask_b32_e32 v4, v4, v12, vcc_lo
	ds_load_u8 v5, v5
	v_cmp_gt_u32_e64 s0, s9, v8
	v_cmp_le_u32_e64 s2, s11, v4
	s_wait_dscnt 0x0
	v_cndmask_b32_e32 v7, v5, v2, vcc_lo
	v_cndmask_b32_e32 v5, v1, v5, vcc_lo
	;; [unrolled: 1-line block ×3, first 2 shown]
	s_delay_alu instid0(VALU_DEP_3) | instskip(NEXT) | instid1(VALU_DEP_3)
	v_bitop3_b16 v9, v7, 0xff, s16 bitop3:0x80
	v_bitop3_b16 v10, v5, 0xff, s16 bitop3:0x80
	s_delay_alu instid0(VALU_DEP_1) | instskip(SKIP_1) | instid1(SALU_CYCLE_1)
	v_cmp_le_u16_e64 s1, v9, v10
	s_and_b32 s0, s0, s1
	s_or_b32 s0, s2, s0
	s_delay_alu instid0(SALU_CYCLE_1) | instskip(NEXT) | instid1(VALU_DEP_1)
	v_cndmask_b32_e64 v9, v4, v8, s0
	v_dual_cndmask_b32 v10, s11, v3, s0 :: v_dual_add_nc_u32 v9, 1, v9
	s_delay_alu instid0(VALU_DEP_1)
	v_add_min_u32_e64 v10, v10, -1, v9
	v_dual_cndmask_b32 v8, v8, v9, s0 :: v_dual_cndmask_b32 v4, v9, v4, s0
	ds_load_u8 v10, v10
	v_cmp_gt_u32_e64 s1, s9, v8
	v_cmp_le_u32_e64 s3, s11, v4
	s_wait_dscnt 0x0
	v_dual_cndmask_b32 v11, v10, v7, s0 :: v_dual_cndmask_b32 v10, v5, v10, s0
	v_cndmask_b32_e64 v7, v7, v5, s0
	s_delay_alu instid0(VALU_DEP_2) | instskip(NEXT) | instid1(VALU_DEP_3)
	v_bitop3_b16 v12, v11, 0xff, s16 bitop3:0x80
	v_bitop3_b16 v13, v10, 0xff, s16 bitop3:0x80
	s_delay_alu instid0(VALU_DEP_1) | instskip(SKIP_1) | instid1(SALU_CYCLE_1)
	v_cmp_le_u16_e64 s2, v12, v13
	s_and_b32 s1, s1, s2
	s_or_b32 s1, s3, s1
	s_delay_alu instid0(SALU_CYCLE_1) | instskip(NEXT) | instid1(VALU_DEP_1)
	v_cndmask_b32_e64 v9, v4, v8, s1
	v_dual_cndmask_b32 v12, s11, v3, s1 :: v_dual_add_nc_u32 v9, 1, v9
	s_delay_alu instid0(VALU_DEP_1)
	v_add_min_u32_e64 v12, v12, -1, v9
	v_dual_cndmask_b32 v8, v8, v9, s1 :: v_dual_cndmask_b32 v4, v9, v4, s1
	ds_load_u8 v12, v12
	v_cmp_gt_u32_e64 s2, s9, v8
	v_cmp_le_u32_e64 s4, s11, v4
	s_wait_dscnt 0x0
	v_dual_cndmask_b32 v13, v12, v11, s1 :: v_dual_cndmask_b32 v12, v10, v12, s1
	s_delay_alu instid0(VALU_DEP_1) | instskip(NEXT) | instid1(VALU_DEP_2)
	v_bitop3_b16 v14, v13, 0xff, s16 bitop3:0x80
	v_bitop3_b16 v15, v12, 0xff, s16 bitop3:0x80
	s_delay_alu instid0(VALU_DEP_1) | instskip(SKIP_1) | instid1(SALU_CYCLE_1)
	v_cmp_le_u16_e64 s3, v14, v15
	s_and_b32 s2, s2, s3
	s_or_b32 s2, s4, s2
	s_delay_alu instid0(SALU_CYCLE_1) | instskip(NEXT) | instid1(VALU_DEP_1)
	v_cndmask_b32_e64 v9, v4, v8, s2
	v_dual_cndmask_b32 v14, s11, v3, s2 :: v_dual_add_nc_u32 v9, 1, v9
	s_delay_alu instid0(VALU_DEP_1)
	v_add_min_u32_e64 v14, v14, -1, v9
	v_cndmask_b32_e64 v4, v9, v4, s2
	ds_load_u8 v14, v14
	v_cmp_le_u32_e64 s5, s11, v4
	s_wait_dscnt 0x0
	v_dual_cndmask_b32 v15, v14, v13, s2 :: v_dual_cndmask_b32 v14, v12, v14, s2
	v_cndmask_b32_e64 v8, v8, v9, s2
	s_delay_alu instid0(VALU_DEP_2) | instskip(NEXT) | instid1(VALU_DEP_3)
	v_bitop3_b16 v16, v15, 0xff, s16 bitop3:0x80
	v_bitop3_b16 v17, v14, 0xff, s16 bitop3:0x80
	s_delay_alu instid0(VALU_DEP_3) | instskip(NEXT) | instid1(VALU_DEP_2)
	v_cmp_gt_u32_e64 s3, s9, v8
	v_cmp_le_u16_e64 s4, v16, v17
	s_and_b32 s3, s3, s4
	s_delay_alu instid0(SALU_CYCLE_1) | instskip(NEXT) | instid1(SALU_CYCLE_1)
	s_or_b32 s3, s5, s3
	v_cndmask_b32_e64 v9, v4, v8, s3
	s_delay_alu instid0(VALU_DEP_1) | instskip(NEXT) | instid1(VALU_DEP_1)
	v_dual_cndmask_b32 v16, s11, v3, s3 :: v_dual_add_nc_u32 v9, 1, v9
	v_add_min_u32_e64 v16, v16, -1, v9
	v_cndmask_b32_e64 v4, v9, v4, s3
	ds_load_u8 v16, v16
	v_cmp_le_u32_e64 s6, s11, v4
	s_wait_dscnt 0x0
	v_dual_cndmask_b32 v17, v16, v15, s3 :: v_dual_cndmask_b32 v16, v14, v16, s3
	v_cndmask_b32_e64 v8, v8, v9, s3
	s_delay_alu instid0(VALU_DEP_2) | instskip(NEXT) | instid1(VALU_DEP_3)
	v_bitop3_b16 v18, v17, 0xff, s16 bitop3:0x80
	v_bitop3_b16 v19, v16, 0xff, s16 bitop3:0x80
	s_delay_alu instid0(VALU_DEP_3) | instskip(NEXT) | instid1(VALU_DEP_2)
	v_cmp_gt_u32_e64 s4, s9, v8
	v_cmp_le_u16_e64 s5, v18, v19
	s_and_b32 s4, s4, s5
	s_delay_alu instid0(SALU_CYCLE_1) | instskip(NEXT) | instid1(SALU_CYCLE_1)
	s_or_b32 s4, s6, s4
	v_cndmask_b32_e64 v9, v4, v8, s4
	s_delay_alu instid0(VALU_DEP_1) | instskip(NEXT) | instid1(VALU_DEP_1)
	v_dual_cndmask_b32 v18, s11, v3, s4 :: v_dual_add_nc_u32 v9, 1, v9
	v_add_min_u32_e64 v18, v18, -1, v9
	v_dual_cndmask_b32 v4, v9, v4, s4 :: v_dual_cndmask_b32 v8, v8, v9, s4
	ds_load_u8 v18, v18
	v_cmp_le_u32_e64 s7, s11, v4
	v_cmp_gt_u32_e64 s5, s9, v8
	s_wait_dscnt 0x0
	v_dual_cndmask_b32 v19, v18, v17, s4 :: v_dual_cndmask_b32 v18, v16, v18, s4
	s_delay_alu instid0(VALU_DEP_1) | instskip(NEXT) | instid1(VALU_DEP_2)
	v_bitop3_b16 v20, v19, 0xff, s16 bitop3:0x80
	v_bitop3_b16 v21, v18, 0xff, s16 bitop3:0x80
	s_delay_alu instid0(VALU_DEP_1) | instskip(SKIP_1) | instid1(SALU_CYCLE_1)
	v_cmp_le_u16_e64 s6, v20, v21
	s_and_b32 s5, s5, s6
	s_or_b32 s5, s7, s5
	s_delay_alu instid0(SALU_CYCLE_1) | instskip(NEXT) | instid1(VALU_DEP_1)
	v_cndmask_b32_e64 v9, v4, v8, s5
	v_dual_cndmask_b32 v3, s11, v3, s5 :: v_dual_add_nc_u32 v9, 1, v9
	s_delay_alu instid0(VALU_DEP_1)
	v_add_min_u32_e64 v3, v3, -1, v9
	v_dual_cndmask_b32 v5, v9, v4, s5 :: v_dual_cndmask_b32 v1, v8, v9, s5
	v_dual_cndmask_b32 v8, v11, v10, s1 :: v_dual_cndmask_b32 v4, v13, v12, s2
	ds_load_u8 v3, v3
	v_cmp_le_u32_e64 s1, s11, v5
	v_cmp_gt_u32_e32 vcc_lo, s9, v1
	v_dual_cndmask_b32 v5, v17, v16, s4 :: v_dual_cndmask_b32 v9, v19, v18, s5
	s_wait_dscnt 0x0
	v_cndmask_b32_e64 v20, v3, v19, s5
	v_cndmask_b32_e64 v21, v18, v3, s5
	s_delay_alu instid0(VALU_DEP_2) | instskip(NEXT) | instid1(VALU_DEP_2)
	v_bitop3_b16 v3, v20, 0xff, s16 bitop3:0x80
	v_bitop3_b16 v22, v21, 0xff, s16 bitop3:0x80
	s_delay_alu instid0(VALU_DEP_1) | instskip(SKIP_2) | instid1(SALU_CYCLE_1)
	v_cmp_le_u16_e64 s0, v3, v22
	v_cndmask_b32_e64 v3, v15, v14, s3
	s_and_b32 s0, vcc_lo, s0
	s_or_b32 vcc_lo, s1, s0
	v_cndmask_b32_e32 v11, v20, v21, vcc_lo
.LBB66_29:
	s_or_b32 exec_lo, exec_lo, s15
	v_dual_mov_b32 v1, 0 :: v_dual_lshrrev_b32 v10, 2, v0
	v_perm_b32 v3, v3, v5, 0xc0c0004
	s_delay_alu instid0(VALU_DEP_3) | instskip(SKIP_1) | instid1(VALU_DEP_4)
	v_perm_b32 v5, v9, v11, 0xc0c0004
	v_perm_b32 v2, v2, v7, 0xc0c0004
	v_and_b32_e32 v10, 28, v10
	v_perm_b32 v4, v8, v4, 0xc0c0004
	s_mov_b32 s11, 0
	v_lshl_or_b32 v3, v5, 16, v3
	s_wait_kmcnt 0x0
	s_add_nc_u64 s[0:1], s[12:13], s[10:11]
	v_lshl_or_b32 v2, v4, 16, v2
	v_dual_add_nc_u32 v4, 4, v0 :: v_dual_add_nc_u32 v6, v10, v6
	v_add_nc_u32_e32 v5, 8, v0
	s_barrier_signal -1
	s_barrier_wait -1
	s_barrier_signal -1
	s_barrier_wait -1
	ds_store_2addr_b32 v6, v2, v3 offset1:1
	v_add_nc_u64_e32 v[2:3], s[0:1], v[0:1]
	v_dual_add_nc_u32 v6, 12, v0 :: v_dual_add_nc_u32 v7, 16, v0
	v_dual_add_nc_u32 v8, 20, v0 :: v_dual_add_nc_u32 v9, 24, v0
	v_add_nc_u32_e32 v10, 28, v0
	s_and_b32 vcc_lo, exec_lo, s14
	s_wait_dscnt 0x0
	s_cbranch_vccz .LBB66_31
; %bb.30:
	s_barrier_signal -1
	s_barrier_wait -1
	ds_load_u8 v11, v0
	ds_load_u8 v12, v4 offset:128
	ds_load_u8 v13, v5 offset:256
	;; [unrolled: 1-line block ×7, first 2 shown]
	s_mov_b32 s11, -1
	s_wait_dscnt 0x7
	global_store_b8 v[2:3], v11, off
	s_wait_dscnt 0x6
	global_store_b8 v[2:3], v12, off offset:128
	s_wait_dscnt 0x5
	global_store_b8 v[2:3], v13, off offset:256
	;; [unrolled: 2-line block ×6, first 2 shown]
	s_cbranch_execz .LBB66_32
	s_branch .LBB66_47
.LBB66_31:
                                        ; implicit-def: $vgpr1
.LBB66_32:
	s_barrier_signal -1
	s_barrier_wait -1
	s_wait_storecnt_dscnt 0x0
	s_wait_xcnt 0x4
	ds_load_u8 v13, v4 offset:128
	ds_load_u8 v12, v5 offset:256
	ds_load_u8 v11, v6 offset:384
	ds_load_u8 v6, v7 offset:512
	ds_load_u8 v5, v8 offset:640
	ds_load_u8 v4, v9 offset:768
	ds_load_u8 v1, v10 offset:896
	v_or_b32_e32 v7, 0x80, v0
	s_sub_co_i32 s0, s8, s10
	s_mov_b32 s1, exec_lo
	s_wait_xcnt 0x0
	v_cmpx_gt_u32_e64 s0, v0
	s_cbranch_execz .LBB66_34
; %bb.33:
	ds_load_u8 v8, v0
	s_wait_dscnt 0x0
	global_store_b8 v[2:3], v8, off
.LBB66_34:
	s_wait_xcnt 0x0
	s_or_b32 exec_lo, exec_lo, s1
	v_or_b32_e32 v8, 0x100, v0
	s_mov_b32 s1, exec_lo
	v_cmpx_gt_u32_e64 s0, v7
	s_cbranch_execz .LBB66_36
; %bb.35:
	s_wait_dscnt 0x6
	global_store_b8 v[2:3], v13, off offset:128
.LBB66_36:
	s_wait_xcnt 0x0
	s_or_b32 exec_lo, exec_lo, s1
	v_or_b32_e32 v7, 0x180, v0
	s_mov_b32 s1, exec_lo
	v_cmpx_gt_u32_e64 s0, v8
	s_cbranch_execz .LBB66_38
; %bb.37:
	s_wait_dscnt 0x5
	global_store_b8 v[2:3], v12, off offset:256
.LBB66_38:
	;; [unrolled: 10-line block ×4, first 2 shown]
	s_wait_xcnt 0x0
	s_or_b32 exec_lo, exec_lo, s1
	s_wait_dscnt 0x3
	v_or_b32_e32 v6, 0x300, v0
	s_mov_b32 s1, exec_lo
	v_cmpx_gt_u32_e64 s0, v7
	s_cbranch_execz .LBB66_44
; %bb.43:
	s_wait_dscnt 0x2
	global_store_b8 v[2:3], v5, off offset:640
.LBB66_44:
	s_wait_xcnt 0x0
	s_or_b32 exec_lo, exec_lo, s1
	v_or_b32_e32 v0, 0x380, v0
	s_mov_b32 s1, exec_lo
	v_cmpx_gt_u32_e64 s0, v6
	s_cbranch_execz .LBB66_46
; %bb.45:
	s_wait_dscnt 0x1
	global_store_b8 v[2:3], v4, off offset:768
.LBB66_46:
	s_wait_xcnt 0x0
	s_or_b32 exec_lo, exec_lo, s1
	v_cmp_gt_u32_e64 s11, s0, v0
.LBB66_47:
	s_wait_xcnt 0x0
	s_delay_alu instid0(VALU_DEP_1)
	s_and_saveexec_b32 s0, s11
	s_cbranch_execz .LBB66_49
; %bb.48:
	s_wait_dscnt 0x0
	global_store_b8 v[2:3], v1, off offset:896
.LBB66_49:
	s_endpgm
.LBB66_50:
	v_sub_co_u32 v10, vcc_lo, v0, s9
	v_mov_b32_e32 v1, 0
	s_mov_b32 s3, 0
	s_delay_alu instid0(VALU_DEP_1) | instskip(SKIP_1) | instid1(VALU_DEP_1)
	v_add_nc_u64_e32 v[2:3], s[6:7], v[0:1]
	v_mov_b32_e32 v11, v1
	v_add_nc_u64_e32 v[10:11], s[12:13], v[10:11]
	s_delay_alu instid0(VALU_DEP_1)
	v_dual_cndmask_b32 v3, v11, v3 :: v_dual_cndmask_b32 v2, v10, v2
	global_load_u8 v1, v[2:3], off
	s_wait_xcnt 0x0
	v_mov_b32_e32 v3, s3
	s_wait_loadcnt 0x0
	v_and_b32_e32 v2, 0xffff, v1
	s_or_b32 exec_lo, exec_lo, s2
	s_delay_alu instid0(SALU_CYCLE_1)
	s_mov_b32 s2, exec_lo
	v_cmpx_gt_u32_e64 s11, v6
	s_cbranch_execz .LBB66_6
.LBB66_51:
	v_mov_b32_e32 v7, 0
	s_delay_alu instid0(VALU_DEP_1) | instskip(SKIP_1) | instid1(VALU_DEP_1)
	v_add_nc_u64_e32 v[10:11], s[6:7], v[6:7]
	v_sub_co_u32 v6, vcc_lo, v6, s9
	v_add_nc_u64_e32 v[6:7], s[12:13], v[6:7]
	s_delay_alu instid0(VALU_DEP_1) | instskip(SKIP_4) | instid1(SALU_CYCLE_1)
	v_dual_cndmask_b32 v7, v7, v11 :: v_dual_cndmask_b32 v6, v6, v10
	global_load_u8 v1, v[6:7], off
	s_wait_loadcnt 0x0
	v_perm_b32 v2, v2, v1, 0x7060004
	s_or_b32 exec_lo, exec_lo, s2
	s_mov_b32 s2, exec_lo
	v_cmpx_gt_u32_e64 s11, v4
	s_cbranch_execnz .LBB66_7
	s_branch .LBB66_8
	.section	.rodata,"a",@progbits
	.p2align	6, 0x0
	.amdhsa_kernel _ZN7rocprim17ROCPRIM_400000_NS6detail17trampoline_kernelINS0_14default_configENS1_38merge_sort_block_merge_config_selectorIhNS0_10empty_typeEEEZZNS1_27merge_sort_block_merge_implIS3_PhPS5_jNS1_19radix_merge_compareILb1ELb1EhNS0_19identity_decomposerEEEEE10hipError_tT0_T1_T2_jT3_P12ihipStream_tbPNSt15iterator_traitsISE_E10value_typeEPNSK_ISF_E10value_typeEPSG_NS1_7vsmem_tEENKUlT_SE_SF_SG_E_clIS8_S8_S9_S9_EESD_ST_SE_SF_SG_EUlST_E0_NS1_11comp_targetILNS1_3genE0ELNS1_11target_archE4294967295ELNS1_3gpuE0ELNS1_3repE0EEENS1_38merge_mergepath_config_static_selectorELNS0_4arch9wavefront6targetE0EEEvSF_
		.amdhsa_group_segment_fixed_size 1056
		.amdhsa_private_segment_fixed_size 0
		.amdhsa_kernarg_size 320
		.amdhsa_user_sgpr_count 2
		.amdhsa_user_sgpr_dispatch_ptr 0
		.amdhsa_user_sgpr_queue_ptr 0
		.amdhsa_user_sgpr_kernarg_segment_ptr 1
		.amdhsa_user_sgpr_dispatch_id 0
		.amdhsa_user_sgpr_kernarg_preload_length 0
		.amdhsa_user_sgpr_kernarg_preload_offset 0
		.amdhsa_user_sgpr_private_segment_size 0
		.amdhsa_wavefront_size32 1
		.amdhsa_uses_dynamic_stack 0
		.amdhsa_enable_private_segment 0
		.amdhsa_system_sgpr_workgroup_id_x 1
		.amdhsa_system_sgpr_workgroup_id_y 1
		.amdhsa_system_sgpr_workgroup_id_z 1
		.amdhsa_system_sgpr_workgroup_info 0
		.amdhsa_system_vgpr_workitem_id 0
		.amdhsa_next_free_vgpr 34
		.amdhsa_next_free_sgpr 22
		.amdhsa_named_barrier_count 0
		.amdhsa_reserve_vcc 1
		.amdhsa_float_round_mode_32 0
		.amdhsa_float_round_mode_16_64 0
		.amdhsa_float_denorm_mode_32 3
		.amdhsa_float_denorm_mode_16_64 3
		.amdhsa_fp16_overflow 0
		.amdhsa_memory_ordered 1
		.amdhsa_forward_progress 1
		.amdhsa_inst_pref_size 33
		.amdhsa_round_robin_scheduling 0
		.amdhsa_exception_fp_ieee_invalid_op 0
		.amdhsa_exception_fp_denorm_src 0
		.amdhsa_exception_fp_ieee_div_zero 0
		.amdhsa_exception_fp_ieee_overflow 0
		.amdhsa_exception_fp_ieee_underflow 0
		.amdhsa_exception_fp_ieee_inexact 0
		.amdhsa_exception_int_div_zero 0
	.end_amdhsa_kernel
	.section	.text._ZN7rocprim17ROCPRIM_400000_NS6detail17trampoline_kernelINS0_14default_configENS1_38merge_sort_block_merge_config_selectorIhNS0_10empty_typeEEEZZNS1_27merge_sort_block_merge_implIS3_PhPS5_jNS1_19radix_merge_compareILb1ELb1EhNS0_19identity_decomposerEEEEE10hipError_tT0_T1_T2_jT3_P12ihipStream_tbPNSt15iterator_traitsISE_E10value_typeEPNSK_ISF_E10value_typeEPSG_NS1_7vsmem_tEENKUlT_SE_SF_SG_E_clIS8_S8_S9_S9_EESD_ST_SE_SF_SG_EUlST_E0_NS1_11comp_targetILNS1_3genE0ELNS1_11target_archE4294967295ELNS1_3gpuE0ELNS1_3repE0EEENS1_38merge_mergepath_config_static_selectorELNS0_4arch9wavefront6targetE0EEEvSF_,"axG",@progbits,_ZN7rocprim17ROCPRIM_400000_NS6detail17trampoline_kernelINS0_14default_configENS1_38merge_sort_block_merge_config_selectorIhNS0_10empty_typeEEEZZNS1_27merge_sort_block_merge_implIS3_PhPS5_jNS1_19radix_merge_compareILb1ELb1EhNS0_19identity_decomposerEEEEE10hipError_tT0_T1_T2_jT3_P12ihipStream_tbPNSt15iterator_traitsISE_E10value_typeEPNSK_ISF_E10value_typeEPSG_NS1_7vsmem_tEENKUlT_SE_SF_SG_E_clIS8_S8_S9_S9_EESD_ST_SE_SF_SG_EUlST_E0_NS1_11comp_targetILNS1_3genE0ELNS1_11target_archE4294967295ELNS1_3gpuE0ELNS1_3repE0EEENS1_38merge_mergepath_config_static_selectorELNS0_4arch9wavefront6targetE0EEEvSF_,comdat
.Lfunc_end66:
	.size	_ZN7rocprim17ROCPRIM_400000_NS6detail17trampoline_kernelINS0_14default_configENS1_38merge_sort_block_merge_config_selectorIhNS0_10empty_typeEEEZZNS1_27merge_sort_block_merge_implIS3_PhPS5_jNS1_19radix_merge_compareILb1ELb1EhNS0_19identity_decomposerEEEEE10hipError_tT0_T1_T2_jT3_P12ihipStream_tbPNSt15iterator_traitsISE_E10value_typeEPNSK_ISF_E10value_typeEPSG_NS1_7vsmem_tEENKUlT_SE_SF_SG_E_clIS8_S8_S9_S9_EESD_ST_SE_SF_SG_EUlST_E0_NS1_11comp_targetILNS1_3genE0ELNS1_11target_archE4294967295ELNS1_3gpuE0ELNS1_3repE0EEENS1_38merge_mergepath_config_static_selectorELNS0_4arch9wavefront6targetE0EEEvSF_, .Lfunc_end66-_ZN7rocprim17ROCPRIM_400000_NS6detail17trampoline_kernelINS0_14default_configENS1_38merge_sort_block_merge_config_selectorIhNS0_10empty_typeEEEZZNS1_27merge_sort_block_merge_implIS3_PhPS5_jNS1_19radix_merge_compareILb1ELb1EhNS0_19identity_decomposerEEEEE10hipError_tT0_T1_T2_jT3_P12ihipStream_tbPNSt15iterator_traitsISE_E10value_typeEPNSK_ISF_E10value_typeEPSG_NS1_7vsmem_tEENKUlT_SE_SF_SG_E_clIS8_S8_S9_S9_EESD_ST_SE_SF_SG_EUlST_E0_NS1_11comp_targetILNS1_3genE0ELNS1_11target_archE4294967295ELNS1_3gpuE0ELNS1_3repE0EEENS1_38merge_mergepath_config_static_selectorELNS0_4arch9wavefront6targetE0EEEvSF_
                                        ; -- End function
	.set _ZN7rocprim17ROCPRIM_400000_NS6detail17trampoline_kernelINS0_14default_configENS1_38merge_sort_block_merge_config_selectorIhNS0_10empty_typeEEEZZNS1_27merge_sort_block_merge_implIS3_PhPS5_jNS1_19radix_merge_compareILb1ELb1EhNS0_19identity_decomposerEEEEE10hipError_tT0_T1_T2_jT3_P12ihipStream_tbPNSt15iterator_traitsISE_E10value_typeEPNSK_ISF_E10value_typeEPSG_NS1_7vsmem_tEENKUlT_SE_SF_SG_E_clIS8_S8_S9_S9_EESD_ST_SE_SF_SG_EUlST_E0_NS1_11comp_targetILNS1_3genE0ELNS1_11target_archE4294967295ELNS1_3gpuE0ELNS1_3repE0EEENS1_38merge_mergepath_config_static_selectorELNS0_4arch9wavefront6targetE0EEEvSF_.num_vgpr, 34
	.set _ZN7rocprim17ROCPRIM_400000_NS6detail17trampoline_kernelINS0_14default_configENS1_38merge_sort_block_merge_config_selectorIhNS0_10empty_typeEEEZZNS1_27merge_sort_block_merge_implIS3_PhPS5_jNS1_19radix_merge_compareILb1ELb1EhNS0_19identity_decomposerEEEEE10hipError_tT0_T1_T2_jT3_P12ihipStream_tbPNSt15iterator_traitsISE_E10value_typeEPNSK_ISF_E10value_typeEPSG_NS1_7vsmem_tEENKUlT_SE_SF_SG_E_clIS8_S8_S9_S9_EESD_ST_SE_SF_SG_EUlST_E0_NS1_11comp_targetILNS1_3genE0ELNS1_11target_archE4294967295ELNS1_3gpuE0ELNS1_3repE0EEENS1_38merge_mergepath_config_static_selectorELNS0_4arch9wavefront6targetE0EEEvSF_.num_agpr, 0
	.set _ZN7rocprim17ROCPRIM_400000_NS6detail17trampoline_kernelINS0_14default_configENS1_38merge_sort_block_merge_config_selectorIhNS0_10empty_typeEEEZZNS1_27merge_sort_block_merge_implIS3_PhPS5_jNS1_19radix_merge_compareILb1ELb1EhNS0_19identity_decomposerEEEEE10hipError_tT0_T1_T2_jT3_P12ihipStream_tbPNSt15iterator_traitsISE_E10value_typeEPNSK_ISF_E10value_typeEPSG_NS1_7vsmem_tEENKUlT_SE_SF_SG_E_clIS8_S8_S9_S9_EESD_ST_SE_SF_SG_EUlST_E0_NS1_11comp_targetILNS1_3genE0ELNS1_11target_archE4294967295ELNS1_3gpuE0ELNS1_3repE0EEENS1_38merge_mergepath_config_static_selectorELNS0_4arch9wavefront6targetE0EEEvSF_.numbered_sgpr, 22
	.set _ZN7rocprim17ROCPRIM_400000_NS6detail17trampoline_kernelINS0_14default_configENS1_38merge_sort_block_merge_config_selectorIhNS0_10empty_typeEEEZZNS1_27merge_sort_block_merge_implIS3_PhPS5_jNS1_19radix_merge_compareILb1ELb1EhNS0_19identity_decomposerEEEEE10hipError_tT0_T1_T2_jT3_P12ihipStream_tbPNSt15iterator_traitsISE_E10value_typeEPNSK_ISF_E10value_typeEPSG_NS1_7vsmem_tEENKUlT_SE_SF_SG_E_clIS8_S8_S9_S9_EESD_ST_SE_SF_SG_EUlST_E0_NS1_11comp_targetILNS1_3genE0ELNS1_11target_archE4294967295ELNS1_3gpuE0ELNS1_3repE0EEENS1_38merge_mergepath_config_static_selectorELNS0_4arch9wavefront6targetE0EEEvSF_.num_named_barrier, 0
	.set _ZN7rocprim17ROCPRIM_400000_NS6detail17trampoline_kernelINS0_14default_configENS1_38merge_sort_block_merge_config_selectorIhNS0_10empty_typeEEEZZNS1_27merge_sort_block_merge_implIS3_PhPS5_jNS1_19radix_merge_compareILb1ELb1EhNS0_19identity_decomposerEEEEE10hipError_tT0_T1_T2_jT3_P12ihipStream_tbPNSt15iterator_traitsISE_E10value_typeEPNSK_ISF_E10value_typeEPSG_NS1_7vsmem_tEENKUlT_SE_SF_SG_E_clIS8_S8_S9_S9_EESD_ST_SE_SF_SG_EUlST_E0_NS1_11comp_targetILNS1_3genE0ELNS1_11target_archE4294967295ELNS1_3gpuE0ELNS1_3repE0EEENS1_38merge_mergepath_config_static_selectorELNS0_4arch9wavefront6targetE0EEEvSF_.private_seg_size, 0
	.set _ZN7rocprim17ROCPRIM_400000_NS6detail17trampoline_kernelINS0_14default_configENS1_38merge_sort_block_merge_config_selectorIhNS0_10empty_typeEEEZZNS1_27merge_sort_block_merge_implIS3_PhPS5_jNS1_19radix_merge_compareILb1ELb1EhNS0_19identity_decomposerEEEEE10hipError_tT0_T1_T2_jT3_P12ihipStream_tbPNSt15iterator_traitsISE_E10value_typeEPNSK_ISF_E10value_typeEPSG_NS1_7vsmem_tEENKUlT_SE_SF_SG_E_clIS8_S8_S9_S9_EESD_ST_SE_SF_SG_EUlST_E0_NS1_11comp_targetILNS1_3genE0ELNS1_11target_archE4294967295ELNS1_3gpuE0ELNS1_3repE0EEENS1_38merge_mergepath_config_static_selectorELNS0_4arch9wavefront6targetE0EEEvSF_.uses_vcc, 1
	.set _ZN7rocprim17ROCPRIM_400000_NS6detail17trampoline_kernelINS0_14default_configENS1_38merge_sort_block_merge_config_selectorIhNS0_10empty_typeEEEZZNS1_27merge_sort_block_merge_implIS3_PhPS5_jNS1_19radix_merge_compareILb1ELb1EhNS0_19identity_decomposerEEEEE10hipError_tT0_T1_T2_jT3_P12ihipStream_tbPNSt15iterator_traitsISE_E10value_typeEPNSK_ISF_E10value_typeEPSG_NS1_7vsmem_tEENKUlT_SE_SF_SG_E_clIS8_S8_S9_S9_EESD_ST_SE_SF_SG_EUlST_E0_NS1_11comp_targetILNS1_3genE0ELNS1_11target_archE4294967295ELNS1_3gpuE0ELNS1_3repE0EEENS1_38merge_mergepath_config_static_selectorELNS0_4arch9wavefront6targetE0EEEvSF_.uses_flat_scratch, 0
	.set _ZN7rocprim17ROCPRIM_400000_NS6detail17trampoline_kernelINS0_14default_configENS1_38merge_sort_block_merge_config_selectorIhNS0_10empty_typeEEEZZNS1_27merge_sort_block_merge_implIS3_PhPS5_jNS1_19radix_merge_compareILb1ELb1EhNS0_19identity_decomposerEEEEE10hipError_tT0_T1_T2_jT3_P12ihipStream_tbPNSt15iterator_traitsISE_E10value_typeEPNSK_ISF_E10value_typeEPSG_NS1_7vsmem_tEENKUlT_SE_SF_SG_E_clIS8_S8_S9_S9_EESD_ST_SE_SF_SG_EUlST_E0_NS1_11comp_targetILNS1_3genE0ELNS1_11target_archE4294967295ELNS1_3gpuE0ELNS1_3repE0EEENS1_38merge_mergepath_config_static_selectorELNS0_4arch9wavefront6targetE0EEEvSF_.has_dyn_sized_stack, 0
	.set _ZN7rocprim17ROCPRIM_400000_NS6detail17trampoline_kernelINS0_14default_configENS1_38merge_sort_block_merge_config_selectorIhNS0_10empty_typeEEEZZNS1_27merge_sort_block_merge_implIS3_PhPS5_jNS1_19radix_merge_compareILb1ELb1EhNS0_19identity_decomposerEEEEE10hipError_tT0_T1_T2_jT3_P12ihipStream_tbPNSt15iterator_traitsISE_E10value_typeEPNSK_ISF_E10value_typeEPSG_NS1_7vsmem_tEENKUlT_SE_SF_SG_E_clIS8_S8_S9_S9_EESD_ST_SE_SF_SG_EUlST_E0_NS1_11comp_targetILNS1_3genE0ELNS1_11target_archE4294967295ELNS1_3gpuE0ELNS1_3repE0EEENS1_38merge_mergepath_config_static_selectorELNS0_4arch9wavefront6targetE0EEEvSF_.has_recursion, 0
	.set _ZN7rocprim17ROCPRIM_400000_NS6detail17trampoline_kernelINS0_14default_configENS1_38merge_sort_block_merge_config_selectorIhNS0_10empty_typeEEEZZNS1_27merge_sort_block_merge_implIS3_PhPS5_jNS1_19radix_merge_compareILb1ELb1EhNS0_19identity_decomposerEEEEE10hipError_tT0_T1_T2_jT3_P12ihipStream_tbPNSt15iterator_traitsISE_E10value_typeEPNSK_ISF_E10value_typeEPSG_NS1_7vsmem_tEENKUlT_SE_SF_SG_E_clIS8_S8_S9_S9_EESD_ST_SE_SF_SG_EUlST_E0_NS1_11comp_targetILNS1_3genE0ELNS1_11target_archE4294967295ELNS1_3gpuE0ELNS1_3repE0EEENS1_38merge_mergepath_config_static_selectorELNS0_4arch9wavefront6targetE0EEEvSF_.has_indirect_call, 0
	.section	.AMDGPU.csdata,"",@progbits
; Kernel info:
; codeLenInByte = 4128
; TotalNumSgprs: 24
; NumVgprs: 34
; ScratchSize: 0
; MemoryBound: 0
; FloatMode: 240
; IeeeMode: 1
; LDSByteSize: 1056 bytes/workgroup (compile time only)
; SGPRBlocks: 0
; VGPRBlocks: 2
; NumSGPRsForWavesPerEU: 24
; NumVGPRsForWavesPerEU: 34
; NamedBarCnt: 0
; Occupancy: 16
; WaveLimiterHint : 1
; COMPUTE_PGM_RSRC2:SCRATCH_EN: 0
; COMPUTE_PGM_RSRC2:USER_SGPR: 2
; COMPUTE_PGM_RSRC2:TRAP_HANDLER: 0
; COMPUTE_PGM_RSRC2:TGID_X_EN: 1
; COMPUTE_PGM_RSRC2:TGID_Y_EN: 1
; COMPUTE_PGM_RSRC2:TGID_Z_EN: 1
; COMPUTE_PGM_RSRC2:TIDIG_COMP_CNT: 0
	.section	.text._ZN7rocprim17ROCPRIM_400000_NS6detail17trampoline_kernelINS0_14default_configENS1_38merge_sort_block_merge_config_selectorIhNS0_10empty_typeEEEZZNS1_27merge_sort_block_merge_implIS3_PhPS5_jNS1_19radix_merge_compareILb1ELb1EhNS0_19identity_decomposerEEEEE10hipError_tT0_T1_T2_jT3_P12ihipStream_tbPNSt15iterator_traitsISE_E10value_typeEPNSK_ISF_E10value_typeEPSG_NS1_7vsmem_tEENKUlT_SE_SF_SG_E_clIS8_S8_S9_S9_EESD_ST_SE_SF_SG_EUlST_E0_NS1_11comp_targetILNS1_3genE10ELNS1_11target_archE1201ELNS1_3gpuE5ELNS1_3repE0EEENS1_38merge_mergepath_config_static_selectorELNS0_4arch9wavefront6targetE0EEEvSF_,"axG",@progbits,_ZN7rocprim17ROCPRIM_400000_NS6detail17trampoline_kernelINS0_14default_configENS1_38merge_sort_block_merge_config_selectorIhNS0_10empty_typeEEEZZNS1_27merge_sort_block_merge_implIS3_PhPS5_jNS1_19radix_merge_compareILb1ELb1EhNS0_19identity_decomposerEEEEE10hipError_tT0_T1_T2_jT3_P12ihipStream_tbPNSt15iterator_traitsISE_E10value_typeEPNSK_ISF_E10value_typeEPSG_NS1_7vsmem_tEENKUlT_SE_SF_SG_E_clIS8_S8_S9_S9_EESD_ST_SE_SF_SG_EUlST_E0_NS1_11comp_targetILNS1_3genE10ELNS1_11target_archE1201ELNS1_3gpuE5ELNS1_3repE0EEENS1_38merge_mergepath_config_static_selectorELNS0_4arch9wavefront6targetE0EEEvSF_,comdat
	.protected	_ZN7rocprim17ROCPRIM_400000_NS6detail17trampoline_kernelINS0_14default_configENS1_38merge_sort_block_merge_config_selectorIhNS0_10empty_typeEEEZZNS1_27merge_sort_block_merge_implIS3_PhPS5_jNS1_19radix_merge_compareILb1ELb1EhNS0_19identity_decomposerEEEEE10hipError_tT0_T1_T2_jT3_P12ihipStream_tbPNSt15iterator_traitsISE_E10value_typeEPNSK_ISF_E10value_typeEPSG_NS1_7vsmem_tEENKUlT_SE_SF_SG_E_clIS8_S8_S9_S9_EESD_ST_SE_SF_SG_EUlST_E0_NS1_11comp_targetILNS1_3genE10ELNS1_11target_archE1201ELNS1_3gpuE5ELNS1_3repE0EEENS1_38merge_mergepath_config_static_selectorELNS0_4arch9wavefront6targetE0EEEvSF_ ; -- Begin function _ZN7rocprim17ROCPRIM_400000_NS6detail17trampoline_kernelINS0_14default_configENS1_38merge_sort_block_merge_config_selectorIhNS0_10empty_typeEEEZZNS1_27merge_sort_block_merge_implIS3_PhPS5_jNS1_19radix_merge_compareILb1ELb1EhNS0_19identity_decomposerEEEEE10hipError_tT0_T1_T2_jT3_P12ihipStream_tbPNSt15iterator_traitsISE_E10value_typeEPNSK_ISF_E10value_typeEPSG_NS1_7vsmem_tEENKUlT_SE_SF_SG_E_clIS8_S8_S9_S9_EESD_ST_SE_SF_SG_EUlST_E0_NS1_11comp_targetILNS1_3genE10ELNS1_11target_archE1201ELNS1_3gpuE5ELNS1_3repE0EEENS1_38merge_mergepath_config_static_selectorELNS0_4arch9wavefront6targetE0EEEvSF_
	.globl	_ZN7rocprim17ROCPRIM_400000_NS6detail17trampoline_kernelINS0_14default_configENS1_38merge_sort_block_merge_config_selectorIhNS0_10empty_typeEEEZZNS1_27merge_sort_block_merge_implIS3_PhPS5_jNS1_19radix_merge_compareILb1ELb1EhNS0_19identity_decomposerEEEEE10hipError_tT0_T1_T2_jT3_P12ihipStream_tbPNSt15iterator_traitsISE_E10value_typeEPNSK_ISF_E10value_typeEPSG_NS1_7vsmem_tEENKUlT_SE_SF_SG_E_clIS8_S8_S9_S9_EESD_ST_SE_SF_SG_EUlST_E0_NS1_11comp_targetILNS1_3genE10ELNS1_11target_archE1201ELNS1_3gpuE5ELNS1_3repE0EEENS1_38merge_mergepath_config_static_selectorELNS0_4arch9wavefront6targetE0EEEvSF_
	.p2align	8
	.type	_ZN7rocprim17ROCPRIM_400000_NS6detail17trampoline_kernelINS0_14default_configENS1_38merge_sort_block_merge_config_selectorIhNS0_10empty_typeEEEZZNS1_27merge_sort_block_merge_implIS3_PhPS5_jNS1_19radix_merge_compareILb1ELb1EhNS0_19identity_decomposerEEEEE10hipError_tT0_T1_T2_jT3_P12ihipStream_tbPNSt15iterator_traitsISE_E10value_typeEPNSK_ISF_E10value_typeEPSG_NS1_7vsmem_tEENKUlT_SE_SF_SG_E_clIS8_S8_S9_S9_EESD_ST_SE_SF_SG_EUlST_E0_NS1_11comp_targetILNS1_3genE10ELNS1_11target_archE1201ELNS1_3gpuE5ELNS1_3repE0EEENS1_38merge_mergepath_config_static_selectorELNS0_4arch9wavefront6targetE0EEEvSF_,@function
_ZN7rocprim17ROCPRIM_400000_NS6detail17trampoline_kernelINS0_14default_configENS1_38merge_sort_block_merge_config_selectorIhNS0_10empty_typeEEEZZNS1_27merge_sort_block_merge_implIS3_PhPS5_jNS1_19radix_merge_compareILb1ELb1EhNS0_19identity_decomposerEEEEE10hipError_tT0_T1_T2_jT3_P12ihipStream_tbPNSt15iterator_traitsISE_E10value_typeEPNSK_ISF_E10value_typeEPSG_NS1_7vsmem_tEENKUlT_SE_SF_SG_E_clIS8_S8_S9_S9_EESD_ST_SE_SF_SG_EUlST_E0_NS1_11comp_targetILNS1_3genE10ELNS1_11target_archE1201ELNS1_3gpuE5ELNS1_3repE0EEENS1_38merge_mergepath_config_static_selectorELNS0_4arch9wavefront6targetE0EEEvSF_: ; @_ZN7rocprim17ROCPRIM_400000_NS6detail17trampoline_kernelINS0_14default_configENS1_38merge_sort_block_merge_config_selectorIhNS0_10empty_typeEEEZZNS1_27merge_sort_block_merge_implIS3_PhPS5_jNS1_19radix_merge_compareILb1ELb1EhNS0_19identity_decomposerEEEEE10hipError_tT0_T1_T2_jT3_P12ihipStream_tbPNSt15iterator_traitsISE_E10value_typeEPNSK_ISF_E10value_typeEPSG_NS1_7vsmem_tEENKUlT_SE_SF_SG_E_clIS8_S8_S9_S9_EESD_ST_SE_SF_SG_EUlST_E0_NS1_11comp_targetILNS1_3genE10ELNS1_11target_archE1201ELNS1_3gpuE5ELNS1_3repE0EEENS1_38merge_mergepath_config_static_selectorELNS0_4arch9wavefront6targetE0EEEvSF_
; %bb.0:
	.section	.rodata,"a",@progbits
	.p2align	6, 0x0
	.amdhsa_kernel _ZN7rocprim17ROCPRIM_400000_NS6detail17trampoline_kernelINS0_14default_configENS1_38merge_sort_block_merge_config_selectorIhNS0_10empty_typeEEEZZNS1_27merge_sort_block_merge_implIS3_PhPS5_jNS1_19radix_merge_compareILb1ELb1EhNS0_19identity_decomposerEEEEE10hipError_tT0_T1_T2_jT3_P12ihipStream_tbPNSt15iterator_traitsISE_E10value_typeEPNSK_ISF_E10value_typeEPSG_NS1_7vsmem_tEENKUlT_SE_SF_SG_E_clIS8_S8_S9_S9_EESD_ST_SE_SF_SG_EUlST_E0_NS1_11comp_targetILNS1_3genE10ELNS1_11target_archE1201ELNS1_3gpuE5ELNS1_3repE0EEENS1_38merge_mergepath_config_static_selectorELNS0_4arch9wavefront6targetE0EEEvSF_
		.amdhsa_group_segment_fixed_size 0
		.amdhsa_private_segment_fixed_size 0
		.amdhsa_kernarg_size 64
		.amdhsa_user_sgpr_count 2
		.amdhsa_user_sgpr_dispatch_ptr 0
		.amdhsa_user_sgpr_queue_ptr 0
		.amdhsa_user_sgpr_kernarg_segment_ptr 1
		.amdhsa_user_sgpr_dispatch_id 0
		.amdhsa_user_sgpr_kernarg_preload_length 0
		.amdhsa_user_sgpr_kernarg_preload_offset 0
		.amdhsa_user_sgpr_private_segment_size 0
		.amdhsa_wavefront_size32 1
		.amdhsa_uses_dynamic_stack 0
		.amdhsa_enable_private_segment 0
		.amdhsa_system_sgpr_workgroup_id_x 1
		.amdhsa_system_sgpr_workgroup_id_y 0
		.amdhsa_system_sgpr_workgroup_id_z 0
		.amdhsa_system_sgpr_workgroup_info 0
		.amdhsa_system_vgpr_workitem_id 0
		.amdhsa_next_free_vgpr 1
		.amdhsa_next_free_sgpr 1
		.amdhsa_named_barrier_count 0
		.amdhsa_reserve_vcc 0
		.amdhsa_float_round_mode_32 0
		.amdhsa_float_round_mode_16_64 0
		.amdhsa_float_denorm_mode_32 3
		.amdhsa_float_denorm_mode_16_64 3
		.amdhsa_fp16_overflow 0
		.amdhsa_memory_ordered 1
		.amdhsa_forward_progress 1
		.amdhsa_inst_pref_size 0
		.amdhsa_round_robin_scheduling 0
		.amdhsa_exception_fp_ieee_invalid_op 0
		.amdhsa_exception_fp_denorm_src 0
		.amdhsa_exception_fp_ieee_div_zero 0
		.amdhsa_exception_fp_ieee_overflow 0
		.amdhsa_exception_fp_ieee_underflow 0
		.amdhsa_exception_fp_ieee_inexact 0
		.amdhsa_exception_int_div_zero 0
	.end_amdhsa_kernel
	.section	.text._ZN7rocprim17ROCPRIM_400000_NS6detail17trampoline_kernelINS0_14default_configENS1_38merge_sort_block_merge_config_selectorIhNS0_10empty_typeEEEZZNS1_27merge_sort_block_merge_implIS3_PhPS5_jNS1_19radix_merge_compareILb1ELb1EhNS0_19identity_decomposerEEEEE10hipError_tT0_T1_T2_jT3_P12ihipStream_tbPNSt15iterator_traitsISE_E10value_typeEPNSK_ISF_E10value_typeEPSG_NS1_7vsmem_tEENKUlT_SE_SF_SG_E_clIS8_S8_S9_S9_EESD_ST_SE_SF_SG_EUlST_E0_NS1_11comp_targetILNS1_3genE10ELNS1_11target_archE1201ELNS1_3gpuE5ELNS1_3repE0EEENS1_38merge_mergepath_config_static_selectorELNS0_4arch9wavefront6targetE0EEEvSF_,"axG",@progbits,_ZN7rocprim17ROCPRIM_400000_NS6detail17trampoline_kernelINS0_14default_configENS1_38merge_sort_block_merge_config_selectorIhNS0_10empty_typeEEEZZNS1_27merge_sort_block_merge_implIS3_PhPS5_jNS1_19radix_merge_compareILb1ELb1EhNS0_19identity_decomposerEEEEE10hipError_tT0_T1_T2_jT3_P12ihipStream_tbPNSt15iterator_traitsISE_E10value_typeEPNSK_ISF_E10value_typeEPSG_NS1_7vsmem_tEENKUlT_SE_SF_SG_E_clIS8_S8_S9_S9_EESD_ST_SE_SF_SG_EUlST_E0_NS1_11comp_targetILNS1_3genE10ELNS1_11target_archE1201ELNS1_3gpuE5ELNS1_3repE0EEENS1_38merge_mergepath_config_static_selectorELNS0_4arch9wavefront6targetE0EEEvSF_,comdat
.Lfunc_end67:
	.size	_ZN7rocprim17ROCPRIM_400000_NS6detail17trampoline_kernelINS0_14default_configENS1_38merge_sort_block_merge_config_selectorIhNS0_10empty_typeEEEZZNS1_27merge_sort_block_merge_implIS3_PhPS5_jNS1_19radix_merge_compareILb1ELb1EhNS0_19identity_decomposerEEEEE10hipError_tT0_T1_T2_jT3_P12ihipStream_tbPNSt15iterator_traitsISE_E10value_typeEPNSK_ISF_E10value_typeEPSG_NS1_7vsmem_tEENKUlT_SE_SF_SG_E_clIS8_S8_S9_S9_EESD_ST_SE_SF_SG_EUlST_E0_NS1_11comp_targetILNS1_3genE10ELNS1_11target_archE1201ELNS1_3gpuE5ELNS1_3repE0EEENS1_38merge_mergepath_config_static_selectorELNS0_4arch9wavefront6targetE0EEEvSF_, .Lfunc_end67-_ZN7rocprim17ROCPRIM_400000_NS6detail17trampoline_kernelINS0_14default_configENS1_38merge_sort_block_merge_config_selectorIhNS0_10empty_typeEEEZZNS1_27merge_sort_block_merge_implIS3_PhPS5_jNS1_19radix_merge_compareILb1ELb1EhNS0_19identity_decomposerEEEEE10hipError_tT0_T1_T2_jT3_P12ihipStream_tbPNSt15iterator_traitsISE_E10value_typeEPNSK_ISF_E10value_typeEPSG_NS1_7vsmem_tEENKUlT_SE_SF_SG_E_clIS8_S8_S9_S9_EESD_ST_SE_SF_SG_EUlST_E0_NS1_11comp_targetILNS1_3genE10ELNS1_11target_archE1201ELNS1_3gpuE5ELNS1_3repE0EEENS1_38merge_mergepath_config_static_selectorELNS0_4arch9wavefront6targetE0EEEvSF_
                                        ; -- End function
	.set _ZN7rocprim17ROCPRIM_400000_NS6detail17trampoline_kernelINS0_14default_configENS1_38merge_sort_block_merge_config_selectorIhNS0_10empty_typeEEEZZNS1_27merge_sort_block_merge_implIS3_PhPS5_jNS1_19radix_merge_compareILb1ELb1EhNS0_19identity_decomposerEEEEE10hipError_tT0_T1_T2_jT3_P12ihipStream_tbPNSt15iterator_traitsISE_E10value_typeEPNSK_ISF_E10value_typeEPSG_NS1_7vsmem_tEENKUlT_SE_SF_SG_E_clIS8_S8_S9_S9_EESD_ST_SE_SF_SG_EUlST_E0_NS1_11comp_targetILNS1_3genE10ELNS1_11target_archE1201ELNS1_3gpuE5ELNS1_3repE0EEENS1_38merge_mergepath_config_static_selectorELNS0_4arch9wavefront6targetE0EEEvSF_.num_vgpr, 0
	.set _ZN7rocprim17ROCPRIM_400000_NS6detail17trampoline_kernelINS0_14default_configENS1_38merge_sort_block_merge_config_selectorIhNS0_10empty_typeEEEZZNS1_27merge_sort_block_merge_implIS3_PhPS5_jNS1_19radix_merge_compareILb1ELb1EhNS0_19identity_decomposerEEEEE10hipError_tT0_T1_T2_jT3_P12ihipStream_tbPNSt15iterator_traitsISE_E10value_typeEPNSK_ISF_E10value_typeEPSG_NS1_7vsmem_tEENKUlT_SE_SF_SG_E_clIS8_S8_S9_S9_EESD_ST_SE_SF_SG_EUlST_E0_NS1_11comp_targetILNS1_3genE10ELNS1_11target_archE1201ELNS1_3gpuE5ELNS1_3repE0EEENS1_38merge_mergepath_config_static_selectorELNS0_4arch9wavefront6targetE0EEEvSF_.num_agpr, 0
	.set _ZN7rocprim17ROCPRIM_400000_NS6detail17trampoline_kernelINS0_14default_configENS1_38merge_sort_block_merge_config_selectorIhNS0_10empty_typeEEEZZNS1_27merge_sort_block_merge_implIS3_PhPS5_jNS1_19radix_merge_compareILb1ELb1EhNS0_19identity_decomposerEEEEE10hipError_tT0_T1_T2_jT3_P12ihipStream_tbPNSt15iterator_traitsISE_E10value_typeEPNSK_ISF_E10value_typeEPSG_NS1_7vsmem_tEENKUlT_SE_SF_SG_E_clIS8_S8_S9_S9_EESD_ST_SE_SF_SG_EUlST_E0_NS1_11comp_targetILNS1_3genE10ELNS1_11target_archE1201ELNS1_3gpuE5ELNS1_3repE0EEENS1_38merge_mergepath_config_static_selectorELNS0_4arch9wavefront6targetE0EEEvSF_.numbered_sgpr, 0
	.set _ZN7rocprim17ROCPRIM_400000_NS6detail17trampoline_kernelINS0_14default_configENS1_38merge_sort_block_merge_config_selectorIhNS0_10empty_typeEEEZZNS1_27merge_sort_block_merge_implIS3_PhPS5_jNS1_19radix_merge_compareILb1ELb1EhNS0_19identity_decomposerEEEEE10hipError_tT0_T1_T2_jT3_P12ihipStream_tbPNSt15iterator_traitsISE_E10value_typeEPNSK_ISF_E10value_typeEPSG_NS1_7vsmem_tEENKUlT_SE_SF_SG_E_clIS8_S8_S9_S9_EESD_ST_SE_SF_SG_EUlST_E0_NS1_11comp_targetILNS1_3genE10ELNS1_11target_archE1201ELNS1_3gpuE5ELNS1_3repE0EEENS1_38merge_mergepath_config_static_selectorELNS0_4arch9wavefront6targetE0EEEvSF_.num_named_barrier, 0
	.set _ZN7rocprim17ROCPRIM_400000_NS6detail17trampoline_kernelINS0_14default_configENS1_38merge_sort_block_merge_config_selectorIhNS0_10empty_typeEEEZZNS1_27merge_sort_block_merge_implIS3_PhPS5_jNS1_19radix_merge_compareILb1ELb1EhNS0_19identity_decomposerEEEEE10hipError_tT0_T1_T2_jT3_P12ihipStream_tbPNSt15iterator_traitsISE_E10value_typeEPNSK_ISF_E10value_typeEPSG_NS1_7vsmem_tEENKUlT_SE_SF_SG_E_clIS8_S8_S9_S9_EESD_ST_SE_SF_SG_EUlST_E0_NS1_11comp_targetILNS1_3genE10ELNS1_11target_archE1201ELNS1_3gpuE5ELNS1_3repE0EEENS1_38merge_mergepath_config_static_selectorELNS0_4arch9wavefront6targetE0EEEvSF_.private_seg_size, 0
	.set _ZN7rocprim17ROCPRIM_400000_NS6detail17trampoline_kernelINS0_14default_configENS1_38merge_sort_block_merge_config_selectorIhNS0_10empty_typeEEEZZNS1_27merge_sort_block_merge_implIS3_PhPS5_jNS1_19radix_merge_compareILb1ELb1EhNS0_19identity_decomposerEEEEE10hipError_tT0_T1_T2_jT3_P12ihipStream_tbPNSt15iterator_traitsISE_E10value_typeEPNSK_ISF_E10value_typeEPSG_NS1_7vsmem_tEENKUlT_SE_SF_SG_E_clIS8_S8_S9_S9_EESD_ST_SE_SF_SG_EUlST_E0_NS1_11comp_targetILNS1_3genE10ELNS1_11target_archE1201ELNS1_3gpuE5ELNS1_3repE0EEENS1_38merge_mergepath_config_static_selectorELNS0_4arch9wavefront6targetE0EEEvSF_.uses_vcc, 0
	.set _ZN7rocprim17ROCPRIM_400000_NS6detail17trampoline_kernelINS0_14default_configENS1_38merge_sort_block_merge_config_selectorIhNS0_10empty_typeEEEZZNS1_27merge_sort_block_merge_implIS3_PhPS5_jNS1_19radix_merge_compareILb1ELb1EhNS0_19identity_decomposerEEEEE10hipError_tT0_T1_T2_jT3_P12ihipStream_tbPNSt15iterator_traitsISE_E10value_typeEPNSK_ISF_E10value_typeEPSG_NS1_7vsmem_tEENKUlT_SE_SF_SG_E_clIS8_S8_S9_S9_EESD_ST_SE_SF_SG_EUlST_E0_NS1_11comp_targetILNS1_3genE10ELNS1_11target_archE1201ELNS1_3gpuE5ELNS1_3repE0EEENS1_38merge_mergepath_config_static_selectorELNS0_4arch9wavefront6targetE0EEEvSF_.uses_flat_scratch, 0
	.set _ZN7rocprim17ROCPRIM_400000_NS6detail17trampoline_kernelINS0_14default_configENS1_38merge_sort_block_merge_config_selectorIhNS0_10empty_typeEEEZZNS1_27merge_sort_block_merge_implIS3_PhPS5_jNS1_19radix_merge_compareILb1ELb1EhNS0_19identity_decomposerEEEEE10hipError_tT0_T1_T2_jT3_P12ihipStream_tbPNSt15iterator_traitsISE_E10value_typeEPNSK_ISF_E10value_typeEPSG_NS1_7vsmem_tEENKUlT_SE_SF_SG_E_clIS8_S8_S9_S9_EESD_ST_SE_SF_SG_EUlST_E0_NS1_11comp_targetILNS1_3genE10ELNS1_11target_archE1201ELNS1_3gpuE5ELNS1_3repE0EEENS1_38merge_mergepath_config_static_selectorELNS0_4arch9wavefront6targetE0EEEvSF_.has_dyn_sized_stack, 0
	.set _ZN7rocprim17ROCPRIM_400000_NS6detail17trampoline_kernelINS0_14default_configENS1_38merge_sort_block_merge_config_selectorIhNS0_10empty_typeEEEZZNS1_27merge_sort_block_merge_implIS3_PhPS5_jNS1_19radix_merge_compareILb1ELb1EhNS0_19identity_decomposerEEEEE10hipError_tT0_T1_T2_jT3_P12ihipStream_tbPNSt15iterator_traitsISE_E10value_typeEPNSK_ISF_E10value_typeEPSG_NS1_7vsmem_tEENKUlT_SE_SF_SG_E_clIS8_S8_S9_S9_EESD_ST_SE_SF_SG_EUlST_E0_NS1_11comp_targetILNS1_3genE10ELNS1_11target_archE1201ELNS1_3gpuE5ELNS1_3repE0EEENS1_38merge_mergepath_config_static_selectorELNS0_4arch9wavefront6targetE0EEEvSF_.has_recursion, 0
	.set _ZN7rocprim17ROCPRIM_400000_NS6detail17trampoline_kernelINS0_14default_configENS1_38merge_sort_block_merge_config_selectorIhNS0_10empty_typeEEEZZNS1_27merge_sort_block_merge_implIS3_PhPS5_jNS1_19radix_merge_compareILb1ELb1EhNS0_19identity_decomposerEEEEE10hipError_tT0_T1_T2_jT3_P12ihipStream_tbPNSt15iterator_traitsISE_E10value_typeEPNSK_ISF_E10value_typeEPSG_NS1_7vsmem_tEENKUlT_SE_SF_SG_E_clIS8_S8_S9_S9_EESD_ST_SE_SF_SG_EUlST_E0_NS1_11comp_targetILNS1_3genE10ELNS1_11target_archE1201ELNS1_3gpuE5ELNS1_3repE0EEENS1_38merge_mergepath_config_static_selectorELNS0_4arch9wavefront6targetE0EEEvSF_.has_indirect_call, 0
	.section	.AMDGPU.csdata,"",@progbits
; Kernel info:
; codeLenInByte = 0
; TotalNumSgprs: 0
; NumVgprs: 0
; ScratchSize: 0
; MemoryBound: 0
; FloatMode: 240
; IeeeMode: 1
; LDSByteSize: 0 bytes/workgroup (compile time only)
; SGPRBlocks: 0
; VGPRBlocks: 0
; NumSGPRsForWavesPerEU: 1
; NumVGPRsForWavesPerEU: 1
; NamedBarCnt: 0
; Occupancy: 16
; WaveLimiterHint : 0
; COMPUTE_PGM_RSRC2:SCRATCH_EN: 0
; COMPUTE_PGM_RSRC2:USER_SGPR: 2
; COMPUTE_PGM_RSRC2:TRAP_HANDLER: 0
; COMPUTE_PGM_RSRC2:TGID_X_EN: 1
; COMPUTE_PGM_RSRC2:TGID_Y_EN: 0
; COMPUTE_PGM_RSRC2:TGID_Z_EN: 0
; COMPUTE_PGM_RSRC2:TIDIG_COMP_CNT: 0
	.section	.text._ZN7rocprim17ROCPRIM_400000_NS6detail17trampoline_kernelINS0_14default_configENS1_38merge_sort_block_merge_config_selectorIhNS0_10empty_typeEEEZZNS1_27merge_sort_block_merge_implIS3_PhPS5_jNS1_19radix_merge_compareILb1ELb1EhNS0_19identity_decomposerEEEEE10hipError_tT0_T1_T2_jT3_P12ihipStream_tbPNSt15iterator_traitsISE_E10value_typeEPNSK_ISF_E10value_typeEPSG_NS1_7vsmem_tEENKUlT_SE_SF_SG_E_clIS8_S8_S9_S9_EESD_ST_SE_SF_SG_EUlST_E0_NS1_11comp_targetILNS1_3genE5ELNS1_11target_archE942ELNS1_3gpuE9ELNS1_3repE0EEENS1_38merge_mergepath_config_static_selectorELNS0_4arch9wavefront6targetE0EEEvSF_,"axG",@progbits,_ZN7rocprim17ROCPRIM_400000_NS6detail17trampoline_kernelINS0_14default_configENS1_38merge_sort_block_merge_config_selectorIhNS0_10empty_typeEEEZZNS1_27merge_sort_block_merge_implIS3_PhPS5_jNS1_19radix_merge_compareILb1ELb1EhNS0_19identity_decomposerEEEEE10hipError_tT0_T1_T2_jT3_P12ihipStream_tbPNSt15iterator_traitsISE_E10value_typeEPNSK_ISF_E10value_typeEPSG_NS1_7vsmem_tEENKUlT_SE_SF_SG_E_clIS8_S8_S9_S9_EESD_ST_SE_SF_SG_EUlST_E0_NS1_11comp_targetILNS1_3genE5ELNS1_11target_archE942ELNS1_3gpuE9ELNS1_3repE0EEENS1_38merge_mergepath_config_static_selectorELNS0_4arch9wavefront6targetE0EEEvSF_,comdat
	.protected	_ZN7rocprim17ROCPRIM_400000_NS6detail17trampoline_kernelINS0_14default_configENS1_38merge_sort_block_merge_config_selectorIhNS0_10empty_typeEEEZZNS1_27merge_sort_block_merge_implIS3_PhPS5_jNS1_19radix_merge_compareILb1ELb1EhNS0_19identity_decomposerEEEEE10hipError_tT0_T1_T2_jT3_P12ihipStream_tbPNSt15iterator_traitsISE_E10value_typeEPNSK_ISF_E10value_typeEPSG_NS1_7vsmem_tEENKUlT_SE_SF_SG_E_clIS8_S8_S9_S9_EESD_ST_SE_SF_SG_EUlST_E0_NS1_11comp_targetILNS1_3genE5ELNS1_11target_archE942ELNS1_3gpuE9ELNS1_3repE0EEENS1_38merge_mergepath_config_static_selectorELNS0_4arch9wavefront6targetE0EEEvSF_ ; -- Begin function _ZN7rocprim17ROCPRIM_400000_NS6detail17trampoline_kernelINS0_14default_configENS1_38merge_sort_block_merge_config_selectorIhNS0_10empty_typeEEEZZNS1_27merge_sort_block_merge_implIS3_PhPS5_jNS1_19radix_merge_compareILb1ELb1EhNS0_19identity_decomposerEEEEE10hipError_tT0_T1_T2_jT3_P12ihipStream_tbPNSt15iterator_traitsISE_E10value_typeEPNSK_ISF_E10value_typeEPSG_NS1_7vsmem_tEENKUlT_SE_SF_SG_E_clIS8_S8_S9_S9_EESD_ST_SE_SF_SG_EUlST_E0_NS1_11comp_targetILNS1_3genE5ELNS1_11target_archE942ELNS1_3gpuE9ELNS1_3repE0EEENS1_38merge_mergepath_config_static_selectorELNS0_4arch9wavefront6targetE0EEEvSF_
	.globl	_ZN7rocprim17ROCPRIM_400000_NS6detail17trampoline_kernelINS0_14default_configENS1_38merge_sort_block_merge_config_selectorIhNS0_10empty_typeEEEZZNS1_27merge_sort_block_merge_implIS3_PhPS5_jNS1_19radix_merge_compareILb1ELb1EhNS0_19identity_decomposerEEEEE10hipError_tT0_T1_T2_jT3_P12ihipStream_tbPNSt15iterator_traitsISE_E10value_typeEPNSK_ISF_E10value_typeEPSG_NS1_7vsmem_tEENKUlT_SE_SF_SG_E_clIS8_S8_S9_S9_EESD_ST_SE_SF_SG_EUlST_E0_NS1_11comp_targetILNS1_3genE5ELNS1_11target_archE942ELNS1_3gpuE9ELNS1_3repE0EEENS1_38merge_mergepath_config_static_selectorELNS0_4arch9wavefront6targetE0EEEvSF_
	.p2align	8
	.type	_ZN7rocprim17ROCPRIM_400000_NS6detail17trampoline_kernelINS0_14default_configENS1_38merge_sort_block_merge_config_selectorIhNS0_10empty_typeEEEZZNS1_27merge_sort_block_merge_implIS3_PhPS5_jNS1_19radix_merge_compareILb1ELb1EhNS0_19identity_decomposerEEEEE10hipError_tT0_T1_T2_jT3_P12ihipStream_tbPNSt15iterator_traitsISE_E10value_typeEPNSK_ISF_E10value_typeEPSG_NS1_7vsmem_tEENKUlT_SE_SF_SG_E_clIS8_S8_S9_S9_EESD_ST_SE_SF_SG_EUlST_E0_NS1_11comp_targetILNS1_3genE5ELNS1_11target_archE942ELNS1_3gpuE9ELNS1_3repE0EEENS1_38merge_mergepath_config_static_selectorELNS0_4arch9wavefront6targetE0EEEvSF_,@function
_ZN7rocprim17ROCPRIM_400000_NS6detail17trampoline_kernelINS0_14default_configENS1_38merge_sort_block_merge_config_selectorIhNS0_10empty_typeEEEZZNS1_27merge_sort_block_merge_implIS3_PhPS5_jNS1_19radix_merge_compareILb1ELb1EhNS0_19identity_decomposerEEEEE10hipError_tT0_T1_T2_jT3_P12ihipStream_tbPNSt15iterator_traitsISE_E10value_typeEPNSK_ISF_E10value_typeEPSG_NS1_7vsmem_tEENKUlT_SE_SF_SG_E_clIS8_S8_S9_S9_EESD_ST_SE_SF_SG_EUlST_E0_NS1_11comp_targetILNS1_3genE5ELNS1_11target_archE942ELNS1_3gpuE9ELNS1_3repE0EEENS1_38merge_mergepath_config_static_selectorELNS0_4arch9wavefront6targetE0EEEvSF_: ; @_ZN7rocprim17ROCPRIM_400000_NS6detail17trampoline_kernelINS0_14default_configENS1_38merge_sort_block_merge_config_selectorIhNS0_10empty_typeEEEZZNS1_27merge_sort_block_merge_implIS3_PhPS5_jNS1_19radix_merge_compareILb1ELb1EhNS0_19identity_decomposerEEEEE10hipError_tT0_T1_T2_jT3_P12ihipStream_tbPNSt15iterator_traitsISE_E10value_typeEPNSK_ISF_E10value_typeEPSG_NS1_7vsmem_tEENKUlT_SE_SF_SG_E_clIS8_S8_S9_S9_EESD_ST_SE_SF_SG_EUlST_E0_NS1_11comp_targetILNS1_3genE5ELNS1_11target_archE942ELNS1_3gpuE9ELNS1_3repE0EEENS1_38merge_mergepath_config_static_selectorELNS0_4arch9wavefront6targetE0EEEvSF_
; %bb.0:
	.section	.rodata,"a",@progbits
	.p2align	6, 0x0
	.amdhsa_kernel _ZN7rocprim17ROCPRIM_400000_NS6detail17trampoline_kernelINS0_14default_configENS1_38merge_sort_block_merge_config_selectorIhNS0_10empty_typeEEEZZNS1_27merge_sort_block_merge_implIS3_PhPS5_jNS1_19radix_merge_compareILb1ELb1EhNS0_19identity_decomposerEEEEE10hipError_tT0_T1_T2_jT3_P12ihipStream_tbPNSt15iterator_traitsISE_E10value_typeEPNSK_ISF_E10value_typeEPSG_NS1_7vsmem_tEENKUlT_SE_SF_SG_E_clIS8_S8_S9_S9_EESD_ST_SE_SF_SG_EUlST_E0_NS1_11comp_targetILNS1_3genE5ELNS1_11target_archE942ELNS1_3gpuE9ELNS1_3repE0EEENS1_38merge_mergepath_config_static_selectorELNS0_4arch9wavefront6targetE0EEEvSF_
		.amdhsa_group_segment_fixed_size 0
		.amdhsa_private_segment_fixed_size 0
		.amdhsa_kernarg_size 64
		.amdhsa_user_sgpr_count 2
		.amdhsa_user_sgpr_dispatch_ptr 0
		.amdhsa_user_sgpr_queue_ptr 0
		.amdhsa_user_sgpr_kernarg_segment_ptr 1
		.amdhsa_user_sgpr_dispatch_id 0
		.amdhsa_user_sgpr_kernarg_preload_length 0
		.amdhsa_user_sgpr_kernarg_preload_offset 0
		.amdhsa_user_sgpr_private_segment_size 0
		.amdhsa_wavefront_size32 1
		.amdhsa_uses_dynamic_stack 0
		.amdhsa_enable_private_segment 0
		.amdhsa_system_sgpr_workgroup_id_x 1
		.amdhsa_system_sgpr_workgroup_id_y 0
		.amdhsa_system_sgpr_workgroup_id_z 0
		.amdhsa_system_sgpr_workgroup_info 0
		.amdhsa_system_vgpr_workitem_id 0
		.amdhsa_next_free_vgpr 1
		.amdhsa_next_free_sgpr 1
		.amdhsa_named_barrier_count 0
		.amdhsa_reserve_vcc 0
		.amdhsa_float_round_mode_32 0
		.amdhsa_float_round_mode_16_64 0
		.amdhsa_float_denorm_mode_32 3
		.amdhsa_float_denorm_mode_16_64 3
		.amdhsa_fp16_overflow 0
		.amdhsa_memory_ordered 1
		.amdhsa_forward_progress 1
		.amdhsa_inst_pref_size 0
		.amdhsa_round_robin_scheduling 0
		.amdhsa_exception_fp_ieee_invalid_op 0
		.amdhsa_exception_fp_denorm_src 0
		.amdhsa_exception_fp_ieee_div_zero 0
		.amdhsa_exception_fp_ieee_overflow 0
		.amdhsa_exception_fp_ieee_underflow 0
		.amdhsa_exception_fp_ieee_inexact 0
		.amdhsa_exception_int_div_zero 0
	.end_amdhsa_kernel
	.section	.text._ZN7rocprim17ROCPRIM_400000_NS6detail17trampoline_kernelINS0_14default_configENS1_38merge_sort_block_merge_config_selectorIhNS0_10empty_typeEEEZZNS1_27merge_sort_block_merge_implIS3_PhPS5_jNS1_19radix_merge_compareILb1ELb1EhNS0_19identity_decomposerEEEEE10hipError_tT0_T1_T2_jT3_P12ihipStream_tbPNSt15iterator_traitsISE_E10value_typeEPNSK_ISF_E10value_typeEPSG_NS1_7vsmem_tEENKUlT_SE_SF_SG_E_clIS8_S8_S9_S9_EESD_ST_SE_SF_SG_EUlST_E0_NS1_11comp_targetILNS1_3genE5ELNS1_11target_archE942ELNS1_3gpuE9ELNS1_3repE0EEENS1_38merge_mergepath_config_static_selectorELNS0_4arch9wavefront6targetE0EEEvSF_,"axG",@progbits,_ZN7rocprim17ROCPRIM_400000_NS6detail17trampoline_kernelINS0_14default_configENS1_38merge_sort_block_merge_config_selectorIhNS0_10empty_typeEEEZZNS1_27merge_sort_block_merge_implIS3_PhPS5_jNS1_19radix_merge_compareILb1ELb1EhNS0_19identity_decomposerEEEEE10hipError_tT0_T1_T2_jT3_P12ihipStream_tbPNSt15iterator_traitsISE_E10value_typeEPNSK_ISF_E10value_typeEPSG_NS1_7vsmem_tEENKUlT_SE_SF_SG_E_clIS8_S8_S9_S9_EESD_ST_SE_SF_SG_EUlST_E0_NS1_11comp_targetILNS1_3genE5ELNS1_11target_archE942ELNS1_3gpuE9ELNS1_3repE0EEENS1_38merge_mergepath_config_static_selectorELNS0_4arch9wavefront6targetE0EEEvSF_,comdat
.Lfunc_end68:
	.size	_ZN7rocprim17ROCPRIM_400000_NS6detail17trampoline_kernelINS0_14default_configENS1_38merge_sort_block_merge_config_selectorIhNS0_10empty_typeEEEZZNS1_27merge_sort_block_merge_implIS3_PhPS5_jNS1_19radix_merge_compareILb1ELb1EhNS0_19identity_decomposerEEEEE10hipError_tT0_T1_T2_jT3_P12ihipStream_tbPNSt15iterator_traitsISE_E10value_typeEPNSK_ISF_E10value_typeEPSG_NS1_7vsmem_tEENKUlT_SE_SF_SG_E_clIS8_S8_S9_S9_EESD_ST_SE_SF_SG_EUlST_E0_NS1_11comp_targetILNS1_3genE5ELNS1_11target_archE942ELNS1_3gpuE9ELNS1_3repE0EEENS1_38merge_mergepath_config_static_selectorELNS0_4arch9wavefront6targetE0EEEvSF_, .Lfunc_end68-_ZN7rocprim17ROCPRIM_400000_NS6detail17trampoline_kernelINS0_14default_configENS1_38merge_sort_block_merge_config_selectorIhNS0_10empty_typeEEEZZNS1_27merge_sort_block_merge_implIS3_PhPS5_jNS1_19radix_merge_compareILb1ELb1EhNS0_19identity_decomposerEEEEE10hipError_tT0_T1_T2_jT3_P12ihipStream_tbPNSt15iterator_traitsISE_E10value_typeEPNSK_ISF_E10value_typeEPSG_NS1_7vsmem_tEENKUlT_SE_SF_SG_E_clIS8_S8_S9_S9_EESD_ST_SE_SF_SG_EUlST_E0_NS1_11comp_targetILNS1_3genE5ELNS1_11target_archE942ELNS1_3gpuE9ELNS1_3repE0EEENS1_38merge_mergepath_config_static_selectorELNS0_4arch9wavefront6targetE0EEEvSF_
                                        ; -- End function
	.set _ZN7rocprim17ROCPRIM_400000_NS6detail17trampoline_kernelINS0_14default_configENS1_38merge_sort_block_merge_config_selectorIhNS0_10empty_typeEEEZZNS1_27merge_sort_block_merge_implIS3_PhPS5_jNS1_19radix_merge_compareILb1ELb1EhNS0_19identity_decomposerEEEEE10hipError_tT0_T1_T2_jT3_P12ihipStream_tbPNSt15iterator_traitsISE_E10value_typeEPNSK_ISF_E10value_typeEPSG_NS1_7vsmem_tEENKUlT_SE_SF_SG_E_clIS8_S8_S9_S9_EESD_ST_SE_SF_SG_EUlST_E0_NS1_11comp_targetILNS1_3genE5ELNS1_11target_archE942ELNS1_3gpuE9ELNS1_3repE0EEENS1_38merge_mergepath_config_static_selectorELNS0_4arch9wavefront6targetE0EEEvSF_.num_vgpr, 0
	.set _ZN7rocprim17ROCPRIM_400000_NS6detail17trampoline_kernelINS0_14default_configENS1_38merge_sort_block_merge_config_selectorIhNS0_10empty_typeEEEZZNS1_27merge_sort_block_merge_implIS3_PhPS5_jNS1_19radix_merge_compareILb1ELb1EhNS0_19identity_decomposerEEEEE10hipError_tT0_T1_T2_jT3_P12ihipStream_tbPNSt15iterator_traitsISE_E10value_typeEPNSK_ISF_E10value_typeEPSG_NS1_7vsmem_tEENKUlT_SE_SF_SG_E_clIS8_S8_S9_S9_EESD_ST_SE_SF_SG_EUlST_E0_NS1_11comp_targetILNS1_3genE5ELNS1_11target_archE942ELNS1_3gpuE9ELNS1_3repE0EEENS1_38merge_mergepath_config_static_selectorELNS0_4arch9wavefront6targetE0EEEvSF_.num_agpr, 0
	.set _ZN7rocprim17ROCPRIM_400000_NS6detail17trampoline_kernelINS0_14default_configENS1_38merge_sort_block_merge_config_selectorIhNS0_10empty_typeEEEZZNS1_27merge_sort_block_merge_implIS3_PhPS5_jNS1_19radix_merge_compareILb1ELb1EhNS0_19identity_decomposerEEEEE10hipError_tT0_T1_T2_jT3_P12ihipStream_tbPNSt15iterator_traitsISE_E10value_typeEPNSK_ISF_E10value_typeEPSG_NS1_7vsmem_tEENKUlT_SE_SF_SG_E_clIS8_S8_S9_S9_EESD_ST_SE_SF_SG_EUlST_E0_NS1_11comp_targetILNS1_3genE5ELNS1_11target_archE942ELNS1_3gpuE9ELNS1_3repE0EEENS1_38merge_mergepath_config_static_selectorELNS0_4arch9wavefront6targetE0EEEvSF_.numbered_sgpr, 0
	.set _ZN7rocprim17ROCPRIM_400000_NS6detail17trampoline_kernelINS0_14default_configENS1_38merge_sort_block_merge_config_selectorIhNS0_10empty_typeEEEZZNS1_27merge_sort_block_merge_implIS3_PhPS5_jNS1_19radix_merge_compareILb1ELb1EhNS0_19identity_decomposerEEEEE10hipError_tT0_T1_T2_jT3_P12ihipStream_tbPNSt15iterator_traitsISE_E10value_typeEPNSK_ISF_E10value_typeEPSG_NS1_7vsmem_tEENKUlT_SE_SF_SG_E_clIS8_S8_S9_S9_EESD_ST_SE_SF_SG_EUlST_E0_NS1_11comp_targetILNS1_3genE5ELNS1_11target_archE942ELNS1_3gpuE9ELNS1_3repE0EEENS1_38merge_mergepath_config_static_selectorELNS0_4arch9wavefront6targetE0EEEvSF_.num_named_barrier, 0
	.set _ZN7rocprim17ROCPRIM_400000_NS6detail17trampoline_kernelINS0_14default_configENS1_38merge_sort_block_merge_config_selectorIhNS0_10empty_typeEEEZZNS1_27merge_sort_block_merge_implIS3_PhPS5_jNS1_19radix_merge_compareILb1ELb1EhNS0_19identity_decomposerEEEEE10hipError_tT0_T1_T2_jT3_P12ihipStream_tbPNSt15iterator_traitsISE_E10value_typeEPNSK_ISF_E10value_typeEPSG_NS1_7vsmem_tEENKUlT_SE_SF_SG_E_clIS8_S8_S9_S9_EESD_ST_SE_SF_SG_EUlST_E0_NS1_11comp_targetILNS1_3genE5ELNS1_11target_archE942ELNS1_3gpuE9ELNS1_3repE0EEENS1_38merge_mergepath_config_static_selectorELNS0_4arch9wavefront6targetE0EEEvSF_.private_seg_size, 0
	.set _ZN7rocprim17ROCPRIM_400000_NS6detail17trampoline_kernelINS0_14default_configENS1_38merge_sort_block_merge_config_selectorIhNS0_10empty_typeEEEZZNS1_27merge_sort_block_merge_implIS3_PhPS5_jNS1_19radix_merge_compareILb1ELb1EhNS0_19identity_decomposerEEEEE10hipError_tT0_T1_T2_jT3_P12ihipStream_tbPNSt15iterator_traitsISE_E10value_typeEPNSK_ISF_E10value_typeEPSG_NS1_7vsmem_tEENKUlT_SE_SF_SG_E_clIS8_S8_S9_S9_EESD_ST_SE_SF_SG_EUlST_E0_NS1_11comp_targetILNS1_3genE5ELNS1_11target_archE942ELNS1_3gpuE9ELNS1_3repE0EEENS1_38merge_mergepath_config_static_selectorELNS0_4arch9wavefront6targetE0EEEvSF_.uses_vcc, 0
	.set _ZN7rocprim17ROCPRIM_400000_NS6detail17trampoline_kernelINS0_14default_configENS1_38merge_sort_block_merge_config_selectorIhNS0_10empty_typeEEEZZNS1_27merge_sort_block_merge_implIS3_PhPS5_jNS1_19radix_merge_compareILb1ELb1EhNS0_19identity_decomposerEEEEE10hipError_tT0_T1_T2_jT3_P12ihipStream_tbPNSt15iterator_traitsISE_E10value_typeEPNSK_ISF_E10value_typeEPSG_NS1_7vsmem_tEENKUlT_SE_SF_SG_E_clIS8_S8_S9_S9_EESD_ST_SE_SF_SG_EUlST_E0_NS1_11comp_targetILNS1_3genE5ELNS1_11target_archE942ELNS1_3gpuE9ELNS1_3repE0EEENS1_38merge_mergepath_config_static_selectorELNS0_4arch9wavefront6targetE0EEEvSF_.uses_flat_scratch, 0
	.set _ZN7rocprim17ROCPRIM_400000_NS6detail17trampoline_kernelINS0_14default_configENS1_38merge_sort_block_merge_config_selectorIhNS0_10empty_typeEEEZZNS1_27merge_sort_block_merge_implIS3_PhPS5_jNS1_19radix_merge_compareILb1ELb1EhNS0_19identity_decomposerEEEEE10hipError_tT0_T1_T2_jT3_P12ihipStream_tbPNSt15iterator_traitsISE_E10value_typeEPNSK_ISF_E10value_typeEPSG_NS1_7vsmem_tEENKUlT_SE_SF_SG_E_clIS8_S8_S9_S9_EESD_ST_SE_SF_SG_EUlST_E0_NS1_11comp_targetILNS1_3genE5ELNS1_11target_archE942ELNS1_3gpuE9ELNS1_3repE0EEENS1_38merge_mergepath_config_static_selectorELNS0_4arch9wavefront6targetE0EEEvSF_.has_dyn_sized_stack, 0
	.set _ZN7rocprim17ROCPRIM_400000_NS6detail17trampoline_kernelINS0_14default_configENS1_38merge_sort_block_merge_config_selectorIhNS0_10empty_typeEEEZZNS1_27merge_sort_block_merge_implIS3_PhPS5_jNS1_19radix_merge_compareILb1ELb1EhNS0_19identity_decomposerEEEEE10hipError_tT0_T1_T2_jT3_P12ihipStream_tbPNSt15iterator_traitsISE_E10value_typeEPNSK_ISF_E10value_typeEPSG_NS1_7vsmem_tEENKUlT_SE_SF_SG_E_clIS8_S8_S9_S9_EESD_ST_SE_SF_SG_EUlST_E0_NS1_11comp_targetILNS1_3genE5ELNS1_11target_archE942ELNS1_3gpuE9ELNS1_3repE0EEENS1_38merge_mergepath_config_static_selectorELNS0_4arch9wavefront6targetE0EEEvSF_.has_recursion, 0
	.set _ZN7rocprim17ROCPRIM_400000_NS6detail17trampoline_kernelINS0_14default_configENS1_38merge_sort_block_merge_config_selectorIhNS0_10empty_typeEEEZZNS1_27merge_sort_block_merge_implIS3_PhPS5_jNS1_19radix_merge_compareILb1ELb1EhNS0_19identity_decomposerEEEEE10hipError_tT0_T1_T2_jT3_P12ihipStream_tbPNSt15iterator_traitsISE_E10value_typeEPNSK_ISF_E10value_typeEPSG_NS1_7vsmem_tEENKUlT_SE_SF_SG_E_clIS8_S8_S9_S9_EESD_ST_SE_SF_SG_EUlST_E0_NS1_11comp_targetILNS1_3genE5ELNS1_11target_archE942ELNS1_3gpuE9ELNS1_3repE0EEENS1_38merge_mergepath_config_static_selectorELNS0_4arch9wavefront6targetE0EEEvSF_.has_indirect_call, 0
	.section	.AMDGPU.csdata,"",@progbits
; Kernel info:
; codeLenInByte = 0
; TotalNumSgprs: 0
; NumVgprs: 0
; ScratchSize: 0
; MemoryBound: 0
; FloatMode: 240
; IeeeMode: 1
; LDSByteSize: 0 bytes/workgroup (compile time only)
; SGPRBlocks: 0
; VGPRBlocks: 0
; NumSGPRsForWavesPerEU: 1
; NumVGPRsForWavesPerEU: 1
; NamedBarCnt: 0
; Occupancy: 16
; WaveLimiterHint : 0
; COMPUTE_PGM_RSRC2:SCRATCH_EN: 0
; COMPUTE_PGM_RSRC2:USER_SGPR: 2
; COMPUTE_PGM_RSRC2:TRAP_HANDLER: 0
; COMPUTE_PGM_RSRC2:TGID_X_EN: 1
; COMPUTE_PGM_RSRC2:TGID_Y_EN: 0
; COMPUTE_PGM_RSRC2:TGID_Z_EN: 0
; COMPUTE_PGM_RSRC2:TIDIG_COMP_CNT: 0
	.section	.text._ZN7rocprim17ROCPRIM_400000_NS6detail17trampoline_kernelINS0_14default_configENS1_38merge_sort_block_merge_config_selectorIhNS0_10empty_typeEEEZZNS1_27merge_sort_block_merge_implIS3_PhPS5_jNS1_19radix_merge_compareILb1ELb1EhNS0_19identity_decomposerEEEEE10hipError_tT0_T1_T2_jT3_P12ihipStream_tbPNSt15iterator_traitsISE_E10value_typeEPNSK_ISF_E10value_typeEPSG_NS1_7vsmem_tEENKUlT_SE_SF_SG_E_clIS8_S8_S9_S9_EESD_ST_SE_SF_SG_EUlST_E0_NS1_11comp_targetILNS1_3genE4ELNS1_11target_archE910ELNS1_3gpuE8ELNS1_3repE0EEENS1_38merge_mergepath_config_static_selectorELNS0_4arch9wavefront6targetE0EEEvSF_,"axG",@progbits,_ZN7rocprim17ROCPRIM_400000_NS6detail17trampoline_kernelINS0_14default_configENS1_38merge_sort_block_merge_config_selectorIhNS0_10empty_typeEEEZZNS1_27merge_sort_block_merge_implIS3_PhPS5_jNS1_19radix_merge_compareILb1ELb1EhNS0_19identity_decomposerEEEEE10hipError_tT0_T1_T2_jT3_P12ihipStream_tbPNSt15iterator_traitsISE_E10value_typeEPNSK_ISF_E10value_typeEPSG_NS1_7vsmem_tEENKUlT_SE_SF_SG_E_clIS8_S8_S9_S9_EESD_ST_SE_SF_SG_EUlST_E0_NS1_11comp_targetILNS1_3genE4ELNS1_11target_archE910ELNS1_3gpuE8ELNS1_3repE0EEENS1_38merge_mergepath_config_static_selectorELNS0_4arch9wavefront6targetE0EEEvSF_,comdat
	.protected	_ZN7rocprim17ROCPRIM_400000_NS6detail17trampoline_kernelINS0_14default_configENS1_38merge_sort_block_merge_config_selectorIhNS0_10empty_typeEEEZZNS1_27merge_sort_block_merge_implIS3_PhPS5_jNS1_19radix_merge_compareILb1ELb1EhNS0_19identity_decomposerEEEEE10hipError_tT0_T1_T2_jT3_P12ihipStream_tbPNSt15iterator_traitsISE_E10value_typeEPNSK_ISF_E10value_typeEPSG_NS1_7vsmem_tEENKUlT_SE_SF_SG_E_clIS8_S8_S9_S9_EESD_ST_SE_SF_SG_EUlST_E0_NS1_11comp_targetILNS1_3genE4ELNS1_11target_archE910ELNS1_3gpuE8ELNS1_3repE0EEENS1_38merge_mergepath_config_static_selectorELNS0_4arch9wavefront6targetE0EEEvSF_ ; -- Begin function _ZN7rocprim17ROCPRIM_400000_NS6detail17trampoline_kernelINS0_14default_configENS1_38merge_sort_block_merge_config_selectorIhNS0_10empty_typeEEEZZNS1_27merge_sort_block_merge_implIS3_PhPS5_jNS1_19radix_merge_compareILb1ELb1EhNS0_19identity_decomposerEEEEE10hipError_tT0_T1_T2_jT3_P12ihipStream_tbPNSt15iterator_traitsISE_E10value_typeEPNSK_ISF_E10value_typeEPSG_NS1_7vsmem_tEENKUlT_SE_SF_SG_E_clIS8_S8_S9_S9_EESD_ST_SE_SF_SG_EUlST_E0_NS1_11comp_targetILNS1_3genE4ELNS1_11target_archE910ELNS1_3gpuE8ELNS1_3repE0EEENS1_38merge_mergepath_config_static_selectorELNS0_4arch9wavefront6targetE0EEEvSF_
	.globl	_ZN7rocprim17ROCPRIM_400000_NS6detail17trampoline_kernelINS0_14default_configENS1_38merge_sort_block_merge_config_selectorIhNS0_10empty_typeEEEZZNS1_27merge_sort_block_merge_implIS3_PhPS5_jNS1_19radix_merge_compareILb1ELb1EhNS0_19identity_decomposerEEEEE10hipError_tT0_T1_T2_jT3_P12ihipStream_tbPNSt15iterator_traitsISE_E10value_typeEPNSK_ISF_E10value_typeEPSG_NS1_7vsmem_tEENKUlT_SE_SF_SG_E_clIS8_S8_S9_S9_EESD_ST_SE_SF_SG_EUlST_E0_NS1_11comp_targetILNS1_3genE4ELNS1_11target_archE910ELNS1_3gpuE8ELNS1_3repE0EEENS1_38merge_mergepath_config_static_selectorELNS0_4arch9wavefront6targetE0EEEvSF_
	.p2align	8
	.type	_ZN7rocprim17ROCPRIM_400000_NS6detail17trampoline_kernelINS0_14default_configENS1_38merge_sort_block_merge_config_selectorIhNS0_10empty_typeEEEZZNS1_27merge_sort_block_merge_implIS3_PhPS5_jNS1_19radix_merge_compareILb1ELb1EhNS0_19identity_decomposerEEEEE10hipError_tT0_T1_T2_jT3_P12ihipStream_tbPNSt15iterator_traitsISE_E10value_typeEPNSK_ISF_E10value_typeEPSG_NS1_7vsmem_tEENKUlT_SE_SF_SG_E_clIS8_S8_S9_S9_EESD_ST_SE_SF_SG_EUlST_E0_NS1_11comp_targetILNS1_3genE4ELNS1_11target_archE910ELNS1_3gpuE8ELNS1_3repE0EEENS1_38merge_mergepath_config_static_selectorELNS0_4arch9wavefront6targetE0EEEvSF_,@function
_ZN7rocprim17ROCPRIM_400000_NS6detail17trampoline_kernelINS0_14default_configENS1_38merge_sort_block_merge_config_selectorIhNS0_10empty_typeEEEZZNS1_27merge_sort_block_merge_implIS3_PhPS5_jNS1_19radix_merge_compareILb1ELb1EhNS0_19identity_decomposerEEEEE10hipError_tT0_T1_T2_jT3_P12ihipStream_tbPNSt15iterator_traitsISE_E10value_typeEPNSK_ISF_E10value_typeEPSG_NS1_7vsmem_tEENKUlT_SE_SF_SG_E_clIS8_S8_S9_S9_EESD_ST_SE_SF_SG_EUlST_E0_NS1_11comp_targetILNS1_3genE4ELNS1_11target_archE910ELNS1_3gpuE8ELNS1_3repE0EEENS1_38merge_mergepath_config_static_selectorELNS0_4arch9wavefront6targetE0EEEvSF_: ; @_ZN7rocprim17ROCPRIM_400000_NS6detail17trampoline_kernelINS0_14default_configENS1_38merge_sort_block_merge_config_selectorIhNS0_10empty_typeEEEZZNS1_27merge_sort_block_merge_implIS3_PhPS5_jNS1_19radix_merge_compareILb1ELb1EhNS0_19identity_decomposerEEEEE10hipError_tT0_T1_T2_jT3_P12ihipStream_tbPNSt15iterator_traitsISE_E10value_typeEPNSK_ISF_E10value_typeEPSG_NS1_7vsmem_tEENKUlT_SE_SF_SG_E_clIS8_S8_S9_S9_EESD_ST_SE_SF_SG_EUlST_E0_NS1_11comp_targetILNS1_3genE4ELNS1_11target_archE910ELNS1_3gpuE8ELNS1_3repE0EEENS1_38merge_mergepath_config_static_selectorELNS0_4arch9wavefront6targetE0EEEvSF_
; %bb.0:
	.section	.rodata,"a",@progbits
	.p2align	6, 0x0
	.amdhsa_kernel _ZN7rocprim17ROCPRIM_400000_NS6detail17trampoline_kernelINS0_14default_configENS1_38merge_sort_block_merge_config_selectorIhNS0_10empty_typeEEEZZNS1_27merge_sort_block_merge_implIS3_PhPS5_jNS1_19radix_merge_compareILb1ELb1EhNS0_19identity_decomposerEEEEE10hipError_tT0_T1_T2_jT3_P12ihipStream_tbPNSt15iterator_traitsISE_E10value_typeEPNSK_ISF_E10value_typeEPSG_NS1_7vsmem_tEENKUlT_SE_SF_SG_E_clIS8_S8_S9_S9_EESD_ST_SE_SF_SG_EUlST_E0_NS1_11comp_targetILNS1_3genE4ELNS1_11target_archE910ELNS1_3gpuE8ELNS1_3repE0EEENS1_38merge_mergepath_config_static_selectorELNS0_4arch9wavefront6targetE0EEEvSF_
		.amdhsa_group_segment_fixed_size 0
		.amdhsa_private_segment_fixed_size 0
		.amdhsa_kernarg_size 64
		.amdhsa_user_sgpr_count 2
		.amdhsa_user_sgpr_dispatch_ptr 0
		.amdhsa_user_sgpr_queue_ptr 0
		.amdhsa_user_sgpr_kernarg_segment_ptr 1
		.amdhsa_user_sgpr_dispatch_id 0
		.amdhsa_user_sgpr_kernarg_preload_length 0
		.amdhsa_user_sgpr_kernarg_preload_offset 0
		.amdhsa_user_sgpr_private_segment_size 0
		.amdhsa_wavefront_size32 1
		.amdhsa_uses_dynamic_stack 0
		.amdhsa_enable_private_segment 0
		.amdhsa_system_sgpr_workgroup_id_x 1
		.amdhsa_system_sgpr_workgroup_id_y 0
		.amdhsa_system_sgpr_workgroup_id_z 0
		.amdhsa_system_sgpr_workgroup_info 0
		.amdhsa_system_vgpr_workitem_id 0
		.amdhsa_next_free_vgpr 1
		.amdhsa_next_free_sgpr 1
		.amdhsa_named_barrier_count 0
		.amdhsa_reserve_vcc 0
		.amdhsa_float_round_mode_32 0
		.amdhsa_float_round_mode_16_64 0
		.amdhsa_float_denorm_mode_32 3
		.amdhsa_float_denorm_mode_16_64 3
		.amdhsa_fp16_overflow 0
		.amdhsa_memory_ordered 1
		.amdhsa_forward_progress 1
		.amdhsa_inst_pref_size 0
		.amdhsa_round_robin_scheduling 0
		.amdhsa_exception_fp_ieee_invalid_op 0
		.amdhsa_exception_fp_denorm_src 0
		.amdhsa_exception_fp_ieee_div_zero 0
		.amdhsa_exception_fp_ieee_overflow 0
		.amdhsa_exception_fp_ieee_underflow 0
		.amdhsa_exception_fp_ieee_inexact 0
		.amdhsa_exception_int_div_zero 0
	.end_amdhsa_kernel
	.section	.text._ZN7rocprim17ROCPRIM_400000_NS6detail17trampoline_kernelINS0_14default_configENS1_38merge_sort_block_merge_config_selectorIhNS0_10empty_typeEEEZZNS1_27merge_sort_block_merge_implIS3_PhPS5_jNS1_19radix_merge_compareILb1ELb1EhNS0_19identity_decomposerEEEEE10hipError_tT0_T1_T2_jT3_P12ihipStream_tbPNSt15iterator_traitsISE_E10value_typeEPNSK_ISF_E10value_typeEPSG_NS1_7vsmem_tEENKUlT_SE_SF_SG_E_clIS8_S8_S9_S9_EESD_ST_SE_SF_SG_EUlST_E0_NS1_11comp_targetILNS1_3genE4ELNS1_11target_archE910ELNS1_3gpuE8ELNS1_3repE0EEENS1_38merge_mergepath_config_static_selectorELNS0_4arch9wavefront6targetE0EEEvSF_,"axG",@progbits,_ZN7rocprim17ROCPRIM_400000_NS6detail17trampoline_kernelINS0_14default_configENS1_38merge_sort_block_merge_config_selectorIhNS0_10empty_typeEEEZZNS1_27merge_sort_block_merge_implIS3_PhPS5_jNS1_19radix_merge_compareILb1ELb1EhNS0_19identity_decomposerEEEEE10hipError_tT0_T1_T2_jT3_P12ihipStream_tbPNSt15iterator_traitsISE_E10value_typeEPNSK_ISF_E10value_typeEPSG_NS1_7vsmem_tEENKUlT_SE_SF_SG_E_clIS8_S8_S9_S9_EESD_ST_SE_SF_SG_EUlST_E0_NS1_11comp_targetILNS1_3genE4ELNS1_11target_archE910ELNS1_3gpuE8ELNS1_3repE0EEENS1_38merge_mergepath_config_static_selectorELNS0_4arch9wavefront6targetE0EEEvSF_,comdat
.Lfunc_end69:
	.size	_ZN7rocprim17ROCPRIM_400000_NS6detail17trampoline_kernelINS0_14default_configENS1_38merge_sort_block_merge_config_selectorIhNS0_10empty_typeEEEZZNS1_27merge_sort_block_merge_implIS3_PhPS5_jNS1_19radix_merge_compareILb1ELb1EhNS0_19identity_decomposerEEEEE10hipError_tT0_T1_T2_jT3_P12ihipStream_tbPNSt15iterator_traitsISE_E10value_typeEPNSK_ISF_E10value_typeEPSG_NS1_7vsmem_tEENKUlT_SE_SF_SG_E_clIS8_S8_S9_S9_EESD_ST_SE_SF_SG_EUlST_E0_NS1_11comp_targetILNS1_3genE4ELNS1_11target_archE910ELNS1_3gpuE8ELNS1_3repE0EEENS1_38merge_mergepath_config_static_selectorELNS0_4arch9wavefront6targetE0EEEvSF_, .Lfunc_end69-_ZN7rocprim17ROCPRIM_400000_NS6detail17trampoline_kernelINS0_14default_configENS1_38merge_sort_block_merge_config_selectorIhNS0_10empty_typeEEEZZNS1_27merge_sort_block_merge_implIS3_PhPS5_jNS1_19radix_merge_compareILb1ELb1EhNS0_19identity_decomposerEEEEE10hipError_tT0_T1_T2_jT3_P12ihipStream_tbPNSt15iterator_traitsISE_E10value_typeEPNSK_ISF_E10value_typeEPSG_NS1_7vsmem_tEENKUlT_SE_SF_SG_E_clIS8_S8_S9_S9_EESD_ST_SE_SF_SG_EUlST_E0_NS1_11comp_targetILNS1_3genE4ELNS1_11target_archE910ELNS1_3gpuE8ELNS1_3repE0EEENS1_38merge_mergepath_config_static_selectorELNS0_4arch9wavefront6targetE0EEEvSF_
                                        ; -- End function
	.set _ZN7rocprim17ROCPRIM_400000_NS6detail17trampoline_kernelINS0_14default_configENS1_38merge_sort_block_merge_config_selectorIhNS0_10empty_typeEEEZZNS1_27merge_sort_block_merge_implIS3_PhPS5_jNS1_19radix_merge_compareILb1ELb1EhNS0_19identity_decomposerEEEEE10hipError_tT0_T1_T2_jT3_P12ihipStream_tbPNSt15iterator_traitsISE_E10value_typeEPNSK_ISF_E10value_typeEPSG_NS1_7vsmem_tEENKUlT_SE_SF_SG_E_clIS8_S8_S9_S9_EESD_ST_SE_SF_SG_EUlST_E0_NS1_11comp_targetILNS1_3genE4ELNS1_11target_archE910ELNS1_3gpuE8ELNS1_3repE0EEENS1_38merge_mergepath_config_static_selectorELNS0_4arch9wavefront6targetE0EEEvSF_.num_vgpr, 0
	.set _ZN7rocprim17ROCPRIM_400000_NS6detail17trampoline_kernelINS0_14default_configENS1_38merge_sort_block_merge_config_selectorIhNS0_10empty_typeEEEZZNS1_27merge_sort_block_merge_implIS3_PhPS5_jNS1_19radix_merge_compareILb1ELb1EhNS0_19identity_decomposerEEEEE10hipError_tT0_T1_T2_jT3_P12ihipStream_tbPNSt15iterator_traitsISE_E10value_typeEPNSK_ISF_E10value_typeEPSG_NS1_7vsmem_tEENKUlT_SE_SF_SG_E_clIS8_S8_S9_S9_EESD_ST_SE_SF_SG_EUlST_E0_NS1_11comp_targetILNS1_3genE4ELNS1_11target_archE910ELNS1_3gpuE8ELNS1_3repE0EEENS1_38merge_mergepath_config_static_selectorELNS0_4arch9wavefront6targetE0EEEvSF_.num_agpr, 0
	.set _ZN7rocprim17ROCPRIM_400000_NS6detail17trampoline_kernelINS0_14default_configENS1_38merge_sort_block_merge_config_selectorIhNS0_10empty_typeEEEZZNS1_27merge_sort_block_merge_implIS3_PhPS5_jNS1_19radix_merge_compareILb1ELb1EhNS0_19identity_decomposerEEEEE10hipError_tT0_T1_T2_jT3_P12ihipStream_tbPNSt15iterator_traitsISE_E10value_typeEPNSK_ISF_E10value_typeEPSG_NS1_7vsmem_tEENKUlT_SE_SF_SG_E_clIS8_S8_S9_S9_EESD_ST_SE_SF_SG_EUlST_E0_NS1_11comp_targetILNS1_3genE4ELNS1_11target_archE910ELNS1_3gpuE8ELNS1_3repE0EEENS1_38merge_mergepath_config_static_selectorELNS0_4arch9wavefront6targetE0EEEvSF_.numbered_sgpr, 0
	.set _ZN7rocprim17ROCPRIM_400000_NS6detail17trampoline_kernelINS0_14default_configENS1_38merge_sort_block_merge_config_selectorIhNS0_10empty_typeEEEZZNS1_27merge_sort_block_merge_implIS3_PhPS5_jNS1_19radix_merge_compareILb1ELb1EhNS0_19identity_decomposerEEEEE10hipError_tT0_T1_T2_jT3_P12ihipStream_tbPNSt15iterator_traitsISE_E10value_typeEPNSK_ISF_E10value_typeEPSG_NS1_7vsmem_tEENKUlT_SE_SF_SG_E_clIS8_S8_S9_S9_EESD_ST_SE_SF_SG_EUlST_E0_NS1_11comp_targetILNS1_3genE4ELNS1_11target_archE910ELNS1_3gpuE8ELNS1_3repE0EEENS1_38merge_mergepath_config_static_selectorELNS0_4arch9wavefront6targetE0EEEvSF_.num_named_barrier, 0
	.set _ZN7rocprim17ROCPRIM_400000_NS6detail17trampoline_kernelINS0_14default_configENS1_38merge_sort_block_merge_config_selectorIhNS0_10empty_typeEEEZZNS1_27merge_sort_block_merge_implIS3_PhPS5_jNS1_19radix_merge_compareILb1ELb1EhNS0_19identity_decomposerEEEEE10hipError_tT0_T1_T2_jT3_P12ihipStream_tbPNSt15iterator_traitsISE_E10value_typeEPNSK_ISF_E10value_typeEPSG_NS1_7vsmem_tEENKUlT_SE_SF_SG_E_clIS8_S8_S9_S9_EESD_ST_SE_SF_SG_EUlST_E0_NS1_11comp_targetILNS1_3genE4ELNS1_11target_archE910ELNS1_3gpuE8ELNS1_3repE0EEENS1_38merge_mergepath_config_static_selectorELNS0_4arch9wavefront6targetE0EEEvSF_.private_seg_size, 0
	.set _ZN7rocprim17ROCPRIM_400000_NS6detail17trampoline_kernelINS0_14default_configENS1_38merge_sort_block_merge_config_selectorIhNS0_10empty_typeEEEZZNS1_27merge_sort_block_merge_implIS3_PhPS5_jNS1_19radix_merge_compareILb1ELb1EhNS0_19identity_decomposerEEEEE10hipError_tT0_T1_T2_jT3_P12ihipStream_tbPNSt15iterator_traitsISE_E10value_typeEPNSK_ISF_E10value_typeEPSG_NS1_7vsmem_tEENKUlT_SE_SF_SG_E_clIS8_S8_S9_S9_EESD_ST_SE_SF_SG_EUlST_E0_NS1_11comp_targetILNS1_3genE4ELNS1_11target_archE910ELNS1_3gpuE8ELNS1_3repE0EEENS1_38merge_mergepath_config_static_selectorELNS0_4arch9wavefront6targetE0EEEvSF_.uses_vcc, 0
	.set _ZN7rocprim17ROCPRIM_400000_NS6detail17trampoline_kernelINS0_14default_configENS1_38merge_sort_block_merge_config_selectorIhNS0_10empty_typeEEEZZNS1_27merge_sort_block_merge_implIS3_PhPS5_jNS1_19radix_merge_compareILb1ELb1EhNS0_19identity_decomposerEEEEE10hipError_tT0_T1_T2_jT3_P12ihipStream_tbPNSt15iterator_traitsISE_E10value_typeEPNSK_ISF_E10value_typeEPSG_NS1_7vsmem_tEENKUlT_SE_SF_SG_E_clIS8_S8_S9_S9_EESD_ST_SE_SF_SG_EUlST_E0_NS1_11comp_targetILNS1_3genE4ELNS1_11target_archE910ELNS1_3gpuE8ELNS1_3repE0EEENS1_38merge_mergepath_config_static_selectorELNS0_4arch9wavefront6targetE0EEEvSF_.uses_flat_scratch, 0
	.set _ZN7rocprim17ROCPRIM_400000_NS6detail17trampoline_kernelINS0_14default_configENS1_38merge_sort_block_merge_config_selectorIhNS0_10empty_typeEEEZZNS1_27merge_sort_block_merge_implIS3_PhPS5_jNS1_19radix_merge_compareILb1ELb1EhNS0_19identity_decomposerEEEEE10hipError_tT0_T1_T2_jT3_P12ihipStream_tbPNSt15iterator_traitsISE_E10value_typeEPNSK_ISF_E10value_typeEPSG_NS1_7vsmem_tEENKUlT_SE_SF_SG_E_clIS8_S8_S9_S9_EESD_ST_SE_SF_SG_EUlST_E0_NS1_11comp_targetILNS1_3genE4ELNS1_11target_archE910ELNS1_3gpuE8ELNS1_3repE0EEENS1_38merge_mergepath_config_static_selectorELNS0_4arch9wavefront6targetE0EEEvSF_.has_dyn_sized_stack, 0
	.set _ZN7rocprim17ROCPRIM_400000_NS6detail17trampoline_kernelINS0_14default_configENS1_38merge_sort_block_merge_config_selectorIhNS0_10empty_typeEEEZZNS1_27merge_sort_block_merge_implIS3_PhPS5_jNS1_19radix_merge_compareILb1ELb1EhNS0_19identity_decomposerEEEEE10hipError_tT0_T1_T2_jT3_P12ihipStream_tbPNSt15iterator_traitsISE_E10value_typeEPNSK_ISF_E10value_typeEPSG_NS1_7vsmem_tEENKUlT_SE_SF_SG_E_clIS8_S8_S9_S9_EESD_ST_SE_SF_SG_EUlST_E0_NS1_11comp_targetILNS1_3genE4ELNS1_11target_archE910ELNS1_3gpuE8ELNS1_3repE0EEENS1_38merge_mergepath_config_static_selectorELNS0_4arch9wavefront6targetE0EEEvSF_.has_recursion, 0
	.set _ZN7rocprim17ROCPRIM_400000_NS6detail17trampoline_kernelINS0_14default_configENS1_38merge_sort_block_merge_config_selectorIhNS0_10empty_typeEEEZZNS1_27merge_sort_block_merge_implIS3_PhPS5_jNS1_19radix_merge_compareILb1ELb1EhNS0_19identity_decomposerEEEEE10hipError_tT0_T1_T2_jT3_P12ihipStream_tbPNSt15iterator_traitsISE_E10value_typeEPNSK_ISF_E10value_typeEPSG_NS1_7vsmem_tEENKUlT_SE_SF_SG_E_clIS8_S8_S9_S9_EESD_ST_SE_SF_SG_EUlST_E0_NS1_11comp_targetILNS1_3genE4ELNS1_11target_archE910ELNS1_3gpuE8ELNS1_3repE0EEENS1_38merge_mergepath_config_static_selectorELNS0_4arch9wavefront6targetE0EEEvSF_.has_indirect_call, 0
	.section	.AMDGPU.csdata,"",@progbits
; Kernel info:
; codeLenInByte = 0
; TotalNumSgprs: 0
; NumVgprs: 0
; ScratchSize: 0
; MemoryBound: 0
; FloatMode: 240
; IeeeMode: 1
; LDSByteSize: 0 bytes/workgroup (compile time only)
; SGPRBlocks: 0
; VGPRBlocks: 0
; NumSGPRsForWavesPerEU: 1
; NumVGPRsForWavesPerEU: 1
; NamedBarCnt: 0
; Occupancy: 16
; WaveLimiterHint : 0
; COMPUTE_PGM_RSRC2:SCRATCH_EN: 0
; COMPUTE_PGM_RSRC2:USER_SGPR: 2
; COMPUTE_PGM_RSRC2:TRAP_HANDLER: 0
; COMPUTE_PGM_RSRC2:TGID_X_EN: 1
; COMPUTE_PGM_RSRC2:TGID_Y_EN: 0
; COMPUTE_PGM_RSRC2:TGID_Z_EN: 0
; COMPUTE_PGM_RSRC2:TIDIG_COMP_CNT: 0
	.section	.text._ZN7rocprim17ROCPRIM_400000_NS6detail17trampoline_kernelINS0_14default_configENS1_38merge_sort_block_merge_config_selectorIhNS0_10empty_typeEEEZZNS1_27merge_sort_block_merge_implIS3_PhPS5_jNS1_19radix_merge_compareILb1ELb1EhNS0_19identity_decomposerEEEEE10hipError_tT0_T1_T2_jT3_P12ihipStream_tbPNSt15iterator_traitsISE_E10value_typeEPNSK_ISF_E10value_typeEPSG_NS1_7vsmem_tEENKUlT_SE_SF_SG_E_clIS8_S8_S9_S9_EESD_ST_SE_SF_SG_EUlST_E0_NS1_11comp_targetILNS1_3genE3ELNS1_11target_archE908ELNS1_3gpuE7ELNS1_3repE0EEENS1_38merge_mergepath_config_static_selectorELNS0_4arch9wavefront6targetE0EEEvSF_,"axG",@progbits,_ZN7rocprim17ROCPRIM_400000_NS6detail17trampoline_kernelINS0_14default_configENS1_38merge_sort_block_merge_config_selectorIhNS0_10empty_typeEEEZZNS1_27merge_sort_block_merge_implIS3_PhPS5_jNS1_19radix_merge_compareILb1ELb1EhNS0_19identity_decomposerEEEEE10hipError_tT0_T1_T2_jT3_P12ihipStream_tbPNSt15iterator_traitsISE_E10value_typeEPNSK_ISF_E10value_typeEPSG_NS1_7vsmem_tEENKUlT_SE_SF_SG_E_clIS8_S8_S9_S9_EESD_ST_SE_SF_SG_EUlST_E0_NS1_11comp_targetILNS1_3genE3ELNS1_11target_archE908ELNS1_3gpuE7ELNS1_3repE0EEENS1_38merge_mergepath_config_static_selectorELNS0_4arch9wavefront6targetE0EEEvSF_,comdat
	.protected	_ZN7rocprim17ROCPRIM_400000_NS6detail17trampoline_kernelINS0_14default_configENS1_38merge_sort_block_merge_config_selectorIhNS0_10empty_typeEEEZZNS1_27merge_sort_block_merge_implIS3_PhPS5_jNS1_19radix_merge_compareILb1ELb1EhNS0_19identity_decomposerEEEEE10hipError_tT0_T1_T2_jT3_P12ihipStream_tbPNSt15iterator_traitsISE_E10value_typeEPNSK_ISF_E10value_typeEPSG_NS1_7vsmem_tEENKUlT_SE_SF_SG_E_clIS8_S8_S9_S9_EESD_ST_SE_SF_SG_EUlST_E0_NS1_11comp_targetILNS1_3genE3ELNS1_11target_archE908ELNS1_3gpuE7ELNS1_3repE0EEENS1_38merge_mergepath_config_static_selectorELNS0_4arch9wavefront6targetE0EEEvSF_ ; -- Begin function _ZN7rocprim17ROCPRIM_400000_NS6detail17trampoline_kernelINS0_14default_configENS1_38merge_sort_block_merge_config_selectorIhNS0_10empty_typeEEEZZNS1_27merge_sort_block_merge_implIS3_PhPS5_jNS1_19radix_merge_compareILb1ELb1EhNS0_19identity_decomposerEEEEE10hipError_tT0_T1_T2_jT3_P12ihipStream_tbPNSt15iterator_traitsISE_E10value_typeEPNSK_ISF_E10value_typeEPSG_NS1_7vsmem_tEENKUlT_SE_SF_SG_E_clIS8_S8_S9_S9_EESD_ST_SE_SF_SG_EUlST_E0_NS1_11comp_targetILNS1_3genE3ELNS1_11target_archE908ELNS1_3gpuE7ELNS1_3repE0EEENS1_38merge_mergepath_config_static_selectorELNS0_4arch9wavefront6targetE0EEEvSF_
	.globl	_ZN7rocprim17ROCPRIM_400000_NS6detail17trampoline_kernelINS0_14default_configENS1_38merge_sort_block_merge_config_selectorIhNS0_10empty_typeEEEZZNS1_27merge_sort_block_merge_implIS3_PhPS5_jNS1_19radix_merge_compareILb1ELb1EhNS0_19identity_decomposerEEEEE10hipError_tT0_T1_T2_jT3_P12ihipStream_tbPNSt15iterator_traitsISE_E10value_typeEPNSK_ISF_E10value_typeEPSG_NS1_7vsmem_tEENKUlT_SE_SF_SG_E_clIS8_S8_S9_S9_EESD_ST_SE_SF_SG_EUlST_E0_NS1_11comp_targetILNS1_3genE3ELNS1_11target_archE908ELNS1_3gpuE7ELNS1_3repE0EEENS1_38merge_mergepath_config_static_selectorELNS0_4arch9wavefront6targetE0EEEvSF_
	.p2align	8
	.type	_ZN7rocprim17ROCPRIM_400000_NS6detail17trampoline_kernelINS0_14default_configENS1_38merge_sort_block_merge_config_selectorIhNS0_10empty_typeEEEZZNS1_27merge_sort_block_merge_implIS3_PhPS5_jNS1_19radix_merge_compareILb1ELb1EhNS0_19identity_decomposerEEEEE10hipError_tT0_T1_T2_jT3_P12ihipStream_tbPNSt15iterator_traitsISE_E10value_typeEPNSK_ISF_E10value_typeEPSG_NS1_7vsmem_tEENKUlT_SE_SF_SG_E_clIS8_S8_S9_S9_EESD_ST_SE_SF_SG_EUlST_E0_NS1_11comp_targetILNS1_3genE3ELNS1_11target_archE908ELNS1_3gpuE7ELNS1_3repE0EEENS1_38merge_mergepath_config_static_selectorELNS0_4arch9wavefront6targetE0EEEvSF_,@function
_ZN7rocprim17ROCPRIM_400000_NS6detail17trampoline_kernelINS0_14default_configENS1_38merge_sort_block_merge_config_selectorIhNS0_10empty_typeEEEZZNS1_27merge_sort_block_merge_implIS3_PhPS5_jNS1_19radix_merge_compareILb1ELb1EhNS0_19identity_decomposerEEEEE10hipError_tT0_T1_T2_jT3_P12ihipStream_tbPNSt15iterator_traitsISE_E10value_typeEPNSK_ISF_E10value_typeEPSG_NS1_7vsmem_tEENKUlT_SE_SF_SG_E_clIS8_S8_S9_S9_EESD_ST_SE_SF_SG_EUlST_E0_NS1_11comp_targetILNS1_3genE3ELNS1_11target_archE908ELNS1_3gpuE7ELNS1_3repE0EEENS1_38merge_mergepath_config_static_selectorELNS0_4arch9wavefront6targetE0EEEvSF_: ; @_ZN7rocprim17ROCPRIM_400000_NS6detail17trampoline_kernelINS0_14default_configENS1_38merge_sort_block_merge_config_selectorIhNS0_10empty_typeEEEZZNS1_27merge_sort_block_merge_implIS3_PhPS5_jNS1_19radix_merge_compareILb1ELb1EhNS0_19identity_decomposerEEEEE10hipError_tT0_T1_T2_jT3_P12ihipStream_tbPNSt15iterator_traitsISE_E10value_typeEPNSK_ISF_E10value_typeEPSG_NS1_7vsmem_tEENKUlT_SE_SF_SG_E_clIS8_S8_S9_S9_EESD_ST_SE_SF_SG_EUlST_E0_NS1_11comp_targetILNS1_3genE3ELNS1_11target_archE908ELNS1_3gpuE7ELNS1_3repE0EEENS1_38merge_mergepath_config_static_selectorELNS0_4arch9wavefront6targetE0EEEvSF_
; %bb.0:
	.section	.rodata,"a",@progbits
	.p2align	6, 0x0
	.amdhsa_kernel _ZN7rocprim17ROCPRIM_400000_NS6detail17trampoline_kernelINS0_14default_configENS1_38merge_sort_block_merge_config_selectorIhNS0_10empty_typeEEEZZNS1_27merge_sort_block_merge_implIS3_PhPS5_jNS1_19radix_merge_compareILb1ELb1EhNS0_19identity_decomposerEEEEE10hipError_tT0_T1_T2_jT3_P12ihipStream_tbPNSt15iterator_traitsISE_E10value_typeEPNSK_ISF_E10value_typeEPSG_NS1_7vsmem_tEENKUlT_SE_SF_SG_E_clIS8_S8_S9_S9_EESD_ST_SE_SF_SG_EUlST_E0_NS1_11comp_targetILNS1_3genE3ELNS1_11target_archE908ELNS1_3gpuE7ELNS1_3repE0EEENS1_38merge_mergepath_config_static_selectorELNS0_4arch9wavefront6targetE0EEEvSF_
		.amdhsa_group_segment_fixed_size 0
		.amdhsa_private_segment_fixed_size 0
		.amdhsa_kernarg_size 64
		.amdhsa_user_sgpr_count 2
		.amdhsa_user_sgpr_dispatch_ptr 0
		.amdhsa_user_sgpr_queue_ptr 0
		.amdhsa_user_sgpr_kernarg_segment_ptr 1
		.amdhsa_user_sgpr_dispatch_id 0
		.amdhsa_user_sgpr_kernarg_preload_length 0
		.amdhsa_user_sgpr_kernarg_preload_offset 0
		.amdhsa_user_sgpr_private_segment_size 0
		.amdhsa_wavefront_size32 1
		.amdhsa_uses_dynamic_stack 0
		.amdhsa_enable_private_segment 0
		.amdhsa_system_sgpr_workgroup_id_x 1
		.amdhsa_system_sgpr_workgroup_id_y 0
		.amdhsa_system_sgpr_workgroup_id_z 0
		.amdhsa_system_sgpr_workgroup_info 0
		.amdhsa_system_vgpr_workitem_id 0
		.amdhsa_next_free_vgpr 1
		.amdhsa_next_free_sgpr 1
		.amdhsa_named_barrier_count 0
		.amdhsa_reserve_vcc 0
		.amdhsa_float_round_mode_32 0
		.amdhsa_float_round_mode_16_64 0
		.amdhsa_float_denorm_mode_32 3
		.amdhsa_float_denorm_mode_16_64 3
		.amdhsa_fp16_overflow 0
		.amdhsa_memory_ordered 1
		.amdhsa_forward_progress 1
		.amdhsa_inst_pref_size 0
		.amdhsa_round_robin_scheduling 0
		.amdhsa_exception_fp_ieee_invalid_op 0
		.amdhsa_exception_fp_denorm_src 0
		.amdhsa_exception_fp_ieee_div_zero 0
		.amdhsa_exception_fp_ieee_overflow 0
		.amdhsa_exception_fp_ieee_underflow 0
		.amdhsa_exception_fp_ieee_inexact 0
		.amdhsa_exception_int_div_zero 0
	.end_amdhsa_kernel
	.section	.text._ZN7rocprim17ROCPRIM_400000_NS6detail17trampoline_kernelINS0_14default_configENS1_38merge_sort_block_merge_config_selectorIhNS0_10empty_typeEEEZZNS1_27merge_sort_block_merge_implIS3_PhPS5_jNS1_19radix_merge_compareILb1ELb1EhNS0_19identity_decomposerEEEEE10hipError_tT0_T1_T2_jT3_P12ihipStream_tbPNSt15iterator_traitsISE_E10value_typeEPNSK_ISF_E10value_typeEPSG_NS1_7vsmem_tEENKUlT_SE_SF_SG_E_clIS8_S8_S9_S9_EESD_ST_SE_SF_SG_EUlST_E0_NS1_11comp_targetILNS1_3genE3ELNS1_11target_archE908ELNS1_3gpuE7ELNS1_3repE0EEENS1_38merge_mergepath_config_static_selectorELNS0_4arch9wavefront6targetE0EEEvSF_,"axG",@progbits,_ZN7rocprim17ROCPRIM_400000_NS6detail17trampoline_kernelINS0_14default_configENS1_38merge_sort_block_merge_config_selectorIhNS0_10empty_typeEEEZZNS1_27merge_sort_block_merge_implIS3_PhPS5_jNS1_19radix_merge_compareILb1ELb1EhNS0_19identity_decomposerEEEEE10hipError_tT0_T1_T2_jT3_P12ihipStream_tbPNSt15iterator_traitsISE_E10value_typeEPNSK_ISF_E10value_typeEPSG_NS1_7vsmem_tEENKUlT_SE_SF_SG_E_clIS8_S8_S9_S9_EESD_ST_SE_SF_SG_EUlST_E0_NS1_11comp_targetILNS1_3genE3ELNS1_11target_archE908ELNS1_3gpuE7ELNS1_3repE0EEENS1_38merge_mergepath_config_static_selectorELNS0_4arch9wavefront6targetE0EEEvSF_,comdat
.Lfunc_end70:
	.size	_ZN7rocprim17ROCPRIM_400000_NS6detail17trampoline_kernelINS0_14default_configENS1_38merge_sort_block_merge_config_selectorIhNS0_10empty_typeEEEZZNS1_27merge_sort_block_merge_implIS3_PhPS5_jNS1_19radix_merge_compareILb1ELb1EhNS0_19identity_decomposerEEEEE10hipError_tT0_T1_T2_jT3_P12ihipStream_tbPNSt15iterator_traitsISE_E10value_typeEPNSK_ISF_E10value_typeEPSG_NS1_7vsmem_tEENKUlT_SE_SF_SG_E_clIS8_S8_S9_S9_EESD_ST_SE_SF_SG_EUlST_E0_NS1_11comp_targetILNS1_3genE3ELNS1_11target_archE908ELNS1_3gpuE7ELNS1_3repE0EEENS1_38merge_mergepath_config_static_selectorELNS0_4arch9wavefront6targetE0EEEvSF_, .Lfunc_end70-_ZN7rocprim17ROCPRIM_400000_NS6detail17trampoline_kernelINS0_14default_configENS1_38merge_sort_block_merge_config_selectorIhNS0_10empty_typeEEEZZNS1_27merge_sort_block_merge_implIS3_PhPS5_jNS1_19radix_merge_compareILb1ELb1EhNS0_19identity_decomposerEEEEE10hipError_tT0_T1_T2_jT3_P12ihipStream_tbPNSt15iterator_traitsISE_E10value_typeEPNSK_ISF_E10value_typeEPSG_NS1_7vsmem_tEENKUlT_SE_SF_SG_E_clIS8_S8_S9_S9_EESD_ST_SE_SF_SG_EUlST_E0_NS1_11comp_targetILNS1_3genE3ELNS1_11target_archE908ELNS1_3gpuE7ELNS1_3repE0EEENS1_38merge_mergepath_config_static_selectorELNS0_4arch9wavefront6targetE0EEEvSF_
                                        ; -- End function
	.set _ZN7rocprim17ROCPRIM_400000_NS6detail17trampoline_kernelINS0_14default_configENS1_38merge_sort_block_merge_config_selectorIhNS0_10empty_typeEEEZZNS1_27merge_sort_block_merge_implIS3_PhPS5_jNS1_19radix_merge_compareILb1ELb1EhNS0_19identity_decomposerEEEEE10hipError_tT0_T1_T2_jT3_P12ihipStream_tbPNSt15iterator_traitsISE_E10value_typeEPNSK_ISF_E10value_typeEPSG_NS1_7vsmem_tEENKUlT_SE_SF_SG_E_clIS8_S8_S9_S9_EESD_ST_SE_SF_SG_EUlST_E0_NS1_11comp_targetILNS1_3genE3ELNS1_11target_archE908ELNS1_3gpuE7ELNS1_3repE0EEENS1_38merge_mergepath_config_static_selectorELNS0_4arch9wavefront6targetE0EEEvSF_.num_vgpr, 0
	.set _ZN7rocprim17ROCPRIM_400000_NS6detail17trampoline_kernelINS0_14default_configENS1_38merge_sort_block_merge_config_selectorIhNS0_10empty_typeEEEZZNS1_27merge_sort_block_merge_implIS3_PhPS5_jNS1_19radix_merge_compareILb1ELb1EhNS0_19identity_decomposerEEEEE10hipError_tT0_T1_T2_jT3_P12ihipStream_tbPNSt15iterator_traitsISE_E10value_typeEPNSK_ISF_E10value_typeEPSG_NS1_7vsmem_tEENKUlT_SE_SF_SG_E_clIS8_S8_S9_S9_EESD_ST_SE_SF_SG_EUlST_E0_NS1_11comp_targetILNS1_3genE3ELNS1_11target_archE908ELNS1_3gpuE7ELNS1_3repE0EEENS1_38merge_mergepath_config_static_selectorELNS0_4arch9wavefront6targetE0EEEvSF_.num_agpr, 0
	.set _ZN7rocprim17ROCPRIM_400000_NS6detail17trampoline_kernelINS0_14default_configENS1_38merge_sort_block_merge_config_selectorIhNS0_10empty_typeEEEZZNS1_27merge_sort_block_merge_implIS3_PhPS5_jNS1_19radix_merge_compareILb1ELb1EhNS0_19identity_decomposerEEEEE10hipError_tT0_T1_T2_jT3_P12ihipStream_tbPNSt15iterator_traitsISE_E10value_typeEPNSK_ISF_E10value_typeEPSG_NS1_7vsmem_tEENKUlT_SE_SF_SG_E_clIS8_S8_S9_S9_EESD_ST_SE_SF_SG_EUlST_E0_NS1_11comp_targetILNS1_3genE3ELNS1_11target_archE908ELNS1_3gpuE7ELNS1_3repE0EEENS1_38merge_mergepath_config_static_selectorELNS0_4arch9wavefront6targetE0EEEvSF_.numbered_sgpr, 0
	.set _ZN7rocprim17ROCPRIM_400000_NS6detail17trampoline_kernelINS0_14default_configENS1_38merge_sort_block_merge_config_selectorIhNS0_10empty_typeEEEZZNS1_27merge_sort_block_merge_implIS3_PhPS5_jNS1_19radix_merge_compareILb1ELb1EhNS0_19identity_decomposerEEEEE10hipError_tT0_T1_T2_jT3_P12ihipStream_tbPNSt15iterator_traitsISE_E10value_typeEPNSK_ISF_E10value_typeEPSG_NS1_7vsmem_tEENKUlT_SE_SF_SG_E_clIS8_S8_S9_S9_EESD_ST_SE_SF_SG_EUlST_E0_NS1_11comp_targetILNS1_3genE3ELNS1_11target_archE908ELNS1_3gpuE7ELNS1_3repE0EEENS1_38merge_mergepath_config_static_selectorELNS0_4arch9wavefront6targetE0EEEvSF_.num_named_barrier, 0
	.set _ZN7rocprim17ROCPRIM_400000_NS6detail17trampoline_kernelINS0_14default_configENS1_38merge_sort_block_merge_config_selectorIhNS0_10empty_typeEEEZZNS1_27merge_sort_block_merge_implIS3_PhPS5_jNS1_19radix_merge_compareILb1ELb1EhNS0_19identity_decomposerEEEEE10hipError_tT0_T1_T2_jT3_P12ihipStream_tbPNSt15iterator_traitsISE_E10value_typeEPNSK_ISF_E10value_typeEPSG_NS1_7vsmem_tEENKUlT_SE_SF_SG_E_clIS8_S8_S9_S9_EESD_ST_SE_SF_SG_EUlST_E0_NS1_11comp_targetILNS1_3genE3ELNS1_11target_archE908ELNS1_3gpuE7ELNS1_3repE0EEENS1_38merge_mergepath_config_static_selectorELNS0_4arch9wavefront6targetE0EEEvSF_.private_seg_size, 0
	.set _ZN7rocprim17ROCPRIM_400000_NS6detail17trampoline_kernelINS0_14default_configENS1_38merge_sort_block_merge_config_selectorIhNS0_10empty_typeEEEZZNS1_27merge_sort_block_merge_implIS3_PhPS5_jNS1_19radix_merge_compareILb1ELb1EhNS0_19identity_decomposerEEEEE10hipError_tT0_T1_T2_jT3_P12ihipStream_tbPNSt15iterator_traitsISE_E10value_typeEPNSK_ISF_E10value_typeEPSG_NS1_7vsmem_tEENKUlT_SE_SF_SG_E_clIS8_S8_S9_S9_EESD_ST_SE_SF_SG_EUlST_E0_NS1_11comp_targetILNS1_3genE3ELNS1_11target_archE908ELNS1_3gpuE7ELNS1_3repE0EEENS1_38merge_mergepath_config_static_selectorELNS0_4arch9wavefront6targetE0EEEvSF_.uses_vcc, 0
	.set _ZN7rocprim17ROCPRIM_400000_NS6detail17trampoline_kernelINS0_14default_configENS1_38merge_sort_block_merge_config_selectorIhNS0_10empty_typeEEEZZNS1_27merge_sort_block_merge_implIS3_PhPS5_jNS1_19radix_merge_compareILb1ELb1EhNS0_19identity_decomposerEEEEE10hipError_tT0_T1_T2_jT3_P12ihipStream_tbPNSt15iterator_traitsISE_E10value_typeEPNSK_ISF_E10value_typeEPSG_NS1_7vsmem_tEENKUlT_SE_SF_SG_E_clIS8_S8_S9_S9_EESD_ST_SE_SF_SG_EUlST_E0_NS1_11comp_targetILNS1_3genE3ELNS1_11target_archE908ELNS1_3gpuE7ELNS1_3repE0EEENS1_38merge_mergepath_config_static_selectorELNS0_4arch9wavefront6targetE0EEEvSF_.uses_flat_scratch, 0
	.set _ZN7rocprim17ROCPRIM_400000_NS6detail17trampoline_kernelINS0_14default_configENS1_38merge_sort_block_merge_config_selectorIhNS0_10empty_typeEEEZZNS1_27merge_sort_block_merge_implIS3_PhPS5_jNS1_19radix_merge_compareILb1ELb1EhNS0_19identity_decomposerEEEEE10hipError_tT0_T1_T2_jT3_P12ihipStream_tbPNSt15iterator_traitsISE_E10value_typeEPNSK_ISF_E10value_typeEPSG_NS1_7vsmem_tEENKUlT_SE_SF_SG_E_clIS8_S8_S9_S9_EESD_ST_SE_SF_SG_EUlST_E0_NS1_11comp_targetILNS1_3genE3ELNS1_11target_archE908ELNS1_3gpuE7ELNS1_3repE0EEENS1_38merge_mergepath_config_static_selectorELNS0_4arch9wavefront6targetE0EEEvSF_.has_dyn_sized_stack, 0
	.set _ZN7rocprim17ROCPRIM_400000_NS6detail17trampoline_kernelINS0_14default_configENS1_38merge_sort_block_merge_config_selectorIhNS0_10empty_typeEEEZZNS1_27merge_sort_block_merge_implIS3_PhPS5_jNS1_19radix_merge_compareILb1ELb1EhNS0_19identity_decomposerEEEEE10hipError_tT0_T1_T2_jT3_P12ihipStream_tbPNSt15iterator_traitsISE_E10value_typeEPNSK_ISF_E10value_typeEPSG_NS1_7vsmem_tEENKUlT_SE_SF_SG_E_clIS8_S8_S9_S9_EESD_ST_SE_SF_SG_EUlST_E0_NS1_11comp_targetILNS1_3genE3ELNS1_11target_archE908ELNS1_3gpuE7ELNS1_3repE0EEENS1_38merge_mergepath_config_static_selectorELNS0_4arch9wavefront6targetE0EEEvSF_.has_recursion, 0
	.set _ZN7rocprim17ROCPRIM_400000_NS6detail17trampoline_kernelINS0_14default_configENS1_38merge_sort_block_merge_config_selectorIhNS0_10empty_typeEEEZZNS1_27merge_sort_block_merge_implIS3_PhPS5_jNS1_19radix_merge_compareILb1ELb1EhNS0_19identity_decomposerEEEEE10hipError_tT0_T1_T2_jT3_P12ihipStream_tbPNSt15iterator_traitsISE_E10value_typeEPNSK_ISF_E10value_typeEPSG_NS1_7vsmem_tEENKUlT_SE_SF_SG_E_clIS8_S8_S9_S9_EESD_ST_SE_SF_SG_EUlST_E0_NS1_11comp_targetILNS1_3genE3ELNS1_11target_archE908ELNS1_3gpuE7ELNS1_3repE0EEENS1_38merge_mergepath_config_static_selectorELNS0_4arch9wavefront6targetE0EEEvSF_.has_indirect_call, 0
	.section	.AMDGPU.csdata,"",@progbits
; Kernel info:
; codeLenInByte = 0
; TotalNumSgprs: 0
; NumVgprs: 0
; ScratchSize: 0
; MemoryBound: 0
; FloatMode: 240
; IeeeMode: 1
; LDSByteSize: 0 bytes/workgroup (compile time only)
; SGPRBlocks: 0
; VGPRBlocks: 0
; NumSGPRsForWavesPerEU: 1
; NumVGPRsForWavesPerEU: 1
; NamedBarCnt: 0
; Occupancy: 16
; WaveLimiterHint : 0
; COMPUTE_PGM_RSRC2:SCRATCH_EN: 0
; COMPUTE_PGM_RSRC2:USER_SGPR: 2
; COMPUTE_PGM_RSRC2:TRAP_HANDLER: 0
; COMPUTE_PGM_RSRC2:TGID_X_EN: 1
; COMPUTE_PGM_RSRC2:TGID_Y_EN: 0
; COMPUTE_PGM_RSRC2:TGID_Z_EN: 0
; COMPUTE_PGM_RSRC2:TIDIG_COMP_CNT: 0
	.section	.text._ZN7rocprim17ROCPRIM_400000_NS6detail17trampoline_kernelINS0_14default_configENS1_38merge_sort_block_merge_config_selectorIhNS0_10empty_typeEEEZZNS1_27merge_sort_block_merge_implIS3_PhPS5_jNS1_19radix_merge_compareILb1ELb1EhNS0_19identity_decomposerEEEEE10hipError_tT0_T1_T2_jT3_P12ihipStream_tbPNSt15iterator_traitsISE_E10value_typeEPNSK_ISF_E10value_typeEPSG_NS1_7vsmem_tEENKUlT_SE_SF_SG_E_clIS8_S8_S9_S9_EESD_ST_SE_SF_SG_EUlST_E0_NS1_11comp_targetILNS1_3genE2ELNS1_11target_archE906ELNS1_3gpuE6ELNS1_3repE0EEENS1_38merge_mergepath_config_static_selectorELNS0_4arch9wavefront6targetE0EEEvSF_,"axG",@progbits,_ZN7rocprim17ROCPRIM_400000_NS6detail17trampoline_kernelINS0_14default_configENS1_38merge_sort_block_merge_config_selectorIhNS0_10empty_typeEEEZZNS1_27merge_sort_block_merge_implIS3_PhPS5_jNS1_19radix_merge_compareILb1ELb1EhNS0_19identity_decomposerEEEEE10hipError_tT0_T1_T2_jT3_P12ihipStream_tbPNSt15iterator_traitsISE_E10value_typeEPNSK_ISF_E10value_typeEPSG_NS1_7vsmem_tEENKUlT_SE_SF_SG_E_clIS8_S8_S9_S9_EESD_ST_SE_SF_SG_EUlST_E0_NS1_11comp_targetILNS1_3genE2ELNS1_11target_archE906ELNS1_3gpuE6ELNS1_3repE0EEENS1_38merge_mergepath_config_static_selectorELNS0_4arch9wavefront6targetE0EEEvSF_,comdat
	.protected	_ZN7rocprim17ROCPRIM_400000_NS6detail17trampoline_kernelINS0_14default_configENS1_38merge_sort_block_merge_config_selectorIhNS0_10empty_typeEEEZZNS1_27merge_sort_block_merge_implIS3_PhPS5_jNS1_19radix_merge_compareILb1ELb1EhNS0_19identity_decomposerEEEEE10hipError_tT0_T1_T2_jT3_P12ihipStream_tbPNSt15iterator_traitsISE_E10value_typeEPNSK_ISF_E10value_typeEPSG_NS1_7vsmem_tEENKUlT_SE_SF_SG_E_clIS8_S8_S9_S9_EESD_ST_SE_SF_SG_EUlST_E0_NS1_11comp_targetILNS1_3genE2ELNS1_11target_archE906ELNS1_3gpuE6ELNS1_3repE0EEENS1_38merge_mergepath_config_static_selectorELNS0_4arch9wavefront6targetE0EEEvSF_ ; -- Begin function _ZN7rocprim17ROCPRIM_400000_NS6detail17trampoline_kernelINS0_14default_configENS1_38merge_sort_block_merge_config_selectorIhNS0_10empty_typeEEEZZNS1_27merge_sort_block_merge_implIS3_PhPS5_jNS1_19radix_merge_compareILb1ELb1EhNS0_19identity_decomposerEEEEE10hipError_tT0_T1_T2_jT3_P12ihipStream_tbPNSt15iterator_traitsISE_E10value_typeEPNSK_ISF_E10value_typeEPSG_NS1_7vsmem_tEENKUlT_SE_SF_SG_E_clIS8_S8_S9_S9_EESD_ST_SE_SF_SG_EUlST_E0_NS1_11comp_targetILNS1_3genE2ELNS1_11target_archE906ELNS1_3gpuE6ELNS1_3repE0EEENS1_38merge_mergepath_config_static_selectorELNS0_4arch9wavefront6targetE0EEEvSF_
	.globl	_ZN7rocprim17ROCPRIM_400000_NS6detail17trampoline_kernelINS0_14default_configENS1_38merge_sort_block_merge_config_selectorIhNS0_10empty_typeEEEZZNS1_27merge_sort_block_merge_implIS3_PhPS5_jNS1_19radix_merge_compareILb1ELb1EhNS0_19identity_decomposerEEEEE10hipError_tT0_T1_T2_jT3_P12ihipStream_tbPNSt15iterator_traitsISE_E10value_typeEPNSK_ISF_E10value_typeEPSG_NS1_7vsmem_tEENKUlT_SE_SF_SG_E_clIS8_S8_S9_S9_EESD_ST_SE_SF_SG_EUlST_E0_NS1_11comp_targetILNS1_3genE2ELNS1_11target_archE906ELNS1_3gpuE6ELNS1_3repE0EEENS1_38merge_mergepath_config_static_selectorELNS0_4arch9wavefront6targetE0EEEvSF_
	.p2align	8
	.type	_ZN7rocprim17ROCPRIM_400000_NS6detail17trampoline_kernelINS0_14default_configENS1_38merge_sort_block_merge_config_selectorIhNS0_10empty_typeEEEZZNS1_27merge_sort_block_merge_implIS3_PhPS5_jNS1_19radix_merge_compareILb1ELb1EhNS0_19identity_decomposerEEEEE10hipError_tT0_T1_T2_jT3_P12ihipStream_tbPNSt15iterator_traitsISE_E10value_typeEPNSK_ISF_E10value_typeEPSG_NS1_7vsmem_tEENKUlT_SE_SF_SG_E_clIS8_S8_S9_S9_EESD_ST_SE_SF_SG_EUlST_E0_NS1_11comp_targetILNS1_3genE2ELNS1_11target_archE906ELNS1_3gpuE6ELNS1_3repE0EEENS1_38merge_mergepath_config_static_selectorELNS0_4arch9wavefront6targetE0EEEvSF_,@function
_ZN7rocprim17ROCPRIM_400000_NS6detail17trampoline_kernelINS0_14default_configENS1_38merge_sort_block_merge_config_selectorIhNS0_10empty_typeEEEZZNS1_27merge_sort_block_merge_implIS3_PhPS5_jNS1_19radix_merge_compareILb1ELb1EhNS0_19identity_decomposerEEEEE10hipError_tT0_T1_T2_jT3_P12ihipStream_tbPNSt15iterator_traitsISE_E10value_typeEPNSK_ISF_E10value_typeEPSG_NS1_7vsmem_tEENKUlT_SE_SF_SG_E_clIS8_S8_S9_S9_EESD_ST_SE_SF_SG_EUlST_E0_NS1_11comp_targetILNS1_3genE2ELNS1_11target_archE906ELNS1_3gpuE6ELNS1_3repE0EEENS1_38merge_mergepath_config_static_selectorELNS0_4arch9wavefront6targetE0EEEvSF_: ; @_ZN7rocprim17ROCPRIM_400000_NS6detail17trampoline_kernelINS0_14default_configENS1_38merge_sort_block_merge_config_selectorIhNS0_10empty_typeEEEZZNS1_27merge_sort_block_merge_implIS3_PhPS5_jNS1_19radix_merge_compareILb1ELb1EhNS0_19identity_decomposerEEEEE10hipError_tT0_T1_T2_jT3_P12ihipStream_tbPNSt15iterator_traitsISE_E10value_typeEPNSK_ISF_E10value_typeEPSG_NS1_7vsmem_tEENKUlT_SE_SF_SG_E_clIS8_S8_S9_S9_EESD_ST_SE_SF_SG_EUlST_E0_NS1_11comp_targetILNS1_3genE2ELNS1_11target_archE906ELNS1_3gpuE6ELNS1_3repE0EEENS1_38merge_mergepath_config_static_selectorELNS0_4arch9wavefront6targetE0EEEvSF_
; %bb.0:
	.section	.rodata,"a",@progbits
	.p2align	6, 0x0
	.amdhsa_kernel _ZN7rocprim17ROCPRIM_400000_NS6detail17trampoline_kernelINS0_14default_configENS1_38merge_sort_block_merge_config_selectorIhNS0_10empty_typeEEEZZNS1_27merge_sort_block_merge_implIS3_PhPS5_jNS1_19radix_merge_compareILb1ELb1EhNS0_19identity_decomposerEEEEE10hipError_tT0_T1_T2_jT3_P12ihipStream_tbPNSt15iterator_traitsISE_E10value_typeEPNSK_ISF_E10value_typeEPSG_NS1_7vsmem_tEENKUlT_SE_SF_SG_E_clIS8_S8_S9_S9_EESD_ST_SE_SF_SG_EUlST_E0_NS1_11comp_targetILNS1_3genE2ELNS1_11target_archE906ELNS1_3gpuE6ELNS1_3repE0EEENS1_38merge_mergepath_config_static_selectorELNS0_4arch9wavefront6targetE0EEEvSF_
		.amdhsa_group_segment_fixed_size 0
		.amdhsa_private_segment_fixed_size 0
		.amdhsa_kernarg_size 64
		.amdhsa_user_sgpr_count 2
		.amdhsa_user_sgpr_dispatch_ptr 0
		.amdhsa_user_sgpr_queue_ptr 0
		.amdhsa_user_sgpr_kernarg_segment_ptr 1
		.amdhsa_user_sgpr_dispatch_id 0
		.amdhsa_user_sgpr_kernarg_preload_length 0
		.amdhsa_user_sgpr_kernarg_preload_offset 0
		.amdhsa_user_sgpr_private_segment_size 0
		.amdhsa_wavefront_size32 1
		.amdhsa_uses_dynamic_stack 0
		.amdhsa_enable_private_segment 0
		.amdhsa_system_sgpr_workgroup_id_x 1
		.amdhsa_system_sgpr_workgroup_id_y 0
		.amdhsa_system_sgpr_workgroup_id_z 0
		.amdhsa_system_sgpr_workgroup_info 0
		.amdhsa_system_vgpr_workitem_id 0
		.amdhsa_next_free_vgpr 1
		.amdhsa_next_free_sgpr 1
		.amdhsa_named_barrier_count 0
		.amdhsa_reserve_vcc 0
		.amdhsa_float_round_mode_32 0
		.amdhsa_float_round_mode_16_64 0
		.amdhsa_float_denorm_mode_32 3
		.amdhsa_float_denorm_mode_16_64 3
		.amdhsa_fp16_overflow 0
		.amdhsa_memory_ordered 1
		.amdhsa_forward_progress 1
		.amdhsa_inst_pref_size 0
		.amdhsa_round_robin_scheduling 0
		.amdhsa_exception_fp_ieee_invalid_op 0
		.amdhsa_exception_fp_denorm_src 0
		.amdhsa_exception_fp_ieee_div_zero 0
		.amdhsa_exception_fp_ieee_overflow 0
		.amdhsa_exception_fp_ieee_underflow 0
		.amdhsa_exception_fp_ieee_inexact 0
		.amdhsa_exception_int_div_zero 0
	.end_amdhsa_kernel
	.section	.text._ZN7rocprim17ROCPRIM_400000_NS6detail17trampoline_kernelINS0_14default_configENS1_38merge_sort_block_merge_config_selectorIhNS0_10empty_typeEEEZZNS1_27merge_sort_block_merge_implIS3_PhPS5_jNS1_19radix_merge_compareILb1ELb1EhNS0_19identity_decomposerEEEEE10hipError_tT0_T1_T2_jT3_P12ihipStream_tbPNSt15iterator_traitsISE_E10value_typeEPNSK_ISF_E10value_typeEPSG_NS1_7vsmem_tEENKUlT_SE_SF_SG_E_clIS8_S8_S9_S9_EESD_ST_SE_SF_SG_EUlST_E0_NS1_11comp_targetILNS1_3genE2ELNS1_11target_archE906ELNS1_3gpuE6ELNS1_3repE0EEENS1_38merge_mergepath_config_static_selectorELNS0_4arch9wavefront6targetE0EEEvSF_,"axG",@progbits,_ZN7rocprim17ROCPRIM_400000_NS6detail17trampoline_kernelINS0_14default_configENS1_38merge_sort_block_merge_config_selectorIhNS0_10empty_typeEEEZZNS1_27merge_sort_block_merge_implIS3_PhPS5_jNS1_19radix_merge_compareILb1ELb1EhNS0_19identity_decomposerEEEEE10hipError_tT0_T1_T2_jT3_P12ihipStream_tbPNSt15iterator_traitsISE_E10value_typeEPNSK_ISF_E10value_typeEPSG_NS1_7vsmem_tEENKUlT_SE_SF_SG_E_clIS8_S8_S9_S9_EESD_ST_SE_SF_SG_EUlST_E0_NS1_11comp_targetILNS1_3genE2ELNS1_11target_archE906ELNS1_3gpuE6ELNS1_3repE0EEENS1_38merge_mergepath_config_static_selectorELNS0_4arch9wavefront6targetE0EEEvSF_,comdat
.Lfunc_end71:
	.size	_ZN7rocprim17ROCPRIM_400000_NS6detail17trampoline_kernelINS0_14default_configENS1_38merge_sort_block_merge_config_selectorIhNS0_10empty_typeEEEZZNS1_27merge_sort_block_merge_implIS3_PhPS5_jNS1_19radix_merge_compareILb1ELb1EhNS0_19identity_decomposerEEEEE10hipError_tT0_T1_T2_jT3_P12ihipStream_tbPNSt15iterator_traitsISE_E10value_typeEPNSK_ISF_E10value_typeEPSG_NS1_7vsmem_tEENKUlT_SE_SF_SG_E_clIS8_S8_S9_S9_EESD_ST_SE_SF_SG_EUlST_E0_NS1_11comp_targetILNS1_3genE2ELNS1_11target_archE906ELNS1_3gpuE6ELNS1_3repE0EEENS1_38merge_mergepath_config_static_selectorELNS0_4arch9wavefront6targetE0EEEvSF_, .Lfunc_end71-_ZN7rocprim17ROCPRIM_400000_NS6detail17trampoline_kernelINS0_14default_configENS1_38merge_sort_block_merge_config_selectorIhNS0_10empty_typeEEEZZNS1_27merge_sort_block_merge_implIS3_PhPS5_jNS1_19radix_merge_compareILb1ELb1EhNS0_19identity_decomposerEEEEE10hipError_tT0_T1_T2_jT3_P12ihipStream_tbPNSt15iterator_traitsISE_E10value_typeEPNSK_ISF_E10value_typeEPSG_NS1_7vsmem_tEENKUlT_SE_SF_SG_E_clIS8_S8_S9_S9_EESD_ST_SE_SF_SG_EUlST_E0_NS1_11comp_targetILNS1_3genE2ELNS1_11target_archE906ELNS1_3gpuE6ELNS1_3repE0EEENS1_38merge_mergepath_config_static_selectorELNS0_4arch9wavefront6targetE0EEEvSF_
                                        ; -- End function
	.set _ZN7rocprim17ROCPRIM_400000_NS6detail17trampoline_kernelINS0_14default_configENS1_38merge_sort_block_merge_config_selectorIhNS0_10empty_typeEEEZZNS1_27merge_sort_block_merge_implIS3_PhPS5_jNS1_19radix_merge_compareILb1ELb1EhNS0_19identity_decomposerEEEEE10hipError_tT0_T1_T2_jT3_P12ihipStream_tbPNSt15iterator_traitsISE_E10value_typeEPNSK_ISF_E10value_typeEPSG_NS1_7vsmem_tEENKUlT_SE_SF_SG_E_clIS8_S8_S9_S9_EESD_ST_SE_SF_SG_EUlST_E0_NS1_11comp_targetILNS1_3genE2ELNS1_11target_archE906ELNS1_3gpuE6ELNS1_3repE0EEENS1_38merge_mergepath_config_static_selectorELNS0_4arch9wavefront6targetE0EEEvSF_.num_vgpr, 0
	.set _ZN7rocprim17ROCPRIM_400000_NS6detail17trampoline_kernelINS0_14default_configENS1_38merge_sort_block_merge_config_selectorIhNS0_10empty_typeEEEZZNS1_27merge_sort_block_merge_implIS3_PhPS5_jNS1_19radix_merge_compareILb1ELb1EhNS0_19identity_decomposerEEEEE10hipError_tT0_T1_T2_jT3_P12ihipStream_tbPNSt15iterator_traitsISE_E10value_typeEPNSK_ISF_E10value_typeEPSG_NS1_7vsmem_tEENKUlT_SE_SF_SG_E_clIS8_S8_S9_S9_EESD_ST_SE_SF_SG_EUlST_E0_NS1_11comp_targetILNS1_3genE2ELNS1_11target_archE906ELNS1_3gpuE6ELNS1_3repE0EEENS1_38merge_mergepath_config_static_selectorELNS0_4arch9wavefront6targetE0EEEvSF_.num_agpr, 0
	.set _ZN7rocprim17ROCPRIM_400000_NS6detail17trampoline_kernelINS0_14default_configENS1_38merge_sort_block_merge_config_selectorIhNS0_10empty_typeEEEZZNS1_27merge_sort_block_merge_implIS3_PhPS5_jNS1_19radix_merge_compareILb1ELb1EhNS0_19identity_decomposerEEEEE10hipError_tT0_T1_T2_jT3_P12ihipStream_tbPNSt15iterator_traitsISE_E10value_typeEPNSK_ISF_E10value_typeEPSG_NS1_7vsmem_tEENKUlT_SE_SF_SG_E_clIS8_S8_S9_S9_EESD_ST_SE_SF_SG_EUlST_E0_NS1_11comp_targetILNS1_3genE2ELNS1_11target_archE906ELNS1_3gpuE6ELNS1_3repE0EEENS1_38merge_mergepath_config_static_selectorELNS0_4arch9wavefront6targetE0EEEvSF_.numbered_sgpr, 0
	.set _ZN7rocprim17ROCPRIM_400000_NS6detail17trampoline_kernelINS0_14default_configENS1_38merge_sort_block_merge_config_selectorIhNS0_10empty_typeEEEZZNS1_27merge_sort_block_merge_implIS3_PhPS5_jNS1_19radix_merge_compareILb1ELb1EhNS0_19identity_decomposerEEEEE10hipError_tT0_T1_T2_jT3_P12ihipStream_tbPNSt15iterator_traitsISE_E10value_typeEPNSK_ISF_E10value_typeEPSG_NS1_7vsmem_tEENKUlT_SE_SF_SG_E_clIS8_S8_S9_S9_EESD_ST_SE_SF_SG_EUlST_E0_NS1_11comp_targetILNS1_3genE2ELNS1_11target_archE906ELNS1_3gpuE6ELNS1_3repE0EEENS1_38merge_mergepath_config_static_selectorELNS0_4arch9wavefront6targetE0EEEvSF_.num_named_barrier, 0
	.set _ZN7rocprim17ROCPRIM_400000_NS6detail17trampoline_kernelINS0_14default_configENS1_38merge_sort_block_merge_config_selectorIhNS0_10empty_typeEEEZZNS1_27merge_sort_block_merge_implIS3_PhPS5_jNS1_19radix_merge_compareILb1ELb1EhNS0_19identity_decomposerEEEEE10hipError_tT0_T1_T2_jT3_P12ihipStream_tbPNSt15iterator_traitsISE_E10value_typeEPNSK_ISF_E10value_typeEPSG_NS1_7vsmem_tEENKUlT_SE_SF_SG_E_clIS8_S8_S9_S9_EESD_ST_SE_SF_SG_EUlST_E0_NS1_11comp_targetILNS1_3genE2ELNS1_11target_archE906ELNS1_3gpuE6ELNS1_3repE0EEENS1_38merge_mergepath_config_static_selectorELNS0_4arch9wavefront6targetE0EEEvSF_.private_seg_size, 0
	.set _ZN7rocprim17ROCPRIM_400000_NS6detail17trampoline_kernelINS0_14default_configENS1_38merge_sort_block_merge_config_selectorIhNS0_10empty_typeEEEZZNS1_27merge_sort_block_merge_implIS3_PhPS5_jNS1_19radix_merge_compareILb1ELb1EhNS0_19identity_decomposerEEEEE10hipError_tT0_T1_T2_jT3_P12ihipStream_tbPNSt15iterator_traitsISE_E10value_typeEPNSK_ISF_E10value_typeEPSG_NS1_7vsmem_tEENKUlT_SE_SF_SG_E_clIS8_S8_S9_S9_EESD_ST_SE_SF_SG_EUlST_E0_NS1_11comp_targetILNS1_3genE2ELNS1_11target_archE906ELNS1_3gpuE6ELNS1_3repE0EEENS1_38merge_mergepath_config_static_selectorELNS0_4arch9wavefront6targetE0EEEvSF_.uses_vcc, 0
	.set _ZN7rocprim17ROCPRIM_400000_NS6detail17trampoline_kernelINS0_14default_configENS1_38merge_sort_block_merge_config_selectorIhNS0_10empty_typeEEEZZNS1_27merge_sort_block_merge_implIS3_PhPS5_jNS1_19radix_merge_compareILb1ELb1EhNS0_19identity_decomposerEEEEE10hipError_tT0_T1_T2_jT3_P12ihipStream_tbPNSt15iterator_traitsISE_E10value_typeEPNSK_ISF_E10value_typeEPSG_NS1_7vsmem_tEENKUlT_SE_SF_SG_E_clIS8_S8_S9_S9_EESD_ST_SE_SF_SG_EUlST_E0_NS1_11comp_targetILNS1_3genE2ELNS1_11target_archE906ELNS1_3gpuE6ELNS1_3repE0EEENS1_38merge_mergepath_config_static_selectorELNS0_4arch9wavefront6targetE0EEEvSF_.uses_flat_scratch, 0
	.set _ZN7rocprim17ROCPRIM_400000_NS6detail17trampoline_kernelINS0_14default_configENS1_38merge_sort_block_merge_config_selectorIhNS0_10empty_typeEEEZZNS1_27merge_sort_block_merge_implIS3_PhPS5_jNS1_19radix_merge_compareILb1ELb1EhNS0_19identity_decomposerEEEEE10hipError_tT0_T1_T2_jT3_P12ihipStream_tbPNSt15iterator_traitsISE_E10value_typeEPNSK_ISF_E10value_typeEPSG_NS1_7vsmem_tEENKUlT_SE_SF_SG_E_clIS8_S8_S9_S9_EESD_ST_SE_SF_SG_EUlST_E0_NS1_11comp_targetILNS1_3genE2ELNS1_11target_archE906ELNS1_3gpuE6ELNS1_3repE0EEENS1_38merge_mergepath_config_static_selectorELNS0_4arch9wavefront6targetE0EEEvSF_.has_dyn_sized_stack, 0
	.set _ZN7rocprim17ROCPRIM_400000_NS6detail17trampoline_kernelINS0_14default_configENS1_38merge_sort_block_merge_config_selectorIhNS0_10empty_typeEEEZZNS1_27merge_sort_block_merge_implIS3_PhPS5_jNS1_19radix_merge_compareILb1ELb1EhNS0_19identity_decomposerEEEEE10hipError_tT0_T1_T2_jT3_P12ihipStream_tbPNSt15iterator_traitsISE_E10value_typeEPNSK_ISF_E10value_typeEPSG_NS1_7vsmem_tEENKUlT_SE_SF_SG_E_clIS8_S8_S9_S9_EESD_ST_SE_SF_SG_EUlST_E0_NS1_11comp_targetILNS1_3genE2ELNS1_11target_archE906ELNS1_3gpuE6ELNS1_3repE0EEENS1_38merge_mergepath_config_static_selectorELNS0_4arch9wavefront6targetE0EEEvSF_.has_recursion, 0
	.set _ZN7rocprim17ROCPRIM_400000_NS6detail17trampoline_kernelINS0_14default_configENS1_38merge_sort_block_merge_config_selectorIhNS0_10empty_typeEEEZZNS1_27merge_sort_block_merge_implIS3_PhPS5_jNS1_19radix_merge_compareILb1ELb1EhNS0_19identity_decomposerEEEEE10hipError_tT0_T1_T2_jT3_P12ihipStream_tbPNSt15iterator_traitsISE_E10value_typeEPNSK_ISF_E10value_typeEPSG_NS1_7vsmem_tEENKUlT_SE_SF_SG_E_clIS8_S8_S9_S9_EESD_ST_SE_SF_SG_EUlST_E0_NS1_11comp_targetILNS1_3genE2ELNS1_11target_archE906ELNS1_3gpuE6ELNS1_3repE0EEENS1_38merge_mergepath_config_static_selectorELNS0_4arch9wavefront6targetE0EEEvSF_.has_indirect_call, 0
	.section	.AMDGPU.csdata,"",@progbits
; Kernel info:
; codeLenInByte = 0
; TotalNumSgprs: 0
; NumVgprs: 0
; ScratchSize: 0
; MemoryBound: 0
; FloatMode: 240
; IeeeMode: 1
; LDSByteSize: 0 bytes/workgroup (compile time only)
; SGPRBlocks: 0
; VGPRBlocks: 0
; NumSGPRsForWavesPerEU: 1
; NumVGPRsForWavesPerEU: 1
; NamedBarCnt: 0
; Occupancy: 16
; WaveLimiterHint : 0
; COMPUTE_PGM_RSRC2:SCRATCH_EN: 0
; COMPUTE_PGM_RSRC2:USER_SGPR: 2
; COMPUTE_PGM_RSRC2:TRAP_HANDLER: 0
; COMPUTE_PGM_RSRC2:TGID_X_EN: 1
; COMPUTE_PGM_RSRC2:TGID_Y_EN: 0
; COMPUTE_PGM_RSRC2:TGID_Z_EN: 0
; COMPUTE_PGM_RSRC2:TIDIG_COMP_CNT: 0
	.section	.text._ZN7rocprim17ROCPRIM_400000_NS6detail17trampoline_kernelINS0_14default_configENS1_38merge_sort_block_merge_config_selectorIhNS0_10empty_typeEEEZZNS1_27merge_sort_block_merge_implIS3_PhPS5_jNS1_19radix_merge_compareILb1ELb1EhNS0_19identity_decomposerEEEEE10hipError_tT0_T1_T2_jT3_P12ihipStream_tbPNSt15iterator_traitsISE_E10value_typeEPNSK_ISF_E10value_typeEPSG_NS1_7vsmem_tEENKUlT_SE_SF_SG_E_clIS8_S8_S9_S9_EESD_ST_SE_SF_SG_EUlST_E0_NS1_11comp_targetILNS1_3genE9ELNS1_11target_archE1100ELNS1_3gpuE3ELNS1_3repE0EEENS1_38merge_mergepath_config_static_selectorELNS0_4arch9wavefront6targetE0EEEvSF_,"axG",@progbits,_ZN7rocprim17ROCPRIM_400000_NS6detail17trampoline_kernelINS0_14default_configENS1_38merge_sort_block_merge_config_selectorIhNS0_10empty_typeEEEZZNS1_27merge_sort_block_merge_implIS3_PhPS5_jNS1_19radix_merge_compareILb1ELb1EhNS0_19identity_decomposerEEEEE10hipError_tT0_T1_T2_jT3_P12ihipStream_tbPNSt15iterator_traitsISE_E10value_typeEPNSK_ISF_E10value_typeEPSG_NS1_7vsmem_tEENKUlT_SE_SF_SG_E_clIS8_S8_S9_S9_EESD_ST_SE_SF_SG_EUlST_E0_NS1_11comp_targetILNS1_3genE9ELNS1_11target_archE1100ELNS1_3gpuE3ELNS1_3repE0EEENS1_38merge_mergepath_config_static_selectorELNS0_4arch9wavefront6targetE0EEEvSF_,comdat
	.protected	_ZN7rocprim17ROCPRIM_400000_NS6detail17trampoline_kernelINS0_14default_configENS1_38merge_sort_block_merge_config_selectorIhNS0_10empty_typeEEEZZNS1_27merge_sort_block_merge_implIS3_PhPS5_jNS1_19radix_merge_compareILb1ELb1EhNS0_19identity_decomposerEEEEE10hipError_tT0_T1_T2_jT3_P12ihipStream_tbPNSt15iterator_traitsISE_E10value_typeEPNSK_ISF_E10value_typeEPSG_NS1_7vsmem_tEENKUlT_SE_SF_SG_E_clIS8_S8_S9_S9_EESD_ST_SE_SF_SG_EUlST_E0_NS1_11comp_targetILNS1_3genE9ELNS1_11target_archE1100ELNS1_3gpuE3ELNS1_3repE0EEENS1_38merge_mergepath_config_static_selectorELNS0_4arch9wavefront6targetE0EEEvSF_ ; -- Begin function _ZN7rocprim17ROCPRIM_400000_NS6detail17trampoline_kernelINS0_14default_configENS1_38merge_sort_block_merge_config_selectorIhNS0_10empty_typeEEEZZNS1_27merge_sort_block_merge_implIS3_PhPS5_jNS1_19radix_merge_compareILb1ELb1EhNS0_19identity_decomposerEEEEE10hipError_tT0_T1_T2_jT3_P12ihipStream_tbPNSt15iterator_traitsISE_E10value_typeEPNSK_ISF_E10value_typeEPSG_NS1_7vsmem_tEENKUlT_SE_SF_SG_E_clIS8_S8_S9_S9_EESD_ST_SE_SF_SG_EUlST_E0_NS1_11comp_targetILNS1_3genE9ELNS1_11target_archE1100ELNS1_3gpuE3ELNS1_3repE0EEENS1_38merge_mergepath_config_static_selectorELNS0_4arch9wavefront6targetE0EEEvSF_
	.globl	_ZN7rocprim17ROCPRIM_400000_NS6detail17trampoline_kernelINS0_14default_configENS1_38merge_sort_block_merge_config_selectorIhNS0_10empty_typeEEEZZNS1_27merge_sort_block_merge_implIS3_PhPS5_jNS1_19radix_merge_compareILb1ELb1EhNS0_19identity_decomposerEEEEE10hipError_tT0_T1_T2_jT3_P12ihipStream_tbPNSt15iterator_traitsISE_E10value_typeEPNSK_ISF_E10value_typeEPSG_NS1_7vsmem_tEENKUlT_SE_SF_SG_E_clIS8_S8_S9_S9_EESD_ST_SE_SF_SG_EUlST_E0_NS1_11comp_targetILNS1_3genE9ELNS1_11target_archE1100ELNS1_3gpuE3ELNS1_3repE0EEENS1_38merge_mergepath_config_static_selectorELNS0_4arch9wavefront6targetE0EEEvSF_
	.p2align	8
	.type	_ZN7rocprim17ROCPRIM_400000_NS6detail17trampoline_kernelINS0_14default_configENS1_38merge_sort_block_merge_config_selectorIhNS0_10empty_typeEEEZZNS1_27merge_sort_block_merge_implIS3_PhPS5_jNS1_19radix_merge_compareILb1ELb1EhNS0_19identity_decomposerEEEEE10hipError_tT0_T1_T2_jT3_P12ihipStream_tbPNSt15iterator_traitsISE_E10value_typeEPNSK_ISF_E10value_typeEPSG_NS1_7vsmem_tEENKUlT_SE_SF_SG_E_clIS8_S8_S9_S9_EESD_ST_SE_SF_SG_EUlST_E0_NS1_11comp_targetILNS1_3genE9ELNS1_11target_archE1100ELNS1_3gpuE3ELNS1_3repE0EEENS1_38merge_mergepath_config_static_selectorELNS0_4arch9wavefront6targetE0EEEvSF_,@function
_ZN7rocprim17ROCPRIM_400000_NS6detail17trampoline_kernelINS0_14default_configENS1_38merge_sort_block_merge_config_selectorIhNS0_10empty_typeEEEZZNS1_27merge_sort_block_merge_implIS3_PhPS5_jNS1_19radix_merge_compareILb1ELb1EhNS0_19identity_decomposerEEEEE10hipError_tT0_T1_T2_jT3_P12ihipStream_tbPNSt15iterator_traitsISE_E10value_typeEPNSK_ISF_E10value_typeEPSG_NS1_7vsmem_tEENKUlT_SE_SF_SG_E_clIS8_S8_S9_S9_EESD_ST_SE_SF_SG_EUlST_E0_NS1_11comp_targetILNS1_3genE9ELNS1_11target_archE1100ELNS1_3gpuE3ELNS1_3repE0EEENS1_38merge_mergepath_config_static_selectorELNS0_4arch9wavefront6targetE0EEEvSF_: ; @_ZN7rocprim17ROCPRIM_400000_NS6detail17trampoline_kernelINS0_14default_configENS1_38merge_sort_block_merge_config_selectorIhNS0_10empty_typeEEEZZNS1_27merge_sort_block_merge_implIS3_PhPS5_jNS1_19radix_merge_compareILb1ELb1EhNS0_19identity_decomposerEEEEE10hipError_tT0_T1_T2_jT3_P12ihipStream_tbPNSt15iterator_traitsISE_E10value_typeEPNSK_ISF_E10value_typeEPSG_NS1_7vsmem_tEENKUlT_SE_SF_SG_E_clIS8_S8_S9_S9_EESD_ST_SE_SF_SG_EUlST_E0_NS1_11comp_targetILNS1_3genE9ELNS1_11target_archE1100ELNS1_3gpuE3ELNS1_3repE0EEENS1_38merge_mergepath_config_static_selectorELNS0_4arch9wavefront6targetE0EEEvSF_
; %bb.0:
	.section	.rodata,"a",@progbits
	.p2align	6, 0x0
	.amdhsa_kernel _ZN7rocprim17ROCPRIM_400000_NS6detail17trampoline_kernelINS0_14default_configENS1_38merge_sort_block_merge_config_selectorIhNS0_10empty_typeEEEZZNS1_27merge_sort_block_merge_implIS3_PhPS5_jNS1_19radix_merge_compareILb1ELb1EhNS0_19identity_decomposerEEEEE10hipError_tT0_T1_T2_jT3_P12ihipStream_tbPNSt15iterator_traitsISE_E10value_typeEPNSK_ISF_E10value_typeEPSG_NS1_7vsmem_tEENKUlT_SE_SF_SG_E_clIS8_S8_S9_S9_EESD_ST_SE_SF_SG_EUlST_E0_NS1_11comp_targetILNS1_3genE9ELNS1_11target_archE1100ELNS1_3gpuE3ELNS1_3repE0EEENS1_38merge_mergepath_config_static_selectorELNS0_4arch9wavefront6targetE0EEEvSF_
		.amdhsa_group_segment_fixed_size 0
		.amdhsa_private_segment_fixed_size 0
		.amdhsa_kernarg_size 64
		.amdhsa_user_sgpr_count 2
		.amdhsa_user_sgpr_dispatch_ptr 0
		.amdhsa_user_sgpr_queue_ptr 0
		.amdhsa_user_sgpr_kernarg_segment_ptr 1
		.amdhsa_user_sgpr_dispatch_id 0
		.amdhsa_user_sgpr_kernarg_preload_length 0
		.amdhsa_user_sgpr_kernarg_preload_offset 0
		.amdhsa_user_sgpr_private_segment_size 0
		.amdhsa_wavefront_size32 1
		.amdhsa_uses_dynamic_stack 0
		.amdhsa_enable_private_segment 0
		.amdhsa_system_sgpr_workgroup_id_x 1
		.amdhsa_system_sgpr_workgroup_id_y 0
		.amdhsa_system_sgpr_workgroup_id_z 0
		.amdhsa_system_sgpr_workgroup_info 0
		.amdhsa_system_vgpr_workitem_id 0
		.amdhsa_next_free_vgpr 1
		.amdhsa_next_free_sgpr 1
		.amdhsa_named_barrier_count 0
		.amdhsa_reserve_vcc 0
		.amdhsa_float_round_mode_32 0
		.amdhsa_float_round_mode_16_64 0
		.amdhsa_float_denorm_mode_32 3
		.amdhsa_float_denorm_mode_16_64 3
		.amdhsa_fp16_overflow 0
		.amdhsa_memory_ordered 1
		.amdhsa_forward_progress 1
		.amdhsa_inst_pref_size 0
		.amdhsa_round_robin_scheduling 0
		.amdhsa_exception_fp_ieee_invalid_op 0
		.amdhsa_exception_fp_denorm_src 0
		.amdhsa_exception_fp_ieee_div_zero 0
		.amdhsa_exception_fp_ieee_overflow 0
		.amdhsa_exception_fp_ieee_underflow 0
		.amdhsa_exception_fp_ieee_inexact 0
		.amdhsa_exception_int_div_zero 0
	.end_amdhsa_kernel
	.section	.text._ZN7rocprim17ROCPRIM_400000_NS6detail17trampoline_kernelINS0_14default_configENS1_38merge_sort_block_merge_config_selectorIhNS0_10empty_typeEEEZZNS1_27merge_sort_block_merge_implIS3_PhPS5_jNS1_19radix_merge_compareILb1ELb1EhNS0_19identity_decomposerEEEEE10hipError_tT0_T1_T2_jT3_P12ihipStream_tbPNSt15iterator_traitsISE_E10value_typeEPNSK_ISF_E10value_typeEPSG_NS1_7vsmem_tEENKUlT_SE_SF_SG_E_clIS8_S8_S9_S9_EESD_ST_SE_SF_SG_EUlST_E0_NS1_11comp_targetILNS1_3genE9ELNS1_11target_archE1100ELNS1_3gpuE3ELNS1_3repE0EEENS1_38merge_mergepath_config_static_selectorELNS0_4arch9wavefront6targetE0EEEvSF_,"axG",@progbits,_ZN7rocprim17ROCPRIM_400000_NS6detail17trampoline_kernelINS0_14default_configENS1_38merge_sort_block_merge_config_selectorIhNS0_10empty_typeEEEZZNS1_27merge_sort_block_merge_implIS3_PhPS5_jNS1_19radix_merge_compareILb1ELb1EhNS0_19identity_decomposerEEEEE10hipError_tT0_T1_T2_jT3_P12ihipStream_tbPNSt15iterator_traitsISE_E10value_typeEPNSK_ISF_E10value_typeEPSG_NS1_7vsmem_tEENKUlT_SE_SF_SG_E_clIS8_S8_S9_S9_EESD_ST_SE_SF_SG_EUlST_E0_NS1_11comp_targetILNS1_3genE9ELNS1_11target_archE1100ELNS1_3gpuE3ELNS1_3repE0EEENS1_38merge_mergepath_config_static_selectorELNS0_4arch9wavefront6targetE0EEEvSF_,comdat
.Lfunc_end72:
	.size	_ZN7rocprim17ROCPRIM_400000_NS6detail17trampoline_kernelINS0_14default_configENS1_38merge_sort_block_merge_config_selectorIhNS0_10empty_typeEEEZZNS1_27merge_sort_block_merge_implIS3_PhPS5_jNS1_19radix_merge_compareILb1ELb1EhNS0_19identity_decomposerEEEEE10hipError_tT0_T1_T2_jT3_P12ihipStream_tbPNSt15iterator_traitsISE_E10value_typeEPNSK_ISF_E10value_typeEPSG_NS1_7vsmem_tEENKUlT_SE_SF_SG_E_clIS8_S8_S9_S9_EESD_ST_SE_SF_SG_EUlST_E0_NS1_11comp_targetILNS1_3genE9ELNS1_11target_archE1100ELNS1_3gpuE3ELNS1_3repE0EEENS1_38merge_mergepath_config_static_selectorELNS0_4arch9wavefront6targetE0EEEvSF_, .Lfunc_end72-_ZN7rocprim17ROCPRIM_400000_NS6detail17trampoline_kernelINS0_14default_configENS1_38merge_sort_block_merge_config_selectorIhNS0_10empty_typeEEEZZNS1_27merge_sort_block_merge_implIS3_PhPS5_jNS1_19radix_merge_compareILb1ELb1EhNS0_19identity_decomposerEEEEE10hipError_tT0_T1_T2_jT3_P12ihipStream_tbPNSt15iterator_traitsISE_E10value_typeEPNSK_ISF_E10value_typeEPSG_NS1_7vsmem_tEENKUlT_SE_SF_SG_E_clIS8_S8_S9_S9_EESD_ST_SE_SF_SG_EUlST_E0_NS1_11comp_targetILNS1_3genE9ELNS1_11target_archE1100ELNS1_3gpuE3ELNS1_3repE0EEENS1_38merge_mergepath_config_static_selectorELNS0_4arch9wavefront6targetE0EEEvSF_
                                        ; -- End function
	.set _ZN7rocprim17ROCPRIM_400000_NS6detail17trampoline_kernelINS0_14default_configENS1_38merge_sort_block_merge_config_selectorIhNS0_10empty_typeEEEZZNS1_27merge_sort_block_merge_implIS3_PhPS5_jNS1_19radix_merge_compareILb1ELb1EhNS0_19identity_decomposerEEEEE10hipError_tT0_T1_T2_jT3_P12ihipStream_tbPNSt15iterator_traitsISE_E10value_typeEPNSK_ISF_E10value_typeEPSG_NS1_7vsmem_tEENKUlT_SE_SF_SG_E_clIS8_S8_S9_S9_EESD_ST_SE_SF_SG_EUlST_E0_NS1_11comp_targetILNS1_3genE9ELNS1_11target_archE1100ELNS1_3gpuE3ELNS1_3repE0EEENS1_38merge_mergepath_config_static_selectorELNS0_4arch9wavefront6targetE0EEEvSF_.num_vgpr, 0
	.set _ZN7rocprim17ROCPRIM_400000_NS6detail17trampoline_kernelINS0_14default_configENS1_38merge_sort_block_merge_config_selectorIhNS0_10empty_typeEEEZZNS1_27merge_sort_block_merge_implIS3_PhPS5_jNS1_19radix_merge_compareILb1ELb1EhNS0_19identity_decomposerEEEEE10hipError_tT0_T1_T2_jT3_P12ihipStream_tbPNSt15iterator_traitsISE_E10value_typeEPNSK_ISF_E10value_typeEPSG_NS1_7vsmem_tEENKUlT_SE_SF_SG_E_clIS8_S8_S9_S9_EESD_ST_SE_SF_SG_EUlST_E0_NS1_11comp_targetILNS1_3genE9ELNS1_11target_archE1100ELNS1_3gpuE3ELNS1_3repE0EEENS1_38merge_mergepath_config_static_selectorELNS0_4arch9wavefront6targetE0EEEvSF_.num_agpr, 0
	.set _ZN7rocprim17ROCPRIM_400000_NS6detail17trampoline_kernelINS0_14default_configENS1_38merge_sort_block_merge_config_selectorIhNS0_10empty_typeEEEZZNS1_27merge_sort_block_merge_implIS3_PhPS5_jNS1_19radix_merge_compareILb1ELb1EhNS0_19identity_decomposerEEEEE10hipError_tT0_T1_T2_jT3_P12ihipStream_tbPNSt15iterator_traitsISE_E10value_typeEPNSK_ISF_E10value_typeEPSG_NS1_7vsmem_tEENKUlT_SE_SF_SG_E_clIS8_S8_S9_S9_EESD_ST_SE_SF_SG_EUlST_E0_NS1_11comp_targetILNS1_3genE9ELNS1_11target_archE1100ELNS1_3gpuE3ELNS1_3repE0EEENS1_38merge_mergepath_config_static_selectorELNS0_4arch9wavefront6targetE0EEEvSF_.numbered_sgpr, 0
	.set _ZN7rocprim17ROCPRIM_400000_NS6detail17trampoline_kernelINS0_14default_configENS1_38merge_sort_block_merge_config_selectorIhNS0_10empty_typeEEEZZNS1_27merge_sort_block_merge_implIS3_PhPS5_jNS1_19radix_merge_compareILb1ELb1EhNS0_19identity_decomposerEEEEE10hipError_tT0_T1_T2_jT3_P12ihipStream_tbPNSt15iterator_traitsISE_E10value_typeEPNSK_ISF_E10value_typeEPSG_NS1_7vsmem_tEENKUlT_SE_SF_SG_E_clIS8_S8_S9_S9_EESD_ST_SE_SF_SG_EUlST_E0_NS1_11comp_targetILNS1_3genE9ELNS1_11target_archE1100ELNS1_3gpuE3ELNS1_3repE0EEENS1_38merge_mergepath_config_static_selectorELNS0_4arch9wavefront6targetE0EEEvSF_.num_named_barrier, 0
	.set _ZN7rocprim17ROCPRIM_400000_NS6detail17trampoline_kernelINS0_14default_configENS1_38merge_sort_block_merge_config_selectorIhNS0_10empty_typeEEEZZNS1_27merge_sort_block_merge_implIS3_PhPS5_jNS1_19radix_merge_compareILb1ELb1EhNS0_19identity_decomposerEEEEE10hipError_tT0_T1_T2_jT3_P12ihipStream_tbPNSt15iterator_traitsISE_E10value_typeEPNSK_ISF_E10value_typeEPSG_NS1_7vsmem_tEENKUlT_SE_SF_SG_E_clIS8_S8_S9_S9_EESD_ST_SE_SF_SG_EUlST_E0_NS1_11comp_targetILNS1_3genE9ELNS1_11target_archE1100ELNS1_3gpuE3ELNS1_3repE0EEENS1_38merge_mergepath_config_static_selectorELNS0_4arch9wavefront6targetE0EEEvSF_.private_seg_size, 0
	.set _ZN7rocprim17ROCPRIM_400000_NS6detail17trampoline_kernelINS0_14default_configENS1_38merge_sort_block_merge_config_selectorIhNS0_10empty_typeEEEZZNS1_27merge_sort_block_merge_implIS3_PhPS5_jNS1_19radix_merge_compareILb1ELb1EhNS0_19identity_decomposerEEEEE10hipError_tT0_T1_T2_jT3_P12ihipStream_tbPNSt15iterator_traitsISE_E10value_typeEPNSK_ISF_E10value_typeEPSG_NS1_7vsmem_tEENKUlT_SE_SF_SG_E_clIS8_S8_S9_S9_EESD_ST_SE_SF_SG_EUlST_E0_NS1_11comp_targetILNS1_3genE9ELNS1_11target_archE1100ELNS1_3gpuE3ELNS1_3repE0EEENS1_38merge_mergepath_config_static_selectorELNS0_4arch9wavefront6targetE0EEEvSF_.uses_vcc, 0
	.set _ZN7rocprim17ROCPRIM_400000_NS6detail17trampoline_kernelINS0_14default_configENS1_38merge_sort_block_merge_config_selectorIhNS0_10empty_typeEEEZZNS1_27merge_sort_block_merge_implIS3_PhPS5_jNS1_19radix_merge_compareILb1ELb1EhNS0_19identity_decomposerEEEEE10hipError_tT0_T1_T2_jT3_P12ihipStream_tbPNSt15iterator_traitsISE_E10value_typeEPNSK_ISF_E10value_typeEPSG_NS1_7vsmem_tEENKUlT_SE_SF_SG_E_clIS8_S8_S9_S9_EESD_ST_SE_SF_SG_EUlST_E0_NS1_11comp_targetILNS1_3genE9ELNS1_11target_archE1100ELNS1_3gpuE3ELNS1_3repE0EEENS1_38merge_mergepath_config_static_selectorELNS0_4arch9wavefront6targetE0EEEvSF_.uses_flat_scratch, 0
	.set _ZN7rocprim17ROCPRIM_400000_NS6detail17trampoline_kernelINS0_14default_configENS1_38merge_sort_block_merge_config_selectorIhNS0_10empty_typeEEEZZNS1_27merge_sort_block_merge_implIS3_PhPS5_jNS1_19radix_merge_compareILb1ELb1EhNS0_19identity_decomposerEEEEE10hipError_tT0_T1_T2_jT3_P12ihipStream_tbPNSt15iterator_traitsISE_E10value_typeEPNSK_ISF_E10value_typeEPSG_NS1_7vsmem_tEENKUlT_SE_SF_SG_E_clIS8_S8_S9_S9_EESD_ST_SE_SF_SG_EUlST_E0_NS1_11comp_targetILNS1_3genE9ELNS1_11target_archE1100ELNS1_3gpuE3ELNS1_3repE0EEENS1_38merge_mergepath_config_static_selectorELNS0_4arch9wavefront6targetE0EEEvSF_.has_dyn_sized_stack, 0
	.set _ZN7rocprim17ROCPRIM_400000_NS6detail17trampoline_kernelINS0_14default_configENS1_38merge_sort_block_merge_config_selectorIhNS0_10empty_typeEEEZZNS1_27merge_sort_block_merge_implIS3_PhPS5_jNS1_19radix_merge_compareILb1ELb1EhNS0_19identity_decomposerEEEEE10hipError_tT0_T1_T2_jT3_P12ihipStream_tbPNSt15iterator_traitsISE_E10value_typeEPNSK_ISF_E10value_typeEPSG_NS1_7vsmem_tEENKUlT_SE_SF_SG_E_clIS8_S8_S9_S9_EESD_ST_SE_SF_SG_EUlST_E0_NS1_11comp_targetILNS1_3genE9ELNS1_11target_archE1100ELNS1_3gpuE3ELNS1_3repE0EEENS1_38merge_mergepath_config_static_selectorELNS0_4arch9wavefront6targetE0EEEvSF_.has_recursion, 0
	.set _ZN7rocprim17ROCPRIM_400000_NS6detail17trampoline_kernelINS0_14default_configENS1_38merge_sort_block_merge_config_selectorIhNS0_10empty_typeEEEZZNS1_27merge_sort_block_merge_implIS3_PhPS5_jNS1_19radix_merge_compareILb1ELb1EhNS0_19identity_decomposerEEEEE10hipError_tT0_T1_T2_jT3_P12ihipStream_tbPNSt15iterator_traitsISE_E10value_typeEPNSK_ISF_E10value_typeEPSG_NS1_7vsmem_tEENKUlT_SE_SF_SG_E_clIS8_S8_S9_S9_EESD_ST_SE_SF_SG_EUlST_E0_NS1_11comp_targetILNS1_3genE9ELNS1_11target_archE1100ELNS1_3gpuE3ELNS1_3repE0EEENS1_38merge_mergepath_config_static_selectorELNS0_4arch9wavefront6targetE0EEEvSF_.has_indirect_call, 0
	.section	.AMDGPU.csdata,"",@progbits
; Kernel info:
; codeLenInByte = 0
; TotalNumSgprs: 0
; NumVgprs: 0
; ScratchSize: 0
; MemoryBound: 0
; FloatMode: 240
; IeeeMode: 1
; LDSByteSize: 0 bytes/workgroup (compile time only)
; SGPRBlocks: 0
; VGPRBlocks: 0
; NumSGPRsForWavesPerEU: 1
; NumVGPRsForWavesPerEU: 1
; NamedBarCnt: 0
; Occupancy: 16
; WaveLimiterHint : 0
; COMPUTE_PGM_RSRC2:SCRATCH_EN: 0
; COMPUTE_PGM_RSRC2:USER_SGPR: 2
; COMPUTE_PGM_RSRC2:TRAP_HANDLER: 0
; COMPUTE_PGM_RSRC2:TGID_X_EN: 1
; COMPUTE_PGM_RSRC2:TGID_Y_EN: 0
; COMPUTE_PGM_RSRC2:TGID_Z_EN: 0
; COMPUTE_PGM_RSRC2:TIDIG_COMP_CNT: 0
	.section	.text._ZN7rocprim17ROCPRIM_400000_NS6detail17trampoline_kernelINS0_14default_configENS1_38merge_sort_block_merge_config_selectorIhNS0_10empty_typeEEEZZNS1_27merge_sort_block_merge_implIS3_PhPS5_jNS1_19radix_merge_compareILb1ELb1EhNS0_19identity_decomposerEEEEE10hipError_tT0_T1_T2_jT3_P12ihipStream_tbPNSt15iterator_traitsISE_E10value_typeEPNSK_ISF_E10value_typeEPSG_NS1_7vsmem_tEENKUlT_SE_SF_SG_E_clIS8_S8_S9_S9_EESD_ST_SE_SF_SG_EUlST_E0_NS1_11comp_targetILNS1_3genE8ELNS1_11target_archE1030ELNS1_3gpuE2ELNS1_3repE0EEENS1_38merge_mergepath_config_static_selectorELNS0_4arch9wavefront6targetE0EEEvSF_,"axG",@progbits,_ZN7rocprim17ROCPRIM_400000_NS6detail17trampoline_kernelINS0_14default_configENS1_38merge_sort_block_merge_config_selectorIhNS0_10empty_typeEEEZZNS1_27merge_sort_block_merge_implIS3_PhPS5_jNS1_19radix_merge_compareILb1ELb1EhNS0_19identity_decomposerEEEEE10hipError_tT0_T1_T2_jT3_P12ihipStream_tbPNSt15iterator_traitsISE_E10value_typeEPNSK_ISF_E10value_typeEPSG_NS1_7vsmem_tEENKUlT_SE_SF_SG_E_clIS8_S8_S9_S9_EESD_ST_SE_SF_SG_EUlST_E0_NS1_11comp_targetILNS1_3genE8ELNS1_11target_archE1030ELNS1_3gpuE2ELNS1_3repE0EEENS1_38merge_mergepath_config_static_selectorELNS0_4arch9wavefront6targetE0EEEvSF_,comdat
	.protected	_ZN7rocprim17ROCPRIM_400000_NS6detail17trampoline_kernelINS0_14default_configENS1_38merge_sort_block_merge_config_selectorIhNS0_10empty_typeEEEZZNS1_27merge_sort_block_merge_implIS3_PhPS5_jNS1_19radix_merge_compareILb1ELb1EhNS0_19identity_decomposerEEEEE10hipError_tT0_T1_T2_jT3_P12ihipStream_tbPNSt15iterator_traitsISE_E10value_typeEPNSK_ISF_E10value_typeEPSG_NS1_7vsmem_tEENKUlT_SE_SF_SG_E_clIS8_S8_S9_S9_EESD_ST_SE_SF_SG_EUlST_E0_NS1_11comp_targetILNS1_3genE8ELNS1_11target_archE1030ELNS1_3gpuE2ELNS1_3repE0EEENS1_38merge_mergepath_config_static_selectorELNS0_4arch9wavefront6targetE0EEEvSF_ ; -- Begin function _ZN7rocprim17ROCPRIM_400000_NS6detail17trampoline_kernelINS0_14default_configENS1_38merge_sort_block_merge_config_selectorIhNS0_10empty_typeEEEZZNS1_27merge_sort_block_merge_implIS3_PhPS5_jNS1_19radix_merge_compareILb1ELb1EhNS0_19identity_decomposerEEEEE10hipError_tT0_T1_T2_jT3_P12ihipStream_tbPNSt15iterator_traitsISE_E10value_typeEPNSK_ISF_E10value_typeEPSG_NS1_7vsmem_tEENKUlT_SE_SF_SG_E_clIS8_S8_S9_S9_EESD_ST_SE_SF_SG_EUlST_E0_NS1_11comp_targetILNS1_3genE8ELNS1_11target_archE1030ELNS1_3gpuE2ELNS1_3repE0EEENS1_38merge_mergepath_config_static_selectorELNS0_4arch9wavefront6targetE0EEEvSF_
	.globl	_ZN7rocprim17ROCPRIM_400000_NS6detail17trampoline_kernelINS0_14default_configENS1_38merge_sort_block_merge_config_selectorIhNS0_10empty_typeEEEZZNS1_27merge_sort_block_merge_implIS3_PhPS5_jNS1_19radix_merge_compareILb1ELb1EhNS0_19identity_decomposerEEEEE10hipError_tT0_T1_T2_jT3_P12ihipStream_tbPNSt15iterator_traitsISE_E10value_typeEPNSK_ISF_E10value_typeEPSG_NS1_7vsmem_tEENKUlT_SE_SF_SG_E_clIS8_S8_S9_S9_EESD_ST_SE_SF_SG_EUlST_E0_NS1_11comp_targetILNS1_3genE8ELNS1_11target_archE1030ELNS1_3gpuE2ELNS1_3repE0EEENS1_38merge_mergepath_config_static_selectorELNS0_4arch9wavefront6targetE0EEEvSF_
	.p2align	8
	.type	_ZN7rocprim17ROCPRIM_400000_NS6detail17trampoline_kernelINS0_14default_configENS1_38merge_sort_block_merge_config_selectorIhNS0_10empty_typeEEEZZNS1_27merge_sort_block_merge_implIS3_PhPS5_jNS1_19radix_merge_compareILb1ELb1EhNS0_19identity_decomposerEEEEE10hipError_tT0_T1_T2_jT3_P12ihipStream_tbPNSt15iterator_traitsISE_E10value_typeEPNSK_ISF_E10value_typeEPSG_NS1_7vsmem_tEENKUlT_SE_SF_SG_E_clIS8_S8_S9_S9_EESD_ST_SE_SF_SG_EUlST_E0_NS1_11comp_targetILNS1_3genE8ELNS1_11target_archE1030ELNS1_3gpuE2ELNS1_3repE0EEENS1_38merge_mergepath_config_static_selectorELNS0_4arch9wavefront6targetE0EEEvSF_,@function
_ZN7rocprim17ROCPRIM_400000_NS6detail17trampoline_kernelINS0_14default_configENS1_38merge_sort_block_merge_config_selectorIhNS0_10empty_typeEEEZZNS1_27merge_sort_block_merge_implIS3_PhPS5_jNS1_19radix_merge_compareILb1ELb1EhNS0_19identity_decomposerEEEEE10hipError_tT0_T1_T2_jT3_P12ihipStream_tbPNSt15iterator_traitsISE_E10value_typeEPNSK_ISF_E10value_typeEPSG_NS1_7vsmem_tEENKUlT_SE_SF_SG_E_clIS8_S8_S9_S9_EESD_ST_SE_SF_SG_EUlST_E0_NS1_11comp_targetILNS1_3genE8ELNS1_11target_archE1030ELNS1_3gpuE2ELNS1_3repE0EEENS1_38merge_mergepath_config_static_selectorELNS0_4arch9wavefront6targetE0EEEvSF_: ; @_ZN7rocprim17ROCPRIM_400000_NS6detail17trampoline_kernelINS0_14default_configENS1_38merge_sort_block_merge_config_selectorIhNS0_10empty_typeEEEZZNS1_27merge_sort_block_merge_implIS3_PhPS5_jNS1_19radix_merge_compareILb1ELb1EhNS0_19identity_decomposerEEEEE10hipError_tT0_T1_T2_jT3_P12ihipStream_tbPNSt15iterator_traitsISE_E10value_typeEPNSK_ISF_E10value_typeEPSG_NS1_7vsmem_tEENKUlT_SE_SF_SG_E_clIS8_S8_S9_S9_EESD_ST_SE_SF_SG_EUlST_E0_NS1_11comp_targetILNS1_3genE8ELNS1_11target_archE1030ELNS1_3gpuE2ELNS1_3repE0EEENS1_38merge_mergepath_config_static_selectorELNS0_4arch9wavefront6targetE0EEEvSF_
; %bb.0:
	.section	.rodata,"a",@progbits
	.p2align	6, 0x0
	.amdhsa_kernel _ZN7rocprim17ROCPRIM_400000_NS6detail17trampoline_kernelINS0_14default_configENS1_38merge_sort_block_merge_config_selectorIhNS0_10empty_typeEEEZZNS1_27merge_sort_block_merge_implIS3_PhPS5_jNS1_19radix_merge_compareILb1ELb1EhNS0_19identity_decomposerEEEEE10hipError_tT0_T1_T2_jT3_P12ihipStream_tbPNSt15iterator_traitsISE_E10value_typeEPNSK_ISF_E10value_typeEPSG_NS1_7vsmem_tEENKUlT_SE_SF_SG_E_clIS8_S8_S9_S9_EESD_ST_SE_SF_SG_EUlST_E0_NS1_11comp_targetILNS1_3genE8ELNS1_11target_archE1030ELNS1_3gpuE2ELNS1_3repE0EEENS1_38merge_mergepath_config_static_selectorELNS0_4arch9wavefront6targetE0EEEvSF_
		.amdhsa_group_segment_fixed_size 0
		.amdhsa_private_segment_fixed_size 0
		.amdhsa_kernarg_size 64
		.amdhsa_user_sgpr_count 2
		.amdhsa_user_sgpr_dispatch_ptr 0
		.amdhsa_user_sgpr_queue_ptr 0
		.amdhsa_user_sgpr_kernarg_segment_ptr 1
		.amdhsa_user_sgpr_dispatch_id 0
		.amdhsa_user_sgpr_kernarg_preload_length 0
		.amdhsa_user_sgpr_kernarg_preload_offset 0
		.amdhsa_user_sgpr_private_segment_size 0
		.amdhsa_wavefront_size32 1
		.amdhsa_uses_dynamic_stack 0
		.amdhsa_enable_private_segment 0
		.amdhsa_system_sgpr_workgroup_id_x 1
		.amdhsa_system_sgpr_workgroup_id_y 0
		.amdhsa_system_sgpr_workgroup_id_z 0
		.amdhsa_system_sgpr_workgroup_info 0
		.amdhsa_system_vgpr_workitem_id 0
		.amdhsa_next_free_vgpr 1
		.amdhsa_next_free_sgpr 1
		.amdhsa_named_barrier_count 0
		.amdhsa_reserve_vcc 0
		.amdhsa_float_round_mode_32 0
		.amdhsa_float_round_mode_16_64 0
		.amdhsa_float_denorm_mode_32 3
		.amdhsa_float_denorm_mode_16_64 3
		.amdhsa_fp16_overflow 0
		.amdhsa_memory_ordered 1
		.amdhsa_forward_progress 1
		.amdhsa_inst_pref_size 0
		.amdhsa_round_robin_scheduling 0
		.amdhsa_exception_fp_ieee_invalid_op 0
		.amdhsa_exception_fp_denorm_src 0
		.amdhsa_exception_fp_ieee_div_zero 0
		.amdhsa_exception_fp_ieee_overflow 0
		.amdhsa_exception_fp_ieee_underflow 0
		.amdhsa_exception_fp_ieee_inexact 0
		.amdhsa_exception_int_div_zero 0
	.end_amdhsa_kernel
	.section	.text._ZN7rocprim17ROCPRIM_400000_NS6detail17trampoline_kernelINS0_14default_configENS1_38merge_sort_block_merge_config_selectorIhNS0_10empty_typeEEEZZNS1_27merge_sort_block_merge_implIS3_PhPS5_jNS1_19radix_merge_compareILb1ELb1EhNS0_19identity_decomposerEEEEE10hipError_tT0_T1_T2_jT3_P12ihipStream_tbPNSt15iterator_traitsISE_E10value_typeEPNSK_ISF_E10value_typeEPSG_NS1_7vsmem_tEENKUlT_SE_SF_SG_E_clIS8_S8_S9_S9_EESD_ST_SE_SF_SG_EUlST_E0_NS1_11comp_targetILNS1_3genE8ELNS1_11target_archE1030ELNS1_3gpuE2ELNS1_3repE0EEENS1_38merge_mergepath_config_static_selectorELNS0_4arch9wavefront6targetE0EEEvSF_,"axG",@progbits,_ZN7rocprim17ROCPRIM_400000_NS6detail17trampoline_kernelINS0_14default_configENS1_38merge_sort_block_merge_config_selectorIhNS0_10empty_typeEEEZZNS1_27merge_sort_block_merge_implIS3_PhPS5_jNS1_19radix_merge_compareILb1ELb1EhNS0_19identity_decomposerEEEEE10hipError_tT0_T1_T2_jT3_P12ihipStream_tbPNSt15iterator_traitsISE_E10value_typeEPNSK_ISF_E10value_typeEPSG_NS1_7vsmem_tEENKUlT_SE_SF_SG_E_clIS8_S8_S9_S9_EESD_ST_SE_SF_SG_EUlST_E0_NS1_11comp_targetILNS1_3genE8ELNS1_11target_archE1030ELNS1_3gpuE2ELNS1_3repE0EEENS1_38merge_mergepath_config_static_selectorELNS0_4arch9wavefront6targetE0EEEvSF_,comdat
.Lfunc_end73:
	.size	_ZN7rocprim17ROCPRIM_400000_NS6detail17trampoline_kernelINS0_14default_configENS1_38merge_sort_block_merge_config_selectorIhNS0_10empty_typeEEEZZNS1_27merge_sort_block_merge_implIS3_PhPS5_jNS1_19radix_merge_compareILb1ELb1EhNS0_19identity_decomposerEEEEE10hipError_tT0_T1_T2_jT3_P12ihipStream_tbPNSt15iterator_traitsISE_E10value_typeEPNSK_ISF_E10value_typeEPSG_NS1_7vsmem_tEENKUlT_SE_SF_SG_E_clIS8_S8_S9_S9_EESD_ST_SE_SF_SG_EUlST_E0_NS1_11comp_targetILNS1_3genE8ELNS1_11target_archE1030ELNS1_3gpuE2ELNS1_3repE0EEENS1_38merge_mergepath_config_static_selectorELNS0_4arch9wavefront6targetE0EEEvSF_, .Lfunc_end73-_ZN7rocprim17ROCPRIM_400000_NS6detail17trampoline_kernelINS0_14default_configENS1_38merge_sort_block_merge_config_selectorIhNS0_10empty_typeEEEZZNS1_27merge_sort_block_merge_implIS3_PhPS5_jNS1_19radix_merge_compareILb1ELb1EhNS0_19identity_decomposerEEEEE10hipError_tT0_T1_T2_jT3_P12ihipStream_tbPNSt15iterator_traitsISE_E10value_typeEPNSK_ISF_E10value_typeEPSG_NS1_7vsmem_tEENKUlT_SE_SF_SG_E_clIS8_S8_S9_S9_EESD_ST_SE_SF_SG_EUlST_E0_NS1_11comp_targetILNS1_3genE8ELNS1_11target_archE1030ELNS1_3gpuE2ELNS1_3repE0EEENS1_38merge_mergepath_config_static_selectorELNS0_4arch9wavefront6targetE0EEEvSF_
                                        ; -- End function
	.set _ZN7rocprim17ROCPRIM_400000_NS6detail17trampoline_kernelINS0_14default_configENS1_38merge_sort_block_merge_config_selectorIhNS0_10empty_typeEEEZZNS1_27merge_sort_block_merge_implIS3_PhPS5_jNS1_19radix_merge_compareILb1ELb1EhNS0_19identity_decomposerEEEEE10hipError_tT0_T1_T2_jT3_P12ihipStream_tbPNSt15iterator_traitsISE_E10value_typeEPNSK_ISF_E10value_typeEPSG_NS1_7vsmem_tEENKUlT_SE_SF_SG_E_clIS8_S8_S9_S9_EESD_ST_SE_SF_SG_EUlST_E0_NS1_11comp_targetILNS1_3genE8ELNS1_11target_archE1030ELNS1_3gpuE2ELNS1_3repE0EEENS1_38merge_mergepath_config_static_selectorELNS0_4arch9wavefront6targetE0EEEvSF_.num_vgpr, 0
	.set _ZN7rocprim17ROCPRIM_400000_NS6detail17trampoline_kernelINS0_14default_configENS1_38merge_sort_block_merge_config_selectorIhNS0_10empty_typeEEEZZNS1_27merge_sort_block_merge_implIS3_PhPS5_jNS1_19radix_merge_compareILb1ELb1EhNS0_19identity_decomposerEEEEE10hipError_tT0_T1_T2_jT3_P12ihipStream_tbPNSt15iterator_traitsISE_E10value_typeEPNSK_ISF_E10value_typeEPSG_NS1_7vsmem_tEENKUlT_SE_SF_SG_E_clIS8_S8_S9_S9_EESD_ST_SE_SF_SG_EUlST_E0_NS1_11comp_targetILNS1_3genE8ELNS1_11target_archE1030ELNS1_3gpuE2ELNS1_3repE0EEENS1_38merge_mergepath_config_static_selectorELNS0_4arch9wavefront6targetE0EEEvSF_.num_agpr, 0
	.set _ZN7rocprim17ROCPRIM_400000_NS6detail17trampoline_kernelINS0_14default_configENS1_38merge_sort_block_merge_config_selectorIhNS0_10empty_typeEEEZZNS1_27merge_sort_block_merge_implIS3_PhPS5_jNS1_19radix_merge_compareILb1ELb1EhNS0_19identity_decomposerEEEEE10hipError_tT0_T1_T2_jT3_P12ihipStream_tbPNSt15iterator_traitsISE_E10value_typeEPNSK_ISF_E10value_typeEPSG_NS1_7vsmem_tEENKUlT_SE_SF_SG_E_clIS8_S8_S9_S9_EESD_ST_SE_SF_SG_EUlST_E0_NS1_11comp_targetILNS1_3genE8ELNS1_11target_archE1030ELNS1_3gpuE2ELNS1_3repE0EEENS1_38merge_mergepath_config_static_selectorELNS0_4arch9wavefront6targetE0EEEvSF_.numbered_sgpr, 0
	.set _ZN7rocprim17ROCPRIM_400000_NS6detail17trampoline_kernelINS0_14default_configENS1_38merge_sort_block_merge_config_selectorIhNS0_10empty_typeEEEZZNS1_27merge_sort_block_merge_implIS3_PhPS5_jNS1_19radix_merge_compareILb1ELb1EhNS0_19identity_decomposerEEEEE10hipError_tT0_T1_T2_jT3_P12ihipStream_tbPNSt15iterator_traitsISE_E10value_typeEPNSK_ISF_E10value_typeEPSG_NS1_7vsmem_tEENKUlT_SE_SF_SG_E_clIS8_S8_S9_S9_EESD_ST_SE_SF_SG_EUlST_E0_NS1_11comp_targetILNS1_3genE8ELNS1_11target_archE1030ELNS1_3gpuE2ELNS1_3repE0EEENS1_38merge_mergepath_config_static_selectorELNS0_4arch9wavefront6targetE0EEEvSF_.num_named_barrier, 0
	.set _ZN7rocprim17ROCPRIM_400000_NS6detail17trampoline_kernelINS0_14default_configENS1_38merge_sort_block_merge_config_selectorIhNS0_10empty_typeEEEZZNS1_27merge_sort_block_merge_implIS3_PhPS5_jNS1_19radix_merge_compareILb1ELb1EhNS0_19identity_decomposerEEEEE10hipError_tT0_T1_T2_jT3_P12ihipStream_tbPNSt15iterator_traitsISE_E10value_typeEPNSK_ISF_E10value_typeEPSG_NS1_7vsmem_tEENKUlT_SE_SF_SG_E_clIS8_S8_S9_S9_EESD_ST_SE_SF_SG_EUlST_E0_NS1_11comp_targetILNS1_3genE8ELNS1_11target_archE1030ELNS1_3gpuE2ELNS1_3repE0EEENS1_38merge_mergepath_config_static_selectorELNS0_4arch9wavefront6targetE0EEEvSF_.private_seg_size, 0
	.set _ZN7rocprim17ROCPRIM_400000_NS6detail17trampoline_kernelINS0_14default_configENS1_38merge_sort_block_merge_config_selectorIhNS0_10empty_typeEEEZZNS1_27merge_sort_block_merge_implIS3_PhPS5_jNS1_19radix_merge_compareILb1ELb1EhNS0_19identity_decomposerEEEEE10hipError_tT0_T1_T2_jT3_P12ihipStream_tbPNSt15iterator_traitsISE_E10value_typeEPNSK_ISF_E10value_typeEPSG_NS1_7vsmem_tEENKUlT_SE_SF_SG_E_clIS8_S8_S9_S9_EESD_ST_SE_SF_SG_EUlST_E0_NS1_11comp_targetILNS1_3genE8ELNS1_11target_archE1030ELNS1_3gpuE2ELNS1_3repE0EEENS1_38merge_mergepath_config_static_selectorELNS0_4arch9wavefront6targetE0EEEvSF_.uses_vcc, 0
	.set _ZN7rocprim17ROCPRIM_400000_NS6detail17trampoline_kernelINS0_14default_configENS1_38merge_sort_block_merge_config_selectorIhNS0_10empty_typeEEEZZNS1_27merge_sort_block_merge_implIS3_PhPS5_jNS1_19radix_merge_compareILb1ELb1EhNS0_19identity_decomposerEEEEE10hipError_tT0_T1_T2_jT3_P12ihipStream_tbPNSt15iterator_traitsISE_E10value_typeEPNSK_ISF_E10value_typeEPSG_NS1_7vsmem_tEENKUlT_SE_SF_SG_E_clIS8_S8_S9_S9_EESD_ST_SE_SF_SG_EUlST_E0_NS1_11comp_targetILNS1_3genE8ELNS1_11target_archE1030ELNS1_3gpuE2ELNS1_3repE0EEENS1_38merge_mergepath_config_static_selectorELNS0_4arch9wavefront6targetE0EEEvSF_.uses_flat_scratch, 0
	.set _ZN7rocprim17ROCPRIM_400000_NS6detail17trampoline_kernelINS0_14default_configENS1_38merge_sort_block_merge_config_selectorIhNS0_10empty_typeEEEZZNS1_27merge_sort_block_merge_implIS3_PhPS5_jNS1_19radix_merge_compareILb1ELb1EhNS0_19identity_decomposerEEEEE10hipError_tT0_T1_T2_jT3_P12ihipStream_tbPNSt15iterator_traitsISE_E10value_typeEPNSK_ISF_E10value_typeEPSG_NS1_7vsmem_tEENKUlT_SE_SF_SG_E_clIS8_S8_S9_S9_EESD_ST_SE_SF_SG_EUlST_E0_NS1_11comp_targetILNS1_3genE8ELNS1_11target_archE1030ELNS1_3gpuE2ELNS1_3repE0EEENS1_38merge_mergepath_config_static_selectorELNS0_4arch9wavefront6targetE0EEEvSF_.has_dyn_sized_stack, 0
	.set _ZN7rocprim17ROCPRIM_400000_NS6detail17trampoline_kernelINS0_14default_configENS1_38merge_sort_block_merge_config_selectorIhNS0_10empty_typeEEEZZNS1_27merge_sort_block_merge_implIS3_PhPS5_jNS1_19radix_merge_compareILb1ELb1EhNS0_19identity_decomposerEEEEE10hipError_tT0_T1_T2_jT3_P12ihipStream_tbPNSt15iterator_traitsISE_E10value_typeEPNSK_ISF_E10value_typeEPSG_NS1_7vsmem_tEENKUlT_SE_SF_SG_E_clIS8_S8_S9_S9_EESD_ST_SE_SF_SG_EUlST_E0_NS1_11comp_targetILNS1_3genE8ELNS1_11target_archE1030ELNS1_3gpuE2ELNS1_3repE0EEENS1_38merge_mergepath_config_static_selectorELNS0_4arch9wavefront6targetE0EEEvSF_.has_recursion, 0
	.set _ZN7rocprim17ROCPRIM_400000_NS6detail17trampoline_kernelINS0_14default_configENS1_38merge_sort_block_merge_config_selectorIhNS0_10empty_typeEEEZZNS1_27merge_sort_block_merge_implIS3_PhPS5_jNS1_19radix_merge_compareILb1ELb1EhNS0_19identity_decomposerEEEEE10hipError_tT0_T1_T2_jT3_P12ihipStream_tbPNSt15iterator_traitsISE_E10value_typeEPNSK_ISF_E10value_typeEPSG_NS1_7vsmem_tEENKUlT_SE_SF_SG_E_clIS8_S8_S9_S9_EESD_ST_SE_SF_SG_EUlST_E0_NS1_11comp_targetILNS1_3genE8ELNS1_11target_archE1030ELNS1_3gpuE2ELNS1_3repE0EEENS1_38merge_mergepath_config_static_selectorELNS0_4arch9wavefront6targetE0EEEvSF_.has_indirect_call, 0
	.section	.AMDGPU.csdata,"",@progbits
; Kernel info:
; codeLenInByte = 0
; TotalNumSgprs: 0
; NumVgprs: 0
; ScratchSize: 0
; MemoryBound: 0
; FloatMode: 240
; IeeeMode: 1
; LDSByteSize: 0 bytes/workgroup (compile time only)
; SGPRBlocks: 0
; VGPRBlocks: 0
; NumSGPRsForWavesPerEU: 1
; NumVGPRsForWavesPerEU: 1
; NamedBarCnt: 0
; Occupancy: 16
; WaveLimiterHint : 0
; COMPUTE_PGM_RSRC2:SCRATCH_EN: 0
; COMPUTE_PGM_RSRC2:USER_SGPR: 2
; COMPUTE_PGM_RSRC2:TRAP_HANDLER: 0
; COMPUTE_PGM_RSRC2:TGID_X_EN: 1
; COMPUTE_PGM_RSRC2:TGID_Y_EN: 0
; COMPUTE_PGM_RSRC2:TGID_Z_EN: 0
; COMPUTE_PGM_RSRC2:TIDIG_COMP_CNT: 0
	.section	.text._ZN7rocprim17ROCPRIM_400000_NS6detail17trampoline_kernelINS0_14default_configENS1_38merge_sort_block_merge_config_selectorIhNS0_10empty_typeEEEZZNS1_27merge_sort_block_merge_implIS3_PhPS5_jNS1_19radix_merge_compareILb1ELb1EhNS0_19identity_decomposerEEEEE10hipError_tT0_T1_T2_jT3_P12ihipStream_tbPNSt15iterator_traitsISE_E10value_typeEPNSK_ISF_E10value_typeEPSG_NS1_7vsmem_tEENKUlT_SE_SF_SG_E_clIS8_S8_S9_S9_EESD_ST_SE_SF_SG_EUlST_E1_NS1_11comp_targetILNS1_3genE0ELNS1_11target_archE4294967295ELNS1_3gpuE0ELNS1_3repE0EEENS1_36merge_oddeven_config_static_selectorELNS0_4arch9wavefront6targetE0EEEvSF_,"axG",@progbits,_ZN7rocprim17ROCPRIM_400000_NS6detail17trampoline_kernelINS0_14default_configENS1_38merge_sort_block_merge_config_selectorIhNS0_10empty_typeEEEZZNS1_27merge_sort_block_merge_implIS3_PhPS5_jNS1_19radix_merge_compareILb1ELb1EhNS0_19identity_decomposerEEEEE10hipError_tT0_T1_T2_jT3_P12ihipStream_tbPNSt15iterator_traitsISE_E10value_typeEPNSK_ISF_E10value_typeEPSG_NS1_7vsmem_tEENKUlT_SE_SF_SG_E_clIS8_S8_S9_S9_EESD_ST_SE_SF_SG_EUlST_E1_NS1_11comp_targetILNS1_3genE0ELNS1_11target_archE4294967295ELNS1_3gpuE0ELNS1_3repE0EEENS1_36merge_oddeven_config_static_selectorELNS0_4arch9wavefront6targetE0EEEvSF_,comdat
	.protected	_ZN7rocprim17ROCPRIM_400000_NS6detail17trampoline_kernelINS0_14default_configENS1_38merge_sort_block_merge_config_selectorIhNS0_10empty_typeEEEZZNS1_27merge_sort_block_merge_implIS3_PhPS5_jNS1_19radix_merge_compareILb1ELb1EhNS0_19identity_decomposerEEEEE10hipError_tT0_T1_T2_jT3_P12ihipStream_tbPNSt15iterator_traitsISE_E10value_typeEPNSK_ISF_E10value_typeEPSG_NS1_7vsmem_tEENKUlT_SE_SF_SG_E_clIS8_S8_S9_S9_EESD_ST_SE_SF_SG_EUlST_E1_NS1_11comp_targetILNS1_3genE0ELNS1_11target_archE4294967295ELNS1_3gpuE0ELNS1_3repE0EEENS1_36merge_oddeven_config_static_selectorELNS0_4arch9wavefront6targetE0EEEvSF_ ; -- Begin function _ZN7rocprim17ROCPRIM_400000_NS6detail17trampoline_kernelINS0_14default_configENS1_38merge_sort_block_merge_config_selectorIhNS0_10empty_typeEEEZZNS1_27merge_sort_block_merge_implIS3_PhPS5_jNS1_19radix_merge_compareILb1ELb1EhNS0_19identity_decomposerEEEEE10hipError_tT0_T1_T2_jT3_P12ihipStream_tbPNSt15iterator_traitsISE_E10value_typeEPNSK_ISF_E10value_typeEPSG_NS1_7vsmem_tEENKUlT_SE_SF_SG_E_clIS8_S8_S9_S9_EESD_ST_SE_SF_SG_EUlST_E1_NS1_11comp_targetILNS1_3genE0ELNS1_11target_archE4294967295ELNS1_3gpuE0ELNS1_3repE0EEENS1_36merge_oddeven_config_static_selectorELNS0_4arch9wavefront6targetE0EEEvSF_
	.globl	_ZN7rocprim17ROCPRIM_400000_NS6detail17trampoline_kernelINS0_14default_configENS1_38merge_sort_block_merge_config_selectorIhNS0_10empty_typeEEEZZNS1_27merge_sort_block_merge_implIS3_PhPS5_jNS1_19radix_merge_compareILb1ELb1EhNS0_19identity_decomposerEEEEE10hipError_tT0_T1_T2_jT3_P12ihipStream_tbPNSt15iterator_traitsISE_E10value_typeEPNSK_ISF_E10value_typeEPSG_NS1_7vsmem_tEENKUlT_SE_SF_SG_E_clIS8_S8_S9_S9_EESD_ST_SE_SF_SG_EUlST_E1_NS1_11comp_targetILNS1_3genE0ELNS1_11target_archE4294967295ELNS1_3gpuE0ELNS1_3repE0EEENS1_36merge_oddeven_config_static_selectorELNS0_4arch9wavefront6targetE0EEEvSF_
	.p2align	8
	.type	_ZN7rocprim17ROCPRIM_400000_NS6detail17trampoline_kernelINS0_14default_configENS1_38merge_sort_block_merge_config_selectorIhNS0_10empty_typeEEEZZNS1_27merge_sort_block_merge_implIS3_PhPS5_jNS1_19radix_merge_compareILb1ELb1EhNS0_19identity_decomposerEEEEE10hipError_tT0_T1_T2_jT3_P12ihipStream_tbPNSt15iterator_traitsISE_E10value_typeEPNSK_ISF_E10value_typeEPSG_NS1_7vsmem_tEENKUlT_SE_SF_SG_E_clIS8_S8_S9_S9_EESD_ST_SE_SF_SG_EUlST_E1_NS1_11comp_targetILNS1_3genE0ELNS1_11target_archE4294967295ELNS1_3gpuE0ELNS1_3repE0EEENS1_36merge_oddeven_config_static_selectorELNS0_4arch9wavefront6targetE0EEEvSF_,@function
_ZN7rocprim17ROCPRIM_400000_NS6detail17trampoline_kernelINS0_14default_configENS1_38merge_sort_block_merge_config_selectorIhNS0_10empty_typeEEEZZNS1_27merge_sort_block_merge_implIS3_PhPS5_jNS1_19radix_merge_compareILb1ELb1EhNS0_19identity_decomposerEEEEE10hipError_tT0_T1_T2_jT3_P12ihipStream_tbPNSt15iterator_traitsISE_E10value_typeEPNSK_ISF_E10value_typeEPSG_NS1_7vsmem_tEENKUlT_SE_SF_SG_E_clIS8_S8_S9_S9_EESD_ST_SE_SF_SG_EUlST_E1_NS1_11comp_targetILNS1_3genE0ELNS1_11target_archE4294967295ELNS1_3gpuE0ELNS1_3repE0EEENS1_36merge_oddeven_config_static_selectorELNS0_4arch9wavefront6targetE0EEEvSF_: ; @_ZN7rocprim17ROCPRIM_400000_NS6detail17trampoline_kernelINS0_14default_configENS1_38merge_sort_block_merge_config_selectorIhNS0_10empty_typeEEEZZNS1_27merge_sort_block_merge_implIS3_PhPS5_jNS1_19radix_merge_compareILb1ELb1EhNS0_19identity_decomposerEEEEE10hipError_tT0_T1_T2_jT3_P12ihipStream_tbPNSt15iterator_traitsISE_E10value_typeEPNSK_ISF_E10value_typeEPSG_NS1_7vsmem_tEENKUlT_SE_SF_SG_E_clIS8_S8_S9_S9_EESD_ST_SE_SF_SG_EUlST_E1_NS1_11comp_targetILNS1_3genE0ELNS1_11target_archE4294967295ELNS1_3gpuE0ELNS1_3repE0EEENS1_36merge_oddeven_config_static_selectorELNS0_4arch9wavefront6targetE0EEEvSF_
; %bb.0:
	s_load_b32 s11, s[0:1], 0x20
	s_bfe_u32 s2, ttmp6, 0x4000c
	s_and_b32 s3, ttmp6, 15
	s_add_co_i32 s2, s2, 1
	s_getreg_b32 s4, hwreg(HW_REG_IB_STS2, 6, 4)
	s_mul_i32 s2, ttmp9, s2
	s_mov_b32 s9, 0
	s_add_co_i32 s3, s3, s2
	s_cmp_eq_u32 s4, 0
	s_cselect_b32 s2, ttmp9, s3
	s_wait_kmcnt 0x0
	s_lshr_b32 s3, s11, 8
	s_delay_alu instid0(SALU_CYCLE_1) | instskip(SKIP_4) | instid1(SALU_CYCLE_1)
	s_cmp_lg_u32 s2, s3
	s_cselect_b32 s15, -1, 0
	s_cmp_eq_u32 s2, s3
	s_cselect_b32 s12, -1, 0
	s_lshl_b32 s8, s2, 8
	s_sub_co_i32 s3, s11, s8
	s_delay_alu instid0(SALU_CYCLE_1) | instskip(SKIP_1) | instid1(SALU_CYCLE_1)
	v_cmp_gt_u32_e64 s3, s3, v0
	s_or_b32 s4, s15, s3
	s_and_saveexec_b32 s5, s4
	s_cbranch_execz .LBB74_20
; %bb.1:
	s_clause 0x1
	s_load_b128 s[4:7], s[0:1], 0x0
	s_load_b32 s13, s[0:1], 0x24
	v_add_nc_u32_e32 v3, s8, v0
	s_wait_kmcnt 0x0
	s_add_nc_u64 s[16:17], s[4:5], s[8:9]
	s_lshr_b32 s10, s13, 8
	global_load_u8 v1, v0, s[16:17]
	s_sub_co_i32 s14, 0, s10
	s_wait_xcnt 0x0
	s_sub_co_i32 s16, 0, s13
	s_and_b32 s2, s2, s14
	s_delay_alu instid0(SALU_CYCLE_1) | instskip(SKIP_3) | instid1(SALU_CYCLE_1)
	s_and_b32 s10, s2, s10
	s_lshl_b32 s14, s2, 8
	s_cmp_eq_u32 s10, 0
	s_cselect_b32 s2, -1, 0
	s_and_b32 s10, s2, exec_lo
	s_cselect_b32 s10, s13, s16
	s_delay_alu instid0(SALU_CYCLE_1) | instskip(NEXT) | instid1(SALU_CYCLE_1)
	s_add_co_i32 s10, s10, s14
	s_cmp_gt_u32 s11, s10
	s_cbranch_scc1 .LBB74_3
; %bb.2:
	v_cmp_gt_u32_e32 vcc_lo, s11, v3
	s_or_b32 s9, vcc_lo, s15
	s_delay_alu instid0(SALU_CYCLE_1)
	s_and_b32 s9, s9, exec_lo
	s_cbranch_execz .LBB74_4
	s_branch .LBB74_18
.LBB74_3:
.LBB74_4:
	s_load_b32 s0, s[0:1], 0x28
	s_wait_xcnt 0x0
	s_min_u32 s1, s10, s11
	s_and_b32 vcc_lo, exec_lo, s12
	s_add_co_i32 s8, s14, s1
	s_add_co_i32 s13, s1, s13
	v_subrev_nc_u32_e32 v0, s8, v3
	s_min_u32 s8, s14, s1
	s_delay_alu instid0(VALU_DEP_1) | instid1(SALU_CYCLE_1)
	v_add_nc_u32_e32 v0, s8, v0
	s_min_u32 s8, s13, s11
	s_wait_loadcnt 0x0
	s_wait_kmcnt 0x0
	v_and_b32_e32 v2, s0, v1
	s_cbranch_vccz .LBB74_12
; %bb.5:
                                        ; implicit-def: $vgpr3
	s_and_saveexec_b32 s11, s3
	s_cbranch_execz .LBB74_11
; %bb.6:
	v_mov_b32_e32 v3, s1
	s_cmp_ge_u32 s10, s8
	s_cbranch_scc1 .LBB74_10
; %bb.7:
	v_dual_mov_b32 v4, s8 :: v_dual_mov_b32 v3, s1
	v_and_b32_e32 v5, 0xff, v2
	s_mov_b32 s3, 0
	s_and_b32 s12, s0, 0xff
.LBB74_8:                               ; =>This Inner Loop Header: Depth=1
	s_delay_alu instid0(VALU_DEP_2) | instskip(NEXT) | instid1(VALU_DEP_1)
	v_add_nc_u32_e32 v6, v3, v4
	v_lshrrev_b32_e32 v6, 1, v6
	global_load_u8 v7, v6, s[4:5]
	s_wait_loadcnt 0x0
	v_and_b32_e32 v7, s12, v7
	s_delay_alu instid0(VALU_DEP_1) | instskip(SKIP_3) | instid1(VALU_DEP_1)
	v_cmp_gt_u16_e32 vcc_lo, v7, v5
	v_cndmask_b32_e64 v8, 0, 1, vcc_lo
	v_cmp_le_u16_e32 vcc_lo, v5, v7
	v_cndmask_b32_e64 v7, 0, 1, vcc_lo
	v_dual_cndmask_b32 v7, v7, v8, s2 :: v_dual_add_nc_u32 v8, 1, v6
	s_delay_alu instid0(VALU_DEP_1) | instskip(NEXT) | instid1(VALU_DEP_1)
	v_and_b32_e32 v7, 1, v7
	v_cmp_eq_u32_e32 vcc_lo, 1, v7
	v_cndmask_b32_e32 v4, v6, v4, vcc_lo
	s_delay_alu instid0(VALU_DEP_4) | instskip(NEXT) | instid1(VALU_DEP_1)
	v_cndmask_b32_e32 v3, v3, v8, vcc_lo
	v_cmp_ge_u32_e32 vcc_lo, v3, v4
	s_or_b32 s3, vcc_lo, s3
	s_delay_alu instid0(SALU_CYCLE_1)
	s_and_not1_b32 exec_lo, exec_lo, s3
	s_cbranch_execnz .LBB74_8
; %bb.9:
	s_or_b32 exec_lo, exec_lo, s3
.LBB74_10:
	s_delay_alu instid0(VALU_DEP_1)
	v_add_nc_u32_e32 v3, v3, v0
	s_or_b32 s9, s9, exec_lo
.LBB74_11:
	s_or_b32 exec_lo, exec_lo, s11
	s_branch .LBB74_18
.LBB74_12:
                                        ; implicit-def: $vgpr3
	s_cbranch_execz .LBB74_18
; %bb.13:
	v_mov_b32_e32 v3, s1
	s_cmp_ge_u32 s10, s8
	s_cbranch_scc1 .LBB74_17
; %bb.14:
	v_dual_mov_b32 v4, s8 :: v_dual_mov_b32 v3, s1
	v_and_b32_e32 v2, 0xff, v2
	s_mov_b32 s1, 0
	s_and_b32 s0, s0, 0xff
.LBB74_15:                              ; =>This Inner Loop Header: Depth=1
	s_delay_alu instid0(VALU_DEP_2) | instskip(NEXT) | instid1(VALU_DEP_1)
	v_add_nc_u32_e32 v5, v3, v4
	v_lshrrev_b32_e32 v5, 1, v5
	global_load_u8 v6, v5, s[4:5]
	s_wait_loadcnt 0x0
	v_and_b32_e32 v6, s0, v6
	s_delay_alu instid0(VALU_DEP_1) | instskip(SKIP_3) | instid1(VALU_DEP_1)
	v_cmp_gt_u16_e32 vcc_lo, v6, v2
	v_cndmask_b32_e64 v7, 0, 1, vcc_lo
	v_cmp_le_u16_e32 vcc_lo, v2, v6
	v_cndmask_b32_e64 v6, 0, 1, vcc_lo
	v_dual_cndmask_b32 v6, v6, v7, s2 :: v_dual_add_nc_u32 v7, 1, v5
	s_delay_alu instid0(VALU_DEP_1) | instskip(NEXT) | instid1(VALU_DEP_1)
	v_and_b32_e32 v6, 1, v6
	v_cmp_eq_u32_e32 vcc_lo, 1, v6
	s_delay_alu instid0(VALU_DEP_3) | instskip(NEXT) | instid1(VALU_DEP_1)
	v_dual_cndmask_b32 v4, v5, v4 :: v_dual_cndmask_b32 v3, v3, v7
	v_cmp_ge_u32_e32 vcc_lo, v3, v4
	s_or_b32 s1, vcc_lo, s1
	s_delay_alu instid0(SALU_CYCLE_1)
	s_and_not1_b32 exec_lo, exec_lo, s1
	s_cbranch_execnz .LBB74_15
; %bb.16:
	s_or_b32 exec_lo, exec_lo, s1
.LBB74_17:
	s_delay_alu instid0(VALU_DEP_1)
	v_add_nc_u32_e32 v3, v3, v0
	s_mov_b32 s9, -1
.LBB74_18:
	s_delay_alu instid0(SALU_CYCLE_1)
	s_and_b32 exec_lo, exec_lo, s9
	s_cbranch_execz .LBB74_20
; %bb.19:
	s_wait_loadcnt 0x0
	global_store_b8 v3, v1, s[6:7]
.LBB74_20:
	s_endpgm
	.section	.rodata,"a",@progbits
	.p2align	6, 0x0
	.amdhsa_kernel _ZN7rocprim17ROCPRIM_400000_NS6detail17trampoline_kernelINS0_14default_configENS1_38merge_sort_block_merge_config_selectorIhNS0_10empty_typeEEEZZNS1_27merge_sort_block_merge_implIS3_PhPS5_jNS1_19radix_merge_compareILb1ELb1EhNS0_19identity_decomposerEEEEE10hipError_tT0_T1_T2_jT3_P12ihipStream_tbPNSt15iterator_traitsISE_E10value_typeEPNSK_ISF_E10value_typeEPSG_NS1_7vsmem_tEENKUlT_SE_SF_SG_E_clIS8_S8_S9_S9_EESD_ST_SE_SF_SG_EUlST_E1_NS1_11comp_targetILNS1_3genE0ELNS1_11target_archE4294967295ELNS1_3gpuE0ELNS1_3repE0EEENS1_36merge_oddeven_config_static_selectorELNS0_4arch9wavefront6targetE0EEEvSF_
		.amdhsa_group_segment_fixed_size 0
		.amdhsa_private_segment_fixed_size 0
		.amdhsa_kernarg_size 48
		.amdhsa_user_sgpr_count 2
		.amdhsa_user_sgpr_dispatch_ptr 0
		.amdhsa_user_sgpr_queue_ptr 0
		.amdhsa_user_sgpr_kernarg_segment_ptr 1
		.amdhsa_user_sgpr_dispatch_id 0
		.amdhsa_user_sgpr_kernarg_preload_length 0
		.amdhsa_user_sgpr_kernarg_preload_offset 0
		.amdhsa_user_sgpr_private_segment_size 0
		.amdhsa_wavefront_size32 1
		.amdhsa_uses_dynamic_stack 0
		.amdhsa_enable_private_segment 0
		.amdhsa_system_sgpr_workgroup_id_x 1
		.amdhsa_system_sgpr_workgroup_id_y 0
		.amdhsa_system_sgpr_workgroup_id_z 0
		.amdhsa_system_sgpr_workgroup_info 0
		.amdhsa_system_vgpr_workitem_id 0
		.amdhsa_next_free_vgpr 9
		.amdhsa_next_free_sgpr 18
		.amdhsa_named_barrier_count 0
		.amdhsa_reserve_vcc 1
		.amdhsa_float_round_mode_32 0
		.amdhsa_float_round_mode_16_64 0
		.amdhsa_float_denorm_mode_32 3
		.amdhsa_float_denorm_mode_16_64 3
		.amdhsa_fp16_overflow 0
		.amdhsa_memory_ordered 1
		.amdhsa_forward_progress 1
		.amdhsa_inst_pref_size 6
		.amdhsa_round_robin_scheduling 0
		.amdhsa_exception_fp_ieee_invalid_op 0
		.amdhsa_exception_fp_denorm_src 0
		.amdhsa_exception_fp_ieee_div_zero 0
		.amdhsa_exception_fp_ieee_overflow 0
		.amdhsa_exception_fp_ieee_underflow 0
		.amdhsa_exception_fp_ieee_inexact 0
		.amdhsa_exception_int_div_zero 0
	.end_amdhsa_kernel
	.section	.text._ZN7rocprim17ROCPRIM_400000_NS6detail17trampoline_kernelINS0_14default_configENS1_38merge_sort_block_merge_config_selectorIhNS0_10empty_typeEEEZZNS1_27merge_sort_block_merge_implIS3_PhPS5_jNS1_19radix_merge_compareILb1ELb1EhNS0_19identity_decomposerEEEEE10hipError_tT0_T1_T2_jT3_P12ihipStream_tbPNSt15iterator_traitsISE_E10value_typeEPNSK_ISF_E10value_typeEPSG_NS1_7vsmem_tEENKUlT_SE_SF_SG_E_clIS8_S8_S9_S9_EESD_ST_SE_SF_SG_EUlST_E1_NS1_11comp_targetILNS1_3genE0ELNS1_11target_archE4294967295ELNS1_3gpuE0ELNS1_3repE0EEENS1_36merge_oddeven_config_static_selectorELNS0_4arch9wavefront6targetE0EEEvSF_,"axG",@progbits,_ZN7rocprim17ROCPRIM_400000_NS6detail17trampoline_kernelINS0_14default_configENS1_38merge_sort_block_merge_config_selectorIhNS0_10empty_typeEEEZZNS1_27merge_sort_block_merge_implIS3_PhPS5_jNS1_19radix_merge_compareILb1ELb1EhNS0_19identity_decomposerEEEEE10hipError_tT0_T1_T2_jT3_P12ihipStream_tbPNSt15iterator_traitsISE_E10value_typeEPNSK_ISF_E10value_typeEPSG_NS1_7vsmem_tEENKUlT_SE_SF_SG_E_clIS8_S8_S9_S9_EESD_ST_SE_SF_SG_EUlST_E1_NS1_11comp_targetILNS1_3genE0ELNS1_11target_archE4294967295ELNS1_3gpuE0ELNS1_3repE0EEENS1_36merge_oddeven_config_static_selectorELNS0_4arch9wavefront6targetE0EEEvSF_,comdat
.Lfunc_end74:
	.size	_ZN7rocprim17ROCPRIM_400000_NS6detail17trampoline_kernelINS0_14default_configENS1_38merge_sort_block_merge_config_selectorIhNS0_10empty_typeEEEZZNS1_27merge_sort_block_merge_implIS3_PhPS5_jNS1_19radix_merge_compareILb1ELb1EhNS0_19identity_decomposerEEEEE10hipError_tT0_T1_T2_jT3_P12ihipStream_tbPNSt15iterator_traitsISE_E10value_typeEPNSK_ISF_E10value_typeEPSG_NS1_7vsmem_tEENKUlT_SE_SF_SG_E_clIS8_S8_S9_S9_EESD_ST_SE_SF_SG_EUlST_E1_NS1_11comp_targetILNS1_3genE0ELNS1_11target_archE4294967295ELNS1_3gpuE0ELNS1_3repE0EEENS1_36merge_oddeven_config_static_selectorELNS0_4arch9wavefront6targetE0EEEvSF_, .Lfunc_end74-_ZN7rocprim17ROCPRIM_400000_NS6detail17trampoline_kernelINS0_14default_configENS1_38merge_sort_block_merge_config_selectorIhNS0_10empty_typeEEEZZNS1_27merge_sort_block_merge_implIS3_PhPS5_jNS1_19radix_merge_compareILb1ELb1EhNS0_19identity_decomposerEEEEE10hipError_tT0_T1_T2_jT3_P12ihipStream_tbPNSt15iterator_traitsISE_E10value_typeEPNSK_ISF_E10value_typeEPSG_NS1_7vsmem_tEENKUlT_SE_SF_SG_E_clIS8_S8_S9_S9_EESD_ST_SE_SF_SG_EUlST_E1_NS1_11comp_targetILNS1_3genE0ELNS1_11target_archE4294967295ELNS1_3gpuE0ELNS1_3repE0EEENS1_36merge_oddeven_config_static_selectorELNS0_4arch9wavefront6targetE0EEEvSF_
                                        ; -- End function
	.set _ZN7rocprim17ROCPRIM_400000_NS6detail17trampoline_kernelINS0_14default_configENS1_38merge_sort_block_merge_config_selectorIhNS0_10empty_typeEEEZZNS1_27merge_sort_block_merge_implIS3_PhPS5_jNS1_19radix_merge_compareILb1ELb1EhNS0_19identity_decomposerEEEEE10hipError_tT0_T1_T2_jT3_P12ihipStream_tbPNSt15iterator_traitsISE_E10value_typeEPNSK_ISF_E10value_typeEPSG_NS1_7vsmem_tEENKUlT_SE_SF_SG_E_clIS8_S8_S9_S9_EESD_ST_SE_SF_SG_EUlST_E1_NS1_11comp_targetILNS1_3genE0ELNS1_11target_archE4294967295ELNS1_3gpuE0ELNS1_3repE0EEENS1_36merge_oddeven_config_static_selectorELNS0_4arch9wavefront6targetE0EEEvSF_.num_vgpr, 9
	.set _ZN7rocprim17ROCPRIM_400000_NS6detail17trampoline_kernelINS0_14default_configENS1_38merge_sort_block_merge_config_selectorIhNS0_10empty_typeEEEZZNS1_27merge_sort_block_merge_implIS3_PhPS5_jNS1_19radix_merge_compareILb1ELb1EhNS0_19identity_decomposerEEEEE10hipError_tT0_T1_T2_jT3_P12ihipStream_tbPNSt15iterator_traitsISE_E10value_typeEPNSK_ISF_E10value_typeEPSG_NS1_7vsmem_tEENKUlT_SE_SF_SG_E_clIS8_S8_S9_S9_EESD_ST_SE_SF_SG_EUlST_E1_NS1_11comp_targetILNS1_3genE0ELNS1_11target_archE4294967295ELNS1_3gpuE0ELNS1_3repE0EEENS1_36merge_oddeven_config_static_selectorELNS0_4arch9wavefront6targetE0EEEvSF_.num_agpr, 0
	.set _ZN7rocprim17ROCPRIM_400000_NS6detail17trampoline_kernelINS0_14default_configENS1_38merge_sort_block_merge_config_selectorIhNS0_10empty_typeEEEZZNS1_27merge_sort_block_merge_implIS3_PhPS5_jNS1_19radix_merge_compareILb1ELb1EhNS0_19identity_decomposerEEEEE10hipError_tT0_T1_T2_jT3_P12ihipStream_tbPNSt15iterator_traitsISE_E10value_typeEPNSK_ISF_E10value_typeEPSG_NS1_7vsmem_tEENKUlT_SE_SF_SG_E_clIS8_S8_S9_S9_EESD_ST_SE_SF_SG_EUlST_E1_NS1_11comp_targetILNS1_3genE0ELNS1_11target_archE4294967295ELNS1_3gpuE0ELNS1_3repE0EEENS1_36merge_oddeven_config_static_selectorELNS0_4arch9wavefront6targetE0EEEvSF_.numbered_sgpr, 18
	.set _ZN7rocprim17ROCPRIM_400000_NS6detail17trampoline_kernelINS0_14default_configENS1_38merge_sort_block_merge_config_selectorIhNS0_10empty_typeEEEZZNS1_27merge_sort_block_merge_implIS3_PhPS5_jNS1_19radix_merge_compareILb1ELb1EhNS0_19identity_decomposerEEEEE10hipError_tT0_T1_T2_jT3_P12ihipStream_tbPNSt15iterator_traitsISE_E10value_typeEPNSK_ISF_E10value_typeEPSG_NS1_7vsmem_tEENKUlT_SE_SF_SG_E_clIS8_S8_S9_S9_EESD_ST_SE_SF_SG_EUlST_E1_NS1_11comp_targetILNS1_3genE0ELNS1_11target_archE4294967295ELNS1_3gpuE0ELNS1_3repE0EEENS1_36merge_oddeven_config_static_selectorELNS0_4arch9wavefront6targetE0EEEvSF_.num_named_barrier, 0
	.set _ZN7rocprim17ROCPRIM_400000_NS6detail17trampoline_kernelINS0_14default_configENS1_38merge_sort_block_merge_config_selectorIhNS0_10empty_typeEEEZZNS1_27merge_sort_block_merge_implIS3_PhPS5_jNS1_19radix_merge_compareILb1ELb1EhNS0_19identity_decomposerEEEEE10hipError_tT0_T1_T2_jT3_P12ihipStream_tbPNSt15iterator_traitsISE_E10value_typeEPNSK_ISF_E10value_typeEPSG_NS1_7vsmem_tEENKUlT_SE_SF_SG_E_clIS8_S8_S9_S9_EESD_ST_SE_SF_SG_EUlST_E1_NS1_11comp_targetILNS1_3genE0ELNS1_11target_archE4294967295ELNS1_3gpuE0ELNS1_3repE0EEENS1_36merge_oddeven_config_static_selectorELNS0_4arch9wavefront6targetE0EEEvSF_.private_seg_size, 0
	.set _ZN7rocprim17ROCPRIM_400000_NS6detail17trampoline_kernelINS0_14default_configENS1_38merge_sort_block_merge_config_selectorIhNS0_10empty_typeEEEZZNS1_27merge_sort_block_merge_implIS3_PhPS5_jNS1_19radix_merge_compareILb1ELb1EhNS0_19identity_decomposerEEEEE10hipError_tT0_T1_T2_jT3_P12ihipStream_tbPNSt15iterator_traitsISE_E10value_typeEPNSK_ISF_E10value_typeEPSG_NS1_7vsmem_tEENKUlT_SE_SF_SG_E_clIS8_S8_S9_S9_EESD_ST_SE_SF_SG_EUlST_E1_NS1_11comp_targetILNS1_3genE0ELNS1_11target_archE4294967295ELNS1_3gpuE0ELNS1_3repE0EEENS1_36merge_oddeven_config_static_selectorELNS0_4arch9wavefront6targetE0EEEvSF_.uses_vcc, 1
	.set _ZN7rocprim17ROCPRIM_400000_NS6detail17trampoline_kernelINS0_14default_configENS1_38merge_sort_block_merge_config_selectorIhNS0_10empty_typeEEEZZNS1_27merge_sort_block_merge_implIS3_PhPS5_jNS1_19radix_merge_compareILb1ELb1EhNS0_19identity_decomposerEEEEE10hipError_tT0_T1_T2_jT3_P12ihipStream_tbPNSt15iterator_traitsISE_E10value_typeEPNSK_ISF_E10value_typeEPSG_NS1_7vsmem_tEENKUlT_SE_SF_SG_E_clIS8_S8_S9_S9_EESD_ST_SE_SF_SG_EUlST_E1_NS1_11comp_targetILNS1_3genE0ELNS1_11target_archE4294967295ELNS1_3gpuE0ELNS1_3repE0EEENS1_36merge_oddeven_config_static_selectorELNS0_4arch9wavefront6targetE0EEEvSF_.uses_flat_scratch, 0
	.set _ZN7rocprim17ROCPRIM_400000_NS6detail17trampoline_kernelINS0_14default_configENS1_38merge_sort_block_merge_config_selectorIhNS0_10empty_typeEEEZZNS1_27merge_sort_block_merge_implIS3_PhPS5_jNS1_19radix_merge_compareILb1ELb1EhNS0_19identity_decomposerEEEEE10hipError_tT0_T1_T2_jT3_P12ihipStream_tbPNSt15iterator_traitsISE_E10value_typeEPNSK_ISF_E10value_typeEPSG_NS1_7vsmem_tEENKUlT_SE_SF_SG_E_clIS8_S8_S9_S9_EESD_ST_SE_SF_SG_EUlST_E1_NS1_11comp_targetILNS1_3genE0ELNS1_11target_archE4294967295ELNS1_3gpuE0ELNS1_3repE0EEENS1_36merge_oddeven_config_static_selectorELNS0_4arch9wavefront6targetE0EEEvSF_.has_dyn_sized_stack, 0
	.set _ZN7rocprim17ROCPRIM_400000_NS6detail17trampoline_kernelINS0_14default_configENS1_38merge_sort_block_merge_config_selectorIhNS0_10empty_typeEEEZZNS1_27merge_sort_block_merge_implIS3_PhPS5_jNS1_19radix_merge_compareILb1ELb1EhNS0_19identity_decomposerEEEEE10hipError_tT0_T1_T2_jT3_P12ihipStream_tbPNSt15iterator_traitsISE_E10value_typeEPNSK_ISF_E10value_typeEPSG_NS1_7vsmem_tEENKUlT_SE_SF_SG_E_clIS8_S8_S9_S9_EESD_ST_SE_SF_SG_EUlST_E1_NS1_11comp_targetILNS1_3genE0ELNS1_11target_archE4294967295ELNS1_3gpuE0ELNS1_3repE0EEENS1_36merge_oddeven_config_static_selectorELNS0_4arch9wavefront6targetE0EEEvSF_.has_recursion, 0
	.set _ZN7rocprim17ROCPRIM_400000_NS6detail17trampoline_kernelINS0_14default_configENS1_38merge_sort_block_merge_config_selectorIhNS0_10empty_typeEEEZZNS1_27merge_sort_block_merge_implIS3_PhPS5_jNS1_19radix_merge_compareILb1ELb1EhNS0_19identity_decomposerEEEEE10hipError_tT0_T1_T2_jT3_P12ihipStream_tbPNSt15iterator_traitsISE_E10value_typeEPNSK_ISF_E10value_typeEPSG_NS1_7vsmem_tEENKUlT_SE_SF_SG_E_clIS8_S8_S9_S9_EESD_ST_SE_SF_SG_EUlST_E1_NS1_11comp_targetILNS1_3genE0ELNS1_11target_archE4294967295ELNS1_3gpuE0ELNS1_3repE0EEENS1_36merge_oddeven_config_static_selectorELNS0_4arch9wavefront6targetE0EEEvSF_.has_indirect_call, 0
	.section	.AMDGPU.csdata,"",@progbits
; Kernel info:
; codeLenInByte = 700
; TotalNumSgprs: 20
; NumVgprs: 9
; ScratchSize: 0
; MemoryBound: 0
; FloatMode: 240
; IeeeMode: 1
; LDSByteSize: 0 bytes/workgroup (compile time only)
; SGPRBlocks: 0
; VGPRBlocks: 0
; NumSGPRsForWavesPerEU: 20
; NumVGPRsForWavesPerEU: 9
; NamedBarCnt: 0
; Occupancy: 16
; WaveLimiterHint : 0
; COMPUTE_PGM_RSRC2:SCRATCH_EN: 0
; COMPUTE_PGM_RSRC2:USER_SGPR: 2
; COMPUTE_PGM_RSRC2:TRAP_HANDLER: 0
; COMPUTE_PGM_RSRC2:TGID_X_EN: 1
; COMPUTE_PGM_RSRC2:TGID_Y_EN: 0
; COMPUTE_PGM_RSRC2:TGID_Z_EN: 0
; COMPUTE_PGM_RSRC2:TIDIG_COMP_CNT: 0
	.section	.text._ZN7rocprim17ROCPRIM_400000_NS6detail17trampoline_kernelINS0_14default_configENS1_38merge_sort_block_merge_config_selectorIhNS0_10empty_typeEEEZZNS1_27merge_sort_block_merge_implIS3_PhPS5_jNS1_19radix_merge_compareILb1ELb1EhNS0_19identity_decomposerEEEEE10hipError_tT0_T1_T2_jT3_P12ihipStream_tbPNSt15iterator_traitsISE_E10value_typeEPNSK_ISF_E10value_typeEPSG_NS1_7vsmem_tEENKUlT_SE_SF_SG_E_clIS8_S8_S9_S9_EESD_ST_SE_SF_SG_EUlST_E1_NS1_11comp_targetILNS1_3genE10ELNS1_11target_archE1201ELNS1_3gpuE5ELNS1_3repE0EEENS1_36merge_oddeven_config_static_selectorELNS0_4arch9wavefront6targetE0EEEvSF_,"axG",@progbits,_ZN7rocprim17ROCPRIM_400000_NS6detail17trampoline_kernelINS0_14default_configENS1_38merge_sort_block_merge_config_selectorIhNS0_10empty_typeEEEZZNS1_27merge_sort_block_merge_implIS3_PhPS5_jNS1_19radix_merge_compareILb1ELb1EhNS0_19identity_decomposerEEEEE10hipError_tT0_T1_T2_jT3_P12ihipStream_tbPNSt15iterator_traitsISE_E10value_typeEPNSK_ISF_E10value_typeEPSG_NS1_7vsmem_tEENKUlT_SE_SF_SG_E_clIS8_S8_S9_S9_EESD_ST_SE_SF_SG_EUlST_E1_NS1_11comp_targetILNS1_3genE10ELNS1_11target_archE1201ELNS1_3gpuE5ELNS1_3repE0EEENS1_36merge_oddeven_config_static_selectorELNS0_4arch9wavefront6targetE0EEEvSF_,comdat
	.protected	_ZN7rocprim17ROCPRIM_400000_NS6detail17trampoline_kernelINS0_14default_configENS1_38merge_sort_block_merge_config_selectorIhNS0_10empty_typeEEEZZNS1_27merge_sort_block_merge_implIS3_PhPS5_jNS1_19radix_merge_compareILb1ELb1EhNS0_19identity_decomposerEEEEE10hipError_tT0_T1_T2_jT3_P12ihipStream_tbPNSt15iterator_traitsISE_E10value_typeEPNSK_ISF_E10value_typeEPSG_NS1_7vsmem_tEENKUlT_SE_SF_SG_E_clIS8_S8_S9_S9_EESD_ST_SE_SF_SG_EUlST_E1_NS1_11comp_targetILNS1_3genE10ELNS1_11target_archE1201ELNS1_3gpuE5ELNS1_3repE0EEENS1_36merge_oddeven_config_static_selectorELNS0_4arch9wavefront6targetE0EEEvSF_ ; -- Begin function _ZN7rocprim17ROCPRIM_400000_NS6detail17trampoline_kernelINS0_14default_configENS1_38merge_sort_block_merge_config_selectorIhNS0_10empty_typeEEEZZNS1_27merge_sort_block_merge_implIS3_PhPS5_jNS1_19radix_merge_compareILb1ELb1EhNS0_19identity_decomposerEEEEE10hipError_tT0_T1_T2_jT3_P12ihipStream_tbPNSt15iterator_traitsISE_E10value_typeEPNSK_ISF_E10value_typeEPSG_NS1_7vsmem_tEENKUlT_SE_SF_SG_E_clIS8_S8_S9_S9_EESD_ST_SE_SF_SG_EUlST_E1_NS1_11comp_targetILNS1_3genE10ELNS1_11target_archE1201ELNS1_3gpuE5ELNS1_3repE0EEENS1_36merge_oddeven_config_static_selectorELNS0_4arch9wavefront6targetE0EEEvSF_
	.globl	_ZN7rocprim17ROCPRIM_400000_NS6detail17trampoline_kernelINS0_14default_configENS1_38merge_sort_block_merge_config_selectorIhNS0_10empty_typeEEEZZNS1_27merge_sort_block_merge_implIS3_PhPS5_jNS1_19radix_merge_compareILb1ELb1EhNS0_19identity_decomposerEEEEE10hipError_tT0_T1_T2_jT3_P12ihipStream_tbPNSt15iterator_traitsISE_E10value_typeEPNSK_ISF_E10value_typeEPSG_NS1_7vsmem_tEENKUlT_SE_SF_SG_E_clIS8_S8_S9_S9_EESD_ST_SE_SF_SG_EUlST_E1_NS1_11comp_targetILNS1_3genE10ELNS1_11target_archE1201ELNS1_3gpuE5ELNS1_3repE0EEENS1_36merge_oddeven_config_static_selectorELNS0_4arch9wavefront6targetE0EEEvSF_
	.p2align	8
	.type	_ZN7rocprim17ROCPRIM_400000_NS6detail17trampoline_kernelINS0_14default_configENS1_38merge_sort_block_merge_config_selectorIhNS0_10empty_typeEEEZZNS1_27merge_sort_block_merge_implIS3_PhPS5_jNS1_19radix_merge_compareILb1ELb1EhNS0_19identity_decomposerEEEEE10hipError_tT0_T1_T2_jT3_P12ihipStream_tbPNSt15iterator_traitsISE_E10value_typeEPNSK_ISF_E10value_typeEPSG_NS1_7vsmem_tEENKUlT_SE_SF_SG_E_clIS8_S8_S9_S9_EESD_ST_SE_SF_SG_EUlST_E1_NS1_11comp_targetILNS1_3genE10ELNS1_11target_archE1201ELNS1_3gpuE5ELNS1_3repE0EEENS1_36merge_oddeven_config_static_selectorELNS0_4arch9wavefront6targetE0EEEvSF_,@function
_ZN7rocprim17ROCPRIM_400000_NS6detail17trampoline_kernelINS0_14default_configENS1_38merge_sort_block_merge_config_selectorIhNS0_10empty_typeEEEZZNS1_27merge_sort_block_merge_implIS3_PhPS5_jNS1_19radix_merge_compareILb1ELb1EhNS0_19identity_decomposerEEEEE10hipError_tT0_T1_T2_jT3_P12ihipStream_tbPNSt15iterator_traitsISE_E10value_typeEPNSK_ISF_E10value_typeEPSG_NS1_7vsmem_tEENKUlT_SE_SF_SG_E_clIS8_S8_S9_S9_EESD_ST_SE_SF_SG_EUlST_E1_NS1_11comp_targetILNS1_3genE10ELNS1_11target_archE1201ELNS1_3gpuE5ELNS1_3repE0EEENS1_36merge_oddeven_config_static_selectorELNS0_4arch9wavefront6targetE0EEEvSF_: ; @_ZN7rocprim17ROCPRIM_400000_NS6detail17trampoline_kernelINS0_14default_configENS1_38merge_sort_block_merge_config_selectorIhNS0_10empty_typeEEEZZNS1_27merge_sort_block_merge_implIS3_PhPS5_jNS1_19radix_merge_compareILb1ELb1EhNS0_19identity_decomposerEEEEE10hipError_tT0_T1_T2_jT3_P12ihipStream_tbPNSt15iterator_traitsISE_E10value_typeEPNSK_ISF_E10value_typeEPSG_NS1_7vsmem_tEENKUlT_SE_SF_SG_E_clIS8_S8_S9_S9_EESD_ST_SE_SF_SG_EUlST_E1_NS1_11comp_targetILNS1_3genE10ELNS1_11target_archE1201ELNS1_3gpuE5ELNS1_3repE0EEENS1_36merge_oddeven_config_static_selectorELNS0_4arch9wavefront6targetE0EEEvSF_
; %bb.0:
	.section	.rodata,"a",@progbits
	.p2align	6, 0x0
	.amdhsa_kernel _ZN7rocprim17ROCPRIM_400000_NS6detail17trampoline_kernelINS0_14default_configENS1_38merge_sort_block_merge_config_selectorIhNS0_10empty_typeEEEZZNS1_27merge_sort_block_merge_implIS3_PhPS5_jNS1_19radix_merge_compareILb1ELb1EhNS0_19identity_decomposerEEEEE10hipError_tT0_T1_T2_jT3_P12ihipStream_tbPNSt15iterator_traitsISE_E10value_typeEPNSK_ISF_E10value_typeEPSG_NS1_7vsmem_tEENKUlT_SE_SF_SG_E_clIS8_S8_S9_S9_EESD_ST_SE_SF_SG_EUlST_E1_NS1_11comp_targetILNS1_3genE10ELNS1_11target_archE1201ELNS1_3gpuE5ELNS1_3repE0EEENS1_36merge_oddeven_config_static_selectorELNS0_4arch9wavefront6targetE0EEEvSF_
		.amdhsa_group_segment_fixed_size 0
		.amdhsa_private_segment_fixed_size 0
		.amdhsa_kernarg_size 48
		.amdhsa_user_sgpr_count 2
		.amdhsa_user_sgpr_dispatch_ptr 0
		.amdhsa_user_sgpr_queue_ptr 0
		.amdhsa_user_sgpr_kernarg_segment_ptr 1
		.amdhsa_user_sgpr_dispatch_id 0
		.amdhsa_user_sgpr_kernarg_preload_length 0
		.amdhsa_user_sgpr_kernarg_preload_offset 0
		.amdhsa_user_sgpr_private_segment_size 0
		.amdhsa_wavefront_size32 1
		.amdhsa_uses_dynamic_stack 0
		.amdhsa_enable_private_segment 0
		.amdhsa_system_sgpr_workgroup_id_x 1
		.amdhsa_system_sgpr_workgroup_id_y 0
		.amdhsa_system_sgpr_workgroup_id_z 0
		.amdhsa_system_sgpr_workgroup_info 0
		.amdhsa_system_vgpr_workitem_id 0
		.amdhsa_next_free_vgpr 1
		.amdhsa_next_free_sgpr 1
		.amdhsa_named_barrier_count 0
		.amdhsa_reserve_vcc 0
		.amdhsa_float_round_mode_32 0
		.amdhsa_float_round_mode_16_64 0
		.amdhsa_float_denorm_mode_32 3
		.amdhsa_float_denorm_mode_16_64 3
		.amdhsa_fp16_overflow 0
		.amdhsa_memory_ordered 1
		.amdhsa_forward_progress 1
		.amdhsa_inst_pref_size 0
		.amdhsa_round_robin_scheduling 0
		.amdhsa_exception_fp_ieee_invalid_op 0
		.amdhsa_exception_fp_denorm_src 0
		.amdhsa_exception_fp_ieee_div_zero 0
		.amdhsa_exception_fp_ieee_overflow 0
		.amdhsa_exception_fp_ieee_underflow 0
		.amdhsa_exception_fp_ieee_inexact 0
		.amdhsa_exception_int_div_zero 0
	.end_amdhsa_kernel
	.section	.text._ZN7rocprim17ROCPRIM_400000_NS6detail17trampoline_kernelINS0_14default_configENS1_38merge_sort_block_merge_config_selectorIhNS0_10empty_typeEEEZZNS1_27merge_sort_block_merge_implIS3_PhPS5_jNS1_19radix_merge_compareILb1ELb1EhNS0_19identity_decomposerEEEEE10hipError_tT0_T1_T2_jT3_P12ihipStream_tbPNSt15iterator_traitsISE_E10value_typeEPNSK_ISF_E10value_typeEPSG_NS1_7vsmem_tEENKUlT_SE_SF_SG_E_clIS8_S8_S9_S9_EESD_ST_SE_SF_SG_EUlST_E1_NS1_11comp_targetILNS1_3genE10ELNS1_11target_archE1201ELNS1_3gpuE5ELNS1_3repE0EEENS1_36merge_oddeven_config_static_selectorELNS0_4arch9wavefront6targetE0EEEvSF_,"axG",@progbits,_ZN7rocprim17ROCPRIM_400000_NS6detail17trampoline_kernelINS0_14default_configENS1_38merge_sort_block_merge_config_selectorIhNS0_10empty_typeEEEZZNS1_27merge_sort_block_merge_implIS3_PhPS5_jNS1_19radix_merge_compareILb1ELb1EhNS0_19identity_decomposerEEEEE10hipError_tT0_T1_T2_jT3_P12ihipStream_tbPNSt15iterator_traitsISE_E10value_typeEPNSK_ISF_E10value_typeEPSG_NS1_7vsmem_tEENKUlT_SE_SF_SG_E_clIS8_S8_S9_S9_EESD_ST_SE_SF_SG_EUlST_E1_NS1_11comp_targetILNS1_3genE10ELNS1_11target_archE1201ELNS1_3gpuE5ELNS1_3repE0EEENS1_36merge_oddeven_config_static_selectorELNS0_4arch9wavefront6targetE0EEEvSF_,comdat
.Lfunc_end75:
	.size	_ZN7rocprim17ROCPRIM_400000_NS6detail17trampoline_kernelINS0_14default_configENS1_38merge_sort_block_merge_config_selectorIhNS0_10empty_typeEEEZZNS1_27merge_sort_block_merge_implIS3_PhPS5_jNS1_19radix_merge_compareILb1ELb1EhNS0_19identity_decomposerEEEEE10hipError_tT0_T1_T2_jT3_P12ihipStream_tbPNSt15iterator_traitsISE_E10value_typeEPNSK_ISF_E10value_typeEPSG_NS1_7vsmem_tEENKUlT_SE_SF_SG_E_clIS8_S8_S9_S9_EESD_ST_SE_SF_SG_EUlST_E1_NS1_11comp_targetILNS1_3genE10ELNS1_11target_archE1201ELNS1_3gpuE5ELNS1_3repE0EEENS1_36merge_oddeven_config_static_selectorELNS0_4arch9wavefront6targetE0EEEvSF_, .Lfunc_end75-_ZN7rocprim17ROCPRIM_400000_NS6detail17trampoline_kernelINS0_14default_configENS1_38merge_sort_block_merge_config_selectorIhNS0_10empty_typeEEEZZNS1_27merge_sort_block_merge_implIS3_PhPS5_jNS1_19radix_merge_compareILb1ELb1EhNS0_19identity_decomposerEEEEE10hipError_tT0_T1_T2_jT3_P12ihipStream_tbPNSt15iterator_traitsISE_E10value_typeEPNSK_ISF_E10value_typeEPSG_NS1_7vsmem_tEENKUlT_SE_SF_SG_E_clIS8_S8_S9_S9_EESD_ST_SE_SF_SG_EUlST_E1_NS1_11comp_targetILNS1_3genE10ELNS1_11target_archE1201ELNS1_3gpuE5ELNS1_3repE0EEENS1_36merge_oddeven_config_static_selectorELNS0_4arch9wavefront6targetE0EEEvSF_
                                        ; -- End function
	.set _ZN7rocprim17ROCPRIM_400000_NS6detail17trampoline_kernelINS0_14default_configENS1_38merge_sort_block_merge_config_selectorIhNS0_10empty_typeEEEZZNS1_27merge_sort_block_merge_implIS3_PhPS5_jNS1_19radix_merge_compareILb1ELb1EhNS0_19identity_decomposerEEEEE10hipError_tT0_T1_T2_jT3_P12ihipStream_tbPNSt15iterator_traitsISE_E10value_typeEPNSK_ISF_E10value_typeEPSG_NS1_7vsmem_tEENKUlT_SE_SF_SG_E_clIS8_S8_S9_S9_EESD_ST_SE_SF_SG_EUlST_E1_NS1_11comp_targetILNS1_3genE10ELNS1_11target_archE1201ELNS1_3gpuE5ELNS1_3repE0EEENS1_36merge_oddeven_config_static_selectorELNS0_4arch9wavefront6targetE0EEEvSF_.num_vgpr, 0
	.set _ZN7rocprim17ROCPRIM_400000_NS6detail17trampoline_kernelINS0_14default_configENS1_38merge_sort_block_merge_config_selectorIhNS0_10empty_typeEEEZZNS1_27merge_sort_block_merge_implIS3_PhPS5_jNS1_19radix_merge_compareILb1ELb1EhNS0_19identity_decomposerEEEEE10hipError_tT0_T1_T2_jT3_P12ihipStream_tbPNSt15iterator_traitsISE_E10value_typeEPNSK_ISF_E10value_typeEPSG_NS1_7vsmem_tEENKUlT_SE_SF_SG_E_clIS8_S8_S9_S9_EESD_ST_SE_SF_SG_EUlST_E1_NS1_11comp_targetILNS1_3genE10ELNS1_11target_archE1201ELNS1_3gpuE5ELNS1_3repE0EEENS1_36merge_oddeven_config_static_selectorELNS0_4arch9wavefront6targetE0EEEvSF_.num_agpr, 0
	.set _ZN7rocprim17ROCPRIM_400000_NS6detail17trampoline_kernelINS0_14default_configENS1_38merge_sort_block_merge_config_selectorIhNS0_10empty_typeEEEZZNS1_27merge_sort_block_merge_implIS3_PhPS5_jNS1_19radix_merge_compareILb1ELb1EhNS0_19identity_decomposerEEEEE10hipError_tT0_T1_T2_jT3_P12ihipStream_tbPNSt15iterator_traitsISE_E10value_typeEPNSK_ISF_E10value_typeEPSG_NS1_7vsmem_tEENKUlT_SE_SF_SG_E_clIS8_S8_S9_S9_EESD_ST_SE_SF_SG_EUlST_E1_NS1_11comp_targetILNS1_3genE10ELNS1_11target_archE1201ELNS1_3gpuE5ELNS1_3repE0EEENS1_36merge_oddeven_config_static_selectorELNS0_4arch9wavefront6targetE0EEEvSF_.numbered_sgpr, 0
	.set _ZN7rocprim17ROCPRIM_400000_NS6detail17trampoline_kernelINS0_14default_configENS1_38merge_sort_block_merge_config_selectorIhNS0_10empty_typeEEEZZNS1_27merge_sort_block_merge_implIS3_PhPS5_jNS1_19radix_merge_compareILb1ELb1EhNS0_19identity_decomposerEEEEE10hipError_tT0_T1_T2_jT3_P12ihipStream_tbPNSt15iterator_traitsISE_E10value_typeEPNSK_ISF_E10value_typeEPSG_NS1_7vsmem_tEENKUlT_SE_SF_SG_E_clIS8_S8_S9_S9_EESD_ST_SE_SF_SG_EUlST_E1_NS1_11comp_targetILNS1_3genE10ELNS1_11target_archE1201ELNS1_3gpuE5ELNS1_3repE0EEENS1_36merge_oddeven_config_static_selectorELNS0_4arch9wavefront6targetE0EEEvSF_.num_named_barrier, 0
	.set _ZN7rocprim17ROCPRIM_400000_NS6detail17trampoline_kernelINS0_14default_configENS1_38merge_sort_block_merge_config_selectorIhNS0_10empty_typeEEEZZNS1_27merge_sort_block_merge_implIS3_PhPS5_jNS1_19radix_merge_compareILb1ELb1EhNS0_19identity_decomposerEEEEE10hipError_tT0_T1_T2_jT3_P12ihipStream_tbPNSt15iterator_traitsISE_E10value_typeEPNSK_ISF_E10value_typeEPSG_NS1_7vsmem_tEENKUlT_SE_SF_SG_E_clIS8_S8_S9_S9_EESD_ST_SE_SF_SG_EUlST_E1_NS1_11comp_targetILNS1_3genE10ELNS1_11target_archE1201ELNS1_3gpuE5ELNS1_3repE0EEENS1_36merge_oddeven_config_static_selectorELNS0_4arch9wavefront6targetE0EEEvSF_.private_seg_size, 0
	.set _ZN7rocprim17ROCPRIM_400000_NS6detail17trampoline_kernelINS0_14default_configENS1_38merge_sort_block_merge_config_selectorIhNS0_10empty_typeEEEZZNS1_27merge_sort_block_merge_implIS3_PhPS5_jNS1_19radix_merge_compareILb1ELb1EhNS0_19identity_decomposerEEEEE10hipError_tT0_T1_T2_jT3_P12ihipStream_tbPNSt15iterator_traitsISE_E10value_typeEPNSK_ISF_E10value_typeEPSG_NS1_7vsmem_tEENKUlT_SE_SF_SG_E_clIS8_S8_S9_S9_EESD_ST_SE_SF_SG_EUlST_E1_NS1_11comp_targetILNS1_3genE10ELNS1_11target_archE1201ELNS1_3gpuE5ELNS1_3repE0EEENS1_36merge_oddeven_config_static_selectorELNS0_4arch9wavefront6targetE0EEEvSF_.uses_vcc, 0
	.set _ZN7rocprim17ROCPRIM_400000_NS6detail17trampoline_kernelINS0_14default_configENS1_38merge_sort_block_merge_config_selectorIhNS0_10empty_typeEEEZZNS1_27merge_sort_block_merge_implIS3_PhPS5_jNS1_19radix_merge_compareILb1ELb1EhNS0_19identity_decomposerEEEEE10hipError_tT0_T1_T2_jT3_P12ihipStream_tbPNSt15iterator_traitsISE_E10value_typeEPNSK_ISF_E10value_typeEPSG_NS1_7vsmem_tEENKUlT_SE_SF_SG_E_clIS8_S8_S9_S9_EESD_ST_SE_SF_SG_EUlST_E1_NS1_11comp_targetILNS1_3genE10ELNS1_11target_archE1201ELNS1_3gpuE5ELNS1_3repE0EEENS1_36merge_oddeven_config_static_selectorELNS0_4arch9wavefront6targetE0EEEvSF_.uses_flat_scratch, 0
	.set _ZN7rocprim17ROCPRIM_400000_NS6detail17trampoline_kernelINS0_14default_configENS1_38merge_sort_block_merge_config_selectorIhNS0_10empty_typeEEEZZNS1_27merge_sort_block_merge_implIS3_PhPS5_jNS1_19radix_merge_compareILb1ELb1EhNS0_19identity_decomposerEEEEE10hipError_tT0_T1_T2_jT3_P12ihipStream_tbPNSt15iterator_traitsISE_E10value_typeEPNSK_ISF_E10value_typeEPSG_NS1_7vsmem_tEENKUlT_SE_SF_SG_E_clIS8_S8_S9_S9_EESD_ST_SE_SF_SG_EUlST_E1_NS1_11comp_targetILNS1_3genE10ELNS1_11target_archE1201ELNS1_3gpuE5ELNS1_3repE0EEENS1_36merge_oddeven_config_static_selectorELNS0_4arch9wavefront6targetE0EEEvSF_.has_dyn_sized_stack, 0
	.set _ZN7rocprim17ROCPRIM_400000_NS6detail17trampoline_kernelINS0_14default_configENS1_38merge_sort_block_merge_config_selectorIhNS0_10empty_typeEEEZZNS1_27merge_sort_block_merge_implIS3_PhPS5_jNS1_19radix_merge_compareILb1ELb1EhNS0_19identity_decomposerEEEEE10hipError_tT0_T1_T2_jT3_P12ihipStream_tbPNSt15iterator_traitsISE_E10value_typeEPNSK_ISF_E10value_typeEPSG_NS1_7vsmem_tEENKUlT_SE_SF_SG_E_clIS8_S8_S9_S9_EESD_ST_SE_SF_SG_EUlST_E1_NS1_11comp_targetILNS1_3genE10ELNS1_11target_archE1201ELNS1_3gpuE5ELNS1_3repE0EEENS1_36merge_oddeven_config_static_selectorELNS0_4arch9wavefront6targetE0EEEvSF_.has_recursion, 0
	.set _ZN7rocprim17ROCPRIM_400000_NS6detail17trampoline_kernelINS0_14default_configENS1_38merge_sort_block_merge_config_selectorIhNS0_10empty_typeEEEZZNS1_27merge_sort_block_merge_implIS3_PhPS5_jNS1_19radix_merge_compareILb1ELb1EhNS0_19identity_decomposerEEEEE10hipError_tT0_T1_T2_jT3_P12ihipStream_tbPNSt15iterator_traitsISE_E10value_typeEPNSK_ISF_E10value_typeEPSG_NS1_7vsmem_tEENKUlT_SE_SF_SG_E_clIS8_S8_S9_S9_EESD_ST_SE_SF_SG_EUlST_E1_NS1_11comp_targetILNS1_3genE10ELNS1_11target_archE1201ELNS1_3gpuE5ELNS1_3repE0EEENS1_36merge_oddeven_config_static_selectorELNS0_4arch9wavefront6targetE0EEEvSF_.has_indirect_call, 0
	.section	.AMDGPU.csdata,"",@progbits
; Kernel info:
; codeLenInByte = 0
; TotalNumSgprs: 0
; NumVgprs: 0
; ScratchSize: 0
; MemoryBound: 0
; FloatMode: 240
; IeeeMode: 1
; LDSByteSize: 0 bytes/workgroup (compile time only)
; SGPRBlocks: 0
; VGPRBlocks: 0
; NumSGPRsForWavesPerEU: 1
; NumVGPRsForWavesPerEU: 1
; NamedBarCnt: 0
; Occupancy: 16
; WaveLimiterHint : 0
; COMPUTE_PGM_RSRC2:SCRATCH_EN: 0
; COMPUTE_PGM_RSRC2:USER_SGPR: 2
; COMPUTE_PGM_RSRC2:TRAP_HANDLER: 0
; COMPUTE_PGM_RSRC2:TGID_X_EN: 1
; COMPUTE_PGM_RSRC2:TGID_Y_EN: 0
; COMPUTE_PGM_RSRC2:TGID_Z_EN: 0
; COMPUTE_PGM_RSRC2:TIDIG_COMP_CNT: 0
	.section	.text._ZN7rocprim17ROCPRIM_400000_NS6detail17trampoline_kernelINS0_14default_configENS1_38merge_sort_block_merge_config_selectorIhNS0_10empty_typeEEEZZNS1_27merge_sort_block_merge_implIS3_PhPS5_jNS1_19radix_merge_compareILb1ELb1EhNS0_19identity_decomposerEEEEE10hipError_tT0_T1_T2_jT3_P12ihipStream_tbPNSt15iterator_traitsISE_E10value_typeEPNSK_ISF_E10value_typeEPSG_NS1_7vsmem_tEENKUlT_SE_SF_SG_E_clIS8_S8_S9_S9_EESD_ST_SE_SF_SG_EUlST_E1_NS1_11comp_targetILNS1_3genE5ELNS1_11target_archE942ELNS1_3gpuE9ELNS1_3repE0EEENS1_36merge_oddeven_config_static_selectorELNS0_4arch9wavefront6targetE0EEEvSF_,"axG",@progbits,_ZN7rocprim17ROCPRIM_400000_NS6detail17trampoline_kernelINS0_14default_configENS1_38merge_sort_block_merge_config_selectorIhNS0_10empty_typeEEEZZNS1_27merge_sort_block_merge_implIS3_PhPS5_jNS1_19radix_merge_compareILb1ELb1EhNS0_19identity_decomposerEEEEE10hipError_tT0_T1_T2_jT3_P12ihipStream_tbPNSt15iterator_traitsISE_E10value_typeEPNSK_ISF_E10value_typeEPSG_NS1_7vsmem_tEENKUlT_SE_SF_SG_E_clIS8_S8_S9_S9_EESD_ST_SE_SF_SG_EUlST_E1_NS1_11comp_targetILNS1_3genE5ELNS1_11target_archE942ELNS1_3gpuE9ELNS1_3repE0EEENS1_36merge_oddeven_config_static_selectorELNS0_4arch9wavefront6targetE0EEEvSF_,comdat
	.protected	_ZN7rocprim17ROCPRIM_400000_NS6detail17trampoline_kernelINS0_14default_configENS1_38merge_sort_block_merge_config_selectorIhNS0_10empty_typeEEEZZNS1_27merge_sort_block_merge_implIS3_PhPS5_jNS1_19radix_merge_compareILb1ELb1EhNS0_19identity_decomposerEEEEE10hipError_tT0_T1_T2_jT3_P12ihipStream_tbPNSt15iterator_traitsISE_E10value_typeEPNSK_ISF_E10value_typeEPSG_NS1_7vsmem_tEENKUlT_SE_SF_SG_E_clIS8_S8_S9_S9_EESD_ST_SE_SF_SG_EUlST_E1_NS1_11comp_targetILNS1_3genE5ELNS1_11target_archE942ELNS1_3gpuE9ELNS1_3repE0EEENS1_36merge_oddeven_config_static_selectorELNS0_4arch9wavefront6targetE0EEEvSF_ ; -- Begin function _ZN7rocprim17ROCPRIM_400000_NS6detail17trampoline_kernelINS0_14default_configENS1_38merge_sort_block_merge_config_selectorIhNS0_10empty_typeEEEZZNS1_27merge_sort_block_merge_implIS3_PhPS5_jNS1_19radix_merge_compareILb1ELb1EhNS0_19identity_decomposerEEEEE10hipError_tT0_T1_T2_jT3_P12ihipStream_tbPNSt15iterator_traitsISE_E10value_typeEPNSK_ISF_E10value_typeEPSG_NS1_7vsmem_tEENKUlT_SE_SF_SG_E_clIS8_S8_S9_S9_EESD_ST_SE_SF_SG_EUlST_E1_NS1_11comp_targetILNS1_3genE5ELNS1_11target_archE942ELNS1_3gpuE9ELNS1_3repE0EEENS1_36merge_oddeven_config_static_selectorELNS0_4arch9wavefront6targetE0EEEvSF_
	.globl	_ZN7rocprim17ROCPRIM_400000_NS6detail17trampoline_kernelINS0_14default_configENS1_38merge_sort_block_merge_config_selectorIhNS0_10empty_typeEEEZZNS1_27merge_sort_block_merge_implIS3_PhPS5_jNS1_19radix_merge_compareILb1ELb1EhNS0_19identity_decomposerEEEEE10hipError_tT0_T1_T2_jT3_P12ihipStream_tbPNSt15iterator_traitsISE_E10value_typeEPNSK_ISF_E10value_typeEPSG_NS1_7vsmem_tEENKUlT_SE_SF_SG_E_clIS8_S8_S9_S9_EESD_ST_SE_SF_SG_EUlST_E1_NS1_11comp_targetILNS1_3genE5ELNS1_11target_archE942ELNS1_3gpuE9ELNS1_3repE0EEENS1_36merge_oddeven_config_static_selectorELNS0_4arch9wavefront6targetE0EEEvSF_
	.p2align	8
	.type	_ZN7rocprim17ROCPRIM_400000_NS6detail17trampoline_kernelINS0_14default_configENS1_38merge_sort_block_merge_config_selectorIhNS0_10empty_typeEEEZZNS1_27merge_sort_block_merge_implIS3_PhPS5_jNS1_19radix_merge_compareILb1ELb1EhNS0_19identity_decomposerEEEEE10hipError_tT0_T1_T2_jT3_P12ihipStream_tbPNSt15iterator_traitsISE_E10value_typeEPNSK_ISF_E10value_typeEPSG_NS1_7vsmem_tEENKUlT_SE_SF_SG_E_clIS8_S8_S9_S9_EESD_ST_SE_SF_SG_EUlST_E1_NS1_11comp_targetILNS1_3genE5ELNS1_11target_archE942ELNS1_3gpuE9ELNS1_3repE0EEENS1_36merge_oddeven_config_static_selectorELNS0_4arch9wavefront6targetE0EEEvSF_,@function
_ZN7rocprim17ROCPRIM_400000_NS6detail17trampoline_kernelINS0_14default_configENS1_38merge_sort_block_merge_config_selectorIhNS0_10empty_typeEEEZZNS1_27merge_sort_block_merge_implIS3_PhPS5_jNS1_19radix_merge_compareILb1ELb1EhNS0_19identity_decomposerEEEEE10hipError_tT0_T1_T2_jT3_P12ihipStream_tbPNSt15iterator_traitsISE_E10value_typeEPNSK_ISF_E10value_typeEPSG_NS1_7vsmem_tEENKUlT_SE_SF_SG_E_clIS8_S8_S9_S9_EESD_ST_SE_SF_SG_EUlST_E1_NS1_11comp_targetILNS1_3genE5ELNS1_11target_archE942ELNS1_3gpuE9ELNS1_3repE0EEENS1_36merge_oddeven_config_static_selectorELNS0_4arch9wavefront6targetE0EEEvSF_: ; @_ZN7rocprim17ROCPRIM_400000_NS6detail17trampoline_kernelINS0_14default_configENS1_38merge_sort_block_merge_config_selectorIhNS0_10empty_typeEEEZZNS1_27merge_sort_block_merge_implIS3_PhPS5_jNS1_19radix_merge_compareILb1ELb1EhNS0_19identity_decomposerEEEEE10hipError_tT0_T1_T2_jT3_P12ihipStream_tbPNSt15iterator_traitsISE_E10value_typeEPNSK_ISF_E10value_typeEPSG_NS1_7vsmem_tEENKUlT_SE_SF_SG_E_clIS8_S8_S9_S9_EESD_ST_SE_SF_SG_EUlST_E1_NS1_11comp_targetILNS1_3genE5ELNS1_11target_archE942ELNS1_3gpuE9ELNS1_3repE0EEENS1_36merge_oddeven_config_static_selectorELNS0_4arch9wavefront6targetE0EEEvSF_
; %bb.0:
	.section	.rodata,"a",@progbits
	.p2align	6, 0x0
	.amdhsa_kernel _ZN7rocprim17ROCPRIM_400000_NS6detail17trampoline_kernelINS0_14default_configENS1_38merge_sort_block_merge_config_selectorIhNS0_10empty_typeEEEZZNS1_27merge_sort_block_merge_implIS3_PhPS5_jNS1_19radix_merge_compareILb1ELb1EhNS0_19identity_decomposerEEEEE10hipError_tT0_T1_T2_jT3_P12ihipStream_tbPNSt15iterator_traitsISE_E10value_typeEPNSK_ISF_E10value_typeEPSG_NS1_7vsmem_tEENKUlT_SE_SF_SG_E_clIS8_S8_S9_S9_EESD_ST_SE_SF_SG_EUlST_E1_NS1_11comp_targetILNS1_3genE5ELNS1_11target_archE942ELNS1_3gpuE9ELNS1_3repE0EEENS1_36merge_oddeven_config_static_selectorELNS0_4arch9wavefront6targetE0EEEvSF_
		.amdhsa_group_segment_fixed_size 0
		.amdhsa_private_segment_fixed_size 0
		.amdhsa_kernarg_size 48
		.amdhsa_user_sgpr_count 2
		.amdhsa_user_sgpr_dispatch_ptr 0
		.amdhsa_user_sgpr_queue_ptr 0
		.amdhsa_user_sgpr_kernarg_segment_ptr 1
		.amdhsa_user_sgpr_dispatch_id 0
		.amdhsa_user_sgpr_kernarg_preload_length 0
		.amdhsa_user_sgpr_kernarg_preload_offset 0
		.amdhsa_user_sgpr_private_segment_size 0
		.amdhsa_wavefront_size32 1
		.amdhsa_uses_dynamic_stack 0
		.amdhsa_enable_private_segment 0
		.amdhsa_system_sgpr_workgroup_id_x 1
		.amdhsa_system_sgpr_workgroup_id_y 0
		.amdhsa_system_sgpr_workgroup_id_z 0
		.amdhsa_system_sgpr_workgroup_info 0
		.amdhsa_system_vgpr_workitem_id 0
		.amdhsa_next_free_vgpr 1
		.amdhsa_next_free_sgpr 1
		.amdhsa_named_barrier_count 0
		.amdhsa_reserve_vcc 0
		.amdhsa_float_round_mode_32 0
		.amdhsa_float_round_mode_16_64 0
		.amdhsa_float_denorm_mode_32 3
		.amdhsa_float_denorm_mode_16_64 3
		.amdhsa_fp16_overflow 0
		.amdhsa_memory_ordered 1
		.amdhsa_forward_progress 1
		.amdhsa_inst_pref_size 0
		.amdhsa_round_robin_scheduling 0
		.amdhsa_exception_fp_ieee_invalid_op 0
		.amdhsa_exception_fp_denorm_src 0
		.amdhsa_exception_fp_ieee_div_zero 0
		.amdhsa_exception_fp_ieee_overflow 0
		.amdhsa_exception_fp_ieee_underflow 0
		.amdhsa_exception_fp_ieee_inexact 0
		.amdhsa_exception_int_div_zero 0
	.end_amdhsa_kernel
	.section	.text._ZN7rocprim17ROCPRIM_400000_NS6detail17trampoline_kernelINS0_14default_configENS1_38merge_sort_block_merge_config_selectorIhNS0_10empty_typeEEEZZNS1_27merge_sort_block_merge_implIS3_PhPS5_jNS1_19radix_merge_compareILb1ELb1EhNS0_19identity_decomposerEEEEE10hipError_tT0_T1_T2_jT3_P12ihipStream_tbPNSt15iterator_traitsISE_E10value_typeEPNSK_ISF_E10value_typeEPSG_NS1_7vsmem_tEENKUlT_SE_SF_SG_E_clIS8_S8_S9_S9_EESD_ST_SE_SF_SG_EUlST_E1_NS1_11comp_targetILNS1_3genE5ELNS1_11target_archE942ELNS1_3gpuE9ELNS1_3repE0EEENS1_36merge_oddeven_config_static_selectorELNS0_4arch9wavefront6targetE0EEEvSF_,"axG",@progbits,_ZN7rocprim17ROCPRIM_400000_NS6detail17trampoline_kernelINS0_14default_configENS1_38merge_sort_block_merge_config_selectorIhNS0_10empty_typeEEEZZNS1_27merge_sort_block_merge_implIS3_PhPS5_jNS1_19radix_merge_compareILb1ELb1EhNS0_19identity_decomposerEEEEE10hipError_tT0_T1_T2_jT3_P12ihipStream_tbPNSt15iterator_traitsISE_E10value_typeEPNSK_ISF_E10value_typeEPSG_NS1_7vsmem_tEENKUlT_SE_SF_SG_E_clIS8_S8_S9_S9_EESD_ST_SE_SF_SG_EUlST_E1_NS1_11comp_targetILNS1_3genE5ELNS1_11target_archE942ELNS1_3gpuE9ELNS1_3repE0EEENS1_36merge_oddeven_config_static_selectorELNS0_4arch9wavefront6targetE0EEEvSF_,comdat
.Lfunc_end76:
	.size	_ZN7rocprim17ROCPRIM_400000_NS6detail17trampoline_kernelINS0_14default_configENS1_38merge_sort_block_merge_config_selectorIhNS0_10empty_typeEEEZZNS1_27merge_sort_block_merge_implIS3_PhPS5_jNS1_19radix_merge_compareILb1ELb1EhNS0_19identity_decomposerEEEEE10hipError_tT0_T1_T2_jT3_P12ihipStream_tbPNSt15iterator_traitsISE_E10value_typeEPNSK_ISF_E10value_typeEPSG_NS1_7vsmem_tEENKUlT_SE_SF_SG_E_clIS8_S8_S9_S9_EESD_ST_SE_SF_SG_EUlST_E1_NS1_11comp_targetILNS1_3genE5ELNS1_11target_archE942ELNS1_3gpuE9ELNS1_3repE0EEENS1_36merge_oddeven_config_static_selectorELNS0_4arch9wavefront6targetE0EEEvSF_, .Lfunc_end76-_ZN7rocprim17ROCPRIM_400000_NS6detail17trampoline_kernelINS0_14default_configENS1_38merge_sort_block_merge_config_selectorIhNS0_10empty_typeEEEZZNS1_27merge_sort_block_merge_implIS3_PhPS5_jNS1_19radix_merge_compareILb1ELb1EhNS0_19identity_decomposerEEEEE10hipError_tT0_T1_T2_jT3_P12ihipStream_tbPNSt15iterator_traitsISE_E10value_typeEPNSK_ISF_E10value_typeEPSG_NS1_7vsmem_tEENKUlT_SE_SF_SG_E_clIS8_S8_S9_S9_EESD_ST_SE_SF_SG_EUlST_E1_NS1_11comp_targetILNS1_3genE5ELNS1_11target_archE942ELNS1_3gpuE9ELNS1_3repE0EEENS1_36merge_oddeven_config_static_selectorELNS0_4arch9wavefront6targetE0EEEvSF_
                                        ; -- End function
	.set _ZN7rocprim17ROCPRIM_400000_NS6detail17trampoline_kernelINS0_14default_configENS1_38merge_sort_block_merge_config_selectorIhNS0_10empty_typeEEEZZNS1_27merge_sort_block_merge_implIS3_PhPS5_jNS1_19radix_merge_compareILb1ELb1EhNS0_19identity_decomposerEEEEE10hipError_tT0_T1_T2_jT3_P12ihipStream_tbPNSt15iterator_traitsISE_E10value_typeEPNSK_ISF_E10value_typeEPSG_NS1_7vsmem_tEENKUlT_SE_SF_SG_E_clIS8_S8_S9_S9_EESD_ST_SE_SF_SG_EUlST_E1_NS1_11comp_targetILNS1_3genE5ELNS1_11target_archE942ELNS1_3gpuE9ELNS1_3repE0EEENS1_36merge_oddeven_config_static_selectorELNS0_4arch9wavefront6targetE0EEEvSF_.num_vgpr, 0
	.set _ZN7rocprim17ROCPRIM_400000_NS6detail17trampoline_kernelINS0_14default_configENS1_38merge_sort_block_merge_config_selectorIhNS0_10empty_typeEEEZZNS1_27merge_sort_block_merge_implIS3_PhPS5_jNS1_19radix_merge_compareILb1ELb1EhNS0_19identity_decomposerEEEEE10hipError_tT0_T1_T2_jT3_P12ihipStream_tbPNSt15iterator_traitsISE_E10value_typeEPNSK_ISF_E10value_typeEPSG_NS1_7vsmem_tEENKUlT_SE_SF_SG_E_clIS8_S8_S9_S9_EESD_ST_SE_SF_SG_EUlST_E1_NS1_11comp_targetILNS1_3genE5ELNS1_11target_archE942ELNS1_3gpuE9ELNS1_3repE0EEENS1_36merge_oddeven_config_static_selectorELNS0_4arch9wavefront6targetE0EEEvSF_.num_agpr, 0
	.set _ZN7rocprim17ROCPRIM_400000_NS6detail17trampoline_kernelINS0_14default_configENS1_38merge_sort_block_merge_config_selectorIhNS0_10empty_typeEEEZZNS1_27merge_sort_block_merge_implIS3_PhPS5_jNS1_19radix_merge_compareILb1ELb1EhNS0_19identity_decomposerEEEEE10hipError_tT0_T1_T2_jT3_P12ihipStream_tbPNSt15iterator_traitsISE_E10value_typeEPNSK_ISF_E10value_typeEPSG_NS1_7vsmem_tEENKUlT_SE_SF_SG_E_clIS8_S8_S9_S9_EESD_ST_SE_SF_SG_EUlST_E1_NS1_11comp_targetILNS1_3genE5ELNS1_11target_archE942ELNS1_3gpuE9ELNS1_3repE0EEENS1_36merge_oddeven_config_static_selectorELNS0_4arch9wavefront6targetE0EEEvSF_.numbered_sgpr, 0
	.set _ZN7rocprim17ROCPRIM_400000_NS6detail17trampoline_kernelINS0_14default_configENS1_38merge_sort_block_merge_config_selectorIhNS0_10empty_typeEEEZZNS1_27merge_sort_block_merge_implIS3_PhPS5_jNS1_19radix_merge_compareILb1ELb1EhNS0_19identity_decomposerEEEEE10hipError_tT0_T1_T2_jT3_P12ihipStream_tbPNSt15iterator_traitsISE_E10value_typeEPNSK_ISF_E10value_typeEPSG_NS1_7vsmem_tEENKUlT_SE_SF_SG_E_clIS8_S8_S9_S9_EESD_ST_SE_SF_SG_EUlST_E1_NS1_11comp_targetILNS1_3genE5ELNS1_11target_archE942ELNS1_3gpuE9ELNS1_3repE0EEENS1_36merge_oddeven_config_static_selectorELNS0_4arch9wavefront6targetE0EEEvSF_.num_named_barrier, 0
	.set _ZN7rocprim17ROCPRIM_400000_NS6detail17trampoline_kernelINS0_14default_configENS1_38merge_sort_block_merge_config_selectorIhNS0_10empty_typeEEEZZNS1_27merge_sort_block_merge_implIS3_PhPS5_jNS1_19radix_merge_compareILb1ELb1EhNS0_19identity_decomposerEEEEE10hipError_tT0_T1_T2_jT3_P12ihipStream_tbPNSt15iterator_traitsISE_E10value_typeEPNSK_ISF_E10value_typeEPSG_NS1_7vsmem_tEENKUlT_SE_SF_SG_E_clIS8_S8_S9_S9_EESD_ST_SE_SF_SG_EUlST_E1_NS1_11comp_targetILNS1_3genE5ELNS1_11target_archE942ELNS1_3gpuE9ELNS1_3repE0EEENS1_36merge_oddeven_config_static_selectorELNS0_4arch9wavefront6targetE0EEEvSF_.private_seg_size, 0
	.set _ZN7rocprim17ROCPRIM_400000_NS6detail17trampoline_kernelINS0_14default_configENS1_38merge_sort_block_merge_config_selectorIhNS0_10empty_typeEEEZZNS1_27merge_sort_block_merge_implIS3_PhPS5_jNS1_19radix_merge_compareILb1ELb1EhNS0_19identity_decomposerEEEEE10hipError_tT0_T1_T2_jT3_P12ihipStream_tbPNSt15iterator_traitsISE_E10value_typeEPNSK_ISF_E10value_typeEPSG_NS1_7vsmem_tEENKUlT_SE_SF_SG_E_clIS8_S8_S9_S9_EESD_ST_SE_SF_SG_EUlST_E1_NS1_11comp_targetILNS1_3genE5ELNS1_11target_archE942ELNS1_3gpuE9ELNS1_3repE0EEENS1_36merge_oddeven_config_static_selectorELNS0_4arch9wavefront6targetE0EEEvSF_.uses_vcc, 0
	.set _ZN7rocprim17ROCPRIM_400000_NS6detail17trampoline_kernelINS0_14default_configENS1_38merge_sort_block_merge_config_selectorIhNS0_10empty_typeEEEZZNS1_27merge_sort_block_merge_implIS3_PhPS5_jNS1_19radix_merge_compareILb1ELb1EhNS0_19identity_decomposerEEEEE10hipError_tT0_T1_T2_jT3_P12ihipStream_tbPNSt15iterator_traitsISE_E10value_typeEPNSK_ISF_E10value_typeEPSG_NS1_7vsmem_tEENKUlT_SE_SF_SG_E_clIS8_S8_S9_S9_EESD_ST_SE_SF_SG_EUlST_E1_NS1_11comp_targetILNS1_3genE5ELNS1_11target_archE942ELNS1_3gpuE9ELNS1_3repE0EEENS1_36merge_oddeven_config_static_selectorELNS0_4arch9wavefront6targetE0EEEvSF_.uses_flat_scratch, 0
	.set _ZN7rocprim17ROCPRIM_400000_NS6detail17trampoline_kernelINS0_14default_configENS1_38merge_sort_block_merge_config_selectorIhNS0_10empty_typeEEEZZNS1_27merge_sort_block_merge_implIS3_PhPS5_jNS1_19radix_merge_compareILb1ELb1EhNS0_19identity_decomposerEEEEE10hipError_tT0_T1_T2_jT3_P12ihipStream_tbPNSt15iterator_traitsISE_E10value_typeEPNSK_ISF_E10value_typeEPSG_NS1_7vsmem_tEENKUlT_SE_SF_SG_E_clIS8_S8_S9_S9_EESD_ST_SE_SF_SG_EUlST_E1_NS1_11comp_targetILNS1_3genE5ELNS1_11target_archE942ELNS1_3gpuE9ELNS1_3repE0EEENS1_36merge_oddeven_config_static_selectorELNS0_4arch9wavefront6targetE0EEEvSF_.has_dyn_sized_stack, 0
	.set _ZN7rocprim17ROCPRIM_400000_NS6detail17trampoline_kernelINS0_14default_configENS1_38merge_sort_block_merge_config_selectorIhNS0_10empty_typeEEEZZNS1_27merge_sort_block_merge_implIS3_PhPS5_jNS1_19radix_merge_compareILb1ELb1EhNS0_19identity_decomposerEEEEE10hipError_tT0_T1_T2_jT3_P12ihipStream_tbPNSt15iterator_traitsISE_E10value_typeEPNSK_ISF_E10value_typeEPSG_NS1_7vsmem_tEENKUlT_SE_SF_SG_E_clIS8_S8_S9_S9_EESD_ST_SE_SF_SG_EUlST_E1_NS1_11comp_targetILNS1_3genE5ELNS1_11target_archE942ELNS1_3gpuE9ELNS1_3repE0EEENS1_36merge_oddeven_config_static_selectorELNS0_4arch9wavefront6targetE0EEEvSF_.has_recursion, 0
	.set _ZN7rocprim17ROCPRIM_400000_NS6detail17trampoline_kernelINS0_14default_configENS1_38merge_sort_block_merge_config_selectorIhNS0_10empty_typeEEEZZNS1_27merge_sort_block_merge_implIS3_PhPS5_jNS1_19radix_merge_compareILb1ELb1EhNS0_19identity_decomposerEEEEE10hipError_tT0_T1_T2_jT3_P12ihipStream_tbPNSt15iterator_traitsISE_E10value_typeEPNSK_ISF_E10value_typeEPSG_NS1_7vsmem_tEENKUlT_SE_SF_SG_E_clIS8_S8_S9_S9_EESD_ST_SE_SF_SG_EUlST_E1_NS1_11comp_targetILNS1_3genE5ELNS1_11target_archE942ELNS1_3gpuE9ELNS1_3repE0EEENS1_36merge_oddeven_config_static_selectorELNS0_4arch9wavefront6targetE0EEEvSF_.has_indirect_call, 0
	.section	.AMDGPU.csdata,"",@progbits
; Kernel info:
; codeLenInByte = 0
; TotalNumSgprs: 0
; NumVgprs: 0
; ScratchSize: 0
; MemoryBound: 0
; FloatMode: 240
; IeeeMode: 1
; LDSByteSize: 0 bytes/workgroup (compile time only)
; SGPRBlocks: 0
; VGPRBlocks: 0
; NumSGPRsForWavesPerEU: 1
; NumVGPRsForWavesPerEU: 1
; NamedBarCnt: 0
; Occupancy: 16
; WaveLimiterHint : 0
; COMPUTE_PGM_RSRC2:SCRATCH_EN: 0
; COMPUTE_PGM_RSRC2:USER_SGPR: 2
; COMPUTE_PGM_RSRC2:TRAP_HANDLER: 0
; COMPUTE_PGM_RSRC2:TGID_X_EN: 1
; COMPUTE_PGM_RSRC2:TGID_Y_EN: 0
; COMPUTE_PGM_RSRC2:TGID_Z_EN: 0
; COMPUTE_PGM_RSRC2:TIDIG_COMP_CNT: 0
	.section	.text._ZN7rocprim17ROCPRIM_400000_NS6detail17trampoline_kernelINS0_14default_configENS1_38merge_sort_block_merge_config_selectorIhNS0_10empty_typeEEEZZNS1_27merge_sort_block_merge_implIS3_PhPS5_jNS1_19radix_merge_compareILb1ELb1EhNS0_19identity_decomposerEEEEE10hipError_tT0_T1_T2_jT3_P12ihipStream_tbPNSt15iterator_traitsISE_E10value_typeEPNSK_ISF_E10value_typeEPSG_NS1_7vsmem_tEENKUlT_SE_SF_SG_E_clIS8_S8_S9_S9_EESD_ST_SE_SF_SG_EUlST_E1_NS1_11comp_targetILNS1_3genE4ELNS1_11target_archE910ELNS1_3gpuE8ELNS1_3repE0EEENS1_36merge_oddeven_config_static_selectorELNS0_4arch9wavefront6targetE0EEEvSF_,"axG",@progbits,_ZN7rocprim17ROCPRIM_400000_NS6detail17trampoline_kernelINS0_14default_configENS1_38merge_sort_block_merge_config_selectorIhNS0_10empty_typeEEEZZNS1_27merge_sort_block_merge_implIS3_PhPS5_jNS1_19radix_merge_compareILb1ELb1EhNS0_19identity_decomposerEEEEE10hipError_tT0_T1_T2_jT3_P12ihipStream_tbPNSt15iterator_traitsISE_E10value_typeEPNSK_ISF_E10value_typeEPSG_NS1_7vsmem_tEENKUlT_SE_SF_SG_E_clIS8_S8_S9_S9_EESD_ST_SE_SF_SG_EUlST_E1_NS1_11comp_targetILNS1_3genE4ELNS1_11target_archE910ELNS1_3gpuE8ELNS1_3repE0EEENS1_36merge_oddeven_config_static_selectorELNS0_4arch9wavefront6targetE0EEEvSF_,comdat
	.protected	_ZN7rocprim17ROCPRIM_400000_NS6detail17trampoline_kernelINS0_14default_configENS1_38merge_sort_block_merge_config_selectorIhNS0_10empty_typeEEEZZNS1_27merge_sort_block_merge_implIS3_PhPS5_jNS1_19radix_merge_compareILb1ELb1EhNS0_19identity_decomposerEEEEE10hipError_tT0_T1_T2_jT3_P12ihipStream_tbPNSt15iterator_traitsISE_E10value_typeEPNSK_ISF_E10value_typeEPSG_NS1_7vsmem_tEENKUlT_SE_SF_SG_E_clIS8_S8_S9_S9_EESD_ST_SE_SF_SG_EUlST_E1_NS1_11comp_targetILNS1_3genE4ELNS1_11target_archE910ELNS1_3gpuE8ELNS1_3repE0EEENS1_36merge_oddeven_config_static_selectorELNS0_4arch9wavefront6targetE0EEEvSF_ ; -- Begin function _ZN7rocprim17ROCPRIM_400000_NS6detail17trampoline_kernelINS0_14default_configENS1_38merge_sort_block_merge_config_selectorIhNS0_10empty_typeEEEZZNS1_27merge_sort_block_merge_implIS3_PhPS5_jNS1_19radix_merge_compareILb1ELb1EhNS0_19identity_decomposerEEEEE10hipError_tT0_T1_T2_jT3_P12ihipStream_tbPNSt15iterator_traitsISE_E10value_typeEPNSK_ISF_E10value_typeEPSG_NS1_7vsmem_tEENKUlT_SE_SF_SG_E_clIS8_S8_S9_S9_EESD_ST_SE_SF_SG_EUlST_E1_NS1_11comp_targetILNS1_3genE4ELNS1_11target_archE910ELNS1_3gpuE8ELNS1_3repE0EEENS1_36merge_oddeven_config_static_selectorELNS0_4arch9wavefront6targetE0EEEvSF_
	.globl	_ZN7rocprim17ROCPRIM_400000_NS6detail17trampoline_kernelINS0_14default_configENS1_38merge_sort_block_merge_config_selectorIhNS0_10empty_typeEEEZZNS1_27merge_sort_block_merge_implIS3_PhPS5_jNS1_19radix_merge_compareILb1ELb1EhNS0_19identity_decomposerEEEEE10hipError_tT0_T1_T2_jT3_P12ihipStream_tbPNSt15iterator_traitsISE_E10value_typeEPNSK_ISF_E10value_typeEPSG_NS1_7vsmem_tEENKUlT_SE_SF_SG_E_clIS8_S8_S9_S9_EESD_ST_SE_SF_SG_EUlST_E1_NS1_11comp_targetILNS1_3genE4ELNS1_11target_archE910ELNS1_3gpuE8ELNS1_3repE0EEENS1_36merge_oddeven_config_static_selectorELNS0_4arch9wavefront6targetE0EEEvSF_
	.p2align	8
	.type	_ZN7rocprim17ROCPRIM_400000_NS6detail17trampoline_kernelINS0_14default_configENS1_38merge_sort_block_merge_config_selectorIhNS0_10empty_typeEEEZZNS1_27merge_sort_block_merge_implIS3_PhPS5_jNS1_19radix_merge_compareILb1ELb1EhNS0_19identity_decomposerEEEEE10hipError_tT0_T1_T2_jT3_P12ihipStream_tbPNSt15iterator_traitsISE_E10value_typeEPNSK_ISF_E10value_typeEPSG_NS1_7vsmem_tEENKUlT_SE_SF_SG_E_clIS8_S8_S9_S9_EESD_ST_SE_SF_SG_EUlST_E1_NS1_11comp_targetILNS1_3genE4ELNS1_11target_archE910ELNS1_3gpuE8ELNS1_3repE0EEENS1_36merge_oddeven_config_static_selectorELNS0_4arch9wavefront6targetE0EEEvSF_,@function
_ZN7rocprim17ROCPRIM_400000_NS6detail17trampoline_kernelINS0_14default_configENS1_38merge_sort_block_merge_config_selectorIhNS0_10empty_typeEEEZZNS1_27merge_sort_block_merge_implIS3_PhPS5_jNS1_19radix_merge_compareILb1ELb1EhNS0_19identity_decomposerEEEEE10hipError_tT0_T1_T2_jT3_P12ihipStream_tbPNSt15iterator_traitsISE_E10value_typeEPNSK_ISF_E10value_typeEPSG_NS1_7vsmem_tEENKUlT_SE_SF_SG_E_clIS8_S8_S9_S9_EESD_ST_SE_SF_SG_EUlST_E1_NS1_11comp_targetILNS1_3genE4ELNS1_11target_archE910ELNS1_3gpuE8ELNS1_3repE0EEENS1_36merge_oddeven_config_static_selectorELNS0_4arch9wavefront6targetE0EEEvSF_: ; @_ZN7rocprim17ROCPRIM_400000_NS6detail17trampoline_kernelINS0_14default_configENS1_38merge_sort_block_merge_config_selectorIhNS0_10empty_typeEEEZZNS1_27merge_sort_block_merge_implIS3_PhPS5_jNS1_19radix_merge_compareILb1ELb1EhNS0_19identity_decomposerEEEEE10hipError_tT0_T1_T2_jT3_P12ihipStream_tbPNSt15iterator_traitsISE_E10value_typeEPNSK_ISF_E10value_typeEPSG_NS1_7vsmem_tEENKUlT_SE_SF_SG_E_clIS8_S8_S9_S9_EESD_ST_SE_SF_SG_EUlST_E1_NS1_11comp_targetILNS1_3genE4ELNS1_11target_archE910ELNS1_3gpuE8ELNS1_3repE0EEENS1_36merge_oddeven_config_static_selectorELNS0_4arch9wavefront6targetE0EEEvSF_
; %bb.0:
	.section	.rodata,"a",@progbits
	.p2align	6, 0x0
	.amdhsa_kernel _ZN7rocprim17ROCPRIM_400000_NS6detail17trampoline_kernelINS0_14default_configENS1_38merge_sort_block_merge_config_selectorIhNS0_10empty_typeEEEZZNS1_27merge_sort_block_merge_implIS3_PhPS5_jNS1_19radix_merge_compareILb1ELb1EhNS0_19identity_decomposerEEEEE10hipError_tT0_T1_T2_jT3_P12ihipStream_tbPNSt15iterator_traitsISE_E10value_typeEPNSK_ISF_E10value_typeEPSG_NS1_7vsmem_tEENKUlT_SE_SF_SG_E_clIS8_S8_S9_S9_EESD_ST_SE_SF_SG_EUlST_E1_NS1_11comp_targetILNS1_3genE4ELNS1_11target_archE910ELNS1_3gpuE8ELNS1_3repE0EEENS1_36merge_oddeven_config_static_selectorELNS0_4arch9wavefront6targetE0EEEvSF_
		.amdhsa_group_segment_fixed_size 0
		.amdhsa_private_segment_fixed_size 0
		.amdhsa_kernarg_size 48
		.amdhsa_user_sgpr_count 2
		.amdhsa_user_sgpr_dispatch_ptr 0
		.amdhsa_user_sgpr_queue_ptr 0
		.amdhsa_user_sgpr_kernarg_segment_ptr 1
		.amdhsa_user_sgpr_dispatch_id 0
		.amdhsa_user_sgpr_kernarg_preload_length 0
		.amdhsa_user_sgpr_kernarg_preload_offset 0
		.amdhsa_user_sgpr_private_segment_size 0
		.amdhsa_wavefront_size32 1
		.amdhsa_uses_dynamic_stack 0
		.amdhsa_enable_private_segment 0
		.amdhsa_system_sgpr_workgroup_id_x 1
		.amdhsa_system_sgpr_workgroup_id_y 0
		.amdhsa_system_sgpr_workgroup_id_z 0
		.amdhsa_system_sgpr_workgroup_info 0
		.amdhsa_system_vgpr_workitem_id 0
		.amdhsa_next_free_vgpr 1
		.amdhsa_next_free_sgpr 1
		.amdhsa_named_barrier_count 0
		.amdhsa_reserve_vcc 0
		.amdhsa_float_round_mode_32 0
		.amdhsa_float_round_mode_16_64 0
		.amdhsa_float_denorm_mode_32 3
		.amdhsa_float_denorm_mode_16_64 3
		.amdhsa_fp16_overflow 0
		.amdhsa_memory_ordered 1
		.amdhsa_forward_progress 1
		.amdhsa_inst_pref_size 0
		.amdhsa_round_robin_scheduling 0
		.amdhsa_exception_fp_ieee_invalid_op 0
		.amdhsa_exception_fp_denorm_src 0
		.amdhsa_exception_fp_ieee_div_zero 0
		.amdhsa_exception_fp_ieee_overflow 0
		.amdhsa_exception_fp_ieee_underflow 0
		.amdhsa_exception_fp_ieee_inexact 0
		.amdhsa_exception_int_div_zero 0
	.end_amdhsa_kernel
	.section	.text._ZN7rocprim17ROCPRIM_400000_NS6detail17trampoline_kernelINS0_14default_configENS1_38merge_sort_block_merge_config_selectorIhNS0_10empty_typeEEEZZNS1_27merge_sort_block_merge_implIS3_PhPS5_jNS1_19radix_merge_compareILb1ELb1EhNS0_19identity_decomposerEEEEE10hipError_tT0_T1_T2_jT3_P12ihipStream_tbPNSt15iterator_traitsISE_E10value_typeEPNSK_ISF_E10value_typeEPSG_NS1_7vsmem_tEENKUlT_SE_SF_SG_E_clIS8_S8_S9_S9_EESD_ST_SE_SF_SG_EUlST_E1_NS1_11comp_targetILNS1_3genE4ELNS1_11target_archE910ELNS1_3gpuE8ELNS1_3repE0EEENS1_36merge_oddeven_config_static_selectorELNS0_4arch9wavefront6targetE0EEEvSF_,"axG",@progbits,_ZN7rocprim17ROCPRIM_400000_NS6detail17trampoline_kernelINS0_14default_configENS1_38merge_sort_block_merge_config_selectorIhNS0_10empty_typeEEEZZNS1_27merge_sort_block_merge_implIS3_PhPS5_jNS1_19radix_merge_compareILb1ELb1EhNS0_19identity_decomposerEEEEE10hipError_tT0_T1_T2_jT3_P12ihipStream_tbPNSt15iterator_traitsISE_E10value_typeEPNSK_ISF_E10value_typeEPSG_NS1_7vsmem_tEENKUlT_SE_SF_SG_E_clIS8_S8_S9_S9_EESD_ST_SE_SF_SG_EUlST_E1_NS1_11comp_targetILNS1_3genE4ELNS1_11target_archE910ELNS1_3gpuE8ELNS1_3repE0EEENS1_36merge_oddeven_config_static_selectorELNS0_4arch9wavefront6targetE0EEEvSF_,comdat
.Lfunc_end77:
	.size	_ZN7rocprim17ROCPRIM_400000_NS6detail17trampoline_kernelINS0_14default_configENS1_38merge_sort_block_merge_config_selectorIhNS0_10empty_typeEEEZZNS1_27merge_sort_block_merge_implIS3_PhPS5_jNS1_19radix_merge_compareILb1ELb1EhNS0_19identity_decomposerEEEEE10hipError_tT0_T1_T2_jT3_P12ihipStream_tbPNSt15iterator_traitsISE_E10value_typeEPNSK_ISF_E10value_typeEPSG_NS1_7vsmem_tEENKUlT_SE_SF_SG_E_clIS8_S8_S9_S9_EESD_ST_SE_SF_SG_EUlST_E1_NS1_11comp_targetILNS1_3genE4ELNS1_11target_archE910ELNS1_3gpuE8ELNS1_3repE0EEENS1_36merge_oddeven_config_static_selectorELNS0_4arch9wavefront6targetE0EEEvSF_, .Lfunc_end77-_ZN7rocprim17ROCPRIM_400000_NS6detail17trampoline_kernelINS0_14default_configENS1_38merge_sort_block_merge_config_selectorIhNS0_10empty_typeEEEZZNS1_27merge_sort_block_merge_implIS3_PhPS5_jNS1_19radix_merge_compareILb1ELb1EhNS0_19identity_decomposerEEEEE10hipError_tT0_T1_T2_jT3_P12ihipStream_tbPNSt15iterator_traitsISE_E10value_typeEPNSK_ISF_E10value_typeEPSG_NS1_7vsmem_tEENKUlT_SE_SF_SG_E_clIS8_S8_S9_S9_EESD_ST_SE_SF_SG_EUlST_E1_NS1_11comp_targetILNS1_3genE4ELNS1_11target_archE910ELNS1_3gpuE8ELNS1_3repE0EEENS1_36merge_oddeven_config_static_selectorELNS0_4arch9wavefront6targetE0EEEvSF_
                                        ; -- End function
	.set _ZN7rocprim17ROCPRIM_400000_NS6detail17trampoline_kernelINS0_14default_configENS1_38merge_sort_block_merge_config_selectorIhNS0_10empty_typeEEEZZNS1_27merge_sort_block_merge_implIS3_PhPS5_jNS1_19radix_merge_compareILb1ELb1EhNS0_19identity_decomposerEEEEE10hipError_tT0_T1_T2_jT3_P12ihipStream_tbPNSt15iterator_traitsISE_E10value_typeEPNSK_ISF_E10value_typeEPSG_NS1_7vsmem_tEENKUlT_SE_SF_SG_E_clIS8_S8_S9_S9_EESD_ST_SE_SF_SG_EUlST_E1_NS1_11comp_targetILNS1_3genE4ELNS1_11target_archE910ELNS1_3gpuE8ELNS1_3repE0EEENS1_36merge_oddeven_config_static_selectorELNS0_4arch9wavefront6targetE0EEEvSF_.num_vgpr, 0
	.set _ZN7rocprim17ROCPRIM_400000_NS6detail17trampoline_kernelINS0_14default_configENS1_38merge_sort_block_merge_config_selectorIhNS0_10empty_typeEEEZZNS1_27merge_sort_block_merge_implIS3_PhPS5_jNS1_19radix_merge_compareILb1ELb1EhNS0_19identity_decomposerEEEEE10hipError_tT0_T1_T2_jT3_P12ihipStream_tbPNSt15iterator_traitsISE_E10value_typeEPNSK_ISF_E10value_typeEPSG_NS1_7vsmem_tEENKUlT_SE_SF_SG_E_clIS8_S8_S9_S9_EESD_ST_SE_SF_SG_EUlST_E1_NS1_11comp_targetILNS1_3genE4ELNS1_11target_archE910ELNS1_3gpuE8ELNS1_3repE0EEENS1_36merge_oddeven_config_static_selectorELNS0_4arch9wavefront6targetE0EEEvSF_.num_agpr, 0
	.set _ZN7rocprim17ROCPRIM_400000_NS6detail17trampoline_kernelINS0_14default_configENS1_38merge_sort_block_merge_config_selectorIhNS0_10empty_typeEEEZZNS1_27merge_sort_block_merge_implIS3_PhPS5_jNS1_19radix_merge_compareILb1ELb1EhNS0_19identity_decomposerEEEEE10hipError_tT0_T1_T2_jT3_P12ihipStream_tbPNSt15iterator_traitsISE_E10value_typeEPNSK_ISF_E10value_typeEPSG_NS1_7vsmem_tEENKUlT_SE_SF_SG_E_clIS8_S8_S9_S9_EESD_ST_SE_SF_SG_EUlST_E1_NS1_11comp_targetILNS1_3genE4ELNS1_11target_archE910ELNS1_3gpuE8ELNS1_3repE0EEENS1_36merge_oddeven_config_static_selectorELNS0_4arch9wavefront6targetE0EEEvSF_.numbered_sgpr, 0
	.set _ZN7rocprim17ROCPRIM_400000_NS6detail17trampoline_kernelINS0_14default_configENS1_38merge_sort_block_merge_config_selectorIhNS0_10empty_typeEEEZZNS1_27merge_sort_block_merge_implIS3_PhPS5_jNS1_19radix_merge_compareILb1ELb1EhNS0_19identity_decomposerEEEEE10hipError_tT0_T1_T2_jT3_P12ihipStream_tbPNSt15iterator_traitsISE_E10value_typeEPNSK_ISF_E10value_typeEPSG_NS1_7vsmem_tEENKUlT_SE_SF_SG_E_clIS8_S8_S9_S9_EESD_ST_SE_SF_SG_EUlST_E1_NS1_11comp_targetILNS1_3genE4ELNS1_11target_archE910ELNS1_3gpuE8ELNS1_3repE0EEENS1_36merge_oddeven_config_static_selectorELNS0_4arch9wavefront6targetE0EEEvSF_.num_named_barrier, 0
	.set _ZN7rocprim17ROCPRIM_400000_NS6detail17trampoline_kernelINS0_14default_configENS1_38merge_sort_block_merge_config_selectorIhNS0_10empty_typeEEEZZNS1_27merge_sort_block_merge_implIS3_PhPS5_jNS1_19radix_merge_compareILb1ELb1EhNS0_19identity_decomposerEEEEE10hipError_tT0_T1_T2_jT3_P12ihipStream_tbPNSt15iterator_traitsISE_E10value_typeEPNSK_ISF_E10value_typeEPSG_NS1_7vsmem_tEENKUlT_SE_SF_SG_E_clIS8_S8_S9_S9_EESD_ST_SE_SF_SG_EUlST_E1_NS1_11comp_targetILNS1_3genE4ELNS1_11target_archE910ELNS1_3gpuE8ELNS1_3repE0EEENS1_36merge_oddeven_config_static_selectorELNS0_4arch9wavefront6targetE0EEEvSF_.private_seg_size, 0
	.set _ZN7rocprim17ROCPRIM_400000_NS6detail17trampoline_kernelINS0_14default_configENS1_38merge_sort_block_merge_config_selectorIhNS0_10empty_typeEEEZZNS1_27merge_sort_block_merge_implIS3_PhPS5_jNS1_19radix_merge_compareILb1ELb1EhNS0_19identity_decomposerEEEEE10hipError_tT0_T1_T2_jT3_P12ihipStream_tbPNSt15iterator_traitsISE_E10value_typeEPNSK_ISF_E10value_typeEPSG_NS1_7vsmem_tEENKUlT_SE_SF_SG_E_clIS8_S8_S9_S9_EESD_ST_SE_SF_SG_EUlST_E1_NS1_11comp_targetILNS1_3genE4ELNS1_11target_archE910ELNS1_3gpuE8ELNS1_3repE0EEENS1_36merge_oddeven_config_static_selectorELNS0_4arch9wavefront6targetE0EEEvSF_.uses_vcc, 0
	.set _ZN7rocprim17ROCPRIM_400000_NS6detail17trampoline_kernelINS0_14default_configENS1_38merge_sort_block_merge_config_selectorIhNS0_10empty_typeEEEZZNS1_27merge_sort_block_merge_implIS3_PhPS5_jNS1_19radix_merge_compareILb1ELb1EhNS0_19identity_decomposerEEEEE10hipError_tT0_T1_T2_jT3_P12ihipStream_tbPNSt15iterator_traitsISE_E10value_typeEPNSK_ISF_E10value_typeEPSG_NS1_7vsmem_tEENKUlT_SE_SF_SG_E_clIS8_S8_S9_S9_EESD_ST_SE_SF_SG_EUlST_E1_NS1_11comp_targetILNS1_3genE4ELNS1_11target_archE910ELNS1_3gpuE8ELNS1_3repE0EEENS1_36merge_oddeven_config_static_selectorELNS0_4arch9wavefront6targetE0EEEvSF_.uses_flat_scratch, 0
	.set _ZN7rocprim17ROCPRIM_400000_NS6detail17trampoline_kernelINS0_14default_configENS1_38merge_sort_block_merge_config_selectorIhNS0_10empty_typeEEEZZNS1_27merge_sort_block_merge_implIS3_PhPS5_jNS1_19radix_merge_compareILb1ELb1EhNS0_19identity_decomposerEEEEE10hipError_tT0_T1_T2_jT3_P12ihipStream_tbPNSt15iterator_traitsISE_E10value_typeEPNSK_ISF_E10value_typeEPSG_NS1_7vsmem_tEENKUlT_SE_SF_SG_E_clIS8_S8_S9_S9_EESD_ST_SE_SF_SG_EUlST_E1_NS1_11comp_targetILNS1_3genE4ELNS1_11target_archE910ELNS1_3gpuE8ELNS1_3repE0EEENS1_36merge_oddeven_config_static_selectorELNS0_4arch9wavefront6targetE0EEEvSF_.has_dyn_sized_stack, 0
	.set _ZN7rocprim17ROCPRIM_400000_NS6detail17trampoline_kernelINS0_14default_configENS1_38merge_sort_block_merge_config_selectorIhNS0_10empty_typeEEEZZNS1_27merge_sort_block_merge_implIS3_PhPS5_jNS1_19radix_merge_compareILb1ELb1EhNS0_19identity_decomposerEEEEE10hipError_tT0_T1_T2_jT3_P12ihipStream_tbPNSt15iterator_traitsISE_E10value_typeEPNSK_ISF_E10value_typeEPSG_NS1_7vsmem_tEENKUlT_SE_SF_SG_E_clIS8_S8_S9_S9_EESD_ST_SE_SF_SG_EUlST_E1_NS1_11comp_targetILNS1_3genE4ELNS1_11target_archE910ELNS1_3gpuE8ELNS1_3repE0EEENS1_36merge_oddeven_config_static_selectorELNS0_4arch9wavefront6targetE0EEEvSF_.has_recursion, 0
	.set _ZN7rocprim17ROCPRIM_400000_NS6detail17trampoline_kernelINS0_14default_configENS1_38merge_sort_block_merge_config_selectorIhNS0_10empty_typeEEEZZNS1_27merge_sort_block_merge_implIS3_PhPS5_jNS1_19radix_merge_compareILb1ELb1EhNS0_19identity_decomposerEEEEE10hipError_tT0_T1_T2_jT3_P12ihipStream_tbPNSt15iterator_traitsISE_E10value_typeEPNSK_ISF_E10value_typeEPSG_NS1_7vsmem_tEENKUlT_SE_SF_SG_E_clIS8_S8_S9_S9_EESD_ST_SE_SF_SG_EUlST_E1_NS1_11comp_targetILNS1_3genE4ELNS1_11target_archE910ELNS1_3gpuE8ELNS1_3repE0EEENS1_36merge_oddeven_config_static_selectorELNS0_4arch9wavefront6targetE0EEEvSF_.has_indirect_call, 0
	.section	.AMDGPU.csdata,"",@progbits
; Kernel info:
; codeLenInByte = 0
; TotalNumSgprs: 0
; NumVgprs: 0
; ScratchSize: 0
; MemoryBound: 0
; FloatMode: 240
; IeeeMode: 1
; LDSByteSize: 0 bytes/workgroup (compile time only)
; SGPRBlocks: 0
; VGPRBlocks: 0
; NumSGPRsForWavesPerEU: 1
; NumVGPRsForWavesPerEU: 1
; NamedBarCnt: 0
; Occupancy: 16
; WaveLimiterHint : 0
; COMPUTE_PGM_RSRC2:SCRATCH_EN: 0
; COMPUTE_PGM_RSRC2:USER_SGPR: 2
; COMPUTE_PGM_RSRC2:TRAP_HANDLER: 0
; COMPUTE_PGM_RSRC2:TGID_X_EN: 1
; COMPUTE_PGM_RSRC2:TGID_Y_EN: 0
; COMPUTE_PGM_RSRC2:TGID_Z_EN: 0
; COMPUTE_PGM_RSRC2:TIDIG_COMP_CNT: 0
	.section	.text._ZN7rocprim17ROCPRIM_400000_NS6detail17trampoline_kernelINS0_14default_configENS1_38merge_sort_block_merge_config_selectorIhNS0_10empty_typeEEEZZNS1_27merge_sort_block_merge_implIS3_PhPS5_jNS1_19radix_merge_compareILb1ELb1EhNS0_19identity_decomposerEEEEE10hipError_tT0_T1_T2_jT3_P12ihipStream_tbPNSt15iterator_traitsISE_E10value_typeEPNSK_ISF_E10value_typeEPSG_NS1_7vsmem_tEENKUlT_SE_SF_SG_E_clIS8_S8_S9_S9_EESD_ST_SE_SF_SG_EUlST_E1_NS1_11comp_targetILNS1_3genE3ELNS1_11target_archE908ELNS1_3gpuE7ELNS1_3repE0EEENS1_36merge_oddeven_config_static_selectorELNS0_4arch9wavefront6targetE0EEEvSF_,"axG",@progbits,_ZN7rocprim17ROCPRIM_400000_NS6detail17trampoline_kernelINS0_14default_configENS1_38merge_sort_block_merge_config_selectorIhNS0_10empty_typeEEEZZNS1_27merge_sort_block_merge_implIS3_PhPS5_jNS1_19radix_merge_compareILb1ELb1EhNS0_19identity_decomposerEEEEE10hipError_tT0_T1_T2_jT3_P12ihipStream_tbPNSt15iterator_traitsISE_E10value_typeEPNSK_ISF_E10value_typeEPSG_NS1_7vsmem_tEENKUlT_SE_SF_SG_E_clIS8_S8_S9_S9_EESD_ST_SE_SF_SG_EUlST_E1_NS1_11comp_targetILNS1_3genE3ELNS1_11target_archE908ELNS1_3gpuE7ELNS1_3repE0EEENS1_36merge_oddeven_config_static_selectorELNS0_4arch9wavefront6targetE0EEEvSF_,comdat
	.protected	_ZN7rocprim17ROCPRIM_400000_NS6detail17trampoline_kernelINS0_14default_configENS1_38merge_sort_block_merge_config_selectorIhNS0_10empty_typeEEEZZNS1_27merge_sort_block_merge_implIS3_PhPS5_jNS1_19radix_merge_compareILb1ELb1EhNS0_19identity_decomposerEEEEE10hipError_tT0_T1_T2_jT3_P12ihipStream_tbPNSt15iterator_traitsISE_E10value_typeEPNSK_ISF_E10value_typeEPSG_NS1_7vsmem_tEENKUlT_SE_SF_SG_E_clIS8_S8_S9_S9_EESD_ST_SE_SF_SG_EUlST_E1_NS1_11comp_targetILNS1_3genE3ELNS1_11target_archE908ELNS1_3gpuE7ELNS1_3repE0EEENS1_36merge_oddeven_config_static_selectorELNS0_4arch9wavefront6targetE0EEEvSF_ ; -- Begin function _ZN7rocprim17ROCPRIM_400000_NS6detail17trampoline_kernelINS0_14default_configENS1_38merge_sort_block_merge_config_selectorIhNS0_10empty_typeEEEZZNS1_27merge_sort_block_merge_implIS3_PhPS5_jNS1_19radix_merge_compareILb1ELb1EhNS0_19identity_decomposerEEEEE10hipError_tT0_T1_T2_jT3_P12ihipStream_tbPNSt15iterator_traitsISE_E10value_typeEPNSK_ISF_E10value_typeEPSG_NS1_7vsmem_tEENKUlT_SE_SF_SG_E_clIS8_S8_S9_S9_EESD_ST_SE_SF_SG_EUlST_E1_NS1_11comp_targetILNS1_3genE3ELNS1_11target_archE908ELNS1_3gpuE7ELNS1_3repE0EEENS1_36merge_oddeven_config_static_selectorELNS0_4arch9wavefront6targetE0EEEvSF_
	.globl	_ZN7rocprim17ROCPRIM_400000_NS6detail17trampoline_kernelINS0_14default_configENS1_38merge_sort_block_merge_config_selectorIhNS0_10empty_typeEEEZZNS1_27merge_sort_block_merge_implIS3_PhPS5_jNS1_19radix_merge_compareILb1ELb1EhNS0_19identity_decomposerEEEEE10hipError_tT0_T1_T2_jT3_P12ihipStream_tbPNSt15iterator_traitsISE_E10value_typeEPNSK_ISF_E10value_typeEPSG_NS1_7vsmem_tEENKUlT_SE_SF_SG_E_clIS8_S8_S9_S9_EESD_ST_SE_SF_SG_EUlST_E1_NS1_11comp_targetILNS1_3genE3ELNS1_11target_archE908ELNS1_3gpuE7ELNS1_3repE0EEENS1_36merge_oddeven_config_static_selectorELNS0_4arch9wavefront6targetE0EEEvSF_
	.p2align	8
	.type	_ZN7rocprim17ROCPRIM_400000_NS6detail17trampoline_kernelINS0_14default_configENS1_38merge_sort_block_merge_config_selectorIhNS0_10empty_typeEEEZZNS1_27merge_sort_block_merge_implIS3_PhPS5_jNS1_19radix_merge_compareILb1ELb1EhNS0_19identity_decomposerEEEEE10hipError_tT0_T1_T2_jT3_P12ihipStream_tbPNSt15iterator_traitsISE_E10value_typeEPNSK_ISF_E10value_typeEPSG_NS1_7vsmem_tEENKUlT_SE_SF_SG_E_clIS8_S8_S9_S9_EESD_ST_SE_SF_SG_EUlST_E1_NS1_11comp_targetILNS1_3genE3ELNS1_11target_archE908ELNS1_3gpuE7ELNS1_3repE0EEENS1_36merge_oddeven_config_static_selectorELNS0_4arch9wavefront6targetE0EEEvSF_,@function
_ZN7rocprim17ROCPRIM_400000_NS6detail17trampoline_kernelINS0_14default_configENS1_38merge_sort_block_merge_config_selectorIhNS0_10empty_typeEEEZZNS1_27merge_sort_block_merge_implIS3_PhPS5_jNS1_19radix_merge_compareILb1ELb1EhNS0_19identity_decomposerEEEEE10hipError_tT0_T1_T2_jT3_P12ihipStream_tbPNSt15iterator_traitsISE_E10value_typeEPNSK_ISF_E10value_typeEPSG_NS1_7vsmem_tEENKUlT_SE_SF_SG_E_clIS8_S8_S9_S9_EESD_ST_SE_SF_SG_EUlST_E1_NS1_11comp_targetILNS1_3genE3ELNS1_11target_archE908ELNS1_3gpuE7ELNS1_3repE0EEENS1_36merge_oddeven_config_static_selectorELNS0_4arch9wavefront6targetE0EEEvSF_: ; @_ZN7rocprim17ROCPRIM_400000_NS6detail17trampoline_kernelINS0_14default_configENS1_38merge_sort_block_merge_config_selectorIhNS0_10empty_typeEEEZZNS1_27merge_sort_block_merge_implIS3_PhPS5_jNS1_19radix_merge_compareILb1ELb1EhNS0_19identity_decomposerEEEEE10hipError_tT0_T1_T2_jT3_P12ihipStream_tbPNSt15iterator_traitsISE_E10value_typeEPNSK_ISF_E10value_typeEPSG_NS1_7vsmem_tEENKUlT_SE_SF_SG_E_clIS8_S8_S9_S9_EESD_ST_SE_SF_SG_EUlST_E1_NS1_11comp_targetILNS1_3genE3ELNS1_11target_archE908ELNS1_3gpuE7ELNS1_3repE0EEENS1_36merge_oddeven_config_static_selectorELNS0_4arch9wavefront6targetE0EEEvSF_
; %bb.0:
	.section	.rodata,"a",@progbits
	.p2align	6, 0x0
	.amdhsa_kernel _ZN7rocprim17ROCPRIM_400000_NS6detail17trampoline_kernelINS0_14default_configENS1_38merge_sort_block_merge_config_selectorIhNS0_10empty_typeEEEZZNS1_27merge_sort_block_merge_implIS3_PhPS5_jNS1_19radix_merge_compareILb1ELb1EhNS0_19identity_decomposerEEEEE10hipError_tT0_T1_T2_jT3_P12ihipStream_tbPNSt15iterator_traitsISE_E10value_typeEPNSK_ISF_E10value_typeEPSG_NS1_7vsmem_tEENKUlT_SE_SF_SG_E_clIS8_S8_S9_S9_EESD_ST_SE_SF_SG_EUlST_E1_NS1_11comp_targetILNS1_3genE3ELNS1_11target_archE908ELNS1_3gpuE7ELNS1_3repE0EEENS1_36merge_oddeven_config_static_selectorELNS0_4arch9wavefront6targetE0EEEvSF_
		.amdhsa_group_segment_fixed_size 0
		.amdhsa_private_segment_fixed_size 0
		.amdhsa_kernarg_size 48
		.amdhsa_user_sgpr_count 2
		.amdhsa_user_sgpr_dispatch_ptr 0
		.amdhsa_user_sgpr_queue_ptr 0
		.amdhsa_user_sgpr_kernarg_segment_ptr 1
		.amdhsa_user_sgpr_dispatch_id 0
		.amdhsa_user_sgpr_kernarg_preload_length 0
		.amdhsa_user_sgpr_kernarg_preload_offset 0
		.amdhsa_user_sgpr_private_segment_size 0
		.amdhsa_wavefront_size32 1
		.amdhsa_uses_dynamic_stack 0
		.amdhsa_enable_private_segment 0
		.amdhsa_system_sgpr_workgroup_id_x 1
		.amdhsa_system_sgpr_workgroup_id_y 0
		.amdhsa_system_sgpr_workgroup_id_z 0
		.amdhsa_system_sgpr_workgroup_info 0
		.amdhsa_system_vgpr_workitem_id 0
		.amdhsa_next_free_vgpr 1
		.amdhsa_next_free_sgpr 1
		.amdhsa_named_barrier_count 0
		.amdhsa_reserve_vcc 0
		.amdhsa_float_round_mode_32 0
		.amdhsa_float_round_mode_16_64 0
		.amdhsa_float_denorm_mode_32 3
		.amdhsa_float_denorm_mode_16_64 3
		.amdhsa_fp16_overflow 0
		.amdhsa_memory_ordered 1
		.amdhsa_forward_progress 1
		.amdhsa_inst_pref_size 0
		.amdhsa_round_robin_scheduling 0
		.amdhsa_exception_fp_ieee_invalid_op 0
		.amdhsa_exception_fp_denorm_src 0
		.amdhsa_exception_fp_ieee_div_zero 0
		.amdhsa_exception_fp_ieee_overflow 0
		.amdhsa_exception_fp_ieee_underflow 0
		.amdhsa_exception_fp_ieee_inexact 0
		.amdhsa_exception_int_div_zero 0
	.end_amdhsa_kernel
	.section	.text._ZN7rocprim17ROCPRIM_400000_NS6detail17trampoline_kernelINS0_14default_configENS1_38merge_sort_block_merge_config_selectorIhNS0_10empty_typeEEEZZNS1_27merge_sort_block_merge_implIS3_PhPS5_jNS1_19radix_merge_compareILb1ELb1EhNS0_19identity_decomposerEEEEE10hipError_tT0_T1_T2_jT3_P12ihipStream_tbPNSt15iterator_traitsISE_E10value_typeEPNSK_ISF_E10value_typeEPSG_NS1_7vsmem_tEENKUlT_SE_SF_SG_E_clIS8_S8_S9_S9_EESD_ST_SE_SF_SG_EUlST_E1_NS1_11comp_targetILNS1_3genE3ELNS1_11target_archE908ELNS1_3gpuE7ELNS1_3repE0EEENS1_36merge_oddeven_config_static_selectorELNS0_4arch9wavefront6targetE0EEEvSF_,"axG",@progbits,_ZN7rocprim17ROCPRIM_400000_NS6detail17trampoline_kernelINS0_14default_configENS1_38merge_sort_block_merge_config_selectorIhNS0_10empty_typeEEEZZNS1_27merge_sort_block_merge_implIS3_PhPS5_jNS1_19radix_merge_compareILb1ELb1EhNS0_19identity_decomposerEEEEE10hipError_tT0_T1_T2_jT3_P12ihipStream_tbPNSt15iterator_traitsISE_E10value_typeEPNSK_ISF_E10value_typeEPSG_NS1_7vsmem_tEENKUlT_SE_SF_SG_E_clIS8_S8_S9_S9_EESD_ST_SE_SF_SG_EUlST_E1_NS1_11comp_targetILNS1_3genE3ELNS1_11target_archE908ELNS1_3gpuE7ELNS1_3repE0EEENS1_36merge_oddeven_config_static_selectorELNS0_4arch9wavefront6targetE0EEEvSF_,comdat
.Lfunc_end78:
	.size	_ZN7rocprim17ROCPRIM_400000_NS6detail17trampoline_kernelINS0_14default_configENS1_38merge_sort_block_merge_config_selectorIhNS0_10empty_typeEEEZZNS1_27merge_sort_block_merge_implIS3_PhPS5_jNS1_19radix_merge_compareILb1ELb1EhNS0_19identity_decomposerEEEEE10hipError_tT0_T1_T2_jT3_P12ihipStream_tbPNSt15iterator_traitsISE_E10value_typeEPNSK_ISF_E10value_typeEPSG_NS1_7vsmem_tEENKUlT_SE_SF_SG_E_clIS8_S8_S9_S9_EESD_ST_SE_SF_SG_EUlST_E1_NS1_11comp_targetILNS1_3genE3ELNS1_11target_archE908ELNS1_3gpuE7ELNS1_3repE0EEENS1_36merge_oddeven_config_static_selectorELNS0_4arch9wavefront6targetE0EEEvSF_, .Lfunc_end78-_ZN7rocprim17ROCPRIM_400000_NS6detail17trampoline_kernelINS0_14default_configENS1_38merge_sort_block_merge_config_selectorIhNS0_10empty_typeEEEZZNS1_27merge_sort_block_merge_implIS3_PhPS5_jNS1_19radix_merge_compareILb1ELb1EhNS0_19identity_decomposerEEEEE10hipError_tT0_T1_T2_jT3_P12ihipStream_tbPNSt15iterator_traitsISE_E10value_typeEPNSK_ISF_E10value_typeEPSG_NS1_7vsmem_tEENKUlT_SE_SF_SG_E_clIS8_S8_S9_S9_EESD_ST_SE_SF_SG_EUlST_E1_NS1_11comp_targetILNS1_3genE3ELNS1_11target_archE908ELNS1_3gpuE7ELNS1_3repE0EEENS1_36merge_oddeven_config_static_selectorELNS0_4arch9wavefront6targetE0EEEvSF_
                                        ; -- End function
	.set _ZN7rocprim17ROCPRIM_400000_NS6detail17trampoline_kernelINS0_14default_configENS1_38merge_sort_block_merge_config_selectorIhNS0_10empty_typeEEEZZNS1_27merge_sort_block_merge_implIS3_PhPS5_jNS1_19radix_merge_compareILb1ELb1EhNS0_19identity_decomposerEEEEE10hipError_tT0_T1_T2_jT3_P12ihipStream_tbPNSt15iterator_traitsISE_E10value_typeEPNSK_ISF_E10value_typeEPSG_NS1_7vsmem_tEENKUlT_SE_SF_SG_E_clIS8_S8_S9_S9_EESD_ST_SE_SF_SG_EUlST_E1_NS1_11comp_targetILNS1_3genE3ELNS1_11target_archE908ELNS1_3gpuE7ELNS1_3repE0EEENS1_36merge_oddeven_config_static_selectorELNS0_4arch9wavefront6targetE0EEEvSF_.num_vgpr, 0
	.set _ZN7rocprim17ROCPRIM_400000_NS6detail17trampoline_kernelINS0_14default_configENS1_38merge_sort_block_merge_config_selectorIhNS0_10empty_typeEEEZZNS1_27merge_sort_block_merge_implIS3_PhPS5_jNS1_19radix_merge_compareILb1ELb1EhNS0_19identity_decomposerEEEEE10hipError_tT0_T1_T2_jT3_P12ihipStream_tbPNSt15iterator_traitsISE_E10value_typeEPNSK_ISF_E10value_typeEPSG_NS1_7vsmem_tEENKUlT_SE_SF_SG_E_clIS8_S8_S9_S9_EESD_ST_SE_SF_SG_EUlST_E1_NS1_11comp_targetILNS1_3genE3ELNS1_11target_archE908ELNS1_3gpuE7ELNS1_3repE0EEENS1_36merge_oddeven_config_static_selectorELNS0_4arch9wavefront6targetE0EEEvSF_.num_agpr, 0
	.set _ZN7rocprim17ROCPRIM_400000_NS6detail17trampoline_kernelINS0_14default_configENS1_38merge_sort_block_merge_config_selectorIhNS0_10empty_typeEEEZZNS1_27merge_sort_block_merge_implIS3_PhPS5_jNS1_19radix_merge_compareILb1ELb1EhNS0_19identity_decomposerEEEEE10hipError_tT0_T1_T2_jT3_P12ihipStream_tbPNSt15iterator_traitsISE_E10value_typeEPNSK_ISF_E10value_typeEPSG_NS1_7vsmem_tEENKUlT_SE_SF_SG_E_clIS8_S8_S9_S9_EESD_ST_SE_SF_SG_EUlST_E1_NS1_11comp_targetILNS1_3genE3ELNS1_11target_archE908ELNS1_3gpuE7ELNS1_3repE0EEENS1_36merge_oddeven_config_static_selectorELNS0_4arch9wavefront6targetE0EEEvSF_.numbered_sgpr, 0
	.set _ZN7rocprim17ROCPRIM_400000_NS6detail17trampoline_kernelINS0_14default_configENS1_38merge_sort_block_merge_config_selectorIhNS0_10empty_typeEEEZZNS1_27merge_sort_block_merge_implIS3_PhPS5_jNS1_19radix_merge_compareILb1ELb1EhNS0_19identity_decomposerEEEEE10hipError_tT0_T1_T2_jT3_P12ihipStream_tbPNSt15iterator_traitsISE_E10value_typeEPNSK_ISF_E10value_typeEPSG_NS1_7vsmem_tEENKUlT_SE_SF_SG_E_clIS8_S8_S9_S9_EESD_ST_SE_SF_SG_EUlST_E1_NS1_11comp_targetILNS1_3genE3ELNS1_11target_archE908ELNS1_3gpuE7ELNS1_3repE0EEENS1_36merge_oddeven_config_static_selectorELNS0_4arch9wavefront6targetE0EEEvSF_.num_named_barrier, 0
	.set _ZN7rocprim17ROCPRIM_400000_NS6detail17trampoline_kernelINS0_14default_configENS1_38merge_sort_block_merge_config_selectorIhNS0_10empty_typeEEEZZNS1_27merge_sort_block_merge_implIS3_PhPS5_jNS1_19radix_merge_compareILb1ELb1EhNS0_19identity_decomposerEEEEE10hipError_tT0_T1_T2_jT3_P12ihipStream_tbPNSt15iterator_traitsISE_E10value_typeEPNSK_ISF_E10value_typeEPSG_NS1_7vsmem_tEENKUlT_SE_SF_SG_E_clIS8_S8_S9_S9_EESD_ST_SE_SF_SG_EUlST_E1_NS1_11comp_targetILNS1_3genE3ELNS1_11target_archE908ELNS1_3gpuE7ELNS1_3repE0EEENS1_36merge_oddeven_config_static_selectorELNS0_4arch9wavefront6targetE0EEEvSF_.private_seg_size, 0
	.set _ZN7rocprim17ROCPRIM_400000_NS6detail17trampoline_kernelINS0_14default_configENS1_38merge_sort_block_merge_config_selectorIhNS0_10empty_typeEEEZZNS1_27merge_sort_block_merge_implIS3_PhPS5_jNS1_19radix_merge_compareILb1ELb1EhNS0_19identity_decomposerEEEEE10hipError_tT0_T1_T2_jT3_P12ihipStream_tbPNSt15iterator_traitsISE_E10value_typeEPNSK_ISF_E10value_typeEPSG_NS1_7vsmem_tEENKUlT_SE_SF_SG_E_clIS8_S8_S9_S9_EESD_ST_SE_SF_SG_EUlST_E1_NS1_11comp_targetILNS1_3genE3ELNS1_11target_archE908ELNS1_3gpuE7ELNS1_3repE0EEENS1_36merge_oddeven_config_static_selectorELNS0_4arch9wavefront6targetE0EEEvSF_.uses_vcc, 0
	.set _ZN7rocprim17ROCPRIM_400000_NS6detail17trampoline_kernelINS0_14default_configENS1_38merge_sort_block_merge_config_selectorIhNS0_10empty_typeEEEZZNS1_27merge_sort_block_merge_implIS3_PhPS5_jNS1_19radix_merge_compareILb1ELb1EhNS0_19identity_decomposerEEEEE10hipError_tT0_T1_T2_jT3_P12ihipStream_tbPNSt15iterator_traitsISE_E10value_typeEPNSK_ISF_E10value_typeEPSG_NS1_7vsmem_tEENKUlT_SE_SF_SG_E_clIS8_S8_S9_S9_EESD_ST_SE_SF_SG_EUlST_E1_NS1_11comp_targetILNS1_3genE3ELNS1_11target_archE908ELNS1_3gpuE7ELNS1_3repE0EEENS1_36merge_oddeven_config_static_selectorELNS0_4arch9wavefront6targetE0EEEvSF_.uses_flat_scratch, 0
	.set _ZN7rocprim17ROCPRIM_400000_NS6detail17trampoline_kernelINS0_14default_configENS1_38merge_sort_block_merge_config_selectorIhNS0_10empty_typeEEEZZNS1_27merge_sort_block_merge_implIS3_PhPS5_jNS1_19radix_merge_compareILb1ELb1EhNS0_19identity_decomposerEEEEE10hipError_tT0_T1_T2_jT3_P12ihipStream_tbPNSt15iterator_traitsISE_E10value_typeEPNSK_ISF_E10value_typeEPSG_NS1_7vsmem_tEENKUlT_SE_SF_SG_E_clIS8_S8_S9_S9_EESD_ST_SE_SF_SG_EUlST_E1_NS1_11comp_targetILNS1_3genE3ELNS1_11target_archE908ELNS1_3gpuE7ELNS1_3repE0EEENS1_36merge_oddeven_config_static_selectorELNS0_4arch9wavefront6targetE0EEEvSF_.has_dyn_sized_stack, 0
	.set _ZN7rocprim17ROCPRIM_400000_NS6detail17trampoline_kernelINS0_14default_configENS1_38merge_sort_block_merge_config_selectorIhNS0_10empty_typeEEEZZNS1_27merge_sort_block_merge_implIS3_PhPS5_jNS1_19radix_merge_compareILb1ELb1EhNS0_19identity_decomposerEEEEE10hipError_tT0_T1_T2_jT3_P12ihipStream_tbPNSt15iterator_traitsISE_E10value_typeEPNSK_ISF_E10value_typeEPSG_NS1_7vsmem_tEENKUlT_SE_SF_SG_E_clIS8_S8_S9_S9_EESD_ST_SE_SF_SG_EUlST_E1_NS1_11comp_targetILNS1_3genE3ELNS1_11target_archE908ELNS1_3gpuE7ELNS1_3repE0EEENS1_36merge_oddeven_config_static_selectorELNS0_4arch9wavefront6targetE0EEEvSF_.has_recursion, 0
	.set _ZN7rocprim17ROCPRIM_400000_NS6detail17trampoline_kernelINS0_14default_configENS1_38merge_sort_block_merge_config_selectorIhNS0_10empty_typeEEEZZNS1_27merge_sort_block_merge_implIS3_PhPS5_jNS1_19radix_merge_compareILb1ELb1EhNS0_19identity_decomposerEEEEE10hipError_tT0_T1_T2_jT3_P12ihipStream_tbPNSt15iterator_traitsISE_E10value_typeEPNSK_ISF_E10value_typeEPSG_NS1_7vsmem_tEENKUlT_SE_SF_SG_E_clIS8_S8_S9_S9_EESD_ST_SE_SF_SG_EUlST_E1_NS1_11comp_targetILNS1_3genE3ELNS1_11target_archE908ELNS1_3gpuE7ELNS1_3repE0EEENS1_36merge_oddeven_config_static_selectorELNS0_4arch9wavefront6targetE0EEEvSF_.has_indirect_call, 0
	.section	.AMDGPU.csdata,"",@progbits
; Kernel info:
; codeLenInByte = 0
; TotalNumSgprs: 0
; NumVgprs: 0
; ScratchSize: 0
; MemoryBound: 0
; FloatMode: 240
; IeeeMode: 1
; LDSByteSize: 0 bytes/workgroup (compile time only)
; SGPRBlocks: 0
; VGPRBlocks: 0
; NumSGPRsForWavesPerEU: 1
; NumVGPRsForWavesPerEU: 1
; NamedBarCnt: 0
; Occupancy: 16
; WaveLimiterHint : 0
; COMPUTE_PGM_RSRC2:SCRATCH_EN: 0
; COMPUTE_PGM_RSRC2:USER_SGPR: 2
; COMPUTE_PGM_RSRC2:TRAP_HANDLER: 0
; COMPUTE_PGM_RSRC2:TGID_X_EN: 1
; COMPUTE_PGM_RSRC2:TGID_Y_EN: 0
; COMPUTE_PGM_RSRC2:TGID_Z_EN: 0
; COMPUTE_PGM_RSRC2:TIDIG_COMP_CNT: 0
	.section	.text._ZN7rocprim17ROCPRIM_400000_NS6detail17trampoline_kernelINS0_14default_configENS1_38merge_sort_block_merge_config_selectorIhNS0_10empty_typeEEEZZNS1_27merge_sort_block_merge_implIS3_PhPS5_jNS1_19radix_merge_compareILb1ELb1EhNS0_19identity_decomposerEEEEE10hipError_tT0_T1_T2_jT3_P12ihipStream_tbPNSt15iterator_traitsISE_E10value_typeEPNSK_ISF_E10value_typeEPSG_NS1_7vsmem_tEENKUlT_SE_SF_SG_E_clIS8_S8_S9_S9_EESD_ST_SE_SF_SG_EUlST_E1_NS1_11comp_targetILNS1_3genE2ELNS1_11target_archE906ELNS1_3gpuE6ELNS1_3repE0EEENS1_36merge_oddeven_config_static_selectorELNS0_4arch9wavefront6targetE0EEEvSF_,"axG",@progbits,_ZN7rocprim17ROCPRIM_400000_NS6detail17trampoline_kernelINS0_14default_configENS1_38merge_sort_block_merge_config_selectorIhNS0_10empty_typeEEEZZNS1_27merge_sort_block_merge_implIS3_PhPS5_jNS1_19radix_merge_compareILb1ELb1EhNS0_19identity_decomposerEEEEE10hipError_tT0_T1_T2_jT3_P12ihipStream_tbPNSt15iterator_traitsISE_E10value_typeEPNSK_ISF_E10value_typeEPSG_NS1_7vsmem_tEENKUlT_SE_SF_SG_E_clIS8_S8_S9_S9_EESD_ST_SE_SF_SG_EUlST_E1_NS1_11comp_targetILNS1_3genE2ELNS1_11target_archE906ELNS1_3gpuE6ELNS1_3repE0EEENS1_36merge_oddeven_config_static_selectorELNS0_4arch9wavefront6targetE0EEEvSF_,comdat
	.protected	_ZN7rocprim17ROCPRIM_400000_NS6detail17trampoline_kernelINS0_14default_configENS1_38merge_sort_block_merge_config_selectorIhNS0_10empty_typeEEEZZNS1_27merge_sort_block_merge_implIS3_PhPS5_jNS1_19radix_merge_compareILb1ELb1EhNS0_19identity_decomposerEEEEE10hipError_tT0_T1_T2_jT3_P12ihipStream_tbPNSt15iterator_traitsISE_E10value_typeEPNSK_ISF_E10value_typeEPSG_NS1_7vsmem_tEENKUlT_SE_SF_SG_E_clIS8_S8_S9_S9_EESD_ST_SE_SF_SG_EUlST_E1_NS1_11comp_targetILNS1_3genE2ELNS1_11target_archE906ELNS1_3gpuE6ELNS1_3repE0EEENS1_36merge_oddeven_config_static_selectorELNS0_4arch9wavefront6targetE0EEEvSF_ ; -- Begin function _ZN7rocprim17ROCPRIM_400000_NS6detail17trampoline_kernelINS0_14default_configENS1_38merge_sort_block_merge_config_selectorIhNS0_10empty_typeEEEZZNS1_27merge_sort_block_merge_implIS3_PhPS5_jNS1_19radix_merge_compareILb1ELb1EhNS0_19identity_decomposerEEEEE10hipError_tT0_T1_T2_jT3_P12ihipStream_tbPNSt15iterator_traitsISE_E10value_typeEPNSK_ISF_E10value_typeEPSG_NS1_7vsmem_tEENKUlT_SE_SF_SG_E_clIS8_S8_S9_S9_EESD_ST_SE_SF_SG_EUlST_E1_NS1_11comp_targetILNS1_3genE2ELNS1_11target_archE906ELNS1_3gpuE6ELNS1_3repE0EEENS1_36merge_oddeven_config_static_selectorELNS0_4arch9wavefront6targetE0EEEvSF_
	.globl	_ZN7rocprim17ROCPRIM_400000_NS6detail17trampoline_kernelINS0_14default_configENS1_38merge_sort_block_merge_config_selectorIhNS0_10empty_typeEEEZZNS1_27merge_sort_block_merge_implIS3_PhPS5_jNS1_19radix_merge_compareILb1ELb1EhNS0_19identity_decomposerEEEEE10hipError_tT0_T1_T2_jT3_P12ihipStream_tbPNSt15iterator_traitsISE_E10value_typeEPNSK_ISF_E10value_typeEPSG_NS1_7vsmem_tEENKUlT_SE_SF_SG_E_clIS8_S8_S9_S9_EESD_ST_SE_SF_SG_EUlST_E1_NS1_11comp_targetILNS1_3genE2ELNS1_11target_archE906ELNS1_3gpuE6ELNS1_3repE0EEENS1_36merge_oddeven_config_static_selectorELNS0_4arch9wavefront6targetE0EEEvSF_
	.p2align	8
	.type	_ZN7rocprim17ROCPRIM_400000_NS6detail17trampoline_kernelINS0_14default_configENS1_38merge_sort_block_merge_config_selectorIhNS0_10empty_typeEEEZZNS1_27merge_sort_block_merge_implIS3_PhPS5_jNS1_19radix_merge_compareILb1ELb1EhNS0_19identity_decomposerEEEEE10hipError_tT0_T1_T2_jT3_P12ihipStream_tbPNSt15iterator_traitsISE_E10value_typeEPNSK_ISF_E10value_typeEPSG_NS1_7vsmem_tEENKUlT_SE_SF_SG_E_clIS8_S8_S9_S9_EESD_ST_SE_SF_SG_EUlST_E1_NS1_11comp_targetILNS1_3genE2ELNS1_11target_archE906ELNS1_3gpuE6ELNS1_3repE0EEENS1_36merge_oddeven_config_static_selectorELNS0_4arch9wavefront6targetE0EEEvSF_,@function
_ZN7rocprim17ROCPRIM_400000_NS6detail17trampoline_kernelINS0_14default_configENS1_38merge_sort_block_merge_config_selectorIhNS0_10empty_typeEEEZZNS1_27merge_sort_block_merge_implIS3_PhPS5_jNS1_19radix_merge_compareILb1ELb1EhNS0_19identity_decomposerEEEEE10hipError_tT0_T1_T2_jT3_P12ihipStream_tbPNSt15iterator_traitsISE_E10value_typeEPNSK_ISF_E10value_typeEPSG_NS1_7vsmem_tEENKUlT_SE_SF_SG_E_clIS8_S8_S9_S9_EESD_ST_SE_SF_SG_EUlST_E1_NS1_11comp_targetILNS1_3genE2ELNS1_11target_archE906ELNS1_3gpuE6ELNS1_3repE0EEENS1_36merge_oddeven_config_static_selectorELNS0_4arch9wavefront6targetE0EEEvSF_: ; @_ZN7rocprim17ROCPRIM_400000_NS6detail17trampoline_kernelINS0_14default_configENS1_38merge_sort_block_merge_config_selectorIhNS0_10empty_typeEEEZZNS1_27merge_sort_block_merge_implIS3_PhPS5_jNS1_19radix_merge_compareILb1ELb1EhNS0_19identity_decomposerEEEEE10hipError_tT0_T1_T2_jT3_P12ihipStream_tbPNSt15iterator_traitsISE_E10value_typeEPNSK_ISF_E10value_typeEPSG_NS1_7vsmem_tEENKUlT_SE_SF_SG_E_clIS8_S8_S9_S9_EESD_ST_SE_SF_SG_EUlST_E1_NS1_11comp_targetILNS1_3genE2ELNS1_11target_archE906ELNS1_3gpuE6ELNS1_3repE0EEENS1_36merge_oddeven_config_static_selectorELNS0_4arch9wavefront6targetE0EEEvSF_
; %bb.0:
	.section	.rodata,"a",@progbits
	.p2align	6, 0x0
	.amdhsa_kernel _ZN7rocprim17ROCPRIM_400000_NS6detail17trampoline_kernelINS0_14default_configENS1_38merge_sort_block_merge_config_selectorIhNS0_10empty_typeEEEZZNS1_27merge_sort_block_merge_implIS3_PhPS5_jNS1_19radix_merge_compareILb1ELb1EhNS0_19identity_decomposerEEEEE10hipError_tT0_T1_T2_jT3_P12ihipStream_tbPNSt15iterator_traitsISE_E10value_typeEPNSK_ISF_E10value_typeEPSG_NS1_7vsmem_tEENKUlT_SE_SF_SG_E_clIS8_S8_S9_S9_EESD_ST_SE_SF_SG_EUlST_E1_NS1_11comp_targetILNS1_3genE2ELNS1_11target_archE906ELNS1_3gpuE6ELNS1_3repE0EEENS1_36merge_oddeven_config_static_selectorELNS0_4arch9wavefront6targetE0EEEvSF_
		.amdhsa_group_segment_fixed_size 0
		.amdhsa_private_segment_fixed_size 0
		.amdhsa_kernarg_size 48
		.amdhsa_user_sgpr_count 2
		.amdhsa_user_sgpr_dispatch_ptr 0
		.amdhsa_user_sgpr_queue_ptr 0
		.amdhsa_user_sgpr_kernarg_segment_ptr 1
		.amdhsa_user_sgpr_dispatch_id 0
		.amdhsa_user_sgpr_kernarg_preload_length 0
		.amdhsa_user_sgpr_kernarg_preload_offset 0
		.amdhsa_user_sgpr_private_segment_size 0
		.amdhsa_wavefront_size32 1
		.amdhsa_uses_dynamic_stack 0
		.amdhsa_enable_private_segment 0
		.amdhsa_system_sgpr_workgroup_id_x 1
		.amdhsa_system_sgpr_workgroup_id_y 0
		.amdhsa_system_sgpr_workgroup_id_z 0
		.amdhsa_system_sgpr_workgroup_info 0
		.amdhsa_system_vgpr_workitem_id 0
		.amdhsa_next_free_vgpr 1
		.amdhsa_next_free_sgpr 1
		.amdhsa_named_barrier_count 0
		.amdhsa_reserve_vcc 0
		.amdhsa_float_round_mode_32 0
		.amdhsa_float_round_mode_16_64 0
		.amdhsa_float_denorm_mode_32 3
		.amdhsa_float_denorm_mode_16_64 3
		.amdhsa_fp16_overflow 0
		.amdhsa_memory_ordered 1
		.amdhsa_forward_progress 1
		.amdhsa_inst_pref_size 0
		.amdhsa_round_robin_scheduling 0
		.amdhsa_exception_fp_ieee_invalid_op 0
		.amdhsa_exception_fp_denorm_src 0
		.amdhsa_exception_fp_ieee_div_zero 0
		.amdhsa_exception_fp_ieee_overflow 0
		.amdhsa_exception_fp_ieee_underflow 0
		.amdhsa_exception_fp_ieee_inexact 0
		.amdhsa_exception_int_div_zero 0
	.end_amdhsa_kernel
	.section	.text._ZN7rocprim17ROCPRIM_400000_NS6detail17trampoline_kernelINS0_14default_configENS1_38merge_sort_block_merge_config_selectorIhNS0_10empty_typeEEEZZNS1_27merge_sort_block_merge_implIS3_PhPS5_jNS1_19radix_merge_compareILb1ELb1EhNS0_19identity_decomposerEEEEE10hipError_tT0_T1_T2_jT3_P12ihipStream_tbPNSt15iterator_traitsISE_E10value_typeEPNSK_ISF_E10value_typeEPSG_NS1_7vsmem_tEENKUlT_SE_SF_SG_E_clIS8_S8_S9_S9_EESD_ST_SE_SF_SG_EUlST_E1_NS1_11comp_targetILNS1_3genE2ELNS1_11target_archE906ELNS1_3gpuE6ELNS1_3repE0EEENS1_36merge_oddeven_config_static_selectorELNS0_4arch9wavefront6targetE0EEEvSF_,"axG",@progbits,_ZN7rocprim17ROCPRIM_400000_NS6detail17trampoline_kernelINS0_14default_configENS1_38merge_sort_block_merge_config_selectorIhNS0_10empty_typeEEEZZNS1_27merge_sort_block_merge_implIS3_PhPS5_jNS1_19radix_merge_compareILb1ELb1EhNS0_19identity_decomposerEEEEE10hipError_tT0_T1_T2_jT3_P12ihipStream_tbPNSt15iterator_traitsISE_E10value_typeEPNSK_ISF_E10value_typeEPSG_NS1_7vsmem_tEENKUlT_SE_SF_SG_E_clIS8_S8_S9_S9_EESD_ST_SE_SF_SG_EUlST_E1_NS1_11comp_targetILNS1_3genE2ELNS1_11target_archE906ELNS1_3gpuE6ELNS1_3repE0EEENS1_36merge_oddeven_config_static_selectorELNS0_4arch9wavefront6targetE0EEEvSF_,comdat
.Lfunc_end79:
	.size	_ZN7rocprim17ROCPRIM_400000_NS6detail17trampoline_kernelINS0_14default_configENS1_38merge_sort_block_merge_config_selectorIhNS0_10empty_typeEEEZZNS1_27merge_sort_block_merge_implIS3_PhPS5_jNS1_19radix_merge_compareILb1ELb1EhNS0_19identity_decomposerEEEEE10hipError_tT0_T1_T2_jT3_P12ihipStream_tbPNSt15iterator_traitsISE_E10value_typeEPNSK_ISF_E10value_typeEPSG_NS1_7vsmem_tEENKUlT_SE_SF_SG_E_clIS8_S8_S9_S9_EESD_ST_SE_SF_SG_EUlST_E1_NS1_11comp_targetILNS1_3genE2ELNS1_11target_archE906ELNS1_3gpuE6ELNS1_3repE0EEENS1_36merge_oddeven_config_static_selectorELNS0_4arch9wavefront6targetE0EEEvSF_, .Lfunc_end79-_ZN7rocprim17ROCPRIM_400000_NS6detail17trampoline_kernelINS0_14default_configENS1_38merge_sort_block_merge_config_selectorIhNS0_10empty_typeEEEZZNS1_27merge_sort_block_merge_implIS3_PhPS5_jNS1_19radix_merge_compareILb1ELb1EhNS0_19identity_decomposerEEEEE10hipError_tT0_T1_T2_jT3_P12ihipStream_tbPNSt15iterator_traitsISE_E10value_typeEPNSK_ISF_E10value_typeEPSG_NS1_7vsmem_tEENKUlT_SE_SF_SG_E_clIS8_S8_S9_S9_EESD_ST_SE_SF_SG_EUlST_E1_NS1_11comp_targetILNS1_3genE2ELNS1_11target_archE906ELNS1_3gpuE6ELNS1_3repE0EEENS1_36merge_oddeven_config_static_selectorELNS0_4arch9wavefront6targetE0EEEvSF_
                                        ; -- End function
	.set _ZN7rocprim17ROCPRIM_400000_NS6detail17trampoline_kernelINS0_14default_configENS1_38merge_sort_block_merge_config_selectorIhNS0_10empty_typeEEEZZNS1_27merge_sort_block_merge_implIS3_PhPS5_jNS1_19radix_merge_compareILb1ELb1EhNS0_19identity_decomposerEEEEE10hipError_tT0_T1_T2_jT3_P12ihipStream_tbPNSt15iterator_traitsISE_E10value_typeEPNSK_ISF_E10value_typeEPSG_NS1_7vsmem_tEENKUlT_SE_SF_SG_E_clIS8_S8_S9_S9_EESD_ST_SE_SF_SG_EUlST_E1_NS1_11comp_targetILNS1_3genE2ELNS1_11target_archE906ELNS1_3gpuE6ELNS1_3repE0EEENS1_36merge_oddeven_config_static_selectorELNS0_4arch9wavefront6targetE0EEEvSF_.num_vgpr, 0
	.set _ZN7rocprim17ROCPRIM_400000_NS6detail17trampoline_kernelINS0_14default_configENS1_38merge_sort_block_merge_config_selectorIhNS0_10empty_typeEEEZZNS1_27merge_sort_block_merge_implIS3_PhPS5_jNS1_19radix_merge_compareILb1ELb1EhNS0_19identity_decomposerEEEEE10hipError_tT0_T1_T2_jT3_P12ihipStream_tbPNSt15iterator_traitsISE_E10value_typeEPNSK_ISF_E10value_typeEPSG_NS1_7vsmem_tEENKUlT_SE_SF_SG_E_clIS8_S8_S9_S9_EESD_ST_SE_SF_SG_EUlST_E1_NS1_11comp_targetILNS1_3genE2ELNS1_11target_archE906ELNS1_3gpuE6ELNS1_3repE0EEENS1_36merge_oddeven_config_static_selectorELNS0_4arch9wavefront6targetE0EEEvSF_.num_agpr, 0
	.set _ZN7rocprim17ROCPRIM_400000_NS6detail17trampoline_kernelINS0_14default_configENS1_38merge_sort_block_merge_config_selectorIhNS0_10empty_typeEEEZZNS1_27merge_sort_block_merge_implIS3_PhPS5_jNS1_19radix_merge_compareILb1ELb1EhNS0_19identity_decomposerEEEEE10hipError_tT0_T1_T2_jT3_P12ihipStream_tbPNSt15iterator_traitsISE_E10value_typeEPNSK_ISF_E10value_typeEPSG_NS1_7vsmem_tEENKUlT_SE_SF_SG_E_clIS8_S8_S9_S9_EESD_ST_SE_SF_SG_EUlST_E1_NS1_11comp_targetILNS1_3genE2ELNS1_11target_archE906ELNS1_3gpuE6ELNS1_3repE0EEENS1_36merge_oddeven_config_static_selectorELNS0_4arch9wavefront6targetE0EEEvSF_.numbered_sgpr, 0
	.set _ZN7rocprim17ROCPRIM_400000_NS6detail17trampoline_kernelINS0_14default_configENS1_38merge_sort_block_merge_config_selectorIhNS0_10empty_typeEEEZZNS1_27merge_sort_block_merge_implIS3_PhPS5_jNS1_19radix_merge_compareILb1ELb1EhNS0_19identity_decomposerEEEEE10hipError_tT0_T1_T2_jT3_P12ihipStream_tbPNSt15iterator_traitsISE_E10value_typeEPNSK_ISF_E10value_typeEPSG_NS1_7vsmem_tEENKUlT_SE_SF_SG_E_clIS8_S8_S9_S9_EESD_ST_SE_SF_SG_EUlST_E1_NS1_11comp_targetILNS1_3genE2ELNS1_11target_archE906ELNS1_3gpuE6ELNS1_3repE0EEENS1_36merge_oddeven_config_static_selectorELNS0_4arch9wavefront6targetE0EEEvSF_.num_named_barrier, 0
	.set _ZN7rocprim17ROCPRIM_400000_NS6detail17trampoline_kernelINS0_14default_configENS1_38merge_sort_block_merge_config_selectorIhNS0_10empty_typeEEEZZNS1_27merge_sort_block_merge_implIS3_PhPS5_jNS1_19radix_merge_compareILb1ELb1EhNS0_19identity_decomposerEEEEE10hipError_tT0_T1_T2_jT3_P12ihipStream_tbPNSt15iterator_traitsISE_E10value_typeEPNSK_ISF_E10value_typeEPSG_NS1_7vsmem_tEENKUlT_SE_SF_SG_E_clIS8_S8_S9_S9_EESD_ST_SE_SF_SG_EUlST_E1_NS1_11comp_targetILNS1_3genE2ELNS1_11target_archE906ELNS1_3gpuE6ELNS1_3repE0EEENS1_36merge_oddeven_config_static_selectorELNS0_4arch9wavefront6targetE0EEEvSF_.private_seg_size, 0
	.set _ZN7rocprim17ROCPRIM_400000_NS6detail17trampoline_kernelINS0_14default_configENS1_38merge_sort_block_merge_config_selectorIhNS0_10empty_typeEEEZZNS1_27merge_sort_block_merge_implIS3_PhPS5_jNS1_19radix_merge_compareILb1ELb1EhNS0_19identity_decomposerEEEEE10hipError_tT0_T1_T2_jT3_P12ihipStream_tbPNSt15iterator_traitsISE_E10value_typeEPNSK_ISF_E10value_typeEPSG_NS1_7vsmem_tEENKUlT_SE_SF_SG_E_clIS8_S8_S9_S9_EESD_ST_SE_SF_SG_EUlST_E1_NS1_11comp_targetILNS1_3genE2ELNS1_11target_archE906ELNS1_3gpuE6ELNS1_3repE0EEENS1_36merge_oddeven_config_static_selectorELNS0_4arch9wavefront6targetE0EEEvSF_.uses_vcc, 0
	.set _ZN7rocprim17ROCPRIM_400000_NS6detail17trampoline_kernelINS0_14default_configENS1_38merge_sort_block_merge_config_selectorIhNS0_10empty_typeEEEZZNS1_27merge_sort_block_merge_implIS3_PhPS5_jNS1_19radix_merge_compareILb1ELb1EhNS0_19identity_decomposerEEEEE10hipError_tT0_T1_T2_jT3_P12ihipStream_tbPNSt15iterator_traitsISE_E10value_typeEPNSK_ISF_E10value_typeEPSG_NS1_7vsmem_tEENKUlT_SE_SF_SG_E_clIS8_S8_S9_S9_EESD_ST_SE_SF_SG_EUlST_E1_NS1_11comp_targetILNS1_3genE2ELNS1_11target_archE906ELNS1_3gpuE6ELNS1_3repE0EEENS1_36merge_oddeven_config_static_selectorELNS0_4arch9wavefront6targetE0EEEvSF_.uses_flat_scratch, 0
	.set _ZN7rocprim17ROCPRIM_400000_NS6detail17trampoline_kernelINS0_14default_configENS1_38merge_sort_block_merge_config_selectorIhNS0_10empty_typeEEEZZNS1_27merge_sort_block_merge_implIS3_PhPS5_jNS1_19radix_merge_compareILb1ELb1EhNS0_19identity_decomposerEEEEE10hipError_tT0_T1_T2_jT3_P12ihipStream_tbPNSt15iterator_traitsISE_E10value_typeEPNSK_ISF_E10value_typeEPSG_NS1_7vsmem_tEENKUlT_SE_SF_SG_E_clIS8_S8_S9_S9_EESD_ST_SE_SF_SG_EUlST_E1_NS1_11comp_targetILNS1_3genE2ELNS1_11target_archE906ELNS1_3gpuE6ELNS1_3repE0EEENS1_36merge_oddeven_config_static_selectorELNS0_4arch9wavefront6targetE0EEEvSF_.has_dyn_sized_stack, 0
	.set _ZN7rocprim17ROCPRIM_400000_NS6detail17trampoline_kernelINS0_14default_configENS1_38merge_sort_block_merge_config_selectorIhNS0_10empty_typeEEEZZNS1_27merge_sort_block_merge_implIS3_PhPS5_jNS1_19radix_merge_compareILb1ELb1EhNS0_19identity_decomposerEEEEE10hipError_tT0_T1_T2_jT3_P12ihipStream_tbPNSt15iterator_traitsISE_E10value_typeEPNSK_ISF_E10value_typeEPSG_NS1_7vsmem_tEENKUlT_SE_SF_SG_E_clIS8_S8_S9_S9_EESD_ST_SE_SF_SG_EUlST_E1_NS1_11comp_targetILNS1_3genE2ELNS1_11target_archE906ELNS1_3gpuE6ELNS1_3repE0EEENS1_36merge_oddeven_config_static_selectorELNS0_4arch9wavefront6targetE0EEEvSF_.has_recursion, 0
	.set _ZN7rocprim17ROCPRIM_400000_NS6detail17trampoline_kernelINS0_14default_configENS1_38merge_sort_block_merge_config_selectorIhNS0_10empty_typeEEEZZNS1_27merge_sort_block_merge_implIS3_PhPS5_jNS1_19radix_merge_compareILb1ELb1EhNS0_19identity_decomposerEEEEE10hipError_tT0_T1_T2_jT3_P12ihipStream_tbPNSt15iterator_traitsISE_E10value_typeEPNSK_ISF_E10value_typeEPSG_NS1_7vsmem_tEENKUlT_SE_SF_SG_E_clIS8_S8_S9_S9_EESD_ST_SE_SF_SG_EUlST_E1_NS1_11comp_targetILNS1_3genE2ELNS1_11target_archE906ELNS1_3gpuE6ELNS1_3repE0EEENS1_36merge_oddeven_config_static_selectorELNS0_4arch9wavefront6targetE0EEEvSF_.has_indirect_call, 0
	.section	.AMDGPU.csdata,"",@progbits
; Kernel info:
; codeLenInByte = 0
; TotalNumSgprs: 0
; NumVgprs: 0
; ScratchSize: 0
; MemoryBound: 0
; FloatMode: 240
; IeeeMode: 1
; LDSByteSize: 0 bytes/workgroup (compile time only)
; SGPRBlocks: 0
; VGPRBlocks: 0
; NumSGPRsForWavesPerEU: 1
; NumVGPRsForWavesPerEU: 1
; NamedBarCnt: 0
; Occupancy: 16
; WaveLimiterHint : 0
; COMPUTE_PGM_RSRC2:SCRATCH_EN: 0
; COMPUTE_PGM_RSRC2:USER_SGPR: 2
; COMPUTE_PGM_RSRC2:TRAP_HANDLER: 0
; COMPUTE_PGM_RSRC2:TGID_X_EN: 1
; COMPUTE_PGM_RSRC2:TGID_Y_EN: 0
; COMPUTE_PGM_RSRC2:TGID_Z_EN: 0
; COMPUTE_PGM_RSRC2:TIDIG_COMP_CNT: 0
	.section	.text._ZN7rocprim17ROCPRIM_400000_NS6detail17trampoline_kernelINS0_14default_configENS1_38merge_sort_block_merge_config_selectorIhNS0_10empty_typeEEEZZNS1_27merge_sort_block_merge_implIS3_PhPS5_jNS1_19radix_merge_compareILb1ELb1EhNS0_19identity_decomposerEEEEE10hipError_tT0_T1_T2_jT3_P12ihipStream_tbPNSt15iterator_traitsISE_E10value_typeEPNSK_ISF_E10value_typeEPSG_NS1_7vsmem_tEENKUlT_SE_SF_SG_E_clIS8_S8_S9_S9_EESD_ST_SE_SF_SG_EUlST_E1_NS1_11comp_targetILNS1_3genE9ELNS1_11target_archE1100ELNS1_3gpuE3ELNS1_3repE0EEENS1_36merge_oddeven_config_static_selectorELNS0_4arch9wavefront6targetE0EEEvSF_,"axG",@progbits,_ZN7rocprim17ROCPRIM_400000_NS6detail17trampoline_kernelINS0_14default_configENS1_38merge_sort_block_merge_config_selectorIhNS0_10empty_typeEEEZZNS1_27merge_sort_block_merge_implIS3_PhPS5_jNS1_19radix_merge_compareILb1ELb1EhNS0_19identity_decomposerEEEEE10hipError_tT0_T1_T2_jT3_P12ihipStream_tbPNSt15iterator_traitsISE_E10value_typeEPNSK_ISF_E10value_typeEPSG_NS1_7vsmem_tEENKUlT_SE_SF_SG_E_clIS8_S8_S9_S9_EESD_ST_SE_SF_SG_EUlST_E1_NS1_11comp_targetILNS1_3genE9ELNS1_11target_archE1100ELNS1_3gpuE3ELNS1_3repE0EEENS1_36merge_oddeven_config_static_selectorELNS0_4arch9wavefront6targetE0EEEvSF_,comdat
	.protected	_ZN7rocprim17ROCPRIM_400000_NS6detail17trampoline_kernelINS0_14default_configENS1_38merge_sort_block_merge_config_selectorIhNS0_10empty_typeEEEZZNS1_27merge_sort_block_merge_implIS3_PhPS5_jNS1_19radix_merge_compareILb1ELb1EhNS0_19identity_decomposerEEEEE10hipError_tT0_T1_T2_jT3_P12ihipStream_tbPNSt15iterator_traitsISE_E10value_typeEPNSK_ISF_E10value_typeEPSG_NS1_7vsmem_tEENKUlT_SE_SF_SG_E_clIS8_S8_S9_S9_EESD_ST_SE_SF_SG_EUlST_E1_NS1_11comp_targetILNS1_3genE9ELNS1_11target_archE1100ELNS1_3gpuE3ELNS1_3repE0EEENS1_36merge_oddeven_config_static_selectorELNS0_4arch9wavefront6targetE0EEEvSF_ ; -- Begin function _ZN7rocprim17ROCPRIM_400000_NS6detail17trampoline_kernelINS0_14default_configENS1_38merge_sort_block_merge_config_selectorIhNS0_10empty_typeEEEZZNS1_27merge_sort_block_merge_implIS3_PhPS5_jNS1_19radix_merge_compareILb1ELb1EhNS0_19identity_decomposerEEEEE10hipError_tT0_T1_T2_jT3_P12ihipStream_tbPNSt15iterator_traitsISE_E10value_typeEPNSK_ISF_E10value_typeEPSG_NS1_7vsmem_tEENKUlT_SE_SF_SG_E_clIS8_S8_S9_S9_EESD_ST_SE_SF_SG_EUlST_E1_NS1_11comp_targetILNS1_3genE9ELNS1_11target_archE1100ELNS1_3gpuE3ELNS1_3repE0EEENS1_36merge_oddeven_config_static_selectorELNS0_4arch9wavefront6targetE0EEEvSF_
	.globl	_ZN7rocprim17ROCPRIM_400000_NS6detail17trampoline_kernelINS0_14default_configENS1_38merge_sort_block_merge_config_selectorIhNS0_10empty_typeEEEZZNS1_27merge_sort_block_merge_implIS3_PhPS5_jNS1_19radix_merge_compareILb1ELb1EhNS0_19identity_decomposerEEEEE10hipError_tT0_T1_T2_jT3_P12ihipStream_tbPNSt15iterator_traitsISE_E10value_typeEPNSK_ISF_E10value_typeEPSG_NS1_7vsmem_tEENKUlT_SE_SF_SG_E_clIS8_S8_S9_S9_EESD_ST_SE_SF_SG_EUlST_E1_NS1_11comp_targetILNS1_3genE9ELNS1_11target_archE1100ELNS1_3gpuE3ELNS1_3repE0EEENS1_36merge_oddeven_config_static_selectorELNS0_4arch9wavefront6targetE0EEEvSF_
	.p2align	8
	.type	_ZN7rocprim17ROCPRIM_400000_NS6detail17trampoline_kernelINS0_14default_configENS1_38merge_sort_block_merge_config_selectorIhNS0_10empty_typeEEEZZNS1_27merge_sort_block_merge_implIS3_PhPS5_jNS1_19radix_merge_compareILb1ELb1EhNS0_19identity_decomposerEEEEE10hipError_tT0_T1_T2_jT3_P12ihipStream_tbPNSt15iterator_traitsISE_E10value_typeEPNSK_ISF_E10value_typeEPSG_NS1_7vsmem_tEENKUlT_SE_SF_SG_E_clIS8_S8_S9_S9_EESD_ST_SE_SF_SG_EUlST_E1_NS1_11comp_targetILNS1_3genE9ELNS1_11target_archE1100ELNS1_3gpuE3ELNS1_3repE0EEENS1_36merge_oddeven_config_static_selectorELNS0_4arch9wavefront6targetE0EEEvSF_,@function
_ZN7rocprim17ROCPRIM_400000_NS6detail17trampoline_kernelINS0_14default_configENS1_38merge_sort_block_merge_config_selectorIhNS0_10empty_typeEEEZZNS1_27merge_sort_block_merge_implIS3_PhPS5_jNS1_19radix_merge_compareILb1ELb1EhNS0_19identity_decomposerEEEEE10hipError_tT0_T1_T2_jT3_P12ihipStream_tbPNSt15iterator_traitsISE_E10value_typeEPNSK_ISF_E10value_typeEPSG_NS1_7vsmem_tEENKUlT_SE_SF_SG_E_clIS8_S8_S9_S9_EESD_ST_SE_SF_SG_EUlST_E1_NS1_11comp_targetILNS1_3genE9ELNS1_11target_archE1100ELNS1_3gpuE3ELNS1_3repE0EEENS1_36merge_oddeven_config_static_selectorELNS0_4arch9wavefront6targetE0EEEvSF_: ; @_ZN7rocprim17ROCPRIM_400000_NS6detail17trampoline_kernelINS0_14default_configENS1_38merge_sort_block_merge_config_selectorIhNS0_10empty_typeEEEZZNS1_27merge_sort_block_merge_implIS3_PhPS5_jNS1_19radix_merge_compareILb1ELb1EhNS0_19identity_decomposerEEEEE10hipError_tT0_T1_T2_jT3_P12ihipStream_tbPNSt15iterator_traitsISE_E10value_typeEPNSK_ISF_E10value_typeEPSG_NS1_7vsmem_tEENKUlT_SE_SF_SG_E_clIS8_S8_S9_S9_EESD_ST_SE_SF_SG_EUlST_E1_NS1_11comp_targetILNS1_3genE9ELNS1_11target_archE1100ELNS1_3gpuE3ELNS1_3repE0EEENS1_36merge_oddeven_config_static_selectorELNS0_4arch9wavefront6targetE0EEEvSF_
; %bb.0:
	.section	.rodata,"a",@progbits
	.p2align	6, 0x0
	.amdhsa_kernel _ZN7rocprim17ROCPRIM_400000_NS6detail17trampoline_kernelINS0_14default_configENS1_38merge_sort_block_merge_config_selectorIhNS0_10empty_typeEEEZZNS1_27merge_sort_block_merge_implIS3_PhPS5_jNS1_19radix_merge_compareILb1ELb1EhNS0_19identity_decomposerEEEEE10hipError_tT0_T1_T2_jT3_P12ihipStream_tbPNSt15iterator_traitsISE_E10value_typeEPNSK_ISF_E10value_typeEPSG_NS1_7vsmem_tEENKUlT_SE_SF_SG_E_clIS8_S8_S9_S9_EESD_ST_SE_SF_SG_EUlST_E1_NS1_11comp_targetILNS1_3genE9ELNS1_11target_archE1100ELNS1_3gpuE3ELNS1_3repE0EEENS1_36merge_oddeven_config_static_selectorELNS0_4arch9wavefront6targetE0EEEvSF_
		.amdhsa_group_segment_fixed_size 0
		.amdhsa_private_segment_fixed_size 0
		.amdhsa_kernarg_size 48
		.amdhsa_user_sgpr_count 2
		.amdhsa_user_sgpr_dispatch_ptr 0
		.amdhsa_user_sgpr_queue_ptr 0
		.amdhsa_user_sgpr_kernarg_segment_ptr 1
		.amdhsa_user_sgpr_dispatch_id 0
		.amdhsa_user_sgpr_kernarg_preload_length 0
		.amdhsa_user_sgpr_kernarg_preload_offset 0
		.amdhsa_user_sgpr_private_segment_size 0
		.amdhsa_wavefront_size32 1
		.amdhsa_uses_dynamic_stack 0
		.amdhsa_enable_private_segment 0
		.amdhsa_system_sgpr_workgroup_id_x 1
		.amdhsa_system_sgpr_workgroup_id_y 0
		.amdhsa_system_sgpr_workgroup_id_z 0
		.amdhsa_system_sgpr_workgroup_info 0
		.amdhsa_system_vgpr_workitem_id 0
		.amdhsa_next_free_vgpr 1
		.amdhsa_next_free_sgpr 1
		.amdhsa_named_barrier_count 0
		.amdhsa_reserve_vcc 0
		.amdhsa_float_round_mode_32 0
		.amdhsa_float_round_mode_16_64 0
		.amdhsa_float_denorm_mode_32 3
		.amdhsa_float_denorm_mode_16_64 3
		.amdhsa_fp16_overflow 0
		.amdhsa_memory_ordered 1
		.amdhsa_forward_progress 1
		.amdhsa_inst_pref_size 0
		.amdhsa_round_robin_scheduling 0
		.amdhsa_exception_fp_ieee_invalid_op 0
		.amdhsa_exception_fp_denorm_src 0
		.amdhsa_exception_fp_ieee_div_zero 0
		.amdhsa_exception_fp_ieee_overflow 0
		.amdhsa_exception_fp_ieee_underflow 0
		.amdhsa_exception_fp_ieee_inexact 0
		.amdhsa_exception_int_div_zero 0
	.end_amdhsa_kernel
	.section	.text._ZN7rocprim17ROCPRIM_400000_NS6detail17trampoline_kernelINS0_14default_configENS1_38merge_sort_block_merge_config_selectorIhNS0_10empty_typeEEEZZNS1_27merge_sort_block_merge_implIS3_PhPS5_jNS1_19radix_merge_compareILb1ELb1EhNS0_19identity_decomposerEEEEE10hipError_tT0_T1_T2_jT3_P12ihipStream_tbPNSt15iterator_traitsISE_E10value_typeEPNSK_ISF_E10value_typeEPSG_NS1_7vsmem_tEENKUlT_SE_SF_SG_E_clIS8_S8_S9_S9_EESD_ST_SE_SF_SG_EUlST_E1_NS1_11comp_targetILNS1_3genE9ELNS1_11target_archE1100ELNS1_3gpuE3ELNS1_3repE0EEENS1_36merge_oddeven_config_static_selectorELNS0_4arch9wavefront6targetE0EEEvSF_,"axG",@progbits,_ZN7rocprim17ROCPRIM_400000_NS6detail17trampoline_kernelINS0_14default_configENS1_38merge_sort_block_merge_config_selectorIhNS0_10empty_typeEEEZZNS1_27merge_sort_block_merge_implIS3_PhPS5_jNS1_19radix_merge_compareILb1ELb1EhNS0_19identity_decomposerEEEEE10hipError_tT0_T1_T2_jT3_P12ihipStream_tbPNSt15iterator_traitsISE_E10value_typeEPNSK_ISF_E10value_typeEPSG_NS1_7vsmem_tEENKUlT_SE_SF_SG_E_clIS8_S8_S9_S9_EESD_ST_SE_SF_SG_EUlST_E1_NS1_11comp_targetILNS1_3genE9ELNS1_11target_archE1100ELNS1_3gpuE3ELNS1_3repE0EEENS1_36merge_oddeven_config_static_selectorELNS0_4arch9wavefront6targetE0EEEvSF_,comdat
.Lfunc_end80:
	.size	_ZN7rocprim17ROCPRIM_400000_NS6detail17trampoline_kernelINS0_14default_configENS1_38merge_sort_block_merge_config_selectorIhNS0_10empty_typeEEEZZNS1_27merge_sort_block_merge_implIS3_PhPS5_jNS1_19radix_merge_compareILb1ELb1EhNS0_19identity_decomposerEEEEE10hipError_tT0_T1_T2_jT3_P12ihipStream_tbPNSt15iterator_traitsISE_E10value_typeEPNSK_ISF_E10value_typeEPSG_NS1_7vsmem_tEENKUlT_SE_SF_SG_E_clIS8_S8_S9_S9_EESD_ST_SE_SF_SG_EUlST_E1_NS1_11comp_targetILNS1_3genE9ELNS1_11target_archE1100ELNS1_3gpuE3ELNS1_3repE0EEENS1_36merge_oddeven_config_static_selectorELNS0_4arch9wavefront6targetE0EEEvSF_, .Lfunc_end80-_ZN7rocprim17ROCPRIM_400000_NS6detail17trampoline_kernelINS0_14default_configENS1_38merge_sort_block_merge_config_selectorIhNS0_10empty_typeEEEZZNS1_27merge_sort_block_merge_implIS3_PhPS5_jNS1_19radix_merge_compareILb1ELb1EhNS0_19identity_decomposerEEEEE10hipError_tT0_T1_T2_jT3_P12ihipStream_tbPNSt15iterator_traitsISE_E10value_typeEPNSK_ISF_E10value_typeEPSG_NS1_7vsmem_tEENKUlT_SE_SF_SG_E_clIS8_S8_S9_S9_EESD_ST_SE_SF_SG_EUlST_E1_NS1_11comp_targetILNS1_3genE9ELNS1_11target_archE1100ELNS1_3gpuE3ELNS1_3repE0EEENS1_36merge_oddeven_config_static_selectorELNS0_4arch9wavefront6targetE0EEEvSF_
                                        ; -- End function
	.set _ZN7rocprim17ROCPRIM_400000_NS6detail17trampoline_kernelINS0_14default_configENS1_38merge_sort_block_merge_config_selectorIhNS0_10empty_typeEEEZZNS1_27merge_sort_block_merge_implIS3_PhPS5_jNS1_19radix_merge_compareILb1ELb1EhNS0_19identity_decomposerEEEEE10hipError_tT0_T1_T2_jT3_P12ihipStream_tbPNSt15iterator_traitsISE_E10value_typeEPNSK_ISF_E10value_typeEPSG_NS1_7vsmem_tEENKUlT_SE_SF_SG_E_clIS8_S8_S9_S9_EESD_ST_SE_SF_SG_EUlST_E1_NS1_11comp_targetILNS1_3genE9ELNS1_11target_archE1100ELNS1_3gpuE3ELNS1_3repE0EEENS1_36merge_oddeven_config_static_selectorELNS0_4arch9wavefront6targetE0EEEvSF_.num_vgpr, 0
	.set _ZN7rocprim17ROCPRIM_400000_NS6detail17trampoline_kernelINS0_14default_configENS1_38merge_sort_block_merge_config_selectorIhNS0_10empty_typeEEEZZNS1_27merge_sort_block_merge_implIS3_PhPS5_jNS1_19radix_merge_compareILb1ELb1EhNS0_19identity_decomposerEEEEE10hipError_tT0_T1_T2_jT3_P12ihipStream_tbPNSt15iterator_traitsISE_E10value_typeEPNSK_ISF_E10value_typeEPSG_NS1_7vsmem_tEENKUlT_SE_SF_SG_E_clIS8_S8_S9_S9_EESD_ST_SE_SF_SG_EUlST_E1_NS1_11comp_targetILNS1_3genE9ELNS1_11target_archE1100ELNS1_3gpuE3ELNS1_3repE0EEENS1_36merge_oddeven_config_static_selectorELNS0_4arch9wavefront6targetE0EEEvSF_.num_agpr, 0
	.set _ZN7rocprim17ROCPRIM_400000_NS6detail17trampoline_kernelINS0_14default_configENS1_38merge_sort_block_merge_config_selectorIhNS0_10empty_typeEEEZZNS1_27merge_sort_block_merge_implIS3_PhPS5_jNS1_19radix_merge_compareILb1ELb1EhNS0_19identity_decomposerEEEEE10hipError_tT0_T1_T2_jT3_P12ihipStream_tbPNSt15iterator_traitsISE_E10value_typeEPNSK_ISF_E10value_typeEPSG_NS1_7vsmem_tEENKUlT_SE_SF_SG_E_clIS8_S8_S9_S9_EESD_ST_SE_SF_SG_EUlST_E1_NS1_11comp_targetILNS1_3genE9ELNS1_11target_archE1100ELNS1_3gpuE3ELNS1_3repE0EEENS1_36merge_oddeven_config_static_selectorELNS0_4arch9wavefront6targetE0EEEvSF_.numbered_sgpr, 0
	.set _ZN7rocprim17ROCPRIM_400000_NS6detail17trampoline_kernelINS0_14default_configENS1_38merge_sort_block_merge_config_selectorIhNS0_10empty_typeEEEZZNS1_27merge_sort_block_merge_implIS3_PhPS5_jNS1_19radix_merge_compareILb1ELb1EhNS0_19identity_decomposerEEEEE10hipError_tT0_T1_T2_jT3_P12ihipStream_tbPNSt15iterator_traitsISE_E10value_typeEPNSK_ISF_E10value_typeEPSG_NS1_7vsmem_tEENKUlT_SE_SF_SG_E_clIS8_S8_S9_S9_EESD_ST_SE_SF_SG_EUlST_E1_NS1_11comp_targetILNS1_3genE9ELNS1_11target_archE1100ELNS1_3gpuE3ELNS1_3repE0EEENS1_36merge_oddeven_config_static_selectorELNS0_4arch9wavefront6targetE0EEEvSF_.num_named_barrier, 0
	.set _ZN7rocprim17ROCPRIM_400000_NS6detail17trampoline_kernelINS0_14default_configENS1_38merge_sort_block_merge_config_selectorIhNS0_10empty_typeEEEZZNS1_27merge_sort_block_merge_implIS3_PhPS5_jNS1_19radix_merge_compareILb1ELb1EhNS0_19identity_decomposerEEEEE10hipError_tT0_T1_T2_jT3_P12ihipStream_tbPNSt15iterator_traitsISE_E10value_typeEPNSK_ISF_E10value_typeEPSG_NS1_7vsmem_tEENKUlT_SE_SF_SG_E_clIS8_S8_S9_S9_EESD_ST_SE_SF_SG_EUlST_E1_NS1_11comp_targetILNS1_3genE9ELNS1_11target_archE1100ELNS1_3gpuE3ELNS1_3repE0EEENS1_36merge_oddeven_config_static_selectorELNS0_4arch9wavefront6targetE0EEEvSF_.private_seg_size, 0
	.set _ZN7rocprim17ROCPRIM_400000_NS6detail17trampoline_kernelINS0_14default_configENS1_38merge_sort_block_merge_config_selectorIhNS0_10empty_typeEEEZZNS1_27merge_sort_block_merge_implIS3_PhPS5_jNS1_19radix_merge_compareILb1ELb1EhNS0_19identity_decomposerEEEEE10hipError_tT0_T1_T2_jT3_P12ihipStream_tbPNSt15iterator_traitsISE_E10value_typeEPNSK_ISF_E10value_typeEPSG_NS1_7vsmem_tEENKUlT_SE_SF_SG_E_clIS8_S8_S9_S9_EESD_ST_SE_SF_SG_EUlST_E1_NS1_11comp_targetILNS1_3genE9ELNS1_11target_archE1100ELNS1_3gpuE3ELNS1_3repE0EEENS1_36merge_oddeven_config_static_selectorELNS0_4arch9wavefront6targetE0EEEvSF_.uses_vcc, 0
	.set _ZN7rocprim17ROCPRIM_400000_NS6detail17trampoline_kernelINS0_14default_configENS1_38merge_sort_block_merge_config_selectorIhNS0_10empty_typeEEEZZNS1_27merge_sort_block_merge_implIS3_PhPS5_jNS1_19radix_merge_compareILb1ELb1EhNS0_19identity_decomposerEEEEE10hipError_tT0_T1_T2_jT3_P12ihipStream_tbPNSt15iterator_traitsISE_E10value_typeEPNSK_ISF_E10value_typeEPSG_NS1_7vsmem_tEENKUlT_SE_SF_SG_E_clIS8_S8_S9_S9_EESD_ST_SE_SF_SG_EUlST_E1_NS1_11comp_targetILNS1_3genE9ELNS1_11target_archE1100ELNS1_3gpuE3ELNS1_3repE0EEENS1_36merge_oddeven_config_static_selectorELNS0_4arch9wavefront6targetE0EEEvSF_.uses_flat_scratch, 0
	.set _ZN7rocprim17ROCPRIM_400000_NS6detail17trampoline_kernelINS0_14default_configENS1_38merge_sort_block_merge_config_selectorIhNS0_10empty_typeEEEZZNS1_27merge_sort_block_merge_implIS3_PhPS5_jNS1_19radix_merge_compareILb1ELb1EhNS0_19identity_decomposerEEEEE10hipError_tT0_T1_T2_jT3_P12ihipStream_tbPNSt15iterator_traitsISE_E10value_typeEPNSK_ISF_E10value_typeEPSG_NS1_7vsmem_tEENKUlT_SE_SF_SG_E_clIS8_S8_S9_S9_EESD_ST_SE_SF_SG_EUlST_E1_NS1_11comp_targetILNS1_3genE9ELNS1_11target_archE1100ELNS1_3gpuE3ELNS1_3repE0EEENS1_36merge_oddeven_config_static_selectorELNS0_4arch9wavefront6targetE0EEEvSF_.has_dyn_sized_stack, 0
	.set _ZN7rocprim17ROCPRIM_400000_NS6detail17trampoline_kernelINS0_14default_configENS1_38merge_sort_block_merge_config_selectorIhNS0_10empty_typeEEEZZNS1_27merge_sort_block_merge_implIS3_PhPS5_jNS1_19radix_merge_compareILb1ELb1EhNS0_19identity_decomposerEEEEE10hipError_tT0_T1_T2_jT3_P12ihipStream_tbPNSt15iterator_traitsISE_E10value_typeEPNSK_ISF_E10value_typeEPSG_NS1_7vsmem_tEENKUlT_SE_SF_SG_E_clIS8_S8_S9_S9_EESD_ST_SE_SF_SG_EUlST_E1_NS1_11comp_targetILNS1_3genE9ELNS1_11target_archE1100ELNS1_3gpuE3ELNS1_3repE0EEENS1_36merge_oddeven_config_static_selectorELNS0_4arch9wavefront6targetE0EEEvSF_.has_recursion, 0
	.set _ZN7rocprim17ROCPRIM_400000_NS6detail17trampoline_kernelINS0_14default_configENS1_38merge_sort_block_merge_config_selectorIhNS0_10empty_typeEEEZZNS1_27merge_sort_block_merge_implIS3_PhPS5_jNS1_19radix_merge_compareILb1ELb1EhNS0_19identity_decomposerEEEEE10hipError_tT0_T1_T2_jT3_P12ihipStream_tbPNSt15iterator_traitsISE_E10value_typeEPNSK_ISF_E10value_typeEPSG_NS1_7vsmem_tEENKUlT_SE_SF_SG_E_clIS8_S8_S9_S9_EESD_ST_SE_SF_SG_EUlST_E1_NS1_11comp_targetILNS1_3genE9ELNS1_11target_archE1100ELNS1_3gpuE3ELNS1_3repE0EEENS1_36merge_oddeven_config_static_selectorELNS0_4arch9wavefront6targetE0EEEvSF_.has_indirect_call, 0
	.section	.AMDGPU.csdata,"",@progbits
; Kernel info:
; codeLenInByte = 0
; TotalNumSgprs: 0
; NumVgprs: 0
; ScratchSize: 0
; MemoryBound: 0
; FloatMode: 240
; IeeeMode: 1
; LDSByteSize: 0 bytes/workgroup (compile time only)
; SGPRBlocks: 0
; VGPRBlocks: 0
; NumSGPRsForWavesPerEU: 1
; NumVGPRsForWavesPerEU: 1
; NamedBarCnt: 0
; Occupancy: 16
; WaveLimiterHint : 0
; COMPUTE_PGM_RSRC2:SCRATCH_EN: 0
; COMPUTE_PGM_RSRC2:USER_SGPR: 2
; COMPUTE_PGM_RSRC2:TRAP_HANDLER: 0
; COMPUTE_PGM_RSRC2:TGID_X_EN: 1
; COMPUTE_PGM_RSRC2:TGID_Y_EN: 0
; COMPUTE_PGM_RSRC2:TGID_Z_EN: 0
; COMPUTE_PGM_RSRC2:TIDIG_COMP_CNT: 0
	.section	.text._ZN7rocprim17ROCPRIM_400000_NS6detail17trampoline_kernelINS0_14default_configENS1_38merge_sort_block_merge_config_selectorIhNS0_10empty_typeEEEZZNS1_27merge_sort_block_merge_implIS3_PhPS5_jNS1_19radix_merge_compareILb1ELb1EhNS0_19identity_decomposerEEEEE10hipError_tT0_T1_T2_jT3_P12ihipStream_tbPNSt15iterator_traitsISE_E10value_typeEPNSK_ISF_E10value_typeEPSG_NS1_7vsmem_tEENKUlT_SE_SF_SG_E_clIS8_S8_S9_S9_EESD_ST_SE_SF_SG_EUlST_E1_NS1_11comp_targetILNS1_3genE8ELNS1_11target_archE1030ELNS1_3gpuE2ELNS1_3repE0EEENS1_36merge_oddeven_config_static_selectorELNS0_4arch9wavefront6targetE0EEEvSF_,"axG",@progbits,_ZN7rocprim17ROCPRIM_400000_NS6detail17trampoline_kernelINS0_14default_configENS1_38merge_sort_block_merge_config_selectorIhNS0_10empty_typeEEEZZNS1_27merge_sort_block_merge_implIS3_PhPS5_jNS1_19radix_merge_compareILb1ELb1EhNS0_19identity_decomposerEEEEE10hipError_tT0_T1_T2_jT3_P12ihipStream_tbPNSt15iterator_traitsISE_E10value_typeEPNSK_ISF_E10value_typeEPSG_NS1_7vsmem_tEENKUlT_SE_SF_SG_E_clIS8_S8_S9_S9_EESD_ST_SE_SF_SG_EUlST_E1_NS1_11comp_targetILNS1_3genE8ELNS1_11target_archE1030ELNS1_3gpuE2ELNS1_3repE0EEENS1_36merge_oddeven_config_static_selectorELNS0_4arch9wavefront6targetE0EEEvSF_,comdat
	.protected	_ZN7rocprim17ROCPRIM_400000_NS6detail17trampoline_kernelINS0_14default_configENS1_38merge_sort_block_merge_config_selectorIhNS0_10empty_typeEEEZZNS1_27merge_sort_block_merge_implIS3_PhPS5_jNS1_19radix_merge_compareILb1ELb1EhNS0_19identity_decomposerEEEEE10hipError_tT0_T1_T2_jT3_P12ihipStream_tbPNSt15iterator_traitsISE_E10value_typeEPNSK_ISF_E10value_typeEPSG_NS1_7vsmem_tEENKUlT_SE_SF_SG_E_clIS8_S8_S9_S9_EESD_ST_SE_SF_SG_EUlST_E1_NS1_11comp_targetILNS1_3genE8ELNS1_11target_archE1030ELNS1_3gpuE2ELNS1_3repE0EEENS1_36merge_oddeven_config_static_selectorELNS0_4arch9wavefront6targetE0EEEvSF_ ; -- Begin function _ZN7rocprim17ROCPRIM_400000_NS6detail17trampoline_kernelINS0_14default_configENS1_38merge_sort_block_merge_config_selectorIhNS0_10empty_typeEEEZZNS1_27merge_sort_block_merge_implIS3_PhPS5_jNS1_19radix_merge_compareILb1ELb1EhNS0_19identity_decomposerEEEEE10hipError_tT0_T1_T2_jT3_P12ihipStream_tbPNSt15iterator_traitsISE_E10value_typeEPNSK_ISF_E10value_typeEPSG_NS1_7vsmem_tEENKUlT_SE_SF_SG_E_clIS8_S8_S9_S9_EESD_ST_SE_SF_SG_EUlST_E1_NS1_11comp_targetILNS1_3genE8ELNS1_11target_archE1030ELNS1_3gpuE2ELNS1_3repE0EEENS1_36merge_oddeven_config_static_selectorELNS0_4arch9wavefront6targetE0EEEvSF_
	.globl	_ZN7rocprim17ROCPRIM_400000_NS6detail17trampoline_kernelINS0_14default_configENS1_38merge_sort_block_merge_config_selectorIhNS0_10empty_typeEEEZZNS1_27merge_sort_block_merge_implIS3_PhPS5_jNS1_19radix_merge_compareILb1ELb1EhNS0_19identity_decomposerEEEEE10hipError_tT0_T1_T2_jT3_P12ihipStream_tbPNSt15iterator_traitsISE_E10value_typeEPNSK_ISF_E10value_typeEPSG_NS1_7vsmem_tEENKUlT_SE_SF_SG_E_clIS8_S8_S9_S9_EESD_ST_SE_SF_SG_EUlST_E1_NS1_11comp_targetILNS1_3genE8ELNS1_11target_archE1030ELNS1_3gpuE2ELNS1_3repE0EEENS1_36merge_oddeven_config_static_selectorELNS0_4arch9wavefront6targetE0EEEvSF_
	.p2align	8
	.type	_ZN7rocprim17ROCPRIM_400000_NS6detail17trampoline_kernelINS0_14default_configENS1_38merge_sort_block_merge_config_selectorIhNS0_10empty_typeEEEZZNS1_27merge_sort_block_merge_implIS3_PhPS5_jNS1_19radix_merge_compareILb1ELb1EhNS0_19identity_decomposerEEEEE10hipError_tT0_T1_T2_jT3_P12ihipStream_tbPNSt15iterator_traitsISE_E10value_typeEPNSK_ISF_E10value_typeEPSG_NS1_7vsmem_tEENKUlT_SE_SF_SG_E_clIS8_S8_S9_S9_EESD_ST_SE_SF_SG_EUlST_E1_NS1_11comp_targetILNS1_3genE8ELNS1_11target_archE1030ELNS1_3gpuE2ELNS1_3repE0EEENS1_36merge_oddeven_config_static_selectorELNS0_4arch9wavefront6targetE0EEEvSF_,@function
_ZN7rocprim17ROCPRIM_400000_NS6detail17trampoline_kernelINS0_14default_configENS1_38merge_sort_block_merge_config_selectorIhNS0_10empty_typeEEEZZNS1_27merge_sort_block_merge_implIS3_PhPS5_jNS1_19radix_merge_compareILb1ELb1EhNS0_19identity_decomposerEEEEE10hipError_tT0_T1_T2_jT3_P12ihipStream_tbPNSt15iterator_traitsISE_E10value_typeEPNSK_ISF_E10value_typeEPSG_NS1_7vsmem_tEENKUlT_SE_SF_SG_E_clIS8_S8_S9_S9_EESD_ST_SE_SF_SG_EUlST_E1_NS1_11comp_targetILNS1_3genE8ELNS1_11target_archE1030ELNS1_3gpuE2ELNS1_3repE0EEENS1_36merge_oddeven_config_static_selectorELNS0_4arch9wavefront6targetE0EEEvSF_: ; @_ZN7rocprim17ROCPRIM_400000_NS6detail17trampoline_kernelINS0_14default_configENS1_38merge_sort_block_merge_config_selectorIhNS0_10empty_typeEEEZZNS1_27merge_sort_block_merge_implIS3_PhPS5_jNS1_19radix_merge_compareILb1ELb1EhNS0_19identity_decomposerEEEEE10hipError_tT0_T1_T2_jT3_P12ihipStream_tbPNSt15iterator_traitsISE_E10value_typeEPNSK_ISF_E10value_typeEPSG_NS1_7vsmem_tEENKUlT_SE_SF_SG_E_clIS8_S8_S9_S9_EESD_ST_SE_SF_SG_EUlST_E1_NS1_11comp_targetILNS1_3genE8ELNS1_11target_archE1030ELNS1_3gpuE2ELNS1_3repE0EEENS1_36merge_oddeven_config_static_selectorELNS0_4arch9wavefront6targetE0EEEvSF_
; %bb.0:
	.section	.rodata,"a",@progbits
	.p2align	6, 0x0
	.amdhsa_kernel _ZN7rocprim17ROCPRIM_400000_NS6detail17trampoline_kernelINS0_14default_configENS1_38merge_sort_block_merge_config_selectorIhNS0_10empty_typeEEEZZNS1_27merge_sort_block_merge_implIS3_PhPS5_jNS1_19radix_merge_compareILb1ELb1EhNS0_19identity_decomposerEEEEE10hipError_tT0_T1_T2_jT3_P12ihipStream_tbPNSt15iterator_traitsISE_E10value_typeEPNSK_ISF_E10value_typeEPSG_NS1_7vsmem_tEENKUlT_SE_SF_SG_E_clIS8_S8_S9_S9_EESD_ST_SE_SF_SG_EUlST_E1_NS1_11comp_targetILNS1_3genE8ELNS1_11target_archE1030ELNS1_3gpuE2ELNS1_3repE0EEENS1_36merge_oddeven_config_static_selectorELNS0_4arch9wavefront6targetE0EEEvSF_
		.amdhsa_group_segment_fixed_size 0
		.amdhsa_private_segment_fixed_size 0
		.amdhsa_kernarg_size 48
		.amdhsa_user_sgpr_count 2
		.amdhsa_user_sgpr_dispatch_ptr 0
		.amdhsa_user_sgpr_queue_ptr 0
		.amdhsa_user_sgpr_kernarg_segment_ptr 1
		.amdhsa_user_sgpr_dispatch_id 0
		.amdhsa_user_sgpr_kernarg_preload_length 0
		.amdhsa_user_sgpr_kernarg_preload_offset 0
		.amdhsa_user_sgpr_private_segment_size 0
		.amdhsa_wavefront_size32 1
		.amdhsa_uses_dynamic_stack 0
		.amdhsa_enable_private_segment 0
		.amdhsa_system_sgpr_workgroup_id_x 1
		.amdhsa_system_sgpr_workgroup_id_y 0
		.amdhsa_system_sgpr_workgroup_id_z 0
		.amdhsa_system_sgpr_workgroup_info 0
		.amdhsa_system_vgpr_workitem_id 0
		.amdhsa_next_free_vgpr 1
		.amdhsa_next_free_sgpr 1
		.amdhsa_named_barrier_count 0
		.amdhsa_reserve_vcc 0
		.amdhsa_float_round_mode_32 0
		.amdhsa_float_round_mode_16_64 0
		.amdhsa_float_denorm_mode_32 3
		.amdhsa_float_denorm_mode_16_64 3
		.amdhsa_fp16_overflow 0
		.amdhsa_memory_ordered 1
		.amdhsa_forward_progress 1
		.amdhsa_inst_pref_size 0
		.amdhsa_round_robin_scheduling 0
		.amdhsa_exception_fp_ieee_invalid_op 0
		.amdhsa_exception_fp_denorm_src 0
		.amdhsa_exception_fp_ieee_div_zero 0
		.amdhsa_exception_fp_ieee_overflow 0
		.amdhsa_exception_fp_ieee_underflow 0
		.amdhsa_exception_fp_ieee_inexact 0
		.amdhsa_exception_int_div_zero 0
	.end_amdhsa_kernel
	.section	.text._ZN7rocprim17ROCPRIM_400000_NS6detail17trampoline_kernelINS0_14default_configENS1_38merge_sort_block_merge_config_selectorIhNS0_10empty_typeEEEZZNS1_27merge_sort_block_merge_implIS3_PhPS5_jNS1_19radix_merge_compareILb1ELb1EhNS0_19identity_decomposerEEEEE10hipError_tT0_T1_T2_jT3_P12ihipStream_tbPNSt15iterator_traitsISE_E10value_typeEPNSK_ISF_E10value_typeEPSG_NS1_7vsmem_tEENKUlT_SE_SF_SG_E_clIS8_S8_S9_S9_EESD_ST_SE_SF_SG_EUlST_E1_NS1_11comp_targetILNS1_3genE8ELNS1_11target_archE1030ELNS1_3gpuE2ELNS1_3repE0EEENS1_36merge_oddeven_config_static_selectorELNS0_4arch9wavefront6targetE0EEEvSF_,"axG",@progbits,_ZN7rocprim17ROCPRIM_400000_NS6detail17trampoline_kernelINS0_14default_configENS1_38merge_sort_block_merge_config_selectorIhNS0_10empty_typeEEEZZNS1_27merge_sort_block_merge_implIS3_PhPS5_jNS1_19radix_merge_compareILb1ELb1EhNS0_19identity_decomposerEEEEE10hipError_tT0_T1_T2_jT3_P12ihipStream_tbPNSt15iterator_traitsISE_E10value_typeEPNSK_ISF_E10value_typeEPSG_NS1_7vsmem_tEENKUlT_SE_SF_SG_E_clIS8_S8_S9_S9_EESD_ST_SE_SF_SG_EUlST_E1_NS1_11comp_targetILNS1_3genE8ELNS1_11target_archE1030ELNS1_3gpuE2ELNS1_3repE0EEENS1_36merge_oddeven_config_static_selectorELNS0_4arch9wavefront6targetE0EEEvSF_,comdat
.Lfunc_end81:
	.size	_ZN7rocprim17ROCPRIM_400000_NS6detail17trampoline_kernelINS0_14default_configENS1_38merge_sort_block_merge_config_selectorIhNS0_10empty_typeEEEZZNS1_27merge_sort_block_merge_implIS3_PhPS5_jNS1_19radix_merge_compareILb1ELb1EhNS0_19identity_decomposerEEEEE10hipError_tT0_T1_T2_jT3_P12ihipStream_tbPNSt15iterator_traitsISE_E10value_typeEPNSK_ISF_E10value_typeEPSG_NS1_7vsmem_tEENKUlT_SE_SF_SG_E_clIS8_S8_S9_S9_EESD_ST_SE_SF_SG_EUlST_E1_NS1_11comp_targetILNS1_3genE8ELNS1_11target_archE1030ELNS1_3gpuE2ELNS1_3repE0EEENS1_36merge_oddeven_config_static_selectorELNS0_4arch9wavefront6targetE0EEEvSF_, .Lfunc_end81-_ZN7rocprim17ROCPRIM_400000_NS6detail17trampoline_kernelINS0_14default_configENS1_38merge_sort_block_merge_config_selectorIhNS0_10empty_typeEEEZZNS1_27merge_sort_block_merge_implIS3_PhPS5_jNS1_19radix_merge_compareILb1ELb1EhNS0_19identity_decomposerEEEEE10hipError_tT0_T1_T2_jT3_P12ihipStream_tbPNSt15iterator_traitsISE_E10value_typeEPNSK_ISF_E10value_typeEPSG_NS1_7vsmem_tEENKUlT_SE_SF_SG_E_clIS8_S8_S9_S9_EESD_ST_SE_SF_SG_EUlST_E1_NS1_11comp_targetILNS1_3genE8ELNS1_11target_archE1030ELNS1_3gpuE2ELNS1_3repE0EEENS1_36merge_oddeven_config_static_selectorELNS0_4arch9wavefront6targetE0EEEvSF_
                                        ; -- End function
	.set _ZN7rocprim17ROCPRIM_400000_NS6detail17trampoline_kernelINS0_14default_configENS1_38merge_sort_block_merge_config_selectorIhNS0_10empty_typeEEEZZNS1_27merge_sort_block_merge_implIS3_PhPS5_jNS1_19radix_merge_compareILb1ELb1EhNS0_19identity_decomposerEEEEE10hipError_tT0_T1_T2_jT3_P12ihipStream_tbPNSt15iterator_traitsISE_E10value_typeEPNSK_ISF_E10value_typeEPSG_NS1_7vsmem_tEENKUlT_SE_SF_SG_E_clIS8_S8_S9_S9_EESD_ST_SE_SF_SG_EUlST_E1_NS1_11comp_targetILNS1_3genE8ELNS1_11target_archE1030ELNS1_3gpuE2ELNS1_3repE0EEENS1_36merge_oddeven_config_static_selectorELNS0_4arch9wavefront6targetE0EEEvSF_.num_vgpr, 0
	.set _ZN7rocprim17ROCPRIM_400000_NS6detail17trampoline_kernelINS0_14default_configENS1_38merge_sort_block_merge_config_selectorIhNS0_10empty_typeEEEZZNS1_27merge_sort_block_merge_implIS3_PhPS5_jNS1_19radix_merge_compareILb1ELb1EhNS0_19identity_decomposerEEEEE10hipError_tT0_T1_T2_jT3_P12ihipStream_tbPNSt15iterator_traitsISE_E10value_typeEPNSK_ISF_E10value_typeEPSG_NS1_7vsmem_tEENKUlT_SE_SF_SG_E_clIS8_S8_S9_S9_EESD_ST_SE_SF_SG_EUlST_E1_NS1_11comp_targetILNS1_3genE8ELNS1_11target_archE1030ELNS1_3gpuE2ELNS1_3repE0EEENS1_36merge_oddeven_config_static_selectorELNS0_4arch9wavefront6targetE0EEEvSF_.num_agpr, 0
	.set _ZN7rocprim17ROCPRIM_400000_NS6detail17trampoline_kernelINS0_14default_configENS1_38merge_sort_block_merge_config_selectorIhNS0_10empty_typeEEEZZNS1_27merge_sort_block_merge_implIS3_PhPS5_jNS1_19radix_merge_compareILb1ELb1EhNS0_19identity_decomposerEEEEE10hipError_tT0_T1_T2_jT3_P12ihipStream_tbPNSt15iterator_traitsISE_E10value_typeEPNSK_ISF_E10value_typeEPSG_NS1_7vsmem_tEENKUlT_SE_SF_SG_E_clIS8_S8_S9_S9_EESD_ST_SE_SF_SG_EUlST_E1_NS1_11comp_targetILNS1_3genE8ELNS1_11target_archE1030ELNS1_3gpuE2ELNS1_3repE0EEENS1_36merge_oddeven_config_static_selectorELNS0_4arch9wavefront6targetE0EEEvSF_.numbered_sgpr, 0
	.set _ZN7rocprim17ROCPRIM_400000_NS6detail17trampoline_kernelINS0_14default_configENS1_38merge_sort_block_merge_config_selectorIhNS0_10empty_typeEEEZZNS1_27merge_sort_block_merge_implIS3_PhPS5_jNS1_19radix_merge_compareILb1ELb1EhNS0_19identity_decomposerEEEEE10hipError_tT0_T1_T2_jT3_P12ihipStream_tbPNSt15iterator_traitsISE_E10value_typeEPNSK_ISF_E10value_typeEPSG_NS1_7vsmem_tEENKUlT_SE_SF_SG_E_clIS8_S8_S9_S9_EESD_ST_SE_SF_SG_EUlST_E1_NS1_11comp_targetILNS1_3genE8ELNS1_11target_archE1030ELNS1_3gpuE2ELNS1_3repE0EEENS1_36merge_oddeven_config_static_selectorELNS0_4arch9wavefront6targetE0EEEvSF_.num_named_barrier, 0
	.set _ZN7rocprim17ROCPRIM_400000_NS6detail17trampoline_kernelINS0_14default_configENS1_38merge_sort_block_merge_config_selectorIhNS0_10empty_typeEEEZZNS1_27merge_sort_block_merge_implIS3_PhPS5_jNS1_19radix_merge_compareILb1ELb1EhNS0_19identity_decomposerEEEEE10hipError_tT0_T1_T2_jT3_P12ihipStream_tbPNSt15iterator_traitsISE_E10value_typeEPNSK_ISF_E10value_typeEPSG_NS1_7vsmem_tEENKUlT_SE_SF_SG_E_clIS8_S8_S9_S9_EESD_ST_SE_SF_SG_EUlST_E1_NS1_11comp_targetILNS1_3genE8ELNS1_11target_archE1030ELNS1_3gpuE2ELNS1_3repE0EEENS1_36merge_oddeven_config_static_selectorELNS0_4arch9wavefront6targetE0EEEvSF_.private_seg_size, 0
	.set _ZN7rocprim17ROCPRIM_400000_NS6detail17trampoline_kernelINS0_14default_configENS1_38merge_sort_block_merge_config_selectorIhNS0_10empty_typeEEEZZNS1_27merge_sort_block_merge_implIS3_PhPS5_jNS1_19radix_merge_compareILb1ELb1EhNS0_19identity_decomposerEEEEE10hipError_tT0_T1_T2_jT3_P12ihipStream_tbPNSt15iterator_traitsISE_E10value_typeEPNSK_ISF_E10value_typeEPSG_NS1_7vsmem_tEENKUlT_SE_SF_SG_E_clIS8_S8_S9_S9_EESD_ST_SE_SF_SG_EUlST_E1_NS1_11comp_targetILNS1_3genE8ELNS1_11target_archE1030ELNS1_3gpuE2ELNS1_3repE0EEENS1_36merge_oddeven_config_static_selectorELNS0_4arch9wavefront6targetE0EEEvSF_.uses_vcc, 0
	.set _ZN7rocprim17ROCPRIM_400000_NS6detail17trampoline_kernelINS0_14default_configENS1_38merge_sort_block_merge_config_selectorIhNS0_10empty_typeEEEZZNS1_27merge_sort_block_merge_implIS3_PhPS5_jNS1_19radix_merge_compareILb1ELb1EhNS0_19identity_decomposerEEEEE10hipError_tT0_T1_T2_jT3_P12ihipStream_tbPNSt15iterator_traitsISE_E10value_typeEPNSK_ISF_E10value_typeEPSG_NS1_7vsmem_tEENKUlT_SE_SF_SG_E_clIS8_S8_S9_S9_EESD_ST_SE_SF_SG_EUlST_E1_NS1_11comp_targetILNS1_3genE8ELNS1_11target_archE1030ELNS1_3gpuE2ELNS1_3repE0EEENS1_36merge_oddeven_config_static_selectorELNS0_4arch9wavefront6targetE0EEEvSF_.uses_flat_scratch, 0
	.set _ZN7rocprim17ROCPRIM_400000_NS6detail17trampoline_kernelINS0_14default_configENS1_38merge_sort_block_merge_config_selectorIhNS0_10empty_typeEEEZZNS1_27merge_sort_block_merge_implIS3_PhPS5_jNS1_19radix_merge_compareILb1ELb1EhNS0_19identity_decomposerEEEEE10hipError_tT0_T1_T2_jT3_P12ihipStream_tbPNSt15iterator_traitsISE_E10value_typeEPNSK_ISF_E10value_typeEPSG_NS1_7vsmem_tEENKUlT_SE_SF_SG_E_clIS8_S8_S9_S9_EESD_ST_SE_SF_SG_EUlST_E1_NS1_11comp_targetILNS1_3genE8ELNS1_11target_archE1030ELNS1_3gpuE2ELNS1_3repE0EEENS1_36merge_oddeven_config_static_selectorELNS0_4arch9wavefront6targetE0EEEvSF_.has_dyn_sized_stack, 0
	.set _ZN7rocprim17ROCPRIM_400000_NS6detail17trampoline_kernelINS0_14default_configENS1_38merge_sort_block_merge_config_selectorIhNS0_10empty_typeEEEZZNS1_27merge_sort_block_merge_implIS3_PhPS5_jNS1_19radix_merge_compareILb1ELb1EhNS0_19identity_decomposerEEEEE10hipError_tT0_T1_T2_jT3_P12ihipStream_tbPNSt15iterator_traitsISE_E10value_typeEPNSK_ISF_E10value_typeEPSG_NS1_7vsmem_tEENKUlT_SE_SF_SG_E_clIS8_S8_S9_S9_EESD_ST_SE_SF_SG_EUlST_E1_NS1_11comp_targetILNS1_3genE8ELNS1_11target_archE1030ELNS1_3gpuE2ELNS1_3repE0EEENS1_36merge_oddeven_config_static_selectorELNS0_4arch9wavefront6targetE0EEEvSF_.has_recursion, 0
	.set _ZN7rocprim17ROCPRIM_400000_NS6detail17trampoline_kernelINS0_14default_configENS1_38merge_sort_block_merge_config_selectorIhNS0_10empty_typeEEEZZNS1_27merge_sort_block_merge_implIS3_PhPS5_jNS1_19radix_merge_compareILb1ELb1EhNS0_19identity_decomposerEEEEE10hipError_tT0_T1_T2_jT3_P12ihipStream_tbPNSt15iterator_traitsISE_E10value_typeEPNSK_ISF_E10value_typeEPSG_NS1_7vsmem_tEENKUlT_SE_SF_SG_E_clIS8_S8_S9_S9_EESD_ST_SE_SF_SG_EUlST_E1_NS1_11comp_targetILNS1_3genE8ELNS1_11target_archE1030ELNS1_3gpuE2ELNS1_3repE0EEENS1_36merge_oddeven_config_static_selectorELNS0_4arch9wavefront6targetE0EEEvSF_.has_indirect_call, 0
	.section	.AMDGPU.csdata,"",@progbits
; Kernel info:
; codeLenInByte = 0
; TotalNumSgprs: 0
; NumVgprs: 0
; ScratchSize: 0
; MemoryBound: 0
; FloatMode: 240
; IeeeMode: 1
; LDSByteSize: 0 bytes/workgroup (compile time only)
; SGPRBlocks: 0
; VGPRBlocks: 0
; NumSGPRsForWavesPerEU: 1
; NumVGPRsForWavesPerEU: 1
; NamedBarCnt: 0
; Occupancy: 16
; WaveLimiterHint : 0
; COMPUTE_PGM_RSRC2:SCRATCH_EN: 0
; COMPUTE_PGM_RSRC2:USER_SGPR: 2
; COMPUTE_PGM_RSRC2:TRAP_HANDLER: 0
; COMPUTE_PGM_RSRC2:TGID_X_EN: 1
; COMPUTE_PGM_RSRC2:TGID_Y_EN: 0
; COMPUTE_PGM_RSRC2:TGID_Z_EN: 0
; COMPUTE_PGM_RSRC2:TIDIG_COMP_CNT: 0
	.section	.text._ZN7rocprim17ROCPRIM_400000_NS6detail17trampoline_kernelINS0_14default_configENS1_35radix_sort_onesweep_config_selectorIhNS0_10empty_typeEEEZNS1_34radix_sort_onesweep_global_offsetsIS3_Lb1EPKhPS5_mNS0_19identity_decomposerEEE10hipError_tT1_T2_PT3_SF_jT4_jjP12ihipStream_tbEUlT_E_NS1_11comp_targetILNS1_3genE0ELNS1_11target_archE4294967295ELNS1_3gpuE0ELNS1_3repE0EEENS1_52radix_sort_onesweep_histogram_config_static_selectorELNS0_4arch9wavefront6targetE0EEEvSD_,"axG",@progbits,_ZN7rocprim17ROCPRIM_400000_NS6detail17trampoline_kernelINS0_14default_configENS1_35radix_sort_onesweep_config_selectorIhNS0_10empty_typeEEEZNS1_34radix_sort_onesweep_global_offsetsIS3_Lb1EPKhPS5_mNS0_19identity_decomposerEEE10hipError_tT1_T2_PT3_SF_jT4_jjP12ihipStream_tbEUlT_E_NS1_11comp_targetILNS1_3genE0ELNS1_11target_archE4294967295ELNS1_3gpuE0ELNS1_3repE0EEENS1_52radix_sort_onesweep_histogram_config_static_selectorELNS0_4arch9wavefront6targetE0EEEvSD_,comdat
	.protected	_ZN7rocprim17ROCPRIM_400000_NS6detail17trampoline_kernelINS0_14default_configENS1_35radix_sort_onesweep_config_selectorIhNS0_10empty_typeEEEZNS1_34radix_sort_onesweep_global_offsetsIS3_Lb1EPKhPS5_mNS0_19identity_decomposerEEE10hipError_tT1_T2_PT3_SF_jT4_jjP12ihipStream_tbEUlT_E_NS1_11comp_targetILNS1_3genE0ELNS1_11target_archE4294967295ELNS1_3gpuE0ELNS1_3repE0EEENS1_52radix_sort_onesweep_histogram_config_static_selectorELNS0_4arch9wavefront6targetE0EEEvSD_ ; -- Begin function _ZN7rocprim17ROCPRIM_400000_NS6detail17trampoline_kernelINS0_14default_configENS1_35radix_sort_onesweep_config_selectorIhNS0_10empty_typeEEEZNS1_34radix_sort_onesweep_global_offsetsIS3_Lb1EPKhPS5_mNS0_19identity_decomposerEEE10hipError_tT1_T2_PT3_SF_jT4_jjP12ihipStream_tbEUlT_E_NS1_11comp_targetILNS1_3genE0ELNS1_11target_archE4294967295ELNS1_3gpuE0ELNS1_3repE0EEENS1_52radix_sort_onesweep_histogram_config_static_selectorELNS0_4arch9wavefront6targetE0EEEvSD_
	.globl	_ZN7rocprim17ROCPRIM_400000_NS6detail17trampoline_kernelINS0_14default_configENS1_35radix_sort_onesweep_config_selectorIhNS0_10empty_typeEEEZNS1_34radix_sort_onesweep_global_offsetsIS3_Lb1EPKhPS5_mNS0_19identity_decomposerEEE10hipError_tT1_T2_PT3_SF_jT4_jjP12ihipStream_tbEUlT_E_NS1_11comp_targetILNS1_3genE0ELNS1_11target_archE4294967295ELNS1_3gpuE0ELNS1_3repE0EEENS1_52radix_sort_onesweep_histogram_config_static_selectorELNS0_4arch9wavefront6targetE0EEEvSD_
	.p2align	8
	.type	_ZN7rocprim17ROCPRIM_400000_NS6detail17trampoline_kernelINS0_14default_configENS1_35radix_sort_onesweep_config_selectorIhNS0_10empty_typeEEEZNS1_34radix_sort_onesweep_global_offsetsIS3_Lb1EPKhPS5_mNS0_19identity_decomposerEEE10hipError_tT1_T2_PT3_SF_jT4_jjP12ihipStream_tbEUlT_E_NS1_11comp_targetILNS1_3genE0ELNS1_11target_archE4294967295ELNS1_3gpuE0ELNS1_3repE0EEENS1_52radix_sort_onesweep_histogram_config_static_selectorELNS0_4arch9wavefront6targetE0EEEvSD_,@function
_ZN7rocprim17ROCPRIM_400000_NS6detail17trampoline_kernelINS0_14default_configENS1_35radix_sort_onesweep_config_selectorIhNS0_10empty_typeEEEZNS1_34radix_sort_onesweep_global_offsetsIS3_Lb1EPKhPS5_mNS0_19identity_decomposerEEE10hipError_tT1_T2_PT3_SF_jT4_jjP12ihipStream_tbEUlT_E_NS1_11comp_targetILNS1_3genE0ELNS1_11target_archE4294967295ELNS1_3gpuE0ELNS1_3repE0EEENS1_52radix_sort_onesweep_histogram_config_static_selectorELNS0_4arch9wavefront6targetE0EEEvSD_: ; @_ZN7rocprim17ROCPRIM_400000_NS6detail17trampoline_kernelINS0_14default_configENS1_35radix_sort_onesweep_config_selectorIhNS0_10empty_typeEEEZNS1_34radix_sort_onesweep_global_offsetsIS3_Lb1EPKhPS5_mNS0_19identity_decomposerEEE10hipError_tT1_T2_PT3_SF_jT4_jjP12ihipStream_tbEUlT_E_NS1_11comp_targetILNS1_3genE0ELNS1_11target_archE4294967295ELNS1_3gpuE0ELNS1_3repE0EEENS1_52radix_sort_onesweep_histogram_config_static_selectorELNS0_4arch9wavefront6targetE0EEEvSD_
; %bb.0:
	s_clause 0x1
	s_load_b64 s[8:9], s[0:1], 0x18
	s_load_b128 s[4:7], s[0:1], 0x0
	s_bfe_u32 s10, ttmp6, 0x4000c
	s_load_b64 s[2:3], s[0:1], 0x24
	s_add_co_i32 s10, s10, 1
	s_and_b32 s11, ttmp6, 15
	s_mul_i32 s10, ttmp9, s10
	s_getreg_b32 s12, hwreg(HW_REG_IB_STS2, 6, 4)
	s_add_co_i32 s10, s11, s10
	s_cmp_eq_u32 s12, 0
	s_mov_b32 s11, 0
	s_cselect_b32 s10, ttmp9, s10
	v_and_b32_e32 v1, 3, v0
	s_wait_kmcnt 0x0
	v_cmp_le_u64_e64 s9, s[8:9], s[10:11]
	s_mul_u64 s[10:11], s[10:11], 0x5800
	s_delay_alu instid0(SALU_CYCLE_1)
	s_add_nc_u64 s[4:5], s[4:5], s[10:11]
	s_and_b32 vcc_lo, exec_lo, s9
	s_mov_b32 s9, -1
	s_cbranch_vccz .LBB82_207
; %bb.1:
	s_load_b32 s1, s[0:1], 0x10
	v_dual_mov_b32 v21, 0 :: v_dual_mov_b32 v23, 0
	v_dual_mov_b32 v20, 0 :: v_dual_mov_b32 v19, 0
	;; [unrolled: 1-line block ×10, first 2 shown]
	v_mov_b32_e32 v2, 0
	s_wait_xcnt 0x0
	s_mul_i32 s0, s8, 0xffffa800
	s_wait_kmcnt 0x0
	s_add_co_i32 s1, s1, s0
	s_mov_b32 s0, exec_lo
	v_cmpx_gt_u32_e64 s1, v0
	s_cbranch_execz .LBB82_3
; %bb.2:
	global_load_u8 v23, v0, s[4:5]
	v_dual_mov_b32 v20, 0 :: v_dual_mov_b32 v19, 0
	v_dual_mov_b32 v18, 0 :: v_dual_mov_b32 v17, 0
	;; [unrolled: 1-line block ×9, first 2 shown]
	v_mov_b32_e32 v2, 0
.LBB82_3:
	s_wait_xcnt 0x0
	s_or_b32 exec_lo, exec_lo, s0
	v_or_b32_e32 v22, 0x400, v0
	v_mov_b32_e32 v24, v21
	s_mov_b32 s0, exec_lo
	s_delay_alu instid0(VALU_DEP_2)
	v_cmpx_gt_u32_e64 s1, v22
	s_cbranch_execz .LBB82_5
; %bb.4:
	global_load_u8 v24, v0, s[4:5] offset:1024
.LBB82_5:
	s_wait_xcnt 0x0
	s_or_b32 exec_lo, exec_lo, s0
	v_or_b32_e32 v25, 0x800, v0
	s_mov_b32 s0, exec_lo
	s_delay_alu instid0(VALU_DEP_1)
	v_cmpx_gt_u32_e64 s1, v25
	s_cbranch_execz .LBB82_7
; %bb.6:
	global_load_u8 v21, v0, s[4:5] offset:2048
.LBB82_7:
	s_wait_xcnt 0x0
	s_or_b32 exec_lo, exec_lo, s0
	v_or_b32_e32 v26, 0xc00, v0
	s_mov_b32 s0, exec_lo
	s_delay_alu instid0(VALU_DEP_1)
	;; [unrolled: 10-line block ×20, first 2 shown]
	v_cmpx_gt_u32_e64 s1, v44
	s_cbranch_execz .LBB82_45
; %bb.44:
	global_load_u8 v2, v0, s[4:5] offset:21504
.LBB82_45:
	s_wait_xcnt 0x0
	s_or_b32 exec_lo, exec_lo, s0
	s_delay_alu instid0(SALU_CYCLE_1)
	s_mov_b32 s0, exec_lo
	v_cmpx_gt_u32_e32 0x80, v0
; %bb.46:
	v_dual_mov_b32 v46, 0 :: v_dual_lshlrev_b32 v45, 2, v0
	ds_store_b32 v45, v46
; %bb.47:
	s_or_b32 exec_lo, exec_lo, s0
	s_cmp_le_u32 s3, s2
	v_cmp_le_u32_e32 vcc_lo, s1, v0
	s_cselect_b32 s8, -1, 0
	s_wait_loadcnt_dscnt 0x0
	s_and_b32 s0, s8, exec_lo
	s_cselect_b32 s9, 8, 10
	s_delay_alu instid0(SALU_CYCLE_1) | instskip(SKIP_3) | instid1(VALU_DEP_1)
	v_dual_mov_b32 v45, s9 :: v_dual_bitop2_b32 v23, -1, v23 bitop3:0x14
	s_nor_b32 s10, s8, vcc_lo
	s_barrier_signal -1
	s_barrier_wait -1
	v_and_b32_e32 v23, 0xff, v23
	s_and_saveexec_b32 s0, s10
	s_cbranch_execz .LBB82_49
; %bb.48:
	s_delay_alu instid0(VALU_DEP_1) | instskip(SKIP_1) | instid1(SALU_CYCLE_1)
	v_dual_lshrrev_b32 v45, s2, v23 :: v_dual_lshlrev_b32 v46, 2, v1
	s_sub_co_i32 s10, s3, s2
	s_min_u32 s10, s10, 4
	s_delay_alu instid0(VALU_DEP_1) | instid1(SALU_CYCLE_1)
	v_bfe_u32 v45, v45, 0, s10
	s_delay_alu instid0(VALU_DEP_1)
	v_lshl_or_b32 v45, v45, 4, v46
	v_mov_b32_e32 v46, 1
	ds_add_u32 v45, v46
	v_mov_b32_e32 v45, 0
.LBB82_49:
	s_or_b32 exec_lo, exec_lo, s0
	s_mov_b32 s10, -1
	s_mov_b32 s11, exec_lo
	s_delay_alu instid0(VALU_DEP_1)
	v_cmpx_gt_i32_e32 10, v45
; %bb.50:
	v_cmp_eq_u32_e64 s0, 0, v45
	s_or_not1_b32 s10, s0, exec_lo
; %bb.51:
	s_or_b32 exec_lo, exec_lo, s11
	s_and_saveexec_b32 s0, s10
	s_cbranch_execz .LBB82_54
; %bb.52:
	s_add_co_i32 s10, s2, 4
	s_delay_alu instid0(SALU_CYCLE_1) | instskip(SKIP_2) | instid1(SALU_CYCLE_1)
	s_cmp_gt_u32 s3, s10
	s_cselect_b32 s11, -1, 0
	s_xor_b32 s12, vcc_lo, -1
	s_and_b32 s11, s11, s12
	s_delay_alu instid0(SALU_CYCLE_1)
	s_and_b32 exec_lo, exec_lo, s11
	s_cbranch_execz .LBB82_54
; %bb.53:
	v_dual_lshrrev_b32 v23, s10, v23 :: v_dual_lshlrev_b32 v45, 2, v1
	s_sub_co_i32 s10, s3, s10
	s_delay_alu instid0(SALU_CYCLE_1)
	s_min_u32 s10, s10, 4
	s_delay_alu instid0(VALU_DEP_1) | instid1(SALU_CYCLE_1)
	v_bfe_u32 v23, v23, 0, s10
	s_delay_alu instid0(VALU_DEP_1)
	v_lshl_or_b32 v23, v23, 4, v45
	v_mov_b32_e32 v45, 1
	ds_add_u32 v23, v45 offset:256
.LBB82_54:
	s_or_b32 exec_lo, exec_lo, s0
	v_xor_b32_e32 v23, -1, v24
	v_cmp_le_u32_e32 vcc_lo, s1, v22
	s_delay_alu instid0(VALU_DEP_2) | instskip(SKIP_2) | instid1(SALU_CYCLE_1)
	v_and_b32_e32 v22, 0xff, v23
	v_mov_b32_e32 v23, s9
	s_nor_b32 s10, s8, vcc_lo
	s_and_saveexec_b32 s0, s10
	s_cbranch_execz .LBB82_56
; %bb.55:
	v_dual_lshrrev_b32 v23, s2, v22 :: v_dual_lshlrev_b32 v24, 2, v1
	s_sub_co_i32 s10, s3, s2
	s_delay_alu instid0(SALU_CYCLE_1)
	s_min_u32 s10, s10, 4
	s_delay_alu instid0(VALU_DEP_1) | instid1(SALU_CYCLE_1)
	v_bfe_u32 v23, v23, 0, s10
	s_delay_alu instid0(VALU_DEP_1)
	v_lshl_or_b32 v23, v23, 4, v24
	v_mov_b32_e32 v24, 1
	ds_add_u32 v23, v24
	v_mov_b32_e32 v23, 0
.LBB82_56:
	s_or_b32 exec_lo, exec_lo, s0
	s_mov_b32 s10, -1
	s_mov_b32 s11, exec_lo
	s_delay_alu instid0(VALU_DEP_1)
	v_cmpx_gt_i32_e32 10, v23
; %bb.57:
	v_cmp_eq_u32_e64 s0, 0, v23
	s_or_not1_b32 s10, s0, exec_lo
; %bb.58:
	s_or_b32 exec_lo, exec_lo, s11
	s_and_saveexec_b32 s0, s10
	s_cbranch_execz .LBB82_61
; %bb.59:
	s_add_co_i32 s10, s2, 4
	s_delay_alu instid0(SALU_CYCLE_1) | instskip(SKIP_2) | instid1(SALU_CYCLE_1)
	s_cmp_gt_u32 s3, s10
	s_cselect_b32 s11, -1, 0
	s_xor_b32 s12, vcc_lo, -1
	s_and_b32 s11, s11, s12
	s_delay_alu instid0(SALU_CYCLE_1)
	s_and_b32 exec_lo, exec_lo, s11
	s_cbranch_execz .LBB82_61
; %bb.60:
	v_dual_lshrrev_b32 v22, s10, v22 :: v_dual_lshlrev_b32 v23, 2, v1
	s_sub_co_i32 s10, s3, s10
	s_delay_alu instid0(SALU_CYCLE_1)
	s_min_u32 s10, s10, 4
	s_delay_alu instid0(VALU_DEP_1) | instid1(SALU_CYCLE_1)
	v_bfe_u32 v22, v22, 0, s10
	s_delay_alu instid0(VALU_DEP_1)
	v_lshl_or_b32 v22, v22, 4, v23
	v_mov_b32_e32 v23, 1
	ds_add_u32 v22, v23 offset:256
.LBB82_61:
	s_or_b32 exec_lo, exec_lo, s0
	v_dual_mov_b32 v22, s9 :: v_dual_bitop2_b32 v21, -1, v21 bitop3:0x14
	v_cmp_le_u32_e32 vcc_lo, s1, v25
	s_delay_alu instid0(VALU_DEP_2) | instskip(SKIP_1) | instid1(SALU_CYCLE_1)
	v_and_b32_e32 v21, 0xff, v21
	s_nor_b32 s10, s8, vcc_lo
	s_and_saveexec_b32 s0, s10
	s_cbranch_execz .LBB82_63
; %bb.62:
	s_delay_alu instid0(VALU_DEP_1)
	v_lshrrev_b32_e32 v22, s2, v21
	s_sub_co_i32 s10, s3, s2
	v_lshlrev_b32_e32 v23, 2, v1
	s_min_u32 s10, s10, 4
	s_delay_alu instid0(VALU_DEP_2) | instid1(SALU_CYCLE_1)
	v_bfe_u32 v22, v22, 0, s10
	s_delay_alu instid0(VALU_DEP_1)
	v_lshl_or_b32 v22, v22, 4, v23
	v_mov_b32_e32 v23, 1
	ds_add_u32 v22, v23
	v_mov_b32_e32 v22, 0
.LBB82_63:
	s_or_b32 exec_lo, exec_lo, s0
	s_mov_b32 s10, -1
	s_mov_b32 s11, exec_lo
	s_delay_alu instid0(VALU_DEP_1)
	v_cmpx_gt_i32_e32 10, v22
; %bb.64:
	v_cmp_eq_u32_e64 s0, 0, v22
	s_or_not1_b32 s10, s0, exec_lo
; %bb.65:
	s_or_b32 exec_lo, exec_lo, s11
	s_and_saveexec_b32 s0, s10
	s_cbranch_execz .LBB82_68
; %bb.66:
	s_add_co_i32 s10, s2, 4
	s_delay_alu instid0(SALU_CYCLE_1) | instskip(SKIP_2) | instid1(SALU_CYCLE_1)
	s_cmp_gt_u32 s3, s10
	s_cselect_b32 s11, -1, 0
	s_xor_b32 s12, vcc_lo, -1
	s_and_b32 s11, s11, s12
	s_delay_alu instid0(SALU_CYCLE_1)
	s_and_b32 exec_lo, exec_lo, s11
	s_cbranch_execz .LBB82_68
; %bb.67:
	v_lshrrev_b32_e32 v21, s10, v21
	s_sub_co_i32 s10, s3, s10
	v_lshlrev_b32_e32 v22, 2, v1
	s_min_u32 s10, s10, 4
	s_delay_alu instid0(VALU_DEP_2) | instid1(SALU_CYCLE_1)
	v_bfe_u32 v21, v21, 0, s10
	s_delay_alu instid0(VALU_DEP_1)
	v_lshl_or_b32 v21, v21, 4, v22
	v_mov_b32_e32 v22, 1
	ds_add_u32 v21, v22 offset:256
.LBB82_68:
	s_or_b32 exec_lo, exec_lo, s0
	v_dual_mov_b32 v21, s9 :: v_dual_bitop2_b32 v20, -1, v20 bitop3:0x14
	v_cmp_le_u32_e32 vcc_lo, s1, v26
	s_delay_alu instid0(VALU_DEP_2) | instskip(SKIP_1) | instid1(SALU_CYCLE_1)
	v_and_b32_e32 v20, 0xff, v20
	s_nor_b32 s10, s8, vcc_lo
	s_and_saveexec_b32 s0, s10
	s_cbranch_execz .LBB82_70
; %bb.69:
	s_delay_alu instid0(VALU_DEP_1) | instskip(SKIP_1) | instid1(SALU_CYCLE_1)
	v_dual_lshrrev_b32 v21, s2, v20 :: v_dual_lshlrev_b32 v22, 2, v1
	s_sub_co_i32 s10, s3, s2
	s_min_u32 s10, s10, 4
	s_delay_alu instid0(VALU_DEP_1) | instid1(SALU_CYCLE_1)
	v_bfe_u32 v21, v21, 0, s10
	s_delay_alu instid0(VALU_DEP_1)
	v_lshl_or_b32 v21, v21, 4, v22
	v_mov_b32_e32 v22, 1
	ds_add_u32 v21, v22
	v_mov_b32_e32 v21, 0
.LBB82_70:
	s_or_b32 exec_lo, exec_lo, s0
	s_mov_b32 s10, -1
	s_mov_b32 s11, exec_lo
	s_delay_alu instid0(VALU_DEP_1)
	v_cmpx_gt_i32_e32 10, v21
; %bb.71:
	v_cmp_eq_u32_e64 s0, 0, v21
	s_or_not1_b32 s10, s0, exec_lo
; %bb.72:
	s_or_b32 exec_lo, exec_lo, s11
	s_and_saveexec_b32 s0, s10
	s_cbranch_execz .LBB82_75
; %bb.73:
	s_add_co_i32 s10, s2, 4
	s_delay_alu instid0(SALU_CYCLE_1) | instskip(SKIP_2) | instid1(SALU_CYCLE_1)
	s_cmp_gt_u32 s3, s10
	s_cselect_b32 s11, -1, 0
	s_xor_b32 s12, vcc_lo, -1
	s_and_b32 s11, s11, s12
	s_delay_alu instid0(SALU_CYCLE_1)
	s_and_b32 exec_lo, exec_lo, s11
	s_cbranch_execz .LBB82_75
; %bb.74:
	v_dual_lshrrev_b32 v20, s10, v20 :: v_dual_lshlrev_b32 v21, 2, v1
	s_sub_co_i32 s10, s3, s10
	s_delay_alu instid0(SALU_CYCLE_1)
	s_min_u32 s10, s10, 4
	s_delay_alu instid0(VALU_DEP_1) | instid1(SALU_CYCLE_1)
	v_bfe_u32 v20, v20, 0, s10
	s_delay_alu instid0(VALU_DEP_1)
	v_lshl_or_b32 v20, v20, 4, v21
	v_mov_b32_e32 v21, 1
	ds_add_u32 v20, v21 offset:256
.LBB82_75:
	s_or_b32 exec_lo, exec_lo, s0
	v_dual_mov_b32 v20, s9 :: v_dual_bitop2_b32 v19, -1, v19 bitop3:0x14
	v_cmp_le_u32_e32 vcc_lo, s1, v27
	s_delay_alu instid0(VALU_DEP_2) | instskip(SKIP_1) | instid1(SALU_CYCLE_1)
	v_and_b32_e32 v19, 0xff, v19
	s_nor_b32 s10, s8, vcc_lo
	s_and_saveexec_b32 s0, s10
	s_cbranch_execz .LBB82_77
; %bb.76:
	s_delay_alu instid0(VALU_DEP_1) | instskip(SKIP_1) | instid1(SALU_CYCLE_1)
	v_dual_lshrrev_b32 v20, s2, v19 :: v_dual_lshlrev_b32 v21, 2, v1
	s_sub_co_i32 s10, s3, s2
	s_min_u32 s10, s10, 4
	s_delay_alu instid0(VALU_DEP_1) | instid1(SALU_CYCLE_1)
	v_bfe_u32 v20, v20, 0, s10
	s_delay_alu instid0(VALU_DEP_1)
	v_lshl_or_b32 v20, v20, 4, v21
	v_mov_b32_e32 v21, 1
	ds_add_u32 v20, v21
	v_mov_b32_e32 v20, 0
.LBB82_77:
	s_or_b32 exec_lo, exec_lo, s0
	s_mov_b32 s10, -1
	s_mov_b32 s11, exec_lo
	s_delay_alu instid0(VALU_DEP_1)
	v_cmpx_gt_i32_e32 10, v20
; %bb.78:
	v_cmp_eq_u32_e64 s0, 0, v20
	s_or_not1_b32 s10, s0, exec_lo
; %bb.79:
	s_or_b32 exec_lo, exec_lo, s11
	s_and_saveexec_b32 s0, s10
	s_cbranch_execz .LBB82_82
; %bb.80:
	s_add_co_i32 s10, s2, 4
	s_delay_alu instid0(SALU_CYCLE_1) | instskip(SKIP_2) | instid1(SALU_CYCLE_1)
	s_cmp_gt_u32 s3, s10
	s_cselect_b32 s11, -1, 0
	s_xor_b32 s12, vcc_lo, -1
	s_and_b32 s11, s11, s12
	s_delay_alu instid0(SALU_CYCLE_1)
	s_and_b32 exec_lo, exec_lo, s11
	s_cbranch_execz .LBB82_82
; %bb.81:
	v_dual_lshrrev_b32 v19, s10, v19 :: v_dual_lshlrev_b32 v20, 2, v1
	s_sub_co_i32 s10, s3, s10
	s_delay_alu instid0(SALU_CYCLE_1)
	s_min_u32 s10, s10, 4
	s_delay_alu instid0(VALU_DEP_1) | instid1(SALU_CYCLE_1)
	v_bfe_u32 v19, v19, 0, s10
	s_delay_alu instid0(VALU_DEP_1)
	v_lshl_or_b32 v19, v19, 4, v20
	v_mov_b32_e32 v20, 1
	ds_add_u32 v19, v20 offset:256
.LBB82_82:
	;; [unrolled: 55-line block ×3, first 2 shown]
	s_or_b32 exec_lo, exec_lo, s0
	v_dual_mov_b32 v18, s9 :: v_dual_bitop2_b32 v17, -1, v17 bitop3:0x14
	v_cmp_le_u32_e32 vcc_lo, s1, v29
	s_delay_alu instid0(VALU_DEP_2) | instskip(SKIP_1) | instid1(SALU_CYCLE_1)
	v_and_b32_e32 v17, 0xff, v17
	s_nor_b32 s10, s8, vcc_lo
	s_and_saveexec_b32 s0, s10
	s_cbranch_execz .LBB82_91
; %bb.90:
	s_delay_alu instid0(VALU_DEP_1)
	v_lshrrev_b32_e32 v18, s2, v17
	s_sub_co_i32 s10, s3, s2
	v_lshlrev_b32_e32 v19, 2, v1
	s_min_u32 s10, s10, 4
	s_delay_alu instid0(VALU_DEP_2) | instid1(SALU_CYCLE_1)
	v_bfe_u32 v18, v18, 0, s10
	s_delay_alu instid0(VALU_DEP_1)
	v_lshl_or_b32 v18, v18, 4, v19
	v_mov_b32_e32 v19, 1
	ds_add_u32 v18, v19
	v_mov_b32_e32 v18, 0
.LBB82_91:
	s_or_b32 exec_lo, exec_lo, s0
	s_mov_b32 s10, -1
	s_mov_b32 s11, exec_lo
	s_delay_alu instid0(VALU_DEP_1)
	v_cmpx_gt_i32_e32 10, v18
; %bb.92:
	v_cmp_eq_u32_e64 s0, 0, v18
	s_or_not1_b32 s10, s0, exec_lo
; %bb.93:
	s_or_b32 exec_lo, exec_lo, s11
	s_and_saveexec_b32 s0, s10
	s_cbranch_execz .LBB82_96
; %bb.94:
	s_add_co_i32 s10, s2, 4
	s_delay_alu instid0(SALU_CYCLE_1) | instskip(SKIP_2) | instid1(SALU_CYCLE_1)
	s_cmp_gt_u32 s3, s10
	s_cselect_b32 s11, -1, 0
	s_xor_b32 s12, vcc_lo, -1
	s_and_b32 s11, s11, s12
	s_delay_alu instid0(SALU_CYCLE_1)
	s_and_b32 exec_lo, exec_lo, s11
	s_cbranch_execz .LBB82_96
; %bb.95:
	v_lshrrev_b32_e32 v17, s10, v17
	s_sub_co_i32 s10, s3, s10
	v_lshlrev_b32_e32 v18, 2, v1
	s_min_u32 s10, s10, 4
	s_delay_alu instid0(VALU_DEP_2) | instid1(SALU_CYCLE_1)
	v_bfe_u32 v17, v17, 0, s10
	s_delay_alu instid0(VALU_DEP_1)
	v_lshl_or_b32 v17, v17, 4, v18
	v_mov_b32_e32 v18, 1
	ds_add_u32 v17, v18 offset:256
.LBB82_96:
	s_or_b32 exec_lo, exec_lo, s0
	v_dual_mov_b32 v17, s9 :: v_dual_bitop2_b32 v16, -1, v16 bitop3:0x14
	v_cmp_le_u32_e32 vcc_lo, s1, v30
	s_delay_alu instid0(VALU_DEP_2) | instskip(SKIP_1) | instid1(SALU_CYCLE_1)
	v_and_b32_e32 v16, 0xff, v16
	s_nor_b32 s10, s8, vcc_lo
	s_and_saveexec_b32 s0, s10
	s_cbranch_execz .LBB82_98
; %bb.97:
	s_delay_alu instid0(VALU_DEP_1) | instskip(SKIP_1) | instid1(SALU_CYCLE_1)
	v_dual_lshrrev_b32 v17, s2, v16 :: v_dual_lshlrev_b32 v18, 2, v1
	s_sub_co_i32 s10, s3, s2
	s_min_u32 s10, s10, 4
	s_delay_alu instid0(VALU_DEP_1) | instid1(SALU_CYCLE_1)
	v_bfe_u32 v17, v17, 0, s10
	s_delay_alu instid0(VALU_DEP_1)
	v_lshl_or_b32 v17, v17, 4, v18
	v_mov_b32_e32 v18, 1
	ds_add_u32 v17, v18
	v_mov_b32_e32 v17, 0
.LBB82_98:
	s_or_b32 exec_lo, exec_lo, s0
	s_mov_b32 s10, -1
	s_mov_b32 s11, exec_lo
	s_delay_alu instid0(VALU_DEP_1)
	v_cmpx_gt_i32_e32 10, v17
; %bb.99:
	v_cmp_eq_u32_e64 s0, 0, v17
	s_or_not1_b32 s10, s0, exec_lo
; %bb.100:
	s_or_b32 exec_lo, exec_lo, s11
	s_and_saveexec_b32 s0, s10
	s_cbranch_execz .LBB82_103
; %bb.101:
	s_add_co_i32 s10, s2, 4
	s_delay_alu instid0(SALU_CYCLE_1) | instskip(SKIP_2) | instid1(SALU_CYCLE_1)
	s_cmp_gt_u32 s3, s10
	s_cselect_b32 s11, -1, 0
	s_xor_b32 s12, vcc_lo, -1
	s_and_b32 s11, s11, s12
	s_delay_alu instid0(SALU_CYCLE_1)
	s_and_b32 exec_lo, exec_lo, s11
	s_cbranch_execz .LBB82_103
; %bb.102:
	v_dual_lshrrev_b32 v16, s10, v16 :: v_dual_lshlrev_b32 v17, 2, v1
	s_sub_co_i32 s10, s3, s10
	s_delay_alu instid0(SALU_CYCLE_1)
	s_min_u32 s10, s10, 4
	s_delay_alu instid0(VALU_DEP_1) | instid1(SALU_CYCLE_1)
	v_bfe_u32 v16, v16, 0, s10
	s_delay_alu instid0(VALU_DEP_1)
	v_lshl_or_b32 v16, v16, 4, v17
	v_mov_b32_e32 v17, 1
	ds_add_u32 v16, v17 offset:256
.LBB82_103:
	s_or_b32 exec_lo, exec_lo, s0
	v_dual_mov_b32 v16, s9 :: v_dual_bitop2_b32 v15, -1, v15 bitop3:0x14
	v_cmp_le_u32_e32 vcc_lo, s1, v31
	s_delay_alu instid0(VALU_DEP_2) | instskip(SKIP_1) | instid1(SALU_CYCLE_1)
	v_and_b32_e32 v15, 0xff, v15
	s_nor_b32 s10, s8, vcc_lo
	s_and_saveexec_b32 s0, s10
	s_cbranch_execz .LBB82_105
; %bb.104:
	s_delay_alu instid0(VALU_DEP_1) | instskip(SKIP_1) | instid1(SALU_CYCLE_1)
	v_dual_lshrrev_b32 v16, s2, v15 :: v_dual_lshlrev_b32 v17, 2, v1
	s_sub_co_i32 s10, s3, s2
	s_min_u32 s10, s10, 4
	s_delay_alu instid0(VALU_DEP_1) | instid1(SALU_CYCLE_1)
	v_bfe_u32 v16, v16, 0, s10
	s_delay_alu instid0(VALU_DEP_1)
	v_lshl_or_b32 v16, v16, 4, v17
	v_mov_b32_e32 v17, 1
	ds_add_u32 v16, v17
	v_mov_b32_e32 v16, 0
.LBB82_105:
	s_or_b32 exec_lo, exec_lo, s0
	s_mov_b32 s10, -1
	s_mov_b32 s11, exec_lo
	s_delay_alu instid0(VALU_DEP_1)
	v_cmpx_gt_i32_e32 10, v16
; %bb.106:
	v_cmp_eq_u32_e64 s0, 0, v16
	s_or_not1_b32 s10, s0, exec_lo
; %bb.107:
	s_or_b32 exec_lo, exec_lo, s11
	s_and_saveexec_b32 s0, s10
	s_cbranch_execz .LBB82_110
; %bb.108:
	s_add_co_i32 s10, s2, 4
	s_delay_alu instid0(SALU_CYCLE_1) | instskip(SKIP_2) | instid1(SALU_CYCLE_1)
	s_cmp_gt_u32 s3, s10
	s_cselect_b32 s11, -1, 0
	s_xor_b32 s12, vcc_lo, -1
	s_and_b32 s11, s11, s12
	s_delay_alu instid0(SALU_CYCLE_1)
	s_and_b32 exec_lo, exec_lo, s11
	s_cbranch_execz .LBB82_110
; %bb.109:
	v_dual_lshrrev_b32 v15, s10, v15 :: v_dual_lshlrev_b32 v16, 2, v1
	s_sub_co_i32 s10, s3, s10
	s_delay_alu instid0(SALU_CYCLE_1)
	s_min_u32 s10, s10, 4
	s_delay_alu instid0(VALU_DEP_1) | instid1(SALU_CYCLE_1)
	v_bfe_u32 v15, v15, 0, s10
	s_delay_alu instid0(VALU_DEP_1)
	v_lshl_or_b32 v15, v15, 4, v16
	v_mov_b32_e32 v16, 1
	ds_add_u32 v15, v16 offset:256
.LBB82_110:
	;; [unrolled: 55-line block ×3, first 2 shown]
	s_or_b32 exec_lo, exec_lo, s0
	v_dual_mov_b32 v14, s9 :: v_dual_bitop2_b32 v13, -1, v13 bitop3:0x14
	v_cmp_le_u32_e32 vcc_lo, s1, v33
	s_delay_alu instid0(VALU_DEP_2) | instskip(SKIP_1) | instid1(SALU_CYCLE_1)
	v_and_b32_e32 v13, 0xff, v13
	s_nor_b32 s10, s8, vcc_lo
	s_and_saveexec_b32 s0, s10
	s_cbranch_execz .LBB82_119
; %bb.118:
	s_delay_alu instid0(VALU_DEP_1)
	v_lshrrev_b32_e32 v14, s2, v13
	s_sub_co_i32 s10, s3, s2
	v_lshlrev_b32_e32 v15, 2, v1
	s_min_u32 s10, s10, 4
	s_delay_alu instid0(VALU_DEP_2) | instid1(SALU_CYCLE_1)
	v_bfe_u32 v14, v14, 0, s10
	s_delay_alu instid0(VALU_DEP_1)
	v_lshl_or_b32 v14, v14, 4, v15
	v_mov_b32_e32 v15, 1
	ds_add_u32 v14, v15
	v_mov_b32_e32 v14, 0
.LBB82_119:
	s_or_b32 exec_lo, exec_lo, s0
	s_mov_b32 s10, -1
	s_mov_b32 s11, exec_lo
	s_delay_alu instid0(VALU_DEP_1)
	v_cmpx_gt_i32_e32 10, v14
; %bb.120:
	v_cmp_eq_u32_e64 s0, 0, v14
	s_or_not1_b32 s10, s0, exec_lo
; %bb.121:
	s_or_b32 exec_lo, exec_lo, s11
	s_and_saveexec_b32 s0, s10
	s_cbranch_execz .LBB82_124
; %bb.122:
	s_add_co_i32 s10, s2, 4
	s_delay_alu instid0(SALU_CYCLE_1) | instskip(SKIP_2) | instid1(SALU_CYCLE_1)
	s_cmp_gt_u32 s3, s10
	s_cselect_b32 s11, -1, 0
	s_xor_b32 s12, vcc_lo, -1
	s_and_b32 s11, s11, s12
	s_delay_alu instid0(SALU_CYCLE_1)
	s_and_b32 exec_lo, exec_lo, s11
	s_cbranch_execz .LBB82_124
; %bb.123:
	v_lshrrev_b32_e32 v13, s10, v13
	s_sub_co_i32 s10, s3, s10
	v_lshlrev_b32_e32 v14, 2, v1
	s_min_u32 s10, s10, 4
	s_delay_alu instid0(VALU_DEP_2) | instid1(SALU_CYCLE_1)
	v_bfe_u32 v13, v13, 0, s10
	s_delay_alu instid0(VALU_DEP_1)
	v_lshl_or_b32 v13, v13, 4, v14
	v_mov_b32_e32 v14, 1
	ds_add_u32 v13, v14 offset:256
.LBB82_124:
	s_or_b32 exec_lo, exec_lo, s0
	v_dual_mov_b32 v13, s9 :: v_dual_bitop2_b32 v12, -1, v12 bitop3:0x14
	v_cmp_le_u32_e32 vcc_lo, s1, v34
	s_delay_alu instid0(VALU_DEP_2) | instskip(SKIP_1) | instid1(SALU_CYCLE_1)
	v_and_b32_e32 v12, 0xff, v12
	s_nor_b32 s10, s8, vcc_lo
	s_and_saveexec_b32 s0, s10
	s_cbranch_execz .LBB82_126
; %bb.125:
	s_delay_alu instid0(VALU_DEP_1) | instskip(SKIP_1) | instid1(SALU_CYCLE_1)
	v_dual_lshrrev_b32 v13, s2, v12 :: v_dual_lshlrev_b32 v14, 2, v1
	s_sub_co_i32 s10, s3, s2
	s_min_u32 s10, s10, 4
	s_delay_alu instid0(VALU_DEP_1) | instid1(SALU_CYCLE_1)
	v_bfe_u32 v13, v13, 0, s10
	s_delay_alu instid0(VALU_DEP_1)
	v_lshl_or_b32 v13, v13, 4, v14
	v_mov_b32_e32 v14, 1
	ds_add_u32 v13, v14
	v_mov_b32_e32 v13, 0
.LBB82_126:
	s_or_b32 exec_lo, exec_lo, s0
	s_mov_b32 s10, -1
	s_mov_b32 s11, exec_lo
	s_delay_alu instid0(VALU_DEP_1)
	v_cmpx_gt_i32_e32 10, v13
; %bb.127:
	v_cmp_eq_u32_e64 s0, 0, v13
	s_or_not1_b32 s10, s0, exec_lo
; %bb.128:
	s_or_b32 exec_lo, exec_lo, s11
	s_and_saveexec_b32 s0, s10
	s_cbranch_execz .LBB82_131
; %bb.129:
	s_add_co_i32 s10, s2, 4
	s_delay_alu instid0(SALU_CYCLE_1) | instskip(SKIP_2) | instid1(SALU_CYCLE_1)
	s_cmp_gt_u32 s3, s10
	s_cselect_b32 s11, -1, 0
	s_xor_b32 s12, vcc_lo, -1
	s_and_b32 s11, s11, s12
	s_delay_alu instid0(SALU_CYCLE_1)
	s_and_b32 exec_lo, exec_lo, s11
	s_cbranch_execz .LBB82_131
; %bb.130:
	v_dual_lshrrev_b32 v12, s10, v12 :: v_dual_lshlrev_b32 v13, 2, v1
	s_sub_co_i32 s10, s3, s10
	s_delay_alu instid0(SALU_CYCLE_1)
	s_min_u32 s10, s10, 4
	s_delay_alu instid0(VALU_DEP_1) | instid1(SALU_CYCLE_1)
	v_bfe_u32 v12, v12, 0, s10
	s_delay_alu instid0(VALU_DEP_1)
	v_lshl_or_b32 v12, v12, 4, v13
	v_mov_b32_e32 v13, 1
	ds_add_u32 v12, v13 offset:256
.LBB82_131:
	s_or_b32 exec_lo, exec_lo, s0
	v_dual_mov_b32 v12, s9 :: v_dual_bitop2_b32 v11, -1, v11 bitop3:0x14
	v_cmp_le_u32_e32 vcc_lo, s1, v35
	s_delay_alu instid0(VALU_DEP_2) | instskip(SKIP_1) | instid1(SALU_CYCLE_1)
	v_and_b32_e32 v11, 0xff, v11
	s_nor_b32 s10, s8, vcc_lo
	s_and_saveexec_b32 s0, s10
	s_cbranch_execz .LBB82_133
; %bb.132:
	s_delay_alu instid0(VALU_DEP_1) | instskip(SKIP_1) | instid1(SALU_CYCLE_1)
	v_dual_lshrrev_b32 v12, s2, v11 :: v_dual_lshlrev_b32 v13, 2, v1
	s_sub_co_i32 s10, s3, s2
	s_min_u32 s10, s10, 4
	s_delay_alu instid0(VALU_DEP_1) | instid1(SALU_CYCLE_1)
	v_bfe_u32 v12, v12, 0, s10
	s_delay_alu instid0(VALU_DEP_1)
	v_lshl_or_b32 v12, v12, 4, v13
	v_mov_b32_e32 v13, 1
	ds_add_u32 v12, v13
	v_mov_b32_e32 v12, 0
.LBB82_133:
	s_or_b32 exec_lo, exec_lo, s0
	s_mov_b32 s10, -1
	s_mov_b32 s11, exec_lo
	s_delay_alu instid0(VALU_DEP_1)
	v_cmpx_gt_i32_e32 10, v12
; %bb.134:
	v_cmp_eq_u32_e64 s0, 0, v12
	s_or_not1_b32 s10, s0, exec_lo
; %bb.135:
	s_or_b32 exec_lo, exec_lo, s11
	s_and_saveexec_b32 s0, s10
	s_cbranch_execz .LBB82_138
; %bb.136:
	s_add_co_i32 s10, s2, 4
	s_delay_alu instid0(SALU_CYCLE_1) | instskip(SKIP_2) | instid1(SALU_CYCLE_1)
	s_cmp_gt_u32 s3, s10
	s_cselect_b32 s11, -1, 0
	s_xor_b32 s12, vcc_lo, -1
	s_and_b32 s11, s11, s12
	s_delay_alu instid0(SALU_CYCLE_1)
	s_and_b32 exec_lo, exec_lo, s11
	s_cbranch_execz .LBB82_138
; %bb.137:
	v_dual_lshrrev_b32 v11, s10, v11 :: v_dual_lshlrev_b32 v12, 2, v1
	s_sub_co_i32 s10, s3, s10
	s_delay_alu instid0(SALU_CYCLE_1)
	s_min_u32 s10, s10, 4
	s_delay_alu instid0(VALU_DEP_1) | instid1(SALU_CYCLE_1)
	v_bfe_u32 v11, v11, 0, s10
	s_delay_alu instid0(VALU_DEP_1)
	v_lshl_or_b32 v11, v11, 4, v12
	v_mov_b32_e32 v12, 1
	ds_add_u32 v11, v12 offset:256
.LBB82_138:
	;; [unrolled: 55-line block ×3, first 2 shown]
	s_or_b32 exec_lo, exec_lo, s0
	v_dual_mov_b32 v10, s9 :: v_dual_bitop2_b32 v9, -1, v9 bitop3:0x14
	v_cmp_le_u32_e32 vcc_lo, s1, v37
	s_delay_alu instid0(VALU_DEP_2) | instskip(SKIP_1) | instid1(SALU_CYCLE_1)
	v_and_b32_e32 v9, 0xff, v9
	s_nor_b32 s10, s8, vcc_lo
	s_and_saveexec_b32 s0, s10
	s_cbranch_execz .LBB82_147
; %bb.146:
	s_delay_alu instid0(VALU_DEP_1)
	v_lshrrev_b32_e32 v10, s2, v9
	s_sub_co_i32 s10, s3, s2
	v_lshlrev_b32_e32 v11, 2, v1
	s_min_u32 s10, s10, 4
	s_delay_alu instid0(VALU_DEP_2) | instid1(SALU_CYCLE_1)
	v_bfe_u32 v10, v10, 0, s10
	s_delay_alu instid0(VALU_DEP_1)
	v_lshl_or_b32 v10, v10, 4, v11
	v_mov_b32_e32 v11, 1
	ds_add_u32 v10, v11
	v_mov_b32_e32 v10, 0
.LBB82_147:
	s_or_b32 exec_lo, exec_lo, s0
	s_mov_b32 s10, -1
	s_mov_b32 s11, exec_lo
	s_delay_alu instid0(VALU_DEP_1)
	v_cmpx_gt_i32_e32 10, v10
; %bb.148:
	v_cmp_eq_u32_e64 s0, 0, v10
	s_or_not1_b32 s10, s0, exec_lo
; %bb.149:
	s_or_b32 exec_lo, exec_lo, s11
	s_and_saveexec_b32 s0, s10
	s_cbranch_execz .LBB82_152
; %bb.150:
	s_add_co_i32 s10, s2, 4
	s_delay_alu instid0(SALU_CYCLE_1) | instskip(SKIP_2) | instid1(SALU_CYCLE_1)
	s_cmp_gt_u32 s3, s10
	s_cselect_b32 s11, -1, 0
	s_xor_b32 s12, vcc_lo, -1
	s_and_b32 s11, s11, s12
	s_delay_alu instid0(SALU_CYCLE_1)
	s_and_b32 exec_lo, exec_lo, s11
	s_cbranch_execz .LBB82_152
; %bb.151:
	v_lshrrev_b32_e32 v9, s10, v9
	s_sub_co_i32 s10, s3, s10
	v_lshlrev_b32_e32 v10, 2, v1
	s_min_u32 s10, s10, 4
	s_delay_alu instid0(VALU_DEP_2) | instid1(SALU_CYCLE_1)
	v_bfe_u32 v9, v9, 0, s10
	s_delay_alu instid0(VALU_DEP_1)
	v_lshl_or_b32 v9, v9, 4, v10
	v_mov_b32_e32 v10, 1
	ds_add_u32 v9, v10 offset:256
.LBB82_152:
	s_or_b32 exec_lo, exec_lo, s0
	v_dual_mov_b32 v9, s9 :: v_dual_bitop2_b32 v8, -1, v8 bitop3:0x14
	v_cmp_le_u32_e32 vcc_lo, s1, v38
	s_delay_alu instid0(VALU_DEP_2) | instskip(SKIP_1) | instid1(SALU_CYCLE_1)
	v_and_b32_e32 v8, 0xff, v8
	s_nor_b32 s10, s8, vcc_lo
	s_and_saveexec_b32 s0, s10
	s_cbranch_execz .LBB82_154
; %bb.153:
	s_delay_alu instid0(VALU_DEP_1) | instskip(SKIP_1) | instid1(SALU_CYCLE_1)
	v_dual_lshrrev_b32 v9, s2, v8 :: v_dual_lshlrev_b32 v10, 2, v1
	s_sub_co_i32 s10, s3, s2
	s_min_u32 s10, s10, 4
	s_delay_alu instid0(VALU_DEP_1) | instid1(SALU_CYCLE_1)
	v_bfe_u32 v9, v9, 0, s10
	s_delay_alu instid0(VALU_DEP_1)
	v_lshl_or_b32 v9, v9, 4, v10
	v_mov_b32_e32 v10, 1
	ds_add_u32 v9, v10
	v_mov_b32_e32 v9, 0
.LBB82_154:
	s_or_b32 exec_lo, exec_lo, s0
	s_mov_b32 s10, -1
	s_mov_b32 s11, exec_lo
	s_delay_alu instid0(VALU_DEP_1)
	v_cmpx_gt_i32_e32 10, v9
; %bb.155:
	v_cmp_eq_u32_e64 s0, 0, v9
	s_or_not1_b32 s10, s0, exec_lo
; %bb.156:
	s_or_b32 exec_lo, exec_lo, s11
	s_and_saveexec_b32 s0, s10
	s_cbranch_execz .LBB82_159
; %bb.157:
	s_add_co_i32 s10, s2, 4
	s_delay_alu instid0(SALU_CYCLE_1) | instskip(SKIP_2) | instid1(SALU_CYCLE_1)
	s_cmp_gt_u32 s3, s10
	s_cselect_b32 s11, -1, 0
	s_xor_b32 s12, vcc_lo, -1
	s_and_b32 s11, s11, s12
	s_delay_alu instid0(SALU_CYCLE_1)
	s_and_b32 exec_lo, exec_lo, s11
	s_cbranch_execz .LBB82_159
; %bb.158:
	v_dual_lshrrev_b32 v8, s10, v8 :: v_dual_lshlrev_b32 v9, 2, v1
	s_sub_co_i32 s10, s3, s10
	s_delay_alu instid0(SALU_CYCLE_1)
	s_min_u32 s10, s10, 4
	s_delay_alu instid0(VALU_DEP_1) | instid1(SALU_CYCLE_1)
	v_bfe_u32 v8, v8, 0, s10
	s_delay_alu instid0(VALU_DEP_1)
	v_lshl_or_b32 v8, v8, 4, v9
	v_mov_b32_e32 v9, 1
	ds_add_u32 v8, v9 offset:256
.LBB82_159:
	s_or_b32 exec_lo, exec_lo, s0
	v_dual_mov_b32 v8, s9 :: v_dual_bitop2_b32 v7, -1, v7 bitop3:0x14
	v_cmp_le_u32_e32 vcc_lo, s1, v39
	s_delay_alu instid0(VALU_DEP_2) | instskip(SKIP_1) | instid1(SALU_CYCLE_1)
	v_and_b32_e32 v7, 0xff, v7
	s_nor_b32 s10, s8, vcc_lo
	s_and_saveexec_b32 s0, s10
	s_cbranch_execz .LBB82_161
; %bb.160:
	s_delay_alu instid0(VALU_DEP_1) | instskip(SKIP_1) | instid1(SALU_CYCLE_1)
	v_dual_lshrrev_b32 v8, s2, v7 :: v_dual_lshlrev_b32 v9, 2, v1
	s_sub_co_i32 s10, s3, s2
	s_min_u32 s10, s10, 4
	s_delay_alu instid0(VALU_DEP_1) | instid1(SALU_CYCLE_1)
	v_bfe_u32 v8, v8, 0, s10
	s_delay_alu instid0(VALU_DEP_1)
	v_lshl_or_b32 v8, v8, 4, v9
	v_mov_b32_e32 v9, 1
	ds_add_u32 v8, v9
	v_mov_b32_e32 v8, 0
.LBB82_161:
	s_or_b32 exec_lo, exec_lo, s0
	s_mov_b32 s10, -1
	s_mov_b32 s11, exec_lo
	s_delay_alu instid0(VALU_DEP_1)
	v_cmpx_gt_i32_e32 10, v8
; %bb.162:
	v_cmp_eq_u32_e64 s0, 0, v8
	s_or_not1_b32 s10, s0, exec_lo
; %bb.163:
	s_or_b32 exec_lo, exec_lo, s11
	s_and_saveexec_b32 s0, s10
	s_cbranch_execz .LBB82_166
; %bb.164:
	s_add_co_i32 s10, s2, 4
	s_delay_alu instid0(SALU_CYCLE_1) | instskip(SKIP_2) | instid1(SALU_CYCLE_1)
	s_cmp_gt_u32 s3, s10
	s_cselect_b32 s11, -1, 0
	s_xor_b32 s12, vcc_lo, -1
	s_and_b32 s11, s11, s12
	s_delay_alu instid0(SALU_CYCLE_1)
	s_and_b32 exec_lo, exec_lo, s11
	s_cbranch_execz .LBB82_166
; %bb.165:
	v_dual_lshrrev_b32 v7, s10, v7 :: v_dual_lshlrev_b32 v8, 2, v1
	s_sub_co_i32 s10, s3, s10
	s_delay_alu instid0(SALU_CYCLE_1)
	s_min_u32 s10, s10, 4
	s_delay_alu instid0(VALU_DEP_1) | instid1(SALU_CYCLE_1)
	v_bfe_u32 v7, v7, 0, s10
	s_delay_alu instid0(VALU_DEP_1)
	v_lshl_or_b32 v7, v7, 4, v8
	v_mov_b32_e32 v8, 1
	ds_add_u32 v7, v8 offset:256
.LBB82_166:
	;; [unrolled: 55-line block ×3, first 2 shown]
	s_or_b32 exec_lo, exec_lo, s0
	v_dual_mov_b32 v6, s9 :: v_dual_bitop2_b32 v5, -1, v5 bitop3:0x14
	v_cmp_le_u32_e32 vcc_lo, s1, v41
	s_delay_alu instid0(VALU_DEP_2) | instskip(SKIP_1) | instid1(SALU_CYCLE_1)
	v_and_b32_e32 v5, 0xff, v5
	s_nor_b32 s10, s8, vcc_lo
	s_and_saveexec_b32 s0, s10
	s_cbranch_execz .LBB82_175
; %bb.174:
	s_delay_alu instid0(VALU_DEP_1)
	v_lshrrev_b32_e32 v6, s2, v5
	s_sub_co_i32 s10, s3, s2
	v_lshlrev_b32_e32 v7, 2, v1
	s_min_u32 s10, s10, 4
	s_delay_alu instid0(VALU_DEP_2) | instid1(SALU_CYCLE_1)
	v_bfe_u32 v6, v6, 0, s10
	s_delay_alu instid0(VALU_DEP_1)
	v_lshl_or_b32 v6, v6, 4, v7
	v_mov_b32_e32 v7, 1
	ds_add_u32 v6, v7
	v_mov_b32_e32 v6, 0
.LBB82_175:
	s_or_b32 exec_lo, exec_lo, s0
	s_mov_b32 s10, -1
	s_mov_b32 s11, exec_lo
	s_delay_alu instid0(VALU_DEP_1)
	v_cmpx_gt_i32_e32 10, v6
; %bb.176:
	v_cmp_eq_u32_e64 s0, 0, v6
	s_or_not1_b32 s10, s0, exec_lo
; %bb.177:
	s_or_b32 exec_lo, exec_lo, s11
	s_and_saveexec_b32 s0, s10
	s_cbranch_execz .LBB82_180
; %bb.178:
	s_add_co_i32 s10, s2, 4
	s_delay_alu instid0(SALU_CYCLE_1) | instskip(SKIP_2) | instid1(SALU_CYCLE_1)
	s_cmp_gt_u32 s3, s10
	s_cselect_b32 s11, -1, 0
	s_xor_b32 s12, vcc_lo, -1
	s_and_b32 s11, s11, s12
	s_delay_alu instid0(SALU_CYCLE_1)
	s_and_b32 exec_lo, exec_lo, s11
	s_cbranch_execz .LBB82_180
; %bb.179:
	v_lshrrev_b32_e32 v5, s10, v5
	s_sub_co_i32 s10, s3, s10
	v_lshlrev_b32_e32 v6, 2, v1
	s_min_u32 s10, s10, 4
	s_delay_alu instid0(VALU_DEP_2) | instid1(SALU_CYCLE_1)
	v_bfe_u32 v5, v5, 0, s10
	s_delay_alu instid0(VALU_DEP_1)
	v_lshl_or_b32 v5, v5, 4, v6
	v_mov_b32_e32 v6, 1
	ds_add_u32 v5, v6 offset:256
.LBB82_180:
	s_or_b32 exec_lo, exec_lo, s0
	v_dual_mov_b32 v5, s9 :: v_dual_bitop2_b32 v4, -1, v4 bitop3:0x14
	v_cmp_le_u32_e32 vcc_lo, s1, v42
	s_delay_alu instid0(VALU_DEP_2) | instskip(SKIP_1) | instid1(SALU_CYCLE_1)
	v_and_b32_e32 v4, 0xff, v4
	s_nor_b32 s10, s8, vcc_lo
	s_and_saveexec_b32 s0, s10
	s_cbranch_execz .LBB82_182
; %bb.181:
	s_delay_alu instid0(VALU_DEP_1) | instskip(SKIP_1) | instid1(SALU_CYCLE_1)
	v_dual_lshrrev_b32 v5, s2, v4 :: v_dual_lshlrev_b32 v6, 2, v1
	s_sub_co_i32 s10, s3, s2
	s_min_u32 s10, s10, 4
	s_delay_alu instid0(VALU_DEP_1) | instid1(SALU_CYCLE_1)
	v_bfe_u32 v5, v5, 0, s10
	s_delay_alu instid0(VALU_DEP_1)
	v_lshl_or_b32 v5, v5, 4, v6
	v_mov_b32_e32 v6, 1
	ds_add_u32 v5, v6
	v_mov_b32_e32 v5, 0
.LBB82_182:
	s_or_b32 exec_lo, exec_lo, s0
	s_mov_b32 s10, -1
	s_mov_b32 s11, exec_lo
	s_delay_alu instid0(VALU_DEP_1)
	v_cmpx_gt_i32_e32 10, v5
; %bb.183:
	v_cmp_eq_u32_e64 s0, 0, v5
	s_or_not1_b32 s10, s0, exec_lo
; %bb.184:
	s_or_b32 exec_lo, exec_lo, s11
	s_and_saveexec_b32 s0, s10
	s_cbranch_execz .LBB82_187
; %bb.185:
	s_add_co_i32 s10, s2, 4
	s_delay_alu instid0(SALU_CYCLE_1) | instskip(SKIP_2) | instid1(SALU_CYCLE_1)
	s_cmp_gt_u32 s3, s10
	s_cselect_b32 s11, -1, 0
	s_xor_b32 s12, vcc_lo, -1
	s_and_b32 s11, s11, s12
	s_delay_alu instid0(SALU_CYCLE_1)
	s_and_b32 exec_lo, exec_lo, s11
	s_cbranch_execz .LBB82_187
; %bb.186:
	v_dual_lshrrev_b32 v4, s10, v4 :: v_dual_lshlrev_b32 v5, 2, v1
	s_sub_co_i32 s10, s3, s10
	s_delay_alu instid0(SALU_CYCLE_1)
	s_min_u32 s10, s10, 4
	s_delay_alu instid0(VALU_DEP_1) | instid1(SALU_CYCLE_1)
	v_bfe_u32 v4, v4, 0, s10
	s_delay_alu instid0(VALU_DEP_1)
	v_lshl_or_b32 v4, v4, 4, v5
	v_mov_b32_e32 v5, 1
	ds_add_u32 v4, v5 offset:256
.LBB82_187:
	s_or_b32 exec_lo, exec_lo, s0
	v_dual_mov_b32 v4, s9 :: v_dual_bitop2_b32 v3, -1, v3 bitop3:0x14
	v_cmp_le_u32_e32 vcc_lo, s1, v43
	s_delay_alu instid0(VALU_DEP_2) | instskip(SKIP_1) | instid1(SALU_CYCLE_1)
	v_and_b32_e32 v3, 0xff, v3
	s_nor_b32 s10, s8, vcc_lo
	s_and_saveexec_b32 s0, s10
	s_cbranch_execz .LBB82_189
; %bb.188:
	s_delay_alu instid0(VALU_DEP_1) | instskip(SKIP_1) | instid1(SALU_CYCLE_1)
	v_dual_lshrrev_b32 v4, s2, v3 :: v_dual_lshlrev_b32 v5, 2, v1
	s_sub_co_i32 s10, s3, s2
	s_min_u32 s10, s10, 4
	s_delay_alu instid0(VALU_DEP_1) | instid1(SALU_CYCLE_1)
	v_bfe_u32 v4, v4, 0, s10
	s_delay_alu instid0(VALU_DEP_1)
	v_lshl_or_b32 v4, v4, 4, v5
	v_mov_b32_e32 v5, 1
	ds_add_u32 v4, v5
	v_mov_b32_e32 v4, 0
.LBB82_189:
	s_or_b32 exec_lo, exec_lo, s0
	s_mov_b32 s10, -1
	s_mov_b32 s11, exec_lo
	s_delay_alu instid0(VALU_DEP_1)
	v_cmpx_gt_i32_e32 10, v4
; %bb.190:
	v_cmp_eq_u32_e64 s0, 0, v4
	s_or_not1_b32 s10, s0, exec_lo
; %bb.191:
	s_or_b32 exec_lo, exec_lo, s11
	s_and_saveexec_b32 s0, s10
	s_cbranch_execz .LBB82_194
; %bb.192:
	s_add_co_i32 s10, s2, 4
	s_delay_alu instid0(SALU_CYCLE_1) | instskip(SKIP_2) | instid1(SALU_CYCLE_1)
	s_cmp_gt_u32 s3, s10
	s_cselect_b32 s11, -1, 0
	s_xor_b32 s12, vcc_lo, -1
	s_and_b32 s11, s11, s12
	s_delay_alu instid0(SALU_CYCLE_1)
	s_and_b32 exec_lo, exec_lo, s11
	s_cbranch_execz .LBB82_194
; %bb.193:
	v_dual_lshrrev_b32 v3, s10, v3 :: v_dual_lshlrev_b32 v4, 2, v1
	s_sub_co_i32 s10, s3, s10
	s_delay_alu instid0(SALU_CYCLE_1)
	s_min_u32 s10, s10, 4
	s_delay_alu instid0(VALU_DEP_1) | instid1(SALU_CYCLE_1)
	v_bfe_u32 v3, v3, 0, s10
	s_delay_alu instid0(VALU_DEP_1)
	v_lshl_or_b32 v3, v3, 4, v4
	v_mov_b32_e32 v4, 1
	ds_add_u32 v3, v4 offset:256
.LBB82_194:
	;; [unrolled: 55-line block ×3, first 2 shown]
	s_or_b32 exec_lo, exec_lo, s0
	s_cmp_gt_u32 s3, s2
	s_wait_dscnt 0x0
	s_barrier_signal -1
	s_barrier_wait -1
	s_cbranch_scc0 .LBB82_206
; %bb.202:
	v_dual_mov_b32 v3, 0 :: v_dual_lshlrev_b32 v4, 4, v0
	v_mov_b32_e32 v5, v0
	s_mov_b32 s0, s2
	v_cmp_gt_u32_e32 vcc_lo, 16, v0
	s_branch .LBB82_204
.LBB82_203:                             ;   in Loop: Header=BB82_204 Depth=1
	s_wait_xcnt 0x0
	s_or_b32 exec_lo, exec_lo, s1
	v_add_nc_u32_e32 v5, 16, v5
	v_add_nc_u32_e32 v4, 0x100, v4
	s_add_co_i32 s0, s0, 4
	s_delay_alu instid0(SALU_CYCLE_1)
	s_cmp_lt_u32 s0, s3
	s_cbranch_scc0 .LBB82_206
.LBB82_204:                             ; =>This Inner Loop Header: Depth=1
	s_and_saveexec_b32 s1, vcc_lo
	s_cbranch_execz .LBB82_203
; %bb.205:                              ;   in Loop: Header=BB82_204 Depth=1
	ds_load_2addr_b32 v[6:7], v4 offset1:1
	ds_load_2addr_b32 v[8:9], v4 offset0:2 offset1:3
	s_wait_dscnt 0x1
	v_add_nc_u32_e32 v2, v7, v6
	s_wait_dscnt 0x0
	s_delay_alu instid0(VALU_DEP_1)
	v_add3_u32 v2, v2, v8, v9
	global_atomic_add_u64 v5, v[2:3], s[6:7] scale_offset scope:SCOPE_DEV
	s_branch .LBB82_203
.LBB82_206:
	s_mov_b32 s9, 0
.LBB82_207:
	s_delay_alu instid0(SALU_CYCLE_1)
	s_and_b32 vcc_lo, exec_lo, s9
	s_cbranch_vccz .LBB82_268
; %bb.208:
	s_clause 0x15
	global_load_u8 v10, v0, s[4:5]
	global_load_u8 v11, v0, s[4:5] offset:1024
	global_load_u8 v12, v0, s[4:5] offset:2048
	;; [unrolled: 1-line block ×21, first 2 shown]
	s_cmp_lg_u32 s2, 0
	s_cselect_b32 s0, -1, 0
	s_cmp_lg_u32 s3, 8
	s_cselect_b32 s1, -1, 0
	s_delay_alu instid0(SALU_CYCLE_1)
	s_or_b32 s1, s0, s1
	v_cmp_gt_u32_e64 s0, 0x80, v0
	s_and_b32 vcc_lo, exec_lo, s1
	s_mov_b32 s1, -1
	s_cbranch_vccz .LBB82_263
; %bb.209:
	s_wait_xcnt 0x0
	s_and_saveexec_b32 s1, s0
; %bb.210:
	v_dual_mov_b32 v3, 0 :: v_dual_lshlrev_b32 v2, 2, v0
	ds_store_b32 v2, v3
; %bb.211:
	s_or_b32 exec_lo, exec_lo, s1
	s_cmp_gt_u32 s3, s2
	s_wait_storecnt 0x0
	s_wait_loadcnt_dscnt 0x0
	s_cselect_b32 s1, -1, 0
	s_barrier_signal -1
	s_and_b32 vcc_lo, exec_lo, s1
	s_barrier_wait -1
	s_cbranch_vccz .LBB82_257
; %bb.212:
	v_xor_b32_e32 v2, -1, v10
	s_sub_co_i32 s4, s3, s2
	s_mov_b32 s9, -1
	s_min_u32 s4, s4, 4
	v_mov_b32_e32 v27, 1
	v_and_b32_e32 v3, 0xff, v2
	s_lshl_b32 s5, -1, s4
	v_lshlrev_b32_e32 v2, 2, v1
	s_add_co_i32 s4, s2, 4
	s_delay_alu instid0(VALU_DEP_2) | instskip(NEXT) | instid1(VALU_DEP_1)
	v_lshrrev_b32_e32 v26, s2, v3
	v_bitop3_b32 v26, v26, s5, v26 bitop3:0x30
	s_not_b32 s5, s5
	s_cmp_le_u32 s3, s4
	s_cselect_b32 s8, -1, 0
	s_delay_alu instid0(VALU_DEP_1) | instskip(SKIP_3) | instid1(VALU_DEP_1)
	v_lshl_or_b32 v26, v26, 4, v2
	s_and_b32 vcc_lo, exec_lo, s8
	ds_add_u32 v26, v27
	v_xor_b32_e32 v26, -1, v11
                                        ; implicit-def: $vgpr27
	v_and_b32_e32 v26, 0xff, v26
	s_cbranch_vccz .LBB82_214
; %bb.213:
	s_delay_alu instid0(VALU_DEP_1) | instskip(SKIP_1) | instid1(VALU_DEP_1)
	v_lshrrev_b32_e32 v27, s2, v26
	s_mov_b32 s9, 0
	v_and_b32_e32 v27, s5, v27
	s_delay_alu instid0(VALU_DEP_1)
	v_lshlrev_b32_e32 v27, 4, v27
.LBB82_214:
	s_and_not1_b32 vcc_lo, exec_lo, s9
	s_cbranch_vccnz .LBB82_216
; %bb.215:
	s_sub_co_i32 s9, s3, s4
	v_dual_lshrrev_b32 v3, s4, v3 :: v_dual_lshrrev_b32 v27, s2, v26
	s_min_u32 s9, s9, 4
	v_mov_b32_e32 v28, 1
	s_lshl_b32 s9, -1, s9
	s_delay_alu instid0(VALU_DEP_2) | instid1(SALU_CYCLE_1)
	v_bitop3_b32 v3, v3, s9, v3 bitop3:0x30
	v_and_b32_e32 v27, s5, v27
	s_delay_alu instid0(VALU_DEP_2) | instskip(NEXT) | instid1(VALU_DEP_2)
	v_lshl_or_b32 v3, v3, 4, v2
	v_lshl_or_b32 v27, v27, 4, v2
	ds_add_u32 v3, v28 offset:256
	ds_add_u32 v27, v28
	v_lshrrev_b32_e32 v3, s4, v26
	s_delay_alu instid0(VALU_DEP_1) | instskip(NEXT) | instid1(VALU_DEP_1)
	v_bitop3_b32 v3, v3, s9, v3 bitop3:0x30
	v_lshl_add_u32 v27, v3, 4, 0x100
.LBB82_216:
	s_delay_alu instid0(VALU_DEP_1) | instskip(SKIP_3) | instid1(VALU_DEP_2)
	v_dual_add_nc_u32 v27, v27, v2 :: v_dual_bitop2_b32 v3, -1, v12 bitop3:0x14
	s_and_b32 vcc_lo, exec_lo, s8
	s_mov_b32 s9, -1
	v_mov_b32_e32 v28, 1
	v_and_b32_e32 v26, 0xff, v3
	s_delay_alu instid0(VALU_DEP_1) | instskip(NEXT) | instid1(VALU_DEP_1)
	v_lshrrev_b32_e32 v3, s2, v26
	v_and_b32_e32 v3, s5, v3
	s_delay_alu instid0(VALU_DEP_1) | instskip(SKIP_3) | instid1(VALU_DEP_1)
	v_lshl_or_b32 v3, v3, 4, v2
	ds_add_u32 v27, v28
	ds_add_u32 v3, v28
	v_xor_b32_e32 v3, -1, v13
                                        ; implicit-def: $vgpr27
	v_and_b32_e32 v3, 0xff, v3
	s_cbranch_vccz .LBB82_218
; %bb.217:
	s_delay_alu instid0(VALU_DEP_1) | instskip(SKIP_1) | instid1(VALU_DEP_1)
	v_lshrrev_b32_e32 v27, s2, v3
	s_mov_b32 s9, 0
	v_and_b32_e32 v27, s5, v27
	s_delay_alu instid0(VALU_DEP_1)
	v_lshlrev_b32_e32 v27, 4, v27
.LBB82_218:
	s_and_not1_b32 vcc_lo, exec_lo, s9
	s_cbranch_vccnz .LBB82_220
; %bb.219:
	s_sub_co_i32 s9, s3, s4
	v_dual_lshrrev_b32 v26, s4, v26 :: v_dual_lshrrev_b32 v27, s2, v3
	s_min_u32 s9, s9, 4
	v_lshrrev_b32_e32 v3, s4, v3
	s_lshl_b32 s9, -1, s9
	s_delay_alu instid0(VALU_DEP_2) | instskip(SKIP_1) | instid1(VALU_DEP_3)
	v_dual_mov_b32 v28, 1 :: v_dual_bitop2_b32 v27, s5, v27 bitop3:0x40
	v_bitop3_b32 v26, v26, s9, v26 bitop3:0x30
	v_bitop3_b32 v3, v3, s9, v3 bitop3:0x30
	s_delay_alu instid0(VALU_DEP_3) | instskip(NEXT) | instid1(VALU_DEP_3)
	v_lshl_or_b32 v27, v27, 4, v2
	v_lshl_or_b32 v26, v26, 4, v2
	ds_add_u32 v26, v28 offset:256
	ds_add_u32 v27, v28
	v_lshl_add_u32 v27, v3, 4, 0x100
.LBB82_220:
	v_dual_mov_b32 v28, 1 :: v_dual_bitop2_b32 v3, -1, v14 bitop3:0x14
	s_and_b32 vcc_lo, exec_lo, s8
	s_mov_b32 s9, -1
	s_delay_alu instid0(VALU_DEP_2) | instskip(NEXT) | instid1(VALU_DEP_2)
	v_add_nc_u32_e32 v27, v27, v2
	v_and_b32_e32 v26, 0xff, v3
	s_delay_alu instid0(VALU_DEP_1) | instskip(NEXT) | instid1(VALU_DEP_1)
	v_lshrrev_b32_e32 v3, s2, v26
	v_and_b32_e32 v3, s5, v3
	s_delay_alu instid0(VALU_DEP_1) | instskip(SKIP_3) | instid1(VALU_DEP_1)
	v_lshl_or_b32 v3, v3, 4, v2
	ds_add_u32 v27, v28
	ds_add_u32 v3, v28
	v_xor_b32_e32 v3, -1, v15
                                        ; implicit-def: $vgpr27
	v_and_b32_e32 v3, 0xff, v3
	s_cbranch_vccz .LBB82_222
; %bb.221:
	s_delay_alu instid0(VALU_DEP_1) | instskip(SKIP_1) | instid1(VALU_DEP_1)
	v_lshrrev_b32_e32 v27, s2, v3
	s_mov_b32 s9, 0
	v_and_b32_e32 v27, s5, v27
	s_delay_alu instid0(VALU_DEP_1)
	v_lshlrev_b32_e32 v27, 4, v27
.LBB82_222:
	s_and_not1_b32 vcc_lo, exec_lo, s9
	s_cbranch_vccnz .LBB82_224
; %bb.223:
	s_sub_co_i32 s9, s3, s4
	v_dual_lshrrev_b32 v26, s4, v26 :: v_dual_lshrrev_b32 v27, s2, v3
	s_min_u32 s9, s9, 4
	v_lshrrev_b32_e32 v3, s4, v3
	s_lshl_b32 s9, -1, s9
	s_delay_alu instid0(VALU_DEP_2) | instskip(SKIP_1) | instid1(VALU_DEP_3)
	v_dual_mov_b32 v28, 1 :: v_dual_bitop2_b32 v27, s5, v27 bitop3:0x40
	v_bitop3_b32 v26, v26, s9, v26 bitop3:0x30
	v_bitop3_b32 v3, v3, s9, v3 bitop3:0x30
	s_delay_alu instid0(VALU_DEP_3) | instskip(NEXT) | instid1(VALU_DEP_3)
	v_lshl_or_b32 v27, v27, 4, v2
	v_lshl_or_b32 v26, v26, 4, v2
	ds_add_u32 v26, v28 offset:256
	ds_add_u32 v27, v28
	v_lshl_add_u32 v27, v3, 4, 0x100
.LBB82_224:
	s_delay_alu instid0(VALU_DEP_1) | instskip(SKIP_3) | instid1(VALU_DEP_2)
	v_dual_add_nc_u32 v27, v27, v2 :: v_dual_bitop2_b32 v3, -1, v16 bitop3:0x14
	s_and_b32 vcc_lo, exec_lo, s8
	s_mov_b32 s9, -1
	v_mov_b32_e32 v28, 1
	v_and_b32_e32 v26, 0xff, v3
	s_delay_alu instid0(VALU_DEP_1) | instskip(NEXT) | instid1(VALU_DEP_1)
	v_lshrrev_b32_e32 v3, s2, v26
	v_and_b32_e32 v3, s5, v3
	s_delay_alu instid0(VALU_DEP_1) | instskip(SKIP_3) | instid1(VALU_DEP_1)
	v_lshl_or_b32 v3, v3, 4, v2
	ds_add_u32 v27, v28
	ds_add_u32 v3, v28
	v_xor_b32_e32 v3, -1, v17
                                        ; implicit-def: $vgpr27
	v_and_b32_e32 v3, 0xff, v3
	s_cbranch_vccz .LBB82_226
; %bb.225:
	s_delay_alu instid0(VALU_DEP_1) | instskip(SKIP_1) | instid1(VALU_DEP_1)
	v_lshrrev_b32_e32 v27, s2, v3
	s_mov_b32 s9, 0
	v_and_b32_e32 v27, s5, v27
	s_delay_alu instid0(VALU_DEP_1)
	v_lshlrev_b32_e32 v27, 4, v27
.LBB82_226:
	s_and_not1_b32 vcc_lo, exec_lo, s9
	s_cbranch_vccnz .LBB82_228
; %bb.227:
	s_sub_co_i32 s9, s3, s4
	v_dual_lshrrev_b32 v26, s4, v26 :: v_dual_lshrrev_b32 v27, s2, v3
	s_min_u32 s9, s9, 4
	v_lshrrev_b32_e32 v3, s4, v3
	s_lshl_b32 s9, -1, s9
	s_delay_alu instid0(VALU_DEP_2) | instskip(SKIP_1) | instid1(VALU_DEP_3)
	v_dual_mov_b32 v28, 1 :: v_dual_bitop2_b32 v27, s5, v27 bitop3:0x40
	v_bitop3_b32 v26, v26, s9, v26 bitop3:0x30
	v_bitop3_b32 v3, v3, s9, v3 bitop3:0x30
	s_delay_alu instid0(VALU_DEP_3) | instskip(NEXT) | instid1(VALU_DEP_3)
	v_lshl_or_b32 v27, v27, 4, v2
	v_lshl_or_b32 v26, v26, 4, v2
	ds_add_u32 v26, v28 offset:256
	ds_add_u32 v27, v28
	v_lshl_add_u32 v27, v3, 4, 0x100
.LBB82_228:
	v_dual_mov_b32 v28, 1 :: v_dual_bitop2_b32 v3, -1, v18 bitop3:0x14
	s_and_b32 vcc_lo, exec_lo, s8
	s_mov_b32 s9, -1
	s_delay_alu instid0(VALU_DEP_2) | instskip(NEXT) | instid1(VALU_DEP_2)
	v_add_nc_u32_e32 v27, v27, v2
	v_and_b32_e32 v26, 0xff, v3
	s_delay_alu instid0(VALU_DEP_1) | instskip(NEXT) | instid1(VALU_DEP_1)
	v_lshrrev_b32_e32 v3, s2, v26
	v_and_b32_e32 v3, s5, v3
	s_delay_alu instid0(VALU_DEP_1) | instskip(SKIP_3) | instid1(VALU_DEP_1)
	v_lshl_or_b32 v3, v3, 4, v2
	ds_add_u32 v27, v28
	ds_add_u32 v3, v28
	v_xor_b32_e32 v3, -1, v19
                                        ; implicit-def: $vgpr27
	v_and_b32_e32 v3, 0xff, v3
	s_cbranch_vccz .LBB82_230
; %bb.229:
	s_delay_alu instid0(VALU_DEP_1) | instskip(SKIP_1) | instid1(VALU_DEP_1)
	v_lshrrev_b32_e32 v27, s2, v3
	s_mov_b32 s9, 0
	v_and_b32_e32 v27, s5, v27
	s_delay_alu instid0(VALU_DEP_1)
	v_lshlrev_b32_e32 v27, 4, v27
.LBB82_230:
	s_and_not1_b32 vcc_lo, exec_lo, s9
	s_cbranch_vccnz .LBB82_232
; %bb.231:
	s_sub_co_i32 s9, s3, s4
	v_dual_lshrrev_b32 v26, s4, v26 :: v_dual_lshrrev_b32 v27, s2, v3
	s_min_u32 s9, s9, 4
	v_lshrrev_b32_e32 v3, s4, v3
	s_lshl_b32 s9, -1, s9
	s_delay_alu instid0(VALU_DEP_2) | instskip(SKIP_1) | instid1(VALU_DEP_3)
	v_dual_mov_b32 v28, 1 :: v_dual_bitop2_b32 v27, s5, v27 bitop3:0x40
	v_bitop3_b32 v26, v26, s9, v26 bitop3:0x30
	v_bitop3_b32 v3, v3, s9, v3 bitop3:0x30
	s_delay_alu instid0(VALU_DEP_3) | instskip(NEXT) | instid1(VALU_DEP_3)
	v_lshl_or_b32 v27, v27, 4, v2
	v_lshl_or_b32 v26, v26, 4, v2
	ds_add_u32 v26, v28 offset:256
	ds_add_u32 v27, v28
	v_lshl_add_u32 v27, v3, 4, 0x100
.LBB82_232:
	s_delay_alu instid0(VALU_DEP_1) | instskip(SKIP_3) | instid1(VALU_DEP_2)
	v_dual_add_nc_u32 v27, v27, v2 :: v_dual_bitop2_b32 v3, -1, v20 bitop3:0x14
	s_and_b32 vcc_lo, exec_lo, s8
	s_mov_b32 s9, -1
	v_mov_b32_e32 v28, 1
	v_and_b32_e32 v26, 0xff, v3
	s_delay_alu instid0(VALU_DEP_1) | instskip(NEXT) | instid1(VALU_DEP_1)
	v_lshrrev_b32_e32 v3, s2, v26
	v_and_b32_e32 v3, s5, v3
	s_delay_alu instid0(VALU_DEP_1) | instskip(SKIP_3) | instid1(VALU_DEP_1)
	v_lshl_or_b32 v3, v3, 4, v2
	ds_add_u32 v27, v28
	ds_add_u32 v3, v28
	v_xor_b32_e32 v3, -1, v21
                                        ; implicit-def: $vgpr27
	v_and_b32_e32 v3, 0xff, v3
	s_cbranch_vccz .LBB82_234
; %bb.233:
	s_delay_alu instid0(VALU_DEP_1) | instskip(SKIP_1) | instid1(VALU_DEP_1)
	v_lshrrev_b32_e32 v27, s2, v3
	s_mov_b32 s9, 0
	v_and_b32_e32 v27, s5, v27
	s_delay_alu instid0(VALU_DEP_1)
	v_lshlrev_b32_e32 v27, 4, v27
.LBB82_234:
	s_and_not1_b32 vcc_lo, exec_lo, s9
	s_cbranch_vccnz .LBB82_236
; %bb.235:
	s_sub_co_i32 s9, s3, s4
	v_dual_lshrrev_b32 v26, s4, v26 :: v_dual_lshrrev_b32 v27, s2, v3
	s_min_u32 s9, s9, 4
	v_lshrrev_b32_e32 v3, s4, v3
	s_lshl_b32 s9, -1, s9
	s_delay_alu instid0(VALU_DEP_2) | instskip(SKIP_1) | instid1(VALU_DEP_3)
	v_dual_mov_b32 v28, 1 :: v_dual_bitop2_b32 v27, s5, v27 bitop3:0x40
	v_bitop3_b32 v26, v26, s9, v26 bitop3:0x30
	v_bitop3_b32 v3, v3, s9, v3 bitop3:0x30
	s_delay_alu instid0(VALU_DEP_3) | instskip(NEXT) | instid1(VALU_DEP_3)
	v_lshl_or_b32 v27, v27, 4, v2
	v_lshl_or_b32 v26, v26, 4, v2
	ds_add_u32 v26, v28 offset:256
	ds_add_u32 v27, v28
	v_lshl_add_u32 v27, v3, 4, 0x100
.LBB82_236:
	v_dual_mov_b32 v28, 1 :: v_dual_bitop2_b32 v3, -1, v22 bitop3:0x14
	s_and_b32 vcc_lo, exec_lo, s8
	s_mov_b32 s9, -1
	s_delay_alu instid0(VALU_DEP_2) | instskip(NEXT) | instid1(VALU_DEP_2)
	v_add_nc_u32_e32 v27, v27, v2
	v_and_b32_e32 v26, 0xff, v3
	s_delay_alu instid0(VALU_DEP_1) | instskip(NEXT) | instid1(VALU_DEP_1)
	v_lshrrev_b32_e32 v3, s2, v26
	v_and_b32_e32 v3, s5, v3
	s_delay_alu instid0(VALU_DEP_1) | instskip(SKIP_3) | instid1(VALU_DEP_1)
	v_lshl_or_b32 v3, v3, 4, v2
	ds_add_u32 v27, v28
	ds_add_u32 v3, v28
	v_xor_b32_e32 v3, -1, v23
                                        ; implicit-def: $vgpr27
	v_and_b32_e32 v3, 0xff, v3
	s_cbranch_vccz .LBB82_238
; %bb.237:
	s_delay_alu instid0(VALU_DEP_1) | instskip(SKIP_1) | instid1(VALU_DEP_1)
	v_lshrrev_b32_e32 v27, s2, v3
	s_mov_b32 s9, 0
	v_and_b32_e32 v27, s5, v27
	s_delay_alu instid0(VALU_DEP_1)
	v_lshlrev_b32_e32 v27, 4, v27
.LBB82_238:
	s_and_not1_b32 vcc_lo, exec_lo, s9
	s_cbranch_vccnz .LBB82_240
; %bb.239:
	s_sub_co_i32 s9, s3, s4
	v_dual_lshrrev_b32 v26, s4, v26 :: v_dual_lshrrev_b32 v27, s2, v3
	s_min_u32 s9, s9, 4
	v_lshrrev_b32_e32 v3, s4, v3
	s_lshl_b32 s9, -1, s9
	s_delay_alu instid0(VALU_DEP_2) | instskip(SKIP_1) | instid1(VALU_DEP_3)
	v_dual_mov_b32 v28, 1 :: v_dual_bitop2_b32 v27, s5, v27 bitop3:0x40
	v_bitop3_b32 v26, v26, s9, v26 bitop3:0x30
	v_bitop3_b32 v3, v3, s9, v3 bitop3:0x30
	s_delay_alu instid0(VALU_DEP_3) | instskip(NEXT) | instid1(VALU_DEP_3)
	v_lshl_or_b32 v27, v27, 4, v2
	v_lshl_or_b32 v26, v26, 4, v2
	ds_add_u32 v26, v28 offset:256
	ds_add_u32 v27, v28
	v_lshl_add_u32 v27, v3, 4, 0x100
.LBB82_240:
	s_delay_alu instid0(VALU_DEP_1) | instskip(SKIP_3) | instid1(VALU_DEP_2)
	v_dual_add_nc_u32 v27, v27, v2 :: v_dual_bitop2_b32 v3, -1, v24 bitop3:0x14
	s_and_b32 vcc_lo, exec_lo, s8
	s_mov_b32 s9, -1
	v_mov_b32_e32 v28, 1
	v_and_b32_e32 v26, 0xff, v3
	s_delay_alu instid0(VALU_DEP_1) | instskip(NEXT) | instid1(VALU_DEP_1)
	v_lshrrev_b32_e32 v3, s2, v26
	v_and_b32_e32 v3, s5, v3
	s_delay_alu instid0(VALU_DEP_1) | instskip(SKIP_3) | instid1(VALU_DEP_1)
	v_lshl_or_b32 v3, v3, 4, v2
	ds_add_u32 v27, v28
	ds_add_u32 v3, v28
	v_xor_b32_e32 v3, -1, v25
                                        ; implicit-def: $vgpr27
	v_and_b32_e32 v3, 0xff, v3
	s_cbranch_vccz .LBB82_242
; %bb.241:
	s_delay_alu instid0(VALU_DEP_1) | instskip(SKIP_1) | instid1(VALU_DEP_1)
	v_lshrrev_b32_e32 v27, s2, v3
	s_mov_b32 s9, 0
	v_and_b32_e32 v27, s5, v27
	s_delay_alu instid0(VALU_DEP_1)
	v_lshlrev_b32_e32 v27, 4, v27
.LBB82_242:
	s_and_not1_b32 vcc_lo, exec_lo, s9
	s_cbranch_vccnz .LBB82_244
; %bb.243:
	s_sub_co_i32 s9, s3, s4
	v_dual_lshrrev_b32 v26, s4, v26 :: v_dual_lshrrev_b32 v27, s2, v3
	s_min_u32 s9, s9, 4
	v_lshrrev_b32_e32 v3, s4, v3
	s_lshl_b32 s9, -1, s9
	s_delay_alu instid0(VALU_DEP_2) | instskip(SKIP_1) | instid1(VALU_DEP_3)
	v_dual_mov_b32 v28, 1 :: v_dual_bitop2_b32 v27, s5, v27 bitop3:0x40
	v_bitop3_b32 v26, v26, s9, v26 bitop3:0x30
	v_bitop3_b32 v3, v3, s9, v3 bitop3:0x30
	s_delay_alu instid0(VALU_DEP_3) | instskip(NEXT) | instid1(VALU_DEP_3)
	v_lshl_or_b32 v27, v27, 4, v2
	v_lshl_or_b32 v26, v26, 4, v2
	ds_add_u32 v26, v28 offset:256
	ds_add_u32 v27, v28
	v_lshl_add_u32 v27, v3, 4, 0x100
.LBB82_244:
	v_dual_mov_b32 v28, 1 :: v_dual_bitop2_b32 v3, -1, v6 bitop3:0x14
	s_and_b32 vcc_lo, exec_lo, s8
	s_mov_b32 s9, -1
	s_delay_alu instid0(VALU_DEP_2) | instskip(NEXT) | instid1(VALU_DEP_2)
	v_add_nc_u32_e32 v27, v27, v2
	v_and_b32_e32 v26, 0xff, v3
	s_delay_alu instid0(VALU_DEP_1) | instskip(NEXT) | instid1(VALU_DEP_1)
	v_lshrrev_b32_e32 v3, s2, v26
	v_and_b32_e32 v3, s5, v3
	s_delay_alu instid0(VALU_DEP_1) | instskip(SKIP_3) | instid1(VALU_DEP_1)
	v_lshl_or_b32 v3, v3, 4, v2
	ds_add_u32 v27, v28
	ds_add_u32 v3, v28
	v_xor_b32_e32 v3, -1, v7
                                        ; implicit-def: $vgpr27
	v_and_b32_e32 v3, 0xff, v3
	s_cbranch_vccz .LBB82_246
; %bb.245:
	s_delay_alu instid0(VALU_DEP_1) | instskip(SKIP_1) | instid1(VALU_DEP_1)
	v_lshrrev_b32_e32 v27, s2, v3
	s_mov_b32 s9, 0
	v_and_b32_e32 v27, s5, v27
	s_delay_alu instid0(VALU_DEP_1)
	v_lshlrev_b32_e32 v27, 4, v27
.LBB82_246:
	s_and_not1_b32 vcc_lo, exec_lo, s9
	s_cbranch_vccnz .LBB82_248
; %bb.247:
	s_sub_co_i32 s9, s3, s4
	v_dual_lshrrev_b32 v26, s4, v26 :: v_dual_lshrrev_b32 v27, s2, v3
	s_min_u32 s9, s9, 4
	v_lshrrev_b32_e32 v3, s4, v3
	s_lshl_b32 s9, -1, s9
	s_delay_alu instid0(VALU_DEP_2) | instskip(SKIP_1) | instid1(VALU_DEP_3)
	v_dual_mov_b32 v28, 1 :: v_dual_bitop2_b32 v27, s5, v27 bitop3:0x40
	v_bitop3_b32 v26, v26, s9, v26 bitop3:0x30
	v_bitop3_b32 v3, v3, s9, v3 bitop3:0x30
	s_delay_alu instid0(VALU_DEP_3) | instskip(NEXT) | instid1(VALU_DEP_3)
	v_lshl_or_b32 v27, v27, 4, v2
	v_lshl_or_b32 v26, v26, 4, v2
	ds_add_u32 v26, v28 offset:256
	ds_add_u32 v27, v28
	v_lshl_add_u32 v27, v3, 4, 0x100
.LBB82_248:
	s_delay_alu instid0(VALU_DEP_1) | instskip(SKIP_3) | instid1(VALU_DEP_2)
	v_dual_add_nc_u32 v27, v27, v2 :: v_dual_bitop2_b32 v3, -1, v8 bitop3:0x14
	s_and_b32 vcc_lo, exec_lo, s8
	s_mov_b32 s9, -1
	v_mov_b32_e32 v28, 1
	v_and_b32_e32 v26, 0xff, v3
	s_delay_alu instid0(VALU_DEP_1) | instskip(NEXT) | instid1(VALU_DEP_1)
	v_lshrrev_b32_e32 v3, s2, v26
	v_and_b32_e32 v3, s5, v3
	s_delay_alu instid0(VALU_DEP_1) | instskip(SKIP_3) | instid1(VALU_DEP_1)
	v_lshl_or_b32 v3, v3, 4, v2
	ds_add_u32 v27, v28
	ds_add_u32 v3, v28
	v_xor_b32_e32 v3, -1, v9
                                        ; implicit-def: $vgpr27
	v_and_b32_e32 v3, 0xff, v3
	s_cbranch_vccz .LBB82_250
; %bb.249:
	s_delay_alu instid0(VALU_DEP_1) | instskip(SKIP_1) | instid1(VALU_DEP_1)
	v_lshrrev_b32_e32 v27, s2, v3
	s_mov_b32 s9, 0
	v_and_b32_e32 v27, s5, v27
	s_delay_alu instid0(VALU_DEP_1)
	v_lshlrev_b32_e32 v27, 4, v27
.LBB82_250:
	s_and_not1_b32 vcc_lo, exec_lo, s9
	s_cbranch_vccnz .LBB82_252
; %bb.251:
	s_sub_co_i32 s9, s3, s4
	v_dual_lshrrev_b32 v26, s4, v26 :: v_dual_lshrrev_b32 v27, s2, v3
	s_min_u32 s9, s9, 4
	v_lshrrev_b32_e32 v3, s4, v3
	s_lshl_b32 s9, -1, s9
	s_delay_alu instid0(VALU_DEP_2) | instskip(SKIP_1) | instid1(VALU_DEP_3)
	v_dual_mov_b32 v28, 1 :: v_dual_bitop2_b32 v27, s5, v27 bitop3:0x40
	v_bitop3_b32 v26, v26, s9, v26 bitop3:0x30
	v_bitop3_b32 v3, v3, s9, v3 bitop3:0x30
	s_delay_alu instid0(VALU_DEP_3) | instskip(NEXT) | instid1(VALU_DEP_3)
	v_lshl_or_b32 v27, v27, 4, v2
	v_lshl_or_b32 v26, v26, 4, v2
	ds_add_u32 v26, v28 offset:256
	ds_add_u32 v27, v28
	v_lshl_add_u32 v27, v3, 4, 0x100
.LBB82_252:
	s_delay_alu instid0(VALU_DEP_1) | instskip(SKIP_3) | instid1(VALU_DEP_2)
	v_dual_add_nc_u32 v27, v27, v2 :: v_dual_bitop2_b32 v3, -1, v5 bitop3:0x14
	s_and_b32 vcc_lo, exec_lo, s8
	s_mov_b32 s8, -1
	v_mov_b32_e32 v28, 1
	v_and_b32_e32 v26, 0xff, v3
	s_delay_alu instid0(VALU_DEP_1) | instskip(NEXT) | instid1(VALU_DEP_1)
	v_lshrrev_b32_e32 v3, s2, v26
	v_and_b32_e32 v3, s5, v3
	s_delay_alu instid0(VALU_DEP_1) | instskip(SKIP_3) | instid1(VALU_DEP_1)
	v_lshl_or_b32 v3, v3, 4, v2
	ds_add_u32 v27, v28
	ds_add_u32 v3, v28
	v_xor_b32_e32 v3, -1, v4
                                        ; implicit-def: $vgpr27
	v_and_b32_e32 v3, 0xff, v3
	s_cbranch_vccz .LBB82_254
; %bb.253:
	s_delay_alu instid0(VALU_DEP_1) | instskip(SKIP_1) | instid1(VALU_DEP_1)
	v_lshrrev_b32_e32 v27, s2, v3
	s_mov_b32 s8, 0
	v_and_b32_e32 v27, s5, v27
	s_delay_alu instid0(VALU_DEP_1)
	v_lshlrev_b32_e32 v27, 4, v27
.LBB82_254:
	s_and_not1_b32 vcc_lo, exec_lo, s8
	s_cbranch_vccnz .LBB82_256
; %bb.255:
	s_sub_co_i32 s8, s3, s4
	v_dual_lshrrev_b32 v26, s4, v26 :: v_dual_lshrrev_b32 v27, s2, v3
	s_min_u32 s8, s8, 4
	v_mov_b32_e32 v28, 1
	s_lshl_b32 s8, -1, s8
	s_delay_alu instid0(VALU_DEP_2) | instid1(SALU_CYCLE_1)
	v_bitop3_b32 v26, v26, s8, v26 bitop3:0x30
	v_and_b32_e32 v27, s5, v27
	s_delay_alu instid0(VALU_DEP_2) | instskip(NEXT) | instid1(VALU_DEP_2)
	v_lshl_or_b32 v26, v26, 4, v2
	v_lshl_or_b32 v2, v27, 4, v2
	ds_add_u32 v26, v28 offset:256
	ds_add_u32 v2, v28
	v_lshrrev_b32_e32 v2, s4, v3
	s_delay_alu instid0(VALU_DEP_1) | instskip(NEXT) | instid1(VALU_DEP_1)
	v_bitop3_b32 v2, v2, s8, v2 bitop3:0x30
	v_lshl_add_u32 v27, v2, 4, 0x100
.LBB82_256:
	s_delay_alu instid0(VALU_DEP_1)
	v_lshl_add_u32 v2, v1, 2, v27
	v_mov_b32_e32 v3, 1
	ds_add_u32 v2, v3
.LBB82_257:
	s_and_b32 vcc_lo, exec_lo, s1
	s_wait_dscnt 0x0
	s_barrier_signal -1
	s_barrier_wait -1
	s_cbranch_vccz .LBB82_262
; %bb.258:
	v_dual_mov_b32 v3, 0 :: v_dual_lshlrev_b32 v26, 4, v0
	v_mov_b32_e32 v27, v0
	v_cmp_gt_u32_e32 vcc_lo, 16, v0
	s_branch .LBB82_260
.LBB82_259:                             ;   in Loop: Header=BB82_260 Depth=1
	s_wait_xcnt 0x0
	s_or_b32 exec_lo, exec_lo, s1
	v_add_nc_u32_e32 v27, 16, v27
	v_add_nc_u32_e32 v26, 0x100, v26
	s_add_co_i32 s2, s2, 4
	s_delay_alu instid0(SALU_CYCLE_1)
	s_cmp_ge_u32 s2, s3
	s_cbranch_scc1 .LBB82_262
.LBB82_260:                             ; =>This Inner Loop Header: Depth=1
	s_and_saveexec_b32 s1, vcc_lo
	s_cbranch_execz .LBB82_259
; %bb.261:                              ;   in Loop: Header=BB82_260 Depth=1
	ds_load_2addr_b32 v[28:29], v26 offset1:1
	ds_load_2addr_b32 v[30:31], v26 offset0:2 offset1:3
	s_wait_dscnt 0x1
	v_add_nc_u32_e32 v2, v29, v28
	s_wait_dscnt 0x0
	s_delay_alu instid0(VALU_DEP_1)
	v_add3_u32 v2, v2, v30, v31
	global_atomic_add_u64 v27, v[2:3], s[6:7] scale_offset scope:SCOPE_DEV
	s_branch .LBB82_259
.LBB82_262:
	s_mov_b32 s1, 0
.LBB82_263:
	s_delay_alu instid0(SALU_CYCLE_1)
	s_and_b32 vcc_lo, exec_lo, s1
	s_cbranch_vccz .LBB82_268
; %bb.264:
	s_wait_xcnt 0x0
	s_and_saveexec_b32 s1, s0
; %bb.265:
	v_dual_mov_b32 v3, 0 :: v_dual_lshlrev_b32 v2, 2, v0
	ds_store_b32 v2, v3
; %bb.266:
	s_or_b32 exec_lo, exec_lo, s1
	s_wait_loadcnt 0x15
	v_dual_lshlrev_b32 v1, 2, v1 :: v_dual_bitop2_b32 v2, -1, v10 bitop3:0x14
	s_wait_loadcnt 0x14
	v_xor_b32_e32 v3, -1, v11
	s_wait_loadcnt 0x13
	v_xor_b32_e32 v10, -1, v12
	s_wait_loadcnt 0x12
	v_dual_mov_b32 v26, 1 :: v_dual_bitop2_b32 v11, -1, v13 bitop3:0x14
	s_wait_loadcnt 0x11
	v_xor_b32_e32 v12, -1, v14
	s_wait_loadcnt 0x10
	v_xor_b32_e32 v13, -1, v15
	;; [unrolled: 2-line block ×10, first 2 shown]
	s_wait_loadcnt 0x7
	v_dual_lshlrev_b32 v24, 4, v2 :: v_dual_bitop2_b32 v22, -1, v24 bitop3:0x14
	s_wait_loadcnt 0x6
	v_dual_lshlrev_b32 v25, 4, v3 :: v_dual_bitop2_b32 v23, -1, v25 bitop3:0x14
	v_and_or_b32 v2, 0xf0, v2, v1
	s_wait_storecnt 0x0
	s_wait_loadcnt_dscnt 0x0
	v_and_or_b32 v24, 0xf0, v24, v1
	s_barrier_signal -1
	s_barrier_wait -1
	v_and_or_b32 v25, 0xf0, v25, v1
	ds_add_u32 v24, v26
	v_lshlrev_b32_e32 v24, 4, v10
	ds_add_u32 v2, v26 offset:256
	v_and_or_b32 v2, 0xf0, v3, v1
	v_lshlrev_b32_e32 v3, 4, v11
	ds_add_u32 v25, v26
	v_and_or_b32 v24, 0xf0, v24, v1
	v_and_or_b32 v10, 0xf0, v10, v1
	ds_add_u32 v2, v26 offset:256
	v_lshlrev_b32_e32 v2, 4, v12
	v_and_or_b32 v3, 0xf0, v3, v1
	ds_add_u32 v24, v26
	ds_add_u32 v10, v26 offset:256
	v_and_or_b32 v10, 0xf0, v11, v1
	v_and_or_b32 v11, 0xf0, v12, v1
	;; [unrolled: 1-line block ×3, first 2 shown]
	ds_add_u32 v3, v26
	v_lshlrev_b32_e32 v3, 4, v13
	ds_add_u32 v10, v26 offset:256
	ds_add_u32 v2, v26
	v_lshlrev_b32_e32 v2, 4, v14
	ds_add_u32 v11, v26 offset:256
	v_and_or_b32 v3, 0xf0, v3, v1
	v_and_or_b32 v10, 0xf0, v13, v1
	v_lshlrev_b32_e32 v11, 4, v15
	v_and_or_b32 v2, 0xf0, v2, v1
	s_mov_b32 s0, exec_lo
	ds_add_u32 v3, v26
	v_and_or_b32 v3, 0xf0, v14, v1
	ds_add_u32 v10, v26 offset:256
	v_and_or_b32 v10, 0xf0, v11, v1
	ds_add_u32 v2, v26
	v_lshlrev_b32_e32 v2, 4, v16
	ds_add_u32 v3, v26 offset:256
	v_and_or_b32 v3, 0xf0, v15, v1
	ds_add_u32 v10, v26
	v_lshlrev_b32_e32 v10, 4, v17
	v_and_or_b32 v2, 0xf0, v2, v1
	v_and_or_b32 v11, 0xf0, v16, v1
	ds_add_u32 v3, v26 offset:256
	v_lshlrev_b32_e32 v3, 4, v18
	v_and_or_b32 v10, 0xf0, v10, v1
	ds_add_u32 v2, v26
	ds_add_u32 v11, v26 offset:256
	v_and_or_b32 v2, 0xf0, v17, v1
	v_and_or_b32 v11, 0xf0, v18, v1
	;; [unrolled: 1-line block ×3, first 2 shown]
	ds_add_u32 v10, v26
	v_lshlrev_b32_e32 v10, 4, v19
	ds_add_u32 v2, v26 offset:256
	ds_add_u32 v3, v26
	v_lshlrev_b32_e32 v2, 4, v20
	ds_add_u32 v11, v26 offset:256
	v_and_or_b32 v3, 0xf0, v10, v1
	v_and_or_b32 v10, 0xf0, v19, v1
	v_lshlrev_b32_e32 v11, 4, v21
	v_and_or_b32 v2, 0xf0, v2, v1
	v_xor_b32_e32 v7, -1, v7
	ds_add_u32 v3, v26
	v_and_or_b32 v3, 0xf0, v20, v1
	ds_add_u32 v10, v26 offset:256
	v_and_or_b32 v10, 0xf0, v11, v1
	ds_add_u32 v2, v26
	v_lshlrev_b32_e32 v2, 4, v22
	v_xor_b32_e32 v6, -1, v6
	ds_add_u32 v3, v26 offset:256
	v_and_or_b32 v3, 0xf0, v21, v1
	ds_add_u32 v10, v26
	v_lshlrev_b32_e32 v10, 4, v23
	v_and_or_b32 v2, 0xf0, v2, v1
	v_xor_b32_e32 v8, -1, v8
	v_and_or_b32 v11, 0xf0, v22, v1
	ds_add_u32 v3, v26 offset:256
	v_lshlrev_b32_e32 v3, 4, v6
	v_and_or_b32 v10, 0xf0, v10, v1
	ds_add_u32 v2, v26
	ds_add_u32 v11, v26 offset:256
	v_and_or_b32 v2, 0xf0, v23, v1
	v_xor_b32_e32 v9, -1, v9
	v_and_or_b32 v3, 0xf0, v3, v1
	ds_add_u32 v10, v26
	v_lshlrev_b32_e32 v10, 4, v7
	v_and_or_b32 v6, 0xf0, v6, v1
	v_xor_b32_e32 v5, -1, v5
	ds_add_u32 v2, v26 offset:256
	ds_add_u32 v3, v26
	v_lshlrev_b32_e32 v2, 4, v8
	v_and_or_b32 v3, 0xf0, v10, v1
	v_xor_b32_e32 v4, -1, v4
	ds_add_u32 v6, v26 offset:256
	v_and_or_b32 v6, 0xf0, v7, v1
	v_lshlrev_b32_e32 v7, 4, v9
	v_and_or_b32 v2, 0xf0, v2, v1
	ds_add_u32 v3, v26
	v_and_or_b32 v3, 0xf0, v8, v1
	ds_add_u32 v6, v26 offset:256
	v_and_or_b32 v6, 0xf0, v7, v1
	ds_add_u32 v2, v26
	v_lshlrev_b32_e32 v2, 4, v5
	ds_add_u32 v3, v26 offset:256
	v_lshlrev_b32_e32 v3, 4, v4
	ds_add_u32 v6, v26
	v_and_or_b32 v6, 0xf0, v9, v1
	v_and_or_b32 v2, 0xf0, v2, v1
	;; [unrolled: 1-line block ×5, first 2 shown]
	ds_add_u32 v6, v26 offset:256
	ds_add_u32 v2, v26
	ds_add_u32 v5, v26 offset:256
	ds_add_u32 v3, v26
	ds_add_u32 v1, v26 offset:256
	s_wait_dscnt 0x0
	s_barrier_signal -1
	s_barrier_wait -1
	v_cmpx_gt_u32_e32 16, v0
	s_cbranch_execz .LBB82_268
; %bb.267:
	v_lshlrev_b32_e32 v1, 4, v0
	ds_load_2addr_b32 v[2:3], v1 offset1:1
	ds_load_2addr_b32 v[4:5], v1 offset0:2 offset1:3
	s_wait_dscnt 0x1
	v_dual_mov_b32 v3, 0 :: v_dual_add_nc_u32 v2, v3, v2
	s_wait_dscnt 0x0
	s_delay_alu instid0(VALU_DEP_1)
	v_add3_u32 v2, v2, v4, v5
	global_atomic_add_u64 v0, v[2:3], s[6:7] scale_offset scope:SCOPE_DEV
	ds_load_2addr_b32 v[4:5], v1 offset0:64 offset1:65
	ds_load_2addr_b32 v[6:7], v1 offset0:66 offset1:67
	s_wait_dscnt 0x1
	v_add_nc_u32_e32 v1, v5, v4
	s_wait_dscnt 0x0
	s_wait_xcnt 0x0
	s_delay_alu instid0(VALU_DEP_1)
	v_add3_u32 v2, v1, v6, v7
	global_atomic_add_u64 v0, v[2:3], s[6:7] offset:128 scale_offset scope:SCOPE_DEV
.LBB82_268:
	s_endpgm
	.section	.rodata,"a",@progbits
	.p2align	6, 0x0
	.amdhsa_kernel _ZN7rocprim17ROCPRIM_400000_NS6detail17trampoline_kernelINS0_14default_configENS1_35radix_sort_onesweep_config_selectorIhNS0_10empty_typeEEEZNS1_34radix_sort_onesweep_global_offsetsIS3_Lb1EPKhPS5_mNS0_19identity_decomposerEEE10hipError_tT1_T2_PT3_SF_jT4_jjP12ihipStream_tbEUlT_E_NS1_11comp_targetILNS1_3genE0ELNS1_11target_archE4294967295ELNS1_3gpuE0ELNS1_3repE0EEENS1_52radix_sort_onesweep_histogram_config_static_selectorELNS0_4arch9wavefront6targetE0EEEvSD_
		.amdhsa_group_segment_fixed_size 512
		.amdhsa_private_segment_fixed_size 0
		.amdhsa_kernarg_size 48
		.amdhsa_user_sgpr_count 2
		.amdhsa_user_sgpr_dispatch_ptr 0
		.amdhsa_user_sgpr_queue_ptr 0
		.amdhsa_user_sgpr_kernarg_segment_ptr 1
		.amdhsa_user_sgpr_dispatch_id 0
		.amdhsa_user_sgpr_kernarg_preload_length 0
		.amdhsa_user_sgpr_kernarg_preload_offset 0
		.amdhsa_user_sgpr_private_segment_size 0
		.amdhsa_wavefront_size32 1
		.amdhsa_uses_dynamic_stack 0
		.amdhsa_enable_private_segment 0
		.amdhsa_system_sgpr_workgroup_id_x 1
		.amdhsa_system_sgpr_workgroup_id_y 0
		.amdhsa_system_sgpr_workgroup_id_z 0
		.amdhsa_system_sgpr_workgroup_info 0
		.amdhsa_system_vgpr_workitem_id 0
		.amdhsa_next_free_vgpr 47
		.amdhsa_next_free_sgpr 13
		.amdhsa_named_barrier_count 0
		.amdhsa_reserve_vcc 1
		.amdhsa_float_round_mode_32 0
		.amdhsa_float_round_mode_16_64 0
		.amdhsa_float_denorm_mode_32 3
		.amdhsa_float_denorm_mode_16_64 3
		.amdhsa_fp16_overflow 0
		.amdhsa_memory_ordered 1
		.amdhsa_forward_progress 1
		.amdhsa_inst_pref_size 90
		.amdhsa_round_robin_scheduling 0
		.amdhsa_exception_fp_ieee_invalid_op 0
		.amdhsa_exception_fp_denorm_src 0
		.amdhsa_exception_fp_ieee_div_zero 0
		.amdhsa_exception_fp_ieee_overflow 0
		.amdhsa_exception_fp_ieee_underflow 0
		.amdhsa_exception_fp_ieee_inexact 0
		.amdhsa_exception_int_div_zero 0
	.end_amdhsa_kernel
	.section	.text._ZN7rocprim17ROCPRIM_400000_NS6detail17trampoline_kernelINS0_14default_configENS1_35radix_sort_onesweep_config_selectorIhNS0_10empty_typeEEEZNS1_34radix_sort_onesweep_global_offsetsIS3_Lb1EPKhPS5_mNS0_19identity_decomposerEEE10hipError_tT1_T2_PT3_SF_jT4_jjP12ihipStream_tbEUlT_E_NS1_11comp_targetILNS1_3genE0ELNS1_11target_archE4294967295ELNS1_3gpuE0ELNS1_3repE0EEENS1_52radix_sort_onesweep_histogram_config_static_selectorELNS0_4arch9wavefront6targetE0EEEvSD_,"axG",@progbits,_ZN7rocprim17ROCPRIM_400000_NS6detail17trampoline_kernelINS0_14default_configENS1_35radix_sort_onesweep_config_selectorIhNS0_10empty_typeEEEZNS1_34radix_sort_onesweep_global_offsetsIS3_Lb1EPKhPS5_mNS0_19identity_decomposerEEE10hipError_tT1_T2_PT3_SF_jT4_jjP12ihipStream_tbEUlT_E_NS1_11comp_targetILNS1_3genE0ELNS1_11target_archE4294967295ELNS1_3gpuE0ELNS1_3repE0EEENS1_52radix_sort_onesweep_histogram_config_static_selectorELNS0_4arch9wavefront6targetE0EEEvSD_,comdat
.Lfunc_end82:
	.size	_ZN7rocprim17ROCPRIM_400000_NS6detail17trampoline_kernelINS0_14default_configENS1_35radix_sort_onesweep_config_selectorIhNS0_10empty_typeEEEZNS1_34radix_sort_onesweep_global_offsetsIS3_Lb1EPKhPS5_mNS0_19identity_decomposerEEE10hipError_tT1_T2_PT3_SF_jT4_jjP12ihipStream_tbEUlT_E_NS1_11comp_targetILNS1_3genE0ELNS1_11target_archE4294967295ELNS1_3gpuE0ELNS1_3repE0EEENS1_52radix_sort_onesweep_histogram_config_static_selectorELNS0_4arch9wavefront6targetE0EEEvSD_, .Lfunc_end82-_ZN7rocprim17ROCPRIM_400000_NS6detail17trampoline_kernelINS0_14default_configENS1_35radix_sort_onesweep_config_selectorIhNS0_10empty_typeEEEZNS1_34radix_sort_onesweep_global_offsetsIS3_Lb1EPKhPS5_mNS0_19identity_decomposerEEE10hipError_tT1_T2_PT3_SF_jT4_jjP12ihipStream_tbEUlT_E_NS1_11comp_targetILNS1_3genE0ELNS1_11target_archE4294967295ELNS1_3gpuE0ELNS1_3repE0EEENS1_52radix_sort_onesweep_histogram_config_static_selectorELNS0_4arch9wavefront6targetE0EEEvSD_
                                        ; -- End function
	.set _ZN7rocprim17ROCPRIM_400000_NS6detail17trampoline_kernelINS0_14default_configENS1_35radix_sort_onesweep_config_selectorIhNS0_10empty_typeEEEZNS1_34radix_sort_onesweep_global_offsetsIS3_Lb1EPKhPS5_mNS0_19identity_decomposerEEE10hipError_tT1_T2_PT3_SF_jT4_jjP12ihipStream_tbEUlT_E_NS1_11comp_targetILNS1_3genE0ELNS1_11target_archE4294967295ELNS1_3gpuE0ELNS1_3repE0EEENS1_52radix_sort_onesweep_histogram_config_static_selectorELNS0_4arch9wavefront6targetE0EEEvSD_.num_vgpr, 47
	.set _ZN7rocprim17ROCPRIM_400000_NS6detail17trampoline_kernelINS0_14default_configENS1_35radix_sort_onesweep_config_selectorIhNS0_10empty_typeEEEZNS1_34radix_sort_onesweep_global_offsetsIS3_Lb1EPKhPS5_mNS0_19identity_decomposerEEE10hipError_tT1_T2_PT3_SF_jT4_jjP12ihipStream_tbEUlT_E_NS1_11comp_targetILNS1_3genE0ELNS1_11target_archE4294967295ELNS1_3gpuE0ELNS1_3repE0EEENS1_52radix_sort_onesweep_histogram_config_static_selectorELNS0_4arch9wavefront6targetE0EEEvSD_.num_agpr, 0
	.set _ZN7rocprim17ROCPRIM_400000_NS6detail17trampoline_kernelINS0_14default_configENS1_35radix_sort_onesweep_config_selectorIhNS0_10empty_typeEEEZNS1_34radix_sort_onesweep_global_offsetsIS3_Lb1EPKhPS5_mNS0_19identity_decomposerEEE10hipError_tT1_T2_PT3_SF_jT4_jjP12ihipStream_tbEUlT_E_NS1_11comp_targetILNS1_3genE0ELNS1_11target_archE4294967295ELNS1_3gpuE0ELNS1_3repE0EEENS1_52radix_sort_onesweep_histogram_config_static_selectorELNS0_4arch9wavefront6targetE0EEEvSD_.numbered_sgpr, 13
	.set _ZN7rocprim17ROCPRIM_400000_NS6detail17trampoline_kernelINS0_14default_configENS1_35radix_sort_onesweep_config_selectorIhNS0_10empty_typeEEEZNS1_34radix_sort_onesweep_global_offsetsIS3_Lb1EPKhPS5_mNS0_19identity_decomposerEEE10hipError_tT1_T2_PT3_SF_jT4_jjP12ihipStream_tbEUlT_E_NS1_11comp_targetILNS1_3genE0ELNS1_11target_archE4294967295ELNS1_3gpuE0ELNS1_3repE0EEENS1_52radix_sort_onesweep_histogram_config_static_selectorELNS0_4arch9wavefront6targetE0EEEvSD_.num_named_barrier, 0
	.set _ZN7rocprim17ROCPRIM_400000_NS6detail17trampoline_kernelINS0_14default_configENS1_35radix_sort_onesweep_config_selectorIhNS0_10empty_typeEEEZNS1_34radix_sort_onesweep_global_offsetsIS3_Lb1EPKhPS5_mNS0_19identity_decomposerEEE10hipError_tT1_T2_PT3_SF_jT4_jjP12ihipStream_tbEUlT_E_NS1_11comp_targetILNS1_3genE0ELNS1_11target_archE4294967295ELNS1_3gpuE0ELNS1_3repE0EEENS1_52radix_sort_onesweep_histogram_config_static_selectorELNS0_4arch9wavefront6targetE0EEEvSD_.private_seg_size, 0
	.set _ZN7rocprim17ROCPRIM_400000_NS6detail17trampoline_kernelINS0_14default_configENS1_35radix_sort_onesweep_config_selectorIhNS0_10empty_typeEEEZNS1_34radix_sort_onesweep_global_offsetsIS3_Lb1EPKhPS5_mNS0_19identity_decomposerEEE10hipError_tT1_T2_PT3_SF_jT4_jjP12ihipStream_tbEUlT_E_NS1_11comp_targetILNS1_3genE0ELNS1_11target_archE4294967295ELNS1_3gpuE0ELNS1_3repE0EEENS1_52radix_sort_onesweep_histogram_config_static_selectorELNS0_4arch9wavefront6targetE0EEEvSD_.uses_vcc, 1
	.set _ZN7rocprim17ROCPRIM_400000_NS6detail17trampoline_kernelINS0_14default_configENS1_35radix_sort_onesweep_config_selectorIhNS0_10empty_typeEEEZNS1_34radix_sort_onesweep_global_offsetsIS3_Lb1EPKhPS5_mNS0_19identity_decomposerEEE10hipError_tT1_T2_PT3_SF_jT4_jjP12ihipStream_tbEUlT_E_NS1_11comp_targetILNS1_3genE0ELNS1_11target_archE4294967295ELNS1_3gpuE0ELNS1_3repE0EEENS1_52radix_sort_onesweep_histogram_config_static_selectorELNS0_4arch9wavefront6targetE0EEEvSD_.uses_flat_scratch, 0
	.set _ZN7rocprim17ROCPRIM_400000_NS6detail17trampoline_kernelINS0_14default_configENS1_35radix_sort_onesweep_config_selectorIhNS0_10empty_typeEEEZNS1_34radix_sort_onesweep_global_offsetsIS3_Lb1EPKhPS5_mNS0_19identity_decomposerEEE10hipError_tT1_T2_PT3_SF_jT4_jjP12ihipStream_tbEUlT_E_NS1_11comp_targetILNS1_3genE0ELNS1_11target_archE4294967295ELNS1_3gpuE0ELNS1_3repE0EEENS1_52radix_sort_onesweep_histogram_config_static_selectorELNS0_4arch9wavefront6targetE0EEEvSD_.has_dyn_sized_stack, 0
	.set _ZN7rocprim17ROCPRIM_400000_NS6detail17trampoline_kernelINS0_14default_configENS1_35radix_sort_onesweep_config_selectorIhNS0_10empty_typeEEEZNS1_34radix_sort_onesweep_global_offsetsIS3_Lb1EPKhPS5_mNS0_19identity_decomposerEEE10hipError_tT1_T2_PT3_SF_jT4_jjP12ihipStream_tbEUlT_E_NS1_11comp_targetILNS1_3genE0ELNS1_11target_archE4294967295ELNS1_3gpuE0ELNS1_3repE0EEENS1_52radix_sort_onesweep_histogram_config_static_selectorELNS0_4arch9wavefront6targetE0EEEvSD_.has_recursion, 0
	.set _ZN7rocprim17ROCPRIM_400000_NS6detail17trampoline_kernelINS0_14default_configENS1_35radix_sort_onesweep_config_selectorIhNS0_10empty_typeEEEZNS1_34radix_sort_onesweep_global_offsetsIS3_Lb1EPKhPS5_mNS0_19identity_decomposerEEE10hipError_tT1_T2_PT3_SF_jT4_jjP12ihipStream_tbEUlT_E_NS1_11comp_targetILNS1_3genE0ELNS1_11target_archE4294967295ELNS1_3gpuE0ELNS1_3repE0EEENS1_52radix_sort_onesweep_histogram_config_static_selectorELNS0_4arch9wavefront6targetE0EEEvSD_.has_indirect_call, 0
	.section	.AMDGPU.csdata,"",@progbits
; Kernel info:
; codeLenInByte = 11424
; TotalNumSgprs: 15
; NumVgprs: 47
; ScratchSize: 0
; MemoryBound: 0
; FloatMode: 240
; IeeeMode: 1
; LDSByteSize: 512 bytes/workgroup (compile time only)
; SGPRBlocks: 0
; VGPRBlocks: 2
; NumSGPRsForWavesPerEU: 15
; NumVGPRsForWavesPerEU: 47
; NamedBarCnt: 0
; Occupancy: 16
; WaveLimiterHint : 1
; COMPUTE_PGM_RSRC2:SCRATCH_EN: 0
; COMPUTE_PGM_RSRC2:USER_SGPR: 2
; COMPUTE_PGM_RSRC2:TRAP_HANDLER: 0
; COMPUTE_PGM_RSRC2:TGID_X_EN: 1
; COMPUTE_PGM_RSRC2:TGID_Y_EN: 0
; COMPUTE_PGM_RSRC2:TGID_Z_EN: 0
; COMPUTE_PGM_RSRC2:TIDIG_COMP_CNT: 0
	.section	.text._ZN7rocprim17ROCPRIM_400000_NS6detail17trampoline_kernelINS0_14default_configENS1_35radix_sort_onesweep_config_selectorIhNS0_10empty_typeEEEZNS1_34radix_sort_onesweep_global_offsetsIS3_Lb1EPKhPS5_mNS0_19identity_decomposerEEE10hipError_tT1_T2_PT3_SF_jT4_jjP12ihipStream_tbEUlT_E_NS1_11comp_targetILNS1_3genE6ELNS1_11target_archE950ELNS1_3gpuE13ELNS1_3repE0EEENS1_52radix_sort_onesweep_histogram_config_static_selectorELNS0_4arch9wavefront6targetE0EEEvSD_,"axG",@progbits,_ZN7rocprim17ROCPRIM_400000_NS6detail17trampoline_kernelINS0_14default_configENS1_35radix_sort_onesweep_config_selectorIhNS0_10empty_typeEEEZNS1_34radix_sort_onesweep_global_offsetsIS3_Lb1EPKhPS5_mNS0_19identity_decomposerEEE10hipError_tT1_T2_PT3_SF_jT4_jjP12ihipStream_tbEUlT_E_NS1_11comp_targetILNS1_3genE6ELNS1_11target_archE950ELNS1_3gpuE13ELNS1_3repE0EEENS1_52radix_sort_onesweep_histogram_config_static_selectorELNS0_4arch9wavefront6targetE0EEEvSD_,comdat
	.protected	_ZN7rocprim17ROCPRIM_400000_NS6detail17trampoline_kernelINS0_14default_configENS1_35radix_sort_onesweep_config_selectorIhNS0_10empty_typeEEEZNS1_34radix_sort_onesweep_global_offsetsIS3_Lb1EPKhPS5_mNS0_19identity_decomposerEEE10hipError_tT1_T2_PT3_SF_jT4_jjP12ihipStream_tbEUlT_E_NS1_11comp_targetILNS1_3genE6ELNS1_11target_archE950ELNS1_3gpuE13ELNS1_3repE0EEENS1_52radix_sort_onesweep_histogram_config_static_selectorELNS0_4arch9wavefront6targetE0EEEvSD_ ; -- Begin function _ZN7rocprim17ROCPRIM_400000_NS6detail17trampoline_kernelINS0_14default_configENS1_35radix_sort_onesweep_config_selectorIhNS0_10empty_typeEEEZNS1_34radix_sort_onesweep_global_offsetsIS3_Lb1EPKhPS5_mNS0_19identity_decomposerEEE10hipError_tT1_T2_PT3_SF_jT4_jjP12ihipStream_tbEUlT_E_NS1_11comp_targetILNS1_3genE6ELNS1_11target_archE950ELNS1_3gpuE13ELNS1_3repE0EEENS1_52radix_sort_onesweep_histogram_config_static_selectorELNS0_4arch9wavefront6targetE0EEEvSD_
	.globl	_ZN7rocprim17ROCPRIM_400000_NS6detail17trampoline_kernelINS0_14default_configENS1_35radix_sort_onesweep_config_selectorIhNS0_10empty_typeEEEZNS1_34radix_sort_onesweep_global_offsetsIS3_Lb1EPKhPS5_mNS0_19identity_decomposerEEE10hipError_tT1_T2_PT3_SF_jT4_jjP12ihipStream_tbEUlT_E_NS1_11comp_targetILNS1_3genE6ELNS1_11target_archE950ELNS1_3gpuE13ELNS1_3repE0EEENS1_52radix_sort_onesweep_histogram_config_static_selectorELNS0_4arch9wavefront6targetE0EEEvSD_
	.p2align	8
	.type	_ZN7rocprim17ROCPRIM_400000_NS6detail17trampoline_kernelINS0_14default_configENS1_35radix_sort_onesweep_config_selectorIhNS0_10empty_typeEEEZNS1_34radix_sort_onesweep_global_offsetsIS3_Lb1EPKhPS5_mNS0_19identity_decomposerEEE10hipError_tT1_T2_PT3_SF_jT4_jjP12ihipStream_tbEUlT_E_NS1_11comp_targetILNS1_3genE6ELNS1_11target_archE950ELNS1_3gpuE13ELNS1_3repE0EEENS1_52radix_sort_onesweep_histogram_config_static_selectorELNS0_4arch9wavefront6targetE0EEEvSD_,@function
_ZN7rocprim17ROCPRIM_400000_NS6detail17trampoline_kernelINS0_14default_configENS1_35radix_sort_onesweep_config_selectorIhNS0_10empty_typeEEEZNS1_34radix_sort_onesweep_global_offsetsIS3_Lb1EPKhPS5_mNS0_19identity_decomposerEEE10hipError_tT1_T2_PT3_SF_jT4_jjP12ihipStream_tbEUlT_E_NS1_11comp_targetILNS1_3genE6ELNS1_11target_archE950ELNS1_3gpuE13ELNS1_3repE0EEENS1_52radix_sort_onesweep_histogram_config_static_selectorELNS0_4arch9wavefront6targetE0EEEvSD_: ; @_ZN7rocprim17ROCPRIM_400000_NS6detail17trampoline_kernelINS0_14default_configENS1_35radix_sort_onesweep_config_selectorIhNS0_10empty_typeEEEZNS1_34radix_sort_onesweep_global_offsetsIS3_Lb1EPKhPS5_mNS0_19identity_decomposerEEE10hipError_tT1_T2_PT3_SF_jT4_jjP12ihipStream_tbEUlT_E_NS1_11comp_targetILNS1_3genE6ELNS1_11target_archE950ELNS1_3gpuE13ELNS1_3repE0EEENS1_52radix_sort_onesweep_histogram_config_static_selectorELNS0_4arch9wavefront6targetE0EEEvSD_
; %bb.0:
	.section	.rodata,"a",@progbits
	.p2align	6, 0x0
	.amdhsa_kernel _ZN7rocprim17ROCPRIM_400000_NS6detail17trampoline_kernelINS0_14default_configENS1_35radix_sort_onesweep_config_selectorIhNS0_10empty_typeEEEZNS1_34radix_sort_onesweep_global_offsetsIS3_Lb1EPKhPS5_mNS0_19identity_decomposerEEE10hipError_tT1_T2_PT3_SF_jT4_jjP12ihipStream_tbEUlT_E_NS1_11comp_targetILNS1_3genE6ELNS1_11target_archE950ELNS1_3gpuE13ELNS1_3repE0EEENS1_52radix_sort_onesweep_histogram_config_static_selectorELNS0_4arch9wavefront6targetE0EEEvSD_
		.amdhsa_group_segment_fixed_size 0
		.amdhsa_private_segment_fixed_size 0
		.amdhsa_kernarg_size 48
		.amdhsa_user_sgpr_count 2
		.amdhsa_user_sgpr_dispatch_ptr 0
		.amdhsa_user_sgpr_queue_ptr 0
		.amdhsa_user_sgpr_kernarg_segment_ptr 1
		.amdhsa_user_sgpr_dispatch_id 0
		.amdhsa_user_sgpr_kernarg_preload_length 0
		.amdhsa_user_sgpr_kernarg_preload_offset 0
		.amdhsa_user_sgpr_private_segment_size 0
		.amdhsa_wavefront_size32 1
		.amdhsa_uses_dynamic_stack 0
		.amdhsa_enable_private_segment 0
		.amdhsa_system_sgpr_workgroup_id_x 1
		.amdhsa_system_sgpr_workgroup_id_y 0
		.amdhsa_system_sgpr_workgroup_id_z 0
		.amdhsa_system_sgpr_workgroup_info 0
		.amdhsa_system_vgpr_workitem_id 0
		.amdhsa_next_free_vgpr 1
		.amdhsa_next_free_sgpr 1
		.amdhsa_named_barrier_count 0
		.amdhsa_reserve_vcc 0
		.amdhsa_float_round_mode_32 0
		.amdhsa_float_round_mode_16_64 0
		.amdhsa_float_denorm_mode_32 3
		.amdhsa_float_denorm_mode_16_64 3
		.amdhsa_fp16_overflow 0
		.amdhsa_memory_ordered 1
		.amdhsa_forward_progress 1
		.amdhsa_inst_pref_size 0
		.amdhsa_round_robin_scheduling 0
		.amdhsa_exception_fp_ieee_invalid_op 0
		.amdhsa_exception_fp_denorm_src 0
		.amdhsa_exception_fp_ieee_div_zero 0
		.amdhsa_exception_fp_ieee_overflow 0
		.amdhsa_exception_fp_ieee_underflow 0
		.amdhsa_exception_fp_ieee_inexact 0
		.amdhsa_exception_int_div_zero 0
	.end_amdhsa_kernel
	.section	.text._ZN7rocprim17ROCPRIM_400000_NS6detail17trampoline_kernelINS0_14default_configENS1_35radix_sort_onesweep_config_selectorIhNS0_10empty_typeEEEZNS1_34radix_sort_onesweep_global_offsetsIS3_Lb1EPKhPS5_mNS0_19identity_decomposerEEE10hipError_tT1_T2_PT3_SF_jT4_jjP12ihipStream_tbEUlT_E_NS1_11comp_targetILNS1_3genE6ELNS1_11target_archE950ELNS1_3gpuE13ELNS1_3repE0EEENS1_52radix_sort_onesweep_histogram_config_static_selectorELNS0_4arch9wavefront6targetE0EEEvSD_,"axG",@progbits,_ZN7rocprim17ROCPRIM_400000_NS6detail17trampoline_kernelINS0_14default_configENS1_35radix_sort_onesweep_config_selectorIhNS0_10empty_typeEEEZNS1_34radix_sort_onesweep_global_offsetsIS3_Lb1EPKhPS5_mNS0_19identity_decomposerEEE10hipError_tT1_T2_PT3_SF_jT4_jjP12ihipStream_tbEUlT_E_NS1_11comp_targetILNS1_3genE6ELNS1_11target_archE950ELNS1_3gpuE13ELNS1_3repE0EEENS1_52radix_sort_onesweep_histogram_config_static_selectorELNS0_4arch9wavefront6targetE0EEEvSD_,comdat
.Lfunc_end83:
	.size	_ZN7rocprim17ROCPRIM_400000_NS6detail17trampoline_kernelINS0_14default_configENS1_35radix_sort_onesweep_config_selectorIhNS0_10empty_typeEEEZNS1_34radix_sort_onesweep_global_offsetsIS3_Lb1EPKhPS5_mNS0_19identity_decomposerEEE10hipError_tT1_T2_PT3_SF_jT4_jjP12ihipStream_tbEUlT_E_NS1_11comp_targetILNS1_3genE6ELNS1_11target_archE950ELNS1_3gpuE13ELNS1_3repE0EEENS1_52radix_sort_onesweep_histogram_config_static_selectorELNS0_4arch9wavefront6targetE0EEEvSD_, .Lfunc_end83-_ZN7rocprim17ROCPRIM_400000_NS6detail17trampoline_kernelINS0_14default_configENS1_35radix_sort_onesweep_config_selectorIhNS0_10empty_typeEEEZNS1_34radix_sort_onesweep_global_offsetsIS3_Lb1EPKhPS5_mNS0_19identity_decomposerEEE10hipError_tT1_T2_PT3_SF_jT4_jjP12ihipStream_tbEUlT_E_NS1_11comp_targetILNS1_3genE6ELNS1_11target_archE950ELNS1_3gpuE13ELNS1_3repE0EEENS1_52radix_sort_onesweep_histogram_config_static_selectorELNS0_4arch9wavefront6targetE0EEEvSD_
                                        ; -- End function
	.set _ZN7rocprim17ROCPRIM_400000_NS6detail17trampoline_kernelINS0_14default_configENS1_35radix_sort_onesweep_config_selectorIhNS0_10empty_typeEEEZNS1_34radix_sort_onesweep_global_offsetsIS3_Lb1EPKhPS5_mNS0_19identity_decomposerEEE10hipError_tT1_T2_PT3_SF_jT4_jjP12ihipStream_tbEUlT_E_NS1_11comp_targetILNS1_3genE6ELNS1_11target_archE950ELNS1_3gpuE13ELNS1_3repE0EEENS1_52radix_sort_onesweep_histogram_config_static_selectorELNS0_4arch9wavefront6targetE0EEEvSD_.num_vgpr, 0
	.set _ZN7rocprim17ROCPRIM_400000_NS6detail17trampoline_kernelINS0_14default_configENS1_35radix_sort_onesweep_config_selectorIhNS0_10empty_typeEEEZNS1_34radix_sort_onesweep_global_offsetsIS3_Lb1EPKhPS5_mNS0_19identity_decomposerEEE10hipError_tT1_T2_PT3_SF_jT4_jjP12ihipStream_tbEUlT_E_NS1_11comp_targetILNS1_3genE6ELNS1_11target_archE950ELNS1_3gpuE13ELNS1_3repE0EEENS1_52radix_sort_onesweep_histogram_config_static_selectorELNS0_4arch9wavefront6targetE0EEEvSD_.num_agpr, 0
	.set _ZN7rocprim17ROCPRIM_400000_NS6detail17trampoline_kernelINS0_14default_configENS1_35radix_sort_onesweep_config_selectorIhNS0_10empty_typeEEEZNS1_34radix_sort_onesweep_global_offsetsIS3_Lb1EPKhPS5_mNS0_19identity_decomposerEEE10hipError_tT1_T2_PT3_SF_jT4_jjP12ihipStream_tbEUlT_E_NS1_11comp_targetILNS1_3genE6ELNS1_11target_archE950ELNS1_3gpuE13ELNS1_3repE0EEENS1_52radix_sort_onesweep_histogram_config_static_selectorELNS0_4arch9wavefront6targetE0EEEvSD_.numbered_sgpr, 0
	.set _ZN7rocprim17ROCPRIM_400000_NS6detail17trampoline_kernelINS0_14default_configENS1_35radix_sort_onesweep_config_selectorIhNS0_10empty_typeEEEZNS1_34radix_sort_onesweep_global_offsetsIS3_Lb1EPKhPS5_mNS0_19identity_decomposerEEE10hipError_tT1_T2_PT3_SF_jT4_jjP12ihipStream_tbEUlT_E_NS1_11comp_targetILNS1_3genE6ELNS1_11target_archE950ELNS1_3gpuE13ELNS1_3repE0EEENS1_52radix_sort_onesweep_histogram_config_static_selectorELNS0_4arch9wavefront6targetE0EEEvSD_.num_named_barrier, 0
	.set _ZN7rocprim17ROCPRIM_400000_NS6detail17trampoline_kernelINS0_14default_configENS1_35radix_sort_onesweep_config_selectorIhNS0_10empty_typeEEEZNS1_34radix_sort_onesweep_global_offsetsIS3_Lb1EPKhPS5_mNS0_19identity_decomposerEEE10hipError_tT1_T2_PT3_SF_jT4_jjP12ihipStream_tbEUlT_E_NS1_11comp_targetILNS1_3genE6ELNS1_11target_archE950ELNS1_3gpuE13ELNS1_3repE0EEENS1_52radix_sort_onesweep_histogram_config_static_selectorELNS0_4arch9wavefront6targetE0EEEvSD_.private_seg_size, 0
	.set _ZN7rocprim17ROCPRIM_400000_NS6detail17trampoline_kernelINS0_14default_configENS1_35radix_sort_onesweep_config_selectorIhNS0_10empty_typeEEEZNS1_34radix_sort_onesweep_global_offsetsIS3_Lb1EPKhPS5_mNS0_19identity_decomposerEEE10hipError_tT1_T2_PT3_SF_jT4_jjP12ihipStream_tbEUlT_E_NS1_11comp_targetILNS1_3genE6ELNS1_11target_archE950ELNS1_3gpuE13ELNS1_3repE0EEENS1_52radix_sort_onesweep_histogram_config_static_selectorELNS0_4arch9wavefront6targetE0EEEvSD_.uses_vcc, 0
	.set _ZN7rocprim17ROCPRIM_400000_NS6detail17trampoline_kernelINS0_14default_configENS1_35radix_sort_onesweep_config_selectorIhNS0_10empty_typeEEEZNS1_34radix_sort_onesweep_global_offsetsIS3_Lb1EPKhPS5_mNS0_19identity_decomposerEEE10hipError_tT1_T2_PT3_SF_jT4_jjP12ihipStream_tbEUlT_E_NS1_11comp_targetILNS1_3genE6ELNS1_11target_archE950ELNS1_3gpuE13ELNS1_3repE0EEENS1_52radix_sort_onesweep_histogram_config_static_selectorELNS0_4arch9wavefront6targetE0EEEvSD_.uses_flat_scratch, 0
	.set _ZN7rocprim17ROCPRIM_400000_NS6detail17trampoline_kernelINS0_14default_configENS1_35radix_sort_onesweep_config_selectorIhNS0_10empty_typeEEEZNS1_34radix_sort_onesweep_global_offsetsIS3_Lb1EPKhPS5_mNS0_19identity_decomposerEEE10hipError_tT1_T2_PT3_SF_jT4_jjP12ihipStream_tbEUlT_E_NS1_11comp_targetILNS1_3genE6ELNS1_11target_archE950ELNS1_3gpuE13ELNS1_3repE0EEENS1_52radix_sort_onesweep_histogram_config_static_selectorELNS0_4arch9wavefront6targetE0EEEvSD_.has_dyn_sized_stack, 0
	.set _ZN7rocprim17ROCPRIM_400000_NS6detail17trampoline_kernelINS0_14default_configENS1_35radix_sort_onesweep_config_selectorIhNS0_10empty_typeEEEZNS1_34radix_sort_onesweep_global_offsetsIS3_Lb1EPKhPS5_mNS0_19identity_decomposerEEE10hipError_tT1_T2_PT3_SF_jT4_jjP12ihipStream_tbEUlT_E_NS1_11comp_targetILNS1_3genE6ELNS1_11target_archE950ELNS1_3gpuE13ELNS1_3repE0EEENS1_52radix_sort_onesweep_histogram_config_static_selectorELNS0_4arch9wavefront6targetE0EEEvSD_.has_recursion, 0
	.set _ZN7rocprim17ROCPRIM_400000_NS6detail17trampoline_kernelINS0_14default_configENS1_35radix_sort_onesweep_config_selectorIhNS0_10empty_typeEEEZNS1_34radix_sort_onesweep_global_offsetsIS3_Lb1EPKhPS5_mNS0_19identity_decomposerEEE10hipError_tT1_T2_PT3_SF_jT4_jjP12ihipStream_tbEUlT_E_NS1_11comp_targetILNS1_3genE6ELNS1_11target_archE950ELNS1_3gpuE13ELNS1_3repE0EEENS1_52radix_sort_onesweep_histogram_config_static_selectorELNS0_4arch9wavefront6targetE0EEEvSD_.has_indirect_call, 0
	.section	.AMDGPU.csdata,"",@progbits
; Kernel info:
; codeLenInByte = 0
; TotalNumSgprs: 0
; NumVgprs: 0
; ScratchSize: 0
; MemoryBound: 0
; FloatMode: 240
; IeeeMode: 1
; LDSByteSize: 0 bytes/workgroup (compile time only)
; SGPRBlocks: 0
; VGPRBlocks: 0
; NumSGPRsForWavesPerEU: 1
; NumVGPRsForWavesPerEU: 1
; NamedBarCnt: 0
; Occupancy: 16
; WaveLimiterHint : 0
; COMPUTE_PGM_RSRC2:SCRATCH_EN: 0
; COMPUTE_PGM_RSRC2:USER_SGPR: 2
; COMPUTE_PGM_RSRC2:TRAP_HANDLER: 0
; COMPUTE_PGM_RSRC2:TGID_X_EN: 1
; COMPUTE_PGM_RSRC2:TGID_Y_EN: 0
; COMPUTE_PGM_RSRC2:TGID_Z_EN: 0
; COMPUTE_PGM_RSRC2:TIDIG_COMP_CNT: 0
	.section	.text._ZN7rocprim17ROCPRIM_400000_NS6detail17trampoline_kernelINS0_14default_configENS1_35radix_sort_onesweep_config_selectorIhNS0_10empty_typeEEEZNS1_34radix_sort_onesweep_global_offsetsIS3_Lb1EPKhPS5_mNS0_19identity_decomposerEEE10hipError_tT1_T2_PT3_SF_jT4_jjP12ihipStream_tbEUlT_E_NS1_11comp_targetILNS1_3genE5ELNS1_11target_archE942ELNS1_3gpuE9ELNS1_3repE0EEENS1_52radix_sort_onesweep_histogram_config_static_selectorELNS0_4arch9wavefront6targetE0EEEvSD_,"axG",@progbits,_ZN7rocprim17ROCPRIM_400000_NS6detail17trampoline_kernelINS0_14default_configENS1_35radix_sort_onesweep_config_selectorIhNS0_10empty_typeEEEZNS1_34radix_sort_onesweep_global_offsetsIS3_Lb1EPKhPS5_mNS0_19identity_decomposerEEE10hipError_tT1_T2_PT3_SF_jT4_jjP12ihipStream_tbEUlT_E_NS1_11comp_targetILNS1_3genE5ELNS1_11target_archE942ELNS1_3gpuE9ELNS1_3repE0EEENS1_52radix_sort_onesweep_histogram_config_static_selectorELNS0_4arch9wavefront6targetE0EEEvSD_,comdat
	.protected	_ZN7rocprim17ROCPRIM_400000_NS6detail17trampoline_kernelINS0_14default_configENS1_35radix_sort_onesweep_config_selectorIhNS0_10empty_typeEEEZNS1_34radix_sort_onesweep_global_offsetsIS3_Lb1EPKhPS5_mNS0_19identity_decomposerEEE10hipError_tT1_T2_PT3_SF_jT4_jjP12ihipStream_tbEUlT_E_NS1_11comp_targetILNS1_3genE5ELNS1_11target_archE942ELNS1_3gpuE9ELNS1_3repE0EEENS1_52radix_sort_onesweep_histogram_config_static_selectorELNS0_4arch9wavefront6targetE0EEEvSD_ ; -- Begin function _ZN7rocprim17ROCPRIM_400000_NS6detail17trampoline_kernelINS0_14default_configENS1_35radix_sort_onesweep_config_selectorIhNS0_10empty_typeEEEZNS1_34radix_sort_onesweep_global_offsetsIS3_Lb1EPKhPS5_mNS0_19identity_decomposerEEE10hipError_tT1_T2_PT3_SF_jT4_jjP12ihipStream_tbEUlT_E_NS1_11comp_targetILNS1_3genE5ELNS1_11target_archE942ELNS1_3gpuE9ELNS1_3repE0EEENS1_52radix_sort_onesweep_histogram_config_static_selectorELNS0_4arch9wavefront6targetE0EEEvSD_
	.globl	_ZN7rocprim17ROCPRIM_400000_NS6detail17trampoline_kernelINS0_14default_configENS1_35radix_sort_onesweep_config_selectorIhNS0_10empty_typeEEEZNS1_34radix_sort_onesweep_global_offsetsIS3_Lb1EPKhPS5_mNS0_19identity_decomposerEEE10hipError_tT1_T2_PT3_SF_jT4_jjP12ihipStream_tbEUlT_E_NS1_11comp_targetILNS1_3genE5ELNS1_11target_archE942ELNS1_3gpuE9ELNS1_3repE0EEENS1_52radix_sort_onesweep_histogram_config_static_selectorELNS0_4arch9wavefront6targetE0EEEvSD_
	.p2align	8
	.type	_ZN7rocprim17ROCPRIM_400000_NS6detail17trampoline_kernelINS0_14default_configENS1_35radix_sort_onesweep_config_selectorIhNS0_10empty_typeEEEZNS1_34radix_sort_onesweep_global_offsetsIS3_Lb1EPKhPS5_mNS0_19identity_decomposerEEE10hipError_tT1_T2_PT3_SF_jT4_jjP12ihipStream_tbEUlT_E_NS1_11comp_targetILNS1_3genE5ELNS1_11target_archE942ELNS1_3gpuE9ELNS1_3repE0EEENS1_52radix_sort_onesweep_histogram_config_static_selectorELNS0_4arch9wavefront6targetE0EEEvSD_,@function
_ZN7rocprim17ROCPRIM_400000_NS6detail17trampoline_kernelINS0_14default_configENS1_35radix_sort_onesweep_config_selectorIhNS0_10empty_typeEEEZNS1_34radix_sort_onesweep_global_offsetsIS3_Lb1EPKhPS5_mNS0_19identity_decomposerEEE10hipError_tT1_T2_PT3_SF_jT4_jjP12ihipStream_tbEUlT_E_NS1_11comp_targetILNS1_3genE5ELNS1_11target_archE942ELNS1_3gpuE9ELNS1_3repE0EEENS1_52radix_sort_onesweep_histogram_config_static_selectorELNS0_4arch9wavefront6targetE0EEEvSD_: ; @_ZN7rocprim17ROCPRIM_400000_NS6detail17trampoline_kernelINS0_14default_configENS1_35radix_sort_onesweep_config_selectorIhNS0_10empty_typeEEEZNS1_34radix_sort_onesweep_global_offsetsIS3_Lb1EPKhPS5_mNS0_19identity_decomposerEEE10hipError_tT1_T2_PT3_SF_jT4_jjP12ihipStream_tbEUlT_E_NS1_11comp_targetILNS1_3genE5ELNS1_11target_archE942ELNS1_3gpuE9ELNS1_3repE0EEENS1_52radix_sort_onesweep_histogram_config_static_selectorELNS0_4arch9wavefront6targetE0EEEvSD_
; %bb.0:
	.section	.rodata,"a",@progbits
	.p2align	6, 0x0
	.amdhsa_kernel _ZN7rocprim17ROCPRIM_400000_NS6detail17trampoline_kernelINS0_14default_configENS1_35radix_sort_onesweep_config_selectorIhNS0_10empty_typeEEEZNS1_34radix_sort_onesweep_global_offsetsIS3_Lb1EPKhPS5_mNS0_19identity_decomposerEEE10hipError_tT1_T2_PT3_SF_jT4_jjP12ihipStream_tbEUlT_E_NS1_11comp_targetILNS1_3genE5ELNS1_11target_archE942ELNS1_3gpuE9ELNS1_3repE0EEENS1_52radix_sort_onesweep_histogram_config_static_selectorELNS0_4arch9wavefront6targetE0EEEvSD_
		.amdhsa_group_segment_fixed_size 0
		.amdhsa_private_segment_fixed_size 0
		.amdhsa_kernarg_size 48
		.amdhsa_user_sgpr_count 2
		.amdhsa_user_sgpr_dispatch_ptr 0
		.amdhsa_user_sgpr_queue_ptr 0
		.amdhsa_user_sgpr_kernarg_segment_ptr 1
		.amdhsa_user_sgpr_dispatch_id 0
		.amdhsa_user_sgpr_kernarg_preload_length 0
		.amdhsa_user_sgpr_kernarg_preload_offset 0
		.amdhsa_user_sgpr_private_segment_size 0
		.amdhsa_wavefront_size32 1
		.amdhsa_uses_dynamic_stack 0
		.amdhsa_enable_private_segment 0
		.amdhsa_system_sgpr_workgroup_id_x 1
		.amdhsa_system_sgpr_workgroup_id_y 0
		.amdhsa_system_sgpr_workgroup_id_z 0
		.amdhsa_system_sgpr_workgroup_info 0
		.amdhsa_system_vgpr_workitem_id 0
		.amdhsa_next_free_vgpr 1
		.amdhsa_next_free_sgpr 1
		.amdhsa_named_barrier_count 0
		.amdhsa_reserve_vcc 0
		.amdhsa_float_round_mode_32 0
		.amdhsa_float_round_mode_16_64 0
		.amdhsa_float_denorm_mode_32 3
		.amdhsa_float_denorm_mode_16_64 3
		.amdhsa_fp16_overflow 0
		.amdhsa_memory_ordered 1
		.amdhsa_forward_progress 1
		.amdhsa_inst_pref_size 0
		.amdhsa_round_robin_scheduling 0
		.amdhsa_exception_fp_ieee_invalid_op 0
		.amdhsa_exception_fp_denorm_src 0
		.amdhsa_exception_fp_ieee_div_zero 0
		.amdhsa_exception_fp_ieee_overflow 0
		.amdhsa_exception_fp_ieee_underflow 0
		.amdhsa_exception_fp_ieee_inexact 0
		.amdhsa_exception_int_div_zero 0
	.end_amdhsa_kernel
	.section	.text._ZN7rocprim17ROCPRIM_400000_NS6detail17trampoline_kernelINS0_14default_configENS1_35radix_sort_onesweep_config_selectorIhNS0_10empty_typeEEEZNS1_34radix_sort_onesweep_global_offsetsIS3_Lb1EPKhPS5_mNS0_19identity_decomposerEEE10hipError_tT1_T2_PT3_SF_jT4_jjP12ihipStream_tbEUlT_E_NS1_11comp_targetILNS1_3genE5ELNS1_11target_archE942ELNS1_3gpuE9ELNS1_3repE0EEENS1_52radix_sort_onesweep_histogram_config_static_selectorELNS0_4arch9wavefront6targetE0EEEvSD_,"axG",@progbits,_ZN7rocprim17ROCPRIM_400000_NS6detail17trampoline_kernelINS0_14default_configENS1_35radix_sort_onesweep_config_selectorIhNS0_10empty_typeEEEZNS1_34radix_sort_onesweep_global_offsetsIS3_Lb1EPKhPS5_mNS0_19identity_decomposerEEE10hipError_tT1_T2_PT3_SF_jT4_jjP12ihipStream_tbEUlT_E_NS1_11comp_targetILNS1_3genE5ELNS1_11target_archE942ELNS1_3gpuE9ELNS1_3repE0EEENS1_52radix_sort_onesweep_histogram_config_static_selectorELNS0_4arch9wavefront6targetE0EEEvSD_,comdat
.Lfunc_end84:
	.size	_ZN7rocprim17ROCPRIM_400000_NS6detail17trampoline_kernelINS0_14default_configENS1_35radix_sort_onesweep_config_selectorIhNS0_10empty_typeEEEZNS1_34radix_sort_onesweep_global_offsetsIS3_Lb1EPKhPS5_mNS0_19identity_decomposerEEE10hipError_tT1_T2_PT3_SF_jT4_jjP12ihipStream_tbEUlT_E_NS1_11comp_targetILNS1_3genE5ELNS1_11target_archE942ELNS1_3gpuE9ELNS1_3repE0EEENS1_52radix_sort_onesweep_histogram_config_static_selectorELNS0_4arch9wavefront6targetE0EEEvSD_, .Lfunc_end84-_ZN7rocprim17ROCPRIM_400000_NS6detail17trampoline_kernelINS0_14default_configENS1_35radix_sort_onesweep_config_selectorIhNS0_10empty_typeEEEZNS1_34radix_sort_onesweep_global_offsetsIS3_Lb1EPKhPS5_mNS0_19identity_decomposerEEE10hipError_tT1_T2_PT3_SF_jT4_jjP12ihipStream_tbEUlT_E_NS1_11comp_targetILNS1_3genE5ELNS1_11target_archE942ELNS1_3gpuE9ELNS1_3repE0EEENS1_52radix_sort_onesweep_histogram_config_static_selectorELNS0_4arch9wavefront6targetE0EEEvSD_
                                        ; -- End function
	.set _ZN7rocprim17ROCPRIM_400000_NS6detail17trampoline_kernelINS0_14default_configENS1_35radix_sort_onesweep_config_selectorIhNS0_10empty_typeEEEZNS1_34radix_sort_onesweep_global_offsetsIS3_Lb1EPKhPS5_mNS0_19identity_decomposerEEE10hipError_tT1_T2_PT3_SF_jT4_jjP12ihipStream_tbEUlT_E_NS1_11comp_targetILNS1_3genE5ELNS1_11target_archE942ELNS1_3gpuE9ELNS1_3repE0EEENS1_52radix_sort_onesweep_histogram_config_static_selectorELNS0_4arch9wavefront6targetE0EEEvSD_.num_vgpr, 0
	.set _ZN7rocprim17ROCPRIM_400000_NS6detail17trampoline_kernelINS0_14default_configENS1_35radix_sort_onesweep_config_selectorIhNS0_10empty_typeEEEZNS1_34radix_sort_onesweep_global_offsetsIS3_Lb1EPKhPS5_mNS0_19identity_decomposerEEE10hipError_tT1_T2_PT3_SF_jT4_jjP12ihipStream_tbEUlT_E_NS1_11comp_targetILNS1_3genE5ELNS1_11target_archE942ELNS1_3gpuE9ELNS1_3repE0EEENS1_52radix_sort_onesweep_histogram_config_static_selectorELNS0_4arch9wavefront6targetE0EEEvSD_.num_agpr, 0
	.set _ZN7rocprim17ROCPRIM_400000_NS6detail17trampoline_kernelINS0_14default_configENS1_35radix_sort_onesweep_config_selectorIhNS0_10empty_typeEEEZNS1_34radix_sort_onesweep_global_offsetsIS3_Lb1EPKhPS5_mNS0_19identity_decomposerEEE10hipError_tT1_T2_PT3_SF_jT4_jjP12ihipStream_tbEUlT_E_NS1_11comp_targetILNS1_3genE5ELNS1_11target_archE942ELNS1_3gpuE9ELNS1_3repE0EEENS1_52radix_sort_onesweep_histogram_config_static_selectorELNS0_4arch9wavefront6targetE0EEEvSD_.numbered_sgpr, 0
	.set _ZN7rocprim17ROCPRIM_400000_NS6detail17trampoline_kernelINS0_14default_configENS1_35radix_sort_onesweep_config_selectorIhNS0_10empty_typeEEEZNS1_34radix_sort_onesweep_global_offsetsIS3_Lb1EPKhPS5_mNS0_19identity_decomposerEEE10hipError_tT1_T2_PT3_SF_jT4_jjP12ihipStream_tbEUlT_E_NS1_11comp_targetILNS1_3genE5ELNS1_11target_archE942ELNS1_3gpuE9ELNS1_3repE0EEENS1_52radix_sort_onesweep_histogram_config_static_selectorELNS0_4arch9wavefront6targetE0EEEvSD_.num_named_barrier, 0
	.set _ZN7rocprim17ROCPRIM_400000_NS6detail17trampoline_kernelINS0_14default_configENS1_35radix_sort_onesweep_config_selectorIhNS0_10empty_typeEEEZNS1_34radix_sort_onesweep_global_offsetsIS3_Lb1EPKhPS5_mNS0_19identity_decomposerEEE10hipError_tT1_T2_PT3_SF_jT4_jjP12ihipStream_tbEUlT_E_NS1_11comp_targetILNS1_3genE5ELNS1_11target_archE942ELNS1_3gpuE9ELNS1_3repE0EEENS1_52radix_sort_onesweep_histogram_config_static_selectorELNS0_4arch9wavefront6targetE0EEEvSD_.private_seg_size, 0
	.set _ZN7rocprim17ROCPRIM_400000_NS6detail17trampoline_kernelINS0_14default_configENS1_35radix_sort_onesweep_config_selectorIhNS0_10empty_typeEEEZNS1_34radix_sort_onesweep_global_offsetsIS3_Lb1EPKhPS5_mNS0_19identity_decomposerEEE10hipError_tT1_T2_PT3_SF_jT4_jjP12ihipStream_tbEUlT_E_NS1_11comp_targetILNS1_3genE5ELNS1_11target_archE942ELNS1_3gpuE9ELNS1_3repE0EEENS1_52radix_sort_onesweep_histogram_config_static_selectorELNS0_4arch9wavefront6targetE0EEEvSD_.uses_vcc, 0
	.set _ZN7rocprim17ROCPRIM_400000_NS6detail17trampoline_kernelINS0_14default_configENS1_35radix_sort_onesweep_config_selectorIhNS0_10empty_typeEEEZNS1_34radix_sort_onesweep_global_offsetsIS3_Lb1EPKhPS5_mNS0_19identity_decomposerEEE10hipError_tT1_T2_PT3_SF_jT4_jjP12ihipStream_tbEUlT_E_NS1_11comp_targetILNS1_3genE5ELNS1_11target_archE942ELNS1_3gpuE9ELNS1_3repE0EEENS1_52radix_sort_onesweep_histogram_config_static_selectorELNS0_4arch9wavefront6targetE0EEEvSD_.uses_flat_scratch, 0
	.set _ZN7rocprim17ROCPRIM_400000_NS6detail17trampoline_kernelINS0_14default_configENS1_35radix_sort_onesweep_config_selectorIhNS0_10empty_typeEEEZNS1_34radix_sort_onesweep_global_offsetsIS3_Lb1EPKhPS5_mNS0_19identity_decomposerEEE10hipError_tT1_T2_PT3_SF_jT4_jjP12ihipStream_tbEUlT_E_NS1_11comp_targetILNS1_3genE5ELNS1_11target_archE942ELNS1_3gpuE9ELNS1_3repE0EEENS1_52radix_sort_onesweep_histogram_config_static_selectorELNS0_4arch9wavefront6targetE0EEEvSD_.has_dyn_sized_stack, 0
	.set _ZN7rocprim17ROCPRIM_400000_NS6detail17trampoline_kernelINS0_14default_configENS1_35radix_sort_onesweep_config_selectorIhNS0_10empty_typeEEEZNS1_34radix_sort_onesweep_global_offsetsIS3_Lb1EPKhPS5_mNS0_19identity_decomposerEEE10hipError_tT1_T2_PT3_SF_jT4_jjP12ihipStream_tbEUlT_E_NS1_11comp_targetILNS1_3genE5ELNS1_11target_archE942ELNS1_3gpuE9ELNS1_3repE0EEENS1_52radix_sort_onesweep_histogram_config_static_selectorELNS0_4arch9wavefront6targetE0EEEvSD_.has_recursion, 0
	.set _ZN7rocprim17ROCPRIM_400000_NS6detail17trampoline_kernelINS0_14default_configENS1_35radix_sort_onesweep_config_selectorIhNS0_10empty_typeEEEZNS1_34radix_sort_onesweep_global_offsetsIS3_Lb1EPKhPS5_mNS0_19identity_decomposerEEE10hipError_tT1_T2_PT3_SF_jT4_jjP12ihipStream_tbEUlT_E_NS1_11comp_targetILNS1_3genE5ELNS1_11target_archE942ELNS1_3gpuE9ELNS1_3repE0EEENS1_52radix_sort_onesweep_histogram_config_static_selectorELNS0_4arch9wavefront6targetE0EEEvSD_.has_indirect_call, 0
	.section	.AMDGPU.csdata,"",@progbits
; Kernel info:
; codeLenInByte = 0
; TotalNumSgprs: 0
; NumVgprs: 0
; ScratchSize: 0
; MemoryBound: 0
; FloatMode: 240
; IeeeMode: 1
; LDSByteSize: 0 bytes/workgroup (compile time only)
; SGPRBlocks: 0
; VGPRBlocks: 0
; NumSGPRsForWavesPerEU: 1
; NumVGPRsForWavesPerEU: 1
; NamedBarCnt: 0
; Occupancy: 16
; WaveLimiterHint : 0
; COMPUTE_PGM_RSRC2:SCRATCH_EN: 0
; COMPUTE_PGM_RSRC2:USER_SGPR: 2
; COMPUTE_PGM_RSRC2:TRAP_HANDLER: 0
; COMPUTE_PGM_RSRC2:TGID_X_EN: 1
; COMPUTE_PGM_RSRC2:TGID_Y_EN: 0
; COMPUTE_PGM_RSRC2:TGID_Z_EN: 0
; COMPUTE_PGM_RSRC2:TIDIG_COMP_CNT: 0
	.section	.text._ZN7rocprim17ROCPRIM_400000_NS6detail17trampoline_kernelINS0_14default_configENS1_35radix_sort_onesweep_config_selectorIhNS0_10empty_typeEEEZNS1_34radix_sort_onesweep_global_offsetsIS3_Lb1EPKhPS5_mNS0_19identity_decomposerEEE10hipError_tT1_T2_PT3_SF_jT4_jjP12ihipStream_tbEUlT_E_NS1_11comp_targetILNS1_3genE2ELNS1_11target_archE906ELNS1_3gpuE6ELNS1_3repE0EEENS1_52radix_sort_onesweep_histogram_config_static_selectorELNS0_4arch9wavefront6targetE0EEEvSD_,"axG",@progbits,_ZN7rocprim17ROCPRIM_400000_NS6detail17trampoline_kernelINS0_14default_configENS1_35radix_sort_onesweep_config_selectorIhNS0_10empty_typeEEEZNS1_34radix_sort_onesweep_global_offsetsIS3_Lb1EPKhPS5_mNS0_19identity_decomposerEEE10hipError_tT1_T2_PT3_SF_jT4_jjP12ihipStream_tbEUlT_E_NS1_11comp_targetILNS1_3genE2ELNS1_11target_archE906ELNS1_3gpuE6ELNS1_3repE0EEENS1_52radix_sort_onesweep_histogram_config_static_selectorELNS0_4arch9wavefront6targetE0EEEvSD_,comdat
	.protected	_ZN7rocprim17ROCPRIM_400000_NS6detail17trampoline_kernelINS0_14default_configENS1_35radix_sort_onesweep_config_selectorIhNS0_10empty_typeEEEZNS1_34radix_sort_onesweep_global_offsetsIS3_Lb1EPKhPS5_mNS0_19identity_decomposerEEE10hipError_tT1_T2_PT3_SF_jT4_jjP12ihipStream_tbEUlT_E_NS1_11comp_targetILNS1_3genE2ELNS1_11target_archE906ELNS1_3gpuE6ELNS1_3repE0EEENS1_52radix_sort_onesweep_histogram_config_static_selectorELNS0_4arch9wavefront6targetE0EEEvSD_ ; -- Begin function _ZN7rocprim17ROCPRIM_400000_NS6detail17trampoline_kernelINS0_14default_configENS1_35radix_sort_onesweep_config_selectorIhNS0_10empty_typeEEEZNS1_34radix_sort_onesweep_global_offsetsIS3_Lb1EPKhPS5_mNS0_19identity_decomposerEEE10hipError_tT1_T2_PT3_SF_jT4_jjP12ihipStream_tbEUlT_E_NS1_11comp_targetILNS1_3genE2ELNS1_11target_archE906ELNS1_3gpuE6ELNS1_3repE0EEENS1_52radix_sort_onesweep_histogram_config_static_selectorELNS0_4arch9wavefront6targetE0EEEvSD_
	.globl	_ZN7rocprim17ROCPRIM_400000_NS6detail17trampoline_kernelINS0_14default_configENS1_35radix_sort_onesweep_config_selectorIhNS0_10empty_typeEEEZNS1_34radix_sort_onesweep_global_offsetsIS3_Lb1EPKhPS5_mNS0_19identity_decomposerEEE10hipError_tT1_T2_PT3_SF_jT4_jjP12ihipStream_tbEUlT_E_NS1_11comp_targetILNS1_3genE2ELNS1_11target_archE906ELNS1_3gpuE6ELNS1_3repE0EEENS1_52radix_sort_onesweep_histogram_config_static_selectorELNS0_4arch9wavefront6targetE0EEEvSD_
	.p2align	8
	.type	_ZN7rocprim17ROCPRIM_400000_NS6detail17trampoline_kernelINS0_14default_configENS1_35radix_sort_onesweep_config_selectorIhNS0_10empty_typeEEEZNS1_34radix_sort_onesweep_global_offsetsIS3_Lb1EPKhPS5_mNS0_19identity_decomposerEEE10hipError_tT1_T2_PT3_SF_jT4_jjP12ihipStream_tbEUlT_E_NS1_11comp_targetILNS1_3genE2ELNS1_11target_archE906ELNS1_3gpuE6ELNS1_3repE0EEENS1_52radix_sort_onesweep_histogram_config_static_selectorELNS0_4arch9wavefront6targetE0EEEvSD_,@function
_ZN7rocprim17ROCPRIM_400000_NS6detail17trampoline_kernelINS0_14default_configENS1_35radix_sort_onesweep_config_selectorIhNS0_10empty_typeEEEZNS1_34radix_sort_onesweep_global_offsetsIS3_Lb1EPKhPS5_mNS0_19identity_decomposerEEE10hipError_tT1_T2_PT3_SF_jT4_jjP12ihipStream_tbEUlT_E_NS1_11comp_targetILNS1_3genE2ELNS1_11target_archE906ELNS1_3gpuE6ELNS1_3repE0EEENS1_52radix_sort_onesweep_histogram_config_static_selectorELNS0_4arch9wavefront6targetE0EEEvSD_: ; @_ZN7rocprim17ROCPRIM_400000_NS6detail17trampoline_kernelINS0_14default_configENS1_35radix_sort_onesweep_config_selectorIhNS0_10empty_typeEEEZNS1_34radix_sort_onesweep_global_offsetsIS3_Lb1EPKhPS5_mNS0_19identity_decomposerEEE10hipError_tT1_T2_PT3_SF_jT4_jjP12ihipStream_tbEUlT_E_NS1_11comp_targetILNS1_3genE2ELNS1_11target_archE906ELNS1_3gpuE6ELNS1_3repE0EEENS1_52radix_sort_onesweep_histogram_config_static_selectorELNS0_4arch9wavefront6targetE0EEEvSD_
; %bb.0:
	.section	.rodata,"a",@progbits
	.p2align	6, 0x0
	.amdhsa_kernel _ZN7rocprim17ROCPRIM_400000_NS6detail17trampoline_kernelINS0_14default_configENS1_35radix_sort_onesweep_config_selectorIhNS0_10empty_typeEEEZNS1_34radix_sort_onesweep_global_offsetsIS3_Lb1EPKhPS5_mNS0_19identity_decomposerEEE10hipError_tT1_T2_PT3_SF_jT4_jjP12ihipStream_tbEUlT_E_NS1_11comp_targetILNS1_3genE2ELNS1_11target_archE906ELNS1_3gpuE6ELNS1_3repE0EEENS1_52radix_sort_onesweep_histogram_config_static_selectorELNS0_4arch9wavefront6targetE0EEEvSD_
		.amdhsa_group_segment_fixed_size 0
		.amdhsa_private_segment_fixed_size 0
		.amdhsa_kernarg_size 48
		.amdhsa_user_sgpr_count 2
		.amdhsa_user_sgpr_dispatch_ptr 0
		.amdhsa_user_sgpr_queue_ptr 0
		.amdhsa_user_sgpr_kernarg_segment_ptr 1
		.amdhsa_user_sgpr_dispatch_id 0
		.amdhsa_user_sgpr_kernarg_preload_length 0
		.amdhsa_user_sgpr_kernarg_preload_offset 0
		.amdhsa_user_sgpr_private_segment_size 0
		.amdhsa_wavefront_size32 1
		.amdhsa_uses_dynamic_stack 0
		.amdhsa_enable_private_segment 0
		.amdhsa_system_sgpr_workgroup_id_x 1
		.amdhsa_system_sgpr_workgroup_id_y 0
		.amdhsa_system_sgpr_workgroup_id_z 0
		.amdhsa_system_sgpr_workgroup_info 0
		.amdhsa_system_vgpr_workitem_id 0
		.amdhsa_next_free_vgpr 1
		.amdhsa_next_free_sgpr 1
		.amdhsa_named_barrier_count 0
		.amdhsa_reserve_vcc 0
		.amdhsa_float_round_mode_32 0
		.amdhsa_float_round_mode_16_64 0
		.amdhsa_float_denorm_mode_32 3
		.amdhsa_float_denorm_mode_16_64 3
		.amdhsa_fp16_overflow 0
		.amdhsa_memory_ordered 1
		.amdhsa_forward_progress 1
		.amdhsa_inst_pref_size 0
		.amdhsa_round_robin_scheduling 0
		.amdhsa_exception_fp_ieee_invalid_op 0
		.amdhsa_exception_fp_denorm_src 0
		.amdhsa_exception_fp_ieee_div_zero 0
		.amdhsa_exception_fp_ieee_overflow 0
		.amdhsa_exception_fp_ieee_underflow 0
		.amdhsa_exception_fp_ieee_inexact 0
		.amdhsa_exception_int_div_zero 0
	.end_amdhsa_kernel
	.section	.text._ZN7rocprim17ROCPRIM_400000_NS6detail17trampoline_kernelINS0_14default_configENS1_35radix_sort_onesweep_config_selectorIhNS0_10empty_typeEEEZNS1_34radix_sort_onesweep_global_offsetsIS3_Lb1EPKhPS5_mNS0_19identity_decomposerEEE10hipError_tT1_T2_PT3_SF_jT4_jjP12ihipStream_tbEUlT_E_NS1_11comp_targetILNS1_3genE2ELNS1_11target_archE906ELNS1_3gpuE6ELNS1_3repE0EEENS1_52radix_sort_onesweep_histogram_config_static_selectorELNS0_4arch9wavefront6targetE0EEEvSD_,"axG",@progbits,_ZN7rocprim17ROCPRIM_400000_NS6detail17trampoline_kernelINS0_14default_configENS1_35radix_sort_onesweep_config_selectorIhNS0_10empty_typeEEEZNS1_34radix_sort_onesweep_global_offsetsIS3_Lb1EPKhPS5_mNS0_19identity_decomposerEEE10hipError_tT1_T2_PT3_SF_jT4_jjP12ihipStream_tbEUlT_E_NS1_11comp_targetILNS1_3genE2ELNS1_11target_archE906ELNS1_3gpuE6ELNS1_3repE0EEENS1_52radix_sort_onesweep_histogram_config_static_selectorELNS0_4arch9wavefront6targetE0EEEvSD_,comdat
.Lfunc_end85:
	.size	_ZN7rocprim17ROCPRIM_400000_NS6detail17trampoline_kernelINS0_14default_configENS1_35radix_sort_onesweep_config_selectorIhNS0_10empty_typeEEEZNS1_34radix_sort_onesweep_global_offsetsIS3_Lb1EPKhPS5_mNS0_19identity_decomposerEEE10hipError_tT1_T2_PT3_SF_jT4_jjP12ihipStream_tbEUlT_E_NS1_11comp_targetILNS1_3genE2ELNS1_11target_archE906ELNS1_3gpuE6ELNS1_3repE0EEENS1_52radix_sort_onesweep_histogram_config_static_selectorELNS0_4arch9wavefront6targetE0EEEvSD_, .Lfunc_end85-_ZN7rocprim17ROCPRIM_400000_NS6detail17trampoline_kernelINS0_14default_configENS1_35radix_sort_onesweep_config_selectorIhNS0_10empty_typeEEEZNS1_34radix_sort_onesweep_global_offsetsIS3_Lb1EPKhPS5_mNS0_19identity_decomposerEEE10hipError_tT1_T2_PT3_SF_jT4_jjP12ihipStream_tbEUlT_E_NS1_11comp_targetILNS1_3genE2ELNS1_11target_archE906ELNS1_3gpuE6ELNS1_3repE0EEENS1_52radix_sort_onesweep_histogram_config_static_selectorELNS0_4arch9wavefront6targetE0EEEvSD_
                                        ; -- End function
	.set _ZN7rocprim17ROCPRIM_400000_NS6detail17trampoline_kernelINS0_14default_configENS1_35radix_sort_onesweep_config_selectorIhNS0_10empty_typeEEEZNS1_34radix_sort_onesweep_global_offsetsIS3_Lb1EPKhPS5_mNS0_19identity_decomposerEEE10hipError_tT1_T2_PT3_SF_jT4_jjP12ihipStream_tbEUlT_E_NS1_11comp_targetILNS1_3genE2ELNS1_11target_archE906ELNS1_3gpuE6ELNS1_3repE0EEENS1_52radix_sort_onesweep_histogram_config_static_selectorELNS0_4arch9wavefront6targetE0EEEvSD_.num_vgpr, 0
	.set _ZN7rocprim17ROCPRIM_400000_NS6detail17trampoline_kernelINS0_14default_configENS1_35radix_sort_onesweep_config_selectorIhNS0_10empty_typeEEEZNS1_34radix_sort_onesweep_global_offsetsIS3_Lb1EPKhPS5_mNS0_19identity_decomposerEEE10hipError_tT1_T2_PT3_SF_jT4_jjP12ihipStream_tbEUlT_E_NS1_11comp_targetILNS1_3genE2ELNS1_11target_archE906ELNS1_3gpuE6ELNS1_3repE0EEENS1_52radix_sort_onesweep_histogram_config_static_selectorELNS0_4arch9wavefront6targetE0EEEvSD_.num_agpr, 0
	.set _ZN7rocprim17ROCPRIM_400000_NS6detail17trampoline_kernelINS0_14default_configENS1_35radix_sort_onesweep_config_selectorIhNS0_10empty_typeEEEZNS1_34radix_sort_onesweep_global_offsetsIS3_Lb1EPKhPS5_mNS0_19identity_decomposerEEE10hipError_tT1_T2_PT3_SF_jT4_jjP12ihipStream_tbEUlT_E_NS1_11comp_targetILNS1_3genE2ELNS1_11target_archE906ELNS1_3gpuE6ELNS1_3repE0EEENS1_52radix_sort_onesweep_histogram_config_static_selectorELNS0_4arch9wavefront6targetE0EEEvSD_.numbered_sgpr, 0
	.set _ZN7rocprim17ROCPRIM_400000_NS6detail17trampoline_kernelINS0_14default_configENS1_35radix_sort_onesweep_config_selectorIhNS0_10empty_typeEEEZNS1_34radix_sort_onesweep_global_offsetsIS3_Lb1EPKhPS5_mNS0_19identity_decomposerEEE10hipError_tT1_T2_PT3_SF_jT4_jjP12ihipStream_tbEUlT_E_NS1_11comp_targetILNS1_3genE2ELNS1_11target_archE906ELNS1_3gpuE6ELNS1_3repE0EEENS1_52radix_sort_onesweep_histogram_config_static_selectorELNS0_4arch9wavefront6targetE0EEEvSD_.num_named_barrier, 0
	.set _ZN7rocprim17ROCPRIM_400000_NS6detail17trampoline_kernelINS0_14default_configENS1_35radix_sort_onesweep_config_selectorIhNS0_10empty_typeEEEZNS1_34radix_sort_onesweep_global_offsetsIS3_Lb1EPKhPS5_mNS0_19identity_decomposerEEE10hipError_tT1_T2_PT3_SF_jT4_jjP12ihipStream_tbEUlT_E_NS1_11comp_targetILNS1_3genE2ELNS1_11target_archE906ELNS1_3gpuE6ELNS1_3repE0EEENS1_52radix_sort_onesweep_histogram_config_static_selectorELNS0_4arch9wavefront6targetE0EEEvSD_.private_seg_size, 0
	.set _ZN7rocprim17ROCPRIM_400000_NS6detail17trampoline_kernelINS0_14default_configENS1_35radix_sort_onesweep_config_selectorIhNS0_10empty_typeEEEZNS1_34radix_sort_onesweep_global_offsetsIS3_Lb1EPKhPS5_mNS0_19identity_decomposerEEE10hipError_tT1_T2_PT3_SF_jT4_jjP12ihipStream_tbEUlT_E_NS1_11comp_targetILNS1_3genE2ELNS1_11target_archE906ELNS1_3gpuE6ELNS1_3repE0EEENS1_52radix_sort_onesweep_histogram_config_static_selectorELNS0_4arch9wavefront6targetE0EEEvSD_.uses_vcc, 0
	.set _ZN7rocprim17ROCPRIM_400000_NS6detail17trampoline_kernelINS0_14default_configENS1_35radix_sort_onesweep_config_selectorIhNS0_10empty_typeEEEZNS1_34radix_sort_onesweep_global_offsetsIS3_Lb1EPKhPS5_mNS0_19identity_decomposerEEE10hipError_tT1_T2_PT3_SF_jT4_jjP12ihipStream_tbEUlT_E_NS1_11comp_targetILNS1_3genE2ELNS1_11target_archE906ELNS1_3gpuE6ELNS1_3repE0EEENS1_52radix_sort_onesweep_histogram_config_static_selectorELNS0_4arch9wavefront6targetE0EEEvSD_.uses_flat_scratch, 0
	.set _ZN7rocprim17ROCPRIM_400000_NS6detail17trampoline_kernelINS0_14default_configENS1_35radix_sort_onesweep_config_selectorIhNS0_10empty_typeEEEZNS1_34radix_sort_onesweep_global_offsetsIS3_Lb1EPKhPS5_mNS0_19identity_decomposerEEE10hipError_tT1_T2_PT3_SF_jT4_jjP12ihipStream_tbEUlT_E_NS1_11comp_targetILNS1_3genE2ELNS1_11target_archE906ELNS1_3gpuE6ELNS1_3repE0EEENS1_52radix_sort_onesweep_histogram_config_static_selectorELNS0_4arch9wavefront6targetE0EEEvSD_.has_dyn_sized_stack, 0
	.set _ZN7rocprim17ROCPRIM_400000_NS6detail17trampoline_kernelINS0_14default_configENS1_35radix_sort_onesweep_config_selectorIhNS0_10empty_typeEEEZNS1_34radix_sort_onesweep_global_offsetsIS3_Lb1EPKhPS5_mNS0_19identity_decomposerEEE10hipError_tT1_T2_PT3_SF_jT4_jjP12ihipStream_tbEUlT_E_NS1_11comp_targetILNS1_3genE2ELNS1_11target_archE906ELNS1_3gpuE6ELNS1_3repE0EEENS1_52radix_sort_onesweep_histogram_config_static_selectorELNS0_4arch9wavefront6targetE0EEEvSD_.has_recursion, 0
	.set _ZN7rocprim17ROCPRIM_400000_NS6detail17trampoline_kernelINS0_14default_configENS1_35radix_sort_onesweep_config_selectorIhNS0_10empty_typeEEEZNS1_34radix_sort_onesweep_global_offsetsIS3_Lb1EPKhPS5_mNS0_19identity_decomposerEEE10hipError_tT1_T2_PT3_SF_jT4_jjP12ihipStream_tbEUlT_E_NS1_11comp_targetILNS1_3genE2ELNS1_11target_archE906ELNS1_3gpuE6ELNS1_3repE0EEENS1_52radix_sort_onesweep_histogram_config_static_selectorELNS0_4arch9wavefront6targetE0EEEvSD_.has_indirect_call, 0
	.section	.AMDGPU.csdata,"",@progbits
; Kernel info:
; codeLenInByte = 0
; TotalNumSgprs: 0
; NumVgprs: 0
; ScratchSize: 0
; MemoryBound: 0
; FloatMode: 240
; IeeeMode: 1
; LDSByteSize: 0 bytes/workgroup (compile time only)
; SGPRBlocks: 0
; VGPRBlocks: 0
; NumSGPRsForWavesPerEU: 1
; NumVGPRsForWavesPerEU: 1
; NamedBarCnt: 0
; Occupancy: 16
; WaveLimiterHint : 0
; COMPUTE_PGM_RSRC2:SCRATCH_EN: 0
; COMPUTE_PGM_RSRC2:USER_SGPR: 2
; COMPUTE_PGM_RSRC2:TRAP_HANDLER: 0
; COMPUTE_PGM_RSRC2:TGID_X_EN: 1
; COMPUTE_PGM_RSRC2:TGID_Y_EN: 0
; COMPUTE_PGM_RSRC2:TGID_Z_EN: 0
; COMPUTE_PGM_RSRC2:TIDIG_COMP_CNT: 0
	.section	.text._ZN7rocprim17ROCPRIM_400000_NS6detail17trampoline_kernelINS0_14default_configENS1_35radix_sort_onesweep_config_selectorIhNS0_10empty_typeEEEZNS1_34radix_sort_onesweep_global_offsetsIS3_Lb1EPKhPS5_mNS0_19identity_decomposerEEE10hipError_tT1_T2_PT3_SF_jT4_jjP12ihipStream_tbEUlT_E_NS1_11comp_targetILNS1_3genE4ELNS1_11target_archE910ELNS1_3gpuE8ELNS1_3repE0EEENS1_52radix_sort_onesweep_histogram_config_static_selectorELNS0_4arch9wavefront6targetE0EEEvSD_,"axG",@progbits,_ZN7rocprim17ROCPRIM_400000_NS6detail17trampoline_kernelINS0_14default_configENS1_35radix_sort_onesweep_config_selectorIhNS0_10empty_typeEEEZNS1_34radix_sort_onesweep_global_offsetsIS3_Lb1EPKhPS5_mNS0_19identity_decomposerEEE10hipError_tT1_T2_PT3_SF_jT4_jjP12ihipStream_tbEUlT_E_NS1_11comp_targetILNS1_3genE4ELNS1_11target_archE910ELNS1_3gpuE8ELNS1_3repE0EEENS1_52radix_sort_onesweep_histogram_config_static_selectorELNS0_4arch9wavefront6targetE0EEEvSD_,comdat
	.protected	_ZN7rocprim17ROCPRIM_400000_NS6detail17trampoline_kernelINS0_14default_configENS1_35radix_sort_onesweep_config_selectorIhNS0_10empty_typeEEEZNS1_34radix_sort_onesweep_global_offsetsIS3_Lb1EPKhPS5_mNS0_19identity_decomposerEEE10hipError_tT1_T2_PT3_SF_jT4_jjP12ihipStream_tbEUlT_E_NS1_11comp_targetILNS1_3genE4ELNS1_11target_archE910ELNS1_3gpuE8ELNS1_3repE0EEENS1_52radix_sort_onesweep_histogram_config_static_selectorELNS0_4arch9wavefront6targetE0EEEvSD_ ; -- Begin function _ZN7rocprim17ROCPRIM_400000_NS6detail17trampoline_kernelINS0_14default_configENS1_35radix_sort_onesweep_config_selectorIhNS0_10empty_typeEEEZNS1_34radix_sort_onesweep_global_offsetsIS3_Lb1EPKhPS5_mNS0_19identity_decomposerEEE10hipError_tT1_T2_PT3_SF_jT4_jjP12ihipStream_tbEUlT_E_NS1_11comp_targetILNS1_3genE4ELNS1_11target_archE910ELNS1_3gpuE8ELNS1_3repE0EEENS1_52radix_sort_onesweep_histogram_config_static_selectorELNS0_4arch9wavefront6targetE0EEEvSD_
	.globl	_ZN7rocprim17ROCPRIM_400000_NS6detail17trampoline_kernelINS0_14default_configENS1_35radix_sort_onesweep_config_selectorIhNS0_10empty_typeEEEZNS1_34radix_sort_onesweep_global_offsetsIS3_Lb1EPKhPS5_mNS0_19identity_decomposerEEE10hipError_tT1_T2_PT3_SF_jT4_jjP12ihipStream_tbEUlT_E_NS1_11comp_targetILNS1_3genE4ELNS1_11target_archE910ELNS1_3gpuE8ELNS1_3repE0EEENS1_52radix_sort_onesweep_histogram_config_static_selectorELNS0_4arch9wavefront6targetE0EEEvSD_
	.p2align	8
	.type	_ZN7rocprim17ROCPRIM_400000_NS6detail17trampoline_kernelINS0_14default_configENS1_35radix_sort_onesweep_config_selectorIhNS0_10empty_typeEEEZNS1_34radix_sort_onesweep_global_offsetsIS3_Lb1EPKhPS5_mNS0_19identity_decomposerEEE10hipError_tT1_T2_PT3_SF_jT4_jjP12ihipStream_tbEUlT_E_NS1_11comp_targetILNS1_3genE4ELNS1_11target_archE910ELNS1_3gpuE8ELNS1_3repE0EEENS1_52radix_sort_onesweep_histogram_config_static_selectorELNS0_4arch9wavefront6targetE0EEEvSD_,@function
_ZN7rocprim17ROCPRIM_400000_NS6detail17trampoline_kernelINS0_14default_configENS1_35radix_sort_onesweep_config_selectorIhNS0_10empty_typeEEEZNS1_34radix_sort_onesweep_global_offsetsIS3_Lb1EPKhPS5_mNS0_19identity_decomposerEEE10hipError_tT1_T2_PT3_SF_jT4_jjP12ihipStream_tbEUlT_E_NS1_11comp_targetILNS1_3genE4ELNS1_11target_archE910ELNS1_3gpuE8ELNS1_3repE0EEENS1_52radix_sort_onesweep_histogram_config_static_selectorELNS0_4arch9wavefront6targetE0EEEvSD_: ; @_ZN7rocprim17ROCPRIM_400000_NS6detail17trampoline_kernelINS0_14default_configENS1_35radix_sort_onesweep_config_selectorIhNS0_10empty_typeEEEZNS1_34radix_sort_onesweep_global_offsetsIS3_Lb1EPKhPS5_mNS0_19identity_decomposerEEE10hipError_tT1_T2_PT3_SF_jT4_jjP12ihipStream_tbEUlT_E_NS1_11comp_targetILNS1_3genE4ELNS1_11target_archE910ELNS1_3gpuE8ELNS1_3repE0EEENS1_52radix_sort_onesweep_histogram_config_static_selectorELNS0_4arch9wavefront6targetE0EEEvSD_
; %bb.0:
	.section	.rodata,"a",@progbits
	.p2align	6, 0x0
	.amdhsa_kernel _ZN7rocprim17ROCPRIM_400000_NS6detail17trampoline_kernelINS0_14default_configENS1_35radix_sort_onesweep_config_selectorIhNS0_10empty_typeEEEZNS1_34radix_sort_onesweep_global_offsetsIS3_Lb1EPKhPS5_mNS0_19identity_decomposerEEE10hipError_tT1_T2_PT3_SF_jT4_jjP12ihipStream_tbEUlT_E_NS1_11comp_targetILNS1_3genE4ELNS1_11target_archE910ELNS1_3gpuE8ELNS1_3repE0EEENS1_52radix_sort_onesweep_histogram_config_static_selectorELNS0_4arch9wavefront6targetE0EEEvSD_
		.amdhsa_group_segment_fixed_size 0
		.amdhsa_private_segment_fixed_size 0
		.amdhsa_kernarg_size 48
		.amdhsa_user_sgpr_count 2
		.amdhsa_user_sgpr_dispatch_ptr 0
		.amdhsa_user_sgpr_queue_ptr 0
		.amdhsa_user_sgpr_kernarg_segment_ptr 1
		.amdhsa_user_sgpr_dispatch_id 0
		.amdhsa_user_sgpr_kernarg_preload_length 0
		.amdhsa_user_sgpr_kernarg_preload_offset 0
		.amdhsa_user_sgpr_private_segment_size 0
		.amdhsa_wavefront_size32 1
		.amdhsa_uses_dynamic_stack 0
		.amdhsa_enable_private_segment 0
		.amdhsa_system_sgpr_workgroup_id_x 1
		.amdhsa_system_sgpr_workgroup_id_y 0
		.amdhsa_system_sgpr_workgroup_id_z 0
		.amdhsa_system_sgpr_workgroup_info 0
		.amdhsa_system_vgpr_workitem_id 0
		.amdhsa_next_free_vgpr 1
		.amdhsa_next_free_sgpr 1
		.amdhsa_named_barrier_count 0
		.amdhsa_reserve_vcc 0
		.amdhsa_float_round_mode_32 0
		.amdhsa_float_round_mode_16_64 0
		.amdhsa_float_denorm_mode_32 3
		.amdhsa_float_denorm_mode_16_64 3
		.amdhsa_fp16_overflow 0
		.amdhsa_memory_ordered 1
		.amdhsa_forward_progress 1
		.amdhsa_inst_pref_size 0
		.amdhsa_round_robin_scheduling 0
		.amdhsa_exception_fp_ieee_invalid_op 0
		.amdhsa_exception_fp_denorm_src 0
		.amdhsa_exception_fp_ieee_div_zero 0
		.amdhsa_exception_fp_ieee_overflow 0
		.amdhsa_exception_fp_ieee_underflow 0
		.amdhsa_exception_fp_ieee_inexact 0
		.amdhsa_exception_int_div_zero 0
	.end_amdhsa_kernel
	.section	.text._ZN7rocprim17ROCPRIM_400000_NS6detail17trampoline_kernelINS0_14default_configENS1_35radix_sort_onesweep_config_selectorIhNS0_10empty_typeEEEZNS1_34radix_sort_onesweep_global_offsetsIS3_Lb1EPKhPS5_mNS0_19identity_decomposerEEE10hipError_tT1_T2_PT3_SF_jT4_jjP12ihipStream_tbEUlT_E_NS1_11comp_targetILNS1_3genE4ELNS1_11target_archE910ELNS1_3gpuE8ELNS1_3repE0EEENS1_52radix_sort_onesweep_histogram_config_static_selectorELNS0_4arch9wavefront6targetE0EEEvSD_,"axG",@progbits,_ZN7rocprim17ROCPRIM_400000_NS6detail17trampoline_kernelINS0_14default_configENS1_35radix_sort_onesweep_config_selectorIhNS0_10empty_typeEEEZNS1_34radix_sort_onesweep_global_offsetsIS3_Lb1EPKhPS5_mNS0_19identity_decomposerEEE10hipError_tT1_T2_PT3_SF_jT4_jjP12ihipStream_tbEUlT_E_NS1_11comp_targetILNS1_3genE4ELNS1_11target_archE910ELNS1_3gpuE8ELNS1_3repE0EEENS1_52radix_sort_onesweep_histogram_config_static_selectorELNS0_4arch9wavefront6targetE0EEEvSD_,comdat
.Lfunc_end86:
	.size	_ZN7rocprim17ROCPRIM_400000_NS6detail17trampoline_kernelINS0_14default_configENS1_35radix_sort_onesweep_config_selectorIhNS0_10empty_typeEEEZNS1_34radix_sort_onesweep_global_offsetsIS3_Lb1EPKhPS5_mNS0_19identity_decomposerEEE10hipError_tT1_T2_PT3_SF_jT4_jjP12ihipStream_tbEUlT_E_NS1_11comp_targetILNS1_3genE4ELNS1_11target_archE910ELNS1_3gpuE8ELNS1_3repE0EEENS1_52radix_sort_onesweep_histogram_config_static_selectorELNS0_4arch9wavefront6targetE0EEEvSD_, .Lfunc_end86-_ZN7rocprim17ROCPRIM_400000_NS6detail17trampoline_kernelINS0_14default_configENS1_35radix_sort_onesweep_config_selectorIhNS0_10empty_typeEEEZNS1_34radix_sort_onesweep_global_offsetsIS3_Lb1EPKhPS5_mNS0_19identity_decomposerEEE10hipError_tT1_T2_PT3_SF_jT4_jjP12ihipStream_tbEUlT_E_NS1_11comp_targetILNS1_3genE4ELNS1_11target_archE910ELNS1_3gpuE8ELNS1_3repE0EEENS1_52radix_sort_onesweep_histogram_config_static_selectorELNS0_4arch9wavefront6targetE0EEEvSD_
                                        ; -- End function
	.set _ZN7rocprim17ROCPRIM_400000_NS6detail17trampoline_kernelINS0_14default_configENS1_35radix_sort_onesweep_config_selectorIhNS0_10empty_typeEEEZNS1_34radix_sort_onesweep_global_offsetsIS3_Lb1EPKhPS5_mNS0_19identity_decomposerEEE10hipError_tT1_T2_PT3_SF_jT4_jjP12ihipStream_tbEUlT_E_NS1_11comp_targetILNS1_3genE4ELNS1_11target_archE910ELNS1_3gpuE8ELNS1_3repE0EEENS1_52radix_sort_onesweep_histogram_config_static_selectorELNS0_4arch9wavefront6targetE0EEEvSD_.num_vgpr, 0
	.set _ZN7rocprim17ROCPRIM_400000_NS6detail17trampoline_kernelINS0_14default_configENS1_35radix_sort_onesweep_config_selectorIhNS0_10empty_typeEEEZNS1_34radix_sort_onesweep_global_offsetsIS3_Lb1EPKhPS5_mNS0_19identity_decomposerEEE10hipError_tT1_T2_PT3_SF_jT4_jjP12ihipStream_tbEUlT_E_NS1_11comp_targetILNS1_3genE4ELNS1_11target_archE910ELNS1_3gpuE8ELNS1_3repE0EEENS1_52radix_sort_onesweep_histogram_config_static_selectorELNS0_4arch9wavefront6targetE0EEEvSD_.num_agpr, 0
	.set _ZN7rocprim17ROCPRIM_400000_NS6detail17trampoline_kernelINS0_14default_configENS1_35radix_sort_onesweep_config_selectorIhNS0_10empty_typeEEEZNS1_34radix_sort_onesweep_global_offsetsIS3_Lb1EPKhPS5_mNS0_19identity_decomposerEEE10hipError_tT1_T2_PT3_SF_jT4_jjP12ihipStream_tbEUlT_E_NS1_11comp_targetILNS1_3genE4ELNS1_11target_archE910ELNS1_3gpuE8ELNS1_3repE0EEENS1_52radix_sort_onesweep_histogram_config_static_selectorELNS0_4arch9wavefront6targetE0EEEvSD_.numbered_sgpr, 0
	.set _ZN7rocprim17ROCPRIM_400000_NS6detail17trampoline_kernelINS0_14default_configENS1_35radix_sort_onesweep_config_selectorIhNS0_10empty_typeEEEZNS1_34radix_sort_onesweep_global_offsetsIS3_Lb1EPKhPS5_mNS0_19identity_decomposerEEE10hipError_tT1_T2_PT3_SF_jT4_jjP12ihipStream_tbEUlT_E_NS1_11comp_targetILNS1_3genE4ELNS1_11target_archE910ELNS1_3gpuE8ELNS1_3repE0EEENS1_52radix_sort_onesweep_histogram_config_static_selectorELNS0_4arch9wavefront6targetE0EEEvSD_.num_named_barrier, 0
	.set _ZN7rocprim17ROCPRIM_400000_NS6detail17trampoline_kernelINS0_14default_configENS1_35radix_sort_onesweep_config_selectorIhNS0_10empty_typeEEEZNS1_34radix_sort_onesweep_global_offsetsIS3_Lb1EPKhPS5_mNS0_19identity_decomposerEEE10hipError_tT1_T2_PT3_SF_jT4_jjP12ihipStream_tbEUlT_E_NS1_11comp_targetILNS1_3genE4ELNS1_11target_archE910ELNS1_3gpuE8ELNS1_3repE0EEENS1_52radix_sort_onesweep_histogram_config_static_selectorELNS0_4arch9wavefront6targetE0EEEvSD_.private_seg_size, 0
	.set _ZN7rocprim17ROCPRIM_400000_NS6detail17trampoline_kernelINS0_14default_configENS1_35radix_sort_onesweep_config_selectorIhNS0_10empty_typeEEEZNS1_34radix_sort_onesweep_global_offsetsIS3_Lb1EPKhPS5_mNS0_19identity_decomposerEEE10hipError_tT1_T2_PT3_SF_jT4_jjP12ihipStream_tbEUlT_E_NS1_11comp_targetILNS1_3genE4ELNS1_11target_archE910ELNS1_3gpuE8ELNS1_3repE0EEENS1_52radix_sort_onesweep_histogram_config_static_selectorELNS0_4arch9wavefront6targetE0EEEvSD_.uses_vcc, 0
	.set _ZN7rocprim17ROCPRIM_400000_NS6detail17trampoline_kernelINS0_14default_configENS1_35radix_sort_onesweep_config_selectorIhNS0_10empty_typeEEEZNS1_34radix_sort_onesweep_global_offsetsIS3_Lb1EPKhPS5_mNS0_19identity_decomposerEEE10hipError_tT1_T2_PT3_SF_jT4_jjP12ihipStream_tbEUlT_E_NS1_11comp_targetILNS1_3genE4ELNS1_11target_archE910ELNS1_3gpuE8ELNS1_3repE0EEENS1_52radix_sort_onesweep_histogram_config_static_selectorELNS0_4arch9wavefront6targetE0EEEvSD_.uses_flat_scratch, 0
	.set _ZN7rocprim17ROCPRIM_400000_NS6detail17trampoline_kernelINS0_14default_configENS1_35radix_sort_onesweep_config_selectorIhNS0_10empty_typeEEEZNS1_34radix_sort_onesweep_global_offsetsIS3_Lb1EPKhPS5_mNS0_19identity_decomposerEEE10hipError_tT1_T2_PT3_SF_jT4_jjP12ihipStream_tbEUlT_E_NS1_11comp_targetILNS1_3genE4ELNS1_11target_archE910ELNS1_3gpuE8ELNS1_3repE0EEENS1_52radix_sort_onesweep_histogram_config_static_selectorELNS0_4arch9wavefront6targetE0EEEvSD_.has_dyn_sized_stack, 0
	.set _ZN7rocprim17ROCPRIM_400000_NS6detail17trampoline_kernelINS0_14default_configENS1_35radix_sort_onesweep_config_selectorIhNS0_10empty_typeEEEZNS1_34radix_sort_onesweep_global_offsetsIS3_Lb1EPKhPS5_mNS0_19identity_decomposerEEE10hipError_tT1_T2_PT3_SF_jT4_jjP12ihipStream_tbEUlT_E_NS1_11comp_targetILNS1_3genE4ELNS1_11target_archE910ELNS1_3gpuE8ELNS1_3repE0EEENS1_52radix_sort_onesweep_histogram_config_static_selectorELNS0_4arch9wavefront6targetE0EEEvSD_.has_recursion, 0
	.set _ZN7rocprim17ROCPRIM_400000_NS6detail17trampoline_kernelINS0_14default_configENS1_35radix_sort_onesweep_config_selectorIhNS0_10empty_typeEEEZNS1_34radix_sort_onesweep_global_offsetsIS3_Lb1EPKhPS5_mNS0_19identity_decomposerEEE10hipError_tT1_T2_PT3_SF_jT4_jjP12ihipStream_tbEUlT_E_NS1_11comp_targetILNS1_3genE4ELNS1_11target_archE910ELNS1_3gpuE8ELNS1_3repE0EEENS1_52radix_sort_onesweep_histogram_config_static_selectorELNS0_4arch9wavefront6targetE0EEEvSD_.has_indirect_call, 0
	.section	.AMDGPU.csdata,"",@progbits
; Kernel info:
; codeLenInByte = 0
; TotalNumSgprs: 0
; NumVgprs: 0
; ScratchSize: 0
; MemoryBound: 0
; FloatMode: 240
; IeeeMode: 1
; LDSByteSize: 0 bytes/workgroup (compile time only)
; SGPRBlocks: 0
; VGPRBlocks: 0
; NumSGPRsForWavesPerEU: 1
; NumVGPRsForWavesPerEU: 1
; NamedBarCnt: 0
; Occupancy: 16
; WaveLimiterHint : 0
; COMPUTE_PGM_RSRC2:SCRATCH_EN: 0
; COMPUTE_PGM_RSRC2:USER_SGPR: 2
; COMPUTE_PGM_RSRC2:TRAP_HANDLER: 0
; COMPUTE_PGM_RSRC2:TGID_X_EN: 1
; COMPUTE_PGM_RSRC2:TGID_Y_EN: 0
; COMPUTE_PGM_RSRC2:TGID_Z_EN: 0
; COMPUTE_PGM_RSRC2:TIDIG_COMP_CNT: 0
	.section	.text._ZN7rocprim17ROCPRIM_400000_NS6detail17trampoline_kernelINS0_14default_configENS1_35radix_sort_onesweep_config_selectorIhNS0_10empty_typeEEEZNS1_34radix_sort_onesweep_global_offsetsIS3_Lb1EPKhPS5_mNS0_19identity_decomposerEEE10hipError_tT1_T2_PT3_SF_jT4_jjP12ihipStream_tbEUlT_E_NS1_11comp_targetILNS1_3genE3ELNS1_11target_archE908ELNS1_3gpuE7ELNS1_3repE0EEENS1_52radix_sort_onesweep_histogram_config_static_selectorELNS0_4arch9wavefront6targetE0EEEvSD_,"axG",@progbits,_ZN7rocprim17ROCPRIM_400000_NS6detail17trampoline_kernelINS0_14default_configENS1_35radix_sort_onesweep_config_selectorIhNS0_10empty_typeEEEZNS1_34radix_sort_onesweep_global_offsetsIS3_Lb1EPKhPS5_mNS0_19identity_decomposerEEE10hipError_tT1_T2_PT3_SF_jT4_jjP12ihipStream_tbEUlT_E_NS1_11comp_targetILNS1_3genE3ELNS1_11target_archE908ELNS1_3gpuE7ELNS1_3repE0EEENS1_52radix_sort_onesweep_histogram_config_static_selectorELNS0_4arch9wavefront6targetE0EEEvSD_,comdat
	.protected	_ZN7rocprim17ROCPRIM_400000_NS6detail17trampoline_kernelINS0_14default_configENS1_35radix_sort_onesweep_config_selectorIhNS0_10empty_typeEEEZNS1_34radix_sort_onesweep_global_offsetsIS3_Lb1EPKhPS5_mNS0_19identity_decomposerEEE10hipError_tT1_T2_PT3_SF_jT4_jjP12ihipStream_tbEUlT_E_NS1_11comp_targetILNS1_3genE3ELNS1_11target_archE908ELNS1_3gpuE7ELNS1_3repE0EEENS1_52radix_sort_onesweep_histogram_config_static_selectorELNS0_4arch9wavefront6targetE0EEEvSD_ ; -- Begin function _ZN7rocprim17ROCPRIM_400000_NS6detail17trampoline_kernelINS0_14default_configENS1_35radix_sort_onesweep_config_selectorIhNS0_10empty_typeEEEZNS1_34radix_sort_onesweep_global_offsetsIS3_Lb1EPKhPS5_mNS0_19identity_decomposerEEE10hipError_tT1_T2_PT3_SF_jT4_jjP12ihipStream_tbEUlT_E_NS1_11comp_targetILNS1_3genE3ELNS1_11target_archE908ELNS1_3gpuE7ELNS1_3repE0EEENS1_52radix_sort_onesweep_histogram_config_static_selectorELNS0_4arch9wavefront6targetE0EEEvSD_
	.globl	_ZN7rocprim17ROCPRIM_400000_NS6detail17trampoline_kernelINS0_14default_configENS1_35radix_sort_onesweep_config_selectorIhNS0_10empty_typeEEEZNS1_34radix_sort_onesweep_global_offsetsIS3_Lb1EPKhPS5_mNS0_19identity_decomposerEEE10hipError_tT1_T2_PT3_SF_jT4_jjP12ihipStream_tbEUlT_E_NS1_11comp_targetILNS1_3genE3ELNS1_11target_archE908ELNS1_3gpuE7ELNS1_3repE0EEENS1_52radix_sort_onesweep_histogram_config_static_selectorELNS0_4arch9wavefront6targetE0EEEvSD_
	.p2align	8
	.type	_ZN7rocprim17ROCPRIM_400000_NS6detail17trampoline_kernelINS0_14default_configENS1_35radix_sort_onesweep_config_selectorIhNS0_10empty_typeEEEZNS1_34radix_sort_onesweep_global_offsetsIS3_Lb1EPKhPS5_mNS0_19identity_decomposerEEE10hipError_tT1_T2_PT3_SF_jT4_jjP12ihipStream_tbEUlT_E_NS1_11comp_targetILNS1_3genE3ELNS1_11target_archE908ELNS1_3gpuE7ELNS1_3repE0EEENS1_52radix_sort_onesweep_histogram_config_static_selectorELNS0_4arch9wavefront6targetE0EEEvSD_,@function
_ZN7rocprim17ROCPRIM_400000_NS6detail17trampoline_kernelINS0_14default_configENS1_35radix_sort_onesweep_config_selectorIhNS0_10empty_typeEEEZNS1_34radix_sort_onesweep_global_offsetsIS3_Lb1EPKhPS5_mNS0_19identity_decomposerEEE10hipError_tT1_T2_PT3_SF_jT4_jjP12ihipStream_tbEUlT_E_NS1_11comp_targetILNS1_3genE3ELNS1_11target_archE908ELNS1_3gpuE7ELNS1_3repE0EEENS1_52radix_sort_onesweep_histogram_config_static_selectorELNS0_4arch9wavefront6targetE0EEEvSD_: ; @_ZN7rocprim17ROCPRIM_400000_NS6detail17trampoline_kernelINS0_14default_configENS1_35radix_sort_onesweep_config_selectorIhNS0_10empty_typeEEEZNS1_34radix_sort_onesweep_global_offsetsIS3_Lb1EPKhPS5_mNS0_19identity_decomposerEEE10hipError_tT1_T2_PT3_SF_jT4_jjP12ihipStream_tbEUlT_E_NS1_11comp_targetILNS1_3genE3ELNS1_11target_archE908ELNS1_3gpuE7ELNS1_3repE0EEENS1_52radix_sort_onesweep_histogram_config_static_selectorELNS0_4arch9wavefront6targetE0EEEvSD_
; %bb.0:
	.section	.rodata,"a",@progbits
	.p2align	6, 0x0
	.amdhsa_kernel _ZN7rocprim17ROCPRIM_400000_NS6detail17trampoline_kernelINS0_14default_configENS1_35radix_sort_onesweep_config_selectorIhNS0_10empty_typeEEEZNS1_34radix_sort_onesweep_global_offsetsIS3_Lb1EPKhPS5_mNS0_19identity_decomposerEEE10hipError_tT1_T2_PT3_SF_jT4_jjP12ihipStream_tbEUlT_E_NS1_11comp_targetILNS1_3genE3ELNS1_11target_archE908ELNS1_3gpuE7ELNS1_3repE0EEENS1_52radix_sort_onesweep_histogram_config_static_selectorELNS0_4arch9wavefront6targetE0EEEvSD_
		.amdhsa_group_segment_fixed_size 0
		.amdhsa_private_segment_fixed_size 0
		.amdhsa_kernarg_size 48
		.amdhsa_user_sgpr_count 2
		.amdhsa_user_sgpr_dispatch_ptr 0
		.amdhsa_user_sgpr_queue_ptr 0
		.amdhsa_user_sgpr_kernarg_segment_ptr 1
		.amdhsa_user_sgpr_dispatch_id 0
		.amdhsa_user_sgpr_kernarg_preload_length 0
		.amdhsa_user_sgpr_kernarg_preload_offset 0
		.amdhsa_user_sgpr_private_segment_size 0
		.amdhsa_wavefront_size32 1
		.amdhsa_uses_dynamic_stack 0
		.amdhsa_enable_private_segment 0
		.amdhsa_system_sgpr_workgroup_id_x 1
		.amdhsa_system_sgpr_workgroup_id_y 0
		.amdhsa_system_sgpr_workgroup_id_z 0
		.amdhsa_system_sgpr_workgroup_info 0
		.amdhsa_system_vgpr_workitem_id 0
		.amdhsa_next_free_vgpr 1
		.amdhsa_next_free_sgpr 1
		.amdhsa_named_barrier_count 0
		.amdhsa_reserve_vcc 0
		.amdhsa_float_round_mode_32 0
		.amdhsa_float_round_mode_16_64 0
		.amdhsa_float_denorm_mode_32 3
		.amdhsa_float_denorm_mode_16_64 3
		.amdhsa_fp16_overflow 0
		.amdhsa_memory_ordered 1
		.amdhsa_forward_progress 1
		.amdhsa_inst_pref_size 0
		.amdhsa_round_robin_scheduling 0
		.amdhsa_exception_fp_ieee_invalid_op 0
		.amdhsa_exception_fp_denorm_src 0
		.amdhsa_exception_fp_ieee_div_zero 0
		.amdhsa_exception_fp_ieee_overflow 0
		.amdhsa_exception_fp_ieee_underflow 0
		.amdhsa_exception_fp_ieee_inexact 0
		.amdhsa_exception_int_div_zero 0
	.end_amdhsa_kernel
	.section	.text._ZN7rocprim17ROCPRIM_400000_NS6detail17trampoline_kernelINS0_14default_configENS1_35radix_sort_onesweep_config_selectorIhNS0_10empty_typeEEEZNS1_34radix_sort_onesweep_global_offsetsIS3_Lb1EPKhPS5_mNS0_19identity_decomposerEEE10hipError_tT1_T2_PT3_SF_jT4_jjP12ihipStream_tbEUlT_E_NS1_11comp_targetILNS1_3genE3ELNS1_11target_archE908ELNS1_3gpuE7ELNS1_3repE0EEENS1_52radix_sort_onesweep_histogram_config_static_selectorELNS0_4arch9wavefront6targetE0EEEvSD_,"axG",@progbits,_ZN7rocprim17ROCPRIM_400000_NS6detail17trampoline_kernelINS0_14default_configENS1_35radix_sort_onesweep_config_selectorIhNS0_10empty_typeEEEZNS1_34radix_sort_onesweep_global_offsetsIS3_Lb1EPKhPS5_mNS0_19identity_decomposerEEE10hipError_tT1_T2_PT3_SF_jT4_jjP12ihipStream_tbEUlT_E_NS1_11comp_targetILNS1_3genE3ELNS1_11target_archE908ELNS1_3gpuE7ELNS1_3repE0EEENS1_52radix_sort_onesweep_histogram_config_static_selectorELNS0_4arch9wavefront6targetE0EEEvSD_,comdat
.Lfunc_end87:
	.size	_ZN7rocprim17ROCPRIM_400000_NS6detail17trampoline_kernelINS0_14default_configENS1_35radix_sort_onesweep_config_selectorIhNS0_10empty_typeEEEZNS1_34radix_sort_onesweep_global_offsetsIS3_Lb1EPKhPS5_mNS0_19identity_decomposerEEE10hipError_tT1_T2_PT3_SF_jT4_jjP12ihipStream_tbEUlT_E_NS1_11comp_targetILNS1_3genE3ELNS1_11target_archE908ELNS1_3gpuE7ELNS1_3repE0EEENS1_52radix_sort_onesweep_histogram_config_static_selectorELNS0_4arch9wavefront6targetE0EEEvSD_, .Lfunc_end87-_ZN7rocprim17ROCPRIM_400000_NS6detail17trampoline_kernelINS0_14default_configENS1_35radix_sort_onesweep_config_selectorIhNS0_10empty_typeEEEZNS1_34radix_sort_onesweep_global_offsetsIS3_Lb1EPKhPS5_mNS0_19identity_decomposerEEE10hipError_tT1_T2_PT3_SF_jT4_jjP12ihipStream_tbEUlT_E_NS1_11comp_targetILNS1_3genE3ELNS1_11target_archE908ELNS1_3gpuE7ELNS1_3repE0EEENS1_52radix_sort_onesweep_histogram_config_static_selectorELNS0_4arch9wavefront6targetE0EEEvSD_
                                        ; -- End function
	.set _ZN7rocprim17ROCPRIM_400000_NS6detail17trampoline_kernelINS0_14default_configENS1_35radix_sort_onesweep_config_selectorIhNS0_10empty_typeEEEZNS1_34radix_sort_onesweep_global_offsetsIS3_Lb1EPKhPS5_mNS0_19identity_decomposerEEE10hipError_tT1_T2_PT3_SF_jT4_jjP12ihipStream_tbEUlT_E_NS1_11comp_targetILNS1_3genE3ELNS1_11target_archE908ELNS1_3gpuE7ELNS1_3repE0EEENS1_52radix_sort_onesweep_histogram_config_static_selectorELNS0_4arch9wavefront6targetE0EEEvSD_.num_vgpr, 0
	.set _ZN7rocprim17ROCPRIM_400000_NS6detail17trampoline_kernelINS0_14default_configENS1_35radix_sort_onesweep_config_selectorIhNS0_10empty_typeEEEZNS1_34radix_sort_onesweep_global_offsetsIS3_Lb1EPKhPS5_mNS0_19identity_decomposerEEE10hipError_tT1_T2_PT3_SF_jT4_jjP12ihipStream_tbEUlT_E_NS1_11comp_targetILNS1_3genE3ELNS1_11target_archE908ELNS1_3gpuE7ELNS1_3repE0EEENS1_52radix_sort_onesweep_histogram_config_static_selectorELNS0_4arch9wavefront6targetE0EEEvSD_.num_agpr, 0
	.set _ZN7rocprim17ROCPRIM_400000_NS6detail17trampoline_kernelINS0_14default_configENS1_35radix_sort_onesweep_config_selectorIhNS0_10empty_typeEEEZNS1_34radix_sort_onesweep_global_offsetsIS3_Lb1EPKhPS5_mNS0_19identity_decomposerEEE10hipError_tT1_T2_PT3_SF_jT4_jjP12ihipStream_tbEUlT_E_NS1_11comp_targetILNS1_3genE3ELNS1_11target_archE908ELNS1_3gpuE7ELNS1_3repE0EEENS1_52radix_sort_onesweep_histogram_config_static_selectorELNS0_4arch9wavefront6targetE0EEEvSD_.numbered_sgpr, 0
	.set _ZN7rocprim17ROCPRIM_400000_NS6detail17trampoline_kernelINS0_14default_configENS1_35radix_sort_onesweep_config_selectorIhNS0_10empty_typeEEEZNS1_34radix_sort_onesweep_global_offsetsIS3_Lb1EPKhPS5_mNS0_19identity_decomposerEEE10hipError_tT1_T2_PT3_SF_jT4_jjP12ihipStream_tbEUlT_E_NS1_11comp_targetILNS1_3genE3ELNS1_11target_archE908ELNS1_3gpuE7ELNS1_3repE0EEENS1_52radix_sort_onesweep_histogram_config_static_selectorELNS0_4arch9wavefront6targetE0EEEvSD_.num_named_barrier, 0
	.set _ZN7rocprim17ROCPRIM_400000_NS6detail17trampoline_kernelINS0_14default_configENS1_35radix_sort_onesweep_config_selectorIhNS0_10empty_typeEEEZNS1_34radix_sort_onesweep_global_offsetsIS3_Lb1EPKhPS5_mNS0_19identity_decomposerEEE10hipError_tT1_T2_PT3_SF_jT4_jjP12ihipStream_tbEUlT_E_NS1_11comp_targetILNS1_3genE3ELNS1_11target_archE908ELNS1_3gpuE7ELNS1_3repE0EEENS1_52radix_sort_onesweep_histogram_config_static_selectorELNS0_4arch9wavefront6targetE0EEEvSD_.private_seg_size, 0
	.set _ZN7rocprim17ROCPRIM_400000_NS6detail17trampoline_kernelINS0_14default_configENS1_35radix_sort_onesweep_config_selectorIhNS0_10empty_typeEEEZNS1_34radix_sort_onesweep_global_offsetsIS3_Lb1EPKhPS5_mNS0_19identity_decomposerEEE10hipError_tT1_T2_PT3_SF_jT4_jjP12ihipStream_tbEUlT_E_NS1_11comp_targetILNS1_3genE3ELNS1_11target_archE908ELNS1_3gpuE7ELNS1_3repE0EEENS1_52radix_sort_onesweep_histogram_config_static_selectorELNS0_4arch9wavefront6targetE0EEEvSD_.uses_vcc, 0
	.set _ZN7rocprim17ROCPRIM_400000_NS6detail17trampoline_kernelINS0_14default_configENS1_35radix_sort_onesweep_config_selectorIhNS0_10empty_typeEEEZNS1_34radix_sort_onesweep_global_offsetsIS3_Lb1EPKhPS5_mNS0_19identity_decomposerEEE10hipError_tT1_T2_PT3_SF_jT4_jjP12ihipStream_tbEUlT_E_NS1_11comp_targetILNS1_3genE3ELNS1_11target_archE908ELNS1_3gpuE7ELNS1_3repE0EEENS1_52radix_sort_onesweep_histogram_config_static_selectorELNS0_4arch9wavefront6targetE0EEEvSD_.uses_flat_scratch, 0
	.set _ZN7rocprim17ROCPRIM_400000_NS6detail17trampoline_kernelINS0_14default_configENS1_35radix_sort_onesweep_config_selectorIhNS0_10empty_typeEEEZNS1_34radix_sort_onesweep_global_offsetsIS3_Lb1EPKhPS5_mNS0_19identity_decomposerEEE10hipError_tT1_T2_PT3_SF_jT4_jjP12ihipStream_tbEUlT_E_NS1_11comp_targetILNS1_3genE3ELNS1_11target_archE908ELNS1_3gpuE7ELNS1_3repE0EEENS1_52radix_sort_onesweep_histogram_config_static_selectorELNS0_4arch9wavefront6targetE0EEEvSD_.has_dyn_sized_stack, 0
	.set _ZN7rocprim17ROCPRIM_400000_NS6detail17trampoline_kernelINS0_14default_configENS1_35radix_sort_onesweep_config_selectorIhNS0_10empty_typeEEEZNS1_34radix_sort_onesweep_global_offsetsIS3_Lb1EPKhPS5_mNS0_19identity_decomposerEEE10hipError_tT1_T2_PT3_SF_jT4_jjP12ihipStream_tbEUlT_E_NS1_11comp_targetILNS1_3genE3ELNS1_11target_archE908ELNS1_3gpuE7ELNS1_3repE0EEENS1_52radix_sort_onesweep_histogram_config_static_selectorELNS0_4arch9wavefront6targetE0EEEvSD_.has_recursion, 0
	.set _ZN7rocprim17ROCPRIM_400000_NS6detail17trampoline_kernelINS0_14default_configENS1_35radix_sort_onesweep_config_selectorIhNS0_10empty_typeEEEZNS1_34radix_sort_onesweep_global_offsetsIS3_Lb1EPKhPS5_mNS0_19identity_decomposerEEE10hipError_tT1_T2_PT3_SF_jT4_jjP12ihipStream_tbEUlT_E_NS1_11comp_targetILNS1_3genE3ELNS1_11target_archE908ELNS1_3gpuE7ELNS1_3repE0EEENS1_52radix_sort_onesweep_histogram_config_static_selectorELNS0_4arch9wavefront6targetE0EEEvSD_.has_indirect_call, 0
	.section	.AMDGPU.csdata,"",@progbits
; Kernel info:
; codeLenInByte = 0
; TotalNumSgprs: 0
; NumVgprs: 0
; ScratchSize: 0
; MemoryBound: 0
; FloatMode: 240
; IeeeMode: 1
; LDSByteSize: 0 bytes/workgroup (compile time only)
; SGPRBlocks: 0
; VGPRBlocks: 0
; NumSGPRsForWavesPerEU: 1
; NumVGPRsForWavesPerEU: 1
; NamedBarCnt: 0
; Occupancy: 16
; WaveLimiterHint : 0
; COMPUTE_PGM_RSRC2:SCRATCH_EN: 0
; COMPUTE_PGM_RSRC2:USER_SGPR: 2
; COMPUTE_PGM_RSRC2:TRAP_HANDLER: 0
; COMPUTE_PGM_RSRC2:TGID_X_EN: 1
; COMPUTE_PGM_RSRC2:TGID_Y_EN: 0
; COMPUTE_PGM_RSRC2:TGID_Z_EN: 0
; COMPUTE_PGM_RSRC2:TIDIG_COMP_CNT: 0
	.section	.text._ZN7rocprim17ROCPRIM_400000_NS6detail17trampoline_kernelINS0_14default_configENS1_35radix_sort_onesweep_config_selectorIhNS0_10empty_typeEEEZNS1_34radix_sort_onesweep_global_offsetsIS3_Lb1EPKhPS5_mNS0_19identity_decomposerEEE10hipError_tT1_T2_PT3_SF_jT4_jjP12ihipStream_tbEUlT_E_NS1_11comp_targetILNS1_3genE10ELNS1_11target_archE1201ELNS1_3gpuE5ELNS1_3repE0EEENS1_52radix_sort_onesweep_histogram_config_static_selectorELNS0_4arch9wavefront6targetE0EEEvSD_,"axG",@progbits,_ZN7rocprim17ROCPRIM_400000_NS6detail17trampoline_kernelINS0_14default_configENS1_35radix_sort_onesweep_config_selectorIhNS0_10empty_typeEEEZNS1_34radix_sort_onesweep_global_offsetsIS3_Lb1EPKhPS5_mNS0_19identity_decomposerEEE10hipError_tT1_T2_PT3_SF_jT4_jjP12ihipStream_tbEUlT_E_NS1_11comp_targetILNS1_3genE10ELNS1_11target_archE1201ELNS1_3gpuE5ELNS1_3repE0EEENS1_52radix_sort_onesweep_histogram_config_static_selectorELNS0_4arch9wavefront6targetE0EEEvSD_,comdat
	.protected	_ZN7rocprim17ROCPRIM_400000_NS6detail17trampoline_kernelINS0_14default_configENS1_35radix_sort_onesweep_config_selectorIhNS0_10empty_typeEEEZNS1_34radix_sort_onesweep_global_offsetsIS3_Lb1EPKhPS5_mNS0_19identity_decomposerEEE10hipError_tT1_T2_PT3_SF_jT4_jjP12ihipStream_tbEUlT_E_NS1_11comp_targetILNS1_3genE10ELNS1_11target_archE1201ELNS1_3gpuE5ELNS1_3repE0EEENS1_52radix_sort_onesweep_histogram_config_static_selectorELNS0_4arch9wavefront6targetE0EEEvSD_ ; -- Begin function _ZN7rocprim17ROCPRIM_400000_NS6detail17trampoline_kernelINS0_14default_configENS1_35radix_sort_onesweep_config_selectorIhNS0_10empty_typeEEEZNS1_34radix_sort_onesweep_global_offsetsIS3_Lb1EPKhPS5_mNS0_19identity_decomposerEEE10hipError_tT1_T2_PT3_SF_jT4_jjP12ihipStream_tbEUlT_E_NS1_11comp_targetILNS1_3genE10ELNS1_11target_archE1201ELNS1_3gpuE5ELNS1_3repE0EEENS1_52radix_sort_onesweep_histogram_config_static_selectorELNS0_4arch9wavefront6targetE0EEEvSD_
	.globl	_ZN7rocprim17ROCPRIM_400000_NS6detail17trampoline_kernelINS0_14default_configENS1_35radix_sort_onesweep_config_selectorIhNS0_10empty_typeEEEZNS1_34radix_sort_onesweep_global_offsetsIS3_Lb1EPKhPS5_mNS0_19identity_decomposerEEE10hipError_tT1_T2_PT3_SF_jT4_jjP12ihipStream_tbEUlT_E_NS1_11comp_targetILNS1_3genE10ELNS1_11target_archE1201ELNS1_3gpuE5ELNS1_3repE0EEENS1_52radix_sort_onesweep_histogram_config_static_selectorELNS0_4arch9wavefront6targetE0EEEvSD_
	.p2align	8
	.type	_ZN7rocprim17ROCPRIM_400000_NS6detail17trampoline_kernelINS0_14default_configENS1_35radix_sort_onesweep_config_selectorIhNS0_10empty_typeEEEZNS1_34radix_sort_onesweep_global_offsetsIS3_Lb1EPKhPS5_mNS0_19identity_decomposerEEE10hipError_tT1_T2_PT3_SF_jT4_jjP12ihipStream_tbEUlT_E_NS1_11comp_targetILNS1_3genE10ELNS1_11target_archE1201ELNS1_3gpuE5ELNS1_3repE0EEENS1_52radix_sort_onesweep_histogram_config_static_selectorELNS0_4arch9wavefront6targetE0EEEvSD_,@function
_ZN7rocprim17ROCPRIM_400000_NS6detail17trampoline_kernelINS0_14default_configENS1_35radix_sort_onesweep_config_selectorIhNS0_10empty_typeEEEZNS1_34radix_sort_onesweep_global_offsetsIS3_Lb1EPKhPS5_mNS0_19identity_decomposerEEE10hipError_tT1_T2_PT3_SF_jT4_jjP12ihipStream_tbEUlT_E_NS1_11comp_targetILNS1_3genE10ELNS1_11target_archE1201ELNS1_3gpuE5ELNS1_3repE0EEENS1_52radix_sort_onesweep_histogram_config_static_selectorELNS0_4arch9wavefront6targetE0EEEvSD_: ; @_ZN7rocprim17ROCPRIM_400000_NS6detail17trampoline_kernelINS0_14default_configENS1_35radix_sort_onesweep_config_selectorIhNS0_10empty_typeEEEZNS1_34radix_sort_onesweep_global_offsetsIS3_Lb1EPKhPS5_mNS0_19identity_decomposerEEE10hipError_tT1_T2_PT3_SF_jT4_jjP12ihipStream_tbEUlT_E_NS1_11comp_targetILNS1_3genE10ELNS1_11target_archE1201ELNS1_3gpuE5ELNS1_3repE0EEENS1_52radix_sort_onesweep_histogram_config_static_selectorELNS0_4arch9wavefront6targetE0EEEvSD_
; %bb.0:
	.section	.rodata,"a",@progbits
	.p2align	6, 0x0
	.amdhsa_kernel _ZN7rocprim17ROCPRIM_400000_NS6detail17trampoline_kernelINS0_14default_configENS1_35radix_sort_onesweep_config_selectorIhNS0_10empty_typeEEEZNS1_34radix_sort_onesweep_global_offsetsIS3_Lb1EPKhPS5_mNS0_19identity_decomposerEEE10hipError_tT1_T2_PT3_SF_jT4_jjP12ihipStream_tbEUlT_E_NS1_11comp_targetILNS1_3genE10ELNS1_11target_archE1201ELNS1_3gpuE5ELNS1_3repE0EEENS1_52radix_sort_onesweep_histogram_config_static_selectorELNS0_4arch9wavefront6targetE0EEEvSD_
		.amdhsa_group_segment_fixed_size 0
		.amdhsa_private_segment_fixed_size 0
		.amdhsa_kernarg_size 48
		.amdhsa_user_sgpr_count 2
		.amdhsa_user_sgpr_dispatch_ptr 0
		.amdhsa_user_sgpr_queue_ptr 0
		.amdhsa_user_sgpr_kernarg_segment_ptr 1
		.amdhsa_user_sgpr_dispatch_id 0
		.amdhsa_user_sgpr_kernarg_preload_length 0
		.amdhsa_user_sgpr_kernarg_preload_offset 0
		.amdhsa_user_sgpr_private_segment_size 0
		.amdhsa_wavefront_size32 1
		.amdhsa_uses_dynamic_stack 0
		.amdhsa_enable_private_segment 0
		.amdhsa_system_sgpr_workgroup_id_x 1
		.amdhsa_system_sgpr_workgroup_id_y 0
		.amdhsa_system_sgpr_workgroup_id_z 0
		.amdhsa_system_sgpr_workgroup_info 0
		.amdhsa_system_vgpr_workitem_id 0
		.amdhsa_next_free_vgpr 1
		.amdhsa_next_free_sgpr 1
		.amdhsa_named_barrier_count 0
		.amdhsa_reserve_vcc 0
		.amdhsa_float_round_mode_32 0
		.amdhsa_float_round_mode_16_64 0
		.amdhsa_float_denorm_mode_32 3
		.amdhsa_float_denorm_mode_16_64 3
		.amdhsa_fp16_overflow 0
		.amdhsa_memory_ordered 1
		.amdhsa_forward_progress 1
		.amdhsa_inst_pref_size 0
		.amdhsa_round_robin_scheduling 0
		.amdhsa_exception_fp_ieee_invalid_op 0
		.amdhsa_exception_fp_denorm_src 0
		.amdhsa_exception_fp_ieee_div_zero 0
		.amdhsa_exception_fp_ieee_overflow 0
		.amdhsa_exception_fp_ieee_underflow 0
		.amdhsa_exception_fp_ieee_inexact 0
		.amdhsa_exception_int_div_zero 0
	.end_amdhsa_kernel
	.section	.text._ZN7rocprim17ROCPRIM_400000_NS6detail17trampoline_kernelINS0_14default_configENS1_35radix_sort_onesweep_config_selectorIhNS0_10empty_typeEEEZNS1_34radix_sort_onesweep_global_offsetsIS3_Lb1EPKhPS5_mNS0_19identity_decomposerEEE10hipError_tT1_T2_PT3_SF_jT4_jjP12ihipStream_tbEUlT_E_NS1_11comp_targetILNS1_3genE10ELNS1_11target_archE1201ELNS1_3gpuE5ELNS1_3repE0EEENS1_52radix_sort_onesweep_histogram_config_static_selectorELNS0_4arch9wavefront6targetE0EEEvSD_,"axG",@progbits,_ZN7rocprim17ROCPRIM_400000_NS6detail17trampoline_kernelINS0_14default_configENS1_35radix_sort_onesweep_config_selectorIhNS0_10empty_typeEEEZNS1_34radix_sort_onesweep_global_offsetsIS3_Lb1EPKhPS5_mNS0_19identity_decomposerEEE10hipError_tT1_T2_PT3_SF_jT4_jjP12ihipStream_tbEUlT_E_NS1_11comp_targetILNS1_3genE10ELNS1_11target_archE1201ELNS1_3gpuE5ELNS1_3repE0EEENS1_52radix_sort_onesweep_histogram_config_static_selectorELNS0_4arch9wavefront6targetE0EEEvSD_,comdat
.Lfunc_end88:
	.size	_ZN7rocprim17ROCPRIM_400000_NS6detail17trampoline_kernelINS0_14default_configENS1_35radix_sort_onesweep_config_selectorIhNS0_10empty_typeEEEZNS1_34radix_sort_onesweep_global_offsetsIS3_Lb1EPKhPS5_mNS0_19identity_decomposerEEE10hipError_tT1_T2_PT3_SF_jT4_jjP12ihipStream_tbEUlT_E_NS1_11comp_targetILNS1_3genE10ELNS1_11target_archE1201ELNS1_3gpuE5ELNS1_3repE0EEENS1_52radix_sort_onesweep_histogram_config_static_selectorELNS0_4arch9wavefront6targetE0EEEvSD_, .Lfunc_end88-_ZN7rocprim17ROCPRIM_400000_NS6detail17trampoline_kernelINS0_14default_configENS1_35radix_sort_onesweep_config_selectorIhNS0_10empty_typeEEEZNS1_34radix_sort_onesweep_global_offsetsIS3_Lb1EPKhPS5_mNS0_19identity_decomposerEEE10hipError_tT1_T2_PT3_SF_jT4_jjP12ihipStream_tbEUlT_E_NS1_11comp_targetILNS1_3genE10ELNS1_11target_archE1201ELNS1_3gpuE5ELNS1_3repE0EEENS1_52radix_sort_onesweep_histogram_config_static_selectorELNS0_4arch9wavefront6targetE0EEEvSD_
                                        ; -- End function
	.set _ZN7rocprim17ROCPRIM_400000_NS6detail17trampoline_kernelINS0_14default_configENS1_35radix_sort_onesweep_config_selectorIhNS0_10empty_typeEEEZNS1_34radix_sort_onesweep_global_offsetsIS3_Lb1EPKhPS5_mNS0_19identity_decomposerEEE10hipError_tT1_T2_PT3_SF_jT4_jjP12ihipStream_tbEUlT_E_NS1_11comp_targetILNS1_3genE10ELNS1_11target_archE1201ELNS1_3gpuE5ELNS1_3repE0EEENS1_52radix_sort_onesweep_histogram_config_static_selectorELNS0_4arch9wavefront6targetE0EEEvSD_.num_vgpr, 0
	.set _ZN7rocprim17ROCPRIM_400000_NS6detail17trampoline_kernelINS0_14default_configENS1_35radix_sort_onesweep_config_selectorIhNS0_10empty_typeEEEZNS1_34radix_sort_onesweep_global_offsetsIS3_Lb1EPKhPS5_mNS0_19identity_decomposerEEE10hipError_tT1_T2_PT3_SF_jT4_jjP12ihipStream_tbEUlT_E_NS1_11comp_targetILNS1_3genE10ELNS1_11target_archE1201ELNS1_3gpuE5ELNS1_3repE0EEENS1_52radix_sort_onesweep_histogram_config_static_selectorELNS0_4arch9wavefront6targetE0EEEvSD_.num_agpr, 0
	.set _ZN7rocprim17ROCPRIM_400000_NS6detail17trampoline_kernelINS0_14default_configENS1_35radix_sort_onesweep_config_selectorIhNS0_10empty_typeEEEZNS1_34radix_sort_onesweep_global_offsetsIS3_Lb1EPKhPS5_mNS0_19identity_decomposerEEE10hipError_tT1_T2_PT3_SF_jT4_jjP12ihipStream_tbEUlT_E_NS1_11comp_targetILNS1_3genE10ELNS1_11target_archE1201ELNS1_3gpuE5ELNS1_3repE0EEENS1_52radix_sort_onesweep_histogram_config_static_selectorELNS0_4arch9wavefront6targetE0EEEvSD_.numbered_sgpr, 0
	.set _ZN7rocprim17ROCPRIM_400000_NS6detail17trampoline_kernelINS0_14default_configENS1_35radix_sort_onesweep_config_selectorIhNS0_10empty_typeEEEZNS1_34radix_sort_onesweep_global_offsetsIS3_Lb1EPKhPS5_mNS0_19identity_decomposerEEE10hipError_tT1_T2_PT3_SF_jT4_jjP12ihipStream_tbEUlT_E_NS1_11comp_targetILNS1_3genE10ELNS1_11target_archE1201ELNS1_3gpuE5ELNS1_3repE0EEENS1_52radix_sort_onesweep_histogram_config_static_selectorELNS0_4arch9wavefront6targetE0EEEvSD_.num_named_barrier, 0
	.set _ZN7rocprim17ROCPRIM_400000_NS6detail17trampoline_kernelINS0_14default_configENS1_35radix_sort_onesweep_config_selectorIhNS0_10empty_typeEEEZNS1_34radix_sort_onesweep_global_offsetsIS3_Lb1EPKhPS5_mNS0_19identity_decomposerEEE10hipError_tT1_T2_PT3_SF_jT4_jjP12ihipStream_tbEUlT_E_NS1_11comp_targetILNS1_3genE10ELNS1_11target_archE1201ELNS1_3gpuE5ELNS1_3repE0EEENS1_52radix_sort_onesweep_histogram_config_static_selectorELNS0_4arch9wavefront6targetE0EEEvSD_.private_seg_size, 0
	.set _ZN7rocprim17ROCPRIM_400000_NS6detail17trampoline_kernelINS0_14default_configENS1_35radix_sort_onesweep_config_selectorIhNS0_10empty_typeEEEZNS1_34radix_sort_onesweep_global_offsetsIS3_Lb1EPKhPS5_mNS0_19identity_decomposerEEE10hipError_tT1_T2_PT3_SF_jT4_jjP12ihipStream_tbEUlT_E_NS1_11comp_targetILNS1_3genE10ELNS1_11target_archE1201ELNS1_3gpuE5ELNS1_3repE0EEENS1_52radix_sort_onesweep_histogram_config_static_selectorELNS0_4arch9wavefront6targetE0EEEvSD_.uses_vcc, 0
	.set _ZN7rocprim17ROCPRIM_400000_NS6detail17trampoline_kernelINS0_14default_configENS1_35radix_sort_onesweep_config_selectorIhNS0_10empty_typeEEEZNS1_34radix_sort_onesweep_global_offsetsIS3_Lb1EPKhPS5_mNS0_19identity_decomposerEEE10hipError_tT1_T2_PT3_SF_jT4_jjP12ihipStream_tbEUlT_E_NS1_11comp_targetILNS1_3genE10ELNS1_11target_archE1201ELNS1_3gpuE5ELNS1_3repE0EEENS1_52radix_sort_onesweep_histogram_config_static_selectorELNS0_4arch9wavefront6targetE0EEEvSD_.uses_flat_scratch, 0
	.set _ZN7rocprim17ROCPRIM_400000_NS6detail17trampoline_kernelINS0_14default_configENS1_35radix_sort_onesweep_config_selectorIhNS0_10empty_typeEEEZNS1_34radix_sort_onesweep_global_offsetsIS3_Lb1EPKhPS5_mNS0_19identity_decomposerEEE10hipError_tT1_T2_PT3_SF_jT4_jjP12ihipStream_tbEUlT_E_NS1_11comp_targetILNS1_3genE10ELNS1_11target_archE1201ELNS1_3gpuE5ELNS1_3repE0EEENS1_52radix_sort_onesweep_histogram_config_static_selectorELNS0_4arch9wavefront6targetE0EEEvSD_.has_dyn_sized_stack, 0
	.set _ZN7rocprim17ROCPRIM_400000_NS6detail17trampoline_kernelINS0_14default_configENS1_35radix_sort_onesweep_config_selectorIhNS0_10empty_typeEEEZNS1_34radix_sort_onesweep_global_offsetsIS3_Lb1EPKhPS5_mNS0_19identity_decomposerEEE10hipError_tT1_T2_PT3_SF_jT4_jjP12ihipStream_tbEUlT_E_NS1_11comp_targetILNS1_3genE10ELNS1_11target_archE1201ELNS1_3gpuE5ELNS1_3repE0EEENS1_52radix_sort_onesweep_histogram_config_static_selectorELNS0_4arch9wavefront6targetE0EEEvSD_.has_recursion, 0
	.set _ZN7rocprim17ROCPRIM_400000_NS6detail17trampoline_kernelINS0_14default_configENS1_35radix_sort_onesweep_config_selectorIhNS0_10empty_typeEEEZNS1_34radix_sort_onesweep_global_offsetsIS3_Lb1EPKhPS5_mNS0_19identity_decomposerEEE10hipError_tT1_T2_PT3_SF_jT4_jjP12ihipStream_tbEUlT_E_NS1_11comp_targetILNS1_3genE10ELNS1_11target_archE1201ELNS1_3gpuE5ELNS1_3repE0EEENS1_52radix_sort_onesweep_histogram_config_static_selectorELNS0_4arch9wavefront6targetE0EEEvSD_.has_indirect_call, 0
	.section	.AMDGPU.csdata,"",@progbits
; Kernel info:
; codeLenInByte = 0
; TotalNumSgprs: 0
; NumVgprs: 0
; ScratchSize: 0
; MemoryBound: 0
; FloatMode: 240
; IeeeMode: 1
; LDSByteSize: 0 bytes/workgroup (compile time only)
; SGPRBlocks: 0
; VGPRBlocks: 0
; NumSGPRsForWavesPerEU: 1
; NumVGPRsForWavesPerEU: 1
; NamedBarCnt: 0
; Occupancy: 16
; WaveLimiterHint : 0
; COMPUTE_PGM_RSRC2:SCRATCH_EN: 0
; COMPUTE_PGM_RSRC2:USER_SGPR: 2
; COMPUTE_PGM_RSRC2:TRAP_HANDLER: 0
; COMPUTE_PGM_RSRC2:TGID_X_EN: 1
; COMPUTE_PGM_RSRC2:TGID_Y_EN: 0
; COMPUTE_PGM_RSRC2:TGID_Z_EN: 0
; COMPUTE_PGM_RSRC2:TIDIG_COMP_CNT: 0
	.section	.text._ZN7rocprim17ROCPRIM_400000_NS6detail17trampoline_kernelINS0_14default_configENS1_35radix_sort_onesweep_config_selectorIhNS0_10empty_typeEEEZNS1_34radix_sort_onesweep_global_offsetsIS3_Lb1EPKhPS5_mNS0_19identity_decomposerEEE10hipError_tT1_T2_PT3_SF_jT4_jjP12ihipStream_tbEUlT_E_NS1_11comp_targetILNS1_3genE9ELNS1_11target_archE1100ELNS1_3gpuE3ELNS1_3repE0EEENS1_52radix_sort_onesweep_histogram_config_static_selectorELNS0_4arch9wavefront6targetE0EEEvSD_,"axG",@progbits,_ZN7rocprim17ROCPRIM_400000_NS6detail17trampoline_kernelINS0_14default_configENS1_35radix_sort_onesweep_config_selectorIhNS0_10empty_typeEEEZNS1_34radix_sort_onesweep_global_offsetsIS3_Lb1EPKhPS5_mNS0_19identity_decomposerEEE10hipError_tT1_T2_PT3_SF_jT4_jjP12ihipStream_tbEUlT_E_NS1_11comp_targetILNS1_3genE9ELNS1_11target_archE1100ELNS1_3gpuE3ELNS1_3repE0EEENS1_52radix_sort_onesweep_histogram_config_static_selectorELNS0_4arch9wavefront6targetE0EEEvSD_,comdat
	.protected	_ZN7rocprim17ROCPRIM_400000_NS6detail17trampoline_kernelINS0_14default_configENS1_35radix_sort_onesweep_config_selectorIhNS0_10empty_typeEEEZNS1_34radix_sort_onesweep_global_offsetsIS3_Lb1EPKhPS5_mNS0_19identity_decomposerEEE10hipError_tT1_T2_PT3_SF_jT4_jjP12ihipStream_tbEUlT_E_NS1_11comp_targetILNS1_3genE9ELNS1_11target_archE1100ELNS1_3gpuE3ELNS1_3repE0EEENS1_52radix_sort_onesweep_histogram_config_static_selectorELNS0_4arch9wavefront6targetE0EEEvSD_ ; -- Begin function _ZN7rocprim17ROCPRIM_400000_NS6detail17trampoline_kernelINS0_14default_configENS1_35radix_sort_onesweep_config_selectorIhNS0_10empty_typeEEEZNS1_34radix_sort_onesweep_global_offsetsIS3_Lb1EPKhPS5_mNS0_19identity_decomposerEEE10hipError_tT1_T2_PT3_SF_jT4_jjP12ihipStream_tbEUlT_E_NS1_11comp_targetILNS1_3genE9ELNS1_11target_archE1100ELNS1_3gpuE3ELNS1_3repE0EEENS1_52radix_sort_onesweep_histogram_config_static_selectorELNS0_4arch9wavefront6targetE0EEEvSD_
	.globl	_ZN7rocprim17ROCPRIM_400000_NS6detail17trampoline_kernelINS0_14default_configENS1_35radix_sort_onesweep_config_selectorIhNS0_10empty_typeEEEZNS1_34radix_sort_onesweep_global_offsetsIS3_Lb1EPKhPS5_mNS0_19identity_decomposerEEE10hipError_tT1_T2_PT3_SF_jT4_jjP12ihipStream_tbEUlT_E_NS1_11comp_targetILNS1_3genE9ELNS1_11target_archE1100ELNS1_3gpuE3ELNS1_3repE0EEENS1_52radix_sort_onesweep_histogram_config_static_selectorELNS0_4arch9wavefront6targetE0EEEvSD_
	.p2align	8
	.type	_ZN7rocprim17ROCPRIM_400000_NS6detail17trampoline_kernelINS0_14default_configENS1_35radix_sort_onesweep_config_selectorIhNS0_10empty_typeEEEZNS1_34radix_sort_onesweep_global_offsetsIS3_Lb1EPKhPS5_mNS0_19identity_decomposerEEE10hipError_tT1_T2_PT3_SF_jT4_jjP12ihipStream_tbEUlT_E_NS1_11comp_targetILNS1_3genE9ELNS1_11target_archE1100ELNS1_3gpuE3ELNS1_3repE0EEENS1_52radix_sort_onesweep_histogram_config_static_selectorELNS0_4arch9wavefront6targetE0EEEvSD_,@function
_ZN7rocprim17ROCPRIM_400000_NS6detail17trampoline_kernelINS0_14default_configENS1_35radix_sort_onesweep_config_selectorIhNS0_10empty_typeEEEZNS1_34radix_sort_onesweep_global_offsetsIS3_Lb1EPKhPS5_mNS0_19identity_decomposerEEE10hipError_tT1_T2_PT3_SF_jT4_jjP12ihipStream_tbEUlT_E_NS1_11comp_targetILNS1_3genE9ELNS1_11target_archE1100ELNS1_3gpuE3ELNS1_3repE0EEENS1_52radix_sort_onesweep_histogram_config_static_selectorELNS0_4arch9wavefront6targetE0EEEvSD_: ; @_ZN7rocprim17ROCPRIM_400000_NS6detail17trampoline_kernelINS0_14default_configENS1_35radix_sort_onesweep_config_selectorIhNS0_10empty_typeEEEZNS1_34radix_sort_onesweep_global_offsetsIS3_Lb1EPKhPS5_mNS0_19identity_decomposerEEE10hipError_tT1_T2_PT3_SF_jT4_jjP12ihipStream_tbEUlT_E_NS1_11comp_targetILNS1_3genE9ELNS1_11target_archE1100ELNS1_3gpuE3ELNS1_3repE0EEENS1_52radix_sort_onesweep_histogram_config_static_selectorELNS0_4arch9wavefront6targetE0EEEvSD_
; %bb.0:
	.section	.rodata,"a",@progbits
	.p2align	6, 0x0
	.amdhsa_kernel _ZN7rocprim17ROCPRIM_400000_NS6detail17trampoline_kernelINS0_14default_configENS1_35radix_sort_onesweep_config_selectorIhNS0_10empty_typeEEEZNS1_34radix_sort_onesweep_global_offsetsIS3_Lb1EPKhPS5_mNS0_19identity_decomposerEEE10hipError_tT1_T2_PT3_SF_jT4_jjP12ihipStream_tbEUlT_E_NS1_11comp_targetILNS1_3genE9ELNS1_11target_archE1100ELNS1_3gpuE3ELNS1_3repE0EEENS1_52radix_sort_onesweep_histogram_config_static_selectorELNS0_4arch9wavefront6targetE0EEEvSD_
		.amdhsa_group_segment_fixed_size 0
		.amdhsa_private_segment_fixed_size 0
		.amdhsa_kernarg_size 48
		.amdhsa_user_sgpr_count 2
		.amdhsa_user_sgpr_dispatch_ptr 0
		.amdhsa_user_sgpr_queue_ptr 0
		.amdhsa_user_sgpr_kernarg_segment_ptr 1
		.amdhsa_user_sgpr_dispatch_id 0
		.amdhsa_user_sgpr_kernarg_preload_length 0
		.amdhsa_user_sgpr_kernarg_preload_offset 0
		.amdhsa_user_sgpr_private_segment_size 0
		.amdhsa_wavefront_size32 1
		.amdhsa_uses_dynamic_stack 0
		.amdhsa_enable_private_segment 0
		.amdhsa_system_sgpr_workgroup_id_x 1
		.amdhsa_system_sgpr_workgroup_id_y 0
		.amdhsa_system_sgpr_workgroup_id_z 0
		.amdhsa_system_sgpr_workgroup_info 0
		.amdhsa_system_vgpr_workitem_id 0
		.amdhsa_next_free_vgpr 1
		.amdhsa_next_free_sgpr 1
		.amdhsa_named_barrier_count 0
		.amdhsa_reserve_vcc 0
		.amdhsa_float_round_mode_32 0
		.amdhsa_float_round_mode_16_64 0
		.amdhsa_float_denorm_mode_32 3
		.amdhsa_float_denorm_mode_16_64 3
		.amdhsa_fp16_overflow 0
		.amdhsa_memory_ordered 1
		.amdhsa_forward_progress 1
		.amdhsa_inst_pref_size 0
		.amdhsa_round_robin_scheduling 0
		.amdhsa_exception_fp_ieee_invalid_op 0
		.amdhsa_exception_fp_denorm_src 0
		.amdhsa_exception_fp_ieee_div_zero 0
		.amdhsa_exception_fp_ieee_overflow 0
		.amdhsa_exception_fp_ieee_underflow 0
		.amdhsa_exception_fp_ieee_inexact 0
		.amdhsa_exception_int_div_zero 0
	.end_amdhsa_kernel
	.section	.text._ZN7rocprim17ROCPRIM_400000_NS6detail17trampoline_kernelINS0_14default_configENS1_35radix_sort_onesweep_config_selectorIhNS0_10empty_typeEEEZNS1_34radix_sort_onesweep_global_offsetsIS3_Lb1EPKhPS5_mNS0_19identity_decomposerEEE10hipError_tT1_T2_PT3_SF_jT4_jjP12ihipStream_tbEUlT_E_NS1_11comp_targetILNS1_3genE9ELNS1_11target_archE1100ELNS1_3gpuE3ELNS1_3repE0EEENS1_52radix_sort_onesweep_histogram_config_static_selectorELNS0_4arch9wavefront6targetE0EEEvSD_,"axG",@progbits,_ZN7rocprim17ROCPRIM_400000_NS6detail17trampoline_kernelINS0_14default_configENS1_35radix_sort_onesweep_config_selectorIhNS0_10empty_typeEEEZNS1_34radix_sort_onesweep_global_offsetsIS3_Lb1EPKhPS5_mNS0_19identity_decomposerEEE10hipError_tT1_T2_PT3_SF_jT4_jjP12ihipStream_tbEUlT_E_NS1_11comp_targetILNS1_3genE9ELNS1_11target_archE1100ELNS1_3gpuE3ELNS1_3repE0EEENS1_52radix_sort_onesweep_histogram_config_static_selectorELNS0_4arch9wavefront6targetE0EEEvSD_,comdat
.Lfunc_end89:
	.size	_ZN7rocprim17ROCPRIM_400000_NS6detail17trampoline_kernelINS0_14default_configENS1_35radix_sort_onesweep_config_selectorIhNS0_10empty_typeEEEZNS1_34radix_sort_onesweep_global_offsetsIS3_Lb1EPKhPS5_mNS0_19identity_decomposerEEE10hipError_tT1_T2_PT3_SF_jT4_jjP12ihipStream_tbEUlT_E_NS1_11comp_targetILNS1_3genE9ELNS1_11target_archE1100ELNS1_3gpuE3ELNS1_3repE0EEENS1_52radix_sort_onesweep_histogram_config_static_selectorELNS0_4arch9wavefront6targetE0EEEvSD_, .Lfunc_end89-_ZN7rocprim17ROCPRIM_400000_NS6detail17trampoline_kernelINS0_14default_configENS1_35radix_sort_onesweep_config_selectorIhNS0_10empty_typeEEEZNS1_34radix_sort_onesweep_global_offsetsIS3_Lb1EPKhPS5_mNS0_19identity_decomposerEEE10hipError_tT1_T2_PT3_SF_jT4_jjP12ihipStream_tbEUlT_E_NS1_11comp_targetILNS1_3genE9ELNS1_11target_archE1100ELNS1_3gpuE3ELNS1_3repE0EEENS1_52radix_sort_onesweep_histogram_config_static_selectorELNS0_4arch9wavefront6targetE0EEEvSD_
                                        ; -- End function
	.set _ZN7rocprim17ROCPRIM_400000_NS6detail17trampoline_kernelINS0_14default_configENS1_35radix_sort_onesweep_config_selectorIhNS0_10empty_typeEEEZNS1_34radix_sort_onesweep_global_offsetsIS3_Lb1EPKhPS5_mNS0_19identity_decomposerEEE10hipError_tT1_T2_PT3_SF_jT4_jjP12ihipStream_tbEUlT_E_NS1_11comp_targetILNS1_3genE9ELNS1_11target_archE1100ELNS1_3gpuE3ELNS1_3repE0EEENS1_52radix_sort_onesweep_histogram_config_static_selectorELNS0_4arch9wavefront6targetE0EEEvSD_.num_vgpr, 0
	.set _ZN7rocprim17ROCPRIM_400000_NS6detail17trampoline_kernelINS0_14default_configENS1_35radix_sort_onesweep_config_selectorIhNS0_10empty_typeEEEZNS1_34radix_sort_onesweep_global_offsetsIS3_Lb1EPKhPS5_mNS0_19identity_decomposerEEE10hipError_tT1_T2_PT3_SF_jT4_jjP12ihipStream_tbEUlT_E_NS1_11comp_targetILNS1_3genE9ELNS1_11target_archE1100ELNS1_3gpuE3ELNS1_3repE0EEENS1_52radix_sort_onesweep_histogram_config_static_selectorELNS0_4arch9wavefront6targetE0EEEvSD_.num_agpr, 0
	.set _ZN7rocprim17ROCPRIM_400000_NS6detail17trampoline_kernelINS0_14default_configENS1_35radix_sort_onesweep_config_selectorIhNS0_10empty_typeEEEZNS1_34radix_sort_onesweep_global_offsetsIS3_Lb1EPKhPS5_mNS0_19identity_decomposerEEE10hipError_tT1_T2_PT3_SF_jT4_jjP12ihipStream_tbEUlT_E_NS1_11comp_targetILNS1_3genE9ELNS1_11target_archE1100ELNS1_3gpuE3ELNS1_3repE0EEENS1_52radix_sort_onesweep_histogram_config_static_selectorELNS0_4arch9wavefront6targetE0EEEvSD_.numbered_sgpr, 0
	.set _ZN7rocprim17ROCPRIM_400000_NS6detail17trampoline_kernelINS0_14default_configENS1_35radix_sort_onesweep_config_selectorIhNS0_10empty_typeEEEZNS1_34radix_sort_onesweep_global_offsetsIS3_Lb1EPKhPS5_mNS0_19identity_decomposerEEE10hipError_tT1_T2_PT3_SF_jT4_jjP12ihipStream_tbEUlT_E_NS1_11comp_targetILNS1_3genE9ELNS1_11target_archE1100ELNS1_3gpuE3ELNS1_3repE0EEENS1_52radix_sort_onesweep_histogram_config_static_selectorELNS0_4arch9wavefront6targetE0EEEvSD_.num_named_barrier, 0
	.set _ZN7rocprim17ROCPRIM_400000_NS6detail17trampoline_kernelINS0_14default_configENS1_35radix_sort_onesweep_config_selectorIhNS0_10empty_typeEEEZNS1_34radix_sort_onesweep_global_offsetsIS3_Lb1EPKhPS5_mNS0_19identity_decomposerEEE10hipError_tT1_T2_PT3_SF_jT4_jjP12ihipStream_tbEUlT_E_NS1_11comp_targetILNS1_3genE9ELNS1_11target_archE1100ELNS1_3gpuE3ELNS1_3repE0EEENS1_52radix_sort_onesweep_histogram_config_static_selectorELNS0_4arch9wavefront6targetE0EEEvSD_.private_seg_size, 0
	.set _ZN7rocprim17ROCPRIM_400000_NS6detail17trampoline_kernelINS0_14default_configENS1_35radix_sort_onesweep_config_selectorIhNS0_10empty_typeEEEZNS1_34radix_sort_onesweep_global_offsetsIS3_Lb1EPKhPS5_mNS0_19identity_decomposerEEE10hipError_tT1_T2_PT3_SF_jT4_jjP12ihipStream_tbEUlT_E_NS1_11comp_targetILNS1_3genE9ELNS1_11target_archE1100ELNS1_3gpuE3ELNS1_3repE0EEENS1_52radix_sort_onesweep_histogram_config_static_selectorELNS0_4arch9wavefront6targetE0EEEvSD_.uses_vcc, 0
	.set _ZN7rocprim17ROCPRIM_400000_NS6detail17trampoline_kernelINS0_14default_configENS1_35radix_sort_onesweep_config_selectorIhNS0_10empty_typeEEEZNS1_34radix_sort_onesweep_global_offsetsIS3_Lb1EPKhPS5_mNS0_19identity_decomposerEEE10hipError_tT1_T2_PT3_SF_jT4_jjP12ihipStream_tbEUlT_E_NS1_11comp_targetILNS1_3genE9ELNS1_11target_archE1100ELNS1_3gpuE3ELNS1_3repE0EEENS1_52radix_sort_onesweep_histogram_config_static_selectorELNS0_4arch9wavefront6targetE0EEEvSD_.uses_flat_scratch, 0
	.set _ZN7rocprim17ROCPRIM_400000_NS6detail17trampoline_kernelINS0_14default_configENS1_35radix_sort_onesweep_config_selectorIhNS0_10empty_typeEEEZNS1_34radix_sort_onesweep_global_offsetsIS3_Lb1EPKhPS5_mNS0_19identity_decomposerEEE10hipError_tT1_T2_PT3_SF_jT4_jjP12ihipStream_tbEUlT_E_NS1_11comp_targetILNS1_3genE9ELNS1_11target_archE1100ELNS1_3gpuE3ELNS1_3repE0EEENS1_52radix_sort_onesweep_histogram_config_static_selectorELNS0_4arch9wavefront6targetE0EEEvSD_.has_dyn_sized_stack, 0
	.set _ZN7rocprim17ROCPRIM_400000_NS6detail17trampoline_kernelINS0_14default_configENS1_35radix_sort_onesweep_config_selectorIhNS0_10empty_typeEEEZNS1_34radix_sort_onesweep_global_offsetsIS3_Lb1EPKhPS5_mNS0_19identity_decomposerEEE10hipError_tT1_T2_PT3_SF_jT4_jjP12ihipStream_tbEUlT_E_NS1_11comp_targetILNS1_3genE9ELNS1_11target_archE1100ELNS1_3gpuE3ELNS1_3repE0EEENS1_52radix_sort_onesweep_histogram_config_static_selectorELNS0_4arch9wavefront6targetE0EEEvSD_.has_recursion, 0
	.set _ZN7rocprim17ROCPRIM_400000_NS6detail17trampoline_kernelINS0_14default_configENS1_35radix_sort_onesweep_config_selectorIhNS0_10empty_typeEEEZNS1_34radix_sort_onesweep_global_offsetsIS3_Lb1EPKhPS5_mNS0_19identity_decomposerEEE10hipError_tT1_T2_PT3_SF_jT4_jjP12ihipStream_tbEUlT_E_NS1_11comp_targetILNS1_3genE9ELNS1_11target_archE1100ELNS1_3gpuE3ELNS1_3repE0EEENS1_52radix_sort_onesweep_histogram_config_static_selectorELNS0_4arch9wavefront6targetE0EEEvSD_.has_indirect_call, 0
	.section	.AMDGPU.csdata,"",@progbits
; Kernel info:
; codeLenInByte = 0
; TotalNumSgprs: 0
; NumVgprs: 0
; ScratchSize: 0
; MemoryBound: 0
; FloatMode: 240
; IeeeMode: 1
; LDSByteSize: 0 bytes/workgroup (compile time only)
; SGPRBlocks: 0
; VGPRBlocks: 0
; NumSGPRsForWavesPerEU: 1
; NumVGPRsForWavesPerEU: 1
; NamedBarCnt: 0
; Occupancy: 16
; WaveLimiterHint : 0
; COMPUTE_PGM_RSRC2:SCRATCH_EN: 0
; COMPUTE_PGM_RSRC2:USER_SGPR: 2
; COMPUTE_PGM_RSRC2:TRAP_HANDLER: 0
; COMPUTE_PGM_RSRC2:TGID_X_EN: 1
; COMPUTE_PGM_RSRC2:TGID_Y_EN: 0
; COMPUTE_PGM_RSRC2:TGID_Z_EN: 0
; COMPUTE_PGM_RSRC2:TIDIG_COMP_CNT: 0
	.section	.text._ZN7rocprim17ROCPRIM_400000_NS6detail17trampoline_kernelINS0_14default_configENS1_35radix_sort_onesweep_config_selectorIhNS0_10empty_typeEEEZNS1_34radix_sort_onesweep_global_offsetsIS3_Lb1EPKhPS5_mNS0_19identity_decomposerEEE10hipError_tT1_T2_PT3_SF_jT4_jjP12ihipStream_tbEUlT_E_NS1_11comp_targetILNS1_3genE8ELNS1_11target_archE1030ELNS1_3gpuE2ELNS1_3repE0EEENS1_52radix_sort_onesweep_histogram_config_static_selectorELNS0_4arch9wavefront6targetE0EEEvSD_,"axG",@progbits,_ZN7rocprim17ROCPRIM_400000_NS6detail17trampoline_kernelINS0_14default_configENS1_35radix_sort_onesweep_config_selectorIhNS0_10empty_typeEEEZNS1_34radix_sort_onesweep_global_offsetsIS3_Lb1EPKhPS5_mNS0_19identity_decomposerEEE10hipError_tT1_T2_PT3_SF_jT4_jjP12ihipStream_tbEUlT_E_NS1_11comp_targetILNS1_3genE8ELNS1_11target_archE1030ELNS1_3gpuE2ELNS1_3repE0EEENS1_52radix_sort_onesweep_histogram_config_static_selectorELNS0_4arch9wavefront6targetE0EEEvSD_,comdat
	.protected	_ZN7rocprim17ROCPRIM_400000_NS6detail17trampoline_kernelINS0_14default_configENS1_35radix_sort_onesweep_config_selectorIhNS0_10empty_typeEEEZNS1_34radix_sort_onesweep_global_offsetsIS3_Lb1EPKhPS5_mNS0_19identity_decomposerEEE10hipError_tT1_T2_PT3_SF_jT4_jjP12ihipStream_tbEUlT_E_NS1_11comp_targetILNS1_3genE8ELNS1_11target_archE1030ELNS1_3gpuE2ELNS1_3repE0EEENS1_52radix_sort_onesweep_histogram_config_static_selectorELNS0_4arch9wavefront6targetE0EEEvSD_ ; -- Begin function _ZN7rocprim17ROCPRIM_400000_NS6detail17trampoline_kernelINS0_14default_configENS1_35radix_sort_onesweep_config_selectorIhNS0_10empty_typeEEEZNS1_34radix_sort_onesweep_global_offsetsIS3_Lb1EPKhPS5_mNS0_19identity_decomposerEEE10hipError_tT1_T2_PT3_SF_jT4_jjP12ihipStream_tbEUlT_E_NS1_11comp_targetILNS1_3genE8ELNS1_11target_archE1030ELNS1_3gpuE2ELNS1_3repE0EEENS1_52radix_sort_onesweep_histogram_config_static_selectorELNS0_4arch9wavefront6targetE0EEEvSD_
	.globl	_ZN7rocprim17ROCPRIM_400000_NS6detail17trampoline_kernelINS0_14default_configENS1_35radix_sort_onesweep_config_selectorIhNS0_10empty_typeEEEZNS1_34radix_sort_onesweep_global_offsetsIS3_Lb1EPKhPS5_mNS0_19identity_decomposerEEE10hipError_tT1_T2_PT3_SF_jT4_jjP12ihipStream_tbEUlT_E_NS1_11comp_targetILNS1_3genE8ELNS1_11target_archE1030ELNS1_3gpuE2ELNS1_3repE0EEENS1_52radix_sort_onesweep_histogram_config_static_selectorELNS0_4arch9wavefront6targetE0EEEvSD_
	.p2align	8
	.type	_ZN7rocprim17ROCPRIM_400000_NS6detail17trampoline_kernelINS0_14default_configENS1_35radix_sort_onesweep_config_selectorIhNS0_10empty_typeEEEZNS1_34radix_sort_onesweep_global_offsetsIS3_Lb1EPKhPS5_mNS0_19identity_decomposerEEE10hipError_tT1_T2_PT3_SF_jT4_jjP12ihipStream_tbEUlT_E_NS1_11comp_targetILNS1_3genE8ELNS1_11target_archE1030ELNS1_3gpuE2ELNS1_3repE0EEENS1_52radix_sort_onesweep_histogram_config_static_selectorELNS0_4arch9wavefront6targetE0EEEvSD_,@function
_ZN7rocprim17ROCPRIM_400000_NS6detail17trampoline_kernelINS0_14default_configENS1_35radix_sort_onesweep_config_selectorIhNS0_10empty_typeEEEZNS1_34radix_sort_onesweep_global_offsetsIS3_Lb1EPKhPS5_mNS0_19identity_decomposerEEE10hipError_tT1_T2_PT3_SF_jT4_jjP12ihipStream_tbEUlT_E_NS1_11comp_targetILNS1_3genE8ELNS1_11target_archE1030ELNS1_3gpuE2ELNS1_3repE0EEENS1_52radix_sort_onesweep_histogram_config_static_selectorELNS0_4arch9wavefront6targetE0EEEvSD_: ; @_ZN7rocprim17ROCPRIM_400000_NS6detail17trampoline_kernelINS0_14default_configENS1_35radix_sort_onesweep_config_selectorIhNS0_10empty_typeEEEZNS1_34radix_sort_onesweep_global_offsetsIS3_Lb1EPKhPS5_mNS0_19identity_decomposerEEE10hipError_tT1_T2_PT3_SF_jT4_jjP12ihipStream_tbEUlT_E_NS1_11comp_targetILNS1_3genE8ELNS1_11target_archE1030ELNS1_3gpuE2ELNS1_3repE0EEENS1_52radix_sort_onesweep_histogram_config_static_selectorELNS0_4arch9wavefront6targetE0EEEvSD_
; %bb.0:
	.section	.rodata,"a",@progbits
	.p2align	6, 0x0
	.amdhsa_kernel _ZN7rocprim17ROCPRIM_400000_NS6detail17trampoline_kernelINS0_14default_configENS1_35radix_sort_onesweep_config_selectorIhNS0_10empty_typeEEEZNS1_34radix_sort_onesweep_global_offsetsIS3_Lb1EPKhPS5_mNS0_19identity_decomposerEEE10hipError_tT1_T2_PT3_SF_jT4_jjP12ihipStream_tbEUlT_E_NS1_11comp_targetILNS1_3genE8ELNS1_11target_archE1030ELNS1_3gpuE2ELNS1_3repE0EEENS1_52radix_sort_onesweep_histogram_config_static_selectorELNS0_4arch9wavefront6targetE0EEEvSD_
		.amdhsa_group_segment_fixed_size 0
		.amdhsa_private_segment_fixed_size 0
		.amdhsa_kernarg_size 48
		.amdhsa_user_sgpr_count 2
		.amdhsa_user_sgpr_dispatch_ptr 0
		.amdhsa_user_sgpr_queue_ptr 0
		.amdhsa_user_sgpr_kernarg_segment_ptr 1
		.amdhsa_user_sgpr_dispatch_id 0
		.amdhsa_user_sgpr_kernarg_preload_length 0
		.amdhsa_user_sgpr_kernarg_preload_offset 0
		.amdhsa_user_sgpr_private_segment_size 0
		.amdhsa_wavefront_size32 1
		.amdhsa_uses_dynamic_stack 0
		.amdhsa_enable_private_segment 0
		.amdhsa_system_sgpr_workgroup_id_x 1
		.amdhsa_system_sgpr_workgroup_id_y 0
		.amdhsa_system_sgpr_workgroup_id_z 0
		.amdhsa_system_sgpr_workgroup_info 0
		.amdhsa_system_vgpr_workitem_id 0
		.amdhsa_next_free_vgpr 1
		.amdhsa_next_free_sgpr 1
		.amdhsa_named_barrier_count 0
		.amdhsa_reserve_vcc 0
		.amdhsa_float_round_mode_32 0
		.amdhsa_float_round_mode_16_64 0
		.amdhsa_float_denorm_mode_32 3
		.amdhsa_float_denorm_mode_16_64 3
		.amdhsa_fp16_overflow 0
		.amdhsa_memory_ordered 1
		.amdhsa_forward_progress 1
		.amdhsa_inst_pref_size 0
		.amdhsa_round_robin_scheduling 0
		.amdhsa_exception_fp_ieee_invalid_op 0
		.amdhsa_exception_fp_denorm_src 0
		.amdhsa_exception_fp_ieee_div_zero 0
		.amdhsa_exception_fp_ieee_overflow 0
		.amdhsa_exception_fp_ieee_underflow 0
		.amdhsa_exception_fp_ieee_inexact 0
		.amdhsa_exception_int_div_zero 0
	.end_amdhsa_kernel
	.section	.text._ZN7rocprim17ROCPRIM_400000_NS6detail17trampoline_kernelINS0_14default_configENS1_35radix_sort_onesweep_config_selectorIhNS0_10empty_typeEEEZNS1_34radix_sort_onesweep_global_offsetsIS3_Lb1EPKhPS5_mNS0_19identity_decomposerEEE10hipError_tT1_T2_PT3_SF_jT4_jjP12ihipStream_tbEUlT_E_NS1_11comp_targetILNS1_3genE8ELNS1_11target_archE1030ELNS1_3gpuE2ELNS1_3repE0EEENS1_52radix_sort_onesweep_histogram_config_static_selectorELNS0_4arch9wavefront6targetE0EEEvSD_,"axG",@progbits,_ZN7rocprim17ROCPRIM_400000_NS6detail17trampoline_kernelINS0_14default_configENS1_35radix_sort_onesweep_config_selectorIhNS0_10empty_typeEEEZNS1_34radix_sort_onesweep_global_offsetsIS3_Lb1EPKhPS5_mNS0_19identity_decomposerEEE10hipError_tT1_T2_PT3_SF_jT4_jjP12ihipStream_tbEUlT_E_NS1_11comp_targetILNS1_3genE8ELNS1_11target_archE1030ELNS1_3gpuE2ELNS1_3repE0EEENS1_52radix_sort_onesweep_histogram_config_static_selectorELNS0_4arch9wavefront6targetE0EEEvSD_,comdat
.Lfunc_end90:
	.size	_ZN7rocprim17ROCPRIM_400000_NS6detail17trampoline_kernelINS0_14default_configENS1_35radix_sort_onesweep_config_selectorIhNS0_10empty_typeEEEZNS1_34radix_sort_onesweep_global_offsetsIS3_Lb1EPKhPS5_mNS0_19identity_decomposerEEE10hipError_tT1_T2_PT3_SF_jT4_jjP12ihipStream_tbEUlT_E_NS1_11comp_targetILNS1_3genE8ELNS1_11target_archE1030ELNS1_3gpuE2ELNS1_3repE0EEENS1_52radix_sort_onesweep_histogram_config_static_selectorELNS0_4arch9wavefront6targetE0EEEvSD_, .Lfunc_end90-_ZN7rocprim17ROCPRIM_400000_NS6detail17trampoline_kernelINS0_14default_configENS1_35radix_sort_onesweep_config_selectorIhNS0_10empty_typeEEEZNS1_34radix_sort_onesweep_global_offsetsIS3_Lb1EPKhPS5_mNS0_19identity_decomposerEEE10hipError_tT1_T2_PT3_SF_jT4_jjP12ihipStream_tbEUlT_E_NS1_11comp_targetILNS1_3genE8ELNS1_11target_archE1030ELNS1_3gpuE2ELNS1_3repE0EEENS1_52radix_sort_onesweep_histogram_config_static_selectorELNS0_4arch9wavefront6targetE0EEEvSD_
                                        ; -- End function
	.set _ZN7rocprim17ROCPRIM_400000_NS6detail17trampoline_kernelINS0_14default_configENS1_35radix_sort_onesweep_config_selectorIhNS0_10empty_typeEEEZNS1_34radix_sort_onesweep_global_offsetsIS3_Lb1EPKhPS5_mNS0_19identity_decomposerEEE10hipError_tT1_T2_PT3_SF_jT4_jjP12ihipStream_tbEUlT_E_NS1_11comp_targetILNS1_3genE8ELNS1_11target_archE1030ELNS1_3gpuE2ELNS1_3repE0EEENS1_52radix_sort_onesweep_histogram_config_static_selectorELNS0_4arch9wavefront6targetE0EEEvSD_.num_vgpr, 0
	.set _ZN7rocprim17ROCPRIM_400000_NS6detail17trampoline_kernelINS0_14default_configENS1_35radix_sort_onesweep_config_selectorIhNS0_10empty_typeEEEZNS1_34radix_sort_onesweep_global_offsetsIS3_Lb1EPKhPS5_mNS0_19identity_decomposerEEE10hipError_tT1_T2_PT3_SF_jT4_jjP12ihipStream_tbEUlT_E_NS1_11comp_targetILNS1_3genE8ELNS1_11target_archE1030ELNS1_3gpuE2ELNS1_3repE0EEENS1_52radix_sort_onesweep_histogram_config_static_selectorELNS0_4arch9wavefront6targetE0EEEvSD_.num_agpr, 0
	.set _ZN7rocprim17ROCPRIM_400000_NS6detail17trampoline_kernelINS0_14default_configENS1_35radix_sort_onesweep_config_selectorIhNS0_10empty_typeEEEZNS1_34radix_sort_onesweep_global_offsetsIS3_Lb1EPKhPS5_mNS0_19identity_decomposerEEE10hipError_tT1_T2_PT3_SF_jT4_jjP12ihipStream_tbEUlT_E_NS1_11comp_targetILNS1_3genE8ELNS1_11target_archE1030ELNS1_3gpuE2ELNS1_3repE0EEENS1_52radix_sort_onesweep_histogram_config_static_selectorELNS0_4arch9wavefront6targetE0EEEvSD_.numbered_sgpr, 0
	.set _ZN7rocprim17ROCPRIM_400000_NS6detail17trampoline_kernelINS0_14default_configENS1_35radix_sort_onesweep_config_selectorIhNS0_10empty_typeEEEZNS1_34radix_sort_onesweep_global_offsetsIS3_Lb1EPKhPS5_mNS0_19identity_decomposerEEE10hipError_tT1_T2_PT3_SF_jT4_jjP12ihipStream_tbEUlT_E_NS1_11comp_targetILNS1_3genE8ELNS1_11target_archE1030ELNS1_3gpuE2ELNS1_3repE0EEENS1_52radix_sort_onesweep_histogram_config_static_selectorELNS0_4arch9wavefront6targetE0EEEvSD_.num_named_barrier, 0
	.set _ZN7rocprim17ROCPRIM_400000_NS6detail17trampoline_kernelINS0_14default_configENS1_35radix_sort_onesweep_config_selectorIhNS0_10empty_typeEEEZNS1_34radix_sort_onesweep_global_offsetsIS3_Lb1EPKhPS5_mNS0_19identity_decomposerEEE10hipError_tT1_T2_PT3_SF_jT4_jjP12ihipStream_tbEUlT_E_NS1_11comp_targetILNS1_3genE8ELNS1_11target_archE1030ELNS1_3gpuE2ELNS1_3repE0EEENS1_52radix_sort_onesweep_histogram_config_static_selectorELNS0_4arch9wavefront6targetE0EEEvSD_.private_seg_size, 0
	.set _ZN7rocprim17ROCPRIM_400000_NS6detail17trampoline_kernelINS0_14default_configENS1_35radix_sort_onesweep_config_selectorIhNS0_10empty_typeEEEZNS1_34radix_sort_onesweep_global_offsetsIS3_Lb1EPKhPS5_mNS0_19identity_decomposerEEE10hipError_tT1_T2_PT3_SF_jT4_jjP12ihipStream_tbEUlT_E_NS1_11comp_targetILNS1_3genE8ELNS1_11target_archE1030ELNS1_3gpuE2ELNS1_3repE0EEENS1_52radix_sort_onesweep_histogram_config_static_selectorELNS0_4arch9wavefront6targetE0EEEvSD_.uses_vcc, 0
	.set _ZN7rocprim17ROCPRIM_400000_NS6detail17trampoline_kernelINS0_14default_configENS1_35radix_sort_onesweep_config_selectorIhNS0_10empty_typeEEEZNS1_34radix_sort_onesweep_global_offsetsIS3_Lb1EPKhPS5_mNS0_19identity_decomposerEEE10hipError_tT1_T2_PT3_SF_jT4_jjP12ihipStream_tbEUlT_E_NS1_11comp_targetILNS1_3genE8ELNS1_11target_archE1030ELNS1_3gpuE2ELNS1_3repE0EEENS1_52radix_sort_onesweep_histogram_config_static_selectorELNS0_4arch9wavefront6targetE0EEEvSD_.uses_flat_scratch, 0
	.set _ZN7rocprim17ROCPRIM_400000_NS6detail17trampoline_kernelINS0_14default_configENS1_35radix_sort_onesweep_config_selectorIhNS0_10empty_typeEEEZNS1_34radix_sort_onesweep_global_offsetsIS3_Lb1EPKhPS5_mNS0_19identity_decomposerEEE10hipError_tT1_T2_PT3_SF_jT4_jjP12ihipStream_tbEUlT_E_NS1_11comp_targetILNS1_3genE8ELNS1_11target_archE1030ELNS1_3gpuE2ELNS1_3repE0EEENS1_52radix_sort_onesweep_histogram_config_static_selectorELNS0_4arch9wavefront6targetE0EEEvSD_.has_dyn_sized_stack, 0
	.set _ZN7rocprim17ROCPRIM_400000_NS6detail17trampoline_kernelINS0_14default_configENS1_35radix_sort_onesweep_config_selectorIhNS0_10empty_typeEEEZNS1_34radix_sort_onesweep_global_offsetsIS3_Lb1EPKhPS5_mNS0_19identity_decomposerEEE10hipError_tT1_T2_PT3_SF_jT4_jjP12ihipStream_tbEUlT_E_NS1_11comp_targetILNS1_3genE8ELNS1_11target_archE1030ELNS1_3gpuE2ELNS1_3repE0EEENS1_52radix_sort_onesweep_histogram_config_static_selectorELNS0_4arch9wavefront6targetE0EEEvSD_.has_recursion, 0
	.set _ZN7rocprim17ROCPRIM_400000_NS6detail17trampoline_kernelINS0_14default_configENS1_35radix_sort_onesweep_config_selectorIhNS0_10empty_typeEEEZNS1_34radix_sort_onesweep_global_offsetsIS3_Lb1EPKhPS5_mNS0_19identity_decomposerEEE10hipError_tT1_T2_PT3_SF_jT4_jjP12ihipStream_tbEUlT_E_NS1_11comp_targetILNS1_3genE8ELNS1_11target_archE1030ELNS1_3gpuE2ELNS1_3repE0EEENS1_52radix_sort_onesweep_histogram_config_static_selectorELNS0_4arch9wavefront6targetE0EEEvSD_.has_indirect_call, 0
	.section	.AMDGPU.csdata,"",@progbits
; Kernel info:
; codeLenInByte = 0
; TotalNumSgprs: 0
; NumVgprs: 0
; ScratchSize: 0
; MemoryBound: 0
; FloatMode: 240
; IeeeMode: 1
; LDSByteSize: 0 bytes/workgroup (compile time only)
; SGPRBlocks: 0
; VGPRBlocks: 0
; NumSGPRsForWavesPerEU: 1
; NumVGPRsForWavesPerEU: 1
; NamedBarCnt: 0
; Occupancy: 16
; WaveLimiterHint : 0
; COMPUTE_PGM_RSRC2:SCRATCH_EN: 0
; COMPUTE_PGM_RSRC2:USER_SGPR: 2
; COMPUTE_PGM_RSRC2:TRAP_HANDLER: 0
; COMPUTE_PGM_RSRC2:TGID_X_EN: 1
; COMPUTE_PGM_RSRC2:TGID_Y_EN: 0
; COMPUTE_PGM_RSRC2:TGID_Z_EN: 0
; COMPUTE_PGM_RSRC2:TIDIG_COMP_CNT: 0
	.section	.text._ZN7rocprim17ROCPRIM_400000_NS6detail17trampoline_kernelINS0_14default_configENS1_35radix_sort_onesweep_config_selectorIhNS0_10empty_typeEEEZNS1_34radix_sort_onesweep_global_offsetsIS3_Lb1EPKhPS5_mNS0_19identity_decomposerEEE10hipError_tT1_T2_PT3_SF_jT4_jjP12ihipStream_tbEUlT_E0_NS1_11comp_targetILNS1_3genE0ELNS1_11target_archE4294967295ELNS1_3gpuE0ELNS1_3repE0EEENS1_52radix_sort_onesweep_histogram_config_static_selectorELNS0_4arch9wavefront6targetE0EEEvSD_,"axG",@progbits,_ZN7rocprim17ROCPRIM_400000_NS6detail17trampoline_kernelINS0_14default_configENS1_35radix_sort_onesweep_config_selectorIhNS0_10empty_typeEEEZNS1_34radix_sort_onesweep_global_offsetsIS3_Lb1EPKhPS5_mNS0_19identity_decomposerEEE10hipError_tT1_T2_PT3_SF_jT4_jjP12ihipStream_tbEUlT_E0_NS1_11comp_targetILNS1_3genE0ELNS1_11target_archE4294967295ELNS1_3gpuE0ELNS1_3repE0EEENS1_52radix_sort_onesweep_histogram_config_static_selectorELNS0_4arch9wavefront6targetE0EEEvSD_,comdat
	.protected	_ZN7rocprim17ROCPRIM_400000_NS6detail17trampoline_kernelINS0_14default_configENS1_35radix_sort_onesweep_config_selectorIhNS0_10empty_typeEEEZNS1_34radix_sort_onesweep_global_offsetsIS3_Lb1EPKhPS5_mNS0_19identity_decomposerEEE10hipError_tT1_T2_PT3_SF_jT4_jjP12ihipStream_tbEUlT_E0_NS1_11comp_targetILNS1_3genE0ELNS1_11target_archE4294967295ELNS1_3gpuE0ELNS1_3repE0EEENS1_52radix_sort_onesweep_histogram_config_static_selectorELNS0_4arch9wavefront6targetE0EEEvSD_ ; -- Begin function _ZN7rocprim17ROCPRIM_400000_NS6detail17trampoline_kernelINS0_14default_configENS1_35radix_sort_onesweep_config_selectorIhNS0_10empty_typeEEEZNS1_34radix_sort_onesweep_global_offsetsIS3_Lb1EPKhPS5_mNS0_19identity_decomposerEEE10hipError_tT1_T2_PT3_SF_jT4_jjP12ihipStream_tbEUlT_E0_NS1_11comp_targetILNS1_3genE0ELNS1_11target_archE4294967295ELNS1_3gpuE0ELNS1_3repE0EEENS1_52radix_sort_onesweep_histogram_config_static_selectorELNS0_4arch9wavefront6targetE0EEEvSD_
	.globl	_ZN7rocprim17ROCPRIM_400000_NS6detail17trampoline_kernelINS0_14default_configENS1_35radix_sort_onesweep_config_selectorIhNS0_10empty_typeEEEZNS1_34radix_sort_onesweep_global_offsetsIS3_Lb1EPKhPS5_mNS0_19identity_decomposerEEE10hipError_tT1_T2_PT3_SF_jT4_jjP12ihipStream_tbEUlT_E0_NS1_11comp_targetILNS1_3genE0ELNS1_11target_archE4294967295ELNS1_3gpuE0ELNS1_3repE0EEENS1_52radix_sort_onesweep_histogram_config_static_selectorELNS0_4arch9wavefront6targetE0EEEvSD_
	.p2align	8
	.type	_ZN7rocprim17ROCPRIM_400000_NS6detail17trampoline_kernelINS0_14default_configENS1_35radix_sort_onesweep_config_selectorIhNS0_10empty_typeEEEZNS1_34radix_sort_onesweep_global_offsetsIS3_Lb1EPKhPS5_mNS0_19identity_decomposerEEE10hipError_tT1_T2_PT3_SF_jT4_jjP12ihipStream_tbEUlT_E0_NS1_11comp_targetILNS1_3genE0ELNS1_11target_archE4294967295ELNS1_3gpuE0ELNS1_3repE0EEENS1_52radix_sort_onesweep_histogram_config_static_selectorELNS0_4arch9wavefront6targetE0EEEvSD_,@function
_ZN7rocprim17ROCPRIM_400000_NS6detail17trampoline_kernelINS0_14default_configENS1_35radix_sort_onesweep_config_selectorIhNS0_10empty_typeEEEZNS1_34radix_sort_onesweep_global_offsetsIS3_Lb1EPKhPS5_mNS0_19identity_decomposerEEE10hipError_tT1_T2_PT3_SF_jT4_jjP12ihipStream_tbEUlT_E0_NS1_11comp_targetILNS1_3genE0ELNS1_11target_archE4294967295ELNS1_3gpuE0ELNS1_3repE0EEENS1_52radix_sort_onesweep_histogram_config_static_selectorELNS0_4arch9wavefront6targetE0EEEvSD_: ; @_ZN7rocprim17ROCPRIM_400000_NS6detail17trampoline_kernelINS0_14default_configENS1_35radix_sort_onesweep_config_selectorIhNS0_10empty_typeEEEZNS1_34radix_sort_onesweep_global_offsetsIS3_Lb1EPKhPS5_mNS0_19identity_decomposerEEE10hipError_tT1_T2_PT3_SF_jT4_jjP12ihipStream_tbEUlT_E0_NS1_11comp_targetILNS1_3genE0ELNS1_11target_archE4294967295ELNS1_3gpuE0ELNS1_3repE0EEENS1_52radix_sort_onesweep_histogram_config_static_selectorELNS0_4arch9wavefront6targetE0EEEvSD_
; %bb.0:
	s_load_b64 s[0:1], s[0:1], 0x0
	s_bfe_u32 s2, ttmp6, 0x4000c
	s_and_b32 s3, ttmp6, 15
	s_add_co_i32 s2, s2, 1
	s_getreg_b32 s4, hwreg(HW_REG_IB_STS2, 6, 4)
	s_mul_i32 s2, ttmp9, s2
	v_cmp_gt_u32_e32 vcc_lo, 16, v0
	s_add_co_i32 s3, s3, s2
	s_cmp_eq_u32 s4, 0
                                        ; implicit-def: $vgpr2_vgpr3
	s_cselect_b32 s2, ttmp9, s3
	s_mov_b32 s3, 0
	s_lshl_b32 s2, s2, 4
	s_delay_alu instid0(SALU_CYCLE_1)
	s_lshl_b64 s[2:3], s[2:3], 3
	s_wait_kmcnt 0x0
	s_add_nc_u64 s[8:9], s[0:1], s[2:3]
	s_and_saveexec_b32 s0, vcc_lo
	s_cbranch_execz .LBB91_2
; %bb.1:
	global_load_b64 v[2:3], v0, s[8:9] scale_offset
.LBB91_2:
	s_wait_xcnt 0x0
	s_or_b32 exec_lo, exec_lo, s0
	v_mbcnt_lo_u32_b32 v1, -1, 0
	s_wait_loadcnt 0x0
	v_mov_b32_dpp v6, v2 row_shr:1 row_mask:0xf bank_mask:0xf
	v_mov_b32_dpp v9, v3 row_shr:1 row_mask:0xf bank_mask:0xf
	s_delay_alu instid0(VALU_DEP_3) | instskip(NEXT) | instid1(VALU_DEP_1)
	v_dual_mov_b32 v4, v2 :: v_dual_bitop2_b32 v10, 15, v1 bitop3:0x40
	v_cmp_ne_u32_e64 s0, 0, v10
	s_and_saveexec_b32 s1, s0
; %bb.3:
	v_mov_b32_e32 v8, 0
	s_delay_alu instid0(VALU_DEP_1) | instskip(NEXT) | instid1(VALU_DEP_1)
	v_mov_b32_e32 v7, v8
	v_add_nc_u64_e32 v[4:5], v[2:3], v[6:7]
	s_delay_alu instid0(VALU_DEP_1)
	v_add_nc_u64_e32 v[2:3], v[8:9], v[4:5]
; %bb.4:
	s_or_b32 exec_lo, exec_lo, s1
	v_mov_b32_dpp v6, v4 row_shr:2 row_mask:0xf bank_mask:0xf
	s_delay_alu instid0(VALU_DEP_2)
	v_mov_b32_dpp v9, v3 row_shr:2 row_mask:0xf bank_mask:0xf
	v_cmp_lt_u32_e64 s1, 1, v10
	s_and_saveexec_b32 s2, s1
; %bb.5:
	v_mov_b32_e32 v8, 0
	s_delay_alu instid0(VALU_DEP_1) | instskip(NEXT) | instid1(VALU_DEP_1)
	v_mov_b32_e32 v7, v8
	v_add_nc_u64_e32 v[4:5], v[2:3], v[6:7]
	s_delay_alu instid0(VALU_DEP_1)
	v_add_nc_u64_e32 v[2:3], v[8:9], v[4:5]
; %bb.6:
	s_or_b32 exec_lo, exec_lo, s2
	v_mov_b32_dpp v6, v4 row_shr:4 row_mask:0xf bank_mask:0xf
	s_delay_alu instid0(VALU_DEP_2)
	v_mov_b32_dpp v9, v3 row_shr:4 row_mask:0xf bank_mask:0xf
	v_cmp_lt_u32_e64 s2, 3, v10
	;; [unrolled: 14-line block ×3, first 2 shown]
	s_and_saveexec_b32 s4, s3
; %bb.9:
	v_mov_b32_e32 v8, 0
	s_delay_alu instid0(VALU_DEP_1) | instskip(NEXT) | instid1(VALU_DEP_1)
	v_mov_b32_e32 v7, v8
	v_add_nc_u64_e32 v[4:5], v[2:3], v[6:7]
	s_delay_alu instid0(VALU_DEP_1)
	v_add_nc_u64_e32 v[2:3], v[8:9], v[4:5]
; %bb.10:
	s_or_b32 exec_lo, exec_lo, s4
	ds_swizzle_b32 v4, v4 offset:swizzle(BROADCAST,32,15)
	ds_swizzle_b32 v7, v3 offset:swizzle(BROADCAST,32,15)
	v_and_b32_e32 v5, 16, v1
	s_delay_alu instid0(VALU_DEP_1)
	v_cmp_ne_u32_e64 s4, 0, v5
	s_and_saveexec_b32 s5, s4
	s_cbranch_execz .LBB91_12
; %bb.11:
	v_mov_b32_e32 v6, 0
	s_delay_alu instid0(VALU_DEP_1) | instskip(SKIP_1) | instid1(VALU_DEP_1)
	v_mov_b32_e32 v5, v6
	s_wait_dscnt 0x1
	v_add_nc_u64_e32 v[2:3], v[2:3], v[4:5]
	s_wait_dscnt 0x0
	s_delay_alu instid0(VALU_DEP_1)
	v_add_nc_u64_e32 v[2:3], v[2:3], v[6:7]
.LBB91_12:
	s_or_b32 exec_lo, exec_lo, s5
	s_wait_dscnt 0x1
	v_dual_lshrrev_b32 v12, 5, v0 :: v_dual_bitop2_b32 v4, 31, v0 bitop3:0x40
	s_mov_b32 s6, exec_lo
	s_delay_alu instid0(VALU_DEP_1)
	v_cmpx_eq_u32_e32 31, v4
; %bb.13:
	s_delay_alu instid0(VALU_DEP_2)
	v_lshlrev_b32_e32 v4, 3, v12
	ds_store_b64 v4, v[2:3]
; %bb.14:
	s_or_b32 exec_lo, exec_lo, s6
	v_cmp_lt_u32_e64 s5, 31, v0
	s_mov_b32 s7, exec_lo
	s_wait_dscnt 0x0
	s_barrier_signal -1
	s_barrier_wait -1
	v_cmpx_gt_u32_e32 32, v0
	s_cbranch_execz .LBB91_26
; %bb.15:
	v_lshlrev_b32_e32 v13, 3, v0
	ds_load_b64 v[4:5], v13
	s_wait_dscnt 0x0
	v_mov_b32_dpp v8, v4 row_shr:1 row_mask:0xf bank_mask:0xf
	v_mov_b32_dpp v11, v5 row_shr:1 row_mask:0xf bank_mask:0xf
	v_mov_b32_e32 v6, v4
	s_and_saveexec_b32 s6, s0
; %bb.16:
	v_mov_b32_e32 v10, 0
	s_delay_alu instid0(VALU_DEP_1) | instskip(NEXT) | instid1(VALU_DEP_1)
	v_mov_b32_e32 v9, v10
	v_add_nc_u64_e32 v[6:7], v[4:5], v[8:9]
	s_delay_alu instid0(VALU_DEP_1)
	v_add_nc_u64_e32 v[4:5], v[10:11], v[6:7]
; %bb.17:
	s_or_b32 exec_lo, exec_lo, s6
	v_mov_b32_dpp v8, v6 row_shr:2 row_mask:0xf bank_mask:0xf
	s_delay_alu instid0(VALU_DEP_2)
	v_mov_b32_dpp v11, v5 row_shr:2 row_mask:0xf bank_mask:0xf
	s_and_saveexec_b32 s0, s1
; %bb.18:
	v_mov_b32_e32 v10, 0
	s_delay_alu instid0(VALU_DEP_1) | instskip(NEXT) | instid1(VALU_DEP_1)
	v_mov_b32_e32 v9, v10
	v_add_nc_u64_e32 v[6:7], v[4:5], v[8:9]
	s_delay_alu instid0(VALU_DEP_1)
	v_add_nc_u64_e32 v[4:5], v[10:11], v[6:7]
; %bb.19:
	s_or_b32 exec_lo, exec_lo, s0
	v_mov_b32_dpp v8, v6 row_shr:4 row_mask:0xf bank_mask:0xf
	s_delay_alu instid0(VALU_DEP_2)
	v_mov_b32_dpp v11, v5 row_shr:4 row_mask:0xf bank_mask:0xf
	;; [unrolled: 13-line block ×3, first 2 shown]
	s_and_saveexec_b32 s0, s3
; %bb.22:
	v_mov_b32_e32 v10, 0
	s_delay_alu instid0(VALU_DEP_1) | instskip(NEXT) | instid1(VALU_DEP_1)
	v_mov_b32_e32 v9, v10
	v_add_nc_u64_e32 v[6:7], v[4:5], v[8:9]
	s_delay_alu instid0(VALU_DEP_1)
	v_add_nc_u64_e32 v[4:5], v[10:11], v[6:7]
; %bb.23:
	s_or_b32 exec_lo, exec_lo, s0
	ds_swizzle_b32 v6, v6 offset:swizzle(BROADCAST,32,15)
	ds_swizzle_b32 v9, v5 offset:swizzle(BROADCAST,32,15)
	s_and_saveexec_b32 s0, s4
	s_cbranch_execz .LBB91_25
; %bb.24:
	v_mov_b32_e32 v8, 0
	s_delay_alu instid0(VALU_DEP_1) | instskip(SKIP_1) | instid1(VALU_DEP_1)
	v_mov_b32_e32 v7, v8
	s_wait_dscnt 0x1
	v_add_nc_u64_e32 v[4:5], v[4:5], v[6:7]
	s_wait_dscnt 0x0
	s_delay_alu instid0(VALU_DEP_1)
	v_add_nc_u64_e32 v[4:5], v[4:5], v[8:9]
.LBB91_25:
	s_or_b32 exec_lo, exec_lo, s0
	ds_store_b64 v13, v[4:5]
.LBB91_26:
	s_or_b32 exec_lo, exec_lo, s7
	v_mov_b64_e32 v[4:5], 0
	s_wait_dscnt 0x0
	s_barrier_signal -1
	s_barrier_wait -1
	s_and_saveexec_b32 s0, s5
; %bb.27:
	v_lshl_add_u32 v4, v12, 3, -8
	ds_load_b64 v[4:5], v4
; %bb.28:
	s_or_b32 exec_lo, exec_lo, s0
	v_add_nc_u32_e32 v6, -1, v1
	s_wait_dscnt 0x0
	v_add_nc_u64_e32 v[2:3], v[4:5], v[2:3]
	s_delay_alu instid0(VALU_DEP_2) | instskip(NEXT) | instid1(VALU_DEP_1)
	v_cmp_gt_i32_e64 s0, 0, v6
	v_cndmask_b32_e64 v6, v6, v1, s0
	s_delay_alu instid0(VALU_DEP_1)
	v_lshlrev_b32_e32 v6, 2, v6
	ds_bpermute_b32 v2, v6, v2
	ds_bpermute_b32 v3, v6, v3
	s_and_saveexec_b32 s0, vcc_lo
	s_cbranch_execz .LBB91_30
; %bb.29:
	v_cmp_eq_u32_e32 vcc_lo, 0, v1
	s_wait_dscnt 0x0
	v_dual_cndmask_b32 v3, v3, v5 :: v_dual_cndmask_b32 v2, v2, v4
	global_store_b64 v0, v[2:3], s[8:9] scale_offset
.LBB91_30:
	s_endpgm
	.section	.rodata,"a",@progbits
	.p2align	6, 0x0
	.amdhsa_kernel _ZN7rocprim17ROCPRIM_400000_NS6detail17trampoline_kernelINS0_14default_configENS1_35radix_sort_onesweep_config_selectorIhNS0_10empty_typeEEEZNS1_34radix_sort_onesweep_global_offsetsIS3_Lb1EPKhPS5_mNS0_19identity_decomposerEEE10hipError_tT1_T2_PT3_SF_jT4_jjP12ihipStream_tbEUlT_E0_NS1_11comp_targetILNS1_3genE0ELNS1_11target_archE4294967295ELNS1_3gpuE0ELNS1_3repE0EEENS1_52radix_sort_onesweep_histogram_config_static_selectorELNS0_4arch9wavefront6targetE0EEEvSD_
		.amdhsa_group_segment_fixed_size 256
		.amdhsa_private_segment_fixed_size 0
		.amdhsa_kernarg_size 8
		.amdhsa_user_sgpr_count 2
		.amdhsa_user_sgpr_dispatch_ptr 0
		.amdhsa_user_sgpr_queue_ptr 0
		.amdhsa_user_sgpr_kernarg_segment_ptr 1
		.amdhsa_user_sgpr_dispatch_id 0
		.amdhsa_user_sgpr_kernarg_preload_length 0
		.amdhsa_user_sgpr_kernarg_preload_offset 0
		.amdhsa_user_sgpr_private_segment_size 0
		.amdhsa_wavefront_size32 1
		.amdhsa_uses_dynamic_stack 0
		.amdhsa_enable_private_segment 0
		.amdhsa_system_sgpr_workgroup_id_x 1
		.amdhsa_system_sgpr_workgroup_id_y 0
		.amdhsa_system_sgpr_workgroup_id_z 0
		.amdhsa_system_sgpr_workgroup_info 0
		.amdhsa_system_vgpr_workitem_id 0
		.amdhsa_next_free_vgpr 14
		.amdhsa_next_free_sgpr 10
		.amdhsa_named_barrier_count 0
		.amdhsa_reserve_vcc 1
		.amdhsa_float_round_mode_32 0
		.amdhsa_float_round_mode_16_64 0
		.amdhsa_float_denorm_mode_32 3
		.amdhsa_float_denorm_mode_16_64 3
		.amdhsa_fp16_overflow 0
		.amdhsa_memory_ordered 1
		.amdhsa_forward_progress 1
		.amdhsa_inst_pref_size 8
		.amdhsa_round_robin_scheduling 0
		.amdhsa_exception_fp_ieee_invalid_op 0
		.amdhsa_exception_fp_denorm_src 0
		.amdhsa_exception_fp_ieee_div_zero 0
		.amdhsa_exception_fp_ieee_overflow 0
		.amdhsa_exception_fp_ieee_underflow 0
		.amdhsa_exception_fp_ieee_inexact 0
		.amdhsa_exception_int_div_zero 0
	.end_amdhsa_kernel
	.section	.text._ZN7rocprim17ROCPRIM_400000_NS6detail17trampoline_kernelINS0_14default_configENS1_35radix_sort_onesweep_config_selectorIhNS0_10empty_typeEEEZNS1_34radix_sort_onesweep_global_offsetsIS3_Lb1EPKhPS5_mNS0_19identity_decomposerEEE10hipError_tT1_T2_PT3_SF_jT4_jjP12ihipStream_tbEUlT_E0_NS1_11comp_targetILNS1_3genE0ELNS1_11target_archE4294967295ELNS1_3gpuE0ELNS1_3repE0EEENS1_52radix_sort_onesweep_histogram_config_static_selectorELNS0_4arch9wavefront6targetE0EEEvSD_,"axG",@progbits,_ZN7rocprim17ROCPRIM_400000_NS6detail17trampoline_kernelINS0_14default_configENS1_35radix_sort_onesweep_config_selectorIhNS0_10empty_typeEEEZNS1_34radix_sort_onesweep_global_offsetsIS3_Lb1EPKhPS5_mNS0_19identity_decomposerEEE10hipError_tT1_T2_PT3_SF_jT4_jjP12ihipStream_tbEUlT_E0_NS1_11comp_targetILNS1_3genE0ELNS1_11target_archE4294967295ELNS1_3gpuE0ELNS1_3repE0EEENS1_52radix_sort_onesweep_histogram_config_static_selectorELNS0_4arch9wavefront6targetE0EEEvSD_,comdat
.Lfunc_end91:
	.size	_ZN7rocprim17ROCPRIM_400000_NS6detail17trampoline_kernelINS0_14default_configENS1_35radix_sort_onesweep_config_selectorIhNS0_10empty_typeEEEZNS1_34radix_sort_onesweep_global_offsetsIS3_Lb1EPKhPS5_mNS0_19identity_decomposerEEE10hipError_tT1_T2_PT3_SF_jT4_jjP12ihipStream_tbEUlT_E0_NS1_11comp_targetILNS1_3genE0ELNS1_11target_archE4294967295ELNS1_3gpuE0ELNS1_3repE0EEENS1_52radix_sort_onesweep_histogram_config_static_selectorELNS0_4arch9wavefront6targetE0EEEvSD_, .Lfunc_end91-_ZN7rocprim17ROCPRIM_400000_NS6detail17trampoline_kernelINS0_14default_configENS1_35radix_sort_onesweep_config_selectorIhNS0_10empty_typeEEEZNS1_34radix_sort_onesweep_global_offsetsIS3_Lb1EPKhPS5_mNS0_19identity_decomposerEEE10hipError_tT1_T2_PT3_SF_jT4_jjP12ihipStream_tbEUlT_E0_NS1_11comp_targetILNS1_3genE0ELNS1_11target_archE4294967295ELNS1_3gpuE0ELNS1_3repE0EEENS1_52radix_sort_onesweep_histogram_config_static_selectorELNS0_4arch9wavefront6targetE0EEEvSD_
                                        ; -- End function
	.set _ZN7rocprim17ROCPRIM_400000_NS6detail17trampoline_kernelINS0_14default_configENS1_35radix_sort_onesweep_config_selectorIhNS0_10empty_typeEEEZNS1_34radix_sort_onesweep_global_offsetsIS3_Lb1EPKhPS5_mNS0_19identity_decomposerEEE10hipError_tT1_T2_PT3_SF_jT4_jjP12ihipStream_tbEUlT_E0_NS1_11comp_targetILNS1_3genE0ELNS1_11target_archE4294967295ELNS1_3gpuE0ELNS1_3repE0EEENS1_52radix_sort_onesweep_histogram_config_static_selectorELNS0_4arch9wavefront6targetE0EEEvSD_.num_vgpr, 14
	.set _ZN7rocprim17ROCPRIM_400000_NS6detail17trampoline_kernelINS0_14default_configENS1_35radix_sort_onesweep_config_selectorIhNS0_10empty_typeEEEZNS1_34radix_sort_onesweep_global_offsetsIS3_Lb1EPKhPS5_mNS0_19identity_decomposerEEE10hipError_tT1_T2_PT3_SF_jT4_jjP12ihipStream_tbEUlT_E0_NS1_11comp_targetILNS1_3genE0ELNS1_11target_archE4294967295ELNS1_3gpuE0ELNS1_3repE0EEENS1_52radix_sort_onesweep_histogram_config_static_selectorELNS0_4arch9wavefront6targetE0EEEvSD_.num_agpr, 0
	.set _ZN7rocprim17ROCPRIM_400000_NS6detail17trampoline_kernelINS0_14default_configENS1_35radix_sort_onesweep_config_selectorIhNS0_10empty_typeEEEZNS1_34radix_sort_onesweep_global_offsetsIS3_Lb1EPKhPS5_mNS0_19identity_decomposerEEE10hipError_tT1_T2_PT3_SF_jT4_jjP12ihipStream_tbEUlT_E0_NS1_11comp_targetILNS1_3genE0ELNS1_11target_archE4294967295ELNS1_3gpuE0ELNS1_3repE0EEENS1_52radix_sort_onesweep_histogram_config_static_selectorELNS0_4arch9wavefront6targetE0EEEvSD_.numbered_sgpr, 10
	.set _ZN7rocprim17ROCPRIM_400000_NS6detail17trampoline_kernelINS0_14default_configENS1_35radix_sort_onesweep_config_selectorIhNS0_10empty_typeEEEZNS1_34radix_sort_onesweep_global_offsetsIS3_Lb1EPKhPS5_mNS0_19identity_decomposerEEE10hipError_tT1_T2_PT3_SF_jT4_jjP12ihipStream_tbEUlT_E0_NS1_11comp_targetILNS1_3genE0ELNS1_11target_archE4294967295ELNS1_3gpuE0ELNS1_3repE0EEENS1_52radix_sort_onesweep_histogram_config_static_selectorELNS0_4arch9wavefront6targetE0EEEvSD_.num_named_barrier, 0
	.set _ZN7rocprim17ROCPRIM_400000_NS6detail17trampoline_kernelINS0_14default_configENS1_35radix_sort_onesweep_config_selectorIhNS0_10empty_typeEEEZNS1_34radix_sort_onesweep_global_offsetsIS3_Lb1EPKhPS5_mNS0_19identity_decomposerEEE10hipError_tT1_T2_PT3_SF_jT4_jjP12ihipStream_tbEUlT_E0_NS1_11comp_targetILNS1_3genE0ELNS1_11target_archE4294967295ELNS1_3gpuE0ELNS1_3repE0EEENS1_52radix_sort_onesweep_histogram_config_static_selectorELNS0_4arch9wavefront6targetE0EEEvSD_.private_seg_size, 0
	.set _ZN7rocprim17ROCPRIM_400000_NS6detail17trampoline_kernelINS0_14default_configENS1_35radix_sort_onesweep_config_selectorIhNS0_10empty_typeEEEZNS1_34radix_sort_onesweep_global_offsetsIS3_Lb1EPKhPS5_mNS0_19identity_decomposerEEE10hipError_tT1_T2_PT3_SF_jT4_jjP12ihipStream_tbEUlT_E0_NS1_11comp_targetILNS1_3genE0ELNS1_11target_archE4294967295ELNS1_3gpuE0ELNS1_3repE0EEENS1_52radix_sort_onesweep_histogram_config_static_selectorELNS0_4arch9wavefront6targetE0EEEvSD_.uses_vcc, 1
	.set _ZN7rocprim17ROCPRIM_400000_NS6detail17trampoline_kernelINS0_14default_configENS1_35radix_sort_onesweep_config_selectorIhNS0_10empty_typeEEEZNS1_34radix_sort_onesweep_global_offsetsIS3_Lb1EPKhPS5_mNS0_19identity_decomposerEEE10hipError_tT1_T2_PT3_SF_jT4_jjP12ihipStream_tbEUlT_E0_NS1_11comp_targetILNS1_3genE0ELNS1_11target_archE4294967295ELNS1_3gpuE0ELNS1_3repE0EEENS1_52radix_sort_onesweep_histogram_config_static_selectorELNS0_4arch9wavefront6targetE0EEEvSD_.uses_flat_scratch, 0
	.set _ZN7rocprim17ROCPRIM_400000_NS6detail17trampoline_kernelINS0_14default_configENS1_35radix_sort_onesweep_config_selectorIhNS0_10empty_typeEEEZNS1_34radix_sort_onesweep_global_offsetsIS3_Lb1EPKhPS5_mNS0_19identity_decomposerEEE10hipError_tT1_T2_PT3_SF_jT4_jjP12ihipStream_tbEUlT_E0_NS1_11comp_targetILNS1_3genE0ELNS1_11target_archE4294967295ELNS1_3gpuE0ELNS1_3repE0EEENS1_52radix_sort_onesweep_histogram_config_static_selectorELNS0_4arch9wavefront6targetE0EEEvSD_.has_dyn_sized_stack, 0
	.set _ZN7rocprim17ROCPRIM_400000_NS6detail17trampoline_kernelINS0_14default_configENS1_35radix_sort_onesweep_config_selectorIhNS0_10empty_typeEEEZNS1_34radix_sort_onesweep_global_offsetsIS3_Lb1EPKhPS5_mNS0_19identity_decomposerEEE10hipError_tT1_T2_PT3_SF_jT4_jjP12ihipStream_tbEUlT_E0_NS1_11comp_targetILNS1_3genE0ELNS1_11target_archE4294967295ELNS1_3gpuE0ELNS1_3repE0EEENS1_52radix_sort_onesweep_histogram_config_static_selectorELNS0_4arch9wavefront6targetE0EEEvSD_.has_recursion, 0
	.set _ZN7rocprim17ROCPRIM_400000_NS6detail17trampoline_kernelINS0_14default_configENS1_35radix_sort_onesweep_config_selectorIhNS0_10empty_typeEEEZNS1_34radix_sort_onesweep_global_offsetsIS3_Lb1EPKhPS5_mNS0_19identity_decomposerEEE10hipError_tT1_T2_PT3_SF_jT4_jjP12ihipStream_tbEUlT_E0_NS1_11comp_targetILNS1_3genE0ELNS1_11target_archE4294967295ELNS1_3gpuE0ELNS1_3repE0EEENS1_52radix_sort_onesweep_histogram_config_static_selectorELNS0_4arch9wavefront6targetE0EEEvSD_.has_indirect_call, 0
	.section	.AMDGPU.csdata,"",@progbits
; Kernel info:
; codeLenInByte = 952
; TotalNumSgprs: 12
; NumVgprs: 14
; ScratchSize: 0
; MemoryBound: 0
; FloatMode: 240
; IeeeMode: 1
; LDSByteSize: 256 bytes/workgroup (compile time only)
; SGPRBlocks: 0
; VGPRBlocks: 0
; NumSGPRsForWavesPerEU: 12
; NumVGPRsForWavesPerEU: 14
; NamedBarCnt: 0
; Occupancy: 16
; WaveLimiterHint : 0
; COMPUTE_PGM_RSRC2:SCRATCH_EN: 0
; COMPUTE_PGM_RSRC2:USER_SGPR: 2
; COMPUTE_PGM_RSRC2:TRAP_HANDLER: 0
; COMPUTE_PGM_RSRC2:TGID_X_EN: 1
; COMPUTE_PGM_RSRC2:TGID_Y_EN: 0
; COMPUTE_PGM_RSRC2:TGID_Z_EN: 0
; COMPUTE_PGM_RSRC2:TIDIG_COMP_CNT: 0
	.section	.text._ZN7rocprim17ROCPRIM_400000_NS6detail17trampoline_kernelINS0_14default_configENS1_35radix_sort_onesweep_config_selectorIhNS0_10empty_typeEEEZNS1_34radix_sort_onesweep_global_offsetsIS3_Lb1EPKhPS5_mNS0_19identity_decomposerEEE10hipError_tT1_T2_PT3_SF_jT4_jjP12ihipStream_tbEUlT_E0_NS1_11comp_targetILNS1_3genE6ELNS1_11target_archE950ELNS1_3gpuE13ELNS1_3repE0EEENS1_52radix_sort_onesweep_histogram_config_static_selectorELNS0_4arch9wavefront6targetE0EEEvSD_,"axG",@progbits,_ZN7rocprim17ROCPRIM_400000_NS6detail17trampoline_kernelINS0_14default_configENS1_35radix_sort_onesweep_config_selectorIhNS0_10empty_typeEEEZNS1_34radix_sort_onesweep_global_offsetsIS3_Lb1EPKhPS5_mNS0_19identity_decomposerEEE10hipError_tT1_T2_PT3_SF_jT4_jjP12ihipStream_tbEUlT_E0_NS1_11comp_targetILNS1_3genE6ELNS1_11target_archE950ELNS1_3gpuE13ELNS1_3repE0EEENS1_52radix_sort_onesweep_histogram_config_static_selectorELNS0_4arch9wavefront6targetE0EEEvSD_,comdat
	.protected	_ZN7rocprim17ROCPRIM_400000_NS6detail17trampoline_kernelINS0_14default_configENS1_35radix_sort_onesweep_config_selectorIhNS0_10empty_typeEEEZNS1_34radix_sort_onesweep_global_offsetsIS3_Lb1EPKhPS5_mNS0_19identity_decomposerEEE10hipError_tT1_T2_PT3_SF_jT4_jjP12ihipStream_tbEUlT_E0_NS1_11comp_targetILNS1_3genE6ELNS1_11target_archE950ELNS1_3gpuE13ELNS1_3repE0EEENS1_52radix_sort_onesweep_histogram_config_static_selectorELNS0_4arch9wavefront6targetE0EEEvSD_ ; -- Begin function _ZN7rocprim17ROCPRIM_400000_NS6detail17trampoline_kernelINS0_14default_configENS1_35radix_sort_onesweep_config_selectorIhNS0_10empty_typeEEEZNS1_34radix_sort_onesweep_global_offsetsIS3_Lb1EPKhPS5_mNS0_19identity_decomposerEEE10hipError_tT1_T2_PT3_SF_jT4_jjP12ihipStream_tbEUlT_E0_NS1_11comp_targetILNS1_3genE6ELNS1_11target_archE950ELNS1_3gpuE13ELNS1_3repE0EEENS1_52radix_sort_onesweep_histogram_config_static_selectorELNS0_4arch9wavefront6targetE0EEEvSD_
	.globl	_ZN7rocprim17ROCPRIM_400000_NS6detail17trampoline_kernelINS0_14default_configENS1_35radix_sort_onesweep_config_selectorIhNS0_10empty_typeEEEZNS1_34radix_sort_onesweep_global_offsetsIS3_Lb1EPKhPS5_mNS0_19identity_decomposerEEE10hipError_tT1_T2_PT3_SF_jT4_jjP12ihipStream_tbEUlT_E0_NS1_11comp_targetILNS1_3genE6ELNS1_11target_archE950ELNS1_3gpuE13ELNS1_3repE0EEENS1_52radix_sort_onesweep_histogram_config_static_selectorELNS0_4arch9wavefront6targetE0EEEvSD_
	.p2align	8
	.type	_ZN7rocprim17ROCPRIM_400000_NS6detail17trampoline_kernelINS0_14default_configENS1_35radix_sort_onesweep_config_selectorIhNS0_10empty_typeEEEZNS1_34radix_sort_onesweep_global_offsetsIS3_Lb1EPKhPS5_mNS0_19identity_decomposerEEE10hipError_tT1_T2_PT3_SF_jT4_jjP12ihipStream_tbEUlT_E0_NS1_11comp_targetILNS1_3genE6ELNS1_11target_archE950ELNS1_3gpuE13ELNS1_3repE0EEENS1_52radix_sort_onesweep_histogram_config_static_selectorELNS0_4arch9wavefront6targetE0EEEvSD_,@function
_ZN7rocprim17ROCPRIM_400000_NS6detail17trampoline_kernelINS0_14default_configENS1_35radix_sort_onesweep_config_selectorIhNS0_10empty_typeEEEZNS1_34radix_sort_onesweep_global_offsetsIS3_Lb1EPKhPS5_mNS0_19identity_decomposerEEE10hipError_tT1_T2_PT3_SF_jT4_jjP12ihipStream_tbEUlT_E0_NS1_11comp_targetILNS1_3genE6ELNS1_11target_archE950ELNS1_3gpuE13ELNS1_3repE0EEENS1_52radix_sort_onesweep_histogram_config_static_selectorELNS0_4arch9wavefront6targetE0EEEvSD_: ; @_ZN7rocprim17ROCPRIM_400000_NS6detail17trampoline_kernelINS0_14default_configENS1_35radix_sort_onesweep_config_selectorIhNS0_10empty_typeEEEZNS1_34radix_sort_onesweep_global_offsetsIS3_Lb1EPKhPS5_mNS0_19identity_decomposerEEE10hipError_tT1_T2_PT3_SF_jT4_jjP12ihipStream_tbEUlT_E0_NS1_11comp_targetILNS1_3genE6ELNS1_11target_archE950ELNS1_3gpuE13ELNS1_3repE0EEENS1_52radix_sort_onesweep_histogram_config_static_selectorELNS0_4arch9wavefront6targetE0EEEvSD_
; %bb.0:
	.section	.rodata,"a",@progbits
	.p2align	6, 0x0
	.amdhsa_kernel _ZN7rocprim17ROCPRIM_400000_NS6detail17trampoline_kernelINS0_14default_configENS1_35radix_sort_onesweep_config_selectorIhNS0_10empty_typeEEEZNS1_34radix_sort_onesweep_global_offsetsIS3_Lb1EPKhPS5_mNS0_19identity_decomposerEEE10hipError_tT1_T2_PT3_SF_jT4_jjP12ihipStream_tbEUlT_E0_NS1_11comp_targetILNS1_3genE6ELNS1_11target_archE950ELNS1_3gpuE13ELNS1_3repE0EEENS1_52radix_sort_onesweep_histogram_config_static_selectorELNS0_4arch9wavefront6targetE0EEEvSD_
		.amdhsa_group_segment_fixed_size 0
		.amdhsa_private_segment_fixed_size 0
		.amdhsa_kernarg_size 8
		.amdhsa_user_sgpr_count 2
		.amdhsa_user_sgpr_dispatch_ptr 0
		.amdhsa_user_sgpr_queue_ptr 0
		.amdhsa_user_sgpr_kernarg_segment_ptr 1
		.amdhsa_user_sgpr_dispatch_id 0
		.amdhsa_user_sgpr_kernarg_preload_length 0
		.amdhsa_user_sgpr_kernarg_preload_offset 0
		.amdhsa_user_sgpr_private_segment_size 0
		.amdhsa_wavefront_size32 1
		.amdhsa_uses_dynamic_stack 0
		.amdhsa_enable_private_segment 0
		.amdhsa_system_sgpr_workgroup_id_x 1
		.amdhsa_system_sgpr_workgroup_id_y 0
		.amdhsa_system_sgpr_workgroup_id_z 0
		.amdhsa_system_sgpr_workgroup_info 0
		.amdhsa_system_vgpr_workitem_id 0
		.amdhsa_next_free_vgpr 1
		.amdhsa_next_free_sgpr 1
		.amdhsa_named_barrier_count 0
		.amdhsa_reserve_vcc 0
		.amdhsa_float_round_mode_32 0
		.amdhsa_float_round_mode_16_64 0
		.amdhsa_float_denorm_mode_32 3
		.amdhsa_float_denorm_mode_16_64 3
		.amdhsa_fp16_overflow 0
		.amdhsa_memory_ordered 1
		.amdhsa_forward_progress 1
		.amdhsa_inst_pref_size 0
		.amdhsa_round_robin_scheduling 0
		.amdhsa_exception_fp_ieee_invalid_op 0
		.amdhsa_exception_fp_denorm_src 0
		.amdhsa_exception_fp_ieee_div_zero 0
		.amdhsa_exception_fp_ieee_overflow 0
		.amdhsa_exception_fp_ieee_underflow 0
		.amdhsa_exception_fp_ieee_inexact 0
		.amdhsa_exception_int_div_zero 0
	.end_amdhsa_kernel
	.section	.text._ZN7rocprim17ROCPRIM_400000_NS6detail17trampoline_kernelINS0_14default_configENS1_35radix_sort_onesweep_config_selectorIhNS0_10empty_typeEEEZNS1_34radix_sort_onesweep_global_offsetsIS3_Lb1EPKhPS5_mNS0_19identity_decomposerEEE10hipError_tT1_T2_PT3_SF_jT4_jjP12ihipStream_tbEUlT_E0_NS1_11comp_targetILNS1_3genE6ELNS1_11target_archE950ELNS1_3gpuE13ELNS1_3repE0EEENS1_52radix_sort_onesweep_histogram_config_static_selectorELNS0_4arch9wavefront6targetE0EEEvSD_,"axG",@progbits,_ZN7rocprim17ROCPRIM_400000_NS6detail17trampoline_kernelINS0_14default_configENS1_35radix_sort_onesweep_config_selectorIhNS0_10empty_typeEEEZNS1_34radix_sort_onesweep_global_offsetsIS3_Lb1EPKhPS5_mNS0_19identity_decomposerEEE10hipError_tT1_T2_PT3_SF_jT4_jjP12ihipStream_tbEUlT_E0_NS1_11comp_targetILNS1_3genE6ELNS1_11target_archE950ELNS1_3gpuE13ELNS1_3repE0EEENS1_52radix_sort_onesweep_histogram_config_static_selectorELNS0_4arch9wavefront6targetE0EEEvSD_,comdat
.Lfunc_end92:
	.size	_ZN7rocprim17ROCPRIM_400000_NS6detail17trampoline_kernelINS0_14default_configENS1_35radix_sort_onesweep_config_selectorIhNS0_10empty_typeEEEZNS1_34radix_sort_onesweep_global_offsetsIS3_Lb1EPKhPS5_mNS0_19identity_decomposerEEE10hipError_tT1_T2_PT3_SF_jT4_jjP12ihipStream_tbEUlT_E0_NS1_11comp_targetILNS1_3genE6ELNS1_11target_archE950ELNS1_3gpuE13ELNS1_3repE0EEENS1_52radix_sort_onesweep_histogram_config_static_selectorELNS0_4arch9wavefront6targetE0EEEvSD_, .Lfunc_end92-_ZN7rocprim17ROCPRIM_400000_NS6detail17trampoline_kernelINS0_14default_configENS1_35radix_sort_onesweep_config_selectorIhNS0_10empty_typeEEEZNS1_34radix_sort_onesweep_global_offsetsIS3_Lb1EPKhPS5_mNS0_19identity_decomposerEEE10hipError_tT1_T2_PT3_SF_jT4_jjP12ihipStream_tbEUlT_E0_NS1_11comp_targetILNS1_3genE6ELNS1_11target_archE950ELNS1_3gpuE13ELNS1_3repE0EEENS1_52radix_sort_onesweep_histogram_config_static_selectorELNS0_4arch9wavefront6targetE0EEEvSD_
                                        ; -- End function
	.set _ZN7rocprim17ROCPRIM_400000_NS6detail17trampoline_kernelINS0_14default_configENS1_35radix_sort_onesweep_config_selectorIhNS0_10empty_typeEEEZNS1_34radix_sort_onesweep_global_offsetsIS3_Lb1EPKhPS5_mNS0_19identity_decomposerEEE10hipError_tT1_T2_PT3_SF_jT4_jjP12ihipStream_tbEUlT_E0_NS1_11comp_targetILNS1_3genE6ELNS1_11target_archE950ELNS1_3gpuE13ELNS1_3repE0EEENS1_52radix_sort_onesweep_histogram_config_static_selectorELNS0_4arch9wavefront6targetE0EEEvSD_.num_vgpr, 0
	.set _ZN7rocprim17ROCPRIM_400000_NS6detail17trampoline_kernelINS0_14default_configENS1_35radix_sort_onesweep_config_selectorIhNS0_10empty_typeEEEZNS1_34radix_sort_onesweep_global_offsetsIS3_Lb1EPKhPS5_mNS0_19identity_decomposerEEE10hipError_tT1_T2_PT3_SF_jT4_jjP12ihipStream_tbEUlT_E0_NS1_11comp_targetILNS1_3genE6ELNS1_11target_archE950ELNS1_3gpuE13ELNS1_3repE0EEENS1_52radix_sort_onesweep_histogram_config_static_selectorELNS0_4arch9wavefront6targetE0EEEvSD_.num_agpr, 0
	.set _ZN7rocprim17ROCPRIM_400000_NS6detail17trampoline_kernelINS0_14default_configENS1_35radix_sort_onesweep_config_selectorIhNS0_10empty_typeEEEZNS1_34radix_sort_onesweep_global_offsetsIS3_Lb1EPKhPS5_mNS0_19identity_decomposerEEE10hipError_tT1_T2_PT3_SF_jT4_jjP12ihipStream_tbEUlT_E0_NS1_11comp_targetILNS1_3genE6ELNS1_11target_archE950ELNS1_3gpuE13ELNS1_3repE0EEENS1_52radix_sort_onesweep_histogram_config_static_selectorELNS0_4arch9wavefront6targetE0EEEvSD_.numbered_sgpr, 0
	.set _ZN7rocprim17ROCPRIM_400000_NS6detail17trampoline_kernelINS0_14default_configENS1_35radix_sort_onesweep_config_selectorIhNS0_10empty_typeEEEZNS1_34radix_sort_onesweep_global_offsetsIS3_Lb1EPKhPS5_mNS0_19identity_decomposerEEE10hipError_tT1_T2_PT3_SF_jT4_jjP12ihipStream_tbEUlT_E0_NS1_11comp_targetILNS1_3genE6ELNS1_11target_archE950ELNS1_3gpuE13ELNS1_3repE0EEENS1_52radix_sort_onesweep_histogram_config_static_selectorELNS0_4arch9wavefront6targetE0EEEvSD_.num_named_barrier, 0
	.set _ZN7rocprim17ROCPRIM_400000_NS6detail17trampoline_kernelINS0_14default_configENS1_35radix_sort_onesweep_config_selectorIhNS0_10empty_typeEEEZNS1_34radix_sort_onesweep_global_offsetsIS3_Lb1EPKhPS5_mNS0_19identity_decomposerEEE10hipError_tT1_T2_PT3_SF_jT4_jjP12ihipStream_tbEUlT_E0_NS1_11comp_targetILNS1_3genE6ELNS1_11target_archE950ELNS1_3gpuE13ELNS1_3repE0EEENS1_52radix_sort_onesweep_histogram_config_static_selectorELNS0_4arch9wavefront6targetE0EEEvSD_.private_seg_size, 0
	.set _ZN7rocprim17ROCPRIM_400000_NS6detail17trampoline_kernelINS0_14default_configENS1_35radix_sort_onesweep_config_selectorIhNS0_10empty_typeEEEZNS1_34radix_sort_onesweep_global_offsetsIS3_Lb1EPKhPS5_mNS0_19identity_decomposerEEE10hipError_tT1_T2_PT3_SF_jT4_jjP12ihipStream_tbEUlT_E0_NS1_11comp_targetILNS1_3genE6ELNS1_11target_archE950ELNS1_3gpuE13ELNS1_3repE0EEENS1_52radix_sort_onesweep_histogram_config_static_selectorELNS0_4arch9wavefront6targetE0EEEvSD_.uses_vcc, 0
	.set _ZN7rocprim17ROCPRIM_400000_NS6detail17trampoline_kernelINS0_14default_configENS1_35radix_sort_onesweep_config_selectorIhNS0_10empty_typeEEEZNS1_34radix_sort_onesweep_global_offsetsIS3_Lb1EPKhPS5_mNS0_19identity_decomposerEEE10hipError_tT1_T2_PT3_SF_jT4_jjP12ihipStream_tbEUlT_E0_NS1_11comp_targetILNS1_3genE6ELNS1_11target_archE950ELNS1_3gpuE13ELNS1_3repE0EEENS1_52radix_sort_onesweep_histogram_config_static_selectorELNS0_4arch9wavefront6targetE0EEEvSD_.uses_flat_scratch, 0
	.set _ZN7rocprim17ROCPRIM_400000_NS6detail17trampoline_kernelINS0_14default_configENS1_35radix_sort_onesweep_config_selectorIhNS0_10empty_typeEEEZNS1_34radix_sort_onesweep_global_offsetsIS3_Lb1EPKhPS5_mNS0_19identity_decomposerEEE10hipError_tT1_T2_PT3_SF_jT4_jjP12ihipStream_tbEUlT_E0_NS1_11comp_targetILNS1_3genE6ELNS1_11target_archE950ELNS1_3gpuE13ELNS1_3repE0EEENS1_52radix_sort_onesweep_histogram_config_static_selectorELNS0_4arch9wavefront6targetE0EEEvSD_.has_dyn_sized_stack, 0
	.set _ZN7rocprim17ROCPRIM_400000_NS6detail17trampoline_kernelINS0_14default_configENS1_35radix_sort_onesweep_config_selectorIhNS0_10empty_typeEEEZNS1_34radix_sort_onesweep_global_offsetsIS3_Lb1EPKhPS5_mNS0_19identity_decomposerEEE10hipError_tT1_T2_PT3_SF_jT4_jjP12ihipStream_tbEUlT_E0_NS1_11comp_targetILNS1_3genE6ELNS1_11target_archE950ELNS1_3gpuE13ELNS1_3repE0EEENS1_52radix_sort_onesweep_histogram_config_static_selectorELNS0_4arch9wavefront6targetE0EEEvSD_.has_recursion, 0
	.set _ZN7rocprim17ROCPRIM_400000_NS6detail17trampoline_kernelINS0_14default_configENS1_35radix_sort_onesweep_config_selectorIhNS0_10empty_typeEEEZNS1_34radix_sort_onesweep_global_offsetsIS3_Lb1EPKhPS5_mNS0_19identity_decomposerEEE10hipError_tT1_T2_PT3_SF_jT4_jjP12ihipStream_tbEUlT_E0_NS1_11comp_targetILNS1_3genE6ELNS1_11target_archE950ELNS1_3gpuE13ELNS1_3repE0EEENS1_52radix_sort_onesweep_histogram_config_static_selectorELNS0_4arch9wavefront6targetE0EEEvSD_.has_indirect_call, 0
	.section	.AMDGPU.csdata,"",@progbits
; Kernel info:
; codeLenInByte = 0
; TotalNumSgprs: 0
; NumVgprs: 0
; ScratchSize: 0
; MemoryBound: 0
; FloatMode: 240
; IeeeMode: 1
; LDSByteSize: 0 bytes/workgroup (compile time only)
; SGPRBlocks: 0
; VGPRBlocks: 0
; NumSGPRsForWavesPerEU: 1
; NumVGPRsForWavesPerEU: 1
; NamedBarCnt: 0
; Occupancy: 16
; WaveLimiterHint : 0
; COMPUTE_PGM_RSRC2:SCRATCH_EN: 0
; COMPUTE_PGM_RSRC2:USER_SGPR: 2
; COMPUTE_PGM_RSRC2:TRAP_HANDLER: 0
; COMPUTE_PGM_RSRC2:TGID_X_EN: 1
; COMPUTE_PGM_RSRC2:TGID_Y_EN: 0
; COMPUTE_PGM_RSRC2:TGID_Z_EN: 0
; COMPUTE_PGM_RSRC2:TIDIG_COMP_CNT: 0
	.section	.text._ZN7rocprim17ROCPRIM_400000_NS6detail17trampoline_kernelINS0_14default_configENS1_35radix_sort_onesweep_config_selectorIhNS0_10empty_typeEEEZNS1_34radix_sort_onesweep_global_offsetsIS3_Lb1EPKhPS5_mNS0_19identity_decomposerEEE10hipError_tT1_T2_PT3_SF_jT4_jjP12ihipStream_tbEUlT_E0_NS1_11comp_targetILNS1_3genE5ELNS1_11target_archE942ELNS1_3gpuE9ELNS1_3repE0EEENS1_52radix_sort_onesweep_histogram_config_static_selectorELNS0_4arch9wavefront6targetE0EEEvSD_,"axG",@progbits,_ZN7rocprim17ROCPRIM_400000_NS6detail17trampoline_kernelINS0_14default_configENS1_35radix_sort_onesweep_config_selectorIhNS0_10empty_typeEEEZNS1_34radix_sort_onesweep_global_offsetsIS3_Lb1EPKhPS5_mNS0_19identity_decomposerEEE10hipError_tT1_T2_PT3_SF_jT4_jjP12ihipStream_tbEUlT_E0_NS1_11comp_targetILNS1_3genE5ELNS1_11target_archE942ELNS1_3gpuE9ELNS1_3repE0EEENS1_52radix_sort_onesweep_histogram_config_static_selectorELNS0_4arch9wavefront6targetE0EEEvSD_,comdat
	.protected	_ZN7rocprim17ROCPRIM_400000_NS6detail17trampoline_kernelINS0_14default_configENS1_35radix_sort_onesweep_config_selectorIhNS0_10empty_typeEEEZNS1_34radix_sort_onesweep_global_offsetsIS3_Lb1EPKhPS5_mNS0_19identity_decomposerEEE10hipError_tT1_T2_PT3_SF_jT4_jjP12ihipStream_tbEUlT_E0_NS1_11comp_targetILNS1_3genE5ELNS1_11target_archE942ELNS1_3gpuE9ELNS1_3repE0EEENS1_52radix_sort_onesweep_histogram_config_static_selectorELNS0_4arch9wavefront6targetE0EEEvSD_ ; -- Begin function _ZN7rocprim17ROCPRIM_400000_NS6detail17trampoline_kernelINS0_14default_configENS1_35radix_sort_onesweep_config_selectorIhNS0_10empty_typeEEEZNS1_34radix_sort_onesweep_global_offsetsIS3_Lb1EPKhPS5_mNS0_19identity_decomposerEEE10hipError_tT1_T2_PT3_SF_jT4_jjP12ihipStream_tbEUlT_E0_NS1_11comp_targetILNS1_3genE5ELNS1_11target_archE942ELNS1_3gpuE9ELNS1_3repE0EEENS1_52radix_sort_onesweep_histogram_config_static_selectorELNS0_4arch9wavefront6targetE0EEEvSD_
	.globl	_ZN7rocprim17ROCPRIM_400000_NS6detail17trampoline_kernelINS0_14default_configENS1_35radix_sort_onesweep_config_selectorIhNS0_10empty_typeEEEZNS1_34radix_sort_onesweep_global_offsetsIS3_Lb1EPKhPS5_mNS0_19identity_decomposerEEE10hipError_tT1_T2_PT3_SF_jT4_jjP12ihipStream_tbEUlT_E0_NS1_11comp_targetILNS1_3genE5ELNS1_11target_archE942ELNS1_3gpuE9ELNS1_3repE0EEENS1_52radix_sort_onesweep_histogram_config_static_selectorELNS0_4arch9wavefront6targetE0EEEvSD_
	.p2align	8
	.type	_ZN7rocprim17ROCPRIM_400000_NS6detail17trampoline_kernelINS0_14default_configENS1_35radix_sort_onesweep_config_selectorIhNS0_10empty_typeEEEZNS1_34radix_sort_onesweep_global_offsetsIS3_Lb1EPKhPS5_mNS0_19identity_decomposerEEE10hipError_tT1_T2_PT3_SF_jT4_jjP12ihipStream_tbEUlT_E0_NS1_11comp_targetILNS1_3genE5ELNS1_11target_archE942ELNS1_3gpuE9ELNS1_3repE0EEENS1_52radix_sort_onesweep_histogram_config_static_selectorELNS0_4arch9wavefront6targetE0EEEvSD_,@function
_ZN7rocprim17ROCPRIM_400000_NS6detail17trampoline_kernelINS0_14default_configENS1_35radix_sort_onesweep_config_selectorIhNS0_10empty_typeEEEZNS1_34radix_sort_onesweep_global_offsetsIS3_Lb1EPKhPS5_mNS0_19identity_decomposerEEE10hipError_tT1_T2_PT3_SF_jT4_jjP12ihipStream_tbEUlT_E0_NS1_11comp_targetILNS1_3genE5ELNS1_11target_archE942ELNS1_3gpuE9ELNS1_3repE0EEENS1_52radix_sort_onesweep_histogram_config_static_selectorELNS0_4arch9wavefront6targetE0EEEvSD_: ; @_ZN7rocprim17ROCPRIM_400000_NS6detail17trampoline_kernelINS0_14default_configENS1_35radix_sort_onesweep_config_selectorIhNS0_10empty_typeEEEZNS1_34radix_sort_onesweep_global_offsetsIS3_Lb1EPKhPS5_mNS0_19identity_decomposerEEE10hipError_tT1_T2_PT3_SF_jT4_jjP12ihipStream_tbEUlT_E0_NS1_11comp_targetILNS1_3genE5ELNS1_11target_archE942ELNS1_3gpuE9ELNS1_3repE0EEENS1_52radix_sort_onesweep_histogram_config_static_selectorELNS0_4arch9wavefront6targetE0EEEvSD_
; %bb.0:
	.section	.rodata,"a",@progbits
	.p2align	6, 0x0
	.amdhsa_kernel _ZN7rocprim17ROCPRIM_400000_NS6detail17trampoline_kernelINS0_14default_configENS1_35radix_sort_onesweep_config_selectorIhNS0_10empty_typeEEEZNS1_34radix_sort_onesweep_global_offsetsIS3_Lb1EPKhPS5_mNS0_19identity_decomposerEEE10hipError_tT1_T2_PT3_SF_jT4_jjP12ihipStream_tbEUlT_E0_NS1_11comp_targetILNS1_3genE5ELNS1_11target_archE942ELNS1_3gpuE9ELNS1_3repE0EEENS1_52radix_sort_onesweep_histogram_config_static_selectorELNS0_4arch9wavefront6targetE0EEEvSD_
		.amdhsa_group_segment_fixed_size 0
		.amdhsa_private_segment_fixed_size 0
		.amdhsa_kernarg_size 8
		.amdhsa_user_sgpr_count 2
		.amdhsa_user_sgpr_dispatch_ptr 0
		.amdhsa_user_sgpr_queue_ptr 0
		.amdhsa_user_sgpr_kernarg_segment_ptr 1
		.amdhsa_user_sgpr_dispatch_id 0
		.amdhsa_user_sgpr_kernarg_preload_length 0
		.amdhsa_user_sgpr_kernarg_preload_offset 0
		.amdhsa_user_sgpr_private_segment_size 0
		.amdhsa_wavefront_size32 1
		.amdhsa_uses_dynamic_stack 0
		.amdhsa_enable_private_segment 0
		.amdhsa_system_sgpr_workgroup_id_x 1
		.amdhsa_system_sgpr_workgroup_id_y 0
		.amdhsa_system_sgpr_workgroup_id_z 0
		.amdhsa_system_sgpr_workgroup_info 0
		.amdhsa_system_vgpr_workitem_id 0
		.amdhsa_next_free_vgpr 1
		.amdhsa_next_free_sgpr 1
		.amdhsa_named_barrier_count 0
		.amdhsa_reserve_vcc 0
		.amdhsa_float_round_mode_32 0
		.amdhsa_float_round_mode_16_64 0
		.amdhsa_float_denorm_mode_32 3
		.amdhsa_float_denorm_mode_16_64 3
		.amdhsa_fp16_overflow 0
		.amdhsa_memory_ordered 1
		.amdhsa_forward_progress 1
		.amdhsa_inst_pref_size 0
		.amdhsa_round_robin_scheduling 0
		.amdhsa_exception_fp_ieee_invalid_op 0
		.amdhsa_exception_fp_denorm_src 0
		.amdhsa_exception_fp_ieee_div_zero 0
		.amdhsa_exception_fp_ieee_overflow 0
		.amdhsa_exception_fp_ieee_underflow 0
		.amdhsa_exception_fp_ieee_inexact 0
		.amdhsa_exception_int_div_zero 0
	.end_amdhsa_kernel
	.section	.text._ZN7rocprim17ROCPRIM_400000_NS6detail17trampoline_kernelINS0_14default_configENS1_35radix_sort_onesweep_config_selectorIhNS0_10empty_typeEEEZNS1_34radix_sort_onesweep_global_offsetsIS3_Lb1EPKhPS5_mNS0_19identity_decomposerEEE10hipError_tT1_T2_PT3_SF_jT4_jjP12ihipStream_tbEUlT_E0_NS1_11comp_targetILNS1_3genE5ELNS1_11target_archE942ELNS1_3gpuE9ELNS1_3repE0EEENS1_52radix_sort_onesweep_histogram_config_static_selectorELNS0_4arch9wavefront6targetE0EEEvSD_,"axG",@progbits,_ZN7rocprim17ROCPRIM_400000_NS6detail17trampoline_kernelINS0_14default_configENS1_35radix_sort_onesweep_config_selectorIhNS0_10empty_typeEEEZNS1_34radix_sort_onesweep_global_offsetsIS3_Lb1EPKhPS5_mNS0_19identity_decomposerEEE10hipError_tT1_T2_PT3_SF_jT4_jjP12ihipStream_tbEUlT_E0_NS1_11comp_targetILNS1_3genE5ELNS1_11target_archE942ELNS1_3gpuE9ELNS1_3repE0EEENS1_52radix_sort_onesweep_histogram_config_static_selectorELNS0_4arch9wavefront6targetE0EEEvSD_,comdat
.Lfunc_end93:
	.size	_ZN7rocprim17ROCPRIM_400000_NS6detail17trampoline_kernelINS0_14default_configENS1_35radix_sort_onesweep_config_selectorIhNS0_10empty_typeEEEZNS1_34radix_sort_onesweep_global_offsetsIS3_Lb1EPKhPS5_mNS0_19identity_decomposerEEE10hipError_tT1_T2_PT3_SF_jT4_jjP12ihipStream_tbEUlT_E0_NS1_11comp_targetILNS1_3genE5ELNS1_11target_archE942ELNS1_3gpuE9ELNS1_3repE0EEENS1_52radix_sort_onesweep_histogram_config_static_selectorELNS0_4arch9wavefront6targetE0EEEvSD_, .Lfunc_end93-_ZN7rocprim17ROCPRIM_400000_NS6detail17trampoline_kernelINS0_14default_configENS1_35radix_sort_onesweep_config_selectorIhNS0_10empty_typeEEEZNS1_34radix_sort_onesweep_global_offsetsIS3_Lb1EPKhPS5_mNS0_19identity_decomposerEEE10hipError_tT1_T2_PT3_SF_jT4_jjP12ihipStream_tbEUlT_E0_NS1_11comp_targetILNS1_3genE5ELNS1_11target_archE942ELNS1_3gpuE9ELNS1_3repE0EEENS1_52radix_sort_onesweep_histogram_config_static_selectorELNS0_4arch9wavefront6targetE0EEEvSD_
                                        ; -- End function
	.set _ZN7rocprim17ROCPRIM_400000_NS6detail17trampoline_kernelINS0_14default_configENS1_35radix_sort_onesweep_config_selectorIhNS0_10empty_typeEEEZNS1_34radix_sort_onesweep_global_offsetsIS3_Lb1EPKhPS5_mNS0_19identity_decomposerEEE10hipError_tT1_T2_PT3_SF_jT4_jjP12ihipStream_tbEUlT_E0_NS1_11comp_targetILNS1_3genE5ELNS1_11target_archE942ELNS1_3gpuE9ELNS1_3repE0EEENS1_52radix_sort_onesweep_histogram_config_static_selectorELNS0_4arch9wavefront6targetE0EEEvSD_.num_vgpr, 0
	.set _ZN7rocprim17ROCPRIM_400000_NS6detail17trampoline_kernelINS0_14default_configENS1_35radix_sort_onesweep_config_selectorIhNS0_10empty_typeEEEZNS1_34radix_sort_onesweep_global_offsetsIS3_Lb1EPKhPS5_mNS0_19identity_decomposerEEE10hipError_tT1_T2_PT3_SF_jT4_jjP12ihipStream_tbEUlT_E0_NS1_11comp_targetILNS1_3genE5ELNS1_11target_archE942ELNS1_3gpuE9ELNS1_3repE0EEENS1_52radix_sort_onesweep_histogram_config_static_selectorELNS0_4arch9wavefront6targetE0EEEvSD_.num_agpr, 0
	.set _ZN7rocprim17ROCPRIM_400000_NS6detail17trampoline_kernelINS0_14default_configENS1_35radix_sort_onesweep_config_selectorIhNS0_10empty_typeEEEZNS1_34radix_sort_onesweep_global_offsetsIS3_Lb1EPKhPS5_mNS0_19identity_decomposerEEE10hipError_tT1_T2_PT3_SF_jT4_jjP12ihipStream_tbEUlT_E0_NS1_11comp_targetILNS1_3genE5ELNS1_11target_archE942ELNS1_3gpuE9ELNS1_3repE0EEENS1_52radix_sort_onesweep_histogram_config_static_selectorELNS0_4arch9wavefront6targetE0EEEvSD_.numbered_sgpr, 0
	.set _ZN7rocprim17ROCPRIM_400000_NS6detail17trampoline_kernelINS0_14default_configENS1_35radix_sort_onesweep_config_selectorIhNS0_10empty_typeEEEZNS1_34radix_sort_onesweep_global_offsetsIS3_Lb1EPKhPS5_mNS0_19identity_decomposerEEE10hipError_tT1_T2_PT3_SF_jT4_jjP12ihipStream_tbEUlT_E0_NS1_11comp_targetILNS1_3genE5ELNS1_11target_archE942ELNS1_3gpuE9ELNS1_3repE0EEENS1_52radix_sort_onesweep_histogram_config_static_selectorELNS0_4arch9wavefront6targetE0EEEvSD_.num_named_barrier, 0
	.set _ZN7rocprim17ROCPRIM_400000_NS6detail17trampoline_kernelINS0_14default_configENS1_35radix_sort_onesweep_config_selectorIhNS0_10empty_typeEEEZNS1_34radix_sort_onesweep_global_offsetsIS3_Lb1EPKhPS5_mNS0_19identity_decomposerEEE10hipError_tT1_T2_PT3_SF_jT4_jjP12ihipStream_tbEUlT_E0_NS1_11comp_targetILNS1_3genE5ELNS1_11target_archE942ELNS1_3gpuE9ELNS1_3repE0EEENS1_52radix_sort_onesweep_histogram_config_static_selectorELNS0_4arch9wavefront6targetE0EEEvSD_.private_seg_size, 0
	.set _ZN7rocprim17ROCPRIM_400000_NS6detail17trampoline_kernelINS0_14default_configENS1_35radix_sort_onesweep_config_selectorIhNS0_10empty_typeEEEZNS1_34radix_sort_onesweep_global_offsetsIS3_Lb1EPKhPS5_mNS0_19identity_decomposerEEE10hipError_tT1_T2_PT3_SF_jT4_jjP12ihipStream_tbEUlT_E0_NS1_11comp_targetILNS1_3genE5ELNS1_11target_archE942ELNS1_3gpuE9ELNS1_3repE0EEENS1_52radix_sort_onesweep_histogram_config_static_selectorELNS0_4arch9wavefront6targetE0EEEvSD_.uses_vcc, 0
	.set _ZN7rocprim17ROCPRIM_400000_NS6detail17trampoline_kernelINS0_14default_configENS1_35radix_sort_onesweep_config_selectorIhNS0_10empty_typeEEEZNS1_34radix_sort_onesweep_global_offsetsIS3_Lb1EPKhPS5_mNS0_19identity_decomposerEEE10hipError_tT1_T2_PT3_SF_jT4_jjP12ihipStream_tbEUlT_E0_NS1_11comp_targetILNS1_3genE5ELNS1_11target_archE942ELNS1_3gpuE9ELNS1_3repE0EEENS1_52radix_sort_onesweep_histogram_config_static_selectorELNS0_4arch9wavefront6targetE0EEEvSD_.uses_flat_scratch, 0
	.set _ZN7rocprim17ROCPRIM_400000_NS6detail17trampoline_kernelINS0_14default_configENS1_35radix_sort_onesweep_config_selectorIhNS0_10empty_typeEEEZNS1_34radix_sort_onesweep_global_offsetsIS3_Lb1EPKhPS5_mNS0_19identity_decomposerEEE10hipError_tT1_T2_PT3_SF_jT4_jjP12ihipStream_tbEUlT_E0_NS1_11comp_targetILNS1_3genE5ELNS1_11target_archE942ELNS1_3gpuE9ELNS1_3repE0EEENS1_52radix_sort_onesweep_histogram_config_static_selectorELNS0_4arch9wavefront6targetE0EEEvSD_.has_dyn_sized_stack, 0
	.set _ZN7rocprim17ROCPRIM_400000_NS6detail17trampoline_kernelINS0_14default_configENS1_35radix_sort_onesweep_config_selectorIhNS0_10empty_typeEEEZNS1_34radix_sort_onesweep_global_offsetsIS3_Lb1EPKhPS5_mNS0_19identity_decomposerEEE10hipError_tT1_T2_PT3_SF_jT4_jjP12ihipStream_tbEUlT_E0_NS1_11comp_targetILNS1_3genE5ELNS1_11target_archE942ELNS1_3gpuE9ELNS1_3repE0EEENS1_52radix_sort_onesweep_histogram_config_static_selectorELNS0_4arch9wavefront6targetE0EEEvSD_.has_recursion, 0
	.set _ZN7rocprim17ROCPRIM_400000_NS6detail17trampoline_kernelINS0_14default_configENS1_35radix_sort_onesweep_config_selectorIhNS0_10empty_typeEEEZNS1_34radix_sort_onesweep_global_offsetsIS3_Lb1EPKhPS5_mNS0_19identity_decomposerEEE10hipError_tT1_T2_PT3_SF_jT4_jjP12ihipStream_tbEUlT_E0_NS1_11comp_targetILNS1_3genE5ELNS1_11target_archE942ELNS1_3gpuE9ELNS1_3repE0EEENS1_52radix_sort_onesweep_histogram_config_static_selectorELNS0_4arch9wavefront6targetE0EEEvSD_.has_indirect_call, 0
	.section	.AMDGPU.csdata,"",@progbits
; Kernel info:
; codeLenInByte = 0
; TotalNumSgprs: 0
; NumVgprs: 0
; ScratchSize: 0
; MemoryBound: 0
; FloatMode: 240
; IeeeMode: 1
; LDSByteSize: 0 bytes/workgroup (compile time only)
; SGPRBlocks: 0
; VGPRBlocks: 0
; NumSGPRsForWavesPerEU: 1
; NumVGPRsForWavesPerEU: 1
; NamedBarCnt: 0
; Occupancy: 16
; WaveLimiterHint : 0
; COMPUTE_PGM_RSRC2:SCRATCH_EN: 0
; COMPUTE_PGM_RSRC2:USER_SGPR: 2
; COMPUTE_PGM_RSRC2:TRAP_HANDLER: 0
; COMPUTE_PGM_RSRC2:TGID_X_EN: 1
; COMPUTE_PGM_RSRC2:TGID_Y_EN: 0
; COMPUTE_PGM_RSRC2:TGID_Z_EN: 0
; COMPUTE_PGM_RSRC2:TIDIG_COMP_CNT: 0
	.section	.text._ZN7rocprim17ROCPRIM_400000_NS6detail17trampoline_kernelINS0_14default_configENS1_35radix_sort_onesweep_config_selectorIhNS0_10empty_typeEEEZNS1_34radix_sort_onesweep_global_offsetsIS3_Lb1EPKhPS5_mNS0_19identity_decomposerEEE10hipError_tT1_T2_PT3_SF_jT4_jjP12ihipStream_tbEUlT_E0_NS1_11comp_targetILNS1_3genE2ELNS1_11target_archE906ELNS1_3gpuE6ELNS1_3repE0EEENS1_52radix_sort_onesweep_histogram_config_static_selectorELNS0_4arch9wavefront6targetE0EEEvSD_,"axG",@progbits,_ZN7rocprim17ROCPRIM_400000_NS6detail17trampoline_kernelINS0_14default_configENS1_35radix_sort_onesweep_config_selectorIhNS0_10empty_typeEEEZNS1_34radix_sort_onesweep_global_offsetsIS3_Lb1EPKhPS5_mNS0_19identity_decomposerEEE10hipError_tT1_T2_PT3_SF_jT4_jjP12ihipStream_tbEUlT_E0_NS1_11comp_targetILNS1_3genE2ELNS1_11target_archE906ELNS1_3gpuE6ELNS1_3repE0EEENS1_52radix_sort_onesweep_histogram_config_static_selectorELNS0_4arch9wavefront6targetE0EEEvSD_,comdat
	.protected	_ZN7rocprim17ROCPRIM_400000_NS6detail17trampoline_kernelINS0_14default_configENS1_35radix_sort_onesweep_config_selectorIhNS0_10empty_typeEEEZNS1_34radix_sort_onesweep_global_offsetsIS3_Lb1EPKhPS5_mNS0_19identity_decomposerEEE10hipError_tT1_T2_PT3_SF_jT4_jjP12ihipStream_tbEUlT_E0_NS1_11comp_targetILNS1_3genE2ELNS1_11target_archE906ELNS1_3gpuE6ELNS1_3repE0EEENS1_52radix_sort_onesweep_histogram_config_static_selectorELNS0_4arch9wavefront6targetE0EEEvSD_ ; -- Begin function _ZN7rocprim17ROCPRIM_400000_NS6detail17trampoline_kernelINS0_14default_configENS1_35radix_sort_onesweep_config_selectorIhNS0_10empty_typeEEEZNS1_34radix_sort_onesweep_global_offsetsIS3_Lb1EPKhPS5_mNS0_19identity_decomposerEEE10hipError_tT1_T2_PT3_SF_jT4_jjP12ihipStream_tbEUlT_E0_NS1_11comp_targetILNS1_3genE2ELNS1_11target_archE906ELNS1_3gpuE6ELNS1_3repE0EEENS1_52radix_sort_onesweep_histogram_config_static_selectorELNS0_4arch9wavefront6targetE0EEEvSD_
	.globl	_ZN7rocprim17ROCPRIM_400000_NS6detail17trampoline_kernelINS0_14default_configENS1_35radix_sort_onesweep_config_selectorIhNS0_10empty_typeEEEZNS1_34radix_sort_onesweep_global_offsetsIS3_Lb1EPKhPS5_mNS0_19identity_decomposerEEE10hipError_tT1_T2_PT3_SF_jT4_jjP12ihipStream_tbEUlT_E0_NS1_11comp_targetILNS1_3genE2ELNS1_11target_archE906ELNS1_3gpuE6ELNS1_3repE0EEENS1_52radix_sort_onesweep_histogram_config_static_selectorELNS0_4arch9wavefront6targetE0EEEvSD_
	.p2align	8
	.type	_ZN7rocprim17ROCPRIM_400000_NS6detail17trampoline_kernelINS0_14default_configENS1_35radix_sort_onesweep_config_selectorIhNS0_10empty_typeEEEZNS1_34radix_sort_onesweep_global_offsetsIS3_Lb1EPKhPS5_mNS0_19identity_decomposerEEE10hipError_tT1_T2_PT3_SF_jT4_jjP12ihipStream_tbEUlT_E0_NS1_11comp_targetILNS1_3genE2ELNS1_11target_archE906ELNS1_3gpuE6ELNS1_3repE0EEENS1_52radix_sort_onesweep_histogram_config_static_selectorELNS0_4arch9wavefront6targetE0EEEvSD_,@function
_ZN7rocprim17ROCPRIM_400000_NS6detail17trampoline_kernelINS0_14default_configENS1_35radix_sort_onesweep_config_selectorIhNS0_10empty_typeEEEZNS1_34radix_sort_onesweep_global_offsetsIS3_Lb1EPKhPS5_mNS0_19identity_decomposerEEE10hipError_tT1_T2_PT3_SF_jT4_jjP12ihipStream_tbEUlT_E0_NS1_11comp_targetILNS1_3genE2ELNS1_11target_archE906ELNS1_3gpuE6ELNS1_3repE0EEENS1_52radix_sort_onesweep_histogram_config_static_selectorELNS0_4arch9wavefront6targetE0EEEvSD_: ; @_ZN7rocprim17ROCPRIM_400000_NS6detail17trampoline_kernelINS0_14default_configENS1_35radix_sort_onesweep_config_selectorIhNS0_10empty_typeEEEZNS1_34radix_sort_onesweep_global_offsetsIS3_Lb1EPKhPS5_mNS0_19identity_decomposerEEE10hipError_tT1_T2_PT3_SF_jT4_jjP12ihipStream_tbEUlT_E0_NS1_11comp_targetILNS1_3genE2ELNS1_11target_archE906ELNS1_3gpuE6ELNS1_3repE0EEENS1_52radix_sort_onesweep_histogram_config_static_selectorELNS0_4arch9wavefront6targetE0EEEvSD_
; %bb.0:
	.section	.rodata,"a",@progbits
	.p2align	6, 0x0
	.amdhsa_kernel _ZN7rocprim17ROCPRIM_400000_NS6detail17trampoline_kernelINS0_14default_configENS1_35radix_sort_onesweep_config_selectorIhNS0_10empty_typeEEEZNS1_34radix_sort_onesweep_global_offsetsIS3_Lb1EPKhPS5_mNS0_19identity_decomposerEEE10hipError_tT1_T2_PT3_SF_jT4_jjP12ihipStream_tbEUlT_E0_NS1_11comp_targetILNS1_3genE2ELNS1_11target_archE906ELNS1_3gpuE6ELNS1_3repE0EEENS1_52radix_sort_onesweep_histogram_config_static_selectorELNS0_4arch9wavefront6targetE0EEEvSD_
		.amdhsa_group_segment_fixed_size 0
		.amdhsa_private_segment_fixed_size 0
		.amdhsa_kernarg_size 8
		.amdhsa_user_sgpr_count 2
		.amdhsa_user_sgpr_dispatch_ptr 0
		.amdhsa_user_sgpr_queue_ptr 0
		.amdhsa_user_sgpr_kernarg_segment_ptr 1
		.amdhsa_user_sgpr_dispatch_id 0
		.amdhsa_user_sgpr_kernarg_preload_length 0
		.amdhsa_user_sgpr_kernarg_preload_offset 0
		.amdhsa_user_sgpr_private_segment_size 0
		.amdhsa_wavefront_size32 1
		.amdhsa_uses_dynamic_stack 0
		.amdhsa_enable_private_segment 0
		.amdhsa_system_sgpr_workgroup_id_x 1
		.amdhsa_system_sgpr_workgroup_id_y 0
		.amdhsa_system_sgpr_workgroup_id_z 0
		.amdhsa_system_sgpr_workgroup_info 0
		.amdhsa_system_vgpr_workitem_id 0
		.amdhsa_next_free_vgpr 1
		.amdhsa_next_free_sgpr 1
		.amdhsa_named_barrier_count 0
		.amdhsa_reserve_vcc 0
		.amdhsa_float_round_mode_32 0
		.amdhsa_float_round_mode_16_64 0
		.amdhsa_float_denorm_mode_32 3
		.amdhsa_float_denorm_mode_16_64 3
		.amdhsa_fp16_overflow 0
		.amdhsa_memory_ordered 1
		.amdhsa_forward_progress 1
		.amdhsa_inst_pref_size 0
		.amdhsa_round_robin_scheduling 0
		.amdhsa_exception_fp_ieee_invalid_op 0
		.amdhsa_exception_fp_denorm_src 0
		.amdhsa_exception_fp_ieee_div_zero 0
		.amdhsa_exception_fp_ieee_overflow 0
		.amdhsa_exception_fp_ieee_underflow 0
		.amdhsa_exception_fp_ieee_inexact 0
		.amdhsa_exception_int_div_zero 0
	.end_amdhsa_kernel
	.section	.text._ZN7rocprim17ROCPRIM_400000_NS6detail17trampoline_kernelINS0_14default_configENS1_35radix_sort_onesweep_config_selectorIhNS0_10empty_typeEEEZNS1_34radix_sort_onesweep_global_offsetsIS3_Lb1EPKhPS5_mNS0_19identity_decomposerEEE10hipError_tT1_T2_PT3_SF_jT4_jjP12ihipStream_tbEUlT_E0_NS1_11comp_targetILNS1_3genE2ELNS1_11target_archE906ELNS1_3gpuE6ELNS1_3repE0EEENS1_52radix_sort_onesweep_histogram_config_static_selectorELNS0_4arch9wavefront6targetE0EEEvSD_,"axG",@progbits,_ZN7rocprim17ROCPRIM_400000_NS6detail17trampoline_kernelINS0_14default_configENS1_35radix_sort_onesweep_config_selectorIhNS0_10empty_typeEEEZNS1_34radix_sort_onesweep_global_offsetsIS3_Lb1EPKhPS5_mNS0_19identity_decomposerEEE10hipError_tT1_T2_PT3_SF_jT4_jjP12ihipStream_tbEUlT_E0_NS1_11comp_targetILNS1_3genE2ELNS1_11target_archE906ELNS1_3gpuE6ELNS1_3repE0EEENS1_52radix_sort_onesweep_histogram_config_static_selectorELNS0_4arch9wavefront6targetE0EEEvSD_,comdat
.Lfunc_end94:
	.size	_ZN7rocprim17ROCPRIM_400000_NS6detail17trampoline_kernelINS0_14default_configENS1_35radix_sort_onesweep_config_selectorIhNS0_10empty_typeEEEZNS1_34radix_sort_onesweep_global_offsetsIS3_Lb1EPKhPS5_mNS0_19identity_decomposerEEE10hipError_tT1_T2_PT3_SF_jT4_jjP12ihipStream_tbEUlT_E0_NS1_11comp_targetILNS1_3genE2ELNS1_11target_archE906ELNS1_3gpuE6ELNS1_3repE0EEENS1_52radix_sort_onesweep_histogram_config_static_selectorELNS0_4arch9wavefront6targetE0EEEvSD_, .Lfunc_end94-_ZN7rocprim17ROCPRIM_400000_NS6detail17trampoline_kernelINS0_14default_configENS1_35radix_sort_onesweep_config_selectorIhNS0_10empty_typeEEEZNS1_34radix_sort_onesweep_global_offsetsIS3_Lb1EPKhPS5_mNS0_19identity_decomposerEEE10hipError_tT1_T2_PT3_SF_jT4_jjP12ihipStream_tbEUlT_E0_NS1_11comp_targetILNS1_3genE2ELNS1_11target_archE906ELNS1_3gpuE6ELNS1_3repE0EEENS1_52radix_sort_onesweep_histogram_config_static_selectorELNS0_4arch9wavefront6targetE0EEEvSD_
                                        ; -- End function
	.set _ZN7rocprim17ROCPRIM_400000_NS6detail17trampoline_kernelINS0_14default_configENS1_35radix_sort_onesweep_config_selectorIhNS0_10empty_typeEEEZNS1_34radix_sort_onesweep_global_offsetsIS3_Lb1EPKhPS5_mNS0_19identity_decomposerEEE10hipError_tT1_T2_PT3_SF_jT4_jjP12ihipStream_tbEUlT_E0_NS1_11comp_targetILNS1_3genE2ELNS1_11target_archE906ELNS1_3gpuE6ELNS1_3repE0EEENS1_52radix_sort_onesweep_histogram_config_static_selectorELNS0_4arch9wavefront6targetE0EEEvSD_.num_vgpr, 0
	.set _ZN7rocprim17ROCPRIM_400000_NS6detail17trampoline_kernelINS0_14default_configENS1_35radix_sort_onesweep_config_selectorIhNS0_10empty_typeEEEZNS1_34radix_sort_onesweep_global_offsetsIS3_Lb1EPKhPS5_mNS0_19identity_decomposerEEE10hipError_tT1_T2_PT3_SF_jT4_jjP12ihipStream_tbEUlT_E0_NS1_11comp_targetILNS1_3genE2ELNS1_11target_archE906ELNS1_3gpuE6ELNS1_3repE0EEENS1_52radix_sort_onesweep_histogram_config_static_selectorELNS0_4arch9wavefront6targetE0EEEvSD_.num_agpr, 0
	.set _ZN7rocprim17ROCPRIM_400000_NS6detail17trampoline_kernelINS0_14default_configENS1_35radix_sort_onesweep_config_selectorIhNS0_10empty_typeEEEZNS1_34radix_sort_onesweep_global_offsetsIS3_Lb1EPKhPS5_mNS0_19identity_decomposerEEE10hipError_tT1_T2_PT3_SF_jT4_jjP12ihipStream_tbEUlT_E0_NS1_11comp_targetILNS1_3genE2ELNS1_11target_archE906ELNS1_3gpuE6ELNS1_3repE0EEENS1_52radix_sort_onesweep_histogram_config_static_selectorELNS0_4arch9wavefront6targetE0EEEvSD_.numbered_sgpr, 0
	.set _ZN7rocprim17ROCPRIM_400000_NS6detail17trampoline_kernelINS0_14default_configENS1_35radix_sort_onesweep_config_selectorIhNS0_10empty_typeEEEZNS1_34radix_sort_onesweep_global_offsetsIS3_Lb1EPKhPS5_mNS0_19identity_decomposerEEE10hipError_tT1_T2_PT3_SF_jT4_jjP12ihipStream_tbEUlT_E0_NS1_11comp_targetILNS1_3genE2ELNS1_11target_archE906ELNS1_3gpuE6ELNS1_3repE0EEENS1_52radix_sort_onesweep_histogram_config_static_selectorELNS0_4arch9wavefront6targetE0EEEvSD_.num_named_barrier, 0
	.set _ZN7rocprim17ROCPRIM_400000_NS6detail17trampoline_kernelINS0_14default_configENS1_35radix_sort_onesweep_config_selectorIhNS0_10empty_typeEEEZNS1_34radix_sort_onesweep_global_offsetsIS3_Lb1EPKhPS5_mNS0_19identity_decomposerEEE10hipError_tT1_T2_PT3_SF_jT4_jjP12ihipStream_tbEUlT_E0_NS1_11comp_targetILNS1_3genE2ELNS1_11target_archE906ELNS1_3gpuE6ELNS1_3repE0EEENS1_52radix_sort_onesweep_histogram_config_static_selectorELNS0_4arch9wavefront6targetE0EEEvSD_.private_seg_size, 0
	.set _ZN7rocprim17ROCPRIM_400000_NS6detail17trampoline_kernelINS0_14default_configENS1_35radix_sort_onesweep_config_selectorIhNS0_10empty_typeEEEZNS1_34radix_sort_onesweep_global_offsetsIS3_Lb1EPKhPS5_mNS0_19identity_decomposerEEE10hipError_tT1_T2_PT3_SF_jT4_jjP12ihipStream_tbEUlT_E0_NS1_11comp_targetILNS1_3genE2ELNS1_11target_archE906ELNS1_3gpuE6ELNS1_3repE0EEENS1_52radix_sort_onesweep_histogram_config_static_selectorELNS0_4arch9wavefront6targetE0EEEvSD_.uses_vcc, 0
	.set _ZN7rocprim17ROCPRIM_400000_NS6detail17trampoline_kernelINS0_14default_configENS1_35radix_sort_onesweep_config_selectorIhNS0_10empty_typeEEEZNS1_34radix_sort_onesweep_global_offsetsIS3_Lb1EPKhPS5_mNS0_19identity_decomposerEEE10hipError_tT1_T2_PT3_SF_jT4_jjP12ihipStream_tbEUlT_E0_NS1_11comp_targetILNS1_3genE2ELNS1_11target_archE906ELNS1_3gpuE6ELNS1_3repE0EEENS1_52radix_sort_onesweep_histogram_config_static_selectorELNS0_4arch9wavefront6targetE0EEEvSD_.uses_flat_scratch, 0
	.set _ZN7rocprim17ROCPRIM_400000_NS6detail17trampoline_kernelINS0_14default_configENS1_35radix_sort_onesweep_config_selectorIhNS0_10empty_typeEEEZNS1_34radix_sort_onesweep_global_offsetsIS3_Lb1EPKhPS5_mNS0_19identity_decomposerEEE10hipError_tT1_T2_PT3_SF_jT4_jjP12ihipStream_tbEUlT_E0_NS1_11comp_targetILNS1_3genE2ELNS1_11target_archE906ELNS1_3gpuE6ELNS1_3repE0EEENS1_52radix_sort_onesweep_histogram_config_static_selectorELNS0_4arch9wavefront6targetE0EEEvSD_.has_dyn_sized_stack, 0
	.set _ZN7rocprim17ROCPRIM_400000_NS6detail17trampoline_kernelINS0_14default_configENS1_35radix_sort_onesweep_config_selectorIhNS0_10empty_typeEEEZNS1_34radix_sort_onesweep_global_offsetsIS3_Lb1EPKhPS5_mNS0_19identity_decomposerEEE10hipError_tT1_T2_PT3_SF_jT4_jjP12ihipStream_tbEUlT_E0_NS1_11comp_targetILNS1_3genE2ELNS1_11target_archE906ELNS1_3gpuE6ELNS1_3repE0EEENS1_52radix_sort_onesweep_histogram_config_static_selectorELNS0_4arch9wavefront6targetE0EEEvSD_.has_recursion, 0
	.set _ZN7rocprim17ROCPRIM_400000_NS6detail17trampoline_kernelINS0_14default_configENS1_35radix_sort_onesweep_config_selectorIhNS0_10empty_typeEEEZNS1_34radix_sort_onesweep_global_offsetsIS3_Lb1EPKhPS5_mNS0_19identity_decomposerEEE10hipError_tT1_T2_PT3_SF_jT4_jjP12ihipStream_tbEUlT_E0_NS1_11comp_targetILNS1_3genE2ELNS1_11target_archE906ELNS1_3gpuE6ELNS1_3repE0EEENS1_52radix_sort_onesweep_histogram_config_static_selectorELNS0_4arch9wavefront6targetE0EEEvSD_.has_indirect_call, 0
	.section	.AMDGPU.csdata,"",@progbits
; Kernel info:
; codeLenInByte = 0
; TotalNumSgprs: 0
; NumVgprs: 0
; ScratchSize: 0
; MemoryBound: 0
; FloatMode: 240
; IeeeMode: 1
; LDSByteSize: 0 bytes/workgroup (compile time only)
; SGPRBlocks: 0
; VGPRBlocks: 0
; NumSGPRsForWavesPerEU: 1
; NumVGPRsForWavesPerEU: 1
; NamedBarCnt: 0
; Occupancy: 16
; WaveLimiterHint : 0
; COMPUTE_PGM_RSRC2:SCRATCH_EN: 0
; COMPUTE_PGM_RSRC2:USER_SGPR: 2
; COMPUTE_PGM_RSRC2:TRAP_HANDLER: 0
; COMPUTE_PGM_RSRC2:TGID_X_EN: 1
; COMPUTE_PGM_RSRC2:TGID_Y_EN: 0
; COMPUTE_PGM_RSRC2:TGID_Z_EN: 0
; COMPUTE_PGM_RSRC2:TIDIG_COMP_CNT: 0
	.section	.text._ZN7rocprim17ROCPRIM_400000_NS6detail17trampoline_kernelINS0_14default_configENS1_35radix_sort_onesweep_config_selectorIhNS0_10empty_typeEEEZNS1_34radix_sort_onesweep_global_offsetsIS3_Lb1EPKhPS5_mNS0_19identity_decomposerEEE10hipError_tT1_T2_PT3_SF_jT4_jjP12ihipStream_tbEUlT_E0_NS1_11comp_targetILNS1_3genE4ELNS1_11target_archE910ELNS1_3gpuE8ELNS1_3repE0EEENS1_52radix_sort_onesweep_histogram_config_static_selectorELNS0_4arch9wavefront6targetE0EEEvSD_,"axG",@progbits,_ZN7rocprim17ROCPRIM_400000_NS6detail17trampoline_kernelINS0_14default_configENS1_35radix_sort_onesweep_config_selectorIhNS0_10empty_typeEEEZNS1_34radix_sort_onesweep_global_offsetsIS3_Lb1EPKhPS5_mNS0_19identity_decomposerEEE10hipError_tT1_T2_PT3_SF_jT4_jjP12ihipStream_tbEUlT_E0_NS1_11comp_targetILNS1_3genE4ELNS1_11target_archE910ELNS1_3gpuE8ELNS1_3repE0EEENS1_52radix_sort_onesweep_histogram_config_static_selectorELNS0_4arch9wavefront6targetE0EEEvSD_,comdat
	.protected	_ZN7rocprim17ROCPRIM_400000_NS6detail17trampoline_kernelINS0_14default_configENS1_35radix_sort_onesweep_config_selectorIhNS0_10empty_typeEEEZNS1_34radix_sort_onesweep_global_offsetsIS3_Lb1EPKhPS5_mNS0_19identity_decomposerEEE10hipError_tT1_T2_PT3_SF_jT4_jjP12ihipStream_tbEUlT_E0_NS1_11comp_targetILNS1_3genE4ELNS1_11target_archE910ELNS1_3gpuE8ELNS1_3repE0EEENS1_52radix_sort_onesweep_histogram_config_static_selectorELNS0_4arch9wavefront6targetE0EEEvSD_ ; -- Begin function _ZN7rocprim17ROCPRIM_400000_NS6detail17trampoline_kernelINS0_14default_configENS1_35radix_sort_onesweep_config_selectorIhNS0_10empty_typeEEEZNS1_34radix_sort_onesweep_global_offsetsIS3_Lb1EPKhPS5_mNS0_19identity_decomposerEEE10hipError_tT1_T2_PT3_SF_jT4_jjP12ihipStream_tbEUlT_E0_NS1_11comp_targetILNS1_3genE4ELNS1_11target_archE910ELNS1_3gpuE8ELNS1_3repE0EEENS1_52radix_sort_onesweep_histogram_config_static_selectorELNS0_4arch9wavefront6targetE0EEEvSD_
	.globl	_ZN7rocprim17ROCPRIM_400000_NS6detail17trampoline_kernelINS0_14default_configENS1_35radix_sort_onesweep_config_selectorIhNS0_10empty_typeEEEZNS1_34radix_sort_onesweep_global_offsetsIS3_Lb1EPKhPS5_mNS0_19identity_decomposerEEE10hipError_tT1_T2_PT3_SF_jT4_jjP12ihipStream_tbEUlT_E0_NS1_11comp_targetILNS1_3genE4ELNS1_11target_archE910ELNS1_3gpuE8ELNS1_3repE0EEENS1_52radix_sort_onesweep_histogram_config_static_selectorELNS0_4arch9wavefront6targetE0EEEvSD_
	.p2align	8
	.type	_ZN7rocprim17ROCPRIM_400000_NS6detail17trampoline_kernelINS0_14default_configENS1_35radix_sort_onesweep_config_selectorIhNS0_10empty_typeEEEZNS1_34radix_sort_onesweep_global_offsetsIS3_Lb1EPKhPS5_mNS0_19identity_decomposerEEE10hipError_tT1_T2_PT3_SF_jT4_jjP12ihipStream_tbEUlT_E0_NS1_11comp_targetILNS1_3genE4ELNS1_11target_archE910ELNS1_3gpuE8ELNS1_3repE0EEENS1_52radix_sort_onesweep_histogram_config_static_selectorELNS0_4arch9wavefront6targetE0EEEvSD_,@function
_ZN7rocprim17ROCPRIM_400000_NS6detail17trampoline_kernelINS0_14default_configENS1_35radix_sort_onesweep_config_selectorIhNS0_10empty_typeEEEZNS1_34radix_sort_onesweep_global_offsetsIS3_Lb1EPKhPS5_mNS0_19identity_decomposerEEE10hipError_tT1_T2_PT3_SF_jT4_jjP12ihipStream_tbEUlT_E0_NS1_11comp_targetILNS1_3genE4ELNS1_11target_archE910ELNS1_3gpuE8ELNS1_3repE0EEENS1_52radix_sort_onesweep_histogram_config_static_selectorELNS0_4arch9wavefront6targetE0EEEvSD_: ; @_ZN7rocprim17ROCPRIM_400000_NS6detail17trampoline_kernelINS0_14default_configENS1_35radix_sort_onesweep_config_selectorIhNS0_10empty_typeEEEZNS1_34radix_sort_onesweep_global_offsetsIS3_Lb1EPKhPS5_mNS0_19identity_decomposerEEE10hipError_tT1_T2_PT3_SF_jT4_jjP12ihipStream_tbEUlT_E0_NS1_11comp_targetILNS1_3genE4ELNS1_11target_archE910ELNS1_3gpuE8ELNS1_3repE0EEENS1_52radix_sort_onesweep_histogram_config_static_selectorELNS0_4arch9wavefront6targetE0EEEvSD_
; %bb.0:
	.section	.rodata,"a",@progbits
	.p2align	6, 0x0
	.amdhsa_kernel _ZN7rocprim17ROCPRIM_400000_NS6detail17trampoline_kernelINS0_14default_configENS1_35radix_sort_onesweep_config_selectorIhNS0_10empty_typeEEEZNS1_34radix_sort_onesweep_global_offsetsIS3_Lb1EPKhPS5_mNS0_19identity_decomposerEEE10hipError_tT1_T2_PT3_SF_jT4_jjP12ihipStream_tbEUlT_E0_NS1_11comp_targetILNS1_3genE4ELNS1_11target_archE910ELNS1_3gpuE8ELNS1_3repE0EEENS1_52radix_sort_onesweep_histogram_config_static_selectorELNS0_4arch9wavefront6targetE0EEEvSD_
		.amdhsa_group_segment_fixed_size 0
		.amdhsa_private_segment_fixed_size 0
		.amdhsa_kernarg_size 8
		.amdhsa_user_sgpr_count 2
		.amdhsa_user_sgpr_dispatch_ptr 0
		.amdhsa_user_sgpr_queue_ptr 0
		.amdhsa_user_sgpr_kernarg_segment_ptr 1
		.amdhsa_user_sgpr_dispatch_id 0
		.amdhsa_user_sgpr_kernarg_preload_length 0
		.amdhsa_user_sgpr_kernarg_preload_offset 0
		.amdhsa_user_sgpr_private_segment_size 0
		.amdhsa_wavefront_size32 1
		.amdhsa_uses_dynamic_stack 0
		.amdhsa_enable_private_segment 0
		.amdhsa_system_sgpr_workgroup_id_x 1
		.amdhsa_system_sgpr_workgroup_id_y 0
		.amdhsa_system_sgpr_workgroup_id_z 0
		.amdhsa_system_sgpr_workgroup_info 0
		.amdhsa_system_vgpr_workitem_id 0
		.amdhsa_next_free_vgpr 1
		.amdhsa_next_free_sgpr 1
		.amdhsa_named_barrier_count 0
		.amdhsa_reserve_vcc 0
		.amdhsa_float_round_mode_32 0
		.amdhsa_float_round_mode_16_64 0
		.amdhsa_float_denorm_mode_32 3
		.amdhsa_float_denorm_mode_16_64 3
		.amdhsa_fp16_overflow 0
		.amdhsa_memory_ordered 1
		.amdhsa_forward_progress 1
		.amdhsa_inst_pref_size 0
		.amdhsa_round_robin_scheduling 0
		.amdhsa_exception_fp_ieee_invalid_op 0
		.amdhsa_exception_fp_denorm_src 0
		.amdhsa_exception_fp_ieee_div_zero 0
		.amdhsa_exception_fp_ieee_overflow 0
		.amdhsa_exception_fp_ieee_underflow 0
		.amdhsa_exception_fp_ieee_inexact 0
		.amdhsa_exception_int_div_zero 0
	.end_amdhsa_kernel
	.section	.text._ZN7rocprim17ROCPRIM_400000_NS6detail17trampoline_kernelINS0_14default_configENS1_35radix_sort_onesweep_config_selectorIhNS0_10empty_typeEEEZNS1_34radix_sort_onesweep_global_offsetsIS3_Lb1EPKhPS5_mNS0_19identity_decomposerEEE10hipError_tT1_T2_PT3_SF_jT4_jjP12ihipStream_tbEUlT_E0_NS1_11comp_targetILNS1_3genE4ELNS1_11target_archE910ELNS1_3gpuE8ELNS1_3repE0EEENS1_52radix_sort_onesweep_histogram_config_static_selectorELNS0_4arch9wavefront6targetE0EEEvSD_,"axG",@progbits,_ZN7rocprim17ROCPRIM_400000_NS6detail17trampoline_kernelINS0_14default_configENS1_35radix_sort_onesweep_config_selectorIhNS0_10empty_typeEEEZNS1_34radix_sort_onesweep_global_offsetsIS3_Lb1EPKhPS5_mNS0_19identity_decomposerEEE10hipError_tT1_T2_PT3_SF_jT4_jjP12ihipStream_tbEUlT_E0_NS1_11comp_targetILNS1_3genE4ELNS1_11target_archE910ELNS1_3gpuE8ELNS1_3repE0EEENS1_52radix_sort_onesweep_histogram_config_static_selectorELNS0_4arch9wavefront6targetE0EEEvSD_,comdat
.Lfunc_end95:
	.size	_ZN7rocprim17ROCPRIM_400000_NS6detail17trampoline_kernelINS0_14default_configENS1_35radix_sort_onesweep_config_selectorIhNS0_10empty_typeEEEZNS1_34radix_sort_onesweep_global_offsetsIS3_Lb1EPKhPS5_mNS0_19identity_decomposerEEE10hipError_tT1_T2_PT3_SF_jT4_jjP12ihipStream_tbEUlT_E0_NS1_11comp_targetILNS1_3genE4ELNS1_11target_archE910ELNS1_3gpuE8ELNS1_3repE0EEENS1_52radix_sort_onesweep_histogram_config_static_selectorELNS0_4arch9wavefront6targetE0EEEvSD_, .Lfunc_end95-_ZN7rocprim17ROCPRIM_400000_NS6detail17trampoline_kernelINS0_14default_configENS1_35radix_sort_onesweep_config_selectorIhNS0_10empty_typeEEEZNS1_34radix_sort_onesweep_global_offsetsIS3_Lb1EPKhPS5_mNS0_19identity_decomposerEEE10hipError_tT1_T2_PT3_SF_jT4_jjP12ihipStream_tbEUlT_E0_NS1_11comp_targetILNS1_3genE4ELNS1_11target_archE910ELNS1_3gpuE8ELNS1_3repE0EEENS1_52radix_sort_onesweep_histogram_config_static_selectorELNS0_4arch9wavefront6targetE0EEEvSD_
                                        ; -- End function
	.set _ZN7rocprim17ROCPRIM_400000_NS6detail17trampoline_kernelINS0_14default_configENS1_35radix_sort_onesweep_config_selectorIhNS0_10empty_typeEEEZNS1_34radix_sort_onesweep_global_offsetsIS3_Lb1EPKhPS5_mNS0_19identity_decomposerEEE10hipError_tT1_T2_PT3_SF_jT4_jjP12ihipStream_tbEUlT_E0_NS1_11comp_targetILNS1_3genE4ELNS1_11target_archE910ELNS1_3gpuE8ELNS1_3repE0EEENS1_52radix_sort_onesweep_histogram_config_static_selectorELNS0_4arch9wavefront6targetE0EEEvSD_.num_vgpr, 0
	.set _ZN7rocprim17ROCPRIM_400000_NS6detail17trampoline_kernelINS0_14default_configENS1_35radix_sort_onesweep_config_selectorIhNS0_10empty_typeEEEZNS1_34radix_sort_onesweep_global_offsetsIS3_Lb1EPKhPS5_mNS0_19identity_decomposerEEE10hipError_tT1_T2_PT3_SF_jT4_jjP12ihipStream_tbEUlT_E0_NS1_11comp_targetILNS1_3genE4ELNS1_11target_archE910ELNS1_3gpuE8ELNS1_3repE0EEENS1_52radix_sort_onesweep_histogram_config_static_selectorELNS0_4arch9wavefront6targetE0EEEvSD_.num_agpr, 0
	.set _ZN7rocprim17ROCPRIM_400000_NS6detail17trampoline_kernelINS0_14default_configENS1_35radix_sort_onesweep_config_selectorIhNS0_10empty_typeEEEZNS1_34radix_sort_onesweep_global_offsetsIS3_Lb1EPKhPS5_mNS0_19identity_decomposerEEE10hipError_tT1_T2_PT3_SF_jT4_jjP12ihipStream_tbEUlT_E0_NS1_11comp_targetILNS1_3genE4ELNS1_11target_archE910ELNS1_3gpuE8ELNS1_3repE0EEENS1_52radix_sort_onesweep_histogram_config_static_selectorELNS0_4arch9wavefront6targetE0EEEvSD_.numbered_sgpr, 0
	.set _ZN7rocprim17ROCPRIM_400000_NS6detail17trampoline_kernelINS0_14default_configENS1_35radix_sort_onesweep_config_selectorIhNS0_10empty_typeEEEZNS1_34radix_sort_onesweep_global_offsetsIS3_Lb1EPKhPS5_mNS0_19identity_decomposerEEE10hipError_tT1_T2_PT3_SF_jT4_jjP12ihipStream_tbEUlT_E0_NS1_11comp_targetILNS1_3genE4ELNS1_11target_archE910ELNS1_3gpuE8ELNS1_3repE0EEENS1_52radix_sort_onesweep_histogram_config_static_selectorELNS0_4arch9wavefront6targetE0EEEvSD_.num_named_barrier, 0
	.set _ZN7rocprim17ROCPRIM_400000_NS6detail17trampoline_kernelINS0_14default_configENS1_35radix_sort_onesweep_config_selectorIhNS0_10empty_typeEEEZNS1_34radix_sort_onesweep_global_offsetsIS3_Lb1EPKhPS5_mNS0_19identity_decomposerEEE10hipError_tT1_T2_PT3_SF_jT4_jjP12ihipStream_tbEUlT_E0_NS1_11comp_targetILNS1_3genE4ELNS1_11target_archE910ELNS1_3gpuE8ELNS1_3repE0EEENS1_52radix_sort_onesweep_histogram_config_static_selectorELNS0_4arch9wavefront6targetE0EEEvSD_.private_seg_size, 0
	.set _ZN7rocprim17ROCPRIM_400000_NS6detail17trampoline_kernelINS0_14default_configENS1_35radix_sort_onesweep_config_selectorIhNS0_10empty_typeEEEZNS1_34radix_sort_onesweep_global_offsetsIS3_Lb1EPKhPS5_mNS0_19identity_decomposerEEE10hipError_tT1_T2_PT3_SF_jT4_jjP12ihipStream_tbEUlT_E0_NS1_11comp_targetILNS1_3genE4ELNS1_11target_archE910ELNS1_3gpuE8ELNS1_3repE0EEENS1_52radix_sort_onesweep_histogram_config_static_selectorELNS0_4arch9wavefront6targetE0EEEvSD_.uses_vcc, 0
	.set _ZN7rocprim17ROCPRIM_400000_NS6detail17trampoline_kernelINS0_14default_configENS1_35radix_sort_onesweep_config_selectorIhNS0_10empty_typeEEEZNS1_34radix_sort_onesweep_global_offsetsIS3_Lb1EPKhPS5_mNS0_19identity_decomposerEEE10hipError_tT1_T2_PT3_SF_jT4_jjP12ihipStream_tbEUlT_E0_NS1_11comp_targetILNS1_3genE4ELNS1_11target_archE910ELNS1_3gpuE8ELNS1_3repE0EEENS1_52radix_sort_onesweep_histogram_config_static_selectorELNS0_4arch9wavefront6targetE0EEEvSD_.uses_flat_scratch, 0
	.set _ZN7rocprim17ROCPRIM_400000_NS6detail17trampoline_kernelINS0_14default_configENS1_35radix_sort_onesweep_config_selectorIhNS0_10empty_typeEEEZNS1_34radix_sort_onesweep_global_offsetsIS3_Lb1EPKhPS5_mNS0_19identity_decomposerEEE10hipError_tT1_T2_PT3_SF_jT4_jjP12ihipStream_tbEUlT_E0_NS1_11comp_targetILNS1_3genE4ELNS1_11target_archE910ELNS1_3gpuE8ELNS1_3repE0EEENS1_52radix_sort_onesweep_histogram_config_static_selectorELNS0_4arch9wavefront6targetE0EEEvSD_.has_dyn_sized_stack, 0
	.set _ZN7rocprim17ROCPRIM_400000_NS6detail17trampoline_kernelINS0_14default_configENS1_35radix_sort_onesweep_config_selectorIhNS0_10empty_typeEEEZNS1_34radix_sort_onesweep_global_offsetsIS3_Lb1EPKhPS5_mNS0_19identity_decomposerEEE10hipError_tT1_T2_PT3_SF_jT4_jjP12ihipStream_tbEUlT_E0_NS1_11comp_targetILNS1_3genE4ELNS1_11target_archE910ELNS1_3gpuE8ELNS1_3repE0EEENS1_52radix_sort_onesweep_histogram_config_static_selectorELNS0_4arch9wavefront6targetE0EEEvSD_.has_recursion, 0
	.set _ZN7rocprim17ROCPRIM_400000_NS6detail17trampoline_kernelINS0_14default_configENS1_35radix_sort_onesweep_config_selectorIhNS0_10empty_typeEEEZNS1_34radix_sort_onesweep_global_offsetsIS3_Lb1EPKhPS5_mNS0_19identity_decomposerEEE10hipError_tT1_T2_PT3_SF_jT4_jjP12ihipStream_tbEUlT_E0_NS1_11comp_targetILNS1_3genE4ELNS1_11target_archE910ELNS1_3gpuE8ELNS1_3repE0EEENS1_52radix_sort_onesweep_histogram_config_static_selectorELNS0_4arch9wavefront6targetE0EEEvSD_.has_indirect_call, 0
	.section	.AMDGPU.csdata,"",@progbits
; Kernel info:
; codeLenInByte = 0
; TotalNumSgprs: 0
; NumVgprs: 0
; ScratchSize: 0
; MemoryBound: 0
; FloatMode: 240
; IeeeMode: 1
; LDSByteSize: 0 bytes/workgroup (compile time only)
; SGPRBlocks: 0
; VGPRBlocks: 0
; NumSGPRsForWavesPerEU: 1
; NumVGPRsForWavesPerEU: 1
; NamedBarCnt: 0
; Occupancy: 16
; WaveLimiterHint : 0
; COMPUTE_PGM_RSRC2:SCRATCH_EN: 0
; COMPUTE_PGM_RSRC2:USER_SGPR: 2
; COMPUTE_PGM_RSRC2:TRAP_HANDLER: 0
; COMPUTE_PGM_RSRC2:TGID_X_EN: 1
; COMPUTE_PGM_RSRC2:TGID_Y_EN: 0
; COMPUTE_PGM_RSRC2:TGID_Z_EN: 0
; COMPUTE_PGM_RSRC2:TIDIG_COMP_CNT: 0
	.section	.text._ZN7rocprim17ROCPRIM_400000_NS6detail17trampoline_kernelINS0_14default_configENS1_35radix_sort_onesweep_config_selectorIhNS0_10empty_typeEEEZNS1_34radix_sort_onesweep_global_offsetsIS3_Lb1EPKhPS5_mNS0_19identity_decomposerEEE10hipError_tT1_T2_PT3_SF_jT4_jjP12ihipStream_tbEUlT_E0_NS1_11comp_targetILNS1_3genE3ELNS1_11target_archE908ELNS1_3gpuE7ELNS1_3repE0EEENS1_52radix_sort_onesweep_histogram_config_static_selectorELNS0_4arch9wavefront6targetE0EEEvSD_,"axG",@progbits,_ZN7rocprim17ROCPRIM_400000_NS6detail17trampoline_kernelINS0_14default_configENS1_35radix_sort_onesweep_config_selectorIhNS0_10empty_typeEEEZNS1_34radix_sort_onesweep_global_offsetsIS3_Lb1EPKhPS5_mNS0_19identity_decomposerEEE10hipError_tT1_T2_PT3_SF_jT4_jjP12ihipStream_tbEUlT_E0_NS1_11comp_targetILNS1_3genE3ELNS1_11target_archE908ELNS1_3gpuE7ELNS1_3repE0EEENS1_52radix_sort_onesweep_histogram_config_static_selectorELNS0_4arch9wavefront6targetE0EEEvSD_,comdat
	.protected	_ZN7rocprim17ROCPRIM_400000_NS6detail17trampoline_kernelINS0_14default_configENS1_35radix_sort_onesweep_config_selectorIhNS0_10empty_typeEEEZNS1_34radix_sort_onesweep_global_offsetsIS3_Lb1EPKhPS5_mNS0_19identity_decomposerEEE10hipError_tT1_T2_PT3_SF_jT4_jjP12ihipStream_tbEUlT_E0_NS1_11comp_targetILNS1_3genE3ELNS1_11target_archE908ELNS1_3gpuE7ELNS1_3repE0EEENS1_52radix_sort_onesweep_histogram_config_static_selectorELNS0_4arch9wavefront6targetE0EEEvSD_ ; -- Begin function _ZN7rocprim17ROCPRIM_400000_NS6detail17trampoline_kernelINS0_14default_configENS1_35radix_sort_onesweep_config_selectorIhNS0_10empty_typeEEEZNS1_34radix_sort_onesweep_global_offsetsIS3_Lb1EPKhPS5_mNS0_19identity_decomposerEEE10hipError_tT1_T2_PT3_SF_jT4_jjP12ihipStream_tbEUlT_E0_NS1_11comp_targetILNS1_3genE3ELNS1_11target_archE908ELNS1_3gpuE7ELNS1_3repE0EEENS1_52radix_sort_onesweep_histogram_config_static_selectorELNS0_4arch9wavefront6targetE0EEEvSD_
	.globl	_ZN7rocprim17ROCPRIM_400000_NS6detail17trampoline_kernelINS0_14default_configENS1_35radix_sort_onesweep_config_selectorIhNS0_10empty_typeEEEZNS1_34radix_sort_onesweep_global_offsetsIS3_Lb1EPKhPS5_mNS0_19identity_decomposerEEE10hipError_tT1_T2_PT3_SF_jT4_jjP12ihipStream_tbEUlT_E0_NS1_11comp_targetILNS1_3genE3ELNS1_11target_archE908ELNS1_3gpuE7ELNS1_3repE0EEENS1_52radix_sort_onesweep_histogram_config_static_selectorELNS0_4arch9wavefront6targetE0EEEvSD_
	.p2align	8
	.type	_ZN7rocprim17ROCPRIM_400000_NS6detail17trampoline_kernelINS0_14default_configENS1_35radix_sort_onesweep_config_selectorIhNS0_10empty_typeEEEZNS1_34radix_sort_onesweep_global_offsetsIS3_Lb1EPKhPS5_mNS0_19identity_decomposerEEE10hipError_tT1_T2_PT3_SF_jT4_jjP12ihipStream_tbEUlT_E0_NS1_11comp_targetILNS1_3genE3ELNS1_11target_archE908ELNS1_3gpuE7ELNS1_3repE0EEENS1_52radix_sort_onesweep_histogram_config_static_selectorELNS0_4arch9wavefront6targetE0EEEvSD_,@function
_ZN7rocprim17ROCPRIM_400000_NS6detail17trampoline_kernelINS0_14default_configENS1_35radix_sort_onesweep_config_selectorIhNS0_10empty_typeEEEZNS1_34radix_sort_onesweep_global_offsetsIS3_Lb1EPKhPS5_mNS0_19identity_decomposerEEE10hipError_tT1_T2_PT3_SF_jT4_jjP12ihipStream_tbEUlT_E0_NS1_11comp_targetILNS1_3genE3ELNS1_11target_archE908ELNS1_3gpuE7ELNS1_3repE0EEENS1_52radix_sort_onesweep_histogram_config_static_selectorELNS0_4arch9wavefront6targetE0EEEvSD_: ; @_ZN7rocprim17ROCPRIM_400000_NS6detail17trampoline_kernelINS0_14default_configENS1_35radix_sort_onesweep_config_selectorIhNS0_10empty_typeEEEZNS1_34radix_sort_onesweep_global_offsetsIS3_Lb1EPKhPS5_mNS0_19identity_decomposerEEE10hipError_tT1_T2_PT3_SF_jT4_jjP12ihipStream_tbEUlT_E0_NS1_11comp_targetILNS1_3genE3ELNS1_11target_archE908ELNS1_3gpuE7ELNS1_3repE0EEENS1_52radix_sort_onesweep_histogram_config_static_selectorELNS0_4arch9wavefront6targetE0EEEvSD_
; %bb.0:
	.section	.rodata,"a",@progbits
	.p2align	6, 0x0
	.amdhsa_kernel _ZN7rocprim17ROCPRIM_400000_NS6detail17trampoline_kernelINS0_14default_configENS1_35radix_sort_onesweep_config_selectorIhNS0_10empty_typeEEEZNS1_34radix_sort_onesweep_global_offsetsIS3_Lb1EPKhPS5_mNS0_19identity_decomposerEEE10hipError_tT1_T2_PT3_SF_jT4_jjP12ihipStream_tbEUlT_E0_NS1_11comp_targetILNS1_3genE3ELNS1_11target_archE908ELNS1_3gpuE7ELNS1_3repE0EEENS1_52radix_sort_onesweep_histogram_config_static_selectorELNS0_4arch9wavefront6targetE0EEEvSD_
		.amdhsa_group_segment_fixed_size 0
		.amdhsa_private_segment_fixed_size 0
		.amdhsa_kernarg_size 8
		.amdhsa_user_sgpr_count 2
		.amdhsa_user_sgpr_dispatch_ptr 0
		.amdhsa_user_sgpr_queue_ptr 0
		.amdhsa_user_sgpr_kernarg_segment_ptr 1
		.amdhsa_user_sgpr_dispatch_id 0
		.amdhsa_user_sgpr_kernarg_preload_length 0
		.amdhsa_user_sgpr_kernarg_preload_offset 0
		.amdhsa_user_sgpr_private_segment_size 0
		.amdhsa_wavefront_size32 1
		.amdhsa_uses_dynamic_stack 0
		.amdhsa_enable_private_segment 0
		.amdhsa_system_sgpr_workgroup_id_x 1
		.amdhsa_system_sgpr_workgroup_id_y 0
		.amdhsa_system_sgpr_workgroup_id_z 0
		.amdhsa_system_sgpr_workgroup_info 0
		.amdhsa_system_vgpr_workitem_id 0
		.amdhsa_next_free_vgpr 1
		.amdhsa_next_free_sgpr 1
		.amdhsa_named_barrier_count 0
		.amdhsa_reserve_vcc 0
		.amdhsa_float_round_mode_32 0
		.amdhsa_float_round_mode_16_64 0
		.amdhsa_float_denorm_mode_32 3
		.amdhsa_float_denorm_mode_16_64 3
		.amdhsa_fp16_overflow 0
		.amdhsa_memory_ordered 1
		.amdhsa_forward_progress 1
		.amdhsa_inst_pref_size 0
		.amdhsa_round_robin_scheduling 0
		.amdhsa_exception_fp_ieee_invalid_op 0
		.amdhsa_exception_fp_denorm_src 0
		.amdhsa_exception_fp_ieee_div_zero 0
		.amdhsa_exception_fp_ieee_overflow 0
		.amdhsa_exception_fp_ieee_underflow 0
		.amdhsa_exception_fp_ieee_inexact 0
		.amdhsa_exception_int_div_zero 0
	.end_amdhsa_kernel
	.section	.text._ZN7rocprim17ROCPRIM_400000_NS6detail17trampoline_kernelINS0_14default_configENS1_35radix_sort_onesweep_config_selectorIhNS0_10empty_typeEEEZNS1_34radix_sort_onesweep_global_offsetsIS3_Lb1EPKhPS5_mNS0_19identity_decomposerEEE10hipError_tT1_T2_PT3_SF_jT4_jjP12ihipStream_tbEUlT_E0_NS1_11comp_targetILNS1_3genE3ELNS1_11target_archE908ELNS1_3gpuE7ELNS1_3repE0EEENS1_52radix_sort_onesweep_histogram_config_static_selectorELNS0_4arch9wavefront6targetE0EEEvSD_,"axG",@progbits,_ZN7rocprim17ROCPRIM_400000_NS6detail17trampoline_kernelINS0_14default_configENS1_35radix_sort_onesweep_config_selectorIhNS0_10empty_typeEEEZNS1_34radix_sort_onesweep_global_offsetsIS3_Lb1EPKhPS5_mNS0_19identity_decomposerEEE10hipError_tT1_T2_PT3_SF_jT4_jjP12ihipStream_tbEUlT_E0_NS1_11comp_targetILNS1_3genE3ELNS1_11target_archE908ELNS1_3gpuE7ELNS1_3repE0EEENS1_52radix_sort_onesweep_histogram_config_static_selectorELNS0_4arch9wavefront6targetE0EEEvSD_,comdat
.Lfunc_end96:
	.size	_ZN7rocprim17ROCPRIM_400000_NS6detail17trampoline_kernelINS0_14default_configENS1_35radix_sort_onesweep_config_selectorIhNS0_10empty_typeEEEZNS1_34radix_sort_onesweep_global_offsetsIS3_Lb1EPKhPS5_mNS0_19identity_decomposerEEE10hipError_tT1_T2_PT3_SF_jT4_jjP12ihipStream_tbEUlT_E0_NS1_11comp_targetILNS1_3genE3ELNS1_11target_archE908ELNS1_3gpuE7ELNS1_3repE0EEENS1_52radix_sort_onesweep_histogram_config_static_selectorELNS0_4arch9wavefront6targetE0EEEvSD_, .Lfunc_end96-_ZN7rocprim17ROCPRIM_400000_NS6detail17trampoline_kernelINS0_14default_configENS1_35radix_sort_onesweep_config_selectorIhNS0_10empty_typeEEEZNS1_34radix_sort_onesweep_global_offsetsIS3_Lb1EPKhPS5_mNS0_19identity_decomposerEEE10hipError_tT1_T2_PT3_SF_jT4_jjP12ihipStream_tbEUlT_E0_NS1_11comp_targetILNS1_3genE3ELNS1_11target_archE908ELNS1_3gpuE7ELNS1_3repE0EEENS1_52radix_sort_onesweep_histogram_config_static_selectorELNS0_4arch9wavefront6targetE0EEEvSD_
                                        ; -- End function
	.set _ZN7rocprim17ROCPRIM_400000_NS6detail17trampoline_kernelINS0_14default_configENS1_35radix_sort_onesweep_config_selectorIhNS0_10empty_typeEEEZNS1_34radix_sort_onesweep_global_offsetsIS3_Lb1EPKhPS5_mNS0_19identity_decomposerEEE10hipError_tT1_T2_PT3_SF_jT4_jjP12ihipStream_tbEUlT_E0_NS1_11comp_targetILNS1_3genE3ELNS1_11target_archE908ELNS1_3gpuE7ELNS1_3repE0EEENS1_52radix_sort_onesweep_histogram_config_static_selectorELNS0_4arch9wavefront6targetE0EEEvSD_.num_vgpr, 0
	.set _ZN7rocprim17ROCPRIM_400000_NS6detail17trampoline_kernelINS0_14default_configENS1_35radix_sort_onesweep_config_selectorIhNS0_10empty_typeEEEZNS1_34radix_sort_onesweep_global_offsetsIS3_Lb1EPKhPS5_mNS0_19identity_decomposerEEE10hipError_tT1_T2_PT3_SF_jT4_jjP12ihipStream_tbEUlT_E0_NS1_11comp_targetILNS1_3genE3ELNS1_11target_archE908ELNS1_3gpuE7ELNS1_3repE0EEENS1_52radix_sort_onesweep_histogram_config_static_selectorELNS0_4arch9wavefront6targetE0EEEvSD_.num_agpr, 0
	.set _ZN7rocprim17ROCPRIM_400000_NS6detail17trampoline_kernelINS0_14default_configENS1_35radix_sort_onesweep_config_selectorIhNS0_10empty_typeEEEZNS1_34radix_sort_onesweep_global_offsetsIS3_Lb1EPKhPS5_mNS0_19identity_decomposerEEE10hipError_tT1_T2_PT3_SF_jT4_jjP12ihipStream_tbEUlT_E0_NS1_11comp_targetILNS1_3genE3ELNS1_11target_archE908ELNS1_3gpuE7ELNS1_3repE0EEENS1_52radix_sort_onesweep_histogram_config_static_selectorELNS0_4arch9wavefront6targetE0EEEvSD_.numbered_sgpr, 0
	.set _ZN7rocprim17ROCPRIM_400000_NS6detail17trampoline_kernelINS0_14default_configENS1_35radix_sort_onesweep_config_selectorIhNS0_10empty_typeEEEZNS1_34radix_sort_onesweep_global_offsetsIS3_Lb1EPKhPS5_mNS0_19identity_decomposerEEE10hipError_tT1_T2_PT3_SF_jT4_jjP12ihipStream_tbEUlT_E0_NS1_11comp_targetILNS1_3genE3ELNS1_11target_archE908ELNS1_3gpuE7ELNS1_3repE0EEENS1_52radix_sort_onesweep_histogram_config_static_selectorELNS0_4arch9wavefront6targetE0EEEvSD_.num_named_barrier, 0
	.set _ZN7rocprim17ROCPRIM_400000_NS6detail17trampoline_kernelINS0_14default_configENS1_35radix_sort_onesweep_config_selectorIhNS0_10empty_typeEEEZNS1_34radix_sort_onesweep_global_offsetsIS3_Lb1EPKhPS5_mNS0_19identity_decomposerEEE10hipError_tT1_T2_PT3_SF_jT4_jjP12ihipStream_tbEUlT_E0_NS1_11comp_targetILNS1_3genE3ELNS1_11target_archE908ELNS1_3gpuE7ELNS1_3repE0EEENS1_52radix_sort_onesweep_histogram_config_static_selectorELNS0_4arch9wavefront6targetE0EEEvSD_.private_seg_size, 0
	.set _ZN7rocprim17ROCPRIM_400000_NS6detail17trampoline_kernelINS0_14default_configENS1_35radix_sort_onesweep_config_selectorIhNS0_10empty_typeEEEZNS1_34radix_sort_onesweep_global_offsetsIS3_Lb1EPKhPS5_mNS0_19identity_decomposerEEE10hipError_tT1_T2_PT3_SF_jT4_jjP12ihipStream_tbEUlT_E0_NS1_11comp_targetILNS1_3genE3ELNS1_11target_archE908ELNS1_3gpuE7ELNS1_3repE0EEENS1_52radix_sort_onesweep_histogram_config_static_selectorELNS0_4arch9wavefront6targetE0EEEvSD_.uses_vcc, 0
	.set _ZN7rocprim17ROCPRIM_400000_NS6detail17trampoline_kernelINS0_14default_configENS1_35radix_sort_onesweep_config_selectorIhNS0_10empty_typeEEEZNS1_34radix_sort_onesweep_global_offsetsIS3_Lb1EPKhPS5_mNS0_19identity_decomposerEEE10hipError_tT1_T2_PT3_SF_jT4_jjP12ihipStream_tbEUlT_E0_NS1_11comp_targetILNS1_3genE3ELNS1_11target_archE908ELNS1_3gpuE7ELNS1_3repE0EEENS1_52radix_sort_onesweep_histogram_config_static_selectorELNS0_4arch9wavefront6targetE0EEEvSD_.uses_flat_scratch, 0
	.set _ZN7rocprim17ROCPRIM_400000_NS6detail17trampoline_kernelINS0_14default_configENS1_35radix_sort_onesweep_config_selectorIhNS0_10empty_typeEEEZNS1_34radix_sort_onesweep_global_offsetsIS3_Lb1EPKhPS5_mNS0_19identity_decomposerEEE10hipError_tT1_T2_PT3_SF_jT4_jjP12ihipStream_tbEUlT_E0_NS1_11comp_targetILNS1_3genE3ELNS1_11target_archE908ELNS1_3gpuE7ELNS1_3repE0EEENS1_52radix_sort_onesweep_histogram_config_static_selectorELNS0_4arch9wavefront6targetE0EEEvSD_.has_dyn_sized_stack, 0
	.set _ZN7rocprim17ROCPRIM_400000_NS6detail17trampoline_kernelINS0_14default_configENS1_35radix_sort_onesweep_config_selectorIhNS0_10empty_typeEEEZNS1_34radix_sort_onesweep_global_offsetsIS3_Lb1EPKhPS5_mNS0_19identity_decomposerEEE10hipError_tT1_T2_PT3_SF_jT4_jjP12ihipStream_tbEUlT_E0_NS1_11comp_targetILNS1_3genE3ELNS1_11target_archE908ELNS1_3gpuE7ELNS1_3repE0EEENS1_52radix_sort_onesweep_histogram_config_static_selectorELNS0_4arch9wavefront6targetE0EEEvSD_.has_recursion, 0
	.set _ZN7rocprim17ROCPRIM_400000_NS6detail17trampoline_kernelINS0_14default_configENS1_35radix_sort_onesweep_config_selectorIhNS0_10empty_typeEEEZNS1_34radix_sort_onesweep_global_offsetsIS3_Lb1EPKhPS5_mNS0_19identity_decomposerEEE10hipError_tT1_T2_PT3_SF_jT4_jjP12ihipStream_tbEUlT_E0_NS1_11comp_targetILNS1_3genE3ELNS1_11target_archE908ELNS1_3gpuE7ELNS1_3repE0EEENS1_52radix_sort_onesweep_histogram_config_static_selectorELNS0_4arch9wavefront6targetE0EEEvSD_.has_indirect_call, 0
	.section	.AMDGPU.csdata,"",@progbits
; Kernel info:
; codeLenInByte = 0
; TotalNumSgprs: 0
; NumVgprs: 0
; ScratchSize: 0
; MemoryBound: 0
; FloatMode: 240
; IeeeMode: 1
; LDSByteSize: 0 bytes/workgroup (compile time only)
; SGPRBlocks: 0
; VGPRBlocks: 0
; NumSGPRsForWavesPerEU: 1
; NumVGPRsForWavesPerEU: 1
; NamedBarCnt: 0
; Occupancy: 16
; WaveLimiterHint : 0
; COMPUTE_PGM_RSRC2:SCRATCH_EN: 0
; COMPUTE_PGM_RSRC2:USER_SGPR: 2
; COMPUTE_PGM_RSRC2:TRAP_HANDLER: 0
; COMPUTE_PGM_RSRC2:TGID_X_EN: 1
; COMPUTE_PGM_RSRC2:TGID_Y_EN: 0
; COMPUTE_PGM_RSRC2:TGID_Z_EN: 0
; COMPUTE_PGM_RSRC2:TIDIG_COMP_CNT: 0
	.section	.text._ZN7rocprim17ROCPRIM_400000_NS6detail17trampoline_kernelINS0_14default_configENS1_35radix_sort_onesweep_config_selectorIhNS0_10empty_typeEEEZNS1_34radix_sort_onesweep_global_offsetsIS3_Lb1EPKhPS5_mNS0_19identity_decomposerEEE10hipError_tT1_T2_PT3_SF_jT4_jjP12ihipStream_tbEUlT_E0_NS1_11comp_targetILNS1_3genE10ELNS1_11target_archE1201ELNS1_3gpuE5ELNS1_3repE0EEENS1_52radix_sort_onesweep_histogram_config_static_selectorELNS0_4arch9wavefront6targetE0EEEvSD_,"axG",@progbits,_ZN7rocprim17ROCPRIM_400000_NS6detail17trampoline_kernelINS0_14default_configENS1_35radix_sort_onesweep_config_selectorIhNS0_10empty_typeEEEZNS1_34radix_sort_onesweep_global_offsetsIS3_Lb1EPKhPS5_mNS0_19identity_decomposerEEE10hipError_tT1_T2_PT3_SF_jT4_jjP12ihipStream_tbEUlT_E0_NS1_11comp_targetILNS1_3genE10ELNS1_11target_archE1201ELNS1_3gpuE5ELNS1_3repE0EEENS1_52radix_sort_onesweep_histogram_config_static_selectorELNS0_4arch9wavefront6targetE0EEEvSD_,comdat
	.protected	_ZN7rocprim17ROCPRIM_400000_NS6detail17trampoline_kernelINS0_14default_configENS1_35radix_sort_onesweep_config_selectorIhNS0_10empty_typeEEEZNS1_34radix_sort_onesweep_global_offsetsIS3_Lb1EPKhPS5_mNS0_19identity_decomposerEEE10hipError_tT1_T2_PT3_SF_jT4_jjP12ihipStream_tbEUlT_E0_NS1_11comp_targetILNS1_3genE10ELNS1_11target_archE1201ELNS1_3gpuE5ELNS1_3repE0EEENS1_52radix_sort_onesweep_histogram_config_static_selectorELNS0_4arch9wavefront6targetE0EEEvSD_ ; -- Begin function _ZN7rocprim17ROCPRIM_400000_NS6detail17trampoline_kernelINS0_14default_configENS1_35radix_sort_onesweep_config_selectorIhNS0_10empty_typeEEEZNS1_34radix_sort_onesweep_global_offsetsIS3_Lb1EPKhPS5_mNS0_19identity_decomposerEEE10hipError_tT1_T2_PT3_SF_jT4_jjP12ihipStream_tbEUlT_E0_NS1_11comp_targetILNS1_3genE10ELNS1_11target_archE1201ELNS1_3gpuE5ELNS1_3repE0EEENS1_52radix_sort_onesweep_histogram_config_static_selectorELNS0_4arch9wavefront6targetE0EEEvSD_
	.globl	_ZN7rocprim17ROCPRIM_400000_NS6detail17trampoline_kernelINS0_14default_configENS1_35radix_sort_onesweep_config_selectorIhNS0_10empty_typeEEEZNS1_34radix_sort_onesweep_global_offsetsIS3_Lb1EPKhPS5_mNS0_19identity_decomposerEEE10hipError_tT1_T2_PT3_SF_jT4_jjP12ihipStream_tbEUlT_E0_NS1_11comp_targetILNS1_3genE10ELNS1_11target_archE1201ELNS1_3gpuE5ELNS1_3repE0EEENS1_52radix_sort_onesweep_histogram_config_static_selectorELNS0_4arch9wavefront6targetE0EEEvSD_
	.p2align	8
	.type	_ZN7rocprim17ROCPRIM_400000_NS6detail17trampoline_kernelINS0_14default_configENS1_35radix_sort_onesweep_config_selectorIhNS0_10empty_typeEEEZNS1_34radix_sort_onesweep_global_offsetsIS3_Lb1EPKhPS5_mNS0_19identity_decomposerEEE10hipError_tT1_T2_PT3_SF_jT4_jjP12ihipStream_tbEUlT_E0_NS1_11comp_targetILNS1_3genE10ELNS1_11target_archE1201ELNS1_3gpuE5ELNS1_3repE0EEENS1_52radix_sort_onesweep_histogram_config_static_selectorELNS0_4arch9wavefront6targetE0EEEvSD_,@function
_ZN7rocprim17ROCPRIM_400000_NS6detail17trampoline_kernelINS0_14default_configENS1_35radix_sort_onesweep_config_selectorIhNS0_10empty_typeEEEZNS1_34radix_sort_onesweep_global_offsetsIS3_Lb1EPKhPS5_mNS0_19identity_decomposerEEE10hipError_tT1_T2_PT3_SF_jT4_jjP12ihipStream_tbEUlT_E0_NS1_11comp_targetILNS1_3genE10ELNS1_11target_archE1201ELNS1_3gpuE5ELNS1_3repE0EEENS1_52radix_sort_onesweep_histogram_config_static_selectorELNS0_4arch9wavefront6targetE0EEEvSD_: ; @_ZN7rocprim17ROCPRIM_400000_NS6detail17trampoline_kernelINS0_14default_configENS1_35radix_sort_onesweep_config_selectorIhNS0_10empty_typeEEEZNS1_34radix_sort_onesweep_global_offsetsIS3_Lb1EPKhPS5_mNS0_19identity_decomposerEEE10hipError_tT1_T2_PT3_SF_jT4_jjP12ihipStream_tbEUlT_E0_NS1_11comp_targetILNS1_3genE10ELNS1_11target_archE1201ELNS1_3gpuE5ELNS1_3repE0EEENS1_52radix_sort_onesweep_histogram_config_static_selectorELNS0_4arch9wavefront6targetE0EEEvSD_
; %bb.0:
	.section	.rodata,"a",@progbits
	.p2align	6, 0x0
	.amdhsa_kernel _ZN7rocprim17ROCPRIM_400000_NS6detail17trampoline_kernelINS0_14default_configENS1_35radix_sort_onesweep_config_selectorIhNS0_10empty_typeEEEZNS1_34radix_sort_onesweep_global_offsetsIS3_Lb1EPKhPS5_mNS0_19identity_decomposerEEE10hipError_tT1_T2_PT3_SF_jT4_jjP12ihipStream_tbEUlT_E0_NS1_11comp_targetILNS1_3genE10ELNS1_11target_archE1201ELNS1_3gpuE5ELNS1_3repE0EEENS1_52radix_sort_onesweep_histogram_config_static_selectorELNS0_4arch9wavefront6targetE0EEEvSD_
		.amdhsa_group_segment_fixed_size 0
		.amdhsa_private_segment_fixed_size 0
		.amdhsa_kernarg_size 8
		.amdhsa_user_sgpr_count 2
		.amdhsa_user_sgpr_dispatch_ptr 0
		.amdhsa_user_sgpr_queue_ptr 0
		.amdhsa_user_sgpr_kernarg_segment_ptr 1
		.amdhsa_user_sgpr_dispatch_id 0
		.amdhsa_user_sgpr_kernarg_preload_length 0
		.amdhsa_user_sgpr_kernarg_preload_offset 0
		.amdhsa_user_sgpr_private_segment_size 0
		.amdhsa_wavefront_size32 1
		.amdhsa_uses_dynamic_stack 0
		.amdhsa_enable_private_segment 0
		.amdhsa_system_sgpr_workgroup_id_x 1
		.amdhsa_system_sgpr_workgroup_id_y 0
		.amdhsa_system_sgpr_workgroup_id_z 0
		.amdhsa_system_sgpr_workgroup_info 0
		.amdhsa_system_vgpr_workitem_id 0
		.amdhsa_next_free_vgpr 1
		.amdhsa_next_free_sgpr 1
		.amdhsa_named_barrier_count 0
		.amdhsa_reserve_vcc 0
		.amdhsa_float_round_mode_32 0
		.amdhsa_float_round_mode_16_64 0
		.amdhsa_float_denorm_mode_32 3
		.amdhsa_float_denorm_mode_16_64 3
		.amdhsa_fp16_overflow 0
		.amdhsa_memory_ordered 1
		.amdhsa_forward_progress 1
		.amdhsa_inst_pref_size 0
		.amdhsa_round_robin_scheduling 0
		.amdhsa_exception_fp_ieee_invalid_op 0
		.amdhsa_exception_fp_denorm_src 0
		.amdhsa_exception_fp_ieee_div_zero 0
		.amdhsa_exception_fp_ieee_overflow 0
		.amdhsa_exception_fp_ieee_underflow 0
		.amdhsa_exception_fp_ieee_inexact 0
		.amdhsa_exception_int_div_zero 0
	.end_amdhsa_kernel
	.section	.text._ZN7rocprim17ROCPRIM_400000_NS6detail17trampoline_kernelINS0_14default_configENS1_35radix_sort_onesweep_config_selectorIhNS0_10empty_typeEEEZNS1_34radix_sort_onesweep_global_offsetsIS3_Lb1EPKhPS5_mNS0_19identity_decomposerEEE10hipError_tT1_T2_PT3_SF_jT4_jjP12ihipStream_tbEUlT_E0_NS1_11comp_targetILNS1_3genE10ELNS1_11target_archE1201ELNS1_3gpuE5ELNS1_3repE0EEENS1_52radix_sort_onesweep_histogram_config_static_selectorELNS0_4arch9wavefront6targetE0EEEvSD_,"axG",@progbits,_ZN7rocprim17ROCPRIM_400000_NS6detail17trampoline_kernelINS0_14default_configENS1_35radix_sort_onesweep_config_selectorIhNS0_10empty_typeEEEZNS1_34radix_sort_onesweep_global_offsetsIS3_Lb1EPKhPS5_mNS0_19identity_decomposerEEE10hipError_tT1_T2_PT3_SF_jT4_jjP12ihipStream_tbEUlT_E0_NS1_11comp_targetILNS1_3genE10ELNS1_11target_archE1201ELNS1_3gpuE5ELNS1_3repE0EEENS1_52radix_sort_onesweep_histogram_config_static_selectorELNS0_4arch9wavefront6targetE0EEEvSD_,comdat
.Lfunc_end97:
	.size	_ZN7rocprim17ROCPRIM_400000_NS6detail17trampoline_kernelINS0_14default_configENS1_35radix_sort_onesweep_config_selectorIhNS0_10empty_typeEEEZNS1_34radix_sort_onesweep_global_offsetsIS3_Lb1EPKhPS5_mNS0_19identity_decomposerEEE10hipError_tT1_T2_PT3_SF_jT4_jjP12ihipStream_tbEUlT_E0_NS1_11comp_targetILNS1_3genE10ELNS1_11target_archE1201ELNS1_3gpuE5ELNS1_3repE0EEENS1_52radix_sort_onesweep_histogram_config_static_selectorELNS0_4arch9wavefront6targetE0EEEvSD_, .Lfunc_end97-_ZN7rocprim17ROCPRIM_400000_NS6detail17trampoline_kernelINS0_14default_configENS1_35radix_sort_onesweep_config_selectorIhNS0_10empty_typeEEEZNS1_34radix_sort_onesweep_global_offsetsIS3_Lb1EPKhPS5_mNS0_19identity_decomposerEEE10hipError_tT1_T2_PT3_SF_jT4_jjP12ihipStream_tbEUlT_E0_NS1_11comp_targetILNS1_3genE10ELNS1_11target_archE1201ELNS1_3gpuE5ELNS1_3repE0EEENS1_52radix_sort_onesweep_histogram_config_static_selectorELNS0_4arch9wavefront6targetE0EEEvSD_
                                        ; -- End function
	.set _ZN7rocprim17ROCPRIM_400000_NS6detail17trampoline_kernelINS0_14default_configENS1_35radix_sort_onesweep_config_selectorIhNS0_10empty_typeEEEZNS1_34radix_sort_onesweep_global_offsetsIS3_Lb1EPKhPS5_mNS0_19identity_decomposerEEE10hipError_tT1_T2_PT3_SF_jT4_jjP12ihipStream_tbEUlT_E0_NS1_11comp_targetILNS1_3genE10ELNS1_11target_archE1201ELNS1_3gpuE5ELNS1_3repE0EEENS1_52radix_sort_onesweep_histogram_config_static_selectorELNS0_4arch9wavefront6targetE0EEEvSD_.num_vgpr, 0
	.set _ZN7rocprim17ROCPRIM_400000_NS6detail17trampoline_kernelINS0_14default_configENS1_35radix_sort_onesweep_config_selectorIhNS0_10empty_typeEEEZNS1_34radix_sort_onesweep_global_offsetsIS3_Lb1EPKhPS5_mNS0_19identity_decomposerEEE10hipError_tT1_T2_PT3_SF_jT4_jjP12ihipStream_tbEUlT_E0_NS1_11comp_targetILNS1_3genE10ELNS1_11target_archE1201ELNS1_3gpuE5ELNS1_3repE0EEENS1_52radix_sort_onesweep_histogram_config_static_selectorELNS0_4arch9wavefront6targetE0EEEvSD_.num_agpr, 0
	.set _ZN7rocprim17ROCPRIM_400000_NS6detail17trampoline_kernelINS0_14default_configENS1_35radix_sort_onesweep_config_selectorIhNS0_10empty_typeEEEZNS1_34radix_sort_onesweep_global_offsetsIS3_Lb1EPKhPS5_mNS0_19identity_decomposerEEE10hipError_tT1_T2_PT3_SF_jT4_jjP12ihipStream_tbEUlT_E0_NS1_11comp_targetILNS1_3genE10ELNS1_11target_archE1201ELNS1_3gpuE5ELNS1_3repE0EEENS1_52radix_sort_onesweep_histogram_config_static_selectorELNS0_4arch9wavefront6targetE0EEEvSD_.numbered_sgpr, 0
	.set _ZN7rocprim17ROCPRIM_400000_NS6detail17trampoline_kernelINS0_14default_configENS1_35radix_sort_onesweep_config_selectorIhNS0_10empty_typeEEEZNS1_34radix_sort_onesweep_global_offsetsIS3_Lb1EPKhPS5_mNS0_19identity_decomposerEEE10hipError_tT1_T2_PT3_SF_jT4_jjP12ihipStream_tbEUlT_E0_NS1_11comp_targetILNS1_3genE10ELNS1_11target_archE1201ELNS1_3gpuE5ELNS1_3repE0EEENS1_52radix_sort_onesweep_histogram_config_static_selectorELNS0_4arch9wavefront6targetE0EEEvSD_.num_named_barrier, 0
	.set _ZN7rocprim17ROCPRIM_400000_NS6detail17trampoline_kernelINS0_14default_configENS1_35radix_sort_onesweep_config_selectorIhNS0_10empty_typeEEEZNS1_34radix_sort_onesweep_global_offsetsIS3_Lb1EPKhPS5_mNS0_19identity_decomposerEEE10hipError_tT1_T2_PT3_SF_jT4_jjP12ihipStream_tbEUlT_E0_NS1_11comp_targetILNS1_3genE10ELNS1_11target_archE1201ELNS1_3gpuE5ELNS1_3repE0EEENS1_52radix_sort_onesweep_histogram_config_static_selectorELNS0_4arch9wavefront6targetE0EEEvSD_.private_seg_size, 0
	.set _ZN7rocprim17ROCPRIM_400000_NS6detail17trampoline_kernelINS0_14default_configENS1_35radix_sort_onesweep_config_selectorIhNS0_10empty_typeEEEZNS1_34radix_sort_onesweep_global_offsetsIS3_Lb1EPKhPS5_mNS0_19identity_decomposerEEE10hipError_tT1_T2_PT3_SF_jT4_jjP12ihipStream_tbEUlT_E0_NS1_11comp_targetILNS1_3genE10ELNS1_11target_archE1201ELNS1_3gpuE5ELNS1_3repE0EEENS1_52radix_sort_onesweep_histogram_config_static_selectorELNS0_4arch9wavefront6targetE0EEEvSD_.uses_vcc, 0
	.set _ZN7rocprim17ROCPRIM_400000_NS6detail17trampoline_kernelINS0_14default_configENS1_35radix_sort_onesweep_config_selectorIhNS0_10empty_typeEEEZNS1_34radix_sort_onesweep_global_offsetsIS3_Lb1EPKhPS5_mNS0_19identity_decomposerEEE10hipError_tT1_T2_PT3_SF_jT4_jjP12ihipStream_tbEUlT_E0_NS1_11comp_targetILNS1_3genE10ELNS1_11target_archE1201ELNS1_3gpuE5ELNS1_3repE0EEENS1_52radix_sort_onesweep_histogram_config_static_selectorELNS0_4arch9wavefront6targetE0EEEvSD_.uses_flat_scratch, 0
	.set _ZN7rocprim17ROCPRIM_400000_NS6detail17trampoline_kernelINS0_14default_configENS1_35radix_sort_onesweep_config_selectorIhNS0_10empty_typeEEEZNS1_34radix_sort_onesweep_global_offsetsIS3_Lb1EPKhPS5_mNS0_19identity_decomposerEEE10hipError_tT1_T2_PT3_SF_jT4_jjP12ihipStream_tbEUlT_E0_NS1_11comp_targetILNS1_3genE10ELNS1_11target_archE1201ELNS1_3gpuE5ELNS1_3repE0EEENS1_52radix_sort_onesweep_histogram_config_static_selectorELNS0_4arch9wavefront6targetE0EEEvSD_.has_dyn_sized_stack, 0
	.set _ZN7rocprim17ROCPRIM_400000_NS6detail17trampoline_kernelINS0_14default_configENS1_35radix_sort_onesweep_config_selectorIhNS0_10empty_typeEEEZNS1_34radix_sort_onesweep_global_offsetsIS3_Lb1EPKhPS5_mNS0_19identity_decomposerEEE10hipError_tT1_T2_PT3_SF_jT4_jjP12ihipStream_tbEUlT_E0_NS1_11comp_targetILNS1_3genE10ELNS1_11target_archE1201ELNS1_3gpuE5ELNS1_3repE0EEENS1_52radix_sort_onesweep_histogram_config_static_selectorELNS0_4arch9wavefront6targetE0EEEvSD_.has_recursion, 0
	.set _ZN7rocprim17ROCPRIM_400000_NS6detail17trampoline_kernelINS0_14default_configENS1_35radix_sort_onesweep_config_selectorIhNS0_10empty_typeEEEZNS1_34radix_sort_onesweep_global_offsetsIS3_Lb1EPKhPS5_mNS0_19identity_decomposerEEE10hipError_tT1_T2_PT3_SF_jT4_jjP12ihipStream_tbEUlT_E0_NS1_11comp_targetILNS1_3genE10ELNS1_11target_archE1201ELNS1_3gpuE5ELNS1_3repE0EEENS1_52radix_sort_onesweep_histogram_config_static_selectorELNS0_4arch9wavefront6targetE0EEEvSD_.has_indirect_call, 0
	.section	.AMDGPU.csdata,"",@progbits
; Kernel info:
; codeLenInByte = 0
; TotalNumSgprs: 0
; NumVgprs: 0
; ScratchSize: 0
; MemoryBound: 0
; FloatMode: 240
; IeeeMode: 1
; LDSByteSize: 0 bytes/workgroup (compile time only)
; SGPRBlocks: 0
; VGPRBlocks: 0
; NumSGPRsForWavesPerEU: 1
; NumVGPRsForWavesPerEU: 1
; NamedBarCnt: 0
; Occupancy: 16
; WaveLimiterHint : 0
; COMPUTE_PGM_RSRC2:SCRATCH_EN: 0
; COMPUTE_PGM_RSRC2:USER_SGPR: 2
; COMPUTE_PGM_RSRC2:TRAP_HANDLER: 0
; COMPUTE_PGM_RSRC2:TGID_X_EN: 1
; COMPUTE_PGM_RSRC2:TGID_Y_EN: 0
; COMPUTE_PGM_RSRC2:TGID_Z_EN: 0
; COMPUTE_PGM_RSRC2:TIDIG_COMP_CNT: 0
	.section	.text._ZN7rocprim17ROCPRIM_400000_NS6detail17trampoline_kernelINS0_14default_configENS1_35radix_sort_onesweep_config_selectorIhNS0_10empty_typeEEEZNS1_34radix_sort_onesweep_global_offsetsIS3_Lb1EPKhPS5_mNS0_19identity_decomposerEEE10hipError_tT1_T2_PT3_SF_jT4_jjP12ihipStream_tbEUlT_E0_NS1_11comp_targetILNS1_3genE9ELNS1_11target_archE1100ELNS1_3gpuE3ELNS1_3repE0EEENS1_52radix_sort_onesweep_histogram_config_static_selectorELNS0_4arch9wavefront6targetE0EEEvSD_,"axG",@progbits,_ZN7rocprim17ROCPRIM_400000_NS6detail17trampoline_kernelINS0_14default_configENS1_35radix_sort_onesweep_config_selectorIhNS0_10empty_typeEEEZNS1_34radix_sort_onesweep_global_offsetsIS3_Lb1EPKhPS5_mNS0_19identity_decomposerEEE10hipError_tT1_T2_PT3_SF_jT4_jjP12ihipStream_tbEUlT_E0_NS1_11comp_targetILNS1_3genE9ELNS1_11target_archE1100ELNS1_3gpuE3ELNS1_3repE0EEENS1_52radix_sort_onesweep_histogram_config_static_selectorELNS0_4arch9wavefront6targetE0EEEvSD_,comdat
	.protected	_ZN7rocprim17ROCPRIM_400000_NS6detail17trampoline_kernelINS0_14default_configENS1_35radix_sort_onesweep_config_selectorIhNS0_10empty_typeEEEZNS1_34radix_sort_onesweep_global_offsetsIS3_Lb1EPKhPS5_mNS0_19identity_decomposerEEE10hipError_tT1_T2_PT3_SF_jT4_jjP12ihipStream_tbEUlT_E0_NS1_11comp_targetILNS1_3genE9ELNS1_11target_archE1100ELNS1_3gpuE3ELNS1_3repE0EEENS1_52radix_sort_onesweep_histogram_config_static_selectorELNS0_4arch9wavefront6targetE0EEEvSD_ ; -- Begin function _ZN7rocprim17ROCPRIM_400000_NS6detail17trampoline_kernelINS0_14default_configENS1_35radix_sort_onesweep_config_selectorIhNS0_10empty_typeEEEZNS1_34radix_sort_onesweep_global_offsetsIS3_Lb1EPKhPS5_mNS0_19identity_decomposerEEE10hipError_tT1_T2_PT3_SF_jT4_jjP12ihipStream_tbEUlT_E0_NS1_11comp_targetILNS1_3genE9ELNS1_11target_archE1100ELNS1_3gpuE3ELNS1_3repE0EEENS1_52radix_sort_onesweep_histogram_config_static_selectorELNS0_4arch9wavefront6targetE0EEEvSD_
	.globl	_ZN7rocprim17ROCPRIM_400000_NS6detail17trampoline_kernelINS0_14default_configENS1_35radix_sort_onesweep_config_selectorIhNS0_10empty_typeEEEZNS1_34radix_sort_onesweep_global_offsetsIS3_Lb1EPKhPS5_mNS0_19identity_decomposerEEE10hipError_tT1_T2_PT3_SF_jT4_jjP12ihipStream_tbEUlT_E0_NS1_11comp_targetILNS1_3genE9ELNS1_11target_archE1100ELNS1_3gpuE3ELNS1_3repE0EEENS1_52radix_sort_onesweep_histogram_config_static_selectorELNS0_4arch9wavefront6targetE0EEEvSD_
	.p2align	8
	.type	_ZN7rocprim17ROCPRIM_400000_NS6detail17trampoline_kernelINS0_14default_configENS1_35radix_sort_onesweep_config_selectorIhNS0_10empty_typeEEEZNS1_34radix_sort_onesweep_global_offsetsIS3_Lb1EPKhPS5_mNS0_19identity_decomposerEEE10hipError_tT1_T2_PT3_SF_jT4_jjP12ihipStream_tbEUlT_E0_NS1_11comp_targetILNS1_3genE9ELNS1_11target_archE1100ELNS1_3gpuE3ELNS1_3repE0EEENS1_52radix_sort_onesweep_histogram_config_static_selectorELNS0_4arch9wavefront6targetE0EEEvSD_,@function
_ZN7rocprim17ROCPRIM_400000_NS6detail17trampoline_kernelINS0_14default_configENS1_35radix_sort_onesweep_config_selectorIhNS0_10empty_typeEEEZNS1_34radix_sort_onesweep_global_offsetsIS3_Lb1EPKhPS5_mNS0_19identity_decomposerEEE10hipError_tT1_T2_PT3_SF_jT4_jjP12ihipStream_tbEUlT_E0_NS1_11comp_targetILNS1_3genE9ELNS1_11target_archE1100ELNS1_3gpuE3ELNS1_3repE0EEENS1_52radix_sort_onesweep_histogram_config_static_selectorELNS0_4arch9wavefront6targetE0EEEvSD_: ; @_ZN7rocprim17ROCPRIM_400000_NS6detail17trampoline_kernelINS0_14default_configENS1_35radix_sort_onesweep_config_selectorIhNS0_10empty_typeEEEZNS1_34radix_sort_onesweep_global_offsetsIS3_Lb1EPKhPS5_mNS0_19identity_decomposerEEE10hipError_tT1_T2_PT3_SF_jT4_jjP12ihipStream_tbEUlT_E0_NS1_11comp_targetILNS1_3genE9ELNS1_11target_archE1100ELNS1_3gpuE3ELNS1_3repE0EEENS1_52radix_sort_onesweep_histogram_config_static_selectorELNS0_4arch9wavefront6targetE0EEEvSD_
; %bb.0:
	.section	.rodata,"a",@progbits
	.p2align	6, 0x0
	.amdhsa_kernel _ZN7rocprim17ROCPRIM_400000_NS6detail17trampoline_kernelINS0_14default_configENS1_35radix_sort_onesweep_config_selectorIhNS0_10empty_typeEEEZNS1_34radix_sort_onesweep_global_offsetsIS3_Lb1EPKhPS5_mNS0_19identity_decomposerEEE10hipError_tT1_T2_PT3_SF_jT4_jjP12ihipStream_tbEUlT_E0_NS1_11comp_targetILNS1_3genE9ELNS1_11target_archE1100ELNS1_3gpuE3ELNS1_3repE0EEENS1_52radix_sort_onesweep_histogram_config_static_selectorELNS0_4arch9wavefront6targetE0EEEvSD_
		.amdhsa_group_segment_fixed_size 0
		.amdhsa_private_segment_fixed_size 0
		.amdhsa_kernarg_size 8
		.amdhsa_user_sgpr_count 2
		.amdhsa_user_sgpr_dispatch_ptr 0
		.amdhsa_user_sgpr_queue_ptr 0
		.amdhsa_user_sgpr_kernarg_segment_ptr 1
		.amdhsa_user_sgpr_dispatch_id 0
		.amdhsa_user_sgpr_kernarg_preload_length 0
		.amdhsa_user_sgpr_kernarg_preload_offset 0
		.amdhsa_user_sgpr_private_segment_size 0
		.amdhsa_wavefront_size32 1
		.amdhsa_uses_dynamic_stack 0
		.amdhsa_enable_private_segment 0
		.amdhsa_system_sgpr_workgroup_id_x 1
		.amdhsa_system_sgpr_workgroup_id_y 0
		.amdhsa_system_sgpr_workgroup_id_z 0
		.amdhsa_system_sgpr_workgroup_info 0
		.amdhsa_system_vgpr_workitem_id 0
		.amdhsa_next_free_vgpr 1
		.amdhsa_next_free_sgpr 1
		.amdhsa_named_barrier_count 0
		.amdhsa_reserve_vcc 0
		.amdhsa_float_round_mode_32 0
		.amdhsa_float_round_mode_16_64 0
		.amdhsa_float_denorm_mode_32 3
		.amdhsa_float_denorm_mode_16_64 3
		.amdhsa_fp16_overflow 0
		.amdhsa_memory_ordered 1
		.amdhsa_forward_progress 1
		.amdhsa_inst_pref_size 0
		.amdhsa_round_robin_scheduling 0
		.amdhsa_exception_fp_ieee_invalid_op 0
		.amdhsa_exception_fp_denorm_src 0
		.amdhsa_exception_fp_ieee_div_zero 0
		.amdhsa_exception_fp_ieee_overflow 0
		.amdhsa_exception_fp_ieee_underflow 0
		.amdhsa_exception_fp_ieee_inexact 0
		.amdhsa_exception_int_div_zero 0
	.end_amdhsa_kernel
	.section	.text._ZN7rocprim17ROCPRIM_400000_NS6detail17trampoline_kernelINS0_14default_configENS1_35radix_sort_onesweep_config_selectorIhNS0_10empty_typeEEEZNS1_34radix_sort_onesweep_global_offsetsIS3_Lb1EPKhPS5_mNS0_19identity_decomposerEEE10hipError_tT1_T2_PT3_SF_jT4_jjP12ihipStream_tbEUlT_E0_NS1_11comp_targetILNS1_3genE9ELNS1_11target_archE1100ELNS1_3gpuE3ELNS1_3repE0EEENS1_52radix_sort_onesweep_histogram_config_static_selectorELNS0_4arch9wavefront6targetE0EEEvSD_,"axG",@progbits,_ZN7rocprim17ROCPRIM_400000_NS6detail17trampoline_kernelINS0_14default_configENS1_35radix_sort_onesweep_config_selectorIhNS0_10empty_typeEEEZNS1_34radix_sort_onesweep_global_offsetsIS3_Lb1EPKhPS5_mNS0_19identity_decomposerEEE10hipError_tT1_T2_PT3_SF_jT4_jjP12ihipStream_tbEUlT_E0_NS1_11comp_targetILNS1_3genE9ELNS1_11target_archE1100ELNS1_3gpuE3ELNS1_3repE0EEENS1_52radix_sort_onesweep_histogram_config_static_selectorELNS0_4arch9wavefront6targetE0EEEvSD_,comdat
.Lfunc_end98:
	.size	_ZN7rocprim17ROCPRIM_400000_NS6detail17trampoline_kernelINS0_14default_configENS1_35radix_sort_onesweep_config_selectorIhNS0_10empty_typeEEEZNS1_34radix_sort_onesweep_global_offsetsIS3_Lb1EPKhPS5_mNS0_19identity_decomposerEEE10hipError_tT1_T2_PT3_SF_jT4_jjP12ihipStream_tbEUlT_E0_NS1_11comp_targetILNS1_3genE9ELNS1_11target_archE1100ELNS1_3gpuE3ELNS1_3repE0EEENS1_52radix_sort_onesweep_histogram_config_static_selectorELNS0_4arch9wavefront6targetE0EEEvSD_, .Lfunc_end98-_ZN7rocprim17ROCPRIM_400000_NS6detail17trampoline_kernelINS0_14default_configENS1_35radix_sort_onesweep_config_selectorIhNS0_10empty_typeEEEZNS1_34radix_sort_onesweep_global_offsetsIS3_Lb1EPKhPS5_mNS0_19identity_decomposerEEE10hipError_tT1_T2_PT3_SF_jT4_jjP12ihipStream_tbEUlT_E0_NS1_11comp_targetILNS1_3genE9ELNS1_11target_archE1100ELNS1_3gpuE3ELNS1_3repE0EEENS1_52radix_sort_onesweep_histogram_config_static_selectorELNS0_4arch9wavefront6targetE0EEEvSD_
                                        ; -- End function
	.set _ZN7rocprim17ROCPRIM_400000_NS6detail17trampoline_kernelINS0_14default_configENS1_35radix_sort_onesweep_config_selectorIhNS0_10empty_typeEEEZNS1_34radix_sort_onesweep_global_offsetsIS3_Lb1EPKhPS5_mNS0_19identity_decomposerEEE10hipError_tT1_T2_PT3_SF_jT4_jjP12ihipStream_tbEUlT_E0_NS1_11comp_targetILNS1_3genE9ELNS1_11target_archE1100ELNS1_3gpuE3ELNS1_3repE0EEENS1_52radix_sort_onesweep_histogram_config_static_selectorELNS0_4arch9wavefront6targetE0EEEvSD_.num_vgpr, 0
	.set _ZN7rocprim17ROCPRIM_400000_NS6detail17trampoline_kernelINS0_14default_configENS1_35radix_sort_onesweep_config_selectorIhNS0_10empty_typeEEEZNS1_34radix_sort_onesweep_global_offsetsIS3_Lb1EPKhPS5_mNS0_19identity_decomposerEEE10hipError_tT1_T2_PT3_SF_jT4_jjP12ihipStream_tbEUlT_E0_NS1_11comp_targetILNS1_3genE9ELNS1_11target_archE1100ELNS1_3gpuE3ELNS1_3repE0EEENS1_52radix_sort_onesweep_histogram_config_static_selectorELNS0_4arch9wavefront6targetE0EEEvSD_.num_agpr, 0
	.set _ZN7rocprim17ROCPRIM_400000_NS6detail17trampoline_kernelINS0_14default_configENS1_35radix_sort_onesweep_config_selectorIhNS0_10empty_typeEEEZNS1_34radix_sort_onesweep_global_offsetsIS3_Lb1EPKhPS5_mNS0_19identity_decomposerEEE10hipError_tT1_T2_PT3_SF_jT4_jjP12ihipStream_tbEUlT_E0_NS1_11comp_targetILNS1_3genE9ELNS1_11target_archE1100ELNS1_3gpuE3ELNS1_3repE0EEENS1_52radix_sort_onesweep_histogram_config_static_selectorELNS0_4arch9wavefront6targetE0EEEvSD_.numbered_sgpr, 0
	.set _ZN7rocprim17ROCPRIM_400000_NS6detail17trampoline_kernelINS0_14default_configENS1_35radix_sort_onesweep_config_selectorIhNS0_10empty_typeEEEZNS1_34radix_sort_onesweep_global_offsetsIS3_Lb1EPKhPS5_mNS0_19identity_decomposerEEE10hipError_tT1_T2_PT3_SF_jT4_jjP12ihipStream_tbEUlT_E0_NS1_11comp_targetILNS1_3genE9ELNS1_11target_archE1100ELNS1_3gpuE3ELNS1_3repE0EEENS1_52radix_sort_onesweep_histogram_config_static_selectorELNS0_4arch9wavefront6targetE0EEEvSD_.num_named_barrier, 0
	.set _ZN7rocprim17ROCPRIM_400000_NS6detail17trampoline_kernelINS0_14default_configENS1_35radix_sort_onesweep_config_selectorIhNS0_10empty_typeEEEZNS1_34radix_sort_onesweep_global_offsetsIS3_Lb1EPKhPS5_mNS0_19identity_decomposerEEE10hipError_tT1_T2_PT3_SF_jT4_jjP12ihipStream_tbEUlT_E0_NS1_11comp_targetILNS1_3genE9ELNS1_11target_archE1100ELNS1_3gpuE3ELNS1_3repE0EEENS1_52radix_sort_onesweep_histogram_config_static_selectorELNS0_4arch9wavefront6targetE0EEEvSD_.private_seg_size, 0
	.set _ZN7rocprim17ROCPRIM_400000_NS6detail17trampoline_kernelINS0_14default_configENS1_35radix_sort_onesweep_config_selectorIhNS0_10empty_typeEEEZNS1_34radix_sort_onesweep_global_offsetsIS3_Lb1EPKhPS5_mNS0_19identity_decomposerEEE10hipError_tT1_T2_PT3_SF_jT4_jjP12ihipStream_tbEUlT_E0_NS1_11comp_targetILNS1_3genE9ELNS1_11target_archE1100ELNS1_3gpuE3ELNS1_3repE0EEENS1_52radix_sort_onesweep_histogram_config_static_selectorELNS0_4arch9wavefront6targetE0EEEvSD_.uses_vcc, 0
	.set _ZN7rocprim17ROCPRIM_400000_NS6detail17trampoline_kernelINS0_14default_configENS1_35radix_sort_onesweep_config_selectorIhNS0_10empty_typeEEEZNS1_34radix_sort_onesweep_global_offsetsIS3_Lb1EPKhPS5_mNS0_19identity_decomposerEEE10hipError_tT1_T2_PT3_SF_jT4_jjP12ihipStream_tbEUlT_E0_NS1_11comp_targetILNS1_3genE9ELNS1_11target_archE1100ELNS1_3gpuE3ELNS1_3repE0EEENS1_52radix_sort_onesweep_histogram_config_static_selectorELNS0_4arch9wavefront6targetE0EEEvSD_.uses_flat_scratch, 0
	.set _ZN7rocprim17ROCPRIM_400000_NS6detail17trampoline_kernelINS0_14default_configENS1_35radix_sort_onesweep_config_selectorIhNS0_10empty_typeEEEZNS1_34radix_sort_onesweep_global_offsetsIS3_Lb1EPKhPS5_mNS0_19identity_decomposerEEE10hipError_tT1_T2_PT3_SF_jT4_jjP12ihipStream_tbEUlT_E0_NS1_11comp_targetILNS1_3genE9ELNS1_11target_archE1100ELNS1_3gpuE3ELNS1_3repE0EEENS1_52radix_sort_onesweep_histogram_config_static_selectorELNS0_4arch9wavefront6targetE0EEEvSD_.has_dyn_sized_stack, 0
	.set _ZN7rocprim17ROCPRIM_400000_NS6detail17trampoline_kernelINS0_14default_configENS1_35radix_sort_onesweep_config_selectorIhNS0_10empty_typeEEEZNS1_34radix_sort_onesweep_global_offsetsIS3_Lb1EPKhPS5_mNS0_19identity_decomposerEEE10hipError_tT1_T2_PT3_SF_jT4_jjP12ihipStream_tbEUlT_E0_NS1_11comp_targetILNS1_3genE9ELNS1_11target_archE1100ELNS1_3gpuE3ELNS1_3repE0EEENS1_52radix_sort_onesweep_histogram_config_static_selectorELNS0_4arch9wavefront6targetE0EEEvSD_.has_recursion, 0
	.set _ZN7rocprim17ROCPRIM_400000_NS6detail17trampoline_kernelINS0_14default_configENS1_35radix_sort_onesweep_config_selectorIhNS0_10empty_typeEEEZNS1_34radix_sort_onesweep_global_offsetsIS3_Lb1EPKhPS5_mNS0_19identity_decomposerEEE10hipError_tT1_T2_PT3_SF_jT4_jjP12ihipStream_tbEUlT_E0_NS1_11comp_targetILNS1_3genE9ELNS1_11target_archE1100ELNS1_3gpuE3ELNS1_3repE0EEENS1_52radix_sort_onesweep_histogram_config_static_selectorELNS0_4arch9wavefront6targetE0EEEvSD_.has_indirect_call, 0
	.section	.AMDGPU.csdata,"",@progbits
; Kernel info:
; codeLenInByte = 0
; TotalNumSgprs: 0
; NumVgprs: 0
; ScratchSize: 0
; MemoryBound: 0
; FloatMode: 240
; IeeeMode: 1
; LDSByteSize: 0 bytes/workgroup (compile time only)
; SGPRBlocks: 0
; VGPRBlocks: 0
; NumSGPRsForWavesPerEU: 1
; NumVGPRsForWavesPerEU: 1
; NamedBarCnt: 0
; Occupancy: 16
; WaveLimiterHint : 0
; COMPUTE_PGM_RSRC2:SCRATCH_EN: 0
; COMPUTE_PGM_RSRC2:USER_SGPR: 2
; COMPUTE_PGM_RSRC2:TRAP_HANDLER: 0
; COMPUTE_PGM_RSRC2:TGID_X_EN: 1
; COMPUTE_PGM_RSRC2:TGID_Y_EN: 0
; COMPUTE_PGM_RSRC2:TGID_Z_EN: 0
; COMPUTE_PGM_RSRC2:TIDIG_COMP_CNT: 0
	.section	.text._ZN7rocprim17ROCPRIM_400000_NS6detail17trampoline_kernelINS0_14default_configENS1_35radix_sort_onesweep_config_selectorIhNS0_10empty_typeEEEZNS1_34radix_sort_onesweep_global_offsetsIS3_Lb1EPKhPS5_mNS0_19identity_decomposerEEE10hipError_tT1_T2_PT3_SF_jT4_jjP12ihipStream_tbEUlT_E0_NS1_11comp_targetILNS1_3genE8ELNS1_11target_archE1030ELNS1_3gpuE2ELNS1_3repE0EEENS1_52radix_sort_onesweep_histogram_config_static_selectorELNS0_4arch9wavefront6targetE0EEEvSD_,"axG",@progbits,_ZN7rocprim17ROCPRIM_400000_NS6detail17trampoline_kernelINS0_14default_configENS1_35radix_sort_onesweep_config_selectorIhNS0_10empty_typeEEEZNS1_34radix_sort_onesweep_global_offsetsIS3_Lb1EPKhPS5_mNS0_19identity_decomposerEEE10hipError_tT1_T2_PT3_SF_jT4_jjP12ihipStream_tbEUlT_E0_NS1_11comp_targetILNS1_3genE8ELNS1_11target_archE1030ELNS1_3gpuE2ELNS1_3repE0EEENS1_52radix_sort_onesweep_histogram_config_static_selectorELNS0_4arch9wavefront6targetE0EEEvSD_,comdat
	.protected	_ZN7rocprim17ROCPRIM_400000_NS6detail17trampoline_kernelINS0_14default_configENS1_35radix_sort_onesweep_config_selectorIhNS0_10empty_typeEEEZNS1_34radix_sort_onesweep_global_offsetsIS3_Lb1EPKhPS5_mNS0_19identity_decomposerEEE10hipError_tT1_T2_PT3_SF_jT4_jjP12ihipStream_tbEUlT_E0_NS1_11comp_targetILNS1_3genE8ELNS1_11target_archE1030ELNS1_3gpuE2ELNS1_3repE0EEENS1_52radix_sort_onesweep_histogram_config_static_selectorELNS0_4arch9wavefront6targetE0EEEvSD_ ; -- Begin function _ZN7rocprim17ROCPRIM_400000_NS6detail17trampoline_kernelINS0_14default_configENS1_35radix_sort_onesweep_config_selectorIhNS0_10empty_typeEEEZNS1_34radix_sort_onesweep_global_offsetsIS3_Lb1EPKhPS5_mNS0_19identity_decomposerEEE10hipError_tT1_T2_PT3_SF_jT4_jjP12ihipStream_tbEUlT_E0_NS1_11comp_targetILNS1_3genE8ELNS1_11target_archE1030ELNS1_3gpuE2ELNS1_3repE0EEENS1_52radix_sort_onesweep_histogram_config_static_selectorELNS0_4arch9wavefront6targetE0EEEvSD_
	.globl	_ZN7rocprim17ROCPRIM_400000_NS6detail17trampoline_kernelINS0_14default_configENS1_35radix_sort_onesweep_config_selectorIhNS0_10empty_typeEEEZNS1_34radix_sort_onesweep_global_offsetsIS3_Lb1EPKhPS5_mNS0_19identity_decomposerEEE10hipError_tT1_T2_PT3_SF_jT4_jjP12ihipStream_tbEUlT_E0_NS1_11comp_targetILNS1_3genE8ELNS1_11target_archE1030ELNS1_3gpuE2ELNS1_3repE0EEENS1_52radix_sort_onesweep_histogram_config_static_selectorELNS0_4arch9wavefront6targetE0EEEvSD_
	.p2align	8
	.type	_ZN7rocprim17ROCPRIM_400000_NS6detail17trampoline_kernelINS0_14default_configENS1_35radix_sort_onesweep_config_selectorIhNS0_10empty_typeEEEZNS1_34radix_sort_onesweep_global_offsetsIS3_Lb1EPKhPS5_mNS0_19identity_decomposerEEE10hipError_tT1_T2_PT3_SF_jT4_jjP12ihipStream_tbEUlT_E0_NS1_11comp_targetILNS1_3genE8ELNS1_11target_archE1030ELNS1_3gpuE2ELNS1_3repE0EEENS1_52radix_sort_onesweep_histogram_config_static_selectorELNS0_4arch9wavefront6targetE0EEEvSD_,@function
_ZN7rocprim17ROCPRIM_400000_NS6detail17trampoline_kernelINS0_14default_configENS1_35radix_sort_onesweep_config_selectorIhNS0_10empty_typeEEEZNS1_34radix_sort_onesweep_global_offsetsIS3_Lb1EPKhPS5_mNS0_19identity_decomposerEEE10hipError_tT1_T2_PT3_SF_jT4_jjP12ihipStream_tbEUlT_E0_NS1_11comp_targetILNS1_3genE8ELNS1_11target_archE1030ELNS1_3gpuE2ELNS1_3repE0EEENS1_52radix_sort_onesweep_histogram_config_static_selectorELNS0_4arch9wavefront6targetE0EEEvSD_: ; @_ZN7rocprim17ROCPRIM_400000_NS6detail17trampoline_kernelINS0_14default_configENS1_35radix_sort_onesweep_config_selectorIhNS0_10empty_typeEEEZNS1_34radix_sort_onesweep_global_offsetsIS3_Lb1EPKhPS5_mNS0_19identity_decomposerEEE10hipError_tT1_T2_PT3_SF_jT4_jjP12ihipStream_tbEUlT_E0_NS1_11comp_targetILNS1_3genE8ELNS1_11target_archE1030ELNS1_3gpuE2ELNS1_3repE0EEENS1_52radix_sort_onesweep_histogram_config_static_selectorELNS0_4arch9wavefront6targetE0EEEvSD_
; %bb.0:
	.section	.rodata,"a",@progbits
	.p2align	6, 0x0
	.amdhsa_kernel _ZN7rocprim17ROCPRIM_400000_NS6detail17trampoline_kernelINS0_14default_configENS1_35radix_sort_onesweep_config_selectorIhNS0_10empty_typeEEEZNS1_34radix_sort_onesweep_global_offsetsIS3_Lb1EPKhPS5_mNS0_19identity_decomposerEEE10hipError_tT1_T2_PT3_SF_jT4_jjP12ihipStream_tbEUlT_E0_NS1_11comp_targetILNS1_3genE8ELNS1_11target_archE1030ELNS1_3gpuE2ELNS1_3repE0EEENS1_52radix_sort_onesweep_histogram_config_static_selectorELNS0_4arch9wavefront6targetE0EEEvSD_
		.amdhsa_group_segment_fixed_size 0
		.amdhsa_private_segment_fixed_size 0
		.amdhsa_kernarg_size 8
		.amdhsa_user_sgpr_count 2
		.amdhsa_user_sgpr_dispatch_ptr 0
		.amdhsa_user_sgpr_queue_ptr 0
		.amdhsa_user_sgpr_kernarg_segment_ptr 1
		.amdhsa_user_sgpr_dispatch_id 0
		.amdhsa_user_sgpr_kernarg_preload_length 0
		.amdhsa_user_sgpr_kernarg_preload_offset 0
		.amdhsa_user_sgpr_private_segment_size 0
		.amdhsa_wavefront_size32 1
		.amdhsa_uses_dynamic_stack 0
		.amdhsa_enable_private_segment 0
		.amdhsa_system_sgpr_workgroup_id_x 1
		.amdhsa_system_sgpr_workgroup_id_y 0
		.amdhsa_system_sgpr_workgroup_id_z 0
		.amdhsa_system_sgpr_workgroup_info 0
		.amdhsa_system_vgpr_workitem_id 0
		.amdhsa_next_free_vgpr 1
		.amdhsa_next_free_sgpr 1
		.amdhsa_named_barrier_count 0
		.amdhsa_reserve_vcc 0
		.amdhsa_float_round_mode_32 0
		.amdhsa_float_round_mode_16_64 0
		.amdhsa_float_denorm_mode_32 3
		.amdhsa_float_denorm_mode_16_64 3
		.amdhsa_fp16_overflow 0
		.amdhsa_memory_ordered 1
		.amdhsa_forward_progress 1
		.amdhsa_inst_pref_size 0
		.amdhsa_round_robin_scheduling 0
		.amdhsa_exception_fp_ieee_invalid_op 0
		.amdhsa_exception_fp_denorm_src 0
		.amdhsa_exception_fp_ieee_div_zero 0
		.amdhsa_exception_fp_ieee_overflow 0
		.amdhsa_exception_fp_ieee_underflow 0
		.amdhsa_exception_fp_ieee_inexact 0
		.amdhsa_exception_int_div_zero 0
	.end_amdhsa_kernel
	.section	.text._ZN7rocprim17ROCPRIM_400000_NS6detail17trampoline_kernelINS0_14default_configENS1_35radix_sort_onesweep_config_selectorIhNS0_10empty_typeEEEZNS1_34radix_sort_onesweep_global_offsetsIS3_Lb1EPKhPS5_mNS0_19identity_decomposerEEE10hipError_tT1_T2_PT3_SF_jT4_jjP12ihipStream_tbEUlT_E0_NS1_11comp_targetILNS1_3genE8ELNS1_11target_archE1030ELNS1_3gpuE2ELNS1_3repE0EEENS1_52radix_sort_onesweep_histogram_config_static_selectorELNS0_4arch9wavefront6targetE0EEEvSD_,"axG",@progbits,_ZN7rocprim17ROCPRIM_400000_NS6detail17trampoline_kernelINS0_14default_configENS1_35radix_sort_onesweep_config_selectorIhNS0_10empty_typeEEEZNS1_34radix_sort_onesweep_global_offsetsIS3_Lb1EPKhPS5_mNS0_19identity_decomposerEEE10hipError_tT1_T2_PT3_SF_jT4_jjP12ihipStream_tbEUlT_E0_NS1_11comp_targetILNS1_3genE8ELNS1_11target_archE1030ELNS1_3gpuE2ELNS1_3repE0EEENS1_52radix_sort_onesweep_histogram_config_static_selectorELNS0_4arch9wavefront6targetE0EEEvSD_,comdat
.Lfunc_end99:
	.size	_ZN7rocprim17ROCPRIM_400000_NS6detail17trampoline_kernelINS0_14default_configENS1_35radix_sort_onesweep_config_selectorIhNS0_10empty_typeEEEZNS1_34radix_sort_onesweep_global_offsetsIS3_Lb1EPKhPS5_mNS0_19identity_decomposerEEE10hipError_tT1_T2_PT3_SF_jT4_jjP12ihipStream_tbEUlT_E0_NS1_11comp_targetILNS1_3genE8ELNS1_11target_archE1030ELNS1_3gpuE2ELNS1_3repE0EEENS1_52radix_sort_onesweep_histogram_config_static_selectorELNS0_4arch9wavefront6targetE0EEEvSD_, .Lfunc_end99-_ZN7rocprim17ROCPRIM_400000_NS6detail17trampoline_kernelINS0_14default_configENS1_35radix_sort_onesweep_config_selectorIhNS0_10empty_typeEEEZNS1_34radix_sort_onesweep_global_offsetsIS3_Lb1EPKhPS5_mNS0_19identity_decomposerEEE10hipError_tT1_T2_PT3_SF_jT4_jjP12ihipStream_tbEUlT_E0_NS1_11comp_targetILNS1_3genE8ELNS1_11target_archE1030ELNS1_3gpuE2ELNS1_3repE0EEENS1_52radix_sort_onesweep_histogram_config_static_selectorELNS0_4arch9wavefront6targetE0EEEvSD_
                                        ; -- End function
	.set _ZN7rocprim17ROCPRIM_400000_NS6detail17trampoline_kernelINS0_14default_configENS1_35radix_sort_onesweep_config_selectorIhNS0_10empty_typeEEEZNS1_34radix_sort_onesweep_global_offsetsIS3_Lb1EPKhPS5_mNS0_19identity_decomposerEEE10hipError_tT1_T2_PT3_SF_jT4_jjP12ihipStream_tbEUlT_E0_NS1_11comp_targetILNS1_3genE8ELNS1_11target_archE1030ELNS1_3gpuE2ELNS1_3repE0EEENS1_52radix_sort_onesweep_histogram_config_static_selectorELNS0_4arch9wavefront6targetE0EEEvSD_.num_vgpr, 0
	.set _ZN7rocprim17ROCPRIM_400000_NS6detail17trampoline_kernelINS0_14default_configENS1_35radix_sort_onesweep_config_selectorIhNS0_10empty_typeEEEZNS1_34radix_sort_onesweep_global_offsetsIS3_Lb1EPKhPS5_mNS0_19identity_decomposerEEE10hipError_tT1_T2_PT3_SF_jT4_jjP12ihipStream_tbEUlT_E0_NS1_11comp_targetILNS1_3genE8ELNS1_11target_archE1030ELNS1_3gpuE2ELNS1_3repE0EEENS1_52radix_sort_onesweep_histogram_config_static_selectorELNS0_4arch9wavefront6targetE0EEEvSD_.num_agpr, 0
	.set _ZN7rocprim17ROCPRIM_400000_NS6detail17trampoline_kernelINS0_14default_configENS1_35radix_sort_onesweep_config_selectorIhNS0_10empty_typeEEEZNS1_34radix_sort_onesweep_global_offsetsIS3_Lb1EPKhPS5_mNS0_19identity_decomposerEEE10hipError_tT1_T2_PT3_SF_jT4_jjP12ihipStream_tbEUlT_E0_NS1_11comp_targetILNS1_3genE8ELNS1_11target_archE1030ELNS1_3gpuE2ELNS1_3repE0EEENS1_52radix_sort_onesweep_histogram_config_static_selectorELNS0_4arch9wavefront6targetE0EEEvSD_.numbered_sgpr, 0
	.set _ZN7rocprim17ROCPRIM_400000_NS6detail17trampoline_kernelINS0_14default_configENS1_35radix_sort_onesweep_config_selectorIhNS0_10empty_typeEEEZNS1_34radix_sort_onesweep_global_offsetsIS3_Lb1EPKhPS5_mNS0_19identity_decomposerEEE10hipError_tT1_T2_PT3_SF_jT4_jjP12ihipStream_tbEUlT_E0_NS1_11comp_targetILNS1_3genE8ELNS1_11target_archE1030ELNS1_3gpuE2ELNS1_3repE0EEENS1_52radix_sort_onesweep_histogram_config_static_selectorELNS0_4arch9wavefront6targetE0EEEvSD_.num_named_barrier, 0
	.set _ZN7rocprim17ROCPRIM_400000_NS6detail17trampoline_kernelINS0_14default_configENS1_35radix_sort_onesweep_config_selectorIhNS0_10empty_typeEEEZNS1_34radix_sort_onesweep_global_offsetsIS3_Lb1EPKhPS5_mNS0_19identity_decomposerEEE10hipError_tT1_T2_PT3_SF_jT4_jjP12ihipStream_tbEUlT_E0_NS1_11comp_targetILNS1_3genE8ELNS1_11target_archE1030ELNS1_3gpuE2ELNS1_3repE0EEENS1_52radix_sort_onesweep_histogram_config_static_selectorELNS0_4arch9wavefront6targetE0EEEvSD_.private_seg_size, 0
	.set _ZN7rocprim17ROCPRIM_400000_NS6detail17trampoline_kernelINS0_14default_configENS1_35radix_sort_onesweep_config_selectorIhNS0_10empty_typeEEEZNS1_34radix_sort_onesweep_global_offsetsIS3_Lb1EPKhPS5_mNS0_19identity_decomposerEEE10hipError_tT1_T2_PT3_SF_jT4_jjP12ihipStream_tbEUlT_E0_NS1_11comp_targetILNS1_3genE8ELNS1_11target_archE1030ELNS1_3gpuE2ELNS1_3repE0EEENS1_52radix_sort_onesweep_histogram_config_static_selectorELNS0_4arch9wavefront6targetE0EEEvSD_.uses_vcc, 0
	.set _ZN7rocprim17ROCPRIM_400000_NS6detail17trampoline_kernelINS0_14default_configENS1_35radix_sort_onesweep_config_selectorIhNS0_10empty_typeEEEZNS1_34radix_sort_onesweep_global_offsetsIS3_Lb1EPKhPS5_mNS0_19identity_decomposerEEE10hipError_tT1_T2_PT3_SF_jT4_jjP12ihipStream_tbEUlT_E0_NS1_11comp_targetILNS1_3genE8ELNS1_11target_archE1030ELNS1_3gpuE2ELNS1_3repE0EEENS1_52radix_sort_onesweep_histogram_config_static_selectorELNS0_4arch9wavefront6targetE0EEEvSD_.uses_flat_scratch, 0
	.set _ZN7rocprim17ROCPRIM_400000_NS6detail17trampoline_kernelINS0_14default_configENS1_35radix_sort_onesweep_config_selectorIhNS0_10empty_typeEEEZNS1_34radix_sort_onesweep_global_offsetsIS3_Lb1EPKhPS5_mNS0_19identity_decomposerEEE10hipError_tT1_T2_PT3_SF_jT4_jjP12ihipStream_tbEUlT_E0_NS1_11comp_targetILNS1_3genE8ELNS1_11target_archE1030ELNS1_3gpuE2ELNS1_3repE0EEENS1_52radix_sort_onesweep_histogram_config_static_selectorELNS0_4arch9wavefront6targetE0EEEvSD_.has_dyn_sized_stack, 0
	.set _ZN7rocprim17ROCPRIM_400000_NS6detail17trampoline_kernelINS0_14default_configENS1_35radix_sort_onesweep_config_selectorIhNS0_10empty_typeEEEZNS1_34radix_sort_onesweep_global_offsetsIS3_Lb1EPKhPS5_mNS0_19identity_decomposerEEE10hipError_tT1_T2_PT3_SF_jT4_jjP12ihipStream_tbEUlT_E0_NS1_11comp_targetILNS1_3genE8ELNS1_11target_archE1030ELNS1_3gpuE2ELNS1_3repE0EEENS1_52radix_sort_onesweep_histogram_config_static_selectorELNS0_4arch9wavefront6targetE0EEEvSD_.has_recursion, 0
	.set _ZN7rocprim17ROCPRIM_400000_NS6detail17trampoline_kernelINS0_14default_configENS1_35radix_sort_onesweep_config_selectorIhNS0_10empty_typeEEEZNS1_34radix_sort_onesweep_global_offsetsIS3_Lb1EPKhPS5_mNS0_19identity_decomposerEEE10hipError_tT1_T2_PT3_SF_jT4_jjP12ihipStream_tbEUlT_E0_NS1_11comp_targetILNS1_3genE8ELNS1_11target_archE1030ELNS1_3gpuE2ELNS1_3repE0EEENS1_52radix_sort_onesweep_histogram_config_static_selectorELNS0_4arch9wavefront6targetE0EEEvSD_.has_indirect_call, 0
	.section	.AMDGPU.csdata,"",@progbits
; Kernel info:
; codeLenInByte = 0
; TotalNumSgprs: 0
; NumVgprs: 0
; ScratchSize: 0
; MemoryBound: 0
; FloatMode: 240
; IeeeMode: 1
; LDSByteSize: 0 bytes/workgroup (compile time only)
; SGPRBlocks: 0
; VGPRBlocks: 0
; NumSGPRsForWavesPerEU: 1
; NumVGPRsForWavesPerEU: 1
; NamedBarCnt: 0
; Occupancy: 16
; WaveLimiterHint : 0
; COMPUTE_PGM_RSRC2:SCRATCH_EN: 0
; COMPUTE_PGM_RSRC2:USER_SGPR: 2
; COMPUTE_PGM_RSRC2:TRAP_HANDLER: 0
; COMPUTE_PGM_RSRC2:TGID_X_EN: 1
; COMPUTE_PGM_RSRC2:TGID_Y_EN: 0
; COMPUTE_PGM_RSRC2:TGID_Z_EN: 0
; COMPUTE_PGM_RSRC2:TIDIG_COMP_CNT: 0
	.section	.text._ZN7rocprim17ROCPRIM_400000_NS6detail17trampoline_kernelINS0_14default_configENS1_25transform_config_selectorIhLb1EEEZNS1_14transform_implILb1ES3_S5_PKhPhNS0_8identityIhEEEE10hipError_tT2_T3_mT4_P12ihipStream_tbEUlT_E_NS1_11comp_targetILNS1_3genE0ELNS1_11target_archE4294967295ELNS1_3gpuE0ELNS1_3repE0EEENS1_30default_config_static_selectorELNS0_4arch9wavefront6targetE0EEEvT1_,"axG",@progbits,_ZN7rocprim17ROCPRIM_400000_NS6detail17trampoline_kernelINS0_14default_configENS1_25transform_config_selectorIhLb1EEEZNS1_14transform_implILb1ES3_S5_PKhPhNS0_8identityIhEEEE10hipError_tT2_T3_mT4_P12ihipStream_tbEUlT_E_NS1_11comp_targetILNS1_3genE0ELNS1_11target_archE4294967295ELNS1_3gpuE0ELNS1_3repE0EEENS1_30default_config_static_selectorELNS0_4arch9wavefront6targetE0EEEvT1_,comdat
	.protected	_ZN7rocprim17ROCPRIM_400000_NS6detail17trampoline_kernelINS0_14default_configENS1_25transform_config_selectorIhLb1EEEZNS1_14transform_implILb1ES3_S5_PKhPhNS0_8identityIhEEEE10hipError_tT2_T3_mT4_P12ihipStream_tbEUlT_E_NS1_11comp_targetILNS1_3genE0ELNS1_11target_archE4294967295ELNS1_3gpuE0ELNS1_3repE0EEENS1_30default_config_static_selectorELNS0_4arch9wavefront6targetE0EEEvT1_ ; -- Begin function _ZN7rocprim17ROCPRIM_400000_NS6detail17trampoline_kernelINS0_14default_configENS1_25transform_config_selectorIhLb1EEEZNS1_14transform_implILb1ES3_S5_PKhPhNS0_8identityIhEEEE10hipError_tT2_T3_mT4_P12ihipStream_tbEUlT_E_NS1_11comp_targetILNS1_3genE0ELNS1_11target_archE4294967295ELNS1_3gpuE0ELNS1_3repE0EEENS1_30default_config_static_selectorELNS0_4arch9wavefront6targetE0EEEvT1_
	.globl	_ZN7rocprim17ROCPRIM_400000_NS6detail17trampoline_kernelINS0_14default_configENS1_25transform_config_selectorIhLb1EEEZNS1_14transform_implILb1ES3_S5_PKhPhNS0_8identityIhEEEE10hipError_tT2_T3_mT4_P12ihipStream_tbEUlT_E_NS1_11comp_targetILNS1_3genE0ELNS1_11target_archE4294967295ELNS1_3gpuE0ELNS1_3repE0EEENS1_30default_config_static_selectorELNS0_4arch9wavefront6targetE0EEEvT1_
	.p2align	8
	.type	_ZN7rocprim17ROCPRIM_400000_NS6detail17trampoline_kernelINS0_14default_configENS1_25transform_config_selectorIhLb1EEEZNS1_14transform_implILb1ES3_S5_PKhPhNS0_8identityIhEEEE10hipError_tT2_T3_mT4_P12ihipStream_tbEUlT_E_NS1_11comp_targetILNS1_3genE0ELNS1_11target_archE4294967295ELNS1_3gpuE0ELNS1_3repE0EEENS1_30default_config_static_selectorELNS0_4arch9wavefront6targetE0EEEvT1_,@function
_ZN7rocprim17ROCPRIM_400000_NS6detail17trampoline_kernelINS0_14default_configENS1_25transform_config_selectorIhLb1EEEZNS1_14transform_implILb1ES3_S5_PKhPhNS0_8identityIhEEEE10hipError_tT2_T3_mT4_P12ihipStream_tbEUlT_E_NS1_11comp_targetILNS1_3genE0ELNS1_11target_archE4294967295ELNS1_3gpuE0ELNS1_3repE0EEENS1_30default_config_static_selectorELNS0_4arch9wavefront6targetE0EEEvT1_: ; @_ZN7rocprim17ROCPRIM_400000_NS6detail17trampoline_kernelINS0_14default_configENS1_25transform_config_selectorIhLb1EEEZNS1_14transform_implILb1ES3_S5_PKhPhNS0_8identityIhEEEE10hipError_tT2_T3_mT4_P12ihipStream_tbEUlT_E_NS1_11comp_targetILNS1_3genE0ELNS1_11target_archE4294967295ELNS1_3gpuE0ELNS1_3repE0EEENS1_30default_config_static_selectorELNS0_4arch9wavefront6targetE0EEEvT1_
; %bb.0:
	s_clause 0x1
	s_load_b256 s[4:11], s[0:1], 0x0
	s_load_b32 s3, s[0:1], 0x28
	s_wait_xcnt 0x0
	s_bfe_u32 s0, ttmp6, 0x4000c
	s_and_b32 s1, ttmp6, 15
	s_add_co_i32 s0, s0, 1
	s_getreg_b32 s2, hwreg(HW_REG_IB_STS2, 6, 4)
	s_mul_i32 s0, ttmp9, s0
	s_delay_alu instid0(SALU_CYCLE_1)
	s_add_co_i32 s0, s1, s0
	s_cmp_eq_u32 s2, 0
	s_mov_b32 s1, 0
	s_wait_kmcnt 0x0
	s_cselect_b32 s9, ttmp9, s0
	s_mov_b32 s2, -1
	s_lshl_b32 s0, s9, 10
	s_add_nc_u64 s[4:5], s[4:5], s[6:7]
	s_add_nc_u64 s[6:7], s[10:11], s[6:7]
	s_add_co_i32 s3, s3, -1
	s_add_nc_u64 s[12:13], s[4:5], s[0:1]
	s_cmp_lg_u32 s9, s3
	s_add_nc_u64 s[10:11], s[6:7], s[0:1]
	s_cbranch_scc0 .LBB100_2
; %bb.1:
	global_load_b64 v[2:3], v0, s[12:13] scale_offset th:TH_LOAD_NT
	s_mov_b32 s2, 0
	s_wait_loadcnt 0x0
	global_store_b64 v0, v[2:3], s[10:11] scale_offset
.LBB100_2:
	s_and_not1_b32 vcc_lo, exec_lo, s2
	s_cbranch_vccnz .LBB100_33
; %bb.3:
	s_sub_co_i32 s7, s8, s0
	v_dual_mov_b32 v4, 0 :: v_dual_mov_b32 v5, 0
	v_cmp_gt_u32_e32 vcc_lo, s7, v0
	v_dual_mov_b32 v10, 0 :: v_dual_mov_b32 v6, 0
	v_dual_mov_b32 v7, 0 :: v_dual_mov_b32 v8, 0
	v_mov_b32_e32 v9, 0
	s_wait_xcnt 0x0
	s_and_saveexec_b32 s0, vcc_lo
	s_cbranch_execz .LBB100_5
; %bb.4:
	global_load_u8 v5, v0, s[12:13]
	v_dual_mov_b32 v10, 0 :: v_dual_mov_b32 v6, 0
	v_dual_mov_b32 v7, 0 :: v_dual_mov_b32 v8, 0
	v_mov_b32_e32 v9, 0
.LBB100_5:
	s_wait_xcnt 0x0
	s_or_b32 exec_lo, exec_lo, s0
	v_or_b32_e32 v1, 0x80, v0
	v_mov_b32_e32 v11, v4
	s_delay_alu instid0(VALU_DEP_2)
	v_cmp_gt_u32_e64 s0, s7, v1
	s_and_saveexec_b32 s1, s0
	s_cbranch_execz .LBB100_7
; %bb.6:
	global_load_u8 v11, v0, s[12:13] offset:128
.LBB100_7:
	s_wait_xcnt 0x0
	s_or_b32 exec_lo, exec_lo, s1
	v_or_b32_e32 v1, 0x100, v0
	s_delay_alu instid0(VALU_DEP_1)
	v_cmp_gt_u32_e64 s1, s7, v1
	s_and_saveexec_b32 s2, s1
	s_cbranch_execz .LBB100_9
; %bb.8:
	global_load_u8 v4, v0, s[12:13] offset:256
.LBB100_9:
	s_wait_xcnt 0x0
	s_or_b32 exec_lo, exec_lo, s2
	v_or_b32_e32 v1, 0x180, v0
	s_delay_alu instid0(VALU_DEP_1)
	;; [unrolled: 10-line block ×5, first 2 shown]
	v_cmp_gt_u32_e64 s5, s7, v1
	s_and_saveexec_b32 s6, s5
	s_cbranch_execz .LBB100_17
; %bb.16:
	global_load_u8 v8, v0, s[12:13] offset:768
.LBB100_17:
	s_wait_xcnt 0x0
	s_or_b32 exec_lo, exec_lo, s6
	v_or_b32_e32 v1, 0x380, v0
	s_delay_alu instid0(VALU_DEP_1) | instskip(SKIP_3) | instid1(SALU_CYCLE_1)
	v_cmp_gt_u32_e64 s6, s7, v1
	v_cmp_le_u32_e64 s7, s7, v1
	v_mov_b32_e32 v1, 0
	s_and_saveexec_b32 s8, s7
	s_xor_b32 s7, exec_lo, s8
	s_delay_alu instid0(SALU_CYCLE_1)
	s_and_not1_saveexec_b32 s7, s7
	s_cbranch_execz .LBB100_19
; %bb.18:
	v_add_nc_u64_e32 v[2:3], s[12:13], v[0:1]
	global_load_u8 v9, v[2:3], off offset:896
.LBB100_19:
	s_wait_xcnt 0x0
	s_or_b32 exec_lo, exec_lo, s7
	s_wait_loadcnt 0x0
	v_and_b32_e32 v2, 0xff, v5
	v_add_nc_u64_e32 v[0:1], s[10:11], v[0:1]
	s_delay_alu instid0(VALU_DEP_2) | instskip(NEXT) | instid1(VALU_DEP_1)
	v_and_b32_e32 v2, 0xffff, v2
	v_dual_mov_b32 v3, 0 :: v_dual_cndmask_b32 v2, 0, v2
	s_and_saveexec_b32 s7, vcc_lo
	s_cbranch_execz .LBB100_21
; %bb.20:
	global_store_b8 v[0:1], v2, off
.LBB100_21:
	s_wait_xcnt 0x0
	s_or_b32 exec_lo, exec_lo, s7
	v_perm_b32 v5, v5, v11, 0xc0c0004
	v_perm_b32 v4, v4, v10, 0xc0c0004
	s_delay_alu instid0(VALU_DEP_1) | instskip(NEXT) | instid1(VALU_DEP_1)
	v_lshl_or_b32 v10, v4, 16, v5
	v_cndmask_b32_e64 v4, v2, v10, s0
	s_delay_alu instid0(VALU_DEP_1)
	v_lshrrev_b32_e32 v11, 8, v4
	s_and_saveexec_b32 s7, s0
	s_cbranch_execz .LBB100_23
; %bb.22:
	global_store_b8 v[0:1], v11, off offset:128
.LBB100_23:
	s_wait_xcnt 0x0
	s_or_b32 exec_lo, exec_lo, s7
	v_bitop3_b16 v4, v2, v4, 0xff00 bitop3:0xf8
	s_delay_alu instid0(VALU_DEP_1) | instskip(SKIP_1) | instid1(VALU_DEP_2)
	v_and_b32_e32 v12, 0xffff, v4
	v_lshrrev_b64 v[4:5], 24, v[2:3]
	v_cndmask_b32_e64 v3, v12, v10, s1
	s_and_saveexec_b32 s0, s1
	s_cbranch_execz .LBB100_25
; %bb.24:
	global_store_d16_hi_b8 v[0:1], v3, off offset:256
.LBB100_25:
	s_wait_xcnt 0x0
	s_or_b32 exec_lo, exec_lo, s0
	v_lshlrev_b16 v5, 8, v11
	v_perm_b32 v3, v3, v4, 0xc0c0006
	v_perm_b32 v4, v6, v7, 0xc0c0004
	s_delay_alu instid0(VALU_DEP_3) | instskip(NEXT) | instid1(VALU_DEP_1)
	v_or_b32_e32 v2, v2, v5
	v_and_b32_e32 v2, 0xffff, v2
	s_delay_alu instid0(VALU_DEP_1) | instskip(SKIP_1) | instid1(VALU_DEP_2)
	v_lshl_or_b32 v2, v3, 16, v2
	v_perm_b32 v3, v8, v9, 0xc0c0004
	v_cndmask_b32_e64 v2, v2, v10, s2
	s_delay_alu instid0(VALU_DEP_2)
	v_lshl_or_b32 v3, v3, 16, v4
	s_and_saveexec_b32 s0, s2
	s_cbranch_execz .LBB100_27
; %bb.26:
	s_delay_alu instid0(VALU_DEP_2)
	v_lshrrev_b32_e32 v2, 24, v2
	global_store_b8 v[0:1], v2, off offset:384
.LBB100_27:
	s_wait_xcnt 0x0
	s_or_b32 exec_lo, exec_lo, s0
	v_cndmask_b32_e64 v2, 0, v3, s3
	s_and_saveexec_b32 s0, s3
	s_cbranch_execz .LBB100_29
; %bb.28:
	global_store_b8 v[0:1], v2, off offset:512
.LBB100_29:
	s_wait_xcnt 0x0
	s_or_b32 exec_lo, exec_lo, s0
	v_and_b32_e32 v4, 0xff, v2
	s_delay_alu instid0(VALU_DEP_1) | instskip(NEXT) | instid1(VALU_DEP_1)
	v_cndmask_b32_e64 v4, v4, v3, s4
	v_lshrrev_b32_e32 v4, 8, v4
	s_and_saveexec_b32 s0, s4
	s_cbranch_execnz .LBB100_34
; %bb.30:
	s_or_b32 exec_lo, exec_lo, s0
	s_delay_alu instid0(VALU_DEP_1)
	v_perm_b32 v2, v2, v4, 0xc0c0004
	s_and_saveexec_b32 s0, s5
	s_cbranch_execnz .LBB100_35
.LBB100_31:
	s_or_b32 exec_lo, exec_lo, s0
	s_and_saveexec_b32 s0, s6
	s_cbranch_execz .LBB100_33
.LBB100_32:
	v_cndmask_b32_e64 v2, v2, v3, s6
	s_delay_alu instid0(VALU_DEP_1)
	v_lshrrev_b32_e32 v2, 24, v2
	global_store_b8 v[0:1], v2, off offset:896
.LBB100_33:
	s_endpgm
.LBB100_34:
	global_store_b8 v[0:1], v4, off offset:640
	s_wait_xcnt 0x0
	s_or_b32 exec_lo, exec_lo, s0
	v_perm_b32 v2, v2, v4, 0xc0c0004
	s_and_saveexec_b32 s0, s5
	s_cbranch_execz .LBB100_31
.LBB100_35:
	s_delay_alu instid0(VALU_DEP_1)
	v_cndmask_b32_e64 v4, v2, v3, s5
	global_store_d16_hi_b8 v[0:1], v4, off offset:768
	s_wait_xcnt 0x0
	s_or_b32 exec_lo, exec_lo, s0
	s_and_saveexec_b32 s0, s6
	s_cbranch_execnz .LBB100_32
	s_branch .LBB100_33
	.section	.rodata,"a",@progbits
	.p2align	6, 0x0
	.amdhsa_kernel _ZN7rocprim17ROCPRIM_400000_NS6detail17trampoline_kernelINS0_14default_configENS1_25transform_config_selectorIhLb1EEEZNS1_14transform_implILb1ES3_S5_PKhPhNS0_8identityIhEEEE10hipError_tT2_T3_mT4_P12ihipStream_tbEUlT_E_NS1_11comp_targetILNS1_3genE0ELNS1_11target_archE4294967295ELNS1_3gpuE0ELNS1_3repE0EEENS1_30default_config_static_selectorELNS0_4arch9wavefront6targetE0EEEvT1_
		.amdhsa_group_segment_fixed_size 0
		.amdhsa_private_segment_fixed_size 0
		.amdhsa_kernarg_size 296
		.amdhsa_user_sgpr_count 2
		.amdhsa_user_sgpr_dispatch_ptr 0
		.amdhsa_user_sgpr_queue_ptr 0
		.amdhsa_user_sgpr_kernarg_segment_ptr 1
		.amdhsa_user_sgpr_dispatch_id 0
		.amdhsa_user_sgpr_kernarg_preload_length 0
		.amdhsa_user_sgpr_kernarg_preload_offset 0
		.amdhsa_user_sgpr_private_segment_size 0
		.amdhsa_wavefront_size32 1
		.amdhsa_uses_dynamic_stack 0
		.amdhsa_enable_private_segment 0
		.amdhsa_system_sgpr_workgroup_id_x 1
		.amdhsa_system_sgpr_workgroup_id_y 0
		.amdhsa_system_sgpr_workgroup_id_z 0
		.amdhsa_system_sgpr_workgroup_info 0
		.amdhsa_system_vgpr_workitem_id 0
		.amdhsa_next_free_vgpr 13
		.amdhsa_next_free_sgpr 14
		.amdhsa_named_barrier_count 0
		.amdhsa_reserve_vcc 1
		.amdhsa_float_round_mode_32 0
		.amdhsa_float_round_mode_16_64 0
		.amdhsa_float_denorm_mode_32 3
		.amdhsa_float_denorm_mode_16_64 3
		.amdhsa_fp16_overflow 0
		.amdhsa_memory_ordered 1
		.amdhsa_forward_progress 1
		.amdhsa_inst_pref_size 10
		.amdhsa_round_robin_scheduling 0
		.amdhsa_exception_fp_ieee_invalid_op 0
		.amdhsa_exception_fp_denorm_src 0
		.amdhsa_exception_fp_ieee_div_zero 0
		.amdhsa_exception_fp_ieee_overflow 0
		.amdhsa_exception_fp_ieee_underflow 0
		.amdhsa_exception_fp_ieee_inexact 0
		.amdhsa_exception_int_div_zero 0
	.end_amdhsa_kernel
	.section	.text._ZN7rocprim17ROCPRIM_400000_NS6detail17trampoline_kernelINS0_14default_configENS1_25transform_config_selectorIhLb1EEEZNS1_14transform_implILb1ES3_S5_PKhPhNS0_8identityIhEEEE10hipError_tT2_T3_mT4_P12ihipStream_tbEUlT_E_NS1_11comp_targetILNS1_3genE0ELNS1_11target_archE4294967295ELNS1_3gpuE0ELNS1_3repE0EEENS1_30default_config_static_selectorELNS0_4arch9wavefront6targetE0EEEvT1_,"axG",@progbits,_ZN7rocprim17ROCPRIM_400000_NS6detail17trampoline_kernelINS0_14default_configENS1_25transform_config_selectorIhLb1EEEZNS1_14transform_implILb1ES3_S5_PKhPhNS0_8identityIhEEEE10hipError_tT2_T3_mT4_P12ihipStream_tbEUlT_E_NS1_11comp_targetILNS1_3genE0ELNS1_11target_archE4294967295ELNS1_3gpuE0ELNS1_3repE0EEENS1_30default_config_static_selectorELNS0_4arch9wavefront6targetE0EEEvT1_,comdat
.Lfunc_end100:
	.size	_ZN7rocprim17ROCPRIM_400000_NS6detail17trampoline_kernelINS0_14default_configENS1_25transform_config_selectorIhLb1EEEZNS1_14transform_implILb1ES3_S5_PKhPhNS0_8identityIhEEEE10hipError_tT2_T3_mT4_P12ihipStream_tbEUlT_E_NS1_11comp_targetILNS1_3genE0ELNS1_11target_archE4294967295ELNS1_3gpuE0ELNS1_3repE0EEENS1_30default_config_static_selectorELNS0_4arch9wavefront6targetE0EEEvT1_, .Lfunc_end100-_ZN7rocprim17ROCPRIM_400000_NS6detail17trampoline_kernelINS0_14default_configENS1_25transform_config_selectorIhLb1EEEZNS1_14transform_implILb1ES3_S5_PKhPhNS0_8identityIhEEEE10hipError_tT2_T3_mT4_P12ihipStream_tbEUlT_E_NS1_11comp_targetILNS1_3genE0ELNS1_11target_archE4294967295ELNS1_3gpuE0ELNS1_3repE0EEENS1_30default_config_static_selectorELNS0_4arch9wavefront6targetE0EEEvT1_
                                        ; -- End function
	.set _ZN7rocprim17ROCPRIM_400000_NS6detail17trampoline_kernelINS0_14default_configENS1_25transform_config_selectorIhLb1EEEZNS1_14transform_implILb1ES3_S5_PKhPhNS0_8identityIhEEEE10hipError_tT2_T3_mT4_P12ihipStream_tbEUlT_E_NS1_11comp_targetILNS1_3genE0ELNS1_11target_archE4294967295ELNS1_3gpuE0ELNS1_3repE0EEENS1_30default_config_static_selectorELNS0_4arch9wavefront6targetE0EEEvT1_.num_vgpr, 13
	.set _ZN7rocprim17ROCPRIM_400000_NS6detail17trampoline_kernelINS0_14default_configENS1_25transform_config_selectorIhLb1EEEZNS1_14transform_implILb1ES3_S5_PKhPhNS0_8identityIhEEEE10hipError_tT2_T3_mT4_P12ihipStream_tbEUlT_E_NS1_11comp_targetILNS1_3genE0ELNS1_11target_archE4294967295ELNS1_3gpuE0ELNS1_3repE0EEENS1_30default_config_static_selectorELNS0_4arch9wavefront6targetE0EEEvT1_.num_agpr, 0
	.set _ZN7rocprim17ROCPRIM_400000_NS6detail17trampoline_kernelINS0_14default_configENS1_25transform_config_selectorIhLb1EEEZNS1_14transform_implILb1ES3_S5_PKhPhNS0_8identityIhEEEE10hipError_tT2_T3_mT4_P12ihipStream_tbEUlT_E_NS1_11comp_targetILNS1_3genE0ELNS1_11target_archE4294967295ELNS1_3gpuE0ELNS1_3repE0EEENS1_30default_config_static_selectorELNS0_4arch9wavefront6targetE0EEEvT1_.numbered_sgpr, 14
	.set _ZN7rocprim17ROCPRIM_400000_NS6detail17trampoline_kernelINS0_14default_configENS1_25transform_config_selectorIhLb1EEEZNS1_14transform_implILb1ES3_S5_PKhPhNS0_8identityIhEEEE10hipError_tT2_T3_mT4_P12ihipStream_tbEUlT_E_NS1_11comp_targetILNS1_3genE0ELNS1_11target_archE4294967295ELNS1_3gpuE0ELNS1_3repE0EEENS1_30default_config_static_selectorELNS0_4arch9wavefront6targetE0EEEvT1_.num_named_barrier, 0
	.set _ZN7rocprim17ROCPRIM_400000_NS6detail17trampoline_kernelINS0_14default_configENS1_25transform_config_selectorIhLb1EEEZNS1_14transform_implILb1ES3_S5_PKhPhNS0_8identityIhEEEE10hipError_tT2_T3_mT4_P12ihipStream_tbEUlT_E_NS1_11comp_targetILNS1_3genE0ELNS1_11target_archE4294967295ELNS1_3gpuE0ELNS1_3repE0EEENS1_30default_config_static_selectorELNS0_4arch9wavefront6targetE0EEEvT1_.private_seg_size, 0
	.set _ZN7rocprim17ROCPRIM_400000_NS6detail17trampoline_kernelINS0_14default_configENS1_25transform_config_selectorIhLb1EEEZNS1_14transform_implILb1ES3_S5_PKhPhNS0_8identityIhEEEE10hipError_tT2_T3_mT4_P12ihipStream_tbEUlT_E_NS1_11comp_targetILNS1_3genE0ELNS1_11target_archE4294967295ELNS1_3gpuE0ELNS1_3repE0EEENS1_30default_config_static_selectorELNS0_4arch9wavefront6targetE0EEEvT1_.uses_vcc, 1
	.set _ZN7rocprim17ROCPRIM_400000_NS6detail17trampoline_kernelINS0_14default_configENS1_25transform_config_selectorIhLb1EEEZNS1_14transform_implILb1ES3_S5_PKhPhNS0_8identityIhEEEE10hipError_tT2_T3_mT4_P12ihipStream_tbEUlT_E_NS1_11comp_targetILNS1_3genE0ELNS1_11target_archE4294967295ELNS1_3gpuE0ELNS1_3repE0EEENS1_30default_config_static_selectorELNS0_4arch9wavefront6targetE0EEEvT1_.uses_flat_scratch, 0
	.set _ZN7rocprim17ROCPRIM_400000_NS6detail17trampoline_kernelINS0_14default_configENS1_25transform_config_selectorIhLb1EEEZNS1_14transform_implILb1ES3_S5_PKhPhNS0_8identityIhEEEE10hipError_tT2_T3_mT4_P12ihipStream_tbEUlT_E_NS1_11comp_targetILNS1_3genE0ELNS1_11target_archE4294967295ELNS1_3gpuE0ELNS1_3repE0EEENS1_30default_config_static_selectorELNS0_4arch9wavefront6targetE0EEEvT1_.has_dyn_sized_stack, 0
	.set _ZN7rocprim17ROCPRIM_400000_NS6detail17trampoline_kernelINS0_14default_configENS1_25transform_config_selectorIhLb1EEEZNS1_14transform_implILb1ES3_S5_PKhPhNS0_8identityIhEEEE10hipError_tT2_T3_mT4_P12ihipStream_tbEUlT_E_NS1_11comp_targetILNS1_3genE0ELNS1_11target_archE4294967295ELNS1_3gpuE0ELNS1_3repE0EEENS1_30default_config_static_selectorELNS0_4arch9wavefront6targetE0EEEvT1_.has_recursion, 0
	.set _ZN7rocprim17ROCPRIM_400000_NS6detail17trampoline_kernelINS0_14default_configENS1_25transform_config_selectorIhLb1EEEZNS1_14transform_implILb1ES3_S5_PKhPhNS0_8identityIhEEEE10hipError_tT2_T3_mT4_P12ihipStream_tbEUlT_E_NS1_11comp_targetILNS1_3genE0ELNS1_11target_archE4294967295ELNS1_3gpuE0ELNS1_3repE0EEENS1_30default_config_static_selectorELNS0_4arch9wavefront6targetE0EEEvT1_.has_indirect_call, 0
	.section	.AMDGPU.csdata,"",@progbits
; Kernel info:
; codeLenInByte = 1176
; TotalNumSgprs: 16
; NumVgprs: 13
; ScratchSize: 0
; MemoryBound: 0
; FloatMode: 240
; IeeeMode: 1
; LDSByteSize: 0 bytes/workgroup (compile time only)
; SGPRBlocks: 0
; VGPRBlocks: 0
; NumSGPRsForWavesPerEU: 16
; NumVGPRsForWavesPerEU: 13
; NamedBarCnt: 0
; Occupancy: 16
; WaveLimiterHint : 0
; COMPUTE_PGM_RSRC2:SCRATCH_EN: 0
; COMPUTE_PGM_RSRC2:USER_SGPR: 2
; COMPUTE_PGM_RSRC2:TRAP_HANDLER: 0
; COMPUTE_PGM_RSRC2:TGID_X_EN: 1
; COMPUTE_PGM_RSRC2:TGID_Y_EN: 0
; COMPUTE_PGM_RSRC2:TGID_Z_EN: 0
; COMPUTE_PGM_RSRC2:TIDIG_COMP_CNT: 0
	.section	.text._ZN7rocprim17ROCPRIM_400000_NS6detail17trampoline_kernelINS0_14default_configENS1_25transform_config_selectorIhLb1EEEZNS1_14transform_implILb1ES3_S5_PKhPhNS0_8identityIhEEEE10hipError_tT2_T3_mT4_P12ihipStream_tbEUlT_E_NS1_11comp_targetILNS1_3genE10ELNS1_11target_archE1201ELNS1_3gpuE5ELNS1_3repE0EEENS1_30default_config_static_selectorELNS0_4arch9wavefront6targetE0EEEvT1_,"axG",@progbits,_ZN7rocprim17ROCPRIM_400000_NS6detail17trampoline_kernelINS0_14default_configENS1_25transform_config_selectorIhLb1EEEZNS1_14transform_implILb1ES3_S5_PKhPhNS0_8identityIhEEEE10hipError_tT2_T3_mT4_P12ihipStream_tbEUlT_E_NS1_11comp_targetILNS1_3genE10ELNS1_11target_archE1201ELNS1_3gpuE5ELNS1_3repE0EEENS1_30default_config_static_selectorELNS0_4arch9wavefront6targetE0EEEvT1_,comdat
	.protected	_ZN7rocprim17ROCPRIM_400000_NS6detail17trampoline_kernelINS0_14default_configENS1_25transform_config_selectorIhLb1EEEZNS1_14transform_implILb1ES3_S5_PKhPhNS0_8identityIhEEEE10hipError_tT2_T3_mT4_P12ihipStream_tbEUlT_E_NS1_11comp_targetILNS1_3genE10ELNS1_11target_archE1201ELNS1_3gpuE5ELNS1_3repE0EEENS1_30default_config_static_selectorELNS0_4arch9wavefront6targetE0EEEvT1_ ; -- Begin function _ZN7rocprim17ROCPRIM_400000_NS6detail17trampoline_kernelINS0_14default_configENS1_25transform_config_selectorIhLb1EEEZNS1_14transform_implILb1ES3_S5_PKhPhNS0_8identityIhEEEE10hipError_tT2_T3_mT4_P12ihipStream_tbEUlT_E_NS1_11comp_targetILNS1_3genE10ELNS1_11target_archE1201ELNS1_3gpuE5ELNS1_3repE0EEENS1_30default_config_static_selectorELNS0_4arch9wavefront6targetE0EEEvT1_
	.globl	_ZN7rocprim17ROCPRIM_400000_NS6detail17trampoline_kernelINS0_14default_configENS1_25transform_config_selectorIhLb1EEEZNS1_14transform_implILb1ES3_S5_PKhPhNS0_8identityIhEEEE10hipError_tT2_T3_mT4_P12ihipStream_tbEUlT_E_NS1_11comp_targetILNS1_3genE10ELNS1_11target_archE1201ELNS1_3gpuE5ELNS1_3repE0EEENS1_30default_config_static_selectorELNS0_4arch9wavefront6targetE0EEEvT1_
	.p2align	8
	.type	_ZN7rocprim17ROCPRIM_400000_NS6detail17trampoline_kernelINS0_14default_configENS1_25transform_config_selectorIhLb1EEEZNS1_14transform_implILb1ES3_S5_PKhPhNS0_8identityIhEEEE10hipError_tT2_T3_mT4_P12ihipStream_tbEUlT_E_NS1_11comp_targetILNS1_3genE10ELNS1_11target_archE1201ELNS1_3gpuE5ELNS1_3repE0EEENS1_30default_config_static_selectorELNS0_4arch9wavefront6targetE0EEEvT1_,@function
_ZN7rocprim17ROCPRIM_400000_NS6detail17trampoline_kernelINS0_14default_configENS1_25transform_config_selectorIhLb1EEEZNS1_14transform_implILb1ES3_S5_PKhPhNS0_8identityIhEEEE10hipError_tT2_T3_mT4_P12ihipStream_tbEUlT_E_NS1_11comp_targetILNS1_3genE10ELNS1_11target_archE1201ELNS1_3gpuE5ELNS1_3repE0EEENS1_30default_config_static_selectorELNS0_4arch9wavefront6targetE0EEEvT1_: ; @_ZN7rocprim17ROCPRIM_400000_NS6detail17trampoline_kernelINS0_14default_configENS1_25transform_config_selectorIhLb1EEEZNS1_14transform_implILb1ES3_S5_PKhPhNS0_8identityIhEEEE10hipError_tT2_T3_mT4_P12ihipStream_tbEUlT_E_NS1_11comp_targetILNS1_3genE10ELNS1_11target_archE1201ELNS1_3gpuE5ELNS1_3repE0EEENS1_30default_config_static_selectorELNS0_4arch9wavefront6targetE0EEEvT1_
; %bb.0:
	.section	.rodata,"a",@progbits
	.p2align	6, 0x0
	.amdhsa_kernel _ZN7rocprim17ROCPRIM_400000_NS6detail17trampoline_kernelINS0_14default_configENS1_25transform_config_selectorIhLb1EEEZNS1_14transform_implILb1ES3_S5_PKhPhNS0_8identityIhEEEE10hipError_tT2_T3_mT4_P12ihipStream_tbEUlT_E_NS1_11comp_targetILNS1_3genE10ELNS1_11target_archE1201ELNS1_3gpuE5ELNS1_3repE0EEENS1_30default_config_static_selectorELNS0_4arch9wavefront6targetE0EEEvT1_
		.amdhsa_group_segment_fixed_size 0
		.amdhsa_private_segment_fixed_size 0
		.amdhsa_kernarg_size 40
		.amdhsa_user_sgpr_count 2
		.amdhsa_user_sgpr_dispatch_ptr 0
		.amdhsa_user_sgpr_queue_ptr 0
		.amdhsa_user_sgpr_kernarg_segment_ptr 1
		.amdhsa_user_sgpr_dispatch_id 0
		.amdhsa_user_sgpr_kernarg_preload_length 0
		.amdhsa_user_sgpr_kernarg_preload_offset 0
		.amdhsa_user_sgpr_private_segment_size 0
		.amdhsa_wavefront_size32 1
		.amdhsa_uses_dynamic_stack 0
		.amdhsa_enable_private_segment 0
		.amdhsa_system_sgpr_workgroup_id_x 1
		.amdhsa_system_sgpr_workgroup_id_y 0
		.amdhsa_system_sgpr_workgroup_id_z 0
		.amdhsa_system_sgpr_workgroup_info 0
		.amdhsa_system_vgpr_workitem_id 0
		.amdhsa_next_free_vgpr 1
		.amdhsa_next_free_sgpr 1
		.amdhsa_named_barrier_count 0
		.amdhsa_reserve_vcc 0
		.amdhsa_float_round_mode_32 0
		.amdhsa_float_round_mode_16_64 0
		.amdhsa_float_denorm_mode_32 3
		.amdhsa_float_denorm_mode_16_64 3
		.amdhsa_fp16_overflow 0
		.amdhsa_memory_ordered 1
		.amdhsa_forward_progress 1
		.amdhsa_inst_pref_size 0
		.amdhsa_round_robin_scheduling 0
		.amdhsa_exception_fp_ieee_invalid_op 0
		.amdhsa_exception_fp_denorm_src 0
		.amdhsa_exception_fp_ieee_div_zero 0
		.amdhsa_exception_fp_ieee_overflow 0
		.amdhsa_exception_fp_ieee_underflow 0
		.amdhsa_exception_fp_ieee_inexact 0
		.amdhsa_exception_int_div_zero 0
	.end_amdhsa_kernel
	.section	.text._ZN7rocprim17ROCPRIM_400000_NS6detail17trampoline_kernelINS0_14default_configENS1_25transform_config_selectorIhLb1EEEZNS1_14transform_implILb1ES3_S5_PKhPhNS0_8identityIhEEEE10hipError_tT2_T3_mT4_P12ihipStream_tbEUlT_E_NS1_11comp_targetILNS1_3genE10ELNS1_11target_archE1201ELNS1_3gpuE5ELNS1_3repE0EEENS1_30default_config_static_selectorELNS0_4arch9wavefront6targetE0EEEvT1_,"axG",@progbits,_ZN7rocprim17ROCPRIM_400000_NS6detail17trampoline_kernelINS0_14default_configENS1_25transform_config_selectorIhLb1EEEZNS1_14transform_implILb1ES3_S5_PKhPhNS0_8identityIhEEEE10hipError_tT2_T3_mT4_P12ihipStream_tbEUlT_E_NS1_11comp_targetILNS1_3genE10ELNS1_11target_archE1201ELNS1_3gpuE5ELNS1_3repE0EEENS1_30default_config_static_selectorELNS0_4arch9wavefront6targetE0EEEvT1_,comdat
.Lfunc_end101:
	.size	_ZN7rocprim17ROCPRIM_400000_NS6detail17trampoline_kernelINS0_14default_configENS1_25transform_config_selectorIhLb1EEEZNS1_14transform_implILb1ES3_S5_PKhPhNS0_8identityIhEEEE10hipError_tT2_T3_mT4_P12ihipStream_tbEUlT_E_NS1_11comp_targetILNS1_3genE10ELNS1_11target_archE1201ELNS1_3gpuE5ELNS1_3repE0EEENS1_30default_config_static_selectorELNS0_4arch9wavefront6targetE0EEEvT1_, .Lfunc_end101-_ZN7rocprim17ROCPRIM_400000_NS6detail17trampoline_kernelINS0_14default_configENS1_25transform_config_selectorIhLb1EEEZNS1_14transform_implILb1ES3_S5_PKhPhNS0_8identityIhEEEE10hipError_tT2_T3_mT4_P12ihipStream_tbEUlT_E_NS1_11comp_targetILNS1_3genE10ELNS1_11target_archE1201ELNS1_3gpuE5ELNS1_3repE0EEENS1_30default_config_static_selectorELNS0_4arch9wavefront6targetE0EEEvT1_
                                        ; -- End function
	.set _ZN7rocprim17ROCPRIM_400000_NS6detail17trampoline_kernelINS0_14default_configENS1_25transform_config_selectorIhLb1EEEZNS1_14transform_implILb1ES3_S5_PKhPhNS0_8identityIhEEEE10hipError_tT2_T3_mT4_P12ihipStream_tbEUlT_E_NS1_11comp_targetILNS1_3genE10ELNS1_11target_archE1201ELNS1_3gpuE5ELNS1_3repE0EEENS1_30default_config_static_selectorELNS0_4arch9wavefront6targetE0EEEvT1_.num_vgpr, 0
	.set _ZN7rocprim17ROCPRIM_400000_NS6detail17trampoline_kernelINS0_14default_configENS1_25transform_config_selectorIhLb1EEEZNS1_14transform_implILb1ES3_S5_PKhPhNS0_8identityIhEEEE10hipError_tT2_T3_mT4_P12ihipStream_tbEUlT_E_NS1_11comp_targetILNS1_3genE10ELNS1_11target_archE1201ELNS1_3gpuE5ELNS1_3repE0EEENS1_30default_config_static_selectorELNS0_4arch9wavefront6targetE0EEEvT1_.num_agpr, 0
	.set _ZN7rocprim17ROCPRIM_400000_NS6detail17trampoline_kernelINS0_14default_configENS1_25transform_config_selectorIhLb1EEEZNS1_14transform_implILb1ES3_S5_PKhPhNS0_8identityIhEEEE10hipError_tT2_T3_mT4_P12ihipStream_tbEUlT_E_NS1_11comp_targetILNS1_3genE10ELNS1_11target_archE1201ELNS1_3gpuE5ELNS1_3repE0EEENS1_30default_config_static_selectorELNS0_4arch9wavefront6targetE0EEEvT1_.numbered_sgpr, 0
	.set _ZN7rocprim17ROCPRIM_400000_NS6detail17trampoline_kernelINS0_14default_configENS1_25transform_config_selectorIhLb1EEEZNS1_14transform_implILb1ES3_S5_PKhPhNS0_8identityIhEEEE10hipError_tT2_T3_mT4_P12ihipStream_tbEUlT_E_NS1_11comp_targetILNS1_3genE10ELNS1_11target_archE1201ELNS1_3gpuE5ELNS1_3repE0EEENS1_30default_config_static_selectorELNS0_4arch9wavefront6targetE0EEEvT1_.num_named_barrier, 0
	.set _ZN7rocprim17ROCPRIM_400000_NS6detail17trampoline_kernelINS0_14default_configENS1_25transform_config_selectorIhLb1EEEZNS1_14transform_implILb1ES3_S5_PKhPhNS0_8identityIhEEEE10hipError_tT2_T3_mT4_P12ihipStream_tbEUlT_E_NS1_11comp_targetILNS1_3genE10ELNS1_11target_archE1201ELNS1_3gpuE5ELNS1_3repE0EEENS1_30default_config_static_selectorELNS0_4arch9wavefront6targetE0EEEvT1_.private_seg_size, 0
	.set _ZN7rocprim17ROCPRIM_400000_NS6detail17trampoline_kernelINS0_14default_configENS1_25transform_config_selectorIhLb1EEEZNS1_14transform_implILb1ES3_S5_PKhPhNS0_8identityIhEEEE10hipError_tT2_T3_mT4_P12ihipStream_tbEUlT_E_NS1_11comp_targetILNS1_3genE10ELNS1_11target_archE1201ELNS1_3gpuE5ELNS1_3repE0EEENS1_30default_config_static_selectorELNS0_4arch9wavefront6targetE0EEEvT1_.uses_vcc, 0
	.set _ZN7rocprim17ROCPRIM_400000_NS6detail17trampoline_kernelINS0_14default_configENS1_25transform_config_selectorIhLb1EEEZNS1_14transform_implILb1ES3_S5_PKhPhNS0_8identityIhEEEE10hipError_tT2_T3_mT4_P12ihipStream_tbEUlT_E_NS1_11comp_targetILNS1_3genE10ELNS1_11target_archE1201ELNS1_3gpuE5ELNS1_3repE0EEENS1_30default_config_static_selectorELNS0_4arch9wavefront6targetE0EEEvT1_.uses_flat_scratch, 0
	.set _ZN7rocprim17ROCPRIM_400000_NS6detail17trampoline_kernelINS0_14default_configENS1_25transform_config_selectorIhLb1EEEZNS1_14transform_implILb1ES3_S5_PKhPhNS0_8identityIhEEEE10hipError_tT2_T3_mT4_P12ihipStream_tbEUlT_E_NS1_11comp_targetILNS1_3genE10ELNS1_11target_archE1201ELNS1_3gpuE5ELNS1_3repE0EEENS1_30default_config_static_selectorELNS0_4arch9wavefront6targetE0EEEvT1_.has_dyn_sized_stack, 0
	.set _ZN7rocprim17ROCPRIM_400000_NS6detail17trampoline_kernelINS0_14default_configENS1_25transform_config_selectorIhLb1EEEZNS1_14transform_implILb1ES3_S5_PKhPhNS0_8identityIhEEEE10hipError_tT2_T3_mT4_P12ihipStream_tbEUlT_E_NS1_11comp_targetILNS1_3genE10ELNS1_11target_archE1201ELNS1_3gpuE5ELNS1_3repE0EEENS1_30default_config_static_selectorELNS0_4arch9wavefront6targetE0EEEvT1_.has_recursion, 0
	.set _ZN7rocprim17ROCPRIM_400000_NS6detail17trampoline_kernelINS0_14default_configENS1_25transform_config_selectorIhLb1EEEZNS1_14transform_implILb1ES3_S5_PKhPhNS0_8identityIhEEEE10hipError_tT2_T3_mT4_P12ihipStream_tbEUlT_E_NS1_11comp_targetILNS1_3genE10ELNS1_11target_archE1201ELNS1_3gpuE5ELNS1_3repE0EEENS1_30default_config_static_selectorELNS0_4arch9wavefront6targetE0EEEvT1_.has_indirect_call, 0
	.section	.AMDGPU.csdata,"",@progbits
; Kernel info:
; codeLenInByte = 0
; TotalNumSgprs: 0
; NumVgprs: 0
; ScratchSize: 0
; MemoryBound: 0
; FloatMode: 240
; IeeeMode: 1
; LDSByteSize: 0 bytes/workgroup (compile time only)
; SGPRBlocks: 0
; VGPRBlocks: 0
; NumSGPRsForWavesPerEU: 1
; NumVGPRsForWavesPerEU: 1
; NamedBarCnt: 0
; Occupancy: 16
; WaveLimiterHint : 0
; COMPUTE_PGM_RSRC2:SCRATCH_EN: 0
; COMPUTE_PGM_RSRC2:USER_SGPR: 2
; COMPUTE_PGM_RSRC2:TRAP_HANDLER: 0
; COMPUTE_PGM_RSRC2:TGID_X_EN: 1
; COMPUTE_PGM_RSRC2:TGID_Y_EN: 0
; COMPUTE_PGM_RSRC2:TGID_Z_EN: 0
; COMPUTE_PGM_RSRC2:TIDIG_COMP_CNT: 0
	.section	.text._ZN7rocprim17ROCPRIM_400000_NS6detail17trampoline_kernelINS0_14default_configENS1_25transform_config_selectorIhLb1EEEZNS1_14transform_implILb1ES3_S5_PKhPhNS0_8identityIhEEEE10hipError_tT2_T3_mT4_P12ihipStream_tbEUlT_E_NS1_11comp_targetILNS1_3genE5ELNS1_11target_archE942ELNS1_3gpuE9ELNS1_3repE0EEENS1_30default_config_static_selectorELNS0_4arch9wavefront6targetE0EEEvT1_,"axG",@progbits,_ZN7rocprim17ROCPRIM_400000_NS6detail17trampoline_kernelINS0_14default_configENS1_25transform_config_selectorIhLb1EEEZNS1_14transform_implILb1ES3_S5_PKhPhNS0_8identityIhEEEE10hipError_tT2_T3_mT4_P12ihipStream_tbEUlT_E_NS1_11comp_targetILNS1_3genE5ELNS1_11target_archE942ELNS1_3gpuE9ELNS1_3repE0EEENS1_30default_config_static_selectorELNS0_4arch9wavefront6targetE0EEEvT1_,comdat
	.protected	_ZN7rocprim17ROCPRIM_400000_NS6detail17trampoline_kernelINS0_14default_configENS1_25transform_config_selectorIhLb1EEEZNS1_14transform_implILb1ES3_S5_PKhPhNS0_8identityIhEEEE10hipError_tT2_T3_mT4_P12ihipStream_tbEUlT_E_NS1_11comp_targetILNS1_3genE5ELNS1_11target_archE942ELNS1_3gpuE9ELNS1_3repE0EEENS1_30default_config_static_selectorELNS0_4arch9wavefront6targetE0EEEvT1_ ; -- Begin function _ZN7rocprim17ROCPRIM_400000_NS6detail17trampoline_kernelINS0_14default_configENS1_25transform_config_selectorIhLb1EEEZNS1_14transform_implILb1ES3_S5_PKhPhNS0_8identityIhEEEE10hipError_tT2_T3_mT4_P12ihipStream_tbEUlT_E_NS1_11comp_targetILNS1_3genE5ELNS1_11target_archE942ELNS1_3gpuE9ELNS1_3repE0EEENS1_30default_config_static_selectorELNS0_4arch9wavefront6targetE0EEEvT1_
	.globl	_ZN7rocprim17ROCPRIM_400000_NS6detail17trampoline_kernelINS0_14default_configENS1_25transform_config_selectorIhLb1EEEZNS1_14transform_implILb1ES3_S5_PKhPhNS0_8identityIhEEEE10hipError_tT2_T3_mT4_P12ihipStream_tbEUlT_E_NS1_11comp_targetILNS1_3genE5ELNS1_11target_archE942ELNS1_3gpuE9ELNS1_3repE0EEENS1_30default_config_static_selectorELNS0_4arch9wavefront6targetE0EEEvT1_
	.p2align	8
	.type	_ZN7rocprim17ROCPRIM_400000_NS6detail17trampoline_kernelINS0_14default_configENS1_25transform_config_selectorIhLb1EEEZNS1_14transform_implILb1ES3_S5_PKhPhNS0_8identityIhEEEE10hipError_tT2_T3_mT4_P12ihipStream_tbEUlT_E_NS1_11comp_targetILNS1_3genE5ELNS1_11target_archE942ELNS1_3gpuE9ELNS1_3repE0EEENS1_30default_config_static_selectorELNS0_4arch9wavefront6targetE0EEEvT1_,@function
_ZN7rocprim17ROCPRIM_400000_NS6detail17trampoline_kernelINS0_14default_configENS1_25transform_config_selectorIhLb1EEEZNS1_14transform_implILb1ES3_S5_PKhPhNS0_8identityIhEEEE10hipError_tT2_T3_mT4_P12ihipStream_tbEUlT_E_NS1_11comp_targetILNS1_3genE5ELNS1_11target_archE942ELNS1_3gpuE9ELNS1_3repE0EEENS1_30default_config_static_selectorELNS0_4arch9wavefront6targetE0EEEvT1_: ; @_ZN7rocprim17ROCPRIM_400000_NS6detail17trampoline_kernelINS0_14default_configENS1_25transform_config_selectorIhLb1EEEZNS1_14transform_implILb1ES3_S5_PKhPhNS0_8identityIhEEEE10hipError_tT2_T3_mT4_P12ihipStream_tbEUlT_E_NS1_11comp_targetILNS1_3genE5ELNS1_11target_archE942ELNS1_3gpuE9ELNS1_3repE0EEENS1_30default_config_static_selectorELNS0_4arch9wavefront6targetE0EEEvT1_
; %bb.0:
	.section	.rodata,"a",@progbits
	.p2align	6, 0x0
	.amdhsa_kernel _ZN7rocprim17ROCPRIM_400000_NS6detail17trampoline_kernelINS0_14default_configENS1_25transform_config_selectorIhLb1EEEZNS1_14transform_implILb1ES3_S5_PKhPhNS0_8identityIhEEEE10hipError_tT2_T3_mT4_P12ihipStream_tbEUlT_E_NS1_11comp_targetILNS1_3genE5ELNS1_11target_archE942ELNS1_3gpuE9ELNS1_3repE0EEENS1_30default_config_static_selectorELNS0_4arch9wavefront6targetE0EEEvT1_
		.amdhsa_group_segment_fixed_size 0
		.amdhsa_private_segment_fixed_size 0
		.amdhsa_kernarg_size 40
		.amdhsa_user_sgpr_count 2
		.amdhsa_user_sgpr_dispatch_ptr 0
		.amdhsa_user_sgpr_queue_ptr 0
		.amdhsa_user_sgpr_kernarg_segment_ptr 1
		.amdhsa_user_sgpr_dispatch_id 0
		.amdhsa_user_sgpr_kernarg_preload_length 0
		.amdhsa_user_sgpr_kernarg_preload_offset 0
		.amdhsa_user_sgpr_private_segment_size 0
		.amdhsa_wavefront_size32 1
		.amdhsa_uses_dynamic_stack 0
		.amdhsa_enable_private_segment 0
		.amdhsa_system_sgpr_workgroup_id_x 1
		.amdhsa_system_sgpr_workgroup_id_y 0
		.amdhsa_system_sgpr_workgroup_id_z 0
		.amdhsa_system_sgpr_workgroup_info 0
		.amdhsa_system_vgpr_workitem_id 0
		.amdhsa_next_free_vgpr 1
		.amdhsa_next_free_sgpr 1
		.amdhsa_named_barrier_count 0
		.amdhsa_reserve_vcc 0
		.amdhsa_float_round_mode_32 0
		.amdhsa_float_round_mode_16_64 0
		.amdhsa_float_denorm_mode_32 3
		.amdhsa_float_denorm_mode_16_64 3
		.amdhsa_fp16_overflow 0
		.amdhsa_memory_ordered 1
		.amdhsa_forward_progress 1
		.amdhsa_inst_pref_size 0
		.amdhsa_round_robin_scheduling 0
		.amdhsa_exception_fp_ieee_invalid_op 0
		.amdhsa_exception_fp_denorm_src 0
		.amdhsa_exception_fp_ieee_div_zero 0
		.amdhsa_exception_fp_ieee_overflow 0
		.amdhsa_exception_fp_ieee_underflow 0
		.amdhsa_exception_fp_ieee_inexact 0
		.amdhsa_exception_int_div_zero 0
	.end_amdhsa_kernel
	.section	.text._ZN7rocprim17ROCPRIM_400000_NS6detail17trampoline_kernelINS0_14default_configENS1_25transform_config_selectorIhLb1EEEZNS1_14transform_implILb1ES3_S5_PKhPhNS0_8identityIhEEEE10hipError_tT2_T3_mT4_P12ihipStream_tbEUlT_E_NS1_11comp_targetILNS1_3genE5ELNS1_11target_archE942ELNS1_3gpuE9ELNS1_3repE0EEENS1_30default_config_static_selectorELNS0_4arch9wavefront6targetE0EEEvT1_,"axG",@progbits,_ZN7rocprim17ROCPRIM_400000_NS6detail17trampoline_kernelINS0_14default_configENS1_25transform_config_selectorIhLb1EEEZNS1_14transform_implILb1ES3_S5_PKhPhNS0_8identityIhEEEE10hipError_tT2_T3_mT4_P12ihipStream_tbEUlT_E_NS1_11comp_targetILNS1_3genE5ELNS1_11target_archE942ELNS1_3gpuE9ELNS1_3repE0EEENS1_30default_config_static_selectorELNS0_4arch9wavefront6targetE0EEEvT1_,comdat
.Lfunc_end102:
	.size	_ZN7rocprim17ROCPRIM_400000_NS6detail17trampoline_kernelINS0_14default_configENS1_25transform_config_selectorIhLb1EEEZNS1_14transform_implILb1ES3_S5_PKhPhNS0_8identityIhEEEE10hipError_tT2_T3_mT4_P12ihipStream_tbEUlT_E_NS1_11comp_targetILNS1_3genE5ELNS1_11target_archE942ELNS1_3gpuE9ELNS1_3repE0EEENS1_30default_config_static_selectorELNS0_4arch9wavefront6targetE0EEEvT1_, .Lfunc_end102-_ZN7rocprim17ROCPRIM_400000_NS6detail17trampoline_kernelINS0_14default_configENS1_25transform_config_selectorIhLb1EEEZNS1_14transform_implILb1ES3_S5_PKhPhNS0_8identityIhEEEE10hipError_tT2_T3_mT4_P12ihipStream_tbEUlT_E_NS1_11comp_targetILNS1_3genE5ELNS1_11target_archE942ELNS1_3gpuE9ELNS1_3repE0EEENS1_30default_config_static_selectorELNS0_4arch9wavefront6targetE0EEEvT1_
                                        ; -- End function
	.set _ZN7rocprim17ROCPRIM_400000_NS6detail17trampoline_kernelINS0_14default_configENS1_25transform_config_selectorIhLb1EEEZNS1_14transform_implILb1ES3_S5_PKhPhNS0_8identityIhEEEE10hipError_tT2_T3_mT4_P12ihipStream_tbEUlT_E_NS1_11comp_targetILNS1_3genE5ELNS1_11target_archE942ELNS1_3gpuE9ELNS1_3repE0EEENS1_30default_config_static_selectorELNS0_4arch9wavefront6targetE0EEEvT1_.num_vgpr, 0
	.set _ZN7rocprim17ROCPRIM_400000_NS6detail17trampoline_kernelINS0_14default_configENS1_25transform_config_selectorIhLb1EEEZNS1_14transform_implILb1ES3_S5_PKhPhNS0_8identityIhEEEE10hipError_tT2_T3_mT4_P12ihipStream_tbEUlT_E_NS1_11comp_targetILNS1_3genE5ELNS1_11target_archE942ELNS1_3gpuE9ELNS1_3repE0EEENS1_30default_config_static_selectorELNS0_4arch9wavefront6targetE0EEEvT1_.num_agpr, 0
	.set _ZN7rocprim17ROCPRIM_400000_NS6detail17trampoline_kernelINS0_14default_configENS1_25transform_config_selectorIhLb1EEEZNS1_14transform_implILb1ES3_S5_PKhPhNS0_8identityIhEEEE10hipError_tT2_T3_mT4_P12ihipStream_tbEUlT_E_NS1_11comp_targetILNS1_3genE5ELNS1_11target_archE942ELNS1_3gpuE9ELNS1_3repE0EEENS1_30default_config_static_selectorELNS0_4arch9wavefront6targetE0EEEvT1_.numbered_sgpr, 0
	.set _ZN7rocprim17ROCPRIM_400000_NS6detail17trampoline_kernelINS0_14default_configENS1_25transform_config_selectorIhLb1EEEZNS1_14transform_implILb1ES3_S5_PKhPhNS0_8identityIhEEEE10hipError_tT2_T3_mT4_P12ihipStream_tbEUlT_E_NS1_11comp_targetILNS1_3genE5ELNS1_11target_archE942ELNS1_3gpuE9ELNS1_3repE0EEENS1_30default_config_static_selectorELNS0_4arch9wavefront6targetE0EEEvT1_.num_named_barrier, 0
	.set _ZN7rocprim17ROCPRIM_400000_NS6detail17trampoline_kernelINS0_14default_configENS1_25transform_config_selectorIhLb1EEEZNS1_14transform_implILb1ES3_S5_PKhPhNS0_8identityIhEEEE10hipError_tT2_T3_mT4_P12ihipStream_tbEUlT_E_NS1_11comp_targetILNS1_3genE5ELNS1_11target_archE942ELNS1_3gpuE9ELNS1_3repE0EEENS1_30default_config_static_selectorELNS0_4arch9wavefront6targetE0EEEvT1_.private_seg_size, 0
	.set _ZN7rocprim17ROCPRIM_400000_NS6detail17trampoline_kernelINS0_14default_configENS1_25transform_config_selectorIhLb1EEEZNS1_14transform_implILb1ES3_S5_PKhPhNS0_8identityIhEEEE10hipError_tT2_T3_mT4_P12ihipStream_tbEUlT_E_NS1_11comp_targetILNS1_3genE5ELNS1_11target_archE942ELNS1_3gpuE9ELNS1_3repE0EEENS1_30default_config_static_selectorELNS0_4arch9wavefront6targetE0EEEvT1_.uses_vcc, 0
	.set _ZN7rocprim17ROCPRIM_400000_NS6detail17trampoline_kernelINS0_14default_configENS1_25transform_config_selectorIhLb1EEEZNS1_14transform_implILb1ES3_S5_PKhPhNS0_8identityIhEEEE10hipError_tT2_T3_mT4_P12ihipStream_tbEUlT_E_NS1_11comp_targetILNS1_3genE5ELNS1_11target_archE942ELNS1_3gpuE9ELNS1_3repE0EEENS1_30default_config_static_selectorELNS0_4arch9wavefront6targetE0EEEvT1_.uses_flat_scratch, 0
	.set _ZN7rocprim17ROCPRIM_400000_NS6detail17trampoline_kernelINS0_14default_configENS1_25transform_config_selectorIhLb1EEEZNS1_14transform_implILb1ES3_S5_PKhPhNS0_8identityIhEEEE10hipError_tT2_T3_mT4_P12ihipStream_tbEUlT_E_NS1_11comp_targetILNS1_3genE5ELNS1_11target_archE942ELNS1_3gpuE9ELNS1_3repE0EEENS1_30default_config_static_selectorELNS0_4arch9wavefront6targetE0EEEvT1_.has_dyn_sized_stack, 0
	.set _ZN7rocprim17ROCPRIM_400000_NS6detail17trampoline_kernelINS0_14default_configENS1_25transform_config_selectorIhLb1EEEZNS1_14transform_implILb1ES3_S5_PKhPhNS0_8identityIhEEEE10hipError_tT2_T3_mT4_P12ihipStream_tbEUlT_E_NS1_11comp_targetILNS1_3genE5ELNS1_11target_archE942ELNS1_3gpuE9ELNS1_3repE0EEENS1_30default_config_static_selectorELNS0_4arch9wavefront6targetE0EEEvT1_.has_recursion, 0
	.set _ZN7rocprim17ROCPRIM_400000_NS6detail17trampoline_kernelINS0_14default_configENS1_25transform_config_selectorIhLb1EEEZNS1_14transform_implILb1ES3_S5_PKhPhNS0_8identityIhEEEE10hipError_tT2_T3_mT4_P12ihipStream_tbEUlT_E_NS1_11comp_targetILNS1_3genE5ELNS1_11target_archE942ELNS1_3gpuE9ELNS1_3repE0EEENS1_30default_config_static_selectorELNS0_4arch9wavefront6targetE0EEEvT1_.has_indirect_call, 0
	.section	.AMDGPU.csdata,"",@progbits
; Kernel info:
; codeLenInByte = 0
; TotalNumSgprs: 0
; NumVgprs: 0
; ScratchSize: 0
; MemoryBound: 0
; FloatMode: 240
; IeeeMode: 1
; LDSByteSize: 0 bytes/workgroup (compile time only)
; SGPRBlocks: 0
; VGPRBlocks: 0
; NumSGPRsForWavesPerEU: 1
; NumVGPRsForWavesPerEU: 1
; NamedBarCnt: 0
; Occupancy: 16
; WaveLimiterHint : 0
; COMPUTE_PGM_RSRC2:SCRATCH_EN: 0
; COMPUTE_PGM_RSRC2:USER_SGPR: 2
; COMPUTE_PGM_RSRC2:TRAP_HANDLER: 0
; COMPUTE_PGM_RSRC2:TGID_X_EN: 1
; COMPUTE_PGM_RSRC2:TGID_Y_EN: 0
; COMPUTE_PGM_RSRC2:TGID_Z_EN: 0
; COMPUTE_PGM_RSRC2:TIDIG_COMP_CNT: 0
	.section	.text._ZN7rocprim17ROCPRIM_400000_NS6detail17trampoline_kernelINS0_14default_configENS1_25transform_config_selectorIhLb1EEEZNS1_14transform_implILb1ES3_S5_PKhPhNS0_8identityIhEEEE10hipError_tT2_T3_mT4_P12ihipStream_tbEUlT_E_NS1_11comp_targetILNS1_3genE4ELNS1_11target_archE910ELNS1_3gpuE8ELNS1_3repE0EEENS1_30default_config_static_selectorELNS0_4arch9wavefront6targetE0EEEvT1_,"axG",@progbits,_ZN7rocprim17ROCPRIM_400000_NS6detail17trampoline_kernelINS0_14default_configENS1_25transform_config_selectorIhLb1EEEZNS1_14transform_implILb1ES3_S5_PKhPhNS0_8identityIhEEEE10hipError_tT2_T3_mT4_P12ihipStream_tbEUlT_E_NS1_11comp_targetILNS1_3genE4ELNS1_11target_archE910ELNS1_3gpuE8ELNS1_3repE0EEENS1_30default_config_static_selectorELNS0_4arch9wavefront6targetE0EEEvT1_,comdat
	.protected	_ZN7rocprim17ROCPRIM_400000_NS6detail17trampoline_kernelINS0_14default_configENS1_25transform_config_selectorIhLb1EEEZNS1_14transform_implILb1ES3_S5_PKhPhNS0_8identityIhEEEE10hipError_tT2_T3_mT4_P12ihipStream_tbEUlT_E_NS1_11comp_targetILNS1_3genE4ELNS1_11target_archE910ELNS1_3gpuE8ELNS1_3repE0EEENS1_30default_config_static_selectorELNS0_4arch9wavefront6targetE0EEEvT1_ ; -- Begin function _ZN7rocprim17ROCPRIM_400000_NS6detail17trampoline_kernelINS0_14default_configENS1_25transform_config_selectorIhLb1EEEZNS1_14transform_implILb1ES3_S5_PKhPhNS0_8identityIhEEEE10hipError_tT2_T3_mT4_P12ihipStream_tbEUlT_E_NS1_11comp_targetILNS1_3genE4ELNS1_11target_archE910ELNS1_3gpuE8ELNS1_3repE0EEENS1_30default_config_static_selectorELNS0_4arch9wavefront6targetE0EEEvT1_
	.globl	_ZN7rocprim17ROCPRIM_400000_NS6detail17trampoline_kernelINS0_14default_configENS1_25transform_config_selectorIhLb1EEEZNS1_14transform_implILb1ES3_S5_PKhPhNS0_8identityIhEEEE10hipError_tT2_T3_mT4_P12ihipStream_tbEUlT_E_NS1_11comp_targetILNS1_3genE4ELNS1_11target_archE910ELNS1_3gpuE8ELNS1_3repE0EEENS1_30default_config_static_selectorELNS0_4arch9wavefront6targetE0EEEvT1_
	.p2align	8
	.type	_ZN7rocprim17ROCPRIM_400000_NS6detail17trampoline_kernelINS0_14default_configENS1_25transform_config_selectorIhLb1EEEZNS1_14transform_implILb1ES3_S5_PKhPhNS0_8identityIhEEEE10hipError_tT2_T3_mT4_P12ihipStream_tbEUlT_E_NS1_11comp_targetILNS1_3genE4ELNS1_11target_archE910ELNS1_3gpuE8ELNS1_3repE0EEENS1_30default_config_static_selectorELNS0_4arch9wavefront6targetE0EEEvT1_,@function
_ZN7rocprim17ROCPRIM_400000_NS6detail17trampoline_kernelINS0_14default_configENS1_25transform_config_selectorIhLb1EEEZNS1_14transform_implILb1ES3_S5_PKhPhNS0_8identityIhEEEE10hipError_tT2_T3_mT4_P12ihipStream_tbEUlT_E_NS1_11comp_targetILNS1_3genE4ELNS1_11target_archE910ELNS1_3gpuE8ELNS1_3repE0EEENS1_30default_config_static_selectorELNS0_4arch9wavefront6targetE0EEEvT1_: ; @_ZN7rocprim17ROCPRIM_400000_NS6detail17trampoline_kernelINS0_14default_configENS1_25transform_config_selectorIhLb1EEEZNS1_14transform_implILb1ES3_S5_PKhPhNS0_8identityIhEEEE10hipError_tT2_T3_mT4_P12ihipStream_tbEUlT_E_NS1_11comp_targetILNS1_3genE4ELNS1_11target_archE910ELNS1_3gpuE8ELNS1_3repE0EEENS1_30default_config_static_selectorELNS0_4arch9wavefront6targetE0EEEvT1_
; %bb.0:
	.section	.rodata,"a",@progbits
	.p2align	6, 0x0
	.amdhsa_kernel _ZN7rocprim17ROCPRIM_400000_NS6detail17trampoline_kernelINS0_14default_configENS1_25transform_config_selectorIhLb1EEEZNS1_14transform_implILb1ES3_S5_PKhPhNS0_8identityIhEEEE10hipError_tT2_T3_mT4_P12ihipStream_tbEUlT_E_NS1_11comp_targetILNS1_3genE4ELNS1_11target_archE910ELNS1_3gpuE8ELNS1_3repE0EEENS1_30default_config_static_selectorELNS0_4arch9wavefront6targetE0EEEvT1_
		.amdhsa_group_segment_fixed_size 0
		.amdhsa_private_segment_fixed_size 0
		.amdhsa_kernarg_size 40
		.amdhsa_user_sgpr_count 2
		.amdhsa_user_sgpr_dispatch_ptr 0
		.amdhsa_user_sgpr_queue_ptr 0
		.amdhsa_user_sgpr_kernarg_segment_ptr 1
		.amdhsa_user_sgpr_dispatch_id 0
		.amdhsa_user_sgpr_kernarg_preload_length 0
		.amdhsa_user_sgpr_kernarg_preload_offset 0
		.amdhsa_user_sgpr_private_segment_size 0
		.amdhsa_wavefront_size32 1
		.amdhsa_uses_dynamic_stack 0
		.amdhsa_enable_private_segment 0
		.amdhsa_system_sgpr_workgroup_id_x 1
		.amdhsa_system_sgpr_workgroup_id_y 0
		.amdhsa_system_sgpr_workgroup_id_z 0
		.amdhsa_system_sgpr_workgroup_info 0
		.amdhsa_system_vgpr_workitem_id 0
		.amdhsa_next_free_vgpr 1
		.amdhsa_next_free_sgpr 1
		.amdhsa_named_barrier_count 0
		.amdhsa_reserve_vcc 0
		.amdhsa_float_round_mode_32 0
		.amdhsa_float_round_mode_16_64 0
		.amdhsa_float_denorm_mode_32 3
		.amdhsa_float_denorm_mode_16_64 3
		.amdhsa_fp16_overflow 0
		.amdhsa_memory_ordered 1
		.amdhsa_forward_progress 1
		.amdhsa_inst_pref_size 0
		.amdhsa_round_robin_scheduling 0
		.amdhsa_exception_fp_ieee_invalid_op 0
		.amdhsa_exception_fp_denorm_src 0
		.amdhsa_exception_fp_ieee_div_zero 0
		.amdhsa_exception_fp_ieee_overflow 0
		.amdhsa_exception_fp_ieee_underflow 0
		.amdhsa_exception_fp_ieee_inexact 0
		.amdhsa_exception_int_div_zero 0
	.end_amdhsa_kernel
	.section	.text._ZN7rocprim17ROCPRIM_400000_NS6detail17trampoline_kernelINS0_14default_configENS1_25transform_config_selectorIhLb1EEEZNS1_14transform_implILb1ES3_S5_PKhPhNS0_8identityIhEEEE10hipError_tT2_T3_mT4_P12ihipStream_tbEUlT_E_NS1_11comp_targetILNS1_3genE4ELNS1_11target_archE910ELNS1_3gpuE8ELNS1_3repE0EEENS1_30default_config_static_selectorELNS0_4arch9wavefront6targetE0EEEvT1_,"axG",@progbits,_ZN7rocprim17ROCPRIM_400000_NS6detail17trampoline_kernelINS0_14default_configENS1_25transform_config_selectorIhLb1EEEZNS1_14transform_implILb1ES3_S5_PKhPhNS0_8identityIhEEEE10hipError_tT2_T3_mT4_P12ihipStream_tbEUlT_E_NS1_11comp_targetILNS1_3genE4ELNS1_11target_archE910ELNS1_3gpuE8ELNS1_3repE0EEENS1_30default_config_static_selectorELNS0_4arch9wavefront6targetE0EEEvT1_,comdat
.Lfunc_end103:
	.size	_ZN7rocprim17ROCPRIM_400000_NS6detail17trampoline_kernelINS0_14default_configENS1_25transform_config_selectorIhLb1EEEZNS1_14transform_implILb1ES3_S5_PKhPhNS0_8identityIhEEEE10hipError_tT2_T3_mT4_P12ihipStream_tbEUlT_E_NS1_11comp_targetILNS1_3genE4ELNS1_11target_archE910ELNS1_3gpuE8ELNS1_3repE0EEENS1_30default_config_static_selectorELNS0_4arch9wavefront6targetE0EEEvT1_, .Lfunc_end103-_ZN7rocprim17ROCPRIM_400000_NS6detail17trampoline_kernelINS0_14default_configENS1_25transform_config_selectorIhLb1EEEZNS1_14transform_implILb1ES3_S5_PKhPhNS0_8identityIhEEEE10hipError_tT2_T3_mT4_P12ihipStream_tbEUlT_E_NS1_11comp_targetILNS1_3genE4ELNS1_11target_archE910ELNS1_3gpuE8ELNS1_3repE0EEENS1_30default_config_static_selectorELNS0_4arch9wavefront6targetE0EEEvT1_
                                        ; -- End function
	.set _ZN7rocprim17ROCPRIM_400000_NS6detail17trampoline_kernelINS0_14default_configENS1_25transform_config_selectorIhLb1EEEZNS1_14transform_implILb1ES3_S5_PKhPhNS0_8identityIhEEEE10hipError_tT2_T3_mT4_P12ihipStream_tbEUlT_E_NS1_11comp_targetILNS1_3genE4ELNS1_11target_archE910ELNS1_3gpuE8ELNS1_3repE0EEENS1_30default_config_static_selectorELNS0_4arch9wavefront6targetE0EEEvT1_.num_vgpr, 0
	.set _ZN7rocprim17ROCPRIM_400000_NS6detail17trampoline_kernelINS0_14default_configENS1_25transform_config_selectorIhLb1EEEZNS1_14transform_implILb1ES3_S5_PKhPhNS0_8identityIhEEEE10hipError_tT2_T3_mT4_P12ihipStream_tbEUlT_E_NS1_11comp_targetILNS1_3genE4ELNS1_11target_archE910ELNS1_3gpuE8ELNS1_3repE0EEENS1_30default_config_static_selectorELNS0_4arch9wavefront6targetE0EEEvT1_.num_agpr, 0
	.set _ZN7rocprim17ROCPRIM_400000_NS6detail17trampoline_kernelINS0_14default_configENS1_25transform_config_selectorIhLb1EEEZNS1_14transform_implILb1ES3_S5_PKhPhNS0_8identityIhEEEE10hipError_tT2_T3_mT4_P12ihipStream_tbEUlT_E_NS1_11comp_targetILNS1_3genE4ELNS1_11target_archE910ELNS1_3gpuE8ELNS1_3repE0EEENS1_30default_config_static_selectorELNS0_4arch9wavefront6targetE0EEEvT1_.numbered_sgpr, 0
	.set _ZN7rocprim17ROCPRIM_400000_NS6detail17trampoline_kernelINS0_14default_configENS1_25transform_config_selectorIhLb1EEEZNS1_14transform_implILb1ES3_S5_PKhPhNS0_8identityIhEEEE10hipError_tT2_T3_mT4_P12ihipStream_tbEUlT_E_NS1_11comp_targetILNS1_3genE4ELNS1_11target_archE910ELNS1_3gpuE8ELNS1_3repE0EEENS1_30default_config_static_selectorELNS0_4arch9wavefront6targetE0EEEvT1_.num_named_barrier, 0
	.set _ZN7rocprim17ROCPRIM_400000_NS6detail17trampoline_kernelINS0_14default_configENS1_25transform_config_selectorIhLb1EEEZNS1_14transform_implILb1ES3_S5_PKhPhNS0_8identityIhEEEE10hipError_tT2_T3_mT4_P12ihipStream_tbEUlT_E_NS1_11comp_targetILNS1_3genE4ELNS1_11target_archE910ELNS1_3gpuE8ELNS1_3repE0EEENS1_30default_config_static_selectorELNS0_4arch9wavefront6targetE0EEEvT1_.private_seg_size, 0
	.set _ZN7rocprim17ROCPRIM_400000_NS6detail17trampoline_kernelINS0_14default_configENS1_25transform_config_selectorIhLb1EEEZNS1_14transform_implILb1ES3_S5_PKhPhNS0_8identityIhEEEE10hipError_tT2_T3_mT4_P12ihipStream_tbEUlT_E_NS1_11comp_targetILNS1_3genE4ELNS1_11target_archE910ELNS1_3gpuE8ELNS1_3repE0EEENS1_30default_config_static_selectorELNS0_4arch9wavefront6targetE0EEEvT1_.uses_vcc, 0
	.set _ZN7rocprim17ROCPRIM_400000_NS6detail17trampoline_kernelINS0_14default_configENS1_25transform_config_selectorIhLb1EEEZNS1_14transform_implILb1ES3_S5_PKhPhNS0_8identityIhEEEE10hipError_tT2_T3_mT4_P12ihipStream_tbEUlT_E_NS1_11comp_targetILNS1_3genE4ELNS1_11target_archE910ELNS1_3gpuE8ELNS1_3repE0EEENS1_30default_config_static_selectorELNS0_4arch9wavefront6targetE0EEEvT1_.uses_flat_scratch, 0
	.set _ZN7rocprim17ROCPRIM_400000_NS6detail17trampoline_kernelINS0_14default_configENS1_25transform_config_selectorIhLb1EEEZNS1_14transform_implILb1ES3_S5_PKhPhNS0_8identityIhEEEE10hipError_tT2_T3_mT4_P12ihipStream_tbEUlT_E_NS1_11comp_targetILNS1_3genE4ELNS1_11target_archE910ELNS1_3gpuE8ELNS1_3repE0EEENS1_30default_config_static_selectorELNS0_4arch9wavefront6targetE0EEEvT1_.has_dyn_sized_stack, 0
	.set _ZN7rocprim17ROCPRIM_400000_NS6detail17trampoline_kernelINS0_14default_configENS1_25transform_config_selectorIhLb1EEEZNS1_14transform_implILb1ES3_S5_PKhPhNS0_8identityIhEEEE10hipError_tT2_T3_mT4_P12ihipStream_tbEUlT_E_NS1_11comp_targetILNS1_3genE4ELNS1_11target_archE910ELNS1_3gpuE8ELNS1_3repE0EEENS1_30default_config_static_selectorELNS0_4arch9wavefront6targetE0EEEvT1_.has_recursion, 0
	.set _ZN7rocprim17ROCPRIM_400000_NS6detail17trampoline_kernelINS0_14default_configENS1_25transform_config_selectorIhLb1EEEZNS1_14transform_implILb1ES3_S5_PKhPhNS0_8identityIhEEEE10hipError_tT2_T3_mT4_P12ihipStream_tbEUlT_E_NS1_11comp_targetILNS1_3genE4ELNS1_11target_archE910ELNS1_3gpuE8ELNS1_3repE0EEENS1_30default_config_static_selectorELNS0_4arch9wavefront6targetE0EEEvT1_.has_indirect_call, 0
	.section	.AMDGPU.csdata,"",@progbits
; Kernel info:
; codeLenInByte = 0
; TotalNumSgprs: 0
; NumVgprs: 0
; ScratchSize: 0
; MemoryBound: 0
; FloatMode: 240
; IeeeMode: 1
; LDSByteSize: 0 bytes/workgroup (compile time only)
; SGPRBlocks: 0
; VGPRBlocks: 0
; NumSGPRsForWavesPerEU: 1
; NumVGPRsForWavesPerEU: 1
; NamedBarCnt: 0
; Occupancy: 16
; WaveLimiterHint : 0
; COMPUTE_PGM_RSRC2:SCRATCH_EN: 0
; COMPUTE_PGM_RSRC2:USER_SGPR: 2
; COMPUTE_PGM_RSRC2:TRAP_HANDLER: 0
; COMPUTE_PGM_RSRC2:TGID_X_EN: 1
; COMPUTE_PGM_RSRC2:TGID_Y_EN: 0
; COMPUTE_PGM_RSRC2:TGID_Z_EN: 0
; COMPUTE_PGM_RSRC2:TIDIG_COMP_CNT: 0
	.section	.text._ZN7rocprim17ROCPRIM_400000_NS6detail17trampoline_kernelINS0_14default_configENS1_25transform_config_selectorIhLb1EEEZNS1_14transform_implILb1ES3_S5_PKhPhNS0_8identityIhEEEE10hipError_tT2_T3_mT4_P12ihipStream_tbEUlT_E_NS1_11comp_targetILNS1_3genE3ELNS1_11target_archE908ELNS1_3gpuE7ELNS1_3repE0EEENS1_30default_config_static_selectorELNS0_4arch9wavefront6targetE0EEEvT1_,"axG",@progbits,_ZN7rocprim17ROCPRIM_400000_NS6detail17trampoline_kernelINS0_14default_configENS1_25transform_config_selectorIhLb1EEEZNS1_14transform_implILb1ES3_S5_PKhPhNS0_8identityIhEEEE10hipError_tT2_T3_mT4_P12ihipStream_tbEUlT_E_NS1_11comp_targetILNS1_3genE3ELNS1_11target_archE908ELNS1_3gpuE7ELNS1_3repE0EEENS1_30default_config_static_selectorELNS0_4arch9wavefront6targetE0EEEvT1_,comdat
	.protected	_ZN7rocprim17ROCPRIM_400000_NS6detail17trampoline_kernelINS0_14default_configENS1_25transform_config_selectorIhLb1EEEZNS1_14transform_implILb1ES3_S5_PKhPhNS0_8identityIhEEEE10hipError_tT2_T3_mT4_P12ihipStream_tbEUlT_E_NS1_11comp_targetILNS1_3genE3ELNS1_11target_archE908ELNS1_3gpuE7ELNS1_3repE0EEENS1_30default_config_static_selectorELNS0_4arch9wavefront6targetE0EEEvT1_ ; -- Begin function _ZN7rocprim17ROCPRIM_400000_NS6detail17trampoline_kernelINS0_14default_configENS1_25transform_config_selectorIhLb1EEEZNS1_14transform_implILb1ES3_S5_PKhPhNS0_8identityIhEEEE10hipError_tT2_T3_mT4_P12ihipStream_tbEUlT_E_NS1_11comp_targetILNS1_3genE3ELNS1_11target_archE908ELNS1_3gpuE7ELNS1_3repE0EEENS1_30default_config_static_selectorELNS0_4arch9wavefront6targetE0EEEvT1_
	.globl	_ZN7rocprim17ROCPRIM_400000_NS6detail17trampoline_kernelINS0_14default_configENS1_25transform_config_selectorIhLb1EEEZNS1_14transform_implILb1ES3_S5_PKhPhNS0_8identityIhEEEE10hipError_tT2_T3_mT4_P12ihipStream_tbEUlT_E_NS1_11comp_targetILNS1_3genE3ELNS1_11target_archE908ELNS1_3gpuE7ELNS1_3repE0EEENS1_30default_config_static_selectorELNS0_4arch9wavefront6targetE0EEEvT1_
	.p2align	8
	.type	_ZN7rocprim17ROCPRIM_400000_NS6detail17trampoline_kernelINS0_14default_configENS1_25transform_config_selectorIhLb1EEEZNS1_14transform_implILb1ES3_S5_PKhPhNS0_8identityIhEEEE10hipError_tT2_T3_mT4_P12ihipStream_tbEUlT_E_NS1_11comp_targetILNS1_3genE3ELNS1_11target_archE908ELNS1_3gpuE7ELNS1_3repE0EEENS1_30default_config_static_selectorELNS0_4arch9wavefront6targetE0EEEvT1_,@function
_ZN7rocprim17ROCPRIM_400000_NS6detail17trampoline_kernelINS0_14default_configENS1_25transform_config_selectorIhLb1EEEZNS1_14transform_implILb1ES3_S5_PKhPhNS0_8identityIhEEEE10hipError_tT2_T3_mT4_P12ihipStream_tbEUlT_E_NS1_11comp_targetILNS1_3genE3ELNS1_11target_archE908ELNS1_3gpuE7ELNS1_3repE0EEENS1_30default_config_static_selectorELNS0_4arch9wavefront6targetE0EEEvT1_: ; @_ZN7rocprim17ROCPRIM_400000_NS6detail17trampoline_kernelINS0_14default_configENS1_25transform_config_selectorIhLb1EEEZNS1_14transform_implILb1ES3_S5_PKhPhNS0_8identityIhEEEE10hipError_tT2_T3_mT4_P12ihipStream_tbEUlT_E_NS1_11comp_targetILNS1_3genE3ELNS1_11target_archE908ELNS1_3gpuE7ELNS1_3repE0EEENS1_30default_config_static_selectorELNS0_4arch9wavefront6targetE0EEEvT1_
; %bb.0:
	.section	.rodata,"a",@progbits
	.p2align	6, 0x0
	.amdhsa_kernel _ZN7rocprim17ROCPRIM_400000_NS6detail17trampoline_kernelINS0_14default_configENS1_25transform_config_selectorIhLb1EEEZNS1_14transform_implILb1ES3_S5_PKhPhNS0_8identityIhEEEE10hipError_tT2_T3_mT4_P12ihipStream_tbEUlT_E_NS1_11comp_targetILNS1_3genE3ELNS1_11target_archE908ELNS1_3gpuE7ELNS1_3repE0EEENS1_30default_config_static_selectorELNS0_4arch9wavefront6targetE0EEEvT1_
		.amdhsa_group_segment_fixed_size 0
		.amdhsa_private_segment_fixed_size 0
		.amdhsa_kernarg_size 40
		.amdhsa_user_sgpr_count 2
		.amdhsa_user_sgpr_dispatch_ptr 0
		.amdhsa_user_sgpr_queue_ptr 0
		.amdhsa_user_sgpr_kernarg_segment_ptr 1
		.amdhsa_user_sgpr_dispatch_id 0
		.amdhsa_user_sgpr_kernarg_preload_length 0
		.amdhsa_user_sgpr_kernarg_preload_offset 0
		.amdhsa_user_sgpr_private_segment_size 0
		.amdhsa_wavefront_size32 1
		.amdhsa_uses_dynamic_stack 0
		.amdhsa_enable_private_segment 0
		.amdhsa_system_sgpr_workgroup_id_x 1
		.amdhsa_system_sgpr_workgroup_id_y 0
		.amdhsa_system_sgpr_workgroup_id_z 0
		.amdhsa_system_sgpr_workgroup_info 0
		.amdhsa_system_vgpr_workitem_id 0
		.amdhsa_next_free_vgpr 1
		.amdhsa_next_free_sgpr 1
		.amdhsa_named_barrier_count 0
		.amdhsa_reserve_vcc 0
		.amdhsa_float_round_mode_32 0
		.amdhsa_float_round_mode_16_64 0
		.amdhsa_float_denorm_mode_32 3
		.amdhsa_float_denorm_mode_16_64 3
		.amdhsa_fp16_overflow 0
		.amdhsa_memory_ordered 1
		.amdhsa_forward_progress 1
		.amdhsa_inst_pref_size 0
		.amdhsa_round_robin_scheduling 0
		.amdhsa_exception_fp_ieee_invalid_op 0
		.amdhsa_exception_fp_denorm_src 0
		.amdhsa_exception_fp_ieee_div_zero 0
		.amdhsa_exception_fp_ieee_overflow 0
		.amdhsa_exception_fp_ieee_underflow 0
		.amdhsa_exception_fp_ieee_inexact 0
		.amdhsa_exception_int_div_zero 0
	.end_amdhsa_kernel
	.section	.text._ZN7rocprim17ROCPRIM_400000_NS6detail17trampoline_kernelINS0_14default_configENS1_25transform_config_selectorIhLb1EEEZNS1_14transform_implILb1ES3_S5_PKhPhNS0_8identityIhEEEE10hipError_tT2_T3_mT4_P12ihipStream_tbEUlT_E_NS1_11comp_targetILNS1_3genE3ELNS1_11target_archE908ELNS1_3gpuE7ELNS1_3repE0EEENS1_30default_config_static_selectorELNS0_4arch9wavefront6targetE0EEEvT1_,"axG",@progbits,_ZN7rocprim17ROCPRIM_400000_NS6detail17trampoline_kernelINS0_14default_configENS1_25transform_config_selectorIhLb1EEEZNS1_14transform_implILb1ES3_S5_PKhPhNS0_8identityIhEEEE10hipError_tT2_T3_mT4_P12ihipStream_tbEUlT_E_NS1_11comp_targetILNS1_3genE3ELNS1_11target_archE908ELNS1_3gpuE7ELNS1_3repE0EEENS1_30default_config_static_selectorELNS0_4arch9wavefront6targetE0EEEvT1_,comdat
.Lfunc_end104:
	.size	_ZN7rocprim17ROCPRIM_400000_NS6detail17trampoline_kernelINS0_14default_configENS1_25transform_config_selectorIhLb1EEEZNS1_14transform_implILb1ES3_S5_PKhPhNS0_8identityIhEEEE10hipError_tT2_T3_mT4_P12ihipStream_tbEUlT_E_NS1_11comp_targetILNS1_3genE3ELNS1_11target_archE908ELNS1_3gpuE7ELNS1_3repE0EEENS1_30default_config_static_selectorELNS0_4arch9wavefront6targetE0EEEvT1_, .Lfunc_end104-_ZN7rocprim17ROCPRIM_400000_NS6detail17trampoline_kernelINS0_14default_configENS1_25transform_config_selectorIhLb1EEEZNS1_14transform_implILb1ES3_S5_PKhPhNS0_8identityIhEEEE10hipError_tT2_T3_mT4_P12ihipStream_tbEUlT_E_NS1_11comp_targetILNS1_3genE3ELNS1_11target_archE908ELNS1_3gpuE7ELNS1_3repE0EEENS1_30default_config_static_selectorELNS0_4arch9wavefront6targetE0EEEvT1_
                                        ; -- End function
	.set _ZN7rocprim17ROCPRIM_400000_NS6detail17trampoline_kernelINS0_14default_configENS1_25transform_config_selectorIhLb1EEEZNS1_14transform_implILb1ES3_S5_PKhPhNS0_8identityIhEEEE10hipError_tT2_T3_mT4_P12ihipStream_tbEUlT_E_NS1_11comp_targetILNS1_3genE3ELNS1_11target_archE908ELNS1_3gpuE7ELNS1_3repE0EEENS1_30default_config_static_selectorELNS0_4arch9wavefront6targetE0EEEvT1_.num_vgpr, 0
	.set _ZN7rocprim17ROCPRIM_400000_NS6detail17trampoline_kernelINS0_14default_configENS1_25transform_config_selectorIhLb1EEEZNS1_14transform_implILb1ES3_S5_PKhPhNS0_8identityIhEEEE10hipError_tT2_T3_mT4_P12ihipStream_tbEUlT_E_NS1_11comp_targetILNS1_3genE3ELNS1_11target_archE908ELNS1_3gpuE7ELNS1_3repE0EEENS1_30default_config_static_selectorELNS0_4arch9wavefront6targetE0EEEvT1_.num_agpr, 0
	.set _ZN7rocprim17ROCPRIM_400000_NS6detail17trampoline_kernelINS0_14default_configENS1_25transform_config_selectorIhLb1EEEZNS1_14transform_implILb1ES3_S5_PKhPhNS0_8identityIhEEEE10hipError_tT2_T3_mT4_P12ihipStream_tbEUlT_E_NS1_11comp_targetILNS1_3genE3ELNS1_11target_archE908ELNS1_3gpuE7ELNS1_3repE0EEENS1_30default_config_static_selectorELNS0_4arch9wavefront6targetE0EEEvT1_.numbered_sgpr, 0
	.set _ZN7rocprim17ROCPRIM_400000_NS6detail17trampoline_kernelINS0_14default_configENS1_25transform_config_selectorIhLb1EEEZNS1_14transform_implILb1ES3_S5_PKhPhNS0_8identityIhEEEE10hipError_tT2_T3_mT4_P12ihipStream_tbEUlT_E_NS1_11comp_targetILNS1_3genE3ELNS1_11target_archE908ELNS1_3gpuE7ELNS1_3repE0EEENS1_30default_config_static_selectorELNS0_4arch9wavefront6targetE0EEEvT1_.num_named_barrier, 0
	.set _ZN7rocprim17ROCPRIM_400000_NS6detail17trampoline_kernelINS0_14default_configENS1_25transform_config_selectorIhLb1EEEZNS1_14transform_implILb1ES3_S5_PKhPhNS0_8identityIhEEEE10hipError_tT2_T3_mT4_P12ihipStream_tbEUlT_E_NS1_11comp_targetILNS1_3genE3ELNS1_11target_archE908ELNS1_3gpuE7ELNS1_3repE0EEENS1_30default_config_static_selectorELNS0_4arch9wavefront6targetE0EEEvT1_.private_seg_size, 0
	.set _ZN7rocprim17ROCPRIM_400000_NS6detail17trampoline_kernelINS0_14default_configENS1_25transform_config_selectorIhLb1EEEZNS1_14transform_implILb1ES3_S5_PKhPhNS0_8identityIhEEEE10hipError_tT2_T3_mT4_P12ihipStream_tbEUlT_E_NS1_11comp_targetILNS1_3genE3ELNS1_11target_archE908ELNS1_3gpuE7ELNS1_3repE0EEENS1_30default_config_static_selectorELNS0_4arch9wavefront6targetE0EEEvT1_.uses_vcc, 0
	.set _ZN7rocprim17ROCPRIM_400000_NS6detail17trampoline_kernelINS0_14default_configENS1_25transform_config_selectorIhLb1EEEZNS1_14transform_implILb1ES3_S5_PKhPhNS0_8identityIhEEEE10hipError_tT2_T3_mT4_P12ihipStream_tbEUlT_E_NS1_11comp_targetILNS1_3genE3ELNS1_11target_archE908ELNS1_3gpuE7ELNS1_3repE0EEENS1_30default_config_static_selectorELNS0_4arch9wavefront6targetE0EEEvT1_.uses_flat_scratch, 0
	.set _ZN7rocprim17ROCPRIM_400000_NS6detail17trampoline_kernelINS0_14default_configENS1_25transform_config_selectorIhLb1EEEZNS1_14transform_implILb1ES3_S5_PKhPhNS0_8identityIhEEEE10hipError_tT2_T3_mT4_P12ihipStream_tbEUlT_E_NS1_11comp_targetILNS1_3genE3ELNS1_11target_archE908ELNS1_3gpuE7ELNS1_3repE0EEENS1_30default_config_static_selectorELNS0_4arch9wavefront6targetE0EEEvT1_.has_dyn_sized_stack, 0
	.set _ZN7rocprim17ROCPRIM_400000_NS6detail17trampoline_kernelINS0_14default_configENS1_25transform_config_selectorIhLb1EEEZNS1_14transform_implILb1ES3_S5_PKhPhNS0_8identityIhEEEE10hipError_tT2_T3_mT4_P12ihipStream_tbEUlT_E_NS1_11comp_targetILNS1_3genE3ELNS1_11target_archE908ELNS1_3gpuE7ELNS1_3repE0EEENS1_30default_config_static_selectorELNS0_4arch9wavefront6targetE0EEEvT1_.has_recursion, 0
	.set _ZN7rocprim17ROCPRIM_400000_NS6detail17trampoline_kernelINS0_14default_configENS1_25transform_config_selectorIhLb1EEEZNS1_14transform_implILb1ES3_S5_PKhPhNS0_8identityIhEEEE10hipError_tT2_T3_mT4_P12ihipStream_tbEUlT_E_NS1_11comp_targetILNS1_3genE3ELNS1_11target_archE908ELNS1_3gpuE7ELNS1_3repE0EEENS1_30default_config_static_selectorELNS0_4arch9wavefront6targetE0EEEvT1_.has_indirect_call, 0
	.section	.AMDGPU.csdata,"",@progbits
; Kernel info:
; codeLenInByte = 0
; TotalNumSgprs: 0
; NumVgprs: 0
; ScratchSize: 0
; MemoryBound: 0
; FloatMode: 240
; IeeeMode: 1
; LDSByteSize: 0 bytes/workgroup (compile time only)
; SGPRBlocks: 0
; VGPRBlocks: 0
; NumSGPRsForWavesPerEU: 1
; NumVGPRsForWavesPerEU: 1
; NamedBarCnt: 0
; Occupancy: 16
; WaveLimiterHint : 0
; COMPUTE_PGM_RSRC2:SCRATCH_EN: 0
; COMPUTE_PGM_RSRC2:USER_SGPR: 2
; COMPUTE_PGM_RSRC2:TRAP_HANDLER: 0
; COMPUTE_PGM_RSRC2:TGID_X_EN: 1
; COMPUTE_PGM_RSRC2:TGID_Y_EN: 0
; COMPUTE_PGM_RSRC2:TGID_Z_EN: 0
; COMPUTE_PGM_RSRC2:TIDIG_COMP_CNT: 0
	.section	.text._ZN7rocprim17ROCPRIM_400000_NS6detail17trampoline_kernelINS0_14default_configENS1_25transform_config_selectorIhLb1EEEZNS1_14transform_implILb1ES3_S5_PKhPhNS0_8identityIhEEEE10hipError_tT2_T3_mT4_P12ihipStream_tbEUlT_E_NS1_11comp_targetILNS1_3genE2ELNS1_11target_archE906ELNS1_3gpuE6ELNS1_3repE0EEENS1_30default_config_static_selectorELNS0_4arch9wavefront6targetE0EEEvT1_,"axG",@progbits,_ZN7rocprim17ROCPRIM_400000_NS6detail17trampoline_kernelINS0_14default_configENS1_25transform_config_selectorIhLb1EEEZNS1_14transform_implILb1ES3_S5_PKhPhNS0_8identityIhEEEE10hipError_tT2_T3_mT4_P12ihipStream_tbEUlT_E_NS1_11comp_targetILNS1_3genE2ELNS1_11target_archE906ELNS1_3gpuE6ELNS1_3repE0EEENS1_30default_config_static_selectorELNS0_4arch9wavefront6targetE0EEEvT1_,comdat
	.protected	_ZN7rocprim17ROCPRIM_400000_NS6detail17trampoline_kernelINS0_14default_configENS1_25transform_config_selectorIhLb1EEEZNS1_14transform_implILb1ES3_S5_PKhPhNS0_8identityIhEEEE10hipError_tT2_T3_mT4_P12ihipStream_tbEUlT_E_NS1_11comp_targetILNS1_3genE2ELNS1_11target_archE906ELNS1_3gpuE6ELNS1_3repE0EEENS1_30default_config_static_selectorELNS0_4arch9wavefront6targetE0EEEvT1_ ; -- Begin function _ZN7rocprim17ROCPRIM_400000_NS6detail17trampoline_kernelINS0_14default_configENS1_25transform_config_selectorIhLb1EEEZNS1_14transform_implILb1ES3_S5_PKhPhNS0_8identityIhEEEE10hipError_tT2_T3_mT4_P12ihipStream_tbEUlT_E_NS1_11comp_targetILNS1_3genE2ELNS1_11target_archE906ELNS1_3gpuE6ELNS1_3repE0EEENS1_30default_config_static_selectorELNS0_4arch9wavefront6targetE0EEEvT1_
	.globl	_ZN7rocprim17ROCPRIM_400000_NS6detail17trampoline_kernelINS0_14default_configENS1_25transform_config_selectorIhLb1EEEZNS1_14transform_implILb1ES3_S5_PKhPhNS0_8identityIhEEEE10hipError_tT2_T3_mT4_P12ihipStream_tbEUlT_E_NS1_11comp_targetILNS1_3genE2ELNS1_11target_archE906ELNS1_3gpuE6ELNS1_3repE0EEENS1_30default_config_static_selectorELNS0_4arch9wavefront6targetE0EEEvT1_
	.p2align	8
	.type	_ZN7rocprim17ROCPRIM_400000_NS6detail17trampoline_kernelINS0_14default_configENS1_25transform_config_selectorIhLb1EEEZNS1_14transform_implILb1ES3_S5_PKhPhNS0_8identityIhEEEE10hipError_tT2_T3_mT4_P12ihipStream_tbEUlT_E_NS1_11comp_targetILNS1_3genE2ELNS1_11target_archE906ELNS1_3gpuE6ELNS1_3repE0EEENS1_30default_config_static_selectorELNS0_4arch9wavefront6targetE0EEEvT1_,@function
_ZN7rocprim17ROCPRIM_400000_NS6detail17trampoline_kernelINS0_14default_configENS1_25transform_config_selectorIhLb1EEEZNS1_14transform_implILb1ES3_S5_PKhPhNS0_8identityIhEEEE10hipError_tT2_T3_mT4_P12ihipStream_tbEUlT_E_NS1_11comp_targetILNS1_3genE2ELNS1_11target_archE906ELNS1_3gpuE6ELNS1_3repE0EEENS1_30default_config_static_selectorELNS0_4arch9wavefront6targetE0EEEvT1_: ; @_ZN7rocprim17ROCPRIM_400000_NS6detail17trampoline_kernelINS0_14default_configENS1_25transform_config_selectorIhLb1EEEZNS1_14transform_implILb1ES3_S5_PKhPhNS0_8identityIhEEEE10hipError_tT2_T3_mT4_P12ihipStream_tbEUlT_E_NS1_11comp_targetILNS1_3genE2ELNS1_11target_archE906ELNS1_3gpuE6ELNS1_3repE0EEENS1_30default_config_static_selectorELNS0_4arch9wavefront6targetE0EEEvT1_
; %bb.0:
	.section	.rodata,"a",@progbits
	.p2align	6, 0x0
	.amdhsa_kernel _ZN7rocprim17ROCPRIM_400000_NS6detail17trampoline_kernelINS0_14default_configENS1_25transform_config_selectorIhLb1EEEZNS1_14transform_implILb1ES3_S5_PKhPhNS0_8identityIhEEEE10hipError_tT2_T3_mT4_P12ihipStream_tbEUlT_E_NS1_11comp_targetILNS1_3genE2ELNS1_11target_archE906ELNS1_3gpuE6ELNS1_3repE0EEENS1_30default_config_static_selectorELNS0_4arch9wavefront6targetE0EEEvT1_
		.amdhsa_group_segment_fixed_size 0
		.amdhsa_private_segment_fixed_size 0
		.amdhsa_kernarg_size 40
		.amdhsa_user_sgpr_count 2
		.amdhsa_user_sgpr_dispatch_ptr 0
		.amdhsa_user_sgpr_queue_ptr 0
		.amdhsa_user_sgpr_kernarg_segment_ptr 1
		.amdhsa_user_sgpr_dispatch_id 0
		.amdhsa_user_sgpr_kernarg_preload_length 0
		.amdhsa_user_sgpr_kernarg_preload_offset 0
		.amdhsa_user_sgpr_private_segment_size 0
		.amdhsa_wavefront_size32 1
		.amdhsa_uses_dynamic_stack 0
		.amdhsa_enable_private_segment 0
		.amdhsa_system_sgpr_workgroup_id_x 1
		.amdhsa_system_sgpr_workgroup_id_y 0
		.amdhsa_system_sgpr_workgroup_id_z 0
		.amdhsa_system_sgpr_workgroup_info 0
		.amdhsa_system_vgpr_workitem_id 0
		.amdhsa_next_free_vgpr 1
		.amdhsa_next_free_sgpr 1
		.amdhsa_named_barrier_count 0
		.amdhsa_reserve_vcc 0
		.amdhsa_float_round_mode_32 0
		.amdhsa_float_round_mode_16_64 0
		.amdhsa_float_denorm_mode_32 3
		.amdhsa_float_denorm_mode_16_64 3
		.amdhsa_fp16_overflow 0
		.amdhsa_memory_ordered 1
		.amdhsa_forward_progress 1
		.amdhsa_inst_pref_size 0
		.amdhsa_round_robin_scheduling 0
		.amdhsa_exception_fp_ieee_invalid_op 0
		.amdhsa_exception_fp_denorm_src 0
		.amdhsa_exception_fp_ieee_div_zero 0
		.amdhsa_exception_fp_ieee_overflow 0
		.amdhsa_exception_fp_ieee_underflow 0
		.amdhsa_exception_fp_ieee_inexact 0
		.amdhsa_exception_int_div_zero 0
	.end_amdhsa_kernel
	.section	.text._ZN7rocprim17ROCPRIM_400000_NS6detail17trampoline_kernelINS0_14default_configENS1_25transform_config_selectorIhLb1EEEZNS1_14transform_implILb1ES3_S5_PKhPhNS0_8identityIhEEEE10hipError_tT2_T3_mT4_P12ihipStream_tbEUlT_E_NS1_11comp_targetILNS1_3genE2ELNS1_11target_archE906ELNS1_3gpuE6ELNS1_3repE0EEENS1_30default_config_static_selectorELNS0_4arch9wavefront6targetE0EEEvT1_,"axG",@progbits,_ZN7rocprim17ROCPRIM_400000_NS6detail17trampoline_kernelINS0_14default_configENS1_25transform_config_selectorIhLb1EEEZNS1_14transform_implILb1ES3_S5_PKhPhNS0_8identityIhEEEE10hipError_tT2_T3_mT4_P12ihipStream_tbEUlT_E_NS1_11comp_targetILNS1_3genE2ELNS1_11target_archE906ELNS1_3gpuE6ELNS1_3repE0EEENS1_30default_config_static_selectorELNS0_4arch9wavefront6targetE0EEEvT1_,comdat
.Lfunc_end105:
	.size	_ZN7rocprim17ROCPRIM_400000_NS6detail17trampoline_kernelINS0_14default_configENS1_25transform_config_selectorIhLb1EEEZNS1_14transform_implILb1ES3_S5_PKhPhNS0_8identityIhEEEE10hipError_tT2_T3_mT4_P12ihipStream_tbEUlT_E_NS1_11comp_targetILNS1_3genE2ELNS1_11target_archE906ELNS1_3gpuE6ELNS1_3repE0EEENS1_30default_config_static_selectorELNS0_4arch9wavefront6targetE0EEEvT1_, .Lfunc_end105-_ZN7rocprim17ROCPRIM_400000_NS6detail17trampoline_kernelINS0_14default_configENS1_25transform_config_selectorIhLb1EEEZNS1_14transform_implILb1ES3_S5_PKhPhNS0_8identityIhEEEE10hipError_tT2_T3_mT4_P12ihipStream_tbEUlT_E_NS1_11comp_targetILNS1_3genE2ELNS1_11target_archE906ELNS1_3gpuE6ELNS1_3repE0EEENS1_30default_config_static_selectorELNS0_4arch9wavefront6targetE0EEEvT1_
                                        ; -- End function
	.set _ZN7rocprim17ROCPRIM_400000_NS6detail17trampoline_kernelINS0_14default_configENS1_25transform_config_selectorIhLb1EEEZNS1_14transform_implILb1ES3_S5_PKhPhNS0_8identityIhEEEE10hipError_tT2_T3_mT4_P12ihipStream_tbEUlT_E_NS1_11comp_targetILNS1_3genE2ELNS1_11target_archE906ELNS1_3gpuE6ELNS1_3repE0EEENS1_30default_config_static_selectorELNS0_4arch9wavefront6targetE0EEEvT1_.num_vgpr, 0
	.set _ZN7rocprim17ROCPRIM_400000_NS6detail17trampoline_kernelINS0_14default_configENS1_25transform_config_selectorIhLb1EEEZNS1_14transform_implILb1ES3_S5_PKhPhNS0_8identityIhEEEE10hipError_tT2_T3_mT4_P12ihipStream_tbEUlT_E_NS1_11comp_targetILNS1_3genE2ELNS1_11target_archE906ELNS1_3gpuE6ELNS1_3repE0EEENS1_30default_config_static_selectorELNS0_4arch9wavefront6targetE0EEEvT1_.num_agpr, 0
	.set _ZN7rocprim17ROCPRIM_400000_NS6detail17trampoline_kernelINS0_14default_configENS1_25transform_config_selectorIhLb1EEEZNS1_14transform_implILb1ES3_S5_PKhPhNS0_8identityIhEEEE10hipError_tT2_T3_mT4_P12ihipStream_tbEUlT_E_NS1_11comp_targetILNS1_3genE2ELNS1_11target_archE906ELNS1_3gpuE6ELNS1_3repE0EEENS1_30default_config_static_selectorELNS0_4arch9wavefront6targetE0EEEvT1_.numbered_sgpr, 0
	.set _ZN7rocprim17ROCPRIM_400000_NS6detail17trampoline_kernelINS0_14default_configENS1_25transform_config_selectorIhLb1EEEZNS1_14transform_implILb1ES3_S5_PKhPhNS0_8identityIhEEEE10hipError_tT2_T3_mT4_P12ihipStream_tbEUlT_E_NS1_11comp_targetILNS1_3genE2ELNS1_11target_archE906ELNS1_3gpuE6ELNS1_3repE0EEENS1_30default_config_static_selectorELNS0_4arch9wavefront6targetE0EEEvT1_.num_named_barrier, 0
	.set _ZN7rocprim17ROCPRIM_400000_NS6detail17trampoline_kernelINS0_14default_configENS1_25transform_config_selectorIhLb1EEEZNS1_14transform_implILb1ES3_S5_PKhPhNS0_8identityIhEEEE10hipError_tT2_T3_mT4_P12ihipStream_tbEUlT_E_NS1_11comp_targetILNS1_3genE2ELNS1_11target_archE906ELNS1_3gpuE6ELNS1_3repE0EEENS1_30default_config_static_selectorELNS0_4arch9wavefront6targetE0EEEvT1_.private_seg_size, 0
	.set _ZN7rocprim17ROCPRIM_400000_NS6detail17trampoline_kernelINS0_14default_configENS1_25transform_config_selectorIhLb1EEEZNS1_14transform_implILb1ES3_S5_PKhPhNS0_8identityIhEEEE10hipError_tT2_T3_mT4_P12ihipStream_tbEUlT_E_NS1_11comp_targetILNS1_3genE2ELNS1_11target_archE906ELNS1_3gpuE6ELNS1_3repE0EEENS1_30default_config_static_selectorELNS0_4arch9wavefront6targetE0EEEvT1_.uses_vcc, 0
	.set _ZN7rocprim17ROCPRIM_400000_NS6detail17trampoline_kernelINS0_14default_configENS1_25transform_config_selectorIhLb1EEEZNS1_14transform_implILb1ES3_S5_PKhPhNS0_8identityIhEEEE10hipError_tT2_T3_mT4_P12ihipStream_tbEUlT_E_NS1_11comp_targetILNS1_3genE2ELNS1_11target_archE906ELNS1_3gpuE6ELNS1_3repE0EEENS1_30default_config_static_selectorELNS0_4arch9wavefront6targetE0EEEvT1_.uses_flat_scratch, 0
	.set _ZN7rocprim17ROCPRIM_400000_NS6detail17trampoline_kernelINS0_14default_configENS1_25transform_config_selectorIhLb1EEEZNS1_14transform_implILb1ES3_S5_PKhPhNS0_8identityIhEEEE10hipError_tT2_T3_mT4_P12ihipStream_tbEUlT_E_NS1_11comp_targetILNS1_3genE2ELNS1_11target_archE906ELNS1_3gpuE6ELNS1_3repE0EEENS1_30default_config_static_selectorELNS0_4arch9wavefront6targetE0EEEvT1_.has_dyn_sized_stack, 0
	.set _ZN7rocprim17ROCPRIM_400000_NS6detail17trampoline_kernelINS0_14default_configENS1_25transform_config_selectorIhLb1EEEZNS1_14transform_implILb1ES3_S5_PKhPhNS0_8identityIhEEEE10hipError_tT2_T3_mT4_P12ihipStream_tbEUlT_E_NS1_11comp_targetILNS1_3genE2ELNS1_11target_archE906ELNS1_3gpuE6ELNS1_3repE0EEENS1_30default_config_static_selectorELNS0_4arch9wavefront6targetE0EEEvT1_.has_recursion, 0
	.set _ZN7rocprim17ROCPRIM_400000_NS6detail17trampoline_kernelINS0_14default_configENS1_25transform_config_selectorIhLb1EEEZNS1_14transform_implILb1ES3_S5_PKhPhNS0_8identityIhEEEE10hipError_tT2_T3_mT4_P12ihipStream_tbEUlT_E_NS1_11comp_targetILNS1_3genE2ELNS1_11target_archE906ELNS1_3gpuE6ELNS1_3repE0EEENS1_30default_config_static_selectorELNS0_4arch9wavefront6targetE0EEEvT1_.has_indirect_call, 0
	.section	.AMDGPU.csdata,"",@progbits
; Kernel info:
; codeLenInByte = 0
; TotalNumSgprs: 0
; NumVgprs: 0
; ScratchSize: 0
; MemoryBound: 0
; FloatMode: 240
; IeeeMode: 1
; LDSByteSize: 0 bytes/workgroup (compile time only)
; SGPRBlocks: 0
; VGPRBlocks: 0
; NumSGPRsForWavesPerEU: 1
; NumVGPRsForWavesPerEU: 1
; NamedBarCnt: 0
; Occupancy: 16
; WaveLimiterHint : 0
; COMPUTE_PGM_RSRC2:SCRATCH_EN: 0
; COMPUTE_PGM_RSRC2:USER_SGPR: 2
; COMPUTE_PGM_RSRC2:TRAP_HANDLER: 0
; COMPUTE_PGM_RSRC2:TGID_X_EN: 1
; COMPUTE_PGM_RSRC2:TGID_Y_EN: 0
; COMPUTE_PGM_RSRC2:TGID_Z_EN: 0
; COMPUTE_PGM_RSRC2:TIDIG_COMP_CNT: 0
	.section	.text._ZN7rocprim17ROCPRIM_400000_NS6detail17trampoline_kernelINS0_14default_configENS1_25transform_config_selectorIhLb1EEEZNS1_14transform_implILb1ES3_S5_PKhPhNS0_8identityIhEEEE10hipError_tT2_T3_mT4_P12ihipStream_tbEUlT_E_NS1_11comp_targetILNS1_3genE9ELNS1_11target_archE1100ELNS1_3gpuE3ELNS1_3repE0EEENS1_30default_config_static_selectorELNS0_4arch9wavefront6targetE0EEEvT1_,"axG",@progbits,_ZN7rocprim17ROCPRIM_400000_NS6detail17trampoline_kernelINS0_14default_configENS1_25transform_config_selectorIhLb1EEEZNS1_14transform_implILb1ES3_S5_PKhPhNS0_8identityIhEEEE10hipError_tT2_T3_mT4_P12ihipStream_tbEUlT_E_NS1_11comp_targetILNS1_3genE9ELNS1_11target_archE1100ELNS1_3gpuE3ELNS1_3repE0EEENS1_30default_config_static_selectorELNS0_4arch9wavefront6targetE0EEEvT1_,comdat
	.protected	_ZN7rocprim17ROCPRIM_400000_NS6detail17trampoline_kernelINS0_14default_configENS1_25transform_config_selectorIhLb1EEEZNS1_14transform_implILb1ES3_S5_PKhPhNS0_8identityIhEEEE10hipError_tT2_T3_mT4_P12ihipStream_tbEUlT_E_NS1_11comp_targetILNS1_3genE9ELNS1_11target_archE1100ELNS1_3gpuE3ELNS1_3repE0EEENS1_30default_config_static_selectorELNS0_4arch9wavefront6targetE0EEEvT1_ ; -- Begin function _ZN7rocprim17ROCPRIM_400000_NS6detail17trampoline_kernelINS0_14default_configENS1_25transform_config_selectorIhLb1EEEZNS1_14transform_implILb1ES3_S5_PKhPhNS0_8identityIhEEEE10hipError_tT2_T3_mT4_P12ihipStream_tbEUlT_E_NS1_11comp_targetILNS1_3genE9ELNS1_11target_archE1100ELNS1_3gpuE3ELNS1_3repE0EEENS1_30default_config_static_selectorELNS0_4arch9wavefront6targetE0EEEvT1_
	.globl	_ZN7rocprim17ROCPRIM_400000_NS6detail17trampoline_kernelINS0_14default_configENS1_25transform_config_selectorIhLb1EEEZNS1_14transform_implILb1ES3_S5_PKhPhNS0_8identityIhEEEE10hipError_tT2_T3_mT4_P12ihipStream_tbEUlT_E_NS1_11comp_targetILNS1_3genE9ELNS1_11target_archE1100ELNS1_3gpuE3ELNS1_3repE0EEENS1_30default_config_static_selectorELNS0_4arch9wavefront6targetE0EEEvT1_
	.p2align	8
	.type	_ZN7rocprim17ROCPRIM_400000_NS6detail17trampoline_kernelINS0_14default_configENS1_25transform_config_selectorIhLb1EEEZNS1_14transform_implILb1ES3_S5_PKhPhNS0_8identityIhEEEE10hipError_tT2_T3_mT4_P12ihipStream_tbEUlT_E_NS1_11comp_targetILNS1_3genE9ELNS1_11target_archE1100ELNS1_3gpuE3ELNS1_3repE0EEENS1_30default_config_static_selectorELNS0_4arch9wavefront6targetE0EEEvT1_,@function
_ZN7rocprim17ROCPRIM_400000_NS6detail17trampoline_kernelINS0_14default_configENS1_25transform_config_selectorIhLb1EEEZNS1_14transform_implILb1ES3_S5_PKhPhNS0_8identityIhEEEE10hipError_tT2_T3_mT4_P12ihipStream_tbEUlT_E_NS1_11comp_targetILNS1_3genE9ELNS1_11target_archE1100ELNS1_3gpuE3ELNS1_3repE0EEENS1_30default_config_static_selectorELNS0_4arch9wavefront6targetE0EEEvT1_: ; @_ZN7rocprim17ROCPRIM_400000_NS6detail17trampoline_kernelINS0_14default_configENS1_25transform_config_selectorIhLb1EEEZNS1_14transform_implILb1ES3_S5_PKhPhNS0_8identityIhEEEE10hipError_tT2_T3_mT4_P12ihipStream_tbEUlT_E_NS1_11comp_targetILNS1_3genE9ELNS1_11target_archE1100ELNS1_3gpuE3ELNS1_3repE0EEENS1_30default_config_static_selectorELNS0_4arch9wavefront6targetE0EEEvT1_
; %bb.0:
	.section	.rodata,"a",@progbits
	.p2align	6, 0x0
	.amdhsa_kernel _ZN7rocprim17ROCPRIM_400000_NS6detail17trampoline_kernelINS0_14default_configENS1_25transform_config_selectorIhLb1EEEZNS1_14transform_implILb1ES3_S5_PKhPhNS0_8identityIhEEEE10hipError_tT2_T3_mT4_P12ihipStream_tbEUlT_E_NS1_11comp_targetILNS1_3genE9ELNS1_11target_archE1100ELNS1_3gpuE3ELNS1_3repE0EEENS1_30default_config_static_selectorELNS0_4arch9wavefront6targetE0EEEvT1_
		.amdhsa_group_segment_fixed_size 0
		.amdhsa_private_segment_fixed_size 0
		.amdhsa_kernarg_size 40
		.amdhsa_user_sgpr_count 2
		.amdhsa_user_sgpr_dispatch_ptr 0
		.amdhsa_user_sgpr_queue_ptr 0
		.amdhsa_user_sgpr_kernarg_segment_ptr 1
		.amdhsa_user_sgpr_dispatch_id 0
		.amdhsa_user_sgpr_kernarg_preload_length 0
		.amdhsa_user_sgpr_kernarg_preload_offset 0
		.amdhsa_user_sgpr_private_segment_size 0
		.amdhsa_wavefront_size32 1
		.amdhsa_uses_dynamic_stack 0
		.amdhsa_enable_private_segment 0
		.amdhsa_system_sgpr_workgroup_id_x 1
		.amdhsa_system_sgpr_workgroup_id_y 0
		.amdhsa_system_sgpr_workgroup_id_z 0
		.amdhsa_system_sgpr_workgroup_info 0
		.amdhsa_system_vgpr_workitem_id 0
		.amdhsa_next_free_vgpr 1
		.amdhsa_next_free_sgpr 1
		.amdhsa_named_barrier_count 0
		.amdhsa_reserve_vcc 0
		.amdhsa_float_round_mode_32 0
		.amdhsa_float_round_mode_16_64 0
		.amdhsa_float_denorm_mode_32 3
		.amdhsa_float_denorm_mode_16_64 3
		.amdhsa_fp16_overflow 0
		.amdhsa_memory_ordered 1
		.amdhsa_forward_progress 1
		.amdhsa_inst_pref_size 0
		.amdhsa_round_robin_scheduling 0
		.amdhsa_exception_fp_ieee_invalid_op 0
		.amdhsa_exception_fp_denorm_src 0
		.amdhsa_exception_fp_ieee_div_zero 0
		.amdhsa_exception_fp_ieee_overflow 0
		.amdhsa_exception_fp_ieee_underflow 0
		.amdhsa_exception_fp_ieee_inexact 0
		.amdhsa_exception_int_div_zero 0
	.end_amdhsa_kernel
	.section	.text._ZN7rocprim17ROCPRIM_400000_NS6detail17trampoline_kernelINS0_14default_configENS1_25transform_config_selectorIhLb1EEEZNS1_14transform_implILb1ES3_S5_PKhPhNS0_8identityIhEEEE10hipError_tT2_T3_mT4_P12ihipStream_tbEUlT_E_NS1_11comp_targetILNS1_3genE9ELNS1_11target_archE1100ELNS1_3gpuE3ELNS1_3repE0EEENS1_30default_config_static_selectorELNS0_4arch9wavefront6targetE0EEEvT1_,"axG",@progbits,_ZN7rocprim17ROCPRIM_400000_NS6detail17trampoline_kernelINS0_14default_configENS1_25transform_config_selectorIhLb1EEEZNS1_14transform_implILb1ES3_S5_PKhPhNS0_8identityIhEEEE10hipError_tT2_T3_mT4_P12ihipStream_tbEUlT_E_NS1_11comp_targetILNS1_3genE9ELNS1_11target_archE1100ELNS1_3gpuE3ELNS1_3repE0EEENS1_30default_config_static_selectorELNS0_4arch9wavefront6targetE0EEEvT1_,comdat
.Lfunc_end106:
	.size	_ZN7rocprim17ROCPRIM_400000_NS6detail17trampoline_kernelINS0_14default_configENS1_25transform_config_selectorIhLb1EEEZNS1_14transform_implILb1ES3_S5_PKhPhNS0_8identityIhEEEE10hipError_tT2_T3_mT4_P12ihipStream_tbEUlT_E_NS1_11comp_targetILNS1_3genE9ELNS1_11target_archE1100ELNS1_3gpuE3ELNS1_3repE0EEENS1_30default_config_static_selectorELNS0_4arch9wavefront6targetE0EEEvT1_, .Lfunc_end106-_ZN7rocprim17ROCPRIM_400000_NS6detail17trampoline_kernelINS0_14default_configENS1_25transform_config_selectorIhLb1EEEZNS1_14transform_implILb1ES3_S5_PKhPhNS0_8identityIhEEEE10hipError_tT2_T3_mT4_P12ihipStream_tbEUlT_E_NS1_11comp_targetILNS1_3genE9ELNS1_11target_archE1100ELNS1_3gpuE3ELNS1_3repE0EEENS1_30default_config_static_selectorELNS0_4arch9wavefront6targetE0EEEvT1_
                                        ; -- End function
	.set _ZN7rocprim17ROCPRIM_400000_NS6detail17trampoline_kernelINS0_14default_configENS1_25transform_config_selectorIhLb1EEEZNS1_14transform_implILb1ES3_S5_PKhPhNS0_8identityIhEEEE10hipError_tT2_T3_mT4_P12ihipStream_tbEUlT_E_NS1_11comp_targetILNS1_3genE9ELNS1_11target_archE1100ELNS1_3gpuE3ELNS1_3repE0EEENS1_30default_config_static_selectorELNS0_4arch9wavefront6targetE0EEEvT1_.num_vgpr, 0
	.set _ZN7rocprim17ROCPRIM_400000_NS6detail17trampoline_kernelINS0_14default_configENS1_25transform_config_selectorIhLb1EEEZNS1_14transform_implILb1ES3_S5_PKhPhNS0_8identityIhEEEE10hipError_tT2_T3_mT4_P12ihipStream_tbEUlT_E_NS1_11comp_targetILNS1_3genE9ELNS1_11target_archE1100ELNS1_3gpuE3ELNS1_3repE0EEENS1_30default_config_static_selectorELNS0_4arch9wavefront6targetE0EEEvT1_.num_agpr, 0
	.set _ZN7rocprim17ROCPRIM_400000_NS6detail17trampoline_kernelINS0_14default_configENS1_25transform_config_selectorIhLb1EEEZNS1_14transform_implILb1ES3_S5_PKhPhNS0_8identityIhEEEE10hipError_tT2_T3_mT4_P12ihipStream_tbEUlT_E_NS1_11comp_targetILNS1_3genE9ELNS1_11target_archE1100ELNS1_3gpuE3ELNS1_3repE0EEENS1_30default_config_static_selectorELNS0_4arch9wavefront6targetE0EEEvT1_.numbered_sgpr, 0
	.set _ZN7rocprim17ROCPRIM_400000_NS6detail17trampoline_kernelINS0_14default_configENS1_25transform_config_selectorIhLb1EEEZNS1_14transform_implILb1ES3_S5_PKhPhNS0_8identityIhEEEE10hipError_tT2_T3_mT4_P12ihipStream_tbEUlT_E_NS1_11comp_targetILNS1_3genE9ELNS1_11target_archE1100ELNS1_3gpuE3ELNS1_3repE0EEENS1_30default_config_static_selectorELNS0_4arch9wavefront6targetE0EEEvT1_.num_named_barrier, 0
	.set _ZN7rocprim17ROCPRIM_400000_NS6detail17trampoline_kernelINS0_14default_configENS1_25transform_config_selectorIhLb1EEEZNS1_14transform_implILb1ES3_S5_PKhPhNS0_8identityIhEEEE10hipError_tT2_T3_mT4_P12ihipStream_tbEUlT_E_NS1_11comp_targetILNS1_3genE9ELNS1_11target_archE1100ELNS1_3gpuE3ELNS1_3repE0EEENS1_30default_config_static_selectorELNS0_4arch9wavefront6targetE0EEEvT1_.private_seg_size, 0
	.set _ZN7rocprim17ROCPRIM_400000_NS6detail17trampoline_kernelINS0_14default_configENS1_25transform_config_selectorIhLb1EEEZNS1_14transform_implILb1ES3_S5_PKhPhNS0_8identityIhEEEE10hipError_tT2_T3_mT4_P12ihipStream_tbEUlT_E_NS1_11comp_targetILNS1_3genE9ELNS1_11target_archE1100ELNS1_3gpuE3ELNS1_3repE0EEENS1_30default_config_static_selectorELNS0_4arch9wavefront6targetE0EEEvT1_.uses_vcc, 0
	.set _ZN7rocprim17ROCPRIM_400000_NS6detail17trampoline_kernelINS0_14default_configENS1_25transform_config_selectorIhLb1EEEZNS1_14transform_implILb1ES3_S5_PKhPhNS0_8identityIhEEEE10hipError_tT2_T3_mT4_P12ihipStream_tbEUlT_E_NS1_11comp_targetILNS1_3genE9ELNS1_11target_archE1100ELNS1_3gpuE3ELNS1_3repE0EEENS1_30default_config_static_selectorELNS0_4arch9wavefront6targetE0EEEvT1_.uses_flat_scratch, 0
	.set _ZN7rocprim17ROCPRIM_400000_NS6detail17trampoline_kernelINS0_14default_configENS1_25transform_config_selectorIhLb1EEEZNS1_14transform_implILb1ES3_S5_PKhPhNS0_8identityIhEEEE10hipError_tT2_T3_mT4_P12ihipStream_tbEUlT_E_NS1_11comp_targetILNS1_3genE9ELNS1_11target_archE1100ELNS1_3gpuE3ELNS1_3repE0EEENS1_30default_config_static_selectorELNS0_4arch9wavefront6targetE0EEEvT1_.has_dyn_sized_stack, 0
	.set _ZN7rocprim17ROCPRIM_400000_NS6detail17trampoline_kernelINS0_14default_configENS1_25transform_config_selectorIhLb1EEEZNS1_14transform_implILb1ES3_S5_PKhPhNS0_8identityIhEEEE10hipError_tT2_T3_mT4_P12ihipStream_tbEUlT_E_NS1_11comp_targetILNS1_3genE9ELNS1_11target_archE1100ELNS1_3gpuE3ELNS1_3repE0EEENS1_30default_config_static_selectorELNS0_4arch9wavefront6targetE0EEEvT1_.has_recursion, 0
	.set _ZN7rocprim17ROCPRIM_400000_NS6detail17trampoline_kernelINS0_14default_configENS1_25transform_config_selectorIhLb1EEEZNS1_14transform_implILb1ES3_S5_PKhPhNS0_8identityIhEEEE10hipError_tT2_T3_mT4_P12ihipStream_tbEUlT_E_NS1_11comp_targetILNS1_3genE9ELNS1_11target_archE1100ELNS1_3gpuE3ELNS1_3repE0EEENS1_30default_config_static_selectorELNS0_4arch9wavefront6targetE0EEEvT1_.has_indirect_call, 0
	.section	.AMDGPU.csdata,"",@progbits
; Kernel info:
; codeLenInByte = 0
; TotalNumSgprs: 0
; NumVgprs: 0
; ScratchSize: 0
; MemoryBound: 0
; FloatMode: 240
; IeeeMode: 1
; LDSByteSize: 0 bytes/workgroup (compile time only)
; SGPRBlocks: 0
; VGPRBlocks: 0
; NumSGPRsForWavesPerEU: 1
; NumVGPRsForWavesPerEU: 1
; NamedBarCnt: 0
; Occupancy: 16
; WaveLimiterHint : 0
; COMPUTE_PGM_RSRC2:SCRATCH_EN: 0
; COMPUTE_PGM_RSRC2:USER_SGPR: 2
; COMPUTE_PGM_RSRC2:TRAP_HANDLER: 0
; COMPUTE_PGM_RSRC2:TGID_X_EN: 1
; COMPUTE_PGM_RSRC2:TGID_Y_EN: 0
; COMPUTE_PGM_RSRC2:TGID_Z_EN: 0
; COMPUTE_PGM_RSRC2:TIDIG_COMP_CNT: 0
	.section	.text._ZN7rocprim17ROCPRIM_400000_NS6detail17trampoline_kernelINS0_14default_configENS1_25transform_config_selectorIhLb1EEEZNS1_14transform_implILb1ES3_S5_PKhPhNS0_8identityIhEEEE10hipError_tT2_T3_mT4_P12ihipStream_tbEUlT_E_NS1_11comp_targetILNS1_3genE8ELNS1_11target_archE1030ELNS1_3gpuE2ELNS1_3repE0EEENS1_30default_config_static_selectorELNS0_4arch9wavefront6targetE0EEEvT1_,"axG",@progbits,_ZN7rocprim17ROCPRIM_400000_NS6detail17trampoline_kernelINS0_14default_configENS1_25transform_config_selectorIhLb1EEEZNS1_14transform_implILb1ES3_S5_PKhPhNS0_8identityIhEEEE10hipError_tT2_T3_mT4_P12ihipStream_tbEUlT_E_NS1_11comp_targetILNS1_3genE8ELNS1_11target_archE1030ELNS1_3gpuE2ELNS1_3repE0EEENS1_30default_config_static_selectorELNS0_4arch9wavefront6targetE0EEEvT1_,comdat
	.protected	_ZN7rocprim17ROCPRIM_400000_NS6detail17trampoline_kernelINS0_14default_configENS1_25transform_config_selectorIhLb1EEEZNS1_14transform_implILb1ES3_S5_PKhPhNS0_8identityIhEEEE10hipError_tT2_T3_mT4_P12ihipStream_tbEUlT_E_NS1_11comp_targetILNS1_3genE8ELNS1_11target_archE1030ELNS1_3gpuE2ELNS1_3repE0EEENS1_30default_config_static_selectorELNS0_4arch9wavefront6targetE0EEEvT1_ ; -- Begin function _ZN7rocprim17ROCPRIM_400000_NS6detail17trampoline_kernelINS0_14default_configENS1_25transform_config_selectorIhLb1EEEZNS1_14transform_implILb1ES3_S5_PKhPhNS0_8identityIhEEEE10hipError_tT2_T3_mT4_P12ihipStream_tbEUlT_E_NS1_11comp_targetILNS1_3genE8ELNS1_11target_archE1030ELNS1_3gpuE2ELNS1_3repE0EEENS1_30default_config_static_selectorELNS0_4arch9wavefront6targetE0EEEvT1_
	.globl	_ZN7rocprim17ROCPRIM_400000_NS6detail17trampoline_kernelINS0_14default_configENS1_25transform_config_selectorIhLb1EEEZNS1_14transform_implILb1ES3_S5_PKhPhNS0_8identityIhEEEE10hipError_tT2_T3_mT4_P12ihipStream_tbEUlT_E_NS1_11comp_targetILNS1_3genE8ELNS1_11target_archE1030ELNS1_3gpuE2ELNS1_3repE0EEENS1_30default_config_static_selectorELNS0_4arch9wavefront6targetE0EEEvT1_
	.p2align	8
	.type	_ZN7rocprim17ROCPRIM_400000_NS6detail17trampoline_kernelINS0_14default_configENS1_25transform_config_selectorIhLb1EEEZNS1_14transform_implILb1ES3_S5_PKhPhNS0_8identityIhEEEE10hipError_tT2_T3_mT4_P12ihipStream_tbEUlT_E_NS1_11comp_targetILNS1_3genE8ELNS1_11target_archE1030ELNS1_3gpuE2ELNS1_3repE0EEENS1_30default_config_static_selectorELNS0_4arch9wavefront6targetE0EEEvT1_,@function
_ZN7rocprim17ROCPRIM_400000_NS6detail17trampoline_kernelINS0_14default_configENS1_25transform_config_selectorIhLb1EEEZNS1_14transform_implILb1ES3_S5_PKhPhNS0_8identityIhEEEE10hipError_tT2_T3_mT4_P12ihipStream_tbEUlT_E_NS1_11comp_targetILNS1_3genE8ELNS1_11target_archE1030ELNS1_3gpuE2ELNS1_3repE0EEENS1_30default_config_static_selectorELNS0_4arch9wavefront6targetE0EEEvT1_: ; @_ZN7rocprim17ROCPRIM_400000_NS6detail17trampoline_kernelINS0_14default_configENS1_25transform_config_selectorIhLb1EEEZNS1_14transform_implILb1ES3_S5_PKhPhNS0_8identityIhEEEE10hipError_tT2_T3_mT4_P12ihipStream_tbEUlT_E_NS1_11comp_targetILNS1_3genE8ELNS1_11target_archE1030ELNS1_3gpuE2ELNS1_3repE0EEENS1_30default_config_static_selectorELNS0_4arch9wavefront6targetE0EEEvT1_
; %bb.0:
	.section	.rodata,"a",@progbits
	.p2align	6, 0x0
	.amdhsa_kernel _ZN7rocprim17ROCPRIM_400000_NS6detail17trampoline_kernelINS0_14default_configENS1_25transform_config_selectorIhLb1EEEZNS1_14transform_implILb1ES3_S5_PKhPhNS0_8identityIhEEEE10hipError_tT2_T3_mT4_P12ihipStream_tbEUlT_E_NS1_11comp_targetILNS1_3genE8ELNS1_11target_archE1030ELNS1_3gpuE2ELNS1_3repE0EEENS1_30default_config_static_selectorELNS0_4arch9wavefront6targetE0EEEvT1_
		.amdhsa_group_segment_fixed_size 0
		.amdhsa_private_segment_fixed_size 0
		.amdhsa_kernarg_size 40
		.amdhsa_user_sgpr_count 2
		.amdhsa_user_sgpr_dispatch_ptr 0
		.amdhsa_user_sgpr_queue_ptr 0
		.amdhsa_user_sgpr_kernarg_segment_ptr 1
		.amdhsa_user_sgpr_dispatch_id 0
		.amdhsa_user_sgpr_kernarg_preload_length 0
		.amdhsa_user_sgpr_kernarg_preload_offset 0
		.amdhsa_user_sgpr_private_segment_size 0
		.amdhsa_wavefront_size32 1
		.amdhsa_uses_dynamic_stack 0
		.amdhsa_enable_private_segment 0
		.amdhsa_system_sgpr_workgroup_id_x 1
		.amdhsa_system_sgpr_workgroup_id_y 0
		.amdhsa_system_sgpr_workgroup_id_z 0
		.amdhsa_system_sgpr_workgroup_info 0
		.amdhsa_system_vgpr_workitem_id 0
		.amdhsa_next_free_vgpr 1
		.amdhsa_next_free_sgpr 1
		.amdhsa_named_barrier_count 0
		.amdhsa_reserve_vcc 0
		.amdhsa_float_round_mode_32 0
		.amdhsa_float_round_mode_16_64 0
		.amdhsa_float_denorm_mode_32 3
		.amdhsa_float_denorm_mode_16_64 3
		.amdhsa_fp16_overflow 0
		.amdhsa_memory_ordered 1
		.amdhsa_forward_progress 1
		.amdhsa_inst_pref_size 0
		.amdhsa_round_robin_scheduling 0
		.amdhsa_exception_fp_ieee_invalid_op 0
		.amdhsa_exception_fp_denorm_src 0
		.amdhsa_exception_fp_ieee_div_zero 0
		.amdhsa_exception_fp_ieee_overflow 0
		.amdhsa_exception_fp_ieee_underflow 0
		.amdhsa_exception_fp_ieee_inexact 0
		.amdhsa_exception_int_div_zero 0
	.end_amdhsa_kernel
	.section	.text._ZN7rocprim17ROCPRIM_400000_NS6detail17trampoline_kernelINS0_14default_configENS1_25transform_config_selectorIhLb1EEEZNS1_14transform_implILb1ES3_S5_PKhPhNS0_8identityIhEEEE10hipError_tT2_T3_mT4_P12ihipStream_tbEUlT_E_NS1_11comp_targetILNS1_3genE8ELNS1_11target_archE1030ELNS1_3gpuE2ELNS1_3repE0EEENS1_30default_config_static_selectorELNS0_4arch9wavefront6targetE0EEEvT1_,"axG",@progbits,_ZN7rocprim17ROCPRIM_400000_NS6detail17trampoline_kernelINS0_14default_configENS1_25transform_config_selectorIhLb1EEEZNS1_14transform_implILb1ES3_S5_PKhPhNS0_8identityIhEEEE10hipError_tT2_T3_mT4_P12ihipStream_tbEUlT_E_NS1_11comp_targetILNS1_3genE8ELNS1_11target_archE1030ELNS1_3gpuE2ELNS1_3repE0EEENS1_30default_config_static_selectorELNS0_4arch9wavefront6targetE0EEEvT1_,comdat
.Lfunc_end107:
	.size	_ZN7rocprim17ROCPRIM_400000_NS6detail17trampoline_kernelINS0_14default_configENS1_25transform_config_selectorIhLb1EEEZNS1_14transform_implILb1ES3_S5_PKhPhNS0_8identityIhEEEE10hipError_tT2_T3_mT4_P12ihipStream_tbEUlT_E_NS1_11comp_targetILNS1_3genE8ELNS1_11target_archE1030ELNS1_3gpuE2ELNS1_3repE0EEENS1_30default_config_static_selectorELNS0_4arch9wavefront6targetE0EEEvT1_, .Lfunc_end107-_ZN7rocprim17ROCPRIM_400000_NS6detail17trampoline_kernelINS0_14default_configENS1_25transform_config_selectorIhLb1EEEZNS1_14transform_implILb1ES3_S5_PKhPhNS0_8identityIhEEEE10hipError_tT2_T3_mT4_P12ihipStream_tbEUlT_E_NS1_11comp_targetILNS1_3genE8ELNS1_11target_archE1030ELNS1_3gpuE2ELNS1_3repE0EEENS1_30default_config_static_selectorELNS0_4arch9wavefront6targetE0EEEvT1_
                                        ; -- End function
	.set _ZN7rocprim17ROCPRIM_400000_NS6detail17trampoline_kernelINS0_14default_configENS1_25transform_config_selectorIhLb1EEEZNS1_14transform_implILb1ES3_S5_PKhPhNS0_8identityIhEEEE10hipError_tT2_T3_mT4_P12ihipStream_tbEUlT_E_NS1_11comp_targetILNS1_3genE8ELNS1_11target_archE1030ELNS1_3gpuE2ELNS1_3repE0EEENS1_30default_config_static_selectorELNS0_4arch9wavefront6targetE0EEEvT1_.num_vgpr, 0
	.set _ZN7rocprim17ROCPRIM_400000_NS6detail17trampoline_kernelINS0_14default_configENS1_25transform_config_selectorIhLb1EEEZNS1_14transform_implILb1ES3_S5_PKhPhNS0_8identityIhEEEE10hipError_tT2_T3_mT4_P12ihipStream_tbEUlT_E_NS1_11comp_targetILNS1_3genE8ELNS1_11target_archE1030ELNS1_3gpuE2ELNS1_3repE0EEENS1_30default_config_static_selectorELNS0_4arch9wavefront6targetE0EEEvT1_.num_agpr, 0
	.set _ZN7rocprim17ROCPRIM_400000_NS6detail17trampoline_kernelINS0_14default_configENS1_25transform_config_selectorIhLb1EEEZNS1_14transform_implILb1ES3_S5_PKhPhNS0_8identityIhEEEE10hipError_tT2_T3_mT4_P12ihipStream_tbEUlT_E_NS1_11comp_targetILNS1_3genE8ELNS1_11target_archE1030ELNS1_3gpuE2ELNS1_3repE0EEENS1_30default_config_static_selectorELNS0_4arch9wavefront6targetE0EEEvT1_.numbered_sgpr, 0
	.set _ZN7rocprim17ROCPRIM_400000_NS6detail17trampoline_kernelINS0_14default_configENS1_25transform_config_selectorIhLb1EEEZNS1_14transform_implILb1ES3_S5_PKhPhNS0_8identityIhEEEE10hipError_tT2_T3_mT4_P12ihipStream_tbEUlT_E_NS1_11comp_targetILNS1_3genE8ELNS1_11target_archE1030ELNS1_3gpuE2ELNS1_3repE0EEENS1_30default_config_static_selectorELNS0_4arch9wavefront6targetE0EEEvT1_.num_named_barrier, 0
	.set _ZN7rocprim17ROCPRIM_400000_NS6detail17trampoline_kernelINS0_14default_configENS1_25transform_config_selectorIhLb1EEEZNS1_14transform_implILb1ES3_S5_PKhPhNS0_8identityIhEEEE10hipError_tT2_T3_mT4_P12ihipStream_tbEUlT_E_NS1_11comp_targetILNS1_3genE8ELNS1_11target_archE1030ELNS1_3gpuE2ELNS1_3repE0EEENS1_30default_config_static_selectorELNS0_4arch9wavefront6targetE0EEEvT1_.private_seg_size, 0
	.set _ZN7rocprim17ROCPRIM_400000_NS6detail17trampoline_kernelINS0_14default_configENS1_25transform_config_selectorIhLb1EEEZNS1_14transform_implILb1ES3_S5_PKhPhNS0_8identityIhEEEE10hipError_tT2_T3_mT4_P12ihipStream_tbEUlT_E_NS1_11comp_targetILNS1_3genE8ELNS1_11target_archE1030ELNS1_3gpuE2ELNS1_3repE0EEENS1_30default_config_static_selectorELNS0_4arch9wavefront6targetE0EEEvT1_.uses_vcc, 0
	.set _ZN7rocprim17ROCPRIM_400000_NS6detail17trampoline_kernelINS0_14default_configENS1_25transform_config_selectorIhLb1EEEZNS1_14transform_implILb1ES3_S5_PKhPhNS0_8identityIhEEEE10hipError_tT2_T3_mT4_P12ihipStream_tbEUlT_E_NS1_11comp_targetILNS1_3genE8ELNS1_11target_archE1030ELNS1_3gpuE2ELNS1_3repE0EEENS1_30default_config_static_selectorELNS0_4arch9wavefront6targetE0EEEvT1_.uses_flat_scratch, 0
	.set _ZN7rocprim17ROCPRIM_400000_NS6detail17trampoline_kernelINS0_14default_configENS1_25transform_config_selectorIhLb1EEEZNS1_14transform_implILb1ES3_S5_PKhPhNS0_8identityIhEEEE10hipError_tT2_T3_mT4_P12ihipStream_tbEUlT_E_NS1_11comp_targetILNS1_3genE8ELNS1_11target_archE1030ELNS1_3gpuE2ELNS1_3repE0EEENS1_30default_config_static_selectorELNS0_4arch9wavefront6targetE0EEEvT1_.has_dyn_sized_stack, 0
	.set _ZN7rocprim17ROCPRIM_400000_NS6detail17trampoline_kernelINS0_14default_configENS1_25transform_config_selectorIhLb1EEEZNS1_14transform_implILb1ES3_S5_PKhPhNS0_8identityIhEEEE10hipError_tT2_T3_mT4_P12ihipStream_tbEUlT_E_NS1_11comp_targetILNS1_3genE8ELNS1_11target_archE1030ELNS1_3gpuE2ELNS1_3repE0EEENS1_30default_config_static_selectorELNS0_4arch9wavefront6targetE0EEEvT1_.has_recursion, 0
	.set _ZN7rocprim17ROCPRIM_400000_NS6detail17trampoline_kernelINS0_14default_configENS1_25transform_config_selectorIhLb1EEEZNS1_14transform_implILb1ES3_S5_PKhPhNS0_8identityIhEEEE10hipError_tT2_T3_mT4_P12ihipStream_tbEUlT_E_NS1_11comp_targetILNS1_3genE8ELNS1_11target_archE1030ELNS1_3gpuE2ELNS1_3repE0EEENS1_30default_config_static_selectorELNS0_4arch9wavefront6targetE0EEEvT1_.has_indirect_call, 0
	.section	.AMDGPU.csdata,"",@progbits
; Kernel info:
; codeLenInByte = 0
; TotalNumSgprs: 0
; NumVgprs: 0
; ScratchSize: 0
; MemoryBound: 0
; FloatMode: 240
; IeeeMode: 1
; LDSByteSize: 0 bytes/workgroup (compile time only)
; SGPRBlocks: 0
; VGPRBlocks: 0
; NumSGPRsForWavesPerEU: 1
; NumVGPRsForWavesPerEU: 1
; NamedBarCnt: 0
; Occupancy: 16
; WaveLimiterHint : 0
; COMPUTE_PGM_RSRC2:SCRATCH_EN: 0
; COMPUTE_PGM_RSRC2:USER_SGPR: 2
; COMPUTE_PGM_RSRC2:TRAP_HANDLER: 0
; COMPUTE_PGM_RSRC2:TGID_X_EN: 1
; COMPUTE_PGM_RSRC2:TGID_Y_EN: 0
; COMPUTE_PGM_RSRC2:TGID_Z_EN: 0
; COMPUTE_PGM_RSRC2:TIDIG_COMP_CNT: 0
	.section	.text._ZN7rocprim17ROCPRIM_400000_NS6detail17trampoline_kernelINS0_14default_configENS1_35radix_sort_onesweep_config_selectorIhNS0_10empty_typeEEEZZNS1_29radix_sort_onesweep_iterationIS3_Lb1EPKhPhPS5_SB_mNS0_19identity_decomposerENS1_16block_id_wrapperIjLb1EEEEE10hipError_tT1_PNSt15iterator_traitsISG_E10value_typeET2_T3_PNSH_ISM_E10value_typeET4_T5_PSR_SS_PNS1_23onesweep_lookback_stateEbbT6_jjT7_P12ihipStream_tbENKUlT_T0_SG_SL_E_clIS9_SA_SB_SB_EEDaSZ_S10_SG_SL_EUlSZ_E_NS1_11comp_targetILNS1_3genE0ELNS1_11target_archE4294967295ELNS1_3gpuE0ELNS1_3repE0EEENS1_47radix_sort_onesweep_sort_config_static_selectorELNS0_4arch9wavefront6targetE0EEEvSG_,"axG",@progbits,_ZN7rocprim17ROCPRIM_400000_NS6detail17trampoline_kernelINS0_14default_configENS1_35radix_sort_onesweep_config_selectorIhNS0_10empty_typeEEEZZNS1_29radix_sort_onesweep_iterationIS3_Lb1EPKhPhPS5_SB_mNS0_19identity_decomposerENS1_16block_id_wrapperIjLb1EEEEE10hipError_tT1_PNSt15iterator_traitsISG_E10value_typeET2_T3_PNSH_ISM_E10value_typeET4_T5_PSR_SS_PNS1_23onesweep_lookback_stateEbbT6_jjT7_P12ihipStream_tbENKUlT_T0_SG_SL_E_clIS9_SA_SB_SB_EEDaSZ_S10_SG_SL_EUlSZ_E_NS1_11comp_targetILNS1_3genE0ELNS1_11target_archE4294967295ELNS1_3gpuE0ELNS1_3repE0EEENS1_47radix_sort_onesweep_sort_config_static_selectorELNS0_4arch9wavefront6targetE0EEEvSG_,comdat
	.protected	_ZN7rocprim17ROCPRIM_400000_NS6detail17trampoline_kernelINS0_14default_configENS1_35radix_sort_onesweep_config_selectorIhNS0_10empty_typeEEEZZNS1_29radix_sort_onesweep_iterationIS3_Lb1EPKhPhPS5_SB_mNS0_19identity_decomposerENS1_16block_id_wrapperIjLb1EEEEE10hipError_tT1_PNSt15iterator_traitsISG_E10value_typeET2_T3_PNSH_ISM_E10value_typeET4_T5_PSR_SS_PNS1_23onesweep_lookback_stateEbbT6_jjT7_P12ihipStream_tbENKUlT_T0_SG_SL_E_clIS9_SA_SB_SB_EEDaSZ_S10_SG_SL_EUlSZ_E_NS1_11comp_targetILNS1_3genE0ELNS1_11target_archE4294967295ELNS1_3gpuE0ELNS1_3repE0EEENS1_47radix_sort_onesweep_sort_config_static_selectorELNS0_4arch9wavefront6targetE0EEEvSG_ ; -- Begin function _ZN7rocprim17ROCPRIM_400000_NS6detail17trampoline_kernelINS0_14default_configENS1_35radix_sort_onesweep_config_selectorIhNS0_10empty_typeEEEZZNS1_29radix_sort_onesweep_iterationIS3_Lb1EPKhPhPS5_SB_mNS0_19identity_decomposerENS1_16block_id_wrapperIjLb1EEEEE10hipError_tT1_PNSt15iterator_traitsISG_E10value_typeET2_T3_PNSH_ISM_E10value_typeET4_T5_PSR_SS_PNS1_23onesweep_lookback_stateEbbT6_jjT7_P12ihipStream_tbENKUlT_T0_SG_SL_E_clIS9_SA_SB_SB_EEDaSZ_S10_SG_SL_EUlSZ_E_NS1_11comp_targetILNS1_3genE0ELNS1_11target_archE4294967295ELNS1_3gpuE0ELNS1_3repE0EEENS1_47radix_sort_onesweep_sort_config_static_selectorELNS0_4arch9wavefront6targetE0EEEvSG_
	.globl	_ZN7rocprim17ROCPRIM_400000_NS6detail17trampoline_kernelINS0_14default_configENS1_35radix_sort_onesweep_config_selectorIhNS0_10empty_typeEEEZZNS1_29radix_sort_onesweep_iterationIS3_Lb1EPKhPhPS5_SB_mNS0_19identity_decomposerENS1_16block_id_wrapperIjLb1EEEEE10hipError_tT1_PNSt15iterator_traitsISG_E10value_typeET2_T3_PNSH_ISM_E10value_typeET4_T5_PSR_SS_PNS1_23onesweep_lookback_stateEbbT6_jjT7_P12ihipStream_tbENKUlT_T0_SG_SL_E_clIS9_SA_SB_SB_EEDaSZ_S10_SG_SL_EUlSZ_E_NS1_11comp_targetILNS1_3genE0ELNS1_11target_archE4294967295ELNS1_3gpuE0ELNS1_3repE0EEENS1_47radix_sort_onesweep_sort_config_static_selectorELNS0_4arch9wavefront6targetE0EEEvSG_
	.p2align	8
	.type	_ZN7rocprim17ROCPRIM_400000_NS6detail17trampoline_kernelINS0_14default_configENS1_35radix_sort_onesweep_config_selectorIhNS0_10empty_typeEEEZZNS1_29radix_sort_onesweep_iterationIS3_Lb1EPKhPhPS5_SB_mNS0_19identity_decomposerENS1_16block_id_wrapperIjLb1EEEEE10hipError_tT1_PNSt15iterator_traitsISG_E10value_typeET2_T3_PNSH_ISM_E10value_typeET4_T5_PSR_SS_PNS1_23onesweep_lookback_stateEbbT6_jjT7_P12ihipStream_tbENKUlT_T0_SG_SL_E_clIS9_SA_SB_SB_EEDaSZ_S10_SG_SL_EUlSZ_E_NS1_11comp_targetILNS1_3genE0ELNS1_11target_archE4294967295ELNS1_3gpuE0ELNS1_3repE0EEENS1_47radix_sort_onesweep_sort_config_static_selectorELNS0_4arch9wavefront6targetE0EEEvSG_,@function
_ZN7rocprim17ROCPRIM_400000_NS6detail17trampoline_kernelINS0_14default_configENS1_35radix_sort_onesweep_config_selectorIhNS0_10empty_typeEEEZZNS1_29radix_sort_onesweep_iterationIS3_Lb1EPKhPhPS5_SB_mNS0_19identity_decomposerENS1_16block_id_wrapperIjLb1EEEEE10hipError_tT1_PNSt15iterator_traitsISG_E10value_typeET2_T3_PNSH_ISM_E10value_typeET4_T5_PSR_SS_PNS1_23onesweep_lookback_stateEbbT6_jjT7_P12ihipStream_tbENKUlT_T0_SG_SL_E_clIS9_SA_SB_SB_EEDaSZ_S10_SG_SL_EUlSZ_E_NS1_11comp_targetILNS1_3genE0ELNS1_11target_archE4294967295ELNS1_3gpuE0ELNS1_3repE0EEENS1_47radix_sort_onesweep_sort_config_static_selectorELNS0_4arch9wavefront6targetE0EEEvSG_: ; @_ZN7rocprim17ROCPRIM_400000_NS6detail17trampoline_kernelINS0_14default_configENS1_35radix_sort_onesweep_config_selectorIhNS0_10empty_typeEEEZZNS1_29radix_sort_onesweep_iterationIS3_Lb1EPKhPhPS5_SB_mNS0_19identity_decomposerENS1_16block_id_wrapperIjLb1EEEEE10hipError_tT1_PNSt15iterator_traitsISG_E10value_typeET2_T3_PNSH_ISM_E10value_typeET4_T5_PSR_SS_PNS1_23onesweep_lookback_stateEbbT6_jjT7_P12ihipStream_tbENKUlT_T0_SG_SL_E_clIS9_SA_SB_SB_EEDaSZ_S10_SG_SL_EUlSZ_E_NS1_11comp_targetILNS1_3genE0ELNS1_11target_archE4294967295ELNS1_3gpuE0ELNS1_3repE0EEENS1_47radix_sort_onesweep_sort_config_static_selectorELNS0_4arch9wavefront6targetE0EEEvSG_
; %bb.0:
	s_clause 0x1
	s_load_b128 s[8:11], s[0:1], 0x28
	s_load_b64 s[20:21], s[0:1], 0x38
	s_mov_b32 s2, exec_lo
	v_cmpx_eq_u32_e32 0, v0
	s_cbranch_execz .LBB108_4
; %bb.1:
	s_mov_b32 s4, exec_lo
	s_mov_b32 s3, exec_lo
	v_mbcnt_lo_u32_b32 v1, s4, 0
                                        ; implicit-def: $vgpr2
	s_delay_alu instid0(VALU_DEP_1)
	v_cmpx_eq_u32_e32 0, v1
	s_cbranch_execz .LBB108_3
; %bb.2:
	s_load_b64 s[6:7], s[0:1], 0x50
	s_bcnt1_i32_b32 s4, s4
	s_delay_alu instid0(SALU_CYCLE_1)
	v_dual_mov_b32 v2, 0 :: v_dual_mov_b32 v3, s4
	s_wait_xcnt 0x0
	s_wait_kmcnt 0x0
	global_atomic_add_u32 v2, v2, v3, s[6:7] th:TH_ATOMIC_RETURN scope:SCOPE_DEV
.LBB108_3:
	s_wait_xcnt 0x0
	s_or_b32 exec_lo, exec_lo, s3
	s_wait_loadcnt 0x0
	v_readfirstlane_b32 s3, v2
	s_delay_alu instid0(VALU_DEP_1)
	v_dual_mov_b32 v2, 0 :: v_dual_add_nc_u32 v1, s3, v1
	ds_store_b32 v2, v1 offset:32896
.LBB108_4:
	s_or_b32 exec_lo, exec_lo, s2
	v_mov_b32_e32 v7, 0
	s_clause 0x2
	s_load_b128 s[12:15], s[0:1], 0x0
	s_load_b32 s2, s[0:1], 0x20
	s_load_b96 s[16:18], s[0:1], 0x44
	s_wait_dscnt 0x0
	s_barrier_signal -1
	s_barrier_wait -1
	ds_load_b32 v1, v7 offset:32896
	v_mul_u32_u24_e32 v6, 22, v0
	s_mov_b32 s3, -1
	s_wait_dscnt 0x0
	s_barrier_signal -1
	s_barrier_wait -1
	v_readfirstlane_b32 s19, v1
	s_wait_kmcnt 0x0
	v_cmp_le_u32_e32 vcc_lo, s18, v1
	s_mul_i32 s22, s19, 0x5800
	s_cbranch_vccz .LBB108_116
; %bb.5:
	s_mov_b32 s23, 0
	s_mulk_i32 s18, 0xa800
	s_add_nc_u64 s[4:5], s[12:13], s[22:23]
	s_add_co_i32 s18, s18, s2
	v_add_nc_u64_e32 v[2:3], s[4:5], v[6:7]
	v_cmp_gt_u32_e32 vcc_lo, s18, v6
	v_dual_mov_b32 v24, 0 :: v_dual_mov_b32 v23, 0
	v_dual_mov_b32 v22, 0 :: v_dual_mov_b32 v21, 0
	;; [unrolled: 1-line block ×10, first 2 shown]
	s_and_saveexec_b32 s2, vcc_lo
	s_cbranch_execz .LBB108_7
; %bb.6:
	global_load_u8 v24, v[2:3], off
	v_dual_mov_b32 v23, 0 :: v_dual_mov_b32 v22, 0
	v_dual_mov_b32 v21, 0 :: v_dual_mov_b32 v20, 0
	;; [unrolled: 1-line block ×9, first 2 shown]
	v_mov_b32_e32 v1, 0
.LBB108_7:
	s_wait_xcnt 0x0
	s_or_b32 exec_lo, exec_lo, s2
	v_or_b32_e32 v25, 1, v6
	s_delay_alu instid0(VALU_DEP_1)
	v_cmp_gt_u32_e32 vcc_lo, s18, v25
	v_mov_b32_e32 v25, v7
	s_and_saveexec_b32 s2, vcc_lo
	s_cbranch_execz .LBB108_9
; %bb.8:
	global_load_u8 v25, v[2:3], off offset:1
.LBB108_9:
	s_wait_xcnt 0x0
	s_or_b32 exec_lo, exec_lo, s2
	v_add_nc_u32_e32 v26, 2, v6
	s_mov_b32 s2, exec_lo
	s_delay_alu instid0(VALU_DEP_1)
	v_cmpx_gt_u32_e64 s18, v26
	s_cbranch_execz .LBB108_11
; %bb.10:
	global_load_u8 v7, v[2:3], off offset:2
.LBB108_11:
	s_wait_xcnt 0x0
	s_or_b32 exec_lo, exec_lo, s2
	v_add_nc_u32_e32 v26, 3, v6
	s_mov_b32 s2, exec_lo
	s_delay_alu instid0(VALU_DEP_1)
	v_cmpx_gt_u32_e64 s18, v26
	;; [unrolled: 10-line block ×20, first 2 shown]
	s_cbranch_execz .LBB108_49
; %bb.48:
	global_load_u8 v1, v[2:3], off offset:21
.LBB108_49:
	s_wait_xcnt 0x0
	s_or_b32 exec_lo, exec_lo, s2
	s_wait_loadcnt 0x0
	v_xor_b32_e32 v24, -1, v24
	s_lshl_b32 s23, -1, s17
	v_dual_mov_b32 v27, 0 :: v_dual_lshlrev_b32 v26, 2, v0
	v_xor_b32_e32 v25, -1, v25
	s_delay_alu instid0(VALU_DEP_3)
	v_and_b32_e32 v2, 0xff, v24
	v_xor_b32_e32 v7, -1, v7
	v_xor_b32_e32 v23, -1, v23
	ds_store_2addr_stride64_b32 v26, v27, v27 offset1:16
	ds_store_2addr_stride64_b32 v26, v27, v27 offset0:32 offset1:48
	ds_store_2addr_stride64_b32 v26, v27, v27 offset0:64 offset1:80
	;; [unrolled: 1-line block ×3, first 2 shown]
	v_lshrrev_b32_e32 v2, s16, v2
	v_and_b32_e32 v28, 0xff, v25
	v_and_b32_e32 v30, 0xff, v23
	v_xor_b32_e32 v21, -1, v21
	v_xor_b32_e32 v19, -1, v19
	v_bitop3_b32 v2, v2, s23, v2 bitop3:0x30
	v_xor_b32_e32 v17, -1, v17
	v_xor_b32_e32 v16, -1, v16
	;; [unrolled: 1-line block ×3, first 2 shown]
	s_delay_alu instid0(VALU_DEP_4) | instskip(SKIP_3) | instid1(VALU_DEP_4)
	v_dual_lshlrev_b32 v3, 10, v2 :: v_dual_bitop2_b32 v13, -1, v13 bitop3:0x14
	v_dual_lshrrev_b32 v2, 2, v2 :: v_dual_bitop2_b32 v12, -1, v12 bitop3:0x14
	v_xor_b32_e32 v22, -1, v22
	v_xor_b32_e32 v20, -1, v20
	v_and_or_b32 v3, 0x1c00, v3, v0
	s_delay_alu instid0(VALU_DEP_4)
	v_and_b32_e32 v2, 62, v2
	v_xor_b32_e32 v18, -1, v18
	v_xor_b32_e32 v14, -1, v14
	;; [unrolled: 1-line block ×4, first 2 shown]
	v_lshl_add_u32 v2, v3, 2, v2
	v_lshrrev_b32_e32 v3, s16, v28
	v_and_b32_e32 v28, 0xff, v7
	v_xor_b32_e32 v9, -1, v9
	v_xor_b32_e32 v8, -1, v8
	ds_load_u16 v26, v2
	v_bitop3_b32 v3, v3, s23, v3 bitop3:0x30
	s_delay_alu instid0(VALU_DEP_1) | instskip(SKIP_1) | instid1(VALU_DEP_2)
	v_dual_lshrrev_b32 v28, s16, v28 :: v_dual_lshlrev_b32 v27, 10, v3
	v_lshrrev_b32_e32 v3, 2, v3
	v_bitop3_b32 v28, v28, s23, v28 bitop3:0x30
	s_delay_alu instid0(VALU_DEP_3) | instskip(NEXT) | instid1(VALU_DEP_3)
	v_and_or_b32 v27, 0x1c00, v27, v0
	v_and_b32_e32 v3, 62, v3
	s_wait_dscnt 0x0
	v_add_nc_u16 v29, v26, 1
	ds_store_b16 v2, v29
	v_dual_lshlrev_b32 v29, 10, v28 :: v_dual_lshrrev_b32 v28, 2, v28
	v_lshl_add_u32 v3, v27, 2, v3
	s_delay_alu instid0(VALU_DEP_2) | instskip(NEXT) | instid1(VALU_DEP_3)
	v_and_or_b32 v29, 0x1c00, v29, v0
	v_and_b32_e32 v28, 62, v28
	ds_load_u16 v27, v3
	v_lshl_add_u32 v34, v29, 2, v28
	v_lshrrev_b32_e32 v29, s16, v30
	s_delay_alu instid0(VALU_DEP_1) | instskip(NEXT) | instid1(VALU_DEP_1)
	v_bitop3_b32 v29, v29, s23, v29 bitop3:0x30
	v_dual_lshlrev_b32 v30, 10, v29 :: v_dual_lshrrev_b32 v29, 2, v29
	s_wait_dscnt 0x0
	v_add_nc_u16 v31, v27, 1
	s_delay_alu instid0(VALU_DEP_2) | instskip(SKIP_4) | instid1(VALU_DEP_1)
	v_and_or_b32 v30, 0x1c00, v30, v0
	ds_store_b16 v3, v31
	ds_load_u16 v28, v34
	v_and_b32_e32 v31, 0xff, v22
	v_and_b32_e32 v29, 62, v29
	v_lshl_add_u32 v36, v30, 2, v29
	s_delay_alu instid0(VALU_DEP_3) | instskip(NEXT) | instid1(VALU_DEP_1)
	v_lshrrev_b32_e32 v30, s16, v31
	v_bitop3_b32 v30, v30, s23, v30 bitop3:0x30
	s_delay_alu instid0(VALU_DEP_1) | instskip(SKIP_2) | instid1(VALU_DEP_2)
	v_dual_lshlrev_b32 v31, 10, v30 :: v_dual_lshrrev_b32 v30, 2, v30
	s_wait_dscnt 0x0
	v_add_nc_u16 v32, v28, 1
	v_and_or_b32 v31, 0x1c00, v31, v0
	s_delay_alu instid0(VALU_DEP_3) | instskip(SKIP_4) | instid1(VALU_DEP_2)
	v_and_b32_e32 v30, 62, v30
	ds_store_b16 v34, v32
	ds_load_u16 v29, v36
	v_and_b32_e32 v32, 0xff, v21
	v_lshl_add_u32 v38, v31, 2, v30
	v_lshrrev_b32_e32 v31, s16, v32
	s_delay_alu instid0(VALU_DEP_1) | instskip(NEXT) | instid1(VALU_DEP_1)
	v_bitop3_b32 v31, v31, s23, v31 bitop3:0x30
	v_dual_lshlrev_b32 v32, 10, v31 :: v_dual_lshrrev_b32 v31, 2, v31
	s_wait_dscnt 0x0
	v_add_nc_u16 v33, v29, 1
	s_delay_alu instid0(VALU_DEP_2) | instskip(SKIP_4) | instid1(VALU_DEP_1)
	v_and_or_b32 v32, 0x1c00, v32, v0
	ds_store_b16 v36, v33
	ds_load_u16 v30, v38
	v_and_b32_e32 v33, 0xff, v20
	v_and_b32_e32 v31, 62, v31
	v_lshl_add_u32 v40, v32, 2, v31
	s_delay_alu instid0(VALU_DEP_3) | instskip(NEXT) | instid1(VALU_DEP_1)
	v_lshrrev_b32_e32 v32, s16, v33
	v_bitop3_b32 v32, v32, s23, v32 bitop3:0x30
	s_delay_alu instid0(VALU_DEP_1) | instskip(SKIP_2) | instid1(VALU_DEP_2)
	v_dual_lshlrev_b32 v33, 10, v32 :: v_dual_lshrrev_b32 v32, 2, v32
	s_wait_dscnt 0x0
	v_add_nc_u16 v35, v30, 1
	v_and_or_b32 v33, 0x1c00, v33, v0
	ds_store_b16 v38, v35
	ds_load_u16 v31, v40
	v_and_b32_e32 v35, 0xff, v19
	v_and_b32_e32 v32, 62, v32
	s_delay_alu instid0(VALU_DEP_1) | instskip(NEXT) | instid1(VALU_DEP_3)
	v_lshl_add_u32 v42, v33, 2, v32
	v_lshrrev_b32_e32 v33, s16, v35
	s_delay_alu instid0(VALU_DEP_1) | instskip(NEXT) | instid1(VALU_DEP_1)
	v_bitop3_b32 v33, v33, s23, v33 bitop3:0x30
	v_dual_lshlrev_b32 v35, 10, v33 :: v_dual_lshrrev_b32 v33, 2, v33
	s_wait_dscnt 0x0
	v_add_nc_u16 v37, v31, 1
	s_delay_alu instid0(VALU_DEP_2) | instskip(NEXT) | instid1(VALU_DEP_3)
	v_and_or_b32 v35, 0x1c00, v35, v0
	v_and_b32_e32 v33, 62, v33
	ds_store_b16 v40, v37
	ds_load_u16 v32, v42
	v_and_b32_e32 v37, 0xff, v18
	v_lshl_add_u32 v45, v35, 2, v33
	s_wait_dscnt 0x0
	v_add_nc_u16 v39, v32, 1
	ds_store_b16 v42, v39
	ds_load_u16 v33, v45
	v_and_b32_e32 v39, 0xff, v17
	v_lshrrev_b32_e32 v35, s16, v37
	s_delay_alu instid0(VALU_DEP_1) | instskip(NEXT) | instid1(VALU_DEP_1)
	v_bitop3_b32 v35, v35, s23, v35 bitop3:0x30
	v_dual_lshlrev_b32 v37, 10, v35 :: v_dual_lshrrev_b32 v35, 2, v35
	s_delay_alu instid0(VALU_DEP_1) | instskip(NEXT) | instid1(VALU_DEP_2)
	v_and_or_b32 v37, 0x1c00, v37, v0
	v_and_b32_e32 v35, 62, v35
	s_wait_dscnt 0x0
	v_add_nc_u16 v41, v33, 1
	s_delay_alu instid0(VALU_DEP_2)
	v_lshl_add_u32 v48, v37, 2, v35
	v_lshrrev_b32_e32 v37, s16, v39
	ds_store_b16 v45, v41
	v_and_b32_e32 v41, 0xff, v16
	ds_load_u16 v35, v48
	v_bitop3_b32 v37, v37, s23, v37 bitop3:0x30
	s_delay_alu instid0(VALU_DEP_1) | instskip(NEXT) | instid1(VALU_DEP_1)
	v_dual_lshlrev_b32 v39, 10, v37 :: v_dual_lshrrev_b32 v37, 2, v37
	v_and_or_b32 v39, 0x1c00, v39, v0
	s_delay_alu instid0(VALU_DEP_2) | instskip(NEXT) | instid1(VALU_DEP_1)
	v_and_b32_e32 v37, 62, v37
	v_lshl_add_u32 v51, v39, 2, v37
	v_lshrrev_b32_e32 v39, s16, v41
	s_wait_dscnt 0x0
	v_add_nc_u16 v43, v35, 1
	s_delay_alu instid0(VALU_DEP_2) | instskip(SKIP_4) | instid1(VALU_DEP_1)
	v_bitop3_b32 v39, v39, s23, v39 bitop3:0x30
	ds_store_b16 v48, v43
	ds_load_u16 v37, v51
	v_and_b32_e32 v43, 0xff, v15
	v_dual_lshlrev_b32 v41, 10, v39 :: v_dual_lshrrev_b32 v39, 2, v39
	v_and_or_b32 v41, 0x1c00, v41, v0
	s_delay_alu instid0(VALU_DEP_2) | instskip(NEXT) | instid1(VALU_DEP_1)
	v_and_b32_e32 v39, 62, v39
	v_lshl_add_u32 v53, v41, 2, v39
	v_lshrrev_b32_e32 v41, s16, v43
	s_delay_alu instid0(VALU_DEP_1) | instskip(SKIP_2) | instid1(VALU_DEP_2)
	v_bitop3_b32 v41, v41, s23, v41 bitop3:0x30
	s_wait_dscnt 0x0
	v_add_nc_u16 v44, v37, 1
	v_lshlrev_b32_e32 v43, 10, v41
	ds_store_b16 v51, v44
	ds_load_u16 v39, v53
	v_lshrrev_b32_e32 v41, 2, v41
	v_and_b32_e32 v44, 0xff, v14
	v_and_or_b32 v43, 0x1c00, v43, v0
	s_delay_alu instid0(VALU_DEP_3) | instskip(NEXT) | instid1(VALU_DEP_1)
	v_and_b32_e32 v41, 62, v41
	v_lshl_add_u32 v55, v43, 2, v41
	s_delay_alu instid0(VALU_DEP_4) | instskip(NEXT) | instid1(VALU_DEP_1)
	v_lshrrev_b32_e32 v43, s16, v44
	v_bitop3_b32 v43, v43, s23, v43 bitop3:0x30
	s_wait_dscnt 0x0
	v_add_nc_u16 v46, v39, 1
	s_delay_alu instid0(VALU_DEP_2)
	v_dual_lshlrev_b32 v44, 10, v43 :: v_dual_lshrrev_b32 v43, 2, v43
	ds_store_b16 v53, v46
	ds_load_u16 v41, v55
	v_and_or_b32 v44, 0x1c00, v44, v0
	v_and_b32_e32 v43, 62, v43
	v_and_b32_e32 v46, 0xff, v13
	s_delay_alu instid0(VALU_DEP_2) | instskip(NEXT) | instid1(VALU_DEP_2)
	v_lshl_add_u32 v57, v44, 2, v43
	v_lshrrev_b32_e32 v44, s16, v46
	s_delay_alu instid0(VALU_DEP_1) | instskip(NEXT) | instid1(VALU_DEP_1)
	v_bitop3_b32 v44, v44, s23, v44 bitop3:0x30
	v_dual_lshlrev_b32 v46, 10, v44 :: v_dual_lshrrev_b32 v44, 2, v44
	s_wait_dscnt 0x0
	v_add_nc_u16 v47, v41, 1
	s_delay_alu instid0(VALU_DEP_2) | instskip(NEXT) | instid1(VALU_DEP_3)
	v_and_or_b32 v46, 0x1c00, v46, v0
	v_and_b32_e32 v44, 62, v44
	ds_store_b16 v55, v47
	ds_load_u16 v43, v57
	v_and_b32_e32 v47, 0xff, v12
	v_lshl_add_u32 v58, v46, 2, v44
	s_delay_alu instid0(VALU_DEP_2) | instskip(NEXT) | instid1(VALU_DEP_1)
	v_lshrrev_b32_e32 v44, s16, v47
	v_bitop3_b32 v44, v44, s23, v44 bitop3:0x30
	s_delay_alu instid0(VALU_DEP_1) | instskip(SKIP_2) | instid1(VALU_DEP_2)
	v_dual_lshlrev_b32 v47, 10, v44 :: v_dual_lshrrev_b32 v44, 2, v44
	s_wait_dscnt 0x0
	v_add_nc_u16 v49, v43, 1
	v_and_or_b32 v47, 0x1c00, v47, v0
	s_delay_alu instid0(VALU_DEP_3) | instskip(SKIP_4) | instid1(VALU_DEP_2)
	v_and_b32_e32 v44, 62, v44
	ds_store_b16 v57, v49
	ds_load_u16 v46, v58
	v_and_b32_e32 v49, 0xff, v11
	v_lshl_add_u32 v60, v47, 2, v44
	v_lshrrev_b32_e32 v44, s16, v49
	s_delay_alu instid0(VALU_DEP_1) | instskip(NEXT) | instid1(VALU_DEP_1)
	v_bitop3_b32 v44, v44, s23, v44 bitop3:0x30
	v_dual_lshlrev_b32 v47, 10, v44 :: v_dual_lshrrev_b32 v44, 2, v44
	s_wait_dscnt 0x0
	v_add_nc_u16 v50, v46, 1
	s_delay_alu instid0(VALU_DEP_2) | instskip(NEXT) | instid1(VALU_DEP_3)
	v_and_or_b32 v47, 0x1c00, v47, v0
	v_and_b32_e32 v44, 62, v44
	ds_store_b16 v58, v50
	ds_load_u16 v49, v60
	v_lshl_add_u32 v62, v47, 2, v44
	v_and_b32_e32 v50, 0xff, v10
	s_delay_alu instid0(VALU_DEP_1) | instskip(SKIP_1) | instid1(VALU_DEP_2)
	v_lshrrev_b32_e32 v44, s16, v50
	v_and_b32_e32 v50, 0xff, v9
	v_bitop3_b32 v44, v44, s23, v44 bitop3:0x30
	s_delay_alu instid0(VALU_DEP_1) | instskip(SKIP_2) | instid1(VALU_DEP_2)
	v_dual_lshlrev_b32 v47, 10, v44 :: v_dual_lshrrev_b32 v44, 2, v44
	s_wait_dscnt 0x0
	v_add_nc_u16 v52, v49, 1
	v_and_or_b32 v47, 0x1c00, v47, v0
	s_delay_alu instid0(VALU_DEP_3)
	v_and_b32_e32 v44, 62, v44
	ds_store_b16 v60, v52
	ds_load_u16 v52, v62
	v_lshl_add_u32 v63, v47, 2, v44
	v_lshrrev_b32_e32 v44, s16, v50
	v_and_b32_e32 v50, 0xff, v8
	s_delay_alu instid0(VALU_DEP_2) | instskip(NEXT) | instid1(VALU_DEP_1)
	v_bitop3_b32 v44, v44, s23, v44 bitop3:0x30
	v_dual_lshlrev_b32 v47, 10, v44 :: v_dual_lshrrev_b32 v44, 2, v44
	s_delay_alu instid0(VALU_DEP_1) | instskip(NEXT) | instid1(VALU_DEP_2)
	v_and_or_b32 v47, 0x1c00, v47, v0
	v_and_b32_e32 v44, 62, v44
	s_wait_dscnt 0x0
	v_add_nc_u16 v54, v52, 1
	s_delay_alu instid0(VALU_DEP_2) | instskip(SKIP_3) | instid1(VALU_DEP_1)
	v_lshl_add_u32 v64, v47, 2, v44
	ds_store_b16 v62, v54
	ds_load_u16 v54, v63
	v_lshrrev_b32_e32 v44, s16, v50
	v_bitop3_b32 v44, v44, s23, v44 bitop3:0x30
	s_delay_alu instid0(VALU_DEP_1) | instskip(SKIP_1) | instid1(VALU_DEP_2)
	v_dual_lshlrev_b32 v47, 10, v44 :: v_dual_lshrrev_b32 v50, 2, v44
	v_xor_b32_e32 v44, -1, v5
	v_and_or_b32 v5, 0x1c00, v47, v0
	s_delay_alu instid0(VALU_DEP_3) | instskip(NEXT) | instid1(VALU_DEP_3)
	v_and_b32_e32 v47, 62, v50
	v_and_b32_e32 v50, 0xff, v44
	s_wait_dscnt 0x0
	v_add_nc_u16 v56, v54, 1
	s_delay_alu instid0(VALU_DEP_3) | instskip(NEXT) | instid1(VALU_DEP_3)
	v_lshl_add_u32 v65, v5, 2, v47
	v_lshrrev_b32_e32 v47, s16, v50
	ds_store_b16 v63, v56
	ds_load_u16 v56, v64
	v_bitop3_b32 v47, v47, s23, v47 bitop3:0x30
	s_delay_alu instid0(VALU_DEP_1)
	v_lshlrev_b32_e32 v50, 10, v47
	s_wait_dscnt 0x0
	v_add_nc_u16 v59, v56, 1
	ds_store_b16 v64, v59
	ds_load_u16 v5, v65
	v_dual_lshrrev_b32 v59, 2, v47 :: v_dual_bitop2_b32 v47, -1, v4 bitop3:0x14
	v_and_or_b32 v4, 0x1c00, v50, v0
	s_delay_alu instid0(VALU_DEP_2) | instskip(NEXT) | instid1(VALU_DEP_3)
	v_and_b32_e32 v50, 62, v59
	v_and_b32_e32 v59, 0xff, v47
	s_delay_alu instid0(VALU_DEP_2) | instskip(NEXT) | instid1(VALU_DEP_2)
	v_lshl_add_u32 v4, v4, 2, v50
	v_lshrrev_b32_e32 v50, s16, v59
	s_delay_alu instid0(VALU_DEP_1) | instskip(SKIP_2) | instid1(VALU_DEP_2)
	v_bitop3_b32 v50, v50, s23, v50 bitop3:0x30
	s_wait_dscnt 0x0
	v_add_nc_u16 v61, v5, 1
	v_lshrrev_b32_e32 v66, 2, v50
	ds_store_b16 v65, v61
	ds_load_u16 v59, v4
	v_dual_lshlrev_b32 v61, 10, v50 :: v_dual_bitop2_b32 v50, -1, v1 bitop3:0x14
	s_delay_alu instid0(VALU_DEP_1) | instskip(SKIP_1) | instid1(VALU_DEP_1)
	v_and_or_b32 v1, 0x1c00, v61, v0
	v_and_b32_e32 v61, 62, v66
	v_lshl_add_u32 v66, v1, 2, v61
	s_wait_dscnt 0x0
	v_add_nc_u16 v68, v59, 1
	ds_store_b16 v4, v68
	ds_load_u16 v1, v66
	s_wait_dscnt 0x0
	v_add_nc_u16 v68, v1, 1
	ds_store_b16 v66, v68
	v_lshlrev_b32_e32 v68, 5, v0
	v_and_b32_e32 v67, 0xff, v50
	s_delay_alu instid0(VALU_DEP_1) | instskip(NEXT) | instid1(VALU_DEP_1)
	v_lshrrev_b32_e32 v61, s16, v67
	v_bitop3_b32 v61, v61, s23, v61 bitop3:0x30
	s_delay_alu instid0(VALU_DEP_1) | instskip(NEXT) | instid1(VALU_DEP_1)
	v_dual_lshlrev_b32 v67, 10, v61 :: v_dual_lshrrev_b32 v61, 2, v61
	v_and_or_b32 v67, 0x1c00, v67, v0
	s_delay_alu instid0(VALU_DEP_2) | instskip(NEXT) | instid1(VALU_DEP_1)
	v_and_b32_e32 v61, 62, v61
	v_lshl_add_u32 v67, v67, 2, v61
	ds_load_u16 v61, v67
	s_wait_dscnt 0x0
	v_add_nc_u16 v69, v61, 1
	ds_store_b16 v67, v69
	s_wait_dscnt 0x0
	s_barrier_signal -1
	s_barrier_wait -1
	ds_load_2addr_b64 v[70:73], v68 offset1:1
	ds_load_2addr_b64 v[74:77], v68 offset0:2 offset1:3
	s_wait_dscnt 0x1
	v_add_nc_u32_e32 v69, v71, v70
	s_delay_alu instid0(VALU_DEP_1) | instskip(SKIP_1) | instid1(VALU_DEP_1)
	v_add3_u32 v69, v69, v72, v73
	s_wait_dscnt 0x0
	v_add3_u32 v69, v69, v74, v75
	s_delay_alu instid0(VALU_DEP_1) | instskip(SKIP_1) | instid1(VALU_DEP_2)
	v_add3_u32 v70, v69, v76, v77
	v_mbcnt_lo_u32_b32 v69, -1, 0
	v_mov_b32_dpp v72, v70 row_shr:1 row_mask:0xf bank_mask:0xf
	s_delay_alu instid0(VALU_DEP_2) | instskip(SKIP_1) | instid1(VALU_DEP_2)
	v_and_b32_e32 v71, 15, v69
	v_bfe_i32 v73, v69, 4, 1
	v_cmp_eq_u32_e32 vcc_lo, 0, v71
	v_cmp_lt_u32_e64 s2, 1, v71
	v_cndmask_b32_e64 v72, v72, 0, vcc_lo
	s_delay_alu instid0(VALU_DEP_1) | instskip(NEXT) | instid1(VALU_DEP_1)
	v_add_nc_u32_e32 v70, v72, v70
	v_mov_b32_dpp v72, v70 row_shr:2 row_mask:0xf bank_mask:0xf
	s_delay_alu instid0(VALU_DEP_1) | instskip(NEXT) | instid1(VALU_DEP_1)
	v_cndmask_b32_e64 v72, 0, v72, s2
	v_add_nc_u32_e32 v70, v70, v72
	v_cmp_lt_u32_e64 s3, 3, v71
	v_cmp_lt_u32_e64 s4, 7, v71
	s_delay_alu instid0(VALU_DEP_3) | instskip(NEXT) | instid1(VALU_DEP_1)
	v_mov_b32_dpp v72, v70 row_shr:4 row_mask:0xf bank_mask:0xf
	v_cndmask_b32_e64 v72, 0, v72, s3
	s_delay_alu instid0(VALU_DEP_1) | instskip(NEXT) | instid1(VALU_DEP_1)
	v_add_nc_u32_e32 v70, v70, v72
	v_mov_b32_dpp v72, v70 row_shr:8 row_mask:0xf bank_mask:0xf
	s_delay_alu instid0(VALU_DEP_1) | instskip(NEXT) | instid1(VALU_DEP_1)
	v_cndmask_b32_e64 v71, 0, v72, s4
	v_dual_add_nc_u32 v70, v70, v71 :: v_dual_bitop2_b32 v72, 31, v0 bitop3:0x40
	ds_swizzle_b32 v71, v70 offset:swizzle(BROADCAST,32,15)
	s_wait_dscnt 0x0
	v_dual_lshrrev_b32 v73, 5, v0 :: v_dual_bitop2_b32 v71, v73, v71 bitop3:0x40
	v_cmp_eq_u32_e64 s6, 31, v72
	s_delay_alu instid0(VALU_DEP_2) | instskip(NEXT) | instid1(VALU_DEP_3)
	v_dual_add_nc_u32 v70, v70, v71 :: v_dual_bitop2_b32 v72, 16, v69 bitop3:0x40
	v_lshlrev_b32_e32 v71, 2, v73
	s_delay_alu instid0(VALU_DEP_2)
	v_cmp_eq_u32_e64 s5, 0, v72
	s_and_saveexec_b32 s7, s6
; %bb.50:
	ds_store_b32 v71, v70 offset:32768
; %bb.51:
	s_or_b32 exec_lo, exec_lo, s7
	v_cmp_lt_u32_e64 s6, 31, v0
	s_mov_b32 s24, exec_lo
	s_wait_dscnt 0x0
	s_barrier_signal -1
	s_barrier_wait -1
	v_cmpx_gt_u32_e32 32, v0
	s_cbranch_execz .LBB108_53
; %bb.52:
	v_mad_i32_i24 v72, 0xffffffe4, v0, v68
	ds_load_b32 v73, v72 offset:32768
	s_wait_dscnt 0x0
	v_mov_b32_dpp v74, v73 row_shr:1 row_mask:0xf bank_mask:0xf
	s_delay_alu instid0(VALU_DEP_1) | instskip(NEXT) | instid1(VALU_DEP_1)
	v_cndmask_b32_e64 v74, v74, 0, vcc_lo
	v_add_nc_u32_e32 v73, v74, v73
	s_delay_alu instid0(VALU_DEP_1) | instskip(NEXT) | instid1(VALU_DEP_1)
	v_mov_b32_dpp v74, v73 row_shr:2 row_mask:0xf bank_mask:0xf
	v_cndmask_b32_e64 v74, 0, v74, s2
	s_delay_alu instid0(VALU_DEP_1) | instskip(NEXT) | instid1(VALU_DEP_1)
	v_add_nc_u32_e32 v73, v73, v74
	v_mov_b32_dpp v74, v73 row_shr:4 row_mask:0xf bank_mask:0xf
	s_delay_alu instid0(VALU_DEP_1) | instskip(NEXT) | instid1(VALU_DEP_1)
	v_cndmask_b32_e64 v74, 0, v74, s3
	v_add_nc_u32_e32 v73, v73, v74
	s_delay_alu instid0(VALU_DEP_1) | instskip(NEXT) | instid1(VALU_DEP_1)
	v_mov_b32_dpp v74, v73 row_shr:8 row_mask:0xf bank_mask:0xf
	v_cndmask_b32_e64 v74, 0, v74, s4
	s_delay_alu instid0(VALU_DEP_1) | instskip(SKIP_3) | instid1(VALU_DEP_1)
	v_add_nc_u32_e32 v73, v73, v74
	ds_swizzle_b32 v74, v73 offset:swizzle(BROADCAST,32,15)
	s_wait_dscnt 0x0
	v_cndmask_b32_e64 v74, v74, 0, s5
	v_add_nc_u32_e32 v73, v73, v74
	ds_store_b32 v72, v73 offset:32768
.LBB108_53:
	s_or_b32 exec_lo, exec_lo, s24
	v_dual_mov_b32 v73, 0 :: v_dual_mov_b32 v72, 0
	s_wait_dscnt 0x0
	s_barrier_signal -1
	s_barrier_wait -1
	s_and_saveexec_b32 s2, s6
; %bb.54:
	ds_load_b32 v72, v71 offset:32764
; %bb.55:
	s_or_b32 exec_lo, exec_lo, s2
	v_sub_co_u32 v71, vcc_lo, v69, 1
	s_wait_dscnt 0x0
	v_add_nc_u32_e32 v70, v72, v70
	s_delay_alu instid0(VALU_DEP_2) | instskip(NEXT) | instid1(VALU_DEP_1)
	v_cmp_gt_i32_e64 s2, 0, v71
	v_cndmask_b32_e64 v69, v71, v69, s2
	v_cmp_gt_u32_e64 s2, 16, v0
	s_delay_alu instid0(VALU_DEP_2)
	v_lshlrev_b32_e32 v69, 2, v69
	ds_bpermute_b32 v69, v69, v70
	ds_load_b32 v70, v73 offset:32892
	ds_load_2addr_b64 v[74:77], v68 offset1:1
	ds_load_b32 v78, v68 offset:24
	s_wait_dscnt 0x3
	v_cndmask_b32_e32 v69, v69, v72, vcc_lo
	ds_load_b64 v[72:73], v68 offset:16
	v_cmp_lt_u32_e32 vcc_lo, 15, v0
	s_wait_dscnt 0x3
	v_lshl_add_u32 v70, v70, 16, v69
	s_wait_dscnt 0x2
	s_delay_alu instid0(VALU_DEP_1) | instskip(NEXT) | instid1(VALU_DEP_1)
	v_add_nc_u32_e32 v71, v70, v74
	v_add_nc_u32_e32 v74, v75, v71
	s_delay_alu instid0(VALU_DEP_1) | instskip(NEXT) | instid1(VALU_DEP_1)
	v_add_nc_u32_e32 v75, v76, v74
	v_add_nc_u32_e32 v76, v77, v75
	s_wait_dscnt 0x0
	s_delay_alu instid0(VALU_DEP_1) | instskip(NEXT) | instid1(VALU_DEP_1)
	v_add_nc_u32_e32 v77, v72, v76
	v_add_nc_u32_e32 v72, v73, v77
	s_delay_alu instid0(VALU_DEP_1)
	v_add_nc_u32_e32 v73, v78, v72
	ds_store_2addr_b64 v68, v[70:71], v[74:75] offset1:1
	ds_store_2addr_b64 v68, v[76:77], v[72:73] offset0:2 offset1:3
	s_wait_dscnt 0x0
	s_barrier_signal -1
	s_barrier_wait -1
	ds_load_u16 v68, v2
	ds_load_u16 v69, v3
	ds_load_u16 v34, v34
	ds_load_u16 v36, v36
	ds_load_u16 v38, v38
	ds_load_u16 v40, v40
	ds_load_u16 v42, v42
	ds_load_u16 v45, v45
	ds_load_u16 v48, v48
	ds_load_u16 v51, v51
	ds_load_u16 v53, v53
	ds_load_u16 v55, v55
	ds_load_u16 v57, v57
	ds_load_u16 v58, v58
	ds_load_u16 v60, v60
	ds_load_u16 v62, v62
	ds_load_u16 v63, v63
	ds_load_u16 v64, v64
	ds_load_u16 v65, v65
	ds_load_u16 v70, v4
	ds_load_u16 v66, v66
	ds_load_u16 v67, v67
	v_mov_b64_e32 v[2:3], 0
                                        ; implicit-def: $vgpr4
	s_and_saveexec_b32 s4, s2
	s_cbranch_execz .LBB108_59
; %bb.56:
	v_dual_lshlrev_b32 v2, 12, v0 :: v_dual_lshrrev_b32 v3, 2, v0
	v_add_nc_u32_e32 v4, 1, v0
	s_mov_b32 s5, exec_lo
	s_delay_alu instid0(VALU_DEP_2)
	v_bitop3_b32 v2, v2, 0x70fe, v3 bitop3:0xc8
	v_mov_b32_e32 v3, 0x5800
	ds_load_u16 v2, v2
	v_cmpx_ne_u32_e32 16, v4
; %bb.57:
	v_dual_lshlrev_b32 v3, 12, v4 :: v_dual_lshrrev_b32 v4, 2, v4
	s_delay_alu instid0(VALU_DEP_1)
	v_bitop3_b32 v3, v3, 0x71fe, v4 bitop3:0xc8
	ds_load_u16 v3, v3
; %bb.58:
	s_or_b32 exec_lo, exec_lo, s5
	s_wait_dscnt 0x0
	v_and_b32_e32 v2, 0xffff, v2
	s_mov_b32 s3, 0
	s_delay_alu instid0(VALU_DEP_1) | instid1(SALU_CYCLE_1)
	v_dual_mov_b32 v3, s3 :: v_dual_sub_nc_u32 v4, v3, v2
.LBB108_59:
	s_or_b32 exec_lo, exec_lo, s4
	s_wait_dscnt 0x15
	v_and_b32_e32 v68, 0xffff, v68
	v_and_b32_e32 v26, 0xffff, v26
	s_wait_dscnt 0x14
	v_and_b32_e32 v69, 0xffff, v69
	v_and_b32_e32 v27, 0xffff, v27
	;; [unrolled: 3-line block ×4, first 2 shown]
	v_dual_add_nc_u32 v26, v68, v26 :: v_dual_add_nc_u32 v27, v69, v27
	s_wait_dscnt 0x11
	v_and_b32_e32 v38, 0xffff, v38
	v_and_b32_e32 v30, 0xffff, v30
	s_wait_dscnt 0x10
	v_and_b32_e32 v40, 0xffff, v40
	v_and_b32_e32 v31, 0xffff, v31
	v_add_nc_u32_e32 v28, v34, v28
	s_wait_dscnt 0xf
	v_and_b32_e32 v42, 0xffff, v42
	v_and_b32_e32 v32, 0xffff, v32
	s_wait_dscnt 0xe
	v_and_b32_e32 v45, 0xffff, v45
	v_and_b32_e32 v33, 0xffff, v33
	;; [unrolled: 3-line block ×3, first 2 shown]
	s_wait_dscnt 0x0
	s_barrier_signal -1
	s_barrier_wait -1
	ds_store_b8 v26, v24 offset:128
	ds_store_b8 v27, v25 offset:128
	;; [unrolled: 1-line block ×3, first 2 shown]
	v_add_nc_u32_e32 v7, v36, v29
	v_and_b32_e32 v51, 0xffff, v51
	v_and_b32_e32 v37, 0xffff, v37
	v_dual_add_nc_u32 v24, v38, v30 :: v_dual_add_nc_u32 v25, v40, v31
	v_and_b32_e32 v53, 0xffff, v53
	v_and_b32_e32 v39, 0xffff, v39
	v_and_b32_e32 v55, 0xffff, v55
	v_and_b32_e32 v41, 0xffff, v41
	v_dual_add_nc_u32 v26, v42, v32 :: v_dual_add_nc_u32 v27, v45, v33
	v_and_b32_e32 v57, 0xffff, v57
	v_and_b32_e32 v43, 0xffff, v43
	;; [unrolled: 1-line block ×4, first 2 shown]
	ds_store_b8 v7, v23 offset:128
	ds_store_b8 v24, v22 offset:128
	;; [unrolled: 1-line block ×5, first 2 shown]
	v_dual_add_nc_u32 v7, v48, v35 :: v_dual_add_nc_u32 v19, v51, v37
	v_and_b32_e32 v60, 0xffff, v60
	v_and_b32_e32 v49, 0xffff, v49
	;; [unrolled: 1-line block ×4, first 2 shown]
	v_dual_add_nc_u32 v20, v53, v39 :: v_dual_add_nc_u32 v21, v55, v41
	v_and_b32_e32 v63, 0xffff, v63
	v_and_b32_e32 v54, 0xffff, v54
	;; [unrolled: 1-line block ×4, first 2 shown]
	v_add_nc_u32_e32 v22, v57, v43
	ds_store_b8 v7, v18 offset:128
	ds_store_b8 v19, v17 offset:128
	;; [unrolled: 1-line block ×5, first 2 shown]
	v_dual_add_nc_u32 v7, v58, v46 :: v_dual_add_nc_u32 v14, v60, v49
	v_dual_add_nc_u32 v15, v62, v52 :: v_dual_add_nc_u32 v16, v63, v54
	v_add_nc_u32_e32 v17, v64, v56
	v_and_b32_e32 v65, 0xffff, v65
	v_and_b32_e32 v66, 0xffff, v66
	;; [unrolled: 1-line block ×4, first 2 shown]
	ds_store_b8 v7, v13 offset:128
	ds_store_b8 v14, v12 offset:128
	ds_store_b8 v15, v11 offset:128
	ds_store_b8 v16, v10 offset:128
	ds_store_b8 v17, v9 offset:128
	v_mov_b32_e32 v9, 0
	v_and_b32_e32 v70, 0xffff, v70
	v_and_b32_e32 v59, 0xffff, v59
	;; [unrolled: 1-line block ×4, first 2 shown]
	v_add_nc_u32_e32 v7, v65, v5
	v_dual_add_nc_u32 v11, v66, v1 :: v_dual_mov_b32 v1, v9
	v_dual_lshlrev_b32 v5, 3, v0 :: v_dual_add_nc_u32 v10, v70, v59
	s_delay_alu instid0(VALU_DEP_4)
	v_add_nc_u32_e32 v12, v67, v61
	s_not_b32 s3, s23
	ds_store_b8 v7, v8 offset:128
	ds_store_b8 v10, v44 offset:128
	;; [unrolled: 1-line block ×4, first 2 shown]
	s_and_saveexec_b32 s4, s2
	s_cbranch_execz .LBB108_69
; %bb.60:
	v_lshl_add_u32 v8, s19, 4, v0
	v_dual_mov_b32 v12, 0 :: v_dual_bitop2_b32 v7, 2.0, v4 bitop3:0x54
	s_mov_b32 s5, 0
	s_mov_b32 s6, s19
	s_delay_alu instid0(VALU_DEP_2)
	v_lshl_add_u64 v[10:11], v[8:9], 2, s[20:21]
	global_store_b32 v8, v7, s[20:21] scale_offset scope:SCOPE_DEV
                                        ; implicit-def: $sgpr2
	s_branch .LBB108_63
.LBB108_61:                             ;   in Loop: Header=BB108_63 Depth=1
	s_or_b32 exec_lo, exec_lo, s23
.LBB108_62:                             ;   in Loop: Header=BB108_63 Depth=1
	s_delay_alu instid0(SALU_CYCLE_1) | instskip(SKIP_2) | instid1(VALU_DEP_2)
	s_or_b32 exec_lo, exec_lo, s7
	v_and_b32_e32 v8, 0x3fffffff, v7
	v_cmp_gt_i32_e64 s2, -2.0, v7
	v_add_nc_u32_e32 v12, v8, v12
	s_and_b32 s7, exec_lo, s2
	s_delay_alu instid0(SALU_CYCLE_1) | instskip(NEXT) | instid1(SALU_CYCLE_1)
	s_or_b32 s5, s7, s5
	s_and_not1_b32 exec_lo, exec_lo, s5
	s_cbranch_execz .LBB108_68
.LBB108_63:                             ; =>This Loop Header: Depth=1
                                        ;     Child Loop BB108_66 Depth 2
	s_or_b32 s2, s2, exec_lo
	s_cmp_eq_u32 s6, 0
	s_cbranch_scc1 .LBB108_67
; %bb.64:                               ;   in Loop: Header=BB108_63 Depth=1
	s_add_co_i32 s6, s6, -1
	s_mov_b32 s7, exec_lo
	s_wait_xcnt 0x0
	v_lshl_or_b32 v8, s6, 4, v0
	global_load_b32 v7, v8, s[20:21] scale_offset scope:SCOPE_DEV
	s_wait_loadcnt 0x0
	v_cmpx_gt_u32_e32 2.0, v7
	s_cbranch_execz .LBB108_62
; %bb.65:                               ;   in Loop: Header=BB108_63 Depth=1
	v_lshl_add_u64 v[14:15], v[8:9], 2, s[20:21]
	s_mov_b32 s23, 0
.LBB108_66:                             ;   Parent Loop BB108_63 Depth=1
                                        ; =>  This Inner Loop Header: Depth=2
	global_load_b32 v7, v[14:15], off scope:SCOPE_DEV
	s_wait_loadcnt 0x0
	v_cmp_lt_u32_e64 s2, 0x3fffffff, v7
	s_or_b32 s23, s2, s23
	s_wait_xcnt 0x0
	s_and_not1_b32 exec_lo, exec_lo, s23
	s_cbranch_execnz .LBB108_66
	s_branch .LBB108_61
.LBB108_67:                             ;   in Loop: Header=BB108_63 Depth=1
                                        ; implicit-def: $sgpr6
	s_and_b32 s7, exec_lo, s2
	s_delay_alu instid0(SALU_CYCLE_1)
	s_or_b32 s5, s7, s5
	s_wait_xcnt 0x0
	s_and_not1_b32 exec_lo, exec_lo, s5
	s_cbranch_execnz .LBB108_63
.LBB108_68:
	s_or_b32 exec_lo, exec_lo, s5
	v_dual_add_nc_u32 v7, v12, v4 :: v_dual_mov_b32 v13, 0
	s_delay_alu instid0(VALU_DEP_1)
	v_or_b32_e32 v7, 0x80000000, v7
	global_store_b32 v[10:11], v7, off scope:SCOPE_DEV
	global_load_b64 v[8:9], v0, s[8:9] scale_offset
	s_wait_xcnt 0x1
	v_sub_nc_u64_e32 v[10:11], v[12:13], v[2:3]
	s_wait_loadcnt 0x0
	s_delay_alu instid0(VALU_DEP_1)
	v_add_nc_u64_e32 v[8:9], v[10:11], v[8:9]
	ds_store_b64 v5, v[8:9]
.LBB108_69:
	s_wait_xcnt 0x0
	s_or_b32 exec_lo, exec_lo, s4
	s_delay_alu instid0(SALU_CYCLE_1)
	s_mov_b32 s4, exec_lo
	s_wait_storecnt_dscnt 0x0
	s_barrier_signal -1
	s_barrier_wait -1
	v_cmpx_gt_u32_e64 s18, v0
	s_cbranch_execz .LBB108_71
; %bb.70:
	ds_load_u8 v7, v0 offset:128
	s_wait_dscnt 0x0
	v_and_b32_e32 v8, 0xff, v7
	s_delay_alu instid0(VALU_DEP_1) | instskip(NEXT) | instid1(VALU_DEP_1)
	v_dual_lshrrev_b32 v8, s16, v8 :: v_dual_bitop2_b32 v7, -1, v7 bitop3:0x14
	v_and_b32_e32 v8, s3, v8
	s_delay_alu instid0(VALU_DEP_1) | instskip(SKIP_3) | instid1(VALU_DEP_1)
	v_lshlrev_b32_e32 v8, 3, v8
	ds_load_b64 v[8:9], v8
	s_wait_dscnt 0x0
	v_add_nc_u64_e32 v[8:9], s[14:15], v[8:9]
	v_add_nc_u64_e32 v[8:9], v[8:9], v[0:1]
	global_store_b8 v[8:9], v7, off
.LBB108_71:
	s_wait_xcnt 0x0
	s_or_b32 exec_lo, exec_lo, s4
	v_or_b32_e32 v7, 0x400, v0
	s_mov_b32 s4, exec_lo
	s_delay_alu instid0(VALU_DEP_1)
	v_cmpx_gt_u32_e64 s18, v7
	s_cbranch_execz .LBB108_73
; %bb.72:
	ds_load_u8 v7, v0 offset:1152
	s_wait_dscnt 0x0
	v_and_b32_e32 v8, 0xff, v7
	s_delay_alu instid0(VALU_DEP_1) | instskip(NEXT) | instid1(VALU_DEP_1)
	v_dual_lshrrev_b32 v8, s16, v8 :: v_dual_bitop2_b32 v7, -1, v7 bitop3:0x14
	v_and_b32_e32 v8, s3, v8
	s_delay_alu instid0(VALU_DEP_1) | instskip(SKIP_3) | instid1(VALU_DEP_1)
	v_lshlrev_b32_e32 v8, 3, v8
	ds_load_b64 v[8:9], v8
	s_wait_dscnt 0x0
	v_add_nc_u64_e32 v[8:9], s[14:15], v[8:9]
	v_add_nc_u64_e32 v[8:9], v[8:9], v[0:1]
	global_store_b8 v[8:9], v7, off offset:1024
.LBB108_73:
	s_wait_xcnt 0x0
	s_or_b32 exec_lo, exec_lo, s4
	v_or_b32_e32 v7, 0x800, v0
	s_mov_b32 s4, exec_lo
	s_delay_alu instid0(VALU_DEP_1)
	v_cmpx_gt_u32_e64 s18, v7
	s_cbranch_execz .LBB108_75
; %bb.74:
	ds_load_u8 v7, v0 offset:2176
	s_wait_dscnt 0x0
	v_and_b32_e32 v8, 0xff, v7
	s_delay_alu instid0(VALU_DEP_1) | instskip(NEXT) | instid1(VALU_DEP_1)
	v_dual_lshrrev_b32 v8, s16, v8 :: v_dual_bitop2_b32 v7, -1, v7 bitop3:0x14
	v_and_b32_e32 v8, s3, v8
	s_delay_alu instid0(VALU_DEP_1) | instskip(SKIP_3) | instid1(VALU_DEP_1)
	v_lshlrev_b32_e32 v8, 3, v8
	ds_load_b64 v[8:9], v8
	s_wait_dscnt 0x0
	v_add_nc_u64_e32 v[8:9], s[14:15], v[8:9]
	v_add_nc_u64_e32 v[8:9], v[8:9], v[0:1]
	global_store_b8 v[8:9], v7, off offset:2048
.LBB108_75:
	s_wait_xcnt 0x0
	s_or_b32 exec_lo, exec_lo, s4
	v_or_b32_e32 v7, 0xc00, v0
	s_mov_b32 s4, exec_lo
	s_delay_alu instid0(VALU_DEP_1)
	v_cmpx_gt_u32_e64 s18, v7
	s_cbranch_execz .LBB108_77
; %bb.76:
	ds_load_u8 v7, v0 offset:3200
	s_wait_dscnt 0x0
	v_and_b32_e32 v8, 0xff, v7
	s_delay_alu instid0(VALU_DEP_1) | instskip(NEXT) | instid1(VALU_DEP_1)
	v_dual_lshrrev_b32 v8, s16, v8 :: v_dual_bitop2_b32 v7, -1, v7 bitop3:0x14
	v_and_b32_e32 v8, s3, v8
	s_delay_alu instid0(VALU_DEP_1) | instskip(SKIP_3) | instid1(VALU_DEP_1)
	v_lshlrev_b32_e32 v8, 3, v8
	ds_load_b64 v[8:9], v8
	s_wait_dscnt 0x0
	v_add_nc_u64_e32 v[8:9], s[14:15], v[8:9]
	v_add_nc_u64_e32 v[8:9], v[8:9], v[0:1]
	global_store_b8 v[8:9], v7, off offset:3072
.LBB108_77:
	s_wait_xcnt 0x0
	s_or_b32 exec_lo, exec_lo, s4
	v_or_b32_e32 v7, 0x1000, v0
	s_mov_b32 s4, exec_lo
	s_delay_alu instid0(VALU_DEP_1)
	v_cmpx_gt_u32_e64 s18, v7
	s_cbranch_execz .LBB108_79
; %bb.78:
	ds_load_u8 v7, v0 offset:4224
	s_wait_dscnt 0x0
	v_and_b32_e32 v8, 0xff, v7
	s_delay_alu instid0(VALU_DEP_1) | instskip(NEXT) | instid1(VALU_DEP_1)
	v_dual_lshrrev_b32 v8, s16, v8 :: v_dual_bitop2_b32 v7, -1, v7 bitop3:0x14
	v_and_b32_e32 v8, s3, v8
	s_delay_alu instid0(VALU_DEP_1) | instskip(SKIP_3) | instid1(VALU_DEP_1)
	v_lshlrev_b32_e32 v8, 3, v8
	ds_load_b64 v[8:9], v8
	s_wait_dscnt 0x0
	v_add_nc_u64_e32 v[8:9], s[14:15], v[8:9]
	v_add_nc_u64_e32 v[8:9], v[8:9], v[0:1]
	global_store_b8 v[8:9], v7, off offset:4096
.LBB108_79:
	s_wait_xcnt 0x0
	s_or_b32 exec_lo, exec_lo, s4
	v_or_b32_e32 v7, 0x1400, v0
	s_mov_b32 s4, exec_lo
	s_delay_alu instid0(VALU_DEP_1)
	v_cmpx_gt_u32_e64 s18, v7
	s_cbranch_execz .LBB108_81
; %bb.80:
	ds_load_u8 v7, v0 offset:5248
	s_wait_dscnt 0x0
	v_and_b32_e32 v8, 0xff, v7
	s_delay_alu instid0(VALU_DEP_1) | instskip(NEXT) | instid1(VALU_DEP_1)
	v_dual_lshrrev_b32 v8, s16, v8 :: v_dual_bitop2_b32 v7, -1, v7 bitop3:0x14
	v_and_b32_e32 v8, s3, v8
	s_delay_alu instid0(VALU_DEP_1) | instskip(SKIP_3) | instid1(VALU_DEP_1)
	v_lshlrev_b32_e32 v8, 3, v8
	ds_load_b64 v[8:9], v8
	s_wait_dscnt 0x0
	v_add_nc_u64_e32 v[8:9], s[14:15], v[8:9]
	v_add_nc_u64_e32 v[8:9], v[8:9], v[0:1]
	global_store_b8 v[8:9], v7, off offset:5120
.LBB108_81:
	s_wait_xcnt 0x0
	s_or_b32 exec_lo, exec_lo, s4
	v_or_b32_e32 v7, 0x1800, v0
	s_mov_b32 s4, exec_lo
	s_delay_alu instid0(VALU_DEP_1)
	v_cmpx_gt_u32_e64 s18, v7
	s_cbranch_execz .LBB108_83
; %bb.82:
	ds_load_u8 v7, v0 offset:6272
	s_wait_dscnt 0x0
	v_and_b32_e32 v8, 0xff, v7
	s_delay_alu instid0(VALU_DEP_1) | instskip(NEXT) | instid1(VALU_DEP_1)
	v_dual_lshrrev_b32 v8, s16, v8 :: v_dual_bitop2_b32 v7, -1, v7 bitop3:0x14
	v_and_b32_e32 v8, s3, v8
	s_delay_alu instid0(VALU_DEP_1) | instskip(SKIP_3) | instid1(VALU_DEP_1)
	v_lshlrev_b32_e32 v8, 3, v8
	ds_load_b64 v[8:9], v8
	s_wait_dscnt 0x0
	v_add_nc_u64_e32 v[8:9], s[14:15], v[8:9]
	v_add_nc_u64_e32 v[8:9], v[8:9], v[0:1]
	global_store_b8 v[8:9], v7, off offset:6144
.LBB108_83:
	s_wait_xcnt 0x0
	s_or_b32 exec_lo, exec_lo, s4
	v_or_b32_e32 v7, 0x1c00, v0
	s_mov_b32 s4, exec_lo
	s_delay_alu instid0(VALU_DEP_1)
	v_cmpx_gt_u32_e64 s18, v7
	s_cbranch_execz .LBB108_85
; %bb.84:
	ds_load_u8 v7, v0 offset:7296
	s_wait_dscnt 0x0
	v_and_b32_e32 v8, 0xff, v7
	s_delay_alu instid0(VALU_DEP_1) | instskip(NEXT) | instid1(VALU_DEP_1)
	v_dual_lshrrev_b32 v8, s16, v8 :: v_dual_bitop2_b32 v7, -1, v7 bitop3:0x14
	v_and_b32_e32 v8, s3, v8
	s_delay_alu instid0(VALU_DEP_1) | instskip(SKIP_3) | instid1(VALU_DEP_1)
	v_lshlrev_b32_e32 v8, 3, v8
	ds_load_b64 v[8:9], v8
	s_wait_dscnt 0x0
	v_add_nc_u64_e32 v[8:9], s[14:15], v[8:9]
	v_add_nc_u64_e32 v[8:9], v[8:9], v[0:1]
	global_store_b8 v[8:9], v7, off offset:7168
.LBB108_85:
	s_wait_xcnt 0x0
	s_or_b32 exec_lo, exec_lo, s4
	v_or_b32_e32 v7, 0x2000, v0
	s_mov_b32 s4, exec_lo
	s_delay_alu instid0(VALU_DEP_1)
	v_cmpx_gt_u32_e64 s18, v7
	s_cbranch_execz .LBB108_87
; %bb.86:
	ds_load_u8 v7, v0 offset:8320
	s_wait_dscnt 0x0
	v_and_b32_e32 v8, 0xff, v7
	s_delay_alu instid0(VALU_DEP_1) | instskip(NEXT) | instid1(VALU_DEP_1)
	v_dual_lshrrev_b32 v8, s16, v8 :: v_dual_bitop2_b32 v7, -1, v7 bitop3:0x14
	v_and_b32_e32 v8, s3, v8
	s_delay_alu instid0(VALU_DEP_1) | instskip(SKIP_3) | instid1(VALU_DEP_1)
	v_lshlrev_b32_e32 v8, 3, v8
	ds_load_b64 v[8:9], v8
	s_wait_dscnt 0x0
	v_add_nc_u64_e32 v[8:9], s[14:15], v[8:9]
	v_add_nc_u64_e32 v[8:9], v[8:9], v[0:1]
	global_store_b8 v[8:9], v7, off offset:8192
.LBB108_87:
	s_wait_xcnt 0x0
	s_or_b32 exec_lo, exec_lo, s4
	v_or_b32_e32 v7, 0x2400, v0
	s_mov_b32 s4, exec_lo
	s_delay_alu instid0(VALU_DEP_1)
	v_cmpx_gt_u32_e64 s18, v7
	s_cbranch_execz .LBB108_89
; %bb.88:
	ds_load_u8 v7, v0 offset:9344
	s_wait_dscnt 0x0
	v_and_b32_e32 v8, 0xff, v7
	s_delay_alu instid0(VALU_DEP_1) | instskip(NEXT) | instid1(VALU_DEP_1)
	v_dual_lshrrev_b32 v8, s16, v8 :: v_dual_bitop2_b32 v7, -1, v7 bitop3:0x14
	v_and_b32_e32 v8, s3, v8
	s_delay_alu instid0(VALU_DEP_1) | instskip(SKIP_3) | instid1(VALU_DEP_1)
	v_lshlrev_b32_e32 v8, 3, v8
	ds_load_b64 v[8:9], v8
	s_wait_dscnt 0x0
	v_add_nc_u64_e32 v[8:9], s[14:15], v[8:9]
	v_add_nc_u64_e32 v[8:9], v[8:9], v[0:1]
	global_store_b8 v[8:9], v7, off offset:9216
.LBB108_89:
	s_wait_xcnt 0x0
	s_or_b32 exec_lo, exec_lo, s4
	v_or_b32_e32 v7, 0x2800, v0
	s_mov_b32 s4, exec_lo
	s_delay_alu instid0(VALU_DEP_1)
	v_cmpx_gt_u32_e64 s18, v7
	s_cbranch_execz .LBB108_91
; %bb.90:
	ds_load_u8 v7, v0 offset:10368
	s_wait_dscnt 0x0
	v_and_b32_e32 v8, 0xff, v7
	s_delay_alu instid0(VALU_DEP_1) | instskip(NEXT) | instid1(VALU_DEP_1)
	v_dual_lshrrev_b32 v8, s16, v8 :: v_dual_bitop2_b32 v7, -1, v7 bitop3:0x14
	v_and_b32_e32 v8, s3, v8
	s_delay_alu instid0(VALU_DEP_1) | instskip(SKIP_3) | instid1(VALU_DEP_1)
	v_lshlrev_b32_e32 v8, 3, v8
	ds_load_b64 v[8:9], v8
	s_wait_dscnt 0x0
	v_add_nc_u64_e32 v[8:9], s[14:15], v[8:9]
	v_add_nc_u64_e32 v[8:9], v[8:9], v[0:1]
	global_store_b8 v[8:9], v7, off offset:10240
.LBB108_91:
	s_wait_xcnt 0x0
	s_or_b32 exec_lo, exec_lo, s4
	v_or_b32_e32 v7, 0x2c00, v0
	s_mov_b32 s4, exec_lo
	s_delay_alu instid0(VALU_DEP_1)
	v_cmpx_gt_u32_e64 s18, v7
	s_cbranch_execz .LBB108_93
; %bb.92:
	ds_load_u8 v7, v0 offset:11392
	s_wait_dscnt 0x0
	v_and_b32_e32 v8, 0xff, v7
	s_delay_alu instid0(VALU_DEP_1) | instskip(NEXT) | instid1(VALU_DEP_1)
	v_dual_lshrrev_b32 v8, s16, v8 :: v_dual_bitop2_b32 v7, -1, v7 bitop3:0x14
	v_and_b32_e32 v8, s3, v8
	s_delay_alu instid0(VALU_DEP_1) | instskip(SKIP_3) | instid1(VALU_DEP_1)
	v_lshlrev_b32_e32 v8, 3, v8
	ds_load_b64 v[8:9], v8
	s_wait_dscnt 0x0
	v_add_nc_u64_e32 v[8:9], s[14:15], v[8:9]
	v_add_nc_u64_e32 v[8:9], v[8:9], v[0:1]
	global_store_b8 v[8:9], v7, off offset:11264
.LBB108_93:
	s_wait_xcnt 0x0
	s_or_b32 exec_lo, exec_lo, s4
	v_or_b32_e32 v7, 0x3000, v0
	s_mov_b32 s4, exec_lo
	s_delay_alu instid0(VALU_DEP_1)
	v_cmpx_gt_u32_e64 s18, v7
	s_cbranch_execz .LBB108_95
; %bb.94:
	ds_load_u8 v7, v0 offset:12416
	s_wait_dscnt 0x0
	v_and_b32_e32 v8, 0xff, v7
	s_delay_alu instid0(VALU_DEP_1) | instskip(NEXT) | instid1(VALU_DEP_1)
	v_dual_lshrrev_b32 v8, s16, v8 :: v_dual_bitop2_b32 v7, -1, v7 bitop3:0x14
	v_and_b32_e32 v8, s3, v8
	s_delay_alu instid0(VALU_DEP_1) | instskip(SKIP_3) | instid1(VALU_DEP_1)
	v_lshlrev_b32_e32 v8, 3, v8
	ds_load_b64 v[8:9], v8
	s_wait_dscnt 0x0
	v_add_nc_u64_e32 v[8:9], s[14:15], v[8:9]
	v_add_nc_u64_e32 v[8:9], v[8:9], v[0:1]
	global_store_b8 v[8:9], v7, off offset:12288
.LBB108_95:
	s_wait_xcnt 0x0
	s_or_b32 exec_lo, exec_lo, s4
	v_or_b32_e32 v7, 0x3400, v0
	s_mov_b32 s4, exec_lo
	s_delay_alu instid0(VALU_DEP_1)
	v_cmpx_gt_u32_e64 s18, v7
	s_cbranch_execz .LBB108_97
; %bb.96:
	ds_load_u8 v7, v0 offset:13440
	s_wait_dscnt 0x0
	v_and_b32_e32 v8, 0xff, v7
	s_delay_alu instid0(VALU_DEP_1) | instskip(NEXT) | instid1(VALU_DEP_1)
	v_dual_lshrrev_b32 v8, s16, v8 :: v_dual_bitop2_b32 v7, -1, v7 bitop3:0x14
	v_and_b32_e32 v8, s3, v8
	s_delay_alu instid0(VALU_DEP_1) | instskip(SKIP_3) | instid1(VALU_DEP_1)
	v_lshlrev_b32_e32 v8, 3, v8
	ds_load_b64 v[8:9], v8
	s_wait_dscnt 0x0
	v_add_nc_u64_e32 v[8:9], s[14:15], v[8:9]
	v_add_nc_u64_e32 v[8:9], v[8:9], v[0:1]
	global_store_b8 v[8:9], v7, off offset:13312
.LBB108_97:
	s_wait_xcnt 0x0
	s_or_b32 exec_lo, exec_lo, s4
	v_or_b32_e32 v7, 0x3800, v0
	s_mov_b32 s4, exec_lo
	s_delay_alu instid0(VALU_DEP_1)
	v_cmpx_gt_u32_e64 s18, v7
	s_cbranch_execz .LBB108_99
; %bb.98:
	ds_load_u8 v7, v0 offset:14464
	s_wait_dscnt 0x0
	v_and_b32_e32 v8, 0xff, v7
	s_delay_alu instid0(VALU_DEP_1) | instskip(NEXT) | instid1(VALU_DEP_1)
	v_dual_lshrrev_b32 v8, s16, v8 :: v_dual_bitop2_b32 v7, -1, v7 bitop3:0x14
	v_and_b32_e32 v8, s3, v8
	s_delay_alu instid0(VALU_DEP_1) | instskip(SKIP_3) | instid1(VALU_DEP_1)
	v_lshlrev_b32_e32 v8, 3, v8
	ds_load_b64 v[8:9], v8
	s_wait_dscnt 0x0
	v_add_nc_u64_e32 v[8:9], s[14:15], v[8:9]
	v_add_nc_u64_e32 v[8:9], v[8:9], v[0:1]
	global_store_b8 v[8:9], v7, off offset:14336
.LBB108_99:
	s_wait_xcnt 0x0
	s_or_b32 exec_lo, exec_lo, s4
	v_or_b32_e32 v7, 0x3c00, v0
	s_mov_b32 s4, exec_lo
	s_delay_alu instid0(VALU_DEP_1)
	v_cmpx_gt_u32_e64 s18, v7
	s_cbranch_execz .LBB108_101
; %bb.100:
	ds_load_u8 v7, v0 offset:15488
	s_wait_dscnt 0x0
	v_and_b32_e32 v8, 0xff, v7
	s_delay_alu instid0(VALU_DEP_1) | instskip(NEXT) | instid1(VALU_DEP_1)
	v_dual_lshrrev_b32 v8, s16, v8 :: v_dual_bitop2_b32 v7, -1, v7 bitop3:0x14
	v_and_b32_e32 v8, s3, v8
	s_delay_alu instid0(VALU_DEP_1) | instskip(SKIP_3) | instid1(VALU_DEP_1)
	v_lshlrev_b32_e32 v8, 3, v8
	ds_load_b64 v[8:9], v8
	s_wait_dscnt 0x0
	v_add_nc_u64_e32 v[8:9], s[14:15], v[8:9]
	v_add_nc_u64_e32 v[8:9], v[8:9], v[0:1]
	global_store_b8 v[8:9], v7, off offset:15360
.LBB108_101:
	s_wait_xcnt 0x0
	s_or_b32 exec_lo, exec_lo, s4
	v_or_b32_e32 v7, 0x4000, v0
	s_mov_b32 s4, exec_lo
	s_delay_alu instid0(VALU_DEP_1)
	v_cmpx_gt_u32_e64 s18, v7
	s_cbranch_execz .LBB108_103
; %bb.102:
	ds_load_u8 v7, v0 offset:16512
	s_wait_dscnt 0x0
	v_and_b32_e32 v8, 0xff, v7
	s_delay_alu instid0(VALU_DEP_1) | instskip(NEXT) | instid1(VALU_DEP_1)
	v_dual_lshrrev_b32 v8, s16, v8 :: v_dual_bitop2_b32 v7, -1, v7 bitop3:0x14
	v_and_b32_e32 v8, s3, v8
	s_delay_alu instid0(VALU_DEP_1) | instskip(SKIP_3) | instid1(VALU_DEP_1)
	v_lshlrev_b32_e32 v8, 3, v8
	ds_load_b64 v[8:9], v8
	s_wait_dscnt 0x0
	v_add_nc_u64_e32 v[8:9], s[14:15], v[8:9]
	v_add_nc_u64_e32 v[8:9], v[8:9], v[0:1]
	global_store_b8 v[8:9], v7, off offset:16384
.LBB108_103:
	s_wait_xcnt 0x0
	s_or_b32 exec_lo, exec_lo, s4
	v_or_b32_e32 v7, 0x4400, v0
	s_mov_b32 s4, exec_lo
	s_delay_alu instid0(VALU_DEP_1)
	v_cmpx_gt_u32_e64 s18, v7
	s_cbranch_execz .LBB108_105
; %bb.104:
	ds_load_u8 v7, v0 offset:17536
	s_wait_dscnt 0x0
	v_and_b32_e32 v8, 0xff, v7
	s_delay_alu instid0(VALU_DEP_1) | instskip(NEXT) | instid1(VALU_DEP_1)
	v_dual_lshrrev_b32 v8, s16, v8 :: v_dual_bitop2_b32 v7, -1, v7 bitop3:0x14
	v_and_b32_e32 v8, s3, v8
	s_delay_alu instid0(VALU_DEP_1) | instskip(SKIP_3) | instid1(VALU_DEP_1)
	v_lshlrev_b32_e32 v8, 3, v8
	ds_load_b64 v[8:9], v8
	s_wait_dscnt 0x0
	v_add_nc_u64_e32 v[8:9], s[14:15], v[8:9]
	v_add_nc_u64_e32 v[8:9], v[8:9], v[0:1]
	global_store_b8 v[8:9], v7, off offset:17408
.LBB108_105:
	s_wait_xcnt 0x0
	s_or_b32 exec_lo, exec_lo, s4
	v_or_b32_e32 v7, 0x4800, v0
	s_mov_b32 s4, exec_lo
	s_delay_alu instid0(VALU_DEP_1)
	v_cmpx_gt_u32_e64 s18, v7
	s_cbranch_execz .LBB108_107
; %bb.106:
	ds_load_u8 v7, v0 offset:18560
	s_wait_dscnt 0x0
	v_and_b32_e32 v8, 0xff, v7
	s_delay_alu instid0(VALU_DEP_1) | instskip(NEXT) | instid1(VALU_DEP_1)
	v_dual_lshrrev_b32 v8, s16, v8 :: v_dual_bitop2_b32 v7, -1, v7 bitop3:0x14
	v_and_b32_e32 v8, s3, v8
	s_delay_alu instid0(VALU_DEP_1) | instskip(SKIP_3) | instid1(VALU_DEP_1)
	v_lshlrev_b32_e32 v8, 3, v8
	ds_load_b64 v[8:9], v8
	s_wait_dscnt 0x0
	v_add_nc_u64_e32 v[8:9], s[14:15], v[8:9]
	v_add_nc_u64_e32 v[8:9], v[8:9], v[0:1]
	global_store_b8 v[8:9], v7, off offset:18432
.LBB108_107:
	s_wait_xcnt 0x0
	s_or_b32 exec_lo, exec_lo, s4
	v_or_b32_e32 v7, 0x4c00, v0
	s_mov_b32 s4, exec_lo
	s_delay_alu instid0(VALU_DEP_1)
	v_cmpx_gt_u32_e64 s18, v7
	s_cbranch_execz .LBB108_109
; %bb.108:
	ds_load_u8 v7, v0 offset:19584
	s_wait_dscnt 0x0
	v_and_b32_e32 v8, 0xff, v7
	s_delay_alu instid0(VALU_DEP_1) | instskip(NEXT) | instid1(VALU_DEP_1)
	v_dual_lshrrev_b32 v8, s16, v8 :: v_dual_bitop2_b32 v7, -1, v7 bitop3:0x14
	v_and_b32_e32 v8, s3, v8
	s_delay_alu instid0(VALU_DEP_1) | instskip(SKIP_3) | instid1(VALU_DEP_1)
	v_lshlrev_b32_e32 v8, 3, v8
	ds_load_b64 v[8:9], v8
	s_wait_dscnt 0x0
	v_add_nc_u64_e32 v[8:9], s[14:15], v[8:9]
	v_add_nc_u64_e32 v[8:9], v[8:9], v[0:1]
	global_store_b8 v[8:9], v7, off offset:19456
.LBB108_109:
	s_wait_xcnt 0x0
	s_or_b32 exec_lo, exec_lo, s4
	v_or_b32_e32 v7, 0x5000, v0
	s_mov_b32 s4, exec_lo
	s_delay_alu instid0(VALU_DEP_1)
	v_cmpx_gt_u32_e64 s18, v7
	s_cbranch_execz .LBB108_111
; %bb.110:
	ds_load_u8 v7, v0 offset:20608
	s_wait_dscnt 0x0
	v_and_b32_e32 v8, 0xff, v7
	s_delay_alu instid0(VALU_DEP_1) | instskip(NEXT) | instid1(VALU_DEP_1)
	v_dual_lshrrev_b32 v8, s16, v8 :: v_dual_bitop2_b32 v7, -1, v7 bitop3:0x14
	v_and_b32_e32 v8, s3, v8
	s_delay_alu instid0(VALU_DEP_1) | instskip(SKIP_3) | instid1(VALU_DEP_1)
	v_lshlrev_b32_e32 v8, 3, v8
	ds_load_b64 v[8:9], v8
	s_wait_dscnt 0x0
	v_add_nc_u64_e32 v[8:9], s[14:15], v[8:9]
	v_add_nc_u64_e32 v[8:9], v[8:9], v[0:1]
	global_store_b8 v[8:9], v7, off offset:20480
.LBB108_111:
	s_wait_xcnt 0x0
	s_or_b32 exec_lo, exec_lo, s4
	v_or_b32_e32 v7, 0x5400, v0
	s_mov_b32 s4, exec_lo
	s_delay_alu instid0(VALU_DEP_1)
	v_cmpx_gt_u32_e64 s18, v7
	s_cbranch_execz .LBB108_113
; %bb.112:
	ds_load_u8 v7, v0 offset:21632
	s_wait_dscnt 0x0
	v_and_b32_e32 v8, 0xff, v7
	s_delay_alu instid0(VALU_DEP_1) | instskip(NEXT) | instid1(VALU_DEP_1)
	v_lshrrev_b32_e32 v8, s16, v8
	v_and_b32_e32 v8, s3, v8
	s_delay_alu instid0(VALU_DEP_1) | instskip(SKIP_3) | instid1(VALU_DEP_1)
	v_lshlrev_b32_e32 v8, 3, v8
	ds_load_b64 v[8:9], v8
	s_wait_dscnt 0x0
	v_add_nc_u64_e32 v[8:9], s[14:15], v[8:9]
	v_add_nc_u64_e32 v[8:9], v[8:9], v[0:1]
	v_xor_b32_e32 v1, -1, v7
	global_store_b8 v[8:9], v1, off offset:21504
.LBB108_113:
	s_wait_xcnt 0x0
	s_or_b32 exec_lo, exec_lo, s4
	s_load_b32 s2, s[0:1], 0x58
	s_wait_kmcnt 0x0
	s_add_co_i32 s2, s2, -1
	s_delay_alu instid0(SALU_CYCLE_1) | instskip(SKIP_2) | instid1(SALU_CYCLE_1)
	s_cmp_eq_u32 s19, s2
	s_cselect_b32 s2, -1, 0
	s_xor_b32 s3, vcc_lo, -1
	s_and_b32 s3, s3, s2
	s_delay_alu instid0(SALU_CYCLE_1)
	s_and_saveexec_b32 s2, s3
	s_cbranch_execz .LBB108_115
; %bb.114:
	ds_load_b64 v[8:9], v5
	v_mov_b32_e32 v5, 0
	s_delay_alu instid0(VALU_DEP_1) | instskip(SKIP_1) | instid1(VALU_DEP_1)
	v_add_nc_u64_e32 v[2:3], v[2:3], v[4:5]
	s_wait_dscnt 0x0
	v_add_nc_u64_e32 v[2:3], v[2:3], v[8:9]
	global_store_b64 v0, v[2:3], s[10:11] scale_offset
.LBB108_115:
	s_wait_xcnt 0x0
	s_or_b32 exec_lo, exec_lo, s2
	s_mov_b32 s3, 0
.LBB108_116:
	s_delay_alu instid0(SALU_CYCLE_1)
	s_and_b32 vcc_lo, exec_lo, s3
	s_cbranch_vccz .LBB108_139
; %bb.117:
	s_mov_b32 s23, 0
	s_mov_b32 s7, exec_lo
	s_add_nc_u64 s[2:3], s[12:13], s[22:23]
	s_lshl_b32 s12, -1, s17
	s_clause 0x1
	global_load_b128 v[2:5], v6, s[2:3]
	global_load_b32 v8, v6, s[2:3] offset:16
	s_wait_loadcnt 0x1
	v_dual_lshlrev_b32 v12, 2, v0 :: v_dual_bitop2_b32 v1, -1, v2 bitop3:0x14
	s_delay_alu instid0(VALU_DEP_1) | instskip(NEXT) | instid1(VALU_DEP_1)
	v_and_b32_e32 v7, 0xff, v1
	v_lshrrev_b32_e32 v7, s16, v7
	s_delay_alu instid0(VALU_DEP_1) | instskip(SKIP_1) | instid1(VALU_DEP_2)
	v_bitop3_b32 v7, v7, s12, v7 bitop3:0x30
	v_dual_lshrrev_b32 v9, 8, v2 :: v_dual_mov_b32 v13, 0
	v_dual_lshlrev_b32 v10, 10, v7 :: v_dual_lshrrev_b32 v11, 2, v7
	s_delay_alu instid0(VALU_DEP_2)
	v_xor_b32_e32 v7, -1, v9
	ds_store_2addr_stride64_b32 v12, v13, v13 offset1:16
	ds_store_2addr_stride64_b32 v12, v13, v13 offset0:32 offset1:48
	ds_store_2addr_stride64_b32 v12, v13, v13 offset0:64 offset1:80
	;; [unrolled: 1-line block ×3, first 2 shown]
	v_and_or_b32 v9, 0x1c00, v10, v0
	v_and_b32_e32 v10, 62, v11
	v_and_b32_e32 v11, 0xff, v7
	global_load_u16 v42, v6, s[2:3] offset:20
	v_lshl_add_u32 v17, v9, 2, v10
	v_lshrrev_b32_e32 v9, s16, v11
	ds_load_u16 v11, v17
	v_bitop3_b32 v9, v9, s12, v9 bitop3:0x30
	v_dual_lshrrev_b32 v10, 16, v2 :: v_dual_lshrrev_b32 v2, 24, v2
	s_delay_alu instid0(VALU_DEP_2) | instskip(NEXT) | instid1(VALU_DEP_2)
	v_dual_lshlrev_b32 v12, 10, v9 :: v_dual_lshrrev_b32 v9, 2, v9
	v_xor_b32_e32 v10, -1, v10
	s_delay_alu instid0(VALU_DEP_2) | instskip(NEXT) | instid1(VALU_DEP_3)
	v_and_or_b32 v12, 0x1c00, v12, v0
	v_and_b32_e32 v9, 62, v9
	s_delay_alu instid0(VALU_DEP_3) | instskip(NEXT) | instid1(VALU_DEP_2)
	v_and_b32_e32 v13, 0xff, v10
	v_lshl_add_u32 v20, v12, 2, v9
	s_delay_alu instid0(VALU_DEP_2) | instskip(SKIP_2) | instid1(VALU_DEP_2)
	v_dual_lshrrev_b32 v9, s16, v13 :: v_dual_bitop2_b32 v12, -1, v2 bitop3:0x14
	s_wait_dscnt 0x0
	v_add_nc_u16 v14, v11, 1
	v_bitop3_b32 v9, v9, s12, v9 bitop3:0x30
	ds_store_b16 v17, v14
	ds_load_u16 v14, v20
	v_dual_lshlrev_b32 v13, 10, v9 :: v_dual_lshrrev_b32 v9, 2, v9
	s_delay_alu instid0(VALU_DEP_1) | instskip(NEXT) | instid1(VALU_DEP_2)
	v_and_or_b32 v2, 0x1c00, v13, v0
	v_and_b32_e32 v9, 62, v9
	v_and_b32_e32 v13, 0xff, v12
	s_delay_alu instid0(VALU_DEP_2) | instskip(NEXT) | instid1(VALU_DEP_2)
	v_lshl_add_u32 v2, v2, 2, v9
	v_dual_lshrrev_b32 v9, s16, v13 :: v_dual_bitop2_b32 v13, -1, v3 bitop3:0x14
	s_delay_alu instid0(VALU_DEP_1) | instskip(SKIP_2) | instid1(VALU_DEP_3)
	v_bitop3_b32 v9, v9, s12, v9 bitop3:0x30
	s_wait_dscnt 0x0
	v_add_nc_u16 v15, v14, 1
	v_and_b32_e32 v18, 0xff, v13
	s_delay_alu instid0(VALU_DEP_3) | instskip(SKIP_4) | instid1(VALU_DEP_1)
	v_dual_lshlrev_b32 v16, 10, v9 :: v_dual_lshrrev_b32 v9, 2, v9
	ds_store_b16 v20, v15
	ds_load_u16 v15, v2
	v_and_or_b32 v16, 0x1c00, v16, v0
	v_and_b32_e32 v9, 62, v9
	v_lshl_add_u32 v27, v16, 2, v9
	v_dual_lshrrev_b32 v16, 8, v3 :: v_dual_lshrrev_b32 v9, s16, v18
	s_delay_alu instid0(VALU_DEP_1) | instskip(NEXT) | instid1(VALU_DEP_2)
	v_xor_b32_e32 v16, -1, v16
	v_bitop3_b32 v9, v9, s12, v9 bitop3:0x30
	s_delay_alu instid0(VALU_DEP_2) | instskip(SKIP_2) | instid1(VALU_DEP_3)
	v_and_b32_e32 v21, 0xff, v16
	s_wait_dscnt 0x0
	v_add_nc_u16 v19, v15, 1
	v_dual_lshlrev_b32 v18, 10, v9 :: v_dual_lshrrev_b32 v9, 2, v9
	ds_store_b16 v2, v19
	ds_load_u16 v19, v27
	v_and_or_b32 v18, 0x1c00, v18, v0
	v_and_b32_e32 v9, 62, v9
	s_delay_alu instid0(VALU_DEP_1) | instskip(SKIP_1) | instid1(VALU_DEP_1)
	v_lshl_add_u32 v34, v18, 2, v9
	v_dual_lshrrev_b32 v18, 16, v3 :: v_dual_lshrrev_b32 v9, s16, v21
	v_dual_lshrrev_b32 v3, 24, v3 :: v_dual_bitop2_b32 v18, -1, v18 bitop3:0x14
	s_delay_alu instid0(VALU_DEP_2) | instskip(SKIP_1) | instid1(VALU_DEP_2)
	v_bitop3_b32 v9, v9, s12, v9 bitop3:0x30
	s_wait_xcnt 0x0
	v_and_b32_e32 v6, 0xff, v18
	s_wait_dscnt 0x0
	v_add_nc_u16 v22, v19, 1
	s_delay_alu instid0(VALU_DEP_2) | instskip(SKIP_4) | instid1(VALU_DEP_2)
	v_lshrrev_b32_e32 v6, s16, v6
	ds_store_b16 v27, v22
	ds_load_u16 v21, v34
	v_dual_lshlrev_b32 v22, 10, v9 :: v_dual_lshrrev_b32 v9, 2, v9
	v_bitop3_b32 v6, v6, s12, v6 bitop3:0x30
	v_and_or_b32 v22, 0x1c00, v22, v0
	s_delay_alu instid0(VALU_DEP_3) | instskip(NEXT) | instid1(VALU_DEP_1)
	v_and_b32_e32 v9, 62, v9
	v_lshl_add_u32 v41, v22, 2, v9
	s_delay_alu instid0(VALU_DEP_4) | instskip(SKIP_1) | instid1(VALU_DEP_2)
	v_dual_lshlrev_b32 v9, 10, v6 :: v_dual_lshrrev_b32 v22, 2, v6
	v_xor_b32_e32 v6, -1, v3
	v_and_or_b32 v3, 0x1c00, v9, v0
	s_delay_alu instid0(VALU_DEP_3) | instskip(SKIP_3) | instid1(VALU_DEP_3)
	v_and_b32_e32 v9, 62, v22
	s_wait_dscnt 0x0
	v_add_nc_u16 v23, v21, 1
	v_and_b32_e32 v22, 0xff, v6
	v_lshl_add_u32 v3, v3, 2, v9
	ds_store_b16 v34, v23
	ds_load_u16 v25, v41
	v_dual_lshrrev_b32 v9, s16, v22 :: v_dual_bitop2_b32 v22, -1, v4 bitop3:0x14
	s_delay_alu instid0(VALU_DEP_1) | instskip(NEXT) | instid1(VALU_DEP_2)
	v_bitop3_b32 v9, v9, s12, v9 bitop3:0x30
	v_and_b32_e32 v24, 0xff, v22
	s_wait_dscnt 0x0
	v_add_nc_u16 v23, v25, 1
	ds_store_b16 v41, v23
	ds_load_u16 v29, v3
	v_dual_lshlrev_b32 v23, 10, v9 :: v_dual_lshrrev_b32 v9, 2, v9
	s_delay_alu instid0(VALU_DEP_1) | instskip(NEXT) | instid1(VALU_DEP_2)
	v_and_or_b32 v23, 0x1c00, v23, v0
	v_and_b32_e32 v9, 62, v9
	s_delay_alu instid0(VALU_DEP_1) | instskip(SKIP_1) | instid1(VALU_DEP_1)
	v_lshl_add_u32 v47, v23, 2, v9
	v_lshrrev_b32_e32 v23, 8, v4
	v_dual_lshrrev_b32 v9, s16, v24 :: v_dual_bitop2_b32 v23, -1, v23 bitop3:0x14
	s_delay_alu instid0(VALU_DEP_1) | instskip(SKIP_2) | instid1(VALU_DEP_2)
	v_bitop3_b32 v9, v9, s12, v9 bitop3:0x30
	s_wait_dscnt 0x0
	v_add_nc_u16 v26, v29, 1
	v_lshlrev_b32_e32 v24, 10, v9
	ds_store_b16 v3, v26
	ds_load_u16 v31, v47
	v_lshrrev_b32_e32 v9, 2, v9
	v_and_b32_e32 v26, 0xff, v23
	v_and_or_b32 v24, 0x1c00, v24, v0
	s_delay_alu instid0(VALU_DEP_3) | instskip(NEXT) | instid1(VALU_DEP_1)
	v_and_b32_e32 v9, 62, v9
	v_lshl_add_u32 v49, v24, 2, v9
	v_dual_lshrrev_b32 v24, 16, v4 :: v_dual_lshrrev_b32 v4, 24, v4
	s_delay_alu instid0(VALU_DEP_1) | instskip(NEXT) | instid1(VALU_DEP_1)
	v_dual_lshrrev_b32 v9, s16, v26 :: v_dual_bitop2_b32 v24, -1, v24 bitop3:0x14
	v_bitop3_b32 v9, v9, s12, v9 bitop3:0x30
	s_wait_dscnt 0x0
	v_add_nc_u16 v28, v31, 1
	s_delay_alu instid0(VALU_DEP_2)
	v_dual_lshlrev_b32 v26, 10, v9 :: v_dual_lshrrev_b32 v9, 2, v9
	ds_store_b16 v47, v28
	ds_load_u16 v33, v49
	v_and_b32_e32 v28, 0xff, v24
	v_and_or_b32 v26, 0x1c00, v26, v0
	v_and_b32_e32 v9, 62, v9
	s_delay_alu instid0(VALU_DEP_1) | instskip(NEXT) | instid1(VALU_DEP_4)
	v_lshl_add_u32 v51, v26, 2, v9
	v_lshrrev_b32_e32 v9, s16, v28
	v_xor_b32_e32 v26, -1, v4
	s_delay_alu instid0(VALU_DEP_2) | instskip(NEXT) | instid1(VALU_DEP_1)
	v_bitop3_b32 v9, v9, s12, v9 bitop3:0x30
	v_dual_lshlrev_b32 v28, 10, v9 :: v_dual_lshrrev_b32 v9, 2, v9
	s_wait_dscnt 0x0
	v_add_nc_u16 v30, v33, 1
	s_delay_alu instid0(VALU_DEP_2) | instskip(NEXT) | instid1(VALU_DEP_3)
	v_and_or_b32 v4, 0x1c00, v28, v0
	v_and_b32_e32 v9, 62, v9
	ds_store_b16 v49, v30
	ds_load_u16 v35, v51
	v_and_b32_e32 v28, 0xff, v26
	v_lshl_add_u32 v4, v4, 2, v9
	s_delay_alu instid0(VALU_DEP_2) | instskip(NEXT) | instid1(VALU_DEP_1)
	v_dual_lshrrev_b32 v9, s16, v28 :: v_dual_bitop2_b32 v28, -1, v5 bitop3:0x14
	v_bitop3_b32 v9, v9, s12, v9 bitop3:0x30
	s_delay_alu instid0(VALU_DEP_2)
	v_and_b32_e32 v32, 0xff, v28
	s_wait_dscnt 0x0
	v_add_nc_u16 v30, v35, 1
	ds_store_b16 v51, v30
	ds_load_u16 v38, v4
	v_dual_lshlrev_b32 v30, 10, v9 :: v_dual_lshrrev_b32 v9, 2, v9
	s_delay_alu instid0(VALU_DEP_1) | instskip(NEXT) | instid1(VALU_DEP_2)
	v_and_or_b32 v30, 0x1c00, v30, v0
	v_and_b32_e32 v9, 62, v9
	s_delay_alu instid0(VALU_DEP_1) | instskip(SKIP_1) | instid1(VALU_DEP_1)
	v_lshl_add_u32 v54, v30, 2, v9
	v_dual_lshrrev_b32 v30, 8, v5 :: v_dual_lshrrev_b32 v9, s16, v32
	v_xor_b32_e32 v30, -1, v30
	s_delay_alu instid0(VALU_DEP_2) | instskip(SKIP_2) | instid1(VALU_DEP_2)
	v_bitop3_b32 v9, v9, s12, v9 bitop3:0x30
	s_wait_dscnt 0x0
	v_add_nc_u16 v36, v38, 1
	v_dual_lshlrev_b32 v32, 10, v9 :: v_dual_lshrrev_b32 v9, 2, v9
	ds_store_b16 v4, v36
	ds_load_u16 v40, v54
	v_and_b32_e32 v36, 0xff, v30
	v_and_or_b32 v32, 0x1c00, v32, v0
	v_and_b32_e32 v9, 62, v9
	s_delay_alu instid0(VALU_DEP_1) | instskip(NEXT) | instid1(VALU_DEP_4)
	v_lshl_add_u32 v56, v32, 2, v9
	v_dual_lshrrev_b32 v9, s16, v36 :: v_dual_lshrrev_b32 v32, 16, v5
	v_lshrrev_b32_e32 v5, 24, v5
	s_delay_alu instid0(VALU_DEP_2) | instskip(NEXT) | instid1(VALU_DEP_1)
	v_bitop3_b32 v9, v9, s12, v9 bitop3:0x30
	v_dual_lshlrev_b32 v36, 10, v9 :: v_dual_bitop2_b32 v32, -1, v32 bitop3:0x14
	v_lshrrev_b32_e32 v9, 2, v9
	s_wait_dscnt 0x0
	v_add_nc_u16 v37, v40, 1
	s_delay_alu instid0(VALU_DEP_3) | instskip(NEXT) | instid1(VALU_DEP_3)
	v_and_or_b32 v36, 0x1c00, v36, v0
	v_and_b32_e32 v9, 62, v9
	ds_store_b16 v54, v37
	ds_load_u16 v43, v56
	v_and_b32_e32 v37, 0xff, v32
	v_lshl_add_u32 v58, v36, 2, v9
	s_delay_alu instid0(VALU_DEP_2) | instskip(NEXT) | instid1(VALU_DEP_1)
	v_lshrrev_b32_e32 v9, s16, v37
	v_bitop3_b32 v9, v9, s12, v9 bitop3:0x30
	s_delay_alu instid0(VALU_DEP_1) | instskip(SKIP_2) | instid1(VALU_DEP_2)
	v_dual_lshlrev_b32 v36, 10, v9 :: v_dual_lshrrev_b32 v9, 2, v9
	s_wait_dscnt 0x0
	v_add_nc_u16 v39, v43, 1
	v_and_or_b32 v36, 0x1c00, v36, v0
	s_delay_alu instid0(VALU_DEP_3)
	v_and_b32_e32 v9, 62, v9
	ds_store_b16 v56, v39
	ds_load_u16 v44, v58
	v_lshl_add_u32 v59, v36, 2, v9
	s_wait_loadcnt 0x1
	v_xor_b32_e32 v36, -1, v8
	s_wait_dscnt 0x0
	v_add_nc_u16 v39, v44, 1
	ds_store_b16 v58, v39
	v_and_b32_e32 v39, 0xff, v36
	v_xor_b32_e32 v5, -1, v5
	ds_load_u16 v45, v59
	v_and_b32_e32 v37, 0xff, v5
	s_delay_alu instid0(VALU_DEP_1) | instskip(NEXT) | instid1(VALU_DEP_1)
	v_lshrrev_b32_e32 v9, s16, v37
	v_bitop3_b32 v9, v9, s12, v9 bitop3:0x30
	s_delay_alu instid0(VALU_DEP_1) | instskip(SKIP_2) | instid1(VALU_DEP_2)
	v_dual_lshlrev_b32 v37, 10, v9 :: v_dual_lshrrev_b32 v9, 2, v9
	s_wait_dscnt 0x0
	v_add_nc_u16 v46, v45, 1
	v_and_or_b32 v37, 0x1c00, v37, v0
	s_delay_alu instid0(VALU_DEP_3)
	v_and_b32_e32 v9, 62, v9
	ds_store_b16 v59, v46
	v_lshl_add_u32 v60, v37, 2, v9
	v_dual_lshrrev_b32 v9, s16, v39 :: v_dual_lshrrev_b32 v37, 8, v8
	ds_load_u16 v46, v60
	v_bitop3_b32 v9, v9, s12, v9 bitop3:0x30
	v_xor_b32_e32 v39, -1, v37
	s_delay_alu instid0(VALU_DEP_2) | instskip(NEXT) | instid1(VALU_DEP_1)
	v_dual_lshlrev_b32 v48, 10, v9 :: v_dual_lshrrev_b32 v9, 2, v9
	v_and_or_b32 v37, 0x1c00, v48, v0
	s_delay_alu instid0(VALU_DEP_2) | instskip(NEXT) | instid1(VALU_DEP_4)
	v_and_b32_e32 v9, 62, v9
	v_and_b32_e32 v48, 0xff, v39
	s_delay_alu instid0(VALU_DEP_2) | instskip(SKIP_1) | instid1(VALU_DEP_3)
	v_lshl_add_u32 v61, v37, 2, v9
	v_lshrrev_b32_e32 v37, 16, v8
	v_lshrrev_b32_e32 v9, s16, v48
	s_wait_dscnt 0x0
	v_add_nc_u16 v50, v46, 1
	s_delay_alu instid0(VALU_DEP_3) | instskip(NEXT) | instid1(VALU_DEP_3)
	v_xor_b32_e32 v37, -1, v37
	v_bitop3_b32 v9, v9, s12, v9 bitop3:0x30
	ds_store_b16 v60, v50
	ds_load_u16 v48, v61
	v_and_b32_e32 v52, 0xff, v37
	v_dual_lshlrev_b32 v50, 10, v9 :: v_dual_lshrrev_b32 v9, 2, v9
	s_delay_alu instid0(VALU_DEP_2) | instskip(NEXT) | instid1(VALU_DEP_2)
	v_lshrrev_b32_e32 v52, s16, v52
	v_and_or_b32 v50, 0x1c00, v50, v0
	s_delay_alu instid0(VALU_DEP_3) | instskip(NEXT) | instid1(VALU_DEP_3)
	v_and_b32_e32 v9, 62, v9
	v_bitop3_b32 v55, v52, s12, v52 bitop3:0x30
	s_delay_alu instid0(VALU_DEP_2)
	v_lshl_add_u32 v62, v50, 2, v9
	s_wait_loadcnt 0x0
	v_and_b32_e32 v9, 0xffff, v42
	v_xor_b32_e32 v42, -1, v42
	s_wait_dscnt 0x0
	v_add_nc_u16 v53, v48, 1
	ds_store_b16 v61, v53
	ds_load_u16 v50, v62
	v_lshrrev_b64 v[52:53], 24, v[8:9]
	v_dual_lshlrev_b32 v53, 10, v55 :: v_dual_lshrrev_b32 v55, 2, v55
	s_delay_alu instid0(VALU_DEP_2) | instskip(NEXT) | instid1(VALU_DEP_2)
	v_dual_lshrrev_b32 v9, 8, v9 :: v_dual_bitop2_b32 v8, -1, v52 bitop3:0x14
	v_and_or_b32 v52, 0x1c00, v53, v0
	s_delay_alu instid0(VALU_DEP_2) | instskip(NEXT) | instid1(VALU_DEP_1)
	v_xor_b32_e32 v9, -1, v9
	v_and_b32_e32 v66, 0xff, v9
	s_wait_dscnt 0x0
	v_add_nc_u16 v57, v50, 1
	ds_store_b16 v62, v57
	v_and_b32_e32 v57, 0xff, v42
	v_and_b32_e32 v53, 62, v55
	;; [unrolled: 1-line block ×3, first 2 shown]
	s_delay_alu instid0(VALU_DEP_2) | instskip(NEXT) | instid1(VALU_DEP_2)
	v_lshl_add_u32 v63, v52, 2, v53
	v_lshrrev_b32_e32 v53, s16, v55
	ds_load_u16 v52, v63
	v_bitop3_b32 v53, v53, s12, v53 bitop3:0x30
	s_delay_alu instid0(VALU_DEP_1) | instskip(NEXT) | instid1(VALU_DEP_1)
	v_dual_lshlrev_b32 v55, 10, v53 :: v_dual_lshrrev_b32 v53, 2, v53
	v_and_or_b32 v55, 0x1c00, v55, v0
	s_delay_alu instid0(VALU_DEP_2) | instskip(NEXT) | instid1(VALU_DEP_1)
	v_and_b32_e32 v53, 62, v53
	v_lshl_add_u32 v64, v55, 2, v53
	v_lshrrev_b32_e32 v55, s16, v57
	s_wait_dscnt 0x0
	v_add_nc_u16 v65, v52, 1
	s_delay_alu instid0(VALU_DEP_2) | instskip(SKIP_3) | instid1(VALU_DEP_1)
	v_bitop3_b32 v55, v55, s12, v55 bitop3:0x30
	ds_store_b16 v63, v65
	ds_load_u16 v53, v64
	v_dual_lshlrev_b32 v57, 10, v55 :: v_dual_lshrrev_b32 v55, 2, v55
	v_and_or_b32 v57, 0x1c00, v57, v0
	s_delay_alu instid0(VALU_DEP_2) | instskip(NEXT) | instid1(VALU_DEP_1)
	v_and_b32_e32 v55, 62, v55
	v_lshl_add_u32 v65, v57, 2, v55
	v_lshrrev_b32_e32 v57, s16, v66
	s_delay_alu instid0(VALU_DEP_1) | instskip(SKIP_2) | instid1(VALU_DEP_2)
	v_bitop3_b32 v57, v57, s12, v57 bitop3:0x30
	s_wait_dscnt 0x0
	v_add_nc_u16 v67, v53, 1
	v_dual_lshlrev_b32 v66, 10, v57 :: v_dual_lshrrev_b32 v57, 2, v57
	ds_store_b16 v64, v67
	ds_load_u16 v55, v65
	v_and_or_b32 v66, 0x1c00, v66, v0
	v_and_b32_e32 v57, 62, v57
	s_delay_alu instid0(VALU_DEP_1)
	v_lshl_add_u32 v66, v66, 2, v57
	s_wait_dscnt 0x0
	v_add_nc_u16 v67, v55, 1
	ds_store_b16 v65, v67
	ds_load_u16 v57, v66
	v_lshlrev_b32_e32 v67, 5, v0
	s_wait_dscnt 0x0
	v_add_nc_u16 v68, v57, 1
	ds_store_b16 v66, v68
	s_wait_storecnt_dscnt 0x0
	s_barrier_signal -1
	s_barrier_wait -1
	ds_load_2addr_b64 v[68:71], v67 offset1:1
	ds_load_2addr_b64 v[72:75], v67 offset0:2 offset1:3
	s_wait_dscnt 0x1
	v_add_nc_u32_e32 v68, v69, v68
	s_delay_alu instid0(VALU_DEP_1) | instskip(SKIP_1) | instid1(VALU_DEP_1)
	v_add3_u32 v68, v68, v70, v71
	s_wait_dscnt 0x0
	v_add3_u32 v69, v68, v72, v73
	v_mbcnt_lo_u32_b32 v68, -1, 0
	v_and_b32_e32 v72, 31, v0
	s_delay_alu instid0(VALU_DEP_3) | instskip(NEXT) | instid1(VALU_DEP_3)
	v_add3_u32 v69, v69, v74, v75
	v_and_b32_e32 v70, 15, v68
	s_delay_alu instid0(VALU_DEP_2) | instskip(NEXT) | instid1(VALU_DEP_2)
	v_mov_b32_dpp v71, v69 row_shr:1 row_mask:0xf bank_mask:0xf
	v_cmp_eq_u32_e32 vcc_lo, 0, v70
	s_delay_alu instid0(VALU_DEP_2) | instskip(NEXT) | instid1(VALU_DEP_1)
	v_cndmask_b32_e64 v71, v71, 0, vcc_lo
	v_add_nc_u32_e32 v69, v71, v69
	v_cmp_lt_u32_e64 s2, 1, v70
	v_cmp_lt_u32_e64 s3, 3, v70
	;; [unrolled: 1-line block ×3, first 2 shown]
	s_delay_alu instid0(VALU_DEP_4) | instskip(NEXT) | instid1(VALU_DEP_1)
	v_mov_b32_dpp v71, v69 row_shr:2 row_mask:0xf bank_mask:0xf
	v_cndmask_b32_e64 v71, 0, v71, s2
	s_delay_alu instid0(VALU_DEP_1) | instskip(NEXT) | instid1(VALU_DEP_1)
	v_add_nc_u32_e32 v69, v69, v71
	v_mov_b32_dpp v71, v69 row_shr:4 row_mask:0xf bank_mask:0xf
	s_delay_alu instid0(VALU_DEP_1) | instskip(NEXT) | instid1(VALU_DEP_1)
	v_cndmask_b32_e64 v71, 0, v71, s3
	v_add_nc_u32_e32 v69, v69, v71
	s_delay_alu instid0(VALU_DEP_1) | instskip(NEXT) | instid1(VALU_DEP_1)
	v_mov_b32_dpp v71, v69 row_shr:8 row_mask:0xf bank_mask:0xf
	v_cndmask_b32_e64 v70, 0, v71, s4
	v_bfe_i32 v71, v68, 4, 1
	s_delay_alu instid0(VALU_DEP_2) | instskip(SKIP_3) | instid1(VALU_DEP_1)
	v_add_nc_u32_e32 v69, v69, v70
	ds_swizzle_b32 v70, v69 offset:swizzle(BROADCAST,32,15)
	s_wait_dscnt 0x0
	v_dual_lshrrev_b32 v71, 5, v0 :: v_dual_bitop2_b32 v70, v71, v70 bitop3:0x40
	v_dual_add_nc_u32 v69, v69, v70 :: v_dual_bitop2_b32 v73, 16, v68 bitop3:0x40
	s_delay_alu instid0(VALU_DEP_2) | instskip(NEXT) | instid1(VALU_DEP_2)
	v_lshlrev_b32_e32 v70, 2, v71
	v_cmp_eq_u32_e64 s5, 0, v73
	v_cmpx_eq_u32_e32 31, v72
; %bb.118:
	ds_store_b32 v70, v69 offset:32768
; %bb.119:
	s_or_b32 exec_lo, exec_lo, s7
	v_cmp_lt_u32_e64 s6, 31, v0
	s_mov_b32 s13, exec_lo
	s_wait_dscnt 0x0
	s_barrier_signal -1
	s_barrier_wait -1
	v_cmpx_gt_u32_e32 32, v0
	s_cbranch_execz .LBB108_121
; %bb.120:
	v_mad_i32_i24 v71, 0xffffffe4, v0, v67
	ds_load_b32 v72, v71 offset:32768
	s_wait_dscnt 0x0
	v_mov_b32_dpp v73, v72 row_shr:1 row_mask:0xf bank_mask:0xf
	s_delay_alu instid0(VALU_DEP_1) | instskip(NEXT) | instid1(VALU_DEP_1)
	v_cndmask_b32_e64 v73, v73, 0, vcc_lo
	v_add_nc_u32_e32 v72, v73, v72
	s_delay_alu instid0(VALU_DEP_1) | instskip(NEXT) | instid1(VALU_DEP_1)
	v_mov_b32_dpp v73, v72 row_shr:2 row_mask:0xf bank_mask:0xf
	v_cndmask_b32_e64 v73, 0, v73, s2
	s_delay_alu instid0(VALU_DEP_1) | instskip(NEXT) | instid1(VALU_DEP_1)
	v_add_nc_u32_e32 v72, v72, v73
	v_mov_b32_dpp v73, v72 row_shr:4 row_mask:0xf bank_mask:0xf
	s_delay_alu instid0(VALU_DEP_1) | instskip(NEXT) | instid1(VALU_DEP_1)
	v_cndmask_b32_e64 v73, 0, v73, s3
	v_add_nc_u32_e32 v72, v72, v73
	s_delay_alu instid0(VALU_DEP_1) | instskip(NEXT) | instid1(VALU_DEP_1)
	v_mov_b32_dpp v73, v72 row_shr:8 row_mask:0xf bank_mask:0xf
	v_cndmask_b32_e64 v73, 0, v73, s4
	s_delay_alu instid0(VALU_DEP_1) | instskip(SKIP_3) | instid1(VALU_DEP_1)
	v_add_nc_u32_e32 v72, v72, v73
	ds_swizzle_b32 v73, v72 offset:swizzle(BROADCAST,32,15)
	s_wait_dscnt 0x0
	v_cndmask_b32_e64 v73, v73, 0, s5
	v_add_nc_u32_e32 v72, v72, v73
	ds_store_b32 v71, v72 offset:32768
.LBB108_121:
	s_or_b32 exec_lo, exec_lo, s13
	v_dual_mov_b32 v72, 0 :: v_dual_mov_b32 v71, 0
	s_wait_dscnt 0x0
	s_barrier_signal -1
	s_barrier_wait -1
	s_and_saveexec_b32 s2, s6
; %bb.122:
	ds_load_b32 v71, v70 offset:32764
; %bb.123:
	s_or_b32 exec_lo, exec_lo, s2
	v_sub_co_u32 v70, vcc_lo, v68, 1
	s_wait_dscnt 0x0
	v_add_nc_u32_e32 v69, v71, v69
	s_delay_alu instid0(VALU_DEP_2) | instskip(NEXT) | instid1(VALU_DEP_1)
	v_cmp_gt_i32_e64 s2, 0, v70
	v_cndmask_b32_e64 v68, v70, v68, s2
	v_cmp_gt_u32_e64 s2, 16, v0
	s_delay_alu instid0(VALU_DEP_2)
	v_lshlrev_b32_e32 v68, 2, v68
	ds_bpermute_b32 v68, v68, v69
	ds_load_b32 v69, v72 offset:32892
	ds_load_2addr_b64 v[72:75], v67 offset1:1
	ds_load_b32 v76, v67 offset:24
	s_wait_dscnt 0x3
	v_cndmask_b32_e32 v68, v68, v71, vcc_lo
	ds_load_b64 v[70:71], v67 offset:16
	v_cmp_lt_u32_e32 vcc_lo, 15, v0
	s_wait_dscnt 0x3
	v_lshl_add_u32 v68, v69, 16, v68
	s_wait_dscnt 0x2
	s_delay_alu instid0(VALU_DEP_1) | instskip(NEXT) | instid1(VALU_DEP_1)
	v_add_nc_u32_e32 v69, v68, v72
	v_add_nc_u32_e32 v72, v73, v69
	s_delay_alu instid0(VALU_DEP_1) | instskip(NEXT) | instid1(VALU_DEP_1)
	v_add_nc_u32_e32 v73, v74, v72
	v_add_nc_u32_e32 v74, v75, v73
	s_wait_dscnt 0x0
	s_delay_alu instid0(VALU_DEP_1) | instskip(NEXT) | instid1(VALU_DEP_1)
	v_add_nc_u32_e32 v75, v70, v74
	v_add_nc_u32_e32 v70, v71, v75
	s_delay_alu instid0(VALU_DEP_1)
	v_add_nc_u32_e32 v71, v76, v70
	ds_store_2addr_b64 v67, v[68:69], v[72:73] offset1:1
	ds_store_2addr_b64 v67, v[74:75], v[70:71] offset0:2 offset1:3
	s_wait_dscnt 0x0
	s_barrier_signal -1
	s_barrier_wait -1
	ds_load_u16 v17, v17
	ds_load_u16 v20, v20
	;; [unrolled: 1-line block ×22, first 2 shown]
	v_mov_b64_e32 v[2:3], 0
                                        ; implicit-def: $vgpr4
	s_and_saveexec_b32 s4, s2
	s_cbranch_execz .LBB108_127
; %bb.124:
	v_dual_lshlrev_b32 v2, 12, v0 :: v_dual_lshrrev_b32 v3, 2, v0
	v_add_nc_u32_e32 v4, 1, v0
	s_mov_b32 s5, exec_lo
	s_delay_alu instid0(VALU_DEP_2)
	v_bitop3_b32 v2, v2, 0x70fe, v3 bitop3:0xc8
	v_mov_b32_e32 v3, 0x5800
	ds_load_u16 v2, v2
	v_cmpx_ne_u32_e32 16, v4
; %bb.125:
	v_dual_lshlrev_b32 v3, 12, v4 :: v_dual_lshrrev_b32 v4, 2, v4
	s_delay_alu instid0(VALU_DEP_1)
	v_bitop3_b32 v3, v3, 0x71fe, v4 bitop3:0xc8
	ds_load_u16 v3, v3
; %bb.126:
	s_or_b32 exec_lo, exec_lo, s5
	s_wait_dscnt 0x0
	v_and_b32_e32 v2, 0xffff, v2
	s_mov_b32 s3, 0
	s_delay_alu instid0(VALU_DEP_1) | instid1(SALU_CYCLE_1)
	v_dual_mov_b32 v3, s3 :: v_dual_sub_nc_u32 v4, v3, v2
.LBB108_127:
	s_or_b32 exec_lo, exec_lo, s4
	s_wait_dscnt 0x15
	v_and_b32_e32 v17, 0xffff, v17
	v_and_b32_e32 v11, 0xffff, v11
	s_wait_dscnt 0x14
	v_and_b32_e32 v20, 0xffff, v20
	v_and_b32_e32 v14, 0xffff, v14
	;; [unrolled: 3-line block ×4, first 2 shown]
	v_dual_add_nc_u32 v11, v17, v11 :: v_dual_add_nc_u32 v14, v20, v14
	s_wait_dscnt 0x11
	v_and_b32_e32 v34, 0xffff, v34
	v_and_b32_e32 v21, 0xffff, v21
	s_wait_dscnt 0x10
	v_and_b32_e32 v41, 0xffff, v41
	v_and_b32_e32 v25, 0xffff, v25
	v_add_nc_u32_e32 v15, v67, v15
	s_wait_dscnt 0xf
	v_and_b32_e32 v68, 0xffff, v68
	v_and_b32_e32 v29, 0xffff, v29
	s_wait_dscnt 0xe
	v_and_b32_e32 v47, 0xffff, v47
	v_and_b32_e32 v31, 0xffff, v31
	;; [unrolled: 3-line block ×3, first 2 shown]
	s_wait_dscnt 0x0
	s_barrier_signal -1
	s_barrier_wait -1
	ds_store_b8 v11, v1 offset:128
	ds_store_b8 v14, v7 offset:128
	;; [unrolled: 1-line block ×3, first 2 shown]
	v_dual_add_nc_u32 v1, v27, v19 :: v_dual_add_nc_u32 v10, v41, v25
	v_and_b32_e32 v51, 0xffff, v51
	v_and_b32_e32 v35, 0xffff, v35
	v_add_nc_u32_e32 v7, v34, v21
	v_and_b32_e32 v69, 0xffff, v69
	v_and_b32_e32 v38, 0xffff, v38
	;; [unrolled: 1-line block ×4, first 2 shown]
	v_dual_add_nc_u32 v11, v68, v29 :: v_dual_add_nc_u32 v14, v47, v31
	v_and_b32_e32 v56, 0xffff, v56
	v_and_b32_e32 v43, 0xffff, v43
	;; [unrolled: 1-line block ×4, first 2 shown]
	ds_store_b8 v1, v12 offset:128
	ds_store_b8 v7, v13 offset:128
	;; [unrolled: 1-line block ×5, first 2 shown]
	v_dual_add_nc_u32 v1, v49, v33 :: v_dual_add_nc_u32 v6, v51, v35
	v_and_b32_e32 v59, 0xffff, v59
	v_and_b32_e32 v45, 0xffff, v45
	v_and_b32_e32 v60, 0xffff, v60
	v_and_b32_e32 v46, 0xffff, v46
	v_dual_add_nc_u32 v7, v69, v38 :: v_dual_add_nc_u32 v10, v54, v40
	v_and_b32_e32 v61, 0xffff, v61
	v_and_b32_e32 v48, 0xffff, v48
	;; [unrolled: 1-line block ×4, first 2 shown]
	v_add_nc_u32_e32 v11, v56, v43
	ds_store_b8 v1, v22 offset:128
	ds_store_b8 v6, v23 offset:128
	;; [unrolled: 1-line block ×5, first 2 shown]
	v_dual_add_nc_u32 v1, v58, v44 :: v_dual_add_nc_u32 v6, v59, v45
	v_dual_add_nc_u32 v7, v60, v46 :: v_dual_add_nc_u32 v10, v61, v48
	v_add_nc_u32_e32 v11, v62, v50
	v_and_b32_e32 v63, 0xffff, v63
	v_and_b32_e32 v66, 0xffff, v66
	;; [unrolled: 1-line block ×4, first 2 shown]
	ds_store_b8 v1, v30 offset:128
	ds_store_b8 v6, v32 offset:128
	;; [unrolled: 1-line block ×5, first 2 shown]
	v_mov_b32_e32 v7, 0
	v_and_b32_e32 v64, 0xffff, v64
	v_and_b32_e32 v53, 0xffff, v53
	;; [unrolled: 1-line block ×4, first 2 shown]
	v_dual_add_nc_u32 v6, v63, v52 :: v_dual_add_nc_u32 v12, v66, v57
	v_dual_mov_b32 v1, v7 :: v_dual_lshlrev_b32 v5, 3, v0
	s_delay_alu instid0(VALU_DEP_3)
	v_dual_add_nc_u32 v10, v64, v53 :: v_dual_add_nc_u32 v11, v65, v55
	s_not_b32 s3, s12
	ds_store_b8 v6, v37 offset:128
	ds_store_b8 v10, v8 offset:128
	;; [unrolled: 1-line block ×4, first 2 shown]
	s_and_saveexec_b32 s4, s2
	s_cbranch_execz .LBB108_137
; %bb.128:
	v_lshl_add_u32 v6, s19, 4, v0
	v_dual_mov_b32 v10, 0 :: v_dual_bitop2_b32 v11, 2.0, v4 bitop3:0x54
	s_mov_b32 s5, 0
	s_mov_b32 s6, s19
	s_delay_alu instid0(VALU_DEP_2)
	v_lshl_add_u64 v[8:9], v[6:7], 2, s[20:21]
	global_store_b32 v6, v11, s[20:21] scale_offset scope:SCOPE_DEV
                                        ; implicit-def: $sgpr2
	s_branch .LBB108_131
.LBB108_129:                            ;   in Loop: Header=BB108_131 Depth=1
	s_or_b32 exec_lo, exec_lo, s12
.LBB108_130:                            ;   in Loop: Header=BB108_131 Depth=1
	s_delay_alu instid0(SALU_CYCLE_1) | instskip(SKIP_2) | instid1(VALU_DEP_2)
	s_or_b32 exec_lo, exec_lo, s7
	v_and_b32_e32 v6, 0x3fffffff, v11
	v_cmp_gt_i32_e64 s2, -2.0, v11
	v_add_nc_u32_e32 v10, v6, v10
	s_and_b32 s7, exec_lo, s2
	s_delay_alu instid0(SALU_CYCLE_1) | instskip(NEXT) | instid1(SALU_CYCLE_1)
	s_or_b32 s5, s7, s5
	s_and_not1_b32 exec_lo, exec_lo, s5
	s_cbranch_execz .LBB108_136
.LBB108_131:                            ; =>This Loop Header: Depth=1
                                        ;     Child Loop BB108_134 Depth 2
	s_or_b32 s2, s2, exec_lo
	s_cmp_eq_u32 s6, 0
	s_cbranch_scc1 .LBB108_135
; %bb.132:                              ;   in Loop: Header=BB108_131 Depth=1
	s_add_co_i32 s6, s6, -1
	s_mov_b32 s7, exec_lo
	s_wait_xcnt 0x0
	v_lshl_or_b32 v6, s6, 4, v0
	global_load_b32 v11, v6, s[20:21] scale_offset scope:SCOPE_DEV
	s_wait_loadcnt 0x0
	v_cmpx_gt_u32_e32 2.0, v11
	s_cbranch_execz .LBB108_130
; %bb.133:                              ;   in Loop: Header=BB108_131 Depth=1
	v_lshl_add_u64 v[12:13], v[6:7], 2, s[20:21]
	s_mov_b32 s12, 0
.LBB108_134:                            ;   Parent Loop BB108_131 Depth=1
                                        ; =>  This Inner Loop Header: Depth=2
	global_load_b32 v11, v[12:13], off scope:SCOPE_DEV
	s_wait_loadcnt 0x0
	v_cmp_lt_u32_e64 s2, 0x3fffffff, v11
	s_or_b32 s12, s2, s12
	s_wait_xcnt 0x0
	s_and_not1_b32 exec_lo, exec_lo, s12
	s_cbranch_execnz .LBB108_134
	s_branch .LBB108_129
.LBB108_135:                            ;   in Loop: Header=BB108_131 Depth=1
                                        ; implicit-def: $sgpr6
	s_and_b32 s7, exec_lo, s2
	s_delay_alu instid0(SALU_CYCLE_1)
	s_or_b32 s5, s7, s5
	s_wait_xcnt 0x0
	s_and_not1_b32 exec_lo, exec_lo, s5
	s_cbranch_execnz .LBB108_131
.LBB108_136:
	s_or_b32 exec_lo, exec_lo, s5
	v_dual_mov_b32 v11, 0 :: v_dual_add_nc_u32 v6, v10, v4
	s_delay_alu instid0(VALU_DEP_1) | instskip(SKIP_4) | instid1(VALU_DEP_1)
	v_or_b32_e32 v6, 0x80000000, v6
	global_store_b32 v[8:9], v6, off scope:SCOPE_DEV
	global_load_b64 v[6:7], v0, s[8:9] scale_offset
	v_sub_nc_u64_e32 v[8:9], v[10:11], v[2:3]
	s_wait_loadcnt 0x0
	v_add_nc_u64_e32 v[6:7], v[8:9], v[6:7]
	ds_store_b64 v5, v[6:7]
.LBB108_137:
	s_wait_xcnt 0x0
	s_or_b32 exec_lo, exec_lo, s4
	s_wait_storecnt_dscnt 0x0
	s_barrier_signal -1
	s_barrier_wait -1
	ds_load_u8 v26, v0 offset:20608
	ds_load_u8 v27, v0 offset:21632
	ds_load_u8 v28, v0 offset:18560
	ds_load_u8 v29, v0 offset:19584
	ds_load_u8 v20, v0 offset:128
	ds_load_u8 v8, v0 offset:1152
	ds_load_u8 v10, v0 offset:2176
	ds_load_u8 v30, v0 offset:3200
	ds_load_u8 v31, v0 offset:4224
	ds_load_u8 v32, v0 offset:5248
	ds_load_u8 v33, v0 offset:6272
	ds_load_u8 v34, v0 offset:7296
	ds_load_u8 v35, v0 offset:8320
	ds_load_u8 v36, v0 offset:9344
	ds_load_u8 v37, v0 offset:10368
	ds_load_u8 v38, v0 offset:11392
	ds_load_u8 v39, v0 offset:12416
	ds_load_u8 v40, v0 offset:13440
	ds_load_u8 v41, v0 offset:14464
	ds_load_u8 v42, v0 offset:15488
	ds_load_u8 v43, v0 offset:16512
	ds_load_u8 v44, v0 offset:17536
	s_wait_dscnt 0xf
	v_and_b32_e32 v12, 0xff, v10
	s_wait_dscnt 0x7
	v_and_b32_e32 v46, 0xff, v37
	v_and_b32_e32 v18, 0xff, v31
	;; [unrolled: 1-line block ×7, first 2 shown]
	s_delay_alu instid0(VALU_DEP_4) | instskip(NEXT) | instid1(VALU_DEP_4)
	v_dual_lshrrev_b32 v6, s16, v6 :: v_dual_bitop2_b32 v24, -1, v8 bitop3:0x14
	v_dual_lshrrev_b32 v7, s16, v7 :: v_dual_bitop2_b32 v45, -1, v10 bitop3:0x14
	s_delay_alu instid0(VALU_DEP_4) | instskip(SKIP_1) | instid1(VALU_DEP_3)
	v_lshrrev_b32_e32 v11, s16, v11
	v_and_b32_e32 v10, 0xff, v30
	v_dual_lshrrev_b32 v13, s16, v13 :: v_dual_bitop2_b32 v7, s3, v7 bitop3:0x40
	v_dual_lshrrev_b32 v12, s16, v12 :: v_dual_bitop2_b32 v6, s3, v6 bitop3:0x40
	s_delay_alu instid0(VALU_DEP_3) | instskip(NEXT) | instid1(VALU_DEP_3)
	v_dual_lshrrev_b32 v10, s16, v10 :: v_dual_bitop2_b32 v11, s3, v11 bitop3:0x40
	v_dual_lshlrev_b32 v9, 3, v7 :: v_dual_bitop2_b32 v13, s3, v13 bitop3:0x40
	s_delay_alu instid0(VALU_DEP_3) | instskip(NEXT) | instid1(VALU_DEP_3)
	v_lshlrev_b32_e32 v6, 3, v6
	v_and_b32_e32 v10, s3, v10
	s_delay_alu instid0(VALU_DEP_4) | instskip(NEXT) | instid1(VALU_DEP_4)
	v_dual_lshlrev_b32 v14, 3, v11 :: v_dual_bitop2_b32 v12, s3, v12 bitop3:0x40
	v_lshlrev_b32_e32 v13, 3, v13
	ds_load_b64 v[6:7], v6
	ds_load_b64 v[8:9], v9
	v_dual_lshlrev_b32 v16, 3, v10 :: v_dual_lshlrev_b32 v15, 3, v12
	ds_load_b64 v[10:11], v13
	ds_load_b64 v[12:13], v14
	v_and_b32_e32 v21, 0xff, v33
	v_and_b32_e32 v22, 0xff, v34
	ds_load_b64 v[14:15], v15
	ds_load_b64 v[16:17], v16
	v_dual_lshrrev_b32 v18, s16, v18 :: v_dual_lshrrev_b32 v19, s16, v19
	v_and_b32_e32 v23, 0xff, v35
	v_and_b32_e32 v25, 0xff, v36
	v_dual_lshrrev_b32 v21, s16, v21 :: v_dual_lshrrev_b32 v22, s16, v22
	s_delay_alu instid0(VALU_DEP_4) | instskip(NEXT) | instid1(VALU_DEP_4)
	v_and_b32_e32 v19, s3, v19
	v_dual_lshrrev_b32 v23, s16, v23 :: v_dual_bitop2_b32 v18, s3, v18 bitop3:0x40
	s_delay_alu instid0(VALU_DEP_3) | instskip(NEXT) | instid1(VALU_DEP_3)
	v_dual_lshrrev_b32 v25, s16, v25 :: v_dual_bitop2_b32 v48, s3, v22 bitop3:0x40
	v_dual_lshlrev_b32 v22, 3, v19 :: v_dual_bitop2_b32 v21, s3, v21 bitop3:0x40
	s_delay_alu instid0(VALU_DEP_2) | instskip(NEXT) | instid1(VALU_DEP_4)
	v_dual_lshlrev_b32 v18, 3, v18 :: v_dual_bitop2_b32 v25, s3, v25 bitop3:0x40
	v_dual_lshrrev_b32 v46, s16, v46 :: v_dual_bitop2_b32 v49, s3, v23 bitop3:0x40
	s_wait_dscnt 0x3
	v_add_nc_u64_e32 v[10:11], s[14:15], v[10:11]
	v_lshlrev_b32_e32 v23, 3, v21
	s_wait_dscnt 0x2
	v_add_nc_u64_e32 v[12:13], s[14:15], v[12:13]
	ds_load_b64 v[18:19], v18
	v_xor_b32_e32 v50, -1, v20
	ds_load_b64 v[20:21], v22
	ds_load_b64 v[22:23], v23
	v_and_b32_e32 v47, 0xff, v38
	s_wait_dscnt 0x4
	v_add_nc_u64_e32 v[14:15], s[14:15], v[14:15]
	v_add_nc_u64_e32 v[10:11], v[10:11], v[0:1]
	;; [unrolled: 1-line block ×3, first 2 shown]
	s_wait_dscnt 0x3
	v_add_nc_u64_e32 v[16:17], s[14:15], v[16:17]
	v_dual_lshrrev_b32 v47, s16, v47 :: v_dual_bitop2_b32 v46, s3, v46 bitop3:0x40
	s_clause 0x1
	global_store_b8 v[10:11], v50, off
	global_store_b8 v[12:13], v24, off offset:1024
	v_add_nc_u64_e32 v[14:15], v[14:15], v[0:1]
	s_wait_xcnt 0x0
	v_dual_lshlrev_b32 v10, 3, v48 :: v_dual_lshlrev_b32 v24, 3, v25
	v_dual_lshlrev_b32 v12, 3, v49 :: v_dual_bitop2_b32 v47, s3, v47 bitop3:0x40
	v_add_nc_u64_e32 v[16:17], v[16:17], v[0:1]
	v_xor_b32_e32 v30, -1, v30
	ds_load_b64 v[10:11], v10
	ds_load_b64 v[12:13], v12
	;; [unrolled: 1-line block ×3, first 2 shown]
	global_store_b8 v[14:15], v45, off offset:2048
	s_wait_xcnt 0x0
	v_dual_lshlrev_b32 v45, 3, v46 :: v_dual_lshlrev_b32 v46, 3, v47
	s_wait_dscnt 0x5
	v_add_nc_u64_e32 v[14:15], s[14:15], v[18:19]
	global_store_b8 v[16:17], v30, off offset:3072
	s_wait_dscnt 0x4
	s_wait_xcnt 0x0
	v_add_nc_u64_e32 v[16:17], s[14:15], v[20:21]
	s_wait_dscnt 0x3
	v_add_nc_u64_e32 v[18:19], s[14:15], v[22:23]
	ds_load_b64 v[20:21], v45
	ds_load_b64 v[22:23], v46
	v_xor_b32_e32 v30, -1, v31
	v_xor_b32_e32 v31, -1, v32
	v_add_nc_u64_e32 v[14:15], v[14:15], v[0:1]
	v_xor_b32_e32 v32, -1, v33
	v_add_nc_u64_e32 v[16:17], v[16:17], v[0:1]
	v_add_nc_u64_e32 v[18:19], v[18:19], v[0:1]
	v_xor_b32_e32 v33, -1, v42
	v_add_nc_u64_e32 v[6:7], s[14:15], v[6:7]
	v_add_nc_u64_e32 v[8:9], s[14:15], v[8:9]
	s_wait_dscnt 0x4
	v_add_nc_u64_e32 v[10:11], s[14:15], v[10:11]
	s_wait_dscnt 0x3
	v_add_nc_u64_e32 v[12:13], s[14:15], v[12:13]
	global_store_b8 v[14:15], v30, off offset:4096
	s_wait_dscnt 0x2
	s_wait_xcnt 0x0
	v_add_nc_u64_e32 v[14:15], s[14:15], v[24:25]
	s_clause 0x1
	global_store_b8 v[16:17], v31, off offset:5120
	global_store_b8 v[18:19], v32, off offset:6144
	v_xor_b32_e32 v24, -1, v34
	v_xor_b32_e32 v25, -1, v35
	v_add_nc_u64_e32 v[10:11], v[10:11], v[0:1]
	v_add_nc_u64_e32 v[12:13], v[12:13], v[0:1]
	s_wait_dscnt 0x1
	s_wait_xcnt 0x1
	v_add_nc_u64_e32 v[16:17], s[14:15], v[20:21]
	s_wait_dscnt 0x0
	s_wait_xcnt 0x0
	v_add_nc_u64_e32 v[18:19], s[14:15], v[22:23]
	v_add_nc_u64_e32 v[14:15], v[14:15], v[0:1]
	s_clause 0x1
	global_store_b8 v[10:11], v24, off offset:7168
	global_store_b8 v[12:13], v25, off offset:8192
	v_xor_b32_e32 v30, -1, v36
	v_and_b32_e32 v20, 0xff, v39
	s_wait_xcnt 0x0
	v_add_nc_u64_e32 v[12:13], v[18:19], v[0:1]
	v_and_b32_e32 v18, 0xff, v43
	v_add_nc_u64_e32 v[10:11], v[16:17], v[0:1]
	v_and_b32_e32 v16, 0xff, v41
	global_store_b8 v[14:15], v30, off offset:9216
	s_wait_xcnt 0x0
	v_and_b32_e32 v15, 0xff, v40
	v_lshrrev_b32_e32 v18, s16, v18
	v_and_b32_e32 v17, 0xff, v42
	v_lshrrev_b32_e32 v14, s16, v20
	v_lshrrev_b32_e32 v16, s16, v16
	v_and_b32_e32 v25, 0xff, v28
	v_dual_lshrrev_b32 v15, s16, v15 :: v_dual_bitop2_b32 v18, s3, v18 bitop3:0x40
	v_lshrrev_b32_e32 v17, s16, v17
	v_and_b32_e32 v23, 0xff, v44
	s_delay_alu instid0(VALU_DEP_4) | instskip(NEXT) | instid1(VALU_DEP_4)
	v_dual_lshrrev_b32 v25, s16, v25 :: v_dual_bitop2_b32 v16, s3, v16 bitop3:0x40
	v_lshlrev_b32_e32 v22, 3, v18
	v_and_b32_e32 v14, s3, v14
	s_delay_alu instid0(VALU_DEP_4) | instskip(NEXT) | instid1(VALU_DEP_4)
	v_dual_lshrrev_b32 v31, s16, v23 :: v_dual_bitop2_b32 v17, s3, v17 bitop3:0x40
	v_dual_lshlrev_b32 v20, 3, v16 :: v_dual_bitop2_b32 v19, s3, v15 bitop3:0x40
	s_delay_alu instid0(VALU_DEP_2) | instskip(NEXT) | instid1(VALU_DEP_2)
	v_dual_lshlrev_b32 v14, 3, v14 :: v_dual_lshlrev_b32 v21, 3, v17
	v_dual_lshlrev_b32 v19, 3, v19 :: v_dual_bitop2_b32 v24, -1, v37 bitop3:0x14
	v_and_b32_e32 v30, 0xff, v29
	ds_load_b64 v[14:15], v14
	ds_load_b64 v[16:17], v19
	;; [unrolled: 1-line block ×4, first 2 shown]
	v_dual_lshrrev_b32 v30, s16, v30 :: v_dual_bitop2_b32 v31, s3, v31 bitop3:0x40
	v_xor_b32_e32 v32, -1, v38
	global_store_b8 v[10:11], v24, off offset:10240
	ds_load_b64 v[22:23], v22
	v_add_nc_u64_e32 v[6:7], v[6:7], v[0:1]
	v_add_nc_u64_e32 v[8:9], v[8:9], v[0:1]
	global_store_b8 v[12:13], v32, off offset:11264
	s_wait_xcnt 0x0
	v_and_b32_e32 v12, s3, v30
	v_dual_lshlrev_b32 v13, 3, v31 :: v_dual_bitop2_b32 v10, s3, v25 bitop3:0x40
	v_xor_b32_e32 v31, -1, v40
	s_delay_alu instid0(VALU_DEP_3) | instskip(NEXT) | instid1(VALU_DEP_3)
	v_dual_lshlrev_b32 v25, 3, v12 :: v_dual_bitop2_b32 v32, -1, v41 bitop3:0x14
	v_dual_lshlrev_b32 v24, 3, v10 :: v_dual_bitop2_b32 v30, -1, v39 bitop3:0x14
	s_wait_dscnt 0x4
	v_add_nc_u64_e32 v[10:11], s[14:15], v[14:15]
	s_wait_dscnt 0x3
	v_add_nc_u64_e32 v[14:15], s[14:15], v[16:17]
	;; [unrolled: 2-line block ×4, first 2 shown]
	ds_load_b64 v[16:17], v24
	ds_load_b64 v[12:13], v13
	;; [unrolled: 1-line block ×3, first 2 shown]
	v_add_nc_u64_e32 v[10:11], v[10:11], v[0:1]
	v_add_nc_u64_e32 v[14:15], v[14:15], v[0:1]
	;; [unrolled: 1-line block ×4, first 2 shown]
	s_wait_dscnt 0x3
	v_add_nc_u64_e32 v[22:23], s[14:15], v[22:23]
	s_clause 0x3
	global_store_b8 v[10:11], v30, off offset:12288
	global_store_b8 v[14:15], v31, off offset:13312
	;; [unrolled: 1-line block ×4, first 2 shown]
	s_wait_xcnt 0x3
	v_xor_b32_e32 v30, -1, v43
	s_wait_xcnt 0x1
	v_xor_b32_e32 v18, -1, v29
	v_add_nc_u64_e32 v[22:23], v[22:23], v[0:1]
	v_xor_b32_e32 v19, -1, v27
	s_wait_dscnt 0x1
	v_add_nc_u64_e32 v[10:11], s[14:15], v[12:13]
	v_add_nc_u64_e32 v[12:13], s[14:15], v[16:17]
	s_wait_dscnt 0x0
	v_add_nc_u64_e32 v[14:15], s[14:15], v[24:25]
	v_xor_b32_e32 v16, -1, v44
	v_xor_b32_e32 v17, -1, v28
	global_store_b8 v[22:23], v30, off offset:16384
	v_add_nc_u64_e32 v[10:11], v[10:11], v[0:1]
	v_add_nc_u64_e32 v[12:13], v[12:13], v[0:1]
	;; [unrolled: 1-line block ×3, first 2 shown]
	v_xor_b32_e32 v1, -1, v26
	s_clause 0x4
	global_store_b8 v[10:11], v16, off offset:17408
	global_store_b8 v[12:13], v17, off offset:18432
	;; [unrolled: 1-line block ×5, first 2 shown]
	s_load_b32 s0, s[0:1], 0x58
	s_wait_kmcnt 0x0
	s_add_co_i32 s0, s0, -1
	s_delay_alu instid0(SALU_CYCLE_1) | instskip(SKIP_2) | instid1(SALU_CYCLE_1)
	s_cmp_eq_u32 s19, s0
	s_cselect_b32 s0, -1, 0
	s_xor_b32 s1, vcc_lo, -1
	s_and_b32 s0, s1, s0
	s_delay_alu instid0(SALU_CYCLE_1)
	s_and_saveexec_b32 s1, s0
	s_cbranch_execz .LBB108_139
; %bb.138:
	ds_load_b64 v[6:7], v5
	v_mov_b32_e32 v5, 0
	s_delay_alu instid0(VALU_DEP_1) | instskip(SKIP_1) | instid1(VALU_DEP_1)
	v_add_nc_u64_e32 v[2:3], v[2:3], v[4:5]
	s_wait_dscnt 0x0
	v_add_nc_u64_e32 v[2:3], v[2:3], v[6:7]
	global_store_b64 v0, v[2:3], s[10:11] scale_offset
.LBB108_139:
	s_sendmsg sendmsg(MSG_DEALLOC_VGPRS)
	s_endpgm
	.section	.rodata,"a",@progbits
	.p2align	6, 0x0
	.amdhsa_kernel _ZN7rocprim17ROCPRIM_400000_NS6detail17trampoline_kernelINS0_14default_configENS1_35radix_sort_onesweep_config_selectorIhNS0_10empty_typeEEEZZNS1_29radix_sort_onesweep_iterationIS3_Lb1EPKhPhPS5_SB_mNS0_19identity_decomposerENS1_16block_id_wrapperIjLb1EEEEE10hipError_tT1_PNSt15iterator_traitsISG_E10value_typeET2_T3_PNSH_ISM_E10value_typeET4_T5_PSR_SS_PNS1_23onesweep_lookback_stateEbbT6_jjT7_P12ihipStream_tbENKUlT_T0_SG_SL_E_clIS9_SA_SB_SB_EEDaSZ_S10_SG_SL_EUlSZ_E_NS1_11comp_targetILNS1_3genE0ELNS1_11target_archE4294967295ELNS1_3gpuE0ELNS1_3repE0EEENS1_47radix_sort_onesweep_sort_config_static_selectorELNS0_4arch9wavefront6targetE0EEEvSG_
		.amdhsa_group_segment_fixed_size 32904
		.amdhsa_private_segment_fixed_size 0
		.amdhsa_kernarg_size 344
		.amdhsa_user_sgpr_count 2
		.amdhsa_user_sgpr_dispatch_ptr 0
		.amdhsa_user_sgpr_queue_ptr 0
		.amdhsa_user_sgpr_kernarg_segment_ptr 1
		.amdhsa_user_sgpr_dispatch_id 0
		.amdhsa_user_sgpr_kernarg_preload_length 0
		.amdhsa_user_sgpr_kernarg_preload_offset 0
		.amdhsa_user_sgpr_private_segment_size 0
		.amdhsa_wavefront_size32 1
		.amdhsa_uses_dynamic_stack 0
		.amdhsa_enable_private_segment 0
		.amdhsa_system_sgpr_workgroup_id_x 1
		.amdhsa_system_sgpr_workgroup_id_y 0
		.amdhsa_system_sgpr_workgroup_id_z 0
		.amdhsa_system_sgpr_workgroup_info 0
		.amdhsa_system_vgpr_workitem_id 0
		.amdhsa_next_free_vgpr 79
		.amdhsa_next_free_sgpr 25
		.amdhsa_named_barrier_count 0
		.amdhsa_reserve_vcc 1
		.amdhsa_float_round_mode_32 0
		.amdhsa_float_round_mode_16_64 0
		.amdhsa_float_denorm_mode_32 3
		.amdhsa_float_denorm_mode_16_64 3
		.amdhsa_fp16_overflow 0
		.amdhsa_memory_ordered 1
		.amdhsa_forward_progress 1
		.amdhsa_inst_pref_size 115
		.amdhsa_round_robin_scheduling 0
		.amdhsa_exception_fp_ieee_invalid_op 0
		.amdhsa_exception_fp_denorm_src 0
		.amdhsa_exception_fp_ieee_div_zero 0
		.amdhsa_exception_fp_ieee_overflow 0
		.amdhsa_exception_fp_ieee_underflow 0
		.amdhsa_exception_fp_ieee_inexact 0
		.amdhsa_exception_int_div_zero 0
	.end_amdhsa_kernel
	.section	.text._ZN7rocprim17ROCPRIM_400000_NS6detail17trampoline_kernelINS0_14default_configENS1_35radix_sort_onesweep_config_selectorIhNS0_10empty_typeEEEZZNS1_29radix_sort_onesweep_iterationIS3_Lb1EPKhPhPS5_SB_mNS0_19identity_decomposerENS1_16block_id_wrapperIjLb1EEEEE10hipError_tT1_PNSt15iterator_traitsISG_E10value_typeET2_T3_PNSH_ISM_E10value_typeET4_T5_PSR_SS_PNS1_23onesweep_lookback_stateEbbT6_jjT7_P12ihipStream_tbENKUlT_T0_SG_SL_E_clIS9_SA_SB_SB_EEDaSZ_S10_SG_SL_EUlSZ_E_NS1_11comp_targetILNS1_3genE0ELNS1_11target_archE4294967295ELNS1_3gpuE0ELNS1_3repE0EEENS1_47radix_sort_onesweep_sort_config_static_selectorELNS0_4arch9wavefront6targetE0EEEvSG_,"axG",@progbits,_ZN7rocprim17ROCPRIM_400000_NS6detail17trampoline_kernelINS0_14default_configENS1_35radix_sort_onesweep_config_selectorIhNS0_10empty_typeEEEZZNS1_29radix_sort_onesweep_iterationIS3_Lb1EPKhPhPS5_SB_mNS0_19identity_decomposerENS1_16block_id_wrapperIjLb1EEEEE10hipError_tT1_PNSt15iterator_traitsISG_E10value_typeET2_T3_PNSH_ISM_E10value_typeET4_T5_PSR_SS_PNS1_23onesweep_lookback_stateEbbT6_jjT7_P12ihipStream_tbENKUlT_T0_SG_SL_E_clIS9_SA_SB_SB_EEDaSZ_S10_SG_SL_EUlSZ_E_NS1_11comp_targetILNS1_3genE0ELNS1_11target_archE4294967295ELNS1_3gpuE0ELNS1_3repE0EEENS1_47radix_sort_onesweep_sort_config_static_selectorELNS0_4arch9wavefront6targetE0EEEvSG_,comdat
.Lfunc_end108:
	.size	_ZN7rocprim17ROCPRIM_400000_NS6detail17trampoline_kernelINS0_14default_configENS1_35radix_sort_onesweep_config_selectorIhNS0_10empty_typeEEEZZNS1_29radix_sort_onesweep_iterationIS3_Lb1EPKhPhPS5_SB_mNS0_19identity_decomposerENS1_16block_id_wrapperIjLb1EEEEE10hipError_tT1_PNSt15iterator_traitsISG_E10value_typeET2_T3_PNSH_ISM_E10value_typeET4_T5_PSR_SS_PNS1_23onesweep_lookback_stateEbbT6_jjT7_P12ihipStream_tbENKUlT_T0_SG_SL_E_clIS9_SA_SB_SB_EEDaSZ_S10_SG_SL_EUlSZ_E_NS1_11comp_targetILNS1_3genE0ELNS1_11target_archE4294967295ELNS1_3gpuE0ELNS1_3repE0EEENS1_47radix_sort_onesweep_sort_config_static_selectorELNS0_4arch9wavefront6targetE0EEEvSG_, .Lfunc_end108-_ZN7rocprim17ROCPRIM_400000_NS6detail17trampoline_kernelINS0_14default_configENS1_35radix_sort_onesweep_config_selectorIhNS0_10empty_typeEEEZZNS1_29radix_sort_onesweep_iterationIS3_Lb1EPKhPhPS5_SB_mNS0_19identity_decomposerENS1_16block_id_wrapperIjLb1EEEEE10hipError_tT1_PNSt15iterator_traitsISG_E10value_typeET2_T3_PNSH_ISM_E10value_typeET4_T5_PSR_SS_PNS1_23onesweep_lookback_stateEbbT6_jjT7_P12ihipStream_tbENKUlT_T0_SG_SL_E_clIS9_SA_SB_SB_EEDaSZ_S10_SG_SL_EUlSZ_E_NS1_11comp_targetILNS1_3genE0ELNS1_11target_archE4294967295ELNS1_3gpuE0ELNS1_3repE0EEENS1_47radix_sort_onesweep_sort_config_static_selectorELNS0_4arch9wavefront6targetE0EEEvSG_
                                        ; -- End function
	.set _ZN7rocprim17ROCPRIM_400000_NS6detail17trampoline_kernelINS0_14default_configENS1_35radix_sort_onesweep_config_selectorIhNS0_10empty_typeEEEZZNS1_29radix_sort_onesweep_iterationIS3_Lb1EPKhPhPS5_SB_mNS0_19identity_decomposerENS1_16block_id_wrapperIjLb1EEEEE10hipError_tT1_PNSt15iterator_traitsISG_E10value_typeET2_T3_PNSH_ISM_E10value_typeET4_T5_PSR_SS_PNS1_23onesweep_lookback_stateEbbT6_jjT7_P12ihipStream_tbENKUlT_T0_SG_SL_E_clIS9_SA_SB_SB_EEDaSZ_S10_SG_SL_EUlSZ_E_NS1_11comp_targetILNS1_3genE0ELNS1_11target_archE4294967295ELNS1_3gpuE0ELNS1_3repE0EEENS1_47radix_sort_onesweep_sort_config_static_selectorELNS0_4arch9wavefront6targetE0EEEvSG_.num_vgpr, 79
	.set _ZN7rocprim17ROCPRIM_400000_NS6detail17trampoline_kernelINS0_14default_configENS1_35radix_sort_onesweep_config_selectorIhNS0_10empty_typeEEEZZNS1_29radix_sort_onesweep_iterationIS3_Lb1EPKhPhPS5_SB_mNS0_19identity_decomposerENS1_16block_id_wrapperIjLb1EEEEE10hipError_tT1_PNSt15iterator_traitsISG_E10value_typeET2_T3_PNSH_ISM_E10value_typeET4_T5_PSR_SS_PNS1_23onesweep_lookback_stateEbbT6_jjT7_P12ihipStream_tbENKUlT_T0_SG_SL_E_clIS9_SA_SB_SB_EEDaSZ_S10_SG_SL_EUlSZ_E_NS1_11comp_targetILNS1_3genE0ELNS1_11target_archE4294967295ELNS1_3gpuE0ELNS1_3repE0EEENS1_47radix_sort_onesweep_sort_config_static_selectorELNS0_4arch9wavefront6targetE0EEEvSG_.num_agpr, 0
	.set _ZN7rocprim17ROCPRIM_400000_NS6detail17trampoline_kernelINS0_14default_configENS1_35radix_sort_onesweep_config_selectorIhNS0_10empty_typeEEEZZNS1_29radix_sort_onesweep_iterationIS3_Lb1EPKhPhPS5_SB_mNS0_19identity_decomposerENS1_16block_id_wrapperIjLb1EEEEE10hipError_tT1_PNSt15iterator_traitsISG_E10value_typeET2_T3_PNSH_ISM_E10value_typeET4_T5_PSR_SS_PNS1_23onesweep_lookback_stateEbbT6_jjT7_P12ihipStream_tbENKUlT_T0_SG_SL_E_clIS9_SA_SB_SB_EEDaSZ_S10_SG_SL_EUlSZ_E_NS1_11comp_targetILNS1_3genE0ELNS1_11target_archE4294967295ELNS1_3gpuE0ELNS1_3repE0EEENS1_47radix_sort_onesweep_sort_config_static_selectorELNS0_4arch9wavefront6targetE0EEEvSG_.numbered_sgpr, 25
	.set _ZN7rocprim17ROCPRIM_400000_NS6detail17trampoline_kernelINS0_14default_configENS1_35radix_sort_onesweep_config_selectorIhNS0_10empty_typeEEEZZNS1_29radix_sort_onesweep_iterationIS3_Lb1EPKhPhPS5_SB_mNS0_19identity_decomposerENS1_16block_id_wrapperIjLb1EEEEE10hipError_tT1_PNSt15iterator_traitsISG_E10value_typeET2_T3_PNSH_ISM_E10value_typeET4_T5_PSR_SS_PNS1_23onesweep_lookback_stateEbbT6_jjT7_P12ihipStream_tbENKUlT_T0_SG_SL_E_clIS9_SA_SB_SB_EEDaSZ_S10_SG_SL_EUlSZ_E_NS1_11comp_targetILNS1_3genE0ELNS1_11target_archE4294967295ELNS1_3gpuE0ELNS1_3repE0EEENS1_47radix_sort_onesweep_sort_config_static_selectorELNS0_4arch9wavefront6targetE0EEEvSG_.num_named_barrier, 0
	.set _ZN7rocprim17ROCPRIM_400000_NS6detail17trampoline_kernelINS0_14default_configENS1_35radix_sort_onesweep_config_selectorIhNS0_10empty_typeEEEZZNS1_29radix_sort_onesweep_iterationIS3_Lb1EPKhPhPS5_SB_mNS0_19identity_decomposerENS1_16block_id_wrapperIjLb1EEEEE10hipError_tT1_PNSt15iterator_traitsISG_E10value_typeET2_T3_PNSH_ISM_E10value_typeET4_T5_PSR_SS_PNS1_23onesweep_lookback_stateEbbT6_jjT7_P12ihipStream_tbENKUlT_T0_SG_SL_E_clIS9_SA_SB_SB_EEDaSZ_S10_SG_SL_EUlSZ_E_NS1_11comp_targetILNS1_3genE0ELNS1_11target_archE4294967295ELNS1_3gpuE0ELNS1_3repE0EEENS1_47radix_sort_onesweep_sort_config_static_selectorELNS0_4arch9wavefront6targetE0EEEvSG_.private_seg_size, 0
	.set _ZN7rocprim17ROCPRIM_400000_NS6detail17trampoline_kernelINS0_14default_configENS1_35radix_sort_onesweep_config_selectorIhNS0_10empty_typeEEEZZNS1_29radix_sort_onesweep_iterationIS3_Lb1EPKhPhPS5_SB_mNS0_19identity_decomposerENS1_16block_id_wrapperIjLb1EEEEE10hipError_tT1_PNSt15iterator_traitsISG_E10value_typeET2_T3_PNSH_ISM_E10value_typeET4_T5_PSR_SS_PNS1_23onesweep_lookback_stateEbbT6_jjT7_P12ihipStream_tbENKUlT_T0_SG_SL_E_clIS9_SA_SB_SB_EEDaSZ_S10_SG_SL_EUlSZ_E_NS1_11comp_targetILNS1_3genE0ELNS1_11target_archE4294967295ELNS1_3gpuE0ELNS1_3repE0EEENS1_47radix_sort_onesweep_sort_config_static_selectorELNS0_4arch9wavefront6targetE0EEEvSG_.uses_vcc, 1
	.set _ZN7rocprim17ROCPRIM_400000_NS6detail17trampoline_kernelINS0_14default_configENS1_35radix_sort_onesweep_config_selectorIhNS0_10empty_typeEEEZZNS1_29radix_sort_onesweep_iterationIS3_Lb1EPKhPhPS5_SB_mNS0_19identity_decomposerENS1_16block_id_wrapperIjLb1EEEEE10hipError_tT1_PNSt15iterator_traitsISG_E10value_typeET2_T3_PNSH_ISM_E10value_typeET4_T5_PSR_SS_PNS1_23onesweep_lookback_stateEbbT6_jjT7_P12ihipStream_tbENKUlT_T0_SG_SL_E_clIS9_SA_SB_SB_EEDaSZ_S10_SG_SL_EUlSZ_E_NS1_11comp_targetILNS1_3genE0ELNS1_11target_archE4294967295ELNS1_3gpuE0ELNS1_3repE0EEENS1_47radix_sort_onesweep_sort_config_static_selectorELNS0_4arch9wavefront6targetE0EEEvSG_.uses_flat_scratch, 0
	.set _ZN7rocprim17ROCPRIM_400000_NS6detail17trampoline_kernelINS0_14default_configENS1_35radix_sort_onesweep_config_selectorIhNS0_10empty_typeEEEZZNS1_29radix_sort_onesweep_iterationIS3_Lb1EPKhPhPS5_SB_mNS0_19identity_decomposerENS1_16block_id_wrapperIjLb1EEEEE10hipError_tT1_PNSt15iterator_traitsISG_E10value_typeET2_T3_PNSH_ISM_E10value_typeET4_T5_PSR_SS_PNS1_23onesweep_lookback_stateEbbT6_jjT7_P12ihipStream_tbENKUlT_T0_SG_SL_E_clIS9_SA_SB_SB_EEDaSZ_S10_SG_SL_EUlSZ_E_NS1_11comp_targetILNS1_3genE0ELNS1_11target_archE4294967295ELNS1_3gpuE0ELNS1_3repE0EEENS1_47radix_sort_onesweep_sort_config_static_selectorELNS0_4arch9wavefront6targetE0EEEvSG_.has_dyn_sized_stack, 0
	.set _ZN7rocprim17ROCPRIM_400000_NS6detail17trampoline_kernelINS0_14default_configENS1_35radix_sort_onesweep_config_selectorIhNS0_10empty_typeEEEZZNS1_29radix_sort_onesweep_iterationIS3_Lb1EPKhPhPS5_SB_mNS0_19identity_decomposerENS1_16block_id_wrapperIjLb1EEEEE10hipError_tT1_PNSt15iterator_traitsISG_E10value_typeET2_T3_PNSH_ISM_E10value_typeET4_T5_PSR_SS_PNS1_23onesweep_lookback_stateEbbT6_jjT7_P12ihipStream_tbENKUlT_T0_SG_SL_E_clIS9_SA_SB_SB_EEDaSZ_S10_SG_SL_EUlSZ_E_NS1_11comp_targetILNS1_3genE0ELNS1_11target_archE4294967295ELNS1_3gpuE0ELNS1_3repE0EEENS1_47radix_sort_onesweep_sort_config_static_selectorELNS0_4arch9wavefront6targetE0EEEvSG_.has_recursion, 0
	.set _ZN7rocprim17ROCPRIM_400000_NS6detail17trampoline_kernelINS0_14default_configENS1_35radix_sort_onesweep_config_selectorIhNS0_10empty_typeEEEZZNS1_29radix_sort_onesweep_iterationIS3_Lb1EPKhPhPS5_SB_mNS0_19identity_decomposerENS1_16block_id_wrapperIjLb1EEEEE10hipError_tT1_PNSt15iterator_traitsISG_E10value_typeET2_T3_PNSH_ISM_E10value_typeET4_T5_PSR_SS_PNS1_23onesweep_lookback_stateEbbT6_jjT7_P12ihipStream_tbENKUlT_T0_SG_SL_E_clIS9_SA_SB_SB_EEDaSZ_S10_SG_SL_EUlSZ_E_NS1_11comp_targetILNS1_3genE0ELNS1_11target_archE4294967295ELNS1_3gpuE0ELNS1_3repE0EEENS1_47radix_sort_onesweep_sort_config_static_selectorELNS0_4arch9wavefront6targetE0EEEvSG_.has_indirect_call, 0
	.section	.AMDGPU.csdata,"",@progbits
; Kernel info:
; codeLenInByte = 14628
; TotalNumSgprs: 27
; NumVgprs: 79
; ScratchSize: 0
; MemoryBound: 0
; FloatMode: 240
; IeeeMode: 1
; LDSByteSize: 32904 bytes/workgroup (compile time only)
; SGPRBlocks: 0
; VGPRBlocks: 4
; NumSGPRsForWavesPerEU: 27
; NumVGPRsForWavesPerEU: 79
; NamedBarCnt: 0
; Occupancy: 12
; WaveLimiterHint : 0
; COMPUTE_PGM_RSRC2:SCRATCH_EN: 0
; COMPUTE_PGM_RSRC2:USER_SGPR: 2
; COMPUTE_PGM_RSRC2:TRAP_HANDLER: 0
; COMPUTE_PGM_RSRC2:TGID_X_EN: 1
; COMPUTE_PGM_RSRC2:TGID_Y_EN: 0
; COMPUTE_PGM_RSRC2:TGID_Z_EN: 0
; COMPUTE_PGM_RSRC2:TIDIG_COMP_CNT: 0
	.section	.text._ZN7rocprim17ROCPRIM_400000_NS6detail17trampoline_kernelINS0_14default_configENS1_35radix_sort_onesweep_config_selectorIhNS0_10empty_typeEEEZZNS1_29radix_sort_onesweep_iterationIS3_Lb1EPKhPhPS5_SB_mNS0_19identity_decomposerENS1_16block_id_wrapperIjLb1EEEEE10hipError_tT1_PNSt15iterator_traitsISG_E10value_typeET2_T3_PNSH_ISM_E10value_typeET4_T5_PSR_SS_PNS1_23onesweep_lookback_stateEbbT6_jjT7_P12ihipStream_tbENKUlT_T0_SG_SL_E_clIS9_SA_SB_SB_EEDaSZ_S10_SG_SL_EUlSZ_E_NS1_11comp_targetILNS1_3genE6ELNS1_11target_archE950ELNS1_3gpuE13ELNS1_3repE0EEENS1_47radix_sort_onesweep_sort_config_static_selectorELNS0_4arch9wavefront6targetE0EEEvSG_,"axG",@progbits,_ZN7rocprim17ROCPRIM_400000_NS6detail17trampoline_kernelINS0_14default_configENS1_35radix_sort_onesweep_config_selectorIhNS0_10empty_typeEEEZZNS1_29radix_sort_onesweep_iterationIS3_Lb1EPKhPhPS5_SB_mNS0_19identity_decomposerENS1_16block_id_wrapperIjLb1EEEEE10hipError_tT1_PNSt15iterator_traitsISG_E10value_typeET2_T3_PNSH_ISM_E10value_typeET4_T5_PSR_SS_PNS1_23onesweep_lookback_stateEbbT6_jjT7_P12ihipStream_tbENKUlT_T0_SG_SL_E_clIS9_SA_SB_SB_EEDaSZ_S10_SG_SL_EUlSZ_E_NS1_11comp_targetILNS1_3genE6ELNS1_11target_archE950ELNS1_3gpuE13ELNS1_3repE0EEENS1_47radix_sort_onesweep_sort_config_static_selectorELNS0_4arch9wavefront6targetE0EEEvSG_,comdat
	.protected	_ZN7rocprim17ROCPRIM_400000_NS6detail17trampoline_kernelINS0_14default_configENS1_35radix_sort_onesweep_config_selectorIhNS0_10empty_typeEEEZZNS1_29radix_sort_onesweep_iterationIS3_Lb1EPKhPhPS5_SB_mNS0_19identity_decomposerENS1_16block_id_wrapperIjLb1EEEEE10hipError_tT1_PNSt15iterator_traitsISG_E10value_typeET2_T3_PNSH_ISM_E10value_typeET4_T5_PSR_SS_PNS1_23onesweep_lookback_stateEbbT6_jjT7_P12ihipStream_tbENKUlT_T0_SG_SL_E_clIS9_SA_SB_SB_EEDaSZ_S10_SG_SL_EUlSZ_E_NS1_11comp_targetILNS1_3genE6ELNS1_11target_archE950ELNS1_3gpuE13ELNS1_3repE0EEENS1_47radix_sort_onesweep_sort_config_static_selectorELNS0_4arch9wavefront6targetE0EEEvSG_ ; -- Begin function _ZN7rocprim17ROCPRIM_400000_NS6detail17trampoline_kernelINS0_14default_configENS1_35radix_sort_onesweep_config_selectorIhNS0_10empty_typeEEEZZNS1_29radix_sort_onesweep_iterationIS3_Lb1EPKhPhPS5_SB_mNS0_19identity_decomposerENS1_16block_id_wrapperIjLb1EEEEE10hipError_tT1_PNSt15iterator_traitsISG_E10value_typeET2_T3_PNSH_ISM_E10value_typeET4_T5_PSR_SS_PNS1_23onesweep_lookback_stateEbbT6_jjT7_P12ihipStream_tbENKUlT_T0_SG_SL_E_clIS9_SA_SB_SB_EEDaSZ_S10_SG_SL_EUlSZ_E_NS1_11comp_targetILNS1_3genE6ELNS1_11target_archE950ELNS1_3gpuE13ELNS1_3repE0EEENS1_47radix_sort_onesweep_sort_config_static_selectorELNS0_4arch9wavefront6targetE0EEEvSG_
	.globl	_ZN7rocprim17ROCPRIM_400000_NS6detail17trampoline_kernelINS0_14default_configENS1_35radix_sort_onesweep_config_selectorIhNS0_10empty_typeEEEZZNS1_29radix_sort_onesweep_iterationIS3_Lb1EPKhPhPS5_SB_mNS0_19identity_decomposerENS1_16block_id_wrapperIjLb1EEEEE10hipError_tT1_PNSt15iterator_traitsISG_E10value_typeET2_T3_PNSH_ISM_E10value_typeET4_T5_PSR_SS_PNS1_23onesweep_lookback_stateEbbT6_jjT7_P12ihipStream_tbENKUlT_T0_SG_SL_E_clIS9_SA_SB_SB_EEDaSZ_S10_SG_SL_EUlSZ_E_NS1_11comp_targetILNS1_3genE6ELNS1_11target_archE950ELNS1_3gpuE13ELNS1_3repE0EEENS1_47radix_sort_onesweep_sort_config_static_selectorELNS0_4arch9wavefront6targetE0EEEvSG_
	.p2align	8
	.type	_ZN7rocprim17ROCPRIM_400000_NS6detail17trampoline_kernelINS0_14default_configENS1_35radix_sort_onesweep_config_selectorIhNS0_10empty_typeEEEZZNS1_29radix_sort_onesweep_iterationIS3_Lb1EPKhPhPS5_SB_mNS0_19identity_decomposerENS1_16block_id_wrapperIjLb1EEEEE10hipError_tT1_PNSt15iterator_traitsISG_E10value_typeET2_T3_PNSH_ISM_E10value_typeET4_T5_PSR_SS_PNS1_23onesweep_lookback_stateEbbT6_jjT7_P12ihipStream_tbENKUlT_T0_SG_SL_E_clIS9_SA_SB_SB_EEDaSZ_S10_SG_SL_EUlSZ_E_NS1_11comp_targetILNS1_3genE6ELNS1_11target_archE950ELNS1_3gpuE13ELNS1_3repE0EEENS1_47radix_sort_onesweep_sort_config_static_selectorELNS0_4arch9wavefront6targetE0EEEvSG_,@function
_ZN7rocprim17ROCPRIM_400000_NS6detail17trampoline_kernelINS0_14default_configENS1_35radix_sort_onesweep_config_selectorIhNS0_10empty_typeEEEZZNS1_29radix_sort_onesweep_iterationIS3_Lb1EPKhPhPS5_SB_mNS0_19identity_decomposerENS1_16block_id_wrapperIjLb1EEEEE10hipError_tT1_PNSt15iterator_traitsISG_E10value_typeET2_T3_PNSH_ISM_E10value_typeET4_T5_PSR_SS_PNS1_23onesweep_lookback_stateEbbT6_jjT7_P12ihipStream_tbENKUlT_T0_SG_SL_E_clIS9_SA_SB_SB_EEDaSZ_S10_SG_SL_EUlSZ_E_NS1_11comp_targetILNS1_3genE6ELNS1_11target_archE950ELNS1_3gpuE13ELNS1_3repE0EEENS1_47radix_sort_onesweep_sort_config_static_selectorELNS0_4arch9wavefront6targetE0EEEvSG_: ; @_ZN7rocprim17ROCPRIM_400000_NS6detail17trampoline_kernelINS0_14default_configENS1_35radix_sort_onesweep_config_selectorIhNS0_10empty_typeEEEZZNS1_29radix_sort_onesweep_iterationIS3_Lb1EPKhPhPS5_SB_mNS0_19identity_decomposerENS1_16block_id_wrapperIjLb1EEEEE10hipError_tT1_PNSt15iterator_traitsISG_E10value_typeET2_T3_PNSH_ISM_E10value_typeET4_T5_PSR_SS_PNS1_23onesweep_lookback_stateEbbT6_jjT7_P12ihipStream_tbENKUlT_T0_SG_SL_E_clIS9_SA_SB_SB_EEDaSZ_S10_SG_SL_EUlSZ_E_NS1_11comp_targetILNS1_3genE6ELNS1_11target_archE950ELNS1_3gpuE13ELNS1_3repE0EEENS1_47radix_sort_onesweep_sort_config_static_selectorELNS0_4arch9wavefront6targetE0EEEvSG_
; %bb.0:
	.section	.rodata,"a",@progbits
	.p2align	6, 0x0
	.amdhsa_kernel _ZN7rocprim17ROCPRIM_400000_NS6detail17trampoline_kernelINS0_14default_configENS1_35radix_sort_onesweep_config_selectorIhNS0_10empty_typeEEEZZNS1_29radix_sort_onesweep_iterationIS3_Lb1EPKhPhPS5_SB_mNS0_19identity_decomposerENS1_16block_id_wrapperIjLb1EEEEE10hipError_tT1_PNSt15iterator_traitsISG_E10value_typeET2_T3_PNSH_ISM_E10value_typeET4_T5_PSR_SS_PNS1_23onesweep_lookback_stateEbbT6_jjT7_P12ihipStream_tbENKUlT_T0_SG_SL_E_clIS9_SA_SB_SB_EEDaSZ_S10_SG_SL_EUlSZ_E_NS1_11comp_targetILNS1_3genE6ELNS1_11target_archE950ELNS1_3gpuE13ELNS1_3repE0EEENS1_47radix_sort_onesweep_sort_config_static_selectorELNS0_4arch9wavefront6targetE0EEEvSG_
		.amdhsa_group_segment_fixed_size 0
		.amdhsa_private_segment_fixed_size 0
		.amdhsa_kernarg_size 88
		.amdhsa_user_sgpr_count 2
		.amdhsa_user_sgpr_dispatch_ptr 0
		.amdhsa_user_sgpr_queue_ptr 0
		.amdhsa_user_sgpr_kernarg_segment_ptr 1
		.amdhsa_user_sgpr_dispatch_id 0
		.amdhsa_user_sgpr_kernarg_preload_length 0
		.amdhsa_user_sgpr_kernarg_preload_offset 0
		.amdhsa_user_sgpr_private_segment_size 0
		.amdhsa_wavefront_size32 1
		.amdhsa_uses_dynamic_stack 0
		.amdhsa_enable_private_segment 0
		.amdhsa_system_sgpr_workgroup_id_x 1
		.amdhsa_system_sgpr_workgroup_id_y 0
		.amdhsa_system_sgpr_workgroup_id_z 0
		.amdhsa_system_sgpr_workgroup_info 0
		.amdhsa_system_vgpr_workitem_id 0
		.amdhsa_next_free_vgpr 1
		.amdhsa_next_free_sgpr 1
		.amdhsa_named_barrier_count 0
		.amdhsa_reserve_vcc 0
		.amdhsa_float_round_mode_32 0
		.amdhsa_float_round_mode_16_64 0
		.amdhsa_float_denorm_mode_32 3
		.amdhsa_float_denorm_mode_16_64 3
		.amdhsa_fp16_overflow 0
		.amdhsa_memory_ordered 1
		.amdhsa_forward_progress 1
		.amdhsa_inst_pref_size 0
		.amdhsa_round_robin_scheduling 0
		.amdhsa_exception_fp_ieee_invalid_op 0
		.amdhsa_exception_fp_denorm_src 0
		.amdhsa_exception_fp_ieee_div_zero 0
		.amdhsa_exception_fp_ieee_overflow 0
		.amdhsa_exception_fp_ieee_underflow 0
		.amdhsa_exception_fp_ieee_inexact 0
		.amdhsa_exception_int_div_zero 0
	.end_amdhsa_kernel
	.section	.text._ZN7rocprim17ROCPRIM_400000_NS6detail17trampoline_kernelINS0_14default_configENS1_35radix_sort_onesweep_config_selectorIhNS0_10empty_typeEEEZZNS1_29radix_sort_onesweep_iterationIS3_Lb1EPKhPhPS5_SB_mNS0_19identity_decomposerENS1_16block_id_wrapperIjLb1EEEEE10hipError_tT1_PNSt15iterator_traitsISG_E10value_typeET2_T3_PNSH_ISM_E10value_typeET4_T5_PSR_SS_PNS1_23onesweep_lookback_stateEbbT6_jjT7_P12ihipStream_tbENKUlT_T0_SG_SL_E_clIS9_SA_SB_SB_EEDaSZ_S10_SG_SL_EUlSZ_E_NS1_11comp_targetILNS1_3genE6ELNS1_11target_archE950ELNS1_3gpuE13ELNS1_3repE0EEENS1_47radix_sort_onesweep_sort_config_static_selectorELNS0_4arch9wavefront6targetE0EEEvSG_,"axG",@progbits,_ZN7rocprim17ROCPRIM_400000_NS6detail17trampoline_kernelINS0_14default_configENS1_35radix_sort_onesweep_config_selectorIhNS0_10empty_typeEEEZZNS1_29radix_sort_onesweep_iterationIS3_Lb1EPKhPhPS5_SB_mNS0_19identity_decomposerENS1_16block_id_wrapperIjLb1EEEEE10hipError_tT1_PNSt15iterator_traitsISG_E10value_typeET2_T3_PNSH_ISM_E10value_typeET4_T5_PSR_SS_PNS1_23onesweep_lookback_stateEbbT6_jjT7_P12ihipStream_tbENKUlT_T0_SG_SL_E_clIS9_SA_SB_SB_EEDaSZ_S10_SG_SL_EUlSZ_E_NS1_11comp_targetILNS1_3genE6ELNS1_11target_archE950ELNS1_3gpuE13ELNS1_3repE0EEENS1_47radix_sort_onesweep_sort_config_static_selectorELNS0_4arch9wavefront6targetE0EEEvSG_,comdat
.Lfunc_end109:
	.size	_ZN7rocprim17ROCPRIM_400000_NS6detail17trampoline_kernelINS0_14default_configENS1_35radix_sort_onesweep_config_selectorIhNS0_10empty_typeEEEZZNS1_29radix_sort_onesweep_iterationIS3_Lb1EPKhPhPS5_SB_mNS0_19identity_decomposerENS1_16block_id_wrapperIjLb1EEEEE10hipError_tT1_PNSt15iterator_traitsISG_E10value_typeET2_T3_PNSH_ISM_E10value_typeET4_T5_PSR_SS_PNS1_23onesweep_lookback_stateEbbT6_jjT7_P12ihipStream_tbENKUlT_T0_SG_SL_E_clIS9_SA_SB_SB_EEDaSZ_S10_SG_SL_EUlSZ_E_NS1_11comp_targetILNS1_3genE6ELNS1_11target_archE950ELNS1_3gpuE13ELNS1_3repE0EEENS1_47radix_sort_onesweep_sort_config_static_selectorELNS0_4arch9wavefront6targetE0EEEvSG_, .Lfunc_end109-_ZN7rocprim17ROCPRIM_400000_NS6detail17trampoline_kernelINS0_14default_configENS1_35radix_sort_onesweep_config_selectorIhNS0_10empty_typeEEEZZNS1_29radix_sort_onesweep_iterationIS3_Lb1EPKhPhPS5_SB_mNS0_19identity_decomposerENS1_16block_id_wrapperIjLb1EEEEE10hipError_tT1_PNSt15iterator_traitsISG_E10value_typeET2_T3_PNSH_ISM_E10value_typeET4_T5_PSR_SS_PNS1_23onesweep_lookback_stateEbbT6_jjT7_P12ihipStream_tbENKUlT_T0_SG_SL_E_clIS9_SA_SB_SB_EEDaSZ_S10_SG_SL_EUlSZ_E_NS1_11comp_targetILNS1_3genE6ELNS1_11target_archE950ELNS1_3gpuE13ELNS1_3repE0EEENS1_47radix_sort_onesweep_sort_config_static_selectorELNS0_4arch9wavefront6targetE0EEEvSG_
                                        ; -- End function
	.set _ZN7rocprim17ROCPRIM_400000_NS6detail17trampoline_kernelINS0_14default_configENS1_35radix_sort_onesweep_config_selectorIhNS0_10empty_typeEEEZZNS1_29radix_sort_onesweep_iterationIS3_Lb1EPKhPhPS5_SB_mNS0_19identity_decomposerENS1_16block_id_wrapperIjLb1EEEEE10hipError_tT1_PNSt15iterator_traitsISG_E10value_typeET2_T3_PNSH_ISM_E10value_typeET4_T5_PSR_SS_PNS1_23onesweep_lookback_stateEbbT6_jjT7_P12ihipStream_tbENKUlT_T0_SG_SL_E_clIS9_SA_SB_SB_EEDaSZ_S10_SG_SL_EUlSZ_E_NS1_11comp_targetILNS1_3genE6ELNS1_11target_archE950ELNS1_3gpuE13ELNS1_3repE0EEENS1_47radix_sort_onesweep_sort_config_static_selectorELNS0_4arch9wavefront6targetE0EEEvSG_.num_vgpr, 0
	.set _ZN7rocprim17ROCPRIM_400000_NS6detail17trampoline_kernelINS0_14default_configENS1_35radix_sort_onesweep_config_selectorIhNS0_10empty_typeEEEZZNS1_29radix_sort_onesweep_iterationIS3_Lb1EPKhPhPS5_SB_mNS0_19identity_decomposerENS1_16block_id_wrapperIjLb1EEEEE10hipError_tT1_PNSt15iterator_traitsISG_E10value_typeET2_T3_PNSH_ISM_E10value_typeET4_T5_PSR_SS_PNS1_23onesweep_lookback_stateEbbT6_jjT7_P12ihipStream_tbENKUlT_T0_SG_SL_E_clIS9_SA_SB_SB_EEDaSZ_S10_SG_SL_EUlSZ_E_NS1_11comp_targetILNS1_3genE6ELNS1_11target_archE950ELNS1_3gpuE13ELNS1_3repE0EEENS1_47radix_sort_onesweep_sort_config_static_selectorELNS0_4arch9wavefront6targetE0EEEvSG_.num_agpr, 0
	.set _ZN7rocprim17ROCPRIM_400000_NS6detail17trampoline_kernelINS0_14default_configENS1_35radix_sort_onesweep_config_selectorIhNS0_10empty_typeEEEZZNS1_29radix_sort_onesweep_iterationIS3_Lb1EPKhPhPS5_SB_mNS0_19identity_decomposerENS1_16block_id_wrapperIjLb1EEEEE10hipError_tT1_PNSt15iterator_traitsISG_E10value_typeET2_T3_PNSH_ISM_E10value_typeET4_T5_PSR_SS_PNS1_23onesweep_lookback_stateEbbT6_jjT7_P12ihipStream_tbENKUlT_T0_SG_SL_E_clIS9_SA_SB_SB_EEDaSZ_S10_SG_SL_EUlSZ_E_NS1_11comp_targetILNS1_3genE6ELNS1_11target_archE950ELNS1_3gpuE13ELNS1_3repE0EEENS1_47radix_sort_onesweep_sort_config_static_selectorELNS0_4arch9wavefront6targetE0EEEvSG_.numbered_sgpr, 0
	.set _ZN7rocprim17ROCPRIM_400000_NS6detail17trampoline_kernelINS0_14default_configENS1_35radix_sort_onesweep_config_selectorIhNS0_10empty_typeEEEZZNS1_29radix_sort_onesweep_iterationIS3_Lb1EPKhPhPS5_SB_mNS0_19identity_decomposerENS1_16block_id_wrapperIjLb1EEEEE10hipError_tT1_PNSt15iterator_traitsISG_E10value_typeET2_T3_PNSH_ISM_E10value_typeET4_T5_PSR_SS_PNS1_23onesweep_lookback_stateEbbT6_jjT7_P12ihipStream_tbENKUlT_T0_SG_SL_E_clIS9_SA_SB_SB_EEDaSZ_S10_SG_SL_EUlSZ_E_NS1_11comp_targetILNS1_3genE6ELNS1_11target_archE950ELNS1_3gpuE13ELNS1_3repE0EEENS1_47radix_sort_onesweep_sort_config_static_selectorELNS0_4arch9wavefront6targetE0EEEvSG_.num_named_barrier, 0
	.set _ZN7rocprim17ROCPRIM_400000_NS6detail17trampoline_kernelINS0_14default_configENS1_35radix_sort_onesweep_config_selectorIhNS0_10empty_typeEEEZZNS1_29radix_sort_onesweep_iterationIS3_Lb1EPKhPhPS5_SB_mNS0_19identity_decomposerENS1_16block_id_wrapperIjLb1EEEEE10hipError_tT1_PNSt15iterator_traitsISG_E10value_typeET2_T3_PNSH_ISM_E10value_typeET4_T5_PSR_SS_PNS1_23onesweep_lookback_stateEbbT6_jjT7_P12ihipStream_tbENKUlT_T0_SG_SL_E_clIS9_SA_SB_SB_EEDaSZ_S10_SG_SL_EUlSZ_E_NS1_11comp_targetILNS1_3genE6ELNS1_11target_archE950ELNS1_3gpuE13ELNS1_3repE0EEENS1_47radix_sort_onesweep_sort_config_static_selectorELNS0_4arch9wavefront6targetE0EEEvSG_.private_seg_size, 0
	.set _ZN7rocprim17ROCPRIM_400000_NS6detail17trampoline_kernelINS0_14default_configENS1_35radix_sort_onesweep_config_selectorIhNS0_10empty_typeEEEZZNS1_29radix_sort_onesweep_iterationIS3_Lb1EPKhPhPS5_SB_mNS0_19identity_decomposerENS1_16block_id_wrapperIjLb1EEEEE10hipError_tT1_PNSt15iterator_traitsISG_E10value_typeET2_T3_PNSH_ISM_E10value_typeET4_T5_PSR_SS_PNS1_23onesweep_lookback_stateEbbT6_jjT7_P12ihipStream_tbENKUlT_T0_SG_SL_E_clIS9_SA_SB_SB_EEDaSZ_S10_SG_SL_EUlSZ_E_NS1_11comp_targetILNS1_3genE6ELNS1_11target_archE950ELNS1_3gpuE13ELNS1_3repE0EEENS1_47radix_sort_onesweep_sort_config_static_selectorELNS0_4arch9wavefront6targetE0EEEvSG_.uses_vcc, 0
	.set _ZN7rocprim17ROCPRIM_400000_NS6detail17trampoline_kernelINS0_14default_configENS1_35radix_sort_onesweep_config_selectorIhNS0_10empty_typeEEEZZNS1_29radix_sort_onesweep_iterationIS3_Lb1EPKhPhPS5_SB_mNS0_19identity_decomposerENS1_16block_id_wrapperIjLb1EEEEE10hipError_tT1_PNSt15iterator_traitsISG_E10value_typeET2_T3_PNSH_ISM_E10value_typeET4_T5_PSR_SS_PNS1_23onesweep_lookback_stateEbbT6_jjT7_P12ihipStream_tbENKUlT_T0_SG_SL_E_clIS9_SA_SB_SB_EEDaSZ_S10_SG_SL_EUlSZ_E_NS1_11comp_targetILNS1_3genE6ELNS1_11target_archE950ELNS1_3gpuE13ELNS1_3repE0EEENS1_47radix_sort_onesweep_sort_config_static_selectorELNS0_4arch9wavefront6targetE0EEEvSG_.uses_flat_scratch, 0
	.set _ZN7rocprim17ROCPRIM_400000_NS6detail17trampoline_kernelINS0_14default_configENS1_35radix_sort_onesweep_config_selectorIhNS0_10empty_typeEEEZZNS1_29radix_sort_onesweep_iterationIS3_Lb1EPKhPhPS5_SB_mNS0_19identity_decomposerENS1_16block_id_wrapperIjLb1EEEEE10hipError_tT1_PNSt15iterator_traitsISG_E10value_typeET2_T3_PNSH_ISM_E10value_typeET4_T5_PSR_SS_PNS1_23onesweep_lookback_stateEbbT6_jjT7_P12ihipStream_tbENKUlT_T0_SG_SL_E_clIS9_SA_SB_SB_EEDaSZ_S10_SG_SL_EUlSZ_E_NS1_11comp_targetILNS1_3genE6ELNS1_11target_archE950ELNS1_3gpuE13ELNS1_3repE0EEENS1_47radix_sort_onesweep_sort_config_static_selectorELNS0_4arch9wavefront6targetE0EEEvSG_.has_dyn_sized_stack, 0
	.set _ZN7rocprim17ROCPRIM_400000_NS6detail17trampoline_kernelINS0_14default_configENS1_35radix_sort_onesweep_config_selectorIhNS0_10empty_typeEEEZZNS1_29radix_sort_onesweep_iterationIS3_Lb1EPKhPhPS5_SB_mNS0_19identity_decomposerENS1_16block_id_wrapperIjLb1EEEEE10hipError_tT1_PNSt15iterator_traitsISG_E10value_typeET2_T3_PNSH_ISM_E10value_typeET4_T5_PSR_SS_PNS1_23onesweep_lookback_stateEbbT6_jjT7_P12ihipStream_tbENKUlT_T0_SG_SL_E_clIS9_SA_SB_SB_EEDaSZ_S10_SG_SL_EUlSZ_E_NS1_11comp_targetILNS1_3genE6ELNS1_11target_archE950ELNS1_3gpuE13ELNS1_3repE0EEENS1_47radix_sort_onesweep_sort_config_static_selectorELNS0_4arch9wavefront6targetE0EEEvSG_.has_recursion, 0
	.set _ZN7rocprim17ROCPRIM_400000_NS6detail17trampoline_kernelINS0_14default_configENS1_35radix_sort_onesweep_config_selectorIhNS0_10empty_typeEEEZZNS1_29radix_sort_onesweep_iterationIS3_Lb1EPKhPhPS5_SB_mNS0_19identity_decomposerENS1_16block_id_wrapperIjLb1EEEEE10hipError_tT1_PNSt15iterator_traitsISG_E10value_typeET2_T3_PNSH_ISM_E10value_typeET4_T5_PSR_SS_PNS1_23onesweep_lookback_stateEbbT6_jjT7_P12ihipStream_tbENKUlT_T0_SG_SL_E_clIS9_SA_SB_SB_EEDaSZ_S10_SG_SL_EUlSZ_E_NS1_11comp_targetILNS1_3genE6ELNS1_11target_archE950ELNS1_3gpuE13ELNS1_3repE0EEENS1_47radix_sort_onesweep_sort_config_static_selectorELNS0_4arch9wavefront6targetE0EEEvSG_.has_indirect_call, 0
	.section	.AMDGPU.csdata,"",@progbits
; Kernel info:
; codeLenInByte = 0
; TotalNumSgprs: 0
; NumVgprs: 0
; ScratchSize: 0
; MemoryBound: 0
; FloatMode: 240
; IeeeMode: 1
; LDSByteSize: 0 bytes/workgroup (compile time only)
; SGPRBlocks: 0
; VGPRBlocks: 0
; NumSGPRsForWavesPerEU: 1
; NumVGPRsForWavesPerEU: 1
; NamedBarCnt: 0
; Occupancy: 16
; WaveLimiterHint : 0
; COMPUTE_PGM_RSRC2:SCRATCH_EN: 0
; COMPUTE_PGM_RSRC2:USER_SGPR: 2
; COMPUTE_PGM_RSRC2:TRAP_HANDLER: 0
; COMPUTE_PGM_RSRC2:TGID_X_EN: 1
; COMPUTE_PGM_RSRC2:TGID_Y_EN: 0
; COMPUTE_PGM_RSRC2:TGID_Z_EN: 0
; COMPUTE_PGM_RSRC2:TIDIG_COMP_CNT: 0
	.section	.text._ZN7rocprim17ROCPRIM_400000_NS6detail17trampoline_kernelINS0_14default_configENS1_35radix_sort_onesweep_config_selectorIhNS0_10empty_typeEEEZZNS1_29radix_sort_onesweep_iterationIS3_Lb1EPKhPhPS5_SB_mNS0_19identity_decomposerENS1_16block_id_wrapperIjLb1EEEEE10hipError_tT1_PNSt15iterator_traitsISG_E10value_typeET2_T3_PNSH_ISM_E10value_typeET4_T5_PSR_SS_PNS1_23onesweep_lookback_stateEbbT6_jjT7_P12ihipStream_tbENKUlT_T0_SG_SL_E_clIS9_SA_SB_SB_EEDaSZ_S10_SG_SL_EUlSZ_E_NS1_11comp_targetILNS1_3genE5ELNS1_11target_archE942ELNS1_3gpuE9ELNS1_3repE0EEENS1_47radix_sort_onesweep_sort_config_static_selectorELNS0_4arch9wavefront6targetE0EEEvSG_,"axG",@progbits,_ZN7rocprim17ROCPRIM_400000_NS6detail17trampoline_kernelINS0_14default_configENS1_35radix_sort_onesweep_config_selectorIhNS0_10empty_typeEEEZZNS1_29radix_sort_onesweep_iterationIS3_Lb1EPKhPhPS5_SB_mNS0_19identity_decomposerENS1_16block_id_wrapperIjLb1EEEEE10hipError_tT1_PNSt15iterator_traitsISG_E10value_typeET2_T3_PNSH_ISM_E10value_typeET4_T5_PSR_SS_PNS1_23onesweep_lookback_stateEbbT6_jjT7_P12ihipStream_tbENKUlT_T0_SG_SL_E_clIS9_SA_SB_SB_EEDaSZ_S10_SG_SL_EUlSZ_E_NS1_11comp_targetILNS1_3genE5ELNS1_11target_archE942ELNS1_3gpuE9ELNS1_3repE0EEENS1_47radix_sort_onesweep_sort_config_static_selectorELNS0_4arch9wavefront6targetE0EEEvSG_,comdat
	.protected	_ZN7rocprim17ROCPRIM_400000_NS6detail17trampoline_kernelINS0_14default_configENS1_35radix_sort_onesweep_config_selectorIhNS0_10empty_typeEEEZZNS1_29radix_sort_onesweep_iterationIS3_Lb1EPKhPhPS5_SB_mNS0_19identity_decomposerENS1_16block_id_wrapperIjLb1EEEEE10hipError_tT1_PNSt15iterator_traitsISG_E10value_typeET2_T3_PNSH_ISM_E10value_typeET4_T5_PSR_SS_PNS1_23onesweep_lookback_stateEbbT6_jjT7_P12ihipStream_tbENKUlT_T0_SG_SL_E_clIS9_SA_SB_SB_EEDaSZ_S10_SG_SL_EUlSZ_E_NS1_11comp_targetILNS1_3genE5ELNS1_11target_archE942ELNS1_3gpuE9ELNS1_3repE0EEENS1_47radix_sort_onesweep_sort_config_static_selectorELNS0_4arch9wavefront6targetE0EEEvSG_ ; -- Begin function _ZN7rocprim17ROCPRIM_400000_NS6detail17trampoline_kernelINS0_14default_configENS1_35radix_sort_onesweep_config_selectorIhNS0_10empty_typeEEEZZNS1_29radix_sort_onesweep_iterationIS3_Lb1EPKhPhPS5_SB_mNS0_19identity_decomposerENS1_16block_id_wrapperIjLb1EEEEE10hipError_tT1_PNSt15iterator_traitsISG_E10value_typeET2_T3_PNSH_ISM_E10value_typeET4_T5_PSR_SS_PNS1_23onesweep_lookback_stateEbbT6_jjT7_P12ihipStream_tbENKUlT_T0_SG_SL_E_clIS9_SA_SB_SB_EEDaSZ_S10_SG_SL_EUlSZ_E_NS1_11comp_targetILNS1_3genE5ELNS1_11target_archE942ELNS1_3gpuE9ELNS1_3repE0EEENS1_47radix_sort_onesweep_sort_config_static_selectorELNS0_4arch9wavefront6targetE0EEEvSG_
	.globl	_ZN7rocprim17ROCPRIM_400000_NS6detail17trampoline_kernelINS0_14default_configENS1_35radix_sort_onesweep_config_selectorIhNS0_10empty_typeEEEZZNS1_29radix_sort_onesweep_iterationIS3_Lb1EPKhPhPS5_SB_mNS0_19identity_decomposerENS1_16block_id_wrapperIjLb1EEEEE10hipError_tT1_PNSt15iterator_traitsISG_E10value_typeET2_T3_PNSH_ISM_E10value_typeET4_T5_PSR_SS_PNS1_23onesweep_lookback_stateEbbT6_jjT7_P12ihipStream_tbENKUlT_T0_SG_SL_E_clIS9_SA_SB_SB_EEDaSZ_S10_SG_SL_EUlSZ_E_NS1_11comp_targetILNS1_3genE5ELNS1_11target_archE942ELNS1_3gpuE9ELNS1_3repE0EEENS1_47radix_sort_onesweep_sort_config_static_selectorELNS0_4arch9wavefront6targetE0EEEvSG_
	.p2align	8
	.type	_ZN7rocprim17ROCPRIM_400000_NS6detail17trampoline_kernelINS0_14default_configENS1_35radix_sort_onesweep_config_selectorIhNS0_10empty_typeEEEZZNS1_29radix_sort_onesweep_iterationIS3_Lb1EPKhPhPS5_SB_mNS0_19identity_decomposerENS1_16block_id_wrapperIjLb1EEEEE10hipError_tT1_PNSt15iterator_traitsISG_E10value_typeET2_T3_PNSH_ISM_E10value_typeET4_T5_PSR_SS_PNS1_23onesweep_lookback_stateEbbT6_jjT7_P12ihipStream_tbENKUlT_T0_SG_SL_E_clIS9_SA_SB_SB_EEDaSZ_S10_SG_SL_EUlSZ_E_NS1_11comp_targetILNS1_3genE5ELNS1_11target_archE942ELNS1_3gpuE9ELNS1_3repE0EEENS1_47radix_sort_onesweep_sort_config_static_selectorELNS0_4arch9wavefront6targetE0EEEvSG_,@function
_ZN7rocprim17ROCPRIM_400000_NS6detail17trampoline_kernelINS0_14default_configENS1_35radix_sort_onesweep_config_selectorIhNS0_10empty_typeEEEZZNS1_29radix_sort_onesweep_iterationIS3_Lb1EPKhPhPS5_SB_mNS0_19identity_decomposerENS1_16block_id_wrapperIjLb1EEEEE10hipError_tT1_PNSt15iterator_traitsISG_E10value_typeET2_T3_PNSH_ISM_E10value_typeET4_T5_PSR_SS_PNS1_23onesweep_lookback_stateEbbT6_jjT7_P12ihipStream_tbENKUlT_T0_SG_SL_E_clIS9_SA_SB_SB_EEDaSZ_S10_SG_SL_EUlSZ_E_NS1_11comp_targetILNS1_3genE5ELNS1_11target_archE942ELNS1_3gpuE9ELNS1_3repE0EEENS1_47radix_sort_onesweep_sort_config_static_selectorELNS0_4arch9wavefront6targetE0EEEvSG_: ; @_ZN7rocprim17ROCPRIM_400000_NS6detail17trampoline_kernelINS0_14default_configENS1_35radix_sort_onesweep_config_selectorIhNS0_10empty_typeEEEZZNS1_29radix_sort_onesweep_iterationIS3_Lb1EPKhPhPS5_SB_mNS0_19identity_decomposerENS1_16block_id_wrapperIjLb1EEEEE10hipError_tT1_PNSt15iterator_traitsISG_E10value_typeET2_T3_PNSH_ISM_E10value_typeET4_T5_PSR_SS_PNS1_23onesweep_lookback_stateEbbT6_jjT7_P12ihipStream_tbENKUlT_T0_SG_SL_E_clIS9_SA_SB_SB_EEDaSZ_S10_SG_SL_EUlSZ_E_NS1_11comp_targetILNS1_3genE5ELNS1_11target_archE942ELNS1_3gpuE9ELNS1_3repE0EEENS1_47radix_sort_onesweep_sort_config_static_selectorELNS0_4arch9wavefront6targetE0EEEvSG_
; %bb.0:
	.section	.rodata,"a",@progbits
	.p2align	6, 0x0
	.amdhsa_kernel _ZN7rocprim17ROCPRIM_400000_NS6detail17trampoline_kernelINS0_14default_configENS1_35radix_sort_onesweep_config_selectorIhNS0_10empty_typeEEEZZNS1_29radix_sort_onesweep_iterationIS3_Lb1EPKhPhPS5_SB_mNS0_19identity_decomposerENS1_16block_id_wrapperIjLb1EEEEE10hipError_tT1_PNSt15iterator_traitsISG_E10value_typeET2_T3_PNSH_ISM_E10value_typeET4_T5_PSR_SS_PNS1_23onesweep_lookback_stateEbbT6_jjT7_P12ihipStream_tbENKUlT_T0_SG_SL_E_clIS9_SA_SB_SB_EEDaSZ_S10_SG_SL_EUlSZ_E_NS1_11comp_targetILNS1_3genE5ELNS1_11target_archE942ELNS1_3gpuE9ELNS1_3repE0EEENS1_47radix_sort_onesweep_sort_config_static_selectorELNS0_4arch9wavefront6targetE0EEEvSG_
		.amdhsa_group_segment_fixed_size 0
		.amdhsa_private_segment_fixed_size 0
		.amdhsa_kernarg_size 88
		.amdhsa_user_sgpr_count 2
		.amdhsa_user_sgpr_dispatch_ptr 0
		.amdhsa_user_sgpr_queue_ptr 0
		.amdhsa_user_sgpr_kernarg_segment_ptr 1
		.amdhsa_user_sgpr_dispatch_id 0
		.amdhsa_user_sgpr_kernarg_preload_length 0
		.amdhsa_user_sgpr_kernarg_preload_offset 0
		.amdhsa_user_sgpr_private_segment_size 0
		.amdhsa_wavefront_size32 1
		.amdhsa_uses_dynamic_stack 0
		.amdhsa_enable_private_segment 0
		.amdhsa_system_sgpr_workgroup_id_x 1
		.amdhsa_system_sgpr_workgroup_id_y 0
		.amdhsa_system_sgpr_workgroup_id_z 0
		.amdhsa_system_sgpr_workgroup_info 0
		.amdhsa_system_vgpr_workitem_id 0
		.amdhsa_next_free_vgpr 1
		.amdhsa_next_free_sgpr 1
		.amdhsa_named_barrier_count 0
		.amdhsa_reserve_vcc 0
		.amdhsa_float_round_mode_32 0
		.amdhsa_float_round_mode_16_64 0
		.amdhsa_float_denorm_mode_32 3
		.amdhsa_float_denorm_mode_16_64 3
		.amdhsa_fp16_overflow 0
		.amdhsa_memory_ordered 1
		.amdhsa_forward_progress 1
		.amdhsa_inst_pref_size 0
		.amdhsa_round_robin_scheduling 0
		.amdhsa_exception_fp_ieee_invalid_op 0
		.amdhsa_exception_fp_denorm_src 0
		.amdhsa_exception_fp_ieee_div_zero 0
		.amdhsa_exception_fp_ieee_overflow 0
		.amdhsa_exception_fp_ieee_underflow 0
		.amdhsa_exception_fp_ieee_inexact 0
		.amdhsa_exception_int_div_zero 0
	.end_amdhsa_kernel
	.section	.text._ZN7rocprim17ROCPRIM_400000_NS6detail17trampoline_kernelINS0_14default_configENS1_35radix_sort_onesweep_config_selectorIhNS0_10empty_typeEEEZZNS1_29radix_sort_onesweep_iterationIS3_Lb1EPKhPhPS5_SB_mNS0_19identity_decomposerENS1_16block_id_wrapperIjLb1EEEEE10hipError_tT1_PNSt15iterator_traitsISG_E10value_typeET2_T3_PNSH_ISM_E10value_typeET4_T5_PSR_SS_PNS1_23onesweep_lookback_stateEbbT6_jjT7_P12ihipStream_tbENKUlT_T0_SG_SL_E_clIS9_SA_SB_SB_EEDaSZ_S10_SG_SL_EUlSZ_E_NS1_11comp_targetILNS1_3genE5ELNS1_11target_archE942ELNS1_3gpuE9ELNS1_3repE0EEENS1_47radix_sort_onesweep_sort_config_static_selectorELNS0_4arch9wavefront6targetE0EEEvSG_,"axG",@progbits,_ZN7rocprim17ROCPRIM_400000_NS6detail17trampoline_kernelINS0_14default_configENS1_35radix_sort_onesweep_config_selectorIhNS0_10empty_typeEEEZZNS1_29radix_sort_onesweep_iterationIS3_Lb1EPKhPhPS5_SB_mNS0_19identity_decomposerENS1_16block_id_wrapperIjLb1EEEEE10hipError_tT1_PNSt15iterator_traitsISG_E10value_typeET2_T3_PNSH_ISM_E10value_typeET4_T5_PSR_SS_PNS1_23onesweep_lookback_stateEbbT6_jjT7_P12ihipStream_tbENKUlT_T0_SG_SL_E_clIS9_SA_SB_SB_EEDaSZ_S10_SG_SL_EUlSZ_E_NS1_11comp_targetILNS1_3genE5ELNS1_11target_archE942ELNS1_3gpuE9ELNS1_3repE0EEENS1_47radix_sort_onesweep_sort_config_static_selectorELNS0_4arch9wavefront6targetE0EEEvSG_,comdat
.Lfunc_end110:
	.size	_ZN7rocprim17ROCPRIM_400000_NS6detail17trampoline_kernelINS0_14default_configENS1_35radix_sort_onesweep_config_selectorIhNS0_10empty_typeEEEZZNS1_29radix_sort_onesweep_iterationIS3_Lb1EPKhPhPS5_SB_mNS0_19identity_decomposerENS1_16block_id_wrapperIjLb1EEEEE10hipError_tT1_PNSt15iterator_traitsISG_E10value_typeET2_T3_PNSH_ISM_E10value_typeET4_T5_PSR_SS_PNS1_23onesweep_lookback_stateEbbT6_jjT7_P12ihipStream_tbENKUlT_T0_SG_SL_E_clIS9_SA_SB_SB_EEDaSZ_S10_SG_SL_EUlSZ_E_NS1_11comp_targetILNS1_3genE5ELNS1_11target_archE942ELNS1_3gpuE9ELNS1_3repE0EEENS1_47radix_sort_onesweep_sort_config_static_selectorELNS0_4arch9wavefront6targetE0EEEvSG_, .Lfunc_end110-_ZN7rocprim17ROCPRIM_400000_NS6detail17trampoline_kernelINS0_14default_configENS1_35radix_sort_onesweep_config_selectorIhNS0_10empty_typeEEEZZNS1_29radix_sort_onesweep_iterationIS3_Lb1EPKhPhPS5_SB_mNS0_19identity_decomposerENS1_16block_id_wrapperIjLb1EEEEE10hipError_tT1_PNSt15iterator_traitsISG_E10value_typeET2_T3_PNSH_ISM_E10value_typeET4_T5_PSR_SS_PNS1_23onesweep_lookback_stateEbbT6_jjT7_P12ihipStream_tbENKUlT_T0_SG_SL_E_clIS9_SA_SB_SB_EEDaSZ_S10_SG_SL_EUlSZ_E_NS1_11comp_targetILNS1_3genE5ELNS1_11target_archE942ELNS1_3gpuE9ELNS1_3repE0EEENS1_47radix_sort_onesweep_sort_config_static_selectorELNS0_4arch9wavefront6targetE0EEEvSG_
                                        ; -- End function
	.set _ZN7rocprim17ROCPRIM_400000_NS6detail17trampoline_kernelINS0_14default_configENS1_35radix_sort_onesweep_config_selectorIhNS0_10empty_typeEEEZZNS1_29radix_sort_onesweep_iterationIS3_Lb1EPKhPhPS5_SB_mNS0_19identity_decomposerENS1_16block_id_wrapperIjLb1EEEEE10hipError_tT1_PNSt15iterator_traitsISG_E10value_typeET2_T3_PNSH_ISM_E10value_typeET4_T5_PSR_SS_PNS1_23onesweep_lookback_stateEbbT6_jjT7_P12ihipStream_tbENKUlT_T0_SG_SL_E_clIS9_SA_SB_SB_EEDaSZ_S10_SG_SL_EUlSZ_E_NS1_11comp_targetILNS1_3genE5ELNS1_11target_archE942ELNS1_3gpuE9ELNS1_3repE0EEENS1_47radix_sort_onesweep_sort_config_static_selectorELNS0_4arch9wavefront6targetE0EEEvSG_.num_vgpr, 0
	.set _ZN7rocprim17ROCPRIM_400000_NS6detail17trampoline_kernelINS0_14default_configENS1_35radix_sort_onesweep_config_selectorIhNS0_10empty_typeEEEZZNS1_29radix_sort_onesweep_iterationIS3_Lb1EPKhPhPS5_SB_mNS0_19identity_decomposerENS1_16block_id_wrapperIjLb1EEEEE10hipError_tT1_PNSt15iterator_traitsISG_E10value_typeET2_T3_PNSH_ISM_E10value_typeET4_T5_PSR_SS_PNS1_23onesweep_lookback_stateEbbT6_jjT7_P12ihipStream_tbENKUlT_T0_SG_SL_E_clIS9_SA_SB_SB_EEDaSZ_S10_SG_SL_EUlSZ_E_NS1_11comp_targetILNS1_3genE5ELNS1_11target_archE942ELNS1_3gpuE9ELNS1_3repE0EEENS1_47radix_sort_onesweep_sort_config_static_selectorELNS0_4arch9wavefront6targetE0EEEvSG_.num_agpr, 0
	.set _ZN7rocprim17ROCPRIM_400000_NS6detail17trampoline_kernelINS0_14default_configENS1_35radix_sort_onesweep_config_selectorIhNS0_10empty_typeEEEZZNS1_29radix_sort_onesweep_iterationIS3_Lb1EPKhPhPS5_SB_mNS0_19identity_decomposerENS1_16block_id_wrapperIjLb1EEEEE10hipError_tT1_PNSt15iterator_traitsISG_E10value_typeET2_T3_PNSH_ISM_E10value_typeET4_T5_PSR_SS_PNS1_23onesweep_lookback_stateEbbT6_jjT7_P12ihipStream_tbENKUlT_T0_SG_SL_E_clIS9_SA_SB_SB_EEDaSZ_S10_SG_SL_EUlSZ_E_NS1_11comp_targetILNS1_3genE5ELNS1_11target_archE942ELNS1_3gpuE9ELNS1_3repE0EEENS1_47radix_sort_onesweep_sort_config_static_selectorELNS0_4arch9wavefront6targetE0EEEvSG_.numbered_sgpr, 0
	.set _ZN7rocprim17ROCPRIM_400000_NS6detail17trampoline_kernelINS0_14default_configENS1_35radix_sort_onesweep_config_selectorIhNS0_10empty_typeEEEZZNS1_29radix_sort_onesweep_iterationIS3_Lb1EPKhPhPS5_SB_mNS0_19identity_decomposerENS1_16block_id_wrapperIjLb1EEEEE10hipError_tT1_PNSt15iterator_traitsISG_E10value_typeET2_T3_PNSH_ISM_E10value_typeET4_T5_PSR_SS_PNS1_23onesweep_lookback_stateEbbT6_jjT7_P12ihipStream_tbENKUlT_T0_SG_SL_E_clIS9_SA_SB_SB_EEDaSZ_S10_SG_SL_EUlSZ_E_NS1_11comp_targetILNS1_3genE5ELNS1_11target_archE942ELNS1_3gpuE9ELNS1_3repE0EEENS1_47radix_sort_onesweep_sort_config_static_selectorELNS0_4arch9wavefront6targetE0EEEvSG_.num_named_barrier, 0
	.set _ZN7rocprim17ROCPRIM_400000_NS6detail17trampoline_kernelINS0_14default_configENS1_35radix_sort_onesweep_config_selectorIhNS0_10empty_typeEEEZZNS1_29radix_sort_onesweep_iterationIS3_Lb1EPKhPhPS5_SB_mNS0_19identity_decomposerENS1_16block_id_wrapperIjLb1EEEEE10hipError_tT1_PNSt15iterator_traitsISG_E10value_typeET2_T3_PNSH_ISM_E10value_typeET4_T5_PSR_SS_PNS1_23onesweep_lookback_stateEbbT6_jjT7_P12ihipStream_tbENKUlT_T0_SG_SL_E_clIS9_SA_SB_SB_EEDaSZ_S10_SG_SL_EUlSZ_E_NS1_11comp_targetILNS1_3genE5ELNS1_11target_archE942ELNS1_3gpuE9ELNS1_3repE0EEENS1_47radix_sort_onesweep_sort_config_static_selectorELNS0_4arch9wavefront6targetE0EEEvSG_.private_seg_size, 0
	.set _ZN7rocprim17ROCPRIM_400000_NS6detail17trampoline_kernelINS0_14default_configENS1_35radix_sort_onesweep_config_selectorIhNS0_10empty_typeEEEZZNS1_29radix_sort_onesweep_iterationIS3_Lb1EPKhPhPS5_SB_mNS0_19identity_decomposerENS1_16block_id_wrapperIjLb1EEEEE10hipError_tT1_PNSt15iterator_traitsISG_E10value_typeET2_T3_PNSH_ISM_E10value_typeET4_T5_PSR_SS_PNS1_23onesweep_lookback_stateEbbT6_jjT7_P12ihipStream_tbENKUlT_T0_SG_SL_E_clIS9_SA_SB_SB_EEDaSZ_S10_SG_SL_EUlSZ_E_NS1_11comp_targetILNS1_3genE5ELNS1_11target_archE942ELNS1_3gpuE9ELNS1_3repE0EEENS1_47radix_sort_onesweep_sort_config_static_selectorELNS0_4arch9wavefront6targetE0EEEvSG_.uses_vcc, 0
	.set _ZN7rocprim17ROCPRIM_400000_NS6detail17trampoline_kernelINS0_14default_configENS1_35radix_sort_onesweep_config_selectorIhNS0_10empty_typeEEEZZNS1_29radix_sort_onesweep_iterationIS3_Lb1EPKhPhPS5_SB_mNS0_19identity_decomposerENS1_16block_id_wrapperIjLb1EEEEE10hipError_tT1_PNSt15iterator_traitsISG_E10value_typeET2_T3_PNSH_ISM_E10value_typeET4_T5_PSR_SS_PNS1_23onesweep_lookback_stateEbbT6_jjT7_P12ihipStream_tbENKUlT_T0_SG_SL_E_clIS9_SA_SB_SB_EEDaSZ_S10_SG_SL_EUlSZ_E_NS1_11comp_targetILNS1_3genE5ELNS1_11target_archE942ELNS1_3gpuE9ELNS1_3repE0EEENS1_47radix_sort_onesweep_sort_config_static_selectorELNS0_4arch9wavefront6targetE0EEEvSG_.uses_flat_scratch, 0
	.set _ZN7rocprim17ROCPRIM_400000_NS6detail17trampoline_kernelINS0_14default_configENS1_35radix_sort_onesweep_config_selectorIhNS0_10empty_typeEEEZZNS1_29radix_sort_onesweep_iterationIS3_Lb1EPKhPhPS5_SB_mNS0_19identity_decomposerENS1_16block_id_wrapperIjLb1EEEEE10hipError_tT1_PNSt15iterator_traitsISG_E10value_typeET2_T3_PNSH_ISM_E10value_typeET4_T5_PSR_SS_PNS1_23onesweep_lookback_stateEbbT6_jjT7_P12ihipStream_tbENKUlT_T0_SG_SL_E_clIS9_SA_SB_SB_EEDaSZ_S10_SG_SL_EUlSZ_E_NS1_11comp_targetILNS1_3genE5ELNS1_11target_archE942ELNS1_3gpuE9ELNS1_3repE0EEENS1_47radix_sort_onesweep_sort_config_static_selectorELNS0_4arch9wavefront6targetE0EEEvSG_.has_dyn_sized_stack, 0
	.set _ZN7rocprim17ROCPRIM_400000_NS6detail17trampoline_kernelINS0_14default_configENS1_35radix_sort_onesweep_config_selectorIhNS0_10empty_typeEEEZZNS1_29radix_sort_onesweep_iterationIS3_Lb1EPKhPhPS5_SB_mNS0_19identity_decomposerENS1_16block_id_wrapperIjLb1EEEEE10hipError_tT1_PNSt15iterator_traitsISG_E10value_typeET2_T3_PNSH_ISM_E10value_typeET4_T5_PSR_SS_PNS1_23onesweep_lookback_stateEbbT6_jjT7_P12ihipStream_tbENKUlT_T0_SG_SL_E_clIS9_SA_SB_SB_EEDaSZ_S10_SG_SL_EUlSZ_E_NS1_11comp_targetILNS1_3genE5ELNS1_11target_archE942ELNS1_3gpuE9ELNS1_3repE0EEENS1_47radix_sort_onesweep_sort_config_static_selectorELNS0_4arch9wavefront6targetE0EEEvSG_.has_recursion, 0
	.set _ZN7rocprim17ROCPRIM_400000_NS6detail17trampoline_kernelINS0_14default_configENS1_35radix_sort_onesweep_config_selectorIhNS0_10empty_typeEEEZZNS1_29radix_sort_onesweep_iterationIS3_Lb1EPKhPhPS5_SB_mNS0_19identity_decomposerENS1_16block_id_wrapperIjLb1EEEEE10hipError_tT1_PNSt15iterator_traitsISG_E10value_typeET2_T3_PNSH_ISM_E10value_typeET4_T5_PSR_SS_PNS1_23onesweep_lookback_stateEbbT6_jjT7_P12ihipStream_tbENKUlT_T0_SG_SL_E_clIS9_SA_SB_SB_EEDaSZ_S10_SG_SL_EUlSZ_E_NS1_11comp_targetILNS1_3genE5ELNS1_11target_archE942ELNS1_3gpuE9ELNS1_3repE0EEENS1_47radix_sort_onesweep_sort_config_static_selectorELNS0_4arch9wavefront6targetE0EEEvSG_.has_indirect_call, 0
	.section	.AMDGPU.csdata,"",@progbits
; Kernel info:
; codeLenInByte = 0
; TotalNumSgprs: 0
; NumVgprs: 0
; ScratchSize: 0
; MemoryBound: 0
; FloatMode: 240
; IeeeMode: 1
; LDSByteSize: 0 bytes/workgroup (compile time only)
; SGPRBlocks: 0
; VGPRBlocks: 0
; NumSGPRsForWavesPerEU: 1
; NumVGPRsForWavesPerEU: 1
; NamedBarCnt: 0
; Occupancy: 16
; WaveLimiterHint : 0
; COMPUTE_PGM_RSRC2:SCRATCH_EN: 0
; COMPUTE_PGM_RSRC2:USER_SGPR: 2
; COMPUTE_PGM_RSRC2:TRAP_HANDLER: 0
; COMPUTE_PGM_RSRC2:TGID_X_EN: 1
; COMPUTE_PGM_RSRC2:TGID_Y_EN: 0
; COMPUTE_PGM_RSRC2:TGID_Z_EN: 0
; COMPUTE_PGM_RSRC2:TIDIG_COMP_CNT: 0
	.section	.text._ZN7rocprim17ROCPRIM_400000_NS6detail17trampoline_kernelINS0_14default_configENS1_35radix_sort_onesweep_config_selectorIhNS0_10empty_typeEEEZZNS1_29radix_sort_onesweep_iterationIS3_Lb1EPKhPhPS5_SB_mNS0_19identity_decomposerENS1_16block_id_wrapperIjLb1EEEEE10hipError_tT1_PNSt15iterator_traitsISG_E10value_typeET2_T3_PNSH_ISM_E10value_typeET4_T5_PSR_SS_PNS1_23onesweep_lookback_stateEbbT6_jjT7_P12ihipStream_tbENKUlT_T0_SG_SL_E_clIS9_SA_SB_SB_EEDaSZ_S10_SG_SL_EUlSZ_E_NS1_11comp_targetILNS1_3genE2ELNS1_11target_archE906ELNS1_3gpuE6ELNS1_3repE0EEENS1_47radix_sort_onesweep_sort_config_static_selectorELNS0_4arch9wavefront6targetE0EEEvSG_,"axG",@progbits,_ZN7rocprim17ROCPRIM_400000_NS6detail17trampoline_kernelINS0_14default_configENS1_35radix_sort_onesweep_config_selectorIhNS0_10empty_typeEEEZZNS1_29radix_sort_onesweep_iterationIS3_Lb1EPKhPhPS5_SB_mNS0_19identity_decomposerENS1_16block_id_wrapperIjLb1EEEEE10hipError_tT1_PNSt15iterator_traitsISG_E10value_typeET2_T3_PNSH_ISM_E10value_typeET4_T5_PSR_SS_PNS1_23onesweep_lookback_stateEbbT6_jjT7_P12ihipStream_tbENKUlT_T0_SG_SL_E_clIS9_SA_SB_SB_EEDaSZ_S10_SG_SL_EUlSZ_E_NS1_11comp_targetILNS1_3genE2ELNS1_11target_archE906ELNS1_3gpuE6ELNS1_3repE0EEENS1_47radix_sort_onesweep_sort_config_static_selectorELNS0_4arch9wavefront6targetE0EEEvSG_,comdat
	.protected	_ZN7rocprim17ROCPRIM_400000_NS6detail17trampoline_kernelINS0_14default_configENS1_35radix_sort_onesweep_config_selectorIhNS0_10empty_typeEEEZZNS1_29radix_sort_onesweep_iterationIS3_Lb1EPKhPhPS5_SB_mNS0_19identity_decomposerENS1_16block_id_wrapperIjLb1EEEEE10hipError_tT1_PNSt15iterator_traitsISG_E10value_typeET2_T3_PNSH_ISM_E10value_typeET4_T5_PSR_SS_PNS1_23onesweep_lookback_stateEbbT6_jjT7_P12ihipStream_tbENKUlT_T0_SG_SL_E_clIS9_SA_SB_SB_EEDaSZ_S10_SG_SL_EUlSZ_E_NS1_11comp_targetILNS1_3genE2ELNS1_11target_archE906ELNS1_3gpuE6ELNS1_3repE0EEENS1_47radix_sort_onesweep_sort_config_static_selectorELNS0_4arch9wavefront6targetE0EEEvSG_ ; -- Begin function _ZN7rocprim17ROCPRIM_400000_NS6detail17trampoline_kernelINS0_14default_configENS1_35radix_sort_onesweep_config_selectorIhNS0_10empty_typeEEEZZNS1_29radix_sort_onesweep_iterationIS3_Lb1EPKhPhPS5_SB_mNS0_19identity_decomposerENS1_16block_id_wrapperIjLb1EEEEE10hipError_tT1_PNSt15iterator_traitsISG_E10value_typeET2_T3_PNSH_ISM_E10value_typeET4_T5_PSR_SS_PNS1_23onesweep_lookback_stateEbbT6_jjT7_P12ihipStream_tbENKUlT_T0_SG_SL_E_clIS9_SA_SB_SB_EEDaSZ_S10_SG_SL_EUlSZ_E_NS1_11comp_targetILNS1_3genE2ELNS1_11target_archE906ELNS1_3gpuE6ELNS1_3repE0EEENS1_47radix_sort_onesweep_sort_config_static_selectorELNS0_4arch9wavefront6targetE0EEEvSG_
	.globl	_ZN7rocprim17ROCPRIM_400000_NS6detail17trampoline_kernelINS0_14default_configENS1_35radix_sort_onesweep_config_selectorIhNS0_10empty_typeEEEZZNS1_29radix_sort_onesweep_iterationIS3_Lb1EPKhPhPS5_SB_mNS0_19identity_decomposerENS1_16block_id_wrapperIjLb1EEEEE10hipError_tT1_PNSt15iterator_traitsISG_E10value_typeET2_T3_PNSH_ISM_E10value_typeET4_T5_PSR_SS_PNS1_23onesweep_lookback_stateEbbT6_jjT7_P12ihipStream_tbENKUlT_T0_SG_SL_E_clIS9_SA_SB_SB_EEDaSZ_S10_SG_SL_EUlSZ_E_NS1_11comp_targetILNS1_3genE2ELNS1_11target_archE906ELNS1_3gpuE6ELNS1_3repE0EEENS1_47radix_sort_onesweep_sort_config_static_selectorELNS0_4arch9wavefront6targetE0EEEvSG_
	.p2align	8
	.type	_ZN7rocprim17ROCPRIM_400000_NS6detail17trampoline_kernelINS0_14default_configENS1_35radix_sort_onesweep_config_selectorIhNS0_10empty_typeEEEZZNS1_29radix_sort_onesweep_iterationIS3_Lb1EPKhPhPS5_SB_mNS0_19identity_decomposerENS1_16block_id_wrapperIjLb1EEEEE10hipError_tT1_PNSt15iterator_traitsISG_E10value_typeET2_T3_PNSH_ISM_E10value_typeET4_T5_PSR_SS_PNS1_23onesweep_lookback_stateEbbT6_jjT7_P12ihipStream_tbENKUlT_T0_SG_SL_E_clIS9_SA_SB_SB_EEDaSZ_S10_SG_SL_EUlSZ_E_NS1_11comp_targetILNS1_3genE2ELNS1_11target_archE906ELNS1_3gpuE6ELNS1_3repE0EEENS1_47radix_sort_onesweep_sort_config_static_selectorELNS0_4arch9wavefront6targetE0EEEvSG_,@function
_ZN7rocprim17ROCPRIM_400000_NS6detail17trampoline_kernelINS0_14default_configENS1_35radix_sort_onesweep_config_selectorIhNS0_10empty_typeEEEZZNS1_29radix_sort_onesweep_iterationIS3_Lb1EPKhPhPS5_SB_mNS0_19identity_decomposerENS1_16block_id_wrapperIjLb1EEEEE10hipError_tT1_PNSt15iterator_traitsISG_E10value_typeET2_T3_PNSH_ISM_E10value_typeET4_T5_PSR_SS_PNS1_23onesweep_lookback_stateEbbT6_jjT7_P12ihipStream_tbENKUlT_T0_SG_SL_E_clIS9_SA_SB_SB_EEDaSZ_S10_SG_SL_EUlSZ_E_NS1_11comp_targetILNS1_3genE2ELNS1_11target_archE906ELNS1_3gpuE6ELNS1_3repE0EEENS1_47radix_sort_onesweep_sort_config_static_selectorELNS0_4arch9wavefront6targetE0EEEvSG_: ; @_ZN7rocprim17ROCPRIM_400000_NS6detail17trampoline_kernelINS0_14default_configENS1_35radix_sort_onesweep_config_selectorIhNS0_10empty_typeEEEZZNS1_29radix_sort_onesweep_iterationIS3_Lb1EPKhPhPS5_SB_mNS0_19identity_decomposerENS1_16block_id_wrapperIjLb1EEEEE10hipError_tT1_PNSt15iterator_traitsISG_E10value_typeET2_T3_PNSH_ISM_E10value_typeET4_T5_PSR_SS_PNS1_23onesweep_lookback_stateEbbT6_jjT7_P12ihipStream_tbENKUlT_T0_SG_SL_E_clIS9_SA_SB_SB_EEDaSZ_S10_SG_SL_EUlSZ_E_NS1_11comp_targetILNS1_3genE2ELNS1_11target_archE906ELNS1_3gpuE6ELNS1_3repE0EEENS1_47radix_sort_onesweep_sort_config_static_selectorELNS0_4arch9wavefront6targetE0EEEvSG_
; %bb.0:
	.section	.rodata,"a",@progbits
	.p2align	6, 0x0
	.amdhsa_kernel _ZN7rocprim17ROCPRIM_400000_NS6detail17trampoline_kernelINS0_14default_configENS1_35radix_sort_onesweep_config_selectorIhNS0_10empty_typeEEEZZNS1_29radix_sort_onesweep_iterationIS3_Lb1EPKhPhPS5_SB_mNS0_19identity_decomposerENS1_16block_id_wrapperIjLb1EEEEE10hipError_tT1_PNSt15iterator_traitsISG_E10value_typeET2_T3_PNSH_ISM_E10value_typeET4_T5_PSR_SS_PNS1_23onesweep_lookback_stateEbbT6_jjT7_P12ihipStream_tbENKUlT_T0_SG_SL_E_clIS9_SA_SB_SB_EEDaSZ_S10_SG_SL_EUlSZ_E_NS1_11comp_targetILNS1_3genE2ELNS1_11target_archE906ELNS1_3gpuE6ELNS1_3repE0EEENS1_47radix_sort_onesweep_sort_config_static_selectorELNS0_4arch9wavefront6targetE0EEEvSG_
		.amdhsa_group_segment_fixed_size 0
		.amdhsa_private_segment_fixed_size 0
		.amdhsa_kernarg_size 88
		.amdhsa_user_sgpr_count 2
		.amdhsa_user_sgpr_dispatch_ptr 0
		.amdhsa_user_sgpr_queue_ptr 0
		.amdhsa_user_sgpr_kernarg_segment_ptr 1
		.amdhsa_user_sgpr_dispatch_id 0
		.amdhsa_user_sgpr_kernarg_preload_length 0
		.amdhsa_user_sgpr_kernarg_preload_offset 0
		.amdhsa_user_sgpr_private_segment_size 0
		.amdhsa_wavefront_size32 1
		.amdhsa_uses_dynamic_stack 0
		.amdhsa_enable_private_segment 0
		.amdhsa_system_sgpr_workgroup_id_x 1
		.amdhsa_system_sgpr_workgroup_id_y 0
		.amdhsa_system_sgpr_workgroup_id_z 0
		.amdhsa_system_sgpr_workgroup_info 0
		.amdhsa_system_vgpr_workitem_id 0
		.amdhsa_next_free_vgpr 1
		.amdhsa_next_free_sgpr 1
		.amdhsa_named_barrier_count 0
		.amdhsa_reserve_vcc 0
		.amdhsa_float_round_mode_32 0
		.amdhsa_float_round_mode_16_64 0
		.amdhsa_float_denorm_mode_32 3
		.amdhsa_float_denorm_mode_16_64 3
		.amdhsa_fp16_overflow 0
		.amdhsa_memory_ordered 1
		.amdhsa_forward_progress 1
		.amdhsa_inst_pref_size 0
		.amdhsa_round_robin_scheduling 0
		.amdhsa_exception_fp_ieee_invalid_op 0
		.amdhsa_exception_fp_denorm_src 0
		.amdhsa_exception_fp_ieee_div_zero 0
		.amdhsa_exception_fp_ieee_overflow 0
		.amdhsa_exception_fp_ieee_underflow 0
		.amdhsa_exception_fp_ieee_inexact 0
		.amdhsa_exception_int_div_zero 0
	.end_amdhsa_kernel
	.section	.text._ZN7rocprim17ROCPRIM_400000_NS6detail17trampoline_kernelINS0_14default_configENS1_35radix_sort_onesweep_config_selectorIhNS0_10empty_typeEEEZZNS1_29radix_sort_onesweep_iterationIS3_Lb1EPKhPhPS5_SB_mNS0_19identity_decomposerENS1_16block_id_wrapperIjLb1EEEEE10hipError_tT1_PNSt15iterator_traitsISG_E10value_typeET2_T3_PNSH_ISM_E10value_typeET4_T5_PSR_SS_PNS1_23onesweep_lookback_stateEbbT6_jjT7_P12ihipStream_tbENKUlT_T0_SG_SL_E_clIS9_SA_SB_SB_EEDaSZ_S10_SG_SL_EUlSZ_E_NS1_11comp_targetILNS1_3genE2ELNS1_11target_archE906ELNS1_3gpuE6ELNS1_3repE0EEENS1_47radix_sort_onesweep_sort_config_static_selectorELNS0_4arch9wavefront6targetE0EEEvSG_,"axG",@progbits,_ZN7rocprim17ROCPRIM_400000_NS6detail17trampoline_kernelINS0_14default_configENS1_35radix_sort_onesweep_config_selectorIhNS0_10empty_typeEEEZZNS1_29radix_sort_onesweep_iterationIS3_Lb1EPKhPhPS5_SB_mNS0_19identity_decomposerENS1_16block_id_wrapperIjLb1EEEEE10hipError_tT1_PNSt15iterator_traitsISG_E10value_typeET2_T3_PNSH_ISM_E10value_typeET4_T5_PSR_SS_PNS1_23onesweep_lookback_stateEbbT6_jjT7_P12ihipStream_tbENKUlT_T0_SG_SL_E_clIS9_SA_SB_SB_EEDaSZ_S10_SG_SL_EUlSZ_E_NS1_11comp_targetILNS1_3genE2ELNS1_11target_archE906ELNS1_3gpuE6ELNS1_3repE0EEENS1_47radix_sort_onesweep_sort_config_static_selectorELNS0_4arch9wavefront6targetE0EEEvSG_,comdat
.Lfunc_end111:
	.size	_ZN7rocprim17ROCPRIM_400000_NS6detail17trampoline_kernelINS0_14default_configENS1_35radix_sort_onesweep_config_selectorIhNS0_10empty_typeEEEZZNS1_29radix_sort_onesweep_iterationIS3_Lb1EPKhPhPS5_SB_mNS0_19identity_decomposerENS1_16block_id_wrapperIjLb1EEEEE10hipError_tT1_PNSt15iterator_traitsISG_E10value_typeET2_T3_PNSH_ISM_E10value_typeET4_T5_PSR_SS_PNS1_23onesweep_lookback_stateEbbT6_jjT7_P12ihipStream_tbENKUlT_T0_SG_SL_E_clIS9_SA_SB_SB_EEDaSZ_S10_SG_SL_EUlSZ_E_NS1_11comp_targetILNS1_3genE2ELNS1_11target_archE906ELNS1_3gpuE6ELNS1_3repE0EEENS1_47radix_sort_onesweep_sort_config_static_selectorELNS0_4arch9wavefront6targetE0EEEvSG_, .Lfunc_end111-_ZN7rocprim17ROCPRIM_400000_NS6detail17trampoline_kernelINS0_14default_configENS1_35radix_sort_onesweep_config_selectorIhNS0_10empty_typeEEEZZNS1_29radix_sort_onesweep_iterationIS3_Lb1EPKhPhPS5_SB_mNS0_19identity_decomposerENS1_16block_id_wrapperIjLb1EEEEE10hipError_tT1_PNSt15iterator_traitsISG_E10value_typeET2_T3_PNSH_ISM_E10value_typeET4_T5_PSR_SS_PNS1_23onesweep_lookback_stateEbbT6_jjT7_P12ihipStream_tbENKUlT_T0_SG_SL_E_clIS9_SA_SB_SB_EEDaSZ_S10_SG_SL_EUlSZ_E_NS1_11comp_targetILNS1_3genE2ELNS1_11target_archE906ELNS1_3gpuE6ELNS1_3repE0EEENS1_47radix_sort_onesweep_sort_config_static_selectorELNS0_4arch9wavefront6targetE0EEEvSG_
                                        ; -- End function
	.set _ZN7rocprim17ROCPRIM_400000_NS6detail17trampoline_kernelINS0_14default_configENS1_35radix_sort_onesweep_config_selectorIhNS0_10empty_typeEEEZZNS1_29radix_sort_onesweep_iterationIS3_Lb1EPKhPhPS5_SB_mNS0_19identity_decomposerENS1_16block_id_wrapperIjLb1EEEEE10hipError_tT1_PNSt15iterator_traitsISG_E10value_typeET2_T3_PNSH_ISM_E10value_typeET4_T5_PSR_SS_PNS1_23onesweep_lookback_stateEbbT6_jjT7_P12ihipStream_tbENKUlT_T0_SG_SL_E_clIS9_SA_SB_SB_EEDaSZ_S10_SG_SL_EUlSZ_E_NS1_11comp_targetILNS1_3genE2ELNS1_11target_archE906ELNS1_3gpuE6ELNS1_3repE0EEENS1_47radix_sort_onesweep_sort_config_static_selectorELNS0_4arch9wavefront6targetE0EEEvSG_.num_vgpr, 0
	.set _ZN7rocprim17ROCPRIM_400000_NS6detail17trampoline_kernelINS0_14default_configENS1_35radix_sort_onesweep_config_selectorIhNS0_10empty_typeEEEZZNS1_29radix_sort_onesweep_iterationIS3_Lb1EPKhPhPS5_SB_mNS0_19identity_decomposerENS1_16block_id_wrapperIjLb1EEEEE10hipError_tT1_PNSt15iterator_traitsISG_E10value_typeET2_T3_PNSH_ISM_E10value_typeET4_T5_PSR_SS_PNS1_23onesweep_lookback_stateEbbT6_jjT7_P12ihipStream_tbENKUlT_T0_SG_SL_E_clIS9_SA_SB_SB_EEDaSZ_S10_SG_SL_EUlSZ_E_NS1_11comp_targetILNS1_3genE2ELNS1_11target_archE906ELNS1_3gpuE6ELNS1_3repE0EEENS1_47radix_sort_onesweep_sort_config_static_selectorELNS0_4arch9wavefront6targetE0EEEvSG_.num_agpr, 0
	.set _ZN7rocprim17ROCPRIM_400000_NS6detail17trampoline_kernelINS0_14default_configENS1_35radix_sort_onesweep_config_selectorIhNS0_10empty_typeEEEZZNS1_29radix_sort_onesweep_iterationIS3_Lb1EPKhPhPS5_SB_mNS0_19identity_decomposerENS1_16block_id_wrapperIjLb1EEEEE10hipError_tT1_PNSt15iterator_traitsISG_E10value_typeET2_T3_PNSH_ISM_E10value_typeET4_T5_PSR_SS_PNS1_23onesweep_lookback_stateEbbT6_jjT7_P12ihipStream_tbENKUlT_T0_SG_SL_E_clIS9_SA_SB_SB_EEDaSZ_S10_SG_SL_EUlSZ_E_NS1_11comp_targetILNS1_3genE2ELNS1_11target_archE906ELNS1_3gpuE6ELNS1_3repE0EEENS1_47radix_sort_onesweep_sort_config_static_selectorELNS0_4arch9wavefront6targetE0EEEvSG_.numbered_sgpr, 0
	.set _ZN7rocprim17ROCPRIM_400000_NS6detail17trampoline_kernelINS0_14default_configENS1_35radix_sort_onesweep_config_selectorIhNS0_10empty_typeEEEZZNS1_29radix_sort_onesweep_iterationIS3_Lb1EPKhPhPS5_SB_mNS0_19identity_decomposerENS1_16block_id_wrapperIjLb1EEEEE10hipError_tT1_PNSt15iterator_traitsISG_E10value_typeET2_T3_PNSH_ISM_E10value_typeET4_T5_PSR_SS_PNS1_23onesweep_lookback_stateEbbT6_jjT7_P12ihipStream_tbENKUlT_T0_SG_SL_E_clIS9_SA_SB_SB_EEDaSZ_S10_SG_SL_EUlSZ_E_NS1_11comp_targetILNS1_3genE2ELNS1_11target_archE906ELNS1_3gpuE6ELNS1_3repE0EEENS1_47radix_sort_onesweep_sort_config_static_selectorELNS0_4arch9wavefront6targetE0EEEvSG_.num_named_barrier, 0
	.set _ZN7rocprim17ROCPRIM_400000_NS6detail17trampoline_kernelINS0_14default_configENS1_35radix_sort_onesweep_config_selectorIhNS0_10empty_typeEEEZZNS1_29radix_sort_onesweep_iterationIS3_Lb1EPKhPhPS5_SB_mNS0_19identity_decomposerENS1_16block_id_wrapperIjLb1EEEEE10hipError_tT1_PNSt15iterator_traitsISG_E10value_typeET2_T3_PNSH_ISM_E10value_typeET4_T5_PSR_SS_PNS1_23onesweep_lookback_stateEbbT6_jjT7_P12ihipStream_tbENKUlT_T0_SG_SL_E_clIS9_SA_SB_SB_EEDaSZ_S10_SG_SL_EUlSZ_E_NS1_11comp_targetILNS1_3genE2ELNS1_11target_archE906ELNS1_3gpuE6ELNS1_3repE0EEENS1_47radix_sort_onesweep_sort_config_static_selectorELNS0_4arch9wavefront6targetE0EEEvSG_.private_seg_size, 0
	.set _ZN7rocprim17ROCPRIM_400000_NS6detail17trampoline_kernelINS0_14default_configENS1_35radix_sort_onesweep_config_selectorIhNS0_10empty_typeEEEZZNS1_29radix_sort_onesweep_iterationIS3_Lb1EPKhPhPS5_SB_mNS0_19identity_decomposerENS1_16block_id_wrapperIjLb1EEEEE10hipError_tT1_PNSt15iterator_traitsISG_E10value_typeET2_T3_PNSH_ISM_E10value_typeET4_T5_PSR_SS_PNS1_23onesweep_lookback_stateEbbT6_jjT7_P12ihipStream_tbENKUlT_T0_SG_SL_E_clIS9_SA_SB_SB_EEDaSZ_S10_SG_SL_EUlSZ_E_NS1_11comp_targetILNS1_3genE2ELNS1_11target_archE906ELNS1_3gpuE6ELNS1_3repE0EEENS1_47radix_sort_onesweep_sort_config_static_selectorELNS0_4arch9wavefront6targetE0EEEvSG_.uses_vcc, 0
	.set _ZN7rocprim17ROCPRIM_400000_NS6detail17trampoline_kernelINS0_14default_configENS1_35radix_sort_onesweep_config_selectorIhNS0_10empty_typeEEEZZNS1_29radix_sort_onesweep_iterationIS3_Lb1EPKhPhPS5_SB_mNS0_19identity_decomposerENS1_16block_id_wrapperIjLb1EEEEE10hipError_tT1_PNSt15iterator_traitsISG_E10value_typeET2_T3_PNSH_ISM_E10value_typeET4_T5_PSR_SS_PNS1_23onesweep_lookback_stateEbbT6_jjT7_P12ihipStream_tbENKUlT_T0_SG_SL_E_clIS9_SA_SB_SB_EEDaSZ_S10_SG_SL_EUlSZ_E_NS1_11comp_targetILNS1_3genE2ELNS1_11target_archE906ELNS1_3gpuE6ELNS1_3repE0EEENS1_47radix_sort_onesweep_sort_config_static_selectorELNS0_4arch9wavefront6targetE0EEEvSG_.uses_flat_scratch, 0
	.set _ZN7rocprim17ROCPRIM_400000_NS6detail17trampoline_kernelINS0_14default_configENS1_35radix_sort_onesweep_config_selectorIhNS0_10empty_typeEEEZZNS1_29radix_sort_onesweep_iterationIS3_Lb1EPKhPhPS5_SB_mNS0_19identity_decomposerENS1_16block_id_wrapperIjLb1EEEEE10hipError_tT1_PNSt15iterator_traitsISG_E10value_typeET2_T3_PNSH_ISM_E10value_typeET4_T5_PSR_SS_PNS1_23onesweep_lookback_stateEbbT6_jjT7_P12ihipStream_tbENKUlT_T0_SG_SL_E_clIS9_SA_SB_SB_EEDaSZ_S10_SG_SL_EUlSZ_E_NS1_11comp_targetILNS1_3genE2ELNS1_11target_archE906ELNS1_3gpuE6ELNS1_3repE0EEENS1_47radix_sort_onesweep_sort_config_static_selectorELNS0_4arch9wavefront6targetE0EEEvSG_.has_dyn_sized_stack, 0
	.set _ZN7rocprim17ROCPRIM_400000_NS6detail17trampoline_kernelINS0_14default_configENS1_35radix_sort_onesweep_config_selectorIhNS0_10empty_typeEEEZZNS1_29radix_sort_onesweep_iterationIS3_Lb1EPKhPhPS5_SB_mNS0_19identity_decomposerENS1_16block_id_wrapperIjLb1EEEEE10hipError_tT1_PNSt15iterator_traitsISG_E10value_typeET2_T3_PNSH_ISM_E10value_typeET4_T5_PSR_SS_PNS1_23onesweep_lookback_stateEbbT6_jjT7_P12ihipStream_tbENKUlT_T0_SG_SL_E_clIS9_SA_SB_SB_EEDaSZ_S10_SG_SL_EUlSZ_E_NS1_11comp_targetILNS1_3genE2ELNS1_11target_archE906ELNS1_3gpuE6ELNS1_3repE0EEENS1_47radix_sort_onesweep_sort_config_static_selectorELNS0_4arch9wavefront6targetE0EEEvSG_.has_recursion, 0
	.set _ZN7rocprim17ROCPRIM_400000_NS6detail17trampoline_kernelINS0_14default_configENS1_35radix_sort_onesweep_config_selectorIhNS0_10empty_typeEEEZZNS1_29radix_sort_onesweep_iterationIS3_Lb1EPKhPhPS5_SB_mNS0_19identity_decomposerENS1_16block_id_wrapperIjLb1EEEEE10hipError_tT1_PNSt15iterator_traitsISG_E10value_typeET2_T3_PNSH_ISM_E10value_typeET4_T5_PSR_SS_PNS1_23onesweep_lookback_stateEbbT6_jjT7_P12ihipStream_tbENKUlT_T0_SG_SL_E_clIS9_SA_SB_SB_EEDaSZ_S10_SG_SL_EUlSZ_E_NS1_11comp_targetILNS1_3genE2ELNS1_11target_archE906ELNS1_3gpuE6ELNS1_3repE0EEENS1_47radix_sort_onesweep_sort_config_static_selectorELNS0_4arch9wavefront6targetE0EEEvSG_.has_indirect_call, 0
	.section	.AMDGPU.csdata,"",@progbits
; Kernel info:
; codeLenInByte = 0
; TotalNumSgprs: 0
; NumVgprs: 0
; ScratchSize: 0
; MemoryBound: 0
; FloatMode: 240
; IeeeMode: 1
; LDSByteSize: 0 bytes/workgroup (compile time only)
; SGPRBlocks: 0
; VGPRBlocks: 0
; NumSGPRsForWavesPerEU: 1
; NumVGPRsForWavesPerEU: 1
; NamedBarCnt: 0
; Occupancy: 16
; WaveLimiterHint : 0
; COMPUTE_PGM_RSRC2:SCRATCH_EN: 0
; COMPUTE_PGM_RSRC2:USER_SGPR: 2
; COMPUTE_PGM_RSRC2:TRAP_HANDLER: 0
; COMPUTE_PGM_RSRC2:TGID_X_EN: 1
; COMPUTE_PGM_RSRC2:TGID_Y_EN: 0
; COMPUTE_PGM_RSRC2:TGID_Z_EN: 0
; COMPUTE_PGM_RSRC2:TIDIG_COMP_CNT: 0
	.section	.text._ZN7rocprim17ROCPRIM_400000_NS6detail17trampoline_kernelINS0_14default_configENS1_35radix_sort_onesweep_config_selectorIhNS0_10empty_typeEEEZZNS1_29radix_sort_onesweep_iterationIS3_Lb1EPKhPhPS5_SB_mNS0_19identity_decomposerENS1_16block_id_wrapperIjLb1EEEEE10hipError_tT1_PNSt15iterator_traitsISG_E10value_typeET2_T3_PNSH_ISM_E10value_typeET4_T5_PSR_SS_PNS1_23onesweep_lookback_stateEbbT6_jjT7_P12ihipStream_tbENKUlT_T0_SG_SL_E_clIS9_SA_SB_SB_EEDaSZ_S10_SG_SL_EUlSZ_E_NS1_11comp_targetILNS1_3genE4ELNS1_11target_archE910ELNS1_3gpuE8ELNS1_3repE0EEENS1_47radix_sort_onesweep_sort_config_static_selectorELNS0_4arch9wavefront6targetE0EEEvSG_,"axG",@progbits,_ZN7rocprim17ROCPRIM_400000_NS6detail17trampoline_kernelINS0_14default_configENS1_35radix_sort_onesweep_config_selectorIhNS0_10empty_typeEEEZZNS1_29radix_sort_onesweep_iterationIS3_Lb1EPKhPhPS5_SB_mNS0_19identity_decomposerENS1_16block_id_wrapperIjLb1EEEEE10hipError_tT1_PNSt15iterator_traitsISG_E10value_typeET2_T3_PNSH_ISM_E10value_typeET4_T5_PSR_SS_PNS1_23onesweep_lookback_stateEbbT6_jjT7_P12ihipStream_tbENKUlT_T0_SG_SL_E_clIS9_SA_SB_SB_EEDaSZ_S10_SG_SL_EUlSZ_E_NS1_11comp_targetILNS1_3genE4ELNS1_11target_archE910ELNS1_3gpuE8ELNS1_3repE0EEENS1_47radix_sort_onesweep_sort_config_static_selectorELNS0_4arch9wavefront6targetE0EEEvSG_,comdat
	.protected	_ZN7rocprim17ROCPRIM_400000_NS6detail17trampoline_kernelINS0_14default_configENS1_35radix_sort_onesweep_config_selectorIhNS0_10empty_typeEEEZZNS1_29radix_sort_onesweep_iterationIS3_Lb1EPKhPhPS5_SB_mNS0_19identity_decomposerENS1_16block_id_wrapperIjLb1EEEEE10hipError_tT1_PNSt15iterator_traitsISG_E10value_typeET2_T3_PNSH_ISM_E10value_typeET4_T5_PSR_SS_PNS1_23onesweep_lookback_stateEbbT6_jjT7_P12ihipStream_tbENKUlT_T0_SG_SL_E_clIS9_SA_SB_SB_EEDaSZ_S10_SG_SL_EUlSZ_E_NS1_11comp_targetILNS1_3genE4ELNS1_11target_archE910ELNS1_3gpuE8ELNS1_3repE0EEENS1_47radix_sort_onesweep_sort_config_static_selectorELNS0_4arch9wavefront6targetE0EEEvSG_ ; -- Begin function _ZN7rocprim17ROCPRIM_400000_NS6detail17trampoline_kernelINS0_14default_configENS1_35radix_sort_onesweep_config_selectorIhNS0_10empty_typeEEEZZNS1_29radix_sort_onesweep_iterationIS3_Lb1EPKhPhPS5_SB_mNS0_19identity_decomposerENS1_16block_id_wrapperIjLb1EEEEE10hipError_tT1_PNSt15iterator_traitsISG_E10value_typeET2_T3_PNSH_ISM_E10value_typeET4_T5_PSR_SS_PNS1_23onesweep_lookback_stateEbbT6_jjT7_P12ihipStream_tbENKUlT_T0_SG_SL_E_clIS9_SA_SB_SB_EEDaSZ_S10_SG_SL_EUlSZ_E_NS1_11comp_targetILNS1_3genE4ELNS1_11target_archE910ELNS1_3gpuE8ELNS1_3repE0EEENS1_47radix_sort_onesweep_sort_config_static_selectorELNS0_4arch9wavefront6targetE0EEEvSG_
	.globl	_ZN7rocprim17ROCPRIM_400000_NS6detail17trampoline_kernelINS0_14default_configENS1_35radix_sort_onesweep_config_selectorIhNS0_10empty_typeEEEZZNS1_29radix_sort_onesweep_iterationIS3_Lb1EPKhPhPS5_SB_mNS0_19identity_decomposerENS1_16block_id_wrapperIjLb1EEEEE10hipError_tT1_PNSt15iterator_traitsISG_E10value_typeET2_T3_PNSH_ISM_E10value_typeET4_T5_PSR_SS_PNS1_23onesweep_lookback_stateEbbT6_jjT7_P12ihipStream_tbENKUlT_T0_SG_SL_E_clIS9_SA_SB_SB_EEDaSZ_S10_SG_SL_EUlSZ_E_NS1_11comp_targetILNS1_3genE4ELNS1_11target_archE910ELNS1_3gpuE8ELNS1_3repE0EEENS1_47radix_sort_onesweep_sort_config_static_selectorELNS0_4arch9wavefront6targetE0EEEvSG_
	.p2align	8
	.type	_ZN7rocprim17ROCPRIM_400000_NS6detail17trampoline_kernelINS0_14default_configENS1_35radix_sort_onesweep_config_selectorIhNS0_10empty_typeEEEZZNS1_29radix_sort_onesweep_iterationIS3_Lb1EPKhPhPS5_SB_mNS0_19identity_decomposerENS1_16block_id_wrapperIjLb1EEEEE10hipError_tT1_PNSt15iterator_traitsISG_E10value_typeET2_T3_PNSH_ISM_E10value_typeET4_T5_PSR_SS_PNS1_23onesweep_lookback_stateEbbT6_jjT7_P12ihipStream_tbENKUlT_T0_SG_SL_E_clIS9_SA_SB_SB_EEDaSZ_S10_SG_SL_EUlSZ_E_NS1_11comp_targetILNS1_3genE4ELNS1_11target_archE910ELNS1_3gpuE8ELNS1_3repE0EEENS1_47radix_sort_onesweep_sort_config_static_selectorELNS0_4arch9wavefront6targetE0EEEvSG_,@function
_ZN7rocprim17ROCPRIM_400000_NS6detail17trampoline_kernelINS0_14default_configENS1_35radix_sort_onesweep_config_selectorIhNS0_10empty_typeEEEZZNS1_29radix_sort_onesweep_iterationIS3_Lb1EPKhPhPS5_SB_mNS0_19identity_decomposerENS1_16block_id_wrapperIjLb1EEEEE10hipError_tT1_PNSt15iterator_traitsISG_E10value_typeET2_T3_PNSH_ISM_E10value_typeET4_T5_PSR_SS_PNS1_23onesweep_lookback_stateEbbT6_jjT7_P12ihipStream_tbENKUlT_T0_SG_SL_E_clIS9_SA_SB_SB_EEDaSZ_S10_SG_SL_EUlSZ_E_NS1_11comp_targetILNS1_3genE4ELNS1_11target_archE910ELNS1_3gpuE8ELNS1_3repE0EEENS1_47radix_sort_onesweep_sort_config_static_selectorELNS0_4arch9wavefront6targetE0EEEvSG_: ; @_ZN7rocprim17ROCPRIM_400000_NS6detail17trampoline_kernelINS0_14default_configENS1_35radix_sort_onesweep_config_selectorIhNS0_10empty_typeEEEZZNS1_29radix_sort_onesweep_iterationIS3_Lb1EPKhPhPS5_SB_mNS0_19identity_decomposerENS1_16block_id_wrapperIjLb1EEEEE10hipError_tT1_PNSt15iterator_traitsISG_E10value_typeET2_T3_PNSH_ISM_E10value_typeET4_T5_PSR_SS_PNS1_23onesweep_lookback_stateEbbT6_jjT7_P12ihipStream_tbENKUlT_T0_SG_SL_E_clIS9_SA_SB_SB_EEDaSZ_S10_SG_SL_EUlSZ_E_NS1_11comp_targetILNS1_3genE4ELNS1_11target_archE910ELNS1_3gpuE8ELNS1_3repE0EEENS1_47radix_sort_onesweep_sort_config_static_selectorELNS0_4arch9wavefront6targetE0EEEvSG_
; %bb.0:
	.section	.rodata,"a",@progbits
	.p2align	6, 0x0
	.amdhsa_kernel _ZN7rocprim17ROCPRIM_400000_NS6detail17trampoline_kernelINS0_14default_configENS1_35radix_sort_onesweep_config_selectorIhNS0_10empty_typeEEEZZNS1_29radix_sort_onesweep_iterationIS3_Lb1EPKhPhPS5_SB_mNS0_19identity_decomposerENS1_16block_id_wrapperIjLb1EEEEE10hipError_tT1_PNSt15iterator_traitsISG_E10value_typeET2_T3_PNSH_ISM_E10value_typeET4_T5_PSR_SS_PNS1_23onesweep_lookback_stateEbbT6_jjT7_P12ihipStream_tbENKUlT_T0_SG_SL_E_clIS9_SA_SB_SB_EEDaSZ_S10_SG_SL_EUlSZ_E_NS1_11comp_targetILNS1_3genE4ELNS1_11target_archE910ELNS1_3gpuE8ELNS1_3repE0EEENS1_47radix_sort_onesweep_sort_config_static_selectorELNS0_4arch9wavefront6targetE0EEEvSG_
		.amdhsa_group_segment_fixed_size 0
		.amdhsa_private_segment_fixed_size 0
		.amdhsa_kernarg_size 88
		.amdhsa_user_sgpr_count 2
		.amdhsa_user_sgpr_dispatch_ptr 0
		.amdhsa_user_sgpr_queue_ptr 0
		.amdhsa_user_sgpr_kernarg_segment_ptr 1
		.amdhsa_user_sgpr_dispatch_id 0
		.amdhsa_user_sgpr_kernarg_preload_length 0
		.amdhsa_user_sgpr_kernarg_preload_offset 0
		.amdhsa_user_sgpr_private_segment_size 0
		.amdhsa_wavefront_size32 1
		.amdhsa_uses_dynamic_stack 0
		.amdhsa_enable_private_segment 0
		.amdhsa_system_sgpr_workgroup_id_x 1
		.amdhsa_system_sgpr_workgroup_id_y 0
		.amdhsa_system_sgpr_workgroup_id_z 0
		.amdhsa_system_sgpr_workgroup_info 0
		.amdhsa_system_vgpr_workitem_id 0
		.amdhsa_next_free_vgpr 1
		.amdhsa_next_free_sgpr 1
		.amdhsa_named_barrier_count 0
		.amdhsa_reserve_vcc 0
		.amdhsa_float_round_mode_32 0
		.amdhsa_float_round_mode_16_64 0
		.amdhsa_float_denorm_mode_32 3
		.amdhsa_float_denorm_mode_16_64 3
		.amdhsa_fp16_overflow 0
		.amdhsa_memory_ordered 1
		.amdhsa_forward_progress 1
		.amdhsa_inst_pref_size 0
		.amdhsa_round_robin_scheduling 0
		.amdhsa_exception_fp_ieee_invalid_op 0
		.amdhsa_exception_fp_denorm_src 0
		.amdhsa_exception_fp_ieee_div_zero 0
		.amdhsa_exception_fp_ieee_overflow 0
		.amdhsa_exception_fp_ieee_underflow 0
		.amdhsa_exception_fp_ieee_inexact 0
		.amdhsa_exception_int_div_zero 0
	.end_amdhsa_kernel
	.section	.text._ZN7rocprim17ROCPRIM_400000_NS6detail17trampoline_kernelINS0_14default_configENS1_35radix_sort_onesweep_config_selectorIhNS0_10empty_typeEEEZZNS1_29radix_sort_onesweep_iterationIS3_Lb1EPKhPhPS5_SB_mNS0_19identity_decomposerENS1_16block_id_wrapperIjLb1EEEEE10hipError_tT1_PNSt15iterator_traitsISG_E10value_typeET2_T3_PNSH_ISM_E10value_typeET4_T5_PSR_SS_PNS1_23onesweep_lookback_stateEbbT6_jjT7_P12ihipStream_tbENKUlT_T0_SG_SL_E_clIS9_SA_SB_SB_EEDaSZ_S10_SG_SL_EUlSZ_E_NS1_11comp_targetILNS1_3genE4ELNS1_11target_archE910ELNS1_3gpuE8ELNS1_3repE0EEENS1_47radix_sort_onesweep_sort_config_static_selectorELNS0_4arch9wavefront6targetE0EEEvSG_,"axG",@progbits,_ZN7rocprim17ROCPRIM_400000_NS6detail17trampoline_kernelINS0_14default_configENS1_35radix_sort_onesweep_config_selectorIhNS0_10empty_typeEEEZZNS1_29radix_sort_onesweep_iterationIS3_Lb1EPKhPhPS5_SB_mNS0_19identity_decomposerENS1_16block_id_wrapperIjLb1EEEEE10hipError_tT1_PNSt15iterator_traitsISG_E10value_typeET2_T3_PNSH_ISM_E10value_typeET4_T5_PSR_SS_PNS1_23onesweep_lookback_stateEbbT6_jjT7_P12ihipStream_tbENKUlT_T0_SG_SL_E_clIS9_SA_SB_SB_EEDaSZ_S10_SG_SL_EUlSZ_E_NS1_11comp_targetILNS1_3genE4ELNS1_11target_archE910ELNS1_3gpuE8ELNS1_3repE0EEENS1_47radix_sort_onesweep_sort_config_static_selectorELNS0_4arch9wavefront6targetE0EEEvSG_,comdat
.Lfunc_end112:
	.size	_ZN7rocprim17ROCPRIM_400000_NS6detail17trampoline_kernelINS0_14default_configENS1_35radix_sort_onesweep_config_selectorIhNS0_10empty_typeEEEZZNS1_29radix_sort_onesweep_iterationIS3_Lb1EPKhPhPS5_SB_mNS0_19identity_decomposerENS1_16block_id_wrapperIjLb1EEEEE10hipError_tT1_PNSt15iterator_traitsISG_E10value_typeET2_T3_PNSH_ISM_E10value_typeET4_T5_PSR_SS_PNS1_23onesweep_lookback_stateEbbT6_jjT7_P12ihipStream_tbENKUlT_T0_SG_SL_E_clIS9_SA_SB_SB_EEDaSZ_S10_SG_SL_EUlSZ_E_NS1_11comp_targetILNS1_3genE4ELNS1_11target_archE910ELNS1_3gpuE8ELNS1_3repE0EEENS1_47radix_sort_onesweep_sort_config_static_selectorELNS0_4arch9wavefront6targetE0EEEvSG_, .Lfunc_end112-_ZN7rocprim17ROCPRIM_400000_NS6detail17trampoline_kernelINS0_14default_configENS1_35radix_sort_onesweep_config_selectorIhNS0_10empty_typeEEEZZNS1_29radix_sort_onesweep_iterationIS3_Lb1EPKhPhPS5_SB_mNS0_19identity_decomposerENS1_16block_id_wrapperIjLb1EEEEE10hipError_tT1_PNSt15iterator_traitsISG_E10value_typeET2_T3_PNSH_ISM_E10value_typeET4_T5_PSR_SS_PNS1_23onesweep_lookback_stateEbbT6_jjT7_P12ihipStream_tbENKUlT_T0_SG_SL_E_clIS9_SA_SB_SB_EEDaSZ_S10_SG_SL_EUlSZ_E_NS1_11comp_targetILNS1_3genE4ELNS1_11target_archE910ELNS1_3gpuE8ELNS1_3repE0EEENS1_47radix_sort_onesweep_sort_config_static_selectorELNS0_4arch9wavefront6targetE0EEEvSG_
                                        ; -- End function
	.set _ZN7rocprim17ROCPRIM_400000_NS6detail17trampoline_kernelINS0_14default_configENS1_35radix_sort_onesweep_config_selectorIhNS0_10empty_typeEEEZZNS1_29radix_sort_onesweep_iterationIS3_Lb1EPKhPhPS5_SB_mNS0_19identity_decomposerENS1_16block_id_wrapperIjLb1EEEEE10hipError_tT1_PNSt15iterator_traitsISG_E10value_typeET2_T3_PNSH_ISM_E10value_typeET4_T5_PSR_SS_PNS1_23onesweep_lookback_stateEbbT6_jjT7_P12ihipStream_tbENKUlT_T0_SG_SL_E_clIS9_SA_SB_SB_EEDaSZ_S10_SG_SL_EUlSZ_E_NS1_11comp_targetILNS1_3genE4ELNS1_11target_archE910ELNS1_3gpuE8ELNS1_3repE0EEENS1_47radix_sort_onesweep_sort_config_static_selectorELNS0_4arch9wavefront6targetE0EEEvSG_.num_vgpr, 0
	.set _ZN7rocprim17ROCPRIM_400000_NS6detail17trampoline_kernelINS0_14default_configENS1_35radix_sort_onesweep_config_selectorIhNS0_10empty_typeEEEZZNS1_29radix_sort_onesweep_iterationIS3_Lb1EPKhPhPS5_SB_mNS0_19identity_decomposerENS1_16block_id_wrapperIjLb1EEEEE10hipError_tT1_PNSt15iterator_traitsISG_E10value_typeET2_T3_PNSH_ISM_E10value_typeET4_T5_PSR_SS_PNS1_23onesweep_lookback_stateEbbT6_jjT7_P12ihipStream_tbENKUlT_T0_SG_SL_E_clIS9_SA_SB_SB_EEDaSZ_S10_SG_SL_EUlSZ_E_NS1_11comp_targetILNS1_3genE4ELNS1_11target_archE910ELNS1_3gpuE8ELNS1_3repE0EEENS1_47radix_sort_onesweep_sort_config_static_selectorELNS0_4arch9wavefront6targetE0EEEvSG_.num_agpr, 0
	.set _ZN7rocprim17ROCPRIM_400000_NS6detail17trampoline_kernelINS0_14default_configENS1_35radix_sort_onesweep_config_selectorIhNS0_10empty_typeEEEZZNS1_29radix_sort_onesweep_iterationIS3_Lb1EPKhPhPS5_SB_mNS0_19identity_decomposerENS1_16block_id_wrapperIjLb1EEEEE10hipError_tT1_PNSt15iterator_traitsISG_E10value_typeET2_T3_PNSH_ISM_E10value_typeET4_T5_PSR_SS_PNS1_23onesweep_lookback_stateEbbT6_jjT7_P12ihipStream_tbENKUlT_T0_SG_SL_E_clIS9_SA_SB_SB_EEDaSZ_S10_SG_SL_EUlSZ_E_NS1_11comp_targetILNS1_3genE4ELNS1_11target_archE910ELNS1_3gpuE8ELNS1_3repE0EEENS1_47radix_sort_onesweep_sort_config_static_selectorELNS0_4arch9wavefront6targetE0EEEvSG_.numbered_sgpr, 0
	.set _ZN7rocprim17ROCPRIM_400000_NS6detail17trampoline_kernelINS0_14default_configENS1_35radix_sort_onesweep_config_selectorIhNS0_10empty_typeEEEZZNS1_29radix_sort_onesweep_iterationIS3_Lb1EPKhPhPS5_SB_mNS0_19identity_decomposerENS1_16block_id_wrapperIjLb1EEEEE10hipError_tT1_PNSt15iterator_traitsISG_E10value_typeET2_T3_PNSH_ISM_E10value_typeET4_T5_PSR_SS_PNS1_23onesweep_lookback_stateEbbT6_jjT7_P12ihipStream_tbENKUlT_T0_SG_SL_E_clIS9_SA_SB_SB_EEDaSZ_S10_SG_SL_EUlSZ_E_NS1_11comp_targetILNS1_3genE4ELNS1_11target_archE910ELNS1_3gpuE8ELNS1_3repE0EEENS1_47radix_sort_onesweep_sort_config_static_selectorELNS0_4arch9wavefront6targetE0EEEvSG_.num_named_barrier, 0
	.set _ZN7rocprim17ROCPRIM_400000_NS6detail17trampoline_kernelINS0_14default_configENS1_35radix_sort_onesweep_config_selectorIhNS0_10empty_typeEEEZZNS1_29radix_sort_onesweep_iterationIS3_Lb1EPKhPhPS5_SB_mNS0_19identity_decomposerENS1_16block_id_wrapperIjLb1EEEEE10hipError_tT1_PNSt15iterator_traitsISG_E10value_typeET2_T3_PNSH_ISM_E10value_typeET4_T5_PSR_SS_PNS1_23onesweep_lookback_stateEbbT6_jjT7_P12ihipStream_tbENKUlT_T0_SG_SL_E_clIS9_SA_SB_SB_EEDaSZ_S10_SG_SL_EUlSZ_E_NS1_11comp_targetILNS1_3genE4ELNS1_11target_archE910ELNS1_3gpuE8ELNS1_3repE0EEENS1_47radix_sort_onesweep_sort_config_static_selectorELNS0_4arch9wavefront6targetE0EEEvSG_.private_seg_size, 0
	.set _ZN7rocprim17ROCPRIM_400000_NS6detail17trampoline_kernelINS0_14default_configENS1_35radix_sort_onesweep_config_selectorIhNS0_10empty_typeEEEZZNS1_29radix_sort_onesweep_iterationIS3_Lb1EPKhPhPS5_SB_mNS0_19identity_decomposerENS1_16block_id_wrapperIjLb1EEEEE10hipError_tT1_PNSt15iterator_traitsISG_E10value_typeET2_T3_PNSH_ISM_E10value_typeET4_T5_PSR_SS_PNS1_23onesweep_lookback_stateEbbT6_jjT7_P12ihipStream_tbENKUlT_T0_SG_SL_E_clIS9_SA_SB_SB_EEDaSZ_S10_SG_SL_EUlSZ_E_NS1_11comp_targetILNS1_3genE4ELNS1_11target_archE910ELNS1_3gpuE8ELNS1_3repE0EEENS1_47radix_sort_onesweep_sort_config_static_selectorELNS0_4arch9wavefront6targetE0EEEvSG_.uses_vcc, 0
	.set _ZN7rocprim17ROCPRIM_400000_NS6detail17trampoline_kernelINS0_14default_configENS1_35radix_sort_onesweep_config_selectorIhNS0_10empty_typeEEEZZNS1_29radix_sort_onesweep_iterationIS3_Lb1EPKhPhPS5_SB_mNS0_19identity_decomposerENS1_16block_id_wrapperIjLb1EEEEE10hipError_tT1_PNSt15iterator_traitsISG_E10value_typeET2_T3_PNSH_ISM_E10value_typeET4_T5_PSR_SS_PNS1_23onesweep_lookback_stateEbbT6_jjT7_P12ihipStream_tbENKUlT_T0_SG_SL_E_clIS9_SA_SB_SB_EEDaSZ_S10_SG_SL_EUlSZ_E_NS1_11comp_targetILNS1_3genE4ELNS1_11target_archE910ELNS1_3gpuE8ELNS1_3repE0EEENS1_47radix_sort_onesweep_sort_config_static_selectorELNS0_4arch9wavefront6targetE0EEEvSG_.uses_flat_scratch, 0
	.set _ZN7rocprim17ROCPRIM_400000_NS6detail17trampoline_kernelINS0_14default_configENS1_35radix_sort_onesweep_config_selectorIhNS0_10empty_typeEEEZZNS1_29radix_sort_onesweep_iterationIS3_Lb1EPKhPhPS5_SB_mNS0_19identity_decomposerENS1_16block_id_wrapperIjLb1EEEEE10hipError_tT1_PNSt15iterator_traitsISG_E10value_typeET2_T3_PNSH_ISM_E10value_typeET4_T5_PSR_SS_PNS1_23onesweep_lookback_stateEbbT6_jjT7_P12ihipStream_tbENKUlT_T0_SG_SL_E_clIS9_SA_SB_SB_EEDaSZ_S10_SG_SL_EUlSZ_E_NS1_11comp_targetILNS1_3genE4ELNS1_11target_archE910ELNS1_3gpuE8ELNS1_3repE0EEENS1_47radix_sort_onesweep_sort_config_static_selectorELNS0_4arch9wavefront6targetE0EEEvSG_.has_dyn_sized_stack, 0
	.set _ZN7rocprim17ROCPRIM_400000_NS6detail17trampoline_kernelINS0_14default_configENS1_35radix_sort_onesweep_config_selectorIhNS0_10empty_typeEEEZZNS1_29radix_sort_onesweep_iterationIS3_Lb1EPKhPhPS5_SB_mNS0_19identity_decomposerENS1_16block_id_wrapperIjLb1EEEEE10hipError_tT1_PNSt15iterator_traitsISG_E10value_typeET2_T3_PNSH_ISM_E10value_typeET4_T5_PSR_SS_PNS1_23onesweep_lookback_stateEbbT6_jjT7_P12ihipStream_tbENKUlT_T0_SG_SL_E_clIS9_SA_SB_SB_EEDaSZ_S10_SG_SL_EUlSZ_E_NS1_11comp_targetILNS1_3genE4ELNS1_11target_archE910ELNS1_3gpuE8ELNS1_3repE0EEENS1_47radix_sort_onesweep_sort_config_static_selectorELNS0_4arch9wavefront6targetE0EEEvSG_.has_recursion, 0
	.set _ZN7rocprim17ROCPRIM_400000_NS6detail17trampoline_kernelINS0_14default_configENS1_35radix_sort_onesweep_config_selectorIhNS0_10empty_typeEEEZZNS1_29radix_sort_onesweep_iterationIS3_Lb1EPKhPhPS5_SB_mNS0_19identity_decomposerENS1_16block_id_wrapperIjLb1EEEEE10hipError_tT1_PNSt15iterator_traitsISG_E10value_typeET2_T3_PNSH_ISM_E10value_typeET4_T5_PSR_SS_PNS1_23onesweep_lookback_stateEbbT6_jjT7_P12ihipStream_tbENKUlT_T0_SG_SL_E_clIS9_SA_SB_SB_EEDaSZ_S10_SG_SL_EUlSZ_E_NS1_11comp_targetILNS1_3genE4ELNS1_11target_archE910ELNS1_3gpuE8ELNS1_3repE0EEENS1_47radix_sort_onesweep_sort_config_static_selectorELNS0_4arch9wavefront6targetE0EEEvSG_.has_indirect_call, 0
	.section	.AMDGPU.csdata,"",@progbits
; Kernel info:
; codeLenInByte = 0
; TotalNumSgprs: 0
; NumVgprs: 0
; ScratchSize: 0
; MemoryBound: 0
; FloatMode: 240
; IeeeMode: 1
; LDSByteSize: 0 bytes/workgroup (compile time only)
; SGPRBlocks: 0
; VGPRBlocks: 0
; NumSGPRsForWavesPerEU: 1
; NumVGPRsForWavesPerEU: 1
; NamedBarCnt: 0
; Occupancy: 16
; WaveLimiterHint : 0
; COMPUTE_PGM_RSRC2:SCRATCH_EN: 0
; COMPUTE_PGM_RSRC2:USER_SGPR: 2
; COMPUTE_PGM_RSRC2:TRAP_HANDLER: 0
; COMPUTE_PGM_RSRC2:TGID_X_EN: 1
; COMPUTE_PGM_RSRC2:TGID_Y_EN: 0
; COMPUTE_PGM_RSRC2:TGID_Z_EN: 0
; COMPUTE_PGM_RSRC2:TIDIG_COMP_CNT: 0
	.section	.text._ZN7rocprim17ROCPRIM_400000_NS6detail17trampoline_kernelINS0_14default_configENS1_35radix_sort_onesweep_config_selectorIhNS0_10empty_typeEEEZZNS1_29radix_sort_onesweep_iterationIS3_Lb1EPKhPhPS5_SB_mNS0_19identity_decomposerENS1_16block_id_wrapperIjLb1EEEEE10hipError_tT1_PNSt15iterator_traitsISG_E10value_typeET2_T3_PNSH_ISM_E10value_typeET4_T5_PSR_SS_PNS1_23onesweep_lookback_stateEbbT6_jjT7_P12ihipStream_tbENKUlT_T0_SG_SL_E_clIS9_SA_SB_SB_EEDaSZ_S10_SG_SL_EUlSZ_E_NS1_11comp_targetILNS1_3genE3ELNS1_11target_archE908ELNS1_3gpuE7ELNS1_3repE0EEENS1_47radix_sort_onesweep_sort_config_static_selectorELNS0_4arch9wavefront6targetE0EEEvSG_,"axG",@progbits,_ZN7rocprim17ROCPRIM_400000_NS6detail17trampoline_kernelINS0_14default_configENS1_35radix_sort_onesweep_config_selectorIhNS0_10empty_typeEEEZZNS1_29radix_sort_onesweep_iterationIS3_Lb1EPKhPhPS5_SB_mNS0_19identity_decomposerENS1_16block_id_wrapperIjLb1EEEEE10hipError_tT1_PNSt15iterator_traitsISG_E10value_typeET2_T3_PNSH_ISM_E10value_typeET4_T5_PSR_SS_PNS1_23onesweep_lookback_stateEbbT6_jjT7_P12ihipStream_tbENKUlT_T0_SG_SL_E_clIS9_SA_SB_SB_EEDaSZ_S10_SG_SL_EUlSZ_E_NS1_11comp_targetILNS1_3genE3ELNS1_11target_archE908ELNS1_3gpuE7ELNS1_3repE0EEENS1_47radix_sort_onesweep_sort_config_static_selectorELNS0_4arch9wavefront6targetE0EEEvSG_,comdat
	.protected	_ZN7rocprim17ROCPRIM_400000_NS6detail17trampoline_kernelINS0_14default_configENS1_35radix_sort_onesweep_config_selectorIhNS0_10empty_typeEEEZZNS1_29radix_sort_onesweep_iterationIS3_Lb1EPKhPhPS5_SB_mNS0_19identity_decomposerENS1_16block_id_wrapperIjLb1EEEEE10hipError_tT1_PNSt15iterator_traitsISG_E10value_typeET2_T3_PNSH_ISM_E10value_typeET4_T5_PSR_SS_PNS1_23onesweep_lookback_stateEbbT6_jjT7_P12ihipStream_tbENKUlT_T0_SG_SL_E_clIS9_SA_SB_SB_EEDaSZ_S10_SG_SL_EUlSZ_E_NS1_11comp_targetILNS1_3genE3ELNS1_11target_archE908ELNS1_3gpuE7ELNS1_3repE0EEENS1_47radix_sort_onesweep_sort_config_static_selectorELNS0_4arch9wavefront6targetE0EEEvSG_ ; -- Begin function _ZN7rocprim17ROCPRIM_400000_NS6detail17trampoline_kernelINS0_14default_configENS1_35radix_sort_onesweep_config_selectorIhNS0_10empty_typeEEEZZNS1_29radix_sort_onesweep_iterationIS3_Lb1EPKhPhPS5_SB_mNS0_19identity_decomposerENS1_16block_id_wrapperIjLb1EEEEE10hipError_tT1_PNSt15iterator_traitsISG_E10value_typeET2_T3_PNSH_ISM_E10value_typeET4_T5_PSR_SS_PNS1_23onesweep_lookback_stateEbbT6_jjT7_P12ihipStream_tbENKUlT_T0_SG_SL_E_clIS9_SA_SB_SB_EEDaSZ_S10_SG_SL_EUlSZ_E_NS1_11comp_targetILNS1_3genE3ELNS1_11target_archE908ELNS1_3gpuE7ELNS1_3repE0EEENS1_47radix_sort_onesweep_sort_config_static_selectorELNS0_4arch9wavefront6targetE0EEEvSG_
	.globl	_ZN7rocprim17ROCPRIM_400000_NS6detail17trampoline_kernelINS0_14default_configENS1_35radix_sort_onesweep_config_selectorIhNS0_10empty_typeEEEZZNS1_29radix_sort_onesweep_iterationIS3_Lb1EPKhPhPS5_SB_mNS0_19identity_decomposerENS1_16block_id_wrapperIjLb1EEEEE10hipError_tT1_PNSt15iterator_traitsISG_E10value_typeET2_T3_PNSH_ISM_E10value_typeET4_T5_PSR_SS_PNS1_23onesweep_lookback_stateEbbT6_jjT7_P12ihipStream_tbENKUlT_T0_SG_SL_E_clIS9_SA_SB_SB_EEDaSZ_S10_SG_SL_EUlSZ_E_NS1_11comp_targetILNS1_3genE3ELNS1_11target_archE908ELNS1_3gpuE7ELNS1_3repE0EEENS1_47radix_sort_onesweep_sort_config_static_selectorELNS0_4arch9wavefront6targetE0EEEvSG_
	.p2align	8
	.type	_ZN7rocprim17ROCPRIM_400000_NS6detail17trampoline_kernelINS0_14default_configENS1_35radix_sort_onesweep_config_selectorIhNS0_10empty_typeEEEZZNS1_29radix_sort_onesweep_iterationIS3_Lb1EPKhPhPS5_SB_mNS0_19identity_decomposerENS1_16block_id_wrapperIjLb1EEEEE10hipError_tT1_PNSt15iterator_traitsISG_E10value_typeET2_T3_PNSH_ISM_E10value_typeET4_T5_PSR_SS_PNS1_23onesweep_lookback_stateEbbT6_jjT7_P12ihipStream_tbENKUlT_T0_SG_SL_E_clIS9_SA_SB_SB_EEDaSZ_S10_SG_SL_EUlSZ_E_NS1_11comp_targetILNS1_3genE3ELNS1_11target_archE908ELNS1_3gpuE7ELNS1_3repE0EEENS1_47radix_sort_onesweep_sort_config_static_selectorELNS0_4arch9wavefront6targetE0EEEvSG_,@function
_ZN7rocprim17ROCPRIM_400000_NS6detail17trampoline_kernelINS0_14default_configENS1_35radix_sort_onesweep_config_selectorIhNS0_10empty_typeEEEZZNS1_29radix_sort_onesweep_iterationIS3_Lb1EPKhPhPS5_SB_mNS0_19identity_decomposerENS1_16block_id_wrapperIjLb1EEEEE10hipError_tT1_PNSt15iterator_traitsISG_E10value_typeET2_T3_PNSH_ISM_E10value_typeET4_T5_PSR_SS_PNS1_23onesweep_lookback_stateEbbT6_jjT7_P12ihipStream_tbENKUlT_T0_SG_SL_E_clIS9_SA_SB_SB_EEDaSZ_S10_SG_SL_EUlSZ_E_NS1_11comp_targetILNS1_3genE3ELNS1_11target_archE908ELNS1_3gpuE7ELNS1_3repE0EEENS1_47radix_sort_onesweep_sort_config_static_selectorELNS0_4arch9wavefront6targetE0EEEvSG_: ; @_ZN7rocprim17ROCPRIM_400000_NS6detail17trampoline_kernelINS0_14default_configENS1_35radix_sort_onesweep_config_selectorIhNS0_10empty_typeEEEZZNS1_29radix_sort_onesweep_iterationIS3_Lb1EPKhPhPS5_SB_mNS0_19identity_decomposerENS1_16block_id_wrapperIjLb1EEEEE10hipError_tT1_PNSt15iterator_traitsISG_E10value_typeET2_T3_PNSH_ISM_E10value_typeET4_T5_PSR_SS_PNS1_23onesweep_lookback_stateEbbT6_jjT7_P12ihipStream_tbENKUlT_T0_SG_SL_E_clIS9_SA_SB_SB_EEDaSZ_S10_SG_SL_EUlSZ_E_NS1_11comp_targetILNS1_3genE3ELNS1_11target_archE908ELNS1_3gpuE7ELNS1_3repE0EEENS1_47radix_sort_onesweep_sort_config_static_selectorELNS0_4arch9wavefront6targetE0EEEvSG_
; %bb.0:
	.section	.rodata,"a",@progbits
	.p2align	6, 0x0
	.amdhsa_kernel _ZN7rocprim17ROCPRIM_400000_NS6detail17trampoline_kernelINS0_14default_configENS1_35radix_sort_onesweep_config_selectorIhNS0_10empty_typeEEEZZNS1_29radix_sort_onesweep_iterationIS3_Lb1EPKhPhPS5_SB_mNS0_19identity_decomposerENS1_16block_id_wrapperIjLb1EEEEE10hipError_tT1_PNSt15iterator_traitsISG_E10value_typeET2_T3_PNSH_ISM_E10value_typeET4_T5_PSR_SS_PNS1_23onesweep_lookback_stateEbbT6_jjT7_P12ihipStream_tbENKUlT_T0_SG_SL_E_clIS9_SA_SB_SB_EEDaSZ_S10_SG_SL_EUlSZ_E_NS1_11comp_targetILNS1_3genE3ELNS1_11target_archE908ELNS1_3gpuE7ELNS1_3repE0EEENS1_47radix_sort_onesweep_sort_config_static_selectorELNS0_4arch9wavefront6targetE0EEEvSG_
		.amdhsa_group_segment_fixed_size 0
		.amdhsa_private_segment_fixed_size 0
		.amdhsa_kernarg_size 88
		.amdhsa_user_sgpr_count 2
		.amdhsa_user_sgpr_dispatch_ptr 0
		.amdhsa_user_sgpr_queue_ptr 0
		.amdhsa_user_sgpr_kernarg_segment_ptr 1
		.amdhsa_user_sgpr_dispatch_id 0
		.amdhsa_user_sgpr_kernarg_preload_length 0
		.amdhsa_user_sgpr_kernarg_preload_offset 0
		.amdhsa_user_sgpr_private_segment_size 0
		.amdhsa_wavefront_size32 1
		.amdhsa_uses_dynamic_stack 0
		.amdhsa_enable_private_segment 0
		.amdhsa_system_sgpr_workgroup_id_x 1
		.amdhsa_system_sgpr_workgroup_id_y 0
		.amdhsa_system_sgpr_workgroup_id_z 0
		.amdhsa_system_sgpr_workgroup_info 0
		.amdhsa_system_vgpr_workitem_id 0
		.amdhsa_next_free_vgpr 1
		.amdhsa_next_free_sgpr 1
		.amdhsa_named_barrier_count 0
		.amdhsa_reserve_vcc 0
		.amdhsa_float_round_mode_32 0
		.amdhsa_float_round_mode_16_64 0
		.amdhsa_float_denorm_mode_32 3
		.amdhsa_float_denorm_mode_16_64 3
		.amdhsa_fp16_overflow 0
		.amdhsa_memory_ordered 1
		.amdhsa_forward_progress 1
		.amdhsa_inst_pref_size 0
		.amdhsa_round_robin_scheduling 0
		.amdhsa_exception_fp_ieee_invalid_op 0
		.amdhsa_exception_fp_denorm_src 0
		.amdhsa_exception_fp_ieee_div_zero 0
		.amdhsa_exception_fp_ieee_overflow 0
		.amdhsa_exception_fp_ieee_underflow 0
		.amdhsa_exception_fp_ieee_inexact 0
		.amdhsa_exception_int_div_zero 0
	.end_amdhsa_kernel
	.section	.text._ZN7rocprim17ROCPRIM_400000_NS6detail17trampoline_kernelINS0_14default_configENS1_35radix_sort_onesweep_config_selectorIhNS0_10empty_typeEEEZZNS1_29radix_sort_onesweep_iterationIS3_Lb1EPKhPhPS5_SB_mNS0_19identity_decomposerENS1_16block_id_wrapperIjLb1EEEEE10hipError_tT1_PNSt15iterator_traitsISG_E10value_typeET2_T3_PNSH_ISM_E10value_typeET4_T5_PSR_SS_PNS1_23onesweep_lookback_stateEbbT6_jjT7_P12ihipStream_tbENKUlT_T0_SG_SL_E_clIS9_SA_SB_SB_EEDaSZ_S10_SG_SL_EUlSZ_E_NS1_11comp_targetILNS1_3genE3ELNS1_11target_archE908ELNS1_3gpuE7ELNS1_3repE0EEENS1_47radix_sort_onesweep_sort_config_static_selectorELNS0_4arch9wavefront6targetE0EEEvSG_,"axG",@progbits,_ZN7rocprim17ROCPRIM_400000_NS6detail17trampoline_kernelINS0_14default_configENS1_35radix_sort_onesweep_config_selectorIhNS0_10empty_typeEEEZZNS1_29radix_sort_onesweep_iterationIS3_Lb1EPKhPhPS5_SB_mNS0_19identity_decomposerENS1_16block_id_wrapperIjLb1EEEEE10hipError_tT1_PNSt15iterator_traitsISG_E10value_typeET2_T3_PNSH_ISM_E10value_typeET4_T5_PSR_SS_PNS1_23onesweep_lookback_stateEbbT6_jjT7_P12ihipStream_tbENKUlT_T0_SG_SL_E_clIS9_SA_SB_SB_EEDaSZ_S10_SG_SL_EUlSZ_E_NS1_11comp_targetILNS1_3genE3ELNS1_11target_archE908ELNS1_3gpuE7ELNS1_3repE0EEENS1_47radix_sort_onesweep_sort_config_static_selectorELNS0_4arch9wavefront6targetE0EEEvSG_,comdat
.Lfunc_end113:
	.size	_ZN7rocprim17ROCPRIM_400000_NS6detail17trampoline_kernelINS0_14default_configENS1_35radix_sort_onesweep_config_selectorIhNS0_10empty_typeEEEZZNS1_29radix_sort_onesweep_iterationIS3_Lb1EPKhPhPS5_SB_mNS0_19identity_decomposerENS1_16block_id_wrapperIjLb1EEEEE10hipError_tT1_PNSt15iterator_traitsISG_E10value_typeET2_T3_PNSH_ISM_E10value_typeET4_T5_PSR_SS_PNS1_23onesweep_lookback_stateEbbT6_jjT7_P12ihipStream_tbENKUlT_T0_SG_SL_E_clIS9_SA_SB_SB_EEDaSZ_S10_SG_SL_EUlSZ_E_NS1_11comp_targetILNS1_3genE3ELNS1_11target_archE908ELNS1_3gpuE7ELNS1_3repE0EEENS1_47radix_sort_onesweep_sort_config_static_selectorELNS0_4arch9wavefront6targetE0EEEvSG_, .Lfunc_end113-_ZN7rocprim17ROCPRIM_400000_NS6detail17trampoline_kernelINS0_14default_configENS1_35radix_sort_onesweep_config_selectorIhNS0_10empty_typeEEEZZNS1_29radix_sort_onesweep_iterationIS3_Lb1EPKhPhPS5_SB_mNS0_19identity_decomposerENS1_16block_id_wrapperIjLb1EEEEE10hipError_tT1_PNSt15iterator_traitsISG_E10value_typeET2_T3_PNSH_ISM_E10value_typeET4_T5_PSR_SS_PNS1_23onesweep_lookback_stateEbbT6_jjT7_P12ihipStream_tbENKUlT_T0_SG_SL_E_clIS9_SA_SB_SB_EEDaSZ_S10_SG_SL_EUlSZ_E_NS1_11comp_targetILNS1_3genE3ELNS1_11target_archE908ELNS1_3gpuE7ELNS1_3repE0EEENS1_47radix_sort_onesweep_sort_config_static_selectorELNS0_4arch9wavefront6targetE0EEEvSG_
                                        ; -- End function
	.set _ZN7rocprim17ROCPRIM_400000_NS6detail17trampoline_kernelINS0_14default_configENS1_35radix_sort_onesweep_config_selectorIhNS0_10empty_typeEEEZZNS1_29radix_sort_onesweep_iterationIS3_Lb1EPKhPhPS5_SB_mNS0_19identity_decomposerENS1_16block_id_wrapperIjLb1EEEEE10hipError_tT1_PNSt15iterator_traitsISG_E10value_typeET2_T3_PNSH_ISM_E10value_typeET4_T5_PSR_SS_PNS1_23onesweep_lookback_stateEbbT6_jjT7_P12ihipStream_tbENKUlT_T0_SG_SL_E_clIS9_SA_SB_SB_EEDaSZ_S10_SG_SL_EUlSZ_E_NS1_11comp_targetILNS1_3genE3ELNS1_11target_archE908ELNS1_3gpuE7ELNS1_3repE0EEENS1_47radix_sort_onesweep_sort_config_static_selectorELNS0_4arch9wavefront6targetE0EEEvSG_.num_vgpr, 0
	.set _ZN7rocprim17ROCPRIM_400000_NS6detail17trampoline_kernelINS0_14default_configENS1_35radix_sort_onesweep_config_selectorIhNS0_10empty_typeEEEZZNS1_29radix_sort_onesweep_iterationIS3_Lb1EPKhPhPS5_SB_mNS0_19identity_decomposerENS1_16block_id_wrapperIjLb1EEEEE10hipError_tT1_PNSt15iterator_traitsISG_E10value_typeET2_T3_PNSH_ISM_E10value_typeET4_T5_PSR_SS_PNS1_23onesweep_lookback_stateEbbT6_jjT7_P12ihipStream_tbENKUlT_T0_SG_SL_E_clIS9_SA_SB_SB_EEDaSZ_S10_SG_SL_EUlSZ_E_NS1_11comp_targetILNS1_3genE3ELNS1_11target_archE908ELNS1_3gpuE7ELNS1_3repE0EEENS1_47radix_sort_onesweep_sort_config_static_selectorELNS0_4arch9wavefront6targetE0EEEvSG_.num_agpr, 0
	.set _ZN7rocprim17ROCPRIM_400000_NS6detail17trampoline_kernelINS0_14default_configENS1_35radix_sort_onesweep_config_selectorIhNS0_10empty_typeEEEZZNS1_29radix_sort_onesweep_iterationIS3_Lb1EPKhPhPS5_SB_mNS0_19identity_decomposerENS1_16block_id_wrapperIjLb1EEEEE10hipError_tT1_PNSt15iterator_traitsISG_E10value_typeET2_T3_PNSH_ISM_E10value_typeET4_T5_PSR_SS_PNS1_23onesweep_lookback_stateEbbT6_jjT7_P12ihipStream_tbENKUlT_T0_SG_SL_E_clIS9_SA_SB_SB_EEDaSZ_S10_SG_SL_EUlSZ_E_NS1_11comp_targetILNS1_3genE3ELNS1_11target_archE908ELNS1_3gpuE7ELNS1_3repE0EEENS1_47radix_sort_onesweep_sort_config_static_selectorELNS0_4arch9wavefront6targetE0EEEvSG_.numbered_sgpr, 0
	.set _ZN7rocprim17ROCPRIM_400000_NS6detail17trampoline_kernelINS0_14default_configENS1_35radix_sort_onesweep_config_selectorIhNS0_10empty_typeEEEZZNS1_29radix_sort_onesweep_iterationIS3_Lb1EPKhPhPS5_SB_mNS0_19identity_decomposerENS1_16block_id_wrapperIjLb1EEEEE10hipError_tT1_PNSt15iterator_traitsISG_E10value_typeET2_T3_PNSH_ISM_E10value_typeET4_T5_PSR_SS_PNS1_23onesweep_lookback_stateEbbT6_jjT7_P12ihipStream_tbENKUlT_T0_SG_SL_E_clIS9_SA_SB_SB_EEDaSZ_S10_SG_SL_EUlSZ_E_NS1_11comp_targetILNS1_3genE3ELNS1_11target_archE908ELNS1_3gpuE7ELNS1_3repE0EEENS1_47radix_sort_onesweep_sort_config_static_selectorELNS0_4arch9wavefront6targetE0EEEvSG_.num_named_barrier, 0
	.set _ZN7rocprim17ROCPRIM_400000_NS6detail17trampoline_kernelINS0_14default_configENS1_35radix_sort_onesweep_config_selectorIhNS0_10empty_typeEEEZZNS1_29radix_sort_onesweep_iterationIS3_Lb1EPKhPhPS5_SB_mNS0_19identity_decomposerENS1_16block_id_wrapperIjLb1EEEEE10hipError_tT1_PNSt15iterator_traitsISG_E10value_typeET2_T3_PNSH_ISM_E10value_typeET4_T5_PSR_SS_PNS1_23onesweep_lookback_stateEbbT6_jjT7_P12ihipStream_tbENKUlT_T0_SG_SL_E_clIS9_SA_SB_SB_EEDaSZ_S10_SG_SL_EUlSZ_E_NS1_11comp_targetILNS1_3genE3ELNS1_11target_archE908ELNS1_3gpuE7ELNS1_3repE0EEENS1_47radix_sort_onesweep_sort_config_static_selectorELNS0_4arch9wavefront6targetE0EEEvSG_.private_seg_size, 0
	.set _ZN7rocprim17ROCPRIM_400000_NS6detail17trampoline_kernelINS0_14default_configENS1_35radix_sort_onesweep_config_selectorIhNS0_10empty_typeEEEZZNS1_29radix_sort_onesweep_iterationIS3_Lb1EPKhPhPS5_SB_mNS0_19identity_decomposerENS1_16block_id_wrapperIjLb1EEEEE10hipError_tT1_PNSt15iterator_traitsISG_E10value_typeET2_T3_PNSH_ISM_E10value_typeET4_T5_PSR_SS_PNS1_23onesweep_lookback_stateEbbT6_jjT7_P12ihipStream_tbENKUlT_T0_SG_SL_E_clIS9_SA_SB_SB_EEDaSZ_S10_SG_SL_EUlSZ_E_NS1_11comp_targetILNS1_3genE3ELNS1_11target_archE908ELNS1_3gpuE7ELNS1_3repE0EEENS1_47radix_sort_onesweep_sort_config_static_selectorELNS0_4arch9wavefront6targetE0EEEvSG_.uses_vcc, 0
	.set _ZN7rocprim17ROCPRIM_400000_NS6detail17trampoline_kernelINS0_14default_configENS1_35radix_sort_onesweep_config_selectorIhNS0_10empty_typeEEEZZNS1_29radix_sort_onesweep_iterationIS3_Lb1EPKhPhPS5_SB_mNS0_19identity_decomposerENS1_16block_id_wrapperIjLb1EEEEE10hipError_tT1_PNSt15iterator_traitsISG_E10value_typeET2_T3_PNSH_ISM_E10value_typeET4_T5_PSR_SS_PNS1_23onesweep_lookback_stateEbbT6_jjT7_P12ihipStream_tbENKUlT_T0_SG_SL_E_clIS9_SA_SB_SB_EEDaSZ_S10_SG_SL_EUlSZ_E_NS1_11comp_targetILNS1_3genE3ELNS1_11target_archE908ELNS1_3gpuE7ELNS1_3repE0EEENS1_47radix_sort_onesweep_sort_config_static_selectorELNS0_4arch9wavefront6targetE0EEEvSG_.uses_flat_scratch, 0
	.set _ZN7rocprim17ROCPRIM_400000_NS6detail17trampoline_kernelINS0_14default_configENS1_35radix_sort_onesweep_config_selectorIhNS0_10empty_typeEEEZZNS1_29radix_sort_onesweep_iterationIS3_Lb1EPKhPhPS5_SB_mNS0_19identity_decomposerENS1_16block_id_wrapperIjLb1EEEEE10hipError_tT1_PNSt15iterator_traitsISG_E10value_typeET2_T3_PNSH_ISM_E10value_typeET4_T5_PSR_SS_PNS1_23onesweep_lookback_stateEbbT6_jjT7_P12ihipStream_tbENKUlT_T0_SG_SL_E_clIS9_SA_SB_SB_EEDaSZ_S10_SG_SL_EUlSZ_E_NS1_11comp_targetILNS1_3genE3ELNS1_11target_archE908ELNS1_3gpuE7ELNS1_3repE0EEENS1_47radix_sort_onesweep_sort_config_static_selectorELNS0_4arch9wavefront6targetE0EEEvSG_.has_dyn_sized_stack, 0
	.set _ZN7rocprim17ROCPRIM_400000_NS6detail17trampoline_kernelINS0_14default_configENS1_35radix_sort_onesweep_config_selectorIhNS0_10empty_typeEEEZZNS1_29radix_sort_onesweep_iterationIS3_Lb1EPKhPhPS5_SB_mNS0_19identity_decomposerENS1_16block_id_wrapperIjLb1EEEEE10hipError_tT1_PNSt15iterator_traitsISG_E10value_typeET2_T3_PNSH_ISM_E10value_typeET4_T5_PSR_SS_PNS1_23onesweep_lookback_stateEbbT6_jjT7_P12ihipStream_tbENKUlT_T0_SG_SL_E_clIS9_SA_SB_SB_EEDaSZ_S10_SG_SL_EUlSZ_E_NS1_11comp_targetILNS1_3genE3ELNS1_11target_archE908ELNS1_3gpuE7ELNS1_3repE0EEENS1_47radix_sort_onesweep_sort_config_static_selectorELNS0_4arch9wavefront6targetE0EEEvSG_.has_recursion, 0
	.set _ZN7rocprim17ROCPRIM_400000_NS6detail17trampoline_kernelINS0_14default_configENS1_35radix_sort_onesweep_config_selectorIhNS0_10empty_typeEEEZZNS1_29radix_sort_onesweep_iterationIS3_Lb1EPKhPhPS5_SB_mNS0_19identity_decomposerENS1_16block_id_wrapperIjLb1EEEEE10hipError_tT1_PNSt15iterator_traitsISG_E10value_typeET2_T3_PNSH_ISM_E10value_typeET4_T5_PSR_SS_PNS1_23onesweep_lookback_stateEbbT6_jjT7_P12ihipStream_tbENKUlT_T0_SG_SL_E_clIS9_SA_SB_SB_EEDaSZ_S10_SG_SL_EUlSZ_E_NS1_11comp_targetILNS1_3genE3ELNS1_11target_archE908ELNS1_3gpuE7ELNS1_3repE0EEENS1_47radix_sort_onesweep_sort_config_static_selectorELNS0_4arch9wavefront6targetE0EEEvSG_.has_indirect_call, 0
	.section	.AMDGPU.csdata,"",@progbits
; Kernel info:
; codeLenInByte = 0
; TotalNumSgprs: 0
; NumVgprs: 0
; ScratchSize: 0
; MemoryBound: 0
; FloatMode: 240
; IeeeMode: 1
; LDSByteSize: 0 bytes/workgroup (compile time only)
; SGPRBlocks: 0
; VGPRBlocks: 0
; NumSGPRsForWavesPerEU: 1
; NumVGPRsForWavesPerEU: 1
; NamedBarCnt: 0
; Occupancy: 16
; WaveLimiterHint : 0
; COMPUTE_PGM_RSRC2:SCRATCH_EN: 0
; COMPUTE_PGM_RSRC2:USER_SGPR: 2
; COMPUTE_PGM_RSRC2:TRAP_HANDLER: 0
; COMPUTE_PGM_RSRC2:TGID_X_EN: 1
; COMPUTE_PGM_RSRC2:TGID_Y_EN: 0
; COMPUTE_PGM_RSRC2:TGID_Z_EN: 0
; COMPUTE_PGM_RSRC2:TIDIG_COMP_CNT: 0
	.section	.text._ZN7rocprim17ROCPRIM_400000_NS6detail17trampoline_kernelINS0_14default_configENS1_35radix_sort_onesweep_config_selectorIhNS0_10empty_typeEEEZZNS1_29radix_sort_onesweep_iterationIS3_Lb1EPKhPhPS5_SB_mNS0_19identity_decomposerENS1_16block_id_wrapperIjLb1EEEEE10hipError_tT1_PNSt15iterator_traitsISG_E10value_typeET2_T3_PNSH_ISM_E10value_typeET4_T5_PSR_SS_PNS1_23onesweep_lookback_stateEbbT6_jjT7_P12ihipStream_tbENKUlT_T0_SG_SL_E_clIS9_SA_SB_SB_EEDaSZ_S10_SG_SL_EUlSZ_E_NS1_11comp_targetILNS1_3genE10ELNS1_11target_archE1201ELNS1_3gpuE5ELNS1_3repE0EEENS1_47radix_sort_onesweep_sort_config_static_selectorELNS0_4arch9wavefront6targetE0EEEvSG_,"axG",@progbits,_ZN7rocprim17ROCPRIM_400000_NS6detail17trampoline_kernelINS0_14default_configENS1_35radix_sort_onesweep_config_selectorIhNS0_10empty_typeEEEZZNS1_29radix_sort_onesweep_iterationIS3_Lb1EPKhPhPS5_SB_mNS0_19identity_decomposerENS1_16block_id_wrapperIjLb1EEEEE10hipError_tT1_PNSt15iterator_traitsISG_E10value_typeET2_T3_PNSH_ISM_E10value_typeET4_T5_PSR_SS_PNS1_23onesweep_lookback_stateEbbT6_jjT7_P12ihipStream_tbENKUlT_T0_SG_SL_E_clIS9_SA_SB_SB_EEDaSZ_S10_SG_SL_EUlSZ_E_NS1_11comp_targetILNS1_3genE10ELNS1_11target_archE1201ELNS1_3gpuE5ELNS1_3repE0EEENS1_47radix_sort_onesweep_sort_config_static_selectorELNS0_4arch9wavefront6targetE0EEEvSG_,comdat
	.protected	_ZN7rocprim17ROCPRIM_400000_NS6detail17trampoline_kernelINS0_14default_configENS1_35radix_sort_onesweep_config_selectorIhNS0_10empty_typeEEEZZNS1_29radix_sort_onesweep_iterationIS3_Lb1EPKhPhPS5_SB_mNS0_19identity_decomposerENS1_16block_id_wrapperIjLb1EEEEE10hipError_tT1_PNSt15iterator_traitsISG_E10value_typeET2_T3_PNSH_ISM_E10value_typeET4_T5_PSR_SS_PNS1_23onesweep_lookback_stateEbbT6_jjT7_P12ihipStream_tbENKUlT_T0_SG_SL_E_clIS9_SA_SB_SB_EEDaSZ_S10_SG_SL_EUlSZ_E_NS1_11comp_targetILNS1_3genE10ELNS1_11target_archE1201ELNS1_3gpuE5ELNS1_3repE0EEENS1_47radix_sort_onesweep_sort_config_static_selectorELNS0_4arch9wavefront6targetE0EEEvSG_ ; -- Begin function _ZN7rocprim17ROCPRIM_400000_NS6detail17trampoline_kernelINS0_14default_configENS1_35radix_sort_onesweep_config_selectorIhNS0_10empty_typeEEEZZNS1_29radix_sort_onesweep_iterationIS3_Lb1EPKhPhPS5_SB_mNS0_19identity_decomposerENS1_16block_id_wrapperIjLb1EEEEE10hipError_tT1_PNSt15iterator_traitsISG_E10value_typeET2_T3_PNSH_ISM_E10value_typeET4_T5_PSR_SS_PNS1_23onesweep_lookback_stateEbbT6_jjT7_P12ihipStream_tbENKUlT_T0_SG_SL_E_clIS9_SA_SB_SB_EEDaSZ_S10_SG_SL_EUlSZ_E_NS1_11comp_targetILNS1_3genE10ELNS1_11target_archE1201ELNS1_3gpuE5ELNS1_3repE0EEENS1_47radix_sort_onesweep_sort_config_static_selectorELNS0_4arch9wavefront6targetE0EEEvSG_
	.globl	_ZN7rocprim17ROCPRIM_400000_NS6detail17trampoline_kernelINS0_14default_configENS1_35radix_sort_onesweep_config_selectorIhNS0_10empty_typeEEEZZNS1_29radix_sort_onesweep_iterationIS3_Lb1EPKhPhPS5_SB_mNS0_19identity_decomposerENS1_16block_id_wrapperIjLb1EEEEE10hipError_tT1_PNSt15iterator_traitsISG_E10value_typeET2_T3_PNSH_ISM_E10value_typeET4_T5_PSR_SS_PNS1_23onesweep_lookback_stateEbbT6_jjT7_P12ihipStream_tbENKUlT_T0_SG_SL_E_clIS9_SA_SB_SB_EEDaSZ_S10_SG_SL_EUlSZ_E_NS1_11comp_targetILNS1_3genE10ELNS1_11target_archE1201ELNS1_3gpuE5ELNS1_3repE0EEENS1_47radix_sort_onesweep_sort_config_static_selectorELNS0_4arch9wavefront6targetE0EEEvSG_
	.p2align	8
	.type	_ZN7rocprim17ROCPRIM_400000_NS6detail17trampoline_kernelINS0_14default_configENS1_35radix_sort_onesweep_config_selectorIhNS0_10empty_typeEEEZZNS1_29radix_sort_onesweep_iterationIS3_Lb1EPKhPhPS5_SB_mNS0_19identity_decomposerENS1_16block_id_wrapperIjLb1EEEEE10hipError_tT1_PNSt15iterator_traitsISG_E10value_typeET2_T3_PNSH_ISM_E10value_typeET4_T5_PSR_SS_PNS1_23onesweep_lookback_stateEbbT6_jjT7_P12ihipStream_tbENKUlT_T0_SG_SL_E_clIS9_SA_SB_SB_EEDaSZ_S10_SG_SL_EUlSZ_E_NS1_11comp_targetILNS1_3genE10ELNS1_11target_archE1201ELNS1_3gpuE5ELNS1_3repE0EEENS1_47radix_sort_onesweep_sort_config_static_selectorELNS0_4arch9wavefront6targetE0EEEvSG_,@function
_ZN7rocprim17ROCPRIM_400000_NS6detail17trampoline_kernelINS0_14default_configENS1_35radix_sort_onesweep_config_selectorIhNS0_10empty_typeEEEZZNS1_29radix_sort_onesweep_iterationIS3_Lb1EPKhPhPS5_SB_mNS0_19identity_decomposerENS1_16block_id_wrapperIjLb1EEEEE10hipError_tT1_PNSt15iterator_traitsISG_E10value_typeET2_T3_PNSH_ISM_E10value_typeET4_T5_PSR_SS_PNS1_23onesweep_lookback_stateEbbT6_jjT7_P12ihipStream_tbENKUlT_T0_SG_SL_E_clIS9_SA_SB_SB_EEDaSZ_S10_SG_SL_EUlSZ_E_NS1_11comp_targetILNS1_3genE10ELNS1_11target_archE1201ELNS1_3gpuE5ELNS1_3repE0EEENS1_47radix_sort_onesweep_sort_config_static_selectorELNS0_4arch9wavefront6targetE0EEEvSG_: ; @_ZN7rocprim17ROCPRIM_400000_NS6detail17trampoline_kernelINS0_14default_configENS1_35radix_sort_onesweep_config_selectorIhNS0_10empty_typeEEEZZNS1_29radix_sort_onesweep_iterationIS3_Lb1EPKhPhPS5_SB_mNS0_19identity_decomposerENS1_16block_id_wrapperIjLb1EEEEE10hipError_tT1_PNSt15iterator_traitsISG_E10value_typeET2_T3_PNSH_ISM_E10value_typeET4_T5_PSR_SS_PNS1_23onesweep_lookback_stateEbbT6_jjT7_P12ihipStream_tbENKUlT_T0_SG_SL_E_clIS9_SA_SB_SB_EEDaSZ_S10_SG_SL_EUlSZ_E_NS1_11comp_targetILNS1_3genE10ELNS1_11target_archE1201ELNS1_3gpuE5ELNS1_3repE0EEENS1_47radix_sort_onesweep_sort_config_static_selectorELNS0_4arch9wavefront6targetE0EEEvSG_
; %bb.0:
	.section	.rodata,"a",@progbits
	.p2align	6, 0x0
	.amdhsa_kernel _ZN7rocprim17ROCPRIM_400000_NS6detail17trampoline_kernelINS0_14default_configENS1_35radix_sort_onesweep_config_selectorIhNS0_10empty_typeEEEZZNS1_29radix_sort_onesweep_iterationIS3_Lb1EPKhPhPS5_SB_mNS0_19identity_decomposerENS1_16block_id_wrapperIjLb1EEEEE10hipError_tT1_PNSt15iterator_traitsISG_E10value_typeET2_T3_PNSH_ISM_E10value_typeET4_T5_PSR_SS_PNS1_23onesweep_lookback_stateEbbT6_jjT7_P12ihipStream_tbENKUlT_T0_SG_SL_E_clIS9_SA_SB_SB_EEDaSZ_S10_SG_SL_EUlSZ_E_NS1_11comp_targetILNS1_3genE10ELNS1_11target_archE1201ELNS1_3gpuE5ELNS1_3repE0EEENS1_47radix_sort_onesweep_sort_config_static_selectorELNS0_4arch9wavefront6targetE0EEEvSG_
		.amdhsa_group_segment_fixed_size 0
		.amdhsa_private_segment_fixed_size 0
		.amdhsa_kernarg_size 88
		.amdhsa_user_sgpr_count 2
		.amdhsa_user_sgpr_dispatch_ptr 0
		.amdhsa_user_sgpr_queue_ptr 0
		.amdhsa_user_sgpr_kernarg_segment_ptr 1
		.amdhsa_user_sgpr_dispatch_id 0
		.amdhsa_user_sgpr_kernarg_preload_length 0
		.amdhsa_user_sgpr_kernarg_preload_offset 0
		.amdhsa_user_sgpr_private_segment_size 0
		.amdhsa_wavefront_size32 1
		.amdhsa_uses_dynamic_stack 0
		.amdhsa_enable_private_segment 0
		.amdhsa_system_sgpr_workgroup_id_x 1
		.amdhsa_system_sgpr_workgroup_id_y 0
		.amdhsa_system_sgpr_workgroup_id_z 0
		.amdhsa_system_sgpr_workgroup_info 0
		.amdhsa_system_vgpr_workitem_id 0
		.amdhsa_next_free_vgpr 1
		.amdhsa_next_free_sgpr 1
		.amdhsa_named_barrier_count 0
		.amdhsa_reserve_vcc 0
		.amdhsa_float_round_mode_32 0
		.amdhsa_float_round_mode_16_64 0
		.amdhsa_float_denorm_mode_32 3
		.amdhsa_float_denorm_mode_16_64 3
		.amdhsa_fp16_overflow 0
		.amdhsa_memory_ordered 1
		.amdhsa_forward_progress 1
		.amdhsa_inst_pref_size 0
		.amdhsa_round_robin_scheduling 0
		.amdhsa_exception_fp_ieee_invalid_op 0
		.amdhsa_exception_fp_denorm_src 0
		.amdhsa_exception_fp_ieee_div_zero 0
		.amdhsa_exception_fp_ieee_overflow 0
		.amdhsa_exception_fp_ieee_underflow 0
		.amdhsa_exception_fp_ieee_inexact 0
		.amdhsa_exception_int_div_zero 0
	.end_amdhsa_kernel
	.section	.text._ZN7rocprim17ROCPRIM_400000_NS6detail17trampoline_kernelINS0_14default_configENS1_35radix_sort_onesweep_config_selectorIhNS0_10empty_typeEEEZZNS1_29radix_sort_onesweep_iterationIS3_Lb1EPKhPhPS5_SB_mNS0_19identity_decomposerENS1_16block_id_wrapperIjLb1EEEEE10hipError_tT1_PNSt15iterator_traitsISG_E10value_typeET2_T3_PNSH_ISM_E10value_typeET4_T5_PSR_SS_PNS1_23onesweep_lookback_stateEbbT6_jjT7_P12ihipStream_tbENKUlT_T0_SG_SL_E_clIS9_SA_SB_SB_EEDaSZ_S10_SG_SL_EUlSZ_E_NS1_11comp_targetILNS1_3genE10ELNS1_11target_archE1201ELNS1_3gpuE5ELNS1_3repE0EEENS1_47radix_sort_onesweep_sort_config_static_selectorELNS0_4arch9wavefront6targetE0EEEvSG_,"axG",@progbits,_ZN7rocprim17ROCPRIM_400000_NS6detail17trampoline_kernelINS0_14default_configENS1_35radix_sort_onesweep_config_selectorIhNS0_10empty_typeEEEZZNS1_29radix_sort_onesweep_iterationIS3_Lb1EPKhPhPS5_SB_mNS0_19identity_decomposerENS1_16block_id_wrapperIjLb1EEEEE10hipError_tT1_PNSt15iterator_traitsISG_E10value_typeET2_T3_PNSH_ISM_E10value_typeET4_T5_PSR_SS_PNS1_23onesweep_lookback_stateEbbT6_jjT7_P12ihipStream_tbENKUlT_T0_SG_SL_E_clIS9_SA_SB_SB_EEDaSZ_S10_SG_SL_EUlSZ_E_NS1_11comp_targetILNS1_3genE10ELNS1_11target_archE1201ELNS1_3gpuE5ELNS1_3repE0EEENS1_47radix_sort_onesweep_sort_config_static_selectorELNS0_4arch9wavefront6targetE0EEEvSG_,comdat
.Lfunc_end114:
	.size	_ZN7rocprim17ROCPRIM_400000_NS6detail17trampoline_kernelINS0_14default_configENS1_35radix_sort_onesweep_config_selectorIhNS0_10empty_typeEEEZZNS1_29radix_sort_onesweep_iterationIS3_Lb1EPKhPhPS5_SB_mNS0_19identity_decomposerENS1_16block_id_wrapperIjLb1EEEEE10hipError_tT1_PNSt15iterator_traitsISG_E10value_typeET2_T3_PNSH_ISM_E10value_typeET4_T5_PSR_SS_PNS1_23onesweep_lookback_stateEbbT6_jjT7_P12ihipStream_tbENKUlT_T0_SG_SL_E_clIS9_SA_SB_SB_EEDaSZ_S10_SG_SL_EUlSZ_E_NS1_11comp_targetILNS1_3genE10ELNS1_11target_archE1201ELNS1_3gpuE5ELNS1_3repE0EEENS1_47radix_sort_onesweep_sort_config_static_selectorELNS0_4arch9wavefront6targetE0EEEvSG_, .Lfunc_end114-_ZN7rocprim17ROCPRIM_400000_NS6detail17trampoline_kernelINS0_14default_configENS1_35radix_sort_onesweep_config_selectorIhNS0_10empty_typeEEEZZNS1_29radix_sort_onesweep_iterationIS3_Lb1EPKhPhPS5_SB_mNS0_19identity_decomposerENS1_16block_id_wrapperIjLb1EEEEE10hipError_tT1_PNSt15iterator_traitsISG_E10value_typeET2_T3_PNSH_ISM_E10value_typeET4_T5_PSR_SS_PNS1_23onesweep_lookback_stateEbbT6_jjT7_P12ihipStream_tbENKUlT_T0_SG_SL_E_clIS9_SA_SB_SB_EEDaSZ_S10_SG_SL_EUlSZ_E_NS1_11comp_targetILNS1_3genE10ELNS1_11target_archE1201ELNS1_3gpuE5ELNS1_3repE0EEENS1_47radix_sort_onesweep_sort_config_static_selectorELNS0_4arch9wavefront6targetE0EEEvSG_
                                        ; -- End function
	.set _ZN7rocprim17ROCPRIM_400000_NS6detail17trampoline_kernelINS0_14default_configENS1_35radix_sort_onesweep_config_selectorIhNS0_10empty_typeEEEZZNS1_29radix_sort_onesweep_iterationIS3_Lb1EPKhPhPS5_SB_mNS0_19identity_decomposerENS1_16block_id_wrapperIjLb1EEEEE10hipError_tT1_PNSt15iterator_traitsISG_E10value_typeET2_T3_PNSH_ISM_E10value_typeET4_T5_PSR_SS_PNS1_23onesweep_lookback_stateEbbT6_jjT7_P12ihipStream_tbENKUlT_T0_SG_SL_E_clIS9_SA_SB_SB_EEDaSZ_S10_SG_SL_EUlSZ_E_NS1_11comp_targetILNS1_3genE10ELNS1_11target_archE1201ELNS1_3gpuE5ELNS1_3repE0EEENS1_47radix_sort_onesweep_sort_config_static_selectorELNS0_4arch9wavefront6targetE0EEEvSG_.num_vgpr, 0
	.set _ZN7rocprim17ROCPRIM_400000_NS6detail17trampoline_kernelINS0_14default_configENS1_35radix_sort_onesweep_config_selectorIhNS0_10empty_typeEEEZZNS1_29radix_sort_onesweep_iterationIS3_Lb1EPKhPhPS5_SB_mNS0_19identity_decomposerENS1_16block_id_wrapperIjLb1EEEEE10hipError_tT1_PNSt15iterator_traitsISG_E10value_typeET2_T3_PNSH_ISM_E10value_typeET4_T5_PSR_SS_PNS1_23onesweep_lookback_stateEbbT6_jjT7_P12ihipStream_tbENKUlT_T0_SG_SL_E_clIS9_SA_SB_SB_EEDaSZ_S10_SG_SL_EUlSZ_E_NS1_11comp_targetILNS1_3genE10ELNS1_11target_archE1201ELNS1_3gpuE5ELNS1_3repE0EEENS1_47radix_sort_onesweep_sort_config_static_selectorELNS0_4arch9wavefront6targetE0EEEvSG_.num_agpr, 0
	.set _ZN7rocprim17ROCPRIM_400000_NS6detail17trampoline_kernelINS0_14default_configENS1_35radix_sort_onesweep_config_selectorIhNS0_10empty_typeEEEZZNS1_29radix_sort_onesweep_iterationIS3_Lb1EPKhPhPS5_SB_mNS0_19identity_decomposerENS1_16block_id_wrapperIjLb1EEEEE10hipError_tT1_PNSt15iterator_traitsISG_E10value_typeET2_T3_PNSH_ISM_E10value_typeET4_T5_PSR_SS_PNS1_23onesweep_lookback_stateEbbT6_jjT7_P12ihipStream_tbENKUlT_T0_SG_SL_E_clIS9_SA_SB_SB_EEDaSZ_S10_SG_SL_EUlSZ_E_NS1_11comp_targetILNS1_3genE10ELNS1_11target_archE1201ELNS1_3gpuE5ELNS1_3repE0EEENS1_47radix_sort_onesweep_sort_config_static_selectorELNS0_4arch9wavefront6targetE0EEEvSG_.numbered_sgpr, 0
	.set _ZN7rocprim17ROCPRIM_400000_NS6detail17trampoline_kernelINS0_14default_configENS1_35radix_sort_onesweep_config_selectorIhNS0_10empty_typeEEEZZNS1_29radix_sort_onesweep_iterationIS3_Lb1EPKhPhPS5_SB_mNS0_19identity_decomposerENS1_16block_id_wrapperIjLb1EEEEE10hipError_tT1_PNSt15iterator_traitsISG_E10value_typeET2_T3_PNSH_ISM_E10value_typeET4_T5_PSR_SS_PNS1_23onesweep_lookback_stateEbbT6_jjT7_P12ihipStream_tbENKUlT_T0_SG_SL_E_clIS9_SA_SB_SB_EEDaSZ_S10_SG_SL_EUlSZ_E_NS1_11comp_targetILNS1_3genE10ELNS1_11target_archE1201ELNS1_3gpuE5ELNS1_3repE0EEENS1_47radix_sort_onesweep_sort_config_static_selectorELNS0_4arch9wavefront6targetE0EEEvSG_.num_named_barrier, 0
	.set _ZN7rocprim17ROCPRIM_400000_NS6detail17trampoline_kernelINS0_14default_configENS1_35radix_sort_onesweep_config_selectorIhNS0_10empty_typeEEEZZNS1_29radix_sort_onesweep_iterationIS3_Lb1EPKhPhPS5_SB_mNS0_19identity_decomposerENS1_16block_id_wrapperIjLb1EEEEE10hipError_tT1_PNSt15iterator_traitsISG_E10value_typeET2_T3_PNSH_ISM_E10value_typeET4_T5_PSR_SS_PNS1_23onesweep_lookback_stateEbbT6_jjT7_P12ihipStream_tbENKUlT_T0_SG_SL_E_clIS9_SA_SB_SB_EEDaSZ_S10_SG_SL_EUlSZ_E_NS1_11comp_targetILNS1_3genE10ELNS1_11target_archE1201ELNS1_3gpuE5ELNS1_3repE0EEENS1_47radix_sort_onesweep_sort_config_static_selectorELNS0_4arch9wavefront6targetE0EEEvSG_.private_seg_size, 0
	.set _ZN7rocprim17ROCPRIM_400000_NS6detail17trampoline_kernelINS0_14default_configENS1_35radix_sort_onesweep_config_selectorIhNS0_10empty_typeEEEZZNS1_29radix_sort_onesweep_iterationIS3_Lb1EPKhPhPS5_SB_mNS0_19identity_decomposerENS1_16block_id_wrapperIjLb1EEEEE10hipError_tT1_PNSt15iterator_traitsISG_E10value_typeET2_T3_PNSH_ISM_E10value_typeET4_T5_PSR_SS_PNS1_23onesweep_lookback_stateEbbT6_jjT7_P12ihipStream_tbENKUlT_T0_SG_SL_E_clIS9_SA_SB_SB_EEDaSZ_S10_SG_SL_EUlSZ_E_NS1_11comp_targetILNS1_3genE10ELNS1_11target_archE1201ELNS1_3gpuE5ELNS1_3repE0EEENS1_47radix_sort_onesweep_sort_config_static_selectorELNS0_4arch9wavefront6targetE0EEEvSG_.uses_vcc, 0
	.set _ZN7rocprim17ROCPRIM_400000_NS6detail17trampoline_kernelINS0_14default_configENS1_35radix_sort_onesweep_config_selectorIhNS0_10empty_typeEEEZZNS1_29radix_sort_onesweep_iterationIS3_Lb1EPKhPhPS5_SB_mNS0_19identity_decomposerENS1_16block_id_wrapperIjLb1EEEEE10hipError_tT1_PNSt15iterator_traitsISG_E10value_typeET2_T3_PNSH_ISM_E10value_typeET4_T5_PSR_SS_PNS1_23onesweep_lookback_stateEbbT6_jjT7_P12ihipStream_tbENKUlT_T0_SG_SL_E_clIS9_SA_SB_SB_EEDaSZ_S10_SG_SL_EUlSZ_E_NS1_11comp_targetILNS1_3genE10ELNS1_11target_archE1201ELNS1_3gpuE5ELNS1_3repE0EEENS1_47radix_sort_onesweep_sort_config_static_selectorELNS0_4arch9wavefront6targetE0EEEvSG_.uses_flat_scratch, 0
	.set _ZN7rocprim17ROCPRIM_400000_NS6detail17trampoline_kernelINS0_14default_configENS1_35radix_sort_onesweep_config_selectorIhNS0_10empty_typeEEEZZNS1_29radix_sort_onesweep_iterationIS3_Lb1EPKhPhPS5_SB_mNS0_19identity_decomposerENS1_16block_id_wrapperIjLb1EEEEE10hipError_tT1_PNSt15iterator_traitsISG_E10value_typeET2_T3_PNSH_ISM_E10value_typeET4_T5_PSR_SS_PNS1_23onesweep_lookback_stateEbbT6_jjT7_P12ihipStream_tbENKUlT_T0_SG_SL_E_clIS9_SA_SB_SB_EEDaSZ_S10_SG_SL_EUlSZ_E_NS1_11comp_targetILNS1_3genE10ELNS1_11target_archE1201ELNS1_3gpuE5ELNS1_3repE0EEENS1_47radix_sort_onesweep_sort_config_static_selectorELNS0_4arch9wavefront6targetE0EEEvSG_.has_dyn_sized_stack, 0
	.set _ZN7rocprim17ROCPRIM_400000_NS6detail17trampoline_kernelINS0_14default_configENS1_35radix_sort_onesweep_config_selectorIhNS0_10empty_typeEEEZZNS1_29radix_sort_onesweep_iterationIS3_Lb1EPKhPhPS5_SB_mNS0_19identity_decomposerENS1_16block_id_wrapperIjLb1EEEEE10hipError_tT1_PNSt15iterator_traitsISG_E10value_typeET2_T3_PNSH_ISM_E10value_typeET4_T5_PSR_SS_PNS1_23onesweep_lookback_stateEbbT6_jjT7_P12ihipStream_tbENKUlT_T0_SG_SL_E_clIS9_SA_SB_SB_EEDaSZ_S10_SG_SL_EUlSZ_E_NS1_11comp_targetILNS1_3genE10ELNS1_11target_archE1201ELNS1_3gpuE5ELNS1_3repE0EEENS1_47radix_sort_onesweep_sort_config_static_selectorELNS0_4arch9wavefront6targetE0EEEvSG_.has_recursion, 0
	.set _ZN7rocprim17ROCPRIM_400000_NS6detail17trampoline_kernelINS0_14default_configENS1_35radix_sort_onesweep_config_selectorIhNS0_10empty_typeEEEZZNS1_29radix_sort_onesweep_iterationIS3_Lb1EPKhPhPS5_SB_mNS0_19identity_decomposerENS1_16block_id_wrapperIjLb1EEEEE10hipError_tT1_PNSt15iterator_traitsISG_E10value_typeET2_T3_PNSH_ISM_E10value_typeET4_T5_PSR_SS_PNS1_23onesweep_lookback_stateEbbT6_jjT7_P12ihipStream_tbENKUlT_T0_SG_SL_E_clIS9_SA_SB_SB_EEDaSZ_S10_SG_SL_EUlSZ_E_NS1_11comp_targetILNS1_3genE10ELNS1_11target_archE1201ELNS1_3gpuE5ELNS1_3repE0EEENS1_47radix_sort_onesweep_sort_config_static_selectorELNS0_4arch9wavefront6targetE0EEEvSG_.has_indirect_call, 0
	.section	.AMDGPU.csdata,"",@progbits
; Kernel info:
; codeLenInByte = 0
; TotalNumSgprs: 0
; NumVgprs: 0
; ScratchSize: 0
; MemoryBound: 0
; FloatMode: 240
; IeeeMode: 1
; LDSByteSize: 0 bytes/workgroup (compile time only)
; SGPRBlocks: 0
; VGPRBlocks: 0
; NumSGPRsForWavesPerEU: 1
; NumVGPRsForWavesPerEU: 1
; NamedBarCnt: 0
; Occupancy: 16
; WaveLimiterHint : 0
; COMPUTE_PGM_RSRC2:SCRATCH_EN: 0
; COMPUTE_PGM_RSRC2:USER_SGPR: 2
; COMPUTE_PGM_RSRC2:TRAP_HANDLER: 0
; COMPUTE_PGM_RSRC2:TGID_X_EN: 1
; COMPUTE_PGM_RSRC2:TGID_Y_EN: 0
; COMPUTE_PGM_RSRC2:TGID_Z_EN: 0
; COMPUTE_PGM_RSRC2:TIDIG_COMP_CNT: 0
	.section	.text._ZN7rocprim17ROCPRIM_400000_NS6detail17trampoline_kernelINS0_14default_configENS1_35radix_sort_onesweep_config_selectorIhNS0_10empty_typeEEEZZNS1_29radix_sort_onesweep_iterationIS3_Lb1EPKhPhPS5_SB_mNS0_19identity_decomposerENS1_16block_id_wrapperIjLb1EEEEE10hipError_tT1_PNSt15iterator_traitsISG_E10value_typeET2_T3_PNSH_ISM_E10value_typeET4_T5_PSR_SS_PNS1_23onesweep_lookback_stateEbbT6_jjT7_P12ihipStream_tbENKUlT_T0_SG_SL_E_clIS9_SA_SB_SB_EEDaSZ_S10_SG_SL_EUlSZ_E_NS1_11comp_targetILNS1_3genE9ELNS1_11target_archE1100ELNS1_3gpuE3ELNS1_3repE0EEENS1_47radix_sort_onesweep_sort_config_static_selectorELNS0_4arch9wavefront6targetE0EEEvSG_,"axG",@progbits,_ZN7rocprim17ROCPRIM_400000_NS6detail17trampoline_kernelINS0_14default_configENS1_35radix_sort_onesweep_config_selectorIhNS0_10empty_typeEEEZZNS1_29radix_sort_onesweep_iterationIS3_Lb1EPKhPhPS5_SB_mNS0_19identity_decomposerENS1_16block_id_wrapperIjLb1EEEEE10hipError_tT1_PNSt15iterator_traitsISG_E10value_typeET2_T3_PNSH_ISM_E10value_typeET4_T5_PSR_SS_PNS1_23onesweep_lookback_stateEbbT6_jjT7_P12ihipStream_tbENKUlT_T0_SG_SL_E_clIS9_SA_SB_SB_EEDaSZ_S10_SG_SL_EUlSZ_E_NS1_11comp_targetILNS1_3genE9ELNS1_11target_archE1100ELNS1_3gpuE3ELNS1_3repE0EEENS1_47radix_sort_onesweep_sort_config_static_selectorELNS0_4arch9wavefront6targetE0EEEvSG_,comdat
	.protected	_ZN7rocprim17ROCPRIM_400000_NS6detail17trampoline_kernelINS0_14default_configENS1_35radix_sort_onesweep_config_selectorIhNS0_10empty_typeEEEZZNS1_29radix_sort_onesweep_iterationIS3_Lb1EPKhPhPS5_SB_mNS0_19identity_decomposerENS1_16block_id_wrapperIjLb1EEEEE10hipError_tT1_PNSt15iterator_traitsISG_E10value_typeET2_T3_PNSH_ISM_E10value_typeET4_T5_PSR_SS_PNS1_23onesweep_lookback_stateEbbT6_jjT7_P12ihipStream_tbENKUlT_T0_SG_SL_E_clIS9_SA_SB_SB_EEDaSZ_S10_SG_SL_EUlSZ_E_NS1_11comp_targetILNS1_3genE9ELNS1_11target_archE1100ELNS1_3gpuE3ELNS1_3repE0EEENS1_47radix_sort_onesweep_sort_config_static_selectorELNS0_4arch9wavefront6targetE0EEEvSG_ ; -- Begin function _ZN7rocprim17ROCPRIM_400000_NS6detail17trampoline_kernelINS0_14default_configENS1_35radix_sort_onesweep_config_selectorIhNS0_10empty_typeEEEZZNS1_29radix_sort_onesweep_iterationIS3_Lb1EPKhPhPS5_SB_mNS0_19identity_decomposerENS1_16block_id_wrapperIjLb1EEEEE10hipError_tT1_PNSt15iterator_traitsISG_E10value_typeET2_T3_PNSH_ISM_E10value_typeET4_T5_PSR_SS_PNS1_23onesweep_lookback_stateEbbT6_jjT7_P12ihipStream_tbENKUlT_T0_SG_SL_E_clIS9_SA_SB_SB_EEDaSZ_S10_SG_SL_EUlSZ_E_NS1_11comp_targetILNS1_3genE9ELNS1_11target_archE1100ELNS1_3gpuE3ELNS1_3repE0EEENS1_47radix_sort_onesweep_sort_config_static_selectorELNS0_4arch9wavefront6targetE0EEEvSG_
	.globl	_ZN7rocprim17ROCPRIM_400000_NS6detail17trampoline_kernelINS0_14default_configENS1_35radix_sort_onesweep_config_selectorIhNS0_10empty_typeEEEZZNS1_29radix_sort_onesweep_iterationIS3_Lb1EPKhPhPS5_SB_mNS0_19identity_decomposerENS1_16block_id_wrapperIjLb1EEEEE10hipError_tT1_PNSt15iterator_traitsISG_E10value_typeET2_T3_PNSH_ISM_E10value_typeET4_T5_PSR_SS_PNS1_23onesweep_lookback_stateEbbT6_jjT7_P12ihipStream_tbENKUlT_T0_SG_SL_E_clIS9_SA_SB_SB_EEDaSZ_S10_SG_SL_EUlSZ_E_NS1_11comp_targetILNS1_3genE9ELNS1_11target_archE1100ELNS1_3gpuE3ELNS1_3repE0EEENS1_47radix_sort_onesweep_sort_config_static_selectorELNS0_4arch9wavefront6targetE0EEEvSG_
	.p2align	8
	.type	_ZN7rocprim17ROCPRIM_400000_NS6detail17trampoline_kernelINS0_14default_configENS1_35radix_sort_onesweep_config_selectorIhNS0_10empty_typeEEEZZNS1_29radix_sort_onesweep_iterationIS3_Lb1EPKhPhPS5_SB_mNS0_19identity_decomposerENS1_16block_id_wrapperIjLb1EEEEE10hipError_tT1_PNSt15iterator_traitsISG_E10value_typeET2_T3_PNSH_ISM_E10value_typeET4_T5_PSR_SS_PNS1_23onesweep_lookback_stateEbbT6_jjT7_P12ihipStream_tbENKUlT_T0_SG_SL_E_clIS9_SA_SB_SB_EEDaSZ_S10_SG_SL_EUlSZ_E_NS1_11comp_targetILNS1_3genE9ELNS1_11target_archE1100ELNS1_3gpuE3ELNS1_3repE0EEENS1_47radix_sort_onesweep_sort_config_static_selectorELNS0_4arch9wavefront6targetE0EEEvSG_,@function
_ZN7rocprim17ROCPRIM_400000_NS6detail17trampoline_kernelINS0_14default_configENS1_35radix_sort_onesweep_config_selectorIhNS0_10empty_typeEEEZZNS1_29radix_sort_onesweep_iterationIS3_Lb1EPKhPhPS5_SB_mNS0_19identity_decomposerENS1_16block_id_wrapperIjLb1EEEEE10hipError_tT1_PNSt15iterator_traitsISG_E10value_typeET2_T3_PNSH_ISM_E10value_typeET4_T5_PSR_SS_PNS1_23onesweep_lookback_stateEbbT6_jjT7_P12ihipStream_tbENKUlT_T0_SG_SL_E_clIS9_SA_SB_SB_EEDaSZ_S10_SG_SL_EUlSZ_E_NS1_11comp_targetILNS1_3genE9ELNS1_11target_archE1100ELNS1_3gpuE3ELNS1_3repE0EEENS1_47radix_sort_onesweep_sort_config_static_selectorELNS0_4arch9wavefront6targetE0EEEvSG_: ; @_ZN7rocprim17ROCPRIM_400000_NS6detail17trampoline_kernelINS0_14default_configENS1_35radix_sort_onesweep_config_selectorIhNS0_10empty_typeEEEZZNS1_29radix_sort_onesweep_iterationIS3_Lb1EPKhPhPS5_SB_mNS0_19identity_decomposerENS1_16block_id_wrapperIjLb1EEEEE10hipError_tT1_PNSt15iterator_traitsISG_E10value_typeET2_T3_PNSH_ISM_E10value_typeET4_T5_PSR_SS_PNS1_23onesweep_lookback_stateEbbT6_jjT7_P12ihipStream_tbENKUlT_T0_SG_SL_E_clIS9_SA_SB_SB_EEDaSZ_S10_SG_SL_EUlSZ_E_NS1_11comp_targetILNS1_3genE9ELNS1_11target_archE1100ELNS1_3gpuE3ELNS1_3repE0EEENS1_47radix_sort_onesweep_sort_config_static_selectorELNS0_4arch9wavefront6targetE0EEEvSG_
; %bb.0:
	.section	.rodata,"a",@progbits
	.p2align	6, 0x0
	.amdhsa_kernel _ZN7rocprim17ROCPRIM_400000_NS6detail17trampoline_kernelINS0_14default_configENS1_35radix_sort_onesweep_config_selectorIhNS0_10empty_typeEEEZZNS1_29radix_sort_onesweep_iterationIS3_Lb1EPKhPhPS5_SB_mNS0_19identity_decomposerENS1_16block_id_wrapperIjLb1EEEEE10hipError_tT1_PNSt15iterator_traitsISG_E10value_typeET2_T3_PNSH_ISM_E10value_typeET4_T5_PSR_SS_PNS1_23onesweep_lookback_stateEbbT6_jjT7_P12ihipStream_tbENKUlT_T0_SG_SL_E_clIS9_SA_SB_SB_EEDaSZ_S10_SG_SL_EUlSZ_E_NS1_11comp_targetILNS1_3genE9ELNS1_11target_archE1100ELNS1_3gpuE3ELNS1_3repE0EEENS1_47radix_sort_onesweep_sort_config_static_selectorELNS0_4arch9wavefront6targetE0EEEvSG_
		.amdhsa_group_segment_fixed_size 0
		.amdhsa_private_segment_fixed_size 0
		.amdhsa_kernarg_size 88
		.amdhsa_user_sgpr_count 2
		.amdhsa_user_sgpr_dispatch_ptr 0
		.amdhsa_user_sgpr_queue_ptr 0
		.amdhsa_user_sgpr_kernarg_segment_ptr 1
		.amdhsa_user_sgpr_dispatch_id 0
		.amdhsa_user_sgpr_kernarg_preload_length 0
		.amdhsa_user_sgpr_kernarg_preload_offset 0
		.amdhsa_user_sgpr_private_segment_size 0
		.amdhsa_wavefront_size32 1
		.amdhsa_uses_dynamic_stack 0
		.amdhsa_enable_private_segment 0
		.amdhsa_system_sgpr_workgroup_id_x 1
		.amdhsa_system_sgpr_workgroup_id_y 0
		.amdhsa_system_sgpr_workgroup_id_z 0
		.amdhsa_system_sgpr_workgroup_info 0
		.amdhsa_system_vgpr_workitem_id 0
		.amdhsa_next_free_vgpr 1
		.amdhsa_next_free_sgpr 1
		.amdhsa_named_barrier_count 0
		.amdhsa_reserve_vcc 0
		.amdhsa_float_round_mode_32 0
		.amdhsa_float_round_mode_16_64 0
		.amdhsa_float_denorm_mode_32 3
		.amdhsa_float_denorm_mode_16_64 3
		.amdhsa_fp16_overflow 0
		.amdhsa_memory_ordered 1
		.amdhsa_forward_progress 1
		.amdhsa_inst_pref_size 0
		.amdhsa_round_robin_scheduling 0
		.amdhsa_exception_fp_ieee_invalid_op 0
		.amdhsa_exception_fp_denorm_src 0
		.amdhsa_exception_fp_ieee_div_zero 0
		.amdhsa_exception_fp_ieee_overflow 0
		.amdhsa_exception_fp_ieee_underflow 0
		.amdhsa_exception_fp_ieee_inexact 0
		.amdhsa_exception_int_div_zero 0
	.end_amdhsa_kernel
	.section	.text._ZN7rocprim17ROCPRIM_400000_NS6detail17trampoline_kernelINS0_14default_configENS1_35radix_sort_onesweep_config_selectorIhNS0_10empty_typeEEEZZNS1_29radix_sort_onesweep_iterationIS3_Lb1EPKhPhPS5_SB_mNS0_19identity_decomposerENS1_16block_id_wrapperIjLb1EEEEE10hipError_tT1_PNSt15iterator_traitsISG_E10value_typeET2_T3_PNSH_ISM_E10value_typeET4_T5_PSR_SS_PNS1_23onesweep_lookback_stateEbbT6_jjT7_P12ihipStream_tbENKUlT_T0_SG_SL_E_clIS9_SA_SB_SB_EEDaSZ_S10_SG_SL_EUlSZ_E_NS1_11comp_targetILNS1_3genE9ELNS1_11target_archE1100ELNS1_3gpuE3ELNS1_3repE0EEENS1_47radix_sort_onesweep_sort_config_static_selectorELNS0_4arch9wavefront6targetE0EEEvSG_,"axG",@progbits,_ZN7rocprim17ROCPRIM_400000_NS6detail17trampoline_kernelINS0_14default_configENS1_35radix_sort_onesweep_config_selectorIhNS0_10empty_typeEEEZZNS1_29radix_sort_onesweep_iterationIS3_Lb1EPKhPhPS5_SB_mNS0_19identity_decomposerENS1_16block_id_wrapperIjLb1EEEEE10hipError_tT1_PNSt15iterator_traitsISG_E10value_typeET2_T3_PNSH_ISM_E10value_typeET4_T5_PSR_SS_PNS1_23onesweep_lookback_stateEbbT6_jjT7_P12ihipStream_tbENKUlT_T0_SG_SL_E_clIS9_SA_SB_SB_EEDaSZ_S10_SG_SL_EUlSZ_E_NS1_11comp_targetILNS1_3genE9ELNS1_11target_archE1100ELNS1_3gpuE3ELNS1_3repE0EEENS1_47radix_sort_onesweep_sort_config_static_selectorELNS0_4arch9wavefront6targetE0EEEvSG_,comdat
.Lfunc_end115:
	.size	_ZN7rocprim17ROCPRIM_400000_NS6detail17trampoline_kernelINS0_14default_configENS1_35radix_sort_onesweep_config_selectorIhNS0_10empty_typeEEEZZNS1_29radix_sort_onesweep_iterationIS3_Lb1EPKhPhPS5_SB_mNS0_19identity_decomposerENS1_16block_id_wrapperIjLb1EEEEE10hipError_tT1_PNSt15iterator_traitsISG_E10value_typeET2_T3_PNSH_ISM_E10value_typeET4_T5_PSR_SS_PNS1_23onesweep_lookback_stateEbbT6_jjT7_P12ihipStream_tbENKUlT_T0_SG_SL_E_clIS9_SA_SB_SB_EEDaSZ_S10_SG_SL_EUlSZ_E_NS1_11comp_targetILNS1_3genE9ELNS1_11target_archE1100ELNS1_3gpuE3ELNS1_3repE0EEENS1_47radix_sort_onesweep_sort_config_static_selectorELNS0_4arch9wavefront6targetE0EEEvSG_, .Lfunc_end115-_ZN7rocprim17ROCPRIM_400000_NS6detail17trampoline_kernelINS0_14default_configENS1_35radix_sort_onesweep_config_selectorIhNS0_10empty_typeEEEZZNS1_29radix_sort_onesweep_iterationIS3_Lb1EPKhPhPS5_SB_mNS0_19identity_decomposerENS1_16block_id_wrapperIjLb1EEEEE10hipError_tT1_PNSt15iterator_traitsISG_E10value_typeET2_T3_PNSH_ISM_E10value_typeET4_T5_PSR_SS_PNS1_23onesweep_lookback_stateEbbT6_jjT7_P12ihipStream_tbENKUlT_T0_SG_SL_E_clIS9_SA_SB_SB_EEDaSZ_S10_SG_SL_EUlSZ_E_NS1_11comp_targetILNS1_3genE9ELNS1_11target_archE1100ELNS1_3gpuE3ELNS1_3repE0EEENS1_47radix_sort_onesweep_sort_config_static_selectorELNS0_4arch9wavefront6targetE0EEEvSG_
                                        ; -- End function
	.set _ZN7rocprim17ROCPRIM_400000_NS6detail17trampoline_kernelINS0_14default_configENS1_35radix_sort_onesweep_config_selectorIhNS0_10empty_typeEEEZZNS1_29radix_sort_onesweep_iterationIS3_Lb1EPKhPhPS5_SB_mNS0_19identity_decomposerENS1_16block_id_wrapperIjLb1EEEEE10hipError_tT1_PNSt15iterator_traitsISG_E10value_typeET2_T3_PNSH_ISM_E10value_typeET4_T5_PSR_SS_PNS1_23onesweep_lookback_stateEbbT6_jjT7_P12ihipStream_tbENKUlT_T0_SG_SL_E_clIS9_SA_SB_SB_EEDaSZ_S10_SG_SL_EUlSZ_E_NS1_11comp_targetILNS1_3genE9ELNS1_11target_archE1100ELNS1_3gpuE3ELNS1_3repE0EEENS1_47radix_sort_onesweep_sort_config_static_selectorELNS0_4arch9wavefront6targetE0EEEvSG_.num_vgpr, 0
	.set _ZN7rocprim17ROCPRIM_400000_NS6detail17trampoline_kernelINS0_14default_configENS1_35radix_sort_onesweep_config_selectorIhNS0_10empty_typeEEEZZNS1_29radix_sort_onesweep_iterationIS3_Lb1EPKhPhPS5_SB_mNS0_19identity_decomposerENS1_16block_id_wrapperIjLb1EEEEE10hipError_tT1_PNSt15iterator_traitsISG_E10value_typeET2_T3_PNSH_ISM_E10value_typeET4_T5_PSR_SS_PNS1_23onesweep_lookback_stateEbbT6_jjT7_P12ihipStream_tbENKUlT_T0_SG_SL_E_clIS9_SA_SB_SB_EEDaSZ_S10_SG_SL_EUlSZ_E_NS1_11comp_targetILNS1_3genE9ELNS1_11target_archE1100ELNS1_3gpuE3ELNS1_3repE0EEENS1_47radix_sort_onesweep_sort_config_static_selectorELNS0_4arch9wavefront6targetE0EEEvSG_.num_agpr, 0
	.set _ZN7rocprim17ROCPRIM_400000_NS6detail17trampoline_kernelINS0_14default_configENS1_35radix_sort_onesweep_config_selectorIhNS0_10empty_typeEEEZZNS1_29radix_sort_onesweep_iterationIS3_Lb1EPKhPhPS5_SB_mNS0_19identity_decomposerENS1_16block_id_wrapperIjLb1EEEEE10hipError_tT1_PNSt15iterator_traitsISG_E10value_typeET2_T3_PNSH_ISM_E10value_typeET4_T5_PSR_SS_PNS1_23onesweep_lookback_stateEbbT6_jjT7_P12ihipStream_tbENKUlT_T0_SG_SL_E_clIS9_SA_SB_SB_EEDaSZ_S10_SG_SL_EUlSZ_E_NS1_11comp_targetILNS1_3genE9ELNS1_11target_archE1100ELNS1_3gpuE3ELNS1_3repE0EEENS1_47radix_sort_onesweep_sort_config_static_selectorELNS0_4arch9wavefront6targetE0EEEvSG_.numbered_sgpr, 0
	.set _ZN7rocprim17ROCPRIM_400000_NS6detail17trampoline_kernelINS0_14default_configENS1_35radix_sort_onesweep_config_selectorIhNS0_10empty_typeEEEZZNS1_29radix_sort_onesweep_iterationIS3_Lb1EPKhPhPS5_SB_mNS0_19identity_decomposerENS1_16block_id_wrapperIjLb1EEEEE10hipError_tT1_PNSt15iterator_traitsISG_E10value_typeET2_T3_PNSH_ISM_E10value_typeET4_T5_PSR_SS_PNS1_23onesweep_lookback_stateEbbT6_jjT7_P12ihipStream_tbENKUlT_T0_SG_SL_E_clIS9_SA_SB_SB_EEDaSZ_S10_SG_SL_EUlSZ_E_NS1_11comp_targetILNS1_3genE9ELNS1_11target_archE1100ELNS1_3gpuE3ELNS1_3repE0EEENS1_47radix_sort_onesweep_sort_config_static_selectorELNS0_4arch9wavefront6targetE0EEEvSG_.num_named_barrier, 0
	.set _ZN7rocprim17ROCPRIM_400000_NS6detail17trampoline_kernelINS0_14default_configENS1_35radix_sort_onesweep_config_selectorIhNS0_10empty_typeEEEZZNS1_29radix_sort_onesweep_iterationIS3_Lb1EPKhPhPS5_SB_mNS0_19identity_decomposerENS1_16block_id_wrapperIjLb1EEEEE10hipError_tT1_PNSt15iterator_traitsISG_E10value_typeET2_T3_PNSH_ISM_E10value_typeET4_T5_PSR_SS_PNS1_23onesweep_lookback_stateEbbT6_jjT7_P12ihipStream_tbENKUlT_T0_SG_SL_E_clIS9_SA_SB_SB_EEDaSZ_S10_SG_SL_EUlSZ_E_NS1_11comp_targetILNS1_3genE9ELNS1_11target_archE1100ELNS1_3gpuE3ELNS1_3repE0EEENS1_47radix_sort_onesweep_sort_config_static_selectorELNS0_4arch9wavefront6targetE0EEEvSG_.private_seg_size, 0
	.set _ZN7rocprim17ROCPRIM_400000_NS6detail17trampoline_kernelINS0_14default_configENS1_35radix_sort_onesweep_config_selectorIhNS0_10empty_typeEEEZZNS1_29radix_sort_onesweep_iterationIS3_Lb1EPKhPhPS5_SB_mNS0_19identity_decomposerENS1_16block_id_wrapperIjLb1EEEEE10hipError_tT1_PNSt15iterator_traitsISG_E10value_typeET2_T3_PNSH_ISM_E10value_typeET4_T5_PSR_SS_PNS1_23onesweep_lookback_stateEbbT6_jjT7_P12ihipStream_tbENKUlT_T0_SG_SL_E_clIS9_SA_SB_SB_EEDaSZ_S10_SG_SL_EUlSZ_E_NS1_11comp_targetILNS1_3genE9ELNS1_11target_archE1100ELNS1_3gpuE3ELNS1_3repE0EEENS1_47radix_sort_onesweep_sort_config_static_selectorELNS0_4arch9wavefront6targetE0EEEvSG_.uses_vcc, 0
	.set _ZN7rocprim17ROCPRIM_400000_NS6detail17trampoline_kernelINS0_14default_configENS1_35radix_sort_onesweep_config_selectorIhNS0_10empty_typeEEEZZNS1_29radix_sort_onesweep_iterationIS3_Lb1EPKhPhPS5_SB_mNS0_19identity_decomposerENS1_16block_id_wrapperIjLb1EEEEE10hipError_tT1_PNSt15iterator_traitsISG_E10value_typeET2_T3_PNSH_ISM_E10value_typeET4_T5_PSR_SS_PNS1_23onesweep_lookback_stateEbbT6_jjT7_P12ihipStream_tbENKUlT_T0_SG_SL_E_clIS9_SA_SB_SB_EEDaSZ_S10_SG_SL_EUlSZ_E_NS1_11comp_targetILNS1_3genE9ELNS1_11target_archE1100ELNS1_3gpuE3ELNS1_3repE0EEENS1_47radix_sort_onesweep_sort_config_static_selectorELNS0_4arch9wavefront6targetE0EEEvSG_.uses_flat_scratch, 0
	.set _ZN7rocprim17ROCPRIM_400000_NS6detail17trampoline_kernelINS0_14default_configENS1_35radix_sort_onesweep_config_selectorIhNS0_10empty_typeEEEZZNS1_29radix_sort_onesweep_iterationIS3_Lb1EPKhPhPS5_SB_mNS0_19identity_decomposerENS1_16block_id_wrapperIjLb1EEEEE10hipError_tT1_PNSt15iterator_traitsISG_E10value_typeET2_T3_PNSH_ISM_E10value_typeET4_T5_PSR_SS_PNS1_23onesweep_lookback_stateEbbT6_jjT7_P12ihipStream_tbENKUlT_T0_SG_SL_E_clIS9_SA_SB_SB_EEDaSZ_S10_SG_SL_EUlSZ_E_NS1_11comp_targetILNS1_3genE9ELNS1_11target_archE1100ELNS1_3gpuE3ELNS1_3repE0EEENS1_47radix_sort_onesweep_sort_config_static_selectorELNS0_4arch9wavefront6targetE0EEEvSG_.has_dyn_sized_stack, 0
	.set _ZN7rocprim17ROCPRIM_400000_NS6detail17trampoline_kernelINS0_14default_configENS1_35radix_sort_onesweep_config_selectorIhNS0_10empty_typeEEEZZNS1_29radix_sort_onesweep_iterationIS3_Lb1EPKhPhPS5_SB_mNS0_19identity_decomposerENS1_16block_id_wrapperIjLb1EEEEE10hipError_tT1_PNSt15iterator_traitsISG_E10value_typeET2_T3_PNSH_ISM_E10value_typeET4_T5_PSR_SS_PNS1_23onesweep_lookback_stateEbbT6_jjT7_P12ihipStream_tbENKUlT_T0_SG_SL_E_clIS9_SA_SB_SB_EEDaSZ_S10_SG_SL_EUlSZ_E_NS1_11comp_targetILNS1_3genE9ELNS1_11target_archE1100ELNS1_3gpuE3ELNS1_3repE0EEENS1_47radix_sort_onesweep_sort_config_static_selectorELNS0_4arch9wavefront6targetE0EEEvSG_.has_recursion, 0
	.set _ZN7rocprim17ROCPRIM_400000_NS6detail17trampoline_kernelINS0_14default_configENS1_35radix_sort_onesweep_config_selectorIhNS0_10empty_typeEEEZZNS1_29radix_sort_onesweep_iterationIS3_Lb1EPKhPhPS5_SB_mNS0_19identity_decomposerENS1_16block_id_wrapperIjLb1EEEEE10hipError_tT1_PNSt15iterator_traitsISG_E10value_typeET2_T3_PNSH_ISM_E10value_typeET4_T5_PSR_SS_PNS1_23onesweep_lookback_stateEbbT6_jjT7_P12ihipStream_tbENKUlT_T0_SG_SL_E_clIS9_SA_SB_SB_EEDaSZ_S10_SG_SL_EUlSZ_E_NS1_11comp_targetILNS1_3genE9ELNS1_11target_archE1100ELNS1_3gpuE3ELNS1_3repE0EEENS1_47radix_sort_onesweep_sort_config_static_selectorELNS0_4arch9wavefront6targetE0EEEvSG_.has_indirect_call, 0
	.section	.AMDGPU.csdata,"",@progbits
; Kernel info:
; codeLenInByte = 0
; TotalNumSgprs: 0
; NumVgprs: 0
; ScratchSize: 0
; MemoryBound: 0
; FloatMode: 240
; IeeeMode: 1
; LDSByteSize: 0 bytes/workgroup (compile time only)
; SGPRBlocks: 0
; VGPRBlocks: 0
; NumSGPRsForWavesPerEU: 1
; NumVGPRsForWavesPerEU: 1
; NamedBarCnt: 0
; Occupancy: 16
; WaveLimiterHint : 0
; COMPUTE_PGM_RSRC2:SCRATCH_EN: 0
; COMPUTE_PGM_RSRC2:USER_SGPR: 2
; COMPUTE_PGM_RSRC2:TRAP_HANDLER: 0
; COMPUTE_PGM_RSRC2:TGID_X_EN: 1
; COMPUTE_PGM_RSRC2:TGID_Y_EN: 0
; COMPUTE_PGM_RSRC2:TGID_Z_EN: 0
; COMPUTE_PGM_RSRC2:TIDIG_COMP_CNT: 0
	.section	.text._ZN7rocprim17ROCPRIM_400000_NS6detail17trampoline_kernelINS0_14default_configENS1_35radix_sort_onesweep_config_selectorIhNS0_10empty_typeEEEZZNS1_29radix_sort_onesweep_iterationIS3_Lb1EPKhPhPS5_SB_mNS0_19identity_decomposerENS1_16block_id_wrapperIjLb1EEEEE10hipError_tT1_PNSt15iterator_traitsISG_E10value_typeET2_T3_PNSH_ISM_E10value_typeET4_T5_PSR_SS_PNS1_23onesweep_lookback_stateEbbT6_jjT7_P12ihipStream_tbENKUlT_T0_SG_SL_E_clIS9_SA_SB_SB_EEDaSZ_S10_SG_SL_EUlSZ_E_NS1_11comp_targetILNS1_3genE8ELNS1_11target_archE1030ELNS1_3gpuE2ELNS1_3repE0EEENS1_47radix_sort_onesweep_sort_config_static_selectorELNS0_4arch9wavefront6targetE0EEEvSG_,"axG",@progbits,_ZN7rocprim17ROCPRIM_400000_NS6detail17trampoline_kernelINS0_14default_configENS1_35radix_sort_onesweep_config_selectorIhNS0_10empty_typeEEEZZNS1_29radix_sort_onesweep_iterationIS3_Lb1EPKhPhPS5_SB_mNS0_19identity_decomposerENS1_16block_id_wrapperIjLb1EEEEE10hipError_tT1_PNSt15iterator_traitsISG_E10value_typeET2_T3_PNSH_ISM_E10value_typeET4_T5_PSR_SS_PNS1_23onesweep_lookback_stateEbbT6_jjT7_P12ihipStream_tbENKUlT_T0_SG_SL_E_clIS9_SA_SB_SB_EEDaSZ_S10_SG_SL_EUlSZ_E_NS1_11comp_targetILNS1_3genE8ELNS1_11target_archE1030ELNS1_3gpuE2ELNS1_3repE0EEENS1_47radix_sort_onesweep_sort_config_static_selectorELNS0_4arch9wavefront6targetE0EEEvSG_,comdat
	.protected	_ZN7rocprim17ROCPRIM_400000_NS6detail17trampoline_kernelINS0_14default_configENS1_35radix_sort_onesweep_config_selectorIhNS0_10empty_typeEEEZZNS1_29radix_sort_onesweep_iterationIS3_Lb1EPKhPhPS5_SB_mNS0_19identity_decomposerENS1_16block_id_wrapperIjLb1EEEEE10hipError_tT1_PNSt15iterator_traitsISG_E10value_typeET2_T3_PNSH_ISM_E10value_typeET4_T5_PSR_SS_PNS1_23onesweep_lookback_stateEbbT6_jjT7_P12ihipStream_tbENKUlT_T0_SG_SL_E_clIS9_SA_SB_SB_EEDaSZ_S10_SG_SL_EUlSZ_E_NS1_11comp_targetILNS1_3genE8ELNS1_11target_archE1030ELNS1_3gpuE2ELNS1_3repE0EEENS1_47radix_sort_onesweep_sort_config_static_selectorELNS0_4arch9wavefront6targetE0EEEvSG_ ; -- Begin function _ZN7rocprim17ROCPRIM_400000_NS6detail17trampoline_kernelINS0_14default_configENS1_35radix_sort_onesweep_config_selectorIhNS0_10empty_typeEEEZZNS1_29radix_sort_onesweep_iterationIS3_Lb1EPKhPhPS5_SB_mNS0_19identity_decomposerENS1_16block_id_wrapperIjLb1EEEEE10hipError_tT1_PNSt15iterator_traitsISG_E10value_typeET2_T3_PNSH_ISM_E10value_typeET4_T5_PSR_SS_PNS1_23onesweep_lookback_stateEbbT6_jjT7_P12ihipStream_tbENKUlT_T0_SG_SL_E_clIS9_SA_SB_SB_EEDaSZ_S10_SG_SL_EUlSZ_E_NS1_11comp_targetILNS1_3genE8ELNS1_11target_archE1030ELNS1_3gpuE2ELNS1_3repE0EEENS1_47radix_sort_onesweep_sort_config_static_selectorELNS0_4arch9wavefront6targetE0EEEvSG_
	.globl	_ZN7rocprim17ROCPRIM_400000_NS6detail17trampoline_kernelINS0_14default_configENS1_35radix_sort_onesweep_config_selectorIhNS0_10empty_typeEEEZZNS1_29radix_sort_onesweep_iterationIS3_Lb1EPKhPhPS5_SB_mNS0_19identity_decomposerENS1_16block_id_wrapperIjLb1EEEEE10hipError_tT1_PNSt15iterator_traitsISG_E10value_typeET2_T3_PNSH_ISM_E10value_typeET4_T5_PSR_SS_PNS1_23onesweep_lookback_stateEbbT6_jjT7_P12ihipStream_tbENKUlT_T0_SG_SL_E_clIS9_SA_SB_SB_EEDaSZ_S10_SG_SL_EUlSZ_E_NS1_11comp_targetILNS1_3genE8ELNS1_11target_archE1030ELNS1_3gpuE2ELNS1_3repE0EEENS1_47radix_sort_onesweep_sort_config_static_selectorELNS0_4arch9wavefront6targetE0EEEvSG_
	.p2align	8
	.type	_ZN7rocprim17ROCPRIM_400000_NS6detail17trampoline_kernelINS0_14default_configENS1_35radix_sort_onesweep_config_selectorIhNS0_10empty_typeEEEZZNS1_29radix_sort_onesweep_iterationIS3_Lb1EPKhPhPS5_SB_mNS0_19identity_decomposerENS1_16block_id_wrapperIjLb1EEEEE10hipError_tT1_PNSt15iterator_traitsISG_E10value_typeET2_T3_PNSH_ISM_E10value_typeET4_T5_PSR_SS_PNS1_23onesweep_lookback_stateEbbT6_jjT7_P12ihipStream_tbENKUlT_T0_SG_SL_E_clIS9_SA_SB_SB_EEDaSZ_S10_SG_SL_EUlSZ_E_NS1_11comp_targetILNS1_3genE8ELNS1_11target_archE1030ELNS1_3gpuE2ELNS1_3repE0EEENS1_47radix_sort_onesweep_sort_config_static_selectorELNS0_4arch9wavefront6targetE0EEEvSG_,@function
_ZN7rocprim17ROCPRIM_400000_NS6detail17trampoline_kernelINS0_14default_configENS1_35radix_sort_onesweep_config_selectorIhNS0_10empty_typeEEEZZNS1_29radix_sort_onesweep_iterationIS3_Lb1EPKhPhPS5_SB_mNS0_19identity_decomposerENS1_16block_id_wrapperIjLb1EEEEE10hipError_tT1_PNSt15iterator_traitsISG_E10value_typeET2_T3_PNSH_ISM_E10value_typeET4_T5_PSR_SS_PNS1_23onesweep_lookback_stateEbbT6_jjT7_P12ihipStream_tbENKUlT_T0_SG_SL_E_clIS9_SA_SB_SB_EEDaSZ_S10_SG_SL_EUlSZ_E_NS1_11comp_targetILNS1_3genE8ELNS1_11target_archE1030ELNS1_3gpuE2ELNS1_3repE0EEENS1_47radix_sort_onesweep_sort_config_static_selectorELNS0_4arch9wavefront6targetE0EEEvSG_: ; @_ZN7rocprim17ROCPRIM_400000_NS6detail17trampoline_kernelINS0_14default_configENS1_35radix_sort_onesweep_config_selectorIhNS0_10empty_typeEEEZZNS1_29radix_sort_onesweep_iterationIS3_Lb1EPKhPhPS5_SB_mNS0_19identity_decomposerENS1_16block_id_wrapperIjLb1EEEEE10hipError_tT1_PNSt15iterator_traitsISG_E10value_typeET2_T3_PNSH_ISM_E10value_typeET4_T5_PSR_SS_PNS1_23onesweep_lookback_stateEbbT6_jjT7_P12ihipStream_tbENKUlT_T0_SG_SL_E_clIS9_SA_SB_SB_EEDaSZ_S10_SG_SL_EUlSZ_E_NS1_11comp_targetILNS1_3genE8ELNS1_11target_archE1030ELNS1_3gpuE2ELNS1_3repE0EEENS1_47radix_sort_onesweep_sort_config_static_selectorELNS0_4arch9wavefront6targetE0EEEvSG_
; %bb.0:
	.section	.rodata,"a",@progbits
	.p2align	6, 0x0
	.amdhsa_kernel _ZN7rocprim17ROCPRIM_400000_NS6detail17trampoline_kernelINS0_14default_configENS1_35radix_sort_onesweep_config_selectorIhNS0_10empty_typeEEEZZNS1_29radix_sort_onesweep_iterationIS3_Lb1EPKhPhPS5_SB_mNS0_19identity_decomposerENS1_16block_id_wrapperIjLb1EEEEE10hipError_tT1_PNSt15iterator_traitsISG_E10value_typeET2_T3_PNSH_ISM_E10value_typeET4_T5_PSR_SS_PNS1_23onesweep_lookback_stateEbbT6_jjT7_P12ihipStream_tbENKUlT_T0_SG_SL_E_clIS9_SA_SB_SB_EEDaSZ_S10_SG_SL_EUlSZ_E_NS1_11comp_targetILNS1_3genE8ELNS1_11target_archE1030ELNS1_3gpuE2ELNS1_3repE0EEENS1_47radix_sort_onesweep_sort_config_static_selectorELNS0_4arch9wavefront6targetE0EEEvSG_
		.amdhsa_group_segment_fixed_size 0
		.amdhsa_private_segment_fixed_size 0
		.amdhsa_kernarg_size 88
		.amdhsa_user_sgpr_count 2
		.amdhsa_user_sgpr_dispatch_ptr 0
		.amdhsa_user_sgpr_queue_ptr 0
		.amdhsa_user_sgpr_kernarg_segment_ptr 1
		.amdhsa_user_sgpr_dispatch_id 0
		.amdhsa_user_sgpr_kernarg_preload_length 0
		.amdhsa_user_sgpr_kernarg_preload_offset 0
		.amdhsa_user_sgpr_private_segment_size 0
		.amdhsa_wavefront_size32 1
		.amdhsa_uses_dynamic_stack 0
		.amdhsa_enable_private_segment 0
		.amdhsa_system_sgpr_workgroup_id_x 1
		.amdhsa_system_sgpr_workgroup_id_y 0
		.amdhsa_system_sgpr_workgroup_id_z 0
		.amdhsa_system_sgpr_workgroup_info 0
		.amdhsa_system_vgpr_workitem_id 0
		.amdhsa_next_free_vgpr 1
		.amdhsa_next_free_sgpr 1
		.amdhsa_named_barrier_count 0
		.amdhsa_reserve_vcc 0
		.amdhsa_float_round_mode_32 0
		.amdhsa_float_round_mode_16_64 0
		.amdhsa_float_denorm_mode_32 3
		.amdhsa_float_denorm_mode_16_64 3
		.amdhsa_fp16_overflow 0
		.amdhsa_memory_ordered 1
		.amdhsa_forward_progress 1
		.amdhsa_inst_pref_size 0
		.amdhsa_round_robin_scheduling 0
		.amdhsa_exception_fp_ieee_invalid_op 0
		.amdhsa_exception_fp_denorm_src 0
		.amdhsa_exception_fp_ieee_div_zero 0
		.amdhsa_exception_fp_ieee_overflow 0
		.amdhsa_exception_fp_ieee_underflow 0
		.amdhsa_exception_fp_ieee_inexact 0
		.amdhsa_exception_int_div_zero 0
	.end_amdhsa_kernel
	.section	.text._ZN7rocprim17ROCPRIM_400000_NS6detail17trampoline_kernelINS0_14default_configENS1_35radix_sort_onesweep_config_selectorIhNS0_10empty_typeEEEZZNS1_29radix_sort_onesweep_iterationIS3_Lb1EPKhPhPS5_SB_mNS0_19identity_decomposerENS1_16block_id_wrapperIjLb1EEEEE10hipError_tT1_PNSt15iterator_traitsISG_E10value_typeET2_T3_PNSH_ISM_E10value_typeET4_T5_PSR_SS_PNS1_23onesweep_lookback_stateEbbT6_jjT7_P12ihipStream_tbENKUlT_T0_SG_SL_E_clIS9_SA_SB_SB_EEDaSZ_S10_SG_SL_EUlSZ_E_NS1_11comp_targetILNS1_3genE8ELNS1_11target_archE1030ELNS1_3gpuE2ELNS1_3repE0EEENS1_47radix_sort_onesweep_sort_config_static_selectorELNS0_4arch9wavefront6targetE0EEEvSG_,"axG",@progbits,_ZN7rocprim17ROCPRIM_400000_NS6detail17trampoline_kernelINS0_14default_configENS1_35radix_sort_onesweep_config_selectorIhNS0_10empty_typeEEEZZNS1_29radix_sort_onesweep_iterationIS3_Lb1EPKhPhPS5_SB_mNS0_19identity_decomposerENS1_16block_id_wrapperIjLb1EEEEE10hipError_tT1_PNSt15iterator_traitsISG_E10value_typeET2_T3_PNSH_ISM_E10value_typeET4_T5_PSR_SS_PNS1_23onesweep_lookback_stateEbbT6_jjT7_P12ihipStream_tbENKUlT_T0_SG_SL_E_clIS9_SA_SB_SB_EEDaSZ_S10_SG_SL_EUlSZ_E_NS1_11comp_targetILNS1_3genE8ELNS1_11target_archE1030ELNS1_3gpuE2ELNS1_3repE0EEENS1_47radix_sort_onesweep_sort_config_static_selectorELNS0_4arch9wavefront6targetE0EEEvSG_,comdat
.Lfunc_end116:
	.size	_ZN7rocprim17ROCPRIM_400000_NS6detail17trampoline_kernelINS0_14default_configENS1_35radix_sort_onesweep_config_selectorIhNS0_10empty_typeEEEZZNS1_29radix_sort_onesweep_iterationIS3_Lb1EPKhPhPS5_SB_mNS0_19identity_decomposerENS1_16block_id_wrapperIjLb1EEEEE10hipError_tT1_PNSt15iterator_traitsISG_E10value_typeET2_T3_PNSH_ISM_E10value_typeET4_T5_PSR_SS_PNS1_23onesweep_lookback_stateEbbT6_jjT7_P12ihipStream_tbENKUlT_T0_SG_SL_E_clIS9_SA_SB_SB_EEDaSZ_S10_SG_SL_EUlSZ_E_NS1_11comp_targetILNS1_3genE8ELNS1_11target_archE1030ELNS1_3gpuE2ELNS1_3repE0EEENS1_47radix_sort_onesweep_sort_config_static_selectorELNS0_4arch9wavefront6targetE0EEEvSG_, .Lfunc_end116-_ZN7rocprim17ROCPRIM_400000_NS6detail17trampoline_kernelINS0_14default_configENS1_35radix_sort_onesweep_config_selectorIhNS0_10empty_typeEEEZZNS1_29radix_sort_onesweep_iterationIS3_Lb1EPKhPhPS5_SB_mNS0_19identity_decomposerENS1_16block_id_wrapperIjLb1EEEEE10hipError_tT1_PNSt15iterator_traitsISG_E10value_typeET2_T3_PNSH_ISM_E10value_typeET4_T5_PSR_SS_PNS1_23onesweep_lookback_stateEbbT6_jjT7_P12ihipStream_tbENKUlT_T0_SG_SL_E_clIS9_SA_SB_SB_EEDaSZ_S10_SG_SL_EUlSZ_E_NS1_11comp_targetILNS1_3genE8ELNS1_11target_archE1030ELNS1_3gpuE2ELNS1_3repE0EEENS1_47radix_sort_onesweep_sort_config_static_selectorELNS0_4arch9wavefront6targetE0EEEvSG_
                                        ; -- End function
	.set _ZN7rocprim17ROCPRIM_400000_NS6detail17trampoline_kernelINS0_14default_configENS1_35radix_sort_onesweep_config_selectorIhNS0_10empty_typeEEEZZNS1_29radix_sort_onesweep_iterationIS3_Lb1EPKhPhPS5_SB_mNS0_19identity_decomposerENS1_16block_id_wrapperIjLb1EEEEE10hipError_tT1_PNSt15iterator_traitsISG_E10value_typeET2_T3_PNSH_ISM_E10value_typeET4_T5_PSR_SS_PNS1_23onesweep_lookback_stateEbbT6_jjT7_P12ihipStream_tbENKUlT_T0_SG_SL_E_clIS9_SA_SB_SB_EEDaSZ_S10_SG_SL_EUlSZ_E_NS1_11comp_targetILNS1_3genE8ELNS1_11target_archE1030ELNS1_3gpuE2ELNS1_3repE0EEENS1_47radix_sort_onesweep_sort_config_static_selectorELNS0_4arch9wavefront6targetE0EEEvSG_.num_vgpr, 0
	.set _ZN7rocprim17ROCPRIM_400000_NS6detail17trampoline_kernelINS0_14default_configENS1_35radix_sort_onesweep_config_selectorIhNS0_10empty_typeEEEZZNS1_29radix_sort_onesweep_iterationIS3_Lb1EPKhPhPS5_SB_mNS0_19identity_decomposerENS1_16block_id_wrapperIjLb1EEEEE10hipError_tT1_PNSt15iterator_traitsISG_E10value_typeET2_T3_PNSH_ISM_E10value_typeET4_T5_PSR_SS_PNS1_23onesweep_lookback_stateEbbT6_jjT7_P12ihipStream_tbENKUlT_T0_SG_SL_E_clIS9_SA_SB_SB_EEDaSZ_S10_SG_SL_EUlSZ_E_NS1_11comp_targetILNS1_3genE8ELNS1_11target_archE1030ELNS1_3gpuE2ELNS1_3repE0EEENS1_47radix_sort_onesweep_sort_config_static_selectorELNS0_4arch9wavefront6targetE0EEEvSG_.num_agpr, 0
	.set _ZN7rocprim17ROCPRIM_400000_NS6detail17trampoline_kernelINS0_14default_configENS1_35radix_sort_onesweep_config_selectorIhNS0_10empty_typeEEEZZNS1_29radix_sort_onesweep_iterationIS3_Lb1EPKhPhPS5_SB_mNS0_19identity_decomposerENS1_16block_id_wrapperIjLb1EEEEE10hipError_tT1_PNSt15iterator_traitsISG_E10value_typeET2_T3_PNSH_ISM_E10value_typeET4_T5_PSR_SS_PNS1_23onesweep_lookback_stateEbbT6_jjT7_P12ihipStream_tbENKUlT_T0_SG_SL_E_clIS9_SA_SB_SB_EEDaSZ_S10_SG_SL_EUlSZ_E_NS1_11comp_targetILNS1_3genE8ELNS1_11target_archE1030ELNS1_3gpuE2ELNS1_3repE0EEENS1_47radix_sort_onesweep_sort_config_static_selectorELNS0_4arch9wavefront6targetE0EEEvSG_.numbered_sgpr, 0
	.set _ZN7rocprim17ROCPRIM_400000_NS6detail17trampoline_kernelINS0_14default_configENS1_35radix_sort_onesweep_config_selectorIhNS0_10empty_typeEEEZZNS1_29radix_sort_onesweep_iterationIS3_Lb1EPKhPhPS5_SB_mNS0_19identity_decomposerENS1_16block_id_wrapperIjLb1EEEEE10hipError_tT1_PNSt15iterator_traitsISG_E10value_typeET2_T3_PNSH_ISM_E10value_typeET4_T5_PSR_SS_PNS1_23onesweep_lookback_stateEbbT6_jjT7_P12ihipStream_tbENKUlT_T0_SG_SL_E_clIS9_SA_SB_SB_EEDaSZ_S10_SG_SL_EUlSZ_E_NS1_11comp_targetILNS1_3genE8ELNS1_11target_archE1030ELNS1_3gpuE2ELNS1_3repE0EEENS1_47radix_sort_onesweep_sort_config_static_selectorELNS0_4arch9wavefront6targetE0EEEvSG_.num_named_barrier, 0
	.set _ZN7rocprim17ROCPRIM_400000_NS6detail17trampoline_kernelINS0_14default_configENS1_35radix_sort_onesweep_config_selectorIhNS0_10empty_typeEEEZZNS1_29radix_sort_onesweep_iterationIS3_Lb1EPKhPhPS5_SB_mNS0_19identity_decomposerENS1_16block_id_wrapperIjLb1EEEEE10hipError_tT1_PNSt15iterator_traitsISG_E10value_typeET2_T3_PNSH_ISM_E10value_typeET4_T5_PSR_SS_PNS1_23onesweep_lookback_stateEbbT6_jjT7_P12ihipStream_tbENKUlT_T0_SG_SL_E_clIS9_SA_SB_SB_EEDaSZ_S10_SG_SL_EUlSZ_E_NS1_11comp_targetILNS1_3genE8ELNS1_11target_archE1030ELNS1_3gpuE2ELNS1_3repE0EEENS1_47radix_sort_onesweep_sort_config_static_selectorELNS0_4arch9wavefront6targetE0EEEvSG_.private_seg_size, 0
	.set _ZN7rocprim17ROCPRIM_400000_NS6detail17trampoline_kernelINS0_14default_configENS1_35radix_sort_onesweep_config_selectorIhNS0_10empty_typeEEEZZNS1_29radix_sort_onesweep_iterationIS3_Lb1EPKhPhPS5_SB_mNS0_19identity_decomposerENS1_16block_id_wrapperIjLb1EEEEE10hipError_tT1_PNSt15iterator_traitsISG_E10value_typeET2_T3_PNSH_ISM_E10value_typeET4_T5_PSR_SS_PNS1_23onesweep_lookback_stateEbbT6_jjT7_P12ihipStream_tbENKUlT_T0_SG_SL_E_clIS9_SA_SB_SB_EEDaSZ_S10_SG_SL_EUlSZ_E_NS1_11comp_targetILNS1_3genE8ELNS1_11target_archE1030ELNS1_3gpuE2ELNS1_3repE0EEENS1_47radix_sort_onesweep_sort_config_static_selectorELNS0_4arch9wavefront6targetE0EEEvSG_.uses_vcc, 0
	.set _ZN7rocprim17ROCPRIM_400000_NS6detail17trampoline_kernelINS0_14default_configENS1_35radix_sort_onesweep_config_selectorIhNS0_10empty_typeEEEZZNS1_29radix_sort_onesweep_iterationIS3_Lb1EPKhPhPS5_SB_mNS0_19identity_decomposerENS1_16block_id_wrapperIjLb1EEEEE10hipError_tT1_PNSt15iterator_traitsISG_E10value_typeET2_T3_PNSH_ISM_E10value_typeET4_T5_PSR_SS_PNS1_23onesweep_lookback_stateEbbT6_jjT7_P12ihipStream_tbENKUlT_T0_SG_SL_E_clIS9_SA_SB_SB_EEDaSZ_S10_SG_SL_EUlSZ_E_NS1_11comp_targetILNS1_3genE8ELNS1_11target_archE1030ELNS1_3gpuE2ELNS1_3repE0EEENS1_47radix_sort_onesweep_sort_config_static_selectorELNS0_4arch9wavefront6targetE0EEEvSG_.uses_flat_scratch, 0
	.set _ZN7rocprim17ROCPRIM_400000_NS6detail17trampoline_kernelINS0_14default_configENS1_35radix_sort_onesweep_config_selectorIhNS0_10empty_typeEEEZZNS1_29radix_sort_onesweep_iterationIS3_Lb1EPKhPhPS5_SB_mNS0_19identity_decomposerENS1_16block_id_wrapperIjLb1EEEEE10hipError_tT1_PNSt15iterator_traitsISG_E10value_typeET2_T3_PNSH_ISM_E10value_typeET4_T5_PSR_SS_PNS1_23onesweep_lookback_stateEbbT6_jjT7_P12ihipStream_tbENKUlT_T0_SG_SL_E_clIS9_SA_SB_SB_EEDaSZ_S10_SG_SL_EUlSZ_E_NS1_11comp_targetILNS1_3genE8ELNS1_11target_archE1030ELNS1_3gpuE2ELNS1_3repE0EEENS1_47radix_sort_onesweep_sort_config_static_selectorELNS0_4arch9wavefront6targetE0EEEvSG_.has_dyn_sized_stack, 0
	.set _ZN7rocprim17ROCPRIM_400000_NS6detail17trampoline_kernelINS0_14default_configENS1_35radix_sort_onesweep_config_selectorIhNS0_10empty_typeEEEZZNS1_29radix_sort_onesweep_iterationIS3_Lb1EPKhPhPS5_SB_mNS0_19identity_decomposerENS1_16block_id_wrapperIjLb1EEEEE10hipError_tT1_PNSt15iterator_traitsISG_E10value_typeET2_T3_PNSH_ISM_E10value_typeET4_T5_PSR_SS_PNS1_23onesweep_lookback_stateEbbT6_jjT7_P12ihipStream_tbENKUlT_T0_SG_SL_E_clIS9_SA_SB_SB_EEDaSZ_S10_SG_SL_EUlSZ_E_NS1_11comp_targetILNS1_3genE8ELNS1_11target_archE1030ELNS1_3gpuE2ELNS1_3repE0EEENS1_47radix_sort_onesweep_sort_config_static_selectorELNS0_4arch9wavefront6targetE0EEEvSG_.has_recursion, 0
	.set _ZN7rocprim17ROCPRIM_400000_NS6detail17trampoline_kernelINS0_14default_configENS1_35radix_sort_onesweep_config_selectorIhNS0_10empty_typeEEEZZNS1_29radix_sort_onesweep_iterationIS3_Lb1EPKhPhPS5_SB_mNS0_19identity_decomposerENS1_16block_id_wrapperIjLb1EEEEE10hipError_tT1_PNSt15iterator_traitsISG_E10value_typeET2_T3_PNSH_ISM_E10value_typeET4_T5_PSR_SS_PNS1_23onesweep_lookback_stateEbbT6_jjT7_P12ihipStream_tbENKUlT_T0_SG_SL_E_clIS9_SA_SB_SB_EEDaSZ_S10_SG_SL_EUlSZ_E_NS1_11comp_targetILNS1_3genE8ELNS1_11target_archE1030ELNS1_3gpuE2ELNS1_3repE0EEENS1_47radix_sort_onesweep_sort_config_static_selectorELNS0_4arch9wavefront6targetE0EEEvSG_.has_indirect_call, 0
	.section	.AMDGPU.csdata,"",@progbits
; Kernel info:
; codeLenInByte = 0
; TotalNumSgprs: 0
; NumVgprs: 0
; ScratchSize: 0
; MemoryBound: 0
; FloatMode: 240
; IeeeMode: 1
; LDSByteSize: 0 bytes/workgroup (compile time only)
; SGPRBlocks: 0
; VGPRBlocks: 0
; NumSGPRsForWavesPerEU: 1
; NumVGPRsForWavesPerEU: 1
; NamedBarCnt: 0
; Occupancy: 16
; WaveLimiterHint : 0
; COMPUTE_PGM_RSRC2:SCRATCH_EN: 0
; COMPUTE_PGM_RSRC2:USER_SGPR: 2
; COMPUTE_PGM_RSRC2:TRAP_HANDLER: 0
; COMPUTE_PGM_RSRC2:TGID_X_EN: 1
; COMPUTE_PGM_RSRC2:TGID_Y_EN: 0
; COMPUTE_PGM_RSRC2:TGID_Z_EN: 0
; COMPUTE_PGM_RSRC2:TIDIG_COMP_CNT: 0
	.section	.text._ZN7rocprim17ROCPRIM_400000_NS6detail17trampoline_kernelINS0_14default_configENS1_35radix_sort_onesweep_config_selectorIhNS0_10empty_typeEEEZZNS1_29radix_sort_onesweep_iterationIS3_Lb1EPKhPhPS5_SB_mNS0_19identity_decomposerENS1_16block_id_wrapperIjLb1EEEEE10hipError_tT1_PNSt15iterator_traitsISG_E10value_typeET2_T3_PNSH_ISM_E10value_typeET4_T5_PSR_SS_PNS1_23onesweep_lookback_stateEbbT6_jjT7_P12ihipStream_tbENKUlT_T0_SG_SL_E_clISA_SA_SB_SB_EEDaSZ_S10_SG_SL_EUlSZ_E_NS1_11comp_targetILNS1_3genE0ELNS1_11target_archE4294967295ELNS1_3gpuE0ELNS1_3repE0EEENS1_47radix_sort_onesweep_sort_config_static_selectorELNS0_4arch9wavefront6targetE0EEEvSG_,"axG",@progbits,_ZN7rocprim17ROCPRIM_400000_NS6detail17trampoline_kernelINS0_14default_configENS1_35radix_sort_onesweep_config_selectorIhNS0_10empty_typeEEEZZNS1_29radix_sort_onesweep_iterationIS3_Lb1EPKhPhPS5_SB_mNS0_19identity_decomposerENS1_16block_id_wrapperIjLb1EEEEE10hipError_tT1_PNSt15iterator_traitsISG_E10value_typeET2_T3_PNSH_ISM_E10value_typeET4_T5_PSR_SS_PNS1_23onesweep_lookback_stateEbbT6_jjT7_P12ihipStream_tbENKUlT_T0_SG_SL_E_clISA_SA_SB_SB_EEDaSZ_S10_SG_SL_EUlSZ_E_NS1_11comp_targetILNS1_3genE0ELNS1_11target_archE4294967295ELNS1_3gpuE0ELNS1_3repE0EEENS1_47radix_sort_onesweep_sort_config_static_selectorELNS0_4arch9wavefront6targetE0EEEvSG_,comdat
	.protected	_ZN7rocprim17ROCPRIM_400000_NS6detail17trampoline_kernelINS0_14default_configENS1_35radix_sort_onesweep_config_selectorIhNS0_10empty_typeEEEZZNS1_29radix_sort_onesweep_iterationIS3_Lb1EPKhPhPS5_SB_mNS0_19identity_decomposerENS1_16block_id_wrapperIjLb1EEEEE10hipError_tT1_PNSt15iterator_traitsISG_E10value_typeET2_T3_PNSH_ISM_E10value_typeET4_T5_PSR_SS_PNS1_23onesweep_lookback_stateEbbT6_jjT7_P12ihipStream_tbENKUlT_T0_SG_SL_E_clISA_SA_SB_SB_EEDaSZ_S10_SG_SL_EUlSZ_E_NS1_11comp_targetILNS1_3genE0ELNS1_11target_archE4294967295ELNS1_3gpuE0ELNS1_3repE0EEENS1_47radix_sort_onesweep_sort_config_static_selectorELNS0_4arch9wavefront6targetE0EEEvSG_ ; -- Begin function _ZN7rocprim17ROCPRIM_400000_NS6detail17trampoline_kernelINS0_14default_configENS1_35radix_sort_onesweep_config_selectorIhNS0_10empty_typeEEEZZNS1_29radix_sort_onesweep_iterationIS3_Lb1EPKhPhPS5_SB_mNS0_19identity_decomposerENS1_16block_id_wrapperIjLb1EEEEE10hipError_tT1_PNSt15iterator_traitsISG_E10value_typeET2_T3_PNSH_ISM_E10value_typeET4_T5_PSR_SS_PNS1_23onesweep_lookback_stateEbbT6_jjT7_P12ihipStream_tbENKUlT_T0_SG_SL_E_clISA_SA_SB_SB_EEDaSZ_S10_SG_SL_EUlSZ_E_NS1_11comp_targetILNS1_3genE0ELNS1_11target_archE4294967295ELNS1_3gpuE0ELNS1_3repE0EEENS1_47radix_sort_onesweep_sort_config_static_selectorELNS0_4arch9wavefront6targetE0EEEvSG_
	.globl	_ZN7rocprim17ROCPRIM_400000_NS6detail17trampoline_kernelINS0_14default_configENS1_35radix_sort_onesweep_config_selectorIhNS0_10empty_typeEEEZZNS1_29radix_sort_onesweep_iterationIS3_Lb1EPKhPhPS5_SB_mNS0_19identity_decomposerENS1_16block_id_wrapperIjLb1EEEEE10hipError_tT1_PNSt15iterator_traitsISG_E10value_typeET2_T3_PNSH_ISM_E10value_typeET4_T5_PSR_SS_PNS1_23onesweep_lookback_stateEbbT6_jjT7_P12ihipStream_tbENKUlT_T0_SG_SL_E_clISA_SA_SB_SB_EEDaSZ_S10_SG_SL_EUlSZ_E_NS1_11comp_targetILNS1_3genE0ELNS1_11target_archE4294967295ELNS1_3gpuE0ELNS1_3repE0EEENS1_47radix_sort_onesweep_sort_config_static_selectorELNS0_4arch9wavefront6targetE0EEEvSG_
	.p2align	8
	.type	_ZN7rocprim17ROCPRIM_400000_NS6detail17trampoline_kernelINS0_14default_configENS1_35radix_sort_onesweep_config_selectorIhNS0_10empty_typeEEEZZNS1_29radix_sort_onesweep_iterationIS3_Lb1EPKhPhPS5_SB_mNS0_19identity_decomposerENS1_16block_id_wrapperIjLb1EEEEE10hipError_tT1_PNSt15iterator_traitsISG_E10value_typeET2_T3_PNSH_ISM_E10value_typeET4_T5_PSR_SS_PNS1_23onesweep_lookback_stateEbbT6_jjT7_P12ihipStream_tbENKUlT_T0_SG_SL_E_clISA_SA_SB_SB_EEDaSZ_S10_SG_SL_EUlSZ_E_NS1_11comp_targetILNS1_3genE0ELNS1_11target_archE4294967295ELNS1_3gpuE0ELNS1_3repE0EEENS1_47radix_sort_onesweep_sort_config_static_selectorELNS0_4arch9wavefront6targetE0EEEvSG_,@function
_ZN7rocprim17ROCPRIM_400000_NS6detail17trampoline_kernelINS0_14default_configENS1_35radix_sort_onesweep_config_selectorIhNS0_10empty_typeEEEZZNS1_29radix_sort_onesweep_iterationIS3_Lb1EPKhPhPS5_SB_mNS0_19identity_decomposerENS1_16block_id_wrapperIjLb1EEEEE10hipError_tT1_PNSt15iterator_traitsISG_E10value_typeET2_T3_PNSH_ISM_E10value_typeET4_T5_PSR_SS_PNS1_23onesweep_lookback_stateEbbT6_jjT7_P12ihipStream_tbENKUlT_T0_SG_SL_E_clISA_SA_SB_SB_EEDaSZ_S10_SG_SL_EUlSZ_E_NS1_11comp_targetILNS1_3genE0ELNS1_11target_archE4294967295ELNS1_3gpuE0ELNS1_3repE0EEENS1_47radix_sort_onesweep_sort_config_static_selectorELNS0_4arch9wavefront6targetE0EEEvSG_: ; @_ZN7rocprim17ROCPRIM_400000_NS6detail17trampoline_kernelINS0_14default_configENS1_35radix_sort_onesweep_config_selectorIhNS0_10empty_typeEEEZZNS1_29radix_sort_onesweep_iterationIS3_Lb1EPKhPhPS5_SB_mNS0_19identity_decomposerENS1_16block_id_wrapperIjLb1EEEEE10hipError_tT1_PNSt15iterator_traitsISG_E10value_typeET2_T3_PNSH_ISM_E10value_typeET4_T5_PSR_SS_PNS1_23onesweep_lookback_stateEbbT6_jjT7_P12ihipStream_tbENKUlT_T0_SG_SL_E_clISA_SA_SB_SB_EEDaSZ_S10_SG_SL_EUlSZ_E_NS1_11comp_targetILNS1_3genE0ELNS1_11target_archE4294967295ELNS1_3gpuE0ELNS1_3repE0EEENS1_47radix_sort_onesweep_sort_config_static_selectorELNS0_4arch9wavefront6targetE0EEEvSG_
; %bb.0:
	s_clause 0x1
	s_load_b128 s[8:11], s[0:1], 0x28
	s_load_b64 s[20:21], s[0:1], 0x38
	s_mov_b32 s2, exec_lo
	v_cmpx_eq_u32_e32 0, v0
	s_cbranch_execz .LBB117_4
; %bb.1:
	s_mov_b32 s4, exec_lo
	s_mov_b32 s3, exec_lo
	v_mbcnt_lo_u32_b32 v1, s4, 0
                                        ; implicit-def: $vgpr2
	s_delay_alu instid0(VALU_DEP_1)
	v_cmpx_eq_u32_e32 0, v1
	s_cbranch_execz .LBB117_3
; %bb.2:
	s_load_b64 s[6:7], s[0:1], 0x50
	s_bcnt1_i32_b32 s4, s4
	s_delay_alu instid0(SALU_CYCLE_1)
	v_dual_mov_b32 v2, 0 :: v_dual_mov_b32 v3, s4
	s_wait_xcnt 0x0
	s_wait_kmcnt 0x0
	global_atomic_add_u32 v2, v2, v3, s[6:7] th:TH_ATOMIC_RETURN scope:SCOPE_DEV
.LBB117_3:
	s_wait_xcnt 0x0
	s_or_b32 exec_lo, exec_lo, s3
	s_wait_loadcnt 0x0
	v_readfirstlane_b32 s3, v2
	s_delay_alu instid0(VALU_DEP_1)
	v_dual_mov_b32 v2, 0 :: v_dual_add_nc_u32 v1, s3, v1
	ds_store_b32 v2, v1 offset:32896
.LBB117_4:
	s_or_b32 exec_lo, exec_lo, s2
	v_mov_b32_e32 v7, 0
	s_clause 0x2
	s_load_b128 s[12:15], s[0:1], 0x0
	s_load_b32 s2, s[0:1], 0x20
	s_load_b96 s[16:18], s[0:1], 0x44
	s_wait_dscnt 0x0
	s_barrier_signal -1
	s_barrier_wait -1
	ds_load_b32 v1, v7 offset:32896
	v_mul_u32_u24_e32 v6, 22, v0
	s_mov_b32 s3, -1
	s_wait_dscnt 0x0
	s_barrier_signal -1
	s_barrier_wait -1
	v_readfirstlane_b32 s19, v1
	s_wait_kmcnt 0x0
	v_cmp_le_u32_e32 vcc_lo, s18, v1
	s_mul_i32 s22, s19, 0x5800
	s_cbranch_vccz .LBB117_116
; %bb.5:
	s_mov_b32 s23, 0
	s_mulk_i32 s18, 0xa800
	s_add_nc_u64 s[4:5], s[12:13], s[22:23]
	s_add_co_i32 s18, s18, s2
	v_add_nc_u64_e32 v[2:3], s[4:5], v[6:7]
	v_cmp_gt_u32_e32 vcc_lo, s18, v6
	v_dual_mov_b32 v24, 0 :: v_dual_mov_b32 v23, 0
	v_dual_mov_b32 v22, 0 :: v_dual_mov_b32 v21, 0
	;; [unrolled: 1-line block ×10, first 2 shown]
	s_and_saveexec_b32 s2, vcc_lo
	s_cbranch_execz .LBB117_7
; %bb.6:
	global_load_u8 v24, v[2:3], off
	v_dual_mov_b32 v23, 0 :: v_dual_mov_b32 v22, 0
	v_dual_mov_b32 v21, 0 :: v_dual_mov_b32 v20, 0
	;; [unrolled: 1-line block ×9, first 2 shown]
	v_mov_b32_e32 v1, 0
.LBB117_7:
	s_wait_xcnt 0x0
	s_or_b32 exec_lo, exec_lo, s2
	v_or_b32_e32 v25, 1, v6
	s_delay_alu instid0(VALU_DEP_1)
	v_cmp_gt_u32_e32 vcc_lo, s18, v25
	v_mov_b32_e32 v25, v7
	s_and_saveexec_b32 s2, vcc_lo
	s_cbranch_execz .LBB117_9
; %bb.8:
	global_load_u8 v25, v[2:3], off offset:1
.LBB117_9:
	s_wait_xcnt 0x0
	s_or_b32 exec_lo, exec_lo, s2
	v_add_nc_u32_e32 v26, 2, v6
	s_mov_b32 s2, exec_lo
	s_delay_alu instid0(VALU_DEP_1)
	v_cmpx_gt_u32_e64 s18, v26
	s_cbranch_execz .LBB117_11
; %bb.10:
	global_load_u8 v7, v[2:3], off offset:2
.LBB117_11:
	s_wait_xcnt 0x0
	s_or_b32 exec_lo, exec_lo, s2
	v_add_nc_u32_e32 v26, 3, v6
	s_mov_b32 s2, exec_lo
	s_delay_alu instid0(VALU_DEP_1)
	v_cmpx_gt_u32_e64 s18, v26
	;; [unrolled: 10-line block ×20, first 2 shown]
	s_cbranch_execz .LBB117_49
; %bb.48:
	global_load_u8 v1, v[2:3], off offset:21
.LBB117_49:
	s_wait_xcnt 0x0
	s_or_b32 exec_lo, exec_lo, s2
	s_wait_loadcnt 0x0
	v_xor_b32_e32 v24, -1, v24
	s_lshl_b32 s23, -1, s17
	v_dual_mov_b32 v27, 0 :: v_dual_lshlrev_b32 v26, 2, v0
	v_xor_b32_e32 v25, -1, v25
	s_delay_alu instid0(VALU_DEP_3)
	v_and_b32_e32 v2, 0xff, v24
	v_xor_b32_e32 v7, -1, v7
	v_xor_b32_e32 v23, -1, v23
	ds_store_2addr_stride64_b32 v26, v27, v27 offset1:16
	ds_store_2addr_stride64_b32 v26, v27, v27 offset0:32 offset1:48
	ds_store_2addr_stride64_b32 v26, v27, v27 offset0:64 offset1:80
	ds_store_2addr_stride64_b32 v26, v27, v27 offset0:96 offset1:112
	v_lshrrev_b32_e32 v2, s16, v2
	v_and_b32_e32 v28, 0xff, v25
	v_and_b32_e32 v30, 0xff, v23
	v_xor_b32_e32 v21, -1, v21
	v_xor_b32_e32 v19, -1, v19
	v_bitop3_b32 v2, v2, s23, v2 bitop3:0x30
	v_xor_b32_e32 v17, -1, v17
	v_xor_b32_e32 v16, -1, v16
	;; [unrolled: 1-line block ×3, first 2 shown]
	s_delay_alu instid0(VALU_DEP_4) | instskip(SKIP_3) | instid1(VALU_DEP_4)
	v_dual_lshlrev_b32 v3, 10, v2 :: v_dual_bitop2_b32 v13, -1, v13 bitop3:0x14
	v_dual_lshrrev_b32 v2, 2, v2 :: v_dual_bitop2_b32 v12, -1, v12 bitop3:0x14
	v_xor_b32_e32 v22, -1, v22
	v_xor_b32_e32 v20, -1, v20
	v_and_or_b32 v3, 0x1c00, v3, v0
	s_delay_alu instid0(VALU_DEP_4)
	v_and_b32_e32 v2, 62, v2
	v_xor_b32_e32 v18, -1, v18
	v_xor_b32_e32 v14, -1, v14
	;; [unrolled: 1-line block ×4, first 2 shown]
	v_lshl_add_u32 v2, v3, 2, v2
	v_lshrrev_b32_e32 v3, s16, v28
	v_and_b32_e32 v28, 0xff, v7
	v_xor_b32_e32 v9, -1, v9
	v_xor_b32_e32 v8, -1, v8
	ds_load_u16 v26, v2
	v_bitop3_b32 v3, v3, s23, v3 bitop3:0x30
	s_delay_alu instid0(VALU_DEP_1) | instskip(SKIP_1) | instid1(VALU_DEP_2)
	v_dual_lshrrev_b32 v28, s16, v28 :: v_dual_lshlrev_b32 v27, 10, v3
	v_lshrrev_b32_e32 v3, 2, v3
	v_bitop3_b32 v28, v28, s23, v28 bitop3:0x30
	s_delay_alu instid0(VALU_DEP_3) | instskip(NEXT) | instid1(VALU_DEP_3)
	v_and_or_b32 v27, 0x1c00, v27, v0
	v_and_b32_e32 v3, 62, v3
	s_wait_dscnt 0x0
	v_add_nc_u16 v29, v26, 1
	ds_store_b16 v2, v29
	v_dual_lshlrev_b32 v29, 10, v28 :: v_dual_lshrrev_b32 v28, 2, v28
	v_lshl_add_u32 v3, v27, 2, v3
	s_delay_alu instid0(VALU_DEP_2) | instskip(NEXT) | instid1(VALU_DEP_3)
	v_and_or_b32 v29, 0x1c00, v29, v0
	v_and_b32_e32 v28, 62, v28
	ds_load_u16 v27, v3
	v_lshl_add_u32 v34, v29, 2, v28
	v_lshrrev_b32_e32 v29, s16, v30
	s_delay_alu instid0(VALU_DEP_1) | instskip(NEXT) | instid1(VALU_DEP_1)
	v_bitop3_b32 v29, v29, s23, v29 bitop3:0x30
	v_dual_lshlrev_b32 v30, 10, v29 :: v_dual_lshrrev_b32 v29, 2, v29
	s_wait_dscnt 0x0
	v_add_nc_u16 v31, v27, 1
	s_delay_alu instid0(VALU_DEP_2) | instskip(SKIP_4) | instid1(VALU_DEP_1)
	v_and_or_b32 v30, 0x1c00, v30, v0
	ds_store_b16 v3, v31
	ds_load_u16 v28, v34
	v_and_b32_e32 v31, 0xff, v22
	v_and_b32_e32 v29, 62, v29
	v_lshl_add_u32 v36, v30, 2, v29
	s_delay_alu instid0(VALU_DEP_3) | instskip(NEXT) | instid1(VALU_DEP_1)
	v_lshrrev_b32_e32 v30, s16, v31
	v_bitop3_b32 v30, v30, s23, v30 bitop3:0x30
	s_delay_alu instid0(VALU_DEP_1) | instskip(SKIP_2) | instid1(VALU_DEP_2)
	v_dual_lshlrev_b32 v31, 10, v30 :: v_dual_lshrrev_b32 v30, 2, v30
	s_wait_dscnt 0x0
	v_add_nc_u16 v32, v28, 1
	v_and_or_b32 v31, 0x1c00, v31, v0
	s_delay_alu instid0(VALU_DEP_3) | instskip(SKIP_4) | instid1(VALU_DEP_2)
	v_and_b32_e32 v30, 62, v30
	ds_store_b16 v34, v32
	ds_load_u16 v29, v36
	v_and_b32_e32 v32, 0xff, v21
	v_lshl_add_u32 v38, v31, 2, v30
	v_lshrrev_b32_e32 v31, s16, v32
	s_delay_alu instid0(VALU_DEP_1) | instskip(NEXT) | instid1(VALU_DEP_1)
	v_bitop3_b32 v31, v31, s23, v31 bitop3:0x30
	v_dual_lshlrev_b32 v32, 10, v31 :: v_dual_lshrrev_b32 v31, 2, v31
	s_wait_dscnt 0x0
	v_add_nc_u16 v33, v29, 1
	s_delay_alu instid0(VALU_DEP_2) | instskip(SKIP_4) | instid1(VALU_DEP_1)
	v_and_or_b32 v32, 0x1c00, v32, v0
	ds_store_b16 v36, v33
	ds_load_u16 v30, v38
	v_and_b32_e32 v33, 0xff, v20
	v_and_b32_e32 v31, 62, v31
	v_lshl_add_u32 v40, v32, 2, v31
	s_delay_alu instid0(VALU_DEP_3) | instskip(NEXT) | instid1(VALU_DEP_1)
	v_lshrrev_b32_e32 v32, s16, v33
	v_bitop3_b32 v32, v32, s23, v32 bitop3:0x30
	s_delay_alu instid0(VALU_DEP_1) | instskip(SKIP_2) | instid1(VALU_DEP_2)
	v_dual_lshlrev_b32 v33, 10, v32 :: v_dual_lshrrev_b32 v32, 2, v32
	s_wait_dscnt 0x0
	v_add_nc_u16 v35, v30, 1
	v_and_or_b32 v33, 0x1c00, v33, v0
	ds_store_b16 v38, v35
	ds_load_u16 v31, v40
	v_and_b32_e32 v35, 0xff, v19
	v_and_b32_e32 v32, 62, v32
	s_delay_alu instid0(VALU_DEP_1) | instskip(NEXT) | instid1(VALU_DEP_3)
	v_lshl_add_u32 v42, v33, 2, v32
	v_lshrrev_b32_e32 v33, s16, v35
	s_delay_alu instid0(VALU_DEP_1) | instskip(NEXT) | instid1(VALU_DEP_1)
	v_bitop3_b32 v33, v33, s23, v33 bitop3:0x30
	v_dual_lshlrev_b32 v35, 10, v33 :: v_dual_lshrrev_b32 v33, 2, v33
	s_wait_dscnt 0x0
	v_add_nc_u16 v37, v31, 1
	s_delay_alu instid0(VALU_DEP_2) | instskip(NEXT) | instid1(VALU_DEP_3)
	v_and_or_b32 v35, 0x1c00, v35, v0
	v_and_b32_e32 v33, 62, v33
	ds_store_b16 v40, v37
	ds_load_u16 v32, v42
	v_and_b32_e32 v37, 0xff, v18
	v_lshl_add_u32 v45, v35, 2, v33
	s_wait_dscnt 0x0
	v_add_nc_u16 v39, v32, 1
	ds_store_b16 v42, v39
	ds_load_u16 v33, v45
	v_and_b32_e32 v39, 0xff, v17
	v_lshrrev_b32_e32 v35, s16, v37
	s_delay_alu instid0(VALU_DEP_1) | instskip(NEXT) | instid1(VALU_DEP_1)
	v_bitop3_b32 v35, v35, s23, v35 bitop3:0x30
	v_dual_lshlrev_b32 v37, 10, v35 :: v_dual_lshrrev_b32 v35, 2, v35
	s_delay_alu instid0(VALU_DEP_1) | instskip(NEXT) | instid1(VALU_DEP_2)
	v_and_or_b32 v37, 0x1c00, v37, v0
	v_and_b32_e32 v35, 62, v35
	s_wait_dscnt 0x0
	v_add_nc_u16 v41, v33, 1
	s_delay_alu instid0(VALU_DEP_2)
	v_lshl_add_u32 v48, v37, 2, v35
	v_lshrrev_b32_e32 v37, s16, v39
	ds_store_b16 v45, v41
	v_and_b32_e32 v41, 0xff, v16
	ds_load_u16 v35, v48
	v_bitop3_b32 v37, v37, s23, v37 bitop3:0x30
	s_delay_alu instid0(VALU_DEP_1) | instskip(NEXT) | instid1(VALU_DEP_1)
	v_dual_lshlrev_b32 v39, 10, v37 :: v_dual_lshrrev_b32 v37, 2, v37
	v_and_or_b32 v39, 0x1c00, v39, v0
	s_delay_alu instid0(VALU_DEP_2) | instskip(NEXT) | instid1(VALU_DEP_1)
	v_and_b32_e32 v37, 62, v37
	v_lshl_add_u32 v51, v39, 2, v37
	v_lshrrev_b32_e32 v39, s16, v41
	s_wait_dscnt 0x0
	v_add_nc_u16 v43, v35, 1
	s_delay_alu instid0(VALU_DEP_2) | instskip(SKIP_4) | instid1(VALU_DEP_1)
	v_bitop3_b32 v39, v39, s23, v39 bitop3:0x30
	ds_store_b16 v48, v43
	ds_load_u16 v37, v51
	v_and_b32_e32 v43, 0xff, v15
	v_dual_lshlrev_b32 v41, 10, v39 :: v_dual_lshrrev_b32 v39, 2, v39
	v_and_or_b32 v41, 0x1c00, v41, v0
	s_delay_alu instid0(VALU_DEP_2) | instskip(NEXT) | instid1(VALU_DEP_1)
	v_and_b32_e32 v39, 62, v39
	v_lshl_add_u32 v53, v41, 2, v39
	v_lshrrev_b32_e32 v41, s16, v43
	s_delay_alu instid0(VALU_DEP_1) | instskip(SKIP_2) | instid1(VALU_DEP_2)
	v_bitop3_b32 v41, v41, s23, v41 bitop3:0x30
	s_wait_dscnt 0x0
	v_add_nc_u16 v44, v37, 1
	v_lshlrev_b32_e32 v43, 10, v41
	ds_store_b16 v51, v44
	ds_load_u16 v39, v53
	v_lshrrev_b32_e32 v41, 2, v41
	v_and_b32_e32 v44, 0xff, v14
	v_and_or_b32 v43, 0x1c00, v43, v0
	s_delay_alu instid0(VALU_DEP_3) | instskip(NEXT) | instid1(VALU_DEP_1)
	v_and_b32_e32 v41, 62, v41
	v_lshl_add_u32 v55, v43, 2, v41
	s_delay_alu instid0(VALU_DEP_4) | instskip(NEXT) | instid1(VALU_DEP_1)
	v_lshrrev_b32_e32 v43, s16, v44
	v_bitop3_b32 v43, v43, s23, v43 bitop3:0x30
	s_wait_dscnt 0x0
	v_add_nc_u16 v46, v39, 1
	s_delay_alu instid0(VALU_DEP_2)
	v_dual_lshlrev_b32 v44, 10, v43 :: v_dual_lshrrev_b32 v43, 2, v43
	ds_store_b16 v53, v46
	ds_load_u16 v41, v55
	v_and_or_b32 v44, 0x1c00, v44, v0
	v_and_b32_e32 v43, 62, v43
	v_and_b32_e32 v46, 0xff, v13
	s_delay_alu instid0(VALU_DEP_2) | instskip(NEXT) | instid1(VALU_DEP_2)
	v_lshl_add_u32 v57, v44, 2, v43
	v_lshrrev_b32_e32 v44, s16, v46
	s_delay_alu instid0(VALU_DEP_1) | instskip(NEXT) | instid1(VALU_DEP_1)
	v_bitop3_b32 v44, v44, s23, v44 bitop3:0x30
	v_dual_lshlrev_b32 v46, 10, v44 :: v_dual_lshrrev_b32 v44, 2, v44
	s_wait_dscnt 0x0
	v_add_nc_u16 v47, v41, 1
	s_delay_alu instid0(VALU_DEP_2) | instskip(NEXT) | instid1(VALU_DEP_3)
	v_and_or_b32 v46, 0x1c00, v46, v0
	v_and_b32_e32 v44, 62, v44
	ds_store_b16 v55, v47
	ds_load_u16 v43, v57
	v_and_b32_e32 v47, 0xff, v12
	v_lshl_add_u32 v58, v46, 2, v44
	s_delay_alu instid0(VALU_DEP_2) | instskip(NEXT) | instid1(VALU_DEP_1)
	v_lshrrev_b32_e32 v44, s16, v47
	v_bitop3_b32 v44, v44, s23, v44 bitop3:0x30
	s_delay_alu instid0(VALU_DEP_1) | instskip(SKIP_2) | instid1(VALU_DEP_2)
	v_dual_lshlrev_b32 v47, 10, v44 :: v_dual_lshrrev_b32 v44, 2, v44
	s_wait_dscnt 0x0
	v_add_nc_u16 v49, v43, 1
	v_and_or_b32 v47, 0x1c00, v47, v0
	s_delay_alu instid0(VALU_DEP_3) | instskip(SKIP_4) | instid1(VALU_DEP_2)
	v_and_b32_e32 v44, 62, v44
	ds_store_b16 v57, v49
	ds_load_u16 v46, v58
	v_and_b32_e32 v49, 0xff, v11
	v_lshl_add_u32 v60, v47, 2, v44
	v_lshrrev_b32_e32 v44, s16, v49
	s_delay_alu instid0(VALU_DEP_1) | instskip(NEXT) | instid1(VALU_DEP_1)
	v_bitop3_b32 v44, v44, s23, v44 bitop3:0x30
	v_dual_lshlrev_b32 v47, 10, v44 :: v_dual_lshrrev_b32 v44, 2, v44
	s_wait_dscnt 0x0
	v_add_nc_u16 v50, v46, 1
	s_delay_alu instid0(VALU_DEP_2) | instskip(NEXT) | instid1(VALU_DEP_3)
	v_and_or_b32 v47, 0x1c00, v47, v0
	v_and_b32_e32 v44, 62, v44
	ds_store_b16 v58, v50
	ds_load_u16 v49, v60
	v_lshl_add_u32 v62, v47, 2, v44
	v_and_b32_e32 v50, 0xff, v10
	s_delay_alu instid0(VALU_DEP_1) | instskip(SKIP_1) | instid1(VALU_DEP_2)
	v_lshrrev_b32_e32 v44, s16, v50
	v_and_b32_e32 v50, 0xff, v9
	v_bitop3_b32 v44, v44, s23, v44 bitop3:0x30
	s_delay_alu instid0(VALU_DEP_1) | instskip(SKIP_2) | instid1(VALU_DEP_2)
	v_dual_lshlrev_b32 v47, 10, v44 :: v_dual_lshrrev_b32 v44, 2, v44
	s_wait_dscnt 0x0
	v_add_nc_u16 v52, v49, 1
	v_and_or_b32 v47, 0x1c00, v47, v0
	s_delay_alu instid0(VALU_DEP_3)
	v_and_b32_e32 v44, 62, v44
	ds_store_b16 v60, v52
	ds_load_u16 v52, v62
	v_lshl_add_u32 v63, v47, 2, v44
	v_lshrrev_b32_e32 v44, s16, v50
	v_and_b32_e32 v50, 0xff, v8
	s_delay_alu instid0(VALU_DEP_2) | instskip(NEXT) | instid1(VALU_DEP_1)
	v_bitop3_b32 v44, v44, s23, v44 bitop3:0x30
	v_dual_lshlrev_b32 v47, 10, v44 :: v_dual_lshrrev_b32 v44, 2, v44
	s_delay_alu instid0(VALU_DEP_1) | instskip(NEXT) | instid1(VALU_DEP_2)
	v_and_or_b32 v47, 0x1c00, v47, v0
	v_and_b32_e32 v44, 62, v44
	s_wait_dscnt 0x0
	v_add_nc_u16 v54, v52, 1
	s_delay_alu instid0(VALU_DEP_2) | instskip(SKIP_3) | instid1(VALU_DEP_1)
	v_lshl_add_u32 v64, v47, 2, v44
	ds_store_b16 v62, v54
	ds_load_u16 v54, v63
	v_lshrrev_b32_e32 v44, s16, v50
	v_bitop3_b32 v44, v44, s23, v44 bitop3:0x30
	s_delay_alu instid0(VALU_DEP_1) | instskip(SKIP_1) | instid1(VALU_DEP_2)
	v_dual_lshlrev_b32 v47, 10, v44 :: v_dual_lshrrev_b32 v50, 2, v44
	v_xor_b32_e32 v44, -1, v5
	v_and_or_b32 v5, 0x1c00, v47, v0
	s_delay_alu instid0(VALU_DEP_3) | instskip(NEXT) | instid1(VALU_DEP_3)
	v_and_b32_e32 v47, 62, v50
	v_and_b32_e32 v50, 0xff, v44
	s_wait_dscnt 0x0
	v_add_nc_u16 v56, v54, 1
	s_delay_alu instid0(VALU_DEP_3) | instskip(NEXT) | instid1(VALU_DEP_3)
	v_lshl_add_u32 v65, v5, 2, v47
	v_lshrrev_b32_e32 v47, s16, v50
	ds_store_b16 v63, v56
	ds_load_u16 v56, v64
	v_bitop3_b32 v47, v47, s23, v47 bitop3:0x30
	s_delay_alu instid0(VALU_DEP_1)
	v_lshlrev_b32_e32 v50, 10, v47
	s_wait_dscnt 0x0
	v_add_nc_u16 v59, v56, 1
	ds_store_b16 v64, v59
	ds_load_u16 v5, v65
	v_dual_lshrrev_b32 v59, 2, v47 :: v_dual_bitop2_b32 v47, -1, v4 bitop3:0x14
	v_and_or_b32 v4, 0x1c00, v50, v0
	s_delay_alu instid0(VALU_DEP_2) | instskip(NEXT) | instid1(VALU_DEP_3)
	v_and_b32_e32 v50, 62, v59
	v_and_b32_e32 v59, 0xff, v47
	s_delay_alu instid0(VALU_DEP_2) | instskip(NEXT) | instid1(VALU_DEP_2)
	v_lshl_add_u32 v4, v4, 2, v50
	v_lshrrev_b32_e32 v50, s16, v59
	s_delay_alu instid0(VALU_DEP_1) | instskip(SKIP_2) | instid1(VALU_DEP_2)
	v_bitop3_b32 v50, v50, s23, v50 bitop3:0x30
	s_wait_dscnt 0x0
	v_add_nc_u16 v61, v5, 1
	v_lshrrev_b32_e32 v66, 2, v50
	ds_store_b16 v65, v61
	ds_load_u16 v59, v4
	v_dual_lshlrev_b32 v61, 10, v50 :: v_dual_bitop2_b32 v50, -1, v1 bitop3:0x14
	s_delay_alu instid0(VALU_DEP_1) | instskip(SKIP_1) | instid1(VALU_DEP_1)
	v_and_or_b32 v1, 0x1c00, v61, v0
	v_and_b32_e32 v61, 62, v66
	v_lshl_add_u32 v66, v1, 2, v61
	s_wait_dscnt 0x0
	v_add_nc_u16 v68, v59, 1
	ds_store_b16 v4, v68
	ds_load_u16 v1, v66
	s_wait_dscnt 0x0
	v_add_nc_u16 v68, v1, 1
	ds_store_b16 v66, v68
	v_lshlrev_b32_e32 v68, 5, v0
	v_and_b32_e32 v67, 0xff, v50
	s_delay_alu instid0(VALU_DEP_1) | instskip(NEXT) | instid1(VALU_DEP_1)
	v_lshrrev_b32_e32 v61, s16, v67
	v_bitop3_b32 v61, v61, s23, v61 bitop3:0x30
	s_delay_alu instid0(VALU_DEP_1) | instskip(NEXT) | instid1(VALU_DEP_1)
	v_dual_lshlrev_b32 v67, 10, v61 :: v_dual_lshrrev_b32 v61, 2, v61
	v_and_or_b32 v67, 0x1c00, v67, v0
	s_delay_alu instid0(VALU_DEP_2) | instskip(NEXT) | instid1(VALU_DEP_1)
	v_and_b32_e32 v61, 62, v61
	v_lshl_add_u32 v67, v67, 2, v61
	ds_load_u16 v61, v67
	s_wait_dscnt 0x0
	v_add_nc_u16 v69, v61, 1
	ds_store_b16 v67, v69
	s_wait_dscnt 0x0
	s_barrier_signal -1
	s_barrier_wait -1
	ds_load_2addr_b64 v[70:73], v68 offset1:1
	ds_load_2addr_b64 v[74:77], v68 offset0:2 offset1:3
	s_wait_dscnt 0x1
	v_add_nc_u32_e32 v69, v71, v70
	s_delay_alu instid0(VALU_DEP_1) | instskip(SKIP_1) | instid1(VALU_DEP_1)
	v_add3_u32 v69, v69, v72, v73
	s_wait_dscnt 0x0
	v_add3_u32 v69, v69, v74, v75
	s_delay_alu instid0(VALU_DEP_1) | instskip(SKIP_1) | instid1(VALU_DEP_2)
	v_add3_u32 v70, v69, v76, v77
	v_mbcnt_lo_u32_b32 v69, -1, 0
	v_mov_b32_dpp v72, v70 row_shr:1 row_mask:0xf bank_mask:0xf
	s_delay_alu instid0(VALU_DEP_2) | instskip(SKIP_1) | instid1(VALU_DEP_2)
	v_and_b32_e32 v71, 15, v69
	v_bfe_i32 v73, v69, 4, 1
	v_cmp_eq_u32_e32 vcc_lo, 0, v71
	v_cmp_lt_u32_e64 s2, 1, v71
	v_cndmask_b32_e64 v72, v72, 0, vcc_lo
	s_delay_alu instid0(VALU_DEP_1) | instskip(NEXT) | instid1(VALU_DEP_1)
	v_add_nc_u32_e32 v70, v72, v70
	v_mov_b32_dpp v72, v70 row_shr:2 row_mask:0xf bank_mask:0xf
	s_delay_alu instid0(VALU_DEP_1) | instskip(NEXT) | instid1(VALU_DEP_1)
	v_cndmask_b32_e64 v72, 0, v72, s2
	v_add_nc_u32_e32 v70, v70, v72
	v_cmp_lt_u32_e64 s3, 3, v71
	v_cmp_lt_u32_e64 s4, 7, v71
	s_delay_alu instid0(VALU_DEP_3) | instskip(NEXT) | instid1(VALU_DEP_1)
	v_mov_b32_dpp v72, v70 row_shr:4 row_mask:0xf bank_mask:0xf
	v_cndmask_b32_e64 v72, 0, v72, s3
	s_delay_alu instid0(VALU_DEP_1) | instskip(NEXT) | instid1(VALU_DEP_1)
	v_add_nc_u32_e32 v70, v70, v72
	v_mov_b32_dpp v72, v70 row_shr:8 row_mask:0xf bank_mask:0xf
	s_delay_alu instid0(VALU_DEP_1) | instskip(NEXT) | instid1(VALU_DEP_1)
	v_cndmask_b32_e64 v71, 0, v72, s4
	v_dual_add_nc_u32 v70, v70, v71 :: v_dual_bitop2_b32 v72, 31, v0 bitop3:0x40
	ds_swizzle_b32 v71, v70 offset:swizzle(BROADCAST,32,15)
	s_wait_dscnt 0x0
	v_dual_lshrrev_b32 v73, 5, v0 :: v_dual_bitop2_b32 v71, v73, v71 bitop3:0x40
	v_cmp_eq_u32_e64 s6, 31, v72
	s_delay_alu instid0(VALU_DEP_2) | instskip(NEXT) | instid1(VALU_DEP_3)
	v_dual_add_nc_u32 v70, v70, v71 :: v_dual_bitop2_b32 v72, 16, v69 bitop3:0x40
	v_lshlrev_b32_e32 v71, 2, v73
	s_delay_alu instid0(VALU_DEP_2)
	v_cmp_eq_u32_e64 s5, 0, v72
	s_and_saveexec_b32 s7, s6
; %bb.50:
	ds_store_b32 v71, v70 offset:32768
; %bb.51:
	s_or_b32 exec_lo, exec_lo, s7
	v_cmp_lt_u32_e64 s6, 31, v0
	s_mov_b32 s24, exec_lo
	s_wait_dscnt 0x0
	s_barrier_signal -1
	s_barrier_wait -1
	v_cmpx_gt_u32_e32 32, v0
	s_cbranch_execz .LBB117_53
; %bb.52:
	v_mad_i32_i24 v72, 0xffffffe4, v0, v68
	ds_load_b32 v73, v72 offset:32768
	s_wait_dscnt 0x0
	v_mov_b32_dpp v74, v73 row_shr:1 row_mask:0xf bank_mask:0xf
	s_delay_alu instid0(VALU_DEP_1) | instskip(NEXT) | instid1(VALU_DEP_1)
	v_cndmask_b32_e64 v74, v74, 0, vcc_lo
	v_add_nc_u32_e32 v73, v74, v73
	s_delay_alu instid0(VALU_DEP_1) | instskip(NEXT) | instid1(VALU_DEP_1)
	v_mov_b32_dpp v74, v73 row_shr:2 row_mask:0xf bank_mask:0xf
	v_cndmask_b32_e64 v74, 0, v74, s2
	s_delay_alu instid0(VALU_DEP_1) | instskip(NEXT) | instid1(VALU_DEP_1)
	v_add_nc_u32_e32 v73, v73, v74
	v_mov_b32_dpp v74, v73 row_shr:4 row_mask:0xf bank_mask:0xf
	s_delay_alu instid0(VALU_DEP_1) | instskip(NEXT) | instid1(VALU_DEP_1)
	v_cndmask_b32_e64 v74, 0, v74, s3
	v_add_nc_u32_e32 v73, v73, v74
	s_delay_alu instid0(VALU_DEP_1) | instskip(NEXT) | instid1(VALU_DEP_1)
	v_mov_b32_dpp v74, v73 row_shr:8 row_mask:0xf bank_mask:0xf
	v_cndmask_b32_e64 v74, 0, v74, s4
	s_delay_alu instid0(VALU_DEP_1) | instskip(SKIP_3) | instid1(VALU_DEP_1)
	v_add_nc_u32_e32 v73, v73, v74
	ds_swizzle_b32 v74, v73 offset:swizzle(BROADCAST,32,15)
	s_wait_dscnt 0x0
	v_cndmask_b32_e64 v74, v74, 0, s5
	v_add_nc_u32_e32 v73, v73, v74
	ds_store_b32 v72, v73 offset:32768
.LBB117_53:
	s_or_b32 exec_lo, exec_lo, s24
	v_dual_mov_b32 v73, 0 :: v_dual_mov_b32 v72, 0
	s_wait_dscnt 0x0
	s_barrier_signal -1
	s_barrier_wait -1
	s_and_saveexec_b32 s2, s6
; %bb.54:
	ds_load_b32 v72, v71 offset:32764
; %bb.55:
	s_or_b32 exec_lo, exec_lo, s2
	v_sub_co_u32 v71, vcc_lo, v69, 1
	s_wait_dscnt 0x0
	v_add_nc_u32_e32 v70, v72, v70
	s_delay_alu instid0(VALU_DEP_2) | instskip(NEXT) | instid1(VALU_DEP_1)
	v_cmp_gt_i32_e64 s2, 0, v71
	v_cndmask_b32_e64 v69, v71, v69, s2
	v_cmp_gt_u32_e64 s2, 16, v0
	s_delay_alu instid0(VALU_DEP_2)
	v_lshlrev_b32_e32 v69, 2, v69
	ds_bpermute_b32 v69, v69, v70
	ds_load_b32 v70, v73 offset:32892
	ds_load_2addr_b64 v[74:77], v68 offset1:1
	ds_load_b32 v78, v68 offset:24
	s_wait_dscnt 0x3
	v_cndmask_b32_e32 v69, v69, v72, vcc_lo
	ds_load_b64 v[72:73], v68 offset:16
	v_cmp_lt_u32_e32 vcc_lo, 15, v0
	s_wait_dscnt 0x3
	v_lshl_add_u32 v70, v70, 16, v69
	s_wait_dscnt 0x2
	s_delay_alu instid0(VALU_DEP_1) | instskip(NEXT) | instid1(VALU_DEP_1)
	v_add_nc_u32_e32 v71, v70, v74
	v_add_nc_u32_e32 v74, v75, v71
	s_delay_alu instid0(VALU_DEP_1) | instskip(NEXT) | instid1(VALU_DEP_1)
	v_add_nc_u32_e32 v75, v76, v74
	v_add_nc_u32_e32 v76, v77, v75
	s_wait_dscnt 0x0
	s_delay_alu instid0(VALU_DEP_1) | instskip(NEXT) | instid1(VALU_DEP_1)
	v_add_nc_u32_e32 v77, v72, v76
	v_add_nc_u32_e32 v72, v73, v77
	s_delay_alu instid0(VALU_DEP_1)
	v_add_nc_u32_e32 v73, v78, v72
	ds_store_2addr_b64 v68, v[70:71], v[74:75] offset1:1
	ds_store_2addr_b64 v68, v[76:77], v[72:73] offset0:2 offset1:3
	s_wait_dscnt 0x0
	s_barrier_signal -1
	s_barrier_wait -1
	ds_load_u16 v68, v2
	ds_load_u16 v69, v3
	;; [unrolled: 1-line block ×22, first 2 shown]
	v_mov_b64_e32 v[2:3], 0
                                        ; implicit-def: $vgpr4
	s_and_saveexec_b32 s4, s2
	s_cbranch_execz .LBB117_59
; %bb.56:
	v_dual_lshlrev_b32 v2, 12, v0 :: v_dual_lshrrev_b32 v3, 2, v0
	v_add_nc_u32_e32 v4, 1, v0
	s_mov_b32 s5, exec_lo
	s_delay_alu instid0(VALU_DEP_2)
	v_bitop3_b32 v2, v2, 0x70fe, v3 bitop3:0xc8
	v_mov_b32_e32 v3, 0x5800
	ds_load_u16 v2, v2
	v_cmpx_ne_u32_e32 16, v4
; %bb.57:
	v_dual_lshlrev_b32 v3, 12, v4 :: v_dual_lshrrev_b32 v4, 2, v4
	s_delay_alu instid0(VALU_DEP_1)
	v_bitop3_b32 v3, v3, 0x71fe, v4 bitop3:0xc8
	ds_load_u16 v3, v3
; %bb.58:
	s_or_b32 exec_lo, exec_lo, s5
	s_wait_dscnt 0x0
	v_and_b32_e32 v2, 0xffff, v2
	s_mov_b32 s3, 0
	s_delay_alu instid0(VALU_DEP_1) | instid1(SALU_CYCLE_1)
	v_dual_mov_b32 v3, s3 :: v_dual_sub_nc_u32 v4, v3, v2
.LBB117_59:
	s_or_b32 exec_lo, exec_lo, s4
	s_wait_dscnt 0x15
	v_and_b32_e32 v68, 0xffff, v68
	v_and_b32_e32 v26, 0xffff, v26
	s_wait_dscnt 0x14
	v_and_b32_e32 v69, 0xffff, v69
	v_and_b32_e32 v27, 0xffff, v27
	;; [unrolled: 3-line block ×4, first 2 shown]
	v_dual_add_nc_u32 v26, v68, v26 :: v_dual_add_nc_u32 v27, v69, v27
	s_wait_dscnt 0x11
	v_and_b32_e32 v38, 0xffff, v38
	v_and_b32_e32 v30, 0xffff, v30
	s_wait_dscnt 0x10
	v_and_b32_e32 v40, 0xffff, v40
	v_and_b32_e32 v31, 0xffff, v31
	v_add_nc_u32_e32 v28, v34, v28
	s_wait_dscnt 0xf
	v_and_b32_e32 v42, 0xffff, v42
	v_and_b32_e32 v32, 0xffff, v32
	s_wait_dscnt 0xe
	v_and_b32_e32 v45, 0xffff, v45
	v_and_b32_e32 v33, 0xffff, v33
	s_wait_dscnt 0xd
	v_and_b32_e32 v48, 0xffff, v48
	v_and_b32_e32 v35, 0xffff, v35
	s_wait_dscnt 0x0
	s_barrier_signal -1
	s_barrier_wait -1
	ds_store_b8 v26, v24 offset:128
	ds_store_b8 v27, v25 offset:128
	;; [unrolled: 1-line block ×3, first 2 shown]
	v_add_nc_u32_e32 v7, v36, v29
	v_and_b32_e32 v51, 0xffff, v51
	v_and_b32_e32 v37, 0xffff, v37
	v_dual_add_nc_u32 v24, v38, v30 :: v_dual_add_nc_u32 v25, v40, v31
	v_and_b32_e32 v53, 0xffff, v53
	v_and_b32_e32 v39, 0xffff, v39
	v_and_b32_e32 v55, 0xffff, v55
	v_and_b32_e32 v41, 0xffff, v41
	v_dual_add_nc_u32 v26, v42, v32 :: v_dual_add_nc_u32 v27, v45, v33
	v_and_b32_e32 v57, 0xffff, v57
	v_and_b32_e32 v43, 0xffff, v43
	;; [unrolled: 1-line block ×4, first 2 shown]
	ds_store_b8 v7, v23 offset:128
	ds_store_b8 v24, v22 offset:128
	;; [unrolled: 1-line block ×5, first 2 shown]
	v_dual_add_nc_u32 v7, v48, v35 :: v_dual_add_nc_u32 v19, v51, v37
	v_and_b32_e32 v60, 0xffff, v60
	v_and_b32_e32 v49, 0xffff, v49
	;; [unrolled: 1-line block ×4, first 2 shown]
	v_dual_add_nc_u32 v20, v53, v39 :: v_dual_add_nc_u32 v21, v55, v41
	v_and_b32_e32 v63, 0xffff, v63
	v_and_b32_e32 v54, 0xffff, v54
	;; [unrolled: 1-line block ×4, first 2 shown]
	v_add_nc_u32_e32 v22, v57, v43
	ds_store_b8 v7, v18 offset:128
	ds_store_b8 v19, v17 offset:128
	;; [unrolled: 1-line block ×5, first 2 shown]
	v_dual_add_nc_u32 v7, v58, v46 :: v_dual_add_nc_u32 v14, v60, v49
	v_dual_add_nc_u32 v15, v62, v52 :: v_dual_add_nc_u32 v16, v63, v54
	v_add_nc_u32_e32 v17, v64, v56
	v_and_b32_e32 v65, 0xffff, v65
	v_and_b32_e32 v66, 0xffff, v66
	;; [unrolled: 1-line block ×4, first 2 shown]
	ds_store_b8 v7, v13 offset:128
	ds_store_b8 v14, v12 offset:128
	;; [unrolled: 1-line block ×5, first 2 shown]
	v_mov_b32_e32 v9, 0
	v_and_b32_e32 v70, 0xffff, v70
	v_and_b32_e32 v59, 0xffff, v59
	;; [unrolled: 1-line block ×4, first 2 shown]
	v_add_nc_u32_e32 v7, v65, v5
	v_dual_add_nc_u32 v11, v66, v1 :: v_dual_mov_b32 v1, v9
	v_dual_lshlrev_b32 v5, 3, v0 :: v_dual_add_nc_u32 v10, v70, v59
	s_delay_alu instid0(VALU_DEP_4)
	v_add_nc_u32_e32 v12, v67, v61
	s_not_b32 s3, s23
	ds_store_b8 v7, v8 offset:128
	ds_store_b8 v10, v44 offset:128
	;; [unrolled: 1-line block ×4, first 2 shown]
	s_and_saveexec_b32 s4, s2
	s_cbranch_execz .LBB117_69
; %bb.60:
	v_lshl_add_u32 v8, s19, 4, v0
	v_dual_mov_b32 v12, 0 :: v_dual_bitop2_b32 v7, 2.0, v4 bitop3:0x54
	s_mov_b32 s5, 0
	s_mov_b32 s6, s19
	s_delay_alu instid0(VALU_DEP_2)
	v_lshl_add_u64 v[10:11], v[8:9], 2, s[20:21]
	global_store_b32 v8, v7, s[20:21] scale_offset scope:SCOPE_DEV
                                        ; implicit-def: $sgpr2
	s_branch .LBB117_63
.LBB117_61:                             ;   in Loop: Header=BB117_63 Depth=1
	s_or_b32 exec_lo, exec_lo, s23
.LBB117_62:                             ;   in Loop: Header=BB117_63 Depth=1
	s_delay_alu instid0(SALU_CYCLE_1) | instskip(SKIP_2) | instid1(VALU_DEP_2)
	s_or_b32 exec_lo, exec_lo, s7
	v_and_b32_e32 v8, 0x3fffffff, v7
	v_cmp_gt_i32_e64 s2, -2.0, v7
	v_add_nc_u32_e32 v12, v8, v12
	s_and_b32 s7, exec_lo, s2
	s_delay_alu instid0(SALU_CYCLE_1) | instskip(NEXT) | instid1(SALU_CYCLE_1)
	s_or_b32 s5, s7, s5
	s_and_not1_b32 exec_lo, exec_lo, s5
	s_cbranch_execz .LBB117_68
.LBB117_63:                             ; =>This Loop Header: Depth=1
                                        ;     Child Loop BB117_66 Depth 2
	s_or_b32 s2, s2, exec_lo
	s_cmp_eq_u32 s6, 0
	s_cbranch_scc1 .LBB117_67
; %bb.64:                               ;   in Loop: Header=BB117_63 Depth=1
	s_add_co_i32 s6, s6, -1
	s_mov_b32 s7, exec_lo
	s_wait_xcnt 0x0
	v_lshl_or_b32 v8, s6, 4, v0
	global_load_b32 v7, v8, s[20:21] scale_offset scope:SCOPE_DEV
	s_wait_loadcnt 0x0
	v_cmpx_gt_u32_e32 2.0, v7
	s_cbranch_execz .LBB117_62
; %bb.65:                               ;   in Loop: Header=BB117_63 Depth=1
	v_lshl_add_u64 v[14:15], v[8:9], 2, s[20:21]
	s_mov_b32 s23, 0
.LBB117_66:                             ;   Parent Loop BB117_63 Depth=1
                                        ; =>  This Inner Loop Header: Depth=2
	global_load_b32 v7, v[14:15], off scope:SCOPE_DEV
	s_wait_loadcnt 0x0
	v_cmp_lt_u32_e64 s2, 0x3fffffff, v7
	s_or_b32 s23, s2, s23
	s_wait_xcnt 0x0
	s_and_not1_b32 exec_lo, exec_lo, s23
	s_cbranch_execnz .LBB117_66
	s_branch .LBB117_61
.LBB117_67:                             ;   in Loop: Header=BB117_63 Depth=1
                                        ; implicit-def: $sgpr6
	s_and_b32 s7, exec_lo, s2
	s_delay_alu instid0(SALU_CYCLE_1)
	s_or_b32 s5, s7, s5
	s_wait_xcnt 0x0
	s_and_not1_b32 exec_lo, exec_lo, s5
	s_cbranch_execnz .LBB117_63
.LBB117_68:
	s_or_b32 exec_lo, exec_lo, s5
	v_dual_add_nc_u32 v7, v12, v4 :: v_dual_mov_b32 v13, 0
	s_delay_alu instid0(VALU_DEP_1)
	v_or_b32_e32 v7, 0x80000000, v7
	global_store_b32 v[10:11], v7, off scope:SCOPE_DEV
	global_load_b64 v[8:9], v0, s[8:9] scale_offset
	s_wait_xcnt 0x1
	v_sub_nc_u64_e32 v[10:11], v[12:13], v[2:3]
	s_wait_loadcnt 0x0
	s_delay_alu instid0(VALU_DEP_1)
	v_add_nc_u64_e32 v[8:9], v[10:11], v[8:9]
	ds_store_b64 v5, v[8:9]
.LBB117_69:
	s_wait_xcnt 0x0
	s_or_b32 exec_lo, exec_lo, s4
	s_delay_alu instid0(SALU_CYCLE_1)
	s_mov_b32 s4, exec_lo
	s_wait_storecnt_dscnt 0x0
	s_barrier_signal -1
	s_barrier_wait -1
	v_cmpx_gt_u32_e64 s18, v0
	s_cbranch_execz .LBB117_71
; %bb.70:
	ds_load_u8 v7, v0 offset:128
	s_wait_dscnt 0x0
	v_and_b32_e32 v8, 0xff, v7
	s_delay_alu instid0(VALU_DEP_1) | instskip(NEXT) | instid1(VALU_DEP_1)
	v_dual_lshrrev_b32 v8, s16, v8 :: v_dual_bitop2_b32 v7, -1, v7 bitop3:0x14
	v_and_b32_e32 v8, s3, v8
	s_delay_alu instid0(VALU_DEP_1) | instskip(SKIP_3) | instid1(VALU_DEP_1)
	v_lshlrev_b32_e32 v8, 3, v8
	ds_load_b64 v[8:9], v8
	s_wait_dscnt 0x0
	v_add_nc_u64_e32 v[8:9], s[14:15], v[8:9]
	v_add_nc_u64_e32 v[8:9], v[8:9], v[0:1]
	global_store_b8 v[8:9], v7, off
.LBB117_71:
	s_wait_xcnt 0x0
	s_or_b32 exec_lo, exec_lo, s4
	v_or_b32_e32 v7, 0x400, v0
	s_mov_b32 s4, exec_lo
	s_delay_alu instid0(VALU_DEP_1)
	v_cmpx_gt_u32_e64 s18, v7
	s_cbranch_execz .LBB117_73
; %bb.72:
	ds_load_u8 v7, v0 offset:1152
	s_wait_dscnt 0x0
	v_and_b32_e32 v8, 0xff, v7
	s_delay_alu instid0(VALU_DEP_1) | instskip(NEXT) | instid1(VALU_DEP_1)
	v_dual_lshrrev_b32 v8, s16, v8 :: v_dual_bitop2_b32 v7, -1, v7 bitop3:0x14
	v_and_b32_e32 v8, s3, v8
	s_delay_alu instid0(VALU_DEP_1) | instskip(SKIP_3) | instid1(VALU_DEP_1)
	v_lshlrev_b32_e32 v8, 3, v8
	ds_load_b64 v[8:9], v8
	s_wait_dscnt 0x0
	v_add_nc_u64_e32 v[8:9], s[14:15], v[8:9]
	v_add_nc_u64_e32 v[8:9], v[8:9], v[0:1]
	global_store_b8 v[8:9], v7, off offset:1024
.LBB117_73:
	s_wait_xcnt 0x0
	s_or_b32 exec_lo, exec_lo, s4
	v_or_b32_e32 v7, 0x800, v0
	s_mov_b32 s4, exec_lo
	s_delay_alu instid0(VALU_DEP_1)
	v_cmpx_gt_u32_e64 s18, v7
	s_cbranch_execz .LBB117_75
; %bb.74:
	ds_load_u8 v7, v0 offset:2176
	s_wait_dscnt 0x0
	v_and_b32_e32 v8, 0xff, v7
	s_delay_alu instid0(VALU_DEP_1) | instskip(NEXT) | instid1(VALU_DEP_1)
	v_dual_lshrrev_b32 v8, s16, v8 :: v_dual_bitop2_b32 v7, -1, v7 bitop3:0x14
	v_and_b32_e32 v8, s3, v8
	s_delay_alu instid0(VALU_DEP_1) | instskip(SKIP_3) | instid1(VALU_DEP_1)
	v_lshlrev_b32_e32 v8, 3, v8
	ds_load_b64 v[8:9], v8
	s_wait_dscnt 0x0
	v_add_nc_u64_e32 v[8:9], s[14:15], v[8:9]
	v_add_nc_u64_e32 v[8:9], v[8:9], v[0:1]
	global_store_b8 v[8:9], v7, off offset:2048
.LBB117_75:
	;; [unrolled: 22-line block ×20, first 2 shown]
	s_wait_xcnt 0x0
	s_or_b32 exec_lo, exec_lo, s4
	v_or_b32_e32 v7, 0x5400, v0
	s_mov_b32 s4, exec_lo
	s_delay_alu instid0(VALU_DEP_1)
	v_cmpx_gt_u32_e64 s18, v7
	s_cbranch_execz .LBB117_113
; %bb.112:
	ds_load_u8 v7, v0 offset:21632
	s_wait_dscnt 0x0
	v_and_b32_e32 v8, 0xff, v7
	s_delay_alu instid0(VALU_DEP_1) | instskip(NEXT) | instid1(VALU_DEP_1)
	v_lshrrev_b32_e32 v8, s16, v8
	v_and_b32_e32 v8, s3, v8
	s_delay_alu instid0(VALU_DEP_1) | instskip(SKIP_3) | instid1(VALU_DEP_1)
	v_lshlrev_b32_e32 v8, 3, v8
	ds_load_b64 v[8:9], v8
	s_wait_dscnt 0x0
	v_add_nc_u64_e32 v[8:9], s[14:15], v[8:9]
	v_add_nc_u64_e32 v[8:9], v[8:9], v[0:1]
	v_xor_b32_e32 v1, -1, v7
	global_store_b8 v[8:9], v1, off offset:21504
.LBB117_113:
	s_wait_xcnt 0x0
	s_or_b32 exec_lo, exec_lo, s4
	s_load_b32 s2, s[0:1], 0x58
	s_wait_kmcnt 0x0
	s_add_co_i32 s2, s2, -1
	s_delay_alu instid0(SALU_CYCLE_1) | instskip(SKIP_2) | instid1(SALU_CYCLE_1)
	s_cmp_eq_u32 s19, s2
	s_cselect_b32 s2, -1, 0
	s_xor_b32 s3, vcc_lo, -1
	s_and_b32 s3, s3, s2
	s_delay_alu instid0(SALU_CYCLE_1)
	s_and_saveexec_b32 s2, s3
	s_cbranch_execz .LBB117_115
; %bb.114:
	ds_load_b64 v[8:9], v5
	v_mov_b32_e32 v5, 0
	s_delay_alu instid0(VALU_DEP_1) | instskip(SKIP_1) | instid1(VALU_DEP_1)
	v_add_nc_u64_e32 v[2:3], v[2:3], v[4:5]
	s_wait_dscnt 0x0
	v_add_nc_u64_e32 v[2:3], v[2:3], v[8:9]
	global_store_b64 v0, v[2:3], s[10:11] scale_offset
.LBB117_115:
	s_wait_xcnt 0x0
	s_or_b32 exec_lo, exec_lo, s2
	s_mov_b32 s3, 0
.LBB117_116:
	s_delay_alu instid0(SALU_CYCLE_1)
	s_and_b32 vcc_lo, exec_lo, s3
	s_cbranch_vccz .LBB117_139
; %bb.117:
	s_mov_b32 s23, 0
	s_mov_b32 s7, exec_lo
	s_add_nc_u64 s[2:3], s[12:13], s[22:23]
	s_lshl_b32 s12, -1, s17
	s_clause 0x1
	global_load_b128 v[2:5], v6, s[2:3]
	global_load_b32 v8, v6, s[2:3] offset:16
	s_wait_loadcnt 0x1
	v_dual_lshlrev_b32 v12, 2, v0 :: v_dual_bitop2_b32 v1, -1, v2 bitop3:0x14
	s_delay_alu instid0(VALU_DEP_1) | instskip(NEXT) | instid1(VALU_DEP_1)
	v_and_b32_e32 v7, 0xff, v1
	v_lshrrev_b32_e32 v7, s16, v7
	s_delay_alu instid0(VALU_DEP_1) | instskip(SKIP_1) | instid1(VALU_DEP_2)
	v_bitop3_b32 v7, v7, s12, v7 bitop3:0x30
	v_dual_lshrrev_b32 v9, 8, v2 :: v_dual_mov_b32 v13, 0
	v_dual_lshlrev_b32 v10, 10, v7 :: v_dual_lshrrev_b32 v11, 2, v7
	s_delay_alu instid0(VALU_DEP_2)
	v_xor_b32_e32 v7, -1, v9
	ds_store_2addr_stride64_b32 v12, v13, v13 offset1:16
	ds_store_2addr_stride64_b32 v12, v13, v13 offset0:32 offset1:48
	ds_store_2addr_stride64_b32 v12, v13, v13 offset0:64 offset1:80
	;; [unrolled: 1-line block ×3, first 2 shown]
	v_and_or_b32 v9, 0x1c00, v10, v0
	v_and_b32_e32 v10, 62, v11
	v_and_b32_e32 v11, 0xff, v7
	global_load_u16 v42, v6, s[2:3] offset:20
	v_lshl_add_u32 v17, v9, 2, v10
	v_lshrrev_b32_e32 v9, s16, v11
	ds_load_u16 v11, v17
	v_bitop3_b32 v9, v9, s12, v9 bitop3:0x30
	v_dual_lshrrev_b32 v10, 16, v2 :: v_dual_lshrrev_b32 v2, 24, v2
	s_delay_alu instid0(VALU_DEP_2) | instskip(NEXT) | instid1(VALU_DEP_2)
	v_dual_lshlrev_b32 v12, 10, v9 :: v_dual_lshrrev_b32 v9, 2, v9
	v_xor_b32_e32 v10, -1, v10
	s_delay_alu instid0(VALU_DEP_2) | instskip(NEXT) | instid1(VALU_DEP_3)
	v_and_or_b32 v12, 0x1c00, v12, v0
	v_and_b32_e32 v9, 62, v9
	s_delay_alu instid0(VALU_DEP_3) | instskip(NEXT) | instid1(VALU_DEP_2)
	v_and_b32_e32 v13, 0xff, v10
	v_lshl_add_u32 v20, v12, 2, v9
	s_delay_alu instid0(VALU_DEP_2) | instskip(SKIP_2) | instid1(VALU_DEP_2)
	v_dual_lshrrev_b32 v9, s16, v13 :: v_dual_bitop2_b32 v12, -1, v2 bitop3:0x14
	s_wait_dscnt 0x0
	v_add_nc_u16 v14, v11, 1
	v_bitop3_b32 v9, v9, s12, v9 bitop3:0x30
	ds_store_b16 v17, v14
	ds_load_u16 v14, v20
	v_dual_lshlrev_b32 v13, 10, v9 :: v_dual_lshrrev_b32 v9, 2, v9
	s_delay_alu instid0(VALU_DEP_1) | instskip(NEXT) | instid1(VALU_DEP_2)
	v_and_or_b32 v2, 0x1c00, v13, v0
	v_and_b32_e32 v9, 62, v9
	v_and_b32_e32 v13, 0xff, v12
	s_delay_alu instid0(VALU_DEP_2) | instskip(NEXT) | instid1(VALU_DEP_2)
	v_lshl_add_u32 v2, v2, 2, v9
	v_dual_lshrrev_b32 v9, s16, v13 :: v_dual_bitop2_b32 v13, -1, v3 bitop3:0x14
	s_delay_alu instid0(VALU_DEP_1) | instskip(SKIP_2) | instid1(VALU_DEP_3)
	v_bitop3_b32 v9, v9, s12, v9 bitop3:0x30
	s_wait_dscnt 0x0
	v_add_nc_u16 v15, v14, 1
	v_and_b32_e32 v18, 0xff, v13
	s_delay_alu instid0(VALU_DEP_3) | instskip(SKIP_4) | instid1(VALU_DEP_1)
	v_dual_lshlrev_b32 v16, 10, v9 :: v_dual_lshrrev_b32 v9, 2, v9
	ds_store_b16 v20, v15
	ds_load_u16 v15, v2
	v_and_or_b32 v16, 0x1c00, v16, v0
	v_and_b32_e32 v9, 62, v9
	v_lshl_add_u32 v27, v16, 2, v9
	v_dual_lshrrev_b32 v16, 8, v3 :: v_dual_lshrrev_b32 v9, s16, v18
	s_delay_alu instid0(VALU_DEP_1) | instskip(NEXT) | instid1(VALU_DEP_2)
	v_xor_b32_e32 v16, -1, v16
	v_bitop3_b32 v9, v9, s12, v9 bitop3:0x30
	s_delay_alu instid0(VALU_DEP_2) | instskip(SKIP_2) | instid1(VALU_DEP_3)
	v_and_b32_e32 v21, 0xff, v16
	s_wait_dscnt 0x0
	v_add_nc_u16 v19, v15, 1
	v_dual_lshlrev_b32 v18, 10, v9 :: v_dual_lshrrev_b32 v9, 2, v9
	ds_store_b16 v2, v19
	ds_load_u16 v19, v27
	v_and_or_b32 v18, 0x1c00, v18, v0
	v_and_b32_e32 v9, 62, v9
	s_delay_alu instid0(VALU_DEP_1) | instskip(SKIP_1) | instid1(VALU_DEP_1)
	v_lshl_add_u32 v34, v18, 2, v9
	v_dual_lshrrev_b32 v18, 16, v3 :: v_dual_lshrrev_b32 v9, s16, v21
	v_dual_lshrrev_b32 v3, 24, v3 :: v_dual_bitop2_b32 v18, -1, v18 bitop3:0x14
	s_delay_alu instid0(VALU_DEP_2) | instskip(SKIP_1) | instid1(VALU_DEP_2)
	v_bitop3_b32 v9, v9, s12, v9 bitop3:0x30
	s_wait_xcnt 0x0
	v_and_b32_e32 v6, 0xff, v18
	s_wait_dscnt 0x0
	v_add_nc_u16 v22, v19, 1
	s_delay_alu instid0(VALU_DEP_2) | instskip(SKIP_4) | instid1(VALU_DEP_2)
	v_lshrrev_b32_e32 v6, s16, v6
	ds_store_b16 v27, v22
	ds_load_u16 v21, v34
	v_dual_lshlrev_b32 v22, 10, v9 :: v_dual_lshrrev_b32 v9, 2, v9
	v_bitop3_b32 v6, v6, s12, v6 bitop3:0x30
	v_and_or_b32 v22, 0x1c00, v22, v0
	s_delay_alu instid0(VALU_DEP_3) | instskip(NEXT) | instid1(VALU_DEP_1)
	v_and_b32_e32 v9, 62, v9
	v_lshl_add_u32 v41, v22, 2, v9
	s_delay_alu instid0(VALU_DEP_4) | instskip(SKIP_1) | instid1(VALU_DEP_2)
	v_dual_lshlrev_b32 v9, 10, v6 :: v_dual_lshrrev_b32 v22, 2, v6
	v_xor_b32_e32 v6, -1, v3
	v_and_or_b32 v3, 0x1c00, v9, v0
	s_delay_alu instid0(VALU_DEP_3) | instskip(SKIP_3) | instid1(VALU_DEP_3)
	v_and_b32_e32 v9, 62, v22
	s_wait_dscnt 0x0
	v_add_nc_u16 v23, v21, 1
	v_and_b32_e32 v22, 0xff, v6
	v_lshl_add_u32 v3, v3, 2, v9
	ds_store_b16 v34, v23
	ds_load_u16 v25, v41
	v_dual_lshrrev_b32 v9, s16, v22 :: v_dual_bitop2_b32 v22, -1, v4 bitop3:0x14
	s_delay_alu instid0(VALU_DEP_1) | instskip(NEXT) | instid1(VALU_DEP_2)
	v_bitop3_b32 v9, v9, s12, v9 bitop3:0x30
	v_and_b32_e32 v24, 0xff, v22
	s_wait_dscnt 0x0
	v_add_nc_u16 v23, v25, 1
	ds_store_b16 v41, v23
	ds_load_u16 v29, v3
	v_dual_lshlrev_b32 v23, 10, v9 :: v_dual_lshrrev_b32 v9, 2, v9
	s_delay_alu instid0(VALU_DEP_1) | instskip(NEXT) | instid1(VALU_DEP_2)
	v_and_or_b32 v23, 0x1c00, v23, v0
	v_and_b32_e32 v9, 62, v9
	s_delay_alu instid0(VALU_DEP_1) | instskip(SKIP_1) | instid1(VALU_DEP_1)
	v_lshl_add_u32 v47, v23, 2, v9
	v_lshrrev_b32_e32 v23, 8, v4
	v_dual_lshrrev_b32 v9, s16, v24 :: v_dual_bitop2_b32 v23, -1, v23 bitop3:0x14
	s_delay_alu instid0(VALU_DEP_1) | instskip(SKIP_2) | instid1(VALU_DEP_2)
	v_bitop3_b32 v9, v9, s12, v9 bitop3:0x30
	s_wait_dscnt 0x0
	v_add_nc_u16 v26, v29, 1
	v_lshlrev_b32_e32 v24, 10, v9
	ds_store_b16 v3, v26
	ds_load_u16 v31, v47
	v_lshrrev_b32_e32 v9, 2, v9
	v_and_b32_e32 v26, 0xff, v23
	v_and_or_b32 v24, 0x1c00, v24, v0
	s_delay_alu instid0(VALU_DEP_3) | instskip(NEXT) | instid1(VALU_DEP_1)
	v_and_b32_e32 v9, 62, v9
	v_lshl_add_u32 v49, v24, 2, v9
	v_dual_lshrrev_b32 v24, 16, v4 :: v_dual_lshrrev_b32 v4, 24, v4
	s_delay_alu instid0(VALU_DEP_1) | instskip(NEXT) | instid1(VALU_DEP_1)
	v_dual_lshrrev_b32 v9, s16, v26 :: v_dual_bitop2_b32 v24, -1, v24 bitop3:0x14
	v_bitop3_b32 v9, v9, s12, v9 bitop3:0x30
	s_wait_dscnt 0x0
	v_add_nc_u16 v28, v31, 1
	s_delay_alu instid0(VALU_DEP_2)
	v_dual_lshlrev_b32 v26, 10, v9 :: v_dual_lshrrev_b32 v9, 2, v9
	ds_store_b16 v47, v28
	ds_load_u16 v33, v49
	v_and_b32_e32 v28, 0xff, v24
	v_and_or_b32 v26, 0x1c00, v26, v0
	v_and_b32_e32 v9, 62, v9
	s_delay_alu instid0(VALU_DEP_1) | instskip(NEXT) | instid1(VALU_DEP_4)
	v_lshl_add_u32 v51, v26, 2, v9
	v_lshrrev_b32_e32 v9, s16, v28
	v_xor_b32_e32 v26, -1, v4
	s_delay_alu instid0(VALU_DEP_2) | instskip(NEXT) | instid1(VALU_DEP_1)
	v_bitop3_b32 v9, v9, s12, v9 bitop3:0x30
	v_dual_lshlrev_b32 v28, 10, v9 :: v_dual_lshrrev_b32 v9, 2, v9
	s_wait_dscnt 0x0
	v_add_nc_u16 v30, v33, 1
	s_delay_alu instid0(VALU_DEP_2) | instskip(NEXT) | instid1(VALU_DEP_3)
	v_and_or_b32 v4, 0x1c00, v28, v0
	v_and_b32_e32 v9, 62, v9
	ds_store_b16 v49, v30
	ds_load_u16 v35, v51
	v_and_b32_e32 v28, 0xff, v26
	v_lshl_add_u32 v4, v4, 2, v9
	s_delay_alu instid0(VALU_DEP_2) | instskip(NEXT) | instid1(VALU_DEP_1)
	v_dual_lshrrev_b32 v9, s16, v28 :: v_dual_bitop2_b32 v28, -1, v5 bitop3:0x14
	v_bitop3_b32 v9, v9, s12, v9 bitop3:0x30
	s_delay_alu instid0(VALU_DEP_2)
	v_and_b32_e32 v32, 0xff, v28
	s_wait_dscnt 0x0
	v_add_nc_u16 v30, v35, 1
	ds_store_b16 v51, v30
	ds_load_u16 v38, v4
	v_dual_lshlrev_b32 v30, 10, v9 :: v_dual_lshrrev_b32 v9, 2, v9
	s_delay_alu instid0(VALU_DEP_1) | instskip(NEXT) | instid1(VALU_DEP_2)
	v_and_or_b32 v30, 0x1c00, v30, v0
	v_and_b32_e32 v9, 62, v9
	s_delay_alu instid0(VALU_DEP_1) | instskip(SKIP_1) | instid1(VALU_DEP_1)
	v_lshl_add_u32 v54, v30, 2, v9
	v_dual_lshrrev_b32 v30, 8, v5 :: v_dual_lshrrev_b32 v9, s16, v32
	v_xor_b32_e32 v30, -1, v30
	s_delay_alu instid0(VALU_DEP_2) | instskip(SKIP_2) | instid1(VALU_DEP_2)
	v_bitop3_b32 v9, v9, s12, v9 bitop3:0x30
	s_wait_dscnt 0x0
	v_add_nc_u16 v36, v38, 1
	v_dual_lshlrev_b32 v32, 10, v9 :: v_dual_lshrrev_b32 v9, 2, v9
	ds_store_b16 v4, v36
	ds_load_u16 v40, v54
	v_and_b32_e32 v36, 0xff, v30
	v_and_or_b32 v32, 0x1c00, v32, v0
	v_and_b32_e32 v9, 62, v9
	s_delay_alu instid0(VALU_DEP_1) | instskip(NEXT) | instid1(VALU_DEP_4)
	v_lshl_add_u32 v56, v32, 2, v9
	v_dual_lshrrev_b32 v9, s16, v36 :: v_dual_lshrrev_b32 v32, 16, v5
	v_lshrrev_b32_e32 v5, 24, v5
	s_delay_alu instid0(VALU_DEP_2) | instskip(NEXT) | instid1(VALU_DEP_1)
	v_bitop3_b32 v9, v9, s12, v9 bitop3:0x30
	v_dual_lshlrev_b32 v36, 10, v9 :: v_dual_bitop2_b32 v32, -1, v32 bitop3:0x14
	v_lshrrev_b32_e32 v9, 2, v9
	s_wait_dscnt 0x0
	v_add_nc_u16 v37, v40, 1
	s_delay_alu instid0(VALU_DEP_3) | instskip(NEXT) | instid1(VALU_DEP_3)
	v_and_or_b32 v36, 0x1c00, v36, v0
	v_and_b32_e32 v9, 62, v9
	ds_store_b16 v54, v37
	ds_load_u16 v43, v56
	v_and_b32_e32 v37, 0xff, v32
	v_lshl_add_u32 v58, v36, 2, v9
	s_delay_alu instid0(VALU_DEP_2) | instskip(NEXT) | instid1(VALU_DEP_1)
	v_lshrrev_b32_e32 v9, s16, v37
	v_bitop3_b32 v9, v9, s12, v9 bitop3:0x30
	s_delay_alu instid0(VALU_DEP_1) | instskip(SKIP_2) | instid1(VALU_DEP_2)
	v_dual_lshlrev_b32 v36, 10, v9 :: v_dual_lshrrev_b32 v9, 2, v9
	s_wait_dscnt 0x0
	v_add_nc_u16 v39, v43, 1
	v_and_or_b32 v36, 0x1c00, v36, v0
	s_delay_alu instid0(VALU_DEP_3)
	v_and_b32_e32 v9, 62, v9
	ds_store_b16 v56, v39
	ds_load_u16 v44, v58
	v_lshl_add_u32 v59, v36, 2, v9
	s_wait_loadcnt 0x1
	v_xor_b32_e32 v36, -1, v8
	s_wait_dscnt 0x0
	v_add_nc_u16 v39, v44, 1
	ds_store_b16 v58, v39
	v_and_b32_e32 v39, 0xff, v36
	v_xor_b32_e32 v5, -1, v5
	ds_load_u16 v45, v59
	v_and_b32_e32 v37, 0xff, v5
	s_delay_alu instid0(VALU_DEP_1) | instskip(NEXT) | instid1(VALU_DEP_1)
	v_lshrrev_b32_e32 v9, s16, v37
	v_bitop3_b32 v9, v9, s12, v9 bitop3:0x30
	s_delay_alu instid0(VALU_DEP_1) | instskip(SKIP_2) | instid1(VALU_DEP_2)
	v_dual_lshlrev_b32 v37, 10, v9 :: v_dual_lshrrev_b32 v9, 2, v9
	s_wait_dscnt 0x0
	v_add_nc_u16 v46, v45, 1
	v_and_or_b32 v37, 0x1c00, v37, v0
	s_delay_alu instid0(VALU_DEP_3)
	v_and_b32_e32 v9, 62, v9
	ds_store_b16 v59, v46
	v_lshl_add_u32 v60, v37, 2, v9
	v_dual_lshrrev_b32 v9, s16, v39 :: v_dual_lshrrev_b32 v37, 8, v8
	ds_load_u16 v46, v60
	v_bitop3_b32 v9, v9, s12, v9 bitop3:0x30
	v_xor_b32_e32 v39, -1, v37
	s_delay_alu instid0(VALU_DEP_2) | instskip(NEXT) | instid1(VALU_DEP_1)
	v_dual_lshlrev_b32 v48, 10, v9 :: v_dual_lshrrev_b32 v9, 2, v9
	v_and_or_b32 v37, 0x1c00, v48, v0
	s_delay_alu instid0(VALU_DEP_2) | instskip(NEXT) | instid1(VALU_DEP_4)
	v_and_b32_e32 v9, 62, v9
	v_and_b32_e32 v48, 0xff, v39
	s_delay_alu instid0(VALU_DEP_2) | instskip(SKIP_1) | instid1(VALU_DEP_3)
	v_lshl_add_u32 v61, v37, 2, v9
	v_lshrrev_b32_e32 v37, 16, v8
	v_lshrrev_b32_e32 v9, s16, v48
	s_wait_dscnt 0x0
	v_add_nc_u16 v50, v46, 1
	s_delay_alu instid0(VALU_DEP_3) | instskip(NEXT) | instid1(VALU_DEP_3)
	v_xor_b32_e32 v37, -1, v37
	v_bitop3_b32 v9, v9, s12, v9 bitop3:0x30
	ds_store_b16 v60, v50
	ds_load_u16 v48, v61
	v_and_b32_e32 v52, 0xff, v37
	v_dual_lshlrev_b32 v50, 10, v9 :: v_dual_lshrrev_b32 v9, 2, v9
	s_delay_alu instid0(VALU_DEP_2) | instskip(NEXT) | instid1(VALU_DEP_2)
	v_lshrrev_b32_e32 v52, s16, v52
	v_and_or_b32 v50, 0x1c00, v50, v0
	s_delay_alu instid0(VALU_DEP_3) | instskip(NEXT) | instid1(VALU_DEP_3)
	v_and_b32_e32 v9, 62, v9
	v_bitop3_b32 v55, v52, s12, v52 bitop3:0x30
	s_delay_alu instid0(VALU_DEP_2)
	v_lshl_add_u32 v62, v50, 2, v9
	s_wait_loadcnt 0x0
	v_and_b32_e32 v9, 0xffff, v42
	v_xor_b32_e32 v42, -1, v42
	s_wait_dscnt 0x0
	v_add_nc_u16 v53, v48, 1
	ds_store_b16 v61, v53
	ds_load_u16 v50, v62
	v_lshrrev_b64 v[52:53], 24, v[8:9]
	v_dual_lshlrev_b32 v53, 10, v55 :: v_dual_lshrrev_b32 v55, 2, v55
	s_delay_alu instid0(VALU_DEP_2) | instskip(NEXT) | instid1(VALU_DEP_2)
	v_dual_lshrrev_b32 v9, 8, v9 :: v_dual_bitop2_b32 v8, -1, v52 bitop3:0x14
	v_and_or_b32 v52, 0x1c00, v53, v0
	s_delay_alu instid0(VALU_DEP_2) | instskip(NEXT) | instid1(VALU_DEP_1)
	v_xor_b32_e32 v9, -1, v9
	v_and_b32_e32 v66, 0xff, v9
	s_wait_dscnt 0x0
	v_add_nc_u16 v57, v50, 1
	ds_store_b16 v62, v57
	v_and_b32_e32 v57, 0xff, v42
	v_and_b32_e32 v53, 62, v55
	;; [unrolled: 1-line block ×3, first 2 shown]
	s_delay_alu instid0(VALU_DEP_2) | instskip(NEXT) | instid1(VALU_DEP_2)
	v_lshl_add_u32 v63, v52, 2, v53
	v_lshrrev_b32_e32 v53, s16, v55
	ds_load_u16 v52, v63
	v_bitop3_b32 v53, v53, s12, v53 bitop3:0x30
	s_delay_alu instid0(VALU_DEP_1) | instskip(NEXT) | instid1(VALU_DEP_1)
	v_dual_lshlrev_b32 v55, 10, v53 :: v_dual_lshrrev_b32 v53, 2, v53
	v_and_or_b32 v55, 0x1c00, v55, v0
	s_delay_alu instid0(VALU_DEP_2) | instskip(NEXT) | instid1(VALU_DEP_1)
	v_and_b32_e32 v53, 62, v53
	v_lshl_add_u32 v64, v55, 2, v53
	v_lshrrev_b32_e32 v55, s16, v57
	s_wait_dscnt 0x0
	v_add_nc_u16 v65, v52, 1
	s_delay_alu instid0(VALU_DEP_2) | instskip(SKIP_3) | instid1(VALU_DEP_1)
	v_bitop3_b32 v55, v55, s12, v55 bitop3:0x30
	ds_store_b16 v63, v65
	ds_load_u16 v53, v64
	v_dual_lshlrev_b32 v57, 10, v55 :: v_dual_lshrrev_b32 v55, 2, v55
	v_and_or_b32 v57, 0x1c00, v57, v0
	s_delay_alu instid0(VALU_DEP_2) | instskip(NEXT) | instid1(VALU_DEP_1)
	v_and_b32_e32 v55, 62, v55
	v_lshl_add_u32 v65, v57, 2, v55
	v_lshrrev_b32_e32 v57, s16, v66
	s_delay_alu instid0(VALU_DEP_1) | instskip(SKIP_2) | instid1(VALU_DEP_2)
	v_bitop3_b32 v57, v57, s12, v57 bitop3:0x30
	s_wait_dscnt 0x0
	v_add_nc_u16 v67, v53, 1
	v_dual_lshlrev_b32 v66, 10, v57 :: v_dual_lshrrev_b32 v57, 2, v57
	ds_store_b16 v64, v67
	ds_load_u16 v55, v65
	v_and_or_b32 v66, 0x1c00, v66, v0
	v_and_b32_e32 v57, 62, v57
	s_delay_alu instid0(VALU_DEP_1)
	v_lshl_add_u32 v66, v66, 2, v57
	s_wait_dscnt 0x0
	v_add_nc_u16 v67, v55, 1
	ds_store_b16 v65, v67
	ds_load_u16 v57, v66
	v_lshlrev_b32_e32 v67, 5, v0
	s_wait_dscnt 0x0
	v_add_nc_u16 v68, v57, 1
	ds_store_b16 v66, v68
	s_wait_storecnt_dscnt 0x0
	s_barrier_signal -1
	s_barrier_wait -1
	ds_load_2addr_b64 v[68:71], v67 offset1:1
	ds_load_2addr_b64 v[72:75], v67 offset0:2 offset1:3
	s_wait_dscnt 0x1
	v_add_nc_u32_e32 v68, v69, v68
	s_delay_alu instid0(VALU_DEP_1) | instskip(SKIP_1) | instid1(VALU_DEP_1)
	v_add3_u32 v68, v68, v70, v71
	s_wait_dscnt 0x0
	v_add3_u32 v69, v68, v72, v73
	v_mbcnt_lo_u32_b32 v68, -1, 0
	v_and_b32_e32 v72, 31, v0
	s_delay_alu instid0(VALU_DEP_3) | instskip(NEXT) | instid1(VALU_DEP_3)
	v_add3_u32 v69, v69, v74, v75
	v_and_b32_e32 v70, 15, v68
	s_delay_alu instid0(VALU_DEP_2) | instskip(NEXT) | instid1(VALU_DEP_2)
	v_mov_b32_dpp v71, v69 row_shr:1 row_mask:0xf bank_mask:0xf
	v_cmp_eq_u32_e32 vcc_lo, 0, v70
	s_delay_alu instid0(VALU_DEP_2) | instskip(NEXT) | instid1(VALU_DEP_1)
	v_cndmask_b32_e64 v71, v71, 0, vcc_lo
	v_add_nc_u32_e32 v69, v71, v69
	v_cmp_lt_u32_e64 s2, 1, v70
	v_cmp_lt_u32_e64 s3, 3, v70
	;; [unrolled: 1-line block ×3, first 2 shown]
	s_delay_alu instid0(VALU_DEP_4) | instskip(NEXT) | instid1(VALU_DEP_1)
	v_mov_b32_dpp v71, v69 row_shr:2 row_mask:0xf bank_mask:0xf
	v_cndmask_b32_e64 v71, 0, v71, s2
	s_delay_alu instid0(VALU_DEP_1) | instskip(NEXT) | instid1(VALU_DEP_1)
	v_add_nc_u32_e32 v69, v69, v71
	v_mov_b32_dpp v71, v69 row_shr:4 row_mask:0xf bank_mask:0xf
	s_delay_alu instid0(VALU_DEP_1) | instskip(NEXT) | instid1(VALU_DEP_1)
	v_cndmask_b32_e64 v71, 0, v71, s3
	v_add_nc_u32_e32 v69, v69, v71
	s_delay_alu instid0(VALU_DEP_1) | instskip(NEXT) | instid1(VALU_DEP_1)
	v_mov_b32_dpp v71, v69 row_shr:8 row_mask:0xf bank_mask:0xf
	v_cndmask_b32_e64 v70, 0, v71, s4
	v_bfe_i32 v71, v68, 4, 1
	s_delay_alu instid0(VALU_DEP_2) | instskip(SKIP_3) | instid1(VALU_DEP_1)
	v_add_nc_u32_e32 v69, v69, v70
	ds_swizzle_b32 v70, v69 offset:swizzle(BROADCAST,32,15)
	s_wait_dscnt 0x0
	v_dual_lshrrev_b32 v71, 5, v0 :: v_dual_bitop2_b32 v70, v71, v70 bitop3:0x40
	v_dual_add_nc_u32 v69, v69, v70 :: v_dual_bitop2_b32 v73, 16, v68 bitop3:0x40
	s_delay_alu instid0(VALU_DEP_2) | instskip(NEXT) | instid1(VALU_DEP_2)
	v_lshlrev_b32_e32 v70, 2, v71
	v_cmp_eq_u32_e64 s5, 0, v73
	v_cmpx_eq_u32_e32 31, v72
; %bb.118:
	ds_store_b32 v70, v69 offset:32768
; %bb.119:
	s_or_b32 exec_lo, exec_lo, s7
	v_cmp_lt_u32_e64 s6, 31, v0
	s_mov_b32 s13, exec_lo
	s_wait_dscnt 0x0
	s_barrier_signal -1
	s_barrier_wait -1
	v_cmpx_gt_u32_e32 32, v0
	s_cbranch_execz .LBB117_121
; %bb.120:
	v_mad_i32_i24 v71, 0xffffffe4, v0, v67
	ds_load_b32 v72, v71 offset:32768
	s_wait_dscnt 0x0
	v_mov_b32_dpp v73, v72 row_shr:1 row_mask:0xf bank_mask:0xf
	s_delay_alu instid0(VALU_DEP_1) | instskip(NEXT) | instid1(VALU_DEP_1)
	v_cndmask_b32_e64 v73, v73, 0, vcc_lo
	v_add_nc_u32_e32 v72, v73, v72
	s_delay_alu instid0(VALU_DEP_1) | instskip(NEXT) | instid1(VALU_DEP_1)
	v_mov_b32_dpp v73, v72 row_shr:2 row_mask:0xf bank_mask:0xf
	v_cndmask_b32_e64 v73, 0, v73, s2
	s_delay_alu instid0(VALU_DEP_1) | instskip(NEXT) | instid1(VALU_DEP_1)
	v_add_nc_u32_e32 v72, v72, v73
	v_mov_b32_dpp v73, v72 row_shr:4 row_mask:0xf bank_mask:0xf
	s_delay_alu instid0(VALU_DEP_1) | instskip(NEXT) | instid1(VALU_DEP_1)
	v_cndmask_b32_e64 v73, 0, v73, s3
	v_add_nc_u32_e32 v72, v72, v73
	s_delay_alu instid0(VALU_DEP_1) | instskip(NEXT) | instid1(VALU_DEP_1)
	v_mov_b32_dpp v73, v72 row_shr:8 row_mask:0xf bank_mask:0xf
	v_cndmask_b32_e64 v73, 0, v73, s4
	s_delay_alu instid0(VALU_DEP_1) | instskip(SKIP_3) | instid1(VALU_DEP_1)
	v_add_nc_u32_e32 v72, v72, v73
	ds_swizzle_b32 v73, v72 offset:swizzle(BROADCAST,32,15)
	s_wait_dscnt 0x0
	v_cndmask_b32_e64 v73, v73, 0, s5
	v_add_nc_u32_e32 v72, v72, v73
	ds_store_b32 v71, v72 offset:32768
.LBB117_121:
	s_or_b32 exec_lo, exec_lo, s13
	v_dual_mov_b32 v72, 0 :: v_dual_mov_b32 v71, 0
	s_wait_dscnt 0x0
	s_barrier_signal -1
	s_barrier_wait -1
	s_and_saveexec_b32 s2, s6
; %bb.122:
	ds_load_b32 v71, v70 offset:32764
; %bb.123:
	s_or_b32 exec_lo, exec_lo, s2
	v_sub_co_u32 v70, vcc_lo, v68, 1
	s_wait_dscnt 0x0
	v_add_nc_u32_e32 v69, v71, v69
	s_delay_alu instid0(VALU_DEP_2) | instskip(NEXT) | instid1(VALU_DEP_1)
	v_cmp_gt_i32_e64 s2, 0, v70
	v_cndmask_b32_e64 v68, v70, v68, s2
	v_cmp_gt_u32_e64 s2, 16, v0
	s_delay_alu instid0(VALU_DEP_2)
	v_lshlrev_b32_e32 v68, 2, v68
	ds_bpermute_b32 v68, v68, v69
	ds_load_b32 v69, v72 offset:32892
	ds_load_2addr_b64 v[72:75], v67 offset1:1
	ds_load_b32 v76, v67 offset:24
	s_wait_dscnt 0x3
	v_cndmask_b32_e32 v68, v68, v71, vcc_lo
	ds_load_b64 v[70:71], v67 offset:16
	v_cmp_lt_u32_e32 vcc_lo, 15, v0
	s_wait_dscnt 0x3
	v_lshl_add_u32 v68, v69, 16, v68
	s_wait_dscnt 0x2
	s_delay_alu instid0(VALU_DEP_1) | instskip(NEXT) | instid1(VALU_DEP_1)
	v_add_nc_u32_e32 v69, v68, v72
	v_add_nc_u32_e32 v72, v73, v69
	s_delay_alu instid0(VALU_DEP_1) | instskip(NEXT) | instid1(VALU_DEP_1)
	v_add_nc_u32_e32 v73, v74, v72
	v_add_nc_u32_e32 v74, v75, v73
	s_wait_dscnt 0x0
	s_delay_alu instid0(VALU_DEP_1) | instskip(NEXT) | instid1(VALU_DEP_1)
	v_add_nc_u32_e32 v75, v70, v74
	v_add_nc_u32_e32 v70, v71, v75
	s_delay_alu instid0(VALU_DEP_1)
	v_add_nc_u32_e32 v71, v76, v70
	ds_store_2addr_b64 v67, v[68:69], v[72:73] offset1:1
	ds_store_2addr_b64 v67, v[74:75], v[70:71] offset0:2 offset1:3
	s_wait_dscnt 0x0
	s_barrier_signal -1
	s_barrier_wait -1
	ds_load_u16 v17, v17
	ds_load_u16 v20, v20
	;; [unrolled: 1-line block ×22, first 2 shown]
	v_mov_b64_e32 v[2:3], 0
                                        ; implicit-def: $vgpr4
	s_and_saveexec_b32 s4, s2
	s_cbranch_execz .LBB117_127
; %bb.124:
	v_dual_lshlrev_b32 v2, 12, v0 :: v_dual_lshrrev_b32 v3, 2, v0
	v_add_nc_u32_e32 v4, 1, v0
	s_mov_b32 s5, exec_lo
	s_delay_alu instid0(VALU_DEP_2)
	v_bitop3_b32 v2, v2, 0x70fe, v3 bitop3:0xc8
	v_mov_b32_e32 v3, 0x5800
	ds_load_u16 v2, v2
	v_cmpx_ne_u32_e32 16, v4
; %bb.125:
	v_dual_lshlrev_b32 v3, 12, v4 :: v_dual_lshrrev_b32 v4, 2, v4
	s_delay_alu instid0(VALU_DEP_1)
	v_bitop3_b32 v3, v3, 0x71fe, v4 bitop3:0xc8
	ds_load_u16 v3, v3
; %bb.126:
	s_or_b32 exec_lo, exec_lo, s5
	s_wait_dscnt 0x0
	v_and_b32_e32 v2, 0xffff, v2
	s_mov_b32 s3, 0
	s_delay_alu instid0(VALU_DEP_1) | instid1(SALU_CYCLE_1)
	v_dual_mov_b32 v3, s3 :: v_dual_sub_nc_u32 v4, v3, v2
.LBB117_127:
	s_or_b32 exec_lo, exec_lo, s4
	s_wait_dscnt 0x15
	v_and_b32_e32 v17, 0xffff, v17
	v_and_b32_e32 v11, 0xffff, v11
	s_wait_dscnt 0x14
	v_and_b32_e32 v20, 0xffff, v20
	v_and_b32_e32 v14, 0xffff, v14
	s_wait_dscnt 0x13
	v_and_b32_e32 v67, 0xffff, v67
	v_and_b32_e32 v15, 0xffff, v15
	s_wait_dscnt 0x12
	v_and_b32_e32 v27, 0xffff, v27
	v_and_b32_e32 v19, 0xffff, v19
	v_dual_add_nc_u32 v11, v17, v11 :: v_dual_add_nc_u32 v14, v20, v14
	s_wait_dscnt 0x11
	v_and_b32_e32 v34, 0xffff, v34
	v_and_b32_e32 v21, 0xffff, v21
	s_wait_dscnt 0x10
	v_and_b32_e32 v41, 0xffff, v41
	v_and_b32_e32 v25, 0xffff, v25
	v_add_nc_u32_e32 v15, v67, v15
	s_wait_dscnt 0xf
	v_and_b32_e32 v68, 0xffff, v68
	v_and_b32_e32 v29, 0xffff, v29
	s_wait_dscnt 0xe
	v_and_b32_e32 v47, 0xffff, v47
	v_and_b32_e32 v31, 0xffff, v31
	;; [unrolled: 3-line block ×3, first 2 shown]
	s_wait_dscnt 0x0
	s_barrier_signal -1
	s_barrier_wait -1
	ds_store_b8 v11, v1 offset:128
	ds_store_b8 v14, v7 offset:128
	;; [unrolled: 1-line block ×3, first 2 shown]
	v_dual_add_nc_u32 v1, v27, v19 :: v_dual_add_nc_u32 v10, v41, v25
	v_and_b32_e32 v51, 0xffff, v51
	v_and_b32_e32 v35, 0xffff, v35
	v_add_nc_u32_e32 v7, v34, v21
	v_and_b32_e32 v69, 0xffff, v69
	v_and_b32_e32 v38, 0xffff, v38
	;; [unrolled: 1-line block ×4, first 2 shown]
	v_dual_add_nc_u32 v11, v68, v29 :: v_dual_add_nc_u32 v14, v47, v31
	v_and_b32_e32 v56, 0xffff, v56
	v_and_b32_e32 v43, 0xffff, v43
	;; [unrolled: 1-line block ×4, first 2 shown]
	ds_store_b8 v1, v12 offset:128
	ds_store_b8 v7, v13 offset:128
	;; [unrolled: 1-line block ×5, first 2 shown]
	v_dual_add_nc_u32 v1, v49, v33 :: v_dual_add_nc_u32 v6, v51, v35
	v_and_b32_e32 v59, 0xffff, v59
	v_and_b32_e32 v45, 0xffff, v45
	;; [unrolled: 1-line block ×4, first 2 shown]
	v_dual_add_nc_u32 v7, v69, v38 :: v_dual_add_nc_u32 v10, v54, v40
	v_and_b32_e32 v61, 0xffff, v61
	v_and_b32_e32 v48, 0xffff, v48
	;; [unrolled: 1-line block ×4, first 2 shown]
	v_add_nc_u32_e32 v11, v56, v43
	ds_store_b8 v1, v22 offset:128
	ds_store_b8 v6, v23 offset:128
	;; [unrolled: 1-line block ×5, first 2 shown]
	v_dual_add_nc_u32 v1, v58, v44 :: v_dual_add_nc_u32 v6, v59, v45
	v_dual_add_nc_u32 v7, v60, v46 :: v_dual_add_nc_u32 v10, v61, v48
	v_add_nc_u32_e32 v11, v62, v50
	v_and_b32_e32 v63, 0xffff, v63
	v_and_b32_e32 v66, 0xffff, v66
	;; [unrolled: 1-line block ×4, first 2 shown]
	ds_store_b8 v1, v30 offset:128
	ds_store_b8 v6, v32 offset:128
	;; [unrolled: 1-line block ×5, first 2 shown]
	v_mov_b32_e32 v7, 0
	v_and_b32_e32 v64, 0xffff, v64
	v_and_b32_e32 v53, 0xffff, v53
	;; [unrolled: 1-line block ×4, first 2 shown]
	v_dual_add_nc_u32 v6, v63, v52 :: v_dual_add_nc_u32 v12, v66, v57
	v_dual_mov_b32 v1, v7 :: v_dual_lshlrev_b32 v5, 3, v0
	s_delay_alu instid0(VALU_DEP_3)
	v_dual_add_nc_u32 v10, v64, v53 :: v_dual_add_nc_u32 v11, v65, v55
	s_not_b32 s3, s12
	ds_store_b8 v6, v37 offset:128
	ds_store_b8 v10, v8 offset:128
	;; [unrolled: 1-line block ×4, first 2 shown]
	s_and_saveexec_b32 s4, s2
	s_cbranch_execz .LBB117_137
; %bb.128:
	v_lshl_add_u32 v6, s19, 4, v0
	v_dual_mov_b32 v10, 0 :: v_dual_bitop2_b32 v11, 2.0, v4 bitop3:0x54
	s_mov_b32 s5, 0
	s_mov_b32 s6, s19
	s_delay_alu instid0(VALU_DEP_2)
	v_lshl_add_u64 v[8:9], v[6:7], 2, s[20:21]
	global_store_b32 v6, v11, s[20:21] scale_offset scope:SCOPE_DEV
                                        ; implicit-def: $sgpr2
	s_branch .LBB117_131
.LBB117_129:                            ;   in Loop: Header=BB117_131 Depth=1
	s_or_b32 exec_lo, exec_lo, s12
.LBB117_130:                            ;   in Loop: Header=BB117_131 Depth=1
	s_delay_alu instid0(SALU_CYCLE_1) | instskip(SKIP_2) | instid1(VALU_DEP_2)
	s_or_b32 exec_lo, exec_lo, s7
	v_and_b32_e32 v6, 0x3fffffff, v11
	v_cmp_gt_i32_e64 s2, -2.0, v11
	v_add_nc_u32_e32 v10, v6, v10
	s_and_b32 s7, exec_lo, s2
	s_delay_alu instid0(SALU_CYCLE_1) | instskip(NEXT) | instid1(SALU_CYCLE_1)
	s_or_b32 s5, s7, s5
	s_and_not1_b32 exec_lo, exec_lo, s5
	s_cbranch_execz .LBB117_136
.LBB117_131:                            ; =>This Loop Header: Depth=1
                                        ;     Child Loop BB117_134 Depth 2
	s_or_b32 s2, s2, exec_lo
	s_cmp_eq_u32 s6, 0
	s_cbranch_scc1 .LBB117_135
; %bb.132:                              ;   in Loop: Header=BB117_131 Depth=1
	s_add_co_i32 s6, s6, -1
	s_mov_b32 s7, exec_lo
	s_wait_xcnt 0x0
	v_lshl_or_b32 v6, s6, 4, v0
	global_load_b32 v11, v6, s[20:21] scale_offset scope:SCOPE_DEV
	s_wait_loadcnt 0x0
	v_cmpx_gt_u32_e32 2.0, v11
	s_cbranch_execz .LBB117_130
; %bb.133:                              ;   in Loop: Header=BB117_131 Depth=1
	v_lshl_add_u64 v[12:13], v[6:7], 2, s[20:21]
	s_mov_b32 s12, 0
.LBB117_134:                            ;   Parent Loop BB117_131 Depth=1
                                        ; =>  This Inner Loop Header: Depth=2
	global_load_b32 v11, v[12:13], off scope:SCOPE_DEV
	s_wait_loadcnt 0x0
	v_cmp_lt_u32_e64 s2, 0x3fffffff, v11
	s_or_b32 s12, s2, s12
	s_wait_xcnt 0x0
	s_and_not1_b32 exec_lo, exec_lo, s12
	s_cbranch_execnz .LBB117_134
	s_branch .LBB117_129
.LBB117_135:                            ;   in Loop: Header=BB117_131 Depth=1
                                        ; implicit-def: $sgpr6
	s_and_b32 s7, exec_lo, s2
	s_delay_alu instid0(SALU_CYCLE_1)
	s_or_b32 s5, s7, s5
	s_wait_xcnt 0x0
	s_and_not1_b32 exec_lo, exec_lo, s5
	s_cbranch_execnz .LBB117_131
.LBB117_136:
	s_or_b32 exec_lo, exec_lo, s5
	v_dual_mov_b32 v11, 0 :: v_dual_add_nc_u32 v6, v10, v4
	s_delay_alu instid0(VALU_DEP_1) | instskip(SKIP_4) | instid1(VALU_DEP_1)
	v_or_b32_e32 v6, 0x80000000, v6
	global_store_b32 v[8:9], v6, off scope:SCOPE_DEV
	global_load_b64 v[6:7], v0, s[8:9] scale_offset
	v_sub_nc_u64_e32 v[8:9], v[10:11], v[2:3]
	s_wait_loadcnt 0x0
	v_add_nc_u64_e32 v[6:7], v[8:9], v[6:7]
	ds_store_b64 v5, v[6:7]
.LBB117_137:
	s_wait_xcnt 0x0
	s_or_b32 exec_lo, exec_lo, s4
	s_wait_storecnt_dscnt 0x0
	s_barrier_signal -1
	s_barrier_wait -1
	ds_load_u8 v26, v0 offset:20608
	ds_load_u8 v27, v0 offset:21632
	;; [unrolled: 1-line block ×22, first 2 shown]
	s_wait_dscnt 0xf
	v_and_b32_e32 v12, 0xff, v10
	s_wait_dscnt 0x7
	v_and_b32_e32 v46, 0xff, v37
	v_and_b32_e32 v18, 0xff, v31
	;; [unrolled: 1-line block ×7, first 2 shown]
	s_delay_alu instid0(VALU_DEP_4) | instskip(NEXT) | instid1(VALU_DEP_4)
	v_dual_lshrrev_b32 v6, s16, v6 :: v_dual_bitop2_b32 v24, -1, v8 bitop3:0x14
	v_dual_lshrrev_b32 v7, s16, v7 :: v_dual_bitop2_b32 v45, -1, v10 bitop3:0x14
	s_delay_alu instid0(VALU_DEP_4) | instskip(SKIP_1) | instid1(VALU_DEP_3)
	v_lshrrev_b32_e32 v11, s16, v11
	v_and_b32_e32 v10, 0xff, v30
	v_dual_lshrrev_b32 v13, s16, v13 :: v_dual_bitop2_b32 v7, s3, v7 bitop3:0x40
	v_dual_lshrrev_b32 v12, s16, v12 :: v_dual_bitop2_b32 v6, s3, v6 bitop3:0x40
	s_delay_alu instid0(VALU_DEP_3) | instskip(NEXT) | instid1(VALU_DEP_3)
	v_dual_lshrrev_b32 v10, s16, v10 :: v_dual_bitop2_b32 v11, s3, v11 bitop3:0x40
	v_dual_lshlrev_b32 v9, 3, v7 :: v_dual_bitop2_b32 v13, s3, v13 bitop3:0x40
	s_delay_alu instid0(VALU_DEP_3) | instskip(NEXT) | instid1(VALU_DEP_3)
	v_lshlrev_b32_e32 v6, 3, v6
	v_and_b32_e32 v10, s3, v10
	s_delay_alu instid0(VALU_DEP_4) | instskip(NEXT) | instid1(VALU_DEP_4)
	v_dual_lshlrev_b32 v14, 3, v11 :: v_dual_bitop2_b32 v12, s3, v12 bitop3:0x40
	v_lshlrev_b32_e32 v13, 3, v13
	ds_load_b64 v[6:7], v6
	ds_load_b64 v[8:9], v9
	v_dual_lshlrev_b32 v16, 3, v10 :: v_dual_lshlrev_b32 v15, 3, v12
	ds_load_b64 v[10:11], v13
	ds_load_b64 v[12:13], v14
	v_and_b32_e32 v21, 0xff, v33
	v_and_b32_e32 v22, 0xff, v34
	ds_load_b64 v[14:15], v15
	ds_load_b64 v[16:17], v16
	v_dual_lshrrev_b32 v18, s16, v18 :: v_dual_lshrrev_b32 v19, s16, v19
	v_and_b32_e32 v23, 0xff, v35
	v_and_b32_e32 v25, 0xff, v36
	v_dual_lshrrev_b32 v21, s16, v21 :: v_dual_lshrrev_b32 v22, s16, v22
	s_delay_alu instid0(VALU_DEP_4) | instskip(NEXT) | instid1(VALU_DEP_4)
	v_and_b32_e32 v19, s3, v19
	v_dual_lshrrev_b32 v23, s16, v23 :: v_dual_bitop2_b32 v18, s3, v18 bitop3:0x40
	s_delay_alu instid0(VALU_DEP_3) | instskip(NEXT) | instid1(VALU_DEP_3)
	v_dual_lshrrev_b32 v25, s16, v25 :: v_dual_bitop2_b32 v48, s3, v22 bitop3:0x40
	v_dual_lshlrev_b32 v22, 3, v19 :: v_dual_bitop2_b32 v21, s3, v21 bitop3:0x40
	s_delay_alu instid0(VALU_DEP_2) | instskip(NEXT) | instid1(VALU_DEP_4)
	v_dual_lshlrev_b32 v18, 3, v18 :: v_dual_bitop2_b32 v25, s3, v25 bitop3:0x40
	v_dual_lshrrev_b32 v46, s16, v46 :: v_dual_bitop2_b32 v49, s3, v23 bitop3:0x40
	s_wait_dscnt 0x3
	v_add_nc_u64_e32 v[10:11], s[14:15], v[10:11]
	v_lshlrev_b32_e32 v23, 3, v21
	s_wait_dscnt 0x2
	v_add_nc_u64_e32 v[12:13], s[14:15], v[12:13]
	ds_load_b64 v[18:19], v18
	v_xor_b32_e32 v50, -1, v20
	ds_load_b64 v[20:21], v22
	ds_load_b64 v[22:23], v23
	v_and_b32_e32 v47, 0xff, v38
	s_wait_dscnt 0x4
	v_add_nc_u64_e32 v[14:15], s[14:15], v[14:15]
	v_add_nc_u64_e32 v[10:11], v[10:11], v[0:1]
	;; [unrolled: 1-line block ×3, first 2 shown]
	s_wait_dscnt 0x3
	v_add_nc_u64_e32 v[16:17], s[14:15], v[16:17]
	v_dual_lshrrev_b32 v47, s16, v47 :: v_dual_bitop2_b32 v46, s3, v46 bitop3:0x40
	s_clause 0x1
	global_store_b8 v[10:11], v50, off
	global_store_b8 v[12:13], v24, off offset:1024
	v_add_nc_u64_e32 v[14:15], v[14:15], v[0:1]
	s_wait_xcnt 0x0
	v_dual_lshlrev_b32 v10, 3, v48 :: v_dual_lshlrev_b32 v24, 3, v25
	v_dual_lshlrev_b32 v12, 3, v49 :: v_dual_bitop2_b32 v47, s3, v47 bitop3:0x40
	v_add_nc_u64_e32 v[16:17], v[16:17], v[0:1]
	v_xor_b32_e32 v30, -1, v30
	ds_load_b64 v[10:11], v10
	ds_load_b64 v[12:13], v12
	;; [unrolled: 1-line block ×3, first 2 shown]
	global_store_b8 v[14:15], v45, off offset:2048
	s_wait_xcnt 0x0
	v_dual_lshlrev_b32 v45, 3, v46 :: v_dual_lshlrev_b32 v46, 3, v47
	s_wait_dscnt 0x5
	v_add_nc_u64_e32 v[14:15], s[14:15], v[18:19]
	global_store_b8 v[16:17], v30, off offset:3072
	s_wait_dscnt 0x4
	s_wait_xcnt 0x0
	v_add_nc_u64_e32 v[16:17], s[14:15], v[20:21]
	s_wait_dscnt 0x3
	v_add_nc_u64_e32 v[18:19], s[14:15], v[22:23]
	ds_load_b64 v[20:21], v45
	ds_load_b64 v[22:23], v46
	v_xor_b32_e32 v30, -1, v31
	v_xor_b32_e32 v31, -1, v32
	v_add_nc_u64_e32 v[14:15], v[14:15], v[0:1]
	v_xor_b32_e32 v32, -1, v33
	v_add_nc_u64_e32 v[16:17], v[16:17], v[0:1]
	v_add_nc_u64_e32 v[18:19], v[18:19], v[0:1]
	v_xor_b32_e32 v33, -1, v42
	v_add_nc_u64_e32 v[6:7], s[14:15], v[6:7]
	v_add_nc_u64_e32 v[8:9], s[14:15], v[8:9]
	s_wait_dscnt 0x4
	v_add_nc_u64_e32 v[10:11], s[14:15], v[10:11]
	s_wait_dscnt 0x3
	v_add_nc_u64_e32 v[12:13], s[14:15], v[12:13]
	global_store_b8 v[14:15], v30, off offset:4096
	s_wait_dscnt 0x2
	s_wait_xcnt 0x0
	v_add_nc_u64_e32 v[14:15], s[14:15], v[24:25]
	s_clause 0x1
	global_store_b8 v[16:17], v31, off offset:5120
	global_store_b8 v[18:19], v32, off offset:6144
	v_xor_b32_e32 v24, -1, v34
	v_xor_b32_e32 v25, -1, v35
	v_add_nc_u64_e32 v[10:11], v[10:11], v[0:1]
	v_add_nc_u64_e32 v[12:13], v[12:13], v[0:1]
	s_wait_dscnt 0x1
	s_wait_xcnt 0x1
	v_add_nc_u64_e32 v[16:17], s[14:15], v[20:21]
	s_wait_dscnt 0x0
	s_wait_xcnt 0x0
	v_add_nc_u64_e32 v[18:19], s[14:15], v[22:23]
	v_add_nc_u64_e32 v[14:15], v[14:15], v[0:1]
	s_clause 0x1
	global_store_b8 v[10:11], v24, off offset:7168
	global_store_b8 v[12:13], v25, off offset:8192
	v_xor_b32_e32 v30, -1, v36
	v_and_b32_e32 v20, 0xff, v39
	s_wait_xcnt 0x0
	v_add_nc_u64_e32 v[12:13], v[18:19], v[0:1]
	v_and_b32_e32 v18, 0xff, v43
	v_add_nc_u64_e32 v[10:11], v[16:17], v[0:1]
	v_and_b32_e32 v16, 0xff, v41
	global_store_b8 v[14:15], v30, off offset:9216
	s_wait_xcnt 0x0
	v_and_b32_e32 v15, 0xff, v40
	v_lshrrev_b32_e32 v18, s16, v18
	v_and_b32_e32 v17, 0xff, v42
	v_lshrrev_b32_e32 v14, s16, v20
	v_lshrrev_b32_e32 v16, s16, v16
	v_and_b32_e32 v25, 0xff, v28
	v_dual_lshrrev_b32 v15, s16, v15 :: v_dual_bitop2_b32 v18, s3, v18 bitop3:0x40
	v_lshrrev_b32_e32 v17, s16, v17
	v_and_b32_e32 v23, 0xff, v44
	s_delay_alu instid0(VALU_DEP_4) | instskip(NEXT) | instid1(VALU_DEP_4)
	v_dual_lshrrev_b32 v25, s16, v25 :: v_dual_bitop2_b32 v16, s3, v16 bitop3:0x40
	v_lshlrev_b32_e32 v22, 3, v18
	v_and_b32_e32 v14, s3, v14
	s_delay_alu instid0(VALU_DEP_4) | instskip(NEXT) | instid1(VALU_DEP_4)
	v_dual_lshrrev_b32 v31, s16, v23 :: v_dual_bitop2_b32 v17, s3, v17 bitop3:0x40
	v_dual_lshlrev_b32 v20, 3, v16 :: v_dual_bitop2_b32 v19, s3, v15 bitop3:0x40
	s_delay_alu instid0(VALU_DEP_2) | instskip(NEXT) | instid1(VALU_DEP_2)
	v_dual_lshlrev_b32 v14, 3, v14 :: v_dual_lshlrev_b32 v21, 3, v17
	v_dual_lshlrev_b32 v19, 3, v19 :: v_dual_bitop2_b32 v24, -1, v37 bitop3:0x14
	v_and_b32_e32 v30, 0xff, v29
	ds_load_b64 v[14:15], v14
	ds_load_b64 v[16:17], v19
	;; [unrolled: 1-line block ×4, first 2 shown]
	v_dual_lshrrev_b32 v30, s16, v30 :: v_dual_bitop2_b32 v31, s3, v31 bitop3:0x40
	v_xor_b32_e32 v32, -1, v38
	global_store_b8 v[10:11], v24, off offset:10240
	ds_load_b64 v[22:23], v22
	v_add_nc_u64_e32 v[6:7], v[6:7], v[0:1]
	v_add_nc_u64_e32 v[8:9], v[8:9], v[0:1]
	global_store_b8 v[12:13], v32, off offset:11264
	s_wait_xcnt 0x0
	v_and_b32_e32 v12, s3, v30
	v_dual_lshlrev_b32 v13, 3, v31 :: v_dual_bitop2_b32 v10, s3, v25 bitop3:0x40
	v_xor_b32_e32 v31, -1, v40
	s_delay_alu instid0(VALU_DEP_3) | instskip(NEXT) | instid1(VALU_DEP_3)
	v_dual_lshlrev_b32 v25, 3, v12 :: v_dual_bitop2_b32 v32, -1, v41 bitop3:0x14
	v_dual_lshlrev_b32 v24, 3, v10 :: v_dual_bitop2_b32 v30, -1, v39 bitop3:0x14
	s_wait_dscnt 0x4
	v_add_nc_u64_e32 v[10:11], s[14:15], v[14:15]
	s_wait_dscnt 0x3
	v_add_nc_u64_e32 v[14:15], s[14:15], v[16:17]
	;; [unrolled: 2-line block ×4, first 2 shown]
	ds_load_b64 v[16:17], v24
	ds_load_b64 v[12:13], v13
	;; [unrolled: 1-line block ×3, first 2 shown]
	v_add_nc_u64_e32 v[10:11], v[10:11], v[0:1]
	v_add_nc_u64_e32 v[14:15], v[14:15], v[0:1]
	;; [unrolled: 1-line block ×4, first 2 shown]
	s_wait_dscnt 0x3
	v_add_nc_u64_e32 v[22:23], s[14:15], v[22:23]
	s_clause 0x3
	global_store_b8 v[10:11], v30, off offset:12288
	global_store_b8 v[14:15], v31, off offset:13312
	;; [unrolled: 1-line block ×4, first 2 shown]
	s_wait_xcnt 0x3
	v_xor_b32_e32 v30, -1, v43
	s_wait_xcnt 0x1
	v_xor_b32_e32 v18, -1, v29
	v_add_nc_u64_e32 v[22:23], v[22:23], v[0:1]
	v_xor_b32_e32 v19, -1, v27
	s_wait_dscnt 0x1
	v_add_nc_u64_e32 v[10:11], s[14:15], v[12:13]
	v_add_nc_u64_e32 v[12:13], s[14:15], v[16:17]
	s_wait_dscnt 0x0
	v_add_nc_u64_e32 v[14:15], s[14:15], v[24:25]
	v_xor_b32_e32 v16, -1, v44
	v_xor_b32_e32 v17, -1, v28
	global_store_b8 v[22:23], v30, off offset:16384
	v_add_nc_u64_e32 v[10:11], v[10:11], v[0:1]
	v_add_nc_u64_e32 v[12:13], v[12:13], v[0:1]
	;; [unrolled: 1-line block ×3, first 2 shown]
	v_xor_b32_e32 v1, -1, v26
	s_clause 0x4
	global_store_b8 v[10:11], v16, off offset:17408
	global_store_b8 v[12:13], v17, off offset:18432
	;; [unrolled: 1-line block ×5, first 2 shown]
	s_load_b32 s0, s[0:1], 0x58
	s_wait_kmcnt 0x0
	s_add_co_i32 s0, s0, -1
	s_delay_alu instid0(SALU_CYCLE_1) | instskip(SKIP_2) | instid1(SALU_CYCLE_1)
	s_cmp_eq_u32 s19, s0
	s_cselect_b32 s0, -1, 0
	s_xor_b32 s1, vcc_lo, -1
	s_and_b32 s0, s1, s0
	s_delay_alu instid0(SALU_CYCLE_1)
	s_and_saveexec_b32 s1, s0
	s_cbranch_execz .LBB117_139
; %bb.138:
	ds_load_b64 v[6:7], v5
	v_mov_b32_e32 v5, 0
	s_delay_alu instid0(VALU_DEP_1) | instskip(SKIP_1) | instid1(VALU_DEP_1)
	v_add_nc_u64_e32 v[2:3], v[2:3], v[4:5]
	s_wait_dscnt 0x0
	v_add_nc_u64_e32 v[2:3], v[2:3], v[6:7]
	global_store_b64 v0, v[2:3], s[10:11] scale_offset
.LBB117_139:
	s_sendmsg sendmsg(MSG_DEALLOC_VGPRS)
	s_endpgm
	.section	.rodata,"a",@progbits
	.p2align	6, 0x0
	.amdhsa_kernel _ZN7rocprim17ROCPRIM_400000_NS6detail17trampoline_kernelINS0_14default_configENS1_35radix_sort_onesweep_config_selectorIhNS0_10empty_typeEEEZZNS1_29radix_sort_onesweep_iterationIS3_Lb1EPKhPhPS5_SB_mNS0_19identity_decomposerENS1_16block_id_wrapperIjLb1EEEEE10hipError_tT1_PNSt15iterator_traitsISG_E10value_typeET2_T3_PNSH_ISM_E10value_typeET4_T5_PSR_SS_PNS1_23onesweep_lookback_stateEbbT6_jjT7_P12ihipStream_tbENKUlT_T0_SG_SL_E_clISA_SA_SB_SB_EEDaSZ_S10_SG_SL_EUlSZ_E_NS1_11comp_targetILNS1_3genE0ELNS1_11target_archE4294967295ELNS1_3gpuE0ELNS1_3repE0EEENS1_47radix_sort_onesweep_sort_config_static_selectorELNS0_4arch9wavefront6targetE0EEEvSG_
		.amdhsa_group_segment_fixed_size 32904
		.amdhsa_private_segment_fixed_size 0
		.amdhsa_kernarg_size 344
		.amdhsa_user_sgpr_count 2
		.amdhsa_user_sgpr_dispatch_ptr 0
		.amdhsa_user_sgpr_queue_ptr 0
		.amdhsa_user_sgpr_kernarg_segment_ptr 1
		.amdhsa_user_sgpr_dispatch_id 0
		.amdhsa_user_sgpr_kernarg_preload_length 0
		.amdhsa_user_sgpr_kernarg_preload_offset 0
		.amdhsa_user_sgpr_private_segment_size 0
		.amdhsa_wavefront_size32 1
		.amdhsa_uses_dynamic_stack 0
		.amdhsa_enable_private_segment 0
		.amdhsa_system_sgpr_workgroup_id_x 1
		.amdhsa_system_sgpr_workgroup_id_y 0
		.amdhsa_system_sgpr_workgroup_id_z 0
		.amdhsa_system_sgpr_workgroup_info 0
		.amdhsa_system_vgpr_workitem_id 0
		.amdhsa_next_free_vgpr 79
		.amdhsa_next_free_sgpr 25
		.amdhsa_named_barrier_count 0
		.amdhsa_reserve_vcc 1
		.amdhsa_float_round_mode_32 0
		.amdhsa_float_round_mode_16_64 0
		.amdhsa_float_denorm_mode_32 3
		.amdhsa_float_denorm_mode_16_64 3
		.amdhsa_fp16_overflow 0
		.amdhsa_memory_ordered 1
		.amdhsa_forward_progress 1
		.amdhsa_inst_pref_size 115
		.amdhsa_round_robin_scheduling 0
		.amdhsa_exception_fp_ieee_invalid_op 0
		.amdhsa_exception_fp_denorm_src 0
		.amdhsa_exception_fp_ieee_div_zero 0
		.amdhsa_exception_fp_ieee_overflow 0
		.amdhsa_exception_fp_ieee_underflow 0
		.amdhsa_exception_fp_ieee_inexact 0
		.amdhsa_exception_int_div_zero 0
	.end_amdhsa_kernel
	.section	.text._ZN7rocprim17ROCPRIM_400000_NS6detail17trampoline_kernelINS0_14default_configENS1_35radix_sort_onesweep_config_selectorIhNS0_10empty_typeEEEZZNS1_29radix_sort_onesweep_iterationIS3_Lb1EPKhPhPS5_SB_mNS0_19identity_decomposerENS1_16block_id_wrapperIjLb1EEEEE10hipError_tT1_PNSt15iterator_traitsISG_E10value_typeET2_T3_PNSH_ISM_E10value_typeET4_T5_PSR_SS_PNS1_23onesweep_lookback_stateEbbT6_jjT7_P12ihipStream_tbENKUlT_T0_SG_SL_E_clISA_SA_SB_SB_EEDaSZ_S10_SG_SL_EUlSZ_E_NS1_11comp_targetILNS1_3genE0ELNS1_11target_archE4294967295ELNS1_3gpuE0ELNS1_3repE0EEENS1_47radix_sort_onesweep_sort_config_static_selectorELNS0_4arch9wavefront6targetE0EEEvSG_,"axG",@progbits,_ZN7rocprim17ROCPRIM_400000_NS6detail17trampoline_kernelINS0_14default_configENS1_35radix_sort_onesweep_config_selectorIhNS0_10empty_typeEEEZZNS1_29radix_sort_onesweep_iterationIS3_Lb1EPKhPhPS5_SB_mNS0_19identity_decomposerENS1_16block_id_wrapperIjLb1EEEEE10hipError_tT1_PNSt15iterator_traitsISG_E10value_typeET2_T3_PNSH_ISM_E10value_typeET4_T5_PSR_SS_PNS1_23onesweep_lookback_stateEbbT6_jjT7_P12ihipStream_tbENKUlT_T0_SG_SL_E_clISA_SA_SB_SB_EEDaSZ_S10_SG_SL_EUlSZ_E_NS1_11comp_targetILNS1_3genE0ELNS1_11target_archE4294967295ELNS1_3gpuE0ELNS1_3repE0EEENS1_47radix_sort_onesweep_sort_config_static_selectorELNS0_4arch9wavefront6targetE0EEEvSG_,comdat
.Lfunc_end117:
	.size	_ZN7rocprim17ROCPRIM_400000_NS6detail17trampoline_kernelINS0_14default_configENS1_35radix_sort_onesweep_config_selectorIhNS0_10empty_typeEEEZZNS1_29radix_sort_onesweep_iterationIS3_Lb1EPKhPhPS5_SB_mNS0_19identity_decomposerENS1_16block_id_wrapperIjLb1EEEEE10hipError_tT1_PNSt15iterator_traitsISG_E10value_typeET2_T3_PNSH_ISM_E10value_typeET4_T5_PSR_SS_PNS1_23onesweep_lookback_stateEbbT6_jjT7_P12ihipStream_tbENKUlT_T0_SG_SL_E_clISA_SA_SB_SB_EEDaSZ_S10_SG_SL_EUlSZ_E_NS1_11comp_targetILNS1_3genE0ELNS1_11target_archE4294967295ELNS1_3gpuE0ELNS1_3repE0EEENS1_47radix_sort_onesweep_sort_config_static_selectorELNS0_4arch9wavefront6targetE0EEEvSG_, .Lfunc_end117-_ZN7rocprim17ROCPRIM_400000_NS6detail17trampoline_kernelINS0_14default_configENS1_35radix_sort_onesweep_config_selectorIhNS0_10empty_typeEEEZZNS1_29radix_sort_onesweep_iterationIS3_Lb1EPKhPhPS5_SB_mNS0_19identity_decomposerENS1_16block_id_wrapperIjLb1EEEEE10hipError_tT1_PNSt15iterator_traitsISG_E10value_typeET2_T3_PNSH_ISM_E10value_typeET4_T5_PSR_SS_PNS1_23onesweep_lookback_stateEbbT6_jjT7_P12ihipStream_tbENKUlT_T0_SG_SL_E_clISA_SA_SB_SB_EEDaSZ_S10_SG_SL_EUlSZ_E_NS1_11comp_targetILNS1_3genE0ELNS1_11target_archE4294967295ELNS1_3gpuE0ELNS1_3repE0EEENS1_47radix_sort_onesweep_sort_config_static_selectorELNS0_4arch9wavefront6targetE0EEEvSG_
                                        ; -- End function
	.set _ZN7rocprim17ROCPRIM_400000_NS6detail17trampoline_kernelINS0_14default_configENS1_35radix_sort_onesweep_config_selectorIhNS0_10empty_typeEEEZZNS1_29radix_sort_onesweep_iterationIS3_Lb1EPKhPhPS5_SB_mNS0_19identity_decomposerENS1_16block_id_wrapperIjLb1EEEEE10hipError_tT1_PNSt15iterator_traitsISG_E10value_typeET2_T3_PNSH_ISM_E10value_typeET4_T5_PSR_SS_PNS1_23onesweep_lookback_stateEbbT6_jjT7_P12ihipStream_tbENKUlT_T0_SG_SL_E_clISA_SA_SB_SB_EEDaSZ_S10_SG_SL_EUlSZ_E_NS1_11comp_targetILNS1_3genE0ELNS1_11target_archE4294967295ELNS1_3gpuE0ELNS1_3repE0EEENS1_47radix_sort_onesweep_sort_config_static_selectorELNS0_4arch9wavefront6targetE0EEEvSG_.num_vgpr, 79
	.set _ZN7rocprim17ROCPRIM_400000_NS6detail17trampoline_kernelINS0_14default_configENS1_35radix_sort_onesweep_config_selectorIhNS0_10empty_typeEEEZZNS1_29radix_sort_onesweep_iterationIS3_Lb1EPKhPhPS5_SB_mNS0_19identity_decomposerENS1_16block_id_wrapperIjLb1EEEEE10hipError_tT1_PNSt15iterator_traitsISG_E10value_typeET2_T3_PNSH_ISM_E10value_typeET4_T5_PSR_SS_PNS1_23onesweep_lookback_stateEbbT6_jjT7_P12ihipStream_tbENKUlT_T0_SG_SL_E_clISA_SA_SB_SB_EEDaSZ_S10_SG_SL_EUlSZ_E_NS1_11comp_targetILNS1_3genE0ELNS1_11target_archE4294967295ELNS1_3gpuE0ELNS1_3repE0EEENS1_47radix_sort_onesweep_sort_config_static_selectorELNS0_4arch9wavefront6targetE0EEEvSG_.num_agpr, 0
	.set _ZN7rocprim17ROCPRIM_400000_NS6detail17trampoline_kernelINS0_14default_configENS1_35radix_sort_onesweep_config_selectorIhNS0_10empty_typeEEEZZNS1_29radix_sort_onesweep_iterationIS3_Lb1EPKhPhPS5_SB_mNS0_19identity_decomposerENS1_16block_id_wrapperIjLb1EEEEE10hipError_tT1_PNSt15iterator_traitsISG_E10value_typeET2_T3_PNSH_ISM_E10value_typeET4_T5_PSR_SS_PNS1_23onesweep_lookback_stateEbbT6_jjT7_P12ihipStream_tbENKUlT_T0_SG_SL_E_clISA_SA_SB_SB_EEDaSZ_S10_SG_SL_EUlSZ_E_NS1_11comp_targetILNS1_3genE0ELNS1_11target_archE4294967295ELNS1_3gpuE0ELNS1_3repE0EEENS1_47radix_sort_onesweep_sort_config_static_selectorELNS0_4arch9wavefront6targetE0EEEvSG_.numbered_sgpr, 25
	.set _ZN7rocprim17ROCPRIM_400000_NS6detail17trampoline_kernelINS0_14default_configENS1_35radix_sort_onesweep_config_selectorIhNS0_10empty_typeEEEZZNS1_29radix_sort_onesweep_iterationIS3_Lb1EPKhPhPS5_SB_mNS0_19identity_decomposerENS1_16block_id_wrapperIjLb1EEEEE10hipError_tT1_PNSt15iterator_traitsISG_E10value_typeET2_T3_PNSH_ISM_E10value_typeET4_T5_PSR_SS_PNS1_23onesweep_lookback_stateEbbT6_jjT7_P12ihipStream_tbENKUlT_T0_SG_SL_E_clISA_SA_SB_SB_EEDaSZ_S10_SG_SL_EUlSZ_E_NS1_11comp_targetILNS1_3genE0ELNS1_11target_archE4294967295ELNS1_3gpuE0ELNS1_3repE0EEENS1_47radix_sort_onesweep_sort_config_static_selectorELNS0_4arch9wavefront6targetE0EEEvSG_.num_named_barrier, 0
	.set _ZN7rocprim17ROCPRIM_400000_NS6detail17trampoline_kernelINS0_14default_configENS1_35radix_sort_onesweep_config_selectorIhNS0_10empty_typeEEEZZNS1_29radix_sort_onesweep_iterationIS3_Lb1EPKhPhPS5_SB_mNS0_19identity_decomposerENS1_16block_id_wrapperIjLb1EEEEE10hipError_tT1_PNSt15iterator_traitsISG_E10value_typeET2_T3_PNSH_ISM_E10value_typeET4_T5_PSR_SS_PNS1_23onesweep_lookback_stateEbbT6_jjT7_P12ihipStream_tbENKUlT_T0_SG_SL_E_clISA_SA_SB_SB_EEDaSZ_S10_SG_SL_EUlSZ_E_NS1_11comp_targetILNS1_3genE0ELNS1_11target_archE4294967295ELNS1_3gpuE0ELNS1_3repE0EEENS1_47radix_sort_onesweep_sort_config_static_selectorELNS0_4arch9wavefront6targetE0EEEvSG_.private_seg_size, 0
	.set _ZN7rocprim17ROCPRIM_400000_NS6detail17trampoline_kernelINS0_14default_configENS1_35radix_sort_onesweep_config_selectorIhNS0_10empty_typeEEEZZNS1_29radix_sort_onesweep_iterationIS3_Lb1EPKhPhPS5_SB_mNS0_19identity_decomposerENS1_16block_id_wrapperIjLb1EEEEE10hipError_tT1_PNSt15iterator_traitsISG_E10value_typeET2_T3_PNSH_ISM_E10value_typeET4_T5_PSR_SS_PNS1_23onesweep_lookback_stateEbbT6_jjT7_P12ihipStream_tbENKUlT_T0_SG_SL_E_clISA_SA_SB_SB_EEDaSZ_S10_SG_SL_EUlSZ_E_NS1_11comp_targetILNS1_3genE0ELNS1_11target_archE4294967295ELNS1_3gpuE0ELNS1_3repE0EEENS1_47radix_sort_onesweep_sort_config_static_selectorELNS0_4arch9wavefront6targetE0EEEvSG_.uses_vcc, 1
	.set _ZN7rocprim17ROCPRIM_400000_NS6detail17trampoline_kernelINS0_14default_configENS1_35radix_sort_onesweep_config_selectorIhNS0_10empty_typeEEEZZNS1_29radix_sort_onesweep_iterationIS3_Lb1EPKhPhPS5_SB_mNS0_19identity_decomposerENS1_16block_id_wrapperIjLb1EEEEE10hipError_tT1_PNSt15iterator_traitsISG_E10value_typeET2_T3_PNSH_ISM_E10value_typeET4_T5_PSR_SS_PNS1_23onesweep_lookback_stateEbbT6_jjT7_P12ihipStream_tbENKUlT_T0_SG_SL_E_clISA_SA_SB_SB_EEDaSZ_S10_SG_SL_EUlSZ_E_NS1_11comp_targetILNS1_3genE0ELNS1_11target_archE4294967295ELNS1_3gpuE0ELNS1_3repE0EEENS1_47radix_sort_onesweep_sort_config_static_selectorELNS0_4arch9wavefront6targetE0EEEvSG_.uses_flat_scratch, 0
	.set _ZN7rocprim17ROCPRIM_400000_NS6detail17trampoline_kernelINS0_14default_configENS1_35radix_sort_onesweep_config_selectorIhNS0_10empty_typeEEEZZNS1_29radix_sort_onesweep_iterationIS3_Lb1EPKhPhPS5_SB_mNS0_19identity_decomposerENS1_16block_id_wrapperIjLb1EEEEE10hipError_tT1_PNSt15iterator_traitsISG_E10value_typeET2_T3_PNSH_ISM_E10value_typeET4_T5_PSR_SS_PNS1_23onesweep_lookback_stateEbbT6_jjT7_P12ihipStream_tbENKUlT_T0_SG_SL_E_clISA_SA_SB_SB_EEDaSZ_S10_SG_SL_EUlSZ_E_NS1_11comp_targetILNS1_3genE0ELNS1_11target_archE4294967295ELNS1_3gpuE0ELNS1_3repE0EEENS1_47radix_sort_onesweep_sort_config_static_selectorELNS0_4arch9wavefront6targetE0EEEvSG_.has_dyn_sized_stack, 0
	.set _ZN7rocprim17ROCPRIM_400000_NS6detail17trampoline_kernelINS0_14default_configENS1_35radix_sort_onesweep_config_selectorIhNS0_10empty_typeEEEZZNS1_29radix_sort_onesweep_iterationIS3_Lb1EPKhPhPS5_SB_mNS0_19identity_decomposerENS1_16block_id_wrapperIjLb1EEEEE10hipError_tT1_PNSt15iterator_traitsISG_E10value_typeET2_T3_PNSH_ISM_E10value_typeET4_T5_PSR_SS_PNS1_23onesweep_lookback_stateEbbT6_jjT7_P12ihipStream_tbENKUlT_T0_SG_SL_E_clISA_SA_SB_SB_EEDaSZ_S10_SG_SL_EUlSZ_E_NS1_11comp_targetILNS1_3genE0ELNS1_11target_archE4294967295ELNS1_3gpuE0ELNS1_3repE0EEENS1_47radix_sort_onesweep_sort_config_static_selectorELNS0_4arch9wavefront6targetE0EEEvSG_.has_recursion, 0
	.set _ZN7rocprim17ROCPRIM_400000_NS6detail17trampoline_kernelINS0_14default_configENS1_35radix_sort_onesweep_config_selectorIhNS0_10empty_typeEEEZZNS1_29radix_sort_onesweep_iterationIS3_Lb1EPKhPhPS5_SB_mNS0_19identity_decomposerENS1_16block_id_wrapperIjLb1EEEEE10hipError_tT1_PNSt15iterator_traitsISG_E10value_typeET2_T3_PNSH_ISM_E10value_typeET4_T5_PSR_SS_PNS1_23onesweep_lookback_stateEbbT6_jjT7_P12ihipStream_tbENKUlT_T0_SG_SL_E_clISA_SA_SB_SB_EEDaSZ_S10_SG_SL_EUlSZ_E_NS1_11comp_targetILNS1_3genE0ELNS1_11target_archE4294967295ELNS1_3gpuE0ELNS1_3repE0EEENS1_47radix_sort_onesweep_sort_config_static_selectorELNS0_4arch9wavefront6targetE0EEEvSG_.has_indirect_call, 0
	.section	.AMDGPU.csdata,"",@progbits
; Kernel info:
; codeLenInByte = 14628
; TotalNumSgprs: 27
; NumVgprs: 79
; ScratchSize: 0
; MemoryBound: 0
; FloatMode: 240
; IeeeMode: 1
; LDSByteSize: 32904 bytes/workgroup (compile time only)
; SGPRBlocks: 0
; VGPRBlocks: 4
; NumSGPRsForWavesPerEU: 27
; NumVGPRsForWavesPerEU: 79
; NamedBarCnt: 0
; Occupancy: 12
; WaveLimiterHint : 0
; COMPUTE_PGM_RSRC2:SCRATCH_EN: 0
; COMPUTE_PGM_RSRC2:USER_SGPR: 2
; COMPUTE_PGM_RSRC2:TRAP_HANDLER: 0
; COMPUTE_PGM_RSRC2:TGID_X_EN: 1
; COMPUTE_PGM_RSRC2:TGID_Y_EN: 0
; COMPUTE_PGM_RSRC2:TGID_Z_EN: 0
; COMPUTE_PGM_RSRC2:TIDIG_COMP_CNT: 0
	.section	.text._ZN7rocprim17ROCPRIM_400000_NS6detail17trampoline_kernelINS0_14default_configENS1_35radix_sort_onesweep_config_selectorIhNS0_10empty_typeEEEZZNS1_29radix_sort_onesweep_iterationIS3_Lb1EPKhPhPS5_SB_mNS0_19identity_decomposerENS1_16block_id_wrapperIjLb1EEEEE10hipError_tT1_PNSt15iterator_traitsISG_E10value_typeET2_T3_PNSH_ISM_E10value_typeET4_T5_PSR_SS_PNS1_23onesweep_lookback_stateEbbT6_jjT7_P12ihipStream_tbENKUlT_T0_SG_SL_E_clISA_SA_SB_SB_EEDaSZ_S10_SG_SL_EUlSZ_E_NS1_11comp_targetILNS1_3genE6ELNS1_11target_archE950ELNS1_3gpuE13ELNS1_3repE0EEENS1_47radix_sort_onesweep_sort_config_static_selectorELNS0_4arch9wavefront6targetE0EEEvSG_,"axG",@progbits,_ZN7rocprim17ROCPRIM_400000_NS6detail17trampoline_kernelINS0_14default_configENS1_35radix_sort_onesweep_config_selectorIhNS0_10empty_typeEEEZZNS1_29radix_sort_onesweep_iterationIS3_Lb1EPKhPhPS5_SB_mNS0_19identity_decomposerENS1_16block_id_wrapperIjLb1EEEEE10hipError_tT1_PNSt15iterator_traitsISG_E10value_typeET2_T3_PNSH_ISM_E10value_typeET4_T5_PSR_SS_PNS1_23onesweep_lookback_stateEbbT6_jjT7_P12ihipStream_tbENKUlT_T0_SG_SL_E_clISA_SA_SB_SB_EEDaSZ_S10_SG_SL_EUlSZ_E_NS1_11comp_targetILNS1_3genE6ELNS1_11target_archE950ELNS1_3gpuE13ELNS1_3repE0EEENS1_47radix_sort_onesweep_sort_config_static_selectorELNS0_4arch9wavefront6targetE0EEEvSG_,comdat
	.protected	_ZN7rocprim17ROCPRIM_400000_NS6detail17trampoline_kernelINS0_14default_configENS1_35radix_sort_onesweep_config_selectorIhNS0_10empty_typeEEEZZNS1_29radix_sort_onesweep_iterationIS3_Lb1EPKhPhPS5_SB_mNS0_19identity_decomposerENS1_16block_id_wrapperIjLb1EEEEE10hipError_tT1_PNSt15iterator_traitsISG_E10value_typeET2_T3_PNSH_ISM_E10value_typeET4_T5_PSR_SS_PNS1_23onesweep_lookback_stateEbbT6_jjT7_P12ihipStream_tbENKUlT_T0_SG_SL_E_clISA_SA_SB_SB_EEDaSZ_S10_SG_SL_EUlSZ_E_NS1_11comp_targetILNS1_3genE6ELNS1_11target_archE950ELNS1_3gpuE13ELNS1_3repE0EEENS1_47radix_sort_onesweep_sort_config_static_selectorELNS0_4arch9wavefront6targetE0EEEvSG_ ; -- Begin function _ZN7rocprim17ROCPRIM_400000_NS6detail17trampoline_kernelINS0_14default_configENS1_35radix_sort_onesweep_config_selectorIhNS0_10empty_typeEEEZZNS1_29radix_sort_onesweep_iterationIS3_Lb1EPKhPhPS5_SB_mNS0_19identity_decomposerENS1_16block_id_wrapperIjLb1EEEEE10hipError_tT1_PNSt15iterator_traitsISG_E10value_typeET2_T3_PNSH_ISM_E10value_typeET4_T5_PSR_SS_PNS1_23onesweep_lookback_stateEbbT6_jjT7_P12ihipStream_tbENKUlT_T0_SG_SL_E_clISA_SA_SB_SB_EEDaSZ_S10_SG_SL_EUlSZ_E_NS1_11comp_targetILNS1_3genE6ELNS1_11target_archE950ELNS1_3gpuE13ELNS1_3repE0EEENS1_47radix_sort_onesweep_sort_config_static_selectorELNS0_4arch9wavefront6targetE0EEEvSG_
	.globl	_ZN7rocprim17ROCPRIM_400000_NS6detail17trampoline_kernelINS0_14default_configENS1_35radix_sort_onesweep_config_selectorIhNS0_10empty_typeEEEZZNS1_29radix_sort_onesweep_iterationIS3_Lb1EPKhPhPS5_SB_mNS0_19identity_decomposerENS1_16block_id_wrapperIjLb1EEEEE10hipError_tT1_PNSt15iterator_traitsISG_E10value_typeET2_T3_PNSH_ISM_E10value_typeET4_T5_PSR_SS_PNS1_23onesweep_lookback_stateEbbT6_jjT7_P12ihipStream_tbENKUlT_T0_SG_SL_E_clISA_SA_SB_SB_EEDaSZ_S10_SG_SL_EUlSZ_E_NS1_11comp_targetILNS1_3genE6ELNS1_11target_archE950ELNS1_3gpuE13ELNS1_3repE0EEENS1_47radix_sort_onesweep_sort_config_static_selectorELNS0_4arch9wavefront6targetE0EEEvSG_
	.p2align	8
	.type	_ZN7rocprim17ROCPRIM_400000_NS6detail17trampoline_kernelINS0_14default_configENS1_35radix_sort_onesweep_config_selectorIhNS0_10empty_typeEEEZZNS1_29radix_sort_onesweep_iterationIS3_Lb1EPKhPhPS5_SB_mNS0_19identity_decomposerENS1_16block_id_wrapperIjLb1EEEEE10hipError_tT1_PNSt15iterator_traitsISG_E10value_typeET2_T3_PNSH_ISM_E10value_typeET4_T5_PSR_SS_PNS1_23onesweep_lookback_stateEbbT6_jjT7_P12ihipStream_tbENKUlT_T0_SG_SL_E_clISA_SA_SB_SB_EEDaSZ_S10_SG_SL_EUlSZ_E_NS1_11comp_targetILNS1_3genE6ELNS1_11target_archE950ELNS1_3gpuE13ELNS1_3repE0EEENS1_47radix_sort_onesweep_sort_config_static_selectorELNS0_4arch9wavefront6targetE0EEEvSG_,@function
_ZN7rocprim17ROCPRIM_400000_NS6detail17trampoline_kernelINS0_14default_configENS1_35radix_sort_onesweep_config_selectorIhNS0_10empty_typeEEEZZNS1_29radix_sort_onesweep_iterationIS3_Lb1EPKhPhPS5_SB_mNS0_19identity_decomposerENS1_16block_id_wrapperIjLb1EEEEE10hipError_tT1_PNSt15iterator_traitsISG_E10value_typeET2_T3_PNSH_ISM_E10value_typeET4_T5_PSR_SS_PNS1_23onesweep_lookback_stateEbbT6_jjT7_P12ihipStream_tbENKUlT_T0_SG_SL_E_clISA_SA_SB_SB_EEDaSZ_S10_SG_SL_EUlSZ_E_NS1_11comp_targetILNS1_3genE6ELNS1_11target_archE950ELNS1_3gpuE13ELNS1_3repE0EEENS1_47radix_sort_onesweep_sort_config_static_selectorELNS0_4arch9wavefront6targetE0EEEvSG_: ; @_ZN7rocprim17ROCPRIM_400000_NS6detail17trampoline_kernelINS0_14default_configENS1_35radix_sort_onesweep_config_selectorIhNS0_10empty_typeEEEZZNS1_29radix_sort_onesweep_iterationIS3_Lb1EPKhPhPS5_SB_mNS0_19identity_decomposerENS1_16block_id_wrapperIjLb1EEEEE10hipError_tT1_PNSt15iterator_traitsISG_E10value_typeET2_T3_PNSH_ISM_E10value_typeET4_T5_PSR_SS_PNS1_23onesweep_lookback_stateEbbT6_jjT7_P12ihipStream_tbENKUlT_T0_SG_SL_E_clISA_SA_SB_SB_EEDaSZ_S10_SG_SL_EUlSZ_E_NS1_11comp_targetILNS1_3genE6ELNS1_11target_archE950ELNS1_3gpuE13ELNS1_3repE0EEENS1_47radix_sort_onesweep_sort_config_static_selectorELNS0_4arch9wavefront6targetE0EEEvSG_
; %bb.0:
	.section	.rodata,"a",@progbits
	.p2align	6, 0x0
	.amdhsa_kernel _ZN7rocprim17ROCPRIM_400000_NS6detail17trampoline_kernelINS0_14default_configENS1_35radix_sort_onesweep_config_selectorIhNS0_10empty_typeEEEZZNS1_29radix_sort_onesweep_iterationIS3_Lb1EPKhPhPS5_SB_mNS0_19identity_decomposerENS1_16block_id_wrapperIjLb1EEEEE10hipError_tT1_PNSt15iterator_traitsISG_E10value_typeET2_T3_PNSH_ISM_E10value_typeET4_T5_PSR_SS_PNS1_23onesweep_lookback_stateEbbT6_jjT7_P12ihipStream_tbENKUlT_T0_SG_SL_E_clISA_SA_SB_SB_EEDaSZ_S10_SG_SL_EUlSZ_E_NS1_11comp_targetILNS1_3genE6ELNS1_11target_archE950ELNS1_3gpuE13ELNS1_3repE0EEENS1_47radix_sort_onesweep_sort_config_static_selectorELNS0_4arch9wavefront6targetE0EEEvSG_
		.amdhsa_group_segment_fixed_size 0
		.amdhsa_private_segment_fixed_size 0
		.amdhsa_kernarg_size 88
		.amdhsa_user_sgpr_count 2
		.amdhsa_user_sgpr_dispatch_ptr 0
		.amdhsa_user_sgpr_queue_ptr 0
		.amdhsa_user_sgpr_kernarg_segment_ptr 1
		.amdhsa_user_sgpr_dispatch_id 0
		.amdhsa_user_sgpr_kernarg_preload_length 0
		.amdhsa_user_sgpr_kernarg_preload_offset 0
		.amdhsa_user_sgpr_private_segment_size 0
		.amdhsa_wavefront_size32 1
		.amdhsa_uses_dynamic_stack 0
		.amdhsa_enable_private_segment 0
		.amdhsa_system_sgpr_workgroup_id_x 1
		.amdhsa_system_sgpr_workgroup_id_y 0
		.amdhsa_system_sgpr_workgroup_id_z 0
		.amdhsa_system_sgpr_workgroup_info 0
		.amdhsa_system_vgpr_workitem_id 0
		.amdhsa_next_free_vgpr 1
		.amdhsa_next_free_sgpr 1
		.amdhsa_named_barrier_count 0
		.amdhsa_reserve_vcc 0
		.amdhsa_float_round_mode_32 0
		.amdhsa_float_round_mode_16_64 0
		.amdhsa_float_denorm_mode_32 3
		.amdhsa_float_denorm_mode_16_64 3
		.amdhsa_fp16_overflow 0
		.amdhsa_memory_ordered 1
		.amdhsa_forward_progress 1
		.amdhsa_inst_pref_size 0
		.amdhsa_round_robin_scheduling 0
		.amdhsa_exception_fp_ieee_invalid_op 0
		.amdhsa_exception_fp_denorm_src 0
		.amdhsa_exception_fp_ieee_div_zero 0
		.amdhsa_exception_fp_ieee_overflow 0
		.amdhsa_exception_fp_ieee_underflow 0
		.amdhsa_exception_fp_ieee_inexact 0
		.amdhsa_exception_int_div_zero 0
	.end_amdhsa_kernel
	.section	.text._ZN7rocprim17ROCPRIM_400000_NS6detail17trampoline_kernelINS0_14default_configENS1_35radix_sort_onesweep_config_selectorIhNS0_10empty_typeEEEZZNS1_29radix_sort_onesweep_iterationIS3_Lb1EPKhPhPS5_SB_mNS0_19identity_decomposerENS1_16block_id_wrapperIjLb1EEEEE10hipError_tT1_PNSt15iterator_traitsISG_E10value_typeET2_T3_PNSH_ISM_E10value_typeET4_T5_PSR_SS_PNS1_23onesweep_lookback_stateEbbT6_jjT7_P12ihipStream_tbENKUlT_T0_SG_SL_E_clISA_SA_SB_SB_EEDaSZ_S10_SG_SL_EUlSZ_E_NS1_11comp_targetILNS1_3genE6ELNS1_11target_archE950ELNS1_3gpuE13ELNS1_3repE0EEENS1_47radix_sort_onesweep_sort_config_static_selectorELNS0_4arch9wavefront6targetE0EEEvSG_,"axG",@progbits,_ZN7rocprim17ROCPRIM_400000_NS6detail17trampoline_kernelINS0_14default_configENS1_35radix_sort_onesweep_config_selectorIhNS0_10empty_typeEEEZZNS1_29radix_sort_onesweep_iterationIS3_Lb1EPKhPhPS5_SB_mNS0_19identity_decomposerENS1_16block_id_wrapperIjLb1EEEEE10hipError_tT1_PNSt15iterator_traitsISG_E10value_typeET2_T3_PNSH_ISM_E10value_typeET4_T5_PSR_SS_PNS1_23onesweep_lookback_stateEbbT6_jjT7_P12ihipStream_tbENKUlT_T0_SG_SL_E_clISA_SA_SB_SB_EEDaSZ_S10_SG_SL_EUlSZ_E_NS1_11comp_targetILNS1_3genE6ELNS1_11target_archE950ELNS1_3gpuE13ELNS1_3repE0EEENS1_47radix_sort_onesweep_sort_config_static_selectorELNS0_4arch9wavefront6targetE0EEEvSG_,comdat
.Lfunc_end118:
	.size	_ZN7rocprim17ROCPRIM_400000_NS6detail17trampoline_kernelINS0_14default_configENS1_35radix_sort_onesweep_config_selectorIhNS0_10empty_typeEEEZZNS1_29radix_sort_onesweep_iterationIS3_Lb1EPKhPhPS5_SB_mNS0_19identity_decomposerENS1_16block_id_wrapperIjLb1EEEEE10hipError_tT1_PNSt15iterator_traitsISG_E10value_typeET2_T3_PNSH_ISM_E10value_typeET4_T5_PSR_SS_PNS1_23onesweep_lookback_stateEbbT6_jjT7_P12ihipStream_tbENKUlT_T0_SG_SL_E_clISA_SA_SB_SB_EEDaSZ_S10_SG_SL_EUlSZ_E_NS1_11comp_targetILNS1_3genE6ELNS1_11target_archE950ELNS1_3gpuE13ELNS1_3repE0EEENS1_47radix_sort_onesweep_sort_config_static_selectorELNS0_4arch9wavefront6targetE0EEEvSG_, .Lfunc_end118-_ZN7rocprim17ROCPRIM_400000_NS6detail17trampoline_kernelINS0_14default_configENS1_35radix_sort_onesweep_config_selectorIhNS0_10empty_typeEEEZZNS1_29radix_sort_onesweep_iterationIS3_Lb1EPKhPhPS5_SB_mNS0_19identity_decomposerENS1_16block_id_wrapperIjLb1EEEEE10hipError_tT1_PNSt15iterator_traitsISG_E10value_typeET2_T3_PNSH_ISM_E10value_typeET4_T5_PSR_SS_PNS1_23onesweep_lookback_stateEbbT6_jjT7_P12ihipStream_tbENKUlT_T0_SG_SL_E_clISA_SA_SB_SB_EEDaSZ_S10_SG_SL_EUlSZ_E_NS1_11comp_targetILNS1_3genE6ELNS1_11target_archE950ELNS1_3gpuE13ELNS1_3repE0EEENS1_47radix_sort_onesweep_sort_config_static_selectorELNS0_4arch9wavefront6targetE0EEEvSG_
                                        ; -- End function
	.set _ZN7rocprim17ROCPRIM_400000_NS6detail17trampoline_kernelINS0_14default_configENS1_35radix_sort_onesweep_config_selectorIhNS0_10empty_typeEEEZZNS1_29radix_sort_onesweep_iterationIS3_Lb1EPKhPhPS5_SB_mNS0_19identity_decomposerENS1_16block_id_wrapperIjLb1EEEEE10hipError_tT1_PNSt15iterator_traitsISG_E10value_typeET2_T3_PNSH_ISM_E10value_typeET4_T5_PSR_SS_PNS1_23onesweep_lookback_stateEbbT6_jjT7_P12ihipStream_tbENKUlT_T0_SG_SL_E_clISA_SA_SB_SB_EEDaSZ_S10_SG_SL_EUlSZ_E_NS1_11comp_targetILNS1_3genE6ELNS1_11target_archE950ELNS1_3gpuE13ELNS1_3repE0EEENS1_47radix_sort_onesweep_sort_config_static_selectorELNS0_4arch9wavefront6targetE0EEEvSG_.num_vgpr, 0
	.set _ZN7rocprim17ROCPRIM_400000_NS6detail17trampoline_kernelINS0_14default_configENS1_35radix_sort_onesweep_config_selectorIhNS0_10empty_typeEEEZZNS1_29radix_sort_onesweep_iterationIS3_Lb1EPKhPhPS5_SB_mNS0_19identity_decomposerENS1_16block_id_wrapperIjLb1EEEEE10hipError_tT1_PNSt15iterator_traitsISG_E10value_typeET2_T3_PNSH_ISM_E10value_typeET4_T5_PSR_SS_PNS1_23onesweep_lookback_stateEbbT6_jjT7_P12ihipStream_tbENKUlT_T0_SG_SL_E_clISA_SA_SB_SB_EEDaSZ_S10_SG_SL_EUlSZ_E_NS1_11comp_targetILNS1_3genE6ELNS1_11target_archE950ELNS1_3gpuE13ELNS1_3repE0EEENS1_47radix_sort_onesweep_sort_config_static_selectorELNS0_4arch9wavefront6targetE0EEEvSG_.num_agpr, 0
	.set _ZN7rocprim17ROCPRIM_400000_NS6detail17trampoline_kernelINS0_14default_configENS1_35radix_sort_onesweep_config_selectorIhNS0_10empty_typeEEEZZNS1_29radix_sort_onesweep_iterationIS3_Lb1EPKhPhPS5_SB_mNS0_19identity_decomposerENS1_16block_id_wrapperIjLb1EEEEE10hipError_tT1_PNSt15iterator_traitsISG_E10value_typeET2_T3_PNSH_ISM_E10value_typeET4_T5_PSR_SS_PNS1_23onesweep_lookback_stateEbbT6_jjT7_P12ihipStream_tbENKUlT_T0_SG_SL_E_clISA_SA_SB_SB_EEDaSZ_S10_SG_SL_EUlSZ_E_NS1_11comp_targetILNS1_3genE6ELNS1_11target_archE950ELNS1_3gpuE13ELNS1_3repE0EEENS1_47radix_sort_onesweep_sort_config_static_selectorELNS0_4arch9wavefront6targetE0EEEvSG_.numbered_sgpr, 0
	.set _ZN7rocprim17ROCPRIM_400000_NS6detail17trampoline_kernelINS0_14default_configENS1_35radix_sort_onesweep_config_selectorIhNS0_10empty_typeEEEZZNS1_29radix_sort_onesweep_iterationIS3_Lb1EPKhPhPS5_SB_mNS0_19identity_decomposerENS1_16block_id_wrapperIjLb1EEEEE10hipError_tT1_PNSt15iterator_traitsISG_E10value_typeET2_T3_PNSH_ISM_E10value_typeET4_T5_PSR_SS_PNS1_23onesweep_lookback_stateEbbT6_jjT7_P12ihipStream_tbENKUlT_T0_SG_SL_E_clISA_SA_SB_SB_EEDaSZ_S10_SG_SL_EUlSZ_E_NS1_11comp_targetILNS1_3genE6ELNS1_11target_archE950ELNS1_3gpuE13ELNS1_3repE0EEENS1_47radix_sort_onesweep_sort_config_static_selectorELNS0_4arch9wavefront6targetE0EEEvSG_.num_named_barrier, 0
	.set _ZN7rocprim17ROCPRIM_400000_NS6detail17trampoline_kernelINS0_14default_configENS1_35radix_sort_onesweep_config_selectorIhNS0_10empty_typeEEEZZNS1_29radix_sort_onesweep_iterationIS3_Lb1EPKhPhPS5_SB_mNS0_19identity_decomposerENS1_16block_id_wrapperIjLb1EEEEE10hipError_tT1_PNSt15iterator_traitsISG_E10value_typeET2_T3_PNSH_ISM_E10value_typeET4_T5_PSR_SS_PNS1_23onesweep_lookback_stateEbbT6_jjT7_P12ihipStream_tbENKUlT_T0_SG_SL_E_clISA_SA_SB_SB_EEDaSZ_S10_SG_SL_EUlSZ_E_NS1_11comp_targetILNS1_3genE6ELNS1_11target_archE950ELNS1_3gpuE13ELNS1_3repE0EEENS1_47radix_sort_onesweep_sort_config_static_selectorELNS0_4arch9wavefront6targetE0EEEvSG_.private_seg_size, 0
	.set _ZN7rocprim17ROCPRIM_400000_NS6detail17trampoline_kernelINS0_14default_configENS1_35radix_sort_onesweep_config_selectorIhNS0_10empty_typeEEEZZNS1_29radix_sort_onesweep_iterationIS3_Lb1EPKhPhPS5_SB_mNS0_19identity_decomposerENS1_16block_id_wrapperIjLb1EEEEE10hipError_tT1_PNSt15iterator_traitsISG_E10value_typeET2_T3_PNSH_ISM_E10value_typeET4_T5_PSR_SS_PNS1_23onesweep_lookback_stateEbbT6_jjT7_P12ihipStream_tbENKUlT_T0_SG_SL_E_clISA_SA_SB_SB_EEDaSZ_S10_SG_SL_EUlSZ_E_NS1_11comp_targetILNS1_3genE6ELNS1_11target_archE950ELNS1_3gpuE13ELNS1_3repE0EEENS1_47radix_sort_onesweep_sort_config_static_selectorELNS0_4arch9wavefront6targetE0EEEvSG_.uses_vcc, 0
	.set _ZN7rocprim17ROCPRIM_400000_NS6detail17trampoline_kernelINS0_14default_configENS1_35radix_sort_onesweep_config_selectorIhNS0_10empty_typeEEEZZNS1_29radix_sort_onesweep_iterationIS3_Lb1EPKhPhPS5_SB_mNS0_19identity_decomposerENS1_16block_id_wrapperIjLb1EEEEE10hipError_tT1_PNSt15iterator_traitsISG_E10value_typeET2_T3_PNSH_ISM_E10value_typeET4_T5_PSR_SS_PNS1_23onesweep_lookback_stateEbbT6_jjT7_P12ihipStream_tbENKUlT_T0_SG_SL_E_clISA_SA_SB_SB_EEDaSZ_S10_SG_SL_EUlSZ_E_NS1_11comp_targetILNS1_3genE6ELNS1_11target_archE950ELNS1_3gpuE13ELNS1_3repE0EEENS1_47radix_sort_onesweep_sort_config_static_selectorELNS0_4arch9wavefront6targetE0EEEvSG_.uses_flat_scratch, 0
	.set _ZN7rocprim17ROCPRIM_400000_NS6detail17trampoline_kernelINS0_14default_configENS1_35radix_sort_onesweep_config_selectorIhNS0_10empty_typeEEEZZNS1_29radix_sort_onesweep_iterationIS3_Lb1EPKhPhPS5_SB_mNS0_19identity_decomposerENS1_16block_id_wrapperIjLb1EEEEE10hipError_tT1_PNSt15iterator_traitsISG_E10value_typeET2_T3_PNSH_ISM_E10value_typeET4_T5_PSR_SS_PNS1_23onesweep_lookback_stateEbbT6_jjT7_P12ihipStream_tbENKUlT_T0_SG_SL_E_clISA_SA_SB_SB_EEDaSZ_S10_SG_SL_EUlSZ_E_NS1_11comp_targetILNS1_3genE6ELNS1_11target_archE950ELNS1_3gpuE13ELNS1_3repE0EEENS1_47radix_sort_onesweep_sort_config_static_selectorELNS0_4arch9wavefront6targetE0EEEvSG_.has_dyn_sized_stack, 0
	.set _ZN7rocprim17ROCPRIM_400000_NS6detail17trampoline_kernelINS0_14default_configENS1_35radix_sort_onesweep_config_selectorIhNS0_10empty_typeEEEZZNS1_29radix_sort_onesweep_iterationIS3_Lb1EPKhPhPS5_SB_mNS0_19identity_decomposerENS1_16block_id_wrapperIjLb1EEEEE10hipError_tT1_PNSt15iterator_traitsISG_E10value_typeET2_T3_PNSH_ISM_E10value_typeET4_T5_PSR_SS_PNS1_23onesweep_lookback_stateEbbT6_jjT7_P12ihipStream_tbENKUlT_T0_SG_SL_E_clISA_SA_SB_SB_EEDaSZ_S10_SG_SL_EUlSZ_E_NS1_11comp_targetILNS1_3genE6ELNS1_11target_archE950ELNS1_3gpuE13ELNS1_3repE0EEENS1_47radix_sort_onesweep_sort_config_static_selectorELNS0_4arch9wavefront6targetE0EEEvSG_.has_recursion, 0
	.set _ZN7rocprim17ROCPRIM_400000_NS6detail17trampoline_kernelINS0_14default_configENS1_35radix_sort_onesweep_config_selectorIhNS0_10empty_typeEEEZZNS1_29radix_sort_onesweep_iterationIS3_Lb1EPKhPhPS5_SB_mNS0_19identity_decomposerENS1_16block_id_wrapperIjLb1EEEEE10hipError_tT1_PNSt15iterator_traitsISG_E10value_typeET2_T3_PNSH_ISM_E10value_typeET4_T5_PSR_SS_PNS1_23onesweep_lookback_stateEbbT6_jjT7_P12ihipStream_tbENKUlT_T0_SG_SL_E_clISA_SA_SB_SB_EEDaSZ_S10_SG_SL_EUlSZ_E_NS1_11comp_targetILNS1_3genE6ELNS1_11target_archE950ELNS1_3gpuE13ELNS1_3repE0EEENS1_47radix_sort_onesweep_sort_config_static_selectorELNS0_4arch9wavefront6targetE0EEEvSG_.has_indirect_call, 0
	.section	.AMDGPU.csdata,"",@progbits
; Kernel info:
; codeLenInByte = 0
; TotalNumSgprs: 0
; NumVgprs: 0
; ScratchSize: 0
; MemoryBound: 0
; FloatMode: 240
; IeeeMode: 1
; LDSByteSize: 0 bytes/workgroup (compile time only)
; SGPRBlocks: 0
; VGPRBlocks: 0
; NumSGPRsForWavesPerEU: 1
; NumVGPRsForWavesPerEU: 1
; NamedBarCnt: 0
; Occupancy: 16
; WaveLimiterHint : 0
; COMPUTE_PGM_RSRC2:SCRATCH_EN: 0
; COMPUTE_PGM_RSRC2:USER_SGPR: 2
; COMPUTE_PGM_RSRC2:TRAP_HANDLER: 0
; COMPUTE_PGM_RSRC2:TGID_X_EN: 1
; COMPUTE_PGM_RSRC2:TGID_Y_EN: 0
; COMPUTE_PGM_RSRC2:TGID_Z_EN: 0
; COMPUTE_PGM_RSRC2:TIDIG_COMP_CNT: 0
	.section	.text._ZN7rocprim17ROCPRIM_400000_NS6detail17trampoline_kernelINS0_14default_configENS1_35radix_sort_onesweep_config_selectorIhNS0_10empty_typeEEEZZNS1_29radix_sort_onesweep_iterationIS3_Lb1EPKhPhPS5_SB_mNS0_19identity_decomposerENS1_16block_id_wrapperIjLb1EEEEE10hipError_tT1_PNSt15iterator_traitsISG_E10value_typeET2_T3_PNSH_ISM_E10value_typeET4_T5_PSR_SS_PNS1_23onesweep_lookback_stateEbbT6_jjT7_P12ihipStream_tbENKUlT_T0_SG_SL_E_clISA_SA_SB_SB_EEDaSZ_S10_SG_SL_EUlSZ_E_NS1_11comp_targetILNS1_3genE5ELNS1_11target_archE942ELNS1_3gpuE9ELNS1_3repE0EEENS1_47radix_sort_onesweep_sort_config_static_selectorELNS0_4arch9wavefront6targetE0EEEvSG_,"axG",@progbits,_ZN7rocprim17ROCPRIM_400000_NS6detail17trampoline_kernelINS0_14default_configENS1_35radix_sort_onesweep_config_selectorIhNS0_10empty_typeEEEZZNS1_29radix_sort_onesweep_iterationIS3_Lb1EPKhPhPS5_SB_mNS0_19identity_decomposerENS1_16block_id_wrapperIjLb1EEEEE10hipError_tT1_PNSt15iterator_traitsISG_E10value_typeET2_T3_PNSH_ISM_E10value_typeET4_T5_PSR_SS_PNS1_23onesweep_lookback_stateEbbT6_jjT7_P12ihipStream_tbENKUlT_T0_SG_SL_E_clISA_SA_SB_SB_EEDaSZ_S10_SG_SL_EUlSZ_E_NS1_11comp_targetILNS1_3genE5ELNS1_11target_archE942ELNS1_3gpuE9ELNS1_3repE0EEENS1_47radix_sort_onesweep_sort_config_static_selectorELNS0_4arch9wavefront6targetE0EEEvSG_,comdat
	.protected	_ZN7rocprim17ROCPRIM_400000_NS6detail17trampoline_kernelINS0_14default_configENS1_35radix_sort_onesweep_config_selectorIhNS0_10empty_typeEEEZZNS1_29radix_sort_onesweep_iterationIS3_Lb1EPKhPhPS5_SB_mNS0_19identity_decomposerENS1_16block_id_wrapperIjLb1EEEEE10hipError_tT1_PNSt15iterator_traitsISG_E10value_typeET2_T3_PNSH_ISM_E10value_typeET4_T5_PSR_SS_PNS1_23onesweep_lookback_stateEbbT6_jjT7_P12ihipStream_tbENKUlT_T0_SG_SL_E_clISA_SA_SB_SB_EEDaSZ_S10_SG_SL_EUlSZ_E_NS1_11comp_targetILNS1_3genE5ELNS1_11target_archE942ELNS1_3gpuE9ELNS1_3repE0EEENS1_47radix_sort_onesweep_sort_config_static_selectorELNS0_4arch9wavefront6targetE0EEEvSG_ ; -- Begin function _ZN7rocprim17ROCPRIM_400000_NS6detail17trampoline_kernelINS0_14default_configENS1_35radix_sort_onesweep_config_selectorIhNS0_10empty_typeEEEZZNS1_29radix_sort_onesweep_iterationIS3_Lb1EPKhPhPS5_SB_mNS0_19identity_decomposerENS1_16block_id_wrapperIjLb1EEEEE10hipError_tT1_PNSt15iterator_traitsISG_E10value_typeET2_T3_PNSH_ISM_E10value_typeET4_T5_PSR_SS_PNS1_23onesweep_lookback_stateEbbT6_jjT7_P12ihipStream_tbENKUlT_T0_SG_SL_E_clISA_SA_SB_SB_EEDaSZ_S10_SG_SL_EUlSZ_E_NS1_11comp_targetILNS1_3genE5ELNS1_11target_archE942ELNS1_3gpuE9ELNS1_3repE0EEENS1_47radix_sort_onesweep_sort_config_static_selectorELNS0_4arch9wavefront6targetE0EEEvSG_
	.globl	_ZN7rocprim17ROCPRIM_400000_NS6detail17trampoline_kernelINS0_14default_configENS1_35radix_sort_onesweep_config_selectorIhNS0_10empty_typeEEEZZNS1_29radix_sort_onesweep_iterationIS3_Lb1EPKhPhPS5_SB_mNS0_19identity_decomposerENS1_16block_id_wrapperIjLb1EEEEE10hipError_tT1_PNSt15iterator_traitsISG_E10value_typeET2_T3_PNSH_ISM_E10value_typeET4_T5_PSR_SS_PNS1_23onesweep_lookback_stateEbbT6_jjT7_P12ihipStream_tbENKUlT_T0_SG_SL_E_clISA_SA_SB_SB_EEDaSZ_S10_SG_SL_EUlSZ_E_NS1_11comp_targetILNS1_3genE5ELNS1_11target_archE942ELNS1_3gpuE9ELNS1_3repE0EEENS1_47radix_sort_onesweep_sort_config_static_selectorELNS0_4arch9wavefront6targetE0EEEvSG_
	.p2align	8
	.type	_ZN7rocprim17ROCPRIM_400000_NS6detail17trampoline_kernelINS0_14default_configENS1_35radix_sort_onesweep_config_selectorIhNS0_10empty_typeEEEZZNS1_29radix_sort_onesweep_iterationIS3_Lb1EPKhPhPS5_SB_mNS0_19identity_decomposerENS1_16block_id_wrapperIjLb1EEEEE10hipError_tT1_PNSt15iterator_traitsISG_E10value_typeET2_T3_PNSH_ISM_E10value_typeET4_T5_PSR_SS_PNS1_23onesweep_lookback_stateEbbT6_jjT7_P12ihipStream_tbENKUlT_T0_SG_SL_E_clISA_SA_SB_SB_EEDaSZ_S10_SG_SL_EUlSZ_E_NS1_11comp_targetILNS1_3genE5ELNS1_11target_archE942ELNS1_3gpuE9ELNS1_3repE0EEENS1_47radix_sort_onesweep_sort_config_static_selectorELNS0_4arch9wavefront6targetE0EEEvSG_,@function
_ZN7rocprim17ROCPRIM_400000_NS6detail17trampoline_kernelINS0_14default_configENS1_35radix_sort_onesweep_config_selectorIhNS0_10empty_typeEEEZZNS1_29radix_sort_onesweep_iterationIS3_Lb1EPKhPhPS5_SB_mNS0_19identity_decomposerENS1_16block_id_wrapperIjLb1EEEEE10hipError_tT1_PNSt15iterator_traitsISG_E10value_typeET2_T3_PNSH_ISM_E10value_typeET4_T5_PSR_SS_PNS1_23onesweep_lookback_stateEbbT6_jjT7_P12ihipStream_tbENKUlT_T0_SG_SL_E_clISA_SA_SB_SB_EEDaSZ_S10_SG_SL_EUlSZ_E_NS1_11comp_targetILNS1_3genE5ELNS1_11target_archE942ELNS1_3gpuE9ELNS1_3repE0EEENS1_47radix_sort_onesweep_sort_config_static_selectorELNS0_4arch9wavefront6targetE0EEEvSG_: ; @_ZN7rocprim17ROCPRIM_400000_NS6detail17trampoline_kernelINS0_14default_configENS1_35radix_sort_onesweep_config_selectorIhNS0_10empty_typeEEEZZNS1_29radix_sort_onesweep_iterationIS3_Lb1EPKhPhPS5_SB_mNS0_19identity_decomposerENS1_16block_id_wrapperIjLb1EEEEE10hipError_tT1_PNSt15iterator_traitsISG_E10value_typeET2_T3_PNSH_ISM_E10value_typeET4_T5_PSR_SS_PNS1_23onesweep_lookback_stateEbbT6_jjT7_P12ihipStream_tbENKUlT_T0_SG_SL_E_clISA_SA_SB_SB_EEDaSZ_S10_SG_SL_EUlSZ_E_NS1_11comp_targetILNS1_3genE5ELNS1_11target_archE942ELNS1_3gpuE9ELNS1_3repE0EEENS1_47radix_sort_onesweep_sort_config_static_selectorELNS0_4arch9wavefront6targetE0EEEvSG_
; %bb.0:
	.section	.rodata,"a",@progbits
	.p2align	6, 0x0
	.amdhsa_kernel _ZN7rocprim17ROCPRIM_400000_NS6detail17trampoline_kernelINS0_14default_configENS1_35radix_sort_onesweep_config_selectorIhNS0_10empty_typeEEEZZNS1_29radix_sort_onesweep_iterationIS3_Lb1EPKhPhPS5_SB_mNS0_19identity_decomposerENS1_16block_id_wrapperIjLb1EEEEE10hipError_tT1_PNSt15iterator_traitsISG_E10value_typeET2_T3_PNSH_ISM_E10value_typeET4_T5_PSR_SS_PNS1_23onesweep_lookback_stateEbbT6_jjT7_P12ihipStream_tbENKUlT_T0_SG_SL_E_clISA_SA_SB_SB_EEDaSZ_S10_SG_SL_EUlSZ_E_NS1_11comp_targetILNS1_3genE5ELNS1_11target_archE942ELNS1_3gpuE9ELNS1_3repE0EEENS1_47radix_sort_onesweep_sort_config_static_selectorELNS0_4arch9wavefront6targetE0EEEvSG_
		.amdhsa_group_segment_fixed_size 0
		.amdhsa_private_segment_fixed_size 0
		.amdhsa_kernarg_size 88
		.amdhsa_user_sgpr_count 2
		.amdhsa_user_sgpr_dispatch_ptr 0
		.amdhsa_user_sgpr_queue_ptr 0
		.amdhsa_user_sgpr_kernarg_segment_ptr 1
		.amdhsa_user_sgpr_dispatch_id 0
		.amdhsa_user_sgpr_kernarg_preload_length 0
		.amdhsa_user_sgpr_kernarg_preload_offset 0
		.amdhsa_user_sgpr_private_segment_size 0
		.amdhsa_wavefront_size32 1
		.amdhsa_uses_dynamic_stack 0
		.amdhsa_enable_private_segment 0
		.amdhsa_system_sgpr_workgroup_id_x 1
		.amdhsa_system_sgpr_workgroup_id_y 0
		.amdhsa_system_sgpr_workgroup_id_z 0
		.amdhsa_system_sgpr_workgroup_info 0
		.amdhsa_system_vgpr_workitem_id 0
		.amdhsa_next_free_vgpr 1
		.amdhsa_next_free_sgpr 1
		.amdhsa_named_barrier_count 0
		.amdhsa_reserve_vcc 0
		.amdhsa_float_round_mode_32 0
		.amdhsa_float_round_mode_16_64 0
		.amdhsa_float_denorm_mode_32 3
		.amdhsa_float_denorm_mode_16_64 3
		.amdhsa_fp16_overflow 0
		.amdhsa_memory_ordered 1
		.amdhsa_forward_progress 1
		.amdhsa_inst_pref_size 0
		.amdhsa_round_robin_scheduling 0
		.amdhsa_exception_fp_ieee_invalid_op 0
		.amdhsa_exception_fp_denorm_src 0
		.amdhsa_exception_fp_ieee_div_zero 0
		.amdhsa_exception_fp_ieee_overflow 0
		.amdhsa_exception_fp_ieee_underflow 0
		.amdhsa_exception_fp_ieee_inexact 0
		.amdhsa_exception_int_div_zero 0
	.end_amdhsa_kernel
	.section	.text._ZN7rocprim17ROCPRIM_400000_NS6detail17trampoline_kernelINS0_14default_configENS1_35radix_sort_onesweep_config_selectorIhNS0_10empty_typeEEEZZNS1_29radix_sort_onesweep_iterationIS3_Lb1EPKhPhPS5_SB_mNS0_19identity_decomposerENS1_16block_id_wrapperIjLb1EEEEE10hipError_tT1_PNSt15iterator_traitsISG_E10value_typeET2_T3_PNSH_ISM_E10value_typeET4_T5_PSR_SS_PNS1_23onesweep_lookback_stateEbbT6_jjT7_P12ihipStream_tbENKUlT_T0_SG_SL_E_clISA_SA_SB_SB_EEDaSZ_S10_SG_SL_EUlSZ_E_NS1_11comp_targetILNS1_3genE5ELNS1_11target_archE942ELNS1_3gpuE9ELNS1_3repE0EEENS1_47radix_sort_onesweep_sort_config_static_selectorELNS0_4arch9wavefront6targetE0EEEvSG_,"axG",@progbits,_ZN7rocprim17ROCPRIM_400000_NS6detail17trampoline_kernelINS0_14default_configENS1_35radix_sort_onesweep_config_selectorIhNS0_10empty_typeEEEZZNS1_29radix_sort_onesweep_iterationIS3_Lb1EPKhPhPS5_SB_mNS0_19identity_decomposerENS1_16block_id_wrapperIjLb1EEEEE10hipError_tT1_PNSt15iterator_traitsISG_E10value_typeET2_T3_PNSH_ISM_E10value_typeET4_T5_PSR_SS_PNS1_23onesweep_lookback_stateEbbT6_jjT7_P12ihipStream_tbENKUlT_T0_SG_SL_E_clISA_SA_SB_SB_EEDaSZ_S10_SG_SL_EUlSZ_E_NS1_11comp_targetILNS1_3genE5ELNS1_11target_archE942ELNS1_3gpuE9ELNS1_3repE0EEENS1_47radix_sort_onesweep_sort_config_static_selectorELNS0_4arch9wavefront6targetE0EEEvSG_,comdat
.Lfunc_end119:
	.size	_ZN7rocprim17ROCPRIM_400000_NS6detail17trampoline_kernelINS0_14default_configENS1_35radix_sort_onesweep_config_selectorIhNS0_10empty_typeEEEZZNS1_29radix_sort_onesweep_iterationIS3_Lb1EPKhPhPS5_SB_mNS0_19identity_decomposerENS1_16block_id_wrapperIjLb1EEEEE10hipError_tT1_PNSt15iterator_traitsISG_E10value_typeET2_T3_PNSH_ISM_E10value_typeET4_T5_PSR_SS_PNS1_23onesweep_lookback_stateEbbT6_jjT7_P12ihipStream_tbENKUlT_T0_SG_SL_E_clISA_SA_SB_SB_EEDaSZ_S10_SG_SL_EUlSZ_E_NS1_11comp_targetILNS1_3genE5ELNS1_11target_archE942ELNS1_3gpuE9ELNS1_3repE0EEENS1_47radix_sort_onesweep_sort_config_static_selectorELNS0_4arch9wavefront6targetE0EEEvSG_, .Lfunc_end119-_ZN7rocprim17ROCPRIM_400000_NS6detail17trampoline_kernelINS0_14default_configENS1_35radix_sort_onesweep_config_selectorIhNS0_10empty_typeEEEZZNS1_29radix_sort_onesweep_iterationIS3_Lb1EPKhPhPS5_SB_mNS0_19identity_decomposerENS1_16block_id_wrapperIjLb1EEEEE10hipError_tT1_PNSt15iterator_traitsISG_E10value_typeET2_T3_PNSH_ISM_E10value_typeET4_T5_PSR_SS_PNS1_23onesweep_lookback_stateEbbT6_jjT7_P12ihipStream_tbENKUlT_T0_SG_SL_E_clISA_SA_SB_SB_EEDaSZ_S10_SG_SL_EUlSZ_E_NS1_11comp_targetILNS1_3genE5ELNS1_11target_archE942ELNS1_3gpuE9ELNS1_3repE0EEENS1_47radix_sort_onesweep_sort_config_static_selectorELNS0_4arch9wavefront6targetE0EEEvSG_
                                        ; -- End function
	.set _ZN7rocprim17ROCPRIM_400000_NS6detail17trampoline_kernelINS0_14default_configENS1_35radix_sort_onesweep_config_selectorIhNS0_10empty_typeEEEZZNS1_29radix_sort_onesweep_iterationIS3_Lb1EPKhPhPS5_SB_mNS0_19identity_decomposerENS1_16block_id_wrapperIjLb1EEEEE10hipError_tT1_PNSt15iterator_traitsISG_E10value_typeET2_T3_PNSH_ISM_E10value_typeET4_T5_PSR_SS_PNS1_23onesweep_lookback_stateEbbT6_jjT7_P12ihipStream_tbENKUlT_T0_SG_SL_E_clISA_SA_SB_SB_EEDaSZ_S10_SG_SL_EUlSZ_E_NS1_11comp_targetILNS1_3genE5ELNS1_11target_archE942ELNS1_3gpuE9ELNS1_3repE0EEENS1_47radix_sort_onesweep_sort_config_static_selectorELNS0_4arch9wavefront6targetE0EEEvSG_.num_vgpr, 0
	.set _ZN7rocprim17ROCPRIM_400000_NS6detail17trampoline_kernelINS0_14default_configENS1_35radix_sort_onesweep_config_selectorIhNS0_10empty_typeEEEZZNS1_29radix_sort_onesweep_iterationIS3_Lb1EPKhPhPS5_SB_mNS0_19identity_decomposerENS1_16block_id_wrapperIjLb1EEEEE10hipError_tT1_PNSt15iterator_traitsISG_E10value_typeET2_T3_PNSH_ISM_E10value_typeET4_T5_PSR_SS_PNS1_23onesweep_lookback_stateEbbT6_jjT7_P12ihipStream_tbENKUlT_T0_SG_SL_E_clISA_SA_SB_SB_EEDaSZ_S10_SG_SL_EUlSZ_E_NS1_11comp_targetILNS1_3genE5ELNS1_11target_archE942ELNS1_3gpuE9ELNS1_3repE0EEENS1_47radix_sort_onesweep_sort_config_static_selectorELNS0_4arch9wavefront6targetE0EEEvSG_.num_agpr, 0
	.set _ZN7rocprim17ROCPRIM_400000_NS6detail17trampoline_kernelINS0_14default_configENS1_35radix_sort_onesweep_config_selectorIhNS0_10empty_typeEEEZZNS1_29radix_sort_onesweep_iterationIS3_Lb1EPKhPhPS5_SB_mNS0_19identity_decomposerENS1_16block_id_wrapperIjLb1EEEEE10hipError_tT1_PNSt15iterator_traitsISG_E10value_typeET2_T3_PNSH_ISM_E10value_typeET4_T5_PSR_SS_PNS1_23onesweep_lookback_stateEbbT6_jjT7_P12ihipStream_tbENKUlT_T0_SG_SL_E_clISA_SA_SB_SB_EEDaSZ_S10_SG_SL_EUlSZ_E_NS1_11comp_targetILNS1_3genE5ELNS1_11target_archE942ELNS1_3gpuE9ELNS1_3repE0EEENS1_47radix_sort_onesweep_sort_config_static_selectorELNS0_4arch9wavefront6targetE0EEEvSG_.numbered_sgpr, 0
	.set _ZN7rocprim17ROCPRIM_400000_NS6detail17trampoline_kernelINS0_14default_configENS1_35radix_sort_onesweep_config_selectorIhNS0_10empty_typeEEEZZNS1_29radix_sort_onesweep_iterationIS3_Lb1EPKhPhPS5_SB_mNS0_19identity_decomposerENS1_16block_id_wrapperIjLb1EEEEE10hipError_tT1_PNSt15iterator_traitsISG_E10value_typeET2_T3_PNSH_ISM_E10value_typeET4_T5_PSR_SS_PNS1_23onesweep_lookback_stateEbbT6_jjT7_P12ihipStream_tbENKUlT_T0_SG_SL_E_clISA_SA_SB_SB_EEDaSZ_S10_SG_SL_EUlSZ_E_NS1_11comp_targetILNS1_3genE5ELNS1_11target_archE942ELNS1_3gpuE9ELNS1_3repE0EEENS1_47radix_sort_onesweep_sort_config_static_selectorELNS0_4arch9wavefront6targetE0EEEvSG_.num_named_barrier, 0
	.set _ZN7rocprim17ROCPRIM_400000_NS6detail17trampoline_kernelINS0_14default_configENS1_35radix_sort_onesweep_config_selectorIhNS0_10empty_typeEEEZZNS1_29radix_sort_onesweep_iterationIS3_Lb1EPKhPhPS5_SB_mNS0_19identity_decomposerENS1_16block_id_wrapperIjLb1EEEEE10hipError_tT1_PNSt15iterator_traitsISG_E10value_typeET2_T3_PNSH_ISM_E10value_typeET4_T5_PSR_SS_PNS1_23onesweep_lookback_stateEbbT6_jjT7_P12ihipStream_tbENKUlT_T0_SG_SL_E_clISA_SA_SB_SB_EEDaSZ_S10_SG_SL_EUlSZ_E_NS1_11comp_targetILNS1_3genE5ELNS1_11target_archE942ELNS1_3gpuE9ELNS1_3repE0EEENS1_47radix_sort_onesweep_sort_config_static_selectorELNS0_4arch9wavefront6targetE0EEEvSG_.private_seg_size, 0
	.set _ZN7rocprim17ROCPRIM_400000_NS6detail17trampoline_kernelINS0_14default_configENS1_35radix_sort_onesweep_config_selectorIhNS0_10empty_typeEEEZZNS1_29radix_sort_onesweep_iterationIS3_Lb1EPKhPhPS5_SB_mNS0_19identity_decomposerENS1_16block_id_wrapperIjLb1EEEEE10hipError_tT1_PNSt15iterator_traitsISG_E10value_typeET2_T3_PNSH_ISM_E10value_typeET4_T5_PSR_SS_PNS1_23onesweep_lookback_stateEbbT6_jjT7_P12ihipStream_tbENKUlT_T0_SG_SL_E_clISA_SA_SB_SB_EEDaSZ_S10_SG_SL_EUlSZ_E_NS1_11comp_targetILNS1_3genE5ELNS1_11target_archE942ELNS1_3gpuE9ELNS1_3repE0EEENS1_47radix_sort_onesweep_sort_config_static_selectorELNS0_4arch9wavefront6targetE0EEEvSG_.uses_vcc, 0
	.set _ZN7rocprim17ROCPRIM_400000_NS6detail17trampoline_kernelINS0_14default_configENS1_35radix_sort_onesweep_config_selectorIhNS0_10empty_typeEEEZZNS1_29radix_sort_onesweep_iterationIS3_Lb1EPKhPhPS5_SB_mNS0_19identity_decomposerENS1_16block_id_wrapperIjLb1EEEEE10hipError_tT1_PNSt15iterator_traitsISG_E10value_typeET2_T3_PNSH_ISM_E10value_typeET4_T5_PSR_SS_PNS1_23onesweep_lookback_stateEbbT6_jjT7_P12ihipStream_tbENKUlT_T0_SG_SL_E_clISA_SA_SB_SB_EEDaSZ_S10_SG_SL_EUlSZ_E_NS1_11comp_targetILNS1_3genE5ELNS1_11target_archE942ELNS1_3gpuE9ELNS1_3repE0EEENS1_47radix_sort_onesweep_sort_config_static_selectorELNS0_4arch9wavefront6targetE0EEEvSG_.uses_flat_scratch, 0
	.set _ZN7rocprim17ROCPRIM_400000_NS6detail17trampoline_kernelINS0_14default_configENS1_35radix_sort_onesweep_config_selectorIhNS0_10empty_typeEEEZZNS1_29radix_sort_onesweep_iterationIS3_Lb1EPKhPhPS5_SB_mNS0_19identity_decomposerENS1_16block_id_wrapperIjLb1EEEEE10hipError_tT1_PNSt15iterator_traitsISG_E10value_typeET2_T3_PNSH_ISM_E10value_typeET4_T5_PSR_SS_PNS1_23onesweep_lookback_stateEbbT6_jjT7_P12ihipStream_tbENKUlT_T0_SG_SL_E_clISA_SA_SB_SB_EEDaSZ_S10_SG_SL_EUlSZ_E_NS1_11comp_targetILNS1_3genE5ELNS1_11target_archE942ELNS1_3gpuE9ELNS1_3repE0EEENS1_47radix_sort_onesweep_sort_config_static_selectorELNS0_4arch9wavefront6targetE0EEEvSG_.has_dyn_sized_stack, 0
	.set _ZN7rocprim17ROCPRIM_400000_NS6detail17trampoline_kernelINS0_14default_configENS1_35radix_sort_onesweep_config_selectorIhNS0_10empty_typeEEEZZNS1_29radix_sort_onesweep_iterationIS3_Lb1EPKhPhPS5_SB_mNS0_19identity_decomposerENS1_16block_id_wrapperIjLb1EEEEE10hipError_tT1_PNSt15iterator_traitsISG_E10value_typeET2_T3_PNSH_ISM_E10value_typeET4_T5_PSR_SS_PNS1_23onesweep_lookback_stateEbbT6_jjT7_P12ihipStream_tbENKUlT_T0_SG_SL_E_clISA_SA_SB_SB_EEDaSZ_S10_SG_SL_EUlSZ_E_NS1_11comp_targetILNS1_3genE5ELNS1_11target_archE942ELNS1_3gpuE9ELNS1_3repE0EEENS1_47radix_sort_onesweep_sort_config_static_selectorELNS0_4arch9wavefront6targetE0EEEvSG_.has_recursion, 0
	.set _ZN7rocprim17ROCPRIM_400000_NS6detail17trampoline_kernelINS0_14default_configENS1_35radix_sort_onesweep_config_selectorIhNS0_10empty_typeEEEZZNS1_29radix_sort_onesweep_iterationIS3_Lb1EPKhPhPS5_SB_mNS0_19identity_decomposerENS1_16block_id_wrapperIjLb1EEEEE10hipError_tT1_PNSt15iterator_traitsISG_E10value_typeET2_T3_PNSH_ISM_E10value_typeET4_T5_PSR_SS_PNS1_23onesweep_lookback_stateEbbT6_jjT7_P12ihipStream_tbENKUlT_T0_SG_SL_E_clISA_SA_SB_SB_EEDaSZ_S10_SG_SL_EUlSZ_E_NS1_11comp_targetILNS1_3genE5ELNS1_11target_archE942ELNS1_3gpuE9ELNS1_3repE0EEENS1_47radix_sort_onesweep_sort_config_static_selectorELNS0_4arch9wavefront6targetE0EEEvSG_.has_indirect_call, 0
	.section	.AMDGPU.csdata,"",@progbits
; Kernel info:
; codeLenInByte = 0
; TotalNumSgprs: 0
; NumVgprs: 0
; ScratchSize: 0
; MemoryBound: 0
; FloatMode: 240
; IeeeMode: 1
; LDSByteSize: 0 bytes/workgroup (compile time only)
; SGPRBlocks: 0
; VGPRBlocks: 0
; NumSGPRsForWavesPerEU: 1
; NumVGPRsForWavesPerEU: 1
; NamedBarCnt: 0
; Occupancy: 16
; WaveLimiterHint : 0
; COMPUTE_PGM_RSRC2:SCRATCH_EN: 0
; COMPUTE_PGM_RSRC2:USER_SGPR: 2
; COMPUTE_PGM_RSRC2:TRAP_HANDLER: 0
; COMPUTE_PGM_RSRC2:TGID_X_EN: 1
; COMPUTE_PGM_RSRC2:TGID_Y_EN: 0
; COMPUTE_PGM_RSRC2:TGID_Z_EN: 0
; COMPUTE_PGM_RSRC2:TIDIG_COMP_CNT: 0
	.section	.text._ZN7rocprim17ROCPRIM_400000_NS6detail17trampoline_kernelINS0_14default_configENS1_35radix_sort_onesweep_config_selectorIhNS0_10empty_typeEEEZZNS1_29radix_sort_onesweep_iterationIS3_Lb1EPKhPhPS5_SB_mNS0_19identity_decomposerENS1_16block_id_wrapperIjLb1EEEEE10hipError_tT1_PNSt15iterator_traitsISG_E10value_typeET2_T3_PNSH_ISM_E10value_typeET4_T5_PSR_SS_PNS1_23onesweep_lookback_stateEbbT6_jjT7_P12ihipStream_tbENKUlT_T0_SG_SL_E_clISA_SA_SB_SB_EEDaSZ_S10_SG_SL_EUlSZ_E_NS1_11comp_targetILNS1_3genE2ELNS1_11target_archE906ELNS1_3gpuE6ELNS1_3repE0EEENS1_47radix_sort_onesweep_sort_config_static_selectorELNS0_4arch9wavefront6targetE0EEEvSG_,"axG",@progbits,_ZN7rocprim17ROCPRIM_400000_NS6detail17trampoline_kernelINS0_14default_configENS1_35radix_sort_onesweep_config_selectorIhNS0_10empty_typeEEEZZNS1_29radix_sort_onesweep_iterationIS3_Lb1EPKhPhPS5_SB_mNS0_19identity_decomposerENS1_16block_id_wrapperIjLb1EEEEE10hipError_tT1_PNSt15iterator_traitsISG_E10value_typeET2_T3_PNSH_ISM_E10value_typeET4_T5_PSR_SS_PNS1_23onesweep_lookback_stateEbbT6_jjT7_P12ihipStream_tbENKUlT_T0_SG_SL_E_clISA_SA_SB_SB_EEDaSZ_S10_SG_SL_EUlSZ_E_NS1_11comp_targetILNS1_3genE2ELNS1_11target_archE906ELNS1_3gpuE6ELNS1_3repE0EEENS1_47radix_sort_onesweep_sort_config_static_selectorELNS0_4arch9wavefront6targetE0EEEvSG_,comdat
	.protected	_ZN7rocprim17ROCPRIM_400000_NS6detail17trampoline_kernelINS0_14default_configENS1_35radix_sort_onesweep_config_selectorIhNS0_10empty_typeEEEZZNS1_29radix_sort_onesweep_iterationIS3_Lb1EPKhPhPS5_SB_mNS0_19identity_decomposerENS1_16block_id_wrapperIjLb1EEEEE10hipError_tT1_PNSt15iterator_traitsISG_E10value_typeET2_T3_PNSH_ISM_E10value_typeET4_T5_PSR_SS_PNS1_23onesweep_lookback_stateEbbT6_jjT7_P12ihipStream_tbENKUlT_T0_SG_SL_E_clISA_SA_SB_SB_EEDaSZ_S10_SG_SL_EUlSZ_E_NS1_11comp_targetILNS1_3genE2ELNS1_11target_archE906ELNS1_3gpuE6ELNS1_3repE0EEENS1_47radix_sort_onesweep_sort_config_static_selectorELNS0_4arch9wavefront6targetE0EEEvSG_ ; -- Begin function _ZN7rocprim17ROCPRIM_400000_NS6detail17trampoline_kernelINS0_14default_configENS1_35radix_sort_onesweep_config_selectorIhNS0_10empty_typeEEEZZNS1_29radix_sort_onesweep_iterationIS3_Lb1EPKhPhPS5_SB_mNS0_19identity_decomposerENS1_16block_id_wrapperIjLb1EEEEE10hipError_tT1_PNSt15iterator_traitsISG_E10value_typeET2_T3_PNSH_ISM_E10value_typeET4_T5_PSR_SS_PNS1_23onesweep_lookback_stateEbbT6_jjT7_P12ihipStream_tbENKUlT_T0_SG_SL_E_clISA_SA_SB_SB_EEDaSZ_S10_SG_SL_EUlSZ_E_NS1_11comp_targetILNS1_3genE2ELNS1_11target_archE906ELNS1_3gpuE6ELNS1_3repE0EEENS1_47radix_sort_onesweep_sort_config_static_selectorELNS0_4arch9wavefront6targetE0EEEvSG_
	.globl	_ZN7rocprim17ROCPRIM_400000_NS6detail17trampoline_kernelINS0_14default_configENS1_35radix_sort_onesweep_config_selectorIhNS0_10empty_typeEEEZZNS1_29radix_sort_onesweep_iterationIS3_Lb1EPKhPhPS5_SB_mNS0_19identity_decomposerENS1_16block_id_wrapperIjLb1EEEEE10hipError_tT1_PNSt15iterator_traitsISG_E10value_typeET2_T3_PNSH_ISM_E10value_typeET4_T5_PSR_SS_PNS1_23onesweep_lookback_stateEbbT6_jjT7_P12ihipStream_tbENKUlT_T0_SG_SL_E_clISA_SA_SB_SB_EEDaSZ_S10_SG_SL_EUlSZ_E_NS1_11comp_targetILNS1_3genE2ELNS1_11target_archE906ELNS1_3gpuE6ELNS1_3repE0EEENS1_47radix_sort_onesweep_sort_config_static_selectorELNS0_4arch9wavefront6targetE0EEEvSG_
	.p2align	8
	.type	_ZN7rocprim17ROCPRIM_400000_NS6detail17trampoline_kernelINS0_14default_configENS1_35radix_sort_onesweep_config_selectorIhNS0_10empty_typeEEEZZNS1_29radix_sort_onesweep_iterationIS3_Lb1EPKhPhPS5_SB_mNS0_19identity_decomposerENS1_16block_id_wrapperIjLb1EEEEE10hipError_tT1_PNSt15iterator_traitsISG_E10value_typeET2_T3_PNSH_ISM_E10value_typeET4_T5_PSR_SS_PNS1_23onesweep_lookback_stateEbbT6_jjT7_P12ihipStream_tbENKUlT_T0_SG_SL_E_clISA_SA_SB_SB_EEDaSZ_S10_SG_SL_EUlSZ_E_NS1_11comp_targetILNS1_3genE2ELNS1_11target_archE906ELNS1_3gpuE6ELNS1_3repE0EEENS1_47radix_sort_onesweep_sort_config_static_selectorELNS0_4arch9wavefront6targetE0EEEvSG_,@function
_ZN7rocprim17ROCPRIM_400000_NS6detail17trampoline_kernelINS0_14default_configENS1_35radix_sort_onesweep_config_selectorIhNS0_10empty_typeEEEZZNS1_29radix_sort_onesweep_iterationIS3_Lb1EPKhPhPS5_SB_mNS0_19identity_decomposerENS1_16block_id_wrapperIjLb1EEEEE10hipError_tT1_PNSt15iterator_traitsISG_E10value_typeET2_T3_PNSH_ISM_E10value_typeET4_T5_PSR_SS_PNS1_23onesweep_lookback_stateEbbT6_jjT7_P12ihipStream_tbENKUlT_T0_SG_SL_E_clISA_SA_SB_SB_EEDaSZ_S10_SG_SL_EUlSZ_E_NS1_11comp_targetILNS1_3genE2ELNS1_11target_archE906ELNS1_3gpuE6ELNS1_3repE0EEENS1_47radix_sort_onesweep_sort_config_static_selectorELNS0_4arch9wavefront6targetE0EEEvSG_: ; @_ZN7rocprim17ROCPRIM_400000_NS6detail17trampoline_kernelINS0_14default_configENS1_35radix_sort_onesweep_config_selectorIhNS0_10empty_typeEEEZZNS1_29radix_sort_onesweep_iterationIS3_Lb1EPKhPhPS5_SB_mNS0_19identity_decomposerENS1_16block_id_wrapperIjLb1EEEEE10hipError_tT1_PNSt15iterator_traitsISG_E10value_typeET2_T3_PNSH_ISM_E10value_typeET4_T5_PSR_SS_PNS1_23onesweep_lookback_stateEbbT6_jjT7_P12ihipStream_tbENKUlT_T0_SG_SL_E_clISA_SA_SB_SB_EEDaSZ_S10_SG_SL_EUlSZ_E_NS1_11comp_targetILNS1_3genE2ELNS1_11target_archE906ELNS1_3gpuE6ELNS1_3repE0EEENS1_47radix_sort_onesweep_sort_config_static_selectorELNS0_4arch9wavefront6targetE0EEEvSG_
; %bb.0:
	.section	.rodata,"a",@progbits
	.p2align	6, 0x0
	.amdhsa_kernel _ZN7rocprim17ROCPRIM_400000_NS6detail17trampoline_kernelINS0_14default_configENS1_35radix_sort_onesweep_config_selectorIhNS0_10empty_typeEEEZZNS1_29radix_sort_onesweep_iterationIS3_Lb1EPKhPhPS5_SB_mNS0_19identity_decomposerENS1_16block_id_wrapperIjLb1EEEEE10hipError_tT1_PNSt15iterator_traitsISG_E10value_typeET2_T3_PNSH_ISM_E10value_typeET4_T5_PSR_SS_PNS1_23onesweep_lookback_stateEbbT6_jjT7_P12ihipStream_tbENKUlT_T0_SG_SL_E_clISA_SA_SB_SB_EEDaSZ_S10_SG_SL_EUlSZ_E_NS1_11comp_targetILNS1_3genE2ELNS1_11target_archE906ELNS1_3gpuE6ELNS1_3repE0EEENS1_47radix_sort_onesweep_sort_config_static_selectorELNS0_4arch9wavefront6targetE0EEEvSG_
		.amdhsa_group_segment_fixed_size 0
		.amdhsa_private_segment_fixed_size 0
		.amdhsa_kernarg_size 88
		.amdhsa_user_sgpr_count 2
		.amdhsa_user_sgpr_dispatch_ptr 0
		.amdhsa_user_sgpr_queue_ptr 0
		.amdhsa_user_sgpr_kernarg_segment_ptr 1
		.amdhsa_user_sgpr_dispatch_id 0
		.amdhsa_user_sgpr_kernarg_preload_length 0
		.amdhsa_user_sgpr_kernarg_preload_offset 0
		.amdhsa_user_sgpr_private_segment_size 0
		.amdhsa_wavefront_size32 1
		.amdhsa_uses_dynamic_stack 0
		.amdhsa_enable_private_segment 0
		.amdhsa_system_sgpr_workgroup_id_x 1
		.amdhsa_system_sgpr_workgroup_id_y 0
		.amdhsa_system_sgpr_workgroup_id_z 0
		.amdhsa_system_sgpr_workgroup_info 0
		.amdhsa_system_vgpr_workitem_id 0
		.amdhsa_next_free_vgpr 1
		.amdhsa_next_free_sgpr 1
		.amdhsa_named_barrier_count 0
		.amdhsa_reserve_vcc 0
		.amdhsa_float_round_mode_32 0
		.amdhsa_float_round_mode_16_64 0
		.amdhsa_float_denorm_mode_32 3
		.amdhsa_float_denorm_mode_16_64 3
		.amdhsa_fp16_overflow 0
		.amdhsa_memory_ordered 1
		.amdhsa_forward_progress 1
		.amdhsa_inst_pref_size 0
		.amdhsa_round_robin_scheduling 0
		.amdhsa_exception_fp_ieee_invalid_op 0
		.amdhsa_exception_fp_denorm_src 0
		.amdhsa_exception_fp_ieee_div_zero 0
		.amdhsa_exception_fp_ieee_overflow 0
		.amdhsa_exception_fp_ieee_underflow 0
		.amdhsa_exception_fp_ieee_inexact 0
		.amdhsa_exception_int_div_zero 0
	.end_amdhsa_kernel
	.section	.text._ZN7rocprim17ROCPRIM_400000_NS6detail17trampoline_kernelINS0_14default_configENS1_35radix_sort_onesweep_config_selectorIhNS0_10empty_typeEEEZZNS1_29radix_sort_onesweep_iterationIS3_Lb1EPKhPhPS5_SB_mNS0_19identity_decomposerENS1_16block_id_wrapperIjLb1EEEEE10hipError_tT1_PNSt15iterator_traitsISG_E10value_typeET2_T3_PNSH_ISM_E10value_typeET4_T5_PSR_SS_PNS1_23onesweep_lookback_stateEbbT6_jjT7_P12ihipStream_tbENKUlT_T0_SG_SL_E_clISA_SA_SB_SB_EEDaSZ_S10_SG_SL_EUlSZ_E_NS1_11comp_targetILNS1_3genE2ELNS1_11target_archE906ELNS1_3gpuE6ELNS1_3repE0EEENS1_47radix_sort_onesweep_sort_config_static_selectorELNS0_4arch9wavefront6targetE0EEEvSG_,"axG",@progbits,_ZN7rocprim17ROCPRIM_400000_NS6detail17trampoline_kernelINS0_14default_configENS1_35radix_sort_onesweep_config_selectorIhNS0_10empty_typeEEEZZNS1_29radix_sort_onesweep_iterationIS3_Lb1EPKhPhPS5_SB_mNS0_19identity_decomposerENS1_16block_id_wrapperIjLb1EEEEE10hipError_tT1_PNSt15iterator_traitsISG_E10value_typeET2_T3_PNSH_ISM_E10value_typeET4_T5_PSR_SS_PNS1_23onesweep_lookback_stateEbbT6_jjT7_P12ihipStream_tbENKUlT_T0_SG_SL_E_clISA_SA_SB_SB_EEDaSZ_S10_SG_SL_EUlSZ_E_NS1_11comp_targetILNS1_3genE2ELNS1_11target_archE906ELNS1_3gpuE6ELNS1_3repE0EEENS1_47radix_sort_onesweep_sort_config_static_selectorELNS0_4arch9wavefront6targetE0EEEvSG_,comdat
.Lfunc_end120:
	.size	_ZN7rocprim17ROCPRIM_400000_NS6detail17trampoline_kernelINS0_14default_configENS1_35radix_sort_onesweep_config_selectorIhNS0_10empty_typeEEEZZNS1_29radix_sort_onesweep_iterationIS3_Lb1EPKhPhPS5_SB_mNS0_19identity_decomposerENS1_16block_id_wrapperIjLb1EEEEE10hipError_tT1_PNSt15iterator_traitsISG_E10value_typeET2_T3_PNSH_ISM_E10value_typeET4_T5_PSR_SS_PNS1_23onesweep_lookback_stateEbbT6_jjT7_P12ihipStream_tbENKUlT_T0_SG_SL_E_clISA_SA_SB_SB_EEDaSZ_S10_SG_SL_EUlSZ_E_NS1_11comp_targetILNS1_3genE2ELNS1_11target_archE906ELNS1_3gpuE6ELNS1_3repE0EEENS1_47radix_sort_onesweep_sort_config_static_selectorELNS0_4arch9wavefront6targetE0EEEvSG_, .Lfunc_end120-_ZN7rocprim17ROCPRIM_400000_NS6detail17trampoline_kernelINS0_14default_configENS1_35radix_sort_onesweep_config_selectorIhNS0_10empty_typeEEEZZNS1_29radix_sort_onesweep_iterationIS3_Lb1EPKhPhPS5_SB_mNS0_19identity_decomposerENS1_16block_id_wrapperIjLb1EEEEE10hipError_tT1_PNSt15iterator_traitsISG_E10value_typeET2_T3_PNSH_ISM_E10value_typeET4_T5_PSR_SS_PNS1_23onesweep_lookback_stateEbbT6_jjT7_P12ihipStream_tbENKUlT_T0_SG_SL_E_clISA_SA_SB_SB_EEDaSZ_S10_SG_SL_EUlSZ_E_NS1_11comp_targetILNS1_3genE2ELNS1_11target_archE906ELNS1_3gpuE6ELNS1_3repE0EEENS1_47radix_sort_onesweep_sort_config_static_selectorELNS0_4arch9wavefront6targetE0EEEvSG_
                                        ; -- End function
	.set _ZN7rocprim17ROCPRIM_400000_NS6detail17trampoline_kernelINS0_14default_configENS1_35radix_sort_onesweep_config_selectorIhNS0_10empty_typeEEEZZNS1_29radix_sort_onesweep_iterationIS3_Lb1EPKhPhPS5_SB_mNS0_19identity_decomposerENS1_16block_id_wrapperIjLb1EEEEE10hipError_tT1_PNSt15iterator_traitsISG_E10value_typeET2_T3_PNSH_ISM_E10value_typeET4_T5_PSR_SS_PNS1_23onesweep_lookback_stateEbbT6_jjT7_P12ihipStream_tbENKUlT_T0_SG_SL_E_clISA_SA_SB_SB_EEDaSZ_S10_SG_SL_EUlSZ_E_NS1_11comp_targetILNS1_3genE2ELNS1_11target_archE906ELNS1_3gpuE6ELNS1_3repE0EEENS1_47radix_sort_onesweep_sort_config_static_selectorELNS0_4arch9wavefront6targetE0EEEvSG_.num_vgpr, 0
	.set _ZN7rocprim17ROCPRIM_400000_NS6detail17trampoline_kernelINS0_14default_configENS1_35radix_sort_onesweep_config_selectorIhNS0_10empty_typeEEEZZNS1_29radix_sort_onesweep_iterationIS3_Lb1EPKhPhPS5_SB_mNS0_19identity_decomposerENS1_16block_id_wrapperIjLb1EEEEE10hipError_tT1_PNSt15iterator_traitsISG_E10value_typeET2_T3_PNSH_ISM_E10value_typeET4_T5_PSR_SS_PNS1_23onesweep_lookback_stateEbbT6_jjT7_P12ihipStream_tbENKUlT_T0_SG_SL_E_clISA_SA_SB_SB_EEDaSZ_S10_SG_SL_EUlSZ_E_NS1_11comp_targetILNS1_3genE2ELNS1_11target_archE906ELNS1_3gpuE6ELNS1_3repE0EEENS1_47radix_sort_onesweep_sort_config_static_selectorELNS0_4arch9wavefront6targetE0EEEvSG_.num_agpr, 0
	.set _ZN7rocprim17ROCPRIM_400000_NS6detail17trampoline_kernelINS0_14default_configENS1_35radix_sort_onesweep_config_selectorIhNS0_10empty_typeEEEZZNS1_29radix_sort_onesweep_iterationIS3_Lb1EPKhPhPS5_SB_mNS0_19identity_decomposerENS1_16block_id_wrapperIjLb1EEEEE10hipError_tT1_PNSt15iterator_traitsISG_E10value_typeET2_T3_PNSH_ISM_E10value_typeET4_T5_PSR_SS_PNS1_23onesweep_lookback_stateEbbT6_jjT7_P12ihipStream_tbENKUlT_T0_SG_SL_E_clISA_SA_SB_SB_EEDaSZ_S10_SG_SL_EUlSZ_E_NS1_11comp_targetILNS1_3genE2ELNS1_11target_archE906ELNS1_3gpuE6ELNS1_3repE0EEENS1_47radix_sort_onesweep_sort_config_static_selectorELNS0_4arch9wavefront6targetE0EEEvSG_.numbered_sgpr, 0
	.set _ZN7rocprim17ROCPRIM_400000_NS6detail17trampoline_kernelINS0_14default_configENS1_35radix_sort_onesweep_config_selectorIhNS0_10empty_typeEEEZZNS1_29radix_sort_onesweep_iterationIS3_Lb1EPKhPhPS5_SB_mNS0_19identity_decomposerENS1_16block_id_wrapperIjLb1EEEEE10hipError_tT1_PNSt15iterator_traitsISG_E10value_typeET2_T3_PNSH_ISM_E10value_typeET4_T5_PSR_SS_PNS1_23onesweep_lookback_stateEbbT6_jjT7_P12ihipStream_tbENKUlT_T0_SG_SL_E_clISA_SA_SB_SB_EEDaSZ_S10_SG_SL_EUlSZ_E_NS1_11comp_targetILNS1_3genE2ELNS1_11target_archE906ELNS1_3gpuE6ELNS1_3repE0EEENS1_47radix_sort_onesweep_sort_config_static_selectorELNS0_4arch9wavefront6targetE0EEEvSG_.num_named_barrier, 0
	.set _ZN7rocprim17ROCPRIM_400000_NS6detail17trampoline_kernelINS0_14default_configENS1_35radix_sort_onesweep_config_selectorIhNS0_10empty_typeEEEZZNS1_29radix_sort_onesweep_iterationIS3_Lb1EPKhPhPS5_SB_mNS0_19identity_decomposerENS1_16block_id_wrapperIjLb1EEEEE10hipError_tT1_PNSt15iterator_traitsISG_E10value_typeET2_T3_PNSH_ISM_E10value_typeET4_T5_PSR_SS_PNS1_23onesweep_lookback_stateEbbT6_jjT7_P12ihipStream_tbENKUlT_T0_SG_SL_E_clISA_SA_SB_SB_EEDaSZ_S10_SG_SL_EUlSZ_E_NS1_11comp_targetILNS1_3genE2ELNS1_11target_archE906ELNS1_3gpuE6ELNS1_3repE0EEENS1_47radix_sort_onesweep_sort_config_static_selectorELNS0_4arch9wavefront6targetE0EEEvSG_.private_seg_size, 0
	.set _ZN7rocprim17ROCPRIM_400000_NS6detail17trampoline_kernelINS0_14default_configENS1_35radix_sort_onesweep_config_selectorIhNS0_10empty_typeEEEZZNS1_29radix_sort_onesweep_iterationIS3_Lb1EPKhPhPS5_SB_mNS0_19identity_decomposerENS1_16block_id_wrapperIjLb1EEEEE10hipError_tT1_PNSt15iterator_traitsISG_E10value_typeET2_T3_PNSH_ISM_E10value_typeET4_T5_PSR_SS_PNS1_23onesweep_lookback_stateEbbT6_jjT7_P12ihipStream_tbENKUlT_T0_SG_SL_E_clISA_SA_SB_SB_EEDaSZ_S10_SG_SL_EUlSZ_E_NS1_11comp_targetILNS1_3genE2ELNS1_11target_archE906ELNS1_3gpuE6ELNS1_3repE0EEENS1_47radix_sort_onesweep_sort_config_static_selectorELNS0_4arch9wavefront6targetE0EEEvSG_.uses_vcc, 0
	.set _ZN7rocprim17ROCPRIM_400000_NS6detail17trampoline_kernelINS0_14default_configENS1_35radix_sort_onesweep_config_selectorIhNS0_10empty_typeEEEZZNS1_29radix_sort_onesweep_iterationIS3_Lb1EPKhPhPS5_SB_mNS0_19identity_decomposerENS1_16block_id_wrapperIjLb1EEEEE10hipError_tT1_PNSt15iterator_traitsISG_E10value_typeET2_T3_PNSH_ISM_E10value_typeET4_T5_PSR_SS_PNS1_23onesweep_lookback_stateEbbT6_jjT7_P12ihipStream_tbENKUlT_T0_SG_SL_E_clISA_SA_SB_SB_EEDaSZ_S10_SG_SL_EUlSZ_E_NS1_11comp_targetILNS1_3genE2ELNS1_11target_archE906ELNS1_3gpuE6ELNS1_3repE0EEENS1_47radix_sort_onesweep_sort_config_static_selectorELNS0_4arch9wavefront6targetE0EEEvSG_.uses_flat_scratch, 0
	.set _ZN7rocprim17ROCPRIM_400000_NS6detail17trampoline_kernelINS0_14default_configENS1_35radix_sort_onesweep_config_selectorIhNS0_10empty_typeEEEZZNS1_29radix_sort_onesweep_iterationIS3_Lb1EPKhPhPS5_SB_mNS0_19identity_decomposerENS1_16block_id_wrapperIjLb1EEEEE10hipError_tT1_PNSt15iterator_traitsISG_E10value_typeET2_T3_PNSH_ISM_E10value_typeET4_T5_PSR_SS_PNS1_23onesweep_lookback_stateEbbT6_jjT7_P12ihipStream_tbENKUlT_T0_SG_SL_E_clISA_SA_SB_SB_EEDaSZ_S10_SG_SL_EUlSZ_E_NS1_11comp_targetILNS1_3genE2ELNS1_11target_archE906ELNS1_3gpuE6ELNS1_3repE0EEENS1_47radix_sort_onesweep_sort_config_static_selectorELNS0_4arch9wavefront6targetE0EEEvSG_.has_dyn_sized_stack, 0
	.set _ZN7rocprim17ROCPRIM_400000_NS6detail17trampoline_kernelINS0_14default_configENS1_35radix_sort_onesweep_config_selectorIhNS0_10empty_typeEEEZZNS1_29radix_sort_onesweep_iterationIS3_Lb1EPKhPhPS5_SB_mNS0_19identity_decomposerENS1_16block_id_wrapperIjLb1EEEEE10hipError_tT1_PNSt15iterator_traitsISG_E10value_typeET2_T3_PNSH_ISM_E10value_typeET4_T5_PSR_SS_PNS1_23onesweep_lookback_stateEbbT6_jjT7_P12ihipStream_tbENKUlT_T0_SG_SL_E_clISA_SA_SB_SB_EEDaSZ_S10_SG_SL_EUlSZ_E_NS1_11comp_targetILNS1_3genE2ELNS1_11target_archE906ELNS1_3gpuE6ELNS1_3repE0EEENS1_47radix_sort_onesweep_sort_config_static_selectorELNS0_4arch9wavefront6targetE0EEEvSG_.has_recursion, 0
	.set _ZN7rocprim17ROCPRIM_400000_NS6detail17trampoline_kernelINS0_14default_configENS1_35radix_sort_onesweep_config_selectorIhNS0_10empty_typeEEEZZNS1_29radix_sort_onesweep_iterationIS3_Lb1EPKhPhPS5_SB_mNS0_19identity_decomposerENS1_16block_id_wrapperIjLb1EEEEE10hipError_tT1_PNSt15iterator_traitsISG_E10value_typeET2_T3_PNSH_ISM_E10value_typeET4_T5_PSR_SS_PNS1_23onesweep_lookback_stateEbbT6_jjT7_P12ihipStream_tbENKUlT_T0_SG_SL_E_clISA_SA_SB_SB_EEDaSZ_S10_SG_SL_EUlSZ_E_NS1_11comp_targetILNS1_3genE2ELNS1_11target_archE906ELNS1_3gpuE6ELNS1_3repE0EEENS1_47radix_sort_onesweep_sort_config_static_selectorELNS0_4arch9wavefront6targetE0EEEvSG_.has_indirect_call, 0
	.section	.AMDGPU.csdata,"",@progbits
; Kernel info:
; codeLenInByte = 0
; TotalNumSgprs: 0
; NumVgprs: 0
; ScratchSize: 0
; MemoryBound: 0
; FloatMode: 240
; IeeeMode: 1
; LDSByteSize: 0 bytes/workgroup (compile time only)
; SGPRBlocks: 0
; VGPRBlocks: 0
; NumSGPRsForWavesPerEU: 1
; NumVGPRsForWavesPerEU: 1
; NamedBarCnt: 0
; Occupancy: 16
; WaveLimiterHint : 0
; COMPUTE_PGM_RSRC2:SCRATCH_EN: 0
; COMPUTE_PGM_RSRC2:USER_SGPR: 2
; COMPUTE_PGM_RSRC2:TRAP_HANDLER: 0
; COMPUTE_PGM_RSRC2:TGID_X_EN: 1
; COMPUTE_PGM_RSRC2:TGID_Y_EN: 0
; COMPUTE_PGM_RSRC2:TGID_Z_EN: 0
; COMPUTE_PGM_RSRC2:TIDIG_COMP_CNT: 0
	.section	.text._ZN7rocprim17ROCPRIM_400000_NS6detail17trampoline_kernelINS0_14default_configENS1_35radix_sort_onesweep_config_selectorIhNS0_10empty_typeEEEZZNS1_29radix_sort_onesweep_iterationIS3_Lb1EPKhPhPS5_SB_mNS0_19identity_decomposerENS1_16block_id_wrapperIjLb1EEEEE10hipError_tT1_PNSt15iterator_traitsISG_E10value_typeET2_T3_PNSH_ISM_E10value_typeET4_T5_PSR_SS_PNS1_23onesweep_lookback_stateEbbT6_jjT7_P12ihipStream_tbENKUlT_T0_SG_SL_E_clISA_SA_SB_SB_EEDaSZ_S10_SG_SL_EUlSZ_E_NS1_11comp_targetILNS1_3genE4ELNS1_11target_archE910ELNS1_3gpuE8ELNS1_3repE0EEENS1_47radix_sort_onesweep_sort_config_static_selectorELNS0_4arch9wavefront6targetE0EEEvSG_,"axG",@progbits,_ZN7rocprim17ROCPRIM_400000_NS6detail17trampoline_kernelINS0_14default_configENS1_35radix_sort_onesweep_config_selectorIhNS0_10empty_typeEEEZZNS1_29radix_sort_onesweep_iterationIS3_Lb1EPKhPhPS5_SB_mNS0_19identity_decomposerENS1_16block_id_wrapperIjLb1EEEEE10hipError_tT1_PNSt15iterator_traitsISG_E10value_typeET2_T3_PNSH_ISM_E10value_typeET4_T5_PSR_SS_PNS1_23onesweep_lookback_stateEbbT6_jjT7_P12ihipStream_tbENKUlT_T0_SG_SL_E_clISA_SA_SB_SB_EEDaSZ_S10_SG_SL_EUlSZ_E_NS1_11comp_targetILNS1_3genE4ELNS1_11target_archE910ELNS1_3gpuE8ELNS1_3repE0EEENS1_47radix_sort_onesweep_sort_config_static_selectorELNS0_4arch9wavefront6targetE0EEEvSG_,comdat
	.protected	_ZN7rocprim17ROCPRIM_400000_NS6detail17trampoline_kernelINS0_14default_configENS1_35radix_sort_onesweep_config_selectorIhNS0_10empty_typeEEEZZNS1_29radix_sort_onesweep_iterationIS3_Lb1EPKhPhPS5_SB_mNS0_19identity_decomposerENS1_16block_id_wrapperIjLb1EEEEE10hipError_tT1_PNSt15iterator_traitsISG_E10value_typeET2_T3_PNSH_ISM_E10value_typeET4_T5_PSR_SS_PNS1_23onesweep_lookback_stateEbbT6_jjT7_P12ihipStream_tbENKUlT_T0_SG_SL_E_clISA_SA_SB_SB_EEDaSZ_S10_SG_SL_EUlSZ_E_NS1_11comp_targetILNS1_3genE4ELNS1_11target_archE910ELNS1_3gpuE8ELNS1_3repE0EEENS1_47radix_sort_onesweep_sort_config_static_selectorELNS0_4arch9wavefront6targetE0EEEvSG_ ; -- Begin function _ZN7rocprim17ROCPRIM_400000_NS6detail17trampoline_kernelINS0_14default_configENS1_35radix_sort_onesweep_config_selectorIhNS0_10empty_typeEEEZZNS1_29radix_sort_onesweep_iterationIS3_Lb1EPKhPhPS5_SB_mNS0_19identity_decomposerENS1_16block_id_wrapperIjLb1EEEEE10hipError_tT1_PNSt15iterator_traitsISG_E10value_typeET2_T3_PNSH_ISM_E10value_typeET4_T5_PSR_SS_PNS1_23onesweep_lookback_stateEbbT6_jjT7_P12ihipStream_tbENKUlT_T0_SG_SL_E_clISA_SA_SB_SB_EEDaSZ_S10_SG_SL_EUlSZ_E_NS1_11comp_targetILNS1_3genE4ELNS1_11target_archE910ELNS1_3gpuE8ELNS1_3repE0EEENS1_47radix_sort_onesweep_sort_config_static_selectorELNS0_4arch9wavefront6targetE0EEEvSG_
	.globl	_ZN7rocprim17ROCPRIM_400000_NS6detail17trampoline_kernelINS0_14default_configENS1_35radix_sort_onesweep_config_selectorIhNS0_10empty_typeEEEZZNS1_29radix_sort_onesweep_iterationIS3_Lb1EPKhPhPS5_SB_mNS0_19identity_decomposerENS1_16block_id_wrapperIjLb1EEEEE10hipError_tT1_PNSt15iterator_traitsISG_E10value_typeET2_T3_PNSH_ISM_E10value_typeET4_T5_PSR_SS_PNS1_23onesweep_lookback_stateEbbT6_jjT7_P12ihipStream_tbENKUlT_T0_SG_SL_E_clISA_SA_SB_SB_EEDaSZ_S10_SG_SL_EUlSZ_E_NS1_11comp_targetILNS1_3genE4ELNS1_11target_archE910ELNS1_3gpuE8ELNS1_3repE0EEENS1_47radix_sort_onesweep_sort_config_static_selectorELNS0_4arch9wavefront6targetE0EEEvSG_
	.p2align	8
	.type	_ZN7rocprim17ROCPRIM_400000_NS6detail17trampoline_kernelINS0_14default_configENS1_35radix_sort_onesweep_config_selectorIhNS0_10empty_typeEEEZZNS1_29radix_sort_onesweep_iterationIS3_Lb1EPKhPhPS5_SB_mNS0_19identity_decomposerENS1_16block_id_wrapperIjLb1EEEEE10hipError_tT1_PNSt15iterator_traitsISG_E10value_typeET2_T3_PNSH_ISM_E10value_typeET4_T5_PSR_SS_PNS1_23onesweep_lookback_stateEbbT6_jjT7_P12ihipStream_tbENKUlT_T0_SG_SL_E_clISA_SA_SB_SB_EEDaSZ_S10_SG_SL_EUlSZ_E_NS1_11comp_targetILNS1_3genE4ELNS1_11target_archE910ELNS1_3gpuE8ELNS1_3repE0EEENS1_47radix_sort_onesweep_sort_config_static_selectorELNS0_4arch9wavefront6targetE0EEEvSG_,@function
_ZN7rocprim17ROCPRIM_400000_NS6detail17trampoline_kernelINS0_14default_configENS1_35radix_sort_onesweep_config_selectorIhNS0_10empty_typeEEEZZNS1_29radix_sort_onesweep_iterationIS3_Lb1EPKhPhPS5_SB_mNS0_19identity_decomposerENS1_16block_id_wrapperIjLb1EEEEE10hipError_tT1_PNSt15iterator_traitsISG_E10value_typeET2_T3_PNSH_ISM_E10value_typeET4_T5_PSR_SS_PNS1_23onesweep_lookback_stateEbbT6_jjT7_P12ihipStream_tbENKUlT_T0_SG_SL_E_clISA_SA_SB_SB_EEDaSZ_S10_SG_SL_EUlSZ_E_NS1_11comp_targetILNS1_3genE4ELNS1_11target_archE910ELNS1_3gpuE8ELNS1_3repE0EEENS1_47radix_sort_onesweep_sort_config_static_selectorELNS0_4arch9wavefront6targetE0EEEvSG_: ; @_ZN7rocprim17ROCPRIM_400000_NS6detail17trampoline_kernelINS0_14default_configENS1_35radix_sort_onesweep_config_selectorIhNS0_10empty_typeEEEZZNS1_29radix_sort_onesweep_iterationIS3_Lb1EPKhPhPS5_SB_mNS0_19identity_decomposerENS1_16block_id_wrapperIjLb1EEEEE10hipError_tT1_PNSt15iterator_traitsISG_E10value_typeET2_T3_PNSH_ISM_E10value_typeET4_T5_PSR_SS_PNS1_23onesweep_lookback_stateEbbT6_jjT7_P12ihipStream_tbENKUlT_T0_SG_SL_E_clISA_SA_SB_SB_EEDaSZ_S10_SG_SL_EUlSZ_E_NS1_11comp_targetILNS1_3genE4ELNS1_11target_archE910ELNS1_3gpuE8ELNS1_3repE0EEENS1_47radix_sort_onesweep_sort_config_static_selectorELNS0_4arch9wavefront6targetE0EEEvSG_
; %bb.0:
	.section	.rodata,"a",@progbits
	.p2align	6, 0x0
	.amdhsa_kernel _ZN7rocprim17ROCPRIM_400000_NS6detail17trampoline_kernelINS0_14default_configENS1_35radix_sort_onesweep_config_selectorIhNS0_10empty_typeEEEZZNS1_29radix_sort_onesweep_iterationIS3_Lb1EPKhPhPS5_SB_mNS0_19identity_decomposerENS1_16block_id_wrapperIjLb1EEEEE10hipError_tT1_PNSt15iterator_traitsISG_E10value_typeET2_T3_PNSH_ISM_E10value_typeET4_T5_PSR_SS_PNS1_23onesweep_lookback_stateEbbT6_jjT7_P12ihipStream_tbENKUlT_T0_SG_SL_E_clISA_SA_SB_SB_EEDaSZ_S10_SG_SL_EUlSZ_E_NS1_11comp_targetILNS1_3genE4ELNS1_11target_archE910ELNS1_3gpuE8ELNS1_3repE0EEENS1_47radix_sort_onesweep_sort_config_static_selectorELNS0_4arch9wavefront6targetE0EEEvSG_
		.amdhsa_group_segment_fixed_size 0
		.amdhsa_private_segment_fixed_size 0
		.amdhsa_kernarg_size 88
		.amdhsa_user_sgpr_count 2
		.amdhsa_user_sgpr_dispatch_ptr 0
		.amdhsa_user_sgpr_queue_ptr 0
		.amdhsa_user_sgpr_kernarg_segment_ptr 1
		.amdhsa_user_sgpr_dispatch_id 0
		.amdhsa_user_sgpr_kernarg_preload_length 0
		.amdhsa_user_sgpr_kernarg_preload_offset 0
		.amdhsa_user_sgpr_private_segment_size 0
		.amdhsa_wavefront_size32 1
		.amdhsa_uses_dynamic_stack 0
		.amdhsa_enable_private_segment 0
		.amdhsa_system_sgpr_workgroup_id_x 1
		.amdhsa_system_sgpr_workgroup_id_y 0
		.amdhsa_system_sgpr_workgroup_id_z 0
		.amdhsa_system_sgpr_workgroup_info 0
		.amdhsa_system_vgpr_workitem_id 0
		.amdhsa_next_free_vgpr 1
		.amdhsa_next_free_sgpr 1
		.amdhsa_named_barrier_count 0
		.amdhsa_reserve_vcc 0
		.amdhsa_float_round_mode_32 0
		.amdhsa_float_round_mode_16_64 0
		.amdhsa_float_denorm_mode_32 3
		.amdhsa_float_denorm_mode_16_64 3
		.amdhsa_fp16_overflow 0
		.amdhsa_memory_ordered 1
		.amdhsa_forward_progress 1
		.amdhsa_inst_pref_size 0
		.amdhsa_round_robin_scheduling 0
		.amdhsa_exception_fp_ieee_invalid_op 0
		.amdhsa_exception_fp_denorm_src 0
		.amdhsa_exception_fp_ieee_div_zero 0
		.amdhsa_exception_fp_ieee_overflow 0
		.amdhsa_exception_fp_ieee_underflow 0
		.amdhsa_exception_fp_ieee_inexact 0
		.amdhsa_exception_int_div_zero 0
	.end_amdhsa_kernel
	.section	.text._ZN7rocprim17ROCPRIM_400000_NS6detail17trampoline_kernelINS0_14default_configENS1_35radix_sort_onesweep_config_selectorIhNS0_10empty_typeEEEZZNS1_29radix_sort_onesweep_iterationIS3_Lb1EPKhPhPS5_SB_mNS0_19identity_decomposerENS1_16block_id_wrapperIjLb1EEEEE10hipError_tT1_PNSt15iterator_traitsISG_E10value_typeET2_T3_PNSH_ISM_E10value_typeET4_T5_PSR_SS_PNS1_23onesweep_lookback_stateEbbT6_jjT7_P12ihipStream_tbENKUlT_T0_SG_SL_E_clISA_SA_SB_SB_EEDaSZ_S10_SG_SL_EUlSZ_E_NS1_11comp_targetILNS1_3genE4ELNS1_11target_archE910ELNS1_3gpuE8ELNS1_3repE0EEENS1_47radix_sort_onesweep_sort_config_static_selectorELNS0_4arch9wavefront6targetE0EEEvSG_,"axG",@progbits,_ZN7rocprim17ROCPRIM_400000_NS6detail17trampoline_kernelINS0_14default_configENS1_35radix_sort_onesweep_config_selectorIhNS0_10empty_typeEEEZZNS1_29radix_sort_onesweep_iterationIS3_Lb1EPKhPhPS5_SB_mNS0_19identity_decomposerENS1_16block_id_wrapperIjLb1EEEEE10hipError_tT1_PNSt15iterator_traitsISG_E10value_typeET2_T3_PNSH_ISM_E10value_typeET4_T5_PSR_SS_PNS1_23onesweep_lookback_stateEbbT6_jjT7_P12ihipStream_tbENKUlT_T0_SG_SL_E_clISA_SA_SB_SB_EEDaSZ_S10_SG_SL_EUlSZ_E_NS1_11comp_targetILNS1_3genE4ELNS1_11target_archE910ELNS1_3gpuE8ELNS1_3repE0EEENS1_47radix_sort_onesweep_sort_config_static_selectorELNS0_4arch9wavefront6targetE0EEEvSG_,comdat
.Lfunc_end121:
	.size	_ZN7rocprim17ROCPRIM_400000_NS6detail17trampoline_kernelINS0_14default_configENS1_35radix_sort_onesweep_config_selectorIhNS0_10empty_typeEEEZZNS1_29radix_sort_onesweep_iterationIS3_Lb1EPKhPhPS5_SB_mNS0_19identity_decomposerENS1_16block_id_wrapperIjLb1EEEEE10hipError_tT1_PNSt15iterator_traitsISG_E10value_typeET2_T3_PNSH_ISM_E10value_typeET4_T5_PSR_SS_PNS1_23onesweep_lookback_stateEbbT6_jjT7_P12ihipStream_tbENKUlT_T0_SG_SL_E_clISA_SA_SB_SB_EEDaSZ_S10_SG_SL_EUlSZ_E_NS1_11comp_targetILNS1_3genE4ELNS1_11target_archE910ELNS1_3gpuE8ELNS1_3repE0EEENS1_47radix_sort_onesweep_sort_config_static_selectorELNS0_4arch9wavefront6targetE0EEEvSG_, .Lfunc_end121-_ZN7rocprim17ROCPRIM_400000_NS6detail17trampoline_kernelINS0_14default_configENS1_35radix_sort_onesweep_config_selectorIhNS0_10empty_typeEEEZZNS1_29radix_sort_onesweep_iterationIS3_Lb1EPKhPhPS5_SB_mNS0_19identity_decomposerENS1_16block_id_wrapperIjLb1EEEEE10hipError_tT1_PNSt15iterator_traitsISG_E10value_typeET2_T3_PNSH_ISM_E10value_typeET4_T5_PSR_SS_PNS1_23onesweep_lookback_stateEbbT6_jjT7_P12ihipStream_tbENKUlT_T0_SG_SL_E_clISA_SA_SB_SB_EEDaSZ_S10_SG_SL_EUlSZ_E_NS1_11comp_targetILNS1_3genE4ELNS1_11target_archE910ELNS1_3gpuE8ELNS1_3repE0EEENS1_47radix_sort_onesweep_sort_config_static_selectorELNS0_4arch9wavefront6targetE0EEEvSG_
                                        ; -- End function
	.set _ZN7rocprim17ROCPRIM_400000_NS6detail17trampoline_kernelINS0_14default_configENS1_35radix_sort_onesweep_config_selectorIhNS0_10empty_typeEEEZZNS1_29radix_sort_onesweep_iterationIS3_Lb1EPKhPhPS5_SB_mNS0_19identity_decomposerENS1_16block_id_wrapperIjLb1EEEEE10hipError_tT1_PNSt15iterator_traitsISG_E10value_typeET2_T3_PNSH_ISM_E10value_typeET4_T5_PSR_SS_PNS1_23onesweep_lookback_stateEbbT6_jjT7_P12ihipStream_tbENKUlT_T0_SG_SL_E_clISA_SA_SB_SB_EEDaSZ_S10_SG_SL_EUlSZ_E_NS1_11comp_targetILNS1_3genE4ELNS1_11target_archE910ELNS1_3gpuE8ELNS1_3repE0EEENS1_47radix_sort_onesweep_sort_config_static_selectorELNS0_4arch9wavefront6targetE0EEEvSG_.num_vgpr, 0
	.set _ZN7rocprim17ROCPRIM_400000_NS6detail17trampoline_kernelINS0_14default_configENS1_35radix_sort_onesweep_config_selectorIhNS0_10empty_typeEEEZZNS1_29radix_sort_onesweep_iterationIS3_Lb1EPKhPhPS5_SB_mNS0_19identity_decomposerENS1_16block_id_wrapperIjLb1EEEEE10hipError_tT1_PNSt15iterator_traitsISG_E10value_typeET2_T3_PNSH_ISM_E10value_typeET4_T5_PSR_SS_PNS1_23onesweep_lookback_stateEbbT6_jjT7_P12ihipStream_tbENKUlT_T0_SG_SL_E_clISA_SA_SB_SB_EEDaSZ_S10_SG_SL_EUlSZ_E_NS1_11comp_targetILNS1_3genE4ELNS1_11target_archE910ELNS1_3gpuE8ELNS1_3repE0EEENS1_47radix_sort_onesweep_sort_config_static_selectorELNS0_4arch9wavefront6targetE0EEEvSG_.num_agpr, 0
	.set _ZN7rocprim17ROCPRIM_400000_NS6detail17trampoline_kernelINS0_14default_configENS1_35radix_sort_onesweep_config_selectorIhNS0_10empty_typeEEEZZNS1_29radix_sort_onesweep_iterationIS3_Lb1EPKhPhPS5_SB_mNS0_19identity_decomposerENS1_16block_id_wrapperIjLb1EEEEE10hipError_tT1_PNSt15iterator_traitsISG_E10value_typeET2_T3_PNSH_ISM_E10value_typeET4_T5_PSR_SS_PNS1_23onesweep_lookback_stateEbbT6_jjT7_P12ihipStream_tbENKUlT_T0_SG_SL_E_clISA_SA_SB_SB_EEDaSZ_S10_SG_SL_EUlSZ_E_NS1_11comp_targetILNS1_3genE4ELNS1_11target_archE910ELNS1_3gpuE8ELNS1_3repE0EEENS1_47radix_sort_onesweep_sort_config_static_selectorELNS0_4arch9wavefront6targetE0EEEvSG_.numbered_sgpr, 0
	.set _ZN7rocprim17ROCPRIM_400000_NS6detail17trampoline_kernelINS0_14default_configENS1_35radix_sort_onesweep_config_selectorIhNS0_10empty_typeEEEZZNS1_29radix_sort_onesweep_iterationIS3_Lb1EPKhPhPS5_SB_mNS0_19identity_decomposerENS1_16block_id_wrapperIjLb1EEEEE10hipError_tT1_PNSt15iterator_traitsISG_E10value_typeET2_T3_PNSH_ISM_E10value_typeET4_T5_PSR_SS_PNS1_23onesweep_lookback_stateEbbT6_jjT7_P12ihipStream_tbENKUlT_T0_SG_SL_E_clISA_SA_SB_SB_EEDaSZ_S10_SG_SL_EUlSZ_E_NS1_11comp_targetILNS1_3genE4ELNS1_11target_archE910ELNS1_3gpuE8ELNS1_3repE0EEENS1_47radix_sort_onesweep_sort_config_static_selectorELNS0_4arch9wavefront6targetE0EEEvSG_.num_named_barrier, 0
	.set _ZN7rocprim17ROCPRIM_400000_NS6detail17trampoline_kernelINS0_14default_configENS1_35radix_sort_onesweep_config_selectorIhNS0_10empty_typeEEEZZNS1_29radix_sort_onesweep_iterationIS3_Lb1EPKhPhPS5_SB_mNS0_19identity_decomposerENS1_16block_id_wrapperIjLb1EEEEE10hipError_tT1_PNSt15iterator_traitsISG_E10value_typeET2_T3_PNSH_ISM_E10value_typeET4_T5_PSR_SS_PNS1_23onesweep_lookback_stateEbbT6_jjT7_P12ihipStream_tbENKUlT_T0_SG_SL_E_clISA_SA_SB_SB_EEDaSZ_S10_SG_SL_EUlSZ_E_NS1_11comp_targetILNS1_3genE4ELNS1_11target_archE910ELNS1_3gpuE8ELNS1_3repE0EEENS1_47radix_sort_onesweep_sort_config_static_selectorELNS0_4arch9wavefront6targetE0EEEvSG_.private_seg_size, 0
	.set _ZN7rocprim17ROCPRIM_400000_NS6detail17trampoline_kernelINS0_14default_configENS1_35radix_sort_onesweep_config_selectorIhNS0_10empty_typeEEEZZNS1_29radix_sort_onesweep_iterationIS3_Lb1EPKhPhPS5_SB_mNS0_19identity_decomposerENS1_16block_id_wrapperIjLb1EEEEE10hipError_tT1_PNSt15iterator_traitsISG_E10value_typeET2_T3_PNSH_ISM_E10value_typeET4_T5_PSR_SS_PNS1_23onesweep_lookback_stateEbbT6_jjT7_P12ihipStream_tbENKUlT_T0_SG_SL_E_clISA_SA_SB_SB_EEDaSZ_S10_SG_SL_EUlSZ_E_NS1_11comp_targetILNS1_3genE4ELNS1_11target_archE910ELNS1_3gpuE8ELNS1_3repE0EEENS1_47radix_sort_onesweep_sort_config_static_selectorELNS0_4arch9wavefront6targetE0EEEvSG_.uses_vcc, 0
	.set _ZN7rocprim17ROCPRIM_400000_NS6detail17trampoline_kernelINS0_14default_configENS1_35radix_sort_onesweep_config_selectorIhNS0_10empty_typeEEEZZNS1_29radix_sort_onesweep_iterationIS3_Lb1EPKhPhPS5_SB_mNS0_19identity_decomposerENS1_16block_id_wrapperIjLb1EEEEE10hipError_tT1_PNSt15iterator_traitsISG_E10value_typeET2_T3_PNSH_ISM_E10value_typeET4_T5_PSR_SS_PNS1_23onesweep_lookback_stateEbbT6_jjT7_P12ihipStream_tbENKUlT_T0_SG_SL_E_clISA_SA_SB_SB_EEDaSZ_S10_SG_SL_EUlSZ_E_NS1_11comp_targetILNS1_3genE4ELNS1_11target_archE910ELNS1_3gpuE8ELNS1_3repE0EEENS1_47radix_sort_onesweep_sort_config_static_selectorELNS0_4arch9wavefront6targetE0EEEvSG_.uses_flat_scratch, 0
	.set _ZN7rocprim17ROCPRIM_400000_NS6detail17trampoline_kernelINS0_14default_configENS1_35radix_sort_onesweep_config_selectorIhNS0_10empty_typeEEEZZNS1_29radix_sort_onesweep_iterationIS3_Lb1EPKhPhPS5_SB_mNS0_19identity_decomposerENS1_16block_id_wrapperIjLb1EEEEE10hipError_tT1_PNSt15iterator_traitsISG_E10value_typeET2_T3_PNSH_ISM_E10value_typeET4_T5_PSR_SS_PNS1_23onesweep_lookback_stateEbbT6_jjT7_P12ihipStream_tbENKUlT_T0_SG_SL_E_clISA_SA_SB_SB_EEDaSZ_S10_SG_SL_EUlSZ_E_NS1_11comp_targetILNS1_3genE4ELNS1_11target_archE910ELNS1_3gpuE8ELNS1_3repE0EEENS1_47radix_sort_onesweep_sort_config_static_selectorELNS0_4arch9wavefront6targetE0EEEvSG_.has_dyn_sized_stack, 0
	.set _ZN7rocprim17ROCPRIM_400000_NS6detail17trampoline_kernelINS0_14default_configENS1_35radix_sort_onesweep_config_selectorIhNS0_10empty_typeEEEZZNS1_29radix_sort_onesweep_iterationIS3_Lb1EPKhPhPS5_SB_mNS0_19identity_decomposerENS1_16block_id_wrapperIjLb1EEEEE10hipError_tT1_PNSt15iterator_traitsISG_E10value_typeET2_T3_PNSH_ISM_E10value_typeET4_T5_PSR_SS_PNS1_23onesweep_lookback_stateEbbT6_jjT7_P12ihipStream_tbENKUlT_T0_SG_SL_E_clISA_SA_SB_SB_EEDaSZ_S10_SG_SL_EUlSZ_E_NS1_11comp_targetILNS1_3genE4ELNS1_11target_archE910ELNS1_3gpuE8ELNS1_3repE0EEENS1_47radix_sort_onesweep_sort_config_static_selectorELNS0_4arch9wavefront6targetE0EEEvSG_.has_recursion, 0
	.set _ZN7rocprim17ROCPRIM_400000_NS6detail17trampoline_kernelINS0_14default_configENS1_35radix_sort_onesweep_config_selectorIhNS0_10empty_typeEEEZZNS1_29radix_sort_onesweep_iterationIS3_Lb1EPKhPhPS5_SB_mNS0_19identity_decomposerENS1_16block_id_wrapperIjLb1EEEEE10hipError_tT1_PNSt15iterator_traitsISG_E10value_typeET2_T3_PNSH_ISM_E10value_typeET4_T5_PSR_SS_PNS1_23onesweep_lookback_stateEbbT6_jjT7_P12ihipStream_tbENKUlT_T0_SG_SL_E_clISA_SA_SB_SB_EEDaSZ_S10_SG_SL_EUlSZ_E_NS1_11comp_targetILNS1_3genE4ELNS1_11target_archE910ELNS1_3gpuE8ELNS1_3repE0EEENS1_47radix_sort_onesweep_sort_config_static_selectorELNS0_4arch9wavefront6targetE0EEEvSG_.has_indirect_call, 0
	.section	.AMDGPU.csdata,"",@progbits
; Kernel info:
; codeLenInByte = 0
; TotalNumSgprs: 0
; NumVgprs: 0
; ScratchSize: 0
; MemoryBound: 0
; FloatMode: 240
; IeeeMode: 1
; LDSByteSize: 0 bytes/workgroup (compile time only)
; SGPRBlocks: 0
; VGPRBlocks: 0
; NumSGPRsForWavesPerEU: 1
; NumVGPRsForWavesPerEU: 1
; NamedBarCnt: 0
; Occupancy: 16
; WaveLimiterHint : 0
; COMPUTE_PGM_RSRC2:SCRATCH_EN: 0
; COMPUTE_PGM_RSRC2:USER_SGPR: 2
; COMPUTE_PGM_RSRC2:TRAP_HANDLER: 0
; COMPUTE_PGM_RSRC2:TGID_X_EN: 1
; COMPUTE_PGM_RSRC2:TGID_Y_EN: 0
; COMPUTE_PGM_RSRC2:TGID_Z_EN: 0
; COMPUTE_PGM_RSRC2:TIDIG_COMP_CNT: 0
	.section	.text._ZN7rocprim17ROCPRIM_400000_NS6detail17trampoline_kernelINS0_14default_configENS1_35radix_sort_onesweep_config_selectorIhNS0_10empty_typeEEEZZNS1_29radix_sort_onesweep_iterationIS3_Lb1EPKhPhPS5_SB_mNS0_19identity_decomposerENS1_16block_id_wrapperIjLb1EEEEE10hipError_tT1_PNSt15iterator_traitsISG_E10value_typeET2_T3_PNSH_ISM_E10value_typeET4_T5_PSR_SS_PNS1_23onesweep_lookback_stateEbbT6_jjT7_P12ihipStream_tbENKUlT_T0_SG_SL_E_clISA_SA_SB_SB_EEDaSZ_S10_SG_SL_EUlSZ_E_NS1_11comp_targetILNS1_3genE3ELNS1_11target_archE908ELNS1_3gpuE7ELNS1_3repE0EEENS1_47radix_sort_onesweep_sort_config_static_selectorELNS0_4arch9wavefront6targetE0EEEvSG_,"axG",@progbits,_ZN7rocprim17ROCPRIM_400000_NS6detail17trampoline_kernelINS0_14default_configENS1_35radix_sort_onesweep_config_selectorIhNS0_10empty_typeEEEZZNS1_29radix_sort_onesweep_iterationIS3_Lb1EPKhPhPS5_SB_mNS0_19identity_decomposerENS1_16block_id_wrapperIjLb1EEEEE10hipError_tT1_PNSt15iterator_traitsISG_E10value_typeET2_T3_PNSH_ISM_E10value_typeET4_T5_PSR_SS_PNS1_23onesweep_lookback_stateEbbT6_jjT7_P12ihipStream_tbENKUlT_T0_SG_SL_E_clISA_SA_SB_SB_EEDaSZ_S10_SG_SL_EUlSZ_E_NS1_11comp_targetILNS1_3genE3ELNS1_11target_archE908ELNS1_3gpuE7ELNS1_3repE0EEENS1_47radix_sort_onesweep_sort_config_static_selectorELNS0_4arch9wavefront6targetE0EEEvSG_,comdat
	.protected	_ZN7rocprim17ROCPRIM_400000_NS6detail17trampoline_kernelINS0_14default_configENS1_35radix_sort_onesweep_config_selectorIhNS0_10empty_typeEEEZZNS1_29radix_sort_onesweep_iterationIS3_Lb1EPKhPhPS5_SB_mNS0_19identity_decomposerENS1_16block_id_wrapperIjLb1EEEEE10hipError_tT1_PNSt15iterator_traitsISG_E10value_typeET2_T3_PNSH_ISM_E10value_typeET4_T5_PSR_SS_PNS1_23onesweep_lookback_stateEbbT6_jjT7_P12ihipStream_tbENKUlT_T0_SG_SL_E_clISA_SA_SB_SB_EEDaSZ_S10_SG_SL_EUlSZ_E_NS1_11comp_targetILNS1_3genE3ELNS1_11target_archE908ELNS1_3gpuE7ELNS1_3repE0EEENS1_47radix_sort_onesweep_sort_config_static_selectorELNS0_4arch9wavefront6targetE0EEEvSG_ ; -- Begin function _ZN7rocprim17ROCPRIM_400000_NS6detail17trampoline_kernelINS0_14default_configENS1_35radix_sort_onesweep_config_selectorIhNS0_10empty_typeEEEZZNS1_29radix_sort_onesweep_iterationIS3_Lb1EPKhPhPS5_SB_mNS0_19identity_decomposerENS1_16block_id_wrapperIjLb1EEEEE10hipError_tT1_PNSt15iterator_traitsISG_E10value_typeET2_T3_PNSH_ISM_E10value_typeET4_T5_PSR_SS_PNS1_23onesweep_lookback_stateEbbT6_jjT7_P12ihipStream_tbENKUlT_T0_SG_SL_E_clISA_SA_SB_SB_EEDaSZ_S10_SG_SL_EUlSZ_E_NS1_11comp_targetILNS1_3genE3ELNS1_11target_archE908ELNS1_3gpuE7ELNS1_3repE0EEENS1_47radix_sort_onesweep_sort_config_static_selectorELNS0_4arch9wavefront6targetE0EEEvSG_
	.globl	_ZN7rocprim17ROCPRIM_400000_NS6detail17trampoline_kernelINS0_14default_configENS1_35radix_sort_onesweep_config_selectorIhNS0_10empty_typeEEEZZNS1_29radix_sort_onesweep_iterationIS3_Lb1EPKhPhPS5_SB_mNS0_19identity_decomposerENS1_16block_id_wrapperIjLb1EEEEE10hipError_tT1_PNSt15iterator_traitsISG_E10value_typeET2_T3_PNSH_ISM_E10value_typeET4_T5_PSR_SS_PNS1_23onesweep_lookback_stateEbbT6_jjT7_P12ihipStream_tbENKUlT_T0_SG_SL_E_clISA_SA_SB_SB_EEDaSZ_S10_SG_SL_EUlSZ_E_NS1_11comp_targetILNS1_3genE3ELNS1_11target_archE908ELNS1_3gpuE7ELNS1_3repE0EEENS1_47radix_sort_onesweep_sort_config_static_selectorELNS0_4arch9wavefront6targetE0EEEvSG_
	.p2align	8
	.type	_ZN7rocprim17ROCPRIM_400000_NS6detail17trampoline_kernelINS0_14default_configENS1_35radix_sort_onesweep_config_selectorIhNS0_10empty_typeEEEZZNS1_29radix_sort_onesweep_iterationIS3_Lb1EPKhPhPS5_SB_mNS0_19identity_decomposerENS1_16block_id_wrapperIjLb1EEEEE10hipError_tT1_PNSt15iterator_traitsISG_E10value_typeET2_T3_PNSH_ISM_E10value_typeET4_T5_PSR_SS_PNS1_23onesweep_lookback_stateEbbT6_jjT7_P12ihipStream_tbENKUlT_T0_SG_SL_E_clISA_SA_SB_SB_EEDaSZ_S10_SG_SL_EUlSZ_E_NS1_11comp_targetILNS1_3genE3ELNS1_11target_archE908ELNS1_3gpuE7ELNS1_3repE0EEENS1_47radix_sort_onesweep_sort_config_static_selectorELNS0_4arch9wavefront6targetE0EEEvSG_,@function
_ZN7rocprim17ROCPRIM_400000_NS6detail17trampoline_kernelINS0_14default_configENS1_35radix_sort_onesweep_config_selectorIhNS0_10empty_typeEEEZZNS1_29radix_sort_onesweep_iterationIS3_Lb1EPKhPhPS5_SB_mNS0_19identity_decomposerENS1_16block_id_wrapperIjLb1EEEEE10hipError_tT1_PNSt15iterator_traitsISG_E10value_typeET2_T3_PNSH_ISM_E10value_typeET4_T5_PSR_SS_PNS1_23onesweep_lookback_stateEbbT6_jjT7_P12ihipStream_tbENKUlT_T0_SG_SL_E_clISA_SA_SB_SB_EEDaSZ_S10_SG_SL_EUlSZ_E_NS1_11comp_targetILNS1_3genE3ELNS1_11target_archE908ELNS1_3gpuE7ELNS1_3repE0EEENS1_47radix_sort_onesweep_sort_config_static_selectorELNS0_4arch9wavefront6targetE0EEEvSG_: ; @_ZN7rocprim17ROCPRIM_400000_NS6detail17trampoline_kernelINS0_14default_configENS1_35radix_sort_onesweep_config_selectorIhNS0_10empty_typeEEEZZNS1_29radix_sort_onesweep_iterationIS3_Lb1EPKhPhPS5_SB_mNS0_19identity_decomposerENS1_16block_id_wrapperIjLb1EEEEE10hipError_tT1_PNSt15iterator_traitsISG_E10value_typeET2_T3_PNSH_ISM_E10value_typeET4_T5_PSR_SS_PNS1_23onesweep_lookback_stateEbbT6_jjT7_P12ihipStream_tbENKUlT_T0_SG_SL_E_clISA_SA_SB_SB_EEDaSZ_S10_SG_SL_EUlSZ_E_NS1_11comp_targetILNS1_3genE3ELNS1_11target_archE908ELNS1_3gpuE7ELNS1_3repE0EEENS1_47radix_sort_onesweep_sort_config_static_selectorELNS0_4arch9wavefront6targetE0EEEvSG_
; %bb.0:
	.section	.rodata,"a",@progbits
	.p2align	6, 0x0
	.amdhsa_kernel _ZN7rocprim17ROCPRIM_400000_NS6detail17trampoline_kernelINS0_14default_configENS1_35radix_sort_onesweep_config_selectorIhNS0_10empty_typeEEEZZNS1_29radix_sort_onesweep_iterationIS3_Lb1EPKhPhPS5_SB_mNS0_19identity_decomposerENS1_16block_id_wrapperIjLb1EEEEE10hipError_tT1_PNSt15iterator_traitsISG_E10value_typeET2_T3_PNSH_ISM_E10value_typeET4_T5_PSR_SS_PNS1_23onesweep_lookback_stateEbbT6_jjT7_P12ihipStream_tbENKUlT_T0_SG_SL_E_clISA_SA_SB_SB_EEDaSZ_S10_SG_SL_EUlSZ_E_NS1_11comp_targetILNS1_3genE3ELNS1_11target_archE908ELNS1_3gpuE7ELNS1_3repE0EEENS1_47radix_sort_onesweep_sort_config_static_selectorELNS0_4arch9wavefront6targetE0EEEvSG_
		.amdhsa_group_segment_fixed_size 0
		.amdhsa_private_segment_fixed_size 0
		.amdhsa_kernarg_size 88
		.amdhsa_user_sgpr_count 2
		.amdhsa_user_sgpr_dispatch_ptr 0
		.amdhsa_user_sgpr_queue_ptr 0
		.amdhsa_user_sgpr_kernarg_segment_ptr 1
		.amdhsa_user_sgpr_dispatch_id 0
		.amdhsa_user_sgpr_kernarg_preload_length 0
		.amdhsa_user_sgpr_kernarg_preload_offset 0
		.amdhsa_user_sgpr_private_segment_size 0
		.amdhsa_wavefront_size32 1
		.amdhsa_uses_dynamic_stack 0
		.amdhsa_enable_private_segment 0
		.amdhsa_system_sgpr_workgroup_id_x 1
		.amdhsa_system_sgpr_workgroup_id_y 0
		.amdhsa_system_sgpr_workgroup_id_z 0
		.amdhsa_system_sgpr_workgroup_info 0
		.amdhsa_system_vgpr_workitem_id 0
		.amdhsa_next_free_vgpr 1
		.amdhsa_next_free_sgpr 1
		.amdhsa_named_barrier_count 0
		.amdhsa_reserve_vcc 0
		.amdhsa_float_round_mode_32 0
		.amdhsa_float_round_mode_16_64 0
		.amdhsa_float_denorm_mode_32 3
		.amdhsa_float_denorm_mode_16_64 3
		.amdhsa_fp16_overflow 0
		.amdhsa_memory_ordered 1
		.amdhsa_forward_progress 1
		.amdhsa_inst_pref_size 0
		.amdhsa_round_robin_scheduling 0
		.amdhsa_exception_fp_ieee_invalid_op 0
		.amdhsa_exception_fp_denorm_src 0
		.amdhsa_exception_fp_ieee_div_zero 0
		.amdhsa_exception_fp_ieee_overflow 0
		.amdhsa_exception_fp_ieee_underflow 0
		.amdhsa_exception_fp_ieee_inexact 0
		.amdhsa_exception_int_div_zero 0
	.end_amdhsa_kernel
	.section	.text._ZN7rocprim17ROCPRIM_400000_NS6detail17trampoline_kernelINS0_14default_configENS1_35radix_sort_onesweep_config_selectorIhNS0_10empty_typeEEEZZNS1_29radix_sort_onesweep_iterationIS3_Lb1EPKhPhPS5_SB_mNS0_19identity_decomposerENS1_16block_id_wrapperIjLb1EEEEE10hipError_tT1_PNSt15iterator_traitsISG_E10value_typeET2_T3_PNSH_ISM_E10value_typeET4_T5_PSR_SS_PNS1_23onesweep_lookback_stateEbbT6_jjT7_P12ihipStream_tbENKUlT_T0_SG_SL_E_clISA_SA_SB_SB_EEDaSZ_S10_SG_SL_EUlSZ_E_NS1_11comp_targetILNS1_3genE3ELNS1_11target_archE908ELNS1_3gpuE7ELNS1_3repE0EEENS1_47radix_sort_onesweep_sort_config_static_selectorELNS0_4arch9wavefront6targetE0EEEvSG_,"axG",@progbits,_ZN7rocprim17ROCPRIM_400000_NS6detail17trampoline_kernelINS0_14default_configENS1_35radix_sort_onesweep_config_selectorIhNS0_10empty_typeEEEZZNS1_29radix_sort_onesweep_iterationIS3_Lb1EPKhPhPS5_SB_mNS0_19identity_decomposerENS1_16block_id_wrapperIjLb1EEEEE10hipError_tT1_PNSt15iterator_traitsISG_E10value_typeET2_T3_PNSH_ISM_E10value_typeET4_T5_PSR_SS_PNS1_23onesweep_lookback_stateEbbT6_jjT7_P12ihipStream_tbENKUlT_T0_SG_SL_E_clISA_SA_SB_SB_EEDaSZ_S10_SG_SL_EUlSZ_E_NS1_11comp_targetILNS1_3genE3ELNS1_11target_archE908ELNS1_3gpuE7ELNS1_3repE0EEENS1_47radix_sort_onesweep_sort_config_static_selectorELNS0_4arch9wavefront6targetE0EEEvSG_,comdat
.Lfunc_end122:
	.size	_ZN7rocprim17ROCPRIM_400000_NS6detail17trampoline_kernelINS0_14default_configENS1_35radix_sort_onesweep_config_selectorIhNS0_10empty_typeEEEZZNS1_29radix_sort_onesweep_iterationIS3_Lb1EPKhPhPS5_SB_mNS0_19identity_decomposerENS1_16block_id_wrapperIjLb1EEEEE10hipError_tT1_PNSt15iterator_traitsISG_E10value_typeET2_T3_PNSH_ISM_E10value_typeET4_T5_PSR_SS_PNS1_23onesweep_lookback_stateEbbT6_jjT7_P12ihipStream_tbENKUlT_T0_SG_SL_E_clISA_SA_SB_SB_EEDaSZ_S10_SG_SL_EUlSZ_E_NS1_11comp_targetILNS1_3genE3ELNS1_11target_archE908ELNS1_3gpuE7ELNS1_3repE0EEENS1_47radix_sort_onesweep_sort_config_static_selectorELNS0_4arch9wavefront6targetE0EEEvSG_, .Lfunc_end122-_ZN7rocprim17ROCPRIM_400000_NS6detail17trampoline_kernelINS0_14default_configENS1_35radix_sort_onesweep_config_selectorIhNS0_10empty_typeEEEZZNS1_29radix_sort_onesweep_iterationIS3_Lb1EPKhPhPS5_SB_mNS0_19identity_decomposerENS1_16block_id_wrapperIjLb1EEEEE10hipError_tT1_PNSt15iterator_traitsISG_E10value_typeET2_T3_PNSH_ISM_E10value_typeET4_T5_PSR_SS_PNS1_23onesweep_lookback_stateEbbT6_jjT7_P12ihipStream_tbENKUlT_T0_SG_SL_E_clISA_SA_SB_SB_EEDaSZ_S10_SG_SL_EUlSZ_E_NS1_11comp_targetILNS1_3genE3ELNS1_11target_archE908ELNS1_3gpuE7ELNS1_3repE0EEENS1_47radix_sort_onesweep_sort_config_static_selectorELNS0_4arch9wavefront6targetE0EEEvSG_
                                        ; -- End function
	.set _ZN7rocprim17ROCPRIM_400000_NS6detail17trampoline_kernelINS0_14default_configENS1_35radix_sort_onesweep_config_selectorIhNS0_10empty_typeEEEZZNS1_29radix_sort_onesweep_iterationIS3_Lb1EPKhPhPS5_SB_mNS0_19identity_decomposerENS1_16block_id_wrapperIjLb1EEEEE10hipError_tT1_PNSt15iterator_traitsISG_E10value_typeET2_T3_PNSH_ISM_E10value_typeET4_T5_PSR_SS_PNS1_23onesweep_lookback_stateEbbT6_jjT7_P12ihipStream_tbENKUlT_T0_SG_SL_E_clISA_SA_SB_SB_EEDaSZ_S10_SG_SL_EUlSZ_E_NS1_11comp_targetILNS1_3genE3ELNS1_11target_archE908ELNS1_3gpuE7ELNS1_3repE0EEENS1_47radix_sort_onesweep_sort_config_static_selectorELNS0_4arch9wavefront6targetE0EEEvSG_.num_vgpr, 0
	.set _ZN7rocprim17ROCPRIM_400000_NS6detail17trampoline_kernelINS0_14default_configENS1_35radix_sort_onesweep_config_selectorIhNS0_10empty_typeEEEZZNS1_29radix_sort_onesweep_iterationIS3_Lb1EPKhPhPS5_SB_mNS0_19identity_decomposerENS1_16block_id_wrapperIjLb1EEEEE10hipError_tT1_PNSt15iterator_traitsISG_E10value_typeET2_T3_PNSH_ISM_E10value_typeET4_T5_PSR_SS_PNS1_23onesweep_lookback_stateEbbT6_jjT7_P12ihipStream_tbENKUlT_T0_SG_SL_E_clISA_SA_SB_SB_EEDaSZ_S10_SG_SL_EUlSZ_E_NS1_11comp_targetILNS1_3genE3ELNS1_11target_archE908ELNS1_3gpuE7ELNS1_3repE0EEENS1_47radix_sort_onesweep_sort_config_static_selectorELNS0_4arch9wavefront6targetE0EEEvSG_.num_agpr, 0
	.set _ZN7rocprim17ROCPRIM_400000_NS6detail17trampoline_kernelINS0_14default_configENS1_35radix_sort_onesweep_config_selectorIhNS0_10empty_typeEEEZZNS1_29radix_sort_onesweep_iterationIS3_Lb1EPKhPhPS5_SB_mNS0_19identity_decomposerENS1_16block_id_wrapperIjLb1EEEEE10hipError_tT1_PNSt15iterator_traitsISG_E10value_typeET2_T3_PNSH_ISM_E10value_typeET4_T5_PSR_SS_PNS1_23onesweep_lookback_stateEbbT6_jjT7_P12ihipStream_tbENKUlT_T0_SG_SL_E_clISA_SA_SB_SB_EEDaSZ_S10_SG_SL_EUlSZ_E_NS1_11comp_targetILNS1_3genE3ELNS1_11target_archE908ELNS1_3gpuE7ELNS1_3repE0EEENS1_47radix_sort_onesweep_sort_config_static_selectorELNS0_4arch9wavefront6targetE0EEEvSG_.numbered_sgpr, 0
	.set _ZN7rocprim17ROCPRIM_400000_NS6detail17trampoline_kernelINS0_14default_configENS1_35radix_sort_onesweep_config_selectorIhNS0_10empty_typeEEEZZNS1_29radix_sort_onesweep_iterationIS3_Lb1EPKhPhPS5_SB_mNS0_19identity_decomposerENS1_16block_id_wrapperIjLb1EEEEE10hipError_tT1_PNSt15iterator_traitsISG_E10value_typeET2_T3_PNSH_ISM_E10value_typeET4_T5_PSR_SS_PNS1_23onesweep_lookback_stateEbbT6_jjT7_P12ihipStream_tbENKUlT_T0_SG_SL_E_clISA_SA_SB_SB_EEDaSZ_S10_SG_SL_EUlSZ_E_NS1_11comp_targetILNS1_3genE3ELNS1_11target_archE908ELNS1_3gpuE7ELNS1_3repE0EEENS1_47radix_sort_onesweep_sort_config_static_selectorELNS0_4arch9wavefront6targetE0EEEvSG_.num_named_barrier, 0
	.set _ZN7rocprim17ROCPRIM_400000_NS6detail17trampoline_kernelINS0_14default_configENS1_35radix_sort_onesweep_config_selectorIhNS0_10empty_typeEEEZZNS1_29radix_sort_onesweep_iterationIS3_Lb1EPKhPhPS5_SB_mNS0_19identity_decomposerENS1_16block_id_wrapperIjLb1EEEEE10hipError_tT1_PNSt15iterator_traitsISG_E10value_typeET2_T3_PNSH_ISM_E10value_typeET4_T5_PSR_SS_PNS1_23onesweep_lookback_stateEbbT6_jjT7_P12ihipStream_tbENKUlT_T0_SG_SL_E_clISA_SA_SB_SB_EEDaSZ_S10_SG_SL_EUlSZ_E_NS1_11comp_targetILNS1_3genE3ELNS1_11target_archE908ELNS1_3gpuE7ELNS1_3repE0EEENS1_47radix_sort_onesweep_sort_config_static_selectorELNS0_4arch9wavefront6targetE0EEEvSG_.private_seg_size, 0
	.set _ZN7rocprim17ROCPRIM_400000_NS6detail17trampoline_kernelINS0_14default_configENS1_35radix_sort_onesweep_config_selectorIhNS0_10empty_typeEEEZZNS1_29radix_sort_onesweep_iterationIS3_Lb1EPKhPhPS5_SB_mNS0_19identity_decomposerENS1_16block_id_wrapperIjLb1EEEEE10hipError_tT1_PNSt15iterator_traitsISG_E10value_typeET2_T3_PNSH_ISM_E10value_typeET4_T5_PSR_SS_PNS1_23onesweep_lookback_stateEbbT6_jjT7_P12ihipStream_tbENKUlT_T0_SG_SL_E_clISA_SA_SB_SB_EEDaSZ_S10_SG_SL_EUlSZ_E_NS1_11comp_targetILNS1_3genE3ELNS1_11target_archE908ELNS1_3gpuE7ELNS1_3repE0EEENS1_47radix_sort_onesweep_sort_config_static_selectorELNS0_4arch9wavefront6targetE0EEEvSG_.uses_vcc, 0
	.set _ZN7rocprim17ROCPRIM_400000_NS6detail17trampoline_kernelINS0_14default_configENS1_35radix_sort_onesweep_config_selectorIhNS0_10empty_typeEEEZZNS1_29radix_sort_onesweep_iterationIS3_Lb1EPKhPhPS5_SB_mNS0_19identity_decomposerENS1_16block_id_wrapperIjLb1EEEEE10hipError_tT1_PNSt15iterator_traitsISG_E10value_typeET2_T3_PNSH_ISM_E10value_typeET4_T5_PSR_SS_PNS1_23onesweep_lookback_stateEbbT6_jjT7_P12ihipStream_tbENKUlT_T0_SG_SL_E_clISA_SA_SB_SB_EEDaSZ_S10_SG_SL_EUlSZ_E_NS1_11comp_targetILNS1_3genE3ELNS1_11target_archE908ELNS1_3gpuE7ELNS1_3repE0EEENS1_47radix_sort_onesweep_sort_config_static_selectorELNS0_4arch9wavefront6targetE0EEEvSG_.uses_flat_scratch, 0
	.set _ZN7rocprim17ROCPRIM_400000_NS6detail17trampoline_kernelINS0_14default_configENS1_35radix_sort_onesweep_config_selectorIhNS0_10empty_typeEEEZZNS1_29radix_sort_onesweep_iterationIS3_Lb1EPKhPhPS5_SB_mNS0_19identity_decomposerENS1_16block_id_wrapperIjLb1EEEEE10hipError_tT1_PNSt15iterator_traitsISG_E10value_typeET2_T3_PNSH_ISM_E10value_typeET4_T5_PSR_SS_PNS1_23onesweep_lookback_stateEbbT6_jjT7_P12ihipStream_tbENKUlT_T0_SG_SL_E_clISA_SA_SB_SB_EEDaSZ_S10_SG_SL_EUlSZ_E_NS1_11comp_targetILNS1_3genE3ELNS1_11target_archE908ELNS1_3gpuE7ELNS1_3repE0EEENS1_47radix_sort_onesweep_sort_config_static_selectorELNS0_4arch9wavefront6targetE0EEEvSG_.has_dyn_sized_stack, 0
	.set _ZN7rocprim17ROCPRIM_400000_NS6detail17trampoline_kernelINS0_14default_configENS1_35radix_sort_onesweep_config_selectorIhNS0_10empty_typeEEEZZNS1_29radix_sort_onesweep_iterationIS3_Lb1EPKhPhPS5_SB_mNS0_19identity_decomposerENS1_16block_id_wrapperIjLb1EEEEE10hipError_tT1_PNSt15iterator_traitsISG_E10value_typeET2_T3_PNSH_ISM_E10value_typeET4_T5_PSR_SS_PNS1_23onesweep_lookback_stateEbbT6_jjT7_P12ihipStream_tbENKUlT_T0_SG_SL_E_clISA_SA_SB_SB_EEDaSZ_S10_SG_SL_EUlSZ_E_NS1_11comp_targetILNS1_3genE3ELNS1_11target_archE908ELNS1_3gpuE7ELNS1_3repE0EEENS1_47radix_sort_onesweep_sort_config_static_selectorELNS0_4arch9wavefront6targetE0EEEvSG_.has_recursion, 0
	.set _ZN7rocprim17ROCPRIM_400000_NS6detail17trampoline_kernelINS0_14default_configENS1_35radix_sort_onesweep_config_selectorIhNS0_10empty_typeEEEZZNS1_29radix_sort_onesweep_iterationIS3_Lb1EPKhPhPS5_SB_mNS0_19identity_decomposerENS1_16block_id_wrapperIjLb1EEEEE10hipError_tT1_PNSt15iterator_traitsISG_E10value_typeET2_T3_PNSH_ISM_E10value_typeET4_T5_PSR_SS_PNS1_23onesweep_lookback_stateEbbT6_jjT7_P12ihipStream_tbENKUlT_T0_SG_SL_E_clISA_SA_SB_SB_EEDaSZ_S10_SG_SL_EUlSZ_E_NS1_11comp_targetILNS1_3genE3ELNS1_11target_archE908ELNS1_3gpuE7ELNS1_3repE0EEENS1_47radix_sort_onesweep_sort_config_static_selectorELNS0_4arch9wavefront6targetE0EEEvSG_.has_indirect_call, 0
	.section	.AMDGPU.csdata,"",@progbits
; Kernel info:
; codeLenInByte = 0
; TotalNumSgprs: 0
; NumVgprs: 0
; ScratchSize: 0
; MemoryBound: 0
; FloatMode: 240
; IeeeMode: 1
; LDSByteSize: 0 bytes/workgroup (compile time only)
; SGPRBlocks: 0
; VGPRBlocks: 0
; NumSGPRsForWavesPerEU: 1
; NumVGPRsForWavesPerEU: 1
; NamedBarCnt: 0
; Occupancy: 16
; WaveLimiterHint : 0
; COMPUTE_PGM_RSRC2:SCRATCH_EN: 0
; COMPUTE_PGM_RSRC2:USER_SGPR: 2
; COMPUTE_PGM_RSRC2:TRAP_HANDLER: 0
; COMPUTE_PGM_RSRC2:TGID_X_EN: 1
; COMPUTE_PGM_RSRC2:TGID_Y_EN: 0
; COMPUTE_PGM_RSRC2:TGID_Z_EN: 0
; COMPUTE_PGM_RSRC2:TIDIG_COMP_CNT: 0
	.section	.text._ZN7rocprim17ROCPRIM_400000_NS6detail17trampoline_kernelINS0_14default_configENS1_35radix_sort_onesweep_config_selectorIhNS0_10empty_typeEEEZZNS1_29radix_sort_onesweep_iterationIS3_Lb1EPKhPhPS5_SB_mNS0_19identity_decomposerENS1_16block_id_wrapperIjLb1EEEEE10hipError_tT1_PNSt15iterator_traitsISG_E10value_typeET2_T3_PNSH_ISM_E10value_typeET4_T5_PSR_SS_PNS1_23onesweep_lookback_stateEbbT6_jjT7_P12ihipStream_tbENKUlT_T0_SG_SL_E_clISA_SA_SB_SB_EEDaSZ_S10_SG_SL_EUlSZ_E_NS1_11comp_targetILNS1_3genE10ELNS1_11target_archE1201ELNS1_3gpuE5ELNS1_3repE0EEENS1_47radix_sort_onesweep_sort_config_static_selectorELNS0_4arch9wavefront6targetE0EEEvSG_,"axG",@progbits,_ZN7rocprim17ROCPRIM_400000_NS6detail17trampoline_kernelINS0_14default_configENS1_35radix_sort_onesweep_config_selectorIhNS0_10empty_typeEEEZZNS1_29radix_sort_onesweep_iterationIS3_Lb1EPKhPhPS5_SB_mNS0_19identity_decomposerENS1_16block_id_wrapperIjLb1EEEEE10hipError_tT1_PNSt15iterator_traitsISG_E10value_typeET2_T3_PNSH_ISM_E10value_typeET4_T5_PSR_SS_PNS1_23onesweep_lookback_stateEbbT6_jjT7_P12ihipStream_tbENKUlT_T0_SG_SL_E_clISA_SA_SB_SB_EEDaSZ_S10_SG_SL_EUlSZ_E_NS1_11comp_targetILNS1_3genE10ELNS1_11target_archE1201ELNS1_3gpuE5ELNS1_3repE0EEENS1_47radix_sort_onesweep_sort_config_static_selectorELNS0_4arch9wavefront6targetE0EEEvSG_,comdat
	.protected	_ZN7rocprim17ROCPRIM_400000_NS6detail17trampoline_kernelINS0_14default_configENS1_35radix_sort_onesweep_config_selectorIhNS0_10empty_typeEEEZZNS1_29radix_sort_onesweep_iterationIS3_Lb1EPKhPhPS5_SB_mNS0_19identity_decomposerENS1_16block_id_wrapperIjLb1EEEEE10hipError_tT1_PNSt15iterator_traitsISG_E10value_typeET2_T3_PNSH_ISM_E10value_typeET4_T5_PSR_SS_PNS1_23onesweep_lookback_stateEbbT6_jjT7_P12ihipStream_tbENKUlT_T0_SG_SL_E_clISA_SA_SB_SB_EEDaSZ_S10_SG_SL_EUlSZ_E_NS1_11comp_targetILNS1_3genE10ELNS1_11target_archE1201ELNS1_3gpuE5ELNS1_3repE0EEENS1_47radix_sort_onesweep_sort_config_static_selectorELNS0_4arch9wavefront6targetE0EEEvSG_ ; -- Begin function _ZN7rocprim17ROCPRIM_400000_NS6detail17trampoline_kernelINS0_14default_configENS1_35radix_sort_onesweep_config_selectorIhNS0_10empty_typeEEEZZNS1_29radix_sort_onesweep_iterationIS3_Lb1EPKhPhPS5_SB_mNS0_19identity_decomposerENS1_16block_id_wrapperIjLb1EEEEE10hipError_tT1_PNSt15iterator_traitsISG_E10value_typeET2_T3_PNSH_ISM_E10value_typeET4_T5_PSR_SS_PNS1_23onesweep_lookback_stateEbbT6_jjT7_P12ihipStream_tbENKUlT_T0_SG_SL_E_clISA_SA_SB_SB_EEDaSZ_S10_SG_SL_EUlSZ_E_NS1_11comp_targetILNS1_3genE10ELNS1_11target_archE1201ELNS1_3gpuE5ELNS1_3repE0EEENS1_47radix_sort_onesweep_sort_config_static_selectorELNS0_4arch9wavefront6targetE0EEEvSG_
	.globl	_ZN7rocprim17ROCPRIM_400000_NS6detail17trampoline_kernelINS0_14default_configENS1_35radix_sort_onesweep_config_selectorIhNS0_10empty_typeEEEZZNS1_29radix_sort_onesweep_iterationIS3_Lb1EPKhPhPS5_SB_mNS0_19identity_decomposerENS1_16block_id_wrapperIjLb1EEEEE10hipError_tT1_PNSt15iterator_traitsISG_E10value_typeET2_T3_PNSH_ISM_E10value_typeET4_T5_PSR_SS_PNS1_23onesweep_lookback_stateEbbT6_jjT7_P12ihipStream_tbENKUlT_T0_SG_SL_E_clISA_SA_SB_SB_EEDaSZ_S10_SG_SL_EUlSZ_E_NS1_11comp_targetILNS1_3genE10ELNS1_11target_archE1201ELNS1_3gpuE5ELNS1_3repE0EEENS1_47radix_sort_onesweep_sort_config_static_selectorELNS0_4arch9wavefront6targetE0EEEvSG_
	.p2align	8
	.type	_ZN7rocprim17ROCPRIM_400000_NS6detail17trampoline_kernelINS0_14default_configENS1_35radix_sort_onesweep_config_selectorIhNS0_10empty_typeEEEZZNS1_29radix_sort_onesweep_iterationIS3_Lb1EPKhPhPS5_SB_mNS0_19identity_decomposerENS1_16block_id_wrapperIjLb1EEEEE10hipError_tT1_PNSt15iterator_traitsISG_E10value_typeET2_T3_PNSH_ISM_E10value_typeET4_T5_PSR_SS_PNS1_23onesweep_lookback_stateEbbT6_jjT7_P12ihipStream_tbENKUlT_T0_SG_SL_E_clISA_SA_SB_SB_EEDaSZ_S10_SG_SL_EUlSZ_E_NS1_11comp_targetILNS1_3genE10ELNS1_11target_archE1201ELNS1_3gpuE5ELNS1_3repE0EEENS1_47radix_sort_onesweep_sort_config_static_selectorELNS0_4arch9wavefront6targetE0EEEvSG_,@function
_ZN7rocprim17ROCPRIM_400000_NS6detail17trampoline_kernelINS0_14default_configENS1_35radix_sort_onesweep_config_selectorIhNS0_10empty_typeEEEZZNS1_29radix_sort_onesweep_iterationIS3_Lb1EPKhPhPS5_SB_mNS0_19identity_decomposerENS1_16block_id_wrapperIjLb1EEEEE10hipError_tT1_PNSt15iterator_traitsISG_E10value_typeET2_T3_PNSH_ISM_E10value_typeET4_T5_PSR_SS_PNS1_23onesweep_lookback_stateEbbT6_jjT7_P12ihipStream_tbENKUlT_T0_SG_SL_E_clISA_SA_SB_SB_EEDaSZ_S10_SG_SL_EUlSZ_E_NS1_11comp_targetILNS1_3genE10ELNS1_11target_archE1201ELNS1_3gpuE5ELNS1_3repE0EEENS1_47radix_sort_onesweep_sort_config_static_selectorELNS0_4arch9wavefront6targetE0EEEvSG_: ; @_ZN7rocprim17ROCPRIM_400000_NS6detail17trampoline_kernelINS0_14default_configENS1_35radix_sort_onesweep_config_selectorIhNS0_10empty_typeEEEZZNS1_29radix_sort_onesweep_iterationIS3_Lb1EPKhPhPS5_SB_mNS0_19identity_decomposerENS1_16block_id_wrapperIjLb1EEEEE10hipError_tT1_PNSt15iterator_traitsISG_E10value_typeET2_T3_PNSH_ISM_E10value_typeET4_T5_PSR_SS_PNS1_23onesweep_lookback_stateEbbT6_jjT7_P12ihipStream_tbENKUlT_T0_SG_SL_E_clISA_SA_SB_SB_EEDaSZ_S10_SG_SL_EUlSZ_E_NS1_11comp_targetILNS1_3genE10ELNS1_11target_archE1201ELNS1_3gpuE5ELNS1_3repE0EEENS1_47radix_sort_onesweep_sort_config_static_selectorELNS0_4arch9wavefront6targetE0EEEvSG_
; %bb.0:
	.section	.rodata,"a",@progbits
	.p2align	6, 0x0
	.amdhsa_kernel _ZN7rocprim17ROCPRIM_400000_NS6detail17trampoline_kernelINS0_14default_configENS1_35radix_sort_onesweep_config_selectorIhNS0_10empty_typeEEEZZNS1_29radix_sort_onesweep_iterationIS3_Lb1EPKhPhPS5_SB_mNS0_19identity_decomposerENS1_16block_id_wrapperIjLb1EEEEE10hipError_tT1_PNSt15iterator_traitsISG_E10value_typeET2_T3_PNSH_ISM_E10value_typeET4_T5_PSR_SS_PNS1_23onesweep_lookback_stateEbbT6_jjT7_P12ihipStream_tbENKUlT_T0_SG_SL_E_clISA_SA_SB_SB_EEDaSZ_S10_SG_SL_EUlSZ_E_NS1_11comp_targetILNS1_3genE10ELNS1_11target_archE1201ELNS1_3gpuE5ELNS1_3repE0EEENS1_47radix_sort_onesweep_sort_config_static_selectorELNS0_4arch9wavefront6targetE0EEEvSG_
		.amdhsa_group_segment_fixed_size 0
		.amdhsa_private_segment_fixed_size 0
		.amdhsa_kernarg_size 88
		.amdhsa_user_sgpr_count 2
		.amdhsa_user_sgpr_dispatch_ptr 0
		.amdhsa_user_sgpr_queue_ptr 0
		.amdhsa_user_sgpr_kernarg_segment_ptr 1
		.amdhsa_user_sgpr_dispatch_id 0
		.amdhsa_user_sgpr_kernarg_preload_length 0
		.amdhsa_user_sgpr_kernarg_preload_offset 0
		.amdhsa_user_sgpr_private_segment_size 0
		.amdhsa_wavefront_size32 1
		.amdhsa_uses_dynamic_stack 0
		.amdhsa_enable_private_segment 0
		.amdhsa_system_sgpr_workgroup_id_x 1
		.amdhsa_system_sgpr_workgroup_id_y 0
		.amdhsa_system_sgpr_workgroup_id_z 0
		.amdhsa_system_sgpr_workgroup_info 0
		.amdhsa_system_vgpr_workitem_id 0
		.amdhsa_next_free_vgpr 1
		.amdhsa_next_free_sgpr 1
		.amdhsa_named_barrier_count 0
		.amdhsa_reserve_vcc 0
		.amdhsa_float_round_mode_32 0
		.amdhsa_float_round_mode_16_64 0
		.amdhsa_float_denorm_mode_32 3
		.amdhsa_float_denorm_mode_16_64 3
		.amdhsa_fp16_overflow 0
		.amdhsa_memory_ordered 1
		.amdhsa_forward_progress 1
		.amdhsa_inst_pref_size 0
		.amdhsa_round_robin_scheduling 0
		.amdhsa_exception_fp_ieee_invalid_op 0
		.amdhsa_exception_fp_denorm_src 0
		.amdhsa_exception_fp_ieee_div_zero 0
		.amdhsa_exception_fp_ieee_overflow 0
		.amdhsa_exception_fp_ieee_underflow 0
		.amdhsa_exception_fp_ieee_inexact 0
		.amdhsa_exception_int_div_zero 0
	.end_amdhsa_kernel
	.section	.text._ZN7rocprim17ROCPRIM_400000_NS6detail17trampoline_kernelINS0_14default_configENS1_35radix_sort_onesweep_config_selectorIhNS0_10empty_typeEEEZZNS1_29radix_sort_onesweep_iterationIS3_Lb1EPKhPhPS5_SB_mNS0_19identity_decomposerENS1_16block_id_wrapperIjLb1EEEEE10hipError_tT1_PNSt15iterator_traitsISG_E10value_typeET2_T3_PNSH_ISM_E10value_typeET4_T5_PSR_SS_PNS1_23onesweep_lookback_stateEbbT6_jjT7_P12ihipStream_tbENKUlT_T0_SG_SL_E_clISA_SA_SB_SB_EEDaSZ_S10_SG_SL_EUlSZ_E_NS1_11comp_targetILNS1_3genE10ELNS1_11target_archE1201ELNS1_3gpuE5ELNS1_3repE0EEENS1_47radix_sort_onesweep_sort_config_static_selectorELNS0_4arch9wavefront6targetE0EEEvSG_,"axG",@progbits,_ZN7rocprim17ROCPRIM_400000_NS6detail17trampoline_kernelINS0_14default_configENS1_35radix_sort_onesweep_config_selectorIhNS0_10empty_typeEEEZZNS1_29radix_sort_onesweep_iterationIS3_Lb1EPKhPhPS5_SB_mNS0_19identity_decomposerENS1_16block_id_wrapperIjLb1EEEEE10hipError_tT1_PNSt15iterator_traitsISG_E10value_typeET2_T3_PNSH_ISM_E10value_typeET4_T5_PSR_SS_PNS1_23onesweep_lookback_stateEbbT6_jjT7_P12ihipStream_tbENKUlT_T0_SG_SL_E_clISA_SA_SB_SB_EEDaSZ_S10_SG_SL_EUlSZ_E_NS1_11comp_targetILNS1_3genE10ELNS1_11target_archE1201ELNS1_3gpuE5ELNS1_3repE0EEENS1_47radix_sort_onesweep_sort_config_static_selectorELNS0_4arch9wavefront6targetE0EEEvSG_,comdat
.Lfunc_end123:
	.size	_ZN7rocprim17ROCPRIM_400000_NS6detail17trampoline_kernelINS0_14default_configENS1_35radix_sort_onesweep_config_selectorIhNS0_10empty_typeEEEZZNS1_29radix_sort_onesweep_iterationIS3_Lb1EPKhPhPS5_SB_mNS0_19identity_decomposerENS1_16block_id_wrapperIjLb1EEEEE10hipError_tT1_PNSt15iterator_traitsISG_E10value_typeET2_T3_PNSH_ISM_E10value_typeET4_T5_PSR_SS_PNS1_23onesweep_lookback_stateEbbT6_jjT7_P12ihipStream_tbENKUlT_T0_SG_SL_E_clISA_SA_SB_SB_EEDaSZ_S10_SG_SL_EUlSZ_E_NS1_11comp_targetILNS1_3genE10ELNS1_11target_archE1201ELNS1_3gpuE5ELNS1_3repE0EEENS1_47radix_sort_onesweep_sort_config_static_selectorELNS0_4arch9wavefront6targetE0EEEvSG_, .Lfunc_end123-_ZN7rocprim17ROCPRIM_400000_NS6detail17trampoline_kernelINS0_14default_configENS1_35radix_sort_onesweep_config_selectorIhNS0_10empty_typeEEEZZNS1_29radix_sort_onesweep_iterationIS3_Lb1EPKhPhPS5_SB_mNS0_19identity_decomposerENS1_16block_id_wrapperIjLb1EEEEE10hipError_tT1_PNSt15iterator_traitsISG_E10value_typeET2_T3_PNSH_ISM_E10value_typeET4_T5_PSR_SS_PNS1_23onesweep_lookback_stateEbbT6_jjT7_P12ihipStream_tbENKUlT_T0_SG_SL_E_clISA_SA_SB_SB_EEDaSZ_S10_SG_SL_EUlSZ_E_NS1_11comp_targetILNS1_3genE10ELNS1_11target_archE1201ELNS1_3gpuE5ELNS1_3repE0EEENS1_47radix_sort_onesweep_sort_config_static_selectorELNS0_4arch9wavefront6targetE0EEEvSG_
                                        ; -- End function
	.set _ZN7rocprim17ROCPRIM_400000_NS6detail17trampoline_kernelINS0_14default_configENS1_35radix_sort_onesweep_config_selectorIhNS0_10empty_typeEEEZZNS1_29radix_sort_onesweep_iterationIS3_Lb1EPKhPhPS5_SB_mNS0_19identity_decomposerENS1_16block_id_wrapperIjLb1EEEEE10hipError_tT1_PNSt15iterator_traitsISG_E10value_typeET2_T3_PNSH_ISM_E10value_typeET4_T5_PSR_SS_PNS1_23onesweep_lookback_stateEbbT6_jjT7_P12ihipStream_tbENKUlT_T0_SG_SL_E_clISA_SA_SB_SB_EEDaSZ_S10_SG_SL_EUlSZ_E_NS1_11comp_targetILNS1_3genE10ELNS1_11target_archE1201ELNS1_3gpuE5ELNS1_3repE0EEENS1_47radix_sort_onesweep_sort_config_static_selectorELNS0_4arch9wavefront6targetE0EEEvSG_.num_vgpr, 0
	.set _ZN7rocprim17ROCPRIM_400000_NS6detail17trampoline_kernelINS0_14default_configENS1_35radix_sort_onesweep_config_selectorIhNS0_10empty_typeEEEZZNS1_29radix_sort_onesweep_iterationIS3_Lb1EPKhPhPS5_SB_mNS0_19identity_decomposerENS1_16block_id_wrapperIjLb1EEEEE10hipError_tT1_PNSt15iterator_traitsISG_E10value_typeET2_T3_PNSH_ISM_E10value_typeET4_T5_PSR_SS_PNS1_23onesweep_lookback_stateEbbT6_jjT7_P12ihipStream_tbENKUlT_T0_SG_SL_E_clISA_SA_SB_SB_EEDaSZ_S10_SG_SL_EUlSZ_E_NS1_11comp_targetILNS1_3genE10ELNS1_11target_archE1201ELNS1_3gpuE5ELNS1_3repE0EEENS1_47radix_sort_onesweep_sort_config_static_selectorELNS0_4arch9wavefront6targetE0EEEvSG_.num_agpr, 0
	.set _ZN7rocprim17ROCPRIM_400000_NS6detail17trampoline_kernelINS0_14default_configENS1_35radix_sort_onesweep_config_selectorIhNS0_10empty_typeEEEZZNS1_29radix_sort_onesweep_iterationIS3_Lb1EPKhPhPS5_SB_mNS0_19identity_decomposerENS1_16block_id_wrapperIjLb1EEEEE10hipError_tT1_PNSt15iterator_traitsISG_E10value_typeET2_T3_PNSH_ISM_E10value_typeET4_T5_PSR_SS_PNS1_23onesweep_lookback_stateEbbT6_jjT7_P12ihipStream_tbENKUlT_T0_SG_SL_E_clISA_SA_SB_SB_EEDaSZ_S10_SG_SL_EUlSZ_E_NS1_11comp_targetILNS1_3genE10ELNS1_11target_archE1201ELNS1_3gpuE5ELNS1_3repE0EEENS1_47radix_sort_onesweep_sort_config_static_selectorELNS0_4arch9wavefront6targetE0EEEvSG_.numbered_sgpr, 0
	.set _ZN7rocprim17ROCPRIM_400000_NS6detail17trampoline_kernelINS0_14default_configENS1_35radix_sort_onesweep_config_selectorIhNS0_10empty_typeEEEZZNS1_29radix_sort_onesweep_iterationIS3_Lb1EPKhPhPS5_SB_mNS0_19identity_decomposerENS1_16block_id_wrapperIjLb1EEEEE10hipError_tT1_PNSt15iterator_traitsISG_E10value_typeET2_T3_PNSH_ISM_E10value_typeET4_T5_PSR_SS_PNS1_23onesweep_lookback_stateEbbT6_jjT7_P12ihipStream_tbENKUlT_T0_SG_SL_E_clISA_SA_SB_SB_EEDaSZ_S10_SG_SL_EUlSZ_E_NS1_11comp_targetILNS1_3genE10ELNS1_11target_archE1201ELNS1_3gpuE5ELNS1_3repE0EEENS1_47radix_sort_onesweep_sort_config_static_selectorELNS0_4arch9wavefront6targetE0EEEvSG_.num_named_barrier, 0
	.set _ZN7rocprim17ROCPRIM_400000_NS6detail17trampoline_kernelINS0_14default_configENS1_35radix_sort_onesweep_config_selectorIhNS0_10empty_typeEEEZZNS1_29radix_sort_onesweep_iterationIS3_Lb1EPKhPhPS5_SB_mNS0_19identity_decomposerENS1_16block_id_wrapperIjLb1EEEEE10hipError_tT1_PNSt15iterator_traitsISG_E10value_typeET2_T3_PNSH_ISM_E10value_typeET4_T5_PSR_SS_PNS1_23onesweep_lookback_stateEbbT6_jjT7_P12ihipStream_tbENKUlT_T0_SG_SL_E_clISA_SA_SB_SB_EEDaSZ_S10_SG_SL_EUlSZ_E_NS1_11comp_targetILNS1_3genE10ELNS1_11target_archE1201ELNS1_3gpuE5ELNS1_3repE0EEENS1_47radix_sort_onesweep_sort_config_static_selectorELNS0_4arch9wavefront6targetE0EEEvSG_.private_seg_size, 0
	.set _ZN7rocprim17ROCPRIM_400000_NS6detail17trampoline_kernelINS0_14default_configENS1_35radix_sort_onesweep_config_selectorIhNS0_10empty_typeEEEZZNS1_29radix_sort_onesweep_iterationIS3_Lb1EPKhPhPS5_SB_mNS0_19identity_decomposerENS1_16block_id_wrapperIjLb1EEEEE10hipError_tT1_PNSt15iterator_traitsISG_E10value_typeET2_T3_PNSH_ISM_E10value_typeET4_T5_PSR_SS_PNS1_23onesweep_lookback_stateEbbT6_jjT7_P12ihipStream_tbENKUlT_T0_SG_SL_E_clISA_SA_SB_SB_EEDaSZ_S10_SG_SL_EUlSZ_E_NS1_11comp_targetILNS1_3genE10ELNS1_11target_archE1201ELNS1_3gpuE5ELNS1_3repE0EEENS1_47radix_sort_onesweep_sort_config_static_selectorELNS0_4arch9wavefront6targetE0EEEvSG_.uses_vcc, 0
	.set _ZN7rocprim17ROCPRIM_400000_NS6detail17trampoline_kernelINS0_14default_configENS1_35radix_sort_onesweep_config_selectorIhNS0_10empty_typeEEEZZNS1_29radix_sort_onesweep_iterationIS3_Lb1EPKhPhPS5_SB_mNS0_19identity_decomposerENS1_16block_id_wrapperIjLb1EEEEE10hipError_tT1_PNSt15iterator_traitsISG_E10value_typeET2_T3_PNSH_ISM_E10value_typeET4_T5_PSR_SS_PNS1_23onesweep_lookback_stateEbbT6_jjT7_P12ihipStream_tbENKUlT_T0_SG_SL_E_clISA_SA_SB_SB_EEDaSZ_S10_SG_SL_EUlSZ_E_NS1_11comp_targetILNS1_3genE10ELNS1_11target_archE1201ELNS1_3gpuE5ELNS1_3repE0EEENS1_47radix_sort_onesweep_sort_config_static_selectorELNS0_4arch9wavefront6targetE0EEEvSG_.uses_flat_scratch, 0
	.set _ZN7rocprim17ROCPRIM_400000_NS6detail17trampoline_kernelINS0_14default_configENS1_35radix_sort_onesweep_config_selectorIhNS0_10empty_typeEEEZZNS1_29radix_sort_onesweep_iterationIS3_Lb1EPKhPhPS5_SB_mNS0_19identity_decomposerENS1_16block_id_wrapperIjLb1EEEEE10hipError_tT1_PNSt15iterator_traitsISG_E10value_typeET2_T3_PNSH_ISM_E10value_typeET4_T5_PSR_SS_PNS1_23onesweep_lookback_stateEbbT6_jjT7_P12ihipStream_tbENKUlT_T0_SG_SL_E_clISA_SA_SB_SB_EEDaSZ_S10_SG_SL_EUlSZ_E_NS1_11comp_targetILNS1_3genE10ELNS1_11target_archE1201ELNS1_3gpuE5ELNS1_3repE0EEENS1_47radix_sort_onesweep_sort_config_static_selectorELNS0_4arch9wavefront6targetE0EEEvSG_.has_dyn_sized_stack, 0
	.set _ZN7rocprim17ROCPRIM_400000_NS6detail17trampoline_kernelINS0_14default_configENS1_35radix_sort_onesweep_config_selectorIhNS0_10empty_typeEEEZZNS1_29radix_sort_onesweep_iterationIS3_Lb1EPKhPhPS5_SB_mNS0_19identity_decomposerENS1_16block_id_wrapperIjLb1EEEEE10hipError_tT1_PNSt15iterator_traitsISG_E10value_typeET2_T3_PNSH_ISM_E10value_typeET4_T5_PSR_SS_PNS1_23onesweep_lookback_stateEbbT6_jjT7_P12ihipStream_tbENKUlT_T0_SG_SL_E_clISA_SA_SB_SB_EEDaSZ_S10_SG_SL_EUlSZ_E_NS1_11comp_targetILNS1_3genE10ELNS1_11target_archE1201ELNS1_3gpuE5ELNS1_3repE0EEENS1_47radix_sort_onesweep_sort_config_static_selectorELNS0_4arch9wavefront6targetE0EEEvSG_.has_recursion, 0
	.set _ZN7rocprim17ROCPRIM_400000_NS6detail17trampoline_kernelINS0_14default_configENS1_35radix_sort_onesweep_config_selectorIhNS0_10empty_typeEEEZZNS1_29radix_sort_onesweep_iterationIS3_Lb1EPKhPhPS5_SB_mNS0_19identity_decomposerENS1_16block_id_wrapperIjLb1EEEEE10hipError_tT1_PNSt15iterator_traitsISG_E10value_typeET2_T3_PNSH_ISM_E10value_typeET4_T5_PSR_SS_PNS1_23onesweep_lookback_stateEbbT6_jjT7_P12ihipStream_tbENKUlT_T0_SG_SL_E_clISA_SA_SB_SB_EEDaSZ_S10_SG_SL_EUlSZ_E_NS1_11comp_targetILNS1_3genE10ELNS1_11target_archE1201ELNS1_3gpuE5ELNS1_3repE0EEENS1_47radix_sort_onesweep_sort_config_static_selectorELNS0_4arch9wavefront6targetE0EEEvSG_.has_indirect_call, 0
	.section	.AMDGPU.csdata,"",@progbits
; Kernel info:
; codeLenInByte = 0
; TotalNumSgprs: 0
; NumVgprs: 0
; ScratchSize: 0
; MemoryBound: 0
; FloatMode: 240
; IeeeMode: 1
; LDSByteSize: 0 bytes/workgroup (compile time only)
; SGPRBlocks: 0
; VGPRBlocks: 0
; NumSGPRsForWavesPerEU: 1
; NumVGPRsForWavesPerEU: 1
; NamedBarCnt: 0
; Occupancy: 16
; WaveLimiterHint : 0
; COMPUTE_PGM_RSRC2:SCRATCH_EN: 0
; COMPUTE_PGM_RSRC2:USER_SGPR: 2
; COMPUTE_PGM_RSRC2:TRAP_HANDLER: 0
; COMPUTE_PGM_RSRC2:TGID_X_EN: 1
; COMPUTE_PGM_RSRC2:TGID_Y_EN: 0
; COMPUTE_PGM_RSRC2:TGID_Z_EN: 0
; COMPUTE_PGM_RSRC2:TIDIG_COMP_CNT: 0
	.section	.text._ZN7rocprim17ROCPRIM_400000_NS6detail17trampoline_kernelINS0_14default_configENS1_35radix_sort_onesweep_config_selectorIhNS0_10empty_typeEEEZZNS1_29radix_sort_onesweep_iterationIS3_Lb1EPKhPhPS5_SB_mNS0_19identity_decomposerENS1_16block_id_wrapperIjLb1EEEEE10hipError_tT1_PNSt15iterator_traitsISG_E10value_typeET2_T3_PNSH_ISM_E10value_typeET4_T5_PSR_SS_PNS1_23onesweep_lookback_stateEbbT6_jjT7_P12ihipStream_tbENKUlT_T0_SG_SL_E_clISA_SA_SB_SB_EEDaSZ_S10_SG_SL_EUlSZ_E_NS1_11comp_targetILNS1_3genE9ELNS1_11target_archE1100ELNS1_3gpuE3ELNS1_3repE0EEENS1_47radix_sort_onesweep_sort_config_static_selectorELNS0_4arch9wavefront6targetE0EEEvSG_,"axG",@progbits,_ZN7rocprim17ROCPRIM_400000_NS6detail17trampoline_kernelINS0_14default_configENS1_35radix_sort_onesweep_config_selectorIhNS0_10empty_typeEEEZZNS1_29radix_sort_onesweep_iterationIS3_Lb1EPKhPhPS5_SB_mNS0_19identity_decomposerENS1_16block_id_wrapperIjLb1EEEEE10hipError_tT1_PNSt15iterator_traitsISG_E10value_typeET2_T3_PNSH_ISM_E10value_typeET4_T5_PSR_SS_PNS1_23onesweep_lookback_stateEbbT6_jjT7_P12ihipStream_tbENKUlT_T0_SG_SL_E_clISA_SA_SB_SB_EEDaSZ_S10_SG_SL_EUlSZ_E_NS1_11comp_targetILNS1_3genE9ELNS1_11target_archE1100ELNS1_3gpuE3ELNS1_3repE0EEENS1_47radix_sort_onesweep_sort_config_static_selectorELNS0_4arch9wavefront6targetE0EEEvSG_,comdat
	.protected	_ZN7rocprim17ROCPRIM_400000_NS6detail17trampoline_kernelINS0_14default_configENS1_35radix_sort_onesweep_config_selectorIhNS0_10empty_typeEEEZZNS1_29radix_sort_onesweep_iterationIS3_Lb1EPKhPhPS5_SB_mNS0_19identity_decomposerENS1_16block_id_wrapperIjLb1EEEEE10hipError_tT1_PNSt15iterator_traitsISG_E10value_typeET2_T3_PNSH_ISM_E10value_typeET4_T5_PSR_SS_PNS1_23onesweep_lookback_stateEbbT6_jjT7_P12ihipStream_tbENKUlT_T0_SG_SL_E_clISA_SA_SB_SB_EEDaSZ_S10_SG_SL_EUlSZ_E_NS1_11comp_targetILNS1_3genE9ELNS1_11target_archE1100ELNS1_3gpuE3ELNS1_3repE0EEENS1_47radix_sort_onesweep_sort_config_static_selectorELNS0_4arch9wavefront6targetE0EEEvSG_ ; -- Begin function _ZN7rocprim17ROCPRIM_400000_NS6detail17trampoline_kernelINS0_14default_configENS1_35radix_sort_onesweep_config_selectorIhNS0_10empty_typeEEEZZNS1_29radix_sort_onesweep_iterationIS3_Lb1EPKhPhPS5_SB_mNS0_19identity_decomposerENS1_16block_id_wrapperIjLb1EEEEE10hipError_tT1_PNSt15iterator_traitsISG_E10value_typeET2_T3_PNSH_ISM_E10value_typeET4_T5_PSR_SS_PNS1_23onesweep_lookback_stateEbbT6_jjT7_P12ihipStream_tbENKUlT_T0_SG_SL_E_clISA_SA_SB_SB_EEDaSZ_S10_SG_SL_EUlSZ_E_NS1_11comp_targetILNS1_3genE9ELNS1_11target_archE1100ELNS1_3gpuE3ELNS1_3repE0EEENS1_47radix_sort_onesweep_sort_config_static_selectorELNS0_4arch9wavefront6targetE0EEEvSG_
	.globl	_ZN7rocprim17ROCPRIM_400000_NS6detail17trampoline_kernelINS0_14default_configENS1_35radix_sort_onesweep_config_selectorIhNS0_10empty_typeEEEZZNS1_29radix_sort_onesweep_iterationIS3_Lb1EPKhPhPS5_SB_mNS0_19identity_decomposerENS1_16block_id_wrapperIjLb1EEEEE10hipError_tT1_PNSt15iterator_traitsISG_E10value_typeET2_T3_PNSH_ISM_E10value_typeET4_T5_PSR_SS_PNS1_23onesweep_lookback_stateEbbT6_jjT7_P12ihipStream_tbENKUlT_T0_SG_SL_E_clISA_SA_SB_SB_EEDaSZ_S10_SG_SL_EUlSZ_E_NS1_11comp_targetILNS1_3genE9ELNS1_11target_archE1100ELNS1_3gpuE3ELNS1_3repE0EEENS1_47radix_sort_onesweep_sort_config_static_selectorELNS0_4arch9wavefront6targetE0EEEvSG_
	.p2align	8
	.type	_ZN7rocprim17ROCPRIM_400000_NS6detail17trampoline_kernelINS0_14default_configENS1_35radix_sort_onesweep_config_selectorIhNS0_10empty_typeEEEZZNS1_29radix_sort_onesweep_iterationIS3_Lb1EPKhPhPS5_SB_mNS0_19identity_decomposerENS1_16block_id_wrapperIjLb1EEEEE10hipError_tT1_PNSt15iterator_traitsISG_E10value_typeET2_T3_PNSH_ISM_E10value_typeET4_T5_PSR_SS_PNS1_23onesweep_lookback_stateEbbT6_jjT7_P12ihipStream_tbENKUlT_T0_SG_SL_E_clISA_SA_SB_SB_EEDaSZ_S10_SG_SL_EUlSZ_E_NS1_11comp_targetILNS1_3genE9ELNS1_11target_archE1100ELNS1_3gpuE3ELNS1_3repE0EEENS1_47radix_sort_onesweep_sort_config_static_selectorELNS0_4arch9wavefront6targetE0EEEvSG_,@function
_ZN7rocprim17ROCPRIM_400000_NS6detail17trampoline_kernelINS0_14default_configENS1_35radix_sort_onesweep_config_selectorIhNS0_10empty_typeEEEZZNS1_29radix_sort_onesweep_iterationIS3_Lb1EPKhPhPS5_SB_mNS0_19identity_decomposerENS1_16block_id_wrapperIjLb1EEEEE10hipError_tT1_PNSt15iterator_traitsISG_E10value_typeET2_T3_PNSH_ISM_E10value_typeET4_T5_PSR_SS_PNS1_23onesweep_lookback_stateEbbT6_jjT7_P12ihipStream_tbENKUlT_T0_SG_SL_E_clISA_SA_SB_SB_EEDaSZ_S10_SG_SL_EUlSZ_E_NS1_11comp_targetILNS1_3genE9ELNS1_11target_archE1100ELNS1_3gpuE3ELNS1_3repE0EEENS1_47radix_sort_onesweep_sort_config_static_selectorELNS0_4arch9wavefront6targetE0EEEvSG_: ; @_ZN7rocprim17ROCPRIM_400000_NS6detail17trampoline_kernelINS0_14default_configENS1_35radix_sort_onesweep_config_selectorIhNS0_10empty_typeEEEZZNS1_29radix_sort_onesweep_iterationIS3_Lb1EPKhPhPS5_SB_mNS0_19identity_decomposerENS1_16block_id_wrapperIjLb1EEEEE10hipError_tT1_PNSt15iterator_traitsISG_E10value_typeET2_T3_PNSH_ISM_E10value_typeET4_T5_PSR_SS_PNS1_23onesweep_lookback_stateEbbT6_jjT7_P12ihipStream_tbENKUlT_T0_SG_SL_E_clISA_SA_SB_SB_EEDaSZ_S10_SG_SL_EUlSZ_E_NS1_11comp_targetILNS1_3genE9ELNS1_11target_archE1100ELNS1_3gpuE3ELNS1_3repE0EEENS1_47radix_sort_onesweep_sort_config_static_selectorELNS0_4arch9wavefront6targetE0EEEvSG_
; %bb.0:
	.section	.rodata,"a",@progbits
	.p2align	6, 0x0
	.amdhsa_kernel _ZN7rocprim17ROCPRIM_400000_NS6detail17trampoline_kernelINS0_14default_configENS1_35radix_sort_onesweep_config_selectorIhNS0_10empty_typeEEEZZNS1_29radix_sort_onesweep_iterationIS3_Lb1EPKhPhPS5_SB_mNS0_19identity_decomposerENS1_16block_id_wrapperIjLb1EEEEE10hipError_tT1_PNSt15iterator_traitsISG_E10value_typeET2_T3_PNSH_ISM_E10value_typeET4_T5_PSR_SS_PNS1_23onesweep_lookback_stateEbbT6_jjT7_P12ihipStream_tbENKUlT_T0_SG_SL_E_clISA_SA_SB_SB_EEDaSZ_S10_SG_SL_EUlSZ_E_NS1_11comp_targetILNS1_3genE9ELNS1_11target_archE1100ELNS1_3gpuE3ELNS1_3repE0EEENS1_47radix_sort_onesweep_sort_config_static_selectorELNS0_4arch9wavefront6targetE0EEEvSG_
		.amdhsa_group_segment_fixed_size 0
		.amdhsa_private_segment_fixed_size 0
		.amdhsa_kernarg_size 88
		.amdhsa_user_sgpr_count 2
		.amdhsa_user_sgpr_dispatch_ptr 0
		.amdhsa_user_sgpr_queue_ptr 0
		.amdhsa_user_sgpr_kernarg_segment_ptr 1
		.amdhsa_user_sgpr_dispatch_id 0
		.amdhsa_user_sgpr_kernarg_preload_length 0
		.amdhsa_user_sgpr_kernarg_preload_offset 0
		.amdhsa_user_sgpr_private_segment_size 0
		.amdhsa_wavefront_size32 1
		.amdhsa_uses_dynamic_stack 0
		.amdhsa_enable_private_segment 0
		.amdhsa_system_sgpr_workgroup_id_x 1
		.amdhsa_system_sgpr_workgroup_id_y 0
		.amdhsa_system_sgpr_workgroup_id_z 0
		.amdhsa_system_sgpr_workgroup_info 0
		.amdhsa_system_vgpr_workitem_id 0
		.amdhsa_next_free_vgpr 1
		.amdhsa_next_free_sgpr 1
		.amdhsa_named_barrier_count 0
		.amdhsa_reserve_vcc 0
		.amdhsa_float_round_mode_32 0
		.amdhsa_float_round_mode_16_64 0
		.amdhsa_float_denorm_mode_32 3
		.amdhsa_float_denorm_mode_16_64 3
		.amdhsa_fp16_overflow 0
		.amdhsa_memory_ordered 1
		.amdhsa_forward_progress 1
		.amdhsa_inst_pref_size 0
		.amdhsa_round_robin_scheduling 0
		.amdhsa_exception_fp_ieee_invalid_op 0
		.amdhsa_exception_fp_denorm_src 0
		.amdhsa_exception_fp_ieee_div_zero 0
		.amdhsa_exception_fp_ieee_overflow 0
		.amdhsa_exception_fp_ieee_underflow 0
		.amdhsa_exception_fp_ieee_inexact 0
		.amdhsa_exception_int_div_zero 0
	.end_amdhsa_kernel
	.section	.text._ZN7rocprim17ROCPRIM_400000_NS6detail17trampoline_kernelINS0_14default_configENS1_35radix_sort_onesweep_config_selectorIhNS0_10empty_typeEEEZZNS1_29radix_sort_onesweep_iterationIS3_Lb1EPKhPhPS5_SB_mNS0_19identity_decomposerENS1_16block_id_wrapperIjLb1EEEEE10hipError_tT1_PNSt15iterator_traitsISG_E10value_typeET2_T3_PNSH_ISM_E10value_typeET4_T5_PSR_SS_PNS1_23onesweep_lookback_stateEbbT6_jjT7_P12ihipStream_tbENKUlT_T0_SG_SL_E_clISA_SA_SB_SB_EEDaSZ_S10_SG_SL_EUlSZ_E_NS1_11comp_targetILNS1_3genE9ELNS1_11target_archE1100ELNS1_3gpuE3ELNS1_3repE0EEENS1_47radix_sort_onesweep_sort_config_static_selectorELNS0_4arch9wavefront6targetE0EEEvSG_,"axG",@progbits,_ZN7rocprim17ROCPRIM_400000_NS6detail17trampoline_kernelINS0_14default_configENS1_35radix_sort_onesweep_config_selectorIhNS0_10empty_typeEEEZZNS1_29radix_sort_onesweep_iterationIS3_Lb1EPKhPhPS5_SB_mNS0_19identity_decomposerENS1_16block_id_wrapperIjLb1EEEEE10hipError_tT1_PNSt15iterator_traitsISG_E10value_typeET2_T3_PNSH_ISM_E10value_typeET4_T5_PSR_SS_PNS1_23onesweep_lookback_stateEbbT6_jjT7_P12ihipStream_tbENKUlT_T0_SG_SL_E_clISA_SA_SB_SB_EEDaSZ_S10_SG_SL_EUlSZ_E_NS1_11comp_targetILNS1_3genE9ELNS1_11target_archE1100ELNS1_3gpuE3ELNS1_3repE0EEENS1_47radix_sort_onesweep_sort_config_static_selectorELNS0_4arch9wavefront6targetE0EEEvSG_,comdat
.Lfunc_end124:
	.size	_ZN7rocprim17ROCPRIM_400000_NS6detail17trampoline_kernelINS0_14default_configENS1_35radix_sort_onesweep_config_selectorIhNS0_10empty_typeEEEZZNS1_29radix_sort_onesweep_iterationIS3_Lb1EPKhPhPS5_SB_mNS0_19identity_decomposerENS1_16block_id_wrapperIjLb1EEEEE10hipError_tT1_PNSt15iterator_traitsISG_E10value_typeET2_T3_PNSH_ISM_E10value_typeET4_T5_PSR_SS_PNS1_23onesweep_lookback_stateEbbT6_jjT7_P12ihipStream_tbENKUlT_T0_SG_SL_E_clISA_SA_SB_SB_EEDaSZ_S10_SG_SL_EUlSZ_E_NS1_11comp_targetILNS1_3genE9ELNS1_11target_archE1100ELNS1_3gpuE3ELNS1_3repE0EEENS1_47radix_sort_onesweep_sort_config_static_selectorELNS0_4arch9wavefront6targetE0EEEvSG_, .Lfunc_end124-_ZN7rocprim17ROCPRIM_400000_NS6detail17trampoline_kernelINS0_14default_configENS1_35radix_sort_onesweep_config_selectorIhNS0_10empty_typeEEEZZNS1_29radix_sort_onesweep_iterationIS3_Lb1EPKhPhPS5_SB_mNS0_19identity_decomposerENS1_16block_id_wrapperIjLb1EEEEE10hipError_tT1_PNSt15iterator_traitsISG_E10value_typeET2_T3_PNSH_ISM_E10value_typeET4_T5_PSR_SS_PNS1_23onesweep_lookback_stateEbbT6_jjT7_P12ihipStream_tbENKUlT_T0_SG_SL_E_clISA_SA_SB_SB_EEDaSZ_S10_SG_SL_EUlSZ_E_NS1_11comp_targetILNS1_3genE9ELNS1_11target_archE1100ELNS1_3gpuE3ELNS1_3repE0EEENS1_47radix_sort_onesweep_sort_config_static_selectorELNS0_4arch9wavefront6targetE0EEEvSG_
                                        ; -- End function
	.set _ZN7rocprim17ROCPRIM_400000_NS6detail17trampoline_kernelINS0_14default_configENS1_35radix_sort_onesweep_config_selectorIhNS0_10empty_typeEEEZZNS1_29radix_sort_onesweep_iterationIS3_Lb1EPKhPhPS5_SB_mNS0_19identity_decomposerENS1_16block_id_wrapperIjLb1EEEEE10hipError_tT1_PNSt15iterator_traitsISG_E10value_typeET2_T3_PNSH_ISM_E10value_typeET4_T5_PSR_SS_PNS1_23onesweep_lookback_stateEbbT6_jjT7_P12ihipStream_tbENKUlT_T0_SG_SL_E_clISA_SA_SB_SB_EEDaSZ_S10_SG_SL_EUlSZ_E_NS1_11comp_targetILNS1_3genE9ELNS1_11target_archE1100ELNS1_3gpuE3ELNS1_3repE0EEENS1_47radix_sort_onesweep_sort_config_static_selectorELNS0_4arch9wavefront6targetE0EEEvSG_.num_vgpr, 0
	.set _ZN7rocprim17ROCPRIM_400000_NS6detail17trampoline_kernelINS0_14default_configENS1_35radix_sort_onesweep_config_selectorIhNS0_10empty_typeEEEZZNS1_29radix_sort_onesweep_iterationIS3_Lb1EPKhPhPS5_SB_mNS0_19identity_decomposerENS1_16block_id_wrapperIjLb1EEEEE10hipError_tT1_PNSt15iterator_traitsISG_E10value_typeET2_T3_PNSH_ISM_E10value_typeET4_T5_PSR_SS_PNS1_23onesweep_lookback_stateEbbT6_jjT7_P12ihipStream_tbENKUlT_T0_SG_SL_E_clISA_SA_SB_SB_EEDaSZ_S10_SG_SL_EUlSZ_E_NS1_11comp_targetILNS1_3genE9ELNS1_11target_archE1100ELNS1_3gpuE3ELNS1_3repE0EEENS1_47radix_sort_onesweep_sort_config_static_selectorELNS0_4arch9wavefront6targetE0EEEvSG_.num_agpr, 0
	.set _ZN7rocprim17ROCPRIM_400000_NS6detail17trampoline_kernelINS0_14default_configENS1_35radix_sort_onesweep_config_selectorIhNS0_10empty_typeEEEZZNS1_29radix_sort_onesweep_iterationIS3_Lb1EPKhPhPS5_SB_mNS0_19identity_decomposerENS1_16block_id_wrapperIjLb1EEEEE10hipError_tT1_PNSt15iterator_traitsISG_E10value_typeET2_T3_PNSH_ISM_E10value_typeET4_T5_PSR_SS_PNS1_23onesweep_lookback_stateEbbT6_jjT7_P12ihipStream_tbENKUlT_T0_SG_SL_E_clISA_SA_SB_SB_EEDaSZ_S10_SG_SL_EUlSZ_E_NS1_11comp_targetILNS1_3genE9ELNS1_11target_archE1100ELNS1_3gpuE3ELNS1_3repE0EEENS1_47radix_sort_onesweep_sort_config_static_selectorELNS0_4arch9wavefront6targetE0EEEvSG_.numbered_sgpr, 0
	.set _ZN7rocprim17ROCPRIM_400000_NS6detail17trampoline_kernelINS0_14default_configENS1_35radix_sort_onesweep_config_selectorIhNS0_10empty_typeEEEZZNS1_29radix_sort_onesweep_iterationIS3_Lb1EPKhPhPS5_SB_mNS0_19identity_decomposerENS1_16block_id_wrapperIjLb1EEEEE10hipError_tT1_PNSt15iterator_traitsISG_E10value_typeET2_T3_PNSH_ISM_E10value_typeET4_T5_PSR_SS_PNS1_23onesweep_lookback_stateEbbT6_jjT7_P12ihipStream_tbENKUlT_T0_SG_SL_E_clISA_SA_SB_SB_EEDaSZ_S10_SG_SL_EUlSZ_E_NS1_11comp_targetILNS1_3genE9ELNS1_11target_archE1100ELNS1_3gpuE3ELNS1_3repE0EEENS1_47radix_sort_onesweep_sort_config_static_selectorELNS0_4arch9wavefront6targetE0EEEvSG_.num_named_barrier, 0
	.set _ZN7rocprim17ROCPRIM_400000_NS6detail17trampoline_kernelINS0_14default_configENS1_35radix_sort_onesweep_config_selectorIhNS0_10empty_typeEEEZZNS1_29radix_sort_onesweep_iterationIS3_Lb1EPKhPhPS5_SB_mNS0_19identity_decomposerENS1_16block_id_wrapperIjLb1EEEEE10hipError_tT1_PNSt15iterator_traitsISG_E10value_typeET2_T3_PNSH_ISM_E10value_typeET4_T5_PSR_SS_PNS1_23onesweep_lookback_stateEbbT6_jjT7_P12ihipStream_tbENKUlT_T0_SG_SL_E_clISA_SA_SB_SB_EEDaSZ_S10_SG_SL_EUlSZ_E_NS1_11comp_targetILNS1_3genE9ELNS1_11target_archE1100ELNS1_3gpuE3ELNS1_3repE0EEENS1_47radix_sort_onesweep_sort_config_static_selectorELNS0_4arch9wavefront6targetE0EEEvSG_.private_seg_size, 0
	.set _ZN7rocprim17ROCPRIM_400000_NS6detail17trampoline_kernelINS0_14default_configENS1_35radix_sort_onesweep_config_selectorIhNS0_10empty_typeEEEZZNS1_29radix_sort_onesweep_iterationIS3_Lb1EPKhPhPS5_SB_mNS0_19identity_decomposerENS1_16block_id_wrapperIjLb1EEEEE10hipError_tT1_PNSt15iterator_traitsISG_E10value_typeET2_T3_PNSH_ISM_E10value_typeET4_T5_PSR_SS_PNS1_23onesweep_lookback_stateEbbT6_jjT7_P12ihipStream_tbENKUlT_T0_SG_SL_E_clISA_SA_SB_SB_EEDaSZ_S10_SG_SL_EUlSZ_E_NS1_11comp_targetILNS1_3genE9ELNS1_11target_archE1100ELNS1_3gpuE3ELNS1_3repE0EEENS1_47radix_sort_onesweep_sort_config_static_selectorELNS0_4arch9wavefront6targetE0EEEvSG_.uses_vcc, 0
	.set _ZN7rocprim17ROCPRIM_400000_NS6detail17trampoline_kernelINS0_14default_configENS1_35radix_sort_onesweep_config_selectorIhNS0_10empty_typeEEEZZNS1_29radix_sort_onesweep_iterationIS3_Lb1EPKhPhPS5_SB_mNS0_19identity_decomposerENS1_16block_id_wrapperIjLb1EEEEE10hipError_tT1_PNSt15iterator_traitsISG_E10value_typeET2_T3_PNSH_ISM_E10value_typeET4_T5_PSR_SS_PNS1_23onesweep_lookback_stateEbbT6_jjT7_P12ihipStream_tbENKUlT_T0_SG_SL_E_clISA_SA_SB_SB_EEDaSZ_S10_SG_SL_EUlSZ_E_NS1_11comp_targetILNS1_3genE9ELNS1_11target_archE1100ELNS1_3gpuE3ELNS1_3repE0EEENS1_47radix_sort_onesweep_sort_config_static_selectorELNS0_4arch9wavefront6targetE0EEEvSG_.uses_flat_scratch, 0
	.set _ZN7rocprim17ROCPRIM_400000_NS6detail17trampoline_kernelINS0_14default_configENS1_35radix_sort_onesweep_config_selectorIhNS0_10empty_typeEEEZZNS1_29radix_sort_onesweep_iterationIS3_Lb1EPKhPhPS5_SB_mNS0_19identity_decomposerENS1_16block_id_wrapperIjLb1EEEEE10hipError_tT1_PNSt15iterator_traitsISG_E10value_typeET2_T3_PNSH_ISM_E10value_typeET4_T5_PSR_SS_PNS1_23onesweep_lookback_stateEbbT6_jjT7_P12ihipStream_tbENKUlT_T0_SG_SL_E_clISA_SA_SB_SB_EEDaSZ_S10_SG_SL_EUlSZ_E_NS1_11comp_targetILNS1_3genE9ELNS1_11target_archE1100ELNS1_3gpuE3ELNS1_3repE0EEENS1_47radix_sort_onesweep_sort_config_static_selectorELNS0_4arch9wavefront6targetE0EEEvSG_.has_dyn_sized_stack, 0
	.set _ZN7rocprim17ROCPRIM_400000_NS6detail17trampoline_kernelINS0_14default_configENS1_35radix_sort_onesweep_config_selectorIhNS0_10empty_typeEEEZZNS1_29radix_sort_onesweep_iterationIS3_Lb1EPKhPhPS5_SB_mNS0_19identity_decomposerENS1_16block_id_wrapperIjLb1EEEEE10hipError_tT1_PNSt15iterator_traitsISG_E10value_typeET2_T3_PNSH_ISM_E10value_typeET4_T5_PSR_SS_PNS1_23onesweep_lookback_stateEbbT6_jjT7_P12ihipStream_tbENKUlT_T0_SG_SL_E_clISA_SA_SB_SB_EEDaSZ_S10_SG_SL_EUlSZ_E_NS1_11comp_targetILNS1_3genE9ELNS1_11target_archE1100ELNS1_3gpuE3ELNS1_3repE0EEENS1_47radix_sort_onesweep_sort_config_static_selectorELNS0_4arch9wavefront6targetE0EEEvSG_.has_recursion, 0
	.set _ZN7rocprim17ROCPRIM_400000_NS6detail17trampoline_kernelINS0_14default_configENS1_35radix_sort_onesweep_config_selectorIhNS0_10empty_typeEEEZZNS1_29radix_sort_onesweep_iterationIS3_Lb1EPKhPhPS5_SB_mNS0_19identity_decomposerENS1_16block_id_wrapperIjLb1EEEEE10hipError_tT1_PNSt15iterator_traitsISG_E10value_typeET2_T3_PNSH_ISM_E10value_typeET4_T5_PSR_SS_PNS1_23onesweep_lookback_stateEbbT6_jjT7_P12ihipStream_tbENKUlT_T0_SG_SL_E_clISA_SA_SB_SB_EEDaSZ_S10_SG_SL_EUlSZ_E_NS1_11comp_targetILNS1_3genE9ELNS1_11target_archE1100ELNS1_3gpuE3ELNS1_3repE0EEENS1_47radix_sort_onesweep_sort_config_static_selectorELNS0_4arch9wavefront6targetE0EEEvSG_.has_indirect_call, 0
	.section	.AMDGPU.csdata,"",@progbits
; Kernel info:
; codeLenInByte = 0
; TotalNumSgprs: 0
; NumVgprs: 0
; ScratchSize: 0
; MemoryBound: 0
; FloatMode: 240
; IeeeMode: 1
; LDSByteSize: 0 bytes/workgroup (compile time only)
; SGPRBlocks: 0
; VGPRBlocks: 0
; NumSGPRsForWavesPerEU: 1
; NumVGPRsForWavesPerEU: 1
; NamedBarCnt: 0
; Occupancy: 16
; WaveLimiterHint : 0
; COMPUTE_PGM_RSRC2:SCRATCH_EN: 0
; COMPUTE_PGM_RSRC2:USER_SGPR: 2
; COMPUTE_PGM_RSRC2:TRAP_HANDLER: 0
; COMPUTE_PGM_RSRC2:TGID_X_EN: 1
; COMPUTE_PGM_RSRC2:TGID_Y_EN: 0
; COMPUTE_PGM_RSRC2:TGID_Z_EN: 0
; COMPUTE_PGM_RSRC2:TIDIG_COMP_CNT: 0
	.section	.text._ZN7rocprim17ROCPRIM_400000_NS6detail17trampoline_kernelINS0_14default_configENS1_35radix_sort_onesweep_config_selectorIhNS0_10empty_typeEEEZZNS1_29radix_sort_onesweep_iterationIS3_Lb1EPKhPhPS5_SB_mNS0_19identity_decomposerENS1_16block_id_wrapperIjLb1EEEEE10hipError_tT1_PNSt15iterator_traitsISG_E10value_typeET2_T3_PNSH_ISM_E10value_typeET4_T5_PSR_SS_PNS1_23onesweep_lookback_stateEbbT6_jjT7_P12ihipStream_tbENKUlT_T0_SG_SL_E_clISA_SA_SB_SB_EEDaSZ_S10_SG_SL_EUlSZ_E_NS1_11comp_targetILNS1_3genE8ELNS1_11target_archE1030ELNS1_3gpuE2ELNS1_3repE0EEENS1_47radix_sort_onesweep_sort_config_static_selectorELNS0_4arch9wavefront6targetE0EEEvSG_,"axG",@progbits,_ZN7rocprim17ROCPRIM_400000_NS6detail17trampoline_kernelINS0_14default_configENS1_35radix_sort_onesweep_config_selectorIhNS0_10empty_typeEEEZZNS1_29radix_sort_onesweep_iterationIS3_Lb1EPKhPhPS5_SB_mNS0_19identity_decomposerENS1_16block_id_wrapperIjLb1EEEEE10hipError_tT1_PNSt15iterator_traitsISG_E10value_typeET2_T3_PNSH_ISM_E10value_typeET4_T5_PSR_SS_PNS1_23onesweep_lookback_stateEbbT6_jjT7_P12ihipStream_tbENKUlT_T0_SG_SL_E_clISA_SA_SB_SB_EEDaSZ_S10_SG_SL_EUlSZ_E_NS1_11comp_targetILNS1_3genE8ELNS1_11target_archE1030ELNS1_3gpuE2ELNS1_3repE0EEENS1_47radix_sort_onesweep_sort_config_static_selectorELNS0_4arch9wavefront6targetE0EEEvSG_,comdat
	.protected	_ZN7rocprim17ROCPRIM_400000_NS6detail17trampoline_kernelINS0_14default_configENS1_35radix_sort_onesweep_config_selectorIhNS0_10empty_typeEEEZZNS1_29radix_sort_onesweep_iterationIS3_Lb1EPKhPhPS5_SB_mNS0_19identity_decomposerENS1_16block_id_wrapperIjLb1EEEEE10hipError_tT1_PNSt15iterator_traitsISG_E10value_typeET2_T3_PNSH_ISM_E10value_typeET4_T5_PSR_SS_PNS1_23onesweep_lookback_stateEbbT6_jjT7_P12ihipStream_tbENKUlT_T0_SG_SL_E_clISA_SA_SB_SB_EEDaSZ_S10_SG_SL_EUlSZ_E_NS1_11comp_targetILNS1_3genE8ELNS1_11target_archE1030ELNS1_3gpuE2ELNS1_3repE0EEENS1_47radix_sort_onesweep_sort_config_static_selectorELNS0_4arch9wavefront6targetE0EEEvSG_ ; -- Begin function _ZN7rocprim17ROCPRIM_400000_NS6detail17trampoline_kernelINS0_14default_configENS1_35radix_sort_onesweep_config_selectorIhNS0_10empty_typeEEEZZNS1_29radix_sort_onesweep_iterationIS3_Lb1EPKhPhPS5_SB_mNS0_19identity_decomposerENS1_16block_id_wrapperIjLb1EEEEE10hipError_tT1_PNSt15iterator_traitsISG_E10value_typeET2_T3_PNSH_ISM_E10value_typeET4_T5_PSR_SS_PNS1_23onesweep_lookback_stateEbbT6_jjT7_P12ihipStream_tbENKUlT_T0_SG_SL_E_clISA_SA_SB_SB_EEDaSZ_S10_SG_SL_EUlSZ_E_NS1_11comp_targetILNS1_3genE8ELNS1_11target_archE1030ELNS1_3gpuE2ELNS1_3repE0EEENS1_47radix_sort_onesweep_sort_config_static_selectorELNS0_4arch9wavefront6targetE0EEEvSG_
	.globl	_ZN7rocprim17ROCPRIM_400000_NS6detail17trampoline_kernelINS0_14default_configENS1_35radix_sort_onesweep_config_selectorIhNS0_10empty_typeEEEZZNS1_29radix_sort_onesweep_iterationIS3_Lb1EPKhPhPS5_SB_mNS0_19identity_decomposerENS1_16block_id_wrapperIjLb1EEEEE10hipError_tT1_PNSt15iterator_traitsISG_E10value_typeET2_T3_PNSH_ISM_E10value_typeET4_T5_PSR_SS_PNS1_23onesweep_lookback_stateEbbT6_jjT7_P12ihipStream_tbENKUlT_T0_SG_SL_E_clISA_SA_SB_SB_EEDaSZ_S10_SG_SL_EUlSZ_E_NS1_11comp_targetILNS1_3genE8ELNS1_11target_archE1030ELNS1_3gpuE2ELNS1_3repE0EEENS1_47radix_sort_onesweep_sort_config_static_selectorELNS0_4arch9wavefront6targetE0EEEvSG_
	.p2align	8
	.type	_ZN7rocprim17ROCPRIM_400000_NS6detail17trampoline_kernelINS0_14default_configENS1_35radix_sort_onesweep_config_selectorIhNS0_10empty_typeEEEZZNS1_29radix_sort_onesweep_iterationIS3_Lb1EPKhPhPS5_SB_mNS0_19identity_decomposerENS1_16block_id_wrapperIjLb1EEEEE10hipError_tT1_PNSt15iterator_traitsISG_E10value_typeET2_T3_PNSH_ISM_E10value_typeET4_T5_PSR_SS_PNS1_23onesweep_lookback_stateEbbT6_jjT7_P12ihipStream_tbENKUlT_T0_SG_SL_E_clISA_SA_SB_SB_EEDaSZ_S10_SG_SL_EUlSZ_E_NS1_11comp_targetILNS1_3genE8ELNS1_11target_archE1030ELNS1_3gpuE2ELNS1_3repE0EEENS1_47radix_sort_onesweep_sort_config_static_selectorELNS0_4arch9wavefront6targetE0EEEvSG_,@function
_ZN7rocprim17ROCPRIM_400000_NS6detail17trampoline_kernelINS0_14default_configENS1_35radix_sort_onesweep_config_selectorIhNS0_10empty_typeEEEZZNS1_29radix_sort_onesweep_iterationIS3_Lb1EPKhPhPS5_SB_mNS0_19identity_decomposerENS1_16block_id_wrapperIjLb1EEEEE10hipError_tT1_PNSt15iterator_traitsISG_E10value_typeET2_T3_PNSH_ISM_E10value_typeET4_T5_PSR_SS_PNS1_23onesweep_lookback_stateEbbT6_jjT7_P12ihipStream_tbENKUlT_T0_SG_SL_E_clISA_SA_SB_SB_EEDaSZ_S10_SG_SL_EUlSZ_E_NS1_11comp_targetILNS1_3genE8ELNS1_11target_archE1030ELNS1_3gpuE2ELNS1_3repE0EEENS1_47radix_sort_onesweep_sort_config_static_selectorELNS0_4arch9wavefront6targetE0EEEvSG_: ; @_ZN7rocprim17ROCPRIM_400000_NS6detail17trampoline_kernelINS0_14default_configENS1_35radix_sort_onesweep_config_selectorIhNS0_10empty_typeEEEZZNS1_29radix_sort_onesweep_iterationIS3_Lb1EPKhPhPS5_SB_mNS0_19identity_decomposerENS1_16block_id_wrapperIjLb1EEEEE10hipError_tT1_PNSt15iterator_traitsISG_E10value_typeET2_T3_PNSH_ISM_E10value_typeET4_T5_PSR_SS_PNS1_23onesweep_lookback_stateEbbT6_jjT7_P12ihipStream_tbENKUlT_T0_SG_SL_E_clISA_SA_SB_SB_EEDaSZ_S10_SG_SL_EUlSZ_E_NS1_11comp_targetILNS1_3genE8ELNS1_11target_archE1030ELNS1_3gpuE2ELNS1_3repE0EEENS1_47radix_sort_onesweep_sort_config_static_selectorELNS0_4arch9wavefront6targetE0EEEvSG_
; %bb.0:
	.section	.rodata,"a",@progbits
	.p2align	6, 0x0
	.amdhsa_kernel _ZN7rocprim17ROCPRIM_400000_NS6detail17trampoline_kernelINS0_14default_configENS1_35radix_sort_onesweep_config_selectorIhNS0_10empty_typeEEEZZNS1_29radix_sort_onesweep_iterationIS3_Lb1EPKhPhPS5_SB_mNS0_19identity_decomposerENS1_16block_id_wrapperIjLb1EEEEE10hipError_tT1_PNSt15iterator_traitsISG_E10value_typeET2_T3_PNSH_ISM_E10value_typeET4_T5_PSR_SS_PNS1_23onesweep_lookback_stateEbbT6_jjT7_P12ihipStream_tbENKUlT_T0_SG_SL_E_clISA_SA_SB_SB_EEDaSZ_S10_SG_SL_EUlSZ_E_NS1_11comp_targetILNS1_3genE8ELNS1_11target_archE1030ELNS1_3gpuE2ELNS1_3repE0EEENS1_47radix_sort_onesweep_sort_config_static_selectorELNS0_4arch9wavefront6targetE0EEEvSG_
		.amdhsa_group_segment_fixed_size 0
		.amdhsa_private_segment_fixed_size 0
		.amdhsa_kernarg_size 88
		.amdhsa_user_sgpr_count 2
		.amdhsa_user_sgpr_dispatch_ptr 0
		.amdhsa_user_sgpr_queue_ptr 0
		.amdhsa_user_sgpr_kernarg_segment_ptr 1
		.amdhsa_user_sgpr_dispatch_id 0
		.amdhsa_user_sgpr_kernarg_preload_length 0
		.amdhsa_user_sgpr_kernarg_preload_offset 0
		.amdhsa_user_sgpr_private_segment_size 0
		.amdhsa_wavefront_size32 1
		.amdhsa_uses_dynamic_stack 0
		.amdhsa_enable_private_segment 0
		.amdhsa_system_sgpr_workgroup_id_x 1
		.amdhsa_system_sgpr_workgroup_id_y 0
		.amdhsa_system_sgpr_workgroup_id_z 0
		.amdhsa_system_sgpr_workgroup_info 0
		.amdhsa_system_vgpr_workitem_id 0
		.amdhsa_next_free_vgpr 1
		.amdhsa_next_free_sgpr 1
		.amdhsa_named_barrier_count 0
		.amdhsa_reserve_vcc 0
		.amdhsa_float_round_mode_32 0
		.amdhsa_float_round_mode_16_64 0
		.amdhsa_float_denorm_mode_32 3
		.amdhsa_float_denorm_mode_16_64 3
		.amdhsa_fp16_overflow 0
		.amdhsa_memory_ordered 1
		.amdhsa_forward_progress 1
		.amdhsa_inst_pref_size 0
		.amdhsa_round_robin_scheduling 0
		.amdhsa_exception_fp_ieee_invalid_op 0
		.amdhsa_exception_fp_denorm_src 0
		.amdhsa_exception_fp_ieee_div_zero 0
		.amdhsa_exception_fp_ieee_overflow 0
		.amdhsa_exception_fp_ieee_underflow 0
		.amdhsa_exception_fp_ieee_inexact 0
		.amdhsa_exception_int_div_zero 0
	.end_amdhsa_kernel
	.section	.text._ZN7rocprim17ROCPRIM_400000_NS6detail17trampoline_kernelINS0_14default_configENS1_35radix_sort_onesweep_config_selectorIhNS0_10empty_typeEEEZZNS1_29radix_sort_onesweep_iterationIS3_Lb1EPKhPhPS5_SB_mNS0_19identity_decomposerENS1_16block_id_wrapperIjLb1EEEEE10hipError_tT1_PNSt15iterator_traitsISG_E10value_typeET2_T3_PNSH_ISM_E10value_typeET4_T5_PSR_SS_PNS1_23onesweep_lookback_stateEbbT6_jjT7_P12ihipStream_tbENKUlT_T0_SG_SL_E_clISA_SA_SB_SB_EEDaSZ_S10_SG_SL_EUlSZ_E_NS1_11comp_targetILNS1_3genE8ELNS1_11target_archE1030ELNS1_3gpuE2ELNS1_3repE0EEENS1_47radix_sort_onesweep_sort_config_static_selectorELNS0_4arch9wavefront6targetE0EEEvSG_,"axG",@progbits,_ZN7rocprim17ROCPRIM_400000_NS6detail17trampoline_kernelINS0_14default_configENS1_35radix_sort_onesweep_config_selectorIhNS0_10empty_typeEEEZZNS1_29radix_sort_onesweep_iterationIS3_Lb1EPKhPhPS5_SB_mNS0_19identity_decomposerENS1_16block_id_wrapperIjLb1EEEEE10hipError_tT1_PNSt15iterator_traitsISG_E10value_typeET2_T3_PNSH_ISM_E10value_typeET4_T5_PSR_SS_PNS1_23onesweep_lookback_stateEbbT6_jjT7_P12ihipStream_tbENKUlT_T0_SG_SL_E_clISA_SA_SB_SB_EEDaSZ_S10_SG_SL_EUlSZ_E_NS1_11comp_targetILNS1_3genE8ELNS1_11target_archE1030ELNS1_3gpuE2ELNS1_3repE0EEENS1_47radix_sort_onesweep_sort_config_static_selectorELNS0_4arch9wavefront6targetE0EEEvSG_,comdat
.Lfunc_end125:
	.size	_ZN7rocprim17ROCPRIM_400000_NS6detail17trampoline_kernelINS0_14default_configENS1_35radix_sort_onesweep_config_selectorIhNS0_10empty_typeEEEZZNS1_29radix_sort_onesweep_iterationIS3_Lb1EPKhPhPS5_SB_mNS0_19identity_decomposerENS1_16block_id_wrapperIjLb1EEEEE10hipError_tT1_PNSt15iterator_traitsISG_E10value_typeET2_T3_PNSH_ISM_E10value_typeET4_T5_PSR_SS_PNS1_23onesweep_lookback_stateEbbT6_jjT7_P12ihipStream_tbENKUlT_T0_SG_SL_E_clISA_SA_SB_SB_EEDaSZ_S10_SG_SL_EUlSZ_E_NS1_11comp_targetILNS1_3genE8ELNS1_11target_archE1030ELNS1_3gpuE2ELNS1_3repE0EEENS1_47radix_sort_onesweep_sort_config_static_selectorELNS0_4arch9wavefront6targetE0EEEvSG_, .Lfunc_end125-_ZN7rocprim17ROCPRIM_400000_NS6detail17trampoline_kernelINS0_14default_configENS1_35radix_sort_onesweep_config_selectorIhNS0_10empty_typeEEEZZNS1_29radix_sort_onesweep_iterationIS3_Lb1EPKhPhPS5_SB_mNS0_19identity_decomposerENS1_16block_id_wrapperIjLb1EEEEE10hipError_tT1_PNSt15iterator_traitsISG_E10value_typeET2_T3_PNSH_ISM_E10value_typeET4_T5_PSR_SS_PNS1_23onesweep_lookback_stateEbbT6_jjT7_P12ihipStream_tbENKUlT_T0_SG_SL_E_clISA_SA_SB_SB_EEDaSZ_S10_SG_SL_EUlSZ_E_NS1_11comp_targetILNS1_3genE8ELNS1_11target_archE1030ELNS1_3gpuE2ELNS1_3repE0EEENS1_47radix_sort_onesweep_sort_config_static_selectorELNS0_4arch9wavefront6targetE0EEEvSG_
                                        ; -- End function
	.set _ZN7rocprim17ROCPRIM_400000_NS6detail17trampoline_kernelINS0_14default_configENS1_35radix_sort_onesweep_config_selectorIhNS0_10empty_typeEEEZZNS1_29radix_sort_onesweep_iterationIS3_Lb1EPKhPhPS5_SB_mNS0_19identity_decomposerENS1_16block_id_wrapperIjLb1EEEEE10hipError_tT1_PNSt15iterator_traitsISG_E10value_typeET2_T3_PNSH_ISM_E10value_typeET4_T5_PSR_SS_PNS1_23onesweep_lookback_stateEbbT6_jjT7_P12ihipStream_tbENKUlT_T0_SG_SL_E_clISA_SA_SB_SB_EEDaSZ_S10_SG_SL_EUlSZ_E_NS1_11comp_targetILNS1_3genE8ELNS1_11target_archE1030ELNS1_3gpuE2ELNS1_3repE0EEENS1_47radix_sort_onesweep_sort_config_static_selectorELNS0_4arch9wavefront6targetE0EEEvSG_.num_vgpr, 0
	.set _ZN7rocprim17ROCPRIM_400000_NS6detail17trampoline_kernelINS0_14default_configENS1_35radix_sort_onesweep_config_selectorIhNS0_10empty_typeEEEZZNS1_29radix_sort_onesweep_iterationIS3_Lb1EPKhPhPS5_SB_mNS0_19identity_decomposerENS1_16block_id_wrapperIjLb1EEEEE10hipError_tT1_PNSt15iterator_traitsISG_E10value_typeET2_T3_PNSH_ISM_E10value_typeET4_T5_PSR_SS_PNS1_23onesweep_lookback_stateEbbT6_jjT7_P12ihipStream_tbENKUlT_T0_SG_SL_E_clISA_SA_SB_SB_EEDaSZ_S10_SG_SL_EUlSZ_E_NS1_11comp_targetILNS1_3genE8ELNS1_11target_archE1030ELNS1_3gpuE2ELNS1_3repE0EEENS1_47radix_sort_onesweep_sort_config_static_selectorELNS0_4arch9wavefront6targetE0EEEvSG_.num_agpr, 0
	.set _ZN7rocprim17ROCPRIM_400000_NS6detail17trampoline_kernelINS0_14default_configENS1_35radix_sort_onesweep_config_selectorIhNS0_10empty_typeEEEZZNS1_29radix_sort_onesweep_iterationIS3_Lb1EPKhPhPS5_SB_mNS0_19identity_decomposerENS1_16block_id_wrapperIjLb1EEEEE10hipError_tT1_PNSt15iterator_traitsISG_E10value_typeET2_T3_PNSH_ISM_E10value_typeET4_T5_PSR_SS_PNS1_23onesweep_lookback_stateEbbT6_jjT7_P12ihipStream_tbENKUlT_T0_SG_SL_E_clISA_SA_SB_SB_EEDaSZ_S10_SG_SL_EUlSZ_E_NS1_11comp_targetILNS1_3genE8ELNS1_11target_archE1030ELNS1_3gpuE2ELNS1_3repE0EEENS1_47radix_sort_onesweep_sort_config_static_selectorELNS0_4arch9wavefront6targetE0EEEvSG_.numbered_sgpr, 0
	.set _ZN7rocprim17ROCPRIM_400000_NS6detail17trampoline_kernelINS0_14default_configENS1_35radix_sort_onesweep_config_selectorIhNS0_10empty_typeEEEZZNS1_29radix_sort_onesweep_iterationIS3_Lb1EPKhPhPS5_SB_mNS0_19identity_decomposerENS1_16block_id_wrapperIjLb1EEEEE10hipError_tT1_PNSt15iterator_traitsISG_E10value_typeET2_T3_PNSH_ISM_E10value_typeET4_T5_PSR_SS_PNS1_23onesweep_lookback_stateEbbT6_jjT7_P12ihipStream_tbENKUlT_T0_SG_SL_E_clISA_SA_SB_SB_EEDaSZ_S10_SG_SL_EUlSZ_E_NS1_11comp_targetILNS1_3genE8ELNS1_11target_archE1030ELNS1_3gpuE2ELNS1_3repE0EEENS1_47radix_sort_onesweep_sort_config_static_selectorELNS0_4arch9wavefront6targetE0EEEvSG_.num_named_barrier, 0
	.set _ZN7rocprim17ROCPRIM_400000_NS6detail17trampoline_kernelINS0_14default_configENS1_35radix_sort_onesweep_config_selectorIhNS0_10empty_typeEEEZZNS1_29radix_sort_onesweep_iterationIS3_Lb1EPKhPhPS5_SB_mNS0_19identity_decomposerENS1_16block_id_wrapperIjLb1EEEEE10hipError_tT1_PNSt15iterator_traitsISG_E10value_typeET2_T3_PNSH_ISM_E10value_typeET4_T5_PSR_SS_PNS1_23onesweep_lookback_stateEbbT6_jjT7_P12ihipStream_tbENKUlT_T0_SG_SL_E_clISA_SA_SB_SB_EEDaSZ_S10_SG_SL_EUlSZ_E_NS1_11comp_targetILNS1_3genE8ELNS1_11target_archE1030ELNS1_3gpuE2ELNS1_3repE0EEENS1_47radix_sort_onesweep_sort_config_static_selectorELNS0_4arch9wavefront6targetE0EEEvSG_.private_seg_size, 0
	.set _ZN7rocprim17ROCPRIM_400000_NS6detail17trampoline_kernelINS0_14default_configENS1_35radix_sort_onesweep_config_selectorIhNS0_10empty_typeEEEZZNS1_29radix_sort_onesweep_iterationIS3_Lb1EPKhPhPS5_SB_mNS0_19identity_decomposerENS1_16block_id_wrapperIjLb1EEEEE10hipError_tT1_PNSt15iterator_traitsISG_E10value_typeET2_T3_PNSH_ISM_E10value_typeET4_T5_PSR_SS_PNS1_23onesweep_lookback_stateEbbT6_jjT7_P12ihipStream_tbENKUlT_T0_SG_SL_E_clISA_SA_SB_SB_EEDaSZ_S10_SG_SL_EUlSZ_E_NS1_11comp_targetILNS1_3genE8ELNS1_11target_archE1030ELNS1_3gpuE2ELNS1_3repE0EEENS1_47radix_sort_onesweep_sort_config_static_selectorELNS0_4arch9wavefront6targetE0EEEvSG_.uses_vcc, 0
	.set _ZN7rocprim17ROCPRIM_400000_NS6detail17trampoline_kernelINS0_14default_configENS1_35radix_sort_onesweep_config_selectorIhNS0_10empty_typeEEEZZNS1_29radix_sort_onesweep_iterationIS3_Lb1EPKhPhPS5_SB_mNS0_19identity_decomposerENS1_16block_id_wrapperIjLb1EEEEE10hipError_tT1_PNSt15iterator_traitsISG_E10value_typeET2_T3_PNSH_ISM_E10value_typeET4_T5_PSR_SS_PNS1_23onesweep_lookback_stateEbbT6_jjT7_P12ihipStream_tbENKUlT_T0_SG_SL_E_clISA_SA_SB_SB_EEDaSZ_S10_SG_SL_EUlSZ_E_NS1_11comp_targetILNS1_3genE8ELNS1_11target_archE1030ELNS1_3gpuE2ELNS1_3repE0EEENS1_47radix_sort_onesweep_sort_config_static_selectorELNS0_4arch9wavefront6targetE0EEEvSG_.uses_flat_scratch, 0
	.set _ZN7rocprim17ROCPRIM_400000_NS6detail17trampoline_kernelINS0_14default_configENS1_35radix_sort_onesweep_config_selectorIhNS0_10empty_typeEEEZZNS1_29radix_sort_onesweep_iterationIS3_Lb1EPKhPhPS5_SB_mNS0_19identity_decomposerENS1_16block_id_wrapperIjLb1EEEEE10hipError_tT1_PNSt15iterator_traitsISG_E10value_typeET2_T3_PNSH_ISM_E10value_typeET4_T5_PSR_SS_PNS1_23onesweep_lookback_stateEbbT6_jjT7_P12ihipStream_tbENKUlT_T0_SG_SL_E_clISA_SA_SB_SB_EEDaSZ_S10_SG_SL_EUlSZ_E_NS1_11comp_targetILNS1_3genE8ELNS1_11target_archE1030ELNS1_3gpuE2ELNS1_3repE0EEENS1_47radix_sort_onesweep_sort_config_static_selectorELNS0_4arch9wavefront6targetE0EEEvSG_.has_dyn_sized_stack, 0
	.set _ZN7rocprim17ROCPRIM_400000_NS6detail17trampoline_kernelINS0_14default_configENS1_35radix_sort_onesweep_config_selectorIhNS0_10empty_typeEEEZZNS1_29radix_sort_onesweep_iterationIS3_Lb1EPKhPhPS5_SB_mNS0_19identity_decomposerENS1_16block_id_wrapperIjLb1EEEEE10hipError_tT1_PNSt15iterator_traitsISG_E10value_typeET2_T3_PNSH_ISM_E10value_typeET4_T5_PSR_SS_PNS1_23onesweep_lookback_stateEbbT6_jjT7_P12ihipStream_tbENKUlT_T0_SG_SL_E_clISA_SA_SB_SB_EEDaSZ_S10_SG_SL_EUlSZ_E_NS1_11comp_targetILNS1_3genE8ELNS1_11target_archE1030ELNS1_3gpuE2ELNS1_3repE0EEENS1_47radix_sort_onesweep_sort_config_static_selectorELNS0_4arch9wavefront6targetE0EEEvSG_.has_recursion, 0
	.set _ZN7rocprim17ROCPRIM_400000_NS6detail17trampoline_kernelINS0_14default_configENS1_35radix_sort_onesweep_config_selectorIhNS0_10empty_typeEEEZZNS1_29radix_sort_onesweep_iterationIS3_Lb1EPKhPhPS5_SB_mNS0_19identity_decomposerENS1_16block_id_wrapperIjLb1EEEEE10hipError_tT1_PNSt15iterator_traitsISG_E10value_typeET2_T3_PNSH_ISM_E10value_typeET4_T5_PSR_SS_PNS1_23onesweep_lookback_stateEbbT6_jjT7_P12ihipStream_tbENKUlT_T0_SG_SL_E_clISA_SA_SB_SB_EEDaSZ_S10_SG_SL_EUlSZ_E_NS1_11comp_targetILNS1_3genE8ELNS1_11target_archE1030ELNS1_3gpuE2ELNS1_3repE0EEENS1_47radix_sort_onesweep_sort_config_static_selectorELNS0_4arch9wavefront6targetE0EEEvSG_.has_indirect_call, 0
	.section	.AMDGPU.csdata,"",@progbits
; Kernel info:
; codeLenInByte = 0
; TotalNumSgprs: 0
; NumVgprs: 0
; ScratchSize: 0
; MemoryBound: 0
; FloatMode: 240
; IeeeMode: 1
; LDSByteSize: 0 bytes/workgroup (compile time only)
; SGPRBlocks: 0
; VGPRBlocks: 0
; NumSGPRsForWavesPerEU: 1
; NumVGPRsForWavesPerEU: 1
; NamedBarCnt: 0
; Occupancy: 16
; WaveLimiterHint : 0
; COMPUTE_PGM_RSRC2:SCRATCH_EN: 0
; COMPUTE_PGM_RSRC2:USER_SGPR: 2
; COMPUTE_PGM_RSRC2:TRAP_HANDLER: 0
; COMPUTE_PGM_RSRC2:TGID_X_EN: 1
; COMPUTE_PGM_RSRC2:TGID_Y_EN: 0
; COMPUTE_PGM_RSRC2:TGID_Z_EN: 0
; COMPUTE_PGM_RSRC2:TIDIG_COMP_CNT: 0
	.section	.text._ZN7rocprim17ROCPRIM_400000_NS6detail17trampoline_kernelINS0_14default_configENS1_35radix_sort_onesweep_config_selectorIhNS0_10empty_typeEEEZZNS1_29radix_sort_onesweep_iterationIS3_Lb1EPKhPhPS5_SB_mNS0_19identity_decomposerENS1_16block_id_wrapperIjLb0EEEEE10hipError_tT1_PNSt15iterator_traitsISG_E10value_typeET2_T3_PNSH_ISM_E10value_typeET4_T5_PSR_SS_PNS1_23onesweep_lookback_stateEbbT6_jjT7_P12ihipStream_tbENKUlT_T0_SG_SL_E_clIS9_SA_SB_SB_EEDaSZ_S10_SG_SL_EUlSZ_E_NS1_11comp_targetILNS1_3genE0ELNS1_11target_archE4294967295ELNS1_3gpuE0ELNS1_3repE0EEENS1_47radix_sort_onesweep_sort_config_static_selectorELNS0_4arch9wavefront6targetE0EEEvSG_,"axG",@progbits,_ZN7rocprim17ROCPRIM_400000_NS6detail17trampoline_kernelINS0_14default_configENS1_35radix_sort_onesweep_config_selectorIhNS0_10empty_typeEEEZZNS1_29radix_sort_onesweep_iterationIS3_Lb1EPKhPhPS5_SB_mNS0_19identity_decomposerENS1_16block_id_wrapperIjLb0EEEEE10hipError_tT1_PNSt15iterator_traitsISG_E10value_typeET2_T3_PNSH_ISM_E10value_typeET4_T5_PSR_SS_PNS1_23onesweep_lookback_stateEbbT6_jjT7_P12ihipStream_tbENKUlT_T0_SG_SL_E_clIS9_SA_SB_SB_EEDaSZ_S10_SG_SL_EUlSZ_E_NS1_11comp_targetILNS1_3genE0ELNS1_11target_archE4294967295ELNS1_3gpuE0ELNS1_3repE0EEENS1_47radix_sort_onesweep_sort_config_static_selectorELNS0_4arch9wavefront6targetE0EEEvSG_,comdat
	.protected	_ZN7rocprim17ROCPRIM_400000_NS6detail17trampoline_kernelINS0_14default_configENS1_35radix_sort_onesweep_config_selectorIhNS0_10empty_typeEEEZZNS1_29radix_sort_onesweep_iterationIS3_Lb1EPKhPhPS5_SB_mNS0_19identity_decomposerENS1_16block_id_wrapperIjLb0EEEEE10hipError_tT1_PNSt15iterator_traitsISG_E10value_typeET2_T3_PNSH_ISM_E10value_typeET4_T5_PSR_SS_PNS1_23onesweep_lookback_stateEbbT6_jjT7_P12ihipStream_tbENKUlT_T0_SG_SL_E_clIS9_SA_SB_SB_EEDaSZ_S10_SG_SL_EUlSZ_E_NS1_11comp_targetILNS1_3genE0ELNS1_11target_archE4294967295ELNS1_3gpuE0ELNS1_3repE0EEENS1_47radix_sort_onesweep_sort_config_static_selectorELNS0_4arch9wavefront6targetE0EEEvSG_ ; -- Begin function _ZN7rocprim17ROCPRIM_400000_NS6detail17trampoline_kernelINS0_14default_configENS1_35radix_sort_onesweep_config_selectorIhNS0_10empty_typeEEEZZNS1_29radix_sort_onesweep_iterationIS3_Lb1EPKhPhPS5_SB_mNS0_19identity_decomposerENS1_16block_id_wrapperIjLb0EEEEE10hipError_tT1_PNSt15iterator_traitsISG_E10value_typeET2_T3_PNSH_ISM_E10value_typeET4_T5_PSR_SS_PNS1_23onesweep_lookback_stateEbbT6_jjT7_P12ihipStream_tbENKUlT_T0_SG_SL_E_clIS9_SA_SB_SB_EEDaSZ_S10_SG_SL_EUlSZ_E_NS1_11comp_targetILNS1_3genE0ELNS1_11target_archE4294967295ELNS1_3gpuE0ELNS1_3repE0EEENS1_47radix_sort_onesweep_sort_config_static_selectorELNS0_4arch9wavefront6targetE0EEEvSG_
	.globl	_ZN7rocprim17ROCPRIM_400000_NS6detail17trampoline_kernelINS0_14default_configENS1_35radix_sort_onesweep_config_selectorIhNS0_10empty_typeEEEZZNS1_29radix_sort_onesweep_iterationIS3_Lb1EPKhPhPS5_SB_mNS0_19identity_decomposerENS1_16block_id_wrapperIjLb0EEEEE10hipError_tT1_PNSt15iterator_traitsISG_E10value_typeET2_T3_PNSH_ISM_E10value_typeET4_T5_PSR_SS_PNS1_23onesweep_lookback_stateEbbT6_jjT7_P12ihipStream_tbENKUlT_T0_SG_SL_E_clIS9_SA_SB_SB_EEDaSZ_S10_SG_SL_EUlSZ_E_NS1_11comp_targetILNS1_3genE0ELNS1_11target_archE4294967295ELNS1_3gpuE0ELNS1_3repE0EEENS1_47radix_sort_onesweep_sort_config_static_selectorELNS0_4arch9wavefront6targetE0EEEvSG_
	.p2align	8
	.type	_ZN7rocprim17ROCPRIM_400000_NS6detail17trampoline_kernelINS0_14default_configENS1_35radix_sort_onesweep_config_selectorIhNS0_10empty_typeEEEZZNS1_29radix_sort_onesweep_iterationIS3_Lb1EPKhPhPS5_SB_mNS0_19identity_decomposerENS1_16block_id_wrapperIjLb0EEEEE10hipError_tT1_PNSt15iterator_traitsISG_E10value_typeET2_T3_PNSH_ISM_E10value_typeET4_T5_PSR_SS_PNS1_23onesweep_lookback_stateEbbT6_jjT7_P12ihipStream_tbENKUlT_T0_SG_SL_E_clIS9_SA_SB_SB_EEDaSZ_S10_SG_SL_EUlSZ_E_NS1_11comp_targetILNS1_3genE0ELNS1_11target_archE4294967295ELNS1_3gpuE0ELNS1_3repE0EEENS1_47radix_sort_onesweep_sort_config_static_selectorELNS0_4arch9wavefront6targetE0EEEvSG_,@function
_ZN7rocprim17ROCPRIM_400000_NS6detail17trampoline_kernelINS0_14default_configENS1_35radix_sort_onesweep_config_selectorIhNS0_10empty_typeEEEZZNS1_29radix_sort_onesweep_iterationIS3_Lb1EPKhPhPS5_SB_mNS0_19identity_decomposerENS1_16block_id_wrapperIjLb0EEEEE10hipError_tT1_PNSt15iterator_traitsISG_E10value_typeET2_T3_PNSH_ISM_E10value_typeET4_T5_PSR_SS_PNS1_23onesweep_lookback_stateEbbT6_jjT7_P12ihipStream_tbENKUlT_T0_SG_SL_E_clIS9_SA_SB_SB_EEDaSZ_S10_SG_SL_EUlSZ_E_NS1_11comp_targetILNS1_3genE0ELNS1_11target_archE4294967295ELNS1_3gpuE0ELNS1_3repE0EEENS1_47radix_sort_onesweep_sort_config_static_selectorELNS0_4arch9wavefront6targetE0EEEvSG_: ; @_ZN7rocprim17ROCPRIM_400000_NS6detail17trampoline_kernelINS0_14default_configENS1_35radix_sort_onesweep_config_selectorIhNS0_10empty_typeEEEZZNS1_29radix_sort_onesweep_iterationIS3_Lb1EPKhPhPS5_SB_mNS0_19identity_decomposerENS1_16block_id_wrapperIjLb0EEEEE10hipError_tT1_PNSt15iterator_traitsISG_E10value_typeET2_T3_PNSH_ISM_E10value_typeET4_T5_PSR_SS_PNS1_23onesweep_lookback_stateEbbT6_jjT7_P12ihipStream_tbENKUlT_T0_SG_SL_E_clIS9_SA_SB_SB_EEDaSZ_S10_SG_SL_EUlSZ_E_NS1_11comp_targetILNS1_3genE0ELNS1_11target_archE4294967295ELNS1_3gpuE0ELNS1_3repE0EEENS1_47radix_sort_onesweep_sort_config_static_selectorELNS0_4arch9wavefront6targetE0EEEvSG_
; %bb.0:
	s_clause 0x3
	s_load_b96 s[16:18], s[0:1], 0x44
	s_load_b64 s[20:21], s[0:1], 0x38
	s_load_b128 s[12:15], s[0:1], 0x0
	s_load_b128 s[8:11], s[0:1], 0x28
	s_bfe_u32 s2, ttmp6, 0x4000c
	s_and_b32 s3, ttmp6, 15
	s_add_co_i32 s2, s2, 1
	s_getreg_b32 s4, hwreg(HW_REG_IB_STS2, 6, 4)
	s_mul_i32 s2, ttmp9, s2
	v_mul_u32_u24_e32 v6, 22, v0
	s_add_co_i32 s3, s3, s2
	s_cmp_eq_u32 s4, 0
	s_mov_b32 s23, 0
	s_cselect_b32 s19, ttmp9, s3
	s_mov_b32 s2, -1
	s_mul_i32 s22, s19, 0x5800
	s_wait_kmcnt 0x0
	s_cmp_ge_u32 s19, s18
	s_cbranch_scc0 .LBB126_112
; %bb.1:
	s_load_b32 s4, s[0:1], 0x20
	v_dual_mov_b32 v7, 0 :: v_dual_mov_b32 v24, 0
	s_add_nc_u64 s[2:3], s[12:13], s[22:23]
	v_dual_mov_b32 v23, 0 :: v_dual_mov_b32 v22, 0
	s_delay_alu instid0(VALU_DEP_2)
	v_add_nc_u64_e32 v[2:3], s[2:3], v[6:7]
	v_dual_mov_b32 v21, 0 :: v_dual_mov_b32 v20, 0
	v_dual_mov_b32 v19, 0 :: v_dual_mov_b32 v18, 0
	v_dual_mov_b32 v17, 0 :: v_dual_mov_b32 v16, 0
	v_dual_mov_b32 v15, 0 :: v_dual_mov_b32 v14, 0
	v_dual_mov_b32 v13, 0 :: v_dual_mov_b32 v12, 0
	v_dual_mov_b32 v11, 0 :: v_dual_mov_b32 v10, 0
	v_dual_mov_b32 v9, 0 :: v_dual_mov_b32 v8, 0
	v_dual_mov_b32 v5, 0 :: v_dual_mov_b32 v4, 0
	v_mov_b32_e32 v1, 0
	s_mul_i32 s5, s18, 0xffffa800
	s_mov_b32 s2, exec_lo
	s_wait_kmcnt 0x0
	s_add_co_i32 s18, s4, s5
	s_delay_alu instid0(SALU_CYCLE_1)
	v_cmpx_gt_u32_e64 s18, v6
	s_cbranch_execz .LBB126_3
; %bb.2:
	global_load_u8 v24, v[2:3], off
	v_dual_mov_b32 v23, 0 :: v_dual_mov_b32 v22, 0
	v_dual_mov_b32 v21, 0 :: v_dual_mov_b32 v20, 0
	;; [unrolled: 1-line block ×9, first 2 shown]
	v_mov_b32_e32 v1, 0
.LBB126_3:
	s_wait_xcnt 0x0
	s_or_b32 exec_lo, exec_lo, s2
	v_or_b32_e32 v25, 1, v6
	s_delay_alu instid0(VALU_DEP_1)
	v_cmp_gt_u32_e32 vcc_lo, s18, v25
	v_mov_b32_e32 v25, v7
	s_and_saveexec_b32 s2, vcc_lo
	s_cbranch_execz .LBB126_5
; %bb.4:
	global_load_u8 v25, v[2:3], off offset:1
.LBB126_5:
	s_wait_xcnt 0x0
	s_or_b32 exec_lo, exec_lo, s2
	v_add_nc_u32_e32 v26, 2, v6
	s_mov_b32 s2, exec_lo
	s_delay_alu instid0(VALU_DEP_1)
	v_cmpx_gt_u32_e64 s18, v26
	s_cbranch_execz .LBB126_7
; %bb.6:
	global_load_u8 v7, v[2:3], off offset:2
.LBB126_7:
	s_wait_xcnt 0x0
	s_or_b32 exec_lo, exec_lo, s2
	v_add_nc_u32_e32 v26, 3, v6
	s_mov_b32 s2, exec_lo
	s_delay_alu instid0(VALU_DEP_1)
	v_cmpx_gt_u32_e64 s18, v26
	;; [unrolled: 10-line block ×20, first 2 shown]
	s_cbranch_execz .LBB126_45
; %bb.44:
	global_load_u8 v1, v[2:3], off offset:21
.LBB126_45:
	s_wait_xcnt 0x0
	s_or_b32 exec_lo, exec_lo, s2
	s_wait_loadcnt 0x0
	v_xor_b32_e32 v24, -1, v24
	s_lshl_b32 s23, -1, s17
	v_dual_mov_b32 v27, 0 :: v_dual_lshlrev_b32 v26, 2, v0
	v_xor_b32_e32 v25, -1, v25
	s_delay_alu instid0(VALU_DEP_3)
	v_and_b32_e32 v2, 0xff, v24
	v_xor_b32_e32 v7, -1, v7
	v_xor_b32_e32 v23, -1, v23
	ds_store_2addr_stride64_b32 v26, v27, v27 offset1:16
	ds_store_2addr_stride64_b32 v26, v27, v27 offset0:32 offset1:48
	ds_store_2addr_stride64_b32 v26, v27, v27 offset0:64 offset1:80
	;; [unrolled: 1-line block ×3, first 2 shown]
	v_lshrrev_b32_e32 v2, s16, v2
	v_and_b32_e32 v28, 0xff, v25
	v_and_b32_e32 v30, 0xff, v23
	v_xor_b32_e32 v21, -1, v21
	v_xor_b32_e32 v19, -1, v19
	v_bitop3_b32 v2, v2, s23, v2 bitop3:0x30
	v_xor_b32_e32 v17, -1, v17
	v_xor_b32_e32 v16, -1, v16
	;; [unrolled: 1-line block ×3, first 2 shown]
	s_delay_alu instid0(VALU_DEP_4) | instskip(SKIP_3) | instid1(VALU_DEP_4)
	v_dual_lshlrev_b32 v3, 10, v2 :: v_dual_bitop2_b32 v13, -1, v13 bitop3:0x14
	v_dual_lshrrev_b32 v2, 2, v2 :: v_dual_bitop2_b32 v12, -1, v12 bitop3:0x14
	v_xor_b32_e32 v22, -1, v22
	v_xor_b32_e32 v20, -1, v20
	v_and_or_b32 v3, 0x1c00, v3, v0
	s_delay_alu instid0(VALU_DEP_4)
	v_and_b32_e32 v2, 62, v2
	v_xor_b32_e32 v18, -1, v18
	v_xor_b32_e32 v14, -1, v14
	;; [unrolled: 1-line block ×4, first 2 shown]
	v_lshl_add_u32 v2, v3, 2, v2
	v_lshrrev_b32_e32 v3, s16, v28
	v_and_b32_e32 v28, 0xff, v7
	v_xor_b32_e32 v9, -1, v9
	v_xor_b32_e32 v8, -1, v8
	ds_load_u16 v26, v2
	v_bitop3_b32 v3, v3, s23, v3 bitop3:0x30
	s_delay_alu instid0(VALU_DEP_1) | instskip(SKIP_1) | instid1(VALU_DEP_2)
	v_dual_lshrrev_b32 v28, s16, v28 :: v_dual_lshlrev_b32 v27, 10, v3
	v_lshrrev_b32_e32 v3, 2, v3
	v_bitop3_b32 v28, v28, s23, v28 bitop3:0x30
	s_delay_alu instid0(VALU_DEP_3) | instskip(NEXT) | instid1(VALU_DEP_3)
	v_and_or_b32 v27, 0x1c00, v27, v0
	v_and_b32_e32 v3, 62, v3
	s_wait_dscnt 0x0
	v_add_nc_u16 v29, v26, 1
	ds_store_b16 v2, v29
	v_dual_lshlrev_b32 v29, 10, v28 :: v_dual_lshrrev_b32 v28, 2, v28
	v_lshl_add_u32 v3, v27, 2, v3
	s_delay_alu instid0(VALU_DEP_2) | instskip(NEXT) | instid1(VALU_DEP_3)
	v_and_or_b32 v29, 0x1c00, v29, v0
	v_and_b32_e32 v28, 62, v28
	ds_load_u16 v27, v3
	v_lshl_add_u32 v34, v29, 2, v28
	v_lshrrev_b32_e32 v29, s16, v30
	s_delay_alu instid0(VALU_DEP_1) | instskip(NEXT) | instid1(VALU_DEP_1)
	v_bitop3_b32 v29, v29, s23, v29 bitop3:0x30
	v_dual_lshlrev_b32 v30, 10, v29 :: v_dual_lshrrev_b32 v29, 2, v29
	s_wait_dscnt 0x0
	v_add_nc_u16 v31, v27, 1
	s_delay_alu instid0(VALU_DEP_2) | instskip(SKIP_4) | instid1(VALU_DEP_1)
	v_and_or_b32 v30, 0x1c00, v30, v0
	ds_store_b16 v3, v31
	ds_load_u16 v28, v34
	v_and_b32_e32 v31, 0xff, v22
	v_and_b32_e32 v29, 62, v29
	v_lshl_add_u32 v36, v30, 2, v29
	s_delay_alu instid0(VALU_DEP_3) | instskip(NEXT) | instid1(VALU_DEP_1)
	v_lshrrev_b32_e32 v30, s16, v31
	v_bitop3_b32 v30, v30, s23, v30 bitop3:0x30
	s_delay_alu instid0(VALU_DEP_1) | instskip(SKIP_2) | instid1(VALU_DEP_2)
	v_dual_lshlrev_b32 v31, 10, v30 :: v_dual_lshrrev_b32 v30, 2, v30
	s_wait_dscnt 0x0
	v_add_nc_u16 v32, v28, 1
	v_and_or_b32 v31, 0x1c00, v31, v0
	s_delay_alu instid0(VALU_DEP_3) | instskip(SKIP_4) | instid1(VALU_DEP_2)
	v_and_b32_e32 v30, 62, v30
	ds_store_b16 v34, v32
	ds_load_u16 v29, v36
	v_and_b32_e32 v32, 0xff, v21
	v_lshl_add_u32 v38, v31, 2, v30
	v_lshrrev_b32_e32 v31, s16, v32
	s_delay_alu instid0(VALU_DEP_1) | instskip(NEXT) | instid1(VALU_DEP_1)
	v_bitop3_b32 v31, v31, s23, v31 bitop3:0x30
	v_dual_lshlrev_b32 v32, 10, v31 :: v_dual_lshrrev_b32 v31, 2, v31
	s_wait_dscnt 0x0
	v_add_nc_u16 v33, v29, 1
	s_delay_alu instid0(VALU_DEP_2) | instskip(SKIP_4) | instid1(VALU_DEP_1)
	v_and_or_b32 v32, 0x1c00, v32, v0
	ds_store_b16 v36, v33
	ds_load_u16 v30, v38
	v_and_b32_e32 v33, 0xff, v20
	v_and_b32_e32 v31, 62, v31
	v_lshl_add_u32 v40, v32, 2, v31
	s_delay_alu instid0(VALU_DEP_3) | instskip(NEXT) | instid1(VALU_DEP_1)
	v_lshrrev_b32_e32 v32, s16, v33
	v_bitop3_b32 v32, v32, s23, v32 bitop3:0x30
	s_delay_alu instid0(VALU_DEP_1) | instskip(SKIP_2) | instid1(VALU_DEP_2)
	v_dual_lshlrev_b32 v33, 10, v32 :: v_dual_lshrrev_b32 v32, 2, v32
	s_wait_dscnt 0x0
	v_add_nc_u16 v35, v30, 1
	v_and_or_b32 v33, 0x1c00, v33, v0
	ds_store_b16 v38, v35
	ds_load_u16 v31, v40
	v_and_b32_e32 v35, 0xff, v19
	v_and_b32_e32 v32, 62, v32
	s_delay_alu instid0(VALU_DEP_1) | instskip(NEXT) | instid1(VALU_DEP_3)
	v_lshl_add_u32 v42, v33, 2, v32
	v_lshrrev_b32_e32 v33, s16, v35
	s_delay_alu instid0(VALU_DEP_1) | instskip(NEXT) | instid1(VALU_DEP_1)
	v_bitop3_b32 v33, v33, s23, v33 bitop3:0x30
	v_dual_lshlrev_b32 v35, 10, v33 :: v_dual_lshrrev_b32 v33, 2, v33
	s_wait_dscnt 0x0
	v_add_nc_u16 v37, v31, 1
	s_delay_alu instid0(VALU_DEP_2) | instskip(NEXT) | instid1(VALU_DEP_3)
	v_and_or_b32 v35, 0x1c00, v35, v0
	v_and_b32_e32 v33, 62, v33
	ds_store_b16 v40, v37
	ds_load_u16 v32, v42
	v_and_b32_e32 v37, 0xff, v18
	v_lshl_add_u32 v45, v35, 2, v33
	s_wait_dscnt 0x0
	v_add_nc_u16 v39, v32, 1
	ds_store_b16 v42, v39
	ds_load_u16 v33, v45
	v_and_b32_e32 v39, 0xff, v17
	v_lshrrev_b32_e32 v35, s16, v37
	s_delay_alu instid0(VALU_DEP_1) | instskip(NEXT) | instid1(VALU_DEP_1)
	v_bitop3_b32 v35, v35, s23, v35 bitop3:0x30
	v_dual_lshlrev_b32 v37, 10, v35 :: v_dual_lshrrev_b32 v35, 2, v35
	s_delay_alu instid0(VALU_DEP_1) | instskip(NEXT) | instid1(VALU_DEP_2)
	v_and_or_b32 v37, 0x1c00, v37, v0
	v_and_b32_e32 v35, 62, v35
	s_wait_dscnt 0x0
	v_add_nc_u16 v41, v33, 1
	s_delay_alu instid0(VALU_DEP_2)
	v_lshl_add_u32 v48, v37, 2, v35
	v_lshrrev_b32_e32 v37, s16, v39
	ds_store_b16 v45, v41
	v_and_b32_e32 v41, 0xff, v16
	ds_load_u16 v35, v48
	v_bitop3_b32 v37, v37, s23, v37 bitop3:0x30
	s_delay_alu instid0(VALU_DEP_1) | instskip(NEXT) | instid1(VALU_DEP_1)
	v_dual_lshlrev_b32 v39, 10, v37 :: v_dual_lshrrev_b32 v37, 2, v37
	v_and_or_b32 v39, 0x1c00, v39, v0
	s_delay_alu instid0(VALU_DEP_2) | instskip(NEXT) | instid1(VALU_DEP_1)
	v_and_b32_e32 v37, 62, v37
	v_lshl_add_u32 v51, v39, 2, v37
	v_lshrrev_b32_e32 v39, s16, v41
	s_wait_dscnt 0x0
	v_add_nc_u16 v43, v35, 1
	s_delay_alu instid0(VALU_DEP_2) | instskip(SKIP_4) | instid1(VALU_DEP_1)
	v_bitop3_b32 v39, v39, s23, v39 bitop3:0x30
	ds_store_b16 v48, v43
	ds_load_u16 v37, v51
	v_and_b32_e32 v43, 0xff, v15
	v_dual_lshlrev_b32 v41, 10, v39 :: v_dual_lshrrev_b32 v39, 2, v39
	v_and_or_b32 v41, 0x1c00, v41, v0
	s_delay_alu instid0(VALU_DEP_2) | instskip(NEXT) | instid1(VALU_DEP_1)
	v_and_b32_e32 v39, 62, v39
	v_lshl_add_u32 v53, v41, 2, v39
	v_lshrrev_b32_e32 v41, s16, v43
	s_delay_alu instid0(VALU_DEP_1) | instskip(SKIP_2) | instid1(VALU_DEP_2)
	v_bitop3_b32 v41, v41, s23, v41 bitop3:0x30
	s_wait_dscnt 0x0
	v_add_nc_u16 v44, v37, 1
	v_lshlrev_b32_e32 v43, 10, v41
	ds_store_b16 v51, v44
	ds_load_u16 v39, v53
	v_lshrrev_b32_e32 v41, 2, v41
	v_and_b32_e32 v44, 0xff, v14
	v_and_or_b32 v43, 0x1c00, v43, v0
	s_delay_alu instid0(VALU_DEP_3) | instskip(NEXT) | instid1(VALU_DEP_1)
	v_and_b32_e32 v41, 62, v41
	v_lshl_add_u32 v55, v43, 2, v41
	s_delay_alu instid0(VALU_DEP_4) | instskip(NEXT) | instid1(VALU_DEP_1)
	v_lshrrev_b32_e32 v43, s16, v44
	v_bitop3_b32 v43, v43, s23, v43 bitop3:0x30
	s_wait_dscnt 0x0
	v_add_nc_u16 v46, v39, 1
	s_delay_alu instid0(VALU_DEP_2)
	v_dual_lshlrev_b32 v44, 10, v43 :: v_dual_lshrrev_b32 v43, 2, v43
	ds_store_b16 v53, v46
	ds_load_u16 v41, v55
	v_and_or_b32 v44, 0x1c00, v44, v0
	v_and_b32_e32 v43, 62, v43
	v_and_b32_e32 v46, 0xff, v13
	s_delay_alu instid0(VALU_DEP_2) | instskip(NEXT) | instid1(VALU_DEP_2)
	v_lshl_add_u32 v57, v44, 2, v43
	v_lshrrev_b32_e32 v44, s16, v46
	s_delay_alu instid0(VALU_DEP_1) | instskip(NEXT) | instid1(VALU_DEP_1)
	v_bitop3_b32 v44, v44, s23, v44 bitop3:0x30
	v_dual_lshlrev_b32 v46, 10, v44 :: v_dual_lshrrev_b32 v44, 2, v44
	s_wait_dscnt 0x0
	v_add_nc_u16 v47, v41, 1
	s_delay_alu instid0(VALU_DEP_2) | instskip(NEXT) | instid1(VALU_DEP_3)
	v_and_or_b32 v46, 0x1c00, v46, v0
	v_and_b32_e32 v44, 62, v44
	ds_store_b16 v55, v47
	ds_load_u16 v43, v57
	v_and_b32_e32 v47, 0xff, v12
	v_lshl_add_u32 v58, v46, 2, v44
	s_delay_alu instid0(VALU_DEP_2) | instskip(NEXT) | instid1(VALU_DEP_1)
	v_lshrrev_b32_e32 v44, s16, v47
	v_bitop3_b32 v44, v44, s23, v44 bitop3:0x30
	s_delay_alu instid0(VALU_DEP_1) | instskip(SKIP_2) | instid1(VALU_DEP_2)
	v_dual_lshlrev_b32 v47, 10, v44 :: v_dual_lshrrev_b32 v44, 2, v44
	s_wait_dscnt 0x0
	v_add_nc_u16 v49, v43, 1
	v_and_or_b32 v47, 0x1c00, v47, v0
	s_delay_alu instid0(VALU_DEP_3) | instskip(SKIP_4) | instid1(VALU_DEP_2)
	v_and_b32_e32 v44, 62, v44
	ds_store_b16 v57, v49
	ds_load_u16 v46, v58
	v_and_b32_e32 v49, 0xff, v11
	v_lshl_add_u32 v60, v47, 2, v44
	v_lshrrev_b32_e32 v44, s16, v49
	s_delay_alu instid0(VALU_DEP_1) | instskip(NEXT) | instid1(VALU_DEP_1)
	v_bitop3_b32 v44, v44, s23, v44 bitop3:0x30
	v_dual_lshlrev_b32 v47, 10, v44 :: v_dual_lshrrev_b32 v44, 2, v44
	s_wait_dscnt 0x0
	v_add_nc_u16 v50, v46, 1
	s_delay_alu instid0(VALU_DEP_2) | instskip(NEXT) | instid1(VALU_DEP_3)
	v_and_or_b32 v47, 0x1c00, v47, v0
	v_and_b32_e32 v44, 62, v44
	ds_store_b16 v58, v50
	ds_load_u16 v49, v60
	v_lshl_add_u32 v62, v47, 2, v44
	v_and_b32_e32 v50, 0xff, v10
	s_delay_alu instid0(VALU_DEP_1) | instskip(SKIP_1) | instid1(VALU_DEP_2)
	v_lshrrev_b32_e32 v44, s16, v50
	v_and_b32_e32 v50, 0xff, v9
	v_bitop3_b32 v44, v44, s23, v44 bitop3:0x30
	s_delay_alu instid0(VALU_DEP_1) | instskip(SKIP_2) | instid1(VALU_DEP_2)
	v_dual_lshlrev_b32 v47, 10, v44 :: v_dual_lshrrev_b32 v44, 2, v44
	s_wait_dscnt 0x0
	v_add_nc_u16 v52, v49, 1
	v_and_or_b32 v47, 0x1c00, v47, v0
	s_delay_alu instid0(VALU_DEP_3)
	v_and_b32_e32 v44, 62, v44
	ds_store_b16 v60, v52
	ds_load_u16 v52, v62
	v_lshl_add_u32 v63, v47, 2, v44
	v_lshrrev_b32_e32 v44, s16, v50
	v_and_b32_e32 v50, 0xff, v8
	s_delay_alu instid0(VALU_DEP_2) | instskip(NEXT) | instid1(VALU_DEP_1)
	v_bitop3_b32 v44, v44, s23, v44 bitop3:0x30
	v_dual_lshlrev_b32 v47, 10, v44 :: v_dual_lshrrev_b32 v44, 2, v44
	s_delay_alu instid0(VALU_DEP_1) | instskip(NEXT) | instid1(VALU_DEP_2)
	v_and_or_b32 v47, 0x1c00, v47, v0
	v_and_b32_e32 v44, 62, v44
	s_wait_dscnt 0x0
	v_add_nc_u16 v54, v52, 1
	s_delay_alu instid0(VALU_DEP_2) | instskip(SKIP_3) | instid1(VALU_DEP_1)
	v_lshl_add_u32 v64, v47, 2, v44
	ds_store_b16 v62, v54
	ds_load_u16 v54, v63
	v_lshrrev_b32_e32 v44, s16, v50
	v_bitop3_b32 v44, v44, s23, v44 bitop3:0x30
	s_delay_alu instid0(VALU_DEP_1) | instskip(SKIP_1) | instid1(VALU_DEP_2)
	v_dual_lshlrev_b32 v47, 10, v44 :: v_dual_lshrrev_b32 v50, 2, v44
	v_xor_b32_e32 v44, -1, v5
	v_and_or_b32 v5, 0x1c00, v47, v0
	s_delay_alu instid0(VALU_DEP_3) | instskip(NEXT) | instid1(VALU_DEP_3)
	v_and_b32_e32 v47, 62, v50
	v_and_b32_e32 v50, 0xff, v44
	s_wait_dscnt 0x0
	v_add_nc_u16 v56, v54, 1
	s_delay_alu instid0(VALU_DEP_3) | instskip(NEXT) | instid1(VALU_DEP_3)
	v_lshl_add_u32 v65, v5, 2, v47
	v_lshrrev_b32_e32 v47, s16, v50
	ds_store_b16 v63, v56
	ds_load_u16 v56, v64
	v_bitop3_b32 v47, v47, s23, v47 bitop3:0x30
	s_delay_alu instid0(VALU_DEP_1)
	v_lshlrev_b32_e32 v50, 10, v47
	s_wait_dscnt 0x0
	v_add_nc_u16 v59, v56, 1
	ds_store_b16 v64, v59
	ds_load_u16 v5, v65
	v_dual_lshrrev_b32 v59, 2, v47 :: v_dual_bitop2_b32 v47, -1, v4 bitop3:0x14
	v_and_or_b32 v4, 0x1c00, v50, v0
	s_delay_alu instid0(VALU_DEP_2) | instskip(NEXT) | instid1(VALU_DEP_3)
	v_and_b32_e32 v50, 62, v59
	v_and_b32_e32 v59, 0xff, v47
	s_delay_alu instid0(VALU_DEP_2) | instskip(NEXT) | instid1(VALU_DEP_2)
	v_lshl_add_u32 v4, v4, 2, v50
	v_lshrrev_b32_e32 v50, s16, v59
	s_delay_alu instid0(VALU_DEP_1) | instskip(SKIP_2) | instid1(VALU_DEP_2)
	v_bitop3_b32 v50, v50, s23, v50 bitop3:0x30
	s_wait_dscnt 0x0
	v_add_nc_u16 v61, v5, 1
	v_lshrrev_b32_e32 v66, 2, v50
	ds_store_b16 v65, v61
	ds_load_u16 v59, v4
	v_dual_lshlrev_b32 v61, 10, v50 :: v_dual_bitop2_b32 v50, -1, v1 bitop3:0x14
	s_delay_alu instid0(VALU_DEP_1) | instskip(SKIP_1) | instid1(VALU_DEP_1)
	v_and_or_b32 v1, 0x1c00, v61, v0
	v_and_b32_e32 v61, 62, v66
	v_lshl_add_u32 v66, v1, 2, v61
	s_wait_dscnt 0x0
	v_add_nc_u16 v68, v59, 1
	ds_store_b16 v4, v68
	ds_load_u16 v1, v66
	s_wait_dscnt 0x0
	v_add_nc_u16 v68, v1, 1
	ds_store_b16 v66, v68
	v_lshlrev_b32_e32 v68, 5, v0
	v_and_b32_e32 v67, 0xff, v50
	s_delay_alu instid0(VALU_DEP_1) | instskip(NEXT) | instid1(VALU_DEP_1)
	v_lshrrev_b32_e32 v61, s16, v67
	v_bitop3_b32 v61, v61, s23, v61 bitop3:0x30
	s_delay_alu instid0(VALU_DEP_1) | instskip(NEXT) | instid1(VALU_DEP_1)
	v_dual_lshlrev_b32 v67, 10, v61 :: v_dual_lshrrev_b32 v61, 2, v61
	v_and_or_b32 v67, 0x1c00, v67, v0
	s_delay_alu instid0(VALU_DEP_2) | instskip(NEXT) | instid1(VALU_DEP_1)
	v_and_b32_e32 v61, 62, v61
	v_lshl_add_u32 v67, v67, 2, v61
	ds_load_u16 v61, v67
	s_wait_dscnt 0x0
	v_add_nc_u16 v69, v61, 1
	ds_store_b16 v67, v69
	s_wait_dscnt 0x0
	s_barrier_signal -1
	s_barrier_wait -1
	ds_load_2addr_b64 v[70:73], v68 offset1:1
	ds_load_2addr_b64 v[74:77], v68 offset0:2 offset1:3
	s_wait_dscnt 0x1
	v_add_nc_u32_e32 v69, v71, v70
	s_delay_alu instid0(VALU_DEP_1) | instskip(SKIP_1) | instid1(VALU_DEP_1)
	v_add3_u32 v69, v69, v72, v73
	s_wait_dscnt 0x0
	v_add3_u32 v69, v69, v74, v75
	s_delay_alu instid0(VALU_DEP_1) | instskip(SKIP_1) | instid1(VALU_DEP_2)
	v_add3_u32 v70, v69, v76, v77
	v_mbcnt_lo_u32_b32 v69, -1, 0
	v_mov_b32_dpp v72, v70 row_shr:1 row_mask:0xf bank_mask:0xf
	s_delay_alu instid0(VALU_DEP_2) | instskip(SKIP_1) | instid1(VALU_DEP_2)
	v_and_b32_e32 v71, 15, v69
	v_bfe_i32 v73, v69, 4, 1
	v_cmp_eq_u32_e32 vcc_lo, 0, v71
	v_cmp_lt_u32_e64 s2, 1, v71
	v_cndmask_b32_e64 v72, v72, 0, vcc_lo
	s_delay_alu instid0(VALU_DEP_1) | instskip(NEXT) | instid1(VALU_DEP_1)
	v_add_nc_u32_e32 v70, v72, v70
	v_mov_b32_dpp v72, v70 row_shr:2 row_mask:0xf bank_mask:0xf
	s_delay_alu instid0(VALU_DEP_1) | instskip(NEXT) | instid1(VALU_DEP_1)
	v_cndmask_b32_e64 v72, 0, v72, s2
	v_add_nc_u32_e32 v70, v70, v72
	v_cmp_lt_u32_e64 s3, 3, v71
	v_cmp_lt_u32_e64 s4, 7, v71
	s_delay_alu instid0(VALU_DEP_3) | instskip(NEXT) | instid1(VALU_DEP_1)
	v_mov_b32_dpp v72, v70 row_shr:4 row_mask:0xf bank_mask:0xf
	v_cndmask_b32_e64 v72, 0, v72, s3
	s_delay_alu instid0(VALU_DEP_1) | instskip(NEXT) | instid1(VALU_DEP_1)
	v_add_nc_u32_e32 v70, v70, v72
	v_mov_b32_dpp v72, v70 row_shr:8 row_mask:0xf bank_mask:0xf
	s_delay_alu instid0(VALU_DEP_1) | instskip(NEXT) | instid1(VALU_DEP_1)
	v_cndmask_b32_e64 v71, 0, v72, s4
	v_dual_add_nc_u32 v70, v70, v71 :: v_dual_bitop2_b32 v72, 31, v0 bitop3:0x40
	ds_swizzle_b32 v71, v70 offset:swizzle(BROADCAST,32,15)
	s_wait_dscnt 0x0
	v_dual_lshrrev_b32 v73, 5, v0 :: v_dual_bitop2_b32 v71, v73, v71 bitop3:0x40
	v_cmp_eq_u32_e64 s6, 31, v72
	s_delay_alu instid0(VALU_DEP_2) | instskip(NEXT) | instid1(VALU_DEP_3)
	v_dual_add_nc_u32 v70, v70, v71 :: v_dual_bitop2_b32 v72, 16, v69 bitop3:0x40
	v_lshlrev_b32_e32 v71, 2, v73
	s_delay_alu instid0(VALU_DEP_2)
	v_cmp_eq_u32_e64 s5, 0, v72
	s_and_saveexec_b32 s7, s6
; %bb.46:
	ds_store_b32 v71, v70 offset:32768
; %bb.47:
	s_or_b32 exec_lo, exec_lo, s7
	v_cmp_lt_u32_e64 s6, 31, v0
	s_mov_b32 s24, exec_lo
	s_wait_dscnt 0x0
	s_barrier_signal -1
	s_barrier_wait -1
	v_cmpx_gt_u32_e32 32, v0
	s_cbranch_execz .LBB126_49
; %bb.48:
	v_mad_i32_i24 v72, 0xffffffe4, v0, v68
	ds_load_b32 v73, v72 offset:32768
	s_wait_dscnt 0x0
	v_mov_b32_dpp v74, v73 row_shr:1 row_mask:0xf bank_mask:0xf
	s_delay_alu instid0(VALU_DEP_1) | instskip(NEXT) | instid1(VALU_DEP_1)
	v_cndmask_b32_e64 v74, v74, 0, vcc_lo
	v_add_nc_u32_e32 v73, v74, v73
	s_delay_alu instid0(VALU_DEP_1) | instskip(NEXT) | instid1(VALU_DEP_1)
	v_mov_b32_dpp v74, v73 row_shr:2 row_mask:0xf bank_mask:0xf
	v_cndmask_b32_e64 v74, 0, v74, s2
	s_delay_alu instid0(VALU_DEP_1) | instskip(NEXT) | instid1(VALU_DEP_1)
	v_add_nc_u32_e32 v73, v73, v74
	v_mov_b32_dpp v74, v73 row_shr:4 row_mask:0xf bank_mask:0xf
	s_delay_alu instid0(VALU_DEP_1) | instskip(NEXT) | instid1(VALU_DEP_1)
	v_cndmask_b32_e64 v74, 0, v74, s3
	v_add_nc_u32_e32 v73, v73, v74
	s_delay_alu instid0(VALU_DEP_1) | instskip(NEXT) | instid1(VALU_DEP_1)
	v_mov_b32_dpp v74, v73 row_shr:8 row_mask:0xf bank_mask:0xf
	v_cndmask_b32_e64 v74, 0, v74, s4
	s_delay_alu instid0(VALU_DEP_1) | instskip(SKIP_3) | instid1(VALU_DEP_1)
	v_add_nc_u32_e32 v73, v73, v74
	ds_swizzle_b32 v74, v73 offset:swizzle(BROADCAST,32,15)
	s_wait_dscnt 0x0
	v_cndmask_b32_e64 v74, v74, 0, s5
	v_add_nc_u32_e32 v73, v73, v74
	ds_store_b32 v72, v73 offset:32768
.LBB126_49:
	s_or_b32 exec_lo, exec_lo, s24
	v_dual_mov_b32 v73, 0 :: v_dual_mov_b32 v72, 0
	s_wait_dscnt 0x0
	s_barrier_signal -1
	s_barrier_wait -1
	s_and_saveexec_b32 s2, s6
; %bb.50:
	ds_load_b32 v72, v71 offset:32764
; %bb.51:
	s_or_b32 exec_lo, exec_lo, s2
	v_sub_co_u32 v71, vcc_lo, v69, 1
	s_wait_dscnt 0x0
	v_add_nc_u32_e32 v70, v72, v70
	s_delay_alu instid0(VALU_DEP_2) | instskip(NEXT) | instid1(VALU_DEP_1)
	v_cmp_gt_i32_e64 s2, 0, v71
	v_cndmask_b32_e64 v69, v71, v69, s2
	v_cmp_gt_u32_e64 s2, 16, v0
	s_delay_alu instid0(VALU_DEP_2)
	v_lshlrev_b32_e32 v69, 2, v69
	ds_bpermute_b32 v69, v69, v70
	ds_load_b32 v70, v73 offset:32892
	ds_load_2addr_b64 v[74:77], v68 offset1:1
	ds_load_b32 v78, v68 offset:24
	s_wait_dscnt 0x3
	v_cndmask_b32_e32 v69, v69, v72, vcc_lo
	ds_load_b64 v[72:73], v68 offset:16
	v_cmp_lt_u32_e32 vcc_lo, 15, v0
	s_wait_dscnt 0x3
	v_lshl_add_u32 v70, v70, 16, v69
	s_wait_dscnt 0x2
	s_delay_alu instid0(VALU_DEP_1) | instskip(NEXT) | instid1(VALU_DEP_1)
	v_add_nc_u32_e32 v71, v70, v74
	v_add_nc_u32_e32 v74, v75, v71
	s_delay_alu instid0(VALU_DEP_1) | instskip(NEXT) | instid1(VALU_DEP_1)
	v_add_nc_u32_e32 v75, v76, v74
	v_add_nc_u32_e32 v76, v77, v75
	s_wait_dscnt 0x0
	s_delay_alu instid0(VALU_DEP_1) | instskip(NEXT) | instid1(VALU_DEP_1)
	v_add_nc_u32_e32 v77, v72, v76
	v_add_nc_u32_e32 v72, v73, v77
	s_delay_alu instid0(VALU_DEP_1)
	v_add_nc_u32_e32 v73, v78, v72
	ds_store_2addr_b64 v68, v[70:71], v[74:75] offset1:1
	ds_store_2addr_b64 v68, v[76:77], v[72:73] offset0:2 offset1:3
	s_wait_dscnt 0x0
	s_barrier_signal -1
	s_barrier_wait -1
	ds_load_u16 v68, v2
	ds_load_u16 v69, v3
	ds_load_u16 v34, v34
	ds_load_u16 v36, v36
	ds_load_u16 v38, v38
	ds_load_u16 v40, v40
	ds_load_u16 v42, v42
	ds_load_u16 v45, v45
	ds_load_u16 v48, v48
	ds_load_u16 v51, v51
	ds_load_u16 v53, v53
	ds_load_u16 v55, v55
	ds_load_u16 v57, v57
	ds_load_u16 v58, v58
	ds_load_u16 v60, v60
	ds_load_u16 v62, v62
	ds_load_u16 v63, v63
	ds_load_u16 v64, v64
	ds_load_u16 v65, v65
	ds_load_u16 v70, v4
	ds_load_u16 v66, v66
	ds_load_u16 v67, v67
	v_mov_b64_e32 v[2:3], 0
                                        ; implicit-def: $vgpr4
	s_and_saveexec_b32 s4, s2
	s_cbranch_execz .LBB126_55
; %bb.52:
	v_dual_lshlrev_b32 v2, 12, v0 :: v_dual_lshrrev_b32 v3, 2, v0
	v_add_nc_u32_e32 v4, 1, v0
	s_mov_b32 s5, exec_lo
	s_delay_alu instid0(VALU_DEP_2)
	v_bitop3_b32 v2, v2, 0x70fe, v3 bitop3:0xc8
	v_mov_b32_e32 v3, 0x5800
	ds_load_u16 v2, v2
	v_cmpx_ne_u32_e32 16, v4
; %bb.53:
	v_dual_lshlrev_b32 v3, 12, v4 :: v_dual_lshrrev_b32 v4, 2, v4
	s_delay_alu instid0(VALU_DEP_1)
	v_bitop3_b32 v3, v3, 0x71fe, v4 bitop3:0xc8
	ds_load_u16 v3, v3
; %bb.54:
	s_or_b32 exec_lo, exec_lo, s5
	s_wait_dscnt 0x0
	v_and_b32_e32 v2, 0xffff, v2
	s_mov_b32 s3, 0
	s_delay_alu instid0(VALU_DEP_1) | instid1(SALU_CYCLE_1)
	v_dual_mov_b32 v3, s3 :: v_dual_sub_nc_u32 v4, v3, v2
.LBB126_55:
	s_or_b32 exec_lo, exec_lo, s4
	s_wait_dscnt 0x15
	v_and_b32_e32 v68, 0xffff, v68
	v_and_b32_e32 v26, 0xffff, v26
	s_wait_dscnt 0x14
	v_and_b32_e32 v69, 0xffff, v69
	v_and_b32_e32 v27, 0xffff, v27
	;; [unrolled: 3-line block ×4, first 2 shown]
	v_dual_add_nc_u32 v26, v68, v26 :: v_dual_add_nc_u32 v27, v69, v27
	s_wait_dscnt 0x11
	v_and_b32_e32 v38, 0xffff, v38
	v_and_b32_e32 v30, 0xffff, v30
	s_wait_dscnt 0x10
	v_and_b32_e32 v40, 0xffff, v40
	v_and_b32_e32 v31, 0xffff, v31
	v_add_nc_u32_e32 v28, v34, v28
	s_wait_dscnt 0xf
	v_and_b32_e32 v42, 0xffff, v42
	v_and_b32_e32 v32, 0xffff, v32
	s_wait_dscnt 0xe
	v_and_b32_e32 v45, 0xffff, v45
	v_and_b32_e32 v33, 0xffff, v33
	;; [unrolled: 3-line block ×3, first 2 shown]
	s_wait_dscnt 0x0
	s_barrier_signal -1
	s_barrier_wait -1
	ds_store_b8 v26, v24 offset:128
	ds_store_b8 v27, v25 offset:128
	;; [unrolled: 1-line block ×3, first 2 shown]
	v_add_nc_u32_e32 v7, v36, v29
	v_and_b32_e32 v51, 0xffff, v51
	v_and_b32_e32 v37, 0xffff, v37
	v_dual_add_nc_u32 v24, v38, v30 :: v_dual_add_nc_u32 v25, v40, v31
	v_and_b32_e32 v53, 0xffff, v53
	v_and_b32_e32 v39, 0xffff, v39
	;; [unrolled: 1-line block ×4, first 2 shown]
	v_dual_add_nc_u32 v26, v42, v32 :: v_dual_add_nc_u32 v27, v45, v33
	v_and_b32_e32 v57, 0xffff, v57
	v_and_b32_e32 v43, 0xffff, v43
	;; [unrolled: 1-line block ×4, first 2 shown]
	ds_store_b8 v7, v23 offset:128
	ds_store_b8 v24, v22 offset:128
	;; [unrolled: 1-line block ×5, first 2 shown]
	v_dual_add_nc_u32 v7, v48, v35 :: v_dual_add_nc_u32 v19, v51, v37
	v_and_b32_e32 v60, 0xffff, v60
	v_and_b32_e32 v49, 0xffff, v49
	;; [unrolled: 1-line block ×4, first 2 shown]
	v_dual_add_nc_u32 v20, v53, v39 :: v_dual_add_nc_u32 v21, v55, v41
	v_and_b32_e32 v63, 0xffff, v63
	v_and_b32_e32 v54, 0xffff, v54
	;; [unrolled: 1-line block ×4, first 2 shown]
	v_add_nc_u32_e32 v22, v57, v43
	ds_store_b8 v7, v18 offset:128
	ds_store_b8 v19, v17 offset:128
	ds_store_b8 v20, v16 offset:128
	ds_store_b8 v21, v15 offset:128
	ds_store_b8 v22, v14 offset:128
	v_dual_add_nc_u32 v7, v58, v46 :: v_dual_add_nc_u32 v14, v60, v49
	v_dual_add_nc_u32 v15, v62, v52 :: v_dual_add_nc_u32 v16, v63, v54
	v_add_nc_u32_e32 v17, v64, v56
	v_and_b32_e32 v65, 0xffff, v65
	v_and_b32_e32 v66, 0xffff, v66
	;; [unrolled: 1-line block ×4, first 2 shown]
	ds_store_b8 v7, v13 offset:128
	ds_store_b8 v14, v12 offset:128
	;; [unrolled: 1-line block ×5, first 2 shown]
	v_mov_b32_e32 v9, 0
	v_and_b32_e32 v70, 0xffff, v70
	v_and_b32_e32 v59, 0xffff, v59
	;; [unrolled: 1-line block ×4, first 2 shown]
	v_add_nc_u32_e32 v7, v65, v5
	v_dual_add_nc_u32 v11, v66, v1 :: v_dual_mov_b32 v1, v9
	v_dual_lshlrev_b32 v5, 3, v0 :: v_dual_add_nc_u32 v10, v70, v59
	s_delay_alu instid0(VALU_DEP_4)
	v_add_nc_u32_e32 v12, v67, v61
	s_not_b32 s3, s23
	ds_store_b8 v7, v8 offset:128
	ds_store_b8 v10, v44 offset:128
	;; [unrolled: 1-line block ×4, first 2 shown]
	s_and_saveexec_b32 s4, s2
	s_cbranch_execz .LBB126_65
; %bb.56:
	v_lshl_add_u32 v8, s19, 4, v0
	v_dual_mov_b32 v12, 0 :: v_dual_bitop2_b32 v7, 2.0, v4 bitop3:0x54
	s_mov_b32 s5, 0
	s_mov_b32 s6, s19
	s_delay_alu instid0(VALU_DEP_2)
	v_lshl_add_u64 v[10:11], v[8:9], 2, s[20:21]
	global_store_b32 v8, v7, s[20:21] scale_offset scope:SCOPE_DEV
                                        ; implicit-def: $sgpr2
	s_branch .LBB126_59
.LBB126_57:                             ;   in Loop: Header=BB126_59 Depth=1
	s_or_b32 exec_lo, exec_lo, s23
.LBB126_58:                             ;   in Loop: Header=BB126_59 Depth=1
	s_delay_alu instid0(SALU_CYCLE_1) | instskip(SKIP_2) | instid1(VALU_DEP_2)
	s_or_b32 exec_lo, exec_lo, s7
	v_and_b32_e32 v8, 0x3fffffff, v7
	v_cmp_gt_i32_e64 s2, -2.0, v7
	v_add_nc_u32_e32 v12, v8, v12
	s_and_b32 s7, exec_lo, s2
	s_delay_alu instid0(SALU_CYCLE_1) | instskip(NEXT) | instid1(SALU_CYCLE_1)
	s_or_b32 s5, s7, s5
	s_and_not1_b32 exec_lo, exec_lo, s5
	s_cbranch_execz .LBB126_64
.LBB126_59:                             ; =>This Loop Header: Depth=1
                                        ;     Child Loop BB126_62 Depth 2
	s_or_b32 s2, s2, exec_lo
	s_cmp_eq_u32 s6, 0
	s_cbranch_scc1 .LBB126_63
; %bb.60:                               ;   in Loop: Header=BB126_59 Depth=1
	s_add_co_i32 s6, s6, -1
	s_mov_b32 s7, exec_lo
	s_wait_xcnt 0x0
	v_lshl_or_b32 v8, s6, 4, v0
	global_load_b32 v7, v8, s[20:21] scale_offset scope:SCOPE_DEV
	s_wait_loadcnt 0x0
	v_cmpx_gt_u32_e32 2.0, v7
	s_cbranch_execz .LBB126_58
; %bb.61:                               ;   in Loop: Header=BB126_59 Depth=1
	v_lshl_add_u64 v[14:15], v[8:9], 2, s[20:21]
	s_mov_b32 s23, 0
.LBB126_62:                             ;   Parent Loop BB126_59 Depth=1
                                        ; =>  This Inner Loop Header: Depth=2
	global_load_b32 v7, v[14:15], off scope:SCOPE_DEV
	s_wait_loadcnt 0x0
	v_cmp_lt_u32_e64 s2, 0x3fffffff, v7
	s_or_b32 s23, s2, s23
	s_wait_xcnt 0x0
	s_and_not1_b32 exec_lo, exec_lo, s23
	s_cbranch_execnz .LBB126_62
	s_branch .LBB126_57
.LBB126_63:                             ;   in Loop: Header=BB126_59 Depth=1
                                        ; implicit-def: $sgpr6
	s_and_b32 s7, exec_lo, s2
	s_delay_alu instid0(SALU_CYCLE_1)
	s_or_b32 s5, s7, s5
	s_wait_xcnt 0x0
	s_and_not1_b32 exec_lo, exec_lo, s5
	s_cbranch_execnz .LBB126_59
.LBB126_64:
	s_or_b32 exec_lo, exec_lo, s5
	v_dual_add_nc_u32 v7, v12, v4 :: v_dual_mov_b32 v13, 0
	s_delay_alu instid0(VALU_DEP_1)
	v_or_b32_e32 v7, 0x80000000, v7
	global_store_b32 v[10:11], v7, off scope:SCOPE_DEV
	global_load_b64 v[8:9], v0, s[8:9] scale_offset
	s_wait_xcnt 0x1
	v_sub_nc_u64_e32 v[10:11], v[12:13], v[2:3]
	s_wait_loadcnt 0x0
	s_delay_alu instid0(VALU_DEP_1)
	v_add_nc_u64_e32 v[8:9], v[10:11], v[8:9]
	ds_store_b64 v5, v[8:9]
.LBB126_65:
	s_wait_xcnt 0x0
	s_or_b32 exec_lo, exec_lo, s4
	s_delay_alu instid0(SALU_CYCLE_1)
	s_mov_b32 s4, exec_lo
	s_wait_storecnt_dscnt 0x0
	s_barrier_signal -1
	s_barrier_wait -1
	v_cmpx_gt_u32_e64 s18, v0
	s_cbranch_execz .LBB126_67
; %bb.66:
	ds_load_u8 v7, v0 offset:128
	s_wait_dscnt 0x0
	v_and_b32_e32 v8, 0xff, v7
	s_delay_alu instid0(VALU_DEP_1) | instskip(NEXT) | instid1(VALU_DEP_1)
	v_dual_lshrrev_b32 v8, s16, v8 :: v_dual_bitop2_b32 v7, -1, v7 bitop3:0x14
	v_and_b32_e32 v8, s3, v8
	s_delay_alu instid0(VALU_DEP_1) | instskip(SKIP_3) | instid1(VALU_DEP_1)
	v_lshlrev_b32_e32 v8, 3, v8
	ds_load_b64 v[8:9], v8
	s_wait_dscnt 0x0
	v_add_nc_u64_e32 v[8:9], s[14:15], v[8:9]
	v_add_nc_u64_e32 v[8:9], v[8:9], v[0:1]
	global_store_b8 v[8:9], v7, off
.LBB126_67:
	s_wait_xcnt 0x0
	s_or_b32 exec_lo, exec_lo, s4
	v_or_b32_e32 v7, 0x400, v0
	s_mov_b32 s4, exec_lo
	s_delay_alu instid0(VALU_DEP_1)
	v_cmpx_gt_u32_e64 s18, v7
	s_cbranch_execz .LBB126_69
; %bb.68:
	ds_load_u8 v7, v0 offset:1152
	s_wait_dscnt 0x0
	v_and_b32_e32 v8, 0xff, v7
	s_delay_alu instid0(VALU_DEP_1) | instskip(NEXT) | instid1(VALU_DEP_1)
	v_dual_lshrrev_b32 v8, s16, v8 :: v_dual_bitop2_b32 v7, -1, v7 bitop3:0x14
	v_and_b32_e32 v8, s3, v8
	s_delay_alu instid0(VALU_DEP_1) | instskip(SKIP_3) | instid1(VALU_DEP_1)
	v_lshlrev_b32_e32 v8, 3, v8
	ds_load_b64 v[8:9], v8
	s_wait_dscnt 0x0
	v_add_nc_u64_e32 v[8:9], s[14:15], v[8:9]
	v_add_nc_u64_e32 v[8:9], v[8:9], v[0:1]
	global_store_b8 v[8:9], v7, off offset:1024
.LBB126_69:
	s_wait_xcnt 0x0
	s_or_b32 exec_lo, exec_lo, s4
	v_or_b32_e32 v7, 0x800, v0
	s_mov_b32 s4, exec_lo
	s_delay_alu instid0(VALU_DEP_1)
	v_cmpx_gt_u32_e64 s18, v7
	s_cbranch_execz .LBB126_71
; %bb.70:
	ds_load_u8 v7, v0 offset:2176
	s_wait_dscnt 0x0
	v_and_b32_e32 v8, 0xff, v7
	s_delay_alu instid0(VALU_DEP_1) | instskip(NEXT) | instid1(VALU_DEP_1)
	v_dual_lshrrev_b32 v8, s16, v8 :: v_dual_bitop2_b32 v7, -1, v7 bitop3:0x14
	v_and_b32_e32 v8, s3, v8
	s_delay_alu instid0(VALU_DEP_1) | instskip(SKIP_3) | instid1(VALU_DEP_1)
	v_lshlrev_b32_e32 v8, 3, v8
	ds_load_b64 v[8:9], v8
	s_wait_dscnt 0x0
	v_add_nc_u64_e32 v[8:9], s[14:15], v[8:9]
	v_add_nc_u64_e32 v[8:9], v[8:9], v[0:1]
	global_store_b8 v[8:9], v7, off offset:2048
.LBB126_71:
	;; [unrolled: 22-line block ×20, first 2 shown]
	s_wait_xcnt 0x0
	s_or_b32 exec_lo, exec_lo, s4
	v_or_b32_e32 v7, 0x5400, v0
	s_mov_b32 s4, exec_lo
	s_delay_alu instid0(VALU_DEP_1)
	v_cmpx_gt_u32_e64 s18, v7
	s_cbranch_execz .LBB126_109
; %bb.108:
	ds_load_u8 v7, v0 offset:21632
	s_wait_dscnt 0x0
	v_and_b32_e32 v8, 0xff, v7
	s_delay_alu instid0(VALU_DEP_1) | instskip(NEXT) | instid1(VALU_DEP_1)
	v_lshrrev_b32_e32 v8, s16, v8
	v_and_b32_e32 v8, s3, v8
	s_delay_alu instid0(VALU_DEP_1) | instskip(SKIP_3) | instid1(VALU_DEP_1)
	v_lshlrev_b32_e32 v8, 3, v8
	ds_load_b64 v[8:9], v8
	s_wait_dscnt 0x0
	v_add_nc_u64_e32 v[8:9], s[14:15], v[8:9]
	v_add_nc_u64_e32 v[8:9], v[8:9], v[0:1]
	v_xor_b32_e32 v1, -1, v7
	global_store_b8 v[8:9], v1, off offset:21504
.LBB126_109:
	s_wait_xcnt 0x0
	s_or_b32 exec_lo, exec_lo, s4
	s_load_b32 s2, s[0:1], 0x58
	s_wait_kmcnt 0x0
	s_add_co_i32 s2, s2, -1
	s_delay_alu instid0(SALU_CYCLE_1) | instskip(SKIP_2) | instid1(SALU_CYCLE_1)
	s_cmp_eq_u32 s19, s2
	s_cselect_b32 s2, -1, 0
	s_xor_b32 s3, vcc_lo, -1
	s_and_b32 s3, s3, s2
	s_delay_alu instid0(SALU_CYCLE_1)
	s_and_saveexec_b32 s2, s3
	s_cbranch_execz .LBB126_111
; %bb.110:
	ds_load_b64 v[8:9], v5
	v_mov_b32_e32 v5, 0
	s_delay_alu instid0(VALU_DEP_1) | instskip(SKIP_1) | instid1(VALU_DEP_1)
	v_add_nc_u64_e32 v[2:3], v[2:3], v[4:5]
	s_wait_dscnt 0x0
	v_add_nc_u64_e32 v[2:3], v[2:3], v[8:9]
	global_store_b64 v0, v[2:3], s[10:11] scale_offset
.LBB126_111:
	s_wait_xcnt 0x0
	s_or_b32 exec_lo, exec_lo, s2
	s_mov_b32 s2, 0
.LBB126_112:
	s_delay_alu instid0(SALU_CYCLE_1)
	s_and_b32 vcc_lo, exec_lo, s2
	s_cbranch_vccz .LBB126_135
; %bb.113:
	s_mov_b32 s23, 0
	s_mov_b32 s7, exec_lo
	s_add_nc_u64 s[2:3], s[12:13], s[22:23]
	s_lshl_b32 s12, -1, s17
	s_clause 0x1
	global_load_b128 v[2:5], v6, s[2:3]
	global_load_b32 v8, v6, s[2:3] offset:16
	s_wait_loadcnt 0x1
	v_dual_lshlrev_b32 v12, 2, v0 :: v_dual_bitop2_b32 v1, -1, v2 bitop3:0x14
	s_delay_alu instid0(VALU_DEP_1) | instskip(NEXT) | instid1(VALU_DEP_1)
	v_and_b32_e32 v7, 0xff, v1
	v_lshrrev_b32_e32 v7, s16, v7
	s_delay_alu instid0(VALU_DEP_1) | instskip(SKIP_1) | instid1(VALU_DEP_2)
	v_bitop3_b32 v7, v7, s12, v7 bitop3:0x30
	v_dual_lshrrev_b32 v9, 8, v2 :: v_dual_mov_b32 v13, 0
	v_dual_lshlrev_b32 v10, 10, v7 :: v_dual_lshrrev_b32 v11, 2, v7
	s_delay_alu instid0(VALU_DEP_2)
	v_xor_b32_e32 v7, -1, v9
	ds_store_2addr_stride64_b32 v12, v13, v13 offset1:16
	ds_store_2addr_stride64_b32 v12, v13, v13 offset0:32 offset1:48
	ds_store_2addr_stride64_b32 v12, v13, v13 offset0:64 offset1:80
	ds_store_2addr_stride64_b32 v12, v13, v13 offset0:96 offset1:112
	v_and_or_b32 v9, 0x1c00, v10, v0
	v_and_b32_e32 v10, 62, v11
	v_and_b32_e32 v11, 0xff, v7
	global_load_u16 v42, v6, s[2:3] offset:20
	v_lshl_add_u32 v17, v9, 2, v10
	v_lshrrev_b32_e32 v9, s16, v11
	ds_load_u16 v11, v17
	v_bitop3_b32 v9, v9, s12, v9 bitop3:0x30
	v_dual_lshrrev_b32 v10, 16, v2 :: v_dual_lshrrev_b32 v2, 24, v2
	s_delay_alu instid0(VALU_DEP_2) | instskip(NEXT) | instid1(VALU_DEP_2)
	v_dual_lshlrev_b32 v12, 10, v9 :: v_dual_lshrrev_b32 v9, 2, v9
	v_xor_b32_e32 v10, -1, v10
	s_delay_alu instid0(VALU_DEP_2) | instskip(NEXT) | instid1(VALU_DEP_3)
	v_and_or_b32 v12, 0x1c00, v12, v0
	v_and_b32_e32 v9, 62, v9
	s_delay_alu instid0(VALU_DEP_3) | instskip(NEXT) | instid1(VALU_DEP_2)
	v_and_b32_e32 v13, 0xff, v10
	v_lshl_add_u32 v20, v12, 2, v9
	s_delay_alu instid0(VALU_DEP_2) | instskip(SKIP_2) | instid1(VALU_DEP_2)
	v_dual_lshrrev_b32 v9, s16, v13 :: v_dual_bitop2_b32 v12, -1, v2 bitop3:0x14
	s_wait_dscnt 0x0
	v_add_nc_u16 v14, v11, 1
	v_bitop3_b32 v9, v9, s12, v9 bitop3:0x30
	ds_store_b16 v17, v14
	ds_load_u16 v14, v20
	v_dual_lshlrev_b32 v13, 10, v9 :: v_dual_lshrrev_b32 v9, 2, v9
	s_delay_alu instid0(VALU_DEP_1) | instskip(NEXT) | instid1(VALU_DEP_2)
	v_and_or_b32 v2, 0x1c00, v13, v0
	v_and_b32_e32 v9, 62, v9
	v_and_b32_e32 v13, 0xff, v12
	s_delay_alu instid0(VALU_DEP_2) | instskip(NEXT) | instid1(VALU_DEP_2)
	v_lshl_add_u32 v2, v2, 2, v9
	v_dual_lshrrev_b32 v9, s16, v13 :: v_dual_bitop2_b32 v13, -1, v3 bitop3:0x14
	s_delay_alu instid0(VALU_DEP_1) | instskip(SKIP_2) | instid1(VALU_DEP_3)
	v_bitop3_b32 v9, v9, s12, v9 bitop3:0x30
	s_wait_dscnt 0x0
	v_add_nc_u16 v15, v14, 1
	v_and_b32_e32 v18, 0xff, v13
	s_delay_alu instid0(VALU_DEP_3) | instskip(SKIP_4) | instid1(VALU_DEP_1)
	v_dual_lshlrev_b32 v16, 10, v9 :: v_dual_lshrrev_b32 v9, 2, v9
	ds_store_b16 v20, v15
	ds_load_u16 v15, v2
	v_and_or_b32 v16, 0x1c00, v16, v0
	v_and_b32_e32 v9, 62, v9
	v_lshl_add_u32 v27, v16, 2, v9
	v_dual_lshrrev_b32 v16, 8, v3 :: v_dual_lshrrev_b32 v9, s16, v18
	s_delay_alu instid0(VALU_DEP_1) | instskip(NEXT) | instid1(VALU_DEP_2)
	v_xor_b32_e32 v16, -1, v16
	v_bitop3_b32 v9, v9, s12, v9 bitop3:0x30
	s_delay_alu instid0(VALU_DEP_2) | instskip(SKIP_2) | instid1(VALU_DEP_3)
	v_and_b32_e32 v21, 0xff, v16
	s_wait_dscnt 0x0
	v_add_nc_u16 v19, v15, 1
	v_dual_lshlrev_b32 v18, 10, v9 :: v_dual_lshrrev_b32 v9, 2, v9
	ds_store_b16 v2, v19
	ds_load_u16 v19, v27
	v_and_or_b32 v18, 0x1c00, v18, v0
	v_and_b32_e32 v9, 62, v9
	s_delay_alu instid0(VALU_DEP_1) | instskip(SKIP_1) | instid1(VALU_DEP_1)
	v_lshl_add_u32 v34, v18, 2, v9
	v_dual_lshrrev_b32 v18, 16, v3 :: v_dual_lshrrev_b32 v9, s16, v21
	v_dual_lshrrev_b32 v3, 24, v3 :: v_dual_bitop2_b32 v18, -1, v18 bitop3:0x14
	s_delay_alu instid0(VALU_DEP_2) | instskip(SKIP_1) | instid1(VALU_DEP_2)
	v_bitop3_b32 v9, v9, s12, v9 bitop3:0x30
	s_wait_xcnt 0x0
	v_and_b32_e32 v6, 0xff, v18
	s_wait_dscnt 0x0
	v_add_nc_u16 v22, v19, 1
	s_delay_alu instid0(VALU_DEP_2) | instskip(SKIP_4) | instid1(VALU_DEP_2)
	v_lshrrev_b32_e32 v6, s16, v6
	ds_store_b16 v27, v22
	ds_load_u16 v21, v34
	v_dual_lshlrev_b32 v22, 10, v9 :: v_dual_lshrrev_b32 v9, 2, v9
	v_bitop3_b32 v6, v6, s12, v6 bitop3:0x30
	v_and_or_b32 v22, 0x1c00, v22, v0
	s_delay_alu instid0(VALU_DEP_3) | instskip(NEXT) | instid1(VALU_DEP_1)
	v_and_b32_e32 v9, 62, v9
	v_lshl_add_u32 v41, v22, 2, v9
	s_delay_alu instid0(VALU_DEP_4) | instskip(SKIP_1) | instid1(VALU_DEP_2)
	v_dual_lshlrev_b32 v9, 10, v6 :: v_dual_lshrrev_b32 v22, 2, v6
	v_xor_b32_e32 v6, -1, v3
	v_and_or_b32 v3, 0x1c00, v9, v0
	s_delay_alu instid0(VALU_DEP_3) | instskip(SKIP_3) | instid1(VALU_DEP_3)
	v_and_b32_e32 v9, 62, v22
	s_wait_dscnt 0x0
	v_add_nc_u16 v23, v21, 1
	v_and_b32_e32 v22, 0xff, v6
	v_lshl_add_u32 v3, v3, 2, v9
	ds_store_b16 v34, v23
	ds_load_u16 v25, v41
	v_dual_lshrrev_b32 v9, s16, v22 :: v_dual_bitop2_b32 v22, -1, v4 bitop3:0x14
	s_delay_alu instid0(VALU_DEP_1) | instskip(NEXT) | instid1(VALU_DEP_2)
	v_bitop3_b32 v9, v9, s12, v9 bitop3:0x30
	v_and_b32_e32 v24, 0xff, v22
	s_wait_dscnt 0x0
	v_add_nc_u16 v23, v25, 1
	ds_store_b16 v41, v23
	ds_load_u16 v29, v3
	v_dual_lshlrev_b32 v23, 10, v9 :: v_dual_lshrrev_b32 v9, 2, v9
	s_delay_alu instid0(VALU_DEP_1) | instskip(NEXT) | instid1(VALU_DEP_2)
	v_and_or_b32 v23, 0x1c00, v23, v0
	v_and_b32_e32 v9, 62, v9
	s_delay_alu instid0(VALU_DEP_1) | instskip(SKIP_1) | instid1(VALU_DEP_1)
	v_lshl_add_u32 v47, v23, 2, v9
	v_lshrrev_b32_e32 v23, 8, v4
	v_dual_lshrrev_b32 v9, s16, v24 :: v_dual_bitop2_b32 v23, -1, v23 bitop3:0x14
	s_delay_alu instid0(VALU_DEP_1) | instskip(SKIP_2) | instid1(VALU_DEP_2)
	v_bitop3_b32 v9, v9, s12, v9 bitop3:0x30
	s_wait_dscnt 0x0
	v_add_nc_u16 v26, v29, 1
	v_lshlrev_b32_e32 v24, 10, v9
	ds_store_b16 v3, v26
	ds_load_u16 v31, v47
	v_lshrrev_b32_e32 v9, 2, v9
	v_and_b32_e32 v26, 0xff, v23
	v_and_or_b32 v24, 0x1c00, v24, v0
	s_delay_alu instid0(VALU_DEP_3) | instskip(NEXT) | instid1(VALU_DEP_1)
	v_and_b32_e32 v9, 62, v9
	v_lshl_add_u32 v49, v24, 2, v9
	v_dual_lshrrev_b32 v24, 16, v4 :: v_dual_lshrrev_b32 v4, 24, v4
	s_delay_alu instid0(VALU_DEP_1) | instskip(NEXT) | instid1(VALU_DEP_1)
	v_dual_lshrrev_b32 v9, s16, v26 :: v_dual_bitop2_b32 v24, -1, v24 bitop3:0x14
	v_bitop3_b32 v9, v9, s12, v9 bitop3:0x30
	s_wait_dscnt 0x0
	v_add_nc_u16 v28, v31, 1
	s_delay_alu instid0(VALU_DEP_2)
	v_dual_lshlrev_b32 v26, 10, v9 :: v_dual_lshrrev_b32 v9, 2, v9
	ds_store_b16 v47, v28
	ds_load_u16 v33, v49
	v_and_b32_e32 v28, 0xff, v24
	v_and_or_b32 v26, 0x1c00, v26, v0
	v_and_b32_e32 v9, 62, v9
	s_delay_alu instid0(VALU_DEP_1) | instskip(NEXT) | instid1(VALU_DEP_4)
	v_lshl_add_u32 v51, v26, 2, v9
	v_lshrrev_b32_e32 v9, s16, v28
	v_xor_b32_e32 v26, -1, v4
	s_delay_alu instid0(VALU_DEP_2) | instskip(NEXT) | instid1(VALU_DEP_1)
	v_bitop3_b32 v9, v9, s12, v9 bitop3:0x30
	v_dual_lshlrev_b32 v28, 10, v9 :: v_dual_lshrrev_b32 v9, 2, v9
	s_wait_dscnt 0x0
	v_add_nc_u16 v30, v33, 1
	s_delay_alu instid0(VALU_DEP_2) | instskip(NEXT) | instid1(VALU_DEP_3)
	v_and_or_b32 v4, 0x1c00, v28, v0
	v_and_b32_e32 v9, 62, v9
	ds_store_b16 v49, v30
	ds_load_u16 v35, v51
	v_and_b32_e32 v28, 0xff, v26
	v_lshl_add_u32 v4, v4, 2, v9
	s_delay_alu instid0(VALU_DEP_2) | instskip(NEXT) | instid1(VALU_DEP_1)
	v_dual_lshrrev_b32 v9, s16, v28 :: v_dual_bitop2_b32 v28, -1, v5 bitop3:0x14
	v_bitop3_b32 v9, v9, s12, v9 bitop3:0x30
	s_delay_alu instid0(VALU_DEP_2)
	v_and_b32_e32 v32, 0xff, v28
	s_wait_dscnt 0x0
	v_add_nc_u16 v30, v35, 1
	ds_store_b16 v51, v30
	ds_load_u16 v38, v4
	v_dual_lshlrev_b32 v30, 10, v9 :: v_dual_lshrrev_b32 v9, 2, v9
	s_delay_alu instid0(VALU_DEP_1) | instskip(NEXT) | instid1(VALU_DEP_2)
	v_and_or_b32 v30, 0x1c00, v30, v0
	v_and_b32_e32 v9, 62, v9
	s_delay_alu instid0(VALU_DEP_1) | instskip(SKIP_1) | instid1(VALU_DEP_1)
	v_lshl_add_u32 v54, v30, 2, v9
	v_dual_lshrrev_b32 v30, 8, v5 :: v_dual_lshrrev_b32 v9, s16, v32
	v_xor_b32_e32 v30, -1, v30
	s_delay_alu instid0(VALU_DEP_2) | instskip(SKIP_2) | instid1(VALU_DEP_2)
	v_bitop3_b32 v9, v9, s12, v9 bitop3:0x30
	s_wait_dscnt 0x0
	v_add_nc_u16 v36, v38, 1
	v_dual_lshlrev_b32 v32, 10, v9 :: v_dual_lshrrev_b32 v9, 2, v9
	ds_store_b16 v4, v36
	ds_load_u16 v40, v54
	v_and_b32_e32 v36, 0xff, v30
	v_and_or_b32 v32, 0x1c00, v32, v0
	v_and_b32_e32 v9, 62, v9
	s_delay_alu instid0(VALU_DEP_1) | instskip(NEXT) | instid1(VALU_DEP_4)
	v_lshl_add_u32 v56, v32, 2, v9
	v_dual_lshrrev_b32 v9, s16, v36 :: v_dual_lshrrev_b32 v32, 16, v5
	v_lshrrev_b32_e32 v5, 24, v5
	s_delay_alu instid0(VALU_DEP_2) | instskip(NEXT) | instid1(VALU_DEP_1)
	v_bitop3_b32 v9, v9, s12, v9 bitop3:0x30
	v_dual_lshlrev_b32 v36, 10, v9 :: v_dual_bitop2_b32 v32, -1, v32 bitop3:0x14
	v_lshrrev_b32_e32 v9, 2, v9
	s_wait_dscnt 0x0
	v_add_nc_u16 v37, v40, 1
	s_delay_alu instid0(VALU_DEP_3) | instskip(NEXT) | instid1(VALU_DEP_3)
	v_and_or_b32 v36, 0x1c00, v36, v0
	v_and_b32_e32 v9, 62, v9
	ds_store_b16 v54, v37
	ds_load_u16 v43, v56
	v_and_b32_e32 v37, 0xff, v32
	v_lshl_add_u32 v58, v36, 2, v9
	s_delay_alu instid0(VALU_DEP_2) | instskip(NEXT) | instid1(VALU_DEP_1)
	v_lshrrev_b32_e32 v9, s16, v37
	v_bitop3_b32 v9, v9, s12, v9 bitop3:0x30
	s_delay_alu instid0(VALU_DEP_1) | instskip(SKIP_2) | instid1(VALU_DEP_2)
	v_dual_lshlrev_b32 v36, 10, v9 :: v_dual_lshrrev_b32 v9, 2, v9
	s_wait_dscnt 0x0
	v_add_nc_u16 v39, v43, 1
	v_and_or_b32 v36, 0x1c00, v36, v0
	s_delay_alu instid0(VALU_DEP_3)
	v_and_b32_e32 v9, 62, v9
	ds_store_b16 v56, v39
	ds_load_u16 v44, v58
	v_lshl_add_u32 v59, v36, 2, v9
	s_wait_loadcnt 0x1
	v_xor_b32_e32 v36, -1, v8
	s_wait_dscnt 0x0
	v_add_nc_u16 v39, v44, 1
	ds_store_b16 v58, v39
	v_and_b32_e32 v39, 0xff, v36
	v_xor_b32_e32 v5, -1, v5
	ds_load_u16 v45, v59
	v_and_b32_e32 v37, 0xff, v5
	s_delay_alu instid0(VALU_DEP_1) | instskip(NEXT) | instid1(VALU_DEP_1)
	v_lshrrev_b32_e32 v9, s16, v37
	v_bitop3_b32 v9, v9, s12, v9 bitop3:0x30
	s_delay_alu instid0(VALU_DEP_1) | instskip(SKIP_2) | instid1(VALU_DEP_2)
	v_dual_lshlrev_b32 v37, 10, v9 :: v_dual_lshrrev_b32 v9, 2, v9
	s_wait_dscnt 0x0
	v_add_nc_u16 v46, v45, 1
	v_and_or_b32 v37, 0x1c00, v37, v0
	s_delay_alu instid0(VALU_DEP_3)
	v_and_b32_e32 v9, 62, v9
	ds_store_b16 v59, v46
	v_lshl_add_u32 v60, v37, 2, v9
	v_dual_lshrrev_b32 v9, s16, v39 :: v_dual_lshrrev_b32 v37, 8, v8
	ds_load_u16 v46, v60
	v_bitop3_b32 v9, v9, s12, v9 bitop3:0x30
	v_xor_b32_e32 v39, -1, v37
	s_delay_alu instid0(VALU_DEP_2) | instskip(NEXT) | instid1(VALU_DEP_1)
	v_dual_lshlrev_b32 v48, 10, v9 :: v_dual_lshrrev_b32 v9, 2, v9
	v_and_or_b32 v37, 0x1c00, v48, v0
	s_delay_alu instid0(VALU_DEP_2) | instskip(NEXT) | instid1(VALU_DEP_4)
	v_and_b32_e32 v9, 62, v9
	v_and_b32_e32 v48, 0xff, v39
	s_delay_alu instid0(VALU_DEP_2) | instskip(SKIP_1) | instid1(VALU_DEP_3)
	v_lshl_add_u32 v61, v37, 2, v9
	v_lshrrev_b32_e32 v37, 16, v8
	v_lshrrev_b32_e32 v9, s16, v48
	s_wait_dscnt 0x0
	v_add_nc_u16 v50, v46, 1
	s_delay_alu instid0(VALU_DEP_3) | instskip(NEXT) | instid1(VALU_DEP_3)
	v_xor_b32_e32 v37, -1, v37
	v_bitop3_b32 v9, v9, s12, v9 bitop3:0x30
	ds_store_b16 v60, v50
	ds_load_u16 v48, v61
	v_and_b32_e32 v52, 0xff, v37
	v_dual_lshlrev_b32 v50, 10, v9 :: v_dual_lshrrev_b32 v9, 2, v9
	s_delay_alu instid0(VALU_DEP_2) | instskip(NEXT) | instid1(VALU_DEP_2)
	v_lshrrev_b32_e32 v52, s16, v52
	v_and_or_b32 v50, 0x1c00, v50, v0
	s_delay_alu instid0(VALU_DEP_3) | instskip(NEXT) | instid1(VALU_DEP_3)
	v_and_b32_e32 v9, 62, v9
	v_bitop3_b32 v55, v52, s12, v52 bitop3:0x30
	s_delay_alu instid0(VALU_DEP_2)
	v_lshl_add_u32 v62, v50, 2, v9
	s_wait_loadcnt 0x0
	v_and_b32_e32 v9, 0xffff, v42
	v_xor_b32_e32 v42, -1, v42
	s_wait_dscnt 0x0
	v_add_nc_u16 v53, v48, 1
	ds_store_b16 v61, v53
	ds_load_u16 v50, v62
	v_lshrrev_b64 v[52:53], 24, v[8:9]
	v_dual_lshlrev_b32 v53, 10, v55 :: v_dual_lshrrev_b32 v55, 2, v55
	s_delay_alu instid0(VALU_DEP_2) | instskip(NEXT) | instid1(VALU_DEP_2)
	v_dual_lshrrev_b32 v9, 8, v9 :: v_dual_bitop2_b32 v8, -1, v52 bitop3:0x14
	v_and_or_b32 v52, 0x1c00, v53, v0
	s_delay_alu instid0(VALU_DEP_2) | instskip(NEXT) | instid1(VALU_DEP_1)
	v_xor_b32_e32 v9, -1, v9
	v_and_b32_e32 v66, 0xff, v9
	s_wait_dscnt 0x0
	v_add_nc_u16 v57, v50, 1
	ds_store_b16 v62, v57
	v_and_b32_e32 v57, 0xff, v42
	v_and_b32_e32 v53, 62, v55
	v_and_b32_e32 v55, 0xff, v8
	s_delay_alu instid0(VALU_DEP_2) | instskip(NEXT) | instid1(VALU_DEP_2)
	v_lshl_add_u32 v63, v52, 2, v53
	v_lshrrev_b32_e32 v53, s16, v55
	ds_load_u16 v52, v63
	v_bitop3_b32 v53, v53, s12, v53 bitop3:0x30
	s_delay_alu instid0(VALU_DEP_1) | instskip(NEXT) | instid1(VALU_DEP_1)
	v_dual_lshlrev_b32 v55, 10, v53 :: v_dual_lshrrev_b32 v53, 2, v53
	v_and_or_b32 v55, 0x1c00, v55, v0
	s_delay_alu instid0(VALU_DEP_2) | instskip(NEXT) | instid1(VALU_DEP_1)
	v_and_b32_e32 v53, 62, v53
	v_lshl_add_u32 v64, v55, 2, v53
	v_lshrrev_b32_e32 v55, s16, v57
	s_wait_dscnt 0x0
	v_add_nc_u16 v65, v52, 1
	s_delay_alu instid0(VALU_DEP_2) | instskip(SKIP_3) | instid1(VALU_DEP_1)
	v_bitop3_b32 v55, v55, s12, v55 bitop3:0x30
	ds_store_b16 v63, v65
	ds_load_u16 v53, v64
	v_dual_lshlrev_b32 v57, 10, v55 :: v_dual_lshrrev_b32 v55, 2, v55
	v_and_or_b32 v57, 0x1c00, v57, v0
	s_delay_alu instid0(VALU_DEP_2) | instskip(NEXT) | instid1(VALU_DEP_1)
	v_and_b32_e32 v55, 62, v55
	v_lshl_add_u32 v65, v57, 2, v55
	v_lshrrev_b32_e32 v57, s16, v66
	s_delay_alu instid0(VALU_DEP_1) | instskip(SKIP_2) | instid1(VALU_DEP_2)
	v_bitop3_b32 v57, v57, s12, v57 bitop3:0x30
	s_wait_dscnt 0x0
	v_add_nc_u16 v67, v53, 1
	v_dual_lshlrev_b32 v66, 10, v57 :: v_dual_lshrrev_b32 v57, 2, v57
	ds_store_b16 v64, v67
	ds_load_u16 v55, v65
	v_and_or_b32 v66, 0x1c00, v66, v0
	v_and_b32_e32 v57, 62, v57
	s_delay_alu instid0(VALU_DEP_1)
	v_lshl_add_u32 v66, v66, 2, v57
	s_wait_dscnt 0x0
	v_add_nc_u16 v67, v55, 1
	ds_store_b16 v65, v67
	ds_load_u16 v57, v66
	v_lshlrev_b32_e32 v67, 5, v0
	s_wait_dscnt 0x0
	v_add_nc_u16 v68, v57, 1
	ds_store_b16 v66, v68
	s_wait_storecnt_dscnt 0x0
	s_barrier_signal -1
	s_barrier_wait -1
	ds_load_2addr_b64 v[68:71], v67 offset1:1
	ds_load_2addr_b64 v[72:75], v67 offset0:2 offset1:3
	s_wait_dscnt 0x1
	v_add_nc_u32_e32 v68, v69, v68
	s_delay_alu instid0(VALU_DEP_1) | instskip(SKIP_1) | instid1(VALU_DEP_1)
	v_add3_u32 v68, v68, v70, v71
	s_wait_dscnt 0x0
	v_add3_u32 v69, v68, v72, v73
	v_mbcnt_lo_u32_b32 v68, -1, 0
	v_and_b32_e32 v72, 31, v0
	s_delay_alu instid0(VALU_DEP_3) | instskip(NEXT) | instid1(VALU_DEP_3)
	v_add3_u32 v69, v69, v74, v75
	v_and_b32_e32 v70, 15, v68
	s_delay_alu instid0(VALU_DEP_2) | instskip(NEXT) | instid1(VALU_DEP_2)
	v_mov_b32_dpp v71, v69 row_shr:1 row_mask:0xf bank_mask:0xf
	v_cmp_eq_u32_e32 vcc_lo, 0, v70
	s_delay_alu instid0(VALU_DEP_2) | instskip(NEXT) | instid1(VALU_DEP_1)
	v_cndmask_b32_e64 v71, v71, 0, vcc_lo
	v_add_nc_u32_e32 v69, v71, v69
	v_cmp_lt_u32_e64 s2, 1, v70
	v_cmp_lt_u32_e64 s3, 3, v70
	;; [unrolled: 1-line block ×3, first 2 shown]
	s_delay_alu instid0(VALU_DEP_4) | instskip(NEXT) | instid1(VALU_DEP_1)
	v_mov_b32_dpp v71, v69 row_shr:2 row_mask:0xf bank_mask:0xf
	v_cndmask_b32_e64 v71, 0, v71, s2
	s_delay_alu instid0(VALU_DEP_1) | instskip(NEXT) | instid1(VALU_DEP_1)
	v_add_nc_u32_e32 v69, v69, v71
	v_mov_b32_dpp v71, v69 row_shr:4 row_mask:0xf bank_mask:0xf
	s_delay_alu instid0(VALU_DEP_1) | instskip(NEXT) | instid1(VALU_DEP_1)
	v_cndmask_b32_e64 v71, 0, v71, s3
	v_add_nc_u32_e32 v69, v69, v71
	s_delay_alu instid0(VALU_DEP_1) | instskip(NEXT) | instid1(VALU_DEP_1)
	v_mov_b32_dpp v71, v69 row_shr:8 row_mask:0xf bank_mask:0xf
	v_cndmask_b32_e64 v70, 0, v71, s4
	v_bfe_i32 v71, v68, 4, 1
	s_delay_alu instid0(VALU_DEP_2) | instskip(SKIP_3) | instid1(VALU_DEP_1)
	v_add_nc_u32_e32 v69, v69, v70
	ds_swizzle_b32 v70, v69 offset:swizzle(BROADCAST,32,15)
	s_wait_dscnt 0x0
	v_dual_lshrrev_b32 v71, 5, v0 :: v_dual_bitop2_b32 v70, v71, v70 bitop3:0x40
	v_dual_add_nc_u32 v69, v69, v70 :: v_dual_bitop2_b32 v73, 16, v68 bitop3:0x40
	s_delay_alu instid0(VALU_DEP_2) | instskip(NEXT) | instid1(VALU_DEP_2)
	v_lshlrev_b32_e32 v70, 2, v71
	v_cmp_eq_u32_e64 s5, 0, v73
	v_cmpx_eq_u32_e32 31, v72
; %bb.114:
	ds_store_b32 v70, v69 offset:32768
; %bb.115:
	s_or_b32 exec_lo, exec_lo, s7
	v_cmp_lt_u32_e64 s6, 31, v0
	s_mov_b32 s13, exec_lo
	s_wait_dscnt 0x0
	s_barrier_signal -1
	s_barrier_wait -1
	v_cmpx_gt_u32_e32 32, v0
	s_cbranch_execz .LBB126_117
; %bb.116:
	v_mad_i32_i24 v71, 0xffffffe4, v0, v67
	ds_load_b32 v72, v71 offset:32768
	s_wait_dscnt 0x0
	v_mov_b32_dpp v73, v72 row_shr:1 row_mask:0xf bank_mask:0xf
	s_delay_alu instid0(VALU_DEP_1) | instskip(NEXT) | instid1(VALU_DEP_1)
	v_cndmask_b32_e64 v73, v73, 0, vcc_lo
	v_add_nc_u32_e32 v72, v73, v72
	s_delay_alu instid0(VALU_DEP_1) | instskip(NEXT) | instid1(VALU_DEP_1)
	v_mov_b32_dpp v73, v72 row_shr:2 row_mask:0xf bank_mask:0xf
	v_cndmask_b32_e64 v73, 0, v73, s2
	s_delay_alu instid0(VALU_DEP_1) | instskip(NEXT) | instid1(VALU_DEP_1)
	v_add_nc_u32_e32 v72, v72, v73
	v_mov_b32_dpp v73, v72 row_shr:4 row_mask:0xf bank_mask:0xf
	s_delay_alu instid0(VALU_DEP_1) | instskip(NEXT) | instid1(VALU_DEP_1)
	v_cndmask_b32_e64 v73, 0, v73, s3
	v_add_nc_u32_e32 v72, v72, v73
	s_delay_alu instid0(VALU_DEP_1) | instskip(NEXT) | instid1(VALU_DEP_1)
	v_mov_b32_dpp v73, v72 row_shr:8 row_mask:0xf bank_mask:0xf
	v_cndmask_b32_e64 v73, 0, v73, s4
	s_delay_alu instid0(VALU_DEP_1) | instskip(SKIP_3) | instid1(VALU_DEP_1)
	v_add_nc_u32_e32 v72, v72, v73
	ds_swizzle_b32 v73, v72 offset:swizzle(BROADCAST,32,15)
	s_wait_dscnt 0x0
	v_cndmask_b32_e64 v73, v73, 0, s5
	v_add_nc_u32_e32 v72, v72, v73
	ds_store_b32 v71, v72 offset:32768
.LBB126_117:
	s_or_b32 exec_lo, exec_lo, s13
	v_dual_mov_b32 v72, 0 :: v_dual_mov_b32 v71, 0
	s_wait_dscnt 0x0
	s_barrier_signal -1
	s_barrier_wait -1
	s_and_saveexec_b32 s2, s6
; %bb.118:
	ds_load_b32 v71, v70 offset:32764
; %bb.119:
	s_or_b32 exec_lo, exec_lo, s2
	v_sub_co_u32 v70, vcc_lo, v68, 1
	s_wait_dscnt 0x0
	v_add_nc_u32_e32 v69, v71, v69
	s_delay_alu instid0(VALU_DEP_2) | instskip(NEXT) | instid1(VALU_DEP_1)
	v_cmp_gt_i32_e64 s2, 0, v70
	v_cndmask_b32_e64 v68, v70, v68, s2
	v_cmp_gt_u32_e64 s2, 16, v0
	s_delay_alu instid0(VALU_DEP_2)
	v_lshlrev_b32_e32 v68, 2, v68
	ds_bpermute_b32 v68, v68, v69
	ds_load_b32 v69, v72 offset:32892
	ds_load_2addr_b64 v[72:75], v67 offset1:1
	ds_load_b32 v76, v67 offset:24
	s_wait_dscnt 0x3
	v_cndmask_b32_e32 v68, v68, v71, vcc_lo
	ds_load_b64 v[70:71], v67 offset:16
	v_cmp_lt_u32_e32 vcc_lo, 15, v0
	s_wait_dscnt 0x3
	v_lshl_add_u32 v68, v69, 16, v68
	s_wait_dscnt 0x2
	s_delay_alu instid0(VALU_DEP_1) | instskip(NEXT) | instid1(VALU_DEP_1)
	v_add_nc_u32_e32 v69, v68, v72
	v_add_nc_u32_e32 v72, v73, v69
	s_delay_alu instid0(VALU_DEP_1) | instskip(NEXT) | instid1(VALU_DEP_1)
	v_add_nc_u32_e32 v73, v74, v72
	v_add_nc_u32_e32 v74, v75, v73
	s_wait_dscnt 0x0
	s_delay_alu instid0(VALU_DEP_1) | instskip(NEXT) | instid1(VALU_DEP_1)
	v_add_nc_u32_e32 v75, v70, v74
	v_add_nc_u32_e32 v70, v71, v75
	s_delay_alu instid0(VALU_DEP_1)
	v_add_nc_u32_e32 v71, v76, v70
	ds_store_2addr_b64 v67, v[68:69], v[72:73] offset1:1
	ds_store_2addr_b64 v67, v[74:75], v[70:71] offset0:2 offset1:3
	s_wait_dscnt 0x0
	s_barrier_signal -1
	s_barrier_wait -1
	ds_load_u16 v17, v17
	ds_load_u16 v20, v20
	;; [unrolled: 1-line block ×22, first 2 shown]
	v_mov_b64_e32 v[2:3], 0
                                        ; implicit-def: $vgpr4
	s_and_saveexec_b32 s4, s2
	s_cbranch_execz .LBB126_123
; %bb.120:
	v_dual_lshlrev_b32 v2, 12, v0 :: v_dual_lshrrev_b32 v3, 2, v0
	v_add_nc_u32_e32 v4, 1, v0
	s_mov_b32 s5, exec_lo
	s_delay_alu instid0(VALU_DEP_2)
	v_bitop3_b32 v2, v2, 0x70fe, v3 bitop3:0xc8
	v_mov_b32_e32 v3, 0x5800
	ds_load_u16 v2, v2
	v_cmpx_ne_u32_e32 16, v4
; %bb.121:
	v_dual_lshlrev_b32 v3, 12, v4 :: v_dual_lshrrev_b32 v4, 2, v4
	s_delay_alu instid0(VALU_DEP_1)
	v_bitop3_b32 v3, v3, 0x71fe, v4 bitop3:0xc8
	ds_load_u16 v3, v3
; %bb.122:
	s_or_b32 exec_lo, exec_lo, s5
	s_wait_dscnt 0x0
	v_and_b32_e32 v2, 0xffff, v2
	s_mov_b32 s3, 0
	s_delay_alu instid0(VALU_DEP_1) | instid1(SALU_CYCLE_1)
	v_dual_mov_b32 v3, s3 :: v_dual_sub_nc_u32 v4, v3, v2
.LBB126_123:
	s_or_b32 exec_lo, exec_lo, s4
	s_wait_dscnt 0x15
	v_and_b32_e32 v17, 0xffff, v17
	v_and_b32_e32 v11, 0xffff, v11
	s_wait_dscnt 0x14
	v_and_b32_e32 v20, 0xffff, v20
	v_and_b32_e32 v14, 0xffff, v14
	;; [unrolled: 3-line block ×4, first 2 shown]
	v_dual_add_nc_u32 v11, v17, v11 :: v_dual_add_nc_u32 v14, v20, v14
	s_wait_dscnt 0x11
	v_and_b32_e32 v34, 0xffff, v34
	v_and_b32_e32 v21, 0xffff, v21
	s_wait_dscnt 0x10
	v_and_b32_e32 v41, 0xffff, v41
	v_and_b32_e32 v25, 0xffff, v25
	v_add_nc_u32_e32 v15, v67, v15
	s_wait_dscnt 0xf
	v_and_b32_e32 v68, 0xffff, v68
	v_and_b32_e32 v29, 0xffff, v29
	s_wait_dscnt 0xe
	v_and_b32_e32 v47, 0xffff, v47
	v_and_b32_e32 v31, 0xffff, v31
	;; [unrolled: 3-line block ×3, first 2 shown]
	s_wait_dscnt 0x0
	s_barrier_signal -1
	s_barrier_wait -1
	ds_store_b8 v11, v1 offset:128
	ds_store_b8 v14, v7 offset:128
	;; [unrolled: 1-line block ×3, first 2 shown]
	v_dual_add_nc_u32 v1, v27, v19 :: v_dual_add_nc_u32 v10, v41, v25
	v_and_b32_e32 v51, 0xffff, v51
	v_and_b32_e32 v35, 0xffff, v35
	v_add_nc_u32_e32 v7, v34, v21
	v_and_b32_e32 v69, 0xffff, v69
	v_and_b32_e32 v38, 0xffff, v38
	;; [unrolled: 1-line block ×4, first 2 shown]
	v_dual_add_nc_u32 v11, v68, v29 :: v_dual_add_nc_u32 v14, v47, v31
	v_and_b32_e32 v56, 0xffff, v56
	v_and_b32_e32 v43, 0xffff, v43
	;; [unrolled: 1-line block ×4, first 2 shown]
	ds_store_b8 v1, v12 offset:128
	ds_store_b8 v7, v13 offset:128
	;; [unrolled: 1-line block ×5, first 2 shown]
	v_dual_add_nc_u32 v1, v49, v33 :: v_dual_add_nc_u32 v6, v51, v35
	v_and_b32_e32 v59, 0xffff, v59
	v_and_b32_e32 v45, 0xffff, v45
	;; [unrolled: 1-line block ×4, first 2 shown]
	v_dual_add_nc_u32 v7, v69, v38 :: v_dual_add_nc_u32 v10, v54, v40
	v_and_b32_e32 v61, 0xffff, v61
	v_and_b32_e32 v48, 0xffff, v48
	;; [unrolled: 1-line block ×4, first 2 shown]
	v_add_nc_u32_e32 v11, v56, v43
	ds_store_b8 v1, v22 offset:128
	ds_store_b8 v6, v23 offset:128
	;; [unrolled: 1-line block ×5, first 2 shown]
	v_dual_add_nc_u32 v1, v58, v44 :: v_dual_add_nc_u32 v6, v59, v45
	v_dual_add_nc_u32 v7, v60, v46 :: v_dual_add_nc_u32 v10, v61, v48
	v_add_nc_u32_e32 v11, v62, v50
	v_and_b32_e32 v63, 0xffff, v63
	v_and_b32_e32 v66, 0xffff, v66
	;; [unrolled: 1-line block ×4, first 2 shown]
	ds_store_b8 v1, v30 offset:128
	ds_store_b8 v6, v32 offset:128
	;; [unrolled: 1-line block ×5, first 2 shown]
	v_mov_b32_e32 v7, 0
	v_and_b32_e32 v64, 0xffff, v64
	v_and_b32_e32 v53, 0xffff, v53
	;; [unrolled: 1-line block ×4, first 2 shown]
	v_dual_add_nc_u32 v6, v63, v52 :: v_dual_add_nc_u32 v12, v66, v57
	v_dual_mov_b32 v1, v7 :: v_dual_lshlrev_b32 v5, 3, v0
	s_delay_alu instid0(VALU_DEP_3)
	v_dual_add_nc_u32 v10, v64, v53 :: v_dual_add_nc_u32 v11, v65, v55
	s_not_b32 s3, s12
	ds_store_b8 v6, v37 offset:128
	ds_store_b8 v10, v8 offset:128
	;; [unrolled: 1-line block ×4, first 2 shown]
	s_and_saveexec_b32 s4, s2
	s_cbranch_execz .LBB126_133
; %bb.124:
	v_lshl_add_u32 v6, s19, 4, v0
	v_dual_mov_b32 v10, 0 :: v_dual_bitop2_b32 v11, 2.0, v4 bitop3:0x54
	s_mov_b32 s5, 0
	s_mov_b32 s6, s19
	s_delay_alu instid0(VALU_DEP_2)
	v_lshl_add_u64 v[8:9], v[6:7], 2, s[20:21]
	global_store_b32 v6, v11, s[20:21] scale_offset scope:SCOPE_DEV
                                        ; implicit-def: $sgpr2
	s_branch .LBB126_127
.LBB126_125:                            ;   in Loop: Header=BB126_127 Depth=1
	s_or_b32 exec_lo, exec_lo, s12
.LBB126_126:                            ;   in Loop: Header=BB126_127 Depth=1
	s_delay_alu instid0(SALU_CYCLE_1) | instskip(SKIP_2) | instid1(VALU_DEP_2)
	s_or_b32 exec_lo, exec_lo, s7
	v_and_b32_e32 v6, 0x3fffffff, v11
	v_cmp_gt_i32_e64 s2, -2.0, v11
	v_add_nc_u32_e32 v10, v6, v10
	s_and_b32 s7, exec_lo, s2
	s_delay_alu instid0(SALU_CYCLE_1) | instskip(NEXT) | instid1(SALU_CYCLE_1)
	s_or_b32 s5, s7, s5
	s_and_not1_b32 exec_lo, exec_lo, s5
	s_cbranch_execz .LBB126_132
.LBB126_127:                            ; =>This Loop Header: Depth=1
                                        ;     Child Loop BB126_130 Depth 2
	s_or_b32 s2, s2, exec_lo
	s_cmp_eq_u32 s6, 0
	s_cbranch_scc1 .LBB126_131
; %bb.128:                              ;   in Loop: Header=BB126_127 Depth=1
	s_add_co_i32 s6, s6, -1
	s_mov_b32 s7, exec_lo
	s_wait_xcnt 0x0
	v_lshl_or_b32 v6, s6, 4, v0
	global_load_b32 v11, v6, s[20:21] scale_offset scope:SCOPE_DEV
	s_wait_loadcnt 0x0
	v_cmpx_gt_u32_e32 2.0, v11
	s_cbranch_execz .LBB126_126
; %bb.129:                              ;   in Loop: Header=BB126_127 Depth=1
	v_lshl_add_u64 v[12:13], v[6:7], 2, s[20:21]
	s_mov_b32 s12, 0
.LBB126_130:                            ;   Parent Loop BB126_127 Depth=1
                                        ; =>  This Inner Loop Header: Depth=2
	global_load_b32 v11, v[12:13], off scope:SCOPE_DEV
	s_wait_loadcnt 0x0
	v_cmp_lt_u32_e64 s2, 0x3fffffff, v11
	s_or_b32 s12, s2, s12
	s_wait_xcnt 0x0
	s_and_not1_b32 exec_lo, exec_lo, s12
	s_cbranch_execnz .LBB126_130
	s_branch .LBB126_125
.LBB126_131:                            ;   in Loop: Header=BB126_127 Depth=1
                                        ; implicit-def: $sgpr6
	s_and_b32 s7, exec_lo, s2
	s_delay_alu instid0(SALU_CYCLE_1)
	s_or_b32 s5, s7, s5
	s_wait_xcnt 0x0
	s_and_not1_b32 exec_lo, exec_lo, s5
	s_cbranch_execnz .LBB126_127
.LBB126_132:
	s_or_b32 exec_lo, exec_lo, s5
	v_dual_mov_b32 v11, 0 :: v_dual_add_nc_u32 v6, v10, v4
	s_delay_alu instid0(VALU_DEP_1) | instskip(SKIP_4) | instid1(VALU_DEP_1)
	v_or_b32_e32 v6, 0x80000000, v6
	global_store_b32 v[8:9], v6, off scope:SCOPE_DEV
	global_load_b64 v[6:7], v0, s[8:9] scale_offset
	v_sub_nc_u64_e32 v[8:9], v[10:11], v[2:3]
	s_wait_loadcnt 0x0
	v_add_nc_u64_e32 v[6:7], v[8:9], v[6:7]
	ds_store_b64 v5, v[6:7]
.LBB126_133:
	s_wait_xcnt 0x0
	s_or_b32 exec_lo, exec_lo, s4
	s_wait_storecnt_dscnt 0x0
	s_barrier_signal -1
	s_barrier_wait -1
	ds_load_u8 v26, v0 offset:20608
	ds_load_u8 v27, v0 offset:21632
	;; [unrolled: 1-line block ×22, first 2 shown]
	s_wait_dscnt 0xf
	v_and_b32_e32 v12, 0xff, v10
	s_wait_dscnt 0x7
	v_and_b32_e32 v46, 0xff, v37
	v_and_b32_e32 v18, 0xff, v31
	;; [unrolled: 1-line block ×7, first 2 shown]
	s_delay_alu instid0(VALU_DEP_4) | instskip(NEXT) | instid1(VALU_DEP_4)
	v_dual_lshrrev_b32 v6, s16, v6 :: v_dual_bitop2_b32 v24, -1, v8 bitop3:0x14
	v_dual_lshrrev_b32 v7, s16, v7 :: v_dual_bitop2_b32 v45, -1, v10 bitop3:0x14
	s_delay_alu instid0(VALU_DEP_4) | instskip(SKIP_1) | instid1(VALU_DEP_3)
	v_lshrrev_b32_e32 v11, s16, v11
	v_and_b32_e32 v10, 0xff, v30
	v_dual_lshrrev_b32 v13, s16, v13 :: v_dual_bitop2_b32 v7, s3, v7 bitop3:0x40
	v_dual_lshrrev_b32 v12, s16, v12 :: v_dual_bitop2_b32 v6, s3, v6 bitop3:0x40
	s_delay_alu instid0(VALU_DEP_3) | instskip(NEXT) | instid1(VALU_DEP_3)
	v_dual_lshrrev_b32 v10, s16, v10 :: v_dual_bitop2_b32 v11, s3, v11 bitop3:0x40
	v_dual_lshlrev_b32 v9, 3, v7 :: v_dual_bitop2_b32 v13, s3, v13 bitop3:0x40
	s_delay_alu instid0(VALU_DEP_3) | instskip(NEXT) | instid1(VALU_DEP_3)
	v_lshlrev_b32_e32 v6, 3, v6
	v_and_b32_e32 v10, s3, v10
	s_delay_alu instid0(VALU_DEP_4) | instskip(NEXT) | instid1(VALU_DEP_4)
	v_dual_lshlrev_b32 v14, 3, v11 :: v_dual_bitop2_b32 v12, s3, v12 bitop3:0x40
	v_lshlrev_b32_e32 v13, 3, v13
	ds_load_b64 v[6:7], v6
	ds_load_b64 v[8:9], v9
	v_dual_lshlrev_b32 v16, 3, v10 :: v_dual_lshlrev_b32 v15, 3, v12
	ds_load_b64 v[10:11], v13
	ds_load_b64 v[12:13], v14
	v_and_b32_e32 v21, 0xff, v33
	v_and_b32_e32 v22, 0xff, v34
	ds_load_b64 v[14:15], v15
	ds_load_b64 v[16:17], v16
	v_dual_lshrrev_b32 v18, s16, v18 :: v_dual_lshrrev_b32 v19, s16, v19
	v_and_b32_e32 v23, 0xff, v35
	v_and_b32_e32 v25, 0xff, v36
	v_dual_lshrrev_b32 v21, s16, v21 :: v_dual_lshrrev_b32 v22, s16, v22
	s_delay_alu instid0(VALU_DEP_4) | instskip(NEXT) | instid1(VALU_DEP_4)
	v_and_b32_e32 v19, s3, v19
	v_dual_lshrrev_b32 v23, s16, v23 :: v_dual_bitop2_b32 v18, s3, v18 bitop3:0x40
	s_delay_alu instid0(VALU_DEP_3) | instskip(NEXT) | instid1(VALU_DEP_3)
	v_dual_lshrrev_b32 v25, s16, v25 :: v_dual_bitop2_b32 v48, s3, v22 bitop3:0x40
	v_dual_lshlrev_b32 v22, 3, v19 :: v_dual_bitop2_b32 v21, s3, v21 bitop3:0x40
	s_delay_alu instid0(VALU_DEP_2) | instskip(NEXT) | instid1(VALU_DEP_4)
	v_dual_lshlrev_b32 v18, 3, v18 :: v_dual_bitop2_b32 v25, s3, v25 bitop3:0x40
	v_dual_lshrrev_b32 v46, s16, v46 :: v_dual_bitop2_b32 v49, s3, v23 bitop3:0x40
	s_wait_dscnt 0x3
	v_add_nc_u64_e32 v[10:11], s[14:15], v[10:11]
	v_lshlrev_b32_e32 v23, 3, v21
	s_wait_dscnt 0x2
	v_add_nc_u64_e32 v[12:13], s[14:15], v[12:13]
	ds_load_b64 v[18:19], v18
	v_xor_b32_e32 v50, -1, v20
	ds_load_b64 v[20:21], v22
	ds_load_b64 v[22:23], v23
	v_and_b32_e32 v47, 0xff, v38
	s_wait_dscnt 0x4
	v_add_nc_u64_e32 v[14:15], s[14:15], v[14:15]
	v_add_nc_u64_e32 v[10:11], v[10:11], v[0:1]
	;; [unrolled: 1-line block ×3, first 2 shown]
	s_wait_dscnt 0x3
	v_add_nc_u64_e32 v[16:17], s[14:15], v[16:17]
	v_dual_lshrrev_b32 v47, s16, v47 :: v_dual_bitop2_b32 v46, s3, v46 bitop3:0x40
	s_clause 0x1
	global_store_b8 v[10:11], v50, off
	global_store_b8 v[12:13], v24, off offset:1024
	v_add_nc_u64_e32 v[14:15], v[14:15], v[0:1]
	s_wait_xcnt 0x0
	v_dual_lshlrev_b32 v10, 3, v48 :: v_dual_lshlrev_b32 v24, 3, v25
	v_dual_lshlrev_b32 v12, 3, v49 :: v_dual_bitop2_b32 v47, s3, v47 bitop3:0x40
	v_add_nc_u64_e32 v[16:17], v[16:17], v[0:1]
	v_xor_b32_e32 v30, -1, v30
	ds_load_b64 v[10:11], v10
	ds_load_b64 v[12:13], v12
	;; [unrolled: 1-line block ×3, first 2 shown]
	global_store_b8 v[14:15], v45, off offset:2048
	s_wait_xcnt 0x0
	v_dual_lshlrev_b32 v45, 3, v46 :: v_dual_lshlrev_b32 v46, 3, v47
	s_wait_dscnt 0x5
	v_add_nc_u64_e32 v[14:15], s[14:15], v[18:19]
	global_store_b8 v[16:17], v30, off offset:3072
	s_wait_dscnt 0x4
	s_wait_xcnt 0x0
	v_add_nc_u64_e32 v[16:17], s[14:15], v[20:21]
	s_wait_dscnt 0x3
	v_add_nc_u64_e32 v[18:19], s[14:15], v[22:23]
	ds_load_b64 v[20:21], v45
	ds_load_b64 v[22:23], v46
	v_xor_b32_e32 v30, -1, v31
	v_xor_b32_e32 v31, -1, v32
	v_add_nc_u64_e32 v[14:15], v[14:15], v[0:1]
	v_xor_b32_e32 v32, -1, v33
	v_add_nc_u64_e32 v[16:17], v[16:17], v[0:1]
	v_add_nc_u64_e32 v[18:19], v[18:19], v[0:1]
	v_xor_b32_e32 v33, -1, v42
	v_add_nc_u64_e32 v[6:7], s[14:15], v[6:7]
	v_add_nc_u64_e32 v[8:9], s[14:15], v[8:9]
	s_wait_dscnt 0x4
	v_add_nc_u64_e32 v[10:11], s[14:15], v[10:11]
	s_wait_dscnt 0x3
	v_add_nc_u64_e32 v[12:13], s[14:15], v[12:13]
	global_store_b8 v[14:15], v30, off offset:4096
	s_wait_dscnt 0x2
	s_wait_xcnt 0x0
	v_add_nc_u64_e32 v[14:15], s[14:15], v[24:25]
	s_clause 0x1
	global_store_b8 v[16:17], v31, off offset:5120
	global_store_b8 v[18:19], v32, off offset:6144
	v_xor_b32_e32 v24, -1, v34
	v_xor_b32_e32 v25, -1, v35
	v_add_nc_u64_e32 v[10:11], v[10:11], v[0:1]
	v_add_nc_u64_e32 v[12:13], v[12:13], v[0:1]
	s_wait_dscnt 0x1
	s_wait_xcnt 0x1
	v_add_nc_u64_e32 v[16:17], s[14:15], v[20:21]
	s_wait_dscnt 0x0
	s_wait_xcnt 0x0
	v_add_nc_u64_e32 v[18:19], s[14:15], v[22:23]
	v_add_nc_u64_e32 v[14:15], v[14:15], v[0:1]
	s_clause 0x1
	global_store_b8 v[10:11], v24, off offset:7168
	global_store_b8 v[12:13], v25, off offset:8192
	v_xor_b32_e32 v30, -1, v36
	v_and_b32_e32 v20, 0xff, v39
	s_wait_xcnt 0x0
	v_add_nc_u64_e32 v[12:13], v[18:19], v[0:1]
	v_and_b32_e32 v18, 0xff, v43
	v_add_nc_u64_e32 v[10:11], v[16:17], v[0:1]
	v_and_b32_e32 v16, 0xff, v41
	global_store_b8 v[14:15], v30, off offset:9216
	s_wait_xcnt 0x0
	v_and_b32_e32 v15, 0xff, v40
	v_lshrrev_b32_e32 v18, s16, v18
	v_and_b32_e32 v17, 0xff, v42
	v_lshrrev_b32_e32 v14, s16, v20
	v_lshrrev_b32_e32 v16, s16, v16
	v_and_b32_e32 v25, 0xff, v28
	v_dual_lshrrev_b32 v15, s16, v15 :: v_dual_bitop2_b32 v18, s3, v18 bitop3:0x40
	v_lshrrev_b32_e32 v17, s16, v17
	v_and_b32_e32 v23, 0xff, v44
	s_delay_alu instid0(VALU_DEP_4) | instskip(NEXT) | instid1(VALU_DEP_4)
	v_dual_lshrrev_b32 v25, s16, v25 :: v_dual_bitop2_b32 v16, s3, v16 bitop3:0x40
	v_lshlrev_b32_e32 v22, 3, v18
	v_and_b32_e32 v14, s3, v14
	s_delay_alu instid0(VALU_DEP_4) | instskip(NEXT) | instid1(VALU_DEP_4)
	v_dual_lshrrev_b32 v31, s16, v23 :: v_dual_bitop2_b32 v17, s3, v17 bitop3:0x40
	v_dual_lshlrev_b32 v20, 3, v16 :: v_dual_bitop2_b32 v19, s3, v15 bitop3:0x40
	s_delay_alu instid0(VALU_DEP_2) | instskip(NEXT) | instid1(VALU_DEP_2)
	v_dual_lshlrev_b32 v14, 3, v14 :: v_dual_lshlrev_b32 v21, 3, v17
	v_dual_lshlrev_b32 v19, 3, v19 :: v_dual_bitop2_b32 v24, -1, v37 bitop3:0x14
	v_and_b32_e32 v30, 0xff, v29
	ds_load_b64 v[14:15], v14
	ds_load_b64 v[16:17], v19
	;; [unrolled: 1-line block ×4, first 2 shown]
	v_dual_lshrrev_b32 v30, s16, v30 :: v_dual_bitop2_b32 v31, s3, v31 bitop3:0x40
	v_xor_b32_e32 v32, -1, v38
	global_store_b8 v[10:11], v24, off offset:10240
	ds_load_b64 v[22:23], v22
	v_add_nc_u64_e32 v[6:7], v[6:7], v[0:1]
	v_add_nc_u64_e32 v[8:9], v[8:9], v[0:1]
	global_store_b8 v[12:13], v32, off offset:11264
	s_wait_xcnt 0x0
	v_and_b32_e32 v12, s3, v30
	v_dual_lshlrev_b32 v13, 3, v31 :: v_dual_bitop2_b32 v10, s3, v25 bitop3:0x40
	v_xor_b32_e32 v31, -1, v40
	s_delay_alu instid0(VALU_DEP_3) | instskip(NEXT) | instid1(VALU_DEP_3)
	v_dual_lshlrev_b32 v25, 3, v12 :: v_dual_bitop2_b32 v32, -1, v41 bitop3:0x14
	v_dual_lshlrev_b32 v24, 3, v10 :: v_dual_bitop2_b32 v30, -1, v39 bitop3:0x14
	s_wait_dscnt 0x4
	v_add_nc_u64_e32 v[10:11], s[14:15], v[14:15]
	s_wait_dscnt 0x3
	v_add_nc_u64_e32 v[14:15], s[14:15], v[16:17]
	;; [unrolled: 2-line block ×4, first 2 shown]
	ds_load_b64 v[16:17], v24
	ds_load_b64 v[12:13], v13
	;; [unrolled: 1-line block ×3, first 2 shown]
	v_add_nc_u64_e32 v[10:11], v[10:11], v[0:1]
	v_add_nc_u64_e32 v[14:15], v[14:15], v[0:1]
	;; [unrolled: 1-line block ×4, first 2 shown]
	s_wait_dscnt 0x3
	v_add_nc_u64_e32 v[22:23], s[14:15], v[22:23]
	s_clause 0x3
	global_store_b8 v[10:11], v30, off offset:12288
	global_store_b8 v[14:15], v31, off offset:13312
	;; [unrolled: 1-line block ×4, first 2 shown]
	s_wait_xcnt 0x3
	v_xor_b32_e32 v30, -1, v43
	s_wait_xcnt 0x1
	v_xor_b32_e32 v18, -1, v29
	v_add_nc_u64_e32 v[22:23], v[22:23], v[0:1]
	v_xor_b32_e32 v19, -1, v27
	s_wait_dscnt 0x1
	v_add_nc_u64_e32 v[10:11], s[14:15], v[12:13]
	v_add_nc_u64_e32 v[12:13], s[14:15], v[16:17]
	s_wait_dscnt 0x0
	v_add_nc_u64_e32 v[14:15], s[14:15], v[24:25]
	v_xor_b32_e32 v16, -1, v44
	v_xor_b32_e32 v17, -1, v28
	global_store_b8 v[22:23], v30, off offset:16384
	v_add_nc_u64_e32 v[10:11], v[10:11], v[0:1]
	v_add_nc_u64_e32 v[12:13], v[12:13], v[0:1]
	;; [unrolled: 1-line block ×3, first 2 shown]
	v_xor_b32_e32 v1, -1, v26
	s_clause 0x4
	global_store_b8 v[10:11], v16, off offset:17408
	global_store_b8 v[12:13], v17, off offset:18432
	;; [unrolled: 1-line block ×5, first 2 shown]
	s_load_b32 s0, s[0:1], 0x58
	s_wait_kmcnt 0x0
	s_add_co_i32 s0, s0, -1
	s_delay_alu instid0(SALU_CYCLE_1) | instskip(SKIP_2) | instid1(SALU_CYCLE_1)
	s_cmp_eq_u32 s19, s0
	s_cselect_b32 s0, -1, 0
	s_xor_b32 s1, vcc_lo, -1
	s_and_b32 s0, s1, s0
	s_delay_alu instid0(SALU_CYCLE_1)
	s_and_saveexec_b32 s1, s0
	s_cbranch_execz .LBB126_135
; %bb.134:
	ds_load_b64 v[6:7], v5
	v_mov_b32_e32 v5, 0
	s_delay_alu instid0(VALU_DEP_1) | instskip(SKIP_1) | instid1(VALU_DEP_1)
	v_add_nc_u64_e32 v[2:3], v[2:3], v[4:5]
	s_wait_dscnt 0x0
	v_add_nc_u64_e32 v[2:3], v[2:3], v[6:7]
	global_store_b64 v0, v[2:3], s[10:11] scale_offset
.LBB126_135:
	s_sendmsg sendmsg(MSG_DEALLOC_VGPRS)
	s_endpgm
	.section	.rodata,"a",@progbits
	.p2align	6, 0x0
	.amdhsa_kernel _ZN7rocprim17ROCPRIM_400000_NS6detail17trampoline_kernelINS0_14default_configENS1_35radix_sort_onesweep_config_selectorIhNS0_10empty_typeEEEZZNS1_29radix_sort_onesweep_iterationIS3_Lb1EPKhPhPS5_SB_mNS0_19identity_decomposerENS1_16block_id_wrapperIjLb0EEEEE10hipError_tT1_PNSt15iterator_traitsISG_E10value_typeET2_T3_PNSH_ISM_E10value_typeET4_T5_PSR_SS_PNS1_23onesweep_lookback_stateEbbT6_jjT7_P12ihipStream_tbENKUlT_T0_SG_SL_E_clIS9_SA_SB_SB_EEDaSZ_S10_SG_SL_EUlSZ_E_NS1_11comp_targetILNS1_3genE0ELNS1_11target_archE4294967295ELNS1_3gpuE0ELNS1_3repE0EEENS1_47radix_sort_onesweep_sort_config_static_selectorELNS0_4arch9wavefront6targetE0EEEvSG_
		.amdhsa_group_segment_fixed_size 32904
		.amdhsa_private_segment_fixed_size 0
		.amdhsa_kernarg_size 344
		.amdhsa_user_sgpr_count 2
		.amdhsa_user_sgpr_dispatch_ptr 0
		.amdhsa_user_sgpr_queue_ptr 0
		.amdhsa_user_sgpr_kernarg_segment_ptr 1
		.amdhsa_user_sgpr_dispatch_id 0
		.amdhsa_user_sgpr_kernarg_preload_length 0
		.amdhsa_user_sgpr_kernarg_preload_offset 0
		.amdhsa_user_sgpr_private_segment_size 0
		.amdhsa_wavefront_size32 1
		.amdhsa_uses_dynamic_stack 0
		.amdhsa_enable_private_segment 0
		.amdhsa_system_sgpr_workgroup_id_x 1
		.amdhsa_system_sgpr_workgroup_id_y 0
		.amdhsa_system_sgpr_workgroup_id_z 0
		.amdhsa_system_sgpr_workgroup_info 0
		.amdhsa_system_vgpr_workitem_id 0
		.amdhsa_next_free_vgpr 79
		.amdhsa_next_free_sgpr 25
		.amdhsa_named_barrier_count 0
		.amdhsa_reserve_vcc 1
		.amdhsa_float_round_mode_32 0
		.amdhsa_float_round_mode_16_64 0
		.amdhsa_float_denorm_mode_32 3
		.amdhsa_float_denorm_mode_16_64 3
		.amdhsa_fp16_overflow 0
		.amdhsa_memory_ordered 1
		.amdhsa_forward_progress 1
		.amdhsa_inst_pref_size 114
		.amdhsa_round_robin_scheduling 0
		.amdhsa_exception_fp_ieee_invalid_op 0
		.amdhsa_exception_fp_denorm_src 0
		.amdhsa_exception_fp_ieee_div_zero 0
		.amdhsa_exception_fp_ieee_overflow 0
		.amdhsa_exception_fp_ieee_underflow 0
		.amdhsa_exception_fp_ieee_inexact 0
		.amdhsa_exception_int_div_zero 0
	.end_amdhsa_kernel
	.section	.text._ZN7rocprim17ROCPRIM_400000_NS6detail17trampoline_kernelINS0_14default_configENS1_35radix_sort_onesweep_config_selectorIhNS0_10empty_typeEEEZZNS1_29radix_sort_onesweep_iterationIS3_Lb1EPKhPhPS5_SB_mNS0_19identity_decomposerENS1_16block_id_wrapperIjLb0EEEEE10hipError_tT1_PNSt15iterator_traitsISG_E10value_typeET2_T3_PNSH_ISM_E10value_typeET4_T5_PSR_SS_PNS1_23onesweep_lookback_stateEbbT6_jjT7_P12ihipStream_tbENKUlT_T0_SG_SL_E_clIS9_SA_SB_SB_EEDaSZ_S10_SG_SL_EUlSZ_E_NS1_11comp_targetILNS1_3genE0ELNS1_11target_archE4294967295ELNS1_3gpuE0ELNS1_3repE0EEENS1_47radix_sort_onesweep_sort_config_static_selectorELNS0_4arch9wavefront6targetE0EEEvSG_,"axG",@progbits,_ZN7rocprim17ROCPRIM_400000_NS6detail17trampoline_kernelINS0_14default_configENS1_35radix_sort_onesweep_config_selectorIhNS0_10empty_typeEEEZZNS1_29radix_sort_onesweep_iterationIS3_Lb1EPKhPhPS5_SB_mNS0_19identity_decomposerENS1_16block_id_wrapperIjLb0EEEEE10hipError_tT1_PNSt15iterator_traitsISG_E10value_typeET2_T3_PNSH_ISM_E10value_typeET4_T5_PSR_SS_PNS1_23onesweep_lookback_stateEbbT6_jjT7_P12ihipStream_tbENKUlT_T0_SG_SL_E_clIS9_SA_SB_SB_EEDaSZ_S10_SG_SL_EUlSZ_E_NS1_11comp_targetILNS1_3genE0ELNS1_11target_archE4294967295ELNS1_3gpuE0ELNS1_3repE0EEENS1_47radix_sort_onesweep_sort_config_static_selectorELNS0_4arch9wavefront6targetE0EEEvSG_,comdat
.Lfunc_end126:
	.size	_ZN7rocprim17ROCPRIM_400000_NS6detail17trampoline_kernelINS0_14default_configENS1_35radix_sort_onesweep_config_selectorIhNS0_10empty_typeEEEZZNS1_29radix_sort_onesweep_iterationIS3_Lb1EPKhPhPS5_SB_mNS0_19identity_decomposerENS1_16block_id_wrapperIjLb0EEEEE10hipError_tT1_PNSt15iterator_traitsISG_E10value_typeET2_T3_PNSH_ISM_E10value_typeET4_T5_PSR_SS_PNS1_23onesweep_lookback_stateEbbT6_jjT7_P12ihipStream_tbENKUlT_T0_SG_SL_E_clIS9_SA_SB_SB_EEDaSZ_S10_SG_SL_EUlSZ_E_NS1_11comp_targetILNS1_3genE0ELNS1_11target_archE4294967295ELNS1_3gpuE0ELNS1_3repE0EEENS1_47radix_sort_onesweep_sort_config_static_selectorELNS0_4arch9wavefront6targetE0EEEvSG_, .Lfunc_end126-_ZN7rocprim17ROCPRIM_400000_NS6detail17trampoline_kernelINS0_14default_configENS1_35radix_sort_onesweep_config_selectorIhNS0_10empty_typeEEEZZNS1_29radix_sort_onesweep_iterationIS3_Lb1EPKhPhPS5_SB_mNS0_19identity_decomposerENS1_16block_id_wrapperIjLb0EEEEE10hipError_tT1_PNSt15iterator_traitsISG_E10value_typeET2_T3_PNSH_ISM_E10value_typeET4_T5_PSR_SS_PNS1_23onesweep_lookback_stateEbbT6_jjT7_P12ihipStream_tbENKUlT_T0_SG_SL_E_clIS9_SA_SB_SB_EEDaSZ_S10_SG_SL_EUlSZ_E_NS1_11comp_targetILNS1_3genE0ELNS1_11target_archE4294967295ELNS1_3gpuE0ELNS1_3repE0EEENS1_47radix_sort_onesweep_sort_config_static_selectorELNS0_4arch9wavefront6targetE0EEEvSG_
                                        ; -- End function
	.set _ZN7rocprim17ROCPRIM_400000_NS6detail17trampoline_kernelINS0_14default_configENS1_35radix_sort_onesweep_config_selectorIhNS0_10empty_typeEEEZZNS1_29radix_sort_onesweep_iterationIS3_Lb1EPKhPhPS5_SB_mNS0_19identity_decomposerENS1_16block_id_wrapperIjLb0EEEEE10hipError_tT1_PNSt15iterator_traitsISG_E10value_typeET2_T3_PNSH_ISM_E10value_typeET4_T5_PSR_SS_PNS1_23onesweep_lookback_stateEbbT6_jjT7_P12ihipStream_tbENKUlT_T0_SG_SL_E_clIS9_SA_SB_SB_EEDaSZ_S10_SG_SL_EUlSZ_E_NS1_11comp_targetILNS1_3genE0ELNS1_11target_archE4294967295ELNS1_3gpuE0ELNS1_3repE0EEENS1_47radix_sort_onesweep_sort_config_static_selectorELNS0_4arch9wavefront6targetE0EEEvSG_.num_vgpr, 79
	.set _ZN7rocprim17ROCPRIM_400000_NS6detail17trampoline_kernelINS0_14default_configENS1_35radix_sort_onesweep_config_selectorIhNS0_10empty_typeEEEZZNS1_29radix_sort_onesweep_iterationIS3_Lb1EPKhPhPS5_SB_mNS0_19identity_decomposerENS1_16block_id_wrapperIjLb0EEEEE10hipError_tT1_PNSt15iterator_traitsISG_E10value_typeET2_T3_PNSH_ISM_E10value_typeET4_T5_PSR_SS_PNS1_23onesweep_lookback_stateEbbT6_jjT7_P12ihipStream_tbENKUlT_T0_SG_SL_E_clIS9_SA_SB_SB_EEDaSZ_S10_SG_SL_EUlSZ_E_NS1_11comp_targetILNS1_3genE0ELNS1_11target_archE4294967295ELNS1_3gpuE0ELNS1_3repE0EEENS1_47radix_sort_onesweep_sort_config_static_selectorELNS0_4arch9wavefront6targetE0EEEvSG_.num_agpr, 0
	.set _ZN7rocprim17ROCPRIM_400000_NS6detail17trampoline_kernelINS0_14default_configENS1_35radix_sort_onesweep_config_selectorIhNS0_10empty_typeEEEZZNS1_29radix_sort_onesweep_iterationIS3_Lb1EPKhPhPS5_SB_mNS0_19identity_decomposerENS1_16block_id_wrapperIjLb0EEEEE10hipError_tT1_PNSt15iterator_traitsISG_E10value_typeET2_T3_PNSH_ISM_E10value_typeET4_T5_PSR_SS_PNS1_23onesweep_lookback_stateEbbT6_jjT7_P12ihipStream_tbENKUlT_T0_SG_SL_E_clIS9_SA_SB_SB_EEDaSZ_S10_SG_SL_EUlSZ_E_NS1_11comp_targetILNS1_3genE0ELNS1_11target_archE4294967295ELNS1_3gpuE0ELNS1_3repE0EEENS1_47radix_sort_onesweep_sort_config_static_selectorELNS0_4arch9wavefront6targetE0EEEvSG_.numbered_sgpr, 25
	.set _ZN7rocprim17ROCPRIM_400000_NS6detail17trampoline_kernelINS0_14default_configENS1_35radix_sort_onesweep_config_selectorIhNS0_10empty_typeEEEZZNS1_29radix_sort_onesweep_iterationIS3_Lb1EPKhPhPS5_SB_mNS0_19identity_decomposerENS1_16block_id_wrapperIjLb0EEEEE10hipError_tT1_PNSt15iterator_traitsISG_E10value_typeET2_T3_PNSH_ISM_E10value_typeET4_T5_PSR_SS_PNS1_23onesweep_lookback_stateEbbT6_jjT7_P12ihipStream_tbENKUlT_T0_SG_SL_E_clIS9_SA_SB_SB_EEDaSZ_S10_SG_SL_EUlSZ_E_NS1_11comp_targetILNS1_3genE0ELNS1_11target_archE4294967295ELNS1_3gpuE0ELNS1_3repE0EEENS1_47radix_sort_onesweep_sort_config_static_selectorELNS0_4arch9wavefront6targetE0EEEvSG_.num_named_barrier, 0
	.set _ZN7rocprim17ROCPRIM_400000_NS6detail17trampoline_kernelINS0_14default_configENS1_35radix_sort_onesweep_config_selectorIhNS0_10empty_typeEEEZZNS1_29radix_sort_onesweep_iterationIS3_Lb1EPKhPhPS5_SB_mNS0_19identity_decomposerENS1_16block_id_wrapperIjLb0EEEEE10hipError_tT1_PNSt15iterator_traitsISG_E10value_typeET2_T3_PNSH_ISM_E10value_typeET4_T5_PSR_SS_PNS1_23onesweep_lookback_stateEbbT6_jjT7_P12ihipStream_tbENKUlT_T0_SG_SL_E_clIS9_SA_SB_SB_EEDaSZ_S10_SG_SL_EUlSZ_E_NS1_11comp_targetILNS1_3genE0ELNS1_11target_archE4294967295ELNS1_3gpuE0ELNS1_3repE0EEENS1_47radix_sort_onesweep_sort_config_static_selectorELNS0_4arch9wavefront6targetE0EEEvSG_.private_seg_size, 0
	.set _ZN7rocprim17ROCPRIM_400000_NS6detail17trampoline_kernelINS0_14default_configENS1_35radix_sort_onesweep_config_selectorIhNS0_10empty_typeEEEZZNS1_29radix_sort_onesweep_iterationIS3_Lb1EPKhPhPS5_SB_mNS0_19identity_decomposerENS1_16block_id_wrapperIjLb0EEEEE10hipError_tT1_PNSt15iterator_traitsISG_E10value_typeET2_T3_PNSH_ISM_E10value_typeET4_T5_PSR_SS_PNS1_23onesweep_lookback_stateEbbT6_jjT7_P12ihipStream_tbENKUlT_T0_SG_SL_E_clIS9_SA_SB_SB_EEDaSZ_S10_SG_SL_EUlSZ_E_NS1_11comp_targetILNS1_3genE0ELNS1_11target_archE4294967295ELNS1_3gpuE0ELNS1_3repE0EEENS1_47radix_sort_onesweep_sort_config_static_selectorELNS0_4arch9wavefront6targetE0EEEvSG_.uses_vcc, 1
	.set _ZN7rocprim17ROCPRIM_400000_NS6detail17trampoline_kernelINS0_14default_configENS1_35radix_sort_onesweep_config_selectorIhNS0_10empty_typeEEEZZNS1_29radix_sort_onesweep_iterationIS3_Lb1EPKhPhPS5_SB_mNS0_19identity_decomposerENS1_16block_id_wrapperIjLb0EEEEE10hipError_tT1_PNSt15iterator_traitsISG_E10value_typeET2_T3_PNSH_ISM_E10value_typeET4_T5_PSR_SS_PNS1_23onesweep_lookback_stateEbbT6_jjT7_P12ihipStream_tbENKUlT_T0_SG_SL_E_clIS9_SA_SB_SB_EEDaSZ_S10_SG_SL_EUlSZ_E_NS1_11comp_targetILNS1_3genE0ELNS1_11target_archE4294967295ELNS1_3gpuE0ELNS1_3repE0EEENS1_47radix_sort_onesweep_sort_config_static_selectorELNS0_4arch9wavefront6targetE0EEEvSG_.uses_flat_scratch, 0
	.set _ZN7rocprim17ROCPRIM_400000_NS6detail17trampoline_kernelINS0_14default_configENS1_35radix_sort_onesweep_config_selectorIhNS0_10empty_typeEEEZZNS1_29radix_sort_onesweep_iterationIS3_Lb1EPKhPhPS5_SB_mNS0_19identity_decomposerENS1_16block_id_wrapperIjLb0EEEEE10hipError_tT1_PNSt15iterator_traitsISG_E10value_typeET2_T3_PNSH_ISM_E10value_typeET4_T5_PSR_SS_PNS1_23onesweep_lookback_stateEbbT6_jjT7_P12ihipStream_tbENKUlT_T0_SG_SL_E_clIS9_SA_SB_SB_EEDaSZ_S10_SG_SL_EUlSZ_E_NS1_11comp_targetILNS1_3genE0ELNS1_11target_archE4294967295ELNS1_3gpuE0ELNS1_3repE0EEENS1_47radix_sort_onesweep_sort_config_static_selectorELNS0_4arch9wavefront6targetE0EEEvSG_.has_dyn_sized_stack, 0
	.set _ZN7rocprim17ROCPRIM_400000_NS6detail17trampoline_kernelINS0_14default_configENS1_35radix_sort_onesweep_config_selectorIhNS0_10empty_typeEEEZZNS1_29radix_sort_onesweep_iterationIS3_Lb1EPKhPhPS5_SB_mNS0_19identity_decomposerENS1_16block_id_wrapperIjLb0EEEEE10hipError_tT1_PNSt15iterator_traitsISG_E10value_typeET2_T3_PNSH_ISM_E10value_typeET4_T5_PSR_SS_PNS1_23onesweep_lookback_stateEbbT6_jjT7_P12ihipStream_tbENKUlT_T0_SG_SL_E_clIS9_SA_SB_SB_EEDaSZ_S10_SG_SL_EUlSZ_E_NS1_11comp_targetILNS1_3genE0ELNS1_11target_archE4294967295ELNS1_3gpuE0ELNS1_3repE0EEENS1_47radix_sort_onesweep_sort_config_static_selectorELNS0_4arch9wavefront6targetE0EEEvSG_.has_recursion, 0
	.set _ZN7rocprim17ROCPRIM_400000_NS6detail17trampoline_kernelINS0_14default_configENS1_35radix_sort_onesweep_config_selectorIhNS0_10empty_typeEEEZZNS1_29radix_sort_onesweep_iterationIS3_Lb1EPKhPhPS5_SB_mNS0_19identity_decomposerENS1_16block_id_wrapperIjLb0EEEEE10hipError_tT1_PNSt15iterator_traitsISG_E10value_typeET2_T3_PNSH_ISM_E10value_typeET4_T5_PSR_SS_PNS1_23onesweep_lookback_stateEbbT6_jjT7_P12ihipStream_tbENKUlT_T0_SG_SL_E_clIS9_SA_SB_SB_EEDaSZ_S10_SG_SL_EUlSZ_E_NS1_11comp_targetILNS1_3genE0ELNS1_11target_archE4294967295ELNS1_3gpuE0ELNS1_3repE0EEENS1_47radix_sort_onesweep_sort_config_static_selectorELNS0_4arch9wavefront6targetE0EEEvSG_.has_indirect_call, 0
	.section	.AMDGPU.csdata,"",@progbits
; Kernel info:
; codeLenInByte = 14520
; TotalNumSgprs: 27
; NumVgprs: 79
; ScratchSize: 0
; MemoryBound: 0
; FloatMode: 240
; IeeeMode: 1
; LDSByteSize: 32904 bytes/workgroup (compile time only)
; SGPRBlocks: 0
; VGPRBlocks: 4
; NumSGPRsForWavesPerEU: 27
; NumVGPRsForWavesPerEU: 79
; NamedBarCnt: 0
; Occupancy: 12
; WaveLimiterHint : 0
; COMPUTE_PGM_RSRC2:SCRATCH_EN: 0
; COMPUTE_PGM_RSRC2:USER_SGPR: 2
; COMPUTE_PGM_RSRC2:TRAP_HANDLER: 0
; COMPUTE_PGM_RSRC2:TGID_X_EN: 1
; COMPUTE_PGM_RSRC2:TGID_Y_EN: 0
; COMPUTE_PGM_RSRC2:TGID_Z_EN: 0
; COMPUTE_PGM_RSRC2:TIDIG_COMP_CNT: 0
	.section	.text._ZN7rocprim17ROCPRIM_400000_NS6detail17trampoline_kernelINS0_14default_configENS1_35radix_sort_onesweep_config_selectorIhNS0_10empty_typeEEEZZNS1_29radix_sort_onesweep_iterationIS3_Lb1EPKhPhPS5_SB_mNS0_19identity_decomposerENS1_16block_id_wrapperIjLb0EEEEE10hipError_tT1_PNSt15iterator_traitsISG_E10value_typeET2_T3_PNSH_ISM_E10value_typeET4_T5_PSR_SS_PNS1_23onesweep_lookback_stateEbbT6_jjT7_P12ihipStream_tbENKUlT_T0_SG_SL_E_clIS9_SA_SB_SB_EEDaSZ_S10_SG_SL_EUlSZ_E_NS1_11comp_targetILNS1_3genE6ELNS1_11target_archE950ELNS1_3gpuE13ELNS1_3repE0EEENS1_47radix_sort_onesweep_sort_config_static_selectorELNS0_4arch9wavefront6targetE0EEEvSG_,"axG",@progbits,_ZN7rocprim17ROCPRIM_400000_NS6detail17trampoline_kernelINS0_14default_configENS1_35radix_sort_onesweep_config_selectorIhNS0_10empty_typeEEEZZNS1_29radix_sort_onesweep_iterationIS3_Lb1EPKhPhPS5_SB_mNS0_19identity_decomposerENS1_16block_id_wrapperIjLb0EEEEE10hipError_tT1_PNSt15iterator_traitsISG_E10value_typeET2_T3_PNSH_ISM_E10value_typeET4_T5_PSR_SS_PNS1_23onesweep_lookback_stateEbbT6_jjT7_P12ihipStream_tbENKUlT_T0_SG_SL_E_clIS9_SA_SB_SB_EEDaSZ_S10_SG_SL_EUlSZ_E_NS1_11comp_targetILNS1_3genE6ELNS1_11target_archE950ELNS1_3gpuE13ELNS1_3repE0EEENS1_47radix_sort_onesweep_sort_config_static_selectorELNS0_4arch9wavefront6targetE0EEEvSG_,comdat
	.protected	_ZN7rocprim17ROCPRIM_400000_NS6detail17trampoline_kernelINS0_14default_configENS1_35radix_sort_onesweep_config_selectorIhNS0_10empty_typeEEEZZNS1_29radix_sort_onesweep_iterationIS3_Lb1EPKhPhPS5_SB_mNS0_19identity_decomposerENS1_16block_id_wrapperIjLb0EEEEE10hipError_tT1_PNSt15iterator_traitsISG_E10value_typeET2_T3_PNSH_ISM_E10value_typeET4_T5_PSR_SS_PNS1_23onesweep_lookback_stateEbbT6_jjT7_P12ihipStream_tbENKUlT_T0_SG_SL_E_clIS9_SA_SB_SB_EEDaSZ_S10_SG_SL_EUlSZ_E_NS1_11comp_targetILNS1_3genE6ELNS1_11target_archE950ELNS1_3gpuE13ELNS1_3repE0EEENS1_47radix_sort_onesweep_sort_config_static_selectorELNS0_4arch9wavefront6targetE0EEEvSG_ ; -- Begin function _ZN7rocprim17ROCPRIM_400000_NS6detail17trampoline_kernelINS0_14default_configENS1_35radix_sort_onesweep_config_selectorIhNS0_10empty_typeEEEZZNS1_29radix_sort_onesweep_iterationIS3_Lb1EPKhPhPS5_SB_mNS0_19identity_decomposerENS1_16block_id_wrapperIjLb0EEEEE10hipError_tT1_PNSt15iterator_traitsISG_E10value_typeET2_T3_PNSH_ISM_E10value_typeET4_T5_PSR_SS_PNS1_23onesweep_lookback_stateEbbT6_jjT7_P12ihipStream_tbENKUlT_T0_SG_SL_E_clIS9_SA_SB_SB_EEDaSZ_S10_SG_SL_EUlSZ_E_NS1_11comp_targetILNS1_3genE6ELNS1_11target_archE950ELNS1_3gpuE13ELNS1_3repE0EEENS1_47radix_sort_onesweep_sort_config_static_selectorELNS0_4arch9wavefront6targetE0EEEvSG_
	.globl	_ZN7rocprim17ROCPRIM_400000_NS6detail17trampoline_kernelINS0_14default_configENS1_35radix_sort_onesweep_config_selectorIhNS0_10empty_typeEEEZZNS1_29radix_sort_onesweep_iterationIS3_Lb1EPKhPhPS5_SB_mNS0_19identity_decomposerENS1_16block_id_wrapperIjLb0EEEEE10hipError_tT1_PNSt15iterator_traitsISG_E10value_typeET2_T3_PNSH_ISM_E10value_typeET4_T5_PSR_SS_PNS1_23onesweep_lookback_stateEbbT6_jjT7_P12ihipStream_tbENKUlT_T0_SG_SL_E_clIS9_SA_SB_SB_EEDaSZ_S10_SG_SL_EUlSZ_E_NS1_11comp_targetILNS1_3genE6ELNS1_11target_archE950ELNS1_3gpuE13ELNS1_3repE0EEENS1_47radix_sort_onesweep_sort_config_static_selectorELNS0_4arch9wavefront6targetE0EEEvSG_
	.p2align	8
	.type	_ZN7rocprim17ROCPRIM_400000_NS6detail17trampoline_kernelINS0_14default_configENS1_35radix_sort_onesweep_config_selectorIhNS0_10empty_typeEEEZZNS1_29radix_sort_onesweep_iterationIS3_Lb1EPKhPhPS5_SB_mNS0_19identity_decomposerENS1_16block_id_wrapperIjLb0EEEEE10hipError_tT1_PNSt15iterator_traitsISG_E10value_typeET2_T3_PNSH_ISM_E10value_typeET4_T5_PSR_SS_PNS1_23onesweep_lookback_stateEbbT6_jjT7_P12ihipStream_tbENKUlT_T0_SG_SL_E_clIS9_SA_SB_SB_EEDaSZ_S10_SG_SL_EUlSZ_E_NS1_11comp_targetILNS1_3genE6ELNS1_11target_archE950ELNS1_3gpuE13ELNS1_3repE0EEENS1_47radix_sort_onesweep_sort_config_static_selectorELNS0_4arch9wavefront6targetE0EEEvSG_,@function
_ZN7rocprim17ROCPRIM_400000_NS6detail17trampoline_kernelINS0_14default_configENS1_35radix_sort_onesweep_config_selectorIhNS0_10empty_typeEEEZZNS1_29radix_sort_onesweep_iterationIS3_Lb1EPKhPhPS5_SB_mNS0_19identity_decomposerENS1_16block_id_wrapperIjLb0EEEEE10hipError_tT1_PNSt15iterator_traitsISG_E10value_typeET2_T3_PNSH_ISM_E10value_typeET4_T5_PSR_SS_PNS1_23onesweep_lookback_stateEbbT6_jjT7_P12ihipStream_tbENKUlT_T0_SG_SL_E_clIS9_SA_SB_SB_EEDaSZ_S10_SG_SL_EUlSZ_E_NS1_11comp_targetILNS1_3genE6ELNS1_11target_archE950ELNS1_3gpuE13ELNS1_3repE0EEENS1_47radix_sort_onesweep_sort_config_static_selectorELNS0_4arch9wavefront6targetE0EEEvSG_: ; @_ZN7rocprim17ROCPRIM_400000_NS6detail17trampoline_kernelINS0_14default_configENS1_35radix_sort_onesweep_config_selectorIhNS0_10empty_typeEEEZZNS1_29radix_sort_onesweep_iterationIS3_Lb1EPKhPhPS5_SB_mNS0_19identity_decomposerENS1_16block_id_wrapperIjLb0EEEEE10hipError_tT1_PNSt15iterator_traitsISG_E10value_typeET2_T3_PNSH_ISM_E10value_typeET4_T5_PSR_SS_PNS1_23onesweep_lookback_stateEbbT6_jjT7_P12ihipStream_tbENKUlT_T0_SG_SL_E_clIS9_SA_SB_SB_EEDaSZ_S10_SG_SL_EUlSZ_E_NS1_11comp_targetILNS1_3genE6ELNS1_11target_archE950ELNS1_3gpuE13ELNS1_3repE0EEENS1_47radix_sort_onesweep_sort_config_static_selectorELNS0_4arch9wavefront6targetE0EEEvSG_
; %bb.0:
	.section	.rodata,"a",@progbits
	.p2align	6, 0x0
	.amdhsa_kernel _ZN7rocprim17ROCPRIM_400000_NS6detail17trampoline_kernelINS0_14default_configENS1_35radix_sort_onesweep_config_selectorIhNS0_10empty_typeEEEZZNS1_29radix_sort_onesweep_iterationIS3_Lb1EPKhPhPS5_SB_mNS0_19identity_decomposerENS1_16block_id_wrapperIjLb0EEEEE10hipError_tT1_PNSt15iterator_traitsISG_E10value_typeET2_T3_PNSH_ISM_E10value_typeET4_T5_PSR_SS_PNS1_23onesweep_lookback_stateEbbT6_jjT7_P12ihipStream_tbENKUlT_T0_SG_SL_E_clIS9_SA_SB_SB_EEDaSZ_S10_SG_SL_EUlSZ_E_NS1_11comp_targetILNS1_3genE6ELNS1_11target_archE950ELNS1_3gpuE13ELNS1_3repE0EEENS1_47radix_sort_onesweep_sort_config_static_selectorELNS0_4arch9wavefront6targetE0EEEvSG_
		.amdhsa_group_segment_fixed_size 0
		.amdhsa_private_segment_fixed_size 0
		.amdhsa_kernarg_size 88
		.amdhsa_user_sgpr_count 2
		.amdhsa_user_sgpr_dispatch_ptr 0
		.amdhsa_user_sgpr_queue_ptr 0
		.amdhsa_user_sgpr_kernarg_segment_ptr 1
		.amdhsa_user_sgpr_dispatch_id 0
		.amdhsa_user_sgpr_kernarg_preload_length 0
		.amdhsa_user_sgpr_kernarg_preload_offset 0
		.amdhsa_user_sgpr_private_segment_size 0
		.amdhsa_wavefront_size32 1
		.amdhsa_uses_dynamic_stack 0
		.amdhsa_enable_private_segment 0
		.amdhsa_system_sgpr_workgroup_id_x 1
		.amdhsa_system_sgpr_workgroup_id_y 0
		.amdhsa_system_sgpr_workgroup_id_z 0
		.amdhsa_system_sgpr_workgroup_info 0
		.amdhsa_system_vgpr_workitem_id 0
		.amdhsa_next_free_vgpr 1
		.amdhsa_next_free_sgpr 1
		.amdhsa_named_barrier_count 0
		.amdhsa_reserve_vcc 0
		.amdhsa_float_round_mode_32 0
		.amdhsa_float_round_mode_16_64 0
		.amdhsa_float_denorm_mode_32 3
		.amdhsa_float_denorm_mode_16_64 3
		.amdhsa_fp16_overflow 0
		.amdhsa_memory_ordered 1
		.amdhsa_forward_progress 1
		.amdhsa_inst_pref_size 0
		.amdhsa_round_robin_scheduling 0
		.amdhsa_exception_fp_ieee_invalid_op 0
		.amdhsa_exception_fp_denorm_src 0
		.amdhsa_exception_fp_ieee_div_zero 0
		.amdhsa_exception_fp_ieee_overflow 0
		.amdhsa_exception_fp_ieee_underflow 0
		.amdhsa_exception_fp_ieee_inexact 0
		.amdhsa_exception_int_div_zero 0
	.end_amdhsa_kernel
	.section	.text._ZN7rocprim17ROCPRIM_400000_NS6detail17trampoline_kernelINS0_14default_configENS1_35radix_sort_onesweep_config_selectorIhNS0_10empty_typeEEEZZNS1_29radix_sort_onesweep_iterationIS3_Lb1EPKhPhPS5_SB_mNS0_19identity_decomposerENS1_16block_id_wrapperIjLb0EEEEE10hipError_tT1_PNSt15iterator_traitsISG_E10value_typeET2_T3_PNSH_ISM_E10value_typeET4_T5_PSR_SS_PNS1_23onesweep_lookback_stateEbbT6_jjT7_P12ihipStream_tbENKUlT_T0_SG_SL_E_clIS9_SA_SB_SB_EEDaSZ_S10_SG_SL_EUlSZ_E_NS1_11comp_targetILNS1_3genE6ELNS1_11target_archE950ELNS1_3gpuE13ELNS1_3repE0EEENS1_47radix_sort_onesweep_sort_config_static_selectorELNS0_4arch9wavefront6targetE0EEEvSG_,"axG",@progbits,_ZN7rocprim17ROCPRIM_400000_NS6detail17trampoline_kernelINS0_14default_configENS1_35radix_sort_onesweep_config_selectorIhNS0_10empty_typeEEEZZNS1_29radix_sort_onesweep_iterationIS3_Lb1EPKhPhPS5_SB_mNS0_19identity_decomposerENS1_16block_id_wrapperIjLb0EEEEE10hipError_tT1_PNSt15iterator_traitsISG_E10value_typeET2_T3_PNSH_ISM_E10value_typeET4_T5_PSR_SS_PNS1_23onesweep_lookback_stateEbbT6_jjT7_P12ihipStream_tbENKUlT_T0_SG_SL_E_clIS9_SA_SB_SB_EEDaSZ_S10_SG_SL_EUlSZ_E_NS1_11comp_targetILNS1_3genE6ELNS1_11target_archE950ELNS1_3gpuE13ELNS1_3repE0EEENS1_47radix_sort_onesweep_sort_config_static_selectorELNS0_4arch9wavefront6targetE0EEEvSG_,comdat
.Lfunc_end127:
	.size	_ZN7rocprim17ROCPRIM_400000_NS6detail17trampoline_kernelINS0_14default_configENS1_35radix_sort_onesweep_config_selectorIhNS0_10empty_typeEEEZZNS1_29radix_sort_onesweep_iterationIS3_Lb1EPKhPhPS5_SB_mNS0_19identity_decomposerENS1_16block_id_wrapperIjLb0EEEEE10hipError_tT1_PNSt15iterator_traitsISG_E10value_typeET2_T3_PNSH_ISM_E10value_typeET4_T5_PSR_SS_PNS1_23onesweep_lookback_stateEbbT6_jjT7_P12ihipStream_tbENKUlT_T0_SG_SL_E_clIS9_SA_SB_SB_EEDaSZ_S10_SG_SL_EUlSZ_E_NS1_11comp_targetILNS1_3genE6ELNS1_11target_archE950ELNS1_3gpuE13ELNS1_3repE0EEENS1_47radix_sort_onesweep_sort_config_static_selectorELNS0_4arch9wavefront6targetE0EEEvSG_, .Lfunc_end127-_ZN7rocprim17ROCPRIM_400000_NS6detail17trampoline_kernelINS0_14default_configENS1_35radix_sort_onesweep_config_selectorIhNS0_10empty_typeEEEZZNS1_29radix_sort_onesweep_iterationIS3_Lb1EPKhPhPS5_SB_mNS0_19identity_decomposerENS1_16block_id_wrapperIjLb0EEEEE10hipError_tT1_PNSt15iterator_traitsISG_E10value_typeET2_T3_PNSH_ISM_E10value_typeET4_T5_PSR_SS_PNS1_23onesweep_lookback_stateEbbT6_jjT7_P12ihipStream_tbENKUlT_T0_SG_SL_E_clIS9_SA_SB_SB_EEDaSZ_S10_SG_SL_EUlSZ_E_NS1_11comp_targetILNS1_3genE6ELNS1_11target_archE950ELNS1_3gpuE13ELNS1_3repE0EEENS1_47radix_sort_onesweep_sort_config_static_selectorELNS0_4arch9wavefront6targetE0EEEvSG_
                                        ; -- End function
	.set _ZN7rocprim17ROCPRIM_400000_NS6detail17trampoline_kernelINS0_14default_configENS1_35radix_sort_onesweep_config_selectorIhNS0_10empty_typeEEEZZNS1_29radix_sort_onesweep_iterationIS3_Lb1EPKhPhPS5_SB_mNS0_19identity_decomposerENS1_16block_id_wrapperIjLb0EEEEE10hipError_tT1_PNSt15iterator_traitsISG_E10value_typeET2_T3_PNSH_ISM_E10value_typeET4_T5_PSR_SS_PNS1_23onesweep_lookback_stateEbbT6_jjT7_P12ihipStream_tbENKUlT_T0_SG_SL_E_clIS9_SA_SB_SB_EEDaSZ_S10_SG_SL_EUlSZ_E_NS1_11comp_targetILNS1_3genE6ELNS1_11target_archE950ELNS1_3gpuE13ELNS1_3repE0EEENS1_47radix_sort_onesweep_sort_config_static_selectorELNS0_4arch9wavefront6targetE0EEEvSG_.num_vgpr, 0
	.set _ZN7rocprim17ROCPRIM_400000_NS6detail17trampoline_kernelINS0_14default_configENS1_35radix_sort_onesweep_config_selectorIhNS0_10empty_typeEEEZZNS1_29radix_sort_onesweep_iterationIS3_Lb1EPKhPhPS5_SB_mNS0_19identity_decomposerENS1_16block_id_wrapperIjLb0EEEEE10hipError_tT1_PNSt15iterator_traitsISG_E10value_typeET2_T3_PNSH_ISM_E10value_typeET4_T5_PSR_SS_PNS1_23onesweep_lookback_stateEbbT6_jjT7_P12ihipStream_tbENKUlT_T0_SG_SL_E_clIS9_SA_SB_SB_EEDaSZ_S10_SG_SL_EUlSZ_E_NS1_11comp_targetILNS1_3genE6ELNS1_11target_archE950ELNS1_3gpuE13ELNS1_3repE0EEENS1_47radix_sort_onesweep_sort_config_static_selectorELNS0_4arch9wavefront6targetE0EEEvSG_.num_agpr, 0
	.set _ZN7rocprim17ROCPRIM_400000_NS6detail17trampoline_kernelINS0_14default_configENS1_35radix_sort_onesweep_config_selectorIhNS0_10empty_typeEEEZZNS1_29radix_sort_onesweep_iterationIS3_Lb1EPKhPhPS5_SB_mNS0_19identity_decomposerENS1_16block_id_wrapperIjLb0EEEEE10hipError_tT1_PNSt15iterator_traitsISG_E10value_typeET2_T3_PNSH_ISM_E10value_typeET4_T5_PSR_SS_PNS1_23onesweep_lookback_stateEbbT6_jjT7_P12ihipStream_tbENKUlT_T0_SG_SL_E_clIS9_SA_SB_SB_EEDaSZ_S10_SG_SL_EUlSZ_E_NS1_11comp_targetILNS1_3genE6ELNS1_11target_archE950ELNS1_3gpuE13ELNS1_3repE0EEENS1_47radix_sort_onesweep_sort_config_static_selectorELNS0_4arch9wavefront6targetE0EEEvSG_.numbered_sgpr, 0
	.set _ZN7rocprim17ROCPRIM_400000_NS6detail17trampoline_kernelINS0_14default_configENS1_35radix_sort_onesweep_config_selectorIhNS0_10empty_typeEEEZZNS1_29radix_sort_onesweep_iterationIS3_Lb1EPKhPhPS5_SB_mNS0_19identity_decomposerENS1_16block_id_wrapperIjLb0EEEEE10hipError_tT1_PNSt15iterator_traitsISG_E10value_typeET2_T3_PNSH_ISM_E10value_typeET4_T5_PSR_SS_PNS1_23onesweep_lookback_stateEbbT6_jjT7_P12ihipStream_tbENKUlT_T0_SG_SL_E_clIS9_SA_SB_SB_EEDaSZ_S10_SG_SL_EUlSZ_E_NS1_11comp_targetILNS1_3genE6ELNS1_11target_archE950ELNS1_3gpuE13ELNS1_3repE0EEENS1_47radix_sort_onesweep_sort_config_static_selectorELNS0_4arch9wavefront6targetE0EEEvSG_.num_named_barrier, 0
	.set _ZN7rocprim17ROCPRIM_400000_NS6detail17trampoline_kernelINS0_14default_configENS1_35radix_sort_onesweep_config_selectorIhNS0_10empty_typeEEEZZNS1_29radix_sort_onesweep_iterationIS3_Lb1EPKhPhPS5_SB_mNS0_19identity_decomposerENS1_16block_id_wrapperIjLb0EEEEE10hipError_tT1_PNSt15iterator_traitsISG_E10value_typeET2_T3_PNSH_ISM_E10value_typeET4_T5_PSR_SS_PNS1_23onesweep_lookback_stateEbbT6_jjT7_P12ihipStream_tbENKUlT_T0_SG_SL_E_clIS9_SA_SB_SB_EEDaSZ_S10_SG_SL_EUlSZ_E_NS1_11comp_targetILNS1_3genE6ELNS1_11target_archE950ELNS1_3gpuE13ELNS1_3repE0EEENS1_47radix_sort_onesweep_sort_config_static_selectorELNS0_4arch9wavefront6targetE0EEEvSG_.private_seg_size, 0
	.set _ZN7rocprim17ROCPRIM_400000_NS6detail17trampoline_kernelINS0_14default_configENS1_35radix_sort_onesweep_config_selectorIhNS0_10empty_typeEEEZZNS1_29radix_sort_onesweep_iterationIS3_Lb1EPKhPhPS5_SB_mNS0_19identity_decomposerENS1_16block_id_wrapperIjLb0EEEEE10hipError_tT1_PNSt15iterator_traitsISG_E10value_typeET2_T3_PNSH_ISM_E10value_typeET4_T5_PSR_SS_PNS1_23onesweep_lookback_stateEbbT6_jjT7_P12ihipStream_tbENKUlT_T0_SG_SL_E_clIS9_SA_SB_SB_EEDaSZ_S10_SG_SL_EUlSZ_E_NS1_11comp_targetILNS1_3genE6ELNS1_11target_archE950ELNS1_3gpuE13ELNS1_3repE0EEENS1_47radix_sort_onesweep_sort_config_static_selectorELNS0_4arch9wavefront6targetE0EEEvSG_.uses_vcc, 0
	.set _ZN7rocprim17ROCPRIM_400000_NS6detail17trampoline_kernelINS0_14default_configENS1_35radix_sort_onesweep_config_selectorIhNS0_10empty_typeEEEZZNS1_29radix_sort_onesweep_iterationIS3_Lb1EPKhPhPS5_SB_mNS0_19identity_decomposerENS1_16block_id_wrapperIjLb0EEEEE10hipError_tT1_PNSt15iterator_traitsISG_E10value_typeET2_T3_PNSH_ISM_E10value_typeET4_T5_PSR_SS_PNS1_23onesweep_lookback_stateEbbT6_jjT7_P12ihipStream_tbENKUlT_T0_SG_SL_E_clIS9_SA_SB_SB_EEDaSZ_S10_SG_SL_EUlSZ_E_NS1_11comp_targetILNS1_3genE6ELNS1_11target_archE950ELNS1_3gpuE13ELNS1_3repE0EEENS1_47radix_sort_onesweep_sort_config_static_selectorELNS0_4arch9wavefront6targetE0EEEvSG_.uses_flat_scratch, 0
	.set _ZN7rocprim17ROCPRIM_400000_NS6detail17trampoline_kernelINS0_14default_configENS1_35radix_sort_onesweep_config_selectorIhNS0_10empty_typeEEEZZNS1_29radix_sort_onesweep_iterationIS3_Lb1EPKhPhPS5_SB_mNS0_19identity_decomposerENS1_16block_id_wrapperIjLb0EEEEE10hipError_tT1_PNSt15iterator_traitsISG_E10value_typeET2_T3_PNSH_ISM_E10value_typeET4_T5_PSR_SS_PNS1_23onesweep_lookback_stateEbbT6_jjT7_P12ihipStream_tbENKUlT_T0_SG_SL_E_clIS9_SA_SB_SB_EEDaSZ_S10_SG_SL_EUlSZ_E_NS1_11comp_targetILNS1_3genE6ELNS1_11target_archE950ELNS1_3gpuE13ELNS1_3repE0EEENS1_47radix_sort_onesweep_sort_config_static_selectorELNS0_4arch9wavefront6targetE0EEEvSG_.has_dyn_sized_stack, 0
	.set _ZN7rocprim17ROCPRIM_400000_NS6detail17trampoline_kernelINS0_14default_configENS1_35radix_sort_onesweep_config_selectorIhNS0_10empty_typeEEEZZNS1_29radix_sort_onesweep_iterationIS3_Lb1EPKhPhPS5_SB_mNS0_19identity_decomposerENS1_16block_id_wrapperIjLb0EEEEE10hipError_tT1_PNSt15iterator_traitsISG_E10value_typeET2_T3_PNSH_ISM_E10value_typeET4_T5_PSR_SS_PNS1_23onesweep_lookback_stateEbbT6_jjT7_P12ihipStream_tbENKUlT_T0_SG_SL_E_clIS9_SA_SB_SB_EEDaSZ_S10_SG_SL_EUlSZ_E_NS1_11comp_targetILNS1_3genE6ELNS1_11target_archE950ELNS1_3gpuE13ELNS1_3repE0EEENS1_47radix_sort_onesweep_sort_config_static_selectorELNS0_4arch9wavefront6targetE0EEEvSG_.has_recursion, 0
	.set _ZN7rocprim17ROCPRIM_400000_NS6detail17trampoline_kernelINS0_14default_configENS1_35radix_sort_onesweep_config_selectorIhNS0_10empty_typeEEEZZNS1_29radix_sort_onesweep_iterationIS3_Lb1EPKhPhPS5_SB_mNS0_19identity_decomposerENS1_16block_id_wrapperIjLb0EEEEE10hipError_tT1_PNSt15iterator_traitsISG_E10value_typeET2_T3_PNSH_ISM_E10value_typeET4_T5_PSR_SS_PNS1_23onesweep_lookback_stateEbbT6_jjT7_P12ihipStream_tbENKUlT_T0_SG_SL_E_clIS9_SA_SB_SB_EEDaSZ_S10_SG_SL_EUlSZ_E_NS1_11comp_targetILNS1_3genE6ELNS1_11target_archE950ELNS1_3gpuE13ELNS1_3repE0EEENS1_47radix_sort_onesweep_sort_config_static_selectorELNS0_4arch9wavefront6targetE0EEEvSG_.has_indirect_call, 0
	.section	.AMDGPU.csdata,"",@progbits
; Kernel info:
; codeLenInByte = 0
; TotalNumSgprs: 0
; NumVgprs: 0
; ScratchSize: 0
; MemoryBound: 0
; FloatMode: 240
; IeeeMode: 1
; LDSByteSize: 0 bytes/workgroup (compile time only)
; SGPRBlocks: 0
; VGPRBlocks: 0
; NumSGPRsForWavesPerEU: 1
; NumVGPRsForWavesPerEU: 1
; NamedBarCnt: 0
; Occupancy: 16
; WaveLimiterHint : 0
; COMPUTE_PGM_RSRC2:SCRATCH_EN: 0
; COMPUTE_PGM_RSRC2:USER_SGPR: 2
; COMPUTE_PGM_RSRC2:TRAP_HANDLER: 0
; COMPUTE_PGM_RSRC2:TGID_X_EN: 1
; COMPUTE_PGM_RSRC2:TGID_Y_EN: 0
; COMPUTE_PGM_RSRC2:TGID_Z_EN: 0
; COMPUTE_PGM_RSRC2:TIDIG_COMP_CNT: 0
	.section	.text._ZN7rocprim17ROCPRIM_400000_NS6detail17trampoline_kernelINS0_14default_configENS1_35radix_sort_onesweep_config_selectorIhNS0_10empty_typeEEEZZNS1_29radix_sort_onesweep_iterationIS3_Lb1EPKhPhPS5_SB_mNS0_19identity_decomposerENS1_16block_id_wrapperIjLb0EEEEE10hipError_tT1_PNSt15iterator_traitsISG_E10value_typeET2_T3_PNSH_ISM_E10value_typeET4_T5_PSR_SS_PNS1_23onesweep_lookback_stateEbbT6_jjT7_P12ihipStream_tbENKUlT_T0_SG_SL_E_clIS9_SA_SB_SB_EEDaSZ_S10_SG_SL_EUlSZ_E_NS1_11comp_targetILNS1_3genE5ELNS1_11target_archE942ELNS1_3gpuE9ELNS1_3repE0EEENS1_47radix_sort_onesweep_sort_config_static_selectorELNS0_4arch9wavefront6targetE0EEEvSG_,"axG",@progbits,_ZN7rocprim17ROCPRIM_400000_NS6detail17trampoline_kernelINS0_14default_configENS1_35radix_sort_onesweep_config_selectorIhNS0_10empty_typeEEEZZNS1_29radix_sort_onesweep_iterationIS3_Lb1EPKhPhPS5_SB_mNS0_19identity_decomposerENS1_16block_id_wrapperIjLb0EEEEE10hipError_tT1_PNSt15iterator_traitsISG_E10value_typeET2_T3_PNSH_ISM_E10value_typeET4_T5_PSR_SS_PNS1_23onesweep_lookback_stateEbbT6_jjT7_P12ihipStream_tbENKUlT_T0_SG_SL_E_clIS9_SA_SB_SB_EEDaSZ_S10_SG_SL_EUlSZ_E_NS1_11comp_targetILNS1_3genE5ELNS1_11target_archE942ELNS1_3gpuE9ELNS1_3repE0EEENS1_47radix_sort_onesweep_sort_config_static_selectorELNS0_4arch9wavefront6targetE0EEEvSG_,comdat
	.protected	_ZN7rocprim17ROCPRIM_400000_NS6detail17trampoline_kernelINS0_14default_configENS1_35radix_sort_onesweep_config_selectorIhNS0_10empty_typeEEEZZNS1_29radix_sort_onesweep_iterationIS3_Lb1EPKhPhPS5_SB_mNS0_19identity_decomposerENS1_16block_id_wrapperIjLb0EEEEE10hipError_tT1_PNSt15iterator_traitsISG_E10value_typeET2_T3_PNSH_ISM_E10value_typeET4_T5_PSR_SS_PNS1_23onesweep_lookback_stateEbbT6_jjT7_P12ihipStream_tbENKUlT_T0_SG_SL_E_clIS9_SA_SB_SB_EEDaSZ_S10_SG_SL_EUlSZ_E_NS1_11comp_targetILNS1_3genE5ELNS1_11target_archE942ELNS1_3gpuE9ELNS1_3repE0EEENS1_47radix_sort_onesweep_sort_config_static_selectorELNS0_4arch9wavefront6targetE0EEEvSG_ ; -- Begin function _ZN7rocprim17ROCPRIM_400000_NS6detail17trampoline_kernelINS0_14default_configENS1_35radix_sort_onesweep_config_selectorIhNS0_10empty_typeEEEZZNS1_29radix_sort_onesweep_iterationIS3_Lb1EPKhPhPS5_SB_mNS0_19identity_decomposerENS1_16block_id_wrapperIjLb0EEEEE10hipError_tT1_PNSt15iterator_traitsISG_E10value_typeET2_T3_PNSH_ISM_E10value_typeET4_T5_PSR_SS_PNS1_23onesweep_lookback_stateEbbT6_jjT7_P12ihipStream_tbENKUlT_T0_SG_SL_E_clIS9_SA_SB_SB_EEDaSZ_S10_SG_SL_EUlSZ_E_NS1_11comp_targetILNS1_3genE5ELNS1_11target_archE942ELNS1_3gpuE9ELNS1_3repE0EEENS1_47radix_sort_onesweep_sort_config_static_selectorELNS0_4arch9wavefront6targetE0EEEvSG_
	.globl	_ZN7rocprim17ROCPRIM_400000_NS6detail17trampoline_kernelINS0_14default_configENS1_35radix_sort_onesweep_config_selectorIhNS0_10empty_typeEEEZZNS1_29radix_sort_onesweep_iterationIS3_Lb1EPKhPhPS5_SB_mNS0_19identity_decomposerENS1_16block_id_wrapperIjLb0EEEEE10hipError_tT1_PNSt15iterator_traitsISG_E10value_typeET2_T3_PNSH_ISM_E10value_typeET4_T5_PSR_SS_PNS1_23onesweep_lookback_stateEbbT6_jjT7_P12ihipStream_tbENKUlT_T0_SG_SL_E_clIS9_SA_SB_SB_EEDaSZ_S10_SG_SL_EUlSZ_E_NS1_11comp_targetILNS1_3genE5ELNS1_11target_archE942ELNS1_3gpuE9ELNS1_3repE0EEENS1_47radix_sort_onesweep_sort_config_static_selectorELNS0_4arch9wavefront6targetE0EEEvSG_
	.p2align	8
	.type	_ZN7rocprim17ROCPRIM_400000_NS6detail17trampoline_kernelINS0_14default_configENS1_35radix_sort_onesweep_config_selectorIhNS0_10empty_typeEEEZZNS1_29radix_sort_onesweep_iterationIS3_Lb1EPKhPhPS5_SB_mNS0_19identity_decomposerENS1_16block_id_wrapperIjLb0EEEEE10hipError_tT1_PNSt15iterator_traitsISG_E10value_typeET2_T3_PNSH_ISM_E10value_typeET4_T5_PSR_SS_PNS1_23onesweep_lookback_stateEbbT6_jjT7_P12ihipStream_tbENKUlT_T0_SG_SL_E_clIS9_SA_SB_SB_EEDaSZ_S10_SG_SL_EUlSZ_E_NS1_11comp_targetILNS1_3genE5ELNS1_11target_archE942ELNS1_3gpuE9ELNS1_3repE0EEENS1_47radix_sort_onesweep_sort_config_static_selectorELNS0_4arch9wavefront6targetE0EEEvSG_,@function
_ZN7rocprim17ROCPRIM_400000_NS6detail17trampoline_kernelINS0_14default_configENS1_35radix_sort_onesweep_config_selectorIhNS0_10empty_typeEEEZZNS1_29radix_sort_onesweep_iterationIS3_Lb1EPKhPhPS5_SB_mNS0_19identity_decomposerENS1_16block_id_wrapperIjLb0EEEEE10hipError_tT1_PNSt15iterator_traitsISG_E10value_typeET2_T3_PNSH_ISM_E10value_typeET4_T5_PSR_SS_PNS1_23onesweep_lookback_stateEbbT6_jjT7_P12ihipStream_tbENKUlT_T0_SG_SL_E_clIS9_SA_SB_SB_EEDaSZ_S10_SG_SL_EUlSZ_E_NS1_11comp_targetILNS1_3genE5ELNS1_11target_archE942ELNS1_3gpuE9ELNS1_3repE0EEENS1_47radix_sort_onesweep_sort_config_static_selectorELNS0_4arch9wavefront6targetE0EEEvSG_: ; @_ZN7rocprim17ROCPRIM_400000_NS6detail17trampoline_kernelINS0_14default_configENS1_35radix_sort_onesweep_config_selectorIhNS0_10empty_typeEEEZZNS1_29radix_sort_onesweep_iterationIS3_Lb1EPKhPhPS5_SB_mNS0_19identity_decomposerENS1_16block_id_wrapperIjLb0EEEEE10hipError_tT1_PNSt15iterator_traitsISG_E10value_typeET2_T3_PNSH_ISM_E10value_typeET4_T5_PSR_SS_PNS1_23onesweep_lookback_stateEbbT6_jjT7_P12ihipStream_tbENKUlT_T0_SG_SL_E_clIS9_SA_SB_SB_EEDaSZ_S10_SG_SL_EUlSZ_E_NS1_11comp_targetILNS1_3genE5ELNS1_11target_archE942ELNS1_3gpuE9ELNS1_3repE0EEENS1_47radix_sort_onesweep_sort_config_static_selectorELNS0_4arch9wavefront6targetE0EEEvSG_
; %bb.0:
	.section	.rodata,"a",@progbits
	.p2align	6, 0x0
	.amdhsa_kernel _ZN7rocprim17ROCPRIM_400000_NS6detail17trampoline_kernelINS0_14default_configENS1_35radix_sort_onesweep_config_selectorIhNS0_10empty_typeEEEZZNS1_29radix_sort_onesweep_iterationIS3_Lb1EPKhPhPS5_SB_mNS0_19identity_decomposerENS1_16block_id_wrapperIjLb0EEEEE10hipError_tT1_PNSt15iterator_traitsISG_E10value_typeET2_T3_PNSH_ISM_E10value_typeET4_T5_PSR_SS_PNS1_23onesweep_lookback_stateEbbT6_jjT7_P12ihipStream_tbENKUlT_T0_SG_SL_E_clIS9_SA_SB_SB_EEDaSZ_S10_SG_SL_EUlSZ_E_NS1_11comp_targetILNS1_3genE5ELNS1_11target_archE942ELNS1_3gpuE9ELNS1_3repE0EEENS1_47radix_sort_onesweep_sort_config_static_selectorELNS0_4arch9wavefront6targetE0EEEvSG_
		.amdhsa_group_segment_fixed_size 0
		.amdhsa_private_segment_fixed_size 0
		.amdhsa_kernarg_size 88
		.amdhsa_user_sgpr_count 2
		.amdhsa_user_sgpr_dispatch_ptr 0
		.amdhsa_user_sgpr_queue_ptr 0
		.amdhsa_user_sgpr_kernarg_segment_ptr 1
		.amdhsa_user_sgpr_dispatch_id 0
		.amdhsa_user_sgpr_kernarg_preload_length 0
		.amdhsa_user_sgpr_kernarg_preload_offset 0
		.amdhsa_user_sgpr_private_segment_size 0
		.amdhsa_wavefront_size32 1
		.amdhsa_uses_dynamic_stack 0
		.amdhsa_enable_private_segment 0
		.amdhsa_system_sgpr_workgroup_id_x 1
		.amdhsa_system_sgpr_workgroup_id_y 0
		.amdhsa_system_sgpr_workgroup_id_z 0
		.amdhsa_system_sgpr_workgroup_info 0
		.amdhsa_system_vgpr_workitem_id 0
		.amdhsa_next_free_vgpr 1
		.amdhsa_next_free_sgpr 1
		.amdhsa_named_barrier_count 0
		.amdhsa_reserve_vcc 0
		.amdhsa_float_round_mode_32 0
		.amdhsa_float_round_mode_16_64 0
		.amdhsa_float_denorm_mode_32 3
		.amdhsa_float_denorm_mode_16_64 3
		.amdhsa_fp16_overflow 0
		.amdhsa_memory_ordered 1
		.amdhsa_forward_progress 1
		.amdhsa_inst_pref_size 0
		.amdhsa_round_robin_scheduling 0
		.amdhsa_exception_fp_ieee_invalid_op 0
		.amdhsa_exception_fp_denorm_src 0
		.amdhsa_exception_fp_ieee_div_zero 0
		.amdhsa_exception_fp_ieee_overflow 0
		.amdhsa_exception_fp_ieee_underflow 0
		.amdhsa_exception_fp_ieee_inexact 0
		.amdhsa_exception_int_div_zero 0
	.end_amdhsa_kernel
	.section	.text._ZN7rocprim17ROCPRIM_400000_NS6detail17trampoline_kernelINS0_14default_configENS1_35radix_sort_onesweep_config_selectorIhNS0_10empty_typeEEEZZNS1_29radix_sort_onesweep_iterationIS3_Lb1EPKhPhPS5_SB_mNS0_19identity_decomposerENS1_16block_id_wrapperIjLb0EEEEE10hipError_tT1_PNSt15iterator_traitsISG_E10value_typeET2_T3_PNSH_ISM_E10value_typeET4_T5_PSR_SS_PNS1_23onesweep_lookback_stateEbbT6_jjT7_P12ihipStream_tbENKUlT_T0_SG_SL_E_clIS9_SA_SB_SB_EEDaSZ_S10_SG_SL_EUlSZ_E_NS1_11comp_targetILNS1_3genE5ELNS1_11target_archE942ELNS1_3gpuE9ELNS1_3repE0EEENS1_47radix_sort_onesweep_sort_config_static_selectorELNS0_4arch9wavefront6targetE0EEEvSG_,"axG",@progbits,_ZN7rocprim17ROCPRIM_400000_NS6detail17trampoline_kernelINS0_14default_configENS1_35radix_sort_onesweep_config_selectorIhNS0_10empty_typeEEEZZNS1_29radix_sort_onesweep_iterationIS3_Lb1EPKhPhPS5_SB_mNS0_19identity_decomposerENS1_16block_id_wrapperIjLb0EEEEE10hipError_tT1_PNSt15iterator_traitsISG_E10value_typeET2_T3_PNSH_ISM_E10value_typeET4_T5_PSR_SS_PNS1_23onesweep_lookback_stateEbbT6_jjT7_P12ihipStream_tbENKUlT_T0_SG_SL_E_clIS9_SA_SB_SB_EEDaSZ_S10_SG_SL_EUlSZ_E_NS1_11comp_targetILNS1_3genE5ELNS1_11target_archE942ELNS1_3gpuE9ELNS1_3repE0EEENS1_47radix_sort_onesweep_sort_config_static_selectorELNS0_4arch9wavefront6targetE0EEEvSG_,comdat
.Lfunc_end128:
	.size	_ZN7rocprim17ROCPRIM_400000_NS6detail17trampoline_kernelINS0_14default_configENS1_35radix_sort_onesweep_config_selectorIhNS0_10empty_typeEEEZZNS1_29radix_sort_onesweep_iterationIS3_Lb1EPKhPhPS5_SB_mNS0_19identity_decomposerENS1_16block_id_wrapperIjLb0EEEEE10hipError_tT1_PNSt15iterator_traitsISG_E10value_typeET2_T3_PNSH_ISM_E10value_typeET4_T5_PSR_SS_PNS1_23onesweep_lookback_stateEbbT6_jjT7_P12ihipStream_tbENKUlT_T0_SG_SL_E_clIS9_SA_SB_SB_EEDaSZ_S10_SG_SL_EUlSZ_E_NS1_11comp_targetILNS1_3genE5ELNS1_11target_archE942ELNS1_3gpuE9ELNS1_3repE0EEENS1_47radix_sort_onesweep_sort_config_static_selectorELNS0_4arch9wavefront6targetE0EEEvSG_, .Lfunc_end128-_ZN7rocprim17ROCPRIM_400000_NS6detail17trampoline_kernelINS0_14default_configENS1_35radix_sort_onesweep_config_selectorIhNS0_10empty_typeEEEZZNS1_29radix_sort_onesweep_iterationIS3_Lb1EPKhPhPS5_SB_mNS0_19identity_decomposerENS1_16block_id_wrapperIjLb0EEEEE10hipError_tT1_PNSt15iterator_traitsISG_E10value_typeET2_T3_PNSH_ISM_E10value_typeET4_T5_PSR_SS_PNS1_23onesweep_lookback_stateEbbT6_jjT7_P12ihipStream_tbENKUlT_T0_SG_SL_E_clIS9_SA_SB_SB_EEDaSZ_S10_SG_SL_EUlSZ_E_NS1_11comp_targetILNS1_3genE5ELNS1_11target_archE942ELNS1_3gpuE9ELNS1_3repE0EEENS1_47radix_sort_onesweep_sort_config_static_selectorELNS0_4arch9wavefront6targetE0EEEvSG_
                                        ; -- End function
	.set _ZN7rocprim17ROCPRIM_400000_NS6detail17trampoline_kernelINS0_14default_configENS1_35radix_sort_onesweep_config_selectorIhNS0_10empty_typeEEEZZNS1_29radix_sort_onesweep_iterationIS3_Lb1EPKhPhPS5_SB_mNS0_19identity_decomposerENS1_16block_id_wrapperIjLb0EEEEE10hipError_tT1_PNSt15iterator_traitsISG_E10value_typeET2_T3_PNSH_ISM_E10value_typeET4_T5_PSR_SS_PNS1_23onesweep_lookback_stateEbbT6_jjT7_P12ihipStream_tbENKUlT_T0_SG_SL_E_clIS9_SA_SB_SB_EEDaSZ_S10_SG_SL_EUlSZ_E_NS1_11comp_targetILNS1_3genE5ELNS1_11target_archE942ELNS1_3gpuE9ELNS1_3repE0EEENS1_47radix_sort_onesweep_sort_config_static_selectorELNS0_4arch9wavefront6targetE0EEEvSG_.num_vgpr, 0
	.set _ZN7rocprim17ROCPRIM_400000_NS6detail17trampoline_kernelINS0_14default_configENS1_35radix_sort_onesweep_config_selectorIhNS0_10empty_typeEEEZZNS1_29radix_sort_onesweep_iterationIS3_Lb1EPKhPhPS5_SB_mNS0_19identity_decomposerENS1_16block_id_wrapperIjLb0EEEEE10hipError_tT1_PNSt15iterator_traitsISG_E10value_typeET2_T3_PNSH_ISM_E10value_typeET4_T5_PSR_SS_PNS1_23onesweep_lookback_stateEbbT6_jjT7_P12ihipStream_tbENKUlT_T0_SG_SL_E_clIS9_SA_SB_SB_EEDaSZ_S10_SG_SL_EUlSZ_E_NS1_11comp_targetILNS1_3genE5ELNS1_11target_archE942ELNS1_3gpuE9ELNS1_3repE0EEENS1_47radix_sort_onesweep_sort_config_static_selectorELNS0_4arch9wavefront6targetE0EEEvSG_.num_agpr, 0
	.set _ZN7rocprim17ROCPRIM_400000_NS6detail17trampoline_kernelINS0_14default_configENS1_35radix_sort_onesweep_config_selectorIhNS0_10empty_typeEEEZZNS1_29radix_sort_onesweep_iterationIS3_Lb1EPKhPhPS5_SB_mNS0_19identity_decomposerENS1_16block_id_wrapperIjLb0EEEEE10hipError_tT1_PNSt15iterator_traitsISG_E10value_typeET2_T3_PNSH_ISM_E10value_typeET4_T5_PSR_SS_PNS1_23onesweep_lookback_stateEbbT6_jjT7_P12ihipStream_tbENKUlT_T0_SG_SL_E_clIS9_SA_SB_SB_EEDaSZ_S10_SG_SL_EUlSZ_E_NS1_11comp_targetILNS1_3genE5ELNS1_11target_archE942ELNS1_3gpuE9ELNS1_3repE0EEENS1_47radix_sort_onesweep_sort_config_static_selectorELNS0_4arch9wavefront6targetE0EEEvSG_.numbered_sgpr, 0
	.set _ZN7rocprim17ROCPRIM_400000_NS6detail17trampoline_kernelINS0_14default_configENS1_35radix_sort_onesweep_config_selectorIhNS0_10empty_typeEEEZZNS1_29radix_sort_onesweep_iterationIS3_Lb1EPKhPhPS5_SB_mNS0_19identity_decomposerENS1_16block_id_wrapperIjLb0EEEEE10hipError_tT1_PNSt15iterator_traitsISG_E10value_typeET2_T3_PNSH_ISM_E10value_typeET4_T5_PSR_SS_PNS1_23onesweep_lookback_stateEbbT6_jjT7_P12ihipStream_tbENKUlT_T0_SG_SL_E_clIS9_SA_SB_SB_EEDaSZ_S10_SG_SL_EUlSZ_E_NS1_11comp_targetILNS1_3genE5ELNS1_11target_archE942ELNS1_3gpuE9ELNS1_3repE0EEENS1_47radix_sort_onesweep_sort_config_static_selectorELNS0_4arch9wavefront6targetE0EEEvSG_.num_named_barrier, 0
	.set _ZN7rocprim17ROCPRIM_400000_NS6detail17trampoline_kernelINS0_14default_configENS1_35radix_sort_onesweep_config_selectorIhNS0_10empty_typeEEEZZNS1_29radix_sort_onesweep_iterationIS3_Lb1EPKhPhPS5_SB_mNS0_19identity_decomposerENS1_16block_id_wrapperIjLb0EEEEE10hipError_tT1_PNSt15iterator_traitsISG_E10value_typeET2_T3_PNSH_ISM_E10value_typeET4_T5_PSR_SS_PNS1_23onesweep_lookback_stateEbbT6_jjT7_P12ihipStream_tbENKUlT_T0_SG_SL_E_clIS9_SA_SB_SB_EEDaSZ_S10_SG_SL_EUlSZ_E_NS1_11comp_targetILNS1_3genE5ELNS1_11target_archE942ELNS1_3gpuE9ELNS1_3repE0EEENS1_47radix_sort_onesweep_sort_config_static_selectorELNS0_4arch9wavefront6targetE0EEEvSG_.private_seg_size, 0
	.set _ZN7rocprim17ROCPRIM_400000_NS6detail17trampoline_kernelINS0_14default_configENS1_35radix_sort_onesweep_config_selectorIhNS0_10empty_typeEEEZZNS1_29radix_sort_onesweep_iterationIS3_Lb1EPKhPhPS5_SB_mNS0_19identity_decomposerENS1_16block_id_wrapperIjLb0EEEEE10hipError_tT1_PNSt15iterator_traitsISG_E10value_typeET2_T3_PNSH_ISM_E10value_typeET4_T5_PSR_SS_PNS1_23onesweep_lookback_stateEbbT6_jjT7_P12ihipStream_tbENKUlT_T0_SG_SL_E_clIS9_SA_SB_SB_EEDaSZ_S10_SG_SL_EUlSZ_E_NS1_11comp_targetILNS1_3genE5ELNS1_11target_archE942ELNS1_3gpuE9ELNS1_3repE0EEENS1_47radix_sort_onesweep_sort_config_static_selectorELNS0_4arch9wavefront6targetE0EEEvSG_.uses_vcc, 0
	.set _ZN7rocprim17ROCPRIM_400000_NS6detail17trampoline_kernelINS0_14default_configENS1_35radix_sort_onesweep_config_selectorIhNS0_10empty_typeEEEZZNS1_29radix_sort_onesweep_iterationIS3_Lb1EPKhPhPS5_SB_mNS0_19identity_decomposerENS1_16block_id_wrapperIjLb0EEEEE10hipError_tT1_PNSt15iterator_traitsISG_E10value_typeET2_T3_PNSH_ISM_E10value_typeET4_T5_PSR_SS_PNS1_23onesweep_lookback_stateEbbT6_jjT7_P12ihipStream_tbENKUlT_T0_SG_SL_E_clIS9_SA_SB_SB_EEDaSZ_S10_SG_SL_EUlSZ_E_NS1_11comp_targetILNS1_3genE5ELNS1_11target_archE942ELNS1_3gpuE9ELNS1_3repE0EEENS1_47radix_sort_onesweep_sort_config_static_selectorELNS0_4arch9wavefront6targetE0EEEvSG_.uses_flat_scratch, 0
	.set _ZN7rocprim17ROCPRIM_400000_NS6detail17trampoline_kernelINS0_14default_configENS1_35radix_sort_onesweep_config_selectorIhNS0_10empty_typeEEEZZNS1_29radix_sort_onesweep_iterationIS3_Lb1EPKhPhPS5_SB_mNS0_19identity_decomposerENS1_16block_id_wrapperIjLb0EEEEE10hipError_tT1_PNSt15iterator_traitsISG_E10value_typeET2_T3_PNSH_ISM_E10value_typeET4_T5_PSR_SS_PNS1_23onesweep_lookback_stateEbbT6_jjT7_P12ihipStream_tbENKUlT_T0_SG_SL_E_clIS9_SA_SB_SB_EEDaSZ_S10_SG_SL_EUlSZ_E_NS1_11comp_targetILNS1_3genE5ELNS1_11target_archE942ELNS1_3gpuE9ELNS1_3repE0EEENS1_47radix_sort_onesweep_sort_config_static_selectorELNS0_4arch9wavefront6targetE0EEEvSG_.has_dyn_sized_stack, 0
	.set _ZN7rocprim17ROCPRIM_400000_NS6detail17trampoline_kernelINS0_14default_configENS1_35radix_sort_onesweep_config_selectorIhNS0_10empty_typeEEEZZNS1_29radix_sort_onesweep_iterationIS3_Lb1EPKhPhPS5_SB_mNS0_19identity_decomposerENS1_16block_id_wrapperIjLb0EEEEE10hipError_tT1_PNSt15iterator_traitsISG_E10value_typeET2_T3_PNSH_ISM_E10value_typeET4_T5_PSR_SS_PNS1_23onesweep_lookback_stateEbbT6_jjT7_P12ihipStream_tbENKUlT_T0_SG_SL_E_clIS9_SA_SB_SB_EEDaSZ_S10_SG_SL_EUlSZ_E_NS1_11comp_targetILNS1_3genE5ELNS1_11target_archE942ELNS1_3gpuE9ELNS1_3repE0EEENS1_47radix_sort_onesweep_sort_config_static_selectorELNS0_4arch9wavefront6targetE0EEEvSG_.has_recursion, 0
	.set _ZN7rocprim17ROCPRIM_400000_NS6detail17trampoline_kernelINS0_14default_configENS1_35radix_sort_onesweep_config_selectorIhNS0_10empty_typeEEEZZNS1_29radix_sort_onesweep_iterationIS3_Lb1EPKhPhPS5_SB_mNS0_19identity_decomposerENS1_16block_id_wrapperIjLb0EEEEE10hipError_tT1_PNSt15iterator_traitsISG_E10value_typeET2_T3_PNSH_ISM_E10value_typeET4_T5_PSR_SS_PNS1_23onesweep_lookback_stateEbbT6_jjT7_P12ihipStream_tbENKUlT_T0_SG_SL_E_clIS9_SA_SB_SB_EEDaSZ_S10_SG_SL_EUlSZ_E_NS1_11comp_targetILNS1_3genE5ELNS1_11target_archE942ELNS1_3gpuE9ELNS1_3repE0EEENS1_47radix_sort_onesweep_sort_config_static_selectorELNS0_4arch9wavefront6targetE0EEEvSG_.has_indirect_call, 0
	.section	.AMDGPU.csdata,"",@progbits
; Kernel info:
; codeLenInByte = 0
; TotalNumSgprs: 0
; NumVgprs: 0
; ScratchSize: 0
; MemoryBound: 0
; FloatMode: 240
; IeeeMode: 1
; LDSByteSize: 0 bytes/workgroup (compile time only)
; SGPRBlocks: 0
; VGPRBlocks: 0
; NumSGPRsForWavesPerEU: 1
; NumVGPRsForWavesPerEU: 1
; NamedBarCnt: 0
; Occupancy: 16
; WaveLimiterHint : 0
; COMPUTE_PGM_RSRC2:SCRATCH_EN: 0
; COMPUTE_PGM_RSRC2:USER_SGPR: 2
; COMPUTE_PGM_RSRC2:TRAP_HANDLER: 0
; COMPUTE_PGM_RSRC2:TGID_X_EN: 1
; COMPUTE_PGM_RSRC2:TGID_Y_EN: 0
; COMPUTE_PGM_RSRC2:TGID_Z_EN: 0
; COMPUTE_PGM_RSRC2:TIDIG_COMP_CNT: 0
	.section	.text._ZN7rocprim17ROCPRIM_400000_NS6detail17trampoline_kernelINS0_14default_configENS1_35radix_sort_onesweep_config_selectorIhNS0_10empty_typeEEEZZNS1_29radix_sort_onesweep_iterationIS3_Lb1EPKhPhPS5_SB_mNS0_19identity_decomposerENS1_16block_id_wrapperIjLb0EEEEE10hipError_tT1_PNSt15iterator_traitsISG_E10value_typeET2_T3_PNSH_ISM_E10value_typeET4_T5_PSR_SS_PNS1_23onesweep_lookback_stateEbbT6_jjT7_P12ihipStream_tbENKUlT_T0_SG_SL_E_clIS9_SA_SB_SB_EEDaSZ_S10_SG_SL_EUlSZ_E_NS1_11comp_targetILNS1_3genE2ELNS1_11target_archE906ELNS1_3gpuE6ELNS1_3repE0EEENS1_47radix_sort_onesweep_sort_config_static_selectorELNS0_4arch9wavefront6targetE0EEEvSG_,"axG",@progbits,_ZN7rocprim17ROCPRIM_400000_NS6detail17trampoline_kernelINS0_14default_configENS1_35radix_sort_onesweep_config_selectorIhNS0_10empty_typeEEEZZNS1_29radix_sort_onesweep_iterationIS3_Lb1EPKhPhPS5_SB_mNS0_19identity_decomposerENS1_16block_id_wrapperIjLb0EEEEE10hipError_tT1_PNSt15iterator_traitsISG_E10value_typeET2_T3_PNSH_ISM_E10value_typeET4_T5_PSR_SS_PNS1_23onesweep_lookback_stateEbbT6_jjT7_P12ihipStream_tbENKUlT_T0_SG_SL_E_clIS9_SA_SB_SB_EEDaSZ_S10_SG_SL_EUlSZ_E_NS1_11comp_targetILNS1_3genE2ELNS1_11target_archE906ELNS1_3gpuE6ELNS1_3repE0EEENS1_47radix_sort_onesweep_sort_config_static_selectorELNS0_4arch9wavefront6targetE0EEEvSG_,comdat
	.protected	_ZN7rocprim17ROCPRIM_400000_NS6detail17trampoline_kernelINS0_14default_configENS1_35radix_sort_onesweep_config_selectorIhNS0_10empty_typeEEEZZNS1_29radix_sort_onesweep_iterationIS3_Lb1EPKhPhPS5_SB_mNS0_19identity_decomposerENS1_16block_id_wrapperIjLb0EEEEE10hipError_tT1_PNSt15iterator_traitsISG_E10value_typeET2_T3_PNSH_ISM_E10value_typeET4_T5_PSR_SS_PNS1_23onesweep_lookback_stateEbbT6_jjT7_P12ihipStream_tbENKUlT_T0_SG_SL_E_clIS9_SA_SB_SB_EEDaSZ_S10_SG_SL_EUlSZ_E_NS1_11comp_targetILNS1_3genE2ELNS1_11target_archE906ELNS1_3gpuE6ELNS1_3repE0EEENS1_47radix_sort_onesweep_sort_config_static_selectorELNS0_4arch9wavefront6targetE0EEEvSG_ ; -- Begin function _ZN7rocprim17ROCPRIM_400000_NS6detail17trampoline_kernelINS0_14default_configENS1_35radix_sort_onesweep_config_selectorIhNS0_10empty_typeEEEZZNS1_29radix_sort_onesweep_iterationIS3_Lb1EPKhPhPS5_SB_mNS0_19identity_decomposerENS1_16block_id_wrapperIjLb0EEEEE10hipError_tT1_PNSt15iterator_traitsISG_E10value_typeET2_T3_PNSH_ISM_E10value_typeET4_T5_PSR_SS_PNS1_23onesweep_lookback_stateEbbT6_jjT7_P12ihipStream_tbENKUlT_T0_SG_SL_E_clIS9_SA_SB_SB_EEDaSZ_S10_SG_SL_EUlSZ_E_NS1_11comp_targetILNS1_3genE2ELNS1_11target_archE906ELNS1_3gpuE6ELNS1_3repE0EEENS1_47radix_sort_onesweep_sort_config_static_selectorELNS0_4arch9wavefront6targetE0EEEvSG_
	.globl	_ZN7rocprim17ROCPRIM_400000_NS6detail17trampoline_kernelINS0_14default_configENS1_35radix_sort_onesweep_config_selectorIhNS0_10empty_typeEEEZZNS1_29radix_sort_onesweep_iterationIS3_Lb1EPKhPhPS5_SB_mNS0_19identity_decomposerENS1_16block_id_wrapperIjLb0EEEEE10hipError_tT1_PNSt15iterator_traitsISG_E10value_typeET2_T3_PNSH_ISM_E10value_typeET4_T5_PSR_SS_PNS1_23onesweep_lookback_stateEbbT6_jjT7_P12ihipStream_tbENKUlT_T0_SG_SL_E_clIS9_SA_SB_SB_EEDaSZ_S10_SG_SL_EUlSZ_E_NS1_11comp_targetILNS1_3genE2ELNS1_11target_archE906ELNS1_3gpuE6ELNS1_3repE0EEENS1_47radix_sort_onesweep_sort_config_static_selectorELNS0_4arch9wavefront6targetE0EEEvSG_
	.p2align	8
	.type	_ZN7rocprim17ROCPRIM_400000_NS6detail17trampoline_kernelINS0_14default_configENS1_35radix_sort_onesweep_config_selectorIhNS0_10empty_typeEEEZZNS1_29radix_sort_onesweep_iterationIS3_Lb1EPKhPhPS5_SB_mNS0_19identity_decomposerENS1_16block_id_wrapperIjLb0EEEEE10hipError_tT1_PNSt15iterator_traitsISG_E10value_typeET2_T3_PNSH_ISM_E10value_typeET4_T5_PSR_SS_PNS1_23onesweep_lookback_stateEbbT6_jjT7_P12ihipStream_tbENKUlT_T0_SG_SL_E_clIS9_SA_SB_SB_EEDaSZ_S10_SG_SL_EUlSZ_E_NS1_11comp_targetILNS1_3genE2ELNS1_11target_archE906ELNS1_3gpuE6ELNS1_3repE0EEENS1_47radix_sort_onesweep_sort_config_static_selectorELNS0_4arch9wavefront6targetE0EEEvSG_,@function
_ZN7rocprim17ROCPRIM_400000_NS6detail17trampoline_kernelINS0_14default_configENS1_35radix_sort_onesweep_config_selectorIhNS0_10empty_typeEEEZZNS1_29radix_sort_onesweep_iterationIS3_Lb1EPKhPhPS5_SB_mNS0_19identity_decomposerENS1_16block_id_wrapperIjLb0EEEEE10hipError_tT1_PNSt15iterator_traitsISG_E10value_typeET2_T3_PNSH_ISM_E10value_typeET4_T5_PSR_SS_PNS1_23onesweep_lookback_stateEbbT6_jjT7_P12ihipStream_tbENKUlT_T0_SG_SL_E_clIS9_SA_SB_SB_EEDaSZ_S10_SG_SL_EUlSZ_E_NS1_11comp_targetILNS1_3genE2ELNS1_11target_archE906ELNS1_3gpuE6ELNS1_3repE0EEENS1_47radix_sort_onesweep_sort_config_static_selectorELNS0_4arch9wavefront6targetE0EEEvSG_: ; @_ZN7rocprim17ROCPRIM_400000_NS6detail17trampoline_kernelINS0_14default_configENS1_35radix_sort_onesweep_config_selectorIhNS0_10empty_typeEEEZZNS1_29radix_sort_onesweep_iterationIS3_Lb1EPKhPhPS5_SB_mNS0_19identity_decomposerENS1_16block_id_wrapperIjLb0EEEEE10hipError_tT1_PNSt15iterator_traitsISG_E10value_typeET2_T3_PNSH_ISM_E10value_typeET4_T5_PSR_SS_PNS1_23onesweep_lookback_stateEbbT6_jjT7_P12ihipStream_tbENKUlT_T0_SG_SL_E_clIS9_SA_SB_SB_EEDaSZ_S10_SG_SL_EUlSZ_E_NS1_11comp_targetILNS1_3genE2ELNS1_11target_archE906ELNS1_3gpuE6ELNS1_3repE0EEENS1_47radix_sort_onesweep_sort_config_static_selectorELNS0_4arch9wavefront6targetE0EEEvSG_
; %bb.0:
	.section	.rodata,"a",@progbits
	.p2align	6, 0x0
	.amdhsa_kernel _ZN7rocprim17ROCPRIM_400000_NS6detail17trampoline_kernelINS0_14default_configENS1_35radix_sort_onesweep_config_selectorIhNS0_10empty_typeEEEZZNS1_29radix_sort_onesweep_iterationIS3_Lb1EPKhPhPS5_SB_mNS0_19identity_decomposerENS1_16block_id_wrapperIjLb0EEEEE10hipError_tT1_PNSt15iterator_traitsISG_E10value_typeET2_T3_PNSH_ISM_E10value_typeET4_T5_PSR_SS_PNS1_23onesweep_lookback_stateEbbT6_jjT7_P12ihipStream_tbENKUlT_T0_SG_SL_E_clIS9_SA_SB_SB_EEDaSZ_S10_SG_SL_EUlSZ_E_NS1_11comp_targetILNS1_3genE2ELNS1_11target_archE906ELNS1_3gpuE6ELNS1_3repE0EEENS1_47radix_sort_onesweep_sort_config_static_selectorELNS0_4arch9wavefront6targetE0EEEvSG_
		.amdhsa_group_segment_fixed_size 0
		.amdhsa_private_segment_fixed_size 0
		.amdhsa_kernarg_size 88
		.amdhsa_user_sgpr_count 2
		.amdhsa_user_sgpr_dispatch_ptr 0
		.amdhsa_user_sgpr_queue_ptr 0
		.amdhsa_user_sgpr_kernarg_segment_ptr 1
		.amdhsa_user_sgpr_dispatch_id 0
		.amdhsa_user_sgpr_kernarg_preload_length 0
		.amdhsa_user_sgpr_kernarg_preload_offset 0
		.amdhsa_user_sgpr_private_segment_size 0
		.amdhsa_wavefront_size32 1
		.amdhsa_uses_dynamic_stack 0
		.amdhsa_enable_private_segment 0
		.amdhsa_system_sgpr_workgroup_id_x 1
		.amdhsa_system_sgpr_workgroup_id_y 0
		.amdhsa_system_sgpr_workgroup_id_z 0
		.amdhsa_system_sgpr_workgroup_info 0
		.amdhsa_system_vgpr_workitem_id 0
		.amdhsa_next_free_vgpr 1
		.amdhsa_next_free_sgpr 1
		.amdhsa_named_barrier_count 0
		.amdhsa_reserve_vcc 0
		.amdhsa_float_round_mode_32 0
		.amdhsa_float_round_mode_16_64 0
		.amdhsa_float_denorm_mode_32 3
		.amdhsa_float_denorm_mode_16_64 3
		.amdhsa_fp16_overflow 0
		.amdhsa_memory_ordered 1
		.amdhsa_forward_progress 1
		.amdhsa_inst_pref_size 0
		.amdhsa_round_robin_scheduling 0
		.amdhsa_exception_fp_ieee_invalid_op 0
		.amdhsa_exception_fp_denorm_src 0
		.amdhsa_exception_fp_ieee_div_zero 0
		.amdhsa_exception_fp_ieee_overflow 0
		.amdhsa_exception_fp_ieee_underflow 0
		.amdhsa_exception_fp_ieee_inexact 0
		.amdhsa_exception_int_div_zero 0
	.end_amdhsa_kernel
	.section	.text._ZN7rocprim17ROCPRIM_400000_NS6detail17trampoline_kernelINS0_14default_configENS1_35radix_sort_onesweep_config_selectorIhNS0_10empty_typeEEEZZNS1_29radix_sort_onesweep_iterationIS3_Lb1EPKhPhPS5_SB_mNS0_19identity_decomposerENS1_16block_id_wrapperIjLb0EEEEE10hipError_tT1_PNSt15iterator_traitsISG_E10value_typeET2_T3_PNSH_ISM_E10value_typeET4_T5_PSR_SS_PNS1_23onesweep_lookback_stateEbbT6_jjT7_P12ihipStream_tbENKUlT_T0_SG_SL_E_clIS9_SA_SB_SB_EEDaSZ_S10_SG_SL_EUlSZ_E_NS1_11comp_targetILNS1_3genE2ELNS1_11target_archE906ELNS1_3gpuE6ELNS1_3repE0EEENS1_47radix_sort_onesweep_sort_config_static_selectorELNS0_4arch9wavefront6targetE0EEEvSG_,"axG",@progbits,_ZN7rocprim17ROCPRIM_400000_NS6detail17trampoline_kernelINS0_14default_configENS1_35radix_sort_onesweep_config_selectorIhNS0_10empty_typeEEEZZNS1_29radix_sort_onesweep_iterationIS3_Lb1EPKhPhPS5_SB_mNS0_19identity_decomposerENS1_16block_id_wrapperIjLb0EEEEE10hipError_tT1_PNSt15iterator_traitsISG_E10value_typeET2_T3_PNSH_ISM_E10value_typeET4_T5_PSR_SS_PNS1_23onesweep_lookback_stateEbbT6_jjT7_P12ihipStream_tbENKUlT_T0_SG_SL_E_clIS9_SA_SB_SB_EEDaSZ_S10_SG_SL_EUlSZ_E_NS1_11comp_targetILNS1_3genE2ELNS1_11target_archE906ELNS1_3gpuE6ELNS1_3repE0EEENS1_47radix_sort_onesweep_sort_config_static_selectorELNS0_4arch9wavefront6targetE0EEEvSG_,comdat
.Lfunc_end129:
	.size	_ZN7rocprim17ROCPRIM_400000_NS6detail17trampoline_kernelINS0_14default_configENS1_35radix_sort_onesweep_config_selectorIhNS0_10empty_typeEEEZZNS1_29radix_sort_onesweep_iterationIS3_Lb1EPKhPhPS5_SB_mNS0_19identity_decomposerENS1_16block_id_wrapperIjLb0EEEEE10hipError_tT1_PNSt15iterator_traitsISG_E10value_typeET2_T3_PNSH_ISM_E10value_typeET4_T5_PSR_SS_PNS1_23onesweep_lookback_stateEbbT6_jjT7_P12ihipStream_tbENKUlT_T0_SG_SL_E_clIS9_SA_SB_SB_EEDaSZ_S10_SG_SL_EUlSZ_E_NS1_11comp_targetILNS1_3genE2ELNS1_11target_archE906ELNS1_3gpuE6ELNS1_3repE0EEENS1_47radix_sort_onesweep_sort_config_static_selectorELNS0_4arch9wavefront6targetE0EEEvSG_, .Lfunc_end129-_ZN7rocprim17ROCPRIM_400000_NS6detail17trampoline_kernelINS0_14default_configENS1_35radix_sort_onesweep_config_selectorIhNS0_10empty_typeEEEZZNS1_29radix_sort_onesweep_iterationIS3_Lb1EPKhPhPS5_SB_mNS0_19identity_decomposerENS1_16block_id_wrapperIjLb0EEEEE10hipError_tT1_PNSt15iterator_traitsISG_E10value_typeET2_T3_PNSH_ISM_E10value_typeET4_T5_PSR_SS_PNS1_23onesweep_lookback_stateEbbT6_jjT7_P12ihipStream_tbENKUlT_T0_SG_SL_E_clIS9_SA_SB_SB_EEDaSZ_S10_SG_SL_EUlSZ_E_NS1_11comp_targetILNS1_3genE2ELNS1_11target_archE906ELNS1_3gpuE6ELNS1_3repE0EEENS1_47radix_sort_onesweep_sort_config_static_selectorELNS0_4arch9wavefront6targetE0EEEvSG_
                                        ; -- End function
	.set _ZN7rocprim17ROCPRIM_400000_NS6detail17trampoline_kernelINS0_14default_configENS1_35radix_sort_onesweep_config_selectorIhNS0_10empty_typeEEEZZNS1_29radix_sort_onesweep_iterationIS3_Lb1EPKhPhPS5_SB_mNS0_19identity_decomposerENS1_16block_id_wrapperIjLb0EEEEE10hipError_tT1_PNSt15iterator_traitsISG_E10value_typeET2_T3_PNSH_ISM_E10value_typeET4_T5_PSR_SS_PNS1_23onesweep_lookback_stateEbbT6_jjT7_P12ihipStream_tbENKUlT_T0_SG_SL_E_clIS9_SA_SB_SB_EEDaSZ_S10_SG_SL_EUlSZ_E_NS1_11comp_targetILNS1_3genE2ELNS1_11target_archE906ELNS1_3gpuE6ELNS1_3repE0EEENS1_47radix_sort_onesweep_sort_config_static_selectorELNS0_4arch9wavefront6targetE0EEEvSG_.num_vgpr, 0
	.set _ZN7rocprim17ROCPRIM_400000_NS6detail17trampoline_kernelINS0_14default_configENS1_35radix_sort_onesweep_config_selectorIhNS0_10empty_typeEEEZZNS1_29radix_sort_onesweep_iterationIS3_Lb1EPKhPhPS5_SB_mNS0_19identity_decomposerENS1_16block_id_wrapperIjLb0EEEEE10hipError_tT1_PNSt15iterator_traitsISG_E10value_typeET2_T3_PNSH_ISM_E10value_typeET4_T5_PSR_SS_PNS1_23onesweep_lookback_stateEbbT6_jjT7_P12ihipStream_tbENKUlT_T0_SG_SL_E_clIS9_SA_SB_SB_EEDaSZ_S10_SG_SL_EUlSZ_E_NS1_11comp_targetILNS1_3genE2ELNS1_11target_archE906ELNS1_3gpuE6ELNS1_3repE0EEENS1_47radix_sort_onesweep_sort_config_static_selectorELNS0_4arch9wavefront6targetE0EEEvSG_.num_agpr, 0
	.set _ZN7rocprim17ROCPRIM_400000_NS6detail17trampoline_kernelINS0_14default_configENS1_35radix_sort_onesweep_config_selectorIhNS0_10empty_typeEEEZZNS1_29radix_sort_onesweep_iterationIS3_Lb1EPKhPhPS5_SB_mNS0_19identity_decomposerENS1_16block_id_wrapperIjLb0EEEEE10hipError_tT1_PNSt15iterator_traitsISG_E10value_typeET2_T3_PNSH_ISM_E10value_typeET4_T5_PSR_SS_PNS1_23onesweep_lookback_stateEbbT6_jjT7_P12ihipStream_tbENKUlT_T0_SG_SL_E_clIS9_SA_SB_SB_EEDaSZ_S10_SG_SL_EUlSZ_E_NS1_11comp_targetILNS1_3genE2ELNS1_11target_archE906ELNS1_3gpuE6ELNS1_3repE0EEENS1_47radix_sort_onesweep_sort_config_static_selectorELNS0_4arch9wavefront6targetE0EEEvSG_.numbered_sgpr, 0
	.set _ZN7rocprim17ROCPRIM_400000_NS6detail17trampoline_kernelINS0_14default_configENS1_35radix_sort_onesweep_config_selectorIhNS0_10empty_typeEEEZZNS1_29radix_sort_onesweep_iterationIS3_Lb1EPKhPhPS5_SB_mNS0_19identity_decomposerENS1_16block_id_wrapperIjLb0EEEEE10hipError_tT1_PNSt15iterator_traitsISG_E10value_typeET2_T3_PNSH_ISM_E10value_typeET4_T5_PSR_SS_PNS1_23onesweep_lookback_stateEbbT6_jjT7_P12ihipStream_tbENKUlT_T0_SG_SL_E_clIS9_SA_SB_SB_EEDaSZ_S10_SG_SL_EUlSZ_E_NS1_11comp_targetILNS1_3genE2ELNS1_11target_archE906ELNS1_3gpuE6ELNS1_3repE0EEENS1_47radix_sort_onesweep_sort_config_static_selectorELNS0_4arch9wavefront6targetE0EEEvSG_.num_named_barrier, 0
	.set _ZN7rocprim17ROCPRIM_400000_NS6detail17trampoline_kernelINS0_14default_configENS1_35radix_sort_onesweep_config_selectorIhNS0_10empty_typeEEEZZNS1_29radix_sort_onesweep_iterationIS3_Lb1EPKhPhPS5_SB_mNS0_19identity_decomposerENS1_16block_id_wrapperIjLb0EEEEE10hipError_tT1_PNSt15iterator_traitsISG_E10value_typeET2_T3_PNSH_ISM_E10value_typeET4_T5_PSR_SS_PNS1_23onesweep_lookback_stateEbbT6_jjT7_P12ihipStream_tbENKUlT_T0_SG_SL_E_clIS9_SA_SB_SB_EEDaSZ_S10_SG_SL_EUlSZ_E_NS1_11comp_targetILNS1_3genE2ELNS1_11target_archE906ELNS1_3gpuE6ELNS1_3repE0EEENS1_47radix_sort_onesweep_sort_config_static_selectorELNS0_4arch9wavefront6targetE0EEEvSG_.private_seg_size, 0
	.set _ZN7rocprim17ROCPRIM_400000_NS6detail17trampoline_kernelINS0_14default_configENS1_35radix_sort_onesweep_config_selectorIhNS0_10empty_typeEEEZZNS1_29radix_sort_onesweep_iterationIS3_Lb1EPKhPhPS5_SB_mNS0_19identity_decomposerENS1_16block_id_wrapperIjLb0EEEEE10hipError_tT1_PNSt15iterator_traitsISG_E10value_typeET2_T3_PNSH_ISM_E10value_typeET4_T5_PSR_SS_PNS1_23onesweep_lookback_stateEbbT6_jjT7_P12ihipStream_tbENKUlT_T0_SG_SL_E_clIS9_SA_SB_SB_EEDaSZ_S10_SG_SL_EUlSZ_E_NS1_11comp_targetILNS1_3genE2ELNS1_11target_archE906ELNS1_3gpuE6ELNS1_3repE0EEENS1_47radix_sort_onesweep_sort_config_static_selectorELNS0_4arch9wavefront6targetE0EEEvSG_.uses_vcc, 0
	.set _ZN7rocprim17ROCPRIM_400000_NS6detail17trampoline_kernelINS0_14default_configENS1_35radix_sort_onesweep_config_selectorIhNS0_10empty_typeEEEZZNS1_29radix_sort_onesweep_iterationIS3_Lb1EPKhPhPS5_SB_mNS0_19identity_decomposerENS1_16block_id_wrapperIjLb0EEEEE10hipError_tT1_PNSt15iterator_traitsISG_E10value_typeET2_T3_PNSH_ISM_E10value_typeET4_T5_PSR_SS_PNS1_23onesweep_lookback_stateEbbT6_jjT7_P12ihipStream_tbENKUlT_T0_SG_SL_E_clIS9_SA_SB_SB_EEDaSZ_S10_SG_SL_EUlSZ_E_NS1_11comp_targetILNS1_3genE2ELNS1_11target_archE906ELNS1_3gpuE6ELNS1_3repE0EEENS1_47radix_sort_onesweep_sort_config_static_selectorELNS0_4arch9wavefront6targetE0EEEvSG_.uses_flat_scratch, 0
	.set _ZN7rocprim17ROCPRIM_400000_NS6detail17trampoline_kernelINS0_14default_configENS1_35radix_sort_onesweep_config_selectorIhNS0_10empty_typeEEEZZNS1_29radix_sort_onesweep_iterationIS3_Lb1EPKhPhPS5_SB_mNS0_19identity_decomposerENS1_16block_id_wrapperIjLb0EEEEE10hipError_tT1_PNSt15iterator_traitsISG_E10value_typeET2_T3_PNSH_ISM_E10value_typeET4_T5_PSR_SS_PNS1_23onesweep_lookback_stateEbbT6_jjT7_P12ihipStream_tbENKUlT_T0_SG_SL_E_clIS9_SA_SB_SB_EEDaSZ_S10_SG_SL_EUlSZ_E_NS1_11comp_targetILNS1_3genE2ELNS1_11target_archE906ELNS1_3gpuE6ELNS1_3repE0EEENS1_47radix_sort_onesweep_sort_config_static_selectorELNS0_4arch9wavefront6targetE0EEEvSG_.has_dyn_sized_stack, 0
	.set _ZN7rocprim17ROCPRIM_400000_NS6detail17trampoline_kernelINS0_14default_configENS1_35radix_sort_onesweep_config_selectorIhNS0_10empty_typeEEEZZNS1_29radix_sort_onesweep_iterationIS3_Lb1EPKhPhPS5_SB_mNS0_19identity_decomposerENS1_16block_id_wrapperIjLb0EEEEE10hipError_tT1_PNSt15iterator_traitsISG_E10value_typeET2_T3_PNSH_ISM_E10value_typeET4_T5_PSR_SS_PNS1_23onesweep_lookback_stateEbbT6_jjT7_P12ihipStream_tbENKUlT_T0_SG_SL_E_clIS9_SA_SB_SB_EEDaSZ_S10_SG_SL_EUlSZ_E_NS1_11comp_targetILNS1_3genE2ELNS1_11target_archE906ELNS1_3gpuE6ELNS1_3repE0EEENS1_47radix_sort_onesweep_sort_config_static_selectorELNS0_4arch9wavefront6targetE0EEEvSG_.has_recursion, 0
	.set _ZN7rocprim17ROCPRIM_400000_NS6detail17trampoline_kernelINS0_14default_configENS1_35radix_sort_onesweep_config_selectorIhNS0_10empty_typeEEEZZNS1_29radix_sort_onesweep_iterationIS3_Lb1EPKhPhPS5_SB_mNS0_19identity_decomposerENS1_16block_id_wrapperIjLb0EEEEE10hipError_tT1_PNSt15iterator_traitsISG_E10value_typeET2_T3_PNSH_ISM_E10value_typeET4_T5_PSR_SS_PNS1_23onesweep_lookback_stateEbbT6_jjT7_P12ihipStream_tbENKUlT_T0_SG_SL_E_clIS9_SA_SB_SB_EEDaSZ_S10_SG_SL_EUlSZ_E_NS1_11comp_targetILNS1_3genE2ELNS1_11target_archE906ELNS1_3gpuE6ELNS1_3repE0EEENS1_47radix_sort_onesweep_sort_config_static_selectorELNS0_4arch9wavefront6targetE0EEEvSG_.has_indirect_call, 0
	.section	.AMDGPU.csdata,"",@progbits
; Kernel info:
; codeLenInByte = 0
; TotalNumSgprs: 0
; NumVgprs: 0
; ScratchSize: 0
; MemoryBound: 0
; FloatMode: 240
; IeeeMode: 1
; LDSByteSize: 0 bytes/workgroup (compile time only)
; SGPRBlocks: 0
; VGPRBlocks: 0
; NumSGPRsForWavesPerEU: 1
; NumVGPRsForWavesPerEU: 1
; NamedBarCnt: 0
; Occupancy: 16
; WaveLimiterHint : 0
; COMPUTE_PGM_RSRC2:SCRATCH_EN: 0
; COMPUTE_PGM_RSRC2:USER_SGPR: 2
; COMPUTE_PGM_RSRC2:TRAP_HANDLER: 0
; COMPUTE_PGM_RSRC2:TGID_X_EN: 1
; COMPUTE_PGM_RSRC2:TGID_Y_EN: 0
; COMPUTE_PGM_RSRC2:TGID_Z_EN: 0
; COMPUTE_PGM_RSRC2:TIDIG_COMP_CNT: 0
	.section	.text._ZN7rocprim17ROCPRIM_400000_NS6detail17trampoline_kernelINS0_14default_configENS1_35radix_sort_onesweep_config_selectorIhNS0_10empty_typeEEEZZNS1_29radix_sort_onesweep_iterationIS3_Lb1EPKhPhPS5_SB_mNS0_19identity_decomposerENS1_16block_id_wrapperIjLb0EEEEE10hipError_tT1_PNSt15iterator_traitsISG_E10value_typeET2_T3_PNSH_ISM_E10value_typeET4_T5_PSR_SS_PNS1_23onesweep_lookback_stateEbbT6_jjT7_P12ihipStream_tbENKUlT_T0_SG_SL_E_clIS9_SA_SB_SB_EEDaSZ_S10_SG_SL_EUlSZ_E_NS1_11comp_targetILNS1_3genE4ELNS1_11target_archE910ELNS1_3gpuE8ELNS1_3repE0EEENS1_47radix_sort_onesweep_sort_config_static_selectorELNS0_4arch9wavefront6targetE0EEEvSG_,"axG",@progbits,_ZN7rocprim17ROCPRIM_400000_NS6detail17trampoline_kernelINS0_14default_configENS1_35radix_sort_onesweep_config_selectorIhNS0_10empty_typeEEEZZNS1_29radix_sort_onesweep_iterationIS3_Lb1EPKhPhPS5_SB_mNS0_19identity_decomposerENS1_16block_id_wrapperIjLb0EEEEE10hipError_tT1_PNSt15iterator_traitsISG_E10value_typeET2_T3_PNSH_ISM_E10value_typeET4_T5_PSR_SS_PNS1_23onesweep_lookback_stateEbbT6_jjT7_P12ihipStream_tbENKUlT_T0_SG_SL_E_clIS9_SA_SB_SB_EEDaSZ_S10_SG_SL_EUlSZ_E_NS1_11comp_targetILNS1_3genE4ELNS1_11target_archE910ELNS1_3gpuE8ELNS1_3repE0EEENS1_47radix_sort_onesweep_sort_config_static_selectorELNS0_4arch9wavefront6targetE0EEEvSG_,comdat
	.protected	_ZN7rocprim17ROCPRIM_400000_NS6detail17trampoline_kernelINS0_14default_configENS1_35radix_sort_onesweep_config_selectorIhNS0_10empty_typeEEEZZNS1_29radix_sort_onesweep_iterationIS3_Lb1EPKhPhPS5_SB_mNS0_19identity_decomposerENS1_16block_id_wrapperIjLb0EEEEE10hipError_tT1_PNSt15iterator_traitsISG_E10value_typeET2_T3_PNSH_ISM_E10value_typeET4_T5_PSR_SS_PNS1_23onesweep_lookback_stateEbbT6_jjT7_P12ihipStream_tbENKUlT_T0_SG_SL_E_clIS9_SA_SB_SB_EEDaSZ_S10_SG_SL_EUlSZ_E_NS1_11comp_targetILNS1_3genE4ELNS1_11target_archE910ELNS1_3gpuE8ELNS1_3repE0EEENS1_47radix_sort_onesweep_sort_config_static_selectorELNS0_4arch9wavefront6targetE0EEEvSG_ ; -- Begin function _ZN7rocprim17ROCPRIM_400000_NS6detail17trampoline_kernelINS0_14default_configENS1_35radix_sort_onesweep_config_selectorIhNS0_10empty_typeEEEZZNS1_29radix_sort_onesweep_iterationIS3_Lb1EPKhPhPS5_SB_mNS0_19identity_decomposerENS1_16block_id_wrapperIjLb0EEEEE10hipError_tT1_PNSt15iterator_traitsISG_E10value_typeET2_T3_PNSH_ISM_E10value_typeET4_T5_PSR_SS_PNS1_23onesweep_lookback_stateEbbT6_jjT7_P12ihipStream_tbENKUlT_T0_SG_SL_E_clIS9_SA_SB_SB_EEDaSZ_S10_SG_SL_EUlSZ_E_NS1_11comp_targetILNS1_3genE4ELNS1_11target_archE910ELNS1_3gpuE8ELNS1_3repE0EEENS1_47radix_sort_onesweep_sort_config_static_selectorELNS0_4arch9wavefront6targetE0EEEvSG_
	.globl	_ZN7rocprim17ROCPRIM_400000_NS6detail17trampoline_kernelINS0_14default_configENS1_35radix_sort_onesweep_config_selectorIhNS0_10empty_typeEEEZZNS1_29radix_sort_onesweep_iterationIS3_Lb1EPKhPhPS5_SB_mNS0_19identity_decomposerENS1_16block_id_wrapperIjLb0EEEEE10hipError_tT1_PNSt15iterator_traitsISG_E10value_typeET2_T3_PNSH_ISM_E10value_typeET4_T5_PSR_SS_PNS1_23onesweep_lookback_stateEbbT6_jjT7_P12ihipStream_tbENKUlT_T0_SG_SL_E_clIS9_SA_SB_SB_EEDaSZ_S10_SG_SL_EUlSZ_E_NS1_11comp_targetILNS1_3genE4ELNS1_11target_archE910ELNS1_3gpuE8ELNS1_3repE0EEENS1_47radix_sort_onesweep_sort_config_static_selectorELNS0_4arch9wavefront6targetE0EEEvSG_
	.p2align	8
	.type	_ZN7rocprim17ROCPRIM_400000_NS6detail17trampoline_kernelINS0_14default_configENS1_35radix_sort_onesweep_config_selectorIhNS0_10empty_typeEEEZZNS1_29radix_sort_onesweep_iterationIS3_Lb1EPKhPhPS5_SB_mNS0_19identity_decomposerENS1_16block_id_wrapperIjLb0EEEEE10hipError_tT1_PNSt15iterator_traitsISG_E10value_typeET2_T3_PNSH_ISM_E10value_typeET4_T5_PSR_SS_PNS1_23onesweep_lookback_stateEbbT6_jjT7_P12ihipStream_tbENKUlT_T0_SG_SL_E_clIS9_SA_SB_SB_EEDaSZ_S10_SG_SL_EUlSZ_E_NS1_11comp_targetILNS1_3genE4ELNS1_11target_archE910ELNS1_3gpuE8ELNS1_3repE0EEENS1_47radix_sort_onesweep_sort_config_static_selectorELNS0_4arch9wavefront6targetE0EEEvSG_,@function
_ZN7rocprim17ROCPRIM_400000_NS6detail17trampoline_kernelINS0_14default_configENS1_35radix_sort_onesweep_config_selectorIhNS0_10empty_typeEEEZZNS1_29radix_sort_onesweep_iterationIS3_Lb1EPKhPhPS5_SB_mNS0_19identity_decomposerENS1_16block_id_wrapperIjLb0EEEEE10hipError_tT1_PNSt15iterator_traitsISG_E10value_typeET2_T3_PNSH_ISM_E10value_typeET4_T5_PSR_SS_PNS1_23onesweep_lookback_stateEbbT6_jjT7_P12ihipStream_tbENKUlT_T0_SG_SL_E_clIS9_SA_SB_SB_EEDaSZ_S10_SG_SL_EUlSZ_E_NS1_11comp_targetILNS1_3genE4ELNS1_11target_archE910ELNS1_3gpuE8ELNS1_3repE0EEENS1_47radix_sort_onesweep_sort_config_static_selectorELNS0_4arch9wavefront6targetE0EEEvSG_: ; @_ZN7rocprim17ROCPRIM_400000_NS6detail17trampoline_kernelINS0_14default_configENS1_35radix_sort_onesweep_config_selectorIhNS0_10empty_typeEEEZZNS1_29radix_sort_onesweep_iterationIS3_Lb1EPKhPhPS5_SB_mNS0_19identity_decomposerENS1_16block_id_wrapperIjLb0EEEEE10hipError_tT1_PNSt15iterator_traitsISG_E10value_typeET2_T3_PNSH_ISM_E10value_typeET4_T5_PSR_SS_PNS1_23onesweep_lookback_stateEbbT6_jjT7_P12ihipStream_tbENKUlT_T0_SG_SL_E_clIS9_SA_SB_SB_EEDaSZ_S10_SG_SL_EUlSZ_E_NS1_11comp_targetILNS1_3genE4ELNS1_11target_archE910ELNS1_3gpuE8ELNS1_3repE0EEENS1_47radix_sort_onesweep_sort_config_static_selectorELNS0_4arch9wavefront6targetE0EEEvSG_
; %bb.0:
	.section	.rodata,"a",@progbits
	.p2align	6, 0x0
	.amdhsa_kernel _ZN7rocprim17ROCPRIM_400000_NS6detail17trampoline_kernelINS0_14default_configENS1_35radix_sort_onesweep_config_selectorIhNS0_10empty_typeEEEZZNS1_29radix_sort_onesweep_iterationIS3_Lb1EPKhPhPS5_SB_mNS0_19identity_decomposerENS1_16block_id_wrapperIjLb0EEEEE10hipError_tT1_PNSt15iterator_traitsISG_E10value_typeET2_T3_PNSH_ISM_E10value_typeET4_T5_PSR_SS_PNS1_23onesweep_lookback_stateEbbT6_jjT7_P12ihipStream_tbENKUlT_T0_SG_SL_E_clIS9_SA_SB_SB_EEDaSZ_S10_SG_SL_EUlSZ_E_NS1_11comp_targetILNS1_3genE4ELNS1_11target_archE910ELNS1_3gpuE8ELNS1_3repE0EEENS1_47radix_sort_onesweep_sort_config_static_selectorELNS0_4arch9wavefront6targetE0EEEvSG_
		.amdhsa_group_segment_fixed_size 0
		.amdhsa_private_segment_fixed_size 0
		.amdhsa_kernarg_size 88
		.amdhsa_user_sgpr_count 2
		.amdhsa_user_sgpr_dispatch_ptr 0
		.amdhsa_user_sgpr_queue_ptr 0
		.amdhsa_user_sgpr_kernarg_segment_ptr 1
		.amdhsa_user_sgpr_dispatch_id 0
		.amdhsa_user_sgpr_kernarg_preload_length 0
		.amdhsa_user_sgpr_kernarg_preload_offset 0
		.amdhsa_user_sgpr_private_segment_size 0
		.amdhsa_wavefront_size32 1
		.amdhsa_uses_dynamic_stack 0
		.amdhsa_enable_private_segment 0
		.amdhsa_system_sgpr_workgroup_id_x 1
		.amdhsa_system_sgpr_workgroup_id_y 0
		.amdhsa_system_sgpr_workgroup_id_z 0
		.amdhsa_system_sgpr_workgroup_info 0
		.amdhsa_system_vgpr_workitem_id 0
		.amdhsa_next_free_vgpr 1
		.amdhsa_next_free_sgpr 1
		.amdhsa_named_barrier_count 0
		.amdhsa_reserve_vcc 0
		.amdhsa_float_round_mode_32 0
		.amdhsa_float_round_mode_16_64 0
		.amdhsa_float_denorm_mode_32 3
		.amdhsa_float_denorm_mode_16_64 3
		.amdhsa_fp16_overflow 0
		.amdhsa_memory_ordered 1
		.amdhsa_forward_progress 1
		.amdhsa_inst_pref_size 0
		.amdhsa_round_robin_scheduling 0
		.amdhsa_exception_fp_ieee_invalid_op 0
		.amdhsa_exception_fp_denorm_src 0
		.amdhsa_exception_fp_ieee_div_zero 0
		.amdhsa_exception_fp_ieee_overflow 0
		.amdhsa_exception_fp_ieee_underflow 0
		.amdhsa_exception_fp_ieee_inexact 0
		.amdhsa_exception_int_div_zero 0
	.end_amdhsa_kernel
	.section	.text._ZN7rocprim17ROCPRIM_400000_NS6detail17trampoline_kernelINS0_14default_configENS1_35radix_sort_onesweep_config_selectorIhNS0_10empty_typeEEEZZNS1_29radix_sort_onesweep_iterationIS3_Lb1EPKhPhPS5_SB_mNS0_19identity_decomposerENS1_16block_id_wrapperIjLb0EEEEE10hipError_tT1_PNSt15iterator_traitsISG_E10value_typeET2_T3_PNSH_ISM_E10value_typeET4_T5_PSR_SS_PNS1_23onesweep_lookback_stateEbbT6_jjT7_P12ihipStream_tbENKUlT_T0_SG_SL_E_clIS9_SA_SB_SB_EEDaSZ_S10_SG_SL_EUlSZ_E_NS1_11comp_targetILNS1_3genE4ELNS1_11target_archE910ELNS1_3gpuE8ELNS1_3repE0EEENS1_47radix_sort_onesweep_sort_config_static_selectorELNS0_4arch9wavefront6targetE0EEEvSG_,"axG",@progbits,_ZN7rocprim17ROCPRIM_400000_NS6detail17trampoline_kernelINS0_14default_configENS1_35radix_sort_onesweep_config_selectorIhNS0_10empty_typeEEEZZNS1_29radix_sort_onesweep_iterationIS3_Lb1EPKhPhPS5_SB_mNS0_19identity_decomposerENS1_16block_id_wrapperIjLb0EEEEE10hipError_tT1_PNSt15iterator_traitsISG_E10value_typeET2_T3_PNSH_ISM_E10value_typeET4_T5_PSR_SS_PNS1_23onesweep_lookback_stateEbbT6_jjT7_P12ihipStream_tbENKUlT_T0_SG_SL_E_clIS9_SA_SB_SB_EEDaSZ_S10_SG_SL_EUlSZ_E_NS1_11comp_targetILNS1_3genE4ELNS1_11target_archE910ELNS1_3gpuE8ELNS1_3repE0EEENS1_47radix_sort_onesweep_sort_config_static_selectorELNS0_4arch9wavefront6targetE0EEEvSG_,comdat
.Lfunc_end130:
	.size	_ZN7rocprim17ROCPRIM_400000_NS6detail17trampoline_kernelINS0_14default_configENS1_35radix_sort_onesweep_config_selectorIhNS0_10empty_typeEEEZZNS1_29radix_sort_onesweep_iterationIS3_Lb1EPKhPhPS5_SB_mNS0_19identity_decomposerENS1_16block_id_wrapperIjLb0EEEEE10hipError_tT1_PNSt15iterator_traitsISG_E10value_typeET2_T3_PNSH_ISM_E10value_typeET4_T5_PSR_SS_PNS1_23onesweep_lookback_stateEbbT6_jjT7_P12ihipStream_tbENKUlT_T0_SG_SL_E_clIS9_SA_SB_SB_EEDaSZ_S10_SG_SL_EUlSZ_E_NS1_11comp_targetILNS1_3genE4ELNS1_11target_archE910ELNS1_3gpuE8ELNS1_3repE0EEENS1_47radix_sort_onesweep_sort_config_static_selectorELNS0_4arch9wavefront6targetE0EEEvSG_, .Lfunc_end130-_ZN7rocprim17ROCPRIM_400000_NS6detail17trampoline_kernelINS0_14default_configENS1_35radix_sort_onesweep_config_selectorIhNS0_10empty_typeEEEZZNS1_29radix_sort_onesweep_iterationIS3_Lb1EPKhPhPS5_SB_mNS0_19identity_decomposerENS1_16block_id_wrapperIjLb0EEEEE10hipError_tT1_PNSt15iterator_traitsISG_E10value_typeET2_T3_PNSH_ISM_E10value_typeET4_T5_PSR_SS_PNS1_23onesweep_lookback_stateEbbT6_jjT7_P12ihipStream_tbENKUlT_T0_SG_SL_E_clIS9_SA_SB_SB_EEDaSZ_S10_SG_SL_EUlSZ_E_NS1_11comp_targetILNS1_3genE4ELNS1_11target_archE910ELNS1_3gpuE8ELNS1_3repE0EEENS1_47radix_sort_onesweep_sort_config_static_selectorELNS0_4arch9wavefront6targetE0EEEvSG_
                                        ; -- End function
	.set _ZN7rocprim17ROCPRIM_400000_NS6detail17trampoline_kernelINS0_14default_configENS1_35radix_sort_onesweep_config_selectorIhNS0_10empty_typeEEEZZNS1_29radix_sort_onesweep_iterationIS3_Lb1EPKhPhPS5_SB_mNS0_19identity_decomposerENS1_16block_id_wrapperIjLb0EEEEE10hipError_tT1_PNSt15iterator_traitsISG_E10value_typeET2_T3_PNSH_ISM_E10value_typeET4_T5_PSR_SS_PNS1_23onesweep_lookback_stateEbbT6_jjT7_P12ihipStream_tbENKUlT_T0_SG_SL_E_clIS9_SA_SB_SB_EEDaSZ_S10_SG_SL_EUlSZ_E_NS1_11comp_targetILNS1_3genE4ELNS1_11target_archE910ELNS1_3gpuE8ELNS1_3repE0EEENS1_47radix_sort_onesweep_sort_config_static_selectorELNS0_4arch9wavefront6targetE0EEEvSG_.num_vgpr, 0
	.set _ZN7rocprim17ROCPRIM_400000_NS6detail17trampoline_kernelINS0_14default_configENS1_35radix_sort_onesweep_config_selectorIhNS0_10empty_typeEEEZZNS1_29radix_sort_onesweep_iterationIS3_Lb1EPKhPhPS5_SB_mNS0_19identity_decomposerENS1_16block_id_wrapperIjLb0EEEEE10hipError_tT1_PNSt15iterator_traitsISG_E10value_typeET2_T3_PNSH_ISM_E10value_typeET4_T5_PSR_SS_PNS1_23onesweep_lookback_stateEbbT6_jjT7_P12ihipStream_tbENKUlT_T0_SG_SL_E_clIS9_SA_SB_SB_EEDaSZ_S10_SG_SL_EUlSZ_E_NS1_11comp_targetILNS1_3genE4ELNS1_11target_archE910ELNS1_3gpuE8ELNS1_3repE0EEENS1_47radix_sort_onesweep_sort_config_static_selectorELNS0_4arch9wavefront6targetE0EEEvSG_.num_agpr, 0
	.set _ZN7rocprim17ROCPRIM_400000_NS6detail17trampoline_kernelINS0_14default_configENS1_35radix_sort_onesweep_config_selectorIhNS0_10empty_typeEEEZZNS1_29radix_sort_onesweep_iterationIS3_Lb1EPKhPhPS5_SB_mNS0_19identity_decomposerENS1_16block_id_wrapperIjLb0EEEEE10hipError_tT1_PNSt15iterator_traitsISG_E10value_typeET2_T3_PNSH_ISM_E10value_typeET4_T5_PSR_SS_PNS1_23onesweep_lookback_stateEbbT6_jjT7_P12ihipStream_tbENKUlT_T0_SG_SL_E_clIS9_SA_SB_SB_EEDaSZ_S10_SG_SL_EUlSZ_E_NS1_11comp_targetILNS1_3genE4ELNS1_11target_archE910ELNS1_3gpuE8ELNS1_3repE0EEENS1_47radix_sort_onesweep_sort_config_static_selectorELNS0_4arch9wavefront6targetE0EEEvSG_.numbered_sgpr, 0
	.set _ZN7rocprim17ROCPRIM_400000_NS6detail17trampoline_kernelINS0_14default_configENS1_35radix_sort_onesweep_config_selectorIhNS0_10empty_typeEEEZZNS1_29radix_sort_onesweep_iterationIS3_Lb1EPKhPhPS5_SB_mNS0_19identity_decomposerENS1_16block_id_wrapperIjLb0EEEEE10hipError_tT1_PNSt15iterator_traitsISG_E10value_typeET2_T3_PNSH_ISM_E10value_typeET4_T5_PSR_SS_PNS1_23onesweep_lookback_stateEbbT6_jjT7_P12ihipStream_tbENKUlT_T0_SG_SL_E_clIS9_SA_SB_SB_EEDaSZ_S10_SG_SL_EUlSZ_E_NS1_11comp_targetILNS1_3genE4ELNS1_11target_archE910ELNS1_3gpuE8ELNS1_3repE0EEENS1_47radix_sort_onesweep_sort_config_static_selectorELNS0_4arch9wavefront6targetE0EEEvSG_.num_named_barrier, 0
	.set _ZN7rocprim17ROCPRIM_400000_NS6detail17trampoline_kernelINS0_14default_configENS1_35radix_sort_onesweep_config_selectorIhNS0_10empty_typeEEEZZNS1_29radix_sort_onesweep_iterationIS3_Lb1EPKhPhPS5_SB_mNS0_19identity_decomposerENS1_16block_id_wrapperIjLb0EEEEE10hipError_tT1_PNSt15iterator_traitsISG_E10value_typeET2_T3_PNSH_ISM_E10value_typeET4_T5_PSR_SS_PNS1_23onesweep_lookback_stateEbbT6_jjT7_P12ihipStream_tbENKUlT_T0_SG_SL_E_clIS9_SA_SB_SB_EEDaSZ_S10_SG_SL_EUlSZ_E_NS1_11comp_targetILNS1_3genE4ELNS1_11target_archE910ELNS1_3gpuE8ELNS1_3repE0EEENS1_47radix_sort_onesweep_sort_config_static_selectorELNS0_4arch9wavefront6targetE0EEEvSG_.private_seg_size, 0
	.set _ZN7rocprim17ROCPRIM_400000_NS6detail17trampoline_kernelINS0_14default_configENS1_35radix_sort_onesweep_config_selectorIhNS0_10empty_typeEEEZZNS1_29radix_sort_onesweep_iterationIS3_Lb1EPKhPhPS5_SB_mNS0_19identity_decomposerENS1_16block_id_wrapperIjLb0EEEEE10hipError_tT1_PNSt15iterator_traitsISG_E10value_typeET2_T3_PNSH_ISM_E10value_typeET4_T5_PSR_SS_PNS1_23onesweep_lookback_stateEbbT6_jjT7_P12ihipStream_tbENKUlT_T0_SG_SL_E_clIS9_SA_SB_SB_EEDaSZ_S10_SG_SL_EUlSZ_E_NS1_11comp_targetILNS1_3genE4ELNS1_11target_archE910ELNS1_3gpuE8ELNS1_3repE0EEENS1_47radix_sort_onesweep_sort_config_static_selectorELNS0_4arch9wavefront6targetE0EEEvSG_.uses_vcc, 0
	.set _ZN7rocprim17ROCPRIM_400000_NS6detail17trampoline_kernelINS0_14default_configENS1_35radix_sort_onesweep_config_selectorIhNS0_10empty_typeEEEZZNS1_29radix_sort_onesweep_iterationIS3_Lb1EPKhPhPS5_SB_mNS0_19identity_decomposerENS1_16block_id_wrapperIjLb0EEEEE10hipError_tT1_PNSt15iterator_traitsISG_E10value_typeET2_T3_PNSH_ISM_E10value_typeET4_T5_PSR_SS_PNS1_23onesweep_lookback_stateEbbT6_jjT7_P12ihipStream_tbENKUlT_T0_SG_SL_E_clIS9_SA_SB_SB_EEDaSZ_S10_SG_SL_EUlSZ_E_NS1_11comp_targetILNS1_3genE4ELNS1_11target_archE910ELNS1_3gpuE8ELNS1_3repE0EEENS1_47radix_sort_onesweep_sort_config_static_selectorELNS0_4arch9wavefront6targetE0EEEvSG_.uses_flat_scratch, 0
	.set _ZN7rocprim17ROCPRIM_400000_NS6detail17trampoline_kernelINS0_14default_configENS1_35radix_sort_onesweep_config_selectorIhNS0_10empty_typeEEEZZNS1_29radix_sort_onesweep_iterationIS3_Lb1EPKhPhPS5_SB_mNS0_19identity_decomposerENS1_16block_id_wrapperIjLb0EEEEE10hipError_tT1_PNSt15iterator_traitsISG_E10value_typeET2_T3_PNSH_ISM_E10value_typeET4_T5_PSR_SS_PNS1_23onesweep_lookback_stateEbbT6_jjT7_P12ihipStream_tbENKUlT_T0_SG_SL_E_clIS9_SA_SB_SB_EEDaSZ_S10_SG_SL_EUlSZ_E_NS1_11comp_targetILNS1_3genE4ELNS1_11target_archE910ELNS1_3gpuE8ELNS1_3repE0EEENS1_47radix_sort_onesweep_sort_config_static_selectorELNS0_4arch9wavefront6targetE0EEEvSG_.has_dyn_sized_stack, 0
	.set _ZN7rocprim17ROCPRIM_400000_NS6detail17trampoline_kernelINS0_14default_configENS1_35radix_sort_onesweep_config_selectorIhNS0_10empty_typeEEEZZNS1_29radix_sort_onesweep_iterationIS3_Lb1EPKhPhPS5_SB_mNS0_19identity_decomposerENS1_16block_id_wrapperIjLb0EEEEE10hipError_tT1_PNSt15iterator_traitsISG_E10value_typeET2_T3_PNSH_ISM_E10value_typeET4_T5_PSR_SS_PNS1_23onesweep_lookback_stateEbbT6_jjT7_P12ihipStream_tbENKUlT_T0_SG_SL_E_clIS9_SA_SB_SB_EEDaSZ_S10_SG_SL_EUlSZ_E_NS1_11comp_targetILNS1_3genE4ELNS1_11target_archE910ELNS1_3gpuE8ELNS1_3repE0EEENS1_47radix_sort_onesweep_sort_config_static_selectorELNS0_4arch9wavefront6targetE0EEEvSG_.has_recursion, 0
	.set _ZN7rocprim17ROCPRIM_400000_NS6detail17trampoline_kernelINS0_14default_configENS1_35radix_sort_onesweep_config_selectorIhNS0_10empty_typeEEEZZNS1_29radix_sort_onesweep_iterationIS3_Lb1EPKhPhPS5_SB_mNS0_19identity_decomposerENS1_16block_id_wrapperIjLb0EEEEE10hipError_tT1_PNSt15iterator_traitsISG_E10value_typeET2_T3_PNSH_ISM_E10value_typeET4_T5_PSR_SS_PNS1_23onesweep_lookback_stateEbbT6_jjT7_P12ihipStream_tbENKUlT_T0_SG_SL_E_clIS9_SA_SB_SB_EEDaSZ_S10_SG_SL_EUlSZ_E_NS1_11comp_targetILNS1_3genE4ELNS1_11target_archE910ELNS1_3gpuE8ELNS1_3repE0EEENS1_47radix_sort_onesweep_sort_config_static_selectorELNS0_4arch9wavefront6targetE0EEEvSG_.has_indirect_call, 0
	.section	.AMDGPU.csdata,"",@progbits
; Kernel info:
; codeLenInByte = 0
; TotalNumSgprs: 0
; NumVgprs: 0
; ScratchSize: 0
; MemoryBound: 0
; FloatMode: 240
; IeeeMode: 1
; LDSByteSize: 0 bytes/workgroup (compile time only)
; SGPRBlocks: 0
; VGPRBlocks: 0
; NumSGPRsForWavesPerEU: 1
; NumVGPRsForWavesPerEU: 1
; NamedBarCnt: 0
; Occupancy: 16
; WaveLimiterHint : 0
; COMPUTE_PGM_RSRC2:SCRATCH_EN: 0
; COMPUTE_PGM_RSRC2:USER_SGPR: 2
; COMPUTE_PGM_RSRC2:TRAP_HANDLER: 0
; COMPUTE_PGM_RSRC2:TGID_X_EN: 1
; COMPUTE_PGM_RSRC2:TGID_Y_EN: 0
; COMPUTE_PGM_RSRC2:TGID_Z_EN: 0
; COMPUTE_PGM_RSRC2:TIDIG_COMP_CNT: 0
	.section	.text._ZN7rocprim17ROCPRIM_400000_NS6detail17trampoline_kernelINS0_14default_configENS1_35radix_sort_onesweep_config_selectorIhNS0_10empty_typeEEEZZNS1_29radix_sort_onesweep_iterationIS3_Lb1EPKhPhPS5_SB_mNS0_19identity_decomposerENS1_16block_id_wrapperIjLb0EEEEE10hipError_tT1_PNSt15iterator_traitsISG_E10value_typeET2_T3_PNSH_ISM_E10value_typeET4_T5_PSR_SS_PNS1_23onesweep_lookback_stateEbbT6_jjT7_P12ihipStream_tbENKUlT_T0_SG_SL_E_clIS9_SA_SB_SB_EEDaSZ_S10_SG_SL_EUlSZ_E_NS1_11comp_targetILNS1_3genE3ELNS1_11target_archE908ELNS1_3gpuE7ELNS1_3repE0EEENS1_47radix_sort_onesweep_sort_config_static_selectorELNS0_4arch9wavefront6targetE0EEEvSG_,"axG",@progbits,_ZN7rocprim17ROCPRIM_400000_NS6detail17trampoline_kernelINS0_14default_configENS1_35radix_sort_onesweep_config_selectorIhNS0_10empty_typeEEEZZNS1_29radix_sort_onesweep_iterationIS3_Lb1EPKhPhPS5_SB_mNS0_19identity_decomposerENS1_16block_id_wrapperIjLb0EEEEE10hipError_tT1_PNSt15iterator_traitsISG_E10value_typeET2_T3_PNSH_ISM_E10value_typeET4_T5_PSR_SS_PNS1_23onesweep_lookback_stateEbbT6_jjT7_P12ihipStream_tbENKUlT_T0_SG_SL_E_clIS9_SA_SB_SB_EEDaSZ_S10_SG_SL_EUlSZ_E_NS1_11comp_targetILNS1_3genE3ELNS1_11target_archE908ELNS1_3gpuE7ELNS1_3repE0EEENS1_47radix_sort_onesweep_sort_config_static_selectorELNS0_4arch9wavefront6targetE0EEEvSG_,comdat
	.protected	_ZN7rocprim17ROCPRIM_400000_NS6detail17trampoline_kernelINS0_14default_configENS1_35radix_sort_onesweep_config_selectorIhNS0_10empty_typeEEEZZNS1_29radix_sort_onesweep_iterationIS3_Lb1EPKhPhPS5_SB_mNS0_19identity_decomposerENS1_16block_id_wrapperIjLb0EEEEE10hipError_tT1_PNSt15iterator_traitsISG_E10value_typeET2_T3_PNSH_ISM_E10value_typeET4_T5_PSR_SS_PNS1_23onesweep_lookback_stateEbbT6_jjT7_P12ihipStream_tbENKUlT_T0_SG_SL_E_clIS9_SA_SB_SB_EEDaSZ_S10_SG_SL_EUlSZ_E_NS1_11comp_targetILNS1_3genE3ELNS1_11target_archE908ELNS1_3gpuE7ELNS1_3repE0EEENS1_47radix_sort_onesweep_sort_config_static_selectorELNS0_4arch9wavefront6targetE0EEEvSG_ ; -- Begin function _ZN7rocprim17ROCPRIM_400000_NS6detail17trampoline_kernelINS0_14default_configENS1_35radix_sort_onesweep_config_selectorIhNS0_10empty_typeEEEZZNS1_29radix_sort_onesweep_iterationIS3_Lb1EPKhPhPS5_SB_mNS0_19identity_decomposerENS1_16block_id_wrapperIjLb0EEEEE10hipError_tT1_PNSt15iterator_traitsISG_E10value_typeET2_T3_PNSH_ISM_E10value_typeET4_T5_PSR_SS_PNS1_23onesweep_lookback_stateEbbT6_jjT7_P12ihipStream_tbENKUlT_T0_SG_SL_E_clIS9_SA_SB_SB_EEDaSZ_S10_SG_SL_EUlSZ_E_NS1_11comp_targetILNS1_3genE3ELNS1_11target_archE908ELNS1_3gpuE7ELNS1_3repE0EEENS1_47radix_sort_onesweep_sort_config_static_selectorELNS0_4arch9wavefront6targetE0EEEvSG_
	.globl	_ZN7rocprim17ROCPRIM_400000_NS6detail17trampoline_kernelINS0_14default_configENS1_35radix_sort_onesweep_config_selectorIhNS0_10empty_typeEEEZZNS1_29radix_sort_onesweep_iterationIS3_Lb1EPKhPhPS5_SB_mNS0_19identity_decomposerENS1_16block_id_wrapperIjLb0EEEEE10hipError_tT1_PNSt15iterator_traitsISG_E10value_typeET2_T3_PNSH_ISM_E10value_typeET4_T5_PSR_SS_PNS1_23onesweep_lookback_stateEbbT6_jjT7_P12ihipStream_tbENKUlT_T0_SG_SL_E_clIS9_SA_SB_SB_EEDaSZ_S10_SG_SL_EUlSZ_E_NS1_11comp_targetILNS1_3genE3ELNS1_11target_archE908ELNS1_3gpuE7ELNS1_3repE0EEENS1_47radix_sort_onesweep_sort_config_static_selectorELNS0_4arch9wavefront6targetE0EEEvSG_
	.p2align	8
	.type	_ZN7rocprim17ROCPRIM_400000_NS6detail17trampoline_kernelINS0_14default_configENS1_35radix_sort_onesweep_config_selectorIhNS0_10empty_typeEEEZZNS1_29radix_sort_onesweep_iterationIS3_Lb1EPKhPhPS5_SB_mNS0_19identity_decomposerENS1_16block_id_wrapperIjLb0EEEEE10hipError_tT1_PNSt15iterator_traitsISG_E10value_typeET2_T3_PNSH_ISM_E10value_typeET4_T5_PSR_SS_PNS1_23onesweep_lookback_stateEbbT6_jjT7_P12ihipStream_tbENKUlT_T0_SG_SL_E_clIS9_SA_SB_SB_EEDaSZ_S10_SG_SL_EUlSZ_E_NS1_11comp_targetILNS1_3genE3ELNS1_11target_archE908ELNS1_3gpuE7ELNS1_3repE0EEENS1_47radix_sort_onesweep_sort_config_static_selectorELNS0_4arch9wavefront6targetE0EEEvSG_,@function
_ZN7rocprim17ROCPRIM_400000_NS6detail17trampoline_kernelINS0_14default_configENS1_35radix_sort_onesweep_config_selectorIhNS0_10empty_typeEEEZZNS1_29radix_sort_onesweep_iterationIS3_Lb1EPKhPhPS5_SB_mNS0_19identity_decomposerENS1_16block_id_wrapperIjLb0EEEEE10hipError_tT1_PNSt15iterator_traitsISG_E10value_typeET2_T3_PNSH_ISM_E10value_typeET4_T5_PSR_SS_PNS1_23onesweep_lookback_stateEbbT6_jjT7_P12ihipStream_tbENKUlT_T0_SG_SL_E_clIS9_SA_SB_SB_EEDaSZ_S10_SG_SL_EUlSZ_E_NS1_11comp_targetILNS1_3genE3ELNS1_11target_archE908ELNS1_3gpuE7ELNS1_3repE0EEENS1_47radix_sort_onesweep_sort_config_static_selectorELNS0_4arch9wavefront6targetE0EEEvSG_: ; @_ZN7rocprim17ROCPRIM_400000_NS6detail17trampoline_kernelINS0_14default_configENS1_35radix_sort_onesweep_config_selectorIhNS0_10empty_typeEEEZZNS1_29radix_sort_onesweep_iterationIS3_Lb1EPKhPhPS5_SB_mNS0_19identity_decomposerENS1_16block_id_wrapperIjLb0EEEEE10hipError_tT1_PNSt15iterator_traitsISG_E10value_typeET2_T3_PNSH_ISM_E10value_typeET4_T5_PSR_SS_PNS1_23onesweep_lookback_stateEbbT6_jjT7_P12ihipStream_tbENKUlT_T0_SG_SL_E_clIS9_SA_SB_SB_EEDaSZ_S10_SG_SL_EUlSZ_E_NS1_11comp_targetILNS1_3genE3ELNS1_11target_archE908ELNS1_3gpuE7ELNS1_3repE0EEENS1_47radix_sort_onesweep_sort_config_static_selectorELNS0_4arch9wavefront6targetE0EEEvSG_
; %bb.0:
	.section	.rodata,"a",@progbits
	.p2align	6, 0x0
	.amdhsa_kernel _ZN7rocprim17ROCPRIM_400000_NS6detail17trampoline_kernelINS0_14default_configENS1_35radix_sort_onesweep_config_selectorIhNS0_10empty_typeEEEZZNS1_29radix_sort_onesweep_iterationIS3_Lb1EPKhPhPS5_SB_mNS0_19identity_decomposerENS1_16block_id_wrapperIjLb0EEEEE10hipError_tT1_PNSt15iterator_traitsISG_E10value_typeET2_T3_PNSH_ISM_E10value_typeET4_T5_PSR_SS_PNS1_23onesweep_lookback_stateEbbT6_jjT7_P12ihipStream_tbENKUlT_T0_SG_SL_E_clIS9_SA_SB_SB_EEDaSZ_S10_SG_SL_EUlSZ_E_NS1_11comp_targetILNS1_3genE3ELNS1_11target_archE908ELNS1_3gpuE7ELNS1_3repE0EEENS1_47radix_sort_onesweep_sort_config_static_selectorELNS0_4arch9wavefront6targetE0EEEvSG_
		.amdhsa_group_segment_fixed_size 0
		.amdhsa_private_segment_fixed_size 0
		.amdhsa_kernarg_size 88
		.amdhsa_user_sgpr_count 2
		.amdhsa_user_sgpr_dispatch_ptr 0
		.amdhsa_user_sgpr_queue_ptr 0
		.amdhsa_user_sgpr_kernarg_segment_ptr 1
		.amdhsa_user_sgpr_dispatch_id 0
		.amdhsa_user_sgpr_kernarg_preload_length 0
		.amdhsa_user_sgpr_kernarg_preload_offset 0
		.amdhsa_user_sgpr_private_segment_size 0
		.amdhsa_wavefront_size32 1
		.amdhsa_uses_dynamic_stack 0
		.amdhsa_enable_private_segment 0
		.amdhsa_system_sgpr_workgroup_id_x 1
		.amdhsa_system_sgpr_workgroup_id_y 0
		.amdhsa_system_sgpr_workgroup_id_z 0
		.amdhsa_system_sgpr_workgroup_info 0
		.amdhsa_system_vgpr_workitem_id 0
		.amdhsa_next_free_vgpr 1
		.amdhsa_next_free_sgpr 1
		.amdhsa_named_barrier_count 0
		.amdhsa_reserve_vcc 0
		.amdhsa_float_round_mode_32 0
		.amdhsa_float_round_mode_16_64 0
		.amdhsa_float_denorm_mode_32 3
		.amdhsa_float_denorm_mode_16_64 3
		.amdhsa_fp16_overflow 0
		.amdhsa_memory_ordered 1
		.amdhsa_forward_progress 1
		.amdhsa_inst_pref_size 0
		.amdhsa_round_robin_scheduling 0
		.amdhsa_exception_fp_ieee_invalid_op 0
		.amdhsa_exception_fp_denorm_src 0
		.amdhsa_exception_fp_ieee_div_zero 0
		.amdhsa_exception_fp_ieee_overflow 0
		.amdhsa_exception_fp_ieee_underflow 0
		.amdhsa_exception_fp_ieee_inexact 0
		.amdhsa_exception_int_div_zero 0
	.end_amdhsa_kernel
	.section	.text._ZN7rocprim17ROCPRIM_400000_NS6detail17trampoline_kernelINS0_14default_configENS1_35radix_sort_onesweep_config_selectorIhNS0_10empty_typeEEEZZNS1_29radix_sort_onesweep_iterationIS3_Lb1EPKhPhPS5_SB_mNS0_19identity_decomposerENS1_16block_id_wrapperIjLb0EEEEE10hipError_tT1_PNSt15iterator_traitsISG_E10value_typeET2_T3_PNSH_ISM_E10value_typeET4_T5_PSR_SS_PNS1_23onesweep_lookback_stateEbbT6_jjT7_P12ihipStream_tbENKUlT_T0_SG_SL_E_clIS9_SA_SB_SB_EEDaSZ_S10_SG_SL_EUlSZ_E_NS1_11comp_targetILNS1_3genE3ELNS1_11target_archE908ELNS1_3gpuE7ELNS1_3repE0EEENS1_47radix_sort_onesweep_sort_config_static_selectorELNS0_4arch9wavefront6targetE0EEEvSG_,"axG",@progbits,_ZN7rocprim17ROCPRIM_400000_NS6detail17trampoline_kernelINS0_14default_configENS1_35radix_sort_onesweep_config_selectorIhNS0_10empty_typeEEEZZNS1_29radix_sort_onesweep_iterationIS3_Lb1EPKhPhPS5_SB_mNS0_19identity_decomposerENS1_16block_id_wrapperIjLb0EEEEE10hipError_tT1_PNSt15iterator_traitsISG_E10value_typeET2_T3_PNSH_ISM_E10value_typeET4_T5_PSR_SS_PNS1_23onesweep_lookback_stateEbbT6_jjT7_P12ihipStream_tbENKUlT_T0_SG_SL_E_clIS9_SA_SB_SB_EEDaSZ_S10_SG_SL_EUlSZ_E_NS1_11comp_targetILNS1_3genE3ELNS1_11target_archE908ELNS1_3gpuE7ELNS1_3repE0EEENS1_47radix_sort_onesweep_sort_config_static_selectorELNS0_4arch9wavefront6targetE0EEEvSG_,comdat
.Lfunc_end131:
	.size	_ZN7rocprim17ROCPRIM_400000_NS6detail17trampoline_kernelINS0_14default_configENS1_35radix_sort_onesweep_config_selectorIhNS0_10empty_typeEEEZZNS1_29radix_sort_onesweep_iterationIS3_Lb1EPKhPhPS5_SB_mNS0_19identity_decomposerENS1_16block_id_wrapperIjLb0EEEEE10hipError_tT1_PNSt15iterator_traitsISG_E10value_typeET2_T3_PNSH_ISM_E10value_typeET4_T5_PSR_SS_PNS1_23onesweep_lookback_stateEbbT6_jjT7_P12ihipStream_tbENKUlT_T0_SG_SL_E_clIS9_SA_SB_SB_EEDaSZ_S10_SG_SL_EUlSZ_E_NS1_11comp_targetILNS1_3genE3ELNS1_11target_archE908ELNS1_3gpuE7ELNS1_3repE0EEENS1_47radix_sort_onesweep_sort_config_static_selectorELNS0_4arch9wavefront6targetE0EEEvSG_, .Lfunc_end131-_ZN7rocprim17ROCPRIM_400000_NS6detail17trampoline_kernelINS0_14default_configENS1_35radix_sort_onesweep_config_selectorIhNS0_10empty_typeEEEZZNS1_29radix_sort_onesweep_iterationIS3_Lb1EPKhPhPS5_SB_mNS0_19identity_decomposerENS1_16block_id_wrapperIjLb0EEEEE10hipError_tT1_PNSt15iterator_traitsISG_E10value_typeET2_T3_PNSH_ISM_E10value_typeET4_T5_PSR_SS_PNS1_23onesweep_lookback_stateEbbT6_jjT7_P12ihipStream_tbENKUlT_T0_SG_SL_E_clIS9_SA_SB_SB_EEDaSZ_S10_SG_SL_EUlSZ_E_NS1_11comp_targetILNS1_3genE3ELNS1_11target_archE908ELNS1_3gpuE7ELNS1_3repE0EEENS1_47radix_sort_onesweep_sort_config_static_selectorELNS0_4arch9wavefront6targetE0EEEvSG_
                                        ; -- End function
	.set _ZN7rocprim17ROCPRIM_400000_NS6detail17trampoline_kernelINS0_14default_configENS1_35radix_sort_onesweep_config_selectorIhNS0_10empty_typeEEEZZNS1_29radix_sort_onesweep_iterationIS3_Lb1EPKhPhPS5_SB_mNS0_19identity_decomposerENS1_16block_id_wrapperIjLb0EEEEE10hipError_tT1_PNSt15iterator_traitsISG_E10value_typeET2_T3_PNSH_ISM_E10value_typeET4_T5_PSR_SS_PNS1_23onesweep_lookback_stateEbbT6_jjT7_P12ihipStream_tbENKUlT_T0_SG_SL_E_clIS9_SA_SB_SB_EEDaSZ_S10_SG_SL_EUlSZ_E_NS1_11comp_targetILNS1_3genE3ELNS1_11target_archE908ELNS1_3gpuE7ELNS1_3repE0EEENS1_47radix_sort_onesweep_sort_config_static_selectorELNS0_4arch9wavefront6targetE0EEEvSG_.num_vgpr, 0
	.set _ZN7rocprim17ROCPRIM_400000_NS6detail17trampoline_kernelINS0_14default_configENS1_35radix_sort_onesweep_config_selectorIhNS0_10empty_typeEEEZZNS1_29radix_sort_onesweep_iterationIS3_Lb1EPKhPhPS5_SB_mNS0_19identity_decomposerENS1_16block_id_wrapperIjLb0EEEEE10hipError_tT1_PNSt15iterator_traitsISG_E10value_typeET2_T3_PNSH_ISM_E10value_typeET4_T5_PSR_SS_PNS1_23onesweep_lookback_stateEbbT6_jjT7_P12ihipStream_tbENKUlT_T0_SG_SL_E_clIS9_SA_SB_SB_EEDaSZ_S10_SG_SL_EUlSZ_E_NS1_11comp_targetILNS1_3genE3ELNS1_11target_archE908ELNS1_3gpuE7ELNS1_3repE0EEENS1_47radix_sort_onesweep_sort_config_static_selectorELNS0_4arch9wavefront6targetE0EEEvSG_.num_agpr, 0
	.set _ZN7rocprim17ROCPRIM_400000_NS6detail17trampoline_kernelINS0_14default_configENS1_35radix_sort_onesweep_config_selectorIhNS0_10empty_typeEEEZZNS1_29radix_sort_onesweep_iterationIS3_Lb1EPKhPhPS5_SB_mNS0_19identity_decomposerENS1_16block_id_wrapperIjLb0EEEEE10hipError_tT1_PNSt15iterator_traitsISG_E10value_typeET2_T3_PNSH_ISM_E10value_typeET4_T5_PSR_SS_PNS1_23onesweep_lookback_stateEbbT6_jjT7_P12ihipStream_tbENKUlT_T0_SG_SL_E_clIS9_SA_SB_SB_EEDaSZ_S10_SG_SL_EUlSZ_E_NS1_11comp_targetILNS1_3genE3ELNS1_11target_archE908ELNS1_3gpuE7ELNS1_3repE0EEENS1_47radix_sort_onesweep_sort_config_static_selectorELNS0_4arch9wavefront6targetE0EEEvSG_.numbered_sgpr, 0
	.set _ZN7rocprim17ROCPRIM_400000_NS6detail17trampoline_kernelINS0_14default_configENS1_35radix_sort_onesweep_config_selectorIhNS0_10empty_typeEEEZZNS1_29radix_sort_onesweep_iterationIS3_Lb1EPKhPhPS5_SB_mNS0_19identity_decomposerENS1_16block_id_wrapperIjLb0EEEEE10hipError_tT1_PNSt15iterator_traitsISG_E10value_typeET2_T3_PNSH_ISM_E10value_typeET4_T5_PSR_SS_PNS1_23onesweep_lookback_stateEbbT6_jjT7_P12ihipStream_tbENKUlT_T0_SG_SL_E_clIS9_SA_SB_SB_EEDaSZ_S10_SG_SL_EUlSZ_E_NS1_11comp_targetILNS1_3genE3ELNS1_11target_archE908ELNS1_3gpuE7ELNS1_3repE0EEENS1_47radix_sort_onesweep_sort_config_static_selectorELNS0_4arch9wavefront6targetE0EEEvSG_.num_named_barrier, 0
	.set _ZN7rocprim17ROCPRIM_400000_NS6detail17trampoline_kernelINS0_14default_configENS1_35radix_sort_onesweep_config_selectorIhNS0_10empty_typeEEEZZNS1_29radix_sort_onesweep_iterationIS3_Lb1EPKhPhPS5_SB_mNS0_19identity_decomposerENS1_16block_id_wrapperIjLb0EEEEE10hipError_tT1_PNSt15iterator_traitsISG_E10value_typeET2_T3_PNSH_ISM_E10value_typeET4_T5_PSR_SS_PNS1_23onesweep_lookback_stateEbbT6_jjT7_P12ihipStream_tbENKUlT_T0_SG_SL_E_clIS9_SA_SB_SB_EEDaSZ_S10_SG_SL_EUlSZ_E_NS1_11comp_targetILNS1_3genE3ELNS1_11target_archE908ELNS1_3gpuE7ELNS1_3repE0EEENS1_47radix_sort_onesweep_sort_config_static_selectorELNS0_4arch9wavefront6targetE0EEEvSG_.private_seg_size, 0
	.set _ZN7rocprim17ROCPRIM_400000_NS6detail17trampoline_kernelINS0_14default_configENS1_35radix_sort_onesweep_config_selectorIhNS0_10empty_typeEEEZZNS1_29radix_sort_onesweep_iterationIS3_Lb1EPKhPhPS5_SB_mNS0_19identity_decomposerENS1_16block_id_wrapperIjLb0EEEEE10hipError_tT1_PNSt15iterator_traitsISG_E10value_typeET2_T3_PNSH_ISM_E10value_typeET4_T5_PSR_SS_PNS1_23onesweep_lookback_stateEbbT6_jjT7_P12ihipStream_tbENKUlT_T0_SG_SL_E_clIS9_SA_SB_SB_EEDaSZ_S10_SG_SL_EUlSZ_E_NS1_11comp_targetILNS1_3genE3ELNS1_11target_archE908ELNS1_3gpuE7ELNS1_3repE0EEENS1_47radix_sort_onesweep_sort_config_static_selectorELNS0_4arch9wavefront6targetE0EEEvSG_.uses_vcc, 0
	.set _ZN7rocprim17ROCPRIM_400000_NS6detail17trampoline_kernelINS0_14default_configENS1_35radix_sort_onesweep_config_selectorIhNS0_10empty_typeEEEZZNS1_29radix_sort_onesweep_iterationIS3_Lb1EPKhPhPS5_SB_mNS0_19identity_decomposerENS1_16block_id_wrapperIjLb0EEEEE10hipError_tT1_PNSt15iterator_traitsISG_E10value_typeET2_T3_PNSH_ISM_E10value_typeET4_T5_PSR_SS_PNS1_23onesweep_lookback_stateEbbT6_jjT7_P12ihipStream_tbENKUlT_T0_SG_SL_E_clIS9_SA_SB_SB_EEDaSZ_S10_SG_SL_EUlSZ_E_NS1_11comp_targetILNS1_3genE3ELNS1_11target_archE908ELNS1_3gpuE7ELNS1_3repE0EEENS1_47radix_sort_onesweep_sort_config_static_selectorELNS0_4arch9wavefront6targetE0EEEvSG_.uses_flat_scratch, 0
	.set _ZN7rocprim17ROCPRIM_400000_NS6detail17trampoline_kernelINS0_14default_configENS1_35radix_sort_onesweep_config_selectorIhNS0_10empty_typeEEEZZNS1_29radix_sort_onesweep_iterationIS3_Lb1EPKhPhPS5_SB_mNS0_19identity_decomposerENS1_16block_id_wrapperIjLb0EEEEE10hipError_tT1_PNSt15iterator_traitsISG_E10value_typeET2_T3_PNSH_ISM_E10value_typeET4_T5_PSR_SS_PNS1_23onesweep_lookback_stateEbbT6_jjT7_P12ihipStream_tbENKUlT_T0_SG_SL_E_clIS9_SA_SB_SB_EEDaSZ_S10_SG_SL_EUlSZ_E_NS1_11comp_targetILNS1_3genE3ELNS1_11target_archE908ELNS1_3gpuE7ELNS1_3repE0EEENS1_47radix_sort_onesweep_sort_config_static_selectorELNS0_4arch9wavefront6targetE0EEEvSG_.has_dyn_sized_stack, 0
	.set _ZN7rocprim17ROCPRIM_400000_NS6detail17trampoline_kernelINS0_14default_configENS1_35radix_sort_onesweep_config_selectorIhNS0_10empty_typeEEEZZNS1_29radix_sort_onesweep_iterationIS3_Lb1EPKhPhPS5_SB_mNS0_19identity_decomposerENS1_16block_id_wrapperIjLb0EEEEE10hipError_tT1_PNSt15iterator_traitsISG_E10value_typeET2_T3_PNSH_ISM_E10value_typeET4_T5_PSR_SS_PNS1_23onesweep_lookback_stateEbbT6_jjT7_P12ihipStream_tbENKUlT_T0_SG_SL_E_clIS9_SA_SB_SB_EEDaSZ_S10_SG_SL_EUlSZ_E_NS1_11comp_targetILNS1_3genE3ELNS1_11target_archE908ELNS1_3gpuE7ELNS1_3repE0EEENS1_47radix_sort_onesweep_sort_config_static_selectorELNS0_4arch9wavefront6targetE0EEEvSG_.has_recursion, 0
	.set _ZN7rocprim17ROCPRIM_400000_NS6detail17trampoline_kernelINS0_14default_configENS1_35radix_sort_onesweep_config_selectorIhNS0_10empty_typeEEEZZNS1_29radix_sort_onesweep_iterationIS3_Lb1EPKhPhPS5_SB_mNS0_19identity_decomposerENS1_16block_id_wrapperIjLb0EEEEE10hipError_tT1_PNSt15iterator_traitsISG_E10value_typeET2_T3_PNSH_ISM_E10value_typeET4_T5_PSR_SS_PNS1_23onesweep_lookback_stateEbbT6_jjT7_P12ihipStream_tbENKUlT_T0_SG_SL_E_clIS9_SA_SB_SB_EEDaSZ_S10_SG_SL_EUlSZ_E_NS1_11comp_targetILNS1_3genE3ELNS1_11target_archE908ELNS1_3gpuE7ELNS1_3repE0EEENS1_47radix_sort_onesweep_sort_config_static_selectorELNS0_4arch9wavefront6targetE0EEEvSG_.has_indirect_call, 0
	.section	.AMDGPU.csdata,"",@progbits
; Kernel info:
; codeLenInByte = 0
; TotalNumSgprs: 0
; NumVgprs: 0
; ScratchSize: 0
; MemoryBound: 0
; FloatMode: 240
; IeeeMode: 1
; LDSByteSize: 0 bytes/workgroup (compile time only)
; SGPRBlocks: 0
; VGPRBlocks: 0
; NumSGPRsForWavesPerEU: 1
; NumVGPRsForWavesPerEU: 1
; NamedBarCnt: 0
; Occupancy: 16
; WaveLimiterHint : 0
; COMPUTE_PGM_RSRC2:SCRATCH_EN: 0
; COMPUTE_PGM_RSRC2:USER_SGPR: 2
; COMPUTE_PGM_RSRC2:TRAP_HANDLER: 0
; COMPUTE_PGM_RSRC2:TGID_X_EN: 1
; COMPUTE_PGM_RSRC2:TGID_Y_EN: 0
; COMPUTE_PGM_RSRC2:TGID_Z_EN: 0
; COMPUTE_PGM_RSRC2:TIDIG_COMP_CNT: 0
	.section	.text._ZN7rocprim17ROCPRIM_400000_NS6detail17trampoline_kernelINS0_14default_configENS1_35radix_sort_onesweep_config_selectorIhNS0_10empty_typeEEEZZNS1_29radix_sort_onesweep_iterationIS3_Lb1EPKhPhPS5_SB_mNS0_19identity_decomposerENS1_16block_id_wrapperIjLb0EEEEE10hipError_tT1_PNSt15iterator_traitsISG_E10value_typeET2_T3_PNSH_ISM_E10value_typeET4_T5_PSR_SS_PNS1_23onesweep_lookback_stateEbbT6_jjT7_P12ihipStream_tbENKUlT_T0_SG_SL_E_clIS9_SA_SB_SB_EEDaSZ_S10_SG_SL_EUlSZ_E_NS1_11comp_targetILNS1_3genE10ELNS1_11target_archE1201ELNS1_3gpuE5ELNS1_3repE0EEENS1_47radix_sort_onesweep_sort_config_static_selectorELNS0_4arch9wavefront6targetE0EEEvSG_,"axG",@progbits,_ZN7rocprim17ROCPRIM_400000_NS6detail17trampoline_kernelINS0_14default_configENS1_35radix_sort_onesweep_config_selectorIhNS0_10empty_typeEEEZZNS1_29radix_sort_onesweep_iterationIS3_Lb1EPKhPhPS5_SB_mNS0_19identity_decomposerENS1_16block_id_wrapperIjLb0EEEEE10hipError_tT1_PNSt15iterator_traitsISG_E10value_typeET2_T3_PNSH_ISM_E10value_typeET4_T5_PSR_SS_PNS1_23onesweep_lookback_stateEbbT6_jjT7_P12ihipStream_tbENKUlT_T0_SG_SL_E_clIS9_SA_SB_SB_EEDaSZ_S10_SG_SL_EUlSZ_E_NS1_11comp_targetILNS1_3genE10ELNS1_11target_archE1201ELNS1_3gpuE5ELNS1_3repE0EEENS1_47radix_sort_onesweep_sort_config_static_selectorELNS0_4arch9wavefront6targetE0EEEvSG_,comdat
	.protected	_ZN7rocprim17ROCPRIM_400000_NS6detail17trampoline_kernelINS0_14default_configENS1_35radix_sort_onesweep_config_selectorIhNS0_10empty_typeEEEZZNS1_29radix_sort_onesweep_iterationIS3_Lb1EPKhPhPS5_SB_mNS0_19identity_decomposerENS1_16block_id_wrapperIjLb0EEEEE10hipError_tT1_PNSt15iterator_traitsISG_E10value_typeET2_T3_PNSH_ISM_E10value_typeET4_T5_PSR_SS_PNS1_23onesweep_lookback_stateEbbT6_jjT7_P12ihipStream_tbENKUlT_T0_SG_SL_E_clIS9_SA_SB_SB_EEDaSZ_S10_SG_SL_EUlSZ_E_NS1_11comp_targetILNS1_3genE10ELNS1_11target_archE1201ELNS1_3gpuE5ELNS1_3repE0EEENS1_47radix_sort_onesweep_sort_config_static_selectorELNS0_4arch9wavefront6targetE0EEEvSG_ ; -- Begin function _ZN7rocprim17ROCPRIM_400000_NS6detail17trampoline_kernelINS0_14default_configENS1_35radix_sort_onesweep_config_selectorIhNS0_10empty_typeEEEZZNS1_29radix_sort_onesweep_iterationIS3_Lb1EPKhPhPS5_SB_mNS0_19identity_decomposerENS1_16block_id_wrapperIjLb0EEEEE10hipError_tT1_PNSt15iterator_traitsISG_E10value_typeET2_T3_PNSH_ISM_E10value_typeET4_T5_PSR_SS_PNS1_23onesweep_lookback_stateEbbT6_jjT7_P12ihipStream_tbENKUlT_T0_SG_SL_E_clIS9_SA_SB_SB_EEDaSZ_S10_SG_SL_EUlSZ_E_NS1_11comp_targetILNS1_3genE10ELNS1_11target_archE1201ELNS1_3gpuE5ELNS1_3repE0EEENS1_47radix_sort_onesweep_sort_config_static_selectorELNS0_4arch9wavefront6targetE0EEEvSG_
	.globl	_ZN7rocprim17ROCPRIM_400000_NS6detail17trampoline_kernelINS0_14default_configENS1_35radix_sort_onesweep_config_selectorIhNS0_10empty_typeEEEZZNS1_29radix_sort_onesweep_iterationIS3_Lb1EPKhPhPS5_SB_mNS0_19identity_decomposerENS1_16block_id_wrapperIjLb0EEEEE10hipError_tT1_PNSt15iterator_traitsISG_E10value_typeET2_T3_PNSH_ISM_E10value_typeET4_T5_PSR_SS_PNS1_23onesweep_lookback_stateEbbT6_jjT7_P12ihipStream_tbENKUlT_T0_SG_SL_E_clIS9_SA_SB_SB_EEDaSZ_S10_SG_SL_EUlSZ_E_NS1_11comp_targetILNS1_3genE10ELNS1_11target_archE1201ELNS1_3gpuE5ELNS1_3repE0EEENS1_47radix_sort_onesweep_sort_config_static_selectorELNS0_4arch9wavefront6targetE0EEEvSG_
	.p2align	8
	.type	_ZN7rocprim17ROCPRIM_400000_NS6detail17trampoline_kernelINS0_14default_configENS1_35radix_sort_onesweep_config_selectorIhNS0_10empty_typeEEEZZNS1_29radix_sort_onesweep_iterationIS3_Lb1EPKhPhPS5_SB_mNS0_19identity_decomposerENS1_16block_id_wrapperIjLb0EEEEE10hipError_tT1_PNSt15iterator_traitsISG_E10value_typeET2_T3_PNSH_ISM_E10value_typeET4_T5_PSR_SS_PNS1_23onesweep_lookback_stateEbbT6_jjT7_P12ihipStream_tbENKUlT_T0_SG_SL_E_clIS9_SA_SB_SB_EEDaSZ_S10_SG_SL_EUlSZ_E_NS1_11comp_targetILNS1_3genE10ELNS1_11target_archE1201ELNS1_3gpuE5ELNS1_3repE0EEENS1_47radix_sort_onesweep_sort_config_static_selectorELNS0_4arch9wavefront6targetE0EEEvSG_,@function
_ZN7rocprim17ROCPRIM_400000_NS6detail17trampoline_kernelINS0_14default_configENS1_35radix_sort_onesweep_config_selectorIhNS0_10empty_typeEEEZZNS1_29radix_sort_onesweep_iterationIS3_Lb1EPKhPhPS5_SB_mNS0_19identity_decomposerENS1_16block_id_wrapperIjLb0EEEEE10hipError_tT1_PNSt15iterator_traitsISG_E10value_typeET2_T3_PNSH_ISM_E10value_typeET4_T5_PSR_SS_PNS1_23onesweep_lookback_stateEbbT6_jjT7_P12ihipStream_tbENKUlT_T0_SG_SL_E_clIS9_SA_SB_SB_EEDaSZ_S10_SG_SL_EUlSZ_E_NS1_11comp_targetILNS1_3genE10ELNS1_11target_archE1201ELNS1_3gpuE5ELNS1_3repE0EEENS1_47radix_sort_onesweep_sort_config_static_selectorELNS0_4arch9wavefront6targetE0EEEvSG_: ; @_ZN7rocprim17ROCPRIM_400000_NS6detail17trampoline_kernelINS0_14default_configENS1_35radix_sort_onesweep_config_selectorIhNS0_10empty_typeEEEZZNS1_29radix_sort_onesweep_iterationIS3_Lb1EPKhPhPS5_SB_mNS0_19identity_decomposerENS1_16block_id_wrapperIjLb0EEEEE10hipError_tT1_PNSt15iterator_traitsISG_E10value_typeET2_T3_PNSH_ISM_E10value_typeET4_T5_PSR_SS_PNS1_23onesweep_lookback_stateEbbT6_jjT7_P12ihipStream_tbENKUlT_T0_SG_SL_E_clIS9_SA_SB_SB_EEDaSZ_S10_SG_SL_EUlSZ_E_NS1_11comp_targetILNS1_3genE10ELNS1_11target_archE1201ELNS1_3gpuE5ELNS1_3repE0EEENS1_47radix_sort_onesweep_sort_config_static_selectorELNS0_4arch9wavefront6targetE0EEEvSG_
; %bb.0:
	.section	.rodata,"a",@progbits
	.p2align	6, 0x0
	.amdhsa_kernel _ZN7rocprim17ROCPRIM_400000_NS6detail17trampoline_kernelINS0_14default_configENS1_35radix_sort_onesweep_config_selectorIhNS0_10empty_typeEEEZZNS1_29radix_sort_onesweep_iterationIS3_Lb1EPKhPhPS5_SB_mNS0_19identity_decomposerENS1_16block_id_wrapperIjLb0EEEEE10hipError_tT1_PNSt15iterator_traitsISG_E10value_typeET2_T3_PNSH_ISM_E10value_typeET4_T5_PSR_SS_PNS1_23onesweep_lookback_stateEbbT6_jjT7_P12ihipStream_tbENKUlT_T0_SG_SL_E_clIS9_SA_SB_SB_EEDaSZ_S10_SG_SL_EUlSZ_E_NS1_11comp_targetILNS1_3genE10ELNS1_11target_archE1201ELNS1_3gpuE5ELNS1_3repE0EEENS1_47radix_sort_onesweep_sort_config_static_selectorELNS0_4arch9wavefront6targetE0EEEvSG_
		.amdhsa_group_segment_fixed_size 0
		.amdhsa_private_segment_fixed_size 0
		.amdhsa_kernarg_size 88
		.amdhsa_user_sgpr_count 2
		.amdhsa_user_sgpr_dispatch_ptr 0
		.amdhsa_user_sgpr_queue_ptr 0
		.amdhsa_user_sgpr_kernarg_segment_ptr 1
		.amdhsa_user_sgpr_dispatch_id 0
		.amdhsa_user_sgpr_kernarg_preload_length 0
		.amdhsa_user_sgpr_kernarg_preload_offset 0
		.amdhsa_user_sgpr_private_segment_size 0
		.amdhsa_wavefront_size32 1
		.amdhsa_uses_dynamic_stack 0
		.amdhsa_enable_private_segment 0
		.amdhsa_system_sgpr_workgroup_id_x 1
		.amdhsa_system_sgpr_workgroup_id_y 0
		.amdhsa_system_sgpr_workgroup_id_z 0
		.amdhsa_system_sgpr_workgroup_info 0
		.amdhsa_system_vgpr_workitem_id 0
		.amdhsa_next_free_vgpr 1
		.amdhsa_next_free_sgpr 1
		.amdhsa_named_barrier_count 0
		.amdhsa_reserve_vcc 0
		.amdhsa_float_round_mode_32 0
		.amdhsa_float_round_mode_16_64 0
		.amdhsa_float_denorm_mode_32 3
		.amdhsa_float_denorm_mode_16_64 3
		.amdhsa_fp16_overflow 0
		.amdhsa_memory_ordered 1
		.amdhsa_forward_progress 1
		.amdhsa_inst_pref_size 0
		.amdhsa_round_robin_scheduling 0
		.amdhsa_exception_fp_ieee_invalid_op 0
		.amdhsa_exception_fp_denorm_src 0
		.amdhsa_exception_fp_ieee_div_zero 0
		.amdhsa_exception_fp_ieee_overflow 0
		.amdhsa_exception_fp_ieee_underflow 0
		.amdhsa_exception_fp_ieee_inexact 0
		.amdhsa_exception_int_div_zero 0
	.end_amdhsa_kernel
	.section	.text._ZN7rocprim17ROCPRIM_400000_NS6detail17trampoline_kernelINS0_14default_configENS1_35radix_sort_onesweep_config_selectorIhNS0_10empty_typeEEEZZNS1_29radix_sort_onesweep_iterationIS3_Lb1EPKhPhPS5_SB_mNS0_19identity_decomposerENS1_16block_id_wrapperIjLb0EEEEE10hipError_tT1_PNSt15iterator_traitsISG_E10value_typeET2_T3_PNSH_ISM_E10value_typeET4_T5_PSR_SS_PNS1_23onesweep_lookback_stateEbbT6_jjT7_P12ihipStream_tbENKUlT_T0_SG_SL_E_clIS9_SA_SB_SB_EEDaSZ_S10_SG_SL_EUlSZ_E_NS1_11comp_targetILNS1_3genE10ELNS1_11target_archE1201ELNS1_3gpuE5ELNS1_3repE0EEENS1_47radix_sort_onesweep_sort_config_static_selectorELNS0_4arch9wavefront6targetE0EEEvSG_,"axG",@progbits,_ZN7rocprim17ROCPRIM_400000_NS6detail17trampoline_kernelINS0_14default_configENS1_35radix_sort_onesweep_config_selectorIhNS0_10empty_typeEEEZZNS1_29radix_sort_onesweep_iterationIS3_Lb1EPKhPhPS5_SB_mNS0_19identity_decomposerENS1_16block_id_wrapperIjLb0EEEEE10hipError_tT1_PNSt15iterator_traitsISG_E10value_typeET2_T3_PNSH_ISM_E10value_typeET4_T5_PSR_SS_PNS1_23onesweep_lookback_stateEbbT6_jjT7_P12ihipStream_tbENKUlT_T0_SG_SL_E_clIS9_SA_SB_SB_EEDaSZ_S10_SG_SL_EUlSZ_E_NS1_11comp_targetILNS1_3genE10ELNS1_11target_archE1201ELNS1_3gpuE5ELNS1_3repE0EEENS1_47radix_sort_onesweep_sort_config_static_selectorELNS0_4arch9wavefront6targetE0EEEvSG_,comdat
.Lfunc_end132:
	.size	_ZN7rocprim17ROCPRIM_400000_NS6detail17trampoline_kernelINS0_14default_configENS1_35radix_sort_onesweep_config_selectorIhNS0_10empty_typeEEEZZNS1_29radix_sort_onesweep_iterationIS3_Lb1EPKhPhPS5_SB_mNS0_19identity_decomposerENS1_16block_id_wrapperIjLb0EEEEE10hipError_tT1_PNSt15iterator_traitsISG_E10value_typeET2_T3_PNSH_ISM_E10value_typeET4_T5_PSR_SS_PNS1_23onesweep_lookback_stateEbbT6_jjT7_P12ihipStream_tbENKUlT_T0_SG_SL_E_clIS9_SA_SB_SB_EEDaSZ_S10_SG_SL_EUlSZ_E_NS1_11comp_targetILNS1_3genE10ELNS1_11target_archE1201ELNS1_3gpuE5ELNS1_3repE0EEENS1_47radix_sort_onesweep_sort_config_static_selectorELNS0_4arch9wavefront6targetE0EEEvSG_, .Lfunc_end132-_ZN7rocprim17ROCPRIM_400000_NS6detail17trampoline_kernelINS0_14default_configENS1_35radix_sort_onesweep_config_selectorIhNS0_10empty_typeEEEZZNS1_29radix_sort_onesweep_iterationIS3_Lb1EPKhPhPS5_SB_mNS0_19identity_decomposerENS1_16block_id_wrapperIjLb0EEEEE10hipError_tT1_PNSt15iterator_traitsISG_E10value_typeET2_T3_PNSH_ISM_E10value_typeET4_T5_PSR_SS_PNS1_23onesweep_lookback_stateEbbT6_jjT7_P12ihipStream_tbENKUlT_T0_SG_SL_E_clIS9_SA_SB_SB_EEDaSZ_S10_SG_SL_EUlSZ_E_NS1_11comp_targetILNS1_3genE10ELNS1_11target_archE1201ELNS1_3gpuE5ELNS1_3repE0EEENS1_47radix_sort_onesweep_sort_config_static_selectorELNS0_4arch9wavefront6targetE0EEEvSG_
                                        ; -- End function
	.set _ZN7rocprim17ROCPRIM_400000_NS6detail17trampoline_kernelINS0_14default_configENS1_35radix_sort_onesweep_config_selectorIhNS0_10empty_typeEEEZZNS1_29radix_sort_onesweep_iterationIS3_Lb1EPKhPhPS5_SB_mNS0_19identity_decomposerENS1_16block_id_wrapperIjLb0EEEEE10hipError_tT1_PNSt15iterator_traitsISG_E10value_typeET2_T3_PNSH_ISM_E10value_typeET4_T5_PSR_SS_PNS1_23onesweep_lookback_stateEbbT6_jjT7_P12ihipStream_tbENKUlT_T0_SG_SL_E_clIS9_SA_SB_SB_EEDaSZ_S10_SG_SL_EUlSZ_E_NS1_11comp_targetILNS1_3genE10ELNS1_11target_archE1201ELNS1_3gpuE5ELNS1_3repE0EEENS1_47radix_sort_onesweep_sort_config_static_selectorELNS0_4arch9wavefront6targetE0EEEvSG_.num_vgpr, 0
	.set _ZN7rocprim17ROCPRIM_400000_NS6detail17trampoline_kernelINS0_14default_configENS1_35radix_sort_onesweep_config_selectorIhNS0_10empty_typeEEEZZNS1_29radix_sort_onesweep_iterationIS3_Lb1EPKhPhPS5_SB_mNS0_19identity_decomposerENS1_16block_id_wrapperIjLb0EEEEE10hipError_tT1_PNSt15iterator_traitsISG_E10value_typeET2_T3_PNSH_ISM_E10value_typeET4_T5_PSR_SS_PNS1_23onesweep_lookback_stateEbbT6_jjT7_P12ihipStream_tbENKUlT_T0_SG_SL_E_clIS9_SA_SB_SB_EEDaSZ_S10_SG_SL_EUlSZ_E_NS1_11comp_targetILNS1_3genE10ELNS1_11target_archE1201ELNS1_3gpuE5ELNS1_3repE0EEENS1_47radix_sort_onesweep_sort_config_static_selectorELNS0_4arch9wavefront6targetE0EEEvSG_.num_agpr, 0
	.set _ZN7rocprim17ROCPRIM_400000_NS6detail17trampoline_kernelINS0_14default_configENS1_35radix_sort_onesweep_config_selectorIhNS0_10empty_typeEEEZZNS1_29radix_sort_onesweep_iterationIS3_Lb1EPKhPhPS5_SB_mNS0_19identity_decomposerENS1_16block_id_wrapperIjLb0EEEEE10hipError_tT1_PNSt15iterator_traitsISG_E10value_typeET2_T3_PNSH_ISM_E10value_typeET4_T5_PSR_SS_PNS1_23onesweep_lookback_stateEbbT6_jjT7_P12ihipStream_tbENKUlT_T0_SG_SL_E_clIS9_SA_SB_SB_EEDaSZ_S10_SG_SL_EUlSZ_E_NS1_11comp_targetILNS1_3genE10ELNS1_11target_archE1201ELNS1_3gpuE5ELNS1_3repE0EEENS1_47radix_sort_onesweep_sort_config_static_selectorELNS0_4arch9wavefront6targetE0EEEvSG_.numbered_sgpr, 0
	.set _ZN7rocprim17ROCPRIM_400000_NS6detail17trampoline_kernelINS0_14default_configENS1_35radix_sort_onesweep_config_selectorIhNS0_10empty_typeEEEZZNS1_29radix_sort_onesweep_iterationIS3_Lb1EPKhPhPS5_SB_mNS0_19identity_decomposerENS1_16block_id_wrapperIjLb0EEEEE10hipError_tT1_PNSt15iterator_traitsISG_E10value_typeET2_T3_PNSH_ISM_E10value_typeET4_T5_PSR_SS_PNS1_23onesweep_lookback_stateEbbT6_jjT7_P12ihipStream_tbENKUlT_T0_SG_SL_E_clIS9_SA_SB_SB_EEDaSZ_S10_SG_SL_EUlSZ_E_NS1_11comp_targetILNS1_3genE10ELNS1_11target_archE1201ELNS1_3gpuE5ELNS1_3repE0EEENS1_47radix_sort_onesweep_sort_config_static_selectorELNS0_4arch9wavefront6targetE0EEEvSG_.num_named_barrier, 0
	.set _ZN7rocprim17ROCPRIM_400000_NS6detail17trampoline_kernelINS0_14default_configENS1_35radix_sort_onesweep_config_selectorIhNS0_10empty_typeEEEZZNS1_29radix_sort_onesweep_iterationIS3_Lb1EPKhPhPS5_SB_mNS0_19identity_decomposerENS1_16block_id_wrapperIjLb0EEEEE10hipError_tT1_PNSt15iterator_traitsISG_E10value_typeET2_T3_PNSH_ISM_E10value_typeET4_T5_PSR_SS_PNS1_23onesweep_lookback_stateEbbT6_jjT7_P12ihipStream_tbENKUlT_T0_SG_SL_E_clIS9_SA_SB_SB_EEDaSZ_S10_SG_SL_EUlSZ_E_NS1_11comp_targetILNS1_3genE10ELNS1_11target_archE1201ELNS1_3gpuE5ELNS1_3repE0EEENS1_47radix_sort_onesweep_sort_config_static_selectorELNS0_4arch9wavefront6targetE0EEEvSG_.private_seg_size, 0
	.set _ZN7rocprim17ROCPRIM_400000_NS6detail17trampoline_kernelINS0_14default_configENS1_35radix_sort_onesweep_config_selectorIhNS0_10empty_typeEEEZZNS1_29radix_sort_onesweep_iterationIS3_Lb1EPKhPhPS5_SB_mNS0_19identity_decomposerENS1_16block_id_wrapperIjLb0EEEEE10hipError_tT1_PNSt15iterator_traitsISG_E10value_typeET2_T3_PNSH_ISM_E10value_typeET4_T5_PSR_SS_PNS1_23onesweep_lookback_stateEbbT6_jjT7_P12ihipStream_tbENKUlT_T0_SG_SL_E_clIS9_SA_SB_SB_EEDaSZ_S10_SG_SL_EUlSZ_E_NS1_11comp_targetILNS1_3genE10ELNS1_11target_archE1201ELNS1_3gpuE5ELNS1_3repE0EEENS1_47radix_sort_onesweep_sort_config_static_selectorELNS0_4arch9wavefront6targetE0EEEvSG_.uses_vcc, 0
	.set _ZN7rocprim17ROCPRIM_400000_NS6detail17trampoline_kernelINS0_14default_configENS1_35radix_sort_onesweep_config_selectorIhNS0_10empty_typeEEEZZNS1_29radix_sort_onesweep_iterationIS3_Lb1EPKhPhPS5_SB_mNS0_19identity_decomposerENS1_16block_id_wrapperIjLb0EEEEE10hipError_tT1_PNSt15iterator_traitsISG_E10value_typeET2_T3_PNSH_ISM_E10value_typeET4_T5_PSR_SS_PNS1_23onesweep_lookback_stateEbbT6_jjT7_P12ihipStream_tbENKUlT_T0_SG_SL_E_clIS9_SA_SB_SB_EEDaSZ_S10_SG_SL_EUlSZ_E_NS1_11comp_targetILNS1_3genE10ELNS1_11target_archE1201ELNS1_3gpuE5ELNS1_3repE0EEENS1_47radix_sort_onesweep_sort_config_static_selectorELNS0_4arch9wavefront6targetE0EEEvSG_.uses_flat_scratch, 0
	.set _ZN7rocprim17ROCPRIM_400000_NS6detail17trampoline_kernelINS0_14default_configENS1_35radix_sort_onesweep_config_selectorIhNS0_10empty_typeEEEZZNS1_29radix_sort_onesweep_iterationIS3_Lb1EPKhPhPS5_SB_mNS0_19identity_decomposerENS1_16block_id_wrapperIjLb0EEEEE10hipError_tT1_PNSt15iterator_traitsISG_E10value_typeET2_T3_PNSH_ISM_E10value_typeET4_T5_PSR_SS_PNS1_23onesweep_lookback_stateEbbT6_jjT7_P12ihipStream_tbENKUlT_T0_SG_SL_E_clIS9_SA_SB_SB_EEDaSZ_S10_SG_SL_EUlSZ_E_NS1_11comp_targetILNS1_3genE10ELNS1_11target_archE1201ELNS1_3gpuE5ELNS1_3repE0EEENS1_47radix_sort_onesweep_sort_config_static_selectorELNS0_4arch9wavefront6targetE0EEEvSG_.has_dyn_sized_stack, 0
	.set _ZN7rocprim17ROCPRIM_400000_NS6detail17trampoline_kernelINS0_14default_configENS1_35radix_sort_onesweep_config_selectorIhNS0_10empty_typeEEEZZNS1_29radix_sort_onesweep_iterationIS3_Lb1EPKhPhPS5_SB_mNS0_19identity_decomposerENS1_16block_id_wrapperIjLb0EEEEE10hipError_tT1_PNSt15iterator_traitsISG_E10value_typeET2_T3_PNSH_ISM_E10value_typeET4_T5_PSR_SS_PNS1_23onesweep_lookback_stateEbbT6_jjT7_P12ihipStream_tbENKUlT_T0_SG_SL_E_clIS9_SA_SB_SB_EEDaSZ_S10_SG_SL_EUlSZ_E_NS1_11comp_targetILNS1_3genE10ELNS1_11target_archE1201ELNS1_3gpuE5ELNS1_3repE0EEENS1_47radix_sort_onesweep_sort_config_static_selectorELNS0_4arch9wavefront6targetE0EEEvSG_.has_recursion, 0
	.set _ZN7rocprim17ROCPRIM_400000_NS6detail17trampoline_kernelINS0_14default_configENS1_35radix_sort_onesweep_config_selectorIhNS0_10empty_typeEEEZZNS1_29radix_sort_onesweep_iterationIS3_Lb1EPKhPhPS5_SB_mNS0_19identity_decomposerENS1_16block_id_wrapperIjLb0EEEEE10hipError_tT1_PNSt15iterator_traitsISG_E10value_typeET2_T3_PNSH_ISM_E10value_typeET4_T5_PSR_SS_PNS1_23onesweep_lookback_stateEbbT6_jjT7_P12ihipStream_tbENKUlT_T0_SG_SL_E_clIS9_SA_SB_SB_EEDaSZ_S10_SG_SL_EUlSZ_E_NS1_11comp_targetILNS1_3genE10ELNS1_11target_archE1201ELNS1_3gpuE5ELNS1_3repE0EEENS1_47radix_sort_onesweep_sort_config_static_selectorELNS0_4arch9wavefront6targetE0EEEvSG_.has_indirect_call, 0
	.section	.AMDGPU.csdata,"",@progbits
; Kernel info:
; codeLenInByte = 0
; TotalNumSgprs: 0
; NumVgprs: 0
; ScratchSize: 0
; MemoryBound: 0
; FloatMode: 240
; IeeeMode: 1
; LDSByteSize: 0 bytes/workgroup (compile time only)
; SGPRBlocks: 0
; VGPRBlocks: 0
; NumSGPRsForWavesPerEU: 1
; NumVGPRsForWavesPerEU: 1
; NamedBarCnt: 0
; Occupancy: 16
; WaveLimiterHint : 0
; COMPUTE_PGM_RSRC2:SCRATCH_EN: 0
; COMPUTE_PGM_RSRC2:USER_SGPR: 2
; COMPUTE_PGM_RSRC2:TRAP_HANDLER: 0
; COMPUTE_PGM_RSRC2:TGID_X_EN: 1
; COMPUTE_PGM_RSRC2:TGID_Y_EN: 0
; COMPUTE_PGM_RSRC2:TGID_Z_EN: 0
; COMPUTE_PGM_RSRC2:TIDIG_COMP_CNT: 0
	.section	.text._ZN7rocprim17ROCPRIM_400000_NS6detail17trampoline_kernelINS0_14default_configENS1_35radix_sort_onesweep_config_selectorIhNS0_10empty_typeEEEZZNS1_29radix_sort_onesweep_iterationIS3_Lb1EPKhPhPS5_SB_mNS0_19identity_decomposerENS1_16block_id_wrapperIjLb0EEEEE10hipError_tT1_PNSt15iterator_traitsISG_E10value_typeET2_T3_PNSH_ISM_E10value_typeET4_T5_PSR_SS_PNS1_23onesweep_lookback_stateEbbT6_jjT7_P12ihipStream_tbENKUlT_T0_SG_SL_E_clIS9_SA_SB_SB_EEDaSZ_S10_SG_SL_EUlSZ_E_NS1_11comp_targetILNS1_3genE9ELNS1_11target_archE1100ELNS1_3gpuE3ELNS1_3repE0EEENS1_47radix_sort_onesweep_sort_config_static_selectorELNS0_4arch9wavefront6targetE0EEEvSG_,"axG",@progbits,_ZN7rocprim17ROCPRIM_400000_NS6detail17trampoline_kernelINS0_14default_configENS1_35radix_sort_onesweep_config_selectorIhNS0_10empty_typeEEEZZNS1_29radix_sort_onesweep_iterationIS3_Lb1EPKhPhPS5_SB_mNS0_19identity_decomposerENS1_16block_id_wrapperIjLb0EEEEE10hipError_tT1_PNSt15iterator_traitsISG_E10value_typeET2_T3_PNSH_ISM_E10value_typeET4_T5_PSR_SS_PNS1_23onesweep_lookback_stateEbbT6_jjT7_P12ihipStream_tbENKUlT_T0_SG_SL_E_clIS9_SA_SB_SB_EEDaSZ_S10_SG_SL_EUlSZ_E_NS1_11comp_targetILNS1_3genE9ELNS1_11target_archE1100ELNS1_3gpuE3ELNS1_3repE0EEENS1_47radix_sort_onesweep_sort_config_static_selectorELNS0_4arch9wavefront6targetE0EEEvSG_,comdat
	.protected	_ZN7rocprim17ROCPRIM_400000_NS6detail17trampoline_kernelINS0_14default_configENS1_35radix_sort_onesweep_config_selectorIhNS0_10empty_typeEEEZZNS1_29radix_sort_onesweep_iterationIS3_Lb1EPKhPhPS5_SB_mNS0_19identity_decomposerENS1_16block_id_wrapperIjLb0EEEEE10hipError_tT1_PNSt15iterator_traitsISG_E10value_typeET2_T3_PNSH_ISM_E10value_typeET4_T5_PSR_SS_PNS1_23onesweep_lookback_stateEbbT6_jjT7_P12ihipStream_tbENKUlT_T0_SG_SL_E_clIS9_SA_SB_SB_EEDaSZ_S10_SG_SL_EUlSZ_E_NS1_11comp_targetILNS1_3genE9ELNS1_11target_archE1100ELNS1_3gpuE3ELNS1_3repE0EEENS1_47radix_sort_onesweep_sort_config_static_selectorELNS0_4arch9wavefront6targetE0EEEvSG_ ; -- Begin function _ZN7rocprim17ROCPRIM_400000_NS6detail17trampoline_kernelINS0_14default_configENS1_35radix_sort_onesweep_config_selectorIhNS0_10empty_typeEEEZZNS1_29radix_sort_onesweep_iterationIS3_Lb1EPKhPhPS5_SB_mNS0_19identity_decomposerENS1_16block_id_wrapperIjLb0EEEEE10hipError_tT1_PNSt15iterator_traitsISG_E10value_typeET2_T3_PNSH_ISM_E10value_typeET4_T5_PSR_SS_PNS1_23onesweep_lookback_stateEbbT6_jjT7_P12ihipStream_tbENKUlT_T0_SG_SL_E_clIS9_SA_SB_SB_EEDaSZ_S10_SG_SL_EUlSZ_E_NS1_11comp_targetILNS1_3genE9ELNS1_11target_archE1100ELNS1_3gpuE3ELNS1_3repE0EEENS1_47radix_sort_onesweep_sort_config_static_selectorELNS0_4arch9wavefront6targetE0EEEvSG_
	.globl	_ZN7rocprim17ROCPRIM_400000_NS6detail17trampoline_kernelINS0_14default_configENS1_35radix_sort_onesweep_config_selectorIhNS0_10empty_typeEEEZZNS1_29radix_sort_onesweep_iterationIS3_Lb1EPKhPhPS5_SB_mNS0_19identity_decomposerENS1_16block_id_wrapperIjLb0EEEEE10hipError_tT1_PNSt15iterator_traitsISG_E10value_typeET2_T3_PNSH_ISM_E10value_typeET4_T5_PSR_SS_PNS1_23onesweep_lookback_stateEbbT6_jjT7_P12ihipStream_tbENKUlT_T0_SG_SL_E_clIS9_SA_SB_SB_EEDaSZ_S10_SG_SL_EUlSZ_E_NS1_11comp_targetILNS1_3genE9ELNS1_11target_archE1100ELNS1_3gpuE3ELNS1_3repE0EEENS1_47radix_sort_onesweep_sort_config_static_selectorELNS0_4arch9wavefront6targetE0EEEvSG_
	.p2align	8
	.type	_ZN7rocprim17ROCPRIM_400000_NS6detail17trampoline_kernelINS0_14default_configENS1_35radix_sort_onesweep_config_selectorIhNS0_10empty_typeEEEZZNS1_29radix_sort_onesweep_iterationIS3_Lb1EPKhPhPS5_SB_mNS0_19identity_decomposerENS1_16block_id_wrapperIjLb0EEEEE10hipError_tT1_PNSt15iterator_traitsISG_E10value_typeET2_T3_PNSH_ISM_E10value_typeET4_T5_PSR_SS_PNS1_23onesweep_lookback_stateEbbT6_jjT7_P12ihipStream_tbENKUlT_T0_SG_SL_E_clIS9_SA_SB_SB_EEDaSZ_S10_SG_SL_EUlSZ_E_NS1_11comp_targetILNS1_3genE9ELNS1_11target_archE1100ELNS1_3gpuE3ELNS1_3repE0EEENS1_47radix_sort_onesweep_sort_config_static_selectorELNS0_4arch9wavefront6targetE0EEEvSG_,@function
_ZN7rocprim17ROCPRIM_400000_NS6detail17trampoline_kernelINS0_14default_configENS1_35radix_sort_onesweep_config_selectorIhNS0_10empty_typeEEEZZNS1_29radix_sort_onesweep_iterationIS3_Lb1EPKhPhPS5_SB_mNS0_19identity_decomposerENS1_16block_id_wrapperIjLb0EEEEE10hipError_tT1_PNSt15iterator_traitsISG_E10value_typeET2_T3_PNSH_ISM_E10value_typeET4_T5_PSR_SS_PNS1_23onesweep_lookback_stateEbbT6_jjT7_P12ihipStream_tbENKUlT_T0_SG_SL_E_clIS9_SA_SB_SB_EEDaSZ_S10_SG_SL_EUlSZ_E_NS1_11comp_targetILNS1_3genE9ELNS1_11target_archE1100ELNS1_3gpuE3ELNS1_3repE0EEENS1_47radix_sort_onesweep_sort_config_static_selectorELNS0_4arch9wavefront6targetE0EEEvSG_: ; @_ZN7rocprim17ROCPRIM_400000_NS6detail17trampoline_kernelINS0_14default_configENS1_35radix_sort_onesweep_config_selectorIhNS0_10empty_typeEEEZZNS1_29radix_sort_onesweep_iterationIS3_Lb1EPKhPhPS5_SB_mNS0_19identity_decomposerENS1_16block_id_wrapperIjLb0EEEEE10hipError_tT1_PNSt15iterator_traitsISG_E10value_typeET2_T3_PNSH_ISM_E10value_typeET4_T5_PSR_SS_PNS1_23onesweep_lookback_stateEbbT6_jjT7_P12ihipStream_tbENKUlT_T0_SG_SL_E_clIS9_SA_SB_SB_EEDaSZ_S10_SG_SL_EUlSZ_E_NS1_11comp_targetILNS1_3genE9ELNS1_11target_archE1100ELNS1_3gpuE3ELNS1_3repE0EEENS1_47radix_sort_onesweep_sort_config_static_selectorELNS0_4arch9wavefront6targetE0EEEvSG_
; %bb.0:
	.section	.rodata,"a",@progbits
	.p2align	6, 0x0
	.amdhsa_kernel _ZN7rocprim17ROCPRIM_400000_NS6detail17trampoline_kernelINS0_14default_configENS1_35radix_sort_onesweep_config_selectorIhNS0_10empty_typeEEEZZNS1_29radix_sort_onesweep_iterationIS3_Lb1EPKhPhPS5_SB_mNS0_19identity_decomposerENS1_16block_id_wrapperIjLb0EEEEE10hipError_tT1_PNSt15iterator_traitsISG_E10value_typeET2_T3_PNSH_ISM_E10value_typeET4_T5_PSR_SS_PNS1_23onesweep_lookback_stateEbbT6_jjT7_P12ihipStream_tbENKUlT_T0_SG_SL_E_clIS9_SA_SB_SB_EEDaSZ_S10_SG_SL_EUlSZ_E_NS1_11comp_targetILNS1_3genE9ELNS1_11target_archE1100ELNS1_3gpuE3ELNS1_3repE0EEENS1_47radix_sort_onesweep_sort_config_static_selectorELNS0_4arch9wavefront6targetE0EEEvSG_
		.amdhsa_group_segment_fixed_size 0
		.amdhsa_private_segment_fixed_size 0
		.amdhsa_kernarg_size 88
		.amdhsa_user_sgpr_count 2
		.amdhsa_user_sgpr_dispatch_ptr 0
		.amdhsa_user_sgpr_queue_ptr 0
		.amdhsa_user_sgpr_kernarg_segment_ptr 1
		.amdhsa_user_sgpr_dispatch_id 0
		.amdhsa_user_sgpr_kernarg_preload_length 0
		.amdhsa_user_sgpr_kernarg_preload_offset 0
		.amdhsa_user_sgpr_private_segment_size 0
		.amdhsa_wavefront_size32 1
		.amdhsa_uses_dynamic_stack 0
		.amdhsa_enable_private_segment 0
		.amdhsa_system_sgpr_workgroup_id_x 1
		.amdhsa_system_sgpr_workgroup_id_y 0
		.amdhsa_system_sgpr_workgroup_id_z 0
		.amdhsa_system_sgpr_workgroup_info 0
		.amdhsa_system_vgpr_workitem_id 0
		.amdhsa_next_free_vgpr 1
		.amdhsa_next_free_sgpr 1
		.amdhsa_named_barrier_count 0
		.amdhsa_reserve_vcc 0
		.amdhsa_float_round_mode_32 0
		.amdhsa_float_round_mode_16_64 0
		.amdhsa_float_denorm_mode_32 3
		.amdhsa_float_denorm_mode_16_64 3
		.amdhsa_fp16_overflow 0
		.amdhsa_memory_ordered 1
		.amdhsa_forward_progress 1
		.amdhsa_inst_pref_size 0
		.amdhsa_round_robin_scheduling 0
		.amdhsa_exception_fp_ieee_invalid_op 0
		.amdhsa_exception_fp_denorm_src 0
		.amdhsa_exception_fp_ieee_div_zero 0
		.amdhsa_exception_fp_ieee_overflow 0
		.amdhsa_exception_fp_ieee_underflow 0
		.amdhsa_exception_fp_ieee_inexact 0
		.amdhsa_exception_int_div_zero 0
	.end_amdhsa_kernel
	.section	.text._ZN7rocprim17ROCPRIM_400000_NS6detail17trampoline_kernelINS0_14default_configENS1_35radix_sort_onesweep_config_selectorIhNS0_10empty_typeEEEZZNS1_29radix_sort_onesweep_iterationIS3_Lb1EPKhPhPS5_SB_mNS0_19identity_decomposerENS1_16block_id_wrapperIjLb0EEEEE10hipError_tT1_PNSt15iterator_traitsISG_E10value_typeET2_T3_PNSH_ISM_E10value_typeET4_T5_PSR_SS_PNS1_23onesweep_lookback_stateEbbT6_jjT7_P12ihipStream_tbENKUlT_T0_SG_SL_E_clIS9_SA_SB_SB_EEDaSZ_S10_SG_SL_EUlSZ_E_NS1_11comp_targetILNS1_3genE9ELNS1_11target_archE1100ELNS1_3gpuE3ELNS1_3repE0EEENS1_47radix_sort_onesweep_sort_config_static_selectorELNS0_4arch9wavefront6targetE0EEEvSG_,"axG",@progbits,_ZN7rocprim17ROCPRIM_400000_NS6detail17trampoline_kernelINS0_14default_configENS1_35radix_sort_onesweep_config_selectorIhNS0_10empty_typeEEEZZNS1_29radix_sort_onesweep_iterationIS3_Lb1EPKhPhPS5_SB_mNS0_19identity_decomposerENS1_16block_id_wrapperIjLb0EEEEE10hipError_tT1_PNSt15iterator_traitsISG_E10value_typeET2_T3_PNSH_ISM_E10value_typeET4_T5_PSR_SS_PNS1_23onesweep_lookback_stateEbbT6_jjT7_P12ihipStream_tbENKUlT_T0_SG_SL_E_clIS9_SA_SB_SB_EEDaSZ_S10_SG_SL_EUlSZ_E_NS1_11comp_targetILNS1_3genE9ELNS1_11target_archE1100ELNS1_3gpuE3ELNS1_3repE0EEENS1_47radix_sort_onesweep_sort_config_static_selectorELNS0_4arch9wavefront6targetE0EEEvSG_,comdat
.Lfunc_end133:
	.size	_ZN7rocprim17ROCPRIM_400000_NS6detail17trampoline_kernelINS0_14default_configENS1_35radix_sort_onesweep_config_selectorIhNS0_10empty_typeEEEZZNS1_29radix_sort_onesweep_iterationIS3_Lb1EPKhPhPS5_SB_mNS0_19identity_decomposerENS1_16block_id_wrapperIjLb0EEEEE10hipError_tT1_PNSt15iterator_traitsISG_E10value_typeET2_T3_PNSH_ISM_E10value_typeET4_T5_PSR_SS_PNS1_23onesweep_lookback_stateEbbT6_jjT7_P12ihipStream_tbENKUlT_T0_SG_SL_E_clIS9_SA_SB_SB_EEDaSZ_S10_SG_SL_EUlSZ_E_NS1_11comp_targetILNS1_3genE9ELNS1_11target_archE1100ELNS1_3gpuE3ELNS1_3repE0EEENS1_47radix_sort_onesweep_sort_config_static_selectorELNS0_4arch9wavefront6targetE0EEEvSG_, .Lfunc_end133-_ZN7rocprim17ROCPRIM_400000_NS6detail17trampoline_kernelINS0_14default_configENS1_35radix_sort_onesweep_config_selectorIhNS0_10empty_typeEEEZZNS1_29radix_sort_onesweep_iterationIS3_Lb1EPKhPhPS5_SB_mNS0_19identity_decomposerENS1_16block_id_wrapperIjLb0EEEEE10hipError_tT1_PNSt15iterator_traitsISG_E10value_typeET2_T3_PNSH_ISM_E10value_typeET4_T5_PSR_SS_PNS1_23onesweep_lookback_stateEbbT6_jjT7_P12ihipStream_tbENKUlT_T0_SG_SL_E_clIS9_SA_SB_SB_EEDaSZ_S10_SG_SL_EUlSZ_E_NS1_11comp_targetILNS1_3genE9ELNS1_11target_archE1100ELNS1_3gpuE3ELNS1_3repE0EEENS1_47radix_sort_onesweep_sort_config_static_selectorELNS0_4arch9wavefront6targetE0EEEvSG_
                                        ; -- End function
	.set _ZN7rocprim17ROCPRIM_400000_NS6detail17trampoline_kernelINS0_14default_configENS1_35radix_sort_onesweep_config_selectorIhNS0_10empty_typeEEEZZNS1_29radix_sort_onesweep_iterationIS3_Lb1EPKhPhPS5_SB_mNS0_19identity_decomposerENS1_16block_id_wrapperIjLb0EEEEE10hipError_tT1_PNSt15iterator_traitsISG_E10value_typeET2_T3_PNSH_ISM_E10value_typeET4_T5_PSR_SS_PNS1_23onesweep_lookback_stateEbbT6_jjT7_P12ihipStream_tbENKUlT_T0_SG_SL_E_clIS9_SA_SB_SB_EEDaSZ_S10_SG_SL_EUlSZ_E_NS1_11comp_targetILNS1_3genE9ELNS1_11target_archE1100ELNS1_3gpuE3ELNS1_3repE0EEENS1_47radix_sort_onesweep_sort_config_static_selectorELNS0_4arch9wavefront6targetE0EEEvSG_.num_vgpr, 0
	.set _ZN7rocprim17ROCPRIM_400000_NS6detail17trampoline_kernelINS0_14default_configENS1_35radix_sort_onesweep_config_selectorIhNS0_10empty_typeEEEZZNS1_29radix_sort_onesweep_iterationIS3_Lb1EPKhPhPS5_SB_mNS0_19identity_decomposerENS1_16block_id_wrapperIjLb0EEEEE10hipError_tT1_PNSt15iterator_traitsISG_E10value_typeET2_T3_PNSH_ISM_E10value_typeET4_T5_PSR_SS_PNS1_23onesweep_lookback_stateEbbT6_jjT7_P12ihipStream_tbENKUlT_T0_SG_SL_E_clIS9_SA_SB_SB_EEDaSZ_S10_SG_SL_EUlSZ_E_NS1_11comp_targetILNS1_3genE9ELNS1_11target_archE1100ELNS1_3gpuE3ELNS1_3repE0EEENS1_47radix_sort_onesweep_sort_config_static_selectorELNS0_4arch9wavefront6targetE0EEEvSG_.num_agpr, 0
	.set _ZN7rocprim17ROCPRIM_400000_NS6detail17trampoline_kernelINS0_14default_configENS1_35radix_sort_onesweep_config_selectorIhNS0_10empty_typeEEEZZNS1_29radix_sort_onesweep_iterationIS3_Lb1EPKhPhPS5_SB_mNS0_19identity_decomposerENS1_16block_id_wrapperIjLb0EEEEE10hipError_tT1_PNSt15iterator_traitsISG_E10value_typeET2_T3_PNSH_ISM_E10value_typeET4_T5_PSR_SS_PNS1_23onesweep_lookback_stateEbbT6_jjT7_P12ihipStream_tbENKUlT_T0_SG_SL_E_clIS9_SA_SB_SB_EEDaSZ_S10_SG_SL_EUlSZ_E_NS1_11comp_targetILNS1_3genE9ELNS1_11target_archE1100ELNS1_3gpuE3ELNS1_3repE0EEENS1_47radix_sort_onesweep_sort_config_static_selectorELNS0_4arch9wavefront6targetE0EEEvSG_.numbered_sgpr, 0
	.set _ZN7rocprim17ROCPRIM_400000_NS6detail17trampoline_kernelINS0_14default_configENS1_35radix_sort_onesweep_config_selectorIhNS0_10empty_typeEEEZZNS1_29radix_sort_onesweep_iterationIS3_Lb1EPKhPhPS5_SB_mNS0_19identity_decomposerENS1_16block_id_wrapperIjLb0EEEEE10hipError_tT1_PNSt15iterator_traitsISG_E10value_typeET2_T3_PNSH_ISM_E10value_typeET4_T5_PSR_SS_PNS1_23onesweep_lookback_stateEbbT6_jjT7_P12ihipStream_tbENKUlT_T0_SG_SL_E_clIS9_SA_SB_SB_EEDaSZ_S10_SG_SL_EUlSZ_E_NS1_11comp_targetILNS1_3genE9ELNS1_11target_archE1100ELNS1_3gpuE3ELNS1_3repE0EEENS1_47radix_sort_onesweep_sort_config_static_selectorELNS0_4arch9wavefront6targetE0EEEvSG_.num_named_barrier, 0
	.set _ZN7rocprim17ROCPRIM_400000_NS6detail17trampoline_kernelINS0_14default_configENS1_35radix_sort_onesweep_config_selectorIhNS0_10empty_typeEEEZZNS1_29radix_sort_onesweep_iterationIS3_Lb1EPKhPhPS5_SB_mNS0_19identity_decomposerENS1_16block_id_wrapperIjLb0EEEEE10hipError_tT1_PNSt15iterator_traitsISG_E10value_typeET2_T3_PNSH_ISM_E10value_typeET4_T5_PSR_SS_PNS1_23onesweep_lookback_stateEbbT6_jjT7_P12ihipStream_tbENKUlT_T0_SG_SL_E_clIS9_SA_SB_SB_EEDaSZ_S10_SG_SL_EUlSZ_E_NS1_11comp_targetILNS1_3genE9ELNS1_11target_archE1100ELNS1_3gpuE3ELNS1_3repE0EEENS1_47radix_sort_onesweep_sort_config_static_selectorELNS0_4arch9wavefront6targetE0EEEvSG_.private_seg_size, 0
	.set _ZN7rocprim17ROCPRIM_400000_NS6detail17trampoline_kernelINS0_14default_configENS1_35radix_sort_onesweep_config_selectorIhNS0_10empty_typeEEEZZNS1_29radix_sort_onesweep_iterationIS3_Lb1EPKhPhPS5_SB_mNS0_19identity_decomposerENS1_16block_id_wrapperIjLb0EEEEE10hipError_tT1_PNSt15iterator_traitsISG_E10value_typeET2_T3_PNSH_ISM_E10value_typeET4_T5_PSR_SS_PNS1_23onesweep_lookback_stateEbbT6_jjT7_P12ihipStream_tbENKUlT_T0_SG_SL_E_clIS9_SA_SB_SB_EEDaSZ_S10_SG_SL_EUlSZ_E_NS1_11comp_targetILNS1_3genE9ELNS1_11target_archE1100ELNS1_3gpuE3ELNS1_3repE0EEENS1_47radix_sort_onesweep_sort_config_static_selectorELNS0_4arch9wavefront6targetE0EEEvSG_.uses_vcc, 0
	.set _ZN7rocprim17ROCPRIM_400000_NS6detail17trampoline_kernelINS0_14default_configENS1_35radix_sort_onesweep_config_selectorIhNS0_10empty_typeEEEZZNS1_29radix_sort_onesweep_iterationIS3_Lb1EPKhPhPS5_SB_mNS0_19identity_decomposerENS1_16block_id_wrapperIjLb0EEEEE10hipError_tT1_PNSt15iterator_traitsISG_E10value_typeET2_T3_PNSH_ISM_E10value_typeET4_T5_PSR_SS_PNS1_23onesweep_lookback_stateEbbT6_jjT7_P12ihipStream_tbENKUlT_T0_SG_SL_E_clIS9_SA_SB_SB_EEDaSZ_S10_SG_SL_EUlSZ_E_NS1_11comp_targetILNS1_3genE9ELNS1_11target_archE1100ELNS1_3gpuE3ELNS1_3repE0EEENS1_47radix_sort_onesweep_sort_config_static_selectorELNS0_4arch9wavefront6targetE0EEEvSG_.uses_flat_scratch, 0
	.set _ZN7rocprim17ROCPRIM_400000_NS6detail17trampoline_kernelINS0_14default_configENS1_35radix_sort_onesweep_config_selectorIhNS0_10empty_typeEEEZZNS1_29radix_sort_onesweep_iterationIS3_Lb1EPKhPhPS5_SB_mNS0_19identity_decomposerENS1_16block_id_wrapperIjLb0EEEEE10hipError_tT1_PNSt15iterator_traitsISG_E10value_typeET2_T3_PNSH_ISM_E10value_typeET4_T5_PSR_SS_PNS1_23onesweep_lookback_stateEbbT6_jjT7_P12ihipStream_tbENKUlT_T0_SG_SL_E_clIS9_SA_SB_SB_EEDaSZ_S10_SG_SL_EUlSZ_E_NS1_11comp_targetILNS1_3genE9ELNS1_11target_archE1100ELNS1_3gpuE3ELNS1_3repE0EEENS1_47radix_sort_onesweep_sort_config_static_selectorELNS0_4arch9wavefront6targetE0EEEvSG_.has_dyn_sized_stack, 0
	.set _ZN7rocprim17ROCPRIM_400000_NS6detail17trampoline_kernelINS0_14default_configENS1_35radix_sort_onesweep_config_selectorIhNS0_10empty_typeEEEZZNS1_29radix_sort_onesweep_iterationIS3_Lb1EPKhPhPS5_SB_mNS0_19identity_decomposerENS1_16block_id_wrapperIjLb0EEEEE10hipError_tT1_PNSt15iterator_traitsISG_E10value_typeET2_T3_PNSH_ISM_E10value_typeET4_T5_PSR_SS_PNS1_23onesweep_lookback_stateEbbT6_jjT7_P12ihipStream_tbENKUlT_T0_SG_SL_E_clIS9_SA_SB_SB_EEDaSZ_S10_SG_SL_EUlSZ_E_NS1_11comp_targetILNS1_3genE9ELNS1_11target_archE1100ELNS1_3gpuE3ELNS1_3repE0EEENS1_47radix_sort_onesweep_sort_config_static_selectorELNS0_4arch9wavefront6targetE0EEEvSG_.has_recursion, 0
	.set _ZN7rocprim17ROCPRIM_400000_NS6detail17trampoline_kernelINS0_14default_configENS1_35radix_sort_onesweep_config_selectorIhNS0_10empty_typeEEEZZNS1_29radix_sort_onesweep_iterationIS3_Lb1EPKhPhPS5_SB_mNS0_19identity_decomposerENS1_16block_id_wrapperIjLb0EEEEE10hipError_tT1_PNSt15iterator_traitsISG_E10value_typeET2_T3_PNSH_ISM_E10value_typeET4_T5_PSR_SS_PNS1_23onesweep_lookback_stateEbbT6_jjT7_P12ihipStream_tbENKUlT_T0_SG_SL_E_clIS9_SA_SB_SB_EEDaSZ_S10_SG_SL_EUlSZ_E_NS1_11comp_targetILNS1_3genE9ELNS1_11target_archE1100ELNS1_3gpuE3ELNS1_3repE0EEENS1_47radix_sort_onesweep_sort_config_static_selectorELNS0_4arch9wavefront6targetE0EEEvSG_.has_indirect_call, 0
	.section	.AMDGPU.csdata,"",@progbits
; Kernel info:
; codeLenInByte = 0
; TotalNumSgprs: 0
; NumVgprs: 0
; ScratchSize: 0
; MemoryBound: 0
; FloatMode: 240
; IeeeMode: 1
; LDSByteSize: 0 bytes/workgroup (compile time only)
; SGPRBlocks: 0
; VGPRBlocks: 0
; NumSGPRsForWavesPerEU: 1
; NumVGPRsForWavesPerEU: 1
; NamedBarCnt: 0
; Occupancy: 16
; WaveLimiterHint : 0
; COMPUTE_PGM_RSRC2:SCRATCH_EN: 0
; COMPUTE_PGM_RSRC2:USER_SGPR: 2
; COMPUTE_PGM_RSRC2:TRAP_HANDLER: 0
; COMPUTE_PGM_RSRC2:TGID_X_EN: 1
; COMPUTE_PGM_RSRC2:TGID_Y_EN: 0
; COMPUTE_PGM_RSRC2:TGID_Z_EN: 0
; COMPUTE_PGM_RSRC2:TIDIG_COMP_CNT: 0
	.section	.text._ZN7rocprim17ROCPRIM_400000_NS6detail17trampoline_kernelINS0_14default_configENS1_35radix_sort_onesweep_config_selectorIhNS0_10empty_typeEEEZZNS1_29radix_sort_onesweep_iterationIS3_Lb1EPKhPhPS5_SB_mNS0_19identity_decomposerENS1_16block_id_wrapperIjLb0EEEEE10hipError_tT1_PNSt15iterator_traitsISG_E10value_typeET2_T3_PNSH_ISM_E10value_typeET4_T5_PSR_SS_PNS1_23onesweep_lookback_stateEbbT6_jjT7_P12ihipStream_tbENKUlT_T0_SG_SL_E_clIS9_SA_SB_SB_EEDaSZ_S10_SG_SL_EUlSZ_E_NS1_11comp_targetILNS1_3genE8ELNS1_11target_archE1030ELNS1_3gpuE2ELNS1_3repE0EEENS1_47radix_sort_onesweep_sort_config_static_selectorELNS0_4arch9wavefront6targetE0EEEvSG_,"axG",@progbits,_ZN7rocprim17ROCPRIM_400000_NS6detail17trampoline_kernelINS0_14default_configENS1_35radix_sort_onesweep_config_selectorIhNS0_10empty_typeEEEZZNS1_29radix_sort_onesweep_iterationIS3_Lb1EPKhPhPS5_SB_mNS0_19identity_decomposerENS1_16block_id_wrapperIjLb0EEEEE10hipError_tT1_PNSt15iterator_traitsISG_E10value_typeET2_T3_PNSH_ISM_E10value_typeET4_T5_PSR_SS_PNS1_23onesweep_lookback_stateEbbT6_jjT7_P12ihipStream_tbENKUlT_T0_SG_SL_E_clIS9_SA_SB_SB_EEDaSZ_S10_SG_SL_EUlSZ_E_NS1_11comp_targetILNS1_3genE8ELNS1_11target_archE1030ELNS1_3gpuE2ELNS1_3repE0EEENS1_47radix_sort_onesweep_sort_config_static_selectorELNS0_4arch9wavefront6targetE0EEEvSG_,comdat
	.protected	_ZN7rocprim17ROCPRIM_400000_NS6detail17trampoline_kernelINS0_14default_configENS1_35radix_sort_onesweep_config_selectorIhNS0_10empty_typeEEEZZNS1_29radix_sort_onesweep_iterationIS3_Lb1EPKhPhPS5_SB_mNS0_19identity_decomposerENS1_16block_id_wrapperIjLb0EEEEE10hipError_tT1_PNSt15iterator_traitsISG_E10value_typeET2_T3_PNSH_ISM_E10value_typeET4_T5_PSR_SS_PNS1_23onesweep_lookback_stateEbbT6_jjT7_P12ihipStream_tbENKUlT_T0_SG_SL_E_clIS9_SA_SB_SB_EEDaSZ_S10_SG_SL_EUlSZ_E_NS1_11comp_targetILNS1_3genE8ELNS1_11target_archE1030ELNS1_3gpuE2ELNS1_3repE0EEENS1_47radix_sort_onesweep_sort_config_static_selectorELNS0_4arch9wavefront6targetE0EEEvSG_ ; -- Begin function _ZN7rocprim17ROCPRIM_400000_NS6detail17trampoline_kernelINS0_14default_configENS1_35radix_sort_onesweep_config_selectorIhNS0_10empty_typeEEEZZNS1_29radix_sort_onesweep_iterationIS3_Lb1EPKhPhPS5_SB_mNS0_19identity_decomposerENS1_16block_id_wrapperIjLb0EEEEE10hipError_tT1_PNSt15iterator_traitsISG_E10value_typeET2_T3_PNSH_ISM_E10value_typeET4_T5_PSR_SS_PNS1_23onesweep_lookback_stateEbbT6_jjT7_P12ihipStream_tbENKUlT_T0_SG_SL_E_clIS9_SA_SB_SB_EEDaSZ_S10_SG_SL_EUlSZ_E_NS1_11comp_targetILNS1_3genE8ELNS1_11target_archE1030ELNS1_3gpuE2ELNS1_3repE0EEENS1_47radix_sort_onesweep_sort_config_static_selectorELNS0_4arch9wavefront6targetE0EEEvSG_
	.globl	_ZN7rocprim17ROCPRIM_400000_NS6detail17trampoline_kernelINS0_14default_configENS1_35radix_sort_onesweep_config_selectorIhNS0_10empty_typeEEEZZNS1_29radix_sort_onesweep_iterationIS3_Lb1EPKhPhPS5_SB_mNS0_19identity_decomposerENS1_16block_id_wrapperIjLb0EEEEE10hipError_tT1_PNSt15iterator_traitsISG_E10value_typeET2_T3_PNSH_ISM_E10value_typeET4_T5_PSR_SS_PNS1_23onesweep_lookback_stateEbbT6_jjT7_P12ihipStream_tbENKUlT_T0_SG_SL_E_clIS9_SA_SB_SB_EEDaSZ_S10_SG_SL_EUlSZ_E_NS1_11comp_targetILNS1_3genE8ELNS1_11target_archE1030ELNS1_3gpuE2ELNS1_3repE0EEENS1_47radix_sort_onesweep_sort_config_static_selectorELNS0_4arch9wavefront6targetE0EEEvSG_
	.p2align	8
	.type	_ZN7rocprim17ROCPRIM_400000_NS6detail17trampoline_kernelINS0_14default_configENS1_35radix_sort_onesweep_config_selectorIhNS0_10empty_typeEEEZZNS1_29radix_sort_onesweep_iterationIS3_Lb1EPKhPhPS5_SB_mNS0_19identity_decomposerENS1_16block_id_wrapperIjLb0EEEEE10hipError_tT1_PNSt15iterator_traitsISG_E10value_typeET2_T3_PNSH_ISM_E10value_typeET4_T5_PSR_SS_PNS1_23onesweep_lookback_stateEbbT6_jjT7_P12ihipStream_tbENKUlT_T0_SG_SL_E_clIS9_SA_SB_SB_EEDaSZ_S10_SG_SL_EUlSZ_E_NS1_11comp_targetILNS1_3genE8ELNS1_11target_archE1030ELNS1_3gpuE2ELNS1_3repE0EEENS1_47radix_sort_onesweep_sort_config_static_selectorELNS0_4arch9wavefront6targetE0EEEvSG_,@function
_ZN7rocprim17ROCPRIM_400000_NS6detail17trampoline_kernelINS0_14default_configENS1_35radix_sort_onesweep_config_selectorIhNS0_10empty_typeEEEZZNS1_29radix_sort_onesweep_iterationIS3_Lb1EPKhPhPS5_SB_mNS0_19identity_decomposerENS1_16block_id_wrapperIjLb0EEEEE10hipError_tT1_PNSt15iterator_traitsISG_E10value_typeET2_T3_PNSH_ISM_E10value_typeET4_T5_PSR_SS_PNS1_23onesweep_lookback_stateEbbT6_jjT7_P12ihipStream_tbENKUlT_T0_SG_SL_E_clIS9_SA_SB_SB_EEDaSZ_S10_SG_SL_EUlSZ_E_NS1_11comp_targetILNS1_3genE8ELNS1_11target_archE1030ELNS1_3gpuE2ELNS1_3repE0EEENS1_47radix_sort_onesweep_sort_config_static_selectorELNS0_4arch9wavefront6targetE0EEEvSG_: ; @_ZN7rocprim17ROCPRIM_400000_NS6detail17trampoline_kernelINS0_14default_configENS1_35radix_sort_onesweep_config_selectorIhNS0_10empty_typeEEEZZNS1_29radix_sort_onesweep_iterationIS3_Lb1EPKhPhPS5_SB_mNS0_19identity_decomposerENS1_16block_id_wrapperIjLb0EEEEE10hipError_tT1_PNSt15iterator_traitsISG_E10value_typeET2_T3_PNSH_ISM_E10value_typeET4_T5_PSR_SS_PNS1_23onesweep_lookback_stateEbbT6_jjT7_P12ihipStream_tbENKUlT_T0_SG_SL_E_clIS9_SA_SB_SB_EEDaSZ_S10_SG_SL_EUlSZ_E_NS1_11comp_targetILNS1_3genE8ELNS1_11target_archE1030ELNS1_3gpuE2ELNS1_3repE0EEENS1_47radix_sort_onesweep_sort_config_static_selectorELNS0_4arch9wavefront6targetE0EEEvSG_
; %bb.0:
	.section	.rodata,"a",@progbits
	.p2align	6, 0x0
	.amdhsa_kernel _ZN7rocprim17ROCPRIM_400000_NS6detail17trampoline_kernelINS0_14default_configENS1_35radix_sort_onesweep_config_selectorIhNS0_10empty_typeEEEZZNS1_29radix_sort_onesweep_iterationIS3_Lb1EPKhPhPS5_SB_mNS0_19identity_decomposerENS1_16block_id_wrapperIjLb0EEEEE10hipError_tT1_PNSt15iterator_traitsISG_E10value_typeET2_T3_PNSH_ISM_E10value_typeET4_T5_PSR_SS_PNS1_23onesweep_lookback_stateEbbT6_jjT7_P12ihipStream_tbENKUlT_T0_SG_SL_E_clIS9_SA_SB_SB_EEDaSZ_S10_SG_SL_EUlSZ_E_NS1_11comp_targetILNS1_3genE8ELNS1_11target_archE1030ELNS1_3gpuE2ELNS1_3repE0EEENS1_47radix_sort_onesweep_sort_config_static_selectorELNS0_4arch9wavefront6targetE0EEEvSG_
		.amdhsa_group_segment_fixed_size 0
		.amdhsa_private_segment_fixed_size 0
		.amdhsa_kernarg_size 88
		.amdhsa_user_sgpr_count 2
		.amdhsa_user_sgpr_dispatch_ptr 0
		.amdhsa_user_sgpr_queue_ptr 0
		.amdhsa_user_sgpr_kernarg_segment_ptr 1
		.amdhsa_user_sgpr_dispatch_id 0
		.amdhsa_user_sgpr_kernarg_preload_length 0
		.amdhsa_user_sgpr_kernarg_preload_offset 0
		.amdhsa_user_sgpr_private_segment_size 0
		.amdhsa_wavefront_size32 1
		.amdhsa_uses_dynamic_stack 0
		.amdhsa_enable_private_segment 0
		.amdhsa_system_sgpr_workgroup_id_x 1
		.amdhsa_system_sgpr_workgroup_id_y 0
		.amdhsa_system_sgpr_workgroup_id_z 0
		.amdhsa_system_sgpr_workgroup_info 0
		.amdhsa_system_vgpr_workitem_id 0
		.amdhsa_next_free_vgpr 1
		.amdhsa_next_free_sgpr 1
		.amdhsa_named_barrier_count 0
		.amdhsa_reserve_vcc 0
		.amdhsa_float_round_mode_32 0
		.amdhsa_float_round_mode_16_64 0
		.amdhsa_float_denorm_mode_32 3
		.amdhsa_float_denorm_mode_16_64 3
		.amdhsa_fp16_overflow 0
		.amdhsa_memory_ordered 1
		.amdhsa_forward_progress 1
		.amdhsa_inst_pref_size 0
		.amdhsa_round_robin_scheduling 0
		.amdhsa_exception_fp_ieee_invalid_op 0
		.amdhsa_exception_fp_denorm_src 0
		.amdhsa_exception_fp_ieee_div_zero 0
		.amdhsa_exception_fp_ieee_overflow 0
		.amdhsa_exception_fp_ieee_underflow 0
		.amdhsa_exception_fp_ieee_inexact 0
		.amdhsa_exception_int_div_zero 0
	.end_amdhsa_kernel
	.section	.text._ZN7rocprim17ROCPRIM_400000_NS6detail17trampoline_kernelINS0_14default_configENS1_35radix_sort_onesweep_config_selectorIhNS0_10empty_typeEEEZZNS1_29radix_sort_onesweep_iterationIS3_Lb1EPKhPhPS5_SB_mNS0_19identity_decomposerENS1_16block_id_wrapperIjLb0EEEEE10hipError_tT1_PNSt15iterator_traitsISG_E10value_typeET2_T3_PNSH_ISM_E10value_typeET4_T5_PSR_SS_PNS1_23onesweep_lookback_stateEbbT6_jjT7_P12ihipStream_tbENKUlT_T0_SG_SL_E_clIS9_SA_SB_SB_EEDaSZ_S10_SG_SL_EUlSZ_E_NS1_11comp_targetILNS1_3genE8ELNS1_11target_archE1030ELNS1_3gpuE2ELNS1_3repE0EEENS1_47radix_sort_onesweep_sort_config_static_selectorELNS0_4arch9wavefront6targetE0EEEvSG_,"axG",@progbits,_ZN7rocprim17ROCPRIM_400000_NS6detail17trampoline_kernelINS0_14default_configENS1_35radix_sort_onesweep_config_selectorIhNS0_10empty_typeEEEZZNS1_29radix_sort_onesweep_iterationIS3_Lb1EPKhPhPS5_SB_mNS0_19identity_decomposerENS1_16block_id_wrapperIjLb0EEEEE10hipError_tT1_PNSt15iterator_traitsISG_E10value_typeET2_T3_PNSH_ISM_E10value_typeET4_T5_PSR_SS_PNS1_23onesweep_lookback_stateEbbT6_jjT7_P12ihipStream_tbENKUlT_T0_SG_SL_E_clIS9_SA_SB_SB_EEDaSZ_S10_SG_SL_EUlSZ_E_NS1_11comp_targetILNS1_3genE8ELNS1_11target_archE1030ELNS1_3gpuE2ELNS1_3repE0EEENS1_47radix_sort_onesweep_sort_config_static_selectorELNS0_4arch9wavefront6targetE0EEEvSG_,comdat
.Lfunc_end134:
	.size	_ZN7rocprim17ROCPRIM_400000_NS6detail17trampoline_kernelINS0_14default_configENS1_35radix_sort_onesweep_config_selectorIhNS0_10empty_typeEEEZZNS1_29radix_sort_onesweep_iterationIS3_Lb1EPKhPhPS5_SB_mNS0_19identity_decomposerENS1_16block_id_wrapperIjLb0EEEEE10hipError_tT1_PNSt15iterator_traitsISG_E10value_typeET2_T3_PNSH_ISM_E10value_typeET4_T5_PSR_SS_PNS1_23onesweep_lookback_stateEbbT6_jjT7_P12ihipStream_tbENKUlT_T0_SG_SL_E_clIS9_SA_SB_SB_EEDaSZ_S10_SG_SL_EUlSZ_E_NS1_11comp_targetILNS1_3genE8ELNS1_11target_archE1030ELNS1_3gpuE2ELNS1_3repE0EEENS1_47radix_sort_onesweep_sort_config_static_selectorELNS0_4arch9wavefront6targetE0EEEvSG_, .Lfunc_end134-_ZN7rocprim17ROCPRIM_400000_NS6detail17trampoline_kernelINS0_14default_configENS1_35radix_sort_onesweep_config_selectorIhNS0_10empty_typeEEEZZNS1_29radix_sort_onesweep_iterationIS3_Lb1EPKhPhPS5_SB_mNS0_19identity_decomposerENS1_16block_id_wrapperIjLb0EEEEE10hipError_tT1_PNSt15iterator_traitsISG_E10value_typeET2_T3_PNSH_ISM_E10value_typeET4_T5_PSR_SS_PNS1_23onesweep_lookback_stateEbbT6_jjT7_P12ihipStream_tbENKUlT_T0_SG_SL_E_clIS9_SA_SB_SB_EEDaSZ_S10_SG_SL_EUlSZ_E_NS1_11comp_targetILNS1_3genE8ELNS1_11target_archE1030ELNS1_3gpuE2ELNS1_3repE0EEENS1_47radix_sort_onesweep_sort_config_static_selectorELNS0_4arch9wavefront6targetE0EEEvSG_
                                        ; -- End function
	.set _ZN7rocprim17ROCPRIM_400000_NS6detail17trampoline_kernelINS0_14default_configENS1_35radix_sort_onesweep_config_selectorIhNS0_10empty_typeEEEZZNS1_29radix_sort_onesweep_iterationIS3_Lb1EPKhPhPS5_SB_mNS0_19identity_decomposerENS1_16block_id_wrapperIjLb0EEEEE10hipError_tT1_PNSt15iterator_traitsISG_E10value_typeET2_T3_PNSH_ISM_E10value_typeET4_T5_PSR_SS_PNS1_23onesweep_lookback_stateEbbT6_jjT7_P12ihipStream_tbENKUlT_T0_SG_SL_E_clIS9_SA_SB_SB_EEDaSZ_S10_SG_SL_EUlSZ_E_NS1_11comp_targetILNS1_3genE8ELNS1_11target_archE1030ELNS1_3gpuE2ELNS1_3repE0EEENS1_47radix_sort_onesweep_sort_config_static_selectorELNS0_4arch9wavefront6targetE0EEEvSG_.num_vgpr, 0
	.set _ZN7rocprim17ROCPRIM_400000_NS6detail17trampoline_kernelINS0_14default_configENS1_35radix_sort_onesweep_config_selectorIhNS0_10empty_typeEEEZZNS1_29radix_sort_onesweep_iterationIS3_Lb1EPKhPhPS5_SB_mNS0_19identity_decomposerENS1_16block_id_wrapperIjLb0EEEEE10hipError_tT1_PNSt15iterator_traitsISG_E10value_typeET2_T3_PNSH_ISM_E10value_typeET4_T5_PSR_SS_PNS1_23onesweep_lookback_stateEbbT6_jjT7_P12ihipStream_tbENKUlT_T0_SG_SL_E_clIS9_SA_SB_SB_EEDaSZ_S10_SG_SL_EUlSZ_E_NS1_11comp_targetILNS1_3genE8ELNS1_11target_archE1030ELNS1_3gpuE2ELNS1_3repE0EEENS1_47radix_sort_onesweep_sort_config_static_selectorELNS0_4arch9wavefront6targetE0EEEvSG_.num_agpr, 0
	.set _ZN7rocprim17ROCPRIM_400000_NS6detail17trampoline_kernelINS0_14default_configENS1_35radix_sort_onesweep_config_selectorIhNS0_10empty_typeEEEZZNS1_29radix_sort_onesweep_iterationIS3_Lb1EPKhPhPS5_SB_mNS0_19identity_decomposerENS1_16block_id_wrapperIjLb0EEEEE10hipError_tT1_PNSt15iterator_traitsISG_E10value_typeET2_T3_PNSH_ISM_E10value_typeET4_T5_PSR_SS_PNS1_23onesweep_lookback_stateEbbT6_jjT7_P12ihipStream_tbENKUlT_T0_SG_SL_E_clIS9_SA_SB_SB_EEDaSZ_S10_SG_SL_EUlSZ_E_NS1_11comp_targetILNS1_3genE8ELNS1_11target_archE1030ELNS1_3gpuE2ELNS1_3repE0EEENS1_47radix_sort_onesweep_sort_config_static_selectorELNS0_4arch9wavefront6targetE0EEEvSG_.numbered_sgpr, 0
	.set _ZN7rocprim17ROCPRIM_400000_NS6detail17trampoline_kernelINS0_14default_configENS1_35radix_sort_onesweep_config_selectorIhNS0_10empty_typeEEEZZNS1_29radix_sort_onesweep_iterationIS3_Lb1EPKhPhPS5_SB_mNS0_19identity_decomposerENS1_16block_id_wrapperIjLb0EEEEE10hipError_tT1_PNSt15iterator_traitsISG_E10value_typeET2_T3_PNSH_ISM_E10value_typeET4_T5_PSR_SS_PNS1_23onesweep_lookback_stateEbbT6_jjT7_P12ihipStream_tbENKUlT_T0_SG_SL_E_clIS9_SA_SB_SB_EEDaSZ_S10_SG_SL_EUlSZ_E_NS1_11comp_targetILNS1_3genE8ELNS1_11target_archE1030ELNS1_3gpuE2ELNS1_3repE0EEENS1_47radix_sort_onesweep_sort_config_static_selectorELNS0_4arch9wavefront6targetE0EEEvSG_.num_named_barrier, 0
	.set _ZN7rocprim17ROCPRIM_400000_NS6detail17trampoline_kernelINS0_14default_configENS1_35radix_sort_onesweep_config_selectorIhNS0_10empty_typeEEEZZNS1_29radix_sort_onesweep_iterationIS3_Lb1EPKhPhPS5_SB_mNS0_19identity_decomposerENS1_16block_id_wrapperIjLb0EEEEE10hipError_tT1_PNSt15iterator_traitsISG_E10value_typeET2_T3_PNSH_ISM_E10value_typeET4_T5_PSR_SS_PNS1_23onesweep_lookback_stateEbbT6_jjT7_P12ihipStream_tbENKUlT_T0_SG_SL_E_clIS9_SA_SB_SB_EEDaSZ_S10_SG_SL_EUlSZ_E_NS1_11comp_targetILNS1_3genE8ELNS1_11target_archE1030ELNS1_3gpuE2ELNS1_3repE0EEENS1_47radix_sort_onesweep_sort_config_static_selectorELNS0_4arch9wavefront6targetE0EEEvSG_.private_seg_size, 0
	.set _ZN7rocprim17ROCPRIM_400000_NS6detail17trampoline_kernelINS0_14default_configENS1_35radix_sort_onesweep_config_selectorIhNS0_10empty_typeEEEZZNS1_29radix_sort_onesweep_iterationIS3_Lb1EPKhPhPS5_SB_mNS0_19identity_decomposerENS1_16block_id_wrapperIjLb0EEEEE10hipError_tT1_PNSt15iterator_traitsISG_E10value_typeET2_T3_PNSH_ISM_E10value_typeET4_T5_PSR_SS_PNS1_23onesweep_lookback_stateEbbT6_jjT7_P12ihipStream_tbENKUlT_T0_SG_SL_E_clIS9_SA_SB_SB_EEDaSZ_S10_SG_SL_EUlSZ_E_NS1_11comp_targetILNS1_3genE8ELNS1_11target_archE1030ELNS1_3gpuE2ELNS1_3repE0EEENS1_47radix_sort_onesweep_sort_config_static_selectorELNS0_4arch9wavefront6targetE0EEEvSG_.uses_vcc, 0
	.set _ZN7rocprim17ROCPRIM_400000_NS6detail17trampoline_kernelINS0_14default_configENS1_35radix_sort_onesweep_config_selectorIhNS0_10empty_typeEEEZZNS1_29radix_sort_onesweep_iterationIS3_Lb1EPKhPhPS5_SB_mNS0_19identity_decomposerENS1_16block_id_wrapperIjLb0EEEEE10hipError_tT1_PNSt15iterator_traitsISG_E10value_typeET2_T3_PNSH_ISM_E10value_typeET4_T5_PSR_SS_PNS1_23onesweep_lookback_stateEbbT6_jjT7_P12ihipStream_tbENKUlT_T0_SG_SL_E_clIS9_SA_SB_SB_EEDaSZ_S10_SG_SL_EUlSZ_E_NS1_11comp_targetILNS1_3genE8ELNS1_11target_archE1030ELNS1_3gpuE2ELNS1_3repE0EEENS1_47radix_sort_onesweep_sort_config_static_selectorELNS0_4arch9wavefront6targetE0EEEvSG_.uses_flat_scratch, 0
	.set _ZN7rocprim17ROCPRIM_400000_NS6detail17trampoline_kernelINS0_14default_configENS1_35radix_sort_onesweep_config_selectorIhNS0_10empty_typeEEEZZNS1_29radix_sort_onesweep_iterationIS3_Lb1EPKhPhPS5_SB_mNS0_19identity_decomposerENS1_16block_id_wrapperIjLb0EEEEE10hipError_tT1_PNSt15iterator_traitsISG_E10value_typeET2_T3_PNSH_ISM_E10value_typeET4_T5_PSR_SS_PNS1_23onesweep_lookback_stateEbbT6_jjT7_P12ihipStream_tbENKUlT_T0_SG_SL_E_clIS9_SA_SB_SB_EEDaSZ_S10_SG_SL_EUlSZ_E_NS1_11comp_targetILNS1_3genE8ELNS1_11target_archE1030ELNS1_3gpuE2ELNS1_3repE0EEENS1_47radix_sort_onesweep_sort_config_static_selectorELNS0_4arch9wavefront6targetE0EEEvSG_.has_dyn_sized_stack, 0
	.set _ZN7rocprim17ROCPRIM_400000_NS6detail17trampoline_kernelINS0_14default_configENS1_35radix_sort_onesweep_config_selectorIhNS0_10empty_typeEEEZZNS1_29radix_sort_onesweep_iterationIS3_Lb1EPKhPhPS5_SB_mNS0_19identity_decomposerENS1_16block_id_wrapperIjLb0EEEEE10hipError_tT1_PNSt15iterator_traitsISG_E10value_typeET2_T3_PNSH_ISM_E10value_typeET4_T5_PSR_SS_PNS1_23onesweep_lookback_stateEbbT6_jjT7_P12ihipStream_tbENKUlT_T0_SG_SL_E_clIS9_SA_SB_SB_EEDaSZ_S10_SG_SL_EUlSZ_E_NS1_11comp_targetILNS1_3genE8ELNS1_11target_archE1030ELNS1_3gpuE2ELNS1_3repE0EEENS1_47radix_sort_onesweep_sort_config_static_selectorELNS0_4arch9wavefront6targetE0EEEvSG_.has_recursion, 0
	.set _ZN7rocprim17ROCPRIM_400000_NS6detail17trampoline_kernelINS0_14default_configENS1_35radix_sort_onesweep_config_selectorIhNS0_10empty_typeEEEZZNS1_29radix_sort_onesweep_iterationIS3_Lb1EPKhPhPS5_SB_mNS0_19identity_decomposerENS1_16block_id_wrapperIjLb0EEEEE10hipError_tT1_PNSt15iterator_traitsISG_E10value_typeET2_T3_PNSH_ISM_E10value_typeET4_T5_PSR_SS_PNS1_23onesweep_lookback_stateEbbT6_jjT7_P12ihipStream_tbENKUlT_T0_SG_SL_E_clIS9_SA_SB_SB_EEDaSZ_S10_SG_SL_EUlSZ_E_NS1_11comp_targetILNS1_3genE8ELNS1_11target_archE1030ELNS1_3gpuE2ELNS1_3repE0EEENS1_47radix_sort_onesweep_sort_config_static_selectorELNS0_4arch9wavefront6targetE0EEEvSG_.has_indirect_call, 0
	.section	.AMDGPU.csdata,"",@progbits
; Kernel info:
; codeLenInByte = 0
; TotalNumSgprs: 0
; NumVgprs: 0
; ScratchSize: 0
; MemoryBound: 0
; FloatMode: 240
; IeeeMode: 1
; LDSByteSize: 0 bytes/workgroup (compile time only)
; SGPRBlocks: 0
; VGPRBlocks: 0
; NumSGPRsForWavesPerEU: 1
; NumVGPRsForWavesPerEU: 1
; NamedBarCnt: 0
; Occupancy: 16
; WaveLimiterHint : 0
; COMPUTE_PGM_RSRC2:SCRATCH_EN: 0
; COMPUTE_PGM_RSRC2:USER_SGPR: 2
; COMPUTE_PGM_RSRC2:TRAP_HANDLER: 0
; COMPUTE_PGM_RSRC2:TGID_X_EN: 1
; COMPUTE_PGM_RSRC2:TGID_Y_EN: 0
; COMPUTE_PGM_RSRC2:TGID_Z_EN: 0
; COMPUTE_PGM_RSRC2:TIDIG_COMP_CNT: 0
	.section	.text._ZN7rocprim17ROCPRIM_400000_NS6detail17trampoline_kernelINS0_14default_configENS1_35radix_sort_onesweep_config_selectorIhNS0_10empty_typeEEEZZNS1_29radix_sort_onesweep_iterationIS3_Lb1EPKhPhPS5_SB_mNS0_19identity_decomposerENS1_16block_id_wrapperIjLb0EEEEE10hipError_tT1_PNSt15iterator_traitsISG_E10value_typeET2_T3_PNSH_ISM_E10value_typeET4_T5_PSR_SS_PNS1_23onesweep_lookback_stateEbbT6_jjT7_P12ihipStream_tbENKUlT_T0_SG_SL_E_clISA_SA_SB_SB_EEDaSZ_S10_SG_SL_EUlSZ_E_NS1_11comp_targetILNS1_3genE0ELNS1_11target_archE4294967295ELNS1_3gpuE0ELNS1_3repE0EEENS1_47radix_sort_onesweep_sort_config_static_selectorELNS0_4arch9wavefront6targetE0EEEvSG_,"axG",@progbits,_ZN7rocprim17ROCPRIM_400000_NS6detail17trampoline_kernelINS0_14default_configENS1_35radix_sort_onesweep_config_selectorIhNS0_10empty_typeEEEZZNS1_29radix_sort_onesweep_iterationIS3_Lb1EPKhPhPS5_SB_mNS0_19identity_decomposerENS1_16block_id_wrapperIjLb0EEEEE10hipError_tT1_PNSt15iterator_traitsISG_E10value_typeET2_T3_PNSH_ISM_E10value_typeET4_T5_PSR_SS_PNS1_23onesweep_lookback_stateEbbT6_jjT7_P12ihipStream_tbENKUlT_T0_SG_SL_E_clISA_SA_SB_SB_EEDaSZ_S10_SG_SL_EUlSZ_E_NS1_11comp_targetILNS1_3genE0ELNS1_11target_archE4294967295ELNS1_3gpuE0ELNS1_3repE0EEENS1_47radix_sort_onesweep_sort_config_static_selectorELNS0_4arch9wavefront6targetE0EEEvSG_,comdat
	.protected	_ZN7rocprim17ROCPRIM_400000_NS6detail17trampoline_kernelINS0_14default_configENS1_35radix_sort_onesweep_config_selectorIhNS0_10empty_typeEEEZZNS1_29radix_sort_onesweep_iterationIS3_Lb1EPKhPhPS5_SB_mNS0_19identity_decomposerENS1_16block_id_wrapperIjLb0EEEEE10hipError_tT1_PNSt15iterator_traitsISG_E10value_typeET2_T3_PNSH_ISM_E10value_typeET4_T5_PSR_SS_PNS1_23onesweep_lookback_stateEbbT6_jjT7_P12ihipStream_tbENKUlT_T0_SG_SL_E_clISA_SA_SB_SB_EEDaSZ_S10_SG_SL_EUlSZ_E_NS1_11comp_targetILNS1_3genE0ELNS1_11target_archE4294967295ELNS1_3gpuE0ELNS1_3repE0EEENS1_47radix_sort_onesweep_sort_config_static_selectorELNS0_4arch9wavefront6targetE0EEEvSG_ ; -- Begin function _ZN7rocprim17ROCPRIM_400000_NS6detail17trampoline_kernelINS0_14default_configENS1_35radix_sort_onesweep_config_selectorIhNS0_10empty_typeEEEZZNS1_29radix_sort_onesweep_iterationIS3_Lb1EPKhPhPS5_SB_mNS0_19identity_decomposerENS1_16block_id_wrapperIjLb0EEEEE10hipError_tT1_PNSt15iterator_traitsISG_E10value_typeET2_T3_PNSH_ISM_E10value_typeET4_T5_PSR_SS_PNS1_23onesweep_lookback_stateEbbT6_jjT7_P12ihipStream_tbENKUlT_T0_SG_SL_E_clISA_SA_SB_SB_EEDaSZ_S10_SG_SL_EUlSZ_E_NS1_11comp_targetILNS1_3genE0ELNS1_11target_archE4294967295ELNS1_3gpuE0ELNS1_3repE0EEENS1_47radix_sort_onesweep_sort_config_static_selectorELNS0_4arch9wavefront6targetE0EEEvSG_
	.globl	_ZN7rocprim17ROCPRIM_400000_NS6detail17trampoline_kernelINS0_14default_configENS1_35radix_sort_onesweep_config_selectorIhNS0_10empty_typeEEEZZNS1_29radix_sort_onesweep_iterationIS3_Lb1EPKhPhPS5_SB_mNS0_19identity_decomposerENS1_16block_id_wrapperIjLb0EEEEE10hipError_tT1_PNSt15iterator_traitsISG_E10value_typeET2_T3_PNSH_ISM_E10value_typeET4_T5_PSR_SS_PNS1_23onesweep_lookback_stateEbbT6_jjT7_P12ihipStream_tbENKUlT_T0_SG_SL_E_clISA_SA_SB_SB_EEDaSZ_S10_SG_SL_EUlSZ_E_NS1_11comp_targetILNS1_3genE0ELNS1_11target_archE4294967295ELNS1_3gpuE0ELNS1_3repE0EEENS1_47radix_sort_onesweep_sort_config_static_selectorELNS0_4arch9wavefront6targetE0EEEvSG_
	.p2align	8
	.type	_ZN7rocprim17ROCPRIM_400000_NS6detail17trampoline_kernelINS0_14default_configENS1_35radix_sort_onesweep_config_selectorIhNS0_10empty_typeEEEZZNS1_29radix_sort_onesweep_iterationIS3_Lb1EPKhPhPS5_SB_mNS0_19identity_decomposerENS1_16block_id_wrapperIjLb0EEEEE10hipError_tT1_PNSt15iterator_traitsISG_E10value_typeET2_T3_PNSH_ISM_E10value_typeET4_T5_PSR_SS_PNS1_23onesweep_lookback_stateEbbT6_jjT7_P12ihipStream_tbENKUlT_T0_SG_SL_E_clISA_SA_SB_SB_EEDaSZ_S10_SG_SL_EUlSZ_E_NS1_11comp_targetILNS1_3genE0ELNS1_11target_archE4294967295ELNS1_3gpuE0ELNS1_3repE0EEENS1_47radix_sort_onesweep_sort_config_static_selectorELNS0_4arch9wavefront6targetE0EEEvSG_,@function
_ZN7rocprim17ROCPRIM_400000_NS6detail17trampoline_kernelINS0_14default_configENS1_35radix_sort_onesweep_config_selectorIhNS0_10empty_typeEEEZZNS1_29radix_sort_onesweep_iterationIS3_Lb1EPKhPhPS5_SB_mNS0_19identity_decomposerENS1_16block_id_wrapperIjLb0EEEEE10hipError_tT1_PNSt15iterator_traitsISG_E10value_typeET2_T3_PNSH_ISM_E10value_typeET4_T5_PSR_SS_PNS1_23onesweep_lookback_stateEbbT6_jjT7_P12ihipStream_tbENKUlT_T0_SG_SL_E_clISA_SA_SB_SB_EEDaSZ_S10_SG_SL_EUlSZ_E_NS1_11comp_targetILNS1_3genE0ELNS1_11target_archE4294967295ELNS1_3gpuE0ELNS1_3repE0EEENS1_47radix_sort_onesweep_sort_config_static_selectorELNS0_4arch9wavefront6targetE0EEEvSG_: ; @_ZN7rocprim17ROCPRIM_400000_NS6detail17trampoline_kernelINS0_14default_configENS1_35radix_sort_onesweep_config_selectorIhNS0_10empty_typeEEEZZNS1_29radix_sort_onesweep_iterationIS3_Lb1EPKhPhPS5_SB_mNS0_19identity_decomposerENS1_16block_id_wrapperIjLb0EEEEE10hipError_tT1_PNSt15iterator_traitsISG_E10value_typeET2_T3_PNSH_ISM_E10value_typeET4_T5_PSR_SS_PNS1_23onesweep_lookback_stateEbbT6_jjT7_P12ihipStream_tbENKUlT_T0_SG_SL_E_clISA_SA_SB_SB_EEDaSZ_S10_SG_SL_EUlSZ_E_NS1_11comp_targetILNS1_3genE0ELNS1_11target_archE4294967295ELNS1_3gpuE0ELNS1_3repE0EEENS1_47radix_sort_onesweep_sort_config_static_selectorELNS0_4arch9wavefront6targetE0EEEvSG_
; %bb.0:
	s_clause 0x3
	s_load_b96 s[16:18], s[0:1], 0x44
	s_load_b64 s[20:21], s[0:1], 0x38
	s_load_b128 s[12:15], s[0:1], 0x0
	s_load_b128 s[8:11], s[0:1], 0x28
	s_bfe_u32 s2, ttmp6, 0x4000c
	s_and_b32 s3, ttmp6, 15
	s_add_co_i32 s2, s2, 1
	s_getreg_b32 s4, hwreg(HW_REG_IB_STS2, 6, 4)
	s_mul_i32 s2, ttmp9, s2
	v_mul_u32_u24_e32 v6, 22, v0
	s_add_co_i32 s3, s3, s2
	s_cmp_eq_u32 s4, 0
	s_mov_b32 s23, 0
	s_cselect_b32 s19, ttmp9, s3
	s_mov_b32 s2, -1
	s_mul_i32 s22, s19, 0x5800
	s_wait_kmcnt 0x0
	s_cmp_ge_u32 s19, s18
	s_cbranch_scc0 .LBB135_112
; %bb.1:
	s_load_b32 s4, s[0:1], 0x20
	v_dual_mov_b32 v7, 0 :: v_dual_mov_b32 v24, 0
	s_add_nc_u64 s[2:3], s[12:13], s[22:23]
	v_dual_mov_b32 v23, 0 :: v_dual_mov_b32 v22, 0
	s_delay_alu instid0(VALU_DEP_2)
	v_add_nc_u64_e32 v[2:3], s[2:3], v[6:7]
	v_dual_mov_b32 v21, 0 :: v_dual_mov_b32 v20, 0
	v_dual_mov_b32 v19, 0 :: v_dual_mov_b32 v18, 0
	;; [unrolled: 1-line block ×8, first 2 shown]
	v_mov_b32_e32 v1, 0
	s_mul_i32 s5, s18, 0xffffa800
	s_mov_b32 s2, exec_lo
	s_wait_kmcnt 0x0
	s_add_co_i32 s18, s4, s5
	s_delay_alu instid0(SALU_CYCLE_1)
	v_cmpx_gt_u32_e64 s18, v6
	s_cbranch_execz .LBB135_3
; %bb.2:
	global_load_u8 v24, v[2:3], off
	v_dual_mov_b32 v23, 0 :: v_dual_mov_b32 v22, 0
	v_dual_mov_b32 v21, 0 :: v_dual_mov_b32 v20, 0
	v_dual_mov_b32 v19, 0 :: v_dual_mov_b32 v18, 0
	v_dual_mov_b32 v17, 0 :: v_dual_mov_b32 v16, 0
	v_dual_mov_b32 v15, 0 :: v_dual_mov_b32 v14, 0
	v_dual_mov_b32 v13, 0 :: v_dual_mov_b32 v12, 0
	v_dual_mov_b32 v11, 0 :: v_dual_mov_b32 v10, 0
	v_dual_mov_b32 v9, 0 :: v_dual_mov_b32 v8, 0
	v_dual_mov_b32 v5, 0 :: v_dual_mov_b32 v4, 0
	v_mov_b32_e32 v1, 0
.LBB135_3:
	s_wait_xcnt 0x0
	s_or_b32 exec_lo, exec_lo, s2
	v_or_b32_e32 v25, 1, v6
	s_delay_alu instid0(VALU_DEP_1)
	v_cmp_gt_u32_e32 vcc_lo, s18, v25
	v_mov_b32_e32 v25, v7
	s_and_saveexec_b32 s2, vcc_lo
	s_cbranch_execz .LBB135_5
; %bb.4:
	global_load_u8 v25, v[2:3], off offset:1
.LBB135_5:
	s_wait_xcnt 0x0
	s_or_b32 exec_lo, exec_lo, s2
	v_add_nc_u32_e32 v26, 2, v6
	s_mov_b32 s2, exec_lo
	s_delay_alu instid0(VALU_DEP_1)
	v_cmpx_gt_u32_e64 s18, v26
	s_cbranch_execz .LBB135_7
; %bb.6:
	global_load_u8 v7, v[2:3], off offset:2
.LBB135_7:
	s_wait_xcnt 0x0
	s_or_b32 exec_lo, exec_lo, s2
	v_add_nc_u32_e32 v26, 3, v6
	s_mov_b32 s2, exec_lo
	s_delay_alu instid0(VALU_DEP_1)
	v_cmpx_gt_u32_e64 s18, v26
	;; [unrolled: 10-line block ×20, first 2 shown]
	s_cbranch_execz .LBB135_45
; %bb.44:
	global_load_u8 v1, v[2:3], off offset:21
.LBB135_45:
	s_wait_xcnt 0x0
	s_or_b32 exec_lo, exec_lo, s2
	s_wait_loadcnt 0x0
	v_xor_b32_e32 v24, -1, v24
	s_lshl_b32 s23, -1, s17
	v_dual_mov_b32 v27, 0 :: v_dual_lshlrev_b32 v26, 2, v0
	v_xor_b32_e32 v25, -1, v25
	s_delay_alu instid0(VALU_DEP_3)
	v_and_b32_e32 v2, 0xff, v24
	v_xor_b32_e32 v7, -1, v7
	v_xor_b32_e32 v23, -1, v23
	ds_store_2addr_stride64_b32 v26, v27, v27 offset1:16
	ds_store_2addr_stride64_b32 v26, v27, v27 offset0:32 offset1:48
	ds_store_2addr_stride64_b32 v26, v27, v27 offset0:64 offset1:80
	ds_store_2addr_stride64_b32 v26, v27, v27 offset0:96 offset1:112
	v_lshrrev_b32_e32 v2, s16, v2
	v_and_b32_e32 v28, 0xff, v25
	v_and_b32_e32 v30, 0xff, v23
	v_xor_b32_e32 v21, -1, v21
	v_xor_b32_e32 v19, -1, v19
	v_bitop3_b32 v2, v2, s23, v2 bitop3:0x30
	v_xor_b32_e32 v17, -1, v17
	v_xor_b32_e32 v16, -1, v16
	;; [unrolled: 1-line block ×3, first 2 shown]
	s_delay_alu instid0(VALU_DEP_4) | instskip(SKIP_3) | instid1(VALU_DEP_4)
	v_dual_lshlrev_b32 v3, 10, v2 :: v_dual_bitop2_b32 v13, -1, v13 bitop3:0x14
	v_dual_lshrrev_b32 v2, 2, v2 :: v_dual_bitop2_b32 v12, -1, v12 bitop3:0x14
	v_xor_b32_e32 v22, -1, v22
	v_xor_b32_e32 v20, -1, v20
	v_and_or_b32 v3, 0x1c00, v3, v0
	s_delay_alu instid0(VALU_DEP_4)
	v_and_b32_e32 v2, 62, v2
	v_xor_b32_e32 v18, -1, v18
	v_xor_b32_e32 v14, -1, v14
	;; [unrolled: 1-line block ×4, first 2 shown]
	v_lshl_add_u32 v2, v3, 2, v2
	v_lshrrev_b32_e32 v3, s16, v28
	v_and_b32_e32 v28, 0xff, v7
	v_xor_b32_e32 v9, -1, v9
	v_xor_b32_e32 v8, -1, v8
	ds_load_u16 v26, v2
	v_bitop3_b32 v3, v3, s23, v3 bitop3:0x30
	s_delay_alu instid0(VALU_DEP_1) | instskip(SKIP_1) | instid1(VALU_DEP_2)
	v_dual_lshrrev_b32 v28, s16, v28 :: v_dual_lshlrev_b32 v27, 10, v3
	v_lshrrev_b32_e32 v3, 2, v3
	v_bitop3_b32 v28, v28, s23, v28 bitop3:0x30
	s_delay_alu instid0(VALU_DEP_3) | instskip(NEXT) | instid1(VALU_DEP_3)
	v_and_or_b32 v27, 0x1c00, v27, v0
	v_and_b32_e32 v3, 62, v3
	s_wait_dscnt 0x0
	v_add_nc_u16 v29, v26, 1
	ds_store_b16 v2, v29
	v_dual_lshlrev_b32 v29, 10, v28 :: v_dual_lshrrev_b32 v28, 2, v28
	v_lshl_add_u32 v3, v27, 2, v3
	s_delay_alu instid0(VALU_DEP_2) | instskip(NEXT) | instid1(VALU_DEP_3)
	v_and_or_b32 v29, 0x1c00, v29, v0
	v_and_b32_e32 v28, 62, v28
	ds_load_u16 v27, v3
	v_lshl_add_u32 v34, v29, 2, v28
	v_lshrrev_b32_e32 v29, s16, v30
	s_delay_alu instid0(VALU_DEP_1) | instskip(NEXT) | instid1(VALU_DEP_1)
	v_bitop3_b32 v29, v29, s23, v29 bitop3:0x30
	v_dual_lshlrev_b32 v30, 10, v29 :: v_dual_lshrrev_b32 v29, 2, v29
	s_wait_dscnt 0x0
	v_add_nc_u16 v31, v27, 1
	s_delay_alu instid0(VALU_DEP_2) | instskip(SKIP_4) | instid1(VALU_DEP_1)
	v_and_or_b32 v30, 0x1c00, v30, v0
	ds_store_b16 v3, v31
	ds_load_u16 v28, v34
	v_and_b32_e32 v31, 0xff, v22
	v_and_b32_e32 v29, 62, v29
	v_lshl_add_u32 v36, v30, 2, v29
	s_delay_alu instid0(VALU_DEP_3) | instskip(NEXT) | instid1(VALU_DEP_1)
	v_lshrrev_b32_e32 v30, s16, v31
	v_bitop3_b32 v30, v30, s23, v30 bitop3:0x30
	s_delay_alu instid0(VALU_DEP_1) | instskip(SKIP_2) | instid1(VALU_DEP_2)
	v_dual_lshlrev_b32 v31, 10, v30 :: v_dual_lshrrev_b32 v30, 2, v30
	s_wait_dscnt 0x0
	v_add_nc_u16 v32, v28, 1
	v_and_or_b32 v31, 0x1c00, v31, v0
	s_delay_alu instid0(VALU_DEP_3) | instskip(SKIP_4) | instid1(VALU_DEP_2)
	v_and_b32_e32 v30, 62, v30
	ds_store_b16 v34, v32
	ds_load_u16 v29, v36
	v_and_b32_e32 v32, 0xff, v21
	v_lshl_add_u32 v38, v31, 2, v30
	v_lshrrev_b32_e32 v31, s16, v32
	s_delay_alu instid0(VALU_DEP_1) | instskip(NEXT) | instid1(VALU_DEP_1)
	v_bitop3_b32 v31, v31, s23, v31 bitop3:0x30
	v_dual_lshlrev_b32 v32, 10, v31 :: v_dual_lshrrev_b32 v31, 2, v31
	s_wait_dscnt 0x0
	v_add_nc_u16 v33, v29, 1
	s_delay_alu instid0(VALU_DEP_2) | instskip(SKIP_4) | instid1(VALU_DEP_1)
	v_and_or_b32 v32, 0x1c00, v32, v0
	ds_store_b16 v36, v33
	ds_load_u16 v30, v38
	v_and_b32_e32 v33, 0xff, v20
	v_and_b32_e32 v31, 62, v31
	v_lshl_add_u32 v40, v32, 2, v31
	s_delay_alu instid0(VALU_DEP_3) | instskip(NEXT) | instid1(VALU_DEP_1)
	v_lshrrev_b32_e32 v32, s16, v33
	v_bitop3_b32 v32, v32, s23, v32 bitop3:0x30
	s_delay_alu instid0(VALU_DEP_1) | instskip(SKIP_2) | instid1(VALU_DEP_2)
	v_dual_lshlrev_b32 v33, 10, v32 :: v_dual_lshrrev_b32 v32, 2, v32
	s_wait_dscnt 0x0
	v_add_nc_u16 v35, v30, 1
	v_and_or_b32 v33, 0x1c00, v33, v0
	ds_store_b16 v38, v35
	ds_load_u16 v31, v40
	v_and_b32_e32 v35, 0xff, v19
	v_and_b32_e32 v32, 62, v32
	s_delay_alu instid0(VALU_DEP_1) | instskip(NEXT) | instid1(VALU_DEP_3)
	v_lshl_add_u32 v42, v33, 2, v32
	v_lshrrev_b32_e32 v33, s16, v35
	s_delay_alu instid0(VALU_DEP_1) | instskip(NEXT) | instid1(VALU_DEP_1)
	v_bitop3_b32 v33, v33, s23, v33 bitop3:0x30
	v_dual_lshlrev_b32 v35, 10, v33 :: v_dual_lshrrev_b32 v33, 2, v33
	s_wait_dscnt 0x0
	v_add_nc_u16 v37, v31, 1
	s_delay_alu instid0(VALU_DEP_2) | instskip(NEXT) | instid1(VALU_DEP_3)
	v_and_or_b32 v35, 0x1c00, v35, v0
	v_and_b32_e32 v33, 62, v33
	ds_store_b16 v40, v37
	ds_load_u16 v32, v42
	v_and_b32_e32 v37, 0xff, v18
	v_lshl_add_u32 v45, v35, 2, v33
	s_wait_dscnt 0x0
	v_add_nc_u16 v39, v32, 1
	ds_store_b16 v42, v39
	ds_load_u16 v33, v45
	v_and_b32_e32 v39, 0xff, v17
	v_lshrrev_b32_e32 v35, s16, v37
	s_delay_alu instid0(VALU_DEP_1) | instskip(NEXT) | instid1(VALU_DEP_1)
	v_bitop3_b32 v35, v35, s23, v35 bitop3:0x30
	v_dual_lshlrev_b32 v37, 10, v35 :: v_dual_lshrrev_b32 v35, 2, v35
	s_delay_alu instid0(VALU_DEP_1) | instskip(NEXT) | instid1(VALU_DEP_2)
	v_and_or_b32 v37, 0x1c00, v37, v0
	v_and_b32_e32 v35, 62, v35
	s_wait_dscnt 0x0
	v_add_nc_u16 v41, v33, 1
	s_delay_alu instid0(VALU_DEP_2)
	v_lshl_add_u32 v48, v37, 2, v35
	v_lshrrev_b32_e32 v37, s16, v39
	ds_store_b16 v45, v41
	v_and_b32_e32 v41, 0xff, v16
	ds_load_u16 v35, v48
	v_bitop3_b32 v37, v37, s23, v37 bitop3:0x30
	s_delay_alu instid0(VALU_DEP_1) | instskip(NEXT) | instid1(VALU_DEP_1)
	v_dual_lshlrev_b32 v39, 10, v37 :: v_dual_lshrrev_b32 v37, 2, v37
	v_and_or_b32 v39, 0x1c00, v39, v0
	s_delay_alu instid0(VALU_DEP_2) | instskip(NEXT) | instid1(VALU_DEP_1)
	v_and_b32_e32 v37, 62, v37
	v_lshl_add_u32 v51, v39, 2, v37
	v_lshrrev_b32_e32 v39, s16, v41
	s_wait_dscnt 0x0
	v_add_nc_u16 v43, v35, 1
	s_delay_alu instid0(VALU_DEP_2) | instskip(SKIP_4) | instid1(VALU_DEP_1)
	v_bitop3_b32 v39, v39, s23, v39 bitop3:0x30
	ds_store_b16 v48, v43
	ds_load_u16 v37, v51
	v_and_b32_e32 v43, 0xff, v15
	v_dual_lshlrev_b32 v41, 10, v39 :: v_dual_lshrrev_b32 v39, 2, v39
	v_and_or_b32 v41, 0x1c00, v41, v0
	s_delay_alu instid0(VALU_DEP_2) | instskip(NEXT) | instid1(VALU_DEP_1)
	v_and_b32_e32 v39, 62, v39
	v_lshl_add_u32 v53, v41, 2, v39
	v_lshrrev_b32_e32 v41, s16, v43
	s_delay_alu instid0(VALU_DEP_1) | instskip(SKIP_2) | instid1(VALU_DEP_2)
	v_bitop3_b32 v41, v41, s23, v41 bitop3:0x30
	s_wait_dscnt 0x0
	v_add_nc_u16 v44, v37, 1
	v_lshlrev_b32_e32 v43, 10, v41
	ds_store_b16 v51, v44
	ds_load_u16 v39, v53
	v_lshrrev_b32_e32 v41, 2, v41
	v_and_b32_e32 v44, 0xff, v14
	v_and_or_b32 v43, 0x1c00, v43, v0
	s_delay_alu instid0(VALU_DEP_3) | instskip(NEXT) | instid1(VALU_DEP_1)
	v_and_b32_e32 v41, 62, v41
	v_lshl_add_u32 v55, v43, 2, v41
	s_delay_alu instid0(VALU_DEP_4) | instskip(NEXT) | instid1(VALU_DEP_1)
	v_lshrrev_b32_e32 v43, s16, v44
	v_bitop3_b32 v43, v43, s23, v43 bitop3:0x30
	s_wait_dscnt 0x0
	v_add_nc_u16 v46, v39, 1
	s_delay_alu instid0(VALU_DEP_2)
	v_dual_lshlrev_b32 v44, 10, v43 :: v_dual_lshrrev_b32 v43, 2, v43
	ds_store_b16 v53, v46
	ds_load_u16 v41, v55
	v_and_or_b32 v44, 0x1c00, v44, v0
	v_and_b32_e32 v43, 62, v43
	v_and_b32_e32 v46, 0xff, v13
	s_delay_alu instid0(VALU_DEP_2) | instskip(NEXT) | instid1(VALU_DEP_2)
	v_lshl_add_u32 v57, v44, 2, v43
	v_lshrrev_b32_e32 v44, s16, v46
	s_delay_alu instid0(VALU_DEP_1) | instskip(NEXT) | instid1(VALU_DEP_1)
	v_bitop3_b32 v44, v44, s23, v44 bitop3:0x30
	v_dual_lshlrev_b32 v46, 10, v44 :: v_dual_lshrrev_b32 v44, 2, v44
	s_wait_dscnt 0x0
	v_add_nc_u16 v47, v41, 1
	s_delay_alu instid0(VALU_DEP_2) | instskip(NEXT) | instid1(VALU_DEP_3)
	v_and_or_b32 v46, 0x1c00, v46, v0
	v_and_b32_e32 v44, 62, v44
	ds_store_b16 v55, v47
	ds_load_u16 v43, v57
	v_and_b32_e32 v47, 0xff, v12
	v_lshl_add_u32 v58, v46, 2, v44
	s_delay_alu instid0(VALU_DEP_2) | instskip(NEXT) | instid1(VALU_DEP_1)
	v_lshrrev_b32_e32 v44, s16, v47
	v_bitop3_b32 v44, v44, s23, v44 bitop3:0x30
	s_delay_alu instid0(VALU_DEP_1) | instskip(SKIP_2) | instid1(VALU_DEP_2)
	v_dual_lshlrev_b32 v47, 10, v44 :: v_dual_lshrrev_b32 v44, 2, v44
	s_wait_dscnt 0x0
	v_add_nc_u16 v49, v43, 1
	v_and_or_b32 v47, 0x1c00, v47, v0
	s_delay_alu instid0(VALU_DEP_3) | instskip(SKIP_4) | instid1(VALU_DEP_2)
	v_and_b32_e32 v44, 62, v44
	ds_store_b16 v57, v49
	ds_load_u16 v46, v58
	v_and_b32_e32 v49, 0xff, v11
	v_lshl_add_u32 v60, v47, 2, v44
	v_lshrrev_b32_e32 v44, s16, v49
	s_delay_alu instid0(VALU_DEP_1) | instskip(NEXT) | instid1(VALU_DEP_1)
	v_bitop3_b32 v44, v44, s23, v44 bitop3:0x30
	v_dual_lshlrev_b32 v47, 10, v44 :: v_dual_lshrrev_b32 v44, 2, v44
	s_wait_dscnt 0x0
	v_add_nc_u16 v50, v46, 1
	s_delay_alu instid0(VALU_DEP_2) | instskip(NEXT) | instid1(VALU_DEP_3)
	v_and_or_b32 v47, 0x1c00, v47, v0
	v_and_b32_e32 v44, 62, v44
	ds_store_b16 v58, v50
	ds_load_u16 v49, v60
	v_lshl_add_u32 v62, v47, 2, v44
	v_and_b32_e32 v50, 0xff, v10
	s_delay_alu instid0(VALU_DEP_1) | instskip(SKIP_1) | instid1(VALU_DEP_2)
	v_lshrrev_b32_e32 v44, s16, v50
	v_and_b32_e32 v50, 0xff, v9
	v_bitop3_b32 v44, v44, s23, v44 bitop3:0x30
	s_delay_alu instid0(VALU_DEP_1) | instskip(SKIP_2) | instid1(VALU_DEP_2)
	v_dual_lshlrev_b32 v47, 10, v44 :: v_dual_lshrrev_b32 v44, 2, v44
	s_wait_dscnt 0x0
	v_add_nc_u16 v52, v49, 1
	v_and_or_b32 v47, 0x1c00, v47, v0
	s_delay_alu instid0(VALU_DEP_3)
	v_and_b32_e32 v44, 62, v44
	ds_store_b16 v60, v52
	ds_load_u16 v52, v62
	v_lshl_add_u32 v63, v47, 2, v44
	v_lshrrev_b32_e32 v44, s16, v50
	v_and_b32_e32 v50, 0xff, v8
	s_delay_alu instid0(VALU_DEP_2) | instskip(NEXT) | instid1(VALU_DEP_1)
	v_bitop3_b32 v44, v44, s23, v44 bitop3:0x30
	v_dual_lshlrev_b32 v47, 10, v44 :: v_dual_lshrrev_b32 v44, 2, v44
	s_delay_alu instid0(VALU_DEP_1) | instskip(NEXT) | instid1(VALU_DEP_2)
	v_and_or_b32 v47, 0x1c00, v47, v0
	v_and_b32_e32 v44, 62, v44
	s_wait_dscnt 0x0
	v_add_nc_u16 v54, v52, 1
	s_delay_alu instid0(VALU_DEP_2) | instskip(SKIP_3) | instid1(VALU_DEP_1)
	v_lshl_add_u32 v64, v47, 2, v44
	ds_store_b16 v62, v54
	ds_load_u16 v54, v63
	v_lshrrev_b32_e32 v44, s16, v50
	v_bitop3_b32 v44, v44, s23, v44 bitop3:0x30
	s_delay_alu instid0(VALU_DEP_1) | instskip(SKIP_1) | instid1(VALU_DEP_2)
	v_dual_lshlrev_b32 v47, 10, v44 :: v_dual_lshrrev_b32 v50, 2, v44
	v_xor_b32_e32 v44, -1, v5
	v_and_or_b32 v5, 0x1c00, v47, v0
	s_delay_alu instid0(VALU_DEP_3) | instskip(NEXT) | instid1(VALU_DEP_3)
	v_and_b32_e32 v47, 62, v50
	v_and_b32_e32 v50, 0xff, v44
	s_wait_dscnt 0x0
	v_add_nc_u16 v56, v54, 1
	s_delay_alu instid0(VALU_DEP_3) | instskip(NEXT) | instid1(VALU_DEP_3)
	v_lshl_add_u32 v65, v5, 2, v47
	v_lshrrev_b32_e32 v47, s16, v50
	ds_store_b16 v63, v56
	ds_load_u16 v56, v64
	v_bitop3_b32 v47, v47, s23, v47 bitop3:0x30
	s_delay_alu instid0(VALU_DEP_1)
	v_lshlrev_b32_e32 v50, 10, v47
	s_wait_dscnt 0x0
	v_add_nc_u16 v59, v56, 1
	ds_store_b16 v64, v59
	ds_load_u16 v5, v65
	v_dual_lshrrev_b32 v59, 2, v47 :: v_dual_bitop2_b32 v47, -1, v4 bitop3:0x14
	v_and_or_b32 v4, 0x1c00, v50, v0
	s_delay_alu instid0(VALU_DEP_2) | instskip(NEXT) | instid1(VALU_DEP_3)
	v_and_b32_e32 v50, 62, v59
	v_and_b32_e32 v59, 0xff, v47
	s_delay_alu instid0(VALU_DEP_2) | instskip(NEXT) | instid1(VALU_DEP_2)
	v_lshl_add_u32 v4, v4, 2, v50
	v_lshrrev_b32_e32 v50, s16, v59
	s_delay_alu instid0(VALU_DEP_1) | instskip(SKIP_2) | instid1(VALU_DEP_2)
	v_bitop3_b32 v50, v50, s23, v50 bitop3:0x30
	s_wait_dscnt 0x0
	v_add_nc_u16 v61, v5, 1
	v_lshrrev_b32_e32 v66, 2, v50
	ds_store_b16 v65, v61
	ds_load_u16 v59, v4
	v_dual_lshlrev_b32 v61, 10, v50 :: v_dual_bitop2_b32 v50, -1, v1 bitop3:0x14
	s_delay_alu instid0(VALU_DEP_1) | instskip(SKIP_1) | instid1(VALU_DEP_1)
	v_and_or_b32 v1, 0x1c00, v61, v0
	v_and_b32_e32 v61, 62, v66
	v_lshl_add_u32 v66, v1, 2, v61
	s_wait_dscnt 0x0
	v_add_nc_u16 v68, v59, 1
	ds_store_b16 v4, v68
	ds_load_u16 v1, v66
	s_wait_dscnt 0x0
	v_add_nc_u16 v68, v1, 1
	ds_store_b16 v66, v68
	v_lshlrev_b32_e32 v68, 5, v0
	v_and_b32_e32 v67, 0xff, v50
	s_delay_alu instid0(VALU_DEP_1) | instskip(NEXT) | instid1(VALU_DEP_1)
	v_lshrrev_b32_e32 v61, s16, v67
	v_bitop3_b32 v61, v61, s23, v61 bitop3:0x30
	s_delay_alu instid0(VALU_DEP_1) | instskip(NEXT) | instid1(VALU_DEP_1)
	v_dual_lshlrev_b32 v67, 10, v61 :: v_dual_lshrrev_b32 v61, 2, v61
	v_and_or_b32 v67, 0x1c00, v67, v0
	s_delay_alu instid0(VALU_DEP_2) | instskip(NEXT) | instid1(VALU_DEP_1)
	v_and_b32_e32 v61, 62, v61
	v_lshl_add_u32 v67, v67, 2, v61
	ds_load_u16 v61, v67
	s_wait_dscnt 0x0
	v_add_nc_u16 v69, v61, 1
	ds_store_b16 v67, v69
	s_wait_dscnt 0x0
	s_barrier_signal -1
	s_barrier_wait -1
	ds_load_2addr_b64 v[70:73], v68 offset1:1
	ds_load_2addr_b64 v[74:77], v68 offset0:2 offset1:3
	s_wait_dscnt 0x1
	v_add_nc_u32_e32 v69, v71, v70
	s_delay_alu instid0(VALU_DEP_1) | instskip(SKIP_1) | instid1(VALU_DEP_1)
	v_add3_u32 v69, v69, v72, v73
	s_wait_dscnt 0x0
	v_add3_u32 v69, v69, v74, v75
	s_delay_alu instid0(VALU_DEP_1) | instskip(SKIP_1) | instid1(VALU_DEP_2)
	v_add3_u32 v70, v69, v76, v77
	v_mbcnt_lo_u32_b32 v69, -1, 0
	v_mov_b32_dpp v72, v70 row_shr:1 row_mask:0xf bank_mask:0xf
	s_delay_alu instid0(VALU_DEP_2) | instskip(SKIP_1) | instid1(VALU_DEP_2)
	v_and_b32_e32 v71, 15, v69
	v_bfe_i32 v73, v69, 4, 1
	v_cmp_eq_u32_e32 vcc_lo, 0, v71
	v_cmp_lt_u32_e64 s2, 1, v71
	v_cndmask_b32_e64 v72, v72, 0, vcc_lo
	s_delay_alu instid0(VALU_DEP_1) | instskip(NEXT) | instid1(VALU_DEP_1)
	v_add_nc_u32_e32 v70, v72, v70
	v_mov_b32_dpp v72, v70 row_shr:2 row_mask:0xf bank_mask:0xf
	s_delay_alu instid0(VALU_DEP_1) | instskip(NEXT) | instid1(VALU_DEP_1)
	v_cndmask_b32_e64 v72, 0, v72, s2
	v_add_nc_u32_e32 v70, v70, v72
	v_cmp_lt_u32_e64 s3, 3, v71
	v_cmp_lt_u32_e64 s4, 7, v71
	s_delay_alu instid0(VALU_DEP_3) | instskip(NEXT) | instid1(VALU_DEP_1)
	v_mov_b32_dpp v72, v70 row_shr:4 row_mask:0xf bank_mask:0xf
	v_cndmask_b32_e64 v72, 0, v72, s3
	s_delay_alu instid0(VALU_DEP_1) | instskip(NEXT) | instid1(VALU_DEP_1)
	v_add_nc_u32_e32 v70, v70, v72
	v_mov_b32_dpp v72, v70 row_shr:8 row_mask:0xf bank_mask:0xf
	s_delay_alu instid0(VALU_DEP_1) | instskip(NEXT) | instid1(VALU_DEP_1)
	v_cndmask_b32_e64 v71, 0, v72, s4
	v_dual_add_nc_u32 v70, v70, v71 :: v_dual_bitop2_b32 v72, 31, v0 bitop3:0x40
	ds_swizzle_b32 v71, v70 offset:swizzle(BROADCAST,32,15)
	s_wait_dscnt 0x0
	v_dual_lshrrev_b32 v73, 5, v0 :: v_dual_bitop2_b32 v71, v73, v71 bitop3:0x40
	v_cmp_eq_u32_e64 s6, 31, v72
	s_delay_alu instid0(VALU_DEP_2) | instskip(NEXT) | instid1(VALU_DEP_3)
	v_dual_add_nc_u32 v70, v70, v71 :: v_dual_bitop2_b32 v72, 16, v69 bitop3:0x40
	v_lshlrev_b32_e32 v71, 2, v73
	s_delay_alu instid0(VALU_DEP_2)
	v_cmp_eq_u32_e64 s5, 0, v72
	s_and_saveexec_b32 s7, s6
; %bb.46:
	ds_store_b32 v71, v70 offset:32768
; %bb.47:
	s_or_b32 exec_lo, exec_lo, s7
	v_cmp_lt_u32_e64 s6, 31, v0
	s_mov_b32 s24, exec_lo
	s_wait_dscnt 0x0
	s_barrier_signal -1
	s_barrier_wait -1
	v_cmpx_gt_u32_e32 32, v0
	s_cbranch_execz .LBB135_49
; %bb.48:
	v_mad_i32_i24 v72, 0xffffffe4, v0, v68
	ds_load_b32 v73, v72 offset:32768
	s_wait_dscnt 0x0
	v_mov_b32_dpp v74, v73 row_shr:1 row_mask:0xf bank_mask:0xf
	s_delay_alu instid0(VALU_DEP_1) | instskip(NEXT) | instid1(VALU_DEP_1)
	v_cndmask_b32_e64 v74, v74, 0, vcc_lo
	v_add_nc_u32_e32 v73, v74, v73
	s_delay_alu instid0(VALU_DEP_1) | instskip(NEXT) | instid1(VALU_DEP_1)
	v_mov_b32_dpp v74, v73 row_shr:2 row_mask:0xf bank_mask:0xf
	v_cndmask_b32_e64 v74, 0, v74, s2
	s_delay_alu instid0(VALU_DEP_1) | instskip(NEXT) | instid1(VALU_DEP_1)
	v_add_nc_u32_e32 v73, v73, v74
	v_mov_b32_dpp v74, v73 row_shr:4 row_mask:0xf bank_mask:0xf
	s_delay_alu instid0(VALU_DEP_1) | instskip(NEXT) | instid1(VALU_DEP_1)
	v_cndmask_b32_e64 v74, 0, v74, s3
	v_add_nc_u32_e32 v73, v73, v74
	s_delay_alu instid0(VALU_DEP_1) | instskip(NEXT) | instid1(VALU_DEP_1)
	v_mov_b32_dpp v74, v73 row_shr:8 row_mask:0xf bank_mask:0xf
	v_cndmask_b32_e64 v74, 0, v74, s4
	s_delay_alu instid0(VALU_DEP_1) | instskip(SKIP_3) | instid1(VALU_DEP_1)
	v_add_nc_u32_e32 v73, v73, v74
	ds_swizzle_b32 v74, v73 offset:swizzle(BROADCAST,32,15)
	s_wait_dscnt 0x0
	v_cndmask_b32_e64 v74, v74, 0, s5
	v_add_nc_u32_e32 v73, v73, v74
	ds_store_b32 v72, v73 offset:32768
.LBB135_49:
	s_or_b32 exec_lo, exec_lo, s24
	v_dual_mov_b32 v73, 0 :: v_dual_mov_b32 v72, 0
	s_wait_dscnt 0x0
	s_barrier_signal -1
	s_barrier_wait -1
	s_and_saveexec_b32 s2, s6
; %bb.50:
	ds_load_b32 v72, v71 offset:32764
; %bb.51:
	s_or_b32 exec_lo, exec_lo, s2
	v_sub_co_u32 v71, vcc_lo, v69, 1
	s_wait_dscnt 0x0
	v_add_nc_u32_e32 v70, v72, v70
	s_delay_alu instid0(VALU_DEP_2) | instskip(NEXT) | instid1(VALU_DEP_1)
	v_cmp_gt_i32_e64 s2, 0, v71
	v_cndmask_b32_e64 v69, v71, v69, s2
	v_cmp_gt_u32_e64 s2, 16, v0
	s_delay_alu instid0(VALU_DEP_2)
	v_lshlrev_b32_e32 v69, 2, v69
	ds_bpermute_b32 v69, v69, v70
	ds_load_b32 v70, v73 offset:32892
	ds_load_2addr_b64 v[74:77], v68 offset1:1
	ds_load_b32 v78, v68 offset:24
	s_wait_dscnt 0x3
	v_cndmask_b32_e32 v69, v69, v72, vcc_lo
	ds_load_b64 v[72:73], v68 offset:16
	v_cmp_lt_u32_e32 vcc_lo, 15, v0
	s_wait_dscnt 0x3
	v_lshl_add_u32 v70, v70, 16, v69
	s_wait_dscnt 0x2
	s_delay_alu instid0(VALU_DEP_1) | instskip(NEXT) | instid1(VALU_DEP_1)
	v_add_nc_u32_e32 v71, v70, v74
	v_add_nc_u32_e32 v74, v75, v71
	s_delay_alu instid0(VALU_DEP_1) | instskip(NEXT) | instid1(VALU_DEP_1)
	v_add_nc_u32_e32 v75, v76, v74
	v_add_nc_u32_e32 v76, v77, v75
	s_wait_dscnt 0x0
	s_delay_alu instid0(VALU_DEP_1) | instskip(NEXT) | instid1(VALU_DEP_1)
	v_add_nc_u32_e32 v77, v72, v76
	v_add_nc_u32_e32 v72, v73, v77
	s_delay_alu instid0(VALU_DEP_1)
	v_add_nc_u32_e32 v73, v78, v72
	ds_store_2addr_b64 v68, v[70:71], v[74:75] offset1:1
	ds_store_2addr_b64 v68, v[76:77], v[72:73] offset0:2 offset1:3
	s_wait_dscnt 0x0
	s_barrier_signal -1
	s_barrier_wait -1
	ds_load_u16 v68, v2
	ds_load_u16 v69, v3
	;; [unrolled: 1-line block ×22, first 2 shown]
	v_mov_b64_e32 v[2:3], 0
                                        ; implicit-def: $vgpr4
	s_and_saveexec_b32 s4, s2
	s_cbranch_execz .LBB135_55
; %bb.52:
	v_dual_lshlrev_b32 v2, 12, v0 :: v_dual_lshrrev_b32 v3, 2, v0
	v_add_nc_u32_e32 v4, 1, v0
	s_mov_b32 s5, exec_lo
	s_delay_alu instid0(VALU_DEP_2)
	v_bitop3_b32 v2, v2, 0x70fe, v3 bitop3:0xc8
	v_mov_b32_e32 v3, 0x5800
	ds_load_u16 v2, v2
	v_cmpx_ne_u32_e32 16, v4
; %bb.53:
	v_dual_lshlrev_b32 v3, 12, v4 :: v_dual_lshrrev_b32 v4, 2, v4
	s_delay_alu instid0(VALU_DEP_1)
	v_bitop3_b32 v3, v3, 0x71fe, v4 bitop3:0xc8
	ds_load_u16 v3, v3
; %bb.54:
	s_or_b32 exec_lo, exec_lo, s5
	s_wait_dscnt 0x0
	v_and_b32_e32 v2, 0xffff, v2
	s_mov_b32 s3, 0
	s_delay_alu instid0(VALU_DEP_1) | instid1(SALU_CYCLE_1)
	v_dual_mov_b32 v3, s3 :: v_dual_sub_nc_u32 v4, v3, v2
.LBB135_55:
	s_or_b32 exec_lo, exec_lo, s4
	s_wait_dscnt 0x15
	v_and_b32_e32 v68, 0xffff, v68
	v_and_b32_e32 v26, 0xffff, v26
	s_wait_dscnt 0x14
	v_and_b32_e32 v69, 0xffff, v69
	v_and_b32_e32 v27, 0xffff, v27
	;; [unrolled: 3-line block ×4, first 2 shown]
	v_dual_add_nc_u32 v26, v68, v26 :: v_dual_add_nc_u32 v27, v69, v27
	s_wait_dscnt 0x11
	v_and_b32_e32 v38, 0xffff, v38
	v_and_b32_e32 v30, 0xffff, v30
	s_wait_dscnt 0x10
	v_and_b32_e32 v40, 0xffff, v40
	v_and_b32_e32 v31, 0xffff, v31
	v_add_nc_u32_e32 v28, v34, v28
	s_wait_dscnt 0xf
	v_and_b32_e32 v42, 0xffff, v42
	v_and_b32_e32 v32, 0xffff, v32
	s_wait_dscnt 0xe
	v_and_b32_e32 v45, 0xffff, v45
	v_and_b32_e32 v33, 0xffff, v33
	;; [unrolled: 3-line block ×3, first 2 shown]
	s_wait_dscnt 0x0
	s_barrier_signal -1
	s_barrier_wait -1
	ds_store_b8 v26, v24 offset:128
	ds_store_b8 v27, v25 offset:128
	;; [unrolled: 1-line block ×3, first 2 shown]
	v_add_nc_u32_e32 v7, v36, v29
	v_and_b32_e32 v51, 0xffff, v51
	v_and_b32_e32 v37, 0xffff, v37
	v_dual_add_nc_u32 v24, v38, v30 :: v_dual_add_nc_u32 v25, v40, v31
	v_and_b32_e32 v53, 0xffff, v53
	v_and_b32_e32 v39, 0xffff, v39
	;; [unrolled: 1-line block ×4, first 2 shown]
	v_dual_add_nc_u32 v26, v42, v32 :: v_dual_add_nc_u32 v27, v45, v33
	v_and_b32_e32 v57, 0xffff, v57
	v_and_b32_e32 v43, 0xffff, v43
	;; [unrolled: 1-line block ×4, first 2 shown]
	ds_store_b8 v7, v23 offset:128
	ds_store_b8 v24, v22 offset:128
	;; [unrolled: 1-line block ×5, first 2 shown]
	v_dual_add_nc_u32 v7, v48, v35 :: v_dual_add_nc_u32 v19, v51, v37
	v_and_b32_e32 v60, 0xffff, v60
	v_and_b32_e32 v49, 0xffff, v49
	;; [unrolled: 1-line block ×4, first 2 shown]
	v_dual_add_nc_u32 v20, v53, v39 :: v_dual_add_nc_u32 v21, v55, v41
	v_and_b32_e32 v63, 0xffff, v63
	v_and_b32_e32 v54, 0xffff, v54
	;; [unrolled: 1-line block ×4, first 2 shown]
	v_add_nc_u32_e32 v22, v57, v43
	ds_store_b8 v7, v18 offset:128
	ds_store_b8 v19, v17 offset:128
	;; [unrolled: 1-line block ×5, first 2 shown]
	v_dual_add_nc_u32 v7, v58, v46 :: v_dual_add_nc_u32 v14, v60, v49
	v_dual_add_nc_u32 v15, v62, v52 :: v_dual_add_nc_u32 v16, v63, v54
	v_add_nc_u32_e32 v17, v64, v56
	v_and_b32_e32 v65, 0xffff, v65
	v_and_b32_e32 v66, 0xffff, v66
	v_and_b32_e32 v5, 0xffff, v5
	v_and_b32_e32 v1, 0xffff, v1
	ds_store_b8 v7, v13 offset:128
	ds_store_b8 v14, v12 offset:128
	;; [unrolled: 1-line block ×5, first 2 shown]
	v_mov_b32_e32 v9, 0
	v_and_b32_e32 v70, 0xffff, v70
	v_and_b32_e32 v59, 0xffff, v59
	;; [unrolled: 1-line block ×4, first 2 shown]
	v_add_nc_u32_e32 v7, v65, v5
	v_dual_add_nc_u32 v11, v66, v1 :: v_dual_mov_b32 v1, v9
	v_dual_lshlrev_b32 v5, 3, v0 :: v_dual_add_nc_u32 v10, v70, v59
	s_delay_alu instid0(VALU_DEP_4)
	v_add_nc_u32_e32 v12, v67, v61
	s_not_b32 s3, s23
	ds_store_b8 v7, v8 offset:128
	ds_store_b8 v10, v44 offset:128
	;; [unrolled: 1-line block ×4, first 2 shown]
	s_and_saveexec_b32 s4, s2
	s_cbranch_execz .LBB135_65
; %bb.56:
	v_lshl_add_u32 v8, s19, 4, v0
	v_dual_mov_b32 v12, 0 :: v_dual_bitop2_b32 v7, 2.0, v4 bitop3:0x54
	s_mov_b32 s5, 0
	s_mov_b32 s6, s19
	s_delay_alu instid0(VALU_DEP_2)
	v_lshl_add_u64 v[10:11], v[8:9], 2, s[20:21]
	global_store_b32 v8, v7, s[20:21] scale_offset scope:SCOPE_DEV
                                        ; implicit-def: $sgpr2
	s_branch .LBB135_59
.LBB135_57:                             ;   in Loop: Header=BB135_59 Depth=1
	s_or_b32 exec_lo, exec_lo, s23
.LBB135_58:                             ;   in Loop: Header=BB135_59 Depth=1
	s_delay_alu instid0(SALU_CYCLE_1) | instskip(SKIP_2) | instid1(VALU_DEP_2)
	s_or_b32 exec_lo, exec_lo, s7
	v_and_b32_e32 v8, 0x3fffffff, v7
	v_cmp_gt_i32_e64 s2, -2.0, v7
	v_add_nc_u32_e32 v12, v8, v12
	s_and_b32 s7, exec_lo, s2
	s_delay_alu instid0(SALU_CYCLE_1) | instskip(NEXT) | instid1(SALU_CYCLE_1)
	s_or_b32 s5, s7, s5
	s_and_not1_b32 exec_lo, exec_lo, s5
	s_cbranch_execz .LBB135_64
.LBB135_59:                             ; =>This Loop Header: Depth=1
                                        ;     Child Loop BB135_62 Depth 2
	s_or_b32 s2, s2, exec_lo
	s_cmp_eq_u32 s6, 0
	s_cbranch_scc1 .LBB135_63
; %bb.60:                               ;   in Loop: Header=BB135_59 Depth=1
	s_add_co_i32 s6, s6, -1
	s_mov_b32 s7, exec_lo
	s_wait_xcnt 0x0
	v_lshl_or_b32 v8, s6, 4, v0
	global_load_b32 v7, v8, s[20:21] scale_offset scope:SCOPE_DEV
	s_wait_loadcnt 0x0
	v_cmpx_gt_u32_e32 2.0, v7
	s_cbranch_execz .LBB135_58
; %bb.61:                               ;   in Loop: Header=BB135_59 Depth=1
	v_lshl_add_u64 v[14:15], v[8:9], 2, s[20:21]
	s_mov_b32 s23, 0
.LBB135_62:                             ;   Parent Loop BB135_59 Depth=1
                                        ; =>  This Inner Loop Header: Depth=2
	global_load_b32 v7, v[14:15], off scope:SCOPE_DEV
	s_wait_loadcnt 0x0
	v_cmp_lt_u32_e64 s2, 0x3fffffff, v7
	s_or_b32 s23, s2, s23
	s_wait_xcnt 0x0
	s_and_not1_b32 exec_lo, exec_lo, s23
	s_cbranch_execnz .LBB135_62
	s_branch .LBB135_57
.LBB135_63:                             ;   in Loop: Header=BB135_59 Depth=1
                                        ; implicit-def: $sgpr6
	s_and_b32 s7, exec_lo, s2
	s_delay_alu instid0(SALU_CYCLE_1)
	s_or_b32 s5, s7, s5
	s_wait_xcnt 0x0
	s_and_not1_b32 exec_lo, exec_lo, s5
	s_cbranch_execnz .LBB135_59
.LBB135_64:
	s_or_b32 exec_lo, exec_lo, s5
	v_dual_add_nc_u32 v7, v12, v4 :: v_dual_mov_b32 v13, 0
	s_delay_alu instid0(VALU_DEP_1)
	v_or_b32_e32 v7, 0x80000000, v7
	global_store_b32 v[10:11], v7, off scope:SCOPE_DEV
	global_load_b64 v[8:9], v0, s[8:9] scale_offset
	s_wait_xcnt 0x1
	v_sub_nc_u64_e32 v[10:11], v[12:13], v[2:3]
	s_wait_loadcnt 0x0
	s_delay_alu instid0(VALU_DEP_1)
	v_add_nc_u64_e32 v[8:9], v[10:11], v[8:9]
	ds_store_b64 v5, v[8:9]
.LBB135_65:
	s_wait_xcnt 0x0
	s_or_b32 exec_lo, exec_lo, s4
	s_delay_alu instid0(SALU_CYCLE_1)
	s_mov_b32 s4, exec_lo
	s_wait_storecnt_dscnt 0x0
	s_barrier_signal -1
	s_barrier_wait -1
	v_cmpx_gt_u32_e64 s18, v0
	s_cbranch_execz .LBB135_67
; %bb.66:
	ds_load_u8 v7, v0 offset:128
	s_wait_dscnt 0x0
	v_and_b32_e32 v8, 0xff, v7
	s_delay_alu instid0(VALU_DEP_1) | instskip(NEXT) | instid1(VALU_DEP_1)
	v_dual_lshrrev_b32 v8, s16, v8 :: v_dual_bitop2_b32 v7, -1, v7 bitop3:0x14
	v_and_b32_e32 v8, s3, v8
	s_delay_alu instid0(VALU_DEP_1) | instskip(SKIP_3) | instid1(VALU_DEP_1)
	v_lshlrev_b32_e32 v8, 3, v8
	ds_load_b64 v[8:9], v8
	s_wait_dscnt 0x0
	v_add_nc_u64_e32 v[8:9], s[14:15], v[8:9]
	v_add_nc_u64_e32 v[8:9], v[8:9], v[0:1]
	global_store_b8 v[8:9], v7, off
.LBB135_67:
	s_wait_xcnt 0x0
	s_or_b32 exec_lo, exec_lo, s4
	v_or_b32_e32 v7, 0x400, v0
	s_mov_b32 s4, exec_lo
	s_delay_alu instid0(VALU_DEP_1)
	v_cmpx_gt_u32_e64 s18, v7
	s_cbranch_execz .LBB135_69
; %bb.68:
	ds_load_u8 v7, v0 offset:1152
	s_wait_dscnt 0x0
	v_and_b32_e32 v8, 0xff, v7
	s_delay_alu instid0(VALU_DEP_1) | instskip(NEXT) | instid1(VALU_DEP_1)
	v_dual_lshrrev_b32 v8, s16, v8 :: v_dual_bitop2_b32 v7, -1, v7 bitop3:0x14
	v_and_b32_e32 v8, s3, v8
	s_delay_alu instid0(VALU_DEP_1) | instskip(SKIP_3) | instid1(VALU_DEP_1)
	v_lshlrev_b32_e32 v8, 3, v8
	ds_load_b64 v[8:9], v8
	s_wait_dscnt 0x0
	v_add_nc_u64_e32 v[8:9], s[14:15], v[8:9]
	v_add_nc_u64_e32 v[8:9], v[8:9], v[0:1]
	global_store_b8 v[8:9], v7, off offset:1024
.LBB135_69:
	s_wait_xcnt 0x0
	s_or_b32 exec_lo, exec_lo, s4
	v_or_b32_e32 v7, 0x800, v0
	s_mov_b32 s4, exec_lo
	s_delay_alu instid0(VALU_DEP_1)
	v_cmpx_gt_u32_e64 s18, v7
	s_cbranch_execz .LBB135_71
; %bb.70:
	ds_load_u8 v7, v0 offset:2176
	s_wait_dscnt 0x0
	v_and_b32_e32 v8, 0xff, v7
	s_delay_alu instid0(VALU_DEP_1) | instskip(NEXT) | instid1(VALU_DEP_1)
	v_dual_lshrrev_b32 v8, s16, v8 :: v_dual_bitop2_b32 v7, -1, v7 bitop3:0x14
	v_and_b32_e32 v8, s3, v8
	s_delay_alu instid0(VALU_DEP_1) | instskip(SKIP_3) | instid1(VALU_DEP_1)
	v_lshlrev_b32_e32 v8, 3, v8
	ds_load_b64 v[8:9], v8
	s_wait_dscnt 0x0
	v_add_nc_u64_e32 v[8:9], s[14:15], v[8:9]
	v_add_nc_u64_e32 v[8:9], v[8:9], v[0:1]
	global_store_b8 v[8:9], v7, off offset:2048
.LBB135_71:
	s_wait_xcnt 0x0
	s_or_b32 exec_lo, exec_lo, s4
	v_or_b32_e32 v7, 0xc00, v0
	s_mov_b32 s4, exec_lo
	s_delay_alu instid0(VALU_DEP_1)
	v_cmpx_gt_u32_e64 s18, v7
	s_cbranch_execz .LBB135_73
; %bb.72:
	ds_load_u8 v7, v0 offset:3200
	s_wait_dscnt 0x0
	v_and_b32_e32 v8, 0xff, v7
	s_delay_alu instid0(VALU_DEP_1) | instskip(NEXT) | instid1(VALU_DEP_1)
	v_dual_lshrrev_b32 v8, s16, v8 :: v_dual_bitop2_b32 v7, -1, v7 bitop3:0x14
	v_and_b32_e32 v8, s3, v8
	s_delay_alu instid0(VALU_DEP_1) | instskip(SKIP_3) | instid1(VALU_DEP_1)
	v_lshlrev_b32_e32 v8, 3, v8
	ds_load_b64 v[8:9], v8
	s_wait_dscnt 0x0
	v_add_nc_u64_e32 v[8:9], s[14:15], v[8:9]
	v_add_nc_u64_e32 v[8:9], v[8:9], v[0:1]
	global_store_b8 v[8:9], v7, off offset:3072
.LBB135_73:
	s_wait_xcnt 0x0
	s_or_b32 exec_lo, exec_lo, s4
	v_or_b32_e32 v7, 0x1000, v0
	s_mov_b32 s4, exec_lo
	s_delay_alu instid0(VALU_DEP_1)
	v_cmpx_gt_u32_e64 s18, v7
	s_cbranch_execz .LBB135_75
; %bb.74:
	ds_load_u8 v7, v0 offset:4224
	s_wait_dscnt 0x0
	v_and_b32_e32 v8, 0xff, v7
	s_delay_alu instid0(VALU_DEP_1) | instskip(NEXT) | instid1(VALU_DEP_1)
	v_dual_lshrrev_b32 v8, s16, v8 :: v_dual_bitop2_b32 v7, -1, v7 bitop3:0x14
	v_and_b32_e32 v8, s3, v8
	s_delay_alu instid0(VALU_DEP_1) | instskip(SKIP_3) | instid1(VALU_DEP_1)
	v_lshlrev_b32_e32 v8, 3, v8
	ds_load_b64 v[8:9], v8
	s_wait_dscnt 0x0
	v_add_nc_u64_e32 v[8:9], s[14:15], v[8:9]
	v_add_nc_u64_e32 v[8:9], v[8:9], v[0:1]
	global_store_b8 v[8:9], v7, off offset:4096
.LBB135_75:
	s_wait_xcnt 0x0
	s_or_b32 exec_lo, exec_lo, s4
	v_or_b32_e32 v7, 0x1400, v0
	s_mov_b32 s4, exec_lo
	s_delay_alu instid0(VALU_DEP_1)
	v_cmpx_gt_u32_e64 s18, v7
	s_cbranch_execz .LBB135_77
; %bb.76:
	ds_load_u8 v7, v0 offset:5248
	s_wait_dscnt 0x0
	v_and_b32_e32 v8, 0xff, v7
	s_delay_alu instid0(VALU_DEP_1) | instskip(NEXT) | instid1(VALU_DEP_1)
	v_dual_lshrrev_b32 v8, s16, v8 :: v_dual_bitop2_b32 v7, -1, v7 bitop3:0x14
	v_and_b32_e32 v8, s3, v8
	s_delay_alu instid0(VALU_DEP_1) | instskip(SKIP_3) | instid1(VALU_DEP_1)
	v_lshlrev_b32_e32 v8, 3, v8
	ds_load_b64 v[8:9], v8
	s_wait_dscnt 0x0
	v_add_nc_u64_e32 v[8:9], s[14:15], v[8:9]
	v_add_nc_u64_e32 v[8:9], v[8:9], v[0:1]
	global_store_b8 v[8:9], v7, off offset:5120
.LBB135_77:
	s_wait_xcnt 0x0
	s_or_b32 exec_lo, exec_lo, s4
	v_or_b32_e32 v7, 0x1800, v0
	s_mov_b32 s4, exec_lo
	s_delay_alu instid0(VALU_DEP_1)
	v_cmpx_gt_u32_e64 s18, v7
	s_cbranch_execz .LBB135_79
; %bb.78:
	ds_load_u8 v7, v0 offset:6272
	s_wait_dscnt 0x0
	v_and_b32_e32 v8, 0xff, v7
	s_delay_alu instid0(VALU_DEP_1) | instskip(NEXT) | instid1(VALU_DEP_1)
	v_dual_lshrrev_b32 v8, s16, v8 :: v_dual_bitop2_b32 v7, -1, v7 bitop3:0x14
	v_and_b32_e32 v8, s3, v8
	s_delay_alu instid0(VALU_DEP_1) | instskip(SKIP_3) | instid1(VALU_DEP_1)
	v_lshlrev_b32_e32 v8, 3, v8
	ds_load_b64 v[8:9], v8
	s_wait_dscnt 0x0
	v_add_nc_u64_e32 v[8:9], s[14:15], v[8:9]
	v_add_nc_u64_e32 v[8:9], v[8:9], v[0:1]
	global_store_b8 v[8:9], v7, off offset:6144
.LBB135_79:
	s_wait_xcnt 0x0
	s_or_b32 exec_lo, exec_lo, s4
	v_or_b32_e32 v7, 0x1c00, v0
	s_mov_b32 s4, exec_lo
	s_delay_alu instid0(VALU_DEP_1)
	v_cmpx_gt_u32_e64 s18, v7
	s_cbranch_execz .LBB135_81
; %bb.80:
	ds_load_u8 v7, v0 offset:7296
	s_wait_dscnt 0x0
	v_and_b32_e32 v8, 0xff, v7
	s_delay_alu instid0(VALU_DEP_1) | instskip(NEXT) | instid1(VALU_DEP_1)
	v_dual_lshrrev_b32 v8, s16, v8 :: v_dual_bitop2_b32 v7, -1, v7 bitop3:0x14
	v_and_b32_e32 v8, s3, v8
	s_delay_alu instid0(VALU_DEP_1) | instskip(SKIP_3) | instid1(VALU_DEP_1)
	v_lshlrev_b32_e32 v8, 3, v8
	ds_load_b64 v[8:9], v8
	s_wait_dscnt 0x0
	v_add_nc_u64_e32 v[8:9], s[14:15], v[8:9]
	v_add_nc_u64_e32 v[8:9], v[8:9], v[0:1]
	global_store_b8 v[8:9], v7, off offset:7168
.LBB135_81:
	s_wait_xcnt 0x0
	s_or_b32 exec_lo, exec_lo, s4
	v_or_b32_e32 v7, 0x2000, v0
	s_mov_b32 s4, exec_lo
	s_delay_alu instid0(VALU_DEP_1)
	v_cmpx_gt_u32_e64 s18, v7
	s_cbranch_execz .LBB135_83
; %bb.82:
	ds_load_u8 v7, v0 offset:8320
	s_wait_dscnt 0x0
	v_and_b32_e32 v8, 0xff, v7
	s_delay_alu instid0(VALU_DEP_1) | instskip(NEXT) | instid1(VALU_DEP_1)
	v_dual_lshrrev_b32 v8, s16, v8 :: v_dual_bitop2_b32 v7, -1, v7 bitop3:0x14
	v_and_b32_e32 v8, s3, v8
	s_delay_alu instid0(VALU_DEP_1) | instskip(SKIP_3) | instid1(VALU_DEP_1)
	v_lshlrev_b32_e32 v8, 3, v8
	ds_load_b64 v[8:9], v8
	s_wait_dscnt 0x0
	v_add_nc_u64_e32 v[8:9], s[14:15], v[8:9]
	v_add_nc_u64_e32 v[8:9], v[8:9], v[0:1]
	global_store_b8 v[8:9], v7, off offset:8192
.LBB135_83:
	s_wait_xcnt 0x0
	s_or_b32 exec_lo, exec_lo, s4
	v_or_b32_e32 v7, 0x2400, v0
	s_mov_b32 s4, exec_lo
	s_delay_alu instid0(VALU_DEP_1)
	v_cmpx_gt_u32_e64 s18, v7
	s_cbranch_execz .LBB135_85
; %bb.84:
	ds_load_u8 v7, v0 offset:9344
	s_wait_dscnt 0x0
	v_and_b32_e32 v8, 0xff, v7
	s_delay_alu instid0(VALU_DEP_1) | instskip(NEXT) | instid1(VALU_DEP_1)
	v_dual_lshrrev_b32 v8, s16, v8 :: v_dual_bitop2_b32 v7, -1, v7 bitop3:0x14
	v_and_b32_e32 v8, s3, v8
	s_delay_alu instid0(VALU_DEP_1) | instskip(SKIP_3) | instid1(VALU_DEP_1)
	v_lshlrev_b32_e32 v8, 3, v8
	ds_load_b64 v[8:9], v8
	s_wait_dscnt 0x0
	v_add_nc_u64_e32 v[8:9], s[14:15], v[8:9]
	v_add_nc_u64_e32 v[8:9], v[8:9], v[0:1]
	global_store_b8 v[8:9], v7, off offset:9216
.LBB135_85:
	s_wait_xcnt 0x0
	s_or_b32 exec_lo, exec_lo, s4
	v_or_b32_e32 v7, 0x2800, v0
	s_mov_b32 s4, exec_lo
	s_delay_alu instid0(VALU_DEP_1)
	v_cmpx_gt_u32_e64 s18, v7
	s_cbranch_execz .LBB135_87
; %bb.86:
	ds_load_u8 v7, v0 offset:10368
	s_wait_dscnt 0x0
	v_and_b32_e32 v8, 0xff, v7
	s_delay_alu instid0(VALU_DEP_1) | instskip(NEXT) | instid1(VALU_DEP_1)
	v_dual_lshrrev_b32 v8, s16, v8 :: v_dual_bitop2_b32 v7, -1, v7 bitop3:0x14
	v_and_b32_e32 v8, s3, v8
	s_delay_alu instid0(VALU_DEP_1) | instskip(SKIP_3) | instid1(VALU_DEP_1)
	v_lshlrev_b32_e32 v8, 3, v8
	ds_load_b64 v[8:9], v8
	s_wait_dscnt 0x0
	v_add_nc_u64_e32 v[8:9], s[14:15], v[8:9]
	v_add_nc_u64_e32 v[8:9], v[8:9], v[0:1]
	global_store_b8 v[8:9], v7, off offset:10240
.LBB135_87:
	s_wait_xcnt 0x0
	s_or_b32 exec_lo, exec_lo, s4
	v_or_b32_e32 v7, 0x2c00, v0
	s_mov_b32 s4, exec_lo
	s_delay_alu instid0(VALU_DEP_1)
	v_cmpx_gt_u32_e64 s18, v7
	s_cbranch_execz .LBB135_89
; %bb.88:
	ds_load_u8 v7, v0 offset:11392
	s_wait_dscnt 0x0
	v_and_b32_e32 v8, 0xff, v7
	s_delay_alu instid0(VALU_DEP_1) | instskip(NEXT) | instid1(VALU_DEP_1)
	v_dual_lshrrev_b32 v8, s16, v8 :: v_dual_bitop2_b32 v7, -1, v7 bitop3:0x14
	v_and_b32_e32 v8, s3, v8
	s_delay_alu instid0(VALU_DEP_1) | instskip(SKIP_3) | instid1(VALU_DEP_1)
	v_lshlrev_b32_e32 v8, 3, v8
	ds_load_b64 v[8:9], v8
	s_wait_dscnt 0x0
	v_add_nc_u64_e32 v[8:9], s[14:15], v[8:9]
	v_add_nc_u64_e32 v[8:9], v[8:9], v[0:1]
	global_store_b8 v[8:9], v7, off offset:11264
.LBB135_89:
	s_wait_xcnt 0x0
	s_or_b32 exec_lo, exec_lo, s4
	v_or_b32_e32 v7, 0x3000, v0
	s_mov_b32 s4, exec_lo
	s_delay_alu instid0(VALU_DEP_1)
	v_cmpx_gt_u32_e64 s18, v7
	s_cbranch_execz .LBB135_91
; %bb.90:
	ds_load_u8 v7, v0 offset:12416
	s_wait_dscnt 0x0
	v_and_b32_e32 v8, 0xff, v7
	s_delay_alu instid0(VALU_DEP_1) | instskip(NEXT) | instid1(VALU_DEP_1)
	v_dual_lshrrev_b32 v8, s16, v8 :: v_dual_bitop2_b32 v7, -1, v7 bitop3:0x14
	v_and_b32_e32 v8, s3, v8
	s_delay_alu instid0(VALU_DEP_1) | instskip(SKIP_3) | instid1(VALU_DEP_1)
	v_lshlrev_b32_e32 v8, 3, v8
	ds_load_b64 v[8:9], v8
	s_wait_dscnt 0x0
	v_add_nc_u64_e32 v[8:9], s[14:15], v[8:9]
	v_add_nc_u64_e32 v[8:9], v[8:9], v[0:1]
	global_store_b8 v[8:9], v7, off offset:12288
.LBB135_91:
	s_wait_xcnt 0x0
	s_or_b32 exec_lo, exec_lo, s4
	v_or_b32_e32 v7, 0x3400, v0
	s_mov_b32 s4, exec_lo
	s_delay_alu instid0(VALU_DEP_1)
	v_cmpx_gt_u32_e64 s18, v7
	s_cbranch_execz .LBB135_93
; %bb.92:
	ds_load_u8 v7, v0 offset:13440
	s_wait_dscnt 0x0
	v_and_b32_e32 v8, 0xff, v7
	s_delay_alu instid0(VALU_DEP_1) | instskip(NEXT) | instid1(VALU_DEP_1)
	v_dual_lshrrev_b32 v8, s16, v8 :: v_dual_bitop2_b32 v7, -1, v7 bitop3:0x14
	v_and_b32_e32 v8, s3, v8
	s_delay_alu instid0(VALU_DEP_1) | instskip(SKIP_3) | instid1(VALU_DEP_1)
	v_lshlrev_b32_e32 v8, 3, v8
	ds_load_b64 v[8:9], v8
	s_wait_dscnt 0x0
	v_add_nc_u64_e32 v[8:9], s[14:15], v[8:9]
	v_add_nc_u64_e32 v[8:9], v[8:9], v[0:1]
	global_store_b8 v[8:9], v7, off offset:13312
.LBB135_93:
	s_wait_xcnt 0x0
	s_or_b32 exec_lo, exec_lo, s4
	v_or_b32_e32 v7, 0x3800, v0
	s_mov_b32 s4, exec_lo
	s_delay_alu instid0(VALU_DEP_1)
	v_cmpx_gt_u32_e64 s18, v7
	s_cbranch_execz .LBB135_95
; %bb.94:
	ds_load_u8 v7, v0 offset:14464
	s_wait_dscnt 0x0
	v_and_b32_e32 v8, 0xff, v7
	s_delay_alu instid0(VALU_DEP_1) | instskip(NEXT) | instid1(VALU_DEP_1)
	v_dual_lshrrev_b32 v8, s16, v8 :: v_dual_bitop2_b32 v7, -1, v7 bitop3:0x14
	v_and_b32_e32 v8, s3, v8
	s_delay_alu instid0(VALU_DEP_1) | instskip(SKIP_3) | instid1(VALU_DEP_1)
	v_lshlrev_b32_e32 v8, 3, v8
	ds_load_b64 v[8:9], v8
	s_wait_dscnt 0x0
	v_add_nc_u64_e32 v[8:9], s[14:15], v[8:9]
	v_add_nc_u64_e32 v[8:9], v[8:9], v[0:1]
	global_store_b8 v[8:9], v7, off offset:14336
.LBB135_95:
	s_wait_xcnt 0x0
	s_or_b32 exec_lo, exec_lo, s4
	v_or_b32_e32 v7, 0x3c00, v0
	s_mov_b32 s4, exec_lo
	s_delay_alu instid0(VALU_DEP_1)
	v_cmpx_gt_u32_e64 s18, v7
	s_cbranch_execz .LBB135_97
; %bb.96:
	ds_load_u8 v7, v0 offset:15488
	s_wait_dscnt 0x0
	v_and_b32_e32 v8, 0xff, v7
	s_delay_alu instid0(VALU_DEP_1) | instskip(NEXT) | instid1(VALU_DEP_1)
	v_dual_lshrrev_b32 v8, s16, v8 :: v_dual_bitop2_b32 v7, -1, v7 bitop3:0x14
	v_and_b32_e32 v8, s3, v8
	s_delay_alu instid0(VALU_DEP_1) | instskip(SKIP_3) | instid1(VALU_DEP_1)
	v_lshlrev_b32_e32 v8, 3, v8
	ds_load_b64 v[8:9], v8
	s_wait_dscnt 0x0
	v_add_nc_u64_e32 v[8:9], s[14:15], v[8:9]
	v_add_nc_u64_e32 v[8:9], v[8:9], v[0:1]
	global_store_b8 v[8:9], v7, off offset:15360
.LBB135_97:
	s_wait_xcnt 0x0
	s_or_b32 exec_lo, exec_lo, s4
	v_or_b32_e32 v7, 0x4000, v0
	s_mov_b32 s4, exec_lo
	s_delay_alu instid0(VALU_DEP_1)
	v_cmpx_gt_u32_e64 s18, v7
	s_cbranch_execz .LBB135_99
; %bb.98:
	ds_load_u8 v7, v0 offset:16512
	s_wait_dscnt 0x0
	v_and_b32_e32 v8, 0xff, v7
	s_delay_alu instid0(VALU_DEP_1) | instskip(NEXT) | instid1(VALU_DEP_1)
	v_dual_lshrrev_b32 v8, s16, v8 :: v_dual_bitop2_b32 v7, -1, v7 bitop3:0x14
	v_and_b32_e32 v8, s3, v8
	s_delay_alu instid0(VALU_DEP_1) | instskip(SKIP_3) | instid1(VALU_DEP_1)
	v_lshlrev_b32_e32 v8, 3, v8
	ds_load_b64 v[8:9], v8
	s_wait_dscnt 0x0
	v_add_nc_u64_e32 v[8:9], s[14:15], v[8:9]
	v_add_nc_u64_e32 v[8:9], v[8:9], v[0:1]
	global_store_b8 v[8:9], v7, off offset:16384
.LBB135_99:
	s_wait_xcnt 0x0
	s_or_b32 exec_lo, exec_lo, s4
	v_or_b32_e32 v7, 0x4400, v0
	s_mov_b32 s4, exec_lo
	s_delay_alu instid0(VALU_DEP_1)
	v_cmpx_gt_u32_e64 s18, v7
	s_cbranch_execz .LBB135_101
; %bb.100:
	ds_load_u8 v7, v0 offset:17536
	s_wait_dscnt 0x0
	v_and_b32_e32 v8, 0xff, v7
	s_delay_alu instid0(VALU_DEP_1) | instskip(NEXT) | instid1(VALU_DEP_1)
	v_dual_lshrrev_b32 v8, s16, v8 :: v_dual_bitop2_b32 v7, -1, v7 bitop3:0x14
	v_and_b32_e32 v8, s3, v8
	s_delay_alu instid0(VALU_DEP_1) | instskip(SKIP_3) | instid1(VALU_DEP_1)
	v_lshlrev_b32_e32 v8, 3, v8
	ds_load_b64 v[8:9], v8
	s_wait_dscnt 0x0
	v_add_nc_u64_e32 v[8:9], s[14:15], v[8:9]
	v_add_nc_u64_e32 v[8:9], v[8:9], v[0:1]
	global_store_b8 v[8:9], v7, off offset:17408
.LBB135_101:
	s_wait_xcnt 0x0
	s_or_b32 exec_lo, exec_lo, s4
	v_or_b32_e32 v7, 0x4800, v0
	s_mov_b32 s4, exec_lo
	s_delay_alu instid0(VALU_DEP_1)
	v_cmpx_gt_u32_e64 s18, v7
	s_cbranch_execz .LBB135_103
; %bb.102:
	ds_load_u8 v7, v0 offset:18560
	s_wait_dscnt 0x0
	v_and_b32_e32 v8, 0xff, v7
	s_delay_alu instid0(VALU_DEP_1) | instskip(NEXT) | instid1(VALU_DEP_1)
	v_dual_lshrrev_b32 v8, s16, v8 :: v_dual_bitop2_b32 v7, -1, v7 bitop3:0x14
	v_and_b32_e32 v8, s3, v8
	s_delay_alu instid0(VALU_DEP_1) | instskip(SKIP_3) | instid1(VALU_DEP_1)
	v_lshlrev_b32_e32 v8, 3, v8
	ds_load_b64 v[8:9], v8
	s_wait_dscnt 0x0
	v_add_nc_u64_e32 v[8:9], s[14:15], v[8:9]
	v_add_nc_u64_e32 v[8:9], v[8:9], v[0:1]
	global_store_b8 v[8:9], v7, off offset:18432
.LBB135_103:
	s_wait_xcnt 0x0
	s_or_b32 exec_lo, exec_lo, s4
	v_or_b32_e32 v7, 0x4c00, v0
	s_mov_b32 s4, exec_lo
	s_delay_alu instid0(VALU_DEP_1)
	v_cmpx_gt_u32_e64 s18, v7
	s_cbranch_execz .LBB135_105
; %bb.104:
	ds_load_u8 v7, v0 offset:19584
	s_wait_dscnt 0x0
	v_and_b32_e32 v8, 0xff, v7
	s_delay_alu instid0(VALU_DEP_1) | instskip(NEXT) | instid1(VALU_DEP_1)
	v_dual_lshrrev_b32 v8, s16, v8 :: v_dual_bitop2_b32 v7, -1, v7 bitop3:0x14
	v_and_b32_e32 v8, s3, v8
	s_delay_alu instid0(VALU_DEP_1) | instskip(SKIP_3) | instid1(VALU_DEP_1)
	v_lshlrev_b32_e32 v8, 3, v8
	ds_load_b64 v[8:9], v8
	s_wait_dscnt 0x0
	v_add_nc_u64_e32 v[8:9], s[14:15], v[8:9]
	v_add_nc_u64_e32 v[8:9], v[8:9], v[0:1]
	global_store_b8 v[8:9], v7, off offset:19456
.LBB135_105:
	s_wait_xcnt 0x0
	s_or_b32 exec_lo, exec_lo, s4
	v_or_b32_e32 v7, 0x5000, v0
	s_mov_b32 s4, exec_lo
	s_delay_alu instid0(VALU_DEP_1)
	v_cmpx_gt_u32_e64 s18, v7
	s_cbranch_execz .LBB135_107
; %bb.106:
	ds_load_u8 v7, v0 offset:20608
	s_wait_dscnt 0x0
	v_and_b32_e32 v8, 0xff, v7
	s_delay_alu instid0(VALU_DEP_1) | instskip(NEXT) | instid1(VALU_DEP_1)
	v_dual_lshrrev_b32 v8, s16, v8 :: v_dual_bitop2_b32 v7, -1, v7 bitop3:0x14
	v_and_b32_e32 v8, s3, v8
	s_delay_alu instid0(VALU_DEP_1) | instskip(SKIP_3) | instid1(VALU_DEP_1)
	v_lshlrev_b32_e32 v8, 3, v8
	ds_load_b64 v[8:9], v8
	s_wait_dscnt 0x0
	v_add_nc_u64_e32 v[8:9], s[14:15], v[8:9]
	v_add_nc_u64_e32 v[8:9], v[8:9], v[0:1]
	global_store_b8 v[8:9], v7, off offset:20480
.LBB135_107:
	s_wait_xcnt 0x0
	s_or_b32 exec_lo, exec_lo, s4
	v_or_b32_e32 v7, 0x5400, v0
	s_mov_b32 s4, exec_lo
	s_delay_alu instid0(VALU_DEP_1)
	v_cmpx_gt_u32_e64 s18, v7
	s_cbranch_execz .LBB135_109
; %bb.108:
	ds_load_u8 v7, v0 offset:21632
	s_wait_dscnt 0x0
	v_and_b32_e32 v8, 0xff, v7
	s_delay_alu instid0(VALU_DEP_1) | instskip(NEXT) | instid1(VALU_DEP_1)
	v_lshrrev_b32_e32 v8, s16, v8
	v_and_b32_e32 v8, s3, v8
	s_delay_alu instid0(VALU_DEP_1) | instskip(SKIP_3) | instid1(VALU_DEP_1)
	v_lshlrev_b32_e32 v8, 3, v8
	ds_load_b64 v[8:9], v8
	s_wait_dscnt 0x0
	v_add_nc_u64_e32 v[8:9], s[14:15], v[8:9]
	v_add_nc_u64_e32 v[8:9], v[8:9], v[0:1]
	v_xor_b32_e32 v1, -1, v7
	global_store_b8 v[8:9], v1, off offset:21504
.LBB135_109:
	s_wait_xcnt 0x0
	s_or_b32 exec_lo, exec_lo, s4
	s_load_b32 s2, s[0:1], 0x58
	s_wait_kmcnt 0x0
	s_add_co_i32 s2, s2, -1
	s_delay_alu instid0(SALU_CYCLE_1) | instskip(SKIP_2) | instid1(SALU_CYCLE_1)
	s_cmp_eq_u32 s19, s2
	s_cselect_b32 s2, -1, 0
	s_xor_b32 s3, vcc_lo, -1
	s_and_b32 s3, s3, s2
	s_delay_alu instid0(SALU_CYCLE_1)
	s_and_saveexec_b32 s2, s3
	s_cbranch_execz .LBB135_111
; %bb.110:
	ds_load_b64 v[8:9], v5
	v_mov_b32_e32 v5, 0
	s_delay_alu instid0(VALU_DEP_1) | instskip(SKIP_1) | instid1(VALU_DEP_1)
	v_add_nc_u64_e32 v[2:3], v[2:3], v[4:5]
	s_wait_dscnt 0x0
	v_add_nc_u64_e32 v[2:3], v[2:3], v[8:9]
	global_store_b64 v0, v[2:3], s[10:11] scale_offset
.LBB135_111:
	s_wait_xcnt 0x0
	s_or_b32 exec_lo, exec_lo, s2
	s_mov_b32 s2, 0
.LBB135_112:
	s_delay_alu instid0(SALU_CYCLE_1)
	s_and_b32 vcc_lo, exec_lo, s2
	s_cbranch_vccz .LBB135_135
; %bb.113:
	s_mov_b32 s23, 0
	s_mov_b32 s7, exec_lo
	s_add_nc_u64 s[2:3], s[12:13], s[22:23]
	s_lshl_b32 s12, -1, s17
	s_clause 0x1
	global_load_b128 v[2:5], v6, s[2:3]
	global_load_b32 v8, v6, s[2:3] offset:16
	s_wait_loadcnt 0x1
	v_dual_lshlrev_b32 v12, 2, v0 :: v_dual_bitop2_b32 v1, -1, v2 bitop3:0x14
	s_delay_alu instid0(VALU_DEP_1) | instskip(NEXT) | instid1(VALU_DEP_1)
	v_and_b32_e32 v7, 0xff, v1
	v_lshrrev_b32_e32 v7, s16, v7
	s_delay_alu instid0(VALU_DEP_1) | instskip(SKIP_1) | instid1(VALU_DEP_2)
	v_bitop3_b32 v7, v7, s12, v7 bitop3:0x30
	v_dual_lshrrev_b32 v9, 8, v2 :: v_dual_mov_b32 v13, 0
	v_dual_lshlrev_b32 v10, 10, v7 :: v_dual_lshrrev_b32 v11, 2, v7
	s_delay_alu instid0(VALU_DEP_2)
	v_xor_b32_e32 v7, -1, v9
	ds_store_2addr_stride64_b32 v12, v13, v13 offset1:16
	ds_store_2addr_stride64_b32 v12, v13, v13 offset0:32 offset1:48
	ds_store_2addr_stride64_b32 v12, v13, v13 offset0:64 offset1:80
	;; [unrolled: 1-line block ×3, first 2 shown]
	v_and_or_b32 v9, 0x1c00, v10, v0
	v_and_b32_e32 v10, 62, v11
	v_and_b32_e32 v11, 0xff, v7
	global_load_u16 v42, v6, s[2:3] offset:20
	v_lshl_add_u32 v17, v9, 2, v10
	v_lshrrev_b32_e32 v9, s16, v11
	ds_load_u16 v11, v17
	v_bitop3_b32 v9, v9, s12, v9 bitop3:0x30
	v_dual_lshrrev_b32 v10, 16, v2 :: v_dual_lshrrev_b32 v2, 24, v2
	s_delay_alu instid0(VALU_DEP_2) | instskip(NEXT) | instid1(VALU_DEP_2)
	v_dual_lshlrev_b32 v12, 10, v9 :: v_dual_lshrrev_b32 v9, 2, v9
	v_xor_b32_e32 v10, -1, v10
	s_delay_alu instid0(VALU_DEP_2) | instskip(NEXT) | instid1(VALU_DEP_3)
	v_and_or_b32 v12, 0x1c00, v12, v0
	v_and_b32_e32 v9, 62, v9
	s_delay_alu instid0(VALU_DEP_3) | instskip(NEXT) | instid1(VALU_DEP_2)
	v_and_b32_e32 v13, 0xff, v10
	v_lshl_add_u32 v20, v12, 2, v9
	s_delay_alu instid0(VALU_DEP_2) | instskip(SKIP_2) | instid1(VALU_DEP_2)
	v_dual_lshrrev_b32 v9, s16, v13 :: v_dual_bitop2_b32 v12, -1, v2 bitop3:0x14
	s_wait_dscnt 0x0
	v_add_nc_u16 v14, v11, 1
	v_bitop3_b32 v9, v9, s12, v9 bitop3:0x30
	ds_store_b16 v17, v14
	ds_load_u16 v14, v20
	v_dual_lshlrev_b32 v13, 10, v9 :: v_dual_lshrrev_b32 v9, 2, v9
	s_delay_alu instid0(VALU_DEP_1) | instskip(NEXT) | instid1(VALU_DEP_2)
	v_and_or_b32 v2, 0x1c00, v13, v0
	v_and_b32_e32 v9, 62, v9
	v_and_b32_e32 v13, 0xff, v12
	s_delay_alu instid0(VALU_DEP_2) | instskip(NEXT) | instid1(VALU_DEP_2)
	v_lshl_add_u32 v2, v2, 2, v9
	v_dual_lshrrev_b32 v9, s16, v13 :: v_dual_bitop2_b32 v13, -1, v3 bitop3:0x14
	s_delay_alu instid0(VALU_DEP_1) | instskip(SKIP_2) | instid1(VALU_DEP_3)
	v_bitop3_b32 v9, v9, s12, v9 bitop3:0x30
	s_wait_dscnt 0x0
	v_add_nc_u16 v15, v14, 1
	v_and_b32_e32 v18, 0xff, v13
	s_delay_alu instid0(VALU_DEP_3) | instskip(SKIP_4) | instid1(VALU_DEP_1)
	v_dual_lshlrev_b32 v16, 10, v9 :: v_dual_lshrrev_b32 v9, 2, v9
	ds_store_b16 v20, v15
	ds_load_u16 v15, v2
	v_and_or_b32 v16, 0x1c00, v16, v0
	v_and_b32_e32 v9, 62, v9
	v_lshl_add_u32 v27, v16, 2, v9
	v_dual_lshrrev_b32 v16, 8, v3 :: v_dual_lshrrev_b32 v9, s16, v18
	s_delay_alu instid0(VALU_DEP_1) | instskip(NEXT) | instid1(VALU_DEP_2)
	v_xor_b32_e32 v16, -1, v16
	v_bitop3_b32 v9, v9, s12, v9 bitop3:0x30
	s_delay_alu instid0(VALU_DEP_2) | instskip(SKIP_2) | instid1(VALU_DEP_3)
	v_and_b32_e32 v21, 0xff, v16
	s_wait_dscnt 0x0
	v_add_nc_u16 v19, v15, 1
	v_dual_lshlrev_b32 v18, 10, v9 :: v_dual_lshrrev_b32 v9, 2, v9
	ds_store_b16 v2, v19
	ds_load_u16 v19, v27
	v_and_or_b32 v18, 0x1c00, v18, v0
	v_and_b32_e32 v9, 62, v9
	s_delay_alu instid0(VALU_DEP_1) | instskip(SKIP_1) | instid1(VALU_DEP_1)
	v_lshl_add_u32 v34, v18, 2, v9
	v_dual_lshrrev_b32 v18, 16, v3 :: v_dual_lshrrev_b32 v9, s16, v21
	v_dual_lshrrev_b32 v3, 24, v3 :: v_dual_bitop2_b32 v18, -1, v18 bitop3:0x14
	s_delay_alu instid0(VALU_DEP_2) | instskip(SKIP_1) | instid1(VALU_DEP_2)
	v_bitop3_b32 v9, v9, s12, v9 bitop3:0x30
	s_wait_xcnt 0x0
	v_and_b32_e32 v6, 0xff, v18
	s_wait_dscnt 0x0
	v_add_nc_u16 v22, v19, 1
	s_delay_alu instid0(VALU_DEP_2) | instskip(SKIP_4) | instid1(VALU_DEP_2)
	v_lshrrev_b32_e32 v6, s16, v6
	ds_store_b16 v27, v22
	ds_load_u16 v21, v34
	v_dual_lshlrev_b32 v22, 10, v9 :: v_dual_lshrrev_b32 v9, 2, v9
	v_bitop3_b32 v6, v6, s12, v6 bitop3:0x30
	v_and_or_b32 v22, 0x1c00, v22, v0
	s_delay_alu instid0(VALU_DEP_3) | instskip(NEXT) | instid1(VALU_DEP_1)
	v_and_b32_e32 v9, 62, v9
	v_lshl_add_u32 v41, v22, 2, v9
	s_delay_alu instid0(VALU_DEP_4) | instskip(SKIP_1) | instid1(VALU_DEP_2)
	v_dual_lshlrev_b32 v9, 10, v6 :: v_dual_lshrrev_b32 v22, 2, v6
	v_xor_b32_e32 v6, -1, v3
	v_and_or_b32 v3, 0x1c00, v9, v0
	s_delay_alu instid0(VALU_DEP_3) | instskip(SKIP_3) | instid1(VALU_DEP_3)
	v_and_b32_e32 v9, 62, v22
	s_wait_dscnt 0x0
	v_add_nc_u16 v23, v21, 1
	v_and_b32_e32 v22, 0xff, v6
	v_lshl_add_u32 v3, v3, 2, v9
	ds_store_b16 v34, v23
	ds_load_u16 v25, v41
	v_dual_lshrrev_b32 v9, s16, v22 :: v_dual_bitop2_b32 v22, -1, v4 bitop3:0x14
	s_delay_alu instid0(VALU_DEP_1) | instskip(NEXT) | instid1(VALU_DEP_2)
	v_bitop3_b32 v9, v9, s12, v9 bitop3:0x30
	v_and_b32_e32 v24, 0xff, v22
	s_wait_dscnt 0x0
	v_add_nc_u16 v23, v25, 1
	ds_store_b16 v41, v23
	ds_load_u16 v29, v3
	v_dual_lshlrev_b32 v23, 10, v9 :: v_dual_lshrrev_b32 v9, 2, v9
	s_delay_alu instid0(VALU_DEP_1) | instskip(NEXT) | instid1(VALU_DEP_2)
	v_and_or_b32 v23, 0x1c00, v23, v0
	v_and_b32_e32 v9, 62, v9
	s_delay_alu instid0(VALU_DEP_1) | instskip(SKIP_1) | instid1(VALU_DEP_1)
	v_lshl_add_u32 v47, v23, 2, v9
	v_lshrrev_b32_e32 v23, 8, v4
	v_dual_lshrrev_b32 v9, s16, v24 :: v_dual_bitop2_b32 v23, -1, v23 bitop3:0x14
	s_delay_alu instid0(VALU_DEP_1) | instskip(SKIP_2) | instid1(VALU_DEP_2)
	v_bitop3_b32 v9, v9, s12, v9 bitop3:0x30
	s_wait_dscnt 0x0
	v_add_nc_u16 v26, v29, 1
	v_lshlrev_b32_e32 v24, 10, v9
	ds_store_b16 v3, v26
	ds_load_u16 v31, v47
	v_lshrrev_b32_e32 v9, 2, v9
	v_and_b32_e32 v26, 0xff, v23
	v_and_or_b32 v24, 0x1c00, v24, v0
	s_delay_alu instid0(VALU_DEP_3) | instskip(NEXT) | instid1(VALU_DEP_1)
	v_and_b32_e32 v9, 62, v9
	v_lshl_add_u32 v49, v24, 2, v9
	v_dual_lshrrev_b32 v24, 16, v4 :: v_dual_lshrrev_b32 v4, 24, v4
	s_delay_alu instid0(VALU_DEP_1) | instskip(NEXT) | instid1(VALU_DEP_1)
	v_dual_lshrrev_b32 v9, s16, v26 :: v_dual_bitop2_b32 v24, -1, v24 bitop3:0x14
	v_bitop3_b32 v9, v9, s12, v9 bitop3:0x30
	s_wait_dscnt 0x0
	v_add_nc_u16 v28, v31, 1
	s_delay_alu instid0(VALU_DEP_2)
	v_dual_lshlrev_b32 v26, 10, v9 :: v_dual_lshrrev_b32 v9, 2, v9
	ds_store_b16 v47, v28
	ds_load_u16 v33, v49
	v_and_b32_e32 v28, 0xff, v24
	v_and_or_b32 v26, 0x1c00, v26, v0
	v_and_b32_e32 v9, 62, v9
	s_delay_alu instid0(VALU_DEP_1) | instskip(NEXT) | instid1(VALU_DEP_4)
	v_lshl_add_u32 v51, v26, 2, v9
	v_lshrrev_b32_e32 v9, s16, v28
	v_xor_b32_e32 v26, -1, v4
	s_delay_alu instid0(VALU_DEP_2) | instskip(NEXT) | instid1(VALU_DEP_1)
	v_bitop3_b32 v9, v9, s12, v9 bitop3:0x30
	v_dual_lshlrev_b32 v28, 10, v9 :: v_dual_lshrrev_b32 v9, 2, v9
	s_wait_dscnt 0x0
	v_add_nc_u16 v30, v33, 1
	s_delay_alu instid0(VALU_DEP_2) | instskip(NEXT) | instid1(VALU_DEP_3)
	v_and_or_b32 v4, 0x1c00, v28, v0
	v_and_b32_e32 v9, 62, v9
	ds_store_b16 v49, v30
	ds_load_u16 v35, v51
	v_and_b32_e32 v28, 0xff, v26
	v_lshl_add_u32 v4, v4, 2, v9
	s_delay_alu instid0(VALU_DEP_2) | instskip(NEXT) | instid1(VALU_DEP_1)
	v_dual_lshrrev_b32 v9, s16, v28 :: v_dual_bitop2_b32 v28, -1, v5 bitop3:0x14
	v_bitop3_b32 v9, v9, s12, v9 bitop3:0x30
	s_delay_alu instid0(VALU_DEP_2)
	v_and_b32_e32 v32, 0xff, v28
	s_wait_dscnt 0x0
	v_add_nc_u16 v30, v35, 1
	ds_store_b16 v51, v30
	ds_load_u16 v38, v4
	v_dual_lshlrev_b32 v30, 10, v9 :: v_dual_lshrrev_b32 v9, 2, v9
	s_delay_alu instid0(VALU_DEP_1) | instskip(NEXT) | instid1(VALU_DEP_2)
	v_and_or_b32 v30, 0x1c00, v30, v0
	v_and_b32_e32 v9, 62, v9
	s_delay_alu instid0(VALU_DEP_1) | instskip(SKIP_1) | instid1(VALU_DEP_1)
	v_lshl_add_u32 v54, v30, 2, v9
	v_dual_lshrrev_b32 v30, 8, v5 :: v_dual_lshrrev_b32 v9, s16, v32
	v_xor_b32_e32 v30, -1, v30
	s_delay_alu instid0(VALU_DEP_2) | instskip(SKIP_2) | instid1(VALU_DEP_2)
	v_bitop3_b32 v9, v9, s12, v9 bitop3:0x30
	s_wait_dscnt 0x0
	v_add_nc_u16 v36, v38, 1
	v_dual_lshlrev_b32 v32, 10, v9 :: v_dual_lshrrev_b32 v9, 2, v9
	ds_store_b16 v4, v36
	ds_load_u16 v40, v54
	v_and_b32_e32 v36, 0xff, v30
	v_and_or_b32 v32, 0x1c00, v32, v0
	v_and_b32_e32 v9, 62, v9
	s_delay_alu instid0(VALU_DEP_1) | instskip(NEXT) | instid1(VALU_DEP_4)
	v_lshl_add_u32 v56, v32, 2, v9
	v_dual_lshrrev_b32 v9, s16, v36 :: v_dual_lshrrev_b32 v32, 16, v5
	v_lshrrev_b32_e32 v5, 24, v5
	s_delay_alu instid0(VALU_DEP_2) | instskip(NEXT) | instid1(VALU_DEP_1)
	v_bitop3_b32 v9, v9, s12, v9 bitop3:0x30
	v_dual_lshlrev_b32 v36, 10, v9 :: v_dual_bitop2_b32 v32, -1, v32 bitop3:0x14
	v_lshrrev_b32_e32 v9, 2, v9
	s_wait_dscnt 0x0
	v_add_nc_u16 v37, v40, 1
	s_delay_alu instid0(VALU_DEP_3) | instskip(NEXT) | instid1(VALU_DEP_3)
	v_and_or_b32 v36, 0x1c00, v36, v0
	v_and_b32_e32 v9, 62, v9
	ds_store_b16 v54, v37
	ds_load_u16 v43, v56
	v_and_b32_e32 v37, 0xff, v32
	v_lshl_add_u32 v58, v36, 2, v9
	s_delay_alu instid0(VALU_DEP_2) | instskip(NEXT) | instid1(VALU_DEP_1)
	v_lshrrev_b32_e32 v9, s16, v37
	v_bitop3_b32 v9, v9, s12, v9 bitop3:0x30
	s_delay_alu instid0(VALU_DEP_1) | instskip(SKIP_2) | instid1(VALU_DEP_2)
	v_dual_lshlrev_b32 v36, 10, v9 :: v_dual_lshrrev_b32 v9, 2, v9
	s_wait_dscnt 0x0
	v_add_nc_u16 v39, v43, 1
	v_and_or_b32 v36, 0x1c00, v36, v0
	s_delay_alu instid0(VALU_DEP_3)
	v_and_b32_e32 v9, 62, v9
	ds_store_b16 v56, v39
	ds_load_u16 v44, v58
	v_lshl_add_u32 v59, v36, 2, v9
	s_wait_loadcnt 0x1
	v_xor_b32_e32 v36, -1, v8
	s_wait_dscnt 0x0
	v_add_nc_u16 v39, v44, 1
	ds_store_b16 v58, v39
	v_and_b32_e32 v39, 0xff, v36
	v_xor_b32_e32 v5, -1, v5
	ds_load_u16 v45, v59
	v_and_b32_e32 v37, 0xff, v5
	s_delay_alu instid0(VALU_DEP_1) | instskip(NEXT) | instid1(VALU_DEP_1)
	v_lshrrev_b32_e32 v9, s16, v37
	v_bitop3_b32 v9, v9, s12, v9 bitop3:0x30
	s_delay_alu instid0(VALU_DEP_1) | instskip(SKIP_2) | instid1(VALU_DEP_2)
	v_dual_lshlrev_b32 v37, 10, v9 :: v_dual_lshrrev_b32 v9, 2, v9
	s_wait_dscnt 0x0
	v_add_nc_u16 v46, v45, 1
	v_and_or_b32 v37, 0x1c00, v37, v0
	s_delay_alu instid0(VALU_DEP_3)
	v_and_b32_e32 v9, 62, v9
	ds_store_b16 v59, v46
	v_lshl_add_u32 v60, v37, 2, v9
	v_dual_lshrrev_b32 v9, s16, v39 :: v_dual_lshrrev_b32 v37, 8, v8
	ds_load_u16 v46, v60
	v_bitop3_b32 v9, v9, s12, v9 bitop3:0x30
	v_xor_b32_e32 v39, -1, v37
	s_delay_alu instid0(VALU_DEP_2) | instskip(NEXT) | instid1(VALU_DEP_1)
	v_dual_lshlrev_b32 v48, 10, v9 :: v_dual_lshrrev_b32 v9, 2, v9
	v_and_or_b32 v37, 0x1c00, v48, v0
	s_delay_alu instid0(VALU_DEP_2) | instskip(NEXT) | instid1(VALU_DEP_4)
	v_and_b32_e32 v9, 62, v9
	v_and_b32_e32 v48, 0xff, v39
	s_delay_alu instid0(VALU_DEP_2) | instskip(SKIP_1) | instid1(VALU_DEP_3)
	v_lshl_add_u32 v61, v37, 2, v9
	v_lshrrev_b32_e32 v37, 16, v8
	v_lshrrev_b32_e32 v9, s16, v48
	s_wait_dscnt 0x0
	v_add_nc_u16 v50, v46, 1
	s_delay_alu instid0(VALU_DEP_3) | instskip(NEXT) | instid1(VALU_DEP_3)
	v_xor_b32_e32 v37, -1, v37
	v_bitop3_b32 v9, v9, s12, v9 bitop3:0x30
	ds_store_b16 v60, v50
	ds_load_u16 v48, v61
	v_and_b32_e32 v52, 0xff, v37
	v_dual_lshlrev_b32 v50, 10, v9 :: v_dual_lshrrev_b32 v9, 2, v9
	s_delay_alu instid0(VALU_DEP_2) | instskip(NEXT) | instid1(VALU_DEP_2)
	v_lshrrev_b32_e32 v52, s16, v52
	v_and_or_b32 v50, 0x1c00, v50, v0
	s_delay_alu instid0(VALU_DEP_3) | instskip(NEXT) | instid1(VALU_DEP_3)
	v_and_b32_e32 v9, 62, v9
	v_bitop3_b32 v55, v52, s12, v52 bitop3:0x30
	s_delay_alu instid0(VALU_DEP_2)
	v_lshl_add_u32 v62, v50, 2, v9
	s_wait_loadcnt 0x0
	v_and_b32_e32 v9, 0xffff, v42
	v_xor_b32_e32 v42, -1, v42
	s_wait_dscnt 0x0
	v_add_nc_u16 v53, v48, 1
	ds_store_b16 v61, v53
	ds_load_u16 v50, v62
	v_lshrrev_b64 v[52:53], 24, v[8:9]
	v_dual_lshlrev_b32 v53, 10, v55 :: v_dual_lshrrev_b32 v55, 2, v55
	s_delay_alu instid0(VALU_DEP_2) | instskip(NEXT) | instid1(VALU_DEP_2)
	v_dual_lshrrev_b32 v9, 8, v9 :: v_dual_bitop2_b32 v8, -1, v52 bitop3:0x14
	v_and_or_b32 v52, 0x1c00, v53, v0
	s_delay_alu instid0(VALU_DEP_2) | instskip(NEXT) | instid1(VALU_DEP_1)
	v_xor_b32_e32 v9, -1, v9
	v_and_b32_e32 v66, 0xff, v9
	s_wait_dscnt 0x0
	v_add_nc_u16 v57, v50, 1
	ds_store_b16 v62, v57
	v_and_b32_e32 v57, 0xff, v42
	v_and_b32_e32 v53, 62, v55
	;; [unrolled: 1-line block ×3, first 2 shown]
	s_delay_alu instid0(VALU_DEP_2) | instskip(NEXT) | instid1(VALU_DEP_2)
	v_lshl_add_u32 v63, v52, 2, v53
	v_lshrrev_b32_e32 v53, s16, v55
	ds_load_u16 v52, v63
	v_bitop3_b32 v53, v53, s12, v53 bitop3:0x30
	s_delay_alu instid0(VALU_DEP_1) | instskip(NEXT) | instid1(VALU_DEP_1)
	v_dual_lshlrev_b32 v55, 10, v53 :: v_dual_lshrrev_b32 v53, 2, v53
	v_and_or_b32 v55, 0x1c00, v55, v0
	s_delay_alu instid0(VALU_DEP_2) | instskip(NEXT) | instid1(VALU_DEP_1)
	v_and_b32_e32 v53, 62, v53
	v_lshl_add_u32 v64, v55, 2, v53
	v_lshrrev_b32_e32 v55, s16, v57
	s_wait_dscnt 0x0
	v_add_nc_u16 v65, v52, 1
	s_delay_alu instid0(VALU_DEP_2) | instskip(SKIP_3) | instid1(VALU_DEP_1)
	v_bitop3_b32 v55, v55, s12, v55 bitop3:0x30
	ds_store_b16 v63, v65
	ds_load_u16 v53, v64
	v_dual_lshlrev_b32 v57, 10, v55 :: v_dual_lshrrev_b32 v55, 2, v55
	v_and_or_b32 v57, 0x1c00, v57, v0
	s_delay_alu instid0(VALU_DEP_2) | instskip(NEXT) | instid1(VALU_DEP_1)
	v_and_b32_e32 v55, 62, v55
	v_lshl_add_u32 v65, v57, 2, v55
	v_lshrrev_b32_e32 v57, s16, v66
	s_delay_alu instid0(VALU_DEP_1) | instskip(SKIP_2) | instid1(VALU_DEP_2)
	v_bitop3_b32 v57, v57, s12, v57 bitop3:0x30
	s_wait_dscnt 0x0
	v_add_nc_u16 v67, v53, 1
	v_dual_lshlrev_b32 v66, 10, v57 :: v_dual_lshrrev_b32 v57, 2, v57
	ds_store_b16 v64, v67
	ds_load_u16 v55, v65
	v_and_or_b32 v66, 0x1c00, v66, v0
	v_and_b32_e32 v57, 62, v57
	s_delay_alu instid0(VALU_DEP_1)
	v_lshl_add_u32 v66, v66, 2, v57
	s_wait_dscnt 0x0
	v_add_nc_u16 v67, v55, 1
	ds_store_b16 v65, v67
	ds_load_u16 v57, v66
	v_lshlrev_b32_e32 v67, 5, v0
	s_wait_dscnt 0x0
	v_add_nc_u16 v68, v57, 1
	ds_store_b16 v66, v68
	s_wait_storecnt_dscnt 0x0
	s_barrier_signal -1
	s_barrier_wait -1
	ds_load_2addr_b64 v[68:71], v67 offset1:1
	ds_load_2addr_b64 v[72:75], v67 offset0:2 offset1:3
	s_wait_dscnt 0x1
	v_add_nc_u32_e32 v68, v69, v68
	s_delay_alu instid0(VALU_DEP_1) | instskip(SKIP_1) | instid1(VALU_DEP_1)
	v_add3_u32 v68, v68, v70, v71
	s_wait_dscnt 0x0
	v_add3_u32 v69, v68, v72, v73
	v_mbcnt_lo_u32_b32 v68, -1, 0
	v_and_b32_e32 v72, 31, v0
	s_delay_alu instid0(VALU_DEP_3) | instskip(NEXT) | instid1(VALU_DEP_3)
	v_add3_u32 v69, v69, v74, v75
	v_and_b32_e32 v70, 15, v68
	s_delay_alu instid0(VALU_DEP_2) | instskip(NEXT) | instid1(VALU_DEP_2)
	v_mov_b32_dpp v71, v69 row_shr:1 row_mask:0xf bank_mask:0xf
	v_cmp_eq_u32_e32 vcc_lo, 0, v70
	s_delay_alu instid0(VALU_DEP_2) | instskip(NEXT) | instid1(VALU_DEP_1)
	v_cndmask_b32_e64 v71, v71, 0, vcc_lo
	v_add_nc_u32_e32 v69, v71, v69
	v_cmp_lt_u32_e64 s2, 1, v70
	v_cmp_lt_u32_e64 s3, 3, v70
	;; [unrolled: 1-line block ×3, first 2 shown]
	s_delay_alu instid0(VALU_DEP_4) | instskip(NEXT) | instid1(VALU_DEP_1)
	v_mov_b32_dpp v71, v69 row_shr:2 row_mask:0xf bank_mask:0xf
	v_cndmask_b32_e64 v71, 0, v71, s2
	s_delay_alu instid0(VALU_DEP_1) | instskip(NEXT) | instid1(VALU_DEP_1)
	v_add_nc_u32_e32 v69, v69, v71
	v_mov_b32_dpp v71, v69 row_shr:4 row_mask:0xf bank_mask:0xf
	s_delay_alu instid0(VALU_DEP_1) | instskip(NEXT) | instid1(VALU_DEP_1)
	v_cndmask_b32_e64 v71, 0, v71, s3
	v_add_nc_u32_e32 v69, v69, v71
	s_delay_alu instid0(VALU_DEP_1) | instskip(NEXT) | instid1(VALU_DEP_1)
	v_mov_b32_dpp v71, v69 row_shr:8 row_mask:0xf bank_mask:0xf
	v_cndmask_b32_e64 v70, 0, v71, s4
	v_bfe_i32 v71, v68, 4, 1
	s_delay_alu instid0(VALU_DEP_2) | instskip(SKIP_3) | instid1(VALU_DEP_1)
	v_add_nc_u32_e32 v69, v69, v70
	ds_swizzle_b32 v70, v69 offset:swizzle(BROADCAST,32,15)
	s_wait_dscnt 0x0
	v_dual_lshrrev_b32 v71, 5, v0 :: v_dual_bitop2_b32 v70, v71, v70 bitop3:0x40
	v_dual_add_nc_u32 v69, v69, v70 :: v_dual_bitop2_b32 v73, 16, v68 bitop3:0x40
	s_delay_alu instid0(VALU_DEP_2) | instskip(NEXT) | instid1(VALU_DEP_2)
	v_lshlrev_b32_e32 v70, 2, v71
	v_cmp_eq_u32_e64 s5, 0, v73
	v_cmpx_eq_u32_e32 31, v72
; %bb.114:
	ds_store_b32 v70, v69 offset:32768
; %bb.115:
	s_or_b32 exec_lo, exec_lo, s7
	v_cmp_lt_u32_e64 s6, 31, v0
	s_mov_b32 s13, exec_lo
	s_wait_dscnt 0x0
	s_barrier_signal -1
	s_barrier_wait -1
	v_cmpx_gt_u32_e32 32, v0
	s_cbranch_execz .LBB135_117
; %bb.116:
	v_mad_i32_i24 v71, 0xffffffe4, v0, v67
	ds_load_b32 v72, v71 offset:32768
	s_wait_dscnt 0x0
	v_mov_b32_dpp v73, v72 row_shr:1 row_mask:0xf bank_mask:0xf
	s_delay_alu instid0(VALU_DEP_1) | instskip(NEXT) | instid1(VALU_DEP_1)
	v_cndmask_b32_e64 v73, v73, 0, vcc_lo
	v_add_nc_u32_e32 v72, v73, v72
	s_delay_alu instid0(VALU_DEP_1) | instskip(NEXT) | instid1(VALU_DEP_1)
	v_mov_b32_dpp v73, v72 row_shr:2 row_mask:0xf bank_mask:0xf
	v_cndmask_b32_e64 v73, 0, v73, s2
	s_delay_alu instid0(VALU_DEP_1) | instskip(NEXT) | instid1(VALU_DEP_1)
	v_add_nc_u32_e32 v72, v72, v73
	v_mov_b32_dpp v73, v72 row_shr:4 row_mask:0xf bank_mask:0xf
	s_delay_alu instid0(VALU_DEP_1) | instskip(NEXT) | instid1(VALU_DEP_1)
	v_cndmask_b32_e64 v73, 0, v73, s3
	v_add_nc_u32_e32 v72, v72, v73
	s_delay_alu instid0(VALU_DEP_1) | instskip(NEXT) | instid1(VALU_DEP_1)
	v_mov_b32_dpp v73, v72 row_shr:8 row_mask:0xf bank_mask:0xf
	v_cndmask_b32_e64 v73, 0, v73, s4
	s_delay_alu instid0(VALU_DEP_1) | instskip(SKIP_3) | instid1(VALU_DEP_1)
	v_add_nc_u32_e32 v72, v72, v73
	ds_swizzle_b32 v73, v72 offset:swizzle(BROADCAST,32,15)
	s_wait_dscnt 0x0
	v_cndmask_b32_e64 v73, v73, 0, s5
	v_add_nc_u32_e32 v72, v72, v73
	ds_store_b32 v71, v72 offset:32768
.LBB135_117:
	s_or_b32 exec_lo, exec_lo, s13
	v_dual_mov_b32 v72, 0 :: v_dual_mov_b32 v71, 0
	s_wait_dscnt 0x0
	s_barrier_signal -1
	s_barrier_wait -1
	s_and_saveexec_b32 s2, s6
; %bb.118:
	ds_load_b32 v71, v70 offset:32764
; %bb.119:
	s_or_b32 exec_lo, exec_lo, s2
	v_sub_co_u32 v70, vcc_lo, v68, 1
	s_wait_dscnt 0x0
	v_add_nc_u32_e32 v69, v71, v69
	s_delay_alu instid0(VALU_DEP_2) | instskip(NEXT) | instid1(VALU_DEP_1)
	v_cmp_gt_i32_e64 s2, 0, v70
	v_cndmask_b32_e64 v68, v70, v68, s2
	v_cmp_gt_u32_e64 s2, 16, v0
	s_delay_alu instid0(VALU_DEP_2)
	v_lshlrev_b32_e32 v68, 2, v68
	ds_bpermute_b32 v68, v68, v69
	ds_load_b32 v69, v72 offset:32892
	ds_load_2addr_b64 v[72:75], v67 offset1:1
	ds_load_b32 v76, v67 offset:24
	s_wait_dscnt 0x3
	v_cndmask_b32_e32 v68, v68, v71, vcc_lo
	ds_load_b64 v[70:71], v67 offset:16
	v_cmp_lt_u32_e32 vcc_lo, 15, v0
	s_wait_dscnt 0x3
	v_lshl_add_u32 v68, v69, 16, v68
	s_wait_dscnt 0x2
	s_delay_alu instid0(VALU_DEP_1) | instskip(NEXT) | instid1(VALU_DEP_1)
	v_add_nc_u32_e32 v69, v68, v72
	v_add_nc_u32_e32 v72, v73, v69
	s_delay_alu instid0(VALU_DEP_1) | instskip(NEXT) | instid1(VALU_DEP_1)
	v_add_nc_u32_e32 v73, v74, v72
	v_add_nc_u32_e32 v74, v75, v73
	s_wait_dscnt 0x0
	s_delay_alu instid0(VALU_DEP_1) | instskip(NEXT) | instid1(VALU_DEP_1)
	v_add_nc_u32_e32 v75, v70, v74
	v_add_nc_u32_e32 v70, v71, v75
	s_delay_alu instid0(VALU_DEP_1)
	v_add_nc_u32_e32 v71, v76, v70
	ds_store_2addr_b64 v67, v[68:69], v[72:73] offset1:1
	ds_store_2addr_b64 v67, v[74:75], v[70:71] offset0:2 offset1:3
	s_wait_dscnt 0x0
	s_barrier_signal -1
	s_barrier_wait -1
	ds_load_u16 v17, v17
	ds_load_u16 v20, v20
	;; [unrolled: 1-line block ×22, first 2 shown]
	v_mov_b64_e32 v[2:3], 0
                                        ; implicit-def: $vgpr4
	s_and_saveexec_b32 s4, s2
	s_cbranch_execz .LBB135_123
; %bb.120:
	v_dual_lshlrev_b32 v2, 12, v0 :: v_dual_lshrrev_b32 v3, 2, v0
	v_add_nc_u32_e32 v4, 1, v0
	s_mov_b32 s5, exec_lo
	s_delay_alu instid0(VALU_DEP_2)
	v_bitop3_b32 v2, v2, 0x70fe, v3 bitop3:0xc8
	v_mov_b32_e32 v3, 0x5800
	ds_load_u16 v2, v2
	v_cmpx_ne_u32_e32 16, v4
; %bb.121:
	v_dual_lshlrev_b32 v3, 12, v4 :: v_dual_lshrrev_b32 v4, 2, v4
	s_delay_alu instid0(VALU_DEP_1)
	v_bitop3_b32 v3, v3, 0x71fe, v4 bitop3:0xc8
	ds_load_u16 v3, v3
; %bb.122:
	s_or_b32 exec_lo, exec_lo, s5
	s_wait_dscnt 0x0
	v_and_b32_e32 v2, 0xffff, v2
	s_mov_b32 s3, 0
	s_delay_alu instid0(VALU_DEP_1) | instid1(SALU_CYCLE_1)
	v_dual_mov_b32 v3, s3 :: v_dual_sub_nc_u32 v4, v3, v2
.LBB135_123:
	s_or_b32 exec_lo, exec_lo, s4
	s_wait_dscnt 0x15
	v_and_b32_e32 v17, 0xffff, v17
	v_and_b32_e32 v11, 0xffff, v11
	s_wait_dscnt 0x14
	v_and_b32_e32 v20, 0xffff, v20
	v_and_b32_e32 v14, 0xffff, v14
	;; [unrolled: 3-line block ×4, first 2 shown]
	v_dual_add_nc_u32 v11, v17, v11 :: v_dual_add_nc_u32 v14, v20, v14
	s_wait_dscnt 0x11
	v_and_b32_e32 v34, 0xffff, v34
	v_and_b32_e32 v21, 0xffff, v21
	s_wait_dscnt 0x10
	v_and_b32_e32 v41, 0xffff, v41
	v_and_b32_e32 v25, 0xffff, v25
	v_add_nc_u32_e32 v15, v67, v15
	s_wait_dscnt 0xf
	v_and_b32_e32 v68, 0xffff, v68
	v_and_b32_e32 v29, 0xffff, v29
	s_wait_dscnt 0xe
	v_and_b32_e32 v47, 0xffff, v47
	v_and_b32_e32 v31, 0xffff, v31
	;; [unrolled: 3-line block ×3, first 2 shown]
	s_wait_dscnt 0x0
	s_barrier_signal -1
	s_barrier_wait -1
	ds_store_b8 v11, v1 offset:128
	ds_store_b8 v14, v7 offset:128
	ds_store_b8 v15, v10 offset:128
	v_dual_add_nc_u32 v1, v27, v19 :: v_dual_add_nc_u32 v10, v41, v25
	v_and_b32_e32 v51, 0xffff, v51
	v_and_b32_e32 v35, 0xffff, v35
	v_add_nc_u32_e32 v7, v34, v21
	v_and_b32_e32 v69, 0xffff, v69
	v_and_b32_e32 v38, 0xffff, v38
	;; [unrolled: 1-line block ×4, first 2 shown]
	v_dual_add_nc_u32 v11, v68, v29 :: v_dual_add_nc_u32 v14, v47, v31
	v_and_b32_e32 v56, 0xffff, v56
	v_and_b32_e32 v43, 0xffff, v43
	;; [unrolled: 1-line block ×4, first 2 shown]
	ds_store_b8 v1, v12 offset:128
	ds_store_b8 v7, v13 offset:128
	;; [unrolled: 1-line block ×5, first 2 shown]
	v_dual_add_nc_u32 v1, v49, v33 :: v_dual_add_nc_u32 v6, v51, v35
	v_and_b32_e32 v59, 0xffff, v59
	v_and_b32_e32 v45, 0xffff, v45
	;; [unrolled: 1-line block ×4, first 2 shown]
	v_dual_add_nc_u32 v7, v69, v38 :: v_dual_add_nc_u32 v10, v54, v40
	v_and_b32_e32 v61, 0xffff, v61
	v_and_b32_e32 v48, 0xffff, v48
	;; [unrolled: 1-line block ×4, first 2 shown]
	v_add_nc_u32_e32 v11, v56, v43
	ds_store_b8 v1, v22 offset:128
	ds_store_b8 v6, v23 offset:128
	;; [unrolled: 1-line block ×5, first 2 shown]
	v_dual_add_nc_u32 v1, v58, v44 :: v_dual_add_nc_u32 v6, v59, v45
	v_dual_add_nc_u32 v7, v60, v46 :: v_dual_add_nc_u32 v10, v61, v48
	v_add_nc_u32_e32 v11, v62, v50
	v_and_b32_e32 v63, 0xffff, v63
	v_and_b32_e32 v66, 0xffff, v66
	;; [unrolled: 1-line block ×4, first 2 shown]
	ds_store_b8 v1, v30 offset:128
	ds_store_b8 v6, v32 offset:128
	;; [unrolled: 1-line block ×5, first 2 shown]
	v_mov_b32_e32 v7, 0
	v_and_b32_e32 v64, 0xffff, v64
	v_and_b32_e32 v53, 0xffff, v53
	v_and_b32_e32 v65, 0xffff, v65
	v_and_b32_e32 v55, 0xffff, v55
	v_dual_add_nc_u32 v6, v63, v52 :: v_dual_add_nc_u32 v12, v66, v57
	v_dual_mov_b32 v1, v7 :: v_dual_lshlrev_b32 v5, 3, v0
	s_delay_alu instid0(VALU_DEP_3)
	v_dual_add_nc_u32 v10, v64, v53 :: v_dual_add_nc_u32 v11, v65, v55
	s_not_b32 s3, s12
	ds_store_b8 v6, v37 offset:128
	ds_store_b8 v10, v8 offset:128
	;; [unrolled: 1-line block ×4, first 2 shown]
	s_and_saveexec_b32 s4, s2
	s_cbranch_execz .LBB135_133
; %bb.124:
	v_lshl_add_u32 v6, s19, 4, v0
	v_dual_mov_b32 v10, 0 :: v_dual_bitop2_b32 v11, 2.0, v4 bitop3:0x54
	s_mov_b32 s5, 0
	s_mov_b32 s6, s19
	s_delay_alu instid0(VALU_DEP_2)
	v_lshl_add_u64 v[8:9], v[6:7], 2, s[20:21]
	global_store_b32 v6, v11, s[20:21] scale_offset scope:SCOPE_DEV
                                        ; implicit-def: $sgpr2
	s_branch .LBB135_127
.LBB135_125:                            ;   in Loop: Header=BB135_127 Depth=1
	s_or_b32 exec_lo, exec_lo, s12
.LBB135_126:                            ;   in Loop: Header=BB135_127 Depth=1
	s_delay_alu instid0(SALU_CYCLE_1) | instskip(SKIP_2) | instid1(VALU_DEP_2)
	s_or_b32 exec_lo, exec_lo, s7
	v_and_b32_e32 v6, 0x3fffffff, v11
	v_cmp_gt_i32_e64 s2, -2.0, v11
	v_add_nc_u32_e32 v10, v6, v10
	s_and_b32 s7, exec_lo, s2
	s_delay_alu instid0(SALU_CYCLE_1) | instskip(NEXT) | instid1(SALU_CYCLE_1)
	s_or_b32 s5, s7, s5
	s_and_not1_b32 exec_lo, exec_lo, s5
	s_cbranch_execz .LBB135_132
.LBB135_127:                            ; =>This Loop Header: Depth=1
                                        ;     Child Loop BB135_130 Depth 2
	s_or_b32 s2, s2, exec_lo
	s_cmp_eq_u32 s6, 0
	s_cbranch_scc1 .LBB135_131
; %bb.128:                              ;   in Loop: Header=BB135_127 Depth=1
	s_add_co_i32 s6, s6, -1
	s_mov_b32 s7, exec_lo
	s_wait_xcnt 0x0
	v_lshl_or_b32 v6, s6, 4, v0
	global_load_b32 v11, v6, s[20:21] scale_offset scope:SCOPE_DEV
	s_wait_loadcnt 0x0
	v_cmpx_gt_u32_e32 2.0, v11
	s_cbranch_execz .LBB135_126
; %bb.129:                              ;   in Loop: Header=BB135_127 Depth=1
	v_lshl_add_u64 v[12:13], v[6:7], 2, s[20:21]
	s_mov_b32 s12, 0
.LBB135_130:                            ;   Parent Loop BB135_127 Depth=1
                                        ; =>  This Inner Loop Header: Depth=2
	global_load_b32 v11, v[12:13], off scope:SCOPE_DEV
	s_wait_loadcnt 0x0
	v_cmp_lt_u32_e64 s2, 0x3fffffff, v11
	s_or_b32 s12, s2, s12
	s_wait_xcnt 0x0
	s_and_not1_b32 exec_lo, exec_lo, s12
	s_cbranch_execnz .LBB135_130
	s_branch .LBB135_125
.LBB135_131:                            ;   in Loop: Header=BB135_127 Depth=1
                                        ; implicit-def: $sgpr6
	s_and_b32 s7, exec_lo, s2
	s_delay_alu instid0(SALU_CYCLE_1)
	s_or_b32 s5, s7, s5
	s_wait_xcnt 0x0
	s_and_not1_b32 exec_lo, exec_lo, s5
	s_cbranch_execnz .LBB135_127
.LBB135_132:
	s_or_b32 exec_lo, exec_lo, s5
	v_dual_mov_b32 v11, 0 :: v_dual_add_nc_u32 v6, v10, v4
	s_delay_alu instid0(VALU_DEP_1) | instskip(SKIP_4) | instid1(VALU_DEP_1)
	v_or_b32_e32 v6, 0x80000000, v6
	global_store_b32 v[8:9], v6, off scope:SCOPE_DEV
	global_load_b64 v[6:7], v0, s[8:9] scale_offset
	v_sub_nc_u64_e32 v[8:9], v[10:11], v[2:3]
	s_wait_loadcnt 0x0
	v_add_nc_u64_e32 v[6:7], v[8:9], v[6:7]
	ds_store_b64 v5, v[6:7]
.LBB135_133:
	s_wait_xcnt 0x0
	s_or_b32 exec_lo, exec_lo, s4
	s_wait_storecnt_dscnt 0x0
	s_barrier_signal -1
	s_barrier_wait -1
	ds_load_u8 v26, v0 offset:20608
	ds_load_u8 v27, v0 offset:21632
	;; [unrolled: 1-line block ×22, first 2 shown]
	s_wait_dscnt 0xf
	v_and_b32_e32 v12, 0xff, v10
	s_wait_dscnt 0x7
	v_and_b32_e32 v46, 0xff, v37
	v_and_b32_e32 v18, 0xff, v31
	;; [unrolled: 1-line block ×7, first 2 shown]
	s_delay_alu instid0(VALU_DEP_4) | instskip(NEXT) | instid1(VALU_DEP_4)
	v_dual_lshrrev_b32 v6, s16, v6 :: v_dual_bitop2_b32 v24, -1, v8 bitop3:0x14
	v_dual_lshrrev_b32 v7, s16, v7 :: v_dual_bitop2_b32 v45, -1, v10 bitop3:0x14
	s_delay_alu instid0(VALU_DEP_4) | instskip(SKIP_1) | instid1(VALU_DEP_3)
	v_lshrrev_b32_e32 v11, s16, v11
	v_and_b32_e32 v10, 0xff, v30
	v_dual_lshrrev_b32 v13, s16, v13 :: v_dual_bitop2_b32 v7, s3, v7 bitop3:0x40
	v_dual_lshrrev_b32 v12, s16, v12 :: v_dual_bitop2_b32 v6, s3, v6 bitop3:0x40
	s_delay_alu instid0(VALU_DEP_3) | instskip(NEXT) | instid1(VALU_DEP_3)
	v_dual_lshrrev_b32 v10, s16, v10 :: v_dual_bitop2_b32 v11, s3, v11 bitop3:0x40
	v_dual_lshlrev_b32 v9, 3, v7 :: v_dual_bitop2_b32 v13, s3, v13 bitop3:0x40
	s_delay_alu instid0(VALU_DEP_3) | instskip(NEXT) | instid1(VALU_DEP_3)
	v_lshlrev_b32_e32 v6, 3, v6
	v_and_b32_e32 v10, s3, v10
	s_delay_alu instid0(VALU_DEP_4) | instskip(NEXT) | instid1(VALU_DEP_4)
	v_dual_lshlrev_b32 v14, 3, v11 :: v_dual_bitop2_b32 v12, s3, v12 bitop3:0x40
	v_lshlrev_b32_e32 v13, 3, v13
	ds_load_b64 v[6:7], v6
	ds_load_b64 v[8:9], v9
	v_dual_lshlrev_b32 v16, 3, v10 :: v_dual_lshlrev_b32 v15, 3, v12
	ds_load_b64 v[10:11], v13
	ds_load_b64 v[12:13], v14
	v_and_b32_e32 v21, 0xff, v33
	v_and_b32_e32 v22, 0xff, v34
	ds_load_b64 v[14:15], v15
	ds_load_b64 v[16:17], v16
	v_dual_lshrrev_b32 v18, s16, v18 :: v_dual_lshrrev_b32 v19, s16, v19
	v_and_b32_e32 v23, 0xff, v35
	v_and_b32_e32 v25, 0xff, v36
	v_dual_lshrrev_b32 v21, s16, v21 :: v_dual_lshrrev_b32 v22, s16, v22
	s_delay_alu instid0(VALU_DEP_4) | instskip(NEXT) | instid1(VALU_DEP_4)
	v_and_b32_e32 v19, s3, v19
	v_dual_lshrrev_b32 v23, s16, v23 :: v_dual_bitop2_b32 v18, s3, v18 bitop3:0x40
	s_delay_alu instid0(VALU_DEP_3) | instskip(NEXT) | instid1(VALU_DEP_3)
	v_dual_lshrrev_b32 v25, s16, v25 :: v_dual_bitop2_b32 v48, s3, v22 bitop3:0x40
	v_dual_lshlrev_b32 v22, 3, v19 :: v_dual_bitop2_b32 v21, s3, v21 bitop3:0x40
	s_delay_alu instid0(VALU_DEP_2) | instskip(NEXT) | instid1(VALU_DEP_4)
	v_dual_lshlrev_b32 v18, 3, v18 :: v_dual_bitop2_b32 v25, s3, v25 bitop3:0x40
	v_dual_lshrrev_b32 v46, s16, v46 :: v_dual_bitop2_b32 v49, s3, v23 bitop3:0x40
	s_wait_dscnt 0x3
	v_add_nc_u64_e32 v[10:11], s[14:15], v[10:11]
	v_lshlrev_b32_e32 v23, 3, v21
	s_wait_dscnt 0x2
	v_add_nc_u64_e32 v[12:13], s[14:15], v[12:13]
	ds_load_b64 v[18:19], v18
	v_xor_b32_e32 v50, -1, v20
	ds_load_b64 v[20:21], v22
	ds_load_b64 v[22:23], v23
	v_and_b32_e32 v47, 0xff, v38
	s_wait_dscnt 0x4
	v_add_nc_u64_e32 v[14:15], s[14:15], v[14:15]
	v_add_nc_u64_e32 v[10:11], v[10:11], v[0:1]
	;; [unrolled: 1-line block ×3, first 2 shown]
	s_wait_dscnt 0x3
	v_add_nc_u64_e32 v[16:17], s[14:15], v[16:17]
	v_dual_lshrrev_b32 v47, s16, v47 :: v_dual_bitop2_b32 v46, s3, v46 bitop3:0x40
	s_clause 0x1
	global_store_b8 v[10:11], v50, off
	global_store_b8 v[12:13], v24, off offset:1024
	v_add_nc_u64_e32 v[14:15], v[14:15], v[0:1]
	s_wait_xcnt 0x0
	v_dual_lshlrev_b32 v10, 3, v48 :: v_dual_lshlrev_b32 v24, 3, v25
	v_dual_lshlrev_b32 v12, 3, v49 :: v_dual_bitop2_b32 v47, s3, v47 bitop3:0x40
	v_add_nc_u64_e32 v[16:17], v[16:17], v[0:1]
	v_xor_b32_e32 v30, -1, v30
	ds_load_b64 v[10:11], v10
	ds_load_b64 v[12:13], v12
	;; [unrolled: 1-line block ×3, first 2 shown]
	global_store_b8 v[14:15], v45, off offset:2048
	s_wait_xcnt 0x0
	v_dual_lshlrev_b32 v45, 3, v46 :: v_dual_lshlrev_b32 v46, 3, v47
	s_wait_dscnt 0x5
	v_add_nc_u64_e32 v[14:15], s[14:15], v[18:19]
	global_store_b8 v[16:17], v30, off offset:3072
	s_wait_dscnt 0x4
	s_wait_xcnt 0x0
	v_add_nc_u64_e32 v[16:17], s[14:15], v[20:21]
	s_wait_dscnt 0x3
	v_add_nc_u64_e32 v[18:19], s[14:15], v[22:23]
	ds_load_b64 v[20:21], v45
	ds_load_b64 v[22:23], v46
	v_xor_b32_e32 v30, -1, v31
	v_xor_b32_e32 v31, -1, v32
	v_add_nc_u64_e32 v[14:15], v[14:15], v[0:1]
	v_xor_b32_e32 v32, -1, v33
	v_add_nc_u64_e32 v[16:17], v[16:17], v[0:1]
	v_add_nc_u64_e32 v[18:19], v[18:19], v[0:1]
	v_xor_b32_e32 v33, -1, v42
	v_add_nc_u64_e32 v[6:7], s[14:15], v[6:7]
	v_add_nc_u64_e32 v[8:9], s[14:15], v[8:9]
	s_wait_dscnt 0x4
	v_add_nc_u64_e32 v[10:11], s[14:15], v[10:11]
	s_wait_dscnt 0x3
	v_add_nc_u64_e32 v[12:13], s[14:15], v[12:13]
	global_store_b8 v[14:15], v30, off offset:4096
	s_wait_dscnt 0x2
	s_wait_xcnt 0x0
	v_add_nc_u64_e32 v[14:15], s[14:15], v[24:25]
	s_clause 0x1
	global_store_b8 v[16:17], v31, off offset:5120
	global_store_b8 v[18:19], v32, off offset:6144
	v_xor_b32_e32 v24, -1, v34
	v_xor_b32_e32 v25, -1, v35
	v_add_nc_u64_e32 v[10:11], v[10:11], v[0:1]
	v_add_nc_u64_e32 v[12:13], v[12:13], v[0:1]
	s_wait_dscnt 0x1
	s_wait_xcnt 0x1
	v_add_nc_u64_e32 v[16:17], s[14:15], v[20:21]
	s_wait_dscnt 0x0
	s_wait_xcnt 0x0
	v_add_nc_u64_e32 v[18:19], s[14:15], v[22:23]
	v_add_nc_u64_e32 v[14:15], v[14:15], v[0:1]
	s_clause 0x1
	global_store_b8 v[10:11], v24, off offset:7168
	global_store_b8 v[12:13], v25, off offset:8192
	v_xor_b32_e32 v30, -1, v36
	v_and_b32_e32 v20, 0xff, v39
	s_wait_xcnt 0x0
	v_add_nc_u64_e32 v[12:13], v[18:19], v[0:1]
	v_and_b32_e32 v18, 0xff, v43
	v_add_nc_u64_e32 v[10:11], v[16:17], v[0:1]
	v_and_b32_e32 v16, 0xff, v41
	global_store_b8 v[14:15], v30, off offset:9216
	s_wait_xcnt 0x0
	v_and_b32_e32 v15, 0xff, v40
	v_lshrrev_b32_e32 v18, s16, v18
	v_and_b32_e32 v17, 0xff, v42
	v_lshrrev_b32_e32 v14, s16, v20
	v_lshrrev_b32_e32 v16, s16, v16
	v_and_b32_e32 v25, 0xff, v28
	v_dual_lshrrev_b32 v15, s16, v15 :: v_dual_bitop2_b32 v18, s3, v18 bitop3:0x40
	v_lshrrev_b32_e32 v17, s16, v17
	v_and_b32_e32 v23, 0xff, v44
	s_delay_alu instid0(VALU_DEP_4) | instskip(NEXT) | instid1(VALU_DEP_4)
	v_dual_lshrrev_b32 v25, s16, v25 :: v_dual_bitop2_b32 v16, s3, v16 bitop3:0x40
	v_lshlrev_b32_e32 v22, 3, v18
	v_and_b32_e32 v14, s3, v14
	s_delay_alu instid0(VALU_DEP_4) | instskip(NEXT) | instid1(VALU_DEP_4)
	v_dual_lshrrev_b32 v31, s16, v23 :: v_dual_bitop2_b32 v17, s3, v17 bitop3:0x40
	v_dual_lshlrev_b32 v20, 3, v16 :: v_dual_bitop2_b32 v19, s3, v15 bitop3:0x40
	s_delay_alu instid0(VALU_DEP_2) | instskip(NEXT) | instid1(VALU_DEP_2)
	v_dual_lshlrev_b32 v14, 3, v14 :: v_dual_lshlrev_b32 v21, 3, v17
	v_dual_lshlrev_b32 v19, 3, v19 :: v_dual_bitop2_b32 v24, -1, v37 bitop3:0x14
	v_and_b32_e32 v30, 0xff, v29
	ds_load_b64 v[14:15], v14
	ds_load_b64 v[16:17], v19
	;; [unrolled: 1-line block ×4, first 2 shown]
	v_dual_lshrrev_b32 v30, s16, v30 :: v_dual_bitop2_b32 v31, s3, v31 bitop3:0x40
	v_xor_b32_e32 v32, -1, v38
	global_store_b8 v[10:11], v24, off offset:10240
	ds_load_b64 v[22:23], v22
	v_add_nc_u64_e32 v[6:7], v[6:7], v[0:1]
	v_add_nc_u64_e32 v[8:9], v[8:9], v[0:1]
	global_store_b8 v[12:13], v32, off offset:11264
	s_wait_xcnt 0x0
	v_and_b32_e32 v12, s3, v30
	v_dual_lshlrev_b32 v13, 3, v31 :: v_dual_bitop2_b32 v10, s3, v25 bitop3:0x40
	v_xor_b32_e32 v31, -1, v40
	s_delay_alu instid0(VALU_DEP_3) | instskip(NEXT) | instid1(VALU_DEP_3)
	v_dual_lshlrev_b32 v25, 3, v12 :: v_dual_bitop2_b32 v32, -1, v41 bitop3:0x14
	v_dual_lshlrev_b32 v24, 3, v10 :: v_dual_bitop2_b32 v30, -1, v39 bitop3:0x14
	s_wait_dscnt 0x4
	v_add_nc_u64_e32 v[10:11], s[14:15], v[14:15]
	s_wait_dscnt 0x3
	v_add_nc_u64_e32 v[14:15], s[14:15], v[16:17]
	s_wait_dscnt 0x2
	v_add_nc_u64_e32 v[18:19], s[14:15], v[18:19]
	s_wait_dscnt 0x1
	v_add_nc_u64_e32 v[20:21], s[14:15], v[20:21]
	ds_load_b64 v[16:17], v24
	ds_load_b64 v[12:13], v13
	;; [unrolled: 1-line block ×3, first 2 shown]
	v_add_nc_u64_e32 v[10:11], v[10:11], v[0:1]
	v_add_nc_u64_e32 v[14:15], v[14:15], v[0:1]
	;; [unrolled: 1-line block ×4, first 2 shown]
	s_wait_dscnt 0x3
	v_add_nc_u64_e32 v[22:23], s[14:15], v[22:23]
	s_clause 0x3
	global_store_b8 v[10:11], v30, off offset:12288
	global_store_b8 v[14:15], v31, off offset:13312
	;; [unrolled: 1-line block ×4, first 2 shown]
	s_wait_xcnt 0x3
	v_xor_b32_e32 v30, -1, v43
	s_wait_xcnt 0x1
	v_xor_b32_e32 v18, -1, v29
	v_add_nc_u64_e32 v[22:23], v[22:23], v[0:1]
	v_xor_b32_e32 v19, -1, v27
	s_wait_dscnt 0x1
	v_add_nc_u64_e32 v[10:11], s[14:15], v[12:13]
	v_add_nc_u64_e32 v[12:13], s[14:15], v[16:17]
	s_wait_dscnt 0x0
	v_add_nc_u64_e32 v[14:15], s[14:15], v[24:25]
	v_xor_b32_e32 v16, -1, v44
	v_xor_b32_e32 v17, -1, v28
	global_store_b8 v[22:23], v30, off offset:16384
	v_add_nc_u64_e32 v[10:11], v[10:11], v[0:1]
	v_add_nc_u64_e32 v[12:13], v[12:13], v[0:1]
	;; [unrolled: 1-line block ×3, first 2 shown]
	v_xor_b32_e32 v1, -1, v26
	s_clause 0x4
	global_store_b8 v[10:11], v16, off offset:17408
	global_store_b8 v[12:13], v17, off offset:18432
	;; [unrolled: 1-line block ×5, first 2 shown]
	s_load_b32 s0, s[0:1], 0x58
	s_wait_kmcnt 0x0
	s_add_co_i32 s0, s0, -1
	s_delay_alu instid0(SALU_CYCLE_1) | instskip(SKIP_2) | instid1(SALU_CYCLE_1)
	s_cmp_eq_u32 s19, s0
	s_cselect_b32 s0, -1, 0
	s_xor_b32 s1, vcc_lo, -1
	s_and_b32 s0, s1, s0
	s_delay_alu instid0(SALU_CYCLE_1)
	s_and_saveexec_b32 s1, s0
	s_cbranch_execz .LBB135_135
; %bb.134:
	ds_load_b64 v[6:7], v5
	v_mov_b32_e32 v5, 0
	s_delay_alu instid0(VALU_DEP_1) | instskip(SKIP_1) | instid1(VALU_DEP_1)
	v_add_nc_u64_e32 v[2:3], v[2:3], v[4:5]
	s_wait_dscnt 0x0
	v_add_nc_u64_e32 v[2:3], v[2:3], v[6:7]
	global_store_b64 v0, v[2:3], s[10:11] scale_offset
.LBB135_135:
	s_sendmsg sendmsg(MSG_DEALLOC_VGPRS)
	s_endpgm
	.section	.rodata,"a",@progbits
	.p2align	6, 0x0
	.amdhsa_kernel _ZN7rocprim17ROCPRIM_400000_NS6detail17trampoline_kernelINS0_14default_configENS1_35radix_sort_onesweep_config_selectorIhNS0_10empty_typeEEEZZNS1_29radix_sort_onesweep_iterationIS3_Lb1EPKhPhPS5_SB_mNS0_19identity_decomposerENS1_16block_id_wrapperIjLb0EEEEE10hipError_tT1_PNSt15iterator_traitsISG_E10value_typeET2_T3_PNSH_ISM_E10value_typeET4_T5_PSR_SS_PNS1_23onesweep_lookback_stateEbbT6_jjT7_P12ihipStream_tbENKUlT_T0_SG_SL_E_clISA_SA_SB_SB_EEDaSZ_S10_SG_SL_EUlSZ_E_NS1_11comp_targetILNS1_3genE0ELNS1_11target_archE4294967295ELNS1_3gpuE0ELNS1_3repE0EEENS1_47radix_sort_onesweep_sort_config_static_selectorELNS0_4arch9wavefront6targetE0EEEvSG_
		.amdhsa_group_segment_fixed_size 32904
		.amdhsa_private_segment_fixed_size 0
		.amdhsa_kernarg_size 344
		.amdhsa_user_sgpr_count 2
		.amdhsa_user_sgpr_dispatch_ptr 0
		.amdhsa_user_sgpr_queue_ptr 0
		.amdhsa_user_sgpr_kernarg_segment_ptr 1
		.amdhsa_user_sgpr_dispatch_id 0
		.amdhsa_user_sgpr_kernarg_preload_length 0
		.amdhsa_user_sgpr_kernarg_preload_offset 0
		.amdhsa_user_sgpr_private_segment_size 0
		.amdhsa_wavefront_size32 1
		.amdhsa_uses_dynamic_stack 0
		.amdhsa_enable_private_segment 0
		.amdhsa_system_sgpr_workgroup_id_x 1
		.amdhsa_system_sgpr_workgroup_id_y 0
		.amdhsa_system_sgpr_workgroup_id_z 0
		.amdhsa_system_sgpr_workgroup_info 0
		.amdhsa_system_vgpr_workitem_id 0
		.amdhsa_next_free_vgpr 79
		.amdhsa_next_free_sgpr 25
		.amdhsa_named_barrier_count 0
		.amdhsa_reserve_vcc 1
		.amdhsa_float_round_mode_32 0
		.amdhsa_float_round_mode_16_64 0
		.amdhsa_float_denorm_mode_32 3
		.amdhsa_float_denorm_mode_16_64 3
		.amdhsa_fp16_overflow 0
		.amdhsa_memory_ordered 1
		.amdhsa_forward_progress 1
		.amdhsa_inst_pref_size 114
		.amdhsa_round_robin_scheduling 0
		.amdhsa_exception_fp_ieee_invalid_op 0
		.amdhsa_exception_fp_denorm_src 0
		.amdhsa_exception_fp_ieee_div_zero 0
		.amdhsa_exception_fp_ieee_overflow 0
		.amdhsa_exception_fp_ieee_underflow 0
		.amdhsa_exception_fp_ieee_inexact 0
		.amdhsa_exception_int_div_zero 0
	.end_amdhsa_kernel
	.section	.text._ZN7rocprim17ROCPRIM_400000_NS6detail17trampoline_kernelINS0_14default_configENS1_35radix_sort_onesweep_config_selectorIhNS0_10empty_typeEEEZZNS1_29radix_sort_onesweep_iterationIS3_Lb1EPKhPhPS5_SB_mNS0_19identity_decomposerENS1_16block_id_wrapperIjLb0EEEEE10hipError_tT1_PNSt15iterator_traitsISG_E10value_typeET2_T3_PNSH_ISM_E10value_typeET4_T5_PSR_SS_PNS1_23onesweep_lookback_stateEbbT6_jjT7_P12ihipStream_tbENKUlT_T0_SG_SL_E_clISA_SA_SB_SB_EEDaSZ_S10_SG_SL_EUlSZ_E_NS1_11comp_targetILNS1_3genE0ELNS1_11target_archE4294967295ELNS1_3gpuE0ELNS1_3repE0EEENS1_47radix_sort_onesweep_sort_config_static_selectorELNS0_4arch9wavefront6targetE0EEEvSG_,"axG",@progbits,_ZN7rocprim17ROCPRIM_400000_NS6detail17trampoline_kernelINS0_14default_configENS1_35radix_sort_onesweep_config_selectorIhNS0_10empty_typeEEEZZNS1_29radix_sort_onesweep_iterationIS3_Lb1EPKhPhPS5_SB_mNS0_19identity_decomposerENS1_16block_id_wrapperIjLb0EEEEE10hipError_tT1_PNSt15iterator_traitsISG_E10value_typeET2_T3_PNSH_ISM_E10value_typeET4_T5_PSR_SS_PNS1_23onesweep_lookback_stateEbbT6_jjT7_P12ihipStream_tbENKUlT_T0_SG_SL_E_clISA_SA_SB_SB_EEDaSZ_S10_SG_SL_EUlSZ_E_NS1_11comp_targetILNS1_3genE0ELNS1_11target_archE4294967295ELNS1_3gpuE0ELNS1_3repE0EEENS1_47radix_sort_onesweep_sort_config_static_selectorELNS0_4arch9wavefront6targetE0EEEvSG_,comdat
.Lfunc_end135:
	.size	_ZN7rocprim17ROCPRIM_400000_NS6detail17trampoline_kernelINS0_14default_configENS1_35radix_sort_onesweep_config_selectorIhNS0_10empty_typeEEEZZNS1_29radix_sort_onesweep_iterationIS3_Lb1EPKhPhPS5_SB_mNS0_19identity_decomposerENS1_16block_id_wrapperIjLb0EEEEE10hipError_tT1_PNSt15iterator_traitsISG_E10value_typeET2_T3_PNSH_ISM_E10value_typeET4_T5_PSR_SS_PNS1_23onesweep_lookback_stateEbbT6_jjT7_P12ihipStream_tbENKUlT_T0_SG_SL_E_clISA_SA_SB_SB_EEDaSZ_S10_SG_SL_EUlSZ_E_NS1_11comp_targetILNS1_3genE0ELNS1_11target_archE4294967295ELNS1_3gpuE0ELNS1_3repE0EEENS1_47radix_sort_onesweep_sort_config_static_selectorELNS0_4arch9wavefront6targetE0EEEvSG_, .Lfunc_end135-_ZN7rocprim17ROCPRIM_400000_NS6detail17trampoline_kernelINS0_14default_configENS1_35radix_sort_onesweep_config_selectorIhNS0_10empty_typeEEEZZNS1_29radix_sort_onesweep_iterationIS3_Lb1EPKhPhPS5_SB_mNS0_19identity_decomposerENS1_16block_id_wrapperIjLb0EEEEE10hipError_tT1_PNSt15iterator_traitsISG_E10value_typeET2_T3_PNSH_ISM_E10value_typeET4_T5_PSR_SS_PNS1_23onesweep_lookback_stateEbbT6_jjT7_P12ihipStream_tbENKUlT_T0_SG_SL_E_clISA_SA_SB_SB_EEDaSZ_S10_SG_SL_EUlSZ_E_NS1_11comp_targetILNS1_3genE0ELNS1_11target_archE4294967295ELNS1_3gpuE0ELNS1_3repE0EEENS1_47radix_sort_onesweep_sort_config_static_selectorELNS0_4arch9wavefront6targetE0EEEvSG_
                                        ; -- End function
	.set _ZN7rocprim17ROCPRIM_400000_NS6detail17trampoline_kernelINS0_14default_configENS1_35radix_sort_onesweep_config_selectorIhNS0_10empty_typeEEEZZNS1_29radix_sort_onesweep_iterationIS3_Lb1EPKhPhPS5_SB_mNS0_19identity_decomposerENS1_16block_id_wrapperIjLb0EEEEE10hipError_tT1_PNSt15iterator_traitsISG_E10value_typeET2_T3_PNSH_ISM_E10value_typeET4_T5_PSR_SS_PNS1_23onesweep_lookback_stateEbbT6_jjT7_P12ihipStream_tbENKUlT_T0_SG_SL_E_clISA_SA_SB_SB_EEDaSZ_S10_SG_SL_EUlSZ_E_NS1_11comp_targetILNS1_3genE0ELNS1_11target_archE4294967295ELNS1_3gpuE0ELNS1_3repE0EEENS1_47radix_sort_onesweep_sort_config_static_selectorELNS0_4arch9wavefront6targetE0EEEvSG_.num_vgpr, 79
	.set _ZN7rocprim17ROCPRIM_400000_NS6detail17trampoline_kernelINS0_14default_configENS1_35radix_sort_onesweep_config_selectorIhNS0_10empty_typeEEEZZNS1_29radix_sort_onesweep_iterationIS3_Lb1EPKhPhPS5_SB_mNS0_19identity_decomposerENS1_16block_id_wrapperIjLb0EEEEE10hipError_tT1_PNSt15iterator_traitsISG_E10value_typeET2_T3_PNSH_ISM_E10value_typeET4_T5_PSR_SS_PNS1_23onesweep_lookback_stateEbbT6_jjT7_P12ihipStream_tbENKUlT_T0_SG_SL_E_clISA_SA_SB_SB_EEDaSZ_S10_SG_SL_EUlSZ_E_NS1_11comp_targetILNS1_3genE0ELNS1_11target_archE4294967295ELNS1_3gpuE0ELNS1_3repE0EEENS1_47radix_sort_onesweep_sort_config_static_selectorELNS0_4arch9wavefront6targetE0EEEvSG_.num_agpr, 0
	.set _ZN7rocprim17ROCPRIM_400000_NS6detail17trampoline_kernelINS0_14default_configENS1_35radix_sort_onesweep_config_selectorIhNS0_10empty_typeEEEZZNS1_29radix_sort_onesweep_iterationIS3_Lb1EPKhPhPS5_SB_mNS0_19identity_decomposerENS1_16block_id_wrapperIjLb0EEEEE10hipError_tT1_PNSt15iterator_traitsISG_E10value_typeET2_T3_PNSH_ISM_E10value_typeET4_T5_PSR_SS_PNS1_23onesweep_lookback_stateEbbT6_jjT7_P12ihipStream_tbENKUlT_T0_SG_SL_E_clISA_SA_SB_SB_EEDaSZ_S10_SG_SL_EUlSZ_E_NS1_11comp_targetILNS1_3genE0ELNS1_11target_archE4294967295ELNS1_3gpuE0ELNS1_3repE0EEENS1_47radix_sort_onesweep_sort_config_static_selectorELNS0_4arch9wavefront6targetE0EEEvSG_.numbered_sgpr, 25
	.set _ZN7rocprim17ROCPRIM_400000_NS6detail17trampoline_kernelINS0_14default_configENS1_35radix_sort_onesweep_config_selectorIhNS0_10empty_typeEEEZZNS1_29radix_sort_onesweep_iterationIS3_Lb1EPKhPhPS5_SB_mNS0_19identity_decomposerENS1_16block_id_wrapperIjLb0EEEEE10hipError_tT1_PNSt15iterator_traitsISG_E10value_typeET2_T3_PNSH_ISM_E10value_typeET4_T5_PSR_SS_PNS1_23onesweep_lookback_stateEbbT6_jjT7_P12ihipStream_tbENKUlT_T0_SG_SL_E_clISA_SA_SB_SB_EEDaSZ_S10_SG_SL_EUlSZ_E_NS1_11comp_targetILNS1_3genE0ELNS1_11target_archE4294967295ELNS1_3gpuE0ELNS1_3repE0EEENS1_47radix_sort_onesweep_sort_config_static_selectorELNS0_4arch9wavefront6targetE0EEEvSG_.num_named_barrier, 0
	.set _ZN7rocprim17ROCPRIM_400000_NS6detail17trampoline_kernelINS0_14default_configENS1_35radix_sort_onesweep_config_selectorIhNS0_10empty_typeEEEZZNS1_29radix_sort_onesweep_iterationIS3_Lb1EPKhPhPS5_SB_mNS0_19identity_decomposerENS1_16block_id_wrapperIjLb0EEEEE10hipError_tT1_PNSt15iterator_traitsISG_E10value_typeET2_T3_PNSH_ISM_E10value_typeET4_T5_PSR_SS_PNS1_23onesweep_lookback_stateEbbT6_jjT7_P12ihipStream_tbENKUlT_T0_SG_SL_E_clISA_SA_SB_SB_EEDaSZ_S10_SG_SL_EUlSZ_E_NS1_11comp_targetILNS1_3genE0ELNS1_11target_archE4294967295ELNS1_3gpuE0ELNS1_3repE0EEENS1_47radix_sort_onesweep_sort_config_static_selectorELNS0_4arch9wavefront6targetE0EEEvSG_.private_seg_size, 0
	.set _ZN7rocprim17ROCPRIM_400000_NS6detail17trampoline_kernelINS0_14default_configENS1_35radix_sort_onesweep_config_selectorIhNS0_10empty_typeEEEZZNS1_29radix_sort_onesweep_iterationIS3_Lb1EPKhPhPS5_SB_mNS0_19identity_decomposerENS1_16block_id_wrapperIjLb0EEEEE10hipError_tT1_PNSt15iterator_traitsISG_E10value_typeET2_T3_PNSH_ISM_E10value_typeET4_T5_PSR_SS_PNS1_23onesweep_lookback_stateEbbT6_jjT7_P12ihipStream_tbENKUlT_T0_SG_SL_E_clISA_SA_SB_SB_EEDaSZ_S10_SG_SL_EUlSZ_E_NS1_11comp_targetILNS1_3genE0ELNS1_11target_archE4294967295ELNS1_3gpuE0ELNS1_3repE0EEENS1_47radix_sort_onesweep_sort_config_static_selectorELNS0_4arch9wavefront6targetE0EEEvSG_.uses_vcc, 1
	.set _ZN7rocprim17ROCPRIM_400000_NS6detail17trampoline_kernelINS0_14default_configENS1_35radix_sort_onesweep_config_selectorIhNS0_10empty_typeEEEZZNS1_29radix_sort_onesweep_iterationIS3_Lb1EPKhPhPS5_SB_mNS0_19identity_decomposerENS1_16block_id_wrapperIjLb0EEEEE10hipError_tT1_PNSt15iterator_traitsISG_E10value_typeET2_T3_PNSH_ISM_E10value_typeET4_T5_PSR_SS_PNS1_23onesweep_lookback_stateEbbT6_jjT7_P12ihipStream_tbENKUlT_T0_SG_SL_E_clISA_SA_SB_SB_EEDaSZ_S10_SG_SL_EUlSZ_E_NS1_11comp_targetILNS1_3genE0ELNS1_11target_archE4294967295ELNS1_3gpuE0ELNS1_3repE0EEENS1_47radix_sort_onesweep_sort_config_static_selectorELNS0_4arch9wavefront6targetE0EEEvSG_.uses_flat_scratch, 0
	.set _ZN7rocprim17ROCPRIM_400000_NS6detail17trampoline_kernelINS0_14default_configENS1_35radix_sort_onesweep_config_selectorIhNS0_10empty_typeEEEZZNS1_29radix_sort_onesweep_iterationIS3_Lb1EPKhPhPS5_SB_mNS0_19identity_decomposerENS1_16block_id_wrapperIjLb0EEEEE10hipError_tT1_PNSt15iterator_traitsISG_E10value_typeET2_T3_PNSH_ISM_E10value_typeET4_T5_PSR_SS_PNS1_23onesweep_lookback_stateEbbT6_jjT7_P12ihipStream_tbENKUlT_T0_SG_SL_E_clISA_SA_SB_SB_EEDaSZ_S10_SG_SL_EUlSZ_E_NS1_11comp_targetILNS1_3genE0ELNS1_11target_archE4294967295ELNS1_3gpuE0ELNS1_3repE0EEENS1_47radix_sort_onesweep_sort_config_static_selectorELNS0_4arch9wavefront6targetE0EEEvSG_.has_dyn_sized_stack, 0
	.set _ZN7rocprim17ROCPRIM_400000_NS6detail17trampoline_kernelINS0_14default_configENS1_35radix_sort_onesweep_config_selectorIhNS0_10empty_typeEEEZZNS1_29radix_sort_onesweep_iterationIS3_Lb1EPKhPhPS5_SB_mNS0_19identity_decomposerENS1_16block_id_wrapperIjLb0EEEEE10hipError_tT1_PNSt15iterator_traitsISG_E10value_typeET2_T3_PNSH_ISM_E10value_typeET4_T5_PSR_SS_PNS1_23onesweep_lookback_stateEbbT6_jjT7_P12ihipStream_tbENKUlT_T0_SG_SL_E_clISA_SA_SB_SB_EEDaSZ_S10_SG_SL_EUlSZ_E_NS1_11comp_targetILNS1_3genE0ELNS1_11target_archE4294967295ELNS1_3gpuE0ELNS1_3repE0EEENS1_47radix_sort_onesweep_sort_config_static_selectorELNS0_4arch9wavefront6targetE0EEEvSG_.has_recursion, 0
	.set _ZN7rocprim17ROCPRIM_400000_NS6detail17trampoline_kernelINS0_14default_configENS1_35radix_sort_onesweep_config_selectorIhNS0_10empty_typeEEEZZNS1_29radix_sort_onesweep_iterationIS3_Lb1EPKhPhPS5_SB_mNS0_19identity_decomposerENS1_16block_id_wrapperIjLb0EEEEE10hipError_tT1_PNSt15iterator_traitsISG_E10value_typeET2_T3_PNSH_ISM_E10value_typeET4_T5_PSR_SS_PNS1_23onesweep_lookback_stateEbbT6_jjT7_P12ihipStream_tbENKUlT_T0_SG_SL_E_clISA_SA_SB_SB_EEDaSZ_S10_SG_SL_EUlSZ_E_NS1_11comp_targetILNS1_3genE0ELNS1_11target_archE4294967295ELNS1_3gpuE0ELNS1_3repE0EEENS1_47radix_sort_onesweep_sort_config_static_selectorELNS0_4arch9wavefront6targetE0EEEvSG_.has_indirect_call, 0
	.section	.AMDGPU.csdata,"",@progbits
; Kernel info:
; codeLenInByte = 14520
; TotalNumSgprs: 27
; NumVgprs: 79
; ScratchSize: 0
; MemoryBound: 0
; FloatMode: 240
; IeeeMode: 1
; LDSByteSize: 32904 bytes/workgroup (compile time only)
; SGPRBlocks: 0
; VGPRBlocks: 4
; NumSGPRsForWavesPerEU: 27
; NumVGPRsForWavesPerEU: 79
; NamedBarCnt: 0
; Occupancy: 12
; WaveLimiterHint : 0
; COMPUTE_PGM_RSRC2:SCRATCH_EN: 0
; COMPUTE_PGM_RSRC2:USER_SGPR: 2
; COMPUTE_PGM_RSRC2:TRAP_HANDLER: 0
; COMPUTE_PGM_RSRC2:TGID_X_EN: 1
; COMPUTE_PGM_RSRC2:TGID_Y_EN: 0
; COMPUTE_PGM_RSRC2:TGID_Z_EN: 0
; COMPUTE_PGM_RSRC2:TIDIG_COMP_CNT: 0
	.section	.text._ZN7rocprim17ROCPRIM_400000_NS6detail17trampoline_kernelINS0_14default_configENS1_35radix_sort_onesweep_config_selectorIhNS0_10empty_typeEEEZZNS1_29radix_sort_onesweep_iterationIS3_Lb1EPKhPhPS5_SB_mNS0_19identity_decomposerENS1_16block_id_wrapperIjLb0EEEEE10hipError_tT1_PNSt15iterator_traitsISG_E10value_typeET2_T3_PNSH_ISM_E10value_typeET4_T5_PSR_SS_PNS1_23onesweep_lookback_stateEbbT6_jjT7_P12ihipStream_tbENKUlT_T0_SG_SL_E_clISA_SA_SB_SB_EEDaSZ_S10_SG_SL_EUlSZ_E_NS1_11comp_targetILNS1_3genE6ELNS1_11target_archE950ELNS1_3gpuE13ELNS1_3repE0EEENS1_47radix_sort_onesweep_sort_config_static_selectorELNS0_4arch9wavefront6targetE0EEEvSG_,"axG",@progbits,_ZN7rocprim17ROCPRIM_400000_NS6detail17trampoline_kernelINS0_14default_configENS1_35radix_sort_onesweep_config_selectorIhNS0_10empty_typeEEEZZNS1_29radix_sort_onesweep_iterationIS3_Lb1EPKhPhPS5_SB_mNS0_19identity_decomposerENS1_16block_id_wrapperIjLb0EEEEE10hipError_tT1_PNSt15iterator_traitsISG_E10value_typeET2_T3_PNSH_ISM_E10value_typeET4_T5_PSR_SS_PNS1_23onesweep_lookback_stateEbbT6_jjT7_P12ihipStream_tbENKUlT_T0_SG_SL_E_clISA_SA_SB_SB_EEDaSZ_S10_SG_SL_EUlSZ_E_NS1_11comp_targetILNS1_3genE6ELNS1_11target_archE950ELNS1_3gpuE13ELNS1_3repE0EEENS1_47radix_sort_onesweep_sort_config_static_selectorELNS0_4arch9wavefront6targetE0EEEvSG_,comdat
	.protected	_ZN7rocprim17ROCPRIM_400000_NS6detail17trampoline_kernelINS0_14default_configENS1_35radix_sort_onesweep_config_selectorIhNS0_10empty_typeEEEZZNS1_29radix_sort_onesweep_iterationIS3_Lb1EPKhPhPS5_SB_mNS0_19identity_decomposerENS1_16block_id_wrapperIjLb0EEEEE10hipError_tT1_PNSt15iterator_traitsISG_E10value_typeET2_T3_PNSH_ISM_E10value_typeET4_T5_PSR_SS_PNS1_23onesweep_lookback_stateEbbT6_jjT7_P12ihipStream_tbENKUlT_T0_SG_SL_E_clISA_SA_SB_SB_EEDaSZ_S10_SG_SL_EUlSZ_E_NS1_11comp_targetILNS1_3genE6ELNS1_11target_archE950ELNS1_3gpuE13ELNS1_3repE0EEENS1_47radix_sort_onesweep_sort_config_static_selectorELNS0_4arch9wavefront6targetE0EEEvSG_ ; -- Begin function _ZN7rocprim17ROCPRIM_400000_NS6detail17trampoline_kernelINS0_14default_configENS1_35radix_sort_onesweep_config_selectorIhNS0_10empty_typeEEEZZNS1_29radix_sort_onesweep_iterationIS3_Lb1EPKhPhPS5_SB_mNS0_19identity_decomposerENS1_16block_id_wrapperIjLb0EEEEE10hipError_tT1_PNSt15iterator_traitsISG_E10value_typeET2_T3_PNSH_ISM_E10value_typeET4_T5_PSR_SS_PNS1_23onesweep_lookback_stateEbbT6_jjT7_P12ihipStream_tbENKUlT_T0_SG_SL_E_clISA_SA_SB_SB_EEDaSZ_S10_SG_SL_EUlSZ_E_NS1_11comp_targetILNS1_3genE6ELNS1_11target_archE950ELNS1_3gpuE13ELNS1_3repE0EEENS1_47radix_sort_onesweep_sort_config_static_selectorELNS0_4arch9wavefront6targetE0EEEvSG_
	.globl	_ZN7rocprim17ROCPRIM_400000_NS6detail17trampoline_kernelINS0_14default_configENS1_35radix_sort_onesweep_config_selectorIhNS0_10empty_typeEEEZZNS1_29radix_sort_onesweep_iterationIS3_Lb1EPKhPhPS5_SB_mNS0_19identity_decomposerENS1_16block_id_wrapperIjLb0EEEEE10hipError_tT1_PNSt15iterator_traitsISG_E10value_typeET2_T3_PNSH_ISM_E10value_typeET4_T5_PSR_SS_PNS1_23onesweep_lookback_stateEbbT6_jjT7_P12ihipStream_tbENKUlT_T0_SG_SL_E_clISA_SA_SB_SB_EEDaSZ_S10_SG_SL_EUlSZ_E_NS1_11comp_targetILNS1_3genE6ELNS1_11target_archE950ELNS1_3gpuE13ELNS1_3repE0EEENS1_47radix_sort_onesweep_sort_config_static_selectorELNS0_4arch9wavefront6targetE0EEEvSG_
	.p2align	8
	.type	_ZN7rocprim17ROCPRIM_400000_NS6detail17trampoline_kernelINS0_14default_configENS1_35radix_sort_onesweep_config_selectorIhNS0_10empty_typeEEEZZNS1_29radix_sort_onesweep_iterationIS3_Lb1EPKhPhPS5_SB_mNS0_19identity_decomposerENS1_16block_id_wrapperIjLb0EEEEE10hipError_tT1_PNSt15iterator_traitsISG_E10value_typeET2_T3_PNSH_ISM_E10value_typeET4_T5_PSR_SS_PNS1_23onesweep_lookback_stateEbbT6_jjT7_P12ihipStream_tbENKUlT_T0_SG_SL_E_clISA_SA_SB_SB_EEDaSZ_S10_SG_SL_EUlSZ_E_NS1_11comp_targetILNS1_3genE6ELNS1_11target_archE950ELNS1_3gpuE13ELNS1_3repE0EEENS1_47radix_sort_onesweep_sort_config_static_selectorELNS0_4arch9wavefront6targetE0EEEvSG_,@function
_ZN7rocprim17ROCPRIM_400000_NS6detail17trampoline_kernelINS0_14default_configENS1_35radix_sort_onesweep_config_selectorIhNS0_10empty_typeEEEZZNS1_29radix_sort_onesweep_iterationIS3_Lb1EPKhPhPS5_SB_mNS0_19identity_decomposerENS1_16block_id_wrapperIjLb0EEEEE10hipError_tT1_PNSt15iterator_traitsISG_E10value_typeET2_T3_PNSH_ISM_E10value_typeET4_T5_PSR_SS_PNS1_23onesweep_lookback_stateEbbT6_jjT7_P12ihipStream_tbENKUlT_T0_SG_SL_E_clISA_SA_SB_SB_EEDaSZ_S10_SG_SL_EUlSZ_E_NS1_11comp_targetILNS1_3genE6ELNS1_11target_archE950ELNS1_3gpuE13ELNS1_3repE0EEENS1_47radix_sort_onesweep_sort_config_static_selectorELNS0_4arch9wavefront6targetE0EEEvSG_: ; @_ZN7rocprim17ROCPRIM_400000_NS6detail17trampoline_kernelINS0_14default_configENS1_35radix_sort_onesweep_config_selectorIhNS0_10empty_typeEEEZZNS1_29radix_sort_onesweep_iterationIS3_Lb1EPKhPhPS5_SB_mNS0_19identity_decomposerENS1_16block_id_wrapperIjLb0EEEEE10hipError_tT1_PNSt15iterator_traitsISG_E10value_typeET2_T3_PNSH_ISM_E10value_typeET4_T5_PSR_SS_PNS1_23onesweep_lookback_stateEbbT6_jjT7_P12ihipStream_tbENKUlT_T0_SG_SL_E_clISA_SA_SB_SB_EEDaSZ_S10_SG_SL_EUlSZ_E_NS1_11comp_targetILNS1_3genE6ELNS1_11target_archE950ELNS1_3gpuE13ELNS1_3repE0EEENS1_47radix_sort_onesweep_sort_config_static_selectorELNS0_4arch9wavefront6targetE0EEEvSG_
; %bb.0:
	.section	.rodata,"a",@progbits
	.p2align	6, 0x0
	.amdhsa_kernel _ZN7rocprim17ROCPRIM_400000_NS6detail17trampoline_kernelINS0_14default_configENS1_35radix_sort_onesweep_config_selectorIhNS0_10empty_typeEEEZZNS1_29radix_sort_onesweep_iterationIS3_Lb1EPKhPhPS5_SB_mNS0_19identity_decomposerENS1_16block_id_wrapperIjLb0EEEEE10hipError_tT1_PNSt15iterator_traitsISG_E10value_typeET2_T3_PNSH_ISM_E10value_typeET4_T5_PSR_SS_PNS1_23onesweep_lookback_stateEbbT6_jjT7_P12ihipStream_tbENKUlT_T0_SG_SL_E_clISA_SA_SB_SB_EEDaSZ_S10_SG_SL_EUlSZ_E_NS1_11comp_targetILNS1_3genE6ELNS1_11target_archE950ELNS1_3gpuE13ELNS1_3repE0EEENS1_47radix_sort_onesweep_sort_config_static_selectorELNS0_4arch9wavefront6targetE0EEEvSG_
		.amdhsa_group_segment_fixed_size 0
		.amdhsa_private_segment_fixed_size 0
		.amdhsa_kernarg_size 88
		.amdhsa_user_sgpr_count 2
		.amdhsa_user_sgpr_dispatch_ptr 0
		.amdhsa_user_sgpr_queue_ptr 0
		.amdhsa_user_sgpr_kernarg_segment_ptr 1
		.amdhsa_user_sgpr_dispatch_id 0
		.amdhsa_user_sgpr_kernarg_preload_length 0
		.amdhsa_user_sgpr_kernarg_preload_offset 0
		.amdhsa_user_sgpr_private_segment_size 0
		.amdhsa_wavefront_size32 1
		.amdhsa_uses_dynamic_stack 0
		.amdhsa_enable_private_segment 0
		.amdhsa_system_sgpr_workgroup_id_x 1
		.amdhsa_system_sgpr_workgroup_id_y 0
		.amdhsa_system_sgpr_workgroup_id_z 0
		.amdhsa_system_sgpr_workgroup_info 0
		.amdhsa_system_vgpr_workitem_id 0
		.amdhsa_next_free_vgpr 1
		.amdhsa_next_free_sgpr 1
		.amdhsa_named_barrier_count 0
		.amdhsa_reserve_vcc 0
		.amdhsa_float_round_mode_32 0
		.amdhsa_float_round_mode_16_64 0
		.amdhsa_float_denorm_mode_32 3
		.amdhsa_float_denorm_mode_16_64 3
		.amdhsa_fp16_overflow 0
		.amdhsa_memory_ordered 1
		.amdhsa_forward_progress 1
		.amdhsa_inst_pref_size 0
		.amdhsa_round_robin_scheduling 0
		.amdhsa_exception_fp_ieee_invalid_op 0
		.amdhsa_exception_fp_denorm_src 0
		.amdhsa_exception_fp_ieee_div_zero 0
		.amdhsa_exception_fp_ieee_overflow 0
		.amdhsa_exception_fp_ieee_underflow 0
		.amdhsa_exception_fp_ieee_inexact 0
		.amdhsa_exception_int_div_zero 0
	.end_amdhsa_kernel
	.section	.text._ZN7rocprim17ROCPRIM_400000_NS6detail17trampoline_kernelINS0_14default_configENS1_35radix_sort_onesweep_config_selectorIhNS0_10empty_typeEEEZZNS1_29radix_sort_onesweep_iterationIS3_Lb1EPKhPhPS5_SB_mNS0_19identity_decomposerENS1_16block_id_wrapperIjLb0EEEEE10hipError_tT1_PNSt15iterator_traitsISG_E10value_typeET2_T3_PNSH_ISM_E10value_typeET4_T5_PSR_SS_PNS1_23onesweep_lookback_stateEbbT6_jjT7_P12ihipStream_tbENKUlT_T0_SG_SL_E_clISA_SA_SB_SB_EEDaSZ_S10_SG_SL_EUlSZ_E_NS1_11comp_targetILNS1_3genE6ELNS1_11target_archE950ELNS1_3gpuE13ELNS1_3repE0EEENS1_47radix_sort_onesweep_sort_config_static_selectorELNS0_4arch9wavefront6targetE0EEEvSG_,"axG",@progbits,_ZN7rocprim17ROCPRIM_400000_NS6detail17trampoline_kernelINS0_14default_configENS1_35radix_sort_onesweep_config_selectorIhNS0_10empty_typeEEEZZNS1_29radix_sort_onesweep_iterationIS3_Lb1EPKhPhPS5_SB_mNS0_19identity_decomposerENS1_16block_id_wrapperIjLb0EEEEE10hipError_tT1_PNSt15iterator_traitsISG_E10value_typeET2_T3_PNSH_ISM_E10value_typeET4_T5_PSR_SS_PNS1_23onesweep_lookback_stateEbbT6_jjT7_P12ihipStream_tbENKUlT_T0_SG_SL_E_clISA_SA_SB_SB_EEDaSZ_S10_SG_SL_EUlSZ_E_NS1_11comp_targetILNS1_3genE6ELNS1_11target_archE950ELNS1_3gpuE13ELNS1_3repE0EEENS1_47radix_sort_onesweep_sort_config_static_selectorELNS0_4arch9wavefront6targetE0EEEvSG_,comdat
.Lfunc_end136:
	.size	_ZN7rocprim17ROCPRIM_400000_NS6detail17trampoline_kernelINS0_14default_configENS1_35radix_sort_onesweep_config_selectorIhNS0_10empty_typeEEEZZNS1_29radix_sort_onesweep_iterationIS3_Lb1EPKhPhPS5_SB_mNS0_19identity_decomposerENS1_16block_id_wrapperIjLb0EEEEE10hipError_tT1_PNSt15iterator_traitsISG_E10value_typeET2_T3_PNSH_ISM_E10value_typeET4_T5_PSR_SS_PNS1_23onesweep_lookback_stateEbbT6_jjT7_P12ihipStream_tbENKUlT_T0_SG_SL_E_clISA_SA_SB_SB_EEDaSZ_S10_SG_SL_EUlSZ_E_NS1_11comp_targetILNS1_3genE6ELNS1_11target_archE950ELNS1_3gpuE13ELNS1_3repE0EEENS1_47radix_sort_onesweep_sort_config_static_selectorELNS0_4arch9wavefront6targetE0EEEvSG_, .Lfunc_end136-_ZN7rocprim17ROCPRIM_400000_NS6detail17trampoline_kernelINS0_14default_configENS1_35radix_sort_onesweep_config_selectorIhNS0_10empty_typeEEEZZNS1_29radix_sort_onesweep_iterationIS3_Lb1EPKhPhPS5_SB_mNS0_19identity_decomposerENS1_16block_id_wrapperIjLb0EEEEE10hipError_tT1_PNSt15iterator_traitsISG_E10value_typeET2_T3_PNSH_ISM_E10value_typeET4_T5_PSR_SS_PNS1_23onesweep_lookback_stateEbbT6_jjT7_P12ihipStream_tbENKUlT_T0_SG_SL_E_clISA_SA_SB_SB_EEDaSZ_S10_SG_SL_EUlSZ_E_NS1_11comp_targetILNS1_3genE6ELNS1_11target_archE950ELNS1_3gpuE13ELNS1_3repE0EEENS1_47radix_sort_onesweep_sort_config_static_selectorELNS0_4arch9wavefront6targetE0EEEvSG_
                                        ; -- End function
	.set _ZN7rocprim17ROCPRIM_400000_NS6detail17trampoline_kernelINS0_14default_configENS1_35radix_sort_onesweep_config_selectorIhNS0_10empty_typeEEEZZNS1_29radix_sort_onesweep_iterationIS3_Lb1EPKhPhPS5_SB_mNS0_19identity_decomposerENS1_16block_id_wrapperIjLb0EEEEE10hipError_tT1_PNSt15iterator_traitsISG_E10value_typeET2_T3_PNSH_ISM_E10value_typeET4_T5_PSR_SS_PNS1_23onesweep_lookback_stateEbbT6_jjT7_P12ihipStream_tbENKUlT_T0_SG_SL_E_clISA_SA_SB_SB_EEDaSZ_S10_SG_SL_EUlSZ_E_NS1_11comp_targetILNS1_3genE6ELNS1_11target_archE950ELNS1_3gpuE13ELNS1_3repE0EEENS1_47radix_sort_onesweep_sort_config_static_selectorELNS0_4arch9wavefront6targetE0EEEvSG_.num_vgpr, 0
	.set _ZN7rocprim17ROCPRIM_400000_NS6detail17trampoline_kernelINS0_14default_configENS1_35radix_sort_onesweep_config_selectorIhNS0_10empty_typeEEEZZNS1_29radix_sort_onesweep_iterationIS3_Lb1EPKhPhPS5_SB_mNS0_19identity_decomposerENS1_16block_id_wrapperIjLb0EEEEE10hipError_tT1_PNSt15iterator_traitsISG_E10value_typeET2_T3_PNSH_ISM_E10value_typeET4_T5_PSR_SS_PNS1_23onesweep_lookback_stateEbbT6_jjT7_P12ihipStream_tbENKUlT_T0_SG_SL_E_clISA_SA_SB_SB_EEDaSZ_S10_SG_SL_EUlSZ_E_NS1_11comp_targetILNS1_3genE6ELNS1_11target_archE950ELNS1_3gpuE13ELNS1_3repE0EEENS1_47radix_sort_onesweep_sort_config_static_selectorELNS0_4arch9wavefront6targetE0EEEvSG_.num_agpr, 0
	.set _ZN7rocprim17ROCPRIM_400000_NS6detail17trampoline_kernelINS0_14default_configENS1_35radix_sort_onesweep_config_selectorIhNS0_10empty_typeEEEZZNS1_29radix_sort_onesweep_iterationIS3_Lb1EPKhPhPS5_SB_mNS0_19identity_decomposerENS1_16block_id_wrapperIjLb0EEEEE10hipError_tT1_PNSt15iterator_traitsISG_E10value_typeET2_T3_PNSH_ISM_E10value_typeET4_T5_PSR_SS_PNS1_23onesweep_lookback_stateEbbT6_jjT7_P12ihipStream_tbENKUlT_T0_SG_SL_E_clISA_SA_SB_SB_EEDaSZ_S10_SG_SL_EUlSZ_E_NS1_11comp_targetILNS1_3genE6ELNS1_11target_archE950ELNS1_3gpuE13ELNS1_3repE0EEENS1_47radix_sort_onesweep_sort_config_static_selectorELNS0_4arch9wavefront6targetE0EEEvSG_.numbered_sgpr, 0
	.set _ZN7rocprim17ROCPRIM_400000_NS6detail17trampoline_kernelINS0_14default_configENS1_35radix_sort_onesweep_config_selectorIhNS0_10empty_typeEEEZZNS1_29radix_sort_onesweep_iterationIS3_Lb1EPKhPhPS5_SB_mNS0_19identity_decomposerENS1_16block_id_wrapperIjLb0EEEEE10hipError_tT1_PNSt15iterator_traitsISG_E10value_typeET2_T3_PNSH_ISM_E10value_typeET4_T5_PSR_SS_PNS1_23onesweep_lookback_stateEbbT6_jjT7_P12ihipStream_tbENKUlT_T0_SG_SL_E_clISA_SA_SB_SB_EEDaSZ_S10_SG_SL_EUlSZ_E_NS1_11comp_targetILNS1_3genE6ELNS1_11target_archE950ELNS1_3gpuE13ELNS1_3repE0EEENS1_47radix_sort_onesweep_sort_config_static_selectorELNS0_4arch9wavefront6targetE0EEEvSG_.num_named_barrier, 0
	.set _ZN7rocprim17ROCPRIM_400000_NS6detail17trampoline_kernelINS0_14default_configENS1_35radix_sort_onesweep_config_selectorIhNS0_10empty_typeEEEZZNS1_29radix_sort_onesweep_iterationIS3_Lb1EPKhPhPS5_SB_mNS0_19identity_decomposerENS1_16block_id_wrapperIjLb0EEEEE10hipError_tT1_PNSt15iterator_traitsISG_E10value_typeET2_T3_PNSH_ISM_E10value_typeET4_T5_PSR_SS_PNS1_23onesweep_lookback_stateEbbT6_jjT7_P12ihipStream_tbENKUlT_T0_SG_SL_E_clISA_SA_SB_SB_EEDaSZ_S10_SG_SL_EUlSZ_E_NS1_11comp_targetILNS1_3genE6ELNS1_11target_archE950ELNS1_3gpuE13ELNS1_3repE0EEENS1_47radix_sort_onesweep_sort_config_static_selectorELNS0_4arch9wavefront6targetE0EEEvSG_.private_seg_size, 0
	.set _ZN7rocprim17ROCPRIM_400000_NS6detail17trampoline_kernelINS0_14default_configENS1_35radix_sort_onesweep_config_selectorIhNS0_10empty_typeEEEZZNS1_29radix_sort_onesweep_iterationIS3_Lb1EPKhPhPS5_SB_mNS0_19identity_decomposerENS1_16block_id_wrapperIjLb0EEEEE10hipError_tT1_PNSt15iterator_traitsISG_E10value_typeET2_T3_PNSH_ISM_E10value_typeET4_T5_PSR_SS_PNS1_23onesweep_lookback_stateEbbT6_jjT7_P12ihipStream_tbENKUlT_T0_SG_SL_E_clISA_SA_SB_SB_EEDaSZ_S10_SG_SL_EUlSZ_E_NS1_11comp_targetILNS1_3genE6ELNS1_11target_archE950ELNS1_3gpuE13ELNS1_3repE0EEENS1_47radix_sort_onesweep_sort_config_static_selectorELNS0_4arch9wavefront6targetE0EEEvSG_.uses_vcc, 0
	.set _ZN7rocprim17ROCPRIM_400000_NS6detail17trampoline_kernelINS0_14default_configENS1_35radix_sort_onesweep_config_selectorIhNS0_10empty_typeEEEZZNS1_29radix_sort_onesweep_iterationIS3_Lb1EPKhPhPS5_SB_mNS0_19identity_decomposerENS1_16block_id_wrapperIjLb0EEEEE10hipError_tT1_PNSt15iterator_traitsISG_E10value_typeET2_T3_PNSH_ISM_E10value_typeET4_T5_PSR_SS_PNS1_23onesweep_lookback_stateEbbT6_jjT7_P12ihipStream_tbENKUlT_T0_SG_SL_E_clISA_SA_SB_SB_EEDaSZ_S10_SG_SL_EUlSZ_E_NS1_11comp_targetILNS1_3genE6ELNS1_11target_archE950ELNS1_3gpuE13ELNS1_3repE0EEENS1_47radix_sort_onesweep_sort_config_static_selectorELNS0_4arch9wavefront6targetE0EEEvSG_.uses_flat_scratch, 0
	.set _ZN7rocprim17ROCPRIM_400000_NS6detail17trampoline_kernelINS0_14default_configENS1_35radix_sort_onesweep_config_selectorIhNS0_10empty_typeEEEZZNS1_29radix_sort_onesweep_iterationIS3_Lb1EPKhPhPS5_SB_mNS0_19identity_decomposerENS1_16block_id_wrapperIjLb0EEEEE10hipError_tT1_PNSt15iterator_traitsISG_E10value_typeET2_T3_PNSH_ISM_E10value_typeET4_T5_PSR_SS_PNS1_23onesweep_lookback_stateEbbT6_jjT7_P12ihipStream_tbENKUlT_T0_SG_SL_E_clISA_SA_SB_SB_EEDaSZ_S10_SG_SL_EUlSZ_E_NS1_11comp_targetILNS1_3genE6ELNS1_11target_archE950ELNS1_3gpuE13ELNS1_3repE0EEENS1_47radix_sort_onesweep_sort_config_static_selectorELNS0_4arch9wavefront6targetE0EEEvSG_.has_dyn_sized_stack, 0
	.set _ZN7rocprim17ROCPRIM_400000_NS6detail17trampoline_kernelINS0_14default_configENS1_35radix_sort_onesweep_config_selectorIhNS0_10empty_typeEEEZZNS1_29radix_sort_onesweep_iterationIS3_Lb1EPKhPhPS5_SB_mNS0_19identity_decomposerENS1_16block_id_wrapperIjLb0EEEEE10hipError_tT1_PNSt15iterator_traitsISG_E10value_typeET2_T3_PNSH_ISM_E10value_typeET4_T5_PSR_SS_PNS1_23onesweep_lookback_stateEbbT6_jjT7_P12ihipStream_tbENKUlT_T0_SG_SL_E_clISA_SA_SB_SB_EEDaSZ_S10_SG_SL_EUlSZ_E_NS1_11comp_targetILNS1_3genE6ELNS1_11target_archE950ELNS1_3gpuE13ELNS1_3repE0EEENS1_47radix_sort_onesweep_sort_config_static_selectorELNS0_4arch9wavefront6targetE0EEEvSG_.has_recursion, 0
	.set _ZN7rocprim17ROCPRIM_400000_NS6detail17trampoline_kernelINS0_14default_configENS1_35radix_sort_onesweep_config_selectorIhNS0_10empty_typeEEEZZNS1_29radix_sort_onesweep_iterationIS3_Lb1EPKhPhPS5_SB_mNS0_19identity_decomposerENS1_16block_id_wrapperIjLb0EEEEE10hipError_tT1_PNSt15iterator_traitsISG_E10value_typeET2_T3_PNSH_ISM_E10value_typeET4_T5_PSR_SS_PNS1_23onesweep_lookback_stateEbbT6_jjT7_P12ihipStream_tbENKUlT_T0_SG_SL_E_clISA_SA_SB_SB_EEDaSZ_S10_SG_SL_EUlSZ_E_NS1_11comp_targetILNS1_3genE6ELNS1_11target_archE950ELNS1_3gpuE13ELNS1_3repE0EEENS1_47radix_sort_onesweep_sort_config_static_selectorELNS0_4arch9wavefront6targetE0EEEvSG_.has_indirect_call, 0
	.section	.AMDGPU.csdata,"",@progbits
; Kernel info:
; codeLenInByte = 0
; TotalNumSgprs: 0
; NumVgprs: 0
; ScratchSize: 0
; MemoryBound: 0
; FloatMode: 240
; IeeeMode: 1
; LDSByteSize: 0 bytes/workgroup (compile time only)
; SGPRBlocks: 0
; VGPRBlocks: 0
; NumSGPRsForWavesPerEU: 1
; NumVGPRsForWavesPerEU: 1
; NamedBarCnt: 0
; Occupancy: 16
; WaveLimiterHint : 0
; COMPUTE_PGM_RSRC2:SCRATCH_EN: 0
; COMPUTE_PGM_RSRC2:USER_SGPR: 2
; COMPUTE_PGM_RSRC2:TRAP_HANDLER: 0
; COMPUTE_PGM_RSRC2:TGID_X_EN: 1
; COMPUTE_PGM_RSRC2:TGID_Y_EN: 0
; COMPUTE_PGM_RSRC2:TGID_Z_EN: 0
; COMPUTE_PGM_RSRC2:TIDIG_COMP_CNT: 0
	.section	.text._ZN7rocprim17ROCPRIM_400000_NS6detail17trampoline_kernelINS0_14default_configENS1_35radix_sort_onesweep_config_selectorIhNS0_10empty_typeEEEZZNS1_29radix_sort_onesweep_iterationIS3_Lb1EPKhPhPS5_SB_mNS0_19identity_decomposerENS1_16block_id_wrapperIjLb0EEEEE10hipError_tT1_PNSt15iterator_traitsISG_E10value_typeET2_T3_PNSH_ISM_E10value_typeET4_T5_PSR_SS_PNS1_23onesweep_lookback_stateEbbT6_jjT7_P12ihipStream_tbENKUlT_T0_SG_SL_E_clISA_SA_SB_SB_EEDaSZ_S10_SG_SL_EUlSZ_E_NS1_11comp_targetILNS1_3genE5ELNS1_11target_archE942ELNS1_3gpuE9ELNS1_3repE0EEENS1_47radix_sort_onesweep_sort_config_static_selectorELNS0_4arch9wavefront6targetE0EEEvSG_,"axG",@progbits,_ZN7rocprim17ROCPRIM_400000_NS6detail17trampoline_kernelINS0_14default_configENS1_35radix_sort_onesweep_config_selectorIhNS0_10empty_typeEEEZZNS1_29radix_sort_onesweep_iterationIS3_Lb1EPKhPhPS5_SB_mNS0_19identity_decomposerENS1_16block_id_wrapperIjLb0EEEEE10hipError_tT1_PNSt15iterator_traitsISG_E10value_typeET2_T3_PNSH_ISM_E10value_typeET4_T5_PSR_SS_PNS1_23onesweep_lookback_stateEbbT6_jjT7_P12ihipStream_tbENKUlT_T0_SG_SL_E_clISA_SA_SB_SB_EEDaSZ_S10_SG_SL_EUlSZ_E_NS1_11comp_targetILNS1_3genE5ELNS1_11target_archE942ELNS1_3gpuE9ELNS1_3repE0EEENS1_47radix_sort_onesweep_sort_config_static_selectorELNS0_4arch9wavefront6targetE0EEEvSG_,comdat
	.protected	_ZN7rocprim17ROCPRIM_400000_NS6detail17trampoline_kernelINS0_14default_configENS1_35radix_sort_onesweep_config_selectorIhNS0_10empty_typeEEEZZNS1_29radix_sort_onesweep_iterationIS3_Lb1EPKhPhPS5_SB_mNS0_19identity_decomposerENS1_16block_id_wrapperIjLb0EEEEE10hipError_tT1_PNSt15iterator_traitsISG_E10value_typeET2_T3_PNSH_ISM_E10value_typeET4_T5_PSR_SS_PNS1_23onesweep_lookback_stateEbbT6_jjT7_P12ihipStream_tbENKUlT_T0_SG_SL_E_clISA_SA_SB_SB_EEDaSZ_S10_SG_SL_EUlSZ_E_NS1_11comp_targetILNS1_3genE5ELNS1_11target_archE942ELNS1_3gpuE9ELNS1_3repE0EEENS1_47radix_sort_onesweep_sort_config_static_selectorELNS0_4arch9wavefront6targetE0EEEvSG_ ; -- Begin function _ZN7rocprim17ROCPRIM_400000_NS6detail17trampoline_kernelINS0_14default_configENS1_35radix_sort_onesweep_config_selectorIhNS0_10empty_typeEEEZZNS1_29radix_sort_onesweep_iterationIS3_Lb1EPKhPhPS5_SB_mNS0_19identity_decomposerENS1_16block_id_wrapperIjLb0EEEEE10hipError_tT1_PNSt15iterator_traitsISG_E10value_typeET2_T3_PNSH_ISM_E10value_typeET4_T5_PSR_SS_PNS1_23onesweep_lookback_stateEbbT6_jjT7_P12ihipStream_tbENKUlT_T0_SG_SL_E_clISA_SA_SB_SB_EEDaSZ_S10_SG_SL_EUlSZ_E_NS1_11comp_targetILNS1_3genE5ELNS1_11target_archE942ELNS1_3gpuE9ELNS1_3repE0EEENS1_47radix_sort_onesweep_sort_config_static_selectorELNS0_4arch9wavefront6targetE0EEEvSG_
	.globl	_ZN7rocprim17ROCPRIM_400000_NS6detail17trampoline_kernelINS0_14default_configENS1_35radix_sort_onesweep_config_selectorIhNS0_10empty_typeEEEZZNS1_29radix_sort_onesweep_iterationIS3_Lb1EPKhPhPS5_SB_mNS0_19identity_decomposerENS1_16block_id_wrapperIjLb0EEEEE10hipError_tT1_PNSt15iterator_traitsISG_E10value_typeET2_T3_PNSH_ISM_E10value_typeET4_T5_PSR_SS_PNS1_23onesweep_lookback_stateEbbT6_jjT7_P12ihipStream_tbENKUlT_T0_SG_SL_E_clISA_SA_SB_SB_EEDaSZ_S10_SG_SL_EUlSZ_E_NS1_11comp_targetILNS1_3genE5ELNS1_11target_archE942ELNS1_3gpuE9ELNS1_3repE0EEENS1_47radix_sort_onesweep_sort_config_static_selectorELNS0_4arch9wavefront6targetE0EEEvSG_
	.p2align	8
	.type	_ZN7rocprim17ROCPRIM_400000_NS6detail17trampoline_kernelINS0_14default_configENS1_35radix_sort_onesweep_config_selectorIhNS0_10empty_typeEEEZZNS1_29radix_sort_onesweep_iterationIS3_Lb1EPKhPhPS5_SB_mNS0_19identity_decomposerENS1_16block_id_wrapperIjLb0EEEEE10hipError_tT1_PNSt15iterator_traitsISG_E10value_typeET2_T3_PNSH_ISM_E10value_typeET4_T5_PSR_SS_PNS1_23onesweep_lookback_stateEbbT6_jjT7_P12ihipStream_tbENKUlT_T0_SG_SL_E_clISA_SA_SB_SB_EEDaSZ_S10_SG_SL_EUlSZ_E_NS1_11comp_targetILNS1_3genE5ELNS1_11target_archE942ELNS1_3gpuE9ELNS1_3repE0EEENS1_47radix_sort_onesweep_sort_config_static_selectorELNS0_4arch9wavefront6targetE0EEEvSG_,@function
_ZN7rocprim17ROCPRIM_400000_NS6detail17trampoline_kernelINS0_14default_configENS1_35radix_sort_onesweep_config_selectorIhNS0_10empty_typeEEEZZNS1_29radix_sort_onesweep_iterationIS3_Lb1EPKhPhPS5_SB_mNS0_19identity_decomposerENS1_16block_id_wrapperIjLb0EEEEE10hipError_tT1_PNSt15iterator_traitsISG_E10value_typeET2_T3_PNSH_ISM_E10value_typeET4_T5_PSR_SS_PNS1_23onesweep_lookback_stateEbbT6_jjT7_P12ihipStream_tbENKUlT_T0_SG_SL_E_clISA_SA_SB_SB_EEDaSZ_S10_SG_SL_EUlSZ_E_NS1_11comp_targetILNS1_3genE5ELNS1_11target_archE942ELNS1_3gpuE9ELNS1_3repE0EEENS1_47radix_sort_onesweep_sort_config_static_selectorELNS0_4arch9wavefront6targetE0EEEvSG_: ; @_ZN7rocprim17ROCPRIM_400000_NS6detail17trampoline_kernelINS0_14default_configENS1_35radix_sort_onesweep_config_selectorIhNS0_10empty_typeEEEZZNS1_29radix_sort_onesweep_iterationIS3_Lb1EPKhPhPS5_SB_mNS0_19identity_decomposerENS1_16block_id_wrapperIjLb0EEEEE10hipError_tT1_PNSt15iterator_traitsISG_E10value_typeET2_T3_PNSH_ISM_E10value_typeET4_T5_PSR_SS_PNS1_23onesweep_lookback_stateEbbT6_jjT7_P12ihipStream_tbENKUlT_T0_SG_SL_E_clISA_SA_SB_SB_EEDaSZ_S10_SG_SL_EUlSZ_E_NS1_11comp_targetILNS1_3genE5ELNS1_11target_archE942ELNS1_3gpuE9ELNS1_3repE0EEENS1_47radix_sort_onesweep_sort_config_static_selectorELNS0_4arch9wavefront6targetE0EEEvSG_
; %bb.0:
	.section	.rodata,"a",@progbits
	.p2align	6, 0x0
	.amdhsa_kernel _ZN7rocprim17ROCPRIM_400000_NS6detail17trampoline_kernelINS0_14default_configENS1_35radix_sort_onesweep_config_selectorIhNS0_10empty_typeEEEZZNS1_29radix_sort_onesweep_iterationIS3_Lb1EPKhPhPS5_SB_mNS0_19identity_decomposerENS1_16block_id_wrapperIjLb0EEEEE10hipError_tT1_PNSt15iterator_traitsISG_E10value_typeET2_T3_PNSH_ISM_E10value_typeET4_T5_PSR_SS_PNS1_23onesweep_lookback_stateEbbT6_jjT7_P12ihipStream_tbENKUlT_T0_SG_SL_E_clISA_SA_SB_SB_EEDaSZ_S10_SG_SL_EUlSZ_E_NS1_11comp_targetILNS1_3genE5ELNS1_11target_archE942ELNS1_3gpuE9ELNS1_3repE0EEENS1_47radix_sort_onesweep_sort_config_static_selectorELNS0_4arch9wavefront6targetE0EEEvSG_
		.amdhsa_group_segment_fixed_size 0
		.amdhsa_private_segment_fixed_size 0
		.amdhsa_kernarg_size 88
		.amdhsa_user_sgpr_count 2
		.amdhsa_user_sgpr_dispatch_ptr 0
		.amdhsa_user_sgpr_queue_ptr 0
		.amdhsa_user_sgpr_kernarg_segment_ptr 1
		.amdhsa_user_sgpr_dispatch_id 0
		.amdhsa_user_sgpr_kernarg_preload_length 0
		.amdhsa_user_sgpr_kernarg_preload_offset 0
		.amdhsa_user_sgpr_private_segment_size 0
		.amdhsa_wavefront_size32 1
		.amdhsa_uses_dynamic_stack 0
		.amdhsa_enable_private_segment 0
		.amdhsa_system_sgpr_workgroup_id_x 1
		.amdhsa_system_sgpr_workgroup_id_y 0
		.amdhsa_system_sgpr_workgroup_id_z 0
		.amdhsa_system_sgpr_workgroup_info 0
		.amdhsa_system_vgpr_workitem_id 0
		.amdhsa_next_free_vgpr 1
		.amdhsa_next_free_sgpr 1
		.amdhsa_named_barrier_count 0
		.amdhsa_reserve_vcc 0
		.amdhsa_float_round_mode_32 0
		.amdhsa_float_round_mode_16_64 0
		.amdhsa_float_denorm_mode_32 3
		.amdhsa_float_denorm_mode_16_64 3
		.amdhsa_fp16_overflow 0
		.amdhsa_memory_ordered 1
		.amdhsa_forward_progress 1
		.amdhsa_inst_pref_size 0
		.amdhsa_round_robin_scheduling 0
		.amdhsa_exception_fp_ieee_invalid_op 0
		.amdhsa_exception_fp_denorm_src 0
		.amdhsa_exception_fp_ieee_div_zero 0
		.amdhsa_exception_fp_ieee_overflow 0
		.amdhsa_exception_fp_ieee_underflow 0
		.amdhsa_exception_fp_ieee_inexact 0
		.amdhsa_exception_int_div_zero 0
	.end_amdhsa_kernel
	.section	.text._ZN7rocprim17ROCPRIM_400000_NS6detail17trampoline_kernelINS0_14default_configENS1_35radix_sort_onesweep_config_selectorIhNS0_10empty_typeEEEZZNS1_29radix_sort_onesweep_iterationIS3_Lb1EPKhPhPS5_SB_mNS0_19identity_decomposerENS1_16block_id_wrapperIjLb0EEEEE10hipError_tT1_PNSt15iterator_traitsISG_E10value_typeET2_T3_PNSH_ISM_E10value_typeET4_T5_PSR_SS_PNS1_23onesweep_lookback_stateEbbT6_jjT7_P12ihipStream_tbENKUlT_T0_SG_SL_E_clISA_SA_SB_SB_EEDaSZ_S10_SG_SL_EUlSZ_E_NS1_11comp_targetILNS1_3genE5ELNS1_11target_archE942ELNS1_3gpuE9ELNS1_3repE0EEENS1_47radix_sort_onesweep_sort_config_static_selectorELNS0_4arch9wavefront6targetE0EEEvSG_,"axG",@progbits,_ZN7rocprim17ROCPRIM_400000_NS6detail17trampoline_kernelINS0_14default_configENS1_35radix_sort_onesweep_config_selectorIhNS0_10empty_typeEEEZZNS1_29radix_sort_onesweep_iterationIS3_Lb1EPKhPhPS5_SB_mNS0_19identity_decomposerENS1_16block_id_wrapperIjLb0EEEEE10hipError_tT1_PNSt15iterator_traitsISG_E10value_typeET2_T3_PNSH_ISM_E10value_typeET4_T5_PSR_SS_PNS1_23onesweep_lookback_stateEbbT6_jjT7_P12ihipStream_tbENKUlT_T0_SG_SL_E_clISA_SA_SB_SB_EEDaSZ_S10_SG_SL_EUlSZ_E_NS1_11comp_targetILNS1_3genE5ELNS1_11target_archE942ELNS1_3gpuE9ELNS1_3repE0EEENS1_47radix_sort_onesweep_sort_config_static_selectorELNS0_4arch9wavefront6targetE0EEEvSG_,comdat
.Lfunc_end137:
	.size	_ZN7rocprim17ROCPRIM_400000_NS6detail17trampoline_kernelINS0_14default_configENS1_35radix_sort_onesweep_config_selectorIhNS0_10empty_typeEEEZZNS1_29radix_sort_onesweep_iterationIS3_Lb1EPKhPhPS5_SB_mNS0_19identity_decomposerENS1_16block_id_wrapperIjLb0EEEEE10hipError_tT1_PNSt15iterator_traitsISG_E10value_typeET2_T3_PNSH_ISM_E10value_typeET4_T5_PSR_SS_PNS1_23onesweep_lookback_stateEbbT6_jjT7_P12ihipStream_tbENKUlT_T0_SG_SL_E_clISA_SA_SB_SB_EEDaSZ_S10_SG_SL_EUlSZ_E_NS1_11comp_targetILNS1_3genE5ELNS1_11target_archE942ELNS1_3gpuE9ELNS1_3repE0EEENS1_47radix_sort_onesweep_sort_config_static_selectorELNS0_4arch9wavefront6targetE0EEEvSG_, .Lfunc_end137-_ZN7rocprim17ROCPRIM_400000_NS6detail17trampoline_kernelINS0_14default_configENS1_35radix_sort_onesweep_config_selectorIhNS0_10empty_typeEEEZZNS1_29radix_sort_onesweep_iterationIS3_Lb1EPKhPhPS5_SB_mNS0_19identity_decomposerENS1_16block_id_wrapperIjLb0EEEEE10hipError_tT1_PNSt15iterator_traitsISG_E10value_typeET2_T3_PNSH_ISM_E10value_typeET4_T5_PSR_SS_PNS1_23onesweep_lookback_stateEbbT6_jjT7_P12ihipStream_tbENKUlT_T0_SG_SL_E_clISA_SA_SB_SB_EEDaSZ_S10_SG_SL_EUlSZ_E_NS1_11comp_targetILNS1_3genE5ELNS1_11target_archE942ELNS1_3gpuE9ELNS1_3repE0EEENS1_47radix_sort_onesweep_sort_config_static_selectorELNS0_4arch9wavefront6targetE0EEEvSG_
                                        ; -- End function
	.set _ZN7rocprim17ROCPRIM_400000_NS6detail17trampoline_kernelINS0_14default_configENS1_35radix_sort_onesweep_config_selectorIhNS0_10empty_typeEEEZZNS1_29radix_sort_onesweep_iterationIS3_Lb1EPKhPhPS5_SB_mNS0_19identity_decomposerENS1_16block_id_wrapperIjLb0EEEEE10hipError_tT1_PNSt15iterator_traitsISG_E10value_typeET2_T3_PNSH_ISM_E10value_typeET4_T5_PSR_SS_PNS1_23onesweep_lookback_stateEbbT6_jjT7_P12ihipStream_tbENKUlT_T0_SG_SL_E_clISA_SA_SB_SB_EEDaSZ_S10_SG_SL_EUlSZ_E_NS1_11comp_targetILNS1_3genE5ELNS1_11target_archE942ELNS1_3gpuE9ELNS1_3repE0EEENS1_47radix_sort_onesweep_sort_config_static_selectorELNS0_4arch9wavefront6targetE0EEEvSG_.num_vgpr, 0
	.set _ZN7rocprim17ROCPRIM_400000_NS6detail17trampoline_kernelINS0_14default_configENS1_35radix_sort_onesweep_config_selectorIhNS0_10empty_typeEEEZZNS1_29radix_sort_onesweep_iterationIS3_Lb1EPKhPhPS5_SB_mNS0_19identity_decomposerENS1_16block_id_wrapperIjLb0EEEEE10hipError_tT1_PNSt15iterator_traitsISG_E10value_typeET2_T3_PNSH_ISM_E10value_typeET4_T5_PSR_SS_PNS1_23onesweep_lookback_stateEbbT6_jjT7_P12ihipStream_tbENKUlT_T0_SG_SL_E_clISA_SA_SB_SB_EEDaSZ_S10_SG_SL_EUlSZ_E_NS1_11comp_targetILNS1_3genE5ELNS1_11target_archE942ELNS1_3gpuE9ELNS1_3repE0EEENS1_47radix_sort_onesweep_sort_config_static_selectorELNS0_4arch9wavefront6targetE0EEEvSG_.num_agpr, 0
	.set _ZN7rocprim17ROCPRIM_400000_NS6detail17trampoline_kernelINS0_14default_configENS1_35radix_sort_onesweep_config_selectorIhNS0_10empty_typeEEEZZNS1_29radix_sort_onesweep_iterationIS3_Lb1EPKhPhPS5_SB_mNS0_19identity_decomposerENS1_16block_id_wrapperIjLb0EEEEE10hipError_tT1_PNSt15iterator_traitsISG_E10value_typeET2_T3_PNSH_ISM_E10value_typeET4_T5_PSR_SS_PNS1_23onesweep_lookback_stateEbbT6_jjT7_P12ihipStream_tbENKUlT_T0_SG_SL_E_clISA_SA_SB_SB_EEDaSZ_S10_SG_SL_EUlSZ_E_NS1_11comp_targetILNS1_3genE5ELNS1_11target_archE942ELNS1_3gpuE9ELNS1_3repE0EEENS1_47radix_sort_onesweep_sort_config_static_selectorELNS0_4arch9wavefront6targetE0EEEvSG_.numbered_sgpr, 0
	.set _ZN7rocprim17ROCPRIM_400000_NS6detail17trampoline_kernelINS0_14default_configENS1_35radix_sort_onesweep_config_selectorIhNS0_10empty_typeEEEZZNS1_29radix_sort_onesweep_iterationIS3_Lb1EPKhPhPS5_SB_mNS0_19identity_decomposerENS1_16block_id_wrapperIjLb0EEEEE10hipError_tT1_PNSt15iterator_traitsISG_E10value_typeET2_T3_PNSH_ISM_E10value_typeET4_T5_PSR_SS_PNS1_23onesweep_lookback_stateEbbT6_jjT7_P12ihipStream_tbENKUlT_T0_SG_SL_E_clISA_SA_SB_SB_EEDaSZ_S10_SG_SL_EUlSZ_E_NS1_11comp_targetILNS1_3genE5ELNS1_11target_archE942ELNS1_3gpuE9ELNS1_3repE0EEENS1_47radix_sort_onesweep_sort_config_static_selectorELNS0_4arch9wavefront6targetE0EEEvSG_.num_named_barrier, 0
	.set _ZN7rocprim17ROCPRIM_400000_NS6detail17trampoline_kernelINS0_14default_configENS1_35radix_sort_onesweep_config_selectorIhNS0_10empty_typeEEEZZNS1_29radix_sort_onesweep_iterationIS3_Lb1EPKhPhPS5_SB_mNS0_19identity_decomposerENS1_16block_id_wrapperIjLb0EEEEE10hipError_tT1_PNSt15iterator_traitsISG_E10value_typeET2_T3_PNSH_ISM_E10value_typeET4_T5_PSR_SS_PNS1_23onesweep_lookback_stateEbbT6_jjT7_P12ihipStream_tbENKUlT_T0_SG_SL_E_clISA_SA_SB_SB_EEDaSZ_S10_SG_SL_EUlSZ_E_NS1_11comp_targetILNS1_3genE5ELNS1_11target_archE942ELNS1_3gpuE9ELNS1_3repE0EEENS1_47radix_sort_onesweep_sort_config_static_selectorELNS0_4arch9wavefront6targetE0EEEvSG_.private_seg_size, 0
	.set _ZN7rocprim17ROCPRIM_400000_NS6detail17trampoline_kernelINS0_14default_configENS1_35radix_sort_onesweep_config_selectorIhNS0_10empty_typeEEEZZNS1_29radix_sort_onesweep_iterationIS3_Lb1EPKhPhPS5_SB_mNS0_19identity_decomposerENS1_16block_id_wrapperIjLb0EEEEE10hipError_tT1_PNSt15iterator_traitsISG_E10value_typeET2_T3_PNSH_ISM_E10value_typeET4_T5_PSR_SS_PNS1_23onesweep_lookback_stateEbbT6_jjT7_P12ihipStream_tbENKUlT_T0_SG_SL_E_clISA_SA_SB_SB_EEDaSZ_S10_SG_SL_EUlSZ_E_NS1_11comp_targetILNS1_3genE5ELNS1_11target_archE942ELNS1_3gpuE9ELNS1_3repE0EEENS1_47radix_sort_onesweep_sort_config_static_selectorELNS0_4arch9wavefront6targetE0EEEvSG_.uses_vcc, 0
	.set _ZN7rocprim17ROCPRIM_400000_NS6detail17trampoline_kernelINS0_14default_configENS1_35radix_sort_onesweep_config_selectorIhNS0_10empty_typeEEEZZNS1_29radix_sort_onesweep_iterationIS3_Lb1EPKhPhPS5_SB_mNS0_19identity_decomposerENS1_16block_id_wrapperIjLb0EEEEE10hipError_tT1_PNSt15iterator_traitsISG_E10value_typeET2_T3_PNSH_ISM_E10value_typeET4_T5_PSR_SS_PNS1_23onesweep_lookback_stateEbbT6_jjT7_P12ihipStream_tbENKUlT_T0_SG_SL_E_clISA_SA_SB_SB_EEDaSZ_S10_SG_SL_EUlSZ_E_NS1_11comp_targetILNS1_3genE5ELNS1_11target_archE942ELNS1_3gpuE9ELNS1_3repE0EEENS1_47radix_sort_onesweep_sort_config_static_selectorELNS0_4arch9wavefront6targetE0EEEvSG_.uses_flat_scratch, 0
	.set _ZN7rocprim17ROCPRIM_400000_NS6detail17trampoline_kernelINS0_14default_configENS1_35radix_sort_onesweep_config_selectorIhNS0_10empty_typeEEEZZNS1_29radix_sort_onesweep_iterationIS3_Lb1EPKhPhPS5_SB_mNS0_19identity_decomposerENS1_16block_id_wrapperIjLb0EEEEE10hipError_tT1_PNSt15iterator_traitsISG_E10value_typeET2_T3_PNSH_ISM_E10value_typeET4_T5_PSR_SS_PNS1_23onesweep_lookback_stateEbbT6_jjT7_P12ihipStream_tbENKUlT_T0_SG_SL_E_clISA_SA_SB_SB_EEDaSZ_S10_SG_SL_EUlSZ_E_NS1_11comp_targetILNS1_3genE5ELNS1_11target_archE942ELNS1_3gpuE9ELNS1_3repE0EEENS1_47radix_sort_onesweep_sort_config_static_selectorELNS0_4arch9wavefront6targetE0EEEvSG_.has_dyn_sized_stack, 0
	.set _ZN7rocprim17ROCPRIM_400000_NS6detail17trampoline_kernelINS0_14default_configENS1_35radix_sort_onesweep_config_selectorIhNS0_10empty_typeEEEZZNS1_29radix_sort_onesweep_iterationIS3_Lb1EPKhPhPS5_SB_mNS0_19identity_decomposerENS1_16block_id_wrapperIjLb0EEEEE10hipError_tT1_PNSt15iterator_traitsISG_E10value_typeET2_T3_PNSH_ISM_E10value_typeET4_T5_PSR_SS_PNS1_23onesweep_lookback_stateEbbT6_jjT7_P12ihipStream_tbENKUlT_T0_SG_SL_E_clISA_SA_SB_SB_EEDaSZ_S10_SG_SL_EUlSZ_E_NS1_11comp_targetILNS1_3genE5ELNS1_11target_archE942ELNS1_3gpuE9ELNS1_3repE0EEENS1_47radix_sort_onesweep_sort_config_static_selectorELNS0_4arch9wavefront6targetE0EEEvSG_.has_recursion, 0
	.set _ZN7rocprim17ROCPRIM_400000_NS6detail17trampoline_kernelINS0_14default_configENS1_35radix_sort_onesweep_config_selectorIhNS0_10empty_typeEEEZZNS1_29radix_sort_onesweep_iterationIS3_Lb1EPKhPhPS5_SB_mNS0_19identity_decomposerENS1_16block_id_wrapperIjLb0EEEEE10hipError_tT1_PNSt15iterator_traitsISG_E10value_typeET2_T3_PNSH_ISM_E10value_typeET4_T5_PSR_SS_PNS1_23onesweep_lookback_stateEbbT6_jjT7_P12ihipStream_tbENKUlT_T0_SG_SL_E_clISA_SA_SB_SB_EEDaSZ_S10_SG_SL_EUlSZ_E_NS1_11comp_targetILNS1_3genE5ELNS1_11target_archE942ELNS1_3gpuE9ELNS1_3repE0EEENS1_47radix_sort_onesweep_sort_config_static_selectorELNS0_4arch9wavefront6targetE0EEEvSG_.has_indirect_call, 0
	.section	.AMDGPU.csdata,"",@progbits
; Kernel info:
; codeLenInByte = 0
; TotalNumSgprs: 0
; NumVgprs: 0
; ScratchSize: 0
; MemoryBound: 0
; FloatMode: 240
; IeeeMode: 1
; LDSByteSize: 0 bytes/workgroup (compile time only)
; SGPRBlocks: 0
; VGPRBlocks: 0
; NumSGPRsForWavesPerEU: 1
; NumVGPRsForWavesPerEU: 1
; NamedBarCnt: 0
; Occupancy: 16
; WaveLimiterHint : 0
; COMPUTE_PGM_RSRC2:SCRATCH_EN: 0
; COMPUTE_PGM_RSRC2:USER_SGPR: 2
; COMPUTE_PGM_RSRC2:TRAP_HANDLER: 0
; COMPUTE_PGM_RSRC2:TGID_X_EN: 1
; COMPUTE_PGM_RSRC2:TGID_Y_EN: 0
; COMPUTE_PGM_RSRC2:TGID_Z_EN: 0
; COMPUTE_PGM_RSRC2:TIDIG_COMP_CNT: 0
	.section	.text._ZN7rocprim17ROCPRIM_400000_NS6detail17trampoline_kernelINS0_14default_configENS1_35radix_sort_onesweep_config_selectorIhNS0_10empty_typeEEEZZNS1_29radix_sort_onesweep_iterationIS3_Lb1EPKhPhPS5_SB_mNS0_19identity_decomposerENS1_16block_id_wrapperIjLb0EEEEE10hipError_tT1_PNSt15iterator_traitsISG_E10value_typeET2_T3_PNSH_ISM_E10value_typeET4_T5_PSR_SS_PNS1_23onesweep_lookback_stateEbbT6_jjT7_P12ihipStream_tbENKUlT_T0_SG_SL_E_clISA_SA_SB_SB_EEDaSZ_S10_SG_SL_EUlSZ_E_NS1_11comp_targetILNS1_3genE2ELNS1_11target_archE906ELNS1_3gpuE6ELNS1_3repE0EEENS1_47radix_sort_onesweep_sort_config_static_selectorELNS0_4arch9wavefront6targetE0EEEvSG_,"axG",@progbits,_ZN7rocprim17ROCPRIM_400000_NS6detail17trampoline_kernelINS0_14default_configENS1_35radix_sort_onesweep_config_selectorIhNS0_10empty_typeEEEZZNS1_29radix_sort_onesweep_iterationIS3_Lb1EPKhPhPS5_SB_mNS0_19identity_decomposerENS1_16block_id_wrapperIjLb0EEEEE10hipError_tT1_PNSt15iterator_traitsISG_E10value_typeET2_T3_PNSH_ISM_E10value_typeET4_T5_PSR_SS_PNS1_23onesweep_lookback_stateEbbT6_jjT7_P12ihipStream_tbENKUlT_T0_SG_SL_E_clISA_SA_SB_SB_EEDaSZ_S10_SG_SL_EUlSZ_E_NS1_11comp_targetILNS1_3genE2ELNS1_11target_archE906ELNS1_3gpuE6ELNS1_3repE0EEENS1_47radix_sort_onesweep_sort_config_static_selectorELNS0_4arch9wavefront6targetE0EEEvSG_,comdat
	.protected	_ZN7rocprim17ROCPRIM_400000_NS6detail17trampoline_kernelINS0_14default_configENS1_35radix_sort_onesweep_config_selectorIhNS0_10empty_typeEEEZZNS1_29radix_sort_onesweep_iterationIS3_Lb1EPKhPhPS5_SB_mNS0_19identity_decomposerENS1_16block_id_wrapperIjLb0EEEEE10hipError_tT1_PNSt15iterator_traitsISG_E10value_typeET2_T3_PNSH_ISM_E10value_typeET4_T5_PSR_SS_PNS1_23onesweep_lookback_stateEbbT6_jjT7_P12ihipStream_tbENKUlT_T0_SG_SL_E_clISA_SA_SB_SB_EEDaSZ_S10_SG_SL_EUlSZ_E_NS1_11comp_targetILNS1_3genE2ELNS1_11target_archE906ELNS1_3gpuE6ELNS1_3repE0EEENS1_47radix_sort_onesweep_sort_config_static_selectorELNS0_4arch9wavefront6targetE0EEEvSG_ ; -- Begin function _ZN7rocprim17ROCPRIM_400000_NS6detail17trampoline_kernelINS0_14default_configENS1_35radix_sort_onesweep_config_selectorIhNS0_10empty_typeEEEZZNS1_29radix_sort_onesweep_iterationIS3_Lb1EPKhPhPS5_SB_mNS0_19identity_decomposerENS1_16block_id_wrapperIjLb0EEEEE10hipError_tT1_PNSt15iterator_traitsISG_E10value_typeET2_T3_PNSH_ISM_E10value_typeET4_T5_PSR_SS_PNS1_23onesweep_lookback_stateEbbT6_jjT7_P12ihipStream_tbENKUlT_T0_SG_SL_E_clISA_SA_SB_SB_EEDaSZ_S10_SG_SL_EUlSZ_E_NS1_11comp_targetILNS1_3genE2ELNS1_11target_archE906ELNS1_3gpuE6ELNS1_3repE0EEENS1_47radix_sort_onesweep_sort_config_static_selectorELNS0_4arch9wavefront6targetE0EEEvSG_
	.globl	_ZN7rocprim17ROCPRIM_400000_NS6detail17trampoline_kernelINS0_14default_configENS1_35radix_sort_onesweep_config_selectorIhNS0_10empty_typeEEEZZNS1_29radix_sort_onesweep_iterationIS3_Lb1EPKhPhPS5_SB_mNS0_19identity_decomposerENS1_16block_id_wrapperIjLb0EEEEE10hipError_tT1_PNSt15iterator_traitsISG_E10value_typeET2_T3_PNSH_ISM_E10value_typeET4_T5_PSR_SS_PNS1_23onesweep_lookback_stateEbbT6_jjT7_P12ihipStream_tbENKUlT_T0_SG_SL_E_clISA_SA_SB_SB_EEDaSZ_S10_SG_SL_EUlSZ_E_NS1_11comp_targetILNS1_3genE2ELNS1_11target_archE906ELNS1_3gpuE6ELNS1_3repE0EEENS1_47radix_sort_onesweep_sort_config_static_selectorELNS0_4arch9wavefront6targetE0EEEvSG_
	.p2align	8
	.type	_ZN7rocprim17ROCPRIM_400000_NS6detail17trampoline_kernelINS0_14default_configENS1_35radix_sort_onesweep_config_selectorIhNS0_10empty_typeEEEZZNS1_29radix_sort_onesweep_iterationIS3_Lb1EPKhPhPS5_SB_mNS0_19identity_decomposerENS1_16block_id_wrapperIjLb0EEEEE10hipError_tT1_PNSt15iterator_traitsISG_E10value_typeET2_T3_PNSH_ISM_E10value_typeET4_T5_PSR_SS_PNS1_23onesweep_lookback_stateEbbT6_jjT7_P12ihipStream_tbENKUlT_T0_SG_SL_E_clISA_SA_SB_SB_EEDaSZ_S10_SG_SL_EUlSZ_E_NS1_11comp_targetILNS1_3genE2ELNS1_11target_archE906ELNS1_3gpuE6ELNS1_3repE0EEENS1_47radix_sort_onesweep_sort_config_static_selectorELNS0_4arch9wavefront6targetE0EEEvSG_,@function
_ZN7rocprim17ROCPRIM_400000_NS6detail17trampoline_kernelINS0_14default_configENS1_35radix_sort_onesweep_config_selectorIhNS0_10empty_typeEEEZZNS1_29radix_sort_onesweep_iterationIS3_Lb1EPKhPhPS5_SB_mNS0_19identity_decomposerENS1_16block_id_wrapperIjLb0EEEEE10hipError_tT1_PNSt15iterator_traitsISG_E10value_typeET2_T3_PNSH_ISM_E10value_typeET4_T5_PSR_SS_PNS1_23onesweep_lookback_stateEbbT6_jjT7_P12ihipStream_tbENKUlT_T0_SG_SL_E_clISA_SA_SB_SB_EEDaSZ_S10_SG_SL_EUlSZ_E_NS1_11comp_targetILNS1_3genE2ELNS1_11target_archE906ELNS1_3gpuE6ELNS1_3repE0EEENS1_47radix_sort_onesweep_sort_config_static_selectorELNS0_4arch9wavefront6targetE0EEEvSG_: ; @_ZN7rocprim17ROCPRIM_400000_NS6detail17trampoline_kernelINS0_14default_configENS1_35radix_sort_onesweep_config_selectorIhNS0_10empty_typeEEEZZNS1_29radix_sort_onesweep_iterationIS3_Lb1EPKhPhPS5_SB_mNS0_19identity_decomposerENS1_16block_id_wrapperIjLb0EEEEE10hipError_tT1_PNSt15iterator_traitsISG_E10value_typeET2_T3_PNSH_ISM_E10value_typeET4_T5_PSR_SS_PNS1_23onesweep_lookback_stateEbbT6_jjT7_P12ihipStream_tbENKUlT_T0_SG_SL_E_clISA_SA_SB_SB_EEDaSZ_S10_SG_SL_EUlSZ_E_NS1_11comp_targetILNS1_3genE2ELNS1_11target_archE906ELNS1_3gpuE6ELNS1_3repE0EEENS1_47radix_sort_onesweep_sort_config_static_selectorELNS0_4arch9wavefront6targetE0EEEvSG_
; %bb.0:
	.section	.rodata,"a",@progbits
	.p2align	6, 0x0
	.amdhsa_kernel _ZN7rocprim17ROCPRIM_400000_NS6detail17trampoline_kernelINS0_14default_configENS1_35radix_sort_onesweep_config_selectorIhNS0_10empty_typeEEEZZNS1_29radix_sort_onesweep_iterationIS3_Lb1EPKhPhPS5_SB_mNS0_19identity_decomposerENS1_16block_id_wrapperIjLb0EEEEE10hipError_tT1_PNSt15iterator_traitsISG_E10value_typeET2_T3_PNSH_ISM_E10value_typeET4_T5_PSR_SS_PNS1_23onesweep_lookback_stateEbbT6_jjT7_P12ihipStream_tbENKUlT_T0_SG_SL_E_clISA_SA_SB_SB_EEDaSZ_S10_SG_SL_EUlSZ_E_NS1_11comp_targetILNS1_3genE2ELNS1_11target_archE906ELNS1_3gpuE6ELNS1_3repE0EEENS1_47radix_sort_onesweep_sort_config_static_selectorELNS0_4arch9wavefront6targetE0EEEvSG_
		.amdhsa_group_segment_fixed_size 0
		.amdhsa_private_segment_fixed_size 0
		.amdhsa_kernarg_size 88
		.amdhsa_user_sgpr_count 2
		.amdhsa_user_sgpr_dispatch_ptr 0
		.amdhsa_user_sgpr_queue_ptr 0
		.amdhsa_user_sgpr_kernarg_segment_ptr 1
		.amdhsa_user_sgpr_dispatch_id 0
		.amdhsa_user_sgpr_kernarg_preload_length 0
		.amdhsa_user_sgpr_kernarg_preload_offset 0
		.amdhsa_user_sgpr_private_segment_size 0
		.amdhsa_wavefront_size32 1
		.amdhsa_uses_dynamic_stack 0
		.amdhsa_enable_private_segment 0
		.amdhsa_system_sgpr_workgroup_id_x 1
		.amdhsa_system_sgpr_workgroup_id_y 0
		.amdhsa_system_sgpr_workgroup_id_z 0
		.amdhsa_system_sgpr_workgroup_info 0
		.amdhsa_system_vgpr_workitem_id 0
		.amdhsa_next_free_vgpr 1
		.amdhsa_next_free_sgpr 1
		.amdhsa_named_barrier_count 0
		.amdhsa_reserve_vcc 0
		.amdhsa_float_round_mode_32 0
		.amdhsa_float_round_mode_16_64 0
		.amdhsa_float_denorm_mode_32 3
		.amdhsa_float_denorm_mode_16_64 3
		.amdhsa_fp16_overflow 0
		.amdhsa_memory_ordered 1
		.amdhsa_forward_progress 1
		.amdhsa_inst_pref_size 0
		.amdhsa_round_robin_scheduling 0
		.amdhsa_exception_fp_ieee_invalid_op 0
		.amdhsa_exception_fp_denorm_src 0
		.amdhsa_exception_fp_ieee_div_zero 0
		.amdhsa_exception_fp_ieee_overflow 0
		.amdhsa_exception_fp_ieee_underflow 0
		.amdhsa_exception_fp_ieee_inexact 0
		.amdhsa_exception_int_div_zero 0
	.end_amdhsa_kernel
	.section	.text._ZN7rocprim17ROCPRIM_400000_NS6detail17trampoline_kernelINS0_14default_configENS1_35radix_sort_onesweep_config_selectorIhNS0_10empty_typeEEEZZNS1_29radix_sort_onesweep_iterationIS3_Lb1EPKhPhPS5_SB_mNS0_19identity_decomposerENS1_16block_id_wrapperIjLb0EEEEE10hipError_tT1_PNSt15iterator_traitsISG_E10value_typeET2_T3_PNSH_ISM_E10value_typeET4_T5_PSR_SS_PNS1_23onesweep_lookback_stateEbbT6_jjT7_P12ihipStream_tbENKUlT_T0_SG_SL_E_clISA_SA_SB_SB_EEDaSZ_S10_SG_SL_EUlSZ_E_NS1_11comp_targetILNS1_3genE2ELNS1_11target_archE906ELNS1_3gpuE6ELNS1_3repE0EEENS1_47radix_sort_onesweep_sort_config_static_selectorELNS0_4arch9wavefront6targetE0EEEvSG_,"axG",@progbits,_ZN7rocprim17ROCPRIM_400000_NS6detail17trampoline_kernelINS0_14default_configENS1_35radix_sort_onesweep_config_selectorIhNS0_10empty_typeEEEZZNS1_29radix_sort_onesweep_iterationIS3_Lb1EPKhPhPS5_SB_mNS0_19identity_decomposerENS1_16block_id_wrapperIjLb0EEEEE10hipError_tT1_PNSt15iterator_traitsISG_E10value_typeET2_T3_PNSH_ISM_E10value_typeET4_T5_PSR_SS_PNS1_23onesweep_lookback_stateEbbT6_jjT7_P12ihipStream_tbENKUlT_T0_SG_SL_E_clISA_SA_SB_SB_EEDaSZ_S10_SG_SL_EUlSZ_E_NS1_11comp_targetILNS1_3genE2ELNS1_11target_archE906ELNS1_3gpuE6ELNS1_3repE0EEENS1_47radix_sort_onesweep_sort_config_static_selectorELNS0_4arch9wavefront6targetE0EEEvSG_,comdat
.Lfunc_end138:
	.size	_ZN7rocprim17ROCPRIM_400000_NS6detail17trampoline_kernelINS0_14default_configENS1_35radix_sort_onesweep_config_selectorIhNS0_10empty_typeEEEZZNS1_29radix_sort_onesweep_iterationIS3_Lb1EPKhPhPS5_SB_mNS0_19identity_decomposerENS1_16block_id_wrapperIjLb0EEEEE10hipError_tT1_PNSt15iterator_traitsISG_E10value_typeET2_T3_PNSH_ISM_E10value_typeET4_T5_PSR_SS_PNS1_23onesweep_lookback_stateEbbT6_jjT7_P12ihipStream_tbENKUlT_T0_SG_SL_E_clISA_SA_SB_SB_EEDaSZ_S10_SG_SL_EUlSZ_E_NS1_11comp_targetILNS1_3genE2ELNS1_11target_archE906ELNS1_3gpuE6ELNS1_3repE0EEENS1_47radix_sort_onesweep_sort_config_static_selectorELNS0_4arch9wavefront6targetE0EEEvSG_, .Lfunc_end138-_ZN7rocprim17ROCPRIM_400000_NS6detail17trampoline_kernelINS0_14default_configENS1_35radix_sort_onesweep_config_selectorIhNS0_10empty_typeEEEZZNS1_29radix_sort_onesweep_iterationIS3_Lb1EPKhPhPS5_SB_mNS0_19identity_decomposerENS1_16block_id_wrapperIjLb0EEEEE10hipError_tT1_PNSt15iterator_traitsISG_E10value_typeET2_T3_PNSH_ISM_E10value_typeET4_T5_PSR_SS_PNS1_23onesweep_lookback_stateEbbT6_jjT7_P12ihipStream_tbENKUlT_T0_SG_SL_E_clISA_SA_SB_SB_EEDaSZ_S10_SG_SL_EUlSZ_E_NS1_11comp_targetILNS1_3genE2ELNS1_11target_archE906ELNS1_3gpuE6ELNS1_3repE0EEENS1_47radix_sort_onesweep_sort_config_static_selectorELNS0_4arch9wavefront6targetE0EEEvSG_
                                        ; -- End function
	.set _ZN7rocprim17ROCPRIM_400000_NS6detail17trampoline_kernelINS0_14default_configENS1_35radix_sort_onesweep_config_selectorIhNS0_10empty_typeEEEZZNS1_29radix_sort_onesweep_iterationIS3_Lb1EPKhPhPS5_SB_mNS0_19identity_decomposerENS1_16block_id_wrapperIjLb0EEEEE10hipError_tT1_PNSt15iterator_traitsISG_E10value_typeET2_T3_PNSH_ISM_E10value_typeET4_T5_PSR_SS_PNS1_23onesweep_lookback_stateEbbT6_jjT7_P12ihipStream_tbENKUlT_T0_SG_SL_E_clISA_SA_SB_SB_EEDaSZ_S10_SG_SL_EUlSZ_E_NS1_11comp_targetILNS1_3genE2ELNS1_11target_archE906ELNS1_3gpuE6ELNS1_3repE0EEENS1_47radix_sort_onesweep_sort_config_static_selectorELNS0_4arch9wavefront6targetE0EEEvSG_.num_vgpr, 0
	.set _ZN7rocprim17ROCPRIM_400000_NS6detail17trampoline_kernelINS0_14default_configENS1_35radix_sort_onesweep_config_selectorIhNS0_10empty_typeEEEZZNS1_29radix_sort_onesweep_iterationIS3_Lb1EPKhPhPS5_SB_mNS0_19identity_decomposerENS1_16block_id_wrapperIjLb0EEEEE10hipError_tT1_PNSt15iterator_traitsISG_E10value_typeET2_T3_PNSH_ISM_E10value_typeET4_T5_PSR_SS_PNS1_23onesweep_lookback_stateEbbT6_jjT7_P12ihipStream_tbENKUlT_T0_SG_SL_E_clISA_SA_SB_SB_EEDaSZ_S10_SG_SL_EUlSZ_E_NS1_11comp_targetILNS1_3genE2ELNS1_11target_archE906ELNS1_3gpuE6ELNS1_3repE0EEENS1_47radix_sort_onesweep_sort_config_static_selectorELNS0_4arch9wavefront6targetE0EEEvSG_.num_agpr, 0
	.set _ZN7rocprim17ROCPRIM_400000_NS6detail17trampoline_kernelINS0_14default_configENS1_35radix_sort_onesweep_config_selectorIhNS0_10empty_typeEEEZZNS1_29radix_sort_onesweep_iterationIS3_Lb1EPKhPhPS5_SB_mNS0_19identity_decomposerENS1_16block_id_wrapperIjLb0EEEEE10hipError_tT1_PNSt15iterator_traitsISG_E10value_typeET2_T3_PNSH_ISM_E10value_typeET4_T5_PSR_SS_PNS1_23onesweep_lookback_stateEbbT6_jjT7_P12ihipStream_tbENKUlT_T0_SG_SL_E_clISA_SA_SB_SB_EEDaSZ_S10_SG_SL_EUlSZ_E_NS1_11comp_targetILNS1_3genE2ELNS1_11target_archE906ELNS1_3gpuE6ELNS1_3repE0EEENS1_47radix_sort_onesweep_sort_config_static_selectorELNS0_4arch9wavefront6targetE0EEEvSG_.numbered_sgpr, 0
	.set _ZN7rocprim17ROCPRIM_400000_NS6detail17trampoline_kernelINS0_14default_configENS1_35radix_sort_onesweep_config_selectorIhNS0_10empty_typeEEEZZNS1_29radix_sort_onesweep_iterationIS3_Lb1EPKhPhPS5_SB_mNS0_19identity_decomposerENS1_16block_id_wrapperIjLb0EEEEE10hipError_tT1_PNSt15iterator_traitsISG_E10value_typeET2_T3_PNSH_ISM_E10value_typeET4_T5_PSR_SS_PNS1_23onesweep_lookback_stateEbbT6_jjT7_P12ihipStream_tbENKUlT_T0_SG_SL_E_clISA_SA_SB_SB_EEDaSZ_S10_SG_SL_EUlSZ_E_NS1_11comp_targetILNS1_3genE2ELNS1_11target_archE906ELNS1_3gpuE6ELNS1_3repE0EEENS1_47radix_sort_onesweep_sort_config_static_selectorELNS0_4arch9wavefront6targetE0EEEvSG_.num_named_barrier, 0
	.set _ZN7rocprim17ROCPRIM_400000_NS6detail17trampoline_kernelINS0_14default_configENS1_35radix_sort_onesweep_config_selectorIhNS0_10empty_typeEEEZZNS1_29radix_sort_onesweep_iterationIS3_Lb1EPKhPhPS5_SB_mNS0_19identity_decomposerENS1_16block_id_wrapperIjLb0EEEEE10hipError_tT1_PNSt15iterator_traitsISG_E10value_typeET2_T3_PNSH_ISM_E10value_typeET4_T5_PSR_SS_PNS1_23onesweep_lookback_stateEbbT6_jjT7_P12ihipStream_tbENKUlT_T0_SG_SL_E_clISA_SA_SB_SB_EEDaSZ_S10_SG_SL_EUlSZ_E_NS1_11comp_targetILNS1_3genE2ELNS1_11target_archE906ELNS1_3gpuE6ELNS1_3repE0EEENS1_47radix_sort_onesweep_sort_config_static_selectorELNS0_4arch9wavefront6targetE0EEEvSG_.private_seg_size, 0
	.set _ZN7rocprim17ROCPRIM_400000_NS6detail17trampoline_kernelINS0_14default_configENS1_35radix_sort_onesweep_config_selectorIhNS0_10empty_typeEEEZZNS1_29radix_sort_onesweep_iterationIS3_Lb1EPKhPhPS5_SB_mNS0_19identity_decomposerENS1_16block_id_wrapperIjLb0EEEEE10hipError_tT1_PNSt15iterator_traitsISG_E10value_typeET2_T3_PNSH_ISM_E10value_typeET4_T5_PSR_SS_PNS1_23onesweep_lookback_stateEbbT6_jjT7_P12ihipStream_tbENKUlT_T0_SG_SL_E_clISA_SA_SB_SB_EEDaSZ_S10_SG_SL_EUlSZ_E_NS1_11comp_targetILNS1_3genE2ELNS1_11target_archE906ELNS1_3gpuE6ELNS1_3repE0EEENS1_47radix_sort_onesweep_sort_config_static_selectorELNS0_4arch9wavefront6targetE0EEEvSG_.uses_vcc, 0
	.set _ZN7rocprim17ROCPRIM_400000_NS6detail17trampoline_kernelINS0_14default_configENS1_35radix_sort_onesweep_config_selectorIhNS0_10empty_typeEEEZZNS1_29radix_sort_onesweep_iterationIS3_Lb1EPKhPhPS5_SB_mNS0_19identity_decomposerENS1_16block_id_wrapperIjLb0EEEEE10hipError_tT1_PNSt15iterator_traitsISG_E10value_typeET2_T3_PNSH_ISM_E10value_typeET4_T5_PSR_SS_PNS1_23onesweep_lookback_stateEbbT6_jjT7_P12ihipStream_tbENKUlT_T0_SG_SL_E_clISA_SA_SB_SB_EEDaSZ_S10_SG_SL_EUlSZ_E_NS1_11comp_targetILNS1_3genE2ELNS1_11target_archE906ELNS1_3gpuE6ELNS1_3repE0EEENS1_47radix_sort_onesweep_sort_config_static_selectorELNS0_4arch9wavefront6targetE0EEEvSG_.uses_flat_scratch, 0
	.set _ZN7rocprim17ROCPRIM_400000_NS6detail17trampoline_kernelINS0_14default_configENS1_35radix_sort_onesweep_config_selectorIhNS0_10empty_typeEEEZZNS1_29radix_sort_onesweep_iterationIS3_Lb1EPKhPhPS5_SB_mNS0_19identity_decomposerENS1_16block_id_wrapperIjLb0EEEEE10hipError_tT1_PNSt15iterator_traitsISG_E10value_typeET2_T3_PNSH_ISM_E10value_typeET4_T5_PSR_SS_PNS1_23onesweep_lookback_stateEbbT6_jjT7_P12ihipStream_tbENKUlT_T0_SG_SL_E_clISA_SA_SB_SB_EEDaSZ_S10_SG_SL_EUlSZ_E_NS1_11comp_targetILNS1_3genE2ELNS1_11target_archE906ELNS1_3gpuE6ELNS1_3repE0EEENS1_47radix_sort_onesweep_sort_config_static_selectorELNS0_4arch9wavefront6targetE0EEEvSG_.has_dyn_sized_stack, 0
	.set _ZN7rocprim17ROCPRIM_400000_NS6detail17trampoline_kernelINS0_14default_configENS1_35radix_sort_onesweep_config_selectorIhNS0_10empty_typeEEEZZNS1_29radix_sort_onesweep_iterationIS3_Lb1EPKhPhPS5_SB_mNS0_19identity_decomposerENS1_16block_id_wrapperIjLb0EEEEE10hipError_tT1_PNSt15iterator_traitsISG_E10value_typeET2_T3_PNSH_ISM_E10value_typeET4_T5_PSR_SS_PNS1_23onesweep_lookback_stateEbbT6_jjT7_P12ihipStream_tbENKUlT_T0_SG_SL_E_clISA_SA_SB_SB_EEDaSZ_S10_SG_SL_EUlSZ_E_NS1_11comp_targetILNS1_3genE2ELNS1_11target_archE906ELNS1_3gpuE6ELNS1_3repE0EEENS1_47radix_sort_onesweep_sort_config_static_selectorELNS0_4arch9wavefront6targetE0EEEvSG_.has_recursion, 0
	.set _ZN7rocprim17ROCPRIM_400000_NS6detail17trampoline_kernelINS0_14default_configENS1_35radix_sort_onesweep_config_selectorIhNS0_10empty_typeEEEZZNS1_29radix_sort_onesweep_iterationIS3_Lb1EPKhPhPS5_SB_mNS0_19identity_decomposerENS1_16block_id_wrapperIjLb0EEEEE10hipError_tT1_PNSt15iterator_traitsISG_E10value_typeET2_T3_PNSH_ISM_E10value_typeET4_T5_PSR_SS_PNS1_23onesweep_lookback_stateEbbT6_jjT7_P12ihipStream_tbENKUlT_T0_SG_SL_E_clISA_SA_SB_SB_EEDaSZ_S10_SG_SL_EUlSZ_E_NS1_11comp_targetILNS1_3genE2ELNS1_11target_archE906ELNS1_3gpuE6ELNS1_3repE0EEENS1_47radix_sort_onesweep_sort_config_static_selectorELNS0_4arch9wavefront6targetE0EEEvSG_.has_indirect_call, 0
	.section	.AMDGPU.csdata,"",@progbits
; Kernel info:
; codeLenInByte = 0
; TotalNumSgprs: 0
; NumVgprs: 0
; ScratchSize: 0
; MemoryBound: 0
; FloatMode: 240
; IeeeMode: 1
; LDSByteSize: 0 bytes/workgroup (compile time only)
; SGPRBlocks: 0
; VGPRBlocks: 0
; NumSGPRsForWavesPerEU: 1
; NumVGPRsForWavesPerEU: 1
; NamedBarCnt: 0
; Occupancy: 16
; WaveLimiterHint : 0
; COMPUTE_PGM_RSRC2:SCRATCH_EN: 0
; COMPUTE_PGM_RSRC2:USER_SGPR: 2
; COMPUTE_PGM_RSRC2:TRAP_HANDLER: 0
; COMPUTE_PGM_RSRC2:TGID_X_EN: 1
; COMPUTE_PGM_RSRC2:TGID_Y_EN: 0
; COMPUTE_PGM_RSRC2:TGID_Z_EN: 0
; COMPUTE_PGM_RSRC2:TIDIG_COMP_CNT: 0
	.section	.text._ZN7rocprim17ROCPRIM_400000_NS6detail17trampoline_kernelINS0_14default_configENS1_35radix_sort_onesweep_config_selectorIhNS0_10empty_typeEEEZZNS1_29radix_sort_onesweep_iterationIS3_Lb1EPKhPhPS5_SB_mNS0_19identity_decomposerENS1_16block_id_wrapperIjLb0EEEEE10hipError_tT1_PNSt15iterator_traitsISG_E10value_typeET2_T3_PNSH_ISM_E10value_typeET4_T5_PSR_SS_PNS1_23onesweep_lookback_stateEbbT6_jjT7_P12ihipStream_tbENKUlT_T0_SG_SL_E_clISA_SA_SB_SB_EEDaSZ_S10_SG_SL_EUlSZ_E_NS1_11comp_targetILNS1_3genE4ELNS1_11target_archE910ELNS1_3gpuE8ELNS1_3repE0EEENS1_47radix_sort_onesweep_sort_config_static_selectorELNS0_4arch9wavefront6targetE0EEEvSG_,"axG",@progbits,_ZN7rocprim17ROCPRIM_400000_NS6detail17trampoline_kernelINS0_14default_configENS1_35radix_sort_onesweep_config_selectorIhNS0_10empty_typeEEEZZNS1_29radix_sort_onesweep_iterationIS3_Lb1EPKhPhPS5_SB_mNS0_19identity_decomposerENS1_16block_id_wrapperIjLb0EEEEE10hipError_tT1_PNSt15iterator_traitsISG_E10value_typeET2_T3_PNSH_ISM_E10value_typeET4_T5_PSR_SS_PNS1_23onesweep_lookback_stateEbbT6_jjT7_P12ihipStream_tbENKUlT_T0_SG_SL_E_clISA_SA_SB_SB_EEDaSZ_S10_SG_SL_EUlSZ_E_NS1_11comp_targetILNS1_3genE4ELNS1_11target_archE910ELNS1_3gpuE8ELNS1_3repE0EEENS1_47radix_sort_onesweep_sort_config_static_selectorELNS0_4arch9wavefront6targetE0EEEvSG_,comdat
	.protected	_ZN7rocprim17ROCPRIM_400000_NS6detail17trampoline_kernelINS0_14default_configENS1_35radix_sort_onesweep_config_selectorIhNS0_10empty_typeEEEZZNS1_29radix_sort_onesweep_iterationIS3_Lb1EPKhPhPS5_SB_mNS0_19identity_decomposerENS1_16block_id_wrapperIjLb0EEEEE10hipError_tT1_PNSt15iterator_traitsISG_E10value_typeET2_T3_PNSH_ISM_E10value_typeET4_T5_PSR_SS_PNS1_23onesweep_lookback_stateEbbT6_jjT7_P12ihipStream_tbENKUlT_T0_SG_SL_E_clISA_SA_SB_SB_EEDaSZ_S10_SG_SL_EUlSZ_E_NS1_11comp_targetILNS1_3genE4ELNS1_11target_archE910ELNS1_3gpuE8ELNS1_3repE0EEENS1_47radix_sort_onesweep_sort_config_static_selectorELNS0_4arch9wavefront6targetE0EEEvSG_ ; -- Begin function _ZN7rocprim17ROCPRIM_400000_NS6detail17trampoline_kernelINS0_14default_configENS1_35radix_sort_onesweep_config_selectorIhNS0_10empty_typeEEEZZNS1_29radix_sort_onesweep_iterationIS3_Lb1EPKhPhPS5_SB_mNS0_19identity_decomposerENS1_16block_id_wrapperIjLb0EEEEE10hipError_tT1_PNSt15iterator_traitsISG_E10value_typeET2_T3_PNSH_ISM_E10value_typeET4_T5_PSR_SS_PNS1_23onesweep_lookback_stateEbbT6_jjT7_P12ihipStream_tbENKUlT_T0_SG_SL_E_clISA_SA_SB_SB_EEDaSZ_S10_SG_SL_EUlSZ_E_NS1_11comp_targetILNS1_3genE4ELNS1_11target_archE910ELNS1_3gpuE8ELNS1_3repE0EEENS1_47radix_sort_onesweep_sort_config_static_selectorELNS0_4arch9wavefront6targetE0EEEvSG_
	.globl	_ZN7rocprim17ROCPRIM_400000_NS6detail17trampoline_kernelINS0_14default_configENS1_35radix_sort_onesweep_config_selectorIhNS0_10empty_typeEEEZZNS1_29radix_sort_onesweep_iterationIS3_Lb1EPKhPhPS5_SB_mNS0_19identity_decomposerENS1_16block_id_wrapperIjLb0EEEEE10hipError_tT1_PNSt15iterator_traitsISG_E10value_typeET2_T3_PNSH_ISM_E10value_typeET4_T5_PSR_SS_PNS1_23onesweep_lookback_stateEbbT6_jjT7_P12ihipStream_tbENKUlT_T0_SG_SL_E_clISA_SA_SB_SB_EEDaSZ_S10_SG_SL_EUlSZ_E_NS1_11comp_targetILNS1_3genE4ELNS1_11target_archE910ELNS1_3gpuE8ELNS1_3repE0EEENS1_47radix_sort_onesweep_sort_config_static_selectorELNS0_4arch9wavefront6targetE0EEEvSG_
	.p2align	8
	.type	_ZN7rocprim17ROCPRIM_400000_NS6detail17trampoline_kernelINS0_14default_configENS1_35radix_sort_onesweep_config_selectorIhNS0_10empty_typeEEEZZNS1_29radix_sort_onesweep_iterationIS3_Lb1EPKhPhPS5_SB_mNS0_19identity_decomposerENS1_16block_id_wrapperIjLb0EEEEE10hipError_tT1_PNSt15iterator_traitsISG_E10value_typeET2_T3_PNSH_ISM_E10value_typeET4_T5_PSR_SS_PNS1_23onesweep_lookback_stateEbbT6_jjT7_P12ihipStream_tbENKUlT_T0_SG_SL_E_clISA_SA_SB_SB_EEDaSZ_S10_SG_SL_EUlSZ_E_NS1_11comp_targetILNS1_3genE4ELNS1_11target_archE910ELNS1_3gpuE8ELNS1_3repE0EEENS1_47radix_sort_onesweep_sort_config_static_selectorELNS0_4arch9wavefront6targetE0EEEvSG_,@function
_ZN7rocprim17ROCPRIM_400000_NS6detail17trampoline_kernelINS0_14default_configENS1_35radix_sort_onesweep_config_selectorIhNS0_10empty_typeEEEZZNS1_29radix_sort_onesweep_iterationIS3_Lb1EPKhPhPS5_SB_mNS0_19identity_decomposerENS1_16block_id_wrapperIjLb0EEEEE10hipError_tT1_PNSt15iterator_traitsISG_E10value_typeET2_T3_PNSH_ISM_E10value_typeET4_T5_PSR_SS_PNS1_23onesweep_lookback_stateEbbT6_jjT7_P12ihipStream_tbENKUlT_T0_SG_SL_E_clISA_SA_SB_SB_EEDaSZ_S10_SG_SL_EUlSZ_E_NS1_11comp_targetILNS1_3genE4ELNS1_11target_archE910ELNS1_3gpuE8ELNS1_3repE0EEENS1_47radix_sort_onesweep_sort_config_static_selectorELNS0_4arch9wavefront6targetE0EEEvSG_: ; @_ZN7rocprim17ROCPRIM_400000_NS6detail17trampoline_kernelINS0_14default_configENS1_35radix_sort_onesweep_config_selectorIhNS0_10empty_typeEEEZZNS1_29radix_sort_onesweep_iterationIS3_Lb1EPKhPhPS5_SB_mNS0_19identity_decomposerENS1_16block_id_wrapperIjLb0EEEEE10hipError_tT1_PNSt15iterator_traitsISG_E10value_typeET2_T3_PNSH_ISM_E10value_typeET4_T5_PSR_SS_PNS1_23onesweep_lookback_stateEbbT6_jjT7_P12ihipStream_tbENKUlT_T0_SG_SL_E_clISA_SA_SB_SB_EEDaSZ_S10_SG_SL_EUlSZ_E_NS1_11comp_targetILNS1_3genE4ELNS1_11target_archE910ELNS1_3gpuE8ELNS1_3repE0EEENS1_47radix_sort_onesweep_sort_config_static_selectorELNS0_4arch9wavefront6targetE0EEEvSG_
; %bb.0:
	.section	.rodata,"a",@progbits
	.p2align	6, 0x0
	.amdhsa_kernel _ZN7rocprim17ROCPRIM_400000_NS6detail17trampoline_kernelINS0_14default_configENS1_35radix_sort_onesweep_config_selectorIhNS0_10empty_typeEEEZZNS1_29radix_sort_onesweep_iterationIS3_Lb1EPKhPhPS5_SB_mNS0_19identity_decomposerENS1_16block_id_wrapperIjLb0EEEEE10hipError_tT1_PNSt15iterator_traitsISG_E10value_typeET2_T3_PNSH_ISM_E10value_typeET4_T5_PSR_SS_PNS1_23onesweep_lookback_stateEbbT6_jjT7_P12ihipStream_tbENKUlT_T0_SG_SL_E_clISA_SA_SB_SB_EEDaSZ_S10_SG_SL_EUlSZ_E_NS1_11comp_targetILNS1_3genE4ELNS1_11target_archE910ELNS1_3gpuE8ELNS1_3repE0EEENS1_47radix_sort_onesweep_sort_config_static_selectorELNS0_4arch9wavefront6targetE0EEEvSG_
		.amdhsa_group_segment_fixed_size 0
		.amdhsa_private_segment_fixed_size 0
		.amdhsa_kernarg_size 88
		.amdhsa_user_sgpr_count 2
		.amdhsa_user_sgpr_dispatch_ptr 0
		.amdhsa_user_sgpr_queue_ptr 0
		.amdhsa_user_sgpr_kernarg_segment_ptr 1
		.amdhsa_user_sgpr_dispatch_id 0
		.amdhsa_user_sgpr_kernarg_preload_length 0
		.amdhsa_user_sgpr_kernarg_preload_offset 0
		.amdhsa_user_sgpr_private_segment_size 0
		.amdhsa_wavefront_size32 1
		.amdhsa_uses_dynamic_stack 0
		.amdhsa_enable_private_segment 0
		.amdhsa_system_sgpr_workgroup_id_x 1
		.amdhsa_system_sgpr_workgroup_id_y 0
		.amdhsa_system_sgpr_workgroup_id_z 0
		.amdhsa_system_sgpr_workgroup_info 0
		.amdhsa_system_vgpr_workitem_id 0
		.amdhsa_next_free_vgpr 1
		.amdhsa_next_free_sgpr 1
		.amdhsa_named_barrier_count 0
		.amdhsa_reserve_vcc 0
		.amdhsa_float_round_mode_32 0
		.amdhsa_float_round_mode_16_64 0
		.amdhsa_float_denorm_mode_32 3
		.amdhsa_float_denorm_mode_16_64 3
		.amdhsa_fp16_overflow 0
		.amdhsa_memory_ordered 1
		.amdhsa_forward_progress 1
		.amdhsa_inst_pref_size 0
		.amdhsa_round_robin_scheduling 0
		.amdhsa_exception_fp_ieee_invalid_op 0
		.amdhsa_exception_fp_denorm_src 0
		.amdhsa_exception_fp_ieee_div_zero 0
		.amdhsa_exception_fp_ieee_overflow 0
		.amdhsa_exception_fp_ieee_underflow 0
		.amdhsa_exception_fp_ieee_inexact 0
		.amdhsa_exception_int_div_zero 0
	.end_amdhsa_kernel
	.section	.text._ZN7rocprim17ROCPRIM_400000_NS6detail17trampoline_kernelINS0_14default_configENS1_35radix_sort_onesweep_config_selectorIhNS0_10empty_typeEEEZZNS1_29radix_sort_onesweep_iterationIS3_Lb1EPKhPhPS5_SB_mNS0_19identity_decomposerENS1_16block_id_wrapperIjLb0EEEEE10hipError_tT1_PNSt15iterator_traitsISG_E10value_typeET2_T3_PNSH_ISM_E10value_typeET4_T5_PSR_SS_PNS1_23onesweep_lookback_stateEbbT6_jjT7_P12ihipStream_tbENKUlT_T0_SG_SL_E_clISA_SA_SB_SB_EEDaSZ_S10_SG_SL_EUlSZ_E_NS1_11comp_targetILNS1_3genE4ELNS1_11target_archE910ELNS1_3gpuE8ELNS1_3repE0EEENS1_47radix_sort_onesweep_sort_config_static_selectorELNS0_4arch9wavefront6targetE0EEEvSG_,"axG",@progbits,_ZN7rocprim17ROCPRIM_400000_NS6detail17trampoline_kernelINS0_14default_configENS1_35radix_sort_onesweep_config_selectorIhNS0_10empty_typeEEEZZNS1_29radix_sort_onesweep_iterationIS3_Lb1EPKhPhPS5_SB_mNS0_19identity_decomposerENS1_16block_id_wrapperIjLb0EEEEE10hipError_tT1_PNSt15iterator_traitsISG_E10value_typeET2_T3_PNSH_ISM_E10value_typeET4_T5_PSR_SS_PNS1_23onesweep_lookback_stateEbbT6_jjT7_P12ihipStream_tbENKUlT_T0_SG_SL_E_clISA_SA_SB_SB_EEDaSZ_S10_SG_SL_EUlSZ_E_NS1_11comp_targetILNS1_3genE4ELNS1_11target_archE910ELNS1_3gpuE8ELNS1_3repE0EEENS1_47radix_sort_onesweep_sort_config_static_selectorELNS0_4arch9wavefront6targetE0EEEvSG_,comdat
.Lfunc_end139:
	.size	_ZN7rocprim17ROCPRIM_400000_NS6detail17trampoline_kernelINS0_14default_configENS1_35radix_sort_onesweep_config_selectorIhNS0_10empty_typeEEEZZNS1_29radix_sort_onesweep_iterationIS3_Lb1EPKhPhPS5_SB_mNS0_19identity_decomposerENS1_16block_id_wrapperIjLb0EEEEE10hipError_tT1_PNSt15iterator_traitsISG_E10value_typeET2_T3_PNSH_ISM_E10value_typeET4_T5_PSR_SS_PNS1_23onesweep_lookback_stateEbbT6_jjT7_P12ihipStream_tbENKUlT_T0_SG_SL_E_clISA_SA_SB_SB_EEDaSZ_S10_SG_SL_EUlSZ_E_NS1_11comp_targetILNS1_3genE4ELNS1_11target_archE910ELNS1_3gpuE8ELNS1_3repE0EEENS1_47radix_sort_onesweep_sort_config_static_selectorELNS0_4arch9wavefront6targetE0EEEvSG_, .Lfunc_end139-_ZN7rocprim17ROCPRIM_400000_NS6detail17trampoline_kernelINS0_14default_configENS1_35radix_sort_onesweep_config_selectorIhNS0_10empty_typeEEEZZNS1_29radix_sort_onesweep_iterationIS3_Lb1EPKhPhPS5_SB_mNS0_19identity_decomposerENS1_16block_id_wrapperIjLb0EEEEE10hipError_tT1_PNSt15iterator_traitsISG_E10value_typeET2_T3_PNSH_ISM_E10value_typeET4_T5_PSR_SS_PNS1_23onesweep_lookback_stateEbbT6_jjT7_P12ihipStream_tbENKUlT_T0_SG_SL_E_clISA_SA_SB_SB_EEDaSZ_S10_SG_SL_EUlSZ_E_NS1_11comp_targetILNS1_3genE4ELNS1_11target_archE910ELNS1_3gpuE8ELNS1_3repE0EEENS1_47radix_sort_onesweep_sort_config_static_selectorELNS0_4arch9wavefront6targetE0EEEvSG_
                                        ; -- End function
	.set _ZN7rocprim17ROCPRIM_400000_NS6detail17trampoline_kernelINS0_14default_configENS1_35radix_sort_onesweep_config_selectorIhNS0_10empty_typeEEEZZNS1_29radix_sort_onesweep_iterationIS3_Lb1EPKhPhPS5_SB_mNS0_19identity_decomposerENS1_16block_id_wrapperIjLb0EEEEE10hipError_tT1_PNSt15iterator_traitsISG_E10value_typeET2_T3_PNSH_ISM_E10value_typeET4_T5_PSR_SS_PNS1_23onesweep_lookback_stateEbbT6_jjT7_P12ihipStream_tbENKUlT_T0_SG_SL_E_clISA_SA_SB_SB_EEDaSZ_S10_SG_SL_EUlSZ_E_NS1_11comp_targetILNS1_3genE4ELNS1_11target_archE910ELNS1_3gpuE8ELNS1_3repE0EEENS1_47radix_sort_onesweep_sort_config_static_selectorELNS0_4arch9wavefront6targetE0EEEvSG_.num_vgpr, 0
	.set _ZN7rocprim17ROCPRIM_400000_NS6detail17trampoline_kernelINS0_14default_configENS1_35radix_sort_onesweep_config_selectorIhNS0_10empty_typeEEEZZNS1_29radix_sort_onesweep_iterationIS3_Lb1EPKhPhPS5_SB_mNS0_19identity_decomposerENS1_16block_id_wrapperIjLb0EEEEE10hipError_tT1_PNSt15iterator_traitsISG_E10value_typeET2_T3_PNSH_ISM_E10value_typeET4_T5_PSR_SS_PNS1_23onesweep_lookback_stateEbbT6_jjT7_P12ihipStream_tbENKUlT_T0_SG_SL_E_clISA_SA_SB_SB_EEDaSZ_S10_SG_SL_EUlSZ_E_NS1_11comp_targetILNS1_3genE4ELNS1_11target_archE910ELNS1_3gpuE8ELNS1_3repE0EEENS1_47radix_sort_onesweep_sort_config_static_selectorELNS0_4arch9wavefront6targetE0EEEvSG_.num_agpr, 0
	.set _ZN7rocprim17ROCPRIM_400000_NS6detail17trampoline_kernelINS0_14default_configENS1_35radix_sort_onesweep_config_selectorIhNS0_10empty_typeEEEZZNS1_29radix_sort_onesweep_iterationIS3_Lb1EPKhPhPS5_SB_mNS0_19identity_decomposerENS1_16block_id_wrapperIjLb0EEEEE10hipError_tT1_PNSt15iterator_traitsISG_E10value_typeET2_T3_PNSH_ISM_E10value_typeET4_T5_PSR_SS_PNS1_23onesweep_lookback_stateEbbT6_jjT7_P12ihipStream_tbENKUlT_T0_SG_SL_E_clISA_SA_SB_SB_EEDaSZ_S10_SG_SL_EUlSZ_E_NS1_11comp_targetILNS1_3genE4ELNS1_11target_archE910ELNS1_3gpuE8ELNS1_3repE0EEENS1_47radix_sort_onesweep_sort_config_static_selectorELNS0_4arch9wavefront6targetE0EEEvSG_.numbered_sgpr, 0
	.set _ZN7rocprim17ROCPRIM_400000_NS6detail17trampoline_kernelINS0_14default_configENS1_35radix_sort_onesweep_config_selectorIhNS0_10empty_typeEEEZZNS1_29radix_sort_onesweep_iterationIS3_Lb1EPKhPhPS5_SB_mNS0_19identity_decomposerENS1_16block_id_wrapperIjLb0EEEEE10hipError_tT1_PNSt15iterator_traitsISG_E10value_typeET2_T3_PNSH_ISM_E10value_typeET4_T5_PSR_SS_PNS1_23onesweep_lookback_stateEbbT6_jjT7_P12ihipStream_tbENKUlT_T0_SG_SL_E_clISA_SA_SB_SB_EEDaSZ_S10_SG_SL_EUlSZ_E_NS1_11comp_targetILNS1_3genE4ELNS1_11target_archE910ELNS1_3gpuE8ELNS1_3repE0EEENS1_47radix_sort_onesweep_sort_config_static_selectorELNS0_4arch9wavefront6targetE0EEEvSG_.num_named_barrier, 0
	.set _ZN7rocprim17ROCPRIM_400000_NS6detail17trampoline_kernelINS0_14default_configENS1_35radix_sort_onesweep_config_selectorIhNS0_10empty_typeEEEZZNS1_29radix_sort_onesweep_iterationIS3_Lb1EPKhPhPS5_SB_mNS0_19identity_decomposerENS1_16block_id_wrapperIjLb0EEEEE10hipError_tT1_PNSt15iterator_traitsISG_E10value_typeET2_T3_PNSH_ISM_E10value_typeET4_T5_PSR_SS_PNS1_23onesweep_lookback_stateEbbT6_jjT7_P12ihipStream_tbENKUlT_T0_SG_SL_E_clISA_SA_SB_SB_EEDaSZ_S10_SG_SL_EUlSZ_E_NS1_11comp_targetILNS1_3genE4ELNS1_11target_archE910ELNS1_3gpuE8ELNS1_3repE0EEENS1_47radix_sort_onesweep_sort_config_static_selectorELNS0_4arch9wavefront6targetE0EEEvSG_.private_seg_size, 0
	.set _ZN7rocprim17ROCPRIM_400000_NS6detail17trampoline_kernelINS0_14default_configENS1_35radix_sort_onesweep_config_selectorIhNS0_10empty_typeEEEZZNS1_29radix_sort_onesweep_iterationIS3_Lb1EPKhPhPS5_SB_mNS0_19identity_decomposerENS1_16block_id_wrapperIjLb0EEEEE10hipError_tT1_PNSt15iterator_traitsISG_E10value_typeET2_T3_PNSH_ISM_E10value_typeET4_T5_PSR_SS_PNS1_23onesweep_lookback_stateEbbT6_jjT7_P12ihipStream_tbENKUlT_T0_SG_SL_E_clISA_SA_SB_SB_EEDaSZ_S10_SG_SL_EUlSZ_E_NS1_11comp_targetILNS1_3genE4ELNS1_11target_archE910ELNS1_3gpuE8ELNS1_3repE0EEENS1_47radix_sort_onesweep_sort_config_static_selectorELNS0_4arch9wavefront6targetE0EEEvSG_.uses_vcc, 0
	.set _ZN7rocprim17ROCPRIM_400000_NS6detail17trampoline_kernelINS0_14default_configENS1_35radix_sort_onesweep_config_selectorIhNS0_10empty_typeEEEZZNS1_29radix_sort_onesweep_iterationIS3_Lb1EPKhPhPS5_SB_mNS0_19identity_decomposerENS1_16block_id_wrapperIjLb0EEEEE10hipError_tT1_PNSt15iterator_traitsISG_E10value_typeET2_T3_PNSH_ISM_E10value_typeET4_T5_PSR_SS_PNS1_23onesweep_lookback_stateEbbT6_jjT7_P12ihipStream_tbENKUlT_T0_SG_SL_E_clISA_SA_SB_SB_EEDaSZ_S10_SG_SL_EUlSZ_E_NS1_11comp_targetILNS1_3genE4ELNS1_11target_archE910ELNS1_3gpuE8ELNS1_3repE0EEENS1_47radix_sort_onesweep_sort_config_static_selectorELNS0_4arch9wavefront6targetE0EEEvSG_.uses_flat_scratch, 0
	.set _ZN7rocprim17ROCPRIM_400000_NS6detail17trampoline_kernelINS0_14default_configENS1_35radix_sort_onesweep_config_selectorIhNS0_10empty_typeEEEZZNS1_29radix_sort_onesweep_iterationIS3_Lb1EPKhPhPS5_SB_mNS0_19identity_decomposerENS1_16block_id_wrapperIjLb0EEEEE10hipError_tT1_PNSt15iterator_traitsISG_E10value_typeET2_T3_PNSH_ISM_E10value_typeET4_T5_PSR_SS_PNS1_23onesweep_lookback_stateEbbT6_jjT7_P12ihipStream_tbENKUlT_T0_SG_SL_E_clISA_SA_SB_SB_EEDaSZ_S10_SG_SL_EUlSZ_E_NS1_11comp_targetILNS1_3genE4ELNS1_11target_archE910ELNS1_3gpuE8ELNS1_3repE0EEENS1_47radix_sort_onesweep_sort_config_static_selectorELNS0_4arch9wavefront6targetE0EEEvSG_.has_dyn_sized_stack, 0
	.set _ZN7rocprim17ROCPRIM_400000_NS6detail17trampoline_kernelINS0_14default_configENS1_35radix_sort_onesweep_config_selectorIhNS0_10empty_typeEEEZZNS1_29radix_sort_onesweep_iterationIS3_Lb1EPKhPhPS5_SB_mNS0_19identity_decomposerENS1_16block_id_wrapperIjLb0EEEEE10hipError_tT1_PNSt15iterator_traitsISG_E10value_typeET2_T3_PNSH_ISM_E10value_typeET4_T5_PSR_SS_PNS1_23onesweep_lookback_stateEbbT6_jjT7_P12ihipStream_tbENKUlT_T0_SG_SL_E_clISA_SA_SB_SB_EEDaSZ_S10_SG_SL_EUlSZ_E_NS1_11comp_targetILNS1_3genE4ELNS1_11target_archE910ELNS1_3gpuE8ELNS1_3repE0EEENS1_47radix_sort_onesweep_sort_config_static_selectorELNS0_4arch9wavefront6targetE0EEEvSG_.has_recursion, 0
	.set _ZN7rocprim17ROCPRIM_400000_NS6detail17trampoline_kernelINS0_14default_configENS1_35radix_sort_onesweep_config_selectorIhNS0_10empty_typeEEEZZNS1_29radix_sort_onesweep_iterationIS3_Lb1EPKhPhPS5_SB_mNS0_19identity_decomposerENS1_16block_id_wrapperIjLb0EEEEE10hipError_tT1_PNSt15iterator_traitsISG_E10value_typeET2_T3_PNSH_ISM_E10value_typeET4_T5_PSR_SS_PNS1_23onesweep_lookback_stateEbbT6_jjT7_P12ihipStream_tbENKUlT_T0_SG_SL_E_clISA_SA_SB_SB_EEDaSZ_S10_SG_SL_EUlSZ_E_NS1_11comp_targetILNS1_3genE4ELNS1_11target_archE910ELNS1_3gpuE8ELNS1_3repE0EEENS1_47radix_sort_onesweep_sort_config_static_selectorELNS0_4arch9wavefront6targetE0EEEvSG_.has_indirect_call, 0
	.section	.AMDGPU.csdata,"",@progbits
; Kernel info:
; codeLenInByte = 0
; TotalNumSgprs: 0
; NumVgprs: 0
; ScratchSize: 0
; MemoryBound: 0
; FloatMode: 240
; IeeeMode: 1
; LDSByteSize: 0 bytes/workgroup (compile time only)
; SGPRBlocks: 0
; VGPRBlocks: 0
; NumSGPRsForWavesPerEU: 1
; NumVGPRsForWavesPerEU: 1
; NamedBarCnt: 0
; Occupancy: 16
; WaveLimiterHint : 0
; COMPUTE_PGM_RSRC2:SCRATCH_EN: 0
; COMPUTE_PGM_RSRC2:USER_SGPR: 2
; COMPUTE_PGM_RSRC2:TRAP_HANDLER: 0
; COMPUTE_PGM_RSRC2:TGID_X_EN: 1
; COMPUTE_PGM_RSRC2:TGID_Y_EN: 0
; COMPUTE_PGM_RSRC2:TGID_Z_EN: 0
; COMPUTE_PGM_RSRC2:TIDIG_COMP_CNT: 0
	.section	.text._ZN7rocprim17ROCPRIM_400000_NS6detail17trampoline_kernelINS0_14default_configENS1_35radix_sort_onesweep_config_selectorIhNS0_10empty_typeEEEZZNS1_29radix_sort_onesweep_iterationIS3_Lb1EPKhPhPS5_SB_mNS0_19identity_decomposerENS1_16block_id_wrapperIjLb0EEEEE10hipError_tT1_PNSt15iterator_traitsISG_E10value_typeET2_T3_PNSH_ISM_E10value_typeET4_T5_PSR_SS_PNS1_23onesweep_lookback_stateEbbT6_jjT7_P12ihipStream_tbENKUlT_T0_SG_SL_E_clISA_SA_SB_SB_EEDaSZ_S10_SG_SL_EUlSZ_E_NS1_11comp_targetILNS1_3genE3ELNS1_11target_archE908ELNS1_3gpuE7ELNS1_3repE0EEENS1_47radix_sort_onesweep_sort_config_static_selectorELNS0_4arch9wavefront6targetE0EEEvSG_,"axG",@progbits,_ZN7rocprim17ROCPRIM_400000_NS6detail17trampoline_kernelINS0_14default_configENS1_35radix_sort_onesweep_config_selectorIhNS0_10empty_typeEEEZZNS1_29radix_sort_onesweep_iterationIS3_Lb1EPKhPhPS5_SB_mNS0_19identity_decomposerENS1_16block_id_wrapperIjLb0EEEEE10hipError_tT1_PNSt15iterator_traitsISG_E10value_typeET2_T3_PNSH_ISM_E10value_typeET4_T5_PSR_SS_PNS1_23onesweep_lookback_stateEbbT6_jjT7_P12ihipStream_tbENKUlT_T0_SG_SL_E_clISA_SA_SB_SB_EEDaSZ_S10_SG_SL_EUlSZ_E_NS1_11comp_targetILNS1_3genE3ELNS1_11target_archE908ELNS1_3gpuE7ELNS1_3repE0EEENS1_47radix_sort_onesweep_sort_config_static_selectorELNS0_4arch9wavefront6targetE0EEEvSG_,comdat
	.protected	_ZN7rocprim17ROCPRIM_400000_NS6detail17trampoline_kernelINS0_14default_configENS1_35radix_sort_onesweep_config_selectorIhNS0_10empty_typeEEEZZNS1_29radix_sort_onesweep_iterationIS3_Lb1EPKhPhPS5_SB_mNS0_19identity_decomposerENS1_16block_id_wrapperIjLb0EEEEE10hipError_tT1_PNSt15iterator_traitsISG_E10value_typeET2_T3_PNSH_ISM_E10value_typeET4_T5_PSR_SS_PNS1_23onesweep_lookback_stateEbbT6_jjT7_P12ihipStream_tbENKUlT_T0_SG_SL_E_clISA_SA_SB_SB_EEDaSZ_S10_SG_SL_EUlSZ_E_NS1_11comp_targetILNS1_3genE3ELNS1_11target_archE908ELNS1_3gpuE7ELNS1_3repE0EEENS1_47radix_sort_onesweep_sort_config_static_selectorELNS0_4arch9wavefront6targetE0EEEvSG_ ; -- Begin function _ZN7rocprim17ROCPRIM_400000_NS6detail17trampoline_kernelINS0_14default_configENS1_35radix_sort_onesweep_config_selectorIhNS0_10empty_typeEEEZZNS1_29radix_sort_onesweep_iterationIS3_Lb1EPKhPhPS5_SB_mNS0_19identity_decomposerENS1_16block_id_wrapperIjLb0EEEEE10hipError_tT1_PNSt15iterator_traitsISG_E10value_typeET2_T3_PNSH_ISM_E10value_typeET4_T5_PSR_SS_PNS1_23onesweep_lookback_stateEbbT6_jjT7_P12ihipStream_tbENKUlT_T0_SG_SL_E_clISA_SA_SB_SB_EEDaSZ_S10_SG_SL_EUlSZ_E_NS1_11comp_targetILNS1_3genE3ELNS1_11target_archE908ELNS1_3gpuE7ELNS1_3repE0EEENS1_47radix_sort_onesweep_sort_config_static_selectorELNS0_4arch9wavefront6targetE0EEEvSG_
	.globl	_ZN7rocprim17ROCPRIM_400000_NS6detail17trampoline_kernelINS0_14default_configENS1_35radix_sort_onesweep_config_selectorIhNS0_10empty_typeEEEZZNS1_29radix_sort_onesweep_iterationIS3_Lb1EPKhPhPS5_SB_mNS0_19identity_decomposerENS1_16block_id_wrapperIjLb0EEEEE10hipError_tT1_PNSt15iterator_traitsISG_E10value_typeET2_T3_PNSH_ISM_E10value_typeET4_T5_PSR_SS_PNS1_23onesweep_lookback_stateEbbT6_jjT7_P12ihipStream_tbENKUlT_T0_SG_SL_E_clISA_SA_SB_SB_EEDaSZ_S10_SG_SL_EUlSZ_E_NS1_11comp_targetILNS1_3genE3ELNS1_11target_archE908ELNS1_3gpuE7ELNS1_3repE0EEENS1_47radix_sort_onesweep_sort_config_static_selectorELNS0_4arch9wavefront6targetE0EEEvSG_
	.p2align	8
	.type	_ZN7rocprim17ROCPRIM_400000_NS6detail17trampoline_kernelINS0_14default_configENS1_35radix_sort_onesweep_config_selectorIhNS0_10empty_typeEEEZZNS1_29radix_sort_onesweep_iterationIS3_Lb1EPKhPhPS5_SB_mNS0_19identity_decomposerENS1_16block_id_wrapperIjLb0EEEEE10hipError_tT1_PNSt15iterator_traitsISG_E10value_typeET2_T3_PNSH_ISM_E10value_typeET4_T5_PSR_SS_PNS1_23onesweep_lookback_stateEbbT6_jjT7_P12ihipStream_tbENKUlT_T0_SG_SL_E_clISA_SA_SB_SB_EEDaSZ_S10_SG_SL_EUlSZ_E_NS1_11comp_targetILNS1_3genE3ELNS1_11target_archE908ELNS1_3gpuE7ELNS1_3repE0EEENS1_47radix_sort_onesweep_sort_config_static_selectorELNS0_4arch9wavefront6targetE0EEEvSG_,@function
_ZN7rocprim17ROCPRIM_400000_NS6detail17trampoline_kernelINS0_14default_configENS1_35radix_sort_onesweep_config_selectorIhNS0_10empty_typeEEEZZNS1_29radix_sort_onesweep_iterationIS3_Lb1EPKhPhPS5_SB_mNS0_19identity_decomposerENS1_16block_id_wrapperIjLb0EEEEE10hipError_tT1_PNSt15iterator_traitsISG_E10value_typeET2_T3_PNSH_ISM_E10value_typeET4_T5_PSR_SS_PNS1_23onesweep_lookback_stateEbbT6_jjT7_P12ihipStream_tbENKUlT_T0_SG_SL_E_clISA_SA_SB_SB_EEDaSZ_S10_SG_SL_EUlSZ_E_NS1_11comp_targetILNS1_3genE3ELNS1_11target_archE908ELNS1_3gpuE7ELNS1_3repE0EEENS1_47radix_sort_onesweep_sort_config_static_selectorELNS0_4arch9wavefront6targetE0EEEvSG_: ; @_ZN7rocprim17ROCPRIM_400000_NS6detail17trampoline_kernelINS0_14default_configENS1_35radix_sort_onesweep_config_selectorIhNS0_10empty_typeEEEZZNS1_29radix_sort_onesweep_iterationIS3_Lb1EPKhPhPS5_SB_mNS0_19identity_decomposerENS1_16block_id_wrapperIjLb0EEEEE10hipError_tT1_PNSt15iterator_traitsISG_E10value_typeET2_T3_PNSH_ISM_E10value_typeET4_T5_PSR_SS_PNS1_23onesweep_lookback_stateEbbT6_jjT7_P12ihipStream_tbENKUlT_T0_SG_SL_E_clISA_SA_SB_SB_EEDaSZ_S10_SG_SL_EUlSZ_E_NS1_11comp_targetILNS1_3genE3ELNS1_11target_archE908ELNS1_3gpuE7ELNS1_3repE0EEENS1_47radix_sort_onesweep_sort_config_static_selectorELNS0_4arch9wavefront6targetE0EEEvSG_
; %bb.0:
	.section	.rodata,"a",@progbits
	.p2align	6, 0x0
	.amdhsa_kernel _ZN7rocprim17ROCPRIM_400000_NS6detail17trampoline_kernelINS0_14default_configENS1_35radix_sort_onesweep_config_selectorIhNS0_10empty_typeEEEZZNS1_29radix_sort_onesweep_iterationIS3_Lb1EPKhPhPS5_SB_mNS0_19identity_decomposerENS1_16block_id_wrapperIjLb0EEEEE10hipError_tT1_PNSt15iterator_traitsISG_E10value_typeET2_T3_PNSH_ISM_E10value_typeET4_T5_PSR_SS_PNS1_23onesweep_lookback_stateEbbT6_jjT7_P12ihipStream_tbENKUlT_T0_SG_SL_E_clISA_SA_SB_SB_EEDaSZ_S10_SG_SL_EUlSZ_E_NS1_11comp_targetILNS1_3genE3ELNS1_11target_archE908ELNS1_3gpuE7ELNS1_3repE0EEENS1_47radix_sort_onesweep_sort_config_static_selectorELNS0_4arch9wavefront6targetE0EEEvSG_
		.amdhsa_group_segment_fixed_size 0
		.amdhsa_private_segment_fixed_size 0
		.amdhsa_kernarg_size 88
		.amdhsa_user_sgpr_count 2
		.amdhsa_user_sgpr_dispatch_ptr 0
		.amdhsa_user_sgpr_queue_ptr 0
		.amdhsa_user_sgpr_kernarg_segment_ptr 1
		.amdhsa_user_sgpr_dispatch_id 0
		.amdhsa_user_sgpr_kernarg_preload_length 0
		.amdhsa_user_sgpr_kernarg_preload_offset 0
		.amdhsa_user_sgpr_private_segment_size 0
		.amdhsa_wavefront_size32 1
		.amdhsa_uses_dynamic_stack 0
		.amdhsa_enable_private_segment 0
		.amdhsa_system_sgpr_workgroup_id_x 1
		.amdhsa_system_sgpr_workgroup_id_y 0
		.amdhsa_system_sgpr_workgroup_id_z 0
		.amdhsa_system_sgpr_workgroup_info 0
		.amdhsa_system_vgpr_workitem_id 0
		.amdhsa_next_free_vgpr 1
		.amdhsa_next_free_sgpr 1
		.amdhsa_named_barrier_count 0
		.amdhsa_reserve_vcc 0
		.amdhsa_float_round_mode_32 0
		.amdhsa_float_round_mode_16_64 0
		.amdhsa_float_denorm_mode_32 3
		.amdhsa_float_denorm_mode_16_64 3
		.amdhsa_fp16_overflow 0
		.amdhsa_memory_ordered 1
		.amdhsa_forward_progress 1
		.amdhsa_inst_pref_size 0
		.amdhsa_round_robin_scheduling 0
		.amdhsa_exception_fp_ieee_invalid_op 0
		.amdhsa_exception_fp_denorm_src 0
		.amdhsa_exception_fp_ieee_div_zero 0
		.amdhsa_exception_fp_ieee_overflow 0
		.amdhsa_exception_fp_ieee_underflow 0
		.amdhsa_exception_fp_ieee_inexact 0
		.amdhsa_exception_int_div_zero 0
	.end_amdhsa_kernel
	.section	.text._ZN7rocprim17ROCPRIM_400000_NS6detail17trampoline_kernelINS0_14default_configENS1_35radix_sort_onesweep_config_selectorIhNS0_10empty_typeEEEZZNS1_29radix_sort_onesweep_iterationIS3_Lb1EPKhPhPS5_SB_mNS0_19identity_decomposerENS1_16block_id_wrapperIjLb0EEEEE10hipError_tT1_PNSt15iterator_traitsISG_E10value_typeET2_T3_PNSH_ISM_E10value_typeET4_T5_PSR_SS_PNS1_23onesweep_lookback_stateEbbT6_jjT7_P12ihipStream_tbENKUlT_T0_SG_SL_E_clISA_SA_SB_SB_EEDaSZ_S10_SG_SL_EUlSZ_E_NS1_11comp_targetILNS1_3genE3ELNS1_11target_archE908ELNS1_3gpuE7ELNS1_3repE0EEENS1_47radix_sort_onesweep_sort_config_static_selectorELNS0_4arch9wavefront6targetE0EEEvSG_,"axG",@progbits,_ZN7rocprim17ROCPRIM_400000_NS6detail17trampoline_kernelINS0_14default_configENS1_35radix_sort_onesweep_config_selectorIhNS0_10empty_typeEEEZZNS1_29radix_sort_onesweep_iterationIS3_Lb1EPKhPhPS5_SB_mNS0_19identity_decomposerENS1_16block_id_wrapperIjLb0EEEEE10hipError_tT1_PNSt15iterator_traitsISG_E10value_typeET2_T3_PNSH_ISM_E10value_typeET4_T5_PSR_SS_PNS1_23onesweep_lookback_stateEbbT6_jjT7_P12ihipStream_tbENKUlT_T0_SG_SL_E_clISA_SA_SB_SB_EEDaSZ_S10_SG_SL_EUlSZ_E_NS1_11comp_targetILNS1_3genE3ELNS1_11target_archE908ELNS1_3gpuE7ELNS1_3repE0EEENS1_47radix_sort_onesweep_sort_config_static_selectorELNS0_4arch9wavefront6targetE0EEEvSG_,comdat
.Lfunc_end140:
	.size	_ZN7rocprim17ROCPRIM_400000_NS6detail17trampoline_kernelINS0_14default_configENS1_35radix_sort_onesweep_config_selectorIhNS0_10empty_typeEEEZZNS1_29radix_sort_onesweep_iterationIS3_Lb1EPKhPhPS5_SB_mNS0_19identity_decomposerENS1_16block_id_wrapperIjLb0EEEEE10hipError_tT1_PNSt15iterator_traitsISG_E10value_typeET2_T3_PNSH_ISM_E10value_typeET4_T5_PSR_SS_PNS1_23onesweep_lookback_stateEbbT6_jjT7_P12ihipStream_tbENKUlT_T0_SG_SL_E_clISA_SA_SB_SB_EEDaSZ_S10_SG_SL_EUlSZ_E_NS1_11comp_targetILNS1_3genE3ELNS1_11target_archE908ELNS1_3gpuE7ELNS1_3repE0EEENS1_47radix_sort_onesweep_sort_config_static_selectorELNS0_4arch9wavefront6targetE0EEEvSG_, .Lfunc_end140-_ZN7rocprim17ROCPRIM_400000_NS6detail17trampoline_kernelINS0_14default_configENS1_35radix_sort_onesweep_config_selectorIhNS0_10empty_typeEEEZZNS1_29radix_sort_onesweep_iterationIS3_Lb1EPKhPhPS5_SB_mNS0_19identity_decomposerENS1_16block_id_wrapperIjLb0EEEEE10hipError_tT1_PNSt15iterator_traitsISG_E10value_typeET2_T3_PNSH_ISM_E10value_typeET4_T5_PSR_SS_PNS1_23onesweep_lookback_stateEbbT6_jjT7_P12ihipStream_tbENKUlT_T0_SG_SL_E_clISA_SA_SB_SB_EEDaSZ_S10_SG_SL_EUlSZ_E_NS1_11comp_targetILNS1_3genE3ELNS1_11target_archE908ELNS1_3gpuE7ELNS1_3repE0EEENS1_47radix_sort_onesweep_sort_config_static_selectorELNS0_4arch9wavefront6targetE0EEEvSG_
                                        ; -- End function
	.set _ZN7rocprim17ROCPRIM_400000_NS6detail17trampoline_kernelINS0_14default_configENS1_35radix_sort_onesweep_config_selectorIhNS0_10empty_typeEEEZZNS1_29radix_sort_onesweep_iterationIS3_Lb1EPKhPhPS5_SB_mNS0_19identity_decomposerENS1_16block_id_wrapperIjLb0EEEEE10hipError_tT1_PNSt15iterator_traitsISG_E10value_typeET2_T3_PNSH_ISM_E10value_typeET4_T5_PSR_SS_PNS1_23onesweep_lookback_stateEbbT6_jjT7_P12ihipStream_tbENKUlT_T0_SG_SL_E_clISA_SA_SB_SB_EEDaSZ_S10_SG_SL_EUlSZ_E_NS1_11comp_targetILNS1_3genE3ELNS1_11target_archE908ELNS1_3gpuE7ELNS1_3repE0EEENS1_47radix_sort_onesweep_sort_config_static_selectorELNS0_4arch9wavefront6targetE0EEEvSG_.num_vgpr, 0
	.set _ZN7rocprim17ROCPRIM_400000_NS6detail17trampoline_kernelINS0_14default_configENS1_35radix_sort_onesweep_config_selectorIhNS0_10empty_typeEEEZZNS1_29radix_sort_onesweep_iterationIS3_Lb1EPKhPhPS5_SB_mNS0_19identity_decomposerENS1_16block_id_wrapperIjLb0EEEEE10hipError_tT1_PNSt15iterator_traitsISG_E10value_typeET2_T3_PNSH_ISM_E10value_typeET4_T5_PSR_SS_PNS1_23onesweep_lookback_stateEbbT6_jjT7_P12ihipStream_tbENKUlT_T0_SG_SL_E_clISA_SA_SB_SB_EEDaSZ_S10_SG_SL_EUlSZ_E_NS1_11comp_targetILNS1_3genE3ELNS1_11target_archE908ELNS1_3gpuE7ELNS1_3repE0EEENS1_47radix_sort_onesweep_sort_config_static_selectorELNS0_4arch9wavefront6targetE0EEEvSG_.num_agpr, 0
	.set _ZN7rocprim17ROCPRIM_400000_NS6detail17trampoline_kernelINS0_14default_configENS1_35radix_sort_onesweep_config_selectorIhNS0_10empty_typeEEEZZNS1_29radix_sort_onesweep_iterationIS3_Lb1EPKhPhPS5_SB_mNS0_19identity_decomposerENS1_16block_id_wrapperIjLb0EEEEE10hipError_tT1_PNSt15iterator_traitsISG_E10value_typeET2_T3_PNSH_ISM_E10value_typeET4_T5_PSR_SS_PNS1_23onesweep_lookback_stateEbbT6_jjT7_P12ihipStream_tbENKUlT_T0_SG_SL_E_clISA_SA_SB_SB_EEDaSZ_S10_SG_SL_EUlSZ_E_NS1_11comp_targetILNS1_3genE3ELNS1_11target_archE908ELNS1_3gpuE7ELNS1_3repE0EEENS1_47radix_sort_onesweep_sort_config_static_selectorELNS0_4arch9wavefront6targetE0EEEvSG_.numbered_sgpr, 0
	.set _ZN7rocprim17ROCPRIM_400000_NS6detail17trampoline_kernelINS0_14default_configENS1_35radix_sort_onesweep_config_selectorIhNS0_10empty_typeEEEZZNS1_29radix_sort_onesweep_iterationIS3_Lb1EPKhPhPS5_SB_mNS0_19identity_decomposerENS1_16block_id_wrapperIjLb0EEEEE10hipError_tT1_PNSt15iterator_traitsISG_E10value_typeET2_T3_PNSH_ISM_E10value_typeET4_T5_PSR_SS_PNS1_23onesweep_lookback_stateEbbT6_jjT7_P12ihipStream_tbENKUlT_T0_SG_SL_E_clISA_SA_SB_SB_EEDaSZ_S10_SG_SL_EUlSZ_E_NS1_11comp_targetILNS1_3genE3ELNS1_11target_archE908ELNS1_3gpuE7ELNS1_3repE0EEENS1_47radix_sort_onesweep_sort_config_static_selectorELNS0_4arch9wavefront6targetE0EEEvSG_.num_named_barrier, 0
	.set _ZN7rocprim17ROCPRIM_400000_NS6detail17trampoline_kernelINS0_14default_configENS1_35radix_sort_onesweep_config_selectorIhNS0_10empty_typeEEEZZNS1_29radix_sort_onesweep_iterationIS3_Lb1EPKhPhPS5_SB_mNS0_19identity_decomposerENS1_16block_id_wrapperIjLb0EEEEE10hipError_tT1_PNSt15iterator_traitsISG_E10value_typeET2_T3_PNSH_ISM_E10value_typeET4_T5_PSR_SS_PNS1_23onesweep_lookback_stateEbbT6_jjT7_P12ihipStream_tbENKUlT_T0_SG_SL_E_clISA_SA_SB_SB_EEDaSZ_S10_SG_SL_EUlSZ_E_NS1_11comp_targetILNS1_3genE3ELNS1_11target_archE908ELNS1_3gpuE7ELNS1_3repE0EEENS1_47radix_sort_onesweep_sort_config_static_selectorELNS0_4arch9wavefront6targetE0EEEvSG_.private_seg_size, 0
	.set _ZN7rocprim17ROCPRIM_400000_NS6detail17trampoline_kernelINS0_14default_configENS1_35radix_sort_onesweep_config_selectorIhNS0_10empty_typeEEEZZNS1_29radix_sort_onesweep_iterationIS3_Lb1EPKhPhPS5_SB_mNS0_19identity_decomposerENS1_16block_id_wrapperIjLb0EEEEE10hipError_tT1_PNSt15iterator_traitsISG_E10value_typeET2_T3_PNSH_ISM_E10value_typeET4_T5_PSR_SS_PNS1_23onesweep_lookback_stateEbbT6_jjT7_P12ihipStream_tbENKUlT_T0_SG_SL_E_clISA_SA_SB_SB_EEDaSZ_S10_SG_SL_EUlSZ_E_NS1_11comp_targetILNS1_3genE3ELNS1_11target_archE908ELNS1_3gpuE7ELNS1_3repE0EEENS1_47radix_sort_onesweep_sort_config_static_selectorELNS0_4arch9wavefront6targetE0EEEvSG_.uses_vcc, 0
	.set _ZN7rocprim17ROCPRIM_400000_NS6detail17trampoline_kernelINS0_14default_configENS1_35radix_sort_onesweep_config_selectorIhNS0_10empty_typeEEEZZNS1_29radix_sort_onesweep_iterationIS3_Lb1EPKhPhPS5_SB_mNS0_19identity_decomposerENS1_16block_id_wrapperIjLb0EEEEE10hipError_tT1_PNSt15iterator_traitsISG_E10value_typeET2_T3_PNSH_ISM_E10value_typeET4_T5_PSR_SS_PNS1_23onesweep_lookback_stateEbbT6_jjT7_P12ihipStream_tbENKUlT_T0_SG_SL_E_clISA_SA_SB_SB_EEDaSZ_S10_SG_SL_EUlSZ_E_NS1_11comp_targetILNS1_3genE3ELNS1_11target_archE908ELNS1_3gpuE7ELNS1_3repE0EEENS1_47radix_sort_onesweep_sort_config_static_selectorELNS0_4arch9wavefront6targetE0EEEvSG_.uses_flat_scratch, 0
	.set _ZN7rocprim17ROCPRIM_400000_NS6detail17trampoline_kernelINS0_14default_configENS1_35radix_sort_onesweep_config_selectorIhNS0_10empty_typeEEEZZNS1_29radix_sort_onesweep_iterationIS3_Lb1EPKhPhPS5_SB_mNS0_19identity_decomposerENS1_16block_id_wrapperIjLb0EEEEE10hipError_tT1_PNSt15iterator_traitsISG_E10value_typeET2_T3_PNSH_ISM_E10value_typeET4_T5_PSR_SS_PNS1_23onesweep_lookback_stateEbbT6_jjT7_P12ihipStream_tbENKUlT_T0_SG_SL_E_clISA_SA_SB_SB_EEDaSZ_S10_SG_SL_EUlSZ_E_NS1_11comp_targetILNS1_3genE3ELNS1_11target_archE908ELNS1_3gpuE7ELNS1_3repE0EEENS1_47radix_sort_onesweep_sort_config_static_selectorELNS0_4arch9wavefront6targetE0EEEvSG_.has_dyn_sized_stack, 0
	.set _ZN7rocprim17ROCPRIM_400000_NS6detail17trampoline_kernelINS0_14default_configENS1_35radix_sort_onesweep_config_selectorIhNS0_10empty_typeEEEZZNS1_29radix_sort_onesweep_iterationIS3_Lb1EPKhPhPS5_SB_mNS0_19identity_decomposerENS1_16block_id_wrapperIjLb0EEEEE10hipError_tT1_PNSt15iterator_traitsISG_E10value_typeET2_T3_PNSH_ISM_E10value_typeET4_T5_PSR_SS_PNS1_23onesweep_lookback_stateEbbT6_jjT7_P12ihipStream_tbENKUlT_T0_SG_SL_E_clISA_SA_SB_SB_EEDaSZ_S10_SG_SL_EUlSZ_E_NS1_11comp_targetILNS1_3genE3ELNS1_11target_archE908ELNS1_3gpuE7ELNS1_3repE0EEENS1_47radix_sort_onesweep_sort_config_static_selectorELNS0_4arch9wavefront6targetE0EEEvSG_.has_recursion, 0
	.set _ZN7rocprim17ROCPRIM_400000_NS6detail17trampoline_kernelINS0_14default_configENS1_35radix_sort_onesweep_config_selectorIhNS0_10empty_typeEEEZZNS1_29radix_sort_onesweep_iterationIS3_Lb1EPKhPhPS5_SB_mNS0_19identity_decomposerENS1_16block_id_wrapperIjLb0EEEEE10hipError_tT1_PNSt15iterator_traitsISG_E10value_typeET2_T3_PNSH_ISM_E10value_typeET4_T5_PSR_SS_PNS1_23onesweep_lookback_stateEbbT6_jjT7_P12ihipStream_tbENKUlT_T0_SG_SL_E_clISA_SA_SB_SB_EEDaSZ_S10_SG_SL_EUlSZ_E_NS1_11comp_targetILNS1_3genE3ELNS1_11target_archE908ELNS1_3gpuE7ELNS1_3repE0EEENS1_47radix_sort_onesweep_sort_config_static_selectorELNS0_4arch9wavefront6targetE0EEEvSG_.has_indirect_call, 0
	.section	.AMDGPU.csdata,"",@progbits
; Kernel info:
; codeLenInByte = 0
; TotalNumSgprs: 0
; NumVgprs: 0
; ScratchSize: 0
; MemoryBound: 0
; FloatMode: 240
; IeeeMode: 1
; LDSByteSize: 0 bytes/workgroup (compile time only)
; SGPRBlocks: 0
; VGPRBlocks: 0
; NumSGPRsForWavesPerEU: 1
; NumVGPRsForWavesPerEU: 1
; NamedBarCnt: 0
; Occupancy: 16
; WaveLimiterHint : 0
; COMPUTE_PGM_RSRC2:SCRATCH_EN: 0
; COMPUTE_PGM_RSRC2:USER_SGPR: 2
; COMPUTE_PGM_RSRC2:TRAP_HANDLER: 0
; COMPUTE_PGM_RSRC2:TGID_X_EN: 1
; COMPUTE_PGM_RSRC2:TGID_Y_EN: 0
; COMPUTE_PGM_RSRC2:TGID_Z_EN: 0
; COMPUTE_PGM_RSRC2:TIDIG_COMP_CNT: 0
	.section	.text._ZN7rocprim17ROCPRIM_400000_NS6detail17trampoline_kernelINS0_14default_configENS1_35radix_sort_onesweep_config_selectorIhNS0_10empty_typeEEEZZNS1_29radix_sort_onesweep_iterationIS3_Lb1EPKhPhPS5_SB_mNS0_19identity_decomposerENS1_16block_id_wrapperIjLb0EEEEE10hipError_tT1_PNSt15iterator_traitsISG_E10value_typeET2_T3_PNSH_ISM_E10value_typeET4_T5_PSR_SS_PNS1_23onesweep_lookback_stateEbbT6_jjT7_P12ihipStream_tbENKUlT_T0_SG_SL_E_clISA_SA_SB_SB_EEDaSZ_S10_SG_SL_EUlSZ_E_NS1_11comp_targetILNS1_3genE10ELNS1_11target_archE1201ELNS1_3gpuE5ELNS1_3repE0EEENS1_47radix_sort_onesweep_sort_config_static_selectorELNS0_4arch9wavefront6targetE0EEEvSG_,"axG",@progbits,_ZN7rocprim17ROCPRIM_400000_NS6detail17trampoline_kernelINS0_14default_configENS1_35radix_sort_onesweep_config_selectorIhNS0_10empty_typeEEEZZNS1_29radix_sort_onesweep_iterationIS3_Lb1EPKhPhPS5_SB_mNS0_19identity_decomposerENS1_16block_id_wrapperIjLb0EEEEE10hipError_tT1_PNSt15iterator_traitsISG_E10value_typeET2_T3_PNSH_ISM_E10value_typeET4_T5_PSR_SS_PNS1_23onesweep_lookback_stateEbbT6_jjT7_P12ihipStream_tbENKUlT_T0_SG_SL_E_clISA_SA_SB_SB_EEDaSZ_S10_SG_SL_EUlSZ_E_NS1_11comp_targetILNS1_3genE10ELNS1_11target_archE1201ELNS1_3gpuE5ELNS1_3repE0EEENS1_47radix_sort_onesweep_sort_config_static_selectorELNS0_4arch9wavefront6targetE0EEEvSG_,comdat
	.protected	_ZN7rocprim17ROCPRIM_400000_NS6detail17trampoline_kernelINS0_14default_configENS1_35radix_sort_onesweep_config_selectorIhNS0_10empty_typeEEEZZNS1_29radix_sort_onesweep_iterationIS3_Lb1EPKhPhPS5_SB_mNS0_19identity_decomposerENS1_16block_id_wrapperIjLb0EEEEE10hipError_tT1_PNSt15iterator_traitsISG_E10value_typeET2_T3_PNSH_ISM_E10value_typeET4_T5_PSR_SS_PNS1_23onesweep_lookback_stateEbbT6_jjT7_P12ihipStream_tbENKUlT_T0_SG_SL_E_clISA_SA_SB_SB_EEDaSZ_S10_SG_SL_EUlSZ_E_NS1_11comp_targetILNS1_3genE10ELNS1_11target_archE1201ELNS1_3gpuE5ELNS1_3repE0EEENS1_47radix_sort_onesweep_sort_config_static_selectorELNS0_4arch9wavefront6targetE0EEEvSG_ ; -- Begin function _ZN7rocprim17ROCPRIM_400000_NS6detail17trampoline_kernelINS0_14default_configENS1_35radix_sort_onesweep_config_selectorIhNS0_10empty_typeEEEZZNS1_29radix_sort_onesweep_iterationIS3_Lb1EPKhPhPS5_SB_mNS0_19identity_decomposerENS1_16block_id_wrapperIjLb0EEEEE10hipError_tT1_PNSt15iterator_traitsISG_E10value_typeET2_T3_PNSH_ISM_E10value_typeET4_T5_PSR_SS_PNS1_23onesweep_lookback_stateEbbT6_jjT7_P12ihipStream_tbENKUlT_T0_SG_SL_E_clISA_SA_SB_SB_EEDaSZ_S10_SG_SL_EUlSZ_E_NS1_11comp_targetILNS1_3genE10ELNS1_11target_archE1201ELNS1_3gpuE5ELNS1_3repE0EEENS1_47radix_sort_onesweep_sort_config_static_selectorELNS0_4arch9wavefront6targetE0EEEvSG_
	.globl	_ZN7rocprim17ROCPRIM_400000_NS6detail17trampoline_kernelINS0_14default_configENS1_35radix_sort_onesweep_config_selectorIhNS0_10empty_typeEEEZZNS1_29radix_sort_onesweep_iterationIS3_Lb1EPKhPhPS5_SB_mNS0_19identity_decomposerENS1_16block_id_wrapperIjLb0EEEEE10hipError_tT1_PNSt15iterator_traitsISG_E10value_typeET2_T3_PNSH_ISM_E10value_typeET4_T5_PSR_SS_PNS1_23onesweep_lookback_stateEbbT6_jjT7_P12ihipStream_tbENKUlT_T0_SG_SL_E_clISA_SA_SB_SB_EEDaSZ_S10_SG_SL_EUlSZ_E_NS1_11comp_targetILNS1_3genE10ELNS1_11target_archE1201ELNS1_3gpuE5ELNS1_3repE0EEENS1_47radix_sort_onesweep_sort_config_static_selectorELNS0_4arch9wavefront6targetE0EEEvSG_
	.p2align	8
	.type	_ZN7rocprim17ROCPRIM_400000_NS6detail17trampoline_kernelINS0_14default_configENS1_35radix_sort_onesweep_config_selectorIhNS0_10empty_typeEEEZZNS1_29radix_sort_onesweep_iterationIS3_Lb1EPKhPhPS5_SB_mNS0_19identity_decomposerENS1_16block_id_wrapperIjLb0EEEEE10hipError_tT1_PNSt15iterator_traitsISG_E10value_typeET2_T3_PNSH_ISM_E10value_typeET4_T5_PSR_SS_PNS1_23onesweep_lookback_stateEbbT6_jjT7_P12ihipStream_tbENKUlT_T0_SG_SL_E_clISA_SA_SB_SB_EEDaSZ_S10_SG_SL_EUlSZ_E_NS1_11comp_targetILNS1_3genE10ELNS1_11target_archE1201ELNS1_3gpuE5ELNS1_3repE0EEENS1_47radix_sort_onesweep_sort_config_static_selectorELNS0_4arch9wavefront6targetE0EEEvSG_,@function
_ZN7rocprim17ROCPRIM_400000_NS6detail17trampoline_kernelINS0_14default_configENS1_35radix_sort_onesweep_config_selectorIhNS0_10empty_typeEEEZZNS1_29radix_sort_onesweep_iterationIS3_Lb1EPKhPhPS5_SB_mNS0_19identity_decomposerENS1_16block_id_wrapperIjLb0EEEEE10hipError_tT1_PNSt15iterator_traitsISG_E10value_typeET2_T3_PNSH_ISM_E10value_typeET4_T5_PSR_SS_PNS1_23onesweep_lookback_stateEbbT6_jjT7_P12ihipStream_tbENKUlT_T0_SG_SL_E_clISA_SA_SB_SB_EEDaSZ_S10_SG_SL_EUlSZ_E_NS1_11comp_targetILNS1_3genE10ELNS1_11target_archE1201ELNS1_3gpuE5ELNS1_3repE0EEENS1_47radix_sort_onesweep_sort_config_static_selectorELNS0_4arch9wavefront6targetE0EEEvSG_: ; @_ZN7rocprim17ROCPRIM_400000_NS6detail17trampoline_kernelINS0_14default_configENS1_35radix_sort_onesweep_config_selectorIhNS0_10empty_typeEEEZZNS1_29radix_sort_onesweep_iterationIS3_Lb1EPKhPhPS5_SB_mNS0_19identity_decomposerENS1_16block_id_wrapperIjLb0EEEEE10hipError_tT1_PNSt15iterator_traitsISG_E10value_typeET2_T3_PNSH_ISM_E10value_typeET4_T5_PSR_SS_PNS1_23onesweep_lookback_stateEbbT6_jjT7_P12ihipStream_tbENKUlT_T0_SG_SL_E_clISA_SA_SB_SB_EEDaSZ_S10_SG_SL_EUlSZ_E_NS1_11comp_targetILNS1_3genE10ELNS1_11target_archE1201ELNS1_3gpuE5ELNS1_3repE0EEENS1_47radix_sort_onesweep_sort_config_static_selectorELNS0_4arch9wavefront6targetE0EEEvSG_
; %bb.0:
	.section	.rodata,"a",@progbits
	.p2align	6, 0x0
	.amdhsa_kernel _ZN7rocprim17ROCPRIM_400000_NS6detail17trampoline_kernelINS0_14default_configENS1_35radix_sort_onesweep_config_selectorIhNS0_10empty_typeEEEZZNS1_29radix_sort_onesweep_iterationIS3_Lb1EPKhPhPS5_SB_mNS0_19identity_decomposerENS1_16block_id_wrapperIjLb0EEEEE10hipError_tT1_PNSt15iterator_traitsISG_E10value_typeET2_T3_PNSH_ISM_E10value_typeET4_T5_PSR_SS_PNS1_23onesweep_lookback_stateEbbT6_jjT7_P12ihipStream_tbENKUlT_T0_SG_SL_E_clISA_SA_SB_SB_EEDaSZ_S10_SG_SL_EUlSZ_E_NS1_11comp_targetILNS1_3genE10ELNS1_11target_archE1201ELNS1_3gpuE5ELNS1_3repE0EEENS1_47radix_sort_onesweep_sort_config_static_selectorELNS0_4arch9wavefront6targetE0EEEvSG_
		.amdhsa_group_segment_fixed_size 0
		.amdhsa_private_segment_fixed_size 0
		.amdhsa_kernarg_size 88
		.amdhsa_user_sgpr_count 2
		.amdhsa_user_sgpr_dispatch_ptr 0
		.amdhsa_user_sgpr_queue_ptr 0
		.amdhsa_user_sgpr_kernarg_segment_ptr 1
		.amdhsa_user_sgpr_dispatch_id 0
		.amdhsa_user_sgpr_kernarg_preload_length 0
		.amdhsa_user_sgpr_kernarg_preload_offset 0
		.amdhsa_user_sgpr_private_segment_size 0
		.amdhsa_wavefront_size32 1
		.amdhsa_uses_dynamic_stack 0
		.amdhsa_enable_private_segment 0
		.amdhsa_system_sgpr_workgroup_id_x 1
		.amdhsa_system_sgpr_workgroup_id_y 0
		.amdhsa_system_sgpr_workgroup_id_z 0
		.amdhsa_system_sgpr_workgroup_info 0
		.amdhsa_system_vgpr_workitem_id 0
		.amdhsa_next_free_vgpr 1
		.amdhsa_next_free_sgpr 1
		.amdhsa_named_barrier_count 0
		.amdhsa_reserve_vcc 0
		.amdhsa_float_round_mode_32 0
		.amdhsa_float_round_mode_16_64 0
		.amdhsa_float_denorm_mode_32 3
		.amdhsa_float_denorm_mode_16_64 3
		.amdhsa_fp16_overflow 0
		.amdhsa_memory_ordered 1
		.amdhsa_forward_progress 1
		.amdhsa_inst_pref_size 0
		.amdhsa_round_robin_scheduling 0
		.amdhsa_exception_fp_ieee_invalid_op 0
		.amdhsa_exception_fp_denorm_src 0
		.amdhsa_exception_fp_ieee_div_zero 0
		.amdhsa_exception_fp_ieee_overflow 0
		.amdhsa_exception_fp_ieee_underflow 0
		.amdhsa_exception_fp_ieee_inexact 0
		.amdhsa_exception_int_div_zero 0
	.end_amdhsa_kernel
	.section	.text._ZN7rocprim17ROCPRIM_400000_NS6detail17trampoline_kernelINS0_14default_configENS1_35radix_sort_onesweep_config_selectorIhNS0_10empty_typeEEEZZNS1_29radix_sort_onesweep_iterationIS3_Lb1EPKhPhPS5_SB_mNS0_19identity_decomposerENS1_16block_id_wrapperIjLb0EEEEE10hipError_tT1_PNSt15iterator_traitsISG_E10value_typeET2_T3_PNSH_ISM_E10value_typeET4_T5_PSR_SS_PNS1_23onesweep_lookback_stateEbbT6_jjT7_P12ihipStream_tbENKUlT_T0_SG_SL_E_clISA_SA_SB_SB_EEDaSZ_S10_SG_SL_EUlSZ_E_NS1_11comp_targetILNS1_3genE10ELNS1_11target_archE1201ELNS1_3gpuE5ELNS1_3repE0EEENS1_47radix_sort_onesweep_sort_config_static_selectorELNS0_4arch9wavefront6targetE0EEEvSG_,"axG",@progbits,_ZN7rocprim17ROCPRIM_400000_NS6detail17trampoline_kernelINS0_14default_configENS1_35radix_sort_onesweep_config_selectorIhNS0_10empty_typeEEEZZNS1_29radix_sort_onesweep_iterationIS3_Lb1EPKhPhPS5_SB_mNS0_19identity_decomposerENS1_16block_id_wrapperIjLb0EEEEE10hipError_tT1_PNSt15iterator_traitsISG_E10value_typeET2_T3_PNSH_ISM_E10value_typeET4_T5_PSR_SS_PNS1_23onesweep_lookback_stateEbbT6_jjT7_P12ihipStream_tbENKUlT_T0_SG_SL_E_clISA_SA_SB_SB_EEDaSZ_S10_SG_SL_EUlSZ_E_NS1_11comp_targetILNS1_3genE10ELNS1_11target_archE1201ELNS1_3gpuE5ELNS1_3repE0EEENS1_47radix_sort_onesweep_sort_config_static_selectorELNS0_4arch9wavefront6targetE0EEEvSG_,comdat
.Lfunc_end141:
	.size	_ZN7rocprim17ROCPRIM_400000_NS6detail17trampoline_kernelINS0_14default_configENS1_35radix_sort_onesweep_config_selectorIhNS0_10empty_typeEEEZZNS1_29radix_sort_onesweep_iterationIS3_Lb1EPKhPhPS5_SB_mNS0_19identity_decomposerENS1_16block_id_wrapperIjLb0EEEEE10hipError_tT1_PNSt15iterator_traitsISG_E10value_typeET2_T3_PNSH_ISM_E10value_typeET4_T5_PSR_SS_PNS1_23onesweep_lookback_stateEbbT6_jjT7_P12ihipStream_tbENKUlT_T0_SG_SL_E_clISA_SA_SB_SB_EEDaSZ_S10_SG_SL_EUlSZ_E_NS1_11comp_targetILNS1_3genE10ELNS1_11target_archE1201ELNS1_3gpuE5ELNS1_3repE0EEENS1_47radix_sort_onesweep_sort_config_static_selectorELNS0_4arch9wavefront6targetE0EEEvSG_, .Lfunc_end141-_ZN7rocprim17ROCPRIM_400000_NS6detail17trampoline_kernelINS0_14default_configENS1_35radix_sort_onesweep_config_selectorIhNS0_10empty_typeEEEZZNS1_29radix_sort_onesweep_iterationIS3_Lb1EPKhPhPS5_SB_mNS0_19identity_decomposerENS1_16block_id_wrapperIjLb0EEEEE10hipError_tT1_PNSt15iterator_traitsISG_E10value_typeET2_T3_PNSH_ISM_E10value_typeET4_T5_PSR_SS_PNS1_23onesweep_lookback_stateEbbT6_jjT7_P12ihipStream_tbENKUlT_T0_SG_SL_E_clISA_SA_SB_SB_EEDaSZ_S10_SG_SL_EUlSZ_E_NS1_11comp_targetILNS1_3genE10ELNS1_11target_archE1201ELNS1_3gpuE5ELNS1_3repE0EEENS1_47radix_sort_onesweep_sort_config_static_selectorELNS0_4arch9wavefront6targetE0EEEvSG_
                                        ; -- End function
	.set _ZN7rocprim17ROCPRIM_400000_NS6detail17trampoline_kernelINS0_14default_configENS1_35radix_sort_onesweep_config_selectorIhNS0_10empty_typeEEEZZNS1_29radix_sort_onesweep_iterationIS3_Lb1EPKhPhPS5_SB_mNS0_19identity_decomposerENS1_16block_id_wrapperIjLb0EEEEE10hipError_tT1_PNSt15iterator_traitsISG_E10value_typeET2_T3_PNSH_ISM_E10value_typeET4_T5_PSR_SS_PNS1_23onesweep_lookback_stateEbbT6_jjT7_P12ihipStream_tbENKUlT_T0_SG_SL_E_clISA_SA_SB_SB_EEDaSZ_S10_SG_SL_EUlSZ_E_NS1_11comp_targetILNS1_3genE10ELNS1_11target_archE1201ELNS1_3gpuE5ELNS1_3repE0EEENS1_47radix_sort_onesweep_sort_config_static_selectorELNS0_4arch9wavefront6targetE0EEEvSG_.num_vgpr, 0
	.set _ZN7rocprim17ROCPRIM_400000_NS6detail17trampoline_kernelINS0_14default_configENS1_35radix_sort_onesweep_config_selectorIhNS0_10empty_typeEEEZZNS1_29radix_sort_onesweep_iterationIS3_Lb1EPKhPhPS5_SB_mNS0_19identity_decomposerENS1_16block_id_wrapperIjLb0EEEEE10hipError_tT1_PNSt15iterator_traitsISG_E10value_typeET2_T3_PNSH_ISM_E10value_typeET4_T5_PSR_SS_PNS1_23onesweep_lookback_stateEbbT6_jjT7_P12ihipStream_tbENKUlT_T0_SG_SL_E_clISA_SA_SB_SB_EEDaSZ_S10_SG_SL_EUlSZ_E_NS1_11comp_targetILNS1_3genE10ELNS1_11target_archE1201ELNS1_3gpuE5ELNS1_3repE0EEENS1_47radix_sort_onesweep_sort_config_static_selectorELNS0_4arch9wavefront6targetE0EEEvSG_.num_agpr, 0
	.set _ZN7rocprim17ROCPRIM_400000_NS6detail17trampoline_kernelINS0_14default_configENS1_35radix_sort_onesweep_config_selectorIhNS0_10empty_typeEEEZZNS1_29radix_sort_onesweep_iterationIS3_Lb1EPKhPhPS5_SB_mNS0_19identity_decomposerENS1_16block_id_wrapperIjLb0EEEEE10hipError_tT1_PNSt15iterator_traitsISG_E10value_typeET2_T3_PNSH_ISM_E10value_typeET4_T5_PSR_SS_PNS1_23onesweep_lookback_stateEbbT6_jjT7_P12ihipStream_tbENKUlT_T0_SG_SL_E_clISA_SA_SB_SB_EEDaSZ_S10_SG_SL_EUlSZ_E_NS1_11comp_targetILNS1_3genE10ELNS1_11target_archE1201ELNS1_3gpuE5ELNS1_3repE0EEENS1_47radix_sort_onesweep_sort_config_static_selectorELNS0_4arch9wavefront6targetE0EEEvSG_.numbered_sgpr, 0
	.set _ZN7rocprim17ROCPRIM_400000_NS6detail17trampoline_kernelINS0_14default_configENS1_35radix_sort_onesweep_config_selectorIhNS0_10empty_typeEEEZZNS1_29radix_sort_onesweep_iterationIS3_Lb1EPKhPhPS5_SB_mNS0_19identity_decomposerENS1_16block_id_wrapperIjLb0EEEEE10hipError_tT1_PNSt15iterator_traitsISG_E10value_typeET2_T3_PNSH_ISM_E10value_typeET4_T5_PSR_SS_PNS1_23onesweep_lookback_stateEbbT6_jjT7_P12ihipStream_tbENKUlT_T0_SG_SL_E_clISA_SA_SB_SB_EEDaSZ_S10_SG_SL_EUlSZ_E_NS1_11comp_targetILNS1_3genE10ELNS1_11target_archE1201ELNS1_3gpuE5ELNS1_3repE0EEENS1_47radix_sort_onesweep_sort_config_static_selectorELNS0_4arch9wavefront6targetE0EEEvSG_.num_named_barrier, 0
	.set _ZN7rocprim17ROCPRIM_400000_NS6detail17trampoline_kernelINS0_14default_configENS1_35radix_sort_onesweep_config_selectorIhNS0_10empty_typeEEEZZNS1_29radix_sort_onesweep_iterationIS3_Lb1EPKhPhPS5_SB_mNS0_19identity_decomposerENS1_16block_id_wrapperIjLb0EEEEE10hipError_tT1_PNSt15iterator_traitsISG_E10value_typeET2_T3_PNSH_ISM_E10value_typeET4_T5_PSR_SS_PNS1_23onesweep_lookback_stateEbbT6_jjT7_P12ihipStream_tbENKUlT_T0_SG_SL_E_clISA_SA_SB_SB_EEDaSZ_S10_SG_SL_EUlSZ_E_NS1_11comp_targetILNS1_3genE10ELNS1_11target_archE1201ELNS1_3gpuE5ELNS1_3repE0EEENS1_47radix_sort_onesweep_sort_config_static_selectorELNS0_4arch9wavefront6targetE0EEEvSG_.private_seg_size, 0
	.set _ZN7rocprim17ROCPRIM_400000_NS6detail17trampoline_kernelINS0_14default_configENS1_35radix_sort_onesweep_config_selectorIhNS0_10empty_typeEEEZZNS1_29radix_sort_onesweep_iterationIS3_Lb1EPKhPhPS5_SB_mNS0_19identity_decomposerENS1_16block_id_wrapperIjLb0EEEEE10hipError_tT1_PNSt15iterator_traitsISG_E10value_typeET2_T3_PNSH_ISM_E10value_typeET4_T5_PSR_SS_PNS1_23onesweep_lookback_stateEbbT6_jjT7_P12ihipStream_tbENKUlT_T0_SG_SL_E_clISA_SA_SB_SB_EEDaSZ_S10_SG_SL_EUlSZ_E_NS1_11comp_targetILNS1_3genE10ELNS1_11target_archE1201ELNS1_3gpuE5ELNS1_3repE0EEENS1_47radix_sort_onesweep_sort_config_static_selectorELNS0_4arch9wavefront6targetE0EEEvSG_.uses_vcc, 0
	.set _ZN7rocprim17ROCPRIM_400000_NS6detail17trampoline_kernelINS0_14default_configENS1_35radix_sort_onesweep_config_selectorIhNS0_10empty_typeEEEZZNS1_29radix_sort_onesweep_iterationIS3_Lb1EPKhPhPS5_SB_mNS0_19identity_decomposerENS1_16block_id_wrapperIjLb0EEEEE10hipError_tT1_PNSt15iterator_traitsISG_E10value_typeET2_T3_PNSH_ISM_E10value_typeET4_T5_PSR_SS_PNS1_23onesweep_lookback_stateEbbT6_jjT7_P12ihipStream_tbENKUlT_T0_SG_SL_E_clISA_SA_SB_SB_EEDaSZ_S10_SG_SL_EUlSZ_E_NS1_11comp_targetILNS1_3genE10ELNS1_11target_archE1201ELNS1_3gpuE5ELNS1_3repE0EEENS1_47radix_sort_onesweep_sort_config_static_selectorELNS0_4arch9wavefront6targetE0EEEvSG_.uses_flat_scratch, 0
	.set _ZN7rocprim17ROCPRIM_400000_NS6detail17trampoline_kernelINS0_14default_configENS1_35radix_sort_onesweep_config_selectorIhNS0_10empty_typeEEEZZNS1_29radix_sort_onesweep_iterationIS3_Lb1EPKhPhPS5_SB_mNS0_19identity_decomposerENS1_16block_id_wrapperIjLb0EEEEE10hipError_tT1_PNSt15iterator_traitsISG_E10value_typeET2_T3_PNSH_ISM_E10value_typeET4_T5_PSR_SS_PNS1_23onesweep_lookback_stateEbbT6_jjT7_P12ihipStream_tbENKUlT_T0_SG_SL_E_clISA_SA_SB_SB_EEDaSZ_S10_SG_SL_EUlSZ_E_NS1_11comp_targetILNS1_3genE10ELNS1_11target_archE1201ELNS1_3gpuE5ELNS1_3repE0EEENS1_47radix_sort_onesweep_sort_config_static_selectorELNS0_4arch9wavefront6targetE0EEEvSG_.has_dyn_sized_stack, 0
	.set _ZN7rocprim17ROCPRIM_400000_NS6detail17trampoline_kernelINS0_14default_configENS1_35radix_sort_onesweep_config_selectorIhNS0_10empty_typeEEEZZNS1_29radix_sort_onesweep_iterationIS3_Lb1EPKhPhPS5_SB_mNS0_19identity_decomposerENS1_16block_id_wrapperIjLb0EEEEE10hipError_tT1_PNSt15iterator_traitsISG_E10value_typeET2_T3_PNSH_ISM_E10value_typeET4_T5_PSR_SS_PNS1_23onesweep_lookback_stateEbbT6_jjT7_P12ihipStream_tbENKUlT_T0_SG_SL_E_clISA_SA_SB_SB_EEDaSZ_S10_SG_SL_EUlSZ_E_NS1_11comp_targetILNS1_3genE10ELNS1_11target_archE1201ELNS1_3gpuE5ELNS1_3repE0EEENS1_47radix_sort_onesweep_sort_config_static_selectorELNS0_4arch9wavefront6targetE0EEEvSG_.has_recursion, 0
	.set _ZN7rocprim17ROCPRIM_400000_NS6detail17trampoline_kernelINS0_14default_configENS1_35radix_sort_onesweep_config_selectorIhNS0_10empty_typeEEEZZNS1_29radix_sort_onesweep_iterationIS3_Lb1EPKhPhPS5_SB_mNS0_19identity_decomposerENS1_16block_id_wrapperIjLb0EEEEE10hipError_tT1_PNSt15iterator_traitsISG_E10value_typeET2_T3_PNSH_ISM_E10value_typeET4_T5_PSR_SS_PNS1_23onesweep_lookback_stateEbbT6_jjT7_P12ihipStream_tbENKUlT_T0_SG_SL_E_clISA_SA_SB_SB_EEDaSZ_S10_SG_SL_EUlSZ_E_NS1_11comp_targetILNS1_3genE10ELNS1_11target_archE1201ELNS1_3gpuE5ELNS1_3repE0EEENS1_47radix_sort_onesweep_sort_config_static_selectorELNS0_4arch9wavefront6targetE0EEEvSG_.has_indirect_call, 0
	.section	.AMDGPU.csdata,"",@progbits
; Kernel info:
; codeLenInByte = 0
; TotalNumSgprs: 0
; NumVgprs: 0
; ScratchSize: 0
; MemoryBound: 0
; FloatMode: 240
; IeeeMode: 1
; LDSByteSize: 0 bytes/workgroup (compile time only)
; SGPRBlocks: 0
; VGPRBlocks: 0
; NumSGPRsForWavesPerEU: 1
; NumVGPRsForWavesPerEU: 1
; NamedBarCnt: 0
; Occupancy: 16
; WaveLimiterHint : 0
; COMPUTE_PGM_RSRC2:SCRATCH_EN: 0
; COMPUTE_PGM_RSRC2:USER_SGPR: 2
; COMPUTE_PGM_RSRC2:TRAP_HANDLER: 0
; COMPUTE_PGM_RSRC2:TGID_X_EN: 1
; COMPUTE_PGM_RSRC2:TGID_Y_EN: 0
; COMPUTE_PGM_RSRC2:TGID_Z_EN: 0
; COMPUTE_PGM_RSRC2:TIDIG_COMP_CNT: 0
	.section	.text._ZN7rocprim17ROCPRIM_400000_NS6detail17trampoline_kernelINS0_14default_configENS1_35radix_sort_onesweep_config_selectorIhNS0_10empty_typeEEEZZNS1_29radix_sort_onesweep_iterationIS3_Lb1EPKhPhPS5_SB_mNS0_19identity_decomposerENS1_16block_id_wrapperIjLb0EEEEE10hipError_tT1_PNSt15iterator_traitsISG_E10value_typeET2_T3_PNSH_ISM_E10value_typeET4_T5_PSR_SS_PNS1_23onesweep_lookback_stateEbbT6_jjT7_P12ihipStream_tbENKUlT_T0_SG_SL_E_clISA_SA_SB_SB_EEDaSZ_S10_SG_SL_EUlSZ_E_NS1_11comp_targetILNS1_3genE9ELNS1_11target_archE1100ELNS1_3gpuE3ELNS1_3repE0EEENS1_47radix_sort_onesweep_sort_config_static_selectorELNS0_4arch9wavefront6targetE0EEEvSG_,"axG",@progbits,_ZN7rocprim17ROCPRIM_400000_NS6detail17trampoline_kernelINS0_14default_configENS1_35radix_sort_onesweep_config_selectorIhNS0_10empty_typeEEEZZNS1_29radix_sort_onesweep_iterationIS3_Lb1EPKhPhPS5_SB_mNS0_19identity_decomposerENS1_16block_id_wrapperIjLb0EEEEE10hipError_tT1_PNSt15iterator_traitsISG_E10value_typeET2_T3_PNSH_ISM_E10value_typeET4_T5_PSR_SS_PNS1_23onesweep_lookback_stateEbbT6_jjT7_P12ihipStream_tbENKUlT_T0_SG_SL_E_clISA_SA_SB_SB_EEDaSZ_S10_SG_SL_EUlSZ_E_NS1_11comp_targetILNS1_3genE9ELNS1_11target_archE1100ELNS1_3gpuE3ELNS1_3repE0EEENS1_47radix_sort_onesweep_sort_config_static_selectorELNS0_4arch9wavefront6targetE0EEEvSG_,comdat
	.protected	_ZN7rocprim17ROCPRIM_400000_NS6detail17trampoline_kernelINS0_14default_configENS1_35radix_sort_onesweep_config_selectorIhNS0_10empty_typeEEEZZNS1_29radix_sort_onesweep_iterationIS3_Lb1EPKhPhPS5_SB_mNS0_19identity_decomposerENS1_16block_id_wrapperIjLb0EEEEE10hipError_tT1_PNSt15iterator_traitsISG_E10value_typeET2_T3_PNSH_ISM_E10value_typeET4_T5_PSR_SS_PNS1_23onesweep_lookback_stateEbbT6_jjT7_P12ihipStream_tbENKUlT_T0_SG_SL_E_clISA_SA_SB_SB_EEDaSZ_S10_SG_SL_EUlSZ_E_NS1_11comp_targetILNS1_3genE9ELNS1_11target_archE1100ELNS1_3gpuE3ELNS1_3repE0EEENS1_47radix_sort_onesweep_sort_config_static_selectorELNS0_4arch9wavefront6targetE0EEEvSG_ ; -- Begin function _ZN7rocprim17ROCPRIM_400000_NS6detail17trampoline_kernelINS0_14default_configENS1_35radix_sort_onesweep_config_selectorIhNS0_10empty_typeEEEZZNS1_29radix_sort_onesweep_iterationIS3_Lb1EPKhPhPS5_SB_mNS0_19identity_decomposerENS1_16block_id_wrapperIjLb0EEEEE10hipError_tT1_PNSt15iterator_traitsISG_E10value_typeET2_T3_PNSH_ISM_E10value_typeET4_T5_PSR_SS_PNS1_23onesweep_lookback_stateEbbT6_jjT7_P12ihipStream_tbENKUlT_T0_SG_SL_E_clISA_SA_SB_SB_EEDaSZ_S10_SG_SL_EUlSZ_E_NS1_11comp_targetILNS1_3genE9ELNS1_11target_archE1100ELNS1_3gpuE3ELNS1_3repE0EEENS1_47radix_sort_onesweep_sort_config_static_selectorELNS0_4arch9wavefront6targetE0EEEvSG_
	.globl	_ZN7rocprim17ROCPRIM_400000_NS6detail17trampoline_kernelINS0_14default_configENS1_35radix_sort_onesweep_config_selectorIhNS0_10empty_typeEEEZZNS1_29radix_sort_onesweep_iterationIS3_Lb1EPKhPhPS5_SB_mNS0_19identity_decomposerENS1_16block_id_wrapperIjLb0EEEEE10hipError_tT1_PNSt15iterator_traitsISG_E10value_typeET2_T3_PNSH_ISM_E10value_typeET4_T5_PSR_SS_PNS1_23onesweep_lookback_stateEbbT6_jjT7_P12ihipStream_tbENKUlT_T0_SG_SL_E_clISA_SA_SB_SB_EEDaSZ_S10_SG_SL_EUlSZ_E_NS1_11comp_targetILNS1_3genE9ELNS1_11target_archE1100ELNS1_3gpuE3ELNS1_3repE0EEENS1_47radix_sort_onesweep_sort_config_static_selectorELNS0_4arch9wavefront6targetE0EEEvSG_
	.p2align	8
	.type	_ZN7rocprim17ROCPRIM_400000_NS6detail17trampoline_kernelINS0_14default_configENS1_35radix_sort_onesweep_config_selectorIhNS0_10empty_typeEEEZZNS1_29radix_sort_onesweep_iterationIS3_Lb1EPKhPhPS5_SB_mNS0_19identity_decomposerENS1_16block_id_wrapperIjLb0EEEEE10hipError_tT1_PNSt15iterator_traitsISG_E10value_typeET2_T3_PNSH_ISM_E10value_typeET4_T5_PSR_SS_PNS1_23onesweep_lookback_stateEbbT6_jjT7_P12ihipStream_tbENKUlT_T0_SG_SL_E_clISA_SA_SB_SB_EEDaSZ_S10_SG_SL_EUlSZ_E_NS1_11comp_targetILNS1_3genE9ELNS1_11target_archE1100ELNS1_3gpuE3ELNS1_3repE0EEENS1_47radix_sort_onesweep_sort_config_static_selectorELNS0_4arch9wavefront6targetE0EEEvSG_,@function
_ZN7rocprim17ROCPRIM_400000_NS6detail17trampoline_kernelINS0_14default_configENS1_35radix_sort_onesweep_config_selectorIhNS0_10empty_typeEEEZZNS1_29radix_sort_onesweep_iterationIS3_Lb1EPKhPhPS5_SB_mNS0_19identity_decomposerENS1_16block_id_wrapperIjLb0EEEEE10hipError_tT1_PNSt15iterator_traitsISG_E10value_typeET2_T3_PNSH_ISM_E10value_typeET4_T5_PSR_SS_PNS1_23onesweep_lookback_stateEbbT6_jjT7_P12ihipStream_tbENKUlT_T0_SG_SL_E_clISA_SA_SB_SB_EEDaSZ_S10_SG_SL_EUlSZ_E_NS1_11comp_targetILNS1_3genE9ELNS1_11target_archE1100ELNS1_3gpuE3ELNS1_3repE0EEENS1_47radix_sort_onesweep_sort_config_static_selectorELNS0_4arch9wavefront6targetE0EEEvSG_: ; @_ZN7rocprim17ROCPRIM_400000_NS6detail17trampoline_kernelINS0_14default_configENS1_35radix_sort_onesweep_config_selectorIhNS0_10empty_typeEEEZZNS1_29radix_sort_onesweep_iterationIS3_Lb1EPKhPhPS5_SB_mNS0_19identity_decomposerENS1_16block_id_wrapperIjLb0EEEEE10hipError_tT1_PNSt15iterator_traitsISG_E10value_typeET2_T3_PNSH_ISM_E10value_typeET4_T5_PSR_SS_PNS1_23onesweep_lookback_stateEbbT6_jjT7_P12ihipStream_tbENKUlT_T0_SG_SL_E_clISA_SA_SB_SB_EEDaSZ_S10_SG_SL_EUlSZ_E_NS1_11comp_targetILNS1_3genE9ELNS1_11target_archE1100ELNS1_3gpuE3ELNS1_3repE0EEENS1_47radix_sort_onesweep_sort_config_static_selectorELNS0_4arch9wavefront6targetE0EEEvSG_
; %bb.0:
	.section	.rodata,"a",@progbits
	.p2align	6, 0x0
	.amdhsa_kernel _ZN7rocprim17ROCPRIM_400000_NS6detail17trampoline_kernelINS0_14default_configENS1_35radix_sort_onesweep_config_selectorIhNS0_10empty_typeEEEZZNS1_29radix_sort_onesweep_iterationIS3_Lb1EPKhPhPS5_SB_mNS0_19identity_decomposerENS1_16block_id_wrapperIjLb0EEEEE10hipError_tT1_PNSt15iterator_traitsISG_E10value_typeET2_T3_PNSH_ISM_E10value_typeET4_T5_PSR_SS_PNS1_23onesweep_lookback_stateEbbT6_jjT7_P12ihipStream_tbENKUlT_T0_SG_SL_E_clISA_SA_SB_SB_EEDaSZ_S10_SG_SL_EUlSZ_E_NS1_11comp_targetILNS1_3genE9ELNS1_11target_archE1100ELNS1_3gpuE3ELNS1_3repE0EEENS1_47radix_sort_onesweep_sort_config_static_selectorELNS0_4arch9wavefront6targetE0EEEvSG_
		.amdhsa_group_segment_fixed_size 0
		.amdhsa_private_segment_fixed_size 0
		.amdhsa_kernarg_size 88
		.amdhsa_user_sgpr_count 2
		.amdhsa_user_sgpr_dispatch_ptr 0
		.amdhsa_user_sgpr_queue_ptr 0
		.amdhsa_user_sgpr_kernarg_segment_ptr 1
		.amdhsa_user_sgpr_dispatch_id 0
		.amdhsa_user_sgpr_kernarg_preload_length 0
		.amdhsa_user_sgpr_kernarg_preload_offset 0
		.amdhsa_user_sgpr_private_segment_size 0
		.amdhsa_wavefront_size32 1
		.amdhsa_uses_dynamic_stack 0
		.amdhsa_enable_private_segment 0
		.amdhsa_system_sgpr_workgroup_id_x 1
		.amdhsa_system_sgpr_workgroup_id_y 0
		.amdhsa_system_sgpr_workgroup_id_z 0
		.amdhsa_system_sgpr_workgroup_info 0
		.amdhsa_system_vgpr_workitem_id 0
		.amdhsa_next_free_vgpr 1
		.amdhsa_next_free_sgpr 1
		.amdhsa_named_barrier_count 0
		.amdhsa_reserve_vcc 0
		.amdhsa_float_round_mode_32 0
		.amdhsa_float_round_mode_16_64 0
		.amdhsa_float_denorm_mode_32 3
		.amdhsa_float_denorm_mode_16_64 3
		.amdhsa_fp16_overflow 0
		.amdhsa_memory_ordered 1
		.amdhsa_forward_progress 1
		.amdhsa_inst_pref_size 0
		.amdhsa_round_robin_scheduling 0
		.amdhsa_exception_fp_ieee_invalid_op 0
		.amdhsa_exception_fp_denorm_src 0
		.amdhsa_exception_fp_ieee_div_zero 0
		.amdhsa_exception_fp_ieee_overflow 0
		.amdhsa_exception_fp_ieee_underflow 0
		.amdhsa_exception_fp_ieee_inexact 0
		.amdhsa_exception_int_div_zero 0
	.end_amdhsa_kernel
	.section	.text._ZN7rocprim17ROCPRIM_400000_NS6detail17trampoline_kernelINS0_14default_configENS1_35radix_sort_onesweep_config_selectorIhNS0_10empty_typeEEEZZNS1_29radix_sort_onesweep_iterationIS3_Lb1EPKhPhPS5_SB_mNS0_19identity_decomposerENS1_16block_id_wrapperIjLb0EEEEE10hipError_tT1_PNSt15iterator_traitsISG_E10value_typeET2_T3_PNSH_ISM_E10value_typeET4_T5_PSR_SS_PNS1_23onesweep_lookback_stateEbbT6_jjT7_P12ihipStream_tbENKUlT_T0_SG_SL_E_clISA_SA_SB_SB_EEDaSZ_S10_SG_SL_EUlSZ_E_NS1_11comp_targetILNS1_3genE9ELNS1_11target_archE1100ELNS1_3gpuE3ELNS1_3repE0EEENS1_47radix_sort_onesweep_sort_config_static_selectorELNS0_4arch9wavefront6targetE0EEEvSG_,"axG",@progbits,_ZN7rocprim17ROCPRIM_400000_NS6detail17trampoline_kernelINS0_14default_configENS1_35radix_sort_onesweep_config_selectorIhNS0_10empty_typeEEEZZNS1_29radix_sort_onesweep_iterationIS3_Lb1EPKhPhPS5_SB_mNS0_19identity_decomposerENS1_16block_id_wrapperIjLb0EEEEE10hipError_tT1_PNSt15iterator_traitsISG_E10value_typeET2_T3_PNSH_ISM_E10value_typeET4_T5_PSR_SS_PNS1_23onesweep_lookback_stateEbbT6_jjT7_P12ihipStream_tbENKUlT_T0_SG_SL_E_clISA_SA_SB_SB_EEDaSZ_S10_SG_SL_EUlSZ_E_NS1_11comp_targetILNS1_3genE9ELNS1_11target_archE1100ELNS1_3gpuE3ELNS1_3repE0EEENS1_47radix_sort_onesweep_sort_config_static_selectorELNS0_4arch9wavefront6targetE0EEEvSG_,comdat
.Lfunc_end142:
	.size	_ZN7rocprim17ROCPRIM_400000_NS6detail17trampoline_kernelINS0_14default_configENS1_35radix_sort_onesweep_config_selectorIhNS0_10empty_typeEEEZZNS1_29radix_sort_onesweep_iterationIS3_Lb1EPKhPhPS5_SB_mNS0_19identity_decomposerENS1_16block_id_wrapperIjLb0EEEEE10hipError_tT1_PNSt15iterator_traitsISG_E10value_typeET2_T3_PNSH_ISM_E10value_typeET4_T5_PSR_SS_PNS1_23onesweep_lookback_stateEbbT6_jjT7_P12ihipStream_tbENKUlT_T0_SG_SL_E_clISA_SA_SB_SB_EEDaSZ_S10_SG_SL_EUlSZ_E_NS1_11comp_targetILNS1_3genE9ELNS1_11target_archE1100ELNS1_3gpuE3ELNS1_3repE0EEENS1_47radix_sort_onesweep_sort_config_static_selectorELNS0_4arch9wavefront6targetE0EEEvSG_, .Lfunc_end142-_ZN7rocprim17ROCPRIM_400000_NS6detail17trampoline_kernelINS0_14default_configENS1_35radix_sort_onesweep_config_selectorIhNS0_10empty_typeEEEZZNS1_29radix_sort_onesweep_iterationIS3_Lb1EPKhPhPS5_SB_mNS0_19identity_decomposerENS1_16block_id_wrapperIjLb0EEEEE10hipError_tT1_PNSt15iterator_traitsISG_E10value_typeET2_T3_PNSH_ISM_E10value_typeET4_T5_PSR_SS_PNS1_23onesweep_lookback_stateEbbT6_jjT7_P12ihipStream_tbENKUlT_T0_SG_SL_E_clISA_SA_SB_SB_EEDaSZ_S10_SG_SL_EUlSZ_E_NS1_11comp_targetILNS1_3genE9ELNS1_11target_archE1100ELNS1_3gpuE3ELNS1_3repE0EEENS1_47radix_sort_onesweep_sort_config_static_selectorELNS0_4arch9wavefront6targetE0EEEvSG_
                                        ; -- End function
	.set _ZN7rocprim17ROCPRIM_400000_NS6detail17trampoline_kernelINS0_14default_configENS1_35radix_sort_onesweep_config_selectorIhNS0_10empty_typeEEEZZNS1_29radix_sort_onesweep_iterationIS3_Lb1EPKhPhPS5_SB_mNS0_19identity_decomposerENS1_16block_id_wrapperIjLb0EEEEE10hipError_tT1_PNSt15iterator_traitsISG_E10value_typeET2_T3_PNSH_ISM_E10value_typeET4_T5_PSR_SS_PNS1_23onesweep_lookback_stateEbbT6_jjT7_P12ihipStream_tbENKUlT_T0_SG_SL_E_clISA_SA_SB_SB_EEDaSZ_S10_SG_SL_EUlSZ_E_NS1_11comp_targetILNS1_3genE9ELNS1_11target_archE1100ELNS1_3gpuE3ELNS1_3repE0EEENS1_47radix_sort_onesweep_sort_config_static_selectorELNS0_4arch9wavefront6targetE0EEEvSG_.num_vgpr, 0
	.set _ZN7rocprim17ROCPRIM_400000_NS6detail17trampoline_kernelINS0_14default_configENS1_35radix_sort_onesweep_config_selectorIhNS0_10empty_typeEEEZZNS1_29radix_sort_onesweep_iterationIS3_Lb1EPKhPhPS5_SB_mNS0_19identity_decomposerENS1_16block_id_wrapperIjLb0EEEEE10hipError_tT1_PNSt15iterator_traitsISG_E10value_typeET2_T3_PNSH_ISM_E10value_typeET4_T5_PSR_SS_PNS1_23onesweep_lookback_stateEbbT6_jjT7_P12ihipStream_tbENKUlT_T0_SG_SL_E_clISA_SA_SB_SB_EEDaSZ_S10_SG_SL_EUlSZ_E_NS1_11comp_targetILNS1_3genE9ELNS1_11target_archE1100ELNS1_3gpuE3ELNS1_3repE0EEENS1_47radix_sort_onesweep_sort_config_static_selectorELNS0_4arch9wavefront6targetE0EEEvSG_.num_agpr, 0
	.set _ZN7rocprim17ROCPRIM_400000_NS6detail17trampoline_kernelINS0_14default_configENS1_35radix_sort_onesweep_config_selectorIhNS0_10empty_typeEEEZZNS1_29radix_sort_onesweep_iterationIS3_Lb1EPKhPhPS5_SB_mNS0_19identity_decomposerENS1_16block_id_wrapperIjLb0EEEEE10hipError_tT1_PNSt15iterator_traitsISG_E10value_typeET2_T3_PNSH_ISM_E10value_typeET4_T5_PSR_SS_PNS1_23onesweep_lookback_stateEbbT6_jjT7_P12ihipStream_tbENKUlT_T0_SG_SL_E_clISA_SA_SB_SB_EEDaSZ_S10_SG_SL_EUlSZ_E_NS1_11comp_targetILNS1_3genE9ELNS1_11target_archE1100ELNS1_3gpuE3ELNS1_3repE0EEENS1_47radix_sort_onesweep_sort_config_static_selectorELNS0_4arch9wavefront6targetE0EEEvSG_.numbered_sgpr, 0
	.set _ZN7rocprim17ROCPRIM_400000_NS6detail17trampoline_kernelINS0_14default_configENS1_35radix_sort_onesweep_config_selectorIhNS0_10empty_typeEEEZZNS1_29radix_sort_onesweep_iterationIS3_Lb1EPKhPhPS5_SB_mNS0_19identity_decomposerENS1_16block_id_wrapperIjLb0EEEEE10hipError_tT1_PNSt15iterator_traitsISG_E10value_typeET2_T3_PNSH_ISM_E10value_typeET4_T5_PSR_SS_PNS1_23onesweep_lookback_stateEbbT6_jjT7_P12ihipStream_tbENKUlT_T0_SG_SL_E_clISA_SA_SB_SB_EEDaSZ_S10_SG_SL_EUlSZ_E_NS1_11comp_targetILNS1_3genE9ELNS1_11target_archE1100ELNS1_3gpuE3ELNS1_3repE0EEENS1_47radix_sort_onesweep_sort_config_static_selectorELNS0_4arch9wavefront6targetE0EEEvSG_.num_named_barrier, 0
	.set _ZN7rocprim17ROCPRIM_400000_NS6detail17trampoline_kernelINS0_14default_configENS1_35radix_sort_onesweep_config_selectorIhNS0_10empty_typeEEEZZNS1_29radix_sort_onesweep_iterationIS3_Lb1EPKhPhPS5_SB_mNS0_19identity_decomposerENS1_16block_id_wrapperIjLb0EEEEE10hipError_tT1_PNSt15iterator_traitsISG_E10value_typeET2_T3_PNSH_ISM_E10value_typeET4_T5_PSR_SS_PNS1_23onesweep_lookback_stateEbbT6_jjT7_P12ihipStream_tbENKUlT_T0_SG_SL_E_clISA_SA_SB_SB_EEDaSZ_S10_SG_SL_EUlSZ_E_NS1_11comp_targetILNS1_3genE9ELNS1_11target_archE1100ELNS1_3gpuE3ELNS1_3repE0EEENS1_47radix_sort_onesweep_sort_config_static_selectorELNS0_4arch9wavefront6targetE0EEEvSG_.private_seg_size, 0
	.set _ZN7rocprim17ROCPRIM_400000_NS6detail17trampoline_kernelINS0_14default_configENS1_35radix_sort_onesweep_config_selectorIhNS0_10empty_typeEEEZZNS1_29radix_sort_onesweep_iterationIS3_Lb1EPKhPhPS5_SB_mNS0_19identity_decomposerENS1_16block_id_wrapperIjLb0EEEEE10hipError_tT1_PNSt15iterator_traitsISG_E10value_typeET2_T3_PNSH_ISM_E10value_typeET4_T5_PSR_SS_PNS1_23onesweep_lookback_stateEbbT6_jjT7_P12ihipStream_tbENKUlT_T0_SG_SL_E_clISA_SA_SB_SB_EEDaSZ_S10_SG_SL_EUlSZ_E_NS1_11comp_targetILNS1_3genE9ELNS1_11target_archE1100ELNS1_3gpuE3ELNS1_3repE0EEENS1_47radix_sort_onesweep_sort_config_static_selectorELNS0_4arch9wavefront6targetE0EEEvSG_.uses_vcc, 0
	.set _ZN7rocprim17ROCPRIM_400000_NS6detail17trampoline_kernelINS0_14default_configENS1_35radix_sort_onesweep_config_selectorIhNS0_10empty_typeEEEZZNS1_29radix_sort_onesweep_iterationIS3_Lb1EPKhPhPS5_SB_mNS0_19identity_decomposerENS1_16block_id_wrapperIjLb0EEEEE10hipError_tT1_PNSt15iterator_traitsISG_E10value_typeET2_T3_PNSH_ISM_E10value_typeET4_T5_PSR_SS_PNS1_23onesweep_lookback_stateEbbT6_jjT7_P12ihipStream_tbENKUlT_T0_SG_SL_E_clISA_SA_SB_SB_EEDaSZ_S10_SG_SL_EUlSZ_E_NS1_11comp_targetILNS1_3genE9ELNS1_11target_archE1100ELNS1_3gpuE3ELNS1_3repE0EEENS1_47radix_sort_onesweep_sort_config_static_selectorELNS0_4arch9wavefront6targetE0EEEvSG_.uses_flat_scratch, 0
	.set _ZN7rocprim17ROCPRIM_400000_NS6detail17trampoline_kernelINS0_14default_configENS1_35radix_sort_onesweep_config_selectorIhNS0_10empty_typeEEEZZNS1_29radix_sort_onesweep_iterationIS3_Lb1EPKhPhPS5_SB_mNS0_19identity_decomposerENS1_16block_id_wrapperIjLb0EEEEE10hipError_tT1_PNSt15iterator_traitsISG_E10value_typeET2_T3_PNSH_ISM_E10value_typeET4_T5_PSR_SS_PNS1_23onesweep_lookback_stateEbbT6_jjT7_P12ihipStream_tbENKUlT_T0_SG_SL_E_clISA_SA_SB_SB_EEDaSZ_S10_SG_SL_EUlSZ_E_NS1_11comp_targetILNS1_3genE9ELNS1_11target_archE1100ELNS1_3gpuE3ELNS1_3repE0EEENS1_47radix_sort_onesweep_sort_config_static_selectorELNS0_4arch9wavefront6targetE0EEEvSG_.has_dyn_sized_stack, 0
	.set _ZN7rocprim17ROCPRIM_400000_NS6detail17trampoline_kernelINS0_14default_configENS1_35radix_sort_onesweep_config_selectorIhNS0_10empty_typeEEEZZNS1_29radix_sort_onesweep_iterationIS3_Lb1EPKhPhPS5_SB_mNS0_19identity_decomposerENS1_16block_id_wrapperIjLb0EEEEE10hipError_tT1_PNSt15iterator_traitsISG_E10value_typeET2_T3_PNSH_ISM_E10value_typeET4_T5_PSR_SS_PNS1_23onesweep_lookback_stateEbbT6_jjT7_P12ihipStream_tbENKUlT_T0_SG_SL_E_clISA_SA_SB_SB_EEDaSZ_S10_SG_SL_EUlSZ_E_NS1_11comp_targetILNS1_3genE9ELNS1_11target_archE1100ELNS1_3gpuE3ELNS1_3repE0EEENS1_47radix_sort_onesweep_sort_config_static_selectorELNS0_4arch9wavefront6targetE0EEEvSG_.has_recursion, 0
	.set _ZN7rocprim17ROCPRIM_400000_NS6detail17trampoline_kernelINS0_14default_configENS1_35radix_sort_onesweep_config_selectorIhNS0_10empty_typeEEEZZNS1_29radix_sort_onesweep_iterationIS3_Lb1EPKhPhPS5_SB_mNS0_19identity_decomposerENS1_16block_id_wrapperIjLb0EEEEE10hipError_tT1_PNSt15iterator_traitsISG_E10value_typeET2_T3_PNSH_ISM_E10value_typeET4_T5_PSR_SS_PNS1_23onesweep_lookback_stateEbbT6_jjT7_P12ihipStream_tbENKUlT_T0_SG_SL_E_clISA_SA_SB_SB_EEDaSZ_S10_SG_SL_EUlSZ_E_NS1_11comp_targetILNS1_3genE9ELNS1_11target_archE1100ELNS1_3gpuE3ELNS1_3repE0EEENS1_47radix_sort_onesweep_sort_config_static_selectorELNS0_4arch9wavefront6targetE0EEEvSG_.has_indirect_call, 0
	.section	.AMDGPU.csdata,"",@progbits
; Kernel info:
; codeLenInByte = 0
; TotalNumSgprs: 0
; NumVgprs: 0
; ScratchSize: 0
; MemoryBound: 0
; FloatMode: 240
; IeeeMode: 1
; LDSByteSize: 0 bytes/workgroup (compile time only)
; SGPRBlocks: 0
; VGPRBlocks: 0
; NumSGPRsForWavesPerEU: 1
; NumVGPRsForWavesPerEU: 1
; NamedBarCnt: 0
; Occupancy: 16
; WaveLimiterHint : 0
; COMPUTE_PGM_RSRC2:SCRATCH_EN: 0
; COMPUTE_PGM_RSRC2:USER_SGPR: 2
; COMPUTE_PGM_RSRC2:TRAP_HANDLER: 0
; COMPUTE_PGM_RSRC2:TGID_X_EN: 1
; COMPUTE_PGM_RSRC2:TGID_Y_EN: 0
; COMPUTE_PGM_RSRC2:TGID_Z_EN: 0
; COMPUTE_PGM_RSRC2:TIDIG_COMP_CNT: 0
	.section	.text._ZN7rocprim17ROCPRIM_400000_NS6detail17trampoline_kernelINS0_14default_configENS1_35radix_sort_onesweep_config_selectorIhNS0_10empty_typeEEEZZNS1_29radix_sort_onesweep_iterationIS3_Lb1EPKhPhPS5_SB_mNS0_19identity_decomposerENS1_16block_id_wrapperIjLb0EEEEE10hipError_tT1_PNSt15iterator_traitsISG_E10value_typeET2_T3_PNSH_ISM_E10value_typeET4_T5_PSR_SS_PNS1_23onesweep_lookback_stateEbbT6_jjT7_P12ihipStream_tbENKUlT_T0_SG_SL_E_clISA_SA_SB_SB_EEDaSZ_S10_SG_SL_EUlSZ_E_NS1_11comp_targetILNS1_3genE8ELNS1_11target_archE1030ELNS1_3gpuE2ELNS1_3repE0EEENS1_47radix_sort_onesweep_sort_config_static_selectorELNS0_4arch9wavefront6targetE0EEEvSG_,"axG",@progbits,_ZN7rocprim17ROCPRIM_400000_NS6detail17trampoline_kernelINS0_14default_configENS1_35radix_sort_onesweep_config_selectorIhNS0_10empty_typeEEEZZNS1_29radix_sort_onesweep_iterationIS3_Lb1EPKhPhPS5_SB_mNS0_19identity_decomposerENS1_16block_id_wrapperIjLb0EEEEE10hipError_tT1_PNSt15iterator_traitsISG_E10value_typeET2_T3_PNSH_ISM_E10value_typeET4_T5_PSR_SS_PNS1_23onesweep_lookback_stateEbbT6_jjT7_P12ihipStream_tbENKUlT_T0_SG_SL_E_clISA_SA_SB_SB_EEDaSZ_S10_SG_SL_EUlSZ_E_NS1_11comp_targetILNS1_3genE8ELNS1_11target_archE1030ELNS1_3gpuE2ELNS1_3repE0EEENS1_47radix_sort_onesweep_sort_config_static_selectorELNS0_4arch9wavefront6targetE0EEEvSG_,comdat
	.protected	_ZN7rocprim17ROCPRIM_400000_NS6detail17trampoline_kernelINS0_14default_configENS1_35radix_sort_onesweep_config_selectorIhNS0_10empty_typeEEEZZNS1_29radix_sort_onesweep_iterationIS3_Lb1EPKhPhPS5_SB_mNS0_19identity_decomposerENS1_16block_id_wrapperIjLb0EEEEE10hipError_tT1_PNSt15iterator_traitsISG_E10value_typeET2_T3_PNSH_ISM_E10value_typeET4_T5_PSR_SS_PNS1_23onesweep_lookback_stateEbbT6_jjT7_P12ihipStream_tbENKUlT_T0_SG_SL_E_clISA_SA_SB_SB_EEDaSZ_S10_SG_SL_EUlSZ_E_NS1_11comp_targetILNS1_3genE8ELNS1_11target_archE1030ELNS1_3gpuE2ELNS1_3repE0EEENS1_47radix_sort_onesweep_sort_config_static_selectorELNS0_4arch9wavefront6targetE0EEEvSG_ ; -- Begin function _ZN7rocprim17ROCPRIM_400000_NS6detail17trampoline_kernelINS0_14default_configENS1_35radix_sort_onesweep_config_selectorIhNS0_10empty_typeEEEZZNS1_29radix_sort_onesweep_iterationIS3_Lb1EPKhPhPS5_SB_mNS0_19identity_decomposerENS1_16block_id_wrapperIjLb0EEEEE10hipError_tT1_PNSt15iterator_traitsISG_E10value_typeET2_T3_PNSH_ISM_E10value_typeET4_T5_PSR_SS_PNS1_23onesweep_lookback_stateEbbT6_jjT7_P12ihipStream_tbENKUlT_T0_SG_SL_E_clISA_SA_SB_SB_EEDaSZ_S10_SG_SL_EUlSZ_E_NS1_11comp_targetILNS1_3genE8ELNS1_11target_archE1030ELNS1_3gpuE2ELNS1_3repE0EEENS1_47radix_sort_onesweep_sort_config_static_selectorELNS0_4arch9wavefront6targetE0EEEvSG_
	.globl	_ZN7rocprim17ROCPRIM_400000_NS6detail17trampoline_kernelINS0_14default_configENS1_35radix_sort_onesweep_config_selectorIhNS0_10empty_typeEEEZZNS1_29radix_sort_onesweep_iterationIS3_Lb1EPKhPhPS5_SB_mNS0_19identity_decomposerENS1_16block_id_wrapperIjLb0EEEEE10hipError_tT1_PNSt15iterator_traitsISG_E10value_typeET2_T3_PNSH_ISM_E10value_typeET4_T5_PSR_SS_PNS1_23onesweep_lookback_stateEbbT6_jjT7_P12ihipStream_tbENKUlT_T0_SG_SL_E_clISA_SA_SB_SB_EEDaSZ_S10_SG_SL_EUlSZ_E_NS1_11comp_targetILNS1_3genE8ELNS1_11target_archE1030ELNS1_3gpuE2ELNS1_3repE0EEENS1_47radix_sort_onesweep_sort_config_static_selectorELNS0_4arch9wavefront6targetE0EEEvSG_
	.p2align	8
	.type	_ZN7rocprim17ROCPRIM_400000_NS6detail17trampoline_kernelINS0_14default_configENS1_35radix_sort_onesweep_config_selectorIhNS0_10empty_typeEEEZZNS1_29radix_sort_onesweep_iterationIS3_Lb1EPKhPhPS5_SB_mNS0_19identity_decomposerENS1_16block_id_wrapperIjLb0EEEEE10hipError_tT1_PNSt15iterator_traitsISG_E10value_typeET2_T3_PNSH_ISM_E10value_typeET4_T5_PSR_SS_PNS1_23onesweep_lookback_stateEbbT6_jjT7_P12ihipStream_tbENKUlT_T0_SG_SL_E_clISA_SA_SB_SB_EEDaSZ_S10_SG_SL_EUlSZ_E_NS1_11comp_targetILNS1_3genE8ELNS1_11target_archE1030ELNS1_3gpuE2ELNS1_3repE0EEENS1_47radix_sort_onesweep_sort_config_static_selectorELNS0_4arch9wavefront6targetE0EEEvSG_,@function
_ZN7rocprim17ROCPRIM_400000_NS6detail17trampoline_kernelINS0_14default_configENS1_35radix_sort_onesweep_config_selectorIhNS0_10empty_typeEEEZZNS1_29radix_sort_onesweep_iterationIS3_Lb1EPKhPhPS5_SB_mNS0_19identity_decomposerENS1_16block_id_wrapperIjLb0EEEEE10hipError_tT1_PNSt15iterator_traitsISG_E10value_typeET2_T3_PNSH_ISM_E10value_typeET4_T5_PSR_SS_PNS1_23onesweep_lookback_stateEbbT6_jjT7_P12ihipStream_tbENKUlT_T0_SG_SL_E_clISA_SA_SB_SB_EEDaSZ_S10_SG_SL_EUlSZ_E_NS1_11comp_targetILNS1_3genE8ELNS1_11target_archE1030ELNS1_3gpuE2ELNS1_3repE0EEENS1_47radix_sort_onesweep_sort_config_static_selectorELNS0_4arch9wavefront6targetE0EEEvSG_: ; @_ZN7rocprim17ROCPRIM_400000_NS6detail17trampoline_kernelINS0_14default_configENS1_35radix_sort_onesweep_config_selectorIhNS0_10empty_typeEEEZZNS1_29radix_sort_onesweep_iterationIS3_Lb1EPKhPhPS5_SB_mNS0_19identity_decomposerENS1_16block_id_wrapperIjLb0EEEEE10hipError_tT1_PNSt15iterator_traitsISG_E10value_typeET2_T3_PNSH_ISM_E10value_typeET4_T5_PSR_SS_PNS1_23onesweep_lookback_stateEbbT6_jjT7_P12ihipStream_tbENKUlT_T0_SG_SL_E_clISA_SA_SB_SB_EEDaSZ_S10_SG_SL_EUlSZ_E_NS1_11comp_targetILNS1_3genE8ELNS1_11target_archE1030ELNS1_3gpuE2ELNS1_3repE0EEENS1_47radix_sort_onesweep_sort_config_static_selectorELNS0_4arch9wavefront6targetE0EEEvSG_
; %bb.0:
	.section	.rodata,"a",@progbits
	.p2align	6, 0x0
	.amdhsa_kernel _ZN7rocprim17ROCPRIM_400000_NS6detail17trampoline_kernelINS0_14default_configENS1_35radix_sort_onesweep_config_selectorIhNS0_10empty_typeEEEZZNS1_29radix_sort_onesweep_iterationIS3_Lb1EPKhPhPS5_SB_mNS0_19identity_decomposerENS1_16block_id_wrapperIjLb0EEEEE10hipError_tT1_PNSt15iterator_traitsISG_E10value_typeET2_T3_PNSH_ISM_E10value_typeET4_T5_PSR_SS_PNS1_23onesweep_lookback_stateEbbT6_jjT7_P12ihipStream_tbENKUlT_T0_SG_SL_E_clISA_SA_SB_SB_EEDaSZ_S10_SG_SL_EUlSZ_E_NS1_11comp_targetILNS1_3genE8ELNS1_11target_archE1030ELNS1_3gpuE2ELNS1_3repE0EEENS1_47radix_sort_onesweep_sort_config_static_selectorELNS0_4arch9wavefront6targetE0EEEvSG_
		.amdhsa_group_segment_fixed_size 0
		.amdhsa_private_segment_fixed_size 0
		.amdhsa_kernarg_size 88
		.amdhsa_user_sgpr_count 2
		.amdhsa_user_sgpr_dispatch_ptr 0
		.amdhsa_user_sgpr_queue_ptr 0
		.amdhsa_user_sgpr_kernarg_segment_ptr 1
		.amdhsa_user_sgpr_dispatch_id 0
		.amdhsa_user_sgpr_kernarg_preload_length 0
		.amdhsa_user_sgpr_kernarg_preload_offset 0
		.amdhsa_user_sgpr_private_segment_size 0
		.amdhsa_wavefront_size32 1
		.amdhsa_uses_dynamic_stack 0
		.amdhsa_enable_private_segment 0
		.amdhsa_system_sgpr_workgroup_id_x 1
		.amdhsa_system_sgpr_workgroup_id_y 0
		.amdhsa_system_sgpr_workgroup_id_z 0
		.amdhsa_system_sgpr_workgroup_info 0
		.amdhsa_system_vgpr_workitem_id 0
		.amdhsa_next_free_vgpr 1
		.amdhsa_next_free_sgpr 1
		.amdhsa_named_barrier_count 0
		.amdhsa_reserve_vcc 0
		.amdhsa_float_round_mode_32 0
		.amdhsa_float_round_mode_16_64 0
		.amdhsa_float_denorm_mode_32 3
		.amdhsa_float_denorm_mode_16_64 3
		.amdhsa_fp16_overflow 0
		.amdhsa_memory_ordered 1
		.amdhsa_forward_progress 1
		.amdhsa_inst_pref_size 0
		.amdhsa_round_robin_scheduling 0
		.amdhsa_exception_fp_ieee_invalid_op 0
		.amdhsa_exception_fp_denorm_src 0
		.amdhsa_exception_fp_ieee_div_zero 0
		.amdhsa_exception_fp_ieee_overflow 0
		.amdhsa_exception_fp_ieee_underflow 0
		.amdhsa_exception_fp_ieee_inexact 0
		.amdhsa_exception_int_div_zero 0
	.end_amdhsa_kernel
	.section	.text._ZN7rocprim17ROCPRIM_400000_NS6detail17trampoline_kernelINS0_14default_configENS1_35radix_sort_onesweep_config_selectorIhNS0_10empty_typeEEEZZNS1_29radix_sort_onesweep_iterationIS3_Lb1EPKhPhPS5_SB_mNS0_19identity_decomposerENS1_16block_id_wrapperIjLb0EEEEE10hipError_tT1_PNSt15iterator_traitsISG_E10value_typeET2_T3_PNSH_ISM_E10value_typeET4_T5_PSR_SS_PNS1_23onesweep_lookback_stateEbbT6_jjT7_P12ihipStream_tbENKUlT_T0_SG_SL_E_clISA_SA_SB_SB_EEDaSZ_S10_SG_SL_EUlSZ_E_NS1_11comp_targetILNS1_3genE8ELNS1_11target_archE1030ELNS1_3gpuE2ELNS1_3repE0EEENS1_47radix_sort_onesweep_sort_config_static_selectorELNS0_4arch9wavefront6targetE0EEEvSG_,"axG",@progbits,_ZN7rocprim17ROCPRIM_400000_NS6detail17trampoline_kernelINS0_14default_configENS1_35radix_sort_onesweep_config_selectorIhNS0_10empty_typeEEEZZNS1_29radix_sort_onesweep_iterationIS3_Lb1EPKhPhPS5_SB_mNS0_19identity_decomposerENS1_16block_id_wrapperIjLb0EEEEE10hipError_tT1_PNSt15iterator_traitsISG_E10value_typeET2_T3_PNSH_ISM_E10value_typeET4_T5_PSR_SS_PNS1_23onesweep_lookback_stateEbbT6_jjT7_P12ihipStream_tbENKUlT_T0_SG_SL_E_clISA_SA_SB_SB_EEDaSZ_S10_SG_SL_EUlSZ_E_NS1_11comp_targetILNS1_3genE8ELNS1_11target_archE1030ELNS1_3gpuE2ELNS1_3repE0EEENS1_47radix_sort_onesweep_sort_config_static_selectorELNS0_4arch9wavefront6targetE0EEEvSG_,comdat
.Lfunc_end143:
	.size	_ZN7rocprim17ROCPRIM_400000_NS6detail17trampoline_kernelINS0_14default_configENS1_35radix_sort_onesweep_config_selectorIhNS0_10empty_typeEEEZZNS1_29radix_sort_onesweep_iterationIS3_Lb1EPKhPhPS5_SB_mNS0_19identity_decomposerENS1_16block_id_wrapperIjLb0EEEEE10hipError_tT1_PNSt15iterator_traitsISG_E10value_typeET2_T3_PNSH_ISM_E10value_typeET4_T5_PSR_SS_PNS1_23onesweep_lookback_stateEbbT6_jjT7_P12ihipStream_tbENKUlT_T0_SG_SL_E_clISA_SA_SB_SB_EEDaSZ_S10_SG_SL_EUlSZ_E_NS1_11comp_targetILNS1_3genE8ELNS1_11target_archE1030ELNS1_3gpuE2ELNS1_3repE0EEENS1_47radix_sort_onesweep_sort_config_static_selectorELNS0_4arch9wavefront6targetE0EEEvSG_, .Lfunc_end143-_ZN7rocprim17ROCPRIM_400000_NS6detail17trampoline_kernelINS0_14default_configENS1_35radix_sort_onesweep_config_selectorIhNS0_10empty_typeEEEZZNS1_29radix_sort_onesweep_iterationIS3_Lb1EPKhPhPS5_SB_mNS0_19identity_decomposerENS1_16block_id_wrapperIjLb0EEEEE10hipError_tT1_PNSt15iterator_traitsISG_E10value_typeET2_T3_PNSH_ISM_E10value_typeET4_T5_PSR_SS_PNS1_23onesweep_lookback_stateEbbT6_jjT7_P12ihipStream_tbENKUlT_T0_SG_SL_E_clISA_SA_SB_SB_EEDaSZ_S10_SG_SL_EUlSZ_E_NS1_11comp_targetILNS1_3genE8ELNS1_11target_archE1030ELNS1_3gpuE2ELNS1_3repE0EEENS1_47radix_sort_onesweep_sort_config_static_selectorELNS0_4arch9wavefront6targetE0EEEvSG_
                                        ; -- End function
	.set _ZN7rocprim17ROCPRIM_400000_NS6detail17trampoline_kernelINS0_14default_configENS1_35radix_sort_onesweep_config_selectorIhNS0_10empty_typeEEEZZNS1_29radix_sort_onesweep_iterationIS3_Lb1EPKhPhPS5_SB_mNS0_19identity_decomposerENS1_16block_id_wrapperIjLb0EEEEE10hipError_tT1_PNSt15iterator_traitsISG_E10value_typeET2_T3_PNSH_ISM_E10value_typeET4_T5_PSR_SS_PNS1_23onesweep_lookback_stateEbbT6_jjT7_P12ihipStream_tbENKUlT_T0_SG_SL_E_clISA_SA_SB_SB_EEDaSZ_S10_SG_SL_EUlSZ_E_NS1_11comp_targetILNS1_3genE8ELNS1_11target_archE1030ELNS1_3gpuE2ELNS1_3repE0EEENS1_47radix_sort_onesweep_sort_config_static_selectorELNS0_4arch9wavefront6targetE0EEEvSG_.num_vgpr, 0
	.set _ZN7rocprim17ROCPRIM_400000_NS6detail17trampoline_kernelINS0_14default_configENS1_35radix_sort_onesweep_config_selectorIhNS0_10empty_typeEEEZZNS1_29radix_sort_onesweep_iterationIS3_Lb1EPKhPhPS5_SB_mNS0_19identity_decomposerENS1_16block_id_wrapperIjLb0EEEEE10hipError_tT1_PNSt15iterator_traitsISG_E10value_typeET2_T3_PNSH_ISM_E10value_typeET4_T5_PSR_SS_PNS1_23onesweep_lookback_stateEbbT6_jjT7_P12ihipStream_tbENKUlT_T0_SG_SL_E_clISA_SA_SB_SB_EEDaSZ_S10_SG_SL_EUlSZ_E_NS1_11comp_targetILNS1_3genE8ELNS1_11target_archE1030ELNS1_3gpuE2ELNS1_3repE0EEENS1_47radix_sort_onesweep_sort_config_static_selectorELNS0_4arch9wavefront6targetE0EEEvSG_.num_agpr, 0
	.set _ZN7rocprim17ROCPRIM_400000_NS6detail17trampoline_kernelINS0_14default_configENS1_35radix_sort_onesweep_config_selectorIhNS0_10empty_typeEEEZZNS1_29radix_sort_onesweep_iterationIS3_Lb1EPKhPhPS5_SB_mNS0_19identity_decomposerENS1_16block_id_wrapperIjLb0EEEEE10hipError_tT1_PNSt15iterator_traitsISG_E10value_typeET2_T3_PNSH_ISM_E10value_typeET4_T5_PSR_SS_PNS1_23onesweep_lookback_stateEbbT6_jjT7_P12ihipStream_tbENKUlT_T0_SG_SL_E_clISA_SA_SB_SB_EEDaSZ_S10_SG_SL_EUlSZ_E_NS1_11comp_targetILNS1_3genE8ELNS1_11target_archE1030ELNS1_3gpuE2ELNS1_3repE0EEENS1_47radix_sort_onesweep_sort_config_static_selectorELNS0_4arch9wavefront6targetE0EEEvSG_.numbered_sgpr, 0
	.set _ZN7rocprim17ROCPRIM_400000_NS6detail17trampoline_kernelINS0_14default_configENS1_35radix_sort_onesweep_config_selectorIhNS0_10empty_typeEEEZZNS1_29radix_sort_onesweep_iterationIS3_Lb1EPKhPhPS5_SB_mNS0_19identity_decomposerENS1_16block_id_wrapperIjLb0EEEEE10hipError_tT1_PNSt15iterator_traitsISG_E10value_typeET2_T3_PNSH_ISM_E10value_typeET4_T5_PSR_SS_PNS1_23onesweep_lookback_stateEbbT6_jjT7_P12ihipStream_tbENKUlT_T0_SG_SL_E_clISA_SA_SB_SB_EEDaSZ_S10_SG_SL_EUlSZ_E_NS1_11comp_targetILNS1_3genE8ELNS1_11target_archE1030ELNS1_3gpuE2ELNS1_3repE0EEENS1_47radix_sort_onesweep_sort_config_static_selectorELNS0_4arch9wavefront6targetE0EEEvSG_.num_named_barrier, 0
	.set _ZN7rocprim17ROCPRIM_400000_NS6detail17trampoline_kernelINS0_14default_configENS1_35radix_sort_onesweep_config_selectorIhNS0_10empty_typeEEEZZNS1_29radix_sort_onesweep_iterationIS3_Lb1EPKhPhPS5_SB_mNS0_19identity_decomposerENS1_16block_id_wrapperIjLb0EEEEE10hipError_tT1_PNSt15iterator_traitsISG_E10value_typeET2_T3_PNSH_ISM_E10value_typeET4_T5_PSR_SS_PNS1_23onesweep_lookback_stateEbbT6_jjT7_P12ihipStream_tbENKUlT_T0_SG_SL_E_clISA_SA_SB_SB_EEDaSZ_S10_SG_SL_EUlSZ_E_NS1_11comp_targetILNS1_3genE8ELNS1_11target_archE1030ELNS1_3gpuE2ELNS1_3repE0EEENS1_47radix_sort_onesweep_sort_config_static_selectorELNS0_4arch9wavefront6targetE0EEEvSG_.private_seg_size, 0
	.set _ZN7rocprim17ROCPRIM_400000_NS6detail17trampoline_kernelINS0_14default_configENS1_35radix_sort_onesweep_config_selectorIhNS0_10empty_typeEEEZZNS1_29radix_sort_onesweep_iterationIS3_Lb1EPKhPhPS5_SB_mNS0_19identity_decomposerENS1_16block_id_wrapperIjLb0EEEEE10hipError_tT1_PNSt15iterator_traitsISG_E10value_typeET2_T3_PNSH_ISM_E10value_typeET4_T5_PSR_SS_PNS1_23onesweep_lookback_stateEbbT6_jjT7_P12ihipStream_tbENKUlT_T0_SG_SL_E_clISA_SA_SB_SB_EEDaSZ_S10_SG_SL_EUlSZ_E_NS1_11comp_targetILNS1_3genE8ELNS1_11target_archE1030ELNS1_3gpuE2ELNS1_3repE0EEENS1_47radix_sort_onesweep_sort_config_static_selectorELNS0_4arch9wavefront6targetE0EEEvSG_.uses_vcc, 0
	.set _ZN7rocprim17ROCPRIM_400000_NS6detail17trampoline_kernelINS0_14default_configENS1_35radix_sort_onesweep_config_selectorIhNS0_10empty_typeEEEZZNS1_29radix_sort_onesweep_iterationIS3_Lb1EPKhPhPS5_SB_mNS0_19identity_decomposerENS1_16block_id_wrapperIjLb0EEEEE10hipError_tT1_PNSt15iterator_traitsISG_E10value_typeET2_T3_PNSH_ISM_E10value_typeET4_T5_PSR_SS_PNS1_23onesweep_lookback_stateEbbT6_jjT7_P12ihipStream_tbENKUlT_T0_SG_SL_E_clISA_SA_SB_SB_EEDaSZ_S10_SG_SL_EUlSZ_E_NS1_11comp_targetILNS1_3genE8ELNS1_11target_archE1030ELNS1_3gpuE2ELNS1_3repE0EEENS1_47radix_sort_onesweep_sort_config_static_selectorELNS0_4arch9wavefront6targetE0EEEvSG_.uses_flat_scratch, 0
	.set _ZN7rocprim17ROCPRIM_400000_NS6detail17trampoline_kernelINS0_14default_configENS1_35radix_sort_onesweep_config_selectorIhNS0_10empty_typeEEEZZNS1_29radix_sort_onesweep_iterationIS3_Lb1EPKhPhPS5_SB_mNS0_19identity_decomposerENS1_16block_id_wrapperIjLb0EEEEE10hipError_tT1_PNSt15iterator_traitsISG_E10value_typeET2_T3_PNSH_ISM_E10value_typeET4_T5_PSR_SS_PNS1_23onesweep_lookback_stateEbbT6_jjT7_P12ihipStream_tbENKUlT_T0_SG_SL_E_clISA_SA_SB_SB_EEDaSZ_S10_SG_SL_EUlSZ_E_NS1_11comp_targetILNS1_3genE8ELNS1_11target_archE1030ELNS1_3gpuE2ELNS1_3repE0EEENS1_47radix_sort_onesweep_sort_config_static_selectorELNS0_4arch9wavefront6targetE0EEEvSG_.has_dyn_sized_stack, 0
	.set _ZN7rocprim17ROCPRIM_400000_NS6detail17trampoline_kernelINS0_14default_configENS1_35radix_sort_onesweep_config_selectorIhNS0_10empty_typeEEEZZNS1_29radix_sort_onesweep_iterationIS3_Lb1EPKhPhPS5_SB_mNS0_19identity_decomposerENS1_16block_id_wrapperIjLb0EEEEE10hipError_tT1_PNSt15iterator_traitsISG_E10value_typeET2_T3_PNSH_ISM_E10value_typeET4_T5_PSR_SS_PNS1_23onesweep_lookback_stateEbbT6_jjT7_P12ihipStream_tbENKUlT_T0_SG_SL_E_clISA_SA_SB_SB_EEDaSZ_S10_SG_SL_EUlSZ_E_NS1_11comp_targetILNS1_3genE8ELNS1_11target_archE1030ELNS1_3gpuE2ELNS1_3repE0EEENS1_47radix_sort_onesweep_sort_config_static_selectorELNS0_4arch9wavefront6targetE0EEEvSG_.has_recursion, 0
	.set _ZN7rocprim17ROCPRIM_400000_NS6detail17trampoline_kernelINS0_14default_configENS1_35radix_sort_onesweep_config_selectorIhNS0_10empty_typeEEEZZNS1_29radix_sort_onesweep_iterationIS3_Lb1EPKhPhPS5_SB_mNS0_19identity_decomposerENS1_16block_id_wrapperIjLb0EEEEE10hipError_tT1_PNSt15iterator_traitsISG_E10value_typeET2_T3_PNSH_ISM_E10value_typeET4_T5_PSR_SS_PNS1_23onesweep_lookback_stateEbbT6_jjT7_P12ihipStream_tbENKUlT_T0_SG_SL_E_clISA_SA_SB_SB_EEDaSZ_S10_SG_SL_EUlSZ_E_NS1_11comp_targetILNS1_3genE8ELNS1_11target_archE1030ELNS1_3gpuE2ELNS1_3repE0EEENS1_47radix_sort_onesweep_sort_config_static_selectorELNS0_4arch9wavefront6targetE0EEEvSG_.has_indirect_call, 0
	.section	.AMDGPU.csdata,"",@progbits
; Kernel info:
; codeLenInByte = 0
; TotalNumSgprs: 0
; NumVgprs: 0
; ScratchSize: 0
; MemoryBound: 0
; FloatMode: 240
; IeeeMode: 1
; LDSByteSize: 0 bytes/workgroup (compile time only)
; SGPRBlocks: 0
; VGPRBlocks: 0
; NumSGPRsForWavesPerEU: 1
; NumVGPRsForWavesPerEU: 1
; NamedBarCnt: 0
; Occupancy: 16
; WaveLimiterHint : 0
; COMPUTE_PGM_RSRC2:SCRATCH_EN: 0
; COMPUTE_PGM_RSRC2:USER_SGPR: 2
; COMPUTE_PGM_RSRC2:TRAP_HANDLER: 0
; COMPUTE_PGM_RSRC2:TGID_X_EN: 1
; COMPUTE_PGM_RSRC2:TGID_Y_EN: 0
; COMPUTE_PGM_RSRC2:TGID_Z_EN: 0
; COMPUTE_PGM_RSRC2:TIDIG_COMP_CNT: 0
	.section	.text._ZN7rocprim17ROCPRIM_400000_NS6detail17trampoline_kernelINS0_13kernel_configILj256ELj4ELj4294967295EEENS1_37radix_sort_block_sort_config_selectorIhNS0_10empty_typeEEEZNS1_21radix_sort_block_sortIS4_Lb0EPKhPhPS6_SC_NS0_19identity_decomposerEEE10hipError_tT1_T2_T3_T4_jRjT5_jjP12ihipStream_tbEUlT_E_NS1_11comp_targetILNS1_3genE0ELNS1_11target_archE4294967295ELNS1_3gpuE0ELNS1_3repE0EEENS1_44radix_sort_block_sort_config_static_selectorELNS0_4arch9wavefront6targetE0EEEvSF_,"axG",@progbits,_ZN7rocprim17ROCPRIM_400000_NS6detail17trampoline_kernelINS0_13kernel_configILj256ELj4ELj4294967295EEENS1_37radix_sort_block_sort_config_selectorIhNS0_10empty_typeEEEZNS1_21radix_sort_block_sortIS4_Lb0EPKhPhPS6_SC_NS0_19identity_decomposerEEE10hipError_tT1_T2_T3_T4_jRjT5_jjP12ihipStream_tbEUlT_E_NS1_11comp_targetILNS1_3genE0ELNS1_11target_archE4294967295ELNS1_3gpuE0ELNS1_3repE0EEENS1_44radix_sort_block_sort_config_static_selectorELNS0_4arch9wavefront6targetE0EEEvSF_,comdat
	.protected	_ZN7rocprim17ROCPRIM_400000_NS6detail17trampoline_kernelINS0_13kernel_configILj256ELj4ELj4294967295EEENS1_37radix_sort_block_sort_config_selectorIhNS0_10empty_typeEEEZNS1_21radix_sort_block_sortIS4_Lb0EPKhPhPS6_SC_NS0_19identity_decomposerEEE10hipError_tT1_T2_T3_T4_jRjT5_jjP12ihipStream_tbEUlT_E_NS1_11comp_targetILNS1_3genE0ELNS1_11target_archE4294967295ELNS1_3gpuE0ELNS1_3repE0EEENS1_44radix_sort_block_sort_config_static_selectorELNS0_4arch9wavefront6targetE0EEEvSF_ ; -- Begin function _ZN7rocprim17ROCPRIM_400000_NS6detail17trampoline_kernelINS0_13kernel_configILj256ELj4ELj4294967295EEENS1_37radix_sort_block_sort_config_selectorIhNS0_10empty_typeEEEZNS1_21radix_sort_block_sortIS4_Lb0EPKhPhPS6_SC_NS0_19identity_decomposerEEE10hipError_tT1_T2_T3_T4_jRjT5_jjP12ihipStream_tbEUlT_E_NS1_11comp_targetILNS1_3genE0ELNS1_11target_archE4294967295ELNS1_3gpuE0ELNS1_3repE0EEENS1_44radix_sort_block_sort_config_static_selectorELNS0_4arch9wavefront6targetE0EEEvSF_
	.globl	_ZN7rocprim17ROCPRIM_400000_NS6detail17trampoline_kernelINS0_13kernel_configILj256ELj4ELj4294967295EEENS1_37radix_sort_block_sort_config_selectorIhNS0_10empty_typeEEEZNS1_21radix_sort_block_sortIS4_Lb0EPKhPhPS6_SC_NS0_19identity_decomposerEEE10hipError_tT1_T2_T3_T4_jRjT5_jjP12ihipStream_tbEUlT_E_NS1_11comp_targetILNS1_3genE0ELNS1_11target_archE4294967295ELNS1_3gpuE0ELNS1_3repE0EEENS1_44radix_sort_block_sort_config_static_selectorELNS0_4arch9wavefront6targetE0EEEvSF_
	.p2align	8
	.type	_ZN7rocprim17ROCPRIM_400000_NS6detail17trampoline_kernelINS0_13kernel_configILj256ELj4ELj4294967295EEENS1_37radix_sort_block_sort_config_selectorIhNS0_10empty_typeEEEZNS1_21radix_sort_block_sortIS4_Lb0EPKhPhPS6_SC_NS0_19identity_decomposerEEE10hipError_tT1_T2_T3_T4_jRjT5_jjP12ihipStream_tbEUlT_E_NS1_11comp_targetILNS1_3genE0ELNS1_11target_archE4294967295ELNS1_3gpuE0ELNS1_3repE0EEENS1_44radix_sort_block_sort_config_static_selectorELNS0_4arch9wavefront6targetE0EEEvSF_,@function
_ZN7rocprim17ROCPRIM_400000_NS6detail17trampoline_kernelINS0_13kernel_configILj256ELj4ELj4294967295EEENS1_37radix_sort_block_sort_config_selectorIhNS0_10empty_typeEEEZNS1_21radix_sort_block_sortIS4_Lb0EPKhPhPS6_SC_NS0_19identity_decomposerEEE10hipError_tT1_T2_T3_T4_jRjT5_jjP12ihipStream_tbEUlT_E_NS1_11comp_targetILNS1_3genE0ELNS1_11target_archE4294967295ELNS1_3gpuE0ELNS1_3repE0EEENS1_44radix_sort_block_sort_config_static_selectorELNS0_4arch9wavefront6targetE0EEEvSF_: ; @_ZN7rocprim17ROCPRIM_400000_NS6detail17trampoline_kernelINS0_13kernel_configILj256ELj4ELj4294967295EEENS1_37radix_sort_block_sort_config_selectorIhNS0_10empty_typeEEEZNS1_21radix_sort_block_sortIS4_Lb0EPKhPhPS6_SC_NS0_19identity_decomposerEEE10hipError_tT1_T2_T3_T4_jRjT5_jjP12ihipStream_tbEUlT_E_NS1_11comp_targetILNS1_3genE0ELNS1_11target_archE4294967295ELNS1_3gpuE0ELNS1_3repE0EEENS1_44radix_sort_block_sort_config_static_selectorELNS0_4arch9wavefront6targetE0EEEvSF_
; %bb.0:
	s_clause 0x1
	s_load_b128 s[16:19], s[0:1], 0x0
	s_load_b32 s2, s[0:1], 0x20
	s_bfe_u32 s3, ttmp6, 0x4000c
	s_and_b32 s4, ttmp6, 15
	s_add_co_i32 s3, s3, 1
	s_getreg_b32 s5, hwreg(HW_REG_IB_STS2, 6, 4)
	s_mul_i32 s3, ttmp9, s3
	v_and_b32_e32 v8, 0x3ff, v0
	s_add_co_i32 s4, s4, s3
	s_cmp_eq_u32 s5, 0
	v_mbcnt_lo_u32_b32 v2, -1, 0
	s_cselect_b32 s3, ttmp9, s4
	v_dual_mov_b32 v3, 0 :: v_dual_lshlrev_b32 v1, 2, v8
	s_mov_b32 s21, 0
	s_lshl_b32 s20, s3, 10
	s_delay_alu instid0(VALU_DEP_1) | instskip(NEXT) | instid1(VALU_DEP_2)
	v_mov_b32_e32 v5, v3
	v_and_b32_e32 v4, 0x380, v1
	s_wait_kmcnt 0x0
	s_add_nc_u64 s[4:5], s[16:17], s[20:21]
	s_delay_alu instid0(SALU_CYCLE_1) | instskip(SKIP_1) | instid1(SALU_CYCLE_1)
	v_add_nc_u64_e32 v[6:7], s[4:5], v[2:3]
	s_lshr_b32 s4, s2, 10
	s_cmp_lg_u32 s3, s4
	s_cselect_b32 s25, -1, 0
	s_cmp_eq_u32 s3, s4
	s_delay_alu instid0(VALU_DEP_1)
	v_add_nc_u64_e32 v[6:7], v[6:7], v[4:5]
	s_mov_b32 s4, -1
	s_cbranch_scc1 .LBB144_2
; %bb.1:
	s_clause 0x2
	global_load_u8 v15, v[6:7], off offset:64
	global_load_u8 v14, v[6:7], off offset:32
	global_load_u8 v9, v[6:7], off
	s_mov_b32 s3, -1
	s_load_b64 s[22:23], s[0:1], 0x28
	s_sub_co_i32 s24, s2, s20
                                        ; implicit-def: $vgpr16
	s_cbranch_execnz .LBB144_10
	s_branch .LBB144_3
.LBB144_2:
	s_mov_b32 s3, s21
                                        ; implicit-def: $vgpr9
                                        ; implicit-def: $vgpr14
                                        ; implicit-def: $vgpr15
	s_load_b64 s[22:23], s[0:1], 0x28
	s_and_not1_b32 vcc_lo, exec_lo, s4
	s_sub_co_i32 s24, s2, s20
                                        ; implicit-def: $vgpr16
	s_cbranch_vccnz .LBB144_10
.LBB144_3:
	v_or_b32_e32 v1, v2, v4
	s_wait_loadcnt 0x0
	v_dual_mov_b32 v16, 0xff :: v_dual_mov_b32 v9, 0xff
	v_dual_mov_b32 v14, 0xff :: v_dual_mov_b32 v15, 0xff
	s_mov_b32 s2, exec_lo
	v_cmpx_gt_u32_e64 s24, v1
	s_cbranch_execz .LBB144_5
; %bb.4:
	global_load_u8 v9, v[6:7], off
	v_dual_mov_b32 v16, 0xff :: v_dual_mov_b32 v15, 0xff
	v_mov_b32_e32 v14, 0xff
.LBB144_5:
	s_wait_xcnt 0x0
	s_or_b32 exec_lo, exec_lo, s2
	v_or_b32_e32 v3, 32, v1
	s_mov_b32 s2, exec_lo
	s_delay_alu instid0(VALU_DEP_1)
	v_cmpx_gt_u32_e64 s24, v3
	s_cbranch_execz .LBB144_7
; %bb.6:
	global_load_u8 v14, v[6:7], off offset:32
.LBB144_7:
	s_wait_xcnt 0x0
	s_or_b32 exec_lo, exec_lo, s2
	v_or_b32_e32 v3, 64, v1
	s_mov_b32 s2, exec_lo
	s_delay_alu instid0(VALU_DEP_1)
	v_cmpx_gt_u32_e64 s24, v3
	s_cbranch_execz .LBB144_9
; %bb.8:
	global_load_u8 v15, v[6:7], off offset:64
.LBB144_9:
	s_wait_xcnt 0x0
	s_or_b32 exec_lo, exec_lo, s2
	v_or_b32_e32 v1, 0x60, v1
	s_delay_alu instid0(VALU_DEP_1)
	v_cmp_gt_u32_e64 s3, s24, v1
.LBB144_10:
	s_delay_alu instid0(VALU_DEP_1)
	s_and_saveexec_b32 s2, s3
	s_cbranch_execz .LBB144_12
; %bb.11:
	global_load_u8 v16, v[6:7], off offset:96
.LBB144_12:
	s_wait_xcnt 0x0
	s_or_b32 exec_lo, exec_lo, s2
	s_load_b32 s8, s[0:1], 0x3c
	v_bfe_u32 v1, v0, 10, 10
	v_bfe_u32 v0, v0, 20, 10
	s_mov_b32 s6, 0
	s_get_pc_i64 s[4:5]
	s_add_nc_u64 s[4:5], s[4:5], _ZN7rocprim17ROCPRIM_400000_NS16block_radix_sortIhLj256ELj4ENS0_10empty_typeELj1ELj1ELj0ELNS0_26block_radix_rank_algorithmE1ELNS0_18block_padding_hintE2ELNS0_4arch9wavefront6targetE0EE19radix_bits_per_passE@rel64+4
	s_mov_b32 s7, s6
	s_mov_b32 s14, s6
	;; [unrolled: 1-line block ×3, first 2 shown]
	v_mov_b64_e32 v[10:11], s[6:7]
	v_and_b32_e32 v6, 0x3e0, v8
	v_sub_co_u32 v7, s2, v2, 1
	s_load_b32 s26, s[4:5], 0x0
	v_dual_lshlrev_b32 v17, 5, v8 :: v_dual_bitop2_b32 v3, 15, v2 bitop3:0x40
	v_dual_lshrrev_b32 v12, 3, v8 :: v_dual_bitop2_b32 v5, 16, v2 bitop3:0x40
	v_cmp_gt_i32_e32 vcc_lo, 0, v7
	v_and_b32_e32 v13, 7, v2
	v_mul_i32_i24_e32 v22, 0xffffffe4, v8
	s_wait_kmcnt 0x0
	s_lshr_b32 s9, s8, 16
	s_and_b32 s6, s8, 0xffff
	v_mad_u32_u24 v0, v0, s9, v1
	v_min_u32_e32 v1, 0xe0, v6
	v_cmp_eq_u32_e64 s4, 0, v3
	v_cmp_lt_u32_e64 s5, 1, v3
	v_cmp_lt_u32_e64 s7, 7, v3
	v_mad_u32 v0, v0, s6, v8
	v_cmp_lt_u32_e64 s6, 3, v3
	v_cndmask_b32_e32 v3, v7, v2, vcc_lo
	v_and_b32_e32 v18, 0x7c, v12
	v_or_b32_e32 v1, 31, v1
	v_cmp_eq_u32_e64 s9, 0, v13
	v_cmp_lt_u32_e64 s10, 1, v13
	v_cmp_lt_u32_e64 s11, 3, v13
	v_mov_b64_e32 v[12:13], s[14:15]
	v_cmp_gt_u32_e64 s0, 8, v8
	v_cmp_lt_u32_e64 s1, 31, v8
	v_lshrrev_b32_e32 v0, 3, v0
	v_cmp_eq_u32_e64 s3, 0, v8
	v_cmp_eq_u32_e64 s8, 0, v5
	v_dual_lshlrev_b32 v19, 2, v3 :: v_dual_add_nc_u32 v20, -4, v18
	v_cmp_eq_u32_e64 s12, v8, v1
	v_and_b32_e32 v21, 0x1ffffffc, v0
	v_dual_add_nc_u32 v22, v17, v22 :: v_dual_add_nc_u32 v23, v2, v4
	s_add_co_i32 s27, s23, s22
	s_branch .LBB144_14
.LBB144_13:                             ;   in Loop: Header=BB144_14 Depth=1
	s_and_not1_b32 vcc_lo, exec_lo, s13
	s_cbranch_vccz .LBB144_30
.LBB144_14:                             ; =>This Inner Loop Header: Depth=1
	s_wait_loadcnt 0x0
	v_and_b32_e32 v0, 0xff, v9
	s_min_u32 s13, s26, s23
	ds_store_2addr_b64 v17, v[10:11], v[12:13] offset0:4 offset1:5
	ds_store_2addr_b64 v17, v[10:11], v[12:13] offset0:6 offset1:7
	s_lshl_b32 s28, -1, s13
	s_wait_dscnt 0x0
	v_lshrrev_b32_e32 v0, s22, v0
	s_barrier_signal -1
	s_barrier_wait -1
	s_delay_alu instid0(VALU_DEP_1) | instskip(NEXT) | instid1(VALU_DEP_1)
	v_bitop3_b32 v2, v0, s28, v0 bitop3:0x30
	; wave barrier
	v_lshlrev_b32_e32 v3, 30, v2
	v_bitop3_b32 v1, v0, 1, s28 bitop3:0x40
	v_dual_lshlrev_b32 v4, 29, v2 :: v_dual_lshlrev_b32 v5, 28, v2
	v_dual_lshlrev_b32 v6, 27, v2 :: v_dual_lshlrev_b32 v7, 26, v2
	s_delay_alu instid0(VALU_DEP_3) | instskip(NEXT) | instid1(VALU_DEP_1)
	v_add_co_u32 v0, s13, v1, -1
	v_cndmask_b32_e64 v1, 0, 1, s13
	v_cmp_gt_i32_e64 s13, 0, v3
	v_cmp_gt_i32_e64 s14, 0, v4
	v_dual_lshlrev_b32 v24, 25, v2 :: v_dual_lshlrev_b32 v25, 24, v2
	s_delay_alu instid0(VALU_DEP_4)
	v_cmp_ne_u32_e32 vcc_lo, 0, v1
	v_not_b32_e32 v1, v3
	v_not_b32_e32 v3, v4
	;; [unrolled: 1-line block ×3, first 2 shown]
	v_cmp_gt_i32_e64 s15, 0, v5
	v_cmp_gt_i32_e64 s16, 0, v6
	v_dual_ashrrev_i32 v1, 31, v1 :: v_dual_bitop2_b32 v0, vcc_lo, v0 bitop3:0x14
	v_not_b32_e32 v5, v6
	v_dual_ashrrev_i32 v3, 31, v3 :: v_dual_ashrrev_i32 v4, 31, v4
	v_not_b32_e32 v6, v7
	s_delay_alu instid0(VALU_DEP_4) | instskip(SKIP_1) | instid1(VALU_DEP_4)
	v_xor_b32_e32 v1, s13, v1
	v_cmp_gt_i32_e64 s17, 0, v7
	v_dual_ashrrev_i32 v5, 31, v5 :: v_dual_bitop2_b32 v3, s14, v3 bitop3:0x14
	v_not_b32_e32 v7, v25
	v_ashrrev_i32_e32 v6, 31, v6
	v_bitop3_b32 v0, v0, v1, exec_lo bitop3:0x80
	v_not_b32_e32 v1, v24
	v_xor_b32_e32 v4, s15, v4
	v_xor_b32_e32 v5, s16, v5
	v_cmp_gt_i32_e32 vcc_lo, 0, v24
	v_cmp_gt_i32_e64 s13, 0, v25
	v_ashrrev_i32_e32 v1, 31, v1
	v_bitop3_b32 v0, v0, v4, v3 bitop3:0x80
	v_dual_ashrrev_i32 v3, 31, v7 :: v_dual_bitop2_b32 v4, s17, v6 bitop3:0x14
	s_delay_alu instid0(VALU_DEP_3) | instskip(NEXT) | instid1(VALU_DEP_2)
	v_xor_b32_e32 v1, vcc_lo, v1
	v_xor_b32_e32 v3, s13, v3
	s_delay_alu instid0(VALU_DEP_3) | instskip(NEXT) | instid1(VALU_DEP_1)
	v_bitop3_b32 v0, v0, v4, v5 bitop3:0x80
	v_bitop3_b32 v0, v0, v3, v1 bitop3:0x80
	v_lshlrev_b32_e32 v1, 5, v2
	s_delay_alu instid0(VALU_DEP_2) | instskip(SKIP_1) | instid1(VALU_DEP_3)
	v_mbcnt_lo_u32_b32 v24, v0, 0
	v_cmp_ne_u32_e64 s13, 0, v0
	v_add_nc_u32_e32 v25, v21, v1
	s_delay_alu instid0(VALU_DEP_3) | instskip(SKIP_1) | instid1(SALU_CYCLE_1)
	v_cmp_eq_u32_e32 vcc_lo, 0, v24
	s_and_b32 s14, s13, vcc_lo
	s_and_saveexec_b32 s13, s14
; %bb.15:                               ;   in Loop: Header=BB144_14 Depth=1
	v_bcnt_u32_b32 v0, v0, 0
	ds_store_b32 v25, v0 offset:32
; %bb.16:                               ;   in Loop: Header=BB144_14 Depth=1
	s_or_b32 exec_lo, exec_lo, s13
	v_and_b32_e32 v0, 0xff, v14
	s_not_b32 s28, s28
	; wave barrier
	s_delay_alu instid0(VALU_DEP_1) | instskip(NEXT) | instid1(VALU_DEP_1)
	v_lshrrev_b32_e32 v0, s22, v0
	v_and_b32_e32 v1, s28, v0
	s_delay_alu instid0(VALU_DEP_1) | instskip(SKIP_2) | instid1(VALU_DEP_2)
	v_lshlrev_b32_e32 v2, 5, v1
	v_bitop3_b32 v0, v0, 1, s28 bitop3:0x80
	v_lshlrev_b32_e32 v4, 30, v1
	v_add_co_u32 v0, s13, v0, -1
	s_delay_alu instid0(VALU_DEP_1) | instskip(NEXT) | instid1(VALU_DEP_1)
	v_cndmask_b32_e64 v3, 0, 1, s13
	v_cmp_ne_u32_e32 vcc_lo, 0, v3
	s_delay_alu instid0(VALU_DEP_4) | instskip(NEXT) | instid1(VALU_DEP_1)
	v_not_b32_e32 v3, v4
	v_dual_ashrrev_i32 v3, 31, v3 :: v_dual_bitop2_b32 v0, vcc_lo, v0 bitop3:0x14
	v_dual_lshlrev_b32 v5, 29, v1 :: v_dual_lshlrev_b32 v6, 28, v1
	v_dual_lshlrev_b32 v7, 27, v1 :: v_dual_lshlrev_b32 v26, 26, v1
	v_lshlrev_b32_e32 v27, 25, v1
	v_cmp_gt_i32_e64 s13, 0, v4
	s_delay_alu instid0(VALU_DEP_4)
	v_cmp_gt_i32_e64 s14, 0, v5
	v_not_b32_e32 v4, v5
	v_not_b32_e32 v5, v6
	v_lshlrev_b32_e32 v1, 24, v1
	v_cmp_gt_i32_e64 s15, 0, v6
	v_cmp_gt_i32_e64 s16, 0, v7
	v_not_b32_e32 v6, v7
	v_dual_ashrrev_i32 v4, 31, v4 :: v_dual_ashrrev_i32 v5, 31, v5
	v_xor_b32_e32 v3, s13, v3
	v_not_b32_e32 v7, v26
	v_cmp_gt_i32_e64 s17, 0, v26
	s_delay_alu instid0(VALU_DEP_4) | instskip(NEXT) | instid1(VALU_DEP_4)
	v_dual_ashrrev_i32 v6, 31, v6 :: v_dual_bitop2_b32 v4, s14, v4 bitop3:0x14
	v_bitop3_b32 v0, v0, v3, exec_lo bitop3:0x80
	s_delay_alu instid0(VALU_DEP_4)
	v_ashrrev_i32_e32 v3, 31, v7
	v_not_b32_e32 v7, v27
	v_xor_b32_e32 v5, s15, v5
	v_not_b32_e32 v26, v1
	v_xor_b32_e32 v6, s16, v6
	v_xor_b32_e32 v3, s17, v3
	v_cmp_gt_i32_e32 vcc_lo, 0, v27
	v_bitop3_b32 v0, v0, v5, v4 bitop3:0x80
	v_ashrrev_i32_e32 v4, 31, v7
	v_cmp_gt_i32_e64 s13, 0, v1
	v_ashrrev_i32_e32 v1, 31, v26
	v_add_nc_u32_e32 v27, v21, v2
	v_bitop3_b32 v0, v0, v3, v6 bitop3:0x80
	v_xor_b32_e32 v2, vcc_lo, v4
	s_delay_alu instid0(VALU_DEP_4) | instskip(SKIP_2) | instid1(VALU_DEP_1)
	v_xor_b32_e32 v1, s13, v1
	ds_load_b32 v26, v27 offset:32
	; wave barrier
	v_bitop3_b32 v0, v0, v1, v2 bitop3:0x80
	v_mbcnt_lo_u32_b32 v28, v0, 0
	v_cmp_ne_u32_e64 s13, 0, v0
	s_delay_alu instid0(VALU_DEP_2) | instskip(SKIP_1) | instid1(SALU_CYCLE_1)
	v_cmp_eq_u32_e32 vcc_lo, 0, v28
	s_and_b32 s14, s13, vcc_lo
	s_and_saveexec_b32 s13, s14
	s_cbranch_execz .LBB144_18
; %bb.17:                               ;   in Loop: Header=BB144_14 Depth=1
	s_wait_dscnt 0x0
	v_bcnt_u32_b32 v0, v0, v26
	ds_store_b32 v27, v0 offset:32
.LBB144_18:                             ;   in Loop: Header=BB144_14 Depth=1
	s_or_b32 exec_lo, exec_lo, s13
	v_and_b32_e32 v0, 0xff, v15
	; wave barrier
	s_delay_alu instid0(VALU_DEP_1) | instskip(NEXT) | instid1(VALU_DEP_1)
	v_lshrrev_b32_e32 v0, s22, v0
	v_and_b32_e32 v1, s28, v0
	s_delay_alu instid0(VALU_DEP_1) | instskip(SKIP_2) | instid1(VALU_DEP_2)
	v_lshlrev_b32_e32 v2, 5, v1
	v_bitop3_b32 v0, v0, 1, s28 bitop3:0x80
	v_lshlrev_b32_e32 v4, 30, v1
	v_add_co_u32 v0, s13, v0, -1
	s_delay_alu instid0(VALU_DEP_1) | instskip(NEXT) | instid1(VALU_DEP_1)
	v_cndmask_b32_e64 v3, 0, 1, s13
	v_cmp_ne_u32_e32 vcc_lo, 0, v3
	s_delay_alu instid0(VALU_DEP_4) | instskip(NEXT) | instid1(VALU_DEP_1)
	v_not_b32_e32 v3, v4
	v_dual_ashrrev_i32 v3, 31, v3 :: v_dual_bitop2_b32 v0, vcc_lo, v0 bitop3:0x14
	v_dual_lshlrev_b32 v5, 29, v1 :: v_dual_lshlrev_b32 v6, 28, v1
	v_dual_lshlrev_b32 v7, 27, v1 :: v_dual_lshlrev_b32 v29, 26, v1
	v_lshlrev_b32_e32 v30, 25, v1
	v_cmp_gt_i32_e64 s13, 0, v4
	s_delay_alu instid0(VALU_DEP_4)
	v_cmp_gt_i32_e64 s14, 0, v5
	v_not_b32_e32 v4, v5
	v_not_b32_e32 v5, v6
	v_lshlrev_b32_e32 v1, 24, v1
	v_cmp_gt_i32_e64 s15, 0, v6
	v_cmp_gt_i32_e64 s16, 0, v7
	v_not_b32_e32 v6, v7
	v_not_b32_e32 v7, v29
	v_dual_ashrrev_i32 v4, 31, v4 :: v_dual_ashrrev_i32 v5, 31, v5
	s_delay_alu instid0(VALU_DEP_3) | instskip(SKIP_1) | instid1(VALU_DEP_3)
	v_dual_ashrrev_i32 v6, 31, v6 :: v_dual_bitop2_b32 v3, s13, v3 bitop3:0x14
	v_cmp_gt_i32_e64 s17, 0, v29
	v_dual_ashrrev_i32 v7, 31, v7 :: v_dual_bitop2_b32 v4, s14, v4 bitop3:0x14
	s_delay_alu instid0(VALU_DEP_3)
	v_bitop3_b32 v0, v0, v3, exec_lo bitop3:0x80
	v_not_b32_e32 v3, v30
	v_xor_b32_e32 v5, s15, v5
	v_not_b32_e32 v29, v1
	v_xor_b32_e32 v6, s16, v6
	v_xor_b32_e32 v7, s17, v7
	v_cmp_gt_i32_e32 vcc_lo, 0, v30
	v_ashrrev_i32_e32 v3, 31, v3
	v_bitop3_b32 v0, v0, v5, v4 bitop3:0x80
	v_cmp_gt_i32_e64 s13, 0, v1
	v_dual_ashrrev_i32 v1, 31, v29 :: v_dual_add_nc_u32 v30, v21, v2
	s_delay_alu instid0(VALU_DEP_4) | instskip(NEXT) | instid1(VALU_DEP_4)
	v_xor_b32_e32 v2, vcc_lo, v3
	v_bitop3_b32 v0, v0, v7, v6 bitop3:0x80
	s_delay_alu instid0(VALU_DEP_3) | instskip(SKIP_2) | instid1(VALU_DEP_1)
	v_xor_b32_e32 v1, s13, v1
	ds_load_b32 v29, v30 offset:32
	; wave barrier
	v_bitop3_b32 v0, v0, v1, v2 bitop3:0x80
	v_mbcnt_lo_u32_b32 v31, v0, 0
	v_cmp_ne_u32_e64 s13, 0, v0
	s_delay_alu instid0(VALU_DEP_2) | instskip(SKIP_1) | instid1(SALU_CYCLE_1)
	v_cmp_eq_u32_e32 vcc_lo, 0, v31
	s_and_b32 s14, s13, vcc_lo
	s_and_saveexec_b32 s13, s14
	s_cbranch_execz .LBB144_20
; %bb.19:                               ;   in Loop: Header=BB144_14 Depth=1
	s_wait_dscnt 0x0
	v_bcnt_u32_b32 v0, v0, v29
	ds_store_b32 v30, v0 offset:32
.LBB144_20:                             ;   in Loop: Header=BB144_14 Depth=1
	s_or_b32 exec_lo, exec_lo, s13
	v_and_b32_e32 v0, 0xff, v16
	; wave barrier
	s_delay_alu instid0(VALU_DEP_1) | instskip(NEXT) | instid1(VALU_DEP_1)
	v_lshrrev_b32_e32 v0, s22, v0
	v_and_b32_e32 v1, s28, v0
	s_delay_alu instid0(VALU_DEP_1) | instskip(SKIP_2) | instid1(VALU_DEP_2)
	v_lshlrev_b32_e32 v2, 5, v1
	v_bitop3_b32 v0, v0, 1, s28 bitop3:0x80
	v_lshlrev_b32_e32 v4, 30, v1
	v_add_co_u32 v0, s13, v0, -1
	s_delay_alu instid0(VALU_DEP_1) | instskip(NEXT) | instid1(VALU_DEP_1)
	v_cndmask_b32_e64 v3, 0, 1, s13
	v_cmp_ne_u32_e32 vcc_lo, 0, v3
	s_delay_alu instid0(VALU_DEP_4) | instskip(NEXT) | instid1(VALU_DEP_1)
	v_not_b32_e32 v3, v4
	v_dual_ashrrev_i32 v3, 31, v3 :: v_dual_bitop2_b32 v0, vcc_lo, v0 bitop3:0x14
	v_dual_lshlrev_b32 v5, 29, v1 :: v_dual_lshlrev_b32 v6, 28, v1
	v_dual_lshlrev_b32 v7, 27, v1 :: v_dual_lshlrev_b32 v32, 26, v1
	v_lshlrev_b32_e32 v33, 25, v1
	v_cmp_gt_i32_e64 s13, 0, v4
	s_delay_alu instid0(VALU_DEP_4)
	v_cmp_gt_i32_e64 s14, 0, v5
	v_not_b32_e32 v4, v5
	v_not_b32_e32 v5, v6
	v_lshlrev_b32_e32 v1, 24, v1
	v_cmp_gt_i32_e64 s15, 0, v6
	v_cmp_gt_i32_e64 s16, 0, v7
	v_not_b32_e32 v6, v7
	v_not_b32_e32 v7, v32
	v_dual_ashrrev_i32 v4, 31, v4 :: v_dual_ashrrev_i32 v5, 31, v5
	s_delay_alu instid0(VALU_DEP_3) | instskip(SKIP_1) | instid1(VALU_DEP_3)
	v_dual_ashrrev_i32 v6, 31, v6 :: v_dual_bitop2_b32 v3, s13, v3 bitop3:0x14
	v_cmp_gt_i32_e64 s17, 0, v32
	v_dual_ashrrev_i32 v7, 31, v7 :: v_dual_bitop2_b32 v4, s14, v4 bitop3:0x14
	s_delay_alu instid0(VALU_DEP_3)
	v_bitop3_b32 v0, v0, v3, exec_lo bitop3:0x80
	v_not_b32_e32 v3, v33
	v_xor_b32_e32 v5, s15, v5
	v_not_b32_e32 v32, v1
	v_xor_b32_e32 v6, s16, v6
	v_xor_b32_e32 v7, s17, v7
	v_cmp_gt_i32_e32 vcc_lo, 0, v33
	v_ashrrev_i32_e32 v3, 31, v3
	v_bitop3_b32 v0, v0, v5, v4 bitop3:0x80
	v_cmp_gt_i32_e64 s13, 0, v1
	v_dual_ashrrev_i32 v1, 31, v32 :: v_dual_add_nc_u32 v33, v21, v2
	s_delay_alu instid0(VALU_DEP_4) | instskip(NEXT) | instid1(VALU_DEP_4)
	v_xor_b32_e32 v2, vcc_lo, v3
	v_bitop3_b32 v0, v0, v7, v6 bitop3:0x80
	s_delay_alu instid0(VALU_DEP_3) | instskip(SKIP_2) | instid1(VALU_DEP_1)
	v_xor_b32_e32 v1, s13, v1
	ds_load_b32 v32, v33 offset:32
	; wave barrier
	v_bitop3_b32 v0, v0, v1, v2 bitop3:0x80
	v_mbcnt_lo_u32_b32 v34, v0, 0
	v_cmp_ne_u32_e64 s13, 0, v0
	s_delay_alu instid0(VALU_DEP_2) | instskip(SKIP_1) | instid1(SALU_CYCLE_1)
	v_cmp_eq_u32_e32 vcc_lo, 0, v34
	s_and_b32 s14, s13, vcc_lo
	s_and_saveexec_b32 s13, s14
	s_cbranch_execz .LBB144_22
; %bb.21:                               ;   in Loop: Header=BB144_14 Depth=1
	s_wait_dscnt 0x0
	v_bcnt_u32_b32 v0, v0, v32
	ds_store_b32 v33, v0 offset:32
.LBB144_22:                             ;   in Loop: Header=BB144_14 Depth=1
	s_or_b32 exec_lo, exec_lo, s13
	; wave barrier
	s_wait_dscnt 0x0
	s_barrier_signal -1
	s_barrier_wait -1
	ds_load_2addr_b64 v[4:7], v17 offset0:4 offset1:5
	ds_load_2addr_b64 v[0:3], v17 offset0:6 offset1:7
	s_wait_dscnt 0x1
	v_add_nc_u32_e32 v35, v5, v4
	s_delay_alu instid0(VALU_DEP_1) | instskip(SKIP_1) | instid1(VALU_DEP_1)
	v_add3_u32 v35, v35, v6, v7
	s_wait_dscnt 0x0
	v_add3_u32 v35, v35, v0, v1
	s_delay_alu instid0(VALU_DEP_1) | instskip(NEXT) | instid1(VALU_DEP_1)
	v_add3_u32 v3, v35, v2, v3
	v_mov_b32_dpp v35, v3 row_shr:1 row_mask:0xf bank_mask:0xf
	s_delay_alu instid0(VALU_DEP_1) | instskip(NEXT) | instid1(VALU_DEP_1)
	v_cndmask_b32_e64 v35, v35, 0, s4
	v_add_nc_u32_e32 v3, v35, v3
	s_delay_alu instid0(VALU_DEP_1) | instskip(NEXT) | instid1(VALU_DEP_1)
	v_mov_b32_dpp v35, v3 row_shr:2 row_mask:0xf bank_mask:0xf
	v_cndmask_b32_e64 v35, 0, v35, s5
	s_delay_alu instid0(VALU_DEP_1) | instskip(NEXT) | instid1(VALU_DEP_1)
	v_add_nc_u32_e32 v3, v3, v35
	v_mov_b32_dpp v35, v3 row_shr:4 row_mask:0xf bank_mask:0xf
	s_delay_alu instid0(VALU_DEP_1) | instskip(NEXT) | instid1(VALU_DEP_1)
	v_cndmask_b32_e64 v35, 0, v35, s6
	v_add_nc_u32_e32 v3, v3, v35
	s_delay_alu instid0(VALU_DEP_1) | instskip(NEXT) | instid1(VALU_DEP_1)
	v_mov_b32_dpp v35, v3 row_shr:8 row_mask:0xf bank_mask:0xf
	v_cndmask_b32_e64 v35, 0, v35, s7
	s_delay_alu instid0(VALU_DEP_1) | instskip(SKIP_3) | instid1(VALU_DEP_1)
	v_add_nc_u32_e32 v3, v3, v35
	ds_swizzle_b32 v35, v3 offset:swizzle(BROADCAST,32,15)
	s_wait_dscnt 0x0
	v_cndmask_b32_e64 v35, v35, 0, s8
	v_add_nc_u32_e32 v3, v3, v35
	s_and_saveexec_b32 s13, s12
; %bb.23:                               ;   in Loop: Header=BB144_14 Depth=1
	ds_store_b32 v18, v3
; %bb.24:                               ;   in Loop: Header=BB144_14 Depth=1
	s_or_b32 exec_lo, exec_lo, s13
	s_wait_dscnt 0x0
	s_barrier_signal -1
	s_barrier_wait -1
	s_and_saveexec_b32 s13, s0
	s_cbranch_execz .LBB144_26
; %bb.25:                               ;   in Loop: Header=BB144_14 Depth=1
	ds_load_b32 v35, v22
	s_wait_dscnt 0x0
	v_mov_b32_dpp v36, v35 row_shr:1 row_mask:0xf bank_mask:0xf
	s_delay_alu instid0(VALU_DEP_1) | instskip(NEXT) | instid1(VALU_DEP_1)
	v_cndmask_b32_e64 v36, v36, 0, s9
	v_add_nc_u32_e32 v35, v36, v35
	s_delay_alu instid0(VALU_DEP_1) | instskip(NEXT) | instid1(VALU_DEP_1)
	v_mov_b32_dpp v36, v35 row_shr:2 row_mask:0xf bank_mask:0xf
	v_cndmask_b32_e64 v36, 0, v36, s10
	s_delay_alu instid0(VALU_DEP_1) | instskip(NEXT) | instid1(VALU_DEP_1)
	v_add_nc_u32_e32 v35, v35, v36
	v_mov_b32_dpp v36, v35 row_shr:4 row_mask:0xf bank_mask:0xf
	s_delay_alu instid0(VALU_DEP_1) | instskip(NEXT) | instid1(VALU_DEP_1)
	v_cndmask_b32_e64 v36, 0, v36, s11
	v_add_nc_u32_e32 v35, v35, v36
	ds_store_b32 v22, v35
.LBB144_26:                             ;   in Loop: Header=BB144_14 Depth=1
	s_or_b32 exec_lo, exec_lo, s13
	v_mov_b32_e32 v35, 0
	s_wait_dscnt 0x0
	s_barrier_signal -1
	s_barrier_wait -1
	s_and_saveexec_b32 s13, s1
; %bb.27:                               ;   in Loop: Header=BB144_14 Depth=1
	ds_load_b32 v35, v20
; %bb.28:                               ;   in Loop: Header=BB144_14 Depth=1
	s_or_b32 exec_lo, exec_lo, s13
	s_wait_dscnt 0x0
	v_add_nc_u32_e32 v3, v35, v3
	s_add_co_i32 s22, s22, 8
	s_mov_b32 s13, -1
	s_cmp_ge_u32 s22, s27
	ds_bpermute_b32 v3, v19, v3
	s_wait_dscnt 0x0
	v_cndmask_b32_e64 v3, v3, v35, s2
	s_delay_alu instid0(VALU_DEP_1) | instskip(SKIP_1) | instid1(VALU_DEP_2)
	v_cndmask_b32_e64 v36, v3, 0, s3
	v_mov_b32_e32 v3, v16
	v_add_nc_u32_e32 v37, v36, v4
	s_delay_alu instid0(VALU_DEP_1) | instskip(NEXT) | instid1(VALU_DEP_1)
	v_add_nc_u32_e32 v4, v37, v5
	v_add_nc_u32_e32 v5, v4, v6
	s_delay_alu instid0(VALU_DEP_1) | instskip(NEXT) | instid1(VALU_DEP_1)
	v_add_nc_u32_e32 v6, v5, v7
	;; [unrolled: 3-line block ×3, first 2 shown]
	v_add_nc_u32_e32 v1, v0, v2
	ds_store_2addr_b64 v17, v[36:37], v[4:5] offset0:4 offset1:5
	ds_store_2addr_b64 v17, v[6:7], v[0:1] offset0:6 offset1:7
	s_wait_dscnt 0x0
	s_barrier_signal -1
	s_barrier_wait -1
	ds_load_b32 v7, v25 offset:32
	ds_load_b32 v6, v27 offset:32
	;; [unrolled: 1-line block ×4, first 2 shown]
	v_dual_mov_b32 v0, v9 :: v_dual_mov_b32 v1, v14
	v_dual_mov_b32 v2, v15 :: v_dual_add_nc_u32 v27, v28, v26
	v_dual_add_nc_u32 v25, v34, v32 :: v_dual_add_nc_u32 v26, v31, v29
	s_wait_dscnt 0x0
	s_cbranch_scc1 .LBB144_13
; %bb.29:                               ;   in Loop: Header=BB144_14 Depth=1
	s_delay_alu instid0(VALU_DEP_1) | instskip(NEXT) | instid1(VALU_DEP_2)
	v_dual_add_nc_u32 v28, v7, v24 :: v_dual_add_nc_u32 v30, v26, v5
	v_dual_add_nc_u32 v29, v27, v6 :: v_dual_add_nc_u32 v31, v25, v4
	s_barrier_signal -1
	s_barrier_wait -1
	ds_store_b8 v28, v9
	ds_store_b8 v29, v14
	;; [unrolled: 1-line block ×4, first 2 shown]
	s_wait_dscnt 0x0
	s_barrier_signal -1
	s_barrier_wait -1
	ds_load_u8 v16, v23 offset:96
	ds_load_u8 v15, v23 offset:64
	ds_load_u8 v9, v23
	ds_load_u8 v14, v23 offset:32
	s_add_co_i32 s23, s23, -8
	s_mov_b32 s13, 0
	s_wait_dscnt 0x0
	s_barrier_signal -1
	s_barrier_wait -1
	s_branch .LBB144_13
.LBB144_30:
	v_dual_add_nc_u32 v7, v7, v24 :: v_dual_add_nc_u32 v5, v26, v5
	v_dual_add_nc_u32 v6, v27, v6 :: v_dual_add_nc_u32 v4, v25, v4
	s_barrier_signal -1
	s_barrier_wait -1
	ds_store_b8 v7, v0
	ds_store_b8 v6, v1
	;; [unrolled: 1-line block ×4, first 2 shown]
	s_wait_dscnt 0x0
	s_barrier_signal -1
	s_barrier_wait -1
	ds_load_u8 v5, v8
	ds_load_u8 v4, v8 offset:256
	ds_load_u8 v3, v8 offset:512
	;; [unrolled: 1-line block ×3, first 2 shown]
	v_mov_b32_e32 v9, 0
	s_add_nc_u64 s[0:1], s[18:19], s[20:21]
	s_and_not1_b32 vcc_lo, exec_lo, s25
	s_delay_alu instid0(VALU_DEP_1)
	v_add_nc_u64_e32 v[0:1], s[0:1], v[8:9]
	s_cbranch_vccnz .LBB144_34
; %bb.31:
	s_mov_b32 s0, -1
	s_wait_dscnt 0x3
	global_store_b8 v[0:1], v5, off
	s_wait_dscnt 0x2
	global_store_b8 v[0:1], v4, off offset:256
	s_wait_dscnt 0x1
	global_store_b8 v[0:1], v3, off offset:512
	s_cbranch_execz .LBB144_35
; %bb.32:
	s_wait_xcnt 0x0
	s_and_saveexec_b32 s1, s0
	s_cbranch_execz .LBB144_42
.LBB144_33:
	s_wait_dscnt 0x0
	global_store_b8 v[0:1], v2, off offset:768
	s_endpgm
.LBB144_34:
	s_mov_b32 s0, 0
.LBB144_35:
	s_mov_b32 s0, exec_lo
	s_wait_xcnt 0x0
	v_cmpx_gt_u32_e64 s24, v8
	s_cbranch_execz .LBB144_37
; %bb.36:
	s_wait_dscnt 0x3
	global_store_b8 v[0:1], v5, off
.LBB144_37:
	s_wait_xcnt 0x0
	s_or_b32 exec_lo, exec_lo, s0
	s_wait_dscnt 0x3
	v_add_nc_u32_e32 v5, 0x100, v8
	s_mov_b32 s0, exec_lo
	s_delay_alu instid0(VALU_DEP_1)
	v_cmpx_gt_u32_e64 s24, v5
	s_cbranch_execz .LBB144_39
; %bb.38:
	s_wait_dscnt 0x2
	global_store_b8 v[0:1], v4, off offset:256
.LBB144_39:
	s_wait_xcnt 0x0
	s_or_b32 exec_lo, exec_lo, s0
	s_wait_dscnt 0x2
	v_add_nc_u32_e32 v4, 0x200, v8
	s_mov_b32 s0, exec_lo
	s_delay_alu instid0(VALU_DEP_1)
	v_cmpx_gt_u32_e64 s24, v4
	s_cbranch_execz .LBB144_41
; %bb.40:
	s_wait_dscnt 0x1
	global_store_b8 v[0:1], v3, off offset:512
.LBB144_41:
	s_wait_xcnt 0x0
	s_or_b32 exec_lo, exec_lo, s0
	s_wait_dscnt 0x1
	v_add_nc_u32_e32 v3, 0x300, v8
	s_delay_alu instid0(VALU_DEP_1)
	v_cmp_gt_u32_e64 s0, s24, v3
	s_and_saveexec_b32 s1, s0
	s_cbranch_execnz .LBB144_33
.LBB144_42:
	s_endpgm
	.section	.rodata,"a",@progbits
	.p2align	6, 0x0
	.amdhsa_kernel _ZN7rocprim17ROCPRIM_400000_NS6detail17trampoline_kernelINS0_13kernel_configILj256ELj4ELj4294967295EEENS1_37radix_sort_block_sort_config_selectorIhNS0_10empty_typeEEEZNS1_21radix_sort_block_sortIS4_Lb0EPKhPhPS6_SC_NS0_19identity_decomposerEEE10hipError_tT1_T2_T3_T4_jRjT5_jjP12ihipStream_tbEUlT_E_NS1_11comp_targetILNS1_3genE0ELNS1_11target_archE4294967295ELNS1_3gpuE0ELNS1_3repE0EEENS1_44radix_sort_block_sort_config_static_selectorELNS0_4arch9wavefront6targetE0EEEvSF_
		.amdhsa_group_segment_fixed_size 8224
		.amdhsa_private_segment_fixed_size 0
		.amdhsa_kernarg_size 304
		.amdhsa_user_sgpr_count 2
		.amdhsa_user_sgpr_dispatch_ptr 0
		.amdhsa_user_sgpr_queue_ptr 0
		.amdhsa_user_sgpr_kernarg_segment_ptr 1
		.amdhsa_user_sgpr_dispatch_id 0
		.amdhsa_user_sgpr_kernarg_preload_length 0
		.amdhsa_user_sgpr_kernarg_preload_offset 0
		.amdhsa_user_sgpr_private_segment_size 0
		.amdhsa_wavefront_size32 1
		.amdhsa_uses_dynamic_stack 0
		.amdhsa_enable_private_segment 0
		.amdhsa_system_sgpr_workgroup_id_x 1
		.amdhsa_system_sgpr_workgroup_id_y 0
		.amdhsa_system_sgpr_workgroup_id_z 0
		.amdhsa_system_sgpr_workgroup_info 0
		.amdhsa_system_vgpr_workitem_id 2
		.amdhsa_next_free_vgpr 38
		.amdhsa_next_free_sgpr 29
		.amdhsa_named_barrier_count 0
		.amdhsa_reserve_vcc 1
		.amdhsa_float_round_mode_32 0
		.amdhsa_float_round_mode_16_64 0
		.amdhsa_float_denorm_mode_32 3
		.amdhsa_float_denorm_mode_16_64 3
		.amdhsa_fp16_overflow 0
		.amdhsa_memory_ordered 1
		.amdhsa_forward_progress 1
		.amdhsa_inst_pref_size 28
		.amdhsa_round_robin_scheduling 0
		.amdhsa_exception_fp_ieee_invalid_op 0
		.amdhsa_exception_fp_denorm_src 0
		.amdhsa_exception_fp_ieee_div_zero 0
		.amdhsa_exception_fp_ieee_overflow 0
		.amdhsa_exception_fp_ieee_underflow 0
		.amdhsa_exception_fp_ieee_inexact 0
		.amdhsa_exception_int_div_zero 0
	.end_amdhsa_kernel
	.section	.text._ZN7rocprim17ROCPRIM_400000_NS6detail17trampoline_kernelINS0_13kernel_configILj256ELj4ELj4294967295EEENS1_37radix_sort_block_sort_config_selectorIhNS0_10empty_typeEEEZNS1_21radix_sort_block_sortIS4_Lb0EPKhPhPS6_SC_NS0_19identity_decomposerEEE10hipError_tT1_T2_T3_T4_jRjT5_jjP12ihipStream_tbEUlT_E_NS1_11comp_targetILNS1_3genE0ELNS1_11target_archE4294967295ELNS1_3gpuE0ELNS1_3repE0EEENS1_44radix_sort_block_sort_config_static_selectorELNS0_4arch9wavefront6targetE0EEEvSF_,"axG",@progbits,_ZN7rocprim17ROCPRIM_400000_NS6detail17trampoline_kernelINS0_13kernel_configILj256ELj4ELj4294967295EEENS1_37radix_sort_block_sort_config_selectorIhNS0_10empty_typeEEEZNS1_21radix_sort_block_sortIS4_Lb0EPKhPhPS6_SC_NS0_19identity_decomposerEEE10hipError_tT1_T2_T3_T4_jRjT5_jjP12ihipStream_tbEUlT_E_NS1_11comp_targetILNS1_3genE0ELNS1_11target_archE4294967295ELNS1_3gpuE0ELNS1_3repE0EEENS1_44radix_sort_block_sort_config_static_selectorELNS0_4arch9wavefront6targetE0EEEvSF_,comdat
.Lfunc_end144:
	.size	_ZN7rocprim17ROCPRIM_400000_NS6detail17trampoline_kernelINS0_13kernel_configILj256ELj4ELj4294967295EEENS1_37radix_sort_block_sort_config_selectorIhNS0_10empty_typeEEEZNS1_21radix_sort_block_sortIS4_Lb0EPKhPhPS6_SC_NS0_19identity_decomposerEEE10hipError_tT1_T2_T3_T4_jRjT5_jjP12ihipStream_tbEUlT_E_NS1_11comp_targetILNS1_3genE0ELNS1_11target_archE4294967295ELNS1_3gpuE0ELNS1_3repE0EEENS1_44radix_sort_block_sort_config_static_selectorELNS0_4arch9wavefront6targetE0EEEvSF_, .Lfunc_end144-_ZN7rocprim17ROCPRIM_400000_NS6detail17trampoline_kernelINS0_13kernel_configILj256ELj4ELj4294967295EEENS1_37radix_sort_block_sort_config_selectorIhNS0_10empty_typeEEEZNS1_21radix_sort_block_sortIS4_Lb0EPKhPhPS6_SC_NS0_19identity_decomposerEEE10hipError_tT1_T2_T3_T4_jRjT5_jjP12ihipStream_tbEUlT_E_NS1_11comp_targetILNS1_3genE0ELNS1_11target_archE4294967295ELNS1_3gpuE0ELNS1_3repE0EEENS1_44radix_sort_block_sort_config_static_selectorELNS0_4arch9wavefront6targetE0EEEvSF_
                                        ; -- End function
	.set _ZN7rocprim17ROCPRIM_400000_NS6detail17trampoline_kernelINS0_13kernel_configILj256ELj4ELj4294967295EEENS1_37radix_sort_block_sort_config_selectorIhNS0_10empty_typeEEEZNS1_21radix_sort_block_sortIS4_Lb0EPKhPhPS6_SC_NS0_19identity_decomposerEEE10hipError_tT1_T2_T3_T4_jRjT5_jjP12ihipStream_tbEUlT_E_NS1_11comp_targetILNS1_3genE0ELNS1_11target_archE4294967295ELNS1_3gpuE0ELNS1_3repE0EEENS1_44radix_sort_block_sort_config_static_selectorELNS0_4arch9wavefront6targetE0EEEvSF_.num_vgpr, 38
	.set _ZN7rocprim17ROCPRIM_400000_NS6detail17trampoline_kernelINS0_13kernel_configILj256ELj4ELj4294967295EEENS1_37radix_sort_block_sort_config_selectorIhNS0_10empty_typeEEEZNS1_21radix_sort_block_sortIS4_Lb0EPKhPhPS6_SC_NS0_19identity_decomposerEEE10hipError_tT1_T2_T3_T4_jRjT5_jjP12ihipStream_tbEUlT_E_NS1_11comp_targetILNS1_3genE0ELNS1_11target_archE4294967295ELNS1_3gpuE0ELNS1_3repE0EEENS1_44radix_sort_block_sort_config_static_selectorELNS0_4arch9wavefront6targetE0EEEvSF_.num_agpr, 0
	.set _ZN7rocprim17ROCPRIM_400000_NS6detail17trampoline_kernelINS0_13kernel_configILj256ELj4ELj4294967295EEENS1_37radix_sort_block_sort_config_selectorIhNS0_10empty_typeEEEZNS1_21radix_sort_block_sortIS4_Lb0EPKhPhPS6_SC_NS0_19identity_decomposerEEE10hipError_tT1_T2_T3_T4_jRjT5_jjP12ihipStream_tbEUlT_E_NS1_11comp_targetILNS1_3genE0ELNS1_11target_archE4294967295ELNS1_3gpuE0ELNS1_3repE0EEENS1_44radix_sort_block_sort_config_static_selectorELNS0_4arch9wavefront6targetE0EEEvSF_.numbered_sgpr, 29
	.set _ZN7rocprim17ROCPRIM_400000_NS6detail17trampoline_kernelINS0_13kernel_configILj256ELj4ELj4294967295EEENS1_37radix_sort_block_sort_config_selectorIhNS0_10empty_typeEEEZNS1_21radix_sort_block_sortIS4_Lb0EPKhPhPS6_SC_NS0_19identity_decomposerEEE10hipError_tT1_T2_T3_T4_jRjT5_jjP12ihipStream_tbEUlT_E_NS1_11comp_targetILNS1_3genE0ELNS1_11target_archE4294967295ELNS1_3gpuE0ELNS1_3repE0EEENS1_44radix_sort_block_sort_config_static_selectorELNS0_4arch9wavefront6targetE0EEEvSF_.num_named_barrier, 0
	.set _ZN7rocprim17ROCPRIM_400000_NS6detail17trampoline_kernelINS0_13kernel_configILj256ELj4ELj4294967295EEENS1_37radix_sort_block_sort_config_selectorIhNS0_10empty_typeEEEZNS1_21radix_sort_block_sortIS4_Lb0EPKhPhPS6_SC_NS0_19identity_decomposerEEE10hipError_tT1_T2_T3_T4_jRjT5_jjP12ihipStream_tbEUlT_E_NS1_11comp_targetILNS1_3genE0ELNS1_11target_archE4294967295ELNS1_3gpuE0ELNS1_3repE0EEENS1_44radix_sort_block_sort_config_static_selectorELNS0_4arch9wavefront6targetE0EEEvSF_.private_seg_size, 0
	.set _ZN7rocprim17ROCPRIM_400000_NS6detail17trampoline_kernelINS0_13kernel_configILj256ELj4ELj4294967295EEENS1_37radix_sort_block_sort_config_selectorIhNS0_10empty_typeEEEZNS1_21radix_sort_block_sortIS4_Lb0EPKhPhPS6_SC_NS0_19identity_decomposerEEE10hipError_tT1_T2_T3_T4_jRjT5_jjP12ihipStream_tbEUlT_E_NS1_11comp_targetILNS1_3genE0ELNS1_11target_archE4294967295ELNS1_3gpuE0ELNS1_3repE0EEENS1_44radix_sort_block_sort_config_static_selectorELNS0_4arch9wavefront6targetE0EEEvSF_.uses_vcc, 1
	.set _ZN7rocprim17ROCPRIM_400000_NS6detail17trampoline_kernelINS0_13kernel_configILj256ELj4ELj4294967295EEENS1_37radix_sort_block_sort_config_selectorIhNS0_10empty_typeEEEZNS1_21radix_sort_block_sortIS4_Lb0EPKhPhPS6_SC_NS0_19identity_decomposerEEE10hipError_tT1_T2_T3_T4_jRjT5_jjP12ihipStream_tbEUlT_E_NS1_11comp_targetILNS1_3genE0ELNS1_11target_archE4294967295ELNS1_3gpuE0ELNS1_3repE0EEENS1_44radix_sort_block_sort_config_static_selectorELNS0_4arch9wavefront6targetE0EEEvSF_.uses_flat_scratch, 0
	.set _ZN7rocprim17ROCPRIM_400000_NS6detail17trampoline_kernelINS0_13kernel_configILj256ELj4ELj4294967295EEENS1_37radix_sort_block_sort_config_selectorIhNS0_10empty_typeEEEZNS1_21radix_sort_block_sortIS4_Lb0EPKhPhPS6_SC_NS0_19identity_decomposerEEE10hipError_tT1_T2_T3_T4_jRjT5_jjP12ihipStream_tbEUlT_E_NS1_11comp_targetILNS1_3genE0ELNS1_11target_archE4294967295ELNS1_3gpuE0ELNS1_3repE0EEENS1_44radix_sort_block_sort_config_static_selectorELNS0_4arch9wavefront6targetE0EEEvSF_.has_dyn_sized_stack, 0
	.set _ZN7rocprim17ROCPRIM_400000_NS6detail17trampoline_kernelINS0_13kernel_configILj256ELj4ELj4294967295EEENS1_37radix_sort_block_sort_config_selectorIhNS0_10empty_typeEEEZNS1_21radix_sort_block_sortIS4_Lb0EPKhPhPS6_SC_NS0_19identity_decomposerEEE10hipError_tT1_T2_T3_T4_jRjT5_jjP12ihipStream_tbEUlT_E_NS1_11comp_targetILNS1_3genE0ELNS1_11target_archE4294967295ELNS1_3gpuE0ELNS1_3repE0EEENS1_44radix_sort_block_sort_config_static_selectorELNS0_4arch9wavefront6targetE0EEEvSF_.has_recursion, 0
	.set _ZN7rocprim17ROCPRIM_400000_NS6detail17trampoline_kernelINS0_13kernel_configILj256ELj4ELj4294967295EEENS1_37radix_sort_block_sort_config_selectorIhNS0_10empty_typeEEEZNS1_21radix_sort_block_sortIS4_Lb0EPKhPhPS6_SC_NS0_19identity_decomposerEEE10hipError_tT1_T2_T3_T4_jRjT5_jjP12ihipStream_tbEUlT_E_NS1_11comp_targetILNS1_3genE0ELNS1_11target_archE4294967295ELNS1_3gpuE0ELNS1_3repE0EEENS1_44radix_sort_block_sort_config_static_selectorELNS0_4arch9wavefront6targetE0EEEvSF_.has_indirect_call, 0
	.section	.AMDGPU.csdata,"",@progbits
; Kernel info:
; codeLenInByte = 3464
; TotalNumSgprs: 31
; NumVgprs: 38
; ScratchSize: 0
; MemoryBound: 0
; FloatMode: 240
; IeeeMode: 1
; LDSByteSize: 8224 bytes/workgroup (compile time only)
; SGPRBlocks: 0
; VGPRBlocks: 2
; NumSGPRsForWavesPerEU: 31
; NumVGPRsForWavesPerEU: 38
; NamedBarCnt: 0
; Occupancy: 16
; WaveLimiterHint : 1
; COMPUTE_PGM_RSRC2:SCRATCH_EN: 0
; COMPUTE_PGM_RSRC2:USER_SGPR: 2
; COMPUTE_PGM_RSRC2:TRAP_HANDLER: 0
; COMPUTE_PGM_RSRC2:TGID_X_EN: 1
; COMPUTE_PGM_RSRC2:TGID_Y_EN: 0
; COMPUTE_PGM_RSRC2:TGID_Z_EN: 0
; COMPUTE_PGM_RSRC2:TIDIG_COMP_CNT: 2
	.section	.text._ZN7rocprim17ROCPRIM_400000_NS6detail17trampoline_kernelINS0_13kernel_configILj256ELj4ELj4294967295EEENS1_37radix_sort_block_sort_config_selectorIhNS0_10empty_typeEEEZNS1_21radix_sort_block_sortIS4_Lb0EPKhPhPS6_SC_NS0_19identity_decomposerEEE10hipError_tT1_T2_T3_T4_jRjT5_jjP12ihipStream_tbEUlT_E_NS1_11comp_targetILNS1_3genE5ELNS1_11target_archE942ELNS1_3gpuE9ELNS1_3repE0EEENS1_44radix_sort_block_sort_config_static_selectorELNS0_4arch9wavefront6targetE0EEEvSF_,"axG",@progbits,_ZN7rocprim17ROCPRIM_400000_NS6detail17trampoline_kernelINS0_13kernel_configILj256ELj4ELj4294967295EEENS1_37radix_sort_block_sort_config_selectorIhNS0_10empty_typeEEEZNS1_21radix_sort_block_sortIS4_Lb0EPKhPhPS6_SC_NS0_19identity_decomposerEEE10hipError_tT1_T2_T3_T4_jRjT5_jjP12ihipStream_tbEUlT_E_NS1_11comp_targetILNS1_3genE5ELNS1_11target_archE942ELNS1_3gpuE9ELNS1_3repE0EEENS1_44radix_sort_block_sort_config_static_selectorELNS0_4arch9wavefront6targetE0EEEvSF_,comdat
	.protected	_ZN7rocprim17ROCPRIM_400000_NS6detail17trampoline_kernelINS0_13kernel_configILj256ELj4ELj4294967295EEENS1_37radix_sort_block_sort_config_selectorIhNS0_10empty_typeEEEZNS1_21radix_sort_block_sortIS4_Lb0EPKhPhPS6_SC_NS0_19identity_decomposerEEE10hipError_tT1_T2_T3_T4_jRjT5_jjP12ihipStream_tbEUlT_E_NS1_11comp_targetILNS1_3genE5ELNS1_11target_archE942ELNS1_3gpuE9ELNS1_3repE0EEENS1_44radix_sort_block_sort_config_static_selectorELNS0_4arch9wavefront6targetE0EEEvSF_ ; -- Begin function _ZN7rocprim17ROCPRIM_400000_NS6detail17trampoline_kernelINS0_13kernel_configILj256ELj4ELj4294967295EEENS1_37radix_sort_block_sort_config_selectorIhNS0_10empty_typeEEEZNS1_21radix_sort_block_sortIS4_Lb0EPKhPhPS6_SC_NS0_19identity_decomposerEEE10hipError_tT1_T2_T3_T4_jRjT5_jjP12ihipStream_tbEUlT_E_NS1_11comp_targetILNS1_3genE5ELNS1_11target_archE942ELNS1_3gpuE9ELNS1_3repE0EEENS1_44radix_sort_block_sort_config_static_selectorELNS0_4arch9wavefront6targetE0EEEvSF_
	.globl	_ZN7rocprim17ROCPRIM_400000_NS6detail17trampoline_kernelINS0_13kernel_configILj256ELj4ELj4294967295EEENS1_37radix_sort_block_sort_config_selectorIhNS0_10empty_typeEEEZNS1_21radix_sort_block_sortIS4_Lb0EPKhPhPS6_SC_NS0_19identity_decomposerEEE10hipError_tT1_T2_T3_T4_jRjT5_jjP12ihipStream_tbEUlT_E_NS1_11comp_targetILNS1_3genE5ELNS1_11target_archE942ELNS1_3gpuE9ELNS1_3repE0EEENS1_44radix_sort_block_sort_config_static_selectorELNS0_4arch9wavefront6targetE0EEEvSF_
	.p2align	8
	.type	_ZN7rocprim17ROCPRIM_400000_NS6detail17trampoline_kernelINS0_13kernel_configILj256ELj4ELj4294967295EEENS1_37radix_sort_block_sort_config_selectorIhNS0_10empty_typeEEEZNS1_21radix_sort_block_sortIS4_Lb0EPKhPhPS6_SC_NS0_19identity_decomposerEEE10hipError_tT1_T2_T3_T4_jRjT5_jjP12ihipStream_tbEUlT_E_NS1_11comp_targetILNS1_3genE5ELNS1_11target_archE942ELNS1_3gpuE9ELNS1_3repE0EEENS1_44radix_sort_block_sort_config_static_selectorELNS0_4arch9wavefront6targetE0EEEvSF_,@function
_ZN7rocprim17ROCPRIM_400000_NS6detail17trampoline_kernelINS0_13kernel_configILj256ELj4ELj4294967295EEENS1_37radix_sort_block_sort_config_selectorIhNS0_10empty_typeEEEZNS1_21radix_sort_block_sortIS4_Lb0EPKhPhPS6_SC_NS0_19identity_decomposerEEE10hipError_tT1_T2_T3_T4_jRjT5_jjP12ihipStream_tbEUlT_E_NS1_11comp_targetILNS1_3genE5ELNS1_11target_archE942ELNS1_3gpuE9ELNS1_3repE0EEENS1_44radix_sort_block_sort_config_static_selectorELNS0_4arch9wavefront6targetE0EEEvSF_: ; @_ZN7rocprim17ROCPRIM_400000_NS6detail17trampoline_kernelINS0_13kernel_configILj256ELj4ELj4294967295EEENS1_37radix_sort_block_sort_config_selectorIhNS0_10empty_typeEEEZNS1_21radix_sort_block_sortIS4_Lb0EPKhPhPS6_SC_NS0_19identity_decomposerEEE10hipError_tT1_T2_T3_T4_jRjT5_jjP12ihipStream_tbEUlT_E_NS1_11comp_targetILNS1_3genE5ELNS1_11target_archE942ELNS1_3gpuE9ELNS1_3repE0EEENS1_44radix_sort_block_sort_config_static_selectorELNS0_4arch9wavefront6targetE0EEEvSF_
; %bb.0:
	.section	.rodata,"a",@progbits
	.p2align	6, 0x0
	.amdhsa_kernel _ZN7rocprim17ROCPRIM_400000_NS6detail17trampoline_kernelINS0_13kernel_configILj256ELj4ELj4294967295EEENS1_37radix_sort_block_sort_config_selectorIhNS0_10empty_typeEEEZNS1_21radix_sort_block_sortIS4_Lb0EPKhPhPS6_SC_NS0_19identity_decomposerEEE10hipError_tT1_T2_T3_T4_jRjT5_jjP12ihipStream_tbEUlT_E_NS1_11comp_targetILNS1_3genE5ELNS1_11target_archE942ELNS1_3gpuE9ELNS1_3repE0EEENS1_44radix_sort_block_sort_config_static_selectorELNS0_4arch9wavefront6targetE0EEEvSF_
		.amdhsa_group_segment_fixed_size 0
		.amdhsa_private_segment_fixed_size 0
		.amdhsa_kernarg_size 48
		.amdhsa_user_sgpr_count 2
		.amdhsa_user_sgpr_dispatch_ptr 0
		.amdhsa_user_sgpr_queue_ptr 0
		.amdhsa_user_sgpr_kernarg_segment_ptr 1
		.amdhsa_user_sgpr_dispatch_id 0
		.amdhsa_user_sgpr_kernarg_preload_length 0
		.amdhsa_user_sgpr_kernarg_preload_offset 0
		.amdhsa_user_sgpr_private_segment_size 0
		.amdhsa_wavefront_size32 1
		.amdhsa_uses_dynamic_stack 0
		.amdhsa_enable_private_segment 0
		.amdhsa_system_sgpr_workgroup_id_x 1
		.amdhsa_system_sgpr_workgroup_id_y 0
		.amdhsa_system_sgpr_workgroup_id_z 0
		.amdhsa_system_sgpr_workgroup_info 0
		.amdhsa_system_vgpr_workitem_id 0
		.amdhsa_next_free_vgpr 1
		.amdhsa_next_free_sgpr 1
		.amdhsa_named_barrier_count 0
		.amdhsa_reserve_vcc 0
		.amdhsa_float_round_mode_32 0
		.amdhsa_float_round_mode_16_64 0
		.amdhsa_float_denorm_mode_32 3
		.amdhsa_float_denorm_mode_16_64 3
		.amdhsa_fp16_overflow 0
		.amdhsa_memory_ordered 1
		.amdhsa_forward_progress 1
		.amdhsa_inst_pref_size 0
		.amdhsa_round_robin_scheduling 0
		.amdhsa_exception_fp_ieee_invalid_op 0
		.amdhsa_exception_fp_denorm_src 0
		.amdhsa_exception_fp_ieee_div_zero 0
		.amdhsa_exception_fp_ieee_overflow 0
		.amdhsa_exception_fp_ieee_underflow 0
		.amdhsa_exception_fp_ieee_inexact 0
		.amdhsa_exception_int_div_zero 0
	.end_amdhsa_kernel
	.section	.text._ZN7rocprim17ROCPRIM_400000_NS6detail17trampoline_kernelINS0_13kernel_configILj256ELj4ELj4294967295EEENS1_37radix_sort_block_sort_config_selectorIhNS0_10empty_typeEEEZNS1_21radix_sort_block_sortIS4_Lb0EPKhPhPS6_SC_NS0_19identity_decomposerEEE10hipError_tT1_T2_T3_T4_jRjT5_jjP12ihipStream_tbEUlT_E_NS1_11comp_targetILNS1_3genE5ELNS1_11target_archE942ELNS1_3gpuE9ELNS1_3repE0EEENS1_44radix_sort_block_sort_config_static_selectorELNS0_4arch9wavefront6targetE0EEEvSF_,"axG",@progbits,_ZN7rocprim17ROCPRIM_400000_NS6detail17trampoline_kernelINS0_13kernel_configILj256ELj4ELj4294967295EEENS1_37radix_sort_block_sort_config_selectorIhNS0_10empty_typeEEEZNS1_21radix_sort_block_sortIS4_Lb0EPKhPhPS6_SC_NS0_19identity_decomposerEEE10hipError_tT1_T2_T3_T4_jRjT5_jjP12ihipStream_tbEUlT_E_NS1_11comp_targetILNS1_3genE5ELNS1_11target_archE942ELNS1_3gpuE9ELNS1_3repE0EEENS1_44radix_sort_block_sort_config_static_selectorELNS0_4arch9wavefront6targetE0EEEvSF_,comdat
.Lfunc_end145:
	.size	_ZN7rocprim17ROCPRIM_400000_NS6detail17trampoline_kernelINS0_13kernel_configILj256ELj4ELj4294967295EEENS1_37radix_sort_block_sort_config_selectorIhNS0_10empty_typeEEEZNS1_21radix_sort_block_sortIS4_Lb0EPKhPhPS6_SC_NS0_19identity_decomposerEEE10hipError_tT1_T2_T3_T4_jRjT5_jjP12ihipStream_tbEUlT_E_NS1_11comp_targetILNS1_3genE5ELNS1_11target_archE942ELNS1_3gpuE9ELNS1_3repE0EEENS1_44radix_sort_block_sort_config_static_selectorELNS0_4arch9wavefront6targetE0EEEvSF_, .Lfunc_end145-_ZN7rocprim17ROCPRIM_400000_NS6detail17trampoline_kernelINS0_13kernel_configILj256ELj4ELj4294967295EEENS1_37radix_sort_block_sort_config_selectorIhNS0_10empty_typeEEEZNS1_21radix_sort_block_sortIS4_Lb0EPKhPhPS6_SC_NS0_19identity_decomposerEEE10hipError_tT1_T2_T3_T4_jRjT5_jjP12ihipStream_tbEUlT_E_NS1_11comp_targetILNS1_3genE5ELNS1_11target_archE942ELNS1_3gpuE9ELNS1_3repE0EEENS1_44radix_sort_block_sort_config_static_selectorELNS0_4arch9wavefront6targetE0EEEvSF_
                                        ; -- End function
	.set _ZN7rocprim17ROCPRIM_400000_NS6detail17trampoline_kernelINS0_13kernel_configILj256ELj4ELj4294967295EEENS1_37radix_sort_block_sort_config_selectorIhNS0_10empty_typeEEEZNS1_21radix_sort_block_sortIS4_Lb0EPKhPhPS6_SC_NS0_19identity_decomposerEEE10hipError_tT1_T2_T3_T4_jRjT5_jjP12ihipStream_tbEUlT_E_NS1_11comp_targetILNS1_3genE5ELNS1_11target_archE942ELNS1_3gpuE9ELNS1_3repE0EEENS1_44radix_sort_block_sort_config_static_selectorELNS0_4arch9wavefront6targetE0EEEvSF_.num_vgpr, 0
	.set _ZN7rocprim17ROCPRIM_400000_NS6detail17trampoline_kernelINS0_13kernel_configILj256ELj4ELj4294967295EEENS1_37radix_sort_block_sort_config_selectorIhNS0_10empty_typeEEEZNS1_21radix_sort_block_sortIS4_Lb0EPKhPhPS6_SC_NS0_19identity_decomposerEEE10hipError_tT1_T2_T3_T4_jRjT5_jjP12ihipStream_tbEUlT_E_NS1_11comp_targetILNS1_3genE5ELNS1_11target_archE942ELNS1_3gpuE9ELNS1_3repE0EEENS1_44radix_sort_block_sort_config_static_selectorELNS0_4arch9wavefront6targetE0EEEvSF_.num_agpr, 0
	.set _ZN7rocprim17ROCPRIM_400000_NS6detail17trampoline_kernelINS0_13kernel_configILj256ELj4ELj4294967295EEENS1_37radix_sort_block_sort_config_selectorIhNS0_10empty_typeEEEZNS1_21radix_sort_block_sortIS4_Lb0EPKhPhPS6_SC_NS0_19identity_decomposerEEE10hipError_tT1_T2_T3_T4_jRjT5_jjP12ihipStream_tbEUlT_E_NS1_11comp_targetILNS1_3genE5ELNS1_11target_archE942ELNS1_3gpuE9ELNS1_3repE0EEENS1_44radix_sort_block_sort_config_static_selectorELNS0_4arch9wavefront6targetE0EEEvSF_.numbered_sgpr, 0
	.set _ZN7rocprim17ROCPRIM_400000_NS6detail17trampoline_kernelINS0_13kernel_configILj256ELj4ELj4294967295EEENS1_37radix_sort_block_sort_config_selectorIhNS0_10empty_typeEEEZNS1_21radix_sort_block_sortIS4_Lb0EPKhPhPS6_SC_NS0_19identity_decomposerEEE10hipError_tT1_T2_T3_T4_jRjT5_jjP12ihipStream_tbEUlT_E_NS1_11comp_targetILNS1_3genE5ELNS1_11target_archE942ELNS1_3gpuE9ELNS1_3repE0EEENS1_44radix_sort_block_sort_config_static_selectorELNS0_4arch9wavefront6targetE0EEEvSF_.num_named_barrier, 0
	.set _ZN7rocprim17ROCPRIM_400000_NS6detail17trampoline_kernelINS0_13kernel_configILj256ELj4ELj4294967295EEENS1_37radix_sort_block_sort_config_selectorIhNS0_10empty_typeEEEZNS1_21radix_sort_block_sortIS4_Lb0EPKhPhPS6_SC_NS0_19identity_decomposerEEE10hipError_tT1_T2_T3_T4_jRjT5_jjP12ihipStream_tbEUlT_E_NS1_11comp_targetILNS1_3genE5ELNS1_11target_archE942ELNS1_3gpuE9ELNS1_3repE0EEENS1_44radix_sort_block_sort_config_static_selectorELNS0_4arch9wavefront6targetE0EEEvSF_.private_seg_size, 0
	.set _ZN7rocprim17ROCPRIM_400000_NS6detail17trampoline_kernelINS0_13kernel_configILj256ELj4ELj4294967295EEENS1_37radix_sort_block_sort_config_selectorIhNS0_10empty_typeEEEZNS1_21radix_sort_block_sortIS4_Lb0EPKhPhPS6_SC_NS0_19identity_decomposerEEE10hipError_tT1_T2_T3_T4_jRjT5_jjP12ihipStream_tbEUlT_E_NS1_11comp_targetILNS1_3genE5ELNS1_11target_archE942ELNS1_3gpuE9ELNS1_3repE0EEENS1_44radix_sort_block_sort_config_static_selectorELNS0_4arch9wavefront6targetE0EEEvSF_.uses_vcc, 0
	.set _ZN7rocprim17ROCPRIM_400000_NS6detail17trampoline_kernelINS0_13kernel_configILj256ELj4ELj4294967295EEENS1_37radix_sort_block_sort_config_selectorIhNS0_10empty_typeEEEZNS1_21radix_sort_block_sortIS4_Lb0EPKhPhPS6_SC_NS0_19identity_decomposerEEE10hipError_tT1_T2_T3_T4_jRjT5_jjP12ihipStream_tbEUlT_E_NS1_11comp_targetILNS1_3genE5ELNS1_11target_archE942ELNS1_3gpuE9ELNS1_3repE0EEENS1_44radix_sort_block_sort_config_static_selectorELNS0_4arch9wavefront6targetE0EEEvSF_.uses_flat_scratch, 0
	.set _ZN7rocprim17ROCPRIM_400000_NS6detail17trampoline_kernelINS0_13kernel_configILj256ELj4ELj4294967295EEENS1_37radix_sort_block_sort_config_selectorIhNS0_10empty_typeEEEZNS1_21radix_sort_block_sortIS4_Lb0EPKhPhPS6_SC_NS0_19identity_decomposerEEE10hipError_tT1_T2_T3_T4_jRjT5_jjP12ihipStream_tbEUlT_E_NS1_11comp_targetILNS1_3genE5ELNS1_11target_archE942ELNS1_3gpuE9ELNS1_3repE0EEENS1_44radix_sort_block_sort_config_static_selectorELNS0_4arch9wavefront6targetE0EEEvSF_.has_dyn_sized_stack, 0
	.set _ZN7rocprim17ROCPRIM_400000_NS6detail17trampoline_kernelINS0_13kernel_configILj256ELj4ELj4294967295EEENS1_37radix_sort_block_sort_config_selectorIhNS0_10empty_typeEEEZNS1_21radix_sort_block_sortIS4_Lb0EPKhPhPS6_SC_NS0_19identity_decomposerEEE10hipError_tT1_T2_T3_T4_jRjT5_jjP12ihipStream_tbEUlT_E_NS1_11comp_targetILNS1_3genE5ELNS1_11target_archE942ELNS1_3gpuE9ELNS1_3repE0EEENS1_44radix_sort_block_sort_config_static_selectorELNS0_4arch9wavefront6targetE0EEEvSF_.has_recursion, 0
	.set _ZN7rocprim17ROCPRIM_400000_NS6detail17trampoline_kernelINS0_13kernel_configILj256ELj4ELj4294967295EEENS1_37radix_sort_block_sort_config_selectorIhNS0_10empty_typeEEEZNS1_21radix_sort_block_sortIS4_Lb0EPKhPhPS6_SC_NS0_19identity_decomposerEEE10hipError_tT1_T2_T3_T4_jRjT5_jjP12ihipStream_tbEUlT_E_NS1_11comp_targetILNS1_3genE5ELNS1_11target_archE942ELNS1_3gpuE9ELNS1_3repE0EEENS1_44radix_sort_block_sort_config_static_selectorELNS0_4arch9wavefront6targetE0EEEvSF_.has_indirect_call, 0
	.section	.AMDGPU.csdata,"",@progbits
; Kernel info:
; codeLenInByte = 0
; TotalNumSgprs: 0
; NumVgprs: 0
; ScratchSize: 0
; MemoryBound: 0
; FloatMode: 240
; IeeeMode: 1
; LDSByteSize: 0 bytes/workgroup (compile time only)
; SGPRBlocks: 0
; VGPRBlocks: 0
; NumSGPRsForWavesPerEU: 1
; NumVGPRsForWavesPerEU: 1
; NamedBarCnt: 0
; Occupancy: 16
; WaveLimiterHint : 0
; COMPUTE_PGM_RSRC2:SCRATCH_EN: 0
; COMPUTE_PGM_RSRC2:USER_SGPR: 2
; COMPUTE_PGM_RSRC2:TRAP_HANDLER: 0
; COMPUTE_PGM_RSRC2:TGID_X_EN: 1
; COMPUTE_PGM_RSRC2:TGID_Y_EN: 0
; COMPUTE_PGM_RSRC2:TGID_Z_EN: 0
; COMPUTE_PGM_RSRC2:TIDIG_COMP_CNT: 0
	.section	.text._ZN7rocprim17ROCPRIM_400000_NS6detail17trampoline_kernelINS0_13kernel_configILj256ELj4ELj4294967295EEENS1_37radix_sort_block_sort_config_selectorIhNS0_10empty_typeEEEZNS1_21radix_sort_block_sortIS4_Lb0EPKhPhPS6_SC_NS0_19identity_decomposerEEE10hipError_tT1_T2_T3_T4_jRjT5_jjP12ihipStream_tbEUlT_E_NS1_11comp_targetILNS1_3genE4ELNS1_11target_archE910ELNS1_3gpuE8ELNS1_3repE0EEENS1_44radix_sort_block_sort_config_static_selectorELNS0_4arch9wavefront6targetE0EEEvSF_,"axG",@progbits,_ZN7rocprim17ROCPRIM_400000_NS6detail17trampoline_kernelINS0_13kernel_configILj256ELj4ELj4294967295EEENS1_37radix_sort_block_sort_config_selectorIhNS0_10empty_typeEEEZNS1_21radix_sort_block_sortIS4_Lb0EPKhPhPS6_SC_NS0_19identity_decomposerEEE10hipError_tT1_T2_T3_T4_jRjT5_jjP12ihipStream_tbEUlT_E_NS1_11comp_targetILNS1_3genE4ELNS1_11target_archE910ELNS1_3gpuE8ELNS1_3repE0EEENS1_44radix_sort_block_sort_config_static_selectorELNS0_4arch9wavefront6targetE0EEEvSF_,comdat
	.protected	_ZN7rocprim17ROCPRIM_400000_NS6detail17trampoline_kernelINS0_13kernel_configILj256ELj4ELj4294967295EEENS1_37radix_sort_block_sort_config_selectorIhNS0_10empty_typeEEEZNS1_21radix_sort_block_sortIS4_Lb0EPKhPhPS6_SC_NS0_19identity_decomposerEEE10hipError_tT1_T2_T3_T4_jRjT5_jjP12ihipStream_tbEUlT_E_NS1_11comp_targetILNS1_3genE4ELNS1_11target_archE910ELNS1_3gpuE8ELNS1_3repE0EEENS1_44radix_sort_block_sort_config_static_selectorELNS0_4arch9wavefront6targetE0EEEvSF_ ; -- Begin function _ZN7rocprim17ROCPRIM_400000_NS6detail17trampoline_kernelINS0_13kernel_configILj256ELj4ELj4294967295EEENS1_37radix_sort_block_sort_config_selectorIhNS0_10empty_typeEEEZNS1_21radix_sort_block_sortIS4_Lb0EPKhPhPS6_SC_NS0_19identity_decomposerEEE10hipError_tT1_T2_T3_T4_jRjT5_jjP12ihipStream_tbEUlT_E_NS1_11comp_targetILNS1_3genE4ELNS1_11target_archE910ELNS1_3gpuE8ELNS1_3repE0EEENS1_44radix_sort_block_sort_config_static_selectorELNS0_4arch9wavefront6targetE0EEEvSF_
	.globl	_ZN7rocprim17ROCPRIM_400000_NS6detail17trampoline_kernelINS0_13kernel_configILj256ELj4ELj4294967295EEENS1_37radix_sort_block_sort_config_selectorIhNS0_10empty_typeEEEZNS1_21radix_sort_block_sortIS4_Lb0EPKhPhPS6_SC_NS0_19identity_decomposerEEE10hipError_tT1_T2_T3_T4_jRjT5_jjP12ihipStream_tbEUlT_E_NS1_11comp_targetILNS1_3genE4ELNS1_11target_archE910ELNS1_3gpuE8ELNS1_3repE0EEENS1_44radix_sort_block_sort_config_static_selectorELNS0_4arch9wavefront6targetE0EEEvSF_
	.p2align	8
	.type	_ZN7rocprim17ROCPRIM_400000_NS6detail17trampoline_kernelINS0_13kernel_configILj256ELj4ELj4294967295EEENS1_37radix_sort_block_sort_config_selectorIhNS0_10empty_typeEEEZNS1_21radix_sort_block_sortIS4_Lb0EPKhPhPS6_SC_NS0_19identity_decomposerEEE10hipError_tT1_T2_T3_T4_jRjT5_jjP12ihipStream_tbEUlT_E_NS1_11comp_targetILNS1_3genE4ELNS1_11target_archE910ELNS1_3gpuE8ELNS1_3repE0EEENS1_44radix_sort_block_sort_config_static_selectorELNS0_4arch9wavefront6targetE0EEEvSF_,@function
_ZN7rocprim17ROCPRIM_400000_NS6detail17trampoline_kernelINS0_13kernel_configILj256ELj4ELj4294967295EEENS1_37radix_sort_block_sort_config_selectorIhNS0_10empty_typeEEEZNS1_21radix_sort_block_sortIS4_Lb0EPKhPhPS6_SC_NS0_19identity_decomposerEEE10hipError_tT1_T2_T3_T4_jRjT5_jjP12ihipStream_tbEUlT_E_NS1_11comp_targetILNS1_3genE4ELNS1_11target_archE910ELNS1_3gpuE8ELNS1_3repE0EEENS1_44radix_sort_block_sort_config_static_selectorELNS0_4arch9wavefront6targetE0EEEvSF_: ; @_ZN7rocprim17ROCPRIM_400000_NS6detail17trampoline_kernelINS0_13kernel_configILj256ELj4ELj4294967295EEENS1_37radix_sort_block_sort_config_selectorIhNS0_10empty_typeEEEZNS1_21radix_sort_block_sortIS4_Lb0EPKhPhPS6_SC_NS0_19identity_decomposerEEE10hipError_tT1_T2_T3_T4_jRjT5_jjP12ihipStream_tbEUlT_E_NS1_11comp_targetILNS1_3genE4ELNS1_11target_archE910ELNS1_3gpuE8ELNS1_3repE0EEENS1_44radix_sort_block_sort_config_static_selectorELNS0_4arch9wavefront6targetE0EEEvSF_
; %bb.0:
	.section	.rodata,"a",@progbits
	.p2align	6, 0x0
	.amdhsa_kernel _ZN7rocprim17ROCPRIM_400000_NS6detail17trampoline_kernelINS0_13kernel_configILj256ELj4ELj4294967295EEENS1_37radix_sort_block_sort_config_selectorIhNS0_10empty_typeEEEZNS1_21radix_sort_block_sortIS4_Lb0EPKhPhPS6_SC_NS0_19identity_decomposerEEE10hipError_tT1_T2_T3_T4_jRjT5_jjP12ihipStream_tbEUlT_E_NS1_11comp_targetILNS1_3genE4ELNS1_11target_archE910ELNS1_3gpuE8ELNS1_3repE0EEENS1_44radix_sort_block_sort_config_static_selectorELNS0_4arch9wavefront6targetE0EEEvSF_
		.amdhsa_group_segment_fixed_size 0
		.amdhsa_private_segment_fixed_size 0
		.amdhsa_kernarg_size 48
		.amdhsa_user_sgpr_count 2
		.amdhsa_user_sgpr_dispatch_ptr 0
		.amdhsa_user_sgpr_queue_ptr 0
		.amdhsa_user_sgpr_kernarg_segment_ptr 1
		.amdhsa_user_sgpr_dispatch_id 0
		.amdhsa_user_sgpr_kernarg_preload_length 0
		.amdhsa_user_sgpr_kernarg_preload_offset 0
		.amdhsa_user_sgpr_private_segment_size 0
		.amdhsa_wavefront_size32 1
		.amdhsa_uses_dynamic_stack 0
		.amdhsa_enable_private_segment 0
		.amdhsa_system_sgpr_workgroup_id_x 1
		.amdhsa_system_sgpr_workgroup_id_y 0
		.amdhsa_system_sgpr_workgroup_id_z 0
		.amdhsa_system_sgpr_workgroup_info 0
		.amdhsa_system_vgpr_workitem_id 0
		.amdhsa_next_free_vgpr 1
		.amdhsa_next_free_sgpr 1
		.amdhsa_named_barrier_count 0
		.amdhsa_reserve_vcc 0
		.amdhsa_float_round_mode_32 0
		.amdhsa_float_round_mode_16_64 0
		.amdhsa_float_denorm_mode_32 3
		.amdhsa_float_denorm_mode_16_64 3
		.amdhsa_fp16_overflow 0
		.amdhsa_memory_ordered 1
		.amdhsa_forward_progress 1
		.amdhsa_inst_pref_size 0
		.amdhsa_round_robin_scheduling 0
		.amdhsa_exception_fp_ieee_invalid_op 0
		.amdhsa_exception_fp_denorm_src 0
		.amdhsa_exception_fp_ieee_div_zero 0
		.amdhsa_exception_fp_ieee_overflow 0
		.amdhsa_exception_fp_ieee_underflow 0
		.amdhsa_exception_fp_ieee_inexact 0
		.amdhsa_exception_int_div_zero 0
	.end_amdhsa_kernel
	.section	.text._ZN7rocprim17ROCPRIM_400000_NS6detail17trampoline_kernelINS0_13kernel_configILj256ELj4ELj4294967295EEENS1_37radix_sort_block_sort_config_selectorIhNS0_10empty_typeEEEZNS1_21radix_sort_block_sortIS4_Lb0EPKhPhPS6_SC_NS0_19identity_decomposerEEE10hipError_tT1_T2_T3_T4_jRjT5_jjP12ihipStream_tbEUlT_E_NS1_11comp_targetILNS1_3genE4ELNS1_11target_archE910ELNS1_3gpuE8ELNS1_3repE0EEENS1_44radix_sort_block_sort_config_static_selectorELNS0_4arch9wavefront6targetE0EEEvSF_,"axG",@progbits,_ZN7rocprim17ROCPRIM_400000_NS6detail17trampoline_kernelINS0_13kernel_configILj256ELj4ELj4294967295EEENS1_37radix_sort_block_sort_config_selectorIhNS0_10empty_typeEEEZNS1_21radix_sort_block_sortIS4_Lb0EPKhPhPS6_SC_NS0_19identity_decomposerEEE10hipError_tT1_T2_T3_T4_jRjT5_jjP12ihipStream_tbEUlT_E_NS1_11comp_targetILNS1_3genE4ELNS1_11target_archE910ELNS1_3gpuE8ELNS1_3repE0EEENS1_44radix_sort_block_sort_config_static_selectorELNS0_4arch9wavefront6targetE0EEEvSF_,comdat
.Lfunc_end146:
	.size	_ZN7rocprim17ROCPRIM_400000_NS6detail17trampoline_kernelINS0_13kernel_configILj256ELj4ELj4294967295EEENS1_37radix_sort_block_sort_config_selectorIhNS0_10empty_typeEEEZNS1_21radix_sort_block_sortIS4_Lb0EPKhPhPS6_SC_NS0_19identity_decomposerEEE10hipError_tT1_T2_T3_T4_jRjT5_jjP12ihipStream_tbEUlT_E_NS1_11comp_targetILNS1_3genE4ELNS1_11target_archE910ELNS1_3gpuE8ELNS1_3repE0EEENS1_44radix_sort_block_sort_config_static_selectorELNS0_4arch9wavefront6targetE0EEEvSF_, .Lfunc_end146-_ZN7rocprim17ROCPRIM_400000_NS6detail17trampoline_kernelINS0_13kernel_configILj256ELj4ELj4294967295EEENS1_37radix_sort_block_sort_config_selectorIhNS0_10empty_typeEEEZNS1_21radix_sort_block_sortIS4_Lb0EPKhPhPS6_SC_NS0_19identity_decomposerEEE10hipError_tT1_T2_T3_T4_jRjT5_jjP12ihipStream_tbEUlT_E_NS1_11comp_targetILNS1_3genE4ELNS1_11target_archE910ELNS1_3gpuE8ELNS1_3repE0EEENS1_44radix_sort_block_sort_config_static_selectorELNS0_4arch9wavefront6targetE0EEEvSF_
                                        ; -- End function
	.set _ZN7rocprim17ROCPRIM_400000_NS6detail17trampoline_kernelINS0_13kernel_configILj256ELj4ELj4294967295EEENS1_37radix_sort_block_sort_config_selectorIhNS0_10empty_typeEEEZNS1_21radix_sort_block_sortIS4_Lb0EPKhPhPS6_SC_NS0_19identity_decomposerEEE10hipError_tT1_T2_T3_T4_jRjT5_jjP12ihipStream_tbEUlT_E_NS1_11comp_targetILNS1_3genE4ELNS1_11target_archE910ELNS1_3gpuE8ELNS1_3repE0EEENS1_44radix_sort_block_sort_config_static_selectorELNS0_4arch9wavefront6targetE0EEEvSF_.num_vgpr, 0
	.set _ZN7rocprim17ROCPRIM_400000_NS6detail17trampoline_kernelINS0_13kernel_configILj256ELj4ELj4294967295EEENS1_37radix_sort_block_sort_config_selectorIhNS0_10empty_typeEEEZNS1_21radix_sort_block_sortIS4_Lb0EPKhPhPS6_SC_NS0_19identity_decomposerEEE10hipError_tT1_T2_T3_T4_jRjT5_jjP12ihipStream_tbEUlT_E_NS1_11comp_targetILNS1_3genE4ELNS1_11target_archE910ELNS1_3gpuE8ELNS1_3repE0EEENS1_44radix_sort_block_sort_config_static_selectorELNS0_4arch9wavefront6targetE0EEEvSF_.num_agpr, 0
	.set _ZN7rocprim17ROCPRIM_400000_NS6detail17trampoline_kernelINS0_13kernel_configILj256ELj4ELj4294967295EEENS1_37radix_sort_block_sort_config_selectorIhNS0_10empty_typeEEEZNS1_21radix_sort_block_sortIS4_Lb0EPKhPhPS6_SC_NS0_19identity_decomposerEEE10hipError_tT1_T2_T3_T4_jRjT5_jjP12ihipStream_tbEUlT_E_NS1_11comp_targetILNS1_3genE4ELNS1_11target_archE910ELNS1_3gpuE8ELNS1_3repE0EEENS1_44radix_sort_block_sort_config_static_selectorELNS0_4arch9wavefront6targetE0EEEvSF_.numbered_sgpr, 0
	.set _ZN7rocprim17ROCPRIM_400000_NS6detail17trampoline_kernelINS0_13kernel_configILj256ELj4ELj4294967295EEENS1_37radix_sort_block_sort_config_selectorIhNS0_10empty_typeEEEZNS1_21radix_sort_block_sortIS4_Lb0EPKhPhPS6_SC_NS0_19identity_decomposerEEE10hipError_tT1_T2_T3_T4_jRjT5_jjP12ihipStream_tbEUlT_E_NS1_11comp_targetILNS1_3genE4ELNS1_11target_archE910ELNS1_3gpuE8ELNS1_3repE0EEENS1_44radix_sort_block_sort_config_static_selectorELNS0_4arch9wavefront6targetE0EEEvSF_.num_named_barrier, 0
	.set _ZN7rocprim17ROCPRIM_400000_NS6detail17trampoline_kernelINS0_13kernel_configILj256ELj4ELj4294967295EEENS1_37radix_sort_block_sort_config_selectorIhNS0_10empty_typeEEEZNS1_21radix_sort_block_sortIS4_Lb0EPKhPhPS6_SC_NS0_19identity_decomposerEEE10hipError_tT1_T2_T3_T4_jRjT5_jjP12ihipStream_tbEUlT_E_NS1_11comp_targetILNS1_3genE4ELNS1_11target_archE910ELNS1_3gpuE8ELNS1_3repE0EEENS1_44radix_sort_block_sort_config_static_selectorELNS0_4arch9wavefront6targetE0EEEvSF_.private_seg_size, 0
	.set _ZN7rocprim17ROCPRIM_400000_NS6detail17trampoline_kernelINS0_13kernel_configILj256ELj4ELj4294967295EEENS1_37radix_sort_block_sort_config_selectorIhNS0_10empty_typeEEEZNS1_21radix_sort_block_sortIS4_Lb0EPKhPhPS6_SC_NS0_19identity_decomposerEEE10hipError_tT1_T2_T3_T4_jRjT5_jjP12ihipStream_tbEUlT_E_NS1_11comp_targetILNS1_3genE4ELNS1_11target_archE910ELNS1_3gpuE8ELNS1_3repE0EEENS1_44radix_sort_block_sort_config_static_selectorELNS0_4arch9wavefront6targetE0EEEvSF_.uses_vcc, 0
	.set _ZN7rocprim17ROCPRIM_400000_NS6detail17trampoline_kernelINS0_13kernel_configILj256ELj4ELj4294967295EEENS1_37radix_sort_block_sort_config_selectorIhNS0_10empty_typeEEEZNS1_21radix_sort_block_sortIS4_Lb0EPKhPhPS6_SC_NS0_19identity_decomposerEEE10hipError_tT1_T2_T3_T4_jRjT5_jjP12ihipStream_tbEUlT_E_NS1_11comp_targetILNS1_3genE4ELNS1_11target_archE910ELNS1_3gpuE8ELNS1_3repE0EEENS1_44radix_sort_block_sort_config_static_selectorELNS0_4arch9wavefront6targetE0EEEvSF_.uses_flat_scratch, 0
	.set _ZN7rocprim17ROCPRIM_400000_NS6detail17trampoline_kernelINS0_13kernel_configILj256ELj4ELj4294967295EEENS1_37radix_sort_block_sort_config_selectorIhNS0_10empty_typeEEEZNS1_21radix_sort_block_sortIS4_Lb0EPKhPhPS6_SC_NS0_19identity_decomposerEEE10hipError_tT1_T2_T3_T4_jRjT5_jjP12ihipStream_tbEUlT_E_NS1_11comp_targetILNS1_3genE4ELNS1_11target_archE910ELNS1_3gpuE8ELNS1_3repE0EEENS1_44radix_sort_block_sort_config_static_selectorELNS0_4arch9wavefront6targetE0EEEvSF_.has_dyn_sized_stack, 0
	.set _ZN7rocprim17ROCPRIM_400000_NS6detail17trampoline_kernelINS0_13kernel_configILj256ELj4ELj4294967295EEENS1_37radix_sort_block_sort_config_selectorIhNS0_10empty_typeEEEZNS1_21radix_sort_block_sortIS4_Lb0EPKhPhPS6_SC_NS0_19identity_decomposerEEE10hipError_tT1_T2_T3_T4_jRjT5_jjP12ihipStream_tbEUlT_E_NS1_11comp_targetILNS1_3genE4ELNS1_11target_archE910ELNS1_3gpuE8ELNS1_3repE0EEENS1_44radix_sort_block_sort_config_static_selectorELNS0_4arch9wavefront6targetE0EEEvSF_.has_recursion, 0
	.set _ZN7rocprim17ROCPRIM_400000_NS6detail17trampoline_kernelINS0_13kernel_configILj256ELj4ELj4294967295EEENS1_37radix_sort_block_sort_config_selectorIhNS0_10empty_typeEEEZNS1_21radix_sort_block_sortIS4_Lb0EPKhPhPS6_SC_NS0_19identity_decomposerEEE10hipError_tT1_T2_T3_T4_jRjT5_jjP12ihipStream_tbEUlT_E_NS1_11comp_targetILNS1_3genE4ELNS1_11target_archE910ELNS1_3gpuE8ELNS1_3repE0EEENS1_44radix_sort_block_sort_config_static_selectorELNS0_4arch9wavefront6targetE0EEEvSF_.has_indirect_call, 0
	.section	.AMDGPU.csdata,"",@progbits
; Kernel info:
; codeLenInByte = 0
; TotalNumSgprs: 0
; NumVgprs: 0
; ScratchSize: 0
; MemoryBound: 0
; FloatMode: 240
; IeeeMode: 1
; LDSByteSize: 0 bytes/workgroup (compile time only)
; SGPRBlocks: 0
; VGPRBlocks: 0
; NumSGPRsForWavesPerEU: 1
; NumVGPRsForWavesPerEU: 1
; NamedBarCnt: 0
; Occupancy: 16
; WaveLimiterHint : 0
; COMPUTE_PGM_RSRC2:SCRATCH_EN: 0
; COMPUTE_PGM_RSRC2:USER_SGPR: 2
; COMPUTE_PGM_RSRC2:TRAP_HANDLER: 0
; COMPUTE_PGM_RSRC2:TGID_X_EN: 1
; COMPUTE_PGM_RSRC2:TGID_Y_EN: 0
; COMPUTE_PGM_RSRC2:TGID_Z_EN: 0
; COMPUTE_PGM_RSRC2:TIDIG_COMP_CNT: 0
	.section	.text._ZN7rocprim17ROCPRIM_400000_NS6detail17trampoline_kernelINS0_13kernel_configILj256ELj4ELj4294967295EEENS1_37radix_sort_block_sort_config_selectorIhNS0_10empty_typeEEEZNS1_21radix_sort_block_sortIS4_Lb0EPKhPhPS6_SC_NS0_19identity_decomposerEEE10hipError_tT1_T2_T3_T4_jRjT5_jjP12ihipStream_tbEUlT_E_NS1_11comp_targetILNS1_3genE3ELNS1_11target_archE908ELNS1_3gpuE7ELNS1_3repE0EEENS1_44radix_sort_block_sort_config_static_selectorELNS0_4arch9wavefront6targetE0EEEvSF_,"axG",@progbits,_ZN7rocprim17ROCPRIM_400000_NS6detail17trampoline_kernelINS0_13kernel_configILj256ELj4ELj4294967295EEENS1_37radix_sort_block_sort_config_selectorIhNS0_10empty_typeEEEZNS1_21radix_sort_block_sortIS4_Lb0EPKhPhPS6_SC_NS0_19identity_decomposerEEE10hipError_tT1_T2_T3_T4_jRjT5_jjP12ihipStream_tbEUlT_E_NS1_11comp_targetILNS1_3genE3ELNS1_11target_archE908ELNS1_3gpuE7ELNS1_3repE0EEENS1_44radix_sort_block_sort_config_static_selectorELNS0_4arch9wavefront6targetE0EEEvSF_,comdat
	.protected	_ZN7rocprim17ROCPRIM_400000_NS6detail17trampoline_kernelINS0_13kernel_configILj256ELj4ELj4294967295EEENS1_37radix_sort_block_sort_config_selectorIhNS0_10empty_typeEEEZNS1_21radix_sort_block_sortIS4_Lb0EPKhPhPS6_SC_NS0_19identity_decomposerEEE10hipError_tT1_T2_T3_T4_jRjT5_jjP12ihipStream_tbEUlT_E_NS1_11comp_targetILNS1_3genE3ELNS1_11target_archE908ELNS1_3gpuE7ELNS1_3repE0EEENS1_44radix_sort_block_sort_config_static_selectorELNS0_4arch9wavefront6targetE0EEEvSF_ ; -- Begin function _ZN7rocprim17ROCPRIM_400000_NS6detail17trampoline_kernelINS0_13kernel_configILj256ELj4ELj4294967295EEENS1_37radix_sort_block_sort_config_selectorIhNS0_10empty_typeEEEZNS1_21radix_sort_block_sortIS4_Lb0EPKhPhPS6_SC_NS0_19identity_decomposerEEE10hipError_tT1_T2_T3_T4_jRjT5_jjP12ihipStream_tbEUlT_E_NS1_11comp_targetILNS1_3genE3ELNS1_11target_archE908ELNS1_3gpuE7ELNS1_3repE0EEENS1_44radix_sort_block_sort_config_static_selectorELNS0_4arch9wavefront6targetE0EEEvSF_
	.globl	_ZN7rocprim17ROCPRIM_400000_NS6detail17trampoline_kernelINS0_13kernel_configILj256ELj4ELj4294967295EEENS1_37radix_sort_block_sort_config_selectorIhNS0_10empty_typeEEEZNS1_21radix_sort_block_sortIS4_Lb0EPKhPhPS6_SC_NS0_19identity_decomposerEEE10hipError_tT1_T2_T3_T4_jRjT5_jjP12ihipStream_tbEUlT_E_NS1_11comp_targetILNS1_3genE3ELNS1_11target_archE908ELNS1_3gpuE7ELNS1_3repE0EEENS1_44radix_sort_block_sort_config_static_selectorELNS0_4arch9wavefront6targetE0EEEvSF_
	.p2align	8
	.type	_ZN7rocprim17ROCPRIM_400000_NS6detail17trampoline_kernelINS0_13kernel_configILj256ELj4ELj4294967295EEENS1_37radix_sort_block_sort_config_selectorIhNS0_10empty_typeEEEZNS1_21radix_sort_block_sortIS4_Lb0EPKhPhPS6_SC_NS0_19identity_decomposerEEE10hipError_tT1_T2_T3_T4_jRjT5_jjP12ihipStream_tbEUlT_E_NS1_11comp_targetILNS1_3genE3ELNS1_11target_archE908ELNS1_3gpuE7ELNS1_3repE0EEENS1_44radix_sort_block_sort_config_static_selectorELNS0_4arch9wavefront6targetE0EEEvSF_,@function
_ZN7rocprim17ROCPRIM_400000_NS6detail17trampoline_kernelINS0_13kernel_configILj256ELj4ELj4294967295EEENS1_37radix_sort_block_sort_config_selectorIhNS0_10empty_typeEEEZNS1_21radix_sort_block_sortIS4_Lb0EPKhPhPS6_SC_NS0_19identity_decomposerEEE10hipError_tT1_T2_T3_T4_jRjT5_jjP12ihipStream_tbEUlT_E_NS1_11comp_targetILNS1_3genE3ELNS1_11target_archE908ELNS1_3gpuE7ELNS1_3repE0EEENS1_44radix_sort_block_sort_config_static_selectorELNS0_4arch9wavefront6targetE0EEEvSF_: ; @_ZN7rocprim17ROCPRIM_400000_NS6detail17trampoline_kernelINS0_13kernel_configILj256ELj4ELj4294967295EEENS1_37radix_sort_block_sort_config_selectorIhNS0_10empty_typeEEEZNS1_21radix_sort_block_sortIS4_Lb0EPKhPhPS6_SC_NS0_19identity_decomposerEEE10hipError_tT1_T2_T3_T4_jRjT5_jjP12ihipStream_tbEUlT_E_NS1_11comp_targetILNS1_3genE3ELNS1_11target_archE908ELNS1_3gpuE7ELNS1_3repE0EEENS1_44radix_sort_block_sort_config_static_selectorELNS0_4arch9wavefront6targetE0EEEvSF_
; %bb.0:
	.section	.rodata,"a",@progbits
	.p2align	6, 0x0
	.amdhsa_kernel _ZN7rocprim17ROCPRIM_400000_NS6detail17trampoline_kernelINS0_13kernel_configILj256ELj4ELj4294967295EEENS1_37radix_sort_block_sort_config_selectorIhNS0_10empty_typeEEEZNS1_21radix_sort_block_sortIS4_Lb0EPKhPhPS6_SC_NS0_19identity_decomposerEEE10hipError_tT1_T2_T3_T4_jRjT5_jjP12ihipStream_tbEUlT_E_NS1_11comp_targetILNS1_3genE3ELNS1_11target_archE908ELNS1_3gpuE7ELNS1_3repE0EEENS1_44radix_sort_block_sort_config_static_selectorELNS0_4arch9wavefront6targetE0EEEvSF_
		.amdhsa_group_segment_fixed_size 0
		.amdhsa_private_segment_fixed_size 0
		.amdhsa_kernarg_size 48
		.amdhsa_user_sgpr_count 2
		.amdhsa_user_sgpr_dispatch_ptr 0
		.amdhsa_user_sgpr_queue_ptr 0
		.amdhsa_user_sgpr_kernarg_segment_ptr 1
		.amdhsa_user_sgpr_dispatch_id 0
		.amdhsa_user_sgpr_kernarg_preload_length 0
		.amdhsa_user_sgpr_kernarg_preload_offset 0
		.amdhsa_user_sgpr_private_segment_size 0
		.amdhsa_wavefront_size32 1
		.amdhsa_uses_dynamic_stack 0
		.amdhsa_enable_private_segment 0
		.amdhsa_system_sgpr_workgroup_id_x 1
		.amdhsa_system_sgpr_workgroup_id_y 0
		.amdhsa_system_sgpr_workgroup_id_z 0
		.amdhsa_system_sgpr_workgroup_info 0
		.amdhsa_system_vgpr_workitem_id 0
		.amdhsa_next_free_vgpr 1
		.amdhsa_next_free_sgpr 1
		.amdhsa_named_barrier_count 0
		.amdhsa_reserve_vcc 0
		.amdhsa_float_round_mode_32 0
		.amdhsa_float_round_mode_16_64 0
		.amdhsa_float_denorm_mode_32 3
		.amdhsa_float_denorm_mode_16_64 3
		.amdhsa_fp16_overflow 0
		.amdhsa_memory_ordered 1
		.amdhsa_forward_progress 1
		.amdhsa_inst_pref_size 0
		.amdhsa_round_robin_scheduling 0
		.amdhsa_exception_fp_ieee_invalid_op 0
		.amdhsa_exception_fp_denorm_src 0
		.amdhsa_exception_fp_ieee_div_zero 0
		.amdhsa_exception_fp_ieee_overflow 0
		.amdhsa_exception_fp_ieee_underflow 0
		.amdhsa_exception_fp_ieee_inexact 0
		.amdhsa_exception_int_div_zero 0
	.end_amdhsa_kernel
	.section	.text._ZN7rocprim17ROCPRIM_400000_NS6detail17trampoline_kernelINS0_13kernel_configILj256ELj4ELj4294967295EEENS1_37radix_sort_block_sort_config_selectorIhNS0_10empty_typeEEEZNS1_21radix_sort_block_sortIS4_Lb0EPKhPhPS6_SC_NS0_19identity_decomposerEEE10hipError_tT1_T2_T3_T4_jRjT5_jjP12ihipStream_tbEUlT_E_NS1_11comp_targetILNS1_3genE3ELNS1_11target_archE908ELNS1_3gpuE7ELNS1_3repE0EEENS1_44radix_sort_block_sort_config_static_selectorELNS0_4arch9wavefront6targetE0EEEvSF_,"axG",@progbits,_ZN7rocprim17ROCPRIM_400000_NS6detail17trampoline_kernelINS0_13kernel_configILj256ELj4ELj4294967295EEENS1_37radix_sort_block_sort_config_selectorIhNS0_10empty_typeEEEZNS1_21radix_sort_block_sortIS4_Lb0EPKhPhPS6_SC_NS0_19identity_decomposerEEE10hipError_tT1_T2_T3_T4_jRjT5_jjP12ihipStream_tbEUlT_E_NS1_11comp_targetILNS1_3genE3ELNS1_11target_archE908ELNS1_3gpuE7ELNS1_3repE0EEENS1_44radix_sort_block_sort_config_static_selectorELNS0_4arch9wavefront6targetE0EEEvSF_,comdat
.Lfunc_end147:
	.size	_ZN7rocprim17ROCPRIM_400000_NS6detail17trampoline_kernelINS0_13kernel_configILj256ELj4ELj4294967295EEENS1_37radix_sort_block_sort_config_selectorIhNS0_10empty_typeEEEZNS1_21radix_sort_block_sortIS4_Lb0EPKhPhPS6_SC_NS0_19identity_decomposerEEE10hipError_tT1_T2_T3_T4_jRjT5_jjP12ihipStream_tbEUlT_E_NS1_11comp_targetILNS1_3genE3ELNS1_11target_archE908ELNS1_3gpuE7ELNS1_3repE0EEENS1_44radix_sort_block_sort_config_static_selectorELNS0_4arch9wavefront6targetE0EEEvSF_, .Lfunc_end147-_ZN7rocprim17ROCPRIM_400000_NS6detail17trampoline_kernelINS0_13kernel_configILj256ELj4ELj4294967295EEENS1_37radix_sort_block_sort_config_selectorIhNS0_10empty_typeEEEZNS1_21radix_sort_block_sortIS4_Lb0EPKhPhPS6_SC_NS0_19identity_decomposerEEE10hipError_tT1_T2_T3_T4_jRjT5_jjP12ihipStream_tbEUlT_E_NS1_11comp_targetILNS1_3genE3ELNS1_11target_archE908ELNS1_3gpuE7ELNS1_3repE0EEENS1_44radix_sort_block_sort_config_static_selectorELNS0_4arch9wavefront6targetE0EEEvSF_
                                        ; -- End function
	.set _ZN7rocprim17ROCPRIM_400000_NS6detail17trampoline_kernelINS0_13kernel_configILj256ELj4ELj4294967295EEENS1_37radix_sort_block_sort_config_selectorIhNS0_10empty_typeEEEZNS1_21radix_sort_block_sortIS4_Lb0EPKhPhPS6_SC_NS0_19identity_decomposerEEE10hipError_tT1_T2_T3_T4_jRjT5_jjP12ihipStream_tbEUlT_E_NS1_11comp_targetILNS1_3genE3ELNS1_11target_archE908ELNS1_3gpuE7ELNS1_3repE0EEENS1_44radix_sort_block_sort_config_static_selectorELNS0_4arch9wavefront6targetE0EEEvSF_.num_vgpr, 0
	.set _ZN7rocprim17ROCPRIM_400000_NS6detail17trampoline_kernelINS0_13kernel_configILj256ELj4ELj4294967295EEENS1_37radix_sort_block_sort_config_selectorIhNS0_10empty_typeEEEZNS1_21radix_sort_block_sortIS4_Lb0EPKhPhPS6_SC_NS0_19identity_decomposerEEE10hipError_tT1_T2_T3_T4_jRjT5_jjP12ihipStream_tbEUlT_E_NS1_11comp_targetILNS1_3genE3ELNS1_11target_archE908ELNS1_3gpuE7ELNS1_3repE0EEENS1_44radix_sort_block_sort_config_static_selectorELNS0_4arch9wavefront6targetE0EEEvSF_.num_agpr, 0
	.set _ZN7rocprim17ROCPRIM_400000_NS6detail17trampoline_kernelINS0_13kernel_configILj256ELj4ELj4294967295EEENS1_37radix_sort_block_sort_config_selectorIhNS0_10empty_typeEEEZNS1_21radix_sort_block_sortIS4_Lb0EPKhPhPS6_SC_NS0_19identity_decomposerEEE10hipError_tT1_T2_T3_T4_jRjT5_jjP12ihipStream_tbEUlT_E_NS1_11comp_targetILNS1_3genE3ELNS1_11target_archE908ELNS1_3gpuE7ELNS1_3repE0EEENS1_44radix_sort_block_sort_config_static_selectorELNS0_4arch9wavefront6targetE0EEEvSF_.numbered_sgpr, 0
	.set _ZN7rocprim17ROCPRIM_400000_NS6detail17trampoline_kernelINS0_13kernel_configILj256ELj4ELj4294967295EEENS1_37radix_sort_block_sort_config_selectorIhNS0_10empty_typeEEEZNS1_21radix_sort_block_sortIS4_Lb0EPKhPhPS6_SC_NS0_19identity_decomposerEEE10hipError_tT1_T2_T3_T4_jRjT5_jjP12ihipStream_tbEUlT_E_NS1_11comp_targetILNS1_3genE3ELNS1_11target_archE908ELNS1_3gpuE7ELNS1_3repE0EEENS1_44radix_sort_block_sort_config_static_selectorELNS0_4arch9wavefront6targetE0EEEvSF_.num_named_barrier, 0
	.set _ZN7rocprim17ROCPRIM_400000_NS6detail17trampoline_kernelINS0_13kernel_configILj256ELj4ELj4294967295EEENS1_37radix_sort_block_sort_config_selectorIhNS0_10empty_typeEEEZNS1_21radix_sort_block_sortIS4_Lb0EPKhPhPS6_SC_NS0_19identity_decomposerEEE10hipError_tT1_T2_T3_T4_jRjT5_jjP12ihipStream_tbEUlT_E_NS1_11comp_targetILNS1_3genE3ELNS1_11target_archE908ELNS1_3gpuE7ELNS1_3repE0EEENS1_44radix_sort_block_sort_config_static_selectorELNS0_4arch9wavefront6targetE0EEEvSF_.private_seg_size, 0
	.set _ZN7rocprim17ROCPRIM_400000_NS6detail17trampoline_kernelINS0_13kernel_configILj256ELj4ELj4294967295EEENS1_37radix_sort_block_sort_config_selectorIhNS0_10empty_typeEEEZNS1_21radix_sort_block_sortIS4_Lb0EPKhPhPS6_SC_NS0_19identity_decomposerEEE10hipError_tT1_T2_T3_T4_jRjT5_jjP12ihipStream_tbEUlT_E_NS1_11comp_targetILNS1_3genE3ELNS1_11target_archE908ELNS1_3gpuE7ELNS1_3repE0EEENS1_44radix_sort_block_sort_config_static_selectorELNS0_4arch9wavefront6targetE0EEEvSF_.uses_vcc, 0
	.set _ZN7rocprim17ROCPRIM_400000_NS6detail17trampoline_kernelINS0_13kernel_configILj256ELj4ELj4294967295EEENS1_37radix_sort_block_sort_config_selectorIhNS0_10empty_typeEEEZNS1_21radix_sort_block_sortIS4_Lb0EPKhPhPS6_SC_NS0_19identity_decomposerEEE10hipError_tT1_T2_T3_T4_jRjT5_jjP12ihipStream_tbEUlT_E_NS1_11comp_targetILNS1_3genE3ELNS1_11target_archE908ELNS1_3gpuE7ELNS1_3repE0EEENS1_44radix_sort_block_sort_config_static_selectorELNS0_4arch9wavefront6targetE0EEEvSF_.uses_flat_scratch, 0
	.set _ZN7rocprim17ROCPRIM_400000_NS6detail17trampoline_kernelINS0_13kernel_configILj256ELj4ELj4294967295EEENS1_37radix_sort_block_sort_config_selectorIhNS0_10empty_typeEEEZNS1_21radix_sort_block_sortIS4_Lb0EPKhPhPS6_SC_NS0_19identity_decomposerEEE10hipError_tT1_T2_T3_T4_jRjT5_jjP12ihipStream_tbEUlT_E_NS1_11comp_targetILNS1_3genE3ELNS1_11target_archE908ELNS1_3gpuE7ELNS1_3repE0EEENS1_44radix_sort_block_sort_config_static_selectorELNS0_4arch9wavefront6targetE0EEEvSF_.has_dyn_sized_stack, 0
	.set _ZN7rocprim17ROCPRIM_400000_NS6detail17trampoline_kernelINS0_13kernel_configILj256ELj4ELj4294967295EEENS1_37radix_sort_block_sort_config_selectorIhNS0_10empty_typeEEEZNS1_21radix_sort_block_sortIS4_Lb0EPKhPhPS6_SC_NS0_19identity_decomposerEEE10hipError_tT1_T2_T3_T4_jRjT5_jjP12ihipStream_tbEUlT_E_NS1_11comp_targetILNS1_3genE3ELNS1_11target_archE908ELNS1_3gpuE7ELNS1_3repE0EEENS1_44radix_sort_block_sort_config_static_selectorELNS0_4arch9wavefront6targetE0EEEvSF_.has_recursion, 0
	.set _ZN7rocprim17ROCPRIM_400000_NS6detail17trampoline_kernelINS0_13kernel_configILj256ELj4ELj4294967295EEENS1_37radix_sort_block_sort_config_selectorIhNS0_10empty_typeEEEZNS1_21radix_sort_block_sortIS4_Lb0EPKhPhPS6_SC_NS0_19identity_decomposerEEE10hipError_tT1_T2_T3_T4_jRjT5_jjP12ihipStream_tbEUlT_E_NS1_11comp_targetILNS1_3genE3ELNS1_11target_archE908ELNS1_3gpuE7ELNS1_3repE0EEENS1_44radix_sort_block_sort_config_static_selectorELNS0_4arch9wavefront6targetE0EEEvSF_.has_indirect_call, 0
	.section	.AMDGPU.csdata,"",@progbits
; Kernel info:
; codeLenInByte = 0
; TotalNumSgprs: 0
; NumVgprs: 0
; ScratchSize: 0
; MemoryBound: 0
; FloatMode: 240
; IeeeMode: 1
; LDSByteSize: 0 bytes/workgroup (compile time only)
; SGPRBlocks: 0
; VGPRBlocks: 0
; NumSGPRsForWavesPerEU: 1
; NumVGPRsForWavesPerEU: 1
; NamedBarCnt: 0
; Occupancy: 16
; WaveLimiterHint : 0
; COMPUTE_PGM_RSRC2:SCRATCH_EN: 0
; COMPUTE_PGM_RSRC2:USER_SGPR: 2
; COMPUTE_PGM_RSRC2:TRAP_HANDLER: 0
; COMPUTE_PGM_RSRC2:TGID_X_EN: 1
; COMPUTE_PGM_RSRC2:TGID_Y_EN: 0
; COMPUTE_PGM_RSRC2:TGID_Z_EN: 0
; COMPUTE_PGM_RSRC2:TIDIG_COMP_CNT: 0
	.section	.text._ZN7rocprim17ROCPRIM_400000_NS6detail17trampoline_kernelINS0_13kernel_configILj256ELj4ELj4294967295EEENS1_37radix_sort_block_sort_config_selectorIhNS0_10empty_typeEEEZNS1_21radix_sort_block_sortIS4_Lb0EPKhPhPS6_SC_NS0_19identity_decomposerEEE10hipError_tT1_T2_T3_T4_jRjT5_jjP12ihipStream_tbEUlT_E_NS1_11comp_targetILNS1_3genE2ELNS1_11target_archE906ELNS1_3gpuE6ELNS1_3repE0EEENS1_44radix_sort_block_sort_config_static_selectorELNS0_4arch9wavefront6targetE0EEEvSF_,"axG",@progbits,_ZN7rocprim17ROCPRIM_400000_NS6detail17trampoline_kernelINS0_13kernel_configILj256ELj4ELj4294967295EEENS1_37radix_sort_block_sort_config_selectorIhNS0_10empty_typeEEEZNS1_21radix_sort_block_sortIS4_Lb0EPKhPhPS6_SC_NS0_19identity_decomposerEEE10hipError_tT1_T2_T3_T4_jRjT5_jjP12ihipStream_tbEUlT_E_NS1_11comp_targetILNS1_3genE2ELNS1_11target_archE906ELNS1_3gpuE6ELNS1_3repE0EEENS1_44radix_sort_block_sort_config_static_selectorELNS0_4arch9wavefront6targetE0EEEvSF_,comdat
	.protected	_ZN7rocprim17ROCPRIM_400000_NS6detail17trampoline_kernelINS0_13kernel_configILj256ELj4ELj4294967295EEENS1_37radix_sort_block_sort_config_selectorIhNS0_10empty_typeEEEZNS1_21radix_sort_block_sortIS4_Lb0EPKhPhPS6_SC_NS0_19identity_decomposerEEE10hipError_tT1_T2_T3_T4_jRjT5_jjP12ihipStream_tbEUlT_E_NS1_11comp_targetILNS1_3genE2ELNS1_11target_archE906ELNS1_3gpuE6ELNS1_3repE0EEENS1_44radix_sort_block_sort_config_static_selectorELNS0_4arch9wavefront6targetE0EEEvSF_ ; -- Begin function _ZN7rocprim17ROCPRIM_400000_NS6detail17trampoline_kernelINS0_13kernel_configILj256ELj4ELj4294967295EEENS1_37radix_sort_block_sort_config_selectorIhNS0_10empty_typeEEEZNS1_21radix_sort_block_sortIS4_Lb0EPKhPhPS6_SC_NS0_19identity_decomposerEEE10hipError_tT1_T2_T3_T4_jRjT5_jjP12ihipStream_tbEUlT_E_NS1_11comp_targetILNS1_3genE2ELNS1_11target_archE906ELNS1_3gpuE6ELNS1_3repE0EEENS1_44radix_sort_block_sort_config_static_selectorELNS0_4arch9wavefront6targetE0EEEvSF_
	.globl	_ZN7rocprim17ROCPRIM_400000_NS6detail17trampoline_kernelINS0_13kernel_configILj256ELj4ELj4294967295EEENS1_37radix_sort_block_sort_config_selectorIhNS0_10empty_typeEEEZNS1_21radix_sort_block_sortIS4_Lb0EPKhPhPS6_SC_NS0_19identity_decomposerEEE10hipError_tT1_T2_T3_T4_jRjT5_jjP12ihipStream_tbEUlT_E_NS1_11comp_targetILNS1_3genE2ELNS1_11target_archE906ELNS1_3gpuE6ELNS1_3repE0EEENS1_44radix_sort_block_sort_config_static_selectorELNS0_4arch9wavefront6targetE0EEEvSF_
	.p2align	8
	.type	_ZN7rocprim17ROCPRIM_400000_NS6detail17trampoline_kernelINS0_13kernel_configILj256ELj4ELj4294967295EEENS1_37radix_sort_block_sort_config_selectorIhNS0_10empty_typeEEEZNS1_21radix_sort_block_sortIS4_Lb0EPKhPhPS6_SC_NS0_19identity_decomposerEEE10hipError_tT1_T2_T3_T4_jRjT5_jjP12ihipStream_tbEUlT_E_NS1_11comp_targetILNS1_3genE2ELNS1_11target_archE906ELNS1_3gpuE6ELNS1_3repE0EEENS1_44radix_sort_block_sort_config_static_selectorELNS0_4arch9wavefront6targetE0EEEvSF_,@function
_ZN7rocprim17ROCPRIM_400000_NS6detail17trampoline_kernelINS0_13kernel_configILj256ELj4ELj4294967295EEENS1_37radix_sort_block_sort_config_selectorIhNS0_10empty_typeEEEZNS1_21radix_sort_block_sortIS4_Lb0EPKhPhPS6_SC_NS0_19identity_decomposerEEE10hipError_tT1_T2_T3_T4_jRjT5_jjP12ihipStream_tbEUlT_E_NS1_11comp_targetILNS1_3genE2ELNS1_11target_archE906ELNS1_3gpuE6ELNS1_3repE0EEENS1_44radix_sort_block_sort_config_static_selectorELNS0_4arch9wavefront6targetE0EEEvSF_: ; @_ZN7rocprim17ROCPRIM_400000_NS6detail17trampoline_kernelINS0_13kernel_configILj256ELj4ELj4294967295EEENS1_37radix_sort_block_sort_config_selectorIhNS0_10empty_typeEEEZNS1_21radix_sort_block_sortIS4_Lb0EPKhPhPS6_SC_NS0_19identity_decomposerEEE10hipError_tT1_T2_T3_T4_jRjT5_jjP12ihipStream_tbEUlT_E_NS1_11comp_targetILNS1_3genE2ELNS1_11target_archE906ELNS1_3gpuE6ELNS1_3repE0EEENS1_44radix_sort_block_sort_config_static_selectorELNS0_4arch9wavefront6targetE0EEEvSF_
; %bb.0:
	.section	.rodata,"a",@progbits
	.p2align	6, 0x0
	.amdhsa_kernel _ZN7rocprim17ROCPRIM_400000_NS6detail17trampoline_kernelINS0_13kernel_configILj256ELj4ELj4294967295EEENS1_37radix_sort_block_sort_config_selectorIhNS0_10empty_typeEEEZNS1_21radix_sort_block_sortIS4_Lb0EPKhPhPS6_SC_NS0_19identity_decomposerEEE10hipError_tT1_T2_T3_T4_jRjT5_jjP12ihipStream_tbEUlT_E_NS1_11comp_targetILNS1_3genE2ELNS1_11target_archE906ELNS1_3gpuE6ELNS1_3repE0EEENS1_44radix_sort_block_sort_config_static_selectorELNS0_4arch9wavefront6targetE0EEEvSF_
		.amdhsa_group_segment_fixed_size 0
		.amdhsa_private_segment_fixed_size 0
		.amdhsa_kernarg_size 48
		.amdhsa_user_sgpr_count 2
		.amdhsa_user_sgpr_dispatch_ptr 0
		.amdhsa_user_sgpr_queue_ptr 0
		.amdhsa_user_sgpr_kernarg_segment_ptr 1
		.amdhsa_user_sgpr_dispatch_id 0
		.amdhsa_user_sgpr_kernarg_preload_length 0
		.amdhsa_user_sgpr_kernarg_preload_offset 0
		.amdhsa_user_sgpr_private_segment_size 0
		.amdhsa_wavefront_size32 1
		.amdhsa_uses_dynamic_stack 0
		.amdhsa_enable_private_segment 0
		.amdhsa_system_sgpr_workgroup_id_x 1
		.amdhsa_system_sgpr_workgroup_id_y 0
		.amdhsa_system_sgpr_workgroup_id_z 0
		.amdhsa_system_sgpr_workgroup_info 0
		.amdhsa_system_vgpr_workitem_id 0
		.amdhsa_next_free_vgpr 1
		.amdhsa_next_free_sgpr 1
		.amdhsa_named_barrier_count 0
		.amdhsa_reserve_vcc 0
		.amdhsa_float_round_mode_32 0
		.amdhsa_float_round_mode_16_64 0
		.amdhsa_float_denorm_mode_32 3
		.amdhsa_float_denorm_mode_16_64 3
		.amdhsa_fp16_overflow 0
		.amdhsa_memory_ordered 1
		.amdhsa_forward_progress 1
		.amdhsa_inst_pref_size 0
		.amdhsa_round_robin_scheduling 0
		.amdhsa_exception_fp_ieee_invalid_op 0
		.amdhsa_exception_fp_denorm_src 0
		.amdhsa_exception_fp_ieee_div_zero 0
		.amdhsa_exception_fp_ieee_overflow 0
		.amdhsa_exception_fp_ieee_underflow 0
		.amdhsa_exception_fp_ieee_inexact 0
		.amdhsa_exception_int_div_zero 0
	.end_amdhsa_kernel
	.section	.text._ZN7rocprim17ROCPRIM_400000_NS6detail17trampoline_kernelINS0_13kernel_configILj256ELj4ELj4294967295EEENS1_37radix_sort_block_sort_config_selectorIhNS0_10empty_typeEEEZNS1_21radix_sort_block_sortIS4_Lb0EPKhPhPS6_SC_NS0_19identity_decomposerEEE10hipError_tT1_T2_T3_T4_jRjT5_jjP12ihipStream_tbEUlT_E_NS1_11comp_targetILNS1_3genE2ELNS1_11target_archE906ELNS1_3gpuE6ELNS1_3repE0EEENS1_44radix_sort_block_sort_config_static_selectorELNS0_4arch9wavefront6targetE0EEEvSF_,"axG",@progbits,_ZN7rocprim17ROCPRIM_400000_NS6detail17trampoline_kernelINS0_13kernel_configILj256ELj4ELj4294967295EEENS1_37radix_sort_block_sort_config_selectorIhNS0_10empty_typeEEEZNS1_21radix_sort_block_sortIS4_Lb0EPKhPhPS6_SC_NS0_19identity_decomposerEEE10hipError_tT1_T2_T3_T4_jRjT5_jjP12ihipStream_tbEUlT_E_NS1_11comp_targetILNS1_3genE2ELNS1_11target_archE906ELNS1_3gpuE6ELNS1_3repE0EEENS1_44radix_sort_block_sort_config_static_selectorELNS0_4arch9wavefront6targetE0EEEvSF_,comdat
.Lfunc_end148:
	.size	_ZN7rocprim17ROCPRIM_400000_NS6detail17trampoline_kernelINS0_13kernel_configILj256ELj4ELj4294967295EEENS1_37radix_sort_block_sort_config_selectorIhNS0_10empty_typeEEEZNS1_21radix_sort_block_sortIS4_Lb0EPKhPhPS6_SC_NS0_19identity_decomposerEEE10hipError_tT1_T2_T3_T4_jRjT5_jjP12ihipStream_tbEUlT_E_NS1_11comp_targetILNS1_3genE2ELNS1_11target_archE906ELNS1_3gpuE6ELNS1_3repE0EEENS1_44radix_sort_block_sort_config_static_selectorELNS0_4arch9wavefront6targetE0EEEvSF_, .Lfunc_end148-_ZN7rocprim17ROCPRIM_400000_NS6detail17trampoline_kernelINS0_13kernel_configILj256ELj4ELj4294967295EEENS1_37radix_sort_block_sort_config_selectorIhNS0_10empty_typeEEEZNS1_21radix_sort_block_sortIS4_Lb0EPKhPhPS6_SC_NS0_19identity_decomposerEEE10hipError_tT1_T2_T3_T4_jRjT5_jjP12ihipStream_tbEUlT_E_NS1_11comp_targetILNS1_3genE2ELNS1_11target_archE906ELNS1_3gpuE6ELNS1_3repE0EEENS1_44radix_sort_block_sort_config_static_selectorELNS0_4arch9wavefront6targetE0EEEvSF_
                                        ; -- End function
	.set _ZN7rocprim17ROCPRIM_400000_NS6detail17trampoline_kernelINS0_13kernel_configILj256ELj4ELj4294967295EEENS1_37radix_sort_block_sort_config_selectorIhNS0_10empty_typeEEEZNS1_21radix_sort_block_sortIS4_Lb0EPKhPhPS6_SC_NS0_19identity_decomposerEEE10hipError_tT1_T2_T3_T4_jRjT5_jjP12ihipStream_tbEUlT_E_NS1_11comp_targetILNS1_3genE2ELNS1_11target_archE906ELNS1_3gpuE6ELNS1_3repE0EEENS1_44radix_sort_block_sort_config_static_selectorELNS0_4arch9wavefront6targetE0EEEvSF_.num_vgpr, 0
	.set _ZN7rocprim17ROCPRIM_400000_NS6detail17trampoline_kernelINS0_13kernel_configILj256ELj4ELj4294967295EEENS1_37radix_sort_block_sort_config_selectorIhNS0_10empty_typeEEEZNS1_21radix_sort_block_sortIS4_Lb0EPKhPhPS6_SC_NS0_19identity_decomposerEEE10hipError_tT1_T2_T3_T4_jRjT5_jjP12ihipStream_tbEUlT_E_NS1_11comp_targetILNS1_3genE2ELNS1_11target_archE906ELNS1_3gpuE6ELNS1_3repE0EEENS1_44radix_sort_block_sort_config_static_selectorELNS0_4arch9wavefront6targetE0EEEvSF_.num_agpr, 0
	.set _ZN7rocprim17ROCPRIM_400000_NS6detail17trampoline_kernelINS0_13kernel_configILj256ELj4ELj4294967295EEENS1_37radix_sort_block_sort_config_selectorIhNS0_10empty_typeEEEZNS1_21radix_sort_block_sortIS4_Lb0EPKhPhPS6_SC_NS0_19identity_decomposerEEE10hipError_tT1_T2_T3_T4_jRjT5_jjP12ihipStream_tbEUlT_E_NS1_11comp_targetILNS1_3genE2ELNS1_11target_archE906ELNS1_3gpuE6ELNS1_3repE0EEENS1_44radix_sort_block_sort_config_static_selectorELNS0_4arch9wavefront6targetE0EEEvSF_.numbered_sgpr, 0
	.set _ZN7rocprim17ROCPRIM_400000_NS6detail17trampoline_kernelINS0_13kernel_configILj256ELj4ELj4294967295EEENS1_37radix_sort_block_sort_config_selectorIhNS0_10empty_typeEEEZNS1_21radix_sort_block_sortIS4_Lb0EPKhPhPS6_SC_NS0_19identity_decomposerEEE10hipError_tT1_T2_T3_T4_jRjT5_jjP12ihipStream_tbEUlT_E_NS1_11comp_targetILNS1_3genE2ELNS1_11target_archE906ELNS1_3gpuE6ELNS1_3repE0EEENS1_44radix_sort_block_sort_config_static_selectorELNS0_4arch9wavefront6targetE0EEEvSF_.num_named_barrier, 0
	.set _ZN7rocprim17ROCPRIM_400000_NS6detail17trampoline_kernelINS0_13kernel_configILj256ELj4ELj4294967295EEENS1_37radix_sort_block_sort_config_selectorIhNS0_10empty_typeEEEZNS1_21radix_sort_block_sortIS4_Lb0EPKhPhPS6_SC_NS0_19identity_decomposerEEE10hipError_tT1_T2_T3_T4_jRjT5_jjP12ihipStream_tbEUlT_E_NS1_11comp_targetILNS1_3genE2ELNS1_11target_archE906ELNS1_3gpuE6ELNS1_3repE0EEENS1_44radix_sort_block_sort_config_static_selectorELNS0_4arch9wavefront6targetE0EEEvSF_.private_seg_size, 0
	.set _ZN7rocprim17ROCPRIM_400000_NS6detail17trampoline_kernelINS0_13kernel_configILj256ELj4ELj4294967295EEENS1_37radix_sort_block_sort_config_selectorIhNS0_10empty_typeEEEZNS1_21radix_sort_block_sortIS4_Lb0EPKhPhPS6_SC_NS0_19identity_decomposerEEE10hipError_tT1_T2_T3_T4_jRjT5_jjP12ihipStream_tbEUlT_E_NS1_11comp_targetILNS1_3genE2ELNS1_11target_archE906ELNS1_3gpuE6ELNS1_3repE0EEENS1_44radix_sort_block_sort_config_static_selectorELNS0_4arch9wavefront6targetE0EEEvSF_.uses_vcc, 0
	.set _ZN7rocprim17ROCPRIM_400000_NS6detail17trampoline_kernelINS0_13kernel_configILj256ELj4ELj4294967295EEENS1_37radix_sort_block_sort_config_selectorIhNS0_10empty_typeEEEZNS1_21radix_sort_block_sortIS4_Lb0EPKhPhPS6_SC_NS0_19identity_decomposerEEE10hipError_tT1_T2_T3_T4_jRjT5_jjP12ihipStream_tbEUlT_E_NS1_11comp_targetILNS1_3genE2ELNS1_11target_archE906ELNS1_3gpuE6ELNS1_3repE0EEENS1_44radix_sort_block_sort_config_static_selectorELNS0_4arch9wavefront6targetE0EEEvSF_.uses_flat_scratch, 0
	.set _ZN7rocprim17ROCPRIM_400000_NS6detail17trampoline_kernelINS0_13kernel_configILj256ELj4ELj4294967295EEENS1_37radix_sort_block_sort_config_selectorIhNS0_10empty_typeEEEZNS1_21radix_sort_block_sortIS4_Lb0EPKhPhPS6_SC_NS0_19identity_decomposerEEE10hipError_tT1_T2_T3_T4_jRjT5_jjP12ihipStream_tbEUlT_E_NS1_11comp_targetILNS1_3genE2ELNS1_11target_archE906ELNS1_3gpuE6ELNS1_3repE0EEENS1_44radix_sort_block_sort_config_static_selectorELNS0_4arch9wavefront6targetE0EEEvSF_.has_dyn_sized_stack, 0
	.set _ZN7rocprim17ROCPRIM_400000_NS6detail17trampoline_kernelINS0_13kernel_configILj256ELj4ELj4294967295EEENS1_37radix_sort_block_sort_config_selectorIhNS0_10empty_typeEEEZNS1_21radix_sort_block_sortIS4_Lb0EPKhPhPS6_SC_NS0_19identity_decomposerEEE10hipError_tT1_T2_T3_T4_jRjT5_jjP12ihipStream_tbEUlT_E_NS1_11comp_targetILNS1_3genE2ELNS1_11target_archE906ELNS1_3gpuE6ELNS1_3repE0EEENS1_44radix_sort_block_sort_config_static_selectorELNS0_4arch9wavefront6targetE0EEEvSF_.has_recursion, 0
	.set _ZN7rocprim17ROCPRIM_400000_NS6detail17trampoline_kernelINS0_13kernel_configILj256ELj4ELj4294967295EEENS1_37radix_sort_block_sort_config_selectorIhNS0_10empty_typeEEEZNS1_21radix_sort_block_sortIS4_Lb0EPKhPhPS6_SC_NS0_19identity_decomposerEEE10hipError_tT1_T2_T3_T4_jRjT5_jjP12ihipStream_tbEUlT_E_NS1_11comp_targetILNS1_3genE2ELNS1_11target_archE906ELNS1_3gpuE6ELNS1_3repE0EEENS1_44radix_sort_block_sort_config_static_selectorELNS0_4arch9wavefront6targetE0EEEvSF_.has_indirect_call, 0
	.section	.AMDGPU.csdata,"",@progbits
; Kernel info:
; codeLenInByte = 0
; TotalNumSgprs: 0
; NumVgprs: 0
; ScratchSize: 0
; MemoryBound: 0
; FloatMode: 240
; IeeeMode: 1
; LDSByteSize: 0 bytes/workgroup (compile time only)
; SGPRBlocks: 0
; VGPRBlocks: 0
; NumSGPRsForWavesPerEU: 1
; NumVGPRsForWavesPerEU: 1
; NamedBarCnt: 0
; Occupancy: 16
; WaveLimiterHint : 0
; COMPUTE_PGM_RSRC2:SCRATCH_EN: 0
; COMPUTE_PGM_RSRC2:USER_SGPR: 2
; COMPUTE_PGM_RSRC2:TRAP_HANDLER: 0
; COMPUTE_PGM_RSRC2:TGID_X_EN: 1
; COMPUTE_PGM_RSRC2:TGID_Y_EN: 0
; COMPUTE_PGM_RSRC2:TGID_Z_EN: 0
; COMPUTE_PGM_RSRC2:TIDIG_COMP_CNT: 0
	.section	.text._ZN7rocprim17ROCPRIM_400000_NS6detail17trampoline_kernelINS0_13kernel_configILj256ELj4ELj4294967295EEENS1_37radix_sort_block_sort_config_selectorIhNS0_10empty_typeEEEZNS1_21radix_sort_block_sortIS4_Lb0EPKhPhPS6_SC_NS0_19identity_decomposerEEE10hipError_tT1_T2_T3_T4_jRjT5_jjP12ihipStream_tbEUlT_E_NS1_11comp_targetILNS1_3genE10ELNS1_11target_archE1201ELNS1_3gpuE5ELNS1_3repE0EEENS1_44radix_sort_block_sort_config_static_selectorELNS0_4arch9wavefront6targetE0EEEvSF_,"axG",@progbits,_ZN7rocprim17ROCPRIM_400000_NS6detail17trampoline_kernelINS0_13kernel_configILj256ELj4ELj4294967295EEENS1_37radix_sort_block_sort_config_selectorIhNS0_10empty_typeEEEZNS1_21radix_sort_block_sortIS4_Lb0EPKhPhPS6_SC_NS0_19identity_decomposerEEE10hipError_tT1_T2_T3_T4_jRjT5_jjP12ihipStream_tbEUlT_E_NS1_11comp_targetILNS1_3genE10ELNS1_11target_archE1201ELNS1_3gpuE5ELNS1_3repE0EEENS1_44radix_sort_block_sort_config_static_selectorELNS0_4arch9wavefront6targetE0EEEvSF_,comdat
	.protected	_ZN7rocprim17ROCPRIM_400000_NS6detail17trampoline_kernelINS0_13kernel_configILj256ELj4ELj4294967295EEENS1_37radix_sort_block_sort_config_selectorIhNS0_10empty_typeEEEZNS1_21radix_sort_block_sortIS4_Lb0EPKhPhPS6_SC_NS0_19identity_decomposerEEE10hipError_tT1_T2_T3_T4_jRjT5_jjP12ihipStream_tbEUlT_E_NS1_11comp_targetILNS1_3genE10ELNS1_11target_archE1201ELNS1_3gpuE5ELNS1_3repE0EEENS1_44radix_sort_block_sort_config_static_selectorELNS0_4arch9wavefront6targetE0EEEvSF_ ; -- Begin function _ZN7rocprim17ROCPRIM_400000_NS6detail17trampoline_kernelINS0_13kernel_configILj256ELj4ELj4294967295EEENS1_37radix_sort_block_sort_config_selectorIhNS0_10empty_typeEEEZNS1_21radix_sort_block_sortIS4_Lb0EPKhPhPS6_SC_NS0_19identity_decomposerEEE10hipError_tT1_T2_T3_T4_jRjT5_jjP12ihipStream_tbEUlT_E_NS1_11comp_targetILNS1_3genE10ELNS1_11target_archE1201ELNS1_3gpuE5ELNS1_3repE0EEENS1_44radix_sort_block_sort_config_static_selectorELNS0_4arch9wavefront6targetE0EEEvSF_
	.globl	_ZN7rocprim17ROCPRIM_400000_NS6detail17trampoline_kernelINS0_13kernel_configILj256ELj4ELj4294967295EEENS1_37radix_sort_block_sort_config_selectorIhNS0_10empty_typeEEEZNS1_21radix_sort_block_sortIS4_Lb0EPKhPhPS6_SC_NS0_19identity_decomposerEEE10hipError_tT1_T2_T3_T4_jRjT5_jjP12ihipStream_tbEUlT_E_NS1_11comp_targetILNS1_3genE10ELNS1_11target_archE1201ELNS1_3gpuE5ELNS1_3repE0EEENS1_44radix_sort_block_sort_config_static_selectorELNS0_4arch9wavefront6targetE0EEEvSF_
	.p2align	8
	.type	_ZN7rocprim17ROCPRIM_400000_NS6detail17trampoline_kernelINS0_13kernel_configILj256ELj4ELj4294967295EEENS1_37radix_sort_block_sort_config_selectorIhNS0_10empty_typeEEEZNS1_21radix_sort_block_sortIS4_Lb0EPKhPhPS6_SC_NS0_19identity_decomposerEEE10hipError_tT1_T2_T3_T4_jRjT5_jjP12ihipStream_tbEUlT_E_NS1_11comp_targetILNS1_3genE10ELNS1_11target_archE1201ELNS1_3gpuE5ELNS1_3repE0EEENS1_44radix_sort_block_sort_config_static_selectorELNS0_4arch9wavefront6targetE0EEEvSF_,@function
_ZN7rocprim17ROCPRIM_400000_NS6detail17trampoline_kernelINS0_13kernel_configILj256ELj4ELj4294967295EEENS1_37radix_sort_block_sort_config_selectorIhNS0_10empty_typeEEEZNS1_21radix_sort_block_sortIS4_Lb0EPKhPhPS6_SC_NS0_19identity_decomposerEEE10hipError_tT1_T2_T3_T4_jRjT5_jjP12ihipStream_tbEUlT_E_NS1_11comp_targetILNS1_3genE10ELNS1_11target_archE1201ELNS1_3gpuE5ELNS1_3repE0EEENS1_44radix_sort_block_sort_config_static_selectorELNS0_4arch9wavefront6targetE0EEEvSF_: ; @_ZN7rocprim17ROCPRIM_400000_NS6detail17trampoline_kernelINS0_13kernel_configILj256ELj4ELj4294967295EEENS1_37radix_sort_block_sort_config_selectorIhNS0_10empty_typeEEEZNS1_21radix_sort_block_sortIS4_Lb0EPKhPhPS6_SC_NS0_19identity_decomposerEEE10hipError_tT1_T2_T3_T4_jRjT5_jjP12ihipStream_tbEUlT_E_NS1_11comp_targetILNS1_3genE10ELNS1_11target_archE1201ELNS1_3gpuE5ELNS1_3repE0EEENS1_44radix_sort_block_sort_config_static_selectorELNS0_4arch9wavefront6targetE0EEEvSF_
; %bb.0:
	.section	.rodata,"a",@progbits
	.p2align	6, 0x0
	.amdhsa_kernel _ZN7rocprim17ROCPRIM_400000_NS6detail17trampoline_kernelINS0_13kernel_configILj256ELj4ELj4294967295EEENS1_37radix_sort_block_sort_config_selectorIhNS0_10empty_typeEEEZNS1_21radix_sort_block_sortIS4_Lb0EPKhPhPS6_SC_NS0_19identity_decomposerEEE10hipError_tT1_T2_T3_T4_jRjT5_jjP12ihipStream_tbEUlT_E_NS1_11comp_targetILNS1_3genE10ELNS1_11target_archE1201ELNS1_3gpuE5ELNS1_3repE0EEENS1_44radix_sort_block_sort_config_static_selectorELNS0_4arch9wavefront6targetE0EEEvSF_
		.amdhsa_group_segment_fixed_size 0
		.amdhsa_private_segment_fixed_size 0
		.amdhsa_kernarg_size 48
		.amdhsa_user_sgpr_count 2
		.amdhsa_user_sgpr_dispatch_ptr 0
		.amdhsa_user_sgpr_queue_ptr 0
		.amdhsa_user_sgpr_kernarg_segment_ptr 1
		.amdhsa_user_sgpr_dispatch_id 0
		.amdhsa_user_sgpr_kernarg_preload_length 0
		.amdhsa_user_sgpr_kernarg_preload_offset 0
		.amdhsa_user_sgpr_private_segment_size 0
		.amdhsa_wavefront_size32 1
		.amdhsa_uses_dynamic_stack 0
		.amdhsa_enable_private_segment 0
		.amdhsa_system_sgpr_workgroup_id_x 1
		.amdhsa_system_sgpr_workgroup_id_y 0
		.amdhsa_system_sgpr_workgroup_id_z 0
		.amdhsa_system_sgpr_workgroup_info 0
		.amdhsa_system_vgpr_workitem_id 0
		.amdhsa_next_free_vgpr 1
		.amdhsa_next_free_sgpr 1
		.amdhsa_named_barrier_count 0
		.amdhsa_reserve_vcc 0
		.amdhsa_float_round_mode_32 0
		.amdhsa_float_round_mode_16_64 0
		.amdhsa_float_denorm_mode_32 3
		.amdhsa_float_denorm_mode_16_64 3
		.amdhsa_fp16_overflow 0
		.amdhsa_memory_ordered 1
		.amdhsa_forward_progress 1
		.amdhsa_inst_pref_size 0
		.amdhsa_round_robin_scheduling 0
		.amdhsa_exception_fp_ieee_invalid_op 0
		.amdhsa_exception_fp_denorm_src 0
		.amdhsa_exception_fp_ieee_div_zero 0
		.amdhsa_exception_fp_ieee_overflow 0
		.amdhsa_exception_fp_ieee_underflow 0
		.amdhsa_exception_fp_ieee_inexact 0
		.amdhsa_exception_int_div_zero 0
	.end_amdhsa_kernel
	.section	.text._ZN7rocprim17ROCPRIM_400000_NS6detail17trampoline_kernelINS0_13kernel_configILj256ELj4ELj4294967295EEENS1_37radix_sort_block_sort_config_selectorIhNS0_10empty_typeEEEZNS1_21radix_sort_block_sortIS4_Lb0EPKhPhPS6_SC_NS0_19identity_decomposerEEE10hipError_tT1_T2_T3_T4_jRjT5_jjP12ihipStream_tbEUlT_E_NS1_11comp_targetILNS1_3genE10ELNS1_11target_archE1201ELNS1_3gpuE5ELNS1_3repE0EEENS1_44radix_sort_block_sort_config_static_selectorELNS0_4arch9wavefront6targetE0EEEvSF_,"axG",@progbits,_ZN7rocprim17ROCPRIM_400000_NS6detail17trampoline_kernelINS0_13kernel_configILj256ELj4ELj4294967295EEENS1_37radix_sort_block_sort_config_selectorIhNS0_10empty_typeEEEZNS1_21radix_sort_block_sortIS4_Lb0EPKhPhPS6_SC_NS0_19identity_decomposerEEE10hipError_tT1_T2_T3_T4_jRjT5_jjP12ihipStream_tbEUlT_E_NS1_11comp_targetILNS1_3genE10ELNS1_11target_archE1201ELNS1_3gpuE5ELNS1_3repE0EEENS1_44radix_sort_block_sort_config_static_selectorELNS0_4arch9wavefront6targetE0EEEvSF_,comdat
.Lfunc_end149:
	.size	_ZN7rocprim17ROCPRIM_400000_NS6detail17trampoline_kernelINS0_13kernel_configILj256ELj4ELj4294967295EEENS1_37radix_sort_block_sort_config_selectorIhNS0_10empty_typeEEEZNS1_21radix_sort_block_sortIS4_Lb0EPKhPhPS6_SC_NS0_19identity_decomposerEEE10hipError_tT1_T2_T3_T4_jRjT5_jjP12ihipStream_tbEUlT_E_NS1_11comp_targetILNS1_3genE10ELNS1_11target_archE1201ELNS1_3gpuE5ELNS1_3repE0EEENS1_44radix_sort_block_sort_config_static_selectorELNS0_4arch9wavefront6targetE0EEEvSF_, .Lfunc_end149-_ZN7rocprim17ROCPRIM_400000_NS6detail17trampoline_kernelINS0_13kernel_configILj256ELj4ELj4294967295EEENS1_37radix_sort_block_sort_config_selectorIhNS0_10empty_typeEEEZNS1_21radix_sort_block_sortIS4_Lb0EPKhPhPS6_SC_NS0_19identity_decomposerEEE10hipError_tT1_T2_T3_T4_jRjT5_jjP12ihipStream_tbEUlT_E_NS1_11comp_targetILNS1_3genE10ELNS1_11target_archE1201ELNS1_3gpuE5ELNS1_3repE0EEENS1_44radix_sort_block_sort_config_static_selectorELNS0_4arch9wavefront6targetE0EEEvSF_
                                        ; -- End function
	.set _ZN7rocprim17ROCPRIM_400000_NS6detail17trampoline_kernelINS0_13kernel_configILj256ELj4ELj4294967295EEENS1_37radix_sort_block_sort_config_selectorIhNS0_10empty_typeEEEZNS1_21radix_sort_block_sortIS4_Lb0EPKhPhPS6_SC_NS0_19identity_decomposerEEE10hipError_tT1_T2_T3_T4_jRjT5_jjP12ihipStream_tbEUlT_E_NS1_11comp_targetILNS1_3genE10ELNS1_11target_archE1201ELNS1_3gpuE5ELNS1_3repE0EEENS1_44radix_sort_block_sort_config_static_selectorELNS0_4arch9wavefront6targetE0EEEvSF_.num_vgpr, 0
	.set _ZN7rocprim17ROCPRIM_400000_NS6detail17trampoline_kernelINS0_13kernel_configILj256ELj4ELj4294967295EEENS1_37radix_sort_block_sort_config_selectorIhNS0_10empty_typeEEEZNS1_21radix_sort_block_sortIS4_Lb0EPKhPhPS6_SC_NS0_19identity_decomposerEEE10hipError_tT1_T2_T3_T4_jRjT5_jjP12ihipStream_tbEUlT_E_NS1_11comp_targetILNS1_3genE10ELNS1_11target_archE1201ELNS1_3gpuE5ELNS1_3repE0EEENS1_44radix_sort_block_sort_config_static_selectorELNS0_4arch9wavefront6targetE0EEEvSF_.num_agpr, 0
	.set _ZN7rocprim17ROCPRIM_400000_NS6detail17trampoline_kernelINS0_13kernel_configILj256ELj4ELj4294967295EEENS1_37radix_sort_block_sort_config_selectorIhNS0_10empty_typeEEEZNS1_21radix_sort_block_sortIS4_Lb0EPKhPhPS6_SC_NS0_19identity_decomposerEEE10hipError_tT1_T2_T3_T4_jRjT5_jjP12ihipStream_tbEUlT_E_NS1_11comp_targetILNS1_3genE10ELNS1_11target_archE1201ELNS1_3gpuE5ELNS1_3repE0EEENS1_44radix_sort_block_sort_config_static_selectorELNS0_4arch9wavefront6targetE0EEEvSF_.numbered_sgpr, 0
	.set _ZN7rocprim17ROCPRIM_400000_NS6detail17trampoline_kernelINS0_13kernel_configILj256ELj4ELj4294967295EEENS1_37radix_sort_block_sort_config_selectorIhNS0_10empty_typeEEEZNS1_21radix_sort_block_sortIS4_Lb0EPKhPhPS6_SC_NS0_19identity_decomposerEEE10hipError_tT1_T2_T3_T4_jRjT5_jjP12ihipStream_tbEUlT_E_NS1_11comp_targetILNS1_3genE10ELNS1_11target_archE1201ELNS1_3gpuE5ELNS1_3repE0EEENS1_44radix_sort_block_sort_config_static_selectorELNS0_4arch9wavefront6targetE0EEEvSF_.num_named_barrier, 0
	.set _ZN7rocprim17ROCPRIM_400000_NS6detail17trampoline_kernelINS0_13kernel_configILj256ELj4ELj4294967295EEENS1_37radix_sort_block_sort_config_selectorIhNS0_10empty_typeEEEZNS1_21radix_sort_block_sortIS4_Lb0EPKhPhPS6_SC_NS0_19identity_decomposerEEE10hipError_tT1_T2_T3_T4_jRjT5_jjP12ihipStream_tbEUlT_E_NS1_11comp_targetILNS1_3genE10ELNS1_11target_archE1201ELNS1_3gpuE5ELNS1_3repE0EEENS1_44radix_sort_block_sort_config_static_selectorELNS0_4arch9wavefront6targetE0EEEvSF_.private_seg_size, 0
	.set _ZN7rocprim17ROCPRIM_400000_NS6detail17trampoline_kernelINS0_13kernel_configILj256ELj4ELj4294967295EEENS1_37radix_sort_block_sort_config_selectorIhNS0_10empty_typeEEEZNS1_21radix_sort_block_sortIS4_Lb0EPKhPhPS6_SC_NS0_19identity_decomposerEEE10hipError_tT1_T2_T3_T4_jRjT5_jjP12ihipStream_tbEUlT_E_NS1_11comp_targetILNS1_3genE10ELNS1_11target_archE1201ELNS1_3gpuE5ELNS1_3repE0EEENS1_44radix_sort_block_sort_config_static_selectorELNS0_4arch9wavefront6targetE0EEEvSF_.uses_vcc, 0
	.set _ZN7rocprim17ROCPRIM_400000_NS6detail17trampoline_kernelINS0_13kernel_configILj256ELj4ELj4294967295EEENS1_37radix_sort_block_sort_config_selectorIhNS0_10empty_typeEEEZNS1_21radix_sort_block_sortIS4_Lb0EPKhPhPS6_SC_NS0_19identity_decomposerEEE10hipError_tT1_T2_T3_T4_jRjT5_jjP12ihipStream_tbEUlT_E_NS1_11comp_targetILNS1_3genE10ELNS1_11target_archE1201ELNS1_3gpuE5ELNS1_3repE0EEENS1_44radix_sort_block_sort_config_static_selectorELNS0_4arch9wavefront6targetE0EEEvSF_.uses_flat_scratch, 0
	.set _ZN7rocprim17ROCPRIM_400000_NS6detail17trampoline_kernelINS0_13kernel_configILj256ELj4ELj4294967295EEENS1_37radix_sort_block_sort_config_selectorIhNS0_10empty_typeEEEZNS1_21radix_sort_block_sortIS4_Lb0EPKhPhPS6_SC_NS0_19identity_decomposerEEE10hipError_tT1_T2_T3_T4_jRjT5_jjP12ihipStream_tbEUlT_E_NS1_11comp_targetILNS1_3genE10ELNS1_11target_archE1201ELNS1_3gpuE5ELNS1_3repE0EEENS1_44radix_sort_block_sort_config_static_selectorELNS0_4arch9wavefront6targetE0EEEvSF_.has_dyn_sized_stack, 0
	.set _ZN7rocprim17ROCPRIM_400000_NS6detail17trampoline_kernelINS0_13kernel_configILj256ELj4ELj4294967295EEENS1_37radix_sort_block_sort_config_selectorIhNS0_10empty_typeEEEZNS1_21radix_sort_block_sortIS4_Lb0EPKhPhPS6_SC_NS0_19identity_decomposerEEE10hipError_tT1_T2_T3_T4_jRjT5_jjP12ihipStream_tbEUlT_E_NS1_11comp_targetILNS1_3genE10ELNS1_11target_archE1201ELNS1_3gpuE5ELNS1_3repE0EEENS1_44radix_sort_block_sort_config_static_selectorELNS0_4arch9wavefront6targetE0EEEvSF_.has_recursion, 0
	.set _ZN7rocprim17ROCPRIM_400000_NS6detail17trampoline_kernelINS0_13kernel_configILj256ELj4ELj4294967295EEENS1_37radix_sort_block_sort_config_selectorIhNS0_10empty_typeEEEZNS1_21radix_sort_block_sortIS4_Lb0EPKhPhPS6_SC_NS0_19identity_decomposerEEE10hipError_tT1_T2_T3_T4_jRjT5_jjP12ihipStream_tbEUlT_E_NS1_11comp_targetILNS1_3genE10ELNS1_11target_archE1201ELNS1_3gpuE5ELNS1_3repE0EEENS1_44radix_sort_block_sort_config_static_selectorELNS0_4arch9wavefront6targetE0EEEvSF_.has_indirect_call, 0
	.section	.AMDGPU.csdata,"",@progbits
; Kernel info:
; codeLenInByte = 0
; TotalNumSgprs: 0
; NumVgprs: 0
; ScratchSize: 0
; MemoryBound: 0
; FloatMode: 240
; IeeeMode: 1
; LDSByteSize: 0 bytes/workgroup (compile time only)
; SGPRBlocks: 0
; VGPRBlocks: 0
; NumSGPRsForWavesPerEU: 1
; NumVGPRsForWavesPerEU: 1
; NamedBarCnt: 0
; Occupancy: 16
; WaveLimiterHint : 0
; COMPUTE_PGM_RSRC2:SCRATCH_EN: 0
; COMPUTE_PGM_RSRC2:USER_SGPR: 2
; COMPUTE_PGM_RSRC2:TRAP_HANDLER: 0
; COMPUTE_PGM_RSRC2:TGID_X_EN: 1
; COMPUTE_PGM_RSRC2:TGID_Y_EN: 0
; COMPUTE_PGM_RSRC2:TGID_Z_EN: 0
; COMPUTE_PGM_RSRC2:TIDIG_COMP_CNT: 0
	.section	.text._ZN7rocprim17ROCPRIM_400000_NS6detail17trampoline_kernelINS0_13kernel_configILj256ELj4ELj4294967295EEENS1_37radix_sort_block_sort_config_selectorIhNS0_10empty_typeEEEZNS1_21radix_sort_block_sortIS4_Lb0EPKhPhPS6_SC_NS0_19identity_decomposerEEE10hipError_tT1_T2_T3_T4_jRjT5_jjP12ihipStream_tbEUlT_E_NS1_11comp_targetILNS1_3genE10ELNS1_11target_archE1200ELNS1_3gpuE4ELNS1_3repE0EEENS1_44radix_sort_block_sort_config_static_selectorELNS0_4arch9wavefront6targetE0EEEvSF_,"axG",@progbits,_ZN7rocprim17ROCPRIM_400000_NS6detail17trampoline_kernelINS0_13kernel_configILj256ELj4ELj4294967295EEENS1_37radix_sort_block_sort_config_selectorIhNS0_10empty_typeEEEZNS1_21radix_sort_block_sortIS4_Lb0EPKhPhPS6_SC_NS0_19identity_decomposerEEE10hipError_tT1_T2_T3_T4_jRjT5_jjP12ihipStream_tbEUlT_E_NS1_11comp_targetILNS1_3genE10ELNS1_11target_archE1200ELNS1_3gpuE4ELNS1_3repE0EEENS1_44radix_sort_block_sort_config_static_selectorELNS0_4arch9wavefront6targetE0EEEvSF_,comdat
	.protected	_ZN7rocprim17ROCPRIM_400000_NS6detail17trampoline_kernelINS0_13kernel_configILj256ELj4ELj4294967295EEENS1_37radix_sort_block_sort_config_selectorIhNS0_10empty_typeEEEZNS1_21radix_sort_block_sortIS4_Lb0EPKhPhPS6_SC_NS0_19identity_decomposerEEE10hipError_tT1_T2_T3_T4_jRjT5_jjP12ihipStream_tbEUlT_E_NS1_11comp_targetILNS1_3genE10ELNS1_11target_archE1200ELNS1_3gpuE4ELNS1_3repE0EEENS1_44radix_sort_block_sort_config_static_selectorELNS0_4arch9wavefront6targetE0EEEvSF_ ; -- Begin function _ZN7rocprim17ROCPRIM_400000_NS6detail17trampoline_kernelINS0_13kernel_configILj256ELj4ELj4294967295EEENS1_37radix_sort_block_sort_config_selectorIhNS0_10empty_typeEEEZNS1_21radix_sort_block_sortIS4_Lb0EPKhPhPS6_SC_NS0_19identity_decomposerEEE10hipError_tT1_T2_T3_T4_jRjT5_jjP12ihipStream_tbEUlT_E_NS1_11comp_targetILNS1_3genE10ELNS1_11target_archE1200ELNS1_3gpuE4ELNS1_3repE0EEENS1_44radix_sort_block_sort_config_static_selectorELNS0_4arch9wavefront6targetE0EEEvSF_
	.globl	_ZN7rocprim17ROCPRIM_400000_NS6detail17trampoline_kernelINS0_13kernel_configILj256ELj4ELj4294967295EEENS1_37radix_sort_block_sort_config_selectorIhNS0_10empty_typeEEEZNS1_21radix_sort_block_sortIS4_Lb0EPKhPhPS6_SC_NS0_19identity_decomposerEEE10hipError_tT1_T2_T3_T4_jRjT5_jjP12ihipStream_tbEUlT_E_NS1_11comp_targetILNS1_3genE10ELNS1_11target_archE1200ELNS1_3gpuE4ELNS1_3repE0EEENS1_44radix_sort_block_sort_config_static_selectorELNS0_4arch9wavefront6targetE0EEEvSF_
	.p2align	8
	.type	_ZN7rocprim17ROCPRIM_400000_NS6detail17trampoline_kernelINS0_13kernel_configILj256ELj4ELj4294967295EEENS1_37radix_sort_block_sort_config_selectorIhNS0_10empty_typeEEEZNS1_21radix_sort_block_sortIS4_Lb0EPKhPhPS6_SC_NS0_19identity_decomposerEEE10hipError_tT1_T2_T3_T4_jRjT5_jjP12ihipStream_tbEUlT_E_NS1_11comp_targetILNS1_3genE10ELNS1_11target_archE1200ELNS1_3gpuE4ELNS1_3repE0EEENS1_44radix_sort_block_sort_config_static_selectorELNS0_4arch9wavefront6targetE0EEEvSF_,@function
_ZN7rocprim17ROCPRIM_400000_NS6detail17trampoline_kernelINS0_13kernel_configILj256ELj4ELj4294967295EEENS1_37radix_sort_block_sort_config_selectorIhNS0_10empty_typeEEEZNS1_21radix_sort_block_sortIS4_Lb0EPKhPhPS6_SC_NS0_19identity_decomposerEEE10hipError_tT1_T2_T3_T4_jRjT5_jjP12ihipStream_tbEUlT_E_NS1_11comp_targetILNS1_3genE10ELNS1_11target_archE1200ELNS1_3gpuE4ELNS1_3repE0EEENS1_44radix_sort_block_sort_config_static_selectorELNS0_4arch9wavefront6targetE0EEEvSF_: ; @_ZN7rocprim17ROCPRIM_400000_NS6detail17trampoline_kernelINS0_13kernel_configILj256ELj4ELj4294967295EEENS1_37radix_sort_block_sort_config_selectorIhNS0_10empty_typeEEEZNS1_21radix_sort_block_sortIS4_Lb0EPKhPhPS6_SC_NS0_19identity_decomposerEEE10hipError_tT1_T2_T3_T4_jRjT5_jjP12ihipStream_tbEUlT_E_NS1_11comp_targetILNS1_3genE10ELNS1_11target_archE1200ELNS1_3gpuE4ELNS1_3repE0EEENS1_44radix_sort_block_sort_config_static_selectorELNS0_4arch9wavefront6targetE0EEEvSF_
; %bb.0:
	.section	.rodata,"a",@progbits
	.p2align	6, 0x0
	.amdhsa_kernel _ZN7rocprim17ROCPRIM_400000_NS6detail17trampoline_kernelINS0_13kernel_configILj256ELj4ELj4294967295EEENS1_37radix_sort_block_sort_config_selectorIhNS0_10empty_typeEEEZNS1_21radix_sort_block_sortIS4_Lb0EPKhPhPS6_SC_NS0_19identity_decomposerEEE10hipError_tT1_T2_T3_T4_jRjT5_jjP12ihipStream_tbEUlT_E_NS1_11comp_targetILNS1_3genE10ELNS1_11target_archE1200ELNS1_3gpuE4ELNS1_3repE0EEENS1_44radix_sort_block_sort_config_static_selectorELNS0_4arch9wavefront6targetE0EEEvSF_
		.amdhsa_group_segment_fixed_size 0
		.amdhsa_private_segment_fixed_size 0
		.amdhsa_kernarg_size 48
		.amdhsa_user_sgpr_count 2
		.amdhsa_user_sgpr_dispatch_ptr 0
		.amdhsa_user_sgpr_queue_ptr 0
		.amdhsa_user_sgpr_kernarg_segment_ptr 1
		.amdhsa_user_sgpr_dispatch_id 0
		.amdhsa_user_sgpr_kernarg_preload_length 0
		.amdhsa_user_sgpr_kernarg_preload_offset 0
		.amdhsa_user_sgpr_private_segment_size 0
		.amdhsa_wavefront_size32 1
		.amdhsa_uses_dynamic_stack 0
		.amdhsa_enable_private_segment 0
		.amdhsa_system_sgpr_workgroup_id_x 1
		.amdhsa_system_sgpr_workgroup_id_y 0
		.amdhsa_system_sgpr_workgroup_id_z 0
		.amdhsa_system_sgpr_workgroup_info 0
		.amdhsa_system_vgpr_workitem_id 0
		.amdhsa_next_free_vgpr 1
		.amdhsa_next_free_sgpr 1
		.amdhsa_named_barrier_count 0
		.amdhsa_reserve_vcc 0
		.amdhsa_float_round_mode_32 0
		.amdhsa_float_round_mode_16_64 0
		.amdhsa_float_denorm_mode_32 3
		.amdhsa_float_denorm_mode_16_64 3
		.amdhsa_fp16_overflow 0
		.amdhsa_memory_ordered 1
		.amdhsa_forward_progress 1
		.amdhsa_inst_pref_size 0
		.amdhsa_round_robin_scheduling 0
		.amdhsa_exception_fp_ieee_invalid_op 0
		.amdhsa_exception_fp_denorm_src 0
		.amdhsa_exception_fp_ieee_div_zero 0
		.amdhsa_exception_fp_ieee_overflow 0
		.amdhsa_exception_fp_ieee_underflow 0
		.amdhsa_exception_fp_ieee_inexact 0
		.amdhsa_exception_int_div_zero 0
	.end_amdhsa_kernel
	.section	.text._ZN7rocprim17ROCPRIM_400000_NS6detail17trampoline_kernelINS0_13kernel_configILj256ELj4ELj4294967295EEENS1_37radix_sort_block_sort_config_selectorIhNS0_10empty_typeEEEZNS1_21radix_sort_block_sortIS4_Lb0EPKhPhPS6_SC_NS0_19identity_decomposerEEE10hipError_tT1_T2_T3_T4_jRjT5_jjP12ihipStream_tbEUlT_E_NS1_11comp_targetILNS1_3genE10ELNS1_11target_archE1200ELNS1_3gpuE4ELNS1_3repE0EEENS1_44radix_sort_block_sort_config_static_selectorELNS0_4arch9wavefront6targetE0EEEvSF_,"axG",@progbits,_ZN7rocprim17ROCPRIM_400000_NS6detail17trampoline_kernelINS0_13kernel_configILj256ELj4ELj4294967295EEENS1_37radix_sort_block_sort_config_selectorIhNS0_10empty_typeEEEZNS1_21radix_sort_block_sortIS4_Lb0EPKhPhPS6_SC_NS0_19identity_decomposerEEE10hipError_tT1_T2_T3_T4_jRjT5_jjP12ihipStream_tbEUlT_E_NS1_11comp_targetILNS1_3genE10ELNS1_11target_archE1200ELNS1_3gpuE4ELNS1_3repE0EEENS1_44radix_sort_block_sort_config_static_selectorELNS0_4arch9wavefront6targetE0EEEvSF_,comdat
.Lfunc_end150:
	.size	_ZN7rocprim17ROCPRIM_400000_NS6detail17trampoline_kernelINS0_13kernel_configILj256ELj4ELj4294967295EEENS1_37radix_sort_block_sort_config_selectorIhNS0_10empty_typeEEEZNS1_21radix_sort_block_sortIS4_Lb0EPKhPhPS6_SC_NS0_19identity_decomposerEEE10hipError_tT1_T2_T3_T4_jRjT5_jjP12ihipStream_tbEUlT_E_NS1_11comp_targetILNS1_3genE10ELNS1_11target_archE1200ELNS1_3gpuE4ELNS1_3repE0EEENS1_44radix_sort_block_sort_config_static_selectorELNS0_4arch9wavefront6targetE0EEEvSF_, .Lfunc_end150-_ZN7rocprim17ROCPRIM_400000_NS6detail17trampoline_kernelINS0_13kernel_configILj256ELj4ELj4294967295EEENS1_37radix_sort_block_sort_config_selectorIhNS0_10empty_typeEEEZNS1_21radix_sort_block_sortIS4_Lb0EPKhPhPS6_SC_NS0_19identity_decomposerEEE10hipError_tT1_T2_T3_T4_jRjT5_jjP12ihipStream_tbEUlT_E_NS1_11comp_targetILNS1_3genE10ELNS1_11target_archE1200ELNS1_3gpuE4ELNS1_3repE0EEENS1_44radix_sort_block_sort_config_static_selectorELNS0_4arch9wavefront6targetE0EEEvSF_
                                        ; -- End function
	.set _ZN7rocprim17ROCPRIM_400000_NS6detail17trampoline_kernelINS0_13kernel_configILj256ELj4ELj4294967295EEENS1_37radix_sort_block_sort_config_selectorIhNS0_10empty_typeEEEZNS1_21radix_sort_block_sortIS4_Lb0EPKhPhPS6_SC_NS0_19identity_decomposerEEE10hipError_tT1_T2_T3_T4_jRjT5_jjP12ihipStream_tbEUlT_E_NS1_11comp_targetILNS1_3genE10ELNS1_11target_archE1200ELNS1_3gpuE4ELNS1_3repE0EEENS1_44radix_sort_block_sort_config_static_selectorELNS0_4arch9wavefront6targetE0EEEvSF_.num_vgpr, 0
	.set _ZN7rocprim17ROCPRIM_400000_NS6detail17trampoline_kernelINS0_13kernel_configILj256ELj4ELj4294967295EEENS1_37radix_sort_block_sort_config_selectorIhNS0_10empty_typeEEEZNS1_21radix_sort_block_sortIS4_Lb0EPKhPhPS6_SC_NS0_19identity_decomposerEEE10hipError_tT1_T2_T3_T4_jRjT5_jjP12ihipStream_tbEUlT_E_NS1_11comp_targetILNS1_3genE10ELNS1_11target_archE1200ELNS1_3gpuE4ELNS1_3repE0EEENS1_44radix_sort_block_sort_config_static_selectorELNS0_4arch9wavefront6targetE0EEEvSF_.num_agpr, 0
	.set _ZN7rocprim17ROCPRIM_400000_NS6detail17trampoline_kernelINS0_13kernel_configILj256ELj4ELj4294967295EEENS1_37radix_sort_block_sort_config_selectorIhNS0_10empty_typeEEEZNS1_21radix_sort_block_sortIS4_Lb0EPKhPhPS6_SC_NS0_19identity_decomposerEEE10hipError_tT1_T2_T3_T4_jRjT5_jjP12ihipStream_tbEUlT_E_NS1_11comp_targetILNS1_3genE10ELNS1_11target_archE1200ELNS1_3gpuE4ELNS1_3repE0EEENS1_44radix_sort_block_sort_config_static_selectorELNS0_4arch9wavefront6targetE0EEEvSF_.numbered_sgpr, 0
	.set _ZN7rocprim17ROCPRIM_400000_NS6detail17trampoline_kernelINS0_13kernel_configILj256ELj4ELj4294967295EEENS1_37radix_sort_block_sort_config_selectorIhNS0_10empty_typeEEEZNS1_21radix_sort_block_sortIS4_Lb0EPKhPhPS6_SC_NS0_19identity_decomposerEEE10hipError_tT1_T2_T3_T4_jRjT5_jjP12ihipStream_tbEUlT_E_NS1_11comp_targetILNS1_3genE10ELNS1_11target_archE1200ELNS1_3gpuE4ELNS1_3repE0EEENS1_44radix_sort_block_sort_config_static_selectorELNS0_4arch9wavefront6targetE0EEEvSF_.num_named_barrier, 0
	.set _ZN7rocprim17ROCPRIM_400000_NS6detail17trampoline_kernelINS0_13kernel_configILj256ELj4ELj4294967295EEENS1_37radix_sort_block_sort_config_selectorIhNS0_10empty_typeEEEZNS1_21radix_sort_block_sortIS4_Lb0EPKhPhPS6_SC_NS0_19identity_decomposerEEE10hipError_tT1_T2_T3_T4_jRjT5_jjP12ihipStream_tbEUlT_E_NS1_11comp_targetILNS1_3genE10ELNS1_11target_archE1200ELNS1_3gpuE4ELNS1_3repE0EEENS1_44radix_sort_block_sort_config_static_selectorELNS0_4arch9wavefront6targetE0EEEvSF_.private_seg_size, 0
	.set _ZN7rocprim17ROCPRIM_400000_NS6detail17trampoline_kernelINS0_13kernel_configILj256ELj4ELj4294967295EEENS1_37radix_sort_block_sort_config_selectorIhNS0_10empty_typeEEEZNS1_21radix_sort_block_sortIS4_Lb0EPKhPhPS6_SC_NS0_19identity_decomposerEEE10hipError_tT1_T2_T3_T4_jRjT5_jjP12ihipStream_tbEUlT_E_NS1_11comp_targetILNS1_3genE10ELNS1_11target_archE1200ELNS1_3gpuE4ELNS1_3repE0EEENS1_44radix_sort_block_sort_config_static_selectorELNS0_4arch9wavefront6targetE0EEEvSF_.uses_vcc, 0
	.set _ZN7rocprim17ROCPRIM_400000_NS6detail17trampoline_kernelINS0_13kernel_configILj256ELj4ELj4294967295EEENS1_37radix_sort_block_sort_config_selectorIhNS0_10empty_typeEEEZNS1_21radix_sort_block_sortIS4_Lb0EPKhPhPS6_SC_NS0_19identity_decomposerEEE10hipError_tT1_T2_T3_T4_jRjT5_jjP12ihipStream_tbEUlT_E_NS1_11comp_targetILNS1_3genE10ELNS1_11target_archE1200ELNS1_3gpuE4ELNS1_3repE0EEENS1_44radix_sort_block_sort_config_static_selectorELNS0_4arch9wavefront6targetE0EEEvSF_.uses_flat_scratch, 0
	.set _ZN7rocprim17ROCPRIM_400000_NS6detail17trampoline_kernelINS0_13kernel_configILj256ELj4ELj4294967295EEENS1_37radix_sort_block_sort_config_selectorIhNS0_10empty_typeEEEZNS1_21radix_sort_block_sortIS4_Lb0EPKhPhPS6_SC_NS0_19identity_decomposerEEE10hipError_tT1_T2_T3_T4_jRjT5_jjP12ihipStream_tbEUlT_E_NS1_11comp_targetILNS1_3genE10ELNS1_11target_archE1200ELNS1_3gpuE4ELNS1_3repE0EEENS1_44radix_sort_block_sort_config_static_selectorELNS0_4arch9wavefront6targetE0EEEvSF_.has_dyn_sized_stack, 0
	.set _ZN7rocprim17ROCPRIM_400000_NS6detail17trampoline_kernelINS0_13kernel_configILj256ELj4ELj4294967295EEENS1_37radix_sort_block_sort_config_selectorIhNS0_10empty_typeEEEZNS1_21radix_sort_block_sortIS4_Lb0EPKhPhPS6_SC_NS0_19identity_decomposerEEE10hipError_tT1_T2_T3_T4_jRjT5_jjP12ihipStream_tbEUlT_E_NS1_11comp_targetILNS1_3genE10ELNS1_11target_archE1200ELNS1_3gpuE4ELNS1_3repE0EEENS1_44radix_sort_block_sort_config_static_selectorELNS0_4arch9wavefront6targetE0EEEvSF_.has_recursion, 0
	.set _ZN7rocprim17ROCPRIM_400000_NS6detail17trampoline_kernelINS0_13kernel_configILj256ELj4ELj4294967295EEENS1_37radix_sort_block_sort_config_selectorIhNS0_10empty_typeEEEZNS1_21radix_sort_block_sortIS4_Lb0EPKhPhPS6_SC_NS0_19identity_decomposerEEE10hipError_tT1_T2_T3_T4_jRjT5_jjP12ihipStream_tbEUlT_E_NS1_11comp_targetILNS1_3genE10ELNS1_11target_archE1200ELNS1_3gpuE4ELNS1_3repE0EEENS1_44radix_sort_block_sort_config_static_selectorELNS0_4arch9wavefront6targetE0EEEvSF_.has_indirect_call, 0
	.section	.AMDGPU.csdata,"",@progbits
; Kernel info:
; codeLenInByte = 0
; TotalNumSgprs: 0
; NumVgprs: 0
; ScratchSize: 0
; MemoryBound: 0
; FloatMode: 240
; IeeeMode: 1
; LDSByteSize: 0 bytes/workgroup (compile time only)
; SGPRBlocks: 0
; VGPRBlocks: 0
; NumSGPRsForWavesPerEU: 1
; NumVGPRsForWavesPerEU: 1
; NamedBarCnt: 0
; Occupancy: 16
; WaveLimiterHint : 0
; COMPUTE_PGM_RSRC2:SCRATCH_EN: 0
; COMPUTE_PGM_RSRC2:USER_SGPR: 2
; COMPUTE_PGM_RSRC2:TRAP_HANDLER: 0
; COMPUTE_PGM_RSRC2:TGID_X_EN: 1
; COMPUTE_PGM_RSRC2:TGID_Y_EN: 0
; COMPUTE_PGM_RSRC2:TGID_Z_EN: 0
; COMPUTE_PGM_RSRC2:TIDIG_COMP_CNT: 0
	.section	.text._ZN7rocprim17ROCPRIM_400000_NS6detail17trampoline_kernelINS0_13kernel_configILj256ELj4ELj4294967295EEENS1_37radix_sort_block_sort_config_selectorIhNS0_10empty_typeEEEZNS1_21radix_sort_block_sortIS4_Lb0EPKhPhPS6_SC_NS0_19identity_decomposerEEE10hipError_tT1_T2_T3_T4_jRjT5_jjP12ihipStream_tbEUlT_E_NS1_11comp_targetILNS1_3genE9ELNS1_11target_archE1100ELNS1_3gpuE3ELNS1_3repE0EEENS1_44radix_sort_block_sort_config_static_selectorELNS0_4arch9wavefront6targetE0EEEvSF_,"axG",@progbits,_ZN7rocprim17ROCPRIM_400000_NS6detail17trampoline_kernelINS0_13kernel_configILj256ELj4ELj4294967295EEENS1_37radix_sort_block_sort_config_selectorIhNS0_10empty_typeEEEZNS1_21radix_sort_block_sortIS4_Lb0EPKhPhPS6_SC_NS0_19identity_decomposerEEE10hipError_tT1_T2_T3_T4_jRjT5_jjP12ihipStream_tbEUlT_E_NS1_11comp_targetILNS1_3genE9ELNS1_11target_archE1100ELNS1_3gpuE3ELNS1_3repE0EEENS1_44radix_sort_block_sort_config_static_selectorELNS0_4arch9wavefront6targetE0EEEvSF_,comdat
	.protected	_ZN7rocprim17ROCPRIM_400000_NS6detail17trampoline_kernelINS0_13kernel_configILj256ELj4ELj4294967295EEENS1_37radix_sort_block_sort_config_selectorIhNS0_10empty_typeEEEZNS1_21radix_sort_block_sortIS4_Lb0EPKhPhPS6_SC_NS0_19identity_decomposerEEE10hipError_tT1_T2_T3_T4_jRjT5_jjP12ihipStream_tbEUlT_E_NS1_11comp_targetILNS1_3genE9ELNS1_11target_archE1100ELNS1_3gpuE3ELNS1_3repE0EEENS1_44radix_sort_block_sort_config_static_selectorELNS0_4arch9wavefront6targetE0EEEvSF_ ; -- Begin function _ZN7rocprim17ROCPRIM_400000_NS6detail17trampoline_kernelINS0_13kernel_configILj256ELj4ELj4294967295EEENS1_37radix_sort_block_sort_config_selectorIhNS0_10empty_typeEEEZNS1_21radix_sort_block_sortIS4_Lb0EPKhPhPS6_SC_NS0_19identity_decomposerEEE10hipError_tT1_T2_T3_T4_jRjT5_jjP12ihipStream_tbEUlT_E_NS1_11comp_targetILNS1_3genE9ELNS1_11target_archE1100ELNS1_3gpuE3ELNS1_3repE0EEENS1_44radix_sort_block_sort_config_static_selectorELNS0_4arch9wavefront6targetE0EEEvSF_
	.globl	_ZN7rocprim17ROCPRIM_400000_NS6detail17trampoline_kernelINS0_13kernel_configILj256ELj4ELj4294967295EEENS1_37radix_sort_block_sort_config_selectorIhNS0_10empty_typeEEEZNS1_21radix_sort_block_sortIS4_Lb0EPKhPhPS6_SC_NS0_19identity_decomposerEEE10hipError_tT1_T2_T3_T4_jRjT5_jjP12ihipStream_tbEUlT_E_NS1_11comp_targetILNS1_3genE9ELNS1_11target_archE1100ELNS1_3gpuE3ELNS1_3repE0EEENS1_44radix_sort_block_sort_config_static_selectorELNS0_4arch9wavefront6targetE0EEEvSF_
	.p2align	8
	.type	_ZN7rocprim17ROCPRIM_400000_NS6detail17trampoline_kernelINS0_13kernel_configILj256ELj4ELj4294967295EEENS1_37radix_sort_block_sort_config_selectorIhNS0_10empty_typeEEEZNS1_21radix_sort_block_sortIS4_Lb0EPKhPhPS6_SC_NS0_19identity_decomposerEEE10hipError_tT1_T2_T3_T4_jRjT5_jjP12ihipStream_tbEUlT_E_NS1_11comp_targetILNS1_3genE9ELNS1_11target_archE1100ELNS1_3gpuE3ELNS1_3repE0EEENS1_44radix_sort_block_sort_config_static_selectorELNS0_4arch9wavefront6targetE0EEEvSF_,@function
_ZN7rocprim17ROCPRIM_400000_NS6detail17trampoline_kernelINS0_13kernel_configILj256ELj4ELj4294967295EEENS1_37radix_sort_block_sort_config_selectorIhNS0_10empty_typeEEEZNS1_21radix_sort_block_sortIS4_Lb0EPKhPhPS6_SC_NS0_19identity_decomposerEEE10hipError_tT1_T2_T3_T4_jRjT5_jjP12ihipStream_tbEUlT_E_NS1_11comp_targetILNS1_3genE9ELNS1_11target_archE1100ELNS1_3gpuE3ELNS1_3repE0EEENS1_44radix_sort_block_sort_config_static_selectorELNS0_4arch9wavefront6targetE0EEEvSF_: ; @_ZN7rocprim17ROCPRIM_400000_NS6detail17trampoline_kernelINS0_13kernel_configILj256ELj4ELj4294967295EEENS1_37radix_sort_block_sort_config_selectorIhNS0_10empty_typeEEEZNS1_21radix_sort_block_sortIS4_Lb0EPKhPhPS6_SC_NS0_19identity_decomposerEEE10hipError_tT1_T2_T3_T4_jRjT5_jjP12ihipStream_tbEUlT_E_NS1_11comp_targetILNS1_3genE9ELNS1_11target_archE1100ELNS1_3gpuE3ELNS1_3repE0EEENS1_44radix_sort_block_sort_config_static_selectorELNS0_4arch9wavefront6targetE0EEEvSF_
; %bb.0:
	.section	.rodata,"a",@progbits
	.p2align	6, 0x0
	.amdhsa_kernel _ZN7rocprim17ROCPRIM_400000_NS6detail17trampoline_kernelINS0_13kernel_configILj256ELj4ELj4294967295EEENS1_37radix_sort_block_sort_config_selectorIhNS0_10empty_typeEEEZNS1_21radix_sort_block_sortIS4_Lb0EPKhPhPS6_SC_NS0_19identity_decomposerEEE10hipError_tT1_T2_T3_T4_jRjT5_jjP12ihipStream_tbEUlT_E_NS1_11comp_targetILNS1_3genE9ELNS1_11target_archE1100ELNS1_3gpuE3ELNS1_3repE0EEENS1_44radix_sort_block_sort_config_static_selectorELNS0_4arch9wavefront6targetE0EEEvSF_
		.amdhsa_group_segment_fixed_size 0
		.amdhsa_private_segment_fixed_size 0
		.amdhsa_kernarg_size 48
		.amdhsa_user_sgpr_count 2
		.amdhsa_user_sgpr_dispatch_ptr 0
		.amdhsa_user_sgpr_queue_ptr 0
		.amdhsa_user_sgpr_kernarg_segment_ptr 1
		.amdhsa_user_sgpr_dispatch_id 0
		.amdhsa_user_sgpr_kernarg_preload_length 0
		.amdhsa_user_sgpr_kernarg_preload_offset 0
		.amdhsa_user_sgpr_private_segment_size 0
		.amdhsa_wavefront_size32 1
		.amdhsa_uses_dynamic_stack 0
		.amdhsa_enable_private_segment 0
		.amdhsa_system_sgpr_workgroup_id_x 1
		.amdhsa_system_sgpr_workgroup_id_y 0
		.amdhsa_system_sgpr_workgroup_id_z 0
		.amdhsa_system_sgpr_workgroup_info 0
		.amdhsa_system_vgpr_workitem_id 0
		.amdhsa_next_free_vgpr 1
		.amdhsa_next_free_sgpr 1
		.amdhsa_named_barrier_count 0
		.amdhsa_reserve_vcc 0
		.amdhsa_float_round_mode_32 0
		.amdhsa_float_round_mode_16_64 0
		.amdhsa_float_denorm_mode_32 3
		.amdhsa_float_denorm_mode_16_64 3
		.amdhsa_fp16_overflow 0
		.amdhsa_memory_ordered 1
		.amdhsa_forward_progress 1
		.amdhsa_inst_pref_size 0
		.amdhsa_round_robin_scheduling 0
		.amdhsa_exception_fp_ieee_invalid_op 0
		.amdhsa_exception_fp_denorm_src 0
		.amdhsa_exception_fp_ieee_div_zero 0
		.amdhsa_exception_fp_ieee_overflow 0
		.amdhsa_exception_fp_ieee_underflow 0
		.amdhsa_exception_fp_ieee_inexact 0
		.amdhsa_exception_int_div_zero 0
	.end_amdhsa_kernel
	.section	.text._ZN7rocprim17ROCPRIM_400000_NS6detail17trampoline_kernelINS0_13kernel_configILj256ELj4ELj4294967295EEENS1_37radix_sort_block_sort_config_selectorIhNS0_10empty_typeEEEZNS1_21radix_sort_block_sortIS4_Lb0EPKhPhPS6_SC_NS0_19identity_decomposerEEE10hipError_tT1_T2_T3_T4_jRjT5_jjP12ihipStream_tbEUlT_E_NS1_11comp_targetILNS1_3genE9ELNS1_11target_archE1100ELNS1_3gpuE3ELNS1_3repE0EEENS1_44radix_sort_block_sort_config_static_selectorELNS0_4arch9wavefront6targetE0EEEvSF_,"axG",@progbits,_ZN7rocprim17ROCPRIM_400000_NS6detail17trampoline_kernelINS0_13kernel_configILj256ELj4ELj4294967295EEENS1_37radix_sort_block_sort_config_selectorIhNS0_10empty_typeEEEZNS1_21radix_sort_block_sortIS4_Lb0EPKhPhPS6_SC_NS0_19identity_decomposerEEE10hipError_tT1_T2_T3_T4_jRjT5_jjP12ihipStream_tbEUlT_E_NS1_11comp_targetILNS1_3genE9ELNS1_11target_archE1100ELNS1_3gpuE3ELNS1_3repE0EEENS1_44radix_sort_block_sort_config_static_selectorELNS0_4arch9wavefront6targetE0EEEvSF_,comdat
.Lfunc_end151:
	.size	_ZN7rocprim17ROCPRIM_400000_NS6detail17trampoline_kernelINS0_13kernel_configILj256ELj4ELj4294967295EEENS1_37radix_sort_block_sort_config_selectorIhNS0_10empty_typeEEEZNS1_21radix_sort_block_sortIS4_Lb0EPKhPhPS6_SC_NS0_19identity_decomposerEEE10hipError_tT1_T2_T3_T4_jRjT5_jjP12ihipStream_tbEUlT_E_NS1_11comp_targetILNS1_3genE9ELNS1_11target_archE1100ELNS1_3gpuE3ELNS1_3repE0EEENS1_44radix_sort_block_sort_config_static_selectorELNS0_4arch9wavefront6targetE0EEEvSF_, .Lfunc_end151-_ZN7rocprim17ROCPRIM_400000_NS6detail17trampoline_kernelINS0_13kernel_configILj256ELj4ELj4294967295EEENS1_37radix_sort_block_sort_config_selectorIhNS0_10empty_typeEEEZNS1_21radix_sort_block_sortIS4_Lb0EPKhPhPS6_SC_NS0_19identity_decomposerEEE10hipError_tT1_T2_T3_T4_jRjT5_jjP12ihipStream_tbEUlT_E_NS1_11comp_targetILNS1_3genE9ELNS1_11target_archE1100ELNS1_3gpuE3ELNS1_3repE0EEENS1_44radix_sort_block_sort_config_static_selectorELNS0_4arch9wavefront6targetE0EEEvSF_
                                        ; -- End function
	.set _ZN7rocprim17ROCPRIM_400000_NS6detail17trampoline_kernelINS0_13kernel_configILj256ELj4ELj4294967295EEENS1_37radix_sort_block_sort_config_selectorIhNS0_10empty_typeEEEZNS1_21radix_sort_block_sortIS4_Lb0EPKhPhPS6_SC_NS0_19identity_decomposerEEE10hipError_tT1_T2_T3_T4_jRjT5_jjP12ihipStream_tbEUlT_E_NS1_11comp_targetILNS1_3genE9ELNS1_11target_archE1100ELNS1_3gpuE3ELNS1_3repE0EEENS1_44radix_sort_block_sort_config_static_selectorELNS0_4arch9wavefront6targetE0EEEvSF_.num_vgpr, 0
	.set _ZN7rocprim17ROCPRIM_400000_NS6detail17trampoline_kernelINS0_13kernel_configILj256ELj4ELj4294967295EEENS1_37radix_sort_block_sort_config_selectorIhNS0_10empty_typeEEEZNS1_21radix_sort_block_sortIS4_Lb0EPKhPhPS6_SC_NS0_19identity_decomposerEEE10hipError_tT1_T2_T3_T4_jRjT5_jjP12ihipStream_tbEUlT_E_NS1_11comp_targetILNS1_3genE9ELNS1_11target_archE1100ELNS1_3gpuE3ELNS1_3repE0EEENS1_44radix_sort_block_sort_config_static_selectorELNS0_4arch9wavefront6targetE0EEEvSF_.num_agpr, 0
	.set _ZN7rocprim17ROCPRIM_400000_NS6detail17trampoline_kernelINS0_13kernel_configILj256ELj4ELj4294967295EEENS1_37radix_sort_block_sort_config_selectorIhNS0_10empty_typeEEEZNS1_21radix_sort_block_sortIS4_Lb0EPKhPhPS6_SC_NS0_19identity_decomposerEEE10hipError_tT1_T2_T3_T4_jRjT5_jjP12ihipStream_tbEUlT_E_NS1_11comp_targetILNS1_3genE9ELNS1_11target_archE1100ELNS1_3gpuE3ELNS1_3repE0EEENS1_44radix_sort_block_sort_config_static_selectorELNS0_4arch9wavefront6targetE0EEEvSF_.numbered_sgpr, 0
	.set _ZN7rocprim17ROCPRIM_400000_NS6detail17trampoline_kernelINS0_13kernel_configILj256ELj4ELj4294967295EEENS1_37radix_sort_block_sort_config_selectorIhNS0_10empty_typeEEEZNS1_21radix_sort_block_sortIS4_Lb0EPKhPhPS6_SC_NS0_19identity_decomposerEEE10hipError_tT1_T2_T3_T4_jRjT5_jjP12ihipStream_tbEUlT_E_NS1_11comp_targetILNS1_3genE9ELNS1_11target_archE1100ELNS1_3gpuE3ELNS1_3repE0EEENS1_44radix_sort_block_sort_config_static_selectorELNS0_4arch9wavefront6targetE0EEEvSF_.num_named_barrier, 0
	.set _ZN7rocprim17ROCPRIM_400000_NS6detail17trampoline_kernelINS0_13kernel_configILj256ELj4ELj4294967295EEENS1_37radix_sort_block_sort_config_selectorIhNS0_10empty_typeEEEZNS1_21radix_sort_block_sortIS4_Lb0EPKhPhPS6_SC_NS0_19identity_decomposerEEE10hipError_tT1_T2_T3_T4_jRjT5_jjP12ihipStream_tbEUlT_E_NS1_11comp_targetILNS1_3genE9ELNS1_11target_archE1100ELNS1_3gpuE3ELNS1_3repE0EEENS1_44radix_sort_block_sort_config_static_selectorELNS0_4arch9wavefront6targetE0EEEvSF_.private_seg_size, 0
	.set _ZN7rocprim17ROCPRIM_400000_NS6detail17trampoline_kernelINS0_13kernel_configILj256ELj4ELj4294967295EEENS1_37radix_sort_block_sort_config_selectorIhNS0_10empty_typeEEEZNS1_21radix_sort_block_sortIS4_Lb0EPKhPhPS6_SC_NS0_19identity_decomposerEEE10hipError_tT1_T2_T3_T4_jRjT5_jjP12ihipStream_tbEUlT_E_NS1_11comp_targetILNS1_3genE9ELNS1_11target_archE1100ELNS1_3gpuE3ELNS1_3repE0EEENS1_44radix_sort_block_sort_config_static_selectorELNS0_4arch9wavefront6targetE0EEEvSF_.uses_vcc, 0
	.set _ZN7rocprim17ROCPRIM_400000_NS6detail17trampoline_kernelINS0_13kernel_configILj256ELj4ELj4294967295EEENS1_37radix_sort_block_sort_config_selectorIhNS0_10empty_typeEEEZNS1_21radix_sort_block_sortIS4_Lb0EPKhPhPS6_SC_NS0_19identity_decomposerEEE10hipError_tT1_T2_T3_T4_jRjT5_jjP12ihipStream_tbEUlT_E_NS1_11comp_targetILNS1_3genE9ELNS1_11target_archE1100ELNS1_3gpuE3ELNS1_3repE0EEENS1_44radix_sort_block_sort_config_static_selectorELNS0_4arch9wavefront6targetE0EEEvSF_.uses_flat_scratch, 0
	.set _ZN7rocprim17ROCPRIM_400000_NS6detail17trampoline_kernelINS0_13kernel_configILj256ELj4ELj4294967295EEENS1_37radix_sort_block_sort_config_selectorIhNS0_10empty_typeEEEZNS1_21radix_sort_block_sortIS4_Lb0EPKhPhPS6_SC_NS0_19identity_decomposerEEE10hipError_tT1_T2_T3_T4_jRjT5_jjP12ihipStream_tbEUlT_E_NS1_11comp_targetILNS1_3genE9ELNS1_11target_archE1100ELNS1_3gpuE3ELNS1_3repE0EEENS1_44radix_sort_block_sort_config_static_selectorELNS0_4arch9wavefront6targetE0EEEvSF_.has_dyn_sized_stack, 0
	.set _ZN7rocprim17ROCPRIM_400000_NS6detail17trampoline_kernelINS0_13kernel_configILj256ELj4ELj4294967295EEENS1_37radix_sort_block_sort_config_selectorIhNS0_10empty_typeEEEZNS1_21radix_sort_block_sortIS4_Lb0EPKhPhPS6_SC_NS0_19identity_decomposerEEE10hipError_tT1_T2_T3_T4_jRjT5_jjP12ihipStream_tbEUlT_E_NS1_11comp_targetILNS1_3genE9ELNS1_11target_archE1100ELNS1_3gpuE3ELNS1_3repE0EEENS1_44radix_sort_block_sort_config_static_selectorELNS0_4arch9wavefront6targetE0EEEvSF_.has_recursion, 0
	.set _ZN7rocprim17ROCPRIM_400000_NS6detail17trampoline_kernelINS0_13kernel_configILj256ELj4ELj4294967295EEENS1_37radix_sort_block_sort_config_selectorIhNS0_10empty_typeEEEZNS1_21radix_sort_block_sortIS4_Lb0EPKhPhPS6_SC_NS0_19identity_decomposerEEE10hipError_tT1_T2_T3_T4_jRjT5_jjP12ihipStream_tbEUlT_E_NS1_11comp_targetILNS1_3genE9ELNS1_11target_archE1100ELNS1_3gpuE3ELNS1_3repE0EEENS1_44radix_sort_block_sort_config_static_selectorELNS0_4arch9wavefront6targetE0EEEvSF_.has_indirect_call, 0
	.section	.AMDGPU.csdata,"",@progbits
; Kernel info:
; codeLenInByte = 0
; TotalNumSgprs: 0
; NumVgprs: 0
; ScratchSize: 0
; MemoryBound: 0
; FloatMode: 240
; IeeeMode: 1
; LDSByteSize: 0 bytes/workgroup (compile time only)
; SGPRBlocks: 0
; VGPRBlocks: 0
; NumSGPRsForWavesPerEU: 1
; NumVGPRsForWavesPerEU: 1
; NamedBarCnt: 0
; Occupancy: 16
; WaveLimiterHint : 0
; COMPUTE_PGM_RSRC2:SCRATCH_EN: 0
; COMPUTE_PGM_RSRC2:USER_SGPR: 2
; COMPUTE_PGM_RSRC2:TRAP_HANDLER: 0
; COMPUTE_PGM_RSRC2:TGID_X_EN: 1
; COMPUTE_PGM_RSRC2:TGID_Y_EN: 0
; COMPUTE_PGM_RSRC2:TGID_Z_EN: 0
; COMPUTE_PGM_RSRC2:TIDIG_COMP_CNT: 0
	.section	.text._ZN7rocprim17ROCPRIM_400000_NS6detail17trampoline_kernelINS0_13kernel_configILj256ELj4ELj4294967295EEENS1_37radix_sort_block_sort_config_selectorIhNS0_10empty_typeEEEZNS1_21radix_sort_block_sortIS4_Lb0EPKhPhPS6_SC_NS0_19identity_decomposerEEE10hipError_tT1_T2_T3_T4_jRjT5_jjP12ihipStream_tbEUlT_E_NS1_11comp_targetILNS1_3genE8ELNS1_11target_archE1030ELNS1_3gpuE2ELNS1_3repE0EEENS1_44radix_sort_block_sort_config_static_selectorELNS0_4arch9wavefront6targetE0EEEvSF_,"axG",@progbits,_ZN7rocprim17ROCPRIM_400000_NS6detail17trampoline_kernelINS0_13kernel_configILj256ELj4ELj4294967295EEENS1_37radix_sort_block_sort_config_selectorIhNS0_10empty_typeEEEZNS1_21radix_sort_block_sortIS4_Lb0EPKhPhPS6_SC_NS0_19identity_decomposerEEE10hipError_tT1_T2_T3_T4_jRjT5_jjP12ihipStream_tbEUlT_E_NS1_11comp_targetILNS1_3genE8ELNS1_11target_archE1030ELNS1_3gpuE2ELNS1_3repE0EEENS1_44radix_sort_block_sort_config_static_selectorELNS0_4arch9wavefront6targetE0EEEvSF_,comdat
	.protected	_ZN7rocprim17ROCPRIM_400000_NS6detail17trampoline_kernelINS0_13kernel_configILj256ELj4ELj4294967295EEENS1_37radix_sort_block_sort_config_selectorIhNS0_10empty_typeEEEZNS1_21radix_sort_block_sortIS4_Lb0EPKhPhPS6_SC_NS0_19identity_decomposerEEE10hipError_tT1_T2_T3_T4_jRjT5_jjP12ihipStream_tbEUlT_E_NS1_11comp_targetILNS1_3genE8ELNS1_11target_archE1030ELNS1_3gpuE2ELNS1_3repE0EEENS1_44radix_sort_block_sort_config_static_selectorELNS0_4arch9wavefront6targetE0EEEvSF_ ; -- Begin function _ZN7rocprim17ROCPRIM_400000_NS6detail17trampoline_kernelINS0_13kernel_configILj256ELj4ELj4294967295EEENS1_37radix_sort_block_sort_config_selectorIhNS0_10empty_typeEEEZNS1_21radix_sort_block_sortIS4_Lb0EPKhPhPS6_SC_NS0_19identity_decomposerEEE10hipError_tT1_T2_T3_T4_jRjT5_jjP12ihipStream_tbEUlT_E_NS1_11comp_targetILNS1_3genE8ELNS1_11target_archE1030ELNS1_3gpuE2ELNS1_3repE0EEENS1_44radix_sort_block_sort_config_static_selectorELNS0_4arch9wavefront6targetE0EEEvSF_
	.globl	_ZN7rocprim17ROCPRIM_400000_NS6detail17trampoline_kernelINS0_13kernel_configILj256ELj4ELj4294967295EEENS1_37radix_sort_block_sort_config_selectorIhNS0_10empty_typeEEEZNS1_21radix_sort_block_sortIS4_Lb0EPKhPhPS6_SC_NS0_19identity_decomposerEEE10hipError_tT1_T2_T3_T4_jRjT5_jjP12ihipStream_tbEUlT_E_NS1_11comp_targetILNS1_3genE8ELNS1_11target_archE1030ELNS1_3gpuE2ELNS1_3repE0EEENS1_44radix_sort_block_sort_config_static_selectorELNS0_4arch9wavefront6targetE0EEEvSF_
	.p2align	8
	.type	_ZN7rocprim17ROCPRIM_400000_NS6detail17trampoline_kernelINS0_13kernel_configILj256ELj4ELj4294967295EEENS1_37radix_sort_block_sort_config_selectorIhNS0_10empty_typeEEEZNS1_21radix_sort_block_sortIS4_Lb0EPKhPhPS6_SC_NS0_19identity_decomposerEEE10hipError_tT1_T2_T3_T4_jRjT5_jjP12ihipStream_tbEUlT_E_NS1_11comp_targetILNS1_3genE8ELNS1_11target_archE1030ELNS1_3gpuE2ELNS1_3repE0EEENS1_44radix_sort_block_sort_config_static_selectorELNS0_4arch9wavefront6targetE0EEEvSF_,@function
_ZN7rocprim17ROCPRIM_400000_NS6detail17trampoline_kernelINS0_13kernel_configILj256ELj4ELj4294967295EEENS1_37radix_sort_block_sort_config_selectorIhNS0_10empty_typeEEEZNS1_21radix_sort_block_sortIS4_Lb0EPKhPhPS6_SC_NS0_19identity_decomposerEEE10hipError_tT1_T2_T3_T4_jRjT5_jjP12ihipStream_tbEUlT_E_NS1_11comp_targetILNS1_3genE8ELNS1_11target_archE1030ELNS1_3gpuE2ELNS1_3repE0EEENS1_44radix_sort_block_sort_config_static_selectorELNS0_4arch9wavefront6targetE0EEEvSF_: ; @_ZN7rocprim17ROCPRIM_400000_NS6detail17trampoline_kernelINS0_13kernel_configILj256ELj4ELj4294967295EEENS1_37radix_sort_block_sort_config_selectorIhNS0_10empty_typeEEEZNS1_21radix_sort_block_sortIS4_Lb0EPKhPhPS6_SC_NS0_19identity_decomposerEEE10hipError_tT1_T2_T3_T4_jRjT5_jjP12ihipStream_tbEUlT_E_NS1_11comp_targetILNS1_3genE8ELNS1_11target_archE1030ELNS1_3gpuE2ELNS1_3repE0EEENS1_44radix_sort_block_sort_config_static_selectorELNS0_4arch9wavefront6targetE0EEEvSF_
; %bb.0:
	.section	.rodata,"a",@progbits
	.p2align	6, 0x0
	.amdhsa_kernel _ZN7rocprim17ROCPRIM_400000_NS6detail17trampoline_kernelINS0_13kernel_configILj256ELj4ELj4294967295EEENS1_37radix_sort_block_sort_config_selectorIhNS0_10empty_typeEEEZNS1_21radix_sort_block_sortIS4_Lb0EPKhPhPS6_SC_NS0_19identity_decomposerEEE10hipError_tT1_T2_T3_T4_jRjT5_jjP12ihipStream_tbEUlT_E_NS1_11comp_targetILNS1_3genE8ELNS1_11target_archE1030ELNS1_3gpuE2ELNS1_3repE0EEENS1_44radix_sort_block_sort_config_static_selectorELNS0_4arch9wavefront6targetE0EEEvSF_
		.amdhsa_group_segment_fixed_size 0
		.amdhsa_private_segment_fixed_size 0
		.amdhsa_kernarg_size 48
		.amdhsa_user_sgpr_count 2
		.amdhsa_user_sgpr_dispatch_ptr 0
		.amdhsa_user_sgpr_queue_ptr 0
		.amdhsa_user_sgpr_kernarg_segment_ptr 1
		.amdhsa_user_sgpr_dispatch_id 0
		.amdhsa_user_sgpr_kernarg_preload_length 0
		.amdhsa_user_sgpr_kernarg_preload_offset 0
		.amdhsa_user_sgpr_private_segment_size 0
		.amdhsa_wavefront_size32 1
		.amdhsa_uses_dynamic_stack 0
		.amdhsa_enable_private_segment 0
		.amdhsa_system_sgpr_workgroup_id_x 1
		.amdhsa_system_sgpr_workgroup_id_y 0
		.amdhsa_system_sgpr_workgroup_id_z 0
		.amdhsa_system_sgpr_workgroup_info 0
		.amdhsa_system_vgpr_workitem_id 0
		.amdhsa_next_free_vgpr 1
		.amdhsa_next_free_sgpr 1
		.amdhsa_named_barrier_count 0
		.amdhsa_reserve_vcc 0
		.amdhsa_float_round_mode_32 0
		.amdhsa_float_round_mode_16_64 0
		.amdhsa_float_denorm_mode_32 3
		.amdhsa_float_denorm_mode_16_64 3
		.amdhsa_fp16_overflow 0
		.amdhsa_memory_ordered 1
		.amdhsa_forward_progress 1
		.amdhsa_inst_pref_size 0
		.amdhsa_round_robin_scheduling 0
		.amdhsa_exception_fp_ieee_invalid_op 0
		.amdhsa_exception_fp_denorm_src 0
		.amdhsa_exception_fp_ieee_div_zero 0
		.amdhsa_exception_fp_ieee_overflow 0
		.amdhsa_exception_fp_ieee_underflow 0
		.amdhsa_exception_fp_ieee_inexact 0
		.amdhsa_exception_int_div_zero 0
	.end_amdhsa_kernel
	.section	.text._ZN7rocprim17ROCPRIM_400000_NS6detail17trampoline_kernelINS0_13kernel_configILj256ELj4ELj4294967295EEENS1_37radix_sort_block_sort_config_selectorIhNS0_10empty_typeEEEZNS1_21radix_sort_block_sortIS4_Lb0EPKhPhPS6_SC_NS0_19identity_decomposerEEE10hipError_tT1_T2_T3_T4_jRjT5_jjP12ihipStream_tbEUlT_E_NS1_11comp_targetILNS1_3genE8ELNS1_11target_archE1030ELNS1_3gpuE2ELNS1_3repE0EEENS1_44radix_sort_block_sort_config_static_selectorELNS0_4arch9wavefront6targetE0EEEvSF_,"axG",@progbits,_ZN7rocprim17ROCPRIM_400000_NS6detail17trampoline_kernelINS0_13kernel_configILj256ELj4ELj4294967295EEENS1_37radix_sort_block_sort_config_selectorIhNS0_10empty_typeEEEZNS1_21radix_sort_block_sortIS4_Lb0EPKhPhPS6_SC_NS0_19identity_decomposerEEE10hipError_tT1_T2_T3_T4_jRjT5_jjP12ihipStream_tbEUlT_E_NS1_11comp_targetILNS1_3genE8ELNS1_11target_archE1030ELNS1_3gpuE2ELNS1_3repE0EEENS1_44radix_sort_block_sort_config_static_selectorELNS0_4arch9wavefront6targetE0EEEvSF_,comdat
.Lfunc_end152:
	.size	_ZN7rocprim17ROCPRIM_400000_NS6detail17trampoline_kernelINS0_13kernel_configILj256ELj4ELj4294967295EEENS1_37radix_sort_block_sort_config_selectorIhNS0_10empty_typeEEEZNS1_21radix_sort_block_sortIS4_Lb0EPKhPhPS6_SC_NS0_19identity_decomposerEEE10hipError_tT1_T2_T3_T4_jRjT5_jjP12ihipStream_tbEUlT_E_NS1_11comp_targetILNS1_3genE8ELNS1_11target_archE1030ELNS1_3gpuE2ELNS1_3repE0EEENS1_44radix_sort_block_sort_config_static_selectorELNS0_4arch9wavefront6targetE0EEEvSF_, .Lfunc_end152-_ZN7rocprim17ROCPRIM_400000_NS6detail17trampoline_kernelINS0_13kernel_configILj256ELj4ELj4294967295EEENS1_37radix_sort_block_sort_config_selectorIhNS0_10empty_typeEEEZNS1_21radix_sort_block_sortIS4_Lb0EPKhPhPS6_SC_NS0_19identity_decomposerEEE10hipError_tT1_T2_T3_T4_jRjT5_jjP12ihipStream_tbEUlT_E_NS1_11comp_targetILNS1_3genE8ELNS1_11target_archE1030ELNS1_3gpuE2ELNS1_3repE0EEENS1_44radix_sort_block_sort_config_static_selectorELNS0_4arch9wavefront6targetE0EEEvSF_
                                        ; -- End function
	.set _ZN7rocprim17ROCPRIM_400000_NS6detail17trampoline_kernelINS0_13kernel_configILj256ELj4ELj4294967295EEENS1_37radix_sort_block_sort_config_selectorIhNS0_10empty_typeEEEZNS1_21radix_sort_block_sortIS4_Lb0EPKhPhPS6_SC_NS0_19identity_decomposerEEE10hipError_tT1_T2_T3_T4_jRjT5_jjP12ihipStream_tbEUlT_E_NS1_11comp_targetILNS1_3genE8ELNS1_11target_archE1030ELNS1_3gpuE2ELNS1_3repE0EEENS1_44radix_sort_block_sort_config_static_selectorELNS0_4arch9wavefront6targetE0EEEvSF_.num_vgpr, 0
	.set _ZN7rocprim17ROCPRIM_400000_NS6detail17trampoline_kernelINS0_13kernel_configILj256ELj4ELj4294967295EEENS1_37radix_sort_block_sort_config_selectorIhNS0_10empty_typeEEEZNS1_21radix_sort_block_sortIS4_Lb0EPKhPhPS6_SC_NS0_19identity_decomposerEEE10hipError_tT1_T2_T3_T4_jRjT5_jjP12ihipStream_tbEUlT_E_NS1_11comp_targetILNS1_3genE8ELNS1_11target_archE1030ELNS1_3gpuE2ELNS1_3repE0EEENS1_44radix_sort_block_sort_config_static_selectorELNS0_4arch9wavefront6targetE0EEEvSF_.num_agpr, 0
	.set _ZN7rocprim17ROCPRIM_400000_NS6detail17trampoline_kernelINS0_13kernel_configILj256ELj4ELj4294967295EEENS1_37radix_sort_block_sort_config_selectorIhNS0_10empty_typeEEEZNS1_21radix_sort_block_sortIS4_Lb0EPKhPhPS6_SC_NS0_19identity_decomposerEEE10hipError_tT1_T2_T3_T4_jRjT5_jjP12ihipStream_tbEUlT_E_NS1_11comp_targetILNS1_3genE8ELNS1_11target_archE1030ELNS1_3gpuE2ELNS1_3repE0EEENS1_44radix_sort_block_sort_config_static_selectorELNS0_4arch9wavefront6targetE0EEEvSF_.numbered_sgpr, 0
	.set _ZN7rocprim17ROCPRIM_400000_NS6detail17trampoline_kernelINS0_13kernel_configILj256ELj4ELj4294967295EEENS1_37radix_sort_block_sort_config_selectorIhNS0_10empty_typeEEEZNS1_21radix_sort_block_sortIS4_Lb0EPKhPhPS6_SC_NS0_19identity_decomposerEEE10hipError_tT1_T2_T3_T4_jRjT5_jjP12ihipStream_tbEUlT_E_NS1_11comp_targetILNS1_3genE8ELNS1_11target_archE1030ELNS1_3gpuE2ELNS1_3repE0EEENS1_44radix_sort_block_sort_config_static_selectorELNS0_4arch9wavefront6targetE0EEEvSF_.num_named_barrier, 0
	.set _ZN7rocprim17ROCPRIM_400000_NS6detail17trampoline_kernelINS0_13kernel_configILj256ELj4ELj4294967295EEENS1_37radix_sort_block_sort_config_selectorIhNS0_10empty_typeEEEZNS1_21radix_sort_block_sortIS4_Lb0EPKhPhPS6_SC_NS0_19identity_decomposerEEE10hipError_tT1_T2_T3_T4_jRjT5_jjP12ihipStream_tbEUlT_E_NS1_11comp_targetILNS1_3genE8ELNS1_11target_archE1030ELNS1_3gpuE2ELNS1_3repE0EEENS1_44radix_sort_block_sort_config_static_selectorELNS0_4arch9wavefront6targetE0EEEvSF_.private_seg_size, 0
	.set _ZN7rocprim17ROCPRIM_400000_NS6detail17trampoline_kernelINS0_13kernel_configILj256ELj4ELj4294967295EEENS1_37radix_sort_block_sort_config_selectorIhNS0_10empty_typeEEEZNS1_21radix_sort_block_sortIS4_Lb0EPKhPhPS6_SC_NS0_19identity_decomposerEEE10hipError_tT1_T2_T3_T4_jRjT5_jjP12ihipStream_tbEUlT_E_NS1_11comp_targetILNS1_3genE8ELNS1_11target_archE1030ELNS1_3gpuE2ELNS1_3repE0EEENS1_44radix_sort_block_sort_config_static_selectorELNS0_4arch9wavefront6targetE0EEEvSF_.uses_vcc, 0
	.set _ZN7rocprim17ROCPRIM_400000_NS6detail17trampoline_kernelINS0_13kernel_configILj256ELj4ELj4294967295EEENS1_37radix_sort_block_sort_config_selectorIhNS0_10empty_typeEEEZNS1_21radix_sort_block_sortIS4_Lb0EPKhPhPS6_SC_NS0_19identity_decomposerEEE10hipError_tT1_T2_T3_T4_jRjT5_jjP12ihipStream_tbEUlT_E_NS1_11comp_targetILNS1_3genE8ELNS1_11target_archE1030ELNS1_3gpuE2ELNS1_3repE0EEENS1_44radix_sort_block_sort_config_static_selectorELNS0_4arch9wavefront6targetE0EEEvSF_.uses_flat_scratch, 0
	.set _ZN7rocprim17ROCPRIM_400000_NS6detail17trampoline_kernelINS0_13kernel_configILj256ELj4ELj4294967295EEENS1_37radix_sort_block_sort_config_selectorIhNS0_10empty_typeEEEZNS1_21radix_sort_block_sortIS4_Lb0EPKhPhPS6_SC_NS0_19identity_decomposerEEE10hipError_tT1_T2_T3_T4_jRjT5_jjP12ihipStream_tbEUlT_E_NS1_11comp_targetILNS1_3genE8ELNS1_11target_archE1030ELNS1_3gpuE2ELNS1_3repE0EEENS1_44radix_sort_block_sort_config_static_selectorELNS0_4arch9wavefront6targetE0EEEvSF_.has_dyn_sized_stack, 0
	.set _ZN7rocprim17ROCPRIM_400000_NS6detail17trampoline_kernelINS0_13kernel_configILj256ELj4ELj4294967295EEENS1_37radix_sort_block_sort_config_selectorIhNS0_10empty_typeEEEZNS1_21radix_sort_block_sortIS4_Lb0EPKhPhPS6_SC_NS0_19identity_decomposerEEE10hipError_tT1_T2_T3_T4_jRjT5_jjP12ihipStream_tbEUlT_E_NS1_11comp_targetILNS1_3genE8ELNS1_11target_archE1030ELNS1_3gpuE2ELNS1_3repE0EEENS1_44radix_sort_block_sort_config_static_selectorELNS0_4arch9wavefront6targetE0EEEvSF_.has_recursion, 0
	.set _ZN7rocprim17ROCPRIM_400000_NS6detail17trampoline_kernelINS0_13kernel_configILj256ELj4ELj4294967295EEENS1_37radix_sort_block_sort_config_selectorIhNS0_10empty_typeEEEZNS1_21radix_sort_block_sortIS4_Lb0EPKhPhPS6_SC_NS0_19identity_decomposerEEE10hipError_tT1_T2_T3_T4_jRjT5_jjP12ihipStream_tbEUlT_E_NS1_11comp_targetILNS1_3genE8ELNS1_11target_archE1030ELNS1_3gpuE2ELNS1_3repE0EEENS1_44radix_sort_block_sort_config_static_selectorELNS0_4arch9wavefront6targetE0EEEvSF_.has_indirect_call, 0
	.section	.AMDGPU.csdata,"",@progbits
; Kernel info:
; codeLenInByte = 0
; TotalNumSgprs: 0
; NumVgprs: 0
; ScratchSize: 0
; MemoryBound: 0
; FloatMode: 240
; IeeeMode: 1
; LDSByteSize: 0 bytes/workgroup (compile time only)
; SGPRBlocks: 0
; VGPRBlocks: 0
; NumSGPRsForWavesPerEU: 1
; NumVGPRsForWavesPerEU: 1
; NamedBarCnt: 0
; Occupancy: 16
; WaveLimiterHint : 0
; COMPUTE_PGM_RSRC2:SCRATCH_EN: 0
; COMPUTE_PGM_RSRC2:USER_SGPR: 2
; COMPUTE_PGM_RSRC2:TRAP_HANDLER: 0
; COMPUTE_PGM_RSRC2:TGID_X_EN: 1
; COMPUTE_PGM_RSRC2:TGID_Y_EN: 0
; COMPUTE_PGM_RSRC2:TGID_Z_EN: 0
; COMPUTE_PGM_RSRC2:TIDIG_COMP_CNT: 0
	.section	.text._ZN7rocprim17ROCPRIM_400000_NS6detail17trampoline_kernelINS0_14default_configENS1_38merge_sort_block_merge_config_selectorIhNS0_10empty_typeEEEZZNS1_27merge_sort_block_merge_implIS3_PhPS5_jNS1_19radix_merge_compareILb0ELb0EhNS0_19identity_decomposerEEEEE10hipError_tT0_T1_T2_jT3_P12ihipStream_tbPNSt15iterator_traitsISE_E10value_typeEPNSK_ISF_E10value_typeEPSG_NS1_7vsmem_tEENKUlT_SE_SF_SG_E_clIS8_S8_S9_S9_EESD_ST_SE_SF_SG_EUlST_E_NS1_11comp_targetILNS1_3genE0ELNS1_11target_archE4294967295ELNS1_3gpuE0ELNS1_3repE0EEENS1_48merge_mergepath_partition_config_static_selectorELNS0_4arch9wavefront6targetE0EEEvSF_,"axG",@progbits,_ZN7rocprim17ROCPRIM_400000_NS6detail17trampoline_kernelINS0_14default_configENS1_38merge_sort_block_merge_config_selectorIhNS0_10empty_typeEEEZZNS1_27merge_sort_block_merge_implIS3_PhPS5_jNS1_19radix_merge_compareILb0ELb0EhNS0_19identity_decomposerEEEEE10hipError_tT0_T1_T2_jT3_P12ihipStream_tbPNSt15iterator_traitsISE_E10value_typeEPNSK_ISF_E10value_typeEPSG_NS1_7vsmem_tEENKUlT_SE_SF_SG_E_clIS8_S8_S9_S9_EESD_ST_SE_SF_SG_EUlST_E_NS1_11comp_targetILNS1_3genE0ELNS1_11target_archE4294967295ELNS1_3gpuE0ELNS1_3repE0EEENS1_48merge_mergepath_partition_config_static_selectorELNS0_4arch9wavefront6targetE0EEEvSF_,comdat
	.protected	_ZN7rocprim17ROCPRIM_400000_NS6detail17trampoline_kernelINS0_14default_configENS1_38merge_sort_block_merge_config_selectorIhNS0_10empty_typeEEEZZNS1_27merge_sort_block_merge_implIS3_PhPS5_jNS1_19radix_merge_compareILb0ELb0EhNS0_19identity_decomposerEEEEE10hipError_tT0_T1_T2_jT3_P12ihipStream_tbPNSt15iterator_traitsISE_E10value_typeEPNSK_ISF_E10value_typeEPSG_NS1_7vsmem_tEENKUlT_SE_SF_SG_E_clIS8_S8_S9_S9_EESD_ST_SE_SF_SG_EUlST_E_NS1_11comp_targetILNS1_3genE0ELNS1_11target_archE4294967295ELNS1_3gpuE0ELNS1_3repE0EEENS1_48merge_mergepath_partition_config_static_selectorELNS0_4arch9wavefront6targetE0EEEvSF_ ; -- Begin function _ZN7rocprim17ROCPRIM_400000_NS6detail17trampoline_kernelINS0_14default_configENS1_38merge_sort_block_merge_config_selectorIhNS0_10empty_typeEEEZZNS1_27merge_sort_block_merge_implIS3_PhPS5_jNS1_19radix_merge_compareILb0ELb0EhNS0_19identity_decomposerEEEEE10hipError_tT0_T1_T2_jT3_P12ihipStream_tbPNSt15iterator_traitsISE_E10value_typeEPNSK_ISF_E10value_typeEPSG_NS1_7vsmem_tEENKUlT_SE_SF_SG_E_clIS8_S8_S9_S9_EESD_ST_SE_SF_SG_EUlST_E_NS1_11comp_targetILNS1_3genE0ELNS1_11target_archE4294967295ELNS1_3gpuE0ELNS1_3repE0EEENS1_48merge_mergepath_partition_config_static_selectorELNS0_4arch9wavefront6targetE0EEEvSF_
	.globl	_ZN7rocprim17ROCPRIM_400000_NS6detail17trampoline_kernelINS0_14default_configENS1_38merge_sort_block_merge_config_selectorIhNS0_10empty_typeEEEZZNS1_27merge_sort_block_merge_implIS3_PhPS5_jNS1_19radix_merge_compareILb0ELb0EhNS0_19identity_decomposerEEEEE10hipError_tT0_T1_T2_jT3_P12ihipStream_tbPNSt15iterator_traitsISE_E10value_typeEPNSK_ISF_E10value_typeEPSG_NS1_7vsmem_tEENKUlT_SE_SF_SG_E_clIS8_S8_S9_S9_EESD_ST_SE_SF_SG_EUlST_E_NS1_11comp_targetILNS1_3genE0ELNS1_11target_archE4294967295ELNS1_3gpuE0ELNS1_3repE0EEENS1_48merge_mergepath_partition_config_static_selectorELNS0_4arch9wavefront6targetE0EEEvSF_
	.p2align	8
	.type	_ZN7rocprim17ROCPRIM_400000_NS6detail17trampoline_kernelINS0_14default_configENS1_38merge_sort_block_merge_config_selectorIhNS0_10empty_typeEEEZZNS1_27merge_sort_block_merge_implIS3_PhPS5_jNS1_19radix_merge_compareILb0ELb0EhNS0_19identity_decomposerEEEEE10hipError_tT0_T1_T2_jT3_P12ihipStream_tbPNSt15iterator_traitsISE_E10value_typeEPNSK_ISF_E10value_typeEPSG_NS1_7vsmem_tEENKUlT_SE_SF_SG_E_clIS8_S8_S9_S9_EESD_ST_SE_SF_SG_EUlST_E_NS1_11comp_targetILNS1_3genE0ELNS1_11target_archE4294967295ELNS1_3gpuE0ELNS1_3repE0EEENS1_48merge_mergepath_partition_config_static_selectorELNS0_4arch9wavefront6targetE0EEEvSF_,@function
_ZN7rocprim17ROCPRIM_400000_NS6detail17trampoline_kernelINS0_14default_configENS1_38merge_sort_block_merge_config_selectorIhNS0_10empty_typeEEEZZNS1_27merge_sort_block_merge_implIS3_PhPS5_jNS1_19radix_merge_compareILb0ELb0EhNS0_19identity_decomposerEEEEE10hipError_tT0_T1_T2_jT3_P12ihipStream_tbPNSt15iterator_traitsISE_E10value_typeEPNSK_ISF_E10value_typeEPSG_NS1_7vsmem_tEENKUlT_SE_SF_SG_E_clIS8_S8_S9_S9_EESD_ST_SE_SF_SG_EUlST_E_NS1_11comp_targetILNS1_3genE0ELNS1_11target_archE4294967295ELNS1_3gpuE0ELNS1_3repE0EEENS1_48merge_mergepath_partition_config_static_selectorELNS0_4arch9wavefront6targetE0EEEvSF_: ; @_ZN7rocprim17ROCPRIM_400000_NS6detail17trampoline_kernelINS0_14default_configENS1_38merge_sort_block_merge_config_selectorIhNS0_10empty_typeEEEZZNS1_27merge_sort_block_merge_implIS3_PhPS5_jNS1_19radix_merge_compareILb0ELb0EhNS0_19identity_decomposerEEEEE10hipError_tT0_T1_T2_jT3_P12ihipStream_tbPNSt15iterator_traitsISE_E10value_typeEPNSK_ISF_E10value_typeEPSG_NS1_7vsmem_tEENKUlT_SE_SF_SG_E_clIS8_S8_S9_S9_EESD_ST_SE_SF_SG_EUlST_E_NS1_11comp_targetILNS1_3genE0ELNS1_11target_archE4294967295ELNS1_3gpuE0ELNS1_3repE0EEENS1_48merge_mergepath_partition_config_static_selectorELNS0_4arch9wavefront6targetE0EEEvSF_
; %bb.0:
	s_load_b32 s2, s[0:1], 0x0
	s_bfe_u32 s3, ttmp6, 0x4000c
	s_and_b32 s4, ttmp6, 15
	s_add_co_i32 s3, s3, 1
	s_getreg_b32 s5, hwreg(HW_REG_IB_STS2, 6, 4)
	s_mul_i32 s3, ttmp9, s3
	s_delay_alu instid0(SALU_CYCLE_1) | instskip(SKIP_2) | instid1(SALU_CYCLE_1)
	s_add_co_i32 s4, s4, s3
	s_cmp_eq_u32 s5, 0
	s_cselect_b32 s3, ttmp9, s4
	v_lshl_or_b32 v8, s3, 7, v0
	s_wait_kmcnt 0x0
	s_delay_alu instid0(VALU_DEP_1)
	v_cmp_gt_u32_e32 vcc_lo, s2, v8
	s_and_saveexec_b32 s2, vcc_lo
	s_cbranch_execz .LBB153_6
; %bb.1:
	s_load_b64 s[2:3], s[0:1], 0x4
	s_wait_kmcnt 0x0
	s_lshr_b32 s4, s2, 9
	s_delay_alu instid0(SALU_CYCLE_1) | instskip(NEXT) | instid1(SALU_CYCLE_1)
	s_and_b32 s4, s4, 0x7ffffe
	s_sub_co_i32 s5, 0, s4
	s_add_co_i32 s4, s4, -1
	s_delay_alu instid0(SALU_CYCLE_1) | instskip(SKIP_2) | instid1(VALU_DEP_1)
	v_and_b32_e32 v1, s4, v8
	v_and_b32_e32 v0, s5, v8
	s_mov_b32 s4, exec_lo
	v_dual_lshlrev_b32 v1, 10, v1 :: v_dual_lshlrev_b32 v0, 10, v0
	s_delay_alu instid0(VALU_DEP_1) | instskip(SKIP_1) | instid1(VALU_DEP_2)
	v_add_min_u32_e64 v2, v0, s2, s3
	v_min_u32_e32 v0, s3, v0
	v_add_min_u32_e64 v3, v2, s2, s3
	s_load_b64 s[2:3], s[0:1], 0x20
	s_delay_alu instid0(VALU_DEP_1) | instskip(NEXT) | instid1(VALU_DEP_1)
	v_dual_sub_nc_u32 v4, v3, v0 :: v_dual_sub_nc_u32 v3, v3, v2
	v_min_u32_e32 v10, v4, v1
	v_sub_nc_u32_e32 v1, v2, v0
	s_delay_alu instid0(VALU_DEP_2) | instskip(NEXT) | instid1(VALU_DEP_2)
	v_sub_nc_u32_e64 v9, v10, v3 clamp
	v_min_u32_e32 v11, v10, v1
	s_delay_alu instid0(VALU_DEP_1)
	v_cmpx_lt_u32_e64 v9, v11
	s_cbranch_execz .LBB153_5
; %bb.2:
	s_wait_xcnt 0x0
	s_load_b64 s[0:1], s[0:1], 0x10
	v_mov_b32_e32 v3, 0
	s_delay_alu instid0(VALU_DEP_1) | instskip(SKIP_1) | instid1(VALU_DEP_1)
	v_mov_b32_e32 v1, v3
	s_wait_kmcnt 0x0
	v_add_nc_u64_e32 v[4:5], s[0:1], v[0:1]
	v_add_nc_u64_e32 v[6:7], s[0:1], v[2:3]
	s_mov_b32 s0, 0
.LBB153_3:                              ; =>This Inner Loop Header: Depth=1
	v_add_nc_u32_e32 v1, v11, v9
	s_delay_alu instid0(VALU_DEP_1) | instskip(NEXT) | instid1(VALU_DEP_1)
	v_dual_mov_b32 v13, v3 :: v_dual_lshrrev_b32 v2, 1, v1
	v_xad_u32 v12, v2, -1, v10
	v_add_nc_u64_e32 v[14:15], v[4:5], v[2:3]
	s_delay_alu instid0(VALU_DEP_2)
	v_add_nc_u64_e32 v[12:13], v[6:7], v[12:13]
	s_clause 0x1
	global_load_u8 v1, v[14:15], off
	global_load_u8 v16, v[12:13], off
	s_wait_xcnt 0x0
	v_add_nc_u32_e32 v12, 1, v2
	s_wait_loadcnt 0x0
	v_cmp_gt_u16_e32 vcc_lo, v1, v16
	s_delay_alu instid0(VALU_DEP_2) | instskip(NEXT) | instid1(VALU_DEP_1)
	v_dual_cndmask_b32 v11, v11, v2, vcc_lo :: v_dual_cndmask_b32 v9, v12, v9, vcc_lo
	v_cmp_ge_u32_e32 vcc_lo, v9, v11
	s_or_b32 s0, vcc_lo, s0
	s_delay_alu instid0(SALU_CYCLE_1)
	s_and_not1_b32 exec_lo, exec_lo, s0
	s_cbranch_execnz .LBB153_3
; %bb.4:
	s_or_b32 exec_lo, exec_lo, s0
.LBB153_5:
	s_delay_alu instid0(SALU_CYCLE_1)
	s_or_b32 exec_lo, exec_lo, s4
	v_add_nc_u32_e32 v0, v9, v0
	s_wait_kmcnt 0x0
	global_store_b32 v8, v0, s[2:3] scale_offset
.LBB153_6:
	s_endpgm
	.section	.rodata,"a",@progbits
	.p2align	6, 0x0
	.amdhsa_kernel _ZN7rocprim17ROCPRIM_400000_NS6detail17trampoline_kernelINS0_14default_configENS1_38merge_sort_block_merge_config_selectorIhNS0_10empty_typeEEEZZNS1_27merge_sort_block_merge_implIS3_PhPS5_jNS1_19radix_merge_compareILb0ELb0EhNS0_19identity_decomposerEEEEE10hipError_tT0_T1_T2_jT3_P12ihipStream_tbPNSt15iterator_traitsISE_E10value_typeEPNSK_ISF_E10value_typeEPSG_NS1_7vsmem_tEENKUlT_SE_SF_SG_E_clIS8_S8_S9_S9_EESD_ST_SE_SF_SG_EUlST_E_NS1_11comp_targetILNS1_3genE0ELNS1_11target_archE4294967295ELNS1_3gpuE0ELNS1_3repE0EEENS1_48merge_mergepath_partition_config_static_selectorELNS0_4arch9wavefront6targetE0EEEvSF_
		.amdhsa_group_segment_fixed_size 0
		.amdhsa_private_segment_fixed_size 0
		.amdhsa_kernarg_size 40
		.amdhsa_user_sgpr_count 2
		.amdhsa_user_sgpr_dispatch_ptr 0
		.amdhsa_user_sgpr_queue_ptr 0
		.amdhsa_user_sgpr_kernarg_segment_ptr 1
		.amdhsa_user_sgpr_dispatch_id 0
		.amdhsa_user_sgpr_kernarg_preload_length 0
		.amdhsa_user_sgpr_kernarg_preload_offset 0
		.amdhsa_user_sgpr_private_segment_size 0
		.amdhsa_wavefront_size32 1
		.amdhsa_uses_dynamic_stack 0
		.amdhsa_enable_private_segment 0
		.amdhsa_system_sgpr_workgroup_id_x 1
		.amdhsa_system_sgpr_workgroup_id_y 0
		.amdhsa_system_sgpr_workgroup_id_z 0
		.amdhsa_system_sgpr_workgroup_info 0
		.amdhsa_system_vgpr_workitem_id 0
		.amdhsa_next_free_vgpr 17
		.amdhsa_next_free_sgpr 6
		.amdhsa_named_barrier_count 0
		.amdhsa_reserve_vcc 1
		.amdhsa_float_round_mode_32 0
		.amdhsa_float_round_mode_16_64 0
		.amdhsa_float_denorm_mode_32 3
		.amdhsa_float_denorm_mode_16_64 3
		.amdhsa_fp16_overflow 0
		.amdhsa_memory_ordered 1
		.amdhsa_forward_progress 1
		.amdhsa_inst_pref_size 4
		.amdhsa_round_robin_scheduling 0
		.amdhsa_exception_fp_ieee_invalid_op 0
		.amdhsa_exception_fp_denorm_src 0
		.amdhsa_exception_fp_ieee_div_zero 0
		.amdhsa_exception_fp_ieee_overflow 0
		.amdhsa_exception_fp_ieee_underflow 0
		.amdhsa_exception_fp_ieee_inexact 0
		.amdhsa_exception_int_div_zero 0
	.end_amdhsa_kernel
	.section	.text._ZN7rocprim17ROCPRIM_400000_NS6detail17trampoline_kernelINS0_14default_configENS1_38merge_sort_block_merge_config_selectorIhNS0_10empty_typeEEEZZNS1_27merge_sort_block_merge_implIS3_PhPS5_jNS1_19radix_merge_compareILb0ELb0EhNS0_19identity_decomposerEEEEE10hipError_tT0_T1_T2_jT3_P12ihipStream_tbPNSt15iterator_traitsISE_E10value_typeEPNSK_ISF_E10value_typeEPSG_NS1_7vsmem_tEENKUlT_SE_SF_SG_E_clIS8_S8_S9_S9_EESD_ST_SE_SF_SG_EUlST_E_NS1_11comp_targetILNS1_3genE0ELNS1_11target_archE4294967295ELNS1_3gpuE0ELNS1_3repE0EEENS1_48merge_mergepath_partition_config_static_selectorELNS0_4arch9wavefront6targetE0EEEvSF_,"axG",@progbits,_ZN7rocprim17ROCPRIM_400000_NS6detail17trampoline_kernelINS0_14default_configENS1_38merge_sort_block_merge_config_selectorIhNS0_10empty_typeEEEZZNS1_27merge_sort_block_merge_implIS3_PhPS5_jNS1_19radix_merge_compareILb0ELb0EhNS0_19identity_decomposerEEEEE10hipError_tT0_T1_T2_jT3_P12ihipStream_tbPNSt15iterator_traitsISE_E10value_typeEPNSK_ISF_E10value_typeEPSG_NS1_7vsmem_tEENKUlT_SE_SF_SG_E_clIS8_S8_S9_S9_EESD_ST_SE_SF_SG_EUlST_E_NS1_11comp_targetILNS1_3genE0ELNS1_11target_archE4294967295ELNS1_3gpuE0ELNS1_3repE0EEENS1_48merge_mergepath_partition_config_static_selectorELNS0_4arch9wavefront6targetE0EEEvSF_,comdat
.Lfunc_end153:
	.size	_ZN7rocprim17ROCPRIM_400000_NS6detail17trampoline_kernelINS0_14default_configENS1_38merge_sort_block_merge_config_selectorIhNS0_10empty_typeEEEZZNS1_27merge_sort_block_merge_implIS3_PhPS5_jNS1_19radix_merge_compareILb0ELb0EhNS0_19identity_decomposerEEEEE10hipError_tT0_T1_T2_jT3_P12ihipStream_tbPNSt15iterator_traitsISE_E10value_typeEPNSK_ISF_E10value_typeEPSG_NS1_7vsmem_tEENKUlT_SE_SF_SG_E_clIS8_S8_S9_S9_EESD_ST_SE_SF_SG_EUlST_E_NS1_11comp_targetILNS1_3genE0ELNS1_11target_archE4294967295ELNS1_3gpuE0ELNS1_3repE0EEENS1_48merge_mergepath_partition_config_static_selectorELNS0_4arch9wavefront6targetE0EEEvSF_, .Lfunc_end153-_ZN7rocprim17ROCPRIM_400000_NS6detail17trampoline_kernelINS0_14default_configENS1_38merge_sort_block_merge_config_selectorIhNS0_10empty_typeEEEZZNS1_27merge_sort_block_merge_implIS3_PhPS5_jNS1_19radix_merge_compareILb0ELb0EhNS0_19identity_decomposerEEEEE10hipError_tT0_T1_T2_jT3_P12ihipStream_tbPNSt15iterator_traitsISE_E10value_typeEPNSK_ISF_E10value_typeEPSG_NS1_7vsmem_tEENKUlT_SE_SF_SG_E_clIS8_S8_S9_S9_EESD_ST_SE_SF_SG_EUlST_E_NS1_11comp_targetILNS1_3genE0ELNS1_11target_archE4294967295ELNS1_3gpuE0ELNS1_3repE0EEENS1_48merge_mergepath_partition_config_static_selectorELNS0_4arch9wavefront6targetE0EEEvSF_
                                        ; -- End function
	.set _ZN7rocprim17ROCPRIM_400000_NS6detail17trampoline_kernelINS0_14default_configENS1_38merge_sort_block_merge_config_selectorIhNS0_10empty_typeEEEZZNS1_27merge_sort_block_merge_implIS3_PhPS5_jNS1_19radix_merge_compareILb0ELb0EhNS0_19identity_decomposerEEEEE10hipError_tT0_T1_T2_jT3_P12ihipStream_tbPNSt15iterator_traitsISE_E10value_typeEPNSK_ISF_E10value_typeEPSG_NS1_7vsmem_tEENKUlT_SE_SF_SG_E_clIS8_S8_S9_S9_EESD_ST_SE_SF_SG_EUlST_E_NS1_11comp_targetILNS1_3genE0ELNS1_11target_archE4294967295ELNS1_3gpuE0ELNS1_3repE0EEENS1_48merge_mergepath_partition_config_static_selectorELNS0_4arch9wavefront6targetE0EEEvSF_.num_vgpr, 17
	.set _ZN7rocprim17ROCPRIM_400000_NS6detail17trampoline_kernelINS0_14default_configENS1_38merge_sort_block_merge_config_selectorIhNS0_10empty_typeEEEZZNS1_27merge_sort_block_merge_implIS3_PhPS5_jNS1_19radix_merge_compareILb0ELb0EhNS0_19identity_decomposerEEEEE10hipError_tT0_T1_T2_jT3_P12ihipStream_tbPNSt15iterator_traitsISE_E10value_typeEPNSK_ISF_E10value_typeEPSG_NS1_7vsmem_tEENKUlT_SE_SF_SG_E_clIS8_S8_S9_S9_EESD_ST_SE_SF_SG_EUlST_E_NS1_11comp_targetILNS1_3genE0ELNS1_11target_archE4294967295ELNS1_3gpuE0ELNS1_3repE0EEENS1_48merge_mergepath_partition_config_static_selectorELNS0_4arch9wavefront6targetE0EEEvSF_.num_agpr, 0
	.set _ZN7rocprim17ROCPRIM_400000_NS6detail17trampoline_kernelINS0_14default_configENS1_38merge_sort_block_merge_config_selectorIhNS0_10empty_typeEEEZZNS1_27merge_sort_block_merge_implIS3_PhPS5_jNS1_19radix_merge_compareILb0ELb0EhNS0_19identity_decomposerEEEEE10hipError_tT0_T1_T2_jT3_P12ihipStream_tbPNSt15iterator_traitsISE_E10value_typeEPNSK_ISF_E10value_typeEPSG_NS1_7vsmem_tEENKUlT_SE_SF_SG_E_clIS8_S8_S9_S9_EESD_ST_SE_SF_SG_EUlST_E_NS1_11comp_targetILNS1_3genE0ELNS1_11target_archE4294967295ELNS1_3gpuE0ELNS1_3repE0EEENS1_48merge_mergepath_partition_config_static_selectorELNS0_4arch9wavefront6targetE0EEEvSF_.numbered_sgpr, 6
	.set _ZN7rocprim17ROCPRIM_400000_NS6detail17trampoline_kernelINS0_14default_configENS1_38merge_sort_block_merge_config_selectorIhNS0_10empty_typeEEEZZNS1_27merge_sort_block_merge_implIS3_PhPS5_jNS1_19radix_merge_compareILb0ELb0EhNS0_19identity_decomposerEEEEE10hipError_tT0_T1_T2_jT3_P12ihipStream_tbPNSt15iterator_traitsISE_E10value_typeEPNSK_ISF_E10value_typeEPSG_NS1_7vsmem_tEENKUlT_SE_SF_SG_E_clIS8_S8_S9_S9_EESD_ST_SE_SF_SG_EUlST_E_NS1_11comp_targetILNS1_3genE0ELNS1_11target_archE4294967295ELNS1_3gpuE0ELNS1_3repE0EEENS1_48merge_mergepath_partition_config_static_selectorELNS0_4arch9wavefront6targetE0EEEvSF_.num_named_barrier, 0
	.set _ZN7rocprim17ROCPRIM_400000_NS6detail17trampoline_kernelINS0_14default_configENS1_38merge_sort_block_merge_config_selectorIhNS0_10empty_typeEEEZZNS1_27merge_sort_block_merge_implIS3_PhPS5_jNS1_19radix_merge_compareILb0ELb0EhNS0_19identity_decomposerEEEEE10hipError_tT0_T1_T2_jT3_P12ihipStream_tbPNSt15iterator_traitsISE_E10value_typeEPNSK_ISF_E10value_typeEPSG_NS1_7vsmem_tEENKUlT_SE_SF_SG_E_clIS8_S8_S9_S9_EESD_ST_SE_SF_SG_EUlST_E_NS1_11comp_targetILNS1_3genE0ELNS1_11target_archE4294967295ELNS1_3gpuE0ELNS1_3repE0EEENS1_48merge_mergepath_partition_config_static_selectorELNS0_4arch9wavefront6targetE0EEEvSF_.private_seg_size, 0
	.set _ZN7rocprim17ROCPRIM_400000_NS6detail17trampoline_kernelINS0_14default_configENS1_38merge_sort_block_merge_config_selectorIhNS0_10empty_typeEEEZZNS1_27merge_sort_block_merge_implIS3_PhPS5_jNS1_19radix_merge_compareILb0ELb0EhNS0_19identity_decomposerEEEEE10hipError_tT0_T1_T2_jT3_P12ihipStream_tbPNSt15iterator_traitsISE_E10value_typeEPNSK_ISF_E10value_typeEPSG_NS1_7vsmem_tEENKUlT_SE_SF_SG_E_clIS8_S8_S9_S9_EESD_ST_SE_SF_SG_EUlST_E_NS1_11comp_targetILNS1_3genE0ELNS1_11target_archE4294967295ELNS1_3gpuE0ELNS1_3repE0EEENS1_48merge_mergepath_partition_config_static_selectorELNS0_4arch9wavefront6targetE0EEEvSF_.uses_vcc, 1
	.set _ZN7rocprim17ROCPRIM_400000_NS6detail17trampoline_kernelINS0_14default_configENS1_38merge_sort_block_merge_config_selectorIhNS0_10empty_typeEEEZZNS1_27merge_sort_block_merge_implIS3_PhPS5_jNS1_19radix_merge_compareILb0ELb0EhNS0_19identity_decomposerEEEEE10hipError_tT0_T1_T2_jT3_P12ihipStream_tbPNSt15iterator_traitsISE_E10value_typeEPNSK_ISF_E10value_typeEPSG_NS1_7vsmem_tEENKUlT_SE_SF_SG_E_clIS8_S8_S9_S9_EESD_ST_SE_SF_SG_EUlST_E_NS1_11comp_targetILNS1_3genE0ELNS1_11target_archE4294967295ELNS1_3gpuE0ELNS1_3repE0EEENS1_48merge_mergepath_partition_config_static_selectorELNS0_4arch9wavefront6targetE0EEEvSF_.uses_flat_scratch, 0
	.set _ZN7rocprim17ROCPRIM_400000_NS6detail17trampoline_kernelINS0_14default_configENS1_38merge_sort_block_merge_config_selectorIhNS0_10empty_typeEEEZZNS1_27merge_sort_block_merge_implIS3_PhPS5_jNS1_19radix_merge_compareILb0ELb0EhNS0_19identity_decomposerEEEEE10hipError_tT0_T1_T2_jT3_P12ihipStream_tbPNSt15iterator_traitsISE_E10value_typeEPNSK_ISF_E10value_typeEPSG_NS1_7vsmem_tEENKUlT_SE_SF_SG_E_clIS8_S8_S9_S9_EESD_ST_SE_SF_SG_EUlST_E_NS1_11comp_targetILNS1_3genE0ELNS1_11target_archE4294967295ELNS1_3gpuE0ELNS1_3repE0EEENS1_48merge_mergepath_partition_config_static_selectorELNS0_4arch9wavefront6targetE0EEEvSF_.has_dyn_sized_stack, 0
	.set _ZN7rocprim17ROCPRIM_400000_NS6detail17trampoline_kernelINS0_14default_configENS1_38merge_sort_block_merge_config_selectorIhNS0_10empty_typeEEEZZNS1_27merge_sort_block_merge_implIS3_PhPS5_jNS1_19radix_merge_compareILb0ELb0EhNS0_19identity_decomposerEEEEE10hipError_tT0_T1_T2_jT3_P12ihipStream_tbPNSt15iterator_traitsISE_E10value_typeEPNSK_ISF_E10value_typeEPSG_NS1_7vsmem_tEENKUlT_SE_SF_SG_E_clIS8_S8_S9_S9_EESD_ST_SE_SF_SG_EUlST_E_NS1_11comp_targetILNS1_3genE0ELNS1_11target_archE4294967295ELNS1_3gpuE0ELNS1_3repE0EEENS1_48merge_mergepath_partition_config_static_selectorELNS0_4arch9wavefront6targetE0EEEvSF_.has_recursion, 0
	.set _ZN7rocprim17ROCPRIM_400000_NS6detail17trampoline_kernelINS0_14default_configENS1_38merge_sort_block_merge_config_selectorIhNS0_10empty_typeEEEZZNS1_27merge_sort_block_merge_implIS3_PhPS5_jNS1_19radix_merge_compareILb0ELb0EhNS0_19identity_decomposerEEEEE10hipError_tT0_T1_T2_jT3_P12ihipStream_tbPNSt15iterator_traitsISE_E10value_typeEPNSK_ISF_E10value_typeEPSG_NS1_7vsmem_tEENKUlT_SE_SF_SG_E_clIS8_S8_S9_S9_EESD_ST_SE_SF_SG_EUlST_E_NS1_11comp_targetILNS1_3genE0ELNS1_11target_archE4294967295ELNS1_3gpuE0ELNS1_3repE0EEENS1_48merge_mergepath_partition_config_static_selectorELNS0_4arch9wavefront6targetE0EEEvSF_.has_indirect_call, 0
	.section	.AMDGPU.csdata,"",@progbits
; Kernel info:
; codeLenInByte = 420
; TotalNumSgprs: 8
; NumVgprs: 17
; ScratchSize: 0
; MemoryBound: 0
; FloatMode: 240
; IeeeMode: 1
; LDSByteSize: 0 bytes/workgroup (compile time only)
; SGPRBlocks: 0
; VGPRBlocks: 1
; NumSGPRsForWavesPerEU: 8
; NumVGPRsForWavesPerEU: 17
; NamedBarCnt: 0
; Occupancy: 16
; WaveLimiterHint : 0
; COMPUTE_PGM_RSRC2:SCRATCH_EN: 0
; COMPUTE_PGM_RSRC2:USER_SGPR: 2
; COMPUTE_PGM_RSRC2:TRAP_HANDLER: 0
; COMPUTE_PGM_RSRC2:TGID_X_EN: 1
; COMPUTE_PGM_RSRC2:TGID_Y_EN: 0
; COMPUTE_PGM_RSRC2:TGID_Z_EN: 0
; COMPUTE_PGM_RSRC2:TIDIG_COMP_CNT: 0
	.section	.text._ZN7rocprim17ROCPRIM_400000_NS6detail17trampoline_kernelINS0_14default_configENS1_38merge_sort_block_merge_config_selectorIhNS0_10empty_typeEEEZZNS1_27merge_sort_block_merge_implIS3_PhPS5_jNS1_19radix_merge_compareILb0ELb0EhNS0_19identity_decomposerEEEEE10hipError_tT0_T1_T2_jT3_P12ihipStream_tbPNSt15iterator_traitsISE_E10value_typeEPNSK_ISF_E10value_typeEPSG_NS1_7vsmem_tEENKUlT_SE_SF_SG_E_clIS8_S8_S9_S9_EESD_ST_SE_SF_SG_EUlST_E_NS1_11comp_targetILNS1_3genE10ELNS1_11target_archE1201ELNS1_3gpuE5ELNS1_3repE0EEENS1_48merge_mergepath_partition_config_static_selectorELNS0_4arch9wavefront6targetE0EEEvSF_,"axG",@progbits,_ZN7rocprim17ROCPRIM_400000_NS6detail17trampoline_kernelINS0_14default_configENS1_38merge_sort_block_merge_config_selectorIhNS0_10empty_typeEEEZZNS1_27merge_sort_block_merge_implIS3_PhPS5_jNS1_19radix_merge_compareILb0ELb0EhNS0_19identity_decomposerEEEEE10hipError_tT0_T1_T2_jT3_P12ihipStream_tbPNSt15iterator_traitsISE_E10value_typeEPNSK_ISF_E10value_typeEPSG_NS1_7vsmem_tEENKUlT_SE_SF_SG_E_clIS8_S8_S9_S9_EESD_ST_SE_SF_SG_EUlST_E_NS1_11comp_targetILNS1_3genE10ELNS1_11target_archE1201ELNS1_3gpuE5ELNS1_3repE0EEENS1_48merge_mergepath_partition_config_static_selectorELNS0_4arch9wavefront6targetE0EEEvSF_,comdat
	.protected	_ZN7rocprim17ROCPRIM_400000_NS6detail17trampoline_kernelINS0_14default_configENS1_38merge_sort_block_merge_config_selectorIhNS0_10empty_typeEEEZZNS1_27merge_sort_block_merge_implIS3_PhPS5_jNS1_19radix_merge_compareILb0ELb0EhNS0_19identity_decomposerEEEEE10hipError_tT0_T1_T2_jT3_P12ihipStream_tbPNSt15iterator_traitsISE_E10value_typeEPNSK_ISF_E10value_typeEPSG_NS1_7vsmem_tEENKUlT_SE_SF_SG_E_clIS8_S8_S9_S9_EESD_ST_SE_SF_SG_EUlST_E_NS1_11comp_targetILNS1_3genE10ELNS1_11target_archE1201ELNS1_3gpuE5ELNS1_3repE0EEENS1_48merge_mergepath_partition_config_static_selectorELNS0_4arch9wavefront6targetE0EEEvSF_ ; -- Begin function _ZN7rocprim17ROCPRIM_400000_NS6detail17trampoline_kernelINS0_14default_configENS1_38merge_sort_block_merge_config_selectorIhNS0_10empty_typeEEEZZNS1_27merge_sort_block_merge_implIS3_PhPS5_jNS1_19radix_merge_compareILb0ELb0EhNS0_19identity_decomposerEEEEE10hipError_tT0_T1_T2_jT3_P12ihipStream_tbPNSt15iterator_traitsISE_E10value_typeEPNSK_ISF_E10value_typeEPSG_NS1_7vsmem_tEENKUlT_SE_SF_SG_E_clIS8_S8_S9_S9_EESD_ST_SE_SF_SG_EUlST_E_NS1_11comp_targetILNS1_3genE10ELNS1_11target_archE1201ELNS1_3gpuE5ELNS1_3repE0EEENS1_48merge_mergepath_partition_config_static_selectorELNS0_4arch9wavefront6targetE0EEEvSF_
	.globl	_ZN7rocprim17ROCPRIM_400000_NS6detail17trampoline_kernelINS0_14default_configENS1_38merge_sort_block_merge_config_selectorIhNS0_10empty_typeEEEZZNS1_27merge_sort_block_merge_implIS3_PhPS5_jNS1_19radix_merge_compareILb0ELb0EhNS0_19identity_decomposerEEEEE10hipError_tT0_T1_T2_jT3_P12ihipStream_tbPNSt15iterator_traitsISE_E10value_typeEPNSK_ISF_E10value_typeEPSG_NS1_7vsmem_tEENKUlT_SE_SF_SG_E_clIS8_S8_S9_S9_EESD_ST_SE_SF_SG_EUlST_E_NS1_11comp_targetILNS1_3genE10ELNS1_11target_archE1201ELNS1_3gpuE5ELNS1_3repE0EEENS1_48merge_mergepath_partition_config_static_selectorELNS0_4arch9wavefront6targetE0EEEvSF_
	.p2align	8
	.type	_ZN7rocprim17ROCPRIM_400000_NS6detail17trampoline_kernelINS0_14default_configENS1_38merge_sort_block_merge_config_selectorIhNS0_10empty_typeEEEZZNS1_27merge_sort_block_merge_implIS3_PhPS5_jNS1_19radix_merge_compareILb0ELb0EhNS0_19identity_decomposerEEEEE10hipError_tT0_T1_T2_jT3_P12ihipStream_tbPNSt15iterator_traitsISE_E10value_typeEPNSK_ISF_E10value_typeEPSG_NS1_7vsmem_tEENKUlT_SE_SF_SG_E_clIS8_S8_S9_S9_EESD_ST_SE_SF_SG_EUlST_E_NS1_11comp_targetILNS1_3genE10ELNS1_11target_archE1201ELNS1_3gpuE5ELNS1_3repE0EEENS1_48merge_mergepath_partition_config_static_selectorELNS0_4arch9wavefront6targetE0EEEvSF_,@function
_ZN7rocprim17ROCPRIM_400000_NS6detail17trampoline_kernelINS0_14default_configENS1_38merge_sort_block_merge_config_selectorIhNS0_10empty_typeEEEZZNS1_27merge_sort_block_merge_implIS3_PhPS5_jNS1_19radix_merge_compareILb0ELb0EhNS0_19identity_decomposerEEEEE10hipError_tT0_T1_T2_jT3_P12ihipStream_tbPNSt15iterator_traitsISE_E10value_typeEPNSK_ISF_E10value_typeEPSG_NS1_7vsmem_tEENKUlT_SE_SF_SG_E_clIS8_S8_S9_S9_EESD_ST_SE_SF_SG_EUlST_E_NS1_11comp_targetILNS1_3genE10ELNS1_11target_archE1201ELNS1_3gpuE5ELNS1_3repE0EEENS1_48merge_mergepath_partition_config_static_selectorELNS0_4arch9wavefront6targetE0EEEvSF_: ; @_ZN7rocprim17ROCPRIM_400000_NS6detail17trampoline_kernelINS0_14default_configENS1_38merge_sort_block_merge_config_selectorIhNS0_10empty_typeEEEZZNS1_27merge_sort_block_merge_implIS3_PhPS5_jNS1_19radix_merge_compareILb0ELb0EhNS0_19identity_decomposerEEEEE10hipError_tT0_T1_T2_jT3_P12ihipStream_tbPNSt15iterator_traitsISE_E10value_typeEPNSK_ISF_E10value_typeEPSG_NS1_7vsmem_tEENKUlT_SE_SF_SG_E_clIS8_S8_S9_S9_EESD_ST_SE_SF_SG_EUlST_E_NS1_11comp_targetILNS1_3genE10ELNS1_11target_archE1201ELNS1_3gpuE5ELNS1_3repE0EEENS1_48merge_mergepath_partition_config_static_selectorELNS0_4arch9wavefront6targetE0EEEvSF_
; %bb.0:
	.section	.rodata,"a",@progbits
	.p2align	6, 0x0
	.amdhsa_kernel _ZN7rocprim17ROCPRIM_400000_NS6detail17trampoline_kernelINS0_14default_configENS1_38merge_sort_block_merge_config_selectorIhNS0_10empty_typeEEEZZNS1_27merge_sort_block_merge_implIS3_PhPS5_jNS1_19radix_merge_compareILb0ELb0EhNS0_19identity_decomposerEEEEE10hipError_tT0_T1_T2_jT3_P12ihipStream_tbPNSt15iterator_traitsISE_E10value_typeEPNSK_ISF_E10value_typeEPSG_NS1_7vsmem_tEENKUlT_SE_SF_SG_E_clIS8_S8_S9_S9_EESD_ST_SE_SF_SG_EUlST_E_NS1_11comp_targetILNS1_3genE10ELNS1_11target_archE1201ELNS1_3gpuE5ELNS1_3repE0EEENS1_48merge_mergepath_partition_config_static_selectorELNS0_4arch9wavefront6targetE0EEEvSF_
		.amdhsa_group_segment_fixed_size 0
		.amdhsa_private_segment_fixed_size 0
		.amdhsa_kernarg_size 40
		.amdhsa_user_sgpr_count 2
		.amdhsa_user_sgpr_dispatch_ptr 0
		.amdhsa_user_sgpr_queue_ptr 0
		.amdhsa_user_sgpr_kernarg_segment_ptr 1
		.amdhsa_user_sgpr_dispatch_id 0
		.amdhsa_user_sgpr_kernarg_preload_length 0
		.amdhsa_user_sgpr_kernarg_preload_offset 0
		.amdhsa_user_sgpr_private_segment_size 0
		.amdhsa_wavefront_size32 1
		.amdhsa_uses_dynamic_stack 0
		.amdhsa_enable_private_segment 0
		.amdhsa_system_sgpr_workgroup_id_x 1
		.amdhsa_system_sgpr_workgroup_id_y 0
		.amdhsa_system_sgpr_workgroup_id_z 0
		.amdhsa_system_sgpr_workgroup_info 0
		.amdhsa_system_vgpr_workitem_id 0
		.amdhsa_next_free_vgpr 1
		.amdhsa_next_free_sgpr 1
		.amdhsa_named_barrier_count 0
		.amdhsa_reserve_vcc 0
		.amdhsa_float_round_mode_32 0
		.amdhsa_float_round_mode_16_64 0
		.amdhsa_float_denorm_mode_32 3
		.amdhsa_float_denorm_mode_16_64 3
		.amdhsa_fp16_overflow 0
		.amdhsa_memory_ordered 1
		.amdhsa_forward_progress 1
		.amdhsa_inst_pref_size 0
		.amdhsa_round_robin_scheduling 0
		.amdhsa_exception_fp_ieee_invalid_op 0
		.amdhsa_exception_fp_denorm_src 0
		.amdhsa_exception_fp_ieee_div_zero 0
		.amdhsa_exception_fp_ieee_overflow 0
		.amdhsa_exception_fp_ieee_underflow 0
		.amdhsa_exception_fp_ieee_inexact 0
		.amdhsa_exception_int_div_zero 0
	.end_amdhsa_kernel
	.section	.text._ZN7rocprim17ROCPRIM_400000_NS6detail17trampoline_kernelINS0_14default_configENS1_38merge_sort_block_merge_config_selectorIhNS0_10empty_typeEEEZZNS1_27merge_sort_block_merge_implIS3_PhPS5_jNS1_19radix_merge_compareILb0ELb0EhNS0_19identity_decomposerEEEEE10hipError_tT0_T1_T2_jT3_P12ihipStream_tbPNSt15iterator_traitsISE_E10value_typeEPNSK_ISF_E10value_typeEPSG_NS1_7vsmem_tEENKUlT_SE_SF_SG_E_clIS8_S8_S9_S9_EESD_ST_SE_SF_SG_EUlST_E_NS1_11comp_targetILNS1_3genE10ELNS1_11target_archE1201ELNS1_3gpuE5ELNS1_3repE0EEENS1_48merge_mergepath_partition_config_static_selectorELNS0_4arch9wavefront6targetE0EEEvSF_,"axG",@progbits,_ZN7rocprim17ROCPRIM_400000_NS6detail17trampoline_kernelINS0_14default_configENS1_38merge_sort_block_merge_config_selectorIhNS0_10empty_typeEEEZZNS1_27merge_sort_block_merge_implIS3_PhPS5_jNS1_19radix_merge_compareILb0ELb0EhNS0_19identity_decomposerEEEEE10hipError_tT0_T1_T2_jT3_P12ihipStream_tbPNSt15iterator_traitsISE_E10value_typeEPNSK_ISF_E10value_typeEPSG_NS1_7vsmem_tEENKUlT_SE_SF_SG_E_clIS8_S8_S9_S9_EESD_ST_SE_SF_SG_EUlST_E_NS1_11comp_targetILNS1_3genE10ELNS1_11target_archE1201ELNS1_3gpuE5ELNS1_3repE0EEENS1_48merge_mergepath_partition_config_static_selectorELNS0_4arch9wavefront6targetE0EEEvSF_,comdat
.Lfunc_end154:
	.size	_ZN7rocprim17ROCPRIM_400000_NS6detail17trampoline_kernelINS0_14default_configENS1_38merge_sort_block_merge_config_selectorIhNS0_10empty_typeEEEZZNS1_27merge_sort_block_merge_implIS3_PhPS5_jNS1_19radix_merge_compareILb0ELb0EhNS0_19identity_decomposerEEEEE10hipError_tT0_T1_T2_jT3_P12ihipStream_tbPNSt15iterator_traitsISE_E10value_typeEPNSK_ISF_E10value_typeEPSG_NS1_7vsmem_tEENKUlT_SE_SF_SG_E_clIS8_S8_S9_S9_EESD_ST_SE_SF_SG_EUlST_E_NS1_11comp_targetILNS1_3genE10ELNS1_11target_archE1201ELNS1_3gpuE5ELNS1_3repE0EEENS1_48merge_mergepath_partition_config_static_selectorELNS0_4arch9wavefront6targetE0EEEvSF_, .Lfunc_end154-_ZN7rocprim17ROCPRIM_400000_NS6detail17trampoline_kernelINS0_14default_configENS1_38merge_sort_block_merge_config_selectorIhNS0_10empty_typeEEEZZNS1_27merge_sort_block_merge_implIS3_PhPS5_jNS1_19radix_merge_compareILb0ELb0EhNS0_19identity_decomposerEEEEE10hipError_tT0_T1_T2_jT3_P12ihipStream_tbPNSt15iterator_traitsISE_E10value_typeEPNSK_ISF_E10value_typeEPSG_NS1_7vsmem_tEENKUlT_SE_SF_SG_E_clIS8_S8_S9_S9_EESD_ST_SE_SF_SG_EUlST_E_NS1_11comp_targetILNS1_3genE10ELNS1_11target_archE1201ELNS1_3gpuE5ELNS1_3repE0EEENS1_48merge_mergepath_partition_config_static_selectorELNS0_4arch9wavefront6targetE0EEEvSF_
                                        ; -- End function
	.set _ZN7rocprim17ROCPRIM_400000_NS6detail17trampoline_kernelINS0_14default_configENS1_38merge_sort_block_merge_config_selectorIhNS0_10empty_typeEEEZZNS1_27merge_sort_block_merge_implIS3_PhPS5_jNS1_19radix_merge_compareILb0ELb0EhNS0_19identity_decomposerEEEEE10hipError_tT0_T1_T2_jT3_P12ihipStream_tbPNSt15iterator_traitsISE_E10value_typeEPNSK_ISF_E10value_typeEPSG_NS1_7vsmem_tEENKUlT_SE_SF_SG_E_clIS8_S8_S9_S9_EESD_ST_SE_SF_SG_EUlST_E_NS1_11comp_targetILNS1_3genE10ELNS1_11target_archE1201ELNS1_3gpuE5ELNS1_3repE0EEENS1_48merge_mergepath_partition_config_static_selectorELNS0_4arch9wavefront6targetE0EEEvSF_.num_vgpr, 0
	.set _ZN7rocprim17ROCPRIM_400000_NS6detail17trampoline_kernelINS0_14default_configENS1_38merge_sort_block_merge_config_selectorIhNS0_10empty_typeEEEZZNS1_27merge_sort_block_merge_implIS3_PhPS5_jNS1_19radix_merge_compareILb0ELb0EhNS0_19identity_decomposerEEEEE10hipError_tT0_T1_T2_jT3_P12ihipStream_tbPNSt15iterator_traitsISE_E10value_typeEPNSK_ISF_E10value_typeEPSG_NS1_7vsmem_tEENKUlT_SE_SF_SG_E_clIS8_S8_S9_S9_EESD_ST_SE_SF_SG_EUlST_E_NS1_11comp_targetILNS1_3genE10ELNS1_11target_archE1201ELNS1_3gpuE5ELNS1_3repE0EEENS1_48merge_mergepath_partition_config_static_selectorELNS0_4arch9wavefront6targetE0EEEvSF_.num_agpr, 0
	.set _ZN7rocprim17ROCPRIM_400000_NS6detail17trampoline_kernelINS0_14default_configENS1_38merge_sort_block_merge_config_selectorIhNS0_10empty_typeEEEZZNS1_27merge_sort_block_merge_implIS3_PhPS5_jNS1_19radix_merge_compareILb0ELb0EhNS0_19identity_decomposerEEEEE10hipError_tT0_T1_T2_jT3_P12ihipStream_tbPNSt15iterator_traitsISE_E10value_typeEPNSK_ISF_E10value_typeEPSG_NS1_7vsmem_tEENKUlT_SE_SF_SG_E_clIS8_S8_S9_S9_EESD_ST_SE_SF_SG_EUlST_E_NS1_11comp_targetILNS1_3genE10ELNS1_11target_archE1201ELNS1_3gpuE5ELNS1_3repE0EEENS1_48merge_mergepath_partition_config_static_selectorELNS0_4arch9wavefront6targetE0EEEvSF_.numbered_sgpr, 0
	.set _ZN7rocprim17ROCPRIM_400000_NS6detail17trampoline_kernelINS0_14default_configENS1_38merge_sort_block_merge_config_selectorIhNS0_10empty_typeEEEZZNS1_27merge_sort_block_merge_implIS3_PhPS5_jNS1_19radix_merge_compareILb0ELb0EhNS0_19identity_decomposerEEEEE10hipError_tT0_T1_T2_jT3_P12ihipStream_tbPNSt15iterator_traitsISE_E10value_typeEPNSK_ISF_E10value_typeEPSG_NS1_7vsmem_tEENKUlT_SE_SF_SG_E_clIS8_S8_S9_S9_EESD_ST_SE_SF_SG_EUlST_E_NS1_11comp_targetILNS1_3genE10ELNS1_11target_archE1201ELNS1_3gpuE5ELNS1_3repE0EEENS1_48merge_mergepath_partition_config_static_selectorELNS0_4arch9wavefront6targetE0EEEvSF_.num_named_barrier, 0
	.set _ZN7rocprim17ROCPRIM_400000_NS6detail17trampoline_kernelINS0_14default_configENS1_38merge_sort_block_merge_config_selectorIhNS0_10empty_typeEEEZZNS1_27merge_sort_block_merge_implIS3_PhPS5_jNS1_19radix_merge_compareILb0ELb0EhNS0_19identity_decomposerEEEEE10hipError_tT0_T1_T2_jT3_P12ihipStream_tbPNSt15iterator_traitsISE_E10value_typeEPNSK_ISF_E10value_typeEPSG_NS1_7vsmem_tEENKUlT_SE_SF_SG_E_clIS8_S8_S9_S9_EESD_ST_SE_SF_SG_EUlST_E_NS1_11comp_targetILNS1_3genE10ELNS1_11target_archE1201ELNS1_3gpuE5ELNS1_3repE0EEENS1_48merge_mergepath_partition_config_static_selectorELNS0_4arch9wavefront6targetE0EEEvSF_.private_seg_size, 0
	.set _ZN7rocprim17ROCPRIM_400000_NS6detail17trampoline_kernelINS0_14default_configENS1_38merge_sort_block_merge_config_selectorIhNS0_10empty_typeEEEZZNS1_27merge_sort_block_merge_implIS3_PhPS5_jNS1_19radix_merge_compareILb0ELb0EhNS0_19identity_decomposerEEEEE10hipError_tT0_T1_T2_jT3_P12ihipStream_tbPNSt15iterator_traitsISE_E10value_typeEPNSK_ISF_E10value_typeEPSG_NS1_7vsmem_tEENKUlT_SE_SF_SG_E_clIS8_S8_S9_S9_EESD_ST_SE_SF_SG_EUlST_E_NS1_11comp_targetILNS1_3genE10ELNS1_11target_archE1201ELNS1_3gpuE5ELNS1_3repE0EEENS1_48merge_mergepath_partition_config_static_selectorELNS0_4arch9wavefront6targetE0EEEvSF_.uses_vcc, 0
	.set _ZN7rocprim17ROCPRIM_400000_NS6detail17trampoline_kernelINS0_14default_configENS1_38merge_sort_block_merge_config_selectorIhNS0_10empty_typeEEEZZNS1_27merge_sort_block_merge_implIS3_PhPS5_jNS1_19radix_merge_compareILb0ELb0EhNS0_19identity_decomposerEEEEE10hipError_tT0_T1_T2_jT3_P12ihipStream_tbPNSt15iterator_traitsISE_E10value_typeEPNSK_ISF_E10value_typeEPSG_NS1_7vsmem_tEENKUlT_SE_SF_SG_E_clIS8_S8_S9_S9_EESD_ST_SE_SF_SG_EUlST_E_NS1_11comp_targetILNS1_3genE10ELNS1_11target_archE1201ELNS1_3gpuE5ELNS1_3repE0EEENS1_48merge_mergepath_partition_config_static_selectorELNS0_4arch9wavefront6targetE0EEEvSF_.uses_flat_scratch, 0
	.set _ZN7rocprim17ROCPRIM_400000_NS6detail17trampoline_kernelINS0_14default_configENS1_38merge_sort_block_merge_config_selectorIhNS0_10empty_typeEEEZZNS1_27merge_sort_block_merge_implIS3_PhPS5_jNS1_19radix_merge_compareILb0ELb0EhNS0_19identity_decomposerEEEEE10hipError_tT0_T1_T2_jT3_P12ihipStream_tbPNSt15iterator_traitsISE_E10value_typeEPNSK_ISF_E10value_typeEPSG_NS1_7vsmem_tEENKUlT_SE_SF_SG_E_clIS8_S8_S9_S9_EESD_ST_SE_SF_SG_EUlST_E_NS1_11comp_targetILNS1_3genE10ELNS1_11target_archE1201ELNS1_3gpuE5ELNS1_3repE0EEENS1_48merge_mergepath_partition_config_static_selectorELNS0_4arch9wavefront6targetE0EEEvSF_.has_dyn_sized_stack, 0
	.set _ZN7rocprim17ROCPRIM_400000_NS6detail17trampoline_kernelINS0_14default_configENS1_38merge_sort_block_merge_config_selectorIhNS0_10empty_typeEEEZZNS1_27merge_sort_block_merge_implIS3_PhPS5_jNS1_19radix_merge_compareILb0ELb0EhNS0_19identity_decomposerEEEEE10hipError_tT0_T1_T2_jT3_P12ihipStream_tbPNSt15iterator_traitsISE_E10value_typeEPNSK_ISF_E10value_typeEPSG_NS1_7vsmem_tEENKUlT_SE_SF_SG_E_clIS8_S8_S9_S9_EESD_ST_SE_SF_SG_EUlST_E_NS1_11comp_targetILNS1_3genE10ELNS1_11target_archE1201ELNS1_3gpuE5ELNS1_3repE0EEENS1_48merge_mergepath_partition_config_static_selectorELNS0_4arch9wavefront6targetE0EEEvSF_.has_recursion, 0
	.set _ZN7rocprim17ROCPRIM_400000_NS6detail17trampoline_kernelINS0_14default_configENS1_38merge_sort_block_merge_config_selectorIhNS0_10empty_typeEEEZZNS1_27merge_sort_block_merge_implIS3_PhPS5_jNS1_19radix_merge_compareILb0ELb0EhNS0_19identity_decomposerEEEEE10hipError_tT0_T1_T2_jT3_P12ihipStream_tbPNSt15iterator_traitsISE_E10value_typeEPNSK_ISF_E10value_typeEPSG_NS1_7vsmem_tEENKUlT_SE_SF_SG_E_clIS8_S8_S9_S9_EESD_ST_SE_SF_SG_EUlST_E_NS1_11comp_targetILNS1_3genE10ELNS1_11target_archE1201ELNS1_3gpuE5ELNS1_3repE0EEENS1_48merge_mergepath_partition_config_static_selectorELNS0_4arch9wavefront6targetE0EEEvSF_.has_indirect_call, 0
	.section	.AMDGPU.csdata,"",@progbits
; Kernel info:
; codeLenInByte = 0
; TotalNumSgprs: 0
; NumVgprs: 0
; ScratchSize: 0
; MemoryBound: 0
; FloatMode: 240
; IeeeMode: 1
; LDSByteSize: 0 bytes/workgroup (compile time only)
; SGPRBlocks: 0
; VGPRBlocks: 0
; NumSGPRsForWavesPerEU: 1
; NumVGPRsForWavesPerEU: 1
; NamedBarCnt: 0
; Occupancy: 16
; WaveLimiterHint : 0
; COMPUTE_PGM_RSRC2:SCRATCH_EN: 0
; COMPUTE_PGM_RSRC2:USER_SGPR: 2
; COMPUTE_PGM_RSRC2:TRAP_HANDLER: 0
; COMPUTE_PGM_RSRC2:TGID_X_EN: 1
; COMPUTE_PGM_RSRC2:TGID_Y_EN: 0
; COMPUTE_PGM_RSRC2:TGID_Z_EN: 0
; COMPUTE_PGM_RSRC2:TIDIG_COMP_CNT: 0
	.section	.text._ZN7rocprim17ROCPRIM_400000_NS6detail17trampoline_kernelINS0_14default_configENS1_38merge_sort_block_merge_config_selectorIhNS0_10empty_typeEEEZZNS1_27merge_sort_block_merge_implIS3_PhPS5_jNS1_19radix_merge_compareILb0ELb0EhNS0_19identity_decomposerEEEEE10hipError_tT0_T1_T2_jT3_P12ihipStream_tbPNSt15iterator_traitsISE_E10value_typeEPNSK_ISF_E10value_typeEPSG_NS1_7vsmem_tEENKUlT_SE_SF_SG_E_clIS8_S8_S9_S9_EESD_ST_SE_SF_SG_EUlST_E_NS1_11comp_targetILNS1_3genE5ELNS1_11target_archE942ELNS1_3gpuE9ELNS1_3repE0EEENS1_48merge_mergepath_partition_config_static_selectorELNS0_4arch9wavefront6targetE0EEEvSF_,"axG",@progbits,_ZN7rocprim17ROCPRIM_400000_NS6detail17trampoline_kernelINS0_14default_configENS1_38merge_sort_block_merge_config_selectorIhNS0_10empty_typeEEEZZNS1_27merge_sort_block_merge_implIS3_PhPS5_jNS1_19radix_merge_compareILb0ELb0EhNS0_19identity_decomposerEEEEE10hipError_tT0_T1_T2_jT3_P12ihipStream_tbPNSt15iterator_traitsISE_E10value_typeEPNSK_ISF_E10value_typeEPSG_NS1_7vsmem_tEENKUlT_SE_SF_SG_E_clIS8_S8_S9_S9_EESD_ST_SE_SF_SG_EUlST_E_NS1_11comp_targetILNS1_3genE5ELNS1_11target_archE942ELNS1_3gpuE9ELNS1_3repE0EEENS1_48merge_mergepath_partition_config_static_selectorELNS0_4arch9wavefront6targetE0EEEvSF_,comdat
	.protected	_ZN7rocprim17ROCPRIM_400000_NS6detail17trampoline_kernelINS0_14default_configENS1_38merge_sort_block_merge_config_selectorIhNS0_10empty_typeEEEZZNS1_27merge_sort_block_merge_implIS3_PhPS5_jNS1_19radix_merge_compareILb0ELb0EhNS0_19identity_decomposerEEEEE10hipError_tT0_T1_T2_jT3_P12ihipStream_tbPNSt15iterator_traitsISE_E10value_typeEPNSK_ISF_E10value_typeEPSG_NS1_7vsmem_tEENKUlT_SE_SF_SG_E_clIS8_S8_S9_S9_EESD_ST_SE_SF_SG_EUlST_E_NS1_11comp_targetILNS1_3genE5ELNS1_11target_archE942ELNS1_3gpuE9ELNS1_3repE0EEENS1_48merge_mergepath_partition_config_static_selectorELNS0_4arch9wavefront6targetE0EEEvSF_ ; -- Begin function _ZN7rocprim17ROCPRIM_400000_NS6detail17trampoline_kernelINS0_14default_configENS1_38merge_sort_block_merge_config_selectorIhNS0_10empty_typeEEEZZNS1_27merge_sort_block_merge_implIS3_PhPS5_jNS1_19radix_merge_compareILb0ELb0EhNS0_19identity_decomposerEEEEE10hipError_tT0_T1_T2_jT3_P12ihipStream_tbPNSt15iterator_traitsISE_E10value_typeEPNSK_ISF_E10value_typeEPSG_NS1_7vsmem_tEENKUlT_SE_SF_SG_E_clIS8_S8_S9_S9_EESD_ST_SE_SF_SG_EUlST_E_NS1_11comp_targetILNS1_3genE5ELNS1_11target_archE942ELNS1_3gpuE9ELNS1_3repE0EEENS1_48merge_mergepath_partition_config_static_selectorELNS0_4arch9wavefront6targetE0EEEvSF_
	.globl	_ZN7rocprim17ROCPRIM_400000_NS6detail17trampoline_kernelINS0_14default_configENS1_38merge_sort_block_merge_config_selectorIhNS0_10empty_typeEEEZZNS1_27merge_sort_block_merge_implIS3_PhPS5_jNS1_19radix_merge_compareILb0ELb0EhNS0_19identity_decomposerEEEEE10hipError_tT0_T1_T2_jT3_P12ihipStream_tbPNSt15iterator_traitsISE_E10value_typeEPNSK_ISF_E10value_typeEPSG_NS1_7vsmem_tEENKUlT_SE_SF_SG_E_clIS8_S8_S9_S9_EESD_ST_SE_SF_SG_EUlST_E_NS1_11comp_targetILNS1_3genE5ELNS1_11target_archE942ELNS1_3gpuE9ELNS1_3repE0EEENS1_48merge_mergepath_partition_config_static_selectorELNS0_4arch9wavefront6targetE0EEEvSF_
	.p2align	8
	.type	_ZN7rocprim17ROCPRIM_400000_NS6detail17trampoline_kernelINS0_14default_configENS1_38merge_sort_block_merge_config_selectorIhNS0_10empty_typeEEEZZNS1_27merge_sort_block_merge_implIS3_PhPS5_jNS1_19radix_merge_compareILb0ELb0EhNS0_19identity_decomposerEEEEE10hipError_tT0_T1_T2_jT3_P12ihipStream_tbPNSt15iterator_traitsISE_E10value_typeEPNSK_ISF_E10value_typeEPSG_NS1_7vsmem_tEENKUlT_SE_SF_SG_E_clIS8_S8_S9_S9_EESD_ST_SE_SF_SG_EUlST_E_NS1_11comp_targetILNS1_3genE5ELNS1_11target_archE942ELNS1_3gpuE9ELNS1_3repE0EEENS1_48merge_mergepath_partition_config_static_selectorELNS0_4arch9wavefront6targetE0EEEvSF_,@function
_ZN7rocprim17ROCPRIM_400000_NS6detail17trampoline_kernelINS0_14default_configENS1_38merge_sort_block_merge_config_selectorIhNS0_10empty_typeEEEZZNS1_27merge_sort_block_merge_implIS3_PhPS5_jNS1_19radix_merge_compareILb0ELb0EhNS0_19identity_decomposerEEEEE10hipError_tT0_T1_T2_jT3_P12ihipStream_tbPNSt15iterator_traitsISE_E10value_typeEPNSK_ISF_E10value_typeEPSG_NS1_7vsmem_tEENKUlT_SE_SF_SG_E_clIS8_S8_S9_S9_EESD_ST_SE_SF_SG_EUlST_E_NS1_11comp_targetILNS1_3genE5ELNS1_11target_archE942ELNS1_3gpuE9ELNS1_3repE0EEENS1_48merge_mergepath_partition_config_static_selectorELNS0_4arch9wavefront6targetE0EEEvSF_: ; @_ZN7rocprim17ROCPRIM_400000_NS6detail17trampoline_kernelINS0_14default_configENS1_38merge_sort_block_merge_config_selectorIhNS0_10empty_typeEEEZZNS1_27merge_sort_block_merge_implIS3_PhPS5_jNS1_19radix_merge_compareILb0ELb0EhNS0_19identity_decomposerEEEEE10hipError_tT0_T1_T2_jT3_P12ihipStream_tbPNSt15iterator_traitsISE_E10value_typeEPNSK_ISF_E10value_typeEPSG_NS1_7vsmem_tEENKUlT_SE_SF_SG_E_clIS8_S8_S9_S9_EESD_ST_SE_SF_SG_EUlST_E_NS1_11comp_targetILNS1_3genE5ELNS1_11target_archE942ELNS1_3gpuE9ELNS1_3repE0EEENS1_48merge_mergepath_partition_config_static_selectorELNS0_4arch9wavefront6targetE0EEEvSF_
; %bb.0:
	.section	.rodata,"a",@progbits
	.p2align	6, 0x0
	.amdhsa_kernel _ZN7rocprim17ROCPRIM_400000_NS6detail17trampoline_kernelINS0_14default_configENS1_38merge_sort_block_merge_config_selectorIhNS0_10empty_typeEEEZZNS1_27merge_sort_block_merge_implIS3_PhPS5_jNS1_19radix_merge_compareILb0ELb0EhNS0_19identity_decomposerEEEEE10hipError_tT0_T1_T2_jT3_P12ihipStream_tbPNSt15iterator_traitsISE_E10value_typeEPNSK_ISF_E10value_typeEPSG_NS1_7vsmem_tEENKUlT_SE_SF_SG_E_clIS8_S8_S9_S9_EESD_ST_SE_SF_SG_EUlST_E_NS1_11comp_targetILNS1_3genE5ELNS1_11target_archE942ELNS1_3gpuE9ELNS1_3repE0EEENS1_48merge_mergepath_partition_config_static_selectorELNS0_4arch9wavefront6targetE0EEEvSF_
		.amdhsa_group_segment_fixed_size 0
		.amdhsa_private_segment_fixed_size 0
		.amdhsa_kernarg_size 40
		.amdhsa_user_sgpr_count 2
		.amdhsa_user_sgpr_dispatch_ptr 0
		.amdhsa_user_sgpr_queue_ptr 0
		.amdhsa_user_sgpr_kernarg_segment_ptr 1
		.amdhsa_user_sgpr_dispatch_id 0
		.amdhsa_user_sgpr_kernarg_preload_length 0
		.amdhsa_user_sgpr_kernarg_preload_offset 0
		.amdhsa_user_sgpr_private_segment_size 0
		.amdhsa_wavefront_size32 1
		.amdhsa_uses_dynamic_stack 0
		.amdhsa_enable_private_segment 0
		.amdhsa_system_sgpr_workgroup_id_x 1
		.amdhsa_system_sgpr_workgroup_id_y 0
		.amdhsa_system_sgpr_workgroup_id_z 0
		.amdhsa_system_sgpr_workgroup_info 0
		.amdhsa_system_vgpr_workitem_id 0
		.amdhsa_next_free_vgpr 1
		.amdhsa_next_free_sgpr 1
		.amdhsa_named_barrier_count 0
		.amdhsa_reserve_vcc 0
		.amdhsa_float_round_mode_32 0
		.amdhsa_float_round_mode_16_64 0
		.amdhsa_float_denorm_mode_32 3
		.amdhsa_float_denorm_mode_16_64 3
		.amdhsa_fp16_overflow 0
		.amdhsa_memory_ordered 1
		.amdhsa_forward_progress 1
		.amdhsa_inst_pref_size 0
		.amdhsa_round_robin_scheduling 0
		.amdhsa_exception_fp_ieee_invalid_op 0
		.amdhsa_exception_fp_denorm_src 0
		.amdhsa_exception_fp_ieee_div_zero 0
		.amdhsa_exception_fp_ieee_overflow 0
		.amdhsa_exception_fp_ieee_underflow 0
		.amdhsa_exception_fp_ieee_inexact 0
		.amdhsa_exception_int_div_zero 0
	.end_amdhsa_kernel
	.section	.text._ZN7rocprim17ROCPRIM_400000_NS6detail17trampoline_kernelINS0_14default_configENS1_38merge_sort_block_merge_config_selectorIhNS0_10empty_typeEEEZZNS1_27merge_sort_block_merge_implIS3_PhPS5_jNS1_19radix_merge_compareILb0ELb0EhNS0_19identity_decomposerEEEEE10hipError_tT0_T1_T2_jT3_P12ihipStream_tbPNSt15iterator_traitsISE_E10value_typeEPNSK_ISF_E10value_typeEPSG_NS1_7vsmem_tEENKUlT_SE_SF_SG_E_clIS8_S8_S9_S9_EESD_ST_SE_SF_SG_EUlST_E_NS1_11comp_targetILNS1_3genE5ELNS1_11target_archE942ELNS1_3gpuE9ELNS1_3repE0EEENS1_48merge_mergepath_partition_config_static_selectorELNS0_4arch9wavefront6targetE0EEEvSF_,"axG",@progbits,_ZN7rocprim17ROCPRIM_400000_NS6detail17trampoline_kernelINS0_14default_configENS1_38merge_sort_block_merge_config_selectorIhNS0_10empty_typeEEEZZNS1_27merge_sort_block_merge_implIS3_PhPS5_jNS1_19radix_merge_compareILb0ELb0EhNS0_19identity_decomposerEEEEE10hipError_tT0_T1_T2_jT3_P12ihipStream_tbPNSt15iterator_traitsISE_E10value_typeEPNSK_ISF_E10value_typeEPSG_NS1_7vsmem_tEENKUlT_SE_SF_SG_E_clIS8_S8_S9_S9_EESD_ST_SE_SF_SG_EUlST_E_NS1_11comp_targetILNS1_3genE5ELNS1_11target_archE942ELNS1_3gpuE9ELNS1_3repE0EEENS1_48merge_mergepath_partition_config_static_selectorELNS0_4arch9wavefront6targetE0EEEvSF_,comdat
.Lfunc_end155:
	.size	_ZN7rocprim17ROCPRIM_400000_NS6detail17trampoline_kernelINS0_14default_configENS1_38merge_sort_block_merge_config_selectorIhNS0_10empty_typeEEEZZNS1_27merge_sort_block_merge_implIS3_PhPS5_jNS1_19radix_merge_compareILb0ELb0EhNS0_19identity_decomposerEEEEE10hipError_tT0_T1_T2_jT3_P12ihipStream_tbPNSt15iterator_traitsISE_E10value_typeEPNSK_ISF_E10value_typeEPSG_NS1_7vsmem_tEENKUlT_SE_SF_SG_E_clIS8_S8_S9_S9_EESD_ST_SE_SF_SG_EUlST_E_NS1_11comp_targetILNS1_3genE5ELNS1_11target_archE942ELNS1_3gpuE9ELNS1_3repE0EEENS1_48merge_mergepath_partition_config_static_selectorELNS0_4arch9wavefront6targetE0EEEvSF_, .Lfunc_end155-_ZN7rocprim17ROCPRIM_400000_NS6detail17trampoline_kernelINS0_14default_configENS1_38merge_sort_block_merge_config_selectorIhNS0_10empty_typeEEEZZNS1_27merge_sort_block_merge_implIS3_PhPS5_jNS1_19radix_merge_compareILb0ELb0EhNS0_19identity_decomposerEEEEE10hipError_tT0_T1_T2_jT3_P12ihipStream_tbPNSt15iterator_traitsISE_E10value_typeEPNSK_ISF_E10value_typeEPSG_NS1_7vsmem_tEENKUlT_SE_SF_SG_E_clIS8_S8_S9_S9_EESD_ST_SE_SF_SG_EUlST_E_NS1_11comp_targetILNS1_3genE5ELNS1_11target_archE942ELNS1_3gpuE9ELNS1_3repE0EEENS1_48merge_mergepath_partition_config_static_selectorELNS0_4arch9wavefront6targetE0EEEvSF_
                                        ; -- End function
	.set _ZN7rocprim17ROCPRIM_400000_NS6detail17trampoline_kernelINS0_14default_configENS1_38merge_sort_block_merge_config_selectorIhNS0_10empty_typeEEEZZNS1_27merge_sort_block_merge_implIS3_PhPS5_jNS1_19radix_merge_compareILb0ELb0EhNS0_19identity_decomposerEEEEE10hipError_tT0_T1_T2_jT3_P12ihipStream_tbPNSt15iterator_traitsISE_E10value_typeEPNSK_ISF_E10value_typeEPSG_NS1_7vsmem_tEENKUlT_SE_SF_SG_E_clIS8_S8_S9_S9_EESD_ST_SE_SF_SG_EUlST_E_NS1_11comp_targetILNS1_3genE5ELNS1_11target_archE942ELNS1_3gpuE9ELNS1_3repE0EEENS1_48merge_mergepath_partition_config_static_selectorELNS0_4arch9wavefront6targetE0EEEvSF_.num_vgpr, 0
	.set _ZN7rocprim17ROCPRIM_400000_NS6detail17trampoline_kernelINS0_14default_configENS1_38merge_sort_block_merge_config_selectorIhNS0_10empty_typeEEEZZNS1_27merge_sort_block_merge_implIS3_PhPS5_jNS1_19radix_merge_compareILb0ELb0EhNS0_19identity_decomposerEEEEE10hipError_tT0_T1_T2_jT3_P12ihipStream_tbPNSt15iterator_traitsISE_E10value_typeEPNSK_ISF_E10value_typeEPSG_NS1_7vsmem_tEENKUlT_SE_SF_SG_E_clIS8_S8_S9_S9_EESD_ST_SE_SF_SG_EUlST_E_NS1_11comp_targetILNS1_3genE5ELNS1_11target_archE942ELNS1_3gpuE9ELNS1_3repE0EEENS1_48merge_mergepath_partition_config_static_selectorELNS0_4arch9wavefront6targetE0EEEvSF_.num_agpr, 0
	.set _ZN7rocprim17ROCPRIM_400000_NS6detail17trampoline_kernelINS0_14default_configENS1_38merge_sort_block_merge_config_selectorIhNS0_10empty_typeEEEZZNS1_27merge_sort_block_merge_implIS3_PhPS5_jNS1_19radix_merge_compareILb0ELb0EhNS0_19identity_decomposerEEEEE10hipError_tT0_T1_T2_jT3_P12ihipStream_tbPNSt15iterator_traitsISE_E10value_typeEPNSK_ISF_E10value_typeEPSG_NS1_7vsmem_tEENKUlT_SE_SF_SG_E_clIS8_S8_S9_S9_EESD_ST_SE_SF_SG_EUlST_E_NS1_11comp_targetILNS1_3genE5ELNS1_11target_archE942ELNS1_3gpuE9ELNS1_3repE0EEENS1_48merge_mergepath_partition_config_static_selectorELNS0_4arch9wavefront6targetE0EEEvSF_.numbered_sgpr, 0
	.set _ZN7rocprim17ROCPRIM_400000_NS6detail17trampoline_kernelINS0_14default_configENS1_38merge_sort_block_merge_config_selectorIhNS0_10empty_typeEEEZZNS1_27merge_sort_block_merge_implIS3_PhPS5_jNS1_19radix_merge_compareILb0ELb0EhNS0_19identity_decomposerEEEEE10hipError_tT0_T1_T2_jT3_P12ihipStream_tbPNSt15iterator_traitsISE_E10value_typeEPNSK_ISF_E10value_typeEPSG_NS1_7vsmem_tEENKUlT_SE_SF_SG_E_clIS8_S8_S9_S9_EESD_ST_SE_SF_SG_EUlST_E_NS1_11comp_targetILNS1_3genE5ELNS1_11target_archE942ELNS1_3gpuE9ELNS1_3repE0EEENS1_48merge_mergepath_partition_config_static_selectorELNS0_4arch9wavefront6targetE0EEEvSF_.num_named_barrier, 0
	.set _ZN7rocprim17ROCPRIM_400000_NS6detail17trampoline_kernelINS0_14default_configENS1_38merge_sort_block_merge_config_selectorIhNS0_10empty_typeEEEZZNS1_27merge_sort_block_merge_implIS3_PhPS5_jNS1_19radix_merge_compareILb0ELb0EhNS0_19identity_decomposerEEEEE10hipError_tT0_T1_T2_jT3_P12ihipStream_tbPNSt15iterator_traitsISE_E10value_typeEPNSK_ISF_E10value_typeEPSG_NS1_7vsmem_tEENKUlT_SE_SF_SG_E_clIS8_S8_S9_S9_EESD_ST_SE_SF_SG_EUlST_E_NS1_11comp_targetILNS1_3genE5ELNS1_11target_archE942ELNS1_3gpuE9ELNS1_3repE0EEENS1_48merge_mergepath_partition_config_static_selectorELNS0_4arch9wavefront6targetE0EEEvSF_.private_seg_size, 0
	.set _ZN7rocprim17ROCPRIM_400000_NS6detail17trampoline_kernelINS0_14default_configENS1_38merge_sort_block_merge_config_selectorIhNS0_10empty_typeEEEZZNS1_27merge_sort_block_merge_implIS3_PhPS5_jNS1_19radix_merge_compareILb0ELb0EhNS0_19identity_decomposerEEEEE10hipError_tT0_T1_T2_jT3_P12ihipStream_tbPNSt15iterator_traitsISE_E10value_typeEPNSK_ISF_E10value_typeEPSG_NS1_7vsmem_tEENKUlT_SE_SF_SG_E_clIS8_S8_S9_S9_EESD_ST_SE_SF_SG_EUlST_E_NS1_11comp_targetILNS1_3genE5ELNS1_11target_archE942ELNS1_3gpuE9ELNS1_3repE0EEENS1_48merge_mergepath_partition_config_static_selectorELNS0_4arch9wavefront6targetE0EEEvSF_.uses_vcc, 0
	.set _ZN7rocprim17ROCPRIM_400000_NS6detail17trampoline_kernelINS0_14default_configENS1_38merge_sort_block_merge_config_selectorIhNS0_10empty_typeEEEZZNS1_27merge_sort_block_merge_implIS3_PhPS5_jNS1_19radix_merge_compareILb0ELb0EhNS0_19identity_decomposerEEEEE10hipError_tT0_T1_T2_jT3_P12ihipStream_tbPNSt15iterator_traitsISE_E10value_typeEPNSK_ISF_E10value_typeEPSG_NS1_7vsmem_tEENKUlT_SE_SF_SG_E_clIS8_S8_S9_S9_EESD_ST_SE_SF_SG_EUlST_E_NS1_11comp_targetILNS1_3genE5ELNS1_11target_archE942ELNS1_3gpuE9ELNS1_3repE0EEENS1_48merge_mergepath_partition_config_static_selectorELNS0_4arch9wavefront6targetE0EEEvSF_.uses_flat_scratch, 0
	.set _ZN7rocprim17ROCPRIM_400000_NS6detail17trampoline_kernelINS0_14default_configENS1_38merge_sort_block_merge_config_selectorIhNS0_10empty_typeEEEZZNS1_27merge_sort_block_merge_implIS3_PhPS5_jNS1_19radix_merge_compareILb0ELb0EhNS0_19identity_decomposerEEEEE10hipError_tT0_T1_T2_jT3_P12ihipStream_tbPNSt15iterator_traitsISE_E10value_typeEPNSK_ISF_E10value_typeEPSG_NS1_7vsmem_tEENKUlT_SE_SF_SG_E_clIS8_S8_S9_S9_EESD_ST_SE_SF_SG_EUlST_E_NS1_11comp_targetILNS1_3genE5ELNS1_11target_archE942ELNS1_3gpuE9ELNS1_3repE0EEENS1_48merge_mergepath_partition_config_static_selectorELNS0_4arch9wavefront6targetE0EEEvSF_.has_dyn_sized_stack, 0
	.set _ZN7rocprim17ROCPRIM_400000_NS6detail17trampoline_kernelINS0_14default_configENS1_38merge_sort_block_merge_config_selectorIhNS0_10empty_typeEEEZZNS1_27merge_sort_block_merge_implIS3_PhPS5_jNS1_19radix_merge_compareILb0ELb0EhNS0_19identity_decomposerEEEEE10hipError_tT0_T1_T2_jT3_P12ihipStream_tbPNSt15iterator_traitsISE_E10value_typeEPNSK_ISF_E10value_typeEPSG_NS1_7vsmem_tEENKUlT_SE_SF_SG_E_clIS8_S8_S9_S9_EESD_ST_SE_SF_SG_EUlST_E_NS1_11comp_targetILNS1_3genE5ELNS1_11target_archE942ELNS1_3gpuE9ELNS1_3repE0EEENS1_48merge_mergepath_partition_config_static_selectorELNS0_4arch9wavefront6targetE0EEEvSF_.has_recursion, 0
	.set _ZN7rocprim17ROCPRIM_400000_NS6detail17trampoline_kernelINS0_14default_configENS1_38merge_sort_block_merge_config_selectorIhNS0_10empty_typeEEEZZNS1_27merge_sort_block_merge_implIS3_PhPS5_jNS1_19radix_merge_compareILb0ELb0EhNS0_19identity_decomposerEEEEE10hipError_tT0_T1_T2_jT3_P12ihipStream_tbPNSt15iterator_traitsISE_E10value_typeEPNSK_ISF_E10value_typeEPSG_NS1_7vsmem_tEENKUlT_SE_SF_SG_E_clIS8_S8_S9_S9_EESD_ST_SE_SF_SG_EUlST_E_NS1_11comp_targetILNS1_3genE5ELNS1_11target_archE942ELNS1_3gpuE9ELNS1_3repE0EEENS1_48merge_mergepath_partition_config_static_selectorELNS0_4arch9wavefront6targetE0EEEvSF_.has_indirect_call, 0
	.section	.AMDGPU.csdata,"",@progbits
; Kernel info:
; codeLenInByte = 0
; TotalNumSgprs: 0
; NumVgprs: 0
; ScratchSize: 0
; MemoryBound: 0
; FloatMode: 240
; IeeeMode: 1
; LDSByteSize: 0 bytes/workgroup (compile time only)
; SGPRBlocks: 0
; VGPRBlocks: 0
; NumSGPRsForWavesPerEU: 1
; NumVGPRsForWavesPerEU: 1
; NamedBarCnt: 0
; Occupancy: 16
; WaveLimiterHint : 0
; COMPUTE_PGM_RSRC2:SCRATCH_EN: 0
; COMPUTE_PGM_RSRC2:USER_SGPR: 2
; COMPUTE_PGM_RSRC2:TRAP_HANDLER: 0
; COMPUTE_PGM_RSRC2:TGID_X_EN: 1
; COMPUTE_PGM_RSRC2:TGID_Y_EN: 0
; COMPUTE_PGM_RSRC2:TGID_Z_EN: 0
; COMPUTE_PGM_RSRC2:TIDIG_COMP_CNT: 0
	.section	.text._ZN7rocprim17ROCPRIM_400000_NS6detail17trampoline_kernelINS0_14default_configENS1_38merge_sort_block_merge_config_selectorIhNS0_10empty_typeEEEZZNS1_27merge_sort_block_merge_implIS3_PhPS5_jNS1_19radix_merge_compareILb0ELb0EhNS0_19identity_decomposerEEEEE10hipError_tT0_T1_T2_jT3_P12ihipStream_tbPNSt15iterator_traitsISE_E10value_typeEPNSK_ISF_E10value_typeEPSG_NS1_7vsmem_tEENKUlT_SE_SF_SG_E_clIS8_S8_S9_S9_EESD_ST_SE_SF_SG_EUlST_E_NS1_11comp_targetILNS1_3genE4ELNS1_11target_archE910ELNS1_3gpuE8ELNS1_3repE0EEENS1_48merge_mergepath_partition_config_static_selectorELNS0_4arch9wavefront6targetE0EEEvSF_,"axG",@progbits,_ZN7rocprim17ROCPRIM_400000_NS6detail17trampoline_kernelINS0_14default_configENS1_38merge_sort_block_merge_config_selectorIhNS0_10empty_typeEEEZZNS1_27merge_sort_block_merge_implIS3_PhPS5_jNS1_19radix_merge_compareILb0ELb0EhNS0_19identity_decomposerEEEEE10hipError_tT0_T1_T2_jT3_P12ihipStream_tbPNSt15iterator_traitsISE_E10value_typeEPNSK_ISF_E10value_typeEPSG_NS1_7vsmem_tEENKUlT_SE_SF_SG_E_clIS8_S8_S9_S9_EESD_ST_SE_SF_SG_EUlST_E_NS1_11comp_targetILNS1_3genE4ELNS1_11target_archE910ELNS1_3gpuE8ELNS1_3repE0EEENS1_48merge_mergepath_partition_config_static_selectorELNS0_4arch9wavefront6targetE0EEEvSF_,comdat
	.protected	_ZN7rocprim17ROCPRIM_400000_NS6detail17trampoline_kernelINS0_14default_configENS1_38merge_sort_block_merge_config_selectorIhNS0_10empty_typeEEEZZNS1_27merge_sort_block_merge_implIS3_PhPS5_jNS1_19radix_merge_compareILb0ELb0EhNS0_19identity_decomposerEEEEE10hipError_tT0_T1_T2_jT3_P12ihipStream_tbPNSt15iterator_traitsISE_E10value_typeEPNSK_ISF_E10value_typeEPSG_NS1_7vsmem_tEENKUlT_SE_SF_SG_E_clIS8_S8_S9_S9_EESD_ST_SE_SF_SG_EUlST_E_NS1_11comp_targetILNS1_3genE4ELNS1_11target_archE910ELNS1_3gpuE8ELNS1_3repE0EEENS1_48merge_mergepath_partition_config_static_selectorELNS0_4arch9wavefront6targetE0EEEvSF_ ; -- Begin function _ZN7rocprim17ROCPRIM_400000_NS6detail17trampoline_kernelINS0_14default_configENS1_38merge_sort_block_merge_config_selectorIhNS0_10empty_typeEEEZZNS1_27merge_sort_block_merge_implIS3_PhPS5_jNS1_19radix_merge_compareILb0ELb0EhNS0_19identity_decomposerEEEEE10hipError_tT0_T1_T2_jT3_P12ihipStream_tbPNSt15iterator_traitsISE_E10value_typeEPNSK_ISF_E10value_typeEPSG_NS1_7vsmem_tEENKUlT_SE_SF_SG_E_clIS8_S8_S9_S9_EESD_ST_SE_SF_SG_EUlST_E_NS1_11comp_targetILNS1_3genE4ELNS1_11target_archE910ELNS1_3gpuE8ELNS1_3repE0EEENS1_48merge_mergepath_partition_config_static_selectorELNS0_4arch9wavefront6targetE0EEEvSF_
	.globl	_ZN7rocprim17ROCPRIM_400000_NS6detail17trampoline_kernelINS0_14default_configENS1_38merge_sort_block_merge_config_selectorIhNS0_10empty_typeEEEZZNS1_27merge_sort_block_merge_implIS3_PhPS5_jNS1_19radix_merge_compareILb0ELb0EhNS0_19identity_decomposerEEEEE10hipError_tT0_T1_T2_jT3_P12ihipStream_tbPNSt15iterator_traitsISE_E10value_typeEPNSK_ISF_E10value_typeEPSG_NS1_7vsmem_tEENKUlT_SE_SF_SG_E_clIS8_S8_S9_S9_EESD_ST_SE_SF_SG_EUlST_E_NS1_11comp_targetILNS1_3genE4ELNS1_11target_archE910ELNS1_3gpuE8ELNS1_3repE0EEENS1_48merge_mergepath_partition_config_static_selectorELNS0_4arch9wavefront6targetE0EEEvSF_
	.p2align	8
	.type	_ZN7rocprim17ROCPRIM_400000_NS6detail17trampoline_kernelINS0_14default_configENS1_38merge_sort_block_merge_config_selectorIhNS0_10empty_typeEEEZZNS1_27merge_sort_block_merge_implIS3_PhPS5_jNS1_19radix_merge_compareILb0ELb0EhNS0_19identity_decomposerEEEEE10hipError_tT0_T1_T2_jT3_P12ihipStream_tbPNSt15iterator_traitsISE_E10value_typeEPNSK_ISF_E10value_typeEPSG_NS1_7vsmem_tEENKUlT_SE_SF_SG_E_clIS8_S8_S9_S9_EESD_ST_SE_SF_SG_EUlST_E_NS1_11comp_targetILNS1_3genE4ELNS1_11target_archE910ELNS1_3gpuE8ELNS1_3repE0EEENS1_48merge_mergepath_partition_config_static_selectorELNS0_4arch9wavefront6targetE0EEEvSF_,@function
_ZN7rocprim17ROCPRIM_400000_NS6detail17trampoline_kernelINS0_14default_configENS1_38merge_sort_block_merge_config_selectorIhNS0_10empty_typeEEEZZNS1_27merge_sort_block_merge_implIS3_PhPS5_jNS1_19radix_merge_compareILb0ELb0EhNS0_19identity_decomposerEEEEE10hipError_tT0_T1_T2_jT3_P12ihipStream_tbPNSt15iterator_traitsISE_E10value_typeEPNSK_ISF_E10value_typeEPSG_NS1_7vsmem_tEENKUlT_SE_SF_SG_E_clIS8_S8_S9_S9_EESD_ST_SE_SF_SG_EUlST_E_NS1_11comp_targetILNS1_3genE4ELNS1_11target_archE910ELNS1_3gpuE8ELNS1_3repE0EEENS1_48merge_mergepath_partition_config_static_selectorELNS0_4arch9wavefront6targetE0EEEvSF_: ; @_ZN7rocprim17ROCPRIM_400000_NS6detail17trampoline_kernelINS0_14default_configENS1_38merge_sort_block_merge_config_selectorIhNS0_10empty_typeEEEZZNS1_27merge_sort_block_merge_implIS3_PhPS5_jNS1_19radix_merge_compareILb0ELb0EhNS0_19identity_decomposerEEEEE10hipError_tT0_T1_T2_jT3_P12ihipStream_tbPNSt15iterator_traitsISE_E10value_typeEPNSK_ISF_E10value_typeEPSG_NS1_7vsmem_tEENKUlT_SE_SF_SG_E_clIS8_S8_S9_S9_EESD_ST_SE_SF_SG_EUlST_E_NS1_11comp_targetILNS1_3genE4ELNS1_11target_archE910ELNS1_3gpuE8ELNS1_3repE0EEENS1_48merge_mergepath_partition_config_static_selectorELNS0_4arch9wavefront6targetE0EEEvSF_
; %bb.0:
	.section	.rodata,"a",@progbits
	.p2align	6, 0x0
	.amdhsa_kernel _ZN7rocprim17ROCPRIM_400000_NS6detail17trampoline_kernelINS0_14default_configENS1_38merge_sort_block_merge_config_selectorIhNS0_10empty_typeEEEZZNS1_27merge_sort_block_merge_implIS3_PhPS5_jNS1_19radix_merge_compareILb0ELb0EhNS0_19identity_decomposerEEEEE10hipError_tT0_T1_T2_jT3_P12ihipStream_tbPNSt15iterator_traitsISE_E10value_typeEPNSK_ISF_E10value_typeEPSG_NS1_7vsmem_tEENKUlT_SE_SF_SG_E_clIS8_S8_S9_S9_EESD_ST_SE_SF_SG_EUlST_E_NS1_11comp_targetILNS1_3genE4ELNS1_11target_archE910ELNS1_3gpuE8ELNS1_3repE0EEENS1_48merge_mergepath_partition_config_static_selectorELNS0_4arch9wavefront6targetE0EEEvSF_
		.amdhsa_group_segment_fixed_size 0
		.amdhsa_private_segment_fixed_size 0
		.amdhsa_kernarg_size 40
		.amdhsa_user_sgpr_count 2
		.amdhsa_user_sgpr_dispatch_ptr 0
		.amdhsa_user_sgpr_queue_ptr 0
		.amdhsa_user_sgpr_kernarg_segment_ptr 1
		.amdhsa_user_sgpr_dispatch_id 0
		.amdhsa_user_sgpr_kernarg_preload_length 0
		.amdhsa_user_sgpr_kernarg_preload_offset 0
		.amdhsa_user_sgpr_private_segment_size 0
		.amdhsa_wavefront_size32 1
		.amdhsa_uses_dynamic_stack 0
		.amdhsa_enable_private_segment 0
		.amdhsa_system_sgpr_workgroup_id_x 1
		.amdhsa_system_sgpr_workgroup_id_y 0
		.amdhsa_system_sgpr_workgroup_id_z 0
		.amdhsa_system_sgpr_workgroup_info 0
		.amdhsa_system_vgpr_workitem_id 0
		.amdhsa_next_free_vgpr 1
		.amdhsa_next_free_sgpr 1
		.amdhsa_named_barrier_count 0
		.amdhsa_reserve_vcc 0
		.amdhsa_float_round_mode_32 0
		.amdhsa_float_round_mode_16_64 0
		.amdhsa_float_denorm_mode_32 3
		.amdhsa_float_denorm_mode_16_64 3
		.amdhsa_fp16_overflow 0
		.amdhsa_memory_ordered 1
		.amdhsa_forward_progress 1
		.amdhsa_inst_pref_size 0
		.amdhsa_round_robin_scheduling 0
		.amdhsa_exception_fp_ieee_invalid_op 0
		.amdhsa_exception_fp_denorm_src 0
		.amdhsa_exception_fp_ieee_div_zero 0
		.amdhsa_exception_fp_ieee_overflow 0
		.amdhsa_exception_fp_ieee_underflow 0
		.amdhsa_exception_fp_ieee_inexact 0
		.amdhsa_exception_int_div_zero 0
	.end_amdhsa_kernel
	.section	.text._ZN7rocprim17ROCPRIM_400000_NS6detail17trampoline_kernelINS0_14default_configENS1_38merge_sort_block_merge_config_selectorIhNS0_10empty_typeEEEZZNS1_27merge_sort_block_merge_implIS3_PhPS5_jNS1_19radix_merge_compareILb0ELb0EhNS0_19identity_decomposerEEEEE10hipError_tT0_T1_T2_jT3_P12ihipStream_tbPNSt15iterator_traitsISE_E10value_typeEPNSK_ISF_E10value_typeEPSG_NS1_7vsmem_tEENKUlT_SE_SF_SG_E_clIS8_S8_S9_S9_EESD_ST_SE_SF_SG_EUlST_E_NS1_11comp_targetILNS1_3genE4ELNS1_11target_archE910ELNS1_3gpuE8ELNS1_3repE0EEENS1_48merge_mergepath_partition_config_static_selectorELNS0_4arch9wavefront6targetE0EEEvSF_,"axG",@progbits,_ZN7rocprim17ROCPRIM_400000_NS6detail17trampoline_kernelINS0_14default_configENS1_38merge_sort_block_merge_config_selectorIhNS0_10empty_typeEEEZZNS1_27merge_sort_block_merge_implIS3_PhPS5_jNS1_19radix_merge_compareILb0ELb0EhNS0_19identity_decomposerEEEEE10hipError_tT0_T1_T2_jT3_P12ihipStream_tbPNSt15iterator_traitsISE_E10value_typeEPNSK_ISF_E10value_typeEPSG_NS1_7vsmem_tEENKUlT_SE_SF_SG_E_clIS8_S8_S9_S9_EESD_ST_SE_SF_SG_EUlST_E_NS1_11comp_targetILNS1_3genE4ELNS1_11target_archE910ELNS1_3gpuE8ELNS1_3repE0EEENS1_48merge_mergepath_partition_config_static_selectorELNS0_4arch9wavefront6targetE0EEEvSF_,comdat
.Lfunc_end156:
	.size	_ZN7rocprim17ROCPRIM_400000_NS6detail17trampoline_kernelINS0_14default_configENS1_38merge_sort_block_merge_config_selectorIhNS0_10empty_typeEEEZZNS1_27merge_sort_block_merge_implIS3_PhPS5_jNS1_19radix_merge_compareILb0ELb0EhNS0_19identity_decomposerEEEEE10hipError_tT0_T1_T2_jT3_P12ihipStream_tbPNSt15iterator_traitsISE_E10value_typeEPNSK_ISF_E10value_typeEPSG_NS1_7vsmem_tEENKUlT_SE_SF_SG_E_clIS8_S8_S9_S9_EESD_ST_SE_SF_SG_EUlST_E_NS1_11comp_targetILNS1_3genE4ELNS1_11target_archE910ELNS1_3gpuE8ELNS1_3repE0EEENS1_48merge_mergepath_partition_config_static_selectorELNS0_4arch9wavefront6targetE0EEEvSF_, .Lfunc_end156-_ZN7rocprim17ROCPRIM_400000_NS6detail17trampoline_kernelINS0_14default_configENS1_38merge_sort_block_merge_config_selectorIhNS0_10empty_typeEEEZZNS1_27merge_sort_block_merge_implIS3_PhPS5_jNS1_19radix_merge_compareILb0ELb0EhNS0_19identity_decomposerEEEEE10hipError_tT0_T1_T2_jT3_P12ihipStream_tbPNSt15iterator_traitsISE_E10value_typeEPNSK_ISF_E10value_typeEPSG_NS1_7vsmem_tEENKUlT_SE_SF_SG_E_clIS8_S8_S9_S9_EESD_ST_SE_SF_SG_EUlST_E_NS1_11comp_targetILNS1_3genE4ELNS1_11target_archE910ELNS1_3gpuE8ELNS1_3repE0EEENS1_48merge_mergepath_partition_config_static_selectorELNS0_4arch9wavefront6targetE0EEEvSF_
                                        ; -- End function
	.set _ZN7rocprim17ROCPRIM_400000_NS6detail17trampoline_kernelINS0_14default_configENS1_38merge_sort_block_merge_config_selectorIhNS0_10empty_typeEEEZZNS1_27merge_sort_block_merge_implIS3_PhPS5_jNS1_19radix_merge_compareILb0ELb0EhNS0_19identity_decomposerEEEEE10hipError_tT0_T1_T2_jT3_P12ihipStream_tbPNSt15iterator_traitsISE_E10value_typeEPNSK_ISF_E10value_typeEPSG_NS1_7vsmem_tEENKUlT_SE_SF_SG_E_clIS8_S8_S9_S9_EESD_ST_SE_SF_SG_EUlST_E_NS1_11comp_targetILNS1_3genE4ELNS1_11target_archE910ELNS1_3gpuE8ELNS1_3repE0EEENS1_48merge_mergepath_partition_config_static_selectorELNS0_4arch9wavefront6targetE0EEEvSF_.num_vgpr, 0
	.set _ZN7rocprim17ROCPRIM_400000_NS6detail17trampoline_kernelINS0_14default_configENS1_38merge_sort_block_merge_config_selectorIhNS0_10empty_typeEEEZZNS1_27merge_sort_block_merge_implIS3_PhPS5_jNS1_19radix_merge_compareILb0ELb0EhNS0_19identity_decomposerEEEEE10hipError_tT0_T1_T2_jT3_P12ihipStream_tbPNSt15iterator_traitsISE_E10value_typeEPNSK_ISF_E10value_typeEPSG_NS1_7vsmem_tEENKUlT_SE_SF_SG_E_clIS8_S8_S9_S9_EESD_ST_SE_SF_SG_EUlST_E_NS1_11comp_targetILNS1_3genE4ELNS1_11target_archE910ELNS1_3gpuE8ELNS1_3repE0EEENS1_48merge_mergepath_partition_config_static_selectorELNS0_4arch9wavefront6targetE0EEEvSF_.num_agpr, 0
	.set _ZN7rocprim17ROCPRIM_400000_NS6detail17trampoline_kernelINS0_14default_configENS1_38merge_sort_block_merge_config_selectorIhNS0_10empty_typeEEEZZNS1_27merge_sort_block_merge_implIS3_PhPS5_jNS1_19radix_merge_compareILb0ELb0EhNS0_19identity_decomposerEEEEE10hipError_tT0_T1_T2_jT3_P12ihipStream_tbPNSt15iterator_traitsISE_E10value_typeEPNSK_ISF_E10value_typeEPSG_NS1_7vsmem_tEENKUlT_SE_SF_SG_E_clIS8_S8_S9_S9_EESD_ST_SE_SF_SG_EUlST_E_NS1_11comp_targetILNS1_3genE4ELNS1_11target_archE910ELNS1_3gpuE8ELNS1_3repE0EEENS1_48merge_mergepath_partition_config_static_selectorELNS0_4arch9wavefront6targetE0EEEvSF_.numbered_sgpr, 0
	.set _ZN7rocprim17ROCPRIM_400000_NS6detail17trampoline_kernelINS0_14default_configENS1_38merge_sort_block_merge_config_selectorIhNS0_10empty_typeEEEZZNS1_27merge_sort_block_merge_implIS3_PhPS5_jNS1_19radix_merge_compareILb0ELb0EhNS0_19identity_decomposerEEEEE10hipError_tT0_T1_T2_jT3_P12ihipStream_tbPNSt15iterator_traitsISE_E10value_typeEPNSK_ISF_E10value_typeEPSG_NS1_7vsmem_tEENKUlT_SE_SF_SG_E_clIS8_S8_S9_S9_EESD_ST_SE_SF_SG_EUlST_E_NS1_11comp_targetILNS1_3genE4ELNS1_11target_archE910ELNS1_3gpuE8ELNS1_3repE0EEENS1_48merge_mergepath_partition_config_static_selectorELNS0_4arch9wavefront6targetE0EEEvSF_.num_named_barrier, 0
	.set _ZN7rocprim17ROCPRIM_400000_NS6detail17trampoline_kernelINS0_14default_configENS1_38merge_sort_block_merge_config_selectorIhNS0_10empty_typeEEEZZNS1_27merge_sort_block_merge_implIS3_PhPS5_jNS1_19radix_merge_compareILb0ELb0EhNS0_19identity_decomposerEEEEE10hipError_tT0_T1_T2_jT3_P12ihipStream_tbPNSt15iterator_traitsISE_E10value_typeEPNSK_ISF_E10value_typeEPSG_NS1_7vsmem_tEENKUlT_SE_SF_SG_E_clIS8_S8_S9_S9_EESD_ST_SE_SF_SG_EUlST_E_NS1_11comp_targetILNS1_3genE4ELNS1_11target_archE910ELNS1_3gpuE8ELNS1_3repE0EEENS1_48merge_mergepath_partition_config_static_selectorELNS0_4arch9wavefront6targetE0EEEvSF_.private_seg_size, 0
	.set _ZN7rocprim17ROCPRIM_400000_NS6detail17trampoline_kernelINS0_14default_configENS1_38merge_sort_block_merge_config_selectorIhNS0_10empty_typeEEEZZNS1_27merge_sort_block_merge_implIS3_PhPS5_jNS1_19radix_merge_compareILb0ELb0EhNS0_19identity_decomposerEEEEE10hipError_tT0_T1_T2_jT3_P12ihipStream_tbPNSt15iterator_traitsISE_E10value_typeEPNSK_ISF_E10value_typeEPSG_NS1_7vsmem_tEENKUlT_SE_SF_SG_E_clIS8_S8_S9_S9_EESD_ST_SE_SF_SG_EUlST_E_NS1_11comp_targetILNS1_3genE4ELNS1_11target_archE910ELNS1_3gpuE8ELNS1_3repE0EEENS1_48merge_mergepath_partition_config_static_selectorELNS0_4arch9wavefront6targetE0EEEvSF_.uses_vcc, 0
	.set _ZN7rocprim17ROCPRIM_400000_NS6detail17trampoline_kernelINS0_14default_configENS1_38merge_sort_block_merge_config_selectorIhNS0_10empty_typeEEEZZNS1_27merge_sort_block_merge_implIS3_PhPS5_jNS1_19radix_merge_compareILb0ELb0EhNS0_19identity_decomposerEEEEE10hipError_tT0_T1_T2_jT3_P12ihipStream_tbPNSt15iterator_traitsISE_E10value_typeEPNSK_ISF_E10value_typeEPSG_NS1_7vsmem_tEENKUlT_SE_SF_SG_E_clIS8_S8_S9_S9_EESD_ST_SE_SF_SG_EUlST_E_NS1_11comp_targetILNS1_3genE4ELNS1_11target_archE910ELNS1_3gpuE8ELNS1_3repE0EEENS1_48merge_mergepath_partition_config_static_selectorELNS0_4arch9wavefront6targetE0EEEvSF_.uses_flat_scratch, 0
	.set _ZN7rocprim17ROCPRIM_400000_NS6detail17trampoline_kernelINS0_14default_configENS1_38merge_sort_block_merge_config_selectorIhNS0_10empty_typeEEEZZNS1_27merge_sort_block_merge_implIS3_PhPS5_jNS1_19radix_merge_compareILb0ELb0EhNS0_19identity_decomposerEEEEE10hipError_tT0_T1_T2_jT3_P12ihipStream_tbPNSt15iterator_traitsISE_E10value_typeEPNSK_ISF_E10value_typeEPSG_NS1_7vsmem_tEENKUlT_SE_SF_SG_E_clIS8_S8_S9_S9_EESD_ST_SE_SF_SG_EUlST_E_NS1_11comp_targetILNS1_3genE4ELNS1_11target_archE910ELNS1_3gpuE8ELNS1_3repE0EEENS1_48merge_mergepath_partition_config_static_selectorELNS0_4arch9wavefront6targetE0EEEvSF_.has_dyn_sized_stack, 0
	.set _ZN7rocprim17ROCPRIM_400000_NS6detail17trampoline_kernelINS0_14default_configENS1_38merge_sort_block_merge_config_selectorIhNS0_10empty_typeEEEZZNS1_27merge_sort_block_merge_implIS3_PhPS5_jNS1_19radix_merge_compareILb0ELb0EhNS0_19identity_decomposerEEEEE10hipError_tT0_T1_T2_jT3_P12ihipStream_tbPNSt15iterator_traitsISE_E10value_typeEPNSK_ISF_E10value_typeEPSG_NS1_7vsmem_tEENKUlT_SE_SF_SG_E_clIS8_S8_S9_S9_EESD_ST_SE_SF_SG_EUlST_E_NS1_11comp_targetILNS1_3genE4ELNS1_11target_archE910ELNS1_3gpuE8ELNS1_3repE0EEENS1_48merge_mergepath_partition_config_static_selectorELNS0_4arch9wavefront6targetE0EEEvSF_.has_recursion, 0
	.set _ZN7rocprim17ROCPRIM_400000_NS6detail17trampoline_kernelINS0_14default_configENS1_38merge_sort_block_merge_config_selectorIhNS0_10empty_typeEEEZZNS1_27merge_sort_block_merge_implIS3_PhPS5_jNS1_19radix_merge_compareILb0ELb0EhNS0_19identity_decomposerEEEEE10hipError_tT0_T1_T2_jT3_P12ihipStream_tbPNSt15iterator_traitsISE_E10value_typeEPNSK_ISF_E10value_typeEPSG_NS1_7vsmem_tEENKUlT_SE_SF_SG_E_clIS8_S8_S9_S9_EESD_ST_SE_SF_SG_EUlST_E_NS1_11comp_targetILNS1_3genE4ELNS1_11target_archE910ELNS1_3gpuE8ELNS1_3repE0EEENS1_48merge_mergepath_partition_config_static_selectorELNS0_4arch9wavefront6targetE0EEEvSF_.has_indirect_call, 0
	.section	.AMDGPU.csdata,"",@progbits
; Kernel info:
; codeLenInByte = 0
; TotalNumSgprs: 0
; NumVgprs: 0
; ScratchSize: 0
; MemoryBound: 0
; FloatMode: 240
; IeeeMode: 1
; LDSByteSize: 0 bytes/workgroup (compile time only)
; SGPRBlocks: 0
; VGPRBlocks: 0
; NumSGPRsForWavesPerEU: 1
; NumVGPRsForWavesPerEU: 1
; NamedBarCnt: 0
; Occupancy: 16
; WaveLimiterHint : 0
; COMPUTE_PGM_RSRC2:SCRATCH_EN: 0
; COMPUTE_PGM_RSRC2:USER_SGPR: 2
; COMPUTE_PGM_RSRC2:TRAP_HANDLER: 0
; COMPUTE_PGM_RSRC2:TGID_X_EN: 1
; COMPUTE_PGM_RSRC2:TGID_Y_EN: 0
; COMPUTE_PGM_RSRC2:TGID_Z_EN: 0
; COMPUTE_PGM_RSRC2:TIDIG_COMP_CNT: 0
	.section	.text._ZN7rocprim17ROCPRIM_400000_NS6detail17trampoline_kernelINS0_14default_configENS1_38merge_sort_block_merge_config_selectorIhNS0_10empty_typeEEEZZNS1_27merge_sort_block_merge_implIS3_PhPS5_jNS1_19radix_merge_compareILb0ELb0EhNS0_19identity_decomposerEEEEE10hipError_tT0_T1_T2_jT3_P12ihipStream_tbPNSt15iterator_traitsISE_E10value_typeEPNSK_ISF_E10value_typeEPSG_NS1_7vsmem_tEENKUlT_SE_SF_SG_E_clIS8_S8_S9_S9_EESD_ST_SE_SF_SG_EUlST_E_NS1_11comp_targetILNS1_3genE3ELNS1_11target_archE908ELNS1_3gpuE7ELNS1_3repE0EEENS1_48merge_mergepath_partition_config_static_selectorELNS0_4arch9wavefront6targetE0EEEvSF_,"axG",@progbits,_ZN7rocprim17ROCPRIM_400000_NS6detail17trampoline_kernelINS0_14default_configENS1_38merge_sort_block_merge_config_selectorIhNS0_10empty_typeEEEZZNS1_27merge_sort_block_merge_implIS3_PhPS5_jNS1_19radix_merge_compareILb0ELb0EhNS0_19identity_decomposerEEEEE10hipError_tT0_T1_T2_jT3_P12ihipStream_tbPNSt15iterator_traitsISE_E10value_typeEPNSK_ISF_E10value_typeEPSG_NS1_7vsmem_tEENKUlT_SE_SF_SG_E_clIS8_S8_S9_S9_EESD_ST_SE_SF_SG_EUlST_E_NS1_11comp_targetILNS1_3genE3ELNS1_11target_archE908ELNS1_3gpuE7ELNS1_3repE0EEENS1_48merge_mergepath_partition_config_static_selectorELNS0_4arch9wavefront6targetE0EEEvSF_,comdat
	.protected	_ZN7rocprim17ROCPRIM_400000_NS6detail17trampoline_kernelINS0_14default_configENS1_38merge_sort_block_merge_config_selectorIhNS0_10empty_typeEEEZZNS1_27merge_sort_block_merge_implIS3_PhPS5_jNS1_19radix_merge_compareILb0ELb0EhNS0_19identity_decomposerEEEEE10hipError_tT0_T1_T2_jT3_P12ihipStream_tbPNSt15iterator_traitsISE_E10value_typeEPNSK_ISF_E10value_typeEPSG_NS1_7vsmem_tEENKUlT_SE_SF_SG_E_clIS8_S8_S9_S9_EESD_ST_SE_SF_SG_EUlST_E_NS1_11comp_targetILNS1_3genE3ELNS1_11target_archE908ELNS1_3gpuE7ELNS1_3repE0EEENS1_48merge_mergepath_partition_config_static_selectorELNS0_4arch9wavefront6targetE0EEEvSF_ ; -- Begin function _ZN7rocprim17ROCPRIM_400000_NS6detail17trampoline_kernelINS0_14default_configENS1_38merge_sort_block_merge_config_selectorIhNS0_10empty_typeEEEZZNS1_27merge_sort_block_merge_implIS3_PhPS5_jNS1_19radix_merge_compareILb0ELb0EhNS0_19identity_decomposerEEEEE10hipError_tT0_T1_T2_jT3_P12ihipStream_tbPNSt15iterator_traitsISE_E10value_typeEPNSK_ISF_E10value_typeEPSG_NS1_7vsmem_tEENKUlT_SE_SF_SG_E_clIS8_S8_S9_S9_EESD_ST_SE_SF_SG_EUlST_E_NS1_11comp_targetILNS1_3genE3ELNS1_11target_archE908ELNS1_3gpuE7ELNS1_3repE0EEENS1_48merge_mergepath_partition_config_static_selectorELNS0_4arch9wavefront6targetE0EEEvSF_
	.globl	_ZN7rocprim17ROCPRIM_400000_NS6detail17trampoline_kernelINS0_14default_configENS1_38merge_sort_block_merge_config_selectorIhNS0_10empty_typeEEEZZNS1_27merge_sort_block_merge_implIS3_PhPS5_jNS1_19radix_merge_compareILb0ELb0EhNS0_19identity_decomposerEEEEE10hipError_tT0_T1_T2_jT3_P12ihipStream_tbPNSt15iterator_traitsISE_E10value_typeEPNSK_ISF_E10value_typeEPSG_NS1_7vsmem_tEENKUlT_SE_SF_SG_E_clIS8_S8_S9_S9_EESD_ST_SE_SF_SG_EUlST_E_NS1_11comp_targetILNS1_3genE3ELNS1_11target_archE908ELNS1_3gpuE7ELNS1_3repE0EEENS1_48merge_mergepath_partition_config_static_selectorELNS0_4arch9wavefront6targetE0EEEvSF_
	.p2align	8
	.type	_ZN7rocprim17ROCPRIM_400000_NS6detail17trampoline_kernelINS0_14default_configENS1_38merge_sort_block_merge_config_selectorIhNS0_10empty_typeEEEZZNS1_27merge_sort_block_merge_implIS3_PhPS5_jNS1_19radix_merge_compareILb0ELb0EhNS0_19identity_decomposerEEEEE10hipError_tT0_T1_T2_jT3_P12ihipStream_tbPNSt15iterator_traitsISE_E10value_typeEPNSK_ISF_E10value_typeEPSG_NS1_7vsmem_tEENKUlT_SE_SF_SG_E_clIS8_S8_S9_S9_EESD_ST_SE_SF_SG_EUlST_E_NS1_11comp_targetILNS1_3genE3ELNS1_11target_archE908ELNS1_3gpuE7ELNS1_3repE0EEENS1_48merge_mergepath_partition_config_static_selectorELNS0_4arch9wavefront6targetE0EEEvSF_,@function
_ZN7rocprim17ROCPRIM_400000_NS6detail17trampoline_kernelINS0_14default_configENS1_38merge_sort_block_merge_config_selectorIhNS0_10empty_typeEEEZZNS1_27merge_sort_block_merge_implIS3_PhPS5_jNS1_19radix_merge_compareILb0ELb0EhNS0_19identity_decomposerEEEEE10hipError_tT0_T1_T2_jT3_P12ihipStream_tbPNSt15iterator_traitsISE_E10value_typeEPNSK_ISF_E10value_typeEPSG_NS1_7vsmem_tEENKUlT_SE_SF_SG_E_clIS8_S8_S9_S9_EESD_ST_SE_SF_SG_EUlST_E_NS1_11comp_targetILNS1_3genE3ELNS1_11target_archE908ELNS1_3gpuE7ELNS1_3repE0EEENS1_48merge_mergepath_partition_config_static_selectorELNS0_4arch9wavefront6targetE0EEEvSF_: ; @_ZN7rocprim17ROCPRIM_400000_NS6detail17trampoline_kernelINS0_14default_configENS1_38merge_sort_block_merge_config_selectorIhNS0_10empty_typeEEEZZNS1_27merge_sort_block_merge_implIS3_PhPS5_jNS1_19radix_merge_compareILb0ELb0EhNS0_19identity_decomposerEEEEE10hipError_tT0_T1_T2_jT3_P12ihipStream_tbPNSt15iterator_traitsISE_E10value_typeEPNSK_ISF_E10value_typeEPSG_NS1_7vsmem_tEENKUlT_SE_SF_SG_E_clIS8_S8_S9_S9_EESD_ST_SE_SF_SG_EUlST_E_NS1_11comp_targetILNS1_3genE3ELNS1_11target_archE908ELNS1_3gpuE7ELNS1_3repE0EEENS1_48merge_mergepath_partition_config_static_selectorELNS0_4arch9wavefront6targetE0EEEvSF_
; %bb.0:
	.section	.rodata,"a",@progbits
	.p2align	6, 0x0
	.amdhsa_kernel _ZN7rocprim17ROCPRIM_400000_NS6detail17trampoline_kernelINS0_14default_configENS1_38merge_sort_block_merge_config_selectorIhNS0_10empty_typeEEEZZNS1_27merge_sort_block_merge_implIS3_PhPS5_jNS1_19radix_merge_compareILb0ELb0EhNS0_19identity_decomposerEEEEE10hipError_tT0_T1_T2_jT3_P12ihipStream_tbPNSt15iterator_traitsISE_E10value_typeEPNSK_ISF_E10value_typeEPSG_NS1_7vsmem_tEENKUlT_SE_SF_SG_E_clIS8_S8_S9_S9_EESD_ST_SE_SF_SG_EUlST_E_NS1_11comp_targetILNS1_3genE3ELNS1_11target_archE908ELNS1_3gpuE7ELNS1_3repE0EEENS1_48merge_mergepath_partition_config_static_selectorELNS0_4arch9wavefront6targetE0EEEvSF_
		.amdhsa_group_segment_fixed_size 0
		.amdhsa_private_segment_fixed_size 0
		.amdhsa_kernarg_size 40
		.amdhsa_user_sgpr_count 2
		.amdhsa_user_sgpr_dispatch_ptr 0
		.amdhsa_user_sgpr_queue_ptr 0
		.amdhsa_user_sgpr_kernarg_segment_ptr 1
		.amdhsa_user_sgpr_dispatch_id 0
		.amdhsa_user_sgpr_kernarg_preload_length 0
		.amdhsa_user_sgpr_kernarg_preload_offset 0
		.amdhsa_user_sgpr_private_segment_size 0
		.amdhsa_wavefront_size32 1
		.amdhsa_uses_dynamic_stack 0
		.amdhsa_enable_private_segment 0
		.amdhsa_system_sgpr_workgroup_id_x 1
		.amdhsa_system_sgpr_workgroup_id_y 0
		.amdhsa_system_sgpr_workgroup_id_z 0
		.amdhsa_system_sgpr_workgroup_info 0
		.amdhsa_system_vgpr_workitem_id 0
		.amdhsa_next_free_vgpr 1
		.amdhsa_next_free_sgpr 1
		.amdhsa_named_barrier_count 0
		.amdhsa_reserve_vcc 0
		.amdhsa_float_round_mode_32 0
		.amdhsa_float_round_mode_16_64 0
		.amdhsa_float_denorm_mode_32 3
		.amdhsa_float_denorm_mode_16_64 3
		.amdhsa_fp16_overflow 0
		.amdhsa_memory_ordered 1
		.amdhsa_forward_progress 1
		.amdhsa_inst_pref_size 0
		.amdhsa_round_robin_scheduling 0
		.amdhsa_exception_fp_ieee_invalid_op 0
		.amdhsa_exception_fp_denorm_src 0
		.amdhsa_exception_fp_ieee_div_zero 0
		.amdhsa_exception_fp_ieee_overflow 0
		.amdhsa_exception_fp_ieee_underflow 0
		.amdhsa_exception_fp_ieee_inexact 0
		.amdhsa_exception_int_div_zero 0
	.end_amdhsa_kernel
	.section	.text._ZN7rocprim17ROCPRIM_400000_NS6detail17trampoline_kernelINS0_14default_configENS1_38merge_sort_block_merge_config_selectorIhNS0_10empty_typeEEEZZNS1_27merge_sort_block_merge_implIS3_PhPS5_jNS1_19radix_merge_compareILb0ELb0EhNS0_19identity_decomposerEEEEE10hipError_tT0_T1_T2_jT3_P12ihipStream_tbPNSt15iterator_traitsISE_E10value_typeEPNSK_ISF_E10value_typeEPSG_NS1_7vsmem_tEENKUlT_SE_SF_SG_E_clIS8_S8_S9_S9_EESD_ST_SE_SF_SG_EUlST_E_NS1_11comp_targetILNS1_3genE3ELNS1_11target_archE908ELNS1_3gpuE7ELNS1_3repE0EEENS1_48merge_mergepath_partition_config_static_selectorELNS0_4arch9wavefront6targetE0EEEvSF_,"axG",@progbits,_ZN7rocprim17ROCPRIM_400000_NS6detail17trampoline_kernelINS0_14default_configENS1_38merge_sort_block_merge_config_selectorIhNS0_10empty_typeEEEZZNS1_27merge_sort_block_merge_implIS3_PhPS5_jNS1_19radix_merge_compareILb0ELb0EhNS0_19identity_decomposerEEEEE10hipError_tT0_T1_T2_jT3_P12ihipStream_tbPNSt15iterator_traitsISE_E10value_typeEPNSK_ISF_E10value_typeEPSG_NS1_7vsmem_tEENKUlT_SE_SF_SG_E_clIS8_S8_S9_S9_EESD_ST_SE_SF_SG_EUlST_E_NS1_11comp_targetILNS1_3genE3ELNS1_11target_archE908ELNS1_3gpuE7ELNS1_3repE0EEENS1_48merge_mergepath_partition_config_static_selectorELNS0_4arch9wavefront6targetE0EEEvSF_,comdat
.Lfunc_end157:
	.size	_ZN7rocprim17ROCPRIM_400000_NS6detail17trampoline_kernelINS0_14default_configENS1_38merge_sort_block_merge_config_selectorIhNS0_10empty_typeEEEZZNS1_27merge_sort_block_merge_implIS3_PhPS5_jNS1_19radix_merge_compareILb0ELb0EhNS0_19identity_decomposerEEEEE10hipError_tT0_T1_T2_jT3_P12ihipStream_tbPNSt15iterator_traitsISE_E10value_typeEPNSK_ISF_E10value_typeEPSG_NS1_7vsmem_tEENKUlT_SE_SF_SG_E_clIS8_S8_S9_S9_EESD_ST_SE_SF_SG_EUlST_E_NS1_11comp_targetILNS1_3genE3ELNS1_11target_archE908ELNS1_3gpuE7ELNS1_3repE0EEENS1_48merge_mergepath_partition_config_static_selectorELNS0_4arch9wavefront6targetE0EEEvSF_, .Lfunc_end157-_ZN7rocprim17ROCPRIM_400000_NS6detail17trampoline_kernelINS0_14default_configENS1_38merge_sort_block_merge_config_selectorIhNS0_10empty_typeEEEZZNS1_27merge_sort_block_merge_implIS3_PhPS5_jNS1_19radix_merge_compareILb0ELb0EhNS0_19identity_decomposerEEEEE10hipError_tT0_T1_T2_jT3_P12ihipStream_tbPNSt15iterator_traitsISE_E10value_typeEPNSK_ISF_E10value_typeEPSG_NS1_7vsmem_tEENKUlT_SE_SF_SG_E_clIS8_S8_S9_S9_EESD_ST_SE_SF_SG_EUlST_E_NS1_11comp_targetILNS1_3genE3ELNS1_11target_archE908ELNS1_3gpuE7ELNS1_3repE0EEENS1_48merge_mergepath_partition_config_static_selectorELNS0_4arch9wavefront6targetE0EEEvSF_
                                        ; -- End function
	.set _ZN7rocprim17ROCPRIM_400000_NS6detail17trampoline_kernelINS0_14default_configENS1_38merge_sort_block_merge_config_selectorIhNS0_10empty_typeEEEZZNS1_27merge_sort_block_merge_implIS3_PhPS5_jNS1_19radix_merge_compareILb0ELb0EhNS0_19identity_decomposerEEEEE10hipError_tT0_T1_T2_jT3_P12ihipStream_tbPNSt15iterator_traitsISE_E10value_typeEPNSK_ISF_E10value_typeEPSG_NS1_7vsmem_tEENKUlT_SE_SF_SG_E_clIS8_S8_S9_S9_EESD_ST_SE_SF_SG_EUlST_E_NS1_11comp_targetILNS1_3genE3ELNS1_11target_archE908ELNS1_3gpuE7ELNS1_3repE0EEENS1_48merge_mergepath_partition_config_static_selectorELNS0_4arch9wavefront6targetE0EEEvSF_.num_vgpr, 0
	.set _ZN7rocprim17ROCPRIM_400000_NS6detail17trampoline_kernelINS0_14default_configENS1_38merge_sort_block_merge_config_selectorIhNS0_10empty_typeEEEZZNS1_27merge_sort_block_merge_implIS3_PhPS5_jNS1_19radix_merge_compareILb0ELb0EhNS0_19identity_decomposerEEEEE10hipError_tT0_T1_T2_jT3_P12ihipStream_tbPNSt15iterator_traitsISE_E10value_typeEPNSK_ISF_E10value_typeEPSG_NS1_7vsmem_tEENKUlT_SE_SF_SG_E_clIS8_S8_S9_S9_EESD_ST_SE_SF_SG_EUlST_E_NS1_11comp_targetILNS1_3genE3ELNS1_11target_archE908ELNS1_3gpuE7ELNS1_3repE0EEENS1_48merge_mergepath_partition_config_static_selectorELNS0_4arch9wavefront6targetE0EEEvSF_.num_agpr, 0
	.set _ZN7rocprim17ROCPRIM_400000_NS6detail17trampoline_kernelINS0_14default_configENS1_38merge_sort_block_merge_config_selectorIhNS0_10empty_typeEEEZZNS1_27merge_sort_block_merge_implIS3_PhPS5_jNS1_19radix_merge_compareILb0ELb0EhNS0_19identity_decomposerEEEEE10hipError_tT0_T1_T2_jT3_P12ihipStream_tbPNSt15iterator_traitsISE_E10value_typeEPNSK_ISF_E10value_typeEPSG_NS1_7vsmem_tEENKUlT_SE_SF_SG_E_clIS8_S8_S9_S9_EESD_ST_SE_SF_SG_EUlST_E_NS1_11comp_targetILNS1_3genE3ELNS1_11target_archE908ELNS1_3gpuE7ELNS1_3repE0EEENS1_48merge_mergepath_partition_config_static_selectorELNS0_4arch9wavefront6targetE0EEEvSF_.numbered_sgpr, 0
	.set _ZN7rocprim17ROCPRIM_400000_NS6detail17trampoline_kernelINS0_14default_configENS1_38merge_sort_block_merge_config_selectorIhNS0_10empty_typeEEEZZNS1_27merge_sort_block_merge_implIS3_PhPS5_jNS1_19radix_merge_compareILb0ELb0EhNS0_19identity_decomposerEEEEE10hipError_tT0_T1_T2_jT3_P12ihipStream_tbPNSt15iterator_traitsISE_E10value_typeEPNSK_ISF_E10value_typeEPSG_NS1_7vsmem_tEENKUlT_SE_SF_SG_E_clIS8_S8_S9_S9_EESD_ST_SE_SF_SG_EUlST_E_NS1_11comp_targetILNS1_3genE3ELNS1_11target_archE908ELNS1_3gpuE7ELNS1_3repE0EEENS1_48merge_mergepath_partition_config_static_selectorELNS0_4arch9wavefront6targetE0EEEvSF_.num_named_barrier, 0
	.set _ZN7rocprim17ROCPRIM_400000_NS6detail17trampoline_kernelINS0_14default_configENS1_38merge_sort_block_merge_config_selectorIhNS0_10empty_typeEEEZZNS1_27merge_sort_block_merge_implIS3_PhPS5_jNS1_19radix_merge_compareILb0ELb0EhNS0_19identity_decomposerEEEEE10hipError_tT0_T1_T2_jT3_P12ihipStream_tbPNSt15iterator_traitsISE_E10value_typeEPNSK_ISF_E10value_typeEPSG_NS1_7vsmem_tEENKUlT_SE_SF_SG_E_clIS8_S8_S9_S9_EESD_ST_SE_SF_SG_EUlST_E_NS1_11comp_targetILNS1_3genE3ELNS1_11target_archE908ELNS1_3gpuE7ELNS1_3repE0EEENS1_48merge_mergepath_partition_config_static_selectorELNS0_4arch9wavefront6targetE0EEEvSF_.private_seg_size, 0
	.set _ZN7rocprim17ROCPRIM_400000_NS6detail17trampoline_kernelINS0_14default_configENS1_38merge_sort_block_merge_config_selectorIhNS0_10empty_typeEEEZZNS1_27merge_sort_block_merge_implIS3_PhPS5_jNS1_19radix_merge_compareILb0ELb0EhNS0_19identity_decomposerEEEEE10hipError_tT0_T1_T2_jT3_P12ihipStream_tbPNSt15iterator_traitsISE_E10value_typeEPNSK_ISF_E10value_typeEPSG_NS1_7vsmem_tEENKUlT_SE_SF_SG_E_clIS8_S8_S9_S9_EESD_ST_SE_SF_SG_EUlST_E_NS1_11comp_targetILNS1_3genE3ELNS1_11target_archE908ELNS1_3gpuE7ELNS1_3repE0EEENS1_48merge_mergepath_partition_config_static_selectorELNS0_4arch9wavefront6targetE0EEEvSF_.uses_vcc, 0
	.set _ZN7rocprim17ROCPRIM_400000_NS6detail17trampoline_kernelINS0_14default_configENS1_38merge_sort_block_merge_config_selectorIhNS0_10empty_typeEEEZZNS1_27merge_sort_block_merge_implIS3_PhPS5_jNS1_19radix_merge_compareILb0ELb0EhNS0_19identity_decomposerEEEEE10hipError_tT0_T1_T2_jT3_P12ihipStream_tbPNSt15iterator_traitsISE_E10value_typeEPNSK_ISF_E10value_typeEPSG_NS1_7vsmem_tEENKUlT_SE_SF_SG_E_clIS8_S8_S9_S9_EESD_ST_SE_SF_SG_EUlST_E_NS1_11comp_targetILNS1_3genE3ELNS1_11target_archE908ELNS1_3gpuE7ELNS1_3repE0EEENS1_48merge_mergepath_partition_config_static_selectorELNS0_4arch9wavefront6targetE0EEEvSF_.uses_flat_scratch, 0
	.set _ZN7rocprim17ROCPRIM_400000_NS6detail17trampoline_kernelINS0_14default_configENS1_38merge_sort_block_merge_config_selectorIhNS0_10empty_typeEEEZZNS1_27merge_sort_block_merge_implIS3_PhPS5_jNS1_19radix_merge_compareILb0ELb0EhNS0_19identity_decomposerEEEEE10hipError_tT0_T1_T2_jT3_P12ihipStream_tbPNSt15iterator_traitsISE_E10value_typeEPNSK_ISF_E10value_typeEPSG_NS1_7vsmem_tEENKUlT_SE_SF_SG_E_clIS8_S8_S9_S9_EESD_ST_SE_SF_SG_EUlST_E_NS1_11comp_targetILNS1_3genE3ELNS1_11target_archE908ELNS1_3gpuE7ELNS1_3repE0EEENS1_48merge_mergepath_partition_config_static_selectorELNS0_4arch9wavefront6targetE0EEEvSF_.has_dyn_sized_stack, 0
	.set _ZN7rocprim17ROCPRIM_400000_NS6detail17trampoline_kernelINS0_14default_configENS1_38merge_sort_block_merge_config_selectorIhNS0_10empty_typeEEEZZNS1_27merge_sort_block_merge_implIS3_PhPS5_jNS1_19radix_merge_compareILb0ELb0EhNS0_19identity_decomposerEEEEE10hipError_tT0_T1_T2_jT3_P12ihipStream_tbPNSt15iterator_traitsISE_E10value_typeEPNSK_ISF_E10value_typeEPSG_NS1_7vsmem_tEENKUlT_SE_SF_SG_E_clIS8_S8_S9_S9_EESD_ST_SE_SF_SG_EUlST_E_NS1_11comp_targetILNS1_3genE3ELNS1_11target_archE908ELNS1_3gpuE7ELNS1_3repE0EEENS1_48merge_mergepath_partition_config_static_selectorELNS0_4arch9wavefront6targetE0EEEvSF_.has_recursion, 0
	.set _ZN7rocprim17ROCPRIM_400000_NS6detail17trampoline_kernelINS0_14default_configENS1_38merge_sort_block_merge_config_selectorIhNS0_10empty_typeEEEZZNS1_27merge_sort_block_merge_implIS3_PhPS5_jNS1_19radix_merge_compareILb0ELb0EhNS0_19identity_decomposerEEEEE10hipError_tT0_T1_T2_jT3_P12ihipStream_tbPNSt15iterator_traitsISE_E10value_typeEPNSK_ISF_E10value_typeEPSG_NS1_7vsmem_tEENKUlT_SE_SF_SG_E_clIS8_S8_S9_S9_EESD_ST_SE_SF_SG_EUlST_E_NS1_11comp_targetILNS1_3genE3ELNS1_11target_archE908ELNS1_3gpuE7ELNS1_3repE0EEENS1_48merge_mergepath_partition_config_static_selectorELNS0_4arch9wavefront6targetE0EEEvSF_.has_indirect_call, 0
	.section	.AMDGPU.csdata,"",@progbits
; Kernel info:
; codeLenInByte = 0
; TotalNumSgprs: 0
; NumVgprs: 0
; ScratchSize: 0
; MemoryBound: 0
; FloatMode: 240
; IeeeMode: 1
; LDSByteSize: 0 bytes/workgroup (compile time only)
; SGPRBlocks: 0
; VGPRBlocks: 0
; NumSGPRsForWavesPerEU: 1
; NumVGPRsForWavesPerEU: 1
; NamedBarCnt: 0
; Occupancy: 16
; WaveLimiterHint : 0
; COMPUTE_PGM_RSRC2:SCRATCH_EN: 0
; COMPUTE_PGM_RSRC2:USER_SGPR: 2
; COMPUTE_PGM_RSRC2:TRAP_HANDLER: 0
; COMPUTE_PGM_RSRC2:TGID_X_EN: 1
; COMPUTE_PGM_RSRC2:TGID_Y_EN: 0
; COMPUTE_PGM_RSRC2:TGID_Z_EN: 0
; COMPUTE_PGM_RSRC2:TIDIG_COMP_CNT: 0
	.section	.text._ZN7rocprim17ROCPRIM_400000_NS6detail17trampoline_kernelINS0_14default_configENS1_38merge_sort_block_merge_config_selectorIhNS0_10empty_typeEEEZZNS1_27merge_sort_block_merge_implIS3_PhPS5_jNS1_19radix_merge_compareILb0ELb0EhNS0_19identity_decomposerEEEEE10hipError_tT0_T1_T2_jT3_P12ihipStream_tbPNSt15iterator_traitsISE_E10value_typeEPNSK_ISF_E10value_typeEPSG_NS1_7vsmem_tEENKUlT_SE_SF_SG_E_clIS8_S8_S9_S9_EESD_ST_SE_SF_SG_EUlST_E_NS1_11comp_targetILNS1_3genE2ELNS1_11target_archE906ELNS1_3gpuE6ELNS1_3repE0EEENS1_48merge_mergepath_partition_config_static_selectorELNS0_4arch9wavefront6targetE0EEEvSF_,"axG",@progbits,_ZN7rocprim17ROCPRIM_400000_NS6detail17trampoline_kernelINS0_14default_configENS1_38merge_sort_block_merge_config_selectorIhNS0_10empty_typeEEEZZNS1_27merge_sort_block_merge_implIS3_PhPS5_jNS1_19radix_merge_compareILb0ELb0EhNS0_19identity_decomposerEEEEE10hipError_tT0_T1_T2_jT3_P12ihipStream_tbPNSt15iterator_traitsISE_E10value_typeEPNSK_ISF_E10value_typeEPSG_NS1_7vsmem_tEENKUlT_SE_SF_SG_E_clIS8_S8_S9_S9_EESD_ST_SE_SF_SG_EUlST_E_NS1_11comp_targetILNS1_3genE2ELNS1_11target_archE906ELNS1_3gpuE6ELNS1_3repE0EEENS1_48merge_mergepath_partition_config_static_selectorELNS0_4arch9wavefront6targetE0EEEvSF_,comdat
	.protected	_ZN7rocprim17ROCPRIM_400000_NS6detail17trampoline_kernelINS0_14default_configENS1_38merge_sort_block_merge_config_selectorIhNS0_10empty_typeEEEZZNS1_27merge_sort_block_merge_implIS3_PhPS5_jNS1_19radix_merge_compareILb0ELb0EhNS0_19identity_decomposerEEEEE10hipError_tT0_T1_T2_jT3_P12ihipStream_tbPNSt15iterator_traitsISE_E10value_typeEPNSK_ISF_E10value_typeEPSG_NS1_7vsmem_tEENKUlT_SE_SF_SG_E_clIS8_S8_S9_S9_EESD_ST_SE_SF_SG_EUlST_E_NS1_11comp_targetILNS1_3genE2ELNS1_11target_archE906ELNS1_3gpuE6ELNS1_3repE0EEENS1_48merge_mergepath_partition_config_static_selectorELNS0_4arch9wavefront6targetE0EEEvSF_ ; -- Begin function _ZN7rocprim17ROCPRIM_400000_NS6detail17trampoline_kernelINS0_14default_configENS1_38merge_sort_block_merge_config_selectorIhNS0_10empty_typeEEEZZNS1_27merge_sort_block_merge_implIS3_PhPS5_jNS1_19radix_merge_compareILb0ELb0EhNS0_19identity_decomposerEEEEE10hipError_tT0_T1_T2_jT3_P12ihipStream_tbPNSt15iterator_traitsISE_E10value_typeEPNSK_ISF_E10value_typeEPSG_NS1_7vsmem_tEENKUlT_SE_SF_SG_E_clIS8_S8_S9_S9_EESD_ST_SE_SF_SG_EUlST_E_NS1_11comp_targetILNS1_3genE2ELNS1_11target_archE906ELNS1_3gpuE6ELNS1_3repE0EEENS1_48merge_mergepath_partition_config_static_selectorELNS0_4arch9wavefront6targetE0EEEvSF_
	.globl	_ZN7rocprim17ROCPRIM_400000_NS6detail17trampoline_kernelINS0_14default_configENS1_38merge_sort_block_merge_config_selectorIhNS0_10empty_typeEEEZZNS1_27merge_sort_block_merge_implIS3_PhPS5_jNS1_19radix_merge_compareILb0ELb0EhNS0_19identity_decomposerEEEEE10hipError_tT0_T1_T2_jT3_P12ihipStream_tbPNSt15iterator_traitsISE_E10value_typeEPNSK_ISF_E10value_typeEPSG_NS1_7vsmem_tEENKUlT_SE_SF_SG_E_clIS8_S8_S9_S9_EESD_ST_SE_SF_SG_EUlST_E_NS1_11comp_targetILNS1_3genE2ELNS1_11target_archE906ELNS1_3gpuE6ELNS1_3repE0EEENS1_48merge_mergepath_partition_config_static_selectorELNS0_4arch9wavefront6targetE0EEEvSF_
	.p2align	8
	.type	_ZN7rocprim17ROCPRIM_400000_NS6detail17trampoline_kernelINS0_14default_configENS1_38merge_sort_block_merge_config_selectorIhNS0_10empty_typeEEEZZNS1_27merge_sort_block_merge_implIS3_PhPS5_jNS1_19radix_merge_compareILb0ELb0EhNS0_19identity_decomposerEEEEE10hipError_tT0_T1_T2_jT3_P12ihipStream_tbPNSt15iterator_traitsISE_E10value_typeEPNSK_ISF_E10value_typeEPSG_NS1_7vsmem_tEENKUlT_SE_SF_SG_E_clIS8_S8_S9_S9_EESD_ST_SE_SF_SG_EUlST_E_NS1_11comp_targetILNS1_3genE2ELNS1_11target_archE906ELNS1_3gpuE6ELNS1_3repE0EEENS1_48merge_mergepath_partition_config_static_selectorELNS0_4arch9wavefront6targetE0EEEvSF_,@function
_ZN7rocprim17ROCPRIM_400000_NS6detail17trampoline_kernelINS0_14default_configENS1_38merge_sort_block_merge_config_selectorIhNS0_10empty_typeEEEZZNS1_27merge_sort_block_merge_implIS3_PhPS5_jNS1_19radix_merge_compareILb0ELb0EhNS0_19identity_decomposerEEEEE10hipError_tT0_T1_T2_jT3_P12ihipStream_tbPNSt15iterator_traitsISE_E10value_typeEPNSK_ISF_E10value_typeEPSG_NS1_7vsmem_tEENKUlT_SE_SF_SG_E_clIS8_S8_S9_S9_EESD_ST_SE_SF_SG_EUlST_E_NS1_11comp_targetILNS1_3genE2ELNS1_11target_archE906ELNS1_3gpuE6ELNS1_3repE0EEENS1_48merge_mergepath_partition_config_static_selectorELNS0_4arch9wavefront6targetE0EEEvSF_: ; @_ZN7rocprim17ROCPRIM_400000_NS6detail17trampoline_kernelINS0_14default_configENS1_38merge_sort_block_merge_config_selectorIhNS0_10empty_typeEEEZZNS1_27merge_sort_block_merge_implIS3_PhPS5_jNS1_19radix_merge_compareILb0ELb0EhNS0_19identity_decomposerEEEEE10hipError_tT0_T1_T2_jT3_P12ihipStream_tbPNSt15iterator_traitsISE_E10value_typeEPNSK_ISF_E10value_typeEPSG_NS1_7vsmem_tEENKUlT_SE_SF_SG_E_clIS8_S8_S9_S9_EESD_ST_SE_SF_SG_EUlST_E_NS1_11comp_targetILNS1_3genE2ELNS1_11target_archE906ELNS1_3gpuE6ELNS1_3repE0EEENS1_48merge_mergepath_partition_config_static_selectorELNS0_4arch9wavefront6targetE0EEEvSF_
; %bb.0:
	.section	.rodata,"a",@progbits
	.p2align	6, 0x0
	.amdhsa_kernel _ZN7rocprim17ROCPRIM_400000_NS6detail17trampoline_kernelINS0_14default_configENS1_38merge_sort_block_merge_config_selectorIhNS0_10empty_typeEEEZZNS1_27merge_sort_block_merge_implIS3_PhPS5_jNS1_19radix_merge_compareILb0ELb0EhNS0_19identity_decomposerEEEEE10hipError_tT0_T1_T2_jT3_P12ihipStream_tbPNSt15iterator_traitsISE_E10value_typeEPNSK_ISF_E10value_typeEPSG_NS1_7vsmem_tEENKUlT_SE_SF_SG_E_clIS8_S8_S9_S9_EESD_ST_SE_SF_SG_EUlST_E_NS1_11comp_targetILNS1_3genE2ELNS1_11target_archE906ELNS1_3gpuE6ELNS1_3repE0EEENS1_48merge_mergepath_partition_config_static_selectorELNS0_4arch9wavefront6targetE0EEEvSF_
		.amdhsa_group_segment_fixed_size 0
		.amdhsa_private_segment_fixed_size 0
		.amdhsa_kernarg_size 40
		.amdhsa_user_sgpr_count 2
		.amdhsa_user_sgpr_dispatch_ptr 0
		.amdhsa_user_sgpr_queue_ptr 0
		.amdhsa_user_sgpr_kernarg_segment_ptr 1
		.amdhsa_user_sgpr_dispatch_id 0
		.amdhsa_user_sgpr_kernarg_preload_length 0
		.amdhsa_user_sgpr_kernarg_preload_offset 0
		.amdhsa_user_sgpr_private_segment_size 0
		.amdhsa_wavefront_size32 1
		.amdhsa_uses_dynamic_stack 0
		.amdhsa_enable_private_segment 0
		.amdhsa_system_sgpr_workgroup_id_x 1
		.amdhsa_system_sgpr_workgroup_id_y 0
		.amdhsa_system_sgpr_workgroup_id_z 0
		.amdhsa_system_sgpr_workgroup_info 0
		.amdhsa_system_vgpr_workitem_id 0
		.amdhsa_next_free_vgpr 1
		.amdhsa_next_free_sgpr 1
		.amdhsa_named_barrier_count 0
		.amdhsa_reserve_vcc 0
		.amdhsa_float_round_mode_32 0
		.amdhsa_float_round_mode_16_64 0
		.amdhsa_float_denorm_mode_32 3
		.amdhsa_float_denorm_mode_16_64 3
		.amdhsa_fp16_overflow 0
		.amdhsa_memory_ordered 1
		.amdhsa_forward_progress 1
		.amdhsa_inst_pref_size 0
		.amdhsa_round_robin_scheduling 0
		.amdhsa_exception_fp_ieee_invalid_op 0
		.amdhsa_exception_fp_denorm_src 0
		.amdhsa_exception_fp_ieee_div_zero 0
		.amdhsa_exception_fp_ieee_overflow 0
		.amdhsa_exception_fp_ieee_underflow 0
		.amdhsa_exception_fp_ieee_inexact 0
		.amdhsa_exception_int_div_zero 0
	.end_amdhsa_kernel
	.section	.text._ZN7rocprim17ROCPRIM_400000_NS6detail17trampoline_kernelINS0_14default_configENS1_38merge_sort_block_merge_config_selectorIhNS0_10empty_typeEEEZZNS1_27merge_sort_block_merge_implIS3_PhPS5_jNS1_19radix_merge_compareILb0ELb0EhNS0_19identity_decomposerEEEEE10hipError_tT0_T1_T2_jT3_P12ihipStream_tbPNSt15iterator_traitsISE_E10value_typeEPNSK_ISF_E10value_typeEPSG_NS1_7vsmem_tEENKUlT_SE_SF_SG_E_clIS8_S8_S9_S9_EESD_ST_SE_SF_SG_EUlST_E_NS1_11comp_targetILNS1_3genE2ELNS1_11target_archE906ELNS1_3gpuE6ELNS1_3repE0EEENS1_48merge_mergepath_partition_config_static_selectorELNS0_4arch9wavefront6targetE0EEEvSF_,"axG",@progbits,_ZN7rocprim17ROCPRIM_400000_NS6detail17trampoline_kernelINS0_14default_configENS1_38merge_sort_block_merge_config_selectorIhNS0_10empty_typeEEEZZNS1_27merge_sort_block_merge_implIS3_PhPS5_jNS1_19radix_merge_compareILb0ELb0EhNS0_19identity_decomposerEEEEE10hipError_tT0_T1_T2_jT3_P12ihipStream_tbPNSt15iterator_traitsISE_E10value_typeEPNSK_ISF_E10value_typeEPSG_NS1_7vsmem_tEENKUlT_SE_SF_SG_E_clIS8_S8_S9_S9_EESD_ST_SE_SF_SG_EUlST_E_NS1_11comp_targetILNS1_3genE2ELNS1_11target_archE906ELNS1_3gpuE6ELNS1_3repE0EEENS1_48merge_mergepath_partition_config_static_selectorELNS0_4arch9wavefront6targetE0EEEvSF_,comdat
.Lfunc_end158:
	.size	_ZN7rocprim17ROCPRIM_400000_NS6detail17trampoline_kernelINS0_14default_configENS1_38merge_sort_block_merge_config_selectorIhNS0_10empty_typeEEEZZNS1_27merge_sort_block_merge_implIS3_PhPS5_jNS1_19radix_merge_compareILb0ELb0EhNS0_19identity_decomposerEEEEE10hipError_tT0_T1_T2_jT3_P12ihipStream_tbPNSt15iterator_traitsISE_E10value_typeEPNSK_ISF_E10value_typeEPSG_NS1_7vsmem_tEENKUlT_SE_SF_SG_E_clIS8_S8_S9_S9_EESD_ST_SE_SF_SG_EUlST_E_NS1_11comp_targetILNS1_3genE2ELNS1_11target_archE906ELNS1_3gpuE6ELNS1_3repE0EEENS1_48merge_mergepath_partition_config_static_selectorELNS0_4arch9wavefront6targetE0EEEvSF_, .Lfunc_end158-_ZN7rocprim17ROCPRIM_400000_NS6detail17trampoline_kernelINS0_14default_configENS1_38merge_sort_block_merge_config_selectorIhNS0_10empty_typeEEEZZNS1_27merge_sort_block_merge_implIS3_PhPS5_jNS1_19radix_merge_compareILb0ELb0EhNS0_19identity_decomposerEEEEE10hipError_tT0_T1_T2_jT3_P12ihipStream_tbPNSt15iterator_traitsISE_E10value_typeEPNSK_ISF_E10value_typeEPSG_NS1_7vsmem_tEENKUlT_SE_SF_SG_E_clIS8_S8_S9_S9_EESD_ST_SE_SF_SG_EUlST_E_NS1_11comp_targetILNS1_3genE2ELNS1_11target_archE906ELNS1_3gpuE6ELNS1_3repE0EEENS1_48merge_mergepath_partition_config_static_selectorELNS0_4arch9wavefront6targetE0EEEvSF_
                                        ; -- End function
	.set _ZN7rocprim17ROCPRIM_400000_NS6detail17trampoline_kernelINS0_14default_configENS1_38merge_sort_block_merge_config_selectorIhNS0_10empty_typeEEEZZNS1_27merge_sort_block_merge_implIS3_PhPS5_jNS1_19radix_merge_compareILb0ELb0EhNS0_19identity_decomposerEEEEE10hipError_tT0_T1_T2_jT3_P12ihipStream_tbPNSt15iterator_traitsISE_E10value_typeEPNSK_ISF_E10value_typeEPSG_NS1_7vsmem_tEENKUlT_SE_SF_SG_E_clIS8_S8_S9_S9_EESD_ST_SE_SF_SG_EUlST_E_NS1_11comp_targetILNS1_3genE2ELNS1_11target_archE906ELNS1_3gpuE6ELNS1_3repE0EEENS1_48merge_mergepath_partition_config_static_selectorELNS0_4arch9wavefront6targetE0EEEvSF_.num_vgpr, 0
	.set _ZN7rocprim17ROCPRIM_400000_NS6detail17trampoline_kernelINS0_14default_configENS1_38merge_sort_block_merge_config_selectorIhNS0_10empty_typeEEEZZNS1_27merge_sort_block_merge_implIS3_PhPS5_jNS1_19radix_merge_compareILb0ELb0EhNS0_19identity_decomposerEEEEE10hipError_tT0_T1_T2_jT3_P12ihipStream_tbPNSt15iterator_traitsISE_E10value_typeEPNSK_ISF_E10value_typeEPSG_NS1_7vsmem_tEENKUlT_SE_SF_SG_E_clIS8_S8_S9_S9_EESD_ST_SE_SF_SG_EUlST_E_NS1_11comp_targetILNS1_3genE2ELNS1_11target_archE906ELNS1_3gpuE6ELNS1_3repE0EEENS1_48merge_mergepath_partition_config_static_selectorELNS0_4arch9wavefront6targetE0EEEvSF_.num_agpr, 0
	.set _ZN7rocprim17ROCPRIM_400000_NS6detail17trampoline_kernelINS0_14default_configENS1_38merge_sort_block_merge_config_selectorIhNS0_10empty_typeEEEZZNS1_27merge_sort_block_merge_implIS3_PhPS5_jNS1_19radix_merge_compareILb0ELb0EhNS0_19identity_decomposerEEEEE10hipError_tT0_T1_T2_jT3_P12ihipStream_tbPNSt15iterator_traitsISE_E10value_typeEPNSK_ISF_E10value_typeEPSG_NS1_7vsmem_tEENKUlT_SE_SF_SG_E_clIS8_S8_S9_S9_EESD_ST_SE_SF_SG_EUlST_E_NS1_11comp_targetILNS1_3genE2ELNS1_11target_archE906ELNS1_3gpuE6ELNS1_3repE0EEENS1_48merge_mergepath_partition_config_static_selectorELNS0_4arch9wavefront6targetE0EEEvSF_.numbered_sgpr, 0
	.set _ZN7rocprim17ROCPRIM_400000_NS6detail17trampoline_kernelINS0_14default_configENS1_38merge_sort_block_merge_config_selectorIhNS0_10empty_typeEEEZZNS1_27merge_sort_block_merge_implIS3_PhPS5_jNS1_19radix_merge_compareILb0ELb0EhNS0_19identity_decomposerEEEEE10hipError_tT0_T1_T2_jT3_P12ihipStream_tbPNSt15iterator_traitsISE_E10value_typeEPNSK_ISF_E10value_typeEPSG_NS1_7vsmem_tEENKUlT_SE_SF_SG_E_clIS8_S8_S9_S9_EESD_ST_SE_SF_SG_EUlST_E_NS1_11comp_targetILNS1_3genE2ELNS1_11target_archE906ELNS1_3gpuE6ELNS1_3repE0EEENS1_48merge_mergepath_partition_config_static_selectorELNS0_4arch9wavefront6targetE0EEEvSF_.num_named_barrier, 0
	.set _ZN7rocprim17ROCPRIM_400000_NS6detail17trampoline_kernelINS0_14default_configENS1_38merge_sort_block_merge_config_selectorIhNS0_10empty_typeEEEZZNS1_27merge_sort_block_merge_implIS3_PhPS5_jNS1_19radix_merge_compareILb0ELb0EhNS0_19identity_decomposerEEEEE10hipError_tT0_T1_T2_jT3_P12ihipStream_tbPNSt15iterator_traitsISE_E10value_typeEPNSK_ISF_E10value_typeEPSG_NS1_7vsmem_tEENKUlT_SE_SF_SG_E_clIS8_S8_S9_S9_EESD_ST_SE_SF_SG_EUlST_E_NS1_11comp_targetILNS1_3genE2ELNS1_11target_archE906ELNS1_3gpuE6ELNS1_3repE0EEENS1_48merge_mergepath_partition_config_static_selectorELNS0_4arch9wavefront6targetE0EEEvSF_.private_seg_size, 0
	.set _ZN7rocprim17ROCPRIM_400000_NS6detail17trampoline_kernelINS0_14default_configENS1_38merge_sort_block_merge_config_selectorIhNS0_10empty_typeEEEZZNS1_27merge_sort_block_merge_implIS3_PhPS5_jNS1_19radix_merge_compareILb0ELb0EhNS0_19identity_decomposerEEEEE10hipError_tT0_T1_T2_jT3_P12ihipStream_tbPNSt15iterator_traitsISE_E10value_typeEPNSK_ISF_E10value_typeEPSG_NS1_7vsmem_tEENKUlT_SE_SF_SG_E_clIS8_S8_S9_S9_EESD_ST_SE_SF_SG_EUlST_E_NS1_11comp_targetILNS1_3genE2ELNS1_11target_archE906ELNS1_3gpuE6ELNS1_3repE0EEENS1_48merge_mergepath_partition_config_static_selectorELNS0_4arch9wavefront6targetE0EEEvSF_.uses_vcc, 0
	.set _ZN7rocprim17ROCPRIM_400000_NS6detail17trampoline_kernelINS0_14default_configENS1_38merge_sort_block_merge_config_selectorIhNS0_10empty_typeEEEZZNS1_27merge_sort_block_merge_implIS3_PhPS5_jNS1_19radix_merge_compareILb0ELb0EhNS0_19identity_decomposerEEEEE10hipError_tT0_T1_T2_jT3_P12ihipStream_tbPNSt15iterator_traitsISE_E10value_typeEPNSK_ISF_E10value_typeEPSG_NS1_7vsmem_tEENKUlT_SE_SF_SG_E_clIS8_S8_S9_S9_EESD_ST_SE_SF_SG_EUlST_E_NS1_11comp_targetILNS1_3genE2ELNS1_11target_archE906ELNS1_3gpuE6ELNS1_3repE0EEENS1_48merge_mergepath_partition_config_static_selectorELNS0_4arch9wavefront6targetE0EEEvSF_.uses_flat_scratch, 0
	.set _ZN7rocprim17ROCPRIM_400000_NS6detail17trampoline_kernelINS0_14default_configENS1_38merge_sort_block_merge_config_selectorIhNS0_10empty_typeEEEZZNS1_27merge_sort_block_merge_implIS3_PhPS5_jNS1_19radix_merge_compareILb0ELb0EhNS0_19identity_decomposerEEEEE10hipError_tT0_T1_T2_jT3_P12ihipStream_tbPNSt15iterator_traitsISE_E10value_typeEPNSK_ISF_E10value_typeEPSG_NS1_7vsmem_tEENKUlT_SE_SF_SG_E_clIS8_S8_S9_S9_EESD_ST_SE_SF_SG_EUlST_E_NS1_11comp_targetILNS1_3genE2ELNS1_11target_archE906ELNS1_3gpuE6ELNS1_3repE0EEENS1_48merge_mergepath_partition_config_static_selectorELNS0_4arch9wavefront6targetE0EEEvSF_.has_dyn_sized_stack, 0
	.set _ZN7rocprim17ROCPRIM_400000_NS6detail17trampoline_kernelINS0_14default_configENS1_38merge_sort_block_merge_config_selectorIhNS0_10empty_typeEEEZZNS1_27merge_sort_block_merge_implIS3_PhPS5_jNS1_19radix_merge_compareILb0ELb0EhNS0_19identity_decomposerEEEEE10hipError_tT0_T1_T2_jT3_P12ihipStream_tbPNSt15iterator_traitsISE_E10value_typeEPNSK_ISF_E10value_typeEPSG_NS1_7vsmem_tEENKUlT_SE_SF_SG_E_clIS8_S8_S9_S9_EESD_ST_SE_SF_SG_EUlST_E_NS1_11comp_targetILNS1_3genE2ELNS1_11target_archE906ELNS1_3gpuE6ELNS1_3repE0EEENS1_48merge_mergepath_partition_config_static_selectorELNS0_4arch9wavefront6targetE0EEEvSF_.has_recursion, 0
	.set _ZN7rocprim17ROCPRIM_400000_NS6detail17trampoline_kernelINS0_14default_configENS1_38merge_sort_block_merge_config_selectorIhNS0_10empty_typeEEEZZNS1_27merge_sort_block_merge_implIS3_PhPS5_jNS1_19radix_merge_compareILb0ELb0EhNS0_19identity_decomposerEEEEE10hipError_tT0_T1_T2_jT3_P12ihipStream_tbPNSt15iterator_traitsISE_E10value_typeEPNSK_ISF_E10value_typeEPSG_NS1_7vsmem_tEENKUlT_SE_SF_SG_E_clIS8_S8_S9_S9_EESD_ST_SE_SF_SG_EUlST_E_NS1_11comp_targetILNS1_3genE2ELNS1_11target_archE906ELNS1_3gpuE6ELNS1_3repE0EEENS1_48merge_mergepath_partition_config_static_selectorELNS0_4arch9wavefront6targetE0EEEvSF_.has_indirect_call, 0
	.section	.AMDGPU.csdata,"",@progbits
; Kernel info:
; codeLenInByte = 0
; TotalNumSgprs: 0
; NumVgprs: 0
; ScratchSize: 0
; MemoryBound: 0
; FloatMode: 240
; IeeeMode: 1
; LDSByteSize: 0 bytes/workgroup (compile time only)
; SGPRBlocks: 0
; VGPRBlocks: 0
; NumSGPRsForWavesPerEU: 1
; NumVGPRsForWavesPerEU: 1
; NamedBarCnt: 0
; Occupancy: 16
; WaveLimiterHint : 0
; COMPUTE_PGM_RSRC2:SCRATCH_EN: 0
; COMPUTE_PGM_RSRC2:USER_SGPR: 2
; COMPUTE_PGM_RSRC2:TRAP_HANDLER: 0
; COMPUTE_PGM_RSRC2:TGID_X_EN: 1
; COMPUTE_PGM_RSRC2:TGID_Y_EN: 0
; COMPUTE_PGM_RSRC2:TGID_Z_EN: 0
; COMPUTE_PGM_RSRC2:TIDIG_COMP_CNT: 0
	.section	.text._ZN7rocprim17ROCPRIM_400000_NS6detail17trampoline_kernelINS0_14default_configENS1_38merge_sort_block_merge_config_selectorIhNS0_10empty_typeEEEZZNS1_27merge_sort_block_merge_implIS3_PhPS5_jNS1_19radix_merge_compareILb0ELb0EhNS0_19identity_decomposerEEEEE10hipError_tT0_T1_T2_jT3_P12ihipStream_tbPNSt15iterator_traitsISE_E10value_typeEPNSK_ISF_E10value_typeEPSG_NS1_7vsmem_tEENKUlT_SE_SF_SG_E_clIS8_S8_S9_S9_EESD_ST_SE_SF_SG_EUlST_E_NS1_11comp_targetILNS1_3genE9ELNS1_11target_archE1100ELNS1_3gpuE3ELNS1_3repE0EEENS1_48merge_mergepath_partition_config_static_selectorELNS0_4arch9wavefront6targetE0EEEvSF_,"axG",@progbits,_ZN7rocprim17ROCPRIM_400000_NS6detail17trampoline_kernelINS0_14default_configENS1_38merge_sort_block_merge_config_selectorIhNS0_10empty_typeEEEZZNS1_27merge_sort_block_merge_implIS3_PhPS5_jNS1_19radix_merge_compareILb0ELb0EhNS0_19identity_decomposerEEEEE10hipError_tT0_T1_T2_jT3_P12ihipStream_tbPNSt15iterator_traitsISE_E10value_typeEPNSK_ISF_E10value_typeEPSG_NS1_7vsmem_tEENKUlT_SE_SF_SG_E_clIS8_S8_S9_S9_EESD_ST_SE_SF_SG_EUlST_E_NS1_11comp_targetILNS1_3genE9ELNS1_11target_archE1100ELNS1_3gpuE3ELNS1_3repE0EEENS1_48merge_mergepath_partition_config_static_selectorELNS0_4arch9wavefront6targetE0EEEvSF_,comdat
	.protected	_ZN7rocprim17ROCPRIM_400000_NS6detail17trampoline_kernelINS0_14default_configENS1_38merge_sort_block_merge_config_selectorIhNS0_10empty_typeEEEZZNS1_27merge_sort_block_merge_implIS3_PhPS5_jNS1_19radix_merge_compareILb0ELb0EhNS0_19identity_decomposerEEEEE10hipError_tT0_T1_T2_jT3_P12ihipStream_tbPNSt15iterator_traitsISE_E10value_typeEPNSK_ISF_E10value_typeEPSG_NS1_7vsmem_tEENKUlT_SE_SF_SG_E_clIS8_S8_S9_S9_EESD_ST_SE_SF_SG_EUlST_E_NS1_11comp_targetILNS1_3genE9ELNS1_11target_archE1100ELNS1_3gpuE3ELNS1_3repE0EEENS1_48merge_mergepath_partition_config_static_selectorELNS0_4arch9wavefront6targetE0EEEvSF_ ; -- Begin function _ZN7rocprim17ROCPRIM_400000_NS6detail17trampoline_kernelINS0_14default_configENS1_38merge_sort_block_merge_config_selectorIhNS0_10empty_typeEEEZZNS1_27merge_sort_block_merge_implIS3_PhPS5_jNS1_19radix_merge_compareILb0ELb0EhNS0_19identity_decomposerEEEEE10hipError_tT0_T1_T2_jT3_P12ihipStream_tbPNSt15iterator_traitsISE_E10value_typeEPNSK_ISF_E10value_typeEPSG_NS1_7vsmem_tEENKUlT_SE_SF_SG_E_clIS8_S8_S9_S9_EESD_ST_SE_SF_SG_EUlST_E_NS1_11comp_targetILNS1_3genE9ELNS1_11target_archE1100ELNS1_3gpuE3ELNS1_3repE0EEENS1_48merge_mergepath_partition_config_static_selectorELNS0_4arch9wavefront6targetE0EEEvSF_
	.globl	_ZN7rocprim17ROCPRIM_400000_NS6detail17trampoline_kernelINS0_14default_configENS1_38merge_sort_block_merge_config_selectorIhNS0_10empty_typeEEEZZNS1_27merge_sort_block_merge_implIS3_PhPS5_jNS1_19radix_merge_compareILb0ELb0EhNS0_19identity_decomposerEEEEE10hipError_tT0_T1_T2_jT3_P12ihipStream_tbPNSt15iterator_traitsISE_E10value_typeEPNSK_ISF_E10value_typeEPSG_NS1_7vsmem_tEENKUlT_SE_SF_SG_E_clIS8_S8_S9_S9_EESD_ST_SE_SF_SG_EUlST_E_NS1_11comp_targetILNS1_3genE9ELNS1_11target_archE1100ELNS1_3gpuE3ELNS1_3repE0EEENS1_48merge_mergepath_partition_config_static_selectorELNS0_4arch9wavefront6targetE0EEEvSF_
	.p2align	8
	.type	_ZN7rocprim17ROCPRIM_400000_NS6detail17trampoline_kernelINS0_14default_configENS1_38merge_sort_block_merge_config_selectorIhNS0_10empty_typeEEEZZNS1_27merge_sort_block_merge_implIS3_PhPS5_jNS1_19radix_merge_compareILb0ELb0EhNS0_19identity_decomposerEEEEE10hipError_tT0_T1_T2_jT3_P12ihipStream_tbPNSt15iterator_traitsISE_E10value_typeEPNSK_ISF_E10value_typeEPSG_NS1_7vsmem_tEENKUlT_SE_SF_SG_E_clIS8_S8_S9_S9_EESD_ST_SE_SF_SG_EUlST_E_NS1_11comp_targetILNS1_3genE9ELNS1_11target_archE1100ELNS1_3gpuE3ELNS1_3repE0EEENS1_48merge_mergepath_partition_config_static_selectorELNS0_4arch9wavefront6targetE0EEEvSF_,@function
_ZN7rocprim17ROCPRIM_400000_NS6detail17trampoline_kernelINS0_14default_configENS1_38merge_sort_block_merge_config_selectorIhNS0_10empty_typeEEEZZNS1_27merge_sort_block_merge_implIS3_PhPS5_jNS1_19radix_merge_compareILb0ELb0EhNS0_19identity_decomposerEEEEE10hipError_tT0_T1_T2_jT3_P12ihipStream_tbPNSt15iterator_traitsISE_E10value_typeEPNSK_ISF_E10value_typeEPSG_NS1_7vsmem_tEENKUlT_SE_SF_SG_E_clIS8_S8_S9_S9_EESD_ST_SE_SF_SG_EUlST_E_NS1_11comp_targetILNS1_3genE9ELNS1_11target_archE1100ELNS1_3gpuE3ELNS1_3repE0EEENS1_48merge_mergepath_partition_config_static_selectorELNS0_4arch9wavefront6targetE0EEEvSF_: ; @_ZN7rocprim17ROCPRIM_400000_NS6detail17trampoline_kernelINS0_14default_configENS1_38merge_sort_block_merge_config_selectorIhNS0_10empty_typeEEEZZNS1_27merge_sort_block_merge_implIS3_PhPS5_jNS1_19radix_merge_compareILb0ELb0EhNS0_19identity_decomposerEEEEE10hipError_tT0_T1_T2_jT3_P12ihipStream_tbPNSt15iterator_traitsISE_E10value_typeEPNSK_ISF_E10value_typeEPSG_NS1_7vsmem_tEENKUlT_SE_SF_SG_E_clIS8_S8_S9_S9_EESD_ST_SE_SF_SG_EUlST_E_NS1_11comp_targetILNS1_3genE9ELNS1_11target_archE1100ELNS1_3gpuE3ELNS1_3repE0EEENS1_48merge_mergepath_partition_config_static_selectorELNS0_4arch9wavefront6targetE0EEEvSF_
; %bb.0:
	.section	.rodata,"a",@progbits
	.p2align	6, 0x0
	.amdhsa_kernel _ZN7rocprim17ROCPRIM_400000_NS6detail17trampoline_kernelINS0_14default_configENS1_38merge_sort_block_merge_config_selectorIhNS0_10empty_typeEEEZZNS1_27merge_sort_block_merge_implIS3_PhPS5_jNS1_19radix_merge_compareILb0ELb0EhNS0_19identity_decomposerEEEEE10hipError_tT0_T1_T2_jT3_P12ihipStream_tbPNSt15iterator_traitsISE_E10value_typeEPNSK_ISF_E10value_typeEPSG_NS1_7vsmem_tEENKUlT_SE_SF_SG_E_clIS8_S8_S9_S9_EESD_ST_SE_SF_SG_EUlST_E_NS1_11comp_targetILNS1_3genE9ELNS1_11target_archE1100ELNS1_3gpuE3ELNS1_3repE0EEENS1_48merge_mergepath_partition_config_static_selectorELNS0_4arch9wavefront6targetE0EEEvSF_
		.amdhsa_group_segment_fixed_size 0
		.amdhsa_private_segment_fixed_size 0
		.amdhsa_kernarg_size 40
		.amdhsa_user_sgpr_count 2
		.amdhsa_user_sgpr_dispatch_ptr 0
		.amdhsa_user_sgpr_queue_ptr 0
		.amdhsa_user_sgpr_kernarg_segment_ptr 1
		.amdhsa_user_sgpr_dispatch_id 0
		.amdhsa_user_sgpr_kernarg_preload_length 0
		.amdhsa_user_sgpr_kernarg_preload_offset 0
		.amdhsa_user_sgpr_private_segment_size 0
		.amdhsa_wavefront_size32 1
		.amdhsa_uses_dynamic_stack 0
		.amdhsa_enable_private_segment 0
		.amdhsa_system_sgpr_workgroup_id_x 1
		.amdhsa_system_sgpr_workgroup_id_y 0
		.amdhsa_system_sgpr_workgroup_id_z 0
		.amdhsa_system_sgpr_workgroup_info 0
		.amdhsa_system_vgpr_workitem_id 0
		.amdhsa_next_free_vgpr 1
		.amdhsa_next_free_sgpr 1
		.amdhsa_named_barrier_count 0
		.amdhsa_reserve_vcc 0
		.amdhsa_float_round_mode_32 0
		.amdhsa_float_round_mode_16_64 0
		.amdhsa_float_denorm_mode_32 3
		.amdhsa_float_denorm_mode_16_64 3
		.amdhsa_fp16_overflow 0
		.amdhsa_memory_ordered 1
		.amdhsa_forward_progress 1
		.amdhsa_inst_pref_size 0
		.amdhsa_round_robin_scheduling 0
		.amdhsa_exception_fp_ieee_invalid_op 0
		.amdhsa_exception_fp_denorm_src 0
		.amdhsa_exception_fp_ieee_div_zero 0
		.amdhsa_exception_fp_ieee_overflow 0
		.amdhsa_exception_fp_ieee_underflow 0
		.amdhsa_exception_fp_ieee_inexact 0
		.amdhsa_exception_int_div_zero 0
	.end_amdhsa_kernel
	.section	.text._ZN7rocprim17ROCPRIM_400000_NS6detail17trampoline_kernelINS0_14default_configENS1_38merge_sort_block_merge_config_selectorIhNS0_10empty_typeEEEZZNS1_27merge_sort_block_merge_implIS3_PhPS5_jNS1_19radix_merge_compareILb0ELb0EhNS0_19identity_decomposerEEEEE10hipError_tT0_T1_T2_jT3_P12ihipStream_tbPNSt15iterator_traitsISE_E10value_typeEPNSK_ISF_E10value_typeEPSG_NS1_7vsmem_tEENKUlT_SE_SF_SG_E_clIS8_S8_S9_S9_EESD_ST_SE_SF_SG_EUlST_E_NS1_11comp_targetILNS1_3genE9ELNS1_11target_archE1100ELNS1_3gpuE3ELNS1_3repE0EEENS1_48merge_mergepath_partition_config_static_selectorELNS0_4arch9wavefront6targetE0EEEvSF_,"axG",@progbits,_ZN7rocprim17ROCPRIM_400000_NS6detail17trampoline_kernelINS0_14default_configENS1_38merge_sort_block_merge_config_selectorIhNS0_10empty_typeEEEZZNS1_27merge_sort_block_merge_implIS3_PhPS5_jNS1_19radix_merge_compareILb0ELb0EhNS0_19identity_decomposerEEEEE10hipError_tT0_T1_T2_jT3_P12ihipStream_tbPNSt15iterator_traitsISE_E10value_typeEPNSK_ISF_E10value_typeEPSG_NS1_7vsmem_tEENKUlT_SE_SF_SG_E_clIS8_S8_S9_S9_EESD_ST_SE_SF_SG_EUlST_E_NS1_11comp_targetILNS1_3genE9ELNS1_11target_archE1100ELNS1_3gpuE3ELNS1_3repE0EEENS1_48merge_mergepath_partition_config_static_selectorELNS0_4arch9wavefront6targetE0EEEvSF_,comdat
.Lfunc_end159:
	.size	_ZN7rocprim17ROCPRIM_400000_NS6detail17trampoline_kernelINS0_14default_configENS1_38merge_sort_block_merge_config_selectorIhNS0_10empty_typeEEEZZNS1_27merge_sort_block_merge_implIS3_PhPS5_jNS1_19radix_merge_compareILb0ELb0EhNS0_19identity_decomposerEEEEE10hipError_tT0_T1_T2_jT3_P12ihipStream_tbPNSt15iterator_traitsISE_E10value_typeEPNSK_ISF_E10value_typeEPSG_NS1_7vsmem_tEENKUlT_SE_SF_SG_E_clIS8_S8_S9_S9_EESD_ST_SE_SF_SG_EUlST_E_NS1_11comp_targetILNS1_3genE9ELNS1_11target_archE1100ELNS1_3gpuE3ELNS1_3repE0EEENS1_48merge_mergepath_partition_config_static_selectorELNS0_4arch9wavefront6targetE0EEEvSF_, .Lfunc_end159-_ZN7rocprim17ROCPRIM_400000_NS6detail17trampoline_kernelINS0_14default_configENS1_38merge_sort_block_merge_config_selectorIhNS0_10empty_typeEEEZZNS1_27merge_sort_block_merge_implIS3_PhPS5_jNS1_19radix_merge_compareILb0ELb0EhNS0_19identity_decomposerEEEEE10hipError_tT0_T1_T2_jT3_P12ihipStream_tbPNSt15iterator_traitsISE_E10value_typeEPNSK_ISF_E10value_typeEPSG_NS1_7vsmem_tEENKUlT_SE_SF_SG_E_clIS8_S8_S9_S9_EESD_ST_SE_SF_SG_EUlST_E_NS1_11comp_targetILNS1_3genE9ELNS1_11target_archE1100ELNS1_3gpuE3ELNS1_3repE0EEENS1_48merge_mergepath_partition_config_static_selectorELNS0_4arch9wavefront6targetE0EEEvSF_
                                        ; -- End function
	.set _ZN7rocprim17ROCPRIM_400000_NS6detail17trampoline_kernelINS0_14default_configENS1_38merge_sort_block_merge_config_selectorIhNS0_10empty_typeEEEZZNS1_27merge_sort_block_merge_implIS3_PhPS5_jNS1_19radix_merge_compareILb0ELb0EhNS0_19identity_decomposerEEEEE10hipError_tT0_T1_T2_jT3_P12ihipStream_tbPNSt15iterator_traitsISE_E10value_typeEPNSK_ISF_E10value_typeEPSG_NS1_7vsmem_tEENKUlT_SE_SF_SG_E_clIS8_S8_S9_S9_EESD_ST_SE_SF_SG_EUlST_E_NS1_11comp_targetILNS1_3genE9ELNS1_11target_archE1100ELNS1_3gpuE3ELNS1_3repE0EEENS1_48merge_mergepath_partition_config_static_selectorELNS0_4arch9wavefront6targetE0EEEvSF_.num_vgpr, 0
	.set _ZN7rocprim17ROCPRIM_400000_NS6detail17trampoline_kernelINS0_14default_configENS1_38merge_sort_block_merge_config_selectorIhNS0_10empty_typeEEEZZNS1_27merge_sort_block_merge_implIS3_PhPS5_jNS1_19radix_merge_compareILb0ELb0EhNS0_19identity_decomposerEEEEE10hipError_tT0_T1_T2_jT3_P12ihipStream_tbPNSt15iterator_traitsISE_E10value_typeEPNSK_ISF_E10value_typeEPSG_NS1_7vsmem_tEENKUlT_SE_SF_SG_E_clIS8_S8_S9_S9_EESD_ST_SE_SF_SG_EUlST_E_NS1_11comp_targetILNS1_3genE9ELNS1_11target_archE1100ELNS1_3gpuE3ELNS1_3repE0EEENS1_48merge_mergepath_partition_config_static_selectorELNS0_4arch9wavefront6targetE0EEEvSF_.num_agpr, 0
	.set _ZN7rocprim17ROCPRIM_400000_NS6detail17trampoline_kernelINS0_14default_configENS1_38merge_sort_block_merge_config_selectorIhNS0_10empty_typeEEEZZNS1_27merge_sort_block_merge_implIS3_PhPS5_jNS1_19radix_merge_compareILb0ELb0EhNS0_19identity_decomposerEEEEE10hipError_tT0_T1_T2_jT3_P12ihipStream_tbPNSt15iterator_traitsISE_E10value_typeEPNSK_ISF_E10value_typeEPSG_NS1_7vsmem_tEENKUlT_SE_SF_SG_E_clIS8_S8_S9_S9_EESD_ST_SE_SF_SG_EUlST_E_NS1_11comp_targetILNS1_3genE9ELNS1_11target_archE1100ELNS1_3gpuE3ELNS1_3repE0EEENS1_48merge_mergepath_partition_config_static_selectorELNS0_4arch9wavefront6targetE0EEEvSF_.numbered_sgpr, 0
	.set _ZN7rocprim17ROCPRIM_400000_NS6detail17trampoline_kernelINS0_14default_configENS1_38merge_sort_block_merge_config_selectorIhNS0_10empty_typeEEEZZNS1_27merge_sort_block_merge_implIS3_PhPS5_jNS1_19radix_merge_compareILb0ELb0EhNS0_19identity_decomposerEEEEE10hipError_tT0_T1_T2_jT3_P12ihipStream_tbPNSt15iterator_traitsISE_E10value_typeEPNSK_ISF_E10value_typeEPSG_NS1_7vsmem_tEENKUlT_SE_SF_SG_E_clIS8_S8_S9_S9_EESD_ST_SE_SF_SG_EUlST_E_NS1_11comp_targetILNS1_3genE9ELNS1_11target_archE1100ELNS1_3gpuE3ELNS1_3repE0EEENS1_48merge_mergepath_partition_config_static_selectorELNS0_4arch9wavefront6targetE0EEEvSF_.num_named_barrier, 0
	.set _ZN7rocprim17ROCPRIM_400000_NS6detail17trampoline_kernelINS0_14default_configENS1_38merge_sort_block_merge_config_selectorIhNS0_10empty_typeEEEZZNS1_27merge_sort_block_merge_implIS3_PhPS5_jNS1_19radix_merge_compareILb0ELb0EhNS0_19identity_decomposerEEEEE10hipError_tT0_T1_T2_jT3_P12ihipStream_tbPNSt15iterator_traitsISE_E10value_typeEPNSK_ISF_E10value_typeEPSG_NS1_7vsmem_tEENKUlT_SE_SF_SG_E_clIS8_S8_S9_S9_EESD_ST_SE_SF_SG_EUlST_E_NS1_11comp_targetILNS1_3genE9ELNS1_11target_archE1100ELNS1_3gpuE3ELNS1_3repE0EEENS1_48merge_mergepath_partition_config_static_selectorELNS0_4arch9wavefront6targetE0EEEvSF_.private_seg_size, 0
	.set _ZN7rocprim17ROCPRIM_400000_NS6detail17trampoline_kernelINS0_14default_configENS1_38merge_sort_block_merge_config_selectorIhNS0_10empty_typeEEEZZNS1_27merge_sort_block_merge_implIS3_PhPS5_jNS1_19radix_merge_compareILb0ELb0EhNS0_19identity_decomposerEEEEE10hipError_tT0_T1_T2_jT3_P12ihipStream_tbPNSt15iterator_traitsISE_E10value_typeEPNSK_ISF_E10value_typeEPSG_NS1_7vsmem_tEENKUlT_SE_SF_SG_E_clIS8_S8_S9_S9_EESD_ST_SE_SF_SG_EUlST_E_NS1_11comp_targetILNS1_3genE9ELNS1_11target_archE1100ELNS1_3gpuE3ELNS1_3repE0EEENS1_48merge_mergepath_partition_config_static_selectorELNS0_4arch9wavefront6targetE0EEEvSF_.uses_vcc, 0
	.set _ZN7rocprim17ROCPRIM_400000_NS6detail17trampoline_kernelINS0_14default_configENS1_38merge_sort_block_merge_config_selectorIhNS0_10empty_typeEEEZZNS1_27merge_sort_block_merge_implIS3_PhPS5_jNS1_19radix_merge_compareILb0ELb0EhNS0_19identity_decomposerEEEEE10hipError_tT0_T1_T2_jT3_P12ihipStream_tbPNSt15iterator_traitsISE_E10value_typeEPNSK_ISF_E10value_typeEPSG_NS1_7vsmem_tEENKUlT_SE_SF_SG_E_clIS8_S8_S9_S9_EESD_ST_SE_SF_SG_EUlST_E_NS1_11comp_targetILNS1_3genE9ELNS1_11target_archE1100ELNS1_3gpuE3ELNS1_3repE0EEENS1_48merge_mergepath_partition_config_static_selectorELNS0_4arch9wavefront6targetE0EEEvSF_.uses_flat_scratch, 0
	.set _ZN7rocprim17ROCPRIM_400000_NS6detail17trampoline_kernelINS0_14default_configENS1_38merge_sort_block_merge_config_selectorIhNS0_10empty_typeEEEZZNS1_27merge_sort_block_merge_implIS3_PhPS5_jNS1_19radix_merge_compareILb0ELb0EhNS0_19identity_decomposerEEEEE10hipError_tT0_T1_T2_jT3_P12ihipStream_tbPNSt15iterator_traitsISE_E10value_typeEPNSK_ISF_E10value_typeEPSG_NS1_7vsmem_tEENKUlT_SE_SF_SG_E_clIS8_S8_S9_S9_EESD_ST_SE_SF_SG_EUlST_E_NS1_11comp_targetILNS1_3genE9ELNS1_11target_archE1100ELNS1_3gpuE3ELNS1_3repE0EEENS1_48merge_mergepath_partition_config_static_selectorELNS0_4arch9wavefront6targetE0EEEvSF_.has_dyn_sized_stack, 0
	.set _ZN7rocprim17ROCPRIM_400000_NS6detail17trampoline_kernelINS0_14default_configENS1_38merge_sort_block_merge_config_selectorIhNS0_10empty_typeEEEZZNS1_27merge_sort_block_merge_implIS3_PhPS5_jNS1_19radix_merge_compareILb0ELb0EhNS0_19identity_decomposerEEEEE10hipError_tT0_T1_T2_jT3_P12ihipStream_tbPNSt15iterator_traitsISE_E10value_typeEPNSK_ISF_E10value_typeEPSG_NS1_7vsmem_tEENKUlT_SE_SF_SG_E_clIS8_S8_S9_S9_EESD_ST_SE_SF_SG_EUlST_E_NS1_11comp_targetILNS1_3genE9ELNS1_11target_archE1100ELNS1_3gpuE3ELNS1_3repE0EEENS1_48merge_mergepath_partition_config_static_selectorELNS0_4arch9wavefront6targetE0EEEvSF_.has_recursion, 0
	.set _ZN7rocprim17ROCPRIM_400000_NS6detail17trampoline_kernelINS0_14default_configENS1_38merge_sort_block_merge_config_selectorIhNS0_10empty_typeEEEZZNS1_27merge_sort_block_merge_implIS3_PhPS5_jNS1_19radix_merge_compareILb0ELb0EhNS0_19identity_decomposerEEEEE10hipError_tT0_T1_T2_jT3_P12ihipStream_tbPNSt15iterator_traitsISE_E10value_typeEPNSK_ISF_E10value_typeEPSG_NS1_7vsmem_tEENKUlT_SE_SF_SG_E_clIS8_S8_S9_S9_EESD_ST_SE_SF_SG_EUlST_E_NS1_11comp_targetILNS1_3genE9ELNS1_11target_archE1100ELNS1_3gpuE3ELNS1_3repE0EEENS1_48merge_mergepath_partition_config_static_selectorELNS0_4arch9wavefront6targetE0EEEvSF_.has_indirect_call, 0
	.section	.AMDGPU.csdata,"",@progbits
; Kernel info:
; codeLenInByte = 0
; TotalNumSgprs: 0
; NumVgprs: 0
; ScratchSize: 0
; MemoryBound: 0
; FloatMode: 240
; IeeeMode: 1
; LDSByteSize: 0 bytes/workgroup (compile time only)
; SGPRBlocks: 0
; VGPRBlocks: 0
; NumSGPRsForWavesPerEU: 1
; NumVGPRsForWavesPerEU: 1
; NamedBarCnt: 0
; Occupancy: 16
; WaveLimiterHint : 0
; COMPUTE_PGM_RSRC2:SCRATCH_EN: 0
; COMPUTE_PGM_RSRC2:USER_SGPR: 2
; COMPUTE_PGM_RSRC2:TRAP_HANDLER: 0
; COMPUTE_PGM_RSRC2:TGID_X_EN: 1
; COMPUTE_PGM_RSRC2:TGID_Y_EN: 0
; COMPUTE_PGM_RSRC2:TGID_Z_EN: 0
; COMPUTE_PGM_RSRC2:TIDIG_COMP_CNT: 0
	.section	.text._ZN7rocprim17ROCPRIM_400000_NS6detail17trampoline_kernelINS0_14default_configENS1_38merge_sort_block_merge_config_selectorIhNS0_10empty_typeEEEZZNS1_27merge_sort_block_merge_implIS3_PhPS5_jNS1_19radix_merge_compareILb0ELb0EhNS0_19identity_decomposerEEEEE10hipError_tT0_T1_T2_jT3_P12ihipStream_tbPNSt15iterator_traitsISE_E10value_typeEPNSK_ISF_E10value_typeEPSG_NS1_7vsmem_tEENKUlT_SE_SF_SG_E_clIS8_S8_S9_S9_EESD_ST_SE_SF_SG_EUlST_E_NS1_11comp_targetILNS1_3genE8ELNS1_11target_archE1030ELNS1_3gpuE2ELNS1_3repE0EEENS1_48merge_mergepath_partition_config_static_selectorELNS0_4arch9wavefront6targetE0EEEvSF_,"axG",@progbits,_ZN7rocprim17ROCPRIM_400000_NS6detail17trampoline_kernelINS0_14default_configENS1_38merge_sort_block_merge_config_selectorIhNS0_10empty_typeEEEZZNS1_27merge_sort_block_merge_implIS3_PhPS5_jNS1_19radix_merge_compareILb0ELb0EhNS0_19identity_decomposerEEEEE10hipError_tT0_T1_T2_jT3_P12ihipStream_tbPNSt15iterator_traitsISE_E10value_typeEPNSK_ISF_E10value_typeEPSG_NS1_7vsmem_tEENKUlT_SE_SF_SG_E_clIS8_S8_S9_S9_EESD_ST_SE_SF_SG_EUlST_E_NS1_11comp_targetILNS1_3genE8ELNS1_11target_archE1030ELNS1_3gpuE2ELNS1_3repE0EEENS1_48merge_mergepath_partition_config_static_selectorELNS0_4arch9wavefront6targetE0EEEvSF_,comdat
	.protected	_ZN7rocprim17ROCPRIM_400000_NS6detail17trampoline_kernelINS0_14default_configENS1_38merge_sort_block_merge_config_selectorIhNS0_10empty_typeEEEZZNS1_27merge_sort_block_merge_implIS3_PhPS5_jNS1_19radix_merge_compareILb0ELb0EhNS0_19identity_decomposerEEEEE10hipError_tT0_T1_T2_jT3_P12ihipStream_tbPNSt15iterator_traitsISE_E10value_typeEPNSK_ISF_E10value_typeEPSG_NS1_7vsmem_tEENKUlT_SE_SF_SG_E_clIS8_S8_S9_S9_EESD_ST_SE_SF_SG_EUlST_E_NS1_11comp_targetILNS1_3genE8ELNS1_11target_archE1030ELNS1_3gpuE2ELNS1_3repE0EEENS1_48merge_mergepath_partition_config_static_selectorELNS0_4arch9wavefront6targetE0EEEvSF_ ; -- Begin function _ZN7rocprim17ROCPRIM_400000_NS6detail17trampoline_kernelINS0_14default_configENS1_38merge_sort_block_merge_config_selectorIhNS0_10empty_typeEEEZZNS1_27merge_sort_block_merge_implIS3_PhPS5_jNS1_19radix_merge_compareILb0ELb0EhNS0_19identity_decomposerEEEEE10hipError_tT0_T1_T2_jT3_P12ihipStream_tbPNSt15iterator_traitsISE_E10value_typeEPNSK_ISF_E10value_typeEPSG_NS1_7vsmem_tEENKUlT_SE_SF_SG_E_clIS8_S8_S9_S9_EESD_ST_SE_SF_SG_EUlST_E_NS1_11comp_targetILNS1_3genE8ELNS1_11target_archE1030ELNS1_3gpuE2ELNS1_3repE0EEENS1_48merge_mergepath_partition_config_static_selectorELNS0_4arch9wavefront6targetE0EEEvSF_
	.globl	_ZN7rocprim17ROCPRIM_400000_NS6detail17trampoline_kernelINS0_14default_configENS1_38merge_sort_block_merge_config_selectorIhNS0_10empty_typeEEEZZNS1_27merge_sort_block_merge_implIS3_PhPS5_jNS1_19radix_merge_compareILb0ELb0EhNS0_19identity_decomposerEEEEE10hipError_tT0_T1_T2_jT3_P12ihipStream_tbPNSt15iterator_traitsISE_E10value_typeEPNSK_ISF_E10value_typeEPSG_NS1_7vsmem_tEENKUlT_SE_SF_SG_E_clIS8_S8_S9_S9_EESD_ST_SE_SF_SG_EUlST_E_NS1_11comp_targetILNS1_3genE8ELNS1_11target_archE1030ELNS1_3gpuE2ELNS1_3repE0EEENS1_48merge_mergepath_partition_config_static_selectorELNS0_4arch9wavefront6targetE0EEEvSF_
	.p2align	8
	.type	_ZN7rocprim17ROCPRIM_400000_NS6detail17trampoline_kernelINS0_14default_configENS1_38merge_sort_block_merge_config_selectorIhNS0_10empty_typeEEEZZNS1_27merge_sort_block_merge_implIS3_PhPS5_jNS1_19radix_merge_compareILb0ELb0EhNS0_19identity_decomposerEEEEE10hipError_tT0_T1_T2_jT3_P12ihipStream_tbPNSt15iterator_traitsISE_E10value_typeEPNSK_ISF_E10value_typeEPSG_NS1_7vsmem_tEENKUlT_SE_SF_SG_E_clIS8_S8_S9_S9_EESD_ST_SE_SF_SG_EUlST_E_NS1_11comp_targetILNS1_3genE8ELNS1_11target_archE1030ELNS1_3gpuE2ELNS1_3repE0EEENS1_48merge_mergepath_partition_config_static_selectorELNS0_4arch9wavefront6targetE0EEEvSF_,@function
_ZN7rocprim17ROCPRIM_400000_NS6detail17trampoline_kernelINS0_14default_configENS1_38merge_sort_block_merge_config_selectorIhNS0_10empty_typeEEEZZNS1_27merge_sort_block_merge_implIS3_PhPS5_jNS1_19radix_merge_compareILb0ELb0EhNS0_19identity_decomposerEEEEE10hipError_tT0_T1_T2_jT3_P12ihipStream_tbPNSt15iterator_traitsISE_E10value_typeEPNSK_ISF_E10value_typeEPSG_NS1_7vsmem_tEENKUlT_SE_SF_SG_E_clIS8_S8_S9_S9_EESD_ST_SE_SF_SG_EUlST_E_NS1_11comp_targetILNS1_3genE8ELNS1_11target_archE1030ELNS1_3gpuE2ELNS1_3repE0EEENS1_48merge_mergepath_partition_config_static_selectorELNS0_4arch9wavefront6targetE0EEEvSF_: ; @_ZN7rocprim17ROCPRIM_400000_NS6detail17trampoline_kernelINS0_14default_configENS1_38merge_sort_block_merge_config_selectorIhNS0_10empty_typeEEEZZNS1_27merge_sort_block_merge_implIS3_PhPS5_jNS1_19radix_merge_compareILb0ELb0EhNS0_19identity_decomposerEEEEE10hipError_tT0_T1_T2_jT3_P12ihipStream_tbPNSt15iterator_traitsISE_E10value_typeEPNSK_ISF_E10value_typeEPSG_NS1_7vsmem_tEENKUlT_SE_SF_SG_E_clIS8_S8_S9_S9_EESD_ST_SE_SF_SG_EUlST_E_NS1_11comp_targetILNS1_3genE8ELNS1_11target_archE1030ELNS1_3gpuE2ELNS1_3repE0EEENS1_48merge_mergepath_partition_config_static_selectorELNS0_4arch9wavefront6targetE0EEEvSF_
; %bb.0:
	.section	.rodata,"a",@progbits
	.p2align	6, 0x0
	.amdhsa_kernel _ZN7rocprim17ROCPRIM_400000_NS6detail17trampoline_kernelINS0_14default_configENS1_38merge_sort_block_merge_config_selectorIhNS0_10empty_typeEEEZZNS1_27merge_sort_block_merge_implIS3_PhPS5_jNS1_19radix_merge_compareILb0ELb0EhNS0_19identity_decomposerEEEEE10hipError_tT0_T1_T2_jT3_P12ihipStream_tbPNSt15iterator_traitsISE_E10value_typeEPNSK_ISF_E10value_typeEPSG_NS1_7vsmem_tEENKUlT_SE_SF_SG_E_clIS8_S8_S9_S9_EESD_ST_SE_SF_SG_EUlST_E_NS1_11comp_targetILNS1_3genE8ELNS1_11target_archE1030ELNS1_3gpuE2ELNS1_3repE0EEENS1_48merge_mergepath_partition_config_static_selectorELNS0_4arch9wavefront6targetE0EEEvSF_
		.amdhsa_group_segment_fixed_size 0
		.amdhsa_private_segment_fixed_size 0
		.amdhsa_kernarg_size 40
		.amdhsa_user_sgpr_count 2
		.amdhsa_user_sgpr_dispatch_ptr 0
		.amdhsa_user_sgpr_queue_ptr 0
		.amdhsa_user_sgpr_kernarg_segment_ptr 1
		.amdhsa_user_sgpr_dispatch_id 0
		.amdhsa_user_sgpr_kernarg_preload_length 0
		.amdhsa_user_sgpr_kernarg_preload_offset 0
		.amdhsa_user_sgpr_private_segment_size 0
		.amdhsa_wavefront_size32 1
		.amdhsa_uses_dynamic_stack 0
		.amdhsa_enable_private_segment 0
		.amdhsa_system_sgpr_workgroup_id_x 1
		.amdhsa_system_sgpr_workgroup_id_y 0
		.amdhsa_system_sgpr_workgroup_id_z 0
		.amdhsa_system_sgpr_workgroup_info 0
		.amdhsa_system_vgpr_workitem_id 0
		.amdhsa_next_free_vgpr 1
		.amdhsa_next_free_sgpr 1
		.amdhsa_named_barrier_count 0
		.amdhsa_reserve_vcc 0
		.amdhsa_float_round_mode_32 0
		.amdhsa_float_round_mode_16_64 0
		.amdhsa_float_denorm_mode_32 3
		.amdhsa_float_denorm_mode_16_64 3
		.amdhsa_fp16_overflow 0
		.amdhsa_memory_ordered 1
		.amdhsa_forward_progress 1
		.amdhsa_inst_pref_size 0
		.amdhsa_round_robin_scheduling 0
		.amdhsa_exception_fp_ieee_invalid_op 0
		.amdhsa_exception_fp_denorm_src 0
		.amdhsa_exception_fp_ieee_div_zero 0
		.amdhsa_exception_fp_ieee_overflow 0
		.amdhsa_exception_fp_ieee_underflow 0
		.amdhsa_exception_fp_ieee_inexact 0
		.amdhsa_exception_int_div_zero 0
	.end_amdhsa_kernel
	.section	.text._ZN7rocprim17ROCPRIM_400000_NS6detail17trampoline_kernelINS0_14default_configENS1_38merge_sort_block_merge_config_selectorIhNS0_10empty_typeEEEZZNS1_27merge_sort_block_merge_implIS3_PhPS5_jNS1_19radix_merge_compareILb0ELb0EhNS0_19identity_decomposerEEEEE10hipError_tT0_T1_T2_jT3_P12ihipStream_tbPNSt15iterator_traitsISE_E10value_typeEPNSK_ISF_E10value_typeEPSG_NS1_7vsmem_tEENKUlT_SE_SF_SG_E_clIS8_S8_S9_S9_EESD_ST_SE_SF_SG_EUlST_E_NS1_11comp_targetILNS1_3genE8ELNS1_11target_archE1030ELNS1_3gpuE2ELNS1_3repE0EEENS1_48merge_mergepath_partition_config_static_selectorELNS0_4arch9wavefront6targetE0EEEvSF_,"axG",@progbits,_ZN7rocprim17ROCPRIM_400000_NS6detail17trampoline_kernelINS0_14default_configENS1_38merge_sort_block_merge_config_selectorIhNS0_10empty_typeEEEZZNS1_27merge_sort_block_merge_implIS3_PhPS5_jNS1_19radix_merge_compareILb0ELb0EhNS0_19identity_decomposerEEEEE10hipError_tT0_T1_T2_jT3_P12ihipStream_tbPNSt15iterator_traitsISE_E10value_typeEPNSK_ISF_E10value_typeEPSG_NS1_7vsmem_tEENKUlT_SE_SF_SG_E_clIS8_S8_S9_S9_EESD_ST_SE_SF_SG_EUlST_E_NS1_11comp_targetILNS1_3genE8ELNS1_11target_archE1030ELNS1_3gpuE2ELNS1_3repE0EEENS1_48merge_mergepath_partition_config_static_selectorELNS0_4arch9wavefront6targetE0EEEvSF_,comdat
.Lfunc_end160:
	.size	_ZN7rocprim17ROCPRIM_400000_NS6detail17trampoline_kernelINS0_14default_configENS1_38merge_sort_block_merge_config_selectorIhNS0_10empty_typeEEEZZNS1_27merge_sort_block_merge_implIS3_PhPS5_jNS1_19radix_merge_compareILb0ELb0EhNS0_19identity_decomposerEEEEE10hipError_tT0_T1_T2_jT3_P12ihipStream_tbPNSt15iterator_traitsISE_E10value_typeEPNSK_ISF_E10value_typeEPSG_NS1_7vsmem_tEENKUlT_SE_SF_SG_E_clIS8_S8_S9_S9_EESD_ST_SE_SF_SG_EUlST_E_NS1_11comp_targetILNS1_3genE8ELNS1_11target_archE1030ELNS1_3gpuE2ELNS1_3repE0EEENS1_48merge_mergepath_partition_config_static_selectorELNS0_4arch9wavefront6targetE0EEEvSF_, .Lfunc_end160-_ZN7rocprim17ROCPRIM_400000_NS6detail17trampoline_kernelINS0_14default_configENS1_38merge_sort_block_merge_config_selectorIhNS0_10empty_typeEEEZZNS1_27merge_sort_block_merge_implIS3_PhPS5_jNS1_19radix_merge_compareILb0ELb0EhNS0_19identity_decomposerEEEEE10hipError_tT0_T1_T2_jT3_P12ihipStream_tbPNSt15iterator_traitsISE_E10value_typeEPNSK_ISF_E10value_typeEPSG_NS1_7vsmem_tEENKUlT_SE_SF_SG_E_clIS8_S8_S9_S9_EESD_ST_SE_SF_SG_EUlST_E_NS1_11comp_targetILNS1_3genE8ELNS1_11target_archE1030ELNS1_3gpuE2ELNS1_3repE0EEENS1_48merge_mergepath_partition_config_static_selectorELNS0_4arch9wavefront6targetE0EEEvSF_
                                        ; -- End function
	.set _ZN7rocprim17ROCPRIM_400000_NS6detail17trampoline_kernelINS0_14default_configENS1_38merge_sort_block_merge_config_selectorIhNS0_10empty_typeEEEZZNS1_27merge_sort_block_merge_implIS3_PhPS5_jNS1_19radix_merge_compareILb0ELb0EhNS0_19identity_decomposerEEEEE10hipError_tT0_T1_T2_jT3_P12ihipStream_tbPNSt15iterator_traitsISE_E10value_typeEPNSK_ISF_E10value_typeEPSG_NS1_7vsmem_tEENKUlT_SE_SF_SG_E_clIS8_S8_S9_S9_EESD_ST_SE_SF_SG_EUlST_E_NS1_11comp_targetILNS1_3genE8ELNS1_11target_archE1030ELNS1_3gpuE2ELNS1_3repE0EEENS1_48merge_mergepath_partition_config_static_selectorELNS0_4arch9wavefront6targetE0EEEvSF_.num_vgpr, 0
	.set _ZN7rocprim17ROCPRIM_400000_NS6detail17trampoline_kernelINS0_14default_configENS1_38merge_sort_block_merge_config_selectorIhNS0_10empty_typeEEEZZNS1_27merge_sort_block_merge_implIS3_PhPS5_jNS1_19radix_merge_compareILb0ELb0EhNS0_19identity_decomposerEEEEE10hipError_tT0_T1_T2_jT3_P12ihipStream_tbPNSt15iterator_traitsISE_E10value_typeEPNSK_ISF_E10value_typeEPSG_NS1_7vsmem_tEENKUlT_SE_SF_SG_E_clIS8_S8_S9_S9_EESD_ST_SE_SF_SG_EUlST_E_NS1_11comp_targetILNS1_3genE8ELNS1_11target_archE1030ELNS1_3gpuE2ELNS1_3repE0EEENS1_48merge_mergepath_partition_config_static_selectorELNS0_4arch9wavefront6targetE0EEEvSF_.num_agpr, 0
	.set _ZN7rocprim17ROCPRIM_400000_NS6detail17trampoline_kernelINS0_14default_configENS1_38merge_sort_block_merge_config_selectorIhNS0_10empty_typeEEEZZNS1_27merge_sort_block_merge_implIS3_PhPS5_jNS1_19radix_merge_compareILb0ELb0EhNS0_19identity_decomposerEEEEE10hipError_tT0_T1_T2_jT3_P12ihipStream_tbPNSt15iterator_traitsISE_E10value_typeEPNSK_ISF_E10value_typeEPSG_NS1_7vsmem_tEENKUlT_SE_SF_SG_E_clIS8_S8_S9_S9_EESD_ST_SE_SF_SG_EUlST_E_NS1_11comp_targetILNS1_3genE8ELNS1_11target_archE1030ELNS1_3gpuE2ELNS1_3repE0EEENS1_48merge_mergepath_partition_config_static_selectorELNS0_4arch9wavefront6targetE0EEEvSF_.numbered_sgpr, 0
	.set _ZN7rocprim17ROCPRIM_400000_NS6detail17trampoline_kernelINS0_14default_configENS1_38merge_sort_block_merge_config_selectorIhNS0_10empty_typeEEEZZNS1_27merge_sort_block_merge_implIS3_PhPS5_jNS1_19radix_merge_compareILb0ELb0EhNS0_19identity_decomposerEEEEE10hipError_tT0_T1_T2_jT3_P12ihipStream_tbPNSt15iterator_traitsISE_E10value_typeEPNSK_ISF_E10value_typeEPSG_NS1_7vsmem_tEENKUlT_SE_SF_SG_E_clIS8_S8_S9_S9_EESD_ST_SE_SF_SG_EUlST_E_NS1_11comp_targetILNS1_3genE8ELNS1_11target_archE1030ELNS1_3gpuE2ELNS1_3repE0EEENS1_48merge_mergepath_partition_config_static_selectorELNS0_4arch9wavefront6targetE0EEEvSF_.num_named_barrier, 0
	.set _ZN7rocprim17ROCPRIM_400000_NS6detail17trampoline_kernelINS0_14default_configENS1_38merge_sort_block_merge_config_selectorIhNS0_10empty_typeEEEZZNS1_27merge_sort_block_merge_implIS3_PhPS5_jNS1_19radix_merge_compareILb0ELb0EhNS0_19identity_decomposerEEEEE10hipError_tT0_T1_T2_jT3_P12ihipStream_tbPNSt15iterator_traitsISE_E10value_typeEPNSK_ISF_E10value_typeEPSG_NS1_7vsmem_tEENKUlT_SE_SF_SG_E_clIS8_S8_S9_S9_EESD_ST_SE_SF_SG_EUlST_E_NS1_11comp_targetILNS1_3genE8ELNS1_11target_archE1030ELNS1_3gpuE2ELNS1_3repE0EEENS1_48merge_mergepath_partition_config_static_selectorELNS0_4arch9wavefront6targetE0EEEvSF_.private_seg_size, 0
	.set _ZN7rocprim17ROCPRIM_400000_NS6detail17trampoline_kernelINS0_14default_configENS1_38merge_sort_block_merge_config_selectorIhNS0_10empty_typeEEEZZNS1_27merge_sort_block_merge_implIS3_PhPS5_jNS1_19radix_merge_compareILb0ELb0EhNS0_19identity_decomposerEEEEE10hipError_tT0_T1_T2_jT3_P12ihipStream_tbPNSt15iterator_traitsISE_E10value_typeEPNSK_ISF_E10value_typeEPSG_NS1_7vsmem_tEENKUlT_SE_SF_SG_E_clIS8_S8_S9_S9_EESD_ST_SE_SF_SG_EUlST_E_NS1_11comp_targetILNS1_3genE8ELNS1_11target_archE1030ELNS1_3gpuE2ELNS1_3repE0EEENS1_48merge_mergepath_partition_config_static_selectorELNS0_4arch9wavefront6targetE0EEEvSF_.uses_vcc, 0
	.set _ZN7rocprim17ROCPRIM_400000_NS6detail17trampoline_kernelINS0_14default_configENS1_38merge_sort_block_merge_config_selectorIhNS0_10empty_typeEEEZZNS1_27merge_sort_block_merge_implIS3_PhPS5_jNS1_19radix_merge_compareILb0ELb0EhNS0_19identity_decomposerEEEEE10hipError_tT0_T1_T2_jT3_P12ihipStream_tbPNSt15iterator_traitsISE_E10value_typeEPNSK_ISF_E10value_typeEPSG_NS1_7vsmem_tEENKUlT_SE_SF_SG_E_clIS8_S8_S9_S9_EESD_ST_SE_SF_SG_EUlST_E_NS1_11comp_targetILNS1_3genE8ELNS1_11target_archE1030ELNS1_3gpuE2ELNS1_3repE0EEENS1_48merge_mergepath_partition_config_static_selectorELNS0_4arch9wavefront6targetE0EEEvSF_.uses_flat_scratch, 0
	.set _ZN7rocprim17ROCPRIM_400000_NS6detail17trampoline_kernelINS0_14default_configENS1_38merge_sort_block_merge_config_selectorIhNS0_10empty_typeEEEZZNS1_27merge_sort_block_merge_implIS3_PhPS5_jNS1_19radix_merge_compareILb0ELb0EhNS0_19identity_decomposerEEEEE10hipError_tT0_T1_T2_jT3_P12ihipStream_tbPNSt15iterator_traitsISE_E10value_typeEPNSK_ISF_E10value_typeEPSG_NS1_7vsmem_tEENKUlT_SE_SF_SG_E_clIS8_S8_S9_S9_EESD_ST_SE_SF_SG_EUlST_E_NS1_11comp_targetILNS1_3genE8ELNS1_11target_archE1030ELNS1_3gpuE2ELNS1_3repE0EEENS1_48merge_mergepath_partition_config_static_selectorELNS0_4arch9wavefront6targetE0EEEvSF_.has_dyn_sized_stack, 0
	.set _ZN7rocprim17ROCPRIM_400000_NS6detail17trampoline_kernelINS0_14default_configENS1_38merge_sort_block_merge_config_selectorIhNS0_10empty_typeEEEZZNS1_27merge_sort_block_merge_implIS3_PhPS5_jNS1_19radix_merge_compareILb0ELb0EhNS0_19identity_decomposerEEEEE10hipError_tT0_T1_T2_jT3_P12ihipStream_tbPNSt15iterator_traitsISE_E10value_typeEPNSK_ISF_E10value_typeEPSG_NS1_7vsmem_tEENKUlT_SE_SF_SG_E_clIS8_S8_S9_S9_EESD_ST_SE_SF_SG_EUlST_E_NS1_11comp_targetILNS1_3genE8ELNS1_11target_archE1030ELNS1_3gpuE2ELNS1_3repE0EEENS1_48merge_mergepath_partition_config_static_selectorELNS0_4arch9wavefront6targetE0EEEvSF_.has_recursion, 0
	.set _ZN7rocprim17ROCPRIM_400000_NS6detail17trampoline_kernelINS0_14default_configENS1_38merge_sort_block_merge_config_selectorIhNS0_10empty_typeEEEZZNS1_27merge_sort_block_merge_implIS3_PhPS5_jNS1_19radix_merge_compareILb0ELb0EhNS0_19identity_decomposerEEEEE10hipError_tT0_T1_T2_jT3_P12ihipStream_tbPNSt15iterator_traitsISE_E10value_typeEPNSK_ISF_E10value_typeEPSG_NS1_7vsmem_tEENKUlT_SE_SF_SG_E_clIS8_S8_S9_S9_EESD_ST_SE_SF_SG_EUlST_E_NS1_11comp_targetILNS1_3genE8ELNS1_11target_archE1030ELNS1_3gpuE2ELNS1_3repE0EEENS1_48merge_mergepath_partition_config_static_selectorELNS0_4arch9wavefront6targetE0EEEvSF_.has_indirect_call, 0
	.section	.AMDGPU.csdata,"",@progbits
; Kernel info:
; codeLenInByte = 0
; TotalNumSgprs: 0
; NumVgprs: 0
; ScratchSize: 0
; MemoryBound: 0
; FloatMode: 240
; IeeeMode: 1
; LDSByteSize: 0 bytes/workgroup (compile time only)
; SGPRBlocks: 0
; VGPRBlocks: 0
; NumSGPRsForWavesPerEU: 1
; NumVGPRsForWavesPerEU: 1
; NamedBarCnt: 0
; Occupancy: 16
; WaveLimiterHint : 0
; COMPUTE_PGM_RSRC2:SCRATCH_EN: 0
; COMPUTE_PGM_RSRC2:USER_SGPR: 2
; COMPUTE_PGM_RSRC2:TRAP_HANDLER: 0
; COMPUTE_PGM_RSRC2:TGID_X_EN: 1
; COMPUTE_PGM_RSRC2:TGID_Y_EN: 0
; COMPUTE_PGM_RSRC2:TGID_Z_EN: 0
; COMPUTE_PGM_RSRC2:TIDIG_COMP_CNT: 0
	.section	.text._ZN7rocprim17ROCPRIM_400000_NS6detail17trampoline_kernelINS0_14default_configENS1_38merge_sort_block_merge_config_selectorIhNS0_10empty_typeEEEZZNS1_27merge_sort_block_merge_implIS3_PhPS5_jNS1_19radix_merge_compareILb0ELb0EhNS0_19identity_decomposerEEEEE10hipError_tT0_T1_T2_jT3_P12ihipStream_tbPNSt15iterator_traitsISE_E10value_typeEPNSK_ISF_E10value_typeEPSG_NS1_7vsmem_tEENKUlT_SE_SF_SG_E_clIS8_S8_S9_S9_EESD_ST_SE_SF_SG_EUlST_E0_NS1_11comp_targetILNS1_3genE0ELNS1_11target_archE4294967295ELNS1_3gpuE0ELNS1_3repE0EEENS1_38merge_mergepath_config_static_selectorELNS0_4arch9wavefront6targetE0EEEvSF_,"axG",@progbits,_ZN7rocprim17ROCPRIM_400000_NS6detail17trampoline_kernelINS0_14default_configENS1_38merge_sort_block_merge_config_selectorIhNS0_10empty_typeEEEZZNS1_27merge_sort_block_merge_implIS3_PhPS5_jNS1_19radix_merge_compareILb0ELb0EhNS0_19identity_decomposerEEEEE10hipError_tT0_T1_T2_jT3_P12ihipStream_tbPNSt15iterator_traitsISE_E10value_typeEPNSK_ISF_E10value_typeEPSG_NS1_7vsmem_tEENKUlT_SE_SF_SG_E_clIS8_S8_S9_S9_EESD_ST_SE_SF_SG_EUlST_E0_NS1_11comp_targetILNS1_3genE0ELNS1_11target_archE4294967295ELNS1_3gpuE0ELNS1_3repE0EEENS1_38merge_mergepath_config_static_selectorELNS0_4arch9wavefront6targetE0EEEvSF_,comdat
	.protected	_ZN7rocprim17ROCPRIM_400000_NS6detail17trampoline_kernelINS0_14default_configENS1_38merge_sort_block_merge_config_selectorIhNS0_10empty_typeEEEZZNS1_27merge_sort_block_merge_implIS3_PhPS5_jNS1_19radix_merge_compareILb0ELb0EhNS0_19identity_decomposerEEEEE10hipError_tT0_T1_T2_jT3_P12ihipStream_tbPNSt15iterator_traitsISE_E10value_typeEPNSK_ISF_E10value_typeEPSG_NS1_7vsmem_tEENKUlT_SE_SF_SG_E_clIS8_S8_S9_S9_EESD_ST_SE_SF_SG_EUlST_E0_NS1_11comp_targetILNS1_3genE0ELNS1_11target_archE4294967295ELNS1_3gpuE0ELNS1_3repE0EEENS1_38merge_mergepath_config_static_selectorELNS0_4arch9wavefront6targetE0EEEvSF_ ; -- Begin function _ZN7rocprim17ROCPRIM_400000_NS6detail17trampoline_kernelINS0_14default_configENS1_38merge_sort_block_merge_config_selectorIhNS0_10empty_typeEEEZZNS1_27merge_sort_block_merge_implIS3_PhPS5_jNS1_19radix_merge_compareILb0ELb0EhNS0_19identity_decomposerEEEEE10hipError_tT0_T1_T2_jT3_P12ihipStream_tbPNSt15iterator_traitsISE_E10value_typeEPNSK_ISF_E10value_typeEPSG_NS1_7vsmem_tEENKUlT_SE_SF_SG_E_clIS8_S8_S9_S9_EESD_ST_SE_SF_SG_EUlST_E0_NS1_11comp_targetILNS1_3genE0ELNS1_11target_archE4294967295ELNS1_3gpuE0ELNS1_3repE0EEENS1_38merge_mergepath_config_static_selectorELNS0_4arch9wavefront6targetE0EEEvSF_
	.globl	_ZN7rocprim17ROCPRIM_400000_NS6detail17trampoline_kernelINS0_14default_configENS1_38merge_sort_block_merge_config_selectorIhNS0_10empty_typeEEEZZNS1_27merge_sort_block_merge_implIS3_PhPS5_jNS1_19radix_merge_compareILb0ELb0EhNS0_19identity_decomposerEEEEE10hipError_tT0_T1_T2_jT3_P12ihipStream_tbPNSt15iterator_traitsISE_E10value_typeEPNSK_ISF_E10value_typeEPSG_NS1_7vsmem_tEENKUlT_SE_SF_SG_E_clIS8_S8_S9_S9_EESD_ST_SE_SF_SG_EUlST_E0_NS1_11comp_targetILNS1_3genE0ELNS1_11target_archE4294967295ELNS1_3gpuE0ELNS1_3repE0EEENS1_38merge_mergepath_config_static_selectorELNS0_4arch9wavefront6targetE0EEEvSF_
	.p2align	8
	.type	_ZN7rocprim17ROCPRIM_400000_NS6detail17trampoline_kernelINS0_14default_configENS1_38merge_sort_block_merge_config_selectorIhNS0_10empty_typeEEEZZNS1_27merge_sort_block_merge_implIS3_PhPS5_jNS1_19radix_merge_compareILb0ELb0EhNS0_19identity_decomposerEEEEE10hipError_tT0_T1_T2_jT3_P12ihipStream_tbPNSt15iterator_traitsISE_E10value_typeEPNSK_ISF_E10value_typeEPSG_NS1_7vsmem_tEENKUlT_SE_SF_SG_E_clIS8_S8_S9_S9_EESD_ST_SE_SF_SG_EUlST_E0_NS1_11comp_targetILNS1_3genE0ELNS1_11target_archE4294967295ELNS1_3gpuE0ELNS1_3repE0EEENS1_38merge_mergepath_config_static_selectorELNS0_4arch9wavefront6targetE0EEEvSF_,@function
_ZN7rocprim17ROCPRIM_400000_NS6detail17trampoline_kernelINS0_14default_configENS1_38merge_sort_block_merge_config_selectorIhNS0_10empty_typeEEEZZNS1_27merge_sort_block_merge_implIS3_PhPS5_jNS1_19radix_merge_compareILb0ELb0EhNS0_19identity_decomposerEEEEE10hipError_tT0_T1_T2_jT3_P12ihipStream_tbPNSt15iterator_traitsISE_E10value_typeEPNSK_ISF_E10value_typeEPSG_NS1_7vsmem_tEENKUlT_SE_SF_SG_E_clIS8_S8_S9_S9_EESD_ST_SE_SF_SG_EUlST_E0_NS1_11comp_targetILNS1_3genE0ELNS1_11target_archE4294967295ELNS1_3gpuE0ELNS1_3repE0EEENS1_38merge_mergepath_config_static_selectorELNS0_4arch9wavefront6targetE0EEEvSF_: ; @_ZN7rocprim17ROCPRIM_400000_NS6detail17trampoline_kernelINS0_14default_configENS1_38merge_sort_block_merge_config_selectorIhNS0_10empty_typeEEEZZNS1_27merge_sort_block_merge_implIS3_PhPS5_jNS1_19radix_merge_compareILb0ELb0EhNS0_19identity_decomposerEEEEE10hipError_tT0_T1_T2_jT3_P12ihipStream_tbPNSt15iterator_traitsISE_E10value_typeEPNSK_ISF_E10value_typeEPSG_NS1_7vsmem_tEENKUlT_SE_SF_SG_E_clIS8_S8_S9_S9_EESD_ST_SE_SF_SG_EUlST_E0_NS1_11comp_targetILNS1_3genE0ELNS1_11target_archE4294967295ELNS1_3gpuE0ELNS1_3repE0EEENS1_38merge_mergepath_config_static_selectorELNS0_4arch9wavefront6targetE0EEEvSF_
; %bb.0:
	s_bfe_u32 s2, ttmp6, 0x40010
	s_and_b32 s4, ttmp7, 0xffff
	s_add_co_i32 s5, s2, 1
	s_clause 0x1
	s_load_b32 s6, s[0:1], 0x30
	s_load_b64 s[2:3], s[0:1], 0x40
	s_bfe_u32 s8, ttmp6, 0x4000c
	s_mul_i32 s5, s4, s5
	s_bfe_u32 s7, ttmp6, 0x40004
	s_add_co_i32 s8, s8, 1
	s_bfe_u32 s9, ttmp6, 0x40014
	s_add_co_i32 s7, s7, s5
	s_and_b32 s5, ttmp6, 15
	s_mul_i32 s8, ttmp9, s8
	s_lshr_b32 s10, ttmp7, 16
	s_add_co_i32 s9, s9, 1
	s_add_co_i32 s5, s5, s8
	s_mul_i32 s8, s10, s9
	s_bfe_u32 s9, ttmp6, 0x40008
	s_getreg_b32 s11, hwreg(HW_REG_IB_STS2, 6, 4)
	s_add_co_i32 s9, s9, s8
	s_cmp_eq_u32 s11, 0
	s_cselect_b32 s8, s10, s9
	s_cselect_b32 s4, s4, s7
	s_wait_kmcnt 0x0
	s_mul_i32 s8, s3, s8
	s_cselect_b32 s3, ttmp9, s5
	s_add_co_i32 s4, s8, s4
	s_mov_b32 s5, 0
	s_mul_i32 s4, s4, s2
	s_delay_alu instid0(SALU_CYCLE_1) | instskip(NEXT) | instid1(SALU_CYCLE_1)
	s_add_co_i32 s4, s4, s3
	s_cmp_ge_u32 s4, s6
	s_cbranch_scc1 .LBB161_49
; %bb.1:
	v_mov_b32_e32 v1, 0
	s_add_nc_u64 s[6:7], s[0:1], 64
	global_load_b32 v2, v1, s[6:7] offset:14
	s_clause 0x2
	s_load_b64 s[8:9], s[0:1], 0x28
	s_load_b64 s[10:11], s[0:1], 0x38
	;; [unrolled: 1-line block ×3, first 2 shown]
	s_wait_kmcnt 0x0
	s_lshr_b32 s20, s8, 10
	s_delay_alu instid0(SALU_CYCLE_1) | instskip(SKIP_2) | instid1(SALU_CYCLE_1)
	s_cmp_lg_u32 s4, s20
	s_cselect_b32 s14, -1, 0
	s_lshl_b64 s[16:17], s[4:5], 2
	s_add_nc_u64 s[10:11], s[10:11], s[16:17]
	s_load_b64 s[16:17], s[10:11], 0x0
	s_wait_xcnt 0x0
	s_lshr_b32 s10, s9, 9
	s_delay_alu instid0(SALU_CYCLE_1) | instskip(NEXT) | instid1(SALU_CYCLE_1)
	s_and_b32 s10, s10, 0x7ffffe
	s_sub_co_i32 s11, 0, s10
	s_lshl_b32 s10, s4, 10
	s_and_b32 s15, s4, s11
	s_or_b32 s11, s4, s11
	s_lshl_b32 s18, s15, 11
	s_lshl_b32 s15, s15, 10
	s_add_co_i32 s18, s18, s9
	s_sub_co_i32 s19, s10, s15
	s_sub_co_i32 s15, s18, s15
	s_add_co_i32 s18, s18, s19
	s_min_u32 s19, s8, s15
	s_add_co_i32 s15, s15, s9
	s_wait_kmcnt 0x0
	s_sub_co_i32 s9, s18, s16
	s_sub_co_i32 s21, s18, s17
	s_min_u32 s18, s8, s9
	s_addk_co_i32 s21, 0x400
	s_cmp_eq_u32 s11, -1
	s_cselect_b32 s9, s15, s21
	s_cselect_b32 s11, s19, s17
	s_min_u32 s15, s9, s8
	s_sub_co_i32 s9, s11, s16
	s_sub_co_i32 s15, s15, s18
	s_cmp_lt_u32 s3, s2
	s_mov_b32 s3, s5
	s_cselect_b32 s2, 12, 18
	s_mov_b32 s17, s5
	s_add_nc_u64 s[2:3], s[6:7], s[2:3]
	s_mov_b32 s19, s5
	s_load_u16 s2, s[2:3], 0x0
	s_add_nc_u64 s[6:7], s[12:13], s[16:17]
	s_cmp_eq_u32 s4, s20
	s_add_nc_u64 s[12:13], s[12:13], s[18:19]
	s_wait_loadcnt 0x0
	v_lshrrev_b32_e32 v3, 16, v2
	v_and_b32_e32 v2, 0xffff, v2
	s_delay_alu instid0(VALU_DEP_1) | instskip(SKIP_1) | instid1(VALU_DEP_1)
	v_mul_lo_u32 v2, v2, v3
	s_wait_kmcnt 0x0
	v_mul_lo_u32 v8, v2, s2
	s_mov_b32 s2, -1
	s_delay_alu instid0(VALU_DEP_1) | instskip(NEXT) | instid1(VALU_DEP_1)
	v_add_nc_u32_e32 v6, v8, v0
	v_add_nc_u32_e32 v4, v6, v8
	s_cbranch_scc1 .LBB161_3
; %bb.2:
	v_sub_co_u32 v10, vcc_lo, v0, s9
	v_dual_mov_b32 v11, v1 :: v_dual_mov_b32 v7, v1
	v_add_nc_u64_e32 v[2:3], s[6:7], v[0:1]
	v_sub_co_u32 v14, s2, v6, s9
	s_delay_alu instid0(VALU_DEP_3) | instskip(SKIP_3) | instid1(VALU_DEP_3)
	v_add_nc_u64_e32 v[10:11], s[12:13], v[10:11]
	v_dual_mov_b32 v15, v1 :: v_dual_mov_b32 v5, v1
	v_add_nc_u64_e32 v[12:13], s[6:7], v[6:7]
	v_dual_mov_b32 v17, v1 :: v_dual_add_nc_u32 v18, v4, v8
	v_add_nc_u64_e32 v[14:15], s[12:13], v[14:15]
	v_dual_cndmask_b32 v3, v11, v3 :: v_dual_cndmask_b32 v2, v10, v2
	v_sub_co_u32 v16, vcc_lo, v4, s9
	v_add_nc_u64_e32 v[10:11], s[6:7], v[4:5]
	s_delay_alu instid0(VALU_DEP_4) | instskip(SKIP_1) | instid1(VALU_DEP_4)
	v_dual_mov_b32 v19, v1 :: v_dual_cndmask_b32 v13, v15, v13, s2
	v_dual_cndmask_b32 v12, v14, v12, s2 :: v_dual_mov_b32 v25, v1
	v_add_nc_u64_e32 v[14:15], s[12:13], v[16:17]
	v_add_nc_u32_e32 v16, v18, v8
	s_delay_alu instid0(VALU_DEP_4)
	v_add_nc_u64_e32 v[20:21], s[6:7], v[18:19]
	v_sub_co_u32 v18, s2, v18, s9
	s_add_co_i32 s11, s15, s9
	v_dual_mov_b32 v27, v1 :: v_dual_cndmask_b32 v11, v15, v11, vcc_lo
	v_add_nc_u64_e32 v[22:23], s[6:7], v[16:17]
	v_sub_co_u32 v24, s3, v16, s9
	v_dual_add_nc_u32 v16, v16, v8 :: v_dual_cndmask_b32 v10, v14, v10, vcc_lo
	v_mov_b32_e32 v29, v1
	v_add_nc_u64_e32 v[14:15], s[12:13], v[18:19]
	s_delay_alu instid0(VALU_DEP_4) | instskip(NEXT) | instid1(VALU_DEP_4)
	v_add_nc_u64_e32 v[18:19], s[12:13], v[24:25]
	v_add_nc_u32_e32 v26, v16, v8
	v_add_nc_u64_e32 v[24:25], s[6:7], v[16:17]
	v_sub_co_u32 v16, vcc_lo, v16, s9
	s_delay_alu instid0(VALU_DEP_3) | instskip(SKIP_2) | instid1(VALU_DEP_4)
	v_add_nc_u32_e32 v28, v26, v8
	v_add_nc_u64_e32 v[30:31], s[6:7], v[26:27]
	v_sub_co_u32 v26, s4, v26, s9
	v_add_nc_u64_e32 v[16:17], s[12:13], v[16:17]
	s_delay_alu instid0(VALU_DEP_4) | instskip(SKIP_3) | instid1(VALU_DEP_3)
	v_add_nc_u64_e32 v[32:33], s[6:7], v[28:29]
	v_sub_co_u32 v28, s5, v28, s9
	v_dual_cndmask_b32 v15, v15, v21, s2 :: v_dual_cndmask_b32 v14, v14, v20, s2
	v_add_nc_u64_e32 v[26:27], s[12:13], v[26:27]
	v_add_nc_u64_e32 v[20:21], s[12:13], v[28:29]
	v_dual_cndmask_b32 v19, v19, v23, s3 :: v_dual_cndmask_b32 v18, v18, v22, s3
	v_dual_cndmask_b32 v17, v17, v25 :: v_dual_cndmask_b32 v16, v16, v24
	s_delay_alu instid0(VALU_DEP_4) | instskip(NEXT) | instid1(VALU_DEP_4)
	v_dual_cndmask_b32 v23, v27, v31, s4 :: v_dual_cndmask_b32 v22, v26, v30, s4
	v_dual_cndmask_b32 v21, v21, v33, s5 :: v_dual_cndmask_b32 v20, v20, v32, s5
	global_load_u8 v1, v[2:3], off
	global_load_u8 v5, v[12:13], off
	;; [unrolled: 1-line block ×8, first 2 shown]
	s_wait_loadcnt 0x6
	v_perm_b32 v1, v1, v5, 0xc0c0004
	s_wait_loadcnt 0x4
	v_perm_b32 v2, v7, v9, 0xc0c0004
	;; [unrolled: 2-line block ×4, first 2 shown]
	v_lshl_or_b32 v2, v2, 16, v1
	s_delay_alu instid0(VALU_DEP_2)
	v_lshl_or_b32 v3, v5, 16, v3
	s_cbranch_execz .LBB161_4
	s_branch .LBB161_19
.LBB161_3:
                                        ; implicit-def: $vgpr2_vgpr3
                                        ; implicit-def: $sgpr11
	s_and_not1_b32 vcc_lo, exec_lo, s2
	s_cbranch_vccnz .LBB161_19
.LBB161_4:
	v_mov_b64_e32 v[2:3], 0
	s_add_co_i32 s11, s15, s9
	s_mov_b32 s2, exec_lo
	v_cmpx_gt_u32_e64 s11, v0
	s_cbranch_execnz .LBB161_50
; %bb.5:
	s_or_b32 exec_lo, exec_lo, s2
	s_delay_alu instid0(SALU_CYCLE_1)
	s_mov_b32 s2, exec_lo
	v_cmpx_gt_u32_e64 s11, v6
	s_cbranch_execnz .LBB161_51
.LBB161_6:
	s_or_b32 exec_lo, exec_lo, s2
	s_delay_alu instid0(SALU_CYCLE_1)
	s_mov_b32 s2, exec_lo
	v_cmpx_gt_u32_e64 s11, v4
	s_cbranch_execz .LBB161_8
.LBB161_7:
	v_sub_co_u32 v10, vcc_lo, v4, s9
	v_mov_b32_e32 v5, 0
	s_delay_alu instid0(VALU_DEP_1) | instskip(SKIP_1) | instid1(VALU_DEP_1)
	v_add_nc_u64_e32 v[6:7], s[6:7], v[4:5]
	v_mov_b32_e32 v11, v5
	v_add_nc_u64_e32 v[10:11], s[12:13], v[10:11]
	s_delay_alu instid0(VALU_DEP_1) | instskip(SKIP_3) | instid1(VALU_DEP_1)
	v_dual_cndmask_b32 v7, v11, v7 :: v_dual_cndmask_b32 v6, v10, v6
	global_load_u8 v1, v[6:7], off
	s_wait_loadcnt 0x0
	v_perm_b32 v1, v1, v2, 0xc0c0304
	v_lshlrev_b32_e32 v1, 16, v1
	s_delay_alu instid0(VALU_DEP_1)
	v_and_or_b32 v2, 0xffff, v2, v1
.LBB161_8:
	s_or_b32 exec_lo, exec_lo, s2
	v_add_nc_u32_e32 v4, v4, v8
	s_mov_b32 s2, exec_lo
	s_delay_alu instid0(VALU_DEP_1)
	v_cmpx_gt_u32_e64 s11, v4
	s_cbranch_execz .LBB161_10
; %bb.9:
	v_sub_co_u32 v10, vcc_lo, v4, s9
	v_mov_b32_e32 v5, 0
	s_delay_alu instid0(VALU_DEP_1) | instskip(SKIP_1) | instid1(VALU_DEP_1)
	v_add_nc_u64_e32 v[6:7], s[6:7], v[4:5]
	v_mov_b32_e32 v11, v5
	v_add_nc_u64_e32 v[10:11], s[12:13], v[10:11]
	s_delay_alu instid0(VALU_DEP_1) | instskip(SKIP_3) | instid1(VALU_DEP_1)
	v_dual_cndmask_b32 v7, v11, v7 :: v_dual_cndmask_b32 v6, v10, v6
	global_load_u8 v1, v[6:7], off
	s_wait_loadcnt 0x0
	v_perm_b32 v1, v2, v1, 0xc0c0006
	v_lshlrev_b32_e32 v1, 16, v1
	s_delay_alu instid0(VALU_DEP_1)
	v_and_or_b32 v2, 0xffff, v2, v1
.LBB161_10:
	s_or_b32 exec_lo, exec_lo, s2
	v_add_nc_u32_e32 v4, v4, v8
	s_mov_b32 s2, exec_lo
	s_delay_alu instid0(VALU_DEP_1)
	v_cmpx_gt_u32_e64 s11, v4
	s_cbranch_execz .LBB161_12
; %bb.11:
	v_sub_co_u32 v10, vcc_lo, v4, s9
	v_mov_b32_e32 v5, 0
	s_delay_alu instid0(VALU_DEP_1) | instskip(SKIP_1) | instid1(VALU_DEP_1)
	v_add_nc_u64_e32 v[6:7], s[6:7], v[4:5]
	v_mov_b32_e32 v11, v5
	v_add_nc_u64_e32 v[10:11], s[12:13], v[10:11]
	s_delay_alu instid0(VALU_DEP_1)
	v_dual_cndmask_b32 v7, v11, v7 :: v_dual_cndmask_b32 v6, v10, v6
	global_load_u8 v1, v[6:7], off
	s_wait_loadcnt 0x0
	v_perm_b32 v3, v1, v3, 0x3020104
.LBB161_12:
	s_or_b32 exec_lo, exec_lo, s2
	v_add_nc_u32_e32 v4, v4, v8
	s_mov_b32 s2, exec_lo
	s_delay_alu instid0(VALU_DEP_1)
	v_cmpx_gt_u32_e64 s11, v4
	s_cbranch_execz .LBB161_14
; %bb.13:
	v_sub_co_u32 v10, vcc_lo, v4, s9
	v_mov_b32_e32 v5, 0
	s_delay_alu instid0(VALU_DEP_1) | instskip(SKIP_1) | instid1(VALU_DEP_1)
	v_add_nc_u64_e32 v[6:7], s[6:7], v[4:5]
	v_mov_b32_e32 v11, v5
	v_add_nc_u64_e32 v[10:11], s[12:13], v[10:11]
	s_delay_alu instid0(VALU_DEP_1)
	v_dual_cndmask_b32 v7, v11, v7 :: v_dual_cndmask_b32 v6, v10, v6
	global_load_u8 v1, v[6:7], off
	s_wait_loadcnt 0x0
	v_perm_b32 v3, v3, v1, 0x7060004
.LBB161_14:
	;; [unrolled: 19-line block ×3, first 2 shown]
	s_or_b32 exec_lo, exec_lo, s2
	v_add_nc_u32_e32 v4, v4, v8
	s_mov_b32 s2, exec_lo
	s_delay_alu instid0(VALU_DEP_1)
	v_cmpx_gt_u32_e64 s11, v4
	s_cbranch_execz .LBB161_18
; %bb.17:
	v_mov_b32_e32 v5, 0
	s_delay_alu instid0(VALU_DEP_1) | instskip(SKIP_1) | instid1(VALU_DEP_1)
	v_add_nc_u64_e32 v[6:7], s[6:7], v[4:5]
	v_sub_co_u32 v4, vcc_lo, v4, s9
	v_add_nc_u64_e32 v[4:5], s[12:13], v[4:5]
	s_delay_alu instid0(VALU_DEP_1)
	v_dual_cndmask_b32 v5, v5, v7 :: v_dual_cndmask_b32 v4, v4, v6
	global_load_u8 v1, v[4:5], off
	s_wait_loadcnt 0x0
	v_perm_b32 v3, v3, v1, 0x60504
.LBB161_18:
	s_or_b32 exec_lo, exec_lo, s2
.LBB161_19:
	s_load_b64 s[12:13], s[0:1], 0x10
	v_dual_lshlrev_b32 v6, 3, v0 :: v_dual_lshrrev_b32 v7, 8, v2
	s_delay_alu instid0(VALU_DEP_2) | instskip(SKIP_1) | instid1(VALU_DEP_3)
	v_lshrrev_b64 v[4:5], 24, v[2:3]
	v_dual_lshrrev_b32 v8, 16, v2 :: v_dual_lshrrev_b32 v5, 8, v3
	v_min_u32_e32 v1, s11, v6
	v_dual_lshrrev_b32 v9, 16, v3 :: v_dual_lshrrev_b32 v11, 24, v3
	s_wait_xcnt 0x0
	s_mov_b32 s0, exec_lo
	ds_store_b8 v0, v2
	ds_store_b8 v0, v7 offset:128
	ds_store_b8 v0, v8 offset:256
	;; [unrolled: 1-line block ×7, first 2 shown]
	v_sub_nc_u32_e64 v10, v1, s15 clamp
	v_min_u32_e32 v12, s9, v1
	s_wait_dscnt 0x0
	s_barrier_signal -1
	s_barrier_wait -1
	s_delay_alu instid0(VALU_DEP_1)
	v_cmpx_lt_u32_e64 v10, v12
	s_cbranch_execz .LBB161_23
; %bb.20:
	v_add_nc_u32_e32 v13, s9, v1
	s_mov_b32 s1, 0
.LBB161_21:                             ; =>This Inner Loop Header: Depth=1
	v_add_nc_u32_e32 v14, v12, v10
	s_delay_alu instid0(VALU_DEP_1) | instskip(NEXT) | instid1(VALU_DEP_1)
	v_lshrrev_b32_e32 v14, 1, v14
	v_xad_u32 v15, v14, -1, v13
	ds_load_u8 v16, v14
	ds_load_u8 v15, v15
	s_wait_dscnt 0x0
	v_cmp_gt_u16_e32 vcc_lo, v16, v15
	v_dual_cndmask_b32 v12, v12, v14 :: v_dual_add_nc_u32 v17, 1, v14
	s_delay_alu instid0(VALU_DEP_1) | instskip(NEXT) | instid1(VALU_DEP_1)
	v_cndmask_b32_e32 v10, v17, v10, vcc_lo
	v_cmp_ge_u32_e32 vcc_lo, v10, v12
	s_or_b32 s1, vcc_lo, s1
	s_delay_alu instid0(SALU_CYCLE_1)
	s_and_not1_b32 exec_lo, exec_lo, s1
	s_cbranch_execnz .LBB161_21
; %bb.22:
	s_or_b32 exec_lo, exec_lo, s1
.LBB161_23:
	s_delay_alu instid0(SALU_CYCLE_1) | instskip(SKIP_2) | instid1(VALU_DEP_2)
	s_or_b32 exec_lo, exec_lo, s0
	v_sub_nc_u32_e32 v1, v1, v10
	v_cmp_ge_u32_e32 vcc_lo, s9, v10
	v_add_nc_u32_e32 v12, s9, v1
	s_delay_alu instid0(VALU_DEP_1) | instskip(SKIP_1) | instid1(SALU_CYCLE_1)
	v_cmp_ge_u32_e64 s0, s11, v12
	s_or_b32 s0, vcc_lo, s0
	s_and_saveexec_b32 s15, s0
	s_cbranch_execz .LBB161_29
; %bb.24:
	v_cmp_gt_u32_e32 vcc_lo, s9, v10
                                        ; implicit-def: $vgpr1
	s_and_saveexec_b32 s0, vcc_lo
; %bb.25:
	ds_load_u8 v1, v10
; %bb.26:
	s_or_b32 exec_lo, exec_lo, s0
	v_cmp_le_u32_e64 s0, s11, v12
	s_mov_b32 s2, exec_lo
                                        ; implicit-def: $vgpr2
	v_cmpx_gt_u32_e64 s11, v12
; %bb.27:
	ds_load_u8 v2, v12
; %bb.28:
	s_or_b32 exec_lo, exec_lo, s2
	s_wait_dscnt 0x0
	v_and_b32_e32 v3, 0xff, v2
	v_and_b32_e32 v4, 0xff, v1
	s_delay_alu instid0(VALU_DEP_1) | instskip(SKIP_1) | instid1(SALU_CYCLE_1)
	v_cmp_le_u16_e64 s1, v4, v3
	s_and_b32 s1, vcc_lo, s1
	s_or_b32 vcc_lo, s0, s1
	v_dual_mov_b32 v3, s9 :: v_dual_cndmask_b32 v4, v12, v10
	s_delay_alu instid0(VALU_DEP_1) | instskip(NEXT) | instid1(VALU_DEP_1)
	v_dual_cndmask_b32 v5, s11, v3 :: v_dual_add_nc_u32 v4, 1, v4
	v_add_min_u32_e64 v5, v5, -1, v4
	v_cndmask_b32_e32 v8, v10, v4, vcc_lo
	v_cndmask_b32_e32 v4, v4, v12, vcc_lo
	ds_load_u8 v5, v5
	v_cmp_gt_u32_e64 s0, s9, v8
	v_cmp_le_u32_e64 s2, s11, v4
	s_wait_dscnt 0x0
	v_cndmask_b32_e32 v7, v5, v2, vcc_lo
	v_cndmask_b32_e32 v5, v1, v5, vcc_lo
	;; [unrolled: 1-line block ×3, first 2 shown]
	s_delay_alu instid0(VALU_DEP_3) | instskip(NEXT) | instid1(VALU_DEP_3)
	v_and_b32_e32 v9, 0xff, v7
	v_and_b32_e32 v10, 0xff, v5
	s_delay_alu instid0(VALU_DEP_1) | instskip(SKIP_1) | instid1(SALU_CYCLE_1)
	v_cmp_le_u16_e64 s1, v10, v9
	s_and_b32 s0, s0, s1
	s_or_b32 s0, s2, s0
	s_delay_alu instid0(SALU_CYCLE_1) | instskip(NEXT) | instid1(VALU_DEP_1)
	v_cndmask_b32_e64 v9, v4, v8, s0
	v_dual_cndmask_b32 v10, s11, v3, s0 :: v_dual_add_nc_u32 v9, 1, v9
	s_delay_alu instid0(VALU_DEP_1)
	v_add_min_u32_e64 v10, v10, -1, v9
	v_dual_cndmask_b32 v8, v8, v9, s0 :: v_dual_cndmask_b32 v4, v9, v4, s0
	ds_load_u8 v10, v10
	v_cmp_gt_u32_e64 s1, s9, v8
	v_cmp_le_u32_e64 s3, s11, v4
	s_wait_dscnt 0x0
	v_dual_cndmask_b32 v11, v10, v7, s0 :: v_dual_cndmask_b32 v10, v5, v10, s0
	v_cndmask_b32_e64 v7, v7, v5, s0
	s_delay_alu instid0(VALU_DEP_2) | instskip(NEXT) | instid1(VALU_DEP_3)
	v_and_b32_e32 v12, 0xff, v11
	v_and_b32_e32 v13, 0xff, v10
	s_delay_alu instid0(VALU_DEP_1) | instskip(SKIP_1) | instid1(SALU_CYCLE_1)
	v_cmp_le_u16_e64 s2, v13, v12
	s_and_b32 s1, s1, s2
	s_or_b32 s1, s3, s1
	s_delay_alu instid0(SALU_CYCLE_1) | instskip(NEXT) | instid1(VALU_DEP_1)
	v_cndmask_b32_e64 v9, v4, v8, s1
	v_dual_cndmask_b32 v12, s11, v3, s1 :: v_dual_add_nc_u32 v9, 1, v9
	s_delay_alu instid0(VALU_DEP_1)
	v_add_min_u32_e64 v12, v12, -1, v9
	v_dual_cndmask_b32 v8, v8, v9, s1 :: v_dual_cndmask_b32 v4, v9, v4, s1
	ds_load_u8 v12, v12
	v_cmp_gt_u32_e64 s2, s9, v8
	v_cmp_le_u32_e64 s4, s11, v4
	s_wait_dscnt 0x0
	v_dual_cndmask_b32 v13, v12, v11, s1 :: v_dual_cndmask_b32 v12, v10, v12, s1
	s_delay_alu instid0(VALU_DEP_1) | instskip(NEXT) | instid1(VALU_DEP_2)
	v_and_b32_e32 v14, 0xff, v13
	v_and_b32_e32 v15, 0xff, v12
	s_delay_alu instid0(VALU_DEP_1) | instskip(SKIP_1) | instid1(SALU_CYCLE_1)
	v_cmp_le_u16_e64 s3, v15, v14
	s_and_b32 s2, s2, s3
	s_or_b32 s2, s4, s2
	s_delay_alu instid0(SALU_CYCLE_1) | instskip(NEXT) | instid1(VALU_DEP_1)
	v_cndmask_b32_e64 v9, v4, v8, s2
	v_dual_cndmask_b32 v14, s11, v3, s2 :: v_dual_add_nc_u32 v9, 1, v9
	s_delay_alu instid0(VALU_DEP_1)
	v_add_min_u32_e64 v14, v14, -1, v9
	v_cndmask_b32_e64 v4, v9, v4, s2
	ds_load_u8 v14, v14
	v_cmp_le_u32_e64 s5, s11, v4
	s_wait_dscnt 0x0
	v_dual_cndmask_b32 v15, v14, v13, s2 :: v_dual_cndmask_b32 v14, v12, v14, s2
	v_cndmask_b32_e64 v8, v8, v9, s2
	s_delay_alu instid0(VALU_DEP_2) | instskip(NEXT) | instid1(VALU_DEP_3)
	v_and_b32_e32 v16, 0xff, v15
	v_and_b32_e32 v17, 0xff, v14
	s_delay_alu instid0(VALU_DEP_3) | instskip(NEXT) | instid1(VALU_DEP_2)
	v_cmp_gt_u32_e64 s3, s9, v8
	v_cmp_le_u16_e64 s4, v17, v16
	s_and_b32 s3, s3, s4
	s_delay_alu instid0(SALU_CYCLE_1) | instskip(NEXT) | instid1(SALU_CYCLE_1)
	s_or_b32 s3, s5, s3
	v_cndmask_b32_e64 v9, v4, v8, s3
	s_delay_alu instid0(VALU_DEP_1) | instskip(NEXT) | instid1(VALU_DEP_1)
	v_dual_cndmask_b32 v16, s11, v3, s3 :: v_dual_add_nc_u32 v9, 1, v9
	v_add_min_u32_e64 v16, v16, -1, v9
	v_cndmask_b32_e64 v4, v9, v4, s3
	ds_load_u8 v16, v16
	v_cmp_le_u32_e64 s6, s11, v4
	s_wait_dscnt 0x0
	v_dual_cndmask_b32 v17, v16, v15, s3 :: v_dual_cndmask_b32 v16, v14, v16, s3
	v_cndmask_b32_e64 v8, v8, v9, s3
	s_delay_alu instid0(VALU_DEP_2) | instskip(NEXT) | instid1(VALU_DEP_3)
	v_and_b32_e32 v18, 0xff, v17
	v_and_b32_e32 v19, 0xff, v16
	s_delay_alu instid0(VALU_DEP_3) | instskip(NEXT) | instid1(VALU_DEP_2)
	v_cmp_gt_u32_e64 s4, s9, v8
	v_cmp_le_u16_e64 s5, v19, v18
	s_and_b32 s4, s4, s5
	s_delay_alu instid0(SALU_CYCLE_1) | instskip(NEXT) | instid1(SALU_CYCLE_1)
	s_or_b32 s4, s6, s4
	v_cndmask_b32_e64 v9, v4, v8, s4
	s_delay_alu instid0(VALU_DEP_1) | instskip(NEXT) | instid1(VALU_DEP_1)
	v_dual_cndmask_b32 v18, s11, v3, s4 :: v_dual_add_nc_u32 v9, 1, v9
	v_add_min_u32_e64 v18, v18, -1, v9
	v_dual_cndmask_b32 v4, v9, v4, s4 :: v_dual_cndmask_b32 v8, v8, v9, s4
	ds_load_u8 v18, v18
	v_cmp_le_u32_e64 s7, s11, v4
	v_cmp_gt_u32_e64 s5, s9, v8
	s_wait_dscnt 0x0
	v_dual_cndmask_b32 v19, v18, v17, s4 :: v_dual_cndmask_b32 v18, v16, v18, s4
	s_delay_alu instid0(VALU_DEP_1) | instskip(NEXT) | instid1(VALU_DEP_2)
	v_and_b32_e32 v20, 0xff, v19
	v_and_b32_e32 v21, 0xff, v18
	s_delay_alu instid0(VALU_DEP_1) | instskip(SKIP_1) | instid1(SALU_CYCLE_1)
	v_cmp_le_u16_e64 s6, v21, v20
	s_and_b32 s5, s5, s6
	s_or_b32 s5, s7, s5
	s_delay_alu instid0(SALU_CYCLE_1) | instskip(NEXT) | instid1(VALU_DEP_1)
	v_cndmask_b32_e64 v9, v4, v8, s5
	v_dual_cndmask_b32 v3, s11, v3, s5 :: v_dual_add_nc_u32 v9, 1, v9
	s_delay_alu instid0(VALU_DEP_1)
	v_add_min_u32_e64 v3, v3, -1, v9
	v_dual_cndmask_b32 v5, v9, v4, s5 :: v_dual_cndmask_b32 v1, v8, v9, s5
	v_dual_cndmask_b32 v8, v11, v10, s1 :: v_dual_cndmask_b32 v4, v13, v12, s2
	ds_load_u8 v3, v3
	v_cmp_le_u32_e64 s1, s11, v5
	v_cmp_gt_u32_e32 vcc_lo, s9, v1
	v_dual_cndmask_b32 v5, v17, v16, s4 :: v_dual_cndmask_b32 v9, v19, v18, s5
	s_wait_dscnt 0x0
	v_cndmask_b32_e64 v20, v3, v19, s5
	v_cndmask_b32_e64 v21, v18, v3, s5
	s_delay_alu instid0(VALU_DEP_2) | instskip(NEXT) | instid1(VALU_DEP_2)
	v_and_b32_e32 v3, 0xff, v20
	v_and_b32_e32 v22, 0xff, v21
	s_delay_alu instid0(VALU_DEP_1) | instskip(SKIP_2) | instid1(SALU_CYCLE_1)
	v_cmp_le_u16_e64 s0, v22, v3
	v_cndmask_b32_e64 v3, v15, v14, s3
	s_and_b32 s0, vcc_lo, s0
	s_or_b32 vcc_lo, s1, s0
	v_cndmask_b32_e32 v11, v20, v21, vcc_lo
.LBB161_29:
	s_or_b32 exec_lo, exec_lo, s15
	v_dual_mov_b32 v1, 0 :: v_dual_lshrrev_b32 v10, 2, v0
	v_perm_b32 v3, v3, v5, 0xc0c0004
	s_delay_alu instid0(VALU_DEP_3) | instskip(SKIP_1) | instid1(VALU_DEP_4)
	v_perm_b32 v5, v9, v11, 0xc0c0004
	v_perm_b32 v2, v2, v7, 0xc0c0004
	v_and_b32_e32 v10, 28, v10
	v_perm_b32 v4, v8, v4, 0xc0c0004
	s_mov_b32 s11, 0
	v_lshl_or_b32 v3, v5, 16, v3
	s_wait_kmcnt 0x0
	s_add_nc_u64 s[0:1], s[12:13], s[10:11]
	v_lshl_or_b32 v2, v4, 16, v2
	v_dual_add_nc_u32 v4, 4, v0 :: v_dual_add_nc_u32 v6, v10, v6
	v_add_nc_u32_e32 v5, 8, v0
	s_barrier_signal -1
	s_barrier_wait -1
	s_barrier_signal -1
	s_barrier_wait -1
	ds_store_2addr_b32 v6, v2, v3 offset1:1
	v_add_nc_u64_e32 v[2:3], s[0:1], v[0:1]
	v_dual_add_nc_u32 v6, 12, v0 :: v_dual_add_nc_u32 v7, 16, v0
	v_dual_add_nc_u32 v8, 20, v0 :: v_dual_add_nc_u32 v9, 24, v0
	v_add_nc_u32_e32 v10, 28, v0
	s_and_b32 vcc_lo, exec_lo, s14
	s_wait_dscnt 0x0
	s_cbranch_vccz .LBB161_31
; %bb.30:
	s_barrier_signal -1
	s_barrier_wait -1
	ds_load_u8 v11, v0
	ds_load_u8 v12, v4 offset:128
	ds_load_u8 v13, v5 offset:256
	;; [unrolled: 1-line block ×7, first 2 shown]
	s_mov_b32 s11, -1
	s_wait_dscnt 0x7
	global_store_b8 v[2:3], v11, off
	s_wait_dscnt 0x6
	global_store_b8 v[2:3], v12, off offset:128
	s_wait_dscnt 0x5
	global_store_b8 v[2:3], v13, off offset:256
	;; [unrolled: 2-line block ×6, first 2 shown]
	s_cbranch_execz .LBB161_32
	s_branch .LBB161_47
.LBB161_31:
                                        ; implicit-def: $vgpr1
.LBB161_32:
	s_barrier_signal -1
	s_barrier_wait -1
	s_wait_storecnt_dscnt 0x0
	s_wait_xcnt 0x4
	ds_load_u8 v13, v4 offset:128
	ds_load_u8 v12, v5 offset:256
	;; [unrolled: 1-line block ×7, first 2 shown]
	v_or_b32_e32 v7, 0x80, v0
	s_sub_co_i32 s0, s8, s10
	s_mov_b32 s1, exec_lo
	s_wait_xcnt 0x0
	v_cmpx_gt_u32_e64 s0, v0
	s_cbranch_execz .LBB161_34
; %bb.33:
	ds_load_u8 v8, v0
	s_wait_dscnt 0x0
	global_store_b8 v[2:3], v8, off
.LBB161_34:
	s_wait_xcnt 0x0
	s_or_b32 exec_lo, exec_lo, s1
	v_or_b32_e32 v8, 0x100, v0
	s_mov_b32 s1, exec_lo
	v_cmpx_gt_u32_e64 s0, v7
	s_cbranch_execz .LBB161_36
; %bb.35:
	s_wait_dscnt 0x6
	global_store_b8 v[2:3], v13, off offset:128
.LBB161_36:
	s_wait_xcnt 0x0
	s_or_b32 exec_lo, exec_lo, s1
	v_or_b32_e32 v7, 0x180, v0
	s_mov_b32 s1, exec_lo
	v_cmpx_gt_u32_e64 s0, v8
	s_cbranch_execz .LBB161_38
; %bb.37:
	s_wait_dscnt 0x5
	global_store_b8 v[2:3], v12, off offset:256
.LBB161_38:
	;; [unrolled: 10-line block ×4, first 2 shown]
	s_wait_xcnt 0x0
	s_or_b32 exec_lo, exec_lo, s1
	s_wait_dscnt 0x3
	v_or_b32_e32 v6, 0x300, v0
	s_mov_b32 s1, exec_lo
	v_cmpx_gt_u32_e64 s0, v7
	s_cbranch_execz .LBB161_44
; %bb.43:
	s_wait_dscnt 0x2
	global_store_b8 v[2:3], v5, off offset:640
.LBB161_44:
	s_wait_xcnt 0x0
	s_or_b32 exec_lo, exec_lo, s1
	v_or_b32_e32 v0, 0x380, v0
	s_mov_b32 s1, exec_lo
	v_cmpx_gt_u32_e64 s0, v6
	s_cbranch_execz .LBB161_46
; %bb.45:
	s_wait_dscnt 0x1
	global_store_b8 v[2:3], v4, off offset:768
.LBB161_46:
	s_wait_xcnt 0x0
	s_or_b32 exec_lo, exec_lo, s1
	v_cmp_gt_u32_e64 s11, s0, v0
.LBB161_47:
	s_wait_xcnt 0x0
	s_delay_alu instid0(VALU_DEP_1)
	s_and_saveexec_b32 s0, s11
	s_cbranch_execz .LBB161_49
; %bb.48:
	s_wait_dscnt 0x0
	global_store_b8 v[2:3], v1, off offset:896
.LBB161_49:
	s_endpgm
.LBB161_50:
	v_sub_co_u32 v10, vcc_lo, v0, s9
	v_mov_b32_e32 v1, 0
	s_mov_b32 s3, 0
	s_delay_alu instid0(VALU_DEP_1) | instskip(SKIP_1) | instid1(VALU_DEP_1)
	v_add_nc_u64_e32 v[2:3], s[6:7], v[0:1]
	v_mov_b32_e32 v11, v1
	v_add_nc_u64_e32 v[10:11], s[12:13], v[10:11]
	s_delay_alu instid0(VALU_DEP_1)
	v_dual_cndmask_b32 v3, v11, v3 :: v_dual_cndmask_b32 v2, v10, v2
	global_load_u8 v1, v[2:3], off
	s_wait_xcnt 0x0
	v_mov_b32_e32 v3, s3
	s_wait_loadcnt 0x0
	v_and_b32_e32 v2, 0xffff, v1
	s_or_b32 exec_lo, exec_lo, s2
	s_delay_alu instid0(SALU_CYCLE_1)
	s_mov_b32 s2, exec_lo
	v_cmpx_gt_u32_e64 s11, v6
	s_cbranch_execz .LBB161_6
.LBB161_51:
	v_mov_b32_e32 v7, 0
	s_delay_alu instid0(VALU_DEP_1) | instskip(SKIP_1) | instid1(VALU_DEP_1)
	v_add_nc_u64_e32 v[10:11], s[6:7], v[6:7]
	v_sub_co_u32 v6, vcc_lo, v6, s9
	v_add_nc_u64_e32 v[6:7], s[12:13], v[6:7]
	s_delay_alu instid0(VALU_DEP_1) | instskip(SKIP_4) | instid1(SALU_CYCLE_1)
	v_dual_cndmask_b32 v7, v7, v11 :: v_dual_cndmask_b32 v6, v6, v10
	global_load_u8 v1, v[6:7], off
	s_wait_loadcnt 0x0
	v_perm_b32 v2, v2, v1, 0x7060004
	s_or_b32 exec_lo, exec_lo, s2
	s_mov_b32 s2, exec_lo
	v_cmpx_gt_u32_e64 s11, v4
	s_cbranch_execnz .LBB161_7
	s_branch .LBB161_8
	.section	.rodata,"a",@progbits
	.p2align	6, 0x0
	.amdhsa_kernel _ZN7rocprim17ROCPRIM_400000_NS6detail17trampoline_kernelINS0_14default_configENS1_38merge_sort_block_merge_config_selectorIhNS0_10empty_typeEEEZZNS1_27merge_sort_block_merge_implIS3_PhPS5_jNS1_19radix_merge_compareILb0ELb0EhNS0_19identity_decomposerEEEEE10hipError_tT0_T1_T2_jT3_P12ihipStream_tbPNSt15iterator_traitsISE_E10value_typeEPNSK_ISF_E10value_typeEPSG_NS1_7vsmem_tEENKUlT_SE_SF_SG_E_clIS8_S8_S9_S9_EESD_ST_SE_SF_SG_EUlST_E0_NS1_11comp_targetILNS1_3genE0ELNS1_11target_archE4294967295ELNS1_3gpuE0ELNS1_3repE0EEENS1_38merge_mergepath_config_static_selectorELNS0_4arch9wavefront6targetE0EEEvSF_
		.amdhsa_group_segment_fixed_size 1056
		.amdhsa_private_segment_fixed_size 0
		.amdhsa_kernarg_size 320
		.amdhsa_user_sgpr_count 2
		.amdhsa_user_sgpr_dispatch_ptr 0
		.amdhsa_user_sgpr_queue_ptr 0
		.amdhsa_user_sgpr_kernarg_segment_ptr 1
		.amdhsa_user_sgpr_dispatch_id 0
		.amdhsa_user_sgpr_kernarg_preload_length 0
		.amdhsa_user_sgpr_kernarg_preload_offset 0
		.amdhsa_user_sgpr_private_segment_size 0
		.amdhsa_wavefront_size32 1
		.amdhsa_uses_dynamic_stack 0
		.amdhsa_enable_private_segment 0
		.amdhsa_system_sgpr_workgroup_id_x 1
		.amdhsa_system_sgpr_workgroup_id_y 1
		.amdhsa_system_sgpr_workgroup_id_z 1
		.amdhsa_system_sgpr_workgroup_info 0
		.amdhsa_system_vgpr_workitem_id 0
		.amdhsa_next_free_vgpr 34
		.amdhsa_next_free_sgpr 22
		.amdhsa_named_barrier_count 0
		.amdhsa_reserve_vcc 1
		.amdhsa_float_round_mode_32 0
		.amdhsa_float_round_mode_16_64 0
		.amdhsa_float_denorm_mode_32 3
		.amdhsa_float_denorm_mode_16_64 3
		.amdhsa_fp16_overflow 0
		.amdhsa_memory_ordered 1
		.amdhsa_forward_progress 1
		.amdhsa_inst_pref_size 32
		.amdhsa_round_robin_scheduling 0
		.amdhsa_exception_fp_ieee_invalid_op 0
		.amdhsa_exception_fp_denorm_src 0
		.amdhsa_exception_fp_ieee_div_zero 0
		.amdhsa_exception_fp_ieee_overflow 0
		.amdhsa_exception_fp_ieee_underflow 0
		.amdhsa_exception_fp_ieee_inexact 0
		.amdhsa_exception_int_div_zero 0
	.end_amdhsa_kernel
	.section	.text._ZN7rocprim17ROCPRIM_400000_NS6detail17trampoline_kernelINS0_14default_configENS1_38merge_sort_block_merge_config_selectorIhNS0_10empty_typeEEEZZNS1_27merge_sort_block_merge_implIS3_PhPS5_jNS1_19radix_merge_compareILb0ELb0EhNS0_19identity_decomposerEEEEE10hipError_tT0_T1_T2_jT3_P12ihipStream_tbPNSt15iterator_traitsISE_E10value_typeEPNSK_ISF_E10value_typeEPSG_NS1_7vsmem_tEENKUlT_SE_SF_SG_E_clIS8_S8_S9_S9_EESD_ST_SE_SF_SG_EUlST_E0_NS1_11comp_targetILNS1_3genE0ELNS1_11target_archE4294967295ELNS1_3gpuE0ELNS1_3repE0EEENS1_38merge_mergepath_config_static_selectorELNS0_4arch9wavefront6targetE0EEEvSF_,"axG",@progbits,_ZN7rocprim17ROCPRIM_400000_NS6detail17trampoline_kernelINS0_14default_configENS1_38merge_sort_block_merge_config_selectorIhNS0_10empty_typeEEEZZNS1_27merge_sort_block_merge_implIS3_PhPS5_jNS1_19radix_merge_compareILb0ELb0EhNS0_19identity_decomposerEEEEE10hipError_tT0_T1_T2_jT3_P12ihipStream_tbPNSt15iterator_traitsISE_E10value_typeEPNSK_ISF_E10value_typeEPSG_NS1_7vsmem_tEENKUlT_SE_SF_SG_E_clIS8_S8_S9_S9_EESD_ST_SE_SF_SG_EUlST_E0_NS1_11comp_targetILNS1_3genE0ELNS1_11target_archE4294967295ELNS1_3gpuE0ELNS1_3repE0EEENS1_38merge_mergepath_config_static_selectorELNS0_4arch9wavefront6targetE0EEEvSF_,comdat
.Lfunc_end161:
	.size	_ZN7rocprim17ROCPRIM_400000_NS6detail17trampoline_kernelINS0_14default_configENS1_38merge_sort_block_merge_config_selectorIhNS0_10empty_typeEEEZZNS1_27merge_sort_block_merge_implIS3_PhPS5_jNS1_19radix_merge_compareILb0ELb0EhNS0_19identity_decomposerEEEEE10hipError_tT0_T1_T2_jT3_P12ihipStream_tbPNSt15iterator_traitsISE_E10value_typeEPNSK_ISF_E10value_typeEPSG_NS1_7vsmem_tEENKUlT_SE_SF_SG_E_clIS8_S8_S9_S9_EESD_ST_SE_SF_SG_EUlST_E0_NS1_11comp_targetILNS1_3genE0ELNS1_11target_archE4294967295ELNS1_3gpuE0ELNS1_3repE0EEENS1_38merge_mergepath_config_static_selectorELNS0_4arch9wavefront6targetE0EEEvSF_, .Lfunc_end161-_ZN7rocprim17ROCPRIM_400000_NS6detail17trampoline_kernelINS0_14default_configENS1_38merge_sort_block_merge_config_selectorIhNS0_10empty_typeEEEZZNS1_27merge_sort_block_merge_implIS3_PhPS5_jNS1_19radix_merge_compareILb0ELb0EhNS0_19identity_decomposerEEEEE10hipError_tT0_T1_T2_jT3_P12ihipStream_tbPNSt15iterator_traitsISE_E10value_typeEPNSK_ISF_E10value_typeEPSG_NS1_7vsmem_tEENKUlT_SE_SF_SG_E_clIS8_S8_S9_S9_EESD_ST_SE_SF_SG_EUlST_E0_NS1_11comp_targetILNS1_3genE0ELNS1_11target_archE4294967295ELNS1_3gpuE0ELNS1_3repE0EEENS1_38merge_mergepath_config_static_selectorELNS0_4arch9wavefront6targetE0EEEvSF_
                                        ; -- End function
	.set _ZN7rocprim17ROCPRIM_400000_NS6detail17trampoline_kernelINS0_14default_configENS1_38merge_sort_block_merge_config_selectorIhNS0_10empty_typeEEEZZNS1_27merge_sort_block_merge_implIS3_PhPS5_jNS1_19radix_merge_compareILb0ELb0EhNS0_19identity_decomposerEEEEE10hipError_tT0_T1_T2_jT3_P12ihipStream_tbPNSt15iterator_traitsISE_E10value_typeEPNSK_ISF_E10value_typeEPSG_NS1_7vsmem_tEENKUlT_SE_SF_SG_E_clIS8_S8_S9_S9_EESD_ST_SE_SF_SG_EUlST_E0_NS1_11comp_targetILNS1_3genE0ELNS1_11target_archE4294967295ELNS1_3gpuE0ELNS1_3repE0EEENS1_38merge_mergepath_config_static_selectorELNS0_4arch9wavefront6targetE0EEEvSF_.num_vgpr, 34
	.set _ZN7rocprim17ROCPRIM_400000_NS6detail17trampoline_kernelINS0_14default_configENS1_38merge_sort_block_merge_config_selectorIhNS0_10empty_typeEEEZZNS1_27merge_sort_block_merge_implIS3_PhPS5_jNS1_19radix_merge_compareILb0ELb0EhNS0_19identity_decomposerEEEEE10hipError_tT0_T1_T2_jT3_P12ihipStream_tbPNSt15iterator_traitsISE_E10value_typeEPNSK_ISF_E10value_typeEPSG_NS1_7vsmem_tEENKUlT_SE_SF_SG_E_clIS8_S8_S9_S9_EESD_ST_SE_SF_SG_EUlST_E0_NS1_11comp_targetILNS1_3genE0ELNS1_11target_archE4294967295ELNS1_3gpuE0ELNS1_3repE0EEENS1_38merge_mergepath_config_static_selectorELNS0_4arch9wavefront6targetE0EEEvSF_.num_agpr, 0
	.set _ZN7rocprim17ROCPRIM_400000_NS6detail17trampoline_kernelINS0_14default_configENS1_38merge_sort_block_merge_config_selectorIhNS0_10empty_typeEEEZZNS1_27merge_sort_block_merge_implIS3_PhPS5_jNS1_19radix_merge_compareILb0ELb0EhNS0_19identity_decomposerEEEEE10hipError_tT0_T1_T2_jT3_P12ihipStream_tbPNSt15iterator_traitsISE_E10value_typeEPNSK_ISF_E10value_typeEPSG_NS1_7vsmem_tEENKUlT_SE_SF_SG_E_clIS8_S8_S9_S9_EESD_ST_SE_SF_SG_EUlST_E0_NS1_11comp_targetILNS1_3genE0ELNS1_11target_archE4294967295ELNS1_3gpuE0ELNS1_3repE0EEENS1_38merge_mergepath_config_static_selectorELNS0_4arch9wavefront6targetE0EEEvSF_.numbered_sgpr, 22
	.set _ZN7rocprim17ROCPRIM_400000_NS6detail17trampoline_kernelINS0_14default_configENS1_38merge_sort_block_merge_config_selectorIhNS0_10empty_typeEEEZZNS1_27merge_sort_block_merge_implIS3_PhPS5_jNS1_19radix_merge_compareILb0ELb0EhNS0_19identity_decomposerEEEEE10hipError_tT0_T1_T2_jT3_P12ihipStream_tbPNSt15iterator_traitsISE_E10value_typeEPNSK_ISF_E10value_typeEPSG_NS1_7vsmem_tEENKUlT_SE_SF_SG_E_clIS8_S8_S9_S9_EESD_ST_SE_SF_SG_EUlST_E0_NS1_11comp_targetILNS1_3genE0ELNS1_11target_archE4294967295ELNS1_3gpuE0ELNS1_3repE0EEENS1_38merge_mergepath_config_static_selectorELNS0_4arch9wavefront6targetE0EEEvSF_.num_named_barrier, 0
	.set _ZN7rocprim17ROCPRIM_400000_NS6detail17trampoline_kernelINS0_14default_configENS1_38merge_sort_block_merge_config_selectorIhNS0_10empty_typeEEEZZNS1_27merge_sort_block_merge_implIS3_PhPS5_jNS1_19radix_merge_compareILb0ELb0EhNS0_19identity_decomposerEEEEE10hipError_tT0_T1_T2_jT3_P12ihipStream_tbPNSt15iterator_traitsISE_E10value_typeEPNSK_ISF_E10value_typeEPSG_NS1_7vsmem_tEENKUlT_SE_SF_SG_E_clIS8_S8_S9_S9_EESD_ST_SE_SF_SG_EUlST_E0_NS1_11comp_targetILNS1_3genE0ELNS1_11target_archE4294967295ELNS1_3gpuE0ELNS1_3repE0EEENS1_38merge_mergepath_config_static_selectorELNS0_4arch9wavefront6targetE0EEEvSF_.private_seg_size, 0
	.set _ZN7rocprim17ROCPRIM_400000_NS6detail17trampoline_kernelINS0_14default_configENS1_38merge_sort_block_merge_config_selectorIhNS0_10empty_typeEEEZZNS1_27merge_sort_block_merge_implIS3_PhPS5_jNS1_19radix_merge_compareILb0ELb0EhNS0_19identity_decomposerEEEEE10hipError_tT0_T1_T2_jT3_P12ihipStream_tbPNSt15iterator_traitsISE_E10value_typeEPNSK_ISF_E10value_typeEPSG_NS1_7vsmem_tEENKUlT_SE_SF_SG_E_clIS8_S8_S9_S9_EESD_ST_SE_SF_SG_EUlST_E0_NS1_11comp_targetILNS1_3genE0ELNS1_11target_archE4294967295ELNS1_3gpuE0ELNS1_3repE0EEENS1_38merge_mergepath_config_static_selectorELNS0_4arch9wavefront6targetE0EEEvSF_.uses_vcc, 1
	.set _ZN7rocprim17ROCPRIM_400000_NS6detail17trampoline_kernelINS0_14default_configENS1_38merge_sort_block_merge_config_selectorIhNS0_10empty_typeEEEZZNS1_27merge_sort_block_merge_implIS3_PhPS5_jNS1_19radix_merge_compareILb0ELb0EhNS0_19identity_decomposerEEEEE10hipError_tT0_T1_T2_jT3_P12ihipStream_tbPNSt15iterator_traitsISE_E10value_typeEPNSK_ISF_E10value_typeEPSG_NS1_7vsmem_tEENKUlT_SE_SF_SG_E_clIS8_S8_S9_S9_EESD_ST_SE_SF_SG_EUlST_E0_NS1_11comp_targetILNS1_3genE0ELNS1_11target_archE4294967295ELNS1_3gpuE0ELNS1_3repE0EEENS1_38merge_mergepath_config_static_selectorELNS0_4arch9wavefront6targetE0EEEvSF_.uses_flat_scratch, 0
	.set _ZN7rocprim17ROCPRIM_400000_NS6detail17trampoline_kernelINS0_14default_configENS1_38merge_sort_block_merge_config_selectorIhNS0_10empty_typeEEEZZNS1_27merge_sort_block_merge_implIS3_PhPS5_jNS1_19radix_merge_compareILb0ELb0EhNS0_19identity_decomposerEEEEE10hipError_tT0_T1_T2_jT3_P12ihipStream_tbPNSt15iterator_traitsISE_E10value_typeEPNSK_ISF_E10value_typeEPSG_NS1_7vsmem_tEENKUlT_SE_SF_SG_E_clIS8_S8_S9_S9_EESD_ST_SE_SF_SG_EUlST_E0_NS1_11comp_targetILNS1_3genE0ELNS1_11target_archE4294967295ELNS1_3gpuE0ELNS1_3repE0EEENS1_38merge_mergepath_config_static_selectorELNS0_4arch9wavefront6targetE0EEEvSF_.has_dyn_sized_stack, 0
	.set _ZN7rocprim17ROCPRIM_400000_NS6detail17trampoline_kernelINS0_14default_configENS1_38merge_sort_block_merge_config_selectorIhNS0_10empty_typeEEEZZNS1_27merge_sort_block_merge_implIS3_PhPS5_jNS1_19radix_merge_compareILb0ELb0EhNS0_19identity_decomposerEEEEE10hipError_tT0_T1_T2_jT3_P12ihipStream_tbPNSt15iterator_traitsISE_E10value_typeEPNSK_ISF_E10value_typeEPSG_NS1_7vsmem_tEENKUlT_SE_SF_SG_E_clIS8_S8_S9_S9_EESD_ST_SE_SF_SG_EUlST_E0_NS1_11comp_targetILNS1_3genE0ELNS1_11target_archE4294967295ELNS1_3gpuE0ELNS1_3repE0EEENS1_38merge_mergepath_config_static_selectorELNS0_4arch9wavefront6targetE0EEEvSF_.has_recursion, 0
	.set _ZN7rocprim17ROCPRIM_400000_NS6detail17trampoline_kernelINS0_14default_configENS1_38merge_sort_block_merge_config_selectorIhNS0_10empty_typeEEEZZNS1_27merge_sort_block_merge_implIS3_PhPS5_jNS1_19radix_merge_compareILb0ELb0EhNS0_19identity_decomposerEEEEE10hipError_tT0_T1_T2_jT3_P12ihipStream_tbPNSt15iterator_traitsISE_E10value_typeEPNSK_ISF_E10value_typeEPSG_NS1_7vsmem_tEENKUlT_SE_SF_SG_E_clIS8_S8_S9_S9_EESD_ST_SE_SF_SG_EUlST_E0_NS1_11comp_targetILNS1_3genE0ELNS1_11target_archE4294967295ELNS1_3gpuE0ELNS1_3repE0EEENS1_38merge_mergepath_config_static_selectorELNS0_4arch9wavefront6targetE0EEEvSF_.has_indirect_call, 0
	.section	.AMDGPU.csdata,"",@progbits
; Kernel info:
; codeLenInByte = 4016
; TotalNumSgprs: 24
; NumVgprs: 34
; ScratchSize: 0
; MemoryBound: 0
; FloatMode: 240
; IeeeMode: 1
; LDSByteSize: 1056 bytes/workgroup (compile time only)
; SGPRBlocks: 0
; VGPRBlocks: 2
; NumSGPRsForWavesPerEU: 24
; NumVGPRsForWavesPerEU: 34
; NamedBarCnt: 0
; Occupancy: 16
; WaveLimiterHint : 1
; COMPUTE_PGM_RSRC2:SCRATCH_EN: 0
; COMPUTE_PGM_RSRC2:USER_SGPR: 2
; COMPUTE_PGM_RSRC2:TRAP_HANDLER: 0
; COMPUTE_PGM_RSRC2:TGID_X_EN: 1
; COMPUTE_PGM_RSRC2:TGID_Y_EN: 1
; COMPUTE_PGM_RSRC2:TGID_Z_EN: 1
; COMPUTE_PGM_RSRC2:TIDIG_COMP_CNT: 0
	.section	.text._ZN7rocprim17ROCPRIM_400000_NS6detail17trampoline_kernelINS0_14default_configENS1_38merge_sort_block_merge_config_selectorIhNS0_10empty_typeEEEZZNS1_27merge_sort_block_merge_implIS3_PhPS5_jNS1_19radix_merge_compareILb0ELb0EhNS0_19identity_decomposerEEEEE10hipError_tT0_T1_T2_jT3_P12ihipStream_tbPNSt15iterator_traitsISE_E10value_typeEPNSK_ISF_E10value_typeEPSG_NS1_7vsmem_tEENKUlT_SE_SF_SG_E_clIS8_S8_S9_S9_EESD_ST_SE_SF_SG_EUlST_E0_NS1_11comp_targetILNS1_3genE10ELNS1_11target_archE1201ELNS1_3gpuE5ELNS1_3repE0EEENS1_38merge_mergepath_config_static_selectorELNS0_4arch9wavefront6targetE0EEEvSF_,"axG",@progbits,_ZN7rocprim17ROCPRIM_400000_NS6detail17trampoline_kernelINS0_14default_configENS1_38merge_sort_block_merge_config_selectorIhNS0_10empty_typeEEEZZNS1_27merge_sort_block_merge_implIS3_PhPS5_jNS1_19radix_merge_compareILb0ELb0EhNS0_19identity_decomposerEEEEE10hipError_tT0_T1_T2_jT3_P12ihipStream_tbPNSt15iterator_traitsISE_E10value_typeEPNSK_ISF_E10value_typeEPSG_NS1_7vsmem_tEENKUlT_SE_SF_SG_E_clIS8_S8_S9_S9_EESD_ST_SE_SF_SG_EUlST_E0_NS1_11comp_targetILNS1_3genE10ELNS1_11target_archE1201ELNS1_3gpuE5ELNS1_3repE0EEENS1_38merge_mergepath_config_static_selectorELNS0_4arch9wavefront6targetE0EEEvSF_,comdat
	.protected	_ZN7rocprim17ROCPRIM_400000_NS6detail17trampoline_kernelINS0_14default_configENS1_38merge_sort_block_merge_config_selectorIhNS0_10empty_typeEEEZZNS1_27merge_sort_block_merge_implIS3_PhPS5_jNS1_19radix_merge_compareILb0ELb0EhNS0_19identity_decomposerEEEEE10hipError_tT0_T1_T2_jT3_P12ihipStream_tbPNSt15iterator_traitsISE_E10value_typeEPNSK_ISF_E10value_typeEPSG_NS1_7vsmem_tEENKUlT_SE_SF_SG_E_clIS8_S8_S9_S9_EESD_ST_SE_SF_SG_EUlST_E0_NS1_11comp_targetILNS1_3genE10ELNS1_11target_archE1201ELNS1_3gpuE5ELNS1_3repE0EEENS1_38merge_mergepath_config_static_selectorELNS0_4arch9wavefront6targetE0EEEvSF_ ; -- Begin function _ZN7rocprim17ROCPRIM_400000_NS6detail17trampoline_kernelINS0_14default_configENS1_38merge_sort_block_merge_config_selectorIhNS0_10empty_typeEEEZZNS1_27merge_sort_block_merge_implIS3_PhPS5_jNS1_19radix_merge_compareILb0ELb0EhNS0_19identity_decomposerEEEEE10hipError_tT0_T1_T2_jT3_P12ihipStream_tbPNSt15iterator_traitsISE_E10value_typeEPNSK_ISF_E10value_typeEPSG_NS1_7vsmem_tEENKUlT_SE_SF_SG_E_clIS8_S8_S9_S9_EESD_ST_SE_SF_SG_EUlST_E0_NS1_11comp_targetILNS1_3genE10ELNS1_11target_archE1201ELNS1_3gpuE5ELNS1_3repE0EEENS1_38merge_mergepath_config_static_selectorELNS0_4arch9wavefront6targetE0EEEvSF_
	.globl	_ZN7rocprim17ROCPRIM_400000_NS6detail17trampoline_kernelINS0_14default_configENS1_38merge_sort_block_merge_config_selectorIhNS0_10empty_typeEEEZZNS1_27merge_sort_block_merge_implIS3_PhPS5_jNS1_19radix_merge_compareILb0ELb0EhNS0_19identity_decomposerEEEEE10hipError_tT0_T1_T2_jT3_P12ihipStream_tbPNSt15iterator_traitsISE_E10value_typeEPNSK_ISF_E10value_typeEPSG_NS1_7vsmem_tEENKUlT_SE_SF_SG_E_clIS8_S8_S9_S9_EESD_ST_SE_SF_SG_EUlST_E0_NS1_11comp_targetILNS1_3genE10ELNS1_11target_archE1201ELNS1_3gpuE5ELNS1_3repE0EEENS1_38merge_mergepath_config_static_selectorELNS0_4arch9wavefront6targetE0EEEvSF_
	.p2align	8
	.type	_ZN7rocprim17ROCPRIM_400000_NS6detail17trampoline_kernelINS0_14default_configENS1_38merge_sort_block_merge_config_selectorIhNS0_10empty_typeEEEZZNS1_27merge_sort_block_merge_implIS3_PhPS5_jNS1_19radix_merge_compareILb0ELb0EhNS0_19identity_decomposerEEEEE10hipError_tT0_T1_T2_jT3_P12ihipStream_tbPNSt15iterator_traitsISE_E10value_typeEPNSK_ISF_E10value_typeEPSG_NS1_7vsmem_tEENKUlT_SE_SF_SG_E_clIS8_S8_S9_S9_EESD_ST_SE_SF_SG_EUlST_E0_NS1_11comp_targetILNS1_3genE10ELNS1_11target_archE1201ELNS1_3gpuE5ELNS1_3repE0EEENS1_38merge_mergepath_config_static_selectorELNS0_4arch9wavefront6targetE0EEEvSF_,@function
_ZN7rocprim17ROCPRIM_400000_NS6detail17trampoline_kernelINS0_14default_configENS1_38merge_sort_block_merge_config_selectorIhNS0_10empty_typeEEEZZNS1_27merge_sort_block_merge_implIS3_PhPS5_jNS1_19radix_merge_compareILb0ELb0EhNS0_19identity_decomposerEEEEE10hipError_tT0_T1_T2_jT3_P12ihipStream_tbPNSt15iterator_traitsISE_E10value_typeEPNSK_ISF_E10value_typeEPSG_NS1_7vsmem_tEENKUlT_SE_SF_SG_E_clIS8_S8_S9_S9_EESD_ST_SE_SF_SG_EUlST_E0_NS1_11comp_targetILNS1_3genE10ELNS1_11target_archE1201ELNS1_3gpuE5ELNS1_3repE0EEENS1_38merge_mergepath_config_static_selectorELNS0_4arch9wavefront6targetE0EEEvSF_: ; @_ZN7rocprim17ROCPRIM_400000_NS6detail17trampoline_kernelINS0_14default_configENS1_38merge_sort_block_merge_config_selectorIhNS0_10empty_typeEEEZZNS1_27merge_sort_block_merge_implIS3_PhPS5_jNS1_19radix_merge_compareILb0ELb0EhNS0_19identity_decomposerEEEEE10hipError_tT0_T1_T2_jT3_P12ihipStream_tbPNSt15iterator_traitsISE_E10value_typeEPNSK_ISF_E10value_typeEPSG_NS1_7vsmem_tEENKUlT_SE_SF_SG_E_clIS8_S8_S9_S9_EESD_ST_SE_SF_SG_EUlST_E0_NS1_11comp_targetILNS1_3genE10ELNS1_11target_archE1201ELNS1_3gpuE5ELNS1_3repE0EEENS1_38merge_mergepath_config_static_selectorELNS0_4arch9wavefront6targetE0EEEvSF_
; %bb.0:
	.section	.rodata,"a",@progbits
	.p2align	6, 0x0
	.amdhsa_kernel _ZN7rocprim17ROCPRIM_400000_NS6detail17trampoline_kernelINS0_14default_configENS1_38merge_sort_block_merge_config_selectorIhNS0_10empty_typeEEEZZNS1_27merge_sort_block_merge_implIS3_PhPS5_jNS1_19radix_merge_compareILb0ELb0EhNS0_19identity_decomposerEEEEE10hipError_tT0_T1_T2_jT3_P12ihipStream_tbPNSt15iterator_traitsISE_E10value_typeEPNSK_ISF_E10value_typeEPSG_NS1_7vsmem_tEENKUlT_SE_SF_SG_E_clIS8_S8_S9_S9_EESD_ST_SE_SF_SG_EUlST_E0_NS1_11comp_targetILNS1_3genE10ELNS1_11target_archE1201ELNS1_3gpuE5ELNS1_3repE0EEENS1_38merge_mergepath_config_static_selectorELNS0_4arch9wavefront6targetE0EEEvSF_
		.amdhsa_group_segment_fixed_size 0
		.amdhsa_private_segment_fixed_size 0
		.amdhsa_kernarg_size 64
		.amdhsa_user_sgpr_count 2
		.amdhsa_user_sgpr_dispatch_ptr 0
		.amdhsa_user_sgpr_queue_ptr 0
		.amdhsa_user_sgpr_kernarg_segment_ptr 1
		.amdhsa_user_sgpr_dispatch_id 0
		.amdhsa_user_sgpr_kernarg_preload_length 0
		.amdhsa_user_sgpr_kernarg_preload_offset 0
		.amdhsa_user_sgpr_private_segment_size 0
		.amdhsa_wavefront_size32 1
		.amdhsa_uses_dynamic_stack 0
		.amdhsa_enable_private_segment 0
		.amdhsa_system_sgpr_workgroup_id_x 1
		.amdhsa_system_sgpr_workgroup_id_y 0
		.amdhsa_system_sgpr_workgroup_id_z 0
		.amdhsa_system_sgpr_workgroup_info 0
		.amdhsa_system_vgpr_workitem_id 0
		.amdhsa_next_free_vgpr 1
		.amdhsa_next_free_sgpr 1
		.amdhsa_named_barrier_count 0
		.amdhsa_reserve_vcc 0
		.amdhsa_float_round_mode_32 0
		.amdhsa_float_round_mode_16_64 0
		.amdhsa_float_denorm_mode_32 3
		.amdhsa_float_denorm_mode_16_64 3
		.amdhsa_fp16_overflow 0
		.amdhsa_memory_ordered 1
		.amdhsa_forward_progress 1
		.amdhsa_inst_pref_size 0
		.amdhsa_round_robin_scheduling 0
		.amdhsa_exception_fp_ieee_invalid_op 0
		.amdhsa_exception_fp_denorm_src 0
		.amdhsa_exception_fp_ieee_div_zero 0
		.amdhsa_exception_fp_ieee_overflow 0
		.amdhsa_exception_fp_ieee_underflow 0
		.amdhsa_exception_fp_ieee_inexact 0
		.amdhsa_exception_int_div_zero 0
	.end_amdhsa_kernel
	.section	.text._ZN7rocprim17ROCPRIM_400000_NS6detail17trampoline_kernelINS0_14default_configENS1_38merge_sort_block_merge_config_selectorIhNS0_10empty_typeEEEZZNS1_27merge_sort_block_merge_implIS3_PhPS5_jNS1_19radix_merge_compareILb0ELb0EhNS0_19identity_decomposerEEEEE10hipError_tT0_T1_T2_jT3_P12ihipStream_tbPNSt15iterator_traitsISE_E10value_typeEPNSK_ISF_E10value_typeEPSG_NS1_7vsmem_tEENKUlT_SE_SF_SG_E_clIS8_S8_S9_S9_EESD_ST_SE_SF_SG_EUlST_E0_NS1_11comp_targetILNS1_3genE10ELNS1_11target_archE1201ELNS1_3gpuE5ELNS1_3repE0EEENS1_38merge_mergepath_config_static_selectorELNS0_4arch9wavefront6targetE0EEEvSF_,"axG",@progbits,_ZN7rocprim17ROCPRIM_400000_NS6detail17trampoline_kernelINS0_14default_configENS1_38merge_sort_block_merge_config_selectorIhNS0_10empty_typeEEEZZNS1_27merge_sort_block_merge_implIS3_PhPS5_jNS1_19radix_merge_compareILb0ELb0EhNS0_19identity_decomposerEEEEE10hipError_tT0_T1_T2_jT3_P12ihipStream_tbPNSt15iterator_traitsISE_E10value_typeEPNSK_ISF_E10value_typeEPSG_NS1_7vsmem_tEENKUlT_SE_SF_SG_E_clIS8_S8_S9_S9_EESD_ST_SE_SF_SG_EUlST_E0_NS1_11comp_targetILNS1_3genE10ELNS1_11target_archE1201ELNS1_3gpuE5ELNS1_3repE0EEENS1_38merge_mergepath_config_static_selectorELNS0_4arch9wavefront6targetE0EEEvSF_,comdat
.Lfunc_end162:
	.size	_ZN7rocprim17ROCPRIM_400000_NS6detail17trampoline_kernelINS0_14default_configENS1_38merge_sort_block_merge_config_selectorIhNS0_10empty_typeEEEZZNS1_27merge_sort_block_merge_implIS3_PhPS5_jNS1_19radix_merge_compareILb0ELb0EhNS0_19identity_decomposerEEEEE10hipError_tT0_T1_T2_jT3_P12ihipStream_tbPNSt15iterator_traitsISE_E10value_typeEPNSK_ISF_E10value_typeEPSG_NS1_7vsmem_tEENKUlT_SE_SF_SG_E_clIS8_S8_S9_S9_EESD_ST_SE_SF_SG_EUlST_E0_NS1_11comp_targetILNS1_3genE10ELNS1_11target_archE1201ELNS1_3gpuE5ELNS1_3repE0EEENS1_38merge_mergepath_config_static_selectorELNS0_4arch9wavefront6targetE0EEEvSF_, .Lfunc_end162-_ZN7rocprim17ROCPRIM_400000_NS6detail17trampoline_kernelINS0_14default_configENS1_38merge_sort_block_merge_config_selectorIhNS0_10empty_typeEEEZZNS1_27merge_sort_block_merge_implIS3_PhPS5_jNS1_19radix_merge_compareILb0ELb0EhNS0_19identity_decomposerEEEEE10hipError_tT0_T1_T2_jT3_P12ihipStream_tbPNSt15iterator_traitsISE_E10value_typeEPNSK_ISF_E10value_typeEPSG_NS1_7vsmem_tEENKUlT_SE_SF_SG_E_clIS8_S8_S9_S9_EESD_ST_SE_SF_SG_EUlST_E0_NS1_11comp_targetILNS1_3genE10ELNS1_11target_archE1201ELNS1_3gpuE5ELNS1_3repE0EEENS1_38merge_mergepath_config_static_selectorELNS0_4arch9wavefront6targetE0EEEvSF_
                                        ; -- End function
	.set _ZN7rocprim17ROCPRIM_400000_NS6detail17trampoline_kernelINS0_14default_configENS1_38merge_sort_block_merge_config_selectorIhNS0_10empty_typeEEEZZNS1_27merge_sort_block_merge_implIS3_PhPS5_jNS1_19radix_merge_compareILb0ELb0EhNS0_19identity_decomposerEEEEE10hipError_tT0_T1_T2_jT3_P12ihipStream_tbPNSt15iterator_traitsISE_E10value_typeEPNSK_ISF_E10value_typeEPSG_NS1_7vsmem_tEENKUlT_SE_SF_SG_E_clIS8_S8_S9_S9_EESD_ST_SE_SF_SG_EUlST_E0_NS1_11comp_targetILNS1_3genE10ELNS1_11target_archE1201ELNS1_3gpuE5ELNS1_3repE0EEENS1_38merge_mergepath_config_static_selectorELNS0_4arch9wavefront6targetE0EEEvSF_.num_vgpr, 0
	.set _ZN7rocprim17ROCPRIM_400000_NS6detail17trampoline_kernelINS0_14default_configENS1_38merge_sort_block_merge_config_selectorIhNS0_10empty_typeEEEZZNS1_27merge_sort_block_merge_implIS3_PhPS5_jNS1_19radix_merge_compareILb0ELb0EhNS0_19identity_decomposerEEEEE10hipError_tT0_T1_T2_jT3_P12ihipStream_tbPNSt15iterator_traitsISE_E10value_typeEPNSK_ISF_E10value_typeEPSG_NS1_7vsmem_tEENKUlT_SE_SF_SG_E_clIS8_S8_S9_S9_EESD_ST_SE_SF_SG_EUlST_E0_NS1_11comp_targetILNS1_3genE10ELNS1_11target_archE1201ELNS1_3gpuE5ELNS1_3repE0EEENS1_38merge_mergepath_config_static_selectorELNS0_4arch9wavefront6targetE0EEEvSF_.num_agpr, 0
	.set _ZN7rocprim17ROCPRIM_400000_NS6detail17trampoline_kernelINS0_14default_configENS1_38merge_sort_block_merge_config_selectorIhNS0_10empty_typeEEEZZNS1_27merge_sort_block_merge_implIS3_PhPS5_jNS1_19radix_merge_compareILb0ELb0EhNS0_19identity_decomposerEEEEE10hipError_tT0_T1_T2_jT3_P12ihipStream_tbPNSt15iterator_traitsISE_E10value_typeEPNSK_ISF_E10value_typeEPSG_NS1_7vsmem_tEENKUlT_SE_SF_SG_E_clIS8_S8_S9_S9_EESD_ST_SE_SF_SG_EUlST_E0_NS1_11comp_targetILNS1_3genE10ELNS1_11target_archE1201ELNS1_3gpuE5ELNS1_3repE0EEENS1_38merge_mergepath_config_static_selectorELNS0_4arch9wavefront6targetE0EEEvSF_.numbered_sgpr, 0
	.set _ZN7rocprim17ROCPRIM_400000_NS6detail17trampoline_kernelINS0_14default_configENS1_38merge_sort_block_merge_config_selectorIhNS0_10empty_typeEEEZZNS1_27merge_sort_block_merge_implIS3_PhPS5_jNS1_19radix_merge_compareILb0ELb0EhNS0_19identity_decomposerEEEEE10hipError_tT0_T1_T2_jT3_P12ihipStream_tbPNSt15iterator_traitsISE_E10value_typeEPNSK_ISF_E10value_typeEPSG_NS1_7vsmem_tEENKUlT_SE_SF_SG_E_clIS8_S8_S9_S9_EESD_ST_SE_SF_SG_EUlST_E0_NS1_11comp_targetILNS1_3genE10ELNS1_11target_archE1201ELNS1_3gpuE5ELNS1_3repE0EEENS1_38merge_mergepath_config_static_selectorELNS0_4arch9wavefront6targetE0EEEvSF_.num_named_barrier, 0
	.set _ZN7rocprim17ROCPRIM_400000_NS6detail17trampoline_kernelINS0_14default_configENS1_38merge_sort_block_merge_config_selectorIhNS0_10empty_typeEEEZZNS1_27merge_sort_block_merge_implIS3_PhPS5_jNS1_19radix_merge_compareILb0ELb0EhNS0_19identity_decomposerEEEEE10hipError_tT0_T1_T2_jT3_P12ihipStream_tbPNSt15iterator_traitsISE_E10value_typeEPNSK_ISF_E10value_typeEPSG_NS1_7vsmem_tEENKUlT_SE_SF_SG_E_clIS8_S8_S9_S9_EESD_ST_SE_SF_SG_EUlST_E0_NS1_11comp_targetILNS1_3genE10ELNS1_11target_archE1201ELNS1_3gpuE5ELNS1_3repE0EEENS1_38merge_mergepath_config_static_selectorELNS0_4arch9wavefront6targetE0EEEvSF_.private_seg_size, 0
	.set _ZN7rocprim17ROCPRIM_400000_NS6detail17trampoline_kernelINS0_14default_configENS1_38merge_sort_block_merge_config_selectorIhNS0_10empty_typeEEEZZNS1_27merge_sort_block_merge_implIS3_PhPS5_jNS1_19radix_merge_compareILb0ELb0EhNS0_19identity_decomposerEEEEE10hipError_tT0_T1_T2_jT3_P12ihipStream_tbPNSt15iterator_traitsISE_E10value_typeEPNSK_ISF_E10value_typeEPSG_NS1_7vsmem_tEENKUlT_SE_SF_SG_E_clIS8_S8_S9_S9_EESD_ST_SE_SF_SG_EUlST_E0_NS1_11comp_targetILNS1_3genE10ELNS1_11target_archE1201ELNS1_3gpuE5ELNS1_3repE0EEENS1_38merge_mergepath_config_static_selectorELNS0_4arch9wavefront6targetE0EEEvSF_.uses_vcc, 0
	.set _ZN7rocprim17ROCPRIM_400000_NS6detail17trampoline_kernelINS0_14default_configENS1_38merge_sort_block_merge_config_selectorIhNS0_10empty_typeEEEZZNS1_27merge_sort_block_merge_implIS3_PhPS5_jNS1_19radix_merge_compareILb0ELb0EhNS0_19identity_decomposerEEEEE10hipError_tT0_T1_T2_jT3_P12ihipStream_tbPNSt15iterator_traitsISE_E10value_typeEPNSK_ISF_E10value_typeEPSG_NS1_7vsmem_tEENKUlT_SE_SF_SG_E_clIS8_S8_S9_S9_EESD_ST_SE_SF_SG_EUlST_E0_NS1_11comp_targetILNS1_3genE10ELNS1_11target_archE1201ELNS1_3gpuE5ELNS1_3repE0EEENS1_38merge_mergepath_config_static_selectorELNS0_4arch9wavefront6targetE0EEEvSF_.uses_flat_scratch, 0
	.set _ZN7rocprim17ROCPRIM_400000_NS6detail17trampoline_kernelINS0_14default_configENS1_38merge_sort_block_merge_config_selectorIhNS0_10empty_typeEEEZZNS1_27merge_sort_block_merge_implIS3_PhPS5_jNS1_19radix_merge_compareILb0ELb0EhNS0_19identity_decomposerEEEEE10hipError_tT0_T1_T2_jT3_P12ihipStream_tbPNSt15iterator_traitsISE_E10value_typeEPNSK_ISF_E10value_typeEPSG_NS1_7vsmem_tEENKUlT_SE_SF_SG_E_clIS8_S8_S9_S9_EESD_ST_SE_SF_SG_EUlST_E0_NS1_11comp_targetILNS1_3genE10ELNS1_11target_archE1201ELNS1_3gpuE5ELNS1_3repE0EEENS1_38merge_mergepath_config_static_selectorELNS0_4arch9wavefront6targetE0EEEvSF_.has_dyn_sized_stack, 0
	.set _ZN7rocprim17ROCPRIM_400000_NS6detail17trampoline_kernelINS0_14default_configENS1_38merge_sort_block_merge_config_selectorIhNS0_10empty_typeEEEZZNS1_27merge_sort_block_merge_implIS3_PhPS5_jNS1_19radix_merge_compareILb0ELb0EhNS0_19identity_decomposerEEEEE10hipError_tT0_T1_T2_jT3_P12ihipStream_tbPNSt15iterator_traitsISE_E10value_typeEPNSK_ISF_E10value_typeEPSG_NS1_7vsmem_tEENKUlT_SE_SF_SG_E_clIS8_S8_S9_S9_EESD_ST_SE_SF_SG_EUlST_E0_NS1_11comp_targetILNS1_3genE10ELNS1_11target_archE1201ELNS1_3gpuE5ELNS1_3repE0EEENS1_38merge_mergepath_config_static_selectorELNS0_4arch9wavefront6targetE0EEEvSF_.has_recursion, 0
	.set _ZN7rocprim17ROCPRIM_400000_NS6detail17trampoline_kernelINS0_14default_configENS1_38merge_sort_block_merge_config_selectorIhNS0_10empty_typeEEEZZNS1_27merge_sort_block_merge_implIS3_PhPS5_jNS1_19radix_merge_compareILb0ELb0EhNS0_19identity_decomposerEEEEE10hipError_tT0_T1_T2_jT3_P12ihipStream_tbPNSt15iterator_traitsISE_E10value_typeEPNSK_ISF_E10value_typeEPSG_NS1_7vsmem_tEENKUlT_SE_SF_SG_E_clIS8_S8_S9_S9_EESD_ST_SE_SF_SG_EUlST_E0_NS1_11comp_targetILNS1_3genE10ELNS1_11target_archE1201ELNS1_3gpuE5ELNS1_3repE0EEENS1_38merge_mergepath_config_static_selectorELNS0_4arch9wavefront6targetE0EEEvSF_.has_indirect_call, 0
	.section	.AMDGPU.csdata,"",@progbits
; Kernel info:
; codeLenInByte = 0
; TotalNumSgprs: 0
; NumVgprs: 0
; ScratchSize: 0
; MemoryBound: 0
; FloatMode: 240
; IeeeMode: 1
; LDSByteSize: 0 bytes/workgroup (compile time only)
; SGPRBlocks: 0
; VGPRBlocks: 0
; NumSGPRsForWavesPerEU: 1
; NumVGPRsForWavesPerEU: 1
; NamedBarCnt: 0
; Occupancy: 16
; WaveLimiterHint : 0
; COMPUTE_PGM_RSRC2:SCRATCH_EN: 0
; COMPUTE_PGM_RSRC2:USER_SGPR: 2
; COMPUTE_PGM_RSRC2:TRAP_HANDLER: 0
; COMPUTE_PGM_RSRC2:TGID_X_EN: 1
; COMPUTE_PGM_RSRC2:TGID_Y_EN: 0
; COMPUTE_PGM_RSRC2:TGID_Z_EN: 0
; COMPUTE_PGM_RSRC2:TIDIG_COMP_CNT: 0
	.section	.text._ZN7rocprim17ROCPRIM_400000_NS6detail17trampoline_kernelINS0_14default_configENS1_38merge_sort_block_merge_config_selectorIhNS0_10empty_typeEEEZZNS1_27merge_sort_block_merge_implIS3_PhPS5_jNS1_19radix_merge_compareILb0ELb0EhNS0_19identity_decomposerEEEEE10hipError_tT0_T1_T2_jT3_P12ihipStream_tbPNSt15iterator_traitsISE_E10value_typeEPNSK_ISF_E10value_typeEPSG_NS1_7vsmem_tEENKUlT_SE_SF_SG_E_clIS8_S8_S9_S9_EESD_ST_SE_SF_SG_EUlST_E0_NS1_11comp_targetILNS1_3genE5ELNS1_11target_archE942ELNS1_3gpuE9ELNS1_3repE0EEENS1_38merge_mergepath_config_static_selectorELNS0_4arch9wavefront6targetE0EEEvSF_,"axG",@progbits,_ZN7rocprim17ROCPRIM_400000_NS6detail17trampoline_kernelINS0_14default_configENS1_38merge_sort_block_merge_config_selectorIhNS0_10empty_typeEEEZZNS1_27merge_sort_block_merge_implIS3_PhPS5_jNS1_19radix_merge_compareILb0ELb0EhNS0_19identity_decomposerEEEEE10hipError_tT0_T1_T2_jT3_P12ihipStream_tbPNSt15iterator_traitsISE_E10value_typeEPNSK_ISF_E10value_typeEPSG_NS1_7vsmem_tEENKUlT_SE_SF_SG_E_clIS8_S8_S9_S9_EESD_ST_SE_SF_SG_EUlST_E0_NS1_11comp_targetILNS1_3genE5ELNS1_11target_archE942ELNS1_3gpuE9ELNS1_3repE0EEENS1_38merge_mergepath_config_static_selectorELNS0_4arch9wavefront6targetE0EEEvSF_,comdat
	.protected	_ZN7rocprim17ROCPRIM_400000_NS6detail17trampoline_kernelINS0_14default_configENS1_38merge_sort_block_merge_config_selectorIhNS0_10empty_typeEEEZZNS1_27merge_sort_block_merge_implIS3_PhPS5_jNS1_19radix_merge_compareILb0ELb0EhNS0_19identity_decomposerEEEEE10hipError_tT0_T1_T2_jT3_P12ihipStream_tbPNSt15iterator_traitsISE_E10value_typeEPNSK_ISF_E10value_typeEPSG_NS1_7vsmem_tEENKUlT_SE_SF_SG_E_clIS8_S8_S9_S9_EESD_ST_SE_SF_SG_EUlST_E0_NS1_11comp_targetILNS1_3genE5ELNS1_11target_archE942ELNS1_3gpuE9ELNS1_3repE0EEENS1_38merge_mergepath_config_static_selectorELNS0_4arch9wavefront6targetE0EEEvSF_ ; -- Begin function _ZN7rocprim17ROCPRIM_400000_NS6detail17trampoline_kernelINS0_14default_configENS1_38merge_sort_block_merge_config_selectorIhNS0_10empty_typeEEEZZNS1_27merge_sort_block_merge_implIS3_PhPS5_jNS1_19radix_merge_compareILb0ELb0EhNS0_19identity_decomposerEEEEE10hipError_tT0_T1_T2_jT3_P12ihipStream_tbPNSt15iterator_traitsISE_E10value_typeEPNSK_ISF_E10value_typeEPSG_NS1_7vsmem_tEENKUlT_SE_SF_SG_E_clIS8_S8_S9_S9_EESD_ST_SE_SF_SG_EUlST_E0_NS1_11comp_targetILNS1_3genE5ELNS1_11target_archE942ELNS1_3gpuE9ELNS1_3repE0EEENS1_38merge_mergepath_config_static_selectorELNS0_4arch9wavefront6targetE0EEEvSF_
	.globl	_ZN7rocprim17ROCPRIM_400000_NS6detail17trampoline_kernelINS0_14default_configENS1_38merge_sort_block_merge_config_selectorIhNS0_10empty_typeEEEZZNS1_27merge_sort_block_merge_implIS3_PhPS5_jNS1_19radix_merge_compareILb0ELb0EhNS0_19identity_decomposerEEEEE10hipError_tT0_T1_T2_jT3_P12ihipStream_tbPNSt15iterator_traitsISE_E10value_typeEPNSK_ISF_E10value_typeEPSG_NS1_7vsmem_tEENKUlT_SE_SF_SG_E_clIS8_S8_S9_S9_EESD_ST_SE_SF_SG_EUlST_E0_NS1_11comp_targetILNS1_3genE5ELNS1_11target_archE942ELNS1_3gpuE9ELNS1_3repE0EEENS1_38merge_mergepath_config_static_selectorELNS0_4arch9wavefront6targetE0EEEvSF_
	.p2align	8
	.type	_ZN7rocprim17ROCPRIM_400000_NS6detail17trampoline_kernelINS0_14default_configENS1_38merge_sort_block_merge_config_selectorIhNS0_10empty_typeEEEZZNS1_27merge_sort_block_merge_implIS3_PhPS5_jNS1_19radix_merge_compareILb0ELb0EhNS0_19identity_decomposerEEEEE10hipError_tT0_T1_T2_jT3_P12ihipStream_tbPNSt15iterator_traitsISE_E10value_typeEPNSK_ISF_E10value_typeEPSG_NS1_7vsmem_tEENKUlT_SE_SF_SG_E_clIS8_S8_S9_S9_EESD_ST_SE_SF_SG_EUlST_E0_NS1_11comp_targetILNS1_3genE5ELNS1_11target_archE942ELNS1_3gpuE9ELNS1_3repE0EEENS1_38merge_mergepath_config_static_selectorELNS0_4arch9wavefront6targetE0EEEvSF_,@function
_ZN7rocprim17ROCPRIM_400000_NS6detail17trampoline_kernelINS0_14default_configENS1_38merge_sort_block_merge_config_selectorIhNS0_10empty_typeEEEZZNS1_27merge_sort_block_merge_implIS3_PhPS5_jNS1_19radix_merge_compareILb0ELb0EhNS0_19identity_decomposerEEEEE10hipError_tT0_T1_T2_jT3_P12ihipStream_tbPNSt15iterator_traitsISE_E10value_typeEPNSK_ISF_E10value_typeEPSG_NS1_7vsmem_tEENKUlT_SE_SF_SG_E_clIS8_S8_S9_S9_EESD_ST_SE_SF_SG_EUlST_E0_NS1_11comp_targetILNS1_3genE5ELNS1_11target_archE942ELNS1_3gpuE9ELNS1_3repE0EEENS1_38merge_mergepath_config_static_selectorELNS0_4arch9wavefront6targetE0EEEvSF_: ; @_ZN7rocprim17ROCPRIM_400000_NS6detail17trampoline_kernelINS0_14default_configENS1_38merge_sort_block_merge_config_selectorIhNS0_10empty_typeEEEZZNS1_27merge_sort_block_merge_implIS3_PhPS5_jNS1_19radix_merge_compareILb0ELb0EhNS0_19identity_decomposerEEEEE10hipError_tT0_T1_T2_jT3_P12ihipStream_tbPNSt15iterator_traitsISE_E10value_typeEPNSK_ISF_E10value_typeEPSG_NS1_7vsmem_tEENKUlT_SE_SF_SG_E_clIS8_S8_S9_S9_EESD_ST_SE_SF_SG_EUlST_E0_NS1_11comp_targetILNS1_3genE5ELNS1_11target_archE942ELNS1_3gpuE9ELNS1_3repE0EEENS1_38merge_mergepath_config_static_selectorELNS0_4arch9wavefront6targetE0EEEvSF_
; %bb.0:
	.section	.rodata,"a",@progbits
	.p2align	6, 0x0
	.amdhsa_kernel _ZN7rocprim17ROCPRIM_400000_NS6detail17trampoline_kernelINS0_14default_configENS1_38merge_sort_block_merge_config_selectorIhNS0_10empty_typeEEEZZNS1_27merge_sort_block_merge_implIS3_PhPS5_jNS1_19radix_merge_compareILb0ELb0EhNS0_19identity_decomposerEEEEE10hipError_tT0_T1_T2_jT3_P12ihipStream_tbPNSt15iterator_traitsISE_E10value_typeEPNSK_ISF_E10value_typeEPSG_NS1_7vsmem_tEENKUlT_SE_SF_SG_E_clIS8_S8_S9_S9_EESD_ST_SE_SF_SG_EUlST_E0_NS1_11comp_targetILNS1_3genE5ELNS1_11target_archE942ELNS1_3gpuE9ELNS1_3repE0EEENS1_38merge_mergepath_config_static_selectorELNS0_4arch9wavefront6targetE0EEEvSF_
		.amdhsa_group_segment_fixed_size 0
		.amdhsa_private_segment_fixed_size 0
		.amdhsa_kernarg_size 64
		.amdhsa_user_sgpr_count 2
		.amdhsa_user_sgpr_dispatch_ptr 0
		.amdhsa_user_sgpr_queue_ptr 0
		.amdhsa_user_sgpr_kernarg_segment_ptr 1
		.amdhsa_user_sgpr_dispatch_id 0
		.amdhsa_user_sgpr_kernarg_preload_length 0
		.amdhsa_user_sgpr_kernarg_preload_offset 0
		.amdhsa_user_sgpr_private_segment_size 0
		.amdhsa_wavefront_size32 1
		.amdhsa_uses_dynamic_stack 0
		.amdhsa_enable_private_segment 0
		.amdhsa_system_sgpr_workgroup_id_x 1
		.amdhsa_system_sgpr_workgroup_id_y 0
		.amdhsa_system_sgpr_workgroup_id_z 0
		.amdhsa_system_sgpr_workgroup_info 0
		.amdhsa_system_vgpr_workitem_id 0
		.amdhsa_next_free_vgpr 1
		.amdhsa_next_free_sgpr 1
		.amdhsa_named_barrier_count 0
		.amdhsa_reserve_vcc 0
		.amdhsa_float_round_mode_32 0
		.amdhsa_float_round_mode_16_64 0
		.amdhsa_float_denorm_mode_32 3
		.amdhsa_float_denorm_mode_16_64 3
		.amdhsa_fp16_overflow 0
		.amdhsa_memory_ordered 1
		.amdhsa_forward_progress 1
		.amdhsa_inst_pref_size 0
		.amdhsa_round_robin_scheduling 0
		.amdhsa_exception_fp_ieee_invalid_op 0
		.amdhsa_exception_fp_denorm_src 0
		.amdhsa_exception_fp_ieee_div_zero 0
		.amdhsa_exception_fp_ieee_overflow 0
		.amdhsa_exception_fp_ieee_underflow 0
		.amdhsa_exception_fp_ieee_inexact 0
		.amdhsa_exception_int_div_zero 0
	.end_amdhsa_kernel
	.section	.text._ZN7rocprim17ROCPRIM_400000_NS6detail17trampoline_kernelINS0_14default_configENS1_38merge_sort_block_merge_config_selectorIhNS0_10empty_typeEEEZZNS1_27merge_sort_block_merge_implIS3_PhPS5_jNS1_19radix_merge_compareILb0ELb0EhNS0_19identity_decomposerEEEEE10hipError_tT0_T1_T2_jT3_P12ihipStream_tbPNSt15iterator_traitsISE_E10value_typeEPNSK_ISF_E10value_typeEPSG_NS1_7vsmem_tEENKUlT_SE_SF_SG_E_clIS8_S8_S9_S9_EESD_ST_SE_SF_SG_EUlST_E0_NS1_11comp_targetILNS1_3genE5ELNS1_11target_archE942ELNS1_3gpuE9ELNS1_3repE0EEENS1_38merge_mergepath_config_static_selectorELNS0_4arch9wavefront6targetE0EEEvSF_,"axG",@progbits,_ZN7rocprim17ROCPRIM_400000_NS6detail17trampoline_kernelINS0_14default_configENS1_38merge_sort_block_merge_config_selectorIhNS0_10empty_typeEEEZZNS1_27merge_sort_block_merge_implIS3_PhPS5_jNS1_19radix_merge_compareILb0ELb0EhNS0_19identity_decomposerEEEEE10hipError_tT0_T1_T2_jT3_P12ihipStream_tbPNSt15iterator_traitsISE_E10value_typeEPNSK_ISF_E10value_typeEPSG_NS1_7vsmem_tEENKUlT_SE_SF_SG_E_clIS8_S8_S9_S9_EESD_ST_SE_SF_SG_EUlST_E0_NS1_11comp_targetILNS1_3genE5ELNS1_11target_archE942ELNS1_3gpuE9ELNS1_3repE0EEENS1_38merge_mergepath_config_static_selectorELNS0_4arch9wavefront6targetE0EEEvSF_,comdat
.Lfunc_end163:
	.size	_ZN7rocprim17ROCPRIM_400000_NS6detail17trampoline_kernelINS0_14default_configENS1_38merge_sort_block_merge_config_selectorIhNS0_10empty_typeEEEZZNS1_27merge_sort_block_merge_implIS3_PhPS5_jNS1_19radix_merge_compareILb0ELb0EhNS0_19identity_decomposerEEEEE10hipError_tT0_T1_T2_jT3_P12ihipStream_tbPNSt15iterator_traitsISE_E10value_typeEPNSK_ISF_E10value_typeEPSG_NS1_7vsmem_tEENKUlT_SE_SF_SG_E_clIS8_S8_S9_S9_EESD_ST_SE_SF_SG_EUlST_E0_NS1_11comp_targetILNS1_3genE5ELNS1_11target_archE942ELNS1_3gpuE9ELNS1_3repE0EEENS1_38merge_mergepath_config_static_selectorELNS0_4arch9wavefront6targetE0EEEvSF_, .Lfunc_end163-_ZN7rocprim17ROCPRIM_400000_NS6detail17trampoline_kernelINS0_14default_configENS1_38merge_sort_block_merge_config_selectorIhNS0_10empty_typeEEEZZNS1_27merge_sort_block_merge_implIS3_PhPS5_jNS1_19radix_merge_compareILb0ELb0EhNS0_19identity_decomposerEEEEE10hipError_tT0_T1_T2_jT3_P12ihipStream_tbPNSt15iterator_traitsISE_E10value_typeEPNSK_ISF_E10value_typeEPSG_NS1_7vsmem_tEENKUlT_SE_SF_SG_E_clIS8_S8_S9_S9_EESD_ST_SE_SF_SG_EUlST_E0_NS1_11comp_targetILNS1_3genE5ELNS1_11target_archE942ELNS1_3gpuE9ELNS1_3repE0EEENS1_38merge_mergepath_config_static_selectorELNS0_4arch9wavefront6targetE0EEEvSF_
                                        ; -- End function
	.set _ZN7rocprim17ROCPRIM_400000_NS6detail17trampoline_kernelINS0_14default_configENS1_38merge_sort_block_merge_config_selectorIhNS0_10empty_typeEEEZZNS1_27merge_sort_block_merge_implIS3_PhPS5_jNS1_19radix_merge_compareILb0ELb0EhNS0_19identity_decomposerEEEEE10hipError_tT0_T1_T2_jT3_P12ihipStream_tbPNSt15iterator_traitsISE_E10value_typeEPNSK_ISF_E10value_typeEPSG_NS1_7vsmem_tEENKUlT_SE_SF_SG_E_clIS8_S8_S9_S9_EESD_ST_SE_SF_SG_EUlST_E0_NS1_11comp_targetILNS1_3genE5ELNS1_11target_archE942ELNS1_3gpuE9ELNS1_3repE0EEENS1_38merge_mergepath_config_static_selectorELNS0_4arch9wavefront6targetE0EEEvSF_.num_vgpr, 0
	.set _ZN7rocprim17ROCPRIM_400000_NS6detail17trampoline_kernelINS0_14default_configENS1_38merge_sort_block_merge_config_selectorIhNS0_10empty_typeEEEZZNS1_27merge_sort_block_merge_implIS3_PhPS5_jNS1_19radix_merge_compareILb0ELb0EhNS0_19identity_decomposerEEEEE10hipError_tT0_T1_T2_jT3_P12ihipStream_tbPNSt15iterator_traitsISE_E10value_typeEPNSK_ISF_E10value_typeEPSG_NS1_7vsmem_tEENKUlT_SE_SF_SG_E_clIS8_S8_S9_S9_EESD_ST_SE_SF_SG_EUlST_E0_NS1_11comp_targetILNS1_3genE5ELNS1_11target_archE942ELNS1_3gpuE9ELNS1_3repE0EEENS1_38merge_mergepath_config_static_selectorELNS0_4arch9wavefront6targetE0EEEvSF_.num_agpr, 0
	.set _ZN7rocprim17ROCPRIM_400000_NS6detail17trampoline_kernelINS0_14default_configENS1_38merge_sort_block_merge_config_selectorIhNS0_10empty_typeEEEZZNS1_27merge_sort_block_merge_implIS3_PhPS5_jNS1_19radix_merge_compareILb0ELb0EhNS0_19identity_decomposerEEEEE10hipError_tT0_T1_T2_jT3_P12ihipStream_tbPNSt15iterator_traitsISE_E10value_typeEPNSK_ISF_E10value_typeEPSG_NS1_7vsmem_tEENKUlT_SE_SF_SG_E_clIS8_S8_S9_S9_EESD_ST_SE_SF_SG_EUlST_E0_NS1_11comp_targetILNS1_3genE5ELNS1_11target_archE942ELNS1_3gpuE9ELNS1_3repE0EEENS1_38merge_mergepath_config_static_selectorELNS0_4arch9wavefront6targetE0EEEvSF_.numbered_sgpr, 0
	.set _ZN7rocprim17ROCPRIM_400000_NS6detail17trampoline_kernelINS0_14default_configENS1_38merge_sort_block_merge_config_selectorIhNS0_10empty_typeEEEZZNS1_27merge_sort_block_merge_implIS3_PhPS5_jNS1_19radix_merge_compareILb0ELb0EhNS0_19identity_decomposerEEEEE10hipError_tT0_T1_T2_jT3_P12ihipStream_tbPNSt15iterator_traitsISE_E10value_typeEPNSK_ISF_E10value_typeEPSG_NS1_7vsmem_tEENKUlT_SE_SF_SG_E_clIS8_S8_S9_S9_EESD_ST_SE_SF_SG_EUlST_E0_NS1_11comp_targetILNS1_3genE5ELNS1_11target_archE942ELNS1_3gpuE9ELNS1_3repE0EEENS1_38merge_mergepath_config_static_selectorELNS0_4arch9wavefront6targetE0EEEvSF_.num_named_barrier, 0
	.set _ZN7rocprim17ROCPRIM_400000_NS6detail17trampoline_kernelINS0_14default_configENS1_38merge_sort_block_merge_config_selectorIhNS0_10empty_typeEEEZZNS1_27merge_sort_block_merge_implIS3_PhPS5_jNS1_19radix_merge_compareILb0ELb0EhNS0_19identity_decomposerEEEEE10hipError_tT0_T1_T2_jT3_P12ihipStream_tbPNSt15iterator_traitsISE_E10value_typeEPNSK_ISF_E10value_typeEPSG_NS1_7vsmem_tEENKUlT_SE_SF_SG_E_clIS8_S8_S9_S9_EESD_ST_SE_SF_SG_EUlST_E0_NS1_11comp_targetILNS1_3genE5ELNS1_11target_archE942ELNS1_3gpuE9ELNS1_3repE0EEENS1_38merge_mergepath_config_static_selectorELNS0_4arch9wavefront6targetE0EEEvSF_.private_seg_size, 0
	.set _ZN7rocprim17ROCPRIM_400000_NS6detail17trampoline_kernelINS0_14default_configENS1_38merge_sort_block_merge_config_selectorIhNS0_10empty_typeEEEZZNS1_27merge_sort_block_merge_implIS3_PhPS5_jNS1_19radix_merge_compareILb0ELb0EhNS0_19identity_decomposerEEEEE10hipError_tT0_T1_T2_jT3_P12ihipStream_tbPNSt15iterator_traitsISE_E10value_typeEPNSK_ISF_E10value_typeEPSG_NS1_7vsmem_tEENKUlT_SE_SF_SG_E_clIS8_S8_S9_S9_EESD_ST_SE_SF_SG_EUlST_E0_NS1_11comp_targetILNS1_3genE5ELNS1_11target_archE942ELNS1_3gpuE9ELNS1_3repE0EEENS1_38merge_mergepath_config_static_selectorELNS0_4arch9wavefront6targetE0EEEvSF_.uses_vcc, 0
	.set _ZN7rocprim17ROCPRIM_400000_NS6detail17trampoline_kernelINS0_14default_configENS1_38merge_sort_block_merge_config_selectorIhNS0_10empty_typeEEEZZNS1_27merge_sort_block_merge_implIS3_PhPS5_jNS1_19radix_merge_compareILb0ELb0EhNS0_19identity_decomposerEEEEE10hipError_tT0_T1_T2_jT3_P12ihipStream_tbPNSt15iterator_traitsISE_E10value_typeEPNSK_ISF_E10value_typeEPSG_NS1_7vsmem_tEENKUlT_SE_SF_SG_E_clIS8_S8_S9_S9_EESD_ST_SE_SF_SG_EUlST_E0_NS1_11comp_targetILNS1_3genE5ELNS1_11target_archE942ELNS1_3gpuE9ELNS1_3repE0EEENS1_38merge_mergepath_config_static_selectorELNS0_4arch9wavefront6targetE0EEEvSF_.uses_flat_scratch, 0
	.set _ZN7rocprim17ROCPRIM_400000_NS6detail17trampoline_kernelINS0_14default_configENS1_38merge_sort_block_merge_config_selectorIhNS0_10empty_typeEEEZZNS1_27merge_sort_block_merge_implIS3_PhPS5_jNS1_19radix_merge_compareILb0ELb0EhNS0_19identity_decomposerEEEEE10hipError_tT0_T1_T2_jT3_P12ihipStream_tbPNSt15iterator_traitsISE_E10value_typeEPNSK_ISF_E10value_typeEPSG_NS1_7vsmem_tEENKUlT_SE_SF_SG_E_clIS8_S8_S9_S9_EESD_ST_SE_SF_SG_EUlST_E0_NS1_11comp_targetILNS1_3genE5ELNS1_11target_archE942ELNS1_3gpuE9ELNS1_3repE0EEENS1_38merge_mergepath_config_static_selectorELNS0_4arch9wavefront6targetE0EEEvSF_.has_dyn_sized_stack, 0
	.set _ZN7rocprim17ROCPRIM_400000_NS6detail17trampoline_kernelINS0_14default_configENS1_38merge_sort_block_merge_config_selectorIhNS0_10empty_typeEEEZZNS1_27merge_sort_block_merge_implIS3_PhPS5_jNS1_19radix_merge_compareILb0ELb0EhNS0_19identity_decomposerEEEEE10hipError_tT0_T1_T2_jT3_P12ihipStream_tbPNSt15iterator_traitsISE_E10value_typeEPNSK_ISF_E10value_typeEPSG_NS1_7vsmem_tEENKUlT_SE_SF_SG_E_clIS8_S8_S9_S9_EESD_ST_SE_SF_SG_EUlST_E0_NS1_11comp_targetILNS1_3genE5ELNS1_11target_archE942ELNS1_3gpuE9ELNS1_3repE0EEENS1_38merge_mergepath_config_static_selectorELNS0_4arch9wavefront6targetE0EEEvSF_.has_recursion, 0
	.set _ZN7rocprim17ROCPRIM_400000_NS6detail17trampoline_kernelINS0_14default_configENS1_38merge_sort_block_merge_config_selectorIhNS0_10empty_typeEEEZZNS1_27merge_sort_block_merge_implIS3_PhPS5_jNS1_19radix_merge_compareILb0ELb0EhNS0_19identity_decomposerEEEEE10hipError_tT0_T1_T2_jT3_P12ihipStream_tbPNSt15iterator_traitsISE_E10value_typeEPNSK_ISF_E10value_typeEPSG_NS1_7vsmem_tEENKUlT_SE_SF_SG_E_clIS8_S8_S9_S9_EESD_ST_SE_SF_SG_EUlST_E0_NS1_11comp_targetILNS1_3genE5ELNS1_11target_archE942ELNS1_3gpuE9ELNS1_3repE0EEENS1_38merge_mergepath_config_static_selectorELNS0_4arch9wavefront6targetE0EEEvSF_.has_indirect_call, 0
	.section	.AMDGPU.csdata,"",@progbits
; Kernel info:
; codeLenInByte = 0
; TotalNumSgprs: 0
; NumVgprs: 0
; ScratchSize: 0
; MemoryBound: 0
; FloatMode: 240
; IeeeMode: 1
; LDSByteSize: 0 bytes/workgroup (compile time only)
; SGPRBlocks: 0
; VGPRBlocks: 0
; NumSGPRsForWavesPerEU: 1
; NumVGPRsForWavesPerEU: 1
; NamedBarCnt: 0
; Occupancy: 16
; WaveLimiterHint : 0
; COMPUTE_PGM_RSRC2:SCRATCH_EN: 0
; COMPUTE_PGM_RSRC2:USER_SGPR: 2
; COMPUTE_PGM_RSRC2:TRAP_HANDLER: 0
; COMPUTE_PGM_RSRC2:TGID_X_EN: 1
; COMPUTE_PGM_RSRC2:TGID_Y_EN: 0
; COMPUTE_PGM_RSRC2:TGID_Z_EN: 0
; COMPUTE_PGM_RSRC2:TIDIG_COMP_CNT: 0
	.section	.text._ZN7rocprim17ROCPRIM_400000_NS6detail17trampoline_kernelINS0_14default_configENS1_38merge_sort_block_merge_config_selectorIhNS0_10empty_typeEEEZZNS1_27merge_sort_block_merge_implIS3_PhPS5_jNS1_19radix_merge_compareILb0ELb0EhNS0_19identity_decomposerEEEEE10hipError_tT0_T1_T2_jT3_P12ihipStream_tbPNSt15iterator_traitsISE_E10value_typeEPNSK_ISF_E10value_typeEPSG_NS1_7vsmem_tEENKUlT_SE_SF_SG_E_clIS8_S8_S9_S9_EESD_ST_SE_SF_SG_EUlST_E0_NS1_11comp_targetILNS1_3genE4ELNS1_11target_archE910ELNS1_3gpuE8ELNS1_3repE0EEENS1_38merge_mergepath_config_static_selectorELNS0_4arch9wavefront6targetE0EEEvSF_,"axG",@progbits,_ZN7rocprim17ROCPRIM_400000_NS6detail17trampoline_kernelINS0_14default_configENS1_38merge_sort_block_merge_config_selectorIhNS0_10empty_typeEEEZZNS1_27merge_sort_block_merge_implIS3_PhPS5_jNS1_19radix_merge_compareILb0ELb0EhNS0_19identity_decomposerEEEEE10hipError_tT0_T1_T2_jT3_P12ihipStream_tbPNSt15iterator_traitsISE_E10value_typeEPNSK_ISF_E10value_typeEPSG_NS1_7vsmem_tEENKUlT_SE_SF_SG_E_clIS8_S8_S9_S9_EESD_ST_SE_SF_SG_EUlST_E0_NS1_11comp_targetILNS1_3genE4ELNS1_11target_archE910ELNS1_3gpuE8ELNS1_3repE0EEENS1_38merge_mergepath_config_static_selectorELNS0_4arch9wavefront6targetE0EEEvSF_,comdat
	.protected	_ZN7rocprim17ROCPRIM_400000_NS6detail17trampoline_kernelINS0_14default_configENS1_38merge_sort_block_merge_config_selectorIhNS0_10empty_typeEEEZZNS1_27merge_sort_block_merge_implIS3_PhPS5_jNS1_19radix_merge_compareILb0ELb0EhNS0_19identity_decomposerEEEEE10hipError_tT0_T1_T2_jT3_P12ihipStream_tbPNSt15iterator_traitsISE_E10value_typeEPNSK_ISF_E10value_typeEPSG_NS1_7vsmem_tEENKUlT_SE_SF_SG_E_clIS8_S8_S9_S9_EESD_ST_SE_SF_SG_EUlST_E0_NS1_11comp_targetILNS1_3genE4ELNS1_11target_archE910ELNS1_3gpuE8ELNS1_3repE0EEENS1_38merge_mergepath_config_static_selectorELNS0_4arch9wavefront6targetE0EEEvSF_ ; -- Begin function _ZN7rocprim17ROCPRIM_400000_NS6detail17trampoline_kernelINS0_14default_configENS1_38merge_sort_block_merge_config_selectorIhNS0_10empty_typeEEEZZNS1_27merge_sort_block_merge_implIS3_PhPS5_jNS1_19radix_merge_compareILb0ELb0EhNS0_19identity_decomposerEEEEE10hipError_tT0_T1_T2_jT3_P12ihipStream_tbPNSt15iterator_traitsISE_E10value_typeEPNSK_ISF_E10value_typeEPSG_NS1_7vsmem_tEENKUlT_SE_SF_SG_E_clIS8_S8_S9_S9_EESD_ST_SE_SF_SG_EUlST_E0_NS1_11comp_targetILNS1_3genE4ELNS1_11target_archE910ELNS1_3gpuE8ELNS1_3repE0EEENS1_38merge_mergepath_config_static_selectorELNS0_4arch9wavefront6targetE0EEEvSF_
	.globl	_ZN7rocprim17ROCPRIM_400000_NS6detail17trampoline_kernelINS0_14default_configENS1_38merge_sort_block_merge_config_selectorIhNS0_10empty_typeEEEZZNS1_27merge_sort_block_merge_implIS3_PhPS5_jNS1_19radix_merge_compareILb0ELb0EhNS0_19identity_decomposerEEEEE10hipError_tT0_T1_T2_jT3_P12ihipStream_tbPNSt15iterator_traitsISE_E10value_typeEPNSK_ISF_E10value_typeEPSG_NS1_7vsmem_tEENKUlT_SE_SF_SG_E_clIS8_S8_S9_S9_EESD_ST_SE_SF_SG_EUlST_E0_NS1_11comp_targetILNS1_3genE4ELNS1_11target_archE910ELNS1_3gpuE8ELNS1_3repE0EEENS1_38merge_mergepath_config_static_selectorELNS0_4arch9wavefront6targetE0EEEvSF_
	.p2align	8
	.type	_ZN7rocprim17ROCPRIM_400000_NS6detail17trampoline_kernelINS0_14default_configENS1_38merge_sort_block_merge_config_selectorIhNS0_10empty_typeEEEZZNS1_27merge_sort_block_merge_implIS3_PhPS5_jNS1_19radix_merge_compareILb0ELb0EhNS0_19identity_decomposerEEEEE10hipError_tT0_T1_T2_jT3_P12ihipStream_tbPNSt15iterator_traitsISE_E10value_typeEPNSK_ISF_E10value_typeEPSG_NS1_7vsmem_tEENKUlT_SE_SF_SG_E_clIS8_S8_S9_S9_EESD_ST_SE_SF_SG_EUlST_E0_NS1_11comp_targetILNS1_3genE4ELNS1_11target_archE910ELNS1_3gpuE8ELNS1_3repE0EEENS1_38merge_mergepath_config_static_selectorELNS0_4arch9wavefront6targetE0EEEvSF_,@function
_ZN7rocprim17ROCPRIM_400000_NS6detail17trampoline_kernelINS0_14default_configENS1_38merge_sort_block_merge_config_selectorIhNS0_10empty_typeEEEZZNS1_27merge_sort_block_merge_implIS3_PhPS5_jNS1_19radix_merge_compareILb0ELb0EhNS0_19identity_decomposerEEEEE10hipError_tT0_T1_T2_jT3_P12ihipStream_tbPNSt15iterator_traitsISE_E10value_typeEPNSK_ISF_E10value_typeEPSG_NS1_7vsmem_tEENKUlT_SE_SF_SG_E_clIS8_S8_S9_S9_EESD_ST_SE_SF_SG_EUlST_E0_NS1_11comp_targetILNS1_3genE4ELNS1_11target_archE910ELNS1_3gpuE8ELNS1_3repE0EEENS1_38merge_mergepath_config_static_selectorELNS0_4arch9wavefront6targetE0EEEvSF_: ; @_ZN7rocprim17ROCPRIM_400000_NS6detail17trampoline_kernelINS0_14default_configENS1_38merge_sort_block_merge_config_selectorIhNS0_10empty_typeEEEZZNS1_27merge_sort_block_merge_implIS3_PhPS5_jNS1_19radix_merge_compareILb0ELb0EhNS0_19identity_decomposerEEEEE10hipError_tT0_T1_T2_jT3_P12ihipStream_tbPNSt15iterator_traitsISE_E10value_typeEPNSK_ISF_E10value_typeEPSG_NS1_7vsmem_tEENKUlT_SE_SF_SG_E_clIS8_S8_S9_S9_EESD_ST_SE_SF_SG_EUlST_E0_NS1_11comp_targetILNS1_3genE4ELNS1_11target_archE910ELNS1_3gpuE8ELNS1_3repE0EEENS1_38merge_mergepath_config_static_selectorELNS0_4arch9wavefront6targetE0EEEvSF_
; %bb.0:
	.section	.rodata,"a",@progbits
	.p2align	6, 0x0
	.amdhsa_kernel _ZN7rocprim17ROCPRIM_400000_NS6detail17trampoline_kernelINS0_14default_configENS1_38merge_sort_block_merge_config_selectorIhNS0_10empty_typeEEEZZNS1_27merge_sort_block_merge_implIS3_PhPS5_jNS1_19radix_merge_compareILb0ELb0EhNS0_19identity_decomposerEEEEE10hipError_tT0_T1_T2_jT3_P12ihipStream_tbPNSt15iterator_traitsISE_E10value_typeEPNSK_ISF_E10value_typeEPSG_NS1_7vsmem_tEENKUlT_SE_SF_SG_E_clIS8_S8_S9_S9_EESD_ST_SE_SF_SG_EUlST_E0_NS1_11comp_targetILNS1_3genE4ELNS1_11target_archE910ELNS1_3gpuE8ELNS1_3repE0EEENS1_38merge_mergepath_config_static_selectorELNS0_4arch9wavefront6targetE0EEEvSF_
		.amdhsa_group_segment_fixed_size 0
		.amdhsa_private_segment_fixed_size 0
		.amdhsa_kernarg_size 64
		.amdhsa_user_sgpr_count 2
		.amdhsa_user_sgpr_dispatch_ptr 0
		.amdhsa_user_sgpr_queue_ptr 0
		.amdhsa_user_sgpr_kernarg_segment_ptr 1
		.amdhsa_user_sgpr_dispatch_id 0
		.amdhsa_user_sgpr_kernarg_preload_length 0
		.amdhsa_user_sgpr_kernarg_preload_offset 0
		.amdhsa_user_sgpr_private_segment_size 0
		.amdhsa_wavefront_size32 1
		.amdhsa_uses_dynamic_stack 0
		.amdhsa_enable_private_segment 0
		.amdhsa_system_sgpr_workgroup_id_x 1
		.amdhsa_system_sgpr_workgroup_id_y 0
		.amdhsa_system_sgpr_workgroup_id_z 0
		.amdhsa_system_sgpr_workgroup_info 0
		.amdhsa_system_vgpr_workitem_id 0
		.amdhsa_next_free_vgpr 1
		.amdhsa_next_free_sgpr 1
		.amdhsa_named_barrier_count 0
		.amdhsa_reserve_vcc 0
		.amdhsa_float_round_mode_32 0
		.amdhsa_float_round_mode_16_64 0
		.amdhsa_float_denorm_mode_32 3
		.amdhsa_float_denorm_mode_16_64 3
		.amdhsa_fp16_overflow 0
		.amdhsa_memory_ordered 1
		.amdhsa_forward_progress 1
		.amdhsa_inst_pref_size 0
		.amdhsa_round_robin_scheduling 0
		.amdhsa_exception_fp_ieee_invalid_op 0
		.amdhsa_exception_fp_denorm_src 0
		.amdhsa_exception_fp_ieee_div_zero 0
		.amdhsa_exception_fp_ieee_overflow 0
		.amdhsa_exception_fp_ieee_underflow 0
		.amdhsa_exception_fp_ieee_inexact 0
		.amdhsa_exception_int_div_zero 0
	.end_amdhsa_kernel
	.section	.text._ZN7rocprim17ROCPRIM_400000_NS6detail17trampoline_kernelINS0_14default_configENS1_38merge_sort_block_merge_config_selectorIhNS0_10empty_typeEEEZZNS1_27merge_sort_block_merge_implIS3_PhPS5_jNS1_19radix_merge_compareILb0ELb0EhNS0_19identity_decomposerEEEEE10hipError_tT0_T1_T2_jT3_P12ihipStream_tbPNSt15iterator_traitsISE_E10value_typeEPNSK_ISF_E10value_typeEPSG_NS1_7vsmem_tEENKUlT_SE_SF_SG_E_clIS8_S8_S9_S9_EESD_ST_SE_SF_SG_EUlST_E0_NS1_11comp_targetILNS1_3genE4ELNS1_11target_archE910ELNS1_3gpuE8ELNS1_3repE0EEENS1_38merge_mergepath_config_static_selectorELNS0_4arch9wavefront6targetE0EEEvSF_,"axG",@progbits,_ZN7rocprim17ROCPRIM_400000_NS6detail17trampoline_kernelINS0_14default_configENS1_38merge_sort_block_merge_config_selectorIhNS0_10empty_typeEEEZZNS1_27merge_sort_block_merge_implIS3_PhPS5_jNS1_19radix_merge_compareILb0ELb0EhNS0_19identity_decomposerEEEEE10hipError_tT0_T1_T2_jT3_P12ihipStream_tbPNSt15iterator_traitsISE_E10value_typeEPNSK_ISF_E10value_typeEPSG_NS1_7vsmem_tEENKUlT_SE_SF_SG_E_clIS8_S8_S9_S9_EESD_ST_SE_SF_SG_EUlST_E0_NS1_11comp_targetILNS1_3genE4ELNS1_11target_archE910ELNS1_3gpuE8ELNS1_3repE0EEENS1_38merge_mergepath_config_static_selectorELNS0_4arch9wavefront6targetE0EEEvSF_,comdat
.Lfunc_end164:
	.size	_ZN7rocprim17ROCPRIM_400000_NS6detail17trampoline_kernelINS0_14default_configENS1_38merge_sort_block_merge_config_selectorIhNS0_10empty_typeEEEZZNS1_27merge_sort_block_merge_implIS3_PhPS5_jNS1_19radix_merge_compareILb0ELb0EhNS0_19identity_decomposerEEEEE10hipError_tT0_T1_T2_jT3_P12ihipStream_tbPNSt15iterator_traitsISE_E10value_typeEPNSK_ISF_E10value_typeEPSG_NS1_7vsmem_tEENKUlT_SE_SF_SG_E_clIS8_S8_S9_S9_EESD_ST_SE_SF_SG_EUlST_E0_NS1_11comp_targetILNS1_3genE4ELNS1_11target_archE910ELNS1_3gpuE8ELNS1_3repE0EEENS1_38merge_mergepath_config_static_selectorELNS0_4arch9wavefront6targetE0EEEvSF_, .Lfunc_end164-_ZN7rocprim17ROCPRIM_400000_NS6detail17trampoline_kernelINS0_14default_configENS1_38merge_sort_block_merge_config_selectorIhNS0_10empty_typeEEEZZNS1_27merge_sort_block_merge_implIS3_PhPS5_jNS1_19radix_merge_compareILb0ELb0EhNS0_19identity_decomposerEEEEE10hipError_tT0_T1_T2_jT3_P12ihipStream_tbPNSt15iterator_traitsISE_E10value_typeEPNSK_ISF_E10value_typeEPSG_NS1_7vsmem_tEENKUlT_SE_SF_SG_E_clIS8_S8_S9_S9_EESD_ST_SE_SF_SG_EUlST_E0_NS1_11comp_targetILNS1_3genE4ELNS1_11target_archE910ELNS1_3gpuE8ELNS1_3repE0EEENS1_38merge_mergepath_config_static_selectorELNS0_4arch9wavefront6targetE0EEEvSF_
                                        ; -- End function
	.set _ZN7rocprim17ROCPRIM_400000_NS6detail17trampoline_kernelINS0_14default_configENS1_38merge_sort_block_merge_config_selectorIhNS0_10empty_typeEEEZZNS1_27merge_sort_block_merge_implIS3_PhPS5_jNS1_19radix_merge_compareILb0ELb0EhNS0_19identity_decomposerEEEEE10hipError_tT0_T1_T2_jT3_P12ihipStream_tbPNSt15iterator_traitsISE_E10value_typeEPNSK_ISF_E10value_typeEPSG_NS1_7vsmem_tEENKUlT_SE_SF_SG_E_clIS8_S8_S9_S9_EESD_ST_SE_SF_SG_EUlST_E0_NS1_11comp_targetILNS1_3genE4ELNS1_11target_archE910ELNS1_3gpuE8ELNS1_3repE0EEENS1_38merge_mergepath_config_static_selectorELNS0_4arch9wavefront6targetE0EEEvSF_.num_vgpr, 0
	.set _ZN7rocprim17ROCPRIM_400000_NS6detail17trampoline_kernelINS0_14default_configENS1_38merge_sort_block_merge_config_selectorIhNS0_10empty_typeEEEZZNS1_27merge_sort_block_merge_implIS3_PhPS5_jNS1_19radix_merge_compareILb0ELb0EhNS0_19identity_decomposerEEEEE10hipError_tT0_T1_T2_jT3_P12ihipStream_tbPNSt15iterator_traitsISE_E10value_typeEPNSK_ISF_E10value_typeEPSG_NS1_7vsmem_tEENKUlT_SE_SF_SG_E_clIS8_S8_S9_S9_EESD_ST_SE_SF_SG_EUlST_E0_NS1_11comp_targetILNS1_3genE4ELNS1_11target_archE910ELNS1_3gpuE8ELNS1_3repE0EEENS1_38merge_mergepath_config_static_selectorELNS0_4arch9wavefront6targetE0EEEvSF_.num_agpr, 0
	.set _ZN7rocprim17ROCPRIM_400000_NS6detail17trampoline_kernelINS0_14default_configENS1_38merge_sort_block_merge_config_selectorIhNS0_10empty_typeEEEZZNS1_27merge_sort_block_merge_implIS3_PhPS5_jNS1_19radix_merge_compareILb0ELb0EhNS0_19identity_decomposerEEEEE10hipError_tT0_T1_T2_jT3_P12ihipStream_tbPNSt15iterator_traitsISE_E10value_typeEPNSK_ISF_E10value_typeEPSG_NS1_7vsmem_tEENKUlT_SE_SF_SG_E_clIS8_S8_S9_S9_EESD_ST_SE_SF_SG_EUlST_E0_NS1_11comp_targetILNS1_3genE4ELNS1_11target_archE910ELNS1_3gpuE8ELNS1_3repE0EEENS1_38merge_mergepath_config_static_selectorELNS0_4arch9wavefront6targetE0EEEvSF_.numbered_sgpr, 0
	.set _ZN7rocprim17ROCPRIM_400000_NS6detail17trampoline_kernelINS0_14default_configENS1_38merge_sort_block_merge_config_selectorIhNS0_10empty_typeEEEZZNS1_27merge_sort_block_merge_implIS3_PhPS5_jNS1_19radix_merge_compareILb0ELb0EhNS0_19identity_decomposerEEEEE10hipError_tT0_T1_T2_jT3_P12ihipStream_tbPNSt15iterator_traitsISE_E10value_typeEPNSK_ISF_E10value_typeEPSG_NS1_7vsmem_tEENKUlT_SE_SF_SG_E_clIS8_S8_S9_S9_EESD_ST_SE_SF_SG_EUlST_E0_NS1_11comp_targetILNS1_3genE4ELNS1_11target_archE910ELNS1_3gpuE8ELNS1_3repE0EEENS1_38merge_mergepath_config_static_selectorELNS0_4arch9wavefront6targetE0EEEvSF_.num_named_barrier, 0
	.set _ZN7rocprim17ROCPRIM_400000_NS6detail17trampoline_kernelINS0_14default_configENS1_38merge_sort_block_merge_config_selectorIhNS0_10empty_typeEEEZZNS1_27merge_sort_block_merge_implIS3_PhPS5_jNS1_19radix_merge_compareILb0ELb0EhNS0_19identity_decomposerEEEEE10hipError_tT0_T1_T2_jT3_P12ihipStream_tbPNSt15iterator_traitsISE_E10value_typeEPNSK_ISF_E10value_typeEPSG_NS1_7vsmem_tEENKUlT_SE_SF_SG_E_clIS8_S8_S9_S9_EESD_ST_SE_SF_SG_EUlST_E0_NS1_11comp_targetILNS1_3genE4ELNS1_11target_archE910ELNS1_3gpuE8ELNS1_3repE0EEENS1_38merge_mergepath_config_static_selectorELNS0_4arch9wavefront6targetE0EEEvSF_.private_seg_size, 0
	.set _ZN7rocprim17ROCPRIM_400000_NS6detail17trampoline_kernelINS0_14default_configENS1_38merge_sort_block_merge_config_selectorIhNS0_10empty_typeEEEZZNS1_27merge_sort_block_merge_implIS3_PhPS5_jNS1_19radix_merge_compareILb0ELb0EhNS0_19identity_decomposerEEEEE10hipError_tT0_T1_T2_jT3_P12ihipStream_tbPNSt15iterator_traitsISE_E10value_typeEPNSK_ISF_E10value_typeEPSG_NS1_7vsmem_tEENKUlT_SE_SF_SG_E_clIS8_S8_S9_S9_EESD_ST_SE_SF_SG_EUlST_E0_NS1_11comp_targetILNS1_3genE4ELNS1_11target_archE910ELNS1_3gpuE8ELNS1_3repE0EEENS1_38merge_mergepath_config_static_selectorELNS0_4arch9wavefront6targetE0EEEvSF_.uses_vcc, 0
	.set _ZN7rocprim17ROCPRIM_400000_NS6detail17trampoline_kernelINS0_14default_configENS1_38merge_sort_block_merge_config_selectorIhNS0_10empty_typeEEEZZNS1_27merge_sort_block_merge_implIS3_PhPS5_jNS1_19radix_merge_compareILb0ELb0EhNS0_19identity_decomposerEEEEE10hipError_tT0_T1_T2_jT3_P12ihipStream_tbPNSt15iterator_traitsISE_E10value_typeEPNSK_ISF_E10value_typeEPSG_NS1_7vsmem_tEENKUlT_SE_SF_SG_E_clIS8_S8_S9_S9_EESD_ST_SE_SF_SG_EUlST_E0_NS1_11comp_targetILNS1_3genE4ELNS1_11target_archE910ELNS1_3gpuE8ELNS1_3repE0EEENS1_38merge_mergepath_config_static_selectorELNS0_4arch9wavefront6targetE0EEEvSF_.uses_flat_scratch, 0
	.set _ZN7rocprim17ROCPRIM_400000_NS6detail17trampoline_kernelINS0_14default_configENS1_38merge_sort_block_merge_config_selectorIhNS0_10empty_typeEEEZZNS1_27merge_sort_block_merge_implIS3_PhPS5_jNS1_19radix_merge_compareILb0ELb0EhNS0_19identity_decomposerEEEEE10hipError_tT0_T1_T2_jT3_P12ihipStream_tbPNSt15iterator_traitsISE_E10value_typeEPNSK_ISF_E10value_typeEPSG_NS1_7vsmem_tEENKUlT_SE_SF_SG_E_clIS8_S8_S9_S9_EESD_ST_SE_SF_SG_EUlST_E0_NS1_11comp_targetILNS1_3genE4ELNS1_11target_archE910ELNS1_3gpuE8ELNS1_3repE0EEENS1_38merge_mergepath_config_static_selectorELNS0_4arch9wavefront6targetE0EEEvSF_.has_dyn_sized_stack, 0
	.set _ZN7rocprim17ROCPRIM_400000_NS6detail17trampoline_kernelINS0_14default_configENS1_38merge_sort_block_merge_config_selectorIhNS0_10empty_typeEEEZZNS1_27merge_sort_block_merge_implIS3_PhPS5_jNS1_19radix_merge_compareILb0ELb0EhNS0_19identity_decomposerEEEEE10hipError_tT0_T1_T2_jT3_P12ihipStream_tbPNSt15iterator_traitsISE_E10value_typeEPNSK_ISF_E10value_typeEPSG_NS1_7vsmem_tEENKUlT_SE_SF_SG_E_clIS8_S8_S9_S9_EESD_ST_SE_SF_SG_EUlST_E0_NS1_11comp_targetILNS1_3genE4ELNS1_11target_archE910ELNS1_3gpuE8ELNS1_3repE0EEENS1_38merge_mergepath_config_static_selectorELNS0_4arch9wavefront6targetE0EEEvSF_.has_recursion, 0
	.set _ZN7rocprim17ROCPRIM_400000_NS6detail17trampoline_kernelINS0_14default_configENS1_38merge_sort_block_merge_config_selectorIhNS0_10empty_typeEEEZZNS1_27merge_sort_block_merge_implIS3_PhPS5_jNS1_19radix_merge_compareILb0ELb0EhNS0_19identity_decomposerEEEEE10hipError_tT0_T1_T2_jT3_P12ihipStream_tbPNSt15iterator_traitsISE_E10value_typeEPNSK_ISF_E10value_typeEPSG_NS1_7vsmem_tEENKUlT_SE_SF_SG_E_clIS8_S8_S9_S9_EESD_ST_SE_SF_SG_EUlST_E0_NS1_11comp_targetILNS1_3genE4ELNS1_11target_archE910ELNS1_3gpuE8ELNS1_3repE0EEENS1_38merge_mergepath_config_static_selectorELNS0_4arch9wavefront6targetE0EEEvSF_.has_indirect_call, 0
	.section	.AMDGPU.csdata,"",@progbits
; Kernel info:
; codeLenInByte = 0
; TotalNumSgprs: 0
; NumVgprs: 0
; ScratchSize: 0
; MemoryBound: 0
; FloatMode: 240
; IeeeMode: 1
; LDSByteSize: 0 bytes/workgroup (compile time only)
; SGPRBlocks: 0
; VGPRBlocks: 0
; NumSGPRsForWavesPerEU: 1
; NumVGPRsForWavesPerEU: 1
; NamedBarCnt: 0
; Occupancy: 16
; WaveLimiterHint : 0
; COMPUTE_PGM_RSRC2:SCRATCH_EN: 0
; COMPUTE_PGM_RSRC2:USER_SGPR: 2
; COMPUTE_PGM_RSRC2:TRAP_HANDLER: 0
; COMPUTE_PGM_RSRC2:TGID_X_EN: 1
; COMPUTE_PGM_RSRC2:TGID_Y_EN: 0
; COMPUTE_PGM_RSRC2:TGID_Z_EN: 0
; COMPUTE_PGM_RSRC2:TIDIG_COMP_CNT: 0
	.section	.text._ZN7rocprim17ROCPRIM_400000_NS6detail17trampoline_kernelINS0_14default_configENS1_38merge_sort_block_merge_config_selectorIhNS0_10empty_typeEEEZZNS1_27merge_sort_block_merge_implIS3_PhPS5_jNS1_19radix_merge_compareILb0ELb0EhNS0_19identity_decomposerEEEEE10hipError_tT0_T1_T2_jT3_P12ihipStream_tbPNSt15iterator_traitsISE_E10value_typeEPNSK_ISF_E10value_typeEPSG_NS1_7vsmem_tEENKUlT_SE_SF_SG_E_clIS8_S8_S9_S9_EESD_ST_SE_SF_SG_EUlST_E0_NS1_11comp_targetILNS1_3genE3ELNS1_11target_archE908ELNS1_3gpuE7ELNS1_3repE0EEENS1_38merge_mergepath_config_static_selectorELNS0_4arch9wavefront6targetE0EEEvSF_,"axG",@progbits,_ZN7rocprim17ROCPRIM_400000_NS6detail17trampoline_kernelINS0_14default_configENS1_38merge_sort_block_merge_config_selectorIhNS0_10empty_typeEEEZZNS1_27merge_sort_block_merge_implIS3_PhPS5_jNS1_19radix_merge_compareILb0ELb0EhNS0_19identity_decomposerEEEEE10hipError_tT0_T1_T2_jT3_P12ihipStream_tbPNSt15iterator_traitsISE_E10value_typeEPNSK_ISF_E10value_typeEPSG_NS1_7vsmem_tEENKUlT_SE_SF_SG_E_clIS8_S8_S9_S9_EESD_ST_SE_SF_SG_EUlST_E0_NS1_11comp_targetILNS1_3genE3ELNS1_11target_archE908ELNS1_3gpuE7ELNS1_3repE0EEENS1_38merge_mergepath_config_static_selectorELNS0_4arch9wavefront6targetE0EEEvSF_,comdat
	.protected	_ZN7rocprim17ROCPRIM_400000_NS6detail17trampoline_kernelINS0_14default_configENS1_38merge_sort_block_merge_config_selectorIhNS0_10empty_typeEEEZZNS1_27merge_sort_block_merge_implIS3_PhPS5_jNS1_19radix_merge_compareILb0ELb0EhNS0_19identity_decomposerEEEEE10hipError_tT0_T1_T2_jT3_P12ihipStream_tbPNSt15iterator_traitsISE_E10value_typeEPNSK_ISF_E10value_typeEPSG_NS1_7vsmem_tEENKUlT_SE_SF_SG_E_clIS8_S8_S9_S9_EESD_ST_SE_SF_SG_EUlST_E0_NS1_11comp_targetILNS1_3genE3ELNS1_11target_archE908ELNS1_3gpuE7ELNS1_3repE0EEENS1_38merge_mergepath_config_static_selectorELNS0_4arch9wavefront6targetE0EEEvSF_ ; -- Begin function _ZN7rocprim17ROCPRIM_400000_NS6detail17trampoline_kernelINS0_14default_configENS1_38merge_sort_block_merge_config_selectorIhNS0_10empty_typeEEEZZNS1_27merge_sort_block_merge_implIS3_PhPS5_jNS1_19radix_merge_compareILb0ELb0EhNS0_19identity_decomposerEEEEE10hipError_tT0_T1_T2_jT3_P12ihipStream_tbPNSt15iterator_traitsISE_E10value_typeEPNSK_ISF_E10value_typeEPSG_NS1_7vsmem_tEENKUlT_SE_SF_SG_E_clIS8_S8_S9_S9_EESD_ST_SE_SF_SG_EUlST_E0_NS1_11comp_targetILNS1_3genE3ELNS1_11target_archE908ELNS1_3gpuE7ELNS1_3repE0EEENS1_38merge_mergepath_config_static_selectorELNS0_4arch9wavefront6targetE0EEEvSF_
	.globl	_ZN7rocprim17ROCPRIM_400000_NS6detail17trampoline_kernelINS0_14default_configENS1_38merge_sort_block_merge_config_selectorIhNS0_10empty_typeEEEZZNS1_27merge_sort_block_merge_implIS3_PhPS5_jNS1_19radix_merge_compareILb0ELb0EhNS0_19identity_decomposerEEEEE10hipError_tT0_T1_T2_jT3_P12ihipStream_tbPNSt15iterator_traitsISE_E10value_typeEPNSK_ISF_E10value_typeEPSG_NS1_7vsmem_tEENKUlT_SE_SF_SG_E_clIS8_S8_S9_S9_EESD_ST_SE_SF_SG_EUlST_E0_NS1_11comp_targetILNS1_3genE3ELNS1_11target_archE908ELNS1_3gpuE7ELNS1_3repE0EEENS1_38merge_mergepath_config_static_selectorELNS0_4arch9wavefront6targetE0EEEvSF_
	.p2align	8
	.type	_ZN7rocprim17ROCPRIM_400000_NS6detail17trampoline_kernelINS0_14default_configENS1_38merge_sort_block_merge_config_selectorIhNS0_10empty_typeEEEZZNS1_27merge_sort_block_merge_implIS3_PhPS5_jNS1_19radix_merge_compareILb0ELb0EhNS0_19identity_decomposerEEEEE10hipError_tT0_T1_T2_jT3_P12ihipStream_tbPNSt15iterator_traitsISE_E10value_typeEPNSK_ISF_E10value_typeEPSG_NS1_7vsmem_tEENKUlT_SE_SF_SG_E_clIS8_S8_S9_S9_EESD_ST_SE_SF_SG_EUlST_E0_NS1_11comp_targetILNS1_3genE3ELNS1_11target_archE908ELNS1_3gpuE7ELNS1_3repE0EEENS1_38merge_mergepath_config_static_selectorELNS0_4arch9wavefront6targetE0EEEvSF_,@function
_ZN7rocprim17ROCPRIM_400000_NS6detail17trampoline_kernelINS0_14default_configENS1_38merge_sort_block_merge_config_selectorIhNS0_10empty_typeEEEZZNS1_27merge_sort_block_merge_implIS3_PhPS5_jNS1_19radix_merge_compareILb0ELb0EhNS0_19identity_decomposerEEEEE10hipError_tT0_T1_T2_jT3_P12ihipStream_tbPNSt15iterator_traitsISE_E10value_typeEPNSK_ISF_E10value_typeEPSG_NS1_7vsmem_tEENKUlT_SE_SF_SG_E_clIS8_S8_S9_S9_EESD_ST_SE_SF_SG_EUlST_E0_NS1_11comp_targetILNS1_3genE3ELNS1_11target_archE908ELNS1_3gpuE7ELNS1_3repE0EEENS1_38merge_mergepath_config_static_selectorELNS0_4arch9wavefront6targetE0EEEvSF_: ; @_ZN7rocprim17ROCPRIM_400000_NS6detail17trampoline_kernelINS0_14default_configENS1_38merge_sort_block_merge_config_selectorIhNS0_10empty_typeEEEZZNS1_27merge_sort_block_merge_implIS3_PhPS5_jNS1_19radix_merge_compareILb0ELb0EhNS0_19identity_decomposerEEEEE10hipError_tT0_T1_T2_jT3_P12ihipStream_tbPNSt15iterator_traitsISE_E10value_typeEPNSK_ISF_E10value_typeEPSG_NS1_7vsmem_tEENKUlT_SE_SF_SG_E_clIS8_S8_S9_S9_EESD_ST_SE_SF_SG_EUlST_E0_NS1_11comp_targetILNS1_3genE3ELNS1_11target_archE908ELNS1_3gpuE7ELNS1_3repE0EEENS1_38merge_mergepath_config_static_selectorELNS0_4arch9wavefront6targetE0EEEvSF_
; %bb.0:
	.section	.rodata,"a",@progbits
	.p2align	6, 0x0
	.amdhsa_kernel _ZN7rocprim17ROCPRIM_400000_NS6detail17trampoline_kernelINS0_14default_configENS1_38merge_sort_block_merge_config_selectorIhNS0_10empty_typeEEEZZNS1_27merge_sort_block_merge_implIS3_PhPS5_jNS1_19radix_merge_compareILb0ELb0EhNS0_19identity_decomposerEEEEE10hipError_tT0_T1_T2_jT3_P12ihipStream_tbPNSt15iterator_traitsISE_E10value_typeEPNSK_ISF_E10value_typeEPSG_NS1_7vsmem_tEENKUlT_SE_SF_SG_E_clIS8_S8_S9_S9_EESD_ST_SE_SF_SG_EUlST_E0_NS1_11comp_targetILNS1_3genE3ELNS1_11target_archE908ELNS1_3gpuE7ELNS1_3repE0EEENS1_38merge_mergepath_config_static_selectorELNS0_4arch9wavefront6targetE0EEEvSF_
		.amdhsa_group_segment_fixed_size 0
		.amdhsa_private_segment_fixed_size 0
		.amdhsa_kernarg_size 64
		.amdhsa_user_sgpr_count 2
		.amdhsa_user_sgpr_dispatch_ptr 0
		.amdhsa_user_sgpr_queue_ptr 0
		.amdhsa_user_sgpr_kernarg_segment_ptr 1
		.amdhsa_user_sgpr_dispatch_id 0
		.amdhsa_user_sgpr_kernarg_preload_length 0
		.amdhsa_user_sgpr_kernarg_preload_offset 0
		.amdhsa_user_sgpr_private_segment_size 0
		.amdhsa_wavefront_size32 1
		.amdhsa_uses_dynamic_stack 0
		.amdhsa_enable_private_segment 0
		.amdhsa_system_sgpr_workgroup_id_x 1
		.amdhsa_system_sgpr_workgroup_id_y 0
		.amdhsa_system_sgpr_workgroup_id_z 0
		.amdhsa_system_sgpr_workgroup_info 0
		.amdhsa_system_vgpr_workitem_id 0
		.amdhsa_next_free_vgpr 1
		.amdhsa_next_free_sgpr 1
		.amdhsa_named_barrier_count 0
		.amdhsa_reserve_vcc 0
		.amdhsa_float_round_mode_32 0
		.amdhsa_float_round_mode_16_64 0
		.amdhsa_float_denorm_mode_32 3
		.amdhsa_float_denorm_mode_16_64 3
		.amdhsa_fp16_overflow 0
		.amdhsa_memory_ordered 1
		.amdhsa_forward_progress 1
		.amdhsa_inst_pref_size 0
		.amdhsa_round_robin_scheduling 0
		.amdhsa_exception_fp_ieee_invalid_op 0
		.amdhsa_exception_fp_denorm_src 0
		.amdhsa_exception_fp_ieee_div_zero 0
		.amdhsa_exception_fp_ieee_overflow 0
		.amdhsa_exception_fp_ieee_underflow 0
		.amdhsa_exception_fp_ieee_inexact 0
		.amdhsa_exception_int_div_zero 0
	.end_amdhsa_kernel
	.section	.text._ZN7rocprim17ROCPRIM_400000_NS6detail17trampoline_kernelINS0_14default_configENS1_38merge_sort_block_merge_config_selectorIhNS0_10empty_typeEEEZZNS1_27merge_sort_block_merge_implIS3_PhPS5_jNS1_19radix_merge_compareILb0ELb0EhNS0_19identity_decomposerEEEEE10hipError_tT0_T1_T2_jT3_P12ihipStream_tbPNSt15iterator_traitsISE_E10value_typeEPNSK_ISF_E10value_typeEPSG_NS1_7vsmem_tEENKUlT_SE_SF_SG_E_clIS8_S8_S9_S9_EESD_ST_SE_SF_SG_EUlST_E0_NS1_11comp_targetILNS1_3genE3ELNS1_11target_archE908ELNS1_3gpuE7ELNS1_3repE0EEENS1_38merge_mergepath_config_static_selectorELNS0_4arch9wavefront6targetE0EEEvSF_,"axG",@progbits,_ZN7rocprim17ROCPRIM_400000_NS6detail17trampoline_kernelINS0_14default_configENS1_38merge_sort_block_merge_config_selectorIhNS0_10empty_typeEEEZZNS1_27merge_sort_block_merge_implIS3_PhPS5_jNS1_19radix_merge_compareILb0ELb0EhNS0_19identity_decomposerEEEEE10hipError_tT0_T1_T2_jT3_P12ihipStream_tbPNSt15iterator_traitsISE_E10value_typeEPNSK_ISF_E10value_typeEPSG_NS1_7vsmem_tEENKUlT_SE_SF_SG_E_clIS8_S8_S9_S9_EESD_ST_SE_SF_SG_EUlST_E0_NS1_11comp_targetILNS1_3genE3ELNS1_11target_archE908ELNS1_3gpuE7ELNS1_3repE0EEENS1_38merge_mergepath_config_static_selectorELNS0_4arch9wavefront6targetE0EEEvSF_,comdat
.Lfunc_end165:
	.size	_ZN7rocprim17ROCPRIM_400000_NS6detail17trampoline_kernelINS0_14default_configENS1_38merge_sort_block_merge_config_selectorIhNS0_10empty_typeEEEZZNS1_27merge_sort_block_merge_implIS3_PhPS5_jNS1_19radix_merge_compareILb0ELb0EhNS0_19identity_decomposerEEEEE10hipError_tT0_T1_T2_jT3_P12ihipStream_tbPNSt15iterator_traitsISE_E10value_typeEPNSK_ISF_E10value_typeEPSG_NS1_7vsmem_tEENKUlT_SE_SF_SG_E_clIS8_S8_S9_S9_EESD_ST_SE_SF_SG_EUlST_E0_NS1_11comp_targetILNS1_3genE3ELNS1_11target_archE908ELNS1_3gpuE7ELNS1_3repE0EEENS1_38merge_mergepath_config_static_selectorELNS0_4arch9wavefront6targetE0EEEvSF_, .Lfunc_end165-_ZN7rocprim17ROCPRIM_400000_NS6detail17trampoline_kernelINS0_14default_configENS1_38merge_sort_block_merge_config_selectorIhNS0_10empty_typeEEEZZNS1_27merge_sort_block_merge_implIS3_PhPS5_jNS1_19radix_merge_compareILb0ELb0EhNS0_19identity_decomposerEEEEE10hipError_tT0_T1_T2_jT3_P12ihipStream_tbPNSt15iterator_traitsISE_E10value_typeEPNSK_ISF_E10value_typeEPSG_NS1_7vsmem_tEENKUlT_SE_SF_SG_E_clIS8_S8_S9_S9_EESD_ST_SE_SF_SG_EUlST_E0_NS1_11comp_targetILNS1_3genE3ELNS1_11target_archE908ELNS1_3gpuE7ELNS1_3repE0EEENS1_38merge_mergepath_config_static_selectorELNS0_4arch9wavefront6targetE0EEEvSF_
                                        ; -- End function
	.set _ZN7rocprim17ROCPRIM_400000_NS6detail17trampoline_kernelINS0_14default_configENS1_38merge_sort_block_merge_config_selectorIhNS0_10empty_typeEEEZZNS1_27merge_sort_block_merge_implIS3_PhPS5_jNS1_19radix_merge_compareILb0ELb0EhNS0_19identity_decomposerEEEEE10hipError_tT0_T1_T2_jT3_P12ihipStream_tbPNSt15iterator_traitsISE_E10value_typeEPNSK_ISF_E10value_typeEPSG_NS1_7vsmem_tEENKUlT_SE_SF_SG_E_clIS8_S8_S9_S9_EESD_ST_SE_SF_SG_EUlST_E0_NS1_11comp_targetILNS1_3genE3ELNS1_11target_archE908ELNS1_3gpuE7ELNS1_3repE0EEENS1_38merge_mergepath_config_static_selectorELNS0_4arch9wavefront6targetE0EEEvSF_.num_vgpr, 0
	.set _ZN7rocprim17ROCPRIM_400000_NS6detail17trampoline_kernelINS0_14default_configENS1_38merge_sort_block_merge_config_selectorIhNS0_10empty_typeEEEZZNS1_27merge_sort_block_merge_implIS3_PhPS5_jNS1_19radix_merge_compareILb0ELb0EhNS0_19identity_decomposerEEEEE10hipError_tT0_T1_T2_jT3_P12ihipStream_tbPNSt15iterator_traitsISE_E10value_typeEPNSK_ISF_E10value_typeEPSG_NS1_7vsmem_tEENKUlT_SE_SF_SG_E_clIS8_S8_S9_S9_EESD_ST_SE_SF_SG_EUlST_E0_NS1_11comp_targetILNS1_3genE3ELNS1_11target_archE908ELNS1_3gpuE7ELNS1_3repE0EEENS1_38merge_mergepath_config_static_selectorELNS0_4arch9wavefront6targetE0EEEvSF_.num_agpr, 0
	.set _ZN7rocprim17ROCPRIM_400000_NS6detail17trampoline_kernelINS0_14default_configENS1_38merge_sort_block_merge_config_selectorIhNS0_10empty_typeEEEZZNS1_27merge_sort_block_merge_implIS3_PhPS5_jNS1_19radix_merge_compareILb0ELb0EhNS0_19identity_decomposerEEEEE10hipError_tT0_T1_T2_jT3_P12ihipStream_tbPNSt15iterator_traitsISE_E10value_typeEPNSK_ISF_E10value_typeEPSG_NS1_7vsmem_tEENKUlT_SE_SF_SG_E_clIS8_S8_S9_S9_EESD_ST_SE_SF_SG_EUlST_E0_NS1_11comp_targetILNS1_3genE3ELNS1_11target_archE908ELNS1_3gpuE7ELNS1_3repE0EEENS1_38merge_mergepath_config_static_selectorELNS0_4arch9wavefront6targetE0EEEvSF_.numbered_sgpr, 0
	.set _ZN7rocprim17ROCPRIM_400000_NS6detail17trampoline_kernelINS0_14default_configENS1_38merge_sort_block_merge_config_selectorIhNS0_10empty_typeEEEZZNS1_27merge_sort_block_merge_implIS3_PhPS5_jNS1_19radix_merge_compareILb0ELb0EhNS0_19identity_decomposerEEEEE10hipError_tT0_T1_T2_jT3_P12ihipStream_tbPNSt15iterator_traitsISE_E10value_typeEPNSK_ISF_E10value_typeEPSG_NS1_7vsmem_tEENKUlT_SE_SF_SG_E_clIS8_S8_S9_S9_EESD_ST_SE_SF_SG_EUlST_E0_NS1_11comp_targetILNS1_3genE3ELNS1_11target_archE908ELNS1_3gpuE7ELNS1_3repE0EEENS1_38merge_mergepath_config_static_selectorELNS0_4arch9wavefront6targetE0EEEvSF_.num_named_barrier, 0
	.set _ZN7rocprim17ROCPRIM_400000_NS6detail17trampoline_kernelINS0_14default_configENS1_38merge_sort_block_merge_config_selectorIhNS0_10empty_typeEEEZZNS1_27merge_sort_block_merge_implIS3_PhPS5_jNS1_19radix_merge_compareILb0ELb0EhNS0_19identity_decomposerEEEEE10hipError_tT0_T1_T2_jT3_P12ihipStream_tbPNSt15iterator_traitsISE_E10value_typeEPNSK_ISF_E10value_typeEPSG_NS1_7vsmem_tEENKUlT_SE_SF_SG_E_clIS8_S8_S9_S9_EESD_ST_SE_SF_SG_EUlST_E0_NS1_11comp_targetILNS1_3genE3ELNS1_11target_archE908ELNS1_3gpuE7ELNS1_3repE0EEENS1_38merge_mergepath_config_static_selectorELNS0_4arch9wavefront6targetE0EEEvSF_.private_seg_size, 0
	.set _ZN7rocprim17ROCPRIM_400000_NS6detail17trampoline_kernelINS0_14default_configENS1_38merge_sort_block_merge_config_selectorIhNS0_10empty_typeEEEZZNS1_27merge_sort_block_merge_implIS3_PhPS5_jNS1_19radix_merge_compareILb0ELb0EhNS0_19identity_decomposerEEEEE10hipError_tT0_T1_T2_jT3_P12ihipStream_tbPNSt15iterator_traitsISE_E10value_typeEPNSK_ISF_E10value_typeEPSG_NS1_7vsmem_tEENKUlT_SE_SF_SG_E_clIS8_S8_S9_S9_EESD_ST_SE_SF_SG_EUlST_E0_NS1_11comp_targetILNS1_3genE3ELNS1_11target_archE908ELNS1_3gpuE7ELNS1_3repE0EEENS1_38merge_mergepath_config_static_selectorELNS0_4arch9wavefront6targetE0EEEvSF_.uses_vcc, 0
	.set _ZN7rocprim17ROCPRIM_400000_NS6detail17trampoline_kernelINS0_14default_configENS1_38merge_sort_block_merge_config_selectorIhNS0_10empty_typeEEEZZNS1_27merge_sort_block_merge_implIS3_PhPS5_jNS1_19radix_merge_compareILb0ELb0EhNS0_19identity_decomposerEEEEE10hipError_tT0_T1_T2_jT3_P12ihipStream_tbPNSt15iterator_traitsISE_E10value_typeEPNSK_ISF_E10value_typeEPSG_NS1_7vsmem_tEENKUlT_SE_SF_SG_E_clIS8_S8_S9_S9_EESD_ST_SE_SF_SG_EUlST_E0_NS1_11comp_targetILNS1_3genE3ELNS1_11target_archE908ELNS1_3gpuE7ELNS1_3repE0EEENS1_38merge_mergepath_config_static_selectorELNS0_4arch9wavefront6targetE0EEEvSF_.uses_flat_scratch, 0
	.set _ZN7rocprim17ROCPRIM_400000_NS6detail17trampoline_kernelINS0_14default_configENS1_38merge_sort_block_merge_config_selectorIhNS0_10empty_typeEEEZZNS1_27merge_sort_block_merge_implIS3_PhPS5_jNS1_19radix_merge_compareILb0ELb0EhNS0_19identity_decomposerEEEEE10hipError_tT0_T1_T2_jT3_P12ihipStream_tbPNSt15iterator_traitsISE_E10value_typeEPNSK_ISF_E10value_typeEPSG_NS1_7vsmem_tEENKUlT_SE_SF_SG_E_clIS8_S8_S9_S9_EESD_ST_SE_SF_SG_EUlST_E0_NS1_11comp_targetILNS1_3genE3ELNS1_11target_archE908ELNS1_3gpuE7ELNS1_3repE0EEENS1_38merge_mergepath_config_static_selectorELNS0_4arch9wavefront6targetE0EEEvSF_.has_dyn_sized_stack, 0
	.set _ZN7rocprim17ROCPRIM_400000_NS6detail17trampoline_kernelINS0_14default_configENS1_38merge_sort_block_merge_config_selectorIhNS0_10empty_typeEEEZZNS1_27merge_sort_block_merge_implIS3_PhPS5_jNS1_19radix_merge_compareILb0ELb0EhNS0_19identity_decomposerEEEEE10hipError_tT0_T1_T2_jT3_P12ihipStream_tbPNSt15iterator_traitsISE_E10value_typeEPNSK_ISF_E10value_typeEPSG_NS1_7vsmem_tEENKUlT_SE_SF_SG_E_clIS8_S8_S9_S9_EESD_ST_SE_SF_SG_EUlST_E0_NS1_11comp_targetILNS1_3genE3ELNS1_11target_archE908ELNS1_3gpuE7ELNS1_3repE0EEENS1_38merge_mergepath_config_static_selectorELNS0_4arch9wavefront6targetE0EEEvSF_.has_recursion, 0
	.set _ZN7rocprim17ROCPRIM_400000_NS6detail17trampoline_kernelINS0_14default_configENS1_38merge_sort_block_merge_config_selectorIhNS0_10empty_typeEEEZZNS1_27merge_sort_block_merge_implIS3_PhPS5_jNS1_19radix_merge_compareILb0ELb0EhNS0_19identity_decomposerEEEEE10hipError_tT0_T1_T2_jT3_P12ihipStream_tbPNSt15iterator_traitsISE_E10value_typeEPNSK_ISF_E10value_typeEPSG_NS1_7vsmem_tEENKUlT_SE_SF_SG_E_clIS8_S8_S9_S9_EESD_ST_SE_SF_SG_EUlST_E0_NS1_11comp_targetILNS1_3genE3ELNS1_11target_archE908ELNS1_3gpuE7ELNS1_3repE0EEENS1_38merge_mergepath_config_static_selectorELNS0_4arch9wavefront6targetE0EEEvSF_.has_indirect_call, 0
	.section	.AMDGPU.csdata,"",@progbits
; Kernel info:
; codeLenInByte = 0
; TotalNumSgprs: 0
; NumVgprs: 0
; ScratchSize: 0
; MemoryBound: 0
; FloatMode: 240
; IeeeMode: 1
; LDSByteSize: 0 bytes/workgroup (compile time only)
; SGPRBlocks: 0
; VGPRBlocks: 0
; NumSGPRsForWavesPerEU: 1
; NumVGPRsForWavesPerEU: 1
; NamedBarCnt: 0
; Occupancy: 16
; WaveLimiterHint : 0
; COMPUTE_PGM_RSRC2:SCRATCH_EN: 0
; COMPUTE_PGM_RSRC2:USER_SGPR: 2
; COMPUTE_PGM_RSRC2:TRAP_HANDLER: 0
; COMPUTE_PGM_RSRC2:TGID_X_EN: 1
; COMPUTE_PGM_RSRC2:TGID_Y_EN: 0
; COMPUTE_PGM_RSRC2:TGID_Z_EN: 0
; COMPUTE_PGM_RSRC2:TIDIG_COMP_CNT: 0
	.section	.text._ZN7rocprim17ROCPRIM_400000_NS6detail17trampoline_kernelINS0_14default_configENS1_38merge_sort_block_merge_config_selectorIhNS0_10empty_typeEEEZZNS1_27merge_sort_block_merge_implIS3_PhPS5_jNS1_19radix_merge_compareILb0ELb0EhNS0_19identity_decomposerEEEEE10hipError_tT0_T1_T2_jT3_P12ihipStream_tbPNSt15iterator_traitsISE_E10value_typeEPNSK_ISF_E10value_typeEPSG_NS1_7vsmem_tEENKUlT_SE_SF_SG_E_clIS8_S8_S9_S9_EESD_ST_SE_SF_SG_EUlST_E0_NS1_11comp_targetILNS1_3genE2ELNS1_11target_archE906ELNS1_3gpuE6ELNS1_3repE0EEENS1_38merge_mergepath_config_static_selectorELNS0_4arch9wavefront6targetE0EEEvSF_,"axG",@progbits,_ZN7rocprim17ROCPRIM_400000_NS6detail17trampoline_kernelINS0_14default_configENS1_38merge_sort_block_merge_config_selectorIhNS0_10empty_typeEEEZZNS1_27merge_sort_block_merge_implIS3_PhPS5_jNS1_19radix_merge_compareILb0ELb0EhNS0_19identity_decomposerEEEEE10hipError_tT0_T1_T2_jT3_P12ihipStream_tbPNSt15iterator_traitsISE_E10value_typeEPNSK_ISF_E10value_typeEPSG_NS1_7vsmem_tEENKUlT_SE_SF_SG_E_clIS8_S8_S9_S9_EESD_ST_SE_SF_SG_EUlST_E0_NS1_11comp_targetILNS1_3genE2ELNS1_11target_archE906ELNS1_3gpuE6ELNS1_3repE0EEENS1_38merge_mergepath_config_static_selectorELNS0_4arch9wavefront6targetE0EEEvSF_,comdat
	.protected	_ZN7rocprim17ROCPRIM_400000_NS6detail17trampoline_kernelINS0_14default_configENS1_38merge_sort_block_merge_config_selectorIhNS0_10empty_typeEEEZZNS1_27merge_sort_block_merge_implIS3_PhPS5_jNS1_19radix_merge_compareILb0ELb0EhNS0_19identity_decomposerEEEEE10hipError_tT0_T1_T2_jT3_P12ihipStream_tbPNSt15iterator_traitsISE_E10value_typeEPNSK_ISF_E10value_typeEPSG_NS1_7vsmem_tEENKUlT_SE_SF_SG_E_clIS8_S8_S9_S9_EESD_ST_SE_SF_SG_EUlST_E0_NS1_11comp_targetILNS1_3genE2ELNS1_11target_archE906ELNS1_3gpuE6ELNS1_3repE0EEENS1_38merge_mergepath_config_static_selectorELNS0_4arch9wavefront6targetE0EEEvSF_ ; -- Begin function _ZN7rocprim17ROCPRIM_400000_NS6detail17trampoline_kernelINS0_14default_configENS1_38merge_sort_block_merge_config_selectorIhNS0_10empty_typeEEEZZNS1_27merge_sort_block_merge_implIS3_PhPS5_jNS1_19radix_merge_compareILb0ELb0EhNS0_19identity_decomposerEEEEE10hipError_tT0_T1_T2_jT3_P12ihipStream_tbPNSt15iterator_traitsISE_E10value_typeEPNSK_ISF_E10value_typeEPSG_NS1_7vsmem_tEENKUlT_SE_SF_SG_E_clIS8_S8_S9_S9_EESD_ST_SE_SF_SG_EUlST_E0_NS1_11comp_targetILNS1_3genE2ELNS1_11target_archE906ELNS1_3gpuE6ELNS1_3repE0EEENS1_38merge_mergepath_config_static_selectorELNS0_4arch9wavefront6targetE0EEEvSF_
	.globl	_ZN7rocprim17ROCPRIM_400000_NS6detail17trampoline_kernelINS0_14default_configENS1_38merge_sort_block_merge_config_selectorIhNS0_10empty_typeEEEZZNS1_27merge_sort_block_merge_implIS3_PhPS5_jNS1_19radix_merge_compareILb0ELb0EhNS0_19identity_decomposerEEEEE10hipError_tT0_T1_T2_jT3_P12ihipStream_tbPNSt15iterator_traitsISE_E10value_typeEPNSK_ISF_E10value_typeEPSG_NS1_7vsmem_tEENKUlT_SE_SF_SG_E_clIS8_S8_S9_S9_EESD_ST_SE_SF_SG_EUlST_E0_NS1_11comp_targetILNS1_3genE2ELNS1_11target_archE906ELNS1_3gpuE6ELNS1_3repE0EEENS1_38merge_mergepath_config_static_selectorELNS0_4arch9wavefront6targetE0EEEvSF_
	.p2align	8
	.type	_ZN7rocprim17ROCPRIM_400000_NS6detail17trampoline_kernelINS0_14default_configENS1_38merge_sort_block_merge_config_selectorIhNS0_10empty_typeEEEZZNS1_27merge_sort_block_merge_implIS3_PhPS5_jNS1_19radix_merge_compareILb0ELb0EhNS0_19identity_decomposerEEEEE10hipError_tT0_T1_T2_jT3_P12ihipStream_tbPNSt15iterator_traitsISE_E10value_typeEPNSK_ISF_E10value_typeEPSG_NS1_7vsmem_tEENKUlT_SE_SF_SG_E_clIS8_S8_S9_S9_EESD_ST_SE_SF_SG_EUlST_E0_NS1_11comp_targetILNS1_3genE2ELNS1_11target_archE906ELNS1_3gpuE6ELNS1_3repE0EEENS1_38merge_mergepath_config_static_selectorELNS0_4arch9wavefront6targetE0EEEvSF_,@function
_ZN7rocprim17ROCPRIM_400000_NS6detail17trampoline_kernelINS0_14default_configENS1_38merge_sort_block_merge_config_selectorIhNS0_10empty_typeEEEZZNS1_27merge_sort_block_merge_implIS3_PhPS5_jNS1_19radix_merge_compareILb0ELb0EhNS0_19identity_decomposerEEEEE10hipError_tT0_T1_T2_jT3_P12ihipStream_tbPNSt15iterator_traitsISE_E10value_typeEPNSK_ISF_E10value_typeEPSG_NS1_7vsmem_tEENKUlT_SE_SF_SG_E_clIS8_S8_S9_S9_EESD_ST_SE_SF_SG_EUlST_E0_NS1_11comp_targetILNS1_3genE2ELNS1_11target_archE906ELNS1_3gpuE6ELNS1_3repE0EEENS1_38merge_mergepath_config_static_selectorELNS0_4arch9wavefront6targetE0EEEvSF_: ; @_ZN7rocprim17ROCPRIM_400000_NS6detail17trampoline_kernelINS0_14default_configENS1_38merge_sort_block_merge_config_selectorIhNS0_10empty_typeEEEZZNS1_27merge_sort_block_merge_implIS3_PhPS5_jNS1_19radix_merge_compareILb0ELb0EhNS0_19identity_decomposerEEEEE10hipError_tT0_T1_T2_jT3_P12ihipStream_tbPNSt15iterator_traitsISE_E10value_typeEPNSK_ISF_E10value_typeEPSG_NS1_7vsmem_tEENKUlT_SE_SF_SG_E_clIS8_S8_S9_S9_EESD_ST_SE_SF_SG_EUlST_E0_NS1_11comp_targetILNS1_3genE2ELNS1_11target_archE906ELNS1_3gpuE6ELNS1_3repE0EEENS1_38merge_mergepath_config_static_selectorELNS0_4arch9wavefront6targetE0EEEvSF_
; %bb.0:
	.section	.rodata,"a",@progbits
	.p2align	6, 0x0
	.amdhsa_kernel _ZN7rocprim17ROCPRIM_400000_NS6detail17trampoline_kernelINS0_14default_configENS1_38merge_sort_block_merge_config_selectorIhNS0_10empty_typeEEEZZNS1_27merge_sort_block_merge_implIS3_PhPS5_jNS1_19radix_merge_compareILb0ELb0EhNS0_19identity_decomposerEEEEE10hipError_tT0_T1_T2_jT3_P12ihipStream_tbPNSt15iterator_traitsISE_E10value_typeEPNSK_ISF_E10value_typeEPSG_NS1_7vsmem_tEENKUlT_SE_SF_SG_E_clIS8_S8_S9_S9_EESD_ST_SE_SF_SG_EUlST_E0_NS1_11comp_targetILNS1_3genE2ELNS1_11target_archE906ELNS1_3gpuE6ELNS1_3repE0EEENS1_38merge_mergepath_config_static_selectorELNS0_4arch9wavefront6targetE0EEEvSF_
		.amdhsa_group_segment_fixed_size 0
		.amdhsa_private_segment_fixed_size 0
		.amdhsa_kernarg_size 64
		.amdhsa_user_sgpr_count 2
		.amdhsa_user_sgpr_dispatch_ptr 0
		.amdhsa_user_sgpr_queue_ptr 0
		.amdhsa_user_sgpr_kernarg_segment_ptr 1
		.amdhsa_user_sgpr_dispatch_id 0
		.amdhsa_user_sgpr_kernarg_preload_length 0
		.amdhsa_user_sgpr_kernarg_preload_offset 0
		.amdhsa_user_sgpr_private_segment_size 0
		.amdhsa_wavefront_size32 1
		.amdhsa_uses_dynamic_stack 0
		.amdhsa_enable_private_segment 0
		.amdhsa_system_sgpr_workgroup_id_x 1
		.amdhsa_system_sgpr_workgroup_id_y 0
		.amdhsa_system_sgpr_workgroup_id_z 0
		.amdhsa_system_sgpr_workgroup_info 0
		.amdhsa_system_vgpr_workitem_id 0
		.amdhsa_next_free_vgpr 1
		.amdhsa_next_free_sgpr 1
		.amdhsa_named_barrier_count 0
		.amdhsa_reserve_vcc 0
		.amdhsa_float_round_mode_32 0
		.amdhsa_float_round_mode_16_64 0
		.amdhsa_float_denorm_mode_32 3
		.amdhsa_float_denorm_mode_16_64 3
		.amdhsa_fp16_overflow 0
		.amdhsa_memory_ordered 1
		.amdhsa_forward_progress 1
		.amdhsa_inst_pref_size 0
		.amdhsa_round_robin_scheduling 0
		.amdhsa_exception_fp_ieee_invalid_op 0
		.amdhsa_exception_fp_denorm_src 0
		.amdhsa_exception_fp_ieee_div_zero 0
		.amdhsa_exception_fp_ieee_overflow 0
		.amdhsa_exception_fp_ieee_underflow 0
		.amdhsa_exception_fp_ieee_inexact 0
		.amdhsa_exception_int_div_zero 0
	.end_amdhsa_kernel
	.section	.text._ZN7rocprim17ROCPRIM_400000_NS6detail17trampoline_kernelINS0_14default_configENS1_38merge_sort_block_merge_config_selectorIhNS0_10empty_typeEEEZZNS1_27merge_sort_block_merge_implIS3_PhPS5_jNS1_19radix_merge_compareILb0ELb0EhNS0_19identity_decomposerEEEEE10hipError_tT0_T1_T2_jT3_P12ihipStream_tbPNSt15iterator_traitsISE_E10value_typeEPNSK_ISF_E10value_typeEPSG_NS1_7vsmem_tEENKUlT_SE_SF_SG_E_clIS8_S8_S9_S9_EESD_ST_SE_SF_SG_EUlST_E0_NS1_11comp_targetILNS1_3genE2ELNS1_11target_archE906ELNS1_3gpuE6ELNS1_3repE0EEENS1_38merge_mergepath_config_static_selectorELNS0_4arch9wavefront6targetE0EEEvSF_,"axG",@progbits,_ZN7rocprim17ROCPRIM_400000_NS6detail17trampoline_kernelINS0_14default_configENS1_38merge_sort_block_merge_config_selectorIhNS0_10empty_typeEEEZZNS1_27merge_sort_block_merge_implIS3_PhPS5_jNS1_19radix_merge_compareILb0ELb0EhNS0_19identity_decomposerEEEEE10hipError_tT0_T1_T2_jT3_P12ihipStream_tbPNSt15iterator_traitsISE_E10value_typeEPNSK_ISF_E10value_typeEPSG_NS1_7vsmem_tEENKUlT_SE_SF_SG_E_clIS8_S8_S9_S9_EESD_ST_SE_SF_SG_EUlST_E0_NS1_11comp_targetILNS1_3genE2ELNS1_11target_archE906ELNS1_3gpuE6ELNS1_3repE0EEENS1_38merge_mergepath_config_static_selectorELNS0_4arch9wavefront6targetE0EEEvSF_,comdat
.Lfunc_end166:
	.size	_ZN7rocprim17ROCPRIM_400000_NS6detail17trampoline_kernelINS0_14default_configENS1_38merge_sort_block_merge_config_selectorIhNS0_10empty_typeEEEZZNS1_27merge_sort_block_merge_implIS3_PhPS5_jNS1_19radix_merge_compareILb0ELb0EhNS0_19identity_decomposerEEEEE10hipError_tT0_T1_T2_jT3_P12ihipStream_tbPNSt15iterator_traitsISE_E10value_typeEPNSK_ISF_E10value_typeEPSG_NS1_7vsmem_tEENKUlT_SE_SF_SG_E_clIS8_S8_S9_S9_EESD_ST_SE_SF_SG_EUlST_E0_NS1_11comp_targetILNS1_3genE2ELNS1_11target_archE906ELNS1_3gpuE6ELNS1_3repE0EEENS1_38merge_mergepath_config_static_selectorELNS0_4arch9wavefront6targetE0EEEvSF_, .Lfunc_end166-_ZN7rocprim17ROCPRIM_400000_NS6detail17trampoline_kernelINS0_14default_configENS1_38merge_sort_block_merge_config_selectorIhNS0_10empty_typeEEEZZNS1_27merge_sort_block_merge_implIS3_PhPS5_jNS1_19radix_merge_compareILb0ELb0EhNS0_19identity_decomposerEEEEE10hipError_tT0_T1_T2_jT3_P12ihipStream_tbPNSt15iterator_traitsISE_E10value_typeEPNSK_ISF_E10value_typeEPSG_NS1_7vsmem_tEENKUlT_SE_SF_SG_E_clIS8_S8_S9_S9_EESD_ST_SE_SF_SG_EUlST_E0_NS1_11comp_targetILNS1_3genE2ELNS1_11target_archE906ELNS1_3gpuE6ELNS1_3repE0EEENS1_38merge_mergepath_config_static_selectorELNS0_4arch9wavefront6targetE0EEEvSF_
                                        ; -- End function
	.set _ZN7rocprim17ROCPRIM_400000_NS6detail17trampoline_kernelINS0_14default_configENS1_38merge_sort_block_merge_config_selectorIhNS0_10empty_typeEEEZZNS1_27merge_sort_block_merge_implIS3_PhPS5_jNS1_19radix_merge_compareILb0ELb0EhNS0_19identity_decomposerEEEEE10hipError_tT0_T1_T2_jT3_P12ihipStream_tbPNSt15iterator_traitsISE_E10value_typeEPNSK_ISF_E10value_typeEPSG_NS1_7vsmem_tEENKUlT_SE_SF_SG_E_clIS8_S8_S9_S9_EESD_ST_SE_SF_SG_EUlST_E0_NS1_11comp_targetILNS1_3genE2ELNS1_11target_archE906ELNS1_3gpuE6ELNS1_3repE0EEENS1_38merge_mergepath_config_static_selectorELNS0_4arch9wavefront6targetE0EEEvSF_.num_vgpr, 0
	.set _ZN7rocprim17ROCPRIM_400000_NS6detail17trampoline_kernelINS0_14default_configENS1_38merge_sort_block_merge_config_selectorIhNS0_10empty_typeEEEZZNS1_27merge_sort_block_merge_implIS3_PhPS5_jNS1_19radix_merge_compareILb0ELb0EhNS0_19identity_decomposerEEEEE10hipError_tT0_T1_T2_jT3_P12ihipStream_tbPNSt15iterator_traitsISE_E10value_typeEPNSK_ISF_E10value_typeEPSG_NS1_7vsmem_tEENKUlT_SE_SF_SG_E_clIS8_S8_S9_S9_EESD_ST_SE_SF_SG_EUlST_E0_NS1_11comp_targetILNS1_3genE2ELNS1_11target_archE906ELNS1_3gpuE6ELNS1_3repE0EEENS1_38merge_mergepath_config_static_selectorELNS0_4arch9wavefront6targetE0EEEvSF_.num_agpr, 0
	.set _ZN7rocprim17ROCPRIM_400000_NS6detail17trampoline_kernelINS0_14default_configENS1_38merge_sort_block_merge_config_selectorIhNS0_10empty_typeEEEZZNS1_27merge_sort_block_merge_implIS3_PhPS5_jNS1_19radix_merge_compareILb0ELb0EhNS0_19identity_decomposerEEEEE10hipError_tT0_T1_T2_jT3_P12ihipStream_tbPNSt15iterator_traitsISE_E10value_typeEPNSK_ISF_E10value_typeEPSG_NS1_7vsmem_tEENKUlT_SE_SF_SG_E_clIS8_S8_S9_S9_EESD_ST_SE_SF_SG_EUlST_E0_NS1_11comp_targetILNS1_3genE2ELNS1_11target_archE906ELNS1_3gpuE6ELNS1_3repE0EEENS1_38merge_mergepath_config_static_selectorELNS0_4arch9wavefront6targetE0EEEvSF_.numbered_sgpr, 0
	.set _ZN7rocprim17ROCPRIM_400000_NS6detail17trampoline_kernelINS0_14default_configENS1_38merge_sort_block_merge_config_selectorIhNS0_10empty_typeEEEZZNS1_27merge_sort_block_merge_implIS3_PhPS5_jNS1_19radix_merge_compareILb0ELb0EhNS0_19identity_decomposerEEEEE10hipError_tT0_T1_T2_jT3_P12ihipStream_tbPNSt15iterator_traitsISE_E10value_typeEPNSK_ISF_E10value_typeEPSG_NS1_7vsmem_tEENKUlT_SE_SF_SG_E_clIS8_S8_S9_S9_EESD_ST_SE_SF_SG_EUlST_E0_NS1_11comp_targetILNS1_3genE2ELNS1_11target_archE906ELNS1_3gpuE6ELNS1_3repE0EEENS1_38merge_mergepath_config_static_selectorELNS0_4arch9wavefront6targetE0EEEvSF_.num_named_barrier, 0
	.set _ZN7rocprim17ROCPRIM_400000_NS6detail17trampoline_kernelINS0_14default_configENS1_38merge_sort_block_merge_config_selectorIhNS0_10empty_typeEEEZZNS1_27merge_sort_block_merge_implIS3_PhPS5_jNS1_19radix_merge_compareILb0ELb0EhNS0_19identity_decomposerEEEEE10hipError_tT0_T1_T2_jT3_P12ihipStream_tbPNSt15iterator_traitsISE_E10value_typeEPNSK_ISF_E10value_typeEPSG_NS1_7vsmem_tEENKUlT_SE_SF_SG_E_clIS8_S8_S9_S9_EESD_ST_SE_SF_SG_EUlST_E0_NS1_11comp_targetILNS1_3genE2ELNS1_11target_archE906ELNS1_3gpuE6ELNS1_3repE0EEENS1_38merge_mergepath_config_static_selectorELNS0_4arch9wavefront6targetE0EEEvSF_.private_seg_size, 0
	.set _ZN7rocprim17ROCPRIM_400000_NS6detail17trampoline_kernelINS0_14default_configENS1_38merge_sort_block_merge_config_selectorIhNS0_10empty_typeEEEZZNS1_27merge_sort_block_merge_implIS3_PhPS5_jNS1_19radix_merge_compareILb0ELb0EhNS0_19identity_decomposerEEEEE10hipError_tT0_T1_T2_jT3_P12ihipStream_tbPNSt15iterator_traitsISE_E10value_typeEPNSK_ISF_E10value_typeEPSG_NS1_7vsmem_tEENKUlT_SE_SF_SG_E_clIS8_S8_S9_S9_EESD_ST_SE_SF_SG_EUlST_E0_NS1_11comp_targetILNS1_3genE2ELNS1_11target_archE906ELNS1_3gpuE6ELNS1_3repE0EEENS1_38merge_mergepath_config_static_selectorELNS0_4arch9wavefront6targetE0EEEvSF_.uses_vcc, 0
	.set _ZN7rocprim17ROCPRIM_400000_NS6detail17trampoline_kernelINS0_14default_configENS1_38merge_sort_block_merge_config_selectorIhNS0_10empty_typeEEEZZNS1_27merge_sort_block_merge_implIS3_PhPS5_jNS1_19radix_merge_compareILb0ELb0EhNS0_19identity_decomposerEEEEE10hipError_tT0_T1_T2_jT3_P12ihipStream_tbPNSt15iterator_traitsISE_E10value_typeEPNSK_ISF_E10value_typeEPSG_NS1_7vsmem_tEENKUlT_SE_SF_SG_E_clIS8_S8_S9_S9_EESD_ST_SE_SF_SG_EUlST_E0_NS1_11comp_targetILNS1_3genE2ELNS1_11target_archE906ELNS1_3gpuE6ELNS1_3repE0EEENS1_38merge_mergepath_config_static_selectorELNS0_4arch9wavefront6targetE0EEEvSF_.uses_flat_scratch, 0
	.set _ZN7rocprim17ROCPRIM_400000_NS6detail17trampoline_kernelINS0_14default_configENS1_38merge_sort_block_merge_config_selectorIhNS0_10empty_typeEEEZZNS1_27merge_sort_block_merge_implIS3_PhPS5_jNS1_19radix_merge_compareILb0ELb0EhNS0_19identity_decomposerEEEEE10hipError_tT0_T1_T2_jT3_P12ihipStream_tbPNSt15iterator_traitsISE_E10value_typeEPNSK_ISF_E10value_typeEPSG_NS1_7vsmem_tEENKUlT_SE_SF_SG_E_clIS8_S8_S9_S9_EESD_ST_SE_SF_SG_EUlST_E0_NS1_11comp_targetILNS1_3genE2ELNS1_11target_archE906ELNS1_3gpuE6ELNS1_3repE0EEENS1_38merge_mergepath_config_static_selectorELNS0_4arch9wavefront6targetE0EEEvSF_.has_dyn_sized_stack, 0
	.set _ZN7rocprim17ROCPRIM_400000_NS6detail17trampoline_kernelINS0_14default_configENS1_38merge_sort_block_merge_config_selectorIhNS0_10empty_typeEEEZZNS1_27merge_sort_block_merge_implIS3_PhPS5_jNS1_19radix_merge_compareILb0ELb0EhNS0_19identity_decomposerEEEEE10hipError_tT0_T1_T2_jT3_P12ihipStream_tbPNSt15iterator_traitsISE_E10value_typeEPNSK_ISF_E10value_typeEPSG_NS1_7vsmem_tEENKUlT_SE_SF_SG_E_clIS8_S8_S9_S9_EESD_ST_SE_SF_SG_EUlST_E0_NS1_11comp_targetILNS1_3genE2ELNS1_11target_archE906ELNS1_3gpuE6ELNS1_3repE0EEENS1_38merge_mergepath_config_static_selectorELNS0_4arch9wavefront6targetE0EEEvSF_.has_recursion, 0
	.set _ZN7rocprim17ROCPRIM_400000_NS6detail17trampoline_kernelINS0_14default_configENS1_38merge_sort_block_merge_config_selectorIhNS0_10empty_typeEEEZZNS1_27merge_sort_block_merge_implIS3_PhPS5_jNS1_19radix_merge_compareILb0ELb0EhNS0_19identity_decomposerEEEEE10hipError_tT0_T1_T2_jT3_P12ihipStream_tbPNSt15iterator_traitsISE_E10value_typeEPNSK_ISF_E10value_typeEPSG_NS1_7vsmem_tEENKUlT_SE_SF_SG_E_clIS8_S8_S9_S9_EESD_ST_SE_SF_SG_EUlST_E0_NS1_11comp_targetILNS1_3genE2ELNS1_11target_archE906ELNS1_3gpuE6ELNS1_3repE0EEENS1_38merge_mergepath_config_static_selectorELNS0_4arch9wavefront6targetE0EEEvSF_.has_indirect_call, 0
	.section	.AMDGPU.csdata,"",@progbits
; Kernel info:
; codeLenInByte = 0
; TotalNumSgprs: 0
; NumVgprs: 0
; ScratchSize: 0
; MemoryBound: 0
; FloatMode: 240
; IeeeMode: 1
; LDSByteSize: 0 bytes/workgroup (compile time only)
; SGPRBlocks: 0
; VGPRBlocks: 0
; NumSGPRsForWavesPerEU: 1
; NumVGPRsForWavesPerEU: 1
; NamedBarCnt: 0
; Occupancy: 16
; WaveLimiterHint : 0
; COMPUTE_PGM_RSRC2:SCRATCH_EN: 0
; COMPUTE_PGM_RSRC2:USER_SGPR: 2
; COMPUTE_PGM_RSRC2:TRAP_HANDLER: 0
; COMPUTE_PGM_RSRC2:TGID_X_EN: 1
; COMPUTE_PGM_RSRC2:TGID_Y_EN: 0
; COMPUTE_PGM_RSRC2:TGID_Z_EN: 0
; COMPUTE_PGM_RSRC2:TIDIG_COMP_CNT: 0
	.section	.text._ZN7rocprim17ROCPRIM_400000_NS6detail17trampoline_kernelINS0_14default_configENS1_38merge_sort_block_merge_config_selectorIhNS0_10empty_typeEEEZZNS1_27merge_sort_block_merge_implIS3_PhPS5_jNS1_19radix_merge_compareILb0ELb0EhNS0_19identity_decomposerEEEEE10hipError_tT0_T1_T2_jT3_P12ihipStream_tbPNSt15iterator_traitsISE_E10value_typeEPNSK_ISF_E10value_typeEPSG_NS1_7vsmem_tEENKUlT_SE_SF_SG_E_clIS8_S8_S9_S9_EESD_ST_SE_SF_SG_EUlST_E0_NS1_11comp_targetILNS1_3genE9ELNS1_11target_archE1100ELNS1_3gpuE3ELNS1_3repE0EEENS1_38merge_mergepath_config_static_selectorELNS0_4arch9wavefront6targetE0EEEvSF_,"axG",@progbits,_ZN7rocprim17ROCPRIM_400000_NS6detail17trampoline_kernelINS0_14default_configENS1_38merge_sort_block_merge_config_selectorIhNS0_10empty_typeEEEZZNS1_27merge_sort_block_merge_implIS3_PhPS5_jNS1_19radix_merge_compareILb0ELb0EhNS0_19identity_decomposerEEEEE10hipError_tT0_T1_T2_jT3_P12ihipStream_tbPNSt15iterator_traitsISE_E10value_typeEPNSK_ISF_E10value_typeEPSG_NS1_7vsmem_tEENKUlT_SE_SF_SG_E_clIS8_S8_S9_S9_EESD_ST_SE_SF_SG_EUlST_E0_NS1_11comp_targetILNS1_3genE9ELNS1_11target_archE1100ELNS1_3gpuE3ELNS1_3repE0EEENS1_38merge_mergepath_config_static_selectorELNS0_4arch9wavefront6targetE0EEEvSF_,comdat
	.protected	_ZN7rocprim17ROCPRIM_400000_NS6detail17trampoline_kernelINS0_14default_configENS1_38merge_sort_block_merge_config_selectorIhNS0_10empty_typeEEEZZNS1_27merge_sort_block_merge_implIS3_PhPS5_jNS1_19radix_merge_compareILb0ELb0EhNS0_19identity_decomposerEEEEE10hipError_tT0_T1_T2_jT3_P12ihipStream_tbPNSt15iterator_traitsISE_E10value_typeEPNSK_ISF_E10value_typeEPSG_NS1_7vsmem_tEENKUlT_SE_SF_SG_E_clIS8_S8_S9_S9_EESD_ST_SE_SF_SG_EUlST_E0_NS1_11comp_targetILNS1_3genE9ELNS1_11target_archE1100ELNS1_3gpuE3ELNS1_3repE0EEENS1_38merge_mergepath_config_static_selectorELNS0_4arch9wavefront6targetE0EEEvSF_ ; -- Begin function _ZN7rocprim17ROCPRIM_400000_NS6detail17trampoline_kernelINS0_14default_configENS1_38merge_sort_block_merge_config_selectorIhNS0_10empty_typeEEEZZNS1_27merge_sort_block_merge_implIS3_PhPS5_jNS1_19radix_merge_compareILb0ELb0EhNS0_19identity_decomposerEEEEE10hipError_tT0_T1_T2_jT3_P12ihipStream_tbPNSt15iterator_traitsISE_E10value_typeEPNSK_ISF_E10value_typeEPSG_NS1_7vsmem_tEENKUlT_SE_SF_SG_E_clIS8_S8_S9_S9_EESD_ST_SE_SF_SG_EUlST_E0_NS1_11comp_targetILNS1_3genE9ELNS1_11target_archE1100ELNS1_3gpuE3ELNS1_3repE0EEENS1_38merge_mergepath_config_static_selectorELNS0_4arch9wavefront6targetE0EEEvSF_
	.globl	_ZN7rocprim17ROCPRIM_400000_NS6detail17trampoline_kernelINS0_14default_configENS1_38merge_sort_block_merge_config_selectorIhNS0_10empty_typeEEEZZNS1_27merge_sort_block_merge_implIS3_PhPS5_jNS1_19radix_merge_compareILb0ELb0EhNS0_19identity_decomposerEEEEE10hipError_tT0_T1_T2_jT3_P12ihipStream_tbPNSt15iterator_traitsISE_E10value_typeEPNSK_ISF_E10value_typeEPSG_NS1_7vsmem_tEENKUlT_SE_SF_SG_E_clIS8_S8_S9_S9_EESD_ST_SE_SF_SG_EUlST_E0_NS1_11comp_targetILNS1_3genE9ELNS1_11target_archE1100ELNS1_3gpuE3ELNS1_3repE0EEENS1_38merge_mergepath_config_static_selectorELNS0_4arch9wavefront6targetE0EEEvSF_
	.p2align	8
	.type	_ZN7rocprim17ROCPRIM_400000_NS6detail17trampoline_kernelINS0_14default_configENS1_38merge_sort_block_merge_config_selectorIhNS0_10empty_typeEEEZZNS1_27merge_sort_block_merge_implIS3_PhPS5_jNS1_19radix_merge_compareILb0ELb0EhNS0_19identity_decomposerEEEEE10hipError_tT0_T1_T2_jT3_P12ihipStream_tbPNSt15iterator_traitsISE_E10value_typeEPNSK_ISF_E10value_typeEPSG_NS1_7vsmem_tEENKUlT_SE_SF_SG_E_clIS8_S8_S9_S9_EESD_ST_SE_SF_SG_EUlST_E0_NS1_11comp_targetILNS1_3genE9ELNS1_11target_archE1100ELNS1_3gpuE3ELNS1_3repE0EEENS1_38merge_mergepath_config_static_selectorELNS0_4arch9wavefront6targetE0EEEvSF_,@function
_ZN7rocprim17ROCPRIM_400000_NS6detail17trampoline_kernelINS0_14default_configENS1_38merge_sort_block_merge_config_selectorIhNS0_10empty_typeEEEZZNS1_27merge_sort_block_merge_implIS3_PhPS5_jNS1_19radix_merge_compareILb0ELb0EhNS0_19identity_decomposerEEEEE10hipError_tT0_T1_T2_jT3_P12ihipStream_tbPNSt15iterator_traitsISE_E10value_typeEPNSK_ISF_E10value_typeEPSG_NS1_7vsmem_tEENKUlT_SE_SF_SG_E_clIS8_S8_S9_S9_EESD_ST_SE_SF_SG_EUlST_E0_NS1_11comp_targetILNS1_3genE9ELNS1_11target_archE1100ELNS1_3gpuE3ELNS1_3repE0EEENS1_38merge_mergepath_config_static_selectorELNS0_4arch9wavefront6targetE0EEEvSF_: ; @_ZN7rocprim17ROCPRIM_400000_NS6detail17trampoline_kernelINS0_14default_configENS1_38merge_sort_block_merge_config_selectorIhNS0_10empty_typeEEEZZNS1_27merge_sort_block_merge_implIS3_PhPS5_jNS1_19radix_merge_compareILb0ELb0EhNS0_19identity_decomposerEEEEE10hipError_tT0_T1_T2_jT3_P12ihipStream_tbPNSt15iterator_traitsISE_E10value_typeEPNSK_ISF_E10value_typeEPSG_NS1_7vsmem_tEENKUlT_SE_SF_SG_E_clIS8_S8_S9_S9_EESD_ST_SE_SF_SG_EUlST_E0_NS1_11comp_targetILNS1_3genE9ELNS1_11target_archE1100ELNS1_3gpuE3ELNS1_3repE0EEENS1_38merge_mergepath_config_static_selectorELNS0_4arch9wavefront6targetE0EEEvSF_
; %bb.0:
	.section	.rodata,"a",@progbits
	.p2align	6, 0x0
	.amdhsa_kernel _ZN7rocprim17ROCPRIM_400000_NS6detail17trampoline_kernelINS0_14default_configENS1_38merge_sort_block_merge_config_selectorIhNS0_10empty_typeEEEZZNS1_27merge_sort_block_merge_implIS3_PhPS5_jNS1_19radix_merge_compareILb0ELb0EhNS0_19identity_decomposerEEEEE10hipError_tT0_T1_T2_jT3_P12ihipStream_tbPNSt15iterator_traitsISE_E10value_typeEPNSK_ISF_E10value_typeEPSG_NS1_7vsmem_tEENKUlT_SE_SF_SG_E_clIS8_S8_S9_S9_EESD_ST_SE_SF_SG_EUlST_E0_NS1_11comp_targetILNS1_3genE9ELNS1_11target_archE1100ELNS1_3gpuE3ELNS1_3repE0EEENS1_38merge_mergepath_config_static_selectorELNS0_4arch9wavefront6targetE0EEEvSF_
		.amdhsa_group_segment_fixed_size 0
		.amdhsa_private_segment_fixed_size 0
		.amdhsa_kernarg_size 64
		.amdhsa_user_sgpr_count 2
		.amdhsa_user_sgpr_dispatch_ptr 0
		.amdhsa_user_sgpr_queue_ptr 0
		.amdhsa_user_sgpr_kernarg_segment_ptr 1
		.amdhsa_user_sgpr_dispatch_id 0
		.amdhsa_user_sgpr_kernarg_preload_length 0
		.amdhsa_user_sgpr_kernarg_preload_offset 0
		.amdhsa_user_sgpr_private_segment_size 0
		.amdhsa_wavefront_size32 1
		.amdhsa_uses_dynamic_stack 0
		.amdhsa_enable_private_segment 0
		.amdhsa_system_sgpr_workgroup_id_x 1
		.amdhsa_system_sgpr_workgroup_id_y 0
		.amdhsa_system_sgpr_workgroup_id_z 0
		.amdhsa_system_sgpr_workgroup_info 0
		.amdhsa_system_vgpr_workitem_id 0
		.amdhsa_next_free_vgpr 1
		.amdhsa_next_free_sgpr 1
		.amdhsa_named_barrier_count 0
		.amdhsa_reserve_vcc 0
		.amdhsa_float_round_mode_32 0
		.amdhsa_float_round_mode_16_64 0
		.amdhsa_float_denorm_mode_32 3
		.amdhsa_float_denorm_mode_16_64 3
		.amdhsa_fp16_overflow 0
		.amdhsa_memory_ordered 1
		.amdhsa_forward_progress 1
		.amdhsa_inst_pref_size 0
		.amdhsa_round_robin_scheduling 0
		.amdhsa_exception_fp_ieee_invalid_op 0
		.amdhsa_exception_fp_denorm_src 0
		.amdhsa_exception_fp_ieee_div_zero 0
		.amdhsa_exception_fp_ieee_overflow 0
		.amdhsa_exception_fp_ieee_underflow 0
		.amdhsa_exception_fp_ieee_inexact 0
		.amdhsa_exception_int_div_zero 0
	.end_amdhsa_kernel
	.section	.text._ZN7rocprim17ROCPRIM_400000_NS6detail17trampoline_kernelINS0_14default_configENS1_38merge_sort_block_merge_config_selectorIhNS0_10empty_typeEEEZZNS1_27merge_sort_block_merge_implIS3_PhPS5_jNS1_19radix_merge_compareILb0ELb0EhNS0_19identity_decomposerEEEEE10hipError_tT0_T1_T2_jT3_P12ihipStream_tbPNSt15iterator_traitsISE_E10value_typeEPNSK_ISF_E10value_typeEPSG_NS1_7vsmem_tEENKUlT_SE_SF_SG_E_clIS8_S8_S9_S9_EESD_ST_SE_SF_SG_EUlST_E0_NS1_11comp_targetILNS1_3genE9ELNS1_11target_archE1100ELNS1_3gpuE3ELNS1_3repE0EEENS1_38merge_mergepath_config_static_selectorELNS0_4arch9wavefront6targetE0EEEvSF_,"axG",@progbits,_ZN7rocprim17ROCPRIM_400000_NS6detail17trampoline_kernelINS0_14default_configENS1_38merge_sort_block_merge_config_selectorIhNS0_10empty_typeEEEZZNS1_27merge_sort_block_merge_implIS3_PhPS5_jNS1_19radix_merge_compareILb0ELb0EhNS0_19identity_decomposerEEEEE10hipError_tT0_T1_T2_jT3_P12ihipStream_tbPNSt15iterator_traitsISE_E10value_typeEPNSK_ISF_E10value_typeEPSG_NS1_7vsmem_tEENKUlT_SE_SF_SG_E_clIS8_S8_S9_S9_EESD_ST_SE_SF_SG_EUlST_E0_NS1_11comp_targetILNS1_3genE9ELNS1_11target_archE1100ELNS1_3gpuE3ELNS1_3repE0EEENS1_38merge_mergepath_config_static_selectorELNS0_4arch9wavefront6targetE0EEEvSF_,comdat
.Lfunc_end167:
	.size	_ZN7rocprim17ROCPRIM_400000_NS6detail17trampoline_kernelINS0_14default_configENS1_38merge_sort_block_merge_config_selectorIhNS0_10empty_typeEEEZZNS1_27merge_sort_block_merge_implIS3_PhPS5_jNS1_19radix_merge_compareILb0ELb0EhNS0_19identity_decomposerEEEEE10hipError_tT0_T1_T2_jT3_P12ihipStream_tbPNSt15iterator_traitsISE_E10value_typeEPNSK_ISF_E10value_typeEPSG_NS1_7vsmem_tEENKUlT_SE_SF_SG_E_clIS8_S8_S9_S9_EESD_ST_SE_SF_SG_EUlST_E0_NS1_11comp_targetILNS1_3genE9ELNS1_11target_archE1100ELNS1_3gpuE3ELNS1_3repE0EEENS1_38merge_mergepath_config_static_selectorELNS0_4arch9wavefront6targetE0EEEvSF_, .Lfunc_end167-_ZN7rocprim17ROCPRIM_400000_NS6detail17trampoline_kernelINS0_14default_configENS1_38merge_sort_block_merge_config_selectorIhNS0_10empty_typeEEEZZNS1_27merge_sort_block_merge_implIS3_PhPS5_jNS1_19radix_merge_compareILb0ELb0EhNS0_19identity_decomposerEEEEE10hipError_tT0_T1_T2_jT3_P12ihipStream_tbPNSt15iterator_traitsISE_E10value_typeEPNSK_ISF_E10value_typeEPSG_NS1_7vsmem_tEENKUlT_SE_SF_SG_E_clIS8_S8_S9_S9_EESD_ST_SE_SF_SG_EUlST_E0_NS1_11comp_targetILNS1_3genE9ELNS1_11target_archE1100ELNS1_3gpuE3ELNS1_3repE0EEENS1_38merge_mergepath_config_static_selectorELNS0_4arch9wavefront6targetE0EEEvSF_
                                        ; -- End function
	.set _ZN7rocprim17ROCPRIM_400000_NS6detail17trampoline_kernelINS0_14default_configENS1_38merge_sort_block_merge_config_selectorIhNS0_10empty_typeEEEZZNS1_27merge_sort_block_merge_implIS3_PhPS5_jNS1_19radix_merge_compareILb0ELb0EhNS0_19identity_decomposerEEEEE10hipError_tT0_T1_T2_jT3_P12ihipStream_tbPNSt15iterator_traitsISE_E10value_typeEPNSK_ISF_E10value_typeEPSG_NS1_7vsmem_tEENKUlT_SE_SF_SG_E_clIS8_S8_S9_S9_EESD_ST_SE_SF_SG_EUlST_E0_NS1_11comp_targetILNS1_3genE9ELNS1_11target_archE1100ELNS1_3gpuE3ELNS1_3repE0EEENS1_38merge_mergepath_config_static_selectorELNS0_4arch9wavefront6targetE0EEEvSF_.num_vgpr, 0
	.set _ZN7rocprim17ROCPRIM_400000_NS6detail17trampoline_kernelINS0_14default_configENS1_38merge_sort_block_merge_config_selectorIhNS0_10empty_typeEEEZZNS1_27merge_sort_block_merge_implIS3_PhPS5_jNS1_19radix_merge_compareILb0ELb0EhNS0_19identity_decomposerEEEEE10hipError_tT0_T1_T2_jT3_P12ihipStream_tbPNSt15iterator_traitsISE_E10value_typeEPNSK_ISF_E10value_typeEPSG_NS1_7vsmem_tEENKUlT_SE_SF_SG_E_clIS8_S8_S9_S9_EESD_ST_SE_SF_SG_EUlST_E0_NS1_11comp_targetILNS1_3genE9ELNS1_11target_archE1100ELNS1_3gpuE3ELNS1_3repE0EEENS1_38merge_mergepath_config_static_selectorELNS0_4arch9wavefront6targetE0EEEvSF_.num_agpr, 0
	.set _ZN7rocprim17ROCPRIM_400000_NS6detail17trampoline_kernelINS0_14default_configENS1_38merge_sort_block_merge_config_selectorIhNS0_10empty_typeEEEZZNS1_27merge_sort_block_merge_implIS3_PhPS5_jNS1_19radix_merge_compareILb0ELb0EhNS0_19identity_decomposerEEEEE10hipError_tT0_T1_T2_jT3_P12ihipStream_tbPNSt15iterator_traitsISE_E10value_typeEPNSK_ISF_E10value_typeEPSG_NS1_7vsmem_tEENKUlT_SE_SF_SG_E_clIS8_S8_S9_S9_EESD_ST_SE_SF_SG_EUlST_E0_NS1_11comp_targetILNS1_3genE9ELNS1_11target_archE1100ELNS1_3gpuE3ELNS1_3repE0EEENS1_38merge_mergepath_config_static_selectorELNS0_4arch9wavefront6targetE0EEEvSF_.numbered_sgpr, 0
	.set _ZN7rocprim17ROCPRIM_400000_NS6detail17trampoline_kernelINS0_14default_configENS1_38merge_sort_block_merge_config_selectorIhNS0_10empty_typeEEEZZNS1_27merge_sort_block_merge_implIS3_PhPS5_jNS1_19radix_merge_compareILb0ELb0EhNS0_19identity_decomposerEEEEE10hipError_tT0_T1_T2_jT3_P12ihipStream_tbPNSt15iterator_traitsISE_E10value_typeEPNSK_ISF_E10value_typeEPSG_NS1_7vsmem_tEENKUlT_SE_SF_SG_E_clIS8_S8_S9_S9_EESD_ST_SE_SF_SG_EUlST_E0_NS1_11comp_targetILNS1_3genE9ELNS1_11target_archE1100ELNS1_3gpuE3ELNS1_3repE0EEENS1_38merge_mergepath_config_static_selectorELNS0_4arch9wavefront6targetE0EEEvSF_.num_named_barrier, 0
	.set _ZN7rocprim17ROCPRIM_400000_NS6detail17trampoline_kernelINS0_14default_configENS1_38merge_sort_block_merge_config_selectorIhNS0_10empty_typeEEEZZNS1_27merge_sort_block_merge_implIS3_PhPS5_jNS1_19radix_merge_compareILb0ELb0EhNS0_19identity_decomposerEEEEE10hipError_tT0_T1_T2_jT3_P12ihipStream_tbPNSt15iterator_traitsISE_E10value_typeEPNSK_ISF_E10value_typeEPSG_NS1_7vsmem_tEENKUlT_SE_SF_SG_E_clIS8_S8_S9_S9_EESD_ST_SE_SF_SG_EUlST_E0_NS1_11comp_targetILNS1_3genE9ELNS1_11target_archE1100ELNS1_3gpuE3ELNS1_3repE0EEENS1_38merge_mergepath_config_static_selectorELNS0_4arch9wavefront6targetE0EEEvSF_.private_seg_size, 0
	.set _ZN7rocprim17ROCPRIM_400000_NS6detail17trampoline_kernelINS0_14default_configENS1_38merge_sort_block_merge_config_selectorIhNS0_10empty_typeEEEZZNS1_27merge_sort_block_merge_implIS3_PhPS5_jNS1_19radix_merge_compareILb0ELb0EhNS0_19identity_decomposerEEEEE10hipError_tT0_T1_T2_jT3_P12ihipStream_tbPNSt15iterator_traitsISE_E10value_typeEPNSK_ISF_E10value_typeEPSG_NS1_7vsmem_tEENKUlT_SE_SF_SG_E_clIS8_S8_S9_S9_EESD_ST_SE_SF_SG_EUlST_E0_NS1_11comp_targetILNS1_3genE9ELNS1_11target_archE1100ELNS1_3gpuE3ELNS1_3repE0EEENS1_38merge_mergepath_config_static_selectorELNS0_4arch9wavefront6targetE0EEEvSF_.uses_vcc, 0
	.set _ZN7rocprim17ROCPRIM_400000_NS6detail17trampoline_kernelINS0_14default_configENS1_38merge_sort_block_merge_config_selectorIhNS0_10empty_typeEEEZZNS1_27merge_sort_block_merge_implIS3_PhPS5_jNS1_19radix_merge_compareILb0ELb0EhNS0_19identity_decomposerEEEEE10hipError_tT0_T1_T2_jT3_P12ihipStream_tbPNSt15iterator_traitsISE_E10value_typeEPNSK_ISF_E10value_typeEPSG_NS1_7vsmem_tEENKUlT_SE_SF_SG_E_clIS8_S8_S9_S9_EESD_ST_SE_SF_SG_EUlST_E0_NS1_11comp_targetILNS1_3genE9ELNS1_11target_archE1100ELNS1_3gpuE3ELNS1_3repE0EEENS1_38merge_mergepath_config_static_selectorELNS0_4arch9wavefront6targetE0EEEvSF_.uses_flat_scratch, 0
	.set _ZN7rocprim17ROCPRIM_400000_NS6detail17trampoline_kernelINS0_14default_configENS1_38merge_sort_block_merge_config_selectorIhNS0_10empty_typeEEEZZNS1_27merge_sort_block_merge_implIS3_PhPS5_jNS1_19radix_merge_compareILb0ELb0EhNS0_19identity_decomposerEEEEE10hipError_tT0_T1_T2_jT3_P12ihipStream_tbPNSt15iterator_traitsISE_E10value_typeEPNSK_ISF_E10value_typeEPSG_NS1_7vsmem_tEENKUlT_SE_SF_SG_E_clIS8_S8_S9_S9_EESD_ST_SE_SF_SG_EUlST_E0_NS1_11comp_targetILNS1_3genE9ELNS1_11target_archE1100ELNS1_3gpuE3ELNS1_3repE0EEENS1_38merge_mergepath_config_static_selectorELNS0_4arch9wavefront6targetE0EEEvSF_.has_dyn_sized_stack, 0
	.set _ZN7rocprim17ROCPRIM_400000_NS6detail17trampoline_kernelINS0_14default_configENS1_38merge_sort_block_merge_config_selectorIhNS0_10empty_typeEEEZZNS1_27merge_sort_block_merge_implIS3_PhPS5_jNS1_19radix_merge_compareILb0ELb0EhNS0_19identity_decomposerEEEEE10hipError_tT0_T1_T2_jT3_P12ihipStream_tbPNSt15iterator_traitsISE_E10value_typeEPNSK_ISF_E10value_typeEPSG_NS1_7vsmem_tEENKUlT_SE_SF_SG_E_clIS8_S8_S9_S9_EESD_ST_SE_SF_SG_EUlST_E0_NS1_11comp_targetILNS1_3genE9ELNS1_11target_archE1100ELNS1_3gpuE3ELNS1_3repE0EEENS1_38merge_mergepath_config_static_selectorELNS0_4arch9wavefront6targetE0EEEvSF_.has_recursion, 0
	.set _ZN7rocprim17ROCPRIM_400000_NS6detail17trampoline_kernelINS0_14default_configENS1_38merge_sort_block_merge_config_selectorIhNS0_10empty_typeEEEZZNS1_27merge_sort_block_merge_implIS3_PhPS5_jNS1_19radix_merge_compareILb0ELb0EhNS0_19identity_decomposerEEEEE10hipError_tT0_T1_T2_jT3_P12ihipStream_tbPNSt15iterator_traitsISE_E10value_typeEPNSK_ISF_E10value_typeEPSG_NS1_7vsmem_tEENKUlT_SE_SF_SG_E_clIS8_S8_S9_S9_EESD_ST_SE_SF_SG_EUlST_E0_NS1_11comp_targetILNS1_3genE9ELNS1_11target_archE1100ELNS1_3gpuE3ELNS1_3repE0EEENS1_38merge_mergepath_config_static_selectorELNS0_4arch9wavefront6targetE0EEEvSF_.has_indirect_call, 0
	.section	.AMDGPU.csdata,"",@progbits
; Kernel info:
; codeLenInByte = 0
; TotalNumSgprs: 0
; NumVgprs: 0
; ScratchSize: 0
; MemoryBound: 0
; FloatMode: 240
; IeeeMode: 1
; LDSByteSize: 0 bytes/workgroup (compile time only)
; SGPRBlocks: 0
; VGPRBlocks: 0
; NumSGPRsForWavesPerEU: 1
; NumVGPRsForWavesPerEU: 1
; NamedBarCnt: 0
; Occupancy: 16
; WaveLimiterHint : 0
; COMPUTE_PGM_RSRC2:SCRATCH_EN: 0
; COMPUTE_PGM_RSRC2:USER_SGPR: 2
; COMPUTE_PGM_RSRC2:TRAP_HANDLER: 0
; COMPUTE_PGM_RSRC2:TGID_X_EN: 1
; COMPUTE_PGM_RSRC2:TGID_Y_EN: 0
; COMPUTE_PGM_RSRC2:TGID_Z_EN: 0
; COMPUTE_PGM_RSRC2:TIDIG_COMP_CNT: 0
	.section	.text._ZN7rocprim17ROCPRIM_400000_NS6detail17trampoline_kernelINS0_14default_configENS1_38merge_sort_block_merge_config_selectorIhNS0_10empty_typeEEEZZNS1_27merge_sort_block_merge_implIS3_PhPS5_jNS1_19radix_merge_compareILb0ELb0EhNS0_19identity_decomposerEEEEE10hipError_tT0_T1_T2_jT3_P12ihipStream_tbPNSt15iterator_traitsISE_E10value_typeEPNSK_ISF_E10value_typeEPSG_NS1_7vsmem_tEENKUlT_SE_SF_SG_E_clIS8_S8_S9_S9_EESD_ST_SE_SF_SG_EUlST_E0_NS1_11comp_targetILNS1_3genE8ELNS1_11target_archE1030ELNS1_3gpuE2ELNS1_3repE0EEENS1_38merge_mergepath_config_static_selectorELNS0_4arch9wavefront6targetE0EEEvSF_,"axG",@progbits,_ZN7rocprim17ROCPRIM_400000_NS6detail17trampoline_kernelINS0_14default_configENS1_38merge_sort_block_merge_config_selectorIhNS0_10empty_typeEEEZZNS1_27merge_sort_block_merge_implIS3_PhPS5_jNS1_19radix_merge_compareILb0ELb0EhNS0_19identity_decomposerEEEEE10hipError_tT0_T1_T2_jT3_P12ihipStream_tbPNSt15iterator_traitsISE_E10value_typeEPNSK_ISF_E10value_typeEPSG_NS1_7vsmem_tEENKUlT_SE_SF_SG_E_clIS8_S8_S9_S9_EESD_ST_SE_SF_SG_EUlST_E0_NS1_11comp_targetILNS1_3genE8ELNS1_11target_archE1030ELNS1_3gpuE2ELNS1_3repE0EEENS1_38merge_mergepath_config_static_selectorELNS0_4arch9wavefront6targetE0EEEvSF_,comdat
	.protected	_ZN7rocprim17ROCPRIM_400000_NS6detail17trampoline_kernelINS0_14default_configENS1_38merge_sort_block_merge_config_selectorIhNS0_10empty_typeEEEZZNS1_27merge_sort_block_merge_implIS3_PhPS5_jNS1_19radix_merge_compareILb0ELb0EhNS0_19identity_decomposerEEEEE10hipError_tT0_T1_T2_jT3_P12ihipStream_tbPNSt15iterator_traitsISE_E10value_typeEPNSK_ISF_E10value_typeEPSG_NS1_7vsmem_tEENKUlT_SE_SF_SG_E_clIS8_S8_S9_S9_EESD_ST_SE_SF_SG_EUlST_E0_NS1_11comp_targetILNS1_3genE8ELNS1_11target_archE1030ELNS1_3gpuE2ELNS1_3repE0EEENS1_38merge_mergepath_config_static_selectorELNS0_4arch9wavefront6targetE0EEEvSF_ ; -- Begin function _ZN7rocprim17ROCPRIM_400000_NS6detail17trampoline_kernelINS0_14default_configENS1_38merge_sort_block_merge_config_selectorIhNS0_10empty_typeEEEZZNS1_27merge_sort_block_merge_implIS3_PhPS5_jNS1_19radix_merge_compareILb0ELb0EhNS0_19identity_decomposerEEEEE10hipError_tT0_T1_T2_jT3_P12ihipStream_tbPNSt15iterator_traitsISE_E10value_typeEPNSK_ISF_E10value_typeEPSG_NS1_7vsmem_tEENKUlT_SE_SF_SG_E_clIS8_S8_S9_S9_EESD_ST_SE_SF_SG_EUlST_E0_NS1_11comp_targetILNS1_3genE8ELNS1_11target_archE1030ELNS1_3gpuE2ELNS1_3repE0EEENS1_38merge_mergepath_config_static_selectorELNS0_4arch9wavefront6targetE0EEEvSF_
	.globl	_ZN7rocprim17ROCPRIM_400000_NS6detail17trampoline_kernelINS0_14default_configENS1_38merge_sort_block_merge_config_selectorIhNS0_10empty_typeEEEZZNS1_27merge_sort_block_merge_implIS3_PhPS5_jNS1_19radix_merge_compareILb0ELb0EhNS0_19identity_decomposerEEEEE10hipError_tT0_T1_T2_jT3_P12ihipStream_tbPNSt15iterator_traitsISE_E10value_typeEPNSK_ISF_E10value_typeEPSG_NS1_7vsmem_tEENKUlT_SE_SF_SG_E_clIS8_S8_S9_S9_EESD_ST_SE_SF_SG_EUlST_E0_NS1_11comp_targetILNS1_3genE8ELNS1_11target_archE1030ELNS1_3gpuE2ELNS1_3repE0EEENS1_38merge_mergepath_config_static_selectorELNS0_4arch9wavefront6targetE0EEEvSF_
	.p2align	8
	.type	_ZN7rocprim17ROCPRIM_400000_NS6detail17trampoline_kernelINS0_14default_configENS1_38merge_sort_block_merge_config_selectorIhNS0_10empty_typeEEEZZNS1_27merge_sort_block_merge_implIS3_PhPS5_jNS1_19radix_merge_compareILb0ELb0EhNS0_19identity_decomposerEEEEE10hipError_tT0_T1_T2_jT3_P12ihipStream_tbPNSt15iterator_traitsISE_E10value_typeEPNSK_ISF_E10value_typeEPSG_NS1_7vsmem_tEENKUlT_SE_SF_SG_E_clIS8_S8_S9_S9_EESD_ST_SE_SF_SG_EUlST_E0_NS1_11comp_targetILNS1_3genE8ELNS1_11target_archE1030ELNS1_3gpuE2ELNS1_3repE0EEENS1_38merge_mergepath_config_static_selectorELNS0_4arch9wavefront6targetE0EEEvSF_,@function
_ZN7rocprim17ROCPRIM_400000_NS6detail17trampoline_kernelINS0_14default_configENS1_38merge_sort_block_merge_config_selectorIhNS0_10empty_typeEEEZZNS1_27merge_sort_block_merge_implIS3_PhPS5_jNS1_19radix_merge_compareILb0ELb0EhNS0_19identity_decomposerEEEEE10hipError_tT0_T1_T2_jT3_P12ihipStream_tbPNSt15iterator_traitsISE_E10value_typeEPNSK_ISF_E10value_typeEPSG_NS1_7vsmem_tEENKUlT_SE_SF_SG_E_clIS8_S8_S9_S9_EESD_ST_SE_SF_SG_EUlST_E0_NS1_11comp_targetILNS1_3genE8ELNS1_11target_archE1030ELNS1_3gpuE2ELNS1_3repE0EEENS1_38merge_mergepath_config_static_selectorELNS0_4arch9wavefront6targetE0EEEvSF_: ; @_ZN7rocprim17ROCPRIM_400000_NS6detail17trampoline_kernelINS0_14default_configENS1_38merge_sort_block_merge_config_selectorIhNS0_10empty_typeEEEZZNS1_27merge_sort_block_merge_implIS3_PhPS5_jNS1_19radix_merge_compareILb0ELb0EhNS0_19identity_decomposerEEEEE10hipError_tT0_T1_T2_jT3_P12ihipStream_tbPNSt15iterator_traitsISE_E10value_typeEPNSK_ISF_E10value_typeEPSG_NS1_7vsmem_tEENKUlT_SE_SF_SG_E_clIS8_S8_S9_S9_EESD_ST_SE_SF_SG_EUlST_E0_NS1_11comp_targetILNS1_3genE8ELNS1_11target_archE1030ELNS1_3gpuE2ELNS1_3repE0EEENS1_38merge_mergepath_config_static_selectorELNS0_4arch9wavefront6targetE0EEEvSF_
; %bb.0:
	.section	.rodata,"a",@progbits
	.p2align	6, 0x0
	.amdhsa_kernel _ZN7rocprim17ROCPRIM_400000_NS6detail17trampoline_kernelINS0_14default_configENS1_38merge_sort_block_merge_config_selectorIhNS0_10empty_typeEEEZZNS1_27merge_sort_block_merge_implIS3_PhPS5_jNS1_19radix_merge_compareILb0ELb0EhNS0_19identity_decomposerEEEEE10hipError_tT0_T1_T2_jT3_P12ihipStream_tbPNSt15iterator_traitsISE_E10value_typeEPNSK_ISF_E10value_typeEPSG_NS1_7vsmem_tEENKUlT_SE_SF_SG_E_clIS8_S8_S9_S9_EESD_ST_SE_SF_SG_EUlST_E0_NS1_11comp_targetILNS1_3genE8ELNS1_11target_archE1030ELNS1_3gpuE2ELNS1_3repE0EEENS1_38merge_mergepath_config_static_selectorELNS0_4arch9wavefront6targetE0EEEvSF_
		.amdhsa_group_segment_fixed_size 0
		.amdhsa_private_segment_fixed_size 0
		.amdhsa_kernarg_size 64
		.amdhsa_user_sgpr_count 2
		.amdhsa_user_sgpr_dispatch_ptr 0
		.amdhsa_user_sgpr_queue_ptr 0
		.amdhsa_user_sgpr_kernarg_segment_ptr 1
		.amdhsa_user_sgpr_dispatch_id 0
		.amdhsa_user_sgpr_kernarg_preload_length 0
		.amdhsa_user_sgpr_kernarg_preload_offset 0
		.amdhsa_user_sgpr_private_segment_size 0
		.amdhsa_wavefront_size32 1
		.amdhsa_uses_dynamic_stack 0
		.amdhsa_enable_private_segment 0
		.amdhsa_system_sgpr_workgroup_id_x 1
		.amdhsa_system_sgpr_workgroup_id_y 0
		.amdhsa_system_sgpr_workgroup_id_z 0
		.amdhsa_system_sgpr_workgroup_info 0
		.amdhsa_system_vgpr_workitem_id 0
		.amdhsa_next_free_vgpr 1
		.amdhsa_next_free_sgpr 1
		.amdhsa_named_barrier_count 0
		.amdhsa_reserve_vcc 0
		.amdhsa_float_round_mode_32 0
		.amdhsa_float_round_mode_16_64 0
		.amdhsa_float_denorm_mode_32 3
		.amdhsa_float_denorm_mode_16_64 3
		.amdhsa_fp16_overflow 0
		.amdhsa_memory_ordered 1
		.amdhsa_forward_progress 1
		.amdhsa_inst_pref_size 0
		.amdhsa_round_robin_scheduling 0
		.amdhsa_exception_fp_ieee_invalid_op 0
		.amdhsa_exception_fp_denorm_src 0
		.amdhsa_exception_fp_ieee_div_zero 0
		.amdhsa_exception_fp_ieee_overflow 0
		.amdhsa_exception_fp_ieee_underflow 0
		.amdhsa_exception_fp_ieee_inexact 0
		.amdhsa_exception_int_div_zero 0
	.end_amdhsa_kernel
	.section	.text._ZN7rocprim17ROCPRIM_400000_NS6detail17trampoline_kernelINS0_14default_configENS1_38merge_sort_block_merge_config_selectorIhNS0_10empty_typeEEEZZNS1_27merge_sort_block_merge_implIS3_PhPS5_jNS1_19radix_merge_compareILb0ELb0EhNS0_19identity_decomposerEEEEE10hipError_tT0_T1_T2_jT3_P12ihipStream_tbPNSt15iterator_traitsISE_E10value_typeEPNSK_ISF_E10value_typeEPSG_NS1_7vsmem_tEENKUlT_SE_SF_SG_E_clIS8_S8_S9_S9_EESD_ST_SE_SF_SG_EUlST_E0_NS1_11comp_targetILNS1_3genE8ELNS1_11target_archE1030ELNS1_3gpuE2ELNS1_3repE0EEENS1_38merge_mergepath_config_static_selectorELNS0_4arch9wavefront6targetE0EEEvSF_,"axG",@progbits,_ZN7rocprim17ROCPRIM_400000_NS6detail17trampoline_kernelINS0_14default_configENS1_38merge_sort_block_merge_config_selectorIhNS0_10empty_typeEEEZZNS1_27merge_sort_block_merge_implIS3_PhPS5_jNS1_19radix_merge_compareILb0ELb0EhNS0_19identity_decomposerEEEEE10hipError_tT0_T1_T2_jT3_P12ihipStream_tbPNSt15iterator_traitsISE_E10value_typeEPNSK_ISF_E10value_typeEPSG_NS1_7vsmem_tEENKUlT_SE_SF_SG_E_clIS8_S8_S9_S9_EESD_ST_SE_SF_SG_EUlST_E0_NS1_11comp_targetILNS1_3genE8ELNS1_11target_archE1030ELNS1_3gpuE2ELNS1_3repE0EEENS1_38merge_mergepath_config_static_selectorELNS0_4arch9wavefront6targetE0EEEvSF_,comdat
.Lfunc_end168:
	.size	_ZN7rocprim17ROCPRIM_400000_NS6detail17trampoline_kernelINS0_14default_configENS1_38merge_sort_block_merge_config_selectorIhNS0_10empty_typeEEEZZNS1_27merge_sort_block_merge_implIS3_PhPS5_jNS1_19radix_merge_compareILb0ELb0EhNS0_19identity_decomposerEEEEE10hipError_tT0_T1_T2_jT3_P12ihipStream_tbPNSt15iterator_traitsISE_E10value_typeEPNSK_ISF_E10value_typeEPSG_NS1_7vsmem_tEENKUlT_SE_SF_SG_E_clIS8_S8_S9_S9_EESD_ST_SE_SF_SG_EUlST_E0_NS1_11comp_targetILNS1_3genE8ELNS1_11target_archE1030ELNS1_3gpuE2ELNS1_3repE0EEENS1_38merge_mergepath_config_static_selectorELNS0_4arch9wavefront6targetE0EEEvSF_, .Lfunc_end168-_ZN7rocprim17ROCPRIM_400000_NS6detail17trampoline_kernelINS0_14default_configENS1_38merge_sort_block_merge_config_selectorIhNS0_10empty_typeEEEZZNS1_27merge_sort_block_merge_implIS3_PhPS5_jNS1_19radix_merge_compareILb0ELb0EhNS0_19identity_decomposerEEEEE10hipError_tT0_T1_T2_jT3_P12ihipStream_tbPNSt15iterator_traitsISE_E10value_typeEPNSK_ISF_E10value_typeEPSG_NS1_7vsmem_tEENKUlT_SE_SF_SG_E_clIS8_S8_S9_S9_EESD_ST_SE_SF_SG_EUlST_E0_NS1_11comp_targetILNS1_3genE8ELNS1_11target_archE1030ELNS1_3gpuE2ELNS1_3repE0EEENS1_38merge_mergepath_config_static_selectorELNS0_4arch9wavefront6targetE0EEEvSF_
                                        ; -- End function
	.set _ZN7rocprim17ROCPRIM_400000_NS6detail17trampoline_kernelINS0_14default_configENS1_38merge_sort_block_merge_config_selectorIhNS0_10empty_typeEEEZZNS1_27merge_sort_block_merge_implIS3_PhPS5_jNS1_19radix_merge_compareILb0ELb0EhNS0_19identity_decomposerEEEEE10hipError_tT0_T1_T2_jT3_P12ihipStream_tbPNSt15iterator_traitsISE_E10value_typeEPNSK_ISF_E10value_typeEPSG_NS1_7vsmem_tEENKUlT_SE_SF_SG_E_clIS8_S8_S9_S9_EESD_ST_SE_SF_SG_EUlST_E0_NS1_11comp_targetILNS1_3genE8ELNS1_11target_archE1030ELNS1_3gpuE2ELNS1_3repE0EEENS1_38merge_mergepath_config_static_selectorELNS0_4arch9wavefront6targetE0EEEvSF_.num_vgpr, 0
	.set _ZN7rocprim17ROCPRIM_400000_NS6detail17trampoline_kernelINS0_14default_configENS1_38merge_sort_block_merge_config_selectorIhNS0_10empty_typeEEEZZNS1_27merge_sort_block_merge_implIS3_PhPS5_jNS1_19radix_merge_compareILb0ELb0EhNS0_19identity_decomposerEEEEE10hipError_tT0_T1_T2_jT3_P12ihipStream_tbPNSt15iterator_traitsISE_E10value_typeEPNSK_ISF_E10value_typeEPSG_NS1_7vsmem_tEENKUlT_SE_SF_SG_E_clIS8_S8_S9_S9_EESD_ST_SE_SF_SG_EUlST_E0_NS1_11comp_targetILNS1_3genE8ELNS1_11target_archE1030ELNS1_3gpuE2ELNS1_3repE0EEENS1_38merge_mergepath_config_static_selectorELNS0_4arch9wavefront6targetE0EEEvSF_.num_agpr, 0
	.set _ZN7rocprim17ROCPRIM_400000_NS6detail17trampoline_kernelINS0_14default_configENS1_38merge_sort_block_merge_config_selectorIhNS0_10empty_typeEEEZZNS1_27merge_sort_block_merge_implIS3_PhPS5_jNS1_19radix_merge_compareILb0ELb0EhNS0_19identity_decomposerEEEEE10hipError_tT0_T1_T2_jT3_P12ihipStream_tbPNSt15iterator_traitsISE_E10value_typeEPNSK_ISF_E10value_typeEPSG_NS1_7vsmem_tEENKUlT_SE_SF_SG_E_clIS8_S8_S9_S9_EESD_ST_SE_SF_SG_EUlST_E0_NS1_11comp_targetILNS1_3genE8ELNS1_11target_archE1030ELNS1_3gpuE2ELNS1_3repE0EEENS1_38merge_mergepath_config_static_selectorELNS0_4arch9wavefront6targetE0EEEvSF_.numbered_sgpr, 0
	.set _ZN7rocprim17ROCPRIM_400000_NS6detail17trampoline_kernelINS0_14default_configENS1_38merge_sort_block_merge_config_selectorIhNS0_10empty_typeEEEZZNS1_27merge_sort_block_merge_implIS3_PhPS5_jNS1_19radix_merge_compareILb0ELb0EhNS0_19identity_decomposerEEEEE10hipError_tT0_T1_T2_jT3_P12ihipStream_tbPNSt15iterator_traitsISE_E10value_typeEPNSK_ISF_E10value_typeEPSG_NS1_7vsmem_tEENKUlT_SE_SF_SG_E_clIS8_S8_S9_S9_EESD_ST_SE_SF_SG_EUlST_E0_NS1_11comp_targetILNS1_3genE8ELNS1_11target_archE1030ELNS1_3gpuE2ELNS1_3repE0EEENS1_38merge_mergepath_config_static_selectorELNS0_4arch9wavefront6targetE0EEEvSF_.num_named_barrier, 0
	.set _ZN7rocprim17ROCPRIM_400000_NS6detail17trampoline_kernelINS0_14default_configENS1_38merge_sort_block_merge_config_selectorIhNS0_10empty_typeEEEZZNS1_27merge_sort_block_merge_implIS3_PhPS5_jNS1_19radix_merge_compareILb0ELb0EhNS0_19identity_decomposerEEEEE10hipError_tT0_T1_T2_jT3_P12ihipStream_tbPNSt15iterator_traitsISE_E10value_typeEPNSK_ISF_E10value_typeEPSG_NS1_7vsmem_tEENKUlT_SE_SF_SG_E_clIS8_S8_S9_S9_EESD_ST_SE_SF_SG_EUlST_E0_NS1_11comp_targetILNS1_3genE8ELNS1_11target_archE1030ELNS1_3gpuE2ELNS1_3repE0EEENS1_38merge_mergepath_config_static_selectorELNS0_4arch9wavefront6targetE0EEEvSF_.private_seg_size, 0
	.set _ZN7rocprim17ROCPRIM_400000_NS6detail17trampoline_kernelINS0_14default_configENS1_38merge_sort_block_merge_config_selectorIhNS0_10empty_typeEEEZZNS1_27merge_sort_block_merge_implIS3_PhPS5_jNS1_19radix_merge_compareILb0ELb0EhNS0_19identity_decomposerEEEEE10hipError_tT0_T1_T2_jT3_P12ihipStream_tbPNSt15iterator_traitsISE_E10value_typeEPNSK_ISF_E10value_typeEPSG_NS1_7vsmem_tEENKUlT_SE_SF_SG_E_clIS8_S8_S9_S9_EESD_ST_SE_SF_SG_EUlST_E0_NS1_11comp_targetILNS1_3genE8ELNS1_11target_archE1030ELNS1_3gpuE2ELNS1_3repE0EEENS1_38merge_mergepath_config_static_selectorELNS0_4arch9wavefront6targetE0EEEvSF_.uses_vcc, 0
	.set _ZN7rocprim17ROCPRIM_400000_NS6detail17trampoline_kernelINS0_14default_configENS1_38merge_sort_block_merge_config_selectorIhNS0_10empty_typeEEEZZNS1_27merge_sort_block_merge_implIS3_PhPS5_jNS1_19radix_merge_compareILb0ELb0EhNS0_19identity_decomposerEEEEE10hipError_tT0_T1_T2_jT3_P12ihipStream_tbPNSt15iterator_traitsISE_E10value_typeEPNSK_ISF_E10value_typeEPSG_NS1_7vsmem_tEENKUlT_SE_SF_SG_E_clIS8_S8_S9_S9_EESD_ST_SE_SF_SG_EUlST_E0_NS1_11comp_targetILNS1_3genE8ELNS1_11target_archE1030ELNS1_3gpuE2ELNS1_3repE0EEENS1_38merge_mergepath_config_static_selectorELNS0_4arch9wavefront6targetE0EEEvSF_.uses_flat_scratch, 0
	.set _ZN7rocprim17ROCPRIM_400000_NS6detail17trampoline_kernelINS0_14default_configENS1_38merge_sort_block_merge_config_selectorIhNS0_10empty_typeEEEZZNS1_27merge_sort_block_merge_implIS3_PhPS5_jNS1_19radix_merge_compareILb0ELb0EhNS0_19identity_decomposerEEEEE10hipError_tT0_T1_T2_jT3_P12ihipStream_tbPNSt15iterator_traitsISE_E10value_typeEPNSK_ISF_E10value_typeEPSG_NS1_7vsmem_tEENKUlT_SE_SF_SG_E_clIS8_S8_S9_S9_EESD_ST_SE_SF_SG_EUlST_E0_NS1_11comp_targetILNS1_3genE8ELNS1_11target_archE1030ELNS1_3gpuE2ELNS1_3repE0EEENS1_38merge_mergepath_config_static_selectorELNS0_4arch9wavefront6targetE0EEEvSF_.has_dyn_sized_stack, 0
	.set _ZN7rocprim17ROCPRIM_400000_NS6detail17trampoline_kernelINS0_14default_configENS1_38merge_sort_block_merge_config_selectorIhNS0_10empty_typeEEEZZNS1_27merge_sort_block_merge_implIS3_PhPS5_jNS1_19radix_merge_compareILb0ELb0EhNS0_19identity_decomposerEEEEE10hipError_tT0_T1_T2_jT3_P12ihipStream_tbPNSt15iterator_traitsISE_E10value_typeEPNSK_ISF_E10value_typeEPSG_NS1_7vsmem_tEENKUlT_SE_SF_SG_E_clIS8_S8_S9_S9_EESD_ST_SE_SF_SG_EUlST_E0_NS1_11comp_targetILNS1_3genE8ELNS1_11target_archE1030ELNS1_3gpuE2ELNS1_3repE0EEENS1_38merge_mergepath_config_static_selectorELNS0_4arch9wavefront6targetE0EEEvSF_.has_recursion, 0
	.set _ZN7rocprim17ROCPRIM_400000_NS6detail17trampoline_kernelINS0_14default_configENS1_38merge_sort_block_merge_config_selectorIhNS0_10empty_typeEEEZZNS1_27merge_sort_block_merge_implIS3_PhPS5_jNS1_19radix_merge_compareILb0ELb0EhNS0_19identity_decomposerEEEEE10hipError_tT0_T1_T2_jT3_P12ihipStream_tbPNSt15iterator_traitsISE_E10value_typeEPNSK_ISF_E10value_typeEPSG_NS1_7vsmem_tEENKUlT_SE_SF_SG_E_clIS8_S8_S9_S9_EESD_ST_SE_SF_SG_EUlST_E0_NS1_11comp_targetILNS1_3genE8ELNS1_11target_archE1030ELNS1_3gpuE2ELNS1_3repE0EEENS1_38merge_mergepath_config_static_selectorELNS0_4arch9wavefront6targetE0EEEvSF_.has_indirect_call, 0
	.section	.AMDGPU.csdata,"",@progbits
; Kernel info:
; codeLenInByte = 0
; TotalNumSgprs: 0
; NumVgprs: 0
; ScratchSize: 0
; MemoryBound: 0
; FloatMode: 240
; IeeeMode: 1
; LDSByteSize: 0 bytes/workgroup (compile time only)
; SGPRBlocks: 0
; VGPRBlocks: 0
; NumSGPRsForWavesPerEU: 1
; NumVGPRsForWavesPerEU: 1
; NamedBarCnt: 0
; Occupancy: 16
; WaveLimiterHint : 0
; COMPUTE_PGM_RSRC2:SCRATCH_EN: 0
; COMPUTE_PGM_RSRC2:USER_SGPR: 2
; COMPUTE_PGM_RSRC2:TRAP_HANDLER: 0
; COMPUTE_PGM_RSRC2:TGID_X_EN: 1
; COMPUTE_PGM_RSRC2:TGID_Y_EN: 0
; COMPUTE_PGM_RSRC2:TGID_Z_EN: 0
; COMPUTE_PGM_RSRC2:TIDIG_COMP_CNT: 0
	.section	.text._ZN7rocprim17ROCPRIM_400000_NS6detail17trampoline_kernelINS0_14default_configENS1_38merge_sort_block_merge_config_selectorIhNS0_10empty_typeEEEZZNS1_27merge_sort_block_merge_implIS3_PhPS5_jNS1_19radix_merge_compareILb0ELb0EhNS0_19identity_decomposerEEEEE10hipError_tT0_T1_T2_jT3_P12ihipStream_tbPNSt15iterator_traitsISE_E10value_typeEPNSK_ISF_E10value_typeEPSG_NS1_7vsmem_tEENKUlT_SE_SF_SG_E_clIS8_S8_S9_S9_EESD_ST_SE_SF_SG_EUlST_E1_NS1_11comp_targetILNS1_3genE0ELNS1_11target_archE4294967295ELNS1_3gpuE0ELNS1_3repE0EEENS1_36merge_oddeven_config_static_selectorELNS0_4arch9wavefront6targetE0EEEvSF_,"axG",@progbits,_ZN7rocprim17ROCPRIM_400000_NS6detail17trampoline_kernelINS0_14default_configENS1_38merge_sort_block_merge_config_selectorIhNS0_10empty_typeEEEZZNS1_27merge_sort_block_merge_implIS3_PhPS5_jNS1_19radix_merge_compareILb0ELb0EhNS0_19identity_decomposerEEEEE10hipError_tT0_T1_T2_jT3_P12ihipStream_tbPNSt15iterator_traitsISE_E10value_typeEPNSK_ISF_E10value_typeEPSG_NS1_7vsmem_tEENKUlT_SE_SF_SG_E_clIS8_S8_S9_S9_EESD_ST_SE_SF_SG_EUlST_E1_NS1_11comp_targetILNS1_3genE0ELNS1_11target_archE4294967295ELNS1_3gpuE0ELNS1_3repE0EEENS1_36merge_oddeven_config_static_selectorELNS0_4arch9wavefront6targetE0EEEvSF_,comdat
	.protected	_ZN7rocprim17ROCPRIM_400000_NS6detail17trampoline_kernelINS0_14default_configENS1_38merge_sort_block_merge_config_selectorIhNS0_10empty_typeEEEZZNS1_27merge_sort_block_merge_implIS3_PhPS5_jNS1_19radix_merge_compareILb0ELb0EhNS0_19identity_decomposerEEEEE10hipError_tT0_T1_T2_jT3_P12ihipStream_tbPNSt15iterator_traitsISE_E10value_typeEPNSK_ISF_E10value_typeEPSG_NS1_7vsmem_tEENKUlT_SE_SF_SG_E_clIS8_S8_S9_S9_EESD_ST_SE_SF_SG_EUlST_E1_NS1_11comp_targetILNS1_3genE0ELNS1_11target_archE4294967295ELNS1_3gpuE0ELNS1_3repE0EEENS1_36merge_oddeven_config_static_selectorELNS0_4arch9wavefront6targetE0EEEvSF_ ; -- Begin function _ZN7rocprim17ROCPRIM_400000_NS6detail17trampoline_kernelINS0_14default_configENS1_38merge_sort_block_merge_config_selectorIhNS0_10empty_typeEEEZZNS1_27merge_sort_block_merge_implIS3_PhPS5_jNS1_19radix_merge_compareILb0ELb0EhNS0_19identity_decomposerEEEEE10hipError_tT0_T1_T2_jT3_P12ihipStream_tbPNSt15iterator_traitsISE_E10value_typeEPNSK_ISF_E10value_typeEPSG_NS1_7vsmem_tEENKUlT_SE_SF_SG_E_clIS8_S8_S9_S9_EESD_ST_SE_SF_SG_EUlST_E1_NS1_11comp_targetILNS1_3genE0ELNS1_11target_archE4294967295ELNS1_3gpuE0ELNS1_3repE0EEENS1_36merge_oddeven_config_static_selectorELNS0_4arch9wavefront6targetE0EEEvSF_
	.globl	_ZN7rocprim17ROCPRIM_400000_NS6detail17trampoline_kernelINS0_14default_configENS1_38merge_sort_block_merge_config_selectorIhNS0_10empty_typeEEEZZNS1_27merge_sort_block_merge_implIS3_PhPS5_jNS1_19radix_merge_compareILb0ELb0EhNS0_19identity_decomposerEEEEE10hipError_tT0_T1_T2_jT3_P12ihipStream_tbPNSt15iterator_traitsISE_E10value_typeEPNSK_ISF_E10value_typeEPSG_NS1_7vsmem_tEENKUlT_SE_SF_SG_E_clIS8_S8_S9_S9_EESD_ST_SE_SF_SG_EUlST_E1_NS1_11comp_targetILNS1_3genE0ELNS1_11target_archE4294967295ELNS1_3gpuE0ELNS1_3repE0EEENS1_36merge_oddeven_config_static_selectorELNS0_4arch9wavefront6targetE0EEEvSF_
	.p2align	8
	.type	_ZN7rocprim17ROCPRIM_400000_NS6detail17trampoline_kernelINS0_14default_configENS1_38merge_sort_block_merge_config_selectorIhNS0_10empty_typeEEEZZNS1_27merge_sort_block_merge_implIS3_PhPS5_jNS1_19radix_merge_compareILb0ELb0EhNS0_19identity_decomposerEEEEE10hipError_tT0_T1_T2_jT3_P12ihipStream_tbPNSt15iterator_traitsISE_E10value_typeEPNSK_ISF_E10value_typeEPSG_NS1_7vsmem_tEENKUlT_SE_SF_SG_E_clIS8_S8_S9_S9_EESD_ST_SE_SF_SG_EUlST_E1_NS1_11comp_targetILNS1_3genE0ELNS1_11target_archE4294967295ELNS1_3gpuE0ELNS1_3repE0EEENS1_36merge_oddeven_config_static_selectorELNS0_4arch9wavefront6targetE0EEEvSF_,@function
_ZN7rocprim17ROCPRIM_400000_NS6detail17trampoline_kernelINS0_14default_configENS1_38merge_sort_block_merge_config_selectorIhNS0_10empty_typeEEEZZNS1_27merge_sort_block_merge_implIS3_PhPS5_jNS1_19radix_merge_compareILb0ELb0EhNS0_19identity_decomposerEEEEE10hipError_tT0_T1_T2_jT3_P12ihipStream_tbPNSt15iterator_traitsISE_E10value_typeEPNSK_ISF_E10value_typeEPSG_NS1_7vsmem_tEENKUlT_SE_SF_SG_E_clIS8_S8_S9_S9_EESD_ST_SE_SF_SG_EUlST_E1_NS1_11comp_targetILNS1_3genE0ELNS1_11target_archE4294967295ELNS1_3gpuE0ELNS1_3repE0EEENS1_36merge_oddeven_config_static_selectorELNS0_4arch9wavefront6targetE0EEEvSF_: ; @_ZN7rocprim17ROCPRIM_400000_NS6detail17trampoline_kernelINS0_14default_configENS1_38merge_sort_block_merge_config_selectorIhNS0_10empty_typeEEEZZNS1_27merge_sort_block_merge_implIS3_PhPS5_jNS1_19radix_merge_compareILb0ELb0EhNS0_19identity_decomposerEEEEE10hipError_tT0_T1_T2_jT3_P12ihipStream_tbPNSt15iterator_traitsISE_E10value_typeEPNSK_ISF_E10value_typeEPSG_NS1_7vsmem_tEENKUlT_SE_SF_SG_E_clIS8_S8_S9_S9_EESD_ST_SE_SF_SG_EUlST_E1_NS1_11comp_targetILNS1_3genE0ELNS1_11target_archE4294967295ELNS1_3gpuE0ELNS1_3repE0EEENS1_36merge_oddeven_config_static_selectorELNS0_4arch9wavefront6targetE0EEEvSF_
; %bb.0:
	s_load_b32 s10, s[0:1], 0x20
	s_bfe_u32 s2, ttmp6, 0x4000c
	s_and_b32 s3, ttmp6, 15
	s_add_co_i32 s2, s2, 1
	s_getreg_b32 s4, hwreg(HW_REG_IB_STS2, 6, 4)
	s_mul_i32 s2, ttmp9, s2
	s_mov_b32 s9, 0
	s_add_co_i32 s3, s3, s2
	s_cmp_eq_u32 s4, 0
	s_cselect_b32 s13, ttmp9, s3
	s_wait_kmcnt 0x0
	s_lshr_b32 s2, s10, 8
	s_delay_alu instid0(SALU_CYCLE_1) | instskip(SKIP_4) | instid1(SALU_CYCLE_1)
	s_cmp_lg_u32 s13, s2
	s_cselect_b32 s3, -1, 0
	s_cmp_eq_u32 s13, s2
	s_cselect_b32 s11, -1, 0
	s_lshl_b32 s8, s13, 8
	s_sub_co_i32 s2, s10, s8
	s_delay_alu instid0(SALU_CYCLE_1) | instskip(SKIP_1) | instid1(SALU_CYCLE_1)
	v_cmp_gt_u32_e64 s2, s2, v0
	s_or_b32 s4, s3, s2
	s_and_saveexec_b32 s5, s4
	s_cbranch_execz .LBB169_20
; %bb.1:
	s_clause 0x1
	s_load_b128 s[4:7], s[0:1], 0x0
	s_load_b32 s12, s[0:1], 0x24
	v_add_nc_u32_e32 v2, s8, v0
	s_wait_kmcnt 0x0
	s_add_nc_u64 s[0:1], s[4:5], s[8:9]
	global_load_u8 v1, v0, s[0:1]
	s_wait_xcnt 0x0
	s_lshr_b32 s0, s12, 8
	s_delay_alu instid0(SALU_CYCLE_1) | instskip(NEXT) | instid1(SALU_CYCLE_1)
	s_sub_co_i32 s1, 0, s0
	s_and_b32 s1, s13, s1
	s_delay_alu instid0(SALU_CYCLE_1) | instskip(SKIP_4) | instid1(SALU_CYCLE_1)
	s_and_b32 s0, s1, s0
	s_lshl_b32 s13, s1, 8
	s_sub_co_i32 s1, 0, s12
	s_cmp_eq_u32 s0, 0
	s_cselect_b32 s0, -1, 0
	s_and_b32 s14, s0, exec_lo
	s_cselect_b32 s1, s12, s1
	s_delay_alu instid0(SALU_CYCLE_1) | instskip(NEXT) | instid1(SALU_CYCLE_1)
	s_add_co_i32 s1, s1, s13
	s_cmp_gt_u32 s10, s1
	s_cbranch_scc1 .LBB169_3
; %bb.2:
	v_cmp_gt_u32_e32 vcc_lo, s10, v2
	s_or_b32 s8, vcc_lo, s3
	s_delay_alu instid0(SALU_CYCLE_1)
	s_and_b32 s9, s8, exec_lo
	s_cbranch_execz .LBB169_4
	s_branch .LBB169_18
.LBB169_3:
.LBB169_4:
	s_min_u32 s3, s1, s10
	s_and_b32 vcc_lo, exec_lo, s11
	s_add_co_i32 s8, s13, s3
	s_add_co_i32 s12, s3, s12
	v_subrev_nc_u32_e32 v0, s8, v2
	s_min_u32 s8, s13, s3
	s_delay_alu instid0(VALU_DEP_1) | instid1(SALU_CYCLE_1)
	v_add_nc_u32_e32 v0, s8, v0
	s_min_u32 s8, s12, s10
	s_cbranch_vccz .LBB169_12
; %bb.5:
                                        ; implicit-def: $vgpr2
	s_and_saveexec_b32 s10, s2
	s_cbranch_execz .LBB169_11
; %bb.6:
	v_mov_b32_e32 v2, s3
	s_cmp_ge_u32 s1, s8
	s_cbranch_scc1 .LBB169_10
; %bb.7:
	v_dual_mov_b32 v3, s8 :: v_dual_mov_b32 v2, s3
	s_wait_loadcnt 0x0
	v_and_b32_e32 v4, 0xff, v1
	s_mov_b32 s2, 0
.LBB169_8:                              ; =>This Inner Loop Header: Depth=1
	s_delay_alu instid0(VALU_DEP_2) | instskip(NEXT) | instid1(VALU_DEP_1)
	v_add_nc_u32_e32 v5, v2, v3
	v_lshrrev_b32_e32 v5, 1, v5
	global_load_u8 v6, v5, s[4:5]
	s_wait_loadcnt 0x0
	v_cmp_gt_u16_e32 vcc_lo, v4, v6
	v_cndmask_b32_e64 v7, 0, 1, vcc_lo
	v_cmp_le_u16_e32 vcc_lo, v6, v4
	v_cndmask_b32_e64 v6, 0, 1, vcc_lo
	s_delay_alu instid0(VALU_DEP_1) | instskip(NEXT) | instid1(VALU_DEP_1)
	v_cndmask_b32_e64 v6, v6, v7, s0
	v_and_b32_e32 v6, 1, v6
	s_delay_alu instid0(VALU_DEP_1) | instskip(SKIP_1) | instid1(VALU_DEP_1)
	v_cmp_eq_u32_e32 vcc_lo, 1, v6
	v_dual_add_nc_u32 v7, 1, v5 :: v_dual_cndmask_b32 v3, v5, v3, vcc_lo
	v_cndmask_b32_e32 v2, v2, v7, vcc_lo
	s_delay_alu instid0(VALU_DEP_1) | instskip(SKIP_1) | instid1(SALU_CYCLE_1)
	v_cmp_ge_u32_e32 vcc_lo, v2, v3
	s_or_b32 s2, vcc_lo, s2
	s_and_not1_b32 exec_lo, exec_lo, s2
	s_cbranch_execnz .LBB169_8
; %bb.9:
	s_or_b32 exec_lo, exec_lo, s2
.LBB169_10:
	s_delay_alu instid0(VALU_DEP_1)
	v_add_nc_u32_e32 v2, v2, v0
	s_or_b32 s9, s9, exec_lo
.LBB169_11:
	s_or_b32 exec_lo, exec_lo, s10
	s_branch .LBB169_18
.LBB169_12:
                                        ; implicit-def: $vgpr2
	s_cbranch_execz .LBB169_18
; %bb.13:
	v_mov_b32_e32 v2, s3
	s_cmp_ge_u32 s1, s8
	s_cbranch_scc1 .LBB169_17
; %bb.14:
	v_dual_mov_b32 v3, s8 :: v_dual_mov_b32 v2, s3
	s_wait_loadcnt 0x0
	v_and_b32_e32 v4, 0xff, v1
	s_mov_b32 s1, 0
.LBB169_15:                             ; =>This Inner Loop Header: Depth=1
	s_delay_alu instid0(VALU_DEP_2) | instskip(NEXT) | instid1(VALU_DEP_1)
	v_add_nc_u32_e32 v5, v2, v3
	v_lshrrev_b32_e32 v5, 1, v5
	global_load_u8 v6, v5, s[4:5]
	s_wait_loadcnt 0x0
	v_cmp_gt_u16_e32 vcc_lo, v4, v6
	v_cndmask_b32_e64 v7, 0, 1, vcc_lo
	v_cmp_le_u16_e32 vcc_lo, v6, v4
	v_cndmask_b32_e64 v6, 0, 1, vcc_lo
	s_delay_alu instid0(VALU_DEP_1) | instskip(NEXT) | instid1(VALU_DEP_1)
	v_cndmask_b32_e64 v6, v6, v7, s0
	v_and_b32_e32 v6, 1, v6
	s_delay_alu instid0(VALU_DEP_1) | instskip(SKIP_1) | instid1(VALU_DEP_1)
	v_cmp_eq_u32_e32 vcc_lo, 1, v6
	v_dual_add_nc_u32 v7, 1, v5 :: v_dual_cndmask_b32 v3, v5, v3, vcc_lo
	v_cndmask_b32_e32 v2, v2, v7, vcc_lo
	s_delay_alu instid0(VALU_DEP_1) | instskip(SKIP_1) | instid1(SALU_CYCLE_1)
	v_cmp_ge_u32_e32 vcc_lo, v2, v3
	s_or_b32 s1, vcc_lo, s1
	s_and_not1_b32 exec_lo, exec_lo, s1
	s_cbranch_execnz .LBB169_15
; %bb.16:
	s_or_b32 exec_lo, exec_lo, s1
.LBB169_17:
	s_delay_alu instid0(VALU_DEP_1)
	v_add_nc_u32_e32 v2, v2, v0
	s_mov_b32 s9, -1
.LBB169_18:
	s_delay_alu instid0(SALU_CYCLE_1)
	s_and_b32 exec_lo, exec_lo, s9
	s_cbranch_execz .LBB169_20
; %bb.19:
	s_wait_loadcnt 0x0
	global_store_b8 v2, v1, s[6:7]
.LBB169_20:
	s_endpgm
	.section	.rodata,"a",@progbits
	.p2align	6, 0x0
	.amdhsa_kernel _ZN7rocprim17ROCPRIM_400000_NS6detail17trampoline_kernelINS0_14default_configENS1_38merge_sort_block_merge_config_selectorIhNS0_10empty_typeEEEZZNS1_27merge_sort_block_merge_implIS3_PhPS5_jNS1_19radix_merge_compareILb0ELb0EhNS0_19identity_decomposerEEEEE10hipError_tT0_T1_T2_jT3_P12ihipStream_tbPNSt15iterator_traitsISE_E10value_typeEPNSK_ISF_E10value_typeEPSG_NS1_7vsmem_tEENKUlT_SE_SF_SG_E_clIS8_S8_S9_S9_EESD_ST_SE_SF_SG_EUlST_E1_NS1_11comp_targetILNS1_3genE0ELNS1_11target_archE4294967295ELNS1_3gpuE0ELNS1_3repE0EEENS1_36merge_oddeven_config_static_selectorELNS0_4arch9wavefront6targetE0EEEvSF_
		.amdhsa_group_segment_fixed_size 0
		.amdhsa_private_segment_fixed_size 0
		.amdhsa_kernarg_size 48
		.amdhsa_user_sgpr_count 2
		.amdhsa_user_sgpr_dispatch_ptr 0
		.amdhsa_user_sgpr_queue_ptr 0
		.amdhsa_user_sgpr_kernarg_segment_ptr 1
		.amdhsa_user_sgpr_dispatch_id 0
		.amdhsa_user_sgpr_kernarg_preload_length 0
		.amdhsa_user_sgpr_kernarg_preload_offset 0
		.amdhsa_user_sgpr_private_segment_size 0
		.amdhsa_wavefront_size32 1
		.amdhsa_uses_dynamic_stack 0
		.amdhsa_enable_private_segment 0
		.amdhsa_system_sgpr_workgroup_id_x 1
		.amdhsa_system_sgpr_workgroup_id_y 0
		.amdhsa_system_sgpr_workgroup_id_z 0
		.amdhsa_system_sgpr_workgroup_info 0
		.amdhsa_system_vgpr_workitem_id 0
		.amdhsa_next_free_vgpr 8
		.amdhsa_next_free_sgpr 15
		.amdhsa_named_barrier_count 0
		.amdhsa_reserve_vcc 1
		.amdhsa_float_round_mode_32 0
		.amdhsa_float_round_mode_16_64 0
		.amdhsa_float_denorm_mode_32 3
		.amdhsa_float_denorm_mode_16_64 3
		.amdhsa_fp16_overflow 0
		.amdhsa_memory_ordered 1
		.amdhsa_forward_progress 1
		.amdhsa_inst_pref_size 6
		.amdhsa_round_robin_scheduling 0
		.amdhsa_exception_fp_ieee_invalid_op 0
		.amdhsa_exception_fp_denorm_src 0
		.amdhsa_exception_fp_ieee_div_zero 0
		.amdhsa_exception_fp_ieee_overflow 0
		.amdhsa_exception_fp_ieee_underflow 0
		.amdhsa_exception_fp_ieee_inexact 0
		.amdhsa_exception_int_div_zero 0
	.end_amdhsa_kernel
	.section	.text._ZN7rocprim17ROCPRIM_400000_NS6detail17trampoline_kernelINS0_14default_configENS1_38merge_sort_block_merge_config_selectorIhNS0_10empty_typeEEEZZNS1_27merge_sort_block_merge_implIS3_PhPS5_jNS1_19radix_merge_compareILb0ELb0EhNS0_19identity_decomposerEEEEE10hipError_tT0_T1_T2_jT3_P12ihipStream_tbPNSt15iterator_traitsISE_E10value_typeEPNSK_ISF_E10value_typeEPSG_NS1_7vsmem_tEENKUlT_SE_SF_SG_E_clIS8_S8_S9_S9_EESD_ST_SE_SF_SG_EUlST_E1_NS1_11comp_targetILNS1_3genE0ELNS1_11target_archE4294967295ELNS1_3gpuE0ELNS1_3repE0EEENS1_36merge_oddeven_config_static_selectorELNS0_4arch9wavefront6targetE0EEEvSF_,"axG",@progbits,_ZN7rocprim17ROCPRIM_400000_NS6detail17trampoline_kernelINS0_14default_configENS1_38merge_sort_block_merge_config_selectorIhNS0_10empty_typeEEEZZNS1_27merge_sort_block_merge_implIS3_PhPS5_jNS1_19radix_merge_compareILb0ELb0EhNS0_19identity_decomposerEEEEE10hipError_tT0_T1_T2_jT3_P12ihipStream_tbPNSt15iterator_traitsISE_E10value_typeEPNSK_ISF_E10value_typeEPSG_NS1_7vsmem_tEENKUlT_SE_SF_SG_E_clIS8_S8_S9_S9_EESD_ST_SE_SF_SG_EUlST_E1_NS1_11comp_targetILNS1_3genE0ELNS1_11target_archE4294967295ELNS1_3gpuE0ELNS1_3repE0EEENS1_36merge_oddeven_config_static_selectorELNS0_4arch9wavefront6targetE0EEEvSF_,comdat
.Lfunc_end169:
	.size	_ZN7rocprim17ROCPRIM_400000_NS6detail17trampoline_kernelINS0_14default_configENS1_38merge_sort_block_merge_config_selectorIhNS0_10empty_typeEEEZZNS1_27merge_sort_block_merge_implIS3_PhPS5_jNS1_19radix_merge_compareILb0ELb0EhNS0_19identity_decomposerEEEEE10hipError_tT0_T1_T2_jT3_P12ihipStream_tbPNSt15iterator_traitsISE_E10value_typeEPNSK_ISF_E10value_typeEPSG_NS1_7vsmem_tEENKUlT_SE_SF_SG_E_clIS8_S8_S9_S9_EESD_ST_SE_SF_SG_EUlST_E1_NS1_11comp_targetILNS1_3genE0ELNS1_11target_archE4294967295ELNS1_3gpuE0ELNS1_3repE0EEENS1_36merge_oddeven_config_static_selectorELNS0_4arch9wavefront6targetE0EEEvSF_, .Lfunc_end169-_ZN7rocprim17ROCPRIM_400000_NS6detail17trampoline_kernelINS0_14default_configENS1_38merge_sort_block_merge_config_selectorIhNS0_10empty_typeEEEZZNS1_27merge_sort_block_merge_implIS3_PhPS5_jNS1_19radix_merge_compareILb0ELb0EhNS0_19identity_decomposerEEEEE10hipError_tT0_T1_T2_jT3_P12ihipStream_tbPNSt15iterator_traitsISE_E10value_typeEPNSK_ISF_E10value_typeEPSG_NS1_7vsmem_tEENKUlT_SE_SF_SG_E_clIS8_S8_S9_S9_EESD_ST_SE_SF_SG_EUlST_E1_NS1_11comp_targetILNS1_3genE0ELNS1_11target_archE4294967295ELNS1_3gpuE0ELNS1_3repE0EEENS1_36merge_oddeven_config_static_selectorELNS0_4arch9wavefront6targetE0EEEvSF_
                                        ; -- End function
	.set _ZN7rocprim17ROCPRIM_400000_NS6detail17trampoline_kernelINS0_14default_configENS1_38merge_sort_block_merge_config_selectorIhNS0_10empty_typeEEEZZNS1_27merge_sort_block_merge_implIS3_PhPS5_jNS1_19radix_merge_compareILb0ELb0EhNS0_19identity_decomposerEEEEE10hipError_tT0_T1_T2_jT3_P12ihipStream_tbPNSt15iterator_traitsISE_E10value_typeEPNSK_ISF_E10value_typeEPSG_NS1_7vsmem_tEENKUlT_SE_SF_SG_E_clIS8_S8_S9_S9_EESD_ST_SE_SF_SG_EUlST_E1_NS1_11comp_targetILNS1_3genE0ELNS1_11target_archE4294967295ELNS1_3gpuE0ELNS1_3repE0EEENS1_36merge_oddeven_config_static_selectorELNS0_4arch9wavefront6targetE0EEEvSF_.num_vgpr, 8
	.set _ZN7rocprim17ROCPRIM_400000_NS6detail17trampoline_kernelINS0_14default_configENS1_38merge_sort_block_merge_config_selectorIhNS0_10empty_typeEEEZZNS1_27merge_sort_block_merge_implIS3_PhPS5_jNS1_19radix_merge_compareILb0ELb0EhNS0_19identity_decomposerEEEEE10hipError_tT0_T1_T2_jT3_P12ihipStream_tbPNSt15iterator_traitsISE_E10value_typeEPNSK_ISF_E10value_typeEPSG_NS1_7vsmem_tEENKUlT_SE_SF_SG_E_clIS8_S8_S9_S9_EESD_ST_SE_SF_SG_EUlST_E1_NS1_11comp_targetILNS1_3genE0ELNS1_11target_archE4294967295ELNS1_3gpuE0ELNS1_3repE0EEENS1_36merge_oddeven_config_static_selectorELNS0_4arch9wavefront6targetE0EEEvSF_.num_agpr, 0
	.set _ZN7rocprim17ROCPRIM_400000_NS6detail17trampoline_kernelINS0_14default_configENS1_38merge_sort_block_merge_config_selectorIhNS0_10empty_typeEEEZZNS1_27merge_sort_block_merge_implIS3_PhPS5_jNS1_19radix_merge_compareILb0ELb0EhNS0_19identity_decomposerEEEEE10hipError_tT0_T1_T2_jT3_P12ihipStream_tbPNSt15iterator_traitsISE_E10value_typeEPNSK_ISF_E10value_typeEPSG_NS1_7vsmem_tEENKUlT_SE_SF_SG_E_clIS8_S8_S9_S9_EESD_ST_SE_SF_SG_EUlST_E1_NS1_11comp_targetILNS1_3genE0ELNS1_11target_archE4294967295ELNS1_3gpuE0ELNS1_3repE0EEENS1_36merge_oddeven_config_static_selectorELNS0_4arch9wavefront6targetE0EEEvSF_.numbered_sgpr, 15
	.set _ZN7rocprim17ROCPRIM_400000_NS6detail17trampoline_kernelINS0_14default_configENS1_38merge_sort_block_merge_config_selectorIhNS0_10empty_typeEEEZZNS1_27merge_sort_block_merge_implIS3_PhPS5_jNS1_19radix_merge_compareILb0ELb0EhNS0_19identity_decomposerEEEEE10hipError_tT0_T1_T2_jT3_P12ihipStream_tbPNSt15iterator_traitsISE_E10value_typeEPNSK_ISF_E10value_typeEPSG_NS1_7vsmem_tEENKUlT_SE_SF_SG_E_clIS8_S8_S9_S9_EESD_ST_SE_SF_SG_EUlST_E1_NS1_11comp_targetILNS1_3genE0ELNS1_11target_archE4294967295ELNS1_3gpuE0ELNS1_3repE0EEENS1_36merge_oddeven_config_static_selectorELNS0_4arch9wavefront6targetE0EEEvSF_.num_named_barrier, 0
	.set _ZN7rocprim17ROCPRIM_400000_NS6detail17trampoline_kernelINS0_14default_configENS1_38merge_sort_block_merge_config_selectorIhNS0_10empty_typeEEEZZNS1_27merge_sort_block_merge_implIS3_PhPS5_jNS1_19radix_merge_compareILb0ELb0EhNS0_19identity_decomposerEEEEE10hipError_tT0_T1_T2_jT3_P12ihipStream_tbPNSt15iterator_traitsISE_E10value_typeEPNSK_ISF_E10value_typeEPSG_NS1_7vsmem_tEENKUlT_SE_SF_SG_E_clIS8_S8_S9_S9_EESD_ST_SE_SF_SG_EUlST_E1_NS1_11comp_targetILNS1_3genE0ELNS1_11target_archE4294967295ELNS1_3gpuE0ELNS1_3repE0EEENS1_36merge_oddeven_config_static_selectorELNS0_4arch9wavefront6targetE0EEEvSF_.private_seg_size, 0
	.set _ZN7rocprim17ROCPRIM_400000_NS6detail17trampoline_kernelINS0_14default_configENS1_38merge_sort_block_merge_config_selectorIhNS0_10empty_typeEEEZZNS1_27merge_sort_block_merge_implIS3_PhPS5_jNS1_19radix_merge_compareILb0ELb0EhNS0_19identity_decomposerEEEEE10hipError_tT0_T1_T2_jT3_P12ihipStream_tbPNSt15iterator_traitsISE_E10value_typeEPNSK_ISF_E10value_typeEPSG_NS1_7vsmem_tEENKUlT_SE_SF_SG_E_clIS8_S8_S9_S9_EESD_ST_SE_SF_SG_EUlST_E1_NS1_11comp_targetILNS1_3genE0ELNS1_11target_archE4294967295ELNS1_3gpuE0ELNS1_3repE0EEENS1_36merge_oddeven_config_static_selectorELNS0_4arch9wavefront6targetE0EEEvSF_.uses_vcc, 1
	.set _ZN7rocprim17ROCPRIM_400000_NS6detail17trampoline_kernelINS0_14default_configENS1_38merge_sort_block_merge_config_selectorIhNS0_10empty_typeEEEZZNS1_27merge_sort_block_merge_implIS3_PhPS5_jNS1_19radix_merge_compareILb0ELb0EhNS0_19identity_decomposerEEEEE10hipError_tT0_T1_T2_jT3_P12ihipStream_tbPNSt15iterator_traitsISE_E10value_typeEPNSK_ISF_E10value_typeEPSG_NS1_7vsmem_tEENKUlT_SE_SF_SG_E_clIS8_S8_S9_S9_EESD_ST_SE_SF_SG_EUlST_E1_NS1_11comp_targetILNS1_3genE0ELNS1_11target_archE4294967295ELNS1_3gpuE0ELNS1_3repE0EEENS1_36merge_oddeven_config_static_selectorELNS0_4arch9wavefront6targetE0EEEvSF_.uses_flat_scratch, 0
	.set _ZN7rocprim17ROCPRIM_400000_NS6detail17trampoline_kernelINS0_14default_configENS1_38merge_sort_block_merge_config_selectorIhNS0_10empty_typeEEEZZNS1_27merge_sort_block_merge_implIS3_PhPS5_jNS1_19radix_merge_compareILb0ELb0EhNS0_19identity_decomposerEEEEE10hipError_tT0_T1_T2_jT3_P12ihipStream_tbPNSt15iterator_traitsISE_E10value_typeEPNSK_ISF_E10value_typeEPSG_NS1_7vsmem_tEENKUlT_SE_SF_SG_E_clIS8_S8_S9_S9_EESD_ST_SE_SF_SG_EUlST_E1_NS1_11comp_targetILNS1_3genE0ELNS1_11target_archE4294967295ELNS1_3gpuE0ELNS1_3repE0EEENS1_36merge_oddeven_config_static_selectorELNS0_4arch9wavefront6targetE0EEEvSF_.has_dyn_sized_stack, 0
	.set _ZN7rocprim17ROCPRIM_400000_NS6detail17trampoline_kernelINS0_14default_configENS1_38merge_sort_block_merge_config_selectorIhNS0_10empty_typeEEEZZNS1_27merge_sort_block_merge_implIS3_PhPS5_jNS1_19radix_merge_compareILb0ELb0EhNS0_19identity_decomposerEEEEE10hipError_tT0_T1_T2_jT3_P12ihipStream_tbPNSt15iterator_traitsISE_E10value_typeEPNSK_ISF_E10value_typeEPSG_NS1_7vsmem_tEENKUlT_SE_SF_SG_E_clIS8_S8_S9_S9_EESD_ST_SE_SF_SG_EUlST_E1_NS1_11comp_targetILNS1_3genE0ELNS1_11target_archE4294967295ELNS1_3gpuE0ELNS1_3repE0EEENS1_36merge_oddeven_config_static_selectorELNS0_4arch9wavefront6targetE0EEEvSF_.has_recursion, 0
	.set _ZN7rocprim17ROCPRIM_400000_NS6detail17trampoline_kernelINS0_14default_configENS1_38merge_sort_block_merge_config_selectorIhNS0_10empty_typeEEEZZNS1_27merge_sort_block_merge_implIS3_PhPS5_jNS1_19radix_merge_compareILb0ELb0EhNS0_19identity_decomposerEEEEE10hipError_tT0_T1_T2_jT3_P12ihipStream_tbPNSt15iterator_traitsISE_E10value_typeEPNSK_ISF_E10value_typeEPSG_NS1_7vsmem_tEENKUlT_SE_SF_SG_E_clIS8_S8_S9_S9_EESD_ST_SE_SF_SG_EUlST_E1_NS1_11comp_targetILNS1_3genE0ELNS1_11target_archE4294967295ELNS1_3gpuE0ELNS1_3repE0EEENS1_36merge_oddeven_config_static_selectorELNS0_4arch9wavefront6targetE0EEEvSF_.has_indirect_call, 0
	.section	.AMDGPU.csdata,"",@progbits
; Kernel info:
; codeLenInByte = 664
; TotalNumSgprs: 17
; NumVgprs: 8
; ScratchSize: 0
; MemoryBound: 0
; FloatMode: 240
; IeeeMode: 1
; LDSByteSize: 0 bytes/workgroup (compile time only)
; SGPRBlocks: 0
; VGPRBlocks: 0
; NumSGPRsForWavesPerEU: 17
; NumVGPRsForWavesPerEU: 8
; NamedBarCnt: 0
; Occupancy: 16
; WaveLimiterHint : 0
; COMPUTE_PGM_RSRC2:SCRATCH_EN: 0
; COMPUTE_PGM_RSRC2:USER_SGPR: 2
; COMPUTE_PGM_RSRC2:TRAP_HANDLER: 0
; COMPUTE_PGM_RSRC2:TGID_X_EN: 1
; COMPUTE_PGM_RSRC2:TGID_Y_EN: 0
; COMPUTE_PGM_RSRC2:TGID_Z_EN: 0
; COMPUTE_PGM_RSRC2:TIDIG_COMP_CNT: 0
	.section	.text._ZN7rocprim17ROCPRIM_400000_NS6detail17trampoline_kernelINS0_14default_configENS1_38merge_sort_block_merge_config_selectorIhNS0_10empty_typeEEEZZNS1_27merge_sort_block_merge_implIS3_PhPS5_jNS1_19radix_merge_compareILb0ELb0EhNS0_19identity_decomposerEEEEE10hipError_tT0_T1_T2_jT3_P12ihipStream_tbPNSt15iterator_traitsISE_E10value_typeEPNSK_ISF_E10value_typeEPSG_NS1_7vsmem_tEENKUlT_SE_SF_SG_E_clIS8_S8_S9_S9_EESD_ST_SE_SF_SG_EUlST_E1_NS1_11comp_targetILNS1_3genE10ELNS1_11target_archE1201ELNS1_3gpuE5ELNS1_3repE0EEENS1_36merge_oddeven_config_static_selectorELNS0_4arch9wavefront6targetE0EEEvSF_,"axG",@progbits,_ZN7rocprim17ROCPRIM_400000_NS6detail17trampoline_kernelINS0_14default_configENS1_38merge_sort_block_merge_config_selectorIhNS0_10empty_typeEEEZZNS1_27merge_sort_block_merge_implIS3_PhPS5_jNS1_19radix_merge_compareILb0ELb0EhNS0_19identity_decomposerEEEEE10hipError_tT0_T1_T2_jT3_P12ihipStream_tbPNSt15iterator_traitsISE_E10value_typeEPNSK_ISF_E10value_typeEPSG_NS1_7vsmem_tEENKUlT_SE_SF_SG_E_clIS8_S8_S9_S9_EESD_ST_SE_SF_SG_EUlST_E1_NS1_11comp_targetILNS1_3genE10ELNS1_11target_archE1201ELNS1_3gpuE5ELNS1_3repE0EEENS1_36merge_oddeven_config_static_selectorELNS0_4arch9wavefront6targetE0EEEvSF_,comdat
	.protected	_ZN7rocprim17ROCPRIM_400000_NS6detail17trampoline_kernelINS0_14default_configENS1_38merge_sort_block_merge_config_selectorIhNS0_10empty_typeEEEZZNS1_27merge_sort_block_merge_implIS3_PhPS5_jNS1_19radix_merge_compareILb0ELb0EhNS0_19identity_decomposerEEEEE10hipError_tT0_T1_T2_jT3_P12ihipStream_tbPNSt15iterator_traitsISE_E10value_typeEPNSK_ISF_E10value_typeEPSG_NS1_7vsmem_tEENKUlT_SE_SF_SG_E_clIS8_S8_S9_S9_EESD_ST_SE_SF_SG_EUlST_E1_NS1_11comp_targetILNS1_3genE10ELNS1_11target_archE1201ELNS1_3gpuE5ELNS1_3repE0EEENS1_36merge_oddeven_config_static_selectorELNS0_4arch9wavefront6targetE0EEEvSF_ ; -- Begin function _ZN7rocprim17ROCPRIM_400000_NS6detail17trampoline_kernelINS0_14default_configENS1_38merge_sort_block_merge_config_selectorIhNS0_10empty_typeEEEZZNS1_27merge_sort_block_merge_implIS3_PhPS5_jNS1_19radix_merge_compareILb0ELb0EhNS0_19identity_decomposerEEEEE10hipError_tT0_T1_T2_jT3_P12ihipStream_tbPNSt15iterator_traitsISE_E10value_typeEPNSK_ISF_E10value_typeEPSG_NS1_7vsmem_tEENKUlT_SE_SF_SG_E_clIS8_S8_S9_S9_EESD_ST_SE_SF_SG_EUlST_E1_NS1_11comp_targetILNS1_3genE10ELNS1_11target_archE1201ELNS1_3gpuE5ELNS1_3repE0EEENS1_36merge_oddeven_config_static_selectorELNS0_4arch9wavefront6targetE0EEEvSF_
	.globl	_ZN7rocprim17ROCPRIM_400000_NS6detail17trampoline_kernelINS0_14default_configENS1_38merge_sort_block_merge_config_selectorIhNS0_10empty_typeEEEZZNS1_27merge_sort_block_merge_implIS3_PhPS5_jNS1_19radix_merge_compareILb0ELb0EhNS0_19identity_decomposerEEEEE10hipError_tT0_T1_T2_jT3_P12ihipStream_tbPNSt15iterator_traitsISE_E10value_typeEPNSK_ISF_E10value_typeEPSG_NS1_7vsmem_tEENKUlT_SE_SF_SG_E_clIS8_S8_S9_S9_EESD_ST_SE_SF_SG_EUlST_E1_NS1_11comp_targetILNS1_3genE10ELNS1_11target_archE1201ELNS1_3gpuE5ELNS1_3repE0EEENS1_36merge_oddeven_config_static_selectorELNS0_4arch9wavefront6targetE0EEEvSF_
	.p2align	8
	.type	_ZN7rocprim17ROCPRIM_400000_NS6detail17trampoline_kernelINS0_14default_configENS1_38merge_sort_block_merge_config_selectorIhNS0_10empty_typeEEEZZNS1_27merge_sort_block_merge_implIS3_PhPS5_jNS1_19radix_merge_compareILb0ELb0EhNS0_19identity_decomposerEEEEE10hipError_tT0_T1_T2_jT3_P12ihipStream_tbPNSt15iterator_traitsISE_E10value_typeEPNSK_ISF_E10value_typeEPSG_NS1_7vsmem_tEENKUlT_SE_SF_SG_E_clIS8_S8_S9_S9_EESD_ST_SE_SF_SG_EUlST_E1_NS1_11comp_targetILNS1_3genE10ELNS1_11target_archE1201ELNS1_3gpuE5ELNS1_3repE0EEENS1_36merge_oddeven_config_static_selectorELNS0_4arch9wavefront6targetE0EEEvSF_,@function
_ZN7rocprim17ROCPRIM_400000_NS6detail17trampoline_kernelINS0_14default_configENS1_38merge_sort_block_merge_config_selectorIhNS0_10empty_typeEEEZZNS1_27merge_sort_block_merge_implIS3_PhPS5_jNS1_19radix_merge_compareILb0ELb0EhNS0_19identity_decomposerEEEEE10hipError_tT0_T1_T2_jT3_P12ihipStream_tbPNSt15iterator_traitsISE_E10value_typeEPNSK_ISF_E10value_typeEPSG_NS1_7vsmem_tEENKUlT_SE_SF_SG_E_clIS8_S8_S9_S9_EESD_ST_SE_SF_SG_EUlST_E1_NS1_11comp_targetILNS1_3genE10ELNS1_11target_archE1201ELNS1_3gpuE5ELNS1_3repE0EEENS1_36merge_oddeven_config_static_selectorELNS0_4arch9wavefront6targetE0EEEvSF_: ; @_ZN7rocprim17ROCPRIM_400000_NS6detail17trampoline_kernelINS0_14default_configENS1_38merge_sort_block_merge_config_selectorIhNS0_10empty_typeEEEZZNS1_27merge_sort_block_merge_implIS3_PhPS5_jNS1_19radix_merge_compareILb0ELb0EhNS0_19identity_decomposerEEEEE10hipError_tT0_T1_T2_jT3_P12ihipStream_tbPNSt15iterator_traitsISE_E10value_typeEPNSK_ISF_E10value_typeEPSG_NS1_7vsmem_tEENKUlT_SE_SF_SG_E_clIS8_S8_S9_S9_EESD_ST_SE_SF_SG_EUlST_E1_NS1_11comp_targetILNS1_3genE10ELNS1_11target_archE1201ELNS1_3gpuE5ELNS1_3repE0EEENS1_36merge_oddeven_config_static_selectorELNS0_4arch9wavefront6targetE0EEEvSF_
; %bb.0:
	.section	.rodata,"a",@progbits
	.p2align	6, 0x0
	.amdhsa_kernel _ZN7rocprim17ROCPRIM_400000_NS6detail17trampoline_kernelINS0_14default_configENS1_38merge_sort_block_merge_config_selectorIhNS0_10empty_typeEEEZZNS1_27merge_sort_block_merge_implIS3_PhPS5_jNS1_19radix_merge_compareILb0ELb0EhNS0_19identity_decomposerEEEEE10hipError_tT0_T1_T2_jT3_P12ihipStream_tbPNSt15iterator_traitsISE_E10value_typeEPNSK_ISF_E10value_typeEPSG_NS1_7vsmem_tEENKUlT_SE_SF_SG_E_clIS8_S8_S9_S9_EESD_ST_SE_SF_SG_EUlST_E1_NS1_11comp_targetILNS1_3genE10ELNS1_11target_archE1201ELNS1_3gpuE5ELNS1_3repE0EEENS1_36merge_oddeven_config_static_selectorELNS0_4arch9wavefront6targetE0EEEvSF_
		.amdhsa_group_segment_fixed_size 0
		.amdhsa_private_segment_fixed_size 0
		.amdhsa_kernarg_size 48
		.amdhsa_user_sgpr_count 2
		.amdhsa_user_sgpr_dispatch_ptr 0
		.amdhsa_user_sgpr_queue_ptr 0
		.amdhsa_user_sgpr_kernarg_segment_ptr 1
		.amdhsa_user_sgpr_dispatch_id 0
		.amdhsa_user_sgpr_kernarg_preload_length 0
		.amdhsa_user_sgpr_kernarg_preload_offset 0
		.amdhsa_user_sgpr_private_segment_size 0
		.amdhsa_wavefront_size32 1
		.amdhsa_uses_dynamic_stack 0
		.amdhsa_enable_private_segment 0
		.amdhsa_system_sgpr_workgroup_id_x 1
		.amdhsa_system_sgpr_workgroup_id_y 0
		.amdhsa_system_sgpr_workgroup_id_z 0
		.amdhsa_system_sgpr_workgroup_info 0
		.amdhsa_system_vgpr_workitem_id 0
		.amdhsa_next_free_vgpr 1
		.amdhsa_next_free_sgpr 1
		.amdhsa_named_barrier_count 0
		.amdhsa_reserve_vcc 0
		.amdhsa_float_round_mode_32 0
		.amdhsa_float_round_mode_16_64 0
		.amdhsa_float_denorm_mode_32 3
		.amdhsa_float_denorm_mode_16_64 3
		.amdhsa_fp16_overflow 0
		.amdhsa_memory_ordered 1
		.amdhsa_forward_progress 1
		.amdhsa_inst_pref_size 0
		.amdhsa_round_robin_scheduling 0
		.amdhsa_exception_fp_ieee_invalid_op 0
		.amdhsa_exception_fp_denorm_src 0
		.amdhsa_exception_fp_ieee_div_zero 0
		.amdhsa_exception_fp_ieee_overflow 0
		.amdhsa_exception_fp_ieee_underflow 0
		.amdhsa_exception_fp_ieee_inexact 0
		.amdhsa_exception_int_div_zero 0
	.end_amdhsa_kernel
	.section	.text._ZN7rocprim17ROCPRIM_400000_NS6detail17trampoline_kernelINS0_14default_configENS1_38merge_sort_block_merge_config_selectorIhNS0_10empty_typeEEEZZNS1_27merge_sort_block_merge_implIS3_PhPS5_jNS1_19radix_merge_compareILb0ELb0EhNS0_19identity_decomposerEEEEE10hipError_tT0_T1_T2_jT3_P12ihipStream_tbPNSt15iterator_traitsISE_E10value_typeEPNSK_ISF_E10value_typeEPSG_NS1_7vsmem_tEENKUlT_SE_SF_SG_E_clIS8_S8_S9_S9_EESD_ST_SE_SF_SG_EUlST_E1_NS1_11comp_targetILNS1_3genE10ELNS1_11target_archE1201ELNS1_3gpuE5ELNS1_3repE0EEENS1_36merge_oddeven_config_static_selectorELNS0_4arch9wavefront6targetE0EEEvSF_,"axG",@progbits,_ZN7rocprim17ROCPRIM_400000_NS6detail17trampoline_kernelINS0_14default_configENS1_38merge_sort_block_merge_config_selectorIhNS0_10empty_typeEEEZZNS1_27merge_sort_block_merge_implIS3_PhPS5_jNS1_19radix_merge_compareILb0ELb0EhNS0_19identity_decomposerEEEEE10hipError_tT0_T1_T2_jT3_P12ihipStream_tbPNSt15iterator_traitsISE_E10value_typeEPNSK_ISF_E10value_typeEPSG_NS1_7vsmem_tEENKUlT_SE_SF_SG_E_clIS8_S8_S9_S9_EESD_ST_SE_SF_SG_EUlST_E1_NS1_11comp_targetILNS1_3genE10ELNS1_11target_archE1201ELNS1_3gpuE5ELNS1_3repE0EEENS1_36merge_oddeven_config_static_selectorELNS0_4arch9wavefront6targetE0EEEvSF_,comdat
.Lfunc_end170:
	.size	_ZN7rocprim17ROCPRIM_400000_NS6detail17trampoline_kernelINS0_14default_configENS1_38merge_sort_block_merge_config_selectorIhNS0_10empty_typeEEEZZNS1_27merge_sort_block_merge_implIS3_PhPS5_jNS1_19radix_merge_compareILb0ELb0EhNS0_19identity_decomposerEEEEE10hipError_tT0_T1_T2_jT3_P12ihipStream_tbPNSt15iterator_traitsISE_E10value_typeEPNSK_ISF_E10value_typeEPSG_NS1_7vsmem_tEENKUlT_SE_SF_SG_E_clIS8_S8_S9_S9_EESD_ST_SE_SF_SG_EUlST_E1_NS1_11comp_targetILNS1_3genE10ELNS1_11target_archE1201ELNS1_3gpuE5ELNS1_3repE0EEENS1_36merge_oddeven_config_static_selectorELNS0_4arch9wavefront6targetE0EEEvSF_, .Lfunc_end170-_ZN7rocprim17ROCPRIM_400000_NS6detail17trampoline_kernelINS0_14default_configENS1_38merge_sort_block_merge_config_selectorIhNS0_10empty_typeEEEZZNS1_27merge_sort_block_merge_implIS3_PhPS5_jNS1_19radix_merge_compareILb0ELb0EhNS0_19identity_decomposerEEEEE10hipError_tT0_T1_T2_jT3_P12ihipStream_tbPNSt15iterator_traitsISE_E10value_typeEPNSK_ISF_E10value_typeEPSG_NS1_7vsmem_tEENKUlT_SE_SF_SG_E_clIS8_S8_S9_S9_EESD_ST_SE_SF_SG_EUlST_E1_NS1_11comp_targetILNS1_3genE10ELNS1_11target_archE1201ELNS1_3gpuE5ELNS1_3repE0EEENS1_36merge_oddeven_config_static_selectorELNS0_4arch9wavefront6targetE0EEEvSF_
                                        ; -- End function
	.set _ZN7rocprim17ROCPRIM_400000_NS6detail17trampoline_kernelINS0_14default_configENS1_38merge_sort_block_merge_config_selectorIhNS0_10empty_typeEEEZZNS1_27merge_sort_block_merge_implIS3_PhPS5_jNS1_19radix_merge_compareILb0ELb0EhNS0_19identity_decomposerEEEEE10hipError_tT0_T1_T2_jT3_P12ihipStream_tbPNSt15iterator_traitsISE_E10value_typeEPNSK_ISF_E10value_typeEPSG_NS1_7vsmem_tEENKUlT_SE_SF_SG_E_clIS8_S8_S9_S9_EESD_ST_SE_SF_SG_EUlST_E1_NS1_11comp_targetILNS1_3genE10ELNS1_11target_archE1201ELNS1_3gpuE5ELNS1_3repE0EEENS1_36merge_oddeven_config_static_selectorELNS0_4arch9wavefront6targetE0EEEvSF_.num_vgpr, 0
	.set _ZN7rocprim17ROCPRIM_400000_NS6detail17trampoline_kernelINS0_14default_configENS1_38merge_sort_block_merge_config_selectorIhNS0_10empty_typeEEEZZNS1_27merge_sort_block_merge_implIS3_PhPS5_jNS1_19radix_merge_compareILb0ELb0EhNS0_19identity_decomposerEEEEE10hipError_tT0_T1_T2_jT3_P12ihipStream_tbPNSt15iterator_traitsISE_E10value_typeEPNSK_ISF_E10value_typeEPSG_NS1_7vsmem_tEENKUlT_SE_SF_SG_E_clIS8_S8_S9_S9_EESD_ST_SE_SF_SG_EUlST_E1_NS1_11comp_targetILNS1_3genE10ELNS1_11target_archE1201ELNS1_3gpuE5ELNS1_3repE0EEENS1_36merge_oddeven_config_static_selectorELNS0_4arch9wavefront6targetE0EEEvSF_.num_agpr, 0
	.set _ZN7rocprim17ROCPRIM_400000_NS6detail17trampoline_kernelINS0_14default_configENS1_38merge_sort_block_merge_config_selectorIhNS0_10empty_typeEEEZZNS1_27merge_sort_block_merge_implIS3_PhPS5_jNS1_19radix_merge_compareILb0ELb0EhNS0_19identity_decomposerEEEEE10hipError_tT0_T1_T2_jT3_P12ihipStream_tbPNSt15iterator_traitsISE_E10value_typeEPNSK_ISF_E10value_typeEPSG_NS1_7vsmem_tEENKUlT_SE_SF_SG_E_clIS8_S8_S9_S9_EESD_ST_SE_SF_SG_EUlST_E1_NS1_11comp_targetILNS1_3genE10ELNS1_11target_archE1201ELNS1_3gpuE5ELNS1_3repE0EEENS1_36merge_oddeven_config_static_selectorELNS0_4arch9wavefront6targetE0EEEvSF_.numbered_sgpr, 0
	.set _ZN7rocprim17ROCPRIM_400000_NS6detail17trampoline_kernelINS0_14default_configENS1_38merge_sort_block_merge_config_selectorIhNS0_10empty_typeEEEZZNS1_27merge_sort_block_merge_implIS3_PhPS5_jNS1_19radix_merge_compareILb0ELb0EhNS0_19identity_decomposerEEEEE10hipError_tT0_T1_T2_jT3_P12ihipStream_tbPNSt15iterator_traitsISE_E10value_typeEPNSK_ISF_E10value_typeEPSG_NS1_7vsmem_tEENKUlT_SE_SF_SG_E_clIS8_S8_S9_S9_EESD_ST_SE_SF_SG_EUlST_E1_NS1_11comp_targetILNS1_3genE10ELNS1_11target_archE1201ELNS1_3gpuE5ELNS1_3repE0EEENS1_36merge_oddeven_config_static_selectorELNS0_4arch9wavefront6targetE0EEEvSF_.num_named_barrier, 0
	.set _ZN7rocprim17ROCPRIM_400000_NS6detail17trampoline_kernelINS0_14default_configENS1_38merge_sort_block_merge_config_selectorIhNS0_10empty_typeEEEZZNS1_27merge_sort_block_merge_implIS3_PhPS5_jNS1_19radix_merge_compareILb0ELb0EhNS0_19identity_decomposerEEEEE10hipError_tT0_T1_T2_jT3_P12ihipStream_tbPNSt15iterator_traitsISE_E10value_typeEPNSK_ISF_E10value_typeEPSG_NS1_7vsmem_tEENKUlT_SE_SF_SG_E_clIS8_S8_S9_S9_EESD_ST_SE_SF_SG_EUlST_E1_NS1_11comp_targetILNS1_3genE10ELNS1_11target_archE1201ELNS1_3gpuE5ELNS1_3repE0EEENS1_36merge_oddeven_config_static_selectorELNS0_4arch9wavefront6targetE0EEEvSF_.private_seg_size, 0
	.set _ZN7rocprim17ROCPRIM_400000_NS6detail17trampoline_kernelINS0_14default_configENS1_38merge_sort_block_merge_config_selectorIhNS0_10empty_typeEEEZZNS1_27merge_sort_block_merge_implIS3_PhPS5_jNS1_19radix_merge_compareILb0ELb0EhNS0_19identity_decomposerEEEEE10hipError_tT0_T1_T2_jT3_P12ihipStream_tbPNSt15iterator_traitsISE_E10value_typeEPNSK_ISF_E10value_typeEPSG_NS1_7vsmem_tEENKUlT_SE_SF_SG_E_clIS8_S8_S9_S9_EESD_ST_SE_SF_SG_EUlST_E1_NS1_11comp_targetILNS1_3genE10ELNS1_11target_archE1201ELNS1_3gpuE5ELNS1_3repE0EEENS1_36merge_oddeven_config_static_selectorELNS0_4arch9wavefront6targetE0EEEvSF_.uses_vcc, 0
	.set _ZN7rocprim17ROCPRIM_400000_NS6detail17trampoline_kernelINS0_14default_configENS1_38merge_sort_block_merge_config_selectorIhNS0_10empty_typeEEEZZNS1_27merge_sort_block_merge_implIS3_PhPS5_jNS1_19radix_merge_compareILb0ELb0EhNS0_19identity_decomposerEEEEE10hipError_tT0_T1_T2_jT3_P12ihipStream_tbPNSt15iterator_traitsISE_E10value_typeEPNSK_ISF_E10value_typeEPSG_NS1_7vsmem_tEENKUlT_SE_SF_SG_E_clIS8_S8_S9_S9_EESD_ST_SE_SF_SG_EUlST_E1_NS1_11comp_targetILNS1_3genE10ELNS1_11target_archE1201ELNS1_3gpuE5ELNS1_3repE0EEENS1_36merge_oddeven_config_static_selectorELNS0_4arch9wavefront6targetE0EEEvSF_.uses_flat_scratch, 0
	.set _ZN7rocprim17ROCPRIM_400000_NS6detail17trampoline_kernelINS0_14default_configENS1_38merge_sort_block_merge_config_selectorIhNS0_10empty_typeEEEZZNS1_27merge_sort_block_merge_implIS3_PhPS5_jNS1_19radix_merge_compareILb0ELb0EhNS0_19identity_decomposerEEEEE10hipError_tT0_T1_T2_jT3_P12ihipStream_tbPNSt15iterator_traitsISE_E10value_typeEPNSK_ISF_E10value_typeEPSG_NS1_7vsmem_tEENKUlT_SE_SF_SG_E_clIS8_S8_S9_S9_EESD_ST_SE_SF_SG_EUlST_E1_NS1_11comp_targetILNS1_3genE10ELNS1_11target_archE1201ELNS1_3gpuE5ELNS1_3repE0EEENS1_36merge_oddeven_config_static_selectorELNS0_4arch9wavefront6targetE0EEEvSF_.has_dyn_sized_stack, 0
	.set _ZN7rocprim17ROCPRIM_400000_NS6detail17trampoline_kernelINS0_14default_configENS1_38merge_sort_block_merge_config_selectorIhNS0_10empty_typeEEEZZNS1_27merge_sort_block_merge_implIS3_PhPS5_jNS1_19radix_merge_compareILb0ELb0EhNS0_19identity_decomposerEEEEE10hipError_tT0_T1_T2_jT3_P12ihipStream_tbPNSt15iterator_traitsISE_E10value_typeEPNSK_ISF_E10value_typeEPSG_NS1_7vsmem_tEENKUlT_SE_SF_SG_E_clIS8_S8_S9_S9_EESD_ST_SE_SF_SG_EUlST_E1_NS1_11comp_targetILNS1_3genE10ELNS1_11target_archE1201ELNS1_3gpuE5ELNS1_3repE0EEENS1_36merge_oddeven_config_static_selectorELNS0_4arch9wavefront6targetE0EEEvSF_.has_recursion, 0
	.set _ZN7rocprim17ROCPRIM_400000_NS6detail17trampoline_kernelINS0_14default_configENS1_38merge_sort_block_merge_config_selectorIhNS0_10empty_typeEEEZZNS1_27merge_sort_block_merge_implIS3_PhPS5_jNS1_19radix_merge_compareILb0ELb0EhNS0_19identity_decomposerEEEEE10hipError_tT0_T1_T2_jT3_P12ihipStream_tbPNSt15iterator_traitsISE_E10value_typeEPNSK_ISF_E10value_typeEPSG_NS1_7vsmem_tEENKUlT_SE_SF_SG_E_clIS8_S8_S9_S9_EESD_ST_SE_SF_SG_EUlST_E1_NS1_11comp_targetILNS1_3genE10ELNS1_11target_archE1201ELNS1_3gpuE5ELNS1_3repE0EEENS1_36merge_oddeven_config_static_selectorELNS0_4arch9wavefront6targetE0EEEvSF_.has_indirect_call, 0
	.section	.AMDGPU.csdata,"",@progbits
; Kernel info:
; codeLenInByte = 0
; TotalNumSgprs: 0
; NumVgprs: 0
; ScratchSize: 0
; MemoryBound: 0
; FloatMode: 240
; IeeeMode: 1
; LDSByteSize: 0 bytes/workgroup (compile time only)
; SGPRBlocks: 0
; VGPRBlocks: 0
; NumSGPRsForWavesPerEU: 1
; NumVGPRsForWavesPerEU: 1
; NamedBarCnt: 0
; Occupancy: 16
; WaveLimiterHint : 0
; COMPUTE_PGM_RSRC2:SCRATCH_EN: 0
; COMPUTE_PGM_RSRC2:USER_SGPR: 2
; COMPUTE_PGM_RSRC2:TRAP_HANDLER: 0
; COMPUTE_PGM_RSRC2:TGID_X_EN: 1
; COMPUTE_PGM_RSRC2:TGID_Y_EN: 0
; COMPUTE_PGM_RSRC2:TGID_Z_EN: 0
; COMPUTE_PGM_RSRC2:TIDIG_COMP_CNT: 0
	.section	.text._ZN7rocprim17ROCPRIM_400000_NS6detail17trampoline_kernelINS0_14default_configENS1_38merge_sort_block_merge_config_selectorIhNS0_10empty_typeEEEZZNS1_27merge_sort_block_merge_implIS3_PhPS5_jNS1_19radix_merge_compareILb0ELb0EhNS0_19identity_decomposerEEEEE10hipError_tT0_T1_T2_jT3_P12ihipStream_tbPNSt15iterator_traitsISE_E10value_typeEPNSK_ISF_E10value_typeEPSG_NS1_7vsmem_tEENKUlT_SE_SF_SG_E_clIS8_S8_S9_S9_EESD_ST_SE_SF_SG_EUlST_E1_NS1_11comp_targetILNS1_3genE5ELNS1_11target_archE942ELNS1_3gpuE9ELNS1_3repE0EEENS1_36merge_oddeven_config_static_selectorELNS0_4arch9wavefront6targetE0EEEvSF_,"axG",@progbits,_ZN7rocprim17ROCPRIM_400000_NS6detail17trampoline_kernelINS0_14default_configENS1_38merge_sort_block_merge_config_selectorIhNS0_10empty_typeEEEZZNS1_27merge_sort_block_merge_implIS3_PhPS5_jNS1_19radix_merge_compareILb0ELb0EhNS0_19identity_decomposerEEEEE10hipError_tT0_T1_T2_jT3_P12ihipStream_tbPNSt15iterator_traitsISE_E10value_typeEPNSK_ISF_E10value_typeEPSG_NS1_7vsmem_tEENKUlT_SE_SF_SG_E_clIS8_S8_S9_S9_EESD_ST_SE_SF_SG_EUlST_E1_NS1_11comp_targetILNS1_3genE5ELNS1_11target_archE942ELNS1_3gpuE9ELNS1_3repE0EEENS1_36merge_oddeven_config_static_selectorELNS0_4arch9wavefront6targetE0EEEvSF_,comdat
	.protected	_ZN7rocprim17ROCPRIM_400000_NS6detail17trampoline_kernelINS0_14default_configENS1_38merge_sort_block_merge_config_selectorIhNS0_10empty_typeEEEZZNS1_27merge_sort_block_merge_implIS3_PhPS5_jNS1_19radix_merge_compareILb0ELb0EhNS0_19identity_decomposerEEEEE10hipError_tT0_T1_T2_jT3_P12ihipStream_tbPNSt15iterator_traitsISE_E10value_typeEPNSK_ISF_E10value_typeEPSG_NS1_7vsmem_tEENKUlT_SE_SF_SG_E_clIS8_S8_S9_S9_EESD_ST_SE_SF_SG_EUlST_E1_NS1_11comp_targetILNS1_3genE5ELNS1_11target_archE942ELNS1_3gpuE9ELNS1_3repE0EEENS1_36merge_oddeven_config_static_selectorELNS0_4arch9wavefront6targetE0EEEvSF_ ; -- Begin function _ZN7rocprim17ROCPRIM_400000_NS6detail17trampoline_kernelINS0_14default_configENS1_38merge_sort_block_merge_config_selectorIhNS0_10empty_typeEEEZZNS1_27merge_sort_block_merge_implIS3_PhPS5_jNS1_19radix_merge_compareILb0ELb0EhNS0_19identity_decomposerEEEEE10hipError_tT0_T1_T2_jT3_P12ihipStream_tbPNSt15iterator_traitsISE_E10value_typeEPNSK_ISF_E10value_typeEPSG_NS1_7vsmem_tEENKUlT_SE_SF_SG_E_clIS8_S8_S9_S9_EESD_ST_SE_SF_SG_EUlST_E1_NS1_11comp_targetILNS1_3genE5ELNS1_11target_archE942ELNS1_3gpuE9ELNS1_3repE0EEENS1_36merge_oddeven_config_static_selectorELNS0_4arch9wavefront6targetE0EEEvSF_
	.globl	_ZN7rocprim17ROCPRIM_400000_NS6detail17trampoline_kernelINS0_14default_configENS1_38merge_sort_block_merge_config_selectorIhNS0_10empty_typeEEEZZNS1_27merge_sort_block_merge_implIS3_PhPS5_jNS1_19radix_merge_compareILb0ELb0EhNS0_19identity_decomposerEEEEE10hipError_tT0_T1_T2_jT3_P12ihipStream_tbPNSt15iterator_traitsISE_E10value_typeEPNSK_ISF_E10value_typeEPSG_NS1_7vsmem_tEENKUlT_SE_SF_SG_E_clIS8_S8_S9_S9_EESD_ST_SE_SF_SG_EUlST_E1_NS1_11comp_targetILNS1_3genE5ELNS1_11target_archE942ELNS1_3gpuE9ELNS1_3repE0EEENS1_36merge_oddeven_config_static_selectorELNS0_4arch9wavefront6targetE0EEEvSF_
	.p2align	8
	.type	_ZN7rocprim17ROCPRIM_400000_NS6detail17trampoline_kernelINS0_14default_configENS1_38merge_sort_block_merge_config_selectorIhNS0_10empty_typeEEEZZNS1_27merge_sort_block_merge_implIS3_PhPS5_jNS1_19radix_merge_compareILb0ELb0EhNS0_19identity_decomposerEEEEE10hipError_tT0_T1_T2_jT3_P12ihipStream_tbPNSt15iterator_traitsISE_E10value_typeEPNSK_ISF_E10value_typeEPSG_NS1_7vsmem_tEENKUlT_SE_SF_SG_E_clIS8_S8_S9_S9_EESD_ST_SE_SF_SG_EUlST_E1_NS1_11comp_targetILNS1_3genE5ELNS1_11target_archE942ELNS1_3gpuE9ELNS1_3repE0EEENS1_36merge_oddeven_config_static_selectorELNS0_4arch9wavefront6targetE0EEEvSF_,@function
_ZN7rocprim17ROCPRIM_400000_NS6detail17trampoline_kernelINS0_14default_configENS1_38merge_sort_block_merge_config_selectorIhNS0_10empty_typeEEEZZNS1_27merge_sort_block_merge_implIS3_PhPS5_jNS1_19radix_merge_compareILb0ELb0EhNS0_19identity_decomposerEEEEE10hipError_tT0_T1_T2_jT3_P12ihipStream_tbPNSt15iterator_traitsISE_E10value_typeEPNSK_ISF_E10value_typeEPSG_NS1_7vsmem_tEENKUlT_SE_SF_SG_E_clIS8_S8_S9_S9_EESD_ST_SE_SF_SG_EUlST_E1_NS1_11comp_targetILNS1_3genE5ELNS1_11target_archE942ELNS1_3gpuE9ELNS1_3repE0EEENS1_36merge_oddeven_config_static_selectorELNS0_4arch9wavefront6targetE0EEEvSF_: ; @_ZN7rocprim17ROCPRIM_400000_NS6detail17trampoline_kernelINS0_14default_configENS1_38merge_sort_block_merge_config_selectorIhNS0_10empty_typeEEEZZNS1_27merge_sort_block_merge_implIS3_PhPS5_jNS1_19radix_merge_compareILb0ELb0EhNS0_19identity_decomposerEEEEE10hipError_tT0_T1_T2_jT3_P12ihipStream_tbPNSt15iterator_traitsISE_E10value_typeEPNSK_ISF_E10value_typeEPSG_NS1_7vsmem_tEENKUlT_SE_SF_SG_E_clIS8_S8_S9_S9_EESD_ST_SE_SF_SG_EUlST_E1_NS1_11comp_targetILNS1_3genE5ELNS1_11target_archE942ELNS1_3gpuE9ELNS1_3repE0EEENS1_36merge_oddeven_config_static_selectorELNS0_4arch9wavefront6targetE0EEEvSF_
; %bb.0:
	.section	.rodata,"a",@progbits
	.p2align	6, 0x0
	.amdhsa_kernel _ZN7rocprim17ROCPRIM_400000_NS6detail17trampoline_kernelINS0_14default_configENS1_38merge_sort_block_merge_config_selectorIhNS0_10empty_typeEEEZZNS1_27merge_sort_block_merge_implIS3_PhPS5_jNS1_19radix_merge_compareILb0ELb0EhNS0_19identity_decomposerEEEEE10hipError_tT0_T1_T2_jT3_P12ihipStream_tbPNSt15iterator_traitsISE_E10value_typeEPNSK_ISF_E10value_typeEPSG_NS1_7vsmem_tEENKUlT_SE_SF_SG_E_clIS8_S8_S9_S9_EESD_ST_SE_SF_SG_EUlST_E1_NS1_11comp_targetILNS1_3genE5ELNS1_11target_archE942ELNS1_3gpuE9ELNS1_3repE0EEENS1_36merge_oddeven_config_static_selectorELNS0_4arch9wavefront6targetE0EEEvSF_
		.amdhsa_group_segment_fixed_size 0
		.amdhsa_private_segment_fixed_size 0
		.amdhsa_kernarg_size 48
		.amdhsa_user_sgpr_count 2
		.amdhsa_user_sgpr_dispatch_ptr 0
		.amdhsa_user_sgpr_queue_ptr 0
		.amdhsa_user_sgpr_kernarg_segment_ptr 1
		.amdhsa_user_sgpr_dispatch_id 0
		.amdhsa_user_sgpr_kernarg_preload_length 0
		.amdhsa_user_sgpr_kernarg_preload_offset 0
		.amdhsa_user_sgpr_private_segment_size 0
		.amdhsa_wavefront_size32 1
		.amdhsa_uses_dynamic_stack 0
		.amdhsa_enable_private_segment 0
		.amdhsa_system_sgpr_workgroup_id_x 1
		.amdhsa_system_sgpr_workgroup_id_y 0
		.amdhsa_system_sgpr_workgroup_id_z 0
		.amdhsa_system_sgpr_workgroup_info 0
		.amdhsa_system_vgpr_workitem_id 0
		.amdhsa_next_free_vgpr 1
		.amdhsa_next_free_sgpr 1
		.amdhsa_named_barrier_count 0
		.amdhsa_reserve_vcc 0
		.amdhsa_float_round_mode_32 0
		.amdhsa_float_round_mode_16_64 0
		.amdhsa_float_denorm_mode_32 3
		.amdhsa_float_denorm_mode_16_64 3
		.amdhsa_fp16_overflow 0
		.amdhsa_memory_ordered 1
		.amdhsa_forward_progress 1
		.amdhsa_inst_pref_size 0
		.amdhsa_round_robin_scheduling 0
		.amdhsa_exception_fp_ieee_invalid_op 0
		.amdhsa_exception_fp_denorm_src 0
		.amdhsa_exception_fp_ieee_div_zero 0
		.amdhsa_exception_fp_ieee_overflow 0
		.amdhsa_exception_fp_ieee_underflow 0
		.amdhsa_exception_fp_ieee_inexact 0
		.amdhsa_exception_int_div_zero 0
	.end_amdhsa_kernel
	.section	.text._ZN7rocprim17ROCPRIM_400000_NS6detail17trampoline_kernelINS0_14default_configENS1_38merge_sort_block_merge_config_selectorIhNS0_10empty_typeEEEZZNS1_27merge_sort_block_merge_implIS3_PhPS5_jNS1_19radix_merge_compareILb0ELb0EhNS0_19identity_decomposerEEEEE10hipError_tT0_T1_T2_jT3_P12ihipStream_tbPNSt15iterator_traitsISE_E10value_typeEPNSK_ISF_E10value_typeEPSG_NS1_7vsmem_tEENKUlT_SE_SF_SG_E_clIS8_S8_S9_S9_EESD_ST_SE_SF_SG_EUlST_E1_NS1_11comp_targetILNS1_3genE5ELNS1_11target_archE942ELNS1_3gpuE9ELNS1_3repE0EEENS1_36merge_oddeven_config_static_selectorELNS0_4arch9wavefront6targetE0EEEvSF_,"axG",@progbits,_ZN7rocprim17ROCPRIM_400000_NS6detail17trampoline_kernelINS0_14default_configENS1_38merge_sort_block_merge_config_selectorIhNS0_10empty_typeEEEZZNS1_27merge_sort_block_merge_implIS3_PhPS5_jNS1_19radix_merge_compareILb0ELb0EhNS0_19identity_decomposerEEEEE10hipError_tT0_T1_T2_jT3_P12ihipStream_tbPNSt15iterator_traitsISE_E10value_typeEPNSK_ISF_E10value_typeEPSG_NS1_7vsmem_tEENKUlT_SE_SF_SG_E_clIS8_S8_S9_S9_EESD_ST_SE_SF_SG_EUlST_E1_NS1_11comp_targetILNS1_3genE5ELNS1_11target_archE942ELNS1_3gpuE9ELNS1_3repE0EEENS1_36merge_oddeven_config_static_selectorELNS0_4arch9wavefront6targetE0EEEvSF_,comdat
.Lfunc_end171:
	.size	_ZN7rocprim17ROCPRIM_400000_NS6detail17trampoline_kernelINS0_14default_configENS1_38merge_sort_block_merge_config_selectorIhNS0_10empty_typeEEEZZNS1_27merge_sort_block_merge_implIS3_PhPS5_jNS1_19radix_merge_compareILb0ELb0EhNS0_19identity_decomposerEEEEE10hipError_tT0_T1_T2_jT3_P12ihipStream_tbPNSt15iterator_traitsISE_E10value_typeEPNSK_ISF_E10value_typeEPSG_NS1_7vsmem_tEENKUlT_SE_SF_SG_E_clIS8_S8_S9_S9_EESD_ST_SE_SF_SG_EUlST_E1_NS1_11comp_targetILNS1_3genE5ELNS1_11target_archE942ELNS1_3gpuE9ELNS1_3repE0EEENS1_36merge_oddeven_config_static_selectorELNS0_4arch9wavefront6targetE0EEEvSF_, .Lfunc_end171-_ZN7rocprim17ROCPRIM_400000_NS6detail17trampoline_kernelINS0_14default_configENS1_38merge_sort_block_merge_config_selectorIhNS0_10empty_typeEEEZZNS1_27merge_sort_block_merge_implIS3_PhPS5_jNS1_19radix_merge_compareILb0ELb0EhNS0_19identity_decomposerEEEEE10hipError_tT0_T1_T2_jT3_P12ihipStream_tbPNSt15iterator_traitsISE_E10value_typeEPNSK_ISF_E10value_typeEPSG_NS1_7vsmem_tEENKUlT_SE_SF_SG_E_clIS8_S8_S9_S9_EESD_ST_SE_SF_SG_EUlST_E1_NS1_11comp_targetILNS1_3genE5ELNS1_11target_archE942ELNS1_3gpuE9ELNS1_3repE0EEENS1_36merge_oddeven_config_static_selectorELNS0_4arch9wavefront6targetE0EEEvSF_
                                        ; -- End function
	.set _ZN7rocprim17ROCPRIM_400000_NS6detail17trampoline_kernelINS0_14default_configENS1_38merge_sort_block_merge_config_selectorIhNS0_10empty_typeEEEZZNS1_27merge_sort_block_merge_implIS3_PhPS5_jNS1_19radix_merge_compareILb0ELb0EhNS0_19identity_decomposerEEEEE10hipError_tT0_T1_T2_jT3_P12ihipStream_tbPNSt15iterator_traitsISE_E10value_typeEPNSK_ISF_E10value_typeEPSG_NS1_7vsmem_tEENKUlT_SE_SF_SG_E_clIS8_S8_S9_S9_EESD_ST_SE_SF_SG_EUlST_E1_NS1_11comp_targetILNS1_3genE5ELNS1_11target_archE942ELNS1_3gpuE9ELNS1_3repE0EEENS1_36merge_oddeven_config_static_selectorELNS0_4arch9wavefront6targetE0EEEvSF_.num_vgpr, 0
	.set _ZN7rocprim17ROCPRIM_400000_NS6detail17trampoline_kernelINS0_14default_configENS1_38merge_sort_block_merge_config_selectorIhNS0_10empty_typeEEEZZNS1_27merge_sort_block_merge_implIS3_PhPS5_jNS1_19radix_merge_compareILb0ELb0EhNS0_19identity_decomposerEEEEE10hipError_tT0_T1_T2_jT3_P12ihipStream_tbPNSt15iterator_traitsISE_E10value_typeEPNSK_ISF_E10value_typeEPSG_NS1_7vsmem_tEENKUlT_SE_SF_SG_E_clIS8_S8_S9_S9_EESD_ST_SE_SF_SG_EUlST_E1_NS1_11comp_targetILNS1_3genE5ELNS1_11target_archE942ELNS1_3gpuE9ELNS1_3repE0EEENS1_36merge_oddeven_config_static_selectorELNS0_4arch9wavefront6targetE0EEEvSF_.num_agpr, 0
	.set _ZN7rocprim17ROCPRIM_400000_NS6detail17trampoline_kernelINS0_14default_configENS1_38merge_sort_block_merge_config_selectorIhNS0_10empty_typeEEEZZNS1_27merge_sort_block_merge_implIS3_PhPS5_jNS1_19radix_merge_compareILb0ELb0EhNS0_19identity_decomposerEEEEE10hipError_tT0_T1_T2_jT3_P12ihipStream_tbPNSt15iterator_traitsISE_E10value_typeEPNSK_ISF_E10value_typeEPSG_NS1_7vsmem_tEENKUlT_SE_SF_SG_E_clIS8_S8_S9_S9_EESD_ST_SE_SF_SG_EUlST_E1_NS1_11comp_targetILNS1_3genE5ELNS1_11target_archE942ELNS1_3gpuE9ELNS1_3repE0EEENS1_36merge_oddeven_config_static_selectorELNS0_4arch9wavefront6targetE0EEEvSF_.numbered_sgpr, 0
	.set _ZN7rocprim17ROCPRIM_400000_NS6detail17trampoline_kernelINS0_14default_configENS1_38merge_sort_block_merge_config_selectorIhNS0_10empty_typeEEEZZNS1_27merge_sort_block_merge_implIS3_PhPS5_jNS1_19radix_merge_compareILb0ELb0EhNS0_19identity_decomposerEEEEE10hipError_tT0_T1_T2_jT3_P12ihipStream_tbPNSt15iterator_traitsISE_E10value_typeEPNSK_ISF_E10value_typeEPSG_NS1_7vsmem_tEENKUlT_SE_SF_SG_E_clIS8_S8_S9_S9_EESD_ST_SE_SF_SG_EUlST_E1_NS1_11comp_targetILNS1_3genE5ELNS1_11target_archE942ELNS1_3gpuE9ELNS1_3repE0EEENS1_36merge_oddeven_config_static_selectorELNS0_4arch9wavefront6targetE0EEEvSF_.num_named_barrier, 0
	.set _ZN7rocprim17ROCPRIM_400000_NS6detail17trampoline_kernelINS0_14default_configENS1_38merge_sort_block_merge_config_selectorIhNS0_10empty_typeEEEZZNS1_27merge_sort_block_merge_implIS3_PhPS5_jNS1_19radix_merge_compareILb0ELb0EhNS0_19identity_decomposerEEEEE10hipError_tT0_T1_T2_jT3_P12ihipStream_tbPNSt15iterator_traitsISE_E10value_typeEPNSK_ISF_E10value_typeEPSG_NS1_7vsmem_tEENKUlT_SE_SF_SG_E_clIS8_S8_S9_S9_EESD_ST_SE_SF_SG_EUlST_E1_NS1_11comp_targetILNS1_3genE5ELNS1_11target_archE942ELNS1_3gpuE9ELNS1_3repE0EEENS1_36merge_oddeven_config_static_selectorELNS0_4arch9wavefront6targetE0EEEvSF_.private_seg_size, 0
	.set _ZN7rocprim17ROCPRIM_400000_NS6detail17trampoline_kernelINS0_14default_configENS1_38merge_sort_block_merge_config_selectorIhNS0_10empty_typeEEEZZNS1_27merge_sort_block_merge_implIS3_PhPS5_jNS1_19radix_merge_compareILb0ELb0EhNS0_19identity_decomposerEEEEE10hipError_tT0_T1_T2_jT3_P12ihipStream_tbPNSt15iterator_traitsISE_E10value_typeEPNSK_ISF_E10value_typeEPSG_NS1_7vsmem_tEENKUlT_SE_SF_SG_E_clIS8_S8_S9_S9_EESD_ST_SE_SF_SG_EUlST_E1_NS1_11comp_targetILNS1_3genE5ELNS1_11target_archE942ELNS1_3gpuE9ELNS1_3repE0EEENS1_36merge_oddeven_config_static_selectorELNS0_4arch9wavefront6targetE0EEEvSF_.uses_vcc, 0
	.set _ZN7rocprim17ROCPRIM_400000_NS6detail17trampoline_kernelINS0_14default_configENS1_38merge_sort_block_merge_config_selectorIhNS0_10empty_typeEEEZZNS1_27merge_sort_block_merge_implIS3_PhPS5_jNS1_19radix_merge_compareILb0ELb0EhNS0_19identity_decomposerEEEEE10hipError_tT0_T1_T2_jT3_P12ihipStream_tbPNSt15iterator_traitsISE_E10value_typeEPNSK_ISF_E10value_typeEPSG_NS1_7vsmem_tEENKUlT_SE_SF_SG_E_clIS8_S8_S9_S9_EESD_ST_SE_SF_SG_EUlST_E1_NS1_11comp_targetILNS1_3genE5ELNS1_11target_archE942ELNS1_3gpuE9ELNS1_3repE0EEENS1_36merge_oddeven_config_static_selectorELNS0_4arch9wavefront6targetE0EEEvSF_.uses_flat_scratch, 0
	.set _ZN7rocprim17ROCPRIM_400000_NS6detail17trampoline_kernelINS0_14default_configENS1_38merge_sort_block_merge_config_selectorIhNS0_10empty_typeEEEZZNS1_27merge_sort_block_merge_implIS3_PhPS5_jNS1_19radix_merge_compareILb0ELb0EhNS0_19identity_decomposerEEEEE10hipError_tT0_T1_T2_jT3_P12ihipStream_tbPNSt15iterator_traitsISE_E10value_typeEPNSK_ISF_E10value_typeEPSG_NS1_7vsmem_tEENKUlT_SE_SF_SG_E_clIS8_S8_S9_S9_EESD_ST_SE_SF_SG_EUlST_E1_NS1_11comp_targetILNS1_3genE5ELNS1_11target_archE942ELNS1_3gpuE9ELNS1_3repE0EEENS1_36merge_oddeven_config_static_selectorELNS0_4arch9wavefront6targetE0EEEvSF_.has_dyn_sized_stack, 0
	.set _ZN7rocprim17ROCPRIM_400000_NS6detail17trampoline_kernelINS0_14default_configENS1_38merge_sort_block_merge_config_selectorIhNS0_10empty_typeEEEZZNS1_27merge_sort_block_merge_implIS3_PhPS5_jNS1_19radix_merge_compareILb0ELb0EhNS0_19identity_decomposerEEEEE10hipError_tT0_T1_T2_jT3_P12ihipStream_tbPNSt15iterator_traitsISE_E10value_typeEPNSK_ISF_E10value_typeEPSG_NS1_7vsmem_tEENKUlT_SE_SF_SG_E_clIS8_S8_S9_S9_EESD_ST_SE_SF_SG_EUlST_E1_NS1_11comp_targetILNS1_3genE5ELNS1_11target_archE942ELNS1_3gpuE9ELNS1_3repE0EEENS1_36merge_oddeven_config_static_selectorELNS0_4arch9wavefront6targetE0EEEvSF_.has_recursion, 0
	.set _ZN7rocprim17ROCPRIM_400000_NS6detail17trampoline_kernelINS0_14default_configENS1_38merge_sort_block_merge_config_selectorIhNS0_10empty_typeEEEZZNS1_27merge_sort_block_merge_implIS3_PhPS5_jNS1_19radix_merge_compareILb0ELb0EhNS0_19identity_decomposerEEEEE10hipError_tT0_T1_T2_jT3_P12ihipStream_tbPNSt15iterator_traitsISE_E10value_typeEPNSK_ISF_E10value_typeEPSG_NS1_7vsmem_tEENKUlT_SE_SF_SG_E_clIS8_S8_S9_S9_EESD_ST_SE_SF_SG_EUlST_E1_NS1_11comp_targetILNS1_3genE5ELNS1_11target_archE942ELNS1_3gpuE9ELNS1_3repE0EEENS1_36merge_oddeven_config_static_selectorELNS0_4arch9wavefront6targetE0EEEvSF_.has_indirect_call, 0
	.section	.AMDGPU.csdata,"",@progbits
; Kernel info:
; codeLenInByte = 0
; TotalNumSgprs: 0
; NumVgprs: 0
; ScratchSize: 0
; MemoryBound: 0
; FloatMode: 240
; IeeeMode: 1
; LDSByteSize: 0 bytes/workgroup (compile time only)
; SGPRBlocks: 0
; VGPRBlocks: 0
; NumSGPRsForWavesPerEU: 1
; NumVGPRsForWavesPerEU: 1
; NamedBarCnt: 0
; Occupancy: 16
; WaveLimiterHint : 0
; COMPUTE_PGM_RSRC2:SCRATCH_EN: 0
; COMPUTE_PGM_RSRC2:USER_SGPR: 2
; COMPUTE_PGM_RSRC2:TRAP_HANDLER: 0
; COMPUTE_PGM_RSRC2:TGID_X_EN: 1
; COMPUTE_PGM_RSRC2:TGID_Y_EN: 0
; COMPUTE_PGM_RSRC2:TGID_Z_EN: 0
; COMPUTE_PGM_RSRC2:TIDIG_COMP_CNT: 0
	.section	.text._ZN7rocprim17ROCPRIM_400000_NS6detail17trampoline_kernelINS0_14default_configENS1_38merge_sort_block_merge_config_selectorIhNS0_10empty_typeEEEZZNS1_27merge_sort_block_merge_implIS3_PhPS5_jNS1_19radix_merge_compareILb0ELb0EhNS0_19identity_decomposerEEEEE10hipError_tT0_T1_T2_jT3_P12ihipStream_tbPNSt15iterator_traitsISE_E10value_typeEPNSK_ISF_E10value_typeEPSG_NS1_7vsmem_tEENKUlT_SE_SF_SG_E_clIS8_S8_S9_S9_EESD_ST_SE_SF_SG_EUlST_E1_NS1_11comp_targetILNS1_3genE4ELNS1_11target_archE910ELNS1_3gpuE8ELNS1_3repE0EEENS1_36merge_oddeven_config_static_selectorELNS0_4arch9wavefront6targetE0EEEvSF_,"axG",@progbits,_ZN7rocprim17ROCPRIM_400000_NS6detail17trampoline_kernelINS0_14default_configENS1_38merge_sort_block_merge_config_selectorIhNS0_10empty_typeEEEZZNS1_27merge_sort_block_merge_implIS3_PhPS5_jNS1_19radix_merge_compareILb0ELb0EhNS0_19identity_decomposerEEEEE10hipError_tT0_T1_T2_jT3_P12ihipStream_tbPNSt15iterator_traitsISE_E10value_typeEPNSK_ISF_E10value_typeEPSG_NS1_7vsmem_tEENKUlT_SE_SF_SG_E_clIS8_S8_S9_S9_EESD_ST_SE_SF_SG_EUlST_E1_NS1_11comp_targetILNS1_3genE4ELNS1_11target_archE910ELNS1_3gpuE8ELNS1_3repE0EEENS1_36merge_oddeven_config_static_selectorELNS0_4arch9wavefront6targetE0EEEvSF_,comdat
	.protected	_ZN7rocprim17ROCPRIM_400000_NS6detail17trampoline_kernelINS0_14default_configENS1_38merge_sort_block_merge_config_selectorIhNS0_10empty_typeEEEZZNS1_27merge_sort_block_merge_implIS3_PhPS5_jNS1_19radix_merge_compareILb0ELb0EhNS0_19identity_decomposerEEEEE10hipError_tT0_T1_T2_jT3_P12ihipStream_tbPNSt15iterator_traitsISE_E10value_typeEPNSK_ISF_E10value_typeEPSG_NS1_7vsmem_tEENKUlT_SE_SF_SG_E_clIS8_S8_S9_S9_EESD_ST_SE_SF_SG_EUlST_E1_NS1_11comp_targetILNS1_3genE4ELNS1_11target_archE910ELNS1_3gpuE8ELNS1_3repE0EEENS1_36merge_oddeven_config_static_selectorELNS0_4arch9wavefront6targetE0EEEvSF_ ; -- Begin function _ZN7rocprim17ROCPRIM_400000_NS6detail17trampoline_kernelINS0_14default_configENS1_38merge_sort_block_merge_config_selectorIhNS0_10empty_typeEEEZZNS1_27merge_sort_block_merge_implIS3_PhPS5_jNS1_19radix_merge_compareILb0ELb0EhNS0_19identity_decomposerEEEEE10hipError_tT0_T1_T2_jT3_P12ihipStream_tbPNSt15iterator_traitsISE_E10value_typeEPNSK_ISF_E10value_typeEPSG_NS1_7vsmem_tEENKUlT_SE_SF_SG_E_clIS8_S8_S9_S9_EESD_ST_SE_SF_SG_EUlST_E1_NS1_11comp_targetILNS1_3genE4ELNS1_11target_archE910ELNS1_3gpuE8ELNS1_3repE0EEENS1_36merge_oddeven_config_static_selectorELNS0_4arch9wavefront6targetE0EEEvSF_
	.globl	_ZN7rocprim17ROCPRIM_400000_NS6detail17trampoline_kernelINS0_14default_configENS1_38merge_sort_block_merge_config_selectorIhNS0_10empty_typeEEEZZNS1_27merge_sort_block_merge_implIS3_PhPS5_jNS1_19radix_merge_compareILb0ELb0EhNS0_19identity_decomposerEEEEE10hipError_tT0_T1_T2_jT3_P12ihipStream_tbPNSt15iterator_traitsISE_E10value_typeEPNSK_ISF_E10value_typeEPSG_NS1_7vsmem_tEENKUlT_SE_SF_SG_E_clIS8_S8_S9_S9_EESD_ST_SE_SF_SG_EUlST_E1_NS1_11comp_targetILNS1_3genE4ELNS1_11target_archE910ELNS1_3gpuE8ELNS1_3repE0EEENS1_36merge_oddeven_config_static_selectorELNS0_4arch9wavefront6targetE0EEEvSF_
	.p2align	8
	.type	_ZN7rocprim17ROCPRIM_400000_NS6detail17trampoline_kernelINS0_14default_configENS1_38merge_sort_block_merge_config_selectorIhNS0_10empty_typeEEEZZNS1_27merge_sort_block_merge_implIS3_PhPS5_jNS1_19radix_merge_compareILb0ELb0EhNS0_19identity_decomposerEEEEE10hipError_tT0_T1_T2_jT3_P12ihipStream_tbPNSt15iterator_traitsISE_E10value_typeEPNSK_ISF_E10value_typeEPSG_NS1_7vsmem_tEENKUlT_SE_SF_SG_E_clIS8_S8_S9_S9_EESD_ST_SE_SF_SG_EUlST_E1_NS1_11comp_targetILNS1_3genE4ELNS1_11target_archE910ELNS1_3gpuE8ELNS1_3repE0EEENS1_36merge_oddeven_config_static_selectorELNS0_4arch9wavefront6targetE0EEEvSF_,@function
_ZN7rocprim17ROCPRIM_400000_NS6detail17trampoline_kernelINS0_14default_configENS1_38merge_sort_block_merge_config_selectorIhNS0_10empty_typeEEEZZNS1_27merge_sort_block_merge_implIS3_PhPS5_jNS1_19radix_merge_compareILb0ELb0EhNS0_19identity_decomposerEEEEE10hipError_tT0_T1_T2_jT3_P12ihipStream_tbPNSt15iterator_traitsISE_E10value_typeEPNSK_ISF_E10value_typeEPSG_NS1_7vsmem_tEENKUlT_SE_SF_SG_E_clIS8_S8_S9_S9_EESD_ST_SE_SF_SG_EUlST_E1_NS1_11comp_targetILNS1_3genE4ELNS1_11target_archE910ELNS1_3gpuE8ELNS1_3repE0EEENS1_36merge_oddeven_config_static_selectorELNS0_4arch9wavefront6targetE0EEEvSF_: ; @_ZN7rocprim17ROCPRIM_400000_NS6detail17trampoline_kernelINS0_14default_configENS1_38merge_sort_block_merge_config_selectorIhNS0_10empty_typeEEEZZNS1_27merge_sort_block_merge_implIS3_PhPS5_jNS1_19radix_merge_compareILb0ELb0EhNS0_19identity_decomposerEEEEE10hipError_tT0_T1_T2_jT3_P12ihipStream_tbPNSt15iterator_traitsISE_E10value_typeEPNSK_ISF_E10value_typeEPSG_NS1_7vsmem_tEENKUlT_SE_SF_SG_E_clIS8_S8_S9_S9_EESD_ST_SE_SF_SG_EUlST_E1_NS1_11comp_targetILNS1_3genE4ELNS1_11target_archE910ELNS1_3gpuE8ELNS1_3repE0EEENS1_36merge_oddeven_config_static_selectorELNS0_4arch9wavefront6targetE0EEEvSF_
; %bb.0:
	.section	.rodata,"a",@progbits
	.p2align	6, 0x0
	.amdhsa_kernel _ZN7rocprim17ROCPRIM_400000_NS6detail17trampoline_kernelINS0_14default_configENS1_38merge_sort_block_merge_config_selectorIhNS0_10empty_typeEEEZZNS1_27merge_sort_block_merge_implIS3_PhPS5_jNS1_19radix_merge_compareILb0ELb0EhNS0_19identity_decomposerEEEEE10hipError_tT0_T1_T2_jT3_P12ihipStream_tbPNSt15iterator_traitsISE_E10value_typeEPNSK_ISF_E10value_typeEPSG_NS1_7vsmem_tEENKUlT_SE_SF_SG_E_clIS8_S8_S9_S9_EESD_ST_SE_SF_SG_EUlST_E1_NS1_11comp_targetILNS1_3genE4ELNS1_11target_archE910ELNS1_3gpuE8ELNS1_3repE0EEENS1_36merge_oddeven_config_static_selectorELNS0_4arch9wavefront6targetE0EEEvSF_
		.amdhsa_group_segment_fixed_size 0
		.amdhsa_private_segment_fixed_size 0
		.amdhsa_kernarg_size 48
		.amdhsa_user_sgpr_count 2
		.amdhsa_user_sgpr_dispatch_ptr 0
		.amdhsa_user_sgpr_queue_ptr 0
		.amdhsa_user_sgpr_kernarg_segment_ptr 1
		.amdhsa_user_sgpr_dispatch_id 0
		.amdhsa_user_sgpr_kernarg_preload_length 0
		.amdhsa_user_sgpr_kernarg_preload_offset 0
		.amdhsa_user_sgpr_private_segment_size 0
		.amdhsa_wavefront_size32 1
		.amdhsa_uses_dynamic_stack 0
		.amdhsa_enable_private_segment 0
		.amdhsa_system_sgpr_workgroup_id_x 1
		.amdhsa_system_sgpr_workgroup_id_y 0
		.amdhsa_system_sgpr_workgroup_id_z 0
		.amdhsa_system_sgpr_workgroup_info 0
		.amdhsa_system_vgpr_workitem_id 0
		.amdhsa_next_free_vgpr 1
		.amdhsa_next_free_sgpr 1
		.amdhsa_named_barrier_count 0
		.amdhsa_reserve_vcc 0
		.amdhsa_float_round_mode_32 0
		.amdhsa_float_round_mode_16_64 0
		.amdhsa_float_denorm_mode_32 3
		.amdhsa_float_denorm_mode_16_64 3
		.amdhsa_fp16_overflow 0
		.amdhsa_memory_ordered 1
		.amdhsa_forward_progress 1
		.amdhsa_inst_pref_size 0
		.amdhsa_round_robin_scheduling 0
		.amdhsa_exception_fp_ieee_invalid_op 0
		.amdhsa_exception_fp_denorm_src 0
		.amdhsa_exception_fp_ieee_div_zero 0
		.amdhsa_exception_fp_ieee_overflow 0
		.amdhsa_exception_fp_ieee_underflow 0
		.amdhsa_exception_fp_ieee_inexact 0
		.amdhsa_exception_int_div_zero 0
	.end_amdhsa_kernel
	.section	.text._ZN7rocprim17ROCPRIM_400000_NS6detail17trampoline_kernelINS0_14default_configENS1_38merge_sort_block_merge_config_selectorIhNS0_10empty_typeEEEZZNS1_27merge_sort_block_merge_implIS3_PhPS5_jNS1_19radix_merge_compareILb0ELb0EhNS0_19identity_decomposerEEEEE10hipError_tT0_T1_T2_jT3_P12ihipStream_tbPNSt15iterator_traitsISE_E10value_typeEPNSK_ISF_E10value_typeEPSG_NS1_7vsmem_tEENKUlT_SE_SF_SG_E_clIS8_S8_S9_S9_EESD_ST_SE_SF_SG_EUlST_E1_NS1_11comp_targetILNS1_3genE4ELNS1_11target_archE910ELNS1_3gpuE8ELNS1_3repE0EEENS1_36merge_oddeven_config_static_selectorELNS0_4arch9wavefront6targetE0EEEvSF_,"axG",@progbits,_ZN7rocprim17ROCPRIM_400000_NS6detail17trampoline_kernelINS0_14default_configENS1_38merge_sort_block_merge_config_selectorIhNS0_10empty_typeEEEZZNS1_27merge_sort_block_merge_implIS3_PhPS5_jNS1_19radix_merge_compareILb0ELb0EhNS0_19identity_decomposerEEEEE10hipError_tT0_T1_T2_jT3_P12ihipStream_tbPNSt15iterator_traitsISE_E10value_typeEPNSK_ISF_E10value_typeEPSG_NS1_7vsmem_tEENKUlT_SE_SF_SG_E_clIS8_S8_S9_S9_EESD_ST_SE_SF_SG_EUlST_E1_NS1_11comp_targetILNS1_3genE4ELNS1_11target_archE910ELNS1_3gpuE8ELNS1_3repE0EEENS1_36merge_oddeven_config_static_selectorELNS0_4arch9wavefront6targetE0EEEvSF_,comdat
.Lfunc_end172:
	.size	_ZN7rocprim17ROCPRIM_400000_NS6detail17trampoline_kernelINS0_14default_configENS1_38merge_sort_block_merge_config_selectorIhNS0_10empty_typeEEEZZNS1_27merge_sort_block_merge_implIS3_PhPS5_jNS1_19radix_merge_compareILb0ELb0EhNS0_19identity_decomposerEEEEE10hipError_tT0_T1_T2_jT3_P12ihipStream_tbPNSt15iterator_traitsISE_E10value_typeEPNSK_ISF_E10value_typeEPSG_NS1_7vsmem_tEENKUlT_SE_SF_SG_E_clIS8_S8_S9_S9_EESD_ST_SE_SF_SG_EUlST_E1_NS1_11comp_targetILNS1_3genE4ELNS1_11target_archE910ELNS1_3gpuE8ELNS1_3repE0EEENS1_36merge_oddeven_config_static_selectorELNS0_4arch9wavefront6targetE0EEEvSF_, .Lfunc_end172-_ZN7rocprim17ROCPRIM_400000_NS6detail17trampoline_kernelINS0_14default_configENS1_38merge_sort_block_merge_config_selectorIhNS0_10empty_typeEEEZZNS1_27merge_sort_block_merge_implIS3_PhPS5_jNS1_19radix_merge_compareILb0ELb0EhNS0_19identity_decomposerEEEEE10hipError_tT0_T1_T2_jT3_P12ihipStream_tbPNSt15iterator_traitsISE_E10value_typeEPNSK_ISF_E10value_typeEPSG_NS1_7vsmem_tEENKUlT_SE_SF_SG_E_clIS8_S8_S9_S9_EESD_ST_SE_SF_SG_EUlST_E1_NS1_11comp_targetILNS1_3genE4ELNS1_11target_archE910ELNS1_3gpuE8ELNS1_3repE0EEENS1_36merge_oddeven_config_static_selectorELNS0_4arch9wavefront6targetE0EEEvSF_
                                        ; -- End function
	.set _ZN7rocprim17ROCPRIM_400000_NS6detail17trampoline_kernelINS0_14default_configENS1_38merge_sort_block_merge_config_selectorIhNS0_10empty_typeEEEZZNS1_27merge_sort_block_merge_implIS3_PhPS5_jNS1_19radix_merge_compareILb0ELb0EhNS0_19identity_decomposerEEEEE10hipError_tT0_T1_T2_jT3_P12ihipStream_tbPNSt15iterator_traitsISE_E10value_typeEPNSK_ISF_E10value_typeEPSG_NS1_7vsmem_tEENKUlT_SE_SF_SG_E_clIS8_S8_S9_S9_EESD_ST_SE_SF_SG_EUlST_E1_NS1_11comp_targetILNS1_3genE4ELNS1_11target_archE910ELNS1_3gpuE8ELNS1_3repE0EEENS1_36merge_oddeven_config_static_selectorELNS0_4arch9wavefront6targetE0EEEvSF_.num_vgpr, 0
	.set _ZN7rocprim17ROCPRIM_400000_NS6detail17trampoline_kernelINS0_14default_configENS1_38merge_sort_block_merge_config_selectorIhNS0_10empty_typeEEEZZNS1_27merge_sort_block_merge_implIS3_PhPS5_jNS1_19radix_merge_compareILb0ELb0EhNS0_19identity_decomposerEEEEE10hipError_tT0_T1_T2_jT3_P12ihipStream_tbPNSt15iterator_traitsISE_E10value_typeEPNSK_ISF_E10value_typeEPSG_NS1_7vsmem_tEENKUlT_SE_SF_SG_E_clIS8_S8_S9_S9_EESD_ST_SE_SF_SG_EUlST_E1_NS1_11comp_targetILNS1_3genE4ELNS1_11target_archE910ELNS1_3gpuE8ELNS1_3repE0EEENS1_36merge_oddeven_config_static_selectorELNS0_4arch9wavefront6targetE0EEEvSF_.num_agpr, 0
	.set _ZN7rocprim17ROCPRIM_400000_NS6detail17trampoline_kernelINS0_14default_configENS1_38merge_sort_block_merge_config_selectorIhNS0_10empty_typeEEEZZNS1_27merge_sort_block_merge_implIS3_PhPS5_jNS1_19radix_merge_compareILb0ELb0EhNS0_19identity_decomposerEEEEE10hipError_tT0_T1_T2_jT3_P12ihipStream_tbPNSt15iterator_traitsISE_E10value_typeEPNSK_ISF_E10value_typeEPSG_NS1_7vsmem_tEENKUlT_SE_SF_SG_E_clIS8_S8_S9_S9_EESD_ST_SE_SF_SG_EUlST_E1_NS1_11comp_targetILNS1_3genE4ELNS1_11target_archE910ELNS1_3gpuE8ELNS1_3repE0EEENS1_36merge_oddeven_config_static_selectorELNS0_4arch9wavefront6targetE0EEEvSF_.numbered_sgpr, 0
	.set _ZN7rocprim17ROCPRIM_400000_NS6detail17trampoline_kernelINS0_14default_configENS1_38merge_sort_block_merge_config_selectorIhNS0_10empty_typeEEEZZNS1_27merge_sort_block_merge_implIS3_PhPS5_jNS1_19radix_merge_compareILb0ELb0EhNS0_19identity_decomposerEEEEE10hipError_tT0_T1_T2_jT3_P12ihipStream_tbPNSt15iterator_traitsISE_E10value_typeEPNSK_ISF_E10value_typeEPSG_NS1_7vsmem_tEENKUlT_SE_SF_SG_E_clIS8_S8_S9_S9_EESD_ST_SE_SF_SG_EUlST_E1_NS1_11comp_targetILNS1_3genE4ELNS1_11target_archE910ELNS1_3gpuE8ELNS1_3repE0EEENS1_36merge_oddeven_config_static_selectorELNS0_4arch9wavefront6targetE0EEEvSF_.num_named_barrier, 0
	.set _ZN7rocprim17ROCPRIM_400000_NS6detail17trampoline_kernelINS0_14default_configENS1_38merge_sort_block_merge_config_selectorIhNS0_10empty_typeEEEZZNS1_27merge_sort_block_merge_implIS3_PhPS5_jNS1_19radix_merge_compareILb0ELb0EhNS0_19identity_decomposerEEEEE10hipError_tT0_T1_T2_jT3_P12ihipStream_tbPNSt15iterator_traitsISE_E10value_typeEPNSK_ISF_E10value_typeEPSG_NS1_7vsmem_tEENKUlT_SE_SF_SG_E_clIS8_S8_S9_S9_EESD_ST_SE_SF_SG_EUlST_E1_NS1_11comp_targetILNS1_3genE4ELNS1_11target_archE910ELNS1_3gpuE8ELNS1_3repE0EEENS1_36merge_oddeven_config_static_selectorELNS0_4arch9wavefront6targetE0EEEvSF_.private_seg_size, 0
	.set _ZN7rocprim17ROCPRIM_400000_NS6detail17trampoline_kernelINS0_14default_configENS1_38merge_sort_block_merge_config_selectorIhNS0_10empty_typeEEEZZNS1_27merge_sort_block_merge_implIS3_PhPS5_jNS1_19radix_merge_compareILb0ELb0EhNS0_19identity_decomposerEEEEE10hipError_tT0_T1_T2_jT3_P12ihipStream_tbPNSt15iterator_traitsISE_E10value_typeEPNSK_ISF_E10value_typeEPSG_NS1_7vsmem_tEENKUlT_SE_SF_SG_E_clIS8_S8_S9_S9_EESD_ST_SE_SF_SG_EUlST_E1_NS1_11comp_targetILNS1_3genE4ELNS1_11target_archE910ELNS1_3gpuE8ELNS1_3repE0EEENS1_36merge_oddeven_config_static_selectorELNS0_4arch9wavefront6targetE0EEEvSF_.uses_vcc, 0
	.set _ZN7rocprim17ROCPRIM_400000_NS6detail17trampoline_kernelINS0_14default_configENS1_38merge_sort_block_merge_config_selectorIhNS0_10empty_typeEEEZZNS1_27merge_sort_block_merge_implIS3_PhPS5_jNS1_19radix_merge_compareILb0ELb0EhNS0_19identity_decomposerEEEEE10hipError_tT0_T1_T2_jT3_P12ihipStream_tbPNSt15iterator_traitsISE_E10value_typeEPNSK_ISF_E10value_typeEPSG_NS1_7vsmem_tEENKUlT_SE_SF_SG_E_clIS8_S8_S9_S9_EESD_ST_SE_SF_SG_EUlST_E1_NS1_11comp_targetILNS1_3genE4ELNS1_11target_archE910ELNS1_3gpuE8ELNS1_3repE0EEENS1_36merge_oddeven_config_static_selectorELNS0_4arch9wavefront6targetE0EEEvSF_.uses_flat_scratch, 0
	.set _ZN7rocprim17ROCPRIM_400000_NS6detail17trampoline_kernelINS0_14default_configENS1_38merge_sort_block_merge_config_selectorIhNS0_10empty_typeEEEZZNS1_27merge_sort_block_merge_implIS3_PhPS5_jNS1_19radix_merge_compareILb0ELb0EhNS0_19identity_decomposerEEEEE10hipError_tT0_T1_T2_jT3_P12ihipStream_tbPNSt15iterator_traitsISE_E10value_typeEPNSK_ISF_E10value_typeEPSG_NS1_7vsmem_tEENKUlT_SE_SF_SG_E_clIS8_S8_S9_S9_EESD_ST_SE_SF_SG_EUlST_E1_NS1_11comp_targetILNS1_3genE4ELNS1_11target_archE910ELNS1_3gpuE8ELNS1_3repE0EEENS1_36merge_oddeven_config_static_selectorELNS0_4arch9wavefront6targetE0EEEvSF_.has_dyn_sized_stack, 0
	.set _ZN7rocprim17ROCPRIM_400000_NS6detail17trampoline_kernelINS0_14default_configENS1_38merge_sort_block_merge_config_selectorIhNS0_10empty_typeEEEZZNS1_27merge_sort_block_merge_implIS3_PhPS5_jNS1_19radix_merge_compareILb0ELb0EhNS0_19identity_decomposerEEEEE10hipError_tT0_T1_T2_jT3_P12ihipStream_tbPNSt15iterator_traitsISE_E10value_typeEPNSK_ISF_E10value_typeEPSG_NS1_7vsmem_tEENKUlT_SE_SF_SG_E_clIS8_S8_S9_S9_EESD_ST_SE_SF_SG_EUlST_E1_NS1_11comp_targetILNS1_3genE4ELNS1_11target_archE910ELNS1_3gpuE8ELNS1_3repE0EEENS1_36merge_oddeven_config_static_selectorELNS0_4arch9wavefront6targetE0EEEvSF_.has_recursion, 0
	.set _ZN7rocprim17ROCPRIM_400000_NS6detail17trampoline_kernelINS0_14default_configENS1_38merge_sort_block_merge_config_selectorIhNS0_10empty_typeEEEZZNS1_27merge_sort_block_merge_implIS3_PhPS5_jNS1_19radix_merge_compareILb0ELb0EhNS0_19identity_decomposerEEEEE10hipError_tT0_T1_T2_jT3_P12ihipStream_tbPNSt15iterator_traitsISE_E10value_typeEPNSK_ISF_E10value_typeEPSG_NS1_7vsmem_tEENKUlT_SE_SF_SG_E_clIS8_S8_S9_S9_EESD_ST_SE_SF_SG_EUlST_E1_NS1_11comp_targetILNS1_3genE4ELNS1_11target_archE910ELNS1_3gpuE8ELNS1_3repE0EEENS1_36merge_oddeven_config_static_selectorELNS0_4arch9wavefront6targetE0EEEvSF_.has_indirect_call, 0
	.section	.AMDGPU.csdata,"",@progbits
; Kernel info:
; codeLenInByte = 0
; TotalNumSgprs: 0
; NumVgprs: 0
; ScratchSize: 0
; MemoryBound: 0
; FloatMode: 240
; IeeeMode: 1
; LDSByteSize: 0 bytes/workgroup (compile time only)
; SGPRBlocks: 0
; VGPRBlocks: 0
; NumSGPRsForWavesPerEU: 1
; NumVGPRsForWavesPerEU: 1
; NamedBarCnt: 0
; Occupancy: 16
; WaveLimiterHint : 0
; COMPUTE_PGM_RSRC2:SCRATCH_EN: 0
; COMPUTE_PGM_RSRC2:USER_SGPR: 2
; COMPUTE_PGM_RSRC2:TRAP_HANDLER: 0
; COMPUTE_PGM_RSRC2:TGID_X_EN: 1
; COMPUTE_PGM_RSRC2:TGID_Y_EN: 0
; COMPUTE_PGM_RSRC2:TGID_Z_EN: 0
; COMPUTE_PGM_RSRC2:TIDIG_COMP_CNT: 0
	.section	.text._ZN7rocprim17ROCPRIM_400000_NS6detail17trampoline_kernelINS0_14default_configENS1_38merge_sort_block_merge_config_selectorIhNS0_10empty_typeEEEZZNS1_27merge_sort_block_merge_implIS3_PhPS5_jNS1_19radix_merge_compareILb0ELb0EhNS0_19identity_decomposerEEEEE10hipError_tT0_T1_T2_jT3_P12ihipStream_tbPNSt15iterator_traitsISE_E10value_typeEPNSK_ISF_E10value_typeEPSG_NS1_7vsmem_tEENKUlT_SE_SF_SG_E_clIS8_S8_S9_S9_EESD_ST_SE_SF_SG_EUlST_E1_NS1_11comp_targetILNS1_3genE3ELNS1_11target_archE908ELNS1_3gpuE7ELNS1_3repE0EEENS1_36merge_oddeven_config_static_selectorELNS0_4arch9wavefront6targetE0EEEvSF_,"axG",@progbits,_ZN7rocprim17ROCPRIM_400000_NS6detail17trampoline_kernelINS0_14default_configENS1_38merge_sort_block_merge_config_selectorIhNS0_10empty_typeEEEZZNS1_27merge_sort_block_merge_implIS3_PhPS5_jNS1_19radix_merge_compareILb0ELb0EhNS0_19identity_decomposerEEEEE10hipError_tT0_T1_T2_jT3_P12ihipStream_tbPNSt15iterator_traitsISE_E10value_typeEPNSK_ISF_E10value_typeEPSG_NS1_7vsmem_tEENKUlT_SE_SF_SG_E_clIS8_S8_S9_S9_EESD_ST_SE_SF_SG_EUlST_E1_NS1_11comp_targetILNS1_3genE3ELNS1_11target_archE908ELNS1_3gpuE7ELNS1_3repE0EEENS1_36merge_oddeven_config_static_selectorELNS0_4arch9wavefront6targetE0EEEvSF_,comdat
	.protected	_ZN7rocprim17ROCPRIM_400000_NS6detail17trampoline_kernelINS0_14default_configENS1_38merge_sort_block_merge_config_selectorIhNS0_10empty_typeEEEZZNS1_27merge_sort_block_merge_implIS3_PhPS5_jNS1_19radix_merge_compareILb0ELb0EhNS0_19identity_decomposerEEEEE10hipError_tT0_T1_T2_jT3_P12ihipStream_tbPNSt15iterator_traitsISE_E10value_typeEPNSK_ISF_E10value_typeEPSG_NS1_7vsmem_tEENKUlT_SE_SF_SG_E_clIS8_S8_S9_S9_EESD_ST_SE_SF_SG_EUlST_E1_NS1_11comp_targetILNS1_3genE3ELNS1_11target_archE908ELNS1_3gpuE7ELNS1_3repE0EEENS1_36merge_oddeven_config_static_selectorELNS0_4arch9wavefront6targetE0EEEvSF_ ; -- Begin function _ZN7rocprim17ROCPRIM_400000_NS6detail17trampoline_kernelINS0_14default_configENS1_38merge_sort_block_merge_config_selectorIhNS0_10empty_typeEEEZZNS1_27merge_sort_block_merge_implIS3_PhPS5_jNS1_19radix_merge_compareILb0ELb0EhNS0_19identity_decomposerEEEEE10hipError_tT0_T1_T2_jT3_P12ihipStream_tbPNSt15iterator_traitsISE_E10value_typeEPNSK_ISF_E10value_typeEPSG_NS1_7vsmem_tEENKUlT_SE_SF_SG_E_clIS8_S8_S9_S9_EESD_ST_SE_SF_SG_EUlST_E1_NS1_11comp_targetILNS1_3genE3ELNS1_11target_archE908ELNS1_3gpuE7ELNS1_3repE0EEENS1_36merge_oddeven_config_static_selectorELNS0_4arch9wavefront6targetE0EEEvSF_
	.globl	_ZN7rocprim17ROCPRIM_400000_NS6detail17trampoline_kernelINS0_14default_configENS1_38merge_sort_block_merge_config_selectorIhNS0_10empty_typeEEEZZNS1_27merge_sort_block_merge_implIS3_PhPS5_jNS1_19radix_merge_compareILb0ELb0EhNS0_19identity_decomposerEEEEE10hipError_tT0_T1_T2_jT3_P12ihipStream_tbPNSt15iterator_traitsISE_E10value_typeEPNSK_ISF_E10value_typeEPSG_NS1_7vsmem_tEENKUlT_SE_SF_SG_E_clIS8_S8_S9_S9_EESD_ST_SE_SF_SG_EUlST_E1_NS1_11comp_targetILNS1_3genE3ELNS1_11target_archE908ELNS1_3gpuE7ELNS1_3repE0EEENS1_36merge_oddeven_config_static_selectorELNS0_4arch9wavefront6targetE0EEEvSF_
	.p2align	8
	.type	_ZN7rocprim17ROCPRIM_400000_NS6detail17trampoline_kernelINS0_14default_configENS1_38merge_sort_block_merge_config_selectorIhNS0_10empty_typeEEEZZNS1_27merge_sort_block_merge_implIS3_PhPS5_jNS1_19radix_merge_compareILb0ELb0EhNS0_19identity_decomposerEEEEE10hipError_tT0_T1_T2_jT3_P12ihipStream_tbPNSt15iterator_traitsISE_E10value_typeEPNSK_ISF_E10value_typeEPSG_NS1_7vsmem_tEENKUlT_SE_SF_SG_E_clIS8_S8_S9_S9_EESD_ST_SE_SF_SG_EUlST_E1_NS1_11comp_targetILNS1_3genE3ELNS1_11target_archE908ELNS1_3gpuE7ELNS1_3repE0EEENS1_36merge_oddeven_config_static_selectorELNS0_4arch9wavefront6targetE0EEEvSF_,@function
_ZN7rocprim17ROCPRIM_400000_NS6detail17trampoline_kernelINS0_14default_configENS1_38merge_sort_block_merge_config_selectorIhNS0_10empty_typeEEEZZNS1_27merge_sort_block_merge_implIS3_PhPS5_jNS1_19radix_merge_compareILb0ELb0EhNS0_19identity_decomposerEEEEE10hipError_tT0_T1_T2_jT3_P12ihipStream_tbPNSt15iterator_traitsISE_E10value_typeEPNSK_ISF_E10value_typeEPSG_NS1_7vsmem_tEENKUlT_SE_SF_SG_E_clIS8_S8_S9_S9_EESD_ST_SE_SF_SG_EUlST_E1_NS1_11comp_targetILNS1_3genE3ELNS1_11target_archE908ELNS1_3gpuE7ELNS1_3repE0EEENS1_36merge_oddeven_config_static_selectorELNS0_4arch9wavefront6targetE0EEEvSF_: ; @_ZN7rocprim17ROCPRIM_400000_NS6detail17trampoline_kernelINS0_14default_configENS1_38merge_sort_block_merge_config_selectorIhNS0_10empty_typeEEEZZNS1_27merge_sort_block_merge_implIS3_PhPS5_jNS1_19radix_merge_compareILb0ELb0EhNS0_19identity_decomposerEEEEE10hipError_tT0_T1_T2_jT3_P12ihipStream_tbPNSt15iterator_traitsISE_E10value_typeEPNSK_ISF_E10value_typeEPSG_NS1_7vsmem_tEENKUlT_SE_SF_SG_E_clIS8_S8_S9_S9_EESD_ST_SE_SF_SG_EUlST_E1_NS1_11comp_targetILNS1_3genE3ELNS1_11target_archE908ELNS1_3gpuE7ELNS1_3repE0EEENS1_36merge_oddeven_config_static_selectorELNS0_4arch9wavefront6targetE0EEEvSF_
; %bb.0:
	.section	.rodata,"a",@progbits
	.p2align	6, 0x0
	.amdhsa_kernel _ZN7rocprim17ROCPRIM_400000_NS6detail17trampoline_kernelINS0_14default_configENS1_38merge_sort_block_merge_config_selectorIhNS0_10empty_typeEEEZZNS1_27merge_sort_block_merge_implIS3_PhPS5_jNS1_19radix_merge_compareILb0ELb0EhNS0_19identity_decomposerEEEEE10hipError_tT0_T1_T2_jT3_P12ihipStream_tbPNSt15iterator_traitsISE_E10value_typeEPNSK_ISF_E10value_typeEPSG_NS1_7vsmem_tEENKUlT_SE_SF_SG_E_clIS8_S8_S9_S9_EESD_ST_SE_SF_SG_EUlST_E1_NS1_11comp_targetILNS1_3genE3ELNS1_11target_archE908ELNS1_3gpuE7ELNS1_3repE0EEENS1_36merge_oddeven_config_static_selectorELNS0_4arch9wavefront6targetE0EEEvSF_
		.amdhsa_group_segment_fixed_size 0
		.amdhsa_private_segment_fixed_size 0
		.amdhsa_kernarg_size 48
		.amdhsa_user_sgpr_count 2
		.amdhsa_user_sgpr_dispatch_ptr 0
		.amdhsa_user_sgpr_queue_ptr 0
		.amdhsa_user_sgpr_kernarg_segment_ptr 1
		.amdhsa_user_sgpr_dispatch_id 0
		.amdhsa_user_sgpr_kernarg_preload_length 0
		.amdhsa_user_sgpr_kernarg_preload_offset 0
		.amdhsa_user_sgpr_private_segment_size 0
		.amdhsa_wavefront_size32 1
		.amdhsa_uses_dynamic_stack 0
		.amdhsa_enable_private_segment 0
		.amdhsa_system_sgpr_workgroup_id_x 1
		.amdhsa_system_sgpr_workgroup_id_y 0
		.amdhsa_system_sgpr_workgroup_id_z 0
		.amdhsa_system_sgpr_workgroup_info 0
		.amdhsa_system_vgpr_workitem_id 0
		.amdhsa_next_free_vgpr 1
		.amdhsa_next_free_sgpr 1
		.amdhsa_named_barrier_count 0
		.amdhsa_reserve_vcc 0
		.amdhsa_float_round_mode_32 0
		.amdhsa_float_round_mode_16_64 0
		.amdhsa_float_denorm_mode_32 3
		.amdhsa_float_denorm_mode_16_64 3
		.amdhsa_fp16_overflow 0
		.amdhsa_memory_ordered 1
		.amdhsa_forward_progress 1
		.amdhsa_inst_pref_size 0
		.amdhsa_round_robin_scheduling 0
		.amdhsa_exception_fp_ieee_invalid_op 0
		.amdhsa_exception_fp_denorm_src 0
		.amdhsa_exception_fp_ieee_div_zero 0
		.amdhsa_exception_fp_ieee_overflow 0
		.amdhsa_exception_fp_ieee_underflow 0
		.amdhsa_exception_fp_ieee_inexact 0
		.amdhsa_exception_int_div_zero 0
	.end_amdhsa_kernel
	.section	.text._ZN7rocprim17ROCPRIM_400000_NS6detail17trampoline_kernelINS0_14default_configENS1_38merge_sort_block_merge_config_selectorIhNS0_10empty_typeEEEZZNS1_27merge_sort_block_merge_implIS3_PhPS5_jNS1_19radix_merge_compareILb0ELb0EhNS0_19identity_decomposerEEEEE10hipError_tT0_T1_T2_jT3_P12ihipStream_tbPNSt15iterator_traitsISE_E10value_typeEPNSK_ISF_E10value_typeEPSG_NS1_7vsmem_tEENKUlT_SE_SF_SG_E_clIS8_S8_S9_S9_EESD_ST_SE_SF_SG_EUlST_E1_NS1_11comp_targetILNS1_3genE3ELNS1_11target_archE908ELNS1_3gpuE7ELNS1_3repE0EEENS1_36merge_oddeven_config_static_selectorELNS0_4arch9wavefront6targetE0EEEvSF_,"axG",@progbits,_ZN7rocprim17ROCPRIM_400000_NS6detail17trampoline_kernelINS0_14default_configENS1_38merge_sort_block_merge_config_selectorIhNS0_10empty_typeEEEZZNS1_27merge_sort_block_merge_implIS3_PhPS5_jNS1_19radix_merge_compareILb0ELb0EhNS0_19identity_decomposerEEEEE10hipError_tT0_T1_T2_jT3_P12ihipStream_tbPNSt15iterator_traitsISE_E10value_typeEPNSK_ISF_E10value_typeEPSG_NS1_7vsmem_tEENKUlT_SE_SF_SG_E_clIS8_S8_S9_S9_EESD_ST_SE_SF_SG_EUlST_E1_NS1_11comp_targetILNS1_3genE3ELNS1_11target_archE908ELNS1_3gpuE7ELNS1_3repE0EEENS1_36merge_oddeven_config_static_selectorELNS0_4arch9wavefront6targetE0EEEvSF_,comdat
.Lfunc_end173:
	.size	_ZN7rocprim17ROCPRIM_400000_NS6detail17trampoline_kernelINS0_14default_configENS1_38merge_sort_block_merge_config_selectorIhNS0_10empty_typeEEEZZNS1_27merge_sort_block_merge_implIS3_PhPS5_jNS1_19radix_merge_compareILb0ELb0EhNS0_19identity_decomposerEEEEE10hipError_tT0_T1_T2_jT3_P12ihipStream_tbPNSt15iterator_traitsISE_E10value_typeEPNSK_ISF_E10value_typeEPSG_NS1_7vsmem_tEENKUlT_SE_SF_SG_E_clIS8_S8_S9_S9_EESD_ST_SE_SF_SG_EUlST_E1_NS1_11comp_targetILNS1_3genE3ELNS1_11target_archE908ELNS1_3gpuE7ELNS1_3repE0EEENS1_36merge_oddeven_config_static_selectorELNS0_4arch9wavefront6targetE0EEEvSF_, .Lfunc_end173-_ZN7rocprim17ROCPRIM_400000_NS6detail17trampoline_kernelINS0_14default_configENS1_38merge_sort_block_merge_config_selectorIhNS0_10empty_typeEEEZZNS1_27merge_sort_block_merge_implIS3_PhPS5_jNS1_19radix_merge_compareILb0ELb0EhNS0_19identity_decomposerEEEEE10hipError_tT0_T1_T2_jT3_P12ihipStream_tbPNSt15iterator_traitsISE_E10value_typeEPNSK_ISF_E10value_typeEPSG_NS1_7vsmem_tEENKUlT_SE_SF_SG_E_clIS8_S8_S9_S9_EESD_ST_SE_SF_SG_EUlST_E1_NS1_11comp_targetILNS1_3genE3ELNS1_11target_archE908ELNS1_3gpuE7ELNS1_3repE0EEENS1_36merge_oddeven_config_static_selectorELNS0_4arch9wavefront6targetE0EEEvSF_
                                        ; -- End function
	.set _ZN7rocprim17ROCPRIM_400000_NS6detail17trampoline_kernelINS0_14default_configENS1_38merge_sort_block_merge_config_selectorIhNS0_10empty_typeEEEZZNS1_27merge_sort_block_merge_implIS3_PhPS5_jNS1_19radix_merge_compareILb0ELb0EhNS0_19identity_decomposerEEEEE10hipError_tT0_T1_T2_jT3_P12ihipStream_tbPNSt15iterator_traitsISE_E10value_typeEPNSK_ISF_E10value_typeEPSG_NS1_7vsmem_tEENKUlT_SE_SF_SG_E_clIS8_S8_S9_S9_EESD_ST_SE_SF_SG_EUlST_E1_NS1_11comp_targetILNS1_3genE3ELNS1_11target_archE908ELNS1_3gpuE7ELNS1_3repE0EEENS1_36merge_oddeven_config_static_selectorELNS0_4arch9wavefront6targetE0EEEvSF_.num_vgpr, 0
	.set _ZN7rocprim17ROCPRIM_400000_NS6detail17trampoline_kernelINS0_14default_configENS1_38merge_sort_block_merge_config_selectorIhNS0_10empty_typeEEEZZNS1_27merge_sort_block_merge_implIS3_PhPS5_jNS1_19radix_merge_compareILb0ELb0EhNS0_19identity_decomposerEEEEE10hipError_tT0_T1_T2_jT3_P12ihipStream_tbPNSt15iterator_traitsISE_E10value_typeEPNSK_ISF_E10value_typeEPSG_NS1_7vsmem_tEENKUlT_SE_SF_SG_E_clIS8_S8_S9_S9_EESD_ST_SE_SF_SG_EUlST_E1_NS1_11comp_targetILNS1_3genE3ELNS1_11target_archE908ELNS1_3gpuE7ELNS1_3repE0EEENS1_36merge_oddeven_config_static_selectorELNS0_4arch9wavefront6targetE0EEEvSF_.num_agpr, 0
	.set _ZN7rocprim17ROCPRIM_400000_NS6detail17trampoline_kernelINS0_14default_configENS1_38merge_sort_block_merge_config_selectorIhNS0_10empty_typeEEEZZNS1_27merge_sort_block_merge_implIS3_PhPS5_jNS1_19radix_merge_compareILb0ELb0EhNS0_19identity_decomposerEEEEE10hipError_tT0_T1_T2_jT3_P12ihipStream_tbPNSt15iterator_traitsISE_E10value_typeEPNSK_ISF_E10value_typeEPSG_NS1_7vsmem_tEENKUlT_SE_SF_SG_E_clIS8_S8_S9_S9_EESD_ST_SE_SF_SG_EUlST_E1_NS1_11comp_targetILNS1_3genE3ELNS1_11target_archE908ELNS1_3gpuE7ELNS1_3repE0EEENS1_36merge_oddeven_config_static_selectorELNS0_4arch9wavefront6targetE0EEEvSF_.numbered_sgpr, 0
	.set _ZN7rocprim17ROCPRIM_400000_NS6detail17trampoline_kernelINS0_14default_configENS1_38merge_sort_block_merge_config_selectorIhNS0_10empty_typeEEEZZNS1_27merge_sort_block_merge_implIS3_PhPS5_jNS1_19radix_merge_compareILb0ELb0EhNS0_19identity_decomposerEEEEE10hipError_tT0_T1_T2_jT3_P12ihipStream_tbPNSt15iterator_traitsISE_E10value_typeEPNSK_ISF_E10value_typeEPSG_NS1_7vsmem_tEENKUlT_SE_SF_SG_E_clIS8_S8_S9_S9_EESD_ST_SE_SF_SG_EUlST_E1_NS1_11comp_targetILNS1_3genE3ELNS1_11target_archE908ELNS1_3gpuE7ELNS1_3repE0EEENS1_36merge_oddeven_config_static_selectorELNS0_4arch9wavefront6targetE0EEEvSF_.num_named_barrier, 0
	.set _ZN7rocprim17ROCPRIM_400000_NS6detail17trampoline_kernelINS0_14default_configENS1_38merge_sort_block_merge_config_selectorIhNS0_10empty_typeEEEZZNS1_27merge_sort_block_merge_implIS3_PhPS5_jNS1_19radix_merge_compareILb0ELb0EhNS0_19identity_decomposerEEEEE10hipError_tT0_T1_T2_jT3_P12ihipStream_tbPNSt15iterator_traitsISE_E10value_typeEPNSK_ISF_E10value_typeEPSG_NS1_7vsmem_tEENKUlT_SE_SF_SG_E_clIS8_S8_S9_S9_EESD_ST_SE_SF_SG_EUlST_E1_NS1_11comp_targetILNS1_3genE3ELNS1_11target_archE908ELNS1_3gpuE7ELNS1_3repE0EEENS1_36merge_oddeven_config_static_selectorELNS0_4arch9wavefront6targetE0EEEvSF_.private_seg_size, 0
	.set _ZN7rocprim17ROCPRIM_400000_NS6detail17trampoline_kernelINS0_14default_configENS1_38merge_sort_block_merge_config_selectorIhNS0_10empty_typeEEEZZNS1_27merge_sort_block_merge_implIS3_PhPS5_jNS1_19radix_merge_compareILb0ELb0EhNS0_19identity_decomposerEEEEE10hipError_tT0_T1_T2_jT3_P12ihipStream_tbPNSt15iterator_traitsISE_E10value_typeEPNSK_ISF_E10value_typeEPSG_NS1_7vsmem_tEENKUlT_SE_SF_SG_E_clIS8_S8_S9_S9_EESD_ST_SE_SF_SG_EUlST_E1_NS1_11comp_targetILNS1_3genE3ELNS1_11target_archE908ELNS1_3gpuE7ELNS1_3repE0EEENS1_36merge_oddeven_config_static_selectorELNS0_4arch9wavefront6targetE0EEEvSF_.uses_vcc, 0
	.set _ZN7rocprim17ROCPRIM_400000_NS6detail17trampoline_kernelINS0_14default_configENS1_38merge_sort_block_merge_config_selectorIhNS0_10empty_typeEEEZZNS1_27merge_sort_block_merge_implIS3_PhPS5_jNS1_19radix_merge_compareILb0ELb0EhNS0_19identity_decomposerEEEEE10hipError_tT0_T1_T2_jT3_P12ihipStream_tbPNSt15iterator_traitsISE_E10value_typeEPNSK_ISF_E10value_typeEPSG_NS1_7vsmem_tEENKUlT_SE_SF_SG_E_clIS8_S8_S9_S9_EESD_ST_SE_SF_SG_EUlST_E1_NS1_11comp_targetILNS1_3genE3ELNS1_11target_archE908ELNS1_3gpuE7ELNS1_3repE0EEENS1_36merge_oddeven_config_static_selectorELNS0_4arch9wavefront6targetE0EEEvSF_.uses_flat_scratch, 0
	.set _ZN7rocprim17ROCPRIM_400000_NS6detail17trampoline_kernelINS0_14default_configENS1_38merge_sort_block_merge_config_selectorIhNS0_10empty_typeEEEZZNS1_27merge_sort_block_merge_implIS3_PhPS5_jNS1_19radix_merge_compareILb0ELb0EhNS0_19identity_decomposerEEEEE10hipError_tT0_T1_T2_jT3_P12ihipStream_tbPNSt15iterator_traitsISE_E10value_typeEPNSK_ISF_E10value_typeEPSG_NS1_7vsmem_tEENKUlT_SE_SF_SG_E_clIS8_S8_S9_S9_EESD_ST_SE_SF_SG_EUlST_E1_NS1_11comp_targetILNS1_3genE3ELNS1_11target_archE908ELNS1_3gpuE7ELNS1_3repE0EEENS1_36merge_oddeven_config_static_selectorELNS0_4arch9wavefront6targetE0EEEvSF_.has_dyn_sized_stack, 0
	.set _ZN7rocprim17ROCPRIM_400000_NS6detail17trampoline_kernelINS0_14default_configENS1_38merge_sort_block_merge_config_selectorIhNS0_10empty_typeEEEZZNS1_27merge_sort_block_merge_implIS3_PhPS5_jNS1_19radix_merge_compareILb0ELb0EhNS0_19identity_decomposerEEEEE10hipError_tT0_T1_T2_jT3_P12ihipStream_tbPNSt15iterator_traitsISE_E10value_typeEPNSK_ISF_E10value_typeEPSG_NS1_7vsmem_tEENKUlT_SE_SF_SG_E_clIS8_S8_S9_S9_EESD_ST_SE_SF_SG_EUlST_E1_NS1_11comp_targetILNS1_3genE3ELNS1_11target_archE908ELNS1_3gpuE7ELNS1_3repE0EEENS1_36merge_oddeven_config_static_selectorELNS0_4arch9wavefront6targetE0EEEvSF_.has_recursion, 0
	.set _ZN7rocprim17ROCPRIM_400000_NS6detail17trampoline_kernelINS0_14default_configENS1_38merge_sort_block_merge_config_selectorIhNS0_10empty_typeEEEZZNS1_27merge_sort_block_merge_implIS3_PhPS5_jNS1_19radix_merge_compareILb0ELb0EhNS0_19identity_decomposerEEEEE10hipError_tT0_T1_T2_jT3_P12ihipStream_tbPNSt15iterator_traitsISE_E10value_typeEPNSK_ISF_E10value_typeEPSG_NS1_7vsmem_tEENKUlT_SE_SF_SG_E_clIS8_S8_S9_S9_EESD_ST_SE_SF_SG_EUlST_E1_NS1_11comp_targetILNS1_3genE3ELNS1_11target_archE908ELNS1_3gpuE7ELNS1_3repE0EEENS1_36merge_oddeven_config_static_selectorELNS0_4arch9wavefront6targetE0EEEvSF_.has_indirect_call, 0
	.section	.AMDGPU.csdata,"",@progbits
; Kernel info:
; codeLenInByte = 0
; TotalNumSgprs: 0
; NumVgprs: 0
; ScratchSize: 0
; MemoryBound: 0
; FloatMode: 240
; IeeeMode: 1
; LDSByteSize: 0 bytes/workgroup (compile time only)
; SGPRBlocks: 0
; VGPRBlocks: 0
; NumSGPRsForWavesPerEU: 1
; NumVGPRsForWavesPerEU: 1
; NamedBarCnt: 0
; Occupancy: 16
; WaveLimiterHint : 0
; COMPUTE_PGM_RSRC2:SCRATCH_EN: 0
; COMPUTE_PGM_RSRC2:USER_SGPR: 2
; COMPUTE_PGM_RSRC2:TRAP_HANDLER: 0
; COMPUTE_PGM_RSRC2:TGID_X_EN: 1
; COMPUTE_PGM_RSRC2:TGID_Y_EN: 0
; COMPUTE_PGM_RSRC2:TGID_Z_EN: 0
; COMPUTE_PGM_RSRC2:TIDIG_COMP_CNT: 0
	.section	.text._ZN7rocprim17ROCPRIM_400000_NS6detail17trampoline_kernelINS0_14default_configENS1_38merge_sort_block_merge_config_selectorIhNS0_10empty_typeEEEZZNS1_27merge_sort_block_merge_implIS3_PhPS5_jNS1_19radix_merge_compareILb0ELb0EhNS0_19identity_decomposerEEEEE10hipError_tT0_T1_T2_jT3_P12ihipStream_tbPNSt15iterator_traitsISE_E10value_typeEPNSK_ISF_E10value_typeEPSG_NS1_7vsmem_tEENKUlT_SE_SF_SG_E_clIS8_S8_S9_S9_EESD_ST_SE_SF_SG_EUlST_E1_NS1_11comp_targetILNS1_3genE2ELNS1_11target_archE906ELNS1_3gpuE6ELNS1_3repE0EEENS1_36merge_oddeven_config_static_selectorELNS0_4arch9wavefront6targetE0EEEvSF_,"axG",@progbits,_ZN7rocprim17ROCPRIM_400000_NS6detail17trampoline_kernelINS0_14default_configENS1_38merge_sort_block_merge_config_selectorIhNS0_10empty_typeEEEZZNS1_27merge_sort_block_merge_implIS3_PhPS5_jNS1_19radix_merge_compareILb0ELb0EhNS0_19identity_decomposerEEEEE10hipError_tT0_T1_T2_jT3_P12ihipStream_tbPNSt15iterator_traitsISE_E10value_typeEPNSK_ISF_E10value_typeEPSG_NS1_7vsmem_tEENKUlT_SE_SF_SG_E_clIS8_S8_S9_S9_EESD_ST_SE_SF_SG_EUlST_E1_NS1_11comp_targetILNS1_3genE2ELNS1_11target_archE906ELNS1_3gpuE6ELNS1_3repE0EEENS1_36merge_oddeven_config_static_selectorELNS0_4arch9wavefront6targetE0EEEvSF_,comdat
	.protected	_ZN7rocprim17ROCPRIM_400000_NS6detail17trampoline_kernelINS0_14default_configENS1_38merge_sort_block_merge_config_selectorIhNS0_10empty_typeEEEZZNS1_27merge_sort_block_merge_implIS3_PhPS5_jNS1_19radix_merge_compareILb0ELb0EhNS0_19identity_decomposerEEEEE10hipError_tT0_T1_T2_jT3_P12ihipStream_tbPNSt15iterator_traitsISE_E10value_typeEPNSK_ISF_E10value_typeEPSG_NS1_7vsmem_tEENKUlT_SE_SF_SG_E_clIS8_S8_S9_S9_EESD_ST_SE_SF_SG_EUlST_E1_NS1_11comp_targetILNS1_3genE2ELNS1_11target_archE906ELNS1_3gpuE6ELNS1_3repE0EEENS1_36merge_oddeven_config_static_selectorELNS0_4arch9wavefront6targetE0EEEvSF_ ; -- Begin function _ZN7rocprim17ROCPRIM_400000_NS6detail17trampoline_kernelINS0_14default_configENS1_38merge_sort_block_merge_config_selectorIhNS0_10empty_typeEEEZZNS1_27merge_sort_block_merge_implIS3_PhPS5_jNS1_19radix_merge_compareILb0ELb0EhNS0_19identity_decomposerEEEEE10hipError_tT0_T1_T2_jT3_P12ihipStream_tbPNSt15iterator_traitsISE_E10value_typeEPNSK_ISF_E10value_typeEPSG_NS1_7vsmem_tEENKUlT_SE_SF_SG_E_clIS8_S8_S9_S9_EESD_ST_SE_SF_SG_EUlST_E1_NS1_11comp_targetILNS1_3genE2ELNS1_11target_archE906ELNS1_3gpuE6ELNS1_3repE0EEENS1_36merge_oddeven_config_static_selectorELNS0_4arch9wavefront6targetE0EEEvSF_
	.globl	_ZN7rocprim17ROCPRIM_400000_NS6detail17trampoline_kernelINS0_14default_configENS1_38merge_sort_block_merge_config_selectorIhNS0_10empty_typeEEEZZNS1_27merge_sort_block_merge_implIS3_PhPS5_jNS1_19radix_merge_compareILb0ELb0EhNS0_19identity_decomposerEEEEE10hipError_tT0_T1_T2_jT3_P12ihipStream_tbPNSt15iterator_traitsISE_E10value_typeEPNSK_ISF_E10value_typeEPSG_NS1_7vsmem_tEENKUlT_SE_SF_SG_E_clIS8_S8_S9_S9_EESD_ST_SE_SF_SG_EUlST_E1_NS1_11comp_targetILNS1_3genE2ELNS1_11target_archE906ELNS1_3gpuE6ELNS1_3repE0EEENS1_36merge_oddeven_config_static_selectorELNS0_4arch9wavefront6targetE0EEEvSF_
	.p2align	8
	.type	_ZN7rocprim17ROCPRIM_400000_NS6detail17trampoline_kernelINS0_14default_configENS1_38merge_sort_block_merge_config_selectorIhNS0_10empty_typeEEEZZNS1_27merge_sort_block_merge_implIS3_PhPS5_jNS1_19radix_merge_compareILb0ELb0EhNS0_19identity_decomposerEEEEE10hipError_tT0_T1_T2_jT3_P12ihipStream_tbPNSt15iterator_traitsISE_E10value_typeEPNSK_ISF_E10value_typeEPSG_NS1_7vsmem_tEENKUlT_SE_SF_SG_E_clIS8_S8_S9_S9_EESD_ST_SE_SF_SG_EUlST_E1_NS1_11comp_targetILNS1_3genE2ELNS1_11target_archE906ELNS1_3gpuE6ELNS1_3repE0EEENS1_36merge_oddeven_config_static_selectorELNS0_4arch9wavefront6targetE0EEEvSF_,@function
_ZN7rocprim17ROCPRIM_400000_NS6detail17trampoline_kernelINS0_14default_configENS1_38merge_sort_block_merge_config_selectorIhNS0_10empty_typeEEEZZNS1_27merge_sort_block_merge_implIS3_PhPS5_jNS1_19radix_merge_compareILb0ELb0EhNS0_19identity_decomposerEEEEE10hipError_tT0_T1_T2_jT3_P12ihipStream_tbPNSt15iterator_traitsISE_E10value_typeEPNSK_ISF_E10value_typeEPSG_NS1_7vsmem_tEENKUlT_SE_SF_SG_E_clIS8_S8_S9_S9_EESD_ST_SE_SF_SG_EUlST_E1_NS1_11comp_targetILNS1_3genE2ELNS1_11target_archE906ELNS1_3gpuE6ELNS1_3repE0EEENS1_36merge_oddeven_config_static_selectorELNS0_4arch9wavefront6targetE0EEEvSF_: ; @_ZN7rocprim17ROCPRIM_400000_NS6detail17trampoline_kernelINS0_14default_configENS1_38merge_sort_block_merge_config_selectorIhNS0_10empty_typeEEEZZNS1_27merge_sort_block_merge_implIS3_PhPS5_jNS1_19radix_merge_compareILb0ELb0EhNS0_19identity_decomposerEEEEE10hipError_tT0_T1_T2_jT3_P12ihipStream_tbPNSt15iterator_traitsISE_E10value_typeEPNSK_ISF_E10value_typeEPSG_NS1_7vsmem_tEENKUlT_SE_SF_SG_E_clIS8_S8_S9_S9_EESD_ST_SE_SF_SG_EUlST_E1_NS1_11comp_targetILNS1_3genE2ELNS1_11target_archE906ELNS1_3gpuE6ELNS1_3repE0EEENS1_36merge_oddeven_config_static_selectorELNS0_4arch9wavefront6targetE0EEEvSF_
; %bb.0:
	.section	.rodata,"a",@progbits
	.p2align	6, 0x0
	.amdhsa_kernel _ZN7rocprim17ROCPRIM_400000_NS6detail17trampoline_kernelINS0_14default_configENS1_38merge_sort_block_merge_config_selectorIhNS0_10empty_typeEEEZZNS1_27merge_sort_block_merge_implIS3_PhPS5_jNS1_19radix_merge_compareILb0ELb0EhNS0_19identity_decomposerEEEEE10hipError_tT0_T1_T2_jT3_P12ihipStream_tbPNSt15iterator_traitsISE_E10value_typeEPNSK_ISF_E10value_typeEPSG_NS1_7vsmem_tEENKUlT_SE_SF_SG_E_clIS8_S8_S9_S9_EESD_ST_SE_SF_SG_EUlST_E1_NS1_11comp_targetILNS1_3genE2ELNS1_11target_archE906ELNS1_3gpuE6ELNS1_3repE0EEENS1_36merge_oddeven_config_static_selectorELNS0_4arch9wavefront6targetE0EEEvSF_
		.amdhsa_group_segment_fixed_size 0
		.amdhsa_private_segment_fixed_size 0
		.amdhsa_kernarg_size 48
		.amdhsa_user_sgpr_count 2
		.amdhsa_user_sgpr_dispatch_ptr 0
		.amdhsa_user_sgpr_queue_ptr 0
		.amdhsa_user_sgpr_kernarg_segment_ptr 1
		.amdhsa_user_sgpr_dispatch_id 0
		.amdhsa_user_sgpr_kernarg_preload_length 0
		.amdhsa_user_sgpr_kernarg_preload_offset 0
		.amdhsa_user_sgpr_private_segment_size 0
		.amdhsa_wavefront_size32 1
		.amdhsa_uses_dynamic_stack 0
		.amdhsa_enable_private_segment 0
		.amdhsa_system_sgpr_workgroup_id_x 1
		.amdhsa_system_sgpr_workgroup_id_y 0
		.amdhsa_system_sgpr_workgroup_id_z 0
		.amdhsa_system_sgpr_workgroup_info 0
		.amdhsa_system_vgpr_workitem_id 0
		.amdhsa_next_free_vgpr 1
		.amdhsa_next_free_sgpr 1
		.amdhsa_named_barrier_count 0
		.amdhsa_reserve_vcc 0
		.amdhsa_float_round_mode_32 0
		.amdhsa_float_round_mode_16_64 0
		.amdhsa_float_denorm_mode_32 3
		.amdhsa_float_denorm_mode_16_64 3
		.amdhsa_fp16_overflow 0
		.amdhsa_memory_ordered 1
		.amdhsa_forward_progress 1
		.amdhsa_inst_pref_size 0
		.amdhsa_round_robin_scheduling 0
		.amdhsa_exception_fp_ieee_invalid_op 0
		.amdhsa_exception_fp_denorm_src 0
		.amdhsa_exception_fp_ieee_div_zero 0
		.amdhsa_exception_fp_ieee_overflow 0
		.amdhsa_exception_fp_ieee_underflow 0
		.amdhsa_exception_fp_ieee_inexact 0
		.amdhsa_exception_int_div_zero 0
	.end_amdhsa_kernel
	.section	.text._ZN7rocprim17ROCPRIM_400000_NS6detail17trampoline_kernelINS0_14default_configENS1_38merge_sort_block_merge_config_selectorIhNS0_10empty_typeEEEZZNS1_27merge_sort_block_merge_implIS3_PhPS5_jNS1_19radix_merge_compareILb0ELb0EhNS0_19identity_decomposerEEEEE10hipError_tT0_T1_T2_jT3_P12ihipStream_tbPNSt15iterator_traitsISE_E10value_typeEPNSK_ISF_E10value_typeEPSG_NS1_7vsmem_tEENKUlT_SE_SF_SG_E_clIS8_S8_S9_S9_EESD_ST_SE_SF_SG_EUlST_E1_NS1_11comp_targetILNS1_3genE2ELNS1_11target_archE906ELNS1_3gpuE6ELNS1_3repE0EEENS1_36merge_oddeven_config_static_selectorELNS0_4arch9wavefront6targetE0EEEvSF_,"axG",@progbits,_ZN7rocprim17ROCPRIM_400000_NS6detail17trampoline_kernelINS0_14default_configENS1_38merge_sort_block_merge_config_selectorIhNS0_10empty_typeEEEZZNS1_27merge_sort_block_merge_implIS3_PhPS5_jNS1_19radix_merge_compareILb0ELb0EhNS0_19identity_decomposerEEEEE10hipError_tT0_T1_T2_jT3_P12ihipStream_tbPNSt15iterator_traitsISE_E10value_typeEPNSK_ISF_E10value_typeEPSG_NS1_7vsmem_tEENKUlT_SE_SF_SG_E_clIS8_S8_S9_S9_EESD_ST_SE_SF_SG_EUlST_E1_NS1_11comp_targetILNS1_3genE2ELNS1_11target_archE906ELNS1_3gpuE6ELNS1_3repE0EEENS1_36merge_oddeven_config_static_selectorELNS0_4arch9wavefront6targetE0EEEvSF_,comdat
.Lfunc_end174:
	.size	_ZN7rocprim17ROCPRIM_400000_NS6detail17trampoline_kernelINS0_14default_configENS1_38merge_sort_block_merge_config_selectorIhNS0_10empty_typeEEEZZNS1_27merge_sort_block_merge_implIS3_PhPS5_jNS1_19radix_merge_compareILb0ELb0EhNS0_19identity_decomposerEEEEE10hipError_tT0_T1_T2_jT3_P12ihipStream_tbPNSt15iterator_traitsISE_E10value_typeEPNSK_ISF_E10value_typeEPSG_NS1_7vsmem_tEENKUlT_SE_SF_SG_E_clIS8_S8_S9_S9_EESD_ST_SE_SF_SG_EUlST_E1_NS1_11comp_targetILNS1_3genE2ELNS1_11target_archE906ELNS1_3gpuE6ELNS1_3repE0EEENS1_36merge_oddeven_config_static_selectorELNS0_4arch9wavefront6targetE0EEEvSF_, .Lfunc_end174-_ZN7rocprim17ROCPRIM_400000_NS6detail17trampoline_kernelINS0_14default_configENS1_38merge_sort_block_merge_config_selectorIhNS0_10empty_typeEEEZZNS1_27merge_sort_block_merge_implIS3_PhPS5_jNS1_19radix_merge_compareILb0ELb0EhNS0_19identity_decomposerEEEEE10hipError_tT0_T1_T2_jT3_P12ihipStream_tbPNSt15iterator_traitsISE_E10value_typeEPNSK_ISF_E10value_typeEPSG_NS1_7vsmem_tEENKUlT_SE_SF_SG_E_clIS8_S8_S9_S9_EESD_ST_SE_SF_SG_EUlST_E1_NS1_11comp_targetILNS1_3genE2ELNS1_11target_archE906ELNS1_3gpuE6ELNS1_3repE0EEENS1_36merge_oddeven_config_static_selectorELNS0_4arch9wavefront6targetE0EEEvSF_
                                        ; -- End function
	.set _ZN7rocprim17ROCPRIM_400000_NS6detail17trampoline_kernelINS0_14default_configENS1_38merge_sort_block_merge_config_selectorIhNS0_10empty_typeEEEZZNS1_27merge_sort_block_merge_implIS3_PhPS5_jNS1_19radix_merge_compareILb0ELb0EhNS0_19identity_decomposerEEEEE10hipError_tT0_T1_T2_jT3_P12ihipStream_tbPNSt15iterator_traitsISE_E10value_typeEPNSK_ISF_E10value_typeEPSG_NS1_7vsmem_tEENKUlT_SE_SF_SG_E_clIS8_S8_S9_S9_EESD_ST_SE_SF_SG_EUlST_E1_NS1_11comp_targetILNS1_3genE2ELNS1_11target_archE906ELNS1_3gpuE6ELNS1_3repE0EEENS1_36merge_oddeven_config_static_selectorELNS0_4arch9wavefront6targetE0EEEvSF_.num_vgpr, 0
	.set _ZN7rocprim17ROCPRIM_400000_NS6detail17trampoline_kernelINS0_14default_configENS1_38merge_sort_block_merge_config_selectorIhNS0_10empty_typeEEEZZNS1_27merge_sort_block_merge_implIS3_PhPS5_jNS1_19radix_merge_compareILb0ELb0EhNS0_19identity_decomposerEEEEE10hipError_tT0_T1_T2_jT3_P12ihipStream_tbPNSt15iterator_traitsISE_E10value_typeEPNSK_ISF_E10value_typeEPSG_NS1_7vsmem_tEENKUlT_SE_SF_SG_E_clIS8_S8_S9_S9_EESD_ST_SE_SF_SG_EUlST_E1_NS1_11comp_targetILNS1_3genE2ELNS1_11target_archE906ELNS1_3gpuE6ELNS1_3repE0EEENS1_36merge_oddeven_config_static_selectorELNS0_4arch9wavefront6targetE0EEEvSF_.num_agpr, 0
	.set _ZN7rocprim17ROCPRIM_400000_NS6detail17trampoline_kernelINS0_14default_configENS1_38merge_sort_block_merge_config_selectorIhNS0_10empty_typeEEEZZNS1_27merge_sort_block_merge_implIS3_PhPS5_jNS1_19radix_merge_compareILb0ELb0EhNS0_19identity_decomposerEEEEE10hipError_tT0_T1_T2_jT3_P12ihipStream_tbPNSt15iterator_traitsISE_E10value_typeEPNSK_ISF_E10value_typeEPSG_NS1_7vsmem_tEENKUlT_SE_SF_SG_E_clIS8_S8_S9_S9_EESD_ST_SE_SF_SG_EUlST_E1_NS1_11comp_targetILNS1_3genE2ELNS1_11target_archE906ELNS1_3gpuE6ELNS1_3repE0EEENS1_36merge_oddeven_config_static_selectorELNS0_4arch9wavefront6targetE0EEEvSF_.numbered_sgpr, 0
	.set _ZN7rocprim17ROCPRIM_400000_NS6detail17trampoline_kernelINS0_14default_configENS1_38merge_sort_block_merge_config_selectorIhNS0_10empty_typeEEEZZNS1_27merge_sort_block_merge_implIS3_PhPS5_jNS1_19radix_merge_compareILb0ELb0EhNS0_19identity_decomposerEEEEE10hipError_tT0_T1_T2_jT3_P12ihipStream_tbPNSt15iterator_traitsISE_E10value_typeEPNSK_ISF_E10value_typeEPSG_NS1_7vsmem_tEENKUlT_SE_SF_SG_E_clIS8_S8_S9_S9_EESD_ST_SE_SF_SG_EUlST_E1_NS1_11comp_targetILNS1_3genE2ELNS1_11target_archE906ELNS1_3gpuE6ELNS1_3repE0EEENS1_36merge_oddeven_config_static_selectorELNS0_4arch9wavefront6targetE0EEEvSF_.num_named_barrier, 0
	.set _ZN7rocprim17ROCPRIM_400000_NS6detail17trampoline_kernelINS0_14default_configENS1_38merge_sort_block_merge_config_selectorIhNS0_10empty_typeEEEZZNS1_27merge_sort_block_merge_implIS3_PhPS5_jNS1_19radix_merge_compareILb0ELb0EhNS0_19identity_decomposerEEEEE10hipError_tT0_T1_T2_jT3_P12ihipStream_tbPNSt15iterator_traitsISE_E10value_typeEPNSK_ISF_E10value_typeEPSG_NS1_7vsmem_tEENKUlT_SE_SF_SG_E_clIS8_S8_S9_S9_EESD_ST_SE_SF_SG_EUlST_E1_NS1_11comp_targetILNS1_3genE2ELNS1_11target_archE906ELNS1_3gpuE6ELNS1_3repE0EEENS1_36merge_oddeven_config_static_selectorELNS0_4arch9wavefront6targetE0EEEvSF_.private_seg_size, 0
	.set _ZN7rocprim17ROCPRIM_400000_NS6detail17trampoline_kernelINS0_14default_configENS1_38merge_sort_block_merge_config_selectorIhNS0_10empty_typeEEEZZNS1_27merge_sort_block_merge_implIS3_PhPS5_jNS1_19radix_merge_compareILb0ELb0EhNS0_19identity_decomposerEEEEE10hipError_tT0_T1_T2_jT3_P12ihipStream_tbPNSt15iterator_traitsISE_E10value_typeEPNSK_ISF_E10value_typeEPSG_NS1_7vsmem_tEENKUlT_SE_SF_SG_E_clIS8_S8_S9_S9_EESD_ST_SE_SF_SG_EUlST_E1_NS1_11comp_targetILNS1_3genE2ELNS1_11target_archE906ELNS1_3gpuE6ELNS1_3repE0EEENS1_36merge_oddeven_config_static_selectorELNS0_4arch9wavefront6targetE0EEEvSF_.uses_vcc, 0
	.set _ZN7rocprim17ROCPRIM_400000_NS6detail17trampoline_kernelINS0_14default_configENS1_38merge_sort_block_merge_config_selectorIhNS0_10empty_typeEEEZZNS1_27merge_sort_block_merge_implIS3_PhPS5_jNS1_19radix_merge_compareILb0ELb0EhNS0_19identity_decomposerEEEEE10hipError_tT0_T1_T2_jT3_P12ihipStream_tbPNSt15iterator_traitsISE_E10value_typeEPNSK_ISF_E10value_typeEPSG_NS1_7vsmem_tEENKUlT_SE_SF_SG_E_clIS8_S8_S9_S9_EESD_ST_SE_SF_SG_EUlST_E1_NS1_11comp_targetILNS1_3genE2ELNS1_11target_archE906ELNS1_3gpuE6ELNS1_3repE0EEENS1_36merge_oddeven_config_static_selectorELNS0_4arch9wavefront6targetE0EEEvSF_.uses_flat_scratch, 0
	.set _ZN7rocprim17ROCPRIM_400000_NS6detail17trampoline_kernelINS0_14default_configENS1_38merge_sort_block_merge_config_selectorIhNS0_10empty_typeEEEZZNS1_27merge_sort_block_merge_implIS3_PhPS5_jNS1_19radix_merge_compareILb0ELb0EhNS0_19identity_decomposerEEEEE10hipError_tT0_T1_T2_jT3_P12ihipStream_tbPNSt15iterator_traitsISE_E10value_typeEPNSK_ISF_E10value_typeEPSG_NS1_7vsmem_tEENKUlT_SE_SF_SG_E_clIS8_S8_S9_S9_EESD_ST_SE_SF_SG_EUlST_E1_NS1_11comp_targetILNS1_3genE2ELNS1_11target_archE906ELNS1_3gpuE6ELNS1_3repE0EEENS1_36merge_oddeven_config_static_selectorELNS0_4arch9wavefront6targetE0EEEvSF_.has_dyn_sized_stack, 0
	.set _ZN7rocprim17ROCPRIM_400000_NS6detail17trampoline_kernelINS0_14default_configENS1_38merge_sort_block_merge_config_selectorIhNS0_10empty_typeEEEZZNS1_27merge_sort_block_merge_implIS3_PhPS5_jNS1_19radix_merge_compareILb0ELb0EhNS0_19identity_decomposerEEEEE10hipError_tT0_T1_T2_jT3_P12ihipStream_tbPNSt15iterator_traitsISE_E10value_typeEPNSK_ISF_E10value_typeEPSG_NS1_7vsmem_tEENKUlT_SE_SF_SG_E_clIS8_S8_S9_S9_EESD_ST_SE_SF_SG_EUlST_E1_NS1_11comp_targetILNS1_3genE2ELNS1_11target_archE906ELNS1_3gpuE6ELNS1_3repE0EEENS1_36merge_oddeven_config_static_selectorELNS0_4arch9wavefront6targetE0EEEvSF_.has_recursion, 0
	.set _ZN7rocprim17ROCPRIM_400000_NS6detail17trampoline_kernelINS0_14default_configENS1_38merge_sort_block_merge_config_selectorIhNS0_10empty_typeEEEZZNS1_27merge_sort_block_merge_implIS3_PhPS5_jNS1_19radix_merge_compareILb0ELb0EhNS0_19identity_decomposerEEEEE10hipError_tT0_T1_T2_jT3_P12ihipStream_tbPNSt15iterator_traitsISE_E10value_typeEPNSK_ISF_E10value_typeEPSG_NS1_7vsmem_tEENKUlT_SE_SF_SG_E_clIS8_S8_S9_S9_EESD_ST_SE_SF_SG_EUlST_E1_NS1_11comp_targetILNS1_3genE2ELNS1_11target_archE906ELNS1_3gpuE6ELNS1_3repE0EEENS1_36merge_oddeven_config_static_selectorELNS0_4arch9wavefront6targetE0EEEvSF_.has_indirect_call, 0
	.section	.AMDGPU.csdata,"",@progbits
; Kernel info:
; codeLenInByte = 0
; TotalNumSgprs: 0
; NumVgprs: 0
; ScratchSize: 0
; MemoryBound: 0
; FloatMode: 240
; IeeeMode: 1
; LDSByteSize: 0 bytes/workgroup (compile time only)
; SGPRBlocks: 0
; VGPRBlocks: 0
; NumSGPRsForWavesPerEU: 1
; NumVGPRsForWavesPerEU: 1
; NamedBarCnt: 0
; Occupancy: 16
; WaveLimiterHint : 0
; COMPUTE_PGM_RSRC2:SCRATCH_EN: 0
; COMPUTE_PGM_RSRC2:USER_SGPR: 2
; COMPUTE_PGM_RSRC2:TRAP_HANDLER: 0
; COMPUTE_PGM_RSRC2:TGID_X_EN: 1
; COMPUTE_PGM_RSRC2:TGID_Y_EN: 0
; COMPUTE_PGM_RSRC2:TGID_Z_EN: 0
; COMPUTE_PGM_RSRC2:TIDIG_COMP_CNT: 0
	.section	.text._ZN7rocprim17ROCPRIM_400000_NS6detail17trampoline_kernelINS0_14default_configENS1_38merge_sort_block_merge_config_selectorIhNS0_10empty_typeEEEZZNS1_27merge_sort_block_merge_implIS3_PhPS5_jNS1_19radix_merge_compareILb0ELb0EhNS0_19identity_decomposerEEEEE10hipError_tT0_T1_T2_jT3_P12ihipStream_tbPNSt15iterator_traitsISE_E10value_typeEPNSK_ISF_E10value_typeEPSG_NS1_7vsmem_tEENKUlT_SE_SF_SG_E_clIS8_S8_S9_S9_EESD_ST_SE_SF_SG_EUlST_E1_NS1_11comp_targetILNS1_3genE9ELNS1_11target_archE1100ELNS1_3gpuE3ELNS1_3repE0EEENS1_36merge_oddeven_config_static_selectorELNS0_4arch9wavefront6targetE0EEEvSF_,"axG",@progbits,_ZN7rocprim17ROCPRIM_400000_NS6detail17trampoline_kernelINS0_14default_configENS1_38merge_sort_block_merge_config_selectorIhNS0_10empty_typeEEEZZNS1_27merge_sort_block_merge_implIS3_PhPS5_jNS1_19radix_merge_compareILb0ELb0EhNS0_19identity_decomposerEEEEE10hipError_tT0_T1_T2_jT3_P12ihipStream_tbPNSt15iterator_traitsISE_E10value_typeEPNSK_ISF_E10value_typeEPSG_NS1_7vsmem_tEENKUlT_SE_SF_SG_E_clIS8_S8_S9_S9_EESD_ST_SE_SF_SG_EUlST_E1_NS1_11comp_targetILNS1_3genE9ELNS1_11target_archE1100ELNS1_3gpuE3ELNS1_3repE0EEENS1_36merge_oddeven_config_static_selectorELNS0_4arch9wavefront6targetE0EEEvSF_,comdat
	.protected	_ZN7rocprim17ROCPRIM_400000_NS6detail17trampoline_kernelINS0_14default_configENS1_38merge_sort_block_merge_config_selectorIhNS0_10empty_typeEEEZZNS1_27merge_sort_block_merge_implIS3_PhPS5_jNS1_19radix_merge_compareILb0ELb0EhNS0_19identity_decomposerEEEEE10hipError_tT0_T1_T2_jT3_P12ihipStream_tbPNSt15iterator_traitsISE_E10value_typeEPNSK_ISF_E10value_typeEPSG_NS1_7vsmem_tEENKUlT_SE_SF_SG_E_clIS8_S8_S9_S9_EESD_ST_SE_SF_SG_EUlST_E1_NS1_11comp_targetILNS1_3genE9ELNS1_11target_archE1100ELNS1_3gpuE3ELNS1_3repE0EEENS1_36merge_oddeven_config_static_selectorELNS0_4arch9wavefront6targetE0EEEvSF_ ; -- Begin function _ZN7rocprim17ROCPRIM_400000_NS6detail17trampoline_kernelINS0_14default_configENS1_38merge_sort_block_merge_config_selectorIhNS0_10empty_typeEEEZZNS1_27merge_sort_block_merge_implIS3_PhPS5_jNS1_19radix_merge_compareILb0ELb0EhNS0_19identity_decomposerEEEEE10hipError_tT0_T1_T2_jT3_P12ihipStream_tbPNSt15iterator_traitsISE_E10value_typeEPNSK_ISF_E10value_typeEPSG_NS1_7vsmem_tEENKUlT_SE_SF_SG_E_clIS8_S8_S9_S9_EESD_ST_SE_SF_SG_EUlST_E1_NS1_11comp_targetILNS1_3genE9ELNS1_11target_archE1100ELNS1_3gpuE3ELNS1_3repE0EEENS1_36merge_oddeven_config_static_selectorELNS0_4arch9wavefront6targetE0EEEvSF_
	.globl	_ZN7rocprim17ROCPRIM_400000_NS6detail17trampoline_kernelINS0_14default_configENS1_38merge_sort_block_merge_config_selectorIhNS0_10empty_typeEEEZZNS1_27merge_sort_block_merge_implIS3_PhPS5_jNS1_19radix_merge_compareILb0ELb0EhNS0_19identity_decomposerEEEEE10hipError_tT0_T1_T2_jT3_P12ihipStream_tbPNSt15iterator_traitsISE_E10value_typeEPNSK_ISF_E10value_typeEPSG_NS1_7vsmem_tEENKUlT_SE_SF_SG_E_clIS8_S8_S9_S9_EESD_ST_SE_SF_SG_EUlST_E1_NS1_11comp_targetILNS1_3genE9ELNS1_11target_archE1100ELNS1_3gpuE3ELNS1_3repE0EEENS1_36merge_oddeven_config_static_selectorELNS0_4arch9wavefront6targetE0EEEvSF_
	.p2align	8
	.type	_ZN7rocprim17ROCPRIM_400000_NS6detail17trampoline_kernelINS0_14default_configENS1_38merge_sort_block_merge_config_selectorIhNS0_10empty_typeEEEZZNS1_27merge_sort_block_merge_implIS3_PhPS5_jNS1_19radix_merge_compareILb0ELb0EhNS0_19identity_decomposerEEEEE10hipError_tT0_T1_T2_jT3_P12ihipStream_tbPNSt15iterator_traitsISE_E10value_typeEPNSK_ISF_E10value_typeEPSG_NS1_7vsmem_tEENKUlT_SE_SF_SG_E_clIS8_S8_S9_S9_EESD_ST_SE_SF_SG_EUlST_E1_NS1_11comp_targetILNS1_3genE9ELNS1_11target_archE1100ELNS1_3gpuE3ELNS1_3repE0EEENS1_36merge_oddeven_config_static_selectorELNS0_4arch9wavefront6targetE0EEEvSF_,@function
_ZN7rocprim17ROCPRIM_400000_NS6detail17trampoline_kernelINS0_14default_configENS1_38merge_sort_block_merge_config_selectorIhNS0_10empty_typeEEEZZNS1_27merge_sort_block_merge_implIS3_PhPS5_jNS1_19radix_merge_compareILb0ELb0EhNS0_19identity_decomposerEEEEE10hipError_tT0_T1_T2_jT3_P12ihipStream_tbPNSt15iterator_traitsISE_E10value_typeEPNSK_ISF_E10value_typeEPSG_NS1_7vsmem_tEENKUlT_SE_SF_SG_E_clIS8_S8_S9_S9_EESD_ST_SE_SF_SG_EUlST_E1_NS1_11comp_targetILNS1_3genE9ELNS1_11target_archE1100ELNS1_3gpuE3ELNS1_3repE0EEENS1_36merge_oddeven_config_static_selectorELNS0_4arch9wavefront6targetE0EEEvSF_: ; @_ZN7rocprim17ROCPRIM_400000_NS6detail17trampoline_kernelINS0_14default_configENS1_38merge_sort_block_merge_config_selectorIhNS0_10empty_typeEEEZZNS1_27merge_sort_block_merge_implIS3_PhPS5_jNS1_19radix_merge_compareILb0ELb0EhNS0_19identity_decomposerEEEEE10hipError_tT0_T1_T2_jT3_P12ihipStream_tbPNSt15iterator_traitsISE_E10value_typeEPNSK_ISF_E10value_typeEPSG_NS1_7vsmem_tEENKUlT_SE_SF_SG_E_clIS8_S8_S9_S9_EESD_ST_SE_SF_SG_EUlST_E1_NS1_11comp_targetILNS1_3genE9ELNS1_11target_archE1100ELNS1_3gpuE3ELNS1_3repE0EEENS1_36merge_oddeven_config_static_selectorELNS0_4arch9wavefront6targetE0EEEvSF_
; %bb.0:
	.section	.rodata,"a",@progbits
	.p2align	6, 0x0
	.amdhsa_kernel _ZN7rocprim17ROCPRIM_400000_NS6detail17trampoline_kernelINS0_14default_configENS1_38merge_sort_block_merge_config_selectorIhNS0_10empty_typeEEEZZNS1_27merge_sort_block_merge_implIS3_PhPS5_jNS1_19radix_merge_compareILb0ELb0EhNS0_19identity_decomposerEEEEE10hipError_tT0_T1_T2_jT3_P12ihipStream_tbPNSt15iterator_traitsISE_E10value_typeEPNSK_ISF_E10value_typeEPSG_NS1_7vsmem_tEENKUlT_SE_SF_SG_E_clIS8_S8_S9_S9_EESD_ST_SE_SF_SG_EUlST_E1_NS1_11comp_targetILNS1_3genE9ELNS1_11target_archE1100ELNS1_3gpuE3ELNS1_3repE0EEENS1_36merge_oddeven_config_static_selectorELNS0_4arch9wavefront6targetE0EEEvSF_
		.amdhsa_group_segment_fixed_size 0
		.amdhsa_private_segment_fixed_size 0
		.amdhsa_kernarg_size 48
		.amdhsa_user_sgpr_count 2
		.amdhsa_user_sgpr_dispatch_ptr 0
		.amdhsa_user_sgpr_queue_ptr 0
		.amdhsa_user_sgpr_kernarg_segment_ptr 1
		.amdhsa_user_sgpr_dispatch_id 0
		.amdhsa_user_sgpr_kernarg_preload_length 0
		.amdhsa_user_sgpr_kernarg_preload_offset 0
		.amdhsa_user_sgpr_private_segment_size 0
		.amdhsa_wavefront_size32 1
		.amdhsa_uses_dynamic_stack 0
		.amdhsa_enable_private_segment 0
		.amdhsa_system_sgpr_workgroup_id_x 1
		.amdhsa_system_sgpr_workgroup_id_y 0
		.amdhsa_system_sgpr_workgroup_id_z 0
		.amdhsa_system_sgpr_workgroup_info 0
		.amdhsa_system_vgpr_workitem_id 0
		.amdhsa_next_free_vgpr 1
		.amdhsa_next_free_sgpr 1
		.amdhsa_named_barrier_count 0
		.amdhsa_reserve_vcc 0
		.amdhsa_float_round_mode_32 0
		.amdhsa_float_round_mode_16_64 0
		.amdhsa_float_denorm_mode_32 3
		.amdhsa_float_denorm_mode_16_64 3
		.amdhsa_fp16_overflow 0
		.amdhsa_memory_ordered 1
		.amdhsa_forward_progress 1
		.amdhsa_inst_pref_size 0
		.amdhsa_round_robin_scheduling 0
		.amdhsa_exception_fp_ieee_invalid_op 0
		.amdhsa_exception_fp_denorm_src 0
		.amdhsa_exception_fp_ieee_div_zero 0
		.amdhsa_exception_fp_ieee_overflow 0
		.amdhsa_exception_fp_ieee_underflow 0
		.amdhsa_exception_fp_ieee_inexact 0
		.amdhsa_exception_int_div_zero 0
	.end_amdhsa_kernel
	.section	.text._ZN7rocprim17ROCPRIM_400000_NS6detail17trampoline_kernelINS0_14default_configENS1_38merge_sort_block_merge_config_selectorIhNS0_10empty_typeEEEZZNS1_27merge_sort_block_merge_implIS3_PhPS5_jNS1_19radix_merge_compareILb0ELb0EhNS0_19identity_decomposerEEEEE10hipError_tT0_T1_T2_jT3_P12ihipStream_tbPNSt15iterator_traitsISE_E10value_typeEPNSK_ISF_E10value_typeEPSG_NS1_7vsmem_tEENKUlT_SE_SF_SG_E_clIS8_S8_S9_S9_EESD_ST_SE_SF_SG_EUlST_E1_NS1_11comp_targetILNS1_3genE9ELNS1_11target_archE1100ELNS1_3gpuE3ELNS1_3repE0EEENS1_36merge_oddeven_config_static_selectorELNS0_4arch9wavefront6targetE0EEEvSF_,"axG",@progbits,_ZN7rocprim17ROCPRIM_400000_NS6detail17trampoline_kernelINS0_14default_configENS1_38merge_sort_block_merge_config_selectorIhNS0_10empty_typeEEEZZNS1_27merge_sort_block_merge_implIS3_PhPS5_jNS1_19radix_merge_compareILb0ELb0EhNS0_19identity_decomposerEEEEE10hipError_tT0_T1_T2_jT3_P12ihipStream_tbPNSt15iterator_traitsISE_E10value_typeEPNSK_ISF_E10value_typeEPSG_NS1_7vsmem_tEENKUlT_SE_SF_SG_E_clIS8_S8_S9_S9_EESD_ST_SE_SF_SG_EUlST_E1_NS1_11comp_targetILNS1_3genE9ELNS1_11target_archE1100ELNS1_3gpuE3ELNS1_3repE0EEENS1_36merge_oddeven_config_static_selectorELNS0_4arch9wavefront6targetE0EEEvSF_,comdat
.Lfunc_end175:
	.size	_ZN7rocprim17ROCPRIM_400000_NS6detail17trampoline_kernelINS0_14default_configENS1_38merge_sort_block_merge_config_selectorIhNS0_10empty_typeEEEZZNS1_27merge_sort_block_merge_implIS3_PhPS5_jNS1_19radix_merge_compareILb0ELb0EhNS0_19identity_decomposerEEEEE10hipError_tT0_T1_T2_jT3_P12ihipStream_tbPNSt15iterator_traitsISE_E10value_typeEPNSK_ISF_E10value_typeEPSG_NS1_7vsmem_tEENKUlT_SE_SF_SG_E_clIS8_S8_S9_S9_EESD_ST_SE_SF_SG_EUlST_E1_NS1_11comp_targetILNS1_3genE9ELNS1_11target_archE1100ELNS1_3gpuE3ELNS1_3repE0EEENS1_36merge_oddeven_config_static_selectorELNS0_4arch9wavefront6targetE0EEEvSF_, .Lfunc_end175-_ZN7rocprim17ROCPRIM_400000_NS6detail17trampoline_kernelINS0_14default_configENS1_38merge_sort_block_merge_config_selectorIhNS0_10empty_typeEEEZZNS1_27merge_sort_block_merge_implIS3_PhPS5_jNS1_19radix_merge_compareILb0ELb0EhNS0_19identity_decomposerEEEEE10hipError_tT0_T1_T2_jT3_P12ihipStream_tbPNSt15iterator_traitsISE_E10value_typeEPNSK_ISF_E10value_typeEPSG_NS1_7vsmem_tEENKUlT_SE_SF_SG_E_clIS8_S8_S9_S9_EESD_ST_SE_SF_SG_EUlST_E1_NS1_11comp_targetILNS1_3genE9ELNS1_11target_archE1100ELNS1_3gpuE3ELNS1_3repE0EEENS1_36merge_oddeven_config_static_selectorELNS0_4arch9wavefront6targetE0EEEvSF_
                                        ; -- End function
	.set _ZN7rocprim17ROCPRIM_400000_NS6detail17trampoline_kernelINS0_14default_configENS1_38merge_sort_block_merge_config_selectorIhNS0_10empty_typeEEEZZNS1_27merge_sort_block_merge_implIS3_PhPS5_jNS1_19radix_merge_compareILb0ELb0EhNS0_19identity_decomposerEEEEE10hipError_tT0_T1_T2_jT3_P12ihipStream_tbPNSt15iterator_traitsISE_E10value_typeEPNSK_ISF_E10value_typeEPSG_NS1_7vsmem_tEENKUlT_SE_SF_SG_E_clIS8_S8_S9_S9_EESD_ST_SE_SF_SG_EUlST_E1_NS1_11comp_targetILNS1_3genE9ELNS1_11target_archE1100ELNS1_3gpuE3ELNS1_3repE0EEENS1_36merge_oddeven_config_static_selectorELNS0_4arch9wavefront6targetE0EEEvSF_.num_vgpr, 0
	.set _ZN7rocprim17ROCPRIM_400000_NS6detail17trampoline_kernelINS0_14default_configENS1_38merge_sort_block_merge_config_selectorIhNS0_10empty_typeEEEZZNS1_27merge_sort_block_merge_implIS3_PhPS5_jNS1_19radix_merge_compareILb0ELb0EhNS0_19identity_decomposerEEEEE10hipError_tT0_T1_T2_jT3_P12ihipStream_tbPNSt15iterator_traitsISE_E10value_typeEPNSK_ISF_E10value_typeEPSG_NS1_7vsmem_tEENKUlT_SE_SF_SG_E_clIS8_S8_S9_S9_EESD_ST_SE_SF_SG_EUlST_E1_NS1_11comp_targetILNS1_3genE9ELNS1_11target_archE1100ELNS1_3gpuE3ELNS1_3repE0EEENS1_36merge_oddeven_config_static_selectorELNS0_4arch9wavefront6targetE0EEEvSF_.num_agpr, 0
	.set _ZN7rocprim17ROCPRIM_400000_NS6detail17trampoline_kernelINS0_14default_configENS1_38merge_sort_block_merge_config_selectorIhNS0_10empty_typeEEEZZNS1_27merge_sort_block_merge_implIS3_PhPS5_jNS1_19radix_merge_compareILb0ELb0EhNS0_19identity_decomposerEEEEE10hipError_tT0_T1_T2_jT3_P12ihipStream_tbPNSt15iterator_traitsISE_E10value_typeEPNSK_ISF_E10value_typeEPSG_NS1_7vsmem_tEENKUlT_SE_SF_SG_E_clIS8_S8_S9_S9_EESD_ST_SE_SF_SG_EUlST_E1_NS1_11comp_targetILNS1_3genE9ELNS1_11target_archE1100ELNS1_3gpuE3ELNS1_3repE0EEENS1_36merge_oddeven_config_static_selectorELNS0_4arch9wavefront6targetE0EEEvSF_.numbered_sgpr, 0
	.set _ZN7rocprim17ROCPRIM_400000_NS6detail17trampoline_kernelINS0_14default_configENS1_38merge_sort_block_merge_config_selectorIhNS0_10empty_typeEEEZZNS1_27merge_sort_block_merge_implIS3_PhPS5_jNS1_19radix_merge_compareILb0ELb0EhNS0_19identity_decomposerEEEEE10hipError_tT0_T1_T2_jT3_P12ihipStream_tbPNSt15iterator_traitsISE_E10value_typeEPNSK_ISF_E10value_typeEPSG_NS1_7vsmem_tEENKUlT_SE_SF_SG_E_clIS8_S8_S9_S9_EESD_ST_SE_SF_SG_EUlST_E1_NS1_11comp_targetILNS1_3genE9ELNS1_11target_archE1100ELNS1_3gpuE3ELNS1_3repE0EEENS1_36merge_oddeven_config_static_selectorELNS0_4arch9wavefront6targetE0EEEvSF_.num_named_barrier, 0
	.set _ZN7rocprim17ROCPRIM_400000_NS6detail17trampoline_kernelINS0_14default_configENS1_38merge_sort_block_merge_config_selectorIhNS0_10empty_typeEEEZZNS1_27merge_sort_block_merge_implIS3_PhPS5_jNS1_19radix_merge_compareILb0ELb0EhNS0_19identity_decomposerEEEEE10hipError_tT0_T1_T2_jT3_P12ihipStream_tbPNSt15iterator_traitsISE_E10value_typeEPNSK_ISF_E10value_typeEPSG_NS1_7vsmem_tEENKUlT_SE_SF_SG_E_clIS8_S8_S9_S9_EESD_ST_SE_SF_SG_EUlST_E1_NS1_11comp_targetILNS1_3genE9ELNS1_11target_archE1100ELNS1_3gpuE3ELNS1_3repE0EEENS1_36merge_oddeven_config_static_selectorELNS0_4arch9wavefront6targetE0EEEvSF_.private_seg_size, 0
	.set _ZN7rocprim17ROCPRIM_400000_NS6detail17trampoline_kernelINS0_14default_configENS1_38merge_sort_block_merge_config_selectorIhNS0_10empty_typeEEEZZNS1_27merge_sort_block_merge_implIS3_PhPS5_jNS1_19radix_merge_compareILb0ELb0EhNS0_19identity_decomposerEEEEE10hipError_tT0_T1_T2_jT3_P12ihipStream_tbPNSt15iterator_traitsISE_E10value_typeEPNSK_ISF_E10value_typeEPSG_NS1_7vsmem_tEENKUlT_SE_SF_SG_E_clIS8_S8_S9_S9_EESD_ST_SE_SF_SG_EUlST_E1_NS1_11comp_targetILNS1_3genE9ELNS1_11target_archE1100ELNS1_3gpuE3ELNS1_3repE0EEENS1_36merge_oddeven_config_static_selectorELNS0_4arch9wavefront6targetE0EEEvSF_.uses_vcc, 0
	.set _ZN7rocprim17ROCPRIM_400000_NS6detail17trampoline_kernelINS0_14default_configENS1_38merge_sort_block_merge_config_selectorIhNS0_10empty_typeEEEZZNS1_27merge_sort_block_merge_implIS3_PhPS5_jNS1_19radix_merge_compareILb0ELb0EhNS0_19identity_decomposerEEEEE10hipError_tT0_T1_T2_jT3_P12ihipStream_tbPNSt15iterator_traitsISE_E10value_typeEPNSK_ISF_E10value_typeEPSG_NS1_7vsmem_tEENKUlT_SE_SF_SG_E_clIS8_S8_S9_S9_EESD_ST_SE_SF_SG_EUlST_E1_NS1_11comp_targetILNS1_3genE9ELNS1_11target_archE1100ELNS1_3gpuE3ELNS1_3repE0EEENS1_36merge_oddeven_config_static_selectorELNS0_4arch9wavefront6targetE0EEEvSF_.uses_flat_scratch, 0
	.set _ZN7rocprim17ROCPRIM_400000_NS6detail17trampoline_kernelINS0_14default_configENS1_38merge_sort_block_merge_config_selectorIhNS0_10empty_typeEEEZZNS1_27merge_sort_block_merge_implIS3_PhPS5_jNS1_19radix_merge_compareILb0ELb0EhNS0_19identity_decomposerEEEEE10hipError_tT0_T1_T2_jT3_P12ihipStream_tbPNSt15iterator_traitsISE_E10value_typeEPNSK_ISF_E10value_typeEPSG_NS1_7vsmem_tEENKUlT_SE_SF_SG_E_clIS8_S8_S9_S9_EESD_ST_SE_SF_SG_EUlST_E1_NS1_11comp_targetILNS1_3genE9ELNS1_11target_archE1100ELNS1_3gpuE3ELNS1_3repE0EEENS1_36merge_oddeven_config_static_selectorELNS0_4arch9wavefront6targetE0EEEvSF_.has_dyn_sized_stack, 0
	.set _ZN7rocprim17ROCPRIM_400000_NS6detail17trampoline_kernelINS0_14default_configENS1_38merge_sort_block_merge_config_selectorIhNS0_10empty_typeEEEZZNS1_27merge_sort_block_merge_implIS3_PhPS5_jNS1_19radix_merge_compareILb0ELb0EhNS0_19identity_decomposerEEEEE10hipError_tT0_T1_T2_jT3_P12ihipStream_tbPNSt15iterator_traitsISE_E10value_typeEPNSK_ISF_E10value_typeEPSG_NS1_7vsmem_tEENKUlT_SE_SF_SG_E_clIS8_S8_S9_S9_EESD_ST_SE_SF_SG_EUlST_E1_NS1_11comp_targetILNS1_3genE9ELNS1_11target_archE1100ELNS1_3gpuE3ELNS1_3repE0EEENS1_36merge_oddeven_config_static_selectorELNS0_4arch9wavefront6targetE0EEEvSF_.has_recursion, 0
	.set _ZN7rocprim17ROCPRIM_400000_NS6detail17trampoline_kernelINS0_14default_configENS1_38merge_sort_block_merge_config_selectorIhNS0_10empty_typeEEEZZNS1_27merge_sort_block_merge_implIS3_PhPS5_jNS1_19radix_merge_compareILb0ELb0EhNS0_19identity_decomposerEEEEE10hipError_tT0_T1_T2_jT3_P12ihipStream_tbPNSt15iterator_traitsISE_E10value_typeEPNSK_ISF_E10value_typeEPSG_NS1_7vsmem_tEENKUlT_SE_SF_SG_E_clIS8_S8_S9_S9_EESD_ST_SE_SF_SG_EUlST_E1_NS1_11comp_targetILNS1_3genE9ELNS1_11target_archE1100ELNS1_3gpuE3ELNS1_3repE0EEENS1_36merge_oddeven_config_static_selectorELNS0_4arch9wavefront6targetE0EEEvSF_.has_indirect_call, 0
	.section	.AMDGPU.csdata,"",@progbits
; Kernel info:
; codeLenInByte = 0
; TotalNumSgprs: 0
; NumVgprs: 0
; ScratchSize: 0
; MemoryBound: 0
; FloatMode: 240
; IeeeMode: 1
; LDSByteSize: 0 bytes/workgroup (compile time only)
; SGPRBlocks: 0
; VGPRBlocks: 0
; NumSGPRsForWavesPerEU: 1
; NumVGPRsForWavesPerEU: 1
; NamedBarCnt: 0
; Occupancy: 16
; WaveLimiterHint : 0
; COMPUTE_PGM_RSRC2:SCRATCH_EN: 0
; COMPUTE_PGM_RSRC2:USER_SGPR: 2
; COMPUTE_PGM_RSRC2:TRAP_HANDLER: 0
; COMPUTE_PGM_RSRC2:TGID_X_EN: 1
; COMPUTE_PGM_RSRC2:TGID_Y_EN: 0
; COMPUTE_PGM_RSRC2:TGID_Z_EN: 0
; COMPUTE_PGM_RSRC2:TIDIG_COMP_CNT: 0
	.section	.text._ZN7rocprim17ROCPRIM_400000_NS6detail17trampoline_kernelINS0_14default_configENS1_38merge_sort_block_merge_config_selectorIhNS0_10empty_typeEEEZZNS1_27merge_sort_block_merge_implIS3_PhPS5_jNS1_19radix_merge_compareILb0ELb0EhNS0_19identity_decomposerEEEEE10hipError_tT0_T1_T2_jT3_P12ihipStream_tbPNSt15iterator_traitsISE_E10value_typeEPNSK_ISF_E10value_typeEPSG_NS1_7vsmem_tEENKUlT_SE_SF_SG_E_clIS8_S8_S9_S9_EESD_ST_SE_SF_SG_EUlST_E1_NS1_11comp_targetILNS1_3genE8ELNS1_11target_archE1030ELNS1_3gpuE2ELNS1_3repE0EEENS1_36merge_oddeven_config_static_selectorELNS0_4arch9wavefront6targetE0EEEvSF_,"axG",@progbits,_ZN7rocprim17ROCPRIM_400000_NS6detail17trampoline_kernelINS0_14default_configENS1_38merge_sort_block_merge_config_selectorIhNS0_10empty_typeEEEZZNS1_27merge_sort_block_merge_implIS3_PhPS5_jNS1_19radix_merge_compareILb0ELb0EhNS0_19identity_decomposerEEEEE10hipError_tT0_T1_T2_jT3_P12ihipStream_tbPNSt15iterator_traitsISE_E10value_typeEPNSK_ISF_E10value_typeEPSG_NS1_7vsmem_tEENKUlT_SE_SF_SG_E_clIS8_S8_S9_S9_EESD_ST_SE_SF_SG_EUlST_E1_NS1_11comp_targetILNS1_3genE8ELNS1_11target_archE1030ELNS1_3gpuE2ELNS1_3repE0EEENS1_36merge_oddeven_config_static_selectorELNS0_4arch9wavefront6targetE0EEEvSF_,comdat
	.protected	_ZN7rocprim17ROCPRIM_400000_NS6detail17trampoline_kernelINS0_14default_configENS1_38merge_sort_block_merge_config_selectorIhNS0_10empty_typeEEEZZNS1_27merge_sort_block_merge_implIS3_PhPS5_jNS1_19radix_merge_compareILb0ELb0EhNS0_19identity_decomposerEEEEE10hipError_tT0_T1_T2_jT3_P12ihipStream_tbPNSt15iterator_traitsISE_E10value_typeEPNSK_ISF_E10value_typeEPSG_NS1_7vsmem_tEENKUlT_SE_SF_SG_E_clIS8_S8_S9_S9_EESD_ST_SE_SF_SG_EUlST_E1_NS1_11comp_targetILNS1_3genE8ELNS1_11target_archE1030ELNS1_3gpuE2ELNS1_3repE0EEENS1_36merge_oddeven_config_static_selectorELNS0_4arch9wavefront6targetE0EEEvSF_ ; -- Begin function _ZN7rocprim17ROCPRIM_400000_NS6detail17trampoline_kernelINS0_14default_configENS1_38merge_sort_block_merge_config_selectorIhNS0_10empty_typeEEEZZNS1_27merge_sort_block_merge_implIS3_PhPS5_jNS1_19radix_merge_compareILb0ELb0EhNS0_19identity_decomposerEEEEE10hipError_tT0_T1_T2_jT3_P12ihipStream_tbPNSt15iterator_traitsISE_E10value_typeEPNSK_ISF_E10value_typeEPSG_NS1_7vsmem_tEENKUlT_SE_SF_SG_E_clIS8_S8_S9_S9_EESD_ST_SE_SF_SG_EUlST_E1_NS1_11comp_targetILNS1_3genE8ELNS1_11target_archE1030ELNS1_3gpuE2ELNS1_3repE0EEENS1_36merge_oddeven_config_static_selectorELNS0_4arch9wavefront6targetE0EEEvSF_
	.globl	_ZN7rocprim17ROCPRIM_400000_NS6detail17trampoline_kernelINS0_14default_configENS1_38merge_sort_block_merge_config_selectorIhNS0_10empty_typeEEEZZNS1_27merge_sort_block_merge_implIS3_PhPS5_jNS1_19radix_merge_compareILb0ELb0EhNS0_19identity_decomposerEEEEE10hipError_tT0_T1_T2_jT3_P12ihipStream_tbPNSt15iterator_traitsISE_E10value_typeEPNSK_ISF_E10value_typeEPSG_NS1_7vsmem_tEENKUlT_SE_SF_SG_E_clIS8_S8_S9_S9_EESD_ST_SE_SF_SG_EUlST_E1_NS1_11comp_targetILNS1_3genE8ELNS1_11target_archE1030ELNS1_3gpuE2ELNS1_3repE0EEENS1_36merge_oddeven_config_static_selectorELNS0_4arch9wavefront6targetE0EEEvSF_
	.p2align	8
	.type	_ZN7rocprim17ROCPRIM_400000_NS6detail17trampoline_kernelINS0_14default_configENS1_38merge_sort_block_merge_config_selectorIhNS0_10empty_typeEEEZZNS1_27merge_sort_block_merge_implIS3_PhPS5_jNS1_19radix_merge_compareILb0ELb0EhNS0_19identity_decomposerEEEEE10hipError_tT0_T1_T2_jT3_P12ihipStream_tbPNSt15iterator_traitsISE_E10value_typeEPNSK_ISF_E10value_typeEPSG_NS1_7vsmem_tEENKUlT_SE_SF_SG_E_clIS8_S8_S9_S9_EESD_ST_SE_SF_SG_EUlST_E1_NS1_11comp_targetILNS1_3genE8ELNS1_11target_archE1030ELNS1_3gpuE2ELNS1_3repE0EEENS1_36merge_oddeven_config_static_selectorELNS0_4arch9wavefront6targetE0EEEvSF_,@function
_ZN7rocprim17ROCPRIM_400000_NS6detail17trampoline_kernelINS0_14default_configENS1_38merge_sort_block_merge_config_selectorIhNS0_10empty_typeEEEZZNS1_27merge_sort_block_merge_implIS3_PhPS5_jNS1_19radix_merge_compareILb0ELb0EhNS0_19identity_decomposerEEEEE10hipError_tT0_T1_T2_jT3_P12ihipStream_tbPNSt15iterator_traitsISE_E10value_typeEPNSK_ISF_E10value_typeEPSG_NS1_7vsmem_tEENKUlT_SE_SF_SG_E_clIS8_S8_S9_S9_EESD_ST_SE_SF_SG_EUlST_E1_NS1_11comp_targetILNS1_3genE8ELNS1_11target_archE1030ELNS1_3gpuE2ELNS1_3repE0EEENS1_36merge_oddeven_config_static_selectorELNS0_4arch9wavefront6targetE0EEEvSF_: ; @_ZN7rocprim17ROCPRIM_400000_NS6detail17trampoline_kernelINS0_14default_configENS1_38merge_sort_block_merge_config_selectorIhNS0_10empty_typeEEEZZNS1_27merge_sort_block_merge_implIS3_PhPS5_jNS1_19radix_merge_compareILb0ELb0EhNS0_19identity_decomposerEEEEE10hipError_tT0_T1_T2_jT3_P12ihipStream_tbPNSt15iterator_traitsISE_E10value_typeEPNSK_ISF_E10value_typeEPSG_NS1_7vsmem_tEENKUlT_SE_SF_SG_E_clIS8_S8_S9_S9_EESD_ST_SE_SF_SG_EUlST_E1_NS1_11comp_targetILNS1_3genE8ELNS1_11target_archE1030ELNS1_3gpuE2ELNS1_3repE0EEENS1_36merge_oddeven_config_static_selectorELNS0_4arch9wavefront6targetE0EEEvSF_
; %bb.0:
	.section	.rodata,"a",@progbits
	.p2align	6, 0x0
	.amdhsa_kernel _ZN7rocprim17ROCPRIM_400000_NS6detail17trampoline_kernelINS0_14default_configENS1_38merge_sort_block_merge_config_selectorIhNS0_10empty_typeEEEZZNS1_27merge_sort_block_merge_implIS3_PhPS5_jNS1_19radix_merge_compareILb0ELb0EhNS0_19identity_decomposerEEEEE10hipError_tT0_T1_T2_jT3_P12ihipStream_tbPNSt15iterator_traitsISE_E10value_typeEPNSK_ISF_E10value_typeEPSG_NS1_7vsmem_tEENKUlT_SE_SF_SG_E_clIS8_S8_S9_S9_EESD_ST_SE_SF_SG_EUlST_E1_NS1_11comp_targetILNS1_3genE8ELNS1_11target_archE1030ELNS1_3gpuE2ELNS1_3repE0EEENS1_36merge_oddeven_config_static_selectorELNS0_4arch9wavefront6targetE0EEEvSF_
		.amdhsa_group_segment_fixed_size 0
		.amdhsa_private_segment_fixed_size 0
		.amdhsa_kernarg_size 48
		.amdhsa_user_sgpr_count 2
		.amdhsa_user_sgpr_dispatch_ptr 0
		.amdhsa_user_sgpr_queue_ptr 0
		.amdhsa_user_sgpr_kernarg_segment_ptr 1
		.amdhsa_user_sgpr_dispatch_id 0
		.amdhsa_user_sgpr_kernarg_preload_length 0
		.amdhsa_user_sgpr_kernarg_preload_offset 0
		.amdhsa_user_sgpr_private_segment_size 0
		.amdhsa_wavefront_size32 1
		.amdhsa_uses_dynamic_stack 0
		.amdhsa_enable_private_segment 0
		.amdhsa_system_sgpr_workgroup_id_x 1
		.amdhsa_system_sgpr_workgroup_id_y 0
		.amdhsa_system_sgpr_workgroup_id_z 0
		.amdhsa_system_sgpr_workgroup_info 0
		.amdhsa_system_vgpr_workitem_id 0
		.amdhsa_next_free_vgpr 1
		.amdhsa_next_free_sgpr 1
		.amdhsa_named_barrier_count 0
		.amdhsa_reserve_vcc 0
		.amdhsa_float_round_mode_32 0
		.amdhsa_float_round_mode_16_64 0
		.amdhsa_float_denorm_mode_32 3
		.amdhsa_float_denorm_mode_16_64 3
		.amdhsa_fp16_overflow 0
		.amdhsa_memory_ordered 1
		.amdhsa_forward_progress 1
		.amdhsa_inst_pref_size 0
		.amdhsa_round_robin_scheduling 0
		.amdhsa_exception_fp_ieee_invalid_op 0
		.amdhsa_exception_fp_denorm_src 0
		.amdhsa_exception_fp_ieee_div_zero 0
		.amdhsa_exception_fp_ieee_overflow 0
		.amdhsa_exception_fp_ieee_underflow 0
		.amdhsa_exception_fp_ieee_inexact 0
		.amdhsa_exception_int_div_zero 0
	.end_amdhsa_kernel
	.section	.text._ZN7rocprim17ROCPRIM_400000_NS6detail17trampoline_kernelINS0_14default_configENS1_38merge_sort_block_merge_config_selectorIhNS0_10empty_typeEEEZZNS1_27merge_sort_block_merge_implIS3_PhPS5_jNS1_19radix_merge_compareILb0ELb0EhNS0_19identity_decomposerEEEEE10hipError_tT0_T1_T2_jT3_P12ihipStream_tbPNSt15iterator_traitsISE_E10value_typeEPNSK_ISF_E10value_typeEPSG_NS1_7vsmem_tEENKUlT_SE_SF_SG_E_clIS8_S8_S9_S9_EESD_ST_SE_SF_SG_EUlST_E1_NS1_11comp_targetILNS1_3genE8ELNS1_11target_archE1030ELNS1_3gpuE2ELNS1_3repE0EEENS1_36merge_oddeven_config_static_selectorELNS0_4arch9wavefront6targetE0EEEvSF_,"axG",@progbits,_ZN7rocprim17ROCPRIM_400000_NS6detail17trampoline_kernelINS0_14default_configENS1_38merge_sort_block_merge_config_selectorIhNS0_10empty_typeEEEZZNS1_27merge_sort_block_merge_implIS3_PhPS5_jNS1_19radix_merge_compareILb0ELb0EhNS0_19identity_decomposerEEEEE10hipError_tT0_T1_T2_jT3_P12ihipStream_tbPNSt15iterator_traitsISE_E10value_typeEPNSK_ISF_E10value_typeEPSG_NS1_7vsmem_tEENKUlT_SE_SF_SG_E_clIS8_S8_S9_S9_EESD_ST_SE_SF_SG_EUlST_E1_NS1_11comp_targetILNS1_3genE8ELNS1_11target_archE1030ELNS1_3gpuE2ELNS1_3repE0EEENS1_36merge_oddeven_config_static_selectorELNS0_4arch9wavefront6targetE0EEEvSF_,comdat
.Lfunc_end176:
	.size	_ZN7rocprim17ROCPRIM_400000_NS6detail17trampoline_kernelINS0_14default_configENS1_38merge_sort_block_merge_config_selectorIhNS0_10empty_typeEEEZZNS1_27merge_sort_block_merge_implIS3_PhPS5_jNS1_19radix_merge_compareILb0ELb0EhNS0_19identity_decomposerEEEEE10hipError_tT0_T1_T2_jT3_P12ihipStream_tbPNSt15iterator_traitsISE_E10value_typeEPNSK_ISF_E10value_typeEPSG_NS1_7vsmem_tEENKUlT_SE_SF_SG_E_clIS8_S8_S9_S9_EESD_ST_SE_SF_SG_EUlST_E1_NS1_11comp_targetILNS1_3genE8ELNS1_11target_archE1030ELNS1_3gpuE2ELNS1_3repE0EEENS1_36merge_oddeven_config_static_selectorELNS0_4arch9wavefront6targetE0EEEvSF_, .Lfunc_end176-_ZN7rocprim17ROCPRIM_400000_NS6detail17trampoline_kernelINS0_14default_configENS1_38merge_sort_block_merge_config_selectorIhNS0_10empty_typeEEEZZNS1_27merge_sort_block_merge_implIS3_PhPS5_jNS1_19radix_merge_compareILb0ELb0EhNS0_19identity_decomposerEEEEE10hipError_tT0_T1_T2_jT3_P12ihipStream_tbPNSt15iterator_traitsISE_E10value_typeEPNSK_ISF_E10value_typeEPSG_NS1_7vsmem_tEENKUlT_SE_SF_SG_E_clIS8_S8_S9_S9_EESD_ST_SE_SF_SG_EUlST_E1_NS1_11comp_targetILNS1_3genE8ELNS1_11target_archE1030ELNS1_3gpuE2ELNS1_3repE0EEENS1_36merge_oddeven_config_static_selectorELNS0_4arch9wavefront6targetE0EEEvSF_
                                        ; -- End function
	.set _ZN7rocprim17ROCPRIM_400000_NS6detail17trampoline_kernelINS0_14default_configENS1_38merge_sort_block_merge_config_selectorIhNS0_10empty_typeEEEZZNS1_27merge_sort_block_merge_implIS3_PhPS5_jNS1_19radix_merge_compareILb0ELb0EhNS0_19identity_decomposerEEEEE10hipError_tT0_T1_T2_jT3_P12ihipStream_tbPNSt15iterator_traitsISE_E10value_typeEPNSK_ISF_E10value_typeEPSG_NS1_7vsmem_tEENKUlT_SE_SF_SG_E_clIS8_S8_S9_S9_EESD_ST_SE_SF_SG_EUlST_E1_NS1_11comp_targetILNS1_3genE8ELNS1_11target_archE1030ELNS1_3gpuE2ELNS1_3repE0EEENS1_36merge_oddeven_config_static_selectorELNS0_4arch9wavefront6targetE0EEEvSF_.num_vgpr, 0
	.set _ZN7rocprim17ROCPRIM_400000_NS6detail17trampoline_kernelINS0_14default_configENS1_38merge_sort_block_merge_config_selectorIhNS0_10empty_typeEEEZZNS1_27merge_sort_block_merge_implIS3_PhPS5_jNS1_19radix_merge_compareILb0ELb0EhNS0_19identity_decomposerEEEEE10hipError_tT0_T1_T2_jT3_P12ihipStream_tbPNSt15iterator_traitsISE_E10value_typeEPNSK_ISF_E10value_typeEPSG_NS1_7vsmem_tEENKUlT_SE_SF_SG_E_clIS8_S8_S9_S9_EESD_ST_SE_SF_SG_EUlST_E1_NS1_11comp_targetILNS1_3genE8ELNS1_11target_archE1030ELNS1_3gpuE2ELNS1_3repE0EEENS1_36merge_oddeven_config_static_selectorELNS0_4arch9wavefront6targetE0EEEvSF_.num_agpr, 0
	.set _ZN7rocprim17ROCPRIM_400000_NS6detail17trampoline_kernelINS0_14default_configENS1_38merge_sort_block_merge_config_selectorIhNS0_10empty_typeEEEZZNS1_27merge_sort_block_merge_implIS3_PhPS5_jNS1_19radix_merge_compareILb0ELb0EhNS0_19identity_decomposerEEEEE10hipError_tT0_T1_T2_jT3_P12ihipStream_tbPNSt15iterator_traitsISE_E10value_typeEPNSK_ISF_E10value_typeEPSG_NS1_7vsmem_tEENKUlT_SE_SF_SG_E_clIS8_S8_S9_S9_EESD_ST_SE_SF_SG_EUlST_E1_NS1_11comp_targetILNS1_3genE8ELNS1_11target_archE1030ELNS1_3gpuE2ELNS1_3repE0EEENS1_36merge_oddeven_config_static_selectorELNS0_4arch9wavefront6targetE0EEEvSF_.numbered_sgpr, 0
	.set _ZN7rocprim17ROCPRIM_400000_NS6detail17trampoline_kernelINS0_14default_configENS1_38merge_sort_block_merge_config_selectorIhNS0_10empty_typeEEEZZNS1_27merge_sort_block_merge_implIS3_PhPS5_jNS1_19radix_merge_compareILb0ELb0EhNS0_19identity_decomposerEEEEE10hipError_tT0_T1_T2_jT3_P12ihipStream_tbPNSt15iterator_traitsISE_E10value_typeEPNSK_ISF_E10value_typeEPSG_NS1_7vsmem_tEENKUlT_SE_SF_SG_E_clIS8_S8_S9_S9_EESD_ST_SE_SF_SG_EUlST_E1_NS1_11comp_targetILNS1_3genE8ELNS1_11target_archE1030ELNS1_3gpuE2ELNS1_3repE0EEENS1_36merge_oddeven_config_static_selectorELNS0_4arch9wavefront6targetE0EEEvSF_.num_named_barrier, 0
	.set _ZN7rocprim17ROCPRIM_400000_NS6detail17trampoline_kernelINS0_14default_configENS1_38merge_sort_block_merge_config_selectorIhNS0_10empty_typeEEEZZNS1_27merge_sort_block_merge_implIS3_PhPS5_jNS1_19radix_merge_compareILb0ELb0EhNS0_19identity_decomposerEEEEE10hipError_tT0_T1_T2_jT3_P12ihipStream_tbPNSt15iterator_traitsISE_E10value_typeEPNSK_ISF_E10value_typeEPSG_NS1_7vsmem_tEENKUlT_SE_SF_SG_E_clIS8_S8_S9_S9_EESD_ST_SE_SF_SG_EUlST_E1_NS1_11comp_targetILNS1_3genE8ELNS1_11target_archE1030ELNS1_3gpuE2ELNS1_3repE0EEENS1_36merge_oddeven_config_static_selectorELNS0_4arch9wavefront6targetE0EEEvSF_.private_seg_size, 0
	.set _ZN7rocprim17ROCPRIM_400000_NS6detail17trampoline_kernelINS0_14default_configENS1_38merge_sort_block_merge_config_selectorIhNS0_10empty_typeEEEZZNS1_27merge_sort_block_merge_implIS3_PhPS5_jNS1_19radix_merge_compareILb0ELb0EhNS0_19identity_decomposerEEEEE10hipError_tT0_T1_T2_jT3_P12ihipStream_tbPNSt15iterator_traitsISE_E10value_typeEPNSK_ISF_E10value_typeEPSG_NS1_7vsmem_tEENKUlT_SE_SF_SG_E_clIS8_S8_S9_S9_EESD_ST_SE_SF_SG_EUlST_E1_NS1_11comp_targetILNS1_3genE8ELNS1_11target_archE1030ELNS1_3gpuE2ELNS1_3repE0EEENS1_36merge_oddeven_config_static_selectorELNS0_4arch9wavefront6targetE0EEEvSF_.uses_vcc, 0
	.set _ZN7rocprim17ROCPRIM_400000_NS6detail17trampoline_kernelINS0_14default_configENS1_38merge_sort_block_merge_config_selectorIhNS0_10empty_typeEEEZZNS1_27merge_sort_block_merge_implIS3_PhPS5_jNS1_19radix_merge_compareILb0ELb0EhNS0_19identity_decomposerEEEEE10hipError_tT0_T1_T2_jT3_P12ihipStream_tbPNSt15iterator_traitsISE_E10value_typeEPNSK_ISF_E10value_typeEPSG_NS1_7vsmem_tEENKUlT_SE_SF_SG_E_clIS8_S8_S9_S9_EESD_ST_SE_SF_SG_EUlST_E1_NS1_11comp_targetILNS1_3genE8ELNS1_11target_archE1030ELNS1_3gpuE2ELNS1_3repE0EEENS1_36merge_oddeven_config_static_selectorELNS0_4arch9wavefront6targetE0EEEvSF_.uses_flat_scratch, 0
	.set _ZN7rocprim17ROCPRIM_400000_NS6detail17trampoline_kernelINS0_14default_configENS1_38merge_sort_block_merge_config_selectorIhNS0_10empty_typeEEEZZNS1_27merge_sort_block_merge_implIS3_PhPS5_jNS1_19radix_merge_compareILb0ELb0EhNS0_19identity_decomposerEEEEE10hipError_tT0_T1_T2_jT3_P12ihipStream_tbPNSt15iterator_traitsISE_E10value_typeEPNSK_ISF_E10value_typeEPSG_NS1_7vsmem_tEENKUlT_SE_SF_SG_E_clIS8_S8_S9_S9_EESD_ST_SE_SF_SG_EUlST_E1_NS1_11comp_targetILNS1_3genE8ELNS1_11target_archE1030ELNS1_3gpuE2ELNS1_3repE0EEENS1_36merge_oddeven_config_static_selectorELNS0_4arch9wavefront6targetE0EEEvSF_.has_dyn_sized_stack, 0
	.set _ZN7rocprim17ROCPRIM_400000_NS6detail17trampoline_kernelINS0_14default_configENS1_38merge_sort_block_merge_config_selectorIhNS0_10empty_typeEEEZZNS1_27merge_sort_block_merge_implIS3_PhPS5_jNS1_19radix_merge_compareILb0ELb0EhNS0_19identity_decomposerEEEEE10hipError_tT0_T1_T2_jT3_P12ihipStream_tbPNSt15iterator_traitsISE_E10value_typeEPNSK_ISF_E10value_typeEPSG_NS1_7vsmem_tEENKUlT_SE_SF_SG_E_clIS8_S8_S9_S9_EESD_ST_SE_SF_SG_EUlST_E1_NS1_11comp_targetILNS1_3genE8ELNS1_11target_archE1030ELNS1_3gpuE2ELNS1_3repE0EEENS1_36merge_oddeven_config_static_selectorELNS0_4arch9wavefront6targetE0EEEvSF_.has_recursion, 0
	.set _ZN7rocprim17ROCPRIM_400000_NS6detail17trampoline_kernelINS0_14default_configENS1_38merge_sort_block_merge_config_selectorIhNS0_10empty_typeEEEZZNS1_27merge_sort_block_merge_implIS3_PhPS5_jNS1_19radix_merge_compareILb0ELb0EhNS0_19identity_decomposerEEEEE10hipError_tT0_T1_T2_jT3_P12ihipStream_tbPNSt15iterator_traitsISE_E10value_typeEPNSK_ISF_E10value_typeEPSG_NS1_7vsmem_tEENKUlT_SE_SF_SG_E_clIS8_S8_S9_S9_EESD_ST_SE_SF_SG_EUlST_E1_NS1_11comp_targetILNS1_3genE8ELNS1_11target_archE1030ELNS1_3gpuE2ELNS1_3repE0EEENS1_36merge_oddeven_config_static_selectorELNS0_4arch9wavefront6targetE0EEEvSF_.has_indirect_call, 0
	.section	.AMDGPU.csdata,"",@progbits
; Kernel info:
; codeLenInByte = 0
; TotalNumSgprs: 0
; NumVgprs: 0
; ScratchSize: 0
; MemoryBound: 0
; FloatMode: 240
; IeeeMode: 1
; LDSByteSize: 0 bytes/workgroup (compile time only)
; SGPRBlocks: 0
; VGPRBlocks: 0
; NumSGPRsForWavesPerEU: 1
; NumVGPRsForWavesPerEU: 1
; NamedBarCnt: 0
; Occupancy: 16
; WaveLimiterHint : 0
; COMPUTE_PGM_RSRC2:SCRATCH_EN: 0
; COMPUTE_PGM_RSRC2:USER_SGPR: 2
; COMPUTE_PGM_RSRC2:TRAP_HANDLER: 0
; COMPUTE_PGM_RSRC2:TGID_X_EN: 1
; COMPUTE_PGM_RSRC2:TGID_Y_EN: 0
; COMPUTE_PGM_RSRC2:TGID_Z_EN: 0
; COMPUTE_PGM_RSRC2:TIDIG_COMP_CNT: 0
	.section	.text._ZN7rocprim17ROCPRIM_400000_NS6detail17trampoline_kernelINS0_14default_configENS1_38merge_sort_block_merge_config_selectorIhNS0_10empty_typeEEEZZNS1_27merge_sort_block_merge_implIS3_PhPS5_jNS1_19radix_merge_compareILb0ELb1EhNS0_19identity_decomposerEEEEE10hipError_tT0_T1_T2_jT3_P12ihipStream_tbPNSt15iterator_traitsISE_E10value_typeEPNSK_ISF_E10value_typeEPSG_NS1_7vsmem_tEENKUlT_SE_SF_SG_E_clIS8_S8_S9_S9_EESD_ST_SE_SF_SG_EUlST_E_NS1_11comp_targetILNS1_3genE0ELNS1_11target_archE4294967295ELNS1_3gpuE0ELNS1_3repE0EEENS1_48merge_mergepath_partition_config_static_selectorELNS0_4arch9wavefront6targetE0EEEvSF_,"axG",@progbits,_ZN7rocprim17ROCPRIM_400000_NS6detail17trampoline_kernelINS0_14default_configENS1_38merge_sort_block_merge_config_selectorIhNS0_10empty_typeEEEZZNS1_27merge_sort_block_merge_implIS3_PhPS5_jNS1_19radix_merge_compareILb0ELb1EhNS0_19identity_decomposerEEEEE10hipError_tT0_T1_T2_jT3_P12ihipStream_tbPNSt15iterator_traitsISE_E10value_typeEPNSK_ISF_E10value_typeEPSG_NS1_7vsmem_tEENKUlT_SE_SF_SG_E_clIS8_S8_S9_S9_EESD_ST_SE_SF_SG_EUlST_E_NS1_11comp_targetILNS1_3genE0ELNS1_11target_archE4294967295ELNS1_3gpuE0ELNS1_3repE0EEENS1_48merge_mergepath_partition_config_static_selectorELNS0_4arch9wavefront6targetE0EEEvSF_,comdat
	.protected	_ZN7rocprim17ROCPRIM_400000_NS6detail17trampoline_kernelINS0_14default_configENS1_38merge_sort_block_merge_config_selectorIhNS0_10empty_typeEEEZZNS1_27merge_sort_block_merge_implIS3_PhPS5_jNS1_19radix_merge_compareILb0ELb1EhNS0_19identity_decomposerEEEEE10hipError_tT0_T1_T2_jT3_P12ihipStream_tbPNSt15iterator_traitsISE_E10value_typeEPNSK_ISF_E10value_typeEPSG_NS1_7vsmem_tEENKUlT_SE_SF_SG_E_clIS8_S8_S9_S9_EESD_ST_SE_SF_SG_EUlST_E_NS1_11comp_targetILNS1_3genE0ELNS1_11target_archE4294967295ELNS1_3gpuE0ELNS1_3repE0EEENS1_48merge_mergepath_partition_config_static_selectorELNS0_4arch9wavefront6targetE0EEEvSF_ ; -- Begin function _ZN7rocprim17ROCPRIM_400000_NS6detail17trampoline_kernelINS0_14default_configENS1_38merge_sort_block_merge_config_selectorIhNS0_10empty_typeEEEZZNS1_27merge_sort_block_merge_implIS3_PhPS5_jNS1_19radix_merge_compareILb0ELb1EhNS0_19identity_decomposerEEEEE10hipError_tT0_T1_T2_jT3_P12ihipStream_tbPNSt15iterator_traitsISE_E10value_typeEPNSK_ISF_E10value_typeEPSG_NS1_7vsmem_tEENKUlT_SE_SF_SG_E_clIS8_S8_S9_S9_EESD_ST_SE_SF_SG_EUlST_E_NS1_11comp_targetILNS1_3genE0ELNS1_11target_archE4294967295ELNS1_3gpuE0ELNS1_3repE0EEENS1_48merge_mergepath_partition_config_static_selectorELNS0_4arch9wavefront6targetE0EEEvSF_
	.globl	_ZN7rocprim17ROCPRIM_400000_NS6detail17trampoline_kernelINS0_14default_configENS1_38merge_sort_block_merge_config_selectorIhNS0_10empty_typeEEEZZNS1_27merge_sort_block_merge_implIS3_PhPS5_jNS1_19radix_merge_compareILb0ELb1EhNS0_19identity_decomposerEEEEE10hipError_tT0_T1_T2_jT3_P12ihipStream_tbPNSt15iterator_traitsISE_E10value_typeEPNSK_ISF_E10value_typeEPSG_NS1_7vsmem_tEENKUlT_SE_SF_SG_E_clIS8_S8_S9_S9_EESD_ST_SE_SF_SG_EUlST_E_NS1_11comp_targetILNS1_3genE0ELNS1_11target_archE4294967295ELNS1_3gpuE0ELNS1_3repE0EEENS1_48merge_mergepath_partition_config_static_selectorELNS0_4arch9wavefront6targetE0EEEvSF_
	.p2align	8
	.type	_ZN7rocprim17ROCPRIM_400000_NS6detail17trampoline_kernelINS0_14default_configENS1_38merge_sort_block_merge_config_selectorIhNS0_10empty_typeEEEZZNS1_27merge_sort_block_merge_implIS3_PhPS5_jNS1_19radix_merge_compareILb0ELb1EhNS0_19identity_decomposerEEEEE10hipError_tT0_T1_T2_jT3_P12ihipStream_tbPNSt15iterator_traitsISE_E10value_typeEPNSK_ISF_E10value_typeEPSG_NS1_7vsmem_tEENKUlT_SE_SF_SG_E_clIS8_S8_S9_S9_EESD_ST_SE_SF_SG_EUlST_E_NS1_11comp_targetILNS1_3genE0ELNS1_11target_archE4294967295ELNS1_3gpuE0ELNS1_3repE0EEENS1_48merge_mergepath_partition_config_static_selectorELNS0_4arch9wavefront6targetE0EEEvSF_,@function
_ZN7rocprim17ROCPRIM_400000_NS6detail17trampoline_kernelINS0_14default_configENS1_38merge_sort_block_merge_config_selectorIhNS0_10empty_typeEEEZZNS1_27merge_sort_block_merge_implIS3_PhPS5_jNS1_19radix_merge_compareILb0ELb1EhNS0_19identity_decomposerEEEEE10hipError_tT0_T1_T2_jT3_P12ihipStream_tbPNSt15iterator_traitsISE_E10value_typeEPNSK_ISF_E10value_typeEPSG_NS1_7vsmem_tEENKUlT_SE_SF_SG_E_clIS8_S8_S9_S9_EESD_ST_SE_SF_SG_EUlST_E_NS1_11comp_targetILNS1_3genE0ELNS1_11target_archE4294967295ELNS1_3gpuE0ELNS1_3repE0EEENS1_48merge_mergepath_partition_config_static_selectorELNS0_4arch9wavefront6targetE0EEEvSF_: ; @_ZN7rocprim17ROCPRIM_400000_NS6detail17trampoline_kernelINS0_14default_configENS1_38merge_sort_block_merge_config_selectorIhNS0_10empty_typeEEEZZNS1_27merge_sort_block_merge_implIS3_PhPS5_jNS1_19radix_merge_compareILb0ELb1EhNS0_19identity_decomposerEEEEE10hipError_tT0_T1_T2_jT3_P12ihipStream_tbPNSt15iterator_traitsISE_E10value_typeEPNSK_ISF_E10value_typeEPSG_NS1_7vsmem_tEENKUlT_SE_SF_SG_E_clIS8_S8_S9_S9_EESD_ST_SE_SF_SG_EUlST_E_NS1_11comp_targetILNS1_3genE0ELNS1_11target_archE4294967295ELNS1_3gpuE0ELNS1_3repE0EEENS1_48merge_mergepath_partition_config_static_selectorELNS0_4arch9wavefront6targetE0EEEvSF_
; %bb.0:
	s_load_b32 s2, s[0:1], 0x0
	s_bfe_u32 s3, ttmp6, 0x4000c
	s_and_b32 s4, ttmp6, 15
	s_add_co_i32 s3, s3, 1
	s_getreg_b32 s5, hwreg(HW_REG_IB_STS2, 6, 4)
	s_mul_i32 s3, ttmp9, s3
	s_delay_alu instid0(SALU_CYCLE_1) | instskip(SKIP_2) | instid1(SALU_CYCLE_1)
	s_add_co_i32 s4, s4, s3
	s_cmp_eq_u32 s5, 0
	s_cselect_b32 s3, ttmp9, s4
	v_lshl_or_b32 v8, s3, 7, v0
	s_wait_kmcnt 0x0
	s_delay_alu instid0(VALU_DEP_1)
	v_cmp_gt_u32_e32 vcc_lo, s2, v8
	s_and_saveexec_b32 s2, vcc_lo
	s_cbranch_execz .LBB177_6
; %bb.1:
	s_load_b64 s[2:3], s[0:1], 0x4
	s_mov_b32 s7, exec_lo
	s_wait_kmcnt 0x0
	s_lshr_b32 s4, s2, 9
	s_delay_alu instid0(SALU_CYCLE_1) | instskip(NEXT) | instid1(SALU_CYCLE_1)
	s_and_b32 s4, s4, 0x7ffffe
	s_sub_co_i32 s5, 0, s4
	s_add_co_i32 s4, s4, -1
	s_delay_alu instid0(SALU_CYCLE_1) | instskip(NEXT) | instid1(VALU_DEP_1)
	v_and_b32_e32 v1, s4, v8
	v_dual_lshlrev_b32 v1, 10, v1 :: v_dual_bitop2_b32 v0, s5, v8 bitop3:0x40
	s_delay_alu instid0(VALU_DEP_1) | instskip(NEXT) | instid1(VALU_DEP_1)
	v_lshlrev_b32_e32 v0, 10, v0
	v_add_min_u32_e64 v2, v0, s2, s3
	v_min_u32_e32 v0, s3, v0
	s_delay_alu instid0(VALU_DEP_2) | instskip(SKIP_1) | instid1(VALU_DEP_1)
	v_add_min_u32_e64 v3, v2, s2, s3
	s_load_b64 s[2:3], s[0:1], 0x20
	v_dual_sub_nc_u32 v4, v3, v0 :: v_dual_sub_nc_u32 v3, v3, v2
	s_delay_alu instid0(VALU_DEP_1) | instskip(SKIP_1) | instid1(VALU_DEP_2)
	v_min_u32_e32 v10, v4, v1
	v_sub_nc_u32_e32 v1, v2, v0
	v_sub_nc_u32_e64 v9, v10, v3 clamp
	s_delay_alu instid0(VALU_DEP_2) | instskip(NEXT) | instid1(VALU_DEP_1)
	v_min_u32_e32 v11, v10, v1
	v_cmpx_lt_u32_e64 v9, v11
	s_cbranch_execz .LBB177_5
; %bb.2:
	s_load_b96 s[4:6], s[0:1], 0x10
	v_mov_b32_e32 v3, 0
	s_wait_xcnt 0x0
	s_mov_b32 s0, 0
	s_delay_alu instid0(VALU_DEP_1) | instskip(SKIP_1) | instid1(VALU_DEP_1)
	v_mov_b32_e32 v1, v3
	s_wait_kmcnt 0x0
	v_add_nc_u64_e32 v[4:5], s[4:5], v[0:1]
	v_add_nc_u64_e32 v[6:7], s[4:5], v[2:3]
.LBB177_3:                              ; =>This Inner Loop Header: Depth=1
	v_add_nc_u32_e32 v1, v11, v9
	s_delay_alu instid0(VALU_DEP_1) | instskip(NEXT) | instid1(VALU_DEP_1)
	v_dual_mov_b32 v13, v3 :: v_dual_lshrrev_b32 v2, 1, v1
	v_xad_u32 v12, v2, -1, v10
	v_add_nc_u64_e32 v[14:15], v[4:5], v[2:3]
	s_delay_alu instid0(VALU_DEP_2)
	v_add_nc_u64_e32 v[12:13], v[6:7], v[12:13]
	s_clause 0x1
	global_load_u8 v1, v[14:15], off
	global_load_u8 v16, v[12:13], off
	s_wait_xcnt 0x0
	v_add_nc_u32_e32 v13, 1, v2
	s_wait_loadcnt 0x1
	v_bitop3_b16 v1, v1, 0xff, s6 bitop3:0x80
	s_wait_loadcnt 0x0
	v_bitop3_b16 v12, v16, 0xff, s6 bitop3:0x80
	s_delay_alu instid0(VALU_DEP_1) | instskip(SKIP_1) | instid1(VALU_DEP_1)
	v_cmp_gt_u16_e32 vcc_lo, v1, v12
	v_dual_cndmask_b32 v11, v11, v2, vcc_lo :: v_dual_cndmask_b32 v9, v13, v9, vcc_lo
	v_cmp_ge_u32_e32 vcc_lo, v9, v11
	s_or_b32 s0, vcc_lo, s0
	s_delay_alu instid0(SALU_CYCLE_1)
	s_and_not1_b32 exec_lo, exec_lo, s0
	s_cbranch_execnz .LBB177_3
; %bb.4:
	s_or_b32 exec_lo, exec_lo, s0
.LBB177_5:
	s_delay_alu instid0(SALU_CYCLE_1)
	s_or_b32 exec_lo, exec_lo, s7
	v_add_nc_u32_e32 v0, v9, v0
	s_wait_kmcnt 0x0
	global_store_b32 v8, v0, s[2:3] scale_offset
.LBB177_6:
	s_endpgm
	.section	.rodata,"a",@progbits
	.p2align	6, 0x0
	.amdhsa_kernel _ZN7rocprim17ROCPRIM_400000_NS6detail17trampoline_kernelINS0_14default_configENS1_38merge_sort_block_merge_config_selectorIhNS0_10empty_typeEEEZZNS1_27merge_sort_block_merge_implIS3_PhPS5_jNS1_19radix_merge_compareILb0ELb1EhNS0_19identity_decomposerEEEEE10hipError_tT0_T1_T2_jT3_P12ihipStream_tbPNSt15iterator_traitsISE_E10value_typeEPNSK_ISF_E10value_typeEPSG_NS1_7vsmem_tEENKUlT_SE_SF_SG_E_clIS8_S8_S9_S9_EESD_ST_SE_SF_SG_EUlST_E_NS1_11comp_targetILNS1_3genE0ELNS1_11target_archE4294967295ELNS1_3gpuE0ELNS1_3repE0EEENS1_48merge_mergepath_partition_config_static_selectorELNS0_4arch9wavefront6targetE0EEEvSF_
		.amdhsa_group_segment_fixed_size 0
		.amdhsa_private_segment_fixed_size 0
		.amdhsa_kernarg_size 40
		.amdhsa_user_sgpr_count 2
		.amdhsa_user_sgpr_dispatch_ptr 0
		.amdhsa_user_sgpr_queue_ptr 0
		.amdhsa_user_sgpr_kernarg_segment_ptr 1
		.amdhsa_user_sgpr_dispatch_id 0
		.amdhsa_user_sgpr_kernarg_preload_length 0
		.amdhsa_user_sgpr_kernarg_preload_offset 0
		.amdhsa_user_sgpr_private_segment_size 0
		.amdhsa_wavefront_size32 1
		.amdhsa_uses_dynamic_stack 0
		.amdhsa_enable_private_segment 0
		.amdhsa_system_sgpr_workgroup_id_x 1
		.amdhsa_system_sgpr_workgroup_id_y 0
		.amdhsa_system_sgpr_workgroup_id_z 0
		.amdhsa_system_sgpr_workgroup_info 0
		.amdhsa_system_vgpr_workitem_id 0
		.amdhsa_next_free_vgpr 17
		.amdhsa_next_free_sgpr 8
		.amdhsa_named_barrier_count 0
		.amdhsa_reserve_vcc 1
		.amdhsa_float_round_mode_32 0
		.amdhsa_float_round_mode_16_64 0
		.amdhsa_float_denorm_mode_32 3
		.amdhsa_float_denorm_mode_16_64 3
		.amdhsa_fp16_overflow 0
		.amdhsa_memory_ordered 1
		.amdhsa_forward_progress 1
		.amdhsa_inst_pref_size 4
		.amdhsa_round_robin_scheduling 0
		.amdhsa_exception_fp_ieee_invalid_op 0
		.amdhsa_exception_fp_denorm_src 0
		.amdhsa_exception_fp_ieee_div_zero 0
		.amdhsa_exception_fp_ieee_overflow 0
		.amdhsa_exception_fp_ieee_underflow 0
		.amdhsa_exception_fp_ieee_inexact 0
		.amdhsa_exception_int_div_zero 0
	.end_amdhsa_kernel
	.section	.text._ZN7rocprim17ROCPRIM_400000_NS6detail17trampoline_kernelINS0_14default_configENS1_38merge_sort_block_merge_config_selectorIhNS0_10empty_typeEEEZZNS1_27merge_sort_block_merge_implIS3_PhPS5_jNS1_19radix_merge_compareILb0ELb1EhNS0_19identity_decomposerEEEEE10hipError_tT0_T1_T2_jT3_P12ihipStream_tbPNSt15iterator_traitsISE_E10value_typeEPNSK_ISF_E10value_typeEPSG_NS1_7vsmem_tEENKUlT_SE_SF_SG_E_clIS8_S8_S9_S9_EESD_ST_SE_SF_SG_EUlST_E_NS1_11comp_targetILNS1_3genE0ELNS1_11target_archE4294967295ELNS1_3gpuE0ELNS1_3repE0EEENS1_48merge_mergepath_partition_config_static_selectorELNS0_4arch9wavefront6targetE0EEEvSF_,"axG",@progbits,_ZN7rocprim17ROCPRIM_400000_NS6detail17trampoline_kernelINS0_14default_configENS1_38merge_sort_block_merge_config_selectorIhNS0_10empty_typeEEEZZNS1_27merge_sort_block_merge_implIS3_PhPS5_jNS1_19radix_merge_compareILb0ELb1EhNS0_19identity_decomposerEEEEE10hipError_tT0_T1_T2_jT3_P12ihipStream_tbPNSt15iterator_traitsISE_E10value_typeEPNSK_ISF_E10value_typeEPSG_NS1_7vsmem_tEENKUlT_SE_SF_SG_E_clIS8_S8_S9_S9_EESD_ST_SE_SF_SG_EUlST_E_NS1_11comp_targetILNS1_3genE0ELNS1_11target_archE4294967295ELNS1_3gpuE0ELNS1_3repE0EEENS1_48merge_mergepath_partition_config_static_selectorELNS0_4arch9wavefront6targetE0EEEvSF_,comdat
.Lfunc_end177:
	.size	_ZN7rocprim17ROCPRIM_400000_NS6detail17trampoline_kernelINS0_14default_configENS1_38merge_sort_block_merge_config_selectorIhNS0_10empty_typeEEEZZNS1_27merge_sort_block_merge_implIS3_PhPS5_jNS1_19radix_merge_compareILb0ELb1EhNS0_19identity_decomposerEEEEE10hipError_tT0_T1_T2_jT3_P12ihipStream_tbPNSt15iterator_traitsISE_E10value_typeEPNSK_ISF_E10value_typeEPSG_NS1_7vsmem_tEENKUlT_SE_SF_SG_E_clIS8_S8_S9_S9_EESD_ST_SE_SF_SG_EUlST_E_NS1_11comp_targetILNS1_3genE0ELNS1_11target_archE4294967295ELNS1_3gpuE0ELNS1_3repE0EEENS1_48merge_mergepath_partition_config_static_selectorELNS0_4arch9wavefront6targetE0EEEvSF_, .Lfunc_end177-_ZN7rocprim17ROCPRIM_400000_NS6detail17trampoline_kernelINS0_14default_configENS1_38merge_sort_block_merge_config_selectorIhNS0_10empty_typeEEEZZNS1_27merge_sort_block_merge_implIS3_PhPS5_jNS1_19radix_merge_compareILb0ELb1EhNS0_19identity_decomposerEEEEE10hipError_tT0_T1_T2_jT3_P12ihipStream_tbPNSt15iterator_traitsISE_E10value_typeEPNSK_ISF_E10value_typeEPSG_NS1_7vsmem_tEENKUlT_SE_SF_SG_E_clIS8_S8_S9_S9_EESD_ST_SE_SF_SG_EUlST_E_NS1_11comp_targetILNS1_3genE0ELNS1_11target_archE4294967295ELNS1_3gpuE0ELNS1_3repE0EEENS1_48merge_mergepath_partition_config_static_selectorELNS0_4arch9wavefront6targetE0EEEvSF_
                                        ; -- End function
	.set _ZN7rocprim17ROCPRIM_400000_NS6detail17trampoline_kernelINS0_14default_configENS1_38merge_sort_block_merge_config_selectorIhNS0_10empty_typeEEEZZNS1_27merge_sort_block_merge_implIS3_PhPS5_jNS1_19radix_merge_compareILb0ELb1EhNS0_19identity_decomposerEEEEE10hipError_tT0_T1_T2_jT3_P12ihipStream_tbPNSt15iterator_traitsISE_E10value_typeEPNSK_ISF_E10value_typeEPSG_NS1_7vsmem_tEENKUlT_SE_SF_SG_E_clIS8_S8_S9_S9_EESD_ST_SE_SF_SG_EUlST_E_NS1_11comp_targetILNS1_3genE0ELNS1_11target_archE4294967295ELNS1_3gpuE0ELNS1_3repE0EEENS1_48merge_mergepath_partition_config_static_selectorELNS0_4arch9wavefront6targetE0EEEvSF_.num_vgpr, 17
	.set _ZN7rocprim17ROCPRIM_400000_NS6detail17trampoline_kernelINS0_14default_configENS1_38merge_sort_block_merge_config_selectorIhNS0_10empty_typeEEEZZNS1_27merge_sort_block_merge_implIS3_PhPS5_jNS1_19radix_merge_compareILb0ELb1EhNS0_19identity_decomposerEEEEE10hipError_tT0_T1_T2_jT3_P12ihipStream_tbPNSt15iterator_traitsISE_E10value_typeEPNSK_ISF_E10value_typeEPSG_NS1_7vsmem_tEENKUlT_SE_SF_SG_E_clIS8_S8_S9_S9_EESD_ST_SE_SF_SG_EUlST_E_NS1_11comp_targetILNS1_3genE0ELNS1_11target_archE4294967295ELNS1_3gpuE0ELNS1_3repE0EEENS1_48merge_mergepath_partition_config_static_selectorELNS0_4arch9wavefront6targetE0EEEvSF_.num_agpr, 0
	.set _ZN7rocprim17ROCPRIM_400000_NS6detail17trampoline_kernelINS0_14default_configENS1_38merge_sort_block_merge_config_selectorIhNS0_10empty_typeEEEZZNS1_27merge_sort_block_merge_implIS3_PhPS5_jNS1_19radix_merge_compareILb0ELb1EhNS0_19identity_decomposerEEEEE10hipError_tT0_T1_T2_jT3_P12ihipStream_tbPNSt15iterator_traitsISE_E10value_typeEPNSK_ISF_E10value_typeEPSG_NS1_7vsmem_tEENKUlT_SE_SF_SG_E_clIS8_S8_S9_S9_EESD_ST_SE_SF_SG_EUlST_E_NS1_11comp_targetILNS1_3genE0ELNS1_11target_archE4294967295ELNS1_3gpuE0ELNS1_3repE0EEENS1_48merge_mergepath_partition_config_static_selectorELNS0_4arch9wavefront6targetE0EEEvSF_.numbered_sgpr, 8
	.set _ZN7rocprim17ROCPRIM_400000_NS6detail17trampoline_kernelINS0_14default_configENS1_38merge_sort_block_merge_config_selectorIhNS0_10empty_typeEEEZZNS1_27merge_sort_block_merge_implIS3_PhPS5_jNS1_19radix_merge_compareILb0ELb1EhNS0_19identity_decomposerEEEEE10hipError_tT0_T1_T2_jT3_P12ihipStream_tbPNSt15iterator_traitsISE_E10value_typeEPNSK_ISF_E10value_typeEPSG_NS1_7vsmem_tEENKUlT_SE_SF_SG_E_clIS8_S8_S9_S9_EESD_ST_SE_SF_SG_EUlST_E_NS1_11comp_targetILNS1_3genE0ELNS1_11target_archE4294967295ELNS1_3gpuE0ELNS1_3repE0EEENS1_48merge_mergepath_partition_config_static_selectorELNS0_4arch9wavefront6targetE0EEEvSF_.num_named_barrier, 0
	.set _ZN7rocprim17ROCPRIM_400000_NS6detail17trampoline_kernelINS0_14default_configENS1_38merge_sort_block_merge_config_selectorIhNS0_10empty_typeEEEZZNS1_27merge_sort_block_merge_implIS3_PhPS5_jNS1_19radix_merge_compareILb0ELb1EhNS0_19identity_decomposerEEEEE10hipError_tT0_T1_T2_jT3_P12ihipStream_tbPNSt15iterator_traitsISE_E10value_typeEPNSK_ISF_E10value_typeEPSG_NS1_7vsmem_tEENKUlT_SE_SF_SG_E_clIS8_S8_S9_S9_EESD_ST_SE_SF_SG_EUlST_E_NS1_11comp_targetILNS1_3genE0ELNS1_11target_archE4294967295ELNS1_3gpuE0ELNS1_3repE0EEENS1_48merge_mergepath_partition_config_static_selectorELNS0_4arch9wavefront6targetE0EEEvSF_.private_seg_size, 0
	.set _ZN7rocprim17ROCPRIM_400000_NS6detail17trampoline_kernelINS0_14default_configENS1_38merge_sort_block_merge_config_selectorIhNS0_10empty_typeEEEZZNS1_27merge_sort_block_merge_implIS3_PhPS5_jNS1_19radix_merge_compareILb0ELb1EhNS0_19identity_decomposerEEEEE10hipError_tT0_T1_T2_jT3_P12ihipStream_tbPNSt15iterator_traitsISE_E10value_typeEPNSK_ISF_E10value_typeEPSG_NS1_7vsmem_tEENKUlT_SE_SF_SG_E_clIS8_S8_S9_S9_EESD_ST_SE_SF_SG_EUlST_E_NS1_11comp_targetILNS1_3genE0ELNS1_11target_archE4294967295ELNS1_3gpuE0ELNS1_3repE0EEENS1_48merge_mergepath_partition_config_static_selectorELNS0_4arch9wavefront6targetE0EEEvSF_.uses_vcc, 1
	.set _ZN7rocprim17ROCPRIM_400000_NS6detail17trampoline_kernelINS0_14default_configENS1_38merge_sort_block_merge_config_selectorIhNS0_10empty_typeEEEZZNS1_27merge_sort_block_merge_implIS3_PhPS5_jNS1_19radix_merge_compareILb0ELb1EhNS0_19identity_decomposerEEEEE10hipError_tT0_T1_T2_jT3_P12ihipStream_tbPNSt15iterator_traitsISE_E10value_typeEPNSK_ISF_E10value_typeEPSG_NS1_7vsmem_tEENKUlT_SE_SF_SG_E_clIS8_S8_S9_S9_EESD_ST_SE_SF_SG_EUlST_E_NS1_11comp_targetILNS1_3genE0ELNS1_11target_archE4294967295ELNS1_3gpuE0ELNS1_3repE0EEENS1_48merge_mergepath_partition_config_static_selectorELNS0_4arch9wavefront6targetE0EEEvSF_.uses_flat_scratch, 0
	.set _ZN7rocprim17ROCPRIM_400000_NS6detail17trampoline_kernelINS0_14default_configENS1_38merge_sort_block_merge_config_selectorIhNS0_10empty_typeEEEZZNS1_27merge_sort_block_merge_implIS3_PhPS5_jNS1_19radix_merge_compareILb0ELb1EhNS0_19identity_decomposerEEEEE10hipError_tT0_T1_T2_jT3_P12ihipStream_tbPNSt15iterator_traitsISE_E10value_typeEPNSK_ISF_E10value_typeEPSG_NS1_7vsmem_tEENKUlT_SE_SF_SG_E_clIS8_S8_S9_S9_EESD_ST_SE_SF_SG_EUlST_E_NS1_11comp_targetILNS1_3genE0ELNS1_11target_archE4294967295ELNS1_3gpuE0ELNS1_3repE0EEENS1_48merge_mergepath_partition_config_static_selectorELNS0_4arch9wavefront6targetE0EEEvSF_.has_dyn_sized_stack, 0
	.set _ZN7rocprim17ROCPRIM_400000_NS6detail17trampoline_kernelINS0_14default_configENS1_38merge_sort_block_merge_config_selectorIhNS0_10empty_typeEEEZZNS1_27merge_sort_block_merge_implIS3_PhPS5_jNS1_19radix_merge_compareILb0ELb1EhNS0_19identity_decomposerEEEEE10hipError_tT0_T1_T2_jT3_P12ihipStream_tbPNSt15iterator_traitsISE_E10value_typeEPNSK_ISF_E10value_typeEPSG_NS1_7vsmem_tEENKUlT_SE_SF_SG_E_clIS8_S8_S9_S9_EESD_ST_SE_SF_SG_EUlST_E_NS1_11comp_targetILNS1_3genE0ELNS1_11target_archE4294967295ELNS1_3gpuE0ELNS1_3repE0EEENS1_48merge_mergepath_partition_config_static_selectorELNS0_4arch9wavefront6targetE0EEEvSF_.has_recursion, 0
	.set _ZN7rocprim17ROCPRIM_400000_NS6detail17trampoline_kernelINS0_14default_configENS1_38merge_sort_block_merge_config_selectorIhNS0_10empty_typeEEEZZNS1_27merge_sort_block_merge_implIS3_PhPS5_jNS1_19radix_merge_compareILb0ELb1EhNS0_19identity_decomposerEEEEE10hipError_tT0_T1_T2_jT3_P12ihipStream_tbPNSt15iterator_traitsISE_E10value_typeEPNSK_ISF_E10value_typeEPSG_NS1_7vsmem_tEENKUlT_SE_SF_SG_E_clIS8_S8_S9_S9_EESD_ST_SE_SF_SG_EUlST_E_NS1_11comp_targetILNS1_3genE0ELNS1_11target_archE4294967295ELNS1_3gpuE0ELNS1_3repE0EEENS1_48merge_mergepath_partition_config_static_selectorELNS0_4arch9wavefront6targetE0EEEvSF_.has_indirect_call, 0
	.section	.AMDGPU.csdata,"",@progbits
; Kernel info:
; codeLenInByte = 448
; TotalNumSgprs: 10
; NumVgprs: 17
; ScratchSize: 0
; MemoryBound: 0
; FloatMode: 240
; IeeeMode: 1
; LDSByteSize: 0 bytes/workgroup (compile time only)
; SGPRBlocks: 0
; VGPRBlocks: 1
; NumSGPRsForWavesPerEU: 10
; NumVGPRsForWavesPerEU: 17
; NamedBarCnt: 0
; Occupancy: 16
; WaveLimiterHint : 0
; COMPUTE_PGM_RSRC2:SCRATCH_EN: 0
; COMPUTE_PGM_RSRC2:USER_SGPR: 2
; COMPUTE_PGM_RSRC2:TRAP_HANDLER: 0
; COMPUTE_PGM_RSRC2:TGID_X_EN: 1
; COMPUTE_PGM_RSRC2:TGID_Y_EN: 0
; COMPUTE_PGM_RSRC2:TGID_Z_EN: 0
; COMPUTE_PGM_RSRC2:TIDIG_COMP_CNT: 0
	.section	.text._ZN7rocprim17ROCPRIM_400000_NS6detail17trampoline_kernelINS0_14default_configENS1_38merge_sort_block_merge_config_selectorIhNS0_10empty_typeEEEZZNS1_27merge_sort_block_merge_implIS3_PhPS5_jNS1_19radix_merge_compareILb0ELb1EhNS0_19identity_decomposerEEEEE10hipError_tT0_T1_T2_jT3_P12ihipStream_tbPNSt15iterator_traitsISE_E10value_typeEPNSK_ISF_E10value_typeEPSG_NS1_7vsmem_tEENKUlT_SE_SF_SG_E_clIS8_S8_S9_S9_EESD_ST_SE_SF_SG_EUlST_E_NS1_11comp_targetILNS1_3genE10ELNS1_11target_archE1201ELNS1_3gpuE5ELNS1_3repE0EEENS1_48merge_mergepath_partition_config_static_selectorELNS0_4arch9wavefront6targetE0EEEvSF_,"axG",@progbits,_ZN7rocprim17ROCPRIM_400000_NS6detail17trampoline_kernelINS0_14default_configENS1_38merge_sort_block_merge_config_selectorIhNS0_10empty_typeEEEZZNS1_27merge_sort_block_merge_implIS3_PhPS5_jNS1_19radix_merge_compareILb0ELb1EhNS0_19identity_decomposerEEEEE10hipError_tT0_T1_T2_jT3_P12ihipStream_tbPNSt15iterator_traitsISE_E10value_typeEPNSK_ISF_E10value_typeEPSG_NS1_7vsmem_tEENKUlT_SE_SF_SG_E_clIS8_S8_S9_S9_EESD_ST_SE_SF_SG_EUlST_E_NS1_11comp_targetILNS1_3genE10ELNS1_11target_archE1201ELNS1_3gpuE5ELNS1_3repE0EEENS1_48merge_mergepath_partition_config_static_selectorELNS0_4arch9wavefront6targetE0EEEvSF_,comdat
	.protected	_ZN7rocprim17ROCPRIM_400000_NS6detail17trampoline_kernelINS0_14default_configENS1_38merge_sort_block_merge_config_selectorIhNS0_10empty_typeEEEZZNS1_27merge_sort_block_merge_implIS3_PhPS5_jNS1_19radix_merge_compareILb0ELb1EhNS0_19identity_decomposerEEEEE10hipError_tT0_T1_T2_jT3_P12ihipStream_tbPNSt15iterator_traitsISE_E10value_typeEPNSK_ISF_E10value_typeEPSG_NS1_7vsmem_tEENKUlT_SE_SF_SG_E_clIS8_S8_S9_S9_EESD_ST_SE_SF_SG_EUlST_E_NS1_11comp_targetILNS1_3genE10ELNS1_11target_archE1201ELNS1_3gpuE5ELNS1_3repE0EEENS1_48merge_mergepath_partition_config_static_selectorELNS0_4arch9wavefront6targetE0EEEvSF_ ; -- Begin function _ZN7rocprim17ROCPRIM_400000_NS6detail17trampoline_kernelINS0_14default_configENS1_38merge_sort_block_merge_config_selectorIhNS0_10empty_typeEEEZZNS1_27merge_sort_block_merge_implIS3_PhPS5_jNS1_19radix_merge_compareILb0ELb1EhNS0_19identity_decomposerEEEEE10hipError_tT0_T1_T2_jT3_P12ihipStream_tbPNSt15iterator_traitsISE_E10value_typeEPNSK_ISF_E10value_typeEPSG_NS1_7vsmem_tEENKUlT_SE_SF_SG_E_clIS8_S8_S9_S9_EESD_ST_SE_SF_SG_EUlST_E_NS1_11comp_targetILNS1_3genE10ELNS1_11target_archE1201ELNS1_3gpuE5ELNS1_3repE0EEENS1_48merge_mergepath_partition_config_static_selectorELNS0_4arch9wavefront6targetE0EEEvSF_
	.globl	_ZN7rocprim17ROCPRIM_400000_NS6detail17trampoline_kernelINS0_14default_configENS1_38merge_sort_block_merge_config_selectorIhNS0_10empty_typeEEEZZNS1_27merge_sort_block_merge_implIS3_PhPS5_jNS1_19radix_merge_compareILb0ELb1EhNS0_19identity_decomposerEEEEE10hipError_tT0_T1_T2_jT3_P12ihipStream_tbPNSt15iterator_traitsISE_E10value_typeEPNSK_ISF_E10value_typeEPSG_NS1_7vsmem_tEENKUlT_SE_SF_SG_E_clIS8_S8_S9_S9_EESD_ST_SE_SF_SG_EUlST_E_NS1_11comp_targetILNS1_3genE10ELNS1_11target_archE1201ELNS1_3gpuE5ELNS1_3repE0EEENS1_48merge_mergepath_partition_config_static_selectorELNS0_4arch9wavefront6targetE0EEEvSF_
	.p2align	8
	.type	_ZN7rocprim17ROCPRIM_400000_NS6detail17trampoline_kernelINS0_14default_configENS1_38merge_sort_block_merge_config_selectorIhNS0_10empty_typeEEEZZNS1_27merge_sort_block_merge_implIS3_PhPS5_jNS1_19radix_merge_compareILb0ELb1EhNS0_19identity_decomposerEEEEE10hipError_tT0_T1_T2_jT3_P12ihipStream_tbPNSt15iterator_traitsISE_E10value_typeEPNSK_ISF_E10value_typeEPSG_NS1_7vsmem_tEENKUlT_SE_SF_SG_E_clIS8_S8_S9_S9_EESD_ST_SE_SF_SG_EUlST_E_NS1_11comp_targetILNS1_3genE10ELNS1_11target_archE1201ELNS1_3gpuE5ELNS1_3repE0EEENS1_48merge_mergepath_partition_config_static_selectorELNS0_4arch9wavefront6targetE0EEEvSF_,@function
_ZN7rocprim17ROCPRIM_400000_NS6detail17trampoline_kernelINS0_14default_configENS1_38merge_sort_block_merge_config_selectorIhNS0_10empty_typeEEEZZNS1_27merge_sort_block_merge_implIS3_PhPS5_jNS1_19radix_merge_compareILb0ELb1EhNS0_19identity_decomposerEEEEE10hipError_tT0_T1_T2_jT3_P12ihipStream_tbPNSt15iterator_traitsISE_E10value_typeEPNSK_ISF_E10value_typeEPSG_NS1_7vsmem_tEENKUlT_SE_SF_SG_E_clIS8_S8_S9_S9_EESD_ST_SE_SF_SG_EUlST_E_NS1_11comp_targetILNS1_3genE10ELNS1_11target_archE1201ELNS1_3gpuE5ELNS1_3repE0EEENS1_48merge_mergepath_partition_config_static_selectorELNS0_4arch9wavefront6targetE0EEEvSF_: ; @_ZN7rocprim17ROCPRIM_400000_NS6detail17trampoline_kernelINS0_14default_configENS1_38merge_sort_block_merge_config_selectorIhNS0_10empty_typeEEEZZNS1_27merge_sort_block_merge_implIS3_PhPS5_jNS1_19radix_merge_compareILb0ELb1EhNS0_19identity_decomposerEEEEE10hipError_tT0_T1_T2_jT3_P12ihipStream_tbPNSt15iterator_traitsISE_E10value_typeEPNSK_ISF_E10value_typeEPSG_NS1_7vsmem_tEENKUlT_SE_SF_SG_E_clIS8_S8_S9_S9_EESD_ST_SE_SF_SG_EUlST_E_NS1_11comp_targetILNS1_3genE10ELNS1_11target_archE1201ELNS1_3gpuE5ELNS1_3repE0EEENS1_48merge_mergepath_partition_config_static_selectorELNS0_4arch9wavefront6targetE0EEEvSF_
; %bb.0:
	.section	.rodata,"a",@progbits
	.p2align	6, 0x0
	.amdhsa_kernel _ZN7rocprim17ROCPRIM_400000_NS6detail17trampoline_kernelINS0_14default_configENS1_38merge_sort_block_merge_config_selectorIhNS0_10empty_typeEEEZZNS1_27merge_sort_block_merge_implIS3_PhPS5_jNS1_19radix_merge_compareILb0ELb1EhNS0_19identity_decomposerEEEEE10hipError_tT0_T1_T2_jT3_P12ihipStream_tbPNSt15iterator_traitsISE_E10value_typeEPNSK_ISF_E10value_typeEPSG_NS1_7vsmem_tEENKUlT_SE_SF_SG_E_clIS8_S8_S9_S9_EESD_ST_SE_SF_SG_EUlST_E_NS1_11comp_targetILNS1_3genE10ELNS1_11target_archE1201ELNS1_3gpuE5ELNS1_3repE0EEENS1_48merge_mergepath_partition_config_static_selectorELNS0_4arch9wavefront6targetE0EEEvSF_
		.amdhsa_group_segment_fixed_size 0
		.amdhsa_private_segment_fixed_size 0
		.amdhsa_kernarg_size 40
		.amdhsa_user_sgpr_count 2
		.amdhsa_user_sgpr_dispatch_ptr 0
		.amdhsa_user_sgpr_queue_ptr 0
		.amdhsa_user_sgpr_kernarg_segment_ptr 1
		.amdhsa_user_sgpr_dispatch_id 0
		.amdhsa_user_sgpr_kernarg_preload_length 0
		.amdhsa_user_sgpr_kernarg_preload_offset 0
		.amdhsa_user_sgpr_private_segment_size 0
		.amdhsa_wavefront_size32 1
		.amdhsa_uses_dynamic_stack 0
		.amdhsa_enable_private_segment 0
		.amdhsa_system_sgpr_workgroup_id_x 1
		.amdhsa_system_sgpr_workgroup_id_y 0
		.amdhsa_system_sgpr_workgroup_id_z 0
		.amdhsa_system_sgpr_workgroup_info 0
		.amdhsa_system_vgpr_workitem_id 0
		.amdhsa_next_free_vgpr 1
		.amdhsa_next_free_sgpr 1
		.amdhsa_named_barrier_count 0
		.amdhsa_reserve_vcc 0
		.amdhsa_float_round_mode_32 0
		.amdhsa_float_round_mode_16_64 0
		.amdhsa_float_denorm_mode_32 3
		.amdhsa_float_denorm_mode_16_64 3
		.amdhsa_fp16_overflow 0
		.amdhsa_memory_ordered 1
		.amdhsa_forward_progress 1
		.amdhsa_inst_pref_size 0
		.amdhsa_round_robin_scheduling 0
		.amdhsa_exception_fp_ieee_invalid_op 0
		.amdhsa_exception_fp_denorm_src 0
		.amdhsa_exception_fp_ieee_div_zero 0
		.amdhsa_exception_fp_ieee_overflow 0
		.amdhsa_exception_fp_ieee_underflow 0
		.amdhsa_exception_fp_ieee_inexact 0
		.amdhsa_exception_int_div_zero 0
	.end_amdhsa_kernel
	.section	.text._ZN7rocprim17ROCPRIM_400000_NS6detail17trampoline_kernelINS0_14default_configENS1_38merge_sort_block_merge_config_selectorIhNS0_10empty_typeEEEZZNS1_27merge_sort_block_merge_implIS3_PhPS5_jNS1_19radix_merge_compareILb0ELb1EhNS0_19identity_decomposerEEEEE10hipError_tT0_T1_T2_jT3_P12ihipStream_tbPNSt15iterator_traitsISE_E10value_typeEPNSK_ISF_E10value_typeEPSG_NS1_7vsmem_tEENKUlT_SE_SF_SG_E_clIS8_S8_S9_S9_EESD_ST_SE_SF_SG_EUlST_E_NS1_11comp_targetILNS1_3genE10ELNS1_11target_archE1201ELNS1_3gpuE5ELNS1_3repE0EEENS1_48merge_mergepath_partition_config_static_selectorELNS0_4arch9wavefront6targetE0EEEvSF_,"axG",@progbits,_ZN7rocprim17ROCPRIM_400000_NS6detail17trampoline_kernelINS0_14default_configENS1_38merge_sort_block_merge_config_selectorIhNS0_10empty_typeEEEZZNS1_27merge_sort_block_merge_implIS3_PhPS5_jNS1_19radix_merge_compareILb0ELb1EhNS0_19identity_decomposerEEEEE10hipError_tT0_T1_T2_jT3_P12ihipStream_tbPNSt15iterator_traitsISE_E10value_typeEPNSK_ISF_E10value_typeEPSG_NS1_7vsmem_tEENKUlT_SE_SF_SG_E_clIS8_S8_S9_S9_EESD_ST_SE_SF_SG_EUlST_E_NS1_11comp_targetILNS1_3genE10ELNS1_11target_archE1201ELNS1_3gpuE5ELNS1_3repE0EEENS1_48merge_mergepath_partition_config_static_selectorELNS0_4arch9wavefront6targetE0EEEvSF_,comdat
.Lfunc_end178:
	.size	_ZN7rocprim17ROCPRIM_400000_NS6detail17trampoline_kernelINS0_14default_configENS1_38merge_sort_block_merge_config_selectorIhNS0_10empty_typeEEEZZNS1_27merge_sort_block_merge_implIS3_PhPS5_jNS1_19radix_merge_compareILb0ELb1EhNS0_19identity_decomposerEEEEE10hipError_tT0_T1_T2_jT3_P12ihipStream_tbPNSt15iterator_traitsISE_E10value_typeEPNSK_ISF_E10value_typeEPSG_NS1_7vsmem_tEENKUlT_SE_SF_SG_E_clIS8_S8_S9_S9_EESD_ST_SE_SF_SG_EUlST_E_NS1_11comp_targetILNS1_3genE10ELNS1_11target_archE1201ELNS1_3gpuE5ELNS1_3repE0EEENS1_48merge_mergepath_partition_config_static_selectorELNS0_4arch9wavefront6targetE0EEEvSF_, .Lfunc_end178-_ZN7rocprim17ROCPRIM_400000_NS6detail17trampoline_kernelINS0_14default_configENS1_38merge_sort_block_merge_config_selectorIhNS0_10empty_typeEEEZZNS1_27merge_sort_block_merge_implIS3_PhPS5_jNS1_19radix_merge_compareILb0ELb1EhNS0_19identity_decomposerEEEEE10hipError_tT0_T1_T2_jT3_P12ihipStream_tbPNSt15iterator_traitsISE_E10value_typeEPNSK_ISF_E10value_typeEPSG_NS1_7vsmem_tEENKUlT_SE_SF_SG_E_clIS8_S8_S9_S9_EESD_ST_SE_SF_SG_EUlST_E_NS1_11comp_targetILNS1_3genE10ELNS1_11target_archE1201ELNS1_3gpuE5ELNS1_3repE0EEENS1_48merge_mergepath_partition_config_static_selectorELNS0_4arch9wavefront6targetE0EEEvSF_
                                        ; -- End function
	.set _ZN7rocprim17ROCPRIM_400000_NS6detail17trampoline_kernelINS0_14default_configENS1_38merge_sort_block_merge_config_selectorIhNS0_10empty_typeEEEZZNS1_27merge_sort_block_merge_implIS3_PhPS5_jNS1_19radix_merge_compareILb0ELb1EhNS0_19identity_decomposerEEEEE10hipError_tT0_T1_T2_jT3_P12ihipStream_tbPNSt15iterator_traitsISE_E10value_typeEPNSK_ISF_E10value_typeEPSG_NS1_7vsmem_tEENKUlT_SE_SF_SG_E_clIS8_S8_S9_S9_EESD_ST_SE_SF_SG_EUlST_E_NS1_11comp_targetILNS1_3genE10ELNS1_11target_archE1201ELNS1_3gpuE5ELNS1_3repE0EEENS1_48merge_mergepath_partition_config_static_selectorELNS0_4arch9wavefront6targetE0EEEvSF_.num_vgpr, 0
	.set _ZN7rocprim17ROCPRIM_400000_NS6detail17trampoline_kernelINS0_14default_configENS1_38merge_sort_block_merge_config_selectorIhNS0_10empty_typeEEEZZNS1_27merge_sort_block_merge_implIS3_PhPS5_jNS1_19radix_merge_compareILb0ELb1EhNS0_19identity_decomposerEEEEE10hipError_tT0_T1_T2_jT3_P12ihipStream_tbPNSt15iterator_traitsISE_E10value_typeEPNSK_ISF_E10value_typeEPSG_NS1_7vsmem_tEENKUlT_SE_SF_SG_E_clIS8_S8_S9_S9_EESD_ST_SE_SF_SG_EUlST_E_NS1_11comp_targetILNS1_3genE10ELNS1_11target_archE1201ELNS1_3gpuE5ELNS1_3repE0EEENS1_48merge_mergepath_partition_config_static_selectorELNS0_4arch9wavefront6targetE0EEEvSF_.num_agpr, 0
	.set _ZN7rocprim17ROCPRIM_400000_NS6detail17trampoline_kernelINS0_14default_configENS1_38merge_sort_block_merge_config_selectorIhNS0_10empty_typeEEEZZNS1_27merge_sort_block_merge_implIS3_PhPS5_jNS1_19radix_merge_compareILb0ELb1EhNS0_19identity_decomposerEEEEE10hipError_tT0_T1_T2_jT3_P12ihipStream_tbPNSt15iterator_traitsISE_E10value_typeEPNSK_ISF_E10value_typeEPSG_NS1_7vsmem_tEENKUlT_SE_SF_SG_E_clIS8_S8_S9_S9_EESD_ST_SE_SF_SG_EUlST_E_NS1_11comp_targetILNS1_3genE10ELNS1_11target_archE1201ELNS1_3gpuE5ELNS1_3repE0EEENS1_48merge_mergepath_partition_config_static_selectorELNS0_4arch9wavefront6targetE0EEEvSF_.numbered_sgpr, 0
	.set _ZN7rocprim17ROCPRIM_400000_NS6detail17trampoline_kernelINS0_14default_configENS1_38merge_sort_block_merge_config_selectorIhNS0_10empty_typeEEEZZNS1_27merge_sort_block_merge_implIS3_PhPS5_jNS1_19radix_merge_compareILb0ELb1EhNS0_19identity_decomposerEEEEE10hipError_tT0_T1_T2_jT3_P12ihipStream_tbPNSt15iterator_traitsISE_E10value_typeEPNSK_ISF_E10value_typeEPSG_NS1_7vsmem_tEENKUlT_SE_SF_SG_E_clIS8_S8_S9_S9_EESD_ST_SE_SF_SG_EUlST_E_NS1_11comp_targetILNS1_3genE10ELNS1_11target_archE1201ELNS1_3gpuE5ELNS1_3repE0EEENS1_48merge_mergepath_partition_config_static_selectorELNS0_4arch9wavefront6targetE0EEEvSF_.num_named_barrier, 0
	.set _ZN7rocprim17ROCPRIM_400000_NS6detail17trampoline_kernelINS0_14default_configENS1_38merge_sort_block_merge_config_selectorIhNS0_10empty_typeEEEZZNS1_27merge_sort_block_merge_implIS3_PhPS5_jNS1_19radix_merge_compareILb0ELb1EhNS0_19identity_decomposerEEEEE10hipError_tT0_T1_T2_jT3_P12ihipStream_tbPNSt15iterator_traitsISE_E10value_typeEPNSK_ISF_E10value_typeEPSG_NS1_7vsmem_tEENKUlT_SE_SF_SG_E_clIS8_S8_S9_S9_EESD_ST_SE_SF_SG_EUlST_E_NS1_11comp_targetILNS1_3genE10ELNS1_11target_archE1201ELNS1_3gpuE5ELNS1_3repE0EEENS1_48merge_mergepath_partition_config_static_selectorELNS0_4arch9wavefront6targetE0EEEvSF_.private_seg_size, 0
	.set _ZN7rocprim17ROCPRIM_400000_NS6detail17trampoline_kernelINS0_14default_configENS1_38merge_sort_block_merge_config_selectorIhNS0_10empty_typeEEEZZNS1_27merge_sort_block_merge_implIS3_PhPS5_jNS1_19radix_merge_compareILb0ELb1EhNS0_19identity_decomposerEEEEE10hipError_tT0_T1_T2_jT3_P12ihipStream_tbPNSt15iterator_traitsISE_E10value_typeEPNSK_ISF_E10value_typeEPSG_NS1_7vsmem_tEENKUlT_SE_SF_SG_E_clIS8_S8_S9_S9_EESD_ST_SE_SF_SG_EUlST_E_NS1_11comp_targetILNS1_3genE10ELNS1_11target_archE1201ELNS1_3gpuE5ELNS1_3repE0EEENS1_48merge_mergepath_partition_config_static_selectorELNS0_4arch9wavefront6targetE0EEEvSF_.uses_vcc, 0
	.set _ZN7rocprim17ROCPRIM_400000_NS6detail17trampoline_kernelINS0_14default_configENS1_38merge_sort_block_merge_config_selectorIhNS0_10empty_typeEEEZZNS1_27merge_sort_block_merge_implIS3_PhPS5_jNS1_19radix_merge_compareILb0ELb1EhNS0_19identity_decomposerEEEEE10hipError_tT0_T1_T2_jT3_P12ihipStream_tbPNSt15iterator_traitsISE_E10value_typeEPNSK_ISF_E10value_typeEPSG_NS1_7vsmem_tEENKUlT_SE_SF_SG_E_clIS8_S8_S9_S9_EESD_ST_SE_SF_SG_EUlST_E_NS1_11comp_targetILNS1_3genE10ELNS1_11target_archE1201ELNS1_3gpuE5ELNS1_3repE0EEENS1_48merge_mergepath_partition_config_static_selectorELNS0_4arch9wavefront6targetE0EEEvSF_.uses_flat_scratch, 0
	.set _ZN7rocprim17ROCPRIM_400000_NS6detail17trampoline_kernelINS0_14default_configENS1_38merge_sort_block_merge_config_selectorIhNS0_10empty_typeEEEZZNS1_27merge_sort_block_merge_implIS3_PhPS5_jNS1_19radix_merge_compareILb0ELb1EhNS0_19identity_decomposerEEEEE10hipError_tT0_T1_T2_jT3_P12ihipStream_tbPNSt15iterator_traitsISE_E10value_typeEPNSK_ISF_E10value_typeEPSG_NS1_7vsmem_tEENKUlT_SE_SF_SG_E_clIS8_S8_S9_S9_EESD_ST_SE_SF_SG_EUlST_E_NS1_11comp_targetILNS1_3genE10ELNS1_11target_archE1201ELNS1_3gpuE5ELNS1_3repE0EEENS1_48merge_mergepath_partition_config_static_selectorELNS0_4arch9wavefront6targetE0EEEvSF_.has_dyn_sized_stack, 0
	.set _ZN7rocprim17ROCPRIM_400000_NS6detail17trampoline_kernelINS0_14default_configENS1_38merge_sort_block_merge_config_selectorIhNS0_10empty_typeEEEZZNS1_27merge_sort_block_merge_implIS3_PhPS5_jNS1_19radix_merge_compareILb0ELb1EhNS0_19identity_decomposerEEEEE10hipError_tT0_T1_T2_jT3_P12ihipStream_tbPNSt15iterator_traitsISE_E10value_typeEPNSK_ISF_E10value_typeEPSG_NS1_7vsmem_tEENKUlT_SE_SF_SG_E_clIS8_S8_S9_S9_EESD_ST_SE_SF_SG_EUlST_E_NS1_11comp_targetILNS1_3genE10ELNS1_11target_archE1201ELNS1_3gpuE5ELNS1_3repE0EEENS1_48merge_mergepath_partition_config_static_selectorELNS0_4arch9wavefront6targetE0EEEvSF_.has_recursion, 0
	.set _ZN7rocprim17ROCPRIM_400000_NS6detail17trampoline_kernelINS0_14default_configENS1_38merge_sort_block_merge_config_selectorIhNS0_10empty_typeEEEZZNS1_27merge_sort_block_merge_implIS3_PhPS5_jNS1_19radix_merge_compareILb0ELb1EhNS0_19identity_decomposerEEEEE10hipError_tT0_T1_T2_jT3_P12ihipStream_tbPNSt15iterator_traitsISE_E10value_typeEPNSK_ISF_E10value_typeEPSG_NS1_7vsmem_tEENKUlT_SE_SF_SG_E_clIS8_S8_S9_S9_EESD_ST_SE_SF_SG_EUlST_E_NS1_11comp_targetILNS1_3genE10ELNS1_11target_archE1201ELNS1_3gpuE5ELNS1_3repE0EEENS1_48merge_mergepath_partition_config_static_selectorELNS0_4arch9wavefront6targetE0EEEvSF_.has_indirect_call, 0
	.section	.AMDGPU.csdata,"",@progbits
; Kernel info:
; codeLenInByte = 0
; TotalNumSgprs: 0
; NumVgprs: 0
; ScratchSize: 0
; MemoryBound: 0
; FloatMode: 240
; IeeeMode: 1
; LDSByteSize: 0 bytes/workgroup (compile time only)
; SGPRBlocks: 0
; VGPRBlocks: 0
; NumSGPRsForWavesPerEU: 1
; NumVGPRsForWavesPerEU: 1
; NamedBarCnt: 0
; Occupancy: 16
; WaveLimiterHint : 0
; COMPUTE_PGM_RSRC2:SCRATCH_EN: 0
; COMPUTE_PGM_RSRC2:USER_SGPR: 2
; COMPUTE_PGM_RSRC2:TRAP_HANDLER: 0
; COMPUTE_PGM_RSRC2:TGID_X_EN: 1
; COMPUTE_PGM_RSRC2:TGID_Y_EN: 0
; COMPUTE_PGM_RSRC2:TGID_Z_EN: 0
; COMPUTE_PGM_RSRC2:TIDIG_COMP_CNT: 0
	.section	.text._ZN7rocprim17ROCPRIM_400000_NS6detail17trampoline_kernelINS0_14default_configENS1_38merge_sort_block_merge_config_selectorIhNS0_10empty_typeEEEZZNS1_27merge_sort_block_merge_implIS3_PhPS5_jNS1_19radix_merge_compareILb0ELb1EhNS0_19identity_decomposerEEEEE10hipError_tT0_T1_T2_jT3_P12ihipStream_tbPNSt15iterator_traitsISE_E10value_typeEPNSK_ISF_E10value_typeEPSG_NS1_7vsmem_tEENKUlT_SE_SF_SG_E_clIS8_S8_S9_S9_EESD_ST_SE_SF_SG_EUlST_E_NS1_11comp_targetILNS1_3genE5ELNS1_11target_archE942ELNS1_3gpuE9ELNS1_3repE0EEENS1_48merge_mergepath_partition_config_static_selectorELNS0_4arch9wavefront6targetE0EEEvSF_,"axG",@progbits,_ZN7rocprim17ROCPRIM_400000_NS6detail17trampoline_kernelINS0_14default_configENS1_38merge_sort_block_merge_config_selectorIhNS0_10empty_typeEEEZZNS1_27merge_sort_block_merge_implIS3_PhPS5_jNS1_19radix_merge_compareILb0ELb1EhNS0_19identity_decomposerEEEEE10hipError_tT0_T1_T2_jT3_P12ihipStream_tbPNSt15iterator_traitsISE_E10value_typeEPNSK_ISF_E10value_typeEPSG_NS1_7vsmem_tEENKUlT_SE_SF_SG_E_clIS8_S8_S9_S9_EESD_ST_SE_SF_SG_EUlST_E_NS1_11comp_targetILNS1_3genE5ELNS1_11target_archE942ELNS1_3gpuE9ELNS1_3repE0EEENS1_48merge_mergepath_partition_config_static_selectorELNS0_4arch9wavefront6targetE0EEEvSF_,comdat
	.protected	_ZN7rocprim17ROCPRIM_400000_NS6detail17trampoline_kernelINS0_14default_configENS1_38merge_sort_block_merge_config_selectorIhNS0_10empty_typeEEEZZNS1_27merge_sort_block_merge_implIS3_PhPS5_jNS1_19radix_merge_compareILb0ELb1EhNS0_19identity_decomposerEEEEE10hipError_tT0_T1_T2_jT3_P12ihipStream_tbPNSt15iterator_traitsISE_E10value_typeEPNSK_ISF_E10value_typeEPSG_NS1_7vsmem_tEENKUlT_SE_SF_SG_E_clIS8_S8_S9_S9_EESD_ST_SE_SF_SG_EUlST_E_NS1_11comp_targetILNS1_3genE5ELNS1_11target_archE942ELNS1_3gpuE9ELNS1_3repE0EEENS1_48merge_mergepath_partition_config_static_selectorELNS0_4arch9wavefront6targetE0EEEvSF_ ; -- Begin function _ZN7rocprim17ROCPRIM_400000_NS6detail17trampoline_kernelINS0_14default_configENS1_38merge_sort_block_merge_config_selectorIhNS0_10empty_typeEEEZZNS1_27merge_sort_block_merge_implIS3_PhPS5_jNS1_19radix_merge_compareILb0ELb1EhNS0_19identity_decomposerEEEEE10hipError_tT0_T1_T2_jT3_P12ihipStream_tbPNSt15iterator_traitsISE_E10value_typeEPNSK_ISF_E10value_typeEPSG_NS1_7vsmem_tEENKUlT_SE_SF_SG_E_clIS8_S8_S9_S9_EESD_ST_SE_SF_SG_EUlST_E_NS1_11comp_targetILNS1_3genE5ELNS1_11target_archE942ELNS1_3gpuE9ELNS1_3repE0EEENS1_48merge_mergepath_partition_config_static_selectorELNS0_4arch9wavefront6targetE0EEEvSF_
	.globl	_ZN7rocprim17ROCPRIM_400000_NS6detail17trampoline_kernelINS0_14default_configENS1_38merge_sort_block_merge_config_selectorIhNS0_10empty_typeEEEZZNS1_27merge_sort_block_merge_implIS3_PhPS5_jNS1_19radix_merge_compareILb0ELb1EhNS0_19identity_decomposerEEEEE10hipError_tT0_T1_T2_jT3_P12ihipStream_tbPNSt15iterator_traitsISE_E10value_typeEPNSK_ISF_E10value_typeEPSG_NS1_7vsmem_tEENKUlT_SE_SF_SG_E_clIS8_S8_S9_S9_EESD_ST_SE_SF_SG_EUlST_E_NS1_11comp_targetILNS1_3genE5ELNS1_11target_archE942ELNS1_3gpuE9ELNS1_3repE0EEENS1_48merge_mergepath_partition_config_static_selectorELNS0_4arch9wavefront6targetE0EEEvSF_
	.p2align	8
	.type	_ZN7rocprim17ROCPRIM_400000_NS6detail17trampoline_kernelINS0_14default_configENS1_38merge_sort_block_merge_config_selectorIhNS0_10empty_typeEEEZZNS1_27merge_sort_block_merge_implIS3_PhPS5_jNS1_19radix_merge_compareILb0ELb1EhNS0_19identity_decomposerEEEEE10hipError_tT0_T1_T2_jT3_P12ihipStream_tbPNSt15iterator_traitsISE_E10value_typeEPNSK_ISF_E10value_typeEPSG_NS1_7vsmem_tEENKUlT_SE_SF_SG_E_clIS8_S8_S9_S9_EESD_ST_SE_SF_SG_EUlST_E_NS1_11comp_targetILNS1_3genE5ELNS1_11target_archE942ELNS1_3gpuE9ELNS1_3repE0EEENS1_48merge_mergepath_partition_config_static_selectorELNS0_4arch9wavefront6targetE0EEEvSF_,@function
_ZN7rocprim17ROCPRIM_400000_NS6detail17trampoline_kernelINS0_14default_configENS1_38merge_sort_block_merge_config_selectorIhNS0_10empty_typeEEEZZNS1_27merge_sort_block_merge_implIS3_PhPS5_jNS1_19radix_merge_compareILb0ELb1EhNS0_19identity_decomposerEEEEE10hipError_tT0_T1_T2_jT3_P12ihipStream_tbPNSt15iterator_traitsISE_E10value_typeEPNSK_ISF_E10value_typeEPSG_NS1_7vsmem_tEENKUlT_SE_SF_SG_E_clIS8_S8_S9_S9_EESD_ST_SE_SF_SG_EUlST_E_NS1_11comp_targetILNS1_3genE5ELNS1_11target_archE942ELNS1_3gpuE9ELNS1_3repE0EEENS1_48merge_mergepath_partition_config_static_selectorELNS0_4arch9wavefront6targetE0EEEvSF_: ; @_ZN7rocprim17ROCPRIM_400000_NS6detail17trampoline_kernelINS0_14default_configENS1_38merge_sort_block_merge_config_selectorIhNS0_10empty_typeEEEZZNS1_27merge_sort_block_merge_implIS3_PhPS5_jNS1_19radix_merge_compareILb0ELb1EhNS0_19identity_decomposerEEEEE10hipError_tT0_T1_T2_jT3_P12ihipStream_tbPNSt15iterator_traitsISE_E10value_typeEPNSK_ISF_E10value_typeEPSG_NS1_7vsmem_tEENKUlT_SE_SF_SG_E_clIS8_S8_S9_S9_EESD_ST_SE_SF_SG_EUlST_E_NS1_11comp_targetILNS1_3genE5ELNS1_11target_archE942ELNS1_3gpuE9ELNS1_3repE0EEENS1_48merge_mergepath_partition_config_static_selectorELNS0_4arch9wavefront6targetE0EEEvSF_
; %bb.0:
	.section	.rodata,"a",@progbits
	.p2align	6, 0x0
	.amdhsa_kernel _ZN7rocprim17ROCPRIM_400000_NS6detail17trampoline_kernelINS0_14default_configENS1_38merge_sort_block_merge_config_selectorIhNS0_10empty_typeEEEZZNS1_27merge_sort_block_merge_implIS3_PhPS5_jNS1_19radix_merge_compareILb0ELb1EhNS0_19identity_decomposerEEEEE10hipError_tT0_T1_T2_jT3_P12ihipStream_tbPNSt15iterator_traitsISE_E10value_typeEPNSK_ISF_E10value_typeEPSG_NS1_7vsmem_tEENKUlT_SE_SF_SG_E_clIS8_S8_S9_S9_EESD_ST_SE_SF_SG_EUlST_E_NS1_11comp_targetILNS1_3genE5ELNS1_11target_archE942ELNS1_3gpuE9ELNS1_3repE0EEENS1_48merge_mergepath_partition_config_static_selectorELNS0_4arch9wavefront6targetE0EEEvSF_
		.amdhsa_group_segment_fixed_size 0
		.amdhsa_private_segment_fixed_size 0
		.amdhsa_kernarg_size 40
		.amdhsa_user_sgpr_count 2
		.amdhsa_user_sgpr_dispatch_ptr 0
		.amdhsa_user_sgpr_queue_ptr 0
		.amdhsa_user_sgpr_kernarg_segment_ptr 1
		.amdhsa_user_sgpr_dispatch_id 0
		.amdhsa_user_sgpr_kernarg_preload_length 0
		.amdhsa_user_sgpr_kernarg_preload_offset 0
		.amdhsa_user_sgpr_private_segment_size 0
		.amdhsa_wavefront_size32 1
		.amdhsa_uses_dynamic_stack 0
		.amdhsa_enable_private_segment 0
		.amdhsa_system_sgpr_workgroup_id_x 1
		.amdhsa_system_sgpr_workgroup_id_y 0
		.amdhsa_system_sgpr_workgroup_id_z 0
		.amdhsa_system_sgpr_workgroup_info 0
		.amdhsa_system_vgpr_workitem_id 0
		.amdhsa_next_free_vgpr 1
		.amdhsa_next_free_sgpr 1
		.amdhsa_named_barrier_count 0
		.amdhsa_reserve_vcc 0
		.amdhsa_float_round_mode_32 0
		.amdhsa_float_round_mode_16_64 0
		.amdhsa_float_denorm_mode_32 3
		.amdhsa_float_denorm_mode_16_64 3
		.amdhsa_fp16_overflow 0
		.amdhsa_memory_ordered 1
		.amdhsa_forward_progress 1
		.amdhsa_inst_pref_size 0
		.amdhsa_round_robin_scheduling 0
		.amdhsa_exception_fp_ieee_invalid_op 0
		.amdhsa_exception_fp_denorm_src 0
		.amdhsa_exception_fp_ieee_div_zero 0
		.amdhsa_exception_fp_ieee_overflow 0
		.amdhsa_exception_fp_ieee_underflow 0
		.amdhsa_exception_fp_ieee_inexact 0
		.amdhsa_exception_int_div_zero 0
	.end_amdhsa_kernel
	.section	.text._ZN7rocprim17ROCPRIM_400000_NS6detail17trampoline_kernelINS0_14default_configENS1_38merge_sort_block_merge_config_selectorIhNS0_10empty_typeEEEZZNS1_27merge_sort_block_merge_implIS3_PhPS5_jNS1_19radix_merge_compareILb0ELb1EhNS0_19identity_decomposerEEEEE10hipError_tT0_T1_T2_jT3_P12ihipStream_tbPNSt15iterator_traitsISE_E10value_typeEPNSK_ISF_E10value_typeEPSG_NS1_7vsmem_tEENKUlT_SE_SF_SG_E_clIS8_S8_S9_S9_EESD_ST_SE_SF_SG_EUlST_E_NS1_11comp_targetILNS1_3genE5ELNS1_11target_archE942ELNS1_3gpuE9ELNS1_3repE0EEENS1_48merge_mergepath_partition_config_static_selectorELNS0_4arch9wavefront6targetE0EEEvSF_,"axG",@progbits,_ZN7rocprim17ROCPRIM_400000_NS6detail17trampoline_kernelINS0_14default_configENS1_38merge_sort_block_merge_config_selectorIhNS0_10empty_typeEEEZZNS1_27merge_sort_block_merge_implIS3_PhPS5_jNS1_19radix_merge_compareILb0ELb1EhNS0_19identity_decomposerEEEEE10hipError_tT0_T1_T2_jT3_P12ihipStream_tbPNSt15iterator_traitsISE_E10value_typeEPNSK_ISF_E10value_typeEPSG_NS1_7vsmem_tEENKUlT_SE_SF_SG_E_clIS8_S8_S9_S9_EESD_ST_SE_SF_SG_EUlST_E_NS1_11comp_targetILNS1_3genE5ELNS1_11target_archE942ELNS1_3gpuE9ELNS1_3repE0EEENS1_48merge_mergepath_partition_config_static_selectorELNS0_4arch9wavefront6targetE0EEEvSF_,comdat
.Lfunc_end179:
	.size	_ZN7rocprim17ROCPRIM_400000_NS6detail17trampoline_kernelINS0_14default_configENS1_38merge_sort_block_merge_config_selectorIhNS0_10empty_typeEEEZZNS1_27merge_sort_block_merge_implIS3_PhPS5_jNS1_19radix_merge_compareILb0ELb1EhNS0_19identity_decomposerEEEEE10hipError_tT0_T1_T2_jT3_P12ihipStream_tbPNSt15iterator_traitsISE_E10value_typeEPNSK_ISF_E10value_typeEPSG_NS1_7vsmem_tEENKUlT_SE_SF_SG_E_clIS8_S8_S9_S9_EESD_ST_SE_SF_SG_EUlST_E_NS1_11comp_targetILNS1_3genE5ELNS1_11target_archE942ELNS1_3gpuE9ELNS1_3repE0EEENS1_48merge_mergepath_partition_config_static_selectorELNS0_4arch9wavefront6targetE0EEEvSF_, .Lfunc_end179-_ZN7rocprim17ROCPRIM_400000_NS6detail17trampoline_kernelINS0_14default_configENS1_38merge_sort_block_merge_config_selectorIhNS0_10empty_typeEEEZZNS1_27merge_sort_block_merge_implIS3_PhPS5_jNS1_19radix_merge_compareILb0ELb1EhNS0_19identity_decomposerEEEEE10hipError_tT0_T1_T2_jT3_P12ihipStream_tbPNSt15iterator_traitsISE_E10value_typeEPNSK_ISF_E10value_typeEPSG_NS1_7vsmem_tEENKUlT_SE_SF_SG_E_clIS8_S8_S9_S9_EESD_ST_SE_SF_SG_EUlST_E_NS1_11comp_targetILNS1_3genE5ELNS1_11target_archE942ELNS1_3gpuE9ELNS1_3repE0EEENS1_48merge_mergepath_partition_config_static_selectorELNS0_4arch9wavefront6targetE0EEEvSF_
                                        ; -- End function
	.set _ZN7rocprim17ROCPRIM_400000_NS6detail17trampoline_kernelINS0_14default_configENS1_38merge_sort_block_merge_config_selectorIhNS0_10empty_typeEEEZZNS1_27merge_sort_block_merge_implIS3_PhPS5_jNS1_19radix_merge_compareILb0ELb1EhNS0_19identity_decomposerEEEEE10hipError_tT0_T1_T2_jT3_P12ihipStream_tbPNSt15iterator_traitsISE_E10value_typeEPNSK_ISF_E10value_typeEPSG_NS1_7vsmem_tEENKUlT_SE_SF_SG_E_clIS8_S8_S9_S9_EESD_ST_SE_SF_SG_EUlST_E_NS1_11comp_targetILNS1_3genE5ELNS1_11target_archE942ELNS1_3gpuE9ELNS1_3repE0EEENS1_48merge_mergepath_partition_config_static_selectorELNS0_4arch9wavefront6targetE0EEEvSF_.num_vgpr, 0
	.set _ZN7rocprim17ROCPRIM_400000_NS6detail17trampoline_kernelINS0_14default_configENS1_38merge_sort_block_merge_config_selectorIhNS0_10empty_typeEEEZZNS1_27merge_sort_block_merge_implIS3_PhPS5_jNS1_19radix_merge_compareILb0ELb1EhNS0_19identity_decomposerEEEEE10hipError_tT0_T1_T2_jT3_P12ihipStream_tbPNSt15iterator_traitsISE_E10value_typeEPNSK_ISF_E10value_typeEPSG_NS1_7vsmem_tEENKUlT_SE_SF_SG_E_clIS8_S8_S9_S9_EESD_ST_SE_SF_SG_EUlST_E_NS1_11comp_targetILNS1_3genE5ELNS1_11target_archE942ELNS1_3gpuE9ELNS1_3repE0EEENS1_48merge_mergepath_partition_config_static_selectorELNS0_4arch9wavefront6targetE0EEEvSF_.num_agpr, 0
	.set _ZN7rocprim17ROCPRIM_400000_NS6detail17trampoline_kernelINS0_14default_configENS1_38merge_sort_block_merge_config_selectorIhNS0_10empty_typeEEEZZNS1_27merge_sort_block_merge_implIS3_PhPS5_jNS1_19radix_merge_compareILb0ELb1EhNS0_19identity_decomposerEEEEE10hipError_tT0_T1_T2_jT3_P12ihipStream_tbPNSt15iterator_traitsISE_E10value_typeEPNSK_ISF_E10value_typeEPSG_NS1_7vsmem_tEENKUlT_SE_SF_SG_E_clIS8_S8_S9_S9_EESD_ST_SE_SF_SG_EUlST_E_NS1_11comp_targetILNS1_3genE5ELNS1_11target_archE942ELNS1_3gpuE9ELNS1_3repE0EEENS1_48merge_mergepath_partition_config_static_selectorELNS0_4arch9wavefront6targetE0EEEvSF_.numbered_sgpr, 0
	.set _ZN7rocprim17ROCPRIM_400000_NS6detail17trampoline_kernelINS0_14default_configENS1_38merge_sort_block_merge_config_selectorIhNS0_10empty_typeEEEZZNS1_27merge_sort_block_merge_implIS3_PhPS5_jNS1_19radix_merge_compareILb0ELb1EhNS0_19identity_decomposerEEEEE10hipError_tT0_T1_T2_jT3_P12ihipStream_tbPNSt15iterator_traitsISE_E10value_typeEPNSK_ISF_E10value_typeEPSG_NS1_7vsmem_tEENKUlT_SE_SF_SG_E_clIS8_S8_S9_S9_EESD_ST_SE_SF_SG_EUlST_E_NS1_11comp_targetILNS1_3genE5ELNS1_11target_archE942ELNS1_3gpuE9ELNS1_3repE0EEENS1_48merge_mergepath_partition_config_static_selectorELNS0_4arch9wavefront6targetE0EEEvSF_.num_named_barrier, 0
	.set _ZN7rocprim17ROCPRIM_400000_NS6detail17trampoline_kernelINS0_14default_configENS1_38merge_sort_block_merge_config_selectorIhNS0_10empty_typeEEEZZNS1_27merge_sort_block_merge_implIS3_PhPS5_jNS1_19radix_merge_compareILb0ELb1EhNS0_19identity_decomposerEEEEE10hipError_tT0_T1_T2_jT3_P12ihipStream_tbPNSt15iterator_traitsISE_E10value_typeEPNSK_ISF_E10value_typeEPSG_NS1_7vsmem_tEENKUlT_SE_SF_SG_E_clIS8_S8_S9_S9_EESD_ST_SE_SF_SG_EUlST_E_NS1_11comp_targetILNS1_3genE5ELNS1_11target_archE942ELNS1_3gpuE9ELNS1_3repE0EEENS1_48merge_mergepath_partition_config_static_selectorELNS0_4arch9wavefront6targetE0EEEvSF_.private_seg_size, 0
	.set _ZN7rocprim17ROCPRIM_400000_NS6detail17trampoline_kernelINS0_14default_configENS1_38merge_sort_block_merge_config_selectorIhNS0_10empty_typeEEEZZNS1_27merge_sort_block_merge_implIS3_PhPS5_jNS1_19radix_merge_compareILb0ELb1EhNS0_19identity_decomposerEEEEE10hipError_tT0_T1_T2_jT3_P12ihipStream_tbPNSt15iterator_traitsISE_E10value_typeEPNSK_ISF_E10value_typeEPSG_NS1_7vsmem_tEENKUlT_SE_SF_SG_E_clIS8_S8_S9_S9_EESD_ST_SE_SF_SG_EUlST_E_NS1_11comp_targetILNS1_3genE5ELNS1_11target_archE942ELNS1_3gpuE9ELNS1_3repE0EEENS1_48merge_mergepath_partition_config_static_selectorELNS0_4arch9wavefront6targetE0EEEvSF_.uses_vcc, 0
	.set _ZN7rocprim17ROCPRIM_400000_NS6detail17trampoline_kernelINS0_14default_configENS1_38merge_sort_block_merge_config_selectorIhNS0_10empty_typeEEEZZNS1_27merge_sort_block_merge_implIS3_PhPS5_jNS1_19radix_merge_compareILb0ELb1EhNS0_19identity_decomposerEEEEE10hipError_tT0_T1_T2_jT3_P12ihipStream_tbPNSt15iterator_traitsISE_E10value_typeEPNSK_ISF_E10value_typeEPSG_NS1_7vsmem_tEENKUlT_SE_SF_SG_E_clIS8_S8_S9_S9_EESD_ST_SE_SF_SG_EUlST_E_NS1_11comp_targetILNS1_3genE5ELNS1_11target_archE942ELNS1_3gpuE9ELNS1_3repE0EEENS1_48merge_mergepath_partition_config_static_selectorELNS0_4arch9wavefront6targetE0EEEvSF_.uses_flat_scratch, 0
	.set _ZN7rocprim17ROCPRIM_400000_NS6detail17trampoline_kernelINS0_14default_configENS1_38merge_sort_block_merge_config_selectorIhNS0_10empty_typeEEEZZNS1_27merge_sort_block_merge_implIS3_PhPS5_jNS1_19radix_merge_compareILb0ELb1EhNS0_19identity_decomposerEEEEE10hipError_tT0_T1_T2_jT3_P12ihipStream_tbPNSt15iterator_traitsISE_E10value_typeEPNSK_ISF_E10value_typeEPSG_NS1_7vsmem_tEENKUlT_SE_SF_SG_E_clIS8_S8_S9_S9_EESD_ST_SE_SF_SG_EUlST_E_NS1_11comp_targetILNS1_3genE5ELNS1_11target_archE942ELNS1_3gpuE9ELNS1_3repE0EEENS1_48merge_mergepath_partition_config_static_selectorELNS0_4arch9wavefront6targetE0EEEvSF_.has_dyn_sized_stack, 0
	.set _ZN7rocprim17ROCPRIM_400000_NS6detail17trampoline_kernelINS0_14default_configENS1_38merge_sort_block_merge_config_selectorIhNS0_10empty_typeEEEZZNS1_27merge_sort_block_merge_implIS3_PhPS5_jNS1_19radix_merge_compareILb0ELb1EhNS0_19identity_decomposerEEEEE10hipError_tT0_T1_T2_jT3_P12ihipStream_tbPNSt15iterator_traitsISE_E10value_typeEPNSK_ISF_E10value_typeEPSG_NS1_7vsmem_tEENKUlT_SE_SF_SG_E_clIS8_S8_S9_S9_EESD_ST_SE_SF_SG_EUlST_E_NS1_11comp_targetILNS1_3genE5ELNS1_11target_archE942ELNS1_3gpuE9ELNS1_3repE0EEENS1_48merge_mergepath_partition_config_static_selectorELNS0_4arch9wavefront6targetE0EEEvSF_.has_recursion, 0
	.set _ZN7rocprim17ROCPRIM_400000_NS6detail17trampoline_kernelINS0_14default_configENS1_38merge_sort_block_merge_config_selectorIhNS0_10empty_typeEEEZZNS1_27merge_sort_block_merge_implIS3_PhPS5_jNS1_19radix_merge_compareILb0ELb1EhNS0_19identity_decomposerEEEEE10hipError_tT0_T1_T2_jT3_P12ihipStream_tbPNSt15iterator_traitsISE_E10value_typeEPNSK_ISF_E10value_typeEPSG_NS1_7vsmem_tEENKUlT_SE_SF_SG_E_clIS8_S8_S9_S9_EESD_ST_SE_SF_SG_EUlST_E_NS1_11comp_targetILNS1_3genE5ELNS1_11target_archE942ELNS1_3gpuE9ELNS1_3repE0EEENS1_48merge_mergepath_partition_config_static_selectorELNS0_4arch9wavefront6targetE0EEEvSF_.has_indirect_call, 0
	.section	.AMDGPU.csdata,"",@progbits
; Kernel info:
; codeLenInByte = 0
; TotalNumSgprs: 0
; NumVgprs: 0
; ScratchSize: 0
; MemoryBound: 0
; FloatMode: 240
; IeeeMode: 1
; LDSByteSize: 0 bytes/workgroup (compile time only)
; SGPRBlocks: 0
; VGPRBlocks: 0
; NumSGPRsForWavesPerEU: 1
; NumVGPRsForWavesPerEU: 1
; NamedBarCnt: 0
; Occupancy: 16
; WaveLimiterHint : 0
; COMPUTE_PGM_RSRC2:SCRATCH_EN: 0
; COMPUTE_PGM_RSRC2:USER_SGPR: 2
; COMPUTE_PGM_RSRC2:TRAP_HANDLER: 0
; COMPUTE_PGM_RSRC2:TGID_X_EN: 1
; COMPUTE_PGM_RSRC2:TGID_Y_EN: 0
; COMPUTE_PGM_RSRC2:TGID_Z_EN: 0
; COMPUTE_PGM_RSRC2:TIDIG_COMP_CNT: 0
	.section	.text._ZN7rocprim17ROCPRIM_400000_NS6detail17trampoline_kernelINS0_14default_configENS1_38merge_sort_block_merge_config_selectorIhNS0_10empty_typeEEEZZNS1_27merge_sort_block_merge_implIS3_PhPS5_jNS1_19radix_merge_compareILb0ELb1EhNS0_19identity_decomposerEEEEE10hipError_tT0_T1_T2_jT3_P12ihipStream_tbPNSt15iterator_traitsISE_E10value_typeEPNSK_ISF_E10value_typeEPSG_NS1_7vsmem_tEENKUlT_SE_SF_SG_E_clIS8_S8_S9_S9_EESD_ST_SE_SF_SG_EUlST_E_NS1_11comp_targetILNS1_3genE4ELNS1_11target_archE910ELNS1_3gpuE8ELNS1_3repE0EEENS1_48merge_mergepath_partition_config_static_selectorELNS0_4arch9wavefront6targetE0EEEvSF_,"axG",@progbits,_ZN7rocprim17ROCPRIM_400000_NS6detail17trampoline_kernelINS0_14default_configENS1_38merge_sort_block_merge_config_selectorIhNS0_10empty_typeEEEZZNS1_27merge_sort_block_merge_implIS3_PhPS5_jNS1_19radix_merge_compareILb0ELb1EhNS0_19identity_decomposerEEEEE10hipError_tT0_T1_T2_jT3_P12ihipStream_tbPNSt15iterator_traitsISE_E10value_typeEPNSK_ISF_E10value_typeEPSG_NS1_7vsmem_tEENKUlT_SE_SF_SG_E_clIS8_S8_S9_S9_EESD_ST_SE_SF_SG_EUlST_E_NS1_11comp_targetILNS1_3genE4ELNS1_11target_archE910ELNS1_3gpuE8ELNS1_3repE0EEENS1_48merge_mergepath_partition_config_static_selectorELNS0_4arch9wavefront6targetE0EEEvSF_,comdat
	.protected	_ZN7rocprim17ROCPRIM_400000_NS6detail17trampoline_kernelINS0_14default_configENS1_38merge_sort_block_merge_config_selectorIhNS0_10empty_typeEEEZZNS1_27merge_sort_block_merge_implIS3_PhPS5_jNS1_19radix_merge_compareILb0ELb1EhNS0_19identity_decomposerEEEEE10hipError_tT0_T1_T2_jT3_P12ihipStream_tbPNSt15iterator_traitsISE_E10value_typeEPNSK_ISF_E10value_typeEPSG_NS1_7vsmem_tEENKUlT_SE_SF_SG_E_clIS8_S8_S9_S9_EESD_ST_SE_SF_SG_EUlST_E_NS1_11comp_targetILNS1_3genE4ELNS1_11target_archE910ELNS1_3gpuE8ELNS1_3repE0EEENS1_48merge_mergepath_partition_config_static_selectorELNS0_4arch9wavefront6targetE0EEEvSF_ ; -- Begin function _ZN7rocprim17ROCPRIM_400000_NS6detail17trampoline_kernelINS0_14default_configENS1_38merge_sort_block_merge_config_selectorIhNS0_10empty_typeEEEZZNS1_27merge_sort_block_merge_implIS3_PhPS5_jNS1_19radix_merge_compareILb0ELb1EhNS0_19identity_decomposerEEEEE10hipError_tT0_T1_T2_jT3_P12ihipStream_tbPNSt15iterator_traitsISE_E10value_typeEPNSK_ISF_E10value_typeEPSG_NS1_7vsmem_tEENKUlT_SE_SF_SG_E_clIS8_S8_S9_S9_EESD_ST_SE_SF_SG_EUlST_E_NS1_11comp_targetILNS1_3genE4ELNS1_11target_archE910ELNS1_3gpuE8ELNS1_3repE0EEENS1_48merge_mergepath_partition_config_static_selectorELNS0_4arch9wavefront6targetE0EEEvSF_
	.globl	_ZN7rocprim17ROCPRIM_400000_NS6detail17trampoline_kernelINS0_14default_configENS1_38merge_sort_block_merge_config_selectorIhNS0_10empty_typeEEEZZNS1_27merge_sort_block_merge_implIS3_PhPS5_jNS1_19radix_merge_compareILb0ELb1EhNS0_19identity_decomposerEEEEE10hipError_tT0_T1_T2_jT3_P12ihipStream_tbPNSt15iterator_traitsISE_E10value_typeEPNSK_ISF_E10value_typeEPSG_NS1_7vsmem_tEENKUlT_SE_SF_SG_E_clIS8_S8_S9_S9_EESD_ST_SE_SF_SG_EUlST_E_NS1_11comp_targetILNS1_3genE4ELNS1_11target_archE910ELNS1_3gpuE8ELNS1_3repE0EEENS1_48merge_mergepath_partition_config_static_selectorELNS0_4arch9wavefront6targetE0EEEvSF_
	.p2align	8
	.type	_ZN7rocprim17ROCPRIM_400000_NS6detail17trampoline_kernelINS0_14default_configENS1_38merge_sort_block_merge_config_selectorIhNS0_10empty_typeEEEZZNS1_27merge_sort_block_merge_implIS3_PhPS5_jNS1_19radix_merge_compareILb0ELb1EhNS0_19identity_decomposerEEEEE10hipError_tT0_T1_T2_jT3_P12ihipStream_tbPNSt15iterator_traitsISE_E10value_typeEPNSK_ISF_E10value_typeEPSG_NS1_7vsmem_tEENKUlT_SE_SF_SG_E_clIS8_S8_S9_S9_EESD_ST_SE_SF_SG_EUlST_E_NS1_11comp_targetILNS1_3genE4ELNS1_11target_archE910ELNS1_3gpuE8ELNS1_3repE0EEENS1_48merge_mergepath_partition_config_static_selectorELNS0_4arch9wavefront6targetE0EEEvSF_,@function
_ZN7rocprim17ROCPRIM_400000_NS6detail17trampoline_kernelINS0_14default_configENS1_38merge_sort_block_merge_config_selectorIhNS0_10empty_typeEEEZZNS1_27merge_sort_block_merge_implIS3_PhPS5_jNS1_19radix_merge_compareILb0ELb1EhNS0_19identity_decomposerEEEEE10hipError_tT0_T1_T2_jT3_P12ihipStream_tbPNSt15iterator_traitsISE_E10value_typeEPNSK_ISF_E10value_typeEPSG_NS1_7vsmem_tEENKUlT_SE_SF_SG_E_clIS8_S8_S9_S9_EESD_ST_SE_SF_SG_EUlST_E_NS1_11comp_targetILNS1_3genE4ELNS1_11target_archE910ELNS1_3gpuE8ELNS1_3repE0EEENS1_48merge_mergepath_partition_config_static_selectorELNS0_4arch9wavefront6targetE0EEEvSF_: ; @_ZN7rocprim17ROCPRIM_400000_NS6detail17trampoline_kernelINS0_14default_configENS1_38merge_sort_block_merge_config_selectorIhNS0_10empty_typeEEEZZNS1_27merge_sort_block_merge_implIS3_PhPS5_jNS1_19radix_merge_compareILb0ELb1EhNS0_19identity_decomposerEEEEE10hipError_tT0_T1_T2_jT3_P12ihipStream_tbPNSt15iterator_traitsISE_E10value_typeEPNSK_ISF_E10value_typeEPSG_NS1_7vsmem_tEENKUlT_SE_SF_SG_E_clIS8_S8_S9_S9_EESD_ST_SE_SF_SG_EUlST_E_NS1_11comp_targetILNS1_3genE4ELNS1_11target_archE910ELNS1_3gpuE8ELNS1_3repE0EEENS1_48merge_mergepath_partition_config_static_selectorELNS0_4arch9wavefront6targetE0EEEvSF_
; %bb.0:
	.section	.rodata,"a",@progbits
	.p2align	6, 0x0
	.amdhsa_kernel _ZN7rocprim17ROCPRIM_400000_NS6detail17trampoline_kernelINS0_14default_configENS1_38merge_sort_block_merge_config_selectorIhNS0_10empty_typeEEEZZNS1_27merge_sort_block_merge_implIS3_PhPS5_jNS1_19radix_merge_compareILb0ELb1EhNS0_19identity_decomposerEEEEE10hipError_tT0_T1_T2_jT3_P12ihipStream_tbPNSt15iterator_traitsISE_E10value_typeEPNSK_ISF_E10value_typeEPSG_NS1_7vsmem_tEENKUlT_SE_SF_SG_E_clIS8_S8_S9_S9_EESD_ST_SE_SF_SG_EUlST_E_NS1_11comp_targetILNS1_3genE4ELNS1_11target_archE910ELNS1_3gpuE8ELNS1_3repE0EEENS1_48merge_mergepath_partition_config_static_selectorELNS0_4arch9wavefront6targetE0EEEvSF_
		.amdhsa_group_segment_fixed_size 0
		.amdhsa_private_segment_fixed_size 0
		.amdhsa_kernarg_size 40
		.amdhsa_user_sgpr_count 2
		.amdhsa_user_sgpr_dispatch_ptr 0
		.amdhsa_user_sgpr_queue_ptr 0
		.amdhsa_user_sgpr_kernarg_segment_ptr 1
		.amdhsa_user_sgpr_dispatch_id 0
		.amdhsa_user_sgpr_kernarg_preload_length 0
		.amdhsa_user_sgpr_kernarg_preload_offset 0
		.amdhsa_user_sgpr_private_segment_size 0
		.amdhsa_wavefront_size32 1
		.amdhsa_uses_dynamic_stack 0
		.amdhsa_enable_private_segment 0
		.amdhsa_system_sgpr_workgroup_id_x 1
		.amdhsa_system_sgpr_workgroup_id_y 0
		.amdhsa_system_sgpr_workgroup_id_z 0
		.amdhsa_system_sgpr_workgroup_info 0
		.amdhsa_system_vgpr_workitem_id 0
		.amdhsa_next_free_vgpr 1
		.amdhsa_next_free_sgpr 1
		.amdhsa_named_barrier_count 0
		.amdhsa_reserve_vcc 0
		.amdhsa_float_round_mode_32 0
		.amdhsa_float_round_mode_16_64 0
		.amdhsa_float_denorm_mode_32 3
		.amdhsa_float_denorm_mode_16_64 3
		.amdhsa_fp16_overflow 0
		.amdhsa_memory_ordered 1
		.amdhsa_forward_progress 1
		.amdhsa_inst_pref_size 0
		.amdhsa_round_robin_scheduling 0
		.amdhsa_exception_fp_ieee_invalid_op 0
		.amdhsa_exception_fp_denorm_src 0
		.amdhsa_exception_fp_ieee_div_zero 0
		.amdhsa_exception_fp_ieee_overflow 0
		.amdhsa_exception_fp_ieee_underflow 0
		.amdhsa_exception_fp_ieee_inexact 0
		.amdhsa_exception_int_div_zero 0
	.end_amdhsa_kernel
	.section	.text._ZN7rocprim17ROCPRIM_400000_NS6detail17trampoline_kernelINS0_14default_configENS1_38merge_sort_block_merge_config_selectorIhNS0_10empty_typeEEEZZNS1_27merge_sort_block_merge_implIS3_PhPS5_jNS1_19radix_merge_compareILb0ELb1EhNS0_19identity_decomposerEEEEE10hipError_tT0_T1_T2_jT3_P12ihipStream_tbPNSt15iterator_traitsISE_E10value_typeEPNSK_ISF_E10value_typeEPSG_NS1_7vsmem_tEENKUlT_SE_SF_SG_E_clIS8_S8_S9_S9_EESD_ST_SE_SF_SG_EUlST_E_NS1_11comp_targetILNS1_3genE4ELNS1_11target_archE910ELNS1_3gpuE8ELNS1_3repE0EEENS1_48merge_mergepath_partition_config_static_selectorELNS0_4arch9wavefront6targetE0EEEvSF_,"axG",@progbits,_ZN7rocprim17ROCPRIM_400000_NS6detail17trampoline_kernelINS0_14default_configENS1_38merge_sort_block_merge_config_selectorIhNS0_10empty_typeEEEZZNS1_27merge_sort_block_merge_implIS3_PhPS5_jNS1_19radix_merge_compareILb0ELb1EhNS0_19identity_decomposerEEEEE10hipError_tT0_T1_T2_jT3_P12ihipStream_tbPNSt15iterator_traitsISE_E10value_typeEPNSK_ISF_E10value_typeEPSG_NS1_7vsmem_tEENKUlT_SE_SF_SG_E_clIS8_S8_S9_S9_EESD_ST_SE_SF_SG_EUlST_E_NS1_11comp_targetILNS1_3genE4ELNS1_11target_archE910ELNS1_3gpuE8ELNS1_3repE0EEENS1_48merge_mergepath_partition_config_static_selectorELNS0_4arch9wavefront6targetE0EEEvSF_,comdat
.Lfunc_end180:
	.size	_ZN7rocprim17ROCPRIM_400000_NS6detail17trampoline_kernelINS0_14default_configENS1_38merge_sort_block_merge_config_selectorIhNS0_10empty_typeEEEZZNS1_27merge_sort_block_merge_implIS3_PhPS5_jNS1_19radix_merge_compareILb0ELb1EhNS0_19identity_decomposerEEEEE10hipError_tT0_T1_T2_jT3_P12ihipStream_tbPNSt15iterator_traitsISE_E10value_typeEPNSK_ISF_E10value_typeEPSG_NS1_7vsmem_tEENKUlT_SE_SF_SG_E_clIS8_S8_S9_S9_EESD_ST_SE_SF_SG_EUlST_E_NS1_11comp_targetILNS1_3genE4ELNS1_11target_archE910ELNS1_3gpuE8ELNS1_3repE0EEENS1_48merge_mergepath_partition_config_static_selectorELNS0_4arch9wavefront6targetE0EEEvSF_, .Lfunc_end180-_ZN7rocprim17ROCPRIM_400000_NS6detail17trampoline_kernelINS0_14default_configENS1_38merge_sort_block_merge_config_selectorIhNS0_10empty_typeEEEZZNS1_27merge_sort_block_merge_implIS3_PhPS5_jNS1_19radix_merge_compareILb0ELb1EhNS0_19identity_decomposerEEEEE10hipError_tT0_T1_T2_jT3_P12ihipStream_tbPNSt15iterator_traitsISE_E10value_typeEPNSK_ISF_E10value_typeEPSG_NS1_7vsmem_tEENKUlT_SE_SF_SG_E_clIS8_S8_S9_S9_EESD_ST_SE_SF_SG_EUlST_E_NS1_11comp_targetILNS1_3genE4ELNS1_11target_archE910ELNS1_3gpuE8ELNS1_3repE0EEENS1_48merge_mergepath_partition_config_static_selectorELNS0_4arch9wavefront6targetE0EEEvSF_
                                        ; -- End function
	.set _ZN7rocprim17ROCPRIM_400000_NS6detail17trampoline_kernelINS0_14default_configENS1_38merge_sort_block_merge_config_selectorIhNS0_10empty_typeEEEZZNS1_27merge_sort_block_merge_implIS3_PhPS5_jNS1_19radix_merge_compareILb0ELb1EhNS0_19identity_decomposerEEEEE10hipError_tT0_T1_T2_jT3_P12ihipStream_tbPNSt15iterator_traitsISE_E10value_typeEPNSK_ISF_E10value_typeEPSG_NS1_7vsmem_tEENKUlT_SE_SF_SG_E_clIS8_S8_S9_S9_EESD_ST_SE_SF_SG_EUlST_E_NS1_11comp_targetILNS1_3genE4ELNS1_11target_archE910ELNS1_3gpuE8ELNS1_3repE0EEENS1_48merge_mergepath_partition_config_static_selectorELNS0_4arch9wavefront6targetE0EEEvSF_.num_vgpr, 0
	.set _ZN7rocprim17ROCPRIM_400000_NS6detail17trampoline_kernelINS0_14default_configENS1_38merge_sort_block_merge_config_selectorIhNS0_10empty_typeEEEZZNS1_27merge_sort_block_merge_implIS3_PhPS5_jNS1_19radix_merge_compareILb0ELb1EhNS0_19identity_decomposerEEEEE10hipError_tT0_T1_T2_jT3_P12ihipStream_tbPNSt15iterator_traitsISE_E10value_typeEPNSK_ISF_E10value_typeEPSG_NS1_7vsmem_tEENKUlT_SE_SF_SG_E_clIS8_S8_S9_S9_EESD_ST_SE_SF_SG_EUlST_E_NS1_11comp_targetILNS1_3genE4ELNS1_11target_archE910ELNS1_3gpuE8ELNS1_3repE0EEENS1_48merge_mergepath_partition_config_static_selectorELNS0_4arch9wavefront6targetE0EEEvSF_.num_agpr, 0
	.set _ZN7rocprim17ROCPRIM_400000_NS6detail17trampoline_kernelINS0_14default_configENS1_38merge_sort_block_merge_config_selectorIhNS0_10empty_typeEEEZZNS1_27merge_sort_block_merge_implIS3_PhPS5_jNS1_19radix_merge_compareILb0ELb1EhNS0_19identity_decomposerEEEEE10hipError_tT0_T1_T2_jT3_P12ihipStream_tbPNSt15iterator_traitsISE_E10value_typeEPNSK_ISF_E10value_typeEPSG_NS1_7vsmem_tEENKUlT_SE_SF_SG_E_clIS8_S8_S9_S9_EESD_ST_SE_SF_SG_EUlST_E_NS1_11comp_targetILNS1_3genE4ELNS1_11target_archE910ELNS1_3gpuE8ELNS1_3repE0EEENS1_48merge_mergepath_partition_config_static_selectorELNS0_4arch9wavefront6targetE0EEEvSF_.numbered_sgpr, 0
	.set _ZN7rocprim17ROCPRIM_400000_NS6detail17trampoline_kernelINS0_14default_configENS1_38merge_sort_block_merge_config_selectorIhNS0_10empty_typeEEEZZNS1_27merge_sort_block_merge_implIS3_PhPS5_jNS1_19radix_merge_compareILb0ELb1EhNS0_19identity_decomposerEEEEE10hipError_tT0_T1_T2_jT3_P12ihipStream_tbPNSt15iterator_traitsISE_E10value_typeEPNSK_ISF_E10value_typeEPSG_NS1_7vsmem_tEENKUlT_SE_SF_SG_E_clIS8_S8_S9_S9_EESD_ST_SE_SF_SG_EUlST_E_NS1_11comp_targetILNS1_3genE4ELNS1_11target_archE910ELNS1_3gpuE8ELNS1_3repE0EEENS1_48merge_mergepath_partition_config_static_selectorELNS0_4arch9wavefront6targetE0EEEvSF_.num_named_barrier, 0
	.set _ZN7rocprim17ROCPRIM_400000_NS6detail17trampoline_kernelINS0_14default_configENS1_38merge_sort_block_merge_config_selectorIhNS0_10empty_typeEEEZZNS1_27merge_sort_block_merge_implIS3_PhPS5_jNS1_19radix_merge_compareILb0ELb1EhNS0_19identity_decomposerEEEEE10hipError_tT0_T1_T2_jT3_P12ihipStream_tbPNSt15iterator_traitsISE_E10value_typeEPNSK_ISF_E10value_typeEPSG_NS1_7vsmem_tEENKUlT_SE_SF_SG_E_clIS8_S8_S9_S9_EESD_ST_SE_SF_SG_EUlST_E_NS1_11comp_targetILNS1_3genE4ELNS1_11target_archE910ELNS1_3gpuE8ELNS1_3repE0EEENS1_48merge_mergepath_partition_config_static_selectorELNS0_4arch9wavefront6targetE0EEEvSF_.private_seg_size, 0
	.set _ZN7rocprim17ROCPRIM_400000_NS6detail17trampoline_kernelINS0_14default_configENS1_38merge_sort_block_merge_config_selectorIhNS0_10empty_typeEEEZZNS1_27merge_sort_block_merge_implIS3_PhPS5_jNS1_19radix_merge_compareILb0ELb1EhNS0_19identity_decomposerEEEEE10hipError_tT0_T1_T2_jT3_P12ihipStream_tbPNSt15iterator_traitsISE_E10value_typeEPNSK_ISF_E10value_typeEPSG_NS1_7vsmem_tEENKUlT_SE_SF_SG_E_clIS8_S8_S9_S9_EESD_ST_SE_SF_SG_EUlST_E_NS1_11comp_targetILNS1_3genE4ELNS1_11target_archE910ELNS1_3gpuE8ELNS1_3repE0EEENS1_48merge_mergepath_partition_config_static_selectorELNS0_4arch9wavefront6targetE0EEEvSF_.uses_vcc, 0
	.set _ZN7rocprim17ROCPRIM_400000_NS6detail17trampoline_kernelINS0_14default_configENS1_38merge_sort_block_merge_config_selectorIhNS0_10empty_typeEEEZZNS1_27merge_sort_block_merge_implIS3_PhPS5_jNS1_19radix_merge_compareILb0ELb1EhNS0_19identity_decomposerEEEEE10hipError_tT0_T1_T2_jT3_P12ihipStream_tbPNSt15iterator_traitsISE_E10value_typeEPNSK_ISF_E10value_typeEPSG_NS1_7vsmem_tEENKUlT_SE_SF_SG_E_clIS8_S8_S9_S9_EESD_ST_SE_SF_SG_EUlST_E_NS1_11comp_targetILNS1_3genE4ELNS1_11target_archE910ELNS1_3gpuE8ELNS1_3repE0EEENS1_48merge_mergepath_partition_config_static_selectorELNS0_4arch9wavefront6targetE0EEEvSF_.uses_flat_scratch, 0
	.set _ZN7rocprim17ROCPRIM_400000_NS6detail17trampoline_kernelINS0_14default_configENS1_38merge_sort_block_merge_config_selectorIhNS0_10empty_typeEEEZZNS1_27merge_sort_block_merge_implIS3_PhPS5_jNS1_19radix_merge_compareILb0ELb1EhNS0_19identity_decomposerEEEEE10hipError_tT0_T1_T2_jT3_P12ihipStream_tbPNSt15iterator_traitsISE_E10value_typeEPNSK_ISF_E10value_typeEPSG_NS1_7vsmem_tEENKUlT_SE_SF_SG_E_clIS8_S8_S9_S9_EESD_ST_SE_SF_SG_EUlST_E_NS1_11comp_targetILNS1_3genE4ELNS1_11target_archE910ELNS1_3gpuE8ELNS1_3repE0EEENS1_48merge_mergepath_partition_config_static_selectorELNS0_4arch9wavefront6targetE0EEEvSF_.has_dyn_sized_stack, 0
	.set _ZN7rocprim17ROCPRIM_400000_NS6detail17trampoline_kernelINS0_14default_configENS1_38merge_sort_block_merge_config_selectorIhNS0_10empty_typeEEEZZNS1_27merge_sort_block_merge_implIS3_PhPS5_jNS1_19radix_merge_compareILb0ELb1EhNS0_19identity_decomposerEEEEE10hipError_tT0_T1_T2_jT3_P12ihipStream_tbPNSt15iterator_traitsISE_E10value_typeEPNSK_ISF_E10value_typeEPSG_NS1_7vsmem_tEENKUlT_SE_SF_SG_E_clIS8_S8_S9_S9_EESD_ST_SE_SF_SG_EUlST_E_NS1_11comp_targetILNS1_3genE4ELNS1_11target_archE910ELNS1_3gpuE8ELNS1_3repE0EEENS1_48merge_mergepath_partition_config_static_selectorELNS0_4arch9wavefront6targetE0EEEvSF_.has_recursion, 0
	.set _ZN7rocprim17ROCPRIM_400000_NS6detail17trampoline_kernelINS0_14default_configENS1_38merge_sort_block_merge_config_selectorIhNS0_10empty_typeEEEZZNS1_27merge_sort_block_merge_implIS3_PhPS5_jNS1_19radix_merge_compareILb0ELb1EhNS0_19identity_decomposerEEEEE10hipError_tT0_T1_T2_jT3_P12ihipStream_tbPNSt15iterator_traitsISE_E10value_typeEPNSK_ISF_E10value_typeEPSG_NS1_7vsmem_tEENKUlT_SE_SF_SG_E_clIS8_S8_S9_S9_EESD_ST_SE_SF_SG_EUlST_E_NS1_11comp_targetILNS1_3genE4ELNS1_11target_archE910ELNS1_3gpuE8ELNS1_3repE0EEENS1_48merge_mergepath_partition_config_static_selectorELNS0_4arch9wavefront6targetE0EEEvSF_.has_indirect_call, 0
	.section	.AMDGPU.csdata,"",@progbits
; Kernel info:
; codeLenInByte = 0
; TotalNumSgprs: 0
; NumVgprs: 0
; ScratchSize: 0
; MemoryBound: 0
; FloatMode: 240
; IeeeMode: 1
; LDSByteSize: 0 bytes/workgroup (compile time only)
; SGPRBlocks: 0
; VGPRBlocks: 0
; NumSGPRsForWavesPerEU: 1
; NumVGPRsForWavesPerEU: 1
; NamedBarCnt: 0
; Occupancy: 16
; WaveLimiterHint : 0
; COMPUTE_PGM_RSRC2:SCRATCH_EN: 0
; COMPUTE_PGM_RSRC2:USER_SGPR: 2
; COMPUTE_PGM_RSRC2:TRAP_HANDLER: 0
; COMPUTE_PGM_RSRC2:TGID_X_EN: 1
; COMPUTE_PGM_RSRC2:TGID_Y_EN: 0
; COMPUTE_PGM_RSRC2:TGID_Z_EN: 0
; COMPUTE_PGM_RSRC2:TIDIG_COMP_CNT: 0
	.section	.text._ZN7rocprim17ROCPRIM_400000_NS6detail17trampoline_kernelINS0_14default_configENS1_38merge_sort_block_merge_config_selectorIhNS0_10empty_typeEEEZZNS1_27merge_sort_block_merge_implIS3_PhPS5_jNS1_19radix_merge_compareILb0ELb1EhNS0_19identity_decomposerEEEEE10hipError_tT0_T1_T2_jT3_P12ihipStream_tbPNSt15iterator_traitsISE_E10value_typeEPNSK_ISF_E10value_typeEPSG_NS1_7vsmem_tEENKUlT_SE_SF_SG_E_clIS8_S8_S9_S9_EESD_ST_SE_SF_SG_EUlST_E_NS1_11comp_targetILNS1_3genE3ELNS1_11target_archE908ELNS1_3gpuE7ELNS1_3repE0EEENS1_48merge_mergepath_partition_config_static_selectorELNS0_4arch9wavefront6targetE0EEEvSF_,"axG",@progbits,_ZN7rocprim17ROCPRIM_400000_NS6detail17trampoline_kernelINS0_14default_configENS1_38merge_sort_block_merge_config_selectorIhNS0_10empty_typeEEEZZNS1_27merge_sort_block_merge_implIS3_PhPS5_jNS1_19radix_merge_compareILb0ELb1EhNS0_19identity_decomposerEEEEE10hipError_tT0_T1_T2_jT3_P12ihipStream_tbPNSt15iterator_traitsISE_E10value_typeEPNSK_ISF_E10value_typeEPSG_NS1_7vsmem_tEENKUlT_SE_SF_SG_E_clIS8_S8_S9_S9_EESD_ST_SE_SF_SG_EUlST_E_NS1_11comp_targetILNS1_3genE3ELNS1_11target_archE908ELNS1_3gpuE7ELNS1_3repE0EEENS1_48merge_mergepath_partition_config_static_selectorELNS0_4arch9wavefront6targetE0EEEvSF_,comdat
	.protected	_ZN7rocprim17ROCPRIM_400000_NS6detail17trampoline_kernelINS0_14default_configENS1_38merge_sort_block_merge_config_selectorIhNS0_10empty_typeEEEZZNS1_27merge_sort_block_merge_implIS3_PhPS5_jNS1_19radix_merge_compareILb0ELb1EhNS0_19identity_decomposerEEEEE10hipError_tT0_T1_T2_jT3_P12ihipStream_tbPNSt15iterator_traitsISE_E10value_typeEPNSK_ISF_E10value_typeEPSG_NS1_7vsmem_tEENKUlT_SE_SF_SG_E_clIS8_S8_S9_S9_EESD_ST_SE_SF_SG_EUlST_E_NS1_11comp_targetILNS1_3genE3ELNS1_11target_archE908ELNS1_3gpuE7ELNS1_3repE0EEENS1_48merge_mergepath_partition_config_static_selectorELNS0_4arch9wavefront6targetE0EEEvSF_ ; -- Begin function _ZN7rocprim17ROCPRIM_400000_NS6detail17trampoline_kernelINS0_14default_configENS1_38merge_sort_block_merge_config_selectorIhNS0_10empty_typeEEEZZNS1_27merge_sort_block_merge_implIS3_PhPS5_jNS1_19radix_merge_compareILb0ELb1EhNS0_19identity_decomposerEEEEE10hipError_tT0_T1_T2_jT3_P12ihipStream_tbPNSt15iterator_traitsISE_E10value_typeEPNSK_ISF_E10value_typeEPSG_NS1_7vsmem_tEENKUlT_SE_SF_SG_E_clIS8_S8_S9_S9_EESD_ST_SE_SF_SG_EUlST_E_NS1_11comp_targetILNS1_3genE3ELNS1_11target_archE908ELNS1_3gpuE7ELNS1_3repE0EEENS1_48merge_mergepath_partition_config_static_selectorELNS0_4arch9wavefront6targetE0EEEvSF_
	.globl	_ZN7rocprim17ROCPRIM_400000_NS6detail17trampoline_kernelINS0_14default_configENS1_38merge_sort_block_merge_config_selectorIhNS0_10empty_typeEEEZZNS1_27merge_sort_block_merge_implIS3_PhPS5_jNS1_19radix_merge_compareILb0ELb1EhNS0_19identity_decomposerEEEEE10hipError_tT0_T1_T2_jT3_P12ihipStream_tbPNSt15iterator_traitsISE_E10value_typeEPNSK_ISF_E10value_typeEPSG_NS1_7vsmem_tEENKUlT_SE_SF_SG_E_clIS8_S8_S9_S9_EESD_ST_SE_SF_SG_EUlST_E_NS1_11comp_targetILNS1_3genE3ELNS1_11target_archE908ELNS1_3gpuE7ELNS1_3repE0EEENS1_48merge_mergepath_partition_config_static_selectorELNS0_4arch9wavefront6targetE0EEEvSF_
	.p2align	8
	.type	_ZN7rocprim17ROCPRIM_400000_NS6detail17trampoline_kernelINS0_14default_configENS1_38merge_sort_block_merge_config_selectorIhNS0_10empty_typeEEEZZNS1_27merge_sort_block_merge_implIS3_PhPS5_jNS1_19radix_merge_compareILb0ELb1EhNS0_19identity_decomposerEEEEE10hipError_tT0_T1_T2_jT3_P12ihipStream_tbPNSt15iterator_traitsISE_E10value_typeEPNSK_ISF_E10value_typeEPSG_NS1_7vsmem_tEENKUlT_SE_SF_SG_E_clIS8_S8_S9_S9_EESD_ST_SE_SF_SG_EUlST_E_NS1_11comp_targetILNS1_3genE3ELNS1_11target_archE908ELNS1_3gpuE7ELNS1_3repE0EEENS1_48merge_mergepath_partition_config_static_selectorELNS0_4arch9wavefront6targetE0EEEvSF_,@function
_ZN7rocprim17ROCPRIM_400000_NS6detail17trampoline_kernelINS0_14default_configENS1_38merge_sort_block_merge_config_selectorIhNS0_10empty_typeEEEZZNS1_27merge_sort_block_merge_implIS3_PhPS5_jNS1_19radix_merge_compareILb0ELb1EhNS0_19identity_decomposerEEEEE10hipError_tT0_T1_T2_jT3_P12ihipStream_tbPNSt15iterator_traitsISE_E10value_typeEPNSK_ISF_E10value_typeEPSG_NS1_7vsmem_tEENKUlT_SE_SF_SG_E_clIS8_S8_S9_S9_EESD_ST_SE_SF_SG_EUlST_E_NS1_11comp_targetILNS1_3genE3ELNS1_11target_archE908ELNS1_3gpuE7ELNS1_3repE0EEENS1_48merge_mergepath_partition_config_static_selectorELNS0_4arch9wavefront6targetE0EEEvSF_: ; @_ZN7rocprim17ROCPRIM_400000_NS6detail17trampoline_kernelINS0_14default_configENS1_38merge_sort_block_merge_config_selectorIhNS0_10empty_typeEEEZZNS1_27merge_sort_block_merge_implIS3_PhPS5_jNS1_19radix_merge_compareILb0ELb1EhNS0_19identity_decomposerEEEEE10hipError_tT0_T1_T2_jT3_P12ihipStream_tbPNSt15iterator_traitsISE_E10value_typeEPNSK_ISF_E10value_typeEPSG_NS1_7vsmem_tEENKUlT_SE_SF_SG_E_clIS8_S8_S9_S9_EESD_ST_SE_SF_SG_EUlST_E_NS1_11comp_targetILNS1_3genE3ELNS1_11target_archE908ELNS1_3gpuE7ELNS1_3repE0EEENS1_48merge_mergepath_partition_config_static_selectorELNS0_4arch9wavefront6targetE0EEEvSF_
; %bb.0:
	.section	.rodata,"a",@progbits
	.p2align	6, 0x0
	.amdhsa_kernel _ZN7rocprim17ROCPRIM_400000_NS6detail17trampoline_kernelINS0_14default_configENS1_38merge_sort_block_merge_config_selectorIhNS0_10empty_typeEEEZZNS1_27merge_sort_block_merge_implIS3_PhPS5_jNS1_19radix_merge_compareILb0ELb1EhNS0_19identity_decomposerEEEEE10hipError_tT0_T1_T2_jT3_P12ihipStream_tbPNSt15iterator_traitsISE_E10value_typeEPNSK_ISF_E10value_typeEPSG_NS1_7vsmem_tEENKUlT_SE_SF_SG_E_clIS8_S8_S9_S9_EESD_ST_SE_SF_SG_EUlST_E_NS1_11comp_targetILNS1_3genE3ELNS1_11target_archE908ELNS1_3gpuE7ELNS1_3repE0EEENS1_48merge_mergepath_partition_config_static_selectorELNS0_4arch9wavefront6targetE0EEEvSF_
		.amdhsa_group_segment_fixed_size 0
		.amdhsa_private_segment_fixed_size 0
		.amdhsa_kernarg_size 40
		.amdhsa_user_sgpr_count 2
		.amdhsa_user_sgpr_dispatch_ptr 0
		.amdhsa_user_sgpr_queue_ptr 0
		.amdhsa_user_sgpr_kernarg_segment_ptr 1
		.amdhsa_user_sgpr_dispatch_id 0
		.amdhsa_user_sgpr_kernarg_preload_length 0
		.amdhsa_user_sgpr_kernarg_preload_offset 0
		.amdhsa_user_sgpr_private_segment_size 0
		.amdhsa_wavefront_size32 1
		.amdhsa_uses_dynamic_stack 0
		.amdhsa_enable_private_segment 0
		.amdhsa_system_sgpr_workgroup_id_x 1
		.amdhsa_system_sgpr_workgroup_id_y 0
		.amdhsa_system_sgpr_workgroup_id_z 0
		.amdhsa_system_sgpr_workgroup_info 0
		.amdhsa_system_vgpr_workitem_id 0
		.amdhsa_next_free_vgpr 1
		.amdhsa_next_free_sgpr 1
		.amdhsa_named_barrier_count 0
		.amdhsa_reserve_vcc 0
		.amdhsa_float_round_mode_32 0
		.amdhsa_float_round_mode_16_64 0
		.amdhsa_float_denorm_mode_32 3
		.amdhsa_float_denorm_mode_16_64 3
		.amdhsa_fp16_overflow 0
		.amdhsa_memory_ordered 1
		.amdhsa_forward_progress 1
		.amdhsa_inst_pref_size 0
		.amdhsa_round_robin_scheduling 0
		.amdhsa_exception_fp_ieee_invalid_op 0
		.amdhsa_exception_fp_denorm_src 0
		.amdhsa_exception_fp_ieee_div_zero 0
		.amdhsa_exception_fp_ieee_overflow 0
		.amdhsa_exception_fp_ieee_underflow 0
		.amdhsa_exception_fp_ieee_inexact 0
		.amdhsa_exception_int_div_zero 0
	.end_amdhsa_kernel
	.section	.text._ZN7rocprim17ROCPRIM_400000_NS6detail17trampoline_kernelINS0_14default_configENS1_38merge_sort_block_merge_config_selectorIhNS0_10empty_typeEEEZZNS1_27merge_sort_block_merge_implIS3_PhPS5_jNS1_19radix_merge_compareILb0ELb1EhNS0_19identity_decomposerEEEEE10hipError_tT0_T1_T2_jT3_P12ihipStream_tbPNSt15iterator_traitsISE_E10value_typeEPNSK_ISF_E10value_typeEPSG_NS1_7vsmem_tEENKUlT_SE_SF_SG_E_clIS8_S8_S9_S9_EESD_ST_SE_SF_SG_EUlST_E_NS1_11comp_targetILNS1_3genE3ELNS1_11target_archE908ELNS1_3gpuE7ELNS1_3repE0EEENS1_48merge_mergepath_partition_config_static_selectorELNS0_4arch9wavefront6targetE0EEEvSF_,"axG",@progbits,_ZN7rocprim17ROCPRIM_400000_NS6detail17trampoline_kernelINS0_14default_configENS1_38merge_sort_block_merge_config_selectorIhNS0_10empty_typeEEEZZNS1_27merge_sort_block_merge_implIS3_PhPS5_jNS1_19radix_merge_compareILb0ELb1EhNS0_19identity_decomposerEEEEE10hipError_tT0_T1_T2_jT3_P12ihipStream_tbPNSt15iterator_traitsISE_E10value_typeEPNSK_ISF_E10value_typeEPSG_NS1_7vsmem_tEENKUlT_SE_SF_SG_E_clIS8_S8_S9_S9_EESD_ST_SE_SF_SG_EUlST_E_NS1_11comp_targetILNS1_3genE3ELNS1_11target_archE908ELNS1_3gpuE7ELNS1_3repE0EEENS1_48merge_mergepath_partition_config_static_selectorELNS0_4arch9wavefront6targetE0EEEvSF_,comdat
.Lfunc_end181:
	.size	_ZN7rocprim17ROCPRIM_400000_NS6detail17trampoline_kernelINS0_14default_configENS1_38merge_sort_block_merge_config_selectorIhNS0_10empty_typeEEEZZNS1_27merge_sort_block_merge_implIS3_PhPS5_jNS1_19radix_merge_compareILb0ELb1EhNS0_19identity_decomposerEEEEE10hipError_tT0_T1_T2_jT3_P12ihipStream_tbPNSt15iterator_traitsISE_E10value_typeEPNSK_ISF_E10value_typeEPSG_NS1_7vsmem_tEENKUlT_SE_SF_SG_E_clIS8_S8_S9_S9_EESD_ST_SE_SF_SG_EUlST_E_NS1_11comp_targetILNS1_3genE3ELNS1_11target_archE908ELNS1_3gpuE7ELNS1_3repE0EEENS1_48merge_mergepath_partition_config_static_selectorELNS0_4arch9wavefront6targetE0EEEvSF_, .Lfunc_end181-_ZN7rocprim17ROCPRIM_400000_NS6detail17trampoline_kernelINS0_14default_configENS1_38merge_sort_block_merge_config_selectorIhNS0_10empty_typeEEEZZNS1_27merge_sort_block_merge_implIS3_PhPS5_jNS1_19radix_merge_compareILb0ELb1EhNS0_19identity_decomposerEEEEE10hipError_tT0_T1_T2_jT3_P12ihipStream_tbPNSt15iterator_traitsISE_E10value_typeEPNSK_ISF_E10value_typeEPSG_NS1_7vsmem_tEENKUlT_SE_SF_SG_E_clIS8_S8_S9_S9_EESD_ST_SE_SF_SG_EUlST_E_NS1_11comp_targetILNS1_3genE3ELNS1_11target_archE908ELNS1_3gpuE7ELNS1_3repE0EEENS1_48merge_mergepath_partition_config_static_selectorELNS0_4arch9wavefront6targetE0EEEvSF_
                                        ; -- End function
	.set _ZN7rocprim17ROCPRIM_400000_NS6detail17trampoline_kernelINS0_14default_configENS1_38merge_sort_block_merge_config_selectorIhNS0_10empty_typeEEEZZNS1_27merge_sort_block_merge_implIS3_PhPS5_jNS1_19radix_merge_compareILb0ELb1EhNS0_19identity_decomposerEEEEE10hipError_tT0_T1_T2_jT3_P12ihipStream_tbPNSt15iterator_traitsISE_E10value_typeEPNSK_ISF_E10value_typeEPSG_NS1_7vsmem_tEENKUlT_SE_SF_SG_E_clIS8_S8_S9_S9_EESD_ST_SE_SF_SG_EUlST_E_NS1_11comp_targetILNS1_3genE3ELNS1_11target_archE908ELNS1_3gpuE7ELNS1_3repE0EEENS1_48merge_mergepath_partition_config_static_selectorELNS0_4arch9wavefront6targetE0EEEvSF_.num_vgpr, 0
	.set _ZN7rocprim17ROCPRIM_400000_NS6detail17trampoline_kernelINS0_14default_configENS1_38merge_sort_block_merge_config_selectorIhNS0_10empty_typeEEEZZNS1_27merge_sort_block_merge_implIS3_PhPS5_jNS1_19radix_merge_compareILb0ELb1EhNS0_19identity_decomposerEEEEE10hipError_tT0_T1_T2_jT3_P12ihipStream_tbPNSt15iterator_traitsISE_E10value_typeEPNSK_ISF_E10value_typeEPSG_NS1_7vsmem_tEENKUlT_SE_SF_SG_E_clIS8_S8_S9_S9_EESD_ST_SE_SF_SG_EUlST_E_NS1_11comp_targetILNS1_3genE3ELNS1_11target_archE908ELNS1_3gpuE7ELNS1_3repE0EEENS1_48merge_mergepath_partition_config_static_selectorELNS0_4arch9wavefront6targetE0EEEvSF_.num_agpr, 0
	.set _ZN7rocprim17ROCPRIM_400000_NS6detail17trampoline_kernelINS0_14default_configENS1_38merge_sort_block_merge_config_selectorIhNS0_10empty_typeEEEZZNS1_27merge_sort_block_merge_implIS3_PhPS5_jNS1_19radix_merge_compareILb0ELb1EhNS0_19identity_decomposerEEEEE10hipError_tT0_T1_T2_jT3_P12ihipStream_tbPNSt15iterator_traitsISE_E10value_typeEPNSK_ISF_E10value_typeEPSG_NS1_7vsmem_tEENKUlT_SE_SF_SG_E_clIS8_S8_S9_S9_EESD_ST_SE_SF_SG_EUlST_E_NS1_11comp_targetILNS1_3genE3ELNS1_11target_archE908ELNS1_3gpuE7ELNS1_3repE0EEENS1_48merge_mergepath_partition_config_static_selectorELNS0_4arch9wavefront6targetE0EEEvSF_.numbered_sgpr, 0
	.set _ZN7rocprim17ROCPRIM_400000_NS6detail17trampoline_kernelINS0_14default_configENS1_38merge_sort_block_merge_config_selectorIhNS0_10empty_typeEEEZZNS1_27merge_sort_block_merge_implIS3_PhPS5_jNS1_19radix_merge_compareILb0ELb1EhNS0_19identity_decomposerEEEEE10hipError_tT0_T1_T2_jT3_P12ihipStream_tbPNSt15iterator_traitsISE_E10value_typeEPNSK_ISF_E10value_typeEPSG_NS1_7vsmem_tEENKUlT_SE_SF_SG_E_clIS8_S8_S9_S9_EESD_ST_SE_SF_SG_EUlST_E_NS1_11comp_targetILNS1_3genE3ELNS1_11target_archE908ELNS1_3gpuE7ELNS1_3repE0EEENS1_48merge_mergepath_partition_config_static_selectorELNS0_4arch9wavefront6targetE0EEEvSF_.num_named_barrier, 0
	.set _ZN7rocprim17ROCPRIM_400000_NS6detail17trampoline_kernelINS0_14default_configENS1_38merge_sort_block_merge_config_selectorIhNS0_10empty_typeEEEZZNS1_27merge_sort_block_merge_implIS3_PhPS5_jNS1_19radix_merge_compareILb0ELb1EhNS0_19identity_decomposerEEEEE10hipError_tT0_T1_T2_jT3_P12ihipStream_tbPNSt15iterator_traitsISE_E10value_typeEPNSK_ISF_E10value_typeEPSG_NS1_7vsmem_tEENKUlT_SE_SF_SG_E_clIS8_S8_S9_S9_EESD_ST_SE_SF_SG_EUlST_E_NS1_11comp_targetILNS1_3genE3ELNS1_11target_archE908ELNS1_3gpuE7ELNS1_3repE0EEENS1_48merge_mergepath_partition_config_static_selectorELNS0_4arch9wavefront6targetE0EEEvSF_.private_seg_size, 0
	.set _ZN7rocprim17ROCPRIM_400000_NS6detail17trampoline_kernelINS0_14default_configENS1_38merge_sort_block_merge_config_selectorIhNS0_10empty_typeEEEZZNS1_27merge_sort_block_merge_implIS3_PhPS5_jNS1_19radix_merge_compareILb0ELb1EhNS0_19identity_decomposerEEEEE10hipError_tT0_T1_T2_jT3_P12ihipStream_tbPNSt15iterator_traitsISE_E10value_typeEPNSK_ISF_E10value_typeEPSG_NS1_7vsmem_tEENKUlT_SE_SF_SG_E_clIS8_S8_S9_S9_EESD_ST_SE_SF_SG_EUlST_E_NS1_11comp_targetILNS1_3genE3ELNS1_11target_archE908ELNS1_3gpuE7ELNS1_3repE0EEENS1_48merge_mergepath_partition_config_static_selectorELNS0_4arch9wavefront6targetE0EEEvSF_.uses_vcc, 0
	.set _ZN7rocprim17ROCPRIM_400000_NS6detail17trampoline_kernelINS0_14default_configENS1_38merge_sort_block_merge_config_selectorIhNS0_10empty_typeEEEZZNS1_27merge_sort_block_merge_implIS3_PhPS5_jNS1_19radix_merge_compareILb0ELb1EhNS0_19identity_decomposerEEEEE10hipError_tT0_T1_T2_jT3_P12ihipStream_tbPNSt15iterator_traitsISE_E10value_typeEPNSK_ISF_E10value_typeEPSG_NS1_7vsmem_tEENKUlT_SE_SF_SG_E_clIS8_S8_S9_S9_EESD_ST_SE_SF_SG_EUlST_E_NS1_11comp_targetILNS1_3genE3ELNS1_11target_archE908ELNS1_3gpuE7ELNS1_3repE0EEENS1_48merge_mergepath_partition_config_static_selectorELNS0_4arch9wavefront6targetE0EEEvSF_.uses_flat_scratch, 0
	.set _ZN7rocprim17ROCPRIM_400000_NS6detail17trampoline_kernelINS0_14default_configENS1_38merge_sort_block_merge_config_selectorIhNS0_10empty_typeEEEZZNS1_27merge_sort_block_merge_implIS3_PhPS5_jNS1_19radix_merge_compareILb0ELb1EhNS0_19identity_decomposerEEEEE10hipError_tT0_T1_T2_jT3_P12ihipStream_tbPNSt15iterator_traitsISE_E10value_typeEPNSK_ISF_E10value_typeEPSG_NS1_7vsmem_tEENKUlT_SE_SF_SG_E_clIS8_S8_S9_S9_EESD_ST_SE_SF_SG_EUlST_E_NS1_11comp_targetILNS1_3genE3ELNS1_11target_archE908ELNS1_3gpuE7ELNS1_3repE0EEENS1_48merge_mergepath_partition_config_static_selectorELNS0_4arch9wavefront6targetE0EEEvSF_.has_dyn_sized_stack, 0
	.set _ZN7rocprim17ROCPRIM_400000_NS6detail17trampoline_kernelINS0_14default_configENS1_38merge_sort_block_merge_config_selectorIhNS0_10empty_typeEEEZZNS1_27merge_sort_block_merge_implIS3_PhPS5_jNS1_19radix_merge_compareILb0ELb1EhNS0_19identity_decomposerEEEEE10hipError_tT0_T1_T2_jT3_P12ihipStream_tbPNSt15iterator_traitsISE_E10value_typeEPNSK_ISF_E10value_typeEPSG_NS1_7vsmem_tEENKUlT_SE_SF_SG_E_clIS8_S8_S9_S9_EESD_ST_SE_SF_SG_EUlST_E_NS1_11comp_targetILNS1_3genE3ELNS1_11target_archE908ELNS1_3gpuE7ELNS1_3repE0EEENS1_48merge_mergepath_partition_config_static_selectorELNS0_4arch9wavefront6targetE0EEEvSF_.has_recursion, 0
	.set _ZN7rocprim17ROCPRIM_400000_NS6detail17trampoline_kernelINS0_14default_configENS1_38merge_sort_block_merge_config_selectorIhNS0_10empty_typeEEEZZNS1_27merge_sort_block_merge_implIS3_PhPS5_jNS1_19radix_merge_compareILb0ELb1EhNS0_19identity_decomposerEEEEE10hipError_tT0_T1_T2_jT3_P12ihipStream_tbPNSt15iterator_traitsISE_E10value_typeEPNSK_ISF_E10value_typeEPSG_NS1_7vsmem_tEENKUlT_SE_SF_SG_E_clIS8_S8_S9_S9_EESD_ST_SE_SF_SG_EUlST_E_NS1_11comp_targetILNS1_3genE3ELNS1_11target_archE908ELNS1_3gpuE7ELNS1_3repE0EEENS1_48merge_mergepath_partition_config_static_selectorELNS0_4arch9wavefront6targetE0EEEvSF_.has_indirect_call, 0
	.section	.AMDGPU.csdata,"",@progbits
; Kernel info:
; codeLenInByte = 0
; TotalNumSgprs: 0
; NumVgprs: 0
; ScratchSize: 0
; MemoryBound: 0
; FloatMode: 240
; IeeeMode: 1
; LDSByteSize: 0 bytes/workgroup (compile time only)
; SGPRBlocks: 0
; VGPRBlocks: 0
; NumSGPRsForWavesPerEU: 1
; NumVGPRsForWavesPerEU: 1
; NamedBarCnt: 0
; Occupancy: 16
; WaveLimiterHint : 0
; COMPUTE_PGM_RSRC2:SCRATCH_EN: 0
; COMPUTE_PGM_RSRC2:USER_SGPR: 2
; COMPUTE_PGM_RSRC2:TRAP_HANDLER: 0
; COMPUTE_PGM_RSRC2:TGID_X_EN: 1
; COMPUTE_PGM_RSRC2:TGID_Y_EN: 0
; COMPUTE_PGM_RSRC2:TGID_Z_EN: 0
; COMPUTE_PGM_RSRC2:TIDIG_COMP_CNT: 0
	.section	.text._ZN7rocprim17ROCPRIM_400000_NS6detail17trampoline_kernelINS0_14default_configENS1_38merge_sort_block_merge_config_selectorIhNS0_10empty_typeEEEZZNS1_27merge_sort_block_merge_implIS3_PhPS5_jNS1_19radix_merge_compareILb0ELb1EhNS0_19identity_decomposerEEEEE10hipError_tT0_T1_T2_jT3_P12ihipStream_tbPNSt15iterator_traitsISE_E10value_typeEPNSK_ISF_E10value_typeEPSG_NS1_7vsmem_tEENKUlT_SE_SF_SG_E_clIS8_S8_S9_S9_EESD_ST_SE_SF_SG_EUlST_E_NS1_11comp_targetILNS1_3genE2ELNS1_11target_archE906ELNS1_3gpuE6ELNS1_3repE0EEENS1_48merge_mergepath_partition_config_static_selectorELNS0_4arch9wavefront6targetE0EEEvSF_,"axG",@progbits,_ZN7rocprim17ROCPRIM_400000_NS6detail17trampoline_kernelINS0_14default_configENS1_38merge_sort_block_merge_config_selectorIhNS0_10empty_typeEEEZZNS1_27merge_sort_block_merge_implIS3_PhPS5_jNS1_19radix_merge_compareILb0ELb1EhNS0_19identity_decomposerEEEEE10hipError_tT0_T1_T2_jT3_P12ihipStream_tbPNSt15iterator_traitsISE_E10value_typeEPNSK_ISF_E10value_typeEPSG_NS1_7vsmem_tEENKUlT_SE_SF_SG_E_clIS8_S8_S9_S9_EESD_ST_SE_SF_SG_EUlST_E_NS1_11comp_targetILNS1_3genE2ELNS1_11target_archE906ELNS1_3gpuE6ELNS1_3repE0EEENS1_48merge_mergepath_partition_config_static_selectorELNS0_4arch9wavefront6targetE0EEEvSF_,comdat
	.protected	_ZN7rocprim17ROCPRIM_400000_NS6detail17trampoline_kernelINS0_14default_configENS1_38merge_sort_block_merge_config_selectorIhNS0_10empty_typeEEEZZNS1_27merge_sort_block_merge_implIS3_PhPS5_jNS1_19radix_merge_compareILb0ELb1EhNS0_19identity_decomposerEEEEE10hipError_tT0_T1_T2_jT3_P12ihipStream_tbPNSt15iterator_traitsISE_E10value_typeEPNSK_ISF_E10value_typeEPSG_NS1_7vsmem_tEENKUlT_SE_SF_SG_E_clIS8_S8_S9_S9_EESD_ST_SE_SF_SG_EUlST_E_NS1_11comp_targetILNS1_3genE2ELNS1_11target_archE906ELNS1_3gpuE6ELNS1_3repE0EEENS1_48merge_mergepath_partition_config_static_selectorELNS0_4arch9wavefront6targetE0EEEvSF_ ; -- Begin function _ZN7rocprim17ROCPRIM_400000_NS6detail17trampoline_kernelINS0_14default_configENS1_38merge_sort_block_merge_config_selectorIhNS0_10empty_typeEEEZZNS1_27merge_sort_block_merge_implIS3_PhPS5_jNS1_19radix_merge_compareILb0ELb1EhNS0_19identity_decomposerEEEEE10hipError_tT0_T1_T2_jT3_P12ihipStream_tbPNSt15iterator_traitsISE_E10value_typeEPNSK_ISF_E10value_typeEPSG_NS1_7vsmem_tEENKUlT_SE_SF_SG_E_clIS8_S8_S9_S9_EESD_ST_SE_SF_SG_EUlST_E_NS1_11comp_targetILNS1_3genE2ELNS1_11target_archE906ELNS1_3gpuE6ELNS1_3repE0EEENS1_48merge_mergepath_partition_config_static_selectorELNS0_4arch9wavefront6targetE0EEEvSF_
	.globl	_ZN7rocprim17ROCPRIM_400000_NS6detail17trampoline_kernelINS0_14default_configENS1_38merge_sort_block_merge_config_selectorIhNS0_10empty_typeEEEZZNS1_27merge_sort_block_merge_implIS3_PhPS5_jNS1_19radix_merge_compareILb0ELb1EhNS0_19identity_decomposerEEEEE10hipError_tT0_T1_T2_jT3_P12ihipStream_tbPNSt15iterator_traitsISE_E10value_typeEPNSK_ISF_E10value_typeEPSG_NS1_7vsmem_tEENKUlT_SE_SF_SG_E_clIS8_S8_S9_S9_EESD_ST_SE_SF_SG_EUlST_E_NS1_11comp_targetILNS1_3genE2ELNS1_11target_archE906ELNS1_3gpuE6ELNS1_3repE0EEENS1_48merge_mergepath_partition_config_static_selectorELNS0_4arch9wavefront6targetE0EEEvSF_
	.p2align	8
	.type	_ZN7rocprim17ROCPRIM_400000_NS6detail17trampoline_kernelINS0_14default_configENS1_38merge_sort_block_merge_config_selectorIhNS0_10empty_typeEEEZZNS1_27merge_sort_block_merge_implIS3_PhPS5_jNS1_19radix_merge_compareILb0ELb1EhNS0_19identity_decomposerEEEEE10hipError_tT0_T1_T2_jT3_P12ihipStream_tbPNSt15iterator_traitsISE_E10value_typeEPNSK_ISF_E10value_typeEPSG_NS1_7vsmem_tEENKUlT_SE_SF_SG_E_clIS8_S8_S9_S9_EESD_ST_SE_SF_SG_EUlST_E_NS1_11comp_targetILNS1_3genE2ELNS1_11target_archE906ELNS1_3gpuE6ELNS1_3repE0EEENS1_48merge_mergepath_partition_config_static_selectorELNS0_4arch9wavefront6targetE0EEEvSF_,@function
_ZN7rocprim17ROCPRIM_400000_NS6detail17trampoline_kernelINS0_14default_configENS1_38merge_sort_block_merge_config_selectorIhNS0_10empty_typeEEEZZNS1_27merge_sort_block_merge_implIS3_PhPS5_jNS1_19radix_merge_compareILb0ELb1EhNS0_19identity_decomposerEEEEE10hipError_tT0_T1_T2_jT3_P12ihipStream_tbPNSt15iterator_traitsISE_E10value_typeEPNSK_ISF_E10value_typeEPSG_NS1_7vsmem_tEENKUlT_SE_SF_SG_E_clIS8_S8_S9_S9_EESD_ST_SE_SF_SG_EUlST_E_NS1_11comp_targetILNS1_3genE2ELNS1_11target_archE906ELNS1_3gpuE6ELNS1_3repE0EEENS1_48merge_mergepath_partition_config_static_selectorELNS0_4arch9wavefront6targetE0EEEvSF_: ; @_ZN7rocprim17ROCPRIM_400000_NS6detail17trampoline_kernelINS0_14default_configENS1_38merge_sort_block_merge_config_selectorIhNS0_10empty_typeEEEZZNS1_27merge_sort_block_merge_implIS3_PhPS5_jNS1_19radix_merge_compareILb0ELb1EhNS0_19identity_decomposerEEEEE10hipError_tT0_T1_T2_jT3_P12ihipStream_tbPNSt15iterator_traitsISE_E10value_typeEPNSK_ISF_E10value_typeEPSG_NS1_7vsmem_tEENKUlT_SE_SF_SG_E_clIS8_S8_S9_S9_EESD_ST_SE_SF_SG_EUlST_E_NS1_11comp_targetILNS1_3genE2ELNS1_11target_archE906ELNS1_3gpuE6ELNS1_3repE0EEENS1_48merge_mergepath_partition_config_static_selectorELNS0_4arch9wavefront6targetE0EEEvSF_
; %bb.0:
	.section	.rodata,"a",@progbits
	.p2align	6, 0x0
	.amdhsa_kernel _ZN7rocprim17ROCPRIM_400000_NS6detail17trampoline_kernelINS0_14default_configENS1_38merge_sort_block_merge_config_selectorIhNS0_10empty_typeEEEZZNS1_27merge_sort_block_merge_implIS3_PhPS5_jNS1_19radix_merge_compareILb0ELb1EhNS0_19identity_decomposerEEEEE10hipError_tT0_T1_T2_jT3_P12ihipStream_tbPNSt15iterator_traitsISE_E10value_typeEPNSK_ISF_E10value_typeEPSG_NS1_7vsmem_tEENKUlT_SE_SF_SG_E_clIS8_S8_S9_S9_EESD_ST_SE_SF_SG_EUlST_E_NS1_11comp_targetILNS1_3genE2ELNS1_11target_archE906ELNS1_3gpuE6ELNS1_3repE0EEENS1_48merge_mergepath_partition_config_static_selectorELNS0_4arch9wavefront6targetE0EEEvSF_
		.amdhsa_group_segment_fixed_size 0
		.amdhsa_private_segment_fixed_size 0
		.amdhsa_kernarg_size 40
		.amdhsa_user_sgpr_count 2
		.amdhsa_user_sgpr_dispatch_ptr 0
		.amdhsa_user_sgpr_queue_ptr 0
		.amdhsa_user_sgpr_kernarg_segment_ptr 1
		.amdhsa_user_sgpr_dispatch_id 0
		.amdhsa_user_sgpr_kernarg_preload_length 0
		.amdhsa_user_sgpr_kernarg_preload_offset 0
		.amdhsa_user_sgpr_private_segment_size 0
		.amdhsa_wavefront_size32 1
		.amdhsa_uses_dynamic_stack 0
		.amdhsa_enable_private_segment 0
		.amdhsa_system_sgpr_workgroup_id_x 1
		.amdhsa_system_sgpr_workgroup_id_y 0
		.amdhsa_system_sgpr_workgroup_id_z 0
		.amdhsa_system_sgpr_workgroup_info 0
		.amdhsa_system_vgpr_workitem_id 0
		.amdhsa_next_free_vgpr 1
		.amdhsa_next_free_sgpr 1
		.amdhsa_named_barrier_count 0
		.amdhsa_reserve_vcc 0
		.amdhsa_float_round_mode_32 0
		.amdhsa_float_round_mode_16_64 0
		.amdhsa_float_denorm_mode_32 3
		.amdhsa_float_denorm_mode_16_64 3
		.amdhsa_fp16_overflow 0
		.amdhsa_memory_ordered 1
		.amdhsa_forward_progress 1
		.amdhsa_inst_pref_size 0
		.amdhsa_round_robin_scheduling 0
		.amdhsa_exception_fp_ieee_invalid_op 0
		.amdhsa_exception_fp_denorm_src 0
		.amdhsa_exception_fp_ieee_div_zero 0
		.amdhsa_exception_fp_ieee_overflow 0
		.amdhsa_exception_fp_ieee_underflow 0
		.amdhsa_exception_fp_ieee_inexact 0
		.amdhsa_exception_int_div_zero 0
	.end_amdhsa_kernel
	.section	.text._ZN7rocprim17ROCPRIM_400000_NS6detail17trampoline_kernelINS0_14default_configENS1_38merge_sort_block_merge_config_selectorIhNS0_10empty_typeEEEZZNS1_27merge_sort_block_merge_implIS3_PhPS5_jNS1_19radix_merge_compareILb0ELb1EhNS0_19identity_decomposerEEEEE10hipError_tT0_T1_T2_jT3_P12ihipStream_tbPNSt15iterator_traitsISE_E10value_typeEPNSK_ISF_E10value_typeEPSG_NS1_7vsmem_tEENKUlT_SE_SF_SG_E_clIS8_S8_S9_S9_EESD_ST_SE_SF_SG_EUlST_E_NS1_11comp_targetILNS1_3genE2ELNS1_11target_archE906ELNS1_3gpuE6ELNS1_3repE0EEENS1_48merge_mergepath_partition_config_static_selectorELNS0_4arch9wavefront6targetE0EEEvSF_,"axG",@progbits,_ZN7rocprim17ROCPRIM_400000_NS6detail17trampoline_kernelINS0_14default_configENS1_38merge_sort_block_merge_config_selectorIhNS0_10empty_typeEEEZZNS1_27merge_sort_block_merge_implIS3_PhPS5_jNS1_19radix_merge_compareILb0ELb1EhNS0_19identity_decomposerEEEEE10hipError_tT0_T1_T2_jT3_P12ihipStream_tbPNSt15iterator_traitsISE_E10value_typeEPNSK_ISF_E10value_typeEPSG_NS1_7vsmem_tEENKUlT_SE_SF_SG_E_clIS8_S8_S9_S9_EESD_ST_SE_SF_SG_EUlST_E_NS1_11comp_targetILNS1_3genE2ELNS1_11target_archE906ELNS1_3gpuE6ELNS1_3repE0EEENS1_48merge_mergepath_partition_config_static_selectorELNS0_4arch9wavefront6targetE0EEEvSF_,comdat
.Lfunc_end182:
	.size	_ZN7rocprim17ROCPRIM_400000_NS6detail17trampoline_kernelINS0_14default_configENS1_38merge_sort_block_merge_config_selectorIhNS0_10empty_typeEEEZZNS1_27merge_sort_block_merge_implIS3_PhPS5_jNS1_19radix_merge_compareILb0ELb1EhNS0_19identity_decomposerEEEEE10hipError_tT0_T1_T2_jT3_P12ihipStream_tbPNSt15iterator_traitsISE_E10value_typeEPNSK_ISF_E10value_typeEPSG_NS1_7vsmem_tEENKUlT_SE_SF_SG_E_clIS8_S8_S9_S9_EESD_ST_SE_SF_SG_EUlST_E_NS1_11comp_targetILNS1_3genE2ELNS1_11target_archE906ELNS1_3gpuE6ELNS1_3repE0EEENS1_48merge_mergepath_partition_config_static_selectorELNS0_4arch9wavefront6targetE0EEEvSF_, .Lfunc_end182-_ZN7rocprim17ROCPRIM_400000_NS6detail17trampoline_kernelINS0_14default_configENS1_38merge_sort_block_merge_config_selectorIhNS0_10empty_typeEEEZZNS1_27merge_sort_block_merge_implIS3_PhPS5_jNS1_19radix_merge_compareILb0ELb1EhNS0_19identity_decomposerEEEEE10hipError_tT0_T1_T2_jT3_P12ihipStream_tbPNSt15iterator_traitsISE_E10value_typeEPNSK_ISF_E10value_typeEPSG_NS1_7vsmem_tEENKUlT_SE_SF_SG_E_clIS8_S8_S9_S9_EESD_ST_SE_SF_SG_EUlST_E_NS1_11comp_targetILNS1_3genE2ELNS1_11target_archE906ELNS1_3gpuE6ELNS1_3repE0EEENS1_48merge_mergepath_partition_config_static_selectorELNS0_4arch9wavefront6targetE0EEEvSF_
                                        ; -- End function
	.set _ZN7rocprim17ROCPRIM_400000_NS6detail17trampoline_kernelINS0_14default_configENS1_38merge_sort_block_merge_config_selectorIhNS0_10empty_typeEEEZZNS1_27merge_sort_block_merge_implIS3_PhPS5_jNS1_19radix_merge_compareILb0ELb1EhNS0_19identity_decomposerEEEEE10hipError_tT0_T1_T2_jT3_P12ihipStream_tbPNSt15iterator_traitsISE_E10value_typeEPNSK_ISF_E10value_typeEPSG_NS1_7vsmem_tEENKUlT_SE_SF_SG_E_clIS8_S8_S9_S9_EESD_ST_SE_SF_SG_EUlST_E_NS1_11comp_targetILNS1_3genE2ELNS1_11target_archE906ELNS1_3gpuE6ELNS1_3repE0EEENS1_48merge_mergepath_partition_config_static_selectorELNS0_4arch9wavefront6targetE0EEEvSF_.num_vgpr, 0
	.set _ZN7rocprim17ROCPRIM_400000_NS6detail17trampoline_kernelINS0_14default_configENS1_38merge_sort_block_merge_config_selectorIhNS0_10empty_typeEEEZZNS1_27merge_sort_block_merge_implIS3_PhPS5_jNS1_19radix_merge_compareILb0ELb1EhNS0_19identity_decomposerEEEEE10hipError_tT0_T1_T2_jT3_P12ihipStream_tbPNSt15iterator_traitsISE_E10value_typeEPNSK_ISF_E10value_typeEPSG_NS1_7vsmem_tEENKUlT_SE_SF_SG_E_clIS8_S8_S9_S9_EESD_ST_SE_SF_SG_EUlST_E_NS1_11comp_targetILNS1_3genE2ELNS1_11target_archE906ELNS1_3gpuE6ELNS1_3repE0EEENS1_48merge_mergepath_partition_config_static_selectorELNS0_4arch9wavefront6targetE0EEEvSF_.num_agpr, 0
	.set _ZN7rocprim17ROCPRIM_400000_NS6detail17trampoline_kernelINS0_14default_configENS1_38merge_sort_block_merge_config_selectorIhNS0_10empty_typeEEEZZNS1_27merge_sort_block_merge_implIS3_PhPS5_jNS1_19radix_merge_compareILb0ELb1EhNS0_19identity_decomposerEEEEE10hipError_tT0_T1_T2_jT3_P12ihipStream_tbPNSt15iterator_traitsISE_E10value_typeEPNSK_ISF_E10value_typeEPSG_NS1_7vsmem_tEENKUlT_SE_SF_SG_E_clIS8_S8_S9_S9_EESD_ST_SE_SF_SG_EUlST_E_NS1_11comp_targetILNS1_3genE2ELNS1_11target_archE906ELNS1_3gpuE6ELNS1_3repE0EEENS1_48merge_mergepath_partition_config_static_selectorELNS0_4arch9wavefront6targetE0EEEvSF_.numbered_sgpr, 0
	.set _ZN7rocprim17ROCPRIM_400000_NS6detail17trampoline_kernelINS0_14default_configENS1_38merge_sort_block_merge_config_selectorIhNS0_10empty_typeEEEZZNS1_27merge_sort_block_merge_implIS3_PhPS5_jNS1_19radix_merge_compareILb0ELb1EhNS0_19identity_decomposerEEEEE10hipError_tT0_T1_T2_jT3_P12ihipStream_tbPNSt15iterator_traitsISE_E10value_typeEPNSK_ISF_E10value_typeEPSG_NS1_7vsmem_tEENKUlT_SE_SF_SG_E_clIS8_S8_S9_S9_EESD_ST_SE_SF_SG_EUlST_E_NS1_11comp_targetILNS1_3genE2ELNS1_11target_archE906ELNS1_3gpuE6ELNS1_3repE0EEENS1_48merge_mergepath_partition_config_static_selectorELNS0_4arch9wavefront6targetE0EEEvSF_.num_named_barrier, 0
	.set _ZN7rocprim17ROCPRIM_400000_NS6detail17trampoline_kernelINS0_14default_configENS1_38merge_sort_block_merge_config_selectorIhNS0_10empty_typeEEEZZNS1_27merge_sort_block_merge_implIS3_PhPS5_jNS1_19radix_merge_compareILb0ELb1EhNS0_19identity_decomposerEEEEE10hipError_tT0_T1_T2_jT3_P12ihipStream_tbPNSt15iterator_traitsISE_E10value_typeEPNSK_ISF_E10value_typeEPSG_NS1_7vsmem_tEENKUlT_SE_SF_SG_E_clIS8_S8_S9_S9_EESD_ST_SE_SF_SG_EUlST_E_NS1_11comp_targetILNS1_3genE2ELNS1_11target_archE906ELNS1_3gpuE6ELNS1_3repE0EEENS1_48merge_mergepath_partition_config_static_selectorELNS0_4arch9wavefront6targetE0EEEvSF_.private_seg_size, 0
	.set _ZN7rocprim17ROCPRIM_400000_NS6detail17trampoline_kernelINS0_14default_configENS1_38merge_sort_block_merge_config_selectorIhNS0_10empty_typeEEEZZNS1_27merge_sort_block_merge_implIS3_PhPS5_jNS1_19radix_merge_compareILb0ELb1EhNS0_19identity_decomposerEEEEE10hipError_tT0_T1_T2_jT3_P12ihipStream_tbPNSt15iterator_traitsISE_E10value_typeEPNSK_ISF_E10value_typeEPSG_NS1_7vsmem_tEENKUlT_SE_SF_SG_E_clIS8_S8_S9_S9_EESD_ST_SE_SF_SG_EUlST_E_NS1_11comp_targetILNS1_3genE2ELNS1_11target_archE906ELNS1_3gpuE6ELNS1_3repE0EEENS1_48merge_mergepath_partition_config_static_selectorELNS0_4arch9wavefront6targetE0EEEvSF_.uses_vcc, 0
	.set _ZN7rocprim17ROCPRIM_400000_NS6detail17trampoline_kernelINS0_14default_configENS1_38merge_sort_block_merge_config_selectorIhNS0_10empty_typeEEEZZNS1_27merge_sort_block_merge_implIS3_PhPS5_jNS1_19radix_merge_compareILb0ELb1EhNS0_19identity_decomposerEEEEE10hipError_tT0_T1_T2_jT3_P12ihipStream_tbPNSt15iterator_traitsISE_E10value_typeEPNSK_ISF_E10value_typeEPSG_NS1_7vsmem_tEENKUlT_SE_SF_SG_E_clIS8_S8_S9_S9_EESD_ST_SE_SF_SG_EUlST_E_NS1_11comp_targetILNS1_3genE2ELNS1_11target_archE906ELNS1_3gpuE6ELNS1_3repE0EEENS1_48merge_mergepath_partition_config_static_selectorELNS0_4arch9wavefront6targetE0EEEvSF_.uses_flat_scratch, 0
	.set _ZN7rocprim17ROCPRIM_400000_NS6detail17trampoline_kernelINS0_14default_configENS1_38merge_sort_block_merge_config_selectorIhNS0_10empty_typeEEEZZNS1_27merge_sort_block_merge_implIS3_PhPS5_jNS1_19radix_merge_compareILb0ELb1EhNS0_19identity_decomposerEEEEE10hipError_tT0_T1_T2_jT3_P12ihipStream_tbPNSt15iterator_traitsISE_E10value_typeEPNSK_ISF_E10value_typeEPSG_NS1_7vsmem_tEENKUlT_SE_SF_SG_E_clIS8_S8_S9_S9_EESD_ST_SE_SF_SG_EUlST_E_NS1_11comp_targetILNS1_3genE2ELNS1_11target_archE906ELNS1_3gpuE6ELNS1_3repE0EEENS1_48merge_mergepath_partition_config_static_selectorELNS0_4arch9wavefront6targetE0EEEvSF_.has_dyn_sized_stack, 0
	.set _ZN7rocprim17ROCPRIM_400000_NS6detail17trampoline_kernelINS0_14default_configENS1_38merge_sort_block_merge_config_selectorIhNS0_10empty_typeEEEZZNS1_27merge_sort_block_merge_implIS3_PhPS5_jNS1_19radix_merge_compareILb0ELb1EhNS0_19identity_decomposerEEEEE10hipError_tT0_T1_T2_jT3_P12ihipStream_tbPNSt15iterator_traitsISE_E10value_typeEPNSK_ISF_E10value_typeEPSG_NS1_7vsmem_tEENKUlT_SE_SF_SG_E_clIS8_S8_S9_S9_EESD_ST_SE_SF_SG_EUlST_E_NS1_11comp_targetILNS1_3genE2ELNS1_11target_archE906ELNS1_3gpuE6ELNS1_3repE0EEENS1_48merge_mergepath_partition_config_static_selectorELNS0_4arch9wavefront6targetE0EEEvSF_.has_recursion, 0
	.set _ZN7rocprim17ROCPRIM_400000_NS6detail17trampoline_kernelINS0_14default_configENS1_38merge_sort_block_merge_config_selectorIhNS0_10empty_typeEEEZZNS1_27merge_sort_block_merge_implIS3_PhPS5_jNS1_19radix_merge_compareILb0ELb1EhNS0_19identity_decomposerEEEEE10hipError_tT0_T1_T2_jT3_P12ihipStream_tbPNSt15iterator_traitsISE_E10value_typeEPNSK_ISF_E10value_typeEPSG_NS1_7vsmem_tEENKUlT_SE_SF_SG_E_clIS8_S8_S9_S9_EESD_ST_SE_SF_SG_EUlST_E_NS1_11comp_targetILNS1_3genE2ELNS1_11target_archE906ELNS1_3gpuE6ELNS1_3repE0EEENS1_48merge_mergepath_partition_config_static_selectorELNS0_4arch9wavefront6targetE0EEEvSF_.has_indirect_call, 0
	.section	.AMDGPU.csdata,"",@progbits
; Kernel info:
; codeLenInByte = 0
; TotalNumSgprs: 0
; NumVgprs: 0
; ScratchSize: 0
; MemoryBound: 0
; FloatMode: 240
; IeeeMode: 1
; LDSByteSize: 0 bytes/workgroup (compile time only)
; SGPRBlocks: 0
; VGPRBlocks: 0
; NumSGPRsForWavesPerEU: 1
; NumVGPRsForWavesPerEU: 1
; NamedBarCnt: 0
; Occupancy: 16
; WaveLimiterHint : 0
; COMPUTE_PGM_RSRC2:SCRATCH_EN: 0
; COMPUTE_PGM_RSRC2:USER_SGPR: 2
; COMPUTE_PGM_RSRC2:TRAP_HANDLER: 0
; COMPUTE_PGM_RSRC2:TGID_X_EN: 1
; COMPUTE_PGM_RSRC2:TGID_Y_EN: 0
; COMPUTE_PGM_RSRC2:TGID_Z_EN: 0
; COMPUTE_PGM_RSRC2:TIDIG_COMP_CNT: 0
	.section	.text._ZN7rocprim17ROCPRIM_400000_NS6detail17trampoline_kernelINS0_14default_configENS1_38merge_sort_block_merge_config_selectorIhNS0_10empty_typeEEEZZNS1_27merge_sort_block_merge_implIS3_PhPS5_jNS1_19radix_merge_compareILb0ELb1EhNS0_19identity_decomposerEEEEE10hipError_tT0_T1_T2_jT3_P12ihipStream_tbPNSt15iterator_traitsISE_E10value_typeEPNSK_ISF_E10value_typeEPSG_NS1_7vsmem_tEENKUlT_SE_SF_SG_E_clIS8_S8_S9_S9_EESD_ST_SE_SF_SG_EUlST_E_NS1_11comp_targetILNS1_3genE9ELNS1_11target_archE1100ELNS1_3gpuE3ELNS1_3repE0EEENS1_48merge_mergepath_partition_config_static_selectorELNS0_4arch9wavefront6targetE0EEEvSF_,"axG",@progbits,_ZN7rocprim17ROCPRIM_400000_NS6detail17trampoline_kernelINS0_14default_configENS1_38merge_sort_block_merge_config_selectorIhNS0_10empty_typeEEEZZNS1_27merge_sort_block_merge_implIS3_PhPS5_jNS1_19radix_merge_compareILb0ELb1EhNS0_19identity_decomposerEEEEE10hipError_tT0_T1_T2_jT3_P12ihipStream_tbPNSt15iterator_traitsISE_E10value_typeEPNSK_ISF_E10value_typeEPSG_NS1_7vsmem_tEENKUlT_SE_SF_SG_E_clIS8_S8_S9_S9_EESD_ST_SE_SF_SG_EUlST_E_NS1_11comp_targetILNS1_3genE9ELNS1_11target_archE1100ELNS1_3gpuE3ELNS1_3repE0EEENS1_48merge_mergepath_partition_config_static_selectorELNS0_4arch9wavefront6targetE0EEEvSF_,comdat
	.protected	_ZN7rocprim17ROCPRIM_400000_NS6detail17trampoline_kernelINS0_14default_configENS1_38merge_sort_block_merge_config_selectorIhNS0_10empty_typeEEEZZNS1_27merge_sort_block_merge_implIS3_PhPS5_jNS1_19radix_merge_compareILb0ELb1EhNS0_19identity_decomposerEEEEE10hipError_tT0_T1_T2_jT3_P12ihipStream_tbPNSt15iterator_traitsISE_E10value_typeEPNSK_ISF_E10value_typeEPSG_NS1_7vsmem_tEENKUlT_SE_SF_SG_E_clIS8_S8_S9_S9_EESD_ST_SE_SF_SG_EUlST_E_NS1_11comp_targetILNS1_3genE9ELNS1_11target_archE1100ELNS1_3gpuE3ELNS1_3repE0EEENS1_48merge_mergepath_partition_config_static_selectorELNS0_4arch9wavefront6targetE0EEEvSF_ ; -- Begin function _ZN7rocprim17ROCPRIM_400000_NS6detail17trampoline_kernelINS0_14default_configENS1_38merge_sort_block_merge_config_selectorIhNS0_10empty_typeEEEZZNS1_27merge_sort_block_merge_implIS3_PhPS5_jNS1_19radix_merge_compareILb0ELb1EhNS0_19identity_decomposerEEEEE10hipError_tT0_T1_T2_jT3_P12ihipStream_tbPNSt15iterator_traitsISE_E10value_typeEPNSK_ISF_E10value_typeEPSG_NS1_7vsmem_tEENKUlT_SE_SF_SG_E_clIS8_S8_S9_S9_EESD_ST_SE_SF_SG_EUlST_E_NS1_11comp_targetILNS1_3genE9ELNS1_11target_archE1100ELNS1_3gpuE3ELNS1_3repE0EEENS1_48merge_mergepath_partition_config_static_selectorELNS0_4arch9wavefront6targetE0EEEvSF_
	.globl	_ZN7rocprim17ROCPRIM_400000_NS6detail17trampoline_kernelINS0_14default_configENS1_38merge_sort_block_merge_config_selectorIhNS0_10empty_typeEEEZZNS1_27merge_sort_block_merge_implIS3_PhPS5_jNS1_19radix_merge_compareILb0ELb1EhNS0_19identity_decomposerEEEEE10hipError_tT0_T1_T2_jT3_P12ihipStream_tbPNSt15iterator_traitsISE_E10value_typeEPNSK_ISF_E10value_typeEPSG_NS1_7vsmem_tEENKUlT_SE_SF_SG_E_clIS8_S8_S9_S9_EESD_ST_SE_SF_SG_EUlST_E_NS1_11comp_targetILNS1_3genE9ELNS1_11target_archE1100ELNS1_3gpuE3ELNS1_3repE0EEENS1_48merge_mergepath_partition_config_static_selectorELNS0_4arch9wavefront6targetE0EEEvSF_
	.p2align	8
	.type	_ZN7rocprim17ROCPRIM_400000_NS6detail17trampoline_kernelINS0_14default_configENS1_38merge_sort_block_merge_config_selectorIhNS0_10empty_typeEEEZZNS1_27merge_sort_block_merge_implIS3_PhPS5_jNS1_19radix_merge_compareILb0ELb1EhNS0_19identity_decomposerEEEEE10hipError_tT0_T1_T2_jT3_P12ihipStream_tbPNSt15iterator_traitsISE_E10value_typeEPNSK_ISF_E10value_typeEPSG_NS1_7vsmem_tEENKUlT_SE_SF_SG_E_clIS8_S8_S9_S9_EESD_ST_SE_SF_SG_EUlST_E_NS1_11comp_targetILNS1_3genE9ELNS1_11target_archE1100ELNS1_3gpuE3ELNS1_3repE0EEENS1_48merge_mergepath_partition_config_static_selectorELNS0_4arch9wavefront6targetE0EEEvSF_,@function
_ZN7rocprim17ROCPRIM_400000_NS6detail17trampoline_kernelINS0_14default_configENS1_38merge_sort_block_merge_config_selectorIhNS0_10empty_typeEEEZZNS1_27merge_sort_block_merge_implIS3_PhPS5_jNS1_19radix_merge_compareILb0ELb1EhNS0_19identity_decomposerEEEEE10hipError_tT0_T1_T2_jT3_P12ihipStream_tbPNSt15iterator_traitsISE_E10value_typeEPNSK_ISF_E10value_typeEPSG_NS1_7vsmem_tEENKUlT_SE_SF_SG_E_clIS8_S8_S9_S9_EESD_ST_SE_SF_SG_EUlST_E_NS1_11comp_targetILNS1_3genE9ELNS1_11target_archE1100ELNS1_3gpuE3ELNS1_3repE0EEENS1_48merge_mergepath_partition_config_static_selectorELNS0_4arch9wavefront6targetE0EEEvSF_: ; @_ZN7rocprim17ROCPRIM_400000_NS6detail17trampoline_kernelINS0_14default_configENS1_38merge_sort_block_merge_config_selectorIhNS0_10empty_typeEEEZZNS1_27merge_sort_block_merge_implIS3_PhPS5_jNS1_19radix_merge_compareILb0ELb1EhNS0_19identity_decomposerEEEEE10hipError_tT0_T1_T2_jT3_P12ihipStream_tbPNSt15iterator_traitsISE_E10value_typeEPNSK_ISF_E10value_typeEPSG_NS1_7vsmem_tEENKUlT_SE_SF_SG_E_clIS8_S8_S9_S9_EESD_ST_SE_SF_SG_EUlST_E_NS1_11comp_targetILNS1_3genE9ELNS1_11target_archE1100ELNS1_3gpuE3ELNS1_3repE0EEENS1_48merge_mergepath_partition_config_static_selectorELNS0_4arch9wavefront6targetE0EEEvSF_
; %bb.0:
	.section	.rodata,"a",@progbits
	.p2align	6, 0x0
	.amdhsa_kernel _ZN7rocprim17ROCPRIM_400000_NS6detail17trampoline_kernelINS0_14default_configENS1_38merge_sort_block_merge_config_selectorIhNS0_10empty_typeEEEZZNS1_27merge_sort_block_merge_implIS3_PhPS5_jNS1_19radix_merge_compareILb0ELb1EhNS0_19identity_decomposerEEEEE10hipError_tT0_T1_T2_jT3_P12ihipStream_tbPNSt15iterator_traitsISE_E10value_typeEPNSK_ISF_E10value_typeEPSG_NS1_7vsmem_tEENKUlT_SE_SF_SG_E_clIS8_S8_S9_S9_EESD_ST_SE_SF_SG_EUlST_E_NS1_11comp_targetILNS1_3genE9ELNS1_11target_archE1100ELNS1_3gpuE3ELNS1_3repE0EEENS1_48merge_mergepath_partition_config_static_selectorELNS0_4arch9wavefront6targetE0EEEvSF_
		.amdhsa_group_segment_fixed_size 0
		.amdhsa_private_segment_fixed_size 0
		.amdhsa_kernarg_size 40
		.amdhsa_user_sgpr_count 2
		.amdhsa_user_sgpr_dispatch_ptr 0
		.amdhsa_user_sgpr_queue_ptr 0
		.amdhsa_user_sgpr_kernarg_segment_ptr 1
		.amdhsa_user_sgpr_dispatch_id 0
		.amdhsa_user_sgpr_kernarg_preload_length 0
		.amdhsa_user_sgpr_kernarg_preload_offset 0
		.amdhsa_user_sgpr_private_segment_size 0
		.amdhsa_wavefront_size32 1
		.amdhsa_uses_dynamic_stack 0
		.amdhsa_enable_private_segment 0
		.amdhsa_system_sgpr_workgroup_id_x 1
		.amdhsa_system_sgpr_workgroup_id_y 0
		.amdhsa_system_sgpr_workgroup_id_z 0
		.amdhsa_system_sgpr_workgroup_info 0
		.amdhsa_system_vgpr_workitem_id 0
		.amdhsa_next_free_vgpr 1
		.amdhsa_next_free_sgpr 1
		.amdhsa_named_barrier_count 0
		.amdhsa_reserve_vcc 0
		.amdhsa_float_round_mode_32 0
		.amdhsa_float_round_mode_16_64 0
		.amdhsa_float_denorm_mode_32 3
		.amdhsa_float_denorm_mode_16_64 3
		.amdhsa_fp16_overflow 0
		.amdhsa_memory_ordered 1
		.amdhsa_forward_progress 1
		.amdhsa_inst_pref_size 0
		.amdhsa_round_robin_scheduling 0
		.amdhsa_exception_fp_ieee_invalid_op 0
		.amdhsa_exception_fp_denorm_src 0
		.amdhsa_exception_fp_ieee_div_zero 0
		.amdhsa_exception_fp_ieee_overflow 0
		.amdhsa_exception_fp_ieee_underflow 0
		.amdhsa_exception_fp_ieee_inexact 0
		.amdhsa_exception_int_div_zero 0
	.end_amdhsa_kernel
	.section	.text._ZN7rocprim17ROCPRIM_400000_NS6detail17trampoline_kernelINS0_14default_configENS1_38merge_sort_block_merge_config_selectorIhNS0_10empty_typeEEEZZNS1_27merge_sort_block_merge_implIS3_PhPS5_jNS1_19radix_merge_compareILb0ELb1EhNS0_19identity_decomposerEEEEE10hipError_tT0_T1_T2_jT3_P12ihipStream_tbPNSt15iterator_traitsISE_E10value_typeEPNSK_ISF_E10value_typeEPSG_NS1_7vsmem_tEENKUlT_SE_SF_SG_E_clIS8_S8_S9_S9_EESD_ST_SE_SF_SG_EUlST_E_NS1_11comp_targetILNS1_3genE9ELNS1_11target_archE1100ELNS1_3gpuE3ELNS1_3repE0EEENS1_48merge_mergepath_partition_config_static_selectorELNS0_4arch9wavefront6targetE0EEEvSF_,"axG",@progbits,_ZN7rocprim17ROCPRIM_400000_NS6detail17trampoline_kernelINS0_14default_configENS1_38merge_sort_block_merge_config_selectorIhNS0_10empty_typeEEEZZNS1_27merge_sort_block_merge_implIS3_PhPS5_jNS1_19radix_merge_compareILb0ELb1EhNS0_19identity_decomposerEEEEE10hipError_tT0_T1_T2_jT3_P12ihipStream_tbPNSt15iterator_traitsISE_E10value_typeEPNSK_ISF_E10value_typeEPSG_NS1_7vsmem_tEENKUlT_SE_SF_SG_E_clIS8_S8_S9_S9_EESD_ST_SE_SF_SG_EUlST_E_NS1_11comp_targetILNS1_3genE9ELNS1_11target_archE1100ELNS1_3gpuE3ELNS1_3repE0EEENS1_48merge_mergepath_partition_config_static_selectorELNS0_4arch9wavefront6targetE0EEEvSF_,comdat
.Lfunc_end183:
	.size	_ZN7rocprim17ROCPRIM_400000_NS6detail17trampoline_kernelINS0_14default_configENS1_38merge_sort_block_merge_config_selectorIhNS0_10empty_typeEEEZZNS1_27merge_sort_block_merge_implIS3_PhPS5_jNS1_19radix_merge_compareILb0ELb1EhNS0_19identity_decomposerEEEEE10hipError_tT0_T1_T2_jT3_P12ihipStream_tbPNSt15iterator_traitsISE_E10value_typeEPNSK_ISF_E10value_typeEPSG_NS1_7vsmem_tEENKUlT_SE_SF_SG_E_clIS8_S8_S9_S9_EESD_ST_SE_SF_SG_EUlST_E_NS1_11comp_targetILNS1_3genE9ELNS1_11target_archE1100ELNS1_3gpuE3ELNS1_3repE0EEENS1_48merge_mergepath_partition_config_static_selectorELNS0_4arch9wavefront6targetE0EEEvSF_, .Lfunc_end183-_ZN7rocprim17ROCPRIM_400000_NS6detail17trampoline_kernelINS0_14default_configENS1_38merge_sort_block_merge_config_selectorIhNS0_10empty_typeEEEZZNS1_27merge_sort_block_merge_implIS3_PhPS5_jNS1_19radix_merge_compareILb0ELb1EhNS0_19identity_decomposerEEEEE10hipError_tT0_T1_T2_jT3_P12ihipStream_tbPNSt15iterator_traitsISE_E10value_typeEPNSK_ISF_E10value_typeEPSG_NS1_7vsmem_tEENKUlT_SE_SF_SG_E_clIS8_S8_S9_S9_EESD_ST_SE_SF_SG_EUlST_E_NS1_11comp_targetILNS1_3genE9ELNS1_11target_archE1100ELNS1_3gpuE3ELNS1_3repE0EEENS1_48merge_mergepath_partition_config_static_selectorELNS0_4arch9wavefront6targetE0EEEvSF_
                                        ; -- End function
	.set _ZN7rocprim17ROCPRIM_400000_NS6detail17trampoline_kernelINS0_14default_configENS1_38merge_sort_block_merge_config_selectorIhNS0_10empty_typeEEEZZNS1_27merge_sort_block_merge_implIS3_PhPS5_jNS1_19radix_merge_compareILb0ELb1EhNS0_19identity_decomposerEEEEE10hipError_tT0_T1_T2_jT3_P12ihipStream_tbPNSt15iterator_traitsISE_E10value_typeEPNSK_ISF_E10value_typeEPSG_NS1_7vsmem_tEENKUlT_SE_SF_SG_E_clIS8_S8_S9_S9_EESD_ST_SE_SF_SG_EUlST_E_NS1_11comp_targetILNS1_3genE9ELNS1_11target_archE1100ELNS1_3gpuE3ELNS1_3repE0EEENS1_48merge_mergepath_partition_config_static_selectorELNS0_4arch9wavefront6targetE0EEEvSF_.num_vgpr, 0
	.set _ZN7rocprim17ROCPRIM_400000_NS6detail17trampoline_kernelINS0_14default_configENS1_38merge_sort_block_merge_config_selectorIhNS0_10empty_typeEEEZZNS1_27merge_sort_block_merge_implIS3_PhPS5_jNS1_19radix_merge_compareILb0ELb1EhNS0_19identity_decomposerEEEEE10hipError_tT0_T1_T2_jT3_P12ihipStream_tbPNSt15iterator_traitsISE_E10value_typeEPNSK_ISF_E10value_typeEPSG_NS1_7vsmem_tEENKUlT_SE_SF_SG_E_clIS8_S8_S9_S9_EESD_ST_SE_SF_SG_EUlST_E_NS1_11comp_targetILNS1_3genE9ELNS1_11target_archE1100ELNS1_3gpuE3ELNS1_3repE0EEENS1_48merge_mergepath_partition_config_static_selectorELNS0_4arch9wavefront6targetE0EEEvSF_.num_agpr, 0
	.set _ZN7rocprim17ROCPRIM_400000_NS6detail17trampoline_kernelINS0_14default_configENS1_38merge_sort_block_merge_config_selectorIhNS0_10empty_typeEEEZZNS1_27merge_sort_block_merge_implIS3_PhPS5_jNS1_19radix_merge_compareILb0ELb1EhNS0_19identity_decomposerEEEEE10hipError_tT0_T1_T2_jT3_P12ihipStream_tbPNSt15iterator_traitsISE_E10value_typeEPNSK_ISF_E10value_typeEPSG_NS1_7vsmem_tEENKUlT_SE_SF_SG_E_clIS8_S8_S9_S9_EESD_ST_SE_SF_SG_EUlST_E_NS1_11comp_targetILNS1_3genE9ELNS1_11target_archE1100ELNS1_3gpuE3ELNS1_3repE0EEENS1_48merge_mergepath_partition_config_static_selectorELNS0_4arch9wavefront6targetE0EEEvSF_.numbered_sgpr, 0
	.set _ZN7rocprim17ROCPRIM_400000_NS6detail17trampoline_kernelINS0_14default_configENS1_38merge_sort_block_merge_config_selectorIhNS0_10empty_typeEEEZZNS1_27merge_sort_block_merge_implIS3_PhPS5_jNS1_19radix_merge_compareILb0ELb1EhNS0_19identity_decomposerEEEEE10hipError_tT0_T1_T2_jT3_P12ihipStream_tbPNSt15iterator_traitsISE_E10value_typeEPNSK_ISF_E10value_typeEPSG_NS1_7vsmem_tEENKUlT_SE_SF_SG_E_clIS8_S8_S9_S9_EESD_ST_SE_SF_SG_EUlST_E_NS1_11comp_targetILNS1_3genE9ELNS1_11target_archE1100ELNS1_3gpuE3ELNS1_3repE0EEENS1_48merge_mergepath_partition_config_static_selectorELNS0_4arch9wavefront6targetE0EEEvSF_.num_named_barrier, 0
	.set _ZN7rocprim17ROCPRIM_400000_NS6detail17trampoline_kernelINS0_14default_configENS1_38merge_sort_block_merge_config_selectorIhNS0_10empty_typeEEEZZNS1_27merge_sort_block_merge_implIS3_PhPS5_jNS1_19radix_merge_compareILb0ELb1EhNS0_19identity_decomposerEEEEE10hipError_tT0_T1_T2_jT3_P12ihipStream_tbPNSt15iterator_traitsISE_E10value_typeEPNSK_ISF_E10value_typeEPSG_NS1_7vsmem_tEENKUlT_SE_SF_SG_E_clIS8_S8_S9_S9_EESD_ST_SE_SF_SG_EUlST_E_NS1_11comp_targetILNS1_3genE9ELNS1_11target_archE1100ELNS1_3gpuE3ELNS1_3repE0EEENS1_48merge_mergepath_partition_config_static_selectorELNS0_4arch9wavefront6targetE0EEEvSF_.private_seg_size, 0
	.set _ZN7rocprim17ROCPRIM_400000_NS6detail17trampoline_kernelINS0_14default_configENS1_38merge_sort_block_merge_config_selectorIhNS0_10empty_typeEEEZZNS1_27merge_sort_block_merge_implIS3_PhPS5_jNS1_19radix_merge_compareILb0ELb1EhNS0_19identity_decomposerEEEEE10hipError_tT0_T1_T2_jT3_P12ihipStream_tbPNSt15iterator_traitsISE_E10value_typeEPNSK_ISF_E10value_typeEPSG_NS1_7vsmem_tEENKUlT_SE_SF_SG_E_clIS8_S8_S9_S9_EESD_ST_SE_SF_SG_EUlST_E_NS1_11comp_targetILNS1_3genE9ELNS1_11target_archE1100ELNS1_3gpuE3ELNS1_3repE0EEENS1_48merge_mergepath_partition_config_static_selectorELNS0_4arch9wavefront6targetE0EEEvSF_.uses_vcc, 0
	.set _ZN7rocprim17ROCPRIM_400000_NS6detail17trampoline_kernelINS0_14default_configENS1_38merge_sort_block_merge_config_selectorIhNS0_10empty_typeEEEZZNS1_27merge_sort_block_merge_implIS3_PhPS5_jNS1_19radix_merge_compareILb0ELb1EhNS0_19identity_decomposerEEEEE10hipError_tT0_T1_T2_jT3_P12ihipStream_tbPNSt15iterator_traitsISE_E10value_typeEPNSK_ISF_E10value_typeEPSG_NS1_7vsmem_tEENKUlT_SE_SF_SG_E_clIS8_S8_S9_S9_EESD_ST_SE_SF_SG_EUlST_E_NS1_11comp_targetILNS1_3genE9ELNS1_11target_archE1100ELNS1_3gpuE3ELNS1_3repE0EEENS1_48merge_mergepath_partition_config_static_selectorELNS0_4arch9wavefront6targetE0EEEvSF_.uses_flat_scratch, 0
	.set _ZN7rocprim17ROCPRIM_400000_NS6detail17trampoline_kernelINS0_14default_configENS1_38merge_sort_block_merge_config_selectorIhNS0_10empty_typeEEEZZNS1_27merge_sort_block_merge_implIS3_PhPS5_jNS1_19radix_merge_compareILb0ELb1EhNS0_19identity_decomposerEEEEE10hipError_tT0_T1_T2_jT3_P12ihipStream_tbPNSt15iterator_traitsISE_E10value_typeEPNSK_ISF_E10value_typeEPSG_NS1_7vsmem_tEENKUlT_SE_SF_SG_E_clIS8_S8_S9_S9_EESD_ST_SE_SF_SG_EUlST_E_NS1_11comp_targetILNS1_3genE9ELNS1_11target_archE1100ELNS1_3gpuE3ELNS1_3repE0EEENS1_48merge_mergepath_partition_config_static_selectorELNS0_4arch9wavefront6targetE0EEEvSF_.has_dyn_sized_stack, 0
	.set _ZN7rocprim17ROCPRIM_400000_NS6detail17trampoline_kernelINS0_14default_configENS1_38merge_sort_block_merge_config_selectorIhNS0_10empty_typeEEEZZNS1_27merge_sort_block_merge_implIS3_PhPS5_jNS1_19radix_merge_compareILb0ELb1EhNS0_19identity_decomposerEEEEE10hipError_tT0_T1_T2_jT3_P12ihipStream_tbPNSt15iterator_traitsISE_E10value_typeEPNSK_ISF_E10value_typeEPSG_NS1_7vsmem_tEENKUlT_SE_SF_SG_E_clIS8_S8_S9_S9_EESD_ST_SE_SF_SG_EUlST_E_NS1_11comp_targetILNS1_3genE9ELNS1_11target_archE1100ELNS1_3gpuE3ELNS1_3repE0EEENS1_48merge_mergepath_partition_config_static_selectorELNS0_4arch9wavefront6targetE0EEEvSF_.has_recursion, 0
	.set _ZN7rocprim17ROCPRIM_400000_NS6detail17trampoline_kernelINS0_14default_configENS1_38merge_sort_block_merge_config_selectorIhNS0_10empty_typeEEEZZNS1_27merge_sort_block_merge_implIS3_PhPS5_jNS1_19radix_merge_compareILb0ELb1EhNS0_19identity_decomposerEEEEE10hipError_tT0_T1_T2_jT3_P12ihipStream_tbPNSt15iterator_traitsISE_E10value_typeEPNSK_ISF_E10value_typeEPSG_NS1_7vsmem_tEENKUlT_SE_SF_SG_E_clIS8_S8_S9_S9_EESD_ST_SE_SF_SG_EUlST_E_NS1_11comp_targetILNS1_3genE9ELNS1_11target_archE1100ELNS1_3gpuE3ELNS1_3repE0EEENS1_48merge_mergepath_partition_config_static_selectorELNS0_4arch9wavefront6targetE0EEEvSF_.has_indirect_call, 0
	.section	.AMDGPU.csdata,"",@progbits
; Kernel info:
; codeLenInByte = 0
; TotalNumSgprs: 0
; NumVgprs: 0
; ScratchSize: 0
; MemoryBound: 0
; FloatMode: 240
; IeeeMode: 1
; LDSByteSize: 0 bytes/workgroup (compile time only)
; SGPRBlocks: 0
; VGPRBlocks: 0
; NumSGPRsForWavesPerEU: 1
; NumVGPRsForWavesPerEU: 1
; NamedBarCnt: 0
; Occupancy: 16
; WaveLimiterHint : 0
; COMPUTE_PGM_RSRC2:SCRATCH_EN: 0
; COMPUTE_PGM_RSRC2:USER_SGPR: 2
; COMPUTE_PGM_RSRC2:TRAP_HANDLER: 0
; COMPUTE_PGM_RSRC2:TGID_X_EN: 1
; COMPUTE_PGM_RSRC2:TGID_Y_EN: 0
; COMPUTE_PGM_RSRC2:TGID_Z_EN: 0
; COMPUTE_PGM_RSRC2:TIDIG_COMP_CNT: 0
	.section	.text._ZN7rocprim17ROCPRIM_400000_NS6detail17trampoline_kernelINS0_14default_configENS1_38merge_sort_block_merge_config_selectorIhNS0_10empty_typeEEEZZNS1_27merge_sort_block_merge_implIS3_PhPS5_jNS1_19radix_merge_compareILb0ELb1EhNS0_19identity_decomposerEEEEE10hipError_tT0_T1_T2_jT3_P12ihipStream_tbPNSt15iterator_traitsISE_E10value_typeEPNSK_ISF_E10value_typeEPSG_NS1_7vsmem_tEENKUlT_SE_SF_SG_E_clIS8_S8_S9_S9_EESD_ST_SE_SF_SG_EUlST_E_NS1_11comp_targetILNS1_3genE8ELNS1_11target_archE1030ELNS1_3gpuE2ELNS1_3repE0EEENS1_48merge_mergepath_partition_config_static_selectorELNS0_4arch9wavefront6targetE0EEEvSF_,"axG",@progbits,_ZN7rocprim17ROCPRIM_400000_NS6detail17trampoline_kernelINS0_14default_configENS1_38merge_sort_block_merge_config_selectorIhNS0_10empty_typeEEEZZNS1_27merge_sort_block_merge_implIS3_PhPS5_jNS1_19radix_merge_compareILb0ELb1EhNS0_19identity_decomposerEEEEE10hipError_tT0_T1_T2_jT3_P12ihipStream_tbPNSt15iterator_traitsISE_E10value_typeEPNSK_ISF_E10value_typeEPSG_NS1_7vsmem_tEENKUlT_SE_SF_SG_E_clIS8_S8_S9_S9_EESD_ST_SE_SF_SG_EUlST_E_NS1_11comp_targetILNS1_3genE8ELNS1_11target_archE1030ELNS1_3gpuE2ELNS1_3repE0EEENS1_48merge_mergepath_partition_config_static_selectorELNS0_4arch9wavefront6targetE0EEEvSF_,comdat
	.protected	_ZN7rocprim17ROCPRIM_400000_NS6detail17trampoline_kernelINS0_14default_configENS1_38merge_sort_block_merge_config_selectorIhNS0_10empty_typeEEEZZNS1_27merge_sort_block_merge_implIS3_PhPS5_jNS1_19radix_merge_compareILb0ELb1EhNS0_19identity_decomposerEEEEE10hipError_tT0_T1_T2_jT3_P12ihipStream_tbPNSt15iterator_traitsISE_E10value_typeEPNSK_ISF_E10value_typeEPSG_NS1_7vsmem_tEENKUlT_SE_SF_SG_E_clIS8_S8_S9_S9_EESD_ST_SE_SF_SG_EUlST_E_NS1_11comp_targetILNS1_3genE8ELNS1_11target_archE1030ELNS1_3gpuE2ELNS1_3repE0EEENS1_48merge_mergepath_partition_config_static_selectorELNS0_4arch9wavefront6targetE0EEEvSF_ ; -- Begin function _ZN7rocprim17ROCPRIM_400000_NS6detail17trampoline_kernelINS0_14default_configENS1_38merge_sort_block_merge_config_selectorIhNS0_10empty_typeEEEZZNS1_27merge_sort_block_merge_implIS3_PhPS5_jNS1_19radix_merge_compareILb0ELb1EhNS0_19identity_decomposerEEEEE10hipError_tT0_T1_T2_jT3_P12ihipStream_tbPNSt15iterator_traitsISE_E10value_typeEPNSK_ISF_E10value_typeEPSG_NS1_7vsmem_tEENKUlT_SE_SF_SG_E_clIS8_S8_S9_S9_EESD_ST_SE_SF_SG_EUlST_E_NS1_11comp_targetILNS1_3genE8ELNS1_11target_archE1030ELNS1_3gpuE2ELNS1_3repE0EEENS1_48merge_mergepath_partition_config_static_selectorELNS0_4arch9wavefront6targetE0EEEvSF_
	.globl	_ZN7rocprim17ROCPRIM_400000_NS6detail17trampoline_kernelINS0_14default_configENS1_38merge_sort_block_merge_config_selectorIhNS0_10empty_typeEEEZZNS1_27merge_sort_block_merge_implIS3_PhPS5_jNS1_19radix_merge_compareILb0ELb1EhNS0_19identity_decomposerEEEEE10hipError_tT0_T1_T2_jT3_P12ihipStream_tbPNSt15iterator_traitsISE_E10value_typeEPNSK_ISF_E10value_typeEPSG_NS1_7vsmem_tEENKUlT_SE_SF_SG_E_clIS8_S8_S9_S9_EESD_ST_SE_SF_SG_EUlST_E_NS1_11comp_targetILNS1_3genE8ELNS1_11target_archE1030ELNS1_3gpuE2ELNS1_3repE0EEENS1_48merge_mergepath_partition_config_static_selectorELNS0_4arch9wavefront6targetE0EEEvSF_
	.p2align	8
	.type	_ZN7rocprim17ROCPRIM_400000_NS6detail17trampoline_kernelINS0_14default_configENS1_38merge_sort_block_merge_config_selectorIhNS0_10empty_typeEEEZZNS1_27merge_sort_block_merge_implIS3_PhPS5_jNS1_19radix_merge_compareILb0ELb1EhNS0_19identity_decomposerEEEEE10hipError_tT0_T1_T2_jT3_P12ihipStream_tbPNSt15iterator_traitsISE_E10value_typeEPNSK_ISF_E10value_typeEPSG_NS1_7vsmem_tEENKUlT_SE_SF_SG_E_clIS8_S8_S9_S9_EESD_ST_SE_SF_SG_EUlST_E_NS1_11comp_targetILNS1_3genE8ELNS1_11target_archE1030ELNS1_3gpuE2ELNS1_3repE0EEENS1_48merge_mergepath_partition_config_static_selectorELNS0_4arch9wavefront6targetE0EEEvSF_,@function
_ZN7rocprim17ROCPRIM_400000_NS6detail17trampoline_kernelINS0_14default_configENS1_38merge_sort_block_merge_config_selectorIhNS0_10empty_typeEEEZZNS1_27merge_sort_block_merge_implIS3_PhPS5_jNS1_19radix_merge_compareILb0ELb1EhNS0_19identity_decomposerEEEEE10hipError_tT0_T1_T2_jT3_P12ihipStream_tbPNSt15iterator_traitsISE_E10value_typeEPNSK_ISF_E10value_typeEPSG_NS1_7vsmem_tEENKUlT_SE_SF_SG_E_clIS8_S8_S9_S9_EESD_ST_SE_SF_SG_EUlST_E_NS1_11comp_targetILNS1_3genE8ELNS1_11target_archE1030ELNS1_3gpuE2ELNS1_3repE0EEENS1_48merge_mergepath_partition_config_static_selectorELNS0_4arch9wavefront6targetE0EEEvSF_: ; @_ZN7rocprim17ROCPRIM_400000_NS6detail17trampoline_kernelINS0_14default_configENS1_38merge_sort_block_merge_config_selectorIhNS0_10empty_typeEEEZZNS1_27merge_sort_block_merge_implIS3_PhPS5_jNS1_19radix_merge_compareILb0ELb1EhNS0_19identity_decomposerEEEEE10hipError_tT0_T1_T2_jT3_P12ihipStream_tbPNSt15iterator_traitsISE_E10value_typeEPNSK_ISF_E10value_typeEPSG_NS1_7vsmem_tEENKUlT_SE_SF_SG_E_clIS8_S8_S9_S9_EESD_ST_SE_SF_SG_EUlST_E_NS1_11comp_targetILNS1_3genE8ELNS1_11target_archE1030ELNS1_3gpuE2ELNS1_3repE0EEENS1_48merge_mergepath_partition_config_static_selectorELNS0_4arch9wavefront6targetE0EEEvSF_
; %bb.0:
	.section	.rodata,"a",@progbits
	.p2align	6, 0x0
	.amdhsa_kernel _ZN7rocprim17ROCPRIM_400000_NS6detail17trampoline_kernelINS0_14default_configENS1_38merge_sort_block_merge_config_selectorIhNS0_10empty_typeEEEZZNS1_27merge_sort_block_merge_implIS3_PhPS5_jNS1_19radix_merge_compareILb0ELb1EhNS0_19identity_decomposerEEEEE10hipError_tT0_T1_T2_jT3_P12ihipStream_tbPNSt15iterator_traitsISE_E10value_typeEPNSK_ISF_E10value_typeEPSG_NS1_7vsmem_tEENKUlT_SE_SF_SG_E_clIS8_S8_S9_S9_EESD_ST_SE_SF_SG_EUlST_E_NS1_11comp_targetILNS1_3genE8ELNS1_11target_archE1030ELNS1_3gpuE2ELNS1_3repE0EEENS1_48merge_mergepath_partition_config_static_selectorELNS0_4arch9wavefront6targetE0EEEvSF_
		.amdhsa_group_segment_fixed_size 0
		.amdhsa_private_segment_fixed_size 0
		.amdhsa_kernarg_size 40
		.amdhsa_user_sgpr_count 2
		.amdhsa_user_sgpr_dispatch_ptr 0
		.amdhsa_user_sgpr_queue_ptr 0
		.amdhsa_user_sgpr_kernarg_segment_ptr 1
		.amdhsa_user_sgpr_dispatch_id 0
		.amdhsa_user_sgpr_kernarg_preload_length 0
		.amdhsa_user_sgpr_kernarg_preload_offset 0
		.amdhsa_user_sgpr_private_segment_size 0
		.amdhsa_wavefront_size32 1
		.amdhsa_uses_dynamic_stack 0
		.amdhsa_enable_private_segment 0
		.amdhsa_system_sgpr_workgroup_id_x 1
		.amdhsa_system_sgpr_workgroup_id_y 0
		.amdhsa_system_sgpr_workgroup_id_z 0
		.amdhsa_system_sgpr_workgroup_info 0
		.amdhsa_system_vgpr_workitem_id 0
		.amdhsa_next_free_vgpr 1
		.amdhsa_next_free_sgpr 1
		.amdhsa_named_barrier_count 0
		.amdhsa_reserve_vcc 0
		.amdhsa_float_round_mode_32 0
		.amdhsa_float_round_mode_16_64 0
		.amdhsa_float_denorm_mode_32 3
		.amdhsa_float_denorm_mode_16_64 3
		.amdhsa_fp16_overflow 0
		.amdhsa_memory_ordered 1
		.amdhsa_forward_progress 1
		.amdhsa_inst_pref_size 0
		.amdhsa_round_robin_scheduling 0
		.amdhsa_exception_fp_ieee_invalid_op 0
		.amdhsa_exception_fp_denorm_src 0
		.amdhsa_exception_fp_ieee_div_zero 0
		.amdhsa_exception_fp_ieee_overflow 0
		.amdhsa_exception_fp_ieee_underflow 0
		.amdhsa_exception_fp_ieee_inexact 0
		.amdhsa_exception_int_div_zero 0
	.end_amdhsa_kernel
	.section	.text._ZN7rocprim17ROCPRIM_400000_NS6detail17trampoline_kernelINS0_14default_configENS1_38merge_sort_block_merge_config_selectorIhNS0_10empty_typeEEEZZNS1_27merge_sort_block_merge_implIS3_PhPS5_jNS1_19radix_merge_compareILb0ELb1EhNS0_19identity_decomposerEEEEE10hipError_tT0_T1_T2_jT3_P12ihipStream_tbPNSt15iterator_traitsISE_E10value_typeEPNSK_ISF_E10value_typeEPSG_NS1_7vsmem_tEENKUlT_SE_SF_SG_E_clIS8_S8_S9_S9_EESD_ST_SE_SF_SG_EUlST_E_NS1_11comp_targetILNS1_3genE8ELNS1_11target_archE1030ELNS1_3gpuE2ELNS1_3repE0EEENS1_48merge_mergepath_partition_config_static_selectorELNS0_4arch9wavefront6targetE0EEEvSF_,"axG",@progbits,_ZN7rocprim17ROCPRIM_400000_NS6detail17trampoline_kernelINS0_14default_configENS1_38merge_sort_block_merge_config_selectorIhNS0_10empty_typeEEEZZNS1_27merge_sort_block_merge_implIS3_PhPS5_jNS1_19radix_merge_compareILb0ELb1EhNS0_19identity_decomposerEEEEE10hipError_tT0_T1_T2_jT3_P12ihipStream_tbPNSt15iterator_traitsISE_E10value_typeEPNSK_ISF_E10value_typeEPSG_NS1_7vsmem_tEENKUlT_SE_SF_SG_E_clIS8_S8_S9_S9_EESD_ST_SE_SF_SG_EUlST_E_NS1_11comp_targetILNS1_3genE8ELNS1_11target_archE1030ELNS1_3gpuE2ELNS1_3repE0EEENS1_48merge_mergepath_partition_config_static_selectorELNS0_4arch9wavefront6targetE0EEEvSF_,comdat
.Lfunc_end184:
	.size	_ZN7rocprim17ROCPRIM_400000_NS6detail17trampoline_kernelINS0_14default_configENS1_38merge_sort_block_merge_config_selectorIhNS0_10empty_typeEEEZZNS1_27merge_sort_block_merge_implIS3_PhPS5_jNS1_19radix_merge_compareILb0ELb1EhNS0_19identity_decomposerEEEEE10hipError_tT0_T1_T2_jT3_P12ihipStream_tbPNSt15iterator_traitsISE_E10value_typeEPNSK_ISF_E10value_typeEPSG_NS1_7vsmem_tEENKUlT_SE_SF_SG_E_clIS8_S8_S9_S9_EESD_ST_SE_SF_SG_EUlST_E_NS1_11comp_targetILNS1_3genE8ELNS1_11target_archE1030ELNS1_3gpuE2ELNS1_3repE0EEENS1_48merge_mergepath_partition_config_static_selectorELNS0_4arch9wavefront6targetE0EEEvSF_, .Lfunc_end184-_ZN7rocprim17ROCPRIM_400000_NS6detail17trampoline_kernelINS0_14default_configENS1_38merge_sort_block_merge_config_selectorIhNS0_10empty_typeEEEZZNS1_27merge_sort_block_merge_implIS3_PhPS5_jNS1_19radix_merge_compareILb0ELb1EhNS0_19identity_decomposerEEEEE10hipError_tT0_T1_T2_jT3_P12ihipStream_tbPNSt15iterator_traitsISE_E10value_typeEPNSK_ISF_E10value_typeEPSG_NS1_7vsmem_tEENKUlT_SE_SF_SG_E_clIS8_S8_S9_S9_EESD_ST_SE_SF_SG_EUlST_E_NS1_11comp_targetILNS1_3genE8ELNS1_11target_archE1030ELNS1_3gpuE2ELNS1_3repE0EEENS1_48merge_mergepath_partition_config_static_selectorELNS0_4arch9wavefront6targetE0EEEvSF_
                                        ; -- End function
	.set _ZN7rocprim17ROCPRIM_400000_NS6detail17trampoline_kernelINS0_14default_configENS1_38merge_sort_block_merge_config_selectorIhNS0_10empty_typeEEEZZNS1_27merge_sort_block_merge_implIS3_PhPS5_jNS1_19radix_merge_compareILb0ELb1EhNS0_19identity_decomposerEEEEE10hipError_tT0_T1_T2_jT3_P12ihipStream_tbPNSt15iterator_traitsISE_E10value_typeEPNSK_ISF_E10value_typeEPSG_NS1_7vsmem_tEENKUlT_SE_SF_SG_E_clIS8_S8_S9_S9_EESD_ST_SE_SF_SG_EUlST_E_NS1_11comp_targetILNS1_3genE8ELNS1_11target_archE1030ELNS1_3gpuE2ELNS1_3repE0EEENS1_48merge_mergepath_partition_config_static_selectorELNS0_4arch9wavefront6targetE0EEEvSF_.num_vgpr, 0
	.set _ZN7rocprim17ROCPRIM_400000_NS6detail17trampoline_kernelINS0_14default_configENS1_38merge_sort_block_merge_config_selectorIhNS0_10empty_typeEEEZZNS1_27merge_sort_block_merge_implIS3_PhPS5_jNS1_19radix_merge_compareILb0ELb1EhNS0_19identity_decomposerEEEEE10hipError_tT0_T1_T2_jT3_P12ihipStream_tbPNSt15iterator_traitsISE_E10value_typeEPNSK_ISF_E10value_typeEPSG_NS1_7vsmem_tEENKUlT_SE_SF_SG_E_clIS8_S8_S9_S9_EESD_ST_SE_SF_SG_EUlST_E_NS1_11comp_targetILNS1_3genE8ELNS1_11target_archE1030ELNS1_3gpuE2ELNS1_3repE0EEENS1_48merge_mergepath_partition_config_static_selectorELNS0_4arch9wavefront6targetE0EEEvSF_.num_agpr, 0
	.set _ZN7rocprim17ROCPRIM_400000_NS6detail17trampoline_kernelINS0_14default_configENS1_38merge_sort_block_merge_config_selectorIhNS0_10empty_typeEEEZZNS1_27merge_sort_block_merge_implIS3_PhPS5_jNS1_19radix_merge_compareILb0ELb1EhNS0_19identity_decomposerEEEEE10hipError_tT0_T1_T2_jT3_P12ihipStream_tbPNSt15iterator_traitsISE_E10value_typeEPNSK_ISF_E10value_typeEPSG_NS1_7vsmem_tEENKUlT_SE_SF_SG_E_clIS8_S8_S9_S9_EESD_ST_SE_SF_SG_EUlST_E_NS1_11comp_targetILNS1_3genE8ELNS1_11target_archE1030ELNS1_3gpuE2ELNS1_3repE0EEENS1_48merge_mergepath_partition_config_static_selectorELNS0_4arch9wavefront6targetE0EEEvSF_.numbered_sgpr, 0
	.set _ZN7rocprim17ROCPRIM_400000_NS6detail17trampoline_kernelINS0_14default_configENS1_38merge_sort_block_merge_config_selectorIhNS0_10empty_typeEEEZZNS1_27merge_sort_block_merge_implIS3_PhPS5_jNS1_19radix_merge_compareILb0ELb1EhNS0_19identity_decomposerEEEEE10hipError_tT0_T1_T2_jT3_P12ihipStream_tbPNSt15iterator_traitsISE_E10value_typeEPNSK_ISF_E10value_typeEPSG_NS1_7vsmem_tEENKUlT_SE_SF_SG_E_clIS8_S8_S9_S9_EESD_ST_SE_SF_SG_EUlST_E_NS1_11comp_targetILNS1_3genE8ELNS1_11target_archE1030ELNS1_3gpuE2ELNS1_3repE0EEENS1_48merge_mergepath_partition_config_static_selectorELNS0_4arch9wavefront6targetE0EEEvSF_.num_named_barrier, 0
	.set _ZN7rocprim17ROCPRIM_400000_NS6detail17trampoline_kernelINS0_14default_configENS1_38merge_sort_block_merge_config_selectorIhNS0_10empty_typeEEEZZNS1_27merge_sort_block_merge_implIS3_PhPS5_jNS1_19radix_merge_compareILb0ELb1EhNS0_19identity_decomposerEEEEE10hipError_tT0_T1_T2_jT3_P12ihipStream_tbPNSt15iterator_traitsISE_E10value_typeEPNSK_ISF_E10value_typeEPSG_NS1_7vsmem_tEENKUlT_SE_SF_SG_E_clIS8_S8_S9_S9_EESD_ST_SE_SF_SG_EUlST_E_NS1_11comp_targetILNS1_3genE8ELNS1_11target_archE1030ELNS1_3gpuE2ELNS1_3repE0EEENS1_48merge_mergepath_partition_config_static_selectorELNS0_4arch9wavefront6targetE0EEEvSF_.private_seg_size, 0
	.set _ZN7rocprim17ROCPRIM_400000_NS6detail17trampoline_kernelINS0_14default_configENS1_38merge_sort_block_merge_config_selectorIhNS0_10empty_typeEEEZZNS1_27merge_sort_block_merge_implIS3_PhPS5_jNS1_19radix_merge_compareILb0ELb1EhNS0_19identity_decomposerEEEEE10hipError_tT0_T1_T2_jT3_P12ihipStream_tbPNSt15iterator_traitsISE_E10value_typeEPNSK_ISF_E10value_typeEPSG_NS1_7vsmem_tEENKUlT_SE_SF_SG_E_clIS8_S8_S9_S9_EESD_ST_SE_SF_SG_EUlST_E_NS1_11comp_targetILNS1_3genE8ELNS1_11target_archE1030ELNS1_3gpuE2ELNS1_3repE0EEENS1_48merge_mergepath_partition_config_static_selectorELNS0_4arch9wavefront6targetE0EEEvSF_.uses_vcc, 0
	.set _ZN7rocprim17ROCPRIM_400000_NS6detail17trampoline_kernelINS0_14default_configENS1_38merge_sort_block_merge_config_selectorIhNS0_10empty_typeEEEZZNS1_27merge_sort_block_merge_implIS3_PhPS5_jNS1_19radix_merge_compareILb0ELb1EhNS0_19identity_decomposerEEEEE10hipError_tT0_T1_T2_jT3_P12ihipStream_tbPNSt15iterator_traitsISE_E10value_typeEPNSK_ISF_E10value_typeEPSG_NS1_7vsmem_tEENKUlT_SE_SF_SG_E_clIS8_S8_S9_S9_EESD_ST_SE_SF_SG_EUlST_E_NS1_11comp_targetILNS1_3genE8ELNS1_11target_archE1030ELNS1_3gpuE2ELNS1_3repE0EEENS1_48merge_mergepath_partition_config_static_selectorELNS0_4arch9wavefront6targetE0EEEvSF_.uses_flat_scratch, 0
	.set _ZN7rocprim17ROCPRIM_400000_NS6detail17trampoline_kernelINS0_14default_configENS1_38merge_sort_block_merge_config_selectorIhNS0_10empty_typeEEEZZNS1_27merge_sort_block_merge_implIS3_PhPS5_jNS1_19radix_merge_compareILb0ELb1EhNS0_19identity_decomposerEEEEE10hipError_tT0_T1_T2_jT3_P12ihipStream_tbPNSt15iterator_traitsISE_E10value_typeEPNSK_ISF_E10value_typeEPSG_NS1_7vsmem_tEENKUlT_SE_SF_SG_E_clIS8_S8_S9_S9_EESD_ST_SE_SF_SG_EUlST_E_NS1_11comp_targetILNS1_3genE8ELNS1_11target_archE1030ELNS1_3gpuE2ELNS1_3repE0EEENS1_48merge_mergepath_partition_config_static_selectorELNS0_4arch9wavefront6targetE0EEEvSF_.has_dyn_sized_stack, 0
	.set _ZN7rocprim17ROCPRIM_400000_NS6detail17trampoline_kernelINS0_14default_configENS1_38merge_sort_block_merge_config_selectorIhNS0_10empty_typeEEEZZNS1_27merge_sort_block_merge_implIS3_PhPS5_jNS1_19radix_merge_compareILb0ELb1EhNS0_19identity_decomposerEEEEE10hipError_tT0_T1_T2_jT3_P12ihipStream_tbPNSt15iterator_traitsISE_E10value_typeEPNSK_ISF_E10value_typeEPSG_NS1_7vsmem_tEENKUlT_SE_SF_SG_E_clIS8_S8_S9_S9_EESD_ST_SE_SF_SG_EUlST_E_NS1_11comp_targetILNS1_3genE8ELNS1_11target_archE1030ELNS1_3gpuE2ELNS1_3repE0EEENS1_48merge_mergepath_partition_config_static_selectorELNS0_4arch9wavefront6targetE0EEEvSF_.has_recursion, 0
	.set _ZN7rocprim17ROCPRIM_400000_NS6detail17trampoline_kernelINS0_14default_configENS1_38merge_sort_block_merge_config_selectorIhNS0_10empty_typeEEEZZNS1_27merge_sort_block_merge_implIS3_PhPS5_jNS1_19radix_merge_compareILb0ELb1EhNS0_19identity_decomposerEEEEE10hipError_tT0_T1_T2_jT3_P12ihipStream_tbPNSt15iterator_traitsISE_E10value_typeEPNSK_ISF_E10value_typeEPSG_NS1_7vsmem_tEENKUlT_SE_SF_SG_E_clIS8_S8_S9_S9_EESD_ST_SE_SF_SG_EUlST_E_NS1_11comp_targetILNS1_3genE8ELNS1_11target_archE1030ELNS1_3gpuE2ELNS1_3repE0EEENS1_48merge_mergepath_partition_config_static_selectorELNS0_4arch9wavefront6targetE0EEEvSF_.has_indirect_call, 0
	.section	.AMDGPU.csdata,"",@progbits
; Kernel info:
; codeLenInByte = 0
; TotalNumSgprs: 0
; NumVgprs: 0
; ScratchSize: 0
; MemoryBound: 0
; FloatMode: 240
; IeeeMode: 1
; LDSByteSize: 0 bytes/workgroup (compile time only)
; SGPRBlocks: 0
; VGPRBlocks: 0
; NumSGPRsForWavesPerEU: 1
; NumVGPRsForWavesPerEU: 1
; NamedBarCnt: 0
; Occupancy: 16
; WaveLimiterHint : 0
; COMPUTE_PGM_RSRC2:SCRATCH_EN: 0
; COMPUTE_PGM_RSRC2:USER_SGPR: 2
; COMPUTE_PGM_RSRC2:TRAP_HANDLER: 0
; COMPUTE_PGM_RSRC2:TGID_X_EN: 1
; COMPUTE_PGM_RSRC2:TGID_Y_EN: 0
; COMPUTE_PGM_RSRC2:TGID_Z_EN: 0
; COMPUTE_PGM_RSRC2:TIDIG_COMP_CNT: 0
	.section	.text._ZN7rocprim17ROCPRIM_400000_NS6detail17trampoline_kernelINS0_14default_configENS1_38merge_sort_block_merge_config_selectorIhNS0_10empty_typeEEEZZNS1_27merge_sort_block_merge_implIS3_PhPS5_jNS1_19radix_merge_compareILb0ELb1EhNS0_19identity_decomposerEEEEE10hipError_tT0_T1_T2_jT3_P12ihipStream_tbPNSt15iterator_traitsISE_E10value_typeEPNSK_ISF_E10value_typeEPSG_NS1_7vsmem_tEENKUlT_SE_SF_SG_E_clIS8_S8_S9_S9_EESD_ST_SE_SF_SG_EUlST_E0_NS1_11comp_targetILNS1_3genE0ELNS1_11target_archE4294967295ELNS1_3gpuE0ELNS1_3repE0EEENS1_38merge_mergepath_config_static_selectorELNS0_4arch9wavefront6targetE0EEEvSF_,"axG",@progbits,_ZN7rocprim17ROCPRIM_400000_NS6detail17trampoline_kernelINS0_14default_configENS1_38merge_sort_block_merge_config_selectorIhNS0_10empty_typeEEEZZNS1_27merge_sort_block_merge_implIS3_PhPS5_jNS1_19radix_merge_compareILb0ELb1EhNS0_19identity_decomposerEEEEE10hipError_tT0_T1_T2_jT3_P12ihipStream_tbPNSt15iterator_traitsISE_E10value_typeEPNSK_ISF_E10value_typeEPSG_NS1_7vsmem_tEENKUlT_SE_SF_SG_E_clIS8_S8_S9_S9_EESD_ST_SE_SF_SG_EUlST_E0_NS1_11comp_targetILNS1_3genE0ELNS1_11target_archE4294967295ELNS1_3gpuE0ELNS1_3repE0EEENS1_38merge_mergepath_config_static_selectorELNS0_4arch9wavefront6targetE0EEEvSF_,comdat
	.protected	_ZN7rocprim17ROCPRIM_400000_NS6detail17trampoline_kernelINS0_14default_configENS1_38merge_sort_block_merge_config_selectorIhNS0_10empty_typeEEEZZNS1_27merge_sort_block_merge_implIS3_PhPS5_jNS1_19radix_merge_compareILb0ELb1EhNS0_19identity_decomposerEEEEE10hipError_tT0_T1_T2_jT3_P12ihipStream_tbPNSt15iterator_traitsISE_E10value_typeEPNSK_ISF_E10value_typeEPSG_NS1_7vsmem_tEENKUlT_SE_SF_SG_E_clIS8_S8_S9_S9_EESD_ST_SE_SF_SG_EUlST_E0_NS1_11comp_targetILNS1_3genE0ELNS1_11target_archE4294967295ELNS1_3gpuE0ELNS1_3repE0EEENS1_38merge_mergepath_config_static_selectorELNS0_4arch9wavefront6targetE0EEEvSF_ ; -- Begin function _ZN7rocprim17ROCPRIM_400000_NS6detail17trampoline_kernelINS0_14default_configENS1_38merge_sort_block_merge_config_selectorIhNS0_10empty_typeEEEZZNS1_27merge_sort_block_merge_implIS3_PhPS5_jNS1_19radix_merge_compareILb0ELb1EhNS0_19identity_decomposerEEEEE10hipError_tT0_T1_T2_jT3_P12ihipStream_tbPNSt15iterator_traitsISE_E10value_typeEPNSK_ISF_E10value_typeEPSG_NS1_7vsmem_tEENKUlT_SE_SF_SG_E_clIS8_S8_S9_S9_EESD_ST_SE_SF_SG_EUlST_E0_NS1_11comp_targetILNS1_3genE0ELNS1_11target_archE4294967295ELNS1_3gpuE0ELNS1_3repE0EEENS1_38merge_mergepath_config_static_selectorELNS0_4arch9wavefront6targetE0EEEvSF_
	.globl	_ZN7rocprim17ROCPRIM_400000_NS6detail17trampoline_kernelINS0_14default_configENS1_38merge_sort_block_merge_config_selectorIhNS0_10empty_typeEEEZZNS1_27merge_sort_block_merge_implIS3_PhPS5_jNS1_19radix_merge_compareILb0ELb1EhNS0_19identity_decomposerEEEEE10hipError_tT0_T1_T2_jT3_P12ihipStream_tbPNSt15iterator_traitsISE_E10value_typeEPNSK_ISF_E10value_typeEPSG_NS1_7vsmem_tEENKUlT_SE_SF_SG_E_clIS8_S8_S9_S9_EESD_ST_SE_SF_SG_EUlST_E0_NS1_11comp_targetILNS1_3genE0ELNS1_11target_archE4294967295ELNS1_3gpuE0ELNS1_3repE0EEENS1_38merge_mergepath_config_static_selectorELNS0_4arch9wavefront6targetE0EEEvSF_
	.p2align	8
	.type	_ZN7rocprim17ROCPRIM_400000_NS6detail17trampoline_kernelINS0_14default_configENS1_38merge_sort_block_merge_config_selectorIhNS0_10empty_typeEEEZZNS1_27merge_sort_block_merge_implIS3_PhPS5_jNS1_19radix_merge_compareILb0ELb1EhNS0_19identity_decomposerEEEEE10hipError_tT0_T1_T2_jT3_P12ihipStream_tbPNSt15iterator_traitsISE_E10value_typeEPNSK_ISF_E10value_typeEPSG_NS1_7vsmem_tEENKUlT_SE_SF_SG_E_clIS8_S8_S9_S9_EESD_ST_SE_SF_SG_EUlST_E0_NS1_11comp_targetILNS1_3genE0ELNS1_11target_archE4294967295ELNS1_3gpuE0ELNS1_3repE0EEENS1_38merge_mergepath_config_static_selectorELNS0_4arch9wavefront6targetE0EEEvSF_,@function
_ZN7rocprim17ROCPRIM_400000_NS6detail17trampoline_kernelINS0_14default_configENS1_38merge_sort_block_merge_config_selectorIhNS0_10empty_typeEEEZZNS1_27merge_sort_block_merge_implIS3_PhPS5_jNS1_19radix_merge_compareILb0ELb1EhNS0_19identity_decomposerEEEEE10hipError_tT0_T1_T2_jT3_P12ihipStream_tbPNSt15iterator_traitsISE_E10value_typeEPNSK_ISF_E10value_typeEPSG_NS1_7vsmem_tEENKUlT_SE_SF_SG_E_clIS8_S8_S9_S9_EESD_ST_SE_SF_SG_EUlST_E0_NS1_11comp_targetILNS1_3genE0ELNS1_11target_archE4294967295ELNS1_3gpuE0ELNS1_3repE0EEENS1_38merge_mergepath_config_static_selectorELNS0_4arch9wavefront6targetE0EEEvSF_: ; @_ZN7rocprim17ROCPRIM_400000_NS6detail17trampoline_kernelINS0_14default_configENS1_38merge_sort_block_merge_config_selectorIhNS0_10empty_typeEEEZZNS1_27merge_sort_block_merge_implIS3_PhPS5_jNS1_19radix_merge_compareILb0ELb1EhNS0_19identity_decomposerEEEEE10hipError_tT0_T1_T2_jT3_P12ihipStream_tbPNSt15iterator_traitsISE_E10value_typeEPNSK_ISF_E10value_typeEPSG_NS1_7vsmem_tEENKUlT_SE_SF_SG_E_clIS8_S8_S9_S9_EESD_ST_SE_SF_SG_EUlST_E0_NS1_11comp_targetILNS1_3genE0ELNS1_11target_archE4294967295ELNS1_3gpuE0ELNS1_3repE0EEENS1_38merge_mergepath_config_static_selectorELNS0_4arch9wavefront6targetE0EEEvSF_
; %bb.0:
	s_bfe_u32 s2, ttmp6, 0x40010
	s_and_b32 s4, ttmp7, 0xffff
	s_add_co_i32 s5, s2, 1
	s_clause 0x1
	s_load_b32 s6, s[0:1], 0x30
	s_load_b64 s[2:3], s[0:1], 0x40
	s_bfe_u32 s8, ttmp6, 0x4000c
	s_mul_i32 s5, s4, s5
	s_bfe_u32 s7, ttmp6, 0x40004
	s_add_co_i32 s8, s8, 1
	s_bfe_u32 s9, ttmp6, 0x40014
	s_add_co_i32 s7, s7, s5
	s_and_b32 s5, ttmp6, 15
	s_mul_i32 s8, ttmp9, s8
	s_lshr_b32 s10, ttmp7, 16
	s_add_co_i32 s9, s9, 1
	s_add_co_i32 s5, s5, s8
	s_mul_i32 s8, s10, s9
	s_bfe_u32 s9, ttmp6, 0x40008
	s_getreg_b32 s11, hwreg(HW_REG_IB_STS2, 6, 4)
	s_add_co_i32 s9, s9, s8
	s_cmp_eq_u32 s11, 0
	s_cselect_b32 s8, s10, s9
	s_cselect_b32 s4, s4, s7
	s_wait_kmcnt 0x0
	s_mul_i32 s8, s3, s8
	s_cselect_b32 s3, ttmp9, s5
	s_add_co_i32 s4, s8, s4
	s_mov_b32 s5, 0
	s_mul_i32 s4, s4, s2
	s_delay_alu instid0(SALU_CYCLE_1) | instskip(NEXT) | instid1(SALU_CYCLE_1)
	s_add_co_i32 s4, s4, s3
	s_cmp_ge_u32 s4, s6
	s_cbranch_scc1 .LBB185_49
; %bb.1:
	v_mov_b32_e32 v1, 0
	s_add_nc_u64 s[6:7], s[0:1], 64
	global_load_b32 v2, v1, s[6:7] offset:14
	s_clause 0x2
	s_load_b64 s[8:9], s[0:1], 0x28
	s_load_b64 s[10:11], s[0:1], 0x38
	;; [unrolled: 1-line block ×3, first 2 shown]
	s_wait_kmcnt 0x0
	s_lshr_b32 s20, s8, 10
	s_delay_alu instid0(SALU_CYCLE_1) | instskip(SKIP_2) | instid1(SALU_CYCLE_1)
	s_cmp_lg_u32 s4, s20
	s_cselect_b32 s14, -1, 0
	s_lshl_b64 s[16:17], s[4:5], 2
	s_add_nc_u64 s[10:11], s[10:11], s[16:17]
	s_load_b64 s[16:17], s[10:11], 0x0
	s_wait_xcnt 0x0
	s_lshr_b32 s10, s9, 9
	s_delay_alu instid0(SALU_CYCLE_1) | instskip(NEXT) | instid1(SALU_CYCLE_1)
	s_and_b32 s10, s10, 0x7ffffe
	s_sub_co_i32 s11, 0, s10
	s_lshl_b32 s10, s4, 10
	s_and_b32 s15, s4, s11
	s_or_b32 s11, s4, s11
	s_lshl_b32 s18, s15, 11
	s_lshl_b32 s15, s15, 10
	s_add_co_i32 s18, s18, s9
	s_sub_co_i32 s19, s10, s15
	s_sub_co_i32 s15, s18, s15
	s_add_co_i32 s18, s18, s19
	s_min_u32 s19, s8, s15
	s_add_co_i32 s15, s15, s9
	s_wait_kmcnt 0x0
	s_sub_co_i32 s9, s18, s16
	s_sub_co_i32 s21, s18, s17
	s_min_u32 s18, s8, s9
	s_addk_co_i32 s21, 0x400
	s_cmp_eq_u32 s11, -1
	s_cselect_b32 s9, s15, s21
	s_cselect_b32 s11, s19, s17
	s_min_u32 s15, s9, s8
	s_sub_co_i32 s9, s11, s16
	s_sub_co_i32 s15, s15, s18
	s_cmp_lt_u32 s3, s2
	s_mov_b32 s3, s5
	s_cselect_b32 s2, 12, 18
	s_mov_b32 s17, s5
	s_add_nc_u64 s[2:3], s[6:7], s[2:3]
	s_mov_b32 s19, s5
	s_load_u16 s2, s[2:3], 0x0
	s_add_nc_u64 s[6:7], s[12:13], s[16:17]
	s_cmp_eq_u32 s4, s20
	s_add_nc_u64 s[12:13], s[12:13], s[18:19]
	s_wait_loadcnt 0x0
	v_lshrrev_b32_e32 v3, 16, v2
	v_and_b32_e32 v2, 0xffff, v2
	s_delay_alu instid0(VALU_DEP_1) | instskip(SKIP_1) | instid1(VALU_DEP_1)
	v_mul_lo_u32 v2, v2, v3
	s_wait_kmcnt 0x0
	v_mul_lo_u32 v8, v2, s2
	s_mov_b32 s2, -1
	s_delay_alu instid0(VALU_DEP_1) | instskip(NEXT) | instid1(VALU_DEP_1)
	v_add_nc_u32_e32 v6, v8, v0
	v_add_nc_u32_e32 v4, v6, v8
	s_cbranch_scc1 .LBB185_3
; %bb.2:
	v_sub_co_u32 v10, vcc_lo, v0, s9
	v_dual_mov_b32 v11, v1 :: v_dual_mov_b32 v7, v1
	v_add_nc_u64_e32 v[2:3], s[6:7], v[0:1]
	v_sub_co_u32 v14, s2, v6, s9
	s_delay_alu instid0(VALU_DEP_3) | instskip(SKIP_3) | instid1(VALU_DEP_3)
	v_add_nc_u64_e32 v[10:11], s[12:13], v[10:11]
	v_dual_mov_b32 v15, v1 :: v_dual_mov_b32 v5, v1
	v_add_nc_u64_e32 v[12:13], s[6:7], v[6:7]
	v_dual_mov_b32 v17, v1 :: v_dual_add_nc_u32 v18, v4, v8
	v_add_nc_u64_e32 v[14:15], s[12:13], v[14:15]
	v_dual_cndmask_b32 v3, v11, v3 :: v_dual_cndmask_b32 v2, v10, v2
	v_sub_co_u32 v16, vcc_lo, v4, s9
	v_add_nc_u64_e32 v[10:11], s[6:7], v[4:5]
	s_delay_alu instid0(VALU_DEP_4) | instskip(SKIP_1) | instid1(VALU_DEP_4)
	v_dual_mov_b32 v19, v1 :: v_dual_cndmask_b32 v13, v15, v13, s2
	v_dual_cndmask_b32 v12, v14, v12, s2 :: v_dual_mov_b32 v25, v1
	v_add_nc_u64_e32 v[14:15], s[12:13], v[16:17]
	v_add_nc_u32_e32 v16, v18, v8
	s_delay_alu instid0(VALU_DEP_4)
	v_add_nc_u64_e32 v[20:21], s[6:7], v[18:19]
	v_sub_co_u32 v18, s2, v18, s9
	s_add_co_i32 s11, s15, s9
	v_dual_mov_b32 v27, v1 :: v_dual_cndmask_b32 v11, v15, v11, vcc_lo
	v_add_nc_u64_e32 v[22:23], s[6:7], v[16:17]
	v_sub_co_u32 v24, s3, v16, s9
	v_dual_add_nc_u32 v16, v16, v8 :: v_dual_cndmask_b32 v10, v14, v10, vcc_lo
	v_mov_b32_e32 v29, v1
	v_add_nc_u64_e32 v[14:15], s[12:13], v[18:19]
	s_delay_alu instid0(VALU_DEP_4) | instskip(NEXT) | instid1(VALU_DEP_4)
	v_add_nc_u64_e32 v[18:19], s[12:13], v[24:25]
	v_add_nc_u32_e32 v26, v16, v8
	v_add_nc_u64_e32 v[24:25], s[6:7], v[16:17]
	v_sub_co_u32 v16, vcc_lo, v16, s9
	s_delay_alu instid0(VALU_DEP_3) | instskip(SKIP_2) | instid1(VALU_DEP_4)
	v_add_nc_u32_e32 v28, v26, v8
	v_add_nc_u64_e32 v[30:31], s[6:7], v[26:27]
	v_sub_co_u32 v26, s4, v26, s9
	v_add_nc_u64_e32 v[16:17], s[12:13], v[16:17]
	s_delay_alu instid0(VALU_DEP_4) | instskip(SKIP_3) | instid1(VALU_DEP_3)
	v_add_nc_u64_e32 v[32:33], s[6:7], v[28:29]
	v_sub_co_u32 v28, s5, v28, s9
	v_dual_cndmask_b32 v15, v15, v21, s2 :: v_dual_cndmask_b32 v14, v14, v20, s2
	v_add_nc_u64_e32 v[26:27], s[12:13], v[26:27]
	v_add_nc_u64_e32 v[20:21], s[12:13], v[28:29]
	v_dual_cndmask_b32 v19, v19, v23, s3 :: v_dual_cndmask_b32 v18, v18, v22, s3
	v_dual_cndmask_b32 v17, v17, v25 :: v_dual_cndmask_b32 v16, v16, v24
	s_delay_alu instid0(VALU_DEP_4) | instskip(NEXT) | instid1(VALU_DEP_4)
	v_dual_cndmask_b32 v23, v27, v31, s4 :: v_dual_cndmask_b32 v22, v26, v30, s4
	v_dual_cndmask_b32 v21, v21, v33, s5 :: v_dual_cndmask_b32 v20, v20, v32, s5
	global_load_u8 v1, v[2:3], off
	global_load_u8 v5, v[12:13], off
	;; [unrolled: 1-line block ×8, first 2 shown]
	s_wait_loadcnt 0x6
	v_perm_b32 v1, v1, v5, 0xc0c0004
	s_wait_loadcnt 0x4
	v_perm_b32 v2, v7, v9, 0xc0c0004
	;; [unrolled: 2-line block ×4, first 2 shown]
	v_lshl_or_b32 v2, v2, 16, v1
	s_delay_alu instid0(VALU_DEP_2)
	v_lshl_or_b32 v3, v5, 16, v3
	s_cbranch_execz .LBB185_4
	s_branch .LBB185_19
.LBB185_3:
                                        ; implicit-def: $vgpr2_vgpr3
                                        ; implicit-def: $sgpr11
	s_and_not1_b32 vcc_lo, exec_lo, s2
	s_cbranch_vccnz .LBB185_19
.LBB185_4:
	v_mov_b64_e32 v[2:3], 0
	s_add_co_i32 s11, s15, s9
	s_mov_b32 s2, exec_lo
	v_cmpx_gt_u32_e64 s11, v0
	s_cbranch_execnz .LBB185_50
; %bb.5:
	s_or_b32 exec_lo, exec_lo, s2
	s_delay_alu instid0(SALU_CYCLE_1)
	s_mov_b32 s2, exec_lo
	v_cmpx_gt_u32_e64 s11, v6
	s_cbranch_execnz .LBB185_51
.LBB185_6:
	s_or_b32 exec_lo, exec_lo, s2
	s_delay_alu instid0(SALU_CYCLE_1)
	s_mov_b32 s2, exec_lo
	v_cmpx_gt_u32_e64 s11, v4
	s_cbranch_execz .LBB185_8
.LBB185_7:
	v_sub_co_u32 v10, vcc_lo, v4, s9
	v_mov_b32_e32 v5, 0
	s_delay_alu instid0(VALU_DEP_1) | instskip(SKIP_1) | instid1(VALU_DEP_1)
	v_add_nc_u64_e32 v[6:7], s[6:7], v[4:5]
	v_mov_b32_e32 v11, v5
	v_add_nc_u64_e32 v[10:11], s[12:13], v[10:11]
	s_delay_alu instid0(VALU_DEP_1) | instskip(SKIP_3) | instid1(VALU_DEP_1)
	v_dual_cndmask_b32 v7, v11, v7 :: v_dual_cndmask_b32 v6, v10, v6
	global_load_u8 v1, v[6:7], off
	s_wait_loadcnt 0x0
	v_perm_b32 v1, v1, v2, 0xc0c0304
	v_lshlrev_b32_e32 v1, 16, v1
	s_delay_alu instid0(VALU_DEP_1)
	v_and_or_b32 v2, 0xffff, v2, v1
.LBB185_8:
	s_or_b32 exec_lo, exec_lo, s2
	v_add_nc_u32_e32 v4, v4, v8
	s_mov_b32 s2, exec_lo
	s_delay_alu instid0(VALU_DEP_1)
	v_cmpx_gt_u32_e64 s11, v4
	s_cbranch_execz .LBB185_10
; %bb.9:
	v_sub_co_u32 v10, vcc_lo, v4, s9
	v_mov_b32_e32 v5, 0
	s_delay_alu instid0(VALU_DEP_1) | instskip(SKIP_1) | instid1(VALU_DEP_1)
	v_add_nc_u64_e32 v[6:7], s[6:7], v[4:5]
	v_mov_b32_e32 v11, v5
	v_add_nc_u64_e32 v[10:11], s[12:13], v[10:11]
	s_delay_alu instid0(VALU_DEP_1) | instskip(SKIP_3) | instid1(VALU_DEP_1)
	v_dual_cndmask_b32 v7, v11, v7 :: v_dual_cndmask_b32 v6, v10, v6
	global_load_u8 v1, v[6:7], off
	s_wait_loadcnt 0x0
	v_perm_b32 v1, v2, v1, 0xc0c0006
	v_lshlrev_b32_e32 v1, 16, v1
	s_delay_alu instid0(VALU_DEP_1)
	v_and_or_b32 v2, 0xffff, v2, v1
.LBB185_10:
	s_or_b32 exec_lo, exec_lo, s2
	v_add_nc_u32_e32 v4, v4, v8
	s_mov_b32 s2, exec_lo
	s_delay_alu instid0(VALU_DEP_1)
	v_cmpx_gt_u32_e64 s11, v4
	s_cbranch_execz .LBB185_12
; %bb.11:
	v_sub_co_u32 v10, vcc_lo, v4, s9
	v_mov_b32_e32 v5, 0
	s_delay_alu instid0(VALU_DEP_1) | instskip(SKIP_1) | instid1(VALU_DEP_1)
	v_add_nc_u64_e32 v[6:7], s[6:7], v[4:5]
	v_mov_b32_e32 v11, v5
	v_add_nc_u64_e32 v[10:11], s[12:13], v[10:11]
	s_delay_alu instid0(VALU_DEP_1)
	v_dual_cndmask_b32 v7, v11, v7 :: v_dual_cndmask_b32 v6, v10, v6
	global_load_u8 v1, v[6:7], off
	s_wait_loadcnt 0x0
	v_perm_b32 v3, v1, v3, 0x3020104
.LBB185_12:
	s_or_b32 exec_lo, exec_lo, s2
	v_add_nc_u32_e32 v4, v4, v8
	s_mov_b32 s2, exec_lo
	s_delay_alu instid0(VALU_DEP_1)
	v_cmpx_gt_u32_e64 s11, v4
	s_cbranch_execz .LBB185_14
; %bb.13:
	v_sub_co_u32 v10, vcc_lo, v4, s9
	v_mov_b32_e32 v5, 0
	s_delay_alu instid0(VALU_DEP_1) | instskip(SKIP_1) | instid1(VALU_DEP_1)
	v_add_nc_u64_e32 v[6:7], s[6:7], v[4:5]
	v_mov_b32_e32 v11, v5
	v_add_nc_u64_e32 v[10:11], s[12:13], v[10:11]
	s_delay_alu instid0(VALU_DEP_1)
	v_dual_cndmask_b32 v7, v11, v7 :: v_dual_cndmask_b32 v6, v10, v6
	global_load_u8 v1, v[6:7], off
	s_wait_loadcnt 0x0
	v_perm_b32 v3, v3, v1, 0x7060004
.LBB185_14:
	;; [unrolled: 19-line block ×3, first 2 shown]
	s_or_b32 exec_lo, exec_lo, s2
	v_add_nc_u32_e32 v4, v4, v8
	s_mov_b32 s2, exec_lo
	s_delay_alu instid0(VALU_DEP_1)
	v_cmpx_gt_u32_e64 s11, v4
	s_cbranch_execz .LBB185_18
; %bb.17:
	v_mov_b32_e32 v5, 0
	s_delay_alu instid0(VALU_DEP_1) | instskip(SKIP_1) | instid1(VALU_DEP_1)
	v_add_nc_u64_e32 v[6:7], s[6:7], v[4:5]
	v_sub_co_u32 v4, vcc_lo, v4, s9
	v_add_nc_u64_e32 v[4:5], s[12:13], v[4:5]
	s_delay_alu instid0(VALU_DEP_1)
	v_dual_cndmask_b32 v5, v5, v7 :: v_dual_cndmask_b32 v4, v4, v6
	global_load_u8 v1, v[4:5], off
	s_wait_loadcnt 0x0
	v_perm_b32 v3, v3, v1, 0x60504
.LBB185_18:
	s_or_b32 exec_lo, exec_lo, s2
.LBB185_19:
	s_clause 0x1
	s_load_b64 s[12:13], s[0:1], 0x10
	s_load_b32 s16, s[0:1], 0x34
	v_dual_lshlrev_b32 v6, 3, v0 :: v_dual_lshrrev_b32 v7, 8, v2
	v_lshrrev_b64 v[4:5], 24, v[2:3]
	v_dual_lshrrev_b32 v8, 16, v2 :: v_dual_lshrrev_b32 v5, 8, v3
	s_delay_alu instid0(VALU_DEP_3)
	v_min_u32_e32 v1, s11, v6
	v_dual_lshrrev_b32 v9, 16, v3 :: v_dual_lshrrev_b32 v11, 24, v3
	s_wait_xcnt 0x0
	s_mov_b32 s0, exec_lo
	ds_store_b8 v0, v2
	ds_store_b8 v0, v7 offset:128
	ds_store_b8 v0, v8 offset:256
	;; [unrolled: 1-line block ×7, first 2 shown]
	v_sub_nc_u32_e64 v10, v1, s15 clamp
	v_min_u32_e32 v12, s9, v1
	s_wait_dscnt 0x0
	s_barrier_signal -1
	s_barrier_wait -1
	s_delay_alu instid0(VALU_DEP_1)
	v_cmpx_lt_u32_e64 v10, v12
	s_cbranch_execz .LBB185_23
; %bb.20:
	v_add_nc_u32_e32 v13, s9, v1
	s_mov_b32 s1, 0
.LBB185_21:                             ; =>This Inner Loop Header: Depth=1
	v_add_nc_u32_e32 v14, v12, v10
	s_delay_alu instid0(VALU_DEP_1) | instskip(NEXT) | instid1(VALU_DEP_1)
	v_lshrrev_b32_e32 v14, 1, v14
	v_xad_u32 v15, v14, -1, v13
	ds_load_u8 v16, v14
	ds_load_u8 v15, v15
	s_wait_dscnt 0x1
	s_wait_kmcnt 0x0
	v_bitop3_b16 v16, v16, 0xff, s16 bitop3:0x80
	s_wait_dscnt 0x0
	v_bitop3_b16 v15, v15, 0xff, s16 bitop3:0x80
	s_delay_alu instid0(VALU_DEP_1) | instskip(SKIP_1) | instid1(VALU_DEP_1)
	v_cmp_gt_u16_e32 vcc_lo, v16, v15
	v_dual_cndmask_b32 v12, v12, v14 :: v_dual_add_nc_u32 v17, 1, v14
	v_cndmask_b32_e32 v10, v17, v10, vcc_lo
	s_delay_alu instid0(VALU_DEP_1) | instskip(SKIP_1) | instid1(SALU_CYCLE_1)
	v_cmp_ge_u32_e32 vcc_lo, v10, v12
	s_or_b32 s1, vcc_lo, s1
	s_and_not1_b32 exec_lo, exec_lo, s1
	s_cbranch_execnz .LBB185_21
; %bb.22:
	s_or_b32 exec_lo, exec_lo, s1
.LBB185_23:
	s_delay_alu instid0(SALU_CYCLE_1) | instskip(SKIP_2) | instid1(VALU_DEP_2)
	s_or_b32 exec_lo, exec_lo, s0
	v_sub_nc_u32_e32 v1, v1, v10
	v_cmp_ge_u32_e32 vcc_lo, s9, v10
	v_add_nc_u32_e32 v12, s9, v1
	s_delay_alu instid0(VALU_DEP_1) | instskip(SKIP_1) | instid1(SALU_CYCLE_1)
	v_cmp_ge_u32_e64 s0, s11, v12
	s_or_b32 s0, vcc_lo, s0
	s_and_saveexec_b32 s15, s0
	s_cbranch_execz .LBB185_29
; %bb.24:
	v_cmp_gt_u32_e32 vcc_lo, s9, v10
                                        ; implicit-def: $vgpr1
	s_and_saveexec_b32 s0, vcc_lo
; %bb.25:
	ds_load_u8 v1, v10
; %bb.26:
	s_or_b32 exec_lo, exec_lo, s0
	v_cmp_le_u32_e64 s0, s11, v12
	s_mov_b32 s2, exec_lo
                                        ; implicit-def: $vgpr2
	v_cmpx_gt_u32_e64 s11, v12
; %bb.27:
	ds_load_u8 v2, v12
; %bb.28:
	s_or_b32 exec_lo, exec_lo, s2
	s_wait_dscnt 0x0
	s_wait_kmcnt 0x0
	v_bitop3_b16 v3, v2, 0xff, s16 bitop3:0x80
	v_bitop3_b16 v4, v1, 0xff, s16 bitop3:0x80
	s_delay_alu instid0(VALU_DEP_1) | instskip(SKIP_1) | instid1(SALU_CYCLE_1)
	v_cmp_le_u16_e64 s1, v4, v3
	s_and_b32 s1, vcc_lo, s1
	s_or_b32 vcc_lo, s0, s1
	v_dual_mov_b32 v3, s9 :: v_dual_cndmask_b32 v4, v12, v10
	s_delay_alu instid0(VALU_DEP_1) | instskip(NEXT) | instid1(VALU_DEP_1)
	v_dual_cndmask_b32 v5, s11, v3 :: v_dual_add_nc_u32 v4, 1, v4
	v_add_min_u32_e64 v5, v5, -1, v4
	v_cndmask_b32_e32 v8, v10, v4, vcc_lo
	v_cndmask_b32_e32 v4, v4, v12, vcc_lo
	ds_load_u8 v5, v5
	v_cmp_gt_u32_e64 s0, s9, v8
	v_cmp_le_u32_e64 s2, s11, v4
	s_wait_dscnt 0x0
	v_cndmask_b32_e32 v7, v5, v2, vcc_lo
	v_cndmask_b32_e32 v5, v1, v5, vcc_lo
	;; [unrolled: 1-line block ×3, first 2 shown]
	s_delay_alu instid0(VALU_DEP_3) | instskip(NEXT) | instid1(VALU_DEP_3)
	v_bitop3_b16 v9, v7, 0xff, s16 bitop3:0x80
	v_bitop3_b16 v10, v5, 0xff, s16 bitop3:0x80
	s_delay_alu instid0(VALU_DEP_1) | instskip(SKIP_1) | instid1(SALU_CYCLE_1)
	v_cmp_le_u16_e64 s1, v10, v9
	s_and_b32 s0, s0, s1
	s_or_b32 s0, s2, s0
	s_delay_alu instid0(SALU_CYCLE_1) | instskip(NEXT) | instid1(VALU_DEP_1)
	v_cndmask_b32_e64 v9, v4, v8, s0
	v_dual_cndmask_b32 v10, s11, v3, s0 :: v_dual_add_nc_u32 v9, 1, v9
	s_delay_alu instid0(VALU_DEP_1)
	v_add_min_u32_e64 v10, v10, -1, v9
	v_dual_cndmask_b32 v8, v8, v9, s0 :: v_dual_cndmask_b32 v4, v9, v4, s0
	ds_load_u8 v10, v10
	v_cmp_gt_u32_e64 s1, s9, v8
	v_cmp_le_u32_e64 s3, s11, v4
	s_wait_dscnt 0x0
	v_dual_cndmask_b32 v11, v10, v7, s0 :: v_dual_cndmask_b32 v10, v5, v10, s0
	v_cndmask_b32_e64 v7, v7, v5, s0
	s_delay_alu instid0(VALU_DEP_2) | instskip(NEXT) | instid1(VALU_DEP_3)
	v_bitop3_b16 v12, v11, 0xff, s16 bitop3:0x80
	v_bitop3_b16 v13, v10, 0xff, s16 bitop3:0x80
	s_delay_alu instid0(VALU_DEP_1) | instskip(SKIP_1) | instid1(SALU_CYCLE_1)
	v_cmp_le_u16_e64 s2, v13, v12
	s_and_b32 s1, s1, s2
	s_or_b32 s1, s3, s1
	s_delay_alu instid0(SALU_CYCLE_1) | instskip(NEXT) | instid1(VALU_DEP_1)
	v_cndmask_b32_e64 v9, v4, v8, s1
	v_dual_cndmask_b32 v12, s11, v3, s1 :: v_dual_add_nc_u32 v9, 1, v9
	s_delay_alu instid0(VALU_DEP_1)
	v_add_min_u32_e64 v12, v12, -1, v9
	v_dual_cndmask_b32 v8, v8, v9, s1 :: v_dual_cndmask_b32 v4, v9, v4, s1
	ds_load_u8 v12, v12
	v_cmp_gt_u32_e64 s2, s9, v8
	v_cmp_le_u32_e64 s4, s11, v4
	s_wait_dscnt 0x0
	v_dual_cndmask_b32 v13, v12, v11, s1 :: v_dual_cndmask_b32 v12, v10, v12, s1
	s_delay_alu instid0(VALU_DEP_1) | instskip(NEXT) | instid1(VALU_DEP_2)
	v_bitop3_b16 v14, v13, 0xff, s16 bitop3:0x80
	v_bitop3_b16 v15, v12, 0xff, s16 bitop3:0x80
	s_delay_alu instid0(VALU_DEP_1) | instskip(SKIP_1) | instid1(SALU_CYCLE_1)
	v_cmp_le_u16_e64 s3, v15, v14
	s_and_b32 s2, s2, s3
	s_or_b32 s2, s4, s2
	s_delay_alu instid0(SALU_CYCLE_1) | instskip(NEXT) | instid1(VALU_DEP_1)
	v_cndmask_b32_e64 v9, v4, v8, s2
	v_dual_cndmask_b32 v14, s11, v3, s2 :: v_dual_add_nc_u32 v9, 1, v9
	s_delay_alu instid0(VALU_DEP_1)
	v_add_min_u32_e64 v14, v14, -1, v9
	v_cndmask_b32_e64 v4, v9, v4, s2
	ds_load_u8 v14, v14
	v_cmp_le_u32_e64 s5, s11, v4
	s_wait_dscnt 0x0
	v_dual_cndmask_b32 v15, v14, v13, s2 :: v_dual_cndmask_b32 v14, v12, v14, s2
	v_cndmask_b32_e64 v8, v8, v9, s2
	s_delay_alu instid0(VALU_DEP_2) | instskip(NEXT) | instid1(VALU_DEP_3)
	v_bitop3_b16 v16, v15, 0xff, s16 bitop3:0x80
	v_bitop3_b16 v17, v14, 0xff, s16 bitop3:0x80
	s_delay_alu instid0(VALU_DEP_3) | instskip(NEXT) | instid1(VALU_DEP_2)
	v_cmp_gt_u32_e64 s3, s9, v8
	v_cmp_le_u16_e64 s4, v17, v16
	s_and_b32 s3, s3, s4
	s_delay_alu instid0(SALU_CYCLE_1) | instskip(NEXT) | instid1(SALU_CYCLE_1)
	s_or_b32 s3, s5, s3
	v_cndmask_b32_e64 v9, v4, v8, s3
	s_delay_alu instid0(VALU_DEP_1) | instskip(NEXT) | instid1(VALU_DEP_1)
	v_dual_cndmask_b32 v16, s11, v3, s3 :: v_dual_add_nc_u32 v9, 1, v9
	v_add_min_u32_e64 v16, v16, -1, v9
	v_cndmask_b32_e64 v4, v9, v4, s3
	ds_load_u8 v16, v16
	v_cmp_le_u32_e64 s6, s11, v4
	s_wait_dscnt 0x0
	v_dual_cndmask_b32 v17, v16, v15, s3 :: v_dual_cndmask_b32 v16, v14, v16, s3
	v_cndmask_b32_e64 v8, v8, v9, s3
	s_delay_alu instid0(VALU_DEP_2) | instskip(NEXT) | instid1(VALU_DEP_3)
	v_bitop3_b16 v18, v17, 0xff, s16 bitop3:0x80
	v_bitop3_b16 v19, v16, 0xff, s16 bitop3:0x80
	s_delay_alu instid0(VALU_DEP_3) | instskip(NEXT) | instid1(VALU_DEP_2)
	v_cmp_gt_u32_e64 s4, s9, v8
	v_cmp_le_u16_e64 s5, v19, v18
	s_and_b32 s4, s4, s5
	s_delay_alu instid0(SALU_CYCLE_1) | instskip(NEXT) | instid1(SALU_CYCLE_1)
	s_or_b32 s4, s6, s4
	v_cndmask_b32_e64 v9, v4, v8, s4
	s_delay_alu instid0(VALU_DEP_1) | instskip(NEXT) | instid1(VALU_DEP_1)
	v_dual_cndmask_b32 v18, s11, v3, s4 :: v_dual_add_nc_u32 v9, 1, v9
	v_add_min_u32_e64 v18, v18, -1, v9
	v_dual_cndmask_b32 v4, v9, v4, s4 :: v_dual_cndmask_b32 v8, v8, v9, s4
	ds_load_u8 v18, v18
	v_cmp_le_u32_e64 s7, s11, v4
	v_cmp_gt_u32_e64 s5, s9, v8
	s_wait_dscnt 0x0
	v_dual_cndmask_b32 v19, v18, v17, s4 :: v_dual_cndmask_b32 v18, v16, v18, s4
	s_delay_alu instid0(VALU_DEP_1) | instskip(NEXT) | instid1(VALU_DEP_2)
	v_bitop3_b16 v20, v19, 0xff, s16 bitop3:0x80
	v_bitop3_b16 v21, v18, 0xff, s16 bitop3:0x80
	s_delay_alu instid0(VALU_DEP_1) | instskip(SKIP_1) | instid1(SALU_CYCLE_1)
	v_cmp_le_u16_e64 s6, v21, v20
	s_and_b32 s5, s5, s6
	s_or_b32 s5, s7, s5
	s_delay_alu instid0(SALU_CYCLE_1) | instskip(NEXT) | instid1(VALU_DEP_1)
	v_cndmask_b32_e64 v9, v4, v8, s5
	v_dual_cndmask_b32 v3, s11, v3, s5 :: v_dual_add_nc_u32 v9, 1, v9
	s_delay_alu instid0(VALU_DEP_1)
	v_add_min_u32_e64 v3, v3, -1, v9
	v_dual_cndmask_b32 v5, v9, v4, s5 :: v_dual_cndmask_b32 v1, v8, v9, s5
	v_dual_cndmask_b32 v8, v11, v10, s1 :: v_dual_cndmask_b32 v4, v13, v12, s2
	ds_load_u8 v3, v3
	v_cmp_le_u32_e64 s1, s11, v5
	v_cmp_gt_u32_e32 vcc_lo, s9, v1
	v_dual_cndmask_b32 v5, v17, v16, s4 :: v_dual_cndmask_b32 v9, v19, v18, s5
	s_wait_dscnt 0x0
	v_cndmask_b32_e64 v20, v3, v19, s5
	v_cndmask_b32_e64 v21, v18, v3, s5
	s_delay_alu instid0(VALU_DEP_2) | instskip(NEXT) | instid1(VALU_DEP_2)
	v_bitop3_b16 v3, v20, 0xff, s16 bitop3:0x80
	v_bitop3_b16 v22, v21, 0xff, s16 bitop3:0x80
	s_delay_alu instid0(VALU_DEP_1) | instskip(SKIP_2) | instid1(SALU_CYCLE_1)
	v_cmp_le_u16_e64 s0, v22, v3
	v_cndmask_b32_e64 v3, v15, v14, s3
	s_and_b32 s0, vcc_lo, s0
	s_or_b32 vcc_lo, s1, s0
	v_cndmask_b32_e32 v11, v20, v21, vcc_lo
.LBB185_29:
	s_or_b32 exec_lo, exec_lo, s15
	v_dual_mov_b32 v1, 0 :: v_dual_lshrrev_b32 v10, 2, v0
	v_perm_b32 v3, v3, v5, 0xc0c0004
	s_delay_alu instid0(VALU_DEP_3) | instskip(SKIP_1) | instid1(VALU_DEP_4)
	v_perm_b32 v5, v9, v11, 0xc0c0004
	v_perm_b32 v2, v2, v7, 0xc0c0004
	v_and_b32_e32 v10, 28, v10
	v_perm_b32 v4, v8, v4, 0xc0c0004
	s_mov_b32 s11, 0
	v_lshl_or_b32 v3, v5, 16, v3
	s_wait_kmcnt 0x0
	s_add_nc_u64 s[0:1], s[12:13], s[10:11]
	v_lshl_or_b32 v2, v4, 16, v2
	v_dual_add_nc_u32 v4, 4, v0 :: v_dual_add_nc_u32 v6, v10, v6
	v_add_nc_u32_e32 v5, 8, v0
	s_barrier_signal -1
	s_barrier_wait -1
	s_barrier_signal -1
	s_barrier_wait -1
	ds_store_2addr_b32 v6, v2, v3 offset1:1
	v_add_nc_u64_e32 v[2:3], s[0:1], v[0:1]
	v_dual_add_nc_u32 v6, 12, v0 :: v_dual_add_nc_u32 v7, 16, v0
	v_dual_add_nc_u32 v8, 20, v0 :: v_dual_add_nc_u32 v9, 24, v0
	v_add_nc_u32_e32 v10, 28, v0
	s_and_b32 vcc_lo, exec_lo, s14
	s_wait_dscnt 0x0
	s_cbranch_vccz .LBB185_31
; %bb.30:
	s_barrier_signal -1
	s_barrier_wait -1
	ds_load_u8 v11, v0
	ds_load_u8 v12, v4 offset:128
	ds_load_u8 v13, v5 offset:256
	;; [unrolled: 1-line block ×7, first 2 shown]
	s_mov_b32 s11, -1
	s_wait_dscnt 0x7
	global_store_b8 v[2:3], v11, off
	s_wait_dscnt 0x6
	global_store_b8 v[2:3], v12, off offset:128
	s_wait_dscnt 0x5
	global_store_b8 v[2:3], v13, off offset:256
	;; [unrolled: 2-line block ×6, first 2 shown]
	s_cbranch_execz .LBB185_32
	s_branch .LBB185_47
.LBB185_31:
                                        ; implicit-def: $vgpr1
.LBB185_32:
	s_barrier_signal -1
	s_barrier_wait -1
	s_wait_storecnt_dscnt 0x0
	s_wait_xcnt 0x4
	ds_load_u8 v13, v4 offset:128
	ds_load_u8 v12, v5 offset:256
	;; [unrolled: 1-line block ×7, first 2 shown]
	v_or_b32_e32 v7, 0x80, v0
	s_sub_co_i32 s0, s8, s10
	s_mov_b32 s1, exec_lo
	s_wait_xcnt 0x0
	v_cmpx_gt_u32_e64 s0, v0
	s_cbranch_execz .LBB185_34
; %bb.33:
	ds_load_u8 v8, v0
	s_wait_dscnt 0x0
	global_store_b8 v[2:3], v8, off
.LBB185_34:
	s_wait_xcnt 0x0
	s_or_b32 exec_lo, exec_lo, s1
	v_or_b32_e32 v8, 0x100, v0
	s_mov_b32 s1, exec_lo
	v_cmpx_gt_u32_e64 s0, v7
	s_cbranch_execz .LBB185_36
; %bb.35:
	s_wait_dscnt 0x6
	global_store_b8 v[2:3], v13, off offset:128
.LBB185_36:
	s_wait_xcnt 0x0
	s_or_b32 exec_lo, exec_lo, s1
	v_or_b32_e32 v7, 0x180, v0
	s_mov_b32 s1, exec_lo
	v_cmpx_gt_u32_e64 s0, v8
	s_cbranch_execz .LBB185_38
; %bb.37:
	s_wait_dscnt 0x5
	global_store_b8 v[2:3], v12, off offset:256
.LBB185_38:
	;; [unrolled: 10-line block ×4, first 2 shown]
	s_wait_xcnt 0x0
	s_or_b32 exec_lo, exec_lo, s1
	s_wait_dscnt 0x3
	v_or_b32_e32 v6, 0x300, v0
	s_mov_b32 s1, exec_lo
	v_cmpx_gt_u32_e64 s0, v7
	s_cbranch_execz .LBB185_44
; %bb.43:
	s_wait_dscnt 0x2
	global_store_b8 v[2:3], v5, off offset:640
.LBB185_44:
	s_wait_xcnt 0x0
	s_or_b32 exec_lo, exec_lo, s1
	v_or_b32_e32 v0, 0x380, v0
	s_mov_b32 s1, exec_lo
	v_cmpx_gt_u32_e64 s0, v6
	s_cbranch_execz .LBB185_46
; %bb.45:
	s_wait_dscnt 0x1
	global_store_b8 v[2:3], v4, off offset:768
.LBB185_46:
	s_wait_xcnt 0x0
	s_or_b32 exec_lo, exec_lo, s1
	v_cmp_gt_u32_e64 s11, s0, v0
.LBB185_47:
	s_wait_xcnt 0x0
	s_delay_alu instid0(VALU_DEP_1)
	s_and_saveexec_b32 s0, s11
	s_cbranch_execz .LBB185_49
; %bb.48:
	s_wait_dscnt 0x0
	global_store_b8 v[2:3], v1, off offset:896
.LBB185_49:
	s_endpgm
.LBB185_50:
	v_sub_co_u32 v10, vcc_lo, v0, s9
	v_mov_b32_e32 v1, 0
	s_mov_b32 s3, 0
	s_delay_alu instid0(VALU_DEP_1) | instskip(SKIP_1) | instid1(VALU_DEP_1)
	v_add_nc_u64_e32 v[2:3], s[6:7], v[0:1]
	v_mov_b32_e32 v11, v1
	v_add_nc_u64_e32 v[10:11], s[12:13], v[10:11]
	s_delay_alu instid0(VALU_DEP_1)
	v_dual_cndmask_b32 v3, v11, v3 :: v_dual_cndmask_b32 v2, v10, v2
	global_load_u8 v1, v[2:3], off
	s_wait_xcnt 0x0
	v_mov_b32_e32 v3, s3
	s_wait_loadcnt 0x0
	v_and_b32_e32 v2, 0xffff, v1
	s_or_b32 exec_lo, exec_lo, s2
	s_delay_alu instid0(SALU_CYCLE_1)
	s_mov_b32 s2, exec_lo
	v_cmpx_gt_u32_e64 s11, v6
	s_cbranch_execz .LBB185_6
.LBB185_51:
	v_mov_b32_e32 v7, 0
	s_delay_alu instid0(VALU_DEP_1) | instskip(SKIP_1) | instid1(VALU_DEP_1)
	v_add_nc_u64_e32 v[10:11], s[6:7], v[6:7]
	v_sub_co_u32 v6, vcc_lo, v6, s9
	v_add_nc_u64_e32 v[6:7], s[12:13], v[6:7]
	s_delay_alu instid0(VALU_DEP_1) | instskip(SKIP_4) | instid1(SALU_CYCLE_1)
	v_dual_cndmask_b32 v7, v7, v11 :: v_dual_cndmask_b32 v6, v6, v10
	global_load_u8 v1, v[6:7], off
	s_wait_loadcnt 0x0
	v_perm_b32 v2, v2, v1, 0x7060004
	s_or_b32 exec_lo, exec_lo, s2
	s_mov_b32 s2, exec_lo
	v_cmpx_gt_u32_e64 s11, v4
	s_cbranch_execnz .LBB185_7
	s_branch .LBB185_8
	.section	.rodata,"a",@progbits
	.p2align	6, 0x0
	.amdhsa_kernel _ZN7rocprim17ROCPRIM_400000_NS6detail17trampoline_kernelINS0_14default_configENS1_38merge_sort_block_merge_config_selectorIhNS0_10empty_typeEEEZZNS1_27merge_sort_block_merge_implIS3_PhPS5_jNS1_19radix_merge_compareILb0ELb1EhNS0_19identity_decomposerEEEEE10hipError_tT0_T1_T2_jT3_P12ihipStream_tbPNSt15iterator_traitsISE_E10value_typeEPNSK_ISF_E10value_typeEPSG_NS1_7vsmem_tEENKUlT_SE_SF_SG_E_clIS8_S8_S9_S9_EESD_ST_SE_SF_SG_EUlST_E0_NS1_11comp_targetILNS1_3genE0ELNS1_11target_archE4294967295ELNS1_3gpuE0ELNS1_3repE0EEENS1_38merge_mergepath_config_static_selectorELNS0_4arch9wavefront6targetE0EEEvSF_
		.amdhsa_group_segment_fixed_size 1056
		.amdhsa_private_segment_fixed_size 0
		.amdhsa_kernarg_size 320
		.amdhsa_user_sgpr_count 2
		.amdhsa_user_sgpr_dispatch_ptr 0
		.amdhsa_user_sgpr_queue_ptr 0
		.amdhsa_user_sgpr_kernarg_segment_ptr 1
		.amdhsa_user_sgpr_dispatch_id 0
		.amdhsa_user_sgpr_kernarg_preload_length 0
		.amdhsa_user_sgpr_kernarg_preload_offset 0
		.amdhsa_user_sgpr_private_segment_size 0
		.amdhsa_wavefront_size32 1
		.amdhsa_uses_dynamic_stack 0
		.amdhsa_enable_private_segment 0
		.amdhsa_system_sgpr_workgroup_id_x 1
		.amdhsa_system_sgpr_workgroup_id_y 1
		.amdhsa_system_sgpr_workgroup_id_z 1
		.amdhsa_system_sgpr_workgroup_info 0
		.amdhsa_system_vgpr_workitem_id 0
		.amdhsa_next_free_vgpr 34
		.amdhsa_next_free_sgpr 22
		.amdhsa_named_barrier_count 0
		.amdhsa_reserve_vcc 1
		.amdhsa_float_round_mode_32 0
		.amdhsa_float_round_mode_16_64 0
		.amdhsa_float_denorm_mode_32 3
		.amdhsa_float_denorm_mode_16_64 3
		.amdhsa_fp16_overflow 0
		.amdhsa_memory_ordered 1
		.amdhsa_forward_progress 1
		.amdhsa_inst_pref_size 33
		.amdhsa_round_robin_scheduling 0
		.amdhsa_exception_fp_ieee_invalid_op 0
		.amdhsa_exception_fp_denorm_src 0
		.amdhsa_exception_fp_ieee_div_zero 0
		.amdhsa_exception_fp_ieee_overflow 0
		.amdhsa_exception_fp_ieee_underflow 0
		.amdhsa_exception_fp_ieee_inexact 0
		.amdhsa_exception_int_div_zero 0
	.end_amdhsa_kernel
	.section	.text._ZN7rocprim17ROCPRIM_400000_NS6detail17trampoline_kernelINS0_14default_configENS1_38merge_sort_block_merge_config_selectorIhNS0_10empty_typeEEEZZNS1_27merge_sort_block_merge_implIS3_PhPS5_jNS1_19radix_merge_compareILb0ELb1EhNS0_19identity_decomposerEEEEE10hipError_tT0_T1_T2_jT3_P12ihipStream_tbPNSt15iterator_traitsISE_E10value_typeEPNSK_ISF_E10value_typeEPSG_NS1_7vsmem_tEENKUlT_SE_SF_SG_E_clIS8_S8_S9_S9_EESD_ST_SE_SF_SG_EUlST_E0_NS1_11comp_targetILNS1_3genE0ELNS1_11target_archE4294967295ELNS1_3gpuE0ELNS1_3repE0EEENS1_38merge_mergepath_config_static_selectorELNS0_4arch9wavefront6targetE0EEEvSF_,"axG",@progbits,_ZN7rocprim17ROCPRIM_400000_NS6detail17trampoline_kernelINS0_14default_configENS1_38merge_sort_block_merge_config_selectorIhNS0_10empty_typeEEEZZNS1_27merge_sort_block_merge_implIS3_PhPS5_jNS1_19radix_merge_compareILb0ELb1EhNS0_19identity_decomposerEEEEE10hipError_tT0_T1_T2_jT3_P12ihipStream_tbPNSt15iterator_traitsISE_E10value_typeEPNSK_ISF_E10value_typeEPSG_NS1_7vsmem_tEENKUlT_SE_SF_SG_E_clIS8_S8_S9_S9_EESD_ST_SE_SF_SG_EUlST_E0_NS1_11comp_targetILNS1_3genE0ELNS1_11target_archE4294967295ELNS1_3gpuE0ELNS1_3repE0EEENS1_38merge_mergepath_config_static_selectorELNS0_4arch9wavefront6targetE0EEEvSF_,comdat
.Lfunc_end185:
	.size	_ZN7rocprim17ROCPRIM_400000_NS6detail17trampoline_kernelINS0_14default_configENS1_38merge_sort_block_merge_config_selectorIhNS0_10empty_typeEEEZZNS1_27merge_sort_block_merge_implIS3_PhPS5_jNS1_19radix_merge_compareILb0ELb1EhNS0_19identity_decomposerEEEEE10hipError_tT0_T1_T2_jT3_P12ihipStream_tbPNSt15iterator_traitsISE_E10value_typeEPNSK_ISF_E10value_typeEPSG_NS1_7vsmem_tEENKUlT_SE_SF_SG_E_clIS8_S8_S9_S9_EESD_ST_SE_SF_SG_EUlST_E0_NS1_11comp_targetILNS1_3genE0ELNS1_11target_archE4294967295ELNS1_3gpuE0ELNS1_3repE0EEENS1_38merge_mergepath_config_static_selectorELNS0_4arch9wavefront6targetE0EEEvSF_, .Lfunc_end185-_ZN7rocprim17ROCPRIM_400000_NS6detail17trampoline_kernelINS0_14default_configENS1_38merge_sort_block_merge_config_selectorIhNS0_10empty_typeEEEZZNS1_27merge_sort_block_merge_implIS3_PhPS5_jNS1_19radix_merge_compareILb0ELb1EhNS0_19identity_decomposerEEEEE10hipError_tT0_T1_T2_jT3_P12ihipStream_tbPNSt15iterator_traitsISE_E10value_typeEPNSK_ISF_E10value_typeEPSG_NS1_7vsmem_tEENKUlT_SE_SF_SG_E_clIS8_S8_S9_S9_EESD_ST_SE_SF_SG_EUlST_E0_NS1_11comp_targetILNS1_3genE0ELNS1_11target_archE4294967295ELNS1_3gpuE0ELNS1_3repE0EEENS1_38merge_mergepath_config_static_selectorELNS0_4arch9wavefront6targetE0EEEvSF_
                                        ; -- End function
	.set _ZN7rocprim17ROCPRIM_400000_NS6detail17trampoline_kernelINS0_14default_configENS1_38merge_sort_block_merge_config_selectorIhNS0_10empty_typeEEEZZNS1_27merge_sort_block_merge_implIS3_PhPS5_jNS1_19radix_merge_compareILb0ELb1EhNS0_19identity_decomposerEEEEE10hipError_tT0_T1_T2_jT3_P12ihipStream_tbPNSt15iterator_traitsISE_E10value_typeEPNSK_ISF_E10value_typeEPSG_NS1_7vsmem_tEENKUlT_SE_SF_SG_E_clIS8_S8_S9_S9_EESD_ST_SE_SF_SG_EUlST_E0_NS1_11comp_targetILNS1_3genE0ELNS1_11target_archE4294967295ELNS1_3gpuE0ELNS1_3repE0EEENS1_38merge_mergepath_config_static_selectorELNS0_4arch9wavefront6targetE0EEEvSF_.num_vgpr, 34
	.set _ZN7rocprim17ROCPRIM_400000_NS6detail17trampoline_kernelINS0_14default_configENS1_38merge_sort_block_merge_config_selectorIhNS0_10empty_typeEEEZZNS1_27merge_sort_block_merge_implIS3_PhPS5_jNS1_19radix_merge_compareILb0ELb1EhNS0_19identity_decomposerEEEEE10hipError_tT0_T1_T2_jT3_P12ihipStream_tbPNSt15iterator_traitsISE_E10value_typeEPNSK_ISF_E10value_typeEPSG_NS1_7vsmem_tEENKUlT_SE_SF_SG_E_clIS8_S8_S9_S9_EESD_ST_SE_SF_SG_EUlST_E0_NS1_11comp_targetILNS1_3genE0ELNS1_11target_archE4294967295ELNS1_3gpuE0ELNS1_3repE0EEENS1_38merge_mergepath_config_static_selectorELNS0_4arch9wavefront6targetE0EEEvSF_.num_agpr, 0
	.set _ZN7rocprim17ROCPRIM_400000_NS6detail17trampoline_kernelINS0_14default_configENS1_38merge_sort_block_merge_config_selectorIhNS0_10empty_typeEEEZZNS1_27merge_sort_block_merge_implIS3_PhPS5_jNS1_19radix_merge_compareILb0ELb1EhNS0_19identity_decomposerEEEEE10hipError_tT0_T1_T2_jT3_P12ihipStream_tbPNSt15iterator_traitsISE_E10value_typeEPNSK_ISF_E10value_typeEPSG_NS1_7vsmem_tEENKUlT_SE_SF_SG_E_clIS8_S8_S9_S9_EESD_ST_SE_SF_SG_EUlST_E0_NS1_11comp_targetILNS1_3genE0ELNS1_11target_archE4294967295ELNS1_3gpuE0ELNS1_3repE0EEENS1_38merge_mergepath_config_static_selectorELNS0_4arch9wavefront6targetE0EEEvSF_.numbered_sgpr, 22
	.set _ZN7rocprim17ROCPRIM_400000_NS6detail17trampoline_kernelINS0_14default_configENS1_38merge_sort_block_merge_config_selectorIhNS0_10empty_typeEEEZZNS1_27merge_sort_block_merge_implIS3_PhPS5_jNS1_19radix_merge_compareILb0ELb1EhNS0_19identity_decomposerEEEEE10hipError_tT0_T1_T2_jT3_P12ihipStream_tbPNSt15iterator_traitsISE_E10value_typeEPNSK_ISF_E10value_typeEPSG_NS1_7vsmem_tEENKUlT_SE_SF_SG_E_clIS8_S8_S9_S9_EESD_ST_SE_SF_SG_EUlST_E0_NS1_11comp_targetILNS1_3genE0ELNS1_11target_archE4294967295ELNS1_3gpuE0ELNS1_3repE0EEENS1_38merge_mergepath_config_static_selectorELNS0_4arch9wavefront6targetE0EEEvSF_.num_named_barrier, 0
	.set _ZN7rocprim17ROCPRIM_400000_NS6detail17trampoline_kernelINS0_14default_configENS1_38merge_sort_block_merge_config_selectorIhNS0_10empty_typeEEEZZNS1_27merge_sort_block_merge_implIS3_PhPS5_jNS1_19radix_merge_compareILb0ELb1EhNS0_19identity_decomposerEEEEE10hipError_tT0_T1_T2_jT3_P12ihipStream_tbPNSt15iterator_traitsISE_E10value_typeEPNSK_ISF_E10value_typeEPSG_NS1_7vsmem_tEENKUlT_SE_SF_SG_E_clIS8_S8_S9_S9_EESD_ST_SE_SF_SG_EUlST_E0_NS1_11comp_targetILNS1_3genE0ELNS1_11target_archE4294967295ELNS1_3gpuE0ELNS1_3repE0EEENS1_38merge_mergepath_config_static_selectorELNS0_4arch9wavefront6targetE0EEEvSF_.private_seg_size, 0
	.set _ZN7rocprim17ROCPRIM_400000_NS6detail17trampoline_kernelINS0_14default_configENS1_38merge_sort_block_merge_config_selectorIhNS0_10empty_typeEEEZZNS1_27merge_sort_block_merge_implIS3_PhPS5_jNS1_19radix_merge_compareILb0ELb1EhNS0_19identity_decomposerEEEEE10hipError_tT0_T1_T2_jT3_P12ihipStream_tbPNSt15iterator_traitsISE_E10value_typeEPNSK_ISF_E10value_typeEPSG_NS1_7vsmem_tEENKUlT_SE_SF_SG_E_clIS8_S8_S9_S9_EESD_ST_SE_SF_SG_EUlST_E0_NS1_11comp_targetILNS1_3genE0ELNS1_11target_archE4294967295ELNS1_3gpuE0ELNS1_3repE0EEENS1_38merge_mergepath_config_static_selectorELNS0_4arch9wavefront6targetE0EEEvSF_.uses_vcc, 1
	.set _ZN7rocprim17ROCPRIM_400000_NS6detail17trampoline_kernelINS0_14default_configENS1_38merge_sort_block_merge_config_selectorIhNS0_10empty_typeEEEZZNS1_27merge_sort_block_merge_implIS3_PhPS5_jNS1_19radix_merge_compareILb0ELb1EhNS0_19identity_decomposerEEEEE10hipError_tT0_T1_T2_jT3_P12ihipStream_tbPNSt15iterator_traitsISE_E10value_typeEPNSK_ISF_E10value_typeEPSG_NS1_7vsmem_tEENKUlT_SE_SF_SG_E_clIS8_S8_S9_S9_EESD_ST_SE_SF_SG_EUlST_E0_NS1_11comp_targetILNS1_3genE0ELNS1_11target_archE4294967295ELNS1_3gpuE0ELNS1_3repE0EEENS1_38merge_mergepath_config_static_selectorELNS0_4arch9wavefront6targetE0EEEvSF_.uses_flat_scratch, 0
	.set _ZN7rocprim17ROCPRIM_400000_NS6detail17trampoline_kernelINS0_14default_configENS1_38merge_sort_block_merge_config_selectorIhNS0_10empty_typeEEEZZNS1_27merge_sort_block_merge_implIS3_PhPS5_jNS1_19radix_merge_compareILb0ELb1EhNS0_19identity_decomposerEEEEE10hipError_tT0_T1_T2_jT3_P12ihipStream_tbPNSt15iterator_traitsISE_E10value_typeEPNSK_ISF_E10value_typeEPSG_NS1_7vsmem_tEENKUlT_SE_SF_SG_E_clIS8_S8_S9_S9_EESD_ST_SE_SF_SG_EUlST_E0_NS1_11comp_targetILNS1_3genE0ELNS1_11target_archE4294967295ELNS1_3gpuE0ELNS1_3repE0EEENS1_38merge_mergepath_config_static_selectorELNS0_4arch9wavefront6targetE0EEEvSF_.has_dyn_sized_stack, 0
	.set _ZN7rocprim17ROCPRIM_400000_NS6detail17trampoline_kernelINS0_14default_configENS1_38merge_sort_block_merge_config_selectorIhNS0_10empty_typeEEEZZNS1_27merge_sort_block_merge_implIS3_PhPS5_jNS1_19radix_merge_compareILb0ELb1EhNS0_19identity_decomposerEEEEE10hipError_tT0_T1_T2_jT3_P12ihipStream_tbPNSt15iterator_traitsISE_E10value_typeEPNSK_ISF_E10value_typeEPSG_NS1_7vsmem_tEENKUlT_SE_SF_SG_E_clIS8_S8_S9_S9_EESD_ST_SE_SF_SG_EUlST_E0_NS1_11comp_targetILNS1_3genE0ELNS1_11target_archE4294967295ELNS1_3gpuE0ELNS1_3repE0EEENS1_38merge_mergepath_config_static_selectorELNS0_4arch9wavefront6targetE0EEEvSF_.has_recursion, 0
	.set _ZN7rocprim17ROCPRIM_400000_NS6detail17trampoline_kernelINS0_14default_configENS1_38merge_sort_block_merge_config_selectorIhNS0_10empty_typeEEEZZNS1_27merge_sort_block_merge_implIS3_PhPS5_jNS1_19radix_merge_compareILb0ELb1EhNS0_19identity_decomposerEEEEE10hipError_tT0_T1_T2_jT3_P12ihipStream_tbPNSt15iterator_traitsISE_E10value_typeEPNSK_ISF_E10value_typeEPSG_NS1_7vsmem_tEENKUlT_SE_SF_SG_E_clIS8_S8_S9_S9_EESD_ST_SE_SF_SG_EUlST_E0_NS1_11comp_targetILNS1_3genE0ELNS1_11target_archE4294967295ELNS1_3gpuE0ELNS1_3repE0EEENS1_38merge_mergepath_config_static_selectorELNS0_4arch9wavefront6targetE0EEEvSF_.has_indirect_call, 0
	.section	.AMDGPU.csdata,"",@progbits
; Kernel info:
; codeLenInByte = 4128
; TotalNumSgprs: 24
; NumVgprs: 34
; ScratchSize: 0
; MemoryBound: 0
; FloatMode: 240
; IeeeMode: 1
; LDSByteSize: 1056 bytes/workgroup (compile time only)
; SGPRBlocks: 0
; VGPRBlocks: 2
; NumSGPRsForWavesPerEU: 24
; NumVGPRsForWavesPerEU: 34
; NamedBarCnt: 0
; Occupancy: 16
; WaveLimiterHint : 1
; COMPUTE_PGM_RSRC2:SCRATCH_EN: 0
; COMPUTE_PGM_RSRC2:USER_SGPR: 2
; COMPUTE_PGM_RSRC2:TRAP_HANDLER: 0
; COMPUTE_PGM_RSRC2:TGID_X_EN: 1
; COMPUTE_PGM_RSRC2:TGID_Y_EN: 1
; COMPUTE_PGM_RSRC2:TGID_Z_EN: 1
; COMPUTE_PGM_RSRC2:TIDIG_COMP_CNT: 0
	.section	.text._ZN7rocprim17ROCPRIM_400000_NS6detail17trampoline_kernelINS0_14default_configENS1_38merge_sort_block_merge_config_selectorIhNS0_10empty_typeEEEZZNS1_27merge_sort_block_merge_implIS3_PhPS5_jNS1_19radix_merge_compareILb0ELb1EhNS0_19identity_decomposerEEEEE10hipError_tT0_T1_T2_jT3_P12ihipStream_tbPNSt15iterator_traitsISE_E10value_typeEPNSK_ISF_E10value_typeEPSG_NS1_7vsmem_tEENKUlT_SE_SF_SG_E_clIS8_S8_S9_S9_EESD_ST_SE_SF_SG_EUlST_E0_NS1_11comp_targetILNS1_3genE10ELNS1_11target_archE1201ELNS1_3gpuE5ELNS1_3repE0EEENS1_38merge_mergepath_config_static_selectorELNS0_4arch9wavefront6targetE0EEEvSF_,"axG",@progbits,_ZN7rocprim17ROCPRIM_400000_NS6detail17trampoline_kernelINS0_14default_configENS1_38merge_sort_block_merge_config_selectorIhNS0_10empty_typeEEEZZNS1_27merge_sort_block_merge_implIS3_PhPS5_jNS1_19radix_merge_compareILb0ELb1EhNS0_19identity_decomposerEEEEE10hipError_tT0_T1_T2_jT3_P12ihipStream_tbPNSt15iterator_traitsISE_E10value_typeEPNSK_ISF_E10value_typeEPSG_NS1_7vsmem_tEENKUlT_SE_SF_SG_E_clIS8_S8_S9_S9_EESD_ST_SE_SF_SG_EUlST_E0_NS1_11comp_targetILNS1_3genE10ELNS1_11target_archE1201ELNS1_3gpuE5ELNS1_3repE0EEENS1_38merge_mergepath_config_static_selectorELNS0_4arch9wavefront6targetE0EEEvSF_,comdat
	.protected	_ZN7rocprim17ROCPRIM_400000_NS6detail17trampoline_kernelINS0_14default_configENS1_38merge_sort_block_merge_config_selectorIhNS0_10empty_typeEEEZZNS1_27merge_sort_block_merge_implIS3_PhPS5_jNS1_19radix_merge_compareILb0ELb1EhNS0_19identity_decomposerEEEEE10hipError_tT0_T1_T2_jT3_P12ihipStream_tbPNSt15iterator_traitsISE_E10value_typeEPNSK_ISF_E10value_typeEPSG_NS1_7vsmem_tEENKUlT_SE_SF_SG_E_clIS8_S8_S9_S9_EESD_ST_SE_SF_SG_EUlST_E0_NS1_11comp_targetILNS1_3genE10ELNS1_11target_archE1201ELNS1_3gpuE5ELNS1_3repE0EEENS1_38merge_mergepath_config_static_selectorELNS0_4arch9wavefront6targetE0EEEvSF_ ; -- Begin function _ZN7rocprim17ROCPRIM_400000_NS6detail17trampoline_kernelINS0_14default_configENS1_38merge_sort_block_merge_config_selectorIhNS0_10empty_typeEEEZZNS1_27merge_sort_block_merge_implIS3_PhPS5_jNS1_19radix_merge_compareILb0ELb1EhNS0_19identity_decomposerEEEEE10hipError_tT0_T1_T2_jT3_P12ihipStream_tbPNSt15iterator_traitsISE_E10value_typeEPNSK_ISF_E10value_typeEPSG_NS1_7vsmem_tEENKUlT_SE_SF_SG_E_clIS8_S8_S9_S9_EESD_ST_SE_SF_SG_EUlST_E0_NS1_11comp_targetILNS1_3genE10ELNS1_11target_archE1201ELNS1_3gpuE5ELNS1_3repE0EEENS1_38merge_mergepath_config_static_selectorELNS0_4arch9wavefront6targetE0EEEvSF_
	.globl	_ZN7rocprim17ROCPRIM_400000_NS6detail17trampoline_kernelINS0_14default_configENS1_38merge_sort_block_merge_config_selectorIhNS0_10empty_typeEEEZZNS1_27merge_sort_block_merge_implIS3_PhPS5_jNS1_19radix_merge_compareILb0ELb1EhNS0_19identity_decomposerEEEEE10hipError_tT0_T1_T2_jT3_P12ihipStream_tbPNSt15iterator_traitsISE_E10value_typeEPNSK_ISF_E10value_typeEPSG_NS1_7vsmem_tEENKUlT_SE_SF_SG_E_clIS8_S8_S9_S9_EESD_ST_SE_SF_SG_EUlST_E0_NS1_11comp_targetILNS1_3genE10ELNS1_11target_archE1201ELNS1_3gpuE5ELNS1_3repE0EEENS1_38merge_mergepath_config_static_selectorELNS0_4arch9wavefront6targetE0EEEvSF_
	.p2align	8
	.type	_ZN7rocprim17ROCPRIM_400000_NS6detail17trampoline_kernelINS0_14default_configENS1_38merge_sort_block_merge_config_selectorIhNS0_10empty_typeEEEZZNS1_27merge_sort_block_merge_implIS3_PhPS5_jNS1_19radix_merge_compareILb0ELb1EhNS0_19identity_decomposerEEEEE10hipError_tT0_T1_T2_jT3_P12ihipStream_tbPNSt15iterator_traitsISE_E10value_typeEPNSK_ISF_E10value_typeEPSG_NS1_7vsmem_tEENKUlT_SE_SF_SG_E_clIS8_S8_S9_S9_EESD_ST_SE_SF_SG_EUlST_E0_NS1_11comp_targetILNS1_3genE10ELNS1_11target_archE1201ELNS1_3gpuE5ELNS1_3repE0EEENS1_38merge_mergepath_config_static_selectorELNS0_4arch9wavefront6targetE0EEEvSF_,@function
_ZN7rocprim17ROCPRIM_400000_NS6detail17trampoline_kernelINS0_14default_configENS1_38merge_sort_block_merge_config_selectorIhNS0_10empty_typeEEEZZNS1_27merge_sort_block_merge_implIS3_PhPS5_jNS1_19radix_merge_compareILb0ELb1EhNS0_19identity_decomposerEEEEE10hipError_tT0_T1_T2_jT3_P12ihipStream_tbPNSt15iterator_traitsISE_E10value_typeEPNSK_ISF_E10value_typeEPSG_NS1_7vsmem_tEENKUlT_SE_SF_SG_E_clIS8_S8_S9_S9_EESD_ST_SE_SF_SG_EUlST_E0_NS1_11comp_targetILNS1_3genE10ELNS1_11target_archE1201ELNS1_3gpuE5ELNS1_3repE0EEENS1_38merge_mergepath_config_static_selectorELNS0_4arch9wavefront6targetE0EEEvSF_: ; @_ZN7rocprim17ROCPRIM_400000_NS6detail17trampoline_kernelINS0_14default_configENS1_38merge_sort_block_merge_config_selectorIhNS0_10empty_typeEEEZZNS1_27merge_sort_block_merge_implIS3_PhPS5_jNS1_19radix_merge_compareILb0ELb1EhNS0_19identity_decomposerEEEEE10hipError_tT0_T1_T2_jT3_P12ihipStream_tbPNSt15iterator_traitsISE_E10value_typeEPNSK_ISF_E10value_typeEPSG_NS1_7vsmem_tEENKUlT_SE_SF_SG_E_clIS8_S8_S9_S9_EESD_ST_SE_SF_SG_EUlST_E0_NS1_11comp_targetILNS1_3genE10ELNS1_11target_archE1201ELNS1_3gpuE5ELNS1_3repE0EEENS1_38merge_mergepath_config_static_selectorELNS0_4arch9wavefront6targetE0EEEvSF_
; %bb.0:
	.section	.rodata,"a",@progbits
	.p2align	6, 0x0
	.amdhsa_kernel _ZN7rocprim17ROCPRIM_400000_NS6detail17trampoline_kernelINS0_14default_configENS1_38merge_sort_block_merge_config_selectorIhNS0_10empty_typeEEEZZNS1_27merge_sort_block_merge_implIS3_PhPS5_jNS1_19radix_merge_compareILb0ELb1EhNS0_19identity_decomposerEEEEE10hipError_tT0_T1_T2_jT3_P12ihipStream_tbPNSt15iterator_traitsISE_E10value_typeEPNSK_ISF_E10value_typeEPSG_NS1_7vsmem_tEENKUlT_SE_SF_SG_E_clIS8_S8_S9_S9_EESD_ST_SE_SF_SG_EUlST_E0_NS1_11comp_targetILNS1_3genE10ELNS1_11target_archE1201ELNS1_3gpuE5ELNS1_3repE0EEENS1_38merge_mergepath_config_static_selectorELNS0_4arch9wavefront6targetE0EEEvSF_
		.amdhsa_group_segment_fixed_size 0
		.amdhsa_private_segment_fixed_size 0
		.amdhsa_kernarg_size 64
		.amdhsa_user_sgpr_count 2
		.amdhsa_user_sgpr_dispatch_ptr 0
		.amdhsa_user_sgpr_queue_ptr 0
		.amdhsa_user_sgpr_kernarg_segment_ptr 1
		.amdhsa_user_sgpr_dispatch_id 0
		.amdhsa_user_sgpr_kernarg_preload_length 0
		.amdhsa_user_sgpr_kernarg_preload_offset 0
		.amdhsa_user_sgpr_private_segment_size 0
		.amdhsa_wavefront_size32 1
		.amdhsa_uses_dynamic_stack 0
		.amdhsa_enable_private_segment 0
		.amdhsa_system_sgpr_workgroup_id_x 1
		.amdhsa_system_sgpr_workgroup_id_y 0
		.amdhsa_system_sgpr_workgroup_id_z 0
		.amdhsa_system_sgpr_workgroup_info 0
		.amdhsa_system_vgpr_workitem_id 0
		.amdhsa_next_free_vgpr 1
		.amdhsa_next_free_sgpr 1
		.amdhsa_named_barrier_count 0
		.amdhsa_reserve_vcc 0
		.amdhsa_float_round_mode_32 0
		.amdhsa_float_round_mode_16_64 0
		.amdhsa_float_denorm_mode_32 3
		.amdhsa_float_denorm_mode_16_64 3
		.amdhsa_fp16_overflow 0
		.amdhsa_memory_ordered 1
		.amdhsa_forward_progress 1
		.amdhsa_inst_pref_size 0
		.amdhsa_round_robin_scheduling 0
		.amdhsa_exception_fp_ieee_invalid_op 0
		.amdhsa_exception_fp_denorm_src 0
		.amdhsa_exception_fp_ieee_div_zero 0
		.amdhsa_exception_fp_ieee_overflow 0
		.amdhsa_exception_fp_ieee_underflow 0
		.amdhsa_exception_fp_ieee_inexact 0
		.amdhsa_exception_int_div_zero 0
	.end_amdhsa_kernel
	.section	.text._ZN7rocprim17ROCPRIM_400000_NS6detail17trampoline_kernelINS0_14default_configENS1_38merge_sort_block_merge_config_selectorIhNS0_10empty_typeEEEZZNS1_27merge_sort_block_merge_implIS3_PhPS5_jNS1_19radix_merge_compareILb0ELb1EhNS0_19identity_decomposerEEEEE10hipError_tT0_T1_T2_jT3_P12ihipStream_tbPNSt15iterator_traitsISE_E10value_typeEPNSK_ISF_E10value_typeEPSG_NS1_7vsmem_tEENKUlT_SE_SF_SG_E_clIS8_S8_S9_S9_EESD_ST_SE_SF_SG_EUlST_E0_NS1_11comp_targetILNS1_3genE10ELNS1_11target_archE1201ELNS1_3gpuE5ELNS1_3repE0EEENS1_38merge_mergepath_config_static_selectorELNS0_4arch9wavefront6targetE0EEEvSF_,"axG",@progbits,_ZN7rocprim17ROCPRIM_400000_NS6detail17trampoline_kernelINS0_14default_configENS1_38merge_sort_block_merge_config_selectorIhNS0_10empty_typeEEEZZNS1_27merge_sort_block_merge_implIS3_PhPS5_jNS1_19radix_merge_compareILb0ELb1EhNS0_19identity_decomposerEEEEE10hipError_tT0_T1_T2_jT3_P12ihipStream_tbPNSt15iterator_traitsISE_E10value_typeEPNSK_ISF_E10value_typeEPSG_NS1_7vsmem_tEENKUlT_SE_SF_SG_E_clIS8_S8_S9_S9_EESD_ST_SE_SF_SG_EUlST_E0_NS1_11comp_targetILNS1_3genE10ELNS1_11target_archE1201ELNS1_3gpuE5ELNS1_3repE0EEENS1_38merge_mergepath_config_static_selectorELNS0_4arch9wavefront6targetE0EEEvSF_,comdat
.Lfunc_end186:
	.size	_ZN7rocprim17ROCPRIM_400000_NS6detail17trampoline_kernelINS0_14default_configENS1_38merge_sort_block_merge_config_selectorIhNS0_10empty_typeEEEZZNS1_27merge_sort_block_merge_implIS3_PhPS5_jNS1_19radix_merge_compareILb0ELb1EhNS0_19identity_decomposerEEEEE10hipError_tT0_T1_T2_jT3_P12ihipStream_tbPNSt15iterator_traitsISE_E10value_typeEPNSK_ISF_E10value_typeEPSG_NS1_7vsmem_tEENKUlT_SE_SF_SG_E_clIS8_S8_S9_S9_EESD_ST_SE_SF_SG_EUlST_E0_NS1_11comp_targetILNS1_3genE10ELNS1_11target_archE1201ELNS1_3gpuE5ELNS1_3repE0EEENS1_38merge_mergepath_config_static_selectorELNS0_4arch9wavefront6targetE0EEEvSF_, .Lfunc_end186-_ZN7rocprim17ROCPRIM_400000_NS6detail17trampoline_kernelINS0_14default_configENS1_38merge_sort_block_merge_config_selectorIhNS0_10empty_typeEEEZZNS1_27merge_sort_block_merge_implIS3_PhPS5_jNS1_19radix_merge_compareILb0ELb1EhNS0_19identity_decomposerEEEEE10hipError_tT0_T1_T2_jT3_P12ihipStream_tbPNSt15iterator_traitsISE_E10value_typeEPNSK_ISF_E10value_typeEPSG_NS1_7vsmem_tEENKUlT_SE_SF_SG_E_clIS8_S8_S9_S9_EESD_ST_SE_SF_SG_EUlST_E0_NS1_11comp_targetILNS1_3genE10ELNS1_11target_archE1201ELNS1_3gpuE5ELNS1_3repE0EEENS1_38merge_mergepath_config_static_selectorELNS0_4arch9wavefront6targetE0EEEvSF_
                                        ; -- End function
	.set _ZN7rocprim17ROCPRIM_400000_NS6detail17trampoline_kernelINS0_14default_configENS1_38merge_sort_block_merge_config_selectorIhNS0_10empty_typeEEEZZNS1_27merge_sort_block_merge_implIS3_PhPS5_jNS1_19radix_merge_compareILb0ELb1EhNS0_19identity_decomposerEEEEE10hipError_tT0_T1_T2_jT3_P12ihipStream_tbPNSt15iterator_traitsISE_E10value_typeEPNSK_ISF_E10value_typeEPSG_NS1_7vsmem_tEENKUlT_SE_SF_SG_E_clIS8_S8_S9_S9_EESD_ST_SE_SF_SG_EUlST_E0_NS1_11comp_targetILNS1_3genE10ELNS1_11target_archE1201ELNS1_3gpuE5ELNS1_3repE0EEENS1_38merge_mergepath_config_static_selectorELNS0_4arch9wavefront6targetE0EEEvSF_.num_vgpr, 0
	.set _ZN7rocprim17ROCPRIM_400000_NS6detail17trampoline_kernelINS0_14default_configENS1_38merge_sort_block_merge_config_selectorIhNS0_10empty_typeEEEZZNS1_27merge_sort_block_merge_implIS3_PhPS5_jNS1_19radix_merge_compareILb0ELb1EhNS0_19identity_decomposerEEEEE10hipError_tT0_T1_T2_jT3_P12ihipStream_tbPNSt15iterator_traitsISE_E10value_typeEPNSK_ISF_E10value_typeEPSG_NS1_7vsmem_tEENKUlT_SE_SF_SG_E_clIS8_S8_S9_S9_EESD_ST_SE_SF_SG_EUlST_E0_NS1_11comp_targetILNS1_3genE10ELNS1_11target_archE1201ELNS1_3gpuE5ELNS1_3repE0EEENS1_38merge_mergepath_config_static_selectorELNS0_4arch9wavefront6targetE0EEEvSF_.num_agpr, 0
	.set _ZN7rocprim17ROCPRIM_400000_NS6detail17trampoline_kernelINS0_14default_configENS1_38merge_sort_block_merge_config_selectorIhNS0_10empty_typeEEEZZNS1_27merge_sort_block_merge_implIS3_PhPS5_jNS1_19radix_merge_compareILb0ELb1EhNS0_19identity_decomposerEEEEE10hipError_tT0_T1_T2_jT3_P12ihipStream_tbPNSt15iterator_traitsISE_E10value_typeEPNSK_ISF_E10value_typeEPSG_NS1_7vsmem_tEENKUlT_SE_SF_SG_E_clIS8_S8_S9_S9_EESD_ST_SE_SF_SG_EUlST_E0_NS1_11comp_targetILNS1_3genE10ELNS1_11target_archE1201ELNS1_3gpuE5ELNS1_3repE0EEENS1_38merge_mergepath_config_static_selectorELNS0_4arch9wavefront6targetE0EEEvSF_.numbered_sgpr, 0
	.set _ZN7rocprim17ROCPRIM_400000_NS6detail17trampoline_kernelINS0_14default_configENS1_38merge_sort_block_merge_config_selectorIhNS0_10empty_typeEEEZZNS1_27merge_sort_block_merge_implIS3_PhPS5_jNS1_19radix_merge_compareILb0ELb1EhNS0_19identity_decomposerEEEEE10hipError_tT0_T1_T2_jT3_P12ihipStream_tbPNSt15iterator_traitsISE_E10value_typeEPNSK_ISF_E10value_typeEPSG_NS1_7vsmem_tEENKUlT_SE_SF_SG_E_clIS8_S8_S9_S9_EESD_ST_SE_SF_SG_EUlST_E0_NS1_11comp_targetILNS1_3genE10ELNS1_11target_archE1201ELNS1_3gpuE5ELNS1_3repE0EEENS1_38merge_mergepath_config_static_selectorELNS0_4arch9wavefront6targetE0EEEvSF_.num_named_barrier, 0
	.set _ZN7rocprim17ROCPRIM_400000_NS6detail17trampoline_kernelINS0_14default_configENS1_38merge_sort_block_merge_config_selectorIhNS0_10empty_typeEEEZZNS1_27merge_sort_block_merge_implIS3_PhPS5_jNS1_19radix_merge_compareILb0ELb1EhNS0_19identity_decomposerEEEEE10hipError_tT0_T1_T2_jT3_P12ihipStream_tbPNSt15iterator_traitsISE_E10value_typeEPNSK_ISF_E10value_typeEPSG_NS1_7vsmem_tEENKUlT_SE_SF_SG_E_clIS8_S8_S9_S9_EESD_ST_SE_SF_SG_EUlST_E0_NS1_11comp_targetILNS1_3genE10ELNS1_11target_archE1201ELNS1_3gpuE5ELNS1_3repE0EEENS1_38merge_mergepath_config_static_selectorELNS0_4arch9wavefront6targetE0EEEvSF_.private_seg_size, 0
	.set _ZN7rocprim17ROCPRIM_400000_NS6detail17trampoline_kernelINS0_14default_configENS1_38merge_sort_block_merge_config_selectorIhNS0_10empty_typeEEEZZNS1_27merge_sort_block_merge_implIS3_PhPS5_jNS1_19radix_merge_compareILb0ELb1EhNS0_19identity_decomposerEEEEE10hipError_tT0_T1_T2_jT3_P12ihipStream_tbPNSt15iterator_traitsISE_E10value_typeEPNSK_ISF_E10value_typeEPSG_NS1_7vsmem_tEENKUlT_SE_SF_SG_E_clIS8_S8_S9_S9_EESD_ST_SE_SF_SG_EUlST_E0_NS1_11comp_targetILNS1_3genE10ELNS1_11target_archE1201ELNS1_3gpuE5ELNS1_3repE0EEENS1_38merge_mergepath_config_static_selectorELNS0_4arch9wavefront6targetE0EEEvSF_.uses_vcc, 0
	.set _ZN7rocprim17ROCPRIM_400000_NS6detail17trampoline_kernelINS0_14default_configENS1_38merge_sort_block_merge_config_selectorIhNS0_10empty_typeEEEZZNS1_27merge_sort_block_merge_implIS3_PhPS5_jNS1_19radix_merge_compareILb0ELb1EhNS0_19identity_decomposerEEEEE10hipError_tT0_T1_T2_jT3_P12ihipStream_tbPNSt15iterator_traitsISE_E10value_typeEPNSK_ISF_E10value_typeEPSG_NS1_7vsmem_tEENKUlT_SE_SF_SG_E_clIS8_S8_S9_S9_EESD_ST_SE_SF_SG_EUlST_E0_NS1_11comp_targetILNS1_3genE10ELNS1_11target_archE1201ELNS1_3gpuE5ELNS1_3repE0EEENS1_38merge_mergepath_config_static_selectorELNS0_4arch9wavefront6targetE0EEEvSF_.uses_flat_scratch, 0
	.set _ZN7rocprim17ROCPRIM_400000_NS6detail17trampoline_kernelINS0_14default_configENS1_38merge_sort_block_merge_config_selectorIhNS0_10empty_typeEEEZZNS1_27merge_sort_block_merge_implIS3_PhPS5_jNS1_19radix_merge_compareILb0ELb1EhNS0_19identity_decomposerEEEEE10hipError_tT0_T1_T2_jT3_P12ihipStream_tbPNSt15iterator_traitsISE_E10value_typeEPNSK_ISF_E10value_typeEPSG_NS1_7vsmem_tEENKUlT_SE_SF_SG_E_clIS8_S8_S9_S9_EESD_ST_SE_SF_SG_EUlST_E0_NS1_11comp_targetILNS1_3genE10ELNS1_11target_archE1201ELNS1_3gpuE5ELNS1_3repE0EEENS1_38merge_mergepath_config_static_selectorELNS0_4arch9wavefront6targetE0EEEvSF_.has_dyn_sized_stack, 0
	.set _ZN7rocprim17ROCPRIM_400000_NS6detail17trampoline_kernelINS0_14default_configENS1_38merge_sort_block_merge_config_selectorIhNS0_10empty_typeEEEZZNS1_27merge_sort_block_merge_implIS3_PhPS5_jNS1_19radix_merge_compareILb0ELb1EhNS0_19identity_decomposerEEEEE10hipError_tT0_T1_T2_jT3_P12ihipStream_tbPNSt15iterator_traitsISE_E10value_typeEPNSK_ISF_E10value_typeEPSG_NS1_7vsmem_tEENKUlT_SE_SF_SG_E_clIS8_S8_S9_S9_EESD_ST_SE_SF_SG_EUlST_E0_NS1_11comp_targetILNS1_3genE10ELNS1_11target_archE1201ELNS1_3gpuE5ELNS1_3repE0EEENS1_38merge_mergepath_config_static_selectorELNS0_4arch9wavefront6targetE0EEEvSF_.has_recursion, 0
	.set _ZN7rocprim17ROCPRIM_400000_NS6detail17trampoline_kernelINS0_14default_configENS1_38merge_sort_block_merge_config_selectorIhNS0_10empty_typeEEEZZNS1_27merge_sort_block_merge_implIS3_PhPS5_jNS1_19radix_merge_compareILb0ELb1EhNS0_19identity_decomposerEEEEE10hipError_tT0_T1_T2_jT3_P12ihipStream_tbPNSt15iterator_traitsISE_E10value_typeEPNSK_ISF_E10value_typeEPSG_NS1_7vsmem_tEENKUlT_SE_SF_SG_E_clIS8_S8_S9_S9_EESD_ST_SE_SF_SG_EUlST_E0_NS1_11comp_targetILNS1_3genE10ELNS1_11target_archE1201ELNS1_3gpuE5ELNS1_3repE0EEENS1_38merge_mergepath_config_static_selectorELNS0_4arch9wavefront6targetE0EEEvSF_.has_indirect_call, 0
	.section	.AMDGPU.csdata,"",@progbits
; Kernel info:
; codeLenInByte = 0
; TotalNumSgprs: 0
; NumVgprs: 0
; ScratchSize: 0
; MemoryBound: 0
; FloatMode: 240
; IeeeMode: 1
; LDSByteSize: 0 bytes/workgroup (compile time only)
; SGPRBlocks: 0
; VGPRBlocks: 0
; NumSGPRsForWavesPerEU: 1
; NumVGPRsForWavesPerEU: 1
; NamedBarCnt: 0
; Occupancy: 16
; WaveLimiterHint : 0
; COMPUTE_PGM_RSRC2:SCRATCH_EN: 0
; COMPUTE_PGM_RSRC2:USER_SGPR: 2
; COMPUTE_PGM_RSRC2:TRAP_HANDLER: 0
; COMPUTE_PGM_RSRC2:TGID_X_EN: 1
; COMPUTE_PGM_RSRC2:TGID_Y_EN: 0
; COMPUTE_PGM_RSRC2:TGID_Z_EN: 0
; COMPUTE_PGM_RSRC2:TIDIG_COMP_CNT: 0
	.section	.text._ZN7rocprim17ROCPRIM_400000_NS6detail17trampoline_kernelINS0_14default_configENS1_38merge_sort_block_merge_config_selectorIhNS0_10empty_typeEEEZZNS1_27merge_sort_block_merge_implIS3_PhPS5_jNS1_19radix_merge_compareILb0ELb1EhNS0_19identity_decomposerEEEEE10hipError_tT0_T1_T2_jT3_P12ihipStream_tbPNSt15iterator_traitsISE_E10value_typeEPNSK_ISF_E10value_typeEPSG_NS1_7vsmem_tEENKUlT_SE_SF_SG_E_clIS8_S8_S9_S9_EESD_ST_SE_SF_SG_EUlST_E0_NS1_11comp_targetILNS1_3genE5ELNS1_11target_archE942ELNS1_3gpuE9ELNS1_3repE0EEENS1_38merge_mergepath_config_static_selectorELNS0_4arch9wavefront6targetE0EEEvSF_,"axG",@progbits,_ZN7rocprim17ROCPRIM_400000_NS6detail17trampoline_kernelINS0_14default_configENS1_38merge_sort_block_merge_config_selectorIhNS0_10empty_typeEEEZZNS1_27merge_sort_block_merge_implIS3_PhPS5_jNS1_19radix_merge_compareILb0ELb1EhNS0_19identity_decomposerEEEEE10hipError_tT0_T1_T2_jT3_P12ihipStream_tbPNSt15iterator_traitsISE_E10value_typeEPNSK_ISF_E10value_typeEPSG_NS1_7vsmem_tEENKUlT_SE_SF_SG_E_clIS8_S8_S9_S9_EESD_ST_SE_SF_SG_EUlST_E0_NS1_11comp_targetILNS1_3genE5ELNS1_11target_archE942ELNS1_3gpuE9ELNS1_3repE0EEENS1_38merge_mergepath_config_static_selectorELNS0_4arch9wavefront6targetE0EEEvSF_,comdat
	.protected	_ZN7rocprim17ROCPRIM_400000_NS6detail17trampoline_kernelINS0_14default_configENS1_38merge_sort_block_merge_config_selectorIhNS0_10empty_typeEEEZZNS1_27merge_sort_block_merge_implIS3_PhPS5_jNS1_19radix_merge_compareILb0ELb1EhNS0_19identity_decomposerEEEEE10hipError_tT0_T1_T2_jT3_P12ihipStream_tbPNSt15iterator_traitsISE_E10value_typeEPNSK_ISF_E10value_typeEPSG_NS1_7vsmem_tEENKUlT_SE_SF_SG_E_clIS8_S8_S9_S9_EESD_ST_SE_SF_SG_EUlST_E0_NS1_11comp_targetILNS1_3genE5ELNS1_11target_archE942ELNS1_3gpuE9ELNS1_3repE0EEENS1_38merge_mergepath_config_static_selectorELNS0_4arch9wavefront6targetE0EEEvSF_ ; -- Begin function _ZN7rocprim17ROCPRIM_400000_NS6detail17trampoline_kernelINS0_14default_configENS1_38merge_sort_block_merge_config_selectorIhNS0_10empty_typeEEEZZNS1_27merge_sort_block_merge_implIS3_PhPS5_jNS1_19radix_merge_compareILb0ELb1EhNS0_19identity_decomposerEEEEE10hipError_tT0_T1_T2_jT3_P12ihipStream_tbPNSt15iterator_traitsISE_E10value_typeEPNSK_ISF_E10value_typeEPSG_NS1_7vsmem_tEENKUlT_SE_SF_SG_E_clIS8_S8_S9_S9_EESD_ST_SE_SF_SG_EUlST_E0_NS1_11comp_targetILNS1_3genE5ELNS1_11target_archE942ELNS1_3gpuE9ELNS1_3repE0EEENS1_38merge_mergepath_config_static_selectorELNS0_4arch9wavefront6targetE0EEEvSF_
	.globl	_ZN7rocprim17ROCPRIM_400000_NS6detail17trampoline_kernelINS0_14default_configENS1_38merge_sort_block_merge_config_selectorIhNS0_10empty_typeEEEZZNS1_27merge_sort_block_merge_implIS3_PhPS5_jNS1_19radix_merge_compareILb0ELb1EhNS0_19identity_decomposerEEEEE10hipError_tT0_T1_T2_jT3_P12ihipStream_tbPNSt15iterator_traitsISE_E10value_typeEPNSK_ISF_E10value_typeEPSG_NS1_7vsmem_tEENKUlT_SE_SF_SG_E_clIS8_S8_S9_S9_EESD_ST_SE_SF_SG_EUlST_E0_NS1_11comp_targetILNS1_3genE5ELNS1_11target_archE942ELNS1_3gpuE9ELNS1_3repE0EEENS1_38merge_mergepath_config_static_selectorELNS0_4arch9wavefront6targetE0EEEvSF_
	.p2align	8
	.type	_ZN7rocprim17ROCPRIM_400000_NS6detail17trampoline_kernelINS0_14default_configENS1_38merge_sort_block_merge_config_selectorIhNS0_10empty_typeEEEZZNS1_27merge_sort_block_merge_implIS3_PhPS5_jNS1_19radix_merge_compareILb0ELb1EhNS0_19identity_decomposerEEEEE10hipError_tT0_T1_T2_jT3_P12ihipStream_tbPNSt15iterator_traitsISE_E10value_typeEPNSK_ISF_E10value_typeEPSG_NS1_7vsmem_tEENKUlT_SE_SF_SG_E_clIS8_S8_S9_S9_EESD_ST_SE_SF_SG_EUlST_E0_NS1_11comp_targetILNS1_3genE5ELNS1_11target_archE942ELNS1_3gpuE9ELNS1_3repE0EEENS1_38merge_mergepath_config_static_selectorELNS0_4arch9wavefront6targetE0EEEvSF_,@function
_ZN7rocprim17ROCPRIM_400000_NS6detail17trampoline_kernelINS0_14default_configENS1_38merge_sort_block_merge_config_selectorIhNS0_10empty_typeEEEZZNS1_27merge_sort_block_merge_implIS3_PhPS5_jNS1_19radix_merge_compareILb0ELb1EhNS0_19identity_decomposerEEEEE10hipError_tT0_T1_T2_jT3_P12ihipStream_tbPNSt15iterator_traitsISE_E10value_typeEPNSK_ISF_E10value_typeEPSG_NS1_7vsmem_tEENKUlT_SE_SF_SG_E_clIS8_S8_S9_S9_EESD_ST_SE_SF_SG_EUlST_E0_NS1_11comp_targetILNS1_3genE5ELNS1_11target_archE942ELNS1_3gpuE9ELNS1_3repE0EEENS1_38merge_mergepath_config_static_selectorELNS0_4arch9wavefront6targetE0EEEvSF_: ; @_ZN7rocprim17ROCPRIM_400000_NS6detail17trampoline_kernelINS0_14default_configENS1_38merge_sort_block_merge_config_selectorIhNS0_10empty_typeEEEZZNS1_27merge_sort_block_merge_implIS3_PhPS5_jNS1_19radix_merge_compareILb0ELb1EhNS0_19identity_decomposerEEEEE10hipError_tT0_T1_T2_jT3_P12ihipStream_tbPNSt15iterator_traitsISE_E10value_typeEPNSK_ISF_E10value_typeEPSG_NS1_7vsmem_tEENKUlT_SE_SF_SG_E_clIS8_S8_S9_S9_EESD_ST_SE_SF_SG_EUlST_E0_NS1_11comp_targetILNS1_3genE5ELNS1_11target_archE942ELNS1_3gpuE9ELNS1_3repE0EEENS1_38merge_mergepath_config_static_selectorELNS0_4arch9wavefront6targetE0EEEvSF_
; %bb.0:
	.section	.rodata,"a",@progbits
	.p2align	6, 0x0
	.amdhsa_kernel _ZN7rocprim17ROCPRIM_400000_NS6detail17trampoline_kernelINS0_14default_configENS1_38merge_sort_block_merge_config_selectorIhNS0_10empty_typeEEEZZNS1_27merge_sort_block_merge_implIS3_PhPS5_jNS1_19radix_merge_compareILb0ELb1EhNS0_19identity_decomposerEEEEE10hipError_tT0_T1_T2_jT3_P12ihipStream_tbPNSt15iterator_traitsISE_E10value_typeEPNSK_ISF_E10value_typeEPSG_NS1_7vsmem_tEENKUlT_SE_SF_SG_E_clIS8_S8_S9_S9_EESD_ST_SE_SF_SG_EUlST_E0_NS1_11comp_targetILNS1_3genE5ELNS1_11target_archE942ELNS1_3gpuE9ELNS1_3repE0EEENS1_38merge_mergepath_config_static_selectorELNS0_4arch9wavefront6targetE0EEEvSF_
		.amdhsa_group_segment_fixed_size 0
		.amdhsa_private_segment_fixed_size 0
		.amdhsa_kernarg_size 64
		.amdhsa_user_sgpr_count 2
		.amdhsa_user_sgpr_dispatch_ptr 0
		.amdhsa_user_sgpr_queue_ptr 0
		.amdhsa_user_sgpr_kernarg_segment_ptr 1
		.amdhsa_user_sgpr_dispatch_id 0
		.amdhsa_user_sgpr_kernarg_preload_length 0
		.amdhsa_user_sgpr_kernarg_preload_offset 0
		.amdhsa_user_sgpr_private_segment_size 0
		.amdhsa_wavefront_size32 1
		.amdhsa_uses_dynamic_stack 0
		.amdhsa_enable_private_segment 0
		.amdhsa_system_sgpr_workgroup_id_x 1
		.amdhsa_system_sgpr_workgroup_id_y 0
		.amdhsa_system_sgpr_workgroup_id_z 0
		.amdhsa_system_sgpr_workgroup_info 0
		.amdhsa_system_vgpr_workitem_id 0
		.amdhsa_next_free_vgpr 1
		.amdhsa_next_free_sgpr 1
		.amdhsa_named_barrier_count 0
		.amdhsa_reserve_vcc 0
		.amdhsa_float_round_mode_32 0
		.amdhsa_float_round_mode_16_64 0
		.amdhsa_float_denorm_mode_32 3
		.amdhsa_float_denorm_mode_16_64 3
		.amdhsa_fp16_overflow 0
		.amdhsa_memory_ordered 1
		.amdhsa_forward_progress 1
		.amdhsa_inst_pref_size 0
		.amdhsa_round_robin_scheduling 0
		.amdhsa_exception_fp_ieee_invalid_op 0
		.amdhsa_exception_fp_denorm_src 0
		.amdhsa_exception_fp_ieee_div_zero 0
		.amdhsa_exception_fp_ieee_overflow 0
		.amdhsa_exception_fp_ieee_underflow 0
		.amdhsa_exception_fp_ieee_inexact 0
		.amdhsa_exception_int_div_zero 0
	.end_amdhsa_kernel
	.section	.text._ZN7rocprim17ROCPRIM_400000_NS6detail17trampoline_kernelINS0_14default_configENS1_38merge_sort_block_merge_config_selectorIhNS0_10empty_typeEEEZZNS1_27merge_sort_block_merge_implIS3_PhPS5_jNS1_19radix_merge_compareILb0ELb1EhNS0_19identity_decomposerEEEEE10hipError_tT0_T1_T2_jT3_P12ihipStream_tbPNSt15iterator_traitsISE_E10value_typeEPNSK_ISF_E10value_typeEPSG_NS1_7vsmem_tEENKUlT_SE_SF_SG_E_clIS8_S8_S9_S9_EESD_ST_SE_SF_SG_EUlST_E0_NS1_11comp_targetILNS1_3genE5ELNS1_11target_archE942ELNS1_3gpuE9ELNS1_3repE0EEENS1_38merge_mergepath_config_static_selectorELNS0_4arch9wavefront6targetE0EEEvSF_,"axG",@progbits,_ZN7rocprim17ROCPRIM_400000_NS6detail17trampoline_kernelINS0_14default_configENS1_38merge_sort_block_merge_config_selectorIhNS0_10empty_typeEEEZZNS1_27merge_sort_block_merge_implIS3_PhPS5_jNS1_19radix_merge_compareILb0ELb1EhNS0_19identity_decomposerEEEEE10hipError_tT0_T1_T2_jT3_P12ihipStream_tbPNSt15iterator_traitsISE_E10value_typeEPNSK_ISF_E10value_typeEPSG_NS1_7vsmem_tEENKUlT_SE_SF_SG_E_clIS8_S8_S9_S9_EESD_ST_SE_SF_SG_EUlST_E0_NS1_11comp_targetILNS1_3genE5ELNS1_11target_archE942ELNS1_3gpuE9ELNS1_3repE0EEENS1_38merge_mergepath_config_static_selectorELNS0_4arch9wavefront6targetE0EEEvSF_,comdat
.Lfunc_end187:
	.size	_ZN7rocprim17ROCPRIM_400000_NS6detail17trampoline_kernelINS0_14default_configENS1_38merge_sort_block_merge_config_selectorIhNS0_10empty_typeEEEZZNS1_27merge_sort_block_merge_implIS3_PhPS5_jNS1_19radix_merge_compareILb0ELb1EhNS0_19identity_decomposerEEEEE10hipError_tT0_T1_T2_jT3_P12ihipStream_tbPNSt15iterator_traitsISE_E10value_typeEPNSK_ISF_E10value_typeEPSG_NS1_7vsmem_tEENKUlT_SE_SF_SG_E_clIS8_S8_S9_S9_EESD_ST_SE_SF_SG_EUlST_E0_NS1_11comp_targetILNS1_3genE5ELNS1_11target_archE942ELNS1_3gpuE9ELNS1_3repE0EEENS1_38merge_mergepath_config_static_selectorELNS0_4arch9wavefront6targetE0EEEvSF_, .Lfunc_end187-_ZN7rocprim17ROCPRIM_400000_NS6detail17trampoline_kernelINS0_14default_configENS1_38merge_sort_block_merge_config_selectorIhNS0_10empty_typeEEEZZNS1_27merge_sort_block_merge_implIS3_PhPS5_jNS1_19radix_merge_compareILb0ELb1EhNS0_19identity_decomposerEEEEE10hipError_tT0_T1_T2_jT3_P12ihipStream_tbPNSt15iterator_traitsISE_E10value_typeEPNSK_ISF_E10value_typeEPSG_NS1_7vsmem_tEENKUlT_SE_SF_SG_E_clIS8_S8_S9_S9_EESD_ST_SE_SF_SG_EUlST_E0_NS1_11comp_targetILNS1_3genE5ELNS1_11target_archE942ELNS1_3gpuE9ELNS1_3repE0EEENS1_38merge_mergepath_config_static_selectorELNS0_4arch9wavefront6targetE0EEEvSF_
                                        ; -- End function
	.set _ZN7rocprim17ROCPRIM_400000_NS6detail17trampoline_kernelINS0_14default_configENS1_38merge_sort_block_merge_config_selectorIhNS0_10empty_typeEEEZZNS1_27merge_sort_block_merge_implIS3_PhPS5_jNS1_19radix_merge_compareILb0ELb1EhNS0_19identity_decomposerEEEEE10hipError_tT0_T1_T2_jT3_P12ihipStream_tbPNSt15iterator_traitsISE_E10value_typeEPNSK_ISF_E10value_typeEPSG_NS1_7vsmem_tEENKUlT_SE_SF_SG_E_clIS8_S8_S9_S9_EESD_ST_SE_SF_SG_EUlST_E0_NS1_11comp_targetILNS1_3genE5ELNS1_11target_archE942ELNS1_3gpuE9ELNS1_3repE0EEENS1_38merge_mergepath_config_static_selectorELNS0_4arch9wavefront6targetE0EEEvSF_.num_vgpr, 0
	.set _ZN7rocprim17ROCPRIM_400000_NS6detail17trampoline_kernelINS0_14default_configENS1_38merge_sort_block_merge_config_selectorIhNS0_10empty_typeEEEZZNS1_27merge_sort_block_merge_implIS3_PhPS5_jNS1_19radix_merge_compareILb0ELb1EhNS0_19identity_decomposerEEEEE10hipError_tT0_T1_T2_jT3_P12ihipStream_tbPNSt15iterator_traitsISE_E10value_typeEPNSK_ISF_E10value_typeEPSG_NS1_7vsmem_tEENKUlT_SE_SF_SG_E_clIS8_S8_S9_S9_EESD_ST_SE_SF_SG_EUlST_E0_NS1_11comp_targetILNS1_3genE5ELNS1_11target_archE942ELNS1_3gpuE9ELNS1_3repE0EEENS1_38merge_mergepath_config_static_selectorELNS0_4arch9wavefront6targetE0EEEvSF_.num_agpr, 0
	.set _ZN7rocprim17ROCPRIM_400000_NS6detail17trampoline_kernelINS0_14default_configENS1_38merge_sort_block_merge_config_selectorIhNS0_10empty_typeEEEZZNS1_27merge_sort_block_merge_implIS3_PhPS5_jNS1_19radix_merge_compareILb0ELb1EhNS0_19identity_decomposerEEEEE10hipError_tT0_T1_T2_jT3_P12ihipStream_tbPNSt15iterator_traitsISE_E10value_typeEPNSK_ISF_E10value_typeEPSG_NS1_7vsmem_tEENKUlT_SE_SF_SG_E_clIS8_S8_S9_S9_EESD_ST_SE_SF_SG_EUlST_E0_NS1_11comp_targetILNS1_3genE5ELNS1_11target_archE942ELNS1_3gpuE9ELNS1_3repE0EEENS1_38merge_mergepath_config_static_selectorELNS0_4arch9wavefront6targetE0EEEvSF_.numbered_sgpr, 0
	.set _ZN7rocprim17ROCPRIM_400000_NS6detail17trampoline_kernelINS0_14default_configENS1_38merge_sort_block_merge_config_selectorIhNS0_10empty_typeEEEZZNS1_27merge_sort_block_merge_implIS3_PhPS5_jNS1_19radix_merge_compareILb0ELb1EhNS0_19identity_decomposerEEEEE10hipError_tT0_T1_T2_jT3_P12ihipStream_tbPNSt15iterator_traitsISE_E10value_typeEPNSK_ISF_E10value_typeEPSG_NS1_7vsmem_tEENKUlT_SE_SF_SG_E_clIS8_S8_S9_S9_EESD_ST_SE_SF_SG_EUlST_E0_NS1_11comp_targetILNS1_3genE5ELNS1_11target_archE942ELNS1_3gpuE9ELNS1_3repE0EEENS1_38merge_mergepath_config_static_selectorELNS0_4arch9wavefront6targetE0EEEvSF_.num_named_barrier, 0
	.set _ZN7rocprim17ROCPRIM_400000_NS6detail17trampoline_kernelINS0_14default_configENS1_38merge_sort_block_merge_config_selectorIhNS0_10empty_typeEEEZZNS1_27merge_sort_block_merge_implIS3_PhPS5_jNS1_19radix_merge_compareILb0ELb1EhNS0_19identity_decomposerEEEEE10hipError_tT0_T1_T2_jT3_P12ihipStream_tbPNSt15iterator_traitsISE_E10value_typeEPNSK_ISF_E10value_typeEPSG_NS1_7vsmem_tEENKUlT_SE_SF_SG_E_clIS8_S8_S9_S9_EESD_ST_SE_SF_SG_EUlST_E0_NS1_11comp_targetILNS1_3genE5ELNS1_11target_archE942ELNS1_3gpuE9ELNS1_3repE0EEENS1_38merge_mergepath_config_static_selectorELNS0_4arch9wavefront6targetE0EEEvSF_.private_seg_size, 0
	.set _ZN7rocprim17ROCPRIM_400000_NS6detail17trampoline_kernelINS0_14default_configENS1_38merge_sort_block_merge_config_selectorIhNS0_10empty_typeEEEZZNS1_27merge_sort_block_merge_implIS3_PhPS5_jNS1_19radix_merge_compareILb0ELb1EhNS0_19identity_decomposerEEEEE10hipError_tT0_T1_T2_jT3_P12ihipStream_tbPNSt15iterator_traitsISE_E10value_typeEPNSK_ISF_E10value_typeEPSG_NS1_7vsmem_tEENKUlT_SE_SF_SG_E_clIS8_S8_S9_S9_EESD_ST_SE_SF_SG_EUlST_E0_NS1_11comp_targetILNS1_3genE5ELNS1_11target_archE942ELNS1_3gpuE9ELNS1_3repE0EEENS1_38merge_mergepath_config_static_selectorELNS0_4arch9wavefront6targetE0EEEvSF_.uses_vcc, 0
	.set _ZN7rocprim17ROCPRIM_400000_NS6detail17trampoline_kernelINS0_14default_configENS1_38merge_sort_block_merge_config_selectorIhNS0_10empty_typeEEEZZNS1_27merge_sort_block_merge_implIS3_PhPS5_jNS1_19radix_merge_compareILb0ELb1EhNS0_19identity_decomposerEEEEE10hipError_tT0_T1_T2_jT3_P12ihipStream_tbPNSt15iterator_traitsISE_E10value_typeEPNSK_ISF_E10value_typeEPSG_NS1_7vsmem_tEENKUlT_SE_SF_SG_E_clIS8_S8_S9_S9_EESD_ST_SE_SF_SG_EUlST_E0_NS1_11comp_targetILNS1_3genE5ELNS1_11target_archE942ELNS1_3gpuE9ELNS1_3repE0EEENS1_38merge_mergepath_config_static_selectorELNS0_4arch9wavefront6targetE0EEEvSF_.uses_flat_scratch, 0
	.set _ZN7rocprim17ROCPRIM_400000_NS6detail17trampoline_kernelINS0_14default_configENS1_38merge_sort_block_merge_config_selectorIhNS0_10empty_typeEEEZZNS1_27merge_sort_block_merge_implIS3_PhPS5_jNS1_19radix_merge_compareILb0ELb1EhNS0_19identity_decomposerEEEEE10hipError_tT0_T1_T2_jT3_P12ihipStream_tbPNSt15iterator_traitsISE_E10value_typeEPNSK_ISF_E10value_typeEPSG_NS1_7vsmem_tEENKUlT_SE_SF_SG_E_clIS8_S8_S9_S9_EESD_ST_SE_SF_SG_EUlST_E0_NS1_11comp_targetILNS1_3genE5ELNS1_11target_archE942ELNS1_3gpuE9ELNS1_3repE0EEENS1_38merge_mergepath_config_static_selectorELNS0_4arch9wavefront6targetE0EEEvSF_.has_dyn_sized_stack, 0
	.set _ZN7rocprim17ROCPRIM_400000_NS6detail17trampoline_kernelINS0_14default_configENS1_38merge_sort_block_merge_config_selectorIhNS0_10empty_typeEEEZZNS1_27merge_sort_block_merge_implIS3_PhPS5_jNS1_19radix_merge_compareILb0ELb1EhNS0_19identity_decomposerEEEEE10hipError_tT0_T1_T2_jT3_P12ihipStream_tbPNSt15iterator_traitsISE_E10value_typeEPNSK_ISF_E10value_typeEPSG_NS1_7vsmem_tEENKUlT_SE_SF_SG_E_clIS8_S8_S9_S9_EESD_ST_SE_SF_SG_EUlST_E0_NS1_11comp_targetILNS1_3genE5ELNS1_11target_archE942ELNS1_3gpuE9ELNS1_3repE0EEENS1_38merge_mergepath_config_static_selectorELNS0_4arch9wavefront6targetE0EEEvSF_.has_recursion, 0
	.set _ZN7rocprim17ROCPRIM_400000_NS6detail17trampoline_kernelINS0_14default_configENS1_38merge_sort_block_merge_config_selectorIhNS0_10empty_typeEEEZZNS1_27merge_sort_block_merge_implIS3_PhPS5_jNS1_19radix_merge_compareILb0ELb1EhNS0_19identity_decomposerEEEEE10hipError_tT0_T1_T2_jT3_P12ihipStream_tbPNSt15iterator_traitsISE_E10value_typeEPNSK_ISF_E10value_typeEPSG_NS1_7vsmem_tEENKUlT_SE_SF_SG_E_clIS8_S8_S9_S9_EESD_ST_SE_SF_SG_EUlST_E0_NS1_11comp_targetILNS1_3genE5ELNS1_11target_archE942ELNS1_3gpuE9ELNS1_3repE0EEENS1_38merge_mergepath_config_static_selectorELNS0_4arch9wavefront6targetE0EEEvSF_.has_indirect_call, 0
	.section	.AMDGPU.csdata,"",@progbits
; Kernel info:
; codeLenInByte = 0
; TotalNumSgprs: 0
; NumVgprs: 0
; ScratchSize: 0
; MemoryBound: 0
; FloatMode: 240
; IeeeMode: 1
; LDSByteSize: 0 bytes/workgroup (compile time only)
; SGPRBlocks: 0
; VGPRBlocks: 0
; NumSGPRsForWavesPerEU: 1
; NumVGPRsForWavesPerEU: 1
; NamedBarCnt: 0
; Occupancy: 16
; WaveLimiterHint : 0
; COMPUTE_PGM_RSRC2:SCRATCH_EN: 0
; COMPUTE_PGM_RSRC2:USER_SGPR: 2
; COMPUTE_PGM_RSRC2:TRAP_HANDLER: 0
; COMPUTE_PGM_RSRC2:TGID_X_EN: 1
; COMPUTE_PGM_RSRC2:TGID_Y_EN: 0
; COMPUTE_PGM_RSRC2:TGID_Z_EN: 0
; COMPUTE_PGM_RSRC2:TIDIG_COMP_CNT: 0
	.section	.text._ZN7rocprim17ROCPRIM_400000_NS6detail17trampoline_kernelINS0_14default_configENS1_38merge_sort_block_merge_config_selectorIhNS0_10empty_typeEEEZZNS1_27merge_sort_block_merge_implIS3_PhPS5_jNS1_19radix_merge_compareILb0ELb1EhNS0_19identity_decomposerEEEEE10hipError_tT0_T1_T2_jT3_P12ihipStream_tbPNSt15iterator_traitsISE_E10value_typeEPNSK_ISF_E10value_typeEPSG_NS1_7vsmem_tEENKUlT_SE_SF_SG_E_clIS8_S8_S9_S9_EESD_ST_SE_SF_SG_EUlST_E0_NS1_11comp_targetILNS1_3genE4ELNS1_11target_archE910ELNS1_3gpuE8ELNS1_3repE0EEENS1_38merge_mergepath_config_static_selectorELNS0_4arch9wavefront6targetE0EEEvSF_,"axG",@progbits,_ZN7rocprim17ROCPRIM_400000_NS6detail17trampoline_kernelINS0_14default_configENS1_38merge_sort_block_merge_config_selectorIhNS0_10empty_typeEEEZZNS1_27merge_sort_block_merge_implIS3_PhPS5_jNS1_19radix_merge_compareILb0ELb1EhNS0_19identity_decomposerEEEEE10hipError_tT0_T1_T2_jT3_P12ihipStream_tbPNSt15iterator_traitsISE_E10value_typeEPNSK_ISF_E10value_typeEPSG_NS1_7vsmem_tEENKUlT_SE_SF_SG_E_clIS8_S8_S9_S9_EESD_ST_SE_SF_SG_EUlST_E0_NS1_11comp_targetILNS1_3genE4ELNS1_11target_archE910ELNS1_3gpuE8ELNS1_3repE0EEENS1_38merge_mergepath_config_static_selectorELNS0_4arch9wavefront6targetE0EEEvSF_,comdat
	.protected	_ZN7rocprim17ROCPRIM_400000_NS6detail17trampoline_kernelINS0_14default_configENS1_38merge_sort_block_merge_config_selectorIhNS0_10empty_typeEEEZZNS1_27merge_sort_block_merge_implIS3_PhPS5_jNS1_19radix_merge_compareILb0ELb1EhNS0_19identity_decomposerEEEEE10hipError_tT0_T1_T2_jT3_P12ihipStream_tbPNSt15iterator_traitsISE_E10value_typeEPNSK_ISF_E10value_typeEPSG_NS1_7vsmem_tEENKUlT_SE_SF_SG_E_clIS8_S8_S9_S9_EESD_ST_SE_SF_SG_EUlST_E0_NS1_11comp_targetILNS1_3genE4ELNS1_11target_archE910ELNS1_3gpuE8ELNS1_3repE0EEENS1_38merge_mergepath_config_static_selectorELNS0_4arch9wavefront6targetE0EEEvSF_ ; -- Begin function _ZN7rocprim17ROCPRIM_400000_NS6detail17trampoline_kernelINS0_14default_configENS1_38merge_sort_block_merge_config_selectorIhNS0_10empty_typeEEEZZNS1_27merge_sort_block_merge_implIS3_PhPS5_jNS1_19radix_merge_compareILb0ELb1EhNS0_19identity_decomposerEEEEE10hipError_tT0_T1_T2_jT3_P12ihipStream_tbPNSt15iterator_traitsISE_E10value_typeEPNSK_ISF_E10value_typeEPSG_NS1_7vsmem_tEENKUlT_SE_SF_SG_E_clIS8_S8_S9_S9_EESD_ST_SE_SF_SG_EUlST_E0_NS1_11comp_targetILNS1_3genE4ELNS1_11target_archE910ELNS1_3gpuE8ELNS1_3repE0EEENS1_38merge_mergepath_config_static_selectorELNS0_4arch9wavefront6targetE0EEEvSF_
	.globl	_ZN7rocprim17ROCPRIM_400000_NS6detail17trampoline_kernelINS0_14default_configENS1_38merge_sort_block_merge_config_selectorIhNS0_10empty_typeEEEZZNS1_27merge_sort_block_merge_implIS3_PhPS5_jNS1_19radix_merge_compareILb0ELb1EhNS0_19identity_decomposerEEEEE10hipError_tT0_T1_T2_jT3_P12ihipStream_tbPNSt15iterator_traitsISE_E10value_typeEPNSK_ISF_E10value_typeEPSG_NS1_7vsmem_tEENKUlT_SE_SF_SG_E_clIS8_S8_S9_S9_EESD_ST_SE_SF_SG_EUlST_E0_NS1_11comp_targetILNS1_3genE4ELNS1_11target_archE910ELNS1_3gpuE8ELNS1_3repE0EEENS1_38merge_mergepath_config_static_selectorELNS0_4arch9wavefront6targetE0EEEvSF_
	.p2align	8
	.type	_ZN7rocprim17ROCPRIM_400000_NS6detail17trampoline_kernelINS0_14default_configENS1_38merge_sort_block_merge_config_selectorIhNS0_10empty_typeEEEZZNS1_27merge_sort_block_merge_implIS3_PhPS5_jNS1_19radix_merge_compareILb0ELb1EhNS0_19identity_decomposerEEEEE10hipError_tT0_T1_T2_jT3_P12ihipStream_tbPNSt15iterator_traitsISE_E10value_typeEPNSK_ISF_E10value_typeEPSG_NS1_7vsmem_tEENKUlT_SE_SF_SG_E_clIS8_S8_S9_S9_EESD_ST_SE_SF_SG_EUlST_E0_NS1_11comp_targetILNS1_3genE4ELNS1_11target_archE910ELNS1_3gpuE8ELNS1_3repE0EEENS1_38merge_mergepath_config_static_selectorELNS0_4arch9wavefront6targetE0EEEvSF_,@function
_ZN7rocprim17ROCPRIM_400000_NS6detail17trampoline_kernelINS0_14default_configENS1_38merge_sort_block_merge_config_selectorIhNS0_10empty_typeEEEZZNS1_27merge_sort_block_merge_implIS3_PhPS5_jNS1_19radix_merge_compareILb0ELb1EhNS0_19identity_decomposerEEEEE10hipError_tT0_T1_T2_jT3_P12ihipStream_tbPNSt15iterator_traitsISE_E10value_typeEPNSK_ISF_E10value_typeEPSG_NS1_7vsmem_tEENKUlT_SE_SF_SG_E_clIS8_S8_S9_S9_EESD_ST_SE_SF_SG_EUlST_E0_NS1_11comp_targetILNS1_3genE4ELNS1_11target_archE910ELNS1_3gpuE8ELNS1_3repE0EEENS1_38merge_mergepath_config_static_selectorELNS0_4arch9wavefront6targetE0EEEvSF_: ; @_ZN7rocprim17ROCPRIM_400000_NS6detail17trampoline_kernelINS0_14default_configENS1_38merge_sort_block_merge_config_selectorIhNS0_10empty_typeEEEZZNS1_27merge_sort_block_merge_implIS3_PhPS5_jNS1_19radix_merge_compareILb0ELb1EhNS0_19identity_decomposerEEEEE10hipError_tT0_T1_T2_jT3_P12ihipStream_tbPNSt15iterator_traitsISE_E10value_typeEPNSK_ISF_E10value_typeEPSG_NS1_7vsmem_tEENKUlT_SE_SF_SG_E_clIS8_S8_S9_S9_EESD_ST_SE_SF_SG_EUlST_E0_NS1_11comp_targetILNS1_3genE4ELNS1_11target_archE910ELNS1_3gpuE8ELNS1_3repE0EEENS1_38merge_mergepath_config_static_selectorELNS0_4arch9wavefront6targetE0EEEvSF_
; %bb.0:
	.section	.rodata,"a",@progbits
	.p2align	6, 0x0
	.amdhsa_kernel _ZN7rocprim17ROCPRIM_400000_NS6detail17trampoline_kernelINS0_14default_configENS1_38merge_sort_block_merge_config_selectorIhNS0_10empty_typeEEEZZNS1_27merge_sort_block_merge_implIS3_PhPS5_jNS1_19radix_merge_compareILb0ELb1EhNS0_19identity_decomposerEEEEE10hipError_tT0_T1_T2_jT3_P12ihipStream_tbPNSt15iterator_traitsISE_E10value_typeEPNSK_ISF_E10value_typeEPSG_NS1_7vsmem_tEENKUlT_SE_SF_SG_E_clIS8_S8_S9_S9_EESD_ST_SE_SF_SG_EUlST_E0_NS1_11comp_targetILNS1_3genE4ELNS1_11target_archE910ELNS1_3gpuE8ELNS1_3repE0EEENS1_38merge_mergepath_config_static_selectorELNS0_4arch9wavefront6targetE0EEEvSF_
		.amdhsa_group_segment_fixed_size 0
		.amdhsa_private_segment_fixed_size 0
		.amdhsa_kernarg_size 64
		.amdhsa_user_sgpr_count 2
		.amdhsa_user_sgpr_dispatch_ptr 0
		.amdhsa_user_sgpr_queue_ptr 0
		.amdhsa_user_sgpr_kernarg_segment_ptr 1
		.amdhsa_user_sgpr_dispatch_id 0
		.amdhsa_user_sgpr_kernarg_preload_length 0
		.amdhsa_user_sgpr_kernarg_preload_offset 0
		.amdhsa_user_sgpr_private_segment_size 0
		.amdhsa_wavefront_size32 1
		.amdhsa_uses_dynamic_stack 0
		.amdhsa_enable_private_segment 0
		.amdhsa_system_sgpr_workgroup_id_x 1
		.amdhsa_system_sgpr_workgroup_id_y 0
		.amdhsa_system_sgpr_workgroup_id_z 0
		.amdhsa_system_sgpr_workgroup_info 0
		.amdhsa_system_vgpr_workitem_id 0
		.amdhsa_next_free_vgpr 1
		.amdhsa_next_free_sgpr 1
		.amdhsa_named_barrier_count 0
		.amdhsa_reserve_vcc 0
		.amdhsa_float_round_mode_32 0
		.amdhsa_float_round_mode_16_64 0
		.amdhsa_float_denorm_mode_32 3
		.amdhsa_float_denorm_mode_16_64 3
		.amdhsa_fp16_overflow 0
		.amdhsa_memory_ordered 1
		.amdhsa_forward_progress 1
		.amdhsa_inst_pref_size 0
		.amdhsa_round_robin_scheduling 0
		.amdhsa_exception_fp_ieee_invalid_op 0
		.amdhsa_exception_fp_denorm_src 0
		.amdhsa_exception_fp_ieee_div_zero 0
		.amdhsa_exception_fp_ieee_overflow 0
		.amdhsa_exception_fp_ieee_underflow 0
		.amdhsa_exception_fp_ieee_inexact 0
		.amdhsa_exception_int_div_zero 0
	.end_amdhsa_kernel
	.section	.text._ZN7rocprim17ROCPRIM_400000_NS6detail17trampoline_kernelINS0_14default_configENS1_38merge_sort_block_merge_config_selectorIhNS0_10empty_typeEEEZZNS1_27merge_sort_block_merge_implIS3_PhPS5_jNS1_19radix_merge_compareILb0ELb1EhNS0_19identity_decomposerEEEEE10hipError_tT0_T1_T2_jT3_P12ihipStream_tbPNSt15iterator_traitsISE_E10value_typeEPNSK_ISF_E10value_typeEPSG_NS1_7vsmem_tEENKUlT_SE_SF_SG_E_clIS8_S8_S9_S9_EESD_ST_SE_SF_SG_EUlST_E0_NS1_11comp_targetILNS1_3genE4ELNS1_11target_archE910ELNS1_3gpuE8ELNS1_3repE0EEENS1_38merge_mergepath_config_static_selectorELNS0_4arch9wavefront6targetE0EEEvSF_,"axG",@progbits,_ZN7rocprim17ROCPRIM_400000_NS6detail17trampoline_kernelINS0_14default_configENS1_38merge_sort_block_merge_config_selectorIhNS0_10empty_typeEEEZZNS1_27merge_sort_block_merge_implIS3_PhPS5_jNS1_19radix_merge_compareILb0ELb1EhNS0_19identity_decomposerEEEEE10hipError_tT0_T1_T2_jT3_P12ihipStream_tbPNSt15iterator_traitsISE_E10value_typeEPNSK_ISF_E10value_typeEPSG_NS1_7vsmem_tEENKUlT_SE_SF_SG_E_clIS8_S8_S9_S9_EESD_ST_SE_SF_SG_EUlST_E0_NS1_11comp_targetILNS1_3genE4ELNS1_11target_archE910ELNS1_3gpuE8ELNS1_3repE0EEENS1_38merge_mergepath_config_static_selectorELNS0_4arch9wavefront6targetE0EEEvSF_,comdat
.Lfunc_end188:
	.size	_ZN7rocprim17ROCPRIM_400000_NS6detail17trampoline_kernelINS0_14default_configENS1_38merge_sort_block_merge_config_selectorIhNS0_10empty_typeEEEZZNS1_27merge_sort_block_merge_implIS3_PhPS5_jNS1_19radix_merge_compareILb0ELb1EhNS0_19identity_decomposerEEEEE10hipError_tT0_T1_T2_jT3_P12ihipStream_tbPNSt15iterator_traitsISE_E10value_typeEPNSK_ISF_E10value_typeEPSG_NS1_7vsmem_tEENKUlT_SE_SF_SG_E_clIS8_S8_S9_S9_EESD_ST_SE_SF_SG_EUlST_E0_NS1_11comp_targetILNS1_3genE4ELNS1_11target_archE910ELNS1_3gpuE8ELNS1_3repE0EEENS1_38merge_mergepath_config_static_selectorELNS0_4arch9wavefront6targetE0EEEvSF_, .Lfunc_end188-_ZN7rocprim17ROCPRIM_400000_NS6detail17trampoline_kernelINS0_14default_configENS1_38merge_sort_block_merge_config_selectorIhNS0_10empty_typeEEEZZNS1_27merge_sort_block_merge_implIS3_PhPS5_jNS1_19radix_merge_compareILb0ELb1EhNS0_19identity_decomposerEEEEE10hipError_tT0_T1_T2_jT3_P12ihipStream_tbPNSt15iterator_traitsISE_E10value_typeEPNSK_ISF_E10value_typeEPSG_NS1_7vsmem_tEENKUlT_SE_SF_SG_E_clIS8_S8_S9_S9_EESD_ST_SE_SF_SG_EUlST_E0_NS1_11comp_targetILNS1_3genE4ELNS1_11target_archE910ELNS1_3gpuE8ELNS1_3repE0EEENS1_38merge_mergepath_config_static_selectorELNS0_4arch9wavefront6targetE0EEEvSF_
                                        ; -- End function
	.set _ZN7rocprim17ROCPRIM_400000_NS6detail17trampoline_kernelINS0_14default_configENS1_38merge_sort_block_merge_config_selectorIhNS0_10empty_typeEEEZZNS1_27merge_sort_block_merge_implIS3_PhPS5_jNS1_19radix_merge_compareILb0ELb1EhNS0_19identity_decomposerEEEEE10hipError_tT0_T1_T2_jT3_P12ihipStream_tbPNSt15iterator_traitsISE_E10value_typeEPNSK_ISF_E10value_typeEPSG_NS1_7vsmem_tEENKUlT_SE_SF_SG_E_clIS8_S8_S9_S9_EESD_ST_SE_SF_SG_EUlST_E0_NS1_11comp_targetILNS1_3genE4ELNS1_11target_archE910ELNS1_3gpuE8ELNS1_3repE0EEENS1_38merge_mergepath_config_static_selectorELNS0_4arch9wavefront6targetE0EEEvSF_.num_vgpr, 0
	.set _ZN7rocprim17ROCPRIM_400000_NS6detail17trampoline_kernelINS0_14default_configENS1_38merge_sort_block_merge_config_selectorIhNS0_10empty_typeEEEZZNS1_27merge_sort_block_merge_implIS3_PhPS5_jNS1_19radix_merge_compareILb0ELb1EhNS0_19identity_decomposerEEEEE10hipError_tT0_T1_T2_jT3_P12ihipStream_tbPNSt15iterator_traitsISE_E10value_typeEPNSK_ISF_E10value_typeEPSG_NS1_7vsmem_tEENKUlT_SE_SF_SG_E_clIS8_S8_S9_S9_EESD_ST_SE_SF_SG_EUlST_E0_NS1_11comp_targetILNS1_3genE4ELNS1_11target_archE910ELNS1_3gpuE8ELNS1_3repE0EEENS1_38merge_mergepath_config_static_selectorELNS0_4arch9wavefront6targetE0EEEvSF_.num_agpr, 0
	.set _ZN7rocprim17ROCPRIM_400000_NS6detail17trampoline_kernelINS0_14default_configENS1_38merge_sort_block_merge_config_selectorIhNS0_10empty_typeEEEZZNS1_27merge_sort_block_merge_implIS3_PhPS5_jNS1_19radix_merge_compareILb0ELb1EhNS0_19identity_decomposerEEEEE10hipError_tT0_T1_T2_jT3_P12ihipStream_tbPNSt15iterator_traitsISE_E10value_typeEPNSK_ISF_E10value_typeEPSG_NS1_7vsmem_tEENKUlT_SE_SF_SG_E_clIS8_S8_S9_S9_EESD_ST_SE_SF_SG_EUlST_E0_NS1_11comp_targetILNS1_3genE4ELNS1_11target_archE910ELNS1_3gpuE8ELNS1_3repE0EEENS1_38merge_mergepath_config_static_selectorELNS0_4arch9wavefront6targetE0EEEvSF_.numbered_sgpr, 0
	.set _ZN7rocprim17ROCPRIM_400000_NS6detail17trampoline_kernelINS0_14default_configENS1_38merge_sort_block_merge_config_selectorIhNS0_10empty_typeEEEZZNS1_27merge_sort_block_merge_implIS3_PhPS5_jNS1_19radix_merge_compareILb0ELb1EhNS0_19identity_decomposerEEEEE10hipError_tT0_T1_T2_jT3_P12ihipStream_tbPNSt15iterator_traitsISE_E10value_typeEPNSK_ISF_E10value_typeEPSG_NS1_7vsmem_tEENKUlT_SE_SF_SG_E_clIS8_S8_S9_S9_EESD_ST_SE_SF_SG_EUlST_E0_NS1_11comp_targetILNS1_3genE4ELNS1_11target_archE910ELNS1_3gpuE8ELNS1_3repE0EEENS1_38merge_mergepath_config_static_selectorELNS0_4arch9wavefront6targetE0EEEvSF_.num_named_barrier, 0
	.set _ZN7rocprim17ROCPRIM_400000_NS6detail17trampoline_kernelINS0_14default_configENS1_38merge_sort_block_merge_config_selectorIhNS0_10empty_typeEEEZZNS1_27merge_sort_block_merge_implIS3_PhPS5_jNS1_19radix_merge_compareILb0ELb1EhNS0_19identity_decomposerEEEEE10hipError_tT0_T1_T2_jT3_P12ihipStream_tbPNSt15iterator_traitsISE_E10value_typeEPNSK_ISF_E10value_typeEPSG_NS1_7vsmem_tEENKUlT_SE_SF_SG_E_clIS8_S8_S9_S9_EESD_ST_SE_SF_SG_EUlST_E0_NS1_11comp_targetILNS1_3genE4ELNS1_11target_archE910ELNS1_3gpuE8ELNS1_3repE0EEENS1_38merge_mergepath_config_static_selectorELNS0_4arch9wavefront6targetE0EEEvSF_.private_seg_size, 0
	.set _ZN7rocprim17ROCPRIM_400000_NS6detail17trampoline_kernelINS0_14default_configENS1_38merge_sort_block_merge_config_selectorIhNS0_10empty_typeEEEZZNS1_27merge_sort_block_merge_implIS3_PhPS5_jNS1_19radix_merge_compareILb0ELb1EhNS0_19identity_decomposerEEEEE10hipError_tT0_T1_T2_jT3_P12ihipStream_tbPNSt15iterator_traitsISE_E10value_typeEPNSK_ISF_E10value_typeEPSG_NS1_7vsmem_tEENKUlT_SE_SF_SG_E_clIS8_S8_S9_S9_EESD_ST_SE_SF_SG_EUlST_E0_NS1_11comp_targetILNS1_3genE4ELNS1_11target_archE910ELNS1_3gpuE8ELNS1_3repE0EEENS1_38merge_mergepath_config_static_selectorELNS0_4arch9wavefront6targetE0EEEvSF_.uses_vcc, 0
	.set _ZN7rocprim17ROCPRIM_400000_NS6detail17trampoline_kernelINS0_14default_configENS1_38merge_sort_block_merge_config_selectorIhNS0_10empty_typeEEEZZNS1_27merge_sort_block_merge_implIS3_PhPS5_jNS1_19radix_merge_compareILb0ELb1EhNS0_19identity_decomposerEEEEE10hipError_tT0_T1_T2_jT3_P12ihipStream_tbPNSt15iterator_traitsISE_E10value_typeEPNSK_ISF_E10value_typeEPSG_NS1_7vsmem_tEENKUlT_SE_SF_SG_E_clIS8_S8_S9_S9_EESD_ST_SE_SF_SG_EUlST_E0_NS1_11comp_targetILNS1_3genE4ELNS1_11target_archE910ELNS1_3gpuE8ELNS1_3repE0EEENS1_38merge_mergepath_config_static_selectorELNS0_4arch9wavefront6targetE0EEEvSF_.uses_flat_scratch, 0
	.set _ZN7rocprim17ROCPRIM_400000_NS6detail17trampoline_kernelINS0_14default_configENS1_38merge_sort_block_merge_config_selectorIhNS0_10empty_typeEEEZZNS1_27merge_sort_block_merge_implIS3_PhPS5_jNS1_19radix_merge_compareILb0ELb1EhNS0_19identity_decomposerEEEEE10hipError_tT0_T1_T2_jT3_P12ihipStream_tbPNSt15iterator_traitsISE_E10value_typeEPNSK_ISF_E10value_typeEPSG_NS1_7vsmem_tEENKUlT_SE_SF_SG_E_clIS8_S8_S9_S9_EESD_ST_SE_SF_SG_EUlST_E0_NS1_11comp_targetILNS1_3genE4ELNS1_11target_archE910ELNS1_3gpuE8ELNS1_3repE0EEENS1_38merge_mergepath_config_static_selectorELNS0_4arch9wavefront6targetE0EEEvSF_.has_dyn_sized_stack, 0
	.set _ZN7rocprim17ROCPRIM_400000_NS6detail17trampoline_kernelINS0_14default_configENS1_38merge_sort_block_merge_config_selectorIhNS0_10empty_typeEEEZZNS1_27merge_sort_block_merge_implIS3_PhPS5_jNS1_19radix_merge_compareILb0ELb1EhNS0_19identity_decomposerEEEEE10hipError_tT0_T1_T2_jT3_P12ihipStream_tbPNSt15iterator_traitsISE_E10value_typeEPNSK_ISF_E10value_typeEPSG_NS1_7vsmem_tEENKUlT_SE_SF_SG_E_clIS8_S8_S9_S9_EESD_ST_SE_SF_SG_EUlST_E0_NS1_11comp_targetILNS1_3genE4ELNS1_11target_archE910ELNS1_3gpuE8ELNS1_3repE0EEENS1_38merge_mergepath_config_static_selectorELNS0_4arch9wavefront6targetE0EEEvSF_.has_recursion, 0
	.set _ZN7rocprim17ROCPRIM_400000_NS6detail17trampoline_kernelINS0_14default_configENS1_38merge_sort_block_merge_config_selectorIhNS0_10empty_typeEEEZZNS1_27merge_sort_block_merge_implIS3_PhPS5_jNS1_19radix_merge_compareILb0ELb1EhNS0_19identity_decomposerEEEEE10hipError_tT0_T1_T2_jT3_P12ihipStream_tbPNSt15iterator_traitsISE_E10value_typeEPNSK_ISF_E10value_typeEPSG_NS1_7vsmem_tEENKUlT_SE_SF_SG_E_clIS8_S8_S9_S9_EESD_ST_SE_SF_SG_EUlST_E0_NS1_11comp_targetILNS1_3genE4ELNS1_11target_archE910ELNS1_3gpuE8ELNS1_3repE0EEENS1_38merge_mergepath_config_static_selectorELNS0_4arch9wavefront6targetE0EEEvSF_.has_indirect_call, 0
	.section	.AMDGPU.csdata,"",@progbits
; Kernel info:
; codeLenInByte = 0
; TotalNumSgprs: 0
; NumVgprs: 0
; ScratchSize: 0
; MemoryBound: 0
; FloatMode: 240
; IeeeMode: 1
; LDSByteSize: 0 bytes/workgroup (compile time only)
; SGPRBlocks: 0
; VGPRBlocks: 0
; NumSGPRsForWavesPerEU: 1
; NumVGPRsForWavesPerEU: 1
; NamedBarCnt: 0
; Occupancy: 16
; WaveLimiterHint : 0
; COMPUTE_PGM_RSRC2:SCRATCH_EN: 0
; COMPUTE_PGM_RSRC2:USER_SGPR: 2
; COMPUTE_PGM_RSRC2:TRAP_HANDLER: 0
; COMPUTE_PGM_RSRC2:TGID_X_EN: 1
; COMPUTE_PGM_RSRC2:TGID_Y_EN: 0
; COMPUTE_PGM_RSRC2:TGID_Z_EN: 0
; COMPUTE_PGM_RSRC2:TIDIG_COMP_CNT: 0
	.section	.text._ZN7rocprim17ROCPRIM_400000_NS6detail17trampoline_kernelINS0_14default_configENS1_38merge_sort_block_merge_config_selectorIhNS0_10empty_typeEEEZZNS1_27merge_sort_block_merge_implIS3_PhPS5_jNS1_19radix_merge_compareILb0ELb1EhNS0_19identity_decomposerEEEEE10hipError_tT0_T1_T2_jT3_P12ihipStream_tbPNSt15iterator_traitsISE_E10value_typeEPNSK_ISF_E10value_typeEPSG_NS1_7vsmem_tEENKUlT_SE_SF_SG_E_clIS8_S8_S9_S9_EESD_ST_SE_SF_SG_EUlST_E0_NS1_11comp_targetILNS1_3genE3ELNS1_11target_archE908ELNS1_3gpuE7ELNS1_3repE0EEENS1_38merge_mergepath_config_static_selectorELNS0_4arch9wavefront6targetE0EEEvSF_,"axG",@progbits,_ZN7rocprim17ROCPRIM_400000_NS6detail17trampoline_kernelINS0_14default_configENS1_38merge_sort_block_merge_config_selectorIhNS0_10empty_typeEEEZZNS1_27merge_sort_block_merge_implIS3_PhPS5_jNS1_19radix_merge_compareILb0ELb1EhNS0_19identity_decomposerEEEEE10hipError_tT0_T1_T2_jT3_P12ihipStream_tbPNSt15iterator_traitsISE_E10value_typeEPNSK_ISF_E10value_typeEPSG_NS1_7vsmem_tEENKUlT_SE_SF_SG_E_clIS8_S8_S9_S9_EESD_ST_SE_SF_SG_EUlST_E0_NS1_11comp_targetILNS1_3genE3ELNS1_11target_archE908ELNS1_3gpuE7ELNS1_3repE0EEENS1_38merge_mergepath_config_static_selectorELNS0_4arch9wavefront6targetE0EEEvSF_,comdat
	.protected	_ZN7rocprim17ROCPRIM_400000_NS6detail17trampoline_kernelINS0_14default_configENS1_38merge_sort_block_merge_config_selectorIhNS0_10empty_typeEEEZZNS1_27merge_sort_block_merge_implIS3_PhPS5_jNS1_19radix_merge_compareILb0ELb1EhNS0_19identity_decomposerEEEEE10hipError_tT0_T1_T2_jT3_P12ihipStream_tbPNSt15iterator_traitsISE_E10value_typeEPNSK_ISF_E10value_typeEPSG_NS1_7vsmem_tEENKUlT_SE_SF_SG_E_clIS8_S8_S9_S9_EESD_ST_SE_SF_SG_EUlST_E0_NS1_11comp_targetILNS1_3genE3ELNS1_11target_archE908ELNS1_3gpuE7ELNS1_3repE0EEENS1_38merge_mergepath_config_static_selectorELNS0_4arch9wavefront6targetE0EEEvSF_ ; -- Begin function _ZN7rocprim17ROCPRIM_400000_NS6detail17trampoline_kernelINS0_14default_configENS1_38merge_sort_block_merge_config_selectorIhNS0_10empty_typeEEEZZNS1_27merge_sort_block_merge_implIS3_PhPS5_jNS1_19radix_merge_compareILb0ELb1EhNS0_19identity_decomposerEEEEE10hipError_tT0_T1_T2_jT3_P12ihipStream_tbPNSt15iterator_traitsISE_E10value_typeEPNSK_ISF_E10value_typeEPSG_NS1_7vsmem_tEENKUlT_SE_SF_SG_E_clIS8_S8_S9_S9_EESD_ST_SE_SF_SG_EUlST_E0_NS1_11comp_targetILNS1_3genE3ELNS1_11target_archE908ELNS1_3gpuE7ELNS1_3repE0EEENS1_38merge_mergepath_config_static_selectorELNS0_4arch9wavefront6targetE0EEEvSF_
	.globl	_ZN7rocprim17ROCPRIM_400000_NS6detail17trampoline_kernelINS0_14default_configENS1_38merge_sort_block_merge_config_selectorIhNS0_10empty_typeEEEZZNS1_27merge_sort_block_merge_implIS3_PhPS5_jNS1_19radix_merge_compareILb0ELb1EhNS0_19identity_decomposerEEEEE10hipError_tT0_T1_T2_jT3_P12ihipStream_tbPNSt15iterator_traitsISE_E10value_typeEPNSK_ISF_E10value_typeEPSG_NS1_7vsmem_tEENKUlT_SE_SF_SG_E_clIS8_S8_S9_S9_EESD_ST_SE_SF_SG_EUlST_E0_NS1_11comp_targetILNS1_3genE3ELNS1_11target_archE908ELNS1_3gpuE7ELNS1_3repE0EEENS1_38merge_mergepath_config_static_selectorELNS0_4arch9wavefront6targetE0EEEvSF_
	.p2align	8
	.type	_ZN7rocprim17ROCPRIM_400000_NS6detail17trampoline_kernelINS0_14default_configENS1_38merge_sort_block_merge_config_selectorIhNS0_10empty_typeEEEZZNS1_27merge_sort_block_merge_implIS3_PhPS5_jNS1_19radix_merge_compareILb0ELb1EhNS0_19identity_decomposerEEEEE10hipError_tT0_T1_T2_jT3_P12ihipStream_tbPNSt15iterator_traitsISE_E10value_typeEPNSK_ISF_E10value_typeEPSG_NS1_7vsmem_tEENKUlT_SE_SF_SG_E_clIS8_S8_S9_S9_EESD_ST_SE_SF_SG_EUlST_E0_NS1_11comp_targetILNS1_3genE3ELNS1_11target_archE908ELNS1_3gpuE7ELNS1_3repE0EEENS1_38merge_mergepath_config_static_selectorELNS0_4arch9wavefront6targetE0EEEvSF_,@function
_ZN7rocprim17ROCPRIM_400000_NS6detail17trampoline_kernelINS0_14default_configENS1_38merge_sort_block_merge_config_selectorIhNS0_10empty_typeEEEZZNS1_27merge_sort_block_merge_implIS3_PhPS5_jNS1_19radix_merge_compareILb0ELb1EhNS0_19identity_decomposerEEEEE10hipError_tT0_T1_T2_jT3_P12ihipStream_tbPNSt15iterator_traitsISE_E10value_typeEPNSK_ISF_E10value_typeEPSG_NS1_7vsmem_tEENKUlT_SE_SF_SG_E_clIS8_S8_S9_S9_EESD_ST_SE_SF_SG_EUlST_E0_NS1_11comp_targetILNS1_3genE3ELNS1_11target_archE908ELNS1_3gpuE7ELNS1_3repE0EEENS1_38merge_mergepath_config_static_selectorELNS0_4arch9wavefront6targetE0EEEvSF_: ; @_ZN7rocprim17ROCPRIM_400000_NS6detail17trampoline_kernelINS0_14default_configENS1_38merge_sort_block_merge_config_selectorIhNS0_10empty_typeEEEZZNS1_27merge_sort_block_merge_implIS3_PhPS5_jNS1_19radix_merge_compareILb0ELb1EhNS0_19identity_decomposerEEEEE10hipError_tT0_T1_T2_jT3_P12ihipStream_tbPNSt15iterator_traitsISE_E10value_typeEPNSK_ISF_E10value_typeEPSG_NS1_7vsmem_tEENKUlT_SE_SF_SG_E_clIS8_S8_S9_S9_EESD_ST_SE_SF_SG_EUlST_E0_NS1_11comp_targetILNS1_3genE3ELNS1_11target_archE908ELNS1_3gpuE7ELNS1_3repE0EEENS1_38merge_mergepath_config_static_selectorELNS0_4arch9wavefront6targetE0EEEvSF_
; %bb.0:
	.section	.rodata,"a",@progbits
	.p2align	6, 0x0
	.amdhsa_kernel _ZN7rocprim17ROCPRIM_400000_NS6detail17trampoline_kernelINS0_14default_configENS1_38merge_sort_block_merge_config_selectorIhNS0_10empty_typeEEEZZNS1_27merge_sort_block_merge_implIS3_PhPS5_jNS1_19radix_merge_compareILb0ELb1EhNS0_19identity_decomposerEEEEE10hipError_tT0_T1_T2_jT3_P12ihipStream_tbPNSt15iterator_traitsISE_E10value_typeEPNSK_ISF_E10value_typeEPSG_NS1_7vsmem_tEENKUlT_SE_SF_SG_E_clIS8_S8_S9_S9_EESD_ST_SE_SF_SG_EUlST_E0_NS1_11comp_targetILNS1_3genE3ELNS1_11target_archE908ELNS1_3gpuE7ELNS1_3repE0EEENS1_38merge_mergepath_config_static_selectorELNS0_4arch9wavefront6targetE0EEEvSF_
		.amdhsa_group_segment_fixed_size 0
		.amdhsa_private_segment_fixed_size 0
		.amdhsa_kernarg_size 64
		.amdhsa_user_sgpr_count 2
		.amdhsa_user_sgpr_dispatch_ptr 0
		.amdhsa_user_sgpr_queue_ptr 0
		.amdhsa_user_sgpr_kernarg_segment_ptr 1
		.amdhsa_user_sgpr_dispatch_id 0
		.amdhsa_user_sgpr_kernarg_preload_length 0
		.amdhsa_user_sgpr_kernarg_preload_offset 0
		.amdhsa_user_sgpr_private_segment_size 0
		.amdhsa_wavefront_size32 1
		.amdhsa_uses_dynamic_stack 0
		.amdhsa_enable_private_segment 0
		.amdhsa_system_sgpr_workgroup_id_x 1
		.amdhsa_system_sgpr_workgroup_id_y 0
		.amdhsa_system_sgpr_workgroup_id_z 0
		.amdhsa_system_sgpr_workgroup_info 0
		.amdhsa_system_vgpr_workitem_id 0
		.amdhsa_next_free_vgpr 1
		.amdhsa_next_free_sgpr 1
		.amdhsa_named_barrier_count 0
		.amdhsa_reserve_vcc 0
		.amdhsa_float_round_mode_32 0
		.amdhsa_float_round_mode_16_64 0
		.amdhsa_float_denorm_mode_32 3
		.amdhsa_float_denorm_mode_16_64 3
		.amdhsa_fp16_overflow 0
		.amdhsa_memory_ordered 1
		.amdhsa_forward_progress 1
		.amdhsa_inst_pref_size 0
		.amdhsa_round_robin_scheduling 0
		.amdhsa_exception_fp_ieee_invalid_op 0
		.amdhsa_exception_fp_denorm_src 0
		.amdhsa_exception_fp_ieee_div_zero 0
		.amdhsa_exception_fp_ieee_overflow 0
		.amdhsa_exception_fp_ieee_underflow 0
		.amdhsa_exception_fp_ieee_inexact 0
		.amdhsa_exception_int_div_zero 0
	.end_amdhsa_kernel
	.section	.text._ZN7rocprim17ROCPRIM_400000_NS6detail17trampoline_kernelINS0_14default_configENS1_38merge_sort_block_merge_config_selectorIhNS0_10empty_typeEEEZZNS1_27merge_sort_block_merge_implIS3_PhPS5_jNS1_19radix_merge_compareILb0ELb1EhNS0_19identity_decomposerEEEEE10hipError_tT0_T1_T2_jT3_P12ihipStream_tbPNSt15iterator_traitsISE_E10value_typeEPNSK_ISF_E10value_typeEPSG_NS1_7vsmem_tEENKUlT_SE_SF_SG_E_clIS8_S8_S9_S9_EESD_ST_SE_SF_SG_EUlST_E0_NS1_11comp_targetILNS1_3genE3ELNS1_11target_archE908ELNS1_3gpuE7ELNS1_3repE0EEENS1_38merge_mergepath_config_static_selectorELNS0_4arch9wavefront6targetE0EEEvSF_,"axG",@progbits,_ZN7rocprim17ROCPRIM_400000_NS6detail17trampoline_kernelINS0_14default_configENS1_38merge_sort_block_merge_config_selectorIhNS0_10empty_typeEEEZZNS1_27merge_sort_block_merge_implIS3_PhPS5_jNS1_19radix_merge_compareILb0ELb1EhNS0_19identity_decomposerEEEEE10hipError_tT0_T1_T2_jT3_P12ihipStream_tbPNSt15iterator_traitsISE_E10value_typeEPNSK_ISF_E10value_typeEPSG_NS1_7vsmem_tEENKUlT_SE_SF_SG_E_clIS8_S8_S9_S9_EESD_ST_SE_SF_SG_EUlST_E0_NS1_11comp_targetILNS1_3genE3ELNS1_11target_archE908ELNS1_3gpuE7ELNS1_3repE0EEENS1_38merge_mergepath_config_static_selectorELNS0_4arch9wavefront6targetE0EEEvSF_,comdat
.Lfunc_end189:
	.size	_ZN7rocprim17ROCPRIM_400000_NS6detail17trampoline_kernelINS0_14default_configENS1_38merge_sort_block_merge_config_selectorIhNS0_10empty_typeEEEZZNS1_27merge_sort_block_merge_implIS3_PhPS5_jNS1_19radix_merge_compareILb0ELb1EhNS0_19identity_decomposerEEEEE10hipError_tT0_T1_T2_jT3_P12ihipStream_tbPNSt15iterator_traitsISE_E10value_typeEPNSK_ISF_E10value_typeEPSG_NS1_7vsmem_tEENKUlT_SE_SF_SG_E_clIS8_S8_S9_S9_EESD_ST_SE_SF_SG_EUlST_E0_NS1_11comp_targetILNS1_3genE3ELNS1_11target_archE908ELNS1_3gpuE7ELNS1_3repE0EEENS1_38merge_mergepath_config_static_selectorELNS0_4arch9wavefront6targetE0EEEvSF_, .Lfunc_end189-_ZN7rocprim17ROCPRIM_400000_NS6detail17trampoline_kernelINS0_14default_configENS1_38merge_sort_block_merge_config_selectorIhNS0_10empty_typeEEEZZNS1_27merge_sort_block_merge_implIS3_PhPS5_jNS1_19radix_merge_compareILb0ELb1EhNS0_19identity_decomposerEEEEE10hipError_tT0_T1_T2_jT3_P12ihipStream_tbPNSt15iterator_traitsISE_E10value_typeEPNSK_ISF_E10value_typeEPSG_NS1_7vsmem_tEENKUlT_SE_SF_SG_E_clIS8_S8_S9_S9_EESD_ST_SE_SF_SG_EUlST_E0_NS1_11comp_targetILNS1_3genE3ELNS1_11target_archE908ELNS1_3gpuE7ELNS1_3repE0EEENS1_38merge_mergepath_config_static_selectorELNS0_4arch9wavefront6targetE0EEEvSF_
                                        ; -- End function
	.set _ZN7rocprim17ROCPRIM_400000_NS6detail17trampoline_kernelINS0_14default_configENS1_38merge_sort_block_merge_config_selectorIhNS0_10empty_typeEEEZZNS1_27merge_sort_block_merge_implIS3_PhPS5_jNS1_19radix_merge_compareILb0ELb1EhNS0_19identity_decomposerEEEEE10hipError_tT0_T1_T2_jT3_P12ihipStream_tbPNSt15iterator_traitsISE_E10value_typeEPNSK_ISF_E10value_typeEPSG_NS1_7vsmem_tEENKUlT_SE_SF_SG_E_clIS8_S8_S9_S9_EESD_ST_SE_SF_SG_EUlST_E0_NS1_11comp_targetILNS1_3genE3ELNS1_11target_archE908ELNS1_3gpuE7ELNS1_3repE0EEENS1_38merge_mergepath_config_static_selectorELNS0_4arch9wavefront6targetE0EEEvSF_.num_vgpr, 0
	.set _ZN7rocprim17ROCPRIM_400000_NS6detail17trampoline_kernelINS0_14default_configENS1_38merge_sort_block_merge_config_selectorIhNS0_10empty_typeEEEZZNS1_27merge_sort_block_merge_implIS3_PhPS5_jNS1_19radix_merge_compareILb0ELb1EhNS0_19identity_decomposerEEEEE10hipError_tT0_T1_T2_jT3_P12ihipStream_tbPNSt15iterator_traitsISE_E10value_typeEPNSK_ISF_E10value_typeEPSG_NS1_7vsmem_tEENKUlT_SE_SF_SG_E_clIS8_S8_S9_S9_EESD_ST_SE_SF_SG_EUlST_E0_NS1_11comp_targetILNS1_3genE3ELNS1_11target_archE908ELNS1_3gpuE7ELNS1_3repE0EEENS1_38merge_mergepath_config_static_selectorELNS0_4arch9wavefront6targetE0EEEvSF_.num_agpr, 0
	.set _ZN7rocprim17ROCPRIM_400000_NS6detail17trampoline_kernelINS0_14default_configENS1_38merge_sort_block_merge_config_selectorIhNS0_10empty_typeEEEZZNS1_27merge_sort_block_merge_implIS3_PhPS5_jNS1_19radix_merge_compareILb0ELb1EhNS0_19identity_decomposerEEEEE10hipError_tT0_T1_T2_jT3_P12ihipStream_tbPNSt15iterator_traitsISE_E10value_typeEPNSK_ISF_E10value_typeEPSG_NS1_7vsmem_tEENKUlT_SE_SF_SG_E_clIS8_S8_S9_S9_EESD_ST_SE_SF_SG_EUlST_E0_NS1_11comp_targetILNS1_3genE3ELNS1_11target_archE908ELNS1_3gpuE7ELNS1_3repE0EEENS1_38merge_mergepath_config_static_selectorELNS0_4arch9wavefront6targetE0EEEvSF_.numbered_sgpr, 0
	.set _ZN7rocprim17ROCPRIM_400000_NS6detail17trampoline_kernelINS0_14default_configENS1_38merge_sort_block_merge_config_selectorIhNS0_10empty_typeEEEZZNS1_27merge_sort_block_merge_implIS3_PhPS5_jNS1_19radix_merge_compareILb0ELb1EhNS0_19identity_decomposerEEEEE10hipError_tT0_T1_T2_jT3_P12ihipStream_tbPNSt15iterator_traitsISE_E10value_typeEPNSK_ISF_E10value_typeEPSG_NS1_7vsmem_tEENKUlT_SE_SF_SG_E_clIS8_S8_S9_S9_EESD_ST_SE_SF_SG_EUlST_E0_NS1_11comp_targetILNS1_3genE3ELNS1_11target_archE908ELNS1_3gpuE7ELNS1_3repE0EEENS1_38merge_mergepath_config_static_selectorELNS0_4arch9wavefront6targetE0EEEvSF_.num_named_barrier, 0
	.set _ZN7rocprim17ROCPRIM_400000_NS6detail17trampoline_kernelINS0_14default_configENS1_38merge_sort_block_merge_config_selectorIhNS0_10empty_typeEEEZZNS1_27merge_sort_block_merge_implIS3_PhPS5_jNS1_19radix_merge_compareILb0ELb1EhNS0_19identity_decomposerEEEEE10hipError_tT0_T1_T2_jT3_P12ihipStream_tbPNSt15iterator_traitsISE_E10value_typeEPNSK_ISF_E10value_typeEPSG_NS1_7vsmem_tEENKUlT_SE_SF_SG_E_clIS8_S8_S9_S9_EESD_ST_SE_SF_SG_EUlST_E0_NS1_11comp_targetILNS1_3genE3ELNS1_11target_archE908ELNS1_3gpuE7ELNS1_3repE0EEENS1_38merge_mergepath_config_static_selectorELNS0_4arch9wavefront6targetE0EEEvSF_.private_seg_size, 0
	.set _ZN7rocprim17ROCPRIM_400000_NS6detail17trampoline_kernelINS0_14default_configENS1_38merge_sort_block_merge_config_selectorIhNS0_10empty_typeEEEZZNS1_27merge_sort_block_merge_implIS3_PhPS5_jNS1_19radix_merge_compareILb0ELb1EhNS0_19identity_decomposerEEEEE10hipError_tT0_T1_T2_jT3_P12ihipStream_tbPNSt15iterator_traitsISE_E10value_typeEPNSK_ISF_E10value_typeEPSG_NS1_7vsmem_tEENKUlT_SE_SF_SG_E_clIS8_S8_S9_S9_EESD_ST_SE_SF_SG_EUlST_E0_NS1_11comp_targetILNS1_3genE3ELNS1_11target_archE908ELNS1_3gpuE7ELNS1_3repE0EEENS1_38merge_mergepath_config_static_selectorELNS0_4arch9wavefront6targetE0EEEvSF_.uses_vcc, 0
	.set _ZN7rocprim17ROCPRIM_400000_NS6detail17trampoline_kernelINS0_14default_configENS1_38merge_sort_block_merge_config_selectorIhNS0_10empty_typeEEEZZNS1_27merge_sort_block_merge_implIS3_PhPS5_jNS1_19radix_merge_compareILb0ELb1EhNS0_19identity_decomposerEEEEE10hipError_tT0_T1_T2_jT3_P12ihipStream_tbPNSt15iterator_traitsISE_E10value_typeEPNSK_ISF_E10value_typeEPSG_NS1_7vsmem_tEENKUlT_SE_SF_SG_E_clIS8_S8_S9_S9_EESD_ST_SE_SF_SG_EUlST_E0_NS1_11comp_targetILNS1_3genE3ELNS1_11target_archE908ELNS1_3gpuE7ELNS1_3repE0EEENS1_38merge_mergepath_config_static_selectorELNS0_4arch9wavefront6targetE0EEEvSF_.uses_flat_scratch, 0
	.set _ZN7rocprim17ROCPRIM_400000_NS6detail17trampoline_kernelINS0_14default_configENS1_38merge_sort_block_merge_config_selectorIhNS0_10empty_typeEEEZZNS1_27merge_sort_block_merge_implIS3_PhPS5_jNS1_19radix_merge_compareILb0ELb1EhNS0_19identity_decomposerEEEEE10hipError_tT0_T1_T2_jT3_P12ihipStream_tbPNSt15iterator_traitsISE_E10value_typeEPNSK_ISF_E10value_typeEPSG_NS1_7vsmem_tEENKUlT_SE_SF_SG_E_clIS8_S8_S9_S9_EESD_ST_SE_SF_SG_EUlST_E0_NS1_11comp_targetILNS1_3genE3ELNS1_11target_archE908ELNS1_3gpuE7ELNS1_3repE0EEENS1_38merge_mergepath_config_static_selectorELNS0_4arch9wavefront6targetE0EEEvSF_.has_dyn_sized_stack, 0
	.set _ZN7rocprim17ROCPRIM_400000_NS6detail17trampoline_kernelINS0_14default_configENS1_38merge_sort_block_merge_config_selectorIhNS0_10empty_typeEEEZZNS1_27merge_sort_block_merge_implIS3_PhPS5_jNS1_19radix_merge_compareILb0ELb1EhNS0_19identity_decomposerEEEEE10hipError_tT0_T1_T2_jT3_P12ihipStream_tbPNSt15iterator_traitsISE_E10value_typeEPNSK_ISF_E10value_typeEPSG_NS1_7vsmem_tEENKUlT_SE_SF_SG_E_clIS8_S8_S9_S9_EESD_ST_SE_SF_SG_EUlST_E0_NS1_11comp_targetILNS1_3genE3ELNS1_11target_archE908ELNS1_3gpuE7ELNS1_3repE0EEENS1_38merge_mergepath_config_static_selectorELNS0_4arch9wavefront6targetE0EEEvSF_.has_recursion, 0
	.set _ZN7rocprim17ROCPRIM_400000_NS6detail17trampoline_kernelINS0_14default_configENS1_38merge_sort_block_merge_config_selectorIhNS0_10empty_typeEEEZZNS1_27merge_sort_block_merge_implIS3_PhPS5_jNS1_19radix_merge_compareILb0ELb1EhNS0_19identity_decomposerEEEEE10hipError_tT0_T1_T2_jT3_P12ihipStream_tbPNSt15iterator_traitsISE_E10value_typeEPNSK_ISF_E10value_typeEPSG_NS1_7vsmem_tEENKUlT_SE_SF_SG_E_clIS8_S8_S9_S9_EESD_ST_SE_SF_SG_EUlST_E0_NS1_11comp_targetILNS1_3genE3ELNS1_11target_archE908ELNS1_3gpuE7ELNS1_3repE0EEENS1_38merge_mergepath_config_static_selectorELNS0_4arch9wavefront6targetE0EEEvSF_.has_indirect_call, 0
	.section	.AMDGPU.csdata,"",@progbits
; Kernel info:
; codeLenInByte = 0
; TotalNumSgprs: 0
; NumVgprs: 0
; ScratchSize: 0
; MemoryBound: 0
; FloatMode: 240
; IeeeMode: 1
; LDSByteSize: 0 bytes/workgroup (compile time only)
; SGPRBlocks: 0
; VGPRBlocks: 0
; NumSGPRsForWavesPerEU: 1
; NumVGPRsForWavesPerEU: 1
; NamedBarCnt: 0
; Occupancy: 16
; WaveLimiterHint : 0
; COMPUTE_PGM_RSRC2:SCRATCH_EN: 0
; COMPUTE_PGM_RSRC2:USER_SGPR: 2
; COMPUTE_PGM_RSRC2:TRAP_HANDLER: 0
; COMPUTE_PGM_RSRC2:TGID_X_EN: 1
; COMPUTE_PGM_RSRC2:TGID_Y_EN: 0
; COMPUTE_PGM_RSRC2:TGID_Z_EN: 0
; COMPUTE_PGM_RSRC2:TIDIG_COMP_CNT: 0
	.section	.text._ZN7rocprim17ROCPRIM_400000_NS6detail17trampoline_kernelINS0_14default_configENS1_38merge_sort_block_merge_config_selectorIhNS0_10empty_typeEEEZZNS1_27merge_sort_block_merge_implIS3_PhPS5_jNS1_19radix_merge_compareILb0ELb1EhNS0_19identity_decomposerEEEEE10hipError_tT0_T1_T2_jT3_P12ihipStream_tbPNSt15iterator_traitsISE_E10value_typeEPNSK_ISF_E10value_typeEPSG_NS1_7vsmem_tEENKUlT_SE_SF_SG_E_clIS8_S8_S9_S9_EESD_ST_SE_SF_SG_EUlST_E0_NS1_11comp_targetILNS1_3genE2ELNS1_11target_archE906ELNS1_3gpuE6ELNS1_3repE0EEENS1_38merge_mergepath_config_static_selectorELNS0_4arch9wavefront6targetE0EEEvSF_,"axG",@progbits,_ZN7rocprim17ROCPRIM_400000_NS6detail17trampoline_kernelINS0_14default_configENS1_38merge_sort_block_merge_config_selectorIhNS0_10empty_typeEEEZZNS1_27merge_sort_block_merge_implIS3_PhPS5_jNS1_19radix_merge_compareILb0ELb1EhNS0_19identity_decomposerEEEEE10hipError_tT0_T1_T2_jT3_P12ihipStream_tbPNSt15iterator_traitsISE_E10value_typeEPNSK_ISF_E10value_typeEPSG_NS1_7vsmem_tEENKUlT_SE_SF_SG_E_clIS8_S8_S9_S9_EESD_ST_SE_SF_SG_EUlST_E0_NS1_11comp_targetILNS1_3genE2ELNS1_11target_archE906ELNS1_3gpuE6ELNS1_3repE0EEENS1_38merge_mergepath_config_static_selectorELNS0_4arch9wavefront6targetE0EEEvSF_,comdat
	.protected	_ZN7rocprim17ROCPRIM_400000_NS6detail17trampoline_kernelINS0_14default_configENS1_38merge_sort_block_merge_config_selectorIhNS0_10empty_typeEEEZZNS1_27merge_sort_block_merge_implIS3_PhPS5_jNS1_19radix_merge_compareILb0ELb1EhNS0_19identity_decomposerEEEEE10hipError_tT0_T1_T2_jT3_P12ihipStream_tbPNSt15iterator_traitsISE_E10value_typeEPNSK_ISF_E10value_typeEPSG_NS1_7vsmem_tEENKUlT_SE_SF_SG_E_clIS8_S8_S9_S9_EESD_ST_SE_SF_SG_EUlST_E0_NS1_11comp_targetILNS1_3genE2ELNS1_11target_archE906ELNS1_3gpuE6ELNS1_3repE0EEENS1_38merge_mergepath_config_static_selectorELNS0_4arch9wavefront6targetE0EEEvSF_ ; -- Begin function _ZN7rocprim17ROCPRIM_400000_NS6detail17trampoline_kernelINS0_14default_configENS1_38merge_sort_block_merge_config_selectorIhNS0_10empty_typeEEEZZNS1_27merge_sort_block_merge_implIS3_PhPS5_jNS1_19radix_merge_compareILb0ELb1EhNS0_19identity_decomposerEEEEE10hipError_tT0_T1_T2_jT3_P12ihipStream_tbPNSt15iterator_traitsISE_E10value_typeEPNSK_ISF_E10value_typeEPSG_NS1_7vsmem_tEENKUlT_SE_SF_SG_E_clIS8_S8_S9_S9_EESD_ST_SE_SF_SG_EUlST_E0_NS1_11comp_targetILNS1_3genE2ELNS1_11target_archE906ELNS1_3gpuE6ELNS1_3repE0EEENS1_38merge_mergepath_config_static_selectorELNS0_4arch9wavefront6targetE0EEEvSF_
	.globl	_ZN7rocprim17ROCPRIM_400000_NS6detail17trampoline_kernelINS0_14default_configENS1_38merge_sort_block_merge_config_selectorIhNS0_10empty_typeEEEZZNS1_27merge_sort_block_merge_implIS3_PhPS5_jNS1_19radix_merge_compareILb0ELb1EhNS0_19identity_decomposerEEEEE10hipError_tT0_T1_T2_jT3_P12ihipStream_tbPNSt15iterator_traitsISE_E10value_typeEPNSK_ISF_E10value_typeEPSG_NS1_7vsmem_tEENKUlT_SE_SF_SG_E_clIS8_S8_S9_S9_EESD_ST_SE_SF_SG_EUlST_E0_NS1_11comp_targetILNS1_3genE2ELNS1_11target_archE906ELNS1_3gpuE6ELNS1_3repE0EEENS1_38merge_mergepath_config_static_selectorELNS0_4arch9wavefront6targetE0EEEvSF_
	.p2align	8
	.type	_ZN7rocprim17ROCPRIM_400000_NS6detail17trampoline_kernelINS0_14default_configENS1_38merge_sort_block_merge_config_selectorIhNS0_10empty_typeEEEZZNS1_27merge_sort_block_merge_implIS3_PhPS5_jNS1_19radix_merge_compareILb0ELb1EhNS0_19identity_decomposerEEEEE10hipError_tT0_T1_T2_jT3_P12ihipStream_tbPNSt15iterator_traitsISE_E10value_typeEPNSK_ISF_E10value_typeEPSG_NS1_7vsmem_tEENKUlT_SE_SF_SG_E_clIS8_S8_S9_S9_EESD_ST_SE_SF_SG_EUlST_E0_NS1_11comp_targetILNS1_3genE2ELNS1_11target_archE906ELNS1_3gpuE6ELNS1_3repE0EEENS1_38merge_mergepath_config_static_selectorELNS0_4arch9wavefront6targetE0EEEvSF_,@function
_ZN7rocprim17ROCPRIM_400000_NS6detail17trampoline_kernelINS0_14default_configENS1_38merge_sort_block_merge_config_selectorIhNS0_10empty_typeEEEZZNS1_27merge_sort_block_merge_implIS3_PhPS5_jNS1_19radix_merge_compareILb0ELb1EhNS0_19identity_decomposerEEEEE10hipError_tT0_T1_T2_jT3_P12ihipStream_tbPNSt15iterator_traitsISE_E10value_typeEPNSK_ISF_E10value_typeEPSG_NS1_7vsmem_tEENKUlT_SE_SF_SG_E_clIS8_S8_S9_S9_EESD_ST_SE_SF_SG_EUlST_E0_NS1_11comp_targetILNS1_3genE2ELNS1_11target_archE906ELNS1_3gpuE6ELNS1_3repE0EEENS1_38merge_mergepath_config_static_selectorELNS0_4arch9wavefront6targetE0EEEvSF_: ; @_ZN7rocprim17ROCPRIM_400000_NS6detail17trampoline_kernelINS0_14default_configENS1_38merge_sort_block_merge_config_selectorIhNS0_10empty_typeEEEZZNS1_27merge_sort_block_merge_implIS3_PhPS5_jNS1_19radix_merge_compareILb0ELb1EhNS0_19identity_decomposerEEEEE10hipError_tT0_T1_T2_jT3_P12ihipStream_tbPNSt15iterator_traitsISE_E10value_typeEPNSK_ISF_E10value_typeEPSG_NS1_7vsmem_tEENKUlT_SE_SF_SG_E_clIS8_S8_S9_S9_EESD_ST_SE_SF_SG_EUlST_E0_NS1_11comp_targetILNS1_3genE2ELNS1_11target_archE906ELNS1_3gpuE6ELNS1_3repE0EEENS1_38merge_mergepath_config_static_selectorELNS0_4arch9wavefront6targetE0EEEvSF_
; %bb.0:
	.section	.rodata,"a",@progbits
	.p2align	6, 0x0
	.amdhsa_kernel _ZN7rocprim17ROCPRIM_400000_NS6detail17trampoline_kernelINS0_14default_configENS1_38merge_sort_block_merge_config_selectorIhNS0_10empty_typeEEEZZNS1_27merge_sort_block_merge_implIS3_PhPS5_jNS1_19radix_merge_compareILb0ELb1EhNS0_19identity_decomposerEEEEE10hipError_tT0_T1_T2_jT3_P12ihipStream_tbPNSt15iterator_traitsISE_E10value_typeEPNSK_ISF_E10value_typeEPSG_NS1_7vsmem_tEENKUlT_SE_SF_SG_E_clIS8_S8_S9_S9_EESD_ST_SE_SF_SG_EUlST_E0_NS1_11comp_targetILNS1_3genE2ELNS1_11target_archE906ELNS1_3gpuE6ELNS1_3repE0EEENS1_38merge_mergepath_config_static_selectorELNS0_4arch9wavefront6targetE0EEEvSF_
		.amdhsa_group_segment_fixed_size 0
		.amdhsa_private_segment_fixed_size 0
		.amdhsa_kernarg_size 64
		.amdhsa_user_sgpr_count 2
		.amdhsa_user_sgpr_dispatch_ptr 0
		.amdhsa_user_sgpr_queue_ptr 0
		.amdhsa_user_sgpr_kernarg_segment_ptr 1
		.amdhsa_user_sgpr_dispatch_id 0
		.amdhsa_user_sgpr_kernarg_preload_length 0
		.amdhsa_user_sgpr_kernarg_preload_offset 0
		.amdhsa_user_sgpr_private_segment_size 0
		.amdhsa_wavefront_size32 1
		.amdhsa_uses_dynamic_stack 0
		.amdhsa_enable_private_segment 0
		.amdhsa_system_sgpr_workgroup_id_x 1
		.amdhsa_system_sgpr_workgroup_id_y 0
		.amdhsa_system_sgpr_workgroup_id_z 0
		.amdhsa_system_sgpr_workgroup_info 0
		.amdhsa_system_vgpr_workitem_id 0
		.amdhsa_next_free_vgpr 1
		.amdhsa_next_free_sgpr 1
		.amdhsa_named_barrier_count 0
		.amdhsa_reserve_vcc 0
		.amdhsa_float_round_mode_32 0
		.amdhsa_float_round_mode_16_64 0
		.amdhsa_float_denorm_mode_32 3
		.amdhsa_float_denorm_mode_16_64 3
		.amdhsa_fp16_overflow 0
		.amdhsa_memory_ordered 1
		.amdhsa_forward_progress 1
		.amdhsa_inst_pref_size 0
		.amdhsa_round_robin_scheduling 0
		.amdhsa_exception_fp_ieee_invalid_op 0
		.amdhsa_exception_fp_denorm_src 0
		.amdhsa_exception_fp_ieee_div_zero 0
		.amdhsa_exception_fp_ieee_overflow 0
		.amdhsa_exception_fp_ieee_underflow 0
		.amdhsa_exception_fp_ieee_inexact 0
		.amdhsa_exception_int_div_zero 0
	.end_amdhsa_kernel
	.section	.text._ZN7rocprim17ROCPRIM_400000_NS6detail17trampoline_kernelINS0_14default_configENS1_38merge_sort_block_merge_config_selectorIhNS0_10empty_typeEEEZZNS1_27merge_sort_block_merge_implIS3_PhPS5_jNS1_19radix_merge_compareILb0ELb1EhNS0_19identity_decomposerEEEEE10hipError_tT0_T1_T2_jT3_P12ihipStream_tbPNSt15iterator_traitsISE_E10value_typeEPNSK_ISF_E10value_typeEPSG_NS1_7vsmem_tEENKUlT_SE_SF_SG_E_clIS8_S8_S9_S9_EESD_ST_SE_SF_SG_EUlST_E0_NS1_11comp_targetILNS1_3genE2ELNS1_11target_archE906ELNS1_3gpuE6ELNS1_3repE0EEENS1_38merge_mergepath_config_static_selectorELNS0_4arch9wavefront6targetE0EEEvSF_,"axG",@progbits,_ZN7rocprim17ROCPRIM_400000_NS6detail17trampoline_kernelINS0_14default_configENS1_38merge_sort_block_merge_config_selectorIhNS0_10empty_typeEEEZZNS1_27merge_sort_block_merge_implIS3_PhPS5_jNS1_19radix_merge_compareILb0ELb1EhNS0_19identity_decomposerEEEEE10hipError_tT0_T1_T2_jT3_P12ihipStream_tbPNSt15iterator_traitsISE_E10value_typeEPNSK_ISF_E10value_typeEPSG_NS1_7vsmem_tEENKUlT_SE_SF_SG_E_clIS8_S8_S9_S9_EESD_ST_SE_SF_SG_EUlST_E0_NS1_11comp_targetILNS1_3genE2ELNS1_11target_archE906ELNS1_3gpuE6ELNS1_3repE0EEENS1_38merge_mergepath_config_static_selectorELNS0_4arch9wavefront6targetE0EEEvSF_,comdat
.Lfunc_end190:
	.size	_ZN7rocprim17ROCPRIM_400000_NS6detail17trampoline_kernelINS0_14default_configENS1_38merge_sort_block_merge_config_selectorIhNS0_10empty_typeEEEZZNS1_27merge_sort_block_merge_implIS3_PhPS5_jNS1_19radix_merge_compareILb0ELb1EhNS0_19identity_decomposerEEEEE10hipError_tT0_T1_T2_jT3_P12ihipStream_tbPNSt15iterator_traitsISE_E10value_typeEPNSK_ISF_E10value_typeEPSG_NS1_7vsmem_tEENKUlT_SE_SF_SG_E_clIS8_S8_S9_S9_EESD_ST_SE_SF_SG_EUlST_E0_NS1_11comp_targetILNS1_3genE2ELNS1_11target_archE906ELNS1_3gpuE6ELNS1_3repE0EEENS1_38merge_mergepath_config_static_selectorELNS0_4arch9wavefront6targetE0EEEvSF_, .Lfunc_end190-_ZN7rocprim17ROCPRIM_400000_NS6detail17trampoline_kernelINS0_14default_configENS1_38merge_sort_block_merge_config_selectorIhNS0_10empty_typeEEEZZNS1_27merge_sort_block_merge_implIS3_PhPS5_jNS1_19radix_merge_compareILb0ELb1EhNS0_19identity_decomposerEEEEE10hipError_tT0_T1_T2_jT3_P12ihipStream_tbPNSt15iterator_traitsISE_E10value_typeEPNSK_ISF_E10value_typeEPSG_NS1_7vsmem_tEENKUlT_SE_SF_SG_E_clIS8_S8_S9_S9_EESD_ST_SE_SF_SG_EUlST_E0_NS1_11comp_targetILNS1_3genE2ELNS1_11target_archE906ELNS1_3gpuE6ELNS1_3repE0EEENS1_38merge_mergepath_config_static_selectorELNS0_4arch9wavefront6targetE0EEEvSF_
                                        ; -- End function
	.set _ZN7rocprim17ROCPRIM_400000_NS6detail17trampoline_kernelINS0_14default_configENS1_38merge_sort_block_merge_config_selectorIhNS0_10empty_typeEEEZZNS1_27merge_sort_block_merge_implIS3_PhPS5_jNS1_19radix_merge_compareILb0ELb1EhNS0_19identity_decomposerEEEEE10hipError_tT0_T1_T2_jT3_P12ihipStream_tbPNSt15iterator_traitsISE_E10value_typeEPNSK_ISF_E10value_typeEPSG_NS1_7vsmem_tEENKUlT_SE_SF_SG_E_clIS8_S8_S9_S9_EESD_ST_SE_SF_SG_EUlST_E0_NS1_11comp_targetILNS1_3genE2ELNS1_11target_archE906ELNS1_3gpuE6ELNS1_3repE0EEENS1_38merge_mergepath_config_static_selectorELNS0_4arch9wavefront6targetE0EEEvSF_.num_vgpr, 0
	.set _ZN7rocprim17ROCPRIM_400000_NS6detail17trampoline_kernelINS0_14default_configENS1_38merge_sort_block_merge_config_selectorIhNS0_10empty_typeEEEZZNS1_27merge_sort_block_merge_implIS3_PhPS5_jNS1_19radix_merge_compareILb0ELb1EhNS0_19identity_decomposerEEEEE10hipError_tT0_T1_T2_jT3_P12ihipStream_tbPNSt15iterator_traitsISE_E10value_typeEPNSK_ISF_E10value_typeEPSG_NS1_7vsmem_tEENKUlT_SE_SF_SG_E_clIS8_S8_S9_S9_EESD_ST_SE_SF_SG_EUlST_E0_NS1_11comp_targetILNS1_3genE2ELNS1_11target_archE906ELNS1_3gpuE6ELNS1_3repE0EEENS1_38merge_mergepath_config_static_selectorELNS0_4arch9wavefront6targetE0EEEvSF_.num_agpr, 0
	.set _ZN7rocprim17ROCPRIM_400000_NS6detail17trampoline_kernelINS0_14default_configENS1_38merge_sort_block_merge_config_selectorIhNS0_10empty_typeEEEZZNS1_27merge_sort_block_merge_implIS3_PhPS5_jNS1_19radix_merge_compareILb0ELb1EhNS0_19identity_decomposerEEEEE10hipError_tT0_T1_T2_jT3_P12ihipStream_tbPNSt15iterator_traitsISE_E10value_typeEPNSK_ISF_E10value_typeEPSG_NS1_7vsmem_tEENKUlT_SE_SF_SG_E_clIS8_S8_S9_S9_EESD_ST_SE_SF_SG_EUlST_E0_NS1_11comp_targetILNS1_3genE2ELNS1_11target_archE906ELNS1_3gpuE6ELNS1_3repE0EEENS1_38merge_mergepath_config_static_selectorELNS0_4arch9wavefront6targetE0EEEvSF_.numbered_sgpr, 0
	.set _ZN7rocprim17ROCPRIM_400000_NS6detail17trampoline_kernelINS0_14default_configENS1_38merge_sort_block_merge_config_selectorIhNS0_10empty_typeEEEZZNS1_27merge_sort_block_merge_implIS3_PhPS5_jNS1_19radix_merge_compareILb0ELb1EhNS0_19identity_decomposerEEEEE10hipError_tT0_T1_T2_jT3_P12ihipStream_tbPNSt15iterator_traitsISE_E10value_typeEPNSK_ISF_E10value_typeEPSG_NS1_7vsmem_tEENKUlT_SE_SF_SG_E_clIS8_S8_S9_S9_EESD_ST_SE_SF_SG_EUlST_E0_NS1_11comp_targetILNS1_3genE2ELNS1_11target_archE906ELNS1_3gpuE6ELNS1_3repE0EEENS1_38merge_mergepath_config_static_selectorELNS0_4arch9wavefront6targetE0EEEvSF_.num_named_barrier, 0
	.set _ZN7rocprim17ROCPRIM_400000_NS6detail17trampoline_kernelINS0_14default_configENS1_38merge_sort_block_merge_config_selectorIhNS0_10empty_typeEEEZZNS1_27merge_sort_block_merge_implIS3_PhPS5_jNS1_19radix_merge_compareILb0ELb1EhNS0_19identity_decomposerEEEEE10hipError_tT0_T1_T2_jT3_P12ihipStream_tbPNSt15iterator_traitsISE_E10value_typeEPNSK_ISF_E10value_typeEPSG_NS1_7vsmem_tEENKUlT_SE_SF_SG_E_clIS8_S8_S9_S9_EESD_ST_SE_SF_SG_EUlST_E0_NS1_11comp_targetILNS1_3genE2ELNS1_11target_archE906ELNS1_3gpuE6ELNS1_3repE0EEENS1_38merge_mergepath_config_static_selectorELNS0_4arch9wavefront6targetE0EEEvSF_.private_seg_size, 0
	.set _ZN7rocprim17ROCPRIM_400000_NS6detail17trampoline_kernelINS0_14default_configENS1_38merge_sort_block_merge_config_selectorIhNS0_10empty_typeEEEZZNS1_27merge_sort_block_merge_implIS3_PhPS5_jNS1_19radix_merge_compareILb0ELb1EhNS0_19identity_decomposerEEEEE10hipError_tT0_T1_T2_jT3_P12ihipStream_tbPNSt15iterator_traitsISE_E10value_typeEPNSK_ISF_E10value_typeEPSG_NS1_7vsmem_tEENKUlT_SE_SF_SG_E_clIS8_S8_S9_S9_EESD_ST_SE_SF_SG_EUlST_E0_NS1_11comp_targetILNS1_3genE2ELNS1_11target_archE906ELNS1_3gpuE6ELNS1_3repE0EEENS1_38merge_mergepath_config_static_selectorELNS0_4arch9wavefront6targetE0EEEvSF_.uses_vcc, 0
	.set _ZN7rocprim17ROCPRIM_400000_NS6detail17trampoline_kernelINS0_14default_configENS1_38merge_sort_block_merge_config_selectorIhNS0_10empty_typeEEEZZNS1_27merge_sort_block_merge_implIS3_PhPS5_jNS1_19radix_merge_compareILb0ELb1EhNS0_19identity_decomposerEEEEE10hipError_tT0_T1_T2_jT3_P12ihipStream_tbPNSt15iterator_traitsISE_E10value_typeEPNSK_ISF_E10value_typeEPSG_NS1_7vsmem_tEENKUlT_SE_SF_SG_E_clIS8_S8_S9_S9_EESD_ST_SE_SF_SG_EUlST_E0_NS1_11comp_targetILNS1_3genE2ELNS1_11target_archE906ELNS1_3gpuE6ELNS1_3repE0EEENS1_38merge_mergepath_config_static_selectorELNS0_4arch9wavefront6targetE0EEEvSF_.uses_flat_scratch, 0
	.set _ZN7rocprim17ROCPRIM_400000_NS6detail17trampoline_kernelINS0_14default_configENS1_38merge_sort_block_merge_config_selectorIhNS0_10empty_typeEEEZZNS1_27merge_sort_block_merge_implIS3_PhPS5_jNS1_19radix_merge_compareILb0ELb1EhNS0_19identity_decomposerEEEEE10hipError_tT0_T1_T2_jT3_P12ihipStream_tbPNSt15iterator_traitsISE_E10value_typeEPNSK_ISF_E10value_typeEPSG_NS1_7vsmem_tEENKUlT_SE_SF_SG_E_clIS8_S8_S9_S9_EESD_ST_SE_SF_SG_EUlST_E0_NS1_11comp_targetILNS1_3genE2ELNS1_11target_archE906ELNS1_3gpuE6ELNS1_3repE0EEENS1_38merge_mergepath_config_static_selectorELNS0_4arch9wavefront6targetE0EEEvSF_.has_dyn_sized_stack, 0
	.set _ZN7rocprim17ROCPRIM_400000_NS6detail17trampoline_kernelINS0_14default_configENS1_38merge_sort_block_merge_config_selectorIhNS0_10empty_typeEEEZZNS1_27merge_sort_block_merge_implIS3_PhPS5_jNS1_19radix_merge_compareILb0ELb1EhNS0_19identity_decomposerEEEEE10hipError_tT0_T1_T2_jT3_P12ihipStream_tbPNSt15iterator_traitsISE_E10value_typeEPNSK_ISF_E10value_typeEPSG_NS1_7vsmem_tEENKUlT_SE_SF_SG_E_clIS8_S8_S9_S9_EESD_ST_SE_SF_SG_EUlST_E0_NS1_11comp_targetILNS1_3genE2ELNS1_11target_archE906ELNS1_3gpuE6ELNS1_3repE0EEENS1_38merge_mergepath_config_static_selectorELNS0_4arch9wavefront6targetE0EEEvSF_.has_recursion, 0
	.set _ZN7rocprim17ROCPRIM_400000_NS6detail17trampoline_kernelINS0_14default_configENS1_38merge_sort_block_merge_config_selectorIhNS0_10empty_typeEEEZZNS1_27merge_sort_block_merge_implIS3_PhPS5_jNS1_19radix_merge_compareILb0ELb1EhNS0_19identity_decomposerEEEEE10hipError_tT0_T1_T2_jT3_P12ihipStream_tbPNSt15iterator_traitsISE_E10value_typeEPNSK_ISF_E10value_typeEPSG_NS1_7vsmem_tEENKUlT_SE_SF_SG_E_clIS8_S8_S9_S9_EESD_ST_SE_SF_SG_EUlST_E0_NS1_11comp_targetILNS1_3genE2ELNS1_11target_archE906ELNS1_3gpuE6ELNS1_3repE0EEENS1_38merge_mergepath_config_static_selectorELNS0_4arch9wavefront6targetE0EEEvSF_.has_indirect_call, 0
	.section	.AMDGPU.csdata,"",@progbits
; Kernel info:
; codeLenInByte = 0
; TotalNumSgprs: 0
; NumVgprs: 0
; ScratchSize: 0
; MemoryBound: 0
; FloatMode: 240
; IeeeMode: 1
; LDSByteSize: 0 bytes/workgroup (compile time only)
; SGPRBlocks: 0
; VGPRBlocks: 0
; NumSGPRsForWavesPerEU: 1
; NumVGPRsForWavesPerEU: 1
; NamedBarCnt: 0
; Occupancy: 16
; WaveLimiterHint : 0
; COMPUTE_PGM_RSRC2:SCRATCH_EN: 0
; COMPUTE_PGM_RSRC2:USER_SGPR: 2
; COMPUTE_PGM_RSRC2:TRAP_HANDLER: 0
; COMPUTE_PGM_RSRC2:TGID_X_EN: 1
; COMPUTE_PGM_RSRC2:TGID_Y_EN: 0
; COMPUTE_PGM_RSRC2:TGID_Z_EN: 0
; COMPUTE_PGM_RSRC2:TIDIG_COMP_CNT: 0
	.section	.text._ZN7rocprim17ROCPRIM_400000_NS6detail17trampoline_kernelINS0_14default_configENS1_38merge_sort_block_merge_config_selectorIhNS0_10empty_typeEEEZZNS1_27merge_sort_block_merge_implIS3_PhPS5_jNS1_19radix_merge_compareILb0ELb1EhNS0_19identity_decomposerEEEEE10hipError_tT0_T1_T2_jT3_P12ihipStream_tbPNSt15iterator_traitsISE_E10value_typeEPNSK_ISF_E10value_typeEPSG_NS1_7vsmem_tEENKUlT_SE_SF_SG_E_clIS8_S8_S9_S9_EESD_ST_SE_SF_SG_EUlST_E0_NS1_11comp_targetILNS1_3genE9ELNS1_11target_archE1100ELNS1_3gpuE3ELNS1_3repE0EEENS1_38merge_mergepath_config_static_selectorELNS0_4arch9wavefront6targetE0EEEvSF_,"axG",@progbits,_ZN7rocprim17ROCPRIM_400000_NS6detail17trampoline_kernelINS0_14default_configENS1_38merge_sort_block_merge_config_selectorIhNS0_10empty_typeEEEZZNS1_27merge_sort_block_merge_implIS3_PhPS5_jNS1_19radix_merge_compareILb0ELb1EhNS0_19identity_decomposerEEEEE10hipError_tT0_T1_T2_jT3_P12ihipStream_tbPNSt15iterator_traitsISE_E10value_typeEPNSK_ISF_E10value_typeEPSG_NS1_7vsmem_tEENKUlT_SE_SF_SG_E_clIS8_S8_S9_S9_EESD_ST_SE_SF_SG_EUlST_E0_NS1_11comp_targetILNS1_3genE9ELNS1_11target_archE1100ELNS1_3gpuE3ELNS1_3repE0EEENS1_38merge_mergepath_config_static_selectorELNS0_4arch9wavefront6targetE0EEEvSF_,comdat
	.protected	_ZN7rocprim17ROCPRIM_400000_NS6detail17trampoline_kernelINS0_14default_configENS1_38merge_sort_block_merge_config_selectorIhNS0_10empty_typeEEEZZNS1_27merge_sort_block_merge_implIS3_PhPS5_jNS1_19radix_merge_compareILb0ELb1EhNS0_19identity_decomposerEEEEE10hipError_tT0_T1_T2_jT3_P12ihipStream_tbPNSt15iterator_traitsISE_E10value_typeEPNSK_ISF_E10value_typeEPSG_NS1_7vsmem_tEENKUlT_SE_SF_SG_E_clIS8_S8_S9_S9_EESD_ST_SE_SF_SG_EUlST_E0_NS1_11comp_targetILNS1_3genE9ELNS1_11target_archE1100ELNS1_3gpuE3ELNS1_3repE0EEENS1_38merge_mergepath_config_static_selectorELNS0_4arch9wavefront6targetE0EEEvSF_ ; -- Begin function _ZN7rocprim17ROCPRIM_400000_NS6detail17trampoline_kernelINS0_14default_configENS1_38merge_sort_block_merge_config_selectorIhNS0_10empty_typeEEEZZNS1_27merge_sort_block_merge_implIS3_PhPS5_jNS1_19radix_merge_compareILb0ELb1EhNS0_19identity_decomposerEEEEE10hipError_tT0_T1_T2_jT3_P12ihipStream_tbPNSt15iterator_traitsISE_E10value_typeEPNSK_ISF_E10value_typeEPSG_NS1_7vsmem_tEENKUlT_SE_SF_SG_E_clIS8_S8_S9_S9_EESD_ST_SE_SF_SG_EUlST_E0_NS1_11comp_targetILNS1_3genE9ELNS1_11target_archE1100ELNS1_3gpuE3ELNS1_3repE0EEENS1_38merge_mergepath_config_static_selectorELNS0_4arch9wavefront6targetE0EEEvSF_
	.globl	_ZN7rocprim17ROCPRIM_400000_NS6detail17trampoline_kernelINS0_14default_configENS1_38merge_sort_block_merge_config_selectorIhNS0_10empty_typeEEEZZNS1_27merge_sort_block_merge_implIS3_PhPS5_jNS1_19radix_merge_compareILb0ELb1EhNS0_19identity_decomposerEEEEE10hipError_tT0_T1_T2_jT3_P12ihipStream_tbPNSt15iterator_traitsISE_E10value_typeEPNSK_ISF_E10value_typeEPSG_NS1_7vsmem_tEENKUlT_SE_SF_SG_E_clIS8_S8_S9_S9_EESD_ST_SE_SF_SG_EUlST_E0_NS1_11comp_targetILNS1_3genE9ELNS1_11target_archE1100ELNS1_3gpuE3ELNS1_3repE0EEENS1_38merge_mergepath_config_static_selectorELNS0_4arch9wavefront6targetE0EEEvSF_
	.p2align	8
	.type	_ZN7rocprim17ROCPRIM_400000_NS6detail17trampoline_kernelINS0_14default_configENS1_38merge_sort_block_merge_config_selectorIhNS0_10empty_typeEEEZZNS1_27merge_sort_block_merge_implIS3_PhPS5_jNS1_19radix_merge_compareILb0ELb1EhNS0_19identity_decomposerEEEEE10hipError_tT0_T1_T2_jT3_P12ihipStream_tbPNSt15iterator_traitsISE_E10value_typeEPNSK_ISF_E10value_typeEPSG_NS1_7vsmem_tEENKUlT_SE_SF_SG_E_clIS8_S8_S9_S9_EESD_ST_SE_SF_SG_EUlST_E0_NS1_11comp_targetILNS1_3genE9ELNS1_11target_archE1100ELNS1_3gpuE3ELNS1_3repE0EEENS1_38merge_mergepath_config_static_selectorELNS0_4arch9wavefront6targetE0EEEvSF_,@function
_ZN7rocprim17ROCPRIM_400000_NS6detail17trampoline_kernelINS0_14default_configENS1_38merge_sort_block_merge_config_selectorIhNS0_10empty_typeEEEZZNS1_27merge_sort_block_merge_implIS3_PhPS5_jNS1_19radix_merge_compareILb0ELb1EhNS0_19identity_decomposerEEEEE10hipError_tT0_T1_T2_jT3_P12ihipStream_tbPNSt15iterator_traitsISE_E10value_typeEPNSK_ISF_E10value_typeEPSG_NS1_7vsmem_tEENKUlT_SE_SF_SG_E_clIS8_S8_S9_S9_EESD_ST_SE_SF_SG_EUlST_E0_NS1_11comp_targetILNS1_3genE9ELNS1_11target_archE1100ELNS1_3gpuE3ELNS1_3repE0EEENS1_38merge_mergepath_config_static_selectorELNS0_4arch9wavefront6targetE0EEEvSF_: ; @_ZN7rocprim17ROCPRIM_400000_NS6detail17trampoline_kernelINS0_14default_configENS1_38merge_sort_block_merge_config_selectorIhNS0_10empty_typeEEEZZNS1_27merge_sort_block_merge_implIS3_PhPS5_jNS1_19radix_merge_compareILb0ELb1EhNS0_19identity_decomposerEEEEE10hipError_tT0_T1_T2_jT3_P12ihipStream_tbPNSt15iterator_traitsISE_E10value_typeEPNSK_ISF_E10value_typeEPSG_NS1_7vsmem_tEENKUlT_SE_SF_SG_E_clIS8_S8_S9_S9_EESD_ST_SE_SF_SG_EUlST_E0_NS1_11comp_targetILNS1_3genE9ELNS1_11target_archE1100ELNS1_3gpuE3ELNS1_3repE0EEENS1_38merge_mergepath_config_static_selectorELNS0_4arch9wavefront6targetE0EEEvSF_
; %bb.0:
	.section	.rodata,"a",@progbits
	.p2align	6, 0x0
	.amdhsa_kernel _ZN7rocprim17ROCPRIM_400000_NS6detail17trampoline_kernelINS0_14default_configENS1_38merge_sort_block_merge_config_selectorIhNS0_10empty_typeEEEZZNS1_27merge_sort_block_merge_implIS3_PhPS5_jNS1_19radix_merge_compareILb0ELb1EhNS0_19identity_decomposerEEEEE10hipError_tT0_T1_T2_jT3_P12ihipStream_tbPNSt15iterator_traitsISE_E10value_typeEPNSK_ISF_E10value_typeEPSG_NS1_7vsmem_tEENKUlT_SE_SF_SG_E_clIS8_S8_S9_S9_EESD_ST_SE_SF_SG_EUlST_E0_NS1_11comp_targetILNS1_3genE9ELNS1_11target_archE1100ELNS1_3gpuE3ELNS1_3repE0EEENS1_38merge_mergepath_config_static_selectorELNS0_4arch9wavefront6targetE0EEEvSF_
		.amdhsa_group_segment_fixed_size 0
		.amdhsa_private_segment_fixed_size 0
		.amdhsa_kernarg_size 64
		.amdhsa_user_sgpr_count 2
		.amdhsa_user_sgpr_dispatch_ptr 0
		.amdhsa_user_sgpr_queue_ptr 0
		.amdhsa_user_sgpr_kernarg_segment_ptr 1
		.amdhsa_user_sgpr_dispatch_id 0
		.amdhsa_user_sgpr_kernarg_preload_length 0
		.amdhsa_user_sgpr_kernarg_preload_offset 0
		.amdhsa_user_sgpr_private_segment_size 0
		.amdhsa_wavefront_size32 1
		.amdhsa_uses_dynamic_stack 0
		.amdhsa_enable_private_segment 0
		.amdhsa_system_sgpr_workgroup_id_x 1
		.amdhsa_system_sgpr_workgroup_id_y 0
		.amdhsa_system_sgpr_workgroup_id_z 0
		.amdhsa_system_sgpr_workgroup_info 0
		.amdhsa_system_vgpr_workitem_id 0
		.amdhsa_next_free_vgpr 1
		.amdhsa_next_free_sgpr 1
		.amdhsa_named_barrier_count 0
		.amdhsa_reserve_vcc 0
		.amdhsa_float_round_mode_32 0
		.amdhsa_float_round_mode_16_64 0
		.amdhsa_float_denorm_mode_32 3
		.amdhsa_float_denorm_mode_16_64 3
		.amdhsa_fp16_overflow 0
		.amdhsa_memory_ordered 1
		.amdhsa_forward_progress 1
		.amdhsa_inst_pref_size 0
		.amdhsa_round_robin_scheduling 0
		.amdhsa_exception_fp_ieee_invalid_op 0
		.amdhsa_exception_fp_denorm_src 0
		.amdhsa_exception_fp_ieee_div_zero 0
		.amdhsa_exception_fp_ieee_overflow 0
		.amdhsa_exception_fp_ieee_underflow 0
		.amdhsa_exception_fp_ieee_inexact 0
		.amdhsa_exception_int_div_zero 0
	.end_amdhsa_kernel
	.section	.text._ZN7rocprim17ROCPRIM_400000_NS6detail17trampoline_kernelINS0_14default_configENS1_38merge_sort_block_merge_config_selectorIhNS0_10empty_typeEEEZZNS1_27merge_sort_block_merge_implIS3_PhPS5_jNS1_19radix_merge_compareILb0ELb1EhNS0_19identity_decomposerEEEEE10hipError_tT0_T1_T2_jT3_P12ihipStream_tbPNSt15iterator_traitsISE_E10value_typeEPNSK_ISF_E10value_typeEPSG_NS1_7vsmem_tEENKUlT_SE_SF_SG_E_clIS8_S8_S9_S9_EESD_ST_SE_SF_SG_EUlST_E0_NS1_11comp_targetILNS1_3genE9ELNS1_11target_archE1100ELNS1_3gpuE3ELNS1_3repE0EEENS1_38merge_mergepath_config_static_selectorELNS0_4arch9wavefront6targetE0EEEvSF_,"axG",@progbits,_ZN7rocprim17ROCPRIM_400000_NS6detail17trampoline_kernelINS0_14default_configENS1_38merge_sort_block_merge_config_selectorIhNS0_10empty_typeEEEZZNS1_27merge_sort_block_merge_implIS3_PhPS5_jNS1_19radix_merge_compareILb0ELb1EhNS0_19identity_decomposerEEEEE10hipError_tT0_T1_T2_jT3_P12ihipStream_tbPNSt15iterator_traitsISE_E10value_typeEPNSK_ISF_E10value_typeEPSG_NS1_7vsmem_tEENKUlT_SE_SF_SG_E_clIS8_S8_S9_S9_EESD_ST_SE_SF_SG_EUlST_E0_NS1_11comp_targetILNS1_3genE9ELNS1_11target_archE1100ELNS1_3gpuE3ELNS1_3repE0EEENS1_38merge_mergepath_config_static_selectorELNS0_4arch9wavefront6targetE0EEEvSF_,comdat
.Lfunc_end191:
	.size	_ZN7rocprim17ROCPRIM_400000_NS6detail17trampoline_kernelINS0_14default_configENS1_38merge_sort_block_merge_config_selectorIhNS0_10empty_typeEEEZZNS1_27merge_sort_block_merge_implIS3_PhPS5_jNS1_19radix_merge_compareILb0ELb1EhNS0_19identity_decomposerEEEEE10hipError_tT0_T1_T2_jT3_P12ihipStream_tbPNSt15iterator_traitsISE_E10value_typeEPNSK_ISF_E10value_typeEPSG_NS1_7vsmem_tEENKUlT_SE_SF_SG_E_clIS8_S8_S9_S9_EESD_ST_SE_SF_SG_EUlST_E0_NS1_11comp_targetILNS1_3genE9ELNS1_11target_archE1100ELNS1_3gpuE3ELNS1_3repE0EEENS1_38merge_mergepath_config_static_selectorELNS0_4arch9wavefront6targetE0EEEvSF_, .Lfunc_end191-_ZN7rocprim17ROCPRIM_400000_NS6detail17trampoline_kernelINS0_14default_configENS1_38merge_sort_block_merge_config_selectorIhNS0_10empty_typeEEEZZNS1_27merge_sort_block_merge_implIS3_PhPS5_jNS1_19radix_merge_compareILb0ELb1EhNS0_19identity_decomposerEEEEE10hipError_tT0_T1_T2_jT3_P12ihipStream_tbPNSt15iterator_traitsISE_E10value_typeEPNSK_ISF_E10value_typeEPSG_NS1_7vsmem_tEENKUlT_SE_SF_SG_E_clIS8_S8_S9_S9_EESD_ST_SE_SF_SG_EUlST_E0_NS1_11comp_targetILNS1_3genE9ELNS1_11target_archE1100ELNS1_3gpuE3ELNS1_3repE0EEENS1_38merge_mergepath_config_static_selectorELNS0_4arch9wavefront6targetE0EEEvSF_
                                        ; -- End function
	.set _ZN7rocprim17ROCPRIM_400000_NS6detail17trampoline_kernelINS0_14default_configENS1_38merge_sort_block_merge_config_selectorIhNS0_10empty_typeEEEZZNS1_27merge_sort_block_merge_implIS3_PhPS5_jNS1_19radix_merge_compareILb0ELb1EhNS0_19identity_decomposerEEEEE10hipError_tT0_T1_T2_jT3_P12ihipStream_tbPNSt15iterator_traitsISE_E10value_typeEPNSK_ISF_E10value_typeEPSG_NS1_7vsmem_tEENKUlT_SE_SF_SG_E_clIS8_S8_S9_S9_EESD_ST_SE_SF_SG_EUlST_E0_NS1_11comp_targetILNS1_3genE9ELNS1_11target_archE1100ELNS1_3gpuE3ELNS1_3repE0EEENS1_38merge_mergepath_config_static_selectorELNS0_4arch9wavefront6targetE0EEEvSF_.num_vgpr, 0
	.set _ZN7rocprim17ROCPRIM_400000_NS6detail17trampoline_kernelINS0_14default_configENS1_38merge_sort_block_merge_config_selectorIhNS0_10empty_typeEEEZZNS1_27merge_sort_block_merge_implIS3_PhPS5_jNS1_19radix_merge_compareILb0ELb1EhNS0_19identity_decomposerEEEEE10hipError_tT0_T1_T2_jT3_P12ihipStream_tbPNSt15iterator_traitsISE_E10value_typeEPNSK_ISF_E10value_typeEPSG_NS1_7vsmem_tEENKUlT_SE_SF_SG_E_clIS8_S8_S9_S9_EESD_ST_SE_SF_SG_EUlST_E0_NS1_11comp_targetILNS1_3genE9ELNS1_11target_archE1100ELNS1_3gpuE3ELNS1_3repE0EEENS1_38merge_mergepath_config_static_selectorELNS0_4arch9wavefront6targetE0EEEvSF_.num_agpr, 0
	.set _ZN7rocprim17ROCPRIM_400000_NS6detail17trampoline_kernelINS0_14default_configENS1_38merge_sort_block_merge_config_selectorIhNS0_10empty_typeEEEZZNS1_27merge_sort_block_merge_implIS3_PhPS5_jNS1_19radix_merge_compareILb0ELb1EhNS0_19identity_decomposerEEEEE10hipError_tT0_T1_T2_jT3_P12ihipStream_tbPNSt15iterator_traitsISE_E10value_typeEPNSK_ISF_E10value_typeEPSG_NS1_7vsmem_tEENKUlT_SE_SF_SG_E_clIS8_S8_S9_S9_EESD_ST_SE_SF_SG_EUlST_E0_NS1_11comp_targetILNS1_3genE9ELNS1_11target_archE1100ELNS1_3gpuE3ELNS1_3repE0EEENS1_38merge_mergepath_config_static_selectorELNS0_4arch9wavefront6targetE0EEEvSF_.numbered_sgpr, 0
	.set _ZN7rocprim17ROCPRIM_400000_NS6detail17trampoline_kernelINS0_14default_configENS1_38merge_sort_block_merge_config_selectorIhNS0_10empty_typeEEEZZNS1_27merge_sort_block_merge_implIS3_PhPS5_jNS1_19radix_merge_compareILb0ELb1EhNS0_19identity_decomposerEEEEE10hipError_tT0_T1_T2_jT3_P12ihipStream_tbPNSt15iterator_traitsISE_E10value_typeEPNSK_ISF_E10value_typeEPSG_NS1_7vsmem_tEENKUlT_SE_SF_SG_E_clIS8_S8_S9_S9_EESD_ST_SE_SF_SG_EUlST_E0_NS1_11comp_targetILNS1_3genE9ELNS1_11target_archE1100ELNS1_3gpuE3ELNS1_3repE0EEENS1_38merge_mergepath_config_static_selectorELNS0_4arch9wavefront6targetE0EEEvSF_.num_named_barrier, 0
	.set _ZN7rocprim17ROCPRIM_400000_NS6detail17trampoline_kernelINS0_14default_configENS1_38merge_sort_block_merge_config_selectorIhNS0_10empty_typeEEEZZNS1_27merge_sort_block_merge_implIS3_PhPS5_jNS1_19radix_merge_compareILb0ELb1EhNS0_19identity_decomposerEEEEE10hipError_tT0_T1_T2_jT3_P12ihipStream_tbPNSt15iterator_traitsISE_E10value_typeEPNSK_ISF_E10value_typeEPSG_NS1_7vsmem_tEENKUlT_SE_SF_SG_E_clIS8_S8_S9_S9_EESD_ST_SE_SF_SG_EUlST_E0_NS1_11comp_targetILNS1_3genE9ELNS1_11target_archE1100ELNS1_3gpuE3ELNS1_3repE0EEENS1_38merge_mergepath_config_static_selectorELNS0_4arch9wavefront6targetE0EEEvSF_.private_seg_size, 0
	.set _ZN7rocprim17ROCPRIM_400000_NS6detail17trampoline_kernelINS0_14default_configENS1_38merge_sort_block_merge_config_selectorIhNS0_10empty_typeEEEZZNS1_27merge_sort_block_merge_implIS3_PhPS5_jNS1_19radix_merge_compareILb0ELb1EhNS0_19identity_decomposerEEEEE10hipError_tT0_T1_T2_jT3_P12ihipStream_tbPNSt15iterator_traitsISE_E10value_typeEPNSK_ISF_E10value_typeEPSG_NS1_7vsmem_tEENKUlT_SE_SF_SG_E_clIS8_S8_S9_S9_EESD_ST_SE_SF_SG_EUlST_E0_NS1_11comp_targetILNS1_3genE9ELNS1_11target_archE1100ELNS1_3gpuE3ELNS1_3repE0EEENS1_38merge_mergepath_config_static_selectorELNS0_4arch9wavefront6targetE0EEEvSF_.uses_vcc, 0
	.set _ZN7rocprim17ROCPRIM_400000_NS6detail17trampoline_kernelINS0_14default_configENS1_38merge_sort_block_merge_config_selectorIhNS0_10empty_typeEEEZZNS1_27merge_sort_block_merge_implIS3_PhPS5_jNS1_19radix_merge_compareILb0ELb1EhNS0_19identity_decomposerEEEEE10hipError_tT0_T1_T2_jT3_P12ihipStream_tbPNSt15iterator_traitsISE_E10value_typeEPNSK_ISF_E10value_typeEPSG_NS1_7vsmem_tEENKUlT_SE_SF_SG_E_clIS8_S8_S9_S9_EESD_ST_SE_SF_SG_EUlST_E0_NS1_11comp_targetILNS1_3genE9ELNS1_11target_archE1100ELNS1_3gpuE3ELNS1_3repE0EEENS1_38merge_mergepath_config_static_selectorELNS0_4arch9wavefront6targetE0EEEvSF_.uses_flat_scratch, 0
	.set _ZN7rocprim17ROCPRIM_400000_NS6detail17trampoline_kernelINS0_14default_configENS1_38merge_sort_block_merge_config_selectorIhNS0_10empty_typeEEEZZNS1_27merge_sort_block_merge_implIS3_PhPS5_jNS1_19radix_merge_compareILb0ELb1EhNS0_19identity_decomposerEEEEE10hipError_tT0_T1_T2_jT3_P12ihipStream_tbPNSt15iterator_traitsISE_E10value_typeEPNSK_ISF_E10value_typeEPSG_NS1_7vsmem_tEENKUlT_SE_SF_SG_E_clIS8_S8_S9_S9_EESD_ST_SE_SF_SG_EUlST_E0_NS1_11comp_targetILNS1_3genE9ELNS1_11target_archE1100ELNS1_3gpuE3ELNS1_3repE0EEENS1_38merge_mergepath_config_static_selectorELNS0_4arch9wavefront6targetE0EEEvSF_.has_dyn_sized_stack, 0
	.set _ZN7rocprim17ROCPRIM_400000_NS6detail17trampoline_kernelINS0_14default_configENS1_38merge_sort_block_merge_config_selectorIhNS0_10empty_typeEEEZZNS1_27merge_sort_block_merge_implIS3_PhPS5_jNS1_19radix_merge_compareILb0ELb1EhNS0_19identity_decomposerEEEEE10hipError_tT0_T1_T2_jT3_P12ihipStream_tbPNSt15iterator_traitsISE_E10value_typeEPNSK_ISF_E10value_typeEPSG_NS1_7vsmem_tEENKUlT_SE_SF_SG_E_clIS8_S8_S9_S9_EESD_ST_SE_SF_SG_EUlST_E0_NS1_11comp_targetILNS1_3genE9ELNS1_11target_archE1100ELNS1_3gpuE3ELNS1_3repE0EEENS1_38merge_mergepath_config_static_selectorELNS0_4arch9wavefront6targetE0EEEvSF_.has_recursion, 0
	.set _ZN7rocprim17ROCPRIM_400000_NS6detail17trampoline_kernelINS0_14default_configENS1_38merge_sort_block_merge_config_selectorIhNS0_10empty_typeEEEZZNS1_27merge_sort_block_merge_implIS3_PhPS5_jNS1_19radix_merge_compareILb0ELb1EhNS0_19identity_decomposerEEEEE10hipError_tT0_T1_T2_jT3_P12ihipStream_tbPNSt15iterator_traitsISE_E10value_typeEPNSK_ISF_E10value_typeEPSG_NS1_7vsmem_tEENKUlT_SE_SF_SG_E_clIS8_S8_S9_S9_EESD_ST_SE_SF_SG_EUlST_E0_NS1_11comp_targetILNS1_3genE9ELNS1_11target_archE1100ELNS1_3gpuE3ELNS1_3repE0EEENS1_38merge_mergepath_config_static_selectorELNS0_4arch9wavefront6targetE0EEEvSF_.has_indirect_call, 0
	.section	.AMDGPU.csdata,"",@progbits
; Kernel info:
; codeLenInByte = 0
; TotalNumSgprs: 0
; NumVgprs: 0
; ScratchSize: 0
; MemoryBound: 0
; FloatMode: 240
; IeeeMode: 1
; LDSByteSize: 0 bytes/workgroup (compile time only)
; SGPRBlocks: 0
; VGPRBlocks: 0
; NumSGPRsForWavesPerEU: 1
; NumVGPRsForWavesPerEU: 1
; NamedBarCnt: 0
; Occupancy: 16
; WaveLimiterHint : 0
; COMPUTE_PGM_RSRC2:SCRATCH_EN: 0
; COMPUTE_PGM_RSRC2:USER_SGPR: 2
; COMPUTE_PGM_RSRC2:TRAP_HANDLER: 0
; COMPUTE_PGM_RSRC2:TGID_X_EN: 1
; COMPUTE_PGM_RSRC2:TGID_Y_EN: 0
; COMPUTE_PGM_RSRC2:TGID_Z_EN: 0
; COMPUTE_PGM_RSRC2:TIDIG_COMP_CNT: 0
	.section	.text._ZN7rocprim17ROCPRIM_400000_NS6detail17trampoline_kernelINS0_14default_configENS1_38merge_sort_block_merge_config_selectorIhNS0_10empty_typeEEEZZNS1_27merge_sort_block_merge_implIS3_PhPS5_jNS1_19radix_merge_compareILb0ELb1EhNS0_19identity_decomposerEEEEE10hipError_tT0_T1_T2_jT3_P12ihipStream_tbPNSt15iterator_traitsISE_E10value_typeEPNSK_ISF_E10value_typeEPSG_NS1_7vsmem_tEENKUlT_SE_SF_SG_E_clIS8_S8_S9_S9_EESD_ST_SE_SF_SG_EUlST_E0_NS1_11comp_targetILNS1_3genE8ELNS1_11target_archE1030ELNS1_3gpuE2ELNS1_3repE0EEENS1_38merge_mergepath_config_static_selectorELNS0_4arch9wavefront6targetE0EEEvSF_,"axG",@progbits,_ZN7rocprim17ROCPRIM_400000_NS6detail17trampoline_kernelINS0_14default_configENS1_38merge_sort_block_merge_config_selectorIhNS0_10empty_typeEEEZZNS1_27merge_sort_block_merge_implIS3_PhPS5_jNS1_19radix_merge_compareILb0ELb1EhNS0_19identity_decomposerEEEEE10hipError_tT0_T1_T2_jT3_P12ihipStream_tbPNSt15iterator_traitsISE_E10value_typeEPNSK_ISF_E10value_typeEPSG_NS1_7vsmem_tEENKUlT_SE_SF_SG_E_clIS8_S8_S9_S9_EESD_ST_SE_SF_SG_EUlST_E0_NS1_11comp_targetILNS1_3genE8ELNS1_11target_archE1030ELNS1_3gpuE2ELNS1_3repE0EEENS1_38merge_mergepath_config_static_selectorELNS0_4arch9wavefront6targetE0EEEvSF_,comdat
	.protected	_ZN7rocprim17ROCPRIM_400000_NS6detail17trampoline_kernelINS0_14default_configENS1_38merge_sort_block_merge_config_selectorIhNS0_10empty_typeEEEZZNS1_27merge_sort_block_merge_implIS3_PhPS5_jNS1_19radix_merge_compareILb0ELb1EhNS0_19identity_decomposerEEEEE10hipError_tT0_T1_T2_jT3_P12ihipStream_tbPNSt15iterator_traitsISE_E10value_typeEPNSK_ISF_E10value_typeEPSG_NS1_7vsmem_tEENKUlT_SE_SF_SG_E_clIS8_S8_S9_S9_EESD_ST_SE_SF_SG_EUlST_E0_NS1_11comp_targetILNS1_3genE8ELNS1_11target_archE1030ELNS1_3gpuE2ELNS1_3repE0EEENS1_38merge_mergepath_config_static_selectorELNS0_4arch9wavefront6targetE0EEEvSF_ ; -- Begin function _ZN7rocprim17ROCPRIM_400000_NS6detail17trampoline_kernelINS0_14default_configENS1_38merge_sort_block_merge_config_selectorIhNS0_10empty_typeEEEZZNS1_27merge_sort_block_merge_implIS3_PhPS5_jNS1_19radix_merge_compareILb0ELb1EhNS0_19identity_decomposerEEEEE10hipError_tT0_T1_T2_jT3_P12ihipStream_tbPNSt15iterator_traitsISE_E10value_typeEPNSK_ISF_E10value_typeEPSG_NS1_7vsmem_tEENKUlT_SE_SF_SG_E_clIS8_S8_S9_S9_EESD_ST_SE_SF_SG_EUlST_E0_NS1_11comp_targetILNS1_3genE8ELNS1_11target_archE1030ELNS1_3gpuE2ELNS1_3repE0EEENS1_38merge_mergepath_config_static_selectorELNS0_4arch9wavefront6targetE0EEEvSF_
	.globl	_ZN7rocprim17ROCPRIM_400000_NS6detail17trampoline_kernelINS0_14default_configENS1_38merge_sort_block_merge_config_selectorIhNS0_10empty_typeEEEZZNS1_27merge_sort_block_merge_implIS3_PhPS5_jNS1_19radix_merge_compareILb0ELb1EhNS0_19identity_decomposerEEEEE10hipError_tT0_T1_T2_jT3_P12ihipStream_tbPNSt15iterator_traitsISE_E10value_typeEPNSK_ISF_E10value_typeEPSG_NS1_7vsmem_tEENKUlT_SE_SF_SG_E_clIS8_S8_S9_S9_EESD_ST_SE_SF_SG_EUlST_E0_NS1_11comp_targetILNS1_3genE8ELNS1_11target_archE1030ELNS1_3gpuE2ELNS1_3repE0EEENS1_38merge_mergepath_config_static_selectorELNS0_4arch9wavefront6targetE0EEEvSF_
	.p2align	8
	.type	_ZN7rocprim17ROCPRIM_400000_NS6detail17trampoline_kernelINS0_14default_configENS1_38merge_sort_block_merge_config_selectorIhNS0_10empty_typeEEEZZNS1_27merge_sort_block_merge_implIS3_PhPS5_jNS1_19radix_merge_compareILb0ELb1EhNS0_19identity_decomposerEEEEE10hipError_tT0_T1_T2_jT3_P12ihipStream_tbPNSt15iterator_traitsISE_E10value_typeEPNSK_ISF_E10value_typeEPSG_NS1_7vsmem_tEENKUlT_SE_SF_SG_E_clIS8_S8_S9_S9_EESD_ST_SE_SF_SG_EUlST_E0_NS1_11comp_targetILNS1_3genE8ELNS1_11target_archE1030ELNS1_3gpuE2ELNS1_3repE0EEENS1_38merge_mergepath_config_static_selectorELNS0_4arch9wavefront6targetE0EEEvSF_,@function
_ZN7rocprim17ROCPRIM_400000_NS6detail17trampoline_kernelINS0_14default_configENS1_38merge_sort_block_merge_config_selectorIhNS0_10empty_typeEEEZZNS1_27merge_sort_block_merge_implIS3_PhPS5_jNS1_19radix_merge_compareILb0ELb1EhNS0_19identity_decomposerEEEEE10hipError_tT0_T1_T2_jT3_P12ihipStream_tbPNSt15iterator_traitsISE_E10value_typeEPNSK_ISF_E10value_typeEPSG_NS1_7vsmem_tEENKUlT_SE_SF_SG_E_clIS8_S8_S9_S9_EESD_ST_SE_SF_SG_EUlST_E0_NS1_11comp_targetILNS1_3genE8ELNS1_11target_archE1030ELNS1_3gpuE2ELNS1_3repE0EEENS1_38merge_mergepath_config_static_selectorELNS0_4arch9wavefront6targetE0EEEvSF_: ; @_ZN7rocprim17ROCPRIM_400000_NS6detail17trampoline_kernelINS0_14default_configENS1_38merge_sort_block_merge_config_selectorIhNS0_10empty_typeEEEZZNS1_27merge_sort_block_merge_implIS3_PhPS5_jNS1_19radix_merge_compareILb0ELb1EhNS0_19identity_decomposerEEEEE10hipError_tT0_T1_T2_jT3_P12ihipStream_tbPNSt15iterator_traitsISE_E10value_typeEPNSK_ISF_E10value_typeEPSG_NS1_7vsmem_tEENKUlT_SE_SF_SG_E_clIS8_S8_S9_S9_EESD_ST_SE_SF_SG_EUlST_E0_NS1_11comp_targetILNS1_3genE8ELNS1_11target_archE1030ELNS1_3gpuE2ELNS1_3repE0EEENS1_38merge_mergepath_config_static_selectorELNS0_4arch9wavefront6targetE0EEEvSF_
; %bb.0:
	.section	.rodata,"a",@progbits
	.p2align	6, 0x0
	.amdhsa_kernel _ZN7rocprim17ROCPRIM_400000_NS6detail17trampoline_kernelINS0_14default_configENS1_38merge_sort_block_merge_config_selectorIhNS0_10empty_typeEEEZZNS1_27merge_sort_block_merge_implIS3_PhPS5_jNS1_19radix_merge_compareILb0ELb1EhNS0_19identity_decomposerEEEEE10hipError_tT0_T1_T2_jT3_P12ihipStream_tbPNSt15iterator_traitsISE_E10value_typeEPNSK_ISF_E10value_typeEPSG_NS1_7vsmem_tEENKUlT_SE_SF_SG_E_clIS8_S8_S9_S9_EESD_ST_SE_SF_SG_EUlST_E0_NS1_11comp_targetILNS1_3genE8ELNS1_11target_archE1030ELNS1_3gpuE2ELNS1_3repE0EEENS1_38merge_mergepath_config_static_selectorELNS0_4arch9wavefront6targetE0EEEvSF_
		.amdhsa_group_segment_fixed_size 0
		.amdhsa_private_segment_fixed_size 0
		.amdhsa_kernarg_size 64
		.amdhsa_user_sgpr_count 2
		.amdhsa_user_sgpr_dispatch_ptr 0
		.amdhsa_user_sgpr_queue_ptr 0
		.amdhsa_user_sgpr_kernarg_segment_ptr 1
		.amdhsa_user_sgpr_dispatch_id 0
		.amdhsa_user_sgpr_kernarg_preload_length 0
		.amdhsa_user_sgpr_kernarg_preload_offset 0
		.amdhsa_user_sgpr_private_segment_size 0
		.amdhsa_wavefront_size32 1
		.amdhsa_uses_dynamic_stack 0
		.amdhsa_enable_private_segment 0
		.amdhsa_system_sgpr_workgroup_id_x 1
		.amdhsa_system_sgpr_workgroup_id_y 0
		.amdhsa_system_sgpr_workgroup_id_z 0
		.amdhsa_system_sgpr_workgroup_info 0
		.amdhsa_system_vgpr_workitem_id 0
		.amdhsa_next_free_vgpr 1
		.amdhsa_next_free_sgpr 1
		.amdhsa_named_barrier_count 0
		.amdhsa_reserve_vcc 0
		.amdhsa_float_round_mode_32 0
		.amdhsa_float_round_mode_16_64 0
		.amdhsa_float_denorm_mode_32 3
		.amdhsa_float_denorm_mode_16_64 3
		.amdhsa_fp16_overflow 0
		.amdhsa_memory_ordered 1
		.amdhsa_forward_progress 1
		.amdhsa_inst_pref_size 0
		.amdhsa_round_robin_scheduling 0
		.amdhsa_exception_fp_ieee_invalid_op 0
		.amdhsa_exception_fp_denorm_src 0
		.amdhsa_exception_fp_ieee_div_zero 0
		.amdhsa_exception_fp_ieee_overflow 0
		.amdhsa_exception_fp_ieee_underflow 0
		.amdhsa_exception_fp_ieee_inexact 0
		.amdhsa_exception_int_div_zero 0
	.end_amdhsa_kernel
	.section	.text._ZN7rocprim17ROCPRIM_400000_NS6detail17trampoline_kernelINS0_14default_configENS1_38merge_sort_block_merge_config_selectorIhNS0_10empty_typeEEEZZNS1_27merge_sort_block_merge_implIS3_PhPS5_jNS1_19radix_merge_compareILb0ELb1EhNS0_19identity_decomposerEEEEE10hipError_tT0_T1_T2_jT3_P12ihipStream_tbPNSt15iterator_traitsISE_E10value_typeEPNSK_ISF_E10value_typeEPSG_NS1_7vsmem_tEENKUlT_SE_SF_SG_E_clIS8_S8_S9_S9_EESD_ST_SE_SF_SG_EUlST_E0_NS1_11comp_targetILNS1_3genE8ELNS1_11target_archE1030ELNS1_3gpuE2ELNS1_3repE0EEENS1_38merge_mergepath_config_static_selectorELNS0_4arch9wavefront6targetE0EEEvSF_,"axG",@progbits,_ZN7rocprim17ROCPRIM_400000_NS6detail17trampoline_kernelINS0_14default_configENS1_38merge_sort_block_merge_config_selectorIhNS0_10empty_typeEEEZZNS1_27merge_sort_block_merge_implIS3_PhPS5_jNS1_19radix_merge_compareILb0ELb1EhNS0_19identity_decomposerEEEEE10hipError_tT0_T1_T2_jT3_P12ihipStream_tbPNSt15iterator_traitsISE_E10value_typeEPNSK_ISF_E10value_typeEPSG_NS1_7vsmem_tEENKUlT_SE_SF_SG_E_clIS8_S8_S9_S9_EESD_ST_SE_SF_SG_EUlST_E0_NS1_11comp_targetILNS1_3genE8ELNS1_11target_archE1030ELNS1_3gpuE2ELNS1_3repE0EEENS1_38merge_mergepath_config_static_selectorELNS0_4arch9wavefront6targetE0EEEvSF_,comdat
.Lfunc_end192:
	.size	_ZN7rocprim17ROCPRIM_400000_NS6detail17trampoline_kernelINS0_14default_configENS1_38merge_sort_block_merge_config_selectorIhNS0_10empty_typeEEEZZNS1_27merge_sort_block_merge_implIS3_PhPS5_jNS1_19radix_merge_compareILb0ELb1EhNS0_19identity_decomposerEEEEE10hipError_tT0_T1_T2_jT3_P12ihipStream_tbPNSt15iterator_traitsISE_E10value_typeEPNSK_ISF_E10value_typeEPSG_NS1_7vsmem_tEENKUlT_SE_SF_SG_E_clIS8_S8_S9_S9_EESD_ST_SE_SF_SG_EUlST_E0_NS1_11comp_targetILNS1_3genE8ELNS1_11target_archE1030ELNS1_3gpuE2ELNS1_3repE0EEENS1_38merge_mergepath_config_static_selectorELNS0_4arch9wavefront6targetE0EEEvSF_, .Lfunc_end192-_ZN7rocprim17ROCPRIM_400000_NS6detail17trampoline_kernelINS0_14default_configENS1_38merge_sort_block_merge_config_selectorIhNS0_10empty_typeEEEZZNS1_27merge_sort_block_merge_implIS3_PhPS5_jNS1_19radix_merge_compareILb0ELb1EhNS0_19identity_decomposerEEEEE10hipError_tT0_T1_T2_jT3_P12ihipStream_tbPNSt15iterator_traitsISE_E10value_typeEPNSK_ISF_E10value_typeEPSG_NS1_7vsmem_tEENKUlT_SE_SF_SG_E_clIS8_S8_S9_S9_EESD_ST_SE_SF_SG_EUlST_E0_NS1_11comp_targetILNS1_3genE8ELNS1_11target_archE1030ELNS1_3gpuE2ELNS1_3repE0EEENS1_38merge_mergepath_config_static_selectorELNS0_4arch9wavefront6targetE0EEEvSF_
                                        ; -- End function
	.set _ZN7rocprim17ROCPRIM_400000_NS6detail17trampoline_kernelINS0_14default_configENS1_38merge_sort_block_merge_config_selectorIhNS0_10empty_typeEEEZZNS1_27merge_sort_block_merge_implIS3_PhPS5_jNS1_19radix_merge_compareILb0ELb1EhNS0_19identity_decomposerEEEEE10hipError_tT0_T1_T2_jT3_P12ihipStream_tbPNSt15iterator_traitsISE_E10value_typeEPNSK_ISF_E10value_typeEPSG_NS1_7vsmem_tEENKUlT_SE_SF_SG_E_clIS8_S8_S9_S9_EESD_ST_SE_SF_SG_EUlST_E0_NS1_11comp_targetILNS1_3genE8ELNS1_11target_archE1030ELNS1_3gpuE2ELNS1_3repE0EEENS1_38merge_mergepath_config_static_selectorELNS0_4arch9wavefront6targetE0EEEvSF_.num_vgpr, 0
	.set _ZN7rocprim17ROCPRIM_400000_NS6detail17trampoline_kernelINS0_14default_configENS1_38merge_sort_block_merge_config_selectorIhNS0_10empty_typeEEEZZNS1_27merge_sort_block_merge_implIS3_PhPS5_jNS1_19radix_merge_compareILb0ELb1EhNS0_19identity_decomposerEEEEE10hipError_tT0_T1_T2_jT3_P12ihipStream_tbPNSt15iterator_traitsISE_E10value_typeEPNSK_ISF_E10value_typeEPSG_NS1_7vsmem_tEENKUlT_SE_SF_SG_E_clIS8_S8_S9_S9_EESD_ST_SE_SF_SG_EUlST_E0_NS1_11comp_targetILNS1_3genE8ELNS1_11target_archE1030ELNS1_3gpuE2ELNS1_3repE0EEENS1_38merge_mergepath_config_static_selectorELNS0_4arch9wavefront6targetE0EEEvSF_.num_agpr, 0
	.set _ZN7rocprim17ROCPRIM_400000_NS6detail17trampoline_kernelINS0_14default_configENS1_38merge_sort_block_merge_config_selectorIhNS0_10empty_typeEEEZZNS1_27merge_sort_block_merge_implIS3_PhPS5_jNS1_19radix_merge_compareILb0ELb1EhNS0_19identity_decomposerEEEEE10hipError_tT0_T1_T2_jT3_P12ihipStream_tbPNSt15iterator_traitsISE_E10value_typeEPNSK_ISF_E10value_typeEPSG_NS1_7vsmem_tEENKUlT_SE_SF_SG_E_clIS8_S8_S9_S9_EESD_ST_SE_SF_SG_EUlST_E0_NS1_11comp_targetILNS1_3genE8ELNS1_11target_archE1030ELNS1_3gpuE2ELNS1_3repE0EEENS1_38merge_mergepath_config_static_selectorELNS0_4arch9wavefront6targetE0EEEvSF_.numbered_sgpr, 0
	.set _ZN7rocprim17ROCPRIM_400000_NS6detail17trampoline_kernelINS0_14default_configENS1_38merge_sort_block_merge_config_selectorIhNS0_10empty_typeEEEZZNS1_27merge_sort_block_merge_implIS3_PhPS5_jNS1_19radix_merge_compareILb0ELb1EhNS0_19identity_decomposerEEEEE10hipError_tT0_T1_T2_jT3_P12ihipStream_tbPNSt15iterator_traitsISE_E10value_typeEPNSK_ISF_E10value_typeEPSG_NS1_7vsmem_tEENKUlT_SE_SF_SG_E_clIS8_S8_S9_S9_EESD_ST_SE_SF_SG_EUlST_E0_NS1_11comp_targetILNS1_3genE8ELNS1_11target_archE1030ELNS1_3gpuE2ELNS1_3repE0EEENS1_38merge_mergepath_config_static_selectorELNS0_4arch9wavefront6targetE0EEEvSF_.num_named_barrier, 0
	.set _ZN7rocprim17ROCPRIM_400000_NS6detail17trampoline_kernelINS0_14default_configENS1_38merge_sort_block_merge_config_selectorIhNS0_10empty_typeEEEZZNS1_27merge_sort_block_merge_implIS3_PhPS5_jNS1_19radix_merge_compareILb0ELb1EhNS0_19identity_decomposerEEEEE10hipError_tT0_T1_T2_jT3_P12ihipStream_tbPNSt15iterator_traitsISE_E10value_typeEPNSK_ISF_E10value_typeEPSG_NS1_7vsmem_tEENKUlT_SE_SF_SG_E_clIS8_S8_S9_S9_EESD_ST_SE_SF_SG_EUlST_E0_NS1_11comp_targetILNS1_3genE8ELNS1_11target_archE1030ELNS1_3gpuE2ELNS1_3repE0EEENS1_38merge_mergepath_config_static_selectorELNS0_4arch9wavefront6targetE0EEEvSF_.private_seg_size, 0
	.set _ZN7rocprim17ROCPRIM_400000_NS6detail17trampoline_kernelINS0_14default_configENS1_38merge_sort_block_merge_config_selectorIhNS0_10empty_typeEEEZZNS1_27merge_sort_block_merge_implIS3_PhPS5_jNS1_19radix_merge_compareILb0ELb1EhNS0_19identity_decomposerEEEEE10hipError_tT0_T1_T2_jT3_P12ihipStream_tbPNSt15iterator_traitsISE_E10value_typeEPNSK_ISF_E10value_typeEPSG_NS1_7vsmem_tEENKUlT_SE_SF_SG_E_clIS8_S8_S9_S9_EESD_ST_SE_SF_SG_EUlST_E0_NS1_11comp_targetILNS1_3genE8ELNS1_11target_archE1030ELNS1_3gpuE2ELNS1_3repE0EEENS1_38merge_mergepath_config_static_selectorELNS0_4arch9wavefront6targetE0EEEvSF_.uses_vcc, 0
	.set _ZN7rocprim17ROCPRIM_400000_NS6detail17trampoline_kernelINS0_14default_configENS1_38merge_sort_block_merge_config_selectorIhNS0_10empty_typeEEEZZNS1_27merge_sort_block_merge_implIS3_PhPS5_jNS1_19radix_merge_compareILb0ELb1EhNS0_19identity_decomposerEEEEE10hipError_tT0_T1_T2_jT3_P12ihipStream_tbPNSt15iterator_traitsISE_E10value_typeEPNSK_ISF_E10value_typeEPSG_NS1_7vsmem_tEENKUlT_SE_SF_SG_E_clIS8_S8_S9_S9_EESD_ST_SE_SF_SG_EUlST_E0_NS1_11comp_targetILNS1_3genE8ELNS1_11target_archE1030ELNS1_3gpuE2ELNS1_3repE0EEENS1_38merge_mergepath_config_static_selectorELNS0_4arch9wavefront6targetE0EEEvSF_.uses_flat_scratch, 0
	.set _ZN7rocprim17ROCPRIM_400000_NS6detail17trampoline_kernelINS0_14default_configENS1_38merge_sort_block_merge_config_selectorIhNS0_10empty_typeEEEZZNS1_27merge_sort_block_merge_implIS3_PhPS5_jNS1_19radix_merge_compareILb0ELb1EhNS0_19identity_decomposerEEEEE10hipError_tT0_T1_T2_jT3_P12ihipStream_tbPNSt15iterator_traitsISE_E10value_typeEPNSK_ISF_E10value_typeEPSG_NS1_7vsmem_tEENKUlT_SE_SF_SG_E_clIS8_S8_S9_S9_EESD_ST_SE_SF_SG_EUlST_E0_NS1_11comp_targetILNS1_3genE8ELNS1_11target_archE1030ELNS1_3gpuE2ELNS1_3repE0EEENS1_38merge_mergepath_config_static_selectorELNS0_4arch9wavefront6targetE0EEEvSF_.has_dyn_sized_stack, 0
	.set _ZN7rocprim17ROCPRIM_400000_NS6detail17trampoline_kernelINS0_14default_configENS1_38merge_sort_block_merge_config_selectorIhNS0_10empty_typeEEEZZNS1_27merge_sort_block_merge_implIS3_PhPS5_jNS1_19radix_merge_compareILb0ELb1EhNS0_19identity_decomposerEEEEE10hipError_tT0_T1_T2_jT3_P12ihipStream_tbPNSt15iterator_traitsISE_E10value_typeEPNSK_ISF_E10value_typeEPSG_NS1_7vsmem_tEENKUlT_SE_SF_SG_E_clIS8_S8_S9_S9_EESD_ST_SE_SF_SG_EUlST_E0_NS1_11comp_targetILNS1_3genE8ELNS1_11target_archE1030ELNS1_3gpuE2ELNS1_3repE0EEENS1_38merge_mergepath_config_static_selectorELNS0_4arch9wavefront6targetE0EEEvSF_.has_recursion, 0
	.set _ZN7rocprim17ROCPRIM_400000_NS6detail17trampoline_kernelINS0_14default_configENS1_38merge_sort_block_merge_config_selectorIhNS0_10empty_typeEEEZZNS1_27merge_sort_block_merge_implIS3_PhPS5_jNS1_19radix_merge_compareILb0ELb1EhNS0_19identity_decomposerEEEEE10hipError_tT0_T1_T2_jT3_P12ihipStream_tbPNSt15iterator_traitsISE_E10value_typeEPNSK_ISF_E10value_typeEPSG_NS1_7vsmem_tEENKUlT_SE_SF_SG_E_clIS8_S8_S9_S9_EESD_ST_SE_SF_SG_EUlST_E0_NS1_11comp_targetILNS1_3genE8ELNS1_11target_archE1030ELNS1_3gpuE2ELNS1_3repE0EEENS1_38merge_mergepath_config_static_selectorELNS0_4arch9wavefront6targetE0EEEvSF_.has_indirect_call, 0
	.section	.AMDGPU.csdata,"",@progbits
; Kernel info:
; codeLenInByte = 0
; TotalNumSgprs: 0
; NumVgprs: 0
; ScratchSize: 0
; MemoryBound: 0
; FloatMode: 240
; IeeeMode: 1
; LDSByteSize: 0 bytes/workgroup (compile time only)
; SGPRBlocks: 0
; VGPRBlocks: 0
; NumSGPRsForWavesPerEU: 1
; NumVGPRsForWavesPerEU: 1
; NamedBarCnt: 0
; Occupancy: 16
; WaveLimiterHint : 0
; COMPUTE_PGM_RSRC2:SCRATCH_EN: 0
; COMPUTE_PGM_RSRC2:USER_SGPR: 2
; COMPUTE_PGM_RSRC2:TRAP_HANDLER: 0
; COMPUTE_PGM_RSRC2:TGID_X_EN: 1
; COMPUTE_PGM_RSRC2:TGID_Y_EN: 0
; COMPUTE_PGM_RSRC2:TGID_Z_EN: 0
; COMPUTE_PGM_RSRC2:TIDIG_COMP_CNT: 0
	.section	.text._ZN7rocprim17ROCPRIM_400000_NS6detail17trampoline_kernelINS0_14default_configENS1_38merge_sort_block_merge_config_selectorIhNS0_10empty_typeEEEZZNS1_27merge_sort_block_merge_implIS3_PhPS5_jNS1_19radix_merge_compareILb0ELb1EhNS0_19identity_decomposerEEEEE10hipError_tT0_T1_T2_jT3_P12ihipStream_tbPNSt15iterator_traitsISE_E10value_typeEPNSK_ISF_E10value_typeEPSG_NS1_7vsmem_tEENKUlT_SE_SF_SG_E_clIS8_S8_S9_S9_EESD_ST_SE_SF_SG_EUlST_E1_NS1_11comp_targetILNS1_3genE0ELNS1_11target_archE4294967295ELNS1_3gpuE0ELNS1_3repE0EEENS1_36merge_oddeven_config_static_selectorELNS0_4arch9wavefront6targetE0EEEvSF_,"axG",@progbits,_ZN7rocprim17ROCPRIM_400000_NS6detail17trampoline_kernelINS0_14default_configENS1_38merge_sort_block_merge_config_selectorIhNS0_10empty_typeEEEZZNS1_27merge_sort_block_merge_implIS3_PhPS5_jNS1_19radix_merge_compareILb0ELb1EhNS0_19identity_decomposerEEEEE10hipError_tT0_T1_T2_jT3_P12ihipStream_tbPNSt15iterator_traitsISE_E10value_typeEPNSK_ISF_E10value_typeEPSG_NS1_7vsmem_tEENKUlT_SE_SF_SG_E_clIS8_S8_S9_S9_EESD_ST_SE_SF_SG_EUlST_E1_NS1_11comp_targetILNS1_3genE0ELNS1_11target_archE4294967295ELNS1_3gpuE0ELNS1_3repE0EEENS1_36merge_oddeven_config_static_selectorELNS0_4arch9wavefront6targetE0EEEvSF_,comdat
	.protected	_ZN7rocprim17ROCPRIM_400000_NS6detail17trampoline_kernelINS0_14default_configENS1_38merge_sort_block_merge_config_selectorIhNS0_10empty_typeEEEZZNS1_27merge_sort_block_merge_implIS3_PhPS5_jNS1_19radix_merge_compareILb0ELb1EhNS0_19identity_decomposerEEEEE10hipError_tT0_T1_T2_jT3_P12ihipStream_tbPNSt15iterator_traitsISE_E10value_typeEPNSK_ISF_E10value_typeEPSG_NS1_7vsmem_tEENKUlT_SE_SF_SG_E_clIS8_S8_S9_S9_EESD_ST_SE_SF_SG_EUlST_E1_NS1_11comp_targetILNS1_3genE0ELNS1_11target_archE4294967295ELNS1_3gpuE0ELNS1_3repE0EEENS1_36merge_oddeven_config_static_selectorELNS0_4arch9wavefront6targetE0EEEvSF_ ; -- Begin function _ZN7rocprim17ROCPRIM_400000_NS6detail17trampoline_kernelINS0_14default_configENS1_38merge_sort_block_merge_config_selectorIhNS0_10empty_typeEEEZZNS1_27merge_sort_block_merge_implIS3_PhPS5_jNS1_19radix_merge_compareILb0ELb1EhNS0_19identity_decomposerEEEEE10hipError_tT0_T1_T2_jT3_P12ihipStream_tbPNSt15iterator_traitsISE_E10value_typeEPNSK_ISF_E10value_typeEPSG_NS1_7vsmem_tEENKUlT_SE_SF_SG_E_clIS8_S8_S9_S9_EESD_ST_SE_SF_SG_EUlST_E1_NS1_11comp_targetILNS1_3genE0ELNS1_11target_archE4294967295ELNS1_3gpuE0ELNS1_3repE0EEENS1_36merge_oddeven_config_static_selectorELNS0_4arch9wavefront6targetE0EEEvSF_
	.globl	_ZN7rocprim17ROCPRIM_400000_NS6detail17trampoline_kernelINS0_14default_configENS1_38merge_sort_block_merge_config_selectorIhNS0_10empty_typeEEEZZNS1_27merge_sort_block_merge_implIS3_PhPS5_jNS1_19radix_merge_compareILb0ELb1EhNS0_19identity_decomposerEEEEE10hipError_tT0_T1_T2_jT3_P12ihipStream_tbPNSt15iterator_traitsISE_E10value_typeEPNSK_ISF_E10value_typeEPSG_NS1_7vsmem_tEENKUlT_SE_SF_SG_E_clIS8_S8_S9_S9_EESD_ST_SE_SF_SG_EUlST_E1_NS1_11comp_targetILNS1_3genE0ELNS1_11target_archE4294967295ELNS1_3gpuE0ELNS1_3repE0EEENS1_36merge_oddeven_config_static_selectorELNS0_4arch9wavefront6targetE0EEEvSF_
	.p2align	8
	.type	_ZN7rocprim17ROCPRIM_400000_NS6detail17trampoline_kernelINS0_14default_configENS1_38merge_sort_block_merge_config_selectorIhNS0_10empty_typeEEEZZNS1_27merge_sort_block_merge_implIS3_PhPS5_jNS1_19radix_merge_compareILb0ELb1EhNS0_19identity_decomposerEEEEE10hipError_tT0_T1_T2_jT3_P12ihipStream_tbPNSt15iterator_traitsISE_E10value_typeEPNSK_ISF_E10value_typeEPSG_NS1_7vsmem_tEENKUlT_SE_SF_SG_E_clIS8_S8_S9_S9_EESD_ST_SE_SF_SG_EUlST_E1_NS1_11comp_targetILNS1_3genE0ELNS1_11target_archE4294967295ELNS1_3gpuE0ELNS1_3repE0EEENS1_36merge_oddeven_config_static_selectorELNS0_4arch9wavefront6targetE0EEEvSF_,@function
_ZN7rocprim17ROCPRIM_400000_NS6detail17trampoline_kernelINS0_14default_configENS1_38merge_sort_block_merge_config_selectorIhNS0_10empty_typeEEEZZNS1_27merge_sort_block_merge_implIS3_PhPS5_jNS1_19radix_merge_compareILb0ELb1EhNS0_19identity_decomposerEEEEE10hipError_tT0_T1_T2_jT3_P12ihipStream_tbPNSt15iterator_traitsISE_E10value_typeEPNSK_ISF_E10value_typeEPSG_NS1_7vsmem_tEENKUlT_SE_SF_SG_E_clIS8_S8_S9_S9_EESD_ST_SE_SF_SG_EUlST_E1_NS1_11comp_targetILNS1_3genE0ELNS1_11target_archE4294967295ELNS1_3gpuE0ELNS1_3repE0EEENS1_36merge_oddeven_config_static_selectorELNS0_4arch9wavefront6targetE0EEEvSF_: ; @_ZN7rocprim17ROCPRIM_400000_NS6detail17trampoline_kernelINS0_14default_configENS1_38merge_sort_block_merge_config_selectorIhNS0_10empty_typeEEEZZNS1_27merge_sort_block_merge_implIS3_PhPS5_jNS1_19radix_merge_compareILb0ELb1EhNS0_19identity_decomposerEEEEE10hipError_tT0_T1_T2_jT3_P12ihipStream_tbPNSt15iterator_traitsISE_E10value_typeEPNSK_ISF_E10value_typeEPSG_NS1_7vsmem_tEENKUlT_SE_SF_SG_E_clIS8_S8_S9_S9_EESD_ST_SE_SF_SG_EUlST_E1_NS1_11comp_targetILNS1_3genE0ELNS1_11target_archE4294967295ELNS1_3gpuE0ELNS1_3repE0EEENS1_36merge_oddeven_config_static_selectorELNS0_4arch9wavefront6targetE0EEEvSF_
; %bb.0:
	s_load_b32 s11, s[0:1], 0x20
	s_bfe_u32 s2, ttmp6, 0x4000c
	s_and_b32 s3, ttmp6, 15
	s_add_co_i32 s2, s2, 1
	s_getreg_b32 s4, hwreg(HW_REG_IB_STS2, 6, 4)
	s_mul_i32 s2, ttmp9, s2
	s_mov_b32 s9, 0
	s_add_co_i32 s3, s3, s2
	s_cmp_eq_u32 s4, 0
	s_cselect_b32 s2, ttmp9, s3
	s_wait_kmcnt 0x0
	s_lshr_b32 s3, s11, 8
	s_delay_alu instid0(SALU_CYCLE_1) | instskip(SKIP_4) | instid1(SALU_CYCLE_1)
	s_cmp_lg_u32 s2, s3
	s_cselect_b32 s15, -1, 0
	s_cmp_eq_u32 s2, s3
	s_cselect_b32 s12, -1, 0
	s_lshl_b32 s8, s2, 8
	s_sub_co_i32 s3, s11, s8
	s_delay_alu instid0(SALU_CYCLE_1) | instskip(SKIP_1) | instid1(SALU_CYCLE_1)
	v_cmp_gt_u32_e64 s3, s3, v0
	s_or_b32 s4, s15, s3
	s_and_saveexec_b32 s5, s4
	s_cbranch_execz .LBB193_20
; %bb.1:
	s_clause 0x1
	s_load_b128 s[4:7], s[0:1], 0x0
	s_load_b32 s13, s[0:1], 0x24
	v_add_nc_u32_e32 v3, s8, v0
	s_wait_kmcnt 0x0
	s_add_nc_u64 s[16:17], s[4:5], s[8:9]
	s_lshr_b32 s10, s13, 8
	global_load_u8 v1, v0, s[16:17]
	s_sub_co_i32 s14, 0, s10
	s_wait_xcnt 0x0
	s_sub_co_i32 s16, 0, s13
	s_and_b32 s2, s2, s14
	s_delay_alu instid0(SALU_CYCLE_1) | instskip(SKIP_3) | instid1(SALU_CYCLE_1)
	s_and_b32 s10, s2, s10
	s_lshl_b32 s14, s2, 8
	s_cmp_eq_u32 s10, 0
	s_cselect_b32 s2, -1, 0
	s_and_b32 s10, s2, exec_lo
	s_cselect_b32 s10, s13, s16
	s_delay_alu instid0(SALU_CYCLE_1) | instskip(NEXT) | instid1(SALU_CYCLE_1)
	s_add_co_i32 s10, s10, s14
	s_cmp_gt_u32 s11, s10
	s_cbranch_scc1 .LBB193_3
; %bb.2:
	v_cmp_gt_u32_e32 vcc_lo, s11, v3
	s_or_b32 s9, vcc_lo, s15
	s_delay_alu instid0(SALU_CYCLE_1)
	s_and_b32 s9, s9, exec_lo
	s_cbranch_execz .LBB193_4
	s_branch .LBB193_18
.LBB193_3:
.LBB193_4:
	s_load_b32 s0, s[0:1], 0x28
	s_wait_xcnt 0x0
	s_min_u32 s1, s10, s11
	s_and_b32 vcc_lo, exec_lo, s12
	s_add_co_i32 s8, s14, s1
	s_add_co_i32 s13, s1, s13
	v_subrev_nc_u32_e32 v0, s8, v3
	s_min_u32 s8, s14, s1
	s_delay_alu instid0(VALU_DEP_1) | instid1(SALU_CYCLE_1)
	v_add_nc_u32_e32 v0, s8, v0
	s_min_u32 s8, s13, s11
	s_wait_loadcnt 0x0
	s_wait_kmcnt 0x0
	v_and_b32_e32 v2, s0, v1
	s_cbranch_vccz .LBB193_12
; %bb.5:
                                        ; implicit-def: $vgpr3
	s_and_saveexec_b32 s11, s3
	s_cbranch_execz .LBB193_11
; %bb.6:
	v_mov_b32_e32 v3, s1
	s_cmp_ge_u32 s10, s8
	s_cbranch_scc1 .LBB193_10
; %bb.7:
	v_dual_mov_b32 v4, s8 :: v_dual_mov_b32 v3, s1
	v_and_b32_e32 v5, 0xff, v2
	s_mov_b32 s3, 0
	s_and_b32 s12, s0, 0xff
.LBB193_8:                              ; =>This Inner Loop Header: Depth=1
	s_delay_alu instid0(VALU_DEP_2) | instskip(NEXT) | instid1(VALU_DEP_1)
	v_add_nc_u32_e32 v6, v3, v4
	v_lshrrev_b32_e32 v6, 1, v6
	global_load_u8 v7, v6, s[4:5]
	s_wait_loadcnt 0x0
	v_and_b32_e32 v7, s12, v7
	s_delay_alu instid0(VALU_DEP_1) | instskip(SKIP_3) | instid1(VALU_DEP_1)
	v_cmp_gt_u16_e32 vcc_lo, v5, v7
	v_cndmask_b32_e64 v8, 0, 1, vcc_lo
	v_cmp_le_u16_e32 vcc_lo, v7, v5
	v_cndmask_b32_e64 v7, 0, 1, vcc_lo
	v_dual_cndmask_b32 v7, v7, v8, s2 :: v_dual_add_nc_u32 v8, 1, v6
	s_delay_alu instid0(VALU_DEP_1) | instskip(NEXT) | instid1(VALU_DEP_1)
	v_and_b32_e32 v7, 1, v7
	v_cmp_eq_u32_e32 vcc_lo, 1, v7
	v_cndmask_b32_e32 v4, v6, v4, vcc_lo
	s_delay_alu instid0(VALU_DEP_4) | instskip(NEXT) | instid1(VALU_DEP_1)
	v_cndmask_b32_e32 v3, v3, v8, vcc_lo
	v_cmp_ge_u32_e32 vcc_lo, v3, v4
	s_or_b32 s3, vcc_lo, s3
	s_delay_alu instid0(SALU_CYCLE_1)
	s_and_not1_b32 exec_lo, exec_lo, s3
	s_cbranch_execnz .LBB193_8
; %bb.9:
	s_or_b32 exec_lo, exec_lo, s3
.LBB193_10:
	s_delay_alu instid0(VALU_DEP_1)
	v_add_nc_u32_e32 v3, v3, v0
	s_or_b32 s9, s9, exec_lo
.LBB193_11:
	s_or_b32 exec_lo, exec_lo, s11
	s_branch .LBB193_18
.LBB193_12:
                                        ; implicit-def: $vgpr3
	s_cbranch_execz .LBB193_18
; %bb.13:
	v_mov_b32_e32 v3, s1
	s_cmp_ge_u32 s10, s8
	s_cbranch_scc1 .LBB193_17
; %bb.14:
	v_dual_mov_b32 v4, s8 :: v_dual_mov_b32 v3, s1
	v_and_b32_e32 v2, 0xff, v2
	s_mov_b32 s1, 0
	s_and_b32 s0, s0, 0xff
.LBB193_15:                             ; =>This Inner Loop Header: Depth=1
	s_delay_alu instid0(VALU_DEP_2) | instskip(NEXT) | instid1(VALU_DEP_1)
	v_add_nc_u32_e32 v5, v3, v4
	v_lshrrev_b32_e32 v5, 1, v5
	global_load_u8 v6, v5, s[4:5]
	s_wait_loadcnt 0x0
	v_and_b32_e32 v6, s0, v6
	s_delay_alu instid0(VALU_DEP_1) | instskip(SKIP_3) | instid1(VALU_DEP_1)
	v_cmp_gt_u16_e32 vcc_lo, v2, v6
	v_cndmask_b32_e64 v7, 0, 1, vcc_lo
	v_cmp_le_u16_e32 vcc_lo, v6, v2
	v_cndmask_b32_e64 v6, 0, 1, vcc_lo
	v_dual_cndmask_b32 v6, v6, v7, s2 :: v_dual_add_nc_u32 v7, 1, v5
	s_delay_alu instid0(VALU_DEP_1) | instskip(NEXT) | instid1(VALU_DEP_1)
	v_and_b32_e32 v6, 1, v6
	v_cmp_eq_u32_e32 vcc_lo, 1, v6
	s_delay_alu instid0(VALU_DEP_3) | instskip(NEXT) | instid1(VALU_DEP_1)
	v_dual_cndmask_b32 v4, v5, v4 :: v_dual_cndmask_b32 v3, v3, v7
	v_cmp_ge_u32_e32 vcc_lo, v3, v4
	s_or_b32 s1, vcc_lo, s1
	s_delay_alu instid0(SALU_CYCLE_1)
	s_and_not1_b32 exec_lo, exec_lo, s1
	s_cbranch_execnz .LBB193_15
; %bb.16:
	s_or_b32 exec_lo, exec_lo, s1
.LBB193_17:
	s_delay_alu instid0(VALU_DEP_1)
	v_add_nc_u32_e32 v3, v3, v0
	s_mov_b32 s9, -1
.LBB193_18:
	s_delay_alu instid0(SALU_CYCLE_1)
	s_and_b32 exec_lo, exec_lo, s9
	s_cbranch_execz .LBB193_20
; %bb.19:
	s_wait_loadcnt 0x0
	global_store_b8 v3, v1, s[6:7]
.LBB193_20:
	s_endpgm
	.section	.rodata,"a",@progbits
	.p2align	6, 0x0
	.amdhsa_kernel _ZN7rocprim17ROCPRIM_400000_NS6detail17trampoline_kernelINS0_14default_configENS1_38merge_sort_block_merge_config_selectorIhNS0_10empty_typeEEEZZNS1_27merge_sort_block_merge_implIS3_PhPS5_jNS1_19radix_merge_compareILb0ELb1EhNS0_19identity_decomposerEEEEE10hipError_tT0_T1_T2_jT3_P12ihipStream_tbPNSt15iterator_traitsISE_E10value_typeEPNSK_ISF_E10value_typeEPSG_NS1_7vsmem_tEENKUlT_SE_SF_SG_E_clIS8_S8_S9_S9_EESD_ST_SE_SF_SG_EUlST_E1_NS1_11comp_targetILNS1_3genE0ELNS1_11target_archE4294967295ELNS1_3gpuE0ELNS1_3repE0EEENS1_36merge_oddeven_config_static_selectorELNS0_4arch9wavefront6targetE0EEEvSF_
		.amdhsa_group_segment_fixed_size 0
		.amdhsa_private_segment_fixed_size 0
		.amdhsa_kernarg_size 48
		.amdhsa_user_sgpr_count 2
		.amdhsa_user_sgpr_dispatch_ptr 0
		.amdhsa_user_sgpr_queue_ptr 0
		.amdhsa_user_sgpr_kernarg_segment_ptr 1
		.amdhsa_user_sgpr_dispatch_id 0
		.amdhsa_user_sgpr_kernarg_preload_length 0
		.amdhsa_user_sgpr_kernarg_preload_offset 0
		.amdhsa_user_sgpr_private_segment_size 0
		.amdhsa_wavefront_size32 1
		.amdhsa_uses_dynamic_stack 0
		.amdhsa_enable_private_segment 0
		.amdhsa_system_sgpr_workgroup_id_x 1
		.amdhsa_system_sgpr_workgroup_id_y 0
		.amdhsa_system_sgpr_workgroup_id_z 0
		.amdhsa_system_sgpr_workgroup_info 0
		.amdhsa_system_vgpr_workitem_id 0
		.amdhsa_next_free_vgpr 9
		.amdhsa_next_free_sgpr 18
		.amdhsa_named_barrier_count 0
		.amdhsa_reserve_vcc 1
		.amdhsa_float_round_mode_32 0
		.amdhsa_float_round_mode_16_64 0
		.amdhsa_float_denorm_mode_32 3
		.amdhsa_float_denorm_mode_16_64 3
		.amdhsa_fp16_overflow 0
		.amdhsa_memory_ordered 1
		.amdhsa_forward_progress 1
		.amdhsa_inst_pref_size 6
		.amdhsa_round_robin_scheduling 0
		.amdhsa_exception_fp_ieee_invalid_op 0
		.amdhsa_exception_fp_denorm_src 0
		.amdhsa_exception_fp_ieee_div_zero 0
		.amdhsa_exception_fp_ieee_overflow 0
		.amdhsa_exception_fp_ieee_underflow 0
		.amdhsa_exception_fp_ieee_inexact 0
		.amdhsa_exception_int_div_zero 0
	.end_amdhsa_kernel
	.section	.text._ZN7rocprim17ROCPRIM_400000_NS6detail17trampoline_kernelINS0_14default_configENS1_38merge_sort_block_merge_config_selectorIhNS0_10empty_typeEEEZZNS1_27merge_sort_block_merge_implIS3_PhPS5_jNS1_19radix_merge_compareILb0ELb1EhNS0_19identity_decomposerEEEEE10hipError_tT0_T1_T2_jT3_P12ihipStream_tbPNSt15iterator_traitsISE_E10value_typeEPNSK_ISF_E10value_typeEPSG_NS1_7vsmem_tEENKUlT_SE_SF_SG_E_clIS8_S8_S9_S9_EESD_ST_SE_SF_SG_EUlST_E1_NS1_11comp_targetILNS1_3genE0ELNS1_11target_archE4294967295ELNS1_3gpuE0ELNS1_3repE0EEENS1_36merge_oddeven_config_static_selectorELNS0_4arch9wavefront6targetE0EEEvSF_,"axG",@progbits,_ZN7rocprim17ROCPRIM_400000_NS6detail17trampoline_kernelINS0_14default_configENS1_38merge_sort_block_merge_config_selectorIhNS0_10empty_typeEEEZZNS1_27merge_sort_block_merge_implIS3_PhPS5_jNS1_19radix_merge_compareILb0ELb1EhNS0_19identity_decomposerEEEEE10hipError_tT0_T1_T2_jT3_P12ihipStream_tbPNSt15iterator_traitsISE_E10value_typeEPNSK_ISF_E10value_typeEPSG_NS1_7vsmem_tEENKUlT_SE_SF_SG_E_clIS8_S8_S9_S9_EESD_ST_SE_SF_SG_EUlST_E1_NS1_11comp_targetILNS1_3genE0ELNS1_11target_archE4294967295ELNS1_3gpuE0ELNS1_3repE0EEENS1_36merge_oddeven_config_static_selectorELNS0_4arch9wavefront6targetE0EEEvSF_,comdat
.Lfunc_end193:
	.size	_ZN7rocprim17ROCPRIM_400000_NS6detail17trampoline_kernelINS0_14default_configENS1_38merge_sort_block_merge_config_selectorIhNS0_10empty_typeEEEZZNS1_27merge_sort_block_merge_implIS3_PhPS5_jNS1_19radix_merge_compareILb0ELb1EhNS0_19identity_decomposerEEEEE10hipError_tT0_T1_T2_jT3_P12ihipStream_tbPNSt15iterator_traitsISE_E10value_typeEPNSK_ISF_E10value_typeEPSG_NS1_7vsmem_tEENKUlT_SE_SF_SG_E_clIS8_S8_S9_S9_EESD_ST_SE_SF_SG_EUlST_E1_NS1_11comp_targetILNS1_3genE0ELNS1_11target_archE4294967295ELNS1_3gpuE0ELNS1_3repE0EEENS1_36merge_oddeven_config_static_selectorELNS0_4arch9wavefront6targetE0EEEvSF_, .Lfunc_end193-_ZN7rocprim17ROCPRIM_400000_NS6detail17trampoline_kernelINS0_14default_configENS1_38merge_sort_block_merge_config_selectorIhNS0_10empty_typeEEEZZNS1_27merge_sort_block_merge_implIS3_PhPS5_jNS1_19radix_merge_compareILb0ELb1EhNS0_19identity_decomposerEEEEE10hipError_tT0_T1_T2_jT3_P12ihipStream_tbPNSt15iterator_traitsISE_E10value_typeEPNSK_ISF_E10value_typeEPSG_NS1_7vsmem_tEENKUlT_SE_SF_SG_E_clIS8_S8_S9_S9_EESD_ST_SE_SF_SG_EUlST_E1_NS1_11comp_targetILNS1_3genE0ELNS1_11target_archE4294967295ELNS1_3gpuE0ELNS1_3repE0EEENS1_36merge_oddeven_config_static_selectorELNS0_4arch9wavefront6targetE0EEEvSF_
                                        ; -- End function
	.set _ZN7rocprim17ROCPRIM_400000_NS6detail17trampoline_kernelINS0_14default_configENS1_38merge_sort_block_merge_config_selectorIhNS0_10empty_typeEEEZZNS1_27merge_sort_block_merge_implIS3_PhPS5_jNS1_19radix_merge_compareILb0ELb1EhNS0_19identity_decomposerEEEEE10hipError_tT0_T1_T2_jT3_P12ihipStream_tbPNSt15iterator_traitsISE_E10value_typeEPNSK_ISF_E10value_typeEPSG_NS1_7vsmem_tEENKUlT_SE_SF_SG_E_clIS8_S8_S9_S9_EESD_ST_SE_SF_SG_EUlST_E1_NS1_11comp_targetILNS1_3genE0ELNS1_11target_archE4294967295ELNS1_3gpuE0ELNS1_3repE0EEENS1_36merge_oddeven_config_static_selectorELNS0_4arch9wavefront6targetE0EEEvSF_.num_vgpr, 9
	.set _ZN7rocprim17ROCPRIM_400000_NS6detail17trampoline_kernelINS0_14default_configENS1_38merge_sort_block_merge_config_selectorIhNS0_10empty_typeEEEZZNS1_27merge_sort_block_merge_implIS3_PhPS5_jNS1_19radix_merge_compareILb0ELb1EhNS0_19identity_decomposerEEEEE10hipError_tT0_T1_T2_jT3_P12ihipStream_tbPNSt15iterator_traitsISE_E10value_typeEPNSK_ISF_E10value_typeEPSG_NS1_7vsmem_tEENKUlT_SE_SF_SG_E_clIS8_S8_S9_S9_EESD_ST_SE_SF_SG_EUlST_E1_NS1_11comp_targetILNS1_3genE0ELNS1_11target_archE4294967295ELNS1_3gpuE0ELNS1_3repE0EEENS1_36merge_oddeven_config_static_selectorELNS0_4arch9wavefront6targetE0EEEvSF_.num_agpr, 0
	.set _ZN7rocprim17ROCPRIM_400000_NS6detail17trampoline_kernelINS0_14default_configENS1_38merge_sort_block_merge_config_selectorIhNS0_10empty_typeEEEZZNS1_27merge_sort_block_merge_implIS3_PhPS5_jNS1_19radix_merge_compareILb0ELb1EhNS0_19identity_decomposerEEEEE10hipError_tT0_T1_T2_jT3_P12ihipStream_tbPNSt15iterator_traitsISE_E10value_typeEPNSK_ISF_E10value_typeEPSG_NS1_7vsmem_tEENKUlT_SE_SF_SG_E_clIS8_S8_S9_S9_EESD_ST_SE_SF_SG_EUlST_E1_NS1_11comp_targetILNS1_3genE0ELNS1_11target_archE4294967295ELNS1_3gpuE0ELNS1_3repE0EEENS1_36merge_oddeven_config_static_selectorELNS0_4arch9wavefront6targetE0EEEvSF_.numbered_sgpr, 18
	.set _ZN7rocprim17ROCPRIM_400000_NS6detail17trampoline_kernelINS0_14default_configENS1_38merge_sort_block_merge_config_selectorIhNS0_10empty_typeEEEZZNS1_27merge_sort_block_merge_implIS3_PhPS5_jNS1_19radix_merge_compareILb0ELb1EhNS0_19identity_decomposerEEEEE10hipError_tT0_T1_T2_jT3_P12ihipStream_tbPNSt15iterator_traitsISE_E10value_typeEPNSK_ISF_E10value_typeEPSG_NS1_7vsmem_tEENKUlT_SE_SF_SG_E_clIS8_S8_S9_S9_EESD_ST_SE_SF_SG_EUlST_E1_NS1_11comp_targetILNS1_3genE0ELNS1_11target_archE4294967295ELNS1_3gpuE0ELNS1_3repE0EEENS1_36merge_oddeven_config_static_selectorELNS0_4arch9wavefront6targetE0EEEvSF_.num_named_barrier, 0
	.set _ZN7rocprim17ROCPRIM_400000_NS6detail17trampoline_kernelINS0_14default_configENS1_38merge_sort_block_merge_config_selectorIhNS0_10empty_typeEEEZZNS1_27merge_sort_block_merge_implIS3_PhPS5_jNS1_19radix_merge_compareILb0ELb1EhNS0_19identity_decomposerEEEEE10hipError_tT0_T1_T2_jT3_P12ihipStream_tbPNSt15iterator_traitsISE_E10value_typeEPNSK_ISF_E10value_typeEPSG_NS1_7vsmem_tEENKUlT_SE_SF_SG_E_clIS8_S8_S9_S9_EESD_ST_SE_SF_SG_EUlST_E1_NS1_11comp_targetILNS1_3genE0ELNS1_11target_archE4294967295ELNS1_3gpuE0ELNS1_3repE0EEENS1_36merge_oddeven_config_static_selectorELNS0_4arch9wavefront6targetE0EEEvSF_.private_seg_size, 0
	.set _ZN7rocprim17ROCPRIM_400000_NS6detail17trampoline_kernelINS0_14default_configENS1_38merge_sort_block_merge_config_selectorIhNS0_10empty_typeEEEZZNS1_27merge_sort_block_merge_implIS3_PhPS5_jNS1_19radix_merge_compareILb0ELb1EhNS0_19identity_decomposerEEEEE10hipError_tT0_T1_T2_jT3_P12ihipStream_tbPNSt15iterator_traitsISE_E10value_typeEPNSK_ISF_E10value_typeEPSG_NS1_7vsmem_tEENKUlT_SE_SF_SG_E_clIS8_S8_S9_S9_EESD_ST_SE_SF_SG_EUlST_E1_NS1_11comp_targetILNS1_3genE0ELNS1_11target_archE4294967295ELNS1_3gpuE0ELNS1_3repE0EEENS1_36merge_oddeven_config_static_selectorELNS0_4arch9wavefront6targetE0EEEvSF_.uses_vcc, 1
	.set _ZN7rocprim17ROCPRIM_400000_NS6detail17trampoline_kernelINS0_14default_configENS1_38merge_sort_block_merge_config_selectorIhNS0_10empty_typeEEEZZNS1_27merge_sort_block_merge_implIS3_PhPS5_jNS1_19radix_merge_compareILb0ELb1EhNS0_19identity_decomposerEEEEE10hipError_tT0_T1_T2_jT3_P12ihipStream_tbPNSt15iterator_traitsISE_E10value_typeEPNSK_ISF_E10value_typeEPSG_NS1_7vsmem_tEENKUlT_SE_SF_SG_E_clIS8_S8_S9_S9_EESD_ST_SE_SF_SG_EUlST_E1_NS1_11comp_targetILNS1_3genE0ELNS1_11target_archE4294967295ELNS1_3gpuE0ELNS1_3repE0EEENS1_36merge_oddeven_config_static_selectorELNS0_4arch9wavefront6targetE0EEEvSF_.uses_flat_scratch, 0
	.set _ZN7rocprim17ROCPRIM_400000_NS6detail17trampoline_kernelINS0_14default_configENS1_38merge_sort_block_merge_config_selectorIhNS0_10empty_typeEEEZZNS1_27merge_sort_block_merge_implIS3_PhPS5_jNS1_19radix_merge_compareILb0ELb1EhNS0_19identity_decomposerEEEEE10hipError_tT0_T1_T2_jT3_P12ihipStream_tbPNSt15iterator_traitsISE_E10value_typeEPNSK_ISF_E10value_typeEPSG_NS1_7vsmem_tEENKUlT_SE_SF_SG_E_clIS8_S8_S9_S9_EESD_ST_SE_SF_SG_EUlST_E1_NS1_11comp_targetILNS1_3genE0ELNS1_11target_archE4294967295ELNS1_3gpuE0ELNS1_3repE0EEENS1_36merge_oddeven_config_static_selectorELNS0_4arch9wavefront6targetE0EEEvSF_.has_dyn_sized_stack, 0
	.set _ZN7rocprim17ROCPRIM_400000_NS6detail17trampoline_kernelINS0_14default_configENS1_38merge_sort_block_merge_config_selectorIhNS0_10empty_typeEEEZZNS1_27merge_sort_block_merge_implIS3_PhPS5_jNS1_19radix_merge_compareILb0ELb1EhNS0_19identity_decomposerEEEEE10hipError_tT0_T1_T2_jT3_P12ihipStream_tbPNSt15iterator_traitsISE_E10value_typeEPNSK_ISF_E10value_typeEPSG_NS1_7vsmem_tEENKUlT_SE_SF_SG_E_clIS8_S8_S9_S9_EESD_ST_SE_SF_SG_EUlST_E1_NS1_11comp_targetILNS1_3genE0ELNS1_11target_archE4294967295ELNS1_3gpuE0ELNS1_3repE0EEENS1_36merge_oddeven_config_static_selectorELNS0_4arch9wavefront6targetE0EEEvSF_.has_recursion, 0
	.set _ZN7rocprim17ROCPRIM_400000_NS6detail17trampoline_kernelINS0_14default_configENS1_38merge_sort_block_merge_config_selectorIhNS0_10empty_typeEEEZZNS1_27merge_sort_block_merge_implIS3_PhPS5_jNS1_19radix_merge_compareILb0ELb1EhNS0_19identity_decomposerEEEEE10hipError_tT0_T1_T2_jT3_P12ihipStream_tbPNSt15iterator_traitsISE_E10value_typeEPNSK_ISF_E10value_typeEPSG_NS1_7vsmem_tEENKUlT_SE_SF_SG_E_clIS8_S8_S9_S9_EESD_ST_SE_SF_SG_EUlST_E1_NS1_11comp_targetILNS1_3genE0ELNS1_11target_archE4294967295ELNS1_3gpuE0ELNS1_3repE0EEENS1_36merge_oddeven_config_static_selectorELNS0_4arch9wavefront6targetE0EEEvSF_.has_indirect_call, 0
	.section	.AMDGPU.csdata,"",@progbits
; Kernel info:
; codeLenInByte = 700
; TotalNumSgprs: 20
; NumVgprs: 9
; ScratchSize: 0
; MemoryBound: 0
; FloatMode: 240
; IeeeMode: 1
; LDSByteSize: 0 bytes/workgroup (compile time only)
; SGPRBlocks: 0
; VGPRBlocks: 0
; NumSGPRsForWavesPerEU: 20
; NumVGPRsForWavesPerEU: 9
; NamedBarCnt: 0
; Occupancy: 16
; WaveLimiterHint : 0
; COMPUTE_PGM_RSRC2:SCRATCH_EN: 0
; COMPUTE_PGM_RSRC2:USER_SGPR: 2
; COMPUTE_PGM_RSRC2:TRAP_HANDLER: 0
; COMPUTE_PGM_RSRC2:TGID_X_EN: 1
; COMPUTE_PGM_RSRC2:TGID_Y_EN: 0
; COMPUTE_PGM_RSRC2:TGID_Z_EN: 0
; COMPUTE_PGM_RSRC2:TIDIG_COMP_CNT: 0
	.section	.text._ZN7rocprim17ROCPRIM_400000_NS6detail17trampoline_kernelINS0_14default_configENS1_38merge_sort_block_merge_config_selectorIhNS0_10empty_typeEEEZZNS1_27merge_sort_block_merge_implIS3_PhPS5_jNS1_19radix_merge_compareILb0ELb1EhNS0_19identity_decomposerEEEEE10hipError_tT0_T1_T2_jT3_P12ihipStream_tbPNSt15iterator_traitsISE_E10value_typeEPNSK_ISF_E10value_typeEPSG_NS1_7vsmem_tEENKUlT_SE_SF_SG_E_clIS8_S8_S9_S9_EESD_ST_SE_SF_SG_EUlST_E1_NS1_11comp_targetILNS1_3genE10ELNS1_11target_archE1201ELNS1_3gpuE5ELNS1_3repE0EEENS1_36merge_oddeven_config_static_selectorELNS0_4arch9wavefront6targetE0EEEvSF_,"axG",@progbits,_ZN7rocprim17ROCPRIM_400000_NS6detail17trampoline_kernelINS0_14default_configENS1_38merge_sort_block_merge_config_selectorIhNS0_10empty_typeEEEZZNS1_27merge_sort_block_merge_implIS3_PhPS5_jNS1_19radix_merge_compareILb0ELb1EhNS0_19identity_decomposerEEEEE10hipError_tT0_T1_T2_jT3_P12ihipStream_tbPNSt15iterator_traitsISE_E10value_typeEPNSK_ISF_E10value_typeEPSG_NS1_7vsmem_tEENKUlT_SE_SF_SG_E_clIS8_S8_S9_S9_EESD_ST_SE_SF_SG_EUlST_E1_NS1_11comp_targetILNS1_3genE10ELNS1_11target_archE1201ELNS1_3gpuE5ELNS1_3repE0EEENS1_36merge_oddeven_config_static_selectorELNS0_4arch9wavefront6targetE0EEEvSF_,comdat
	.protected	_ZN7rocprim17ROCPRIM_400000_NS6detail17trampoline_kernelINS0_14default_configENS1_38merge_sort_block_merge_config_selectorIhNS0_10empty_typeEEEZZNS1_27merge_sort_block_merge_implIS3_PhPS5_jNS1_19radix_merge_compareILb0ELb1EhNS0_19identity_decomposerEEEEE10hipError_tT0_T1_T2_jT3_P12ihipStream_tbPNSt15iterator_traitsISE_E10value_typeEPNSK_ISF_E10value_typeEPSG_NS1_7vsmem_tEENKUlT_SE_SF_SG_E_clIS8_S8_S9_S9_EESD_ST_SE_SF_SG_EUlST_E1_NS1_11comp_targetILNS1_3genE10ELNS1_11target_archE1201ELNS1_3gpuE5ELNS1_3repE0EEENS1_36merge_oddeven_config_static_selectorELNS0_4arch9wavefront6targetE0EEEvSF_ ; -- Begin function _ZN7rocprim17ROCPRIM_400000_NS6detail17trampoline_kernelINS0_14default_configENS1_38merge_sort_block_merge_config_selectorIhNS0_10empty_typeEEEZZNS1_27merge_sort_block_merge_implIS3_PhPS5_jNS1_19radix_merge_compareILb0ELb1EhNS0_19identity_decomposerEEEEE10hipError_tT0_T1_T2_jT3_P12ihipStream_tbPNSt15iterator_traitsISE_E10value_typeEPNSK_ISF_E10value_typeEPSG_NS1_7vsmem_tEENKUlT_SE_SF_SG_E_clIS8_S8_S9_S9_EESD_ST_SE_SF_SG_EUlST_E1_NS1_11comp_targetILNS1_3genE10ELNS1_11target_archE1201ELNS1_3gpuE5ELNS1_3repE0EEENS1_36merge_oddeven_config_static_selectorELNS0_4arch9wavefront6targetE0EEEvSF_
	.globl	_ZN7rocprim17ROCPRIM_400000_NS6detail17trampoline_kernelINS0_14default_configENS1_38merge_sort_block_merge_config_selectorIhNS0_10empty_typeEEEZZNS1_27merge_sort_block_merge_implIS3_PhPS5_jNS1_19radix_merge_compareILb0ELb1EhNS0_19identity_decomposerEEEEE10hipError_tT0_T1_T2_jT3_P12ihipStream_tbPNSt15iterator_traitsISE_E10value_typeEPNSK_ISF_E10value_typeEPSG_NS1_7vsmem_tEENKUlT_SE_SF_SG_E_clIS8_S8_S9_S9_EESD_ST_SE_SF_SG_EUlST_E1_NS1_11comp_targetILNS1_3genE10ELNS1_11target_archE1201ELNS1_3gpuE5ELNS1_3repE0EEENS1_36merge_oddeven_config_static_selectorELNS0_4arch9wavefront6targetE0EEEvSF_
	.p2align	8
	.type	_ZN7rocprim17ROCPRIM_400000_NS6detail17trampoline_kernelINS0_14default_configENS1_38merge_sort_block_merge_config_selectorIhNS0_10empty_typeEEEZZNS1_27merge_sort_block_merge_implIS3_PhPS5_jNS1_19radix_merge_compareILb0ELb1EhNS0_19identity_decomposerEEEEE10hipError_tT0_T1_T2_jT3_P12ihipStream_tbPNSt15iterator_traitsISE_E10value_typeEPNSK_ISF_E10value_typeEPSG_NS1_7vsmem_tEENKUlT_SE_SF_SG_E_clIS8_S8_S9_S9_EESD_ST_SE_SF_SG_EUlST_E1_NS1_11comp_targetILNS1_3genE10ELNS1_11target_archE1201ELNS1_3gpuE5ELNS1_3repE0EEENS1_36merge_oddeven_config_static_selectorELNS0_4arch9wavefront6targetE0EEEvSF_,@function
_ZN7rocprim17ROCPRIM_400000_NS6detail17trampoline_kernelINS0_14default_configENS1_38merge_sort_block_merge_config_selectorIhNS0_10empty_typeEEEZZNS1_27merge_sort_block_merge_implIS3_PhPS5_jNS1_19radix_merge_compareILb0ELb1EhNS0_19identity_decomposerEEEEE10hipError_tT0_T1_T2_jT3_P12ihipStream_tbPNSt15iterator_traitsISE_E10value_typeEPNSK_ISF_E10value_typeEPSG_NS1_7vsmem_tEENKUlT_SE_SF_SG_E_clIS8_S8_S9_S9_EESD_ST_SE_SF_SG_EUlST_E1_NS1_11comp_targetILNS1_3genE10ELNS1_11target_archE1201ELNS1_3gpuE5ELNS1_3repE0EEENS1_36merge_oddeven_config_static_selectorELNS0_4arch9wavefront6targetE0EEEvSF_: ; @_ZN7rocprim17ROCPRIM_400000_NS6detail17trampoline_kernelINS0_14default_configENS1_38merge_sort_block_merge_config_selectorIhNS0_10empty_typeEEEZZNS1_27merge_sort_block_merge_implIS3_PhPS5_jNS1_19radix_merge_compareILb0ELb1EhNS0_19identity_decomposerEEEEE10hipError_tT0_T1_T2_jT3_P12ihipStream_tbPNSt15iterator_traitsISE_E10value_typeEPNSK_ISF_E10value_typeEPSG_NS1_7vsmem_tEENKUlT_SE_SF_SG_E_clIS8_S8_S9_S9_EESD_ST_SE_SF_SG_EUlST_E1_NS1_11comp_targetILNS1_3genE10ELNS1_11target_archE1201ELNS1_3gpuE5ELNS1_3repE0EEENS1_36merge_oddeven_config_static_selectorELNS0_4arch9wavefront6targetE0EEEvSF_
; %bb.0:
	.section	.rodata,"a",@progbits
	.p2align	6, 0x0
	.amdhsa_kernel _ZN7rocprim17ROCPRIM_400000_NS6detail17trampoline_kernelINS0_14default_configENS1_38merge_sort_block_merge_config_selectorIhNS0_10empty_typeEEEZZNS1_27merge_sort_block_merge_implIS3_PhPS5_jNS1_19radix_merge_compareILb0ELb1EhNS0_19identity_decomposerEEEEE10hipError_tT0_T1_T2_jT3_P12ihipStream_tbPNSt15iterator_traitsISE_E10value_typeEPNSK_ISF_E10value_typeEPSG_NS1_7vsmem_tEENKUlT_SE_SF_SG_E_clIS8_S8_S9_S9_EESD_ST_SE_SF_SG_EUlST_E1_NS1_11comp_targetILNS1_3genE10ELNS1_11target_archE1201ELNS1_3gpuE5ELNS1_3repE0EEENS1_36merge_oddeven_config_static_selectorELNS0_4arch9wavefront6targetE0EEEvSF_
		.amdhsa_group_segment_fixed_size 0
		.amdhsa_private_segment_fixed_size 0
		.amdhsa_kernarg_size 48
		.amdhsa_user_sgpr_count 2
		.amdhsa_user_sgpr_dispatch_ptr 0
		.amdhsa_user_sgpr_queue_ptr 0
		.amdhsa_user_sgpr_kernarg_segment_ptr 1
		.amdhsa_user_sgpr_dispatch_id 0
		.amdhsa_user_sgpr_kernarg_preload_length 0
		.amdhsa_user_sgpr_kernarg_preload_offset 0
		.amdhsa_user_sgpr_private_segment_size 0
		.amdhsa_wavefront_size32 1
		.amdhsa_uses_dynamic_stack 0
		.amdhsa_enable_private_segment 0
		.amdhsa_system_sgpr_workgroup_id_x 1
		.amdhsa_system_sgpr_workgroup_id_y 0
		.amdhsa_system_sgpr_workgroup_id_z 0
		.amdhsa_system_sgpr_workgroup_info 0
		.amdhsa_system_vgpr_workitem_id 0
		.amdhsa_next_free_vgpr 1
		.amdhsa_next_free_sgpr 1
		.amdhsa_named_barrier_count 0
		.amdhsa_reserve_vcc 0
		.amdhsa_float_round_mode_32 0
		.amdhsa_float_round_mode_16_64 0
		.amdhsa_float_denorm_mode_32 3
		.amdhsa_float_denorm_mode_16_64 3
		.amdhsa_fp16_overflow 0
		.amdhsa_memory_ordered 1
		.amdhsa_forward_progress 1
		.amdhsa_inst_pref_size 0
		.amdhsa_round_robin_scheduling 0
		.amdhsa_exception_fp_ieee_invalid_op 0
		.amdhsa_exception_fp_denorm_src 0
		.amdhsa_exception_fp_ieee_div_zero 0
		.amdhsa_exception_fp_ieee_overflow 0
		.amdhsa_exception_fp_ieee_underflow 0
		.amdhsa_exception_fp_ieee_inexact 0
		.amdhsa_exception_int_div_zero 0
	.end_amdhsa_kernel
	.section	.text._ZN7rocprim17ROCPRIM_400000_NS6detail17trampoline_kernelINS0_14default_configENS1_38merge_sort_block_merge_config_selectorIhNS0_10empty_typeEEEZZNS1_27merge_sort_block_merge_implIS3_PhPS5_jNS1_19radix_merge_compareILb0ELb1EhNS0_19identity_decomposerEEEEE10hipError_tT0_T1_T2_jT3_P12ihipStream_tbPNSt15iterator_traitsISE_E10value_typeEPNSK_ISF_E10value_typeEPSG_NS1_7vsmem_tEENKUlT_SE_SF_SG_E_clIS8_S8_S9_S9_EESD_ST_SE_SF_SG_EUlST_E1_NS1_11comp_targetILNS1_3genE10ELNS1_11target_archE1201ELNS1_3gpuE5ELNS1_3repE0EEENS1_36merge_oddeven_config_static_selectorELNS0_4arch9wavefront6targetE0EEEvSF_,"axG",@progbits,_ZN7rocprim17ROCPRIM_400000_NS6detail17trampoline_kernelINS0_14default_configENS1_38merge_sort_block_merge_config_selectorIhNS0_10empty_typeEEEZZNS1_27merge_sort_block_merge_implIS3_PhPS5_jNS1_19radix_merge_compareILb0ELb1EhNS0_19identity_decomposerEEEEE10hipError_tT0_T1_T2_jT3_P12ihipStream_tbPNSt15iterator_traitsISE_E10value_typeEPNSK_ISF_E10value_typeEPSG_NS1_7vsmem_tEENKUlT_SE_SF_SG_E_clIS8_S8_S9_S9_EESD_ST_SE_SF_SG_EUlST_E1_NS1_11comp_targetILNS1_3genE10ELNS1_11target_archE1201ELNS1_3gpuE5ELNS1_3repE0EEENS1_36merge_oddeven_config_static_selectorELNS0_4arch9wavefront6targetE0EEEvSF_,comdat
.Lfunc_end194:
	.size	_ZN7rocprim17ROCPRIM_400000_NS6detail17trampoline_kernelINS0_14default_configENS1_38merge_sort_block_merge_config_selectorIhNS0_10empty_typeEEEZZNS1_27merge_sort_block_merge_implIS3_PhPS5_jNS1_19radix_merge_compareILb0ELb1EhNS0_19identity_decomposerEEEEE10hipError_tT0_T1_T2_jT3_P12ihipStream_tbPNSt15iterator_traitsISE_E10value_typeEPNSK_ISF_E10value_typeEPSG_NS1_7vsmem_tEENKUlT_SE_SF_SG_E_clIS8_S8_S9_S9_EESD_ST_SE_SF_SG_EUlST_E1_NS1_11comp_targetILNS1_3genE10ELNS1_11target_archE1201ELNS1_3gpuE5ELNS1_3repE0EEENS1_36merge_oddeven_config_static_selectorELNS0_4arch9wavefront6targetE0EEEvSF_, .Lfunc_end194-_ZN7rocprim17ROCPRIM_400000_NS6detail17trampoline_kernelINS0_14default_configENS1_38merge_sort_block_merge_config_selectorIhNS0_10empty_typeEEEZZNS1_27merge_sort_block_merge_implIS3_PhPS5_jNS1_19radix_merge_compareILb0ELb1EhNS0_19identity_decomposerEEEEE10hipError_tT0_T1_T2_jT3_P12ihipStream_tbPNSt15iterator_traitsISE_E10value_typeEPNSK_ISF_E10value_typeEPSG_NS1_7vsmem_tEENKUlT_SE_SF_SG_E_clIS8_S8_S9_S9_EESD_ST_SE_SF_SG_EUlST_E1_NS1_11comp_targetILNS1_3genE10ELNS1_11target_archE1201ELNS1_3gpuE5ELNS1_3repE0EEENS1_36merge_oddeven_config_static_selectorELNS0_4arch9wavefront6targetE0EEEvSF_
                                        ; -- End function
	.set _ZN7rocprim17ROCPRIM_400000_NS6detail17trampoline_kernelINS0_14default_configENS1_38merge_sort_block_merge_config_selectorIhNS0_10empty_typeEEEZZNS1_27merge_sort_block_merge_implIS3_PhPS5_jNS1_19radix_merge_compareILb0ELb1EhNS0_19identity_decomposerEEEEE10hipError_tT0_T1_T2_jT3_P12ihipStream_tbPNSt15iterator_traitsISE_E10value_typeEPNSK_ISF_E10value_typeEPSG_NS1_7vsmem_tEENKUlT_SE_SF_SG_E_clIS8_S8_S9_S9_EESD_ST_SE_SF_SG_EUlST_E1_NS1_11comp_targetILNS1_3genE10ELNS1_11target_archE1201ELNS1_3gpuE5ELNS1_3repE0EEENS1_36merge_oddeven_config_static_selectorELNS0_4arch9wavefront6targetE0EEEvSF_.num_vgpr, 0
	.set _ZN7rocprim17ROCPRIM_400000_NS6detail17trampoline_kernelINS0_14default_configENS1_38merge_sort_block_merge_config_selectorIhNS0_10empty_typeEEEZZNS1_27merge_sort_block_merge_implIS3_PhPS5_jNS1_19radix_merge_compareILb0ELb1EhNS0_19identity_decomposerEEEEE10hipError_tT0_T1_T2_jT3_P12ihipStream_tbPNSt15iterator_traitsISE_E10value_typeEPNSK_ISF_E10value_typeEPSG_NS1_7vsmem_tEENKUlT_SE_SF_SG_E_clIS8_S8_S9_S9_EESD_ST_SE_SF_SG_EUlST_E1_NS1_11comp_targetILNS1_3genE10ELNS1_11target_archE1201ELNS1_3gpuE5ELNS1_3repE0EEENS1_36merge_oddeven_config_static_selectorELNS0_4arch9wavefront6targetE0EEEvSF_.num_agpr, 0
	.set _ZN7rocprim17ROCPRIM_400000_NS6detail17trampoline_kernelINS0_14default_configENS1_38merge_sort_block_merge_config_selectorIhNS0_10empty_typeEEEZZNS1_27merge_sort_block_merge_implIS3_PhPS5_jNS1_19radix_merge_compareILb0ELb1EhNS0_19identity_decomposerEEEEE10hipError_tT0_T1_T2_jT3_P12ihipStream_tbPNSt15iterator_traitsISE_E10value_typeEPNSK_ISF_E10value_typeEPSG_NS1_7vsmem_tEENKUlT_SE_SF_SG_E_clIS8_S8_S9_S9_EESD_ST_SE_SF_SG_EUlST_E1_NS1_11comp_targetILNS1_3genE10ELNS1_11target_archE1201ELNS1_3gpuE5ELNS1_3repE0EEENS1_36merge_oddeven_config_static_selectorELNS0_4arch9wavefront6targetE0EEEvSF_.numbered_sgpr, 0
	.set _ZN7rocprim17ROCPRIM_400000_NS6detail17trampoline_kernelINS0_14default_configENS1_38merge_sort_block_merge_config_selectorIhNS0_10empty_typeEEEZZNS1_27merge_sort_block_merge_implIS3_PhPS5_jNS1_19radix_merge_compareILb0ELb1EhNS0_19identity_decomposerEEEEE10hipError_tT0_T1_T2_jT3_P12ihipStream_tbPNSt15iterator_traitsISE_E10value_typeEPNSK_ISF_E10value_typeEPSG_NS1_7vsmem_tEENKUlT_SE_SF_SG_E_clIS8_S8_S9_S9_EESD_ST_SE_SF_SG_EUlST_E1_NS1_11comp_targetILNS1_3genE10ELNS1_11target_archE1201ELNS1_3gpuE5ELNS1_3repE0EEENS1_36merge_oddeven_config_static_selectorELNS0_4arch9wavefront6targetE0EEEvSF_.num_named_barrier, 0
	.set _ZN7rocprim17ROCPRIM_400000_NS6detail17trampoline_kernelINS0_14default_configENS1_38merge_sort_block_merge_config_selectorIhNS0_10empty_typeEEEZZNS1_27merge_sort_block_merge_implIS3_PhPS5_jNS1_19radix_merge_compareILb0ELb1EhNS0_19identity_decomposerEEEEE10hipError_tT0_T1_T2_jT3_P12ihipStream_tbPNSt15iterator_traitsISE_E10value_typeEPNSK_ISF_E10value_typeEPSG_NS1_7vsmem_tEENKUlT_SE_SF_SG_E_clIS8_S8_S9_S9_EESD_ST_SE_SF_SG_EUlST_E1_NS1_11comp_targetILNS1_3genE10ELNS1_11target_archE1201ELNS1_3gpuE5ELNS1_3repE0EEENS1_36merge_oddeven_config_static_selectorELNS0_4arch9wavefront6targetE0EEEvSF_.private_seg_size, 0
	.set _ZN7rocprim17ROCPRIM_400000_NS6detail17trampoline_kernelINS0_14default_configENS1_38merge_sort_block_merge_config_selectorIhNS0_10empty_typeEEEZZNS1_27merge_sort_block_merge_implIS3_PhPS5_jNS1_19radix_merge_compareILb0ELb1EhNS0_19identity_decomposerEEEEE10hipError_tT0_T1_T2_jT3_P12ihipStream_tbPNSt15iterator_traitsISE_E10value_typeEPNSK_ISF_E10value_typeEPSG_NS1_7vsmem_tEENKUlT_SE_SF_SG_E_clIS8_S8_S9_S9_EESD_ST_SE_SF_SG_EUlST_E1_NS1_11comp_targetILNS1_3genE10ELNS1_11target_archE1201ELNS1_3gpuE5ELNS1_3repE0EEENS1_36merge_oddeven_config_static_selectorELNS0_4arch9wavefront6targetE0EEEvSF_.uses_vcc, 0
	.set _ZN7rocprim17ROCPRIM_400000_NS6detail17trampoline_kernelINS0_14default_configENS1_38merge_sort_block_merge_config_selectorIhNS0_10empty_typeEEEZZNS1_27merge_sort_block_merge_implIS3_PhPS5_jNS1_19radix_merge_compareILb0ELb1EhNS0_19identity_decomposerEEEEE10hipError_tT0_T1_T2_jT3_P12ihipStream_tbPNSt15iterator_traitsISE_E10value_typeEPNSK_ISF_E10value_typeEPSG_NS1_7vsmem_tEENKUlT_SE_SF_SG_E_clIS8_S8_S9_S9_EESD_ST_SE_SF_SG_EUlST_E1_NS1_11comp_targetILNS1_3genE10ELNS1_11target_archE1201ELNS1_3gpuE5ELNS1_3repE0EEENS1_36merge_oddeven_config_static_selectorELNS0_4arch9wavefront6targetE0EEEvSF_.uses_flat_scratch, 0
	.set _ZN7rocprim17ROCPRIM_400000_NS6detail17trampoline_kernelINS0_14default_configENS1_38merge_sort_block_merge_config_selectorIhNS0_10empty_typeEEEZZNS1_27merge_sort_block_merge_implIS3_PhPS5_jNS1_19radix_merge_compareILb0ELb1EhNS0_19identity_decomposerEEEEE10hipError_tT0_T1_T2_jT3_P12ihipStream_tbPNSt15iterator_traitsISE_E10value_typeEPNSK_ISF_E10value_typeEPSG_NS1_7vsmem_tEENKUlT_SE_SF_SG_E_clIS8_S8_S9_S9_EESD_ST_SE_SF_SG_EUlST_E1_NS1_11comp_targetILNS1_3genE10ELNS1_11target_archE1201ELNS1_3gpuE5ELNS1_3repE0EEENS1_36merge_oddeven_config_static_selectorELNS0_4arch9wavefront6targetE0EEEvSF_.has_dyn_sized_stack, 0
	.set _ZN7rocprim17ROCPRIM_400000_NS6detail17trampoline_kernelINS0_14default_configENS1_38merge_sort_block_merge_config_selectorIhNS0_10empty_typeEEEZZNS1_27merge_sort_block_merge_implIS3_PhPS5_jNS1_19radix_merge_compareILb0ELb1EhNS0_19identity_decomposerEEEEE10hipError_tT0_T1_T2_jT3_P12ihipStream_tbPNSt15iterator_traitsISE_E10value_typeEPNSK_ISF_E10value_typeEPSG_NS1_7vsmem_tEENKUlT_SE_SF_SG_E_clIS8_S8_S9_S9_EESD_ST_SE_SF_SG_EUlST_E1_NS1_11comp_targetILNS1_3genE10ELNS1_11target_archE1201ELNS1_3gpuE5ELNS1_3repE0EEENS1_36merge_oddeven_config_static_selectorELNS0_4arch9wavefront6targetE0EEEvSF_.has_recursion, 0
	.set _ZN7rocprim17ROCPRIM_400000_NS6detail17trampoline_kernelINS0_14default_configENS1_38merge_sort_block_merge_config_selectorIhNS0_10empty_typeEEEZZNS1_27merge_sort_block_merge_implIS3_PhPS5_jNS1_19radix_merge_compareILb0ELb1EhNS0_19identity_decomposerEEEEE10hipError_tT0_T1_T2_jT3_P12ihipStream_tbPNSt15iterator_traitsISE_E10value_typeEPNSK_ISF_E10value_typeEPSG_NS1_7vsmem_tEENKUlT_SE_SF_SG_E_clIS8_S8_S9_S9_EESD_ST_SE_SF_SG_EUlST_E1_NS1_11comp_targetILNS1_3genE10ELNS1_11target_archE1201ELNS1_3gpuE5ELNS1_3repE0EEENS1_36merge_oddeven_config_static_selectorELNS0_4arch9wavefront6targetE0EEEvSF_.has_indirect_call, 0
	.section	.AMDGPU.csdata,"",@progbits
; Kernel info:
; codeLenInByte = 0
; TotalNumSgprs: 0
; NumVgprs: 0
; ScratchSize: 0
; MemoryBound: 0
; FloatMode: 240
; IeeeMode: 1
; LDSByteSize: 0 bytes/workgroup (compile time only)
; SGPRBlocks: 0
; VGPRBlocks: 0
; NumSGPRsForWavesPerEU: 1
; NumVGPRsForWavesPerEU: 1
; NamedBarCnt: 0
; Occupancy: 16
; WaveLimiterHint : 0
; COMPUTE_PGM_RSRC2:SCRATCH_EN: 0
; COMPUTE_PGM_RSRC2:USER_SGPR: 2
; COMPUTE_PGM_RSRC2:TRAP_HANDLER: 0
; COMPUTE_PGM_RSRC2:TGID_X_EN: 1
; COMPUTE_PGM_RSRC2:TGID_Y_EN: 0
; COMPUTE_PGM_RSRC2:TGID_Z_EN: 0
; COMPUTE_PGM_RSRC2:TIDIG_COMP_CNT: 0
	.section	.text._ZN7rocprim17ROCPRIM_400000_NS6detail17trampoline_kernelINS0_14default_configENS1_38merge_sort_block_merge_config_selectorIhNS0_10empty_typeEEEZZNS1_27merge_sort_block_merge_implIS3_PhPS5_jNS1_19radix_merge_compareILb0ELb1EhNS0_19identity_decomposerEEEEE10hipError_tT0_T1_T2_jT3_P12ihipStream_tbPNSt15iterator_traitsISE_E10value_typeEPNSK_ISF_E10value_typeEPSG_NS1_7vsmem_tEENKUlT_SE_SF_SG_E_clIS8_S8_S9_S9_EESD_ST_SE_SF_SG_EUlST_E1_NS1_11comp_targetILNS1_3genE5ELNS1_11target_archE942ELNS1_3gpuE9ELNS1_3repE0EEENS1_36merge_oddeven_config_static_selectorELNS0_4arch9wavefront6targetE0EEEvSF_,"axG",@progbits,_ZN7rocprim17ROCPRIM_400000_NS6detail17trampoline_kernelINS0_14default_configENS1_38merge_sort_block_merge_config_selectorIhNS0_10empty_typeEEEZZNS1_27merge_sort_block_merge_implIS3_PhPS5_jNS1_19radix_merge_compareILb0ELb1EhNS0_19identity_decomposerEEEEE10hipError_tT0_T1_T2_jT3_P12ihipStream_tbPNSt15iterator_traitsISE_E10value_typeEPNSK_ISF_E10value_typeEPSG_NS1_7vsmem_tEENKUlT_SE_SF_SG_E_clIS8_S8_S9_S9_EESD_ST_SE_SF_SG_EUlST_E1_NS1_11comp_targetILNS1_3genE5ELNS1_11target_archE942ELNS1_3gpuE9ELNS1_3repE0EEENS1_36merge_oddeven_config_static_selectorELNS0_4arch9wavefront6targetE0EEEvSF_,comdat
	.protected	_ZN7rocprim17ROCPRIM_400000_NS6detail17trampoline_kernelINS0_14default_configENS1_38merge_sort_block_merge_config_selectorIhNS0_10empty_typeEEEZZNS1_27merge_sort_block_merge_implIS3_PhPS5_jNS1_19radix_merge_compareILb0ELb1EhNS0_19identity_decomposerEEEEE10hipError_tT0_T1_T2_jT3_P12ihipStream_tbPNSt15iterator_traitsISE_E10value_typeEPNSK_ISF_E10value_typeEPSG_NS1_7vsmem_tEENKUlT_SE_SF_SG_E_clIS8_S8_S9_S9_EESD_ST_SE_SF_SG_EUlST_E1_NS1_11comp_targetILNS1_3genE5ELNS1_11target_archE942ELNS1_3gpuE9ELNS1_3repE0EEENS1_36merge_oddeven_config_static_selectorELNS0_4arch9wavefront6targetE0EEEvSF_ ; -- Begin function _ZN7rocprim17ROCPRIM_400000_NS6detail17trampoline_kernelINS0_14default_configENS1_38merge_sort_block_merge_config_selectorIhNS0_10empty_typeEEEZZNS1_27merge_sort_block_merge_implIS3_PhPS5_jNS1_19radix_merge_compareILb0ELb1EhNS0_19identity_decomposerEEEEE10hipError_tT0_T1_T2_jT3_P12ihipStream_tbPNSt15iterator_traitsISE_E10value_typeEPNSK_ISF_E10value_typeEPSG_NS1_7vsmem_tEENKUlT_SE_SF_SG_E_clIS8_S8_S9_S9_EESD_ST_SE_SF_SG_EUlST_E1_NS1_11comp_targetILNS1_3genE5ELNS1_11target_archE942ELNS1_3gpuE9ELNS1_3repE0EEENS1_36merge_oddeven_config_static_selectorELNS0_4arch9wavefront6targetE0EEEvSF_
	.globl	_ZN7rocprim17ROCPRIM_400000_NS6detail17trampoline_kernelINS0_14default_configENS1_38merge_sort_block_merge_config_selectorIhNS0_10empty_typeEEEZZNS1_27merge_sort_block_merge_implIS3_PhPS5_jNS1_19radix_merge_compareILb0ELb1EhNS0_19identity_decomposerEEEEE10hipError_tT0_T1_T2_jT3_P12ihipStream_tbPNSt15iterator_traitsISE_E10value_typeEPNSK_ISF_E10value_typeEPSG_NS1_7vsmem_tEENKUlT_SE_SF_SG_E_clIS8_S8_S9_S9_EESD_ST_SE_SF_SG_EUlST_E1_NS1_11comp_targetILNS1_3genE5ELNS1_11target_archE942ELNS1_3gpuE9ELNS1_3repE0EEENS1_36merge_oddeven_config_static_selectorELNS0_4arch9wavefront6targetE0EEEvSF_
	.p2align	8
	.type	_ZN7rocprim17ROCPRIM_400000_NS6detail17trampoline_kernelINS0_14default_configENS1_38merge_sort_block_merge_config_selectorIhNS0_10empty_typeEEEZZNS1_27merge_sort_block_merge_implIS3_PhPS5_jNS1_19radix_merge_compareILb0ELb1EhNS0_19identity_decomposerEEEEE10hipError_tT0_T1_T2_jT3_P12ihipStream_tbPNSt15iterator_traitsISE_E10value_typeEPNSK_ISF_E10value_typeEPSG_NS1_7vsmem_tEENKUlT_SE_SF_SG_E_clIS8_S8_S9_S9_EESD_ST_SE_SF_SG_EUlST_E1_NS1_11comp_targetILNS1_3genE5ELNS1_11target_archE942ELNS1_3gpuE9ELNS1_3repE0EEENS1_36merge_oddeven_config_static_selectorELNS0_4arch9wavefront6targetE0EEEvSF_,@function
_ZN7rocprim17ROCPRIM_400000_NS6detail17trampoline_kernelINS0_14default_configENS1_38merge_sort_block_merge_config_selectorIhNS0_10empty_typeEEEZZNS1_27merge_sort_block_merge_implIS3_PhPS5_jNS1_19radix_merge_compareILb0ELb1EhNS0_19identity_decomposerEEEEE10hipError_tT0_T1_T2_jT3_P12ihipStream_tbPNSt15iterator_traitsISE_E10value_typeEPNSK_ISF_E10value_typeEPSG_NS1_7vsmem_tEENKUlT_SE_SF_SG_E_clIS8_S8_S9_S9_EESD_ST_SE_SF_SG_EUlST_E1_NS1_11comp_targetILNS1_3genE5ELNS1_11target_archE942ELNS1_3gpuE9ELNS1_3repE0EEENS1_36merge_oddeven_config_static_selectorELNS0_4arch9wavefront6targetE0EEEvSF_: ; @_ZN7rocprim17ROCPRIM_400000_NS6detail17trampoline_kernelINS0_14default_configENS1_38merge_sort_block_merge_config_selectorIhNS0_10empty_typeEEEZZNS1_27merge_sort_block_merge_implIS3_PhPS5_jNS1_19radix_merge_compareILb0ELb1EhNS0_19identity_decomposerEEEEE10hipError_tT0_T1_T2_jT3_P12ihipStream_tbPNSt15iterator_traitsISE_E10value_typeEPNSK_ISF_E10value_typeEPSG_NS1_7vsmem_tEENKUlT_SE_SF_SG_E_clIS8_S8_S9_S9_EESD_ST_SE_SF_SG_EUlST_E1_NS1_11comp_targetILNS1_3genE5ELNS1_11target_archE942ELNS1_3gpuE9ELNS1_3repE0EEENS1_36merge_oddeven_config_static_selectorELNS0_4arch9wavefront6targetE0EEEvSF_
; %bb.0:
	.section	.rodata,"a",@progbits
	.p2align	6, 0x0
	.amdhsa_kernel _ZN7rocprim17ROCPRIM_400000_NS6detail17trampoline_kernelINS0_14default_configENS1_38merge_sort_block_merge_config_selectorIhNS0_10empty_typeEEEZZNS1_27merge_sort_block_merge_implIS3_PhPS5_jNS1_19radix_merge_compareILb0ELb1EhNS0_19identity_decomposerEEEEE10hipError_tT0_T1_T2_jT3_P12ihipStream_tbPNSt15iterator_traitsISE_E10value_typeEPNSK_ISF_E10value_typeEPSG_NS1_7vsmem_tEENKUlT_SE_SF_SG_E_clIS8_S8_S9_S9_EESD_ST_SE_SF_SG_EUlST_E1_NS1_11comp_targetILNS1_3genE5ELNS1_11target_archE942ELNS1_3gpuE9ELNS1_3repE0EEENS1_36merge_oddeven_config_static_selectorELNS0_4arch9wavefront6targetE0EEEvSF_
		.amdhsa_group_segment_fixed_size 0
		.amdhsa_private_segment_fixed_size 0
		.amdhsa_kernarg_size 48
		.amdhsa_user_sgpr_count 2
		.amdhsa_user_sgpr_dispatch_ptr 0
		.amdhsa_user_sgpr_queue_ptr 0
		.amdhsa_user_sgpr_kernarg_segment_ptr 1
		.amdhsa_user_sgpr_dispatch_id 0
		.amdhsa_user_sgpr_kernarg_preload_length 0
		.amdhsa_user_sgpr_kernarg_preload_offset 0
		.amdhsa_user_sgpr_private_segment_size 0
		.amdhsa_wavefront_size32 1
		.amdhsa_uses_dynamic_stack 0
		.amdhsa_enable_private_segment 0
		.amdhsa_system_sgpr_workgroup_id_x 1
		.amdhsa_system_sgpr_workgroup_id_y 0
		.amdhsa_system_sgpr_workgroup_id_z 0
		.amdhsa_system_sgpr_workgroup_info 0
		.amdhsa_system_vgpr_workitem_id 0
		.amdhsa_next_free_vgpr 1
		.amdhsa_next_free_sgpr 1
		.amdhsa_named_barrier_count 0
		.amdhsa_reserve_vcc 0
		.amdhsa_float_round_mode_32 0
		.amdhsa_float_round_mode_16_64 0
		.amdhsa_float_denorm_mode_32 3
		.amdhsa_float_denorm_mode_16_64 3
		.amdhsa_fp16_overflow 0
		.amdhsa_memory_ordered 1
		.amdhsa_forward_progress 1
		.amdhsa_inst_pref_size 0
		.amdhsa_round_robin_scheduling 0
		.amdhsa_exception_fp_ieee_invalid_op 0
		.amdhsa_exception_fp_denorm_src 0
		.amdhsa_exception_fp_ieee_div_zero 0
		.amdhsa_exception_fp_ieee_overflow 0
		.amdhsa_exception_fp_ieee_underflow 0
		.amdhsa_exception_fp_ieee_inexact 0
		.amdhsa_exception_int_div_zero 0
	.end_amdhsa_kernel
	.section	.text._ZN7rocprim17ROCPRIM_400000_NS6detail17trampoline_kernelINS0_14default_configENS1_38merge_sort_block_merge_config_selectorIhNS0_10empty_typeEEEZZNS1_27merge_sort_block_merge_implIS3_PhPS5_jNS1_19radix_merge_compareILb0ELb1EhNS0_19identity_decomposerEEEEE10hipError_tT0_T1_T2_jT3_P12ihipStream_tbPNSt15iterator_traitsISE_E10value_typeEPNSK_ISF_E10value_typeEPSG_NS1_7vsmem_tEENKUlT_SE_SF_SG_E_clIS8_S8_S9_S9_EESD_ST_SE_SF_SG_EUlST_E1_NS1_11comp_targetILNS1_3genE5ELNS1_11target_archE942ELNS1_3gpuE9ELNS1_3repE0EEENS1_36merge_oddeven_config_static_selectorELNS0_4arch9wavefront6targetE0EEEvSF_,"axG",@progbits,_ZN7rocprim17ROCPRIM_400000_NS6detail17trampoline_kernelINS0_14default_configENS1_38merge_sort_block_merge_config_selectorIhNS0_10empty_typeEEEZZNS1_27merge_sort_block_merge_implIS3_PhPS5_jNS1_19radix_merge_compareILb0ELb1EhNS0_19identity_decomposerEEEEE10hipError_tT0_T1_T2_jT3_P12ihipStream_tbPNSt15iterator_traitsISE_E10value_typeEPNSK_ISF_E10value_typeEPSG_NS1_7vsmem_tEENKUlT_SE_SF_SG_E_clIS8_S8_S9_S9_EESD_ST_SE_SF_SG_EUlST_E1_NS1_11comp_targetILNS1_3genE5ELNS1_11target_archE942ELNS1_3gpuE9ELNS1_3repE0EEENS1_36merge_oddeven_config_static_selectorELNS0_4arch9wavefront6targetE0EEEvSF_,comdat
.Lfunc_end195:
	.size	_ZN7rocprim17ROCPRIM_400000_NS6detail17trampoline_kernelINS0_14default_configENS1_38merge_sort_block_merge_config_selectorIhNS0_10empty_typeEEEZZNS1_27merge_sort_block_merge_implIS3_PhPS5_jNS1_19radix_merge_compareILb0ELb1EhNS0_19identity_decomposerEEEEE10hipError_tT0_T1_T2_jT3_P12ihipStream_tbPNSt15iterator_traitsISE_E10value_typeEPNSK_ISF_E10value_typeEPSG_NS1_7vsmem_tEENKUlT_SE_SF_SG_E_clIS8_S8_S9_S9_EESD_ST_SE_SF_SG_EUlST_E1_NS1_11comp_targetILNS1_3genE5ELNS1_11target_archE942ELNS1_3gpuE9ELNS1_3repE0EEENS1_36merge_oddeven_config_static_selectorELNS0_4arch9wavefront6targetE0EEEvSF_, .Lfunc_end195-_ZN7rocprim17ROCPRIM_400000_NS6detail17trampoline_kernelINS0_14default_configENS1_38merge_sort_block_merge_config_selectorIhNS0_10empty_typeEEEZZNS1_27merge_sort_block_merge_implIS3_PhPS5_jNS1_19radix_merge_compareILb0ELb1EhNS0_19identity_decomposerEEEEE10hipError_tT0_T1_T2_jT3_P12ihipStream_tbPNSt15iterator_traitsISE_E10value_typeEPNSK_ISF_E10value_typeEPSG_NS1_7vsmem_tEENKUlT_SE_SF_SG_E_clIS8_S8_S9_S9_EESD_ST_SE_SF_SG_EUlST_E1_NS1_11comp_targetILNS1_3genE5ELNS1_11target_archE942ELNS1_3gpuE9ELNS1_3repE0EEENS1_36merge_oddeven_config_static_selectorELNS0_4arch9wavefront6targetE0EEEvSF_
                                        ; -- End function
	.set _ZN7rocprim17ROCPRIM_400000_NS6detail17trampoline_kernelINS0_14default_configENS1_38merge_sort_block_merge_config_selectorIhNS0_10empty_typeEEEZZNS1_27merge_sort_block_merge_implIS3_PhPS5_jNS1_19radix_merge_compareILb0ELb1EhNS0_19identity_decomposerEEEEE10hipError_tT0_T1_T2_jT3_P12ihipStream_tbPNSt15iterator_traitsISE_E10value_typeEPNSK_ISF_E10value_typeEPSG_NS1_7vsmem_tEENKUlT_SE_SF_SG_E_clIS8_S8_S9_S9_EESD_ST_SE_SF_SG_EUlST_E1_NS1_11comp_targetILNS1_3genE5ELNS1_11target_archE942ELNS1_3gpuE9ELNS1_3repE0EEENS1_36merge_oddeven_config_static_selectorELNS0_4arch9wavefront6targetE0EEEvSF_.num_vgpr, 0
	.set _ZN7rocprim17ROCPRIM_400000_NS6detail17trampoline_kernelINS0_14default_configENS1_38merge_sort_block_merge_config_selectorIhNS0_10empty_typeEEEZZNS1_27merge_sort_block_merge_implIS3_PhPS5_jNS1_19radix_merge_compareILb0ELb1EhNS0_19identity_decomposerEEEEE10hipError_tT0_T1_T2_jT3_P12ihipStream_tbPNSt15iterator_traitsISE_E10value_typeEPNSK_ISF_E10value_typeEPSG_NS1_7vsmem_tEENKUlT_SE_SF_SG_E_clIS8_S8_S9_S9_EESD_ST_SE_SF_SG_EUlST_E1_NS1_11comp_targetILNS1_3genE5ELNS1_11target_archE942ELNS1_3gpuE9ELNS1_3repE0EEENS1_36merge_oddeven_config_static_selectorELNS0_4arch9wavefront6targetE0EEEvSF_.num_agpr, 0
	.set _ZN7rocprim17ROCPRIM_400000_NS6detail17trampoline_kernelINS0_14default_configENS1_38merge_sort_block_merge_config_selectorIhNS0_10empty_typeEEEZZNS1_27merge_sort_block_merge_implIS3_PhPS5_jNS1_19radix_merge_compareILb0ELb1EhNS0_19identity_decomposerEEEEE10hipError_tT0_T1_T2_jT3_P12ihipStream_tbPNSt15iterator_traitsISE_E10value_typeEPNSK_ISF_E10value_typeEPSG_NS1_7vsmem_tEENKUlT_SE_SF_SG_E_clIS8_S8_S9_S9_EESD_ST_SE_SF_SG_EUlST_E1_NS1_11comp_targetILNS1_3genE5ELNS1_11target_archE942ELNS1_3gpuE9ELNS1_3repE0EEENS1_36merge_oddeven_config_static_selectorELNS0_4arch9wavefront6targetE0EEEvSF_.numbered_sgpr, 0
	.set _ZN7rocprim17ROCPRIM_400000_NS6detail17trampoline_kernelINS0_14default_configENS1_38merge_sort_block_merge_config_selectorIhNS0_10empty_typeEEEZZNS1_27merge_sort_block_merge_implIS3_PhPS5_jNS1_19radix_merge_compareILb0ELb1EhNS0_19identity_decomposerEEEEE10hipError_tT0_T1_T2_jT3_P12ihipStream_tbPNSt15iterator_traitsISE_E10value_typeEPNSK_ISF_E10value_typeEPSG_NS1_7vsmem_tEENKUlT_SE_SF_SG_E_clIS8_S8_S9_S9_EESD_ST_SE_SF_SG_EUlST_E1_NS1_11comp_targetILNS1_3genE5ELNS1_11target_archE942ELNS1_3gpuE9ELNS1_3repE0EEENS1_36merge_oddeven_config_static_selectorELNS0_4arch9wavefront6targetE0EEEvSF_.num_named_barrier, 0
	.set _ZN7rocprim17ROCPRIM_400000_NS6detail17trampoline_kernelINS0_14default_configENS1_38merge_sort_block_merge_config_selectorIhNS0_10empty_typeEEEZZNS1_27merge_sort_block_merge_implIS3_PhPS5_jNS1_19radix_merge_compareILb0ELb1EhNS0_19identity_decomposerEEEEE10hipError_tT0_T1_T2_jT3_P12ihipStream_tbPNSt15iterator_traitsISE_E10value_typeEPNSK_ISF_E10value_typeEPSG_NS1_7vsmem_tEENKUlT_SE_SF_SG_E_clIS8_S8_S9_S9_EESD_ST_SE_SF_SG_EUlST_E1_NS1_11comp_targetILNS1_3genE5ELNS1_11target_archE942ELNS1_3gpuE9ELNS1_3repE0EEENS1_36merge_oddeven_config_static_selectorELNS0_4arch9wavefront6targetE0EEEvSF_.private_seg_size, 0
	.set _ZN7rocprim17ROCPRIM_400000_NS6detail17trampoline_kernelINS0_14default_configENS1_38merge_sort_block_merge_config_selectorIhNS0_10empty_typeEEEZZNS1_27merge_sort_block_merge_implIS3_PhPS5_jNS1_19radix_merge_compareILb0ELb1EhNS0_19identity_decomposerEEEEE10hipError_tT0_T1_T2_jT3_P12ihipStream_tbPNSt15iterator_traitsISE_E10value_typeEPNSK_ISF_E10value_typeEPSG_NS1_7vsmem_tEENKUlT_SE_SF_SG_E_clIS8_S8_S9_S9_EESD_ST_SE_SF_SG_EUlST_E1_NS1_11comp_targetILNS1_3genE5ELNS1_11target_archE942ELNS1_3gpuE9ELNS1_3repE0EEENS1_36merge_oddeven_config_static_selectorELNS0_4arch9wavefront6targetE0EEEvSF_.uses_vcc, 0
	.set _ZN7rocprim17ROCPRIM_400000_NS6detail17trampoline_kernelINS0_14default_configENS1_38merge_sort_block_merge_config_selectorIhNS0_10empty_typeEEEZZNS1_27merge_sort_block_merge_implIS3_PhPS5_jNS1_19radix_merge_compareILb0ELb1EhNS0_19identity_decomposerEEEEE10hipError_tT0_T1_T2_jT3_P12ihipStream_tbPNSt15iterator_traitsISE_E10value_typeEPNSK_ISF_E10value_typeEPSG_NS1_7vsmem_tEENKUlT_SE_SF_SG_E_clIS8_S8_S9_S9_EESD_ST_SE_SF_SG_EUlST_E1_NS1_11comp_targetILNS1_3genE5ELNS1_11target_archE942ELNS1_3gpuE9ELNS1_3repE0EEENS1_36merge_oddeven_config_static_selectorELNS0_4arch9wavefront6targetE0EEEvSF_.uses_flat_scratch, 0
	.set _ZN7rocprim17ROCPRIM_400000_NS6detail17trampoline_kernelINS0_14default_configENS1_38merge_sort_block_merge_config_selectorIhNS0_10empty_typeEEEZZNS1_27merge_sort_block_merge_implIS3_PhPS5_jNS1_19radix_merge_compareILb0ELb1EhNS0_19identity_decomposerEEEEE10hipError_tT0_T1_T2_jT3_P12ihipStream_tbPNSt15iterator_traitsISE_E10value_typeEPNSK_ISF_E10value_typeEPSG_NS1_7vsmem_tEENKUlT_SE_SF_SG_E_clIS8_S8_S9_S9_EESD_ST_SE_SF_SG_EUlST_E1_NS1_11comp_targetILNS1_3genE5ELNS1_11target_archE942ELNS1_3gpuE9ELNS1_3repE0EEENS1_36merge_oddeven_config_static_selectorELNS0_4arch9wavefront6targetE0EEEvSF_.has_dyn_sized_stack, 0
	.set _ZN7rocprim17ROCPRIM_400000_NS6detail17trampoline_kernelINS0_14default_configENS1_38merge_sort_block_merge_config_selectorIhNS0_10empty_typeEEEZZNS1_27merge_sort_block_merge_implIS3_PhPS5_jNS1_19radix_merge_compareILb0ELb1EhNS0_19identity_decomposerEEEEE10hipError_tT0_T1_T2_jT3_P12ihipStream_tbPNSt15iterator_traitsISE_E10value_typeEPNSK_ISF_E10value_typeEPSG_NS1_7vsmem_tEENKUlT_SE_SF_SG_E_clIS8_S8_S9_S9_EESD_ST_SE_SF_SG_EUlST_E1_NS1_11comp_targetILNS1_3genE5ELNS1_11target_archE942ELNS1_3gpuE9ELNS1_3repE0EEENS1_36merge_oddeven_config_static_selectorELNS0_4arch9wavefront6targetE0EEEvSF_.has_recursion, 0
	.set _ZN7rocprim17ROCPRIM_400000_NS6detail17trampoline_kernelINS0_14default_configENS1_38merge_sort_block_merge_config_selectorIhNS0_10empty_typeEEEZZNS1_27merge_sort_block_merge_implIS3_PhPS5_jNS1_19radix_merge_compareILb0ELb1EhNS0_19identity_decomposerEEEEE10hipError_tT0_T1_T2_jT3_P12ihipStream_tbPNSt15iterator_traitsISE_E10value_typeEPNSK_ISF_E10value_typeEPSG_NS1_7vsmem_tEENKUlT_SE_SF_SG_E_clIS8_S8_S9_S9_EESD_ST_SE_SF_SG_EUlST_E1_NS1_11comp_targetILNS1_3genE5ELNS1_11target_archE942ELNS1_3gpuE9ELNS1_3repE0EEENS1_36merge_oddeven_config_static_selectorELNS0_4arch9wavefront6targetE0EEEvSF_.has_indirect_call, 0
	.section	.AMDGPU.csdata,"",@progbits
; Kernel info:
; codeLenInByte = 0
; TotalNumSgprs: 0
; NumVgprs: 0
; ScratchSize: 0
; MemoryBound: 0
; FloatMode: 240
; IeeeMode: 1
; LDSByteSize: 0 bytes/workgroup (compile time only)
; SGPRBlocks: 0
; VGPRBlocks: 0
; NumSGPRsForWavesPerEU: 1
; NumVGPRsForWavesPerEU: 1
; NamedBarCnt: 0
; Occupancy: 16
; WaveLimiterHint : 0
; COMPUTE_PGM_RSRC2:SCRATCH_EN: 0
; COMPUTE_PGM_RSRC2:USER_SGPR: 2
; COMPUTE_PGM_RSRC2:TRAP_HANDLER: 0
; COMPUTE_PGM_RSRC2:TGID_X_EN: 1
; COMPUTE_PGM_RSRC2:TGID_Y_EN: 0
; COMPUTE_PGM_RSRC2:TGID_Z_EN: 0
; COMPUTE_PGM_RSRC2:TIDIG_COMP_CNT: 0
	.section	.text._ZN7rocprim17ROCPRIM_400000_NS6detail17trampoline_kernelINS0_14default_configENS1_38merge_sort_block_merge_config_selectorIhNS0_10empty_typeEEEZZNS1_27merge_sort_block_merge_implIS3_PhPS5_jNS1_19radix_merge_compareILb0ELb1EhNS0_19identity_decomposerEEEEE10hipError_tT0_T1_T2_jT3_P12ihipStream_tbPNSt15iterator_traitsISE_E10value_typeEPNSK_ISF_E10value_typeEPSG_NS1_7vsmem_tEENKUlT_SE_SF_SG_E_clIS8_S8_S9_S9_EESD_ST_SE_SF_SG_EUlST_E1_NS1_11comp_targetILNS1_3genE4ELNS1_11target_archE910ELNS1_3gpuE8ELNS1_3repE0EEENS1_36merge_oddeven_config_static_selectorELNS0_4arch9wavefront6targetE0EEEvSF_,"axG",@progbits,_ZN7rocprim17ROCPRIM_400000_NS6detail17trampoline_kernelINS0_14default_configENS1_38merge_sort_block_merge_config_selectorIhNS0_10empty_typeEEEZZNS1_27merge_sort_block_merge_implIS3_PhPS5_jNS1_19radix_merge_compareILb0ELb1EhNS0_19identity_decomposerEEEEE10hipError_tT0_T1_T2_jT3_P12ihipStream_tbPNSt15iterator_traitsISE_E10value_typeEPNSK_ISF_E10value_typeEPSG_NS1_7vsmem_tEENKUlT_SE_SF_SG_E_clIS8_S8_S9_S9_EESD_ST_SE_SF_SG_EUlST_E1_NS1_11comp_targetILNS1_3genE4ELNS1_11target_archE910ELNS1_3gpuE8ELNS1_3repE0EEENS1_36merge_oddeven_config_static_selectorELNS0_4arch9wavefront6targetE0EEEvSF_,comdat
	.protected	_ZN7rocprim17ROCPRIM_400000_NS6detail17trampoline_kernelINS0_14default_configENS1_38merge_sort_block_merge_config_selectorIhNS0_10empty_typeEEEZZNS1_27merge_sort_block_merge_implIS3_PhPS5_jNS1_19radix_merge_compareILb0ELb1EhNS0_19identity_decomposerEEEEE10hipError_tT0_T1_T2_jT3_P12ihipStream_tbPNSt15iterator_traitsISE_E10value_typeEPNSK_ISF_E10value_typeEPSG_NS1_7vsmem_tEENKUlT_SE_SF_SG_E_clIS8_S8_S9_S9_EESD_ST_SE_SF_SG_EUlST_E1_NS1_11comp_targetILNS1_3genE4ELNS1_11target_archE910ELNS1_3gpuE8ELNS1_3repE0EEENS1_36merge_oddeven_config_static_selectorELNS0_4arch9wavefront6targetE0EEEvSF_ ; -- Begin function _ZN7rocprim17ROCPRIM_400000_NS6detail17trampoline_kernelINS0_14default_configENS1_38merge_sort_block_merge_config_selectorIhNS0_10empty_typeEEEZZNS1_27merge_sort_block_merge_implIS3_PhPS5_jNS1_19radix_merge_compareILb0ELb1EhNS0_19identity_decomposerEEEEE10hipError_tT0_T1_T2_jT3_P12ihipStream_tbPNSt15iterator_traitsISE_E10value_typeEPNSK_ISF_E10value_typeEPSG_NS1_7vsmem_tEENKUlT_SE_SF_SG_E_clIS8_S8_S9_S9_EESD_ST_SE_SF_SG_EUlST_E1_NS1_11comp_targetILNS1_3genE4ELNS1_11target_archE910ELNS1_3gpuE8ELNS1_3repE0EEENS1_36merge_oddeven_config_static_selectorELNS0_4arch9wavefront6targetE0EEEvSF_
	.globl	_ZN7rocprim17ROCPRIM_400000_NS6detail17trampoline_kernelINS0_14default_configENS1_38merge_sort_block_merge_config_selectorIhNS0_10empty_typeEEEZZNS1_27merge_sort_block_merge_implIS3_PhPS5_jNS1_19radix_merge_compareILb0ELb1EhNS0_19identity_decomposerEEEEE10hipError_tT0_T1_T2_jT3_P12ihipStream_tbPNSt15iterator_traitsISE_E10value_typeEPNSK_ISF_E10value_typeEPSG_NS1_7vsmem_tEENKUlT_SE_SF_SG_E_clIS8_S8_S9_S9_EESD_ST_SE_SF_SG_EUlST_E1_NS1_11comp_targetILNS1_3genE4ELNS1_11target_archE910ELNS1_3gpuE8ELNS1_3repE0EEENS1_36merge_oddeven_config_static_selectorELNS0_4arch9wavefront6targetE0EEEvSF_
	.p2align	8
	.type	_ZN7rocprim17ROCPRIM_400000_NS6detail17trampoline_kernelINS0_14default_configENS1_38merge_sort_block_merge_config_selectorIhNS0_10empty_typeEEEZZNS1_27merge_sort_block_merge_implIS3_PhPS5_jNS1_19radix_merge_compareILb0ELb1EhNS0_19identity_decomposerEEEEE10hipError_tT0_T1_T2_jT3_P12ihipStream_tbPNSt15iterator_traitsISE_E10value_typeEPNSK_ISF_E10value_typeEPSG_NS1_7vsmem_tEENKUlT_SE_SF_SG_E_clIS8_S8_S9_S9_EESD_ST_SE_SF_SG_EUlST_E1_NS1_11comp_targetILNS1_3genE4ELNS1_11target_archE910ELNS1_3gpuE8ELNS1_3repE0EEENS1_36merge_oddeven_config_static_selectorELNS0_4arch9wavefront6targetE0EEEvSF_,@function
_ZN7rocprim17ROCPRIM_400000_NS6detail17trampoline_kernelINS0_14default_configENS1_38merge_sort_block_merge_config_selectorIhNS0_10empty_typeEEEZZNS1_27merge_sort_block_merge_implIS3_PhPS5_jNS1_19radix_merge_compareILb0ELb1EhNS0_19identity_decomposerEEEEE10hipError_tT0_T1_T2_jT3_P12ihipStream_tbPNSt15iterator_traitsISE_E10value_typeEPNSK_ISF_E10value_typeEPSG_NS1_7vsmem_tEENKUlT_SE_SF_SG_E_clIS8_S8_S9_S9_EESD_ST_SE_SF_SG_EUlST_E1_NS1_11comp_targetILNS1_3genE4ELNS1_11target_archE910ELNS1_3gpuE8ELNS1_3repE0EEENS1_36merge_oddeven_config_static_selectorELNS0_4arch9wavefront6targetE0EEEvSF_: ; @_ZN7rocprim17ROCPRIM_400000_NS6detail17trampoline_kernelINS0_14default_configENS1_38merge_sort_block_merge_config_selectorIhNS0_10empty_typeEEEZZNS1_27merge_sort_block_merge_implIS3_PhPS5_jNS1_19radix_merge_compareILb0ELb1EhNS0_19identity_decomposerEEEEE10hipError_tT0_T1_T2_jT3_P12ihipStream_tbPNSt15iterator_traitsISE_E10value_typeEPNSK_ISF_E10value_typeEPSG_NS1_7vsmem_tEENKUlT_SE_SF_SG_E_clIS8_S8_S9_S9_EESD_ST_SE_SF_SG_EUlST_E1_NS1_11comp_targetILNS1_3genE4ELNS1_11target_archE910ELNS1_3gpuE8ELNS1_3repE0EEENS1_36merge_oddeven_config_static_selectorELNS0_4arch9wavefront6targetE0EEEvSF_
; %bb.0:
	.section	.rodata,"a",@progbits
	.p2align	6, 0x0
	.amdhsa_kernel _ZN7rocprim17ROCPRIM_400000_NS6detail17trampoline_kernelINS0_14default_configENS1_38merge_sort_block_merge_config_selectorIhNS0_10empty_typeEEEZZNS1_27merge_sort_block_merge_implIS3_PhPS5_jNS1_19radix_merge_compareILb0ELb1EhNS0_19identity_decomposerEEEEE10hipError_tT0_T1_T2_jT3_P12ihipStream_tbPNSt15iterator_traitsISE_E10value_typeEPNSK_ISF_E10value_typeEPSG_NS1_7vsmem_tEENKUlT_SE_SF_SG_E_clIS8_S8_S9_S9_EESD_ST_SE_SF_SG_EUlST_E1_NS1_11comp_targetILNS1_3genE4ELNS1_11target_archE910ELNS1_3gpuE8ELNS1_3repE0EEENS1_36merge_oddeven_config_static_selectorELNS0_4arch9wavefront6targetE0EEEvSF_
		.amdhsa_group_segment_fixed_size 0
		.amdhsa_private_segment_fixed_size 0
		.amdhsa_kernarg_size 48
		.amdhsa_user_sgpr_count 2
		.amdhsa_user_sgpr_dispatch_ptr 0
		.amdhsa_user_sgpr_queue_ptr 0
		.amdhsa_user_sgpr_kernarg_segment_ptr 1
		.amdhsa_user_sgpr_dispatch_id 0
		.amdhsa_user_sgpr_kernarg_preload_length 0
		.amdhsa_user_sgpr_kernarg_preload_offset 0
		.amdhsa_user_sgpr_private_segment_size 0
		.amdhsa_wavefront_size32 1
		.amdhsa_uses_dynamic_stack 0
		.amdhsa_enable_private_segment 0
		.amdhsa_system_sgpr_workgroup_id_x 1
		.amdhsa_system_sgpr_workgroup_id_y 0
		.amdhsa_system_sgpr_workgroup_id_z 0
		.amdhsa_system_sgpr_workgroup_info 0
		.amdhsa_system_vgpr_workitem_id 0
		.amdhsa_next_free_vgpr 1
		.amdhsa_next_free_sgpr 1
		.amdhsa_named_barrier_count 0
		.amdhsa_reserve_vcc 0
		.amdhsa_float_round_mode_32 0
		.amdhsa_float_round_mode_16_64 0
		.amdhsa_float_denorm_mode_32 3
		.amdhsa_float_denorm_mode_16_64 3
		.amdhsa_fp16_overflow 0
		.amdhsa_memory_ordered 1
		.amdhsa_forward_progress 1
		.amdhsa_inst_pref_size 0
		.amdhsa_round_robin_scheduling 0
		.amdhsa_exception_fp_ieee_invalid_op 0
		.amdhsa_exception_fp_denorm_src 0
		.amdhsa_exception_fp_ieee_div_zero 0
		.amdhsa_exception_fp_ieee_overflow 0
		.amdhsa_exception_fp_ieee_underflow 0
		.amdhsa_exception_fp_ieee_inexact 0
		.amdhsa_exception_int_div_zero 0
	.end_amdhsa_kernel
	.section	.text._ZN7rocprim17ROCPRIM_400000_NS6detail17trampoline_kernelINS0_14default_configENS1_38merge_sort_block_merge_config_selectorIhNS0_10empty_typeEEEZZNS1_27merge_sort_block_merge_implIS3_PhPS5_jNS1_19radix_merge_compareILb0ELb1EhNS0_19identity_decomposerEEEEE10hipError_tT0_T1_T2_jT3_P12ihipStream_tbPNSt15iterator_traitsISE_E10value_typeEPNSK_ISF_E10value_typeEPSG_NS1_7vsmem_tEENKUlT_SE_SF_SG_E_clIS8_S8_S9_S9_EESD_ST_SE_SF_SG_EUlST_E1_NS1_11comp_targetILNS1_3genE4ELNS1_11target_archE910ELNS1_3gpuE8ELNS1_3repE0EEENS1_36merge_oddeven_config_static_selectorELNS0_4arch9wavefront6targetE0EEEvSF_,"axG",@progbits,_ZN7rocprim17ROCPRIM_400000_NS6detail17trampoline_kernelINS0_14default_configENS1_38merge_sort_block_merge_config_selectorIhNS0_10empty_typeEEEZZNS1_27merge_sort_block_merge_implIS3_PhPS5_jNS1_19radix_merge_compareILb0ELb1EhNS0_19identity_decomposerEEEEE10hipError_tT0_T1_T2_jT3_P12ihipStream_tbPNSt15iterator_traitsISE_E10value_typeEPNSK_ISF_E10value_typeEPSG_NS1_7vsmem_tEENKUlT_SE_SF_SG_E_clIS8_S8_S9_S9_EESD_ST_SE_SF_SG_EUlST_E1_NS1_11comp_targetILNS1_3genE4ELNS1_11target_archE910ELNS1_3gpuE8ELNS1_3repE0EEENS1_36merge_oddeven_config_static_selectorELNS0_4arch9wavefront6targetE0EEEvSF_,comdat
.Lfunc_end196:
	.size	_ZN7rocprim17ROCPRIM_400000_NS6detail17trampoline_kernelINS0_14default_configENS1_38merge_sort_block_merge_config_selectorIhNS0_10empty_typeEEEZZNS1_27merge_sort_block_merge_implIS3_PhPS5_jNS1_19radix_merge_compareILb0ELb1EhNS0_19identity_decomposerEEEEE10hipError_tT0_T1_T2_jT3_P12ihipStream_tbPNSt15iterator_traitsISE_E10value_typeEPNSK_ISF_E10value_typeEPSG_NS1_7vsmem_tEENKUlT_SE_SF_SG_E_clIS8_S8_S9_S9_EESD_ST_SE_SF_SG_EUlST_E1_NS1_11comp_targetILNS1_3genE4ELNS1_11target_archE910ELNS1_3gpuE8ELNS1_3repE0EEENS1_36merge_oddeven_config_static_selectorELNS0_4arch9wavefront6targetE0EEEvSF_, .Lfunc_end196-_ZN7rocprim17ROCPRIM_400000_NS6detail17trampoline_kernelINS0_14default_configENS1_38merge_sort_block_merge_config_selectorIhNS0_10empty_typeEEEZZNS1_27merge_sort_block_merge_implIS3_PhPS5_jNS1_19radix_merge_compareILb0ELb1EhNS0_19identity_decomposerEEEEE10hipError_tT0_T1_T2_jT3_P12ihipStream_tbPNSt15iterator_traitsISE_E10value_typeEPNSK_ISF_E10value_typeEPSG_NS1_7vsmem_tEENKUlT_SE_SF_SG_E_clIS8_S8_S9_S9_EESD_ST_SE_SF_SG_EUlST_E1_NS1_11comp_targetILNS1_3genE4ELNS1_11target_archE910ELNS1_3gpuE8ELNS1_3repE0EEENS1_36merge_oddeven_config_static_selectorELNS0_4arch9wavefront6targetE0EEEvSF_
                                        ; -- End function
	.set _ZN7rocprim17ROCPRIM_400000_NS6detail17trampoline_kernelINS0_14default_configENS1_38merge_sort_block_merge_config_selectorIhNS0_10empty_typeEEEZZNS1_27merge_sort_block_merge_implIS3_PhPS5_jNS1_19radix_merge_compareILb0ELb1EhNS0_19identity_decomposerEEEEE10hipError_tT0_T1_T2_jT3_P12ihipStream_tbPNSt15iterator_traitsISE_E10value_typeEPNSK_ISF_E10value_typeEPSG_NS1_7vsmem_tEENKUlT_SE_SF_SG_E_clIS8_S8_S9_S9_EESD_ST_SE_SF_SG_EUlST_E1_NS1_11comp_targetILNS1_3genE4ELNS1_11target_archE910ELNS1_3gpuE8ELNS1_3repE0EEENS1_36merge_oddeven_config_static_selectorELNS0_4arch9wavefront6targetE0EEEvSF_.num_vgpr, 0
	.set _ZN7rocprim17ROCPRIM_400000_NS6detail17trampoline_kernelINS0_14default_configENS1_38merge_sort_block_merge_config_selectorIhNS0_10empty_typeEEEZZNS1_27merge_sort_block_merge_implIS3_PhPS5_jNS1_19radix_merge_compareILb0ELb1EhNS0_19identity_decomposerEEEEE10hipError_tT0_T1_T2_jT3_P12ihipStream_tbPNSt15iterator_traitsISE_E10value_typeEPNSK_ISF_E10value_typeEPSG_NS1_7vsmem_tEENKUlT_SE_SF_SG_E_clIS8_S8_S9_S9_EESD_ST_SE_SF_SG_EUlST_E1_NS1_11comp_targetILNS1_3genE4ELNS1_11target_archE910ELNS1_3gpuE8ELNS1_3repE0EEENS1_36merge_oddeven_config_static_selectorELNS0_4arch9wavefront6targetE0EEEvSF_.num_agpr, 0
	.set _ZN7rocprim17ROCPRIM_400000_NS6detail17trampoline_kernelINS0_14default_configENS1_38merge_sort_block_merge_config_selectorIhNS0_10empty_typeEEEZZNS1_27merge_sort_block_merge_implIS3_PhPS5_jNS1_19radix_merge_compareILb0ELb1EhNS0_19identity_decomposerEEEEE10hipError_tT0_T1_T2_jT3_P12ihipStream_tbPNSt15iterator_traitsISE_E10value_typeEPNSK_ISF_E10value_typeEPSG_NS1_7vsmem_tEENKUlT_SE_SF_SG_E_clIS8_S8_S9_S9_EESD_ST_SE_SF_SG_EUlST_E1_NS1_11comp_targetILNS1_3genE4ELNS1_11target_archE910ELNS1_3gpuE8ELNS1_3repE0EEENS1_36merge_oddeven_config_static_selectorELNS0_4arch9wavefront6targetE0EEEvSF_.numbered_sgpr, 0
	.set _ZN7rocprim17ROCPRIM_400000_NS6detail17trampoline_kernelINS0_14default_configENS1_38merge_sort_block_merge_config_selectorIhNS0_10empty_typeEEEZZNS1_27merge_sort_block_merge_implIS3_PhPS5_jNS1_19radix_merge_compareILb0ELb1EhNS0_19identity_decomposerEEEEE10hipError_tT0_T1_T2_jT3_P12ihipStream_tbPNSt15iterator_traitsISE_E10value_typeEPNSK_ISF_E10value_typeEPSG_NS1_7vsmem_tEENKUlT_SE_SF_SG_E_clIS8_S8_S9_S9_EESD_ST_SE_SF_SG_EUlST_E1_NS1_11comp_targetILNS1_3genE4ELNS1_11target_archE910ELNS1_3gpuE8ELNS1_3repE0EEENS1_36merge_oddeven_config_static_selectorELNS0_4arch9wavefront6targetE0EEEvSF_.num_named_barrier, 0
	.set _ZN7rocprim17ROCPRIM_400000_NS6detail17trampoline_kernelINS0_14default_configENS1_38merge_sort_block_merge_config_selectorIhNS0_10empty_typeEEEZZNS1_27merge_sort_block_merge_implIS3_PhPS5_jNS1_19radix_merge_compareILb0ELb1EhNS0_19identity_decomposerEEEEE10hipError_tT0_T1_T2_jT3_P12ihipStream_tbPNSt15iterator_traitsISE_E10value_typeEPNSK_ISF_E10value_typeEPSG_NS1_7vsmem_tEENKUlT_SE_SF_SG_E_clIS8_S8_S9_S9_EESD_ST_SE_SF_SG_EUlST_E1_NS1_11comp_targetILNS1_3genE4ELNS1_11target_archE910ELNS1_3gpuE8ELNS1_3repE0EEENS1_36merge_oddeven_config_static_selectorELNS0_4arch9wavefront6targetE0EEEvSF_.private_seg_size, 0
	.set _ZN7rocprim17ROCPRIM_400000_NS6detail17trampoline_kernelINS0_14default_configENS1_38merge_sort_block_merge_config_selectorIhNS0_10empty_typeEEEZZNS1_27merge_sort_block_merge_implIS3_PhPS5_jNS1_19radix_merge_compareILb0ELb1EhNS0_19identity_decomposerEEEEE10hipError_tT0_T1_T2_jT3_P12ihipStream_tbPNSt15iterator_traitsISE_E10value_typeEPNSK_ISF_E10value_typeEPSG_NS1_7vsmem_tEENKUlT_SE_SF_SG_E_clIS8_S8_S9_S9_EESD_ST_SE_SF_SG_EUlST_E1_NS1_11comp_targetILNS1_3genE4ELNS1_11target_archE910ELNS1_3gpuE8ELNS1_3repE0EEENS1_36merge_oddeven_config_static_selectorELNS0_4arch9wavefront6targetE0EEEvSF_.uses_vcc, 0
	.set _ZN7rocprim17ROCPRIM_400000_NS6detail17trampoline_kernelINS0_14default_configENS1_38merge_sort_block_merge_config_selectorIhNS0_10empty_typeEEEZZNS1_27merge_sort_block_merge_implIS3_PhPS5_jNS1_19radix_merge_compareILb0ELb1EhNS0_19identity_decomposerEEEEE10hipError_tT0_T1_T2_jT3_P12ihipStream_tbPNSt15iterator_traitsISE_E10value_typeEPNSK_ISF_E10value_typeEPSG_NS1_7vsmem_tEENKUlT_SE_SF_SG_E_clIS8_S8_S9_S9_EESD_ST_SE_SF_SG_EUlST_E1_NS1_11comp_targetILNS1_3genE4ELNS1_11target_archE910ELNS1_3gpuE8ELNS1_3repE0EEENS1_36merge_oddeven_config_static_selectorELNS0_4arch9wavefront6targetE0EEEvSF_.uses_flat_scratch, 0
	.set _ZN7rocprim17ROCPRIM_400000_NS6detail17trampoline_kernelINS0_14default_configENS1_38merge_sort_block_merge_config_selectorIhNS0_10empty_typeEEEZZNS1_27merge_sort_block_merge_implIS3_PhPS5_jNS1_19radix_merge_compareILb0ELb1EhNS0_19identity_decomposerEEEEE10hipError_tT0_T1_T2_jT3_P12ihipStream_tbPNSt15iterator_traitsISE_E10value_typeEPNSK_ISF_E10value_typeEPSG_NS1_7vsmem_tEENKUlT_SE_SF_SG_E_clIS8_S8_S9_S9_EESD_ST_SE_SF_SG_EUlST_E1_NS1_11comp_targetILNS1_3genE4ELNS1_11target_archE910ELNS1_3gpuE8ELNS1_3repE0EEENS1_36merge_oddeven_config_static_selectorELNS0_4arch9wavefront6targetE0EEEvSF_.has_dyn_sized_stack, 0
	.set _ZN7rocprim17ROCPRIM_400000_NS6detail17trampoline_kernelINS0_14default_configENS1_38merge_sort_block_merge_config_selectorIhNS0_10empty_typeEEEZZNS1_27merge_sort_block_merge_implIS3_PhPS5_jNS1_19radix_merge_compareILb0ELb1EhNS0_19identity_decomposerEEEEE10hipError_tT0_T1_T2_jT3_P12ihipStream_tbPNSt15iterator_traitsISE_E10value_typeEPNSK_ISF_E10value_typeEPSG_NS1_7vsmem_tEENKUlT_SE_SF_SG_E_clIS8_S8_S9_S9_EESD_ST_SE_SF_SG_EUlST_E1_NS1_11comp_targetILNS1_3genE4ELNS1_11target_archE910ELNS1_3gpuE8ELNS1_3repE0EEENS1_36merge_oddeven_config_static_selectorELNS0_4arch9wavefront6targetE0EEEvSF_.has_recursion, 0
	.set _ZN7rocprim17ROCPRIM_400000_NS6detail17trampoline_kernelINS0_14default_configENS1_38merge_sort_block_merge_config_selectorIhNS0_10empty_typeEEEZZNS1_27merge_sort_block_merge_implIS3_PhPS5_jNS1_19radix_merge_compareILb0ELb1EhNS0_19identity_decomposerEEEEE10hipError_tT0_T1_T2_jT3_P12ihipStream_tbPNSt15iterator_traitsISE_E10value_typeEPNSK_ISF_E10value_typeEPSG_NS1_7vsmem_tEENKUlT_SE_SF_SG_E_clIS8_S8_S9_S9_EESD_ST_SE_SF_SG_EUlST_E1_NS1_11comp_targetILNS1_3genE4ELNS1_11target_archE910ELNS1_3gpuE8ELNS1_3repE0EEENS1_36merge_oddeven_config_static_selectorELNS0_4arch9wavefront6targetE0EEEvSF_.has_indirect_call, 0
	.section	.AMDGPU.csdata,"",@progbits
; Kernel info:
; codeLenInByte = 0
; TotalNumSgprs: 0
; NumVgprs: 0
; ScratchSize: 0
; MemoryBound: 0
; FloatMode: 240
; IeeeMode: 1
; LDSByteSize: 0 bytes/workgroup (compile time only)
; SGPRBlocks: 0
; VGPRBlocks: 0
; NumSGPRsForWavesPerEU: 1
; NumVGPRsForWavesPerEU: 1
; NamedBarCnt: 0
; Occupancy: 16
; WaveLimiterHint : 0
; COMPUTE_PGM_RSRC2:SCRATCH_EN: 0
; COMPUTE_PGM_RSRC2:USER_SGPR: 2
; COMPUTE_PGM_RSRC2:TRAP_HANDLER: 0
; COMPUTE_PGM_RSRC2:TGID_X_EN: 1
; COMPUTE_PGM_RSRC2:TGID_Y_EN: 0
; COMPUTE_PGM_RSRC2:TGID_Z_EN: 0
; COMPUTE_PGM_RSRC2:TIDIG_COMP_CNT: 0
	.section	.text._ZN7rocprim17ROCPRIM_400000_NS6detail17trampoline_kernelINS0_14default_configENS1_38merge_sort_block_merge_config_selectorIhNS0_10empty_typeEEEZZNS1_27merge_sort_block_merge_implIS3_PhPS5_jNS1_19radix_merge_compareILb0ELb1EhNS0_19identity_decomposerEEEEE10hipError_tT0_T1_T2_jT3_P12ihipStream_tbPNSt15iterator_traitsISE_E10value_typeEPNSK_ISF_E10value_typeEPSG_NS1_7vsmem_tEENKUlT_SE_SF_SG_E_clIS8_S8_S9_S9_EESD_ST_SE_SF_SG_EUlST_E1_NS1_11comp_targetILNS1_3genE3ELNS1_11target_archE908ELNS1_3gpuE7ELNS1_3repE0EEENS1_36merge_oddeven_config_static_selectorELNS0_4arch9wavefront6targetE0EEEvSF_,"axG",@progbits,_ZN7rocprim17ROCPRIM_400000_NS6detail17trampoline_kernelINS0_14default_configENS1_38merge_sort_block_merge_config_selectorIhNS0_10empty_typeEEEZZNS1_27merge_sort_block_merge_implIS3_PhPS5_jNS1_19radix_merge_compareILb0ELb1EhNS0_19identity_decomposerEEEEE10hipError_tT0_T1_T2_jT3_P12ihipStream_tbPNSt15iterator_traitsISE_E10value_typeEPNSK_ISF_E10value_typeEPSG_NS1_7vsmem_tEENKUlT_SE_SF_SG_E_clIS8_S8_S9_S9_EESD_ST_SE_SF_SG_EUlST_E1_NS1_11comp_targetILNS1_3genE3ELNS1_11target_archE908ELNS1_3gpuE7ELNS1_3repE0EEENS1_36merge_oddeven_config_static_selectorELNS0_4arch9wavefront6targetE0EEEvSF_,comdat
	.protected	_ZN7rocprim17ROCPRIM_400000_NS6detail17trampoline_kernelINS0_14default_configENS1_38merge_sort_block_merge_config_selectorIhNS0_10empty_typeEEEZZNS1_27merge_sort_block_merge_implIS3_PhPS5_jNS1_19radix_merge_compareILb0ELb1EhNS0_19identity_decomposerEEEEE10hipError_tT0_T1_T2_jT3_P12ihipStream_tbPNSt15iterator_traitsISE_E10value_typeEPNSK_ISF_E10value_typeEPSG_NS1_7vsmem_tEENKUlT_SE_SF_SG_E_clIS8_S8_S9_S9_EESD_ST_SE_SF_SG_EUlST_E1_NS1_11comp_targetILNS1_3genE3ELNS1_11target_archE908ELNS1_3gpuE7ELNS1_3repE0EEENS1_36merge_oddeven_config_static_selectorELNS0_4arch9wavefront6targetE0EEEvSF_ ; -- Begin function _ZN7rocprim17ROCPRIM_400000_NS6detail17trampoline_kernelINS0_14default_configENS1_38merge_sort_block_merge_config_selectorIhNS0_10empty_typeEEEZZNS1_27merge_sort_block_merge_implIS3_PhPS5_jNS1_19radix_merge_compareILb0ELb1EhNS0_19identity_decomposerEEEEE10hipError_tT0_T1_T2_jT3_P12ihipStream_tbPNSt15iterator_traitsISE_E10value_typeEPNSK_ISF_E10value_typeEPSG_NS1_7vsmem_tEENKUlT_SE_SF_SG_E_clIS8_S8_S9_S9_EESD_ST_SE_SF_SG_EUlST_E1_NS1_11comp_targetILNS1_3genE3ELNS1_11target_archE908ELNS1_3gpuE7ELNS1_3repE0EEENS1_36merge_oddeven_config_static_selectorELNS0_4arch9wavefront6targetE0EEEvSF_
	.globl	_ZN7rocprim17ROCPRIM_400000_NS6detail17trampoline_kernelINS0_14default_configENS1_38merge_sort_block_merge_config_selectorIhNS0_10empty_typeEEEZZNS1_27merge_sort_block_merge_implIS3_PhPS5_jNS1_19radix_merge_compareILb0ELb1EhNS0_19identity_decomposerEEEEE10hipError_tT0_T1_T2_jT3_P12ihipStream_tbPNSt15iterator_traitsISE_E10value_typeEPNSK_ISF_E10value_typeEPSG_NS1_7vsmem_tEENKUlT_SE_SF_SG_E_clIS8_S8_S9_S9_EESD_ST_SE_SF_SG_EUlST_E1_NS1_11comp_targetILNS1_3genE3ELNS1_11target_archE908ELNS1_3gpuE7ELNS1_3repE0EEENS1_36merge_oddeven_config_static_selectorELNS0_4arch9wavefront6targetE0EEEvSF_
	.p2align	8
	.type	_ZN7rocprim17ROCPRIM_400000_NS6detail17trampoline_kernelINS0_14default_configENS1_38merge_sort_block_merge_config_selectorIhNS0_10empty_typeEEEZZNS1_27merge_sort_block_merge_implIS3_PhPS5_jNS1_19radix_merge_compareILb0ELb1EhNS0_19identity_decomposerEEEEE10hipError_tT0_T1_T2_jT3_P12ihipStream_tbPNSt15iterator_traitsISE_E10value_typeEPNSK_ISF_E10value_typeEPSG_NS1_7vsmem_tEENKUlT_SE_SF_SG_E_clIS8_S8_S9_S9_EESD_ST_SE_SF_SG_EUlST_E1_NS1_11comp_targetILNS1_3genE3ELNS1_11target_archE908ELNS1_3gpuE7ELNS1_3repE0EEENS1_36merge_oddeven_config_static_selectorELNS0_4arch9wavefront6targetE0EEEvSF_,@function
_ZN7rocprim17ROCPRIM_400000_NS6detail17trampoline_kernelINS0_14default_configENS1_38merge_sort_block_merge_config_selectorIhNS0_10empty_typeEEEZZNS1_27merge_sort_block_merge_implIS3_PhPS5_jNS1_19radix_merge_compareILb0ELb1EhNS0_19identity_decomposerEEEEE10hipError_tT0_T1_T2_jT3_P12ihipStream_tbPNSt15iterator_traitsISE_E10value_typeEPNSK_ISF_E10value_typeEPSG_NS1_7vsmem_tEENKUlT_SE_SF_SG_E_clIS8_S8_S9_S9_EESD_ST_SE_SF_SG_EUlST_E1_NS1_11comp_targetILNS1_3genE3ELNS1_11target_archE908ELNS1_3gpuE7ELNS1_3repE0EEENS1_36merge_oddeven_config_static_selectorELNS0_4arch9wavefront6targetE0EEEvSF_: ; @_ZN7rocprim17ROCPRIM_400000_NS6detail17trampoline_kernelINS0_14default_configENS1_38merge_sort_block_merge_config_selectorIhNS0_10empty_typeEEEZZNS1_27merge_sort_block_merge_implIS3_PhPS5_jNS1_19radix_merge_compareILb0ELb1EhNS0_19identity_decomposerEEEEE10hipError_tT0_T1_T2_jT3_P12ihipStream_tbPNSt15iterator_traitsISE_E10value_typeEPNSK_ISF_E10value_typeEPSG_NS1_7vsmem_tEENKUlT_SE_SF_SG_E_clIS8_S8_S9_S9_EESD_ST_SE_SF_SG_EUlST_E1_NS1_11comp_targetILNS1_3genE3ELNS1_11target_archE908ELNS1_3gpuE7ELNS1_3repE0EEENS1_36merge_oddeven_config_static_selectorELNS0_4arch9wavefront6targetE0EEEvSF_
; %bb.0:
	.section	.rodata,"a",@progbits
	.p2align	6, 0x0
	.amdhsa_kernel _ZN7rocprim17ROCPRIM_400000_NS6detail17trampoline_kernelINS0_14default_configENS1_38merge_sort_block_merge_config_selectorIhNS0_10empty_typeEEEZZNS1_27merge_sort_block_merge_implIS3_PhPS5_jNS1_19radix_merge_compareILb0ELb1EhNS0_19identity_decomposerEEEEE10hipError_tT0_T1_T2_jT3_P12ihipStream_tbPNSt15iterator_traitsISE_E10value_typeEPNSK_ISF_E10value_typeEPSG_NS1_7vsmem_tEENKUlT_SE_SF_SG_E_clIS8_S8_S9_S9_EESD_ST_SE_SF_SG_EUlST_E1_NS1_11comp_targetILNS1_3genE3ELNS1_11target_archE908ELNS1_3gpuE7ELNS1_3repE0EEENS1_36merge_oddeven_config_static_selectorELNS0_4arch9wavefront6targetE0EEEvSF_
		.amdhsa_group_segment_fixed_size 0
		.amdhsa_private_segment_fixed_size 0
		.amdhsa_kernarg_size 48
		.amdhsa_user_sgpr_count 2
		.amdhsa_user_sgpr_dispatch_ptr 0
		.amdhsa_user_sgpr_queue_ptr 0
		.amdhsa_user_sgpr_kernarg_segment_ptr 1
		.amdhsa_user_sgpr_dispatch_id 0
		.amdhsa_user_sgpr_kernarg_preload_length 0
		.amdhsa_user_sgpr_kernarg_preload_offset 0
		.amdhsa_user_sgpr_private_segment_size 0
		.amdhsa_wavefront_size32 1
		.amdhsa_uses_dynamic_stack 0
		.amdhsa_enable_private_segment 0
		.amdhsa_system_sgpr_workgroup_id_x 1
		.amdhsa_system_sgpr_workgroup_id_y 0
		.amdhsa_system_sgpr_workgroup_id_z 0
		.amdhsa_system_sgpr_workgroup_info 0
		.amdhsa_system_vgpr_workitem_id 0
		.amdhsa_next_free_vgpr 1
		.amdhsa_next_free_sgpr 1
		.amdhsa_named_barrier_count 0
		.amdhsa_reserve_vcc 0
		.amdhsa_float_round_mode_32 0
		.amdhsa_float_round_mode_16_64 0
		.amdhsa_float_denorm_mode_32 3
		.amdhsa_float_denorm_mode_16_64 3
		.amdhsa_fp16_overflow 0
		.amdhsa_memory_ordered 1
		.amdhsa_forward_progress 1
		.amdhsa_inst_pref_size 0
		.amdhsa_round_robin_scheduling 0
		.amdhsa_exception_fp_ieee_invalid_op 0
		.amdhsa_exception_fp_denorm_src 0
		.amdhsa_exception_fp_ieee_div_zero 0
		.amdhsa_exception_fp_ieee_overflow 0
		.amdhsa_exception_fp_ieee_underflow 0
		.amdhsa_exception_fp_ieee_inexact 0
		.amdhsa_exception_int_div_zero 0
	.end_amdhsa_kernel
	.section	.text._ZN7rocprim17ROCPRIM_400000_NS6detail17trampoline_kernelINS0_14default_configENS1_38merge_sort_block_merge_config_selectorIhNS0_10empty_typeEEEZZNS1_27merge_sort_block_merge_implIS3_PhPS5_jNS1_19radix_merge_compareILb0ELb1EhNS0_19identity_decomposerEEEEE10hipError_tT0_T1_T2_jT3_P12ihipStream_tbPNSt15iterator_traitsISE_E10value_typeEPNSK_ISF_E10value_typeEPSG_NS1_7vsmem_tEENKUlT_SE_SF_SG_E_clIS8_S8_S9_S9_EESD_ST_SE_SF_SG_EUlST_E1_NS1_11comp_targetILNS1_3genE3ELNS1_11target_archE908ELNS1_3gpuE7ELNS1_3repE0EEENS1_36merge_oddeven_config_static_selectorELNS0_4arch9wavefront6targetE0EEEvSF_,"axG",@progbits,_ZN7rocprim17ROCPRIM_400000_NS6detail17trampoline_kernelINS0_14default_configENS1_38merge_sort_block_merge_config_selectorIhNS0_10empty_typeEEEZZNS1_27merge_sort_block_merge_implIS3_PhPS5_jNS1_19radix_merge_compareILb0ELb1EhNS0_19identity_decomposerEEEEE10hipError_tT0_T1_T2_jT3_P12ihipStream_tbPNSt15iterator_traitsISE_E10value_typeEPNSK_ISF_E10value_typeEPSG_NS1_7vsmem_tEENKUlT_SE_SF_SG_E_clIS8_S8_S9_S9_EESD_ST_SE_SF_SG_EUlST_E1_NS1_11comp_targetILNS1_3genE3ELNS1_11target_archE908ELNS1_3gpuE7ELNS1_3repE0EEENS1_36merge_oddeven_config_static_selectorELNS0_4arch9wavefront6targetE0EEEvSF_,comdat
.Lfunc_end197:
	.size	_ZN7rocprim17ROCPRIM_400000_NS6detail17trampoline_kernelINS0_14default_configENS1_38merge_sort_block_merge_config_selectorIhNS0_10empty_typeEEEZZNS1_27merge_sort_block_merge_implIS3_PhPS5_jNS1_19radix_merge_compareILb0ELb1EhNS0_19identity_decomposerEEEEE10hipError_tT0_T1_T2_jT3_P12ihipStream_tbPNSt15iterator_traitsISE_E10value_typeEPNSK_ISF_E10value_typeEPSG_NS1_7vsmem_tEENKUlT_SE_SF_SG_E_clIS8_S8_S9_S9_EESD_ST_SE_SF_SG_EUlST_E1_NS1_11comp_targetILNS1_3genE3ELNS1_11target_archE908ELNS1_3gpuE7ELNS1_3repE0EEENS1_36merge_oddeven_config_static_selectorELNS0_4arch9wavefront6targetE0EEEvSF_, .Lfunc_end197-_ZN7rocprim17ROCPRIM_400000_NS6detail17trampoline_kernelINS0_14default_configENS1_38merge_sort_block_merge_config_selectorIhNS0_10empty_typeEEEZZNS1_27merge_sort_block_merge_implIS3_PhPS5_jNS1_19radix_merge_compareILb0ELb1EhNS0_19identity_decomposerEEEEE10hipError_tT0_T1_T2_jT3_P12ihipStream_tbPNSt15iterator_traitsISE_E10value_typeEPNSK_ISF_E10value_typeEPSG_NS1_7vsmem_tEENKUlT_SE_SF_SG_E_clIS8_S8_S9_S9_EESD_ST_SE_SF_SG_EUlST_E1_NS1_11comp_targetILNS1_3genE3ELNS1_11target_archE908ELNS1_3gpuE7ELNS1_3repE0EEENS1_36merge_oddeven_config_static_selectorELNS0_4arch9wavefront6targetE0EEEvSF_
                                        ; -- End function
	.set _ZN7rocprim17ROCPRIM_400000_NS6detail17trampoline_kernelINS0_14default_configENS1_38merge_sort_block_merge_config_selectorIhNS0_10empty_typeEEEZZNS1_27merge_sort_block_merge_implIS3_PhPS5_jNS1_19radix_merge_compareILb0ELb1EhNS0_19identity_decomposerEEEEE10hipError_tT0_T1_T2_jT3_P12ihipStream_tbPNSt15iterator_traitsISE_E10value_typeEPNSK_ISF_E10value_typeEPSG_NS1_7vsmem_tEENKUlT_SE_SF_SG_E_clIS8_S8_S9_S9_EESD_ST_SE_SF_SG_EUlST_E1_NS1_11comp_targetILNS1_3genE3ELNS1_11target_archE908ELNS1_3gpuE7ELNS1_3repE0EEENS1_36merge_oddeven_config_static_selectorELNS0_4arch9wavefront6targetE0EEEvSF_.num_vgpr, 0
	.set _ZN7rocprim17ROCPRIM_400000_NS6detail17trampoline_kernelINS0_14default_configENS1_38merge_sort_block_merge_config_selectorIhNS0_10empty_typeEEEZZNS1_27merge_sort_block_merge_implIS3_PhPS5_jNS1_19radix_merge_compareILb0ELb1EhNS0_19identity_decomposerEEEEE10hipError_tT0_T1_T2_jT3_P12ihipStream_tbPNSt15iterator_traitsISE_E10value_typeEPNSK_ISF_E10value_typeEPSG_NS1_7vsmem_tEENKUlT_SE_SF_SG_E_clIS8_S8_S9_S9_EESD_ST_SE_SF_SG_EUlST_E1_NS1_11comp_targetILNS1_3genE3ELNS1_11target_archE908ELNS1_3gpuE7ELNS1_3repE0EEENS1_36merge_oddeven_config_static_selectorELNS0_4arch9wavefront6targetE0EEEvSF_.num_agpr, 0
	.set _ZN7rocprim17ROCPRIM_400000_NS6detail17trampoline_kernelINS0_14default_configENS1_38merge_sort_block_merge_config_selectorIhNS0_10empty_typeEEEZZNS1_27merge_sort_block_merge_implIS3_PhPS5_jNS1_19radix_merge_compareILb0ELb1EhNS0_19identity_decomposerEEEEE10hipError_tT0_T1_T2_jT3_P12ihipStream_tbPNSt15iterator_traitsISE_E10value_typeEPNSK_ISF_E10value_typeEPSG_NS1_7vsmem_tEENKUlT_SE_SF_SG_E_clIS8_S8_S9_S9_EESD_ST_SE_SF_SG_EUlST_E1_NS1_11comp_targetILNS1_3genE3ELNS1_11target_archE908ELNS1_3gpuE7ELNS1_3repE0EEENS1_36merge_oddeven_config_static_selectorELNS0_4arch9wavefront6targetE0EEEvSF_.numbered_sgpr, 0
	.set _ZN7rocprim17ROCPRIM_400000_NS6detail17trampoline_kernelINS0_14default_configENS1_38merge_sort_block_merge_config_selectorIhNS0_10empty_typeEEEZZNS1_27merge_sort_block_merge_implIS3_PhPS5_jNS1_19radix_merge_compareILb0ELb1EhNS0_19identity_decomposerEEEEE10hipError_tT0_T1_T2_jT3_P12ihipStream_tbPNSt15iterator_traitsISE_E10value_typeEPNSK_ISF_E10value_typeEPSG_NS1_7vsmem_tEENKUlT_SE_SF_SG_E_clIS8_S8_S9_S9_EESD_ST_SE_SF_SG_EUlST_E1_NS1_11comp_targetILNS1_3genE3ELNS1_11target_archE908ELNS1_3gpuE7ELNS1_3repE0EEENS1_36merge_oddeven_config_static_selectorELNS0_4arch9wavefront6targetE0EEEvSF_.num_named_barrier, 0
	.set _ZN7rocprim17ROCPRIM_400000_NS6detail17trampoline_kernelINS0_14default_configENS1_38merge_sort_block_merge_config_selectorIhNS0_10empty_typeEEEZZNS1_27merge_sort_block_merge_implIS3_PhPS5_jNS1_19radix_merge_compareILb0ELb1EhNS0_19identity_decomposerEEEEE10hipError_tT0_T1_T2_jT3_P12ihipStream_tbPNSt15iterator_traitsISE_E10value_typeEPNSK_ISF_E10value_typeEPSG_NS1_7vsmem_tEENKUlT_SE_SF_SG_E_clIS8_S8_S9_S9_EESD_ST_SE_SF_SG_EUlST_E1_NS1_11comp_targetILNS1_3genE3ELNS1_11target_archE908ELNS1_3gpuE7ELNS1_3repE0EEENS1_36merge_oddeven_config_static_selectorELNS0_4arch9wavefront6targetE0EEEvSF_.private_seg_size, 0
	.set _ZN7rocprim17ROCPRIM_400000_NS6detail17trampoline_kernelINS0_14default_configENS1_38merge_sort_block_merge_config_selectorIhNS0_10empty_typeEEEZZNS1_27merge_sort_block_merge_implIS3_PhPS5_jNS1_19radix_merge_compareILb0ELb1EhNS0_19identity_decomposerEEEEE10hipError_tT0_T1_T2_jT3_P12ihipStream_tbPNSt15iterator_traitsISE_E10value_typeEPNSK_ISF_E10value_typeEPSG_NS1_7vsmem_tEENKUlT_SE_SF_SG_E_clIS8_S8_S9_S9_EESD_ST_SE_SF_SG_EUlST_E1_NS1_11comp_targetILNS1_3genE3ELNS1_11target_archE908ELNS1_3gpuE7ELNS1_3repE0EEENS1_36merge_oddeven_config_static_selectorELNS0_4arch9wavefront6targetE0EEEvSF_.uses_vcc, 0
	.set _ZN7rocprim17ROCPRIM_400000_NS6detail17trampoline_kernelINS0_14default_configENS1_38merge_sort_block_merge_config_selectorIhNS0_10empty_typeEEEZZNS1_27merge_sort_block_merge_implIS3_PhPS5_jNS1_19radix_merge_compareILb0ELb1EhNS0_19identity_decomposerEEEEE10hipError_tT0_T1_T2_jT3_P12ihipStream_tbPNSt15iterator_traitsISE_E10value_typeEPNSK_ISF_E10value_typeEPSG_NS1_7vsmem_tEENKUlT_SE_SF_SG_E_clIS8_S8_S9_S9_EESD_ST_SE_SF_SG_EUlST_E1_NS1_11comp_targetILNS1_3genE3ELNS1_11target_archE908ELNS1_3gpuE7ELNS1_3repE0EEENS1_36merge_oddeven_config_static_selectorELNS0_4arch9wavefront6targetE0EEEvSF_.uses_flat_scratch, 0
	.set _ZN7rocprim17ROCPRIM_400000_NS6detail17trampoline_kernelINS0_14default_configENS1_38merge_sort_block_merge_config_selectorIhNS0_10empty_typeEEEZZNS1_27merge_sort_block_merge_implIS3_PhPS5_jNS1_19radix_merge_compareILb0ELb1EhNS0_19identity_decomposerEEEEE10hipError_tT0_T1_T2_jT3_P12ihipStream_tbPNSt15iterator_traitsISE_E10value_typeEPNSK_ISF_E10value_typeEPSG_NS1_7vsmem_tEENKUlT_SE_SF_SG_E_clIS8_S8_S9_S9_EESD_ST_SE_SF_SG_EUlST_E1_NS1_11comp_targetILNS1_3genE3ELNS1_11target_archE908ELNS1_3gpuE7ELNS1_3repE0EEENS1_36merge_oddeven_config_static_selectorELNS0_4arch9wavefront6targetE0EEEvSF_.has_dyn_sized_stack, 0
	.set _ZN7rocprim17ROCPRIM_400000_NS6detail17trampoline_kernelINS0_14default_configENS1_38merge_sort_block_merge_config_selectorIhNS0_10empty_typeEEEZZNS1_27merge_sort_block_merge_implIS3_PhPS5_jNS1_19radix_merge_compareILb0ELb1EhNS0_19identity_decomposerEEEEE10hipError_tT0_T1_T2_jT3_P12ihipStream_tbPNSt15iterator_traitsISE_E10value_typeEPNSK_ISF_E10value_typeEPSG_NS1_7vsmem_tEENKUlT_SE_SF_SG_E_clIS8_S8_S9_S9_EESD_ST_SE_SF_SG_EUlST_E1_NS1_11comp_targetILNS1_3genE3ELNS1_11target_archE908ELNS1_3gpuE7ELNS1_3repE0EEENS1_36merge_oddeven_config_static_selectorELNS0_4arch9wavefront6targetE0EEEvSF_.has_recursion, 0
	.set _ZN7rocprim17ROCPRIM_400000_NS6detail17trampoline_kernelINS0_14default_configENS1_38merge_sort_block_merge_config_selectorIhNS0_10empty_typeEEEZZNS1_27merge_sort_block_merge_implIS3_PhPS5_jNS1_19radix_merge_compareILb0ELb1EhNS0_19identity_decomposerEEEEE10hipError_tT0_T1_T2_jT3_P12ihipStream_tbPNSt15iterator_traitsISE_E10value_typeEPNSK_ISF_E10value_typeEPSG_NS1_7vsmem_tEENKUlT_SE_SF_SG_E_clIS8_S8_S9_S9_EESD_ST_SE_SF_SG_EUlST_E1_NS1_11comp_targetILNS1_3genE3ELNS1_11target_archE908ELNS1_3gpuE7ELNS1_3repE0EEENS1_36merge_oddeven_config_static_selectorELNS0_4arch9wavefront6targetE0EEEvSF_.has_indirect_call, 0
	.section	.AMDGPU.csdata,"",@progbits
; Kernel info:
; codeLenInByte = 0
; TotalNumSgprs: 0
; NumVgprs: 0
; ScratchSize: 0
; MemoryBound: 0
; FloatMode: 240
; IeeeMode: 1
; LDSByteSize: 0 bytes/workgroup (compile time only)
; SGPRBlocks: 0
; VGPRBlocks: 0
; NumSGPRsForWavesPerEU: 1
; NumVGPRsForWavesPerEU: 1
; NamedBarCnt: 0
; Occupancy: 16
; WaveLimiterHint : 0
; COMPUTE_PGM_RSRC2:SCRATCH_EN: 0
; COMPUTE_PGM_RSRC2:USER_SGPR: 2
; COMPUTE_PGM_RSRC2:TRAP_HANDLER: 0
; COMPUTE_PGM_RSRC2:TGID_X_EN: 1
; COMPUTE_PGM_RSRC2:TGID_Y_EN: 0
; COMPUTE_PGM_RSRC2:TGID_Z_EN: 0
; COMPUTE_PGM_RSRC2:TIDIG_COMP_CNT: 0
	.section	.text._ZN7rocprim17ROCPRIM_400000_NS6detail17trampoline_kernelINS0_14default_configENS1_38merge_sort_block_merge_config_selectorIhNS0_10empty_typeEEEZZNS1_27merge_sort_block_merge_implIS3_PhPS5_jNS1_19radix_merge_compareILb0ELb1EhNS0_19identity_decomposerEEEEE10hipError_tT0_T1_T2_jT3_P12ihipStream_tbPNSt15iterator_traitsISE_E10value_typeEPNSK_ISF_E10value_typeEPSG_NS1_7vsmem_tEENKUlT_SE_SF_SG_E_clIS8_S8_S9_S9_EESD_ST_SE_SF_SG_EUlST_E1_NS1_11comp_targetILNS1_3genE2ELNS1_11target_archE906ELNS1_3gpuE6ELNS1_3repE0EEENS1_36merge_oddeven_config_static_selectorELNS0_4arch9wavefront6targetE0EEEvSF_,"axG",@progbits,_ZN7rocprim17ROCPRIM_400000_NS6detail17trampoline_kernelINS0_14default_configENS1_38merge_sort_block_merge_config_selectorIhNS0_10empty_typeEEEZZNS1_27merge_sort_block_merge_implIS3_PhPS5_jNS1_19radix_merge_compareILb0ELb1EhNS0_19identity_decomposerEEEEE10hipError_tT0_T1_T2_jT3_P12ihipStream_tbPNSt15iterator_traitsISE_E10value_typeEPNSK_ISF_E10value_typeEPSG_NS1_7vsmem_tEENKUlT_SE_SF_SG_E_clIS8_S8_S9_S9_EESD_ST_SE_SF_SG_EUlST_E1_NS1_11comp_targetILNS1_3genE2ELNS1_11target_archE906ELNS1_3gpuE6ELNS1_3repE0EEENS1_36merge_oddeven_config_static_selectorELNS0_4arch9wavefront6targetE0EEEvSF_,comdat
	.protected	_ZN7rocprim17ROCPRIM_400000_NS6detail17trampoline_kernelINS0_14default_configENS1_38merge_sort_block_merge_config_selectorIhNS0_10empty_typeEEEZZNS1_27merge_sort_block_merge_implIS3_PhPS5_jNS1_19radix_merge_compareILb0ELb1EhNS0_19identity_decomposerEEEEE10hipError_tT0_T1_T2_jT3_P12ihipStream_tbPNSt15iterator_traitsISE_E10value_typeEPNSK_ISF_E10value_typeEPSG_NS1_7vsmem_tEENKUlT_SE_SF_SG_E_clIS8_S8_S9_S9_EESD_ST_SE_SF_SG_EUlST_E1_NS1_11comp_targetILNS1_3genE2ELNS1_11target_archE906ELNS1_3gpuE6ELNS1_3repE0EEENS1_36merge_oddeven_config_static_selectorELNS0_4arch9wavefront6targetE0EEEvSF_ ; -- Begin function _ZN7rocprim17ROCPRIM_400000_NS6detail17trampoline_kernelINS0_14default_configENS1_38merge_sort_block_merge_config_selectorIhNS0_10empty_typeEEEZZNS1_27merge_sort_block_merge_implIS3_PhPS5_jNS1_19radix_merge_compareILb0ELb1EhNS0_19identity_decomposerEEEEE10hipError_tT0_T1_T2_jT3_P12ihipStream_tbPNSt15iterator_traitsISE_E10value_typeEPNSK_ISF_E10value_typeEPSG_NS1_7vsmem_tEENKUlT_SE_SF_SG_E_clIS8_S8_S9_S9_EESD_ST_SE_SF_SG_EUlST_E1_NS1_11comp_targetILNS1_3genE2ELNS1_11target_archE906ELNS1_3gpuE6ELNS1_3repE0EEENS1_36merge_oddeven_config_static_selectorELNS0_4arch9wavefront6targetE0EEEvSF_
	.globl	_ZN7rocprim17ROCPRIM_400000_NS6detail17trampoline_kernelINS0_14default_configENS1_38merge_sort_block_merge_config_selectorIhNS0_10empty_typeEEEZZNS1_27merge_sort_block_merge_implIS3_PhPS5_jNS1_19radix_merge_compareILb0ELb1EhNS0_19identity_decomposerEEEEE10hipError_tT0_T1_T2_jT3_P12ihipStream_tbPNSt15iterator_traitsISE_E10value_typeEPNSK_ISF_E10value_typeEPSG_NS1_7vsmem_tEENKUlT_SE_SF_SG_E_clIS8_S8_S9_S9_EESD_ST_SE_SF_SG_EUlST_E1_NS1_11comp_targetILNS1_3genE2ELNS1_11target_archE906ELNS1_3gpuE6ELNS1_3repE0EEENS1_36merge_oddeven_config_static_selectorELNS0_4arch9wavefront6targetE0EEEvSF_
	.p2align	8
	.type	_ZN7rocprim17ROCPRIM_400000_NS6detail17trampoline_kernelINS0_14default_configENS1_38merge_sort_block_merge_config_selectorIhNS0_10empty_typeEEEZZNS1_27merge_sort_block_merge_implIS3_PhPS5_jNS1_19radix_merge_compareILb0ELb1EhNS0_19identity_decomposerEEEEE10hipError_tT0_T1_T2_jT3_P12ihipStream_tbPNSt15iterator_traitsISE_E10value_typeEPNSK_ISF_E10value_typeEPSG_NS1_7vsmem_tEENKUlT_SE_SF_SG_E_clIS8_S8_S9_S9_EESD_ST_SE_SF_SG_EUlST_E1_NS1_11comp_targetILNS1_3genE2ELNS1_11target_archE906ELNS1_3gpuE6ELNS1_3repE0EEENS1_36merge_oddeven_config_static_selectorELNS0_4arch9wavefront6targetE0EEEvSF_,@function
_ZN7rocprim17ROCPRIM_400000_NS6detail17trampoline_kernelINS0_14default_configENS1_38merge_sort_block_merge_config_selectorIhNS0_10empty_typeEEEZZNS1_27merge_sort_block_merge_implIS3_PhPS5_jNS1_19radix_merge_compareILb0ELb1EhNS0_19identity_decomposerEEEEE10hipError_tT0_T1_T2_jT3_P12ihipStream_tbPNSt15iterator_traitsISE_E10value_typeEPNSK_ISF_E10value_typeEPSG_NS1_7vsmem_tEENKUlT_SE_SF_SG_E_clIS8_S8_S9_S9_EESD_ST_SE_SF_SG_EUlST_E1_NS1_11comp_targetILNS1_3genE2ELNS1_11target_archE906ELNS1_3gpuE6ELNS1_3repE0EEENS1_36merge_oddeven_config_static_selectorELNS0_4arch9wavefront6targetE0EEEvSF_: ; @_ZN7rocprim17ROCPRIM_400000_NS6detail17trampoline_kernelINS0_14default_configENS1_38merge_sort_block_merge_config_selectorIhNS0_10empty_typeEEEZZNS1_27merge_sort_block_merge_implIS3_PhPS5_jNS1_19radix_merge_compareILb0ELb1EhNS0_19identity_decomposerEEEEE10hipError_tT0_T1_T2_jT3_P12ihipStream_tbPNSt15iterator_traitsISE_E10value_typeEPNSK_ISF_E10value_typeEPSG_NS1_7vsmem_tEENKUlT_SE_SF_SG_E_clIS8_S8_S9_S9_EESD_ST_SE_SF_SG_EUlST_E1_NS1_11comp_targetILNS1_3genE2ELNS1_11target_archE906ELNS1_3gpuE6ELNS1_3repE0EEENS1_36merge_oddeven_config_static_selectorELNS0_4arch9wavefront6targetE0EEEvSF_
; %bb.0:
	.section	.rodata,"a",@progbits
	.p2align	6, 0x0
	.amdhsa_kernel _ZN7rocprim17ROCPRIM_400000_NS6detail17trampoline_kernelINS0_14default_configENS1_38merge_sort_block_merge_config_selectorIhNS0_10empty_typeEEEZZNS1_27merge_sort_block_merge_implIS3_PhPS5_jNS1_19radix_merge_compareILb0ELb1EhNS0_19identity_decomposerEEEEE10hipError_tT0_T1_T2_jT3_P12ihipStream_tbPNSt15iterator_traitsISE_E10value_typeEPNSK_ISF_E10value_typeEPSG_NS1_7vsmem_tEENKUlT_SE_SF_SG_E_clIS8_S8_S9_S9_EESD_ST_SE_SF_SG_EUlST_E1_NS1_11comp_targetILNS1_3genE2ELNS1_11target_archE906ELNS1_3gpuE6ELNS1_3repE0EEENS1_36merge_oddeven_config_static_selectorELNS0_4arch9wavefront6targetE0EEEvSF_
		.amdhsa_group_segment_fixed_size 0
		.amdhsa_private_segment_fixed_size 0
		.amdhsa_kernarg_size 48
		.amdhsa_user_sgpr_count 2
		.amdhsa_user_sgpr_dispatch_ptr 0
		.amdhsa_user_sgpr_queue_ptr 0
		.amdhsa_user_sgpr_kernarg_segment_ptr 1
		.amdhsa_user_sgpr_dispatch_id 0
		.amdhsa_user_sgpr_kernarg_preload_length 0
		.amdhsa_user_sgpr_kernarg_preload_offset 0
		.amdhsa_user_sgpr_private_segment_size 0
		.amdhsa_wavefront_size32 1
		.amdhsa_uses_dynamic_stack 0
		.amdhsa_enable_private_segment 0
		.amdhsa_system_sgpr_workgroup_id_x 1
		.amdhsa_system_sgpr_workgroup_id_y 0
		.amdhsa_system_sgpr_workgroup_id_z 0
		.amdhsa_system_sgpr_workgroup_info 0
		.amdhsa_system_vgpr_workitem_id 0
		.amdhsa_next_free_vgpr 1
		.amdhsa_next_free_sgpr 1
		.amdhsa_named_barrier_count 0
		.amdhsa_reserve_vcc 0
		.amdhsa_float_round_mode_32 0
		.amdhsa_float_round_mode_16_64 0
		.amdhsa_float_denorm_mode_32 3
		.amdhsa_float_denorm_mode_16_64 3
		.amdhsa_fp16_overflow 0
		.amdhsa_memory_ordered 1
		.amdhsa_forward_progress 1
		.amdhsa_inst_pref_size 0
		.amdhsa_round_robin_scheduling 0
		.amdhsa_exception_fp_ieee_invalid_op 0
		.amdhsa_exception_fp_denorm_src 0
		.amdhsa_exception_fp_ieee_div_zero 0
		.amdhsa_exception_fp_ieee_overflow 0
		.amdhsa_exception_fp_ieee_underflow 0
		.amdhsa_exception_fp_ieee_inexact 0
		.amdhsa_exception_int_div_zero 0
	.end_amdhsa_kernel
	.section	.text._ZN7rocprim17ROCPRIM_400000_NS6detail17trampoline_kernelINS0_14default_configENS1_38merge_sort_block_merge_config_selectorIhNS0_10empty_typeEEEZZNS1_27merge_sort_block_merge_implIS3_PhPS5_jNS1_19radix_merge_compareILb0ELb1EhNS0_19identity_decomposerEEEEE10hipError_tT0_T1_T2_jT3_P12ihipStream_tbPNSt15iterator_traitsISE_E10value_typeEPNSK_ISF_E10value_typeEPSG_NS1_7vsmem_tEENKUlT_SE_SF_SG_E_clIS8_S8_S9_S9_EESD_ST_SE_SF_SG_EUlST_E1_NS1_11comp_targetILNS1_3genE2ELNS1_11target_archE906ELNS1_3gpuE6ELNS1_3repE0EEENS1_36merge_oddeven_config_static_selectorELNS0_4arch9wavefront6targetE0EEEvSF_,"axG",@progbits,_ZN7rocprim17ROCPRIM_400000_NS6detail17trampoline_kernelINS0_14default_configENS1_38merge_sort_block_merge_config_selectorIhNS0_10empty_typeEEEZZNS1_27merge_sort_block_merge_implIS3_PhPS5_jNS1_19radix_merge_compareILb0ELb1EhNS0_19identity_decomposerEEEEE10hipError_tT0_T1_T2_jT3_P12ihipStream_tbPNSt15iterator_traitsISE_E10value_typeEPNSK_ISF_E10value_typeEPSG_NS1_7vsmem_tEENKUlT_SE_SF_SG_E_clIS8_S8_S9_S9_EESD_ST_SE_SF_SG_EUlST_E1_NS1_11comp_targetILNS1_3genE2ELNS1_11target_archE906ELNS1_3gpuE6ELNS1_3repE0EEENS1_36merge_oddeven_config_static_selectorELNS0_4arch9wavefront6targetE0EEEvSF_,comdat
.Lfunc_end198:
	.size	_ZN7rocprim17ROCPRIM_400000_NS6detail17trampoline_kernelINS0_14default_configENS1_38merge_sort_block_merge_config_selectorIhNS0_10empty_typeEEEZZNS1_27merge_sort_block_merge_implIS3_PhPS5_jNS1_19radix_merge_compareILb0ELb1EhNS0_19identity_decomposerEEEEE10hipError_tT0_T1_T2_jT3_P12ihipStream_tbPNSt15iterator_traitsISE_E10value_typeEPNSK_ISF_E10value_typeEPSG_NS1_7vsmem_tEENKUlT_SE_SF_SG_E_clIS8_S8_S9_S9_EESD_ST_SE_SF_SG_EUlST_E1_NS1_11comp_targetILNS1_3genE2ELNS1_11target_archE906ELNS1_3gpuE6ELNS1_3repE0EEENS1_36merge_oddeven_config_static_selectorELNS0_4arch9wavefront6targetE0EEEvSF_, .Lfunc_end198-_ZN7rocprim17ROCPRIM_400000_NS6detail17trampoline_kernelINS0_14default_configENS1_38merge_sort_block_merge_config_selectorIhNS0_10empty_typeEEEZZNS1_27merge_sort_block_merge_implIS3_PhPS5_jNS1_19radix_merge_compareILb0ELb1EhNS0_19identity_decomposerEEEEE10hipError_tT0_T1_T2_jT3_P12ihipStream_tbPNSt15iterator_traitsISE_E10value_typeEPNSK_ISF_E10value_typeEPSG_NS1_7vsmem_tEENKUlT_SE_SF_SG_E_clIS8_S8_S9_S9_EESD_ST_SE_SF_SG_EUlST_E1_NS1_11comp_targetILNS1_3genE2ELNS1_11target_archE906ELNS1_3gpuE6ELNS1_3repE0EEENS1_36merge_oddeven_config_static_selectorELNS0_4arch9wavefront6targetE0EEEvSF_
                                        ; -- End function
	.set _ZN7rocprim17ROCPRIM_400000_NS6detail17trampoline_kernelINS0_14default_configENS1_38merge_sort_block_merge_config_selectorIhNS0_10empty_typeEEEZZNS1_27merge_sort_block_merge_implIS3_PhPS5_jNS1_19radix_merge_compareILb0ELb1EhNS0_19identity_decomposerEEEEE10hipError_tT0_T1_T2_jT3_P12ihipStream_tbPNSt15iterator_traitsISE_E10value_typeEPNSK_ISF_E10value_typeEPSG_NS1_7vsmem_tEENKUlT_SE_SF_SG_E_clIS8_S8_S9_S9_EESD_ST_SE_SF_SG_EUlST_E1_NS1_11comp_targetILNS1_3genE2ELNS1_11target_archE906ELNS1_3gpuE6ELNS1_3repE0EEENS1_36merge_oddeven_config_static_selectorELNS0_4arch9wavefront6targetE0EEEvSF_.num_vgpr, 0
	.set _ZN7rocprim17ROCPRIM_400000_NS6detail17trampoline_kernelINS0_14default_configENS1_38merge_sort_block_merge_config_selectorIhNS0_10empty_typeEEEZZNS1_27merge_sort_block_merge_implIS3_PhPS5_jNS1_19radix_merge_compareILb0ELb1EhNS0_19identity_decomposerEEEEE10hipError_tT0_T1_T2_jT3_P12ihipStream_tbPNSt15iterator_traitsISE_E10value_typeEPNSK_ISF_E10value_typeEPSG_NS1_7vsmem_tEENKUlT_SE_SF_SG_E_clIS8_S8_S9_S9_EESD_ST_SE_SF_SG_EUlST_E1_NS1_11comp_targetILNS1_3genE2ELNS1_11target_archE906ELNS1_3gpuE6ELNS1_3repE0EEENS1_36merge_oddeven_config_static_selectorELNS0_4arch9wavefront6targetE0EEEvSF_.num_agpr, 0
	.set _ZN7rocprim17ROCPRIM_400000_NS6detail17trampoline_kernelINS0_14default_configENS1_38merge_sort_block_merge_config_selectorIhNS0_10empty_typeEEEZZNS1_27merge_sort_block_merge_implIS3_PhPS5_jNS1_19radix_merge_compareILb0ELb1EhNS0_19identity_decomposerEEEEE10hipError_tT0_T1_T2_jT3_P12ihipStream_tbPNSt15iterator_traitsISE_E10value_typeEPNSK_ISF_E10value_typeEPSG_NS1_7vsmem_tEENKUlT_SE_SF_SG_E_clIS8_S8_S9_S9_EESD_ST_SE_SF_SG_EUlST_E1_NS1_11comp_targetILNS1_3genE2ELNS1_11target_archE906ELNS1_3gpuE6ELNS1_3repE0EEENS1_36merge_oddeven_config_static_selectorELNS0_4arch9wavefront6targetE0EEEvSF_.numbered_sgpr, 0
	.set _ZN7rocprim17ROCPRIM_400000_NS6detail17trampoline_kernelINS0_14default_configENS1_38merge_sort_block_merge_config_selectorIhNS0_10empty_typeEEEZZNS1_27merge_sort_block_merge_implIS3_PhPS5_jNS1_19radix_merge_compareILb0ELb1EhNS0_19identity_decomposerEEEEE10hipError_tT0_T1_T2_jT3_P12ihipStream_tbPNSt15iterator_traitsISE_E10value_typeEPNSK_ISF_E10value_typeEPSG_NS1_7vsmem_tEENKUlT_SE_SF_SG_E_clIS8_S8_S9_S9_EESD_ST_SE_SF_SG_EUlST_E1_NS1_11comp_targetILNS1_3genE2ELNS1_11target_archE906ELNS1_3gpuE6ELNS1_3repE0EEENS1_36merge_oddeven_config_static_selectorELNS0_4arch9wavefront6targetE0EEEvSF_.num_named_barrier, 0
	.set _ZN7rocprim17ROCPRIM_400000_NS6detail17trampoline_kernelINS0_14default_configENS1_38merge_sort_block_merge_config_selectorIhNS0_10empty_typeEEEZZNS1_27merge_sort_block_merge_implIS3_PhPS5_jNS1_19radix_merge_compareILb0ELb1EhNS0_19identity_decomposerEEEEE10hipError_tT0_T1_T2_jT3_P12ihipStream_tbPNSt15iterator_traitsISE_E10value_typeEPNSK_ISF_E10value_typeEPSG_NS1_7vsmem_tEENKUlT_SE_SF_SG_E_clIS8_S8_S9_S9_EESD_ST_SE_SF_SG_EUlST_E1_NS1_11comp_targetILNS1_3genE2ELNS1_11target_archE906ELNS1_3gpuE6ELNS1_3repE0EEENS1_36merge_oddeven_config_static_selectorELNS0_4arch9wavefront6targetE0EEEvSF_.private_seg_size, 0
	.set _ZN7rocprim17ROCPRIM_400000_NS6detail17trampoline_kernelINS0_14default_configENS1_38merge_sort_block_merge_config_selectorIhNS0_10empty_typeEEEZZNS1_27merge_sort_block_merge_implIS3_PhPS5_jNS1_19radix_merge_compareILb0ELb1EhNS0_19identity_decomposerEEEEE10hipError_tT0_T1_T2_jT3_P12ihipStream_tbPNSt15iterator_traitsISE_E10value_typeEPNSK_ISF_E10value_typeEPSG_NS1_7vsmem_tEENKUlT_SE_SF_SG_E_clIS8_S8_S9_S9_EESD_ST_SE_SF_SG_EUlST_E1_NS1_11comp_targetILNS1_3genE2ELNS1_11target_archE906ELNS1_3gpuE6ELNS1_3repE0EEENS1_36merge_oddeven_config_static_selectorELNS0_4arch9wavefront6targetE0EEEvSF_.uses_vcc, 0
	.set _ZN7rocprim17ROCPRIM_400000_NS6detail17trampoline_kernelINS0_14default_configENS1_38merge_sort_block_merge_config_selectorIhNS0_10empty_typeEEEZZNS1_27merge_sort_block_merge_implIS3_PhPS5_jNS1_19radix_merge_compareILb0ELb1EhNS0_19identity_decomposerEEEEE10hipError_tT0_T1_T2_jT3_P12ihipStream_tbPNSt15iterator_traitsISE_E10value_typeEPNSK_ISF_E10value_typeEPSG_NS1_7vsmem_tEENKUlT_SE_SF_SG_E_clIS8_S8_S9_S9_EESD_ST_SE_SF_SG_EUlST_E1_NS1_11comp_targetILNS1_3genE2ELNS1_11target_archE906ELNS1_3gpuE6ELNS1_3repE0EEENS1_36merge_oddeven_config_static_selectorELNS0_4arch9wavefront6targetE0EEEvSF_.uses_flat_scratch, 0
	.set _ZN7rocprim17ROCPRIM_400000_NS6detail17trampoline_kernelINS0_14default_configENS1_38merge_sort_block_merge_config_selectorIhNS0_10empty_typeEEEZZNS1_27merge_sort_block_merge_implIS3_PhPS5_jNS1_19radix_merge_compareILb0ELb1EhNS0_19identity_decomposerEEEEE10hipError_tT0_T1_T2_jT3_P12ihipStream_tbPNSt15iterator_traitsISE_E10value_typeEPNSK_ISF_E10value_typeEPSG_NS1_7vsmem_tEENKUlT_SE_SF_SG_E_clIS8_S8_S9_S9_EESD_ST_SE_SF_SG_EUlST_E1_NS1_11comp_targetILNS1_3genE2ELNS1_11target_archE906ELNS1_3gpuE6ELNS1_3repE0EEENS1_36merge_oddeven_config_static_selectorELNS0_4arch9wavefront6targetE0EEEvSF_.has_dyn_sized_stack, 0
	.set _ZN7rocprim17ROCPRIM_400000_NS6detail17trampoline_kernelINS0_14default_configENS1_38merge_sort_block_merge_config_selectorIhNS0_10empty_typeEEEZZNS1_27merge_sort_block_merge_implIS3_PhPS5_jNS1_19radix_merge_compareILb0ELb1EhNS0_19identity_decomposerEEEEE10hipError_tT0_T1_T2_jT3_P12ihipStream_tbPNSt15iterator_traitsISE_E10value_typeEPNSK_ISF_E10value_typeEPSG_NS1_7vsmem_tEENKUlT_SE_SF_SG_E_clIS8_S8_S9_S9_EESD_ST_SE_SF_SG_EUlST_E1_NS1_11comp_targetILNS1_3genE2ELNS1_11target_archE906ELNS1_3gpuE6ELNS1_3repE0EEENS1_36merge_oddeven_config_static_selectorELNS0_4arch9wavefront6targetE0EEEvSF_.has_recursion, 0
	.set _ZN7rocprim17ROCPRIM_400000_NS6detail17trampoline_kernelINS0_14default_configENS1_38merge_sort_block_merge_config_selectorIhNS0_10empty_typeEEEZZNS1_27merge_sort_block_merge_implIS3_PhPS5_jNS1_19radix_merge_compareILb0ELb1EhNS0_19identity_decomposerEEEEE10hipError_tT0_T1_T2_jT3_P12ihipStream_tbPNSt15iterator_traitsISE_E10value_typeEPNSK_ISF_E10value_typeEPSG_NS1_7vsmem_tEENKUlT_SE_SF_SG_E_clIS8_S8_S9_S9_EESD_ST_SE_SF_SG_EUlST_E1_NS1_11comp_targetILNS1_3genE2ELNS1_11target_archE906ELNS1_3gpuE6ELNS1_3repE0EEENS1_36merge_oddeven_config_static_selectorELNS0_4arch9wavefront6targetE0EEEvSF_.has_indirect_call, 0
	.section	.AMDGPU.csdata,"",@progbits
; Kernel info:
; codeLenInByte = 0
; TotalNumSgprs: 0
; NumVgprs: 0
; ScratchSize: 0
; MemoryBound: 0
; FloatMode: 240
; IeeeMode: 1
; LDSByteSize: 0 bytes/workgroup (compile time only)
; SGPRBlocks: 0
; VGPRBlocks: 0
; NumSGPRsForWavesPerEU: 1
; NumVGPRsForWavesPerEU: 1
; NamedBarCnt: 0
; Occupancy: 16
; WaveLimiterHint : 0
; COMPUTE_PGM_RSRC2:SCRATCH_EN: 0
; COMPUTE_PGM_RSRC2:USER_SGPR: 2
; COMPUTE_PGM_RSRC2:TRAP_HANDLER: 0
; COMPUTE_PGM_RSRC2:TGID_X_EN: 1
; COMPUTE_PGM_RSRC2:TGID_Y_EN: 0
; COMPUTE_PGM_RSRC2:TGID_Z_EN: 0
; COMPUTE_PGM_RSRC2:TIDIG_COMP_CNT: 0
	.section	.text._ZN7rocprim17ROCPRIM_400000_NS6detail17trampoline_kernelINS0_14default_configENS1_38merge_sort_block_merge_config_selectorIhNS0_10empty_typeEEEZZNS1_27merge_sort_block_merge_implIS3_PhPS5_jNS1_19radix_merge_compareILb0ELb1EhNS0_19identity_decomposerEEEEE10hipError_tT0_T1_T2_jT3_P12ihipStream_tbPNSt15iterator_traitsISE_E10value_typeEPNSK_ISF_E10value_typeEPSG_NS1_7vsmem_tEENKUlT_SE_SF_SG_E_clIS8_S8_S9_S9_EESD_ST_SE_SF_SG_EUlST_E1_NS1_11comp_targetILNS1_3genE9ELNS1_11target_archE1100ELNS1_3gpuE3ELNS1_3repE0EEENS1_36merge_oddeven_config_static_selectorELNS0_4arch9wavefront6targetE0EEEvSF_,"axG",@progbits,_ZN7rocprim17ROCPRIM_400000_NS6detail17trampoline_kernelINS0_14default_configENS1_38merge_sort_block_merge_config_selectorIhNS0_10empty_typeEEEZZNS1_27merge_sort_block_merge_implIS3_PhPS5_jNS1_19radix_merge_compareILb0ELb1EhNS0_19identity_decomposerEEEEE10hipError_tT0_T1_T2_jT3_P12ihipStream_tbPNSt15iterator_traitsISE_E10value_typeEPNSK_ISF_E10value_typeEPSG_NS1_7vsmem_tEENKUlT_SE_SF_SG_E_clIS8_S8_S9_S9_EESD_ST_SE_SF_SG_EUlST_E1_NS1_11comp_targetILNS1_3genE9ELNS1_11target_archE1100ELNS1_3gpuE3ELNS1_3repE0EEENS1_36merge_oddeven_config_static_selectorELNS0_4arch9wavefront6targetE0EEEvSF_,comdat
	.protected	_ZN7rocprim17ROCPRIM_400000_NS6detail17trampoline_kernelINS0_14default_configENS1_38merge_sort_block_merge_config_selectorIhNS0_10empty_typeEEEZZNS1_27merge_sort_block_merge_implIS3_PhPS5_jNS1_19radix_merge_compareILb0ELb1EhNS0_19identity_decomposerEEEEE10hipError_tT0_T1_T2_jT3_P12ihipStream_tbPNSt15iterator_traitsISE_E10value_typeEPNSK_ISF_E10value_typeEPSG_NS1_7vsmem_tEENKUlT_SE_SF_SG_E_clIS8_S8_S9_S9_EESD_ST_SE_SF_SG_EUlST_E1_NS1_11comp_targetILNS1_3genE9ELNS1_11target_archE1100ELNS1_3gpuE3ELNS1_3repE0EEENS1_36merge_oddeven_config_static_selectorELNS0_4arch9wavefront6targetE0EEEvSF_ ; -- Begin function _ZN7rocprim17ROCPRIM_400000_NS6detail17trampoline_kernelINS0_14default_configENS1_38merge_sort_block_merge_config_selectorIhNS0_10empty_typeEEEZZNS1_27merge_sort_block_merge_implIS3_PhPS5_jNS1_19radix_merge_compareILb0ELb1EhNS0_19identity_decomposerEEEEE10hipError_tT0_T1_T2_jT3_P12ihipStream_tbPNSt15iterator_traitsISE_E10value_typeEPNSK_ISF_E10value_typeEPSG_NS1_7vsmem_tEENKUlT_SE_SF_SG_E_clIS8_S8_S9_S9_EESD_ST_SE_SF_SG_EUlST_E1_NS1_11comp_targetILNS1_3genE9ELNS1_11target_archE1100ELNS1_3gpuE3ELNS1_3repE0EEENS1_36merge_oddeven_config_static_selectorELNS0_4arch9wavefront6targetE0EEEvSF_
	.globl	_ZN7rocprim17ROCPRIM_400000_NS6detail17trampoline_kernelINS0_14default_configENS1_38merge_sort_block_merge_config_selectorIhNS0_10empty_typeEEEZZNS1_27merge_sort_block_merge_implIS3_PhPS5_jNS1_19radix_merge_compareILb0ELb1EhNS0_19identity_decomposerEEEEE10hipError_tT0_T1_T2_jT3_P12ihipStream_tbPNSt15iterator_traitsISE_E10value_typeEPNSK_ISF_E10value_typeEPSG_NS1_7vsmem_tEENKUlT_SE_SF_SG_E_clIS8_S8_S9_S9_EESD_ST_SE_SF_SG_EUlST_E1_NS1_11comp_targetILNS1_3genE9ELNS1_11target_archE1100ELNS1_3gpuE3ELNS1_3repE0EEENS1_36merge_oddeven_config_static_selectorELNS0_4arch9wavefront6targetE0EEEvSF_
	.p2align	8
	.type	_ZN7rocprim17ROCPRIM_400000_NS6detail17trampoline_kernelINS0_14default_configENS1_38merge_sort_block_merge_config_selectorIhNS0_10empty_typeEEEZZNS1_27merge_sort_block_merge_implIS3_PhPS5_jNS1_19radix_merge_compareILb0ELb1EhNS0_19identity_decomposerEEEEE10hipError_tT0_T1_T2_jT3_P12ihipStream_tbPNSt15iterator_traitsISE_E10value_typeEPNSK_ISF_E10value_typeEPSG_NS1_7vsmem_tEENKUlT_SE_SF_SG_E_clIS8_S8_S9_S9_EESD_ST_SE_SF_SG_EUlST_E1_NS1_11comp_targetILNS1_3genE9ELNS1_11target_archE1100ELNS1_3gpuE3ELNS1_3repE0EEENS1_36merge_oddeven_config_static_selectorELNS0_4arch9wavefront6targetE0EEEvSF_,@function
_ZN7rocprim17ROCPRIM_400000_NS6detail17trampoline_kernelINS0_14default_configENS1_38merge_sort_block_merge_config_selectorIhNS0_10empty_typeEEEZZNS1_27merge_sort_block_merge_implIS3_PhPS5_jNS1_19radix_merge_compareILb0ELb1EhNS0_19identity_decomposerEEEEE10hipError_tT0_T1_T2_jT3_P12ihipStream_tbPNSt15iterator_traitsISE_E10value_typeEPNSK_ISF_E10value_typeEPSG_NS1_7vsmem_tEENKUlT_SE_SF_SG_E_clIS8_S8_S9_S9_EESD_ST_SE_SF_SG_EUlST_E1_NS1_11comp_targetILNS1_3genE9ELNS1_11target_archE1100ELNS1_3gpuE3ELNS1_3repE0EEENS1_36merge_oddeven_config_static_selectorELNS0_4arch9wavefront6targetE0EEEvSF_: ; @_ZN7rocprim17ROCPRIM_400000_NS6detail17trampoline_kernelINS0_14default_configENS1_38merge_sort_block_merge_config_selectorIhNS0_10empty_typeEEEZZNS1_27merge_sort_block_merge_implIS3_PhPS5_jNS1_19radix_merge_compareILb0ELb1EhNS0_19identity_decomposerEEEEE10hipError_tT0_T1_T2_jT3_P12ihipStream_tbPNSt15iterator_traitsISE_E10value_typeEPNSK_ISF_E10value_typeEPSG_NS1_7vsmem_tEENKUlT_SE_SF_SG_E_clIS8_S8_S9_S9_EESD_ST_SE_SF_SG_EUlST_E1_NS1_11comp_targetILNS1_3genE9ELNS1_11target_archE1100ELNS1_3gpuE3ELNS1_3repE0EEENS1_36merge_oddeven_config_static_selectorELNS0_4arch9wavefront6targetE0EEEvSF_
; %bb.0:
	.section	.rodata,"a",@progbits
	.p2align	6, 0x0
	.amdhsa_kernel _ZN7rocprim17ROCPRIM_400000_NS6detail17trampoline_kernelINS0_14default_configENS1_38merge_sort_block_merge_config_selectorIhNS0_10empty_typeEEEZZNS1_27merge_sort_block_merge_implIS3_PhPS5_jNS1_19radix_merge_compareILb0ELb1EhNS0_19identity_decomposerEEEEE10hipError_tT0_T1_T2_jT3_P12ihipStream_tbPNSt15iterator_traitsISE_E10value_typeEPNSK_ISF_E10value_typeEPSG_NS1_7vsmem_tEENKUlT_SE_SF_SG_E_clIS8_S8_S9_S9_EESD_ST_SE_SF_SG_EUlST_E1_NS1_11comp_targetILNS1_3genE9ELNS1_11target_archE1100ELNS1_3gpuE3ELNS1_3repE0EEENS1_36merge_oddeven_config_static_selectorELNS0_4arch9wavefront6targetE0EEEvSF_
		.amdhsa_group_segment_fixed_size 0
		.amdhsa_private_segment_fixed_size 0
		.amdhsa_kernarg_size 48
		.amdhsa_user_sgpr_count 2
		.amdhsa_user_sgpr_dispatch_ptr 0
		.amdhsa_user_sgpr_queue_ptr 0
		.amdhsa_user_sgpr_kernarg_segment_ptr 1
		.amdhsa_user_sgpr_dispatch_id 0
		.amdhsa_user_sgpr_kernarg_preload_length 0
		.amdhsa_user_sgpr_kernarg_preload_offset 0
		.amdhsa_user_sgpr_private_segment_size 0
		.amdhsa_wavefront_size32 1
		.amdhsa_uses_dynamic_stack 0
		.amdhsa_enable_private_segment 0
		.amdhsa_system_sgpr_workgroup_id_x 1
		.amdhsa_system_sgpr_workgroup_id_y 0
		.amdhsa_system_sgpr_workgroup_id_z 0
		.amdhsa_system_sgpr_workgroup_info 0
		.amdhsa_system_vgpr_workitem_id 0
		.amdhsa_next_free_vgpr 1
		.amdhsa_next_free_sgpr 1
		.amdhsa_named_barrier_count 0
		.amdhsa_reserve_vcc 0
		.amdhsa_float_round_mode_32 0
		.amdhsa_float_round_mode_16_64 0
		.amdhsa_float_denorm_mode_32 3
		.amdhsa_float_denorm_mode_16_64 3
		.amdhsa_fp16_overflow 0
		.amdhsa_memory_ordered 1
		.amdhsa_forward_progress 1
		.amdhsa_inst_pref_size 0
		.amdhsa_round_robin_scheduling 0
		.amdhsa_exception_fp_ieee_invalid_op 0
		.amdhsa_exception_fp_denorm_src 0
		.amdhsa_exception_fp_ieee_div_zero 0
		.amdhsa_exception_fp_ieee_overflow 0
		.amdhsa_exception_fp_ieee_underflow 0
		.amdhsa_exception_fp_ieee_inexact 0
		.amdhsa_exception_int_div_zero 0
	.end_amdhsa_kernel
	.section	.text._ZN7rocprim17ROCPRIM_400000_NS6detail17trampoline_kernelINS0_14default_configENS1_38merge_sort_block_merge_config_selectorIhNS0_10empty_typeEEEZZNS1_27merge_sort_block_merge_implIS3_PhPS5_jNS1_19radix_merge_compareILb0ELb1EhNS0_19identity_decomposerEEEEE10hipError_tT0_T1_T2_jT3_P12ihipStream_tbPNSt15iterator_traitsISE_E10value_typeEPNSK_ISF_E10value_typeEPSG_NS1_7vsmem_tEENKUlT_SE_SF_SG_E_clIS8_S8_S9_S9_EESD_ST_SE_SF_SG_EUlST_E1_NS1_11comp_targetILNS1_3genE9ELNS1_11target_archE1100ELNS1_3gpuE3ELNS1_3repE0EEENS1_36merge_oddeven_config_static_selectorELNS0_4arch9wavefront6targetE0EEEvSF_,"axG",@progbits,_ZN7rocprim17ROCPRIM_400000_NS6detail17trampoline_kernelINS0_14default_configENS1_38merge_sort_block_merge_config_selectorIhNS0_10empty_typeEEEZZNS1_27merge_sort_block_merge_implIS3_PhPS5_jNS1_19radix_merge_compareILb0ELb1EhNS0_19identity_decomposerEEEEE10hipError_tT0_T1_T2_jT3_P12ihipStream_tbPNSt15iterator_traitsISE_E10value_typeEPNSK_ISF_E10value_typeEPSG_NS1_7vsmem_tEENKUlT_SE_SF_SG_E_clIS8_S8_S9_S9_EESD_ST_SE_SF_SG_EUlST_E1_NS1_11comp_targetILNS1_3genE9ELNS1_11target_archE1100ELNS1_3gpuE3ELNS1_3repE0EEENS1_36merge_oddeven_config_static_selectorELNS0_4arch9wavefront6targetE0EEEvSF_,comdat
.Lfunc_end199:
	.size	_ZN7rocprim17ROCPRIM_400000_NS6detail17trampoline_kernelINS0_14default_configENS1_38merge_sort_block_merge_config_selectorIhNS0_10empty_typeEEEZZNS1_27merge_sort_block_merge_implIS3_PhPS5_jNS1_19radix_merge_compareILb0ELb1EhNS0_19identity_decomposerEEEEE10hipError_tT0_T1_T2_jT3_P12ihipStream_tbPNSt15iterator_traitsISE_E10value_typeEPNSK_ISF_E10value_typeEPSG_NS1_7vsmem_tEENKUlT_SE_SF_SG_E_clIS8_S8_S9_S9_EESD_ST_SE_SF_SG_EUlST_E1_NS1_11comp_targetILNS1_3genE9ELNS1_11target_archE1100ELNS1_3gpuE3ELNS1_3repE0EEENS1_36merge_oddeven_config_static_selectorELNS0_4arch9wavefront6targetE0EEEvSF_, .Lfunc_end199-_ZN7rocprim17ROCPRIM_400000_NS6detail17trampoline_kernelINS0_14default_configENS1_38merge_sort_block_merge_config_selectorIhNS0_10empty_typeEEEZZNS1_27merge_sort_block_merge_implIS3_PhPS5_jNS1_19radix_merge_compareILb0ELb1EhNS0_19identity_decomposerEEEEE10hipError_tT0_T1_T2_jT3_P12ihipStream_tbPNSt15iterator_traitsISE_E10value_typeEPNSK_ISF_E10value_typeEPSG_NS1_7vsmem_tEENKUlT_SE_SF_SG_E_clIS8_S8_S9_S9_EESD_ST_SE_SF_SG_EUlST_E1_NS1_11comp_targetILNS1_3genE9ELNS1_11target_archE1100ELNS1_3gpuE3ELNS1_3repE0EEENS1_36merge_oddeven_config_static_selectorELNS0_4arch9wavefront6targetE0EEEvSF_
                                        ; -- End function
	.set _ZN7rocprim17ROCPRIM_400000_NS6detail17trampoline_kernelINS0_14default_configENS1_38merge_sort_block_merge_config_selectorIhNS0_10empty_typeEEEZZNS1_27merge_sort_block_merge_implIS3_PhPS5_jNS1_19radix_merge_compareILb0ELb1EhNS0_19identity_decomposerEEEEE10hipError_tT0_T1_T2_jT3_P12ihipStream_tbPNSt15iterator_traitsISE_E10value_typeEPNSK_ISF_E10value_typeEPSG_NS1_7vsmem_tEENKUlT_SE_SF_SG_E_clIS8_S8_S9_S9_EESD_ST_SE_SF_SG_EUlST_E1_NS1_11comp_targetILNS1_3genE9ELNS1_11target_archE1100ELNS1_3gpuE3ELNS1_3repE0EEENS1_36merge_oddeven_config_static_selectorELNS0_4arch9wavefront6targetE0EEEvSF_.num_vgpr, 0
	.set _ZN7rocprim17ROCPRIM_400000_NS6detail17trampoline_kernelINS0_14default_configENS1_38merge_sort_block_merge_config_selectorIhNS0_10empty_typeEEEZZNS1_27merge_sort_block_merge_implIS3_PhPS5_jNS1_19radix_merge_compareILb0ELb1EhNS0_19identity_decomposerEEEEE10hipError_tT0_T1_T2_jT3_P12ihipStream_tbPNSt15iterator_traitsISE_E10value_typeEPNSK_ISF_E10value_typeEPSG_NS1_7vsmem_tEENKUlT_SE_SF_SG_E_clIS8_S8_S9_S9_EESD_ST_SE_SF_SG_EUlST_E1_NS1_11comp_targetILNS1_3genE9ELNS1_11target_archE1100ELNS1_3gpuE3ELNS1_3repE0EEENS1_36merge_oddeven_config_static_selectorELNS0_4arch9wavefront6targetE0EEEvSF_.num_agpr, 0
	.set _ZN7rocprim17ROCPRIM_400000_NS6detail17trampoline_kernelINS0_14default_configENS1_38merge_sort_block_merge_config_selectorIhNS0_10empty_typeEEEZZNS1_27merge_sort_block_merge_implIS3_PhPS5_jNS1_19radix_merge_compareILb0ELb1EhNS0_19identity_decomposerEEEEE10hipError_tT0_T1_T2_jT3_P12ihipStream_tbPNSt15iterator_traitsISE_E10value_typeEPNSK_ISF_E10value_typeEPSG_NS1_7vsmem_tEENKUlT_SE_SF_SG_E_clIS8_S8_S9_S9_EESD_ST_SE_SF_SG_EUlST_E1_NS1_11comp_targetILNS1_3genE9ELNS1_11target_archE1100ELNS1_3gpuE3ELNS1_3repE0EEENS1_36merge_oddeven_config_static_selectorELNS0_4arch9wavefront6targetE0EEEvSF_.numbered_sgpr, 0
	.set _ZN7rocprim17ROCPRIM_400000_NS6detail17trampoline_kernelINS0_14default_configENS1_38merge_sort_block_merge_config_selectorIhNS0_10empty_typeEEEZZNS1_27merge_sort_block_merge_implIS3_PhPS5_jNS1_19radix_merge_compareILb0ELb1EhNS0_19identity_decomposerEEEEE10hipError_tT0_T1_T2_jT3_P12ihipStream_tbPNSt15iterator_traitsISE_E10value_typeEPNSK_ISF_E10value_typeEPSG_NS1_7vsmem_tEENKUlT_SE_SF_SG_E_clIS8_S8_S9_S9_EESD_ST_SE_SF_SG_EUlST_E1_NS1_11comp_targetILNS1_3genE9ELNS1_11target_archE1100ELNS1_3gpuE3ELNS1_3repE0EEENS1_36merge_oddeven_config_static_selectorELNS0_4arch9wavefront6targetE0EEEvSF_.num_named_barrier, 0
	.set _ZN7rocprim17ROCPRIM_400000_NS6detail17trampoline_kernelINS0_14default_configENS1_38merge_sort_block_merge_config_selectorIhNS0_10empty_typeEEEZZNS1_27merge_sort_block_merge_implIS3_PhPS5_jNS1_19radix_merge_compareILb0ELb1EhNS0_19identity_decomposerEEEEE10hipError_tT0_T1_T2_jT3_P12ihipStream_tbPNSt15iterator_traitsISE_E10value_typeEPNSK_ISF_E10value_typeEPSG_NS1_7vsmem_tEENKUlT_SE_SF_SG_E_clIS8_S8_S9_S9_EESD_ST_SE_SF_SG_EUlST_E1_NS1_11comp_targetILNS1_3genE9ELNS1_11target_archE1100ELNS1_3gpuE3ELNS1_3repE0EEENS1_36merge_oddeven_config_static_selectorELNS0_4arch9wavefront6targetE0EEEvSF_.private_seg_size, 0
	.set _ZN7rocprim17ROCPRIM_400000_NS6detail17trampoline_kernelINS0_14default_configENS1_38merge_sort_block_merge_config_selectorIhNS0_10empty_typeEEEZZNS1_27merge_sort_block_merge_implIS3_PhPS5_jNS1_19radix_merge_compareILb0ELb1EhNS0_19identity_decomposerEEEEE10hipError_tT0_T1_T2_jT3_P12ihipStream_tbPNSt15iterator_traitsISE_E10value_typeEPNSK_ISF_E10value_typeEPSG_NS1_7vsmem_tEENKUlT_SE_SF_SG_E_clIS8_S8_S9_S9_EESD_ST_SE_SF_SG_EUlST_E1_NS1_11comp_targetILNS1_3genE9ELNS1_11target_archE1100ELNS1_3gpuE3ELNS1_3repE0EEENS1_36merge_oddeven_config_static_selectorELNS0_4arch9wavefront6targetE0EEEvSF_.uses_vcc, 0
	.set _ZN7rocprim17ROCPRIM_400000_NS6detail17trampoline_kernelINS0_14default_configENS1_38merge_sort_block_merge_config_selectorIhNS0_10empty_typeEEEZZNS1_27merge_sort_block_merge_implIS3_PhPS5_jNS1_19radix_merge_compareILb0ELb1EhNS0_19identity_decomposerEEEEE10hipError_tT0_T1_T2_jT3_P12ihipStream_tbPNSt15iterator_traitsISE_E10value_typeEPNSK_ISF_E10value_typeEPSG_NS1_7vsmem_tEENKUlT_SE_SF_SG_E_clIS8_S8_S9_S9_EESD_ST_SE_SF_SG_EUlST_E1_NS1_11comp_targetILNS1_3genE9ELNS1_11target_archE1100ELNS1_3gpuE3ELNS1_3repE0EEENS1_36merge_oddeven_config_static_selectorELNS0_4arch9wavefront6targetE0EEEvSF_.uses_flat_scratch, 0
	.set _ZN7rocprim17ROCPRIM_400000_NS6detail17trampoline_kernelINS0_14default_configENS1_38merge_sort_block_merge_config_selectorIhNS0_10empty_typeEEEZZNS1_27merge_sort_block_merge_implIS3_PhPS5_jNS1_19radix_merge_compareILb0ELb1EhNS0_19identity_decomposerEEEEE10hipError_tT0_T1_T2_jT3_P12ihipStream_tbPNSt15iterator_traitsISE_E10value_typeEPNSK_ISF_E10value_typeEPSG_NS1_7vsmem_tEENKUlT_SE_SF_SG_E_clIS8_S8_S9_S9_EESD_ST_SE_SF_SG_EUlST_E1_NS1_11comp_targetILNS1_3genE9ELNS1_11target_archE1100ELNS1_3gpuE3ELNS1_3repE0EEENS1_36merge_oddeven_config_static_selectorELNS0_4arch9wavefront6targetE0EEEvSF_.has_dyn_sized_stack, 0
	.set _ZN7rocprim17ROCPRIM_400000_NS6detail17trampoline_kernelINS0_14default_configENS1_38merge_sort_block_merge_config_selectorIhNS0_10empty_typeEEEZZNS1_27merge_sort_block_merge_implIS3_PhPS5_jNS1_19radix_merge_compareILb0ELb1EhNS0_19identity_decomposerEEEEE10hipError_tT0_T1_T2_jT3_P12ihipStream_tbPNSt15iterator_traitsISE_E10value_typeEPNSK_ISF_E10value_typeEPSG_NS1_7vsmem_tEENKUlT_SE_SF_SG_E_clIS8_S8_S9_S9_EESD_ST_SE_SF_SG_EUlST_E1_NS1_11comp_targetILNS1_3genE9ELNS1_11target_archE1100ELNS1_3gpuE3ELNS1_3repE0EEENS1_36merge_oddeven_config_static_selectorELNS0_4arch9wavefront6targetE0EEEvSF_.has_recursion, 0
	.set _ZN7rocprim17ROCPRIM_400000_NS6detail17trampoline_kernelINS0_14default_configENS1_38merge_sort_block_merge_config_selectorIhNS0_10empty_typeEEEZZNS1_27merge_sort_block_merge_implIS3_PhPS5_jNS1_19radix_merge_compareILb0ELb1EhNS0_19identity_decomposerEEEEE10hipError_tT0_T1_T2_jT3_P12ihipStream_tbPNSt15iterator_traitsISE_E10value_typeEPNSK_ISF_E10value_typeEPSG_NS1_7vsmem_tEENKUlT_SE_SF_SG_E_clIS8_S8_S9_S9_EESD_ST_SE_SF_SG_EUlST_E1_NS1_11comp_targetILNS1_3genE9ELNS1_11target_archE1100ELNS1_3gpuE3ELNS1_3repE0EEENS1_36merge_oddeven_config_static_selectorELNS0_4arch9wavefront6targetE0EEEvSF_.has_indirect_call, 0
	.section	.AMDGPU.csdata,"",@progbits
; Kernel info:
; codeLenInByte = 0
; TotalNumSgprs: 0
; NumVgprs: 0
; ScratchSize: 0
; MemoryBound: 0
; FloatMode: 240
; IeeeMode: 1
; LDSByteSize: 0 bytes/workgroup (compile time only)
; SGPRBlocks: 0
; VGPRBlocks: 0
; NumSGPRsForWavesPerEU: 1
; NumVGPRsForWavesPerEU: 1
; NamedBarCnt: 0
; Occupancy: 16
; WaveLimiterHint : 0
; COMPUTE_PGM_RSRC2:SCRATCH_EN: 0
; COMPUTE_PGM_RSRC2:USER_SGPR: 2
; COMPUTE_PGM_RSRC2:TRAP_HANDLER: 0
; COMPUTE_PGM_RSRC2:TGID_X_EN: 1
; COMPUTE_PGM_RSRC2:TGID_Y_EN: 0
; COMPUTE_PGM_RSRC2:TGID_Z_EN: 0
; COMPUTE_PGM_RSRC2:TIDIG_COMP_CNT: 0
	.section	.text._ZN7rocprim17ROCPRIM_400000_NS6detail17trampoline_kernelINS0_14default_configENS1_38merge_sort_block_merge_config_selectorIhNS0_10empty_typeEEEZZNS1_27merge_sort_block_merge_implIS3_PhPS5_jNS1_19radix_merge_compareILb0ELb1EhNS0_19identity_decomposerEEEEE10hipError_tT0_T1_T2_jT3_P12ihipStream_tbPNSt15iterator_traitsISE_E10value_typeEPNSK_ISF_E10value_typeEPSG_NS1_7vsmem_tEENKUlT_SE_SF_SG_E_clIS8_S8_S9_S9_EESD_ST_SE_SF_SG_EUlST_E1_NS1_11comp_targetILNS1_3genE8ELNS1_11target_archE1030ELNS1_3gpuE2ELNS1_3repE0EEENS1_36merge_oddeven_config_static_selectorELNS0_4arch9wavefront6targetE0EEEvSF_,"axG",@progbits,_ZN7rocprim17ROCPRIM_400000_NS6detail17trampoline_kernelINS0_14default_configENS1_38merge_sort_block_merge_config_selectorIhNS0_10empty_typeEEEZZNS1_27merge_sort_block_merge_implIS3_PhPS5_jNS1_19radix_merge_compareILb0ELb1EhNS0_19identity_decomposerEEEEE10hipError_tT0_T1_T2_jT3_P12ihipStream_tbPNSt15iterator_traitsISE_E10value_typeEPNSK_ISF_E10value_typeEPSG_NS1_7vsmem_tEENKUlT_SE_SF_SG_E_clIS8_S8_S9_S9_EESD_ST_SE_SF_SG_EUlST_E1_NS1_11comp_targetILNS1_3genE8ELNS1_11target_archE1030ELNS1_3gpuE2ELNS1_3repE0EEENS1_36merge_oddeven_config_static_selectorELNS0_4arch9wavefront6targetE0EEEvSF_,comdat
	.protected	_ZN7rocprim17ROCPRIM_400000_NS6detail17trampoline_kernelINS0_14default_configENS1_38merge_sort_block_merge_config_selectorIhNS0_10empty_typeEEEZZNS1_27merge_sort_block_merge_implIS3_PhPS5_jNS1_19radix_merge_compareILb0ELb1EhNS0_19identity_decomposerEEEEE10hipError_tT0_T1_T2_jT3_P12ihipStream_tbPNSt15iterator_traitsISE_E10value_typeEPNSK_ISF_E10value_typeEPSG_NS1_7vsmem_tEENKUlT_SE_SF_SG_E_clIS8_S8_S9_S9_EESD_ST_SE_SF_SG_EUlST_E1_NS1_11comp_targetILNS1_3genE8ELNS1_11target_archE1030ELNS1_3gpuE2ELNS1_3repE0EEENS1_36merge_oddeven_config_static_selectorELNS0_4arch9wavefront6targetE0EEEvSF_ ; -- Begin function _ZN7rocprim17ROCPRIM_400000_NS6detail17trampoline_kernelINS0_14default_configENS1_38merge_sort_block_merge_config_selectorIhNS0_10empty_typeEEEZZNS1_27merge_sort_block_merge_implIS3_PhPS5_jNS1_19radix_merge_compareILb0ELb1EhNS0_19identity_decomposerEEEEE10hipError_tT0_T1_T2_jT3_P12ihipStream_tbPNSt15iterator_traitsISE_E10value_typeEPNSK_ISF_E10value_typeEPSG_NS1_7vsmem_tEENKUlT_SE_SF_SG_E_clIS8_S8_S9_S9_EESD_ST_SE_SF_SG_EUlST_E1_NS1_11comp_targetILNS1_3genE8ELNS1_11target_archE1030ELNS1_3gpuE2ELNS1_3repE0EEENS1_36merge_oddeven_config_static_selectorELNS0_4arch9wavefront6targetE0EEEvSF_
	.globl	_ZN7rocprim17ROCPRIM_400000_NS6detail17trampoline_kernelINS0_14default_configENS1_38merge_sort_block_merge_config_selectorIhNS0_10empty_typeEEEZZNS1_27merge_sort_block_merge_implIS3_PhPS5_jNS1_19radix_merge_compareILb0ELb1EhNS0_19identity_decomposerEEEEE10hipError_tT0_T1_T2_jT3_P12ihipStream_tbPNSt15iterator_traitsISE_E10value_typeEPNSK_ISF_E10value_typeEPSG_NS1_7vsmem_tEENKUlT_SE_SF_SG_E_clIS8_S8_S9_S9_EESD_ST_SE_SF_SG_EUlST_E1_NS1_11comp_targetILNS1_3genE8ELNS1_11target_archE1030ELNS1_3gpuE2ELNS1_3repE0EEENS1_36merge_oddeven_config_static_selectorELNS0_4arch9wavefront6targetE0EEEvSF_
	.p2align	8
	.type	_ZN7rocprim17ROCPRIM_400000_NS6detail17trampoline_kernelINS0_14default_configENS1_38merge_sort_block_merge_config_selectorIhNS0_10empty_typeEEEZZNS1_27merge_sort_block_merge_implIS3_PhPS5_jNS1_19radix_merge_compareILb0ELb1EhNS0_19identity_decomposerEEEEE10hipError_tT0_T1_T2_jT3_P12ihipStream_tbPNSt15iterator_traitsISE_E10value_typeEPNSK_ISF_E10value_typeEPSG_NS1_7vsmem_tEENKUlT_SE_SF_SG_E_clIS8_S8_S9_S9_EESD_ST_SE_SF_SG_EUlST_E1_NS1_11comp_targetILNS1_3genE8ELNS1_11target_archE1030ELNS1_3gpuE2ELNS1_3repE0EEENS1_36merge_oddeven_config_static_selectorELNS0_4arch9wavefront6targetE0EEEvSF_,@function
_ZN7rocprim17ROCPRIM_400000_NS6detail17trampoline_kernelINS0_14default_configENS1_38merge_sort_block_merge_config_selectorIhNS0_10empty_typeEEEZZNS1_27merge_sort_block_merge_implIS3_PhPS5_jNS1_19radix_merge_compareILb0ELb1EhNS0_19identity_decomposerEEEEE10hipError_tT0_T1_T2_jT3_P12ihipStream_tbPNSt15iterator_traitsISE_E10value_typeEPNSK_ISF_E10value_typeEPSG_NS1_7vsmem_tEENKUlT_SE_SF_SG_E_clIS8_S8_S9_S9_EESD_ST_SE_SF_SG_EUlST_E1_NS1_11comp_targetILNS1_3genE8ELNS1_11target_archE1030ELNS1_3gpuE2ELNS1_3repE0EEENS1_36merge_oddeven_config_static_selectorELNS0_4arch9wavefront6targetE0EEEvSF_: ; @_ZN7rocprim17ROCPRIM_400000_NS6detail17trampoline_kernelINS0_14default_configENS1_38merge_sort_block_merge_config_selectorIhNS0_10empty_typeEEEZZNS1_27merge_sort_block_merge_implIS3_PhPS5_jNS1_19radix_merge_compareILb0ELb1EhNS0_19identity_decomposerEEEEE10hipError_tT0_T1_T2_jT3_P12ihipStream_tbPNSt15iterator_traitsISE_E10value_typeEPNSK_ISF_E10value_typeEPSG_NS1_7vsmem_tEENKUlT_SE_SF_SG_E_clIS8_S8_S9_S9_EESD_ST_SE_SF_SG_EUlST_E1_NS1_11comp_targetILNS1_3genE8ELNS1_11target_archE1030ELNS1_3gpuE2ELNS1_3repE0EEENS1_36merge_oddeven_config_static_selectorELNS0_4arch9wavefront6targetE0EEEvSF_
; %bb.0:
	.section	.rodata,"a",@progbits
	.p2align	6, 0x0
	.amdhsa_kernel _ZN7rocprim17ROCPRIM_400000_NS6detail17trampoline_kernelINS0_14default_configENS1_38merge_sort_block_merge_config_selectorIhNS0_10empty_typeEEEZZNS1_27merge_sort_block_merge_implIS3_PhPS5_jNS1_19radix_merge_compareILb0ELb1EhNS0_19identity_decomposerEEEEE10hipError_tT0_T1_T2_jT3_P12ihipStream_tbPNSt15iterator_traitsISE_E10value_typeEPNSK_ISF_E10value_typeEPSG_NS1_7vsmem_tEENKUlT_SE_SF_SG_E_clIS8_S8_S9_S9_EESD_ST_SE_SF_SG_EUlST_E1_NS1_11comp_targetILNS1_3genE8ELNS1_11target_archE1030ELNS1_3gpuE2ELNS1_3repE0EEENS1_36merge_oddeven_config_static_selectorELNS0_4arch9wavefront6targetE0EEEvSF_
		.amdhsa_group_segment_fixed_size 0
		.amdhsa_private_segment_fixed_size 0
		.amdhsa_kernarg_size 48
		.amdhsa_user_sgpr_count 2
		.amdhsa_user_sgpr_dispatch_ptr 0
		.amdhsa_user_sgpr_queue_ptr 0
		.amdhsa_user_sgpr_kernarg_segment_ptr 1
		.amdhsa_user_sgpr_dispatch_id 0
		.amdhsa_user_sgpr_kernarg_preload_length 0
		.amdhsa_user_sgpr_kernarg_preload_offset 0
		.amdhsa_user_sgpr_private_segment_size 0
		.amdhsa_wavefront_size32 1
		.amdhsa_uses_dynamic_stack 0
		.amdhsa_enable_private_segment 0
		.amdhsa_system_sgpr_workgroup_id_x 1
		.amdhsa_system_sgpr_workgroup_id_y 0
		.amdhsa_system_sgpr_workgroup_id_z 0
		.amdhsa_system_sgpr_workgroup_info 0
		.amdhsa_system_vgpr_workitem_id 0
		.amdhsa_next_free_vgpr 1
		.amdhsa_next_free_sgpr 1
		.amdhsa_named_barrier_count 0
		.amdhsa_reserve_vcc 0
		.amdhsa_float_round_mode_32 0
		.amdhsa_float_round_mode_16_64 0
		.amdhsa_float_denorm_mode_32 3
		.amdhsa_float_denorm_mode_16_64 3
		.amdhsa_fp16_overflow 0
		.amdhsa_memory_ordered 1
		.amdhsa_forward_progress 1
		.amdhsa_inst_pref_size 0
		.amdhsa_round_robin_scheduling 0
		.amdhsa_exception_fp_ieee_invalid_op 0
		.amdhsa_exception_fp_denorm_src 0
		.amdhsa_exception_fp_ieee_div_zero 0
		.amdhsa_exception_fp_ieee_overflow 0
		.amdhsa_exception_fp_ieee_underflow 0
		.amdhsa_exception_fp_ieee_inexact 0
		.amdhsa_exception_int_div_zero 0
	.end_amdhsa_kernel
	.section	.text._ZN7rocprim17ROCPRIM_400000_NS6detail17trampoline_kernelINS0_14default_configENS1_38merge_sort_block_merge_config_selectorIhNS0_10empty_typeEEEZZNS1_27merge_sort_block_merge_implIS3_PhPS5_jNS1_19radix_merge_compareILb0ELb1EhNS0_19identity_decomposerEEEEE10hipError_tT0_T1_T2_jT3_P12ihipStream_tbPNSt15iterator_traitsISE_E10value_typeEPNSK_ISF_E10value_typeEPSG_NS1_7vsmem_tEENKUlT_SE_SF_SG_E_clIS8_S8_S9_S9_EESD_ST_SE_SF_SG_EUlST_E1_NS1_11comp_targetILNS1_3genE8ELNS1_11target_archE1030ELNS1_3gpuE2ELNS1_3repE0EEENS1_36merge_oddeven_config_static_selectorELNS0_4arch9wavefront6targetE0EEEvSF_,"axG",@progbits,_ZN7rocprim17ROCPRIM_400000_NS6detail17trampoline_kernelINS0_14default_configENS1_38merge_sort_block_merge_config_selectorIhNS0_10empty_typeEEEZZNS1_27merge_sort_block_merge_implIS3_PhPS5_jNS1_19radix_merge_compareILb0ELb1EhNS0_19identity_decomposerEEEEE10hipError_tT0_T1_T2_jT3_P12ihipStream_tbPNSt15iterator_traitsISE_E10value_typeEPNSK_ISF_E10value_typeEPSG_NS1_7vsmem_tEENKUlT_SE_SF_SG_E_clIS8_S8_S9_S9_EESD_ST_SE_SF_SG_EUlST_E1_NS1_11comp_targetILNS1_3genE8ELNS1_11target_archE1030ELNS1_3gpuE2ELNS1_3repE0EEENS1_36merge_oddeven_config_static_selectorELNS0_4arch9wavefront6targetE0EEEvSF_,comdat
.Lfunc_end200:
	.size	_ZN7rocprim17ROCPRIM_400000_NS6detail17trampoline_kernelINS0_14default_configENS1_38merge_sort_block_merge_config_selectorIhNS0_10empty_typeEEEZZNS1_27merge_sort_block_merge_implIS3_PhPS5_jNS1_19radix_merge_compareILb0ELb1EhNS0_19identity_decomposerEEEEE10hipError_tT0_T1_T2_jT3_P12ihipStream_tbPNSt15iterator_traitsISE_E10value_typeEPNSK_ISF_E10value_typeEPSG_NS1_7vsmem_tEENKUlT_SE_SF_SG_E_clIS8_S8_S9_S9_EESD_ST_SE_SF_SG_EUlST_E1_NS1_11comp_targetILNS1_3genE8ELNS1_11target_archE1030ELNS1_3gpuE2ELNS1_3repE0EEENS1_36merge_oddeven_config_static_selectorELNS0_4arch9wavefront6targetE0EEEvSF_, .Lfunc_end200-_ZN7rocprim17ROCPRIM_400000_NS6detail17trampoline_kernelINS0_14default_configENS1_38merge_sort_block_merge_config_selectorIhNS0_10empty_typeEEEZZNS1_27merge_sort_block_merge_implIS3_PhPS5_jNS1_19radix_merge_compareILb0ELb1EhNS0_19identity_decomposerEEEEE10hipError_tT0_T1_T2_jT3_P12ihipStream_tbPNSt15iterator_traitsISE_E10value_typeEPNSK_ISF_E10value_typeEPSG_NS1_7vsmem_tEENKUlT_SE_SF_SG_E_clIS8_S8_S9_S9_EESD_ST_SE_SF_SG_EUlST_E1_NS1_11comp_targetILNS1_3genE8ELNS1_11target_archE1030ELNS1_3gpuE2ELNS1_3repE0EEENS1_36merge_oddeven_config_static_selectorELNS0_4arch9wavefront6targetE0EEEvSF_
                                        ; -- End function
	.set _ZN7rocprim17ROCPRIM_400000_NS6detail17trampoline_kernelINS0_14default_configENS1_38merge_sort_block_merge_config_selectorIhNS0_10empty_typeEEEZZNS1_27merge_sort_block_merge_implIS3_PhPS5_jNS1_19radix_merge_compareILb0ELb1EhNS0_19identity_decomposerEEEEE10hipError_tT0_T1_T2_jT3_P12ihipStream_tbPNSt15iterator_traitsISE_E10value_typeEPNSK_ISF_E10value_typeEPSG_NS1_7vsmem_tEENKUlT_SE_SF_SG_E_clIS8_S8_S9_S9_EESD_ST_SE_SF_SG_EUlST_E1_NS1_11comp_targetILNS1_3genE8ELNS1_11target_archE1030ELNS1_3gpuE2ELNS1_3repE0EEENS1_36merge_oddeven_config_static_selectorELNS0_4arch9wavefront6targetE0EEEvSF_.num_vgpr, 0
	.set _ZN7rocprim17ROCPRIM_400000_NS6detail17trampoline_kernelINS0_14default_configENS1_38merge_sort_block_merge_config_selectorIhNS0_10empty_typeEEEZZNS1_27merge_sort_block_merge_implIS3_PhPS5_jNS1_19radix_merge_compareILb0ELb1EhNS0_19identity_decomposerEEEEE10hipError_tT0_T1_T2_jT3_P12ihipStream_tbPNSt15iterator_traitsISE_E10value_typeEPNSK_ISF_E10value_typeEPSG_NS1_7vsmem_tEENKUlT_SE_SF_SG_E_clIS8_S8_S9_S9_EESD_ST_SE_SF_SG_EUlST_E1_NS1_11comp_targetILNS1_3genE8ELNS1_11target_archE1030ELNS1_3gpuE2ELNS1_3repE0EEENS1_36merge_oddeven_config_static_selectorELNS0_4arch9wavefront6targetE0EEEvSF_.num_agpr, 0
	.set _ZN7rocprim17ROCPRIM_400000_NS6detail17trampoline_kernelINS0_14default_configENS1_38merge_sort_block_merge_config_selectorIhNS0_10empty_typeEEEZZNS1_27merge_sort_block_merge_implIS3_PhPS5_jNS1_19radix_merge_compareILb0ELb1EhNS0_19identity_decomposerEEEEE10hipError_tT0_T1_T2_jT3_P12ihipStream_tbPNSt15iterator_traitsISE_E10value_typeEPNSK_ISF_E10value_typeEPSG_NS1_7vsmem_tEENKUlT_SE_SF_SG_E_clIS8_S8_S9_S9_EESD_ST_SE_SF_SG_EUlST_E1_NS1_11comp_targetILNS1_3genE8ELNS1_11target_archE1030ELNS1_3gpuE2ELNS1_3repE0EEENS1_36merge_oddeven_config_static_selectorELNS0_4arch9wavefront6targetE0EEEvSF_.numbered_sgpr, 0
	.set _ZN7rocprim17ROCPRIM_400000_NS6detail17trampoline_kernelINS0_14default_configENS1_38merge_sort_block_merge_config_selectorIhNS0_10empty_typeEEEZZNS1_27merge_sort_block_merge_implIS3_PhPS5_jNS1_19radix_merge_compareILb0ELb1EhNS0_19identity_decomposerEEEEE10hipError_tT0_T1_T2_jT3_P12ihipStream_tbPNSt15iterator_traitsISE_E10value_typeEPNSK_ISF_E10value_typeEPSG_NS1_7vsmem_tEENKUlT_SE_SF_SG_E_clIS8_S8_S9_S9_EESD_ST_SE_SF_SG_EUlST_E1_NS1_11comp_targetILNS1_3genE8ELNS1_11target_archE1030ELNS1_3gpuE2ELNS1_3repE0EEENS1_36merge_oddeven_config_static_selectorELNS0_4arch9wavefront6targetE0EEEvSF_.num_named_barrier, 0
	.set _ZN7rocprim17ROCPRIM_400000_NS6detail17trampoline_kernelINS0_14default_configENS1_38merge_sort_block_merge_config_selectorIhNS0_10empty_typeEEEZZNS1_27merge_sort_block_merge_implIS3_PhPS5_jNS1_19radix_merge_compareILb0ELb1EhNS0_19identity_decomposerEEEEE10hipError_tT0_T1_T2_jT3_P12ihipStream_tbPNSt15iterator_traitsISE_E10value_typeEPNSK_ISF_E10value_typeEPSG_NS1_7vsmem_tEENKUlT_SE_SF_SG_E_clIS8_S8_S9_S9_EESD_ST_SE_SF_SG_EUlST_E1_NS1_11comp_targetILNS1_3genE8ELNS1_11target_archE1030ELNS1_3gpuE2ELNS1_3repE0EEENS1_36merge_oddeven_config_static_selectorELNS0_4arch9wavefront6targetE0EEEvSF_.private_seg_size, 0
	.set _ZN7rocprim17ROCPRIM_400000_NS6detail17trampoline_kernelINS0_14default_configENS1_38merge_sort_block_merge_config_selectorIhNS0_10empty_typeEEEZZNS1_27merge_sort_block_merge_implIS3_PhPS5_jNS1_19radix_merge_compareILb0ELb1EhNS0_19identity_decomposerEEEEE10hipError_tT0_T1_T2_jT3_P12ihipStream_tbPNSt15iterator_traitsISE_E10value_typeEPNSK_ISF_E10value_typeEPSG_NS1_7vsmem_tEENKUlT_SE_SF_SG_E_clIS8_S8_S9_S9_EESD_ST_SE_SF_SG_EUlST_E1_NS1_11comp_targetILNS1_3genE8ELNS1_11target_archE1030ELNS1_3gpuE2ELNS1_3repE0EEENS1_36merge_oddeven_config_static_selectorELNS0_4arch9wavefront6targetE0EEEvSF_.uses_vcc, 0
	.set _ZN7rocprim17ROCPRIM_400000_NS6detail17trampoline_kernelINS0_14default_configENS1_38merge_sort_block_merge_config_selectorIhNS0_10empty_typeEEEZZNS1_27merge_sort_block_merge_implIS3_PhPS5_jNS1_19radix_merge_compareILb0ELb1EhNS0_19identity_decomposerEEEEE10hipError_tT0_T1_T2_jT3_P12ihipStream_tbPNSt15iterator_traitsISE_E10value_typeEPNSK_ISF_E10value_typeEPSG_NS1_7vsmem_tEENKUlT_SE_SF_SG_E_clIS8_S8_S9_S9_EESD_ST_SE_SF_SG_EUlST_E1_NS1_11comp_targetILNS1_3genE8ELNS1_11target_archE1030ELNS1_3gpuE2ELNS1_3repE0EEENS1_36merge_oddeven_config_static_selectorELNS0_4arch9wavefront6targetE0EEEvSF_.uses_flat_scratch, 0
	.set _ZN7rocprim17ROCPRIM_400000_NS6detail17trampoline_kernelINS0_14default_configENS1_38merge_sort_block_merge_config_selectorIhNS0_10empty_typeEEEZZNS1_27merge_sort_block_merge_implIS3_PhPS5_jNS1_19radix_merge_compareILb0ELb1EhNS0_19identity_decomposerEEEEE10hipError_tT0_T1_T2_jT3_P12ihipStream_tbPNSt15iterator_traitsISE_E10value_typeEPNSK_ISF_E10value_typeEPSG_NS1_7vsmem_tEENKUlT_SE_SF_SG_E_clIS8_S8_S9_S9_EESD_ST_SE_SF_SG_EUlST_E1_NS1_11comp_targetILNS1_3genE8ELNS1_11target_archE1030ELNS1_3gpuE2ELNS1_3repE0EEENS1_36merge_oddeven_config_static_selectorELNS0_4arch9wavefront6targetE0EEEvSF_.has_dyn_sized_stack, 0
	.set _ZN7rocprim17ROCPRIM_400000_NS6detail17trampoline_kernelINS0_14default_configENS1_38merge_sort_block_merge_config_selectorIhNS0_10empty_typeEEEZZNS1_27merge_sort_block_merge_implIS3_PhPS5_jNS1_19radix_merge_compareILb0ELb1EhNS0_19identity_decomposerEEEEE10hipError_tT0_T1_T2_jT3_P12ihipStream_tbPNSt15iterator_traitsISE_E10value_typeEPNSK_ISF_E10value_typeEPSG_NS1_7vsmem_tEENKUlT_SE_SF_SG_E_clIS8_S8_S9_S9_EESD_ST_SE_SF_SG_EUlST_E1_NS1_11comp_targetILNS1_3genE8ELNS1_11target_archE1030ELNS1_3gpuE2ELNS1_3repE0EEENS1_36merge_oddeven_config_static_selectorELNS0_4arch9wavefront6targetE0EEEvSF_.has_recursion, 0
	.set _ZN7rocprim17ROCPRIM_400000_NS6detail17trampoline_kernelINS0_14default_configENS1_38merge_sort_block_merge_config_selectorIhNS0_10empty_typeEEEZZNS1_27merge_sort_block_merge_implIS3_PhPS5_jNS1_19radix_merge_compareILb0ELb1EhNS0_19identity_decomposerEEEEE10hipError_tT0_T1_T2_jT3_P12ihipStream_tbPNSt15iterator_traitsISE_E10value_typeEPNSK_ISF_E10value_typeEPSG_NS1_7vsmem_tEENKUlT_SE_SF_SG_E_clIS8_S8_S9_S9_EESD_ST_SE_SF_SG_EUlST_E1_NS1_11comp_targetILNS1_3genE8ELNS1_11target_archE1030ELNS1_3gpuE2ELNS1_3repE0EEENS1_36merge_oddeven_config_static_selectorELNS0_4arch9wavefront6targetE0EEEvSF_.has_indirect_call, 0
	.section	.AMDGPU.csdata,"",@progbits
; Kernel info:
; codeLenInByte = 0
; TotalNumSgprs: 0
; NumVgprs: 0
; ScratchSize: 0
; MemoryBound: 0
; FloatMode: 240
; IeeeMode: 1
; LDSByteSize: 0 bytes/workgroup (compile time only)
; SGPRBlocks: 0
; VGPRBlocks: 0
; NumSGPRsForWavesPerEU: 1
; NumVGPRsForWavesPerEU: 1
; NamedBarCnt: 0
; Occupancy: 16
; WaveLimiterHint : 0
; COMPUTE_PGM_RSRC2:SCRATCH_EN: 0
; COMPUTE_PGM_RSRC2:USER_SGPR: 2
; COMPUTE_PGM_RSRC2:TRAP_HANDLER: 0
; COMPUTE_PGM_RSRC2:TGID_X_EN: 1
; COMPUTE_PGM_RSRC2:TGID_Y_EN: 0
; COMPUTE_PGM_RSRC2:TGID_Z_EN: 0
; COMPUTE_PGM_RSRC2:TIDIG_COMP_CNT: 0
	.section	.text._ZN7rocprim17ROCPRIM_400000_NS6detail17trampoline_kernelINS0_14default_configENS1_35radix_sort_onesweep_config_selectorIhNS0_10empty_typeEEEZNS1_34radix_sort_onesweep_global_offsetsIS3_Lb0EPKhPS5_mNS0_19identity_decomposerEEE10hipError_tT1_T2_PT3_SF_jT4_jjP12ihipStream_tbEUlT_E_NS1_11comp_targetILNS1_3genE0ELNS1_11target_archE4294967295ELNS1_3gpuE0ELNS1_3repE0EEENS1_52radix_sort_onesweep_histogram_config_static_selectorELNS0_4arch9wavefront6targetE0EEEvSD_,"axG",@progbits,_ZN7rocprim17ROCPRIM_400000_NS6detail17trampoline_kernelINS0_14default_configENS1_35radix_sort_onesweep_config_selectorIhNS0_10empty_typeEEEZNS1_34radix_sort_onesweep_global_offsetsIS3_Lb0EPKhPS5_mNS0_19identity_decomposerEEE10hipError_tT1_T2_PT3_SF_jT4_jjP12ihipStream_tbEUlT_E_NS1_11comp_targetILNS1_3genE0ELNS1_11target_archE4294967295ELNS1_3gpuE0ELNS1_3repE0EEENS1_52radix_sort_onesweep_histogram_config_static_selectorELNS0_4arch9wavefront6targetE0EEEvSD_,comdat
	.protected	_ZN7rocprim17ROCPRIM_400000_NS6detail17trampoline_kernelINS0_14default_configENS1_35radix_sort_onesweep_config_selectorIhNS0_10empty_typeEEEZNS1_34radix_sort_onesweep_global_offsetsIS3_Lb0EPKhPS5_mNS0_19identity_decomposerEEE10hipError_tT1_T2_PT3_SF_jT4_jjP12ihipStream_tbEUlT_E_NS1_11comp_targetILNS1_3genE0ELNS1_11target_archE4294967295ELNS1_3gpuE0ELNS1_3repE0EEENS1_52radix_sort_onesweep_histogram_config_static_selectorELNS0_4arch9wavefront6targetE0EEEvSD_ ; -- Begin function _ZN7rocprim17ROCPRIM_400000_NS6detail17trampoline_kernelINS0_14default_configENS1_35radix_sort_onesweep_config_selectorIhNS0_10empty_typeEEEZNS1_34radix_sort_onesweep_global_offsetsIS3_Lb0EPKhPS5_mNS0_19identity_decomposerEEE10hipError_tT1_T2_PT3_SF_jT4_jjP12ihipStream_tbEUlT_E_NS1_11comp_targetILNS1_3genE0ELNS1_11target_archE4294967295ELNS1_3gpuE0ELNS1_3repE0EEENS1_52radix_sort_onesweep_histogram_config_static_selectorELNS0_4arch9wavefront6targetE0EEEvSD_
	.globl	_ZN7rocprim17ROCPRIM_400000_NS6detail17trampoline_kernelINS0_14default_configENS1_35radix_sort_onesweep_config_selectorIhNS0_10empty_typeEEEZNS1_34radix_sort_onesweep_global_offsetsIS3_Lb0EPKhPS5_mNS0_19identity_decomposerEEE10hipError_tT1_T2_PT3_SF_jT4_jjP12ihipStream_tbEUlT_E_NS1_11comp_targetILNS1_3genE0ELNS1_11target_archE4294967295ELNS1_3gpuE0ELNS1_3repE0EEENS1_52radix_sort_onesweep_histogram_config_static_selectorELNS0_4arch9wavefront6targetE0EEEvSD_
	.p2align	8
	.type	_ZN7rocprim17ROCPRIM_400000_NS6detail17trampoline_kernelINS0_14default_configENS1_35radix_sort_onesweep_config_selectorIhNS0_10empty_typeEEEZNS1_34radix_sort_onesweep_global_offsetsIS3_Lb0EPKhPS5_mNS0_19identity_decomposerEEE10hipError_tT1_T2_PT3_SF_jT4_jjP12ihipStream_tbEUlT_E_NS1_11comp_targetILNS1_3genE0ELNS1_11target_archE4294967295ELNS1_3gpuE0ELNS1_3repE0EEENS1_52radix_sort_onesweep_histogram_config_static_selectorELNS0_4arch9wavefront6targetE0EEEvSD_,@function
_ZN7rocprim17ROCPRIM_400000_NS6detail17trampoline_kernelINS0_14default_configENS1_35radix_sort_onesweep_config_selectorIhNS0_10empty_typeEEEZNS1_34radix_sort_onesweep_global_offsetsIS3_Lb0EPKhPS5_mNS0_19identity_decomposerEEE10hipError_tT1_T2_PT3_SF_jT4_jjP12ihipStream_tbEUlT_E_NS1_11comp_targetILNS1_3genE0ELNS1_11target_archE4294967295ELNS1_3gpuE0ELNS1_3repE0EEENS1_52radix_sort_onesweep_histogram_config_static_selectorELNS0_4arch9wavefront6targetE0EEEvSD_: ; @_ZN7rocprim17ROCPRIM_400000_NS6detail17trampoline_kernelINS0_14default_configENS1_35radix_sort_onesweep_config_selectorIhNS0_10empty_typeEEEZNS1_34radix_sort_onesweep_global_offsetsIS3_Lb0EPKhPS5_mNS0_19identity_decomposerEEE10hipError_tT1_T2_PT3_SF_jT4_jjP12ihipStream_tbEUlT_E_NS1_11comp_targetILNS1_3genE0ELNS1_11target_archE4294967295ELNS1_3gpuE0ELNS1_3repE0EEENS1_52radix_sort_onesweep_histogram_config_static_selectorELNS0_4arch9wavefront6targetE0EEEvSD_
; %bb.0:
	s_clause 0x1
	s_load_b64 s[8:9], s[0:1], 0x18
	s_load_b128 s[4:7], s[0:1], 0x0
	s_bfe_u32 s10, ttmp6, 0x4000c
	s_load_b64 s[2:3], s[0:1], 0x24
	s_add_co_i32 s10, s10, 1
	s_and_b32 s11, ttmp6, 15
	s_mul_i32 s10, ttmp9, s10
	s_getreg_b32 s12, hwreg(HW_REG_IB_STS2, 6, 4)
	s_add_co_i32 s10, s11, s10
	s_cmp_eq_u32 s12, 0
	s_mov_b32 s11, 0
	s_cselect_b32 s10, ttmp9, s10
	v_and_b32_e32 v1, 3, v0
	s_wait_kmcnt 0x0
	v_cmp_le_u64_e64 s9, s[8:9], s[10:11]
	s_mul_u64 s[10:11], s[10:11], 0x5800
	s_delay_alu instid0(SALU_CYCLE_1)
	s_add_nc_u64 s[4:5], s[4:5], s[10:11]
	s_and_b32 vcc_lo, exec_lo, s9
	s_mov_b32 s9, -1
	s_cbranch_vccz .LBB201_207
; %bb.1:
	s_load_b32 s1, s[0:1], 0x10
	v_dual_mov_b32 v41, 0 :: v_dual_mov_b32 v43, 0
	s_wait_xcnt 0x0
	s_mul_i32 s0, s8, 0xffffa800
	s_wait_kmcnt 0x0
	s_add_co_i32 s1, s1, s0
	s_mov_b32 s0, exec_lo
	v_cmpx_gt_u32_e64 s1, v0
	s_cbranch_execz .LBB201_3
; %bb.2:
	global_load_u8 v43, v0, s[4:5]
.LBB201_3:
	s_wait_xcnt 0x0
	s_or_b32 exec_lo, exec_lo, s0
	v_or_b32_e32 v44, 0x400, v0
	s_mov_b32 s0, exec_lo
	s_delay_alu instid0(VALU_DEP_1)
	v_cmpx_gt_u32_e64 s1, v44
	s_cbranch_execz .LBB201_5
; %bb.4:
	global_load_u8 v41, v0, s[4:5] offset:1024
.LBB201_5:
	s_wait_xcnt 0x0
	s_or_b32 exec_lo, exec_lo, s0
	v_or_b32_e32 v42, 0x800, v0
	v_dual_mov_b32 v37, 0 :: v_dual_mov_b32 v40, 0
	s_mov_b32 s0, exec_lo
	s_delay_alu instid0(VALU_DEP_2)
	v_cmpx_gt_u32_e64 s1, v42
	s_cbranch_execz .LBB201_7
; %bb.6:
	global_load_u8 v40, v0, s[4:5] offset:2048
.LBB201_7:
	s_wait_xcnt 0x0
	s_or_b32 exec_lo, exec_lo, s0
	v_or_b32_e32 v39, 0xc00, v0
	s_mov_b32 s0, exec_lo
	s_delay_alu instid0(VALU_DEP_1)
	v_cmpx_gt_u32_e64 s1, v39
	s_cbranch_execz .LBB201_9
; %bb.8:
	global_load_u8 v37, v0, s[4:5] offset:3072
.LBB201_9:
	s_wait_xcnt 0x0
	s_or_b32 exec_lo, exec_lo, s0
	v_or_b32_e32 v38, 0x1000, v0
	v_dual_mov_b32 v33, 0 :: v_dual_mov_b32 v36, 0
	s_mov_b32 s0, exec_lo
	s_delay_alu instid0(VALU_DEP_2)
	v_cmpx_gt_u32_e64 s1, v38
	s_cbranch_execz .LBB201_11
; %bb.10:
	global_load_u8 v36, v0, s[4:5] offset:4096
.LBB201_11:
	s_wait_xcnt 0x0
	s_or_b32 exec_lo, exec_lo, s0
	v_or_b32_e32 v35, 0x1400, v0
	s_mov_b32 s0, exec_lo
	s_delay_alu instid0(VALU_DEP_1)
	v_cmpx_gt_u32_e64 s1, v35
	s_cbranch_execz .LBB201_13
; %bb.12:
	global_load_u8 v33, v0, s[4:5] offset:5120
.LBB201_13:
	s_wait_xcnt 0x0
	s_or_b32 exec_lo, exec_lo, s0
	v_or_b32_e32 v34, 0x1800, v0
	v_dual_mov_b32 v29, 0 :: v_dual_mov_b32 v32, 0
	s_mov_b32 s0, exec_lo
	s_delay_alu instid0(VALU_DEP_2)
	v_cmpx_gt_u32_e64 s1, v34
	s_cbranch_execz .LBB201_15
; %bb.14:
	global_load_u8 v32, v0, s[4:5] offset:6144
.LBB201_15:
	s_wait_xcnt 0x0
	s_or_b32 exec_lo, exec_lo, s0
	v_or_b32_e32 v31, 0x1c00, v0
	s_mov_b32 s0, exec_lo
	s_delay_alu instid0(VALU_DEP_1)
	v_cmpx_gt_u32_e64 s1, v31
	s_cbranch_execz .LBB201_17
; %bb.16:
	global_load_u8 v29, v0, s[4:5] offset:7168
.LBB201_17:
	s_wait_xcnt 0x0
	s_or_b32 exec_lo, exec_lo, s0
	v_or_b32_e32 v30, 0x2000, v0
	v_dual_mov_b32 v25, 0 :: v_dual_mov_b32 v28, 0
	s_mov_b32 s0, exec_lo
	s_delay_alu instid0(VALU_DEP_2)
	v_cmpx_gt_u32_e64 s1, v30
	s_cbranch_execz .LBB201_19
; %bb.18:
	global_load_u8 v28, v0, s[4:5] offset:8192
.LBB201_19:
	s_wait_xcnt 0x0
	s_or_b32 exec_lo, exec_lo, s0
	v_or_b32_e32 v27, 0x2400, v0
	s_mov_b32 s0, exec_lo
	s_delay_alu instid0(VALU_DEP_1)
	v_cmpx_gt_u32_e64 s1, v27
	s_cbranch_execz .LBB201_21
; %bb.20:
	global_load_u8 v25, v0, s[4:5] offset:9216
.LBB201_21:
	s_wait_xcnt 0x0
	s_or_b32 exec_lo, exec_lo, s0
	v_or_b32_e32 v26, 0x2800, v0
	v_dual_mov_b32 v21, 0 :: v_dual_mov_b32 v24, 0
	s_mov_b32 s0, exec_lo
	s_delay_alu instid0(VALU_DEP_2)
	v_cmpx_gt_u32_e64 s1, v26
	s_cbranch_execz .LBB201_23
; %bb.22:
	global_load_u8 v24, v0, s[4:5] offset:10240
.LBB201_23:
	s_wait_xcnt 0x0
	s_or_b32 exec_lo, exec_lo, s0
	v_or_b32_e32 v23, 0x2c00, v0
	s_mov_b32 s0, exec_lo
	s_delay_alu instid0(VALU_DEP_1)
	v_cmpx_gt_u32_e64 s1, v23
	s_cbranch_execz .LBB201_25
; %bb.24:
	global_load_u8 v21, v0, s[4:5] offset:11264
.LBB201_25:
	s_wait_xcnt 0x0
	s_or_b32 exec_lo, exec_lo, s0
	v_or_b32_e32 v22, 0x3000, v0
	v_dual_mov_b32 v17, 0 :: v_dual_mov_b32 v20, 0
	s_mov_b32 s0, exec_lo
	s_delay_alu instid0(VALU_DEP_2)
	v_cmpx_gt_u32_e64 s1, v22
	s_cbranch_execz .LBB201_27
; %bb.26:
	global_load_u8 v20, v0, s[4:5] offset:12288
.LBB201_27:
	s_wait_xcnt 0x0
	s_or_b32 exec_lo, exec_lo, s0
	v_or_b32_e32 v19, 0x3400, v0
	s_mov_b32 s0, exec_lo
	s_delay_alu instid0(VALU_DEP_1)
	v_cmpx_gt_u32_e64 s1, v19
	s_cbranch_execz .LBB201_29
; %bb.28:
	global_load_u8 v17, v0, s[4:5] offset:13312
.LBB201_29:
	s_wait_xcnt 0x0
	s_or_b32 exec_lo, exec_lo, s0
	v_or_b32_e32 v18, 0x3800, v0
	v_dual_mov_b32 v13, 0 :: v_dual_mov_b32 v16, 0
	s_mov_b32 s0, exec_lo
	s_delay_alu instid0(VALU_DEP_2)
	v_cmpx_gt_u32_e64 s1, v18
	s_cbranch_execz .LBB201_31
; %bb.30:
	global_load_u8 v16, v0, s[4:5] offset:14336
.LBB201_31:
	s_wait_xcnt 0x0
	s_or_b32 exec_lo, exec_lo, s0
	v_or_b32_e32 v15, 0x3c00, v0
	s_mov_b32 s0, exec_lo
	s_delay_alu instid0(VALU_DEP_1)
	v_cmpx_gt_u32_e64 s1, v15
	s_cbranch_execz .LBB201_33
; %bb.32:
	global_load_u8 v13, v0, s[4:5] offset:15360
.LBB201_33:
	s_wait_xcnt 0x0
	s_or_b32 exec_lo, exec_lo, s0
	v_or_b32_e32 v14, 0x4000, v0
	v_dual_mov_b32 v9, 0 :: v_dual_mov_b32 v12, 0
	s_mov_b32 s0, exec_lo
	s_delay_alu instid0(VALU_DEP_2)
	v_cmpx_gt_u32_e64 s1, v14
	s_cbranch_execz .LBB201_35
; %bb.34:
	global_load_u8 v12, v0, s[4:5] offset:16384
.LBB201_35:
	s_wait_xcnt 0x0
	s_or_b32 exec_lo, exec_lo, s0
	v_or_b32_e32 v11, 0x4400, v0
	s_mov_b32 s0, exec_lo
	s_delay_alu instid0(VALU_DEP_1)
	v_cmpx_gt_u32_e64 s1, v11
	s_cbranch_execz .LBB201_37
; %bb.36:
	global_load_u8 v9, v0, s[4:5] offset:17408
.LBB201_37:
	s_wait_xcnt 0x0
	s_or_b32 exec_lo, exec_lo, s0
	v_or_b32_e32 v10, 0x4800, v0
	v_dual_mov_b32 v5, 0 :: v_dual_mov_b32 v8, 0
	s_mov_b32 s0, exec_lo
	s_delay_alu instid0(VALU_DEP_2)
	v_cmpx_gt_u32_e64 s1, v10
	s_cbranch_execz .LBB201_39
; %bb.38:
	global_load_u8 v8, v0, s[4:5] offset:18432
.LBB201_39:
	s_wait_xcnt 0x0
	s_or_b32 exec_lo, exec_lo, s0
	v_or_b32_e32 v7, 0x4c00, v0
	s_mov_b32 s0, exec_lo
	s_delay_alu instid0(VALU_DEP_1)
	v_cmpx_gt_u32_e64 s1, v7
	s_cbranch_execz .LBB201_41
; %bb.40:
	global_load_u8 v5, v0, s[4:5] offset:19456
.LBB201_41:
	s_wait_xcnt 0x0
	s_or_b32 exec_lo, exec_lo, s0
	v_or_b32_e32 v6, 0x5000, v0
	v_dual_mov_b32 v2, 0 :: v_dual_mov_b32 v4, 0
	s_mov_b32 s0, exec_lo
	s_delay_alu instid0(VALU_DEP_2)
	v_cmpx_gt_u32_e64 s1, v6
	s_cbranch_execz .LBB201_43
; %bb.42:
	global_load_u8 v4, v0, s[4:5] offset:20480
.LBB201_43:
	s_wait_xcnt 0x0
	s_or_b32 exec_lo, exec_lo, s0
	v_or_b32_e32 v3, 0x5400, v0
	s_mov_b32 s0, exec_lo
	s_delay_alu instid0(VALU_DEP_1)
	v_cmpx_gt_u32_e64 s1, v3
	s_cbranch_execz .LBB201_45
; %bb.44:
	global_load_u8 v2, v0, s[4:5] offset:21504
.LBB201_45:
	s_wait_xcnt 0x0
	s_or_b32 exec_lo, exec_lo, s0
	s_delay_alu instid0(SALU_CYCLE_1)
	s_mov_b32 s0, exec_lo
	v_cmpx_gt_u32_e32 0x80, v0
; %bb.46:
	v_dual_mov_b32 v46, 0 :: v_dual_lshlrev_b32 v45, 2, v0
	ds_store_b32 v45, v46
; %bb.47:
	s_or_b32 exec_lo, exec_lo, s0
	s_cmp_le_u32 s3, s2
	v_cmp_le_u32_e32 vcc_lo, s1, v0
	s_cselect_b32 s8, -1, 0
	s_wait_loadcnt_dscnt 0x0
	s_and_b32 s0, s8, exec_lo
	s_cselect_b32 s9, 8, 10
	s_nor_b32 s10, s8, vcc_lo
	v_mov_b32_e32 v45, s9
	s_barrier_signal -1
	s_barrier_wait -1
	s_and_saveexec_b32 s0, s10
	s_cbranch_execz .LBB201_49
; %bb.48:
	v_dual_lshrrev_b32 v45, s2, v43 :: v_dual_lshlrev_b32 v46, 2, v1
	s_sub_co_i32 s10, s3, s2
	s_delay_alu instid0(SALU_CYCLE_1)
	s_min_u32 s10, s10, 4
	s_delay_alu instid0(VALU_DEP_1) | instid1(SALU_CYCLE_1)
	v_bfe_u32 v45, v45, 0, s10
	s_delay_alu instid0(VALU_DEP_1)
	v_lshl_or_b32 v45, v45, 4, v46
	v_mov_b32_e32 v46, 1
	ds_add_u32 v45, v46
	v_mov_b32_e32 v45, 0
.LBB201_49:
	s_or_b32 exec_lo, exec_lo, s0
	s_mov_b32 s10, -1
	s_mov_b32 s11, exec_lo
	s_delay_alu instid0(VALU_DEP_1)
	v_cmpx_gt_i32_e32 10, v45
; %bb.50:
	v_cmp_eq_u32_e64 s0, 0, v45
	s_or_not1_b32 s10, s0, exec_lo
; %bb.51:
	s_or_b32 exec_lo, exec_lo, s11
	s_and_saveexec_b32 s0, s10
	s_cbranch_execz .LBB201_54
; %bb.52:
	s_add_co_i32 s10, s2, 4
	s_delay_alu instid0(SALU_CYCLE_1) | instskip(SKIP_2) | instid1(SALU_CYCLE_1)
	s_cmp_gt_u32 s3, s10
	s_cselect_b32 s11, -1, 0
	s_xor_b32 s12, vcc_lo, -1
	s_and_b32 s11, s11, s12
	s_delay_alu instid0(SALU_CYCLE_1)
	s_and_b32 exec_lo, exec_lo, s11
	s_cbranch_execz .LBB201_54
; %bb.53:
	v_dual_lshrrev_b32 v43, s10, v43 :: v_dual_lshlrev_b32 v45, 2, v1
	s_sub_co_i32 s10, s3, s10
	s_delay_alu instid0(SALU_CYCLE_1)
	s_min_u32 s10, s10, 4
	s_delay_alu instid0(VALU_DEP_1) | instid1(SALU_CYCLE_1)
	v_bfe_u32 v43, v43, 0, s10
	s_delay_alu instid0(VALU_DEP_1)
	v_lshl_or_b32 v43, v43, 4, v45
	v_mov_b32_e32 v45, 1
	ds_add_u32 v43, v45 offset:256
.LBB201_54:
	s_or_b32 exec_lo, exec_lo, s0
	v_cmp_le_u32_e32 vcc_lo, s1, v44
	v_mov_b32_e32 v43, s9
	s_nor_b32 s10, s8, vcc_lo
	s_delay_alu instid0(SALU_CYCLE_1)
	s_and_saveexec_b32 s0, s10
	s_cbranch_execz .LBB201_56
; %bb.55:
	v_lshrrev_b32_e32 v43, s2, v41
	s_sub_co_i32 s10, s3, s2
	v_lshlrev_b32_e32 v44, 2, v1
	s_min_u32 s10, s10, 4
	s_delay_alu instid0(VALU_DEP_2) | instid1(SALU_CYCLE_1)
	v_bfe_u32 v43, v43, 0, s10
	s_delay_alu instid0(VALU_DEP_1)
	v_lshl_or_b32 v43, v43, 4, v44
	v_mov_b32_e32 v44, 1
	ds_add_u32 v43, v44
	v_mov_b32_e32 v43, 0
.LBB201_56:
	s_or_b32 exec_lo, exec_lo, s0
	s_mov_b32 s10, -1
	s_mov_b32 s11, exec_lo
	s_delay_alu instid0(VALU_DEP_1)
	v_cmpx_gt_i32_e32 10, v43
; %bb.57:
	v_cmp_eq_u32_e64 s0, 0, v43
	s_or_not1_b32 s10, s0, exec_lo
; %bb.58:
	s_or_b32 exec_lo, exec_lo, s11
	s_and_saveexec_b32 s0, s10
	s_cbranch_execz .LBB201_61
; %bb.59:
	s_add_co_i32 s10, s2, 4
	s_delay_alu instid0(SALU_CYCLE_1) | instskip(SKIP_2) | instid1(SALU_CYCLE_1)
	s_cmp_gt_u32 s3, s10
	s_cselect_b32 s11, -1, 0
	s_xor_b32 s12, vcc_lo, -1
	s_and_b32 s11, s11, s12
	s_delay_alu instid0(SALU_CYCLE_1)
	s_and_b32 exec_lo, exec_lo, s11
	s_cbranch_execz .LBB201_61
; %bb.60:
	v_lshrrev_b32_e32 v41, s10, v41
	s_sub_co_i32 s10, s3, s10
	v_lshlrev_b32_e32 v43, 2, v1
	s_min_u32 s10, s10, 4
	s_delay_alu instid0(VALU_DEP_2) | instid1(SALU_CYCLE_1)
	v_bfe_u32 v41, v41, 0, s10
	s_delay_alu instid0(VALU_DEP_1)
	v_lshl_or_b32 v41, v41, 4, v43
	v_mov_b32_e32 v43, 1
	ds_add_u32 v41, v43 offset:256
.LBB201_61:
	s_or_b32 exec_lo, exec_lo, s0
	v_cmp_le_u32_e32 vcc_lo, s1, v42
	v_mov_b32_e32 v41, s9
	s_nor_b32 s10, s8, vcc_lo
	s_delay_alu instid0(SALU_CYCLE_1)
	s_and_saveexec_b32 s0, s10
	s_cbranch_execz .LBB201_63
; %bb.62:
	v_dual_lshrrev_b32 v41, s2, v40 :: v_dual_lshlrev_b32 v42, 2, v1
	s_sub_co_i32 s10, s3, s2
	s_delay_alu instid0(SALU_CYCLE_1)
	s_min_u32 s10, s10, 4
	s_delay_alu instid0(VALU_DEP_1) | instid1(SALU_CYCLE_1)
	v_bfe_u32 v41, v41, 0, s10
	s_delay_alu instid0(VALU_DEP_1)
	v_lshl_or_b32 v41, v41, 4, v42
	v_mov_b32_e32 v42, 1
	ds_add_u32 v41, v42
	v_mov_b32_e32 v41, 0
.LBB201_63:
	s_or_b32 exec_lo, exec_lo, s0
	s_mov_b32 s10, -1
	s_mov_b32 s11, exec_lo
	s_delay_alu instid0(VALU_DEP_1)
	v_cmpx_gt_i32_e32 10, v41
; %bb.64:
	v_cmp_eq_u32_e64 s0, 0, v41
	s_or_not1_b32 s10, s0, exec_lo
; %bb.65:
	s_or_b32 exec_lo, exec_lo, s11
	s_and_saveexec_b32 s0, s10
	s_cbranch_execz .LBB201_68
; %bb.66:
	s_add_co_i32 s10, s2, 4
	s_delay_alu instid0(SALU_CYCLE_1) | instskip(SKIP_2) | instid1(SALU_CYCLE_1)
	s_cmp_gt_u32 s3, s10
	s_cselect_b32 s11, -1, 0
	s_xor_b32 s12, vcc_lo, -1
	s_and_b32 s11, s11, s12
	s_delay_alu instid0(SALU_CYCLE_1)
	s_and_b32 exec_lo, exec_lo, s11
	s_cbranch_execz .LBB201_68
; %bb.67:
	v_dual_lshrrev_b32 v40, s10, v40 :: v_dual_lshlrev_b32 v41, 2, v1
	s_sub_co_i32 s10, s3, s10
	s_delay_alu instid0(SALU_CYCLE_1)
	s_min_u32 s10, s10, 4
	s_delay_alu instid0(VALU_DEP_1) | instid1(SALU_CYCLE_1)
	v_bfe_u32 v40, v40, 0, s10
	s_delay_alu instid0(VALU_DEP_1)
	v_lshl_or_b32 v40, v40, 4, v41
	v_mov_b32_e32 v41, 1
	ds_add_u32 v40, v41 offset:256
.LBB201_68:
	s_or_b32 exec_lo, exec_lo, s0
	v_cmp_le_u32_e32 vcc_lo, s1, v39
	v_mov_b32_e32 v39, s9
	s_nor_b32 s10, s8, vcc_lo
	s_delay_alu instid0(SALU_CYCLE_1)
	s_and_saveexec_b32 s0, s10
	s_cbranch_execz .LBB201_70
; %bb.69:
	v_lshrrev_b32_e32 v39, s2, v37
	s_sub_co_i32 s10, s3, s2
	v_lshlrev_b32_e32 v40, 2, v1
	s_min_u32 s10, s10, 4
	s_delay_alu instid0(VALU_DEP_2) | instid1(SALU_CYCLE_1)
	v_bfe_u32 v39, v39, 0, s10
	s_delay_alu instid0(VALU_DEP_1)
	v_lshl_or_b32 v39, v39, 4, v40
	v_mov_b32_e32 v40, 1
	ds_add_u32 v39, v40
	v_mov_b32_e32 v39, 0
.LBB201_70:
	s_or_b32 exec_lo, exec_lo, s0
	s_mov_b32 s10, -1
	s_mov_b32 s11, exec_lo
	s_delay_alu instid0(VALU_DEP_1)
	v_cmpx_gt_i32_e32 10, v39
; %bb.71:
	v_cmp_eq_u32_e64 s0, 0, v39
	s_or_not1_b32 s10, s0, exec_lo
; %bb.72:
	s_or_b32 exec_lo, exec_lo, s11
	s_and_saveexec_b32 s0, s10
	s_cbranch_execz .LBB201_75
; %bb.73:
	s_add_co_i32 s10, s2, 4
	s_delay_alu instid0(SALU_CYCLE_1) | instskip(SKIP_2) | instid1(SALU_CYCLE_1)
	s_cmp_gt_u32 s3, s10
	s_cselect_b32 s11, -1, 0
	s_xor_b32 s12, vcc_lo, -1
	s_and_b32 s11, s11, s12
	s_delay_alu instid0(SALU_CYCLE_1)
	s_and_b32 exec_lo, exec_lo, s11
	s_cbranch_execz .LBB201_75
; %bb.74:
	v_lshrrev_b32_e32 v37, s10, v37
	s_sub_co_i32 s10, s3, s10
	v_lshlrev_b32_e32 v39, 2, v1
	s_min_u32 s10, s10, 4
	s_delay_alu instid0(VALU_DEP_2) | instid1(SALU_CYCLE_1)
	v_bfe_u32 v37, v37, 0, s10
	s_delay_alu instid0(VALU_DEP_1)
	v_lshl_or_b32 v37, v37, 4, v39
	v_mov_b32_e32 v39, 1
	ds_add_u32 v37, v39 offset:256
.LBB201_75:
	s_or_b32 exec_lo, exec_lo, s0
	v_cmp_le_u32_e32 vcc_lo, s1, v38
	v_mov_b32_e32 v37, s9
	s_nor_b32 s10, s8, vcc_lo
	s_delay_alu instid0(SALU_CYCLE_1)
	s_and_saveexec_b32 s0, s10
	s_cbranch_execz .LBB201_77
; %bb.76:
	v_dual_lshrrev_b32 v37, s2, v36 :: v_dual_lshlrev_b32 v38, 2, v1
	s_sub_co_i32 s10, s3, s2
	s_delay_alu instid0(SALU_CYCLE_1)
	s_min_u32 s10, s10, 4
	s_delay_alu instid0(VALU_DEP_1) | instid1(SALU_CYCLE_1)
	v_bfe_u32 v37, v37, 0, s10
	s_delay_alu instid0(VALU_DEP_1)
	v_lshl_or_b32 v37, v37, 4, v38
	v_mov_b32_e32 v38, 1
	ds_add_u32 v37, v38
	v_mov_b32_e32 v37, 0
.LBB201_77:
	s_or_b32 exec_lo, exec_lo, s0
	s_mov_b32 s10, -1
	s_mov_b32 s11, exec_lo
	s_delay_alu instid0(VALU_DEP_1)
	v_cmpx_gt_i32_e32 10, v37
; %bb.78:
	v_cmp_eq_u32_e64 s0, 0, v37
	s_or_not1_b32 s10, s0, exec_lo
; %bb.79:
	s_or_b32 exec_lo, exec_lo, s11
	s_and_saveexec_b32 s0, s10
	s_cbranch_execz .LBB201_82
; %bb.80:
	s_add_co_i32 s10, s2, 4
	s_delay_alu instid0(SALU_CYCLE_1) | instskip(SKIP_2) | instid1(SALU_CYCLE_1)
	s_cmp_gt_u32 s3, s10
	s_cselect_b32 s11, -1, 0
	s_xor_b32 s12, vcc_lo, -1
	s_and_b32 s11, s11, s12
	s_delay_alu instid0(SALU_CYCLE_1)
	s_and_b32 exec_lo, exec_lo, s11
	s_cbranch_execz .LBB201_82
; %bb.81:
	v_dual_lshrrev_b32 v36, s10, v36 :: v_dual_lshlrev_b32 v37, 2, v1
	s_sub_co_i32 s10, s3, s10
	s_delay_alu instid0(SALU_CYCLE_1)
	s_min_u32 s10, s10, 4
	s_delay_alu instid0(VALU_DEP_1) | instid1(SALU_CYCLE_1)
	v_bfe_u32 v36, v36, 0, s10
	s_delay_alu instid0(VALU_DEP_1)
	v_lshl_or_b32 v36, v36, 4, v37
	v_mov_b32_e32 v37, 1
	ds_add_u32 v36, v37 offset:256
.LBB201_82:
	s_or_b32 exec_lo, exec_lo, s0
	v_cmp_le_u32_e32 vcc_lo, s1, v35
	v_mov_b32_e32 v35, s9
	s_nor_b32 s10, s8, vcc_lo
	s_delay_alu instid0(SALU_CYCLE_1)
	s_and_saveexec_b32 s0, s10
	s_cbranch_execz .LBB201_84
; %bb.83:
	v_lshrrev_b32_e32 v35, s2, v33
	s_sub_co_i32 s10, s3, s2
	v_lshlrev_b32_e32 v36, 2, v1
	s_min_u32 s10, s10, 4
	s_delay_alu instid0(VALU_DEP_2) | instid1(SALU_CYCLE_1)
	v_bfe_u32 v35, v35, 0, s10
	s_delay_alu instid0(VALU_DEP_1)
	v_lshl_or_b32 v35, v35, 4, v36
	v_mov_b32_e32 v36, 1
	ds_add_u32 v35, v36
	v_mov_b32_e32 v35, 0
.LBB201_84:
	s_or_b32 exec_lo, exec_lo, s0
	s_mov_b32 s10, -1
	s_mov_b32 s11, exec_lo
	s_delay_alu instid0(VALU_DEP_1)
	v_cmpx_gt_i32_e32 10, v35
; %bb.85:
	v_cmp_eq_u32_e64 s0, 0, v35
	s_or_not1_b32 s10, s0, exec_lo
; %bb.86:
	s_or_b32 exec_lo, exec_lo, s11
	s_and_saveexec_b32 s0, s10
	s_cbranch_execz .LBB201_89
; %bb.87:
	s_add_co_i32 s10, s2, 4
	s_delay_alu instid0(SALU_CYCLE_1) | instskip(SKIP_2) | instid1(SALU_CYCLE_1)
	s_cmp_gt_u32 s3, s10
	s_cselect_b32 s11, -1, 0
	s_xor_b32 s12, vcc_lo, -1
	s_and_b32 s11, s11, s12
	s_delay_alu instid0(SALU_CYCLE_1)
	s_and_b32 exec_lo, exec_lo, s11
	s_cbranch_execz .LBB201_89
; %bb.88:
	v_lshrrev_b32_e32 v33, s10, v33
	s_sub_co_i32 s10, s3, s10
	v_lshlrev_b32_e32 v35, 2, v1
	s_min_u32 s10, s10, 4
	s_delay_alu instid0(VALU_DEP_2) | instid1(SALU_CYCLE_1)
	v_bfe_u32 v33, v33, 0, s10
	s_delay_alu instid0(VALU_DEP_1)
	v_lshl_or_b32 v33, v33, 4, v35
	v_mov_b32_e32 v35, 1
	ds_add_u32 v33, v35 offset:256
.LBB201_89:
	s_or_b32 exec_lo, exec_lo, s0
	v_cmp_le_u32_e32 vcc_lo, s1, v34
	v_mov_b32_e32 v33, s9
	s_nor_b32 s10, s8, vcc_lo
	s_delay_alu instid0(SALU_CYCLE_1)
	s_and_saveexec_b32 s0, s10
	s_cbranch_execz .LBB201_91
; %bb.90:
	v_dual_lshrrev_b32 v33, s2, v32 :: v_dual_lshlrev_b32 v34, 2, v1
	s_sub_co_i32 s10, s3, s2
	s_delay_alu instid0(SALU_CYCLE_1)
	s_min_u32 s10, s10, 4
	s_delay_alu instid0(VALU_DEP_1) | instid1(SALU_CYCLE_1)
	v_bfe_u32 v33, v33, 0, s10
	s_delay_alu instid0(VALU_DEP_1)
	v_lshl_or_b32 v33, v33, 4, v34
	v_mov_b32_e32 v34, 1
	ds_add_u32 v33, v34
	v_mov_b32_e32 v33, 0
.LBB201_91:
	s_or_b32 exec_lo, exec_lo, s0
	s_mov_b32 s10, -1
	s_mov_b32 s11, exec_lo
	s_delay_alu instid0(VALU_DEP_1)
	v_cmpx_gt_i32_e32 10, v33
; %bb.92:
	v_cmp_eq_u32_e64 s0, 0, v33
	s_or_not1_b32 s10, s0, exec_lo
; %bb.93:
	s_or_b32 exec_lo, exec_lo, s11
	s_and_saveexec_b32 s0, s10
	s_cbranch_execz .LBB201_96
; %bb.94:
	s_add_co_i32 s10, s2, 4
	s_delay_alu instid0(SALU_CYCLE_1) | instskip(SKIP_2) | instid1(SALU_CYCLE_1)
	s_cmp_gt_u32 s3, s10
	s_cselect_b32 s11, -1, 0
	s_xor_b32 s12, vcc_lo, -1
	s_and_b32 s11, s11, s12
	s_delay_alu instid0(SALU_CYCLE_1)
	s_and_b32 exec_lo, exec_lo, s11
	s_cbranch_execz .LBB201_96
; %bb.95:
	v_dual_lshrrev_b32 v32, s10, v32 :: v_dual_lshlrev_b32 v33, 2, v1
	s_sub_co_i32 s10, s3, s10
	s_delay_alu instid0(SALU_CYCLE_1)
	s_min_u32 s10, s10, 4
	s_delay_alu instid0(VALU_DEP_1) | instid1(SALU_CYCLE_1)
	v_bfe_u32 v32, v32, 0, s10
	s_delay_alu instid0(VALU_DEP_1)
	v_lshl_or_b32 v32, v32, 4, v33
	v_mov_b32_e32 v33, 1
	ds_add_u32 v32, v33 offset:256
.LBB201_96:
	s_or_b32 exec_lo, exec_lo, s0
	v_cmp_le_u32_e32 vcc_lo, s1, v31
	v_mov_b32_e32 v31, s9
	s_nor_b32 s10, s8, vcc_lo
	s_delay_alu instid0(SALU_CYCLE_1)
	s_and_saveexec_b32 s0, s10
	s_cbranch_execz .LBB201_98
; %bb.97:
	v_lshrrev_b32_e32 v31, s2, v29
	s_sub_co_i32 s10, s3, s2
	v_lshlrev_b32_e32 v32, 2, v1
	s_min_u32 s10, s10, 4
	s_delay_alu instid0(VALU_DEP_2) | instid1(SALU_CYCLE_1)
	v_bfe_u32 v31, v31, 0, s10
	s_delay_alu instid0(VALU_DEP_1)
	v_lshl_or_b32 v31, v31, 4, v32
	v_mov_b32_e32 v32, 1
	ds_add_u32 v31, v32
	v_mov_b32_e32 v31, 0
.LBB201_98:
	s_or_b32 exec_lo, exec_lo, s0
	s_mov_b32 s10, -1
	s_mov_b32 s11, exec_lo
	s_delay_alu instid0(VALU_DEP_1)
	v_cmpx_gt_i32_e32 10, v31
; %bb.99:
	v_cmp_eq_u32_e64 s0, 0, v31
	s_or_not1_b32 s10, s0, exec_lo
; %bb.100:
	s_or_b32 exec_lo, exec_lo, s11
	s_and_saveexec_b32 s0, s10
	s_cbranch_execz .LBB201_103
; %bb.101:
	s_add_co_i32 s10, s2, 4
	s_delay_alu instid0(SALU_CYCLE_1) | instskip(SKIP_2) | instid1(SALU_CYCLE_1)
	s_cmp_gt_u32 s3, s10
	s_cselect_b32 s11, -1, 0
	s_xor_b32 s12, vcc_lo, -1
	s_and_b32 s11, s11, s12
	s_delay_alu instid0(SALU_CYCLE_1)
	s_and_b32 exec_lo, exec_lo, s11
	s_cbranch_execz .LBB201_103
; %bb.102:
	v_lshrrev_b32_e32 v29, s10, v29
	s_sub_co_i32 s10, s3, s10
	v_lshlrev_b32_e32 v31, 2, v1
	s_min_u32 s10, s10, 4
	s_delay_alu instid0(VALU_DEP_2) | instid1(SALU_CYCLE_1)
	v_bfe_u32 v29, v29, 0, s10
	s_delay_alu instid0(VALU_DEP_1)
	v_lshl_or_b32 v29, v29, 4, v31
	v_mov_b32_e32 v31, 1
	ds_add_u32 v29, v31 offset:256
.LBB201_103:
	s_or_b32 exec_lo, exec_lo, s0
	v_cmp_le_u32_e32 vcc_lo, s1, v30
	v_mov_b32_e32 v29, s9
	s_nor_b32 s10, s8, vcc_lo
	s_delay_alu instid0(SALU_CYCLE_1)
	s_and_saveexec_b32 s0, s10
	s_cbranch_execz .LBB201_105
; %bb.104:
	v_dual_lshrrev_b32 v29, s2, v28 :: v_dual_lshlrev_b32 v30, 2, v1
	s_sub_co_i32 s10, s3, s2
	s_delay_alu instid0(SALU_CYCLE_1)
	s_min_u32 s10, s10, 4
	s_delay_alu instid0(VALU_DEP_1) | instid1(SALU_CYCLE_1)
	v_bfe_u32 v29, v29, 0, s10
	s_delay_alu instid0(VALU_DEP_1)
	v_lshl_or_b32 v29, v29, 4, v30
	v_mov_b32_e32 v30, 1
	ds_add_u32 v29, v30
	v_mov_b32_e32 v29, 0
.LBB201_105:
	s_or_b32 exec_lo, exec_lo, s0
	s_mov_b32 s10, -1
	s_mov_b32 s11, exec_lo
	s_delay_alu instid0(VALU_DEP_1)
	v_cmpx_gt_i32_e32 10, v29
; %bb.106:
	v_cmp_eq_u32_e64 s0, 0, v29
	s_or_not1_b32 s10, s0, exec_lo
; %bb.107:
	s_or_b32 exec_lo, exec_lo, s11
	s_and_saveexec_b32 s0, s10
	s_cbranch_execz .LBB201_110
; %bb.108:
	s_add_co_i32 s10, s2, 4
	s_delay_alu instid0(SALU_CYCLE_1) | instskip(SKIP_2) | instid1(SALU_CYCLE_1)
	s_cmp_gt_u32 s3, s10
	s_cselect_b32 s11, -1, 0
	s_xor_b32 s12, vcc_lo, -1
	s_and_b32 s11, s11, s12
	s_delay_alu instid0(SALU_CYCLE_1)
	s_and_b32 exec_lo, exec_lo, s11
	s_cbranch_execz .LBB201_110
; %bb.109:
	v_dual_lshrrev_b32 v28, s10, v28 :: v_dual_lshlrev_b32 v29, 2, v1
	s_sub_co_i32 s10, s3, s10
	s_delay_alu instid0(SALU_CYCLE_1)
	s_min_u32 s10, s10, 4
	s_delay_alu instid0(VALU_DEP_1) | instid1(SALU_CYCLE_1)
	v_bfe_u32 v28, v28, 0, s10
	s_delay_alu instid0(VALU_DEP_1)
	v_lshl_or_b32 v28, v28, 4, v29
	v_mov_b32_e32 v29, 1
	ds_add_u32 v28, v29 offset:256
.LBB201_110:
	s_or_b32 exec_lo, exec_lo, s0
	v_cmp_le_u32_e32 vcc_lo, s1, v27
	v_mov_b32_e32 v27, s9
	s_nor_b32 s10, s8, vcc_lo
	s_delay_alu instid0(SALU_CYCLE_1)
	s_and_saveexec_b32 s0, s10
	s_cbranch_execz .LBB201_112
; %bb.111:
	v_lshrrev_b32_e32 v27, s2, v25
	s_sub_co_i32 s10, s3, s2
	v_lshlrev_b32_e32 v28, 2, v1
	s_min_u32 s10, s10, 4
	s_delay_alu instid0(VALU_DEP_2) | instid1(SALU_CYCLE_1)
	v_bfe_u32 v27, v27, 0, s10
	s_delay_alu instid0(VALU_DEP_1)
	v_lshl_or_b32 v27, v27, 4, v28
	v_mov_b32_e32 v28, 1
	ds_add_u32 v27, v28
	v_mov_b32_e32 v27, 0
.LBB201_112:
	s_or_b32 exec_lo, exec_lo, s0
	s_mov_b32 s10, -1
	s_mov_b32 s11, exec_lo
	s_delay_alu instid0(VALU_DEP_1)
	v_cmpx_gt_i32_e32 10, v27
; %bb.113:
	v_cmp_eq_u32_e64 s0, 0, v27
	s_or_not1_b32 s10, s0, exec_lo
; %bb.114:
	s_or_b32 exec_lo, exec_lo, s11
	s_and_saveexec_b32 s0, s10
	s_cbranch_execz .LBB201_117
; %bb.115:
	s_add_co_i32 s10, s2, 4
	s_delay_alu instid0(SALU_CYCLE_1) | instskip(SKIP_2) | instid1(SALU_CYCLE_1)
	s_cmp_gt_u32 s3, s10
	s_cselect_b32 s11, -1, 0
	s_xor_b32 s12, vcc_lo, -1
	s_and_b32 s11, s11, s12
	s_delay_alu instid0(SALU_CYCLE_1)
	s_and_b32 exec_lo, exec_lo, s11
	s_cbranch_execz .LBB201_117
; %bb.116:
	v_lshrrev_b32_e32 v25, s10, v25
	s_sub_co_i32 s10, s3, s10
	v_lshlrev_b32_e32 v27, 2, v1
	s_min_u32 s10, s10, 4
	s_delay_alu instid0(VALU_DEP_2) | instid1(SALU_CYCLE_1)
	v_bfe_u32 v25, v25, 0, s10
	s_delay_alu instid0(VALU_DEP_1)
	v_lshl_or_b32 v25, v25, 4, v27
	v_mov_b32_e32 v27, 1
	ds_add_u32 v25, v27 offset:256
.LBB201_117:
	s_or_b32 exec_lo, exec_lo, s0
	v_cmp_le_u32_e32 vcc_lo, s1, v26
	v_mov_b32_e32 v25, s9
	s_nor_b32 s10, s8, vcc_lo
	s_delay_alu instid0(SALU_CYCLE_1)
	s_and_saveexec_b32 s0, s10
	s_cbranch_execz .LBB201_119
; %bb.118:
	v_dual_lshrrev_b32 v25, s2, v24 :: v_dual_lshlrev_b32 v26, 2, v1
	s_sub_co_i32 s10, s3, s2
	s_delay_alu instid0(SALU_CYCLE_1)
	s_min_u32 s10, s10, 4
	s_delay_alu instid0(VALU_DEP_1) | instid1(SALU_CYCLE_1)
	v_bfe_u32 v25, v25, 0, s10
	s_delay_alu instid0(VALU_DEP_1)
	v_lshl_or_b32 v25, v25, 4, v26
	v_mov_b32_e32 v26, 1
	ds_add_u32 v25, v26
	v_mov_b32_e32 v25, 0
.LBB201_119:
	s_or_b32 exec_lo, exec_lo, s0
	s_mov_b32 s10, -1
	s_mov_b32 s11, exec_lo
	s_delay_alu instid0(VALU_DEP_1)
	v_cmpx_gt_i32_e32 10, v25
; %bb.120:
	v_cmp_eq_u32_e64 s0, 0, v25
	s_or_not1_b32 s10, s0, exec_lo
; %bb.121:
	s_or_b32 exec_lo, exec_lo, s11
	s_and_saveexec_b32 s0, s10
	s_cbranch_execz .LBB201_124
; %bb.122:
	s_add_co_i32 s10, s2, 4
	s_delay_alu instid0(SALU_CYCLE_1) | instskip(SKIP_2) | instid1(SALU_CYCLE_1)
	s_cmp_gt_u32 s3, s10
	s_cselect_b32 s11, -1, 0
	s_xor_b32 s12, vcc_lo, -1
	s_and_b32 s11, s11, s12
	s_delay_alu instid0(SALU_CYCLE_1)
	s_and_b32 exec_lo, exec_lo, s11
	s_cbranch_execz .LBB201_124
; %bb.123:
	v_dual_lshrrev_b32 v24, s10, v24 :: v_dual_lshlrev_b32 v25, 2, v1
	s_sub_co_i32 s10, s3, s10
	s_delay_alu instid0(SALU_CYCLE_1)
	s_min_u32 s10, s10, 4
	s_delay_alu instid0(VALU_DEP_1) | instid1(SALU_CYCLE_1)
	v_bfe_u32 v24, v24, 0, s10
	s_delay_alu instid0(VALU_DEP_1)
	v_lshl_or_b32 v24, v24, 4, v25
	v_mov_b32_e32 v25, 1
	ds_add_u32 v24, v25 offset:256
.LBB201_124:
	s_or_b32 exec_lo, exec_lo, s0
	v_cmp_le_u32_e32 vcc_lo, s1, v23
	v_mov_b32_e32 v23, s9
	s_nor_b32 s10, s8, vcc_lo
	s_delay_alu instid0(SALU_CYCLE_1)
	s_and_saveexec_b32 s0, s10
	s_cbranch_execz .LBB201_126
; %bb.125:
	v_lshrrev_b32_e32 v23, s2, v21
	s_sub_co_i32 s10, s3, s2
	v_lshlrev_b32_e32 v24, 2, v1
	s_min_u32 s10, s10, 4
	s_delay_alu instid0(VALU_DEP_2) | instid1(SALU_CYCLE_1)
	v_bfe_u32 v23, v23, 0, s10
	s_delay_alu instid0(VALU_DEP_1)
	v_lshl_or_b32 v23, v23, 4, v24
	v_mov_b32_e32 v24, 1
	ds_add_u32 v23, v24
	v_mov_b32_e32 v23, 0
.LBB201_126:
	s_or_b32 exec_lo, exec_lo, s0
	s_mov_b32 s10, -1
	s_mov_b32 s11, exec_lo
	s_delay_alu instid0(VALU_DEP_1)
	v_cmpx_gt_i32_e32 10, v23
; %bb.127:
	v_cmp_eq_u32_e64 s0, 0, v23
	s_or_not1_b32 s10, s0, exec_lo
; %bb.128:
	s_or_b32 exec_lo, exec_lo, s11
	s_and_saveexec_b32 s0, s10
	s_cbranch_execz .LBB201_131
; %bb.129:
	s_add_co_i32 s10, s2, 4
	s_delay_alu instid0(SALU_CYCLE_1) | instskip(SKIP_2) | instid1(SALU_CYCLE_1)
	s_cmp_gt_u32 s3, s10
	s_cselect_b32 s11, -1, 0
	s_xor_b32 s12, vcc_lo, -1
	s_and_b32 s11, s11, s12
	s_delay_alu instid0(SALU_CYCLE_1)
	s_and_b32 exec_lo, exec_lo, s11
	s_cbranch_execz .LBB201_131
; %bb.130:
	v_lshrrev_b32_e32 v21, s10, v21
	s_sub_co_i32 s10, s3, s10
	v_lshlrev_b32_e32 v23, 2, v1
	s_min_u32 s10, s10, 4
	s_delay_alu instid0(VALU_DEP_2) | instid1(SALU_CYCLE_1)
	v_bfe_u32 v21, v21, 0, s10
	s_delay_alu instid0(VALU_DEP_1)
	v_lshl_or_b32 v21, v21, 4, v23
	v_mov_b32_e32 v23, 1
	ds_add_u32 v21, v23 offset:256
.LBB201_131:
	s_or_b32 exec_lo, exec_lo, s0
	v_cmp_le_u32_e32 vcc_lo, s1, v22
	v_mov_b32_e32 v21, s9
	s_nor_b32 s10, s8, vcc_lo
	s_delay_alu instid0(SALU_CYCLE_1)
	s_and_saveexec_b32 s0, s10
	s_cbranch_execz .LBB201_133
; %bb.132:
	v_dual_lshrrev_b32 v21, s2, v20 :: v_dual_lshlrev_b32 v22, 2, v1
	s_sub_co_i32 s10, s3, s2
	s_delay_alu instid0(SALU_CYCLE_1)
	s_min_u32 s10, s10, 4
	s_delay_alu instid0(VALU_DEP_1) | instid1(SALU_CYCLE_1)
	v_bfe_u32 v21, v21, 0, s10
	s_delay_alu instid0(VALU_DEP_1)
	v_lshl_or_b32 v21, v21, 4, v22
	v_mov_b32_e32 v22, 1
	ds_add_u32 v21, v22
	v_mov_b32_e32 v21, 0
.LBB201_133:
	s_or_b32 exec_lo, exec_lo, s0
	s_mov_b32 s10, -1
	s_mov_b32 s11, exec_lo
	s_delay_alu instid0(VALU_DEP_1)
	v_cmpx_gt_i32_e32 10, v21
; %bb.134:
	v_cmp_eq_u32_e64 s0, 0, v21
	s_or_not1_b32 s10, s0, exec_lo
; %bb.135:
	s_or_b32 exec_lo, exec_lo, s11
	s_and_saveexec_b32 s0, s10
	s_cbranch_execz .LBB201_138
; %bb.136:
	s_add_co_i32 s10, s2, 4
	s_delay_alu instid0(SALU_CYCLE_1) | instskip(SKIP_2) | instid1(SALU_CYCLE_1)
	s_cmp_gt_u32 s3, s10
	s_cselect_b32 s11, -1, 0
	s_xor_b32 s12, vcc_lo, -1
	s_and_b32 s11, s11, s12
	s_delay_alu instid0(SALU_CYCLE_1)
	s_and_b32 exec_lo, exec_lo, s11
	s_cbranch_execz .LBB201_138
; %bb.137:
	v_dual_lshrrev_b32 v20, s10, v20 :: v_dual_lshlrev_b32 v21, 2, v1
	s_sub_co_i32 s10, s3, s10
	s_delay_alu instid0(SALU_CYCLE_1)
	s_min_u32 s10, s10, 4
	s_delay_alu instid0(VALU_DEP_1) | instid1(SALU_CYCLE_1)
	v_bfe_u32 v20, v20, 0, s10
	s_delay_alu instid0(VALU_DEP_1)
	v_lshl_or_b32 v20, v20, 4, v21
	v_mov_b32_e32 v21, 1
	ds_add_u32 v20, v21 offset:256
.LBB201_138:
	s_or_b32 exec_lo, exec_lo, s0
	v_cmp_le_u32_e32 vcc_lo, s1, v19
	v_mov_b32_e32 v19, s9
	s_nor_b32 s10, s8, vcc_lo
	s_delay_alu instid0(SALU_CYCLE_1)
	s_and_saveexec_b32 s0, s10
	s_cbranch_execz .LBB201_140
; %bb.139:
	v_lshrrev_b32_e32 v19, s2, v17
	s_sub_co_i32 s10, s3, s2
	v_lshlrev_b32_e32 v20, 2, v1
	s_min_u32 s10, s10, 4
	s_delay_alu instid0(VALU_DEP_2) | instid1(SALU_CYCLE_1)
	v_bfe_u32 v19, v19, 0, s10
	s_delay_alu instid0(VALU_DEP_1)
	v_lshl_or_b32 v19, v19, 4, v20
	v_mov_b32_e32 v20, 1
	ds_add_u32 v19, v20
	v_mov_b32_e32 v19, 0
.LBB201_140:
	s_or_b32 exec_lo, exec_lo, s0
	s_mov_b32 s10, -1
	s_mov_b32 s11, exec_lo
	s_delay_alu instid0(VALU_DEP_1)
	v_cmpx_gt_i32_e32 10, v19
; %bb.141:
	v_cmp_eq_u32_e64 s0, 0, v19
	s_or_not1_b32 s10, s0, exec_lo
; %bb.142:
	s_or_b32 exec_lo, exec_lo, s11
	s_and_saveexec_b32 s0, s10
	s_cbranch_execz .LBB201_145
; %bb.143:
	s_add_co_i32 s10, s2, 4
	s_delay_alu instid0(SALU_CYCLE_1) | instskip(SKIP_2) | instid1(SALU_CYCLE_1)
	s_cmp_gt_u32 s3, s10
	s_cselect_b32 s11, -1, 0
	s_xor_b32 s12, vcc_lo, -1
	s_and_b32 s11, s11, s12
	s_delay_alu instid0(SALU_CYCLE_1)
	s_and_b32 exec_lo, exec_lo, s11
	s_cbranch_execz .LBB201_145
; %bb.144:
	v_lshrrev_b32_e32 v17, s10, v17
	s_sub_co_i32 s10, s3, s10
	v_lshlrev_b32_e32 v19, 2, v1
	s_min_u32 s10, s10, 4
	s_delay_alu instid0(VALU_DEP_2) | instid1(SALU_CYCLE_1)
	v_bfe_u32 v17, v17, 0, s10
	s_delay_alu instid0(VALU_DEP_1)
	v_lshl_or_b32 v17, v17, 4, v19
	v_mov_b32_e32 v19, 1
	ds_add_u32 v17, v19 offset:256
.LBB201_145:
	s_or_b32 exec_lo, exec_lo, s0
	v_cmp_le_u32_e32 vcc_lo, s1, v18
	v_mov_b32_e32 v17, s9
	s_nor_b32 s10, s8, vcc_lo
	s_delay_alu instid0(SALU_CYCLE_1)
	s_and_saveexec_b32 s0, s10
	s_cbranch_execz .LBB201_147
; %bb.146:
	v_dual_lshrrev_b32 v17, s2, v16 :: v_dual_lshlrev_b32 v18, 2, v1
	s_sub_co_i32 s10, s3, s2
	s_delay_alu instid0(SALU_CYCLE_1)
	s_min_u32 s10, s10, 4
	s_delay_alu instid0(VALU_DEP_1) | instid1(SALU_CYCLE_1)
	v_bfe_u32 v17, v17, 0, s10
	s_delay_alu instid0(VALU_DEP_1)
	v_lshl_or_b32 v17, v17, 4, v18
	v_mov_b32_e32 v18, 1
	ds_add_u32 v17, v18
	v_mov_b32_e32 v17, 0
.LBB201_147:
	s_or_b32 exec_lo, exec_lo, s0
	s_mov_b32 s10, -1
	s_mov_b32 s11, exec_lo
	s_delay_alu instid0(VALU_DEP_1)
	v_cmpx_gt_i32_e32 10, v17
; %bb.148:
	v_cmp_eq_u32_e64 s0, 0, v17
	s_or_not1_b32 s10, s0, exec_lo
; %bb.149:
	s_or_b32 exec_lo, exec_lo, s11
	s_and_saveexec_b32 s0, s10
	s_cbranch_execz .LBB201_152
; %bb.150:
	s_add_co_i32 s10, s2, 4
	s_delay_alu instid0(SALU_CYCLE_1) | instskip(SKIP_2) | instid1(SALU_CYCLE_1)
	s_cmp_gt_u32 s3, s10
	s_cselect_b32 s11, -1, 0
	s_xor_b32 s12, vcc_lo, -1
	s_and_b32 s11, s11, s12
	s_delay_alu instid0(SALU_CYCLE_1)
	s_and_b32 exec_lo, exec_lo, s11
	s_cbranch_execz .LBB201_152
; %bb.151:
	v_dual_lshrrev_b32 v16, s10, v16 :: v_dual_lshlrev_b32 v17, 2, v1
	s_sub_co_i32 s10, s3, s10
	s_delay_alu instid0(SALU_CYCLE_1)
	s_min_u32 s10, s10, 4
	s_delay_alu instid0(VALU_DEP_1) | instid1(SALU_CYCLE_1)
	v_bfe_u32 v16, v16, 0, s10
	s_delay_alu instid0(VALU_DEP_1)
	v_lshl_or_b32 v16, v16, 4, v17
	v_mov_b32_e32 v17, 1
	ds_add_u32 v16, v17 offset:256
.LBB201_152:
	s_or_b32 exec_lo, exec_lo, s0
	v_cmp_le_u32_e32 vcc_lo, s1, v15
	v_mov_b32_e32 v15, s9
	s_nor_b32 s10, s8, vcc_lo
	s_delay_alu instid0(SALU_CYCLE_1)
	s_and_saveexec_b32 s0, s10
	s_cbranch_execz .LBB201_154
; %bb.153:
	v_lshrrev_b32_e32 v15, s2, v13
	s_sub_co_i32 s10, s3, s2
	v_lshlrev_b32_e32 v16, 2, v1
	s_min_u32 s10, s10, 4
	s_delay_alu instid0(VALU_DEP_2) | instid1(SALU_CYCLE_1)
	v_bfe_u32 v15, v15, 0, s10
	s_delay_alu instid0(VALU_DEP_1)
	v_lshl_or_b32 v15, v15, 4, v16
	v_mov_b32_e32 v16, 1
	ds_add_u32 v15, v16
	v_mov_b32_e32 v15, 0
.LBB201_154:
	s_or_b32 exec_lo, exec_lo, s0
	s_mov_b32 s10, -1
	s_mov_b32 s11, exec_lo
	s_delay_alu instid0(VALU_DEP_1)
	v_cmpx_gt_i32_e32 10, v15
; %bb.155:
	v_cmp_eq_u32_e64 s0, 0, v15
	s_or_not1_b32 s10, s0, exec_lo
; %bb.156:
	s_or_b32 exec_lo, exec_lo, s11
	s_and_saveexec_b32 s0, s10
	s_cbranch_execz .LBB201_159
; %bb.157:
	s_add_co_i32 s10, s2, 4
	s_delay_alu instid0(SALU_CYCLE_1) | instskip(SKIP_2) | instid1(SALU_CYCLE_1)
	s_cmp_gt_u32 s3, s10
	s_cselect_b32 s11, -1, 0
	s_xor_b32 s12, vcc_lo, -1
	s_and_b32 s11, s11, s12
	s_delay_alu instid0(SALU_CYCLE_1)
	s_and_b32 exec_lo, exec_lo, s11
	s_cbranch_execz .LBB201_159
; %bb.158:
	v_lshrrev_b32_e32 v13, s10, v13
	s_sub_co_i32 s10, s3, s10
	v_lshlrev_b32_e32 v15, 2, v1
	s_min_u32 s10, s10, 4
	s_delay_alu instid0(VALU_DEP_2) | instid1(SALU_CYCLE_1)
	v_bfe_u32 v13, v13, 0, s10
	s_delay_alu instid0(VALU_DEP_1)
	v_lshl_or_b32 v13, v13, 4, v15
	v_mov_b32_e32 v15, 1
	ds_add_u32 v13, v15 offset:256
.LBB201_159:
	s_or_b32 exec_lo, exec_lo, s0
	v_cmp_le_u32_e32 vcc_lo, s1, v14
	v_mov_b32_e32 v13, s9
	s_nor_b32 s10, s8, vcc_lo
	s_delay_alu instid0(SALU_CYCLE_1)
	s_and_saveexec_b32 s0, s10
	s_cbranch_execz .LBB201_161
; %bb.160:
	v_dual_lshrrev_b32 v13, s2, v12 :: v_dual_lshlrev_b32 v14, 2, v1
	s_sub_co_i32 s10, s3, s2
	s_delay_alu instid0(SALU_CYCLE_1)
	s_min_u32 s10, s10, 4
	s_delay_alu instid0(VALU_DEP_1) | instid1(SALU_CYCLE_1)
	v_bfe_u32 v13, v13, 0, s10
	s_delay_alu instid0(VALU_DEP_1)
	v_lshl_or_b32 v13, v13, 4, v14
	v_mov_b32_e32 v14, 1
	ds_add_u32 v13, v14
	v_mov_b32_e32 v13, 0
.LBB201_161:
	s_or_b32 exec_lo, exec_lo, s0
	s_mov_b32 s10, -1
	s_mov_b32 s11, exec_lo
	s_delay_alu instid0(VALU_DEP_1)
	v_cmpx_gt_i32_e32 10, v13
; %bb.162:
	v_cmp_eq_u32_e64 s0, 0, v13
	s_or_not1_b32 s10, s0, exec_lo
; %bb.163:
	s_or_b32 exec_lo, exec_lo, s11
	s_and_saveexec_b32 s0, s10
	s_cbranch_execz .LBB201_166
; %bb.164:
	s_add_co_i32 s10, s2, 4
	s_delay_alu instid0(SALU_CYCLE_1) | instskip(SKIP_2) | instid1(SALU_CYCLE_1)
	s_cmp_gt_u32 s3, s10
	s_cselect_b32 s11, -1, 0
	s_xor_b32 s12, vcc_lo, -1
	s_and_b32 s11, s11, s12
	s_delay_alu instid0(SALU_CYCLE_1)
	s_and_b32 exec_lo, exec_lo, s11
	s_cbranch_execz .LBB201_166
; %bb.165:
	v_dual_lshrrev_b32 v12, s10, v12 :: v_dual_lshlrev_b32 v13, 2, v1
	s_sub_co_i32 s10, s3, s10
	s_delay_alu instid0(SALU_CYCLE_1)
	s_min_u32 s10, s10, 4
	s_delay_alu instid0(VALU_DEP_1) | instid1(SALU_CYCLE_1)
	v_bfe_u32 v12, v12, 0, s10
	s_delay_alu instid0(VALU_DEP_1)
	v_lshl_or_b32 v12, v12, 4, v13
	v_mov_b32_e32 v13, 1
	ds_add_u32 v12, v13 offset:256
.LBB201_166:
	s_or_b32 exec_lo, exec_lo, s0
	v_cmp_le_u32_e32 vcc_lo, s1, v11
	v_mov_b32_e32 v11, s9
	s_nor_b32 s10, s8, vcc_lo
	s_delay_alu instid0(SALU_CYCLE_1)
	s_and_saveexec_b32 s0, s10
	s_cbranch_execz .LBB201_168
; %bb.167:
	v_lshrrev_b32_e32 v11, s2, v9
	s_sub_co_i32 s10, s3, s2
	v_lshlrev_b32_e32 v12, 2, v1
	s_min_u32 s10, s10, 4
	s_delay_alu instid0(VALU_DEP_2) | instid1(SALU_CYCLE_1)
	v_bfe_u32 v11, v11, 0, s10
	s_delay_alu instid0(VALU_DEP_1)
	v_lshl_or_b32 v11, v11, 4, v12
	v_mov_b32_e32 v12, 1
	ds_add_u32 v11, v12
	v_mov_b32_e32 v11, 0
.LBB201_168:
	s_or_b32 exec_lo, exec_lo, s0
	s_mov_b32 s10, -1
	s_mov_b32 s11, exec_lo
	s_delay_alu instid0(VALU_DEP_1)
	v_cmpx_gt_i32_e32 10, v11
; %bb.169:
	v_cmp_eq_u32_e64 s0, 0, v11
	s_or_not1_b32 s10, s0, exec_lo
; %bb.170:
	s_or_b32 exec_lo, exec_lo, s11
	s_and_saveexec_b32 s0, s10
	s_cbranch_execz .LBB201_173
; %bb.171:
	s_add_co_i32 s10, s2, 4
	s_delay_alu instid0(SALU_CYCLE_1) | instskip(SKIP_2) | instid1(SALU_CYCLE_1)
	s_cmp_gt_u32 s3, s10
	s_cselect_b32 s11, -1, 0
	s_xor_b32 s12, vcc_lo, -1
	s_and_b32 s11, s11, s12
	s_delay_alu instid0(SALU_CYCLE_1)
	s_and_b32 exec_lo, exec_lo, s11
	s_cbranch_execz .LBB201_173
; %bb.172:
	v_lshrrev_b32_e32 v9, s10, v9
	s_sub_co_i32 s10, s3, s10
	v_lshlrev_b32_e32 v11, 2, v1
	s_min_u32 s10, s10, 4
	s_delay_alu instid0(VALU_DEP_2) | instid1(SALU_CYCLE_1)
	v_bfe_u32 v9, v9, 0, s10
	s_delay_alu instid0(VALU_DEP_1)
	v_lshl_or_b32 v9, v9, 4, v11
	v_mov_b32_e32 v11, 1
	ds_add_u32 v9, v11 offset:256
.LBB201_173:
	s_or_b32 exec_lo, exec_lo, s0
	v_cmp_le_u32_e32 vcc_lo, s1, v10
	v_mov_b32_e32 v9, s9
	s_nor_b32 s10, s8, vcc_lo
	s_delay_alu instid0(SALU_CYCLE_1)
	s_and_saveexec_b32 s0, s10
	s_cbranch_execz .LBB201_175
; %bb.174:
	v_dual_lshrrev_b32 v9, s2, v8 :: v_dual_lshlrev_b32 v10, 2, v1
	s_sub_co_i32 s10, s3, s2
	s_delay_alu instid0(SALU_CYCLE_1)
	s_min_u32 s10, s10, 4
	s_delay_alu instid0(VALU_DEP_1) | instid1(SALU_CYCLE_1)
	v_bfe_u32 v9, v9, 0, s10
	s_delay_alu instid0(VALU_DEP_1)
	v_lshl_or_b32 v9, v9, 4, v10
	v_mov_b32_e32 v10, 1
	ds_add_u32 v9, v10
	v_mov_b32_e32 v9, 0
.LBB201_175:
	s_or_b32 exec_lo, exec_lo, s0
	s_mov_b32 s10, -1
	s_mov_b32 s11, exec_lo
	s_delay_alu instid0(VALU_DEP_1)
	v_cmpx_gt_i32_e32 10, v9
; %bb.176:
	v_cmp_eq_u32_e64 s0, 0, v9
	s_or_not1_b32 s10, s0, exec_lo
; %bb.177:
	s_or_b32 exec_lo, exec_lo, s11
	s_and_saveexec_b32 s0, s10
	s_cbranch_execz .LBB201_180
; %bb.178:
	s_add_co_i32 s10, s2, 4
	s_delay_alu instid0(SALU_CYCLE_1) | instskip(SKIP_2) | instid1(SALU_CYCLE_1)
	s_cmp_gt_u32 s3, s10
	s_cselect_b32 s11, -1, 0
	s_xor_b32 s12, vcc_lo, -1
	s_and_b32 s11, s11, s12
	s_delay_alu instid0(SALU_CYCLE_1)
	s_and_b32 exec_lo, exec_lo, s11
	s_cbranch_execz .LBB201_180
; %bb.179:
	v_dual_lshrrev_b32 v8, s10, v8 :: v_dual_lshlrev_b32 v9, 2, v1
	s_sub_co_i32 s10, s3, s10
	s_delay_alu instid0(SALU_CYCLE_1)
	s_min_u32 s10, s10, 4
	s_delay_alu instid0(VALU_DEP_1) | instid1(SALU_CYCLE_1)
	v_bfe_u32 v8, v8, 0, s10
	s_delay_alu instid0(VALU_DEP_1)
	v_lshl_or_b32 v8, v8, 4, v9
	v_mov_b32_e32 v9, 1
	ds_add_u32 v8, v9 offset:256
.LBB201_180:
	s_or_b32 exec_lo, exec_lo, s0
	v_cmp_le_u32_e32 vcc_lo, s1, v7
	v_mov_b32_e32 v7, s9
	s_nor_b32 s10, s8, vcc_lo
	s_delay_alu instid0(SALU_CYCLE_1)
	s_and_saveexec_b32 s0, s10
	s_cbranch_execz .LBB201_182
; %bb.181:
	v_lshrrev_b32_e32 v7, s2, v5
	s_sub_co_i32 s10, s3, s2
	v_lshlrev_b32_e32 v8, 2, v1
	s_min_u32 s10, s10, 4
	s_delay_alu instid0(VALU_DEP_2) | instid1(SALU_CYCLE_1)
	v_bfe_u32 v7, v7, 0, s10
	s_delay_alu instid0(VALU_DEP_1)
	v_lshl_or_b32 v7, v7, 4, v8
	v_mov_b32_e32 v8, 1
	ds_add_u32 v7, v8
	v_mov_b32_e32 v7, 0
.LBB201_182:
	s_or_b32 exec_lo, exec_lo, s0
	s_mov_b32 s10, -1
	s_mov_b32 s11, exec_lo
	s_delay_alu instid0(VALU_DEP_1)
	v_cmpx_gt_i32_e32 10, v7
; %bb.183:
	v_cmp_eq_u32_e64 s0, 0, v7
	s_or_not1_b32 s10, s0, exec_lo
; %bb.184:
	s_or_b32 exec_lo, exec_lo, s11
	s_and_saveexec_b32 s0, s10
	s_cbranch_execz .LBB201_187
; %bb.185:
	s_add_co_i32 s10, s2, 4
	s_delay_alu instid0(SALU_CYCLE_1) | instskip(SKIP_2) | instid1(SALU_CYCLE_1)
	s_cmp_gt_u32 s3, s10
	s_cselect_b32 s11, -1, 0
	s_xor_b32 s12, vcc_lo, -1
	s_and_b32 s11, s11, s12
	s_delay_alu instid0(SALU_CYCLE_1)
	s_and_b32 exec_lo, exec_lo, s11
	s_cbranch_execz .LBB201_187
; %bb.186:
	v_lshrrev_b32_e32 v5, s10, v5
	s_sub_co_i32 s10, s3, s10
	v_lshlrev_b32_e32 v7, 2, v1
	s_min_u32 s10, s10, 4
	s_delay_alu instid0(VALU_DEP_2) | instid1(SALU_CYCLE_1)
	v_bfe_u32 v5, v5, 0, s10
	s_delay_alu instid0(VALU_DEP_1)
	v_lshl_or_b32 v5, v5, 4, v7
	v_mov_b32_e32 v7, 1
	ds_add_u32 v5, v7 offset:256
.LBB201_187:
	s_or_b32 exec_lo, exec_lo, s0
	v_cmp_le_u32_e32 vcc_lo, s1, v6
	v_mov_b32_e32 v5, s9
	s_nor_b32 s10, s8, vcc_lo
	s_delay_alu instid0(SALU_CYCLE_1)
	s_and_saveexec_b32 s0, s10
	s_cbranch_execz .LBB201_189
; %bb.188:
	v_dual_lshrrev_b32 v5, s2, v4 :: v_dual_lshlrev_b32 v6, 2, v1
	s_sub_co_i32 s10, s3, s2
	s_delay_alu instid0(SALU_CYCLE_1)
	s_min_u32 s10, s10, 4
	s_delay_alu instid0(VALU_DEP_1) | instid1(SALU_CYCLE_1)
	v_bfe_u32 v5, v5, 0, s10
	s_delay_alu instid0(VALU_DEP_1)
	v_lshl_or_b32 v5, v5, 4, v6
	v_mov_b32_e32 v6, 1
	ds_add_u32 v5, v6
	v_mov_b32_e32 v5, 0
.LBB201_189:
	s_or_b32 exec_lo, exec_lo, s0
	s_mov_b32 s10, -1
	s_mov_b32 s11, exec_lo
	s_delay_alu instid0(VALU_DEP_1)
	v_cmpx_gt_i32_e32 10, v5
; %bb.190:
	v_cmp_eq_u32_e64 s0, 0, v5
	s_or_not1_b32 s10, s0, exec_lo
; %bb.191:
	s_or_b32 exec_lo, exec_lo, s11
	s_and_saveexec_b32 s0, s10
	s_cbranch_execz .LBB201_194
; %bb.192:
	s_add_co_i32 s10, s2, 4
	s_delay_alu instid0(SALU_CYCLE_1) | instskip(SKIP_2) | instid1(SALU_CYCLE_1)
	s_cmp_gt_u32 s3, s10
	s_cselect_b32 s11, -1, 0
	s_xor_b32 s12, vcc_lo, -1
	s_and_b32 s11, s11, s12
	s_delay_alu instid0(SALU_CYCLE_1)
	s_and_b32 exec_lo, exec_lo, s11
	s_cbranch_execz .LBB201_194
; %bb.193:
	v_dual_lshrrev_b32 v4, s10, v4 :: v_dual_lshlrev_b32 v5, 2, v1
	s_sub_co_i32 s10, s3, s10
	s_delay_alu instid0(SALU_CYCLE_1)
	s_min_u32 s10, s10, 4
	s_delay_alu instid0(VALU_DEP_1) | instid1(SALU_CYCLE_1)
	v_bfe_u32 v4, v4, 0, s10
	s_delay_alu instid0(VALU_DEP_1)
	v_lshl_or_b32 v4, v4, 4, v5
	v_mov_b32_e32 v5, 1
	ds_add_u32 v4, v5 offset:256
.LBB201_194:
	s_or_b32 exec_lo, exec_lo, s0
	v_cmp_le_u32_e32 vcc_lo, s1, v3
	v_mov_b32_e32 v3, s9
	s_nor_b32 s1, s8, vcc_lo
	s_delay_alu instid0(SALU_CYCLE_1)
	s_and_saveexec_b32 s0, s1
	s_cbranch_execz .LBB201_196
; %bb.195:
	v_dual_lshrrev_b32 v3, s2, v2 :: v_dual_lshlrev_b32 v4, 2, v1
	s_sub_co_i32 s1, s3, s2
	s_delay_alu instid0(SALU_CYCLE_1)
	s_min_u32 s1, s1, 4
	s_delay_alu instid0(VALU_DEP_1) | instid1(SALU_CYCLE_1)
	v_bfe_u32 v3, v3, 0, s1
	s_delay_alu instid0(VALU_DEP_1)
	v_lshl_or_b32 v3, v3, 4, v4
	v_mov_b32_e32 v4, 1
	ds_add_u32 v3, v4
	v_mov_b32_e32 v3, 0
.LBB201_196:
	s_or_b32 exec_lo, exec_lo, s0
	s_mov_b32 s1, -1
	s_mov_b32 s8, exec_lo
	s_delay_alu instid0(VALU_DEP_1)
	v_cmpx_gt_i32_e32 10, v3
; %bb.197:
	v_cmp_eq_u32_e64 s0, 0, v3
	s_or_not1_b32 s1, s0, exec_lo
; %bb.198:
	s_or_b32 exec_lo, exec_lo, s8
	s_and_saveexec_b32 s0, s1
	s_cbranch_execz .LBB201_201
; %bb.199:
	s_add_co_i32 s1, s2, 4
	s_delay_alu instid0(SALU_CYCLE_1) | instskip(SKIP_2) | instid1(SALU_CYCLE_1)
	s_cmp_gt_u32 s3, s1
	s_cselect_b32 s8, -1, 0
	s_xor_b32 s9, vcc_lo, -1
	s_and_b32 s8, s8, s9
	s_delay_alu instid0(SALU_CYCLE_1)
	s_and_b32 exec_lo, exec_lo, s8
	s_cbranch_execz .LBB201_201
; %bb.200:
	v_dual_lshrrev_b32 v2, s1, v2 :: v_dual_lshlrev_b32 v3, 2, v1
	s_sub_co_i32 s1, s3, s1
	s_delay_alu instid0(SALU_CYCLE_1)
	s_min_u32 s1, s1, 4
	s_delay_alu instid0(VALU_DEP_1) | instid1(SALU_CYCLE_1)
	v_bfe_u32 v2, v2, 0, s1
	s_delay_alu instid0(VALU_DEP_1)
	v_lshl_or_b32 v2, v2, 4, v3
	v_mov_b32_e32 v3, 1
	ds_add_u32 v2, v3 offset:256
.LBB201_201:
	s_or_b32 exec_lo, exec_lo, s0
	s_cmp_gt_u32 s3, s2
	s_wait_dscnt 0x0
	s_barrier_signal -1
	s_barrier_wait -1
	s_cbranch_scc0 .LBB201_206
; %bb.202:
	v_dual_mov_b32 v3, 0 :: v_dual_lshlrev_b32 v4, 4, v0
	v_mov_b32_e32 v5, v0
	s_mov_b32 s0, s2
	v_cmp_gt_u32_e32 vcc_lo, 16, v0
	s_branch .LBB201_204
.LBB201_203:                            ;   in Loop: Header=BB201_204 Depth=1
	s_wait_xcnt 0x0
	s_or_b32 exec_lo, exec_lo, s1
	v_add_nc_u32_e32 v5, 16, v5
	v_add_nc_u32_e32 v4, 0x100, v4
	s_add_co_i32 s0, s0, 4
	s_delay_alu instid0(SALU_CYCLE_1)
	s_cmp_lt_u32 s0, s3
	s_cbranch_scc0 .LBB201_206
.LBB201_204:                            ; =>This Inner Loop Header: Depth=1
	s_and_saveexec_b32 s1, vcc_lo
	s_cbranch_execz .LBB201_203
; %bb.205:                              ;   in Loop: Header=BB201_204 Depth=1
	ds_load_2addr_b32 v[6:7], v4 offset1:1
	ds_load_2addr_b32 v[8:9], v4 offset0:2 offset1:3
	s_wait_dscnt 0x1
	v_add_nc_u32_e32 v2, v7, v6
	s_wait_dscnt 0x0
	s_delay_alu instid0(VALU_DEP_1)
	v_add3_u32 v2, v2, v8, v9
	global_atomic_add_u64 v5, v[2:3], s[6:7] scale_offset scope:SCOPE_DEV
	s_branch .LBB201_203
.LBB201_206:
	s_mov_b32 s9, 0
.LBB201_207:
	s_delay_alu instid0(SALU_CYCLE_1)
	s_and_b32 vcc_lo, exec_lo, s9
	s_cbranch_vccz .LBB201_268
; %bb.208:
	s_clause 0x15
	global_load_u8 v25, v0, s[4:5]
	global_load_u8 v24, v0, s[4:5] offset:1024
	global_load_u8 v23, v0, s[4:5] offset:2048
	;; [unrolled: 1-line block ×21, first 2 shown]
	s_cmp_lg_u32 s2, 0
	s_cselect_b32 s0, -1, 0
	s_cmp_lg_u32 s3, 8
	s_cselect_b32 s1, -1, 0
	s_delay_alu instid0(SALU_CYCLE_1)
	s_or_b32 s1, s0, s1
	v_cmp_gt_u32_e64 s0, 0x80, v0
	s_and_b32 vcc_lo, exec_lo, s1
	s_mov_b32 s1, -1
	s_cbranch_vccz .LBB201_263
; %bb.209:
	s_wait_xcnt 0x0
	s_and_saveexec_b32 s1, s0
; %bb.210:
	v_dual_mov_b32 v3, 0 :: v_dual_lshlrev_b32 v2, 2, v0
	ds_store_b32 v2, v3
; %bb.211:
	s_or_b32 exec_lo, exec_lo, s1
	s_cmp_gt_u32 s3, s2
	s_wait_storecnt 0x0
	s_wait_loadcnt_dscnt 0x0
	s_cselect_b32 s1, -1, 0
	s_barrier_signal -1
	s_and_b32 vcc_lo, exec_lo, s1
	s_barrier_wait -1
	s_cbranch_vccz .LBB201_257
; %bb.212:
	v_and_b32_e32 v3, 0xff, v25
	s_sub_co_i32 s4, s3, s2
	v_mov_b32_e32 v27, 1
	s_min_u32 s4, s4, 4
	s_mov_b32 s9, -1
	v_dual_lshrrev_b32 v26, s2, v3 :: v_dual_lshlrev_b32 v2, 2, v1
	s_lshl_b32 s5, -1, s4
	s_add_co_i32 s4, s2, 4
	s_delay_alu instid0(VALU_DEP_1) | instskip(SKIP_3) | instid1(VALU_DEP_1)
	v_bitop3_b32 v26, v26, s5, v26 bitop3:0x30
	s_not_b32 s5, s5
	s_cmp_le_u32 s3, s4
	s_cselect_b32 s8, -1, 0
	v_lshl_or_b32 v26, v26, 4, v2
	s_and_b32 vcc_lo, exec_lo, s8
	ds_add_u32 v26, v27
	v_and_b32_e32 v26, 0xff, v24
                                        ; implicit-def: $vgpr27
	s_cbranch_vccz .LBB201_214
; %bb.213:
	s_delay_alu instid0(VALU_DEP_1) | instskip(SKIP_1) | instid1(VALU_DEP_1)
	v_lshrrev_b32_e32 v27, s2, v26
	s_mov_b32 s9, 0
	v_and_b32_e32 v27, s5, v27
	s_delay_alu instid0(VALU_DEP_1)
	v_lshlrev_b32_e32 v27, 4, v27
.LBB201_214:
	s_and_not1_b32 vcc_lo, exec_lo, s9
	s_cbranch_vccnz .LBB201_216
; %bb.215:
	s_sub_co_i32 s9, s3, s4
	v_dual_lshrrev_b32 v3, s4, v3 :: v_dual_lshrrev_b32 v27, s2, v26
	s_min_u32 s9, s9, 4
	v_mov_b32_e32 v28, 1
	s_lshl_b32 s9, -1, s9
	s_delay_alu instid0(VALU_DEP_2) | instid1(SALU_CYCLE_1)
	v_bitop3_b32 v3, v3, s9, v3 bitop3:0x30
	v_and_b32_e32 v27, s5, v27
	s_delay_alu instid0(VALU_DEP_2) | instskip(NEXT) | instid1(VALU_DEP_2)
	v_lshl_or_b32 v3, v3, 4, v2
	v_lshl_or_b32 v27, v27, 4, v2
	ds_add_u32 v3, v28 offset:256
	ds_add_u32 v27, v28
	v_lshrrev_b32_e32 v3, s4, v26
	s_delay_alu instid0(VALU_DEP_1) | instskip(NEXT) | instid1(VALU_DEP_1)
	v_bitop3_b32 v3, v3, s9, v3 bitop3:0x30
	v_lshl_add_u32 v27, v3, 4, 0x100
.LBB201_216:
	v_and_b32_e32 v26, 0xff, v23
	s_and_b32 vcc_lo, exec_lo, s8
	s_delay_alu instid0(VALU_DEP_2) | instskip(NEXT) | instid1(VALU_DEP_2)
	v_dual_mov_b32 v28, 1 :: v_dual_add_nc_u32 v27, v27, v2
	v_lshrrev_b32_e32 v3, s2, v26
	s_delay_alu instid0(VALU_DEP_1) | instskip(NEXT) | instid1(VALU_DEP_1)
	v_and_b32_e32 v3, s5, v3
	v_lshl_or_b32 v3, v3, 4, v2
	ds_add_u32 v27, v28
	ds_add_u32 v3, v28
	v_and_b32_e32 v3, 0xff, v22
	s_cbranch_vccz .LBB201_218
; %bb.217:
	s_delay_alu instid0(VALU_DEP_1) | instskip(NEXT) | instid1(VALU_DEP_1)
	v_lshrrev_b32_e32 v27, s2, v3
	v_and_b32_e32 v27, s5, v27
	s_delay_alu instid0(VALU_DEP_1)
	v_lshlrev_b32_e32 v27, 4, v27
	s_cbranch_execz .LBB201_219
	s_branch .LBB201_220
.LBB201_218:
                                        ; implicit-def: $vgpr27
.LBB201_219:
	s_sub_co_i32 s9, s3, s4
	s_delay_alu instid0(VALU_DEP_1) | instskip(SKIP_3) | instid1(VALU_DEP_2)
	v_dual_lshrrev_b32 v26, s4, v26 :: v_dual_lshrrev_b32 v27, s2, v3
	s_min_u32 s9, s9, 4
	v_lshrrev_b32_e32 v3, s4, v3
	s_lshl_b32 s9, -1, s9
	v_dual_mov_b32 v28, 1 :: v_dual_bitop2_b32 v27, s5, v27 bitop3:0x40
	v_bitop3_b32 v26, v26, s9, v26 bitop3:0x30
	s_delay_alu instid0(VALU_DEP_3) | instskip(NEXT) | instid1(VALU_DEP_3)
	v_bitop3_b32 v3, v3, s9, v3 bitop3:0x30
	v_lshl_or_b32 v27, v27, 4, v2
	s_delay_alu instid0(VALU_DEP_3)
	v_lshl_or_b32 v26, v26, 4, v2
	ds_add_u32 v26, v28 offset:256
	ds_add_u32 v27, v28
	v_lshl_add_u32 v27, v3, 4, 0x100
.LBB201_220:
	v_and_b32_e32 v26, 0xff, v21
	s_and_b32 vcc_lo, exec_lo, s8
	s_delay_alu instid0(VALU_DEP_2) | instskip(NEXT) | instid1(VALU_DEP_2)
	v_dual_mov_b32 v28, 1 :: v_dual_add_nc_u32 v27, v27, v2
	v_lshrrev_b32_e32 v3, s2, v26
	s_delay_alu instid0(VALU_DEP_1) | instskip(NEXT) | instid1(VALU_DEP_1)
	v_and_b32_e32 v3, s5, v3
	v_lshl_or_b32 v3, v3, 4, v2
	ds_add_u32 v27, v28
	ds_add_u32 v3, v28
	v_and_b32_e32 v3, 0xff, v20
	s_cbranch_vccz .LBB201_222
; %bb.221:
	s_delay_alu instid0(VALU_DEP_1) | instskip(NEXT) | instid1(VALU_DEP_1)
	v_lshrrev_b32_e32 v27, s2, v3
	v_and_b32_e32 v27, s5, v27
	s_delay_alu instid0(VALU_DEP_1)
	v_lshlrev_b32_e32 v27, 4, v27
	s_cbranch_execz .LBB201_223
	s_branch .LBB201_224
.LBB201_222:
                                        ; implicit-def: $vgpr27
.LBB201_223:
	s_sub_co_i32 s9, s3, s4
	s_delay_alu instid0(VALU_DEP_1) | instskip(SKIP_3) | instid1(VALU_DEP_2)
	v_dual_lshrrev_b32 v26, s4, v26 :: v_dual_lshrrev_b32 v27, s2, v3
	s_min_u32 s9, s9, 4
	v_lshrrev_b32_e32 v3, s4, v3
	s_lshl_b32 s9, -1, s9
	v_dual_mov_b32 v28, 1 :: v_dual_bitop2_b32 v27, s5, v27 bitop3:0x40
	v_bitop3_b32 v26, v26, s9, v26 bitop3:0x30
	s_delay_alu instid0(VALU_DEP_3) | instskip(NEXT) | instid1(VALU_DEP_3)
	v_bitop3_b32 v3, v3, s9, v3 bitop3:0x30
	v_lshl_or_b32 v27, v27, 4, v2
	s_delay_alu instid0(VALU_DEP_3)
	v_lshl_or_b32 v26, v26, 4, v2
	ds_add_u32 v26, v28 offset:256
	ds_add_u32 v27, v28
	v_lshl_add_u32 v27, v3, 4, 0x100
.LBB201_224:
	;; [unrolled: 40-line block ×9, first 2 shown]
	v_and_b32_e32 v26, 0xff, v5
	s_and_b32 vcc_lo, exec_lo, s8
	s_delay_alu instid0(VALU_DEP_2) | instskip(NEXT) | instid1(VALU_DEP_2)
	v_dual_mov_b32 v28, 1 :: v_dual_add_nc_u32 v27, v27, v2
	v_lshrrev_b32_e32 v3, s2, v26
	s_delay_alu instid0(VALU_DEP_1) | instskip(NEXT) | instid1(VALU_DEP_1)
	v_and_b32_e32 v3, s5, v3
	v_lshl_or_b32 v3, v3, 4, v2
	ds_add_u32 v27, v28
	ds_add_u32 v3, v28
	v_and_b32_e32 v3, 0xff, v4
	s_cbranch_vccz .LBB201_254
; %bb.253:
	s_delay_alu instid0(VALU_DEP_1) | instskip(NEXT) | instid1(VALU_DEP_1)
	v_lshrrev_b32_e32 v27, s2, v3
	v_and_b32_e32 v27, s5, v27
	s_delay_alu instid0(VALU_DEP_1)
	v_lshlrev_b32_e32 v27, 4, v27
	s_cbranch_execz .LBB201_255
	s_branch .LBB201_256
.LBB201_254:
                                        ; implicit-def: $vgpr27
.LBB201_255:
	s_sub_co_i32 s8, s3, s4
	s_delay_alu instid0(VALU_DEP_1)
	v_dual_lshrrev_b32 v26, s4, v26 :: v_dual_lshrrev_b32 v27, s2, v3
	s_min_u32 s8, s8, 4
	v_mov_b32_e32 v28, 1
	s_lshl_b32 s8, -1, s8
	s_delay_alu instid0(VALU_DEP_2) | instid1(SALU_CYCLE_1)
	v_bitop3_b32 v26, v26, s8, v26 bitop3:0x30
	v_and_b32_e32 v27, s5, v27
	s_delay_alu instid0(VALU_DEP_2) | instskip(NEXT) | instid1(VALU_DEP_2)
	v_lshl_or_b32 v26, v26, 4, v2
	v_lshl_or_b32 v2, v27, 4, v2
	ds_add_u32 v26, v28 offset:256
	ds_add_u32 v2, v28
	v_lshrrev_b32_e32 v2, s4, v3
	s_delay_alu instid0(VALU_DEP_1) | instskip(NEXT) | instid1(VALU_DEP_1)
	v_bitop3_b32 v2, v2, s8, v2 bitop3:0x30
	v_lshl_add_u32 v27, v2, 4, 0x100
.LBB201_256:
	s_delay_alu instid0(VALU_DEP_1)
	v_lshl_add_u32 v2, v1, 2, v27
	v_mov_b32_e32 v3, 1
	ds_add_u32 v2, v3
.LBB201_257:
	s_and_b32 vcc_lo, exec_lo, s1
	s_wait_dscnt 0x0
	s_barrier_signal -1
	s_barrier_wait -1
	s_cbranch_vccz .LBB201_262
; %bb.258:
	v_dual_mov_b32 v3, 0 :: v_dual_lshlrev_b32 v26, 4, v0
	v_mov_b32_e32 v27, v0
	v_cmp_gt_u32_e32 vcc_lo, 16, v0
	s_branch .LBB201_260
.LBB201_259:                            ;   in Loop: Header=BB201_260 Depth=1
	s_wait_xcnt 0x0
	s_or_b32 exec_lo, exec_lo, s1
	v_add_nc_u32_e32 v27, 16, v27
	v_add_nc_u32_e32 v26, 0x100, v26
	s_add_co_i32 s2, s2, 4
	s_delay_alu instid0(SALU_CYCLE_1)
	s_cmp_ge_u32 s2, s3
	s_cbranch_scc1 .LBB201_262
.LBB201_260:                            ; =>This Inner Loop Header: Depth=1
	s_and_saveexec_b32 s1, vcc_lo
	s_cbranch_execz .LBB201_259
; %bb.261:                              ;   in Loop: Header=BB201_260 Depth=1
	ds_load_2addr_b32 v[28:29], v26 offset1:1
	ds_load_2addr_b32 v[30:31], v26 offset0:2 offset1:3
	s_wait_dscnt 0x1
	v_add_nc_u32_e32 v2, v29, v28
	s_wait_dscnt 0x0
	s_delay_alu instid0(VALU_DEP_1)
	v_add3_u32 v2, v2, v30, v31
	global_atomic_add_u64 v27, v[2:3], s[6:7] scale_offset scope:SCOPE_DEV
	s_branch .LBB201_259
.LBB201_262:
	s_mov_b32 s1, 0
.LBB201_263:
	s_delay_alu instid0(SALU_CYCLE_1)
	s_and_b32 vcc_lo, exec_lo, s1
	s_cbranch_vccz .LBB201_268
; %bb.264:
	s_wait_xcnt 0x0
	s_and_saveexec_b32 s1, s0
; %bb.265:
	v_dual_mov_b32 v3, 0 :: v_dual_lshlrev_b32 v2, 2, v0
	ds_store_b32 v2, v3
; %bb.266:
	s_or_b32 exec_lo, exec_lo, s1
	s_wait_loadcnt 0x14
	v_dual_lshlrev_b32 v2, 4, v25 :: v_dual_lshlrev_b32 v3, 4, v24
	v_dual_mov_b32 v26, 1 :: v_dual_lshlrev_b32 v1, 2, v1
	s_wait_storecnt 0x0
	s_wait_loadcnt_dscnt 0x0
	s_barrier_signal -1
	s_barrier_wait -1
	v_and_or_b32 v2, 0xf0, v2, v1
	v_and_or_b32 v25, 0xf0, v25, v1
	;; [unrolled: 1-line block ×4, first 2 shown]
	ds_add_u32 v2, v26
	v_lshlrev_b32_e32 v2, 4, v23
	ds_add_u32 v25, v26 offset:256
	ds_add_u32 v3, v26
	v_lshlrev_b32_e32 v3, 4, v22
	v_and_or_b32 v23, 0xf0, v23, v1
	v_and_or_b32 v2, 0xf0, v2, v1
	ds_add_u32 v24, v26 offset:256
	v_lshlrev_b32_e32 v24, 4, v21
	v_and_or_b32 v3, 0xf0, v3, v1
	ds_add_u32 v2, v26
	ds_add_u32 v23, v26 offset:256
	v_and_or_b32 v2, 0xf0, v22, v1
	v_and_or_b32 v21, 0xf0, v21, v1
	ds_add_u32 v3, v26
	v_lshlrev_b32_e32 v3, 4, v20
	v_and_or_b32 v22, 0xf0, v24, v1
	ds_add_u32 v2, v26 offset:256
	ds_add_u32 v22, v26
	v_lshlrev_b32_e32 v2, 4, v19
	v_and_or_b32 v3, 0xf0, v3, v1
	v_and_or_b32 v20, 0xf0, v20, v1
	ds_add_u32 v21, v26 offset:256
	v_lshlrev_b32_e32 v21, 4, v18
	v_and_or_b32 v2, 0xf0, v2, v1
	ds_add_u32 v3, v26
	v_and_or_b32 v3, 0xf0, v19, v1
	ds_add_u32 v20, v26 offset:256
	v_and_or_b32 v19, 0xf0, v21, v1
	ds_add_u32 v2, v26
	v_lshlrev_b32_e32 v2, 4, v17
	ds_add_u32 v3, v26 offset:256
	v_and_or_b32 v3, 0xf0, v18, v1
	v_lshlrev_b32_e32 v18, 4, v16
	ds_add_u32 v19, v26
	v_and_or_b32 v2, 0xf0, v2, v1
	v_and_or_b32 v17, 0xf0, v17, v1
	ds_add_u32 v3, v26 offset:256
	v_lshlrev_b32_e32 v3, 4, v15
	v_and_or_b32 v18, 0xf0, v18, v1
	ds_add_u32 v2, v26
	ds_add_u32 v17, v26 offset:256
	v_and_or_b32 v2, 0xf0, v16, v1
	v_lshlrev_b32_e32 v16, 4, v14
	v_and_or_b32 v3, 0xf0, v3, v1
	ds_add_u32 v18, v26
	v_and_or_b32 v15, 0xf0, v15, v1
	ds_add_u32 v2, v26 offset:256
	ds_add_u32 v3, v26
	v_lshlrev_b32_e32 v2, 4, v13
	v_and_or_b32 v3, 0xf0, v16, v1
	v_and_or_b32 v14, 0xf0, v14, v1
	ds_add_u32 v15, v26 offset:256
	v_lshlrev_b32_e32 v15, 4, v12
	v_and_or_b32 v2, 0xf0, v2, v1
	ds_add_u32 v3, v26
	v_and_or_b32 v3, 0xf0, v13, v1
	ds_add_u32 v14, v26 offset:256
	v_and_or_b32 v13, 0xf0, v15, v1
	ds_add_u32 v2, v26
	v_lshlrev_b32_e32 v2, 4, v11
	ds_add_u32 v3, v26 offset:256
	v_and_or_b32 v3, 0xf0, v12, v1
	v_lshlrev_b32_e32 v12, 4, v10
	ds_add_u32 v13, v26
	v_and_or_b32 v2, 0xf0, v2, v1
	v_and_or_b32 v11, 0xf0, v11, v1
	ds_add_u32 v3, v26 offset:256
	v_lshlrev_b32_e32 v3, 4, v9
	v_and_or_b32 v12, 0xf0, v12, v1
	ds_add_u32 v2, v26
	ds_add_u32 v11, v26 offset:256
	v_and_or_b32 v2, 0xf0, v10, v1
	v_lshlrev_b32_e32 v10, 4, v8
	v_and_or_b32 v3, 0xf0, v3, v1
	ds_add_u32 v12, v26
	v_and_or_b32 v9, 0xf0, v9, v1
	ds_add_u32 v2, v26 offset:256
	ds_add_u32 v3, v26
	v_lshlrev_b32_e32 v2, 4, v7
	v_and_or_b32 v3, 0xf0, v10, v1
	v_and_or_b32 v8, 0xf0, v8, v1
	ds_add_u32 v9, v26 offset:256
	v_lshlrev_b32_e32 v9, 4, v6
	v_and_or_b32 v2, 0xf0, v2, v1
	ds_add_u32 v3, v26
	v_and_or_b32 v3, 0xf0, v7, v1
	ds_add_u32 v8, v26 offset:256
	v_and_or_b32 v7, 0xf0, v9, v1
	ds_add_u32 v2, v26
	v_lshlrev_b32_e32 v2, 4, v5
	ds_add_u32 v3, v26 offset:256
	v_lshlrev_b32_e32 v3, 4, v4
	v_and_or_b32 v6, 0xf0, v6, v1
	v_and_or_b32 v5, 0xf0, v5, v1
	v_and_or_b32 v2, 0xf0, v2, v1
	ds_add_u32 v7, v26
	v_and_or_b32 v3, 0xf0, v3, v1
	v_and_or_b32 v1, 0xf0, v4, v1
	ds_add_u32 v6, v26 offset:256
	ds_add_u32 v2, v26
	ds_add_u32 v5, v26 offset:256
	ds_add_u32 v3, v26
	ds_add_u32 v1, v26 offset:256
	s_wait_dscnt 0x0
	s_barrier_signal -1
	s_barrier_wait -1
	s_mov_b32 s0, exec_lo
	v_cmpx_gt_u32_e32 16, v0
	s_cbranch_execz .LBB201_268
; %bb.267:
	v_lshlrev_b32_e32 v1, 4, v0
	ds_load_2addr_b32 v[2:3], v1 offset1:1
	ds_load_2addr_b32 v[4:5], v1 offset0:2 offset1:3
	s_wait_dscnt 0x1
	v_dual_mov_b32 v3, 0 :: v_dual_add_nc_u32 v2, v3, v2
	s_wait_dscnt 0x0
	s_delay_alu instid0(VALU_DEP_1)
	v_add3_u32 v2, v2, v4, v5
	global_atomic_add_u64 v0, v[2:3], s[6:7] scale_offset scope:SCOPE_DEV
	ds_load_2addr_b32 v[4:5], v1 offset0:64 offset1:65
	ds_load_2addr_b32 v[6:7], v1 offset0:66 offset1:67
	s_wait_dscnt 0x1
	v_add_nc_u32_e32 v1, v5, v4
	s_wait_dscnt 0x0
	s_wait_xcnt 0x0
	s_delay_alu instid0(VALU_DEP_1)
	v_add3_u32 v2, v1, v6, v7
	global_atomic_add_u64 v0, v[2:3], s[6:7] offset:128 scale_offset scope:SCOPE_DEV
.LBB201_268:
	s_endpgm
	.section	.rodata,"a",@progbits
	.p2align	6, 0x0
	.amdhsa_kernel _ZN7rocprim17ROCPRIM_400000_NS6detail17trampoline_kernelINS0_14default_configENS1_35radix_sort_onesweep_config_selectorIhNS0_10empty_typeEEEZNS1_34radix_sort_onesweep_global_offsetsIS3_Lb0EPKhPS5_mNS0_19identity_decomposerEEE10hipError_tT1_T2_PT3_SF_jT4_jjP12ihipStream_tbEUlT_E_NS1_11comp_targetILNS1_3genE0ELNS1_11target_archE4294967295ELNS1_3gpuE0ELNS1_3repE0EEENS1_52radix_sort_onesweep_histogram_config_static_selectorELNS0_4arch9wavefront6targetE0EEEvSD_
		.amdhsa_group_segment_fixed_size 512
		.amdhsa_private_segment_fixed_size 0
		.amdhsa_kernarg_size 48
		.amdhsa_user_sgpr_count 2
		.amdhsa_user_sgpr_dispatch_ptr 0
		.amdhsa_user_sgpr_queue_ptr 0
		.amdhsa_user_sgpr_kernarg_segment_ptr 1
		.amdhsa_user_sgpr_dispatch_id 0
		.amdhsa_user_sgpr_kernarg_preload_length 0
		.amdhsa_user_sgpr_kernarg_preload_offset 0
		.amdhsa_user_sgpr_private_segment_size 0
		.amdhsa_wavefront_size32 1
		.amdhsa_uses_dynamic_stack 0
		.amdhsa_enable_private_segment 0
		.amdhsa_system_sgpr_workgroup_id_x 1
		.amdhsa_system_sgpr_workgroup_id_y 0
		.amdhsa_system_sgpr_workgroup_id_z 0
		.amdhsa_system_sgpr_workgroup_info 0
		.amdhsa_system_vgpr_workitem_id 0
		.amdhsa_next_free_vgpr 47
		.amdhsa_next_free_sgpr 13
		.amdhsa_named_barrier_count 0
		.amdhsa_reserve_vcc 1
		.amdhsa_float_round_mode_32 0
		.amdhsa_float_round_mode_16_64 0
		.amdhsa_float_denorm_mode_32 3
		.amdhsa_float_denorm_mode_16_64 3
		.amdhsa_fp16_overflow 0
		.amdhsa_memory_ordered 1
		.amdhsa_forward_progress 1
		.amdhsa_inst_pref_size 83
		.amdhsa_round_robin_scheduling 0
		.amdhsa_exception_fp_ieee_invalid_op 0
		.amdhsa_exception_fp_denorm_src 0
		.amdhsa_exception_fp_ieee_div_zero 0
		.amdhsa_exception_fp_ieee_overflow 0
		.amdhsa_exception_fp_ieee_underflow 0
		.amdhsa_exception_fp_ieee_inexact 0
		.amdhsa_exception_int_div_zero 0
	.end_amdhsa_kernel
	.section	.text._ZN7rocprim17ROCPRIM_400000_NS6detail17trampoline_kernelINS0_14default_configENS1_35radix_sort_onesweep_config_selectorIhNS0_10empty_typeEEEZNS1_34radix_sort_onesweep_global_offsetsIS3_Lb0EPKhPS5_mNS0_19identity_decomposerEEE10hipError_tT1_T2_PT3_SF_jT4_jjP12ihipStream_tbEUlT_E_NS1_11comp_targetILNS1_3genE0ELNS1_11target_archE4294967295ELNS1_3gpuE0ELNS1_3repE0EEENS1_52radix_sort_onesweep_histogram_config_static_selectorELNS0_4arch9wavefront6targetE0EEEvSD_,"axG",@progbits,_ZN7rocprim17ROCPRIM_400000_NS6detail17trampoline_kernelINS0_14default_configENS1_35radix_sort_onesweep_config_selectorIhNS0_10empty_typeEEEZNS1_34radix_sort_onesweep_global_offsetsIS3_Lb0EPKhPS5_mNS0_19identity_decomposerEEE10hipError_tT1_T2_PT3_SF_jT4_jjP12ihipStream_tbEUlT_E_NS1_11comp_targetILNS1_3genE0ELNS1_11target_archE4294967295ELNS1_3gpuE0ELNS1_3repE0EEENS1_52radix_sort_onesweep_histogram_config_static_selectorELNS0_4arch9wavefront6targetE0EEEvSD_,comdat
.Lfunc_end201:
	.size	_ZN7rocprim17ROCPRIM_400000_NS6detail17trampoline_kernelINS0_14default_configENS1_35radix_sort_onesweep_config_selectorIhNS0_10empty_typeEEEZNS1_34radix_sort_onesweep_global_offsetsIS3_Lb0EPKhPS5_mNS0_19identity_decomposerEEE10hipError_tT1_T2_PT3_SF_jT4_jjP12ihipStream_tbEUlT_E_NS1_11comp_targetILNS1_3genE0ELNS1_11target_archE4294967295ELNS1_3gpuE0ELNS1_3repE0EEENS1_52radix_sort_onesweep_histogram_config_static_selectorELNS0_4arch9wavefront6targetE0EEEvSD_, .Lfunc_end201-_ZN7rocprim17ROCPRIM_400000_NS6detail17trampoline_kernelINS0_14default_configENS1_35radix_sort_onesweep_config_selectorIhNS0_10empty_typeEEEZNS1_34radix_sort_onesweep_global_offsetsIS3_Lb0EPKhPS5_mNS0_19identity_decomposerEEE10hipError_tT1_T2_PT3_SF_jT4_jjP12ihipStream_tbEUlT_E_NS1_11comp_targetILNS1_3genE0ELNS1_11target_archE4294967295ELNS1_3gpuE0ELNS1_3repE0EEENS1_52radix_sort_onesweep_histogram_config_static_selectorELNS0_4arch9wavefront6targetE0EEEvSD_
                                        ; -- End function
	.set _ZN7rocprim17ROCPRIM_400000_NS6detail17trampoline_kernelINS0_14default_configENS1_35radix_sort_onesweep_config_selectorIhNS0_10empty_typeEEEZNS1_34radix_sort_onesweep_global_offsetsIS3_Lb0EPKhPS5_mNS0_19identity_decomposerEEE10hipError_tT1_T2_PT3_SF_jT4_jjP12ihipStream_tbEUlT_E_NS1_11comp_targetILNS1_3genE0ELNS1_11target_archE4294967295ELNS1_3gpuE0ELNS1_3repE0EEENS1_52radix_sort_onesweep_histogram_config_static_selectorELNS0_4arch9wavefront6targetE0EEEvSD_.num_vgpr, 47
	.set _ZN7rocprim17ROCPRIM_400000_NS6detail17trampoline_kernelINS0_14default_configENS1_35radix_sort_onesweep_config_selectorIhNS0_10empty_typeEEEZNS1_34radix_sort_onesweep_global_offsetsIS3_Lb0EPKhPS5_mNS0_19identity_decomposerEEE10hipError_tT1_T2_PT3_SF_jT4_jjP12ihipStream_tbEUlT_E_NS1_11comp_targetILNS1_3genE0ELNS1_11target_archE4294967295ELNS1_3gpuE0ELNS1_3repE0EEENS1_52radix_sort_onesweep_histogram_config_static_selectorELNS0_4arch9wavefront6targetE0EEEvSD_.num_agpr, 0
	.set _ZN7rocprim17ROCPRIM_400000_NS6detail17trampoline_kernelINS0_14default_configENS1_35radix_sort_onesweep_config_selectorIhNS0_10empty_typeEEEZNS1_34radix_sort_onesweep_global_offsetsIS3_Lb0EPKhPS5_mNS0_19identity_decomposerEEE10hipError_tT1_T2_PT3_SF_jT4_jjP12ihipStream_tbEUlT_E_NS1_11comp_targetILNS1_3genE0ELNS1_11target_archE4294967295ELNS1_3gpuE0ELNS1_3repE0EEENS1_52radix_sort_onesweep_histogram_config_static_selectorELNS0_4arch9wavefront6targetE0EEEvSD_.numbered_sgpr, 13
	.set _ZN7rocprim17ROCPRIM_400000_NS6detail17trampoline_kernelINS0_14default_configENS1_35radix_sort_onesweep_config_selectorIhNS0_10empty_typeEEEZNS1_34radix_sort_onesweep_global_offsetsIS3_Lb0EPKhPS5_mNS0_19identity_decomposerEEE10hipError_tT1_T2_PT3_SF_jT4_jjP12ihipStream_tbEUlT_E_NS1_11comp_targetILNS1_3genE0ELNS1_11target_archE4294967295ELNS1_3gpuE0ELNS1_3repE0EEENS1_52radix_sort_onesweep_histogram_config_static_selectorELNS0_4arch9wavefront6targetE0EEEvSD_.num_named_barrier, 0
	.set _ZN7rocprim17ROCPRIM_400000_NS6detail17trampoline_kernelINS0_14default_configENS1_35radix_sort_onesweep_config_selectorIhNS0_10empty_typeEEEZNS1_34radix_sort_onesweep_global_offsetsIS3_Lb0EPKhPS5_mNS0_19identity_decomposerEEE10hipError_tT1_T2_PT3_SF_jT4_jjP12ihipStream_tbEUlT_E_NS1_11comp_targetILNS1_3genE0ELNS1_11target_archE4294967295ELNS1_3gpuE0ELNS1_3repE0EEENS1_52radix_sort_onesweep_histogram_config_static_selectorELNS0_4arch9wavefront6targetE0EEEvSD_.private_seg_size, 0
	.set _ZN7rocprim17ROCPRIM_400000_NS6detail17trampoline_kernelINS0_14default_configENS1_35radix_sort_onesweep_config_selectorIhNS0_10empty_typeEEEZNS1_34radix_sort_onesweep_global_offsetsIS3_Lb0EPKhPS5_mNS0_19identity_decomposerEEE10hipError_tT1_T2_PT3_SF_jT4_jjP12ihipStream_tbEUlT_E_NS1_11comp_targetILNS1_3genE0ELNS1_11target_archE4294967295ELNS1_3gpuE0ELNS1_3repE0EEENS1_52radix_sort_onesweep_histogram_config_static_selectorELNS0_4arch9wavefront6targetE0EEEvSD_.uses_vcc, 1
	.set _ZN7rocprim17ROCPRIM_400000_NS6detail17trampoline_kernelINS0_14default_configENS1_35radix_sort_onesweep_config_selectorIhNS0_10empty_typeEEEZNS1_34radix_sort_onesweep_global_offsetsIS3_Lb0EPKhPS5_mNS0_19identity_decomposerEEE10hipError_tT1_T2_PT3_SF_jT4_jjP12ihipStream_tbEUlT_E_NS1_11comp_targetILNS1_3genE0ELNS1_11target_archE4294967295ELNS1_3gpuE0ELNS1_3repE0EEENS1_52radix_sort_onesweep_histogram_config_static_selectorELNS0_4arch9wavefront6targetE0EEEvSD_.uses_flat_scratch, 0
	.set _ZN7rocprim17ROCPRIM_400000_NS6detail17trampoline_kernelINS0_14default_configENS1_35radix_sort_onesweep_config_selectorIhNS0_10empty_typeEEEZNS1_34radix_sort_onesweep_global_offsetsIS3_Lb0EPKhPS5_mNS0_19identity_decomposerEEE10hipError_tT1_T2_PT3_SF_jT4_jjP12ihipStream_tbEUlT_E_NS1_11comp_targetILNS1_3genE0ELNS1_11target_archE4294967295ELNS1_3gpuE0ELNS1_3repE0EEENS1_52radix_sort_onesweep_histogram_config_static_selectorELNS0_4arch9wavefront6targetE0EEEvSD_.has_dyn_sized_stack, 0
	.set _ZN7rocprim17ROCPRIM_400000_NS6detail17trampoline_kernelINS0_14default_configENS1_35radix_sort_onesweep_config_selectorIhNS0_10empty_typeEEEZNS1_34radix_sort_onesweep_global_offsetsIS3_Lb0EPKhPS5_mNS0_19identity_decomposerEEE10hipError_tT1_T2_PT3_SF_jT4_jjP12ihipStream_tbEUlT_E_NS1_11comp_targetILNS1_3genE0ELNS1_11target_archE4294967295ELNS1_3gpuE0ELNS1_3repE0EEENS1_52radix_sort_onesweep_histogram_config_static_selectorELNS0_4arch9wavefront6targetE0EEEvSD_.has_recursion, 0
	.set _ZN7rocprim17ROCPRIM_400000_NS6detail17trampoline_kernelINS0_14default_configENS1_35radix_sort_onesweep_config_selectorIhNS0_10empty_typeEEEZNS1_34radix_sort_onesweep_global_offsetsIS3_Lb0EPKhPS5_mNS0_19identity_decomposerEEE10hipError_tT1_T2_PT3_SF_jT4_jjP12ihipStream_tbEUlT_E_NS1_11comp_targetILNS1_3genE0ELNS1_11target_archE4294967295ELNS1_3gpuE0ELNS1_3repE0EEENS1_52radix_sort_onesweep_histogram_config_static_selectorELNS0_4arch9wavefront6targetE0EEEvSD_.has_indirect_call, 0
	.section	.AMDGPU.csdata,"",@progbits
; Kernel info:
; codeLenInByte = 10532
; TotalNumSgprs: 15
; NumVgprs: 47
; ScratchSize: 0
; MemoryBound: 0
; FloatMode: 240
; IeeeMode: 1
; LDSByteSize: 512 bytes/workgroup (compile time only)
; SGPRBlocks: 0
; VGPRBlocks: 2
; NumSGPRsForWavesPerEU: 15
; NumVGPRsForWavesPerEU: 47
; NamedBarCnt: 0
; Occupancy: 16
; WaveLimiterHint : 1
; COMPUTE_PGM_RSRC2:SCRATCH_EN: 0
; COMPUTE_PGM_RSRC2:USER_SGPR: 2
; COMPUTE_PGM_RSRC2:TRAP_HANDLER: 0
; COMPUTE_PGM_RSRC2:TGID_X_EN: 1
; COMPUTE_PGM_RSRC2:TGID_Y_EN: 0
; COMPUTE_PGM_RSRC2:TGID_Z_EN: 0
; COMPUTE_PGM_RSRC2:TIDIG_COMP_CNT: 0
	.section	.text._ZN7rocprim17ROCPRIM_400000_NS6detail17trampoline_kernelINS0_14default_configENS1_35radix_sort_onesweep_config_selectorIhNS0_10empty_typeEEEZNS1_34radix_sort_onesweep_global_offsetsIS3_Lb0EPKhPS5_mNS0_19identity_decomposerEEE10hipError_tT1_T2_PT3_SF_jT4_jjP12ihipStream_tbEUlT_E_NS1_11comp_targetILNS1_3genE6ELNS1_11target_archE950ELNS1_3gpuE13ELNS1_3repE0EEENS1_52radix_sort_onesweep_histogram_config_static_selectorELNS0_4arch9wavefront6targetE0EEEvSD_,"axG",@progbits,_ZN7rocprim17ROCPRIM_400000_NS6detail17trampoline_kernelINS0_14default_configENS1_35radix_sort_onesweep_config_selectorIhNS0_10empty_typeEEEZNS1_34radix_sort_onesweep_global_offsetsIS3_Lb0EPKhPS5_mNS0_19identity_decomposerEEE10hipError_tT1_T2_PT3_SF_jT4_jjP12ihipStream_tbEUlT_E_NS1_11comp_targetILNS1_3genE6ELNS1_11target_archE950ELNS1_3gpuE13ELNS1_3repE0EEENS1_52radix_sort_onesweep_histogram_config_static_selectorELNS0_4arch9wavefront6targetE0EEEvSD_,comdat
	.protected	_ZN7rocprim17ROCPRIM_400000_NS6detail17trampoline_kernelINS0_14default_configENS1_35radix_sort_onesweep_config_selectorIhNS0_10empty_typeEEEZNS1_34radix_sort_onesweep_global_offsetsIS3_Lb0EPKhPS5_mNS0_19identity_decomposerEEE10hipError_tT1_T2_PT3_SF_jT4_jjP12ihipStream_tbEUlT_E_NS1_11comp_targetILNS1_3genE6ELNS1_11target_archE950ELNS1_3gpuE13ELNS1_3repE0EEENS1_52radix_sort_onesweep_histogram_config_static_selectorELNS0_4arch9wavefront6targetE0EEEvSD_ ; -- Begin function _ZN7rocprim17ROCPRIM_400000_NS6detail17trampoline_kernelINS0_14default_configENS1_35radix_sort_onesweep_config_selectorIhNS0_10empty_typeEEEZNS1_34radix_sort_onesweep_global_offsetsIS3_Lb0EPKhPS5_mNS0_19identity_decomposerEEE10hipError_tT1_T2_PT3_SF_jT4_jjP12ihipStream_tbEUlT_E_NS1_11comp_targetILNS1_3genE6ELNS1_11target_archE950ELNS1_3gpuE13ELNS1_3repE0EEENS1_52radix_sort_onesweep_histogram_config_static_selectorELNS0_4arch9wavefront6targetE0EEEvSD_
	.globl	_ZN7rocprim17ROCPRIM_400000_NS6detail17trampoline_kernelINS0_14default_configENS1_35radix_sort_onesweep_config_selectorIhNS0_10empty_typeEEEZNS1_34radix_sort_onesweep_global_offsetsIS3_Lb0EPKhPS5_mNS0_19identity_decomposerEEE10hipError_tT1_T2_PT3_SF_jT4_jjP12ihipStream_tbEUlT_E_NS1_11comp_targetILNS1_3genE6ELNS1_11target_archE950ELNS1_3gpuE13ELNS1_3repE0EEENS1_52radix_sort_onesweep_histogram_config_static_selectorELNS0_4arch9wavefront6targetE0EEEvSD_
	.p2align	8
	.type	_ZN7rocprim17ROCPRIM_400000_NS6detail17trampoline_kernelINS0_14default_configENS1_35radix_sort_onesweep_config_selectorIhNS0_10empty_typeEEEZNS1_34radix_sort_onesweep_global_offsetsIS3_Lb0EPKhPS5_mNS0_19identity_decomposerEEE10hipError_tT1_T2_PT3_SF_jT4_jjP12ihipStream_tbEUlT_E_NS1_11comp_targetILNS1_3genE6ELNS1_11target_archE950ELNS1_3gpuE13ELNS1_3repE0EEENS1_52radix_sort_onesweep_histogram_config_static_selectorELNS0_4arch9wavefront6targetE0EEEvSD_,@function
_ZN7rocprim17ROCPRIM_400000_NS6detail17trampoline_kernelINS0_14default_configENS1_35radix_sort_onesweep_config_selectorIhNS0_10empty_typeEEEZNS1_34radix_sort_onesweep_global_offsetsIS3_Lb0EPKhPS5_mNS0_19identity_decomposerEEE10hipError_tT1_T2_PT3_SF_jT4_jjP12ihipStream_tbEUlT_E_NS1_11comp_targetILNS1_3genE6ELNS1_11target_archE950ELNS1_3gpuE13ELNS1_3repE0EEENS1_52radix_sort_onesweep_histogram_config_static_selectorELNS0_4arch9wavefront6targetE0EEEvSD_: ; @_ZN7rocprim17ROCPRIM_400000_NS6detail17trampoline_kernelINS0_14default_configENS1_35radix_sort_onesweep_config_selectorIhNS0_10empty_typeEEEZNS1_34radix_sort_onesweep_global_offsetsIS3_Lb0EPKhPS5_mNS0_19identity_decomposerEEE10hipError_tT1_T2_PT3_SF_jT4_jjP12ihipStream_tbEUlT_E_NS1_11comp_targetILNS1_3genE6ELNS1_11target_archE950ELNS1_3gpuE13ELNS1_3repE0EEENS1_52radix_sort_onesweep_histogram_config_static_selectorELNS0_4arch9wavefront6targetE0EEEvSD_
; %bb.0:
	.section	.rodata,"a",@progbits
	.p2align	6, 0x0
	.amdhsa_kernel _ZN7rocprim17ROCPRIM_400000_NS6detail17trampoline_kernelINS0_14default_configENS1_35radix_sort_onesweep_config_selectorIhNS0_10empty_typeEEEZNS1_34radix_sort_onesweep_global_offsetsIS3_Lb0EPKhPS5_mNS0_19identity_decomposerEEE10hipError_tT1_T2_PT3_SF_jT4_jjP12ihipStream_tbEUlT_E_NS1_11comp_targetILNS1_3genE6ELNS1_11target_archE950ELNS1_3gpuE13ELNS1_3repE0EEENS1_52radix_sort_onesweep_histogram_config_static_selectorELNS0_4arch9wavefront6targetE0EEEvSD_
		.amdhsa_group_segment_fixed_size 0
		.amdhsa_private_segment_fixed_size 0
		.amdhsa_kernarg_size 48
		.amdhsa_user_sgpr_count 2
		.amdhsa_user_sgpr_dispatch_ptr 0
		.amdhsa_user_sgpr_queue_ptr 0
		.amdhsa_user_sgpr_kernarg_segment_ptr 1
		.amdhsa_user_sgpr_dispatch_id 0
		.amdhsa_user_sgpr_kernarg_preload_length 0
		.amdhsa_user_sgpr_kernarg_preload_offset 0
		.amdhsa_user_sgpr_private_segment_size 0
		.amdhsa_wavefront_size32 1
		.amdhsa_uses_dynamic_stack 0
		.amdhsa_enable_private_segment 0
		.amdhsa_system_sgpr_workgroup_id_x 1
		.amdhsa_system_sgpr_workgroup_id_y 0
		.amdhsa_system_sgpr_workgroup_id_z 0
		.amdhsa_system_sgpr_workgroup_info 0
		.amdhsa_system_vgpr_workitem_id 0
		.amdhsa_next_free_vgpr 1
		.amdhsa_next_free_sgpr 1
		.amdhsa_named_barrier_count 0
		.amdhsa_reserve_vcc 0
		.amdhsa_float_round_mode_32 0
		.amdhsa_float_round_mode_16_64 0
		.amdhsa_float_denorm_mode_32 3
		.amdhsa_float_denorm_mode_16_64 3
		.amdhsa_fp16_overflow 0
		.amdhsa_memory_ordered 1
		.amdhsa_forward_progress 1
		.amdhsa_inst_pref_size 0
		.amdhsa_round_robin_scheduling 0
		.amdhsa_exception_fp_ieee_invalid_op 0
		.amdhsa_exception_fp_denorm_src 0
		.amdhsa_exception_fp_ieee_div_zero 0
		.amdhsa_exception_fp_ieee_overflow 0
		.amdhsa_exception_fp_ieee_underflow 0
		.amdhsa_exception_fp_ieee_inexact 0
		.amdhsa_exception_int_div_zero 0
	.end_amdhsa_kernel
	.section	.text._ZN7rocprim17ROCPRIM_400000_NS6detail17trampoline_kernelINS0_14default_configENS1_35radix_sort_onesweep_config_selectorIhNS0_10empty_typeEEEZNS1_34radix_sort_onesweep_global_offsetsIS3_Lb0EPKhPS5_mNS0_19identity_decomposerEEE10hipError_tT1_T2_PT3_SF_jT4_jjP12ihipStream_tbEUlT_E_NS1_11comp_targetILNS1_3genE6ELNS1_11target_archE950ELNS1_3gpuE13ELNS1_3repE0EEENS1_52radix_sort_onesweep_histogram_config_static_selectorELNS0_4arch9wavefront6targetE0EEEvSD_,"axG",@progbits,_ZN7rocprim17ROCPRIM_400000_NS6detail17trampoline_kernelINS0_14default_configENS1_35radix_sort_onesweep_config_selectorIhNS0_10empty_typeEEEZNS1_34radix_sort_onesweep_global_offsetsIS3_Lb0EPKhPS5_mNS0_19identity_decomposerEEE10hipError_tT1_T2_PT3_SF_jT4_jjP12ihipStream_tbEUlT_E_NS1_11comp_targetILNS1_3genE6ELNS1_11target_archE950ELNS1_3gpuE13ELNS1_3repE0EEENS1_52radix_sort_onesweep_histogram_config_static_selectorELNS0_4arch9wavefront6targetE0EEEvSD_,comdat
.Lfunc_end202:
	.size	_ZN7rocprim17ROCPRIM_400000_NS6detail17trampoline_kernelINS0_14default_configENS1_35radix_sort_onesweep_config_selectorIhNS0_10empty_typeEEEZNS1_34radix_sort_onesweep_global_offsetsIS3_Lb0EPKhPS5_mNS0_19identity_decomposerEEE10hipError_tT1_T2_PT3_SF_jT4_jjP12ihipStream_tbEUlT_E_NS1_11comp_targetILNS1_3genE6ELNS1_11target_archE950ELNS1_3gpuE13ELNS1_3repE0EEENS1_52radix_sort_onesweep_histogram_config_static_selectorELNS0_4arch9wavefront6targetE0EEEvSD_, .Lfunc_end202-_ZN7rocprim17ROCPRIM_400000_NS6detail17trampoline_kernelINS0_14default_configENS1_35radix_sort_onesweep_config_selectorIhNS0_10empty_typeEEEZNS1_34radix_sort_onesweep_global_offsetsIS3_Lb0EPKhPS5_mNS0_19identity_decomposerEEE10hipError_tT1_T2_PT3_SF_jT4_jjP12ihipStream_tbEUlT_E_NS1_11comp_targetILNS1_3genE6ELNS1_11target_archE950ELNS1_3gpuE13ELNS1_3repE0EEENS1_52radix_sort_onesweep_histogram_config_static_selectorELNS0_4arch9wavefront6targetE0EEEvSD_
                                        ; -- End function
	.set _ZN7rocprim17ROCPRIM_400000_NS6detail17trampoline_kernelINS0_14default_configENS1_35radix_sort_onesweep_config_selectorIhNS0_10empty_typeEEEZNS1_34radix_sort_onesweep_global_offsetsIS3_Lb0EPKhPS5_mNS0_19identity_decomposerEEE10hipError_tT1_T2_PT3_SF_jT4_jjP12ihipStream_tbEUlT_E_NS1_11comp_targetILNS1_3genE6ELNS1_11target_archE950ELNS1_3gpuE13ELNS1_3repE0EEENS1_52radix_sort_onesweep_histogram_config_static_selectorELNS0_4arch9wavefront6targetE0EEEvSD_.num_vgpr, 0
	.set _ZN7rocprim17ROCPRIM_400000_NS6detail17trampoline_kernelINS0_14default_configENS1_35radix_sort_onesweep_config_selectorIhNS0_10empty_typeEEEZNS1_34radix_sort_onesweep_global_offsetsIS3_Lb0EPKhPS5_mNS0_19identity_decomposerEEE10hipError_tT1_T2_PT3_SF_jT4_jjP12ihipStream_tbEUlT_E_NS1_11comp_targetILNS1_3genE6ELNS1_11target_archE950ELNS1_3gpuE13ELNS1_3repE0EEENS1_52radix_sort_onesweep_histogram_config_static_selectorELNS0_4arch9wavefront6targetE0EEEvSD_.num_agpr, 0
	.set _ZN7rocprim17ROCPRIM_400000_NS6detail17trampoline_kernelINS0_14default_configENS1_35radix_sort_onesweep_config_selectorIhNS0_10empty_typeEEEZNS1_34radix_sort_onesweep_global_offsetsIS3_Lb0EPKhPS5_mNS0_19identity_decomposerEEE10hipError_tT1_T2_PT3_SF_jT4_jjP12ihipStream_tbEUlT_E_NS1_11comp_targetILNS1_3genE6ELNS1_11target_archE950ELNS1_3gpuE13ELNS1_3repE0EEENS1_52radix_sort_onesweep_histogram_config_static_selectorELNS0_4arch9wavefront6targetE0EEEvSD_.numbered_sgpr, 0
	.set _ZN7rocprim17ROCPRIM_400000_NS6detail17trampoline_kernelINS0_14default_configENS1_35radix_sort_onesweep_config_selectorIhNS0_10empty_typeEEEZNS1_34radix_sort_onesweep_global_offsetsIS3_Lb0EPKhPS5_mNS0_19identity_decomposerEEE10hipError_tT1_T2_PT3_SF_jT4_jjP12ihipStream_tbEUlT_E_NS1_11comp_targetILNS1_3genE6ELNS1_11target_archE950ELNS1_3gpuE13ELNS1_3repE0EEENS1_52radix_sort_onesweep_histogram_config_static_selectorELNS0_4arch9wavefront6targetE0EEEvSD_.num_named_barrier, 0
	.set _ZN7rocprim17ROCPRIM_400000_NS6detail17trampoline_kernelINS0_14default_configENS1_35radix_sort_onesweep_config_selectorIhNS0_10empty_typeEEEZNS1_34radix_sort_onesweep_global_offsetsIS3_Lb0EPKhPS5_mNS0_19identity_decomposerEEE10hipError_tT1_T2_PT3_SF_jT4_jjP12ihipStream_tbEUlT_E_NS1_11comp_targetILNS1_3genE6ELNS1_11target_archE950ELNS1_3gpuE13ELNS1_3repE0EEENS1_52radix_sort_onesweep_histogram_config_static_selectorELNS0_4arch9wavefront6targetE0EEEvSD_.private_seg_size, 0
	.set _ZN7rocprim17ROCPRIM_400000_NS6detail17trampoline_kernelINS0_14default_configENS1_35radix_sort_onesweep_config_selectorIhNS0_10empty_typeEEEZNS1_34radix_sort_onesweep_global_offsetsIS3_Lb0EPKhPS5_mNS0_19identity_decomposerEEE10hipError_tT1_T2_PT3_SF_jT4_jjP12ihipStream_tbEUlT_E_NS1_11comp_targetILNS1_3genE6ELNS1_11target_archE950ELNS1_3gpuE13ELNS1_3repE0EEENS1_52radix_sort_onesweep_histogram_config_static_selectorELNS0_4arch9wavefront6targetE0EEEvSD_.uses_vcc, 0
	.set _ZN7rocprim17ROCPRIM_400000_NS6detail17trampoline_kernelINS0_14default_configENS1_35radix_sort_onesweep_config_selectorIhNS0_10empty_typeEEEZNS1_34radix_sort_onesweep_global_offsetsIS3_Lb0EPKhPS5_mNS0_19identity_decomposerEEE10hipError_tT1_T2_PT3_SF_jT4_jjP12ihipStream_tbEUlT_E_NS1_11comp_targetILNS1_3genE6ELNS1_11target_archE950ELNS1_3gpuE13ELNS1_3repE0EEENS1_52radix_sort_onesweep_histogram_config_static_selectorELNS0_4arch9wavefront6targetE0EEEvSD_.uses_flat_scratch, 0
	.set _ZN7rocprim17ROCPRIM_400000_NS6detail17trampoline_kernelINS0_14default_configENS1_35radix_sort_onesweep_config_selectorIhNS0_10empty_typeEEEZNS1_34radix_sort_onesweep_global_offsetsIS3_Lb0EPKhPS5_mNS0_19identity_decomposerEEE10hipError_tT1_T2_PT3_SF_jT4_jjP12ihipStream_tbEUlT_E_NS1_11comp_targetILNS1_3genE6ELNS1_11target_archE950ELNS1_3gpuE13ELNS1_3repE0EEENS1_52radix_sort_onesweep_histogram_config_static_selectorELNS0_4arch9wavefront6targetE0EEEvSD_.has_dyn_sized_stack, 0
	.set _ZN7rocprim17ROCPRIM_400000_NS6detail17trampoline_kernelINS0_14default_configENS1_35radix_sort_onesweep_config_selectorIhNS0_10empty_typeEEEZNS1_34radix_sort_onesweep_global_offsetsIS3_Lb0EPKhPS5_mNS0_19identity_decomposerEEE10hipError_tT1_T2_PT3_SF_jT4_jjP12ihipStream_tbEUlT_E_NS1_11comp_targetILNS1_3genE6ELNS1_11target_archE950ELNS1_3gpuE13ELNS1_3repE0EEENS1_52radix_sort_onesweep_histogram_config_static_selectorELNS0_4arch9wavefront6targetE0EEEvSD_.has_recursion, 0
	.set _ZN7rocprim17ROCPRIM_400000_NS6detail17trampoline_kernelINS0_14default_configENS1_35radix_sort_onesweep_config_selectorIhNS0_10empty_typeEEEZNS1_34radix_sort_onesweep_global_offsetsIS3_Lb0EPKhPS5_mNS0_19identity_decomposerEEE10hipError_tT1_T2_PT3_SF_jT4_jjP12ihipStream_tbEUlT_E_NS1_11comp_targetILNS1_3genE6ELNS1_11target_archE950ELNS1_3gpuE13ELNS1_3repE0EEENS1_52radix_sort_onesweep_histogram_config_static_selectorELNS0_4arch9wavefront6targetE0EEEvSD_.has_indirect_call, 0
	.section	.AMDGPU.csdata,"",@progbits
; Kernel info:
; codeLenInByte = 0
; TotalNumSgprs: 0
; NumVgprs: 0
; ScratchSize: 0
; MemoryBound: 0
; FloatMode: 240
; IeeeMode: 1
; LDSByteSize: 0 bytes/workgroup (compile time only)
; SGPRBlocks: 0
; VGPRBlocks: 0
; NumSGPRsForWavesPerEU: 1
; NumVGPRsForWavesPerEU: 1
; NamedBarCnt: 0
; Occupancy: 16
; WaveLimiterHint : 0
; COMPUTE_PGM_RSRC2:SCRATCH_EN: 0
; COMPUTE_PGM_RSRC2:USER_SGPR: 2
; COMPUTE_PGM_RSRC2:TRAP_HANDLER: 0
; COMPUTE_PGM_RSRC2:TGID_X_EN: 1
; COMPUTE_PGM_RSRC2:TGID_Y_EN: 0
; COMPUTE_PGM_RSRC2:TGID_Z_EN: 0
; COMPUTE_PGM_RSRC2:TIDIG_COMP_CNT: 0
	.section	.text._ZN7rocprim17ROCPRIM_400000_NS6detail17trampoline_kernelINS0_14default_configENS1_35radix_sort_onesweep_config_selectorIhNS0_10empty_typeEEEZNS1_34radix_sort_onesweep_global_offsetsIS3_Lb0EPKhPS5_mNS0_19identity_decomposerEEE10hipError_tT1_T2_PT3_SF_jT4_jjP12ihipStream_tbEUlT_E_NS1_11comp_targetILNS1_3genE5ELNS1_11target_archE942ELNS1_3gpuE9ELNS1_3repE0EEENS1_52radix_sort_onesweep_histogram_config_static_selectorELNS0_4arch9wavefront6targetE0EEEvSD_,"axG",@progbits,_ZN7rocprim17ROCPRIM_400000_NS6detail17trampoline_kernelINS0_14default_configENS1_35radix_sort_onesweep_config_selectorIhNS0_10empty_typeEEEZNS1_34radix_sort_onesweep_global_offsetsIS3_Lb0EPKhPS5_mNS0_19identity_decomposerEEE10hipError_tT1_T2_PT3_SF_jT4_jjP12ihipStream_tbEUlT_E_NS1_11comp_targetILNS1_3genE5ELNS1_11target_archE942ELNS1_3gpuE9ELNS1_3repE0EEENS1_52radix_sort_onesweep_histogram_config_static_selectorELNS0_4arch9wavefront6targetE0EEEvSD_,comdat
	.protected	_ZN7rocprim17ROCPRIM_400000_NS6detail17trampoline_kernelINS0_14default_configENS1_35radix_sort_onesweep_config_selectorIhNS0_10empty_typeEEEZNS1_34radix_sort_onesweep_global_offsetsIS3_Lb0EPKhPS5_mNS0_19identity_decomposerEEE10hipError_tT1_T2_PT3_SF_jT4_jjP12ihipStream_tbEUlT_E_NS1_11comp_targetILNS1_3genE5ELNS1_11target_archE942ELNS1_3gpuE9ELNS1_3repE0EEENS1_52radix_sort_onesweep_histogram_config_static_selectorELNS0_4arch9wavefront6targetE0EEEvSD_ ; -- Begin function _ZN7rocprim17ROCPRIM_400000_NS6detail17trampoline_kernelINS0_14default_configENS1_35radix_sort_onesweep_config_selectorIhNS0_10empty_typeEEEZNS1_34radix_sort_onesweep_global_offsetsIS3_Lb0EPKhPS5_mNS0_19identity_decomposerEEE10hipError_tT1_T2_PT3_SF_jT4_jjP12ihipStream_tbEUlT_E_NS1_11comp_targetILNS1_3genE5ELNS1_11target_archE942ELNS1_3gpuE9ELNS1_3repE0EEENS1_52radix_sort_onesweep_histogram_config_static_selectorELNS0_4arch9wavefront6targetE0EEEvSD_
	.globl	_ZN7rocprim17ROCPRIM_400000_NS6detail17trampoline_kernelINS0_14default_configENS1_35radix_sort_onesweep_config_selectorIhNS0_10empty_typeEEEZNS1_34radix_sort_onesweep_global_offsetsIS3_Lb0EPKhPS5_mNS0_19identity_decomposerEEE10hipError_tT1_T2_PT3_SF_jT4_jjP12ihipStream_tbEUlT_E_NS1_11comp_targetILNS1_3genE5ELNS1_11target_archE942ELNS1_3gpuE9ELNS1_3repE0EEENS1_52radix_sort_onesweep_histogram_config_static_selectorELNS0_4arch9wavefront6targetE0EEEvSD_
	.p2align	8
	.type	_ZN7rocprim17ROCPRIM_400000_NS6detail17trampoline_kernelINS0_14default_configENS1_35radix_sort_onesweep_config_selectorIhNS0_10empty_typeEEEZNS1_34radix_sort_onesweep_global_offsetsIS3_Lb0EPKhPS5_mNS0_19identity_decomposerEEE10hipError_tT1_T2_PT3_SF_jT4_jjP12ihipStream_tbEUlT_E_NS1_11comp_targetILNS1_3genE5ELNS1_11target_archE942ELNS1_3gpuE9ELNS1_3repE0EEENS1_52radix_sort_onesweep_histogram_config_static_selectorELNS0_4arch9wavefront6targetE0EEEvSD_,@function
_ZN7rocprim17ROCPRIM_400000_NS6detail17trampoline_kernelINS0_14default_configENS1_35radix_sort_onesweep_config_selectorIhNS0_10empty_typeEEEZNS1_34radix_sort_onesweep_global_offsetsIS3_Lb0EPKhPS5_mNS0_19identity_decomposerEEE10hipError_tT1_T2_PT3_SF_jT4_jjP12ihipStream_tbEUlT_E_NS1_11comp_targetILNS1_3genE5ELNS1_11target_archE942ELNS1_3gpuE9ELNS1_3repE0EEENS1_52radix_sort_onesweep_histogram_config_static_selectorELNS0_4arch9wavefront6targetE0EEEvSD_: ; @_ZN7rocprim17ROCPRIM_400000_NS6detail17trampoline_kernelINS0_14default_configENS1_35radix_sort_onesweep_config_selectorIhNS0_10empty_typeEEEZNS1_34radix_sort_onesweep_global_offsetsIS3_Lb0EPKhPS5_mNS0_19identity_decomposerEEE10hipError_tT1_T2_PT3_SF_jT4_jjP12ihipStream_tbEUlT_E_NS1_11comp_targetILNS1_3genE5ELNS1_11target_archE942ELNS1_3gpuE9ELNS1_3repE0EEENS1_52radix_sort_onesweep_histogram_config_static_selectorELNS0_4arch9wavefront6targetE0EEEvSD_
; %bb.0:
	.section	.rodata,"a",@progbits
	.p2align	6, 0x0
	.amdhsa_kernel _ZN7rocprim17ROCPRIM_400000_NS6detail17trampoline_kernelINS0_14default_configENS1_35radix_sort_onesweep_config_selectorIhNS0_10empty_typeEEEZNS1_34radix_sort_onesweep_global_offsetsIS3_Lb0EPKhPS5_mNS0_19identity_decomposerEEE10hipError_tT1_T2_PT3_SF_jT4_jjP12ihipStream_tbEUlT_E_NS1_11comp_targetILNS1_3genE5ELNS1_11target_archE942ELNS1_3gpuE9ELNS1_3repE0EEENS1_52radix_sort_onesweep_histogram_config_static_selectorELNS0_4arch9wavefront6targetE0EEEvSD_
		.amdhsa_group_segment_fixed_size 0
		.amdhsa_private_segment_fixed_size 0
		.amdhsa_kernarg_size 48
		.amdhsa_user_sgpr_count 2
		.amdhsa_user_sgpr_dispatch_ptr 0
		.amdhsa_user_sgpr_queue_ptr 0
		.amdhsa_user_sgpr_kernarg_segment_ptr 1
		.amdhsa_user_sgpr_dispatch_id 0
		.amdhsa_user_sgpr_kernarg_preload_length 0
		.amdhsa_user_sgpr_kernarg_preload_offset 0
		.amdhsa_user_sgpr_private_segment_size 0
		.amdhsa_wavefront_size32 1
		.amdhsa_uses_dynamic_stack 0
		.amdhsa_enable_private_segment 0
		.amdhsa_system_sgpr_workgroup_id_x 1
		.amdhsa_system_sgpr_workgroup_id_y 0
		.amdhsa_system_sgpr_workgroup_id_z 0
		.amdhsa_system_sgpr_workgroup_info 0
		.amdhsa_system_vgpr_workitem_id 0
		.amdhsa_next_free_vgpr 1
		.amdhsa_next_free_sgpr 1
		.amdhsa_named_barrier_count 0
		.amdhsa_reserve_vcc 0
		.amdhsa_float_round_mode_32 0
		.amdhsa_float_round_mode_16_64 0
		.amdhsa_float_denorm_mode_32 3
		.amdhsa_float_denorm_mode_16_64 3
		.amdhsa_fp16_overflow 0
		.amdhsa_memory_ordered 1
		.amdhsa_forward_progress 1
		.amdhsa_inst_pref_size 0
		.amdhsa_round_robin_scheduling 0
		.amdhsa_exception_fp_ieee_invalid_op 0
		.amdhsa_exception_fp_denorm_src 0
		.amdhsa_exception_fp_ieee_div_zero 0
		.amdhsa_exception_fp_ieee_overflow 0
		.amdhsa_exception_fp_ieee_underflow 0
		.amdhsa_exception_fp_ieee_inexact 0
		.amdhsa_exception_int_div_zero 0
	.end_amdhsa_kernel
	.section	.text._ZN7rocprim17ROCPRIM_400000_NS6detail17trampoline_kernelINS0_14default_configENS1_35radix_sort_onesweep_config_selectorIhNS0_10empty_typeEEEZNS1_34radix_sort_onesweep_global_offsetsIS3_Lb0EPKhPS5_mNS0_19identity_decomposerEEE10hipError_tT1_T2_PT3_SF_jT4_jjP12ihipStream_tbEUlT_E_NS1_11comp_targetILNS1_3genE5ELNS1_11target_archE942ELNS1_3gpuE9ELNS1_3repE0EEENS1_52radix_sort_onesweep_histogram_config_static_selectorELNS0_4arch9wavefront6targetE0EEEvSD_,"axG",@progbits,_ZN7rocprim17ROCPRIM_400000_NS6detail17trampoline_kernelINS0_14default_configENS1_35radix_sort_onesweep_config_selectorIhNS0_10empty_typeEEEZNS1_34radix_sort_onesweep_global_offsetsIS3_Lb0EPKhPS5_mNS0_19identity_decomposerEEE10hipError_tT1_T2_PT3_SF_jT4_jjP12ihipStream_tbEUlT_E_NS1_11comp_targetILNS1_3genE5ELNS1_11target_archE942ELNS1_3gpuE9ELNS1_3repE0EEENS1_52radix_sort_onesweep_histogram_config_static_selectorELNS0_4arch9wavefront6targetE0EEEvSD_,comdat
.Lfunc_end203:
	.size	_ZN7rocprim17ROCPRIM_400000_NS6detail17trampoline_kernelINS0_14default_configENS1_35radix_sort_onesweep_config_selectorIhNS0_10empty_typeEEEZNS1_34radix_sort_onesweep_global_offsetsIS3_Lb0EPKhPS5_mNS0_19identity_decomposerEEE10hipError_tT1_T2_PT3_SF_jT4_jjP12ihipStream_tbEUlT_E_NS1_11comp_targetILNS1_3genE5ELNS1_11target_archE942ELNS1_3gpuE9ELNS1_3repE0EEENS1_52radix_sort_onesweep_histogram_config_static_selectorELNS0_4arch9wavefront6targetE0EEEvSD_, .Lfunc_end203-_ZN7rocprim17ROCPRIM_400000_NS6detail17trampoline_kernelINS0_14default_configENS1_35radix_sort_onesweep_config_selectorIhNS0_10empty_typeEEEZNS1_34radix_sort_onesweep_global_offsetsIS3_Lb0EPKhPS5_mNS0_19identity_decomposerEEE10hipError_tT1_T2_PT3_SF_jT4_jjP12ihipStream_tbEUlT_E_NS1_11comp_targetILNS1_3genE5ELNS1_11target_archE942ELNS1_3gpuE9ELNS1_3repE0EEENS1_52radix_sort_onesweep_histogram_config_static_selectorELNS0_4arch9wavefront6targetE0EEEvSD_
                                        ; -- End function
	.set _ZN7rocprim17ROCPRIM_400000_NS6detail17trampoline_kernelINS0_14default_configENS1_35radix_sort_onesweep_config_selectorIhNS0_10empty_typeEEEZNS1_34radix_sort_onesweep_global_offsetsIS3_Lb0EPKhPS5_mNS0_19identity_decomposerEEE10hipError_tT1_T2_PT3_SF_jT4_jjP12ihipStream_tbEUlT_E_NS1_11comp_targetILNS1_3genE5ELNS1_11target_archE942ELNS1_3gpuE9ELNS1_3repE0EEENS1_52radix_sort_onesweep_histogram_config_static_selectorELNS0_4arch9wavefront6targetE0EEEvSD_.num_vgpr, 0
	.set _ZN7rocprim17ROCPRIM_400000_NS6detail17trampoline_kernelINS0_14default_configENS1_35radix_sort_onesweep_config_selectorIhNS0_10empty_typeEEEZNS1_34radix_sort_onesweep_global_offsetsIS3_Lb0EPKhPS5_mNS0_19identity_decomposerEEE10hipError_tT1_T2_PT3_SF_jT4_jjP12ihipStream_tbEUlT_E_NS1_11comp_targetILNS1_3genE5ELNS1_11target_archE942ELNS1_3gpuE9ELNS1_3repE0EEENS1_52radix_sort_onesweep_histogram_config_static_selectorELNS0_4arch9wavefront6targetE0EEEvSD_.num_agpr, 0
	.set _ZN7rocprim17ROCPRIM_400000_NS6detail17trampoline_kernelINS0_14default_configENS1_35radix_sort_onesweep_config_selectorIhNS0_10empty_typeEEEZNS1_34radix_sort_onesweep_global_offsetsIS3_Lb0EPKhPS5_mNS0_19identity_decomposerEEE10hipError_tT1_T2_PT3_SF_jT4_jjP12ihipStream_tbEUlT_E_NS1_11comp_targetILNS1_3genE5ELNS1_11target_archE942ELNS1_3gpuE9ELNS1_3repE0EEENS1_52radix_sort_onesweep_histogram_config_static_selectorELNS0_4arch9wavefront6targetE0EEEvSD_.numbered_sgpr, 0
	.set _ZN7rocprim17ROCPRIM_400000_NS6detail17trampoline_kernelINS0_14default_configENS1_35radix_sort_onesweep_config_selectorIhNS0_10empty_typeEEEZNS1_34radix_sort_onesweep_global_offsetsIS3_Lb0EPKhPS5_mNS0_19identity_decomposerEEE10hipError_tT1_T2_PT3_SF_jT4_jjP12ihipStream_tbEUlT_E_NS1_11comp_targetILNS1_3genE5ELNS1_11target_archE942ELNS1_3gpuE9ELNS1_3repE0EEENS1_52radix_sort_onesweep_histogram_config_static_selectorELNS0_4arch9wavefront6targetE0EEEvSD_.num_named_barrier, 0
	.set _ZN7rocprim17ROCPRIM_400000_NS6detail17trampoline_kernelINS0_14default_configENS1_35radix_sort_onesweep_config_selectorIhNS0_10empty_typeEEEZNS1_34radix_sort_onesweep_global_offsetsIS3_Lb0EPKhPS5_mNS0_19identity_decomposerEEE10hipError_tT1_T2_PT3_SF_jT4_jjP12ihipStream_tbEUlT_E_NS1_11comp_targetILNS1_3genE5ELNS1_11target_archE942ELNS1_3gpuE9ELNS1_3repE0EEENS1_52radix_sort_onesweep_histogram_config_static_selectorELNS0_4arch9wavefront6targetE0EEEvSD_.private_seg_size, 0
	.set _ZN7rocprim17ROCPRIM_400000_NS6detail17trampoline_kernelINS0_14default_configENS1_35radix_sort_onesweep_config_selectorIhNS0_10empty_typeEEEZNS1_34radix_sort_onesweep_global_offsetsIS3_Lb0EPKhPS5_mNS0_19identity_decomposerEEE10hipError_tT1_T2_PT3_SF_jT4_jjP12ihipStream_tbEUlT_E_NS1_11comp_targetILNS1_3genE5ELNS1_11target_archE942ELNS1_3gpuE9ELNS1_3repE0EEENS1_52radix_sort_onesweep_histogram_config_static_selectorELNS0_4arch9wavefront6targetE0EEEvSD_.uses_vcc, 0
	.set _ZN7rocprim17ROCPRIM_400000_NS6detail17trampoline_kernelINS0_14default_configENS1_35radix_sort_onesweep_config_selectorIhNS0_10empty_typeEEEZNS1_34radix_sort_onesweep_global_offsetsIS3_Lb0EPKhPS5_mNS0_19identity_decomposerEEE10hipError_tT1_T2_PT3_SF_jT4_jjP12ihipStream_tbEUlT_E_NS1_11comp_targetILNS1_3genE5ELNS1_11target_archE942ELNS1_3gpuE9ELNS1_3repE0EEENS1_52radix_sort_onesweep_histogram_config_static_selectorELNS0_4arch9wavefront6targetE0EEEvSD_.uses_flat_scratch, 0
	.set _ZN7rocprim17ROCPRIM_400000_NS6detail17trampoline_kernelINS0_14default_configENS1_35radix_sort_onesweep_config_selectorIhNS0_10empty_typeEEEZNS1_34radix_sort_onesweep_global_offsetsIS3_Lb0EPKhPS5_mNS0_19identity_decomposerEEE10hipError_tT1_T2_PT3_SF_jT4_jjP12ihipStream_tbEUlT_E_NS1_11comp_targetILNS1_3genE5ELNS1_11target_archE942ELNS1_3gpuE9ELNS1_3repE0EEENS1_52radix_sort_onesweep_histogram_config_static_selectorELNS0_4arch9wavefront6targetE0EEEvSD_.has_dyn_sized_stack, 0
	.set _ZN7rocprim17ROCPRIM_400000_NS6detail17trampoline_kernelINS0_14default_configENS1_35radix_sort_onesweep_config_selectorIhNS0_10empty_typeEEEZNS1_34radix_sort_onesweep_global_offsetsIS3_Lb0EPKhPS5_mNS0_19identity_decomposerEEE10hipError_tT1_T2_PT3_SF_jT4_jjP12ihipStream_tbEUlT_E_NS1_11comp_targetILNS1_3genE5ELNS1_11target_archE942ELNS1_3gpuE9ELNS1_3repE0EEENS1_52radix_sort_onesweep_histogram_config_static_selectorELNS0_4arch9wavefront6targetE0EEEvSD_.has_recursion, 0
	.set _ZN7rocprim17ROCPRIM_400000_NS6detail17trampoline_kernelINS0_14default_configENS1_35radix_sort_onesweep_config_selectorIhNS0_10empty_typeEEEZNS1_34radix_sort_onesweep_global_offsetsIS3_Lb0EPKhPS5_mNS0_19identity_decomposerEEE10hipError_tT1_T2_PT3_SF_jT4_jjP12ihipStream_tbEUlT_E_NS1_11comp_targetILNS1_3genE5ELNS1_11target_archE942ELNS1_3gpuE9ELNS1_3repE0EEENS1_52radix_sort_onesweep_histogram_config_static_selectorELNS0_4arch9wavefront6targetE0EEEvSD_.has_indirect_call, 0
	.section	.AMDGPU.csdata,"",@progbits
; Kernel info:
; codeLenInByte = 0
; TotalNumSgprs: 0
; NumVgprs: 0
; ScratchSize: 0
; MemoryBound: 0
; FloatMode: 240
; IeeeMode: 1
; LDSByteSize: 0 bytes/workgroup (compile time only)
; SGPRBlocks: 0
; VGPRBlocks: 0
; NumSGPRsForWavesPerEU: 1
; NumVGPRsForWavesPerEU: 1
; NamedBarCnt: 0
; Occupancy: 16
; WaveLimiterHint : 0
; COMPUTE_PGM_RSRC2:SCRATCH_EN: 0
; COMPUTE_PGM_RSRC2:USER_SGPR: 2
; COMPUTE_PGM_RSRC2:TRAP_HANDLER: 0
; COMPUTE_PGM_RSRC2:TGID_X_EN: 1
; COMPUTE_PGM_RSRC2:TGID_Y_EN: 0
; COMPUTE_PGM_RSRC2:TGID_Z_EN: 0
; COMPUTE_PGM_RSRC2:TIDIG_COMP_CNT: 0
	.section	.text._ZN7rocprim17ROCPRIM_400000_NS6detail17trampoline_kernelINS0_14default_configENS1_35radix_sort_onesweep_config_selectorIhNS0_10empty_typeEEEZNS1_34radix_sort_onesweep_global_offsetsIS3_Lb0EPKhPS5_mNS0_19identity_decomposerEEE10hipError_tT1_T2_PT3_SF_jT4_jjP12ihipStream_tbEUlT_E_NS1_11comp_targetILNS1_3genE2ELNS1_11target_archE906ELNS1_3gpuE6ELNS1_3repE0EEENS1_52radix_sort_onesweep_histogram_config_static_selectorELNS0_4arch9wavefront6targetE0EEEvSD_,"axG",@progbits,_ZN7rocprim17ROCPRIM_400000_NS6detail17trampoline_kernelINS0_14default_configENS1_35radix_sort_onesweep_config_selectorIhNS0_10empty_typeEEEZNS1_34radix_sort_onesweep_global_offsetsIS3_Lb0EPKhPS5_mNS0_19identity_decomposerEEE10hipError_tT1_T2_PT3_SF_jT4_jjP12ihipStream_tbEUlT_E_NS1_11comp_targetILNS1_3genE2ELNS1_11target_archE906ELNS1_3gpuE6ELNS1_3repE0EEENS1_52radix_sort_onesweep_histogram_config_static_selectorELNS0_4arch9wavefront6targetE0EEEvSD_,comdat
	.protected	_ZN7rocprim17ROCPRIM_400000_NS6detail17trampoline_kernelINS0_14default_configENS1_35radix_sort_onesweep_config_selectorIhNS0_10empty_typeEEEZNS1_34radix_sort_onesweep_global_offsetsIS3_Lb0EPKhPS5_mNS0_19identity_decomposerEEE10hipError_tT1_T2_PT3_SF_jT4_jjP12ihipStream_tbEUlT_E_NS1_11comp_targetILNS1_3genE2ELNS1_11target_archE906ELNS1_3gpuE6ELNS1_3repE0EEENS1_52radix_sort_onesweep_histogram_config_static_selectorELNS0_4arch9wavefront6targetE0EEEvSD_ ; -- Begin function _ZN7rocprim17ROCPRIM_400000_NS6detail17trampoline_kernelINS0_14default_configENS1_35radix_sort_onesweep_config_selectorIhNS0_10empty_typeEEEZNS1_34radix_sort_onesweep_global_offsetsIS3_Lb0EPKhPS5_mNS0_19identity_decomposerEEE10hipError_tT1_T2_PT3_SF_jT4_jjP12ihipStream_tbEUlT_E_NS1_11comp_targetILNS1_3genE2ELNS1_11target_archE906ELNS1_3gpuE6ELNS1_3repE0EEENS1_52radix_sort_onesweep_histogram_config_static_selectorELNS0_4arch9wavefront6targetE0EEEvSD_
	.globl	_ZN7rocprim17ROCPRIM_400000_NS6detail17trampoline_kernelINS0_14default_configENS1_35radix_sort_onesweep_config_selectorIhNS0_10empty_typeEEEZNS1_34radix_sort_onesweep_global_offsetsIS3_Lb0EPKhPS5_mNS0_19identity_decomposerEEE10hipError_tT1_T2_PT3_SF_jT4_jjP12ihipStream_tbEUlT_E_NS1_11comp_targetILNS1_3genE2ELNS1_11target_archE906ELNS1_3gpuE6ELNS1_3repE0EEENS1_52radix_sort_onesweep_histogram_config_static_selectorELNS0_4arch9wavefront6targetE0EEEvSD_
	.p2align	8
	.type	_ZN7rocprim17ROCPRIM_400000_NS6detail17trampoline_kernelINS0_14default_configENS1_35radix_sort_onesweep_config_selectorIhNS0_10empty_typeEEEZNS1_34radix_sort_onesweep_global_offsetsIS3_Lb0EPKhPS5_mNS0_19identity_decomposerEEE10hipError_tT1_T2_PT3_SF_jT4_jjP12ihipStream_tbEUlT_E_NS1_11comp_targetILNS1_3genE2ELNS1_11target_archE906ELNS1_3gpuE6ELNS1_3repE0EEENS1_52radix_sort_onesweep_histogram_config_static_selectorELNS0_4arch9wavefront6targetE0EEEvSD_,@function
_ZN7rocprim17ROCPRIM_400000_NS6detail17trampoline_kernelINS0_14default_configENS1_35radix_sort_onesweep_config_selectorIhNS0_10empty_typeEEEZNS1_34radix_sort_onesweep_global_offsetsIS3_Lb0EPKhPS5_mNS0_19identity_decomposerEEE10hipError_tT1_T2_PT3_SF_jT4_jjP12ihipStream_tbEUlT_E_NS1_11comp_targetILNS1_3genE2ELNS1_11target_archE906ELNS1_3gpuE6ELNS1_3repE0EEENS1_52radix_sort_onesweep_histogram_config_static_selectorELNS0_4arch9wavefront6targetE0EEEvSD_: ; @_ZN7rocprim17ROCPRIM_400000_NS6detail17trampoline_kernelINS0_14default_configENS1_35radix_sort_onesweep_config_selectorIhNS0_10empty_typeEEEZNS1_34radix_sort_onesweep_global_offsetsIS3_Lb0EPKhPS5_mNS0_19identity_decomposerEEE10hipError_tT1_T2_PT3_SF_jT4_jjP12ihipStream_tbEUlT_E_NS1_11comp_targetILNS1_3genE2ELNS1_11target_archE906ELNS1_3gpuE6ELNS1_3repE0EEENS1_52radix_sort_onesweep_histogram_config_static_selectorELNS0_4arch9wavefront6targetE0EEEvSD_
; %bb.0:
	.section	.rodata,"a",@progbits
	.p2align	6, 0x0
	.amdhsa_kernel _ZN7rocprim17ROCPRIM_400000_NS6detail17trampoline_kernelINS0_14default_configENS1_35radix_sort_onesweep_config_selectorIhNS0_10empty_typeEEEZNS1_34radix_sort_onesweep_global_offsetsIS3_Lb0EPKhPS5_mNS0_19identity_decomposerEEE10hipError_tT1_T2_PT3_SF_jT4_jjP12ihipStream_tbEUlT_E_NS1_11comp_targetILNS1_3genE2ELNS1_11target_archE906ELNS1_3gpuE6ELNS1_3repE0EEENS1_52radix_sort_onesweep_histogram_config_static_selectorELNS0_4arch9wavefront6targetE0EEEvSD_
		.amdhsa_group_segment_fixed_size 0
		.amdhsa_private_segment_fixed_size 0
		.amdhsa_kernarg_size 48
		.amdhsa_user_sgpr_count 2
		.amdhsa_user_sgpr_dispatch_ptr 0
		.amdhsa_user_sgpr_queue_ptr 0
		.amdhsa_user_sgpr_kernarg_segment_ptr 1
		.amdhsa_user_sgpr_dispatch_id 0
		.amdhsa_user_sgpr_kernarg_preload_length 0
		.amdhsa_user_sgpr_kernarg_preload_offset 0
		.amdhsa_user_sgpr_private_segment_size 0
		.amdhsa_wavefront_size32 1
		.amdhsa_uses_dynamic_stack 0
		.amdhsa_enable_private_segment 0
		.amdhsa_system_sgpr_workgroup_id_x 1
		.amdhsa_system_sgpr_workgroup_id_y 0
		.amdhsa_system_sgpr_workgroup_id_z 0
		.amdhsa_system_sgpr_workgroup_info 0
		.amdhsa_system_vgpr_workitem_id 0
		.amdhsa_next_free_vgpr 1
		.amdhsa_next_free_sgpr 1
		.amdhsa_named_barrier_count 0
		.amdhsa_reserve_vcc 0
		.amdhsa_float_round_mode_32 0
		.amdhsa_float_round_mode_16_64 0
		.amdhsa_float_denorm_mode_32 3
		.amdhsa_float_denorm_mode_16_64 3
		.amdhsa_fp16_overflow 0
		.amdhsa_memory_ordered 1
		.amdhsa_forward_progress 1
		.amdhsa_inst_pref_size 0
		.amdhsa_round_robin_scheduling 0
		.amdhsa_exception_fp_ieee_invalid_op 0
		.amdhsa_exception_fp_denorm_src 0
		.amdhsa_exception_fp_ieee_div_zero 0
		.amdhsa_exception_fp_ieee_overflow 0
		.amdhsa_exception_fp_ieee_underflow 0
		.amdhsa_exception_fp_ieee_inexact 0
		.amdhsa_exception_int_div_zero 0
	.end_amdhsa_kernel
	.section	.text._ZN7rocprim17ROCPRIM_400000_NS6detail17trampoline_kernelINS0_14default_configENS1_35radix_sort_onesweep_config_selectorIhNS0_10empty_typeEEEZNS1_34radix_sort_onesweep_global_offsetsIS3_Lb0EPKhPS5_mNS0_19identity_decomposerEEE10hipError_tT1_T2_PT3_SF_jT4_jjP12ihipStream_tbEUlT_E_NS1_11comp_targetILNS1_3genE2ELNS1_11target_archE906ELNS1_3gpuE6ELNS1_3repE0EEENS1_52radix_sort_onesweep_histogram_config_static_selectorELNS0_4arch9wavefront6targetE0EEEvSD_,"axG",@progbits,_ZN7rocprim17ROCPRIM_400000_NS6detail17trampoline_kernelINS0_14default_configENS1_35radix_sort_onesweep_config_selectorIhNS0_10empty_typeEEEZNS1_34radix_sort_onesweep_global_offsetsIS3_Lb0EPKhPS5_mNS0_19identity_decomposerEEE10hipError_tT1_T2_PT3_SF_jT4_jjP12ihipStream_tbEUlT_E_NS1_11comp_targetILNS1_3genE2ELNS1_11target_archE906ELNS1_3gpuE6ELNS1_3repE0EEENS1_52radix_sort_onesweep_histogram_config_static_selectorELNS0_4arch9wavefront6targetE0EEEvSD_,comdat
.Lfunc_end204:
	.size	_ZN7rocprim17ROCPRIM_400000_NS6detail17trampoline_kernelINS0_14default_configENS1_35radix_sort_onesweep_config_selectorIhNS0_10empty_typeEEEZNS1_34radix_sort_onesweep_global_offsetsIS3_Lb0EPKhPS5_mNS0_19identity_decomposerEEE10hipError_tT1_T2_PT3_SF_jT4_jjP12ihipStream_tbEUlT_E_NS1_11comp_targetILNS1_3genE2ELNS1_11target_archE906ELNS1_3gpuE6ELNS1_3repE0EEENS1_52radix_sort_onesweep_histogram_config_static_selectorELNS0_4arch9wavefront6targetE0EEEvSD_, .Lfunc_end204-_ZN7rocprim17ROCPRIM_400000_NS6detail17trampoline_kernelINS0_14default_configENS1_35radix_sort_onesweep_config_selectorIhNS0_10empty_typeEEEZNS1_34radix_sort_onesweep_global_offsetsIS3_Lb0EPKhPS5_mNS0_19identity_decomposerEEE10hipError_tT1_T2_PT3_SF_jT4_jjP12ihipStream_tbEUlT_E_NS1_11comp_targetILNS1_3genE2ELNS1_11target_archE906ELNS1_3gpuE6ELNS1_3repE0EEENS1_52radix_sort_onesweep_histogram_config_static_selectorELNS0_4arch9wavefront6targetE0EEEvSD_
                                        ; -- End function
	.set _ZN7rocprim17ROCPRIM_400000_NS6detail17trampoline_kernelINS0_14default_configENS1_35radix_sort_onesweep_config_selectorIhNS0_10empty_typeEEEZNS1_34radix_sort_onesweep_global_offsetsIS3_Lb0EPKhPS5_mNS0_19identity_decomposerEEE10hipError_tT1_T2_PT3_SF_jT4_jjP12ihipStream_tbEUlT_E_NS1_11comp_targetILNS1_3genE2ELNS1_11target_archE906ELNS1_3gpuE6ELNS1_3repE0EEENS1_52radix_sort_onesweep_histogram_config_static_selectorELNS0_4arch9wavefront6targetE0EEEvSD_.num_vgpr, 0
	.set _ZN7rocprim17ROCPRIM_400000_NS6detail17trampoline_kernelINS0_14default_configENS1_35radix_sort_onesweep_config_selectorIhNS0_10empty_typeEEEZNS1_34radix_sort_onesweep_global_offsetsIS3_Lb0EPKhPS5_mNS0_19identity_decomposerEEE10hipError_tT1_T2_PT3_SF_jT4_jjP12ihipStream_tbEUlT_E_NS1_11comp_targetILNS1_3genE2ELNS1_11target_archE906ELNS1_3gpuE6ELNS1_3repE0EEENS1_52radix_sort_onesweep_histogram_config_static_selectorELNS0_4arch9wavefront6targetE0EEEvSD_.num_agpr, 0
	.set _ZN7rocprim17ROCPRIM_400000_NS6detail17trampoline_kernelINS0_14default_configENS1_35radix_sort_onesweep_config_selectorIhNS0_10empty_typeEEEZNS1_34radix_sort_onesweep_global_offsetsIS3_Lb0EPKhPS5_mNS0_19identity_decomposerEEE10hipError_tT1_T2_PT3_SF_jT4_jjP12ihipStream_tbEUlT_E_NS1_11comp_targetILNS1_3genE2ELNS1_11target_archE906ELNS1_3gpuE6ELNS1_3repE0EEENS1_52radix_sort_onesweep_histogram_config_static_selectorELNS0_4arch9wavefront6targetE0EEEvSD_.numbered_sgpr, 0
	.set _ZN7rocprim17ROCPRIM_400000_NS6detail17trampoline_kernelINS0_14default_configENS1_35radix_sort_onesweep_config_selectorIhNS0_10empty_typeEEEZNS1_34radix_sort_onesweep_global_offsetsIS3_Lb0EPKhPS5_mNS0_19identity_decomposerEEE10hipError_tT1_T2_PT3_SF_jT4_jjP12ihipStream_tbEUlT_E_NS1_11comp_targetILNS1_3genE2ELNS1_11target_archE906ELNS1_3gpuE6ELNS1_3repE0EEENS1_52radix_sort_onesweep_histogram_config_static_selectorELNS0_4arch9wavefront6targetE0EEEvSD_.num_named_barrier, 0
	.set _ZN7rocprim17ROCPRIM_400000_NS6detail17trampoline_kernelINS0_14default_configENS1_35radix_sort_onesweep_config_selectorIhNS0_10empty_typeEEEZNS1_34radix_sort_onesweep_global_offsetsIS3_Lb0EPKhPS5_mNS0_19identity_decomposerEEE10hipError_tT1_T2_PT3_SF_jT4_jjP12ihipStream_tbEUlT_E_NS1_11comp_targetILNS1_3genE2ELNS1_11target_archE906ELNS1_3gpuE6ELNS1_3repE0EEENS1_52radix_sort_onesweep_histogram_config_static_selectorELNS0_4arch9wavefront6targetE0EEEvSD_.private_seg_size, 0
	.set _ZN7rocprim17ROCPRIM_400000_NS6detail17trampoline_kernelINS0_14default_configENS1_35radix_sort_onesweep_config_selectorIhNS0_10empty_typeEEEZNS1_34radix_sort_onesweep_global_offsetsIS3_Lb0EPKhPS5_mNS0_19identity_decomposerEEE10hipError_tT1_T2_PT3_SF_jT4_jjP12ihipStream_tbEUlT_E_NS1_11comp_targetILNS1_3genE2ELNS1_11target_archE906ELNS1_3gpuE6ELNS1_3repE0EEENS1_52radix_sort_onesweep_histogram_config_static_selectorELNS0_4arch9wavefront6targetE0EEEvSD_.uses_vcc, 0
	.set _ZN7rocprim17ROCPRIM_400000_NS6detail17trampoline_kernelINS0_14default_configENS1_35radix_sort_onesweep_config_selectorIhNS0_10empty_typeEEEZNS1_34radix_sort_onesweep_global_offsetsIS3_Lb0EPKhPS5_mNS0_19identity_decomposerEEE10hipError_tT1_T2_PT3_SF_jT4_jjP12ihipStream_tbEUlT_E_NS1_11comp_targetILNS1_3genE2ELNS1_11target_archE906ELNS1_3gpuE6ELNS1_3repE0EEENS1_52radix_sort_onesweep_histogram_config_static_selectorELNS0_4arch9wavefront6targetE0EEEvSD_.uses_flat_scratch, 0
	.set _ZN7rocprim17ROCPRIM_400000_NS6detail17trampoline_kernelINS0_14default_configENS1_35radix_sort_onesweep_config_selectorIhNS0_10empty_typeEEEZNS1_34radix_sort_onesweep_global_offsetsIS3_Lb0EPKhPS5_mNS0_19identity_decomposerEEE10hipError_tT1_T2_PT3_SF_jT4_jjP12ihipStream_tbEUlT_E_NS1_11comp_targetILNS1_3genE2ELNS1_11target_archE906ELNS1_3gpuE6ELNS1_3repE0EEENS1_52radix_sort_onesweep_histogram_config_static_selectorELNS0_4arch9wavefront6targetE0EEEvSD_.has_dyn_sized_stack, 0
	.set _ZN7rocprim17ROCPRIM_400000_NS6detail17trampoline_kernelINS0_14default_configENS1_35radix_sort_onesweep_config_selectorIhNS0_10empty_typeEEEZNS1_34radix_sort_onesweep_global_offsetsIS3_Lb0EPKhPS5_mNS0_19identity_decomposerEEE10hipError_tT1_T2_PT3_SF_jT4_jjP12ihipStream_tbEUlT_E_NS1_11comp_targetILNS1_3genE2ELNS1_11target_archE906ELNS1_3gpuE6ELNS1_3repE0EEENS1_52radix_sort_onesweep_histogram_config_static_selectorELNS0_4arch9wavefront6targetE0EEEvSD_.has_recursion, 0
	.set _ZN7rocprim17ROCPRIM_400000_NS6detail17trampoline_kernelINS0_14default_configENS1_35radix_sort_onesweep_config_selectorIhNS0_10empty_typeEEEZNS1_34radix_sort_onesweep_global_offsetsIS3_Lb0EPKhPS5_mNS0_19identity_decomposerEEE10hipError_tT1_T2_PT3_SF_jT4_jjP12ihipStream_tbEUlT_E_NS1_11comp_targetILNS1_3genE2ELNS1_11target_archE906ELNS1_3gpuE6ELNS1_3repE0EEENS1_52radix_sort_onesweep_histogram_config_static_selectorELNS0_4arch9wavefront6targetE0EEEvSD_.has_indirect_call, 0
	.section	.AMDGPU.csdata,"",@progbits
; Kernel info:
; codeLenInByte = 0
; TotalNumSgprs: 0
; NumVgprs: 0
; ScratchSize: 0
; MemoryBound: 0
; FloatMode: 240
; IeeeMode: 1
; LDSByteSize: 0 bytes/workgroup (compile time only)
; SGPRBlocks: 0
; VGPRBlocks: 0
; NumSGPRsForWavesPerEU: 1
; NumVGPRsForWavesPerEU: 1
; NamedBarCnt: 0
; Occupancy: 16
; WaveLimiterHint : 0
; COMPUTE_PGM_RSRC2:SCRATCH_EN: 0
; COMPUTE_PGM_RSRC2:USER_SGPR: 2
; COMPUTE_PGM_RSRC2:TRAP_HANDLER: 0
; COMPUTE_PGM_RSRC2:TGID_X_EN: 1
; COMPUTE_PGM_RSRC2:TGID_Y_EN: 0
; COMPUTE_PGM_RSRC2:TGID_Z_EN: 0
; COMPUTE_PGM_RSRC2:TIDIG_COMP_CNT: 0
	.section	.text._ZN7rocprim17ROCPRIM_400000_NS6detail17trampoline_kernelINS0_14default_configENS1_35radix_sort_onesweep_config_selectorIhNS0_10empty_typeEEEZNS1_34radix_sort_onesweep_global_offsetsIS3_Lb0EPKhPS5_mNS0_19identity_decomposerEEE10hipError_tT1_T2_PT3_SF_jT4_jjP12ihipStream_tbEUlT_E_NS1_11comp_targetILNS1_3genE4ELNS1_11target_archE910ELNS1_3gpuE8ELNS1_3repE0EEENS1_52radix_sort_onesweep_histogram_config_static_selectorELNS0_4arch9wavefront6targetE0EEEvSD_,"axG",@progbits,_ZN7rocprim17ROCPRIM_400000_NS6detail17trampoline_kernelINS0_14default_configENS1_35radix_sort_onesweep_config_selectorIhNS0_10empty_typeEEEZNS1_34radix_sort_onesweep_global_offsetsIS3_Lb0EPKhPS5_mNS0_19identity_decomposerEEE10hipError_tT1_T2_PT3_SF_jT4_jjP12ihipStream_tbEUlT_E_NS1_11comp_targetILNS1_3genE4ELNS1_11target_archE910ELNS1_3gpuE8ELNS1_3repE0EEENS1_52radix_sort_onesweep_histogram_config_static_selectorELNS0_4arch9wavefront6targetE0EEEvSD_,comdat
	.protected	_ZN7rocprim17ROCPRIM_400000_NS6detail17trampoline_kernelINS0_14default_configENS1_35radix_sort_onesweep_config_selectorIhNS0_10empty_typeEEEZNS1_34radix_sort_onesweep_global_offsetsIS3_Lb0EPKhPS5_mNS0_19identity_decomposerEEE10hipError_tT1_T2_PT3_SF_jT4_jjP12ihipStream_tbEUlT_E_NS1_11comp_targetILNS1_3genE4ELNS1_11target_archE910ELNS1_3gpuE8ELNS1_3repE0EEENS1_52radix_sort_onesweep_histogram_config_static_selectorELNS0_4arch9wavefront6targetE0EEEvSD_ ; -- Begin function _ZN7rocprim17ROCPRIM_400000_NS6detail17trampoline_kernelINS0_14default_configENS1_35radix_sort_onesweep_config_selectorIhNS0_10empty_typeEEEZNS1_34radix_sort_onesweep_global_offsetsIS3_Lb0EPKhPS5_mNS0_19identity_decomposerEEE10hipError_tT1_T2_PT3_SF_jT4_jjP12ihipStream_tbEUlT_E_NS1_11comp_targetILNS1_3genE4ELNS1_11target_archE910ELNS1_3gpuE8ELNS1_3repE0EEENS1_52radix_sort_onesweep_histogram_config_static_selectorELNS0_4arch9wavefront6targetE0EEEvSD_
	.globl	_ZN7rocprim17ROCPRIM_400000_NS6detail17trampoline_kernelINS0_14default_configENS1_35radix_sort_onesweep_config_selectorIhNS0_10empty_typeEEEZNS1_34radix_sort_onesweep_global_offsetsIS3_Lb0EPKhPS5_mNS0_19identity_decomposerEEE10hipError_tT1_T2_PT3_SF_jT4_jjP12ihipStream_tbEUlT_E_NS1_11comp_targetILNS1_3genE4ELNS1_11target_archE910ELNS1_3gpuE8ELNS1_3repE0EEENS1_52radix_sort_onesweep_histogram_config_static_selectorELNS0_4arch9wavefront6targetE0EEEvSD_
	.p2align	8
	.type	_ZN7rocprim17ROCPRIM_400000_NS6detail17trampoline_kernelINS0_14default_configENS1_35radix_sort_onesweep_config_selectorIhNS0_10empty_typeEEEZNS1_34radix_sort_onesweep_global_offsetsIS3_Lb0EPKhPS5_mNS0_19identity_decomposerEEE10hipError_tT1_T2_PT3_SF_jT4_jjP12ihipStream_tbEUlT_E_NS1_11comp_targetILNS1_3genE4ELNS1_11target_archE910ELNS1_3gpuE8ELNS1_3repE0EEENS1_52radix_sort_onesweep_histogram_config_static_selectorELNS0_4arch9wavefront6targetE0EEEvSD_,@function
_ZN7rocprim17ROCPRIM_400000_NS6detail17trampoline_kernelINS0_14default_configENS1_35radix_sort_onesweep_config_selectorIhNS0_10empty_typeEEEZNS1_34radix_sort_onesweep_global_offsetsIS3_Lb0EPKhPS5_mNS0_19identity_decomposerEEE10hipError_tT1_T2_PT3_SF_jT4_jjP12ihipStream_tbEUlT_E_NS1_11comp_targetILNS1_3genE4ELNS1_11target_archE910ELNS1_3gpuE8ELNS1_3repE0EEENS1_52radix_sort_onesweep_histogram_config_static_selectorELNS0_4arch9wavefront6targetE0EEEvSD_: ; @_ZN7rocprim17ROCPRIM_400000_NS6detail17trampoline_kernelINS0_14default_configENS1_35radix_sort_onesweep_config_selectorIhNS0_10empty_typeEEEZNS1_34radix_sort_onesweep_global_offsetsIS3_Lb0EPKhPS5_mNS0_19identity_decomposerEEE10hipError_tT1_T2_PT3_SF_jT4_jjP12ihipStream_tbEUlT_E_NS1_11comp_targetILNS1_3genE4ELNS1_11target_archE910ELNS1_3gpuE8ELNS1_3repE0EEENS1_52radix_sort_onesweep_histogram_config_static_selectorELNS0_4arch9wavefront6targetE0EEEvSD_
; %bb.0:
	.section	.rodata,"a",@progbits
	.p2align	6, 0x0
	.amdhsa_kernel _ZN7rocprim17ROCPRIM_400000_NS6detail17trampoline_kernelINS0_14default_configENS1_35radix_sort_onesweep_config_selectorIhNS0_10empty_typeEEEZNS1_34radix_sort_onesweep_global_offsetsIS3_Lb0EPKhPS5_mNS0_19identity_decomposerEEE10hipError_tT1_T2_PT3_SF_jT4_jjP12ihipStream_tbEUlT_E_NS1_11comp_targetILNS1_3genE4ELNS1_11target_archE910ELNS1_3gpuE8ELNS1_3repE0EEENS1_52radix_sort_onesweep_histogram_config_static_selectorELNS0_4arch9wavefront6targetE0EEEvSD_
		.amdhsa_group_segment_fixed_size 0
		.amdhsa_private_segment_fixed_size 0
		.amdhsa_kernarg_size 48
		.amdhsa_user_sgpr_count 2
		.amdhsa_user_sgpr_dispatch_ptr 0
		.amdhsa_user_sgpr_queue_ptr 0
		.amdhsa_user_sgpr_kernarg_segment_ptr 1
		.amdhsa_user_sgpr_dispatch_id 0
		.amdhsa_user_sgpr_kernarg_preload_length 0
		.amdhsa_user_sgpr_kernarg_preload_offset 0
		.amdhsa_user_sgpr_private_segment_size 0
		.amdhsa_wavefront_size32 1
		.amdhsa_uses_dynamic_stack 0
		.amdhsa_enable_private_segment 0
		.amdhsa_system_sgpr_workgroup_id_x 1
		.amdhsa_system_sgpr_workgroup_id_y 0
		.amdhsa_system_sgpr_workgroup_id_z 0
		.amdhsa_system_sgpr_workgroup_info 0
		.amdhsa_system_vgpr_workitem_id 0
		.amdhsa_next_free_vgpr 1
		.amdhsa_next_free_sgpr 1
		.amdhsa_named_barrier_count 0
		.amdhsa_reserve_vcc 0
		.amdhsa_float_round_mode_32 0
		.amdhsa_float_round_mode_16_64 0
		.amdhsa_float_denorm_mode_32 3
		.amdhsa_float_denorm_mode_16_64 3
		.amdhsa_fp16_overflow 0
		.amdhsa_memory_ordered 1
		.amdhsa_forward_progress 1
		.amdhsa_inst_pref_size 0
		.amdhsa_round_robin_scheduling 0
		.amdhsa_exception_fp_ieee_invalid_op 0
		.amdhsa_exception_fp_denorm_src 0
		.amdhsa_exception_fp_ieee_div_zero 0
		.amdhsa_exception_fp_ieee_overflow 0
		.amdhsa_exception_fp_ieee_underflow 0
		.amdhsa_exception_fp_ieee_inexact 0
		.amdhsa_exception_int_div_zero 0
	.end_amdhsa_kernel
	.section	.text._ZN7rocprim17ROCPRIM_400000_NS6detail17trampoline_kernelINS0_14default_configENS1_35radix_sort_onesweep_config_selectorIhNS0_10empty_typeEEEZNS1_34radix_sort_onesweep_global_offsetsIS3_Lb0EPKhPS5_mNS0_19identity_decomposerEEE10hipError_tT1_T2_PT3_SF_jT4_jjP12ihipStream_tbEUlT_E_NS1_11comp_targetILNS1_3genE4ELNS1_11target_archE910ELNS1_3gpuE8ELNS1_3repE0EEENS1_52radix_sort_onesweep_histogram_config_static_selectorELNS0_4arch9wavefront6targetE0EEEvSD_,"axG",@progbits,_ZN7rocprim17ROCPRIM_400000_NS6detail17trampoline_kernelINS0_14default_configENS1_35radix_sort_onesweep_config_selectorIhNS0_10empty_typeEEEZNS1_34radix_sort_onesweep_global_offsetsIS3_Lb0EPKhPS5_mNS0_19identity_decomposerEEE10hipError_tT1_T2_PT3_SF_jT4_jjP12ihipStream_tbEUlT_E_NS1_11comp_targetILNS1_3genE4ELNS1_11target_archE910ELNS1_3gpuE8ELNS1_3repE0EEENS1_52radix_sort_onesweep_histogram_config_static_selectorELNS0_4arch9wavefront6targetE0EEEvSD_,comdat
.Lfunc_end205:
	.size	_ZN7rocprim17ROCPRIM_400000_NS6detail17trampoline_kernelINS0_14default_configENS1_35radix_sort_onesweep_config_selectorIhNS0_10empty_typeEEEZNS1_34radix_sort_onesweep_global_offsetsIS3_Lb0EPKhPS5_mNS0_19identity_decomposerEEE10hipError_tT1_T2_PT3_SF_jT4_jjP12ihipStream_tbEUlT_E_NS1_11comp_targetILNS1_3genE4ELNS1_11target_archE910ELNS1_3gpuE8ELNS1_3repE0EEENS1_52radix_sort_onesweep_histogram_config_static_selectorELNS0_4arch9wavefront6targetE0EEEvSD_, .Lfunc_end205-_ZN7rocprim17ROCPRIM_400000_NS6detail17trampoline_kernelINS0_14default_configENS1_35radix_sort_onesweep_config_selectorIhNS0_10empty_typeEEEZNS1_34radix_sort_onesweep_global_offsetsIS3_Lb0EPKhPS5_mNS0_19identity_decomposerEEE10hipError_tT1_T2_PT3_SF_jT4_jjP12ihipStream_tbEUlT_E_NS1_11comp_targetILNS1_3genE4ELNS1_11target_archE910ELNS1_3gpuE8ELNS1_3repE0EEENS1_52radix_sort_onesweep_histogram_config_static_selectorELNS0_4arch9wavefront6targetE0EEEvSD_
                                        ; -- End function
	.set _ZN7rocprim17ROCPRIM_400000_NS6detail17trampoline_kernelINS0_14default_configENS1_35radix_sort_onesweep_config_selectorIhNS0_10empty_typeEEEZNS1_34radix_sort_onesweep_global_offsetsIS3_Lb0EPKhPS5_mNS0_19identity_decomposerEEE10hipError_tT1_T2_PT3_SF_jT4_jjP12ihipStream_tbEUlT_E_NS1_11comp_targetILNS1_3genE4ELNS1_11target_archE910ELNS1_3gpuE8ELNS1_3repE0EEENS1_52radix_sort_onesweep_histogram_config_static_selectorELNS0_4arch9wavefront6targetE0EEEvSD_.num_vgpr, 0
	.set _ZN7rocprim17ROCPRIM_400000_NS6detail17trampoline_kernelINS0_14default_configENS1_35radix_sort_onesweep_config_selectorIhNS0_10empty_typeEEEZNS1_34radix_sort_onesweep_global_offsetsIS3_Lb0EPKhPS5_mNS0_19identity_decomposerEEE10hipError_tT1_T2_PT3_SF_jT4_jjP12ihipStream_tbEUlT_E_NS1_11comp_targetILNS1_3genE4ELNS1_11target_archE910ELNS1_3gpuE8ELNS1_3repE0EEENS1_52radix_sort_onesweep_histogram_config_static_selectorELNS0_4arch9wavefront6targetE0EEEvSD_.num_agpr, 0
	.set _ZN7rocprim17ROCPRIM_400000_NS6detail17trampoline_kernelINS0_14default_configENS1_35radix_sort_onesweep_config_selectorIhNS0_10empty_typeEEEZNS1_34radix_sort_onesweep_global_offsetsIS3_Lb0EPKhPS5_mNS0_19identity_decomposerEEE10hipError_tT1_T2_PT3_SF_jT4_jjP12ihipStream_tbEUlT_E_NS1_11comp_targetILNS1_3genE4ELNS1_11target_archE910ELNS1_3gpuE8ELNS1_3repE0EEENS1_52radix_sort_onesweep_histogram_config_static_selectorELNS0_4arch9wavefront6targetE0EEEvSD_.numbered_sgpr, 0
	.set _ZN7rocprim17ROCPRIM_400000_NS6detail17trampoline_kernelINS0_14default_configENS1_35radix_sort_onesweep_config_selectorIhNS0_10empty_typeEEEZNS1_34radix_sort_onesweep_global_offsetsIS3_Lb0EPKhPS5_mNS0_19identity_decomposerEEE10hipError_tT1_T2_PT3_SF_jT4_jjP12ihipStream_tbEUlT_E_NS1_11comp_targetILNS1_3genE4ELNS1_11target_archE910ELNS1_3gpuE8ELNS1_3repE0EEENS1_52radix_sort_onesweep_histogram_config_static_selectorELNS0_4arch9wavefront6targetE0EEEvSD_.num_named_barrier, 0
	.set _ZN7rocprim17ROCPRIM_400000_NS6detail17trampoline_kernelINS0_14default_configENS1_35radix_sort_onesweep_config_selectorIhNS0_10empty_typeEEEZNS1_34radix_sort_onesweep_global_offsetsIS3_Lb0EPKhPS5_mNS0_19identity_decomposerEEE10hipError_tT1_T2_PT3_SF_jT4_jjP12ihipStream_tbEUlT_E_NS1_11comp_targetILNS1_3genE4ELNS1_11target_archE910ELNS1_3gpuE8ELNS1_3repE0EEENS1_52radix_sort_onesweep_histogram_config_static_selectorELNS0_4arch9wavefront6targetE0EEEvSD_.private_seg_size, 0
	.set _ZN7rocprim17ROCPRIM_400000_NS6detail17trampoline_kernelINS0_14default_configENS1_35radix_sort_onesweep_config_selectorIhNS0_10empty_typeEEEZNS1_34radix_sort_onesweep_global_offsetsIS3_Lb0EPKhPS5_mNS0_19identity_decomposerEEE10hipError_tT1_T2_PT3_SF_jT4_jjP12ihipStream_tbEUlT_E_NS1_11comp_targetILNS1_3genE4ELNS1_11target_archE910ELNS1_3gpuE8ELNS1_3repE0EEENS1_52radix_sort_onesweep_histogram_config_static_selectorELNS0_4arch9wavefront6targetE0EEEvSD_.uses_vcc, 0
	.set _ZN7rocprim17ROCPRIM_400000_NS6detail17trampoline_kernelINS0_14default_configENS1_35radix_sort_onesweep_config_selectorIhNS0_10empty_typeEEEZNS1_34radix_sort_onesweep_global_offsetsIS3_Lb0EPKhPS5_mNS0_19identity_decomposerEEE10hipError_tT1_T2_PT3_SF_jT4_jjP12ihipStream_tbEUlT_E_NS1_11comp_targetILNS1_3genE4ELNS1_11target_archE910ELNS1_3gpuE8ELNS1_3repE0EEENS1_52radix_sort_onesweep_histogram_config_static_selectorELNS0_4arch9wavefront6targetE0EEEvSD_.uses_flat_scratch, 0
	.set _ZN7rocprim17ROCPRIM_400000_NS6detail17trampoline_kernelINS0_14default_configENS1_35radix_sort_onesweep_config_selectorIhNS0_10empty_typeEEEZNS1_34radix_sort_onesweep_global_offsetsIS3_Lb0EPKhPS5_mNS0_19identity_decomposerEEE10hipError_tT1_T2_PT3_SF_jT4_jjP12ihipStream_tbEUlT_E_NS1_11comp_targetILNS1_3genE4ELNS1_11target_archE910ELNS1_3gpuE8ELNS1_3repE0EEENS1_52radix_sort_onesweep_histogram_config_static_selectorELNS0_4arch9wavefront6targetE0EEEvSD_.has_dyn_sized_stack, 0
	.set _ZN7rocprim17ROCPRIM_400000_NS6detail17trampoline_kernelINS0_14default_configENS1_35radix_sort_onesweep_config_selectorIhNS0_10empty_typeEEEZNS1_34radix_sort_onesweep_global_offsetsIS3_Lb0EPKhPS5_mNS0_19identity_decomposerEEE10hipError_tT1_T2_PT3_SF_jT4_jjP12ihipStream_tbEUlT_E_NS1_11comp_targetILNS1_3genE4ELNS1_11target_archE910ELNS1_3gpuE8ELNS1_3repE0EEENS1_52radix_sort_onesweep_histogram_config_static_selectorELNS0_4arch9wavefront6targetE0EEEvSD_.has_recursion, 0
	.set _ZN7rocprim17ROCPRIM_400000_NS6detail17trampoline_kernelINS0_14default_configENS1_35radix_sort_onesweep_config_selectorIhNS0_10empty_typeEEEZNS1_34radix_sort_onesweep_global_offsetsIS3_Lb0EPKhPS5_mNS0_19identity_decomposerEEE10hipError_tT1_T2_PT3_SF_jT4_jjP12ihipStream_tbEUlT_E_NS1_11comp_targetILNS1_3genE4ELNS1_11target_archE910ELNS1_3gpuE8ELNS1_3repE0EEENS1_52radix_sort_onesweep_histogram_config_static_selectorELNS0_4arch9wavefront6targetE0EEEvSD_.has_indirect_call, 0
	.section	.AMDGPU.csdata,"",@progbits
; Kernel info:
; codeLenInByte = 0
; TotalNumSgprs: 0
; NumVgprs: 0
; ScratchSize: 0
; MemoryBound: 0
; FloatMode: 240
; IeeeMode: 1
; LDSByteSize: 0 bytes/workgroup (compile time only)
; SGPRBlocks: 0
; VGPRBlocks: 0
; NumSGPRsForWavesPerEU: 1
; NumVGPRsForWavesPerEU: 1
; NamedBarCnt: 0
; Occupancy: 16
; WaveLimiterHint : 0
; COMPUTE_PGM_RSRC2:SCRATCH_EN: 0
; COMPUTE_PGM_RSRC2:USER_SGPR: 2
; COMPUTE_PGM_RSRC2:TRAP_HANDLER: 0
; COMPUTE_PGM_RSRC2:TGID_X_EN: 1
; COMPUTE_PGM_RSRC2:TGID_Y_EN: 0
; COMPUTE_PGM_RSRC2:TGID_Z_EN: 0
; COMPUTE_PGM_RSRC2:TIDIG_COMP_CNT: 0
	.section	.text._ZN7rocprim17ROCPRIM_400000_NS6detail17trampoline_kernelINS0_14default_configENS1_35radix_sort_onesweep_config_selectorIhNS0_10empty_typeEEEZNS1_34radix_sort_onesweep_global_offsetsIS3_Lb0EPKhPS5_mNS0_19identity_decomposerEEE10hipError_tT1_T2_PT3_SF_jT4_jjP12ihipStream_tbEUlT_E_NS1_11comp_targetILNS1_3genE3ELNS1_11target_archE908ELNS1_3gpuE7ELNS1_3repE0EEENS1_52radix_sort_onesweep_histogram_config_static_selectorELNS0_4arch9wavefront6targetE0EEEvSD_,"axG",@progbits,_ZN7rocprim17ROCPRIM_400000_NS6detail17trampoline_kernelINS0_14default_configENS1_35radix_sort_onesweep_config_selectorIhNS0_10empty_typeEEEZNS1_34radix_sort_onesweep_global_offsetsIS3_Lb0EPKhPS5_mNS0_19identity_decomposerEEE10hipError_tT1_T2_PT3_SF_jT4_jjP12ihipStream_tbEUlT_E_NS1_11comp_targetILNS1_3genE3ELNS1_11target_archE908ELNS1_3gpuE7ELNS1_3repE0EEENS1_52radix_sort_onesweep_histogram_config_static_selectorELNS0_4arch9wavefront6targetE0EEEvSD_,comdat
	.protected	_ZN7rocprim17ROCPRIM_400000_NS6detail17trampoline_kernelINS0_14default_configENS1_35radix_sort_onesweep_config_selectorIhNS0_10empty_typeEEEZNS1_34radix_sort_onesweep_global_offsetsIS3_Lb0EPKhPS5_mNS0_19identity_decomposerEEE10hipError_tT1_T2_PT3_SF_jT4_jjP12ihipStream_tbEUlT_E_NS1_11comp_targetILNS1_3genE3ELNS1_11target_archE908ELNS1_3gpuE7ELNS1_3repE0EEENS1_52radix_sort_onesweep_histogram_config_static_selectorELNS0_4arch9wavefront6targetE0EEEvSD_ ; -- Begin function _ZN7rocprim17ROCPRIM_400000_NS6detail17trampoline_kernelINS0_14default_configENS1_35radix_sort_onesweep_config_selectorIhNS0_10empty_typeEEEZNS1_34radix_sort_onesweep_global_offsetsIS3_Lb0EPKhPS5_mNS0_19identity_decomposerEEE10hipError_tT1_T2_PT3_SF_jT4_jjP12ihipStream_tbEUlT_E_NS1_11comp_targetILNS1_3genE3ELNS1_11target_archE908ELNS1_3gpuE7ELNS1_3repE0EEENS1_52radix_sort_onesweep_histogram_config_static_selectorELNS0_4arch9wavefront6targetE0EEEvSD_
	.globl	_ZN7rocprim17ROCPRIM_400000_NS6detail17trampoline_kernelINS0_14default_configENS1_35radix_sort_onesweep_config_selectorIhNS0_10empty_typeEEEZNS1_34radix_sort_onesweep_global_offsetsIS3_Lb0EPKhPS5_mNS0_19identity_decomposerEEE10hipError_tT1_T2_PT3_SF_jT4_jjP12ihipStream_tbEUlT_E_NS1_11comp_targetILNS1_3genE3ELNS1_11target_archE908ELNS1_3gpuE7ELNS1_3repE0EEENS1_52radix_sort_onesweep_histogram_config_static_selectorELNS0_4arch9wavefront6targetE0EEEvSD_
	.p2align	8
	.type	_ZN7rocprim17ROCPRIM_400000_NS6detail17trampoline_kernelINS0_14default_configENS1_35radix_sort_onesweep_config_selectorIhNS0_10empty_typeEEEZNS1_34radix_sort_onesweep_global_offsetsIS3_Lb0EPKhPS5_mNS0_19identity_decomposerEEE10hipError_tT1_T2_PT3_SF_jT4_jjP12ihipStream_tbEUlT_E_NS1_11comp_targetILNS1_3genE3ELNS1_11target_archE908ELNS1_3gpuE7ELNS1_3repE0EEENS1_52radix_sort_onesweep_histogram_config_static_selectorELNS0_4arch9wavefront6targetE0EEEvSD_,@function
_ZN7rocprim17ROCPRIM_400000_NS6detail17trampoline_kernelINS0_14default_configENS1_35radix_sort_onesweep_config_selectorIhNS0_10empty_typeEEEZNS1_34radix_sort_onesweep_global_offsetsIS3_Lb0EPKhPS5_mNS0_19identity_decomposerEEE10hipError_tT1_T2_PT3_SF_jT4_jjP12ihipStream_tbEUlT_E_NS1_11comp_targetILNS1_3genE3ELNS1_11target_archE908ELNS1_3gpuE7ELNS1_3repE0EEENS1_52radix_sort_onesweep_histogram_config_static_selectorELNS0_4arch9wavefront6targetE0EEEvSD_: ; @_ZN7rocprim17ROCPRIM_400000_NS6detail17trampoline_kernelINS0_14default_configENS1_35radix_sort_onesweep_config_selectorIhNS0_10empty_typeEEEZNS1_34radix_sort_onesweep_global_offsetsIS3_Lb0EPKhPS5_mNS0_19identity_decomposerEEE10hipError_tT1_T2_PT3_SF_jT4_jjP12ihipStream_tbEUlT_E_NS1_11comp_targetILNS1_3genE3ELNS1_11target_archE908ELNS1_3gpuE7ELNS1_3repE0EEENS1_52radix_sort_onesweep_histogram_config_static_selectorELNS0_4arch9wavefront6targetE0EEEvSD_
; %bb.0:
	.section	.rodata,"a",@progbits
	.p2align	6, 0x0
	.amdhsa_kernel _ZN7rocprim17ROCPRIM_400000_NS6detail17trampoline_kernelINS0_14default_configENS1_35radix_sort_onesweep_config_selectorIhNS0_10empty_typeEEEZNS1_34radix_sort_onesweep_global_offsetsIS3_Lb0EPKhPS5_mNS0_19identity_decomposerEEE10hipError_tT1_T2_PT3_SF_jT4_jjP12ihipStream_tbEUlT_E_NS1_11comp_targetILNS1_3genE3ELNS1_11target_archE908ELNS1_3gpuE7ELNS1_3repE0EEENS1_52radix_sort_onesweep_histogram_config_static_selectorELNS0_4arch9wavefront6targetE0EEEvSD_
		.amdhsa_group_segment_fixed_size 0
		.amdhsa_private_segment_fixed_size 0
		.amdhsa_kernarg_size 48
		.amdhsa_user_sgpr_count 2
		.amdhsa_user_sgpr_dispatch_ptr 0
		.amdhsa_user_sgpr_queue_ptr 0
		.amdhsa_user_sgpr_kernarg_segment_ptr 1
		.amdhsa_user_sgpr_dispatch_id 0
		.amdhsa_user_sgpr_kernarg_preload_length 0
		.amdhsa_user_sgpr_kernarg_preload_offset 0
		.amdhsa_user_sgpr_private_segment_size 0
		.amdhsa_wavefront_size32 1
		.amdhsa_uses_dynamic_stack 0
		.amdhsa_enable_private_segment 0
		.amdhsa_system_sgpr_workgroup_id_x 1
		.amdhsa_system_sgpr_workgroup_id_y 0
		.amdhsa_system_sgpr_workgroup_id_z 0
		.amdhsa_system_sgpr_workgroup_info 0
		.amdhsa_system_vgpr_workitem_id 0
		.amdhsa_next_free_vgpr 1
		.amdhsa_next_free_sgpr 1
		.amdhsa_named_barrier_count 0
		.amdhsa_reserve_vcc 0
		.amdhsa_float_round_mode_32 0
		.amdhsa_float_round_mode_16_64 0
		.amdhsa_float_denorm_mode_32 3
		.amdhsa_float_denorm_mode_16_64 3
		.amdhsa_fp16_overflow 0
		.amdhsa_memory_ordered 1
		.amdhsa_forward_progress 1
		.amdhsa_inst_pref_size 0
		.amdhsa_round_robin_scheduling 0
		.amdhsa_exception_fp_ieee_invalid_op 0
		.amdhsa_exception_fp_denorm_src 0
		.amdhsa_exception_fp_ieee_div_zero 0
		.amdhsa_exception_fp_ieee_overflow 0
		.amdhsa_exception_fp_ieee_underflow 0
		.amdhsa_exception_fp_ieee_inexact 0
		.amdhsa_exception_int_div_zero 0
	.end_amdhsa_kernel
	.section	.text._ZN7rocprim17ROCPRIM_400000_NS6detail17trampoline_kernelINS0_14default_configENS1_35radix_sort_onesweep_config_selectorIhNS0_10empty_typeEEEZNS1_34radix_sort_onesweep_global_offsetsIS3_Lb0EPKhPS5_mNS0_19identity_decomposerEEE10hipError_tT1_T2_PT3_SF_jT4_jjP12ihipStream_tbEUlT_E_NS1_11comp_targetILNS1_3genE3ELNS1_11target_archE908ELNS1_3gpuE7ELNS1_3repE0EEENS1_52radix_sort_onesweep_histogram_config_static_selectorELNS0_4arch9wavefront6targetE0EEEvSD_,"axG",@progbits,_ZN7rocprim17ROCPRIM_400000_NS6detail17trampoline_kernelINS0_14default_configENS1_35radix_sort_onesweep_config_selectorIhNS0_10empty_typeEEEZNS1_34radix_sort_onesweep_global_offsetsIS3_Lb0EPKhPS5_mNS0_19identity_decomposerEEE10hipError_tT1_T2_PT3_SF_jT4_jjP12ihipStream_tbEUlT_E_NS1_11comp_targetILNS1_3genE3ELNS1_11target_archE908ELNS1_3gpuE7ELNS1_3repE0EEENS1_52radix_sort_onesweep_histogram_config_static_selectorELNS0_4arch9wavefront6targetE0EEEvSD_,comdat
.Lfunc_end206:
	.size	_ZN7rocprim17ROCPRIM_400000_NS6detail17trampoline_kernelINS0_14default_configENS1_35radix_sort_onesweep_config_selectorIhNS0_10empty_typeEEEZNS1_34radix_sort_onesweep_global_offsetsIS3_Lb0EPKhPS5_mNS0_19identity_decomposerEEE10hipError_tT1_T2_PT3_SF_jT4_jjP12ihipStream_tbEUlT_E_NS1_11comp_targetILNS1_3genE3ELNS1_11target_archE908ELNS1_3gpuE7ELNS1_3repE0EEENS1_52radix_sort_onesweep_histogram_config_static_selectorELNS0_4arch9wavefront6targetE0EEEvSD_, .Lfunc_end206-_ZN7rocprim17ROCPRIM_400000_NS6detail17trampoline_kernelINS0_14default_configENS1_35radix_sort_onesweep_config_selectorIhNS0_10empty_typeEEEZNS1_34radix_sort_onesweep_global_offsetsIS3_Lb0EPKhPS5_mNS0_19identity_decomposerEEE10hipError_tT1_T2_PT3_SF_jT4_jjP12ihipStream_tbEUlT_E_NS1_11comp_targetILNS1_3genE3ELNS1_11target_archE908ELNS1_3gpuE7ELNS1_3repE0EEENS1_52radix_sort_onesweep_histogram_config_static_selectorELNS0_4arch9wavefront6targetE0EEEvSD_
                                        ; -- End function
	.set _ZN7rocprim17ROCPRIM_400000_NS6detail17trampoline_kernelINS0_14default_configENS1_35radix_sort_onesweep_config_selectorIhNS0_10empty_typeEEEZNS1_34radix_sort_onesweep_global_offsetsIS3_Lb0EPKhPS5_mNS0_19identity_decomposerEEE10hipError_tT1_T2_PT3_SF_jT4_jjP12ihipStream_tbEUlT_E_NS1_11comp_targetILNS1_3genE3ELNS1_11target_archE908ELNS1_3gpuE7ELNS1_3repE0EEENS1_52radix_sort_onesweep_histogram_config_static_selectorELNS0_4arch9wavefront6targetE0EEEvSD_.num_vgpr, 0
	.set _ZN7rocprim17ROCPRIM_400000_NS6detail17trampoline_kernelINS0_14default_configENS1_35radix_sort_onesweep_config_selectorIhNS0_10empty_typeEEEZNS1_34radix_sort_onesweep_global_offsetsIS3_Lb0EPKhPS5_mNS0_19identity_decomposerEEE10hipError_tT1_T2_PT3_SF_jT4_jjP12ihipStream_tbEUlT_E_NS1_11comp_targetILNS1_3genE3ELNS1_11target_archE908ELNS1_3gpuE7ELNS1_3repE0EEENS1_52radix_sort_onesweep_histogram_config_static_selectorELNS0_4arch9wavefront6targetE0EEEvSD_.num_agpr, 0
	.set _ZN7rocprim17ROCPRIM_400000_NS6detail17trampoline_kernelINS0_14default_configENS1_35radix_sort_onesweep_config_selectorIhNS0_10empty_typeEEEZNS1_34radix_sort_onesweep_global_offsetsIS3_Lb0EPKhPS5_mNS0_19identity_decomposerEEE10hipError_tT1_T2_PT3_SF_jT4_jjP12ihipStream_tbEUlT_E_NS1_11comp_targetILNS1_3genE3ELNS1_11target_archE908ELNS1_3gpuE7ELNS1_3repE0EEENS1_52radix_sort_onesweep_histogram_config_static_selectorELNS0_4arch9wavefront6targetE0EEEvSD_.numbered_sgpr, 0
	.set _ZN7rocprim17ROCPRIM_400000_NS6detail17trampoline_kernelINS0_14default_configENS1_35radix_sort_onesweep_config_selectorIhNS0_10empty_typeEEEZNS1_34radix_sort_onesweep_global_offsetsIS3_Lb0EPKhPS5_mNS0_19identity_decomposerEEE10hipError_tT1_T2_PT3_SF_jT4_jjP12ihipStream_tbEUlT_E_NS1_11comp_targetILNS1_3genE3ELNS1_11target_archE908ELNS1_3gpuE7ELNS1_3repE0EEENS1_52radix_sort_onesweep_histogram_config_static_selectorELNS0_4arch9wavefront6targetE0EEEvSD_.num_named_barrier, 0
	.set _ZN7rocprim17ROCPRIM_400000_NS6detail17trampoline_kernelINS0_14default_configENS1_35radix_sort_onesweep_config_selectorIhNS0_10empty_typeEEEZNS1_34radix_sort_onesweep_global_offsetsIS3_Lb0EPKhPS5_mNS0_19identity_decomposerEEE10hipError_tT1_T2_PT3_SF_jT4_jjP12ihipStream_tbEUlT_E_NS1_11comp_targetILNS1_3genE3ELNS1_11target_archE908ELNS1_3gpuE7ELNS1_3repE0EEENS1_52radix_sort_onesweep_histogram_config_static_selectorELNS0_4arch9wavefront6targetE0EEEvSD_.private_seg_size, 0
	.set _ZN7rocprim17ROCPRIM_400000_NS6detail17trampoline_kernelINS0_14default_configENS1_35radix_sort_onesweep_config_selectorIhNS0_10empty_typeEEEZNS1_34radix_sort_onesweep_global_offsetsIS3_Lb0EPKhPS5_mNS0_19identity_decomposerEEE10hipError_tT1_T2_PT3_SF_jT4_jjP12ihipStream_tbEUlT_E_NS1_11comp_targetILNS1_3genE3ELNS1_11target_archE908ELNS1_3gpuE7ELNS1_3repE0EEENS1_52radix_sort_onesweep_histogram_config_static_selectorELNS0_4arch9wavefront6targetE0EEEvSD_.uses_vcc, 0
	.set _ZN7rocprim17ROCPRIM_400000_NS6detail17trampoline_kernelINS0_14default_configENS1_35radix_sort_onesweep_config_selectorIhNS0_10empty_typeEEEZNS1_34radix_sort_onesweep_global_offsetsIS3_Lb0EPKhPS5_mNS0_19identity_decomposerEEE10hipError_tT1_T2_PT3_SF_jT4_jjP12ihipStream_tbEUlT_E_NS1_11comp_targetILNS1_3genE3ELNS1_11target_archE908ELNS1_3gpuE7ELNS1_3repE0EEENS1_52radix_sort_onesweep_histogram_config_static_selectorELNS0_4arch9wavefront6targetE0EEEvSD_.uses_flat_scratch, 0
	.set _ZN7rocprim17ROCPRIM_400000_NS6detail17trampoline_kernelINS0_14default_configENS1_35radix_sort_onesweep_config_selectorIhNS0_10empty_typeEEEZNS1_34radix_sort_onesweep_global_offsetsIS3_Lb0EPKhPS5_mNS0_19identity_decomposerEEE10hipError_tT1_T2_PT3_SF_jT4_jjP12ihipStream_tbEUlT_E_NS1_11comp_targetILNS1_3genE3ELNS1_11target_archE908ELNS1_3gpuE7ELNS1_3repE0EEENS1_52radix_sort_onesweep_histogram_config_static_selectorELNS0_4arch9wavefront6targetE0EEEvSD_.has_dyn_sized_stack, 0
	.set _ZN7rocprim17ROCPRIM_400000_NS6detail17trampoline_kernelINS0_14default_configENS1_35radix_sort_onesweep_config_selectorIhNS0_10empty_typeEEEZNS1_34radix_sort_onesweep_global_offsetsIS3_Lb0EPKhPS5_mNS0_19identity_decomposerEEE10hipError_tT1_T2_PT3_SF_jT4_jjP12ihipStream_tbEUlT_E_NS1_11comp_targetILNS1_3genE3ELNS1_11target_archE908ELNS1_3gpuE7ELNS1_3repE0EEENS1_52radix_sort_onesweep_histogram_config_static_selectorELNS0_4arch9wavefront6targetE0EEEvSD_.has_recursion, 0
	.set _ZN7rocprim17ROCPRIM_400000_NS6detail17trampoline_kernelINS0_14default_configENS1_35radix_sort_onesweep_config_selectorIhNS0_10empty_typeEEEZNS1_34radix_sort_onesweep_global_offsetsIS3_Lb0EPKhPS5_mNS0_19identity_decomposerEEE10hipError_tT1_T2_PT3_SF_jT4_jjP12ihipStream_tbEUlT_E_NS1_11comp_targetILNS1_3genE3ELNS1_11target_archE908ELNS1_3gpuE7ELNS1_3repE0EEENS1_52radix_sort_onesweep_histogram_config_static_selectorELNS0_4arch9wavefront6targetE0EEEvSD_.has_indirect_call, 0
	.section	.AMDGPU.csdata,"",@progbits
; Kernel info:
; codeLenInByte = 0
; TotalNumSgprs: 0
; NumVgprs: 0
; ScratchSize: 0
; MemoryBound: 0
; FloatMode: 240
; IeeeMode: 1
; LDSByteSize: 0 bytes/workgroup (compile time only)
; SGPRBlocks: 0
; VGPRBlocks: 0
; NumSGPRsForWavesPerEU: 1
; NumVGPRsForWavesPerEU: 1
; NamedBarCnt: 0
; Occupancy: 16
; WaveLimiterHint : 0
; COMPUTE_PGM_RSRC2:SCRATCH_EN: 0
; COMPUTE_PGM_RSRC2:USER_SGPR: 2
; COMPUTE_PGM_RSRC2:TRAP_HANDLER: 0
; COMPUTE_PGM_RSRC2:TGID_X_EN: 1
; COMPUTE_PGM_RSRC2:TGID_Y_EN: 0
; COMPUTE_PGM_RSRC2:TGID_Z_EN: 0
; COMPUTE_PGM_RSRC2:TIDIG_COMP_CNT: 0
	.section	.text._ZN7rocprim17ROCPRIM_400000_NS6detail17trampoline_kernelINS0_14default_configENS1_35radix_sort_onesweep_config_selectorIhNS0_10empty_typeEEEZNS1_34radix_sort_onesweep_global_offsetsIS3_Lb0EPKhPS5_mNS0_19identity_decomposerEEE10hipError_tT1_T2_PT3_SF_jT4_jjP12ihipStream_tbEUlT_E_NS1_11comp_targetILNS1_3genE10ELNS1_11target_archE1201ELNS1_3gpuE5ELNS1_3repE0EEENS1_52radix_sort_onesweep_histogram_config_static_selectorELNS0_4arch9wavefront6targetE0EEEvSD_,"axG",@progbits,_ZN7rocprim17ROCPRIM_400000_NS6detail17trampoline_kernelINS0_14default_configENS1_35radix_sort_onesweep_config_selectorIhNS0_10empty_typeEEEZNS1_34radix_sort_onesweep_global_offsetsIS3_Lb0EPKhPS5_mNS0_19identity_decomposerEEE10hipError_tT1_T2_PT3_SF_jT4_jjP12ihipStream_tbEUlT_E_NS1_11comp_targetILNS1_3genE10ELNS1_11target_archE1201ELNS1_3gpuE5ELNS1_3repE0EEENS1_52radix_sort_onesweep_histogram_config_static_selectorELNS0_4arch9wavefront6targetE0EEEvSD_,comdat
	.protected	_ZN7rocprim17ROCPRIM_400000_NS6detail17trampoline_kernelINS0_14default_configENS1_35radix_sort_onesweep_config_selectorIhNS0_10empty_typeEEEZNS1_34radix_sort_onesweep_global_offsetsIS3_Lb0EPKhPS5_mNS0_19identity_decomposerEEE10hipError_tT1_T2_PT3_SF_jT4_jjP12ihipStream_tbEUlT_E_NS1_11comp_targetILNS1_3genE10ELNS1_11target_archE1201ELNS1_3gpuE5ELNS1_3repE0EEENS1_52radix_sort_onesweep_histogram_config_static_selectorELNS0_4arch9wavefront6targetE0EEEvSD_ ; -- Begin function _ZN7rocprim17ROCPRIM_400000_NS6detail17trampoline_kernelINS0_14default_configENS1_35radix_sort_onesweep_config_selectorIhNS0_10empty_typeEEEZNS1_34radix_sort_onesweep_global_offsetsIS3_Lb0EPKhPS5_mNS0_19identity_decomposerEEE10hipError_tT1_T2_PT3_SF_jT4_jjP12ihipStream_tbEUlT_E_NS1_11comp_targetILNS1_3genE10ELNS1_11target_archE1201ELNS1_3gpuE5ELNS1_3repE0EEENS1_52radix_sort_onesweep_histogram_config_static_selectorELNS0_4arch9wavefront6targetE0EEEvSD_
	.globl	_ZN7rocprim17ROCPRIM_400000_NS6detail17trampoline_kernelINS0_14default_configENS1_35radix_sort_onesweep_config_selectorIhNS0_10empty_typeEEEZNS1_34radix_sort_onesweep_global_offsetsIS3_Lb0EPKhPS5_mNS0_19identity_decomposerEEE10hipError_tT1_T2_PT3_SF_jT4_jjP12ihipStream_tbEUlT_E_NS1_11comp_targetILNS1_3genE10ELNS1_11target_archE1201ELNS1_3gpuE5ELNS1_3repE0EEENS1_52radix_sort_onesweep_histogram_config_static_selectorELNS0_4arch9wavefront6targetE0EEEvSD_
	.p2align	8
	.type	_ZN7rocprim17ROCPRIM_400000_NS6detail17trampoline_kernelINS0_14default_configENS1_35radix_sort_onesweep_config_selectorIhNS0_10empty_typeEEEZNS1_34radix_sort_onesweep_global_offsetsIS3_Lb0EPKhPS5_mNS0_19identity_decomposerEEE10hipError_tT1_T2_PT3_SF_jT4_jjP12ihipStream_tbEUlT_E_NS1_11comp_targetILNS1_3genE10ELNS1_11target_archE1201ELNS1_3gpuE5ELNS1_3repE0EEENS1_52radix_sort_onesweep_histogram_config_static_selectorELNS0_4arch9wavefront6targetE0EEEvSD_,@function
_ZN7rocprim17ROCPRIM_400000_NS6detail17trampoline_kernelINS0_14default_configENS1_35radix_sort_onesweep_config_selectorIhNS0_10empty_typeEEEZNS1_34radix_sort_onesweep_global_offsetsIS3_Lb0EPKhPS5_mNS0_19identity_decomposerEEE10hipError_tT1_T2_PT3_SF_jT4_jjP12ihipStream_tbEUlT_E_NS1_11comp_targetILNS1_3genE10ELNS1_11target_archE1201ELNS1_3gpuE5ELNS1_3repE0EEENS1_52radix_sort_onesweep_histogram_config_static_selectorELNS0_4arch9wavefront6targetE0EEEvSD_: ; @_ZN7rocprim17ROCPRIM_400000_NS6detail17trampoline_kernelINS0_14default_configENS1_35radix_sort_onesweep_config_selectorIhNS0_10empty_typeEEEZNS1_34radix_sort_onesweep_global_offsetsIS3_Lb0EPKhPS5_mNS0_19identity_decomposerEEE10hipError_tT1_T2_PT3_SF_jT4_jjP12ihipStream_tbEUlT_E_NS1_11comp_targetILNS1_3genE10ELNS1_11target_archE1201ELNS1_3gpuE5ELNS1_3repE0EEENS1_52radix_sort_onesweep_histogram_config_static_selectorELNS0_4arch9wavefront6targetE0EEEvSD_
; %bb.0:
	.section	.rodata,"a",@progbits
	.p2align	6, 0x0
	.amdhsa_kernel _ZN7rocprim17ROCPRIM_400000_NS6detail17trampoline_kernelINS0_14default_configENS1_35radix_sort_onesweep_config_selectorIhNS0_10empty_typeEEEZNS1_34radix_sort_onesweep_global_offsetsIS3_Lb0EPKhPS5_mNS0_19identity_decomposerEEE10hipError_tT1_T2_PT3_SF_jT4_jjP12ihipStream_tbEUlT_E_NS1_11comp_targetILNS1_3genE10ELNS1_11target_archE1201ELNS1_3gpuE5ELNS1_3repE0EEENS1_52radix_sort_onesweep_histogram_config_static_selectorELNS0_4arch9wavefront6targetE0EEEvSD_
		.amdhsa_group_segment_fixed_size 0
		.amdhsa_private_segment_fixed_size 0
		.amdhsa_kernarg_size 48
		.amdhsa_user_sgpr_count 2
		.amdhsa_user_sgpr_dispatch_ptr 0
		.amdhsa_user_sgpr_queue_ptr 0
		.amdhsa_user_sgpr_kernarg_segment_ptr 1
		.amdhsa_user_sgpr_dispatch_id 0
		.amdhsa_user_sgpr_kernarg_preload_length 0
		.amdhsa_user_sgpr_kernarg_preload_offset 0
		.amdhsa_user_sgpr_private_segment_size 0
		.amdhsa_wavefront_size32 1
		.amdhsa_uses_dynamic_stack 0
		.amdhsa_enable_private_segment 0
		.amdhsa_system_sgpr_workgroup_id_x 1
		.amdhsa_system_sgpr_workgroup_id_y 0
		.amdhsa_system_sgpr_workgroup_id_z 0
		.amdhsa_system_sgpr_workgroup_info 0
		.amdhsa_system_vgpr_workitem_id 0
		.amdhsa_next_free_vgpr 1
		.amdhsa_next_free_sgpr 1
		.amdhsa_named_barrier_count 0
		.amdhsa_reserve_vcc 0
		.amdhsa_float_round_mode_32 0
		.amdhsa_float_round_mode_16_64 0
		.amdhsa_float_denorm_mode_32 3
		.amdhsa_float_denorm_mode_16_64 3
		.amdhsa_fp16_overflow 0
		.amdhsa_memory_ordered 1
		.amdhsa_forward_progress 1
		.amdhsa_inst_pref_size 0
		.amdhsa_round_robin_scheduling 0
		.amdhsa_exception_fp_ieee_invalid_op 0
		.amdhsa_exception_fp_denorm_src 0
		.amdhsa_exception_fp_ieee_div_zero 0
		.amdhsa_exception_fp_ieee_overflow 0
		.amdhsa_exception_fp_ieee_underflow 0
		.amdhsa_exception_fp_ieee_inexact 0
		.amdhsa_exception_int_div_zero 0
	.end_amdhsa_kernel
	.section	.text._ZN7rocprim17ROCPRIM_400000_NS6detail17trampoline_kernelINS0_14default_configENS1_35radix_sort_onesweep_config_selectorIhNS0_10empty_typeEEEZNS1_34radix_sort_onesweep_global_offsetsIS3_Lb0EPKhPS5_mNS0_19identity_decomposerEEE10hipError_tT1_T2_PT3_SF_jT4_jjP12ihipStream_tbEUlT_E_NS1_11comp_targetILNS1_3genE10ELNS1_11target_archE1201ELNS1_3gpuE5ELNS1_3repE0EEENS1_52radix_sort_onesweep_histogram_config_static_selectorELNS0_4arch9wavefront6targetE0EEEvSD_,"axG",@progbits,_ZN7rocprim17ROCPRIM_400000_NS6detail17trampoline_kernelINS0_14default_configENS1_35radix_sort_onesweep_config_selectorIhNS0_10empty_typeEEEZNS1_34radix_sort_onesweep_global_offsetsIS3_Lb0EPKhPS5_mNS0_19identity_decomposerEEE10hipError_tT1_T2_PT3_SF_jT4_jjP12ihipStream_tbEUlT_E_NS1_11comp_targetILNS1_3genE10ELNS1_11target_archE1201ELNS1_3gpuE5ELNS1_3repE0EEENS1_52radix_sort_onesweep_histogram_config_static_selectorELNS0_4arch9wavefront6targetE0EEEvSD_,comdat
.Lfunc_end207:
	.size	_ZN7rocprim17ROCPRIM_400000_NS6detail17trampoline_kernelINS0_14default_configENS1_35radix_sort_onesweep_config_selectorIhNS0_10empty_typeEEEZNS1_34radix_sort_onesweep_global_offsetsIS3_Lb0EPKhPS5_mNS0_19identity_decomposerEEE10hipError_tT1_T2_PT3_SF_jT4_jjP12ihipStream_tbEUlT_E_NS1_11comp_targetILNS1_3genE10ELNS1_11target_archE1201ELNS1_3gpuE5ELNS1_3repE0EEENS1_52radix_sort_onesweep_histogram_config_static_selectorELNS0_4arch9wavefront6targetE0EEEvSD_, .Lfunc_end207-_ZN7rocprim17ROCPRIM_400000_NS6detail17trampoline_kernelINS0_14default_configENS1_35radix_sort_onesweep_config_selectorIhNS0_10empty_typeEEEZNS1_34radix_sort_onesweep_global_offsetsIS3_Lb0EPKhPS5_mNS0_19identity_decomposerEEE10hipError_tT1_T2_PT3_SF_jT4_jjP12ihipStream_tbEUlT_E_NS1_11comp_targetILNS1_3genE10ELNS1_11target_archE1201ELNS1_3gpuE5ELNS1_3repE0EEENS1_52radix_sort_onesweep_histogram_config_static_selectorELNS0_4arch9wavefront6targetE0EEEvSD_
                                        ; -- End function
	.set _ZN7rocprim17ROCPRIM_400000_NS6detail17trampoline_kernelINS0_14default_configENS1_35radix_sort_onesweep_config_selectorIhNS0_10empty_typeEEEZNS1_34radix_sort_onesweep_global_offsetsIS3_Lb0EPKhPS5_mNS0_19identity_decomposerEEE10hipError_tT1_T2_PT3_SF_jT4_jjP12ihipStream_tbEUlT_E_NS1_11comp_targetILNS1_3genE10ELNS1_11target_archE1201ELNS1_3gpuE5ELNS1_3repE0EEENS1_52radix_sort_onesweep_histogram_config_static_selectorELNS0_4arch9wavefront6targetE0EEEvSD_.num_vgpr, 0
	.set _ZN7rocprim17ROCPRIM_400000_NS6detail17trampoline_kernelINS0_14default_configENS1_35radix_sort_onesweep_config_selectorIhNS0_10empty_typeEEEZNS1_34radix_sort_onesweep_global_offsetsIS3_Lb0EPKhPS5_mNS0_19identity_decomposerEEE10hipError_tT1_T2_PT3_SF_jT4_jjP12ihipStream_tbEUlT_E_NS1_11comp_targetILNS1_3genE10ELNS1_11target_archE1201ELNS1_3gpuE5ELNS1_3repE0EEENS1_52radix_sort_onesweep_histogram_config_static_selectorELNS0_4arch9wavefront6targetE0EEEvSD_.num_agpr, 0
	.set _ZN7rocprim17ROCPRIM_400000_NS6detail17trampoline_kernelINS0_14default_configENS1_35radix_sort_onesweep_config_selectorIhNS0_10empty_typeEEEZNS1_34radix_sort_onesweep_global_offsetsIS3_Lb0EPKhPS5_mNS0_19identity_decomposerEEE10hipError_tT1_T2_PT3_SF_jT4_jjP12ihipStream_tbEUlT_E_NS1_11comp_targetILNS1_3genE10ELNS1_11target_archE1201ELNS1_3gpuE5ELNS1_3repE0EEENS1_52radix_sort_onesweep_histogram_config_static_selectorELNS0_4arch9wavefront6targetE0EEEvSD_.numbered_sgpr, 0
	.set _ZN7rocprim17ROCPRIM_400000_NS6detail17trampoline_kernelINS0_14default_configENS1_35radix_sort_onesweep_config_selectorIhNS0_10empty_typeEEEZNS1_34radix_sort_onesweep_global_offsetsIS3_Lb0EPKhPS5_mNS0_19identity_decomposerEEE10hipError_tT1_T2_PT3_SF_jT4_jjP12ihipStream_tbEUlT_E_NS1_11comp_targetILNS1_3genE10ELNS1_11target_archE1201ELNS1_3gpuE5ELNS1_3repE0EEENS1_52radix_sort_onesweep_histogram_config_static_selectorELNS0_4arch9wavefront6targetE0EEEvSD_.num_named_barrier, 0
	.set _ZN7rocprim17ROCPRIM_400000_NS6detail17trampoline_kernelINS0_14default_configENS1_35radix_sort_onesweep_config_selectorIhNS0_10empty_typeEEEZNS1_34radix_sort_onesweep_global_offsetsIS3_Lb0EPKhPS5_mNS0_19identity_decomposerEEE10hipError_tT1_T2_PT3_SF_jT4_jjP12ihipStream_tbEUlT_E_NS1_11comp_targetILNS1_3genE10ELNS1_11target_archE1201ELNS1_3gpuE5ELNS1_3repE0EEENS1_52radix_sort_onesweep_histogram_config_static_selectorELNS0_4arch9wavefront6targetE0EEEvSD_.private_seg_size, 0
	.set _ZN7rocprim17ROCPRIM_400000_NS6detail17trampoline_kernelINS0_14default_configENS1_35radix_sort_onesweep_config_selectorIhNS0_10empty_typeEEEZNS1_34radix_sort_onesweep_global_offsetsIS3_Lb0EPKhPS5_mNS0_19identity_decomposerEEE10hipError_tT1_T2_PT3_SF_jT4_jjP12ihipStream_tbEUlT_E_NS1_11comp_targetILNS1_3genE10ELNS1_11target_archE1201ELNS1_3gpuE5ELNS1_3repE0EEENS1_52radix_sort_onesweep_histogram_config_static_selectorELNS0_4arch9wavefront6targetE0EEEvSD_.uses_vcc, 0
	.set _ZN7rocprim17ROCPRIM_400000_NS6detail17trampoline_kernelINS0_14default_configENS1_35radix_sort_onesweep_config_selectorIhNS0_10empty_typeEEEZNS1_34radix_sort_onesweep_global_offsetsIS3_Lb0EPKhPS5_mNS0_19identity_decomposerEEE10hipError_tT1_T2_PT3_SF_jT4_jjP12ihipStream_tbEUlT_E_NS1_11comp_targetILNS1_3genE10ELNS1_11target_archE1201ELNS1_3gpuE5ELNS1_3repE0EEENS1_52radix_sort_onesweep_histogram_config_static_selectorELNS0_4arch9wavefront6targetE0EEEvSD_.uses_flat_scratch, 0
	.set _ZN7rocprim17ROCPRIM_400000_NS6detail17trampoline_kernelINS0_14default_configENS1_35radix_sort_onesweep_config_selectorIhNS0_10empty_typeEEEZNS1_34radix_sort_onesweep_global_offsetsIS3_Lb0EPKhPS5_mNS0_19identity_decomposerEEE10hipError_tT1_T2_PT3_SF_jT4_jjP12ihipStream_tbEUlT_E_NS1_11comp_targetILNS1_3genE10ELNS1_11target_archE1201ELNS1_3gpuE5ELNS1_3repE0EEENS1_52radix_sort_onesweep_histogram_config_static_selectorELNS0_4arch9wavefront6targetE0EEEvSD_.has_dyn_sized_stack, 0
	.set _ZN7rocprim17ROCPRIM_400000_NS6detail17trampoline_kernelINS0_14default_configENS1_35radix_sort_onesweep_config_selectorIhNS0_10empty_typeEEEZNS1_34radix_sort_onesweep_global_offsetsIS3_Lb0EPKhPS5_mNS0_19identity_decomposerEEE10hipError_tT1_T2_PT3_SF_jT4_jjP12ihipStream_tbEUlT_E_NS1_11comp_targetILNS1_3genE10ELNS1_11target_archE1201ELNS1_3gpuE5ELNS1_3repE0EEENS1_52radix_sort_onesweep_histogram_config_static_selectorELNS0_4arch9wavefront6targetE0EEEvSD_.has_recursion, 0
	.set _ZN7rocprim17ROCPRIM_400000_NS6detail17trampoline_kernelINS0_14default_configENS1_35radix_sort_onesweep_config_selectorIhNS0_10empty_typeEEEZNS1_34radix_sort_onesweep_global_offsetsIS3_Lb0EPKhPS5_mNS0_19identity_decomposerEEE10hipError_tT1_T2_PT3_SF_jT4_jjP12ihipStream_tbEUlT_E_NS1_11comp_targetILNS1_3genE10ELNS1_11target_archE1201ELNS1_3gpuE5ELNS1_3repE0EEENS1_52radix_sort_onesweep_histogram_config_static_selectorELNS0_4arch9wavefront6targetE0EEEvSD_.has_indirect_call, 0
	.section	.AMDGPU.csdata,"",@progbits
; Kernel info:
; codeLenInByte = 0
; TotalNumSgprs: 0
; NumVgprs: 0
; ScratchSize: 0
; MemoryBound: 0
; FloatMode: 240
; IeeeMode: 1
; LDSByteSize: 0 bytes/workgroup (compile time only)
; SGPRBlocks: 0
; VGPRBlocks: 0
; NumSGPRsForWavesPerEU: 1
; NumVGPRsForWavesPerEU: 1
; NamedBarCnt: 0
; Occupancy: 16
; WaveLimiterHint : 0
; COMPUTE_PGM_RSRC2:SCRATCH_EN: 0
; COMPUTE_PGM_RSRC2:USER_SGPR: 2
; COMPUTE_PGM_RSRC2:TRAP_HANDLER: 0
; COMPUTE_PGM_RSRC2:TGID_X_EN: 1
; COMPUTE_PGM_RSRC2:TGID_Y_EN: 0
; COMPUTE_PGM_RSRC2:TGID_Z_EN: 0
; COMPUTE_PGM_RSRC2:TIDIG_COMP_CNT: 0
	.section	.text._ZN7rocprim17ROCPRIM_400000_NS6detail17trampoline_kernelINS0_14default_configENS1_35radix_sort_onesweep_config_selectorIhNS0_10empty_typeEEEZNS1_34radix_sort_onesweep_global_offsetsIS3_Lb0EPKhPS5_mNS0_19identity_decomposerEEE10hipError_tT1_T2_PT3_SF_jT4_jjP12ihipStream_tbEUlT_E_NS1_11comp_targetILNS1_3genE9ELNS1_11target_archE1100ELNS1_3gpuE3ELNS1_3repE0EEENS1_52radix_sort_onesweep_histogram_config_static_selectorELNS0_4arch9wavefront6targetE0EEEvSD_,"axG",@progbits,_ZN7rocprim17ROCPRIM_400000_NS6detail17trampoline_kernelINS0_14default_configENS1_35radix_sort_onesweep_config_selectorIhNS0_10empty_typeEEEZNS1_34radix_sort_onesweep_global_offsetsIS3_Lb0EPKhPS5_mNS0_19identity_decomposerEEE10hipError_tT1_T2_PT3_SF_jT4_jjP12ihipStream_tbEUlT_E_NS1_11comp_targetILNS1_3genE9ELNS1_11target_archE1100ELNS1_3gpuE3ELNS1_3repE0EEENS1_52radix_sort_onesweep_histogram_config_static_selectorELNS0_4arch9wavefront6targetE0EEEvSD_,comdat
	.protected	_ZN7rocprim17ROCPRIM_400000_NS6detail17trampoline_kernelINS0_14default_configENS1_35radix_sort_onesweep_config_selectorIhNS0_10empty_typeEEEZNS1_34radix_sort_onesweep_global_offsetsIS3_Lb0EPKhPS5_mNS0_19identity_decomposerEEE10hipError_tT1_T2_PT3_SF_jT4_jjP12ihipStream_tbEUlT_E_NS1_11comp_targetILNS1_3genE9ELNS1_11target_archE1100ELNS1_3gpuE3ELNS1_3repE0EEENS1_52radix_sort_onesweep_histogram_config_static_selectorELNS0_4arch9wavefront6targetE0EEEvSD_ ; -- Begin function _ZN7rocprim17ROCPRIM_400000_NS6detail17trampoline_kernelINS0_14default_configENS1_35radix_sort_onesweep_config_selectorIhNS0_10empty_typeEEEZNS1_34radix_sort_onesweep_global_offsetsIS3_Lb0EPKhPS5_mNS0_19identity_decomposerEEE10hipError_tT1_T2_PT3_SF_jT4_jjP12ihipStream_tbEUlT_E_NS1_11comp_targetILNS1_3genE9ELNS1_11target_archE1100ELNS1_3gpuE3ELNS1_3repE0EEENS1_52radix_sort_onesweep_histogram_config_static_selectorELNS0_4arch9wavefront6targetE0EEEvSD_
	.globl	_ZN7rocprim17ROCPRIM_400000_NS6detail17trampoline_kernelINS0_14default_configENS1_35radix_sort_onesweep_config_selectorIhNS0_10empty_typeEEEZNS1_34radix_sort_onesweep_global_offsetsIS3_Lb0EPKhPS5_mNS0_19identity_decomposerEEE10hipError_tT1_T2_PT3_SF_jT4_jjP12ihipStream_tbEUlT_E_NS1_11comp_targetILNS1_3genE9ELNS1_11target_archE1100ELNS1_3gpuE3ELNS1_3repE0EEENS1_52radix_sort_onesweep_histogram_config_static_selectorELNS0_4arch9wavefront6targetE0EEEvSD_
	.p2align	8
	.type	_ZN7rocprim17ROCPRIM_400000_NS6detail17trampoline_kernelINS0_14default_configENS1_35radix_sort_onesweep_config_selectorIhNS0_10empty_typeEEEZNS1_34radix_sort_onesweep_global_offsetsIS3_Lb0EPKhPS5_mNS0_19identity_decomposerEEE10hipError_tT1_T2_PT3_SF_jT4_jjP12ihipStream_tbEUlT_E_NS1_11comp_targetILNS1_3genE9ELNS1_11target_archE1100ELNS1_3gpuE3ELNS1_3repE0EEENS1_52radix_sort_onesweep_histogram_config_static_selectorELNS0_4arch9wavefront6targetE0EEEvSD_,@function
_ZN7rocprim17ROCPRIM_400000_NS6detail17trampoline_kernelINS0_14default_configENS1_35radix_sort_onesweep_config_selectorIhNS0_10empty_typeEEEZNS1_34radix_sort_onesweep_global_offsetsIS3_Lb0EPKhPS5_mNS0_19identity_decomposerEEE10hipError_tT1_T2_PT3_SF_jT4_jjP12ihipStream_tbEUlT_E_NS1_11comp_targetILNS1_3genE9ELNS1_11target_archE1100ELNS1_3gpuE3ELNS1_3repE0EEENS1_52radix_sort_onesweep_histogram_config_static_selectorELNS0_4arch9wavefront6targetE0EEEvSD_: ; @_ZN7rocprim17ROCPRIM_400000_NS6detail17trampoline_kernelINS0_14default_configENS1_35radix_sort_onesweep_config_selectorIhNS0_10empty_typeEEEZNS1_34radix_sort_onesweep_global_offsetsIS3_Lb0EPKhPS5_mNS0_19identity_decomposerEEE10hipError_tT1_T2_PT3_SF_jT4_jjP12ihipStream_tbEUlT_E_NS1_11comp_targetILNS1_3genE9ELNS1_11target_archE1100ELNS1_3gpuE3ELNS1_3repE0EEENS1_52radix_sort_onesweep_histogram_config_static_selectorELNS0_4arch9wavefront6targetE0EEEvSD_
; %bb.0:
	.section	.rodata,"a",@progbits
	.p2align	6, 0x0
	.amdhsa_kernel _ZN7rocprim17ROCPRIM_400000_NS6detail17trampoline_kernelINS0_14default_configENS1_35radix_sort_onesweep_config_selectorIhNS0_10empty_typeEEEZNS1_34radix_sort_onesweep_global_offsetsIS3_Lb0EPKhPS5_mNS0_19identity_decomposerEEE10hipError_tT1_T2_PT3_SF_jT4_jjP12ihipStream_tbEUlT_E_NS1_11comp_targetILNS1_3genE9ELNS1_11target_archE1100ELNS1_3gpuE3ELNS1_3repE0EEENS1_52radix_sort_onesweep_histogram_config_static_selectorELNS0_4arch9wavefront6targetE0EEEvSD_
		.amdhsa_group_segment_fixed_size 0
		.amdhsa_private_segment_fixed_size 0
		.amdhsa_kernarg_size 48
		.amdhsa_user_sgpr_count 2
		.amdhsa_user_sgpr_dispatch_ptr 0
		.amdhsa_user_sgpr_queue_ptr 0
		.amdhsa_user_sgpr_kernarg_segment_ptr 1
		.amdhsa_user_sgpr_dispatch_id 0
		.amdhsa_user_sgpr_kernarg_preload_length 0
		.amdhsa_user_sgpr_kernarg_preload_offset 0
		.amdhsa_user_sgpr_private_segment_size 0
		.amdhsa_wavefront_size32 1
		.amdhsa_uses_dynamic_stack 0
		.amdhsa_enable_private_segment 0
		.amdhsa_system_sgpr_workgroup_id_x 1
		.amdhsa_system_sgpr_workgroup_id_y 0
		.amdhsa_system_sgpr_workgroup_id_z 0
		.amdhsa_system_sgpr_workgroup_info 0
		.amdhsa_system_vgpr_workitem_id 0
		.amdhsa_next_free_vgpr 1
		.amdhsa_next_free_sgpr 1
		.amdhsa_named_barrier_count 0
		.amdhsa_reserve_vcc 0
		.amdhsa_float_round_mode_32 0
		.amdhsa_float_round_mode_16_64 0
		.amdhsa_float_denorm_mode_32 3
		.amdhsa_float_denorm_mode_16_64 3
		.amdhsa_fp16_overflow 0
		.amdhsa_memory_ordered 1
		.amdhsa_forward_progress 1
		.amdhsa_inst_pref_size 0
		.amdhsa_round_robin_scheduling 0
		.amdhsa_exception_fp_ieee_invalid_op 0
		.amdhsa_exception_fp_denorm_src 0
		.amdhsa_exception_fp_ieee_div_zero 0
		.amdhsa_exception_fp_ieee_overflow 0
		.amdhsa_exception_fp_ieee_underflow 0
		.amdhsa_exception_fp_ieee_inexact 0
		.amdhsa_exception_int_div_zero 0
	.end_amdhsa_kernel
	.section	.text._ZN7rocprim17ROCPRIM_400000_NS6detail17trampoline_kernelINS0_14default_configENS1_35radix_sort_onesweep_config_selectorIhNS0_10empty_typeEEEZNS1_34radix_sort_onesweep_global_offsetsIS3_Lb0EPKhPS5_mNS0_19identity_decomposerEEE10hipError_tT1_T2_PT3_SF_jT4_jjP12ihipStream_tbEUlT_E_NS1_11comp_targetILNS1_3genE9ELNS1_11target_archE1100ELNS1_3gpuE3ELNS1_3repE0EEENS1_52radix_sort_onesweep_histogram_config_static_selectorELNS0_4arch9wavefront6targetE0EEEvSD_,"axG",@progbits,_ZN7rocprim17ROCPRIM_400000_NS6detail17trampoline_kernelINS0_14default_configENS1_35radix_sort_onesweep_config_selectorIhNS0_10empty_typeEEEZNS1_34radix_sort_onesweep_global_offsetsIS3_Lb0EPKhPS5_mNS0_19identity_decomposerEEE10hipError_tT1_T2_PT3_SF_jT4_jjP12ihipStream_tbEUlT_E_NS1_11comp_targetILNS1_3genE9ELNS1_11target_archE1100ELNS1_3gpuE3ELNS1_3repE0EEENS1_52radix_sort_onesweep_histogram_config_static_selectorELNS0_4arch9wavefront6targetE0EEEvSD_,comdat
.Lfunc_end208:
	.size	_ZN7rocprim17ROCPRIM_400000_NS6detail17trampoline_kernelINS0_14default_configENS1_35radix_sort_onesweep_config_selectorIhNS0_10empty_typeEEEZNS1_34radix_sort_onesweep_global_offsetsIS3_Lb0EPKhPS5_mNS0_19identity_decomposerEEE10hipError_tT1_T2_PT3_SF_jT4_jjP12ihipStream_tbEUlT_E_NS1_11comp_targetILNS1_3genE9ELNS1_11target_archE1100ELNS1_3gpuE3ELNS1_3repE0EEENS1_52radix_sort_onesweep_histogram_config_static_selectorELNS0_4arch9wavefront6targetE0EEEvSD_, .Lfunc_end208-_ZN7rocprim17ROCPRIM_400000_NS6detail17trampoline_kernelINS0_14default_configENS1_35radix_sort_onesweep_config_selectorIhNS0_10empty_typeEEEZNS1_34radix_sort_onesweep_global_offsetsIS3_Lb0EPKhPS5_mNS0_19identity_decomposerEEE10hipError_tT1_T2_PT3_SF_jT4_jjP12ihipStream_tbEUlT_E_NS1_11comp_targetILNS1_3genE9ELNS1_11target_archE1100ELNS1_3gpuE3ELNS1_3repE0EEENS1_52radix_sort_onesweep_histogram_config_static_selectorELNS0_4arch9wavefront6targetE0EEEvSD_
                                        ; -- End function
	.set _ZN7rocprim17ROCPRIM_400000_NS6detail17trampoline_kernelINS0_14default_configENS1_35radix_sort_onesweep_config_selectorIhNS0_10empty_typeEEEZNS1_34radix_sort_onesweep_global_offsetsIS3_Lb0EPKhPS5_mNS0_19identity_decomposerEEE10hipError_tT1_T2_PT3_SF_jT4_jjP12ihipStream_tbEUlT_E_NS1_11comp_targetILNS1_3genE9ELNS1_11target_archE1100ELNS1_3gpuE3ELNS1_3repE0EEENS1_52radix_sort_onesweep_histogram_config_static_selectorELNS0_4arch9wavefront6targetE0EEEvSD_.num_vgpr, 0
	.set _ZN7rocprim17ROCPRIM_400000_NS6detail17trampoline_kernelINS0_14default_configENS1_35radix_sort_onesweep_config_selectorIhNS0_10empty_typeEEEZNS1_34radix_sort_onesweep_global_offsetsIS3_Lb0EPKhPS5_mNS0_19identity_decomposerEEE10hipError_tT1_T2_PT3_SF_jT4_jjP12ihipStream_tbEUlT_E_NS1_11comp_targetILNS1_3genE9ELNS1_11target_archE1100ELNS1_3gpuE3ELNS1_3repE0EEENS1_52radix_sort_onesweep_histogram_config_static_selectorELNS0_4arch9wavefront6targetE0EEEvSD_.num_agpr, 0
	.set _ZN7rocprim17ROCPRIM_400000_NS6detail17trampoline_kernelINS0_14default_configENS1_35radix_sort_onesweep_config_selectorIhNS0_10empty_typeEEEZNS1_34radix_sort_onesweep_global_offsetsIS3_Lb0EPKhPS5_mNS0_19identity_decomposerEEE10hipError_tT1_T2_PT3_SF_jT4_jjP12ihipStream_tbEUlT_E_NS1_11comp_targetILNS1_3genE9ELNS1_11target_archE1100ELNS1_3gpuE3ELNS1_3repE0EEENS1_52radix_sort_onesweep_histogram_config_static_selectorELNS0_4arch9wavefront6targetE0EEEvSD_.numbered_sgpr, 0
	.set _ZN7rocprim17ROCPRIM_400000_NS6detail17trampoline_kernelINS0_14default_configENS1_35radix_sort_onesweep_config_selectorIhNS0_10empty_typeEEEZNS1_34radix_sort_onesweep_global_offsetsIS3_Lb0EPKhPS5_mNS0_19identity_decomposerEEE10hipError_tT1_T2_PT3_SF_jT4_jjP12ihipStream_tbEUlT_E_NS1_11comp_targetILNS1_3genE9ELNS1_11target_archE1100ELNS1_3gpuE3ELNS1_3repE0EEENS1_52radix_sort_onesweep_histogram_config_static_selectorELNS0_4arch9wavefront6targetE0EEEvSD_.num_named_barrier, 0
	.set _ZN7rocprim17ROCPRIM_400000_NS6detail17trampoline_kernelINS0_14default_configENS1_35radix_sort_onesweep_config_selectorIhNS0_10empty_typeEEEZNS1_34radix_sort_onesweep_global_offsetsIS3_Lb0EPKhPS5_mNS0_19identity_decomposerEEE10hipError_tT1_T2_PT3_SF_jT4_jjP12ihipStream_tbEUlT_E_NS1_11comp_targetILNS1_3genE9ELNS1_11target_archE1100ELNS1_3gpuE3ELNS1_3repE0EEENS1_52radix_sort_onesweep_histogram_config_static_selectorELNS0_4arch9wavefront6targetE0EEEvSD_.private_seg_size, 0
	.set _ZN7rocprim17ROCPRIM_400000_NS6detail17trampoline_kernelINS0_14default_configENS1_35radix_sort_onesweep_config_selectorIhNS0_10empty_typeEEEZNS1_34radix_sort_onesweep_global_offsetsIS3_Lb0EPKhPS5_mNS0_19identity_decomposerEEE10hipError_tT1_T2_PT3_SF_jT4_jjP12ihipStream_tbEUlT_E_NS1_11comp_targetILNS1_3genE9ELNS1_11target_archE1100ELNS1_3gpuE3ELNS1_3repE0EEENS1_52radix_sort_onesweep_histogram_config_static_selectorELNS0_4arch9wavefront6targetE0EEEvSD_.uses_vcc, 0
	.set _ZN7rocprim17ROCPRIM_400000_NS6detail17trampoline_kernelINS0_14default_configENS1_35radix_sort_onesweep_config_selectorIhNS0_10empty_typeEEEZNS1_34radix_sort_onesweep_global_offsetsIS3_Lb0EPKhPS5_mNS0_19identity_decomposerEEE10hipError_tT1_T2_PT3_SF_jT4_jjP12ihipStream_tbEUlT_E_NS1_11comp_targetILNS1_3genE9ELNS1_11target_archE1100ELNS1_3gpuE3ELNS1_3repE0EEENS1_52radix_sort_onesweep_histogram_config_static_selectorELNS0_4arch9wavefront6targetE0EEEvSD_.uses_flat_scratch, 0
	.set _ZN7rocprim17ROCPRIM_400000_NS6detail17trampoline_kernelINS0_14default_configENS1_35radix_sort_onesweep_config_selectorIhNS0_10empty_typeEEEZNS1_34radix_sort_onesweep_global_offsetsIS3_Lb0EPKhPS5_mNS0_19identity_decomposerEEE10hipError_tT1_T2_PT3_SF_jT4_jjP12ihipStream_tbEUlT_E_NS1_11comp_targetILNS1_3genE9ELNS1_11target_archE1100ELNS1_3gpuE3ELNS1_3repE0EEENS1_52radix_sort_onesweep_histogram_config_static_selectorELNS0_4arch9wavefront6targetE0EEEvSD_.has_dyn_sized_stack, 0
	.set _ZN7rocprim17ROCPRIM_400000_NS6detail17trampoline_kernelINS0_14default_configENS1_35radix_sort_onesweep_config_selectorIhNS0_10empty_typeEEEZNS1_34radix_sort_onesweep_global_offsetsIS3_Lb0EPKhPS5_mNS0_19identity_decomposerEEE10hipError_tT1_T2_PT3_SF_jT4_jjP12ihipStream_tbEUlT_E_NS1_11comp_targetILNS1_3genE9ELNS1_11target_archE1100ELNS1_3gpuE3ELNS1_3repE0EEENS1_52radix_sort_onesweep_histogram_config_static_selectorELNS0_4arch9wavefront6targetE0EEEvSD_.has_recursion, 0
	.set _ZN7rocprim17ROCPRIM_400000_NS6detail17trampoline_kernelINS0_14default_configENS1_35radix_sort_onesweep_config_selectorIhNS0_10empty_typeEEEZNS1_34radix_sort_onesweep_global_offsetsIS3_Lb0EPKhPS5_mNS0_19identity_decomposerEEE10hipError_tT1_T2_PT3_SF_jT4_jjP12ihipStream_tbEUlT_E_NS1_11comp_targetILNS1_3genE9ELNS1_11target_archE1100ELNS1_3gpuE3ELNS1_3repE0EEENS1_52radix_sort_onesweep_histogram_config_static_selectorELNS0_4arch9wavefront6targetE0EEEvSD_.has_indirect_call, 0
	.section	.AMDGPU.csdata,"",@progbits
; Kernel info:
; codeLenInByte = 0
; TotalNumSgprs: 0
; NumVgprs: 0
; ScratchSize: 0
; MemoryBound: 0
; FloatMode: 240
; IeeeMode: 1
; LDSByteSize: 0 bytes/workgroup (compile time only)
; SGPRBlocks: 0
; VGPRBlocks: 0
; NumSGPRsForWavesPerEU: 1
; NumVGPRsForWavesPerEU: 1
; NamedBarCnt: 0
; Occupancy: 16
; WaveLimiterHint : 0
; COMPUTE_PGM_RSRC2:SCRATCH_EN: 0
; COMPUTE_PGM_RSRC2:USER_SGPR: 2
; COMPUTE_PGM_RSRC2:TRAP_HANDLER: 0
; COMPUTE_PGM_RSRC2:TGID_X_EN: 1
; COMPUTE_PGM_RSRC2:TGID_Y_EN: 0
; COMPUTE_PGM_RSRC2:TGID_Z_EN: 0
; COMPUTE_PGM_RSRC2:TIDIG_COMP_CNT: 0
	.section	.text._ZN7rocprim17ROCPRIM_400000_NS6detail17trampoline_kernelINS0_14default_configENS1_35radix_sort_onesweep_config_selectorIhNS0_10empty_typeEEEZNS1_34radix_sort_onesweep_global_offsetsIS3_Lb0EPKhPS5_mNS0_19identity_decomposerEEE10hipError_tT1_T2_PT3_SF_jT4_jjP12ihipStream_tbEUlT_E_NS1_11comp_targetILNS1_3genE8ELNS1_11target_archE1030ELNS1_3gpuE2ELNS1_3repE0EEENS1_52radix_sort_onesweep_histogram_config_static_selectorELNS0_4arch9wavefront6targetE0EEEvSD_,"axG",@progbits,_ZN7rocprim17ROCPRIM_400000_NS6detail17trampoline_kernelINS0_14default_configENS1_35radix_sort_onesweep_config_selectorIhNS0_10empty_typeEEEZNS1_34radix_sort_onesweep_global_offsetsIS3_Lb0EPKhPS5_mNS0_19identity_decomposerEEE10hipError_tT1_T2_PT3_SF_jT4_jjP12ihipStream_tbEUlT_E_NS1_11comp_targetILNS1_3genE8ELNS1_11target_archE1030ELNS1_3gpuE2ELNS1_3repE0EEENS1_52radix_sort_onesweep_histogram_config_static_selectorELNS0_4arch9wavefront6targetE0EEEvSD_,comdat
	.protected	_ZN7rocprim17ROCPRIM_400000_NS6detail17trampoline_kernelINS0_14default_configENS1_35radix_sort_onesweep_config_selectorIhNS0_10empty_typeEEEZNS1_34radix_sort_onesweep_global_offsetsIS3_Lb0EPKhPS5_mNS0_19identity_decomposerEEE10hipError_tT1_T2_PT3_SF_jT4_jjP12ihipStream_tbEUlT_E_NS1_11comp_targetILNS1_3genE8ELNS1_11target_archE1030ELNS1_3gpuE2ELNS1_3repE0EEENS1_52radix_sort_onesweep_histogram_config_static_selectorELNS0_4arch9wavefront6targetE0EEEvSD_ ; -- Begin function _ZN7rocprim17ROCPRIM_400000_NS6detail17trampoline_kernelINS0_14default_configENS1_35radix_sort_onesweep_config_selectorIhNS0_10empty_typeEEEZNS1_34radix_sort_onesweep_global_offsetsIS3_Lb0EPKhPS5_mNS0_19identity_decomposerEEE10hipError_tT1_T2_PT3_SF_jT4_jjP12ihipStream_tbEUlT_E_NS1_11comp_targetILNS1_3genE8ELNS1_11target_archE1030ELNS1_3gpuE2ELNS1_3repE0EEENS1_52radix_sort_onesweep_histogram_config_static_selectorELNS0_4arch9wavefront6targetE0EEEvSD_
	.globl	_ZN7rocprim17ROCPRIM_400000_NS6detail17trampoline_kernelINS0_14default_configENS1_35radix_sort_onesweep_config_selectorIhNS0_10empty_typeEEEZNS1_34radix_sort_onesweep_global_offsetsIS3_Lb0EPKhPS5_mNS0_19identity_decomposerEEE10hipError_tT1_T2_PT3_SF_jT4_jjP12ihipStream_tbEUlT_E_NS1_11comp_targetILNS1_3genE8ELNS1_11target_archE1030ELNS1_3gpuE2ELNS1_3repE0EEENS1_52radix_sort_onesweep_histogram_config_static_selectorELNS0_4arch9wavefront6targetE0EEEvSD_
	.p2align	8
	.type	_ZN7rocprim17ROCPRIM_400000_NS6detail17trampoline_kernelINS0_14default_configENS1_35radix_sort_onesweep_config_selectorIhNS0_10empty_typeEEEZNS1_34radix_sort_onesweep_global_offsetsIS3_Lb0EPKhPS5_mNS0_19identity_decomposerEEE10hipError_tT1_T2_PT3_SF_jT4_jjP12ihipStream_tbEUlT_E_NS1_11comp_targetILNS1_3genE8ELNS1_11target_archE1030ELNS1_3gpuE2ELNS1_3repE0EEENS1_52radix_sort_onesweep_histogram_config_static_selectorELNS0_4arch9wavefront6targetE0EEEvSD_,@function
_ZN7rocprim17ROCPRIM_400000_NS6detail17trampoline_kernelINS0_14default_configENS1_35radix_sort_onesweep_config_selectorIhNS0_10empty_typeEEEZNS1_34radix_sort_onesweep_global_offsetsIS3_Lb0EPKhPS5_mNS0_19identity_decomposerEEE10hipError_tT1_T2_PT3_SF_jT4_jjP12ihipStream_tbEUlT_E_NS1_11comp_targetILNS1_3genE8ELNS1_11target_archE1030ELNS1_3gpuE2ELNS1_3repE0EEENS1_52radix_sort_onesweep_histogram_config_static_selectorELNS0_4arch9wavefront6targetE0EEEvSD_: ; @_ZN7rocprim17ROCPRIM_400000_NS6detail17trampoline_kernelINS0_14default_configENS1_35radix_sort_onesweep_config_selectorIhNS0_10empty_typeEEEZNS1_34radix_sort_onesweep_global_offsetsIS3_Lb0EPKhPS5_mNS0_19identity_decomposerEEE10hipError_tT1_T2_PT3_SF_jT4_jjP12ihipStream_tbEUlT_E_NS1_11comp_targetILNS1_3genE8ELNS1_11target_archE1030ELNS1_3gpuE2ELNS1_3repE0EEENS1_52radix_sort_onesweep_histogram_config_static_selectorELNS0_4arch9wavefront6targetE0EEEvSD_
; %bb.0:
	.section	.rodata,"a",@progbits
	.p2align	6, 0x0
	.amdhsa_kernel _ZN7rocprim17ROCPRIM_400000_NS6detail17trampoline_kernelINS0_14default_configENS1_35radix_sort_onesweep_config_selectorIhNS0_10empty_typeEEEZNS1_34radix_sort_onesweep_global_offsetsIS3_Lb0EPKhPS5_mNS0_19identity_decomposerEEE10hipError_tT1_T2_PT3_SF_jT4_jjP12ihipStream_tbEUlT_E_NS1_11comp_targetILNS1_3genE8ELNS1_11target_archE1030ELNS1_3gpuE2ELNS1_3repE0EEENS1_52radix_sort_onesweep_histogram_config_static_selectorELNS0_4arch9wavefront6targetE0EEEvSD_
		.amdhsa_group_segment_fixed_size 0
		.amdhsa_private_segment_fixed_size 0
		.amdhsa_kernarg_size 48
		.amdhsa_user_sgpr_count 2
		.amdhsa_user_sgpr_dispatch_ptr 0
		.amdhsa_user_sgpr_queue_ptr 0
		.amdhsa_user_sgpr_kernarg_segment_ptr 1
		.amdhsa_user_sgpr_dispatch_id 0
		.amdhsa_user_sgpr_kernarg_preload_length 0
		.amdhsa_user_sgpr_kernarg_preload_offset 0
		.amdhsa_user_sgpr_private_segment_size 0
		.amdhsa_wavefront_size32 1
		.amdhsa_uses_dynamic_stack 0
		.amdhsa_enable_private_segment 0
		.amdhsa_system_sgpr_workgroup_id_x 1
		.amdhsa_system_sgpr_workgroup_id_y 0
		.amdhsa_system_sgpr_workgroup_id_z 0
		.amdhsa_system_sgpr_workgroup_info 0
		.amdhsa_system_vgpr_workitem_id 0
		.amdhsa_next_free_vgpr 1
		.amdhsa_next_free_sgpr 1
		.amdhsa_named_barrier_count 0
		.amdhsa_reserve_vcc 0
		.amdhsa_float_round_mode_32 0
		.amdhsa_float_round_mode_16_64 0
		.amdhsa_float_denorm_mode_32 3
		.amdhsa_float_denorm_mode_16_64 3
		.amdhsa_fp16_overflow 0
		.amdhsa_memory_ordered 1
		.amdhsa_forward_progress 1
		.amdhsa_inst_pref_size 0
		.amdhsa_round_robin_scheduling 0
		.amdhsa_exception_fp_ieee_invalid_op 0
		.amdhsa_exception_fp_denorm_src 0
		.amdhsa_exception_fp_ieee_div_zero 0
		.amdhsa_exception_fp_ieee_overflow 0
		.amdhsa_exception_fp_ieee_underflow 0
		.amdhsa_exception_fp_ieee_inexact 0
		.amdhsa_exception_int_div_zero 0
	.end_amdhsa_kernel
	.section	.text._ZN7rocprim17ROCPRIM_400000_NS6detail17trampoline_kernelINS0_14default_configENS1_35radix_sort_onesweep_config_selectorIhNS0_10empty_typeEEEZNS1_34radix_sort_onesweep_global_offsetsIS3_Lb0EPKhPS5_mNS0_19identity_decomposerEEE10hipError_tT1_T2_PT3_SF_jT4_jjP12ihipStream_tbEUlT_E_NS1_11comp_targetILNS1_3genE8ELNS1_11target_archE1030ELNS1_3gpuE2ELNS1_3repE0EEENS1_52radix_sort_onesweep_histogram_config_static_selectorELNS0_4arch9wavefront6targetE0EEEvSD_,"axG",@progbits,_ZN7rocprim17ROCPRIM_400000_NS6detail17trampoline_kernelINS0_14default_configENS1_35radix_sort_onesweep_config_selectorIhNS0_10empty_typeEEEZNS1_34radix_sort_onesweep_global_offsetsIS3_Lb0EPKhPS5_mNS0_19identity_decomposerEEE10hipError_tT1_T2_PT3_SF_jT4_jjP12ihipStream_tbEUlT_E_NS1_11comp_targetILNS1_3genE8ELNS1_11target_archE1030ELNS1_3gpuE2ELNS1_3repE0EEENS1_52radix_sort_onesweep_histogram_config_static_selectorELNS0_4arch9wavefront6targetE0EEEvSD_,comdat
.Lfunc_end209:
	.size	_ZN7rocprim17ROCPRIM_400000_NS6detail17trampoline_kernelINS0_14default_configENS1_35radix_sort_onesweep_config_selectorIhNS0_10empty_typeEEEZNS1_34radix_sort_onesweep_global_offsetsIS3_Lb0EPKhPS5_mNS0_19identity_decomposerEEE10hipError_tT1_T2_PT3_SF_jT4_jjP12ihipStream_tbEUlT_E_NS1_11comp_targetILNS1_3genE8ELNS1_11target_archE1030ELNS1_3gpuE2ELNS1_3repE0EEENS1_52radix_sort_onesweep_histogram_config_static_selectorELNS0_4arch9wavefront6targetE0EEEvSD_, .Lfunc_end209-_ZN7rocprim17ROCPRIM_400000_NS6detail17trampoline_kernelINS0_14default_configENS1_35radix_sort_onesweep_config_selectorIhNS0_10empty_typeEEEZNS1_34radix_sort_onesweep_global_offsetsIS3_Lb0EPKhPS5_mNS0_19identity_decomposerEEE10hipError_tT1_T2_PT3_SF_jT4_jjP12ihipStream_tbEUlT_E_NS1_11comp_targetILNS1_3genE8ELNS1_11target_archE1030ELNS1_3gpuE2ELNS1_3repE0EEENS1_52radix_sort_onesweep_histogram_config_static_selectorELNS0_4arch9wavefront6targetE0EEEvSD_
                                        ; -- End function
	.set _ZN7rocprim17ROCPRIM_400000_NS6detail17trampoline_kernelINS0_14default_configENS1_35radix_sort_onesweep_config_selectorIhNS0_10empty_typeEEEZNS1_34radix_sort_onesweep_global_offsetsIS3_Lb0EPKhPS5_mNS0_19identity_decomposerEEE10hipError_tT1_T2_PT3_SF_jT4_jjP12ihipStream_tbEUlT_E_NS1_11comp_targetILNS1_3genE8ELNS1_11target_archE1030ELNS1_3gpuE2ELNS1_3repE0EEENS1_52radix_sort_onesweep_histogram_config_static_selectorELNS0_4arch9wavefront6targetE0EEEvSD_.num_vgpr, 0
	.set _ZN7rocprim17ROCPRIM_400000_NS6detail17trampoline_kernelINS0_14default_configENS1_35radix_sort_onesweep_config_selectorIhNS0_10empty_typeEEEZNS1_34radix_sort_onesweep_global_offsetsIS3_Lb0EPKhPS5_mNS0_19identity_decomposerEEE10hipError_tT1_T2_PT3_SF_jT4_jjP12ihipStream_tbEUlT_E_NS1_11comp_targetILNS1_3genE8ELNS1_11target_archE1030ELNS1_3gpuE2ELNS1_3repE0EEENS1_52radix_sort_onesweep_histogram_config_static_selectorELNS0_4arch9wavefront6targetE0EEEvSD_.num_agpr, 0
	.set _ZN7rocprim17ROCPRIM_400000_NS6detail17trampoline_kernelINS0_14default_configENS1_35radix_sort_onesweep_config_selectorIhNS0_10empty_typeEEEZNS1_34radix_sort_onesweep_global_offsetsIS3_Lb0EPKhPS5_mNS0_19identity_decomposerEEE10hipError_tT1_T2_PT3_SF_jT4_jjP12ihipStream_tbEUlT_E_NS1_11comp_targetILNS1_3genE8ELNS1_11target_archE1030ELNS1_3gpuE2ELNS1_3repE0EEENS1_52radix_sort_onesweep_histogram_config_static_selectorELNS0_4arch9wavefront6targetE0EEEvSD_.numbered_sgpr, 0
	.set _ZN7rocprim17ROCPRIM_400000_NS6detail17trampoline_kernelINS0_14default_configENS1_35radix_sort_onesweep_config_selectorIhNS0_10empty_typeEEEZNS1_34radix_sort_onesweep_global_offsetsIS3_Lb0EPKhPS5_mNS0_19identity_decomposerEEE10hipError_tT1_T2_PT3_SF_jT4_jjP12ihipStream_tbEUlT_E_NS1_11comp_targetILNS1_3genE8ELNS1_11target_archE1030ELNS1_3gpuE2ELNS1_3repE0EEENS1_52radix_sort_onesweep_histogram_config_static_selectorELNS0_4arch9wavefront6targetE0EEEvSD_.num_named_barrier, 0
	.set _ZN7rocprim17ROCPRIM_400000_NS6detail17trampoline_kernelINS0_14default_configENS1_35radix_sort_onesweep_config_selectorIhNS0_10empty_typeEEEZNS1_34radix_sort_onesweep_global_offsetsIS3_Lb0EPKhPS5_mNS0_19identity_decomposerEEE10hipError_tT1_T2_PT3_SF_jT4_jjP12ihipStream_tbEUlT_E_NS1_11comp_targetILNS1_3genE8ELNS1_11target_archE1030ELNS1_3gpuE2ELNS1_3repE0EEENS1_52radix_sort_onesweep_histogram_config_static_selectorELNS0_4arch9wavefront6targetE0EEEvSD_.private_seg_size, 0
	.set _ZN7rocprim17ROCPRIM_400000_NS6detail17trampoline_kernelINS0_14default_configENS1_35radix_sort_onesweep_config_selectorIhNS0_10empty_typeEEEZNS1_34radix_sort_onesweep_global_offsetsIS3_Lb0EPKhPS5_mNS0_19identity_decomposerEEE10hipError_tT1_T2_PT3_SF_jT4_jjP12ihipStream_tbEUlT_E_NS1_11comp_targetILNS1_3genE8ELNS1_11target_archE1030ELNS1_3gpuE2ELNS1_3repE0EEENS1_52radix_sort_onesweep_histogram_config_static_selectorELNS0_4arch9wavefront6targetE0EEEvSD_.uses_vcc, 0
	.set _ZN7rocprim17ROCPRIM_400000_NS6detail17trampoline_kernelINS0_14default_configENS1_35radix_sort_onesweep_config_selectorIhNS0_10empty_typeEEEZNS1_34radix_sort_onesweep_global_offsetsIS3_Lb0EPKhPS5_mNS0_19identity_decomposerEEE10hipError_tT1_T2_PT3_SF_jT4_jjP12ihipStream_tbEUlT_E_NS1_11comp_targetILNS1_3genE8ELNS1_11target_archE1030ELNS1_3gpuE2ELNS1_3repE0EEENS1_52radix_sort_onesweep_histogram_config_static_selectorELNS0_4arch9wavefront6targetE0EEEvSD_.uses_flat_scratch, 0
	.set _ZN7rocprim17ROCPRIM_400000_NS6detail17trampoline_kernelINS0_14default_configENS1_35radix_sort_onesweep_config_selectorIhNS0_10empty_typeEEEZNS1_34radix_sort_onesweep_global_offsetsIS3_Lb0EPKhPS5_mNS0_19identity_decomposerEEE10hipError_tT1_T2_PT3_SF_jT4_jjP12ihipStream_tbEUlT_E_NS1_11comp_targetILNS1_3genE8ELNS1_11target_archE1030ELNS1_3gpuE2ELNS1_3repE0EEENS1_52radix_sort_onesweep_histogram_config_static_selectorELNS0_4arch9wavefront6targetE0EEEvSD_.has_dyn_sized_stack, 0
	.set _ZN7rocprim17ROCPRIM_400000_NS6detail17trampoline_kernelINS0_14default_configENS1_35radix_sort_onesweep_config_selectorIhNS0_10empty_typeEEEZNS1_34radix_sort_onesweep_global_offsetsIS3_Lb0EPKhPS5_mNS0_19identity_decomposerEEE10hipError_tT1_T2_PT3_SF_jT4_jjP12ihipStream_tbEUlT_E_NS1_11comp_targetILNS1_3genE8ELNS1_11target_archE1030ELNS1_3gpuE2ELNS1_3repE0EEENS1_52radix_sort_onesweep_histogram_config_static_selectorELNS0_4arch9wavefront6targetE0EEEvSD_.has_recursion, 0
	.set _ZN7rocprim17ROCPRIM_400000_NS6detail17trampoline_kernelINS0_14default_configENS1_35radix_sort_onesweep_config_selectorIhNS0_10empty_typeEEEZNS1_34radix_sort_onesweep_global_offsetsIS3_Lb0EPKhPS5_mNS0_19identity_decomposerEEE10hipError_tT1_T2_PT3_SF_jT4_jjP12ihipStream_tbEUlT_E_NS1_11comp_targetILNS1_3genE8ELNS1_11target_archE1030ELNS1_3gpuE2ELNS1_3repE0EEENS1_52radix_sort_onesweep_histogram_config_static_selectorELNS0_4arch9wavefront6targetE0EEEvSD_.has_indirect_call, 0
	.section	.AMDGPU.csdata,"",@progbits
; Kernel info:
; codeLenInByte = 0
; TotalNumSgprs: 0
; NumVgprs: 0
; ScratchSize: 0
; MemoryBound: 0
; FloatMode: 240
; IeeeMode: 1
; LDSByteSize: 0 bytes/workgroup (compile time only)
; SGPRBlocks: 0
; VGPRBlocks: 0
; NumSGPRsForWavesPerEU: 1
; NumVGPRsForWavesPerEU: 1
; NamedBarCnt: 0
; Occupancy: 16
; WaveLimiterHint : 0
; COMPUTE_PGM_RSRC2:SCRATCH_EN: 0
; COMPUTE_PGM_RSRC2:USER_SGPR: 2
; COMPUTE_PGM_RSRC2:TRAP_HANDLER: 0
; COMPUTE_PGM_RSRC2:TGID_X_EN: 1
; COMPUTE_PGM_RSRC2:TGID_Y_EN: 0
; COMPUTE_PGM_RSRC2:TGID_Z_EN: 0
; COMPUTE_PGM_RSRC2:TIDIG_COMP_CNT: 0
	.section	.text._ZN7rocprim17ROCPRIM_400000_NS6detail17trampoline_kernelINS0_14default_configENS1_35radix_sort_onesweep_config_selectorIhNS0_10empty_typeEEEZNS1_34radix_sort_onesweep_global_offsetsIS3_Lb0EPKhPS5_mNS0_19identity_decomposerEEE10hipError_tT1_T2_PT3_SF_jT4_jjP12ihipStream_tbEUlT_E0_NS1_11comp_targetILNS1_3genE0ELNS1_11target_archE4294967295ELNS1_3gpuE0ELNS1_3repE0EEENS1_52radix_sort_onesweep_histogram_config_static_selectorELNS0_4arch9wavefront6targetE0EEEvSD_,"axG",@progbits,_ZN7rocprim17ROCPRIM_400000_NS6detail17trampoline_kernelINS0_14default_configENS1_35radix_sort_onesweep_config_selectorIhNS0_10empty_typeEEEZNS1_34radix_sort_onesweep_global_offsetsIS3_Lb0EPKhPS5_mNS0_19identity_decomposerEEE10hipError_tT1_T2_PT3_SF_jT4_jjP12ihipStream_tbEUlT_E0_NS1_11comp_targetILNS1_3genE0ELNS1_11target_archE4294967295ELNS1_3gpuE0ELNS1_3repE0EEENS1_52radix_sort_onesweep_histogram_config_static_selectorELNS0_4arch9wavefront6targetE0EEEvSD_,comdat
	.protected	_ZN7rocprim17ROCPRIM_400000_NS6detail17trampoline_kernelINS0_14default_configENS1_35radix_sort_onesweep_config_selectorIhNS0_10empty_typeEEEZNS1_34radix_sort_onesweep_global_offsetsIS3_Lb0EPKhPS5_mNS0_19identity_decomposerEEE10hipError_tT1_T2_PT3_SF_jT4_jjP12ihipStream_tbEUlT_E0_NS1_11comp_targetILNS1_3genE0ELNS1_11target_archE4294967295ELNS1_3gpuE0ELNS1_3repE0EEENS1_52radix_sort_onesweep_histogram_config_static_selectorELNS0_4arch9wavefront6targetE0EEEvSD_ ; -- Begin function _ZN7rocprim17ROCPRIM_400000_NS6detail17trampoline_kernelINS0_14default_configENS1_35radix_sort_onesweep_config_selectorIhNS0_10empty_typeEEEZNS1_34radix_sort_onesweep_global_offsetsIS3_Lb0EPKhPS5_mNS0_19identity_decomposerEEE10hipError_tT1_T2_PT3_SF_jT4_jjP12ihipStream_tbEUlT_E0_NS1_11comp_targetILNS1_3genE0ELNS1_11target_archE4294967295ELNS1_3gpuE0ELNS1_3repE0EEENS1_52radix_sort_onesweep_histogram_config_static_selectorELNS0_4arch9wavefront6targetE0EEEvSD_
	.globl	_ZN7rocprim17ROCPRIM_400000_NS6detail17trampoline_kernelINS0_14default_configENS1_35radix_sort_onesweep_config_selectorIhNS0_10empty_typeEEEZNS1_34radix_sort_onesweep_global_offsetsIS3_Lb0EPKhPS5_mNS0_19identity_decomposerEEE10hipError_tT1_T2_PT3_SF_jT4_jjP12ihipStream_tbEUlT_E0_NS1_11comp_targetILNS1_3genE0ELNS1_11target_archE4294967295ELNS1_3gpuE0ELNS1_3repE0EEENS1_52radix_sort_onesweep_histogram_config_static_selectorELNS0_4arch9wavefront6targetE0EEEvSD_
	.p2align	8
	.type	_ZN7rocprim17ROCPRIM_400000_NS6detail17trampoline_kernelINS0_14default_configENS1_35radix_sort_onesweep_config_selectorIhNS0_10empty_typeEEEZNS1_34radix_sort_onesweep_global_offsetsIS3_Lb0EPKhPS5_mNS0_19identity_decomposerEEE10hipError_tT1_T2_PT3_SF_jT4_jjP12ihipStream_tbEUlT_E0_NS1_11comp_targetILNS1_3genE0ELNS1_11target_archE4294967295ELNS1_3gpuE0ELNS1_3repE0EEENS1_52radix_sort_onesweep_histogram_config_static_selectorELNS0_4arch9wavefront6targetE0EEEvSD_,@function
_ZN7rocprim17ROCPRIM_400000_NS6detail17trampoline_kernelINS0_14default_configENS1_35radix_sort_onesweep_config_selectorIhNS0_10empty_typeEEEZNS1_34radix_sort_onesweep_global_offsetsIS3_Lb0EPKhPS5_mNS0_19identity_decomposerEEE10hipError_tT1_T2_PT3_SF_jT4_jjP12ihipStream_tbEUlT_E0_NS1_11comp_targetILNS1_3genE0ELNS1_11target_archE4294967295ELNS1_3gpuE0ELNS1_3repE0EEENS1_52radix_sort_onesweep_histogram_config_static_selectorELNS0_4arch9wavefront6targetE0EEEvSD_: ; @_ZN7rocprim17ROCPRIM_400000_NS6detail17trampoline_kernelINS0_14default_configENS1_35radix_sort_onesweep_config_selectorIhNS0_10empty_typeEEEZNS1_34radix_sort_onesweep_global_offsetsIS3_Lb0EPKhPS5_mNS0_19identity_decomposerEEE10hipError_tT1_T2_PT3_SF_jT4_jjP12ihipStream_tbEUlT_E0_NS1_11comp_targetILNS1_3genE0ELNS1_11target_archE4294967295ELNS1_3gpuE0ELNS1_3repE0EEENS1_52radix_sort_onesweep_histogram_config_static_selectorELNS0_4arch9wavefront6targetE0EEEvSD_
; %bb.0:
	s_load_b64 s[0:1], s[0:1], 0x0
	s_bfe_u32 s2, ttmp6, 0x4000c
	s_and_b32 s3, ttmp6, 15
	s_add_co_i32 s2, s2, 1
	s_getreg_b32 s4, hwreg(HW_REG_IB_STS2, 6, 4)
	s_mul_i32 s2, ttmp9, s2
	v_cmp_gt_u32_e32 vcc_lo, 16, v0
	s_add_co_i32 s3, s3, s2
	s_cmp_eq_u32 s4, 0
                                        ; implicit-def: $vgpr2_vgpr3
	s_cselect_b32 s2, ttmp9, s3
	s_mov_b32 s3, 0
	s_lshl_b32 s2, s2, 4
	s_delay_alu instid0(SALU_CYCLE_1)
	s_lshl_b64 s[2:3], s[2:3], 3
	s_wait_kmcnt 0x0
	s_add_nc_u64 s[8:9], s[0:1], s[2:3]
	s_and_saveexec_b32 s0, vcc_lo
	s_cbranch_execz .LBB210_2
; %bb.1:
	global_load_b64 v[2:3], v0, s[8:9] scale_offset
.LBB210_2:
	s_wait_xcnt 0x0
	s_or_b32 exec_lo, exec_lo, s0
	v_mbcnt_lo_u32_b32 v1, -1, 0
	s_wait_loadcnt 0x0
	v_mov_b32_dpp v6, v2 row_shr:1 row_mask:0xf bank_mask:0xf
	v_mov_b32_dpp v9, v3 row_shr:1 row_mask:0xf bank_mask:0xf
	s_delay_alu instid0(VALU_DEP_3) | instskip(NEXT) | instid1(VALU_DEP_1)
	v_dual_mov_b32 v4, v2 :: v_dual_bitop2_b32 v10, 15, v1 bitop3:0x40
	v_cmp_ne_u32_e64 s0, 0, v10
	s_and_saveexec_b32 s1, s0
; %bb.3:
	v_mov_b32_e32 v8, 0
	s_delay_alu instid0(VALU_DEP_1) | instskip(NEXT) | instid1(VALU_DEP_1)
	v_mov_b32_e32 v7, v8
	v_add_nc_u64_e32 v[4:5], v[2:3], v[6:7]
	s_delay_alu instid0(VALU_DEP_1)
	v_add_nc_u64_e32 v[2:3], v[8:9], v[4:5]
; %bb.4:
	s_or_b32 exec_lo, exec_lo, s1
	v_mov_b32_dpp v6, v4 row_shr:2 row_mask:0xf bank_mask:0xf
	s_delay_alu instid0(VALU_DEP_2)
	v_mov_b32_dpp v9, v3 row_shr:2 row_mask:0xf bank_mask:0xf
	v_cmp_lt_u32_e64 s1, 1, v10
	s_and_saveexec_b32 s2, s1
; %bb.5:
	v_mov_b32_e32 v8, 0
	s_delay_alu instid0(VALU_DEP_1) | instskip(NEXT) | instid1(VALU_DEP_1)
	v_mov_b32_e32 v7, v8
	v_add_nc_u64_e32 v[4:5], v[2:3], v[6:7]
	s_delay_alu instid0(VALU_DEP_1)
	v_add_nc_u64_e32 v[2:3], v[8:9], v[4:5]
; %bb.6:
	s_or_b32 exec_lo, exec_lo, s2
	v_mov_b32_dpp v6, v4 row_shr:4 row_mask:0xf bank_mask:0xf
	s_delay_alu instid0(VALU_DEP_2)
	v_mov_b32_dpp v9, v3 row_shr:4 row_mask:0xf bank_mask:0xf
	v_cmp_lt_u32_e64 s2, 3, v10
	;; [unrolled: 14-line block ×3, first 2 shown]
	s_and_saveexec_b32 s4, s3
; %bb.9:
	v_mov_b32_e32 v8, 0
	s_delay_alu instid0(VALU_DEP_1) | instskip(NEXT) | instid1(VALU_DEP_1)
	v_mov_b32_e32 v7, v8
	v_add_nc_u64_e32 v[4:5], v[2:3], v[6:7]
	s_delay_alu instid0(VALU_DEP_1)
	v_add_nc_u64_e32 v[2:3], v[8:9], v[4:5]
; %bb.10:
	s_or_b32 exec_lo, exec_lo, s4
	ds_swizzle_b32 v4, v4 offset:swizzle(BROADCAST,32,15)
	ds_swizzle_b32 v7, v3 offset:swizzle(BROADCAST,32,15)
	v_and_b32_e32 v5, 16, v1
	s_delay_alu instid0(VALU_DEP_1)
	v_cmp_ne_u32_e64 s4, 0, v5
	s_and_saveexec_b32 s5, s4
	s_cbranch_execz .LBB210_12
; %bb.11:
	v_mov_b32_e32 v6, 0
	s_delay_alu instid0(VALU_DEP_1) | instskip(SKIP_1) | instid1(VALU_DEP_1)
	v_mov_b32_e32 v5, v6
	s_wait_dscnt 0x1
	v_add_nc_u64_e32 v[2:3], v[2:3], v[4:5]
	s_wait_dscnt 0x0
	s_delay_alu instid0(VALU_DEP_1)
	v_add_nc_u64_e32 v[2:3], v[2:3], v[6:7]
.LBB210_12:
	s_or_b32 exec_lo, exec_lo, s5
	s_wait_dscnt 0x1
	v_dual_lshrrev_b32 v12, 5, v0 :: v_dual_bitop2_b32 v4, 31, v0 bitop3:0x40
	s_mov_b32 s6, exec_lo
	s_delay_alu instid0(VALU_DEP_1)
	v_cmpx_eq_u32_e32 31, v4
; %bb.13:
	s_delay_alu instid0(VALU_DEP_2)
	v_lshlrev_b32_e32 v4, 3, v12
	ds_store_b64 v4, v[2:3]
; %bb.14:
	s_or_b32 exec_lo, exec_lo, s6
	v_cmp_lt_u32_e64 s5, 31, v0
	s_mov_b32 s7, exec_lo
	s_wait_dscnt 0x0
	s_barrier_signal -1
	s_barrier_wait -1
	v_cmpx_gt_u32_e32 32, v0
	s_cbranch_execz .LBB210_26
; %bb.15:
	v_lshlrev_b32_e32 v13, 3, v0
	ds_load_b64 v[4:5], v13
	s_wait_dscnt 0x0
	v_mov_b32_dpp v8, v4 row_shr:1 row_mask:0xf bank_mask:0xf
	v_mov_b32_dpp v11, v5 row_shr:1 row_mask:0xf bank_mask:0xf
	v_mov_b32_e32 v6, v4
	s_and_saveexec_b32 s6, s0
; %bb.16:
	v_mov_b32_e32 v10, 0
	s_delay_alu instid0(VALU_DEP_1) | instskip(NEXT) | instid1(VALU_DEP_1)
	v_mov_b32_e32 v9, v10
	v_add_nc_u64_e32 v[6:7], v[4:5], v[8:9]
	s_delay_alu instid0(VALU_DEP_1)
	v_add_nc_u64_e32 v[4:5], v[10:11], v[6:7]
; %bb.17:
	s_or_b32 exec_lo, exec_lo, s6
	v_mov_b32_dpp v8, v6 row_shr:2 row_mask:0xf bank_mask:0xf
	s_delay_alu instid0(VALU_DEP_2)
	v_mov_b32_dpp v11, v5 row_shr:2 row_mask:0xf bank_mask:0xf
	s_and_saveexec_b32 s0, s1
; %bb.18:
	v_mov_b32_e32 v10, 0
	s_delay_alu instid0(VALU_DEP_1) | instskip(NEXT) | instid1(VALU_DEP_1)
	v_mov_b32_e32 v9, v10
	v_add_nc_u64_e32 v[6:7], v[4:5], v[8:9]
	s_delay_alu instid0(VALU_DEP_1)
	v_add_nc_u64_e32 v[4:5], v[10:11], v[6:7]
; %bb.19:
	s_or_b32 exec_lo, exec_lo, s0
	v_mov_b32_dpp v8, v6 row_shr:4 row_mask:0xf bank_mask:0xf
	s_delay_alu instid0(VALU_DEP_2)
	v_mov_b32_dpp v11, v5 row_shr:4 row_mask:0xf bank_mask:0xf
	;; [unrolled: 13-line block ×3, first 2 shown]
	s_and_saveexec_b32 s0, s3
; %bb.22:
	v_mov_b32_e32 v10, 0
	s_delay_alu instid0(VALU_DEP_1) | instskip(NEXT) | instid1(VALU_DEP_1)
	v_mov_b32_e32 v9, v10
	v_add_nc_u64_e32 v[6:7], v[4:5], v[8:9]
	s_delay_alu instid0(VALU_DEP_1)
	v_add_nc_u64_e32 v[4:5], v[10:11], v[6:7]
; %bb.23:
	s_or_b32 exec_lo, exec_lo, s0
	ds_swizzle_b32 v6, v6 offset:swizzle(BROADCAST,32,15)
	ds_swizzle_b32 v9, v5 offset:swizzle(BROADCAST,32,15)
	s_and_saveexec_b32 s0, s4
	s_cbranch_execz .LBB210_25
; %bb.24:
	v_mov_b32_e32 v8, 0
	s_delay_alu instid0(VALU_DEP_1) | instskip(SKIP_1) | instid1(VALU_DEP_1)
	v_mov_b32_e32 v7, v8
	s_wait_dscnt 0x1
	v_add_nc_u64_e32 v[4:5], v[4:5], v[6:7]
	s_wait_dscnt 0x0
	s_delay_alu instid0(VALU_DEP_1)
	v_add_nc_u64_e32 v[4:5], v[4:5], v[8:9]
.LBB210_25:
	s_or_b32 exec_lo, exec_lo, s0
	ds_store_b64 v13, v[4:5]
.LBB210_26:
	s_or_b32 exec_lo, exec_lo, s7
	v_mov_b64_e32 v[4:5], 0
	s_wait_dscnt 0x0
	s_barrier_signal -1
	s_barrier_wait -1
	s_and_saveexec_b32 s0, s5
; %bb.27:
	v_lshl_add_u32 v4, v12, 3, -8
	ds_load_b64 v[4:5], v4
; %bb.28:
	s_or_b32 exec_lo, exec_lo, s0
	v_add_nc_u32_e32 v6, -1, v1
	s_wait_dscnt 0x0
	v_add_nc_u64_e32 v[2:3], v[4:5], v[2:3]
	s_delay_alu instid0(VALU_DEP_2) | instskip(NEXT) | instid1(VALU_DEP_1)
	v_cmp_gt_i32_e64 s0, 0, v6
	v_cndmask_b32_e64 v6, v6, v1, s0
	s_delay_alu instid0(VALU_DEP_1)
	v_lshlrev_b32_e32 v6, 2, v6
	ds_bpermute_b32 v2, v6, v2
	ds_bpermute_b32 v3, v6, v3
	s_and_saveexec_b32 s0, vcc_lo
	s_cbranch_execz .LBB210_30
; %bb.29:
	v_cmp_eq_u32_e32 vcc_lo, 0, v1
	s_wait_dscnt 0x0
	v_dual_cndmask_b32 v3, v3, v5 :: v_dual_cndmask_b32 v2, v2, v4
	global_store_b64 v0, v[2:3], s[8:9] scale_offset
.LBB210_30:
	s_endpgm
	.section	.rodata,"a",@progbits
	.p2align	6, 0x0
	.amdhsa_kernel _ZN7rocprim17ROCPRIM_400000_NS6detail17trampoline_kernelINS0_14default_configENS1_35radix_sort_onesweep_config_selectorIhNS0_10empty_typeEEEZNS1_34radix_sort_onesweep_global_offsetsIS3_Lb0EPKhPS5_mNS0_19identity_decomposerEEE10hipError_tT1_T2_PT3_SF_jT4_jjP12ihipStream_tbEUlT_E0_NS1_11comp_targetILNS1_3genE0ELNS1_11target_archE4294967295ELNS1_3gpuE0ELNS1_3repE0EEENS1_52radix_sort_onesweep_histogram_config_static_selectorELNS0_4arch9wavefront6targetE0EEEvSD_
		.amdhsa_group_segment_fixed_size 256
		.amdhsa_private_segment_fixed_size 0
		.amdhsa_kernarg_size 8
		.amdhsa_user_sgpr_count 2
		.amdhsa_user_sgpr_dispatch_ptr 0
		.amdhsa_user_sgpr_queue_ptr 0
		.amdhsa_user_sgpr_kernarg_segment_ptr 1
		.amdhsa_user_sgpr_dispatch_id 0
		.amdhsa_user_sgpr_kernarg_preload_length 0
		.amdhsa_user_sgpr_kernarg_preload_offset 0
		.amdhsa_user_sgpr_private_segment_size 0
		.amdhsa_wavefront_size32 1
		.amdhsa_uses_dynamic_stack 0
		.amdhsa_enable_private_segment 0
		.amdhsa_system_sgpr_workgroup_id_x 1
		.amdhsa_system_sgpr_workgroup_id_y 0
		.amdhsa_system_sgpr_workgroup_id_z 0
		.amdhsa_system_sgpr_workgroup_info 0
		.amdhsa_system_vgpr_workitem_id 0
		.amdhsa_next_free_vgpr 14
		.amdhsa_next_free_sgpr 10
		.amdhsa_named_barrier_count 0
		.amdhsa_reserve_vcc 1
		.amdhsa_float_round_mode_32 0
		.amdhsa_float_round_mode_16_64 0
		.amdhsa_float_denorm_mode_32 3
		.amdhsa_float_denorm_mode_16_64 3
		.amdhsa_fp16_overflow 0
		.amdhsa_memory_ordered 1
		.amdhsa_forward_progress 1
		.amdhsa_inst_pref_size 8
		.amdhsa_round_robin_scheduling 0
		.amdhsa_exception_fp_ieee_invalid_op 0
		.amdhsa_exception_fp_denorm_src 0
		.amdhsa_exception_fp_ieee_div_zero 0
		.amdhsa_exception_fp_ieee_overflow 0
		.amdhsa_exception_fp_ieee_underflow 0
		.amdhsa_exception_fp_ieee_inexact 0
		.amdhsa_exception_int_div_zero 0
	.end_amdhsa_kernel
	.section	.text._ZN7rocprim17ROCPRIM_400000_NS6detail17trampoline_kernelINS0_14default_configENS1_35radix_sort_onesweep_config_selectorIhNS0_10empty_typeEEEZNS1_34radix_sort_onesweep_global_offsetsIS3_Lb0EPKhPS5_mNS0_19identity_decomposerEEE10hipError_tT1_T2_PT3_SF_jT4_jjP12ihipStream_tbEUlT_E0_NS1_11comp_targetILNS1_3genE0ELNS1_11target_archE4294967295ELNS1_3gpuE0ELNS1_3repE0EEENS1_52radix_sort_onesweep_histogram_config_static_selectorELNS0_4arch9wavefront6targetE0EEEvSD_,"axG",@progbits,_ZN7rocprim17ROCPRIM_400000_NS6detail17trampoline_kernelINS0_14default_configENS1_35radix_sort_onesweep_config_selectorIhNS0_10empty_typeEEEZNS1_34radix_sort_onesweep_global_offsetsIS3_Lb0EPKhPS5_mNS0_19identity_decomposerEEE10hipError_tT1_T2_PT3_SF_jT4_jjP12ihipStream_tbEUlT_E0_NS1_11comp_targetILNS1_3genE0ELNS1_11target_archE4294967295ELNS1_3gpuE0ELNS1_3repE0EEENS1_52radix_sort_onesweep_histogram_config_static_selectorELNS0_4arch9wavefront6targetE0EEEvSD_,comdat
.Lfunc_end210:
	.size	_ZN7rocprim17ROCPRIM_400000_NS6detail17trampoline_kernelINS0_14default_configENS1_35radix_sort_onesweep_config_selectorIhNS0_10empty_typeEEEZNS1_34radix_sort_onesweep_global_offsetsIS3_Lb0EPKhPS5_mNS0_19identity_decomposerEEE10hipError_tT1_T2_PT3_SF_jT4_jjP12ihipStream_tbEUlT_E0_NS1_11comp_targetILNS1_3genE0ELNS1_11target_archE4294967295ELNS1_3gpuE0ELNS1_3repE0EEENS1_52radix_sort_onesweep_histogram_config_static_selectorELNS0_4arch9wavefront6targetE0EEEvSD_, .Lfunc_end210-_ZN7rocprim17ROCPRIM_400000_NS6detail17trampoline_kernelINS0_14default_configENS1_35radix_sort_onesweep_config_selectorIhNS0_10empty_typeEEEZNS1_34radix_sort_onesweep_global_offsetsIS3_Lb0EPKhPS5_mNS0_19identity_decomposerEEE10hipError_tT1_T2_PT3_SF_jT4_jjP12ihipStream_tbEUlT_E0_NS1_11comp_targetILNS1_3genE0ELNS1_11target_archE4294967295ELNS1_3gpuE0ELNS1_3repE0EEENS1_52radix_sort_onesweep_histogram_config_static_selectorELNS0_4arch9wavefront6targetE0EEEvSD_
                                        ; -- End function
	.set _ZN7rocprim17ROCPRIM_400000_NS6detail17trampoline_kernelINS0_14default_configENS1_35radix_sort_onesweep_config_selectorIhNS0_10empty_typeEEEZNS1_34radix_sort_onesweep_global_offsetsIS3_Lb0EPKhPS5_mNS0_19identity_decomposerEEE10hipError_tT1_T2_PT3_SF_jT4_jjP12ihipStream_tbEUlT_E0_NS1_11comp_targetILNS1_3genE0ELNS1_11target_archE4294967295ELNS1_3gpuE0ELNS1_3repE0EEENS1_52radix_sort_onesweep_histogram_config_static_selectorELNS0_4arch9wavefront6targetE0EEEvSD_.num_vgpr, 14
	.set _ZN7rocprim17ROCPRIM_400000_NS6detail17trampoline_kernelINS0_14default_configENS1_35radix_sort_onesweep_config_selectorIhNS0_10empty_typeEEEZNS1_34radix_sort_onesweep_global_offsetsIS3_Lb0EPKhPS5_mNS0_19identity_decomposerEEE10hipError_tT1_T2_PT3_SF_jT4_jjP12ihipStream_tbEUlT_E0_NS1_11comp_targetILNS1_3genE0ELNS1_11target_archE4294967295ELNS1_3gpuE0ELNS1_3repE0EEENS1_52radix_sort_onesweep_histogram_config_static_selectorELNS0_4arch9wavefront6targetE0EEEvSD_.num_agpr, 0
	.set _ZN7rocprim17ROCPRIM_400000_NS6detail17trampoline_kernelINS0_14default_configENS1_35radix_sort_onesweep_config_selectorIhNS0_10empty_typeEEEZNS1_34radix_sort_onesweep_global_offsetsIS3_Lb0EPKhPS5_mNS0_19identity_decomposerEEE10hipError_tT1_T2_PT3_SF_jT4_jjP12ihipStream_tbEUlT_E0_NS1_11comp_targetILNS1_3genE0ELNS1_11target_archE4294967295ELNS1_3gpuE0ELNS1_3repE0EEENS1_52radix_sort_onesweep_histogram_config_static_selectorELNS0_4arch9wavefront6targetE0EEEvSD_.numbered_sgpr, 10
	.set _ZN7rocprim17ROCPRIM_400000_NS6detail17trampoline_kernelINS0_14default_configENS1_35radix_sort_onesweep_config_selectorIhNS0_10empty_typeEEEZNS1_34radix_sort_onesweep_global_offsetsIS3_Lb0EPKhPS5_mNS0_19identity_decomposerEEE10hipError_tT1_T2_PT3_SF_jT4_jjP12ihipStream_tbEUlT_E0_NS1_11comp_targetILNS1_3genE0ELNS1_11target_archE4294967295ELNS1_3gpuE0ELNS1_3repE0EEENS1_52radix_sort_onesweep_histogram_config_static_selectorELNS0_4arch9wavefront6targetE0EEEvSD_.num_named_barrier, 0
	.set _ZN7rocprim17ROCPRIM_400000_NS6detail17trampoline_kernelINS0_14default_configENS1_35radix_sort_onesweep_config_selectorIhNS0_10empty_typeEEEZNS1_34radix_sort_onesweep_global_offsetsIS3_Lb0EPKhPS5_mNS0_19identity_decomposerEEE10hipError_tT1_T2_PT3_SF_jT4_jjP12ihipStream_tbEUlT_E0_NS1_11comp_targetILNS1_3genE0ELNS1_11target_archE4294967295ELNS1_3gpuE0ELNS1_3repE0EEENS1_52radix_sort_onesweep_histogram_config_static_selectorELNS0_4arch9wavefront6targetE0EEEvSD_.private_seg_size, 0
	.set _ZN7rocprim17ROCPRIM_400000_NS6detail17trampoline_kernelINS0_14default_configENS1_35radix_sort_onesweep_config_selectorIhNS0_10empty_typeEEEZNS1_34radix_sort_onesweep_global_offsetsIS3_Lb0EPKhPS5_mNS0_19identity_decomposerEEE10hipError_tT1_T2_PT3_SF_jT4_jjP12ihipStream_tbEUlT_E0_NS1_11comp_targetILNS1_3genE0ELNS1_11target_archE4294967295ELNS1_3gpuE0ELNS1_3repE0EEENS1_52radix_sort_onesweep_histogram_config_static_selectorELNS0_4arch9wavefront6targetE0EEEvSD_.uses_vcc, 1
	.set _ZN7rocprim17ROCPRIM_400000_NS6detail17trampoline_kernelINS0_14default_configENS1_35radix_sort_onesweep_config_selectorIhNS0_10empty_typeEEEZNS1_34radix_sort_onesweep_global_offsetsIS3_Lb0EPKhPS5_mNS0_19identity_decomposerEEE10hipError_tT1_T2_PT3_SF_jT4_jjP12ihipStream_tbEUlT_E0_NS1_11comp_targetILNS1_3genE0ELNS1_11target_archE4294967295ELNS1_3gpuE0ELNS1_3repE0EEENS1_52radix_sort_onesweep_histogram_config_static_selectorELNS0_4arch9wavefront6targetE0EEEvSD_.uses_flat_scratch, 0
	.set _ZN7rocprim17ROCPRIM_400000_NS6detail17trampoline_kernelINS0_14default_configENS1_35radix_sort_onesweep_config_selectorIhNS0_10empty_typeEEEZNS1_34radix_sort_onesweep_global_offsetsIS3_Lb0EPKhPS5_mNS0_19identity_decomposerEEE10hipError_tT1_T2_PT3_SF_jT4_jjP12ihipStream_tbEUlT_E0_NS1_11comp_targetILNS1_3genE0ELNS1_11target_archE4294967295ELNS1_3gpuE0ELNS1_3repE0EEENS1_52radix_sort_onesweep_histogram_config_static_selectorELNS0_4arch9wavefront6targetE0EEEvSD_.has_dyn_sized_stack, 0
	.set _ZN7rocprim17ROCPRIM_400000_NS6detail17trampoline_kernelINS0_14default_configENS1_35radix_sort_onesweep_config_selectorIhNS0_10empty_typeEEEZNS1_34radix_sort_onesweep_global_offsetsIS3_Lb0EPKhPS5_mNS0_19identity_decomposerEEE10hipError_tT1_T2_PT3_SF_jT4_jjP12ihipStream_tbEUlT_E0_NS1_11comp_targetILNS1_3genE0ELNS1_11target_archE4294967295ELNS1_3gpuE0ELNS1_3repE0EEENS1_52radix_sort_onesweep_histogram_config_static_selectorELNS0_4arch9wavefront6targetE0EEEvSD_.has_recursion, 0
	.set _ZN7rocprim17ROCPRIM_400000_NS6detail17trampoline_kernelINS0_14default_configENS1_35radix_sort_onesweep_config_selectorIhNS0_10empty_typeEEEZNS1_34radix_sort_onesweep_global_offsetsIS3_Lb0EPKhPS5_mNS0_19identity_decomposerEEE10hipError_tT1_T2_PT3_SF_jT4_jjP12ihipStream_tbEUlT_E0_NS1_11comp_targetILNS1_3genE0ELNS1_11target_archE4294967295ELNS1_3gpuE0ELNS1_3repE0EEENS1_52radix_sort_onesweep_histogram_config_static_selectorELNS0_4arch9wavefront6targetE0EEEvSD_.has_indirect_call, 0
	.section	.AMDGPU.csdata,"",@progbits
; Kernel info:
; codeLenInByte = 952
; TotalNumSgprs: 12
; NumVgprs: 14
; ScratchSize: 0
; MemoryBound: 0
; FloatMode: 240
; IeeeMode: 1
; LDSByteSize: 256 bytes/workgroup (compile time only)
; SGPRBlocks: 0
; VGPRBlocks: 0
; NumSGPRsForWavesPerEU: 12
; NumVGPRsForWavesPerEU: 14
; NamedBarCnt: 0
; Occupancy: 16
; WaveLimiterHint : 0
; COMPUTE_PGM_RSRC2:SCRATCH_EN: 0
; COMPUTE_PGM_RSRC2:USER_SGPR: 2
; COMPUTE_PGM_RSRC2:TRAP_HANDLER: 0
; COMPUTE_PGM_RSRC2:TGID_X_EN: 1
; COMPUTE_PGM_RSRC2:TGID_Y_EN: 0
; COMPUTE_PGM_RSRC2:TGID_Z_EN: 0
; COMPUTE_PGM_RSRC2:TIDIG_COMP_CNT: 0
	.section	.text._ZN7rocprim17ROCPRIM_400000_NS6detail17trampoline_kernelINS0_14default_configENS1_35radix_sort_onesweep_config_selectorIhNS0_10empty_typeEEEZNS1_34radix_sort_onesweep_global_offsetsIS3_Lb0EPKhPS5_mNS0_19identity_decomposerEEE10hipError_tT1_T2_PT3_SF_jT4_jjP12ihipStream_tbEUlT_E0_NS1_11comp_targetILNS1_3genE6ELNS1_11target_archE950ELNS1_3gpuE13ELNS1_3repE0EEENS1_52radix_sort_onesweep_histogram_config_static_selectorELNS0_4arch9wavefront6targetE0EEEvSD_,"axG",@progbits,_ZN7rocprim17ROCPRIM_400000_NS6detail17trampoline_kernelINS0_14default_configENS1_35radix_sort_onesweep_config_selectorIhNS0_10empty_typeEEEZNS1_34radix_sort_onesweep_global_offsetsIS3_Lb0EPKhPS5_mNS0_19identity_decomposerEEE10hipError_tT1_T2_PT3_SF_jT4_jjP12ihipStream_tbEUlT_E0_NS1_11comp_targetILNS1_3genE6ELNS1_11target_archE950ELNS1_3gpuE13ELNS1_3repE0EEENS1_52radix_sort_onesweep_histogram_config_static_selectorELNS0_4arch9wavefront6targetE0EEEvSD_,comdat
	.protected	_ZN7rocprim17ROCPRIM_400000_NS6detail17trampoline_kernelINS0_14default_configENS1_35radix_sort_onesweep_config_selectorIhNS0_10empty_typeEEEZNS1_34radix_sort_onesweep_global_offsetsIS3_Lb0EPKhPS5_mNS0_19identity_decomposerEEE10hipError_tT1_T2_PT3_SF_jT4_jjP12ihipStream_tbEUlT_E0_NS1_11comp_targetILNS1_3genE6ELNS1_11target_archE950ELNS1_3gpuE13ELNS1_3repE0EEENS1_52radix_sort_onesweep_histogram_config_static_selectorELNS0_4arch9wavefront6targetE0EEEvSD_ ; -- Begin function _ZN7rocprim17ROCPRIM_400000_NS6detail17trampoline_kernelINS0_14default_configENS1_35radix_sort_onesweep_config_selectorIhNS0_10empty_typeEEEZNS1_34radix_sort_onesweep_global_offsetsIS3_Lb0EPKhPS5_mNS0_19identity_decomposerEEE10hipError_tT1_T2_PT3_SF_jT4_jjP12ihipStream_tbEUlT_E0_NS1_11comp_targetILNS1_3genE6ELNS1_11target_archE950ELNS1_3gpuE13ELNS1_3repE0EEENS1_52radix_sort_onesweep_histogram_config_static_selectorELNS0_4arch9wavefront6targetE0EEEvSD_
	.globl	_ZN7rocprim17ROCPRIM_400000_NS6detail17trampoline_kernelINS0_14default_configENS1_35radix_sort_onesweep_config_selectorIhNS0_10empty_typeEEEZNS1_34radix_sort_onesweep_global_offsetsIS3_Lb0EPKhPS5_mNS0_19identity_decomposerEEE10hipError_tT1_T2_PT3_SF_jT4_jjP12ihipStream_tbEUlT_E0_NS1_11comp_targetILNS1_3genE6ELNS1_11target_archE950ELNS1_3gpuE13ELNS1_3repE0EEENS1_52radix_sort_onesweep_histogram_config_static_selectorELNS0_4arch9wavefront6targetE0EEEvSD_
	.p2align	8
	.type	_ZN7rocprim17ROCPRIM_400000_NS6detail17trampoline_kernelINS0_14default_configENS1_35radix_sort_onesweep_config_selectorIhNS0_10empty_typeEEEZNS1_34radix_sort_onesweep_global_offsetsIS3_Lb0EPKhPS5_mNS0_19identity_decomposerEEE10hipError_tT1_T2_PT3_SF_jT4_jjP12ihipStream_tbEUlT_E0_NS1_11comp_targetILNS1_3genE6ELNS1_11target_archE950ELNS1_3gpuE13ELNS1_3repE0EEENS1_52radix_sort_onesweep_histogram_config_static_selectorELNS0_4arch9wavefront6targetE0EEEvSD_,@function
_ZN7rocprim17ROCPRIM_400000_NS6detail17trampoline_kernelINS0_14default_configENS1_35radix_sort_onesweep_config_selectorIhNS0_10empty_typeEEEZNS1_34radix_sort_onesweep_global_offsetsIS3_Lb0EPKhPS5_mNS0_19identity_decomposerEEE10hipError_tT1_T2_PT3_SF_jT4_jjP12ihipStream_tbEUlT_E0_NS1_11comp_targetILNS1_3genE6ELNS1_11target_archE950ELNS1_3gpuE13ELNS1_3repE0EEENS1_52radix_sort_onesweep_histogram_config_static_selectorELNS0_4arch9wavefront6targetE0EEEvSD_: ; @_ZN7rocprim17ROCPRIM_400000_NS6detail17trampoline_kernelINS0_14default_configENS1_35radix_sort_onesweep_config_selectorIhNS0_10empty_typeEEEZNS1_34radix_sort_onesweep_global_offsetsIS3_Lb0EPKhPS5_mNS0_19identity_decomposerEEE10hipError_tT1_T2_PT3_SF_jT4_jjP12ihipStream_tbEUlT_E0_NS1_11comp_targetILNS1_3genE6ELNS1_11target_archE950ELNS1_3gpuE13ELNS1_3repE0EEENS1_52radix_sort_onesweep_histogram_config_static_selectorELNS0_4arch9wavefront6targetE0EEEvSD_
; %bb.0:
	.section	.rodata,"a",@progbits
	.p2align	6, 0x0
	.amdhsa_kernel _ZN7rocprim17ROCPRIM_400000_NS6detail17trampoline_kernelINS0_14default_configENS1_35radix_sort_onesweep_config_selectorIhNS0_10empty_typeEEEZNS1_34radix_sort_onesweep_global_offsetsIS3_Lb0EPKhPS5_mNS0_19identity_decomposerEEE10hipError_tT1_T2_PT3_SF_jT4_jjP12ihipStream_tbEUlT_E0_NS1_11comp_targetILNS1_3genE6ELNS1_11target_archE950ELNS1_3gpuE13ELNS1_3repE0EEENS1_52radix_sort_onesweep_histogram_config_static_selectorELNS0_4arch9wavefront6targetE0EEEvSD_
		.amdhsa_group_segment_fixed_size 0
		.amdhsa_private_segment_fixed_size 0
		.amdhsa_kernarg_size 8
		.amdhsa_user_sgpr_count 2
		.amdhsa_user_sgpr_dispatch_ptr 0
		.amdhsa_user_sgpr_queue_ptr 0
		.amdhsa_user_sgpr_kernarg_segment_ptr 1
		.amdhsa_user_sgpr_dispatch_id 0
		.amdhsa_user_sgpr_kernarg_preload_length 0
		.amdhsa_user_sgpr_kernarg_preload_offset 0
		.amdhsa_user_sgpr_private_segment_size 0
		.amdhsa_wavefront_size32 1
		.amdhsa_uses_dynamic_stack 0
		.amdhsa_enable_private_segment 0
		.amdhsa_system_sgpr_workgroup_id_x 1
		.amdhsa_system_sgpr_workgroup_id_y 0
		.amdhsa_system_sgpr_workgroup_id_z 0
		.amdhsa_system_sgpr_workgroup_info 0
		.amdhsa_system_vgpr_workitem_id 0
		.amdhsa_next_free_vgpr 1
		.amdhsa_next_free_sgpr 1
		.amdhsa_named_barrier_count 0
		.amdhsa_reserve_vcc 0
		.amdhsa_float_round_mode_32 0
		.amdhsa_float_round_mode_16_64 0
		.amdhsa_float_denorm_mode_32 3
		.amdhsa_float_denorm_mode_16_64 3
		.amdhsa_fp16_overflow 0
		.amdhsa_memory_ordered 1
		.amdhsa_forward_progress 1
		.amdhsa_inst_pref_size 0
		.amdhsa_round_robin_scheduling 0
		.amdhsa_exception_fp_ieee_invalid_op 0
		.amdhsa_exception_fp_denorm_src 0
		.amdhsa_exception_fp_ieee_div_zero 0
		.amdhsa_exception_fp_ieee_overflow 0
		.amdhsa_exception_fp_ieee_underflow 0
		.amdhsa_exception_fp_ieee_inexact 0
		.amdhsa_exception_int_div_zero 0
	.end_amdhsa_kernel
	.section	.text._ZN7rocprim17ROCPRIM_400000_NS6detail17trampoline_kernelINS0_14default_configENS1_35radix_sort_onesweep_config_selectorIhNS0_10empty_typeEEEZNS1_34radix_sort_onesweep_global_offsetsIS3_Lb0EPKhPS5_mNS0_19identity_decomposerEEE10hipError_tT1_T2_PT3_SF_jT4_jjP12ihipStream_tbEUlT_E0_NS1_11comp_targetILNS1_3genE6ELNS1_11target_archE950ELNS1_3gpuE13ELNS1_3repE0EEENS1_52radix_sort_onesweep_histogram_config_static_selectorELNS0_4arch9wavefront6targetE0EEEvSD_,"axG",@progbits,_ZN7rocprim17ROCPRIM_400000_NS6detail17trampoline_kernelINS0_14default_configENS1_35radix_sort_onesweep_config_selectorIhNS0_10empty_typeEEEZNS1_34radix_sort_onesweep_global_offsetsIS3_Lb0EPKhPS5_mNS0_19identity_decomposerEEE10hipError_tT1_T2_PT3_SF_jT4_jjP12ihipStream_tbEUlT_E0_NS1_11comp_targetILNS1_3genE6ELNS1_11target_archE950ELNS1_3gpuE13ELNS1_3repE0EEENS1_52radix_sort_onesweep_histogram_config_static_selectorELNS0_4arch9wavefront6targetE0EEEvSD_,comdat
.Lfunc_end211:
	.size	_ZN7rocprim17ROCPRIM_400000_NS6detail17trampoline_kernelINS0_14default_configENS1_35radix_sort_onesweep_config_selectorIhNS0_10empty_typeEEEZNS1_34radix_sort_onesweep_global_offsetsIS3_Lb0EPKhPS5_mNS0_19identity_decomposerEEE10hipError_tT1_T2_PT3_SF_jT4_jjP12ihipStream_tbEUlT_E0_NS1_11comp_targetILNS1_3genE6ELNS1_11target_archE950ELNS1_3gpuE13ELNS1_3repE0EEENS1_52radix_sort_onesweep_histogram_config_static_selectorELNS0_4arch9wavefront6targetE0EEEvSD_, .Lfunc_end211-_ZN7rocprim17ROCPRIM_400000_NS6detail17trampoline_kernelINS0_14default_configENS1_35radix_sort_onesweep_config_selectorIhNS0_10empty_typeEEEZNS1_34radix_sort_onesweep_global_offsetsIS3_Lb0EPKhPS5_mNS0_19identity_decomposerEEE10hipError_tT1_T2_PT3_SF_jT4_jjP12ihipStream_tbEUlT_E0_NS1_11comp_targetILNS1_3genE6ELNS1_11target_archE950ELNS1_3gpuE13ELNS1_3repE0EEENS1_52radix_sort_onesweep_histogram_config_static_selectorELNS0_4arch9wavefront6targetE0EEEvSD_
                                        ; -- End function
	.set _ZN7rocprim17ROCPRIM_400000_NS6detail17trampoline_kernelINS0_14default_configENS1_35radix_sort_onesweep_config_selectorIhNS0_10empty_typeEEEZNS1_34radix_sort_onesweep_global_offsetsIS3_Lb0EPKhPS5_mNS0_19identity_decomposerEEE10hipError_tT1_T2_PT3_SF_jT4_jjP12ihipStream_tbEUlT_E0_NS1_11comp_targetILNS1_3genE6ELNS1_11target_archE950ELNS1_3gpuE13ELNS1_3repE0EEENS1_52radix_sort_onesweep_histogram_config_static_selectorELNS0_4arch9wavefront6targetE0EEEvSD_.num_vgpr, 0
	.set _ZN7rocprim17ROCPRIM_400000_NS6detail17trampoline_kernelINS0_14default_configENS1_35radix_sort_onesweep_config_selectorIhNS0_10empty_typeEEEZNS1_34radix_sort_onesweep_global_offsetsIS3_Lb0EPKhPS5_mNS0_19identity_decomposerEEE10hipError_tT1_T2_PT3_SF_jT4_jjP12ihipStream_tbEUlT_E0_NS1_11comp_targetILNS1_3genE6ELNS1_11target_archE950ELNS1_3gpuE13ELNS1_3repE0EEENS1_52radix_sort_onesweep_histogram_config_static_selectorELNS0_4arch9wavefront6targetE0EEEvSD_.num_agpr, 0
	.set _ZN7rocprim17ROCPRIM_400000_NS6detail17trampoline_kernelINS0_14default_configENS1_35radix_sort_onesweep_config_selectorIhNS0_10empty_typeEEEZNS1_34radix_sort_onesweep_global_offsetsIS3_Lb0EPKhPS5_mNS0_19identity_decomposerEEE10hipError_tT1_T2_PT3_SF_jT4_jjP12ihipStream_tbEUlT_E0_NS1_11comp_targetILNS1_3genE6ELNS1_11target_archE950ELNS1_3gpuE13ELNS1_3repE0EEENS1_52radix_sort_onesweep_histogram_config_static_selectorELNS0_4arch9wavefront6targetE0EEEvSD_.numbered_sgpr, 0
	.set _ZN7rocprim17ROCPRIM_400000_NS6detail17trampoline_kernelINS0_14default_configENS1_35radix_sort_onesweep_config_selectorIhNS0_10empty_typeEEEZNS1_34radix_sort_onesweep_global_offsetsIS3_Lb0EPKhPS5_mNS0_19identity_decomposerEEE10hipError_tT1_T2_PT3_SF_jT4_jjP12ihipStream_tbEUlT_E0_NS1_11comp_targetILNS1_3genE6ELNS1_11target_archE950ELNS1_3gpuE13ELNS1_3repE0EEENS1_52radix_sort_onesweep_histogram_config_static_selectorELNS0_4arch9wavefront6targetE0EEEvSD_.num_named_barrier, 0
	.set _ZN7rocprim17ROCPRIM_400000_NS6detail17trampoline_kernelINS0_14default_configENS1_35radix_sort_onesweep_config_selectorIhNS0_10empty_typeEEEZNS1_34radix_sort_onesweep_global_offsetsIS3_Lb0EPKhPS5_mNS0_19identity_decomposerEEE10hipError_tT1_T2_PT3_SF_jT4_jjP12ihipStream_tbEUlT_E0_NS1_11comp_targetILNS1_3genE6ELNS1_11target_archE950ELNS1_3gpuE13ELNS1_3repE0EEENS1_52radix_sort_onesweep_histogram_config_static_selectorELNS0_4arch9wavefront6targetE0EEEvSD_.private_seg_size, 0
	.set _ZN7rocprim17ROCPRIM_400000_NS6detail17trampoline_kernelINS0_14default_configENS1_35radix_sort_onesweep_config_selectorIhNS0_10empty_typeEEEZNS1_34radix_sort_onesweep_global_offsetsIS3_Lb0EPKhPS5_mNS0_19identity_decomposerEEE10hipError_tT1_T2_PT3_SF_jT4_jjP12ihipStream_tbEUlT_E0_NS1_11comp_targetILNS1_3genE6ELNS1_11target_archE950ELNS1_3gpuE13ELNS1_3repE0EEENS1_52radix_sort_onesweep_histogram_config_static_selectorELNS0_4arch9wavefront6targetE0EEEvSD_.uses_vcc, 0
	.set _ZN7rocprim17ROCPRIM_400000_NS6detail17trampoline_kernelINS0_14default_configENS1_35radix_sort_onesweep_config_selectorIhNS0_10empty_typeEEEZNS1_34radix_sort_onesweep_global_offsetsIS3_Lb0EPKhPS5_mNS0_19identity_decomposerEEE10hipError_tT1_T2_PT3_SF_jT4_jjP12ihipStream_tbEUlT_E0_NS1_11comp_targetILNS1_3genE6ELNS1_11target_archE950ELNS1_3gpuE13ELNS1_3repE0EEENS1_52radix_sort_onesweep_histogram_config_static_selectorELNS0_4arch9wavefront6targetE0EEEvSD_.uses_flat_scratch, 0
	.set _ZN7rocprim17ROCPRIM_400000_NS6detail17trampoline_kernelINS0_14default_configENS1_35radix_sort_onesweep_config_selectorIhNS0_10empty_typeEEEZNS1_34radix_sort_onesweep_global_offsetsIS3_Lb0EPKhPS5_mNS0_19identity_decomposerEEE10hipError_tT1_T2_PT3_SF_jT4_jjP12ihipStream_tbEUlT_E0_NS1_11comp_targetILNS1_3genE6ELNS1_11target_archE950ELNS1_3gpuE13ELNS1_3repE0EEENS1_52radix_sort_onesweep_histogram_config_static_selectorELNS0_4arch9wavefront6targetE0EEEvSD_.has_dyn_sized_stack, 0
	.set _ZN7rocprim17ROCPRIM_400000_NS6detail17trampoline_kernelINS0_14default_configENS1_35radix_sort_onesweep_config_selectorIhNS0_10empty_typeEEEZNS1_34radix_sort_onesweep_global_offsetsIS3_Lb0EPKhPS5_mNS0_19identity_decomposerEEE10hipError_tT1_T2_PT3_SF_jT4_jjP12ihipStream_tbEUlT_E0_NS1_11comp_targetILNS1_3genE6ELNS1_11target_archE950ELNS1_3gpuE13ELNS1_3repE0EEENS1_52radix_sort_onesweep_histogram_config_static_selectorELNS0_4arch9wavefront6targetE0EEEvSD_.has_recursion, 0
	.set _ZN7rocprim17ROCPRIM_400000_NS6detail17trampoline_kernelINS0_14default_configENS1_35radix_sort_onesweep_config_selectorIhNS0_10empty_typeEEEZNS1_34radix_sort_onesweep_global_offsetsIS3_Lb0EPKhPS5_mNS0_19identity_decomposerEEE10hipError_tT1_T2_PT3_SF_jT4_jjP12ihipStream_tbEUlT_E0_NS1_11comp_targetILNS1_3genE6ELNS1_11target_archE950ELNS1_3gpuE13ELNS1_3repE0EEENS1_52radix_sort_onesweep_histogram_config_static_selectorELNS0_4arch9wavefront6targetE0EEEvSD_.has_indirect_call, 0
	.section	.AMDGPU.csdata,"",@progbits
; Kernel info:
; codeLenInByte = 0
; TotalNumSgprs: 0
; NumVgprs: 0
; ScratchSize: 0
; MemoryBound: 0
; FloatMode: 240
; IeeeMode: 1
; LDSByteSize: 0 bytes/workgroup (compile time only)
; SGPRBlocks: 0
; VGPRBlocks: 0
; NumSGPRsForWavesPerEU: 1
; NumVGPRsForWavesPerEU: 1
; NamedBarCnt: 0
; Occupancy: 16
; WaveLimiterHint : 0
; COMPUTE_PGM_RSRC2:SCRATCH_EN: 0
; COMPUTE_PGM_RSRC2:USER_SGPR: 2
; COMPUTE_PGM_RSRC2:TRAP_HANDLER: 0
; COMPUTE_PGM_RSRC2:TGID_X_EN: 1
; COMPUTE_PGM_RSRC2:TGID_Y_EN: 0
; COMPUTE_PGM_RSRC2:TGID_Z_EN: 0
; COMPUTE_PGM_RSRC2:TIDIG_COMP_CNT: 0
	.section	.text._ZN7rocprim17ROCPRIM_400000_NS6detail17trampoline_kernelINS0_14default_configENS1_35radix_sort_onesweep_config_selectorIhNS0_10empty_typeEEEZNS1_34radix_sort_onesweep_global_offsetsIS3_Lb0EPKhPS5_mNS0_19identity_decomposerEEE10hipError_tT1_T2_PT3_SF_jT4_jjP12ihipStream_tbEUlT_E0_NS1_11comp_targetILNS1_3genE5ELNS1_11target_archE942ELNS1_3gpuE9ELNS1_3repE0EEENS1_52radix_sort_onesweep_histogram_config_static_selectorELNS0_4arch9wavefront6targetE0EEEvSD_,"axG",@progbits,_ZN7rocprim17ROCPRIM_400000_NS6detail17trampoline_kernelINS0_14default_configENS1_35radix_sort_onesweep_config_selectorIhNS0_10empty_typeEEEZNS1_34radix_sort_onesweep_global_offsetsIS3_Lb0EPKhPS5_mNS0_19identity_decomposerEEE10hipError_tT1_T2_PT3_SF_jT4_jjP12ihipStream_tbEUlT_E0_NS1_11comp_targetILNS1_3genE5ELNS1_11target_archE942ELNS1_3gpuE9ELNS1_3repE0EEENS1_52radix_sort_onesweep_histogram_config_static_selectorELNS0_4arch9wavefront6targetE0EEEvSD_,comdat
	.protected	_ZN7rocprim17ROCPRIM_400000_NS6detail17trampoline_kernelINS0_14default_configENS1_35radix_sort_onesweep_config_selectorIhNS0_10empty_typeEEEZNS1_34radix_sort_onesweep_global_offsetsIS3_Lb0EPKhPS5_mNS0_19identity_decomposerEEE10hipError_tT1_T2_PT3_SF_jT4_jjP12ihipStream_tbEUlT_E0_NS1_11comp_targetILNS1_3genE5ELNS1_11target_archE942ELNS1_3gpuE9ELNS1_3repE0EEENS1_52radix_sort_onesweep_histogram_config_static_selectorELNS0_4arch9wavefront6targetE0EEEvSD_ ; -- Begin function _ZN7rocprim17ROCPRIM_400000_NS6detail17trampoline_kernelINS0_14default_configENS1_35radix_sort_onesweep_config_selectorIhNS0_10empty_typeEEEZNS1_34radix_sort_onesweep_global_offsetsIS3_Lb0EPKhPS5_mNS0_19identity_decomposerEEE10hipError_tT1_T2_PT3_SF_jT4_jjP12ihipStream_tbEUlT_E0_NS1_11comp_targetILNS1_3genE5ELNS1_11target_archE942ELNS1_3gpuE9ELNS1_3repE0EEENS1_52radix_sort_onesweep_histogram_config_static_selectorELNS0_4arch9wavefront6targetE0EEEvSD_
	.globl	_ZN7rocprim17ROCPRIM_400000_NS6detail17trampoline_kernelINS0_14default_configENS1_35radix_sort_onesweep_config_selectorIhNS0_10empty_typeEEEZNS1_34radix_sort_onesweep_global_offsetsIS3_Lb0EPKhPS5_mNS0_19identity_decomposerEEE10hipError_tT1_T2_PT3_SF_jT4_jjP12ihipStream_tbEUlT_E0_NS1_11comp_targetILNS1_3genE5ELNS1_11target_archE942ELNS1_3gpuE9ELNS1_3repE0EEENS1_52radix_sort_onesweep_histogram_config_static_selectorELNS0_4arch9wavefront6targetE0EEEvSD_
	.p2align	8
	.type	_ZN7rocprim17ROCPRIM_400000_NS6detail17trampoline_kernelINS0_14default_configENS1_35radix_sort_onesweep_config_selectorIhNS0_10empty_typeEEEZNS1_34radix_sort_onesweep_global_offsetsIS3_Lb0EPKhPS5_mNS0_19identity_decomposerEEE10hipError_tT1_T2_PT3_SF_jT4_jjP12ihipStream_tbEUlT_E0_NS1_11comp_targetILNS1_3genE5ELNS1_11target_archE942ELNS1_3gpuE9ELNS1_3repE0EEENS1_52radix_sort_onesweep_histogram_config_static_selectorELNS0_4arch9wavefront6targetE0EEEvSD_,@function
_ZN7rocprim17ROCPRIM_400000_NS6detail17trampoline_kernelINS0_14default_configENS1_35radix_sort_onesweep_config_selectorIhNS0_10empty_typeEEEZNS1_34radix_sort_onesweep_global_offsetsIS3_Lb0EPKhPS5_mNS0_19identity_decomposerEEE10hipError_tT1_T2_PT3_SF_jT4_jjP12ihipStream_tbEUlT_E0_NS1_11comp_targetILNS1_3genE5ELNS1_11target_archE942ELNS1_3gpuE9ELNS1_3repE0EEENS1_52radix_sort_onesweep_histogram_config_static_selectorELNS0_4arch9wavefront6targetE0EEEvSD_: ; @_ZN7rocprim17ROCPRIM_400000_NS6detail17trampoline_kernelINS0_14default_configENS1_35radix_sort_onesweep_config_selectorIhNS0_10empty_typeEEEZNS1_34radix_sort_onesweep_global_offsetsIS3_Lb0EPKhPS5_mNS0_19identity_decomposerEEE10hipError_tT1_T2_PT3_SF_jT4_jjP12ihipStream_tbEUlT_E0_NS1_11comp_targetILNS1_3genE5ELNS1_11target_archE942ELNS1_3gpuE9ELNS1_3repE0EEENS1_52radix_sort_onesweep_histogram_config_static_selectorELNS0_4arch9wavefront6targetE0EEEvSD_
; %bb.0:
	.section	.rodata,"a",@progbits
	.p2align	6, 0x0
	.amdhsa_kernel _ZN7rocprim17ROCPRIM_400000_NS6detail17trampoline_kernelINS0_14default_configENS1_35radix_sort_onesweep_config_selectorIhNS0_10empty_typeEEEZNS1_34radix_sort_onesweep_global_offsetsIS3_Lb0EPKhPS5_mNS0_19identity_decomposerEEE10hipError_tT1_T2_PT3_SF_jT4_jjP12ihipStream_tbEUlT_E0_NS1_11comp_targetILNS1_3genE5ELNS1_11target_archE942ELNS1_3gpuE9ELNS1_3repE0EEENS1_52radix_sort_onesweep_histogram_config_static_selectorELNS0_4arch9wavefront6targetE0EEEvSD_
		.amdhsa_group_segment_fixed_size 0
		.amdhsa_private_segment_fixed_size 0
		.amdhsa_kernarg_size 8
		.amdhsa_user_sgpr_count 2
		.amdhsa_user_sgpr_dispatch_ptr 0
		.amdhsa_user_sgpr_queue_ptr 0
		.amdhsa_user_sgpr_kernarg_segment_ptr 1
		.amdhsa_user_sgpr_dispatch_id 0
		.amdhsa_user_sgpr_kernarg_preload_length 0
		.amdhsa_user_sgpr_kernarg_preload_offset 0
		.amdhsa_user_sgpr_private_segment_size 0
		.amdhsa_wavefront_size32 1
		.amdhsa_uses_dynamic_stack 0
		.amdhsa_enable_private_segment 0
		.amdhsa_system_sgpr_workgroup_id_x 1
		.amdhsa_system_sgpr_workgroup_id_y 0
		.amdhsa_system_sgpr_workgroup_id_z 0
		.amdhsa_system_sgpr_workgroup_info 0
		.amdhsa_system_vgpr_workitem_id 0
		.amdhsa_next_free_vgpr 1
		.amdhsa_next_free_sgpr 1
		.amdhsa_named_barrier_count 0
		.amdhsa_reserve_vcc 0
		.amdhsa_float_round_mode_32 0
		.amdhsa_float_round_mode_16_64 0
		.amdhsa_float_denorm_mode_32 3
		.amdhsa_float_denorm_mode_16_64 3
		.amdhsa_fp16_overflow 0
		.amdhsa_memory_ordered 1
		.amdhsa_forward_progress 1
		.amdhsa_inst_pref_size 0
		.amdhsa_round_robin_scheduling 0
		.amdhsa_exception_fp_ieee_invalid_op 0
		.amdhsa_exception_fp_denorm_src 0
		.amdhsa_exception_fp_ieee_div_zero 0
		.amdhsa_exception_fp_ieee_overflow 0
		.amdhsa_exception_fp_ieee_underflow 0
		.amdhsa_exception_fp_ieee_inexact 0
		.amdhsa_exception_int_div_zero 0
	.end_amdhsa_kernel
	.section	.text._ZN7rocprim17ROCPRIM_400000_NS6detail17trampoline_kernelINS0_14default_configENS1_35radix_sort_onesweep_config_selectorIhNS0_10empty_typeEEEZNS1_34radix_sort_onesweep_global_offsetsIS3_Lb0EPKhPS5_mNS0_19identity_decomposerEEE10hipError_tT1_T2_PT3_SF_jT4_jjP12ihipStream_tbEUlT_E0_NS1_11comp_targetILNS1_3genE5ELNS1_11target_archE942ELNS1_3gpuE9ELNS1_3repE0EEENS1_52radix_sort_onesweep_histogram_config_static_selectorELNS0_4arch9wavefront6targetE0EEEvSD_,"axG",@progbits,_ZN7rocprim17ROCPRIM_400000_NS6detail17trampoline_kernelINS0_14default_configENS1_35radix_sort_onesweep_config_selectorIhNS0_10empty_typeEEEZNS1_34radix_sort_onesweep_global_offsetsIS3_Lb0EPKhPS5_mNS0_19identity_decomposerEEE10hipError_tT1_T2_PT3_SF_jT4_jjP12ihipStream_tbEUlT_E0_NS1_11comp_targetILNS1_3genE5ELNS1_11target_archE942ELNS1_3gpuE9ELNS1_3repE0EEENS1_52radix_sort_onesweep_histogram_config_static_selectorELNS0_4arch9wavefront6targetE0EEEvSD_,comdat
.Lfunc_end212:
	.size	_ZN7rocprim17ROCPRIM_400000_NS6detail17trampoline_kernelINS0_14default_configENS1_35radix_sort_onesweep_config_selectorIhNS0_10empty_typeEEEZNS1_34radix_sort_onesweep_global_offsetsIS3_Lb0EPKhPS5_mNS0_19identity_decomposerEEE10hipError_tT1_T2_PT3_SF_jT4_jjP12ihipStream_tbEUlT_E0_NS1_11comp_targetILNS1_3genE5ELNS1_11target_archE942ELNS1_3gpuE9ELNS1_3repE0EEENS1_52radix_sort_onesweep_histogram_config_static_selectorELNS0_4arch9wavefront6targetE0EEEvSD_, .Lfunc_end212-_ZN7rocprim17ROCPRIM_400000_NS6detail17trampoline_kernelINS0_14default_configENS1_35radix_sort_onesweep_config_selectorIhNS0_10empty_typeEEEZNS1_34radix_sort_onesweep_global_offsetsIS3_Lb0EPKhPS5_mNS0_19identity_decomposerEEE10hipError_tT1_T2_PT3_SF_jT4_jjP12ihipStream_tbEUlT_E0_NS1_11comp_targetILNS1_3genE5ELNS1_11target_archE942ELNS1_3gpuE9ELNS1_3repE0EEENS1_52radix_sort_onesweep_histogram_config_static_selectorELNS0_4arch9wavefront6targetE0EEEvSD_
                                        ; -- End function
	.set _ZN7rocprim17ROCPRIM_400000_NS6detail17trampoline_kernelINS0_14default_configENS1_35radix_sort_onesweep_config_selectorIhNS0_10empty_typeEEEZNS1_34radix_sort_onesweep_global_offsetsIS3_Lb0EPKhPS5_mNS0_19identity_decomposerEEE10hipError_tT1_T2_PT3_SF_jT4_jjP12ihipStream_tbEUlT_E0_NS1_11comp_targetILNS1_3genE5ELNS1_11target_archE942ELNS1_3gpuE9ELNS1_3repE0EEENS1_52radix_sort_onesweep_histogram_config_static_selectorELNS0_4arch9wavefront6targetE0EEEvSD_.num_vgpr, 0
	.set _ZN7rocprim17ROCPRIM_400000_NS6detail17trampoline_kernelINS0_14default_configENS1_35radix_sort_onesweep_config_selectorIhNS0_10empty_typeEEEZNS1_34radix_sort_onesweep_global_offsetsIS3_Lb0EPKhPS5_mNS0_19identity_decomposerEEE10hipError_tT1_T2_PT3_SF_jT4_jjP12ihipStream_tbEUlT_E0_NS1_11comp_targetILNS1_3genE5ELNS1_11target_archE942ELNS1_3gpuE9ELNS1_3repE0EEENS1_52radix_sort_onesweep_histogram_config_static_selectorELNS0_4arch9wavefront6targetE0EEEvSD_.num_agpr, 0
	.set _ZN7rocprim17ROCPRIM_400000_NS6detail17trampoline_kernelINS0_14default_configENS1_35radix_sort_onesweep_config_selectorIhNS0_10empty_typeEEEZNS1_34radix_sort_onesweep_global_offsetsIS3_Lb0EPKhPS5_mNS0_19identity_decomposerEEE10hipError_tT1_T2_PT3_SF_jT4_jjP12ihipStream_tbEUlT_E0_NS1_11comp_targetILNS1_3genE5ELNS1_11target_archE942ELNS1_3gpuE9ELNS1_3repE0EEENS1_52radix_sort_onesweep_histogram_config_static_selectorELNS0_4arch9wavefront6targetE0EEEvSD_.numbered_sgpr, 0
	.set _ZN7rocprim17ROCPRIM_400000_NS6detail17trampoline_kernelINS0_14default_configENS1_35radix_sort_onesweep_config_selectorIhNS0_10empty_typeEEEZNS1_34radix_sort_onesweep_global_offsetsIS3_Lb0EPKhPS5_mNS0_19identity_decomposerEEE10hipError_tT1_T2_PT3_SF_jT4_jjP12ihipStream_tbEUlT_E0_NS1_11comp_targetILNS1_3genE5ELNS1_11target_archE942ELNS1_3gpuE9ELNS1_3repE0EEENS1_52radix_sort_onesweep_histogram_config_static_selectorELNS0_4arch9wavefront6targetE0EEEvSD_.num_named_barrier, 0
	.set _ZN7rocprim17ROCPRIM_400000_NS6detail17trampoline_kernelINS0_14default_configENS1_35radix_sort_onesweep_config_selectorIhNS0_10empty_typeEEEZNS1_34radix_sort_onesweep_global_offsetsIS3_Lb0EPKhPS5_mNS0_19identity_decomposerEEE10hipError_tT1_T2_PT3_SF_jT4_jjP12ihipStream_tbEUlT_E0_NS1_11comp_targetILNS1_3genE5ELNS1_11target_archE942ELNS1_3gpuE9ELNS1_3repE0EEENS1_52radix_sort_onesweep_histogram_config_static_selectorELNS0_4arch9wavefront6targetE0EEEvSD_.private_seg_size, 0
	.set _ZN7rocprim17ROCPRIM_400000_NS6detail17trampoline_kernelINS0_14default_configENS1_35radix_sort_onesweep_config_selectorIhNS0_10empty_typeEEEZNS1_34radix_sort_onesweep_global_offsetsIS3_Lb0EPKhPS5_mNS0_19identity_decomposerEEE10hipError_tT1_T2_PT3_SF_jT4_jjP12ihipStream_tbEUlT_E0_NS1_11comp_targetILNS1_3genE5ELNS1_11target_archE942ELNS1_3gpuE9ELNS1_3repE0EEENS1_52radix_sort_onesweep_histogram_config_static_selectorELNS0_4arch9wavefront6targetE0EEEvSD_.uses_vcc, 0
	.set _ZN7rocprim17ROCPRIM_400000_NS6detail17trampoline_kernelINS0_14default_configENS1_35radix_sort_onesweep_config_selectorIhNS0_10empty_typeEEEZNS1_34radix_sort_onesweep_global_offsetsIS3_Lb0EPKhPS5_mNS0_19identity_decomposerEEE10hipError_tT1_T2_PT3_SF_jT4_jjP12ihipStream_tbEUlT_E0_NS1_11comp_targetILNS1_3genE5ELNS1_11target_archE942ELNS1_3gpuE9ELNS1_3repE0EEENS1_52radix_sort_onesweep_histogram_config_static_selectorELNS0_4arch9wavefront6targetE0EEEvSD_.uses_flat_scratch, 0
	.set _ZN7rocprim17ROCPRIM_400000_NS6detail17trampoline_kernelINS0_14default_configENS1_35radix_sort_onesweep_config_selectorIhNS0_10empty_typeEEEZNS1_34radix_sort_onesweep_global_offsetsIS3_Lb0EPKhPS5_mNS0_19identity_decomposerEEE10hipError_tT1_T2_PT3_SF_jT4_jjP12ihipStream_tbEUlT_E0_NS1_11comp_targetILNS1_3genE5ELNS1_11target_archE942ELNS1_3gpuE9ELNS1_3repE0EEENS1_52radix_sort_onesweep_histogram_config_static_selectorELNS0_4arch9wavefront6targetE0EEEvSD_.has_dyn_sized_stack, 0
	.set _ZN7rocprim17ROCPRIM_400000_NS6detail17trampoline_kernelINS0_14default_configENS1_35radix_sort_onesweep_config_selectorIhNS0_10empty_typeEEEZNS1_34radix_sort_onesweep_global_offsetsIS3_Lb0EPKhPS5_mNS0_19identity_decomposerEEE10hipError_tT1_T2_PT3_SF_jT4_jjP12ihipStream_tbEUlT_E0_NS1_11comp_targetILNS1_3genE5ELNS1_11target_archE942ELNS1_3gpuE9ELNS1_3repE0EEENS1_52radix_sort_onesweep_histogram_config_static_selectorELNS0_4arch9wavefront6targetE0EEEvSD_.has_recursion, 0
	.set _ZN7rocprim17ROCPRIM_400000_NS6detail17trampoline_kernelINS0_14default_configENS1_35radix_sort_onesweep_config_selectorIhNS0_10empty_typeEEEZNS1_34radix_sort_onesweep_global_offsetsIS3_Lb0EPKhPS5_mNS0_19identity_decomposerEEE10hipError_tT1_T2_PT3_SF_jT4_jjP12ihipStream_tbEUlT_E0_NS1_11comp_targetILNS1_3genE5ELNS1_11target_archE942ELNS1_3gpuE9ELNS1_3repE0EEENS1_52radix_sort_onesweep_histogram_config_static_selectorELNS0_4arch9wavefront6targetE0EEEvSD_.has_indirect_call, 0
	.section	.AMDGPU.csdata,"",@progbits
; Kernel info:
; codeLenInByte = 0
; TotalNumSgprs: 0
; NumVgprs: 0
; ScratchSize: 0
; MemoryBound: 0
; FloatMode: 240
; IeeeMode: 1
; LDSByteSize: 0 bytes/workgroup (compile time only)
; SGPRBlocks: 0
; VGPRBlocks: 0
; NumSGPRsForWavesPerEU: 1
; NumVGPRsForWavesPerEU: 1
; NamedBarCnt: 0
; Occupancy: 16
; WaveLimiterHint : 0
; COMPUTE_PGM_RSRC2:SCRATCH_EN: 0
; COMPUTE_PGM_RSRC2:USER_SGPR: 2
; COMPUTE_PGM_RSRC2:TRAP_HANDLER: 0
; COMPUTE_PGM_RSRC2:TGID_X_EN: 1
; COMPUTE_PGM_RSRC2:TGID_Y_EN: 0
; COMPUTE_PGM_RSRC2:TGID_Z_EN: 0
; COMPUTE_PGM_RSRC2:TIDIG_COMP_CNT: 0
	.section	.text._ZN7rocprim17ROCPRIM_400000_NS6detail17trampoline_kernelINS0_14default_configENS1_35radix_sort_onesweep_config_selectorIhNS0_10empty_typeEEEZNS1_34radix_sort_onesweep_global_offsetsIS3_Lb0EPKhPS5_mNS0_19identity_decomposerEEE10hipError_tT1_T2_PT3_SF_jT4_jjP12ihipStream_tbEUlT_E0_NS1_11comp_targetILNS1_3genE2ELNS1_11target_archE906ELNS1_3gpuE6ELNS1_3repE0EEENS1_52radix_sort_onesweep_histogram_config_static_selectorELNS0_4arch9wavefront6targetE0EEEvSD_,"axG",@progbits,_ZN7rocprim17ROCPRIM_400000_NS6detail17trampoline_kernelINS0_14default_configENS1_35radix_sort_onesweep_config_selectorIhNS0_10empty_typeEEEZNS1_34radix_sort_onesweep_global_offsetsIS3_Lb0EPKhPS5_mNS0_19identity_decomposerEEE10hipError_tT1_T2_PT3_SF_jT4_jjP12ihipStream_tbEUlT_E0_NS1_11comp_targetILNS1_3genE2ELNS1_11target_archE906ELNS1_3gpuE6ELNS1_3repE0EEENS1_52radix_sort_onesweep_histogram_config_static_selectorELNS0_4arch9wavefront6targetE0EEEvSD_,comdat
	.protected	_ZN7rocprim17ROCPRIM_400000_NS6detail17trampoline_kernelINS0_14default_configENS1_35radix_sort_onesweep_config_selectorIhNS0_10empty_typeEEEZNS1_34radix_sort_onesweep_global_offsetsIS3_Lb0EPKhPS5_mNS0_19identity_decomposerEEE10hipError_tT1_T2_PT3_SF_jT4_jjP12ihipStream_tbEUlT_E0_NS1_11comp_targetILNS1_3genE2ELNS1_11target_archE906ELNS1_3gpuE6ELNS1_3repE0EEENS1_52radix_sort_onesweep_histogram_config_static_selectorELNS0_4arch9wavefront6targetE0EEEvSD_ ; -- Begin function _ZN7rocprim17ROCPRIM_400000_NS6detail17trampoline_kernelINS0_14default_configENS1_35radix_sort_onesweep_config_selectorIhNS0_10empty_typeEEEZNS1_34radix_sort_onesweep_global_offsetsIS3_Lb0EPKhPS5_mNS0_19identity_decomposerEEE10hipError_tT1_T2_PT3_SF_jT4_jjP12ihipStream_tbEUlT_E0_NS1_11comp_targetILNS1_3genE2ELNS1_11target_archE906ELNS1_3gpuE6ELNS1_3repE0EEENS1_52radix_sort_onesweep_histogram_config_static_selectorELNS0_4arch9wavefront6targetE0EEEvSD_
	.globl	_ZN7rocprim17ROCPRIM_400000_NS6detail17trampoline_kernelINS0_14default_configENS1_35radix_sort_onesweep_config_selectorIhNS0_10empty_typeEEEZNS1_34radix_sort_onesweep_global_offsetsIS3_Lb0EPKhPS5_mNS0_19identity_decomposerEEE10hipError_tT1_T2_PT3_SF_jT4_jjP12ihipStream_tbEUlT_E0_NS1_11comp_targetILNS1_3genE2ELNS1_11target_archE906ELNS1_3gpuE6ELNS1_3repE0EEENS1_52radix_sort_onesweep_histogram_config_static_selectorELNS0_4arch9wavefront6targetE0EEEvSD_
	.p2align	8
	.type	_ZN7rocprim17ROCPRIM_400000_NS6detail17trampoline_kernelINS0_14default_configENS1_35radix_sort_onesweep_config_selectorIhNS0_10empty_typeEEEZNS1_34radix_sort_onesweep_global_offsetsIS3_Lb0EPKhPS5_mNS0_19identity_decomposerEEE10hipError_tT1_T2_PT3_SF_jT4_jjP12ihipStream_tbEUlT_E0_NS1_11comp_targetILNS1_3genE2ELNS1_11target_archE906ELNS1_3gpuE6ELNS1_3repE0EEENS1_52radix_sort_onesweep_histogram_config_static_selectorELNS0_4arch9wavefront6targetE0EEEvSD_,@function
_ZN7rocprim17ROCPRIM_400000_NS6detail17trampoline_kernelINS0_14default_configENS1_35radix_sort_onesweep_config_selectorIhNS0_10empty_typeEEEZNS1_34radix_sort_onesweep_global_offsetsIS3_Lb0EPKhPS5_mNS0_19identity_decomposerEEE10hipError_tT1_T2_PT3_SF_jT4_jjP12ihipStream_tbEUlT_E0_NS1_11comp_targetILNS1_3genE2ELNS1_11target_archE906ELNS1_3gpuE6ELNS1_3repE0EEENS1_52radix_sort_onesweep_histogram_config_static_selectorELNS0_4arch9wavefront6targetE0EEEvSD_: ; @_ZN7rocprim17ROCPRIM_400000_NS6detail17trampoline_kernelINS0_14default_configENS1_35radix_sort_onesweep_config_selectorIhNS0_10empty_typeEEEZNS1_34radix_sort_onesweep_global_offsetsIS3_Lb0EPKhPS5_mNS0_19identity_decomposerEEE10hipError_tT1_T2_PT3_SF_jT4_jjP12ihipStream_tbEUlT_E0_NS1_11comp_targetILNS1_3genE2ELNS1_11target_archE906ELNS1_3gpuE6ELNS1_3repE0EEENS1_52radix_sort_onesweep_histogram_config_static_selectorELNS0_4arch9wavefront6targetE0EEEvSD_
; %bb.0:
	.section	.rodata,"a",@progbits
	.p2align	6, 0x0
	.amdhsa_kernel _ZN7rocprim17ROCPRIM_400000_NS6detail17trampoline_kernelINS0_14default_configENS1_35radix_sort_onesweep_config_selectorIhNS0_10empty_typeEEEZNS1_34radix_sort_onesweep_global_offsetsIS3_Lb0EPKhPS5_mNS0_19identity_decomposerEEE10hipError_tT1_T2_PT3_SF_jT4_jjP12ihipStream_tbEUlT_E0_NS1_11comp_targetILNS1_3genE2ELNS1_11target_archE906ELNS1_3gpuE6ELNS1_3repE0EEENS1_52radix_sort_onesweep_histogram_config_static_selectorELNS0_4arch9wavefront6targetE0EEEvSD_
		.amdhsa_group_segment_fixed_size 0
		.amdhsa_private_segment_fixed_size 0
		.amdhsa_kernarg_size 8
		.amdhsa_user_sgpr_count 2
		.amdhsa_user_sgpr_dispatch_ptr 0
		.amdhsa_user_sgpr_queue_ptr 0
		.amdhsa_user_sgpr_kernarg_segment_ptr 1
		.amdhsa_user_sgpr_dispatch_id 0
		.amdhsa_user_sgpr_kernarg_preload_length 0
		.amdhsa_user_sgpr_kernarg_preload_offset 0
		.amdhsa_user_sgpr_private_segment_size 0
		.amdhsa_wavefront_size32 1
		.amdhsa_uses_dynamic_stack 0
		.amdhsa_enable_private_segment 0
		.amdhsa_system_sgpr_workgroup_id_x 1
		.amdhsa_system_sgpr_workgroup_id_y 0
		.amdhsa_system_sgpr_workgroup_id_z 0
		.amdhsa_system_sgpr_workgroup_info 0
		.amdhsa_system_vgpr_workitem_id 0
		.amdhsa_next_free_vgpr 1
		.amdhsa_next_free_sgpr 1
		.amdhsa_named_barrier_count 0
		.amdhsa_reserve_vcc 0
		.amdhsa_float_round_mode_32 0
		.amdhsa_float_round_mode_16_64 0
		.amdhsa_float_denorm_mode_32 3
		.amdhsa_float_denorm_mode_16_64 3
		.amdhsa_fp16_overflow 0
		.amdhsa_memory_ordered 1
		.amdhsa_forward_progress 1
		.amdhsa_inst_pref_size 0
		.amdhsa_round_robin_scheduling 0
		.amdhsa_exception_fp_ieee_invalid_op 0
		.amdhsa_exception_fp_denorm_src 0
		.amdhsa_exception_fp_ieee_div_zero 0
		.amdhsa_exception_fp_ieee_overflow 0
		.amdhsa_exception_fp_ieee_underflow 0
		.amdhsa_exception_fp_ieee_inexact 0
		.amdhsa_exception_int_div_zero 0
	.end_amdhsa_kernel
	.section	.text._ZN7rocprim17ROCPRIM_400000_NS6detail17trampoline_kernelINS0_14default_configENS1_35radix_sort_onesweep_config_selectorIhNS0_10empty_typeEEEZNS1_34radix_sort_onesweep_global_offsetsIS3_Lb0EPKhPS5_mNS0_19identity_decomposerEEE10hipError_tT1_T2_PT3_SF_jT4_jjP12ihipStream_tbEUlT_E0_NS1_11comp_targetILNS1_3genE2ELNS1_11target_archE906ELNS1_3gpuE6ELNS1_3repE0EEENS1_52radix_sort_onesweep_histogram_config_static_selectorELNS0_4arch9wavefront6targetE0EEEvSD_,"axG",@progbits,_ZN7rocprim17ROCPRIM_400000_NS6detail17trampoline_kernelINS0_14default_configENS1_35radix_sort_onesweep_config_selectorIhNS0_10empty_typeEEEZNS1_34radix_sort_onesweep_global_offsetsIS3_Lb0EPKhPS5_mNS0_19identity_decomposerEEE10hipError_tT1_T2_PT3_SF_jT4_jjP12ihipStream_tbEUlT_E0_NS1_11comp_targetILNS1_3genE2ELNS1_11target_archE906ELNS1_3gpuE6ELNS1_3repE0EEENS1_52radix_sort_onesweep_histogram_config_static_selectorELNS0_4arch9wavefront6targetE0EEEvSD_,comdat
.Lfunc_end213:
	.size	_ZN7rocprim17ROCPRIM_400000_NS6detail17trampoline_kernelINS0_14default_configENS1_35radix_sort_onesweep_config_selectorIhNS0_10empty_typeEEEZNS1_34radix_sort_onesweep_global_offsetsIS3_Lb0EPKhPS5_mNS0_19identity_decomposerEEE10hipError_tT1_T2_PT3_SF_jT4_jjP12ihipStream_tbEUlT_E0_NS1_11comp_targetILNS1_3genE2ELNS1_11target_archE906ELNS1_3gpuE6ELNS1_3repE0EEENS1_52radix_sort_onesweep_histogram_config_static_selectorELNS0_4arch9wavefront6targetE0EEEvSD_, .Lfunc_end213-_ZN7rocprim17ROCPRIM_400000_NS6detail17trampoline_kernelINS0_14default_configENS1_35radix_sort_onesweep_config_selectorIhNS0_10empty_typeEEEZNS1_34radix_sort_onesweep_global_offsetsIS3_Lb0EPKhPS5_mNS0_19identity_decomposerEEE10hipError_tT1_T2_PT3_SF_jT4_jjP12ihipStream_tbEUlT_E0_NS1_11comp_targetILNS1_3genE2ELNS1_11target_archE906ELNS1_3gpuE6ELNS1_3repE0EEENS1_52radix_sort_onesweep_histogram_config_static_selectorELNS0_4arch9wavefront6targetE0EEEvSD_
                                        ; -- End function
	.set _ZN7rocprim17ROCPRIM_400000_NS6detail17trampoline_kernelINS0_14default_configENS1_35radix_sort_onesweep_config_selectorIhNS0_10empty_typeEEEZNS1_34radix_sort_onesweep_global_offsetsIS3_Lb0EPKhPS5_mNS0_19identity_decomposerEEE10hipError_tT1_T2_PT3_SF_jT4_jjP12ihipStream_tbEUlT_E0_NS1_11comp_targetILNS1_3genE2ELNS1_11target_archE906ELNS1_3gpuE6ELNS1_3repE0EEENS1_52radix_sort_onesweep_histogram_config_static_selectorELNS0_4arch9wavefront6targetE0EEEvSD_.num_vgpr, 0
	.set _ZN7rocprim17ROCPRIM_400000_NS6detail17trampoline_kernelINS0_14default_configENS1_35radix_sort_onesweep_config_selectorIhNS0_10empty_typeEEEZNS1_34radix_sort_onesweep_global_offsetsIS3_Lb0EPKhPS5_mNS0_19identity_decomposerEEE10hipError_tT1_T2_PT3_SF_jT4_jjP12ihipStream_tbEUlT_E0_NS1_11comp_targetILNS1_3genE2ELNS1_11target_archE906ELNS1_3gpuE6ELNS1_3repE0EEENS1_52radix_sort_onesweep_histogram_config_static_selectorELNS0_4arch9wavefront6targetE0EEEvSD_.num_agpr, 0
	.set _ZN7rocprim17ROCPRIM_400000_NS6detail17trampoline_kernelINS0_14default_configENS1_35radix_sort_onesweep_config_selectorIhNS0_10empty_typeEEEZNS1_34radix_sort_onesweep_global_offsetsIS3_Lb0EPKhPS5_mNS0_19identity_decomposerEEE10hipError_tT1_T2_PT3_SF_jT4_jjP12ihipStream_tbEUlT_E0_NS1_11comp_targetILNS1_3genE2ELNS1_11target_archE906ELNS1_3gpuE6ELNS1_3repE0EEENS1_52radix_sort_onesweep_histogram_config_static_selectorELNS0_4arch9wavefront6targetE0EEEvSD_.numbered_sgpr, 0
	.set _ZN7rocprim17ROCPRIM_400000_NS6detail17trampoline_kernelINS0_14default_configENS1_35radix_sort_onesweep_config_selectorIhNS0_10empty_typeEEEZNS1_34radix_sort_onesweep_global_offsetsIS3_Lb0EPKhPS5_mNS0_19identity_decomposerEEE10hipError_tT1_T2_PT3_SF_jT4_jjP12ihipStream_tbEUlT_E0_NS1_11comp_targetILNS1_3genE2ELNS1_11target_archE906ELNS1_3gpuE6ELNS1_3repE0EEENS1_52radix_sort_onesweep_histogram_config_static_selectorELNS0_4arch9wavefront6targetE0EEEvSD_.num_named_barrier, 0
	.set _ZN7rocprim17ROCPRIM_400000_NS6detail17trampoline_kernelINS0_14default_configENS1_35radix_sort_onesweep_config_selectorIhNS0_10empty_typeEEEZNS1_34radix_sort_onesweep_global_offsetsIS3_Lb0EPKhPS5_mNS0_19identity_decomposerEEE10hipError_tT1_T2_PT3_SF_jT4_jjP12ihipStream_tbEUlT_E0_NS1_11comp_targetILNS1_3genE2ELNS1_11target_archE906ELNS1_3gpuE6ELNS1_3repE0EEENS1_52radix_sort_onesweep_histogram_config_static_selectorELNS0_4arch9wavefront6targetE0EEEvSD_.private_seg_size, 0
	.set _ZN7rocprim17ROCPRIM_400000_NS6detail17trampoline_kernelINS0_14default_configENS1_35radix_sort_onesweep_config_selectorIhNS0_10empty_typeEEEZNS1_34radix_sort_onesweep_global_offsetsIS3_Lb0EPKhPS5_mNS0_19identity_decomposerEEE10hipError_tT1_T2_PT3_SF_jT4_jjP12ihipStream_tbEUlT_E0_NS1_11comp_targetILNS1_3genE2ELNS1_11target_archE906ELNS1_3gpuE6ELNS1_3repE0EEENS1_52radix_sort_onesweep_histogram_config_static_selectorELNS0_4arch9wavefront6targetE0EEEvSD_.uses_vcc, 0
	.set _ZN7rocprim17ROCPRIM_400000_NS6detail17trampoline_kernelINS0_14default_configENS1_35radix_sort_onesweep_config_selectorIhNS0_10empty_typeEEEZNS1_34radix_sort_onesweep_global_offsetsIS3_Lb0EPKhPS5_mNS0_19identity_decomposerEEE10hipError_tT1_T2_PT3_SF_jT4_jjP12ihipStream_tbEUlT_E0_NS1_11comp_targetILNS1_3genE2ELNS1_11target_archE906ELNS1_3gpuE6ELNS1_3repE0EEENS1_52radix_sort_onesweep_histogram_config_static_selectorELNS0_4arch9wavefront6targetE0EEEvSD_.uses_flat_scratch, 0
	.set _ZN7rocprim17ROCPRIM_400000_NS6detail17trampoline_kernelINS0_14default_configENS1_35radix_sort_onesweep_config_selectorIhNS0_10empty_typeEEEZNS1_34radix_sort_onesweep_global_offsetsIS3_Lb0EPKhPS5_mNS0_19identity_decomposerEEE10hipError_tT1_T2_PT3_SF_jT4_jjP12ihipStream_tbEUlT_E0_NS1_11comp_targetILNS1_3genE2ELNS1_11target_archE906ELNS1_3gpuE6ELNS1_3repE0EEENS1_52radix_sort_onesweep_histogram_config_static_selectorELNS0_4arch9wavefront6targetE0EEEvSD_.has_dyn_sized_stack, 0
	.set _ZN7rocprim17ROCPRIM_400000_NS6detail17trampoline_kernelINS0_14default_configENS1_35radix_sort_onesweep_config_selectorIhNS0_10empty_typeEEEZNS1_34radix_sort_onesweep_global_offsetsIS3_Lb0EPKhPS5_mNS0_19identity_decomposerEEE10hipError_tT1_T2_PT3_SF_jT4_jjP12ihipStream_tbEUlT_E0_NS1_11comp_targetILNS1_3genE2ELNS1_11target_archE906ELNS1_3gpuE6ELNS1_3repE0EEENS1_52radix_sort_onesweep_histogram_config_static_selectorELNS0_4arch9wavefront6targetE0EEEvSD_.has_recursion, 0
	.set _ZN7rocprim17ROCPRIM_400000_NS6detail17trampoline_kernelINS0_14default_configENS1_35radix_sort_onesweep_config_selectorIhNS0_10empty_typeEEEZNS1_34radix_sort_onesweep_global_offsetsIS3_Lb0EPKhPS5_mNS0_19identity_decomposerEEE10hipError_tT1_T2_PT3_SF_jT4_jjP12ihipStream_tbEUlT_E0_NS1_11comp_targetILNS1_3genE2ELNS1_11target_archE906ELNS1_3gpuE6ELNS1_3repE0EEENS1_52radix_sort_onesweep_histogram_config_static_selectorELNS0_4arch9wavefront6targetE0EEEvSD_.has_indirect_call, 0
	.section	.AMDGPU.csdata,"",@progbits
; Kernel info:
; codeLenInByte = 0
; TotalNumSgprs: 0
; NumVgprs: 0
; ScratchSize: 0
; MemoryBound: 0
; FloatMode: 240
; IeeeMode: 1
; LDSByteSize: 0 bytes/workgroup (compile time only)
; SGPRBlocks: 0
; VGPRBlocks: 0
; NumSGPRsForWavesPerEU: 1
; NumVGPRsForWavesPerEU: 1
; NamedBarCnt: 0
; Occupancy: 16
; WaveLimiterHint : 0
; COMPUTE_PGM_RSRC2:SCRATCH_EN: 0
; COMPUTE_PGM_RSRC2:USER_SGPR: 2
; COMPUTE_PGM_RSRC2:TRAP_HANDLER: 0
; COMPUTE_PGM_RSRC2:TGID_X_EN: 1
; COMPUTE_PGM_RSRC2:TGID_Y_EN: 0
; COMPUTE_PGM_RSRC2:TGID_Z_EN: 0
; COMPUTE_PGM_RSRC2:TIDIG_COMP_CNT: 0
	.section	.text._ZN7rocprim17ROCPRIM_400000_NS6detail17trampoline_kernelINS0_14default_configENS1_35radix_sort_onesweep_config_selectorIhNS0_10empty_typeEEEZNS1_34radix_sort_onesweep_global_offsetsIS3_Lb0EPKhPS5_mNS0_19identity_decomposerEEE10hipError_tT1_T2_PT3_SF_jT4_jjP12ihipStream_tbEUlT_E0_NS1_11comp_targetILNS1_3genE4ELNS1_11target_archE910ELNS1_3gpuE8ELNS1_3repE0EEENS1_52radix_sort_onesweep_histogram_config_static_selectorELNS0_4arch9wavefront6targetE0EEEvSD_,"axG",@progbits,_ZN7rocprim17ROCPRIM_400000_NS6detail17trampoline_kernelINS0_14default_configENS1_35radix_sort_onesweep_config_selectorIhNS0_10empty_typeEEEZNS1_34radix_sort_onesweep_global_offsetsIS3_Lb0EPKhPS5_mNS0_19identity_decomposerEEE10hipError_tT1_T2_PT3_SF_jT4_jjP12ihipStream_tbEUlT_E0_NS1_11comp_targetILNS1_3genE4ELNS1_11target_archE910ELNS1_3gpuE8ELNS1_3repE0EEENS1_52radix_sort_onesweep_histogram_config_static_selectorELNS0_4arch9wavefront6targetE0EEEvSD_,comdat
	.protected	_ZN7rocprim17ROCPRIM_400000_NS6detail17trampoline_kernelINS0_14default_configENS1_35radix_sort_onesweep_config_selectorIhNS0_10empty_typeEEEZNS1_34radix_sort_onesweep_global_offsetsIS3_Lb0EPKhPS5_mNS0_19identity_decomposerEEE10hipError_tT1_T2_PT3_SF_jT4_jjP12ihipStream_tbEUlT_E0_NS1_11comp_targetILNS1_3genE4ELNS1_11target_archE910ELNS1_3gpuE8ELNS1_3repE0EEENS1_52radix_sort_onesweep_histogram_config_static_selectorELNS0_4arch9wavefront6targetE0EEEvSD_ ; -- Begin function _ZN7rocprim17ROCPRIM_400000_NS6detail17trampoline_kernelINS0_14default_configENS1_35radix_sort_onesweep_config_selectorIhNS0_10empty_typeEEEZNS1_34radix_sort_onesweep_global_offsetsIS3_Lb0EPKhPS5_mNS0_19identity_decomposerEEE10hipError_tT1_T2_PT3_SF_jT4_jjP12ihipStream_tbEUlT_E0_NS1_11comp_targetILNS1_3genE4ELNS1_11target_archE910ELNS1_3gpuE8ELNS1_3repE0EEENS1_52radix_sort_onesweep_histogram_config_static_selectorELNS0_4arch9wavefront6targetE0EEEvSD_
	.globl	_ZN7rocprim17ROCPRIM_400000_NS6detail17trampoline_kernelINS0_14default_configENS1_35radix_sort_onesweep_config_selectorIhNS0_10empty_typeEEEZNS1_34radix_sort_onesweep_global_offsetsIS3_Lb0EPKhPS5_mNS0_19identity_decomposerEEE10hipError_tT1_T2_PT3_SF_jT4_jjP12ihipStream_tbEUlT_E0_NS1_11comp_targetILNS1_3genE4ELNS1_11target_archE910ELNS1_3gpuE8ELNS1_3repE0EEENS1_52radix_sort_onesweep_histogram_config_static_selectorELNS0_4arch9wavefront6targetE0EEEvSD_
	.p2align	8
	.type	_ZN7rocprim17ROCPRIM_400000_NS6detail17trampoline_kernelINS0_14default_configENS1_35radix_sort_onesweep_config_selectorIhNS0_10empty_typeEEEZNS1_34radix_sort_onesweep_global_offsetsIS3_Lb0EPKhPS5_mNS0_19identity_decomposerEEE10hipError_tT1_T2_PT3_SF_jT4_jjP12ihipStream_tbEUlT_E0_NS1_11comp_targetILNS1_3genE4ELNS1_11target_archE910ELNS1_3gpuE8ELNS1_3repE0EEENS1_52radix_sort_onesweep_histogram_config_static_selectorELNS0_4arch9wavefront6targetE0EEEvSD_,@function
_ZN7rocprim17ROCPRIM_400000_NS6detail17trampoline_kernelINS0_14default_configENS1_35radix_sort_onesweep_config_selectorIhNS0_10empty_typeEEEZNS1_34radix_sort_onesweep_global_offsetsIS3_Lb0EPKhPS5_mNS0_19identity_decomposerEEE10hipError_tT1_T2_PT3_SF_jT4_jjP12ihipStream_tbEUlT_E0_NS1_11comp_targetILNS1_3genE4ELNS1_11target_archE910ELNS1_3gpuE8ELNS1_3repE0EEENS1_52radix_sort_onesweep_histogram_config_static_selectorELNS0_4arch9wavefront6targetE0EEEvSD_: ; @_ZN7rocprim17ROCPRIM_400000_NS6detail17trampoline_kernelINS0_14default_configENS1_35radix_sort_onesweep_config_selectorIhNS0_10empty_typeEEEZNS1_34radix_sort_onesweep_global_offsetsIS3_Lb0EPKhPS5_mNS0_19identity_decomposerEEE10hipError_tT1_T2_PT3_SF_jT4_jjP12ihipStream_tbEUlT_E0_NS1_11comp_targetILNS1_3genE4ELNS1_11target_archE910ELNS1_3gpuE8ELNS1_3repE0EEENS1_52radix_sort_onesweep_histogram_config_static_selectorELNS0_4arch9wavefront6targetE0EEEvSD_
; %bb.0:
	.section	.rodata,"a",@progbits
	.p2align	6, 0x0
	.amdhsa_kernel _ZN7rocprim17ROCPRIM_400000_NS6detail17trampoline_kernelINS0_14default_configENS1_35radix_sort_onesweep_config_selectorIhNS0_10empty_typeEEEZNS1_34radix_sort_onesweep_global_offsetsIS3_Lb0EPKhPS5_mNS0_19identity_decomposerEEE10hipError_tT1_T2_PT3_SF_jT4_jjP12ihipStream_tbEUlT_E0_NS1_11comp_targetILNS1_3genE4ELNS1_11target_archE910ELNS1_3gpuE8ELNS1_3repE0EEENS1_52radix_sort_onesweep_histogram_config_static_selectorELNS0_4arch9wavefront6targetE0EEEvSD_
		.amdhsa_group_segment_fixed_size 0
		.amdhsa_private_segment_fixed_size 0
		.amdhsa_kernarg_size 8
		.amdhsa_user_sgpr_count 2
		.amdhsa_user_sgpr_dispatch_ptr 0
		.amdhsa_user_sgpr_queue_ptr 0
		.amdhsa_user_sgpr_kernarg_segment_ptr 1
		.amdhsa_user_sgpr_dispatch_id 0
		.amdhsa_user_sgpr_kernarg_preload_length 0
		.amdhsa_user_sgpr_kernarg_preload_offset 0
		.amdhsa_user_sgpr_private_segment_size 0
		.amdhsa_wavefront_size32 1
		.amdhsa_uses_dynamic_stack 0
		.amdhsa_enable_private_segment 0
		.amdhsa_system_sgpr_workgroup_id_x 1
		.amdhsa_system_sgpr_workgroup_id_y 0
		.amdhsa_system_sgpr_workgroup_id_z 0
		.amdhsa_system_sgpr_workgroup_info 0
		.amdhsa_system_vgpr_workitem_id 0
		.amdhsa_next_free_vgpr 1
		.amdhsa_next_free_sgpr 1
		.amdhsa_named_barrier_count 0
		.amdhsa_reserve_vcc 0
		.amdhsa_float_round_mode_32 0
		.amdhsa_float_round_mode_16_64 0
		.amdhsa_float_denorm_mode_32 3
		.amdhsa_float_denorm_mode_16_64 3
		.amdhsa_fp16_overflow 0
		.amdhsa_memory_ordered 1
		.amdhsa_forward_progress 1
		.amdhsa_inst_pref_size 0
		.amdhsa_round_robin_scheduling 0
		.amdhsa_exception_fp_ieee_invalid_op 0
		.amdhsa_exception_fp_denorm_src 0
		.amdhsa_exception_fp_ieee_div_zero 0
		.amdhsa_exception_fp_ieee_overflow 0
		.amdhsa_exception_fp_ieee_underflow 0
		.amdhsa_exception_fp_ieee_inexact 0
		.amdhsa_exception_int_div_zero 0
	.end_amdhsa_kernel
	.section	.text._ZN7rocprim17ROCPRIM_400000_NS6detail17trampoline_kernelINS0_14default_configENS1_35radix_sort_onesweep_config_selectorIhNS0_10empty_typeEEEZNS1_34radix_sort_onesweep_global_offsetsIS3_Lb0EPKhPS5_mNS0_19identity_decomposerEEE10hipError_tT1_T2_PT3_SF_jT4_jjP12ihipStream_tbEUlT_E0_NS1_11comp_targetILNS1_3genE4ELNS1_11target_archE910ELNS1_3gpuE8ELNS1_3repE0EEENS1_52radix_sort_onesweep_histogram_config_static_selectorELNS0_4arch9wavefront6targetE0EEEvSD_,"axG",@progbits,_ZN7rocprim17ROCPRIM_400000_NS6detail17trampoline_kernelINS0_14default_configENS1_35radix_sort_onesweep_config_selectorIhNS0_10empty_typeEEEZNS1_34radix_sort_onesweep_global_offsetsIS3_Lb0EPKhPS5_mNS0_19identity_decomposerEEE10hipError_tT1_T2_PT3_SF_jT4_jjP12ihipStream_tbEUlT_E0_NS1_11comp_targetILNS1_3genE4ELNS1_11target_archE910ELNS1_3gpuE8ELNS1_3repE0EEENS1_52radix_sort_onesweep_histogram_config_static_selectorELNS0_4arch9wavefront6targetE0EEEvSD_,comdat
.Lfunc_end214:
	.size	_ZN7rocprim17ROCPRIM_400000_NS6detail17trampoline_kernelINS0_14default_configENS1_35radix_sort_onesweep_config_selectorIhNS0_10empty_typeEEEZNS1_34radix_sort_onesweep_global_offsetsIS3_Lb0EPKhPS5_mNS0_19identity_decomposerEEE10hipError_tT1_T2_PT3_SF_jT4_jjP12ihipStream_tbEUlT_E0_NS1_11comp_targetILNS1_3genE4ELNS1_11target_archE910ELNS1_3gpuE8ELNS1_3repE0EEENS1_52radix_sort_onesweep_histogram_config_static_selectorELNS0_4arch9wavefront6targetE0EEEvSD_, .Lfunc_end214-_ZN7rocprim17ROCPRIM_400000_NS6detail17trampoline_kernelINS0_14default_configENS1_35radix_sort_onesweep_config_selectorIhNS0_10empty_typeEEEZNS1_34radix_sort_onesweep_global_offsetsIS3_Lb0EPKhPS5_mNS0_19identity_decomposerEEE10hipError_tT1_T2_PT3_SF_jT4_jjP12ihipStream_tbEUlT_E0_NS1_11comp_targetILNS1_3genE4ELNS1_11target_archE910ELNS1_3gpuE8ELNS1_3repE0EEENS1_52radix_sort_onesweep_histogram_config_static_selectorELNS0_4arch9wavefront6targetE0EEEvSD_
                                        ; -- End function
	.set _ZN7rocprim17ROCPRIM_400000_NS6detail17trampoline_kernelINS0_14default_configENS1_35radix_sort_onesweep_config_selectorIhNS0_10empty_typeEEEZNS1_34radix_sort_onesweep_global_offsetsIS3_Lb0EPKhPS5_mNS0_19identity_decomposerEEE10hipError_tT1_T2_PT3_SF_jT4_jjP12ihipStream_tbEUlT_E0_NS1_11comp_targetILNS1_3genE4ELNS1_11target_archE910ELNS1_3gpuE8ELNS1_3repE0EEENS1_52radix_sort_onesweep_histogram_config_static_selectorELNS0_4arch9wavefront6targetE0EEEvSD_.num_vgpr, 0
	.set _ZN7rocprim17ROCPRIM_400000_NS6detail17trampoline_kernelINS0_14default_configENS1_35radix_sort_onesweep_config_selectorIhNS0_10empty_typeEEEZNS1_34radix_sort_onesweep_global_offsetsIS3_Lb0EPKhPS5_mNS0_19identity_decomposerEEE10hipError_tT1_T2_PT3_SF_jT4_jjP12ihipStream_tbEUlT_E0_NS1_11comp_targetILNS1_3genE4ELNS1_11target_archE910ELNS1_3gpuE8ELNS1_3repE0EEENS1_52radix_sort_onesweep_histogram_config_static_selectorELNS0_4arch9wavefront6targetE0EEEvSD_.num_agpr, 0
	.set _ZN7rocprim17ROCPRIM_400000_NS6detail17trampoline_kernelINS0_14default_configENS1_35radix_sort_onesweep_config_selectorIhNS0_10empty_typeEEEZNS1_34radix_sort_onesweep_global_offsetsIS3_Lb0EPKhPS5_mNS0_19identity_decomposerEEE10hipError_tT1_T2_PT3_SF_jT4_jjP12ihipStream_tbEUlT_E0_NS1_11comp_targetILNS1_3genE4ELNS1_11target_archE910ELNS1_3gpuE8ELNS1_3repE0EEENS1_52radix_sort_onesweep_histogram_config_static_selectorELNS0_4arch9wavefront6targetE0EEEvSD_.numbered_sgpr, 0
	.set _ZN7rocprim17ROCPRIM_400000_NS6detail17trampoline_kernelINS0_14default_configENS1_35radix_sort_onesweep_config_selectorIhNS0_10empty_typeEEEZNS1_34radix_sort_onesweep_global_offsetsIS3_Lb0EPKhPS5_mNS0_19identity_decomposerEEE10hipError_tT1_T2_PT3_SF_jT4_jjP12ihipStream_tbEUlT_E0_NS1_11comp_targetILNS1_3genE4ELNS1_11target_archE910ELNS1_3gpuE8ELNS1_3repE0EEENS1_52radix_sort_onesweep_histogram_config_static_selectorELNS0_4arch9wavefront6targetE0EEEvSD_.num_named_barrier, 0
	.set _ZN7rocprim17ROCPRIM_400000_NS6detail17trampoline_kernelINS0_14default_configENS1_35radix_sort_onesweep_config_selectorIhNS0_10empty_typeEEEZNS1_34radix_sort_onesweep_global_offsetsIS3_Lb0EPKhPS5_mNS0_19identity_decomposerEEE10hipError_tT1_T2_PT3_SF_jT4_jjP12ihipStream_tbEUlT_E0_NS1_11comp_targetILNS1_3genE4ELNS1_11target_archE910ELNS1_3gpuE8ELNS1_3repE0EEENS1_52radix_sort_onesweep_histogram_config_static_selectorELNS0_4arch9wavefront6targetE0EEEvSD_.private_seg_size, 0
	.set _ZN7rocprim17ROCPRIM_400000_NS6detail17trampoline_kernelINS0_14default_configENS1_35radix_sort_onesweep_config_selectorIhNS0_10empty_typeEEEZNS1_34radix_sort_onesweep_global_offsetsIS3_Lb0EPKhPS5_mNS0_19identity_decomposerEEE10hipError_tT1_T2_PT3_SF_jT4_jjP12ihipStream_tbEUlT_E0_NS1_11comp_targetILNS1_3genE4ELNS1_11target_archE910ELNS1_3gpuE8ELNS1_3repE0EEENS1_52radix_sort_onesweep_histogram_config_static_selectorELNS0_4arch9wavefront6targetE0EEEvSD_.uses_vcc, 0
	.set _ZN7rocprim17ROCPRIM_400000_NS6detail17trampoline_kernelINS0_14default_configENS1_35radix_sort_onesweep_config_selectorIhNS0_10empty_typeEEEZNS1_34radix_sort_onesweep_global_offsetsIS3_Lb0EPKhPS5_mNS0_19identity_decomposerEEE10hipError_tT1_T2_PT3_SF_jT4_jjP12ihipStream_tbEUlT_E0_NS1_11comp_targetILNS1_3genE4ELNS1_11target_archE910ELNS1_3gpuE8ELNS1_3repE0EEENS1_52radix_sort_onesweep_histogram_config_static_selectorELNS0_4arch9wavefront6targetE0EEEvSD_.uses_flat_scratch, 0
	.set _ZN7rocprim17ROCPRIM_400000_NS6detail17trampoline_kernelINS0_14default_configENS1_35radix_sort_onesweep_config_selectorIhNS0_10empty_typeEEEZNS1_34radix_sort_onesweep_global_offsetsIS3_Lb0EPKhPS5_mNS0_19identity_decomposerEEE10hipError_tT1_T2_PT3_SF_jT4_jjP12ihipStream_tbEUlT_E0_NS1_11comp_targetILNS1_3genE4ELNS1_11target_archE910ELNS1_3gpuE8ELNS1_3repE0EEENS1_52radix_sort_onesweep_histogram_config_static_selectorELNS0_4arch9wavefront6targetE0EEEvSD_.has_dyn_sized_stack, 0
	.set _ZN7rocprim17ROCPRIM_400000_NS6detail17trampoline_kernelINS0_14default_configENS1_35radix_sort_onesweep_config_selectorIhNS0_10empty_typeEEEZNS1_34radix_sort_onesweep_global_offsetsIS3_Lb0EPKhPS5_mNS0_19identity_decomposerEEE10hipError_tT1_T2_PT3_SF_jT4_jjP12ihipStream_tbEUlT_E0_NS1_11comp_targetILNS1_3genE4ELNS1_11target_archE910ELNS1_3gpuE8ELNS1_3repE0EEENS1_52radix_sort_onesweep_histogram_config_static_selectorELNS0_4arch9wavefront6targetE0EEEvSD_.has_recursion, 0
	.set _ZN7rocprim17ROCPRIM_400000_NS6detail17trampoline_kernelINS0_14default_configENS1_35radix_sort_onesweep_config_selectorIhNS0_10empty_typeEEEZNS1_34radix_sort_onesweep_global_offsetsIS3_Lb0EPKhPS5_mNS0_19identity_decomposerEEE10hipError_tT1_T2_PT3_SF_jT4_jjP12ihipStream_tbEUlT_E0_NS1_11comp_targetILNS1_3genE4ELNS1_11target_archE910ELNS1_3gpuE8ELNS1_3repE0EEENS1_52radix_sort_onesweep_histogram_config_static_selectorELNS0_4arch9wavefront6targetE0EEEvSD_.has_indirect_call, 0
	.section	.AMDGPU.csdata,"",@progbits
; Kernel info:
; codeLenInByte = 0
; TotalNumSgprs: 0
; NumVgprs: 0
; ScratchSize: 0
; MemoryBound: 0
; FloatMode: 240
; IeeeMode: 1
; LDSByteSize: 0 bytes/workgroup (compile time only)
; SGPRBlocks: 0
; VGPRBlocks: 0
; NumSGPRsForWavesPerEU: 1
; NumVGPRsForWavesPerEU: 1
; NamedBarCnt: 0
; Occupancy: 16
; WaveLimiterHint : 0
; COMPUTE_PGM_RSRC2:SCRATCH_EN: 0
; COMPUTE_PGM_RSRC2:USER_SGPR: 2
; COMPUTE_PGM_RSRC2:TRAP_HANDLER: 0
; COMPUTE_PGM_RSRC2:TGID_X_EN: 1
; COMPUTE_PGM_RSRC2:TGID_Y_EN: 0
; COMPUTE_PGM_RSRC2:TGID_Z_EN: 0
; COMPUTE_PGM_RSRC2:TIDIG_COMP_CNT: 0
	.section	.text._ZN7rocprim17ROCPRIM_400000_NS6detail17trampoline_kernelINS0_14default_configENS1_35radix_sort_onesweep_config_selectorIhNS0_10empty_typeEEEZNS1_34radix_sort_onesweep_global_offsetsIS3_Lb0EPKhPS5_mNS0_19identity_decomposerEEE10hipError_tT1_T2_PT3_SF_jT4_jjP12ihipStream_tbEUlT_E0_NS1_11comp_targetILNS1_3genE3ELNS1_11target_archE908ELNS1_3gpuE7ELNS1_3repE0EEENS1_52radix_sort_onesweep_histogram_config_static_selectorELNS0_4arch9wavefront6targetE0EEEvSD_,"axG",@progbits,_ZN7rocprim17ROCPRIM_400000_NS6detail17trampoline_kernelINS0_14default_configENS1_35radix_sort_onesweep_config_selectorIhNS0_10empty_typeEEEZNS1_34radix_sort_onesweep_global_offsetsIS3_Lb0EPKhPS5_mNS0_19identity_decomposerEEE10hipError_tT1_T2_PT3_SF_jT4_jjP12ihipStream_tbEUlT_E0_NS1_11comp_targetILNS1_3genE3ELNS1_11target_archE908ELNS1_3gpuE7ELNS1_3repE0EEENS1_52radix_sort_onesweep_histogram_config_static_selectorELNS0_4arch9wavefront6targetE0EEEvSD_,comdat
	.protected	_ZN7rocprim17ROCPRIM_400000_NS6detail17trampoline_kernelINS0_14default_configENS1_35radix_sort_onesweep_config_selectorIhNS0_10empty_typeEEEZNS1_34radix_sort_onesweep_global_offsetsIS3_Lb0EPKhPS5_mNS0_19identity_decomposerEEE10hipError_tT1_T2_PT3_SF_jT4_jjP12ihipStream_tbEUlT_E0_NS1_11comp_targetILNS1_3genE3ELNS1_11target_archE908ELNS1_3gpuE7ELNS1_3repE0EEENS1_52radix_sort_onesweep_histogram_config_static_selectorELNS0_4arch9wavefront6targetE0EEEvSD_ ; -- Begin function _ZN7rocprim17ROCPRIM_400000_NS6detail17trampoline_kernelINS0_14default_configENS1_35radix_sort_onesweep_config_selectorIhNS0_10empty_typeEEEZNS1_34radix_sort_onesweep_global_offsetsIS3_Lb0EPKhPS5_mNS0_19identity_decomposerEEE10hipError_tT1_T2_PT3_SF_jT4_jjP12ihipStream_tbEUlT_E0_NS1_11comp_targetILNS1_3genE3ELNS1_11target_archE908ELNS1_3gpuE7ELNS1_3repE0EEENS1_52radix_sort_onesweep_histogram_config_static_selectorELNS0_4arch9wavefront6targetE0EEEvSD_
	.globl	_ZN7rocprim17ROCPRIM_400000_NS6detail17trampoline_kernelINS0_14default_configENS1_35radix_sort_onesweep_config_selectorIhNS0_10empty_typeEEEZNS1_34radix_sort_onesweep_global_offsetsIS3_Lb0EPKhPS5_mNS0_19identity_decomposerEEE10hipError_tT1_T2_PT3_SF_jT4_jjP12ihipStream_tbEUlT_E0_NS1_11comp_targetILNS1_3genE3ELNS1_11target_archE908ELNS1_3gpuE7ELNS1_3repE0EEENS1_52radix_sort_onesweep_histogram_config_static_selectorELNS0_4arch9wavefront6targetE0EEEvSD_
	.p2align	8
	.type	_ZN7rocprim17ROCPRIM_400000_NS6detail17trampoline_kernelINS0_14default_configENS1_35radix_sort_onesweep_config_selectorIhNS0_10empty_typeEEEZNS1_34radix_sort_onesweep_global_offsetsIS3_Lb0EPKhPS5_mNS0_19identity_decomposerEEE10hipError_tT1_T2_PT3_SF_jT4_jjP12ihipStream_tbEUlT_E0_NS1_11comp_targetILNS1_3genE3ELNS1_11target_archE908ELNS1_3gpuE7ELNS1_3repE0EEENS1_52radix_sort_onesweep_histogram_config_static_selectorELNS0_4arch9wavefront6targetE0EEEvSD_,@function
_ZN7rocprim17ROCPRIM_400000_NS6detail17trampoline_kernelINS0_14default_configENS1_35radix_sort_onesweep_config_selectorIhNS0_10empty_typeEEEZNS1_34radix_sort_onesweep_global_offsetsIS3_Lb0EPKhPS5_mNS0_19identity_decomposerEEE10hipError_tT1_T2_PT3_SF_jT4_jjP12ihipStream_tbEUlT_E0_NS1_11comp_targetILNS1_3genE3ELNS1_11target_archE908ELNS1_3gpuE7ELNS1_3repE0EEENS1_52radix_sort_onesweep_histogram_config_static_selectorELNS0_4arch9wavefront6targetE0EEEvSD_: ; @_ZN7rocprim17ROCPRIM_400000_NS6detail17trampoline_kernelINS0_14default_configENS1_35radix_sort_onesweep_config_selectorIhNS0_10empty_typeEEEZNS1_34radix_sort_onesweep_global_offsetsIS3_Lb0EPKhPS5_mNS0_19identity_decomposerEEE10hipError_tT1_T2_PT3_SF_jT4_jjP12ihipStream_tbEUlT_E0_NS1_11comp_targetILNS1_3genE3ELNS1_11target_archE908ELNS1_3gpuE7ELNS1_3repE0EEENS1_52radix_sort_onesweep_histogram_config_static_selectorELNS0_4arch9wavefront6targetE0EEEvSD_
; %bb.0:
	.section	.rodata,"a",@progbits
	.p2align	6, 0x0
	.amdhsa_kernel _ZN7rocprim17ROCPRIM_400000_NS6detail17trampoline_kernelINS0_14default_configENS1_35radix_sort_onesweep_config_selectorIhNS0_10empty_typeEEEZNS1_34radix_sort_onesweep_global_offsetsIS3_Lb0EPKhPS5_mNS0_19identity_decomposerEEE10hipError_tT1_T2_PT3_SF_jT4_jjP12ihipStream_tbEUlT_E0_NS1_11comp_targetILNS1_3genE3ELNS1_11target_archE908ELNS1_3gpuE7ELNS1_3repE0EEENS1_52radix_sort_onesweep_histogram_config_static_selectorELNS0_4arch9wavefront6targetE0EEEvSD_
		.amdhsa_group_segment_fixed_size 0
		.amdhsa_private_segment_fixed_size 0
		.amdhsa_kernarg_size 8
		.amdhsa_user_sgpr_count 2
		.amdhsa_user_sgpr_dispatch_ptr 0
		.amdhsa_user_sgpr_queue_ptr 0
		.amdhsa_user_sgpr_kernarg_segment_ptr 1
		.amdhsa_user_sgpr_dispatch_id 0
		.amdhsa_user_sgpr_kernarg_preload_length 0
		.amdhsa_user_sgpr_kernarg_preload_offset 0
		.amdhsa_user_sgpr_private_segment_size 0
		.amdhsa_wavefront_size32 1
		.amdhsa_uses_dynamic_stack 0
		.amdhsa_enable_private_segment 0
		.amdhsa_system_sgpr_workgroup_id_x 1
		.amdhsa_system_sgpr_workgroup_id_y 0
		.amdhsa_system_sgpr_workgroup_id_z 0
		.amdhsa_system_sgpr_workgroup_info 0
		.amdhsa_system_vgpr_workitem_id 0
		.amdhsa_next_free_vgpr 1
		.amdhsa_next_free_sgpr 1
		.amdhsa_named_barrier_count 0
		.amdhsa_reserve_vcc 0
		.amdhsa_float_round_mode_32 0
		.amdhsa_float_round_mode_16_64 0
		.amdhsa_float_denorm_mode_32 3
		.amdhsa_float_denorm_mode_16_64 3
		.amdhsa_fp16_overflow 0
		.amdhsa_memory_ordered 1
		.amdhsa_forward_progress 1
		.amdhsa_inst_pref_size 0
		.amdhsa_round_robin_scheduling 0
		.amdhsa_exception_fp_ieee_invalid_op 0
		.amdhsa_exception_fp_denorm_src 0
		.amdhsa_exception_fp_ieee_div_zero 0
		.amdhsa_exception_fp_ieee_overflow 0
		.amdhsa_exception_fp_ieee_underflow 0
		.amdhsa_exception_fp_ieee_inexact 0
		.amdhsa_exception_int_div_zero 0
	.end_amdhsa_kernel
	.section	.text._ZN7rocprim17ROCPRIM_400000_NS6detail17trampoline_kernelINS0_14default_configENS1_35radix_sort_onesweep_config_selectorIhNS0_10empty_typeEEEZNS1_34radix_sort_onesweep_global_offsetsIS3_Lb0EPKhPS5_mNS0_19identity_decomposerEEE10hipError_tT1_T2_PT3_SF_jT4_jjP12ihipStream_tbEUlT_E0_NS1_11comp_targetILNS1_3genE3ELNS1_11target_archE908ELNS1_3gpuE7ELNS1_3repE0EEENS1_52radix_sort_onesweep_histogram_config_static_selectorELNS0_4arch9wavefront6targetE0EEEvSD_,"axG",@progbits,_ZN7rocprim17ROCPRIM_400000_NS6detail17trampoline_kernelINS0_14default_configENS1_35radix_sort_onesweep_config_selectorIhNS0_10empty_typeEEEZNS1_34radix_sort_onesweep_global_offsetsIS3_Lb0EPKhPS5_mNS0_19identity_decomposerEEE10hipError_tT1_T2_PT3_SF_jT4_jjP12ihipStream_tbEUlT_E0_NS1_11comp_targetILNS1_3genE3ELNS1_11target_archE908ELNS1_3gpuE7ELNS1_3repE0EEENS1_52radix_sort_onesweep_histogram_config_static_selectorELNS0_4arch9wavefront6targetE0EEEvSD_,comdat
.Lfunc_end215:
	.size	_ZN7rocprim17ROCPRIM_400000_NS6detail17trampoline_kernelINS0_14default_configENS1_35radix_sort_onesweep_config_selectorIhNS0_10empty_typeEEEZNS1_34radix_sort_onesweep_global_offsetsIS3_Lb0EPKhPS5_mNS0_19identity_decomposerEEE10hipError_tT1_T2_PT3_SF_jT4_jjP12ihipStream_tbEUlT_E0_NS1_11comp_targetILNS1_3genE3ELNS1_11target_archE908ELNS1_3gpuE7ELNS1_3repE0EEENS1_52radix_sort_onesweep_histogram_config_static_selectorELNS0_4arch9wavefront6targetE0EEEvSD_, .Lfunc_end215-_ZN7rocprim17ROCPRIM_400000_NS6detail17trampoline_kernelINS0_14default_configENS1_35radix_sort_onesweep_config_selectorIhNS0_10empty_typeEEEZNS1_34radix_sort_onesweep_global_offsetsIS3_Lb0EPKhPS5_mNS0_19identity_decomposerEEE10hipError_tT1_T2_PT3_SF_jT4_jjP12ihipStream_tbEUlT_E0_NS1_11comp_targetILNS1_3genE3ELNS1_11target_archE908ELNS1_3gpuE7ELNS1_3repE0EEENS1_52radix_sort_onesweep_histogram_config_static_selectorELNS0_4arch9wavefront6targetE0EEEvSD_
                                        ; -- End function
	.set _ZN7rocprim17ROCPRIM_400000_NS6detail17trampoline_kernelINS0_14default_configENS1_35radix_sort_onesweep_config_selectorIhNS0_10empty_typeEEEZNS1_34radix_sort_onesweep_global_offsetsIS3_Lb0EPKhPS5_mNS0_19identity_decomposerEEE10hipError_tT1_T2_PT3_SF_jT4_jjP12ihipStream_tbEUlT_E0_NS1_11comp_targetILNS1_3genE3ELNS1_11target_archE908ELNS1_3gpuE7ELNS1_3repE0EEENS1_52radix_sort_onesweep_histogram_config_static_selectorELNS0_4arch9wavefront6targetE0EEEvSD_.num_vgpr, 0
	.set _ZN7rocprim17ROCPRIM_400000_NS6detail17trampoline_kernelINS0_14default_configENS1_35radix_sort_onesweep_config_selectorIhNS0_10empty_typeEEEZNS1_34radix_sort_onesweep_global_offsetsIS3_Lb0EPKhPS5_mNS0_19identity_decomposerEEE10hipError_tT1_T2_PT3_SF_jT4_jjP12ihipStream_tbEUlT_E0_NS1_11comp_targetILNS1_3genE3ELNS1_11target_archE908ELNS1_3gpuE7ELNS1_3repE0EEENS1_52radix_sort_onesweep_histogram_config_static_selectorELNS0_4arch9wavefront6targetE0EEEvSD_.num_agpr, 0
	.set _ZN7rocprim17ROCPRIM_400000_NS6detail17trampoline_kernelINS0_14default_configENS1_35radix_sort_onesweep_config_selectorIhNS0_10empty_typeEEEZNS1_34radix_sort_onesweep_global_offsetsIS3_Lb0EPKhPS5_mNS0_19identity_decomposerEEE10hipError_tT1_T2_PT3_SF_jT4_jjP12ihipStream_tbEUlT_E0_NS1_11comp_targetILNS1_3genE3ELNS1_11target_archE908ELNS1_3gpuE7ELNS1_3repE0EEENS1_52radix_sort_onesweep_histogram_config_static_selectorELNS0_4arch9wavefront6targetE0EEEvSD_.numbered_sgpr, 0
	.set _ZN7rocprim17ROCPRIM_400000_NS6detail17trampoline_kernelINS0_14default_configENS1_35radix_sort_onesweep_config_selectorIhNS0_10empty_typeEEEZNS1_34radix_sort_onesweep_global_offsetsIS3_Lb0EPKhPS5_mNS0_19identity_decomposerEEE10hipError_tT1_T2_PT3_SF_jT4_jjP12ihipStream_tbEUlT_E0_NS1_11comp_targetILNS1_3genE3ELNS1_11target_archE908ELNS1_3gpuE7ELNS1_3repE0EEENS1_52radix_sort_onesweep_histogram_config_static_selectorELNS0_4arch9wavefront6targetE0EEEvSD_.num_named_barrier, 0
	.set _ZN7rocprim17ROCPRIM_400000_NS6detail17trampoline_kernelINS0_14default_configENS1_35radix_sort_onesweep_config_selectorIhNS0_10empty_typeEEEZNS1_34radix_sort_onesweep_global_offsetsIS3_Lb0EPKhPS5_mNS0_19identity_decomposerEEE10hipError_tT1_T2_PT3_SF_jT4_jjP12ihipStream_tbEUlT_E0_NS1_11comp_targetILNS1_3genE3ELNS1_11target_archE908ELNS1_3gpuE7ELNS1_3repE0EEENS1_52radix_sort_onesweep_histogram_config_static_selectorELNS0_4arch9wavefront6targetE0EEEvSD_.private_seg_size, 0
	.set _ZN7rocprim17ROCPRIM_400000_NS6detail17trampoline_kernelINS0_14default_configENS1_35radix_sort_onesweep_config_selectorIhNS0_10empty_typeEEEZNS1_34radix_sort_onesweep_global_offsetsIS3_Lb0EPKhPS5_mNS0_19identity_decomposerEEE10hipError_tT1_T2_PT3_SF_jT4_jjP12ihipStream_tbEUlT_E0_NS1_11comp_targetILNS1_3genE3ELNS1_11target_archE908ELNS1_3gpuE7ELNS1_3repE0EEENS1_52radix_sort_onesweep_histogram_config_static_selectorELNS0_4arch9wavefront6targetE0EEEvSD_.uses_vcc, 0
	.set _ZN7rocprim17ROCPRIM_400000_NS6detail17trampoline_kernelINS0_14default_configENS1_35radix_sort_onesweep_config_selectorIhNS0_10empty_typeEEEZNS1_34radix_sort_onesweep_global_offsetsIS3_Lb0EPKhPS5_mNS0_19identity_decomposerEEE10hipError_tT1_T2_PT3_SF_jT4_jjP12ihipStream_tbEUlT_E0_NS1_11comp_targetILNS1_3genE3ELNS1_11target_archE908ELNS1_3gpuE7ELNS1_3repE0EEENS1_52radix_sort_onesweep_histogram_config_static_selectorELNS0_4arch9wavefront6targetE0EEEvSD_.uses_flat_scratch, 0
	.set _ZN7rocprim17ROCPRIM_400000_NS6detail17trampoline_kernelINS0_14default_configENS1_35radix_sort_onesweep_config_selectorIhNS0_10empty_typeEEEZNS1_34radix_sort_onesweep_global_offsetsIS3_Lb0EPKhPS5_mNS0_19identity_decomposerEEE10hipError_tT1_T2_PT3_SF_jT4_jjP12ihipStream_tbEUlT_E0_NS1_11comp_targetILNS1_3genE3ELNS1_11target_archE908ELNS1_3gpuE7ELNS1_3repE0EEENS1_52radix_sort_onesweep_histogram_config_static_selectorELNS0_4arch9wavefront6targetE0EEEvSD_.has_dyn_sized_stack, 0
	.set _ZN7rocprim17ROCPRIM_400000_NS6detail17trampoline_kernelINS0_14default_configENS1_35radix_sort_onesweep_config_selectorIhNS0_10empty_typeEEEZNS1_34radix_sort_onesweep_global_offsetsIS3_Lb0EPKhPS5_mNS0_19identity_decomposerEEE10hipError_tT1_T2_PT3_SF_jT4_jjP12ihipStream_tbEUlT_E0_NS1_11comp_targetILNS1_3genE3ELNS1_11target_archE908ELNS1_3gpuE7ELNS1_3repE0EEENS1_52radix_sort_onesweep_histogram_config_static_selectorELNS0_4arch9wavefront6targetE0EEEvSD_.has_recursion, 0
	.set _ZN7rocprim17ROCPRIM_400000_NS6detail17trampoline_kernelINS0_14default_configENS1_35radix_sort_onesweep_config_selectorIhNS0_10empty_typeEEEZNS1_34radix_sort_onesweep_global_offsetsIS3_Lb0EPKhPS5_mNS0_19identity_decomposerEEE10hipError_tT1_T2_PT3_SF_jT4_jjP12ihipStream_tbEUlT_E0_NS1_11comp_targetILNS1_3genE3ELNS1_11target_archE908ELNS1_3gpuE7ELNS1_3repE0EEENS1_52radix_sort_onesweep_histogram_config_static_selectorELNS0_4arch9wavefront6targetE0EEEvSD_.has_indirect_call, 0
	.section	.AMDGPU.csdata,"",@progbits
; Kernel info:
; codeLenInByte = 0
; TotalNumSgprs: 0
; NumVgprs: 0
; ScratchSize: 0
; MemoryBound: 0
; FloatMode: 240
; IeeeMode: 1
; LDSByteSize: 0 bytes/workgroup (compile time only)
; SGPRBlocks: 0
; VGPRBlocks: 0
; NumSGPRsForWavesPerEU: 1
; NumVGPRsForWavesPerEU: 1
; NamedBarCnt: 0
; Occupancy: 16
; WaveLimiterHint : 0
; COMPUTE_PGM_RSRC2:SCRATCH_EN: 0
; COMPUTE_PGM_RSRC2:USER_SGPR: 2
; COMPUTE_PGM_RSRC2:TRAP_HANDLER: 0
; COMPUTE_PGM_RSRC2:TGID_X_EN: 1
; COMPUTE_PGM_RSRC2:TGID_Y_EN: 0
; COMPUTE_PGM_RSRC2:TGID_Z_EN: 0
; COMPUTE_PGM_RSRC2:TIDIG_COMP_CNT: 0
	.section	.text._ZN7rocprim17ROCPRIM_400000_NS6detail17trampoline_kernelINS0_14default_configENS1_35radix_sort_onesweep_config_selectorIhNS0_10empty_typeEEEZNS1_34radix_sort_onesweep_global_offsetsIS3_Lb0EPKhPS5_mNS0_19identity_decomposerEEE10hipError_tT1_T2_PT3_SF_jT4_jjP12ihipStream_tbEUlT_E0_NS1_11comp_targetILNS1_3genE10ELNS1_11target_archE1201ELNS1_3gpuE5ELNS1_3repE0EEENS1_52radix_sort_onesweep_histogram_config_static_selectorELNS0_4arch9wavefront6targetE0EEEvSD_,"axG",@progbits,_ZN7rocprim17ROCPRIM_400000_NS6detail17trampoline_kernelINS0_14default_configENS1_35radix_sort_onesweep_config_selectorIhNS0_10empty_typeEEEZNS1_34radix_sort_onesweep_global_offsetsIS3_Lb0EPKhPS5_mNS0_19identity_decomposerEEE10hipError_tT1_T2_PT3_SF_jT4_jjP12ihipStream_tbEUlT_E0_NS1_11comp_targetILNS1_3genE10ELNS1_11target_archE1201ELNS1_3gpuE5ELNS1_3repE0EEENS1_52radix_sort_onesweep_histogram_config_static_selectorELNS0_4arch9wavefront6targetE0EEEvSD_,comdat
	.protected	_ZN7rocprim17ROCPRIM_400000_NS6detail17trampoline_kernelINS0_14default_configENS1_35radix_sort_onesweep_config_selectorIhNS0_10empty_typeEEEZNS1_34radix_sort_onesweep_global_offsetsIS3_Lb0EPKhPS5_mNS0_19identity_decomposerEEE10hipError_tT1_T2_PT3_SF_jT4_jjP12ihipStream_tbEUlT_E0_NS1_11comp_targetILNS1_3genE10ELNS1_11target_archE1201ELNS1_3gpuE5ELNS1_3repE0EEENS1_52radix_sort_onesweep_histogram_config_static_selectorELNS0_4arch9wavefront6targetE0EEEvSD_ ; -- Begin function _ZN7rocprim17ROCPRIM_400000_NS6detail17trampoline_kernelINS0_14default_configENS1_35radix_sort_onesweep_config_selectorIhNS0_10empty_typeEEEZNS1_34radix_sort_onesweep_global_offsetsIS3_Lb0EPKhPS5_mNS0_19identity_decomposerEEE10hipError_tT1_T2_PT3_SF_jT4_jjP12ihipStream_tbEUlT_E0_NS1_11comp_targetILNS1_3genE10ELNS1_11target_archE1201ELNS1_3gpuE5ELNS1_3repE0EEENS1_52radix_sort_onesweep_histogram_config_static_selectorELNS0_4arch9wavefront6targetE0EEEvSD_
	.globl	_ZN7rocprim17ROCPRIM_400000_NS6detail17trampoline_kernelINS0_14default_configENS1_35radix_sort_onesweep_config_selectorIhNS0_10empty_typeEEEZNS1_34radix_sort_onesweep_global_offsetsIS3_Lb0EPKhPS5_mNS0_19identity_decomposerEEE10hipError_tT1_T2_PT3_SF_jT4_jjP12ihipStream_tbEUlT_E0_NS1_11comp_targetILNS1_3genE10ELNS1_11target_archE1201ELNS1_3gpuE5ELNS1_3repE0EEENS1_52radix_sort_onesweep_histogram_config_static_selectorELNS0_4arch9wavefront6targetE0EEEvSD_
	.p2align	8
	.type	_ZN7rocprim17ROCPRIM_400000_NS6detail17trampoline_kernelINS0_14default_configENS1_35radix_sort_onesweep_config_selectorIhNS0_10empty_typeEEEZNS1_34radix_sort_onesweep_global_offsetsIS3_Lb0EPKhPS5_mNS0_19identity_decomposerEEE10hipError_tT1_T2_PT3_SF_jT4_jjP12ihipStream_tbEUlT_E0_NS1_11comp_targetILNS1_3genE10ELNS1_11target_archE1201ELNS1_3gpuE5ELNS1_3repE0EEENS1_52radix_sort_onesweep_histogram_config_static_selectorELNS0_4arch9wavefront6targetE0EEEvSD_,@function
_ZN7rocprim17ROCPRIM_400000_NS6detail17trampoline_kernelINS0_14default_configENS1_35radix_sort_onesweep_config_selectorIhNS0_10empty_typeEEEZNS1_34radix_sort_onesweep_global_offsetsIS3_Lb0EPKhPS5_mNS0_19identity_decomposerEEE10hipError_tT1_T2_PT3_SF_jT4_jjP12ihipStream_tbEUlT_E0_NS1_11comp_targetILNS1_3genE10ELNS1_11target_archE1201ELNS1_3gpuE5ELNS1_3repE0EEENS1_52radix_sort_onesweep_histogram_config_static_selectorELNS0_4arch9wavefront6targetE0EEEvSD_: ; @_ZN7rocprim17ROCPRIM_400000_NS6detail17trampoline_kernelINS0_14default_configENS1_35radix_sort_onesweep_config_selectorIhNS0_10empty_typeEEEZNS1_34radix_sort_onesweep_global_offsetsIS3_Lb0EPKhPS5_mNS0_19identity_decomposerEEE10hipError_tT1_T2_PT3_SF_jT4_jjP12ihipStream_tbEUlT_E0_NS1_11comp_targetILNS1_3genE10ELNS1_11target_archE1201ELNS1_3gpuE5ELNS1_3repE0EEENS1_52radix_sort_onesweep_histogram_config_static_selectorELNS0_4arch9wavefront6targetE0EEEvSD_
; %bb.0:
	.section	.rodata,"a",@progbits
	.p2align	6, 0x0
	.amdhsa_kernel _ZN7rocprim17ROCPRIM_400000_NS6detail17trampoline_kernelINS0_14default_configENS1_35radix_sort_onesweep_config_selectorIhNS0_10empty_typeEEEZNS1_34radix_sort_onesweep_global_offsetsIS3_Lb0EPKhPS5_mNS0_19identity_decomposerEEE10hipError_tT1_T2_PT3_SF_jT4_jjP12ihipStream_tbEUlT_E0_NS1_11comp_targetILNS1_3genE10ELNS1_11target_archE1201ELNS1_3gpuE5ELNS1_3repE0EEENS1_52radix_sort_onesweep_histogram_config_static_selectorELNS0_4arch9wavefront6targetE0EEEvSD_
		.amdhsa_group_segment_fixed_size 0
		.amdhsa_private_segment_fixed_size 0
		.amdhsa_kernarg_size 8
		.amdhsa_user_sgpr_count 2
		.amdhsa_user_sgpr_dispatch_ptr 0
		.amdhsa_user_sgpr_queue_ptr 0
		.amdhsa_user_sgpr_kernarg_segment_ptr 1
		.amdhsa_user_sgpr_dispatch_id 0
		.amdhsa_user_sgpr_kernarg_preload_length 0
		.amdhsa_user_sgpr_kernarg_preload_offset 0
		.amdhsa_user_sgpr_private_segment_size 0
		.amdhsa_wavefront_size32 1
		.amdhsa_uses_dynamic_stack 0
		.amdhsa_enable_private_segment 0
		.amdhsa_system_sgpr_workgroup_id_x 1
		.amdhsa_system_sgpr_workgroup_id_y 0
		.amdhsa_system_sgpr_workgroup_id_z 0
		.amdhsa_system_sgpr_workgroup_info 0
		.amdhsa_system_vgpr_workitem_id 0
		.amdhsa_next_free_vgpr 1
		.amdhsa_next_free_sgpr 1
		.amdhsa_named_barrier_count 0
		.amdhsa_reserve_vcc 0
		.amdhsa_float_round_mode_32 0
		.amdhsa_float_round_mode_16_64 0
		.amdhsa_float_denorm_mode_32 3
		.amdhsa_float_denorm_mode_16_64 3
		.amdhsa_fp16_overflow 0
		.amdhsa_memory_ordered 1
		.amdhsa_forward_progress 1
		.amdhsa_inst_pref_size 0
		.amdhsa_round_robin_scheduling 0
		.amdhsa_exception_fp_ieee_invalid_op 0
		.amdhsa_exception_fp_denorm_src 0
		.amdhsa_exception_fp_ieee_div_zero 0
		.amdhsa_exception_fp_ieee_overflow 0
		.amdhsa_exception_fp_ieee_underflow 0
		.amdhsa_exception_fp_ieee_inexact 0
		.amdhsa_exception_int_div_zero 0
	.end_amdhsa_kernel
	.section	.text._ZN7rocprim17ROCPRIM_400000_NS6detail17trampoline_kernelINS0_14default_configENS1_35radix_sort_onesweep_config_selectorIhNS0_10empty_typeEEEZNS1_34radix_sort_onesweep_global_offsetsIS3_Lb0EPKhPS5_mNS0_19identity_decomposerEEE10hipError_tT1_T2_PT3_SF_jT4_jjP12ihipStream_tbEUlT_E0_NS1_11comp_targetILNS1_3genE10ELNS1_11target_archE1201ELNS1_3gpuE5ELNS1_3repE0EEENS1_52radix_sort_onesweep_histogram_config_static_selectorELNS0_4arch9wavefront6targetE0EEEvSD_,"axG",@progbits,_ZN7rocprim17ROCPRIM_400000_NS6detail17trampoline_kernelINS0_14default_configENS1_35radix_sort_onesweep_config_selectorIhNS0_10empty_typeEEEZNS1_34radix_sort_onesweep_global_offsetsIS3_Lb0EPKhPS5_mNS0_19identity_decomposerEEE10hipError_tT1_T2_PT3_SF_jT4_jjP12ihipStream_tbEUlT_E0_NS1_11comp_targetILNS1_3genE10ELNS1_11target_archE1201ELNS1_3gpuE5ELNS1_3repE0EEENS1_52radix_sort_onesweep_histogram_config_static_selectorELNS0_4arch9wavefront6targetE0EEEvSD_,comdat
.Lfunc_end216:
	.size	_ZN7rocprim17ROCPRIM_400000_NS6detail17trampoline_kernelINS0_14default_configENS1_35radix_sort_onesweep_config_selectorIhNS0_10empty_typeEEEZNS1_34radix_sort_onesweep_global_offsetsIS3_Lb0EPKhPS5_mNS0_19identity_decomposerEEE10hipError_tT1_T2_PT3_SF_jT4_jjP12ihipStream_tbEUlT_E0_NS1_11comp_targetILNS1_3genE10ELNS1_11target_archE1201ELNS1_3gpuE5ELNS1_3repE0EEENS1_52radix_sort_onesweep_histogram_config_static_selectorELNS0_4arch9wavefront6targetE0EEEvSD_, .Lfunc_end216-_ZN7rocprim17ROCPRIM_400000_NS6detail17trampoline_kernelINS0_14default_configENS1_35radix_sort_onesweep_config_selectorIhNS0_10empty_typeEEEZNS1_34radix_sort_onesweep_global_offsetsIS3_Lb0EPKhPS5_mNS0_19identity_decomposerEEE10hipError_tT1_T2_PT3_SF_jT4_jjP12ihipStream_tbEUlT_E0_NS1_11comp_targetILNS1_3genE10ELNS1_11target_archE1201ELNS1_3gpuE5ELNS1_3repE0EEENS1_52radix_sort_onesweep_histogram_config_static_selectorELNS0_4arch9wavefront6targetE0EEEvSD_
                                        ; -- End function
	.set _ZN7rocprim17ROCPRIM_400000_NS6detail17trampoline_kernelINS0_14default_configENS1_35radix_sort_onesweep_config_selectorIhNS0_10empty_typeEEEZNS1_34radix_sort_onesweep_global_offsetsIS3_Lb0EPKhPS5_mNS0_19identity_decomposerEEE10hipError_tT1_T2_PT3_SF_jT4_jjP12ihipStream_tbEUlT_E0_NS1_11comp_targetILNS1_3genE10ELNS1_11target_archE1201ELNS1_3gpuE5ELNS1_3repE0EEENS1_52radix_sort_onesweep_histogram_config_static_selectorELNS0_4arch9wavefront6targetE0EEEvSD_.num_vgpr, 0
	.set _ZN7rocprim17ROCPRIM_400000_NS6detail17trampoline_kernelINS0_14default_configENS1_35radix_sort_onesweep_config_selectorIhNS0_10empty_typeEEEZNS1_34radix_sort_onesweep_global_offsetsIS3_Lb0EPKhPS5_mNS0_19identity_decomposerEEE10hipError_tT1_T2_PT3_SF_jT4_jjP12ihipStream_tbEUlT_E0_NS1_11comp_targetILNS1_3genE10ELNS1_11target_archE1201ELNS1_3gpuE5ELNS1_3repE0EEENS1_52radix_sort_onesweep_histogram_config_static_selectorELNS0_4arch9wavefront6targetE0EEEvSD_.num_agpr, 0
	.set _ZN7rocprim17ROCPRIM_400000_NS6detail17trampoline_kernelINS0_14default_configENS1_35radix_sort_onesweep_config_selectorIhNS0_10empty_typeEEEZNS1_34radix_sort_onesweep_global_offsetsIS3_Lb0EPKhPS5_mNS0_19identity_decomposerEEE10hipError_tT1_T2_PT3_SF_jT4_jjP12ihipStream_tbEUlT_E0_NS1_11comp_targetILNS1_3genE10ELNS1_11target_archE1201ELNS1_3gpuE5ELNS1_3repE0EEENS1_52radix_sort_onesweep_histogram_config_static_selectorELNS0_4arch9wavefront6targetE0EEEvSD_.numbered_sgpr, 0
	.set _ZN7rocprim17ROCPRIM_400000_NS6detail17trampoline_kernelINS0_14default_configENS1_35radix_sort_onesweep_config_selectorIhNS0_10empty_typeEEEZNS1_34radix_sort_onesweep_global_offsetsIS3_Lb0EPKhPS5_mNS0_19identity_decomposerEEE10hipError_tT1_T2_PT3_SF_jT4_jjP12ihipStream_tbEUlT_E0_NS1_11comp_targetILNS1_3genE10ELNS1_11target_archE1201ELNS1_3gpuE5ELNS1_3repE0EEENS1_52radix_sort_onesweep_histogram_config_static_selectorELNS0_4arch9wavefront6targetE0EEEvSD_.num_named_barrier, 0
	.set _ZN7rocprim17ROCPRIM_400000_NS6detail17trampoline_kernelINS0_14default_configENS1_35radix_sort_onesweep_config_selectorIhNS0_10empty_typeEEEZNS1_34radix_sort_onesweep_global_offsetsIS3_Lb0EPKhPS5_mNS0_19identity_decomposerEEE10hipError_tT1_T2_PT3_SF_jT4_jjP12ihipStream_tbEUlT_E0_NS1_11comp_targetILNS1_3genE10ELNS1_11target_archE1201ELNS1_3gpuE5ELNS1_3repE0EEENS1_52radix_sort_onesweep_histogram_config_static_selectorELNS0_4arch9wavefront6targetE0EEEvSD_.private_seg_size, 0
	.set _ZN7rocprim17ROCPRIM_400000_NS6detail17trampoline_kernelINS0_14default_configENS1_35radix_sort_onesweep_config_selectorIhNS0_10empty_typeEEEZNS1_34radix_sort_onesweep_global_offsetsIS3_Lb0EPKhPS5_mNS0_19identity_decomposerEEE10hipError_tT1_T2_PT3_SF_jT4_jjP12ihipStream_tbEUlT_E0_NS1_11comp_targetILNS1_3genE10ELNS1_11target_archE1201ELNS1_3gpuE5ELNS1_3repE0EEENS1_52radix_sort_onesweep_histogram_config_static_selectorELNS0_4arch9wavefront6targetE0EEEvSD_.uses_vcc, 0
	.set _ZN7rocprim17ROCPRIM_400000_NS6detail17trampoline_kernelINS0_14default_configENS1_35radix_sort_onesweep_config_selectorIhNS0_10empty_typeEEEZNS1_34radix_sort_onesweep_global_offsetsIS3_Lb0EPKhPS5_mNS0_19identity_decomposerEEE10hipError_tT1_T2_PT3_SF_jT4_jjP12ihipStream_tbEUlT_E0_NS1_11comp_targetILNS1_3genE10ELNS1_11target_archE1201ELNS1_3gpuE5ELNS1_3repE0EEENS1_52radix_sort_onesweep_histogram_config_static_selectorELNS0_4arch9wavefront6targetE0EEEvSD_.uses_flat_scratch, 0
	.set _ZN7rocprim17ROCPRIM_400000_NS6detail17trampoline_kernelINS0_14default_configENS1_35radix_sort_onesweep_config_selectorIhNS0_10empty_typeEEEZNS1_34radix_sort_onesweep_global_offsetsIS3_Lb0EPKhPS5_mNS0_19identity_decomposerEEE10hipError_tT1_T2_PT3_SF_jT4_jjP12ihipStream_tbEUlT_E0_NS1_11comp_targetILNS1_3genE10ELNS1_11target_archE1201ELNS1_3gpuE5ELNS1_3repE0EEENS1_52radix_sort_onesweep_histogram_config_static_selectorELNS0_4arch9wavefront6targetE0EEEvSD_.has_dyn_sized_stack, 0
	.set _ZN7rocprim17ROCPRIM_400000_NS6detail17trampoline_kernelINS0_14default_configENS1_35radix_sort_onesweep_config_selectorIhNS0_10empty_typeEEEZNS1_34radix_sort_onesweep_global_offsetsIS3_Lb0EPKhPS5_mNS0_19identity_decomposerEEE10hipError_tT1_T2_PT3_SF_jT4_jjP12ihipStream_tbEUlT_E0_NS1_11comp_targetILNS1_3genE10ELNS1_11target_archE1201ELNS1_3gpuE5ELNS1_3repE0EEENS1_52radix_sort_onesweep_histogram_config_static_selectorELNS0_4arch9wavefront6targetE0EEEvSD_.has_recursion, 0
	.set _ZN7rocprim17ROCPRIM_400000_NS6detail17trampoline_kernelINS0_14default_configENS1_35radix_sort_onesweep_config_selectorIhNS0_10empty_typeEEEZNS1_34radix_sort_onesweep_global_offsetsIS3_Lb0EPKhPS5_mNS0_19identity_decomposerEEE10hipError_tT1_T2_PT3_SF_jT4_jjP12ihipStream_tbEUlT_E0_NS1_11comp_targetILNS1_3genE10ELNS1_11target_archE1201ELNS1_3gpuE5ELNS1_3repE0EEENS1_52radix_sort_onesweep_histogram_config_static_selectorELNS0_4arch9wavefront6targetE0EEEvSD_.has_indirect_call, 0
	.section	.AMDGPU.csdata,"",@progbits
; Kernel info:
; codeLenInByte = 0
; TotalNumSgprs: 0
; NumVgprs: 0
; ScratchSize: 0
; MemoryBound: 0
; FloatMode: 240
; IeeeMode: 1
; LDSByteSize: 0 bytes/workgroup (compile time only)
; SGPRBlocks: 0
; VGPRBlocks: 0
; NumSGPRsForWavesPerEU: 1
; NumVGPRsForWavesPerEU: 1
; NamedBarCnt: 0
; Occupancy: 16
; WaveLimiterHint : 0
; COMPUTE_PGM_RSRC2:SCRATCH_EN: 0
; COMPUTE_PGM_RSRC2:USER_SGPR: 2
; COMPUTE_PGM_RSRC2:TRAP_HANDLER: 0
; COMPUTE_PGM_RSRC2:TGID_X_EN: 1
; COMPUTE_PGM_RSRC2:TGID_Y_EN: 0
; COMPUTE_PGM_RSRC2:TGID_Z_EN: 0
; COMPUTE_PGM_RSRC2:TIDIG_COMP_CNT: 0
	.section	.text._ZN7rocprim17ROCPRIM_400000_NS6detail17trampoline_kernelINS0_14default_configENS1_35radix_sort_onesweep_config_selectorIhNS0_10empty_typeEEEZNS1_34radix_sort_onesweep_global_offsetsIS3_Lb0EPKhPS5_mNS0_19identity_decomposerEEE10hipError_tT1_T2_PT3_SF_jT4_jjP12ihipStream_tbEUlT_E0_NS1_11comp_targetILNS1_3genE9ELNS1_11target_archE1100ELNS1_3gpuE3ELNS1_3repE0EEENS1_52radix_sort_onesweep_histogram_config_static_selectorELNS0_4arch9wavefront6targetE0EEEvSD_,"axG",@progbits,_ZN7rocprim17ROCPRIM_400000_NS6detail17trampoline_kernelINS0_14default_configENS1_35radix_sort_onesweep_config_selectorIhNS0_10empty_typeEEEZNS1_34radix_sort_onesweep_global_offsetsIS3_Lb0EPKhPS5_mNS0_19identity_decomposerEEE10hipError_tT1_T2_PT3_SF_jT4_jjP12ihipStream_tbEUlT_E0_NS1_11comp_targetILNS1_3genE9ELNS1_11target_archE1100ELNS1_3gpuE3ELNS1_3repE0EEENS1_52radix_sort_onesweep_histogram_config_static_selectorELNS0_4arch9wavefront6targetE0EEEvSD_,comdat
	.protected	_ZN7rocprim17ROCPRIM_400000_NS6detail17trampoline_kernelINS0_14default_configENS1_35radix_sort_onesweep_config_selectorIhNS0_10empty_typeEEEZNS1_34radix_sort_onesweep_global_offsetsIS3_Lb0EPKhPS5_mNS0_19identity_decomposerEEE10hipError_tT1_T2_PT3_SF_jT4_jjP12ihipStream_tbEUlT_E0_NS1_11comp_targetILNS1_3genE9ELNS1_11target_archE1100ELNS1_3gpuE3ELNS1_3repE0EEENS1_52radix_sort_onesweep_histogram_config_static_selectorELNS0_4arch9wavefront6targetE0EEEvSD_ ; -- Begin function _ZN7rocprim17ROCPRIM_400000_NS6detail17trampoline_kernelINS0_14default_configENS1_35radix_sort_onesweep_config_selectorIhNS0_10empty_typeEEEZNS1_34radix_sort_onesweep_global_offsetsIS3_Lb0EPKhPS5_mNS0_19identity_decomposerEEE10hipError_tT1_T2_PT3_SF_jT4_jjP12ihipStream_tbEUlT_E0_NS1_11comp_targetILNS1_3genE9ELNS1_11target_archE1100ELNS1_3gpuE3ELNS1_3repE0EEENS1_52radix_sort_onesweep_histogram_config_static_selectorELNS0_4arch9wavefront6targetE0EEEvSD_
	.globl	_ZN7rocprim17ROCPRIM_400000_NS6detail17trampoline_kernelINS0_14default_configENS1_35radix_sort_onesweep_config_selectorIhNS0_10empty_typeEEEZNS1_34radix_sort_onesweep_global_offsetsIS3_Lb0EPKhPS5_mNS0_19identity_decomposerEEE10hipError_tT1_T2_PT3_SF_jT4_jjP12ihipStream_tbEUlT_E0_NS1_11comp_targetILNS1_3genE9ELNS1_11target_archE1100ELNS1_3gpuE3ELNS1_3repE0EEENS1_52radix_sort_onesweep_histogram_config_static_selectorELNS0_4arch9wavefront6targetE0EEEvSD_
	.p2align	8
	.type	_ZN7rocprim17ROCPRIM_400000_NS6detail17trampoline_kernelINS0_14default_configENS1_35radix_sort_onesweep_config_selectorIhNS0_10empty_typeEEEZNS1_34radix_sort_onesweep_global_offsetsIS3_Lb0EPKhPS5_mNS0_19identity_decomposerEEE10hipError_tT1_T2_PT3_SF_jT4_jjP12ihipStream_tbEUlT_E0_NS1_11comp_targetILNS1_3genE9ELNS1_11target_archE1100ELNS1_3gpuE3ELNS1_3repE0EEENS1_52radix_sort_onesweep_histogram_config_static_selectorELNS0_4arch9wavefront6targetE0EEEvSD_,@function
_ZN7rocprim17ROCPRIM_400000_NS6detail17trampoline_kernelINS0_14default_configENS1_35radix_sort_onesweep_config_selectorIhNS0_10empty_typeEEEZNS1_34radix_sort_onesweep_global_offsetsIS3_Lb0EPKhPS5_mNS0_19identity_decomposerEEE10hipError_tT1_T2_PT3_SF_jT4_jjP12ihipStream_tbEUlT_E0_NS1_11comp_targetILNS1_3genE9ELNS1_11target_archE1100ELNS1_3gpuE3ELNS1_3repE0EEENS1_52radix_sort_onesweep_histogram_config_static_selectorELNS0_4arch9wavefront6targetE0EEEvSD_: ; @_ZN7rocprim17ROCPRIM_400000_NS6detail17trampoline_kernelINS0_14default_configENS1_35radix_sort_onesweep_config_selectorIhNS0_10empty_typeEEEZNS1_34radix_sort_onesweep_global_offsetsIS3_Lb0EPKhPS5_mNS0_19identity_decomposerEEE10hipError_tT1_T2_PT3_SF_jT4_jjP12ihipStream_tbEUlT_E0_NS1_11comp_targetILNS1_3genE9ELNS1_11target_archE1100ELNS1_3gpuE3ELNS1_3repE0EEENS1_52radix_sort_onesweep_histogram_config_static_selectorELNS0_4arch9wavefront6targetE0EEEvSD_
; %bb.0:
	.section	.rodata,"a",@progbits
	.p2align	6, 0x0
	.amdhsa_kernel _ZN7rocprim17ROCPRIM_400000_NS6detail17trampoline_kernelINS0_14default_configENS1_35radix_sort_onesweep_config_selectorIhNS0_10empty_typeEEEZNS1_34radix_sort_onesweep_global_offsetsIS3_Lb0EPKhPS5_mNS0_19identity_decomposerEEE10hipError_tT1_T2_PT3_SF_jT4_jjP12ihipStream_tbEUlT_E0_NS1_11comp_targetILNS1_3genE9ELNS1_11target_archE1100ELNS1_3gpuE3ELNS1_3repE0EEENS1_52radix_sort_onesweep_histogram_config_static_selectorELNS0_4arch9wavefront6targetE0EEEvSD_
		.amdhsa_group_segment_fixed_size 0
		.amdhsa_private_segment_fixed_size 0
		.amdhsa_kernarg_size 8
		.amdhsa_user_sgpr_count 2
		.amdhsa_user_sgpr_dispatch_ptr 0
		.amdhsa_user_sgpr_queue_ptr 0
		.amdhsa_user_sgpr_kernarg_segment_ptr 1
		.amdhsa_user_sgpr_dispatch_id 0
		.amdhsa_user_sgpr_kernarg_preload_length 0
		.amdhsa_user_sgpr_kernarg_preload_offset 0
		.amdhsa_user_sgpr_private_segment_size 0
		.amdhsa_wavefront_size32 1
		.amdhsa_uses_dynamic_stack 0
		.amdhsa_enable_private_segment 0
		.amdhsa_system_sgpr_workgroup_id_x 1
		.amdhsa_system_sgpr_workgroup_id_y 0
		.amdhsa_system_sgpr_workgroup_id_z 0
		.amdhsa_system_sgpr_workgroup_info 0
		.amdhsa_system_vgpr_workitem_id 0
		.amdhsa_next_free_vgpr 1
		.amdhsa_next_free_sgpr 1
		.amdhsa_named_barrier_count 0
		.amdhsa_reserve_vcc 0
		.amdhsa_float_round_mode_32 0
		.amdhsa_float_round_mode_16_64 0
		.amdhsa_float_denorm_mode_32 3
		.amdhsa_float_denorm_mode_16_64 3
		.amdhsa_fp16_overflow 0
		.amdhsa_memory_ordered 1
		.amdhsa_forward_progress 1
		.amdhsa_inst_pref_size 0
		.amdhsa_round_robin_scheduling 0
		.amdhsa_exception_fp_ieee_invalid_op 0
		.amdhsa_exception_fp_denorm_src 0
		.amdhsa_exception_fp_ieee_div_zero 0
		.amdhsa_exception_fp_ieee_overflow 0
		.amdhsa_exception_fp_ieee_underflow 0
		.amdhsa_exception_fp_ieee_inexact 0
		.amdhsa_exception_int_div_zero 0
	.end_amdhsa_kernel
	.section	.text._ZN7rocprim17ROCPRIM_400000_NS6detail17trampoline_kernelINS0_14default_configENS1_35radix_sort_onesweep_config_selectorIhNS0_10empty_typeEEEZNS1_34radix_sort_onesweep_global_offsetsIS3_Lb0EPKhPS5_mNS0_19identity_decomposerEEE10hipError_tT1_T2_PT3_SF_jT4_jjP12ihipStream_tbEUlT_E0_NS1_11comp_targetILNS1_3genE9ELNS1_11target_archE1100ELNS1_3gpuE3ELNS1_3repE0EEENS1_52radix_sort_onesweep_histogram_config_static_selectorELNS0_4arch9wavefront6targetE0EEEvSD_,"axG",@progbits,_ZN7rocprim17ROCPRIM_400000_NS6detail17trampoline_kernelINS0_14default_configENS1_35radix_sort_onesweep_config_selectorIhNS0_10empty_typeEEEZNS1_34radix_sort_onesweep_global_offsetsIS3_Lb0EPKhPS5_mNS0_19identity_decomposerEEE10hipError_tT1_T2_PT3_SF_jT4_jjP12ihipStream_tbEUlT_E0_NS1_11comp_targetILNS1_3genE9ELNS1_11target_archE1100ELNS1_3gpuE3ELNS1_3repE0EEENS1_52radix_sort_onesweep_histogram_config_static_selectorELNS0_4arch9wavefront6targetE0EEEvSD_,comdat
.Lfunc_end217:
	.size	_ZN7rocprim17ROCPRIM_400000_NS6detail17trampoline_kernelINS0_14default_configENS1_35radix_sort_onesweep_config_selectorIhNS0_10empty_typeEEEZNS1_34radix_sort_onesweep_global_offsetsIS3_Lb0EPKhPS5_mNS0_19identity_decomposerEEE10hipError_tT1_T2_PT3_SF_jT4_jjP12ihipStream_tbEUlT_E0_NS1_11comp_targetILNS1_3genE9ELNS1_11target_archE1100ELNS1_3gpuE3ELNS1_3repE0EEENS1_52radix_sort_onesweep_histogram_config_static_selectorELNS0_4arch9wavefront6targetE0EEEvSD_, .Lfunc_end217-_ZN7rocprim17ROCPRIM_400000_NS6detail17trampoline_kernelINS0_14default_configENS1_35radix_sort_onesweep_config_selectorIhNS0_10empty_typeEEEZNS1_34radix_sort_onesweep_global_offsetsIS3_Lb0EPKhPS5_mNS0_19identity_decomposerEEE10hipError_tT1_T2_PT3_SF_jT4_jjP12ihipStream_tbEUlT_E0_NS1_11comp_targetILNS1_3genE9ELNS1_11target_archE1100ELNS1_3gpuE3ELNS1_3repE0EEENS1_52radix_sort_onesweep_histogram_config_static_selectorELNS0_4arch9wavefront6targetE0EEEvSD_
                                        ; -- End function
	.set _ZN7rocprim17ROCPRIM_400000_NS6detail17trampoline_kernelINS0_14default_configENS1_35radix_sort_onesweep_config_selectorIhNS0_10empty_typeEEEZNS1_34radix_sort_onesweep_global_offsetsIS3_Lb0EPKhPS5_mNS0_19identity_decomposerEEE10hipError_tT1_T2_PT3_SF_jT4_jjP12ihipStream_tbEUlT_E0_NS1_11comp_targetILNS1_3genE9ELNS1_11target_archE1100ELNS1_3gpuE3ELNS1_3repE0EEENS1_52radix_sort_onesweep_histogram_config_static_selectorELNS0_4arch9wavefront6targetE0EEEvSD_.num_vgpr, 0
	.set _ZN7rocprim17ROCPRIM_400000_NS6detail17trampoline_kernelINS0_14default_configENS1_35radix_sort_onesweep_config_selectorIhNS0_10empty_typeEEEZNS1_34radix_sort_onesweep_global_offsetsIS3_Lb0EPKhPS5_mNS0_19identity_decomposerEEE10hipError_tT1_T2_PT3_SF_jT4_jjP12ihipStream_tbEUlT_E0_NS1_11comp_targetILNS1_3genE9ELNS1_11target_archE1100ELNS1_3gpuE3ELNS1_3repE0EEENS1_52radix_sort_onesweep_histogram_config_static_selectorELNS0_4arch9wavefront6targetE0EEEvSD_.num_agpr, 0
	.set _ZN7rocprim17ROCPRIM_400000_NS6detail17trampoline_kernelINS0_14default_configENS1_35radix_sort_onesweep_config_selectorIhNS0_10empty_typeEEEZNS1_34radix_sort_onesweep_global_offsetsIS3_Lb0EPKhPS5_mNS0_19identity_decomposerEEE10hipError_tT1_T2_PT3_SF_jT4_jjP12ihipStream_tbEUlT_E0_NS1_11comp_targetILNS1_3genE9ELNS1_11target_archE1100ELNS1_3gpuE3ELNS1_3repE0EEENS1_52radix_sort_onesweep_histogram_config_static_selectorELNS0_4arch9wavefront6targetE0EEEvSD_.numbered_sgpr, 0
	.set _ZN7rocprim17ROCPRIM_400000_NS6detail17trampoline_kernelINS0_14default_configENS1_35radix_sort_onesweep_config_selectorIhNS0_10empty_typeEEEZNS1_34radix_sort_onesweep_global_offsetsIS3_Lb0EPKhPS5_mNS0_19identity_decomposerEEE10hipError_tT1_T2_PT3_SF_jT4_jjP12ihipStream_tbEUlT_E0_NS1_11comp_targetILNS1_3genE9ELNS1_11target_archE1100ELNS1_3gpuE3ELNS1_3repE0EEENS1_52radix_sort_onesweep_histogram_config_static_selectorELNS0_4arch9wavefront6targetE0EEEvSD_.num_named_barrier, 0
	.set _ZN7rocprim17ROCPRIM_400000_NS6detail17trampoline_kernelINS0_14default_configENS1_35radix_sort_onesweep_config_selectorIhNS0_10empty_typeEEEZNS1_34radix_sort_onesweep_global_offsetsIS3_Lb0EPKhPS5_mNS0_19identity_decomposerEEE10hipError_tT1_T2_PT3_SF_jT4_jjP12ihipStream_tbEUlT_E0_NS1_11comp_targetILNS1_3genE9ELNS1_11target_archE1100ELNS1_3gpuE3ELNS1_3repE0EEENS1_52radix_sort_onesweep_histogram_config_static_selectorELNS0_4arch9wavefront6targetE0EEEvSD_.private_seg_size, 0
	.set _ZN7rocprim17ROCPRIM_400000_NS6detail17trampoline_kernelINS0_14default_configENS1_35radix_sort_onesweep_config_selectorIhNS0_10empty_typeEEEZNS1_34radix_sort_onesweep_global_offsetsIS3_Lb0EPKhPS5_mNS0_19identity_decomposerEEE10hipError_tT1_T2_PT3_SF_jT4_jjP12ihipStream_tbEUlT_E0_NS1_11comp_targetILNS1_3genE9ELNS1_11target_archE1100ELNS1_3gpuE3ELNS1_3repE0EEENS1_52radix_sort_onesweep_histogram_config_static_selectorELNS0_4arch9wavefront6targetE0EEEvSD_.uses_vcc, 0
	.set _ZN7rocprim17ROCPRIM_400000_NS6detail17trampoline_kernelINS0_14default_configENS1_35radix_sort_onesweep_config_selectorIhNS0_10empty_typeEEEZNS1_34radix_sort_onesweep_global_offsetsIS3_Lb0EPKhPS5_mNS0_19identity_decomposerEEE10hipError_tT1_T2_PT3_SF_jT4_jjP12ihipStream_tbEUlT_E0_NS1_11comp_targetILNS1_3genE9ELNS1_11target_archE1100ELNS1_3gpuE3ELNS1_3repE0EEENS1_52radix_sort_onesweep_histogram_config_static_selectorELNS0_4arch9wavefront6targetE0EEEvSD_.uses_flat_scratch, 0
	.set _ZN7rocprim17ROCPRIM_400000_NS6detail17trampoline_kernelINS0_14default_configENS1_35radix_sort_onesweep_config_selectorIhNS0_10empty_typeEEEZNS1_34radix_sort_onesweep_global_offsetsIS3_Lb0EPKhPS5_mNS0_19identity_decomposerEEE10hipError_tT1_T2_PT3_SF_jT4_jjP12ihipStream_tbEUlT_E0_NS1_11comp_targetILNS1_3genE9ELNS1_11target_archE1100ELNS1_3gpuE3ELNS1_3repE0EEENS1_52radix_sort_onesweep_histogram_config_static_selectorELNS0_4arch9wavefront6targetE0EEEvSD_.has_dyn_sized_stack, 0
	.set _ZN7rocprim17ROCPRIM_400000_NS6detail17trampoline_kernelINS0_14default_configENS1_35radix_sort_onesweep_config_selectorIhNS0_10empty_typeEEEZNS1_34radix_sort_onesweep_global_offsetsIS3_Lb0EPKhPS5_mNS0_19identity_decomposerEEE10hipError_tT1_T2_PT3_SF_jT4_jjP12ihipStream_tbEUlT_E0_NS1_11comp_targetILNS1_3genE9ELNS1_11target_archE1100ELNS1_3gpuE3ELNS1_3repE0EEENS1_52radix_sort_onesweep_histogram_config_static_selectorELNS0_4arch9wavefront6targetE0EEEvSD_.has_recursion, 0
	.set _ZN7rocprim17ROCPRIM_400000_NS6detail17trampoline_kernelINS0_14default_configENS1_35radix_sort_onesweep_config_selectorIhNS0_10empty_typeEEEZNS1_34radix_sort_onesweep_global_offsetsIS3_Lb0EPKhPS5_mNS0_19identity_decomposerEEE10hipError_tT1_T2_PT3_SF_jT4_jjP12ihipStream_tbEUlT_E0_NS1_11comp_targetILNS1_3genE9ELNS1_11target_archE1100ELNS1_3gpuE3ELNS1_3repE0EEENS1_52radix_sort_onesweep_histogram_config_static_selectorELNS0_4arch9wavefront6targetE0EEEvSD_.has_indirect_call, 0
	.section	.AMDGPU.csdata,"",@progbits
; Kernel info:
; codeLenInByte = 0
; TotalNumSgprs: 0
; NumVgprs: 0
; ScratchSize: 0
; MemoryBound: 0
; FloatMode: 240
; IeeeMode: 1
; LDSByteSize: 0 bytes/workgroup (compile time only)
; SGPRBlocks: 0
; VGPRBlocks: 0
; NumSGPRsForWavesPerEU: 1
; NumVGPRsForWavesPerEU: 1
; NamedBarCnt: 0
; Occupancy: 16
; WaveLimiterHint : 0
; COMPUTE_PGM_RSRC2:SCRATCH_EN: 0
; COMPUTE_PGM_RSRC2:USER_SGPR: 2
; COMPUTE_PGM_RSRC2:TRAP_HANDLER: 0
; COMPUTE_PGM_RSRC2:TGID_X_EN: 1
; COMPUTE_PGM_RSRC2:TGID_Y_EN: 0
; COMPUTE_PGM_RSRC2:TGID_Z_EN: 0
; COMPUTE_PGM_RSRC2:TIDIG_COMP_CNT: 0
	.section	.text._ZN7rocprim17ROCPRIM_400000_NS6detail17trampoline_kernelINS0_14default_configENS1_35radix_sort_onesweep_config_selectorIhNS0_10empty_typeEEEZNS1_34radix_sort_onesweep_global_offsetsIS3_Lb0EPKhPS5_mNS0_19identity_decomposerEEE10hipError_tT1_T2_PT3_SF_jT4_jjP12ihipStream_tbEUlT_E0_NS1_11comp_targetILNS1_3genE8ELNS1_11target_archE1030ELNS1_3gpuE2ELNS1_3repE0EEENS1_52radix_sort_onesweep_histogram_config_static_selectorELNS0_4arch9wavefront6targetE0EEEvSD_,"axG",@progbits,_ZN7rocprim17ROCPRIM_400000_NS6detail17trampoline_kernelINS0_14default_configENS1_35radix_sort_onesweep_config_selectorIhNS0_10empty_typeEEEZNS1_34radix_sort_onesweep_global_offsetsIS3_Lb0EPKhPS5_mNS0_19identity_decomposerEEE10hipError_tT1_T2_PT3_SF_jT4_jjP12ihipStream_tbEUlT_E0_NS1_11comp_targetILNS1_3genE8ELNS1_11target_archE1030ELNS1_3gpuE2ELNS1_3repE0EEENS1_52radix_sort_onesweep_histogram_config_static_selectorELNS0_4arch9wavefront6targetE0EEEvSD_,comdat
	.protected	_ZN7rocprim17ROCPRIM_400000_NS6detail17trampoline_kernelINS0_14default_configENS1_35radix_sort_onesweep_config_selectorIhNS0_10empty_typeEEEZNS1_34radix_sort_onesweep_global_offsetsIS3_Lb0EPKhPS5_mNS0_19identity_decomposerEEE10hipError_tT1_T2_PT3_SF_jT4_jjP12ihipStream_tbEUlT_E0_NS1_11comp_targetILNS1_3genE8ELNS1_11target_archE1030ELNS1_3gpuE2ELNS1_3repE0EEENS1_52radix_sort_onesweep_histogram_config_static_selectorELNS0_4arch9wavefront6targetE0EEEvSD_ ; -- Begin function _ZN7rocprim17ROCPRIM_400000_NS6detail17trampoline_kernelINS0_14default_configENS1_35radix_sort_onesweep_config_selectorIhNS0_10empty_typeEEEZNS1_34radix_sort_onesweep_global_offsetsIS3_Lb0EPKhPS5_mNS0_19identity_decomposerEEE10hipError_tT1_T2_PT3_SF_jT4_jjP12ihipStream_tbEUlT_E0_NS1_11comp_targetILNS1_3genE8ELNS1_11target_archE1030ELNS1_3gpuE2ELNS1_3repE0EEENS1_52radix_sort_onesweep_histogram_config_static_selectorELNS0_4arch9wavefront6targetE0EEEvSD_
	.globl	_ZN7rocprim17ROCPRIM_400000_NS6detail17trampoline_kernelINS0_14default_configENS1_35radix_sort_onesweep_config_selectorIhNS0_10empty_typeEEEZNS1_34radix_sort_onesweep_global_offsetsIS3_Lb0EPKhPS5_mNS0_19identity_decomposerEEE10hipError_tT1_T2_PT3_SF_jT4_jjP12ihipStream_tbEUlT_E0_NS1_11comp_targetILNS1_3genE8ELNS1_11target_archE1030ELNS1_3gpuE2ELNS1_3repE0EEENS1_52radix_sort_onesweep_histogram_config_static_selectorELNS0_4arch9wavefront6targetE0EEEvSD_
	.p2align	8
	.type	_ZN7rocprim17ROCPRIM_400000_NS6detail17trampoline_kernelINS0_14default_configENS1_35radix_sort_onesweep_config_selectorIhNS0_10empty_typeEEEZNS1_34radix_sort_onesweep_global_offsetsIS3_Lb0EPKhPS5_mNS0_19identity_decomposerEEE10hipError_tT1_T2_PT3_SF_jT4_jjP12ihipStream_tbEUlT_E0_NS1_11comp_targetILNS1_3genE8ELNS1_11target_archE1030ELNS1_3gpuE2ELNS1_3repE0EEENS1_52radix_sort_onesweep_histogram_config_static_selectorELNS0_4arch9wavefront6targetE0EEEvSD_,@function
_ZN7rocprim17ROCPRIM_400000_NS6detail17trampoline_kernelINS0_14default_configENS1_35radix_sort_onesweep_config_selectorIhNS0_10empty_typeEEEZNS1_34radix_sort_onesweep_global_offsetsIS3_Lb0EPKhPS5_mNS0_19identity_decomposerEEE10hipError_tT1_T2_PT3_SF_jT4_jjP12ihipStream_tbEUlT_E0_NS1_11comp_targetILNS1_3genE8ELNS1_11target_archE1030ELNS1_3gpuE2ELNS1_3repE0EEENS1_52radix_sort_onesweep_histogram_config_static_selectorELNS0_4arch9wavefront6targetE0EEEvSD_: ; @_ZN7rocprim17ROCPRIM_400000_NS6detail17trampoline_kernelINS0_14default_configENS1_35radix_sort_onesweep_config_selectorIhNS0_10empty_typeEEEZNS1_34radix_sort_onesweep_global_offsetsIS3_Lb0EPKhPS5_mNS0_19identity_decomposerEEE10hipError_tT1_T2_PT3_SF_jT4_jjP12ihipStream_tbEUlT_E0_NS1_11comp_targetILNS1_3genE8ELNS1_11target_archE1030ELNS1_3gpuE2ELNS1_3repE0EEENS1_52radix_sort_onesweep_histogram_config_static_selectorELNS0_4arch9wavefront6targetE0EEEvSD_
; %bb.0:
	.section	.rodata,"a",@progbits
	.p2align	6, 0x0
	.amdhsa_kernel _ZN7rocprim17ROCPRIM_400000_NS6detail17trampoline_kernelINS0_14default_configENS1_35radix_sort_onesweep_config_selectorIhNS0_10empty_typeEEEZNS1_34radix_sort_onesweep_global_offsetsIS3_Lb0EPKhPS5_mNS0_19identity_decomposerEEE10hipError_tT1_T2_PT3_SF_jT4_jjP12ihipStream_tbEUlT_E0_NS1_11comp_targetILNS1_3genE8ELNS1_11target_archE1030ELNS1_3gpuE2ELNS1_3repE0EEENS1_52radix_sort_onesweep_histogram_config_static_selectorELNS0_4arch9wavefront6targetE0EEEvSD_
		.amdhsa_group_segment_fixed_size 0
		.amdhsa_private_segment_fixed_size 0
		.amdhsa_kernarg_size 8
		.amdhsa_user_sgpr_count 2
		.amdhsa_user_sgpr_dispatch_ptr 0
		.amdhsa_user_sgpr_queue_ptr 0
		.amdhsa_user_sgpr_kernarg_segment_ptr 1
		.amdhsa_user_sgpr_dispatch_id 0
		.amdhsa_user_sgpr_kernarg_preload_length 0
		.amdhsa_user_sgpr_kernarg_preload_offset 0
		.amdhsa_user_sgpr_private_segment_size 0
		.amdhsa_wavefront_size32 1
		.amdhsa_uses_dynamic_stack 0
		.amdhsa_enable_private_segment 0
		.amdhsa_system_sgpr_workgroup_id_x 1
		.amdhsa_system_sgpr_workgroup_id_y 0
		.amdhsa_system_sgpr_workgroup_id_z 0
		.amdhsa_system_sgpr_workgroup_info 0
		.amdhsa_system_vgpr_workitem_id 0
		.amdhsa_next_free_vgpr 1
		.amdhsa_next_free_sgpr 1
		.amdhsa_named_barrier_count 0
		.amdhsa_reserve_vcc 0
		.amdhsa_float_round_mode_32 0
		.amdhsa_float_round_mode_16_64 0
		.amdhsa_float_denorm_mode_32 3
		.amdhsa_float_denorm_mode_16_64 3
		.amdhsa_fp16_overflow 0
		.amdhsa_memory_ordered 1
		.amdhsa_forward_progress 1
		.amdhsa_inst_pref_size 0
		.amdhsa_round_robin_scheduling 0
		.amdhsa_exception_fp_ieee_invalid_op 0
		.amdhsa_exception_fp_denorm_src 0
		.amdhsa_exception_fp_ieee_div_zero 0
		.amdhsa_exception_fp_ieee_overflow 0
		.amdhsa_exception_fp_ieee_underflow 0
		.amdhsa_exception_fp_ieee_inexact 0
		.amdhsa_exception_int_div_zero 0
	.end_amdhsa_kernel
	.section	.text._ZN7rocprim17ROCPRIM_400000_NS6detail17trampoline_kernelINS0_14default_configENS1_35radix_sort_onesweep_config_selectorIhNS0_10empty_typeEEEZNS1_34radix_sort_onesweep_global_offsetsIS3_Lb0EPKhPS5_mNS0_19identity_decomposerEEE10hipError_tT1_T2_PT3_SF_jT4_jjP12ihipStream_tbEUlT_E0_NS1_11comp_targetILNS1_3genE8ELNS1_11target_archE1030ELNS1_3gpuE2ELNS1_3repE0EEENS1_52radix_sort_onesweep_histogram_config_static_selectorELNS0_4arch9wavefront6targetE0EEEvSD_,"axG",@progbits,_ZN7rocprim17ROCPRIM_400000_NS6detail17trampoline_kernelINS0_14default_configENS1_35radix_sort_onesweep_config_selectorIhNS0_10empty_typeEEEZNS1_34radix_sort_onesweep_global_offsetsIS3_Lb0EPKhPS5_mNS0_19identity_decomposerEEE10hipError_tT1_T2_PT3_SF_jT4_jjP12ihipStream_tbEUlT_E0_NS1_11comp_targetILNS1_3genE8ELNS1_11target_archE1030ELNS1_3gpuE2ELNS1_3repE0EEENS1_52radix_sort_onesweep_histogram_config_static_selectorELNS0_4arch9wavefront6targetE0EEEvSD_,comdat
.Lfunc_end218:
	.size	_ZN7rocprim17ROCPRIM_400000_NS6detail17trampoline_kernelINS0_14default_configENS1_35radix_sort_onesweep_config_selectorIhNS0_10empty_typeEEEZNS1_34radix_sort_onesweep_global_offsetsIS3_Lb0EPKhPS5_mNS0_19identity_decomposerEEE10hipError_tT1_T2_PT3_SF_jT4_jjP12ihipStream_tbEUlT_E0_NS1_11comp_targetILNS1_3genE8ELNS1_11target_archE1030ELNS1_3gpuE2ELNS1_3repE0EEENS1_52radix_sort_onesweep_histogram_config_static_selectorELNS0_4arch9wavefront6targetE0EEEvSD_, .Lfunc_end218-_ZN7rocprim17ROCPRIM_400000_NS6detail17trampoline_kernelINS0_14default_configENS1_35radix_sort_onesweep_config_selectorIhNS0_10empty_typeEEEZNS1_34radix_sort_onesweep_global_offsetsIS3_Lb0EPKhPS5_mNS0_19identity_decomposerEEE10hipError_tT1_T2_PT3_SF_jT4_jjP12ihipStream_tbEUlT_E0_NS1_11comp_targetILNS1_3genE8ELNS1_11target_archE1030ELNS1_3gpuE2ELNS1_3repE0EEENS1_52radix_sort_onesweep_histogram_config_static_selectorELNS0_4arch9wavefront6targetE0EEEvSD_
                                        ; -- End function
	.set _ZN7rocprim17ROCPRIM_400000_NS6detail17trampoline_kernelINS0_14default_configENS1_35radix_sort_onesweep_config_selectorIhNS0_10empty_typeEEEZNS1_34radix_sort_onesweep_global_offsetsIS3_Lb0EPKhPS5_mNS0_19identity_decomposerEEE10hipError_tT1_T2_PT3_SF_jT4_jjP12ihipStream_tbEUlT_E0_NS1_11comp_targetILNS1_3genE8ELNS1_11target_archE1030ELNS1_3gpuE2ELNS1_3repE0EEENS1_52radix_sort_onesweep_histogram_config_static_selectorELNS0_4arch9wavefront6targetE0EEEvSD_.num_vgpr, 0
	.set _ZN7rocprim17ROCPRIM_400000_NS6detail17trampoline_kernelINS0_14default_configENS1_35radix_sort_onesweep_config_selectorIhNS0_10empty_typeEEEZNS1_34radix_sort_onesweep_global_offsetsIS3_Lb0EPKhPS5_mNS0_19identity_decomposerEEE10hipError_tT1_T2_PT3_SF_jT4_jjP12ihipStream_tbEUlT_E0_NS1_11comp_targetILNS1_3genE8ELNS1_11target_archE1030ELNS1_3gpuE2ELNS1_3repE0EEENS1_52radix_sort_onesweep_histogram_config_static_selectorELNS0_4arch9wavefront6targetE0EEEvSD_.num_agpr, 0
	.set _ZN7rocprim17ROCPRIM_400000_NS6detail17trampoline_kernelINS0_14default_configENS1_35radix_sort_onesweep_config_selectorIhNS0_10empty_typeEEEZNS1_34radix_sort_onesweep_global_offsetsIS3_Lb0EPKhPS5_mNS0_19identity_decomposerEEE10hipError_tT1_T2_PT3_SF_jT4_jjP12ihipStream_tbEUlT_E0_NS1_11comp_targetILNS1_3genE8ELNS1_11target_archE1030ELNS1_3gpuE2ELNS1_3repE0EEENS1_52radix_sort_onesweep_histogram_config_static_selectorELNS0_4arch9wavefront6targetE0EEEvSD_.numbered_sgpr, 0
	.set _ZN7rocprim17ROCPRIM_400000_NS6detail17trampoline_kernelINS0_14default_configENS1_35radix_sort_onesweep_config_selectorIhNS0_10empty_typeEEEZNS1_34radix_sort_onesweep_global_offsetsIS3_Lb0EPKhPS5_mNS0_19identity_decomposerEEE10hipError_tT1_T2_PT3_SF_jT4_jjP12ihipStream_tbEUlT_E0_NS1_11comp_targetILNS1_3genE8ELNS1_11target_archE1030ELNS1_3gpuE2ELNS1_3repE0EEENS1_52radix_sort_onesweep_histogram_config_static_selectorELNS0_4arch9wavefront6targetE0EEEvSD_.num_named_barrier, 0
	.set _ZN7rocprim17ROCPRIM_400000_NS6detail17trampoline_kernelINS0_14default_configENS1_35radix_sort_onesweep_config_selectorIhNS0_10empty_typeEEEZNS1_34radix_sort_onesweep_global_offsetsIS3_Lb0EPKhPS5_mNS0_19identity_decomposerEEE10hipError_tT1_T2_PT3_SF_jT4_jjP12ihipStream_tbEUlT_E0_NS1_11comp_targetILNS1_3genE8ELNS1_11target_archE1030ELNS1_3gpuE2ELNS1_3repE0EEENS1_52radix_sort_onesweep_histogram_config_static_selectorELNS0_4arch9wavefront6targetE0EEEvSD_.private_seg_size, 0
	.set _ZN7rocprim17ROCPRIM_400000_NS6detail17trampoline_kernelINS0_14default_configENS1_35radix_sort_onesweep_config_selectorIhNS0_10empty_typeEEEZNS1_34radix_sort_onesweep_global_offsetsIS3_Lb0EPKhPS5_mNS0_19identity_decomposerEEE10hipError_tT1_T2_PT3_SF_jT4_jjP12ihipStream_tbEUlT_E0_NS1_11comp_targetILNS1_3genE8ELNS1_11target_archE1030ELNS1_3gpuE2ELNS1_3repE0EEENS1_52radix_sort_onesweep_histogram_config_static_selectorELNS0_4arch9wavefront6targetE0EEEvSD_.uses_vcc, 0
	.set _ZN7rocprim17ROCPRIM_400000_NS6detail17trampoline_kernelINS0_14default_configENS1_35radix_sort_onesweep_config_selectorIhNS0_10empty_typeEEEZNS1_34radix_sort_onesweep_global_offsetsIS3_Lb0EPKhPS5_mNS0_19identity_decomposerEEE10hipError_tT1_T2_PT3_SF_jT4_jjP12ihipStream_tbEUlT_E0_NS1_11comp_targetILNS1_3genE8ELNS1_11target_archE1030ELNS1_3gpuE2ELNS1_3repE0EEENS1_52radix_sort_onesweep_histogram_config_static_selectorELNS0_4arch9wavefront6targetE0EEEvSD_.uses_flat_scratch, 0
	.set _ZN7rocprim17ROCPRIM_400000_NS6detail17trampoline_kernelINS0_14default_configENS1_35radix_sort_onesweep_config_selectorIhNS0_10empty_typeEEEZNS1_34radix_sort_onesweep_global_offsetsIS3_Lb0EPKhPS5_mNS0_19identity_decomposerEEE10hipError_tT1_T2_PT3_SF_jT4_jjP12ihipStream_tbEUlT_E0_NS1_11comp_targetILNS1_3genE8ELNS1_11target_archE1030ELNS1_3gpuE2ELNS1_3repE0EEENS1_52radix_sort_onesweep_histogram_config_static_selectorELNS0_4arch9wavefront6targetE0EEEvSD_.has_dyn_sized_stack, 0
	.set _ZN7rocprim17ROCPRIM_400000_NS6detail17trampoline_kernelINS0_14default_configENS1_35radix_sort_onesweep_config_selectorIhNS0_10empty_typeEEEZNS1_34radix_sort_onesweep_global_offsetsIS3_Lb0EPKhPS5_mNS0_19identity_decomposerEEE10hipError_tT1_T2_PT3_SF_jT4_jjP12ihipStream_tbEUlT_E0_NS1_11comp_targetILNS1_3genE8ELNS1_11target_archE1030ELNS1_3gpuE2ELNS1_3repE0EEENS1_52radix_sort_onesweep_histogram_config_static_selectorELNS0_4arch9wavefront6targetE0EEEvSD_.has_recursion, 0
	.set _ZN7rocprim17ROCPRIM_400000_NS6detail17trampoline_kernelINS0_14default_configENS1_35radix_sort_onesweep_config_selectorIhNS0_10empty_typeEEEZNS1_34radix_sort_onesweep_global_offsetsIS3_Lb0EPKhPS5_mNS0_19identity_decomposerEEE10hipError_tT1_T2_PT3_SF_jT4_jjP12ihipStream_tbEUlT_E0_NS1_11comp_targetILNS1_3genE8ELNS1_11target_archE1030ELNS1_3gpuE2ELNS1_3repE0EEENS1_52radix_sort_onesweep_histogram_config_static_selectorELNS0_4arch9wavefront6targetE0EEEvSD_.has_indirect_call, 0
	.section	.AMDGPU.csdata,"",@progbits
; Kernel info:
; codeLenInByte = 0
; TotalNumSgprs: 0
; NumVgprs: 0
; ScratchSize: 0
; MemoryBound: 0
; FloatMode: 240
; IeeeMode: 1
; LDSByteSize: 0 bytes/workgroup (compile time only)
; SGPRBlocks: 0
; VGPRBlocks: 0
; NumSGPRsForWavesPerEU: 1
; NumVGPRsForWavesPerEU: 1
; NamedBarCnt: 0
; Occupancy: 16
; WaveLimiterHint : 0
; COMPUTE_PGM_RSRC2:SCRATCH_EN: 0
; COMPUTE_PGM_RSRC2:USER_SGPR: 2
; COMPUTE_PGM_RSRC2:TRAP_HANDLER: 0
; COMPUTE_PGM_RSRC2:TGID_X_EN: 1
; COMPUTE_PGM_RSRC2:TGID_Y_EN: 0
; COMPUTE_PGM_RSRC2:TGID_Z_EN: 0
; COMPUTE_PGM_RSRC2:TIDIG_COMP_CNT: 0
	.section	.text._ZN7rocprim17ROCPRIM_400000_NS6detail17trampoline_kernelINS0_14default_configENS1_35radix_sort_onesweep_config_selectorIhNS0_10empty_typeEEEZZNS1_29radix_sort_onesweep_iterationIS3_Lb0EPKhPhPS5_SB_mNS0_19identity_decomposerENS1_16block_id_wrapperIjLb1EEEEE10hipError_tT1_PNSt15iterator_traitsISG_E10value_typeET2_T3_PNSH_ISM_E10value_typeET4_T5_PSR_SS_PNS1_23onesweep_lookback_stateEbbT6_jjT7_P12ihipStream_tbENKUlT_T0_SG_SL_E_clIS9_SA_SB_SB_EEDaSZ_S10_SG_SL_EUlSZ_E_NS1_11comp_targetILNS1_3genE0ELNS1_11target_archE4294967295ELNS1_3gpuE0ELNS1_3repE0EEENS1_47radix_sort_onesweep_sort_config_static_selectorELNS0_4arch9wavefront6targetE0EEEvSG_,"axG",@progbits,_ZN7rocprim17ROCPRIM_400000_NS6detail17trampoline_kernelINS0_14default_configENS1_35radix_sort_onesweep_config_selectorIhNS0_10empty_typeEEEZZNS1_29radix_sort_onesweep_iterationIS3_Lb0EPKhPhPS5_SB_mNS0_19identity_decomposerENS1_16block_id_wrapperIjLb1EEEEE10hipError_tT1_PNSt15iterator_traitsISG_E10value_typeET2_T3_PNSH_ISM_E10value_typeET4_T5_PSR_SS_PNS1_23onesweep_lookback_stateEbbT6_jjT7_P12ihipStream_tbENKUlT_T0_SG_SL_E_clIS9_SA_SB_SB_EEDaSZ_S10_SG_SL_EUlSZ_E_NS1_11comp_targetILNS1_3genE0ELNS1_11target_archE4294967295ELNS1_3gpuE0ELNS1_3repE0EEENS1_47radix_sort_onesweep_sort_config_static_selectorELNS0_4arch9wavefront6targetE0EEEvSG_,comdat
	.protected	_ZN7rocprim17ROCPRIM_400000_NS6detail17trampoline_kernelINS0_14default_configENS1_35radix_sort_onesweep_config_selectorIhNS0_10empty_typeEEEZZNS1_29radix_sort_onesweep_iterationIS3_Lb0EPKhPhPS5_SB_mNS0_19identity_decomposerENS1_16block_id_wrapperIjLb1EEEEE10hipError_tT1_PNSt15iterator_traitsISG_E10value_typeET2_T3_PNSH_ISM_E10value_typeET4_T5_PSR_SS_PNS1_23onesweep_lookback_stateEbbT6_jjT7_P12ihipStream_tbENKUlT_T0_SG_SL_E_clIS9_SA_SB_SB_EEDaSZ_S10_SG_SL_EUlSZ_E_NS1_11comp_targetILNS1_3genE0ELNS1_11target_archE4294967295ELNS1_3gpuE0ELNS1_3repE0EEENS1_47radix_sort_onesweep_sort_config_static_selectorELNS0_4arch9wavefront6targetE0EEEvSG_ ; -- Begin function _ZN7rocprim17ROCPRIM_400000_NS6detail17trampoline_kernelINS0_14default_configENS1_35radix_sort_onesweep_config_selectorIhNS0_10empty_typeEEEZZNS1_29radix_sort_onesweep_iterationIS3_Lb0EPKhPhPS5_SB_mNS0_19identity_decomposerENS1_16block_id_wrapperIjLb1EEEEE10hipError_tT1_PNSt15iterator_traitsISG_E10value_typeET2_T3_PNSH_ISM_E10value_typeET4_T5_PSR_SS_PNS1_23onesweep_lookback_stateEbbT6_jjT7_P12ihipStream_tbENKUlT_T0_SG_SL_E_clIS9_SA_SB_SB_EEDaSZ_S10_SG_SL_EUlSZ_E_NS1_11comp_targetILNS1_3genE0ELNS1_11target_archE4294967295ELNS1_3gpuE0ELNS1_3repE0EEENS1_47radix_sort_onesweep_sort_config_static_selectorELNS0_4arch9wavefront6targetE0EEEvSG_
	.globl	_ZN7rocprim17ROCPRIM_400000_NS6detail17trampoline_kernelINS0_14default_configENS1_35radix_sort_onesweep_config_selectorIhNS0_10empty_typeEEEZZNS1_29radix_sort_onesweep_iterationIS3_Lb0EPKhPhPS5_SB_mNS0_19identity_decomposerENS1_16block_id_wrapperIjLb1EEEEE10hipError_tT1_PNSt15iterator_traitsISG_E10value_typeET2_T3_PNSH_ISM_E10value_typeET4_T5_PSR_SS_PNS1_23onesweep_lookback_stateEbbT6_jjT7_P12ihipStream_tbENKUlT_T0_SG_SL_E_clIS9_SA_SB_SB_EEDaSZ_S10_SG_SL_EUlSZ_E_NS1_11comp_targetILNS1_3genE0ELNS1_11target_archE4294967295ELNS1_3gpuE0ELNS1_3repE0EEENS1_47radix_sort_onesweep_sort_config_static_selectorELNS0_4arch9wavefront6targetE0EEEvSG_
	.p2align	8
	.type	_ZN7rocprim17ROCPRIM_400000_NS6detail17trampoline_kernelINS0_14default_configENS1_35radix_sort_onesweep_config_selectorIhNS0_10empty_typeEEEZZNS1_29radix_sort_onesweep_iterationIS3_Lb0EPKhPhPS5_SB_mNS0_19identity_decomposerENS1_16block_id_wrapperIjLb1EEEEE10hipError_tT1_PNSt15iterator_traitsISG_E10value_typeET2_T3_PNSH_ISM_E10value_typeET4_T5_PSR_SS_PNS1_23onesweep_lookback_stateEbbT6_jjT7_P12ihipStream_tbENKUlT_T0_SG_SL_E_clIS9_SA_SB_SB_EEDaSZ_S10_SG_SL_EUlSZ_E_NS1_11comp_targetILNS1_3genE0ELNS1_11target_archE4294967295ELNS1_3gpuE0ELNS1_3repE0EEENS1_47radix_sort_onesweep_sort_config_static_selectorELNS0_4arch9wavefront6targetE0EEEvSG_,@function
_ZN7rocprim17ROCPRIM_400000_NS6detail17trampoline_kernelINS0_14default_configENS1_35radix_sort_onesweep_config_selectorIhNS0_10empty_typeEEEZZNS1_29radix_sort_onesweep_iterationIS3_Lb0EPKhPhPS5_SB_mNS0_19identity_decomposerENS1_16block_id_wrapperIjLb1EEEEE10hipError_tT1_PNSt15iterator_traitsISG_E10value_typeET2_T3_PNSH_ISM_E10value_typeET4_T5_PSR_SS_PNS1_23onesweep_lookback_stateEbbT6_jjT7_P12ihipStream_tbENKUlT_T0_SG_SL_E_clIS9_SA_SB_SB_EEDaSZ_S10_SG_SL_EUlSZ_E_NS1_11comp_targetILNS1_3genE0ELNS1_11target_archE4294967295ELNS1_3gpuE0ELNS1_3repE0EEENS1_47radix_sort_onesweep_sort_config_static_selectorELNS0_4arch9wavefront6targetE0EEEvSG_: ; @_ZN7rocprim17ROCPRIM_400000_NS6detail17trampoline_kernelINS0_14default_configENS1_35radix_sort_onesweep_config_selectorIhNS0_10empty_typeEEEZZNS1_29radix_sort_onesweep_iterationIS3_Lb0EPKhPhPS5_SB_mNS0_19identity_decomposerENS1_16block_id_wrapperIjLb1EEEEE10hipError_tT1_PNSt15iterator_traitsISG_E10value_typeET2_T3_PNSH_ISM_E10value_typeET4_T5_PSR_SS_PNS1_23onesweep_lookback_stateEbbT6_jjT7_P12ihipStream_tbENKUlT_T0_SG_SL_E_clIS9_SA_SB_SB_EEDaSZ_S10_SG_SL_EUlSZ_E_NS1_11comp_targetILNS1_3genE0ELNS1_11target_archE4294967295ELNS1_3gpuE0ELNS1_3repE0EEENS1_47radix_sort_onesweep_sort_config_static_selectorELNS0_4arch9wavefront6targetE0EEEvSG_
; %bb.0:
	s_clause 0x1
	s_load_b128 s[8:11], s[0:1], 0x28
	s_load_b64 s[20:21], s[0:1], 0x38
	s_mov_b32 s2, exec_lo
	v_cmpx_eq_u32_e32 0, v0
	s_cbranch_execz .LBB219_4
; %bb.1:
	s_mov_b32 s4, exec_lo
	s_mov_b32 s3, exec_lo
	v_mbcnt_lo_u32_b32 v1, s4, 0
                                        ; implicit-def: $vgpr2
	s_delay_alu instid0(VALU_DEP_1)
	v_cmpx_eq_u32_e32 0, v1
	s_cbranch_execz .LBB219_3
; %bb.2:
	s_load_b64 s[6:7], s[0:1], 0x50
	s_bcnt1_i32_b32 s4, s4
	s_delay_alu instid0(SALU_CYCLE_1)
	v_dual_mov_b32 v2, 0 :: v_dual_mov_b32 v3, s4
	s_wait_xcnt 0x0
	s_wait_kmcnt 0x0
	global_atomic_add_u32 v2, v2, v3, s[6:7] th:TH_ATOMIC_RETURN scope:SCOPE_DEV
.LBB219_3:
	s_wait_xcnt 0x0
	s_or_b32 exec_lo, exec_lo, s3
	s_wait_loadcnt 0x0
	v_readfirstlane_b32 s3, v2
	s_delay_alu instid0(VALU_DEP_1)
	v_dual_mov_b32 v2, 0 :: v_dual_add_nc_u32 v1, s3, v1
	ds_store_b32 v2, v1 offset:32896
.LBB219_4:
	s_or_b32 exec_lo, exec_lo, s2
	v_mov_b32_e32 v7, 0
	s_clause 0x2
	s_load_b128 s[12:15], s[0:1], 0x0
	s_load_b32 s2, s[0:1], 0x20
	s_load_b96 s[16:18], s[0:1], 0x44
	s_wait_dscnt 0x0
	s_barrier_signal -1
	s_barrier_wait -1
	ds_load_b32 v1, v7 offset:32896
	v_mul_u32_u24_e32 v6, 22, v0
	s_mov_b32 s3, -1
	s_wait_dscnt 0x0
	s_barrier_signal -1
	s_barrier_wait -1
	v_readfirstlane_b32 s19, v1
	s_wait_kmcnt 0x0
	v_cmp_le_u32_e32 vcc_lo, s18, v1
	s_mul_i32 s22, s19, 0x5800
	s_cbranch_vccz .LBB219_116
; %bb.5:
	s_mov_b32 s23, 0
	v_dual_mov_b32 v4, 0xff :: v_dual_mov_b32 v1, 0xff
	s_add_nc_u64 s[4:5], s[12:13], s[22:23]
	v_mov_b32_e32 v5, 0xff
	v_add_nc_u64_e32 v[2:3], s[4:5], v[6:7]
	s_mulk_i32 s18, 0xa800
	s_delay_alu instid0(SALU_CYCLE_1)
	s_add_co_i32 s18, s18, s2
	s_mov_b32 s2, exec_lo
	v_cmpx_gt_u32_e64 s18, v6
	s_cbranch_execz .LBB219_7
; %bb.6:
	global_load_u8 v5, v[2:3], off
	s_wait_loadcnt 0x0
	v_and_b32_e32 v4, 0xff, v5
.LBB219_7:
	s_or_b32 exec_lo, exec_lo, s2
	v_or_b32_e32 v7, 1, v6
	v_mov_b32_e32 v27, 0xff
	s_mov_b32 s2, exec_lo
	s_delay_alu instid0(VALU_DEP_2)
	v_cmpx_gt_u32_e64 s18, v7
	s_cbranch_execz .LBB219_9
; %bb.8:
	global_load_u8 v1, v[2:3], off offset:1
	s_wait_loadcnt 0x0
	v_and_b32_e32 v27, 0xff, v1
.LBB219_9:
	s_or_b32 exec_lo, exec_lo, s2
	v_dual_mov_b32 v7, 0xff :: v_dual_add_nc_u32 v8, 2, v6
	v_mov_b32_e32 v28, 0xff
	s_delay_alu instid0(VALU_DEP_2)
	v_cmp_gt_u32_e32 vcc_lo, s18, v8
	v_mov_b32_e32 v8, 0xff
	s_and_saveexec_b32 s2, vcc_lo
	s_cbranch_execz .LBB219_11
; %bb.10:
	global_load_u8 v8, v[2:3], off offset:2
	s_wait_loadcnt 0x0
	v_and_b32_e32 v28, 0xff, v8
.LBB219_11:
	s_or_b32 exec_lo, exec_lo, s2
	v_add_nc_u32_e32 v9, 3, v6
	v_mov_b32_e32 v29, 0xff
	s_mov_b32 s2, exec_lo
	s_delay_alu instid0(VALU_DEP_2)
	v_cmpx_gt_u32_e64 s18, v9
	s_cbranch_execz .LBB219_13
; %bb.12:
	global_load_u8 v7, v[2:3], off offset:3
	s_wait_loadcnt 0x0
	v_and_b32_e32 v29, 0xff, v7
.LBB219_13:
	s_or_b32 exec_lo, exec_lo, s2
	v_dual_mov_b32 v9, 0xff :: v_dual_add_nc_u32 v10, 4, v6
	v_mov_b32_e32 v30, 0xff
	s_delay_alu instid0(VALU_DEP_2)
	v_cmp_gt_u32_e32 vcc_lo, s18, v10
	v_mov_b32_e32 v10, 0xff
	s_and_saveexec_b32 s2, vcc_lo
	s_cbranch_execz .LBB219_15
; %bb.14:
	global_load_u8 v10, v[2:3], off offset:4
	s_wait_loadcnt 0x0
	v_and_b32_e32 v30, 0xff, v10
.LBB219_15:
	s_or_b32 exec_lo, exec_lo, s2
	v_add_nc_u32_e32 v11, 5, v6
	;; [unrolled: 25-line block ×9, first 2 shown]
	v_mov_b32_e32 v53, 0xff
	s_mov_b32 s2, exec_lo
	s_delay_alu instid0(VALU_DEP_2)
	v_cmpx_gt_u32_e64 s18, v25
	s_cbranch_execz .LBB219_45
; %bb.44:
	global_load_u8 v23, v[2:3], off offset:19
	s_wait_loadcnt 0x0
	v_and_b32_e32 v53, 0xff, v23
.LBB219_45:
	s_or_b32 exec_lo, exec_lo, s2
	v_dual_mov_b32 v25, 0xff :: v_dual_add_nc_u32 v26, 20, v6
	v_mov_b32_e32 v54, 0xff
	s_delay_alu instid0(VALU_DEP_2)
	v_cmp_gt_u32_e32 vcc_lo, s18, v26
	v_mov_b32_e32 v26, 0xff
	s_and_saveexec_b32 s2, vcc_lo
	s_cbranch_execz .LBB219_47
; %bb.46:
	global_load_u8 v26, v[2:3], off offset:20
	s_wait_loadcnt 0x0
	v_and_b32_e32 v54, 0xff, v26
.LBB219_47:
	s_or_b32 exec_lo, exec_lo, s2
	v_dual_mov_b32 v55, 0xff :: v_dual_add_nc_u32 v38, 21, v6
	s_mov_b32 s2, exec_lo
	s_delay_alu instid0(VALU_DEP_1)
	v_cmpx_gt_u32_e64 s18, v38
	s_cbranch_execz .LBB219_49
; %bb.48:
	global_load_u8 v25, v[2:3], off offset:21
	s_wait_loadcnt 0x0
	v_and_b32_e32 v55, 0xff, v25
.LBB219_49:
	s_or_b32 exec_lo, exec_lo, s2
	v_dual_lshrrev_b32 v2, s16, v4 :: v_dual_mov_b32 v38, 0
	s_lshl_b32 s23, -1, s17
	v_lshrrev_b32_e32 v40, s16, v27
	s_mov_b32 s7, exec_lo
	s_delay_alu instid0(VALU_DEP_2) | instskip(NEXT) | instid1(VALU_DEP_1)
	v_bitop3_b32 v2, v2, s23, v2 bitop3:0x30
	v_dual_lshlrev_b32 v3, 10, v2 :: v_dual_lshrrev_b32 v2, 2, v2
	v_lshlrev_b32_e32 v4, 2, v0
	s_delay_alu instid0(VALU_DEP_2) | instskip(NEXT) | instid1(VALU_DEP_3)
	v_and_or_b32 v3, 0x1c00, v3, v0
	v_and_b32_e32 v2, 62, v2
	ds_store_2addr_stride64_b32 v4, v38, v38 offset1:16
	ds_store_2addr_stride64_b32 v4, v38, v38 offset0:32 offset1:48
	ds_store_2addr_stride64_b32 v4, v38, v38 offset0:64 offset1:80
	;; [unrolled: 1-line block ×3, first 2 shown]
	v_lshl_add_u32 v2, v3, 2, v2
	v_bitop3_b32 v3, v40, s23, v40 bitop3:0x30
	ds_load_u16 v27, v2
	v_dual_lshlrev_b32 v4, 10, v3 :: v_dual_lshrrev_b32 v3, 2, v3
	s_delay_alu instid0(VALU_DEP_1) | instskip(NEXT) | instid1(VALU_DEP_2)
	v_and_or_b32 v4, 0x1c00, v4, v0
	v_and_b32_e32 v3, 62, v3
	s_delay_alu instid0(VALU_DEP_1) | instskip(SKIP_1) | instid1(VALU_DEP_1)
	v_lshl_add_u32 v3, v4, 2, v3
	v_lshrrev_b32_e32 v4, s16, v28
	v_bitop3_b32 v4, v4, s23, v4 bitop3:0x30
	s_wait_dscnt 0x0
	v_add_nc_u16 v38, v27, 1
	ds_store_b16 v2, v38
	ds_load_u16 v28, v3
	v_dual_lshlrev_b32 v38, 10, v4 :: v_dual_lshrrev_b32 v4, 2, v4
	s_delay_alu instid0(VALU_DEP_1) | instskip(NEXT) | instid1(VALU_DEP_2)
	v_and_or_b32 v38, 0x1c00, v38, v0
	v_and_b32_e32 v4, 62, v4
	s_delay_alu instid0(VALU_DEP_1) | instskip(SKIP_1) | instid1(VALU_DEP_1)
	v_lshl_add_u32 v4, v38, 2, v4
	v_lshrrev_b32_e32 v38, s16, v29
	v_bitop3_b32 v38, v38, s23, v38 bitop3:0x30
	s_wait_dscnt 0x0
	v_add_nc_u16 v40, v28, 1
	ds_store_b16 v3, v40
	;; [unrolled: 12-line block ×20, first 2 shown]
	ds_load_u16 v55, v66
	v_dual_lshlrev_b32 v67, 10, v59 :: v_dual_lshrrev_b32 v59, 2, v59
	s_delay_alu instid0(VALU_DEP_1) | instskip(NEXT) | instid1(VALU_DEP_2)
	v_and_or_b32 v67, 0x1c00, v67, v0
	v_and_b32_e32 v59, 62, v59
	s_delay_alu instid0(VALU_DEP_1)
	v_lshl_add_u32 v67, v67, 2, v59
	s_wait_dscnt 0x0
	v_add_nc_u16 v68, v55, 1
	ds_store_b16 v66, v68
	ds_load_u16 v59, v67
	v_lshlrev_b32_e32 v68, 5, v0
	s_wait_dscnt 0x0
	v_add_nc_u16 v69, v59, 1
	ds_store_b16 v67, v69
	s_wait_dscnt 0x0
	s_barrier_signal -1
	s_barrier_wait -1
	ds_load_2addr_b64 v[70:73], v68 offset1:1
	ds_load_2addr_b64 v[74:77], v68 offset0:2 offset1:3
	s_wait_dscnt 0x1
	v_add_nc_u32_e32 v69, v71, v70
	s_delay_alu instid0(VALU_DEP_1) | instskip(SKIP_2) | instid1(VALU_DEP_2)
	v_add3_u32 v69, v69, v72, v73
	v_and_b32_e32 v73, 31, v0
	s_wait_dscnt 0x0
	v_add3_u32 v70, v69, v74, v75
	v_mbcnt_lo_u32_b32 v69, -1, 0
	s_delay_alu instid0(VALU_DEP_2) | instskip(NEXT) | instid1(VALU_DEP_2)
	v_add3_u32 v70, v70, v76, v77
	v_and_b32_e32 v71, 15, v69
	v_and_b32_e32 v74, 16, v69
	s_delay_alu instid0(VALU_DEP_3) | instskip(NEXT) | instid1(VALU_DEP_3)
	v_mov_b32_dpp v72, v70 row_shr:1 row_mask:0xf bank_mask:0xf
	v_cmp_eq_u32_e32 vcc_lo, 0, v71
	v_cmp_lt_u32_e64 s2, 1, v71
	v_cmp_lt_u32_e64 s3, 3, v71
	;; [unrolled: 1-line block ×3, first 2 shown]
	v_cmp_eq_u32_e64 s5, 0, v74
	v_cndmask_b32_e64 v72, v72, 0, vcc_lo
	s_delay_alu instid0(VALU_DEP_1) | instskip(NEXT) | instid1(VALU_DEP_1)
	v_add_nc_u32_e32 v70, v72, v70
	v_mov_b32_dpp v72, v70 row_shr:2 row_mask:0xf bank_mask:0xf
	s_delay_alu instid0(VALU_DEP_1) | instskip(NEXT) | instid1(VALU_DEP_1)
	v_cndmask_b32_e64 v72, 0, v72, s2
	v_add_nc_u32_e32 v70, v70, v72
	s_delay_alu instid0(VALU_DEP_1) | instskip(NEXT) | instid1(VALU_DEP_1)
	v_mov_b32_dpp v72, v70 row_shr:4 row_mask:0xf bank_mask:0xf
	v_cndmask_b32_e64 v72, 0, v72, s3
	s_delay_alu instid0(VALU_DEP_1) | instskip(NEXT) | instid1(VALU_DEP_1)
	v_add_nc_u32_e32 v70, v70, v72
	v_mov_b32_dpp v72, v70 row_shr:8 row_mask:0xf bank_mask:0xf
	s_delay_alu instid0(VALU_DEP_1) | instskip(SKIP_1) | instid1(VALU_DEP_2)
	v_cndmask_b32_e64 v71, 0, v72, s4
	v_bfe_i32 v72, v69, 4, 1
	v_add_nc_u32_e32 v70, v70, v71
	ds_swizzle_b32 v71, v70 offset:swizzle(BROADCAST,32,15)
	s_wait_dscnt 0x0
	v_dual_lshrrev_b32 v72, 5, v0 :: v_dual_bitop2_b32 v71, v72, v71 bitop3:0x40
	s_delay_alu instid0(VALU_DEP_1)
	v_dual_add_nc_u32 v70, v70, v71 :: v_dual_lshlrev_b32 v71, 2, v72
	v_cmpx_eq_u32_e32 31, v73
; %bb.50:
	ds_store_b32 v71, v70 offset:32768
; %bb.51:
	s_or_b32 exec_lo, exec_lo, s7
	v_cmp_lt_u32_e64 s6, 31, v0
	s_mov_b32 s24, exec_lo
	s_wait_dscnt 0x0
	s_barrier_signal -1
	s_barrier_wait -1
	v_cmpx_gt_u32_e32 32, v0
	s_cbranch_execz .LBB219_53
; %bb.52:
	v_mad_i32_i24 v72, 0xffffffe4, v0, v68
	ds_load_b32 v73, v72 offset:32768
	s_wait_dscnt 0x0
	v_mov_b32_dpp v74, v73 row_shr:1 row_mask:0xf bank_mask:0xf
	s_delay_alu instid0(VALU_DEP_1) | instskip(NEXT) | instid1(VALU_DEP_1)
	v_cndmask_b32_e64 v74, v74, 0, vcc_lo
	v_add_nc_u32_e32 v73, v74, v73
	s_delay_alu instid0(VALU_DEP_1) | instskip(NEXT) | instid1(VALU_DEP_1)
	v_mov_b32_dpp v74, v73 row_shr:2 row_mask:0xf bank_mask:0xf
	v_cndmask_b32_e64 v74, 0, v74, s2
	s_delay_alu instid0(VALU_DEP_1) | instskip(NEXT) | instid1(VALU_DEP_1)
	v_add_nc_u32_e32 v73, v73, v74
	v_mov_b32_dpp v74, v73 row_shr:4 row_mask:0xf bank_mask:0xf
	s_delay_alu instid0(VALU_DEP_1) | instskip(NEXT) | instid1(VALU_DEP_1)
	v_cndmask_b32_e64 v74, 0, v74, s3
	v_add_nc_u32_e32 v73, v73, v74
	s_delay_alu instid0(VALU_DEP_1) | instskip(NEXT) | instid1(VALU_DEP_1)
	v_mov_b32_dpp v74, v73 row_shr:8 row_mask:0xf bank_mask:0xf
	v_cndmask_b32_e64 v74, 0, v74, s4
	s_delay_alu instid0(VALU_DEP_1) | instskip(SKIP_3) | instid1(VALU_DEP_1)
	v_add_nc_u32_e32 v73, v73, v74
	ds_swizzle_b32 v74, v73 offset:swizzle(BROADCAST,32,15)
	s_wait_dscnt 0x0
	v_cndmask_b32_e64 v74, v74, 0, s5
	v_add_nc_u32_e32 v73, v73, v74
	ds_store_b32 v72, v73 offset:32768
.LBB219_53:
	s_or_b32 exec_lo, exec_lo, s24
	v_dual_mov_b32 v73, 0 :: v_dual_mov_b32 v72, 0
	s_wait_dscnt 0x0
	s_barrier_signal -1
	s_barrier_wait -1
	s_and_saveexec_b32 s2, s6
; %bb.54:
	ds_load_b32 v72, v71 offset:32764
; %bb.55:
	s_or_b32 exec_lo, exec_lo, s2
	v_sub_co_u32 v71, vcc_lo, v69, 1
	s_wait_dscnt 0x0
	v_add_nc_u32_e32 v70, v72, v70
	s_delay_alu instid0(VALU_DEP_2) | instskip(NEXT) | instid1(VALU_DEP_1)
	v_cmp_gt_i32_e64 s2, 0, v71
	v_cndmask_b32_e64 v69, v71, v69, s2
	v_cmp_gt_u32_e64 s2, 16, v0
	s_delay_alu instid0(VALU_DEP_2)
	v_lshlrev_b32_e32 v69, 2, v69
	ds_bpermute_b32 v69, v69, v70
	ds_load_b32 v70, v73 offset:32892
	ds_load_2addr_b64 v[74:77], v68 offset1:1
	ds_load_b32 v78, v68 offset:24
	s_wait_dscnt 0x3
	v_cndmask_b32_e32 v69, v69, v72, vcc_lo
	ds_load_b64 v[72:73], v68 offset:16
	v_cmp_lt_u32_e32 vcc_lo, 15, v0
	s_wait_dscnt 0x3
	v_lshl_add_u32 v70, v70, 16, v69
	s_wait_dscnt 0x2
	s_delay_alu instid0(VALU_DEP_1) | instskip(NEXT) | instid1(VALU_DEP_1)
	v_add_nc_u32_e32 v71, v70, v74
	v_add_nc_u32_e32 v74, v75, v71
	s_delay_alu instid0(VALU_DEP_1) | instskip(NEXT) | instid1(VALU_DEP_1)
	v_add_nc_u32_e32 v75, v76, v74
	v_add_nc_u32_e32 v76, v77, v75
	s_wait_dscnt 0x0
	s_delay_alu instid0(VALU_DEP_1) | instskip(NEXT) | instid1(VALU_DEP_1)
	v_add_nc_u32_e32 v77, v72, v76
	v_add_nc_u32_e32 v72, v73, v77
	s_delay_alu instid0(VALU_DEP_1)
	v_add_nc_u32_e32 v73, v78, v72
	ds_store_2addr_b64 v68, v[70:71], v[74:75] offset1:1
	ds_store_2addr_b64 v68, v[76:77], v[72:73] offset0:2 offset1:3
	s_wait_dscnt 0x0
	s_barrier_signal -1
	s_barrier_wait -1
	ds_load_u16 v68, v2
	ds_load_u16 v69, v3
	;; [unrolled: 1-line block ×22, first 2 shown]
	v_mov_b64_e32 v[2:3], 0
                                        ; implicit-def: $vgpr4
	s_and_saveexec_b32 s4, s2
	s_cbranch_execz .LBB219_59
; %bb.56:
	v_dual_lshlrev_b32 v2, 12, v0 :: v_dual_lshrrev_b32 v3, 2, v0
	v_add_nc_u32_e32 v4, 1, v0
	s_mov_b32 s5, exec_lo
	s_delay_alu instid0(VALU_DEP_2)
	v_bitop3_b32 v2, v2, 0x70fe, v3 bitop3:0xc8
	v_mov_b32_e32 v3, 0x5800
	ds_load_u16 v2, v2
	v_cmpx_ne_u32_e32 16, v4
; %bb.57:
	v_dual_lshlrev_b32 v3, 12, v4 :: v_dual_lshrrev_b32 v4, 2, v4
	s_delay_alu instid0(VALU_DEP_1)
	v_bitop3_b32 v3, v3, 0x71fe, v4 bitop3:0xc8
	ds_load_u16 v3, v3
; %bb.58:
	s_or_b32 exec_lo, exec_lo, s5
	s_wait_dscnt 0x0
	v_and_b32_e32 v2, 0xffff, v2
	s_mov_b32 s3, 0
	s_delay_alu instid0(VALU_DEP_1) | instid1(SALU_CYCLE_1)
	v_dual_mov_b32 v3, s3 :: v_dual_sub_nc_u32 v4, v3, v2
.LBB219_59:
	s_or_b32 exec_lo, exec_lo, s4
	s_wait_dscnt 0x15
	v_and_b32_e32 v68, 0xffff, v68
	v_and_b32_e32 v27, 0xffff, v27
	s_wait_dscnt 0x14
	v_and_b32_e32 v69, 0xffff, v69
	v_and_b32_e32 v28, 0xffff, v28
	;; [unrolled: 3-line block ×4, first 2 shown]
	v_dual_add_nc_u32 v27, v68, v27 :: v_dual_add_nc_u32 v28, v69, v28
	s_wait_dscnt 0x11
	v_and_b32_e32 v40, 0xffff, v40
	v_and_b32_e32 v31, 0xffff, v31
	s_wait_dscnt 0x10
	v_and_b32_e32 v42, 0xffff, v42
	v_and_b32_e32 v32, 0xffff, v32
	v_add_nc_u32_e32 v29, v70, v29
	s_wait_dscnt 0xf
	v_and_b32_e32 v44, 0xffff, v44
	v_and_b32_e32 v33, 0xffff, v33
	s_wait_dscnt 0xe
	v_and_b32_e32 v46, 0xffff, v46
	v_and_b32_e32 v34, 0xffff, v34
	s_wait_dscnt 0xd
	v_and_b32_e32 v48, 0xffff, v48
	v_and_b32_e32 v35, 0xffff, v35
	s_wait_dscnt 0x0
	s_barrier_signal -1
	s_barrier_wait -1
	ds_store_b8 v27, v5 offset:128
	ds_store_b8 v28, v1 offset:128
	;; [unrolled: 1-line block ×3, first 2 shown]
	v_dual_add_nc_u32 v1, v38, v30 :: v_dual_add_nc_u32 v27, v44, v33
	v_and_b32_e32 v50, 0xffff, v50
	v_and_b32_e32 v36, 0xffff, v36
	v_add_nc_u32_e32 v5, v40, v31
	v_and_b32_e32 v52, 0xffff, v52
	v_and_b32_e32 v37, 0xffff, v37
	v_add_nc_u32_e32 v8, v42, v32
	v_and_b32_e32 v56, 0xffff, v56
	v_and_b32_e32 v39, 0xffff, v39
	;; [unrolled: 1-line block ×4, first 2 shown]
	v_add_nc_u32_e32 v28, v46, v34
	v_and_b32_e32 v58, 0xffff, v58
	v_and_b32_e32 v43, 0xffff, v43
	ds_store_b8 v1, v7 offset:128
	ds_store_b8 v5, v10 offset:128
	;; [unrolled: 1-line block ×5, first 2 shown]
	v_add_nc_u32_e32 v1, v48, v35
	v_and_b32_e32 v60, 0xffff, v60
	v_and_b32_e32 v45, 0xffff, v45
	v_dual_add_nc_u32 v5, v50, v36 :: v_dual_add_nc_u32 v8, v56, v39
	v_and_b32_e32 v61, 0xffff, v61
	v_and_b32_e32 v47, 0xffff, v47
	v_add_nc_u32_e32 v7, v52, v37
	v_and_b32_e32 v62, 0xffff, v62
	v_and_b32_e32 v49, 0xffff, v49
	v_and_b32_e32 v63, 0xffff, v63
	v_and_b32_e32 v51, 0xffff, v51
	v_add_nc_u32_e32 v9, v57, v41
	ds_store_b8 v1, v14 offset:128
	ds_store_b8 v5, v13 offset:128
	;; [unrolled: 1-line block ×5, first 2 shown]
	v_dual_add_nc_u32 v1, v58, v43 :: v_dual_add_nc_u32 v5, v60, v45
	v_dual_add_nc_u32 v7, v61, v47 :: v_dual_add_nc_u32 v8, v62, v49
	v_add_nc_u32_e32 v9, v63, v51
	v_and_b32_e32 v64, 0xffff, v64
	v_and_b32_e32 v67, 0xffff, v67
	;; [unrolled: 1-line block ×4, first 2 shown]
	ds_store_b8 v1, v17 offset:128
	ds_store_b8 v5, v20 offset:128
	;; [unrolled: 1-line block ×5, first 2 shown]
	v_mov_b32_e32 v9, 0
	v_and_b32_e32 v65, 0xffff, v65
	v_and_b32_e32 v54, 0xffff, v54
	;; [unrolled: 1-line block ×4, first 2 shown]
	v_dual_add_nc_u32 v7, v64, v53 :: v_dual_add_nc_u32 v11, v67, v59
	v_dual_mov_b32 v1, v9 :: v_dual_lshlrev_b32 v5, 3, v0
	s_delay_alu instid0(VALU_DEP_3)
	v_dual_add_nc_u32 v8, v65, v54 :: v_dual_add_nc_u32 v10, v66, v55
	s_not_b32 s3, s23
	ds_store_b8 v7, v24 offset:128
	ds_store_b8 v8, v23 offset:128
	;; [unrolled: 1-line block ×4, first 2 shown]
	s_and_saveexec_b32 s4, s2
	s_cbranch_execz .LBB219_69
; %bb.60:
	v_lshl_add_u32 v8, s19, 4, v0
	v_dual_mov_b32 v12, 0 :: v_dual_bitop2_b32 v7, 2.0, v4 bitop3:0x54
	s_mov_b32 s5, 0
	s_mov_b32 s6, s19
	s_delay_alu instid0(VALU_DEP_2)
	v_lshl_add_u64 v[10:11], v[8:9], 2, s[20:21]
	global_store_b32 v8, v7, s[20:21] scale_offset scope:SCOPE_DEV
                                        ; implicit-def: $sgpr2
	s_branch .LBB219_63
.LBB219_61:                             ;   in Loop: Header=BB219_63 Depth=1
	s_or_b32 exec_lo, exec_lo, s23
.LBB219_62:                             ;   in Loop: Header=BB219_63 Depth=1
	s_delay_alu instid0(SALU_CYCLE_1) | instskip(SKIP_2) | instid1(VALU_DEP_2)
	s_or_b32 exec_lo, exec_lo, s7
	v_and_b32_e32 v8, 0x3fffffff, v7
	v_cmp_gt_i32_e64 s2, -2.0, v7
	v_add_nc_u32_e32 v12, v8, v12
	s_and_b32 s7, exec_lo, s2
	s_delay_alu instid0(SALU_CYCLE_1) | instskip(NEXT) | instid1(SALU_CYCLE_1)
	s_or_b32 s5, s7, s5
	s_and_not1_b32 exec_lo, exec_lo, s5
	s_cbranch_execz .LBB219_68
.LBB219_63:                             ; =>This Loop Header: Depth=1
                                        ;     Child Loop BB219_66 Depth 2
	s_or_b32 s2, s2, exec_lo
	s_cmp_eq_u32 s6, 0
	s_cbranch_scc1 .LBB219_67
; %bb.64:                               ;   in Loop: Header=BB219_63 Depth=1
	s_add_co_i32 s6, s6, -1
	s_mov_b32 s7, exec_lo
	s_wait_xcnt 0x0
	v_lshl_or_b32 v8, s6, 4, v0
	global_load_b32 v7, v8, s[20:21] scale_offset scope:SCOPE_DEV
	s_wait_loadcnt 0x0
	v_cmpx_gt_u32_e32 2.0, v7
	s_cbranch_execz .LBB219_62
; %bb.65:                               ;   in Loop: Header=BB219_63 Depth=1
	v_lshl_add_u64 v[14:15], v[8:9], 2, s[20:21]
	s_mov_b32 s23, 0
.LBB219_66:                             ;   Parent Loop BB219_63 Depth=1
                                        ; =>  This Inner Loop Header: Depth=2
	global_load_b32 v7, v[14:15], off scope:SCOPE_DEV
	s_wait_loadcnt 0x0
	v_cmp_lt_u32_e64 s2, 0x3fffffff, v7
	s_or_b32 s23, s2, s23
	s_wait_xcnt 0x0
	s_and_not1_b32 exec_lo, exec_lo, s23
	s_cbranch_execnz .LBB219_66
	s_branch .LBB219_61
.LBB219_67:                             ;   in Loop: Header=BB219_63 Depth=1
                                        ; implicit-def: $sgpr6
	s_and_b32 s7, exec_lo, s2
	s_delay_alu instid0(SALU_CYCLE_1)
	s_or_b32 s5, s7, s5
	s_wait_xcnt 0x0
	s_and_not1_b32 exec_lo, exec_lo, s5
	s_cbranch_execnz .LBB219_63
.LBB219_68:
	s_or_b32 exec_lo, exec_lo, s5
	v_dual_add_nc_u32 v7, v12, v4 :: v_dual_mov_b32 v13, 0
	s_delay_alu instid0(VALU_DEP_1)
	v_or_b32_e32 v7, 0x80000000, v7
	global_store_b32 v[10:11], v7, off scope:SCOPE_DEV
	global_load_b64 v[8:9], v0, s[8:9] scale_offset
	s_wait_xcnt 0x1
	v_sub_nc_u64_e32 v[10:11], v[12:13], v[2:3]
	s_wait_loadcnt 0x0
	s_delay_alu instid0(VALU_DEP_1)
	v_add_nc_u64_e32 v[8:9], v[10:11], v[8:9]
	ds_store_b64 v5, v[8:9]
.LBB219_69:
	s_wait_xcnt 0x0
	s_or_b32 exec_lo, exec_lo, s4
	s_delay_alu instid0(SALU_CYCLE_1)
	s_mov_b32 s4, exec_lo
	s_wait_storecnt_dscnt 0x0
	s_barrier_signal -1
	s_barrier_wait -1
	v_cmpx_gt_u32_e64 s18, v0
	s_cbranch_execz .LBB219_71
; %bb.70:
	ds_load_u8 v7, v0 offset:128
	s_wait_dscnt 0x0
	v_and_b32_e32 v8, 0xff, v7
	s_delay_alu instid0(VALU_DEP_1) | instskip(NEXT) | instid1(VALU_DEP_1)
	v_lshrrev_b32_e32 v8, s16, v8
	v_and_b32_e32 v8, s3, v8
	s_delay_alu instid0(VALU_DEP_1) | instskip(SKIP_3) | instid1(VALU_DEP_1)
	v_lshlrev_b32_e32 v8, 3, v8
	ds_load_b64 v[8:9], v8
	s_wait_dscnt 0x0
	v_add_nc_u64_e32 v[8:9], s[14:15], v[8:9]
	v_add_nc_u64_e32 v[8:9], v[8:9], v[0:1]
	global_store_b8 v[8:9], v7, off
.LBB219_71:
	s_wait_xcnt 0x0
	s_or_b32 exec_lo, exec_lo, s4
	v_or_b32_e32 v7, 0x400, v0
	s_mov_b32 s4, exec_lo
	s_delay_alu instid0(VALU_DEP_1)
	v_cmpx_gt_u32_e64 s18, v7
	s_cbranch_execz .LBB219_73
; %bb.72:
	ds_load_u8 v7, v0 offset:1152
	s_wait_dscnt 0x0
	v_and_b32_e32 v8, 0xff, v7
	s_delay_alu instid0(VALU_DEP_1) | instskip(NEXT) | instid1(VALU_DEP_1)
	v_lshrrev_b32_e32 v8, s16, v8
	v_and_b32_e32 v8, s3, v8
	s_delay_alu instid0(VALU_DEP_1) | instskip(SKIP_3) | instid1(VALU_DEP_1)
	v_lshlrev_b32_e32 v8, 3, v8
	ds_load_b64 v[8:9], v8
	s_wait_dscnt 0x0
	v_add_nc_u64_e32 v[8:9], s[14:15], v[8:9]
	v_add_nc_u64_e32 v[8:9], v[8:9], v[0:1]
	global_store_b8 v[8:9], v7, off offset:1024
.LBB219_73:
	s_wait_xcnt 0x0
	s_or_b32 exec_lo, exec_lo, s4
	v_or_b32_e32 v7, 0x800, v0
	s_mov_b32 s4, exec_lo
	s_delay_alu instid0(VALU_DEP_1)
	v_cmpx_gt_u32_e64 s18, v7
	s_cbranch_execz .LBB219_75
; %bb.74:
	ds_load_u8 v7, v0 offset:2176
	s_wait_dscnt 0x0
	v_and_b32_e32 v8, 0xff, v7
	s_delay_alu instid0(VALU_DEP_1) | instskip(NEXT) | instid1(VALU_DEP_1)
	v_lshrrev_b32_e32 v8, s16, v8
	v_and_b32_e32 v8, s3, v8
	s_delay_alu instid0(VALU_DEP_1) | instskip(SKIP_3) | instid1(VALU_DEP_1)
	v_lshlrev_b32_e32 v8, 3, v8
	ds_load_b64 v[8:9], v8
	s_wait_dscnt 0x0
	v_add_nc_u64_e32 v[8:9], s[14:15], v[8:9]
	v_add_nc_u64_e32 v[8:9], v[8:9], v[0:1]
	global_store_b8 v[8:9], v7, off offset:2048
.LBB219_75:
	;; [unrolled: 22-line block ×21, first 2 shown]
	s_wait_xcnt 0x0
	s_or_b32 exec_lo, exec_lo, s4
	s_load_b32 s2, s[0:1], 0x58
	s_wait_kmcnt 0x0
	s_add_co_i32 s2, s2, -1
	s_delay_alu instid0(SALU_CYCLE_1) | instskip(SKIP_2) | instid1(SALU_CYCLE_1)
	s_cmp_eq_u32 s19, s2
	s_cselect_b32 s2, -1, 0
	s_xor_b32 s3, vcc_lo, -1
	s_and_b32 s3, s3, s2
	s_delay_alu instid0(SALU_CYCLE_1)
	s_and_saveexec_b32 s2, s3
	s_cbranch_execz .LBB219_115
; %bb.114:
	ds_load_b64 v[8:9], v5
	v_mov_b32_e32 v5, 0
	s_delay_alu instid0(VALU_DEP_1) | instskip(SKIP_1) | instid1(VALU_DEP_1)
	v_add_nc_u64_e32 v[2:3], v[2:3], v[4:5]
	s_wait_dscnt 0x0
	v_add_nc_u64_e32 v[2:3], v[2:3], v[8:9]
	global_store_b64 v0, v[2:3], s[10:11] scale_offset
.LBB219_115:
	s_wait_xcnt 0x0
	s_or_b32 exec_lo, exec_lo, s2
	s_mov_b32 s3, 0
.LBB219_116:
	s_delay_alu instid0(SALU_CYCLE_1)
	s_and_b32 vcc_lo, exec_lo, s3
	s_cbranch_vccz .LBB219_139
; %bb.117:
	s_mov_b32 s23, 0
	s_mov_b32 s7, exec_lo
	s_add_nc_u64 s[2:3], s[12:13], s[22:23]
	s_lshl_b32 s12, -1, s17
	s_clause 0x2
	global_load_b128 v[2:5], v6, s[2:3]
	global_load_b32 v8, v6, s[2:3] offset:16
	global_load_u16 v11, v6, s[2:3] offset:20
	v_lshlrev_b32_e32 v7, 2, v0
	s_wait_loadcnt 0x2
	v_and_b32_e32 v1, 0xff, v2
	v_bfe_u32 v10, v2, 8, 8
	v_bfe_u32 v18, v3, 8, 8
	v_and_b32_e32 v13, 0xff, v3
	v_bfe_u32 v20, v3, 16, 8
	v_lshrrev_b32_e32 v1, s16, v1
	v_and_b32_e32 v23, 0xff, v4
	v_and_b32_e32 v30, 0xff, v5
	s_wait_loadcnt 0x1
	v_and_b32_e32 v40, 0xff, v8
	v_bitop3_b32 v1, v1, s12, v1 bitop3:0x30
	s_wait_xcnt 0x0
	s_delay_alu instid0(VALU_DEP_1) | instskip(SKIP_1) | instid1(VALU_DEP_2)
	v_dual_lshlrev_b32 v6, 10, v1 :: v_dual_lshrrev_b32 v1, 2, v1
	v_mov_b32_e32 v9, 0
	v_and_or_b32 v6, 0x1c00, v6, v0
	s_delay_alu instid0(VALU_DEP_3)
	v_and_b32_e32 v1, 62, v1
	ds_store_2addr_stride64_b32 v7, v9, v9 offset1:16
	ds_store_2addr_stride64_b32 v7, v9, v9 offset0:32 offset1:48
	ds_store_2addr_stride64_b32 v7, v9, v9 offset0:64 offset1:80
	ds_store_2addr_stride64_b32 v7, v9, v9 offset0:96 offset1:112
	v_bfe_u32 v9, v2, 16, 8
	v_lshl_add_u32 v6, v6, 2, v1
	v_lshrrev_b32_e32 v1, s16, v10
	ds_load_u16 v14, v6
	v_bitop3_b32 v1, v1, s12, v1 bitop3:0x30
	s_delay_alu instid0(VALU_DEP_1) | instskip(NEXT) | instid1(VALU_DEP_1)
	v_dual_lshlrev_b32 v7, 10, v1 :: v_dual_lshrrev_b32 v1, 2, v1
	v_and_or_b32 v7, 0x1c00, v7, v0
	s_delay_alu instid0(VALU_DEP_2) | instskip(NEXT) | instid1(VALU_DEP_1)
	v_and_b32_e32 v1, 62, v1
	v_lshl_add_u32 v7, v7, 2, v1
	v_lshrrev_b32_e32 v1, s16, v9
	s_wait_dscnt 0x0
	v_add_nc_u16 v10, v14, 1
	s_delay_alu instid0(VALU_DEP_2) | instskip(SKIP_3) | instid1(VALU_DEP_1)
	v_bitop3_b32 v1, v1, s12, v1 bitop3:0x30
	ds_store_b16 v6, v10
	ds_load_u16 v15, v7
	v_dual_lshlrev_b32 v9, 10, v1 :: v_dual_lshrrev_b32 v1, 2, v1
	v_and_or_b32 v9, 0x1c00, v9, v0
	s_delay_alu instid0(VALU_DEP_2) | instskip(NEXT) | instid1(VALU_DEP_1)
	v_dual_lshrrev_b32 v1, 24, v2 :: v_dual_bitop2_b32 v10, 62, v1 bitop3:0x40
	v_lshl_add_u32 v10, v9, 2, v10
	s_delay_alu instid0(VALU_DEP_2) | instskip(NEXT) | instid1(VALU_DEP_1)
	v_lshrrev_b32_e32 v9, s16, v1
	v_bitop3_b32 v9, v9, s12, v9 bitop3:0x30
	s_wait_dscnt 0x0
	v_add_nc_u16 v12, v15, 1
	ds_store_b16 v7, v12
	ds_load_u16 v16, v10
	v_dual_lshlrev_b32 v12, 10, v9 :: v_dual_lshrrev_b32 v9, 2, v9
	s_delay_alu instid0(VALU_DEP_1) | instskip(NEXT) | instid1(VALU_DEP_2)
	v_and_or_b32 v12, 0x1c00, v12, v0
	v_and_b32_e32 v9, 62, v9
	s_delay_alu instid0(VALU_DEP_1) | instskip(SKIP_1) | instid1(VALU_DEP_1)
	v_lshl_add_u32 v12, v12, 2, v9
	v_lshrrev_b32_e32 v9, s16, v13
	v_bitop3_b32 v9, v9, s12, v9 bitop3:0x30
	s_wait_dscnt 0x0
	v_add_nc_u16 v17, v16, 1
	s_delay_alu instid0(VALU_DEP_2) | instskip(SKIP_4) | instid1(VALU_DEP_1)
	v_dual_lshlrev_b32 v13, 10, v9 :: v_dual_lshrrev_b32 v9, 2, v9
	ds_store_b16 v10, v17
	ds_load_u16 v17, v12
	v_and_or_b32 v13, 0x1c00, v13, v0
	v_and_b32_e32 v9, 62, v9
	v_lshl_add_u32 v13, v13, 2, v9
	v_lshrrev_b32_e32 v9, s16, v18
	s_delay_alu instid0(VALU_DEP_1) | instskip(NEXT) | instid1(VALU_DEP_1)
	v_bitop3_b32 v9, v9, s12, v9 bitop3:0x30
	v_dual_lshlrev_b32 v18, 10, v9 :: v_dual_lshrrev_b32 v9, 2, v9
	s_wait_dscnt 0x0
	v_add_nc_u16 v19, v17, 1
	s_delay_alu instid0(VALU_DEP_2) | instskip(NEXT) | instid1(VALU_DEP_3)
	v_and_or_b32 v18, 0x1c00, v18, v0
	v_and_b32_e32 v9, 62, v9
	ds_store_b16 v12, v19
	ds_load_u16 v19, v13
	v_lshl_add_u32 v26, v18, 2, v9
	v_lshrrev_b32_e32 v9, s16, v20
	s_delay_alu instid0(VALU_DEP_1) | instskip(NEXT) | instid1(VALU_DEP_1)
	v_bitop3_b32 v9, v9, s12, v9 bitop3:0x30
	v_dual_lshlrev_b32 v18, 10, v9 :: v_dual_lshrrev_b32 v9, 2, v9
	s_delay_alu instid0(VALU_DEP_1)
	v_and_b32_e32 v9, 62, v9
	s_wait_dscnt 0x0
	v_add_nc_u16 v21, v19, 1
	ds_store_b16 v13, v21
	ds_load_u16 v20, v26
	v_and_or_b32 v21, 0x1c00, v18, v0
	v_lshrrev_b32_e32 v18, 24, v3
	s_delay_alu instid0(VALU_DEP_2) | instskip(NEXT) | instid1(VALU_DEP_2)
	v_lshl_add_u32 v28, v21, 2, v9
	v_lshrrev_b32_e32 v9, s16, v18
	s_delay_alu instid0(VALU_DEP_1)
	v_bitop3_b32 v9, v9, s12, v9 bitop3:0x30
	s_wait_dscnt 0x0
	v_add_nc_u16 v22, v20, 1
	ds_store_b16 v26, v22
	ds_load_u16 v21, v28
	v_dual_lshlrev_b32 v22, 10, v9 :: v_dual_lshrrev_b32 v9, 2, v9
	s_delay_alu instid0(VALU_DEP_1) | instskip(NEXT) | instid1(VALU_DEP_2)
	v_and_or_b32 v22, 0x1c00, v22, v0
	v_and_b32_e32 v9, 62, v9
	s_delay_alu instid0(VALU_DEP_1) | instskip(SKIP_1) | instid1(VALU_DEP_1)
	v_lshl_add_u32 v31, v22, 2, v9
	v_lshrrev_b32_e32 v9, s16, v23
	v_bitop3_b32 v9, v9, s12, v9 bitop3:0x30
	s_wait_dscnt 0x0
	v_add_nc_u16 v24, v21, 1
	s_delay_alu instid0(VALU_DEP_2)
	v_dual_lshlrev_b32 v23, 10, v9 :: v_dual_lshrrev_b32 v9, 2, v9
	ds_store_b16 v28, v24
	ds_load_u16 v22, v31
	v_bfe_u32 v24, v4, 8, 8
	v_and_or_b32 v23, 0x1c00, v23, v0
	v_and_b32_e32 v9, 62, v9
	s_delay_alu instid0(VALU_DEP_1) | instskip(NEXT) | instid1(VALU_DEP_4)
	v_lshl_add_u32 v33, v23, 2, v9
	v_lshrrev_b32_e32 v9, s16, v24
	s_delay_alu instid0(VALU_DEP_1) | instskip(NEXT) | instid1(VALU_DEP_1)
	v_bitop3_b32 v9, v9, s12, v9 bitop3:0x30
	v_dual_lshlrev_b32 v23, 10, v9 :: v_dual_lshrrev_b32 v9, 2, v9
	s_wait_dscnt 0x0
	v_add_nc_u16 v25, v22, 1
	s_delay_alu instid0(VALU_DEP_2) | instskip(NEXT) | instid1(VALU_DEP_3)
	v_and_or_b32 v23, 0x1c00, v23, v0
	v_and_b32_e32 v9, 62, v9
	ds_store_b16 v31, v25
	ds_load_u16 v24, v33
	v_bfe_u32 v25, v4, 16, 8
	v_lshl_add_u32 v35, v23, 2, v9
	s_delay_alu instid0(VALU_DEP_2) | instskip(NEXT) | instid1(VALU_DEP_1)
	v_lshrrev_b32_e32 v9, s16, v25
	v_bitop3_b32 v9, v9, s12, v9 bitop3:0x30
	s_delay_alu instid0(VALU_DEP_1) | instskip(SKIP_2) | instid1(VALU_DEP_2)
	v_dual_lshlrev_b32 v23, 10, v9 :: v_dual_lshrrev_b32 v9, 2, v9
	s_wait_dscnt 0x0
	v_add_nc_u16 v27, v24, 1
	v_and_b32_e32 v9, 62, v9
	ds_store_b16 v33, v27
	ds_load_u16 v25, v35
	v_and_or_b32 v27, 0x1c00, v23, v0
	v_lshrrev_b32_e32 v23, 24, v4
	s_delay_alu instid0(VALU_DEP_2) | instskip(NEXT) | instid1(VALU_DEP_2)
	v_lshl_add_u32 v37, v27, 2, v9
	v_lshrrev_b32_e32 v9, s16, v23
	s_delay_alu instid0(VALU_DEP_1)
	v_bitop3_b32 v9, v9, s12, v9 bitop3:0x30
	s_wait_dscnt 0x0
	v_add_nc_u16 v29, v25, 1
	ds_store_b16 v35, v29
	ds_load_u16 v27, v37
	v_dual_lshlrev_b32 v29, 10, v9 :: v_dual_lshrrev_b32 v9, 2, v9
	s_delay_alu instid0(VALU_DEP_1) | instskip(NEXT) | instid1(VALU_DEP_2)
	v_and_or_b32 v29, 0x1c00, v29, v0
	v_and_b32_e32 v9, 62, v9
	s_delay_alu instid0(VALU_DEP_1) | instskip(SKIP_1) | instid1(VALU_DEP_1)
	v_lshl_add_u32 v39, v29, 2, v9
	v_lshrrev_b32_e32 v9, s16, v30
	v_bitop3_b32 v9, v9, s12, v9 bitop3:0x30
	s_wait_dscnt 0x0
	v_add_nc_u16 v32, v27, 1
	s_delay_alu instid0(VALU_DEP_2)
	v_dual_lshlrev_b32 v29, 10, v9 :: v_dual_lshrrev_b32 v9, 2, v9
	ds_store_b16 v37, v32
	ds_load_u16 v30, v39
	v_bfe_u32 v32, v5, 8, 8
	v_and_or_b32 v29, 0x1c00, v29, v0
	v_and_b32_e32 v9, 62, v9
	s_delay_alu instid0(VALU_DEP_1) | instskip(NEXT) | instid1(VALU_DEP_4)
	v_lshl_add_u32 v41, v29, 2, v9
	v_lshrrev_b32_e32 v9, s16, v32
	s_delay_alu instid0(VALU_DEP_1) | instskip(NEXT) | instid1(VALU_DEP_1)
	v_bitop3_b32 v9, v9, s12, v9 bitop3:0x30
	v_dual_lshlrev_b32 v29, 10, v9 :: v_dual_lshrrev_b32 v9, 2, v9
	s_wait_dscnt 0x0
	v_add_nc_u16 v34, v30, 1
	s_delay_alu instid0(VALU_DEP_2) | instskip(NEXT) | instid1(VALU_DEP_3)
	v_and_or_b32 v29, 0x1c00, v29, v0
	v_and_b32_e32 v9, 62, v9
	ds_store_b16 v39, v34
	ds_load_u16 v32, v41
	v_bfe_u32 v34, v5, 16, 8
	v_lshl_add_u32 v44, v29, 2, v9
	s_delay_alu instid0(VALU_DEP_2) | instskip(NEXT) | instid1(VALU_DEP_1)
	v_lshrrev_b32_e32 v9, s16, v34
	v_bitop3_b32 v9, v9, s12, v9 bitop3:0x30
	s_delay_alu instid0(VALU_DEP_1) | instskip(SKIP_2) | instid1(VALU_DEP_2)
	v_dual_lshlrev_b32 v29, 10, v9 :: v_dual_lshrrev_b32 v9, 2, v9
	s_wait_dscnt 0x0
	v_add_nc_u16 v36, v32, 1
	v_and_b32_e32 v9, 62, v9
	ds_store_b16 v41, v36
	ds_load_u16 v34, v44
	v_and_or_b32 v36, 0x1c00, v29, v0
	v_lshrrev_b32_e32 v29, 24, v5
	s_delay_alu instid0(VALU_DEP_2) | instskip(NEXT) | instid1(VALU_DEP_2)
	v_lshl_add_u32 v45, v36, 2, v9
	v_lshrrev_b32_e32 v9, s16, v29
	s_delay_alu instid0(VALU_DEP_1)
	v_bitop3_b32 v9, v9, s12, v9 bitop3:0x30
	s_wait_dscnt 0x0
	v_add_nc_u16 v38, v34, 1
	ds_store_b16 v44, v38
	ds_load_u16 v36, v45
	v_dual_lshlrev_b32 v38, 10, v9 :: v_dual_lshrrev_b32 v9, 2, v9
	s_delay_alu instid0(VALU_DEP_1) | instskip(NEXT) | instid1(VALU_DEP_2)
	v_and_or_b32 v38, 0x1c00, v38, v0
	v_and_b32_e32 v9, 62, v9
	s_delay_alu instid0(VALU_DEP_1) | instskip(SKIP_1) | instid1(VALU_DEP_1)
	v_lshl_add_u32 v47, v38, 2, v9
	v_lshrrev_b32_e32 v9, s16, v40
	v_bitop3_b32 v9, v9, s12, v9 bitop3:0x30
	s_wait_dscnt 0x0
	v_add_nc_u16 v42, v36, 1
	s_delay_alu instid0(VALU_DEP_2)
	v_dual_lshlrev_b32 v40, 10, v9 :: v_dual_lshrrev_b32 v9, 2, v9
	ds_store_b16 v45, v42
	ds_load_u16 v38, v47
	v_bfe_u32 v42, v8, 8, 8
	v_and_or_b32 v40, 0x1c00, v40, v0
	v_and_b32_e32 v9, 62, v9
	s_delay_alu instid0(VALU_DEP_1) | instskip(NEXT) | instid1(VALU_DEP_4)
	v_lshl_add_u32 v50, v40, 2, v9
	v_lshrrev_b32_e32 v9, s16, v42
	s_delay_alu instid0(VALU_DEP_1) | instskip(NEXT) | instid1(VALU_DEP_1)
	v_bitop3_b32 v9, v9, s12, v9 bitop3:0x30
	v_dual_lshlrev_b32 v42, 10, v9 :: v_dual_lshrrev_b32 v9, 2, v9
	s_wait_dscnt 0x0
	v_add_nc_u16 v43, v38, 1
	s_delay_alu instid0(VALU_DEP_2) | instskip(NEXT) | instid1(VALU_DEP_3)
	v_and_or_b32 v42, 0x1c00, v42, v0
	v_and_b32_e32 v9, 62, v9
	ds_store_b16 v47, v43
	ds_load_u16 v40, v50
	v_bfe_u32 v43, v8, 16, 8
	v_lshl_add_u32 v52, v42, 2, v9
	s_delay_alu instid0(VALU_DEP_2) | instskip(NEXT) | instid1(VALU_DEP_1)
	v_lshrrev_b32_e32 v9, s16, v43
	v_bitop3_b32 v42, v9, s12, v9 bitop3:0x30
	s_wait_loadcnt 0x0
	v_and_b32_e32 v9, 0xffff, v11
	s_delay_alu instid0(VALU_DEP_1) | instskip(SKIP_2) | instid1(VALU_DEP_2)
	v_alignbit_b32 v48, v9, v8, 24
	s_wait_dscnt 0x0
	v_add_nc_u16 v46, v40, 1
	v_and_b32_e32 v48, 0xff, v48
	ds_store_b16 v50, v46
	ds_load_u16 v43, v52
	v_dual_lshlrev_b32 v46, 10, v42 :: v_dual_lshrrev_b32 v42, 2, v42
	s_delay_alu instid0(VALU_DEP_1) | instskip(NEXT) | instid1(VALU_DEP_2)
	v_and_or_b32 v46, 0x1c00, v46, v0
	v_and_b32_e32 v42, 62, v42
	s_delay_alu instid0(VALU_DEP_1) | instskip(SKIP_1) | instid1(VALU_DEP_1)
	v_lshl_add_u32 v53, v46, 2, v42
	v_lshrrev_b32_e32 v42, s16, v48
	v_bitop3_b32 v42, v42, s12, v42 bitop3:0x30
	s_wait_dscnt 0x0
	v_add_nc_u16 v49, v43, 1
	s_delay_alu instid0(VALU_DEP_2)
	v_dual_lshlrev_b32 v48, 10, v42 :: v_dual_lshrrev_b32 v42, 2, v42
	ds_store_b16 v52, v49
	ds_load_u16 v46, v53
	v_and_b32_e32 v49, 0xff, v9
	v_and_or_b32 v48, 0x1c00, v48, v0
	v_and_b32_e32 v42, 62, v42
	s_delay_alu instid0(VALU_DEP_1) | instskip(NEXT) | instid1(VALU_DEP_4)
	v_lshl_add_u32 v54, v48, 2, v42
	v_lshrrev_b32_e32 v42, s16, v49
	s_delay_alu instid0(VALU_DEP_1) | instskip(NEXT) | instid1(VALU_DEP_1)
	v_bitop3_b32 v42, v42, s12, v42 bitop3:0x30
	v_lshlrev_b32_e32 v49, 10, v42
	s_wait_dscnt 0x0
	v_add_nc_u16 v51, v46, 1
	v_lshrrev_b32_e32 v42, 2, v42
	s_delay_alu instid0(VALU_DEP_3) | instskip(SKIP_3) | instid1(VALU_DEP_1)
	v_and_or_b32 v49, 0x1c00, v49, v0
	ds_store_b16 v53, v51
	ds_load_u16 v48, v54
	v_dual_lshrrev_b32 v42, 8, v9 :: v_dual_bitop2_b32 v51, 62, v42 bitop3:0x40
	v_lshl_add_u32 v55, v49, 2, v51
	s_delay_alu instid0(VALU_DEP_2) | instskip(NEXT) | instid1(VALU_DEP_1)
	v_lshrrev_b32_e32 v51, s16, v42
	v_bitop3_b32 v51, v51, s12, v51 bitop3:0x30
	s_wait_dscnt 0x0
	v_add_nc_u16 v56, v48, 1
	ds_store_b16 v54, v56
	ds_load_u16 v49, v55
	v_dual_lshlrev_b32 v56, 10, v51 :: v_dual_lshrrev_b32 v51, 2, v51
	s_delay_alu instid0(VALU_DEP_1) | instskip(NEXT) | instid1(VALU_DEP_2)
	v_and_or_b32 v56, 0x1c00, v56, v0
	v_and_b32_e32 v51, 62, v51
	s_delay_alu instid0(VALU_DEP_1)
	v_lshl_add_u32 v56, v56, 2, v51
	s_wait_dscnt 0x0
	v_add_nc_u16 v57, v49, 1
	ds_store_b16 v55, v57
	ds_load_u16 v51, v56
	v_lshlrev_b32_e32 v57, 5, v0
	s_wait_dscnt 0x0
	v_add_nc_u16 v58, v51, 1
	ds_store_b16 v56, v58
	s_wait_storecnt_dscnt 0x0
	s_barrier_signal -1
	s_barrier_wait -1
	ds_load_2addr_b64 v[58:61], v57 offset1:1
	ds_load_2addr_b64 v[62:65], v57 offset0:2 offset1:3
	s_wait_dscnt 0x1
	v_add_nc_u32_e32 v58, v59, v58
	s_delay_alu instid0(VALU_DEP_1) | instskip(SKIP_1) | instid1(VALU_DEP_1)
	v_add3_u32 v58, v58, v60, v61
	s_wait_dscnt 0x0
	v_add3_u32 v59, v58, v62, v63
	v_mbcnt_lo_u32_b32 v58, -1, 0
	v_and_b32_e32 v62, 31, v0
	s_delay_alu instid0(VALU_DEP_3) | instskip(NEXT) | instid1(VALU_DEP_3)
	v_add3_u32 v59, v59, v64, v65
	v_and_b32_e32 v60, 15, v58
	v_and_b32_e32 v63, 16, v58
	s_delay_alu instid0(VALU_DEP_3) | instskip(NEXT) | instid1(VALU_DEP_3)
	v_mov_b32_dpp v61, v59 row_shr:1 row_mask:0xf bank_mask:0xf
	v_cmp_eq_u32_e32 vcc_lo, 0, v60
	v_cmp_lt_u32_e64 s2, 1, v60
	v_cmp_lt_u32_e64 s3, 3, v60
	;; [unrolled: 1-line block ×3, first 2 shown]
	v_cmp_eq_u32_e64 s5, 0, v63
	v_cndmask_b32_e64 v61, v61, 0, vcc_lo
	s_delay_alu instid0(VALU_DEP_1) | instskip(NEXT) | instid1(VALU_DEP_1)
	v_add_nc_u32_e32 v59, v61, v59
	v_mov_b32_dpp v61, v59 row_shr:2 row_mask:0xf bank_mask:0xf
	s_delay_alu instid0(VALU_DEP_1) | instskip(NEXT) | instid1(VALU_DEP_1)
	v_cndmask_b32_e64 v61, 0, v61, s2
	v_add_nc_u32_e32 v59, v59, v61
	s_delay_alu instid0(VALU_DEP_1) | instskip(NEXT) | instid1(VALU_DEP_1)
	v_mov_b32_dpp v61, v59 row_shr:4 row_mask:0xf bank_mask:0xf
	v_cndmask_b32_e64 v61, 0, v61, s3
	s_delay_alu instid0(VALU_DEP_1) | instskip(NEXT) | instid1(VALU_DEP_1)
	v_add_nc_u32_e32 v59, v59, v61
	v_mov_b32_dpp v61, v59 row_shr:8 row_mask:0xf bank_mask:0xf
	s_delay_alu instid0(VALU_DEP_1) | instskip(SKIP_1) | instid1(VALU_DEP_2)
	v_cndmask_b32_e64 v60, 0, v61, s4
	v_bfe_i32 v61, v58, 4, 1
	v_add_nc_u32_e32 v59, v59, v60
	ds_swizzle_b32 v60, v59 offset:swizzle(BROADCAST,32,15)
	s_wait_dscnt 0x0
	v_and_b32_e32 v60, v61, v60
	v_lshrrev_b32_e32 v61, 5, v0
	s_delay_alu instid0(VALU_DEP_1)
	v_dual_add_nc_u32 v59, v59, v60 :: v_dual_lshlrev_b32 v60, 2, v61
	v_cmpx_eq_u32_e32 31, v62
; %bb.118:
	ds_store_b32 v60, v59 offset:32768
; %bb.119:
	s_or_b32 exec_lo, exec_lo, s7
	v_cmp_lt_u32_e64 s6, 31, v0
	s_mov_b32 s13, exec_lo
	s_wait_dscnt 0x0
	s_barrier_signal -1
	s_barrier_wait -1
	v_cmpx_gt_u32_e32 32, v0
	s_cbranch_execz .LBB219_121
; %bb.120:
	v_mad_i32_i24 v61, 0xffffffe4, v0, v57
	ds_load_b32 v62, v61 offset:32768
	s_wait_dscnt 0x0
	v_mov_b32_dpp v63, v62 row_shr:1 row_mask:0xf bank_mask:0xf
	s_delay_alu instid0(VALU_DEP_1) | instskip(NEXT) | instid1(VALU_DEP_1)
	v_cndmask_b32_e64 v63, v63, 0, vcc_lo
	v_add_nc_u32_e32 v62, v63, v62
	s_delay_alu instid0(VALU_DEP_1) | instskip(NEXT) | instid1(VALU_DEP_1)
	v_mov_b32_dpp v63, v62 row_shr:2 row_mask:0xf bank_mask:0xf
	v_cndmask_b32_e64 v63, 0, v63, s2
	s_delay_alu instid0(VALU_DEP_1) | instskip(NEXT) | instid1(VALU_DEP_1)
	v_add_nc_u32_e32 v62, v62, v63
	v_mov_b32_dpp v63, v62 row_shr:4 row_mask:0xf bank_mask:0xf
	s_delay_alu instid0(VALU_DEP_1) | instskip(NEXT) | instid1(VALU_DEP_1)
	v_cndmask_b32_e64 v63, 0, v63, s3
	v_add_nc_u32_e32 v62, v62, v63
	s_delay_alu instid0(VALU_DEP_1) | instskip(NEXT) | instid1(VALU_DEP_1)
	v_mov_b32_dpp v63, v62 row_shr:8 row_mask:0xf bank_mask:0xf
	v_cndmask_b32_e64 v63, 0, v63, s4
	s_delay_alu instid0(VALU_DEP_1) | instskip(SKIP_3) | instid1(VALU_DEP_1)
	v_add_nc_u32_e32 v62, v62, v63
	ds_swizzle_b32 v63, v62 offset:swizzle(BROADCAST,32,15)
	s_wait_dscnt 0x0
	v_cndmask_b32_e64 v63, v63, 0, s5
	v_add_nc_u32_e32 v62, v62, v63
	ds_store_b32 v61, v62 offset:32768
.LBB219_121:
	s_or_b32 exec_lo, exec_lo, s13
	v_dual_mov_b32 v62, 0 :: v_dual_mov_b32 v61, 0
	s_wait_dscnt 0x0
	s_barrier_signal -1
	s_barrier_wait -1
	s_and_saveexec_b32 s2, s6
; %bb.122:
	ds_load_b32 v61, v60 offset:32764
; %bb.123:
	s_or_b32 exec_lo, exec_lo, s2
	v_sub_co_u32 v60, vcc_lo, v58, 1
	s_wait_dscnt 0x0
	v_add_nc_u32_e32 v59, v61, v59
	s_delay_alu instid0(VALU_DEP_2) | instskip(NEXT) | instid1(VALU_DEP_1)
	v_cmp_gt_i32_e64 s2, 0, v60
	v_cndmask_b32_e64 v58, v60, v58, s2
	v_cmp_gt_u32_e64 s2, 16, v0
	s_delay_alu instid0(VALU_DEP_2)
	v_lshlrev_b32_e32 v58, 2, v58
	ds_bpermute_b32 v58, v58, v59
	ds_load_b32 v59, v62 offset:32892
	ds_load_2addr_b64 v[62:65], v57 offset1:1
	ds_load_b32 v66, v57 offset:24
	s_wait_dscnt 0x3
	v_cndmask_b32_e32 v58, v58, v61, vcc_lo
	ds_load_b64 v[60:61], v57 offset:16
	v_cmp_lt_u32_e32 vcc_lo, 15, v0
	s_wait_dscnt 0x3
	v_lshl_add_u32 v58, v59, 16, v58
	s_wait_dscnt 0x2
	s_delay_alu instid0(VALU_DEP_1) | instskip(NEXT) | instid1(VALU_DEP_1)
	v_add_nc_u32_e32 v59, v58, v62
	v_add_nc_u32_e32 v62, v63, v59
	s_delay_alu instid0(VALU_DEP_1) | instskip(NEXT) | instid1(VALU_DEP_1)
	v_add_nc_u32_e32 v63, v64, v62
	v_add_nc_u32_e32 v64, v65, v63
	s_wait_dscnt 0x0
	s_delay_alu instid0(VALU_DEP_1) | instskip(NEXT) | instid1(VALU_DEP_1)
	v_add_nc_u32_e32 v65, v60, v64
	v_add_nc_u32_e32 v60, v61, v65
	s_delay_alu instid0(VALU_DEP_1)
	v_add_nc_u32_e32 v61, v66, v60
	ds_store_2addr_b64 v57, v[58:59], v[62:63] offset1:1
	ds_store_2addr_b64 v57, v[64:65], v[60:61] offset0:2 offset1:3
	s_wait_dscnt 0x0
	s_barrier_signal -1
	s_barrier_wait -1
	ds_load_u16 v57, v6
	ds_load_u16 v58, v7
	;; [unrolled: 1-line block ×22, first 2 shown]
	v_lshrrev_b64 v[12:13], 24, v[8:9]
	v_mov_b64_e32 v[6:7], 0
                                        ; implicit-def: $vgpr10
	s_and_saveexec_b32 s4, s2
	s_cbranch_execz .LBB219_127
; %bb.124:
	v_dual_lshlrev_b32 v6, 12, v0 :: v_dual_lshrrev_b32 v7, 2, v0
	v_add_nc_u32_e32 v9, 1, v0
	s_mov_b32 s5, exec_lo
	s_delay_alu instid0(VALU_DEP_2)
	v_bitop3_b32 v6, v6, 0x70fe, v7 bitop3:0xc8
	v_mov_b32_e32 v7, 0x5800
	ds_load_u16 v6, v6
	v_cmpx_ne_u32_e32 16, v9
; %bb.125:
	v_dual_lshlrev_b32 v7, 12, v9 :: v_dual_lshrrev_b32 v9, 2, v9
	s_delay_alu instid0(VALU_DEP_1)
	v_bitop3_b32 v7, v7, 0x71fe, v9 bitop3:0xc8
	ds_load_u16 v7, v7
; %bb.126:
	s_or_b32 exec_lo, exec_lo, s5
	s_wait_dscnt 0x0
	v_and_b32_e32 v6, 0xffff, v6
	s_mov_b32 s3, 0
	s_delay_alu instid0(VALU_DEP_1) | instid1(SALU_CYCLE_1)
	v_dual_mov_b32 v7, s3 :: v_dual_sub_nc_u32 v10, v7, v6
.LBB219_127:
	s_or_b32 exec_lo, exec_lo, s4
	s_wait_dscnt 0x15
	v_and_b32_e32 v57, 0xffff, v57
	v_and_b32_e32 v14, 0xffff, v14
	s_wait_dscnt 0x14
	v_and_b32_e32 v58, 0xffff, v58
	v_and_b32_e32 v15, 0xffff, v15
	;; [unrolled: 3-line block ×4, first 2 shown]
	v_dual_add_nc_u32 v14, v57, v14 :: v_dual_add_nc_u32 v15, v58, v15
	v_dual_lshrrev_b32 v68, 8, v2 :: v_dual_lshrrev_b32 v69, 16, v2
	s_wait_dscnt 0x11
	v_and_b32_e32 v61, 0xffff, v61
	v_and_b32_e32 v19, 0xffff, v19
	s_wait_dscnt 0x10
	v_and_b32_e32 v62, 0xffff, v62
	v_and_b32_e32 v20, 0xffff, v20
	v_add_nc_u32_e32 v16, v59, v16
	s_wait_dscnt 0xf
	v_and_b32_e32 v63, 0xffff, v63
	v_and_b32_e32 v21, 0xffff, v21
	s_wait_dscnt 0xe
	v_and_b32_e32 v64, 0xffff, v64
	v_and_b32_e32 v22, 0xffff, v22
	;; [unrolled: 3-line block ×3, first 2 shown]
	s_wait_dscnt 0x0
	s_barrier_signal -1
	s_barrier_wait -1
	ds_store_b8 v14, v2 offset:128
	ds_store_b8 v15, v68 offset:128
	;; [unrolled: 1-line block ×3, first 2 shown]
	v_add_nc_u32_e32 v2, v60, v17
	v_and_b32_e32 v35, 0xffff, v35
	v_and_b32_e32 v25, 0xffff, v25
	v_dual_add_nc_u32 v14, v61, v19 :: v_dual_add_nc_u32 v15, v62, v20
	v_dual_lshrrev_b32 v66, 8, v3 :: v_dual_lshrrev_b32 v67, 16, v3
	v_and_b32_e32 v37, 0xffff, v37
	v_and_b32_e32 v27, 0xffff, v27
	;; [unrolled: 1-line block ×4, first 2 shown]
	v_dual_add_nc_u32 v16, v63, v21 :: v_dual_add_nc_u32 v17, v64, v22
	v_and_b32_e32 v41, 0xffff, v41
	v_and_b32_e32 v32, 0xffff, v32
	;; [unrolled: 1-line block ×4, first 2 shown]
	ds_store_b8 v2, v1 offset:128
	ds_store_b8 v14, v3 offset:128
	;; [unrolled: 1-line block ×5, first 2 shown]
	v_dual_add_nc_u32 v1, v65, v24 :: v_dual_add_nc_u32 v2, v35, v25
	v_dual_lshrrev_b32 v31, 8, v4 :: v_dual_lshrrev_b32 v33, 16, v4
	v_and_b32_e32 v45, 0xffff, v45
	v_and_b32_e32 v36, 0xffff, v36
	v_and_b32_e32 v47, 0xffff, v47
	v_and_b32_e32 v38, 0xffff, v38
	v_dual_add_nc_u32 v3, v37, v27 :: v_dual_add_nc_u32 v14, v39, v30
	v_and_b32_e32 v50, 0xffff, v50
	v_and_b32_e32 v40, 0xffff, v40
	;; [unrolled: 1-line block ×4, first 2 shown]
	v_dual_add_nc_u32 v15, v41, v32 :: v_dual_lshrrev_b32 v26, 8, v5
	v_lshrrev_b32_e32 v28, 16, v5
	ds_store_b8 v1, v4 offset:128
	ds_store_b8 v2, v31 offset:128
	;; [unrolled: 1-line block ×5, first 2 shown]
	v_dual_add_nc_u32 v1, v44, v34 :: v_dual_add_nc_u32 v2, v45, v36
	v_dual_add_nc_u32 v3, v47, v38 :: v_dual_add_nc_u32 v4, v50, v40
	v_dual_add_nc_u32 v5, v52, v43 :: v_dual_lshrrev_b32 v13, 8, v8
	v_lshrrev_b32_e32 v9, 16, v8
	v_and_b32_e32 v53, 0xffff, v53
	v_and_b32_e32 v56, 0xffff, v56
	;; [unrolled: 1-line block ×4, first 2 shown]
	ds_store_b8 v1, v26 offset:128
	ds_store_b8 v2, v28 offset:128
	;; [unrolled: 1-line block ×5, first 2 shown]
	v_mov_b32_e32 v3, 0
	v_and_b32_e32 v54, 0xffff, v54
	v_and_b32_e32 v48, 0xffff, v48
	;; [unrolled: 1-line block ×4, first 2 shown]
	v_dual_add_nc_u32 v2, v53, v46 :: v_dual_add_nc_u32 v8, v56, v51
	v_dual_mov_b32 v1, v3 :: v_dual_lshlrev_b32 v14, 3, v0
	s_delay_alu instid0(VALU_DEP_3)
	v_dual_add_nc_u32 v4, v54, v48 :: v_dual_add_nc_u32 v5, v55, v49
	s_not_b32 s3, s12
	ds_store_b8 v2, v9 offset:128
	ds_store_b8 v4, v12 offset:128
	;; [unrolled: 1-line block ×4, first 2 shown]
	s_and_saveexec_b32 s4, s2
	s_cbranch_execz .LBB219_137
; %bb.128:
	v_lshl_add_u32 v2, s19, 4, v0
	v_dual_mov_b32 v8, 0 :: v_dual_bitop2_b32 v9, 2.0, v10 bitop3:0x54
	s_mov_b32 s5, 0
	s_mov_b32 s6, s19
	s_delay_alu instid0(VALU_DEP_2)
	v_lshl_add_u64 v[4:5], v[2:3], 2, s[20:21]
	global_store_b32 v2, v9, s[20:21] scale_offset scope:SCOPE_DEV
                                        ; implicit-def: $sgpr2
	s_branch .LBB219_131
.LBB219_129:                            ;   in Loop: Header=BB219_131 Depth=1
	s_or_b32 exec_lo, exec_lo, s12
.LBB219_130:                            ;   in Loop: Header=BB219_131 Depth=1
	s_delay_alu instid0(SALU_CYCLE_1) | instskip(SKIP_2) | instid1(VALU_DEP_2)
	s_or_b32 exec_lo, exec_lo, s7
	v_and_b32_e32 v2, 0x3fffffff, v9
	v_cmp_gt_i32_e64 s2, -2.0, v9
	v_add_nc_u32_e32 v8, v2, v8
	s_and_b32 s7, exec_lo, s2
	s_delay_alu instid0(SALU_CYCLE_1) | instskip(NEXT) | instid1(SALU_CYCLE_1)
	s_or_b32 s5, s7, s5
	s_and_not1_b32 exec_lo, exec_lo, s5
	s_cbranch_execz .LBB219_136
.LBB219_131:                            ; =>This Loop Header: Depth=1
                                        ;     Child Loop BB219_134 Depth 2
	s_or_b32 s2, s2, exec_lo
	s_cmp_eq_u32 s6, 0
	s_cbranch_scc1 .LBB219_135
; %bb.132:                              ;   in Loop: Header=BB219_131 Depth=1
	s_add_co_i32 s6, s6, -1
	s_mov_b32 s7, exec_lo
	s_wait_xcnt 0x0
	v_lshl_or_b32 v2, s6, 4, v0
	global_load_b32 v9, v2, s[20:21] scale_offset scope:SCOPE_DEV
	s_wait_loadcnt 0x0
	v_cmpx_gt_u32_e32 2.0, v9
	s_cbranch_execz .LBB219_130
; %bb.133:                              ;   in Loop: Header=BB219_131 Depth=1
	v_lshl_add_u64 v[12:13], v[2:3], 2, s[20:21]
	s_mov_b32 s12, 0
.LBB219_134:                            ;   Parent Loop BB219_131 Depth=1
                                        ; =>  This Inner Loop Header: Depth=2
	global_load_b32 v9, v[12:13], off scope:SCOPE_DEV
	s_wait_loadcnt 0x0
	v_cmp_lt_u32_e64 s2, 0x3fffffff, v9
	s_or_b32 s12, s2, s12
	s_wait_xcnt 0x0
	s_and_not1_b32 exec_lo, exec_lo, s12
	s_cbranch_execnz .LBB219_134
	s_branch .LBB219_129
.LBB219_135:                            ;   in Loop: Header=BB219_131 Depth=1
                                        ; implicit-def: $sgpr6
	s_and_b32 s7, exec_lo, s2
	s_delay_alu instid0(SALU_CYCLE_1)
	s_or_b32 s5, s7, s5
	s_wait_xcnt 0x0
	s_and_not1_b32 exec_lo, exec_lo, s5
	s_cbranch_execnz .LBB219_131
.LBB219_136:
	s_or_b32 exec_lo, exec_lo, s5
	v_dual_mov_b32 v9, 0 :: v_dual_add_nc_u32 v2, v8, v10
	s_delay_alu instid0(VALU_DEP_1) | instskip(SKIP_4) | instid1(VALU_DEP_1)
	v_or_b32_e32 v2, 0x80000000, v2
	global_store_b32 v[4:5], v2, off scope:SCOPE_DEV
	global_load_b64 v[2:3], v0, s[8:9] scale_offset
	v_sub_nc_u64_e32 v[4:5], v[8:9], v[6:7]
	s_wait_loadcnt 0x0
	v_add_nc_u64_e32 v[2:3], v[4:5], v[2:3]
	ds_store_b64 v14, v[2:3]
.LBB219_137:
	s_wait_xcnt 0x0
	s_or_b32 exec_lo, exec_lo, s4
	s_wait_storecnt_dscnt 0x0
	s_barrier_signal -1
	s_barrier_wait -1
	ds_load_u8 v11, v0 offset:21632
	ds_load_u8 v15, v0 offset:1152
	;; [unrolled: 1-line block ×12, first 2 shown]
	s_wait_dscnt 0xb
	v_and_b32_e32 v2, 0xff, v11
	s_wait_dscnt 0xa
	v_and_b32_e32 v3, 0xff, v15
	;; [unrolled: 2-line block ×5, first 2 shown]
	v_dual_lshrrev_b32 v2, s16, v2 :: v_dual_lshrrev_b32 v17, s16, v3
	s_wait_dscnt 0x4
	v_and_b32_e32 v13, 0xff, v33
	s_wait_dscnt 0x3
	v_and_b32_e32 v16, 0xff, v36
	v_and_b32_e32 v12, 0xff, v32
	s_wait_dscnt 0x2
	v_and_b32_e32 v18, 0xff, v34
	v_dual_lshrrev_b32 v4, s16, v4 :: v_dual_bitop2_b32 v2, s3, v2 bitop3:0x40
	v_dual_lshrrev_b32 v21, s16, v13 :: v_dual_lshrrev_b32 v13, s16, v16
	v_and_b32_e32 v9, 0xff, v31
	s_delay_alu instid0(VALU_DEP_4) | instskip(NEXT) | instid1(VALU_DEP_4)
	v_dual_lshrrev_b32 v20, s16, v12 :: v_dual_lshrrev_b32 v12, s16, v18
	v_dual_lshlrev_b32 v2, 3, v2 :: v_dual_lshrrev_b32 v5, s16, v5
	s_delay_alu instid0(VALU_DEP_4) | instskip(NEXT) | instid1(VALU_DEP_3)
	v_dual_lshrrev_b32 v8, s16, v8 :: v_dual_bitop2_b32 v23, s3, v13 bitop3:0x40
	v_dual_lshrrev_b32 v9, s16, v9 :: v_dual_bitop2_b32 v12, s3, v12 bitop3:0x40
	ds_load_b64 v[2:3], v2
	v_dual_lshlrev_b32 v23, 3, v23 :: v_dual_bitop2_b32 v16, s3, v17 bitop3:0x40
	v_and_b32_e32 v5, s3, v5
	v_dual_lshlrev_b32 v9, 3, v12 :: v_dual_bitop2_b32 v22, s3, v9 bitop3:0x40
	s_delay_alu instid0(VALU_DEP_3) | instskip(NEXT) | instid1(VALU_DEP_3)
	v_dual_lshlrev_b32 v12, 3, v16 :: v_dual_bitop2_b32 v25, s3, v21 bitop3:0x40
	v_dual_lshlrev_b32 v16, 3, v5 :: v_dual_bitop2_b32 v4, s3, v4 bitop3:0x40
	s_delay_alu instid0(VALU_DEP_2) | instskip(SKIP_2) | instid1(VALU_DEP_3)
	v_dual_lshlrev_b32 v26, 3, v25 :: v_dual_bitop2_b32 v24, s3, v20 bitop3:0x40
	s_wait_dscnt 0x2
	v_and_b32_e32 v35, 0xff, v37
	v_lshlrev_b32_e32 v13, 3, v4
	v_dual_lshlrev_b32 v22, 3, v22 :: v_dual_bitop2_b32 v8, s3, v8 bitop3:0x40
	v_lshlrev_b32_e32 v24, 3, v24
	s_wait_dscnt 0x1
	v_and_b32_e32 v43, 0xff, v38
	s_delay_alu instid0(VALU_DEP_3)
	v_lshlrev_b32_e32 v18, 3, v8
	ds_load_b64 v[4:5], v9
	ds_load_b64 v[8:9], v12
	;; [unrolled: 1-line block ×5, first 2 shown]
	ds_load_u8 v39, v0 offset:18560
	ds_load_u8 v40, v0 offset:19584
	ds_load_b64 v[20:21], v23
	ds_load_u8 v41, v0 offset:10368
	ds_load_u8 v42, v0 offset:11392
	ds_load_b64 v[22:23], v22
	ds_load_b64 v[24:25], v24
	;; [unrolled: 1-line block ×3, first 2 shown]
	s_wait_dscnt 0xd
	v_add_nc_u64_e32 v[2:3], s[14:15], v[2:3]
	s_delay_alu instid0(VALU_DEP_1)
	v_add_nc_u64_e32 v[2:3], v[2:3], v[0:1]
	s_wait_dscnt 0xc
	v_add_nc_u64_e32 v[4:5], s[14:15], v[4:5]
	s_wait_dscnt 0xb
	;; [unrolled: 2-line block ×6, first 2 shown]
	v_add_nc_u64_e32 v[20:21], s[14:15], v[20:21]
	v_add_nc_u64_e32 v[4:5], v[4:5], v[0:1]
	;; [unrolled: 1-line block ×6, first 2 shown]
	s_clause 0x4
	global_store_b8 v[4:5], v34, off
	global_store_b8 v[8:9], v15, off offset:1024
	global_store_b8 v[12:13], v28, off offset:2048
	;; [unrolled: 1-line block ×4, first 2 shown]
	s_wait_xcnt 0x3
	ds_load_u8 v15, v0 offset:12416
	ds_load_u8 v44, v0 offset:13440
	;; [unrolled: 1-line block ×6, first 2 shown]
	s_wait_dscnt 0xa
	v_and_b32_e32 v8, 0xff, v41
	v_lshrrev_b32_e32 v35, s16, v35
	s_wait_dscnt 0x9
	v_and_b32_e32 v9, 0xff, v42
	v_lshrrev_b32_e32 v43, s16, v43
	s_wait_dscnt 0x8
	v_add_nc_u64_e32 v[4:5], s[14:15], v[22:23]
	s_wait_xcnt 0x1
	v_lshrrev_b32_e32 v17, s16, v8
	v_and_b32_e32 v29, 0xff, v39
	s_wait_xcnt 0x0
	v_dual_lshrrev_b32 v18, s16, v9 :: v_dual_bitop2_b32 v16, s3, v43 bitop3:0x40
	v_and_b32_e32 v35, s3, v35
	v_and_b32_e32 v22, s3, v17
	s_wait_dscnt 0x7
	v_add_nc_u64_e32 v[8:9], s[14:15], v[24:25]
	v_add_nc_u64_e32 v[4:5], v[4:5], v[0:1]
	v_dual_lshlrev_b32 v19, 3, v16 :: v_dual_lshlrev_b32 v12, 3, v35
	s_wait_dscnt 0x6
	v_add_nc_u64_e32 v[16:17], s[14:15], v[26:27]
	s_wait_dscnt 0x4
	v_and_b32_e32 v27, 0xff, v44
	v_and_b32_e32 v23, s3, v18
	v_lshlrev_b32_e32 v22, 3, v22
	ds_load_b64 v[12:13], v12
	ds_load_b64 v[18:19], v19
	v_and_b32_e32 v26, 0xff, v15
	v_lshlrev_b32_e32 v24, 3, v23
	v_add_nc_u64_e32 v[8:9], v[8:9], v[0:1]
	s_wait_dscnt 0x5
	v_and_b32_e32 v28, 0xff, v45
	v_add_nc_u64_e32 v[16:17], v[16:17], v[0:1]
	v_lshrrev_b32_e32 v26, s16, v26
	ds_load_b64 v[22:23], v22
	ds_load_b64 v[24:25], v24
	s_clause 0x1
	global_store_b8 v[4:5], v31, off offset:5120
	global_store_b8 v[8:9], v32, off offset:6144
	s_wait_xcnt 0x0
	v_dual_lshrrev_b32 v9, s16, v27 :: v_dual_bitop2_b32 v8, s3, v26 bitop3:0x40
	v_lshrrev_b32_e32 v26, s16, v28
	global_store_b8 v[16:17], v33, off offset:7168
	v_and_b32_e32 v30, 0xff, v40
	s_wait_xcnt 0x0
	v_and_b32_e32 v16, s3, v9
	v_dual_lshrrev_b32 v29, s16, v29 :: v_dual_bitop2_b32 v17, s3, v26 bitop3:0x40
	s_wait_dscnt 0x6
	v_and_b32_e32 v26, 0xff, v46
	s_wait_dscnt 0x3
	v_add_nc_u64_e32 v[4:5], s[14:15], v[12:13]
	v_lshlrev_b32_e32 v12, 3, v8
	v_dual_lshlrev_b32 v27, 3, v16 :: v_dual_lshlrev_b32 v28, 3, v17
	v_lshrrev_b32_e32 v26, s16, v26
	s_wait_dscnt 0x2
	v_add_nc_u64_e32 v[8:9], s[14:15], v[18:19]
	ds_load_b64 v[12:13], v12
	s_wait_dscnt 0x2
	v_add_nc_u64_e32 v[16:17], s[14:15], v[22:23]
	s_wait_dscnt 0x1
	v_add_nc_u64_e32 v[18:19], s[14:15], v[24:25]
	ds_load_b64 v[22:23], v27
	ds_load_b64 v[24:25], v28
	v_and_b32_e32 v27, 0xff, v47
	v_and_b32_e32 v26, s3, v26
	;; [unrolled: 1-line block ×3, first 2 shown]
	v_lshrrev_b32_e32 v30, s16, v30
	v_add_nc_u64_e32 v[4:5], v[4:5], v[0:1]
	s_delay_alu instid0(VALU_DEP_4) | instskip(NEXT) | instid1(VALU_DEP_3)
	v_dual_lshrrev_b32 v31, s16, v27 :: v_dual_lshlrev_b32 v26, 3, v26
	v_dual_lshrrev_b32 v28, s16, v28 :: v_dual_bitop2_b32 v30, s3, v30 bitop3:0x40
	v_and_b32_e32 v29, s3, v29
	v_add_nc_u64_e32 v[8:9], v[8:9], v[0:1]
	ds_load_b64 v[26:27], v26
	v_and_b32_e32 v28, s3, v28
	v_dual_lshlrev_b32 v34, 3, v30 :: v_dual_bitop2_b32 v31, s3, v31 bitop3:0x40
	v_lshlrev_b32_e32 v33, 3, v29
	s_wait_dscnt 0x3
	v_add_nc_u64_e32 v[12:13], s[14:15], v[12:13]
	s_delay_alu instid0(VALU_DEP_3)
	v_dual_lshlrev_b32 v32, 3, v28 :: v_dual_lshlrev_b32 v31, 3, v31
	ds_load_b64 v[28:29], v31
	ds_load_b64 v[30:31], v32
	;; [unrolled: 1-line block ×4, first 2 shown]
	s_wait_dscnt 0x6
	v_add_nc_u64_e32 v[22:23], s[14:15], v[22:23]
	s_wait_dscnt 0x5
	v_add_nc_u64_e32 v[24:25], s[14:15], v[24:25]
	v_add_nc_u64_e32 v[16:17], v[16:17], v[0:1]
	;; [unrolled: 1-line block ×7, first 2 shown]
	s_clause 0x6
	global_store_b8 v[4:5], v37, off offset:8192
	global_store_b8 v[8:9], v38, off offset:9216
	;; [unrolled: 1-line block ×7, first 2 shown]
	s_wait_dscnt 0x4
	s_wait_xcnt 0x6
	v_add_nc_u64_e32 v[4:5], s[14:15], v[26:27]
	s_wait_dscnt 0x3
	s_wait_xcnt 0x5
	v_add_nc_u64_e32 v[8:9], s[14:15], v[28:29]
	s_wait_dscnt 0x2
	s_wait_xcnt 0x2
	v_add_nc_u64_e32 v[12:13], s[14:15], v[30:31]
	s_wait_dscnt 0x1
	v_add_nc_u64_e32 v[16:17], s[14:15], v[32:33]
	s_wait_dscnt 0x0
	v_add_nc_u64_e32 v[18:19], s[14:15], v[34:35]
	v_add_nc_u64_e32 v[4:5], v[4:5], v[0:1]
	;; [unrolled: 1-line block ×6, first 2 shown]
	s_clause 0x6
	global_store_b8 v[4:5], v46, off offset:15360
	global_store_b8 v[8:9], v47, off offset:16384
	global_store_b8 v[12:13], v48, off offset:17408
	global_store_b8 v[16:17], v39, off offset:18432
	global_store_b8 v[18:19], v40, off offset:19456
	global_store_b8 v[20:21], v36, off offset:20480
	global_store_b8 v[2:3], v11, off offset:21504
	s_load_b32 s0, s[0:1], 0x58
	s_wait_kmcnt 0x0
	s_add_co_i32 s0, s0, -1
	s_delay_alu instid0(SALU_CYCLE_1) | instskip(SKIP_2) | instid1(SALU_CYCLE_1)
	s_cmp_eq_u32 s19, s0
	s_cselect_b32 s0, -1, 0
	s_xor_b32 s1, vcc_lo, -1
	s_and_b32 s0, s1, s0
	s_delay_alu instid0(SALU_CYCLE_1)
	s_and_saveexec_b32 s1, s0
	s_cbranch_execz .LBB219_139
; %bb.138:
	ds_load_b64 v[2:3], v14
	v_mov_b32_e32 v11, 0
	s_delay_alu instid0(VALU_DEP_1) | instskip(SKIP_1) | instid1(VALU_DEP_1)
	v_add_nc_u64_e32 v[4:5], v[6:7], v[10:11]
	s_wait_dscnt 0x0
	v_add_nc_u64_e32 v[2:3], v[4:5], v[2:3]
	global_store_b64 v0, v[2:3], s[10:11] scale_offset
.LBB219_139:
	s_sendmsg sendmsg(MSG_DEALLOC_VGPRS)
	s_endpgm
	.section	.rodata,"a",@progbits
	.p2align	6, 0x0
	.amdhsa_kernel _ZN7rocprim17ROCPRIM_400000_NS6detail17trampoline_kernelINS0_14default_configENS1_35radix_sort_onesweep_config_selectorIhNS0_10empty_typeEEEZZNS1_29radix_sort_onesweep_iterationIS3_Lb0EPKhPhPS5_SB_mNS0_19identity_decomposerENS1_16block_id_wrapperIjLb1EEEEE10hipError_tT1_PNSt15iterator_traitsISG_E10value_typeET2_T3_PNSH_ISM_E10value_typeET4_T5_PSR_SS_PNS1_23onesweep_lookback_stateEbbT6_jjT7_P12ihipStream_tbENKUlT_T0_SG_SL_E_clIS9_SA_SB_SB_EEDaSZ_S10_SG_SL_EUlSZ_E_NS1_11comp_targetILNS1_3genE0ELNS1_11target_archE4294967295ELNS1_3gpuE0ELNS1_3repE0EEENS1_47radix_sort_onesweep_sort_config_static_selectorELNS0_4arch9wavefront6targetE0EEEvSG_
		.amdhsa_group_segment_fixed_size 32904
		.amdhsa_private_segment_fixed_size 0
		.amdhsa_kernarg_size 344
		.amdhsa_user_sgpr_count 2
		.amdhsa_user_sgpr_dispatch_ptr 0
		.amdhsa_user_sgpr_queue_ptr 0
		.amdhsa_user_sgpr_kernarg_segment_ptr 1
		.amdhsa_user_sgpr_dispatch_id 0
		.amdhsa_user_sgpr_kernarg_preload_length 0
		.amdhsa_user_sgpr_kernarg_preload_offset 0
		.amdhsa_user_sgpr_private_segment_size 0
		.amdhsa_wavefront_size32 1
		.amdhsa_uses_dynamic_stack 0
		.amdhsa_enable_private_segment 0
		.amdhsa_system_sgpr_workgroup_id_x 1
		.amdhsa_system_sgpr_workgroup_id_y 0
		.amdhsa_system_sgpr_workgroup_id_z 0
		.amdhsa_system_sgpr_workgroup_info 0
		.amdhsa_system_vgpr_workitem_id 0
		.amdhsa_next_free_vgpr 79
		.amdhsa_next_free_sgpr 25
		.amdhsa_named_barrier_count 0
		.amdhsa_reserve_vcc 1
		.amdhsa_float_round_mode_32 0
		.amdhsa_float_round_mode_16_64 0
		.amdhsa_float_denorm_mode_32 3
		.amdhsa_float_denorm_mode_16_64 3
		.amdhsa_fp16_overflow 0
		.amdhsa_memory_ordered 1
		.amdhsa_forward_progress 1
		.amdhsa_inst_pref_size 111
		.amdhsa_round_robin_scheduling 0
		.amdhsa_exception_fp_ieee_invalid_op 0
		.amdhsa_exception_fp_denorm_src 0
		.amdhsa_exception_fp_ieee_div_zero 0
		.amdhsa_exception_fp_ieee_overflow 0
		.amdhsa_exception_fp_ieee_underflow 0
		.amdhsa_exception_fp_ieee_inexact 0
		.amdhsa_exception_int_div_zero 0
	.end_amdhsa_kernel
	.section	.text._ZN7rocprim17ROCPRIM_400000_NS6detail17trampoline_kernelINS0_14default_configENS1_35radix_sort_onesweep_config_selectorIhNS0_10empty_typeEEEZZNS1_29radix_sort_onesweep_iterationIS3_Lb0EPKhPhPS5_SB_mNS0_19identity_decomposerENS1_16block_id_wrapperIjLb1EEEEE10hipError_tT1_PNSt15iterator_traitsISG_E10value_typeET2_T3_PNSH_ISM_E10value_typeET4_T5_PSR_SS_PNS1_23onesweep_lookback_stateEbbT6_jjT7_P12ihipStream_tbENKUlT_T0_SG_SL_E_clIS9_SA_SB_SB_EEDaSZ_S10_SG_SL_EUlSZ_E_NS1_11comp_targetILNS1_3genE0ELNS1_11target_archE4294967295ELNS1_3gpuE0ELNS1_3repE0EEENS1_47radix_sort_onesweep_sort_config_static_selectorELNS0_4arch9wavefront6targetE0EEEvSG_,"axG",@progbits,_ZN7rocprim17ROCPRIM_400000_NS6detail17trampoline_kernelINS0_14default_configENS1_35radix_sort_onesweep_config_selectorIhNS0_10empty_typeEEEZZNS1_29radix_sort_onesweep_iterationIS3_Lb0EPKhPhPS5_SB_mNS0_19identity_decomposerENS1_16block_id_wrapperIjLb1EEEEE10hipError_tT1_PNSt15iterator_traitsISG_E10value_typeET2_T3_PNSH_ISM_E10value_typeET4_T5_PSR_SS_PNS1_23onesweep_lookback_stateEbbT6_jjT7_P12ihipStream_tbENKUlT_T0_SG_SL_E_clIS9_SA_SB_SB_EEDaSZ_S10_SG_SL_EUlSZ_E_NS1_11comp_targetILNS1_3genE0ELNS1_11target_archE4294967295ELNS1_3gpuE0ELNS1_3repE0EEENS1_47radix_sort_onesweep_sort_config_static_selectorELNS0_4arch9wavefront6targetE0EEEvSG_,comdat
.Lfunc_end219:
	.size	_ZN7rocprim17ROCPRIM_400000_NS6detail17trampoline_kernelINS0_14default_configENS1_35radix_sort_onesweep_config_selectorIhNS0_10empty_typeEEEZZNS1_29radix_sort_onesweep_iterationIS3_Lb0EPKhPhPS5_SB_mNS0_19identity_decomposerENS1_16block_id_wrapperIjLb1EEEEE10hipError_tT1_PNSt15iterator_traitsISG_E10value_typeET2_T3_PNSH_ISM_E10value_typeET4_T5_PSR_SS_PNS1_23onesweep_lookback_stateEbbT6_jjT7_P12ihipStream_tbENKUlT_T0_SG_SL_E_clIS9_SA_SB_SB_EEDaSZ_S10_SG_SL_EUlSZ_E_NS1_11comp_targetILNS1_3genE0ELNS1_11target_archE4294967295ELNS1_3gpuE0ELNS1_3repE0EEENS1_47radix_sort_onesweep_sort_config_static_selectorELNS0_4arch9wavefront6targetE0EEEvSG_, .Lfunc_end219-_ZN7rocprim17ROCPRIM_400000_NS6detail17trampoline_kernelINS0_14default_configENS1_35radix_sort_onesweep_config_selectorIhNS0_10empty_typeEEEZZNS1_29radix_sort_onesweep_iterationIS3_Lb0EPKhPhPS5_SB_mNS0_19identity_decomposerENS1_16block_id_wrapperIjLb1EEEEE10hipError_tT1_PNSt15iterator_traitsISG_E10value_typeET2_T3_PNSH_ISM_E10value_typeET4_T5_PSR_SS_PNS1_23onesweep_lookback_stateEbbT6_jjT7_P12ihipStream_tbENKUlT_T0_SG_SL_E_clIS9_SA_SB_SB_EEDaSZ_S10_SG_SL_EUlSZ_E_NS1_11comp_targetILNS1_3genE0ELNS1_11target_archE4294967295ELNS1_3gpuE0ELNS1_3repE0EEENS1_47radix_sort_onesweep_sort_config_static_selectorELNS0_4arch9wavefront6targetE0EEEvSG_
                                        ; -- End function
	.set _ZN7rocprim17ROCPRIM_400000_NS6detail17trampoline_kernelINS0_14default_configENS1_35radix_sort_onesweep_config_selectorIhNS0_10empty_typeEEEZZNS1_29radix_sort_onesweep_iterationIS3_Lb0EPKhPhPS5_SB_mNS0_19identity_decomposerENS1_16block_id_wrapperIjLb1EEEEE10hipError_tT1_PNSt15iterator_traitsISG_E10value_typeET2_T3_PNSH_ISM_E10value_typeET4_T5_PSR_SS_PNS1_23onesweep_lookback_stateEbbT6_jjT7_P12ihipStream_tbENKUlT_T0_SG_SL_E_clIS9_SA_SB_SB_EEDaSZ_S10_SG_SL_EUlSZ_E_NS1_11comp_targetILNS1_3genE0ELNS1_11target_archE4294967295ELNS1_3gpuE0ELNS1_3repE0EEENS1_47radix_sort_onesweep_sort_config_static_selectorELNS0_4arch9wavefront6targetE0EEEvSG_.num_vgpr, 79
	.set _ZN7rocprim17ROCPRIM_400000_NS6detail17trampoline_kernelINS0_14default_configENS1_35radix_sort_onesweep_config_selectorIhNS0_10empty_typeEEEZZNS1_29radix_sort_onesweep_iterationIS3_Lb0EPKhPhPS5_SB_mNS0_19identity_decomposerENS1_16block_id_wrapperIjLb1EEEEE10hipError_tT1_PNSt15iterator_traitsISG_E10value_typeET2_T3_PNSH_ISM_E10value_typeET4_T5_PSR_SS_PNS1_23onesweep_lookback_stateEbbT6_jjT7_P12ihipStream_tbENKUlT_T0_SG_SL_E_clIS9_SA_SB_SB_EEDaSZ_S10_SG_SL_EUlSZ_E_NS1_11comp_targetILNS1_3genE0ELNS1_11target_archE4294967295ELNS1_3gpuE0ELNS1_3repE0EEENS1_47radix_sort_onesweep_sort_config_static_selectorELNS0_4arch9wavefront6targetE0EEEvSG_.num_agpr, 0
	.set _ZN7rocprim17ROCPRIM_400000_NS6detail17trampoline_kernelINS0_14default_configENS1_35radix_sort_onesweep_config_selectorIhNS0_10empty_typeEEEZZNS1_29radix_sort_onesweep_iterationIS3_Lb0EPKhPhPS5_SB_mNS0_19identity_decomposerENS1_16block_id_wrapperIjLb1EEEEE10hipError_tT1_PNSt15iterator_traitsISG_E10value_typeET2_T3_PNSH_ISM_E10value_typeET4_T5_PSR_SS_PNS1_23onesweep_lookback_stateEbbT6_jjT7_P12ihipStream_tbENKUlT_T0_SG_SL_E_clIS9_SA_SB_SB_EEDaSZ_S10_SG_SL_EUlSZ_E_NS1_11comp_targetILNS1_3genE0ELNS1_11target_archE4294967295ELNS1_3gpuE0ELNS1_3repE0EEENS1_47radix_sort_onesweep_sort_config_static_selectorELNS0_4arch9wavefront6targetE0EEEvSG_.numbered_sgpr, 25
	.set _ZN7rocprim17ROCPRIM_400000_NS6detail17trampoline_kernelINS0_14default_configENS1_35radix_sort_onesweep_config_selectorIhNS0_10empty_typeEEEZZNS1_29radix_sort_onesweep_iterationIS3_Lb0EPKhPhPS5_SB_mNS0_19identity_decomposerENS1_16block_id_wrapperIjLb1EEEEE10hipError_tT1_PNSt15iterator_traitsISG_E10value_typeET2_T3_PNSH_ISM_E10value_typeET4_T5_PSR_SS_PNS1_23onesweep_lookback_stateEbbT6_jjT7_P12ihipStream_tbENKUlT_T0_SG_SL_E_clIS9_SA_SB_SB_EEDaSZ_S10_SG_SL_EUlSZ_E_NS1_11comp_targetILNS1_3genE0ELNS1_11target_archE4294967295ELNS1_3gpuE0ELNS1_3repE0EEENS1_47radix_sort_onesweep_sort_config_static_selectorELNS0_4arch9wavefront6targetE0EEEvSG_.num_named_barrier, 0
	.set _ZN7rocprim17ROCPRIM_400000_NS6detail17trampoline_kernelINS0_14default_configENS1_35radix_sort_onesweep_config_selectorIhNS0_10empty_typeEEEZZNS1_29radix_sort_onesweep_iterationIS3_Lb0EPKhPhPS5_SB_mNS0_19identity_decomposerENS1_16block_id_wrapperIjLb1EEEEE10hipError_tT1_PNSt15iterator_traitsISG_E10value_typeET2_T3_PNSH_ISM_E10value_typeET4_T5_PSR_SS_PNS1_23onesweep_lookback_stateEbbT6_jjT7_P12ihipStream_tbENKUlT_T0_SG_SL_E_clIS9_SA_SB_SB_EEDaSZ_S10_SG_SL_EUlSZ_E_NS1_11comp_targetILNS1_3genE0ELNS1_11target_archE4294967295ELNS1_3gpuE0ELNS1_3repE0EEENS1_47radix_sort_onesweep_sort_config_static_selectorELNS0_4arch9wavefront6targetE0EEEvSG_.private_seg_size, 0
	.set _ZN7rocprim17ROCPRIM_400000_NS6detail17trampoline_kernelINS0_14default_configENS1_35radix_sort_onesweep_config_selectorIhNS0_10empty_typeEEEZZNS1_29radix_sort_onesweep_iterationIS3_Lb0EPKhPhPS5_SB_mNS0_19identity_decomposerENS1_16block_id_wrapperIjLb1EEEEE10hipError_tT1_PNSt15iterator_traitsISG_E10value_typeET2_T3_PNSH_ISM_E10value_typeET4_T5_PSR_SS_PNS1_23onesweep_lookback_stateEbbT6_jjT7_P12ihipStream_tbENKUlT_T0_SG_SL_E_clIS9_SA_SB_SB_EEDaSZ_S10_SG_SL_EUlSZ_E_NS1_11comp_targetILNS1_3genE0ELNS1_11target_archE4294967295ELNS1_3gpuE0ELNS1_3repE0EEENS1_47radix_sort_onesweep_sort_config_static_selectorELNS0_4arch9wavefront6targetE0EEEvSG_.uses_vcc, 1
	.set _ZN7rocprim17ROCPRIM_400000_NS6detail17trampoline_kernelINS0_14default_configENS1_35radix_sort_onesweep_config_selectorIhNS0_10empty_typeEEEZZNS1_29radix_sort_onesweep_iterationIS3_Lb0EPKhPhPS5_SB_mNS0_19identity_decomposerENS1_16block_id_wrapperIjLb1EEEEE10hipError_tT1_PNSt15iterator_traitsISG_E10value_typeET2_T3_PNSH_ISM_E10value_typeET4_T5_PSR_SS_PNS1_23onesweep_lookback_stateEbbT6_jjT7_P12ihipStream_tbENKUlT_T0_SG_SL_E_clIS9_SA_SB_SB_EEDaSZ_S10_SG_SL_EUlSZ_E_NS1_11comp_targetILNS1_3genE0ELNS1_11target_archE4294967295ELNS1_3gpuE0ELNS1_3repE0EEENS1_47radix_sort_onesweep_sort_config_static_selectorELNS0_4arch9wavefront6targetE0EEEvSG_.uses_flat_scratch, 0
	.set _ZN7rocprim17ROCPRIM_400000_NS6detail17trampoline_kernelINS0_14default_configENS1_35radix_sort_onesweep_config_selectorIhNS0_10empty_typeEEEZZNS1_29radix_sort_onesweep_iterationIS3_Lb0EPKhPhPS5_SB_mNS0_19identity_decomposerENS1_16block_id_wrapperIjLb1EEEEE10hipError_tT1_PNSt15iterator_traitsISG_E10value_typeET2_T3_PNSH_ISM_E10value_typeET4_T5_PSR_SS_PNS1_23onesweep_lookback_stateEbbT6_jjT7_P12ihipStream_tbENKUlT_T0_SG_SL_E_clIS9_SA_SB_SB_EEDaSZ_S10_SG_SL_EUlSZ_E_NS1_11comp_targetILNS1_3genE0ELNS1_11target_archE4294967295ELNS1_3gpuE0ELNS1_3repE0EEENS1_47radix_sort_onesweep_sort_config_static_selectorELNS0_4arch9wavefront6targetE0EEEvSG_.has_dyn_sized_stack, 0
	.set _ZN7rocprim17ROCPRIM_400000_NS6detail17trampoline_kernelINS0_14default_configENS1_35radix_sort_onesweep_config_selectorIhNS0_10empty_typeEEEZZNS1_29radix_sort_onesweep_iterationIS3_Lb0EPKhPhPS5_SB_mNS0_19identity_decomposerENS1_16block_id_wrapperIjLb1EEEEE10hipError_tT1_PNSt15iterator_traitsISG_E10value_typeET2_T3_PNSH_ISM_E10value_typeET4_T5_PSR_SS_PNS1_23onesweep_lookback_stateEbbT6_jjT7_P12ihipStream_tbENKUlT_T0_SG_SL_E_clIS9_SA_SB_SB_EEDaSZ_S10_SG_SL_EUlSZ_E_NS1_11comp_targetILNS1_3genE0ELNS1_11target_archE4294967295ELNS1_3gpuE0ELNS1_3repE0EEENS1_47radix_sort_onesweep_sort_config_static_selectorELNS0_4arch9wavefront6targetE0EEEvSG_.has_recursion, 0
	.set _ZN7rocprim17ROCPRIM_400000_NS6detail17trampoline_kernelINS0_14default_configENS1_35radix_sort_onesweep_config_selectorIhNS0_10empty_typeEEEZZNS1_29radix_sort_onesweep_iterationIS3_Lb0EPKhPhPS5_SB_mNS0_19identity_decomposerENS1_16block_id_wrapperIjLb1EEEEE10hipError_tT1_PNSt15iterator_traitsISG_E10value_typeET2_T3_PNSH_ISM_E10value_typeET4_T5_PSR_SS_PNS1_23onesweep_lookback_stateEbbT6_jjT7_P12ihipStream_tbENKUlT_T0_SG_SL_E_clIS9_SA_SB_SB_EEDaSZ_S10_SG_SL_EUlSZ_E_NS1_11comp_targetILNS1_3genE0ELNS1_11target_archE4294967295ELNS1_3gpuE0ELNS1_3repE0EEENS1_47radix_sort_onesweep_sort_config_static_selectorELNS0_4arch9wavefront6targetE0EEEvSG_.has_indirect_call, 0
	.section	.AMDGPU.csdata,"",@progbits
; Kernel info:
; codeLenInByte = 14192
; TotalNumSgprs: 27
; NumVgprs: 79
; ScratchSize: 0
; MemoryBound: 0
; FloatMode: 240
; IeeeMode: 1
; LDSByteSize: 32904 bytes/workgroup (compile time only)
; SGPRBlocks: 0
; VGPRBlocks: 4
; NumSGPRsForWavesPerEU: 27
; NumVGPRsForWavesPerEU: 79
; NamedBarCnt: 0
; Occupancy: 12
; WaveLimiterHint : 0
; COMPUTE_PGM_RSRC2:SCRATCH_EN: 0
; COMPUTE_PGM_RSRC2:USER_SGPR: 2
; COMPUTE_PGM_RSRC2:TRAP_HANDLER: 0
; COMPUTE_PGM_RSRC2:TGID_X_EN: 1
; COMPUTE_PGM_RSRC2:TGID_Y_EN: 0
; COMPUTE_PGM_RSRC2:TGID_Z_EN: 0
; COMPUTE_PGM_RSRC2:TIDIG_COMP_CNT: 0
	.section	.text._ZN7rocprim17ROCPRIM_400000_NS6detail17trampoline_kernelINS0_14default_configENS1_35radix_sort_onesweep_config_selectorIhNS0_10empty_typeEEEZZNS1_29radix_sort_onesweep_iterationIS3_Lb0EPKhPhPS5_SB_mNS0_19identity_decomposerENS1_16block_id_wrapperIjLb1EEEEE10hipError_tT1_PNSt15iterator_traitsISG_E10value_typeET2_T3_PNSH_ISM_E10value_typeET4_T5_PSR_SS_PNS1_23onesweep_lookback_stateEbbT6_jjT7_P12ihipStream_tbENKUlT_T0_SG_SL_E_clIS9_SA_SB_SB_EEDaSZ_S10_SG_SL_EUlSZ_E_NS1_11comp_targetILNS1_3genE6ELNS1_11target_archE950ELNS1_3gpuE13ELNS1_3repE0EEENS1_47radix_sort_onesweep_sort_config_static_selectorELNS0_4arch9wavefront6targetE0EEEvSG_,"axG",@progbits,_ZN7rocprim17ROCPRIM_400000_NS6detail17trampoline_kernelINS0_14default_configENS1_35radix_sort_onesweep_config_selectorIhNS0_10empty_typeEEEZZNS1_29radix_sort_onesweep_iterationIS3_Lb0EPKhPhPS5_SB_mNS0_19identity_decomposerENS1_16block_id_wrapperIjLb1EEEEE10hipError_tT1_PNSt15iterator_traitsISG_E10value_typeET2_T3_PNSH_ISM_E10value_typeET4_T5_PSR_SS_PNS1_23onesweep_lookback_stateEbbT6_jjT7_P12ihipStream_tbENKUlT_T0_SG_SL_E_clIS9_SA_SB_SB_EEDaSZ_S10_SG_SL_EUlSZ_E_NS1_11comp_targetILNS1_3genE6ELNS1_11target_archE950ELNS1_3gpuE13ELNS1_3repE0EEENS1_47radix_sort_onesweep_sort_config_static_selectorELNS0_4arch9wavefront6targetE0EEEvSG_,comdat
	.protected	_ZN7rocprim17ROCPRIM_400000_NS6detail17trampoline_kernelINS0_14default_configENS1_35radix_sort_onesweep_config_selectorIhNS0_10empty_typeEEEZZNS1_29radix_sort_onesweep_iterationIS3_Lb0EPKhPhPS5_SB_mNS0_19identity_decomposerENS1_16block_id_wrapperIjLb1EEEEE10hipError_tT1_PNSt15iterator_traitsISG_E10value_typeET2_T3_PNSH_ISM_E10value_typeET4_T5_PSR_SS_PNS1_23onesweep_lookback_stateEbbT6_jjT7_P12ihipStream_tbENKUlT_T0_SG_SL_E_clIS9_SA_SB_SB_EEDaSZ_S10_SG_SL_EUlSZ_E_NS1_11comp_targetILNS1_3genE6ELNS1_11target_archE950ELNS1_3gpuE13ELNS1_3repE0EEENS1_47radix_sort_onesweep_sort_config_static_selectorELNS0_4arch9wavefront6targetE0EEEvSG_ ; -- Begin function _ZN7rocprim17ROCPRIM_400000_NS6detail17trampoline_kernelINS0_14default_configENS1_35radix_sort_onesweep_config_selectorIhNS0_10empty_typeEEEZZNS1_29radix_sort_onesweep_iterationIS3_Lb0EPKhPhPS5_SB_mNS0_19identity_decomposerENS1_16block_id_wrapperIjLb1EEEEE10hipError_tT1_PNSt15iterator_traitsISG_E10value_typeET2_T3_PNSH_ISM_E10value_typeET4_T5_PSR_SS_PNS1_23onesweep_lookback_stateEbbT6_jjT7_P12ihipStream_tbENKUlT_T0_SG_SL_E_clIS9_SA_SB_SB_EEDaSZ_S10_SG_SL_EUlSZ_E_NS1_11comp_targetILNS1_3genE6ELNS1_11target_archE950ELNS1_3gpuE13ELNS1_3repE0EEENS1_47radix_sort_onesweep_sort_config_static_selectorELNS0_4arch9wavefront6targetE0EEEvSG_
	.globl	_ZN7rocprim17ROCPRIM_400000_NS6detail17trampoline_kernelINS0_14default_configENS1_35radix_sort_onesweep_config_selectorIhNS0_10empty_typeEEEZZNS1_29radix_sort_onesweep_iterationIS3_Lb0EPKhPhPS5_SB_mNS0_19identity_decomposerENS1_16block_id_wrapperIjLb1EEEEE10hipError_tT1_PNSt15iterator_traitsISG_E10value_typeET2_T3_PNSH_ISM_E10value_typeET4_T5_PSR_SS_PNS1_23onesweep_lookback_stateEbbT6_jjT7_P12ihipStream_tbENKUlT_T0_SG_SL_E_clIS9_SA_SB_SB_EEDaSZ_S10_SG_SL_EUlSZ_E_NS1_11comp_targetILNS1_3genE6ELNS1_11target_archE950ELNS1_3gpuE13ELNS1_3repE0EEENS1_47radix_sort_onesweep_sort_config_static_selectorELNS0_4arch9wavefront6targetE0EEEvSG_
	.p2align	8
	.type	_ZN7rocprim17ROCPRIM_400000_NS6detail17trampoline_kernelINS0_14default_configENS1_35radix_sort_onesweep_config_selectorIhNS0_10empty_typeEEEZZNS1_29radix_sort_onesweep_iterationIS3_Lb0EPKhPhPS5_SB_mNS0_19identity_decomposerENS1_16block_id_wrapperIjLb1EEEEE10hipError_tT1_PNSt15iterator_traitsISG_E10value_typeET2_T3_PNSH_ISM_E10value_typeET4_T5_PSR_SS_PNS1_23onesweep_lookback_stateEbbT6_jjT7_P12ihipStream_tbENKUlT_T0_SG_SL_E_clIS9_SA_SB_SB_EEDaSZ_S10_SG_SL_EUlSZ_E_NS1_11comp_targetILNS1_3genE6ELNS1_11target_archE950ELNS1_3gpuE13ELNS1_3repE0EEENS1_47radix_sort_onesweep_sort_config_static_selectorELNS0_4arch9wavefront6targetE0EEEvSG_,@function
_ZN7rocprim17ROCPRIM_400000_NS6detail17trampoline_kernelINS0_14default_configENS1_35radix_sort_onesweep_config_selectorIhNS0_10empty_typeEEEZZNS1_29radix_sort_onesweep_iterationIS3_Lb0EPKhPhPS5_SB_mNS0_19identity_decomposerENS1_16block_id_wrapperIjLb1EEEEE10hipError_tT1_PNSt15iterator_traitsISG_E10value_typeET2_T3_PNSH_ISM_E10value_typeET4_T5_PSR_SS_PNS1_23onesweep_lookback_stateEbbT6_jjT7_P12ihipStream_tbENKUlT_T0_SG_SL_E_clIS9_SA_SB_SB_EEDaSZ_S10_SG_SL_EUlSZ_E_NS1_11comp_targetILNS1_3genE6ELNS1_11target_archE950ELNS1_3gpuE13ELNS1_3repE0EEENS1_47radix_sort_onesweep_sort_config_static_selectorELNS0_4arch9wavefront6targetE0EEEvSG_: ; @_ZN7rocprim17ROCPRIM_400000_NS6detail17trampoline_kernelINS0_14default_configENS1_35radix_sort_onesweep_config_selectorIhNS0_10empty_typeEEEZZNS1_29radix_sort_onesweep_iterationIS3_Lb0EPKhPhPS5_SB_mNS0_19identity_decomposerENS1_16block_id_wrapperIjLb1EEEEE10hipError_tT1_PNSt15iterator_traitsISG_E10value_typeET2_T3_PNSH_ISM_E10value_typeET4_T5_PSR_SS_PNS1_23onesweep_lookback_stateEbbT6_jjT7_P12ihipStream_tbENKUlT_T0_SG_SL_E_clIS9_SA_SB_SB_EEDaSZ_S10_SG_SL_EUlSZ_E_NS1_11comp_targetILNS1_3genE6ELNS1_11target_archE950ELNS1_3gpuE13ELNS1_3repE0EEENS1_47radix_sort_onesweep_sort_config_static_selectorELNS0_4arch9wavefront6targetE0EEEvSG_
; %bb.0:
	.section	.rodata,"a",@progbits
	.p2align	6, 0x0
	.amdhsa_kernel _ZN7rocprim17ROCPRIM_400000_NS6detail17trampoline_kernelINS0_14default_configENS1_35radix_sort_onesweep_config_selectorIhNS0_10empty_typeEEEZZNS1_29radix_sort_onesweep_iterationIS3_Lb0EPKhPhPS5_SB_mNS0_19identity_decomposerENS1_16block_id_wrapperIjLb1EEEEE10hipError_tT1_PNSt15iterator_traitsISG_E10value_typeET2_T3_PNSH_ISM_E10value_typeET4_T5_PSR_SS_PNS1_23onesweep_lookback_stateEbbT6_jjT7_P12ihipStream_tbENKUlT_T0_SG_SL_E_clIS9_SA_SB_SB_EEDaSZ_S10_SG_SL_EUlSZ_E_NS1_11comp_targetILNS1_3genE6ELNS1_11target_archE950ELNS1_3gpuE13ELNS1_3repE0EEENS1_47radix_sort_onesweep_sort_config_static_selectorELNS0_4arch9wavefront6targetE0EEEvSG_
		.amdhsa_group_segment_fixed_size 0
		.amdhsa_private_segment_fixed_size 0
		.amdhsa_kernarg_size 88
		.amdhsa_user_sgpr_count 2
		.amdhsa_user_sgpr_dispatch_ptr 0
		.amdhsa_user_sgpr_queue_ptr 0
		.amdhsa_user_sgpr_kernarg_segment_ptr 1
		.amdhsa_user_sgpr_dispatch_id 0
		.amdhsa_user_sgpr_kernarg_preload_length 0
		.amdhsa_user_sgpr_kernarg_preload_offset 0
		.amdhsa_user_sgpr_private_segment_size 0
		.amdhsa_wavefront_size32 1
		.amdhsa_uses_dynamic_stack 0
		.amdhsa_enable_private_segment 0
		.amdhsa_system_sgpr_workgroup_id_x 1
		.amdhsa_system_sgpr_workgroup_id_y 0
		.amdhsa_system_sgpr_workgroup_id_z 0
		.amdhsa_system_sgpr_workgroup_info 0
		.amdhsa_system_vgpr_workitem_id 0
		.amdhsa_next_free_vgpr 1
		.amdhsa_next_free_sgpr 1
		.amdhsa_named_barrier_count 0
		.amdhsa_reserve_vcc 0
		.amdhsa_float_round_mode_32 0
		.amdhsa_float_round_mode_16_64 0
		.amdhsa_float_denorm_mode_32 3
		.amdhsa_float_denorm_mode_16_64 3
		.amdhsa_fp16_overflow 0
		.amdhsa_memory_ordered 1
		.amdhsa_forward_progress 1
		.amdhsa_inst_pref_size 0
		.amdhsa_round_robin_scheduling 0
		.amdhsa_exception_fp_ieee_invalid_op 0
		.amdhsa_exception_fp_denorm_src 0
		.amdhsa_exception_fp_ieee_div_zero 0
		.amdhsa_exception_fp_ieee_overflow 0
		.amdhsa_exception_fp_ieee_underflow 0
		.amdhsa_exception_fp_ieee_inexact 0
		.amdhsa_exception_int_div_zero 0
	.end_amdhsa_kernel
	.section	.text._ZN7rocprim17ROCPRIM_400000_NS6detail17trampoline_kernelINS0_14default_configENS1_35radix_sort_onesweep_config_selectorIhNS0_10empty_typeEEEZZNS1_29radix_sort_onesweep_iterationIS3_Lb0EPKhPhPS5_SB_mNS0_19identity_decomposerENS1_16block_id_wrapperIjLb1EEEEE10hipError_tT1_PNSt15iterator_traitsISG_E10value_typeET2_T3_PNSH_ISM_E10value_typeET4_T5_PSR_SS_PNS1_23onesweep_lookback_stateEbbT6_jjT7_P12ihipStream_tbENKUlT_T0_SG_SL_E_clIS9_SA_SB_SB_EEDaSZ_S10_SG_SL_EUlSZ_E_NS1_11comp_targetILNS1_3genE6ELNS1_11target_archE950ELNS1_3gpuE13ELNS1_3repE0EEENS1_47radix_sort_onesweep_sort_config_static_selectorELNS0_4arch9wavefront6targetE0EEEvSG_,"axG",@progbits,_ZN7rocprim17ROCPRIM_400000_NS6detail17trampoline_kernelINS0_14default_configENS1_35radix_sort_onesweep_config_selectorIhNS0_10empty_typeEEEZZNS1_29radix_sort_onesweep_iterationIS3_Lb0EPKhPhPS5_SB_mNS0_19identity_decomposerENS1_16block_id_wrapperIjLb1EEEEE10hipError_tT1_PNSt15iterator_traitsISG_E10value_typeET2_T3_PNSH_ISM_E10value_typeET4_T5_PSR_SS_PNS1_23onesweep_lookback_stateEbbT6_jjT7_P12ihipStream_tbENKUlT_T0_SG_SL_E_clIS9_SA_SB_SB_EEDaSZ_S10_SG_SL_EUlSZ_E_NS1_11comp_targetILNS1_3genE6ELNS1_11target_archE950ELNS1_3gpuE13ELNS1_3repE0EEENS1_47radix_sort_onesweep_sort_config_static_selectorELNS0_4arch9wavefront6targetE0EEEvSG_,comdat
.Lfunc_end220:
	.size	_ZN7rocprim17ROCPRIM_400000_NS6detail17trampoline_kernelINS0_14default_configENS1_35radix_sort_onesweep_config_selectorIhNS0_10empty_typeEEEZZNS1_29radix_sort_onesweep_iterationIS3_Lb0EPKhPhPS5_SB_mNS0_19identity_decomposerENS1_16block_id_wrapperIjLb1EEEEE10hipError_tT1_PNSt15iterator_traitsISG_E10value_typeET2_T3_PNSH_ISM_E10value_typeET4_T5_PSR_SS_PNS1_23onesweep_lookback_stateEbbT6_jjT7_P12ihipStream_tbENKUlT_T0_SG_SL_E_clIS9_SA_SB_SB_EEDaSZ_S10_SG_SL_EUlSZ_E_NS1_11comp_targetILNS1_3genE6ELNS1_11target_archE950ELNS1_3gpuE13ELNS1_3repE0EEENS1_47radix_sort_onesweep_sort_config_static_selectorELNS0_4arch9wavefront6targetE0EEEvSG_, .Lfunc_end220-_ZN7rocprim17ROCPRIM_400000_NS6detail17trampoline_kernelINS0_14default_configENS1_35radix_sort_onesweep_config_selectorIhNS0_10empty_typeEEEZZNS1_29radix_sort_onesweep_iterationIS3_Lb0EPKhPhPS5_SB_mNS0_19identity_decomposerENS1_16block_id_wrapperIjLb1EEEEE10hipError_tT1_PNSt15iterator_traitsISG_E10value_typeET2_T3_PNSH_ISM_E10value_typeET4_T5_PSR_SS_PNS1_23onesweep_lookback_stateEbbT6_jjT7_P12ihipStream_tbENKUlT_T0_SG_SL_E_clIS9_SA_SB_SB_EEDaSZ_S10_SG_SL_EUlSZ_E_NS1_11comp_targetILNS1_3genE6ELNS1_11target_archE950ELNS1_3gpuE13ELNS1_3repE0EEENS1_47radix_sort_onesweep_sort_config_static_selectorELNS0_4arch9wavefront6targetE0EEEvSG_
                                        ; -- End function
	.set _ZN7rocprim17ROCPRIM_400000_NS6detail17trampoline_kernelINS0_14default_configENS1_35radix_sort_onesweep_config_selectorIhNS0_10empty_typeEEEZZNS1_29radix_sort_onesweep_iterationIS3_Lb0EPKhPhPS5_SB_mNS0_19identity_decomposerENS1_16block_id_wrapperIjLb1EEEEE10hipError_tT1_PNSt15iterator_traitsISG_E10value_typeET2_T3_PNSH_ISM_E10value_typeET4_T5_PSR_SS_PNS1_23onesweep_lookback_stateEbbT6_jjT7_P12ihipStream_tbENKUlT_T0_SG_SL_E_clIS9_SA_SB_SB_EEDaSZ_S10_SG_SL_EUlSZ_E_NS1_11comp_targetILNS1_3genE6ELNS1_11target_archE950ELNS1_3gpuE13ELNS1_3repE0EEENS1_47radix_sort_onesweep_sort_config_static_selectorELNS0_4arch9wavefront6targetE0EEEvSG_.num_vgpr, 0
	.set _ZN7rocprim17ROCPRIM_400000_NS6detail17trampoline_kernelINS0_14default_configENS1_35radix_sort_onesweep_config_selectorIhNS0_10empty_typeEEEZZNS1_29radix_sort_onesweep_iterationIS3_Lb0EPKhPhPS5_SB_mNS0_19identity_decomposerENS1_16block_id_wrapperIjLb1EEEEE10hipError_tT1_PNSt15iterator_traitsISG_E10value_typeET2_T3_PNSH_ISM_E10value_typeET4_T5_PSR_SS_PNS1_23onesweep_lookback_stateEbbT6_jjT7_P12ihipStream_tbENKUlT_T0_SG_SL_E_clIS9_SA_SB_SB_EEDaSZ_S10_SG_SL_EUlSZ_E_NS1_11comp_targetILNS1_3genE6ELNS1_11target_archE950ELNS1_3gpuE13ELNS1_3repE0EEENS1_47radix_sort_onesweep_sort_config_static_selectorELNS0_4arch9wavefront6targetE0EEEvSG_.num_agpr, 0
	.set _ZN7rocprim17ROCPRIM_400000_NS6detail17trampoline_kernelINS0_14default_configENS1_35radix_sort_onesweep_config_selectorIhNS0_10empty_typeEEEZZNS1_29radix_sort_onesweep_iterationIS3_Lb0EPKhPhPS5_SB_mNS0_19identity_decomposerENS1_16block_id_wrapperIjLb1EEEEE10hipError_tT1_PNSt15iterator_traitsISG_E10value_typeET2_T3_PNSH_ISM_E10value_typeET4_T5_PSR_SS_PNS1_23onesweep_lookback_stateEbbT6_jjT7_P12ihipStream_tbENKUlT_T0_SG_SL_E_clIS9_SA_SB_SB_EEDaSZ_S10_SG_SL_EUlSZ_E_NS1_11comp_targetILNS1_3genE6ELNS1_11target_archE950ELNS1_3gpuE13ELNS1_3repE0EEENS1_47radix_sort_onesweep_sort_config_static_selectorELNS0_4arch9wavefront6targetE0EEEvSG_.numbered_sgpr, 0
	.set _ZN7rocprim17ROCPRIM_400000_NS6detail17trampoline_kernelINS0_14default_configENS1_35radix_sort_onesweep_config_selectorIhNS0_10empty_typeEEEZZNS1_29radix_sort_onesweep_iterationIS3_Lb0EPKhPhPS5_SB_mNS0_19identity_decomposerENS1_16block_id_wrapperIjLb1EEEEE10hipError_tT1_PNSt15iterator_traitsISG_E10value_typeET2_T3_PNSH_ISM_E10value_typeET4_T5_PSR_SS_PNS1_23onesweep_lookback_stateEbbT6_jjT7_P12ihipStream_tbENKUlT_T0_SG_SL_E_clIS9_SA_SB_SB_EEDaSZ_S10_SG_SL_EUlSZ_E_NS1_11comp_targetILNS1_3genE6ELNS1_11target_archE950ELNS1_3gpuE13ELNS1_3repE0EEENS1_47radix_sort_onesweep_sort_config_static_selectorELNS0_4arch9wavefront6targetE0EEEvSG_.num_named_barrier, 0
	.set _ZN7rocprim17ROCPRIM_400000_NS6detail17trampoline_kernelINS0_14default_configENS1_35radix_sort_onesweep_config_selectorIhNS0_10empty_typeEEEZZNS1_29radix_sort_onesweep_iterationIS3_Lb0EPKhPhPS5_SB_mNS0_19identity_decomposerENS1_16block_id_wrapperIjLb1EEEEE10hipError_tT1_PNSt15iterator_traitsISG_E10value_typeET2_T3_PNSH_ISM_E10value_typeET4_T5_PSR_SS_PNS1_23onesweep_lookback_stateEbbT6_jjT7_P12ihipStream_tbENKUlT_T0_SG_SL_E_clIS9_SA_SB_SB_EEDaSZ_S10_SG_SL_EUlSZ_E_NS1_11comp_targetILNS1_3genE6ELNS1_11target_archE950ELNS1_3gpuE13ELNS1_3repE0EEENS1_47radix_sort_onesweep_sort_config_static_selectorELNS0_4arch9wavefront6targetE0EEEvSG_.private_seg_size, 0
	.set _ZN7rocprim17ROCPRIM_400000_NS6detail17trampoline_kernelINS0_14default_configENS1_35radix_sort_onesweep_config_selectorIhNS0_10empty_typeEEEZZNS1_29radix_sort_onesweep_iterationIS3_Lb0EPKhPhPS5_SB_mNS0_19identity_decomposerENS1_16block_id_wrapperIjLb1EEEEE10hipError_tT1_PNSt15iterator_traitsISG_E10value_typeET2_T3_PNSH_ISM_E10value_typeET4_T5_PSR_SS_PNS1_23onesweep_lookback_stateEbbT6_jjT7_P12ihipStream_tbENKUlT_T0_SG_SL_E_clIS9_SA_SB_SB_EEDaSZ_S10_SG_SL_EUlSZ_E_NS1_11comp_targetILNS1_3genE6ELNS1_11target_archE950ELNS1_3gpuE13ELNS1_3repE0EEENS1_47radix_sort_onesweep_sort_config_static_selectorELNS0_4arch9wavefront6targetE0EEEvSG_.uses_vcc, 0
	.set _ZN7rocprim17ROCPRIM_400000_NS6detail17trampoline_kernelINS0_14default_configENS1_35radix_sort_onesweep_config_selectorIhNS0_10empty_typeEEEZZNS1_29radix_sort_onesweep_iterationIS3_Lb0EPKhPhPS5_SB_mNS0_19identity_decomposerENS1_16block_id_wrapperIjLb1EEEEE10hipError_tT1_PNSt15iterator_traitsISG_E10value_typeET2_T3_PNSH_ISM_E10value_typeET4_T5_PSR_SS_PNS1_23onesweep_lookback_stateEbbT6_jjT7_P12ihipStream_tbENKUlT_T0_SG_SL_E_clIS9_SA_SB_SB_EEDaSZ_S10_SG_SL_EUlSZ_E_NS1_11comp_targetILNS1_3genE6ELNS1_11target_archE950ELNS1_3gpuE13ELNS1_3repE0EEENS1_47radix_sort_onesweep_sort_config_static_selectorELNS0_4arch9wavefront6targetE0EEEvSG_.uses_flat_scratch, 0
	.set _ZN7rocprim17ROCPRIM_400000_NS6detail17trampoline_kernelINS0_14default_configENS1_35radix_sort_onesweep_config_selectorIhNS0_10empty_typeEEEZZNS1_29radix_sort_onesweep_iterationIS3_Lb0EPKhPhPS5_SB_mNS0_19identity_decomposerENS1_16block_id_wrapperIjLb1EEEEE10hipError_tT1_PNSt15iterator_traitsISG_E10value_typeET2_T3_PNSH_ISM_E10value_typeET4_T5_PSR_SS_PNS1_23onesweep_lookback_stateEbbT6_jjT7_P12ihipStream_tbENKUlT_T0_SG_SL_E_clIS9_SA_SB_SB_EEDaSZ_S10_SG_SL_EUlSZ_E_NS1_11comp_targetILNS1_3genE6ELNS1_11target_archE950ELNS1_3gpuE13ELNS1_3repE0EEENS1_47radix_sort_onesweep_sort_config_static_selectorELNS0_4arch9wavefront6targetE0EEEvSG_.has_dyn_sized_stack, 0
	.set _ZN7rocprim17ROCPRIM_400000_NS6detail17trampoline_kernelINS0_14default_configENS1_35radix_sort_onesweep_config_selectorIhNS0_10empty_typeEEEZZNS1_29radix_sort_onesweep_iterationIS3_Lb0EPKhPhPS5_SB_mNS0_19identity_decomposerENS1_16block_id_wrapperIjLb1EEEEE10hipError_tT1_PNSt15iterator_traitsISG_E10value_typeET2_T3_PNSH_ISM_E10value_typeET4_T5_PSR_SS_PNS1_23onesweep_lookback_stateEbbT6_jjT7_P12ihipStream_tbENKUlT_T0_SG_SL_E_clIS9_SA_SB_SB_EEDaSZ_S10_SG_SL_EUlSZ_E_NS1_11comp_targetILNS1_3genE6ELNS1_11target_archE950ELNS1_3gpuE13ELNS1_3repE0EEENS1_47radix_sort_onesweep_sort_config_static_selectorELNS0_4arch9wavefront6targetE0EEEvSG_.has_recursion, 0
	.set _ZN7rocprim17ROCPRIM_400000_NS6detail17trampoline_kernelINS0_14default_configENS1_35radix_sort_onesweep_config_selectorIhNS0_10empty_typeEEEZZNS1_29radix_sort_onesweep_iterationIS3_Lb0EPKhPhPS5_SB_mNS0_19identity_decomposerENS1_16block_id_wrapperIjLb1EEEEE10hipError_tT1_PNSt15iterator_traitsISG_E10value_typeET2_T3_PNSH_ISM_E10value_typeET4_T5_PSR_SS_PNS1_23onesweep_lookback_stateEbbT6_jjT7_P12ihipStream_tbENKUlT_T0_SG_SL_E_clIS9_SA_SB_SB_EEDaSZ_S10_SG_SL_EUlSZ_E_NS1_11comp_targetILNS1_3genE6ELNS1_11target_archE950ELNS1_3gpuE13ELNS1_3repE0EEENS1_47radix_sort_onesweep_sort_config_static_selectorELNS0_4arch9wavefront6targetE0EEEvSG_.has_indirect_call, 0
	.section	.AMDGPU.csdata,"",@progbits
; Kernel info:
; codeLenInByte = 0
; TotalNumSgprs: 0
; NumVgprs: 0
; ScratchSize: 0
; MemoryBound: 0
; FloatMode: 240
; IeeeMode: 1
; LDSByteSize: 0 bytes/workgroup (compile time only)
; SGPRBlocks: 0
; VGPRBlocks: 0
; NumSGPRsForWavesPerEU: 1
; NumVGPRsForWavesPerEU: 1
; NamedBarCnt: 0
; Occupancy: 16
; WaveLimiterHint : 0
; COMPUTE_PGM_RSRC2:SCRATCH_EN: 0
; COMPUTE_PGM_RSRC2:USER_SGPR: 2
; COMPUTE_PGM_RSRC2:TRAP_HANDLER: 0
; COMPUTE_PGM_RSRC2:TGID_X_EN: 1
; COMPUTE_PGM_RSRC2:TGID_Y_EN: 0
; COMPUTE_PGM_RSRC2:TGID_Z_EN: 0
; COMPUTE_PGM_RSRC2:TIDIG_COMP_CNT: 0
	.section	.text._ZN7rocprim17ROCPRIM_400000_NS6detail17trampoline_kernelINS0_14default_configENS1_35radix_sort_onesweep_config_selectorIhNS0_10empty_typeEEEZZNS1_29radix_sort_onesweep_iterationIS3_Lb0EPKhPhPS5_SB_mNS0_19identity_decomposerENS1_16block_id_wrapperIjLb1EEEEE10hipError_tT1_PNSt15iterator_traitsISG_E10value_typeET2_T3_PNSH_ISM_E10value_typeET4_T5_PSR_SS_PNS1_23onesweep_lookback_stateEbbT6_jjT7_P12ihipStream_tbENKUlT_T0_SG_SL_E_clIS9_SA_SB_SB_EEDaSZ_S10_SG_SL_EUlSZ_E_NS1_11comp_targetILNS1_3genE5ELNS1_11target_archE942ELNS1_3gpuE9ELNS1_3repE0EEENS1_47radix_sort_onesweep_sort_config_static_selectorELNS0_4arch9wavefront6targetE0EEEvSG_,"axG",@progbits,_ZN7rocprim17ROCPRIM_400000_NS6detail17trampoline_kernelINS0_14default_configENS1_35radix_sort_onesweep_config_selectorIhNS0_10empty_typeEEEZZNS1_29radix_sort_onesweep_iterationIS3_Lb0EPKhPhPS5_SB_mNS0_19identity_decomposerENS1_16block_id_wrapperIjLb1EEEEE10hipError_tT1_PNSt15iterator_traitsISG_E10value_typeET2_T3_PNSH_ISM_E10value_typeET4_T5_PSR_SS_PNS1_23onesweep_lookback_stateEbbT6_jjT7_P12ihipStream_tbENKUlT_T0_SG_SL_E_clIS9_SA_SB_SB_EEDaSZ_S10_SG_SL_EUlSZ_E_NS1_11comp_targetILNS1_3genE5ELNS1_11target_archE942ELNS1_3gpuE9ELNS1_3repE0EEENS1_47radix_sort_onesweep_sort_config_static_selectorELNS0_4arch9wavefront6targetE0EEEvSG_,comdat
	.protected	_ZN7rocprim17ROCPRIM_400000_NS6detail17trampoline_kernelINS0_14default_configENS1_35radix_sort_onesweep_config_selectorIhNS0_10empty_typeEEEZZNS1_29radix_sort_onesweep_iterationIS3_Lb0EPKhPhPS5_SB_mNS0_19identity_decomposerENS1_16block_id_wrapperIjLb1EEEEE10hipError_tT1_PNSt15iterator_traitsISG_E10value_typeET2_T3_PNSH_ISM_E10value_typeET4_T5_PSR_SS_PNS1_23onesweep_lookback_stateEbbT6_jjT7_P12ihipStream_tbENKUlT_T0_SG_SL_E_clIS9_SA_SB_SB_EEDaSZ_S10_SG_SL_EUlSZ_E_NS1_11comp_targetILNS1_3genE5ELNS1_11target_archE942ELNS1_3gpuE9ELNS1_3repE0EEENS1_47radix_sort_onesweep_sort_config_static_selectorELNS0_4arch9wavefront6targetE0EEEvSG_ ; -- Begin function _ZN7rocprim17ROCPRIM_400000_NS6detail17trampoline_kernelINS0_14default_configENS1_35radix_sort_onesweep_config_selectorIhNS0_10empty_typeEEEZZNS1_29radix_sort_onesweep_iterationIS3_Lb0EPKhPhPS5_SB_mNS0_19identity_decomposerENS1_16block_id_wrapperIjLb1EEEEE10hipError_tT1_PNSt15iterator_traitsISG_E10value_typeET2_T3_PNSH_ISM_E10value_typeET4_T5_PSR_SS_PNS1_23onesweep_lookback_stateEbbT6_jjT7_P12ihipStream_tbENKUlT_T0_SG_SL_E_clIS9_SA_SB_SB_EEDaSZ_S10_SG_SL_EUlSZ_E_NS1_11comp_targetILNS1_3genE5ELNS1_11target_archE942ELNS1_3gpuE9ELNS1_3repE0EEENS1_47radix_sort_onesweep_sort_config_static_selectorELNS0_4arch9wavefront6targetE0EEEvSG_
	.globl	_ZN7rocprim17ROCPRIM_400000_NS6detail17trampoline_kernelINS0_14default_configENS1_35radix_sort_onesweep_config_selectorIhNS0_10empty_typeEEEZZNS1_29radix_sort_onesweep_iterationIS3_Lb0EPKhPhPS5_SB_mNS0_19identity_decomposerENS1_16block_id_wrapperIjLb1EEEEE10hipError_tT1_PNSt15iterator_traitsISG_E10value_typeET2_T3_PNSH_ISM_E10value_typeET4_T5_PSR_SS_PNS1_23onesweep_lookback_stateEbbT6_jjT7_P12ihipStream_tbENKUlT_T0_SG_SL_E_clIS9_SA_SB_SB_EEDaSZ_S10_SG_SL_EUlSZ_E_NS1_11comp_targetILNS1_3genE5ELNS1_11target_archE942ELNS1_3gpuE9ELNS1_3repE0EEENS1_47radix_sort_onesweep_sort_config_static_selectorELNS0_4arch9wavefront6targetE0EEEvSG_
	.p2align	8
	.type	_ZN7rocprim17ROCPRIM_400000_NS6detail17trampoline_kernelINS0_14default_configENS1_35radix_sort_onesweep_config_selectorIhNS0_10empty_typeEEEZZNS1_29radix_sort_onesweep_iterationIS3_Lb0EPKhPhPS5_SB_mNS0_19identity_decomposerENS1_16block_id_wrapperIjLb1EEEEE10hipError_tT1_PNSt15iterator_traitsISG_E10value_typeET2_T3_PNSH_ISM_E10value_typeET4_T5_PSR_SS_PNS1_23onesweep_lookback_stateEbbT6_jjT7_P12ihipStream_tbENKUlT_T0_SG_SL_E_clIS9_SA_SB_SB_EEDaSZ_S10_SG_SL_EUlSZ_E_NS1_11comp_targetILNS1_3genE5ELNS1_11target_archE942ELNS1_3gpuE9ELNS1_3repE0EEENS1_47radix_sort_onesweep_sort_config_static_selectorELNS0_4arch9wavefront6targetE0EEEvSG_,@function
_ZN7rocprim17ROCPRIM_400000_NS6detail17trampoline_kernelINS0_14default_configENS1_35radix_sort_onesweep_config_selectorIhNS0_10empty_typeEEEZZNS1_29radix_sort_onesweep_iterationIS3_Lb0EPKhPhPS5_SB_mNS0_19identity_decomposerENS1_16block_id_wrapperIjLb1EEEEE10hipError_tT1_PNSt15iterator_traitsISG_E10value_typeET2_T3_PNSH_ISM_E10value_typeET4_T5_PSR_SS_PNS1_23onesweep_lookback_stateEbbT6_jjT7_P12ihipStream_tbENKUlT_T0_SG_SL_E_clIS9_SA_SB_SB_EEDaSZ_S10_SG_SL_EUlSZ_E_NS1_11comp_targetILNS1_3genE5ELNS1_11target_archE942ELNS1_3gpuE9ELNS1_3repE0EEENS1_47radix_sort_onesweep_sort_config_static_selectorELNS0_4arch9wavefront6targetE0EEEvSG_: ; @_ZN7rocprim17ROCPRIM_400000_NS6detail17trampoline_kernelINS0_14default_configENS1_35radix_sort_onesweep_config_selectorIhNS0_10empty_typeEEEZZNS1_29radix_sort_onesweep_iterationIS3_Lb0EPKhPhPS5_SB_mNS0_19identity_decomposerENS1_16block_id_wrapperIjLb1EEEEE10hipError_tT1_PNSt15iterator_traitsISG_E10value_typeET2_T3_PNSH_ISM_E10value_typeET4_T5_PSR_SS_PNS1_23onesweep_lookback_stateEbbT6_jjT7_P12ihipStream_tbENKUlT_T0_SG_SL_E_clIS9_SA_SB_SB_EEDaSZ_S10_SG_SL_EUlSZ_E_NS1_11comp_targetILNS1_3genE5ELNS1_11target_archE942ELNS1_3gpuE9ELNS1_3repE0EEENS1_47radix_sort_onesweep_sort_config_static_selectorELNS0_4arch9wavefront6targetE0EEEvSG_
; %bb.0:
	.section	.rodata,"a",@progbits
	.p2align	6, 0x0
	.amdhsa_kernel _ZN7rocprim17ROCPRIM_400000_NS6detail17trampoline_kernelINS0_14default_configENS1_35radix_sort_onesweep_config_selectorIhNS0_10empty_typeEEEZZNS1_29radix_sort_onesweep_iterationIS3_Lb0EPKhPhPS5_SB_mNS0_19identity_decomposerENS1_16block_id_wrapperIjLb1EEEEE10hipError_tT1_PNSt15iterator_traitsISG_E10value_typeET2_T3_PNSH_ISM_E10value_typeET4_T5_PSR_SS_PNS1_23onesweep_lookback_stateEbbT6_jjT7_P12ihipStream_tbENKUlT_T0_SG_SL_E_clIS9_SA_SB_SB_EEDaSZ_S10_SG_SL_EUlSZ_E_NS1_11comp_targetILNS1_3genE5ELNS1_11target_archE942ELNS1_3gpuE9ELNS1_3repE0EEENS1_47radix_sort_onesweep_sort_config_static_selectorELNS0_4arch9wavefront6targetE0EEEvSG_
		.amdhsa_group_segment_fixed_size 0
		.amdhsa_private_segment_fixed_size 0
		.amdhsa_kernarg_size 88
		.amdhsa_user_sgpr_count 2
		.amdhsa_user_sgpr_dispatch_ptr 0
		.amdhsa_user_sgpr_queue_ptr 0
		.amdhsa_user_sgpr_kernarg_segment_ptr 1
		.amdhsa_user_sgpr_dispatch_id 0
		.amdhsa_user_sgpr_kernarg_preload_length 0
		.amdhsa_user_sgpr_kernarg_preload_offset 0
		.amdhsa_user_sgpr_private_segment_size 0
		.amdhsa_wavefront_size32 1
		.amdhsa_uses_dynamic_stack 0
		.amdhsa_enable_private_segment 0
		.amdhsa_system_sgpr_workgroup_id_x 1
		.amdhsa_system_sgpr_workgroup_id_y 0
		.amdhsa_system_sgpr_workgroup_id_z 0
		.amdhsa_system_sgpr_workgroup_info 0
		.amdhsa_system_vgpr_workitem_id 0
		.amdhsa_next_free_vgpr 1
		.amdhsa_next_free_sgpr 1
		.amdhsa_named_barrier_count 0
		.amdhsa_reserve_vcc 0
		.amdhsa_float_round_mode_32 0
		.amdhsa_float_round_mode_16_64 0
		.amdhsa_float_denorm_mode_32 3
		.amdhsa_float_denorm_mode_16_64 3
		.amdhsa_fp16_overflow 0
		.amdhsa_memory_ordered 1
		.amdhsa_forward_progress 1
		.amdhsa_inst_pref_size 0
		.amdhsa_round_robin_scheduling 0
		.amdhsa_exception_fp_ieee_invalid_op 0
		.amdhsa_exception_fp_denorm_src 0
		.amdhsa_exception_fp_ieee_div_zero 0
		.amdhsa_exception_fp_ieee_overflow 0
		.amdhsa_exception_fp_ieee_underflow 0
		.amdhsa_exception_fp_ieee_inexact 0
		.amdhsa_exception_int_div_zero 0
	.end_amdhsa_kernel
	.section	.text._ZN7rocprim17ROCPRIM_400000_NS6detail17trampoline_kernelINS0_14default_configENS1_35radix_sort_onesweep_config_selectorIhNS0_10empty_typeEEEZZNS1_29radix_sort_onesweep_iterationIS3_Lb0EPKhPhPS5_SB_mNS0_19identity_decomposerENS1_16block_id_wrapperIjLb1EEEEE10hipError_tT1_PNSt15iterator_traitsISG_E10value_typeET2_T3_PNSH_ISM_E10value_typeET4_T5_PSR_SS_PNS1_23onesweep_lookback_stateEbbT6_jjT7_P12ihipStream_tbENKUlT_T0_SG_SL_E_clIS9_SA_SB_SB_EEDaSZ_S10_SG_SL_EUlSZ_E_NS1_11comp_targetILNS1_3genE5ELNS1_11target_archE942ELNS1_3gpuE9ELNS1_3repE0EEENS1_47radix_sort_onesweep_sort_config_static_selectorELNS0_4arch9wavefront6targetE0EEEvSG_,"axG",@progbits,_ZN7rocprim17ROCPRIM_400000_NS6detail17trampoline_kernelINS0_14default_configENS1_35radix_sort_onesweep_config_selectorIhNS0_10empty_typeEEEZZNS1_29radix_sort_onesweep_iterationIS3_Lb0EPKhPhPS5_SB_mNS0_19identity_decomposerENS1_16block_id_wrapperIjLb1EEEEE10hipError_tT1_PNSt15iterator_traitsISG_E10value_typeET2_T3_PNSH_ISM_E10value_typeET4_T5_PSR_SS_PNS1_23onesweep_lookback_stateEbbT6_jjT7_P12ihipStream_tbENKUlT_T0_SG_SL_E_clIS9_SA_SB_SB_EEDaSZ_S10_SG_SL_EUlSZ_E_NS1_11comp_targetILNS1_3genE5ELNS1_11target_archE942ELNS1_3gpuE9ELNS1_3repE0EEENS1_47radix_sort_onesweep_sort_config_static_selectorELNS0_4arch9wavefront6targetE0EEEvSG_,comdat
.Lfunc_end221:
	.size	_ZN7rocprim17ROCPRIM_400000_NS6detail17trampoline_kernelINS0_14default_configENS1_35radix_sort_onesweep_config_selectorIhNS0_10empty_typeEEEZZNS1_29radix_sort_onesweep_iterationIS3_Lb0EPKhPhPS5_SB_mNS0_19identity_decomposerENS1_16block_id_wrapperIjLb1EEEEE10hipError_tT1_PNSt15iterator_traitsISG_E10value_typeET2_T3_PNSH_ISM_E10value_typeET4_T5_PSR_SS_PNS1_23onesweep_lookback_stateEbbT6_jjT7_P12ihipStream_tbENKUlT_T0_SG_SL_E_clIS9_SA_SB_SB_EEDaSZ_S10_SG_SL_EUlSZ_E_NS1_11comp_targetILNS1_3genE5ELNS1_11target_archE942ELNS1_3gpuE9ELNS1_3repE0EEENS1_47radix_sort_onesweep_sort_config_static_selectorELNS0_4arch9wavefront6targetE0EEEvSG_, .Lfunc_end221-_ZN7rocprim17ROCPRIM_400000_NS6detail17trampoline_kernelINS0_14default_configENS1_35radix_sort_onesweep_config_selectorIhNS0_10empty_typeEEEZZNS1_29radix_sort_onesweep_iterationIS3_Lb0EPKhPhPS5_SB_mNS0_19identity_decomposerENS1_16block_id_wrapperIjLb1EEEEE10hipError_tT1_PNSt15iterator_traitsISG_E10value_typeET2_T3_PNSH_ISM_E10value_typeET4_T5_PSR_SS_PNS1_23onesweep_lookback_stateEbbT6_jjT7_P12ihipStream_tbENKUlT_T0_SG_SL_E_clIS9_SA_SB_SB_EEDaSZ_S10_SG_SL_EUlSZ_E_NS1_11comp_targetILNS1_3genE5ELNS1_11target_archE942ELNS1_3gpuE9ELNS1_3repE0EEENS1_47radix_sort_onesweep_sort_config_static_selectorELNS0_4arch9wavefront6targetE0EEEvSG_
                                        ; -- End function
	.set _ZN7rocprim17ROCPRIM_400000_NS6detail17trampoline_kernelINS0_14default_configENS1_35radix_sort_onesweep_config_selectorIhNS0_10empty_typeEEEZZNS1_29radix_sort_onesweep_iterationIS3_Lb0EPKhPhPS5_SB_mNS0_19identity_decomposerENS1_16block_id_wrapperIjLb1EEEEE10hipError_tT1_PNSt15iterator_traitsISG_E10value_typeET2_T3_PNSH_ISM_E10value_typeET4_T5_PSR_SS_PNS1_23onesweep_lookback_stateEbbT6_jjT7_P12ihipStream_tbENKUlT_T0_SG_SL_E_clIS9_SA_SB_SB_EEDaSZ_S10_SG_SL_EUlSZ_E_NS1_11comp_targetILNS1_3genE5ELNS1_11target_archE942ELNS1_3gpuE9ELNS1_3repE0EEENS1_47radix_sort_onesweep_sort_config_static_selectorELNS0_4arch9wavefront6targetE0EEEvSG_.num_vgpr, 0
	.set _ZN7rocprim17ROCPRIM_400000_NS6detail17trampoline_kernelINS0_14default_configENS1_35radix_sort_onesweep_config_selectorIhNS0_10empty_typeEEEZZNS1_29radix_sort_onesweep_iterationIS3_Lb0EPKhPhPS5_SB_mNS0_19identity_decomposerENS1_16block_id_wrapperIjLb1EEEEE10hipError_tT1_PNSt15iterator_traitsISG_E10value_typeET2_T3_PNSH_ISM_E10value_typeET4_T5_PSR_SS_PNS1_23onesweep_lookback_stateEbbT6_jjT7_P12ihipStream_tbENKUlT_T0_SG_SL_E_clIS9_SA_SB_SB_EEDaSZ_S10_SG_SL_EUlSZ_E_NS1_11comp_targetILNS1_3genE5ELNS1_11target_archE942ELNS1_3gpuE9ELNS1_3repE0EEENS1_47radix_sort_onesweep_sort_config_static_selectorELNS0_4arch9wavefront6targetE0EEEvSG_.num_agpr, 0
	.set _ZN7rocprim17ROCPRIM_400000_NS6detail17trampoline_kernelINS0_14default_configENS1_35radix_sort_onesweep_config_selectorIhNS0_10empty_typeEEEZZNS1_29radix_sort_onesweep_iterationIS3_Lb0EPKhPhPS5_SB_mNS0_19identity_decomposerENS1_16block_id_wrapperIjLb1EEEEE10hipError_tT1_PNSt15iterator_traitsISG_E10value_typeET2_T3_PNSH_ISM_E10value_typeET4_T5_PSR_SS_PNS1_23onesweep_lookback_stateEbbT6_jjT7_P12ihipStream_tbENKUlT_T0_SG_SL_E_clIS9_SA_SB_SB_EEDaSZ_S10_SG_SL_EUlSZ_E_NS1_11comp_targetILNS1_3genE5ELNS1_11target_archE942ELNS1_3gpuE9ELNS1_3repE0EEENS1_47radix_sort_onesweep_sort_config_static_selectorELNS0_4arch9wavefront6targetE0EEEvSG_.numbered_sgpr, 0
	.set _ZN7rocprim17ROCPRIM_400000_NS6detail17trampoline_kernelINS0_14default_configENS1_35radix_sort_onesweep_config_selectorIhNS0_10empty_typeEEEZZNS1_29radix_sort_onesweep_iterationIS3_Lb0EPKhPhPS5_SB_mNS0_19identity_decomposerENS1_16block_id_wrapperIjLb1EEEEE10hipError_tT1_PNSt15iterator_traitsISG_E10value_typeET2_T3_PNSH_ISM_E10value_typeET4_T5_PSR_SS_PNS1_23onesweep_lookback_stateEbbT6_jjT7_P12ihipStream_tbENKUlT_T0_SG_SL_E_clIS9_SA_SB_SB_EEDaSZ_S10_SG_SL_EUlSZ_E_NS1_11comp_targetILNS1_3genE5ELNS1_11target_archE942ELNS1_3gpuE9ELNS1_3repE0EEENS1_47radix_sort_onesweep_sort_config_static_selectorELNS0_4arch9wavefront6targetE0EEEvSG_.num_named_barrier, 0
	.set _ZN7rocprim17ROCPRIM_400000_NS6detail17trampoline_kernelINS0_14default_configENS1_35radix_sort_onesweep_config_selectorIhNS0_10empty_typeEEEZZNS1_29radix_sort_onesweep_iterationIS3_Lb0EPKhPhPS5_SB_mNS0_19identity_decomposerENS1_16block_id_wrapperIjLb1EEEEE10hipError_tT1_PNSt15iterator_traitsISG_E10value_typeET2_T3_PNSH_ISM_E10value_typeET4_T5_PSR_SS_PNS1_23onesweep_lookback_stateEbbT6_jjT7_P12ihipStream_tbENKUlT_T0_SG_SL_E_clIS9_SA_SB_SB_EEDaSZ_S10_SG_SL_EUlSZ_E_NS1_11comp_targetILNS1_3genE5ELNS1_11target_archE942ELNS1_3gpuE9ELNS1_3repE0EEENS1_47radix_sort_onesweep_sort_config_static_selectorELNS0_4arch9wavefront6targetE0EEEvSG_.private_seg_size, 0
	.set _ZN7rocprim17ROCPRIM_400000_NS6detail17trampoline_kernelINS0_14default_configENS1_35radix_sort_onesweep_config_selectorIhNS0_10empty_typeEEEZZNS1_29radix_sort_onesweep_iterationIS3_Lb0EPKhPhPS5_SB_mNS0_19identity_decomposerENS1_16block_id_wrapperIjLb1EEEEE10hipError_tT1_PNSt15iterator_traitsISG_E10value_typeET2_T3_PNSH_ISM_E10value_typeET4_T5_PSR_SS_PNS1_23onesweep_lookback_stateEbbT6_jjT7_P12ihipStream_tbENKUlT_T0_SG_SL_E_clIS9_SA_SB_SB_EEDaSZ_S10_SG_SL_EUlSZ_E_NS1_11comp_targetILNS1_3genE5ELNS1_11target_archE942ELNS1_3gpuE9ELNS1_3repE0EEENS1_47radix_sort_onesweep_sort_config_static_selectorELNS0_4arch9wavefront6targetE0EEEvSG_.uses_vcc, 0
	.set _ZN7rocprim17ROCPRIM_400000_NS6detail17trampoline_kernelINS0_14default_configENS1_35radix_sort_onesweep_config_selectorIhNS0_10empty_typeEEEZZNS1_29radix_sort_onesweep_iterationIS3_Lb0EPKhPhPS5_SB_mNS0_19identity_decomposerENS1_16block_id_wrapperIjLb1EEEEE10hipError_tT1_PNSt15iterator_traitsISG_E10value_typeET2_T3_PNSH_ISM_E10value_typeET4_T5_PSR_SS_PNS1_23onesweep_lookback_stateEbbT6_jjT7_P12ihipStream_tbENKUlT_T0_SG_SL_E_clIS9_SA_SB_SB_EEDaSZ_S10_SG_SL_EUlSZ_E_NS1_11comp_targetILNS1_3genE5ELNS1_11target_archE942ELNS1_3gpuE9ELNS1_3repE0EEENS1_47radix_sort_onesweep_sort_config_static_selectorELNS0_4arch9wavefront6targetE0EEEvSG_.uses_flat_scratch, 0
	.set _ZN7rocprim17ROCPRIM_400000_NS6detail17trampoline_kernelINS0_14default_configENS1_35radix_sort_onesweep_config_selectorIhNS0_10empty_typeEEEZZNS1_29radix_sort_onesweep_iterationIS3_Lb0EPKhPhPS5_SB_mNS0_19identity_decomposerENS1_16block_id_wrapperIjLb1EEEEE10hipError_tT1_PNSt15iterator_traitsISG_E10value_typeET2_T3_PNSH_ISM_E10value_typeET4_T5_PSR_SS_PNS1_23onesweep_lookback_stateEbbT6_jjT7_P12ihipStream_tbENKUlT_T0_SG_SL_E_clIS9_SA_SB_SB_EEDaSZ_S10_SG_SL_EUlSZ_E_NS1_11comp_targetILNS1_3genE5ELNS1_11target_archE942ELNS1_3gpuE9ELNS1_3repE0EEENS1_47radix_sort_onesweep_sort_config_static_selectorELNS0_4arch9wavefront6targetE0EEEvSG_.has_dyn_sized_stack, 0
	.set _ZN7rocprim17ROCPRIM_400000_NS6detail17trampoline_kernelINS0_14default_configENS1_35radix_sort_onesweep_config_selectorIhNS0_10empty_typeEEEZZNS1_29radix_sort_onesweep_iterationIS3_Lb0EPKhPhPS5_SB_mNS0_19identity_decomposerENS1_16block_id_wrapperIjLb1EEEEE10hipError_tT1_PNSt15iterator_traitsISG_E10value_typeET2_T3_PNSH_ISM_E10value_typeET4_T5_PSR_SS_PNS1_23onesweep_lookback_stateEbbT6_jjT7_P12ihipStream_tbENKUlT_T0_SG_SL_E_clIS9_SA_SB_SB_EEDaSZ_S10_SG_SL_EUlSZ_E_NS1_11comp_targetILNS1_3genE5ELNS1_11target_archE942ELNS1_3gpuE9ELNS1_3repE0EEENS1_47radix_sort_onesweep_sort_config_static_selectorELNS0_4arch9wavefront6targetE0EEEvSG_.has_recursion, 0
	.set _ZN7rocprim17ROCPRIM_400000_NS6detail17trampoline_kernelINS0_14default_configENS1_35radix_sort_onesweep_config_selectorIhNS0_10empty_typeEEEZZNS1_29radix_sort_onesweep_iterationIS3_Lb0EPKhPhPS5_SB_mNS0_19identity_decomposerENS1_16block_id_wrapperIjLb1EEEEE10hipError_tT1_PNSt15iterator_traitsISG_E10value_typeET2_T3_PNSH_ISM_E10value_typeET4_T5_PSR_SS_PNS1_23onesweep_lookback_stateEbbT6_jjT7_P12ihipStream_tbENKUlT_T0_SG_SL_E_clIS9_SA_SB_SB_EEDaSZ_S10_SG_SL_EUlSZ_E_NS1_11comp_targetILNS1_3genE5ELNS1_11target_archE942ELNS1_3gpuE9ELNS1_3repE0EEENS1_47radix_sort_onesweep_sort_config_static_selectorELNS0_4arch9wavefront6targetE0EEEvSG_.has_indirect_call, 0
	.section	.AMDGPU.csdata,"",@progbits
; Kernel info:
; codeLenInByte = 0
; TotalNumSgprs: 0
; NumVgprs: 0
; ScratchSize: 0
; MemoryBound: 0
; FloatMode: 240
; IeeeMode: 1
; LDSByteSize: 0 bytes/workgroup (compile time only)
; SGPRBlocks: 0
; VGPRBlocks: 0
; NumSGPRsForWavesPerEU: 1
; NumVGPRsForWavesPerEU: 1
; NamedBarCnt: 0
; Occupancy: 16
; WaveLimiterHint : 0
; COMPUTE_PGM_RSRC2:SCRATCH_EN: 0
; COMPUTE_PGM_RSRC2:USER_SGPR: 2
; COMPUTE_PGM_RSRC2:TRAP_HANDLER: 0
; COMPUTE_PGM_RSRC2:TGID_X_EN: 1
; COMPUTE_PGM_RSRC2:TGID_Y_EN: 0
; COMPUTE_PGM_RSRC2:TGID_Z_EN: 0
; COMPUTE_PGM_RSRC2:TIDIG_COMP_CNT: 0
	.section	.text._ZN7rocprim17ROCPRIM_400000_NS6detail17trampoline_kernelINS0_14default_configENS1_35radix_sort_onesweep_config_selectorIhNS0_10empty_typeEEEZZNS1_29radix_sort_onesweep_iterationIS3_Lb0EPKhPhPS5_SB_mNS0_19identity_decomposerENS1_16block_id_wrapperIjLb1EEEEE10hipError_tT1_PNSt15iterator_traitsISG_E10value_typeET2_T3_PNSH_ISM_E10value_typeET4_T5_PSR_SS_PNS1_23onesweep_lookback_stateEbbT6_jjT7_P12ihipStream_tbENKUlT_T0_SG_SL_E_clIS9_SA_SB_SB_EEDaSZ_S10_SG_SL_EUlSZ_E_NS1_11comp_targetILNS1_3genE2ELNS1_11target_archE906ELNS1_3gpuE6ELNS1_3repE0EEENS1_47radix_sort_onesweep_sort_config_static_selectorELNS0_4arch9wavefront6targetE0EEEvSG_,"axG",@progbits,_ZN7rocprim17ROCPRIM_400000_NS6detail17trampoline_kernelINS0_14default_configENS1_35radix_sort_onesweep_config_selectorIhNS0_10empty_typeEEEZZNS1_29radix_sort_onesweep_iterationIS3_Lb0EPKhPhPS5_SB_mNS0_19identity_decomposerENS1_16block_id_wrapperIjLb1EEEEE10hipError_tT1_PNSt15iterator_traitsISG_E10value_typeET2_T3_PNSH_ISM_E10value_typeET4_T5_PSR_SS_PNS1_23onesweep_lookback_stateEbbT6_jjT7_P12ihipStream_tbENKUlT_T0_SG_SL_E_clIS9_SA_SB_SB_EEDaSZ_S10_SG_SL_EUlSZ_E_NS1_11comp_targetILNS1_3genE2ELNS1_11target_archE906ELNS1_3gpuE6ELNS1_3repE0EEENS1_47radix_sort_onesweep_sort_config_static_selectorELNS0_4arch9wavefront6targetE0EEEvSG_,comdat
	.protected	_ZN7rocprim17ROCPRIM_400000_NS6detail17trampoline_kernelINS0_14default_configENS1_35radix_sort_onesweep_config_selectorIhNS0_10empty_typeEEEZZNS1_29radix_sort_onesweep_iterationIS3_Lb0EPKhPhPS5_SB_mNS0_19identity_decomposerENS1_16block_id_wrapperIjLb1EEEEE10hipError_tT1_PNSt15iterator_traitsISG_E10value_typeET2_T3_PNSH_ISM_E10value_typeET4_T5_PSR_SS_PNS1_23onesweep_lookback_stateEbbT6_jjT7_P12ihipStream_tbENKUlT_T0_SG_SL_E_clIS9_SA_SB_SB_EEDaSZ_S10_SG_SL_EUlSZ_E_NS1_11comp_targetILNS1_3genE2ELNS1_11target_archE906ELNS1_3gpuE6ELNS1_3repE0EEENS1_47radix_sort_onesweep_sort_config_static_selectorELNS0_4arch9wavefront6targetE0EEEvSG_ ; -- Begin function _ZN7rocprim17ROCPRIM_400000_NS6detail17trampoline_kernelINS0_14default_configENS1_35radix_sort_onesweep_config_selectorIhNS0_10empty_typeEEEZZNS1_29radix_sort_onesweep_iterationIS3_Lb0EPKhPhPS5_SB_mNS0_19identity_decomposerENS1_16block_id_wrapperIjLb1EEEEE10hipError_tT1_PNSt15iterator_traitsISG_E10value_typeET2_T3_PNSH_ISM_E10value_typeET4_T5_PSR_SS_PNS1_23onesweep_lookback_stateEbbT6_jjT7_P12ihipStream_tbENKUlT_T0_SG_SL_E_clIS9_SA_SB_SB_EEDaSZ_S10_SG_SL_EUlSZ_E_NS1_11comp_targetILNS1_3genE2ELNS1_11target_archE906ELNS1_3gpuE6ELNS1_3repE0EEENS1_47radix_sort_onesweep_sort_config_static_selectorELNS0_4arch9wavefront6targetE0EEEvSG_
	.globl	_ZN7rocprim17ROCPRIM_400000_NS6detail17trampoline_kernelINS0_14default_configENS1_35radix_sort_onesweep_config_selectorIhNS0_10empty_typeEEEZZNS1_29radix_sort_onesweep_iterationIS3_Lb0EPKhPhPS5_SB_mNS0_19identity_decomposerENS1_16block_id_wrapperIjLb1EEEEE10hipError_tT1_PNSt15iterator_traitsISG_E10value_typeET2_T3_PNSH_ISM_E10value_typeET4_T5_PSR_SS_PNS1_23onesweep_lookback_stateEbbT6_jjT7_P12ihipStream_tbENKUlT_T0_SG_SL_E_clIS9_SA_SB_SB_EEDaSZ_S10_SG_SL_EUlSZ_E_NS1_11comp_targetILNS1_3genE2ELNS1_11target_archE906ELNS1_3gpuE6ELNS1_3repE0EEENS1_47radix_sort_onesweep_sort_config_static_selectorELNS0_4arch9wavefront6targetE0EEEvSG_
	.p2align	8
	.type	_ZN7rocprim17ROCPRIM_400000_NS6detail17trampoline_kernelINS0_14default_configENS1_35radix_sort_onesweep_config_selectorIhNS0_10empty_typeEEEZZNS1_29radix_sort_onesweep_iterationIS3_Lb0EPKhPhPS5_SB_mNS0_19identity_decomposerENS1_16block_id_wrapperIjLb1EEEEE10hipError_tT1_PNSt15iterator_traitsISG_E10value_typeET2_T3_PNSH_ISM_E10value_typeET4_T5_PSR_SS_PNS1_23onesweep_lookback_stateEbbT6_jjT7_P12ihipStream_tbENKUlT_T0_SG_SL_E_clIS9_SA_SB_SB_EEDaSZ_S10_SG_SL_EUlSZ_E_NS1_11comp_targetILNS1_3genE2ELNS1_11target_archE906ELNS1_3gpuE6ELNS1_3repE0EEENS1_47radix_sort_onesweep_sort_config_static_selectorELNS0_4arch9wavefront6targetE0EEEvSG_,@function
_ZN7rocprim17ROCPRIM_400000_NS6detail17trampoline_kernelINS0_14default_configENS1_35radix_sort_onesweep_config_selectorIhNS0_10empty_typeEEEZZNS1_29radix_sort_onesweep_iterationIS3_Lb0EPKhPhPS5_SB_mNS0_19identity_decomposerENS1_16block_id_wrapperIjLb1EEEEE10hipError_tT1_PNSt15iterator_traitsISG_E10value_typeET2_T3_PNSH_ISM_E10value_typeET4_T5_PSR_SS_PNS1_23onesweep_lookback_stateEbbT6_jjT7_P12ihipStream_tbENKUlT_T0_SG_SL_E_clIS9_SA_SB_SB_EEDaSZ_S10_SG_SL_EUlSZ_E_NS1_11comp_targetILNS1_3genE2ELNS1_11target_archE906ELNS1_3gpuE6ELNS1_3repE0EEENS1_47radix_sort_onesweep_sort_config_static_selectorELNS0_4arch9wavefront6targetE0EEEvSG_: ; @_ZN7rocprim17ROCPRIM_400000_NS6detail17trampoline_kernelINS0_14default_configENS1_35radix_sort_onesweep_config_selectorIhNS0_10empty_typeEEEZZNS1_29radix_sort_onesweep_iterationIS3_Lb0EPKhPhPS5_SB_mNS0_19identity_decomposerENS1_16block_id_wrapperIjLb1EEEEE10hipError_tT1_PNSt15iterator_traitsISG_E10value_typeET2_T3_PNSH_ISM_E10value_typeET4_T5_PSR_SS_PNS1_23onesweep_lookback_stateEbbT6_jjT7_P12ihipStream_tbENKUlT_T0_SG_SL_E_clIS9_SA_SB_SB_EEDaSZ_S10_SG_SL_EUlSZ_E_NS1_11comp_targetILNS1_3genE2ELNS1_11target_archE906ELNS1_3gpuE6ELNS1_3repE0EEENS1_47radix_sort_onesweep_sort_config_static_selectorELNS0_4arch9wavefront6targetE0EEEvSG_
; %bb.0:
	.section	.rodata,"a",@progbits
	.p2align	6, 0x0
	.amdhsa_kernel _ZN7rocprim17ROCPRIM_400000_NS6detail17trampoline_kernelINS0_14default_configENS1_35radix_sort_onesweep_config_selectorIhNS0_10empty_typeEEEZZNS1_29radix_sort_onesweep_iterationIS3_Lb0EPKhPhPS5_SB_mNS0_19identity_decomposerENS1_16block_id_wrapperIjLb1EEEEE10hipError_tT1_PNSt15iterator_traitsISG_E10value_typeET2_T3_PNSH_ISM_E10value_typeET4_T5_PSR_SS_PNS1_23onesweep_lookback_stateEbbT6_jjT7_P12ihipStream_tbENKUlT_T0_SG_SL_E_clIS9_SA_SB_SB_EEDaSZ_S10_SG_SL_EUlSZ_E_NS1_11comp_targetILNS1_3genE2ELNS1_11target_archE906ELNS1_3gpuE6ELNS1_3repE0EEENS1_47radix_sort_onesweep_sort_config_static_selectorELNS0_4arch9wavefront6targetE0EEEvSG_
		.amdhsa_group_segment_fixed_size 0
		.amdhsa_private_segment_fixed_size 0
		.amdhsa_kernarg_size 88
		.amdhsa_user_sgpr_count 2
		.amdhsa_user_sgpr_dispatch_ptr 0
		.amdhsa_user_sgpr_queue_ptr 0
		.amdhsa_user_sgpr_kernarg_segment_ptr 1
		.amdhsa_user_sgpr_dispatch_id 0
		.amdhsa_user_sgpr_kernarg_preload_length 0
		.amdhsa_user_sgpr_kernarg_preload_offset 0
		.amdhsa_user_sgpr_private_segment_size 0
		.amdhsa_wavefront_size32 1
		.amdhsa_uses_dynamic_stack 0
		.amdhsa_enable_private_segment 0
		.amdhsa_system_sgpr_workgroup_id_x 1
		.amdhsa_system_sgpr_workgroup_id_y 0
		.amdhsa_system_sgpr_workgroup_id_z 0
		.amdhsa_system_sgpr_workgroup_info 0
		.amdhsa_system_vgpr_workitem_id 0
		.amdhsa_next_free_vgpr 1
		.amdhsa_next_free_sgpr 1
		.amdhsa_named_barrier_count 0
		.amdhsa_reserve_vcc 0
		.amdhsa_float_round_mode_32 0
		.amdhsa_float_round_mode_16_64 0
		.amdhsa_float_denorm_mode_32 3
		.amdhsa_float_denorm_mode_16_64 3
		.amdhsa_fp16_overflow 0
		.amdhsa_memory_ordered 1
		.amdhsa_forward_progress 1
		.amdhsa_inst_pref_size 0
		.amdhsa_round_robin_scheduling 0
		.amdhsa_exception_fp_ieee_invalid_op 0
		.amdhsa_exception_fp_denorm_src 0
		.amdhsa_exception_fp_ieee_div_zero 0
		.amdhsa_exception_fp_ieee_overflow 0
		.amdhsa_exception_fp_ieee_underflow 0
		.amdhsa_exception_fp_ieee_inexact 0
		.amdhsa_exception_int_div_zero 0
	.end_amdhsa_kernel
	.section	.text._ZN7rocprim17ROCPRIM_400000_NS6detail17trampoline_kernelINS0_14default_configENS1_35radix_sort_onesweep_config_selectorIhNS0_10empty_typeEEEZZNS1_29radix_sort_onesweep_iterationIS3_Lb0EPKhPhPS5_SB_mNS0_19identity_decomposerENS1_16block_id_wrapperIjLb1EEEEE10hipError_tT1_PNSt15iterator_traitsISG_E10value_typeET2_T3_PNSH_ISM_E10value_typeET4_T5_PSR_SS_PNS1_23onesweep_lookback_stateEbbT6_jjT7_P12ihipStream_tbENKUlT_T0_SG_SL_E_clIS9_SA_SB_SB_EEDaSZ_S10_SG_SL_EUlSZ_E_NS1_11comp_targetILNS1_3genE2ELNS1_11target_archE906ELNS1_3gpuE6ELNS1_3repE0EEENS1_47radix_sort_onesweep_sort_config_static_selectorELNS0_4arch9wavefront6targetE0EEEvSG_,"axG",@progbits,_ZN7rocprim17ROCPRIM_400000_NS6detail17trampoline_kernelINS0_14default_configENS1_35radix_sort_onesweep_config_selectorIhNS0_10empty_typeEEEZZNS1_29radix_sort_onesweep_iterationIS3_Lb0EPKhPhPS5_SB_mNS0_19identity_decomposerENS1_16block_id_wrapperIjLb1EEEEE10hipError_tT1_PNSt15iterator_traitsISG_E10value_typeET2_T3_PNSH_ISM_E10value_typeET4_T5_PSR_SS_PNS1_23onesweep_lookback_stateEbbT6_jjT7_P12ihipStream_tbENKUlT_T0_SG_SL_E_clIS9_SA_SB_SB_EEDaSZ_S10_SG_SL_EUlSZ_E_NS1_11comp_targetILNS1_3genE2ELNS1_11target_archE906ELNS1_3gpuE6ELNS1_3repE0EEENS1_47radix_sort_onesweep_sort_config_static_selectorELNS0_4arch9wavefront6targetE0EEEvSG_,comdat
.Lfunc_end222:
	.size	_ZN7rocprim17ROCPRIM_400000_NS6detail17trampoline_kernelINS0_14default_configENS1_35radix_sort_onesweep_config_selectorIhNS0_10empty_typeEEEZZNS1_29radix_sort_onesweep_iterationIS3_Lb0EPKhPhPS5_SB_mNS0_19identity_decomposerENS1_16block_id_wrapperIjLb1EEEEE10hipError_tT1_PNSt15iterator_traitsISG_E10value_typeET2_T3_PNSH_ISM_E10value_typeET4_T5_PSR_SS_PNS1_23onesweep_lookback_stateEbbT6_jjT7_P12ihipStream_tbENKUlT_T0_SG_SL_E_clIS9_SA_SB_SB_EEDaSZ_S10_SG_SL_EUlSZ_E_NS1_11comp_targetILNS1_3genE2ELNS1_11target_archE906ELNS1_3gpuE6ELNS1_3repE0EEENS1_47radix_sort_onesweep_sort_config_static_selectorELNS0_4arch9wavefront6targetE0EEEvSG_, .Lfunc_end222-_ZN7rocprim17ROCPRIM_400000_NS6detail17trampoline_kernelINS0_14default_configENS1_35radix_sort_onesweep_config_selectorIhNS0_10empty_typeEEEZZNS1_29radix_sort_onesweep_iterationIS3_Lb0EPKhPhPS5_SB_mNS0_19identity_decomposerENS1_16block_id_wrapperIjLb1EEEEE10hipError_tT1_PNSt15iterator_traitsISG_E10value_typeET2_T3_PNSH_ISM_E10value_typeET4_T5_PSR_SS_PNS1_23onesweep_lookback_stateEbbT6_jjT7_P12ihipStream_tbENKUlT_T0_SG_SL_E_clIS9_SA_SB_SB_EEDaSZ_S10_SG_SL_EUlSZ_E_NS1_11comp_targetILNS1_3genE2ELNS1_11target_archE906ELNS1_3gpuE6ELNS1_3repE0EEENS1_47radix_sort_onesweep_sort_config_static_selectorELNS0_4arch9wavefront6targetE0EEEvSG_
                                        ; -- End function
	.set _ZN7rocprim17ROCPRIM_400000_NS6detail17trampoline_kernelINS0_14default_configENS1_35radix_sort_onesweep_config_selectorIhNS0_10empty_typeEEEZZNS1_29radix_sort_onesweep_iterationIS3_Lb0EPKhPhPS5_SB_mNS0_19identity_decomposerENS1_16block_id_wrapperIjLb1EEEEE10hipError_tT1_PNSt15iterator_traitsISG_E10value_typeET2_T3_PNSH_ISM_E10value_typeET4_T5_PSR_SS_PNS1_23onesweep_lookback_stateEbbT6_jjT7_P12ihipStream_tbENKUlT_T0_SG_SL_E_clIS9_SA_SB_SB_EEDaSZ_S10_SG_SL_EUlSZ_E_NS1_11comp_targetILNS1_3genE2ELNS1_11target_archE906ELNS1_3gpuE6ELNS1_3repE0EEENS1_47radix_sort_onesweep_sort_config_static_selectorELNS0_4arch9wavefront6targetE0EEEvSG_.num_vgpr, 0
	.set _ZN7rocprim17ROCPRIM_400000_NS6detail17trampoline_kernelINS0_14default_configENS1_35radix_sort_onesweep_config_selectorIhNS0_10empty_typeEEEZZNS1_29radix_sort_onesweep_iterationIS3_Lb0EPKhPhPS5_SB_mNS0_19identity_decomposerENS1_16block_id_wrapperIjLb1EEEEE10hipError_tT1_PNSt15iterator_traitsISG_E10value_typeET2_T3_PNSH_ISM_E10value_typeET4_T5_PSR_SS_PNS1_23onesweep_lookback_stateEbbT6_jjT7_P12ihipStream_tbENKUlT_T0_SG_SL_E_clIS9_SA_SB_SB_EEDaSZ_S10_SG_SL_EUlSZ_E_NS1_11comp_targetILNS1_3genE2ELNS1_11target_archE906ELNS1_3gpuE6ELNS1_3repE0EEENS1_47radix_sort_onesweep_sort_config_static_selectorELNS0_4arch9wavefront6targetE0EEEvSG_.num_agpr, 0
	.set _ZN7rocprim17ROCPRIM_400000_NS6detail17trampoline_kernelINS0_14default_configENS1_35radix_sort_onesweep_config_selectorIhNS0_10empty_typeEEEZZNS1_29radix_sort_onesweep_iterationIS3_Lb0EPKhPhPS5_SB_mNS0_19identity_decomposerENS1_16block_id_wrapperIjLb1EEEEE10hipError_tT1_PNSt15iterator_traitsISG_E10value_typeET2_T3_PNSH_ISM_E10value_typeET4_T5_PSR_SS_PNS1_23onesweep_lookback_stateEbbT6_jjT7_P12ihipStream_tbENKUlT_T0_SG_SL_E_clIS9_SA_SB_SB_EEDaSZ_S10_SG_SL_EUlSZ_E_NS1_11comp_targetILNS1_3genE2ELNS1_11target_archE906ELNS1_3gpuE6ELNS1_3repE0EEENS1_47radix_sort_onesweep_sort_config_static_selectorELNS0_4arch9wavefront6targetE0EEEvSG_.numbered_sgpr, 0
	.set _ZN7rocprim17ROCPRIM_400000_NS6detail17trampoline_kernelINS0_14default_configENS1_35radix_sort_onesweep_config_selectorIhNS0_10empty_typeEEEZZNS1_29radix_sort_onesweep_iterationIS3_Lb0EPKhPhPS5_SB_mNS0_19identity_decomposerENS1_16block_id_wrapperIjLb1EEEEE10hipError_tT1_PNSt15iterator_traitsISG_E10value_typeET2_T3_PNSH_ISM_E10value_typeET4_T5_PSR_SS_PNS1_23onesweep_lookback_stateEbbT6_jjT7_P12ihipStream_tbENKUlT_T0_SG_SL_E_clIS9_SA_SB_SB_EEDaSZ_S10_SG_SL_EUlSZ_E_NS1_11comp_targetILNS1_3genE2ELNS1_11target_archE906ELNS1_3gpuE6ELNS1_3repE0EEENS1_47radix_sort_onesweep_sort_config_static_selectorELNS0_4arch9wavefront6targetE0EEEvSG_.num_named_barrier, 0
	.set _ZN7rocprim17ROCPRIM_400000_NS6detail17trampoline_kernelINS0_14default_configENS1_35radix_sort_onesweep_config_selectorIhNS0_10empty_typeEEEZZNS1_29radix_sort_onesweep_iterationIS3_Lb0EPKhPhPS5_SB_mNS0_19identity_decomposerENS1_16block_id_wrapperIjLb1EEEEE10hipError_tT1_PNSt15iterator_traitsISG_E10value_typeET2_T3_PNSH_ISM_E10value_typeET4_T5_PSR_SS_PNS1_23onesweep_lookback_stateEbbT6_jjT7_P12ihipStream_tbENKUlT_T0_SG_SL_E_clIS9_SA_SB_SB_EEDaSZ_S10_SG_SL_EUlSZ_E_NS1_11comp_targetILNS1_3genE2ELNS1_11target_archE906ELNS1_3gpuE6ELNS1_3repE0EEENS1_47radix_sort_onesweep_sort_config_static_selectorELNS0_4arch9wavefront6targetE0EEEvSG_.private_seg_size, 0
	.set _ZN7rocprim17ROCPRIM_400000_NS6detail17trampoline_kernelINS0_14default_configENS1_35radix_sort_onesweep_config_selectorIhNS0_10empty_typeEEEZZNS1_29radix_sort_onesweep_iterationIS3_Lb0EPKhPhPS5_SB_mNS0_19identity_decomposerENS1_16block_id_wrapperIjLb1EEEEE10hipError_tT1_PNSt15iterator_traitsISG_E10value_typeET2_T3_PNSH_ISM_E10value_typeET4_T5_PSR_SS_PNS1_23onesweep_lookback_stateEbbT6_jjT7_P12ihipStream_tbENKUlT_T0_SG_SL_E_clIS9_SA_SB_SB_EEDaSZ_S10_SG_SL_EUlSZ_E_NS1_11comp_targetILNS1_3genE2ELNS1_11target_archE906ELNS1_3gpuE6ELNS1_3repE0EEENS1_47radix_sort_onesweep_sort_config_static_selectorELNS0_4arch9wavefront6targetE0EEEvSG_.uses_vcc, 0
	.set _ZN7rocprim17ROCPRIM_400000_NS6detail17trampoline_kernelINS0_14default_configENS1_35radix_sort_onesweep_config_selectorIhNS0_10empty_typeEEEZZNS1_29radix_sort_onesweep_iterationIS3_Lb0EPKhPhPS5_SB_mNS0_19identity_decomposerENS1_16block_id_wrapperIjLb1EEEEE10hipError_tT1_PNSt15iterator_traitsISG_E10value_typeET2_T3_PNSH_ISM_E10value_typeET4_T5_PSR_SS_PNS1_23onesweep_lookback_stateEbbT6_jjT7_P12ihipStream_tbENKUlT_T0_SG_SL_E_clIS9_SA_SB_SB_EEDaSZ_S10_SG_SL_EUlSZ_E_NS1_11comp_targetILNS1_3genE2ELNS1_11target_archE906ELNS1_3gpuE6ELNS1_3repE0EEENS1_47radix_sort_onesweep_sort_config_static_selectorELNS0_4arch9wavefront6targetE0EEEvSG_.uses_flat_scratch, 0
	.set _ZN7rocprim17ROCPRIM_400000_NS6detail17trampoline_kernelINS0_14default_configENS1_35radix_sort_onesweep_config_selectorIhNS0_10empty_typeEEEZZNS1_29radix_sort_onesweep_iterationIS3_Lb0EPKhPhPS5_SB_mNS0_19identity_decomposerENS1_16block_id_wrapperIjLb1EEEEE10hipError_tT1_PNSt15iterator_traitsISG_E10value_typeET2_T3_PNSH_ISM_E10value_typeET4_T5_PSR_SS_PNS1_23onesweep_lookback_stateEbbT6_jjT7_P12ihipStream_tbENKUlT_T0_SG_SL_E_clIS9_SA_SB_SB_EEDaSZ_S10_SG_SL_EUlSZ_E_NS1_11comp_targetILNS1_3genE2ELNS1_11target_archE906ELNS1_3gpuE6ELNS1_3repE0EEENS1_47radix_sort_onesweep_sort_config_static_selectorELNS0_4arch9wavefront6targetE0EEEvSG_.has_dyn_sized_stack, 0
	.set _ZN7rocprim17ROCPRIM_400000_NS6detail17trampoline_kernelINS0_14default_configENS1_35radix_sort_onesweep_config_selectorIhNS0_10empty_typeEEEZZNS1_29radix_sort_onesweep_iterationIS3_Lb0EPKhPhPS5_SB_mNS0_19identity_decomposerENS1_16block_id_wrapperIjLb1EEEEE10hipError_tT1_PNSt15iterator_traitsISG_E10value_typeET2_T3_PNSH_ISM_E10value_typeET4_T5_PSR_SS_PNS1_23onesweep_lookback_stateEbbT6_jjT7_P12ihipStream_tbENKUlT_T0_SG_SL_E_clIS9_SA_SB_SB_EEDaSZ_S10_SG_SL_EUlSZ_E_NS1_11comp_targetILNS1_3genE2ELNS1_11target_archE906ELNS1_3gpuE6ELNS1_3repE0EEENS1_47radix_sort_onesweep_sort_config_static_selectorELNS0_4arch9wavefront6targetE0EEEvSG_.has_recursion, 0
	.set _ZN7rocprim17ROCPRIM_400000_NS6detail17trampoline_kernelINS0_14default_configENS1_35radix_sort_onesweep_config_selectorIhNS0_10empty_typeEEEZZNS1_29radix_sort_onesweep_iterationIS3_Lb0EPKhPhPS5_SB_mNS0_19identity_decomposerENS1_16block_id_wrapperIjLb1EEEEE10hipError_tT1_PNSt15iterator_traitsISG_E10value_typeET2_T3_PNSH_ISM_E10value_typeET4_T5_PSR_SS_PNS1_23onesweep_lookback_stateEbbT6_jjT7_P12ihipStream_tbENKUlT_T0_SG_SL_E_clIS9_SA_SB_SB_EEDaSZ_S10_SG_SL_EUlSZ_E_NS1_11comp_targetILNS1_3genE2ELNS1_11target_archE906ELNS1_3gpuE6ELNS1_3repE0EEENS1_47radix_sort_onesweep_sort_config_static_selectorELNS0_4arch9wavefront6targetE0EEEvSG_.has_indirect_call, 0
	.section	.AMDGPU.csdata,"",@progbits
; Kernel info:
; codeLenInByte = 0
; TotalNumSgprs: 0
; NumVgprs: 0
; ScratchSize: 0
; MemoryBound: 0
; FloatMode: 240
; IeeeMode: 1
; LDSByteSize: 0 bytes/workgroup (compile time only)
; SGPRBlocks: 0
; VGPRBlocks: 0
; NumSGPRsForWavesPerEU: 1
; NumVGPRsForWavesPerEU: 1
; NamedBarCnt: 0
; Occupancy: 16
; WaveLimiterHint : 0
; COMPUTE_PGM_RSRC2:SCRATCH_EN: 0
; COMPUTE_PGM_RSRC2:USER_SGPR: 2
; COMPUTE_PGM_RSRC2:TRAP_HANDLER: 0
; COMPUTE_PGM_RSRC2:TGID_X_EN: 1
; COMPUTE_PGM_RSRC2:TGID_Y_EN: 0
; COMPUTE_PGM_RSRC2:TGID_Z_EN: 0
; COMPUTE_PGM_RSRC2:TIDIG_COMP_CNT: 0
	.section	.text._ZN7rocprim17ROCPRIM_400000_NS6detail17trampoline_kernelINS0_14default_configENS1_35radix_sort_onesweep_config_selectorIhNS0_10empty_typeEEEZZNS1_29radix_sort_onesweep_iterationIS3_Lb0EPKhPhPS5_SB_mNS0_19identity_decomposerENS1_16block_id_wrapperIjLb1EEEEE10hipError_tT1_PNSt15iterator_traitsISG_E10value_typeET2_T3_PNSH_ISM_E10value_typeET4_T5_PSR_SS_PNS1_23onesweep_lookback_stateEbbT6_jjT7_P12ihipStream_tbENKUlT_T0_SG_SL_E_clIS9_SA_SB_SB_EEDaSZ_S10_SG_SL_EUlSZ_E_NS1_11comp_targetILNS1_3genE4ELNS1_11target_archE910ELNS1_3gpuE8ELNS1_3repE0EEENS1_47radix_sort_onesweep_sort_config_static_selectorELNS0_4arch9wavefront6targetE0EEEvSG_,"axG",@progbits,_ZN7rocprim17ROCPRIM_400000_NS6detail17trampoline_kernelINS0_14default_configENS1_35radix_sort_onesweep_config_selectorIhNS0_10empty_typeEEEZZNS1_29radix_sort_onesweep_iterationIS3_Lb0EPKhPhPS5_SB_mNS0_19identity_decomposerENS1_16block_id_wrapperIjLb1EEEEE10hipError_tT1_PNSt15iterator_traitsISG_E10value_typeET2_T3_PNSH_ISM_E10value_typeET4_T5_PSR_SS_PNS1_23onesweep_lookback_stateEbbT6_jjT7_P12ihipStream_tbENKUlT_T0_SG_SL_E_clIS9_SA_SB_SB_EEDaSZ_S10_SG_SL_EUlSZ_E_NS1_11comp_targetILNS1_3genE4ELNS1_11target_archE910ELNS1_3gpuE8ELNS1_3repE0EEENS1_47radix_sort_onesweep_sort_config_static_selectorELNS0_4arch9wavefront6targetE0EEEvSG_,comdat
	.protected	_ZN7rocprim17ROCPRIM_400000_NS6detail17trampoline_kernelINS0_14default_configENS1_35radix_sort_onesweep_config_selectorIhNS0_10empty_typeEEEZZNS1_29radix_sort_onesweep_iterationIS3_Lb0EPKhPhPS5_SB_mNS0_19identity_decomposerENS1_16block_id_wrapperIjLb1EEEEE10hipError_tT1_PNSt15iterator_traitsISG_E10value_typeET2_T3_PNSH_ISM_E10value_typeET4_T5_PSR_SS_PNS1_23onesweep_lookback_stateEbbT6_jjT7_P12ihipStream_tbENKUlT_T0_SG_SL_E_clIS9_SA_SB_SB_EEDaSZ_S10_SG_SL_EUlSZ_E_NS1_11comp_targetILNS1_3genE4ELNS1_11target_archE910ELNS1_3gpuE8ELNS1_3repE0EEENS1_47radix_sort_onesweep_sort_config_static_selectorELNS0_4arch9wavefront6targetE0EEEvSG_ ; -- Begin function _ZN7rocprim17ROCPRIM_400000_NS6detail17trampoline_kernelINS0_14default_configENS1_35radix_sort_onesweep_config_selectorIhNS0_10empty_typeEEEZZNS1_29radix_sort_onesweep_iterationIS3_Lb0EPKhPhPS5_SB_mNS0_19identity_decomposerENS1_16block_id_wrapperIjLb1EEEEE10hipError_tT1_PNSt15iterator_traitsISG_E10value_typeET2_T3_PNSH_ISM_E10value_typeET4_T5_PSR_SS_PNS1_23onesweep_lookback_stateEbbT6_jjT7_P12ihipStream_tbENKUlT_T0_SG_SL_E_clIS9_SA_SB_SB_EEDaSZ_S10_SG_SL_EUlSZ_E_NS1_11comp_targetILNS1_3genE4ELNS1_11target_archE910ELNS1_3gpuE8ELNS1_3repE0EEENS1_47radix_sort_onesweep_sort_config_static_selectorELNS0_4arch9wavefront6targetE0EEEvSG_
	.globl	_ZN7rocprim17ROCPRIM_400000_NS6detail17trampoline_kernelINS0_14default_configENS1_35radix_sort_onesweep_config_selectorIhNS0_10empty_typeEEEZZNS1_29radix_sort_onesweep_iterationIS3_Lb0EPKhPhPS5_SB_mNS0_19identity_decomposerENS1_16block_id_wrapperIjLb1EEEEE10hipError_tT1_PNSt15iterator_traitsISG_E10value_typeET2_T3_PNSH_ISM_E10value_typeET4_T5_PSR_SS_PNS1_23onesweep_lookback_stateEbbT6_jjT7_P12ihipStream_tbENKUlT_T0_SG_SL_E_clIS9_SA_SB_SB_EEDaSZ_S10_SG_SL_EUlSZ_E_NS1_11comp_targetILNS1_3genE4ELNS1_11target_archE910ELNS1_3gpuE8ELNS1_3repE0EEENS1_47radix_sort_onesweep_sort_config_static_selectorELNS0_4arch9wavefront6targetE0EEEvSG_
	.p2align	8
	.type	_ZN7rocprim17ROCPRIM_400000_NS6detail17trampoline_kernelINS0_14default_configENS1_35radix_sort_onesweep_config_selectorIhNS0_10empty_typeEEEZZNS1_29radix_sort_onesweep_iterationIS3_Lb0EPKhPhPS5_SB_mNS0_19identity_decomposerENS1_16block_id_wrapperIjLb1EEEEE10hipError_tT1_PNSt15iterator_traitsISG_E10value_typeET2_T3_PNSH_ISM_E10value_typeET4_T5_PSR_SS_PNS1_23onesweep_lookback_stateEbbT6_jjT7_P12ihipStream_tbENKUlT_T0_SG_SL_E_clIS9_SA_SB_SB_EEDaSZ_S10_SG_SL_EUlSZ_E_NS1_11comp_targetILNS1_3genE4ELNS1_11target_archE910ELNS1_3gpuE8ELNS1_3repE0EEENS1_47radix_sort_onesweep_sort_config_static_selectorELNS0_4arch9wavefront6targetE0EEEvSG_,@function
_ZN7rocprim17ROCPRIM_400000_NS6detail17trampoline_kernelINS0_14default_configENS1_35radix_sort_onesweep_config_selectorIhNS0_10empty_typeEEEZZNS1_29radix_sort_onesweep_iterationIS3_Lb0EPKhPhPS5_SB_mNS0_19identity_decomposerENS1_16block_id_wrapperIjLb1EEEEE10hipError_tT1_PNSt15iterator_traitsISG_E10value_typeET2_T3_PNSH_ISM_E10value_typeET4_T5_PSR_SS_PNS1_23onesweep_lookback_stateEbbT6_jjT7_P12ihipStream_tbENKUlT_T0_SG_SL_E_clIS9_SA_SB_SB_EEDaSZ_S10_SG_SL_EUlSZ_E_NS1_11comp_targetILNS1_3genE4ELNS1_11target_archE910ELNS1_3gpuE8ELNS1_3repE0EEENS1_47radix_sort_onesweep_sort_config_static_selectorELNS0_4arch9wavefront6targetE0EEEvSG_: ; @_ZN7rocprim17ROCPRIM_400000_NS6detail17trampoline_kernelINS0_14default_configENS1_35radix_sort_onesweep_config_selectorIhNS0_10empty_typeEEEZZNS1_29radix_sort_onesweep_iterationIS3_Lb0EPKhPhPS5_SB_mNS0_19identity_decomposerENS1_16block_id_wrapperIjLb1EEEEE10hipError_tT1_PNSt15iterator_traitsISG_E10value_typeET2_T3_PNSH_ISM_E10value_typeET4_T5_PSR_SS_PNS1_23onesweep_lookback_stateEbbT6_jjT7_P12ihipStream_tbENKUlT_T0_SG_SL_E_clIS9_SA_SB_SB_EEDaSZ_S10_SG_SL_EUlSZ_E_NS1_11comp_targetILNS1_3genE4ELNS1_11target_archE910ELNS1_3gpuE8ELNS1_3repE0EEENS1_47radix_sort_onesweep_sort_config_static_selectorELNS0_4arch9wavefront6targetE0EEEvSG_
; %bb.0:
	.section	.rodata,"a",@progbits
	.p2align	6, 0x0
	.amdhsa_kernel _ZN7rocprim17ROCPRIM_400000_NS6detail17trampoline_kernelINS0_14default_configENS1_35radix_sort_onesweep_config_selectorIhNS0_10empty_typeEEEZZNS1_29radix_sort_onesweep_iterationIS3_Lb0EPKhPhPS5_SB_mNS0_19identity_decomposerENS1_16block_id_wrapperIjLb1EEEEE10hipError_tT1_PNSt15iterator_traitsISG_E10value_typeET2_T3_PNSH_ISM_E10value_typeET4_T5_PSR_SS_PNS1_23onesweep_lookback_stateEbbT6_jjT7_P12ihipStream_tbENKUlT_T0_SG_SL_E_clIS9_SA_SB_SB_EEDaSZ_S10_SG_SL_EUlSZ_E_NS1_11comp_targetILNS1_3genE4ELNS1_11target_archE910ELNS1_3gpuE8ELNS1_3repE0EEENS1_47radix_sort_onesweep_sort_config_static_selectorELNS0_4arch9wavefront6targetE0EEEvSG_
		.amdhsa_group_segment_fixed_size 0
		.amdhsa_private_segment_fixed_size 0
		.amdhsa_kernarg_size 88
		.amdhsa_user_sgpr_count 2
		.amdhsa_user_sgpr_dispatch_ptr 0
		.amdhsa_user_sgpr_queue_ptr 0
		.amdhsa_user_sgpr_kernarg_segment_ptr 1
		.amdhsa_user_sgpr_dispatch_id 0
		.amdhsa_user_sgpr_kernarg_preload_length 0
		.amdhsa_user_sgpr_kernarg_preload_offset 0
		.amdhsa_user_sgpr_private_segment_size 0
		.amdhsa_wavefront_size32 1
		.amdhsa_uses_dynamic_stack 0
		.amdhsa_enable_private_segment 0
		.amdhsa_system_sgpr_workgroup_id_x 1
		.amdhsa_system_sgpr_workgroup_id_y 0
		.amdhsa_system_sgpr_workgroup_id_z 0
		.amdhsa_system_sgpr_workgroup_info 0
		.amdhsa_system_vgpr_workitem_id 0
		.amdhsa_next_free_vgpr 1
		.amdhsa_next_free_sgpr 1
		.amdhsa_named_barrier_count 0
		.amdhsa_reserve_vcc 0
		.amdhsa_float_round_mode_32 0
		.amdhsa_float_round_mode_16_64 0
		.amdhsa_float_denorm_mode_32 3
		.amdhsa_float_denorm_mode_16_64 3
		.amdhsa_fp16_overflow 0
		.amdhsa_memory_ordered 1
		.amdhsa_forward_progress 1
		.amdhsa_inst_pref_size 0
		.amdhsa_round_robin_scheduling 0
		.amdhsa_exception_fp_ieee_invalid_op 0
		.amdhsa_exception_fp_denorm_src 0
		.amdhsa_exception_fp_ieee_div_zero 0
		.amdhsa_exception_fp_ieee_overflow 0
		.amdhsa_exception_fp_ieee_underflow 0
		.amdhsa_exception_fp_ieee_inexact 0
		.amdhsa_exception_int_div_zero 0
	.end_amdhsa_kernel
	.section	.text._ZN7rocprim17ROCPRIM_400000_NS6detail17trampoline_kernelINS0_14default_configENS1_35radix_sort_onesweep_config_selectorIhNS0_10empty_typeEEEZZNS1_29radix_sort_onesweep_iterationIS3_Lb0EPKhPhPS5_SB_mNS0_19identity_decomposerENS1_16block_id_wrapperIjLb1EEEEE10hipError_tT1_PNSt15iterator_traitsISG_E10value_typeET2_T3_PNSH_ISM_E10value_typeET4_T5_PSR_SS_PNS1_23onesweep_lookback_stateEbbT6_jjT7_P12ihipStream_tbENKUlT_T0_SG_SL_E_clIS9_SA_SB_SB_EEDaSZ_S10_SG_SL_EUlSZ_E_NS1_11comp_targetILNS1_3genE4ELNS1_11target_archE910ELNS1_3gpuE8ELNS1_3repE0EEENS1_47radix_sort_onesweep_sort_config_static_selectorELNS0_4arch9wavefront6targetE0EEEvSG_,"axG",@progbits,_ZN7rocprim17ROCPRIM_400000_NS6detail17trampoline_kernelINS0_14default_configENS1_35radix_sort_onesweep_config_selectorIhNS0_10empty_typeEEEZZNS1_29radix_sort_onesweep_iterationIS3_Lb0EPKhPhPS5_SB_mNS0_19identity_decomposerENS1_16block_id_wrapperIjLb1EEEEE10hipError_tT1_PNSt15iterator_traitsISG_E10value_typeET2_T3_PNSH_ISM_E10value_typeET4_T5_PSR_SS_PNS1_23onesweep_lookback_stateEbbT6_jjT7_P12ihipStream_tbENKUlT_T0_SG_SL_E_clIS9_SA_SB_SB_EEDaSZ_S10_SG_SL_EUlSZ_E_NS1_11comp_targetILNS1_3genE4ELNS1_11target_archE910ELNS1_3gpuE8ELNS1_3repE0EEENS1_47radix_sort_onesweep_sort_config_static_selectorELNS0_4arch9wavefront6targetE0EEEvSG_,comdat
.Lfunc_end223:
	.size	_ZN7rocprim17ROCPRIM_400000_NS6detail17trampoline_kernelINS0_14default_configENS1_35radix_sort_onesweep_config_selectorIhNS0_10empty_typeEEEZZNS1_29radix_sort_onesweep_iterationIS3_Lb0EPKhPhPS5_SB_mNS0_19identity_decomposerENS1_16block_id_wrapperIjLb1EEEEE10hipError_tT1_PNSt15iterator_traitsISG_E10value_typeET2_T3_PNSH_ISM_E10value_typeET4_T5_PSR_SS_PNS1_23onesweep_lookback_stateEbbT6_jjT7_P12ihipStream_tbENKUlT_T0_SG_SL_E_clIS9_SA_SB_SB_EEDaSZ_S10_SG_SL_EUlSZ_E_NS1_11comp_targetILNS1_3genE4ELNS1_11target_archE910ELNS1_3gpuE8ELNS1_3repE0EEENS1_47radix_sort_onesweep_sort_config_static_selectorELNS0_4arch9wavefront6targetE0EEEvSG_, .Lfunc_end223-_ZN7rocprim17ROCPRIM_400000_NS6detail17trampoline_kernelINS0_14default_configENS1_35radix_sort_onesweep_config_selectorIhNS0_10empty_typeEEEZZNS1_29radix_sort_onesweep_iterationIS3_Lb0EPKhPhPS5_SB_mNS0_19identity_decomposerENS1_16block_id_wrapperIjLb1EEEEE10hipError_tT1_PNSt15iterator_traitsISG_E10value_typeET2_T3_PNSH_ISM_E10value_typeET4_T5_PSR_SS_PNS1_23onesweep_lookback_stateEbbT6_jjT7_P12ihipStream_tbENKUlT_T0_SG_SL_E_clIS9_SA_SB_SB_EEDaSZ_S10_SG_SL_EUlSZ_E_NS1_11comp_targetILNS1_3genE4ELNS1_11target_archE910ELNS1_3gpuE8ELNS1_3repE0EEENS1_47radix_sort_onesweep_sort_config_static_selectorELNS0_4arch9wavefront6targetE0EEEvSG_
                                        ; -- End function
	.set _ZN7rocprim17ROCPRIM_400000_NS6detail17trampoline_kernelINS0_14default_configENS1_35radix_sort_onesweep_config_selectorIhNS0_10empty_typeEEEZZNS1_29radix_sort_onesweep_iterationIS3_Lb0EPKhPhPS5_SB_mNS0_19identity_decomposerENS1_16block_id_wrapperIjLb1EEEEE10hipError_tT1_PNSt15iterator_traitsISG_E10value_typeET2_T3_PNSH_ISM_E10value_typeET4_T5_PSR_SS_PNS1_23onesweep_lookback_stateEbbT6_jjT7_P12ihipStream_tbENKUlT_T0_SG_SL_E_clIS9_SA_SB_SB_EEDaSZ_S10_SG_SL_EUlSZ_E_NS1_11comp_targetILNS1_3genE4ELNS1_11target_archE910ELNS1_3gpuE8ELNS1_3repE0EEENS1_47radix_sort_onesweep_sort_config_static_selectorELNS0_4arch9wavefront6targetE0EEEvSG_.num_vgpr, 0
	.set _ZN7rocprim17ROCPRIM_400000_NS6detail17trampoline_kernelINS0_14default_configENS1_35radix_sort_onesweep_config_selectorIhNS0_10empty_typeEEEZZNS1_29radix_sort_onesweep_iterationIS3_Lb0EPKhPhPS5_SB_mNS0_19identity_decomposerENS1_16block_id_wrapperIjLb1EEEEE10hipError_tT1_PNSt15iterator_traitsISG_E10value_typeET2_T3_PNSH_ISM_E10value_typeET4_T5_PSR_SS_PNS1_23onesweep_lookback_stateEbbT6_jjT7_P12ihipStream_tbENKUlT_T0_SG_SL_E_clIS9_SA_SB_SB_EEDaSZ_S10_SG_SL_EUlSZ_E_NS1_11comp_targetILNS1_3genE4ELNS1_11target_archE910ELNS1_3gpuE8ELNS1_3repE0EEENS1_47radix_sort_onesweep_sort_config_static_selectorELNS0_4arch9wavefront6targetE0EEEvSG_.num_agpr, 0
	.set _ZN7rocprim17ROCPRIM_400000_NS6detail17trampoline_kernelINS0_14default_configENS1_35radix_sort_onesweep_config_selectorIhNS0_10empty_typeEEEZZNS1_29radix_sort_onesweep_iterationIS3_Lb0EPKhPhPS5_SB_mNS0_19identity_decomposerENS1_16block_id_wrapperIjLb1EEEEE10hipError_tT1_PNSt15iterator_traitsISG_E10value_typeET2_T3_PNSH_ISM_E10value_typeET4_T5_PSR_SS_PNS1_23onesweep_lookback_stateEbbT6_jjT7_P12ihipStream_tbENKUlT_T0_SG_SL_E_clIS9_SA_SB_SB_EEDaSZ_S10_SG_SL_EUlSZ_E_NS1_11comp_targetILNS1_3genE4ELNS1_11target_archE910ELNS1_3gpuE8ELNS1_3repE0EEENS1_47radix_sort_onesweep_sort_config_static_selectorELNS0_4arch9wavefront6targetE0EEEvSG_.numbered_sgpr, 0
	.set _ZN7rocprim17ROCPRIM_400000_NS6detail17trampoline_kernelINS0_14default_configENS1_35radix_sort_onesweep_config_selectorIhNS0_10empty_typeEEEZZNS1_29radix_sort_onesweep_iterationIS3_Lb0EPKhPhPS5_SB_mNS0_19identity_decomposerENS1_16block_id_wrapperIjLb1EEEEE10hipError_tT1_PNSt15iterator_traitsISG_E10value_typeET2_T3_PNSH_ISM_E10value_typeET4_T5_PSR_SS_PNS1_23onesweep_lookback_stateEbbT6_jjT7_P12ihipStream_tbENKUlT_T0_SG_SL_E_clIS9_SA_SB_SB_EEDaSZ_S10_SG_SL_EUlSZ_E_NS1_11comp_targetILNS1_3genE4ELNS1_11target_archE910ELNS1_3gpuE8ELNS1_3repE0EEENS1_47radix_sort_onesweep_sort_config_static_selectorELNS0_4arch9wavefront6targetE0EEEvSG_.num_named_barrier, 0
	.set _ZN7rocprim17ROCPRIM_400000_NS6detail17trampoline_kernelINS0_14default_configENS1_35radix_sort_onesweep_config_selectorIhNS0_10empty_typeEEEZZNS1_29radix_sort_onesweep_iterationIS3_Lb0EPKhPhPS5_SB_mNS0_19identity_decomposerENS1_16block_id_wrapperIjLb1EEEEE10hipError_tT1_PNSt15iterator_traitsISG_E10value_typeET2_T3_PNSH_ISM_E10value_typeET4_T5_PSR_SS_PNS1_23onesweep_lookback_stateEbbT6_jjT7_P12ihipStream_tbENKUlT_T0_SG_SL_E_clIS9_SA_SB_SB_EEDaSZ_S10_SG_SL_EUlSZ_E_NS1_11comp_targetILNS1_3genE4ELNS1_11target_archE910ELNS1_3gpuE8ELNS1_3repE0EEENS1_47radix_sort_onesweep_sort_config_static_selectorELNS0_4arch9wavefront6targetE0EEEvSG_.private_seg_size, 0
	.set _ZN7rocprim17ROCPRIM_400000_NS6detail17trampoline_kernelINS0_14default_configENS1_35radix_sort_onesweep_config_selectorIhNS0_10empty_typeEEEZZNS1_29radix_sort_onesweep_iterationIS3_Lb0EPKhPhPS5_SB_mNS0_19identity_decomposerENS1_16block_id_wrapperIjLb1EEEEE10hipError_tT1_PNSt15iterator_traitsISG_E10value_typeET2_T3_PNSH_ISM_E10value_typeET4_T5_PSR_SS_PNS1_23onesweep_lookback_stateEbbT6_jjT7_P12ihipStream_tbENKUlT_T0_SG_SL_E_clIS9_SA_SB_SB_EEDaSZ_S10_SG_SL_EUlSZ_E_NS1_11comp_targetILNS1_3genE4ELNS1_11target_archE910ELNS1_3gpuE8ELNS1_3repE0EEENS1_47radix_sort_onesweep_sort_config_static_selectorELNS0_4arch9wavefront6targetE0EEEvSG_.uses_vcc, 0
	.set _ZN7rocprim17ROCPRIM_400000_NS6detail17trampoline_kernelINS0_14default_configENS1_35radix_sort_onesweep_config_selectorIhNS0_10empty_typeEEEZZNS1_29radix_sort_onesweep_iterationIS3_Lb0EPKhPhPS5_SB_mNS0_19identity_decomposerENS1_16block_id_wrapperIjLb1EEEEE10hipError_tT1_PNSt15iterator_traitsISG_E10value_typeET2_T3_PNSH_ISM_E10value_typeET4_T5_PSR_SS_PNS1_23onesweep_lookback_stateEbbT6_jjT7_P12ihipStream_tbENKUlT_T0_SG_SL_E_clIS9_SA_SB_SB_EEDaSZ_S10_SG_SL_EUlSZ_E_NS1_11comp_targetILNS1_3genE4ELNS1_11target_archE910ELNS1_3gpuE8ELNS1_3repE0EEENS1_47radix_sort_onesweep_sort_config_static_selectorELNS0_4arch9wavefront6targetE0EEEvSG_.uses_flat_scratch, 0
	.set _ZN7rocprim17ROCPRIM_400000_NS6detail17trampoline_kernelINS0_14default_configENS1_35radix_sort_onesweep_config_selectorIhNS0_10empty_typeEEEZZNS1_29radix_sort_onesweep_iterationIS3_Lb0EPKhPhPS5_SB_mNS0_19identity_decomposerENS1_16block_id_wrapperIjLb1EEEEE10hipError_tT1_PNSt15iterator_traitsISG_E10value_typeET2_T3_PNSH_ISM_E10value_typeET4_T5_PSR_SS_PNS1_23onesweep_lookback_stateEbbT6_jjT7_P12ihipStream_tbENKUlT_T0_SG_SL_E_clIS9_SA_SB_SB_EEDaSZ_S10_SG_SL_EUlSZ_E_NS1_11comp_targetILNS1_3genE4ELNS1_11target_archE910ELNS1_3gpuE8ELNS1_3repE0EEENS1_47radix_sort_onesweep_sort_config_static_selectorELNS0_4arch9wavefront6targetE0EEEvSG_.has_dyn_sized_stack, 0
	.set _ZN7rocprim17ROCPRIM_400000_NS6detail17trampoline_kernelINS0_14default_configENS1_35radix_sort_onesweep_config_selectorIhNS0_10empty_typeEEEZZNS1_29radix_sort_onesweep_iterationIS3_Lb0EPKhPhPS5_SB_mNS0_19identity_decomposerENS1_16block_id_wrapperIjLb1EEEEE10hipError_tT1_PNSt15iterator_traitsISG_E10value_typeET2_T3_PNSH_ISM_E10value_typeET4_T5_PSR_SS_PNS1_23onesweep_lookback_stateEbbT6_jjT7_P12ihipStream_tbENKUlT_T0_SG_SL_E_clIS9_SA_SB_SB_EEDaSZ_S10_SG_SL_EUlSZ_E_NS1_11comp_targetILNS1_3genE4ELNS1_11target_archE910ELNS1_3gpuE8ELNS1_3repE0EEENS1_47radix_sort_onesweep_sort_config_static_selectorELNS0_4arch9wavefront6targetE0EEEvSG_.has_recursion, 0
	.set _ZN7rocprim17ROCPRIM_400000_NS6detail17trampoline_kernelINS0_14default_configENS1_35radix_sort_onesweep_config_selectorIhNS0_10empty_typeEEEZZNS1_29radix_sort_onesweep_iterationIS3_Lb0EPKhPhPS5_SB_mNS0_19identity_decomposerENS1_16block_id_wrapperIjLb1EEEEE10hipError_tT1_PNSt15iterator_traitsISG_E10value_typeET2_T3_PNSH_ISM_E10value_typeET4_T5_PSR_SS_PNS1_23onesweep_lookback_stateEbbT6_jjT7_P12ihipStream_tbENKUlT_T0_SG_SL_E_clIS9_SA_SB_SB_EEDaSZ_S10_SG_SL_EUlSZ_E_NS1_11comp_targetILNS1_3genE4ELNS1_11target_archE910ELNS1_3gpuE8ELNS1_3repE0EEENS1_47radix_sort_onesweep_sort_config_static_selectorELNS0_4arch9wavefront6targetE0EEEvSG_.has_indirect_call, 0
	.section	.AMDGPU.csdata,"",@progbits
; Kernel info:
; codeLenInByte = 0
; TotalNumSgprs: 0
; NumVgprs: 0
; ScratchSize: 0
; MemoryBound: 0
; FloatMode: 240
; IeeeMode: 1
; LDSByteSize: 0 bytes/workgroup (compile time only)
; SGPRBlocks: 0
; VGPRBlocks: 0
; NumSGPRsForWavesPerEU: 1
; NumVGPRsForWavesPerEU: 1
; NamedBarCnt: 0
; Occupancy: 16
; WaveLimiterHint : 0
; COMPUTE_PGM_RSRC2:SCRATCH_EN: 0
; COMPUTE_PGM_RSRC2:USER_SGPR: 2
; COMPUTE_PGM_RSRC2:TRAP_HANDLER: 0
; COMPUTE_PGM_RSRC2:TGID_X_EN: 1
; COMPUTE_PGM_RSRC2:TGID_Y_EN: 0
; COMPUTE_PGM_RSRC2:TGID_Z_EN: 0
; COMPUTE_PGM_RSRC2:TIDIG_COMP_CNT: 0
	.section	.text._ZN7rocprim17ROCPRIM_400000_NS6detail17trampoline_kernelINS0_14default_configENS1_35radix_sort_onesweep_config_selectorIhNS0_10empty_typeEEEZZNS1_29radix_sort_onesweep_iterationIS3_Lb0EPKhPhPS5_SB_mNS0_19identity_decomposerENS1_16block_id_wrapperIjLb1EEEEE10hipError_tT1_PNSt15iterator_traitsISG_E10value_typeET2_T3_PNSH_ISM_E10value_typeET4_T5_PSR_SS_PNS1_23onesweep_lookback_stateEbbT6_jjT7_P12ihipStream_tbENKUlT_T0_SG_SL_E_clIS9_SA_SB_SB_EEDaSZ_S10_SG_SL_EUlSZ_E_NS1_11comp_targetILNS1_3genE3ELNS1_11target_archE908ELNS1_3gpuE7ELNS1_3repE0EEENS1_47radix_sort_onesweep_sort_config_static_selectorELNS0_4arch9wavefront6targetE0EEEvSG_,"axG",@progbits,_ZN7rocprim17ROCPRIM_400000_NS6detail17trampoline_kernelINS0_14default_configENS1_35radix_sort_onesweep_config_selectorIhNS0_10empty_typeEEEZZNS1_29radix_sort_onesweep_iterationIS3_Lb0EPKhPhPS5_SB_mNS0_19identity_decomposerENS1_16block_id_wrapperIjLb1EEEEE10hipError_tT1_PNSt15iterator_traitsISG_E10value_typeET2_T3_PNSH_ISM_E10value_typeET4_T5_PSR_SS_PNS1_23onesweep_lookback_stateEbbT6_jjT7_P12ihipStream_tbENKUlT_T0_SG_SL_E_clIS9_SA_SB_SB_EEDaSZ_S10_SG_SL_EUlSZ_E_NS1_11comp_targetILNS1_3genE3ELNS1_11target_archE908ELNS1_3gpuE7ELNS1_3repE0EEENS1_47radix_sort_onesweep_sort_config_static_selectorELNS0_4arch9wavefront6targetE0EEEvSG_,comdat
	.protected	_ZN7rocprim17ROCPRIM_400000_NS6detail17trampoline_kernelINS0_14default_configENS1_35radix_sort_onesweep_config_selectorIhNS0_10empty_typeEEEZZNS1_29radix_sort_onesweep_iterationIS3_Lb0EPKhPhPS5_SB_mNS0_19identity_decomposerENS1_16block_id_wrapperIjLb1EEEEE10hipError_tT1_PNSt15iterator_traitsISG_E10value_typeET2_T3_PNSH_ISM_E10value_typeET4_T5_PSR_SS_PNS1_23onesweep_lookback_stateEbbT6_jjT7_P12ihipStream_tbENKUlT_T0_SG_SL_E_clIS9_SA_SB_SB_EEDaSZ_S10_SG_SL_EUlSZ_E_NS1_11comp_targetILNS1_3genE3ELNS1_11target_archE908ELNS1_3gpuE7ELNS1_3repE0EEENS1_47radix_sort_onesweep_sort_config_static_selectorELNS0_4arch9wavefront6targetE0EEEvSG_ ; -- Begin function _ZN7rocprim17ROCPRIM_400000_NS6detail17trampoline_kernelINS0_14default_configENS1_35radix_sort_onesweep_config_selectorIhNS0_10empty_typeEEEZZNS1_29radix_sort_onesweep_iterationIS3_Lb0EPKhPhPS5_SB_mNS0_19identity_decomposerENS1_16block_id_wrapperIjLb1EEEEE10hipError_tT1_PNSt15iterator_traitsISG_E10value_typeET2_T3_PNSH_ISM_E10value_typeET4_T5_PSR_SS_PNS1_23onesweep_lookback_stateEbbT6_jjT7_P12ihipStream_tbENKUlT_T0_SG_SL_E_clIS9_SA_SB_SB_EEDaSZ_S10_SG_SL_EUlSZ_E_NS1_11comp_targetILNS1_3genE3ELNS1_11target_archE908ELNS1_3gpuE7ELNS1_3repE0EEENS1_47radix_sort_onesweep_sort_config_static_selectorELNS0_4arch9wavefront6targetE0EEEvSG_
	.globl	_ZN7rocprim17ROCPRIM_400000_NS6detail17trampoline_kernelINS0_14default_configENS1_35radix_sort_onesweep_config_selectorIhNS0_10empty_typeEEEZZNS1_29radix_sort_onesweep_iterationIS3_Lb0EPKhPhPS5_SB_mNS0_19identity_decomposerENS1_16block_id_wrapperIjLb1EEEEE10hipError_tT1_PNSt15iterator_traitsISG_E10value_typeET2_T3_PNSH_ISM_E10value_typeET4_T5_PSR_SS_PNS1_23onesweep_lookback_stateEbbT6_jjT7_P12ihipStream_tbENKUlT_T0_SG_SL_E_clIS9_SA_SB_SB_EEDaSZ_S10_SG_SL_EUlSZ_E_NS1_11comp_targetILNS1_3genE3ELNS1_11target_archE908ELNS1_3gpuE7ELNS1_3repE0EEENS1_47radix_sort_onesweep_sort_config_static_selectorELNS0_4arch9wavefront6targetE0EEEvSG_
	.p2align	8
	.type	_ZN7rocprim17ROCPRIM_400000_NS6detail17trampoline_kernelINS0_14default_configENS1_35radix_sort_onesweep_config_selectorIhNS0_10empty_typeEEEZZNS1_29radix_sort_onesweep_iterationIS3_Lb0EPKhPhPS5_SB_mNS0_19identity_decomposerENS1_16block_id_wrapperIjLb1EEEEE10hipError_tT1_PNSt15iterator_traitsISG_E10value_typeET2_T3_PNSH_ISM_E10value_typeET4_T5_PSR_SS_PNS1_23onesweep_lookback_stateEbbT6_jjT7_P12ihipStream_tbENKUlT_T0_SG_SL_E_clIS9_SA_SB_SB_EEDaSZ_S10_SG_SL_EUlSZ_E_NS1_11comp_targetILNS1_3genE3ELNS1_11target_archE908ELNS1_3gpuE7ELNS1_3repE0EEENS1_47radix_sort_onesweep_sort_config_static_selectorELNS0_4arch9wavefront6targetE0EEEvSG_,@function
_ZN7rocprim17ROCPRIM_400000_NS6detail17trampoline_kernelINS0_14default_configENS1_35radix_sort_onesweep_config_selectorIhNS0_10empty_typeEEEZZNS1_29radix_sort_onesweep_iterationIS3_Lb0EPKhPhPS5_SB_mNS0_19identity_decomposerENS1_16block_id_wrapperIjLb1EEEEE10hipError_tT1_PNSt15iterator_traitsISG_E10value_typeET2_T3_PNSH_ISM_E10value_typeET4_T5_PSR_SS_PNS1_23onesweep_lookback_stateEbbT6_jjT7_P12ihipStream_tbENKUlT_T0_SG_SL_E_clIS9_SA_SB_SB_EEDaSZ_S10_SG_SL_EUlSZ_E_NS1_11comp_targetILNS1_3genE3ELNS1_11target_archE908ELNS1_3gpuE7ELNS1_3repE0EEENS1_47radix_sort_onesweep_sort_config_static_selectorELNS0_4arch9wavefront6targetE0EEEvSG_: ; @_ZN7rocprim17ROCPRIM_400000_NS6detail17trampoline_kernelINS0_14default_configENS1_35radix_sort_onesweep_config_selectorIhNS0_10empty_typeEEEZZNS1_29radix_sort_onesweep_iterationIS3_Lb0EPKhPhPS5_SB_mNS0_19identity_decomposerENS1_16block_id_wrapperIjLb1EEEEE10hipError_tT1_PNSt15iterator_traitsISG_E10value_typeET2_T3_PNSH_ISM_E10value_typeET4_T5_PSR_SS_PNS1_23onesweep_lookback_stateEbbT6_jjT7_P12ihipStream_tbENKUlT_T0_SG_SL_E_clIS9_SA_SB_SB_EEDaSZ_S10_SG_SL_EUlSZ_E_NS1_11comp_targetILNS1_3genE3ELNS1_11target_archE908ELNS1_3gpuE7ELNS1_3repE0EEENS1_47radix_sort_onesweep_sort_config_static_selectorELNS0_4arch9wavefront6targetE0EEEvSG_
; %bb.0:
	.section	.rodata,"a",@progbits
	.p2align	6, 0x0
	.amdhsa_kernel _ZN7rocprim17ROCPRIM_400000_NS6detail17trampoline_kernelINS0_14default_configENS1_35radix_sort_onesweep_config_selectorIhNS0_10empty_typeEEEZZNS1_29radix_sort_onesweep_iterationIS3_Lb0EPKhPhPS5_SB_mNS0_19identity_decomposerENS1_16block_id_wrapperIjLb1EEEEE10hipError_tT1_PNSt15iterator_traitsISG_E10value_typeET2_T3_PNSH_ISM_E10value_typeET4_T5_PSR_SS_PNS1_23onesweep_lookback_stateEbbT6_jjT7_P12ihipStream_tbENKUlT_T0_SG_SL_E_clIS9_SA_SB_SB_EEDaSZ_S10_SG_SL_EUlSZ_E_NS1_11comp_targetILNS1_3genE3ELNS1_11target_archE908ELNS1_3gpuE7ELNS1_3repE0EEENS1_47radix_sort_onesweep_sort_config_static_selectorELNS0_4arch9wavefront6targetE0EEEvSG_
		.amdhsa_group_segment_fixed_size 0
		.amdhsa_private_segment_fixed_size 0
		.amdhsa_kernarg_size 88
		.amdhsa_user_sgpr_count 2
		.amdhsa_user_sgpr_dispatch_ptr 0
		.amdhsa_user_sgpr_queue_ptr 0
		.amdhsa_user_sgpr_kernarg_segment_ptr 1
		.amdhsa_user_sgpr_dispatch_id 0
		.amdhsa_user_sgpr_kernarg_preload_length 0
		.amdhsa_user_sgpr_kernarg_preload_offset 0
		.amdhsa_user_sgpr_private_segment_size 0
		.amdhsa_wavefront_size32 1
		.amdhsa_uses_dynamic_stack 0
		.amdhsa_enable_private_segment 0
		.amdhsa_system_sgpr_workgroup_id_x 1
		.amdhsa_system_sgpr_workgroup_id_y 0
		.amdhsa_system_sgpr_workgroup_id_z 0
		.amdhsa_system_sgpr_workgroup_info 0
		.amdhsa_system_vgpr_workitem_id 0
		.amdhsa_next_free_vgpr 1
		.amdhsa_next_free_sgpr 1
		.amdhsa_named_barrier_count 0
		.amdhsa_reserve_vcc 0
		.amdhsa_float_round_mode_32 0
		.amdhsa_float_round_mode_16_64 0
		.amdhsa_float_denorm_mode_32 3
		.amdhsa_float_denorm_mode_16_64 3
		.amdhsa_fp16_overflow 0
		.amdhsa_memory_ordered 1
		.amdhsa_forward_progress 1
		.amdhsa_inst_pref_size 0
		.amdhsa_round_robin_scheduling 0
		.amdhsa_exception_fp_ieee_invalid_op 0
		.amdhsa_exception_fp_denorm_src 0
		.amdhsa_exception_fp_ieee_div_zero 0
		.amdhsa_exception_fp_ieee_overflow 0
		.amdhsa_exception_fp_ieee_underflow 0
		.amdhsa_exception_fp_ieee_inexact 0
		.amdhsa_exception_int_div_zero 0
	.end_amdhsa_kernel
	.section	.text._ZN7rocprim17ROCPRIM_400000_NS6detail17trampoline_kernelINS0_14default_configENS1_35radix_sort_onesweep_config_selectorIhNS0_10empty_typeEEEZZNS1_29radix_sort_onesweep_iterationIS3_Lb0EPKhPhPS5_SB_mNS0_19identity_decomposerENS1_16block_id_wrapperIjLb1EEEEE10hipError_tT1_PNSt15iterator_traitsISG_E10value_typeET2_T3_PNSH_ISM_E10value_typeET4_T5_PSR_SS_PNS1_23onesweep_lookback_stateEbbT6_jjT7_P12ihipStream_tbENKUlT_T0_SG_SL_E_clIS9_SA_SB_SB_EEDaSZ_S10_SG_SL_EUlSZ_E_NS1_11comp_targetILNS1_3genE3ELNS1_11target_archE908ELNS1_3gpuE7ELNS1_3repE0EEENS1_47radix_sort_onesweep_sort_config_static_selectorELNS0_4arch9wavefront6targetE0EEEvSG_,"axG",@progbits,_ZN7rocprim17ROCPRIM_400000_NS6detail17trampoline_kernelINS0_14default_configENS1_35radix_sort_onesweep_config_selectorIhNS0_10empty_typeEEEZZNS1_29radix_sort_onesweep_iterationIS3_Lb0EPKhPhPS5_SB_mNS0_19identity_decomposerENS1_16block_id_wrapperIjLb1EEEEE10hipError_tT1_PNSt15iterator_traitsISG_E10value_typeET2_T3_PNSH_ISM_E10value_typeET4_T5_PSR_SS_PNS1_23onesweep_lookback_stateEbbT6_jjT7_P12ihipStream_tbENKUlT_T0_SG_SL_E_clIS9_SA_SB_SB_EEDaSZ_S10_SG_SL_EUlSZ_E_NS1_11comp_targetILNS1_3genE3ELNS1_11target_archE908ELNS1_3gpuE7ELNS1_3repE0EEENS1_47radix_sort_onesweep_sort_config_static_selectorELNS0_4arch9wavefront6targetE0EEEvSG_,comdat
.Lfunc_end224:
	.size	_ZN7rocprim17ROCPRIM_400000_NS6detail17trampoline_kernelINS0_14default_configENS1_35radix_sort_onesweep_config_selectorIhNS0_10empty_typeEEEZZNS1_29radix_sort_onesweep_iterationIS3_Lb0EPKhPhPS5_SB_mNS0_19identity_decomposerENS1_16block_id_wrapperIjLb1EEEEE10hipError_tT1_PNSt15iterator_traitsISG_E10value_typeET2_T3_PNSH_ISM_E10value_typeET4_T5_PSR_SS_PNS1_23onesweep_lookback_stateEbbT6_jjT7_P12ihipStream_tbENKUlT_T0_SG_SL_E_clIS9_SA_SB_SB_EEDaSZ_S10_SG_SL_EUlSZ_E_NS1_11comp_targetILNS1_3genE3ELNS1_11target_archE908ELNS1_3gpuE7ELNS1_3repE0EEENS1_47radix_sort_onesweep_sort_config_static_selectorELNS0_4arch9wavefront6targetE0EEEvSG_, .Lfunc_end224-_ZN7rocprim17ROCPRIM_400000_NS6detail17trampoline_kernelINS0_14default_configENS1_35radix_sort_onesweep_config_selectorIhNS0_10empty_typeEEEZZNS1_29radix_sort_onesweep_iterationIS3_Lb0EPKhPhPS5_SB_mNS0_19identity_decomposerENS1_16block_id_wrapperIjLb1EEEEE10hipError_tT1_PNSt15iterator_traitsISG_E10value_typeET2_T3_PNSH_ISM_E10value_typeET4_T5_PSR_SS_PNS1_23onesweep_lookback_stateEbbT6_jjT7_P12ihipStream_tbENKUlT_T0_SG_SL_E_clIS9_SA_SB_SB_EEDaSZ_S10_SG_SL_EUlSZ_E_NS1_11comp_targetILNS1_3genE3ELNS1_11target_archE908ELNS1_3gpuE7ELNS1_3repE0EEENS1_47radix_sort_onesweep_sort_config_static_selectorELNS0_4arch9wavefront6targetE0EEEvSG_
                                        ; -- End function
	.set _ZN7rocprim17ROCPRIM_400000_NS6detail17trampoline_kernelINS0_14default_configENS1_35radix_sort_onesweep_config_selectorIhNS0_10empty_typeEEEZZNS1_29radix_sort_onesweep_iterationIS3_Lb0EPKhPhPS5_SB_mNS0_19identity_decomposerENS1_16block_id_wrapperIjLb1EEEEE10hipError_tT1_PNSt15iterator_traitsISG_E10value_typeET2_T3_PNSH_ISM_E10value_typeET4_T5_PSR_SS_PNS1_23onesweep_lookback_stateEbbT6_jjT7_P12ihipStream_tbENKUlT_T0_SG_SL_E_clIS9_SA_SB_SB_EEDaSZ_S10_SG_SL_EUlSZ_E_NS1_11comp_targetILNS1_3genE3ELNS1_11target_archE908ELNS1_3gpuE7ELNS1_3repE0EEENS1_47radix_sort_onesweep_sort_config_static_selectorELNS0_4arch9wavefront6targetE0EEEvSG_.num_vgpr, 0
	.set _ZN7rocprim17ROCPRIM_400000_NS6detail17trampoline_kernelINS0_14default_configENS1_35radix_sort_onesweep_config_selectorIhNS0_10empty_typeEEEZZNS1_29radix_sort_onesweep_iterationIS3_Lb0EPKhPhPS5_SB_mNS0_19identity_decomposerENS1_16block_id_wrapperIjLb1EEEEE10hipError_tT1_PNSt15iterator_traitsISG_E10value_typeET2_T3_PNSH_ISM_E10value_typeET4_T5_PSR_SS_PNS1_23onesweep_lookback_stateEbbT6_jjT7_P12ihipStream_tbENKUlT_T0_SG_SL_E_clIS9_SA_SB_SB_EEDaSZ_S10_SG_SL_EUlSZ_E_NS1_11comp_targetILNS1_3genE3ELNS1_11target_archE908ELNS1_3gpuE7ELNS1_3repE0EEENS1_47radix_sort_onesweep_sort_config_static_selectorELNS0_4arch9wavefront6targetE0EEEvSG_.num_agpr, 0
	.set _ZN7rocprim17ROCPRIM_400000_NS6detail17trampoline_kernelINS0_14default_configENS1_35radix_sort_onesweep_config_selectorIhNS0_10empty_typeEEEZZNS1_29radix_sort_onesweep_iterationIS3_Lb0EPKhPhPS5_SB_mNS0_19identity_decomposerENS1_16block_id_wrapperIjLb1EEEEE10hipError_tT1_PNSt15iterator_traitsISG_E10value_typeET2_T3_PNSH_ISM_E10value_typeET4_T5_PSR_SS_PNS1_23onesweep_lookback_stateEbbT6_jjT7_P12ihipStream_tbENKUlT_T0_SG_SL_E_clIS9_SA_SB_SB_EEDaSZ_S10_SG_SL_EUlSZ_E_NS1_11comp_targetILNS1_3genE3ELNS1_11target_archE908ELNS1_3gpuE7ELNS1_3repE0EEENS1_47radix_sort_onesweep_sort_config_static_selectorELNS0_4arch9wavefront6targetE0EEEvSG_.numbered_sgpr, 0
	.set _ZN7rocprim17ROCPRIM_400000_NS6detail17trampoline_kernelINS0_14default_configENS1_35radix_sort_onesweep_config_selectorIhNS0_10empty_typeEEEZZNS1_29radix_sort_onesweep_iterationIS3_Lb0EPKhPhPS5_SB_mNS0_19identity_decomposerENS1_16block_id_wrapperIjLb1EEEEE10hipError_tT1_PNSt15iterator_traitsISG_E10value_typeET2_T3_PNSH_ISM_E10value_typeET4_T5_PSR_SS_PNS1_23onesweep_lookback_stateEbbT6_jjT7_P12ihipStream_tbENKUlT_T0_SG_SL_E_clIS9_SA_SB_SB_EEDaSZ_S10_SG_SL_EUlSZ_E_NS1_11comp_targetILNS1_3genE3ELNS1_11target_archE908ELNS1_3gpuE7ELNS1_3repE0EEENS1_47radix_sort_onesweep_sort_config_static_selectorELNS0_4arch9wavefront6targetE0EEEvSG_.num_named_barrier, 0
	.set _ZN7rocprim17ROCPRIM_400000_NS6detail17trampoline_kernelINS0_14default_configENS1_35radix_sort_onesweep_config_selectorIhNS0_10empty_typeEEEZZNS1_29radix_sort_onesweep_iterationIS3_Lb0EPKhPhPS5_SB_mNS0_19identity_decomposerENS1_16block_id_wrapperIjLb1EEEEE10hipError_tT1_PNSt15iterator_traitsISG_E10value_typeET2_T3_PNSH_ISM_E10value_typeET4_T5_PSR_SS_PNS1_23onesweep_lookback_stateEbbT6_jjT7_P12ihipStream_tbENKUlT_T0_SG_SL_E_clIS9_SA_SB_SB_EEDaSZ_S10_SG_SL_EUlSZ_E_NS1_11comp_targetILNS1_3genE3ELNS1_11target_archE908ELNS1_3gpuE7ELNS1_3repE0EEENS1_47radix_sort_onesweep_sort_config_static_selectorELNS0_4arch9wavefront6targetE0EEEvSG_.private_seg_size, 0
	.set _ZN7rocprim17ROCPRIM_400000_NS6detail17trampoline_kernelINS0_14default_configENS1_35radix_sort_onesweep_config_selectorIhNS0_10empty_typeEEEZZNS1_29radix_sort_onesweep_iterationIS3_Lb0EPKhPhPS5_SB_mNS0_19identity_decomposerENS1_16block_id_wrapperIjLb1EEEEE10hipError_tT1_PNSt15iterator_traitsISG_E10value_typeET2_T3_PNSH_ISM_E10value_typeET4_T5_PSR_SS_PNS1_23onesweep_lookback_stateEbbT6_jjT7_P12ihipStream_tbENKUlT_T0_SG_SL_E_clIS9_SA_SB_SB_EEDaSZ_S10_SG_SL_EUlSZ_E_NS1_11comp_targetILNS1_3genE3ELNS1_11target_archE908ELNS1_3gpuE7ELNS1_3repE0EEENS1_47radix_sort_onesweep_sort_config_static_selectorELNS0_4arch9wavefront6targetE0EEEvSG_.uses_vcc, 0
	.set _ZN7rocprim17ROCPRIM_400000_NS6detail17trampoline_kernelINS0_14default_configENS1_35radix_sort_onesweep_config_selectorIhNS0_10empty_typeEEEZZNS1_29radix_sort_onesweep_iterationIS3_Lb0EPKhPhPS5_SB_mNS0_19identity_decomposerENS1_16block_id_wrapperIjLb1EEEEE10hipError_tT1_PNSt15iterator_traitsISG_E10value_typeET2_T3_PNSH_ISM_E10value_typeET4_T5_PSR_SS_PNS1_23onesweep_lookback_stateEbbT6_jjT7_P12ihipStream_tbENKUlT_T0_SG_SL_E_clIS9_SA_SB_SB_EEDaSZ_S10_SG_SL_EUlSZ_E_NS1_11comp_targetILNS1_3genE3ELNS1_11target_archE908ELNS1_3gpuE7ELNS1_3repE0EEENS1_47radix_sort_onesweep_sort_config_static_selectorELNS0_4arch9wavefront6targetE0EEEvSG_.uses_flat_scratch, 0
	.set _ZN7rocprim17ROCPRIM_400000_NS6detail17trampoline_kernelINS0_14default_configENS1_35radix_sort_onesweep_config_selectorIhNS0_10empty_typeEEEZZNS1_29radix_sort_onesweep_iterationIS3_Lb0EPKhPhPS5_SB_mNS0_19identity_decomposerENS1_16block_id_wrapperIjLb1EEEEE10hipError_tT1_PNSt15iterator_traitsISG_E10value_typeET2_T3_PNSH_ISM_E10value_typeET4_T5_PSR_SS_PNS1_23onesweep_lookback_stateEbbT6_jjT7_P12ihipStream_tbENKUlT_T0_SG_SL_E_clIS9_SA_SB_SB_EEDaSZ_S10_SG_SL_EUlSZ_E_NS1_11comp_targetILNS1_3genE3ELNS1_11target_archE908ELNS1_3gpuE7ELNS1_3repE0EEENS1_47radix_sort_onesweep_sort_config_static_selectorELNS0_4arch9wavefront6targetE0EEEvSG_.has_dyn_sized_stack, 0
	.set _ZN7rocprim17ROCPRIM_400000_NS6detail17trampoline_kernelINS0_14default_configENS1_35radix_sort_onesweep_config_selectorIhNS0_10empty_typeEEEZZNS1_29radix_sort_onesweep_iterationIS3_Lb0EPKhPhPS5_SB_mNS0_19identity_decomposerENS1_16block_id_wrapperIjLb1EEEEE10hipError_tT1_PNSt15iterator_traitsISG_E10value_typeET2_T3_PNSH_ISM_E10value_typeET4_T5_PSR_SS_PNS1_23onesweep_lookback_stateEbbT6_jjT7_P12ihipStream_tbENKUlT_T0_SG_SL_E_clIS9_SA_SB_SB_EEDaSZ_S10_SG_SL_EUlSZ_E_NS1_11comp_targetILNS1_3genE3ELNS1_11target_archE908ELNS1_3gpuE7ELNS1_3repE0EEENS1_47radix_sort_onesweep_sort_config_static_selectorELNS0_4arch9wavefront6targetE0EEEvSG_.has_recursion, 0
	.set _ZN7rocprim17ROCPRIM_400000_NS6detail17trampoline_kernelINS0_14default_configENS1_35radix_sort_onesweep_config_selectorIhNS0_10empty_typeEEEZZNS1_29radix_sort_onesweep_iterationIS3_Lb0EPKhPhPS5_SB_mNS0_19identity_decomposerENS1_16block_id_wrapperIjLb1EEEEE10hipError_tT1_PNSt15iterator_traitsISG_E10value_typeET2_T3_PNSH_ISM_E10value_typeET4_T5_PSR_SS_PNS1_23onesweep_lookback_stateEbbT6_jjT7_P12ihipStream_tbENKUlT_T0_SG_SL_E_clIS9_SA_SB_SB_EEDaSZ_S10_SG_SL_EUlSZ_E_NS1_11comp_targetILNS1_3genE3ELNS1_11target_archE908ELNS1_3gpuE7ELNS1_3repE0EEENS1_47radix_sort_onesweep_sort_config_static_selectorELNS0_4arch9wavefront6targetE0EEEvSG_.has_indirect_call, 0
	.section	.AMDGPU.csdata,"",@progbits
; Kernel info:
; codeLenInByte = 0
; TotalNumSgprs: 0
; NumVgprs: 0
; ScratchSize: 0
; MemoryBound: 0
; FloatMode: 240
; IeeeMode: 1
; LDSByteSize: 0 bytes/workgroup (compile time only)
; SGPRBlocks: 0
; VGPRBlocks: 0
; NumSGPRsForWavesPerEU: 1
; NumVGPRsForWavesPerEU: 1
; NamedBarCnt: 0
; Occupancy: 16
; WaveLimiterHint : 0
; COMPUTE_PGM_RSRC2:SCRATCH_EN: 0
; COMPUTE_PGM_RSRC2:USER_SGPR: 2
; COMPUTE_PGM_RSRC2:TRAP_HANDLER: 0
; COMPUTE_PGM_RSRC2:TGID_X_EN: 1
; COMPUTE_PGM_RSRC2:TGID_Y_EN: 0
; COMPUTE_PGM_RSRC2:TGID_Z_EN: 0
; COMPUTE_PGM_RSRC2:TIDIG_COMP_CNT: 0
	.section	.text._ZN7rocprim17ROCPRIM_400000_NS6detail17trampoline_kernelINS0_14default_configENS1_35radix_sort_onesweep_config_selectorIhNS0_10empty_typeEEEZZNS1_29radix_sort_onesweep_iterationIS3_Lb0EPKhPhPS5_SB_mNS0_19identity_decomposerENS1_16block_id_wrapperIjLb1EEEEE10hipError_tT1_PNSt15iterator_traitsISG_E10value_typeET2_T3_PNSH_ISM_E10value_typeET4_T5_PSR_SS_PNS1_23onesweep_lookback_stateEbbT6_jjT7_P12ihipStream_tbENKUlT_T0_SG_SL_E_clIS9_SA_SB_SB_EEDaSZ_S10_SG_SL_EUlSZ_E_NS1_11comp_targetILNS1_3genE10ELNS1_11target_archE1201ELNS1_3gpuE5ELNS1_3repE0EEENS1_47radix_sort_onesweep_sort_config_static_selectorELNS0_4arch9wavefront6targetE0EEEvSG_,"axG",@progbits,_ZN7rocprim17ROCPRIM_400000_NS6detail17trampoline_kernelINS0_14default_configENS1_35radix_sort_onesweep_config_selectorIhNS0_10empty_typeEEEZZNS1_29radix_sort_onesweep_iterationIS3_Lb0EPKhPhPS5_SB_mNS0_19identity_decomposerENS1_16block_id_wrapperIjLb1EEEEE10hipError_tT1_PNSt15iterator_traitsISG_E10value_typeET2_T3_PNSH_ISM_E10value_typeET4_T5_PSR_SS_PNS1_23onesweep_lookback_stateEbbT6_jjT7_P12ihipStream_tbENKUlT_T0_SG_SL_E_clIS9_SA_SB_SB_EEDaSZ_S10_SG_SL_EUlSZ_E_NS1_11comp_targetILNS1_3genE10ELNS1_11target_archE1201ELNS1_3gpuE5ELNS1_3repE0EEENS1_47radix_sort_onesweep_sort_config_static_selectorELNS0_4arch9wavefront6targetE0EEEvSG_,comdat
	.protected	_ZN7rocprim17ROCPRIM_400000_NS6detail17trampoline_kernelINS0_14default_configENS1_35radix_sort_onesweep_config_selectorIhNS0_10empty_typeEEEZZNS1_29radix_sort_onesweep_iterationIS3_Lb0EPKhPhPS5_SB_mNS0_19identity_decomposerENS1_16block_id_wrapperIjLb1EEEEE10hipError_tT1_PNSt15iterator_traitsISG_E10value_typeET2_T3_PNSH_ISM_E10value_typeET4_T5_PSR_SS_PNS1_23onesweep_lookback_stateEbbT6_jjT7_P12ihipStream_tbENKUlT_T0_SG_SL_E_clIS9_SA_SB_SB_EEDaSZ_S10_SG_SL_EUlSZ_E_NS1_11comp_targetILNS1_3genE10ELNS1_11target_archE1201ELNS1_3gpuE5ELNS1_3repE0EEENS1_47radix_sort_onesweep_sort_config_static_selectorELNS0_4arch9wavefront6targetE0EEEvSG_ ; -- Begin function _ZN7rocprim17ROCPRIM_400000_NS6detail17trampoline_kernelINS0_14default_configENS1_35radix_sort_onesweep_config_selectorIhNS0_10empty_typeEEEZZNS1_29radix_sort_onesweep_iterationIS3_Lb0EPKhPhPS5_SB_mNS0_19identity_decomposerENS1_16block_id_wrapperIjLb1EEEEE10hipError_tT1_PNSt15iterator_traitsISG_E10value_typeET2_T3_PNSH_ISM_E10value_typeET4_T5_PSR_SS_PNS1_23onesweep_lookback_stateEbbT6_jjT7_P12ihipStream_tbENKUlT_T0_SG_SL_E_clIS9_SA_SB_SB_EEDaSZ_S10_SG_SL_EUlSZ_E_NS1_11comp_targetILNS1_3genE10ELNS1_11target_archE1201ELNS1_3gpuE5ELNS1_3repE0EEENS1_47radix_sort_onesweep_sort_config_static_selectorELNS0_4arch9wavefront6targetE0EEEvSG_
	.globl	_ZN7rocprim17ROCPRIM_400000_NS6detail17trampoline_kernelINS0_14default_configENS1_35radix_sort_onesweep_config_selectorIhNS0_10empty_typeEEEZZNS1_29radix_sort_onesweep_iterationIS3_Lb0EPKhPhPS5_SB_mNS0_19identity_decomposerENS1_16block_id_wrapperIjLb1EEEEE10hipError_tT1_PNSt15iterator_traitsISG_E10value_typeET2_T3_PNSH_ISM_E10value_typeET4_T5_PSR_SS_PNS1_23onesweep_lookback_stateEbbT6_jjT7_P12ihipStream_tbENKUlT_T0_SG_SL_E_clIS9_SA_SB_SB_EEDaSZ_S10_SG_SL_EUlSZ_E_NS1_11comp_targetILNS1_3genE10ELNS1_11target_archE1201ELNS1_3gpuE5ELNS1_3repE0EEENS1_47radix_sort_onesweep_sort_config_static_selectorELNS0_4arch9wavefront6targetE0EEEvSG_
	.p2align	8
	.type	_ZN7rocprim17ROCPRIM_400000_NS6detail17trampoline_kernelINS0_14default_configENS1_35radix_sort_onesweep_config_selectorIhNS0_10empty_typeEEEZZNS1_29radix_sort_onesweep_iterationIS3_Lb0EPKhPhPS5_SB_mNS0_19identity_decomposerENS1_16block_id_wrapperIjLb1EEEEE10hipError_tT1_PNSt15iterator_traitsISG_E10value_typeET2_T3_PNSH_ISM_E10value_typeET4_T5_PSR_SS_PNS1_23onesweep_lookback_stateEbbT6_jjT7_P12ihipStream_tbENKUlT_T0_SG_SL_E_clIS9_SA_SB_SB_EEDaSZ_S10_SG_SL_EUlSZ_E_NS1_11comp_targetILNS1_3genE10ELNS1_11target_archE1201ELNS1_3gpuE5ELNS1_3repE0EEENS1_47radix_sort_onesweep_sort_config_static_selectorELNS0_4arch9wavefront6targetE0EEEvSG_,@function
_ZN7rocprim17ROCPRIM_400000_NS6detail17trampoline_kernelINS0_14default_configENS1_35radix_sort_onesweep_config_selectorIhNS0_10empty_typeEEEZZNS1_29radix_sort_onesweep_iterationIS3_Lb0EPKhPhPS5_SB_mNS0_19identity_decomposerENS1_16block_id_wrapperIjLb1EEEEE10hipError_tT1_PNSt15iterator_traitsISG_E10value_typeET2_T3_PNSH_ISM_E10value_typeET4_T5_PSR_SS_PNS1_23onesweep_lookback_stateEbbT6_jjT7_P12ihipStream_tbENKUlT_T0_SG_SL_E_clIS9_SA_SB_SB_EEDaSZ_S10_SG_SL_EUlSZ_E_NS1_11comp_targetILNS1_3genE10ELNS1_11target_archE1201ELNS1_3gpuE5ELNS1_3repE0EEENS1_47radix_sort_onesweep_sort_config_static_selectorELNS0_4arch9wavefront6targetE0EEEvSG_: ; @_ZN7rocprim17ROCPRIM_400000_NS6detail17trampoline_kernelINS0_14default_configENS1_35radix_sort_onesweep_config_selectorIhNS0_10empty_typeEEEZZNS1_29radix_sort_onesweep_iterationIS3_Lb0EPKhPhPS5_SB_mNS0_19identity_decomposerENS1_16block_id_wrapperIjLb1EEEEE10hipError_tT1_PNSt15iterator_traitsISG_E10value_typeET2_T3_PNSH_ISM_E10value_typeET4_T5_PSR_SS_PNS1_23onesweep_lookback_stateEbbT6_jjT7_P12ihipStream_tbENKUlT_T0_SG_SL_E_clIS9_SA_SB_SB_EEDaSZ_S10_SG_SL_EUlSZ_E_NS1_11comp_targetILNS1_3genE10ELNS1_11target_archE1201ELNS1_3gpuE5ELNS1_3repE0EEENS1_47radix_sort_onesweep_sort_config_static_selectorELNS0_4arch9wavefront6targetE0EEEvSG_
; %bb.0:
	.section	.rodata,"a",@progbits
	.p2align	6, 0x0
	.amdhsa_kernel _ZN7rocprim17ROCPRIM_400000_NS6detail17trampoline_kernelINS0_14default_configENS1_35radix_sort_onesweep_config_selectorIhNS0_10empty_typeEEEZZNS1_29radix_sort_onesweep_iterationIS3_Lb0EPKhPhPS5_SB_mNS0_19identity_decomposerENS1_16block_id_wrapperIjLb1EEEEE10hipError_tT1_PNSt15iterator_traitsISG_E10value_typeET2_T3_PNSH_ISM_E10value_typeET4_T5_PSR_SS_PNS1_23onesweep_lookback_stateEbbT6_jjT7_P12ihipStream_tbENKUlT_T0_SG_SL_E_clIS9_SA_SB_SB_EEDaSZ_S10_SG_SL_EUlSZ_E_NS1_11comp_targetILNS1_3genE10ELNS1_11target_archE1201ELNS1_3gpuE5ELNS1_3repE0EEENS1_47radix_sort_onesweep_sort_config_static_selectorELNS0_4arch9wavefront6targetE0EEEvSG_
		.amdhsa_group_segment_fixed_size 0
		.amdhsa_private_segment_fixed_size 0
		.amdhsa_kernarg_size 88
		.amdhsa_user_sgpr_count 2
		.amdhsa_user_sgpr_dispatch_ptr 0
		.amdhsa_user_sgpr_queue_ptr 0
		.amdhsa_user_sgpr_kernarg_segment_ptr 1
		.amdhsa_user_sgpr_dispatch_id 0
		.amdhsa_user_sgpr_kernarg_preload_length 0
		.amdhsa_user_sgpr_kernarg_preload_offset 0
		.amdhsa_user_sgpr_private_segment_size 0
		.amdhsa_wavefront_size32 1
		.amdhsa_uses_dynamic_stack 0
		.amdhsa_enable_private_segment 0
		.amdhsa_system_sgpr_workgroup_id_x 1
		.amdhsa_system_sgpr_workgroup_id_y 0
		.amdhsa_system_sgpr_workgroup_id_z 0
		.amdhsa_system_sgpr_workgroup_info 0
		.amdhsa_system_vgpr_workitem_id 0
		.amdhsa_next_free_vgpr 1
		.amdhsa_next_free_sgpr 1
		.amdhsa_named_barrier_count 0
		.amdhsa_reserve_vcc 0
		.amdhsa_float_round_mode_32 0
		.amdhsa_float_round_mode_16_64 0
		.amdhsa_float_denorm_mode_32 3
		.amdhsa_float_denorm_mode_16_64 3
		.amdhsa_fp16_overflow 0
		.amdhsa_memory_ordered 1
		.amdhsa_forward_progress 1
		.amdhsa_inst_pref_size 0
		.amdhsa_round_robin_scheduling 0
		.amdhsa_exception_fp_ieee_invalid_op 0
		.amdhsa_exception_fp_denorm_src 0
		.amdhsa_exception_fp_ieee_div_zero 0
		.amdhsa_exception_fp_ieee_overflow 0
		.amdhsa_exception_fp_ieee_underflow 0
		.amdhsa_exception_fp_ieee_inexact 0
		.amdhsa_exception_int_div_zero 0
	.end_amdhsa_kernel
	.section	.text._ZN7rocprim17ROCPRIM_400000_NS6detail17trampoline_kernelINS0_14default_configENS1_35radix_sort_onesweep_config_selectorIhNS0_10empty_typeEEEZZNS1_29radix_sort_onesweep_iterationIS3_Lb0EPKhPhPS5_SB_mNS0_19identity_decomposerENS1_16block_id_wrapperIjLb1EEEEE10hipError_tT1_PNSt15iterator_traitsISG_E10value_typeET2_T3_PNSH_ISM_E10value_typeET4_T5_PSR_SS_PNS1_23onesweep_lookback_stateEbbT6_jjT7_P12ihipStream_tbENKUlT_T0_SG_SL_E_clIS9_SA_SB_SB_EEDaSZ_S10_SG_SL_EUlSZ_E_NS1_11comp_targetILNS1_3genE10ELNS1_11target_archE1201ELNS1_3gpuE5ELNS1_3repE0EEENS1_47radix_sort_onesweep_sort_config_static_selectorELNS0_4arch9wavefront6targetE0EEEvSG_,"axG",@progbits,_ZN7rocprim17ROCPRIM_400000_NS6detail17trampoline_kernelINS0_14default_configENS1_35radix_sort_onesweep_config_selectorIhNS0_10empty_typeEEEZZNS1_29radix_sort_onesweep_iterationIS3_Lb0EPKhPhPS5_SB_mNS0_19identity_decomposerENS1_16block_id_wrapperIjLb1EEEEE10hipError_tT1_PNSt15iterator_traitsISG_E10value_typeET2_T3_PNSH_ISM_E10value_typeET4_T5_PSR_SS_PNS1_23onesweep_lookback_stateEbbT6_jjT7_P12ihipStream_tbENKUlT_T0_SG_SL_E_clIS9_SA_SB_SB_EEDaSZ_S10_SG_SL_EUlSZ_E_NS1_11comp_targetILNS1_3genE10ELNS1_11target_archE1201ELNS1_3gpuE5ELNS1_3repE0EEENS1_47radix_sort_onesweep_sort_config_static_selectorELNS0_4arch9wavefront6targetE0EEEvSG_,comdat
.Lfunc_end225:
	.size	_ZN7rocprim17ROCPRIM_400000_NS6detail17trampoline_kernelINS0_14default_configENS1_35radix_sort_onesweep_config_selectorIhNS0_10empty_typeEEEZZNS1_29radix_sort_onesweep_iterationIS3_Lb0EPKhPhPS5_SB_mNS0_19identity_decomposerENS1_16block_id_wrapperIjLb1EEEEE10hipError_tT1_PNSt15iterator_traitsISG_E10value_typeET2_T3_PNSH_ISM_E10value_typeET4_T5_PSR_SS_PNS1_23onesweep_lookback_stateEbbT6_jjT7_P12ihipStream_tbENKUlT_T0_SG_SL_E_clIS9_SA_SB_SB_EEDaSZ_S10_SG_SL_EUlSZ_E_NS1_11comp_targetILNS1_3genE10ELNS1_11target_archE1201ELNS1_3gpuE5ELNS1_3repE0EEENS1_47radix_sort_onesweep_sort_config_static_selectorELNS0_4arch9wavefront6targetE0EEEvSG_, .Lfunc_end225-_ZN7rocprim17ROCPRIM_400000_NS6detail17trampoline_kernelINS0_14default_configENS1_35radix_sort_onesweep_config_selectorIhNS0_10empty_typeEEEZZNS1_29radix_sort_onesweep_iterationIS3_Lb0EPKhPhPS5_SB_mNS0_19identity_decomposerENS1_16block_id_wrapperIjLb1EEEEE10hipError_tT1_PNSt15iterator_traitsISG_E10value_typeET2_T3_PNSH_ISM_E10value_typeET4_T5_PSR_SS_PNS1_23onesweep_lookback_stateEbbT6_jjT7_P12ihipStream_tbENKUlT_T0_SG_SL_E_clIS9_SA_SB_SB_EEDaSZ_S10_SG_SL_EUlSZ_E_NS1_11comp_targetILNS1_3genE10ELNS1_11target_archE1201ELNS1_3gpuE5ELNS1_3repE0EEENS1_47radix_sort_onesweep_sort_config_static_selectorELNS0_4arch9wavefront6targetE0EEEvSG_
                                        ; -- End function
	.set _ZN7rocprim17ROCPRIM_400000_NS6detail17trampoline_kernelINS0_14default_configENS1_35radix_sort_onesweep_config_selectorIhNS0_10empty_typeEEEZZNS1_29radix_sort_onesweep_iterationIS3_Lb0EPKhPhPS5_SB_mNS0_19identity_decomposerENS1_16block_id_wrapperIjLb1EEEEE10hipError_tT1_PNSt15iterator_traitsISG_E10value_typeET2_T3_PNSH_ISM_E10value_typeET4_T5_PSR_SS_PNS1_23onesweep_lookback_stateEbbT6_jjT7_P12ihipStream_tbENKUlT_T0_SG_SL_E_clIS9_SA_SB_SB_EEDaSZ_S10_SG_SL_EUlSZ_E_NS1_11comp_targetILNS1_3genE10ELNS1_11target_archE1201ELNS1_3gpuE5ELNS1_3repE0EEENS1_47radix_sort_onesweep_sort_config_static_selectorELNS0_4arch9wavefront6targetE0EEEvSG_.num_vgpr, 0
	.set _ZN7rocprim17ROCPRIM_400000_NS6detail17trampoline_kernelINS0_14default_configENS1_35radix_sort_onesweep_config_selectorIhNS0_10empty_typeEEEZZNS1_29radix_sort_onesweep_iterationIS3_Lb0EPKhPhPS5_SB_mNS0_19identity_decomposerENS1_16block_id_wrapperIjLb1EEEEE10hipError_tT1_PNSt15iterator_traitsISG_E10value_typeET2_T3_PNSH_ISM_E10value_typeET4_T5_PSR_SS_PNS1_23onesweep_lookback_stateEbbT6_jjT7_P12ihipStream_tbENKUlT_T0_SG_SL_E_clIS9_SA_SB_SB_EEDaSZ_S10_SG_SL_EUlSZ_E_NS1_11comp_targetILNS1_3genE10ELNS1_11target_archE1201ELNS1_3gpuE5ELNS1_3repE0EEENS1_47radix_sort_onesweep_sort_config_static_selectorELNS0_4arch9wavefront6targetE0EEEvSG_.num_agpr, 0
	.set _ZN7rocprim17ROCPRIM_400000_NS6detail17trampoline_kernelINS0_14default_configENS1_35radix_sort_onesweep_config_selectorIhNS0_10empty_typeEEEZZNS1_29radix_sort_onesweep_iterationIS3_Lb0EPKhPhPS5_SB_mNS0_19identity_decomposerENS1_16block_id_wrapperIjLb1EEEEE10hipError_tT1_PNSt15iterator_traitsISG_E10value_typeET2_T3_PNSH_ISM_E10value_typeET4_T5_PSR_SS_PNS1_23onesweep_lookback_stateEbbT6_jjT7_P12ihipStream_tbENKUlT_T0_SG_SL_E_clIS9_SA_SB_SB_EEDaSZ_S10_SG_SL_EUlSZ_E_NS1_11comp_targetILNS1_3genE10ELNS1_11target_archE1201ELNS1_3gpuE5ELNS1_3repE0EEENS1_47radix_sort_onesweep_sort_config_static_selectorELNS0_4arch9wavefront6targetE0EEEvSG_.numbered_sgpr, 0
	.set _ZN7rocprim17ROCPRIM_400000_NS6detail17trampoline_kernelINS0_14default_configENS1_35radix_sort_onesweep_config_selectorIhNS0_10empty_typeEEEZZNS1_29radix_sort_onesweep_iterationIS3_Lb0EPKhPhPS5_SB_mNS0_19identity_decomposerENS1_16block_id_wrapperIjLb1EEEEE10hipError_tT1_PNSt15iterator_traitsISG_E10value_typeET2_T3_PNSH_ISM_E10value_typeET4_T5_PSR_SS_PNS1_23onesweep_lookback_stateEbbT6_jjT7_P12ihipStream_tbENKUlT_T0_SG_SL_E_clIS9_SA_SB_SB_EEDaSZ_S10_SG_SL_EUlSZ_E_NS1_11comp_targetILNS1_3genE10ELNS1_11target_archE1201ELNS1_3gpuE5ELNS1_3repE0EEENS1_47radix_sort_onesweep_sort_config_static_selectorELNS0_4arch9wavefront6targetE0EEEvSG_.num_named_barrier, 0
	.set _ZN7rocprim17ROCPRIM_400000_NS6detail17trampoline_kernelINS0_14default_configENS1_35radix_sort_onesweep_config_selectorIhNS0_10empty_typeEEEZZNS1_29radix_sort_onesweep_iterationIS3_Lb0EPKhPhPS5_SB_mNS0_19identity_decomposerENS1_16block_id_wrapperIjLb1EEEEE10hipError_tT1_PNSt15iterator_traitsISG_E10value_typeET2_T3_PNSH_ISM_E10value_typeET4_T5_PSR_SS_PNS1_23onesweep_lookback_stateEbbT6_jjT7_P12ihipStream_tbENKUlT_T0_SG_SL_E_clIS9_SA_SB_SB_EEDaSZ_S10_SG_SL_EUlSZ_E_NS1_11comp_targetILNS1_3genE10ELNS1_11target_archE1201ELNS1_3gpuE5ELNS1_3repE0EEENS1_47radix_sort_onesweep_sort_config_static_selectorELNS0_4arch9wavefront6targetE0EEEvSG_.private_seg_size, 0
	.set _ZN7rocprim17ROCPRIM_400000_NS6detail17trampoline_kernelINS0_14default_configENS1_35radix_sort_onesweep_config_selectorIhNS0_10empty_typeEEEZZNS1_29radix_sort_onesweep_iterationIS3_Lb0EPKhPhPS5_SB_mNS0_19identity_decomposerENS1_16block_id_wrapperIjLb1EEEEE10hipError_tT1_PNSt15iterator_traitsISG_E10value_typeET2_T3_PNSH_ISM_E10value_typeET4_T5_PSR_SS_PNS1_23onesweep_lookback_stateEbbT6_jjT7_P12ihipStream_tbENKUlT_T0_SG_SL_E_clIS9_SA_SB_SB_EEDaSZ_S10_SG_SL_EUlSZ_E_NS1_11comp_targetILNS1_3genE10ELNS1_11target_archE1201ELNS1_3gpuE5ELNS1_3repE0EEENS1_47radix_sort_onesweep_sort_config_static_selectorELNS0_4arch9wavefront6targetE0EEEvSG_.uses_vcc, 0
	.set _ZN7rocprim17ROCPRIM_400000_NS6detail17trampoline_kernelINS0_14default_configENS1_35radix_sort_onesweep_config_selectorIhNS0_10empty_typeEEEZZNS1_29radix_sort_onesweep_iterationIS3_Lb0EPKhPhPS5_SB_mNS0_19identity_decomposerENS1_16block_id_wrapperIjLb1EEEEE10hipError_tT1_PNSt15iterator_traitsISG_E10value_typeET2_T3_PNSH_ISM_E10value_typeET4_T5_PSR_SS_PNS1_23onesweep_lookback_stateEbbT6_jjT7_P12ihipStream_tbENKUlT_T0_SG_SL_E_clIS9_SA_SB_SB_EEDaSZ_S10_SG_SL_EUlSZ_E_NS1_11comp_targetILNS1_3genE10ELNS1_11target_archE1201ELNS1_3gpuE5ELNS1_3repE0EEENS1_47radix_sort_onesweep_sort_config_static_selectorELNS0_4arch9wavefront6targetE0EEEvSG_.uses_flat_scratch, 0
	.set _ZN7rocprim17ROCPRIM_400000_NS6detail17trampoline_kernelINS0_14default_configENS1_35radix_sort_onesweep_config_selectorIhNS0_10empty_typeEEEZZNS1_29radix_sort_onesweep_iterationIS3_Lb0EPKhPhPS5_SB_mNS0_19identity_decomposerENS1_16block_id_wrapperIjLb1EEEEE10hipError_tT1_PNSt15iterator_traitsISG_E10value_typeET2_T3_PNSH_ISM_E10value_typeET4_T5_PSR_SS_PNS1_23onesweep_lookback_stateEbbT6_jjT7_P12ihipStream_tbENKUlT_T0_SG_SL_E_clIS9_SA_SB_SB_EEDaSZ_S10_SG_SL_EUlSZ_E_NS1_11comp_targetILNS1_3genE10ELNS1_11target_archE1201ELNS1_3gpuE5ELNS1_3repE0EEENS1_47radix_sort_onesweep_sort_config_static_selectorELNS0_4arch9wavefront6targetE0EEEvSG_.has_dyn_sized_stack, 0
	.set _ZN7rocprim17ROCPRIM_400000_NS6detail17trampoline_kernelINS0_14default_configENS1_35radix_sort_onesweep_config_selectorIhNS0_10empty_typeEEEZZNS1_29radix_sort_onesweep_iterationIS3_Lb0EPKhPhPS5_SB_mNS0_19identity_decomposerENS1_16block_id_wrapperIjLb1EEEEE10hipError_tT1_PNSt15iterator_traitsISG_E10value_typeET2_T3_PNSH_ISM_E10value_typeET4_T5_PSR_SS_PNS1_23onesweep_lookback_stateEbbT6_jjT7_P12ihipStream_tbENKUlT_T0_SG_SL_E_clIS9_SA_SB_SB_EEDaSZ_S10_SG_SL_EUlSZ_E_NS1_11comp_targetILNS1_3genE10ELNS1_11target_archE1201ELNS1_3gpuE5ELNS1_3repE0EEENS1_47radix_sort_onesweep_sort_config_static_selectorELNS0_4arch9wavefront6targetE0EEEvSG_.has_recursion, 0
	.set _ZN7rocprim17ROCPRIM_400000_NS6detail17trampoline_kernelINS0_14default_configENS1_35radix_sort_onesweep_config_selectorIhNS0_10empty_typeEEEZZNS1_29radix_sort_onesweep_iterationIS3_Lb0EPKhPhPS5_SB_mNS0_19identity_decomposerENS1_16block_id_wrapperIjLb1EEEEE10hipError_tT1_PNSt15iterator_traitsISG_E10value_typeET2_T3_PNSH_ISM_E10value_typeET4_T5_PSR_SS_PNS1_23onesweep_lookback_stateEbbT6_jjT7_P12ihipStream_tbENKUlT_T0_SG_SL_E_clIS9_SA_SB_SB_EEDaSZ_S10_SG_SL_EUlSZ_E_NS1_11comp_targetILNS1_3genE10ELNS1_11target_archE1201ELNS1_3gpuE5ELNS1_3repE0EEENS1_47radix_sort_onesweep_sort_config_static_selectorELNS0_4arch9wavefront6targetE0EEEvSG_.has_indirect_call, 0
	.section	.AMDGPU.csdata,"",@progbits
; Kernel info:
; codeLenInByte = 0
; TotalNumSgprs: 0
; NumVgprs: 0
; ScratchSize: 0
; MemoryBound: 0
; FloatMode: 240
; IeeeMode: 1
; LDSByteSize: 0 bytes/workgroup (compile time only)
; SGPRBlocks: 0
; VGPRBlocks: 0
; NumSGPRsForWavesPerEU: 1
; NumVGPRsForWavesPerEU: 1
; NamedBarCnt: 0
; Occupancy: 16
; WaveLimiterHint : 0
; COMPUTE_PGM_RSRC2:SCRATCH_EN: 0
; COMPUTE_PGM_RSRC2:USER_SGPR: 2
; COMPUTE_PGM_RSRC2:TRAP_HANDLER: 0
; COMPUTE_PGM_RSRC2:TGID_X_EN: 1
; COMPUTE_PGM_RSRC2:TGID_Y_EN: 0
; COMPUTE_PGM_RSRC2:TGID_Z_EN: 0
; COMPUTE_PGM_RSRC2:TIDIG_COMP_CNT: 0
	.section	.text._ZN7rocprim17ROCPRIM_400000_NS6detail17trampoline_kernelINS0_14default_configENS1_35radix_sort_onesweep_config_selectorIhNS0_10empty_typeEEEZZNS1_29radix_sort_onesweep_iterationIS3_Lb0EPKhPhPS5_SB_mNS0_19identity_decomposerENS1_16block_id_wrapperIjLb1EEEEE10hipError_tT1_PNSt15iterator_traitsISG_E10value_typeET2_T3_PNSH_ISM_E10value_typeET4_T5_PSR_SS_PNS1_23onesweep_lookback_stateEbbT6_jjT7_P12ihipStream_tbENKUlT_T0_SG_SL_E_clIS9_SA_SB_SB_EEDaSZ_S10_SG_SL_EUlSZ_E_NS1_11comp_targetILNS1_3genE9ELNS1_11target_archE1100ELNS1_3gpuE3ELNS1_3repE0EEENS1_47radix_sort_onesweep_sort_config_static_selectorELNS0_4arch9wavefront6targetE0EEEvSG_,"axG",@progbits,_ZN7rocprim17ROCPRIM_400000_NS6detail17trampoline_kernelINS0_14default_configENS1_35radix_sort_onesweep_config_selectorIhNS0_10empty_typeEEEZZNS1_29radix_sort_onesweep_iterationIS3_Lb0EPKhPhPS5_SB_mNS0_19identity_decomposerENS1_16block_id_wrapperIjLb1EEEEE10hipError_tT1_PNSt15iterator_traitsISG_E10value_typeET2_T3_PNSH_ISM_E10value_typeET4_T5_PSR_SS_PNS1_23onesweep_lookback_stateEbbT6_jjT7_P12ihipStream_tbENKUlT_T0_SG_SL_E_clIS9_SA_SB_SB_EEDaSZ_S10_SG_SL_EUlSZ_E_NS1_11comp_targetILNS1_3genE9ELNS1_11target_archE1100ELNS1_3gpuE3ELNS1_3repE0EEENS1_47radix_sort_onesweep_sort_config_static_selectorELNS0_4arch9wavefront6targetE0EEEvSG_,comdat
	.protected	_ZN7rocprim17ROCPRIM_400000_NS6detail17trampoline_kernelINS0_14default_configENS1_35radix_sort_onesweep_config_selectorIhNS0_10empty_typeEEEZZNS1_29radix_sort_onesweep_iterationIS3_Lb0EPKhPhPS5_SB_mNS0_19identity_decomposerENS1_16block_id_wrapperIjLb1EEEEE10hipError_tT1_PNSt15iterator_traitsISG_E10value_typeET2_T3_PNSH_ISM_E10value_typeET4_T5_PSR_SS_PNS1_23onesweep_lookback_stateEbbT6_jjT7_P12ihipStream_tbENKUlT_T0_SG_SL_E_clIS9_SA_SB_SB_EEDaSZ_S10_SG_SL_EUlSZ_E_NS1_11comp_targetILNS1_3genE9ELNS1_11target_archE1100ELNS1_3gpuE3ELNS1_3repE0EEENS1_47radix_sort_onesweep_sort_config_static_selectorELNS0_4arch9wavefront6targetE0EEEvSG_ ; -- Begin function _ZN7rocprim17ROCPRIM_400000_NS6detail17trampoline_kernelINS0_14default_configENS1_35radix_sort_onesweep_config_selectorIhNS0_10empty_typeEEEZZNS1_29radix_sort_onesweep_iterationIS3_Lb0EPKhPhPS5_SB_mNS0_19identity_decomposerENS1_16block_id_wrapperIjLb1EEEEE10hipError_tT1_PNSt15iterator_traitsISG_E10value_typeET2_T3_PNSH_ISM_E10value_typeET4_T5_PSR_SS_PNS1_23onesweep_lookback_stateEbbT6_jjT7_P12ihipStream_tbENKUlT_T0_SG_SL_E_clIS9_SA_SB_SB_EEDaSZ_S10_SG_SL_EUlSZ_E_NS1_11comp_targetILNS1_3genE9ELNS1_11target_archE1100ELNS1_3gpuE3ELNS1_3repE0EEENS1_47radix_sort_onesweep_sort_config_static_selectorELNS0_4arch9wavefront6targetE0EEEvSG_
	.globl	_ZN7rocprim17ROCPRIM_400000_NS6detail17trampoline_kernelINS0_14default_configENS1_35radix_sort_onesweep_config_selectorIhNS0_10empty_typeEEEZZNS1_29radix_sort_onesweep_iterationIS3_Lb0EPKhPhPS5_SB_mNS0_19identity_decomposerENS1_16block_id_wrapperIjLb1EEEEE10hipError_tT1_PNSt15iterator_traitsISG_E10value_typeET2_T3_PNSH_ISM_E10value_typeET4_T5_PSR_SS_PNS1_23onesweep_lookback_stateEbbT6_jjT7_P12ihipStream_tbENKUlT_T0_SG_SL_E_clIS9_SA_SB_SB_EEDaSZ_S10_SG_SL_EUlSZ_E_NS1_11comp_targetILNS1_3genE9ELNS1_11target_archE1100ELNS1_3gpuE3ELNS1_3repE0EEENS1_47radix_sort_onesweep_sort_config_static_selectorELNS0_4arch9wavefront6targetE0EEEvSG_
	.p2align	8
	.type	_ZN7rocprim17ROCPRIM_400000_NS6detail17trampoline_kernelINS0_14default_configENS1_35radix_sort_onesweep_config_selectorIhNS0_10empty_typeEEEZZNS1_29radix_sort_onesweep_iterationIS3_Lb0EPKhPhPS5_SB_mNS0_19identity_decomposerENS1_16block_id_wrapperIjLb1EEEEE10hipError_tT1_PNSt15iterator_traitsISG_E10value_typeET2_T3_PNSH_ISM_E10value_typeET4_T5_PSR_SS_PNS1_23onesweep_lookback_stateEbbT6_jjT7_P12ihipStream_tbENKUlT_T0_SG_SL_E_clIS9_SA_SB_SB_EEDaSZ_S10_SG_SL_EUlSZ_E_NS1_11comp_targetILNS1_3genE9ELNS1_11target_archE1100ELNS1_3gpuE3ELNS1_3repE0EEENS1_47radix_sort_onesweep_sort_config_static_selectorELNS0_4arch9wavefront6targetE0EEEvSG_,@function
_ZN7rocprim17ROCPRIM_400000_NS6detail17trampoline_kernelINS0_14default_configENS1_35radix_sort_onesweep_config_selectorIhNS0_10empty_typeEEEZZNS1_29radix_sort_onesweep_iterationIS3_Lb0EPKhPhPS5_SB_mNS0_19identity_decomposerENS1_16block_id_wrapperIjLb1EEEEE10hipError_tT1_PNSt15iterator_traitsISG_E10value_typeET2_T3_PNSH_ISM_E10value_typeET4_T5_PSR_SS_PNS1_23onesweep_lookback_stateEbbT6_jjT7_P12ihipStream_tbENKUlT_T0_SG_SL_E_clIS9_SA_SB_SB_EEDaSZ_S10_SG_SL_EUlSZ_E_NS1_11comp_targetILNS1_3genE9ELNS1_11target_archE1100ELNS1_3gpuE3ELNS1_3repE0EEENS1_47radix_sort_onesweep_sort_config_static_selectorELNS0_4arch9wavefront6targetE0EEEvSG_: ; @_ZN7rocprim17ROCPRIM_400000_NS6detail17trampoline_kernelINS0_14default_configENS1_35radix_sort_onesweep_config_selectorIhNS0_10empty_typeEEEZZNS1_29radix_sort_onesweep_iterationIS3_Lb0EPKhPhPS5_SB_mNS0_19identity_decomposerENS1_16block_id_wrapperIjLb1EEEEE10hipError_tT1_PNSt15iterator_traitsISG_E10value_typeET2_T3_PNSH_ISM_E10value_typeET4_T5_PSR_SS_PNS1_23onesweep_lookback_stateEbbT6_jjT7_P12ihipStream_tbENKUlT_T0_SG_SL_E_clIS9_SA_SB_SB_EEDaSZ_S10_SG_SL_EUlSZ_E_NS1_11comp_targetILNS1_3genE9ELNS1_11target_archE1100ELNS1_3gpuE3ELNS1_3repE0EEENS1_47radix_sort_onesweep_sort_config_static_selectorELNS0_4arch9wavefront6targetE0EEEvSG_
; %bb.0:
	.section	.rodata,"a",@progbits
	.p2align	6, 0x0
	.amdhsa_kernel _ZN7rocprim17ROCPRIM_400000_NS6detail17trampoline_kernelINS0_14default_configENS1_35radix_sort_onesweep_config_selectorIhNS0_10empty_typeEEEZZNS1_29radix_sort_onesweep_iterationIS3_Lb0EPKhPhPS5_SB_mNS0_19identity_decomposerENS1_16block_id_wrapperIjLb1EEEEE10hipError_tT1_PNSt15iterator_traitsISG_E10value_typeET2_T3_PNSH_ISM_E10value_typeET4_T5_PSR_SS_PNS1_23onesweep_lookback_stateEbbT6_jjT7_P12ihipStream_tbENKUlT_T0_SG_SL_E_clIS9_SA_SB_SB_EEDaSZ_S10_SG_SL_EUlSZ_E_NS1_11comp_targetILNS1_3genE9ELNS1_11target_archE1100ELNS1_3gpuE3ELNS1_3repE0EEENS1_47radix_sort_onesweep_sort_config_static_selectorELNS0_4arch9wavefront6targetE0EEEvSG_
		.amdhsa_group_segment_fixed_size 0
		.amdhsa_private_segment_fixed_size 0
		.amdhsa_kernarg_size 88
		.amdhsa_user_sgpr_count 2
		.amdhsa_user_sgpr_dispatch_ptr 0
		.amdhsa_user_sgpr_queue_ptr 0
		.amdhsa_user_sgpr_kernarg_segment_ptr 1
		.amdhsa_user_sgpr_dispatch_id 0
		.amdhsa_user_sgpr_kernarg_preload_length 0
		.amdhsa_user_sgpr_kernarg_preload_offset 0
		.amdhsa_user_sgpr_private_segment_size 0
		.amdhsa_wavefront_size32 1
		.amdhsa_uses_dynamic_stack 0
		.amdhsa_enable_private_segment 0
		.amdhsa_system_sgpr_workgroup_id_x 1
		.amdhsa_system_sgpr_workgroup_id_y 0
		.amdhsa_system_sgpr_workgroup_id_z 0
		.amdhsa_system_sgpr_workgroup_info 0
		.amdhsa_system_vgpr_workitem_id 0
		.amdhsa_next_free_vgpr 1
		.amdhsa_next_free_sgpr 1
		.amdhsa_named_barrier_count 0
		.amdhsa_reserve_vcc 0
		.amdhsa_float_round_mode_32 0
		.amdhsa_float_round_mode_16_64 0
		.amdhsa_float_denorm_mode_32 3
		.amdhsa_float_denorm_mode_16_64 3
		.amdhsa_fp16_overflow 0
		.amdhsa_memory_ordered 1
		.amdhsa_forward_progress 1
		.amdhsa_inst_pref_size 0
		.amdhsa_round_robin_scheduling 0
		.amdhsa_exception_fp_ieee_invalid_op 0
		.amdhsa_exception_fp_denorm_src 0
		.amdhsa_exception_fp_ieee_div_zero 0
		.amdhsa_exception_fp_ieee_overflow 0
		.amdhsa_exception_fp_ieee_underflow 0
		.amdhsa_exception_fp_ieee_inexact 0
		.amdhsa_exception_int_div_zero 0
	.end_amdhsa_kernel
	.section	.text._ZN7rocprim17ROCPRIM_400000_NS6detail17trampoline_kernelINS0_14default_configENS1_35radix_sort_onesweep_config_selectorIhNS0_10empty_typeEEEZZNS1_29radix_sort_onesweep_iterationIS3_Lb0EPKhPhPS5_SB_mNS0_19identity_decomposerENS1_16block_id_wrapperIjLb1EEEEE10hipError_tT1_PNSt15iterator_traitsISG_E10value_typeET2_T3_PNSH_ISM_E10value_typeET4_T5_PSR_SS_PNS1_23onesweep_lookback_stateEbbT6_jjT7_P12ihipStream_tbENKUlT_T0_SG_SL_E_clIS9_SA_SB_SB_EEDaSZ_S10_SG_SL_EUlSZ_E_NS1_11comp_targetILNS1_3genE9ELNS1_11target_archE1100ELNS1_3gpuE3ELNS1_3repE0EEENS1_47radix_sort_onesweep_sort_config_static_selectorELNS0_4arch9wavefront6targetE0EEEvSG_,"axG",@progbits,_ZN7rocprim17ROCPRIM_400000_NS6detail17trampoline_kernelINS0_14default_configENS1_35radix_sort_onesweep_config_selectorIhNS0_10empty_typeEEEZZNS1_29radix_sort_onesweep_iterationIS3_Lb0EPKhPhPS5_SB_mNS0_19identity_decomposerENS1_16block_id_wrapperIjLb1EEEEE10hipError_tT1_PNSt15iterator_traitsISG_E10value_typeET2_T3_PNSH_ISM_E10value_typeET4_T5_PSR_SS_PNS1_23onesweep_lookback_stateEbbT6_jjT7_P12ihipStream_tbENKUlT_T0_SG_SL_E_clIS9_SA_SB_SB_EEDaSZ_S10_SG_SL_EUlSZ_E_NS1_11comp_targetILNS1_3genE9ELNS1_11target_archE1100ELNS1_3gpuE3ELNS1_3repE0EEENS1_47radix_sort_onesweep_sort_config_static_selectorELNS0_4arch9wavefront6targetE0EEEvSG_,comdat
.Lfunc_end226:
	.size	_ZN7rocprim17ROCPRIM_400000_NS6detail17trampoline_kernelINS0_14default_configENS1_35radix_sort_onesweep_config_selectorIhNS0_10empty_typeEEEZZNS1_29radix_sort_onesweep_iterationIS3_Lb0EPKhPhPS5_SB_mNS0_19identity_decomposerENS1_16block_id_wrapperIjLb1EEEEE10hipError_tT1_PNSt15iterator_traitsISG_E10value_typeET2_T3_PNSH_ISM_E10value_typeET4_T5_PSR_SS_PNS1_23onesweep_lookback_stateEbbT6_jjT7_P12ihipStream_tbENKUlT_T0_SG_SL_E_clIS9_SA_SB_SB_EEDaSZ_S10_SG_SL_EUlSZ_E_NS1_11comp_targetILNS1_3genE9ELNS1_11target_archE1100ELNS1_3gpuE3ELNS1_3repE0EEENS1_47radix_sort_onesweep_sort_config_static_selectorELNS0_4arch9wavefront6targetE0EEEvSG_, .Lfunc_end226-_ZN7rocprim17ROCPRIM_400000_NS6detail17trampoline_kernelINS0_14default_configENS1_35radix_sort_onesweep_config_selectorIhNS0_10empty_typeEEEZZNS1_29radix_sort_onesweep_iterationIS3_Lb0EPKhPhPS5_SB_mNS0_19identity_decomposerENS1_16block_id_wrapperIjLb1EEEEE10hipError_tT1_PNSt15iterator_traitsISG_E10value_typeET2_T3_PNSH_ISM_E10value_typeET4_T5_PSR_SS_PNS1_23onesweep_lookback_stateEbbT6_jjT7_P12ihipStream_tbENKUlT_T0_SG_SL_E_clIS9_SA_SB_SB_EEDaSZ_S10_SG_SL_EUlSZ_E_NS1_11comp_targetILNS1_3genE9ELNS1_11target_archE1100ELNS1_3gpuE3ELNS1_3repE0EEENS1_47radix_sort_onesweep_sort_config_static_selectorELNS0_4arch9wavefront6targetE0EEEvSG_
                                        ; -- End function
	.set _ZN7rocprim17ROCPRIM_400000_NS6detail17trampoline_kernelINS0_14default_configENS1_35radix_sort_onesweep_config_selectorIhNS0_10empty_typeEEEZZNS1_29radix_sort_onesweep_iterationIS3_Lb0EPKhPhPS5_SB_mNS0_19identity_decomposerENS1_16block_id_wrapperIjLb1EEEEE10hipError_tT1_PNSt15iterator_traitsISG_E10value_typeET2_T3_PNSH_ISM_E10value_typeET4_T5_PSR_SS_PNS1_23onesweep_lookback_stateEbbT6_jjT7_P12ihipStream_tbENKUlT_T0_SG_SL_E_clIS9_SA_SB_SB_EEDaSZ_S10_SG_SL_EUlSZ_E_NS1_11comp_targetILNS1_3genE9ELNS1_11target_archE1100ELNS1_3gpuE3ELNS1_3repE0EEENS1_47radix_sort_onesweep_sort_config_static_selectorELNS0_4arch9wavefront6targetE0EEEvSG_.num_vgpr, 0
	.set _ZN7rocprim17ROCPRIM_400000_NS6detail17trampoline_kernelINS0_14default_configENS1_35radix_sort_onesweep_config_selectorIhNS0_10empty_typeEEEZZNS1_29radix_sort_onesweep_iterationIS3_Lb0EPKhPhPS5_SB_mNS0_19identity_decomposerENS1_16block_id_wrapperIjLb1EEEEE10hipError_tT1_PNSt15iterator_traitsISG_E10value_typeET2_T3_PNSH_ISM_E10value_typeET4_T5_PSR_SS_PNS1_23onesweep_lookback_stateEbbT6_jjT7_P12ihipStream_tbENKUlT_T0_SG_SL_E_clIS9_SA_SB_SB_EEDaSZ_S10_SG_SL_EUlSZ_E_NS1_11comp_targetILNS1_3genE9ELNS1_11target_archE1100ELNS1_3gpuE3ELNS1_3repE0EEENS1_47radix_sort_onesweep_sort_config_static_selectorELNS0_4arch9wavefront6targetE0EEEvSG_.num_agpr, 0
	.set _ZN7rocprim17ROCPRIM_400000_NS6detail17trampoline_kernelINS0_14default_configENS1_35radix_sort_onesweep_config_selectorIhNS0_10empty_typeEEEZZNS1_29radix_sort_onesweep_iterationIS3_Lb0EPKhPhPS5_SB_mNS0_19identity_decomposerENS1_16block_id_wrapperIjLb1EEEEE10hipError_tT1_PNSt15iterator_traitsISG_E10value_typeET2_T3_PNSH_ISM_E10value_typeET4_T5_PSR_SS_PNS1_23onesweep_lookback_stateEbbT6_jjT7_P12ihipStream_tbENKUlT_T0_SG_SL_E_clIS9_SA_SB_SB_EEDaSZ_S10_SG_SL_EUlSZ_E_NS1_11comp_targetILNS1_3genE9ELNS1_11target_archE1100ELNS1_3gpuE3ELNS1_3repE0EEENS1_47radix_sort_onesweep_sort_config_static_selectorELNS0_4arch9wavefront6targetE0EEEvSG_.numbered_sgpr, 0
	.set _ZN7rocprim17ROCPRIM_400000_NS6detail17trampoline_kernelINS0_14default_configENS1_35radix_sort_onesweep_config_selectorIhNS0_10empty_typeEEEZZNS1_29radix_sort_onesweep_iterationIS3_Lb0EPKhPhPS5_SB_mNS0_19identity_decomposerENS1_16block_id_wrapperIjLb1EEEEE10hipError_tT1_PNSt15iterator_traitsISG_E10value_typeET2_T3_PNSH_ISM_E10value_typeET4_T5_PSR_SS_PNS1_23onesweep_lookback_stateEbbT6_jjT7_P12ihipStream_tbENKUlT_T0_SG_SL_E_clIS9_SA_SB_SB_EEDaSZ_S10_SG_SL_EUlSZ_E_NS1_11comp_targetILNS1_3genE9ELNS1_11target_archE1100ELNS1_3gpuE3ELNS1_3repE0EEENS1_47radix_sort_onesweep_sort_config_static_selectorELNS0_4arch9wavefront6targetE0EEEvSG_.num_named_barrier, 0
	.set _ZN7rocprim17ROCPRIM_400000_NS6detail17trampoline_kernelINS0_14default_configENS1_35radix_sort_onesweep_config_selectorIhNS0_10empty_typeEEEZZNS1_29radix_sort_onesweep_iterationIS3_Lb0EPKhPhPS5_SB_mNS0_19identity_decomposerENS1_16block_id_wrapperIjLb1EEEEE10hipError_tT1_PNSt15iterator_traitsISG_E10value_typeET2_T3_PNSH_ISM_E10value_typeET4_T5_PSR_SS_PNS1_23onesweep_lookback_stateEbbT6_jjT7_P12ihipStream_tbENKUlT_T0_SG_SL_E_clIS9_SA_SB_SB_EEDaSZ_S10_SG_SL_EUlSZ_E_NS1_11comp_targetILNS1_3genE9ELNS1_11target_archE1100ELNS1_3gpuE3ELNS1_3repE0EEENS1_47radix_sort_onesweep_sort_config_static_selectorELNS0_4arch9wavefront6targetE0EEEvSG_.private_seg_size, 0
	.set _ZN7rocprim17ROCPRIM_400000_NS6detail17trampoline_kernelINS0_14default_configENS1_35radix_sort_onesweep_config_selectorIhNS0_10empty_typeEEEZZNS1_29radix_sort_onesweep_iterationIS3_Lb0EPKhPhPS5_SB_mNS0_19identity_decomposerENS1_16block_id_wrapperIjLb1EEEEE10hipError_tT1_PNSt15iterator_traitsISG_E10value_typeET2_T3_PNSH_ISM_E10value_typeET4_T5_PSR_SS_PNS1_23onesweep_lookback_stateEbbT6_jjT7_P12ihipStream_tbENKUlT_T0_SG_SL_E_clIS9_SA_SB_SB_EEDaSZ_S10_SG_SL_EUlSZ_E_NS1_11comp_targetILNS1_3genE9ELNS1_11target_archE1100ELNS1_3gpuE3ELNS1_3repE0EEENS1_47radix_sort_onesweep_sort_config_static_selectorELNS0_4arch9wavefront6targetE0EEEvSG_.uses_vcc, 0
	.set _ZN7rocprim17ROCPRIM_400000_NS6detail17trampoline_kernelINS0_14default_configENS1_35radix_sort_onesweep_config_selectorIhNS0_10empty_typeEEEZZNS1_29radix_sort_onesweep_iterationIS3_Lb0EPKhPhPS5_SB_mNS0_19identity_decomposerENS1_16block_id_wrapperIjLb1EEEEE10hipError_tT1_PNSt15iterator_traitsISG_E10value_typeET2_T3_PNSH_ISM_E10value_typeET4_T5_PSR_SS_PNS1_23onesweep_lookback_stateEbbT6_jjT7_P12ihipStream_tbENKUlT_T0_SG_SL_E_clIS9_SA_SB_SB_EEDaSZ_S10_SG_SL_EUlSZ_E_NS1_11comp_targetILNS1_3genE9ELNS1_11target_archE1100ELNS1_3gpuE3ELNS1_3repE0EEENS1_47radix_sort_onesweep_sort_config_static_selectorELNS0_4arch9wavefront6targetE0EEEvSG_.uses_flat_scratch, 0
	.set _ZN7rocprim17ROCPRIM_400000_NS6detail17trampoline_kernelINS0_14default_configENS1_35radix_sort_onesweep_config_selectorIhNS0_10empty_typeEEEZZNS1_29radix_sort_onesweep_iterationIS3_Lb0EPKhPhPS5_SB_mNS0_19identity_decomposerENS1_16block_id_wrapperIjLb1EEEEE10hipError_tT1_PNSt15iterator_traitsISG_E10value_typeET2_T3_PNSH_ISM_E10value_typeET4_T5_PSR_SS_PNS1_23onesweep_lookback_stateEbbT6_jjT7_P12ihipStream_tbENKUlT_T0_SG_SL_E_clIS9_SA_SB_SB_EEDaSZ_S10_SG_SL_EUlSZ_E_NS1_11comp_targetILNS1_3genE9ELNS1_11target_archE1100ELNS1_3gpuE3ELNS1_3repE0EEENS1_47radix_sort_onesweep_sort_config_static_selectorELNS0_4arch9wavefront6targetE0EEEvSG_.has_dyn_sized_stack, 0
	.set _ZN7rocprim17ROCPRIM_400000_NS6detail17trampoline_kernelINS0_14default_configENS1_35radix_sort_onesweep_config_selectorIhNS0_10empty_typeEEEZZNS1_29radix_sort_onesweep_iterationIS3_Lb0EPKhPhPS5_SB_mNS0_19identity_decomposerENS1_16block_id_wrapperIjLb1EEEEE10hipError_tT1_PNSt15iterator_traitsISG_E10value_typeET2_T3_PNSH_ISM_E10value_typeET4_T5_PSR_SS_PNS1_23onesweep_lookback_stateEbbT6_jjT7_P12ihipStream_tbENKUlT_T0_SG_SL_E_clIS9_SA_SB_SB_EEDaSZ_S10_SG_SL_EUlSZ_E_NS1_11comp_targetILNS1_3genE9ELNS1_11target_archE1100ELNS1_3gpuE3ELNS1_3repE0EEENS1_47radix_sort_onesweep_sort_config_static_selectorELNS0_4arch9wavefront6targetE0EEEvSG_.has_recursion, 0
	.set _ZN7rocprim17ROCPRIM_400000_NS6detail17trampoline_kernelINS0_14default_configENS1_35radix_sort_onesweep_config_selectorIhNS0_10empty_typeEEEZZNS1_29radix_sort_onesweep_iterationIS3_Lb0EPKhPhPS5_SB_mNS0_19identity_decomposerENS1_16block_id_wrapperIjLb1EEEEE10hipError_tT1_PNSt15iterator_traitsISG_E10value_typeET2_T3_PNSH_ISM_E10value_typeET4_T5_PSR_SS_PNS1_23onesweep_lookback_stateEbbT6_jjT7_P12ihipStream_tbENKUlT_T0_SG_SL_E_clIS9_SA_SB_SB_EEDaSZ_S10_SG_SL_EUlSZ_E_NS1_11comp_targetILNS1_3genE9ELNS1_11target_archE1100ELNS1_3gpuE3ELNS1_3repE0EEENS1_47radix_sort_onesweep_sort_config_static_selectorELNS0_4arch9wavefront6targetE0EEEvSG_.has_indirect_call, 0
	.section	.AMDGPU.csdata,"",@progbits
; Kernel info:
; codeLenInByte = 0
; TotalNumSgprs: 0
; NumVgprs: 0
; ScratchSize: 0
; MemoryBound: 0
; FloatMode: 240
; IeeeMode: 1
; LDSByteSize: 0 bytes/workgroup (compile time only)
; SGPRBlocks: 0
; VGPRBlocks: 0
; NumSGPRsForWavesPerEU: 1
; NumVGPRsForWavesPerEU: 1
; NamedBarCnt: 0
; Occupancy: 16
; WaveLimiterHint : 0
; COMPUTE_PGM_RSRC2:SCRATCH_EN: 0
; COMPUTE_PGM_RSRC2:USER_SGPR: 2
; COMPUTE_PGM_RSRC2:TRAP_HANDLER: 0
; COMPUTE_PGM_RSRC2:TGID_X_EN: 1
; COMPUTE_PGM_RSRC2:TGID_Y_EN: 0
; COMPUTE_PGM_RSRC2:TGID_Z_EN: 0
; COMPUTE_PGM_RSRC2:TIDIG_COMP_CNT: 0
	.section	.text._ZN7rocprim17ROCPRIM_400000_NS6detail17trampoline_kernelINS0_14default_configENS1_35radix_sort_onesweep_config_selectorIhNS0_10empty_typeEEEZZNS1_29radix_sort_onesweep_iterationIS3_Lb0EPKhPhPS5_SB_mNS0_19identity_decomposerENS1_16block_id_wrapperIjLb1EEEEE10hipError_tT1_PNSt15iterator_traitsISG_E10value_typeET2_T3_PNSH_ISM_E10value_typeET4_T5_PSR_SS_PNS1_23onesweep_lookback_stateEbbT6_jjT7_P12ihipStream_tbENKUlT_T0_SG_SL_E_clIS9_SA_SB_SB_EEDaSZ_S10_SG_SL_EUlSZ_E_NS1_11comp_targetILNS1_3genE8ELNS1_11target_archE1030ELNS1_3gpuE2ELNS1_3repE0EEENS1_47radix_sort_onesweep_sort_config_static_selectorELNS0_4arch9wavefront6targetE0EEEvSG_,"axG",@progbits,_ZN7rocprim17ROCPRIM_400000_NS6detail17trampoline_kernelINS0_14default_configENS1_35radix_sort_onesweep_config_selectorIhNS0_10empty_typeEEEZZNS1_29radix_sort_onesweep_iterationIS3_Lb0EPKhPhPS5_SB_mNS0_19identity_decomposerENS1_16block_id_wrapperIjLb1EEEEE10hipError_tT1_PNSt15iterator_traitsISG_E10value_typeET2_T3_PNSH_ISM_E10value_typeET4_T5_PSR_SS_PNS1_23onesweep_lookback_stateEbbT6_jjT7_P12ihipStream_tbENKUlT_T0_SG_SL_E_clIS9_SA_SB_SB_EEDaSZ_S10_SG_SL_EUlSZ_E_NS1_11comp_targetILNS1_3genE8ELNS1_11target_archE1030ELNS1_3gpuE2ELNS1_3repE0EEENS1_47radix_sort_onesweep_sort_config_static_selectorELNS0_4arch9wavefront6targetE0EEEvSG_,comdat
	.protected	_ZN7rocprim17ROCPRIM_400000_NS6detail17trampoline_kernelINS0_14default_configENS1_35radix_sort_onesweep_config_selectorIhNS0_10empty_typeEEEZZNS1_29radix_sort_onesweep_iterationIS3_Lb0EPKhPhPS5_SB_mNS0_19identity_decomposerENS1_16block_id_wrapperIjLb1EEEEE10hipError_tT1_PNSt15iterator_traitsISG_E10value_typeET2_T3_PNSH_ISM_E10value_typeET4_T5_PSR_SS_PNS1_23onesweep_lookback_stateEbbT6_jjT7_P12ihipStream_tbENKUlT_T0_SG_SL_E_clIS9_SA_SB_SB_EEDaSZ_S10_SG_SL_EUlSZ_E_NS1_11comp_targetILNS1_3genE8ELNS1_11target_archE1030ELNS1_3gpuE2ELNS1_3repE0EEENS1_47radix_sort_onesweep_sort_config_static_selectorELNS0_4arch9wavefront6targetE0EEEvSG_ ; -- Begin function _ZN7rocprim17ROCPRIM_400000_NS6detail17trampoline_kernelINS0_14default_configENS1_35radix_sort_onesweep_config_selectorIhNS0_10empty_typeEEEZZNS1_29radix_sort_onesweep_iterationIS3_Lb0EPKhPhPS5_SB_mNS0_19identity_decomposerENS1_16block_id_wrapperIjLb1EEEEE10hipError_tT1_PNSt15iterator_traitsISG_E10value_typeET2_T3_PNSH_ISM_E10value_typeET4_T5_PSR_SS_PNS1_23onesweep_lookback_stateEbbT6_jjT7_P12ihipStream_tbENKUlT_T0_SG_SL_E_clIS9_SA_SB_SB_EEDaSZ_S10_SG_SL_EUlSZ_E_NS1_11comp_targetILNS1_3genE8ELNS1_11target_archE1030ELNS1_3gpuE2ELNS1_3repE0EEENS1_47radix_sort_onesweep_sort_config_static_selectorELNS0_4arch9wavefront6targetE0EEEvSG_
	.globl	_ZN7rocprim17ROCPRIM_400000_NS6detail17trampoline_kernelINS0_14default_configENS1_35radix_sort_onesweep_config_selectorIhNS0_10empty_typeEEEZZNS1_29radix_sort_onesweep_iterationIS3_Lb0EPKhPhPS5_SB_mNS0_19identity_decomposerENS1_16block_id_wrapperIjLb1EEEEE10hipError_tT1_PNSt15iterator_traitsISG_E10value_typeET2_T3_PNSH_ISM_E10value_typeET4_T5_PSR_SS_PNS1_23onesweep_lookback_stateEbbT6_jjT7_P12ihipStream_tbENKUlT_T0_SG_SL_E_clIS9_SA_SB_SB_EEDaSZ_S10_SG_SL_EUlSZ_E_NS1_11comp_targetILNS1_3genE8ELNS1_11target_archE1030ELNS1_3gpuE2ELNS1_3repE0EEENS1_47radix_sort_onesweep_sort_config_static_selectorELNS0_4arch9wavefront6targetE0EEEvSG_
	.p2align	8
	.type	_ZN7rocprim17ROCPRIM_400000_NS6detail17trampoline_kernelINS0_14default_configENS1_35radix_sort_onesweep_config_selectorIhNS0_10empty_typeEEEZZNS1_29radix_sort_onesweep_iterationIS3_Lb0EPKhPhPS5_SB_mNS0_19identity_decomposerENS1_16block_id_wrapperIjLb1EEEEE10hipError_tT1_PNSt15iterator_traitsISG_E10value_typeET2_T3_PNSH_ISM_E10value_typeET4_T5_PSR_SS_PNS1_23onesweep_lookback_stateEbbT6_jjT7_P12ihipStream_tbENKUlT_T0_SG_SL_E_clIS9_SA_SB_SB_EEDaSZ_S10_SG_SL_EUlSZ_E_NS1_11comp_targetILNS1_3genE8ELNS1_11target_archE1030ELNS1_3gpuE2ELNS1_3repE0EEENS1_47radix_sort_onesweep_sort_config_static_selectorELNS0_4arch9wavefront6targetE0EEEvSG_,@function
_ZN7rocprim17ROCPRIM_400000_NS6detail17trampoline_kernelINS0_14default_configENS1_35radix_sort_onesweep_config_selectorIhNS0_10empty_typeEEEZZNS1_29radix_sort_onesweep_iterationIS3_Lb0EPKhPhPS5_SB_mNS0_19identity_decomposerENS1_16block_id_wrapperIjLb1EEEEE10hipError_tT1_PNSt15iterator_traitsISG_E10value_typeET2_T3_PNSH_ISM_E10value_typeET4_T5_PSR_SS_PNS1_23onesweep_lookback_stateEbbT6_jjT7_P12ihipStream_tbENKUlT_T0_SG_SL_E_clIS9_SA_SB_SB_EEDaSZ_S10_SG_SL_EUlSZ_E_NS1_11comp_targetILNS1_3genE8ELNS1_11target_archE1030ELNS1_3gpuE2ELNS1_3repE0EEENS1_47radix_sort_onesweep_sort_config_static_selectorELNS0_4arch9wavefront6targetE0EEEvSG_: ; @_ZN7rocprim17ROCPRIM_400000_NS6detail17trampoline_kernelINS0_14default_configENS1_35radix_sort_onesweep_config_selectorIhNS0_10empty_typeEEEZZNS1_29radix_sort_onesweep_iterationIS3_Lb0EPKhPhPS5_SB_mNS0_19identity_decomposerENS1_16block_id_wrapperIjLb1EEEEE10hipError_tT1_PNSt15iterator_traitsISG_E10value_typeET2_T3_PNSH_ISM_E10value_typeET4_T5_PSR_SS_PNS1_23onesweep_lookback_stateEbbT6_jjT7_P12ihipStream_tbENKUlT_T0_SG_SL_E_clIS9_SA_SB_SB_EEDaSZ_S10_SG_SL_EUlSZ_E_NS1_11comp_targetILNS1_3genE8ELNS1_11target_archE1030ELNS1_3gpuE2ELNS1_3repE0EEENS1_47radix_sort_onesweep_sort_config_static_selectorELNS0_4arch9wavefront6targetE0EEEvSG_
; %bb.0:
	.section	.rodata,"a",@progbits
	.p2align	6, 0x0
	.amdhsa_kernel _ZN7rocprim17ROCPRIM_400000_NS6detail17trampoline_kernelINS0_14default_configENS1_35radix_sort_onesweep_config_selectorIhNS0_10empty_typeEEEZZNS1_29radix_sort_onesweep_iterationIS3_Lb0EPKhPhPS5_SB_mNS0_19identity_decomposerENS1_16block_id_wrapperIjLb1EEEEE10hipError_tT1_PNSt15iterator_traitsISG_E10value_typeET2_T3_PNSH_ISM_E10value_typeET4_T5_PSR_SS_PNS1_23onesweep_lookback_stateEbbT6_jjT7_P12ihipStream_tbENKUlT_T0_SG_SL_E_clIS9_SA_SB_SB_EEDaSZ_S10_SG_SL_EUlSZ_E_NS1_11comp_targetILNS1_3genE8ELNS1_11target_archE1030ELNS1_3gpuE2ELNS1_3repE0EEENS1_47radix_sort_onesweep_sort_config_static_selectorELNS0_4arch9wavefront6targetE0EEEvSG_
		.amdhsa_group_segment_fixed_size 0
		.amdhsa_private_segment_fixed_size 0
		.amdhsa_kernarg_size 88
		.amdhsa_user_sgpr_count 2
		.amdhsa_user_sgpr_dispatch_ptr 0
		.amdhsa_user_sgpr_queue_ptr 0
		.amdhsa_user_sgpr_kernarg_segment_ptr 1
		.amdhsa_user_sgpr_dispatch_id 0
		.amdhsa_user_sgpr_kernarg_preload_length 0
		.amdhsa_user_sgpr_kernarg_preload_offset 0
		.amdhsa_user_sgpr_private_segment_size 0
		.amdhsa_wavefront_size32 1
		.amdhsa_uses_dynamic_stack 0
		.amdhsa_enable_private_segment 0
		.amdhsa_system_sgpr_workgroup_id_x 1
		.amdhsa_system_sgpr_workgroup_id_y 0
		.amdhsa_system_sgpr_workgroup_id_z 0
		.amdhsa_system_sgpr_workgroup_info 0
		.amdhsa_system_vgpr_workitem_id 0
		.amdhsa_next_free_vgpr 1
		.amdhsa_next_free_sgpr 1
		.amdhsa_named_barrier_count 0
		.amdhsa_reserve_vcc 0
		.amdhsa_float_round_mode_32 0
		.amdhsa_float_round_mode_16_64 0
		.amdhsa_float_denorm_mode_32 3
		.amdhsa_float_denorm_mode_16_64 3
		.amdhsa_fp16_overflow 0
		.amdhsa_memory_ordered 1
		.amdhsa_forward_progress 1
		.amdhsa_inst_pref_size 0
		.amdhsa_round_robin_scheduling 0
		.amdhsa_exception_fp_ieee_invalid_op 0
		.amdhsa_exception_fp_denorm_src 0
		.amdhsa_exception_fp_ieee_div_zero 0
		.amdhsa_exception_fp_ieee_overflow 0
		.amdhsa_exception_fp_ieee_underflow 0
		.amdhsa_exception_fp_ieee_inexact 0
		.amdhsa_exception_int_div_zero 0
	.end_amdhsa_kernel
	.section	.text._ZN7rocprim17ROCPRIM_400000_NS6detail17trampoline_kernelINS0_14default_configENS1_35radix_sort_onesweep_config_selectorIhNS0_10empty_typeEEEZZNS1_29radix_sort_onesweep_iterationIS3_Lb0EPKhPhPS5_SB_mNS0_19identity_decomposerENS1_16block_id_wrapperIjLb1EEEEE10hipError_tT1_PNSt15iterator_traitsISG_E10value_typeET2_T3_PNSH_ISM_E10value_typeET4_T5_PSR_SS_PNS1_23onesweep_lookback_stateEbbT6_jjT7_P12ihipStream_tbENKUlT_T0_SG_SL_E_clIS9_SA_SB_SB_EEDaSZ_S10_SG_SL_EUlSZ_E_NS1_11comp_targetILNS1_3genE8ELNS1_11target_archE1030ELNS1_3gpuE2ELNS1_3repE0EEENS1_47radix_sort_onesweep_sort_config_static_selectorELNS0_4arch9wavefront6targetE0EEEvSG_,"axG",@progbits,_ZN7rocprim17ROCPRIM_400000_NS6detail17trampoline_kernelINS0_14default_configENS1_35radix_sort_onesweep_config_selectorIhNS0_10empty_typeEEEZZNS1_29radix_sort_onesweep_iterationIS3_Lb0EPKhPhPS5_SB_mNS0_19identity_decomposerENS1_16block_id_wrapperIjLb1EEEEE10hipError_tT1_PNSt15iterator_traitsISG_E10value_typeET2_T3_PNSH_ISM_E10value_typeET4_T5_PSR_SS_PNS1_23onesweep_lookback_stateEbbT6_jjT7_P12ihipStream_tbENKUlT_T0_SG_SL_E_clIS9_SA_SB_SB_EEDaSZ_S10_SG_SL_EUlSZ_E_NS1_11comp_targetILNS1_3genE8ELNS1_11target_archE1030ELNS1_3gpuE2ELNS1_3repE0EEENS1_47radix_sort_onesweep_sort_config_static_selectorELNS0_4arch9wavefront6targetE0EEEvSG_,comdat
.Lfunc_end227:
	.size	_ZN7rocprim17ROCPRIM_400000_NS6detail17trampoline_kernelINS0_14default_configENS1_35radix_sort_onesweep_config_selectorIhNS0_10empty_typeEEEZZNS1_29radix_sort_onesweep_iterationIS3_Lb0EPKhPhPS5_SB_mNS0_19identity_decomposerENS1_16block_id_wrapperIjLb1EEEEE10hipError_tT1_PNSt15iterator_traitsISG_E10value_typeET2_T3_PNSH_ISM_E10value_typeET4_T5_PSR_SS_PNS1_23onesweep_lookback_stateEbbT6_jjT7_P12ihipStream_tbENKUlT_T0_SG_SL_E_clIS9_SA_SB_SB_EEDaSZ_S10_SG_SL_EUlSZ_E_NS1_11comp_targetILNS1_3genE8ELNS1_11target_archE1030ELNS1_3gpuE2ELNS1_3repE0EEENS1_47radix_sort_onesweep_sort_config_static_selectorELNS0_4arch9wavefront6targetE0EEEvSG_, .Lfunc_end227-_ZN7rocprim17ROCPRIM_400000_NS6detail17trampoline_kernelINS0_14default_configENS1_35radix_sort_onesweep_config_selectorIhNS0_10empty_typeEEEZZNS1_29radix_sort_onesweep_iterationIS3_Lb0EPKhPhPS5_SB_mNS0_19identity_decomposerENS1_16block_id_wrapperIjLb1EEEEE10hipError_tT1_PNSt15iterator_traitsISG_E10value_typeET2_T3_PNSH_ISM_E10value_typeET4_T5_PSR_SS_PNS1_23onesweep_lookback_stateEbbT6_jjT7_P12ihipStream_tbENKUlT_T0_SG_SL_E_clIS9_SA_SB_SB_EEDaSZ_S10_SG_SL_EUlSZ_E_NS1_11comp_targetILNS1_3genE8ELNS1_11target_archE1030ELNS1_3gpuE2ELNS1_3repE0EEENS1_47radix_sort_onesweep_sort_config_static_selectorELNS0_4arch9wavefront6targetE0EEEvSG_
                                        ; -- End function
	.set _ZN7rocprim17ROCPRIM_400000_NS6detail17trampoline_kernelINS0_14default_configENS1_35radix_sort_onesweep_config_selectorIhNS0_10empty_typeEEEZZNS1_29radix_sort_onesweep_iterationIS3_Lb0EPKhPhPS5_SB_mNS0_19identity_decomposerENS1_16block_id_wrapperIjLb1EEEEE10hipError_tT1_PNSt15iterator_traitsISG_E10value_typeET2_T3_PNSH_ISM_E10value_typeET4_T5_PSR_SS_PNS1_23onesweep_lookback_stateEbbT6_jjT7_P12ihipStream_tbENKUlT_T0_SG_SL_E_clIS9_SA_SB_SB_EEDaSZ_S10_SG_SL_EUlSZ_E_NS1_11comp_targetILNS1_3genE8ELNS1_11target_archE1030ELNS1_3gpuE2ELNS1_3repE0EEENS1_47radix_sort_onesweep_sort_config_static_selectorELNS0_4arch9wavefront6targetE0EEEvSG_.num_vgpr, 0
	.set _ZN7rocprim17ROCPRIM_400000_NS6detail17trampoline_kernelINS0_14default_configENS1_35radix_sort_onesweep_config_selectorIhNS0_10empty_typeEEEZZNS1_29radix_sort_onesweep_iterationIS3_Lb0EPKhPhPS5_SB_mNS0_19identity_decomposerENS1_16block_id_wrapperIjLb1EEEEE10hipError_tT1_PNSt15iterator_traitsISG_E10value_typeET2_T3_PNSH_ISM_E10value_typeET4_T5_PSR_SS_PNS1_23onesweep_lookback_stateEbbT6_jjT7_P12ihipStream_tbENKUlT_T0_SG_SL_E_clIS9_SA_SB_SB_EEDaSZ_S10_SG_SL_EUlSZ_E_NS1_11comp_targetILNS1_3genE8ELNS1_11target_archE1030ELNS1_3gpuE2ELNS1_3repE0EEENS1_47radix_sort_onesweep_sort_config_static_selectorELNS0_4arch9wavefront6targetE0EEEvSG_.num_agpr, 0
	.set _ZN7rocprim17ROCPRIM_400000_NS6detail17trampoline_kernelINS0_14default_configENS1_35radix_sort_onesweep_config_selectorIhNS0_10empty_typeEEEZZNS1_29radix_sort_onesweep_iterationIS3_Lb0EPKhPhPS5_SB_mNS0_19identity_decomposerENS1_16block_id_wrapperIjLb1EEEEE10hipError_tT1_PNSt15iterator_traitsISG_E10value_typeET2_T3_PNSH_ISM_E10value_typeET4_T5_PSR_SS_PNS1_23onesweep_lookback_stateEbbT6_jjT7_P12ihipStream_tbENKUlT_T0_SG_SL_E_clIS9_SA_SB_SB_EEDaSZ_S10_SG_SL_EUlSZ_E_NS1_11comp_targetILNS1_3genE8ELNS1_11target_archE1030ELNS1_3gpuE2ELNS1_3repE0EEENS1_47radix_sort_onesweep_sort_config_static_selectorELNS0_4arch9wavefront6targetE0EEEvSG_.numbered_sgpr, 0
	.set _ZN7rocprim17ROCPRIM_400000_NS6detail17trampoline_kernelINS0_14default_configENS1_35radix_sort_onesweep_config_selectorIhNS0_10empty_typeEEEZZNS1_29radix_sort_onesweep_iterationIS3_Lb0EPKhPhPS5_SB_mNS0_19identity_decomposerENS1_16block_id_wrapperIjLb1EEEEE10hipError_tT1_PNSt15iterator_traitsISG_E10value_typeET2_T3_PNSH_ISM_E10value_typeET4_T5_PSR_SS_PNS1_23onesweep_lookback_stateEbbT6_jjT7_P12ihipStream_tbENKUlT_T0_SG_SL_E_clIS9_SA_SB_SB_EEDaSZ_S10_SG_SL_EUlSZ_E_NS1_11comp_targetILNS1_3genE8ELNS1_11target_archE1030ELNS1_3gpuE2ELNS1_3repE0EEENS1_47radix_sort_onesweep_sort_config_static_selectorELNS0_4arch9wavefront6targetE0EEEvSG_.num_named_barrier, 0
	.set _ZN7rocprim17ROCPRIM_400000_NS6detail17trampoline_kernelINS0_14default_configENS1_35radix_sort_onesweep_config_selectorIhNS0_10empty_typeEEEZZNS1_29radix_sort_onesweep_iterationIS3_Lb0EPKhPhPS5_SB_mNS0_19identity_decomposerENS1_16block_id_wrapperIjLb1EEEEE10hipError_tT1_PNSt15iterator_traitsISG_E10value_typeET2_T3_PNSH_ISM_E10value_typeET4_T5_PSR_SS_PNS1_23onesweep_lookback_stateEbbT6_jjT7_P12ihipStream_tbENKUlT_T0_SG_SL_E_clIS9_SA_SB_SB_EEDaSZ_S10_SG_SL_EUlSZ_E_NS1_11comp_targetILNS1_3genE8ELNS1_11target_archE1030ELNS1_3gpuE2ELNS1_3repE0EEENS1_47radix_sort_onesweep_sort_config_static_selectorELNS0_4arch9wavefront6targetE0EEEvSG_.private_seg_size, 0
	.set _ZN7rocprim17ROCPRIM_400000_NS6detail17trampoline_kernelINS0_14default_configENS1_35radix_sort_onesweep_config_selectorIhNS0_10empty_typeEEEZZNS1_29radix_sort_onesweep_iterationIS3_Lb0EPKhPhPS5_SB_mNS0_19identity_decomposerENS1_16block_id_wrapperIjLb1EEEEE10hipError_tT1_PNSt15iterator_traitsISG_E10value_typeET2_T3_PNSH_ISM_E10value_typeET4_T5_PSR_SS_PNS1_23onesweep_lookback_stateEbbT6_jjT7_P12ihipStream_tbENKUlT_T0_SG_SL_E_clIS9_SA_SB_SB_EEDaSZ_S10_SG_SL_EUlSZ_E_NS1_11comp_targetILNS1_3genE8ELNS1_11target_archE1030ELNS1_3gpuE2ELNS1_3repE0EEENS1_47radix_sort_onesweep_sort_config_static_selectorELNS0_4arch9wavefront6targetE0EEEvSG_.uses_vcc, 0
	.set _ZN7rocprim17ROCPRIM_400000_NS6detail17trampoline_kernelINS0_14default_configENS1_35radix_sort_onesweep_config_selectorIhNS0_10empty_typeEEEZZNS1_29radix_sort_onesweep_iterationIS3_Lb0EPKhPhPS5_SB_mNS0_19identity_decomposerENS1_16block_id_wrapperIjLb1EEEEE10hipError_tT1_PNSt15iterator_traitsISG_E10value_typeET2_T3_PNSH_ISM_E10value_typeET4_T5_PSR_SS_PNS1_23onesweep_lookback_stateEbbT6_jjT7_P12ihipStream_tbENKUlT_T0_SG_SL_E_clIS9_SA_SB_SB_EEDaSZ_S10_SG_SL_EUlSZ_E_NS1_11comp_targetILNS1_3genE8ELNS1_11target_archE1030ELNS1_3gpuE2ELNS1_3repE0EEENS1_47radix_sort_onesweep_sort_config_static_selectorELNS0_4arch9wavefront6targetE0EEEvSG_.uses_flat_scratch, 0
	.set _ZN7rocprim17ROCPRIM_400000_NS6detail17trampoline_kernelINS0_14default_configENS1_35radix_sort_onesweep_config_selectorIhNS0_10empty_typeEEEZZNS1_29radix_sort_onesweep_iterationIS3_Lb0EPKhPhPS5_SB_mNS0_19identity_decomposerENS1_16block_id_wrapperIjLb1EEEEE10hipError_tT1_PNSt15iterator_traitsISG_E10value_typeET2_T3_PNSH_ISM_E10value_typeET4_T5_PSR_SS_PNS1_23onesweep_lookback_stateEbbT6_jjT7_P12ihipStream_tbENKUlT_T0_SG_SL_E_clIS9_SA_SB_SB_EEDaSZ_S10_SG_SL_EUlSZ_E_NS1_11comp_targetILNS1_3genE8ELNS1_11target_archE1030ELNS1_3gpuE2ELNS1_3repE0EEENS1_47radix_sort_onesweep_sort_config_static_selectorELNS0_4arch9wavefront6targetE0EEEvSG_.has_dyn_sized_stack, 0
	.set _ZN7rocprim17ROCPRIM_400000_NS6detail17trampoline_kernelINS0_14default_configENS1_35radix_sort_onesweep_config_selectorIhNS0_10empty_typeEEEZZNS1_29radix_sort_onesweep_iterationIS3_Lb0EPKhPhPS5_SB_mNS0_19identity_decomposerENS1_16block_id_wrapperIjLb1EEEEE10hipError_tT1_PNSt15iterator_traitsISG_E10value_typeET2_T3_PNSH_ISM_E10value_typeET4_T5_PSR_SS_PNS1_23onesweep_lookback_stateEbbT6_jjT7_P12ihipStream_tbENKUlT_T0_SG_SL_E_clIS9_SA_SB_SB_EEDaSZ_S10_SG_SL_EUlSZ_E_NS1_11comp_targetILNS1_3genE8ELNS1_11target_archE1030ELNS1_3gpuE2ELNS1_3repE0EEENS1_47radix_sort_onesweep_sort_config_static_selectorELNS0_4arch9wavefront6targetE0EEEvSG_.has_recursion, 0
	.set _ZN7rocprim17ROCPRIM_400000_NS6detail17trampoline_kernelINS0_14default_configENS1_35radix_sort_onesweep_config_selectorIhNS0_10empty_typeEEEZZNS1_29radix_sort_onesweep_iterationIS3_Lb0EPKhPhPS5_SB_mNS0_19identity_decomposerENS1_16block_id_wrapperIjLb1EEEEE10hipError_tT1_PNSt15iterator_traitsISG_E10value_typeET2_T3_PNSH_ISM_E10value_typeET4_T5_PSR_SS_PNS1_23onesweep_lookback_stateEbbT6_jjT7_P12ihipStream_tbENKUlT_T0_SG_SL_E_clIS9_SA_SB_SB_EEDaSZ_S10_SG_SL_EUlSZ_E_NS1_11comp_targetILNS1_3genE8ELNS1_11target_archE1030ELNS1_3gpuE2ELNS1_3repE0EEENS1_47radix_sort_onesweep_sort_config_static_selectorELNS0_4arch9wavefront6targetE0EEEvSG_.has_indirect_call, 0
	.section	.AMDGPU.csdata,"",@progbits
; Kernel info:
; codeLenInByte = 0
; TotalNumSgprs: 0
; NumVgprs: 0
; ScratchSize: 0
; MemoryBound: 0
; FloatMode: 240
; IeeeMode: 1
; LDSByteSize: 0 bytes/workgroup (compile time only)
; SGPRBlocks: 0
; VGPRBlocks: 0
; NumSGPRsForWavesPerEU: 1
; NumVGPRsForWavesPerEU: 1
; NamedBarCnt: 0
; Occupancy: 16
; WaveLimiterHint : 0
; COMPUTE_PGM_RSRC2:SCRATCH_EN: 0
; COMPUTE_PGM_RSRC2:USER_SGPR: 2
; COMPUTE_PGM_RSRC2:TRAP_HANDLER: 0
; COMPUTE_PGM_RSRC2:TGID_X_EN: 1
; COMPUTE_PGM_RSRC2:TGID_Y_EN: 0
; COMPUTE_PGM_RSRC2:TGID_Z_EN: 0
; COMPUTE_PGM_RSRC2:TIDIG_COMP_CNT: 0
	.section	.text._ZN7rocprim17ROCPRIM_400000_NS6detail17trampoline_kernelINS0_14default_configENS1_35radix_sort_onesweep_config_selectorIhNS0_10empty_typeEEEZZNS1_29radix_sort_onesweep_iterationIS3_Lb0EPKhPhPS5_SB_mNS0_19identity_decomposerENS1_16block_id_wrapperIjLb1EEEEE10hipError_tT1_PNSt15iterator_traitsISG_E10value_typeET2_T3_PNSH_ISM_E10value_typeET4_T5_PSR_SS_PNS1_23onesweep_lookback_stateEbbT6_jjT7_P12ihipStream_tbENKUlT_T0_SG_SL_E_clISA_SA_SB_SB_EEDaSZ_S10_SG_SL_EUlSZ_E_NS1_11comp_targetILNS1_3genE0ELNS1_11target_archE4294967295ELNS1_3gpuE0ELNS1_3repE0EEENS1_47radix_sort_onesweep_sort_config_static_selectorELNS0_4arch9wavefront6targetE0EEEvSG_,"axG",@progbits,_ZN7rocprim17ROCPRIM_400000_NS6detail17trampoline_kernelINS0_14default_configENS1_35radix_sort_onesweep_config_selectorIhNS0_10empty_typeEEEZZNS1_29radix_sort_onesweep_iterationIS3_Lb0EPKhPhPS5_SB_mNS0_19identity_decomposerENS1_16block_id_wrapperIjLb1EEEEE10hipError_tT1_PNSt15iterator_traitsISG_E10value_typeET2_T3_PNSH_ISM_E10value_typeET4_T5_PSR_SS_PNS1_23onesweep_lookback_stateEbbT6_jjT7_P12ihipStream_tbENKUlT_T0_SG_SL_E_clISA_SA_SB_SB_EEDaSZ_S10_SG_SL_EUlSZ_E_NS1_11comp_targetILNS1_3genE0ELNS1_11target_archE4294967295ELNS1_3gpuE0ELNS1_3repE0EEENS1_47radix_sort_onesweep_sort_config_static_selectorELNS0_4arch9wavefront6targetE0EEEvSG_,comdat
	.protected	_ZN7rocprim17ROCPRIM_400000_NS6detail17trampoline_kernelINS0_14default_configENS1_35radix_sort_onesweep_config_selectorIhNS0_10empty_typeEEEZZNS1_29radix_sort_onesweep_iterationIS3_Lb0EPKhPhPS5_SB_mNS0_19identity_decomposerENS1_16block_id_wrapperIjLb1EEEEE10hipError_tT1_PNSt15iterator_traitsISG_E10value_typeET2_T3_PNSH_ISM_E10value_typeET4_T5_PSR_SS_PNS1_23onesweep_lookback_stateEbbT6_jjT7_P12ihipStream_tbENKUlT_T0_SG_SL_E_clISA_SA_SB_SB_EEDaSZ_S10_SG_SL_EUlSZ_E_NS1_11comp_targetILNS1_3genE0ELNS1_11target_archE4294967295ELNS1_3gpuE0ELNS1_3repE0EEENS1_47radix_sort_onesweep_sort_config_static_selectorELNS0_4arch9wavefront6targetE0EEEvSG_ ; -- Begin function _ZN7rocprim17ROCPRIM_400000_NS6detail17trampoline_kernelINS0_14default_configENS1_35radix_sort_onesweep_config_selectorIhNS0_10empty_typeEEEZZNS1_29radix_sort_onesweep_iterationIS3_Lb0EPKhPhPS5_SB_mNS0_19identity_decomposerENS1_16block_id_wrapperIjLb1EEEEE10hipError_tT1_PNSt15iterator_traitsISG_E10value_typeET2_T3_PNSH_ISM_E10value_typeET4_T5_PSR_SS_PNS1_23onesweep_lookback_stateEbbT6_jjT7_P12ihipStream_tbENKUlT_T0_SG_SL_E_clISA_SA_SB_SB_EEDaSZ_S10_SG_SL_EUlSZ_E_NS1_11comp_targetILNS1_3genE0ELNS1_11target_archE4294967295ELNS1_3gpuE0ELNS1_3repE0EEENS1_47radix_sort_onesweep_sort_config_static_selectorELNS0_4arch9wavefront6targetE0EEEvSG_
	.globl	_ZN7rocprim17ROCPRIM_400000_NS6detail17trampoline_kernelINS0_14default_configENS1_35radix_sort_onesweep_config_selectorIhNS0_10empty_typeEEEZZNS1_29radix_sort_onesweep_iterationIS3_Lb0EPKhPhPS5_SB_mNS0_19identity_decomposerENS1_16block_id_wrapperIjLb1EEEEE10hipError_tT1_PNSt15iterator_traitsISG_E10value_typeET2_T3_PNSH_ISM_E10value_typeET4_T5_PSR_SS_PNS1_23onesweep_lookback_stateEbbT6_jjT7_P12ihipStream_tbENKUlT_T0_SG_SL_E_clISA_SA_SB_SB_EEDaSZ_S10_SG_SL_EUlSZ_E_NS1_11comp_targetILNS1_3genE0ELNS1_11target_archE4294967295ELNS1_3gpuE0ELNS1_3repE0EEENS1_47radix_sort_onesweep_sort_config_static_selectorELNS0_4arch9wavefront6targetE0EEEvSG_
	.p2align	8
	.type	_ZN7rocprim17ROCPRIM_400000_NS6detail17trampoline_kernelINS0_14default_configENS1_35radix_sort_onesweep_config_selectorIhNS0_10empty_typeEEEZZNS1_29radix_sort_onesweep_iterationIS3_Lb0EPKhPhPS5_SB_mNS0_19identity_decomposerENS1_16block_id_wrapperIjLb1EEEEE10hipError_tT1_PNSt15iterator_traitsISG_E10value_typeET2_T3_PNSH_ISM_E10value_typeET4_T5_PSR_SS_PNS1_23onesweep_lookback_stateEbbT6_jjT7_P12ihipStream_tbENKUlT_T0_SG_SL_E_clISA_SA_SB_SB_EEDaSZ_S10_SG_SL_EUlSZ_E_NS1_11comp_targetILNS1_3genE0ELNS1_11target_archE4294967295ELNS1_3gpuE0ELNS1_3repE0EEENS1_47radix_sort_onesweep_sort_config_static_selectorELNS0_4arch9wavefront6targetE0EEEvSG_,@function
_ZN7rocprim17ROCPRIM_400000_NS6detail17trampoline_kernelINS0_14default_configENS1_35radix_sort_onesweep_config_selectorIhNS0_10empty_typeEEEZZNS1_29radix_sort_onesweep_iterationIS3_Lb0EPKhPhPS5_SB_mNS0_19identity_decomposerENS1_16block_id_wrapperIjLb1EEEEE10hipError_tT1_PNSt15iterator_traitsISG_E10value_typeET2_T3_PNSH_ISM_E10value_typeET4_T5_PSR_SS_PNS1_23onesweep_lookback_stateEbbT6_jjT7_P12ihipStream_tbENKUlT_T0_SG_SL_E_clISA_SA_SB_SB_EEDaSZ_S10_SG_SL_EUlSZ_E_NS1_11comp_targetILNS1_3genE0ELNS1_11target_archE4294967295ELNS1_3gpuE0ELNS1_3repE0EEENS1_47radix_sort_onesweep_sort_config_static_selectorELNS0_4arch9wavefront6targetE0EEEvSG_: ; @_ZN7rocprim17ROCPRIM_400000_NS6detail17trampoline_kernelINS0_14default_configENS1_35radix_sort_onesweep_config_selectorIhNS0_10empty_typeEEEZZNS1_29radix_sort_onesweep_iterationIS3_Lb0EPKhPhPS5_SB_mNS0_19identity_decomposerENS1_16block_id_wrapperIjLb1EEEEE10hipError_tT1_PNSt15iterator_traitsISG_E10value_typeET2_T3_PNSH_ISM_E10value_typeET4_T5_PSR_SS_PNS1_23onesweep_lookback_stateEbbT6_jjT7_P12ihipStream_tbENKUlT_T0_SG_SL_E_clISA_SA_SB_SB_EEDaSZ_S10_SG_SL_EUlSZ_E_NS1_11comp_targetILNS1_3genE0ELNS1_11target_archE4294967295ELNS1_3gpuE0ELNS1_3repE0EEENS1_47radix_sort_onesweep_sort_config_static_selectorELNS0_4arch9wavefront6targetE0EEEvSG_
; %bb.0:
	s_clause 0x1
	s_load_b128 s[8:11], s[0:1], 0x28
	s_load_b64 s[20:21], s[0:1], 0x38
	s_mov_b32 s2, exec_lo
	v_cmpx_eq_u32_e32 0, v0
	s_cbranch_execz .LBB228_4
; %bb.1:
	s_mov_b32 s4, exec_lo
	s_mov_b32 s3, exec_lo
	v_mbcnt_lo_u32_b32 v1, s4, 0
                                        ; implicit-def: $vgpr2
	s_delay_alu instid0(VALU_DEP_1)
	v_cmpx_eq_u32_e32 0, v1
	s_cbranch_execz .LBB228_3
; %bb.2:
	s_load_b64 s[6:7], s[0:1], 0x50
	s_bcnt1_i32_b32 s4, s4
	s_delay_alu instid0(SALU_CYCLE_1)
	v_dual_mov_b32 v2, 0 :: v_dual_mov_b32 v3, s4
	s_wait_xcnt 0x0
	s_wait_kmcnt 0x0
	global_atomic_add_u32 v2, v2, v3, s[6:7] th:TH_ATOMIC_RETURN scope:SCOPE_DEV
.LBB228_3:
	s_wait_xcnt 0x0
	s_or_b32 exec_lo, exec_lo, s3
	s_wait_loadcnt 0x0
	v_readfirstlane_b32 s3, v2
	s_delay_alu instid0(VALU_DEP_1)
	v_dual_mov_b32 v2, 0 :: v_dual_add_nc_u32 v1, s3, v1
	ds_store_b32 v2, v1 offset:32896
.LBB228_4:
	s_or_b32 exec_lo, exec_lo, s2
	v_mov_b32_e32 v7, 0
	s_clause 0x2
	s_load_b128 s[12:15], s[0:1], 0x0
	s_load_b32 s2, s[0:1], 0x20
	s_load_b96 s[16:18], s[0:1], 0x44
	s_wait_dscnt 0x0
	s_barrier_signal -1
	s_barrier_wait -1
	ds_load_b32 v1, v7 offset:32896
	v_mul_u32_u24_e32 v6, 22, v0
	s_mov_b32 s3, -1
	s_wait_dscnt 0x0
	s_barrier_signal -1
	s_barrier_wait -1
	v_readfirstlane_b32 s19, v1
	s_wait_kmcnt 0x0
	v_cmp_le_u32_e32 vcc_lo, s18, v1
	s_mul_i32 s22, s19, 0x5800
	s_cbranch_vccz .LBB228_116
; %bb.5:
	s_mov_b32 s23, 0
	v_dual_mov_b32 v4, 0xff :: v_dual_mov_b32 v1, 0xff
	s_add_nc_u64 s[4:5], s[12:13], s[22:23]
	v_mov_b32_e32 v5, 0xff
	v_add_nc_u64_e32 v[2:3], s[4:5], v[6:7]
	s_mulk_i32 s18, 0xa800
	s_delay_alu instid0(SALU_CYCLE_1)
	s_add_co_i32 s18, s18, s2
	s_mov_b32 s2, exec_lo
	v_cmpx_gt_u32_e64 s18, v6
	s_cbranch_execz .LBB228_7
; %bb.6:
	global_load_u8 v5, v[2:3], off
	s_wait_loadcnt 0x0
	v_and_b32_e32 v4, 0xff, v5
.LBB228_7:
	s_or_b32 exec_lo, exec_lo, s2
	v_or_b32_e32 v7, 1, v6
	v_mov_b32_e32 v27, 0xff
	s_mov_b32 s2, exec_lo
	s_delay_alu instid0(VALU_DEP_2)
	v_cmpx_gt_u32_e64 s18, v7
	s_cbranch_execz .LBB228_9
; %bb.8:
	global_load_u8 v1, v[2:3], off offset:1
	s_wait_loadcnt 0x0
	v_and_b32_e32 v27, 0xff, v1
.LBB228_9:
	s_or_b32 exec_lo, exec_lo, s2
	v_dual_mov_b32 v7, 0xff :: v_dual_add_nc_u32 v8, 2, v6
	v_mov_b32_e32 v28, 0xff
	s_delay_alu instid0(VALU_DEP_2)
	v_cmp_gt_u32_e32 vcc_lo, s18, v8
	v_mov_b32_e32 v8, 0xff
	s_and_saveexec_b32 s2, vcc_lo
	s_cbranch_execz .LBB228_11
; %bb.10:
	global_load_u8 v8, v[2:3], off offset:2
	s_wait_loadcnt 0x0
	v_and_b32_e32 v28, 0xff, v8
.LBB228_11:
	s_or_b32 exec_lo, exec_lo, s2
	v_add_nc_u32_e32 v9, 3, v6
	v_mov_b32_e32 v29, 0xff
	s_mov_b32 s2, exec_lo
	s_delay_alu instid0(VALU_DEP_2)
	v_cmpx_gt_u32_e64 s18, v9
	s_cbranch_execz .LBB228_13
; %bb.12:
	global_load_u8 v7, v[2:3], off offset:3
	s_wait_loadcnt 0x0
	v_and_b32_e32 v29, 0xff, v7
.LBB228_13:
	s_or_b32 exec_lo, exec_lo, s2
	v_dual_mov_b32 v9, 0xff :: v_dual_add_nc_u32 v10, 4, v6
	v_mov_b32_e32 v30, 0xff
	s_delay_alu instid0(VALU_DEP_2)
	v_cmp_gt_u32_e32 vcc_lo, s18, v10
	v_mov_b32_e32 v10, 0xff
	s_and_saveexec_b32 s2, vcc_lo
	s_cbranch_execz .LBB228_15
; %bb.14:
	global_load_u8 v10, v[2:3], off offset:4
	s_wait_loadcnt 0x0
	v_and_b32_e32 v30, 0xff, v10
.LBB228_15:
	s_or_b32 exec_lo, exec_lo, s2
	v_add_nc_u32_e32 v11, 5, v6
	;; [unrolled: 25-line block ×9, first 2 shown]
	v_mov_b32_e32 v53, 0xff
	s_mov_b32 s2, exec_lo
	s_delay_alu instid0(VALU_DEP_2)
	v_cmpx_gt_u32_e64 s18, v25
	s_cbranch_execz .LBB228_45
; %bb.44:
	global_load_u8 v23, v[2:3], off offset:19
	s_wait_loadcnt 0x0
	v_and_b32_e32 v53, 0xff, v23
.LBB228_45:
	s_or_b32 exec_lo, exec_lo, s2
	v_dual_mov_b32 v25, 0xff :: v_dual_add_nc_u32 v26, 20, v6
	v_mov_b32_e32 v54, 0xff
	s_delay_alu instid0(VALU_DEP_2)
	v_cmp_gt_u32_e32 vcc_lo, s18, v26
	v_mov_b32_e32 v26, 0xff
	s_and_saveexec_b32 s2, vcc_lo
	s_cbranch_execz .LBB228_47
; %bb.46:
	global_load_u8 v26, v[2:3], off offset:20
	s_wait_loadcnt 0x0
	v_and_b32_e32 v54, 0xff, v26
.LBB228_47:
	s_or_b32 exec_lo, exec_lo, s2
	v_dual_mov_b32 v55, 0xff :: v_dual_add_nc_u32 v38, 21, v6
	s_mov_b32 s2, exec_lo
	s_delay_alu instid0(VALU_DEP_1)
	v_cmpx_gt_u32_e64 s18, v38
	s_cbranch_execz .LBB228_49
; %bb.48:
	global_load_u8 v25, v[2:3], off offset:21
	s_wait_loadcnt 0x0
	v_and_b32_e32 v55, 0xff, v25
.LBB228_49:
	s_or_b32 exec_lo, exec_lo, s2
	v_dual_lshrrev_b32 v2, s16, v4 :: v_dual_mov_b32 v38, 0
	s_lshl_b32 s23, -1, s17
	v_lshrrev_b32_e32 v40, s16, v27
	s_mov_b32 s7, exec_lo
	s_delay_alu instid0(VALU_DEP_2) | instskip(NEXT) | instid1(VALU_DEP_1)
	v_bitop3_b32 v2, v2, s23, v2 bitop3:0x30
	v_dual_lshlrev_b32 v3, 10, v2 :: v_dual_lshrrev_b32 v2, 2, v2
	v_lshlrev_b32_e32 v4, 2, v0
	s_delay_alu instid0(VALU_DEP_2) | instskip(NEXT) | instid1(VALU_DEP_3)
	v_and_or_b32 v3, 0x1c00, v3, v0
	v_and_b32_e32 v2, 62, v2
	ds_store_2addr_stride64_b32 v4, v38, v38 offset1:16
	ds_store_2addr_stride64_b32 v4, v38, v38 offset0:32 offset1:48
	ds_store_2addr_stride64_b32 v4, v38, v38 offset0:64 offset1:80
	;; [unrolled: 1-line block ×3, first 2 shown]
	v_lshl_add_u32 v2, v3, 2, v2
	v_bitop3_b32 v3, v40, s23, v40 bitop3:0x30
	ds_load_u16 v27, v2
	v_dual_lshlrev_b32 v4, 10, v3 :: v_dual_lshrrev_b32 v3, 2, v3
	s_delay_alu instid0(VALU_DEP_1) | instskip(NEXT) | instid1(VALU_DEP_2)
	v_and_or_b32 v4, 0x1c00, v4, v0
	v_and_b32_e32 v3, 62, v3
	s_delay_alu instid0(VALU_DEP_1) | instskip(SKIP_1) | instid1(VALU_DEP_1)
	v_lshl_add_u32 v3, v4, 2, v3
	v_lshrrev_b32_e32 v4, s16, v28
	v_bitop3_b32 v4, v4, s23, v4 bitop3:0x30
	s_wait_dscnt 0x0
	v_add_nc_u16 v38, v27, 1
	ds_store_b16 v2, v38
	ds_load_u16 v28, v3
	v_dual_lshlrev_b32 v38, 10, v4 :: v_dual_lshrrev_b32 v4, 2, v4
	s_delay_alu instid0(VALU_DEP_1) | instskip(NEXT) | instid1(VALU_DEP_2)
	v_and_or_b32 v38, 0x1c00, v38, v0
	v_and_b32_e32 v4, 62, v4
	s_delay_alu instid0(VALU_DEP_1) | instskip(SKIP_1) | instid1(VALU_DEP_1)
	v_lshl_add_u32 v4, v38, 2, v4
	v_lshrrev_b32_e32 v38, s16, v29
	v_bitop3_b32 v38, v38, s23, v38 bitop3:0x30
	s_wait_dscnt 0x0
	v_add_nc_u16 v40, v28, 1
	ds_store_b16 v3, v40
	;; [unrolled: 12-line block ×20, first 2 shown]
	ds_load_u16 v55, v66
	v_dual_lshlrev_b32 v67, 10, v59 :: v_dual_lshrrev_b32 v59, 2, v59
	s_delay_alu instid0(VALU_DEP_1) | instskip(NEXT) | instid1(VALU_DEP_2)
	v_and_or_b32 v67, 0x1c00, v67, v0
	v_and_b32_e32 v59, 62, v59
	s_delay_alu instid0(VALU_DEP_1)
	v_lshl_add_u32 v67, v67, 2, v59
	s_wait_dscnt 0x0
	v_add_nc_u16 v68, v55, 1
	ds_store_b16 v66, v68
	ds_load_u16 v59, v67
	v_lshlrev_b32_e32 v68, 5, v0
	s_wait_dscnt 0x0
	v_add_nc_u16 v69, v59, 1
	ds_store_b16 v67, v69
	s_wait_dscnt 0x0
	s_barrier_signal -1
	s_barrier_wait -1
	ds_load_2addr_b64 v[70:73], v68 offset1:1
	ds_load_2addr_b64 v[74:77], v68 offset0:2 offset1:3
	s_wait_dscnt 0x1
	v_add_nc_u32_e32 v69, v71, v70
	s_delay_alu instid0(VALU_DEP_1) | instskip(SKIP_2) | instid1(VALU_DEP_2)
	v_add3_u32 v69, v69, v72, v73
	v_and_b32_e32 v73, 31, v0
	s_wait_dscnt 0x0
	v_add3_u32 v70, v69, v74, v75
	v_mbcnt_lo_u32_b32 v69, -1, 0
	s_delay_alu instid0(VALU_DEP_2) | instskip(NEXT) | instid1(VALU_DEP_2)
	v_add3_u32 v70, v70, v76, v77
	v_and_b32_e32 v71, 15, v69
	v_and_b32_e32 v74, 16, v69
	s_delay_alu instid0(VALU_DEP_3) | instskip(NEXT) | instid1(VALU_DEP_3)
	v_mov_b32_dpp v72, v70 row_shr:1 row_mask:0xf bank_mask:0xf
	v_cmp_eq_u32_e32 vcc_lo, 0, v71
	v_cmp_lt_u32_e64 s2, 1, v71
	v_cmp_lt_u32_e64 s3, 3, v71
	;; [unrolled: 1-line block ×3, first 2 shown]
	v_cmp_eq_u32_e64 s5, 0, v74
	v_cndmask_b32_e64 v72, v72, 0, vcc_lo
	s_delay_alu instid0(VALU_DEP_1) | instskip(NEXT) | instid1(VALU_DEP_1)
	v_add_nc_u32_e32 v70, v72, v70
	v_mov_b32_dpp v72, v70 row_shr:2 row_mask:0xf bank_mask:0xf
	s_delay_alu instid0(VALU_DEP_1) | instskip(NEXT) | instid1(VALU_DEP_1)
	v_cndmask_b32_e64 v72, 0, v72, s2
	v_add_nc_u32_e32 v70, v70, v72
	s_delay_alu instid0(VALU_DEP_1) | instskip(NEXT) | instid1(VALU_DEP_1)
	v_mov_b32_dpp v72, v70 row_shr:4 row_mask:0xf bank_mask:0xf
	v_cndmask_b32_e64 v72, 0, v72, s3
	s_delay_alu instid0(VALU_DEP_1) | instskip(NEXT) | instid1(VALU_DEP_1)
	v_add_nc_u32_e32 v70, v70, v72
	v_mov_b32_dpp v72, v70 row_shr:8 row_mask:0xf bank_mask:0xf
	s_delay_alu instid0(VALU_DEP_1) | instskip(SKIP_1) | instid1(VALU_DEP_2)
	v_cndmask_b32_e64 v71, 0, v72, s4
	v_bfe_i32 v72, v69, 4, 1
	v_add_nc_u32_e32 v70, v70, v71
	ds_swizzle_b32 v71, v70 offset:swizzle(BROADCAST,32,15)
	s_wait_dscnt 0x0
	v_dual_lshrrev_b32 v72, 5, v0 :: v_dual_bitop2_b32 v71, v72, v71 bitop3:0x40
	s_delay_alu instid0(VALU_DEP_1)
	v_dual_add_nc_u32 v70, v70, v71 :: v_dual_lshlrev_b32 v71, 2, v72
	v_cmpx_eq_u32_e32 31, v73
; %bb.50:
	ds_store_b32 v71, v70 offset:32768
; %bb.51:
	s_or_b32 exec_lo, exec_lo, s7
	v_cmp_lt_u32_e64 s6, 31, v0
	s_mov_b32 s24, exec_lo
	s_wait_dscnt 0x0
	s_barrier_signal -1
	s_barrier_wait -1
	v_cmpx_gt_u32_e32 32, v0
	s_cbranch_execz .LBB228_53
; %bb.52:
	v_mad_i32_i24 v72, 0xffffffe4, v0, v68
	ds_load_b32 v73, v72 offset:32768
	s_wait_dscnt 0x0
	v_mov_b32_dpp v74, v73 row_shr:1 row_mask:0xf bank_mask:0xf
	s_delay_alu instid0(VALU_DEP_1) | instskip(NEXT) | instid1(VALU_DEP_1)
	v_cndmask_b32_e64 v74, v74, 0, vcc_lo
	v_add_nc_u32_e32 v73, v74, v73
	s_delay_alu instid0(VALU_DEP_1) | instskip(NEXT) | instid1(VALU_DEP_1)
	v_mov_b32_dpp v74, v73 row_shr:2 row_mask:0xf bank_mask:0xf
	v_cndmask_b32_e64 v74, 0, v74, s2
	s_delay_alu instid0(VALU_DEP_1) | instskip(NEXT) | instid1(VALU_DEP_1)
	v_add_nc_u32_e32 v73, v73, v74
	v_mov_b32_dpp v74, v73 row_shr:4 row_mask:0xf bank_mask:0xf
	s_delay_alu instid0(VALU_DEP_1) | instskip(NEXT) | instid1(VALU_DEP_1)
	v_cndmask_b32_e64 v74, 0, v74, s3
	v_add_nc_u32_e32 v73, v73, v74
	s_delay_alu instid0(VALU_DEP_1) | instskip(NEXT) | instid1(VALU_DEP_1)
	v_mov_b32_dpp v74, v73 row_shr:8 row_mask:0xf bank_mask:0xf
	v_cndmask_b32_e64 v74, 0, v74, s4
	s_delay_alu instid0(VALU_DEP_1) | instskip(SKIP_3) | instid1(VALU_DEP_1)
	v_add_nc_u32_e32 v73, v73, v74
	ds_swizzle_b32 v74, v73 offset:swizzle(BROADCAST,32,15)
	s_wait_dscnt 0x0
	v_cndmask_b32_e64 v74, v74, 0, s5
	v_add_nc_u32_e32 v73, v73, v74
	ds_store_b32 v72, v73 offset:32768
.LBB228_53:
	s_or_b32 exec_lo, exec_lo, s24
	v_dual_mov_b32 v73, 0 :: v_dual_mov_b32 v72, 0
	s_wait_dscnt 0x0
	s_barrier_signal -1
	s_barrier_wait -1
	s_and_saveexec_b32 s2, s6
; %bb.54:
	ds_load_b32 v72, v71 offset:32764
; %bb.55:
	s_or_b32 exec_lo, exec_lo, s2
	v_sub_co_u32 v71, vcc_lo, v69, 1
	s_wait_dscnt 0x0
	v_add_nc_u32_e32 v70, v72, v70
	s_delay_alu instid0(VALU_DEP_2) | instskip(NEXT) | instid1(VALU_DEP_1)
	v_cmp_gt_i32_e64 s2, 0, v71
	v_cndmask_b32_e64 v69, v71, v69, s2
	v_cmp_gt_u32_e64 s2, 16, v0
	s_delay_alu instid0(VALU_DEP_2)
	v_lshlrev_b32_e32 v69, 2, v69
	ds_bpermute_b32 v69, v69, v70
	ds_load_b32 v70, v73 offset:32892
	ds_load_2addr_b64 v[74:77], v68 offset1:1
	ds_load_b32 v78, v68 offset:24
	s_wait_dscnt 0x3
	v_cndmask_b32_e32 v69, v69, v72, vcc_lo
	ds_load_b64 v[72:73], v68 offset:16
	v_cmp_lt_u32_e32 vcc_lo, 15, v0
	s_wait_dscnt 0x3
	v_lshl_add_u32 v70, v70, 16, v69
	s_wait_dscnt 0x2
	s_delay_alu instid0(VALU_DEP_1) | instskip(NEXT) | instid1(VALU_DEP_1)
	v_add_nc_u32_e32 v71, v70, v74
	v_add_nc_u32_e32 v74, v75, v71
	s_delay_alu instid0(VALU_DEP_1) | instskip(NEXT) | instid1(VALU_DEP_1)
	v_add_nc_u32_e32 v75, v76, v74
	v_add_nc_u32_e32 v76, v77, v75
	s_wait_dscnt 0x0
	s_delay_alu instid0(VALU_DEP_1) | instskip(NEXT) | instid1(VALU_DEP_1)
	v_add_nc_u32_e32 v77, v72, v76
	v_add_nc_u32_e32 v72, v73, v77
	s_delay_alu instid0(VALU_DEP_1)
	v_add_nc_u32_e32 v73, v78, v72
	ds_store_2addr_b64 v68, v[70:71], v[74:75] offset1:1
	ds_store_2addr_b64 v68, v[76:77], v[72:73] offset0:2 offset1:3
	s_wait_dscnt 0x0
	s_barrier_signal -1
	s_barrier_wait -1
	ds_load_u16 v68, v2
	ds_load_u16 v69, v3
	;; [unrolled: 1-line block ×22, first 2 shown]
	v_mov_b64_e32 v[2:3], 0
                                        ; implicit-def: $vgpr4
	s_and_saveexec_b32 s4, s2
	s_cbranch_execz .LBB228_59
; %bb.56:
	v_dual_lshlrev_b32 v2, 12, v0 :: v_dual_lshrrev_b32 v3, 2, v0
	v_add_nc_u32_e32 v4, 1, v0
	s_mov_b32 s5, exec_lo
	s_delay_alu instid0(VALU_DEP_2)
	v_bitop3_b32 v2, v2, 0x70fe, v3 bitop3:0xc8
	v_mov_b32_e32 v3, 0x5800
	ds_load_u16 v2, v2
	v_cmpx_ne_u32_e32 16, v4
; %bb.57:
	v_dual_lshlrev_b32 v3, 12, v4 :: v_dual_lshrrev_b32 v4, 2, v4
	s_delay_alu instid0(VALU_DEP_1)
	v_bitop3_b32 v3, v3, 0x71fe, v4 bitop3:0xc8
	ds_load_u16 v3, v3
; %bb.58:
	s_or_b32 exec_lo, exec_lo, s5
	s_wait_dscnt 0x0
	v_and_b32_e32 v2, 0xffff, v2
	s_mov_b32 s3, 0
	s_delay_alu instid0(VALU_DEP_1) | instid1(SALU_CYCLE_1)
	v_dual_mov_b32 v3, s3 :: v_dual_sub_nc_u32 v4, v3, v2
.LBB228_59:
	s_or_b32 exec_lo, exec_lo, s4
	s_wait_dscnt 0x15
	v_and_b32_e32 v68, 0xffff, v68
	v_and_b32_e32 v27, 0xffff, v27
	s_wait_dscnt 0x14
	v_and_b32_e32 v69, 0xffff, v69
	v_and_b32_e32 v28, 0xffff, v28
	;; [unrolled: 3-line block ×4, first 2 shown]
	v_dual_add_nc_u32 v27, v68, v27 :: v_dual_add_nc_u32 v28, v69, v28
	s_wait_dscnt 0x11
	v_and_b32_e32 v40, 0xffff, v40
	v_and_b32_e32 v31, 0xffff, v31
	s_wait_dscnt 0x10
	v_and_b32_e32 v42, 0xffff, v42
	v_and_b32_e32 v32, 0xffff, v32
	v_add_nc_u32_e32 v29, v70, v29
	s_wait_dscnt 0xf
	v_and_b32_e32 v44, 0xffff, v44
	v_and_b32_e32 v33, 0xffff, v33
	s_wait_dscnt 0xe
	v_and_b32_e32 v46, 0xffff, v46
	v_and_b32_e32 v34, 0xffff, v34
	;; [unrolled: 3-line block ×3, first 2 shown]
	s_wait_dscnt 0x0
	s_barrier_signal -1
	s_barrier_wait -1
	ds_store_b8 v27, v5 offset:128
	ds_store_b8 v28, v1 offset:128
	;; [unrolled: 1-line block ×3, first 2 shown]
	v_dual_add_nc_u32 v1, v38, v30 :: v_dual_add_nc_u32 v27, v44, v33
	v_and_b32_e32 v50, 0xffff, v50
	v_and_b32_e32 v36, 0xffff, v36
	v_add_nc_u32_e32 v5, v40, v31
	v_and_b32_e32 v52, 0xffff, v52
	v_and_b32_e32 v37, 0xffff, v37
	v_add_nc_u32_e32 v8, v42, v32
	v_and_b32_e32 v56, 0xffff, v56
	v_and_b32_e32 v39, 0xffff, v39
	;; [unrolled: 1-line block ×4, first 2 shown]
	v_add_nc_u32_e32 v28, v46, v34
	v_and_b32_e32 v58, 0xffff, v58
	v_and_b32_e32 v43, 0xffff, v43
	ds_store_b8 v1, v7 offset:128
	ds_store_b8 v5, v10 offset:128
	;; [unrolled: 1-line block ×5, first 2 shown]
	v_add_nc_u32_e32 v1, v48, v35
	v_and_b32_e32 v60, 0xffff, v60
	v_and_b32_e32 v45, 0xffff, v45
	v_dual_add_nc_u32 v5, v50, v36 :: v_dual_add_nc_u32 v8, v56, v39
	v_and_b32_e32 v61, 0xffff, v61
	v_and_b32_e32 v47, 0xffff, v47
	v_add_nc_u32_e32 v7, v52, v37
	v_and_b32_e32 v62, 0xffff, v62
	v_and_b32_e32 v49, 0xffff, v49
	;; [unrolled: 1-line block ×4, first 2 shown]
	v_add_nc_u32_e32 v9, v57, v41
	ds_store_b8 v1, v14 offset:128
	ds_store_b8 v5, v13 offset:128
	;; [unrolled: 1-line block ×5, first 2 shown]
	v_dual_add_nc_u32 v1, v58, v43 :: v_dual_add_nc_u32 v5, v60, v45
	v_dual_add_nc_u32 v7, v61, v47 :: v_dual_add_nc_u32 v8, v62, v49
	v_add_nc_u32_e32 v9, v63, v51
	v_and_b32_e32 v64, 0xffff, v64
	v_and_b32_e32 v67, 0xffff, v67
	;; [unrolled: 1-line block ×4, first 2 shown]
	ds_store_b8 v1, v17 offset:128
	ds_store_b8 v5, v20 offset:128
	;; [unrolled: 1-line block ×5, first 2 shown]
	v_mov_b32_e32 v9, 0
	v_and_b32_e32 v65, 0xffff, v65
	v_and_b32_e32 v54, 0xffff, v54
	;; [unrolled: 1-line block ×4, first 2 shown]
	v_dual_add_nc_u32 v7, v64, v53 :: v_dual_add_nc_u32 v11, v67, v59
	v_dual_mov_b32 v1, v9 :: v_dual_lshlrev_b32 v5, 3, v0
	s_delay_alu instid0(VALU_DEP_3)
	v_dual_add_nc_u32 v8, v65, v54 :: v_dual_add_nc_u32 v10, v66, v55
	s_not_b32 s3, s23
	ds_store_b8 v7, v24 offset:128
	ds_store_b8 v8, v23 offset:128
	;; [unrolled: 1-line block ×4, first 2 shown]
	s_and_saveexec_b32 s4, s2
	s_cbranch_execz .LBB228_69
; %bb.60:
	v_lshl_add_u32 v8, s19, 4, v0
	v_dual_mov_b32 v12, 0 :: v_dual_bitop2_b32 v7, 2.0, v4 bitop3:0x54
	s_mov_b32 s5, 0
	s_mov_b32 s6, s19
	s_delay_alu instid0(VALU_DEP_2)
	v_lshl_add_u64 v[10:11], v[8:9], 2, s[20:21]
	global_store_b32 v8, v7, s[20:21] scale_offset scope:SCOPE_DEV
                                        ; implicit-def: $sgpr2
	s_branch .LBB228_63
.LBB228_61:                             ;   in Loop: Header=BB228_63 Depth=1
	s_or_b32 exec_lo, exec_lo, s23
.LBB228_62:                             ;   in Loop: Header=BB228_63 Depth=1
	s_delay_alu instid0(SALU_CYCLE_1) | instskip(SKIP_2) | instid1(VALU_DEP_2)
	s_or_b32 exec_lo, exec_lo, s7
	v_and_b32_e32 v8, 0x3fffffff, v7
	v_cmp_gt_i32_e64 s2, -2.0, v7
	v_add_nc_u32_e32 v12, v8, v12
	s_and_b32 s7, exec_lo, s2
	s_delay_alu instid0(SALU_CYCLE_1) | instskip(NEXT) | instid1(SALU_CYCLE_1)
	s_or_b32 s5, s7, s5
	s_and_not1_b32 exec_lo, exec_lo, s5
	s_cbranch_execz .LBB228_68
.LBB228_63:                             ; =>This Loop Header: Depth=1
                                        ;     Child Loop BB228_66 Depth 2
	s_or_b32 s2, s2, exec_lo
	s_cmp_eq_u32 s6, 0
	s_cbranch_scc1 .LBB228_67
; %bb.64:                               ;   in Loop: Header=BB228_63 Depth=1
	s_add_co_i32 s6, s6, -1
	s_mov_b32 s7, exec_lo
	s_wait_xcnt 0x0
	v_lshl_or_b32 v8, s6, 4, v0
	global_load_b32 v7, v8, s[20:21] scale_offset scope:SCOPE_DEV
	s_wait_loadcnt 0x0
	v_cmpx_gt_u32_e32 2.0, v7
	s_cbranch_execz .LBB228_62
; %bb.65:                               ;   in Loop: Header=BB228_63 Depth=1
	v_lshl_add_u64 v[14:15], v[8:9], 2, s[20:21]
	s_mov_b32 s23, 0
.LBB228_66:                             ;   Parent Loop BB228_63 Depth=1
                                        ; =>  This Inner Loop Header: Depth=2
	global_load_b32 v7, v[14:15], off scope:SCOPE_DEV
	s_wait_loadcnt 0x0
	v_cmp_lt_u32_e64 s2, 0x3fffffff, v7
	s_or_b32 s23, s2, s23
	s_wait_xcnt 0x0
	s_and_not1_b32 exec_lo, exec_lo, s23
	s_cbranch_execnz .LBB228_66
	s_branch .LBB228_61
.LBB228_67:                             ;   in Loop: Header=BB228_63 Depth=1
                                        ; implicit-def: $sgpr6
	s_and_b32 s7, exec_lo, s2
	s_delay_alu instid0(SALU_CYCLE_1)
	s_or_b32 s5, s7, s5
	s_wait_xcnt 0x0
	s_and_not1_b32 exec_lo, exec_lo, s5
	s_cbranch_execnz .LBB228_63
.LBB228_68:
	s_or_b32 exec_lo, exec_lo, s5
	v_dual_add_nc_u32 v7, v12, v4 :: v_dual_mov_b32 v13, 0
	s_delay_alu instid0(VALU_DEP_1)
	v_or_b32_e32 v7, 0x80000000, v7
	global_store_b32 v[10:11], v7, off scope:SCOPE_DEV
	global_load_b64 v[8:9], v0, s[8:9] scale_offset
	s_wait_xcnt 0x1
	v_sub_nc_u64_e32 v[10:11], v[12:13], v[2:3]
	s_wait_loadcnt 0x0
	s_delay_alu instid0(VALU_DEP_1)
	v_add_nc_u64_e32 v[8:9], v[10:11], v[8:9]
	ds_store_b64 v5, v[8:9]
.LBB228_69:
	s_wait_xcnt 0x0
	s_or_b32 exec_lo, exec_lo, s4
	s_delay_alu instid0(SALU_CYCLE_1)
	s_mov_b32 s4, exec_lo
	s_wait_storecnt_dscnt 0x0
	s_barrier_signal -1
	s_barrier_wait -1
	v_cmpx_gt_u32_e64 s18, v0
	s_cbranch_execz .LBB228_71
; %bb.70:
	ds_load_u8 v7, v0 offset:128
	s_wait_dscnt 0x0
	v_and_b32_e32 v8, 0xff, v7
	s_delay_alu instid0(VALU_DEP_1) | instskip(NEXT) | instid1(VALU_DEP_1)
	v_lshrrev_b32_e32 v8, s16, v8
	v_and_b32_e32 v8, s3, v8
	s_delay_alu instid0(VALU_DEP_1) | instskip(SKIP_3) | instid1(VALU_DEP_1)
	v_lshlrev_b32_e32 v8, 3, v8
	ds_load_b64 v[8:9], v8
	s_wait_dscnt 0x0
	v_add_nc_u64_e32 v[8:9], s[14:15], v[8:9]
	v_add_nc_u64_e32 v[8:9], v[8:9], v[0:1]
	global_store_b8 v[8:9], v7, off
.LBB228_71:
	s_wait_xcnt 0x0
	s_or_b32 exec_lo, exec_lo, s4
	v_or_b32_e32 v7, 0x400, v0
	s_mov_b32 s4, exec_lo
	s_delay_alu instid0(VALU_DEP_1)
	v_cmpx_gt_u32_e64 s18, v7
	s_cbranch_execz .LBB228_73
; %bb.72:
	ds_load_u8 v7, v0 offset:1152
	s_wait_dscnt 0x0
	v_and_b32_e32 v8, 0xff, v7
	s_delay_alu instid0(VALU_DEP_1) | instskip(NEXT) | instid1(VALU_DEP_1)
	v_lshrrev_b32_e32 v8, s16, v8
	v_and_b32_e32 v8, s3, v8
	s_delay_alu instid0(VALU_DEP_1) | instskip(SKIP_3) | instid1(VALU_DEP_1)
	v_lshlrev_b32_e32 v8, 3, v8
	ds_load_b64 v[8:9], v8
	s_wait_dscnt 0x0
	v_add_nc_u64_e32 v[8:9], s[14:15], v[8:9]
	v_add_nc_u64_e32 v[8:9], v[8:9], v[0:1]
	global_store_b8 v[8:9], v7, off offset:1024
.LBB228_73:
	s_wait_xcnt 0x0
	s_or_b32 exec_lo, exec_lo, s4
	v_or_b32_e32 v7, 0x800, v0
	s_mov_b32 s4, exec_lo
	s_delay_alu instid0(VALU_DEP_1)
	v_cmpx_gt_u32_e64 s18, v7
	s_cbranch_execz .LBB228_75
; %bb.74:
	ds_load_u8 v7, v0 offset:2176
	s_wait_dscnt 0x0
	v_and_b32_e32 v8, 0xff, v7
	s_delay_alu instid0(VALU_DEP_1) | instskip(NEXT) | instid1(VALU_DEP_1)
	v_lshrrev_b32_e32 v8, s16, v8
	v_and_b32_e32 v8, s3, v8
	s_delay_alu instid0(VALU_DEP_1) | instskip(SKIP_3) | instid1(VALU_DEP_1)
	v_lshlrev_b32_e32 v8, 3, v8
	ds_load_b64 v[8:9], v8
	s_wait_dscnt 0x0
	v_add_nc_u64_e32 v[8:9], s[14:15], v[8:9]
	v_add_nc_u64_e32 v[8:9], v[8:9], v[0:1]
	global_store_b8 v[8:9], v7, off offset:2048
.LBB228_75:
	;; [unrolled: 22-line block ×21, first 2 shown]
	s_wait_xcnt 0x0
	s_or_b32 exec_lo, exec_lo, s4
	s_load_b32 s2, s[0:1], 0x58
	s_wait_kmcnt 0x0
	s_add_co_i32 s2, s2, -1
	s_delay_alu instid0(SALU_CYCLE_1) | instskip(SKIP_2) | instid1(SALU_CYCLE_1)
	s_cmp_eq_u32 s19, s2
	s_cselect_b32 s2, -1, 0
	s_xor_b32 s3, vcc_lo, -1
	s_and_b32 s3, s3, s2
	s_delay_alu instid0(SALU_CYCLE_1)
	s_and_saveexec_b32 s2, s3
	s_cbranch_execz .LBB228_115
; %bb.114:
	ds_load_b64 v[8:9], v5
	v_mov_b32_e32 v5, 0
	s_delay_alu instid0(VALU_DEP_1) | instskip(SKIP_1) | instid1(VALU_DEP_1)
	v_add_nc_u64_e32 v[2:3], v[2:3], v[4:5]
	s_wait_dscnt 0x0
	v_add_nc_u64_e32 v[2:3], v[2:3], v[8:9]
	global_store_b64 v0, v[2:3], s[10:11] scale_offset
.LBB228_115:
	s_wait_xcnt 0x0
	s_or_b32 exec_lo, exec_lo, s2
	s_mov_b32 s3, 0
.LBB228_116:
	s_delay_alu instid0(SALU_CYCLE_1)
	s_and_b32 vcc_lo, exec_lo, s3
	s_cbranch_vccz .LBB228_139
; %bb.117:
	s_mov_b32 s23, 0
	s_mov_b32 s7, exec_lo
	s_add_nc_u64 s[2:3], s[12:13], s[22:23]
	s_lshl_b32 s12, -1, s17
	s_clause 0x2
	global_load_b128 v[2:5], v6, s[2:3]
	global_load_b32 v8, v6, s[2:3] offset:16
	global_load_u16 v11, v6, s[2:3] offset:20
	v_lshlrev_b32_e32 v7, 2, v0
	s_wait_loadcnt 0x2
	v_and_b32_e32 v1, 0xff, v2
	v_bfe_u32 v10, v2, 8, 8
	v_bfe_u32 v18, v3, 8, 8
	v_and_b32_e32 v13, 0xff, v3
	v_bfe_u32 v20, v3, 16, 8
	v_lshrrev_b32_e32 v1, s16, v1
	v_and_b32_e32 v23, 0xff, v4
	v_and_b32_e32 v30, 0xff, v5
	s_wait_loadcnt 0x1
	v_and_b32_e32 v40, 0xff, v8
	v_bitop3_b32 v1, v1, s12, v1 bitop3:0x30
	s_wait_xcnt 0x0
	s_delay_alu instid0(VALU_DEP_1) | instskip(SKIP_1) | instid1(VALU_DEP_2)
	v_dual_lshlrev_b32 v6, 10, v1 :: v_dual_lshrrev_b32 v1, 2, v1
	v_mov_b32_e32 v9, 0
	v_and_or_b32 v6, 0x1c00, v6, v0
	s_delay_alu instid0(VALU_DEP_3)
	v_and_b32_e32 v1, 62, v1
	ds_store_2addr_stride64_b32 v7, v9, v9 offset1:16
	ds_store_2addr_stride64_b32 v7, v9, v9 offset0:32 offset1:48
	ds_store_2addr_stride64_b32 v7, v9, v9 offset0:64 offset1:80
	ds_store_2addr_stride64_b32 v7, v9, v9 offset0:96 offset1:112
	v_bfe_u32 v9, v2, 16, 8
	v_lshl_add_u32 v6, v6, 2, v1
	v_lshrrev_b32_e32 v1, s16, v10
	ds_load_u16 v14, v6
	v_bitop3_b32 v1, v1, s12, v1 bitop3:0x30
	s_delay_alu instid0(VALU_DEP_1) | instskip(NEXT) | instid1(VALU_DEP_1)
	v_dual_lshlrev_b32 v7, 10, v1 :: v_dual_lshrrev_b32 v1, 2, v1
	v_and_or_b32 v7, 0x1c00, v7, v0
	s_delay_alu instid0(VALU_DEP_2) | instskip(NEXT) | instid1(VALU_DEP_1)
	v_and_b32_e32 v1, 62, v1
	v_lshl_add_u32 v7, v7, 2, v1
	v_lshrrev_b32_e32 v1, s16, v9
	s_wait_dscnt 0x0
	v_add_nc_u16 v10, v14, 1
	s_delay_alu instid0(VALU_DEP_2) | instskip(SKIP_3) | instid1(VALU_DEP_1)
	v_bitop3_b32 v1, v1, s12, v1 bitop3:0x30
	ds_store_b16 v6, v10
	ds_load_u16 v15, v7
	v_dual_lshlrev_b32 v9, 10, v1 :: v_dual_lshrrev_b32 v1, 2, v1
	v_and_or_b32 v9, 0x1c00, v9, v0
	s_delay_alu instid0(VALU_DEP_2) | instskip(NEXT) | instid1(VALU_DEP_1)
	v_dual_lshrrev_b32 v1, 24, v2 :: v_dual_bitop2_b32 v10, 62, v1 bitop3:0x40
	v_lshl_add_u32 v10, v9, 2, v10
	s_delay_alu instid0(VALU_DEP_2) | instskip(NEXT) | instid1(VALU_DEP_1)
	v_lshrrev_b32_e32 v9, s16, v1
	v_bitop3_b32 v9, v9, s12, v9 bitop3:0x30
	s_wait_dscnt 0x0
	v_add_nc_u16 v12, v15, 1
	ds_store_b16 v7, v12
	ds_load_u16 v16, v10
	v_dual_lshlrev_b32 v12, 10, v9 :: v_dual_lshrrev_b32 v9, 2, v9
	s_delay_alu instid0(VALU_DEP_1) | instskip(NEXT) | instid1(VALU_DEP_2)
	v_and_or_b32 v12, 0x1c00, v12, v0
	v_and_b32_e32 v9, 62, v9
	s_delay_alu instid0(VALU_DEP_1) | instskip(SKIP_1) | instid1(VALU_DEP_1)
	v_lshl_add_u32 v12, v12, 2, v9
	v_lshrrev_b32_e32 v9, s16, v13
	v_bitop3_b32 v9, v9, s12, v9 bitop3:0x30
	s_wait_dscnt 0x0
	v_add_nc_u16 v17, v16, 1
	s_delay_alu instid0(VALU_DEP_2) | instskip(SKIP_4) | instid1(VALU_DEP_1)
	v_dual_lshlrev_b32 v13, 10, v9 :: v_dual_lshrrev_b32 v9, 2, v9
	ds_store_b16 v10, v17
	ds_load_u16 v17, v12
	v_and_or_b32 v13, 0x1c00, v13, v0
	v_and_b32_e32 v9, 62, v9
	v_lshl_add_u32 v13, v13, 2, v9
	v_lshrrev_b32_e32 v9, s16, v18
	s_delay_alu instid0(VALU_DEP_1) | instskip(NEXT) | instid1(VALU_DEP_1)
	v_bitop3_b32 v9, v9, s12, v9 bitop3:0x30
	v_dual_lshlrev_b32 v18, 10, v9 :: v_dual_lshrrev_b32 v9, 2, v9
	s_wait_dscnt 0x0
	v_add_nc_u16 v19, v17, 1
	s_delay_alu instid0(VALU_DEP_2) | instskip(NEXT) | instid1(VALU_DEP_3)
	v_and_or_b32 v18, 0x1c00, v18, v0
	v_and_b32_e32 v9, 62, v9
	ds_store_b16 v12, v19
	ds_load_u16 v19, v13
	v_lshl_add_u32 v26, v18, 2, v9
	v_lshrrev_b32_e32 v9, s16, v20
	s_delay_alu instid0(VALU_DEP_1) | instskip(NEXT) | instid1(VALU_DEP_1)
	v_bitop3_b32 v9, v9, s12, v9 bitop3:0x30
	v_dual_lshlrev_b32 v18, 10, v9 :: v_dual_lshrrev_b32 v9, 2, v9
	s_delay_alu instid0(VALU_DEP_1)
	v_and_b32_e32 v9, 62, v9
	s_wait_dscnt 0x0
	v_add_nc_u16 v21, v19, 1
	ds_store_b16 v13, v21
	ds_load_u16 v20, v26
	v_and_or_b32 v21, 0x1c00, v18, v0
	v_lshrrev_b32_e32 v18, 24, v3
	s_delay_alu instid0(VALU_DEP_2) | instskip(NEXT) | instid1(VALU_DEP_2)
	v_lshl_add_u32 v28, v21, 2, v9
	v_lshrrev_b32_e32 v9, s16, v18
	s_delay_alu instid0(VALU_DEP_1)
	v_bitop3_b32 v9, v9, s12, v9 bitop3:0x30
	s_wait_dscnt 0x0
	v_add_nc_u16 v22, v20, 1
	ds_store_b16 v26, v22
	ds_load_u16 v21, v28
	v_dual_lshlrev_b32 v22, 10, v9 :: v_dual_lshrrev_b32 v9, 2, v9
	s_delay_alu instid0(VALU_DEP_1) | instskip(NEXT) | instid1(VALU_DEP_2)
	v_and_or_b32 v22, 0x1c00, v22, v0
	v_and_b32_e32 v9, 62, v9
	s_delay_alu instid0(VALU_DEP_1) | instskip(SKIP_1) | instid1(VALU_DEP_1)
	v_lshl_add_u32 v31, v22, 2, v9
	v_lshrrev_b32_e32 v9, s16, v23
	v_bitop3_b32 v9, v9, s12, v9 bitop3:0x30
	s_wait_dscnt 0x0
	v_add_nc_u16 v24, v21, 1
	s_delay_alu instid0(VALU_DEP_2)
	v_dual_lshlrev_b32 v23, 10, v9 :: v_dual_lshrrev_b32 v9, 2, v9
	ds_store_b16 v28, v24
	ds_load_u16 v22, v31
	v_bfe_u32 v24, v4, 8, 8
	v_and_or_b32 v23, 0x1c00, v23, v0
	v_and_b32_e32 v9, 62, v9
	s_delay_alu instid0(VALU_DEP_1) | instskip(NEXT) | instid1(VALU_DEP_4)
	v_lshl_add_u32 v33, v23, 2, v9
	v_lshrrev_b32_e32 v9, s16, v24
	s_delay_alu instid0(VALU_DEP_1) | instskip(NEXT) | instid1(VALU_DEP_1)
	v_bitop3_b32 v9, v9, s12, v9 bitop3:0x30
	v_dual_lshlrev_b32 v23, 10, v9 :: v_dual_lshrrev_b32 v9, 2, v9
	s_wait_dscnt 0x0
	v_add_nc_u16 v25, v22, 1
	s_delay_alu instid0(VALU_DEP_2) | instskip(NEXT) | instid1(VALU_DEP_3)
	v_and_or_b32 v23, 0x1c00, v23, v0
	v_and_b32_e32 v9, 62, v9
	ds_store_b16 v31, v25
	ds_load_u16 v24, v33
	v_bfe_u32 v25, v4, 16, 8
	v_lshl_add_u32 v35, v23, 2, v9
	s_delay_alu instid0(VALU_DEP_2) | instskip(NEXT) | instid1(VALU_DEP_1)
	v_lshrrev_b32_e32 v9, s16, v25
	v_bitop3_b32 v9, v9, s12, v9 bitop3:0x30
	s_delay_alu instid0(VALU_DEP_1) | instskip(SKIP_2) | instid1(VALU_DEP_2)
	v_dual_lshlrev_b32 v23, 10, v9 :: v_dual_lshrrev_b32 v9, 2, v9
	s_wait_dscnt 0x0
	v_add_nc_u16 v27, v24, 1
	v_and_b32_e32 v9, 62, v9
	ds_store_b16 v33, v27
	ds_load_u16 v25, v35
	v_and_or_b32 v27, 0x1c00, v23, v0
	v_lshrrev_b32_e32 v23, 24, v4
	s_delay_alu instid0(VALU_DEP_2) | instskip(NEXT) | instid1(VALU_DEP_2)
	v_lshl_add_u32 v37, v27, 2, v9
	v_lshrrev_b32_e32 v9, s16, v23
	s_delay_alu instid0(VALU_DEP_1)
	v_bitop3_b32 v9, v9, s12, v9 bitop3:0x30
	s_wait_dscnt 0x0
	v_add_nc_u16 v29, v25, 1
	ds_store_b16 v35, v29
	ds_load_u16 v27, v37
	v_dual_lshlrev_b32 v29, 10, v9 :: v_dual_lshrrev_b32 v9, 2, v9
	s_delay_alu instid0(VALU_DEP_1) | instskip(NEXT) | instid1(VALU_DEP_2)
	v_and_or_b32 v29, 0x1c00, v29, v0
	v_and_b32_e32 v9, 62, v9
	s_delay_alu instid0(VALU_DEP_1) | instskip(SKIP_1) | instid1(VALU_DEP_1)
	v_lshl_add_u32 v39, v29, 2, v9
	v_lshrrev_b32_e32 v9, s16, v30
	v_bitop3_b32 v9, v9, s12, v9 bitop3:0x30
	s_wait_dscnt 0x0
	v_add_nc_u16 v32, v27, 1
	s_delay_alu instid0(VALU_DEP_2)
	v_dual_lshlrev_b32 v29, 10, v9 :: v_dual_lshrrev_b32 v9, 2, v9
	ds_store_b16 v37, v32
	ds_load_u16 v30, v39
	v_bfe_u32 v32, v5, 8, 8
	v_and_or_b32 v29, 0x1c00, v29, v0
	v_and_b32_e32 v9, 62, v9
	s_delay_alu instid0(VALU_DEP_1) | instskip(NEXT) | instid1(VALU_DEP_4)
	v_lshl_add_u32 v41, v29, 2, v9
	v_lshrrev_b32_e32 v9, s16, v32
	s_delay_alu instid0(VALU_DEP_1) | instskip(NEXT) | instid1(VALU_DEP_1)
	v_bitop3_b32 v9, v9, s12, v9 bitop3:0x30
	v_dual_lshlrev_b32 v29, 10, v9 :: v_dual_lshrrev_b32 v9, 2, v9
	s_wait_dscnt 0x0
	v_add_nc_u16 v34, v30, 1
	s_delay_alu instid0(VALU_DEP_2) | instskip(NEXT) | instid1(VALU_DEP_3)
	v_and_or_b32 v29, 0x1c00, v29, v0
	v_and_b32_e32 v9, 62, v9
	ds_store_b16 v39, v34
	ds_load_u16 v32, v41
	v_bfe_u32 v34, v5, 16, 8
	v_lshl_add_u32 v44, v29, 2, v9
	s_delay_alu instid0(VALU_DEP_2) | instskip(NEXT) | instid1(VALU_DEP_1)
	v_lshrrev_b32_e32 v9, s16, v34
	v_bitop3_b32 v9, v9, s12, v9 bitop3:0x30
	s_delay_alu instid0(VALU_DEP_1) | instskip(SKIP_2) | instid1(VALU_DEP_2)
	v_dual_lshlrev_b32 v29, 10, v9 :: v_dual_lshrrev_b32 v9, 2, v9
	s_wait_dscnt 0x0
	v_add_nc_u16 v36, v32, 1
	v_and_b32_e32 v9, 62, v9
	ds_store_b16 v41, v36
	ds_load_u16 v34, v44
	v_and_or_b32 v36, 0x1c00, v29, v0
	v_lshrrev_b32_e32 v29, 24, v5
	s_delay_alu instid0(VALU_DEP_2) | instskip(NEXT) | instid1(VALU_DEP_2)
	v_lshl_add_u32 v45, v36, 2, v9
	v_lshrrev_b32_e32 v9, s16, v29
	s_delay_alu instid0(VALU_DEP_1)
	v_bitop3_b32 v9, v9, s12, v9 bitop3:0x30
	s_wait_dscnt 0x0
	v_add_nc_u16 v38, v34, 1
	ds_store_b16 v44, v38
	ds_load_u16 v36, v45
	v_dual_lshlrev_b32 v38, 10, v9 :: v_dual_lshrrev_b32 v9, 2, v9
	s_delay_alu instid0(VALU_DEP_1) | instskip(NEXT) | instid1(VALU_DEP_2)
	v_and_or_b32 v38, 0x1c00, v38, v0
	v_and_b32_e32 v9, 62, v9
	s_delay_alu instid0(VALU_DEP_1) | instskip(SKIP_1) | instid1(VALU_DEP_1)
	v_lshl_add_u32 v47, v38, 2, v9
	v_lshrrev_b32_e32 v9, s16, v40
	v_bitop3_b32 v9, v9, s12, v9 bitop3:0x30
	s_wait_dscnt 0x0
	v_add_nc_u16 v42, v36, 1
	s_delay_alu instid0(VALU_DEP_2)
	v_dual_lshlrev_b32 v40, 10, v9 :: v_dual_lshrrev_b32 v9, 2, v9
	ds_store_b16 v45, v42
	ds_load_u16 v38, v47
	v_bfe_u32 v42, v8, 8, 8
	v_and_or_b32 v40, 0x1c00, v40, v0
	v_and_b32_e32 v9, 62, v9
	s_delay_alu instid0(VALU_DEP_1) | instskip(NEXT) | instid1(VALU_DEP_4)
	v_lshl_add_u32 v50, v40, 2, v9
	v_lshrrev_b32_e32 v9, s16, v42
	s_delay_alu instid0(VALU_DEP_1) | instskip(NEXT) | instid1(VALU_DEP_1)
	v_bitop3_b32 v9, v9, s12, v9 bitop3:0x30
	v_dual_lshlrev_b32 v42, 10, v9 :: v_dual_lshrrev_b32 v9, 2, v9
	s_wait_dscnt 0x0
	v_add_nc_u16 v43, v38, 1
	s_delay_alu instid0(VALU_DEP_2) | instskip(NEXT) | instid1(VALU_DEP_3)
	v_and_or_b32 v42, 0x1c00, v42, v0
	v_and_b32_e32 v9, 62, v9
	ds_store_b16 v47, v43
	ds_load_u16 v40, v50
	v_bfe_u32 v43, v8, 16, 8
	v_lshl_add_u32 v52, v42, 2, v9
	s_delay_alu instid0(VALU_DEP_2) | instskip(NEXT) | instid1(VALU_DEP_1)
	v_lshrrev_b32_e32 v9, s16, v43
	v_bitop3_b32 v42, v9, s12, v9 bitop3:0x30
	s_wait_loadcnt 0x0
	v_and_b32_e32 v9, 0xffff, v11
	s_delay_alu instid0(VALU_DEP_1) | instskip(SKIP_2) | instid1(VALU_DEP_2)
	v_alignbit_b32 v48, v9, v8, 24
	s_wait_dscnt 0x0
	v_add_nc_u16 v46, v40, 1
	v_and_b32_e32 v48, 0xff, v48
	ds_store_b16 v50, v46
	ds_load_u16 v43, v52
	v_dual_lshlrev_b32 v46, 10, v42 :: v_dual_lshrrev_b32 v42, 2, v42
	s_delay_alu instid0(VALU_DEP_1) | instskip(NEXT) | instid1(VALU_DEP_2)
	v_and_or_b32 v46, 0x1c00, v46, v0
	v_and_b32_e32 v42, 62, v42
	s_delay_alu instid0(VALU_DEP_1) | instskip(SKIP_1) | instid1(VALU_DEP_1)
	v_lshl_add_u32 v53, v46, 2, v42
	v_lshrrev_b32_e32 v42, s16, v48
	v_bitop3_b32 v42, v42, s12, v42 bitop3:0x30
	s_wait_dscnt 0x0
	v_add_nc_u16 v49, v43, 1
	s_delay_alu instid0(VALU_DEP_2)
	v_dual_lshlrev_b32 v48, 10, v42 :: v_dual_lshrrev_b32 v42, 2, v42
	ds_store_b16 v52, v49
	ds_load_u16 v46, v53
	v_and_b32_e32 v49, 0xff, v9
	v_and_or_b32 v48, 0x1c00, v48, v0
	v_and_b32_e32 v42, 62, v42
	s_delay_alu instid0(VALU_DEP_1) | instskip(NEXT) | instid1(VALU_DEP_4)
	v_lshl_add_u32 v54, v48, 2, v42
	v_lshrrev_b32_e32 v42, s16, v49
	s_delay_alu instid0(VALU_DEP_1) | instskip(NEXT) | instid1(VALU_DEP_1)
	v_bitop3_b32 v42, v42, s12, v42 bitop3:0x30
	v_lshlrev_b32_e32 v49, 10, v42
	s_wait_dscnt 0x0
	v_add_nc_u16 v51, v46, 1
	v_lshrrev_b32_e32 v42, 2, v42
	s_delay_alu instid0(VALU_DEP_3) | instskip(SKIP_3) | instid1(VALU_DEP_1)
	v_and_or_b32 v49, 0x1c00, v49, v0
	ds_store_b16 v53, v51
	ds_load_u16 v48, v54
	v_dual_lshrrev_b32 v42, 8, v9 :: v_dual_bitop2_b32 v51, 62, v42 bitop3:0x40
	v_lshl_add_u32 v55, v49, 2, v51
	s_delay_alu instid0(VALU_DEP_2) | instskip(NEXT) | instid1(VALU_DEP_1)
	v_lshrrev_b32_e32 v51, s16, v42
	v_bitop3_b32 v51, v51, s12, v51 bitop3:0x30
	s_wait_dscnt 0x0
	v_add_nc_u16 v56, v48, 1
	ds_store_b16 v54, v56
	ds_load_u16 v49, v55
	v_dual_lshlrev_b32 v56, 10, v51 :: v_dual_lshrrev_b32 v51, 2, v51
	s_delay_alu instid0(VALU_DEP_1) | instskip(NEXT) | instid1(VALU_DEP_2)
	v_and_or_b32 v56, 0x1c00, v56, v0
	v_and_b32_e32 v51, 62, v51
	s_delay_alu instid0(VALU_DEP_1)
	v_lshl_add_u32 v56, v56, 2, v51
	s_wait_dscnt 0x0
	v_add_nc_u16 v57, v49, 1
	ds_store_b16 v55, v57
	ds_load_u16 v51, v56
	v_lshlrev_b32_e32 v57, 5, v0
	s_wait_dscnt 0x0
	v_add_nc_u16 v58, v51, 1
	ds_store_b16 v56, v58
	s_wait_storecnt_dscnt 0x0
	s_barrier_signal -1
	s_barrier_wait -1
	ds_load_2addr_b64 v[58:61], v57 offset1:1
	ds_load_2addr_b64 v[62:65], v57 offset0:2 offset1:3
	s_wait_dscnt 0x1
	v_add_nc_u32_e32 v58, v59, v58
	s_delay_alu instid0(VALU_DEP_1) | instskip(SKIP_1) | instid1(VALU_DEP_1)
	v_add3_u32 v58, v58, v60, v61
	s_wait_dscnt 0x0
	v_add3_u32 v59, v58, v62, v63
	v_mbcnt_lo_u32_b32 v58, -1, 0
	v_and_b32_e32 v62, 31, v0
	s_delay_alu instid0(VALU_DEP_3) | instskip(NEXT) | instid1(VALU_DEP_3)
	v_add3_u32 v59, v59, v64, v65
	v_and_b32_e32 v60, 15, v58
	v_and_b32_e32 v63, 16, v58
	s_delay_alu instid0(VALU_DEP_3) | instskip(NEXT) | instid1(VALU_DEP_3)
	v_mov_b32_dpp v61, v59 row_shr:1 row_mask:0xf bank_mask:0xf
	v_cmp_eq_u32_e32 vcc_lo, 0, v60
	v_cmp_lt_u32_e64 s2, 1, v60
	v_cmp_lt_u32_e64 s3, 3, v60
	v_cmp_lt_u32_e64 s4, 7, v60
	v_cmp_eq_u32_e64 s5, 0, v63
	v_cndmask_b32_e64 v61, v61, 0, vcc_lo
	s_delay_alu instid0(VALU_DEP_1) | instskip(NEXT) | instid1(VALU_DEP_1)
	v_add_nc_u32_e32 v59, v61, v59
	v_mov_b32_dpp v61, v59 row_shr:2 row_mask:0xf bank_mask:0xf
	s_delay_alu instid0(VALU_DEP_1) | instskip(NEXT) | instid1(VALU_DEP_1)
	v_cndmask_b32_e64 v61, 0, v61, s2
	v_add_nc_u32_e32 v59, v59, v61
	s_delay_alu instid0(VALU_DEP_1) | instskip(NEXT) | instid1(VALU_DEP_1)
	v_mov_b32_dpp v61, v59 row_shr:4 row_mask:0xf bank_mask:0xf
	v_cndmask_b32_e64 v61, 0, v61, s3
	s_delay_alu instid0(VALU_DEP_1) | instskip(NEXT) | instid1(VALU_DEP_1)
	v_add_nc_u32_e32 v59, v59, v61
	v_mov_b32_dpp v61, v59 row_shr:8 row_mask:0xf bank_mask:0xf
	s_delay_alu instid0(VALU_DEP_1) | instskip(SKIP_1) | instid1(VALU_DEP_2)
	v_cndmask_b32_e64 v60, 0, v61, s4
	v_bfe_i32 v61, v58, 4, 1
	v_add_nc_u32_e32 v59, v59, v60
	ds_swizzle_b32 v60, v59 offset:swizzle(BROADCAST,32,15)
	s_wait_dscnt 0x0
	v_and_b32_e32 v60, v61, v60
	v_lshrrev_b32_e32 v61, 5, v0
	s_delay_alu instid0(VALU_DEP_1)
	v_dual_add_nc_u32 v59, v59, v60 :: v_dual_lshlrev_b32 v60, 2, v61
	v_cmpx_eq_u32_e32 31, v62
; %bb.118:
	ds_store_b32 v60, v59 offset:32768
; %bb.119:
	s_or_b32 exec_lo, exec_lo, s7
	v_cmp_lt_u32_e64 s6, 31, v0
	s_mov_b32 s13, exec_lo
	s_wait_dscnt 0x0
	s_barrier_signal -1
	s_barrier_wait -1
	v_cmpx_gt_u32_e32 32, v0
	s_cbranch_execz .LBB228_121
; %bb.120:
	v_mad_i32_i24 v61, 0xffffffe4, v0, v57
	ds_load_b32 v62, v61 offset:32768
	s_wait_dscnt 0x0
	v_mov_b32_dpp v63, v62 row_shr:1 row_mask:0xf bank_mask:0xf
	s_delay_alu instid0(VALU_DEP_1) | instskip(NEXT) | instid1(VALU_DEP_1)
	v_cndmask_b32_e64 v63, v63, 0, vcc_lo
	v_add_nc_u32_e32 v62, v63, v62
	s_delay_alu instid0(VALU_DEP_1) | instskip(NEXT) | instid1(VALU_DEP_1)
	v_mov_b32_dpp v63, v62 row_shr:2 row_mask:0xf bank_mask:0xf
	v_cndmask_b32_e64 v63, 0, v63, s2
	s_delay_alu instid0(VALU_DEP_1) | instskip(NEXT) | instid1(VALU_DEP_1)
	v_add_nc_u32_e32 v62, v62, v63
	v_mov_b32_dpp v63, v62 row_shr:4 row_mask:0xf bank_mask:0xf
	s_delay_alu instid0(VALU_DEP_1) | instskip(NEXT) | instid1(VALU_DEP_1)
	v_cndmask_b32_e64 v63, 0, v63, s3
	v_add_nc_u32_e32 v62, v62, v63
	s_delay_alu instid0(VALU_DEP_1) | instskip(NEXT) | instid1(VALU_DEP_1)
	v_mov_b32_dpp v63, v62 row_shr:8 row_mask:0xf bank_mask:0xf
	v_cndmask_b32_e64 v63, 0, v63, s4
	s_delay_alu instid0(VALU_DEP_1) | instskip(SKIP_3) | instid1(VALU_DEP_1)
	v_add_nc_u32_e32 v62, v62, v63
	ds_swizzle_b32 v63, v62 offset:swizzle(BROADCAST,32,15)
	s_wait_dscnt 0x0
	v_cndmask_b32_e64 v63, v63, 0, s5
	v_add_nc_u32_e32 v62, v62, v63
	ds_store_b32 v61, v62 offset:32768
.LBB228_121:
	s_or_b32 exec_lo, exec_lo, s13
	v_dual_mov_b32 v62, 0 :: v_dual_mov_b32 v61, 0
	s_wait_dscnt 0x0
	s_barrier_signal -1
	s_barrier_wait -1
	s_and_saveexec_b32 s2, s6
; %bb.122:
	ds_load_b32 v61, v60 offset:32764
; %bb.123:
	s_or_b32 exec_lo, exec_lo, s2
	v_sub_co_u32 v60, vcc_lo, v58, 1
	s_wait_dscnt 0x0
	v_add_nc_u32_e32 v59, v61, v59
	s_delay_alu instid0(VALU_DEP_2) | instskip(NEXT) | instid1(VALU_DEP_1)
	v_cmp_gt_i32_e64 s2, 0, v60
	v_cndmask_b32_e64 v58, v60, v58, s2
	v_cmp_gt_u32_e64 s2, 16, v0
	s_delay_alu instid0(VALU_DEP_2)
	v_lshlrev_b32_e32 v58, 2, v58
	ds_bpermute_b32 v58, v58, v59
	ds_load_b32 v59, v62 offset:32892
	ds_load_2addr_b64 v[62:65], v57 offset1:1
	ds_load_b32 v66, v57 offset:24
	s_wait_dscnt 0x3
	v_cndmask_b32_e32 v58, v58, v61, vcc_lo
	ds_load_b64 v[60:61], v57 offset:16
	v_cmp_lt_u32_e32 vcc_lo, 15, v0
	s_wait_dscnt 0x3
	v_lshl_add_u32 v58, v59, 16, v58
	s_wait_dscnt 0x2
	s_delay_alu instid0(VALU_DEP_1) | instskip(NEXT) | instid1(VALU_DEP_1)
	v_add_nc_u32_e32 v59, v58, v62
	v_add_nc_u32_e32 v62, v63, v59
	s_delay_alu instid0(VALU_DEP_1) | instskip(NEXT) | instid1(VALU_DEP_1)
	v_add_nc_u32_e32 v63, v64, v62
	v_add_nc_u32_e32 v64, v65, v63
	s_wait_dscnt 0x0
	s_delay_alu instid0(VALU_DEP_1) | instskip(NEXT) | instid1(VALU_DEP_1)
	v_add_nc_u32_e32 v65, v60, v64
	v_add_nc_u32_e32 v60, v61, v65
	s_delay_alu instid0(VALU_DEP_1)
	v_add_nc_u32_e32 v61, v66, v60
	ds_store_2addr_b64 v57, v[58:59], v[62:63] offset1:1
	ds_store_2addr_b64 v57, v[64:65], v[60:61] offset0:2 offset1:3
	s_wait_dscnt 0x0
	s_barrier_signal -1
	s_barrier_wait -1
	ds_load_u16 v57, v6
	ds_load_u16 v58, v7
	;; [unrolled: 1-line block ×22, first 2 shown]
	v_lshrrev_b64 v[12:13], 24, v[8:9]
	v_mov_b64_e32 v[6:7], 0
                                        ; implicit-def: $vgpr10
	s_and_saveexec_b32 s4, s2
	s_cbranch_execz .LBB228_127
; %bb.124:
	v_dual_lshlrev_b32 v6, 12, v0 :: v_dual_lshrrev_b32 v7, 2, v0
	v_add_nc_u32_e32 v9, 1, v0
	s_mov_b32 s5, exec_lo
	s_delay_alu instid0(VALU_DEP_2)
	v_bitop3_b32 v6, v6, 0x70fe, v7 bitop3:0xc8
	v_mov_b32_e32 v7, 0x5800
	ds_load_u16 v6, v6
	v_cmpx_ne_u32_e32 16, v9
; %bb.125:
	v_dual_lshlrev_b32 v7, 12, v9 :: v_dual_lshrrev_b32 v9, 2, v9
	s_delay_alu instid0(VALU_DEP_1)
	v_bitop3_b32 v7, v7, 0x71fe, v9 bitop3:0xc8
	ds_load_u16 v7, v7
; %bb.126:
	s_or_b32 exec_lo, exec_lo, s5
	s_wait_dscnt 0x0
	v_and_b32_e32 v6, 0xffff, v6
	s_mov_b32 s3, 0
	s_delay_alu instid0(VALU_DEP_1) | instid1(SALU_CYCLE_1)
	v_dual_mov_b32 v7, s3 :: v_dual_sub_nc_u32 v10, v7, v6
.LBB228_127:
	s_or_b32 exec_lo, exec_lo, s4
	s_wait_dscnt 0x15
	v_and_b32_e32 v57, 0xffff, v57
	v_and_b32_e32 v14, 0xffff, v14
	s_wait_dscnt 0x14
	v_and_b32_e32 v58, 0xffff, v58
	v_and_b32_e32 v15, 0xffff, v15
	;; [unrolled: 3-line block ×4, first 2 shown]
	v_dual_add_nc_u32 v14, v57, v14 :: v_dual_add_nc_u32 v15, v58, v15
	v_dual_lshrrev_b32 v68, 8, v2 :: v_dual_lshrrev_b32 v69, 16, v2
	s_wait_dscnt 0x11
	v_and_b32_e32 v61, 0xffff, v61
	v_and_b32_e32 v19, 0xffff, v19
	s_wait_dscnt 0x10
	v_and_b32_e32 v62, 0xffff, v62
	v_and_b32_e32 v20, 0xffff, v20
	v_add_nc_u32_e32 v16, v59, v16
	s_wait_dscnt 0xf
	v_and_b32_e32 v63, 0xffff, v63
	v_and_b32_e32 v21, 0xffff, v21
	s_wait_dscnt 0xe
	v_and_b32_e32 v64, 0xffff, v64
	v_and_b32_e32 v22, 0xffff, v22
	;; [unrolled: 3-line block ×3, first 2 shown]
	s_wait_dscnt 0x0
	s_barrier_signal -1
	s_barrier_wait -1
	ds_store_b8 v14, v2 offset:128
	ds_store_b8 v15, v68 offset:128
	;; [unrolled: 1-line block ×3, first 2 shown]
	v_add_nc_u32_e32 v2, v60, v17
	v_and_b32_e32 v35, 0xffff, v35
	v_and_b32_e32 v25, 0xffff, v25
	v_dual_add_nc_u32 v14, v61, v19 :: v_dual_add_nc_u32 v15, v62, v20
	v_dual_lshrrev_b32 v66, 8, v3 :: v_dual_lshrrev_b32 v67, 16, v3
	v_and_b32_e32 v37, 0xffff, v37
	v_and_b32_e32 v27, 0xffff, v27
	v_and_b32_e32 v39, 0xffff, v39
	v_and_b32_e32 v30, 0xffff, v30
	v_dual_add_nc_u32 v16, v63, v21 :: v_dual_add_nc_u32 v17, v64, v22
	v_and_b32_e32 v41, 0xffff, v41
	v_and_b32_e32 v32, 0xffff, v32
	;; [unrolled: 1-line block ×4, first 2 shown]
	ds_store_b8 v2, v1 offset:128
	ds_store_b8 v14, v3 offset:128
	;; [unrolled: 1-line block ×5, first 2 shown]
	v_dual_add_nc_u32 v1, v65, v24 :: v_dual_add_nc_u32 v2, v35, v25
	v_dual_lshrrev_b32 v31, 8, v4 :: v_dual_lshrrev_b32 v33, 16, v4
	v_and_b32_e32 v45, 0xffff, v45
	v_and_b32_e32 v36, 0xffff, v36
	v_and_b32_e32 v47, 0xffff, v47
	v_and_b32_e32 v38, 0xffff, v38
	v_dual_add_nc_u32 v3, v37, v27 :: v_dual_add_nc_u32 v14, v39, v30
	v_and_b32_e32 v50, 0xffff, v50
	v_and_b32_e32 v40, 0xffff, v40
	;; [unrolled: 1-line block ×4, first 2 shown]
	v_dual_add_nc_u32 v15, v41, v32 :: v_dual_lshrrev_b32 v26, 8, v5
	v_lshrrev_b32_e32 v28, 16, v5
	ds_store_b8 v1, v4 offset:128
	ds_store_b8 v2, v31 offset:128
	;; [unrolled: 1-line block ×5, first 2 shown]
	v_dual_add_nc_u32 v1, v44, v34 :: v_dual_add_nc_u32 v2, v45, v36
	v_dual_add_nc_u32 v3, v47, v38 :: v_dual_add_nc_u32 v4, v50, v40
	v_dual_add_nc_u32 v5, v52, v43 :: v_dual_lshrrev_b32 v13, 8, v8
	v_lshrrev_b32_e32 v9, 16, v8
	v_and_b32_e32 v53, 0xffff, v53
	v_and_b32_e32 v56, 0xffff, v56
	v_and_b32_e32 v46, 0xffff, v46
	v_and_b32_e32 v51, 0xffff, v51
	ds_store_b8 v1, v26 offset:128
	ds_store_b8 v2, v28 offset:128
	;; [unrolled: 1-line block ×5, first 2 shown]
	v_mov_b32_e32 v3, 0
	v_and_b32_e32 v54, 0xffff, v54
	v_and_b32_e32 v48, 0xffff, v48
	;; [unrolled: 1-line block ×4, first 2 shown]
	v_dual_add_nc_u32 v2, v53, v46 :: v_dual_add_nc_u32 v8, v56, v51
	v_dual_mov_b32 v1, v3 :: v_dual_lshlrev_b32 v14, 3, v0
	s_delay_alu instid0(VALU_DEP_3)
	v_dual_add_nc_u32 v4, v54, v48 :: v_dual_add_nc_u32 v5, v55, v49
	s_not_b32 s3, s12
	ds_store_b8 v2, v9 offset:128
	ds_store_b8 v4, v12 offset:128
	;; [unrolled: 1-line block ×4, first 2 shown]
	s_and_saveexec_b32 s4, s2
	s_cbranch_execz .LBB228_137
; %bb.128:
	v_lshl_add_u32 v2, s19, 4, v0
	v_dual_mov_b32 v8, 0 :: v_dual_bitop2_b32 v9, 2.0, v10 bitop3:0x54
	s_mov_b32 s5, 0
	s_mov_b32 s6, s19
	s_delay_alu instid0(VALU_DEP_2)
	v_lshl_add_u64 v[4:5], v[2:3], 2, s[20:21]
	global_store_b32 v2, v9, s[20:21] scale_offset scope:SCOPE_DEV
                                        ; implicit-def: $sgpr2
	s_branch .LBB228_131
.LBB228_129:                            ;   in Loop: Header=BB228_131 Depth=1
	s_or_b32 exec_lo, exec_lo, s12
.LBB228_130:                            ;   in Loop: Header=BB228_131 Depth=1
	s_delay_alu instid0(SALU_CYCLE_1) | instskip(SKIP_2) | instid1(VALU_DEP_2)
	s_or_b32 exec_lo, exec_lo, s7
	v_and_b32_e32 v2, 0x3fffffff, v9
	v_cmp_gt_i32_e64 s2, -2.0, v9
	v_add_nc_u32_e32 v8, v2, v8
	s_and_b32 s7, exec_lo, s2
	s_delay_alu instid0(SALU_CYCLE_1) | instskip(NEXT) | instid1(SALU_CYCLE_1)
	s_or_b32 s5, s7, s5
	s_and_not1_b32 exec_lo, exec_lo, s5
	s_cbranch_execz .LBB228_136
.LBB228_131:                            ; =>This Loop Header: Depth=1
                                        ;     Child Loop BB228_134 Depth 2
	s_or_b32 s2, s2, exec_lo
	s_cmp_eq_u32 s6, 0
	s_cbranch_scc1 .LBB228_135
; %bb.132:                              ;   in Loop: Header=BB228_131 Depth=1
	s_add_co_i32 s6, s6, -1
	s_mov_b32 s7, exec_lo
	s_wait_xcnt 0x0
	v_lshl_or_b32 v2, s6, 4, v0
	global_load_b32 v9, v2, s[20:21] scale_offset scope:SCOPE_DEV
	s_wait_loadcnt 0x0
	v_cmpx_gt_u32_e32 2.0, v9
	s_cbranch_execz .LBB228_130
; %bb.133:                              ;   in Loop: Header=BB228_131 Depth=1
	v_lshl_add_u64 v[12:13], v[2:3], 2, s[20:21]
	s_mov_b32 s12, 0
.LBB228_134:                            ;   Parent Loop BB228_131 Depth=1
                                        ; =>  This Inner Loop Header: Depth=2
	global_load_b32 v9, v[12:13], off scope:SCOPE_DEV
	s_wait_loadcnt 0x0
	v_cmp_lt_u32_e64 s2, 0x3fffffff, v9
	s_or_b32 s12, s2, s12
	s_wait_xcnt 0x0
	s_and_not1_b32 exec_lo, exec_lo, s12
	s_cbranch_execnz .LBB228_134
	s_branch .LBB228_129
.LBB228_135:                            ;   in Loop: Header=BB228_131 Depth=1
                                        ; implicit-def: $sgpr6
	s_and_b32 s7, exec_lo, s2
	s_delay_alu instid0(SALU_CYCLE_1)
	s_or_b32 s5, s7, s5
	s_wait_xcnt 0x0
	s_and_not1_b32 exec_lo, exec_lo, s5
	s_cbranch_execnz .LBB228_131
.LBB228_136:
	s_or_b32 exec_lo, exec_lo, s5
	v_dual_mov_b32 v9, 0 :: v_dual_add_nc_u32 v2, v8, v10
	s_delay_alu instid0(VALU_DEP_1) | instskip(SKIP_4) | instid1(VALU_DEP_1)
	v_or_b32_e32 v2, 0x80000000, v2
	global_store_b32 v[4:5], v2, off scope:SCOPE_DEV
	global_load_b64 v[2:3], v0, s[8:9] scale_offset
	v_sub_nc_u64_e32 v[4:5], v[8:9], v[6:7]
	s_wait_loadcnt 0x0
	v_add_nc_u64_e32 v[2:3], v[4:5], v[2:3]
	ds_store_b64 v14, v[2:3]
.LBB228_137:
	s_wait_xcnt 0x0
	s_or_b32 exec_lo, exec_lo, s4
	s_wait_storecnt_dscnt 0x0
	s_barrier_signal -1
	s_barrier_wait -1
	ds_load_u8 v11, v0 offset:21632
	ds_load_u8 v15, v0 offset:1152
	;; [unrolled: 1-line block ×12, first 2 shown]
	s_wait_dscnt 0xb
	v_and_b32_e32 v2, 0xff, v11
	s_wait_dscnt 0xa
	v_and_b32_e32 v3, 0xff, v15
	s_wait_dscnt 0x9
	v_and_b32_e32 v4, 0xff, v28
	s_wait_dscnt 0x8
	v_and_b32_e32 v5, 0xff, v29
	s_wait_dscnt 0x7
	v_and_b32_e32 v8, 0xff, v30
	v_dual_lshrrev_b32 v2, s16, v2 :: v_dual_lshrrev_b32 v17, s16, v3
	s_wait_dscnt 0x4
	v_and_b32_e32 v13, 0xff, v33
	s_wait_dscnt 0x3
	v_and_b32_e32 v16, 0xff, v36
	v_and_b32_e32 v12, 0xff, v32
	s_wait_dscnt 0x2
	v_and_b32_e32 v18, 0xff, v34
	v_dual_lshrrev_b32 v4, s16, v4 :: v_dual_bitop2_b32 v2, s3, v2 bitop3:0x40
	v_dual_lshrrev_b32 v21, s16, v13 :: v_dual_lshrrev_b32 v13, s16, v16
	v_and_b32_e32 v9, 0xff, v31
	s_delay_alu instid0(VALU_DEP_4) | instskip(NEXT) | instid1(VALU_DEP_4)
	v_dual_lshrrev_b32 v20, s16, v12 :: v_dual_lshrrev_b32 v12, s16, v18
	v_dual_lshlrev_b32 v2, 3, v2 :: v_dual_lshrrev_b32 v5, s16, v5
	s_delay_alu instid0(VALU_DEP_4) | instskip(NEXT) | instid1(VALU_DEP_3)
	v_dual_lshrrev_b32 v8, s16, v8 :: v_dual_bitop2_b32 v23, s3, v13 bitop3:0x40
	v_dual_lshrrev_b32 v9, s16, v9 :: v_dual_bitop2_b32 v12, s3, v12 bitop3:0x40
	ds_load_b64 v[2:3], v2
	v_dual_lshlrev_b32 v23, 3, v23 :: v_dual_bitop2_b32 v16, s3, v17 bitop3:0x40
	v_and_b32_e32 v5, s3, v5
	v_dual_lshlrev_b32 v9, 3, v12 :: v_dual_bitop2_b32 v22, s3, v9 bitop3:0x40
	s_delay_alu instid0(VALU_DEP_3) | instskip(NEXT) | instid1(VALU_DEP_3)
	v_dual_lshlrev_b32 v12, 3, v16 :: v_dual_bitop2_b32 v25, s3, v21 bitop3:0x40
	v_dual_lshlrev_b32 v16, 3, v5 :: v_dual_bitop2_b32 v4, s3, v4 bitop3:0x40
	s_delay_alu instid0(VALU_DEP_2) | instskip(SKIP_2) | instid1(VALU_DEP_3)
	v_dual_lshlrev_b32 v26, 3, v25 :: v_dual_bitop2_b32 v24, s3, v20 bitop3:0x40
	s_wait_dscnt 0x2
	v_and_b32_e32 v35, 0xff, v37
	v_lshlrev_b32_e32 v13, 3, v4
	v_dual_lshlrev_b32 v22, 3, v22 :: v_dual_bitop2_b32 v8, s3, v8 bitop3:0x40
	v_lshlrev_b32_e32 v24, 3, v24
	s_wait_dscnt 0x1
	v_and_b32_e32 v43, 0xff, v38
	s_delay_alu instid0(VALU_DEP_3)
	v_lshlrev_b32_e32 v18, 3, v8
	ds_load_b64 v[4:5], v9
	ds_load_b64 v[8:9], v12
	;; [unrolled: 1-line block ×5, first 2 shown]
	ds_load_u8 v39, v0 offset:18560
	ds_load_u8 v40, v0 offset:19584
	ds_load_b64 v[20:21], v23
	ds_load_u8 v41, v0 offset:10368
	ds_load_u8 v42, v0 offset:11392
	ds_load_b64 v[22:23], v22
	ds_load_b64 v[24:25], v24
	;; [unrolled: 1-line block ×3, first 2 shown]
	s_wait_dscnt 0xd
	v_add_nc_u64_e32 v[2:3], s[14:15], v[2:3]
	s_delay_alu instid0(VALU_DEP_1)
	v_add_nc_u64_e32 v[2:3], v[2:3], v[0:1]
	s_wait_dscnt 0xc
	v_add_nc_u64_e32 v[4:5], s[14:15], v[4:5]
	s_wait_dscnt 0xb
	v_add_nc_u64_e32 v[8:9], s[14:15], v[8:9]
	s_wait_dscnt 0xa
	v_add_nc_u64_e32 v[12:13], s[14:15], v[12:13]
	s_wait_dscnt 0x9
	v_add_nc_u64_e32 v[16:17], s[14:15], v[16:17]
	s_wait_dscnt 0x8
	v_add_nc_u64_e32 v[18:19], s[14:15], v[18:19]
	s_wait_dscnt 0x5
	v_add_nc_u64_e32 v[20:21], s[14:15], v[20:21]
	v_add_nc_u64_e32 v[4:5], v[4:5], v[0:1]
	;; [unrolled: 1-line block ×6, first 2 shown]
	s_clause 0x4
	global_store_b8 v[4:5], v34, off
	global_store_b8 v[8:9], v15, off offset:1024
	global_store_b8 v[12:13], v28, off offset:2048
	global_store_b8 v[16:17], v29, off offset:3072
	global_store_b8 v[18:19], v30, off offset:4096
	s_wait_xcnt 0x3
	ds_load_u8 v15, v0 offset:12416
	ds_load_u8 v44, v0 offset:13440
	;; [unrolled: 1-line block ×6, first 2 shown]
	s_wait_dscnt 0xa
	v_and_b32_e32 v8, 0xff, v41
	v_lshrrev_b32_e32 v35, s16, v35
	s_wait_dscnt 0x9
	v_and_b32_e32 v9, 0xff, v42
	v_lshrrev_b32_e32 v43, s16, v43
	s_wait_dscnt 0x8
	v_add_nc_u64_e32 v[4:5], s[14:15], v[22:23]
	s_wait_xcnt 0x1
	v_lshrrev_b32_e32 v17, s16, v8
	v_and_b32_e32 v29, 0xff, v39
	s_wait_xcnt 0x0
	v_dual_lshrrev_b32 v18, s16, v9 :: v_dual_bitop2_b32 v16, s3, v43 bitop3:0x40
	v_and_b32_e32 v35, s3, v35
	v_and_b32_e32 v22, s3, v17
	s_wait_dscnt 0x7
	v_add_nc_u64_e32 v[8:9], s[14:15], v[24:25]
	v_add_nc_u64_e32 v[4:5], v[4:5], v[0:1]
	v_dual_lshlrev_b32 v19, 3, v16 :: v_dual_lshlrev_b32 v12, 3, v35
	s_wait_dscnt 0x6
	v_add_nc_u64_e32 v[16:17], s[14:15], v[26:27]
	s_wait_dscnt 0x4
	v_and_b32_e32 v27, 0xff, v44
	v_and_b32_e32 v23, s3, v18
	v_lshlrev_b32_e32 v22, 3, v22
	ds_load_b64 v[12:13], v12
	ds_load_b64 v[18:19], v19
	v_and_b32_e32 v26, 0xff, v15
	v_lshlrev_b32_e32 v24, 3, v23
	v_add_nc_u64_e32 v[8:9], v[8:9], v[0:1]
	s_wait_dscnt 0x5
	v_and_b32_e32 v28, 0xff, v45
	v_add_nc_u64_e32 v[16:17], v[16:17], v[0:1]
	v_lshrrev_b32_e32 v26, s16, v26
	ds_load_b64 v[22:23], v22
	ds_load_b64 v[24:25], v24
	s_clause 0x1
	global_store_b8 v[4:5], v31, off offset:5120
	global_store_b8 v[8:9], v32, off offset:6144
	s_wait_xcnt 0x0
	v_dual_lshrrev_b32 v9, s16, v27 :: v_dual_bitop2_b32 v8, s3, v26 bitop3:0x40
	v_lshrrev_b32_e32 v26, s16, v28
	global_store_b8 v[16:17], v33, off offset:7168
	v_and_b32_e32 v30, 0xff, v40
	s_wait_xcnt 0x0
	v_and_b32_e32 v16, s3, v9
	v_dual_lshrrev_b32 v29, s16, v29 :: v_dual_bitop2_b32 v17, s3, v26 bitop3:0x40
	s_wait_dscnt 0x6
	v_and_b32_e32 v26, 0xff, v46
	s_wait_dscnt 0x3
	v_add_nc_u64_e32 v[4:5], s[14:15], v[12:13]
	v_lshlrev_b32_e32 v12, 3, v8
	v_dual_lshlrev_b32 v27, 3, v16 :: v_dual_lshlrev_b32 v28, 3, v17
	v_lshrrev_b32_e32 v26, s16, v26
	s_wait_dscnt 0x2
	v_add_nc_u64_e32 v[8:9], s[14:15], v[18:19]
	ds_load_b64 v[12:13], v12
	s_wait_dscnt 0x2
	v_add_nc_u64_e32 v[16:17], s[14:15], v[22:23]
	s_wait_dscnt 0x1
	v_add_nc_u64_e32 v[18:19], s[14:15], v[24:25]
	ds_load_b64 v[22:23], v27
	ds_load_b64 v[24:25], v28
	v_and_b32_e32 v27, 0xff, v47
	v_and_b32_e32 v26, s3, v26
	;; [unrolled: 1-line block ×3, first 2 shown]
	v_lshrrev_b32_e32 v30, s16, v30
	v_add_nc_u64_e32 v[4:5], v[4:5], v[0:1]
	s_delay_alu instid0(VALU_DEP_4) | instskip(NEXT) | instid1(VALU_DEP_3)
	v_dual_lshrrev_b32 v31, s16, v27 :: v_dual_lshlrev_b32 v26, 3, v26
	v_dual_lshrrev_b32 v28, s16, v28 :: v_dual_bitop2_b32 v30, s3, v30 bitop3:0x40
	v_and_b32_e32 v29, s3, v29
	v_add_nc_u64_e32 v[8:9], v[8:9], v[0:1]
	ds_load_b64 v[26:27], v26
	v_and_b32_e32 v28, s3, v28
	v_dual_lshlrev_b32 v34, 3, v30 :: v_dual_bitop2_b32 v31, s3, v31 bitop3:0x40
	v_lshlrev_b32_e32 v33, 3, v29
	s_wait_dscnt 0x3
	v_add_nc_u64_e32 v[12:13], s[14:15], v[12:13]
	s_delay_alu instid0(VALU_DEP_3)
	v_dual_lshlrev_b32 v32, 3, v28 :: v_dual_lshlrev_b32 v31, 3, v31
	ds_load_b64 v[28:29], v31
	ds_load_b64 v[30:31], v32
	;; [unrolled: 1-line block ×4, first 2 shown]
	s_wait_dscnt 0x6
	v_add_nc_u64_e32 v[22:23], s[14:15], v[22:23]
	s_wait_dscnt 0x5
	v_add_nc_u64_e32 v[24:25], s[14:15], v[24:25]
	v_add_nc_u64_e32 v[16:17], v[16:17], v[0:1]
	v_add_nc_u64_e32 v[18:19], v[18:19], v[0:1]
	v_add_nc_u64_e32 v[12:13], v[12:13], v[0:1]
	v_add_nc_u64_e32 v[20:21], v[20:21], v[0:1]
	v_add_nc_u64_e32 v[22:23], v[22:23], v[0:1]
	v_add_nc_u64_e32 v[24:25], v[24:25], v[0:1]
	s_clause 0x6
	global_store_b8 v[4:5], v37, off offset:8192
	global_store_b8 v[8:9], v38, off offset:9216
	;; [unrolled: 1-line block ×7, first 2 shown]
	s_wait_dscnt 0x4
	s_wait_xcnt 0x6
	v_add_nc_u64_e32 v[4:5], s[14:15], v[26:27]
	s_wait_dscnt 0x3
	s_wait_xcnt 0x5
	v_add_nc_u64_e32 v[8:9], s[14:15], v[28:29]
	;; [unrolled: 3-line block ×3, first 2 shown]
	s_wait_dscnt 0x1
	v_add_nc_u64_e32 v[16:17], s[14:15], v[32:33]
	s_wait_dscnt 0x0
	v_add_nc_u64_e32 v[18:19], s[14:15], v[34:35]
	v_add_nc_u64_e32 v[4:5], v[4:5], v[0:1]
	;; [unrolled: 1-line block ×6, first 2 shown]
	s_clause 0x6
	global_store_b8 v[4:5], v46, off offset:15360
	global_store_b8 v[8:9], v47, off offset:16384
	;; [unrolled: 1-line block ×7, first 2 shown]
	s_load_b32 s0, s[0:1], 0x58
	s_wait_kmcnt 0x0
	s_add_co_i32 s0, s0, -1
	s_delay_alu instid0(SALU_CYCLE_1) | instskip(SKIP_2) | instid1(SALU_CYCLE_1)
	s_cmp_eq_u32 s19, s0
	s_cselect_b32 s0, -1, 0
	s_xor_b32 s1, vcc_lo, -1
	s_and_b32 s0, s1, s0
	s_delay_alu instid0(SALU_CYCLE_1)
	s_and_saveexec_b32 s1, s0
	s_cbranch_execz .LBB228_139
; %bb.138:
	ds_load_b64 v[2:3], v14
	v_mov_b32_e32 v11, 0
	s_delay_alu instid0(VALU_DEP_1) | instskip(SKIP_1) | instid1(VALU_DEP_1)
	v_add_nc_u64_e32 v[4:5], v[6:7], v[10:11]
	s_wait_dscnt 0x0
	v_add_nc_u64_e32 v[2:3], v[4:5], v[2:3]
	global_store_b64 v0, v[2:3], s[10:11] scale_offset
.LBB228_139:
	s_sendmsg sendmsg(MSG_DEALLOC_VGPRS)
	s_endpgm
	.section	.rodata,"a",@progbits
	.p2align	6, 0x0
	.amdhsa_kernel _ZN7rocprim17ROCPRIM_400000_NS6detail17trampoline_kernelINS0_14default_configENS1_35radix_sort_onesweep_config_selectorIhNS0_10empty_typeEEEZZNS1_29radix_sort_onesweep_iterationIS3_Lb0EPKhPhPS5_SB_mNS0_19identity_decomposerENS1_16block_id_wrapperIjLb1EEEEE10hipError_tT1_PNSt15iterator_traitsISG_E10value_typeET2_T3_PNSH_ISM_E10value_typeET4_T5_PSR_SS_PNS1_23onesweep_lookback_stateEbbT6_jjT7_P12ihipStream_tbENKUlT_T0_SG_SL_E_clISA_SA_SB_SB_EEDaSZ_S10_SG_SL_EUlSZ_E_NS1_11comp_targetILNS1_3genE0ELNS1_11target_archE4294967295ELNS1_3gpuE0ELNS1_3repE0EEENS1_47radix_sort_onesweep_sort_config_static_selectorELNS0_4arch9wavefront6targetE0EEEvSG_
		.amdhsa_group_segment_fixed_size 32904
		.amdhsa_private_segment_fixed_size 0
		.amdhsa_kernarg_size 344
		.amdhsa_user_sgpr_count 2
		.amdhsa_user_sgpr_dispatch_ptr 0
		.amdhsa_user_sgpr_queue_ptr 0
		.amdhsa_user_sgpr_kernarg_segment_ptr 1
		.amdhsa_user_sgpr_dispatch_id 0
		.amdhsa_user_sgpr_kernarg_preload_length 0
		.amdhsa_user_sgpr_kernarg_preload_offset 0
		.amdhsa_user_sgpr_private_segment_size 0
		.amdhsa_wavefront_size32 1
		.amdhsa_uses_dynamic_stack 0
		.amdhsa_enable_private_segment 0
		.amdhsa_system_sgpr_workgroup_id_x 1
		.amdhsa_system_sgpr_workgroup_id_y 0
		.amdhsa_system_sgpr_workgroup_id_z 0
		.amdhsa_system_sgpr_workgroup_info 0
		.amdhsa_system_vgpr_workitem_id 0
		.amdhsa_next_free_vgpr 79
		.amdhsa_next_free_sgpr 25
		.amdhsa_named_barrier_count 0
		.amdhsa_reserve_vcc 1
		.amdhsa_float_round_mode_32 0
		.amdhsa_float_round_mode_16_64 0
		.amdhsa_float_denorm_mode_32 3
		.amdhsa_float_denorm_mode_16_64 3
		.amdhsa_fp16_overflow 0
		.amdhsa_memory_ordered 1
		.amdhsa_forward_progress 1
		.amdhsa_inst_pref_size 111
		.amdhsa_round_robin_scheduling 0
		.amdhsa_exception_fp_ieee_invalid_op 0
		.amdhsa_exception_fp_denorm_src 0
		.amdhsa_exception_fp_ieee_div_zero 0
		.amdhsa_exception_fp_ieee_overflow 0
		.amdhsa_exception_fp_ieee_underflow 0
		.amdhsa_exception_fp_ieee_inexact 0
		.amdhsa_exception_int_div_zero 0
	.end_amdhsa_kernel
	.section	.text._ZN7rocprim17ROCPRIM_400000_NS6detail17trampoline_kernelINS0_14default_configENS1_35radix_sort_onesweep_config_selectorIhNS0_10empty_typeEEEZZNS1_29radix_sort_onesweep_iterationIS3_Lb0EPKhPhPS5_SB_mNS0_19identity_decomposerENS1_16block_id_wrapperIjLb1EEEEE10hipError_tT1_PNSt15iterator_traitsISG_E10value_typeET2_T3_PNSH_ISM_E10value_typeET4_T5_PSR_SS_PNS1_23onesweep_lookback_stateEbbT6_jjT7_P12ihipStream_tbENKUlT_T0_SG_SL_E_clISA_SA_SB_SB_EEDaSZ_S10_SG_SL_EUlSZ_E_NS1_11comp_targetILNS1_3genE0ELNS1_11target_archE4294967295ELNS1_3gpuE0ELNS1_3repE0EEENS1_47radix_sort_onesweep_sort_config_static_selectorELNS0_4arch9wavefront6targetE0EEEvSG_,"axG",@progbits,_ZN7rocprim17ROCPRIM_400000_NS6detail17trampoline_kernelINS0_14default_configENS1_35radix_sort_onesweep_config_selectorIhNS0_10empty_typeEEEZZNS1_29radix_sort_onesweep_iterationIS3_Lb0EPKhPhPS5_SB_mNS0_19identity_decomposerENS1_16block_id_wrapperIjLb1EEEEE10hipError_tT1_PNSt15iterator_traitsISG_E10value_typeET2_T3_PNSH_ISM_E10value_typeET4_T5_PSR_SS_PNS1_23onesweep_lookback_stateEbbT6_jjT7_P12ihipStream_tbENKUlT_T0_SG_SL_E_clISA_SA_SB_SB_EEDaSZ_S10_SG_SL_EUlSZ_E_NS1_11comp_targetILNS1_3genE0ELNS1_11target_archE4294967295ELNS1_3gpuE0ELNS1_3repE0EEENS1_47radix_sort_onesweep_sort_config_static_selectorELNS0_4arch9wavefront6targetE0EEEvSG_,comdat
.Lfunc_end228:
	.size	_ZN7rocprim17ROCPRIM_400000_NS6detail17trampoline_kernelINS0_14default_configENS1_35radix_sort_onesweep_config_selectorIhNS0_10empty_typeEEEZZNS1_29radix_sort_onesweep_iterationIS3_Lb0EPKhPhPS5_SB_mNS0_19identity_decomposerENS1_16block_id_wrapperIjLb1EEEEE10hipError_tT1_PNSt15iterator_traitsISG_E10value_typeET2_T3_PNSH_ISM_E10value_typeET4_T5_PSR_SS_PNS1_23onesweep_lookback_stateEbbT6_jjT7_P12ihipStream_tbENKUlT_T0_SG_SL_E_clISA_SA_SB_SB_EEDaSZ_S10_SG_SL_EUlSZ_E_NS1_11comp_targetILNS1_3genE0ELNS1_11target_archE4294967295ELNS1_3gpuE0ELNS1_3repE0EEENS1_47radix_sort_onesweep_sort_config_static_selectorELNS0_4arch9wavefront6targetE0EEEvSG_, .Lfunc_end228-_ZN7rocprim17ROCPRIM_400000_NS6detail17trampoline_kernelINS0_14default_configENS1_35radix_sort_onesweep_config_selectorIhNS0_10empty_typeEEEZZNS1_29radix_sort_onesweep_iterationIS3_Lb0EPKhPhPS5_SB_mNS0_19identity_decomposerENS1_16block_id_wrapperIjLb1EEEEE10hipError_tT1_PNSt15iterator_traitsISG_E10value_typeET2_T3_PNSH_ISM_E10value_typeET4_T5_PSR_SS_PNS1_23onesweep_lookback_stateEbbT6_jjT7_P12ihipStream_tbENKUlT_T0_SG_SL_E_clISA_SA_SB_SB_EEDaSZ_S10_SG_SL_EUlSZ_E_NS1_11comp_targetILNS1_3genE0ELNS1_11target_archE4294967295ELNS1_3gpuE0ELNS1_3repE0EEENS1_47radix_sort_onesweep_sort_config_static_selectorELNS0_4arch9wavefront6targetE0EEEvSG_
                                        ; -- End function
	.set _ZN7rocprim17ROCPRIM_400000_NS6detail17trampoline_kernelINS0_14default_configENS1_35radix_sort_onesweep_config_selectorIhNS0_10empty_typeEEEZZNS1_29radix_sort_onesweep_iterationIS3_Lb0EPKhPhPS5_SB_mNS0_19identity_decomposerENS1_16block_id_wrapperIjLb1EEEEE10hipError_tT1_PNSt15iterator_traitsISG_E10value_typeET2_T3_PNSH_ISM_E10value_typeET4_T5_PSR_SS_PNS1_23onesweep_lookback_stateEbbT6_jjT7_P12ihipStream_tbENKUlT_T0_SG_SL_E_clISA_SA_SB_SB_EEDaSZ_S10_SG_SL_EUlSZ_E_NS1_11comp_targetILNS1_3genE0ELNS1_11target_archE4294967295ELNS1_3gpuE0ELNS1_3repE0EEENS1_47radix_sort_onesweep_sort_config_static_selectorELNS0_4arch9wavefront6targetE0EEEvSG_.num_vgpr, 79
	.set _ZN7rocprim17ROCPRIM_400000_NS6detail17trampoline_kernelINS0_14default_configENS1_35radix_sort_onesweep_config_selectorIhNS0_10empty_typeEEEZZNS1_29radix_sort_onesweep_iterationIS3_Lb0EPKhPhPS5_SB_mNS0_19identity_decomposerENS1_16block_id_wrapperIjLb1EEEEE10hipError_tT1_PNSt15iterator_traitsISG_E10value_typeET2_T3_PNSH_ISM_E10value_typeET4_T5_PSR_SS_PNS1_23onesweep_lookback_stateEbbT6_jjT7_P12ihipStream_tbENKUlT_T0_SG_SL_E_clISA_SA_SB_SB_EEDaSZ_S10_SG_SL_EUlSZ_E_NS1_11comp_targetILNS1_3genE0ELNS1_11target_archE4294967295ELNS1_3gpuE0ELNS1_3repE0EEENS1_47radix_sort_onesweep_sort_config_static_selectorELNS0_4arch9wavefront6targetE0EEEvSG_.num_agpr, 0
	.set _ZN7rocprim17ROCPRIM_400000_NS6detail17trampoline_kernelINS0_14default_configENS1_35radix_sort_onesweep_config_selectorIhNS0_10empty_typeEEEZZNS1_29radix_sort_onesweep_iterationIS3_Lb0EPKhPhPS5_SB_mNS0_19identity_decomposerENS1_16block_id_wrapperIjLb1EEEEE10hipError_tT1_PNSt15iterator_traitsISG_E10value_typeET2_T3_PNSH_ISM_E10value_typeET4_T5_PSR_SS_PNS1_23onesweep_lookback_stateEbbT6_jjT7_P12ihipStream_tbENKUlT_T0_SG_SL_E_clISA_SA_SB_SB_EEDaSZ_S10_SG_SL_EUlSZ_E_NS1_11comp_targetILNS1_3genE0ELNS1_11target_archE4294967295ELNS1_3gpuE0ELNS1_3repE0EEENS1_47radix_sort_onesweep_sort_config_static_selectorELNS0_4arch9wavefront6targetE0EEEvSG_.numbered_sgpr, 25
	.set _ZN7rocprim17ROCPRIM_400000_NS6detail17trampoline_kernelINS0_14default_configENS1_35radix_sort_onesweep_config_selectorIhNS0_10empty_typeEEEZZNS1_29radix_sort_onesweep_iterationIS3_Lb0EPKhPhPS5_SB_mNS0_19identity_decomposerENS1_16block_id_wrapperIjLb1EEEEE10hipError_tT1_PNSt15iterator_traitsISG_E10value_typeET2_T3_PNSH_ISM_E10value_typeET4_T5_PSR_SS_PNS1_23onesweep_lookback_stateEbbT6_jjT7_P12ihipStream_tbENKUlT_T0_SG_SL_E_clISA_SA_SB_SB_EEDaSZ_S10_SG_SL_EUlSZ_E_NS1_11comp_targetILNS1_3genE0ELNS1_11target_archE4294967295ELNS1_3gpuE0ELNS1_3repE0EEENS1_47radix_sort_onesweep_sort_config_static_selectorELNS0_4arch9wavefront6targetE0EEEvSG_.num_named_barrier, 0
	.set _ZN7rocprim17ROCPRIM_400000_NS6detail17trampoline_kernelINS0_14default_configENS1_35radix_sort_onesweep_config_selectorIhNS0_10empty_typeEEEZZNS1_29radix_sort_onesweep_iterationIS3_Lb0EPKhPhPS5_SB_mNS0_19identity_decomposerENS1_16block_id_wrapperIjLb1EEEEE10hipError_tT1_PNSt15iterator_traitsISG_E10value_typeET2_T3_PNSH_ISM_E10value_typeET4_T5_PSR_SS_PNS1_23onesweep_lookback_stateEbbT6_jjT7_P12ihipStream_tbENKUlT_T0_SG_SL_E_clISA_SA_SB_SB_EEDaSZ_S10_SG_SL_EUlSZ_E_NS1_11comp_targetILNS1_3genE0ELNS1_11target_archE4294967295ELNS1_3gpuE0ELNS1_3repE0EEENS1_47radix_sort_onesweep_sort_config_static_selectorELNS0_4arch9wavefront6targetE0EEEvSG_.private_seg_size, 0
	.set _ZN7rocprim17ROCPRIM_400000_NS6detail17trampoline_kernelINS0_14default_configENS1_35radix_sort_onesweep_config_selectorIhNS0_10empty_typeEEEZZNS1_29radix_sort_onesweep_iterationIS3_Lb0EPKhPhPS5_SB_mNS0_19identity_decomposerENS1_16block_id_wrapperIjLb1EEEEE10hipError_tT1_PNSt15iterator_traitsISG_E10value_typeET2_T3_PNSH_ISM_E10value_typeET4_T5_PSR_SS_PNS1_23onesweep_lookback_stateEbbT6_jjT7_P12ihipStream_tbENKUlT_T0_SG_SL_E_clISA_SA_SB_SB_EEDaSZ_S10_SG_SL_EUlSZ_E_NS1_11comp_targetILNS1_3genE0ELNS1_11target_archE4294967295ELNS1_3gpuE0ELNS1_3repE0EEENS1_47radix_sort_onesweep_sort_config_static_selectorELNS0_4arch9wavefront6targetE0EEEvSG_.uses_vcc, 1
	.set _ZN7rocprim17ROCPRIM_400000_NS6detail17trampoline_kernelINS0_14default_configENS1_35radix_sort_onesweep_config_selectorIhNS0_10empty_typeEEEZZNS1_29radix_sort_onesweep_iterationIS3_Lb0EPKhPhPS5_SB_mNS0_19identity_decomposerENS1_16block_id_wrapperIjLb1EEEEE10hipError_tT1_PNSt15iterator_traitsISG_E10value_typeET2_T3_PNSH_ISM_E10value_typeET4_T5_PSR_SS_PNS1_23onesweep_lookback_stateEbbT6_jjT7_P12ihipStream_tbENKUlT_T0_SG_SL_E_clISA_SA_SB_SB_EEDaSZ_S10_SG_SL_EUlSZ_E_NS1_11comp_targetILNS1_3genE0ELNS1_11target_archE4294967295ELNS1_3gpuE0ELNS1_3repE0EEENS1_47radix_sort_onesweep_sort_config_static_selectorELNS0_4arch9wavefront6targetE0EEEvSG_.uses_flat_scratch, 0
	.set _ZN7rocprim17ROCPRIM_400000_NS6detail17trampoline_kernelINS0_14default_configENS1_35radix_sort_onesweep_config_selectorIhNS0_10empty_typeEEEZZNS1_29radix_sort_onesweep_iterationIS3_Lb0EPKhPhPS5_SB_mNS0_19identity_decomposerENS1_16block_id_wrapperIjLb1EEEEE10hipError_tT1_PNSt15iterator_traitsISG_E10value_typeET2_T3_PNSH_ISM_E10value_typeET4_T5_PSR_SS_PNS1_23onesweep_lookback_stateEbbT6_jjT7_P12ihipStream_tbENKUlT_T0_SG_SL_E_clISA_SA_SB_SB_EEDaSZ_S10_SG_SL_EUlSZ_E_NS1_11comp_targetILNS1_3genE0ELNS1_11target_archE4294967295ELNS1_3gpuE0ELNS1_3repE0EEENS1_47radix_sort_onesweep_sort_config_static_selectorELNS0_4arch9wavefront6targetE0EEEvSG_.has_dyn_sized_stack, 0
	.set _ZN7rocprim17ROCPRIM_400000_NS6detail17trampoline_kernelINS0_14default_configENS1_35radix_sort_onesweep_config_selectorIhNS0_10empty_typeEEEZZNS1_29radix_sort_onesweep_iterationIS3_Lb0EPKhPhPS5_SB_mNS0_19identity_decomposerENS1_16block_id_wrapperIjLb1EEEEE10hipError_tT1_PNSt15iterator_traitsISG_E10value_typeET2_T3_PNSH_ISM_E10value_typeET4_T5_PSR_SS_PNS1_23onesweep_lookback_stateEbbT6_jjT7_P12ihipStream_tbENKUlT_T0_SG_SL_E_clISA_SA_SB_SB_EEDaSZ_S10_SG_SL_EUlSZ_E_NS1_11comp_targetILNS1_3genE0ELNS1_11target_archE4294967295ELNS1_3gpuE0ELNS1_3repE0EEENS1_47radix_sort_onesweep_sort_config_static_selectorELNS0_4arch9wavefront6targetE0EEEvSG_.has_recursion, 0
	.set _ZN7rocprim17ROCPRIM_400000_NS6detail17trampoline_kernelINS0_14default_configENS1_35radix_sort_onesweep_config_selectorIhNS0_10empty_typeEEEZZNS1_29radix_sort_onesweep_iterationIS3_Lb0EPKhPhPS5_SB_mNS0_19identity_decomposerENS1_16block_id_wrapperIjLb1EEEEE10hipError_tT1_PNSt15iterator_traitsISG_E10value_typeET2_T3_PNSH_ISM_E10value_typeET4_T5_PSR_SS_PNS1_23onesweep_lookback_stateEbbT6_jjT7_P12ihipStream_tbENKUlT_T0_SG_SL_E_clISA_SA_SB_SB_EEDaSZ_S10_SG_SL_EUlSZ_E_NS1_11comp_targetILNS1_3genE0ELNS1_11target_archE4294967295ELNS1_3gpuE0ELNS1_3repE0EEENS1_47radix_sort_onesweep_sort_config_static_selectorELNS0_4arch9wavefront6targetE0EEEvSG_.has_indirect_call, 0
	.section	.AMDGPU.csdata,"",@progbits
; Kernel info:
; codeLenInByte = 14192
; TotalNumSgprs: 27
; NumVgprs: 79
; ScratchSize: 0
; MemoryBound: 0
; FloatMode: 240
; IeeeMode: 1
; LDSByteSize: 32904 bytes/workgroup (compile time only)
; SGPRBlocks: 0
; VGPRBlocks: 4
; NumSGPRsForWavesPerEU: 27
; NumVGPRsForWavesPerEU: 79
; NamedBarCnt: 0
; Occupancy: 12
; WaveLimiterHint : 0
; COMPUTE_PGM_RSRC2:SCRATCH_EN: 0
; COMPUTE_PGM_RSRC2:USER_SGPR: 2
; COMPUTE_PGM_RSRC2:TRAP_HANDLER: 0
; COMPUTE_PGM_RSRC2:TGID_X_EN: 1
; COMPUTE_PGM_RSRC2:TGID_Y_EN: 0
; COMPUTE_PGM_RSRC2:TGID_Z_EN: 0
; COMPUTE_PGM_RSRC2:TIDIG_COMP_CNT: 0
	.section	.text._ZN7rocprim17ROCPRIM_400000_NS6detail17trampoline_kernelINS0_14default_configENS1_35radix_sort_onesweep_config_selectorIhNS0_10empty_typeEEEZZNS1_29radix_sort_onesweep_iterationIS3_Lb0EPKhPhPS5_SB_mNS0_19identity_decomposerENS1_16block_id_wrapperIjLb1EEEEE10hipError_tT1_PNSt15iterator_traitsISG_E10value_typeET2_T3_PNSH_ISM_E10value_typeET4_T5_PSR_SS_PNS1_23onesweep_lookback_stateEbbT6_jjT7_P12ihipStream_tbENKUlT_T0_SG_SL_E_clISA_SA_SB_SB_EEDaSZ_S10_SG_SL_EUlSZ_E_NS1_11comp_targetILNS1_3genE6ELNS1_11target_archE950ELNS1_3gpuE13ELNS1_3repE0EEENS1_47radix_sort_onesweep_sort_config_static_selectorELNS0_4arch9wavefront6targetE0EEEvSG_,"axG",@progbits,_ZN7rocprim17ROCPRIM_400000_NS6detail17trampoline_kernelINS0_14default_configENS1_35radix_sort_onesweep_config_selectorIhNS0_10empty_typeEEEZZNS1_29radix_sort_onesweep_iterationIS3_Lb0EPKhPhPS5_SB_mNS0_19identity_decomposerENS1_16block_id_wrapperIjLb1EEEEE10hipError_tT1_PNSt15iterator_traitsISG_E10value_typeET2_T3_PNSH_ISM_E10value_typeET4_T5_PSR_SS_PNS1_23onesweep_lookback_stateEbbT6_jjT7_P12ihipStream_tbENKUlT_T0_SG_SL_E_clISA_SA_SB_SB_EEDaSZ_S10_SG_SL_EUlSZ_E_NS1_11comp_targetILNS1_3genE6ELNS1_11target_archE950ELNS1_3gpuE13ELNS1_3repE0EEENS1_47radix_sort_onesweep_sort_config_static_selectorELNS0_4arch9wavefront6targetE0EEEvSG_,comdat
	.protected	_ZN7rocprim17ROCPRIM_400000_NS6detail17trampoline_kernelINS0_14default_configENS1_35radix_sort_onesweep_config_selectorIhNS0_10empty_typeEEEZZNS1_29radix_sort_onesweep_iterationIS3_Lb0EPKhPhPS5_SB_mNS0_19identity_decomposerENS1_16block_id_wrapperIjLb1EEEEE10hipError_tT1_PNSt15iterator_traitsISG_E10value_typeET2_T3_PNSH_ISM_E10value_typeET4_T5_PSR_SS_PNS1_23onesweep_lookback_stateEbbT6_jjT7_P12ihipStream_tbENKUlT_T0_SG_SL_E_clISA_SA_SB_SB_EEDaSZ_S10_SG_SL_EUlSZ_E_NS1_11comp_targetILNS1_3genE6ELNS1_11target_archE950ELNS1_3gpuE13ELNS1_3repE0EEENS1_47radix_sort_onesweep_sort_config_static_selectorELNS0_4arch9wavefront6targetE0EEEvSG_ ; -- Begin function _ZN7rocprim17ROCPRIM_400000_NS6detail17trampoline_kernelINS0_14default_configENS1_35radix_sort_onesweep_config_selectorIhNS0_10empty_typeEEEZZNS1_29radix_sort_onesweep_iterationIS3_Lb0EPKhPhPS5_SB_mNS0_19identity_decomposerENS1_16block_id_wrapperIjLb1EEEEE10hipError_tT1_PNSt15iterator_traitsISG_E10value_typeET2_T3_PNSH_ISM_E10value_typeET4_T5_PSR_SS_PNS1_23onesweep_lookback_stateEbbT6_jjT7_P12ihipStream_tbENKUlT_T0_SG_SL_E_clISA_SA_SB_SB_EEDaSZ_S10_SG_SL_EUlSZ_E_NS1_11comp_targetILNS1_3genE6ELNS1_11target_archE950ELNS1_3gpuE13ELNS1_3repE0EEENS1_47radix_sort_onesweep_sort_config_static_selectorELNS0_4arch9wavefront6targetE0EEEvSG_
	.globl	_ZN7rocprim17ROCPRIM_400000_NS6detail17trampoline_kernelINS0_14default_configENS1_35radix_sort_onesweep_config_selectorIhNS0_10empty_typeEEEZZNS1_29radix_sort_onesweep_iterationIS3_Lb0EPKhPhPS5_SB_mNS0_19identity_decomposerENS1_16block_id_wrapperIjLb1EEEEE10hipError_tT1_PNSt15iterator_traitsISG_E10value_typeET2_T3_PNSH_ISM_E10value_typeET4_T5_PSR_SS_PNS1_23onesweep_lookback_stateEbbT6_jjT7_P12ihipStream_tbENKUlT_T0_SG_SL_E_clISA_SA_SB_SB_EEDaSZ_S10_SG_SL_EUlSZ_E_NS1_11comp_targetILNS1_3genE6ELNS1_11target_archE950ELNS1_3gpuE13ELNS1_3repE0EEENS1_47radix_sort_onesweep_sort_config_static_selectorELNS0_4arch9wavefront6targetE0EEEvSG_
	.p2align	8
	.type	_ZN7rocprim17ROCPRIM_400000_NS6detail17trampoline_kernelINS0_14default_configENS1_35radix_sort_onesweep_config_selectorIhNS0_10empty_typeEEEZZNS1_29radix_sort_onesweep_iterationIS3_Lb0EPKhPhPS5_SB_mNS0_19identity_decomposerENS1_16block_id_wrapperIjLb1EEEEE10hipError_tT1_PNSt15iterator_traitsISG_E10value_typeET2_T3_PNSH_ISM_E10value_typeET4_T5_PSR_SS_PNS1_23onesweep_lookback_stateEbbT6_jjT7_P12ihipStream_tbENKUlT_T0_SG_SL_E_clISA_SA_SB_SB_EEDaSZ_S10_SG_SL_EUlSZ_E_NS1_11comp_targetILNS1_3genE6ELNS1_11target_archE950ELNS1_3gpuE13ELNS1_3repE0EEENS1_47radix_sort_onesweep_sort_config_static_selectorELNS0_4arch9wavefront6targetE0EEEvSG_,@function
_ZN7rocprim17ROCPRIM_400000_NS6detail17trampoline_kernelINS0_14default_configENS1_35radix_sort_onesweep_config_selectorIhNS0_10empty_typeEEEZZNS1_29radix_sort_onesweep_iterationIS3_Lb0EPKhPhPS5_SB_mNS0_19identity_decomposerENS1_16block_id_wrapperIjLb1EEEEE10hipError_tT1_PNSt15iterator_traitsISG_E10value_typeET2_T3_PNSH_ISM_E10value_typeET4_T5_PSR_SS_PNS1_23onesweep_lookback_stateEbbT6_jjT7_P12ihipStream_tbENKUlT_T0_SG_SL_E_clISA_SA_SB_SB_EEDaSZ_S10_SG_SL_EUlSZ_E_NS1_11comp_targetILNS1_3genE6ELNS1_11target_archE950ELNS1_3gpuE13ELNS1_3repE0EEENS1_47radix_sort_onesweep_sort_config_static_selectorELNS0_4arch9wavefront6targetE0EEEvSG_: ; @_ZN7rocprim17ROCPRIM_400000_NS6detail17trampoline_kernelINS0_14default_configENS1_35radix_sort_onesweep_config_selectorIhNS0_10empty_typeEEEZZNS1_29radix_sort_onesweep_iterationIS3_Lb0EPKhPhPS5_SB_mNS0_19identity_decomposerENS1_16block_id_wrapperIjLb1EEEEE10hipError_tT1_PNSt15iterator_traitsISG_E10value_typeET2_T3_PNSH_ISM_E10value_typeET4_T5_PSR_SS_PNS1_23onesweep_lookback_stateEbbT6_jjT7_P12ihipStream_tbENKUlT_T0_SG_SL_E_clISA_SA_SB_SB_EEDaSZ_S10_SG_SL_EUlSZ_E_NS1_11comp_targetILNS1_3genE6ELNS1_11target_archE950ELNS1_3gpuE13ELNS1_3repE0EEENS1_47radix_sort_onesweep_sort_config_static_selectorELNS0_4arch9wavefront6targetE0EEEvSG_
; %bb.0:
	.section	.rodata,"a",@progbits
	.p2align	6, 0x0
	.amdhsa_kernel _ZN7rocprim17ROCPRIM_400000_NS6detail17trampoline_kernelINS0_14default_configENS1_35radix_sort_onesweep_config_selectorIhNS0_10empty_typeEEEZZNS1_29radix_sort_onesweep_iterationIS3_Lb0EPKhPhPS5_SB_mNS0_19identity_decomposerENS1_16block_id_wrapperIjLb1EEEEE10hipError_tT1_PNSt15iterator_traitsISG_E10value_typeET2_T3_PNSH_ISM_E10value_typeET4_T5_PSR_SS_PNS1_23onesweep_lookback_stateEbbT6_jjT7_P12ihipStream_tbENKUlT_T0_SG_SL_E_clISA_SA_SB_SB_EEDaSZ_S10_SG_SL_EUlSZ_E_NS1_11comp_targetILNS1_3genE6ELNS1_11target_archE950ELNS1_3gpuE13ELNS1_3repE0EEENS1_47radix_sort_onesweep_sort_config_static_selectorELNS0_4arch9wavefront6targetE0EEEvSG_
		.amdhsa_group_segment_fixed_size 0
		.amdhsa_private_segment_fixed_size 0
		.amdhsa_kernarg_size 88
		.amdhsa_user_sgpr_count 2
		.amdhsa_user_sgpr_dispatch_ptr 0
		.amdhsa_user_sgpr_queue_ptr 0
		.amdhsa_user_sgpr_kernarg_segment_ptr 1
		.amdhsa_user_sgpr_dispatch_id 0
		.amdhsa_user_sgpr_kernarg_preload_length 0
		.amdhsa_user_sgpr_kernarg_preload_offset 0
		.amdhsa_user_sgpr_private_segment_size 0
		.amdhsa_wavefront_size32 1
		.amdhsa_uses_dynamic_stack 0
		.amdhsa_enable_private_segment 0
		.amdhsa_system_sgpr_workgroup_id_x 1
		.amdhsa_system_sgpr_workgroup_id_y 0
		.amdhsa_system_sgpr_workgroup_id_z 0
		.amdhsa_system_sgpr_workgroup_info 0
		.amdhsa_system_vgpr_workitem_id 0
		.amdhsa_next_free_vgpr 1
		.amdhsa_next_free_sgpr 1
		.amdhsa_named_barrier_count 0
		.amdhsa_reserve_vcc 0
		.amdhsa_float_round_mode_32 0
		.amdhsa_float_round_mode_16_64 0
		.amdhsa_float_denorm_mode_32 3
		.amdhsa_float_denorm_mode_16_64 3
		.amdhsa_fp16_overflow 0
		.amdhsa_memory_ordered 1
		.amdhsa_forward_progress 1
		.amdhsa_inst_pref_size 0
		.amdhsa_round_robin_scheduling 0
		.amdhsa_exception_fp_ieee_invalid_op 0
		.amdhsa_exception_fp_denorm_src 0
		.amdhsa_exception_fp_ieee_div_zero 0
		.amdhsa_exception_fp_ieee_overflow 0
		.amdhsa_exception_fp_ieee_underflow 0
		.amdhsa_exception_fp_ieee_inexact 0
		.amdhsa_exception_int_div_zero 0
	.end_amdhsa_kernel
	.section	.text._ZN7rocprim17ROCPRIM_400000_NS6detail17trampoline_kernelINS0_14default_configENS1_35radix_sort_onesweep_config_selectorIhNS0_10empty_typeEEEZZNS1_29radix_sort_onesweep_iterationIS3_Lb0EPKhPhPS5_SB_mNS0_19identity_decomposerENS1_16block_id_wrapperIjLb1EEEEE10hipError_tT1_PNSt15iterator_traitsISG_E10value_typeET2_T3_PNSH_ISM_E10value_typeET4_T5_PSR_SS_PNS1_23onesweep_lookback_stateEbbT6_jjT7_P12ihipStream_tbENKUlT_T0_SG_SL_E_clISA_SA_SB_SB_EEDaSZ_S10_SG_SL_EUlSZ_E_NS1_11comp_targetILNS1_3genE6ELNS1_11target_archE950ELNS1_3gpuE13ELNS1_3repE0EEENS1_47radix_sort_onesweep_sort_config_static_selectorELNS0_4arch9wavefront6targetE0EEEvSG_,"axG",@progbits,_ZN7rocprim17ROCPRIM_400000_NS6detail17trampoline_kernelINS0_14default_configENS1_35radix_sort_onesweep_config_selectorIhNS0_10empty_typeEEEZZNS1_29radix_sort_onesweep_iterationIS3_Lb0EPKhPhPS5_SB_mNS0_19identity_decomposerENS1_16block_id_wrapperIjLb1EEEEE10hipError_tT1_PNSt15iterator_traitsISG_E10value_typeET2_T3_PNSH_ISM_E10value_typeET4_T5_PSR_SS_PNS1_23onesweep_lookback_stateEbbT6_jjT7_P12ihipStream_tbENKUlT_T0_SG_SL_E_clISA_SA_SB_SB_EEDaSZ_S10_SG_SL_EUlSZ_E_NS1_11comp_targetILNS1_3genE6ELNS1_11target_archE950ELNS1_3gpuE13ELNS1_3repE0EEENS1_47radix_sort_onesweep_sort_config_static_selectorELNS0_4arch9wavefront6targetE0EEEvSG_,comdat
.Lfunc_end229:
	.size	_ZN7rocprim17ROCPRIM_400000_NS6detail17trampoline_kernelINS0_14default_configENS1_35radix_sort_onesweep_config_selectorIhNS0_10empty_typeEEEZZNS1_29radix_sort_onesweep_iterationIS3_Lb0EPKhPhPS5_SB_mNS0_19identity_decomposerENS1_16block_id_wrapperIjLb1EEEEE10hipError_tT1_PNSt15iterator_traitsISG_E10value_typeET2_T3_PNSH_ISM_E10value_typeET4_T5_PSR_SS_PNS1_23onesweep_lookback_stateEbbT6_jjT7_P12ihipStream_tbENKUlT_T0_SG_SL_E_clISA_SA_SB_SB_EEDaSZ_S10_SG_SL_EUlSZ_E_NS1_11comp_targetILNS1_3genE6ELNS1_11target_archE950ELNS1_3gpuE13ELNS1_3repE0EEENS1_47radix_sort_onesweep_sort_config_static_selectorELNS0_4arch9wavefront6targetE0EEEvSG_, .Lfunc_end229-_ZN7rocprim17ROCPRIM_400000_NS6detail17trampoline_kernelINS0_14default_configENS1_35radix_sort_onesweep_config_selectorIhNS0_10empty_typeEEEZZNS1_29radix_sort_onesweep_iterationIS3_Lb0EPKhPhPS5_SB_mNS0_19identity_decomposerENS1_16block_id_wrapperIjLb1EEEEE10hipError_tT1_PNSt15iterator_traitsISG_E10value_typeET2_T3_PNSH_ISM_E10value_typeET4_T5_PSR_SS_PNS1_23onesweep_lookback_stateEbbT6_jjT7_P12ihipStream_tbENKUlT_T0_SG_SL_E_clISA_SA_SB_SB_EEDaSZ_S10_SG_SL_EUlSZ_E_NS1_11comp_targetILNS1_3genE6ELNS1_11target_archE950ELNS1_3gpuE13ELNS1_3repE0EEENS1_47radix_sort_onesweep_sort_config_static_selectorELNS0_4arch9wavefront6targetE0EEEvSG_
                                        ; -- End function
	.set _ZN7rocprim17ROCPRIM_400000_NS6detail17trampoline_kernelINS0_14default_configENS1_35radix_sort_onesweep_config_selectorIhNS0_10empty_typeEEEZZNS1_29radix_sort_onesweep_iterationIS3_Lb0EPKhPhPS5_SB_mNS0_19identity_decomposerENS1_16block_id_wrapperIjLb1EEEEE10hipError_tT1_PNSt15iterator_traitsISG_E10value_typeET2_T3_PNSH_ISM_E10value_typeET4_T5_PSR_SS_PNS1_23onesweep_lookback_stateEbbT6_jjT7_P12ihipStream_tbENKUlT_T0_SG_SL_E_clISA_SA_SB_SB_EEDaSZ_S10_SG_SL_EUlSZ_E_NS1_11comp_targetILNS1_3genE6ELNS1_11target_archE950ELNS1_3gpuE13ELNS1_3repE0EEENS1_47radix_sort_onesweep_sort_config_static_selectorELNS0_4arch9wavefront6targetE0EEEvSG_.num_vgpr, 0
	.set _ZN7rocprim17ROCPRIM_400000_NS6detail17trampoline_kernelINS0_14default_configENS1_35radix_sort_onesweep_config_selectorIhNS0_10empty_typeEEEZZNS1_29radix_sort_onesweep_iterationIS3_Lb0EPKhPhPS5_SB_mNS0_19identity_decomposerENS1_16block_id_wrapperIjLb1EEEEE10hipError_tT1_PNSt15iterator_traitsISG_E10value_typeET2_T3_PNSH_ISM_E10value_typeET4_T5_PSR_SS_PNS1_23onesweep_lookback_stateEbbT6_jjT7_P12ihipStream_tbENKUlT_T0_SG_SL_E_clISA_SA_SB_SB_EEDaSZ_S10_SG_SL_EUlSZ_E_NS1_11comp_targetILNS1_3genE6ELNS1_11target_archE950ELNS1_3gpuE13ELNS1_3repE0EEENS1_47radix_sort_onesweep_sort_config_static_selectorELNS0_4arch9wavefront6targetE0EEEvSG_.num_agpr, 0
	.set _ZN7rocprim17ROCPRIM_400000_NS6detail17trampoline_kernelINS0_14default_configENS1_35radix_sort_onesweep_config_selectorIhNS0_10empty_typeEEEZZNS1_29radix_sort_onesweep_iterationIS3_Lb0EPKhPhPS5_SB_mNS0_19identity_decomposerENS1_16block_id_wrapperIjLb1EEEEE10hipError_tT1_PNSt15iterator_traitsISG_E10value_typeET2_T3_PNSH_ISM_E10value_typeET4_T5_PSR_SS_PNS1_23onesweep_lookback_stateEbbT6_jjT7_P12ihipStream_tbENKUlT_T0_SG_SL_E_clISA_SA_SB_SB_EEDaSZ_S10_SG_SL_EUlSZ_E_NS1_11comp_targetILNS1_3genE6ELNS1_11target_archE950ELNS1_3gpuE13ELNS1_3repE0EEENS1_47radix_sort_onesweep_sort_config_static_selectorELNS0_4arch9wavefront6targetE0EEEvSG_.numbered_sgpr, 0
	.set _ZN7rocprim17ROCPRIM_400000_NS6detail17trampoline_kernelINS0_14default_configENS1_35radix_sort_onesweep_config_selectorIhNS0_10empty_typeEEEZZNS1_29radix_sort_onesweep_iterationIS3_Lb0EPKhPhPS5_SB_mNS0_19identity_decomposerENS1_16block_id_wrapperIjLb1EEEEE10hipError_tT1_PNSt15iterator_traitsISG_E10value_typeET2_T3_PNSH_ISM_E10value_typeET4_T5_PSR_SS_PNS1_23onesweep_lookback_stateEbbT6_jjT7_P12ihipStream_tbENKUlT_T0_SG_SL_E_clISA_SA_SB_SB_EEDaSZ_S10_SG_SL_EUlSZ_E_NS1_11comp_targetILNS1_3genE6ELNS1_11target_archE950ELNS1_3gpuE13ELNS1_3repE0EEENS1_47radix_sort_onesweep_sort_config_static_selectorELNS0_4arch9wavefront6targetE0EEEvSG_.num_named_barrier, 0
	.set _ZN7rocprim17ROCPRIM_400000_NS6detail17trampoline_kernelINS0_14default_configENS1_35radix_sort_onesweep_config_selectorIhNS0_10empty_typeEEEZZNS1_29radix_sort_onesweep_iterationIS3_Lb0EPKhPhPS5_SB_mNS0_19identity_decomposerENS1_16block_id_wrapperIjLb1EEEEE10hipError_tT1_PNSt15iterator_traitsISG_E10value_typeET2_T3_PNSH_ISM_E10value_typeET4_T5_PSR_SS_PNS1_23onesweep_lookback_stateEbbT6_jjT7_P12ihipStream_tbENKUlT_T0_SG_SL_E_clISA_SA_SB_SB_EEDaSZ_S10_SG_SL_EUlSZ_E_NS1_11comp_targetILNS1_3genE6ELNS1_11target_archE950ELNS1_3gpuE13ELNS1_3repE0EEENS1_47radix_sort_onesweep_sort_config_static_selectorELNS0_4arch9wavefront6targetE0EEEvSG_.private_seg_size, 0
	.set _ZN7rocprim17ROCPRIM_400000_NS6detail17trampoline_kernelINS0_14default_configENS1_35radix_sort_onesweep_config_selectorIhNS0_10empty_typeEEEZZNS1_29radix_sort_onesweep_iterationIS3_Lb0EPKhPhPS5_SB_mNS0_19identity_decomposerENS1_16block_id_wrapperIjLb1EEEEE10hipError_tT1_PNSt15iterator_traitsISG_E10value_typeET2_T3_PNSH_ISM_E10value_typeET4_T5_PSR_SS_PNS1_23onesweep_lookback_stateEbbT6_jjT7_P12ihipStream_tbENKUlT_T0_SG_SL_E_clISA_SA_SB_SB_EEDaSZ_S10_SG_SL_EUlSZ_E_NS1_11comp_targetILNS1_3genE6ELNS1_11target_archE950ELNS1_3gpuE13ELNS1_3repE0EEENS1_47radix_sort_onesweep_sort_config_static_selectorELNS0_4arch9wavefront6targetE0EEEvSG_.uses_vcc, 0
	.set _ZN7rocprim17ROCPRIM_400000_NS6detail17trampoline_kernelINS0_14default_configENS1_35radix_sort_onesweep_config_selectorIhNS0_10empty_typeEEEZZNS1_29radix_sort_onesweep_iterationIS3_Lb0EPKhPhPS5_SB_mNS0_19identity_decomposerENS1_16block_id_wrapperIjLb1EEEEE10hipError_tT1_PNSt15iterator_traitsISG_E10value_typeET2_T3_PNSH_ISM_E10value_typeET4_T5_PSR_SS_PNS1_23onesweep_lookback_stateEbbT6_jjT7_P12ihipStream_tbENKUlT_T0_SG_SL_E_clISA_SA_SB_SB_EEDaSZ_S10_SG_SL_EUlSZ_E_NS1_11comp_targetILNS1_3genE6ELNS1_11target_archE950ELNS1_3gpuE13ELNS1_3repE0EEENS1_47radix_sort_onesweep_sort_config_static_selectorELNS0_4arch9wavefront6targetE0EEEvSG_.uses_flat_scratch, 0
	.set _ZN7rocprim17ROCPRIM_400000_NS6detail17trampoline_kernelINS0_14default_configENS1_35radix_sort_onesweep_config_selectorIhNS0_10empty_typeEEEZZNS1_29radix_sort_onesweep_iterationIS3_Lb0EPKhPhPS5_SB_mNS0_19identity_decomposerENS1_16block_id_wrapperIjLb1EEEEE10hipError_tT1_PNSt15iterator_traitsISG_E10value_typeET2_T3_PNSH_ISM_E10value_typeET4_T5_PSR_SS_PNS1_23onesweep_lookback_stateEbbT6_jjT7_P12ihipStream_tbENKUlT_T0_SG_SL_E_clISA_SA_SB_SB_EEDaSZ_S10_SG_SL_EUlSZ_E_NS1_11comp_targetILNS1_3genE6ELNS1_11target_archE950ELNS1_3gpuE13ELNS1_3repE0EEENS1_47radix_sort_onesweep_sort_config_static_selectorELNS0_4arch9wavefront6targetE0EEEvSG_.has_dyn_sized_stack, 0
	.set _ZN7rocprim17ROCPRIM_400000_NS6detail17trampoline_kernelINS0_14default_configENS1_35radix_sort_onesweep_config_selectorIhNS0_10empty_typeEEEZZNS1_29radix_sort_onesweep_iterationIS3_Lb0EPKhPhPS5_SB_mNS0_19identity_decomposerENS1_16block_id_wrapperIjLb1EEEEE10hipError_tT1_PNSt15iterator_traitsISG_E10value_typeET2_T3_PNSH_ISM_E10value_typeET4_T5_PSR_SS_PNS1_23onesweep_lookback_stateEbbT6_jjT7_P12ihipStream_tbENKUlT_T0_SG_SL_E_clISA_SA_SB_SB_EEDaSZ_S10_SG_SL_EUlSZ_E_NS1_11comp_targetILNS1_3genE6ELNS1_11target_archE950ELNS1_3gpuE13ELNS1_3repE0EEENS1_47radix_sort_onesweep_sort_config_static_selectorELNS0_4arch9wavefront6targetE0EEEvSG_.has_recursion, 0
	.set _ZN7rocprim17ROCPRIM_400000_NS6detail17trampoline_kernelINS0_14default_configENS1_35radix_sort_onesweep_config_selectorIhNS0_10empty_typeEEEZZNS1_29radix_sort_onesweep_iterationIS3_Lb0EPKhPhPS5_SB_mNS0_19identity_decomposerENS1_16block_id_wrapperIjLb1EEEEE10hipError_tT1_PNSt15iterator_traitsISG_E10value_typeET2_T3_PNSH_ISM_E10value_typeET4_T5_PSR_SS_PNS1_23onesweep_lookback_stateEbbT6_jjT7_P12ihipStream_tbENKUlT_T0_SG_SL_E_clISA_SA_SB_SB_EEDaSZ_S10_SG_SL_EUlSZ_E_NS1_11comp_targetILNS1_3genE6ELNS1_11target_archE950ELNS1_3gpuE13ELNS1_3repE0EEENS1_47radix_sort_onesweep_sort_config_static_selectorELNS0_4arch9wavefront6targetE0EEEvSG_.has_indirect_call, 0
	.section	.AMDGPU.csdata,"",@progbits
; Kernel info:
; codeLenInByte = 0
; TotalNumSgprs: 0
; NumVgprs: 0
; ScratchSize: 0
; MemoryBound: 0
; FloatMode: 240
; IeeeMode: 1
; LDSByteSize: 0 bytes/workgroup (compile time only)
; SGPRBlocks: 0
; VGPRBlocks: 0
; NumSGPRsForWavesPerEU: 1
; NumVGPRsForWavesPerEU: 1
; NamedBarCnt: 0
; Occupancy: 16
; WaveLimiterHint : 0
; COMPUTE_PGM_RSRC2:SCRATCH_EN: 0
; COMPUTE_PGM_RSRC2:USER_SGPR: 2
; COMPUTE_PGM_RSRC2:TRAP_HANDLER: 0
; COMPUTE_PGM_RSRC2:TGID_X_EN: 1
; COMPUTE_PGM_RSRC2:TGID_Y_EN: 0
; COMPUTE_PGM_RSRC2:TGID_Z_EN: 0
; COMPUTE_PGM_RSRC2:TIDIG_COMP_CNT: 0
	.section	.text._ZN7rocprim17ROCPRIM_400000_NS6detail17trampoline_kernelINS0_14default_configENS1_35radix_sort_onesweep_config_selectorIhNS0_10empty_typeEEEZZNS1_29radix_sort_onesweep_iterationIS3_Lb0EPKhPhPS5_SB_mNS0_19identity_decomposerENS1_16block_id_wrapperIjLb1EEEEE10hipError_tT1_PNSt15iterator_traitsISG_E10value_typeET2_T3_PNSH_ISM_E10value_typeET4_T5_PSR_SS_PNS1_23onesweep_lookback_stateEbbT6_jjT7_P12ihipStream_tbENKUlT_T0_SG_SL_E_clISA_SA_SB_SB_EEDaSZ_S10_SG_SL_EUlSZ_E_NS1_11comp_targetILNS1_3genE5ELNS1_11target_archE942ELNS1_3gpuE9ELNS1_3repE0EEENS1_47radix_sort_onesweep_sort_config_static_selectorELNS0_4arch9wavefront6targetE0EEEvSG_,"axG",@progbits,_ZN7rocprim17ROCPRIM_400000_NS6detail17trampoline_kernelINS0_14default_configENS1_35radix_sort_onesweep_config_selectorIhNS0_10empty_typeEEEZZNS1_29radix_sort_onesweep_iterationIS3_Lb0EPKhPhPS5_SB_mNS0_19identity_decomposerENS1_16block_id_wrapperIjLb1EEEEE10hipError_tT1_PNSt15iterator_traitsISG_E10value_typeET2_T3_PNSH_ISM_E10value_typeET4_T5_PSR_SS_PNS1_23onesweep_lookback_stateEbbT6_jjT7_P12ihipStream_tbENKUlT_T0_SG_SL_E_clISA_SA_SB_SB_EEDaSZ_S10_SG_SL_EUlSZ_E_NS1_11comp_targetILNS1_3genE5ELNS1_11target_archE942ELNS1_3gpuE9ELNS1_3repE0EEENS1_47radix_sort_onesweep_sort_config_static_selectorELNS0_4arch9wavefront6targetE0EEEvSG_,comdat
	.protected	_ZN7rocprim17ROCPRIM_400000_NS6detail17trampoline_kernelINS0_14default_configENS1_35radix_sort_onesweep_config_selectorIhNS0_10empty_typeEEEZZNS1_29radix_sort_onesweep_iterationIS3_Lb0EPKhPhPS5_SB_mNS0_19identity_decomposerENS1_16block_id_wrapperIjLb1EEEEE10hipError_tT1_PNSt15iterator_traitsISG_E10value_typeET2_T3_PNSH_ISM_E10value_typeET4_T5_PSR_SS_PNS1_23onesweep_lookback_stateEbbT6_jjT7_P12ihipStream_tbENKUlT_T0_SG_SL_E_clISA_SA_SB_SB_EEDaSZ_S10_SG_SL_EUlSZ_E_NS1_11comp_targetILNS1_3genE5ELNS1_11target_archE942ELNS1_3gpuE9ELNS1_3repE0EEENS1_47radix_sort_onesweep_sort_config_static_selectorELNS0_4arch9wavefront6targetE0EEEvSG_ ; -- Begin function _ZN7rocprim17ROCPRIM_400000_NS6detail17trampoline_kernelINS0_14default_configENS1_35radix_sort_onesweep_config_selectorIhNS0_10empty_typeEEEZZNS1_29radix_sort_onesweep_iterationIS3_Lb0EPKhPhPS5_SB_mNS0_19identity_decomposerENS1_16block_id_wrapperIjLb1EEEEE10hipError_tT1_PNSt15iterator_traitsISG_E10value_typeET2_T3_PNSH_ISM_E10value_typeET4_T5_PSR_SS_PNS1_23onesweep_lookback_stateEbbT6_jjT7_P12ihipStream_tbENKUlT_T0_SG_SL_E_clISA_SA_SB_SB_EEDaSZ_S10_SG_SL_EUlSZ_E_NS1_11comp_targetILNS1_3genE5ELNS1_11target_archE942ELNS1_3gpuE9ELNS1_3repE0EEENS1_47radix_sort_onesweep_sort_config_static_selectorELNS0_4arch9wavefront6targetE0EEEvSG_
	.globl	_ZN7rocprim17ROCPRIM_400000_NS6detail17trampoline_kernelINS0_14default_configENS1_35radix_sort_onesweep_config_selectorIhNS0_10empty_typeEEEZZNS1_29radix_sort_onesweep_iterationIS3_Lb0EPKhPhPS5_SB_mNS0_19identity_decomposerENS1_16block_id_wrapperIjLb1EEEEE10hipError_tT1_PNSt15iterator_traitsISG_E10value_typeET2_T3_PNSH_ISM_E10value_typeET4_T5_PSR_SS_PNS1_23onesweep_lookback_stateEbbT6_jjT7_P12ihipStream_tbENKUlT_T0_SG_SL_E_clISA_SA_SB_SB_EEDaSZ_S10_SG_SL_EUlSZ_E_NS1_11comp_targetILNS1_3genE5ELNS1_11target_archE942ELNS1_3gpuE9ELNS1_3repE0EEENS1_47radix_sort_onesweep_sort_config_static_selectorELNS0_4arch9wavefront6targetE0EEEvSG_
	.p2align	8
	.type	_ZN7rocprim17ROCPRIM_400000_NS6detail17trampoline_kernelINS0_14default_configENS1_35radix_sort_onesweep_config_selectorIhNS0_10empty_typeEEEZZNS1_29radix_sort_onesweep_iterationIS3_Lb0EPKhPhPS5_SB_mNS0_19identity_decomposerENS1_16block_id_wrapperIjLb1EEEEE10hipError_tT1_PNSt15iterator_traitsISG_E10value_typeET2_T3_PNSH_ISM_E10value_typeET4_T5_PSR_SS_PNS1_23onesweep_lookback_stateEbbT6_jjT7_P12ihipStream_tbENKUlT_T0_SG_SL_E_clISA_SA_SB_SB_EEDaSZ_S10_SG_SL_EUlSZ_E_NS1_11comp_targetILNS1_3genE5ELNS1_11target_archE942ELNS1_3gpuE9ELNS1_3repE0EEENS1_47radix_sort_onesweep_sort_config_static_selectorELNS0_4arch9wavefront6targetE0EEEvSG_,@function
_ZN7rocprim17ROCPRIM_400000_NS6detail17trampoline_kernelINS0_14default_configENS1_35radix_sort_onesweep_config_selectorIhNS0_10empty_typeEEEZZNS1_29radix_sort_onesweep_iterationIS3_Lb0EPKhPhPS5_SB_mNS0_19identity_decomposerENS1_16block_id_wrapperIjLb1EEEEE10hipError_tT1_PNSt15iterator_traitsISG_E10value_typeET2_T3_PNSH_ISM_E10value_typeET4_T5_PSR_SS_PNS1_23onesweep_lookback_stateEbbT6_jjT7_P12ihipStream_tbENKUlT_T0_SG_SL_E_clISA_SA_SB_SB_EEDaSZ_S10_SG_SL_EUlSZ_E_NS1_11comp_targetILNS1_3genE5ELNS1_11target_archE942ELNS1_3gpuE9ELNS1_3repE0EEENS1_47radix_sort_onesweep_sort_config_static_selectorELNS0_4arch9wavefront6targetE0EEEvSG_: ; @_ZN7rocprim17ROCPRIM_400000_NS6detail17trampoline_kernelINS0_14default_configENS1_35radix_sort_onesweep_config_selectorIhNS0_10empty_typeEEEZZNS1_29radix_sort_onesweep_iterationIS3_Lb0EPKhPhPS5_SB_mNS0_19identity_decomposerENS1_16block_id_wrapperIjLb1EEEEE10hipError_tT1_PNSt15iterator_traitsISG_E10value_typeET2_T3_PNSH_ISM_E10value_typeET4_T5_PSR_SS_PNS1_23onesweep_lookback_stateEbbT6_jjT7_P12ihipStream_tbENKUlT_T0_SG_SL_E_clISA_SA_SB_SB_EEDaSZ_S10_SG_SL_EUlSZ_E_NS1_11comp_targetILNS1_3genE5ELNS1_11target_archE942ELNS1_3gpuE9ELNS1_3repE0EEENS1_47radix_sort_onesweep_sort_config_static_selectorELNS0_4arch9wavefront6targetE0EEEvSG_
; %bb.0:
	.section	.rodata,"a",@progbits
	.p2align	6, 0x0
	.amdhsa_kernel _ZN7rocprim17ROCPRIM_400000_NS6detail17trampoline_kernelINS0_14default_configENS1_35radix_sort_onesweep_config_selectorIhNS0_10empty_typeEEEZZNS1_29radix_sort_onesweep_iterationIS3_Lb0EPKhPhPS5_SB_mNS0_19identity_decomposerENS1_16block_id_wrapperIjLb1EEEEE10hipError_tT1_PNSt15iterator_traitsISG_E10value_typeET2_T3_PNSH_ISM_E10value_typeET4_T5_PSR_SS_PNS1_23onesweep_lookback_stateEbbT6_jjT7_P12ihipStream_tbENKUlT_T0_SG_SL_E_clISA_SA_SB_SB_EEDaSZ_S10_SG_SL_EUlSZ_E_NS1_11comp_targetILNS1_3genE5ELNS1_11target_archE942ELNS1_3gpuE9ELNS1_3repE0EEENS1_47radix_sort_onesweep_sort_config_static_selectorELNS0_4arch9wavefront6targetE0EEEvSG_
		.amdhsa_group_segment_fixed_size 0
		.amdhsa_private_segment_fixed_size 0
		.amdhsa_kernarg_size 88
		.amdhsa_user_sgpr_count 2
		.amdhsa_user_sgpr_dispatch_ptr 0
		.amdhsa_user_sgpr_queue_ptr 0
		.amdhsa_user_sgpr_kernarg_segment_ptr 1
		.amdhsa_user_sgpr_dispatch_id 0
		.amdhsa_user_sgpr_kernarg_preload_length 0
		.amdhsa_user_sgpr_kernarg_preload_offset 0
		.amdhsa_user_sgpr_private_segment_size 0
		.amdhsa_wavefront_size32 1
		.amdhsa_uses_dynamic_stack 0
		.amdhsa_enable_private_segment 0
		.amdhsa_system_sgpr_workgroup_id_x 1
		.amdhsa_system_sgpr_workgroup_id_y 0
		.amdhsa_system_sgpr_workgroup_id_z 0
		.amdhsa_system_sgpr_workgroup_info 0
		.amdhsa_system_vgpr_workitem_id 0
		.amdhsa_next_free_vgpr 1
		.amdhsa_next_free_sgpr 1
		.amdhsa_named_barrier_count 0
		.amdhsa_reserve_vcc 0
		.amdhsa_float_round_mode_32 0
		.amdhsa_float_round_mode_16_64 0
		.amdhsa_float_denorm_mode_32 3
		.amdhsa_float_denorm_mode_16_64 3
		.amdhsa_fp16_overflow 0
		.amdhsa_memory_ordered 1
		.amdhsa_forward_progress 1
		.amdhsa_inst_pref_size 0
		.amdhsa_round_robin_scheduling 0
		.amdhsa_exception_fp_ieee_invalid_op 0
		.amdhsa_exception_fp_denorm_src 0
		.amdhsa_exception_fp_ieee_div_zero 0
		.amdhsa_exception_fp_ieee_overflow 0
		.amdhsa_exception_fp_ieee_underflow 0
		.amdhsa_exception_fp_ieee_inexact 0
		.amdhsa_exception_int_div_zero 0
	.end_amdhsa_kernel
	.section	.text._ZN7rocprim17ROCPRIM_400000_NS6detail17trampoline_kernelINS0_14default_configENS1_35radix_sort_onesweep_config_selectorIhNS0_10empty_typeEEEZZNS1_29radix_sort_onesweep_iterationIS3_Lb0EPKhPhPS5_SB_mNS0_19identity_decomposerENS1_16block_id_wrapperIjLb1EEEEE10hipError_tT1_PNSt15iterator_traitsISG_E10value_typeET2_T3_PNSH_ISM_E10value_typeET4_T5_PSR_SS_PNS1_23onesweep_lookback_stateEbbT6_jjT7_P12ihipStream_tbENKUlT_T0_SG_SL_E_clISA_SA_SB_SB_EEDaSZ_S10_SG_SL_EUlSZ_E_NS1_11comp_targetILNS1_3genE5ELNS1_11target_archE942ELNS1_3gpuE9ELNS1_3repE0EEENS1_47radix_sort_onesweep_sort_config_static_selectorELNS0_4arch9wavefront6targetE0EEEvSG_,"axG",@progbits,_ZN7rocprim17ROCPRIM_400000_NS6detail17trampoline_kernelINS0_14default_configENS1_35radix_sort_onesweep_config_selectorIhNS0_10empty_typeEEEZZNS1_29radix_sort_onesweep_iterationIS3_Lb0EPKhPhPS5_SB_mNS0_19identity_decomposerENS1_16block_id_wrapperIjLb1EEEEE10hipError_tT1_PNSt15iterator_traitsISG_E10value_typeET2_T3_PNSH_ISM_E10value_typeET4_T5_PSR_SS_PNS1_23onesweep_lookback_stateEbbT6_jjT7_P12ihipStream_tbENKUlT_T0_SG_SL_E_clISA_SA_SB_SB_EEDaSZ_S10_SG_SL_EUlSZ_E_NS1_11comp_targetILNS1_3genE5ELNS1_11target_archE942ELNS1_3gpuE9ELNS1_3repE0EEENS1_47radix_sort_onesweep_sort_config_static_selectorELNS0_4arch9wavefront6targetE0EEEvSG_,comdat
.Lfunc_end230:
	.size	_ZN7rocprim17ROCPRIM_400000_NS6detail17trampoline_kernelINS0_14default_configENS1_35radix_sort_onesweep_config_selectorIhNS0_10empty_typeEEEZZNS1_29radix_sort_onesweep_iterationIS3_Lb0EPKhPhPS5_SB_mNS0_19identity_decomposerENS1_16block_id_wrapperIjLb1EEEEE10hipError_tT1_PNSt15iterator_traitsISG_E10value_typeET2_T3_PNSH_ISM_E10value_typeET4_T5_PSR_SS_PNS1_23onesweep_lookback_stateEbbT6_jjT7_P12ihipStream_tbENKUlT_T0_SG_SL_E_clISA_SA_SB_SB_EEDaSZ_S10_SG_SL_EUlSZ_E_NS1_11comp_targetILNS1_3genE5ELNS1_11target_archE942ELNS1_3gpuE9ELNS1_3repE0EEENS1_47radix_sort_onesweep_sort_config_static_selectorELNS0_4arch9wavefront6targetE0EEEvSG_, .Lfunc_end230-_ZN7rocprim17ROCPRIM_400000_NS6detail17trampoline_kernelINS0_14default_configENS1_35radix_sort_onesweep_config_selectorIhNS0_10empty_typeEEEZZNS1_29radix_sort_onesweep_iterationIS3_Lb0EPKhPhPS5_SB_mNS0_19identity_decomposerENS1_16block_id_wrapperIjLb1EEEEE10hipError_tT1_PNSt15iterator_traitsISG_E10value_typeET2_T3_PNSH_ISM_E10value_typeET4_T5_PSR_SS_PNS1_23onesweep_lookback_stateEbbT6_jjT7_P12ihipStream_tbENKUlT_T0_SG_SL_E_clISA_SA_SB_SB_EEDaSZ_S10_SG_SL_EUlSZ_E_NS1_11comp_targetILNS1_3genE5ELNS1_11target_archE942ELNS1_3gpuE9ELNS1_3repE0EEENS1_47radix_sort_onesweep_sort_config_static_selectorELNS0_4arch9wavefront6targetE0EEEvSG_
                                        ; -- End function
	.set _ZN7rocprim17ROCPRIM_400000_NS6detail17trampoline_kernelINS0_14default_configENS1_35radix_sort_onesweep_config_selectorIhNS0_10empty_typeEEEZZNS1_29radix_sort_onesweep_iterationIS3_Lb0EPKhPhPS5_SB_mNS0_19identity_decomposerENS1_16block_id_wrapperIjLb1EEEEE10hipError_tT1_PNSt15iterator_traitsISG_E10value_typeET2_T3_PNSH_ISM_E10value_typeET4_T5_PSR_SS_PNS1_23onesweep_lookback_stateEbbT6_jjT7_P12ihipStream_tbENKUlT_T0_SG_SL_E_clISA_SA_SB_SB_EEDaSZ_S10_SG_SL_EUlSZ_E_NS1_11comp_targetILNS1_3genE5ELNS1_11target_archE942ELNS1_3gpuE9ELNS1_3repE0EEENS1_47radix_sort_onesweep_sort_config_static_selectorELNS0_4arch9wavefront6targetE0EEEvSG_.num_vgpr, 0
	.set _ZN7rocprim17ROCPRIM_400000_NS6detail17trampoline_kernelINS0_14default_configENS1_35radix_sort_onesweep_config_selectorIhNS0_10empty_typeEEEZZNS1_29radix_sort_onesweep_iterationIS3_Lb0EPKhPhPS5_SB_mNS0_19identity_decomposerENS1_16block_id_wrapperIjLb1EEEEE10hipError_tT1_PNSt15iterator_traitsISG_E10value_typeET2_T3_PNSH_ISM_E10value_typeET4_T5_PSR_SS_PNS1_23onesweep_lookback_stateEbbT6_jjT7_P12ihipStream_tbENKUlT_T0_SG_SL_E_clISA_SA_SB_SB_EEDaSZ_S10_SG_SL_EUlSZ_E_NS1_11comp_targetILNS1_3genE5ELNS1_11target_archE942ELNS1_3gpuE9ELNS1_3repE0EEENS1_47radix_sort_onesweep_sort_config_static_selectorELNS0_4arch9wavefront6targetE0EEEvSG_.num_agpr, 0
	.set _ZN7rocprim17ROCPRIM_400000_NS6detail17trampoline_kernelINS0_14default_configENS1_35radix_sort_onesweep_config_selectorIhNS0_10empty_typeEEEZZNS1_29radix_sort_onesweep_iterationIS3_Lb0EPKhPhPS5_SB_mNS0_19identity_decomposerENS1_16block_id_wrapperIjLb1EEEEE10hipError_tT1_PNSt15iterator_traitsISG_E10value_typeET2_T3_PNSH_ISM_E10value_typeET4_T5_PSR_SS_PNS1_23onesweep_lookback_stateEbbT6_jjT7_P12ihipStream_tbENKUlT_T0_SG_SL_E_clISA_SA_SB_SB_EEDaSZ_S10_SG_SL_EUlSZ_E_NS1_11comp_targetILNS1_3genE5ELNS1_11target_archE942ELNS1_3gpuE9ELNS1_3repE0EEENS1_47radix_sort_onesweep_sort_config_static_selectorELNS0_4arch9wavefront6targetE0EEEvSG_.numbered_sgpr, 0
	.set _ZN7rocprim17ROCPRIM_400000_NS6detail17trampoline_kernelINS0_14default_configENS1_35radix_sort_onesweep_config_selectorIhNS0_10empty_typeEEEZZNS1_29radix_sort_onesweep_iterationIS3_Lb0EPKhPhPS5_SB_mNS0_19identity_decomposerENS1_16block_id_wrapperIjLb1EEEEE10hipError_tT1_PNSt15iterator_traitsISG_E10value_typeET2_T3_PNSH_ISM_E10value_typeET4_T5_PSR_SS_PNS1_23onesweep_lookback_stateEbbT6_jjT7_P12ihipStream_tbENKUlT_T0_SG_SL_E_clISA_SA_SB_SB_EEDaSZ_S10_SG_SL_EUlSZ_E_NS1_11comp_targetILNS1_3genE5ELNS1_11target_archE942ELNS1_3gpuE9ELNS1_3repE0EEENS1_47radix_sort_onesweep_sort_config_static_selectorELNS0_4arch9wavefront6targetE0EEEvSG_.num_named_barrier, 0
	.set _ZN7rocprim17ROCPRIM_400000_NS6detail17trampoline_kernelINS0_14default_configENS1_35radix_sort_onesweep_config_selectorIhNS0_10empty_typeEEEZZNS1_29radix_sort_onesweep_iterationIS3_Lb0EPKhPhPS5_SB_mNS0_19identity_decomposerENS1_16block_id_wrapperIjLb1EEEEE10hipError_tT1_PNSt15iterator_traitsISG_E10value_typeET2_T3_PNSH_ISM_E10value_typeET4_T5_PSR_SS_PNS1_23onesweep_lookback_stateEbbT6_jjT7_P12ihipStream_tbENKUlT_T0_SG_SL_E_clISA_SA_SB_SB_EEDaSZ_S10_SG_SL_EUlSZ_E_NS1_11comp_targetILNS1_3genE5ELNS1_11target_archE942ELNS1_3gpuE9ELNS1_3repE0EEENS1_47radix_sort_onesweep_sort_config_static_selectorELNS0_4arch9wavefront6targetE0EEEvSG_.private_seg_size, 0
	.set _ZN7rocprim17ROCPRIM_400000_NS6detail17trampoline_kernelINS0_14default_configENS1_35radix_sort_onesweep_config_selectorIhNS0_10empty_typeEEEZZNS1_29radix_sort_onesweep_iterationIS3_Lb0EPKhPhPS5_SB_mNS0_19identity_decomposerENS1_16block_id_wrapperIjLb1EEEEE10hipError_tT1_PNSt15iterator_traitsISG_E10value_typeET2_T3_PNSH_ISM_E10value_typeET4_T5_PSR_SS_PNS1_23onesweep_lookback_stateEbbT6_jjT7_P12ihipStream_tbENKUlT_T0_SG_SL_E_clISA_SA_SB_SB_EEDaSZ_S10_SG_SL_EUlSZ_E_NS1_11comp_targetILNS1_3genE5ELNS1_11target_archE942ELNS1_3gpuE9ELNS1_3repE0EEENS1_47radix_sort_onesweep_sort_config_static_selectorELNS0_4arch9wavefront6targetE0EEEvSG_.uses_vcc, 0
	.set _ZN7rocprim17ROCPRIM_400000_NS6detail17trampoline_kernelINS0_14default_configENS1_35radix_sort_onesweep_config_selectorIhNS0_10empty_typeEEEZZNS1_29radix_sort_onesweep_iterationIS3_Lb0EPKhPhPS5_SB_mNS0_19identity_decomposerENS1_16block_id_wrapperIjLb1EEEEE10hipError_tT1_PNSt15iterator_traitsISG_E10value_typeET2_T3_PNSH_ISM_E10value_typeET4_T5_PSR_SS_PNS1_23onesweep_lookback_stateEbbT6_jjT7_P12ihipStream_tbENKUlT_T0_SG_SL_E_clISA_SA_SB_SB_EEDaSZ_S10_SG_SL_EUlSZ_E_NS1_11comp_targetILNS1_3genE5ELNS1_11target_archE942ELNS1_3gpuE9ELNS1_3repE0EEENS1_47radix_sort_onesweep_sort_config_static_selectorELNS0_4arch9wavefront6targetE0EEEvSG_.uses_flat_scratch, 0
	.set _ZN7rocprim17ROCPRIM_400000_NS6detail17trampoline_kernelINS0_14default_configENS1_35radix_sort_onesweep_config_selectorIhNS0_10empty_typeEEEZZNS1_29radix_sort_onesweep_iterationIS3_Lb0EPKhPhPS5_SB_mNS0_19identity_decomposerENS1_16block_id_wrapperIjLb1EEEEE10hipError_tT1_PNSt15iterator_traitsISG_E10value_typeET2_T3_PNSH_ISM_E10value_typeET4_T5_PSR_SS_PNS1_23onesweep_lookback_stateEbbT6_jjT7_P12ihipStream_tbENKUlT_T0_SG_SL_E_clISA_SA_SB_SB_EEDaSZ_S10_SG_SL_EUlSZ_E_NS1_11comp_targetILNS1_3genE5ELNS1_11target_archE942ELNS1_3gpuE9ELNS1_3repE0EEENS1_47radix_sort_onesweep_sort_config_static_selectorELNS0_4arch9wavefront6targetE0EEEvSG_.has_dyn_sized_stack, 0
	.set _ZN7rocprim17ROCPRIM_400000_NS6detail17trampoline_kernelINS0_14default_configENS1_35radix_sort_onesweep_config_selectorIhNS0_10empty_typeEEEZZNS1_29radix_sort_onesweep_iterationIS3_Lb0EPKhPhPS5_SB_mNS0_19identity_decomposerENS1_16block_id_wrapperIjLb1EEEEE10hipError_tT1_PNSt15iterator_traitsISG_E10value_typeET2_T3_PNSH_ISM_E10value_typeET4_T5_PSR_SS_PNS1_23onesweep_lookback_stateEbbT6_jjT7_P12ihipStream_tbENKUlT_T0_SG_SL_E_clISA_SA_SB_SB_EEDaSZ_S10_SG_SL_EUlSZ_E_NS1_11comp_targetILNS1_3genE5ELNS1_11target_archE942ELNS1_3gpuE9ELNS1_3repE0EEENS1_47radix_sort_onesweep_sort_config_static_selectorELNS0_4arch9wavefront6targetE0EEEvSG_.has_recursion, 0
	.set _ZN7rocprim17ROCPRIM_400000_NS6detail17trampoline_kernelINS0_14default_configENS1_35radix_sort_onesweep_config_selectorIhNS0_10empty_typeEEEZZNS1_29radix_sort_onesweep_iterationIS3_Lb0EPKhPhPS5_SB_mNS0_19identity_decomposerENS1_16block_id_wrapperIjLb1EEEEE10hipError_tT1_PNSt15iterator_traitsISG_E10value_typeET2_T3_PNSH_ISM_E10value_typeET4_T5_PSR_SS_PNS1_23onesweep_lookback_stateEbbT6_jjT7_P12ihipStream_tbENKUlT_T0_SG_SL_E_clISA_SA_SB_SB_EEDaSZ_S10_SG_SL_EUlSZ_E_NS1_11comp_targetILNS1_3genE5ELNS1_11target_archE942ELNS1_3gpuE9ELNS1_3repE0EEENS1_47radix_sort_onesweep_sort_config_static_selectorELNS0_4arch9wavefront6targetE0EEEvSG_.has_indirect_call, 0
	.section	.AMDGPU.csdata,"",@progbits
; Kernel info:
; codeLenInByte = 0
; TotalNumSgprs: 0
; NumVgprs: 0
; ScratchSize: 0
; MemoryBound: 0
; FloatMode: 240
; IeeeMode: 1
; LDSByteSize: 0 bytes/workgroup (compile time only)
; SGPRBlocks: 0
; VGPRBlocks: 0
; NumSGPRsForWavesPerEU: 1
; NumVGPRsForWavesPerEU: 1
; NamedBarCnt: 0
; Occupancy: 16
; WaveLimiterHint : 0
; COMPUTE_PGM_RSRC2:SCRATCH_EN: 0
; COMPUTE_PGM_RSRC2:USER_SGPR: 2
; COMPUTE_PGM_RSRC2:TRAP_HANDLER: 0
; COMPUTE_PGM_RSRC2:TGID_X_EN: 1
; COMPUTE_PGM_RSRC2:TGID_Y_EN: 0
; COMPUTE_PGM_RSRC2:TGID_Z_EN: 0
; COMPUTE_PGM_RSRC2:TIDIG_COMP_CNT: 0
	.section	.text._ZN7rocprim17ROCPRIM_400000_NS6detail17trampoline_kernelINS0_14default_configENS1_35radix_sort_onesweep_config_selectorIhNS0_10empty_typeEEEZZNS1_29radix_sort_onesweep_iterationIS3_Lb0EPKhPhPS5_SB_mNS0_19identity_decomposerENS1_16block_id_wrapperIjLb1EEEEE10hipError_tT1_PNSt15iterator_traitsISG_E10value_typeET2_T3_PNSH_ISM_E10value_typeET4_T5_PSR_SS_PNS1_23onesweep_lookback_stateEbbT6_jjT7_P12ihipStream_tbENKUlT_T0_SG_SL_E_clISA_SA_SB_SB_EEDaSZ_S10_SG_SL_EUlSZ_E_NS1_11comp_targetILNS1_3genE2ELNS1_11target_archE906ELNS1_3gpuE6ELNS1_3repE0EEENS1_47radix_sort_onesweep_sort_config_static_selectorELNS0_4arch9wavefront6targetE0EEEvSG_,"axG",@progbits,_ZN7rocprim17ROCPRIM_400000_NS6detail17trampoline_kernelINS0_14default_configENS1_35radix_sort_onesweep_config_selectorIhNS0_10empty_typeEEEZZNS1_29radix_sort_onesweep_iterationIS3_Lb0EPKhPhPS5_SB_mNS0_19identity_decomposerENS1_16block_id_wrapperIjLb1EEEEE10hipError_tT1_PNSt15iterator_traitsISG_E10value_typeET2_T3_PNSH_ISM_E10value_typeET4_T5_PSR_SS_PNS1_23onesweep_lookback_stateEbbT6_jjT7_P12ihipStream_tbENKUlT_T0_SG_SL_E_clISA_SA_SB_SB_EEDaSZ_S10_SG_SL_EUlSZ_E_NS1_11comp_targetILNS1_3genE2ELNS1_11target_archE906ELNS1_3gpuE6ELNS1_3repE0EEENS1_47radix_sort_onesweep_sort_config_static_selectorELNS0_4arch9wavefront6targetE0EEEvSG_,comdat
	.protected	_ZN7rocprim17ROCPRIM_400000_NS6detail17trampoline_kernelINS0_14default_configENS1_35radix_sort_onesweep_config_selectorIhNS0_10empty_typeEEEZZNS1_29radix_sort_onesweep_iterationIS3_Lb0EPKhPhPS5_SB_mNS0_19identity_decomposerENS1_16block_id_wrapperIjLb1EEEEE10hipError_tT1_PNSt15iterator_traitsISG_E10value_typeET2_T3_PNSH_ISM_E10value_typeET4_T5_PSR_SS_PNS1_23onesweep_lookback_stateEbbT6_jjT7_P12ihipStream_tbENKUlT_T0_SG_SL_E_clISA_SA_SB_SB_EEDaSZ_S10_SG_SL_EUlSZ_E_NS1_11comp_targetILNS1_3genE2ELNS1_11target_archE906ELNS1_3gpuE6ELNS1_3repE0EEENS1_47radix_sort_onesweep_sort_config_static_selectorELNS0_4arch9wavefront6targetE0EEEvSG_ ; -- Begin function _ZN7rocprim17ROCPRIM_400000_NS6detail17trampoline_kernelINS0_14default_configENS1_35radix_sort_onesweep_config_selectorIhNS0_10empty_typeEEEZZNS1_29radix_sort_onesweep_iterationIS3_Lb0EPKhPhPS5_SB_mNS0_19identity_decomposerENS1_16block_id_wrapperIjLb1EEEEE10hipError_tT1_PNSt15iterator_traitsISG_E10value_typeET2_T3_PNSH_ISM_E10value_typeET4_T5_PSR_SS_PNS1_23onesweep_lookback_stateEbbT6_jjT7_P12ihipStream_tbENKUlT_T0_SG_SL_E_clISA_SA_SB_SB_EEDaSZ_S10_SG_SL_EUlSZ_E_NS1_11comp_targetILNS1_3genE2ELNS1_11target_archE906ELNS1_3gpuE6ELNS1_3repE0EEENS1_47radix_sort_onesweep_sort_config_static_selectorELNS0_4arch9wavefront6targetE0EEEvSG_
	.globl	_ZN7rocprim17ROCPRIM_400000_NS6detail17trampoline_kernelINS0_14default_configENS1_35radix_sort_onesweep_config_selectorIhNS0_10empty_typeEEEZZNS1_29radix_sort_onesweep_iterationIS3_Lb0EPKhPhPS5_SB_mNS0_19identity_decomposerENS1_16block_id_wrapperIjLb1EEEEE10hipError_tT1_PNSt15iterator_traitsISG_E10value_typeET2_T3_PNSH_ISM_E10value_typeET4_T5_PSR_SS_PNS1_23onesweep_lookback_stateEbbT6_jjT7_P12ihipStream_tbENKUlT_T0_SG_SL_E_clISA_SA_SB_SB_EEDaSZ_S10_SG_SL_EUlSZ_E_NS1_11comp_targetILNS1_3genE2ELNS1_11target_archE906ELNS1_3gpuE6ELNS1_3repE0EEENS1_47radix_sort_onesweep_sort_config_static_selectorELNS0_4arch9wavefront6targetE0EEEvSG_
	.p2align	8
	.type	_ZN7rocprim17ROCPRIM_400000_NS6detail17trampoline_kernelINS0_14default_configENS1_35radix_sort_onesweep_config_selectorIhNS0_10empty_typeEEEZZNS1_29radix_sort_onesweep_iterationIS3_Lb0EPKhPhPS5_SB_mNS0_19identity_decomposerENS1_16block_id_wrapperIjLb1EEEEE10hipError_tT1_PNSt15iterator_traitsISG_E10value_typeET2_T3_PNSH_ISM_E10value_typeET4_T5_PSR_SS_PNS1_23onesweep_lookback_stateEbbT6_jjT7_P12ihipStream_tbENKUlT_T0_SG_SL_E_clISA_SA_SB_SB_EEDaSZ_S10_SG_SL_EUlSZ_E_NS1_11comp_targetILNS1_3genE2ELNS1_11target_archE906ELNS1_3gpuE6ELNS1_3repE0EEENS1_47radix_sort_onesweep_sort_config_static_selectorELNS0_4arch9wavefront6targetE0EEEvSG_,@function
_ZN7rocprim17ROCPRIM_400000_NS6detail17trampoline_kernelINS0_14default_configENS1_35radix_sort_onesweep_config_selectorIhNS0_10empty_typeEEEZZNS1_29radix_sort_onesweep_iterationIS3_Lb0EPKhPhPS5_SB_mNS0_19identity_decomposerENS1_16block_id_wrapperIjLb1EEEEE10hipError_tT1_PNSt15iterator_traitsISG_E10value_typeET2_T3_PNSH_ISM_E10value_typeET4_T5_PSR_SS_PNS1_23onesweep_lookback_stateEbbT6_jjT7_P12ihipStream_tbENKUlT_T0_SG_SL_E_clISA_SA_SB_SB_EEDaSZ_S10_SG_SL_EUlSZ_E_NS1_11comp_targetILNS1_3genE2ELNS1_11target_archE906ELNS1_3gpuE6ELNS1_3repE0EEENS1_47radix_sort_onesweep_sort_config_static_selectorELNS0_4arch9wavefront6targetE0EEEvSG_: ; @_ZN7rocprim17ROCPRIM_400000_NS6detail17trampoline_kernelINS0_14default_configENS1_35radix_sort_onesweep_config_selectorIhNS0_10empty_typeEEEZZNS1_29radix_sort_onesweep_iterationIS3_Lb0EPKhPhPS5_SB_mNS0_19identity_decomposerENS1_16block_id_wrapperIjLb1EEEEE10hipError_tT1_PNSt15iterator_traitsISG_E10value_typeET2_T3_PNSH_ISM_E10value_typeET4_T5_PSR_SS_PNS1_23onesweep_lookback_stateEbbT6_jjT7_P12ihipStream_tbENKUlT_T0_SG_SL_E_clISA_SA_SB_SB_EEDaSZ_S10_SG_SL_EUlSZ_E_NS1_11comp_targetILNS1_3genE2ELNS1_11target_archE906ELNS1_3gpuE6ELNS1_3repE0EEENS1_47radix_sort_onesweep_sort_config_static_selectorELNS0_4arch9wavefront6targetE0EEEvSG_
; %bb.0:
	.section	.rodata,"a",@progbits
	.p2align	6, 0x0
	.amdhsa_kernel _ZN7rocprim17ROCPRIM_400000_NS6detail17trampoline_kernelINS0_14default_configENS1_35radix_sort_onesweep_config_selectorIhNS0_10empty_typeEEEZZNS1_29radix_sort_onesweep_iterationIS3_Lb0EPKhPhPS5_SB_mNS0_19identity_decomposerENS1_16block_id_wrapperIjLb1EEEEE10hipError_tT1_PNSt15iterator_traitsISG_E10value_typeET2_T3_PNSH_ISM_E10value_typeET4_T5_PSR_SS_PNS1_23onesweep_lookback_stateEbbT6_jjT7_P12ihipStream_tbENKUlT_T0_SG_SL_E_clISA_SA_SB_SB_EEDaSZ_S10_SG_SL_EUlSZ_E_NS1_11comp_targetILNS1_3genE2ELNS1_11target_archE906ELNS1_3gpuE6ELNS1_3repE0EEENS1_47radix_sort_onesweep_sort_config_static_selectorELNS0_4arch9wavefront6targetE0EEEvSG_
		.amdhsa_group_segment_fixed_size 0
		.amdhsa_private_segment_fixed_size 0
		.amdhsa_kernarg_size 88
		.amdhsa_user_sgpr_count 2
		.amdhsa_user_sgpr_dispatch_ptr 0
		.amdhsa_user_sgpr_queue_ptr 0
		.amdhsa_user_sgpr_kernarg_segment_ptr 1
		.amdhsa_user_sgpr_dispatch_id 0
		.amdhsa_user_sgpr_kernarg_preload_length 0
		.amdhsa_user_sgpr_kernarg_preload_offset 0
		.amdhsa_user_sgpr_private_segment_size 0
		.amdhsa_wavefront_size32 1
		.amdhsa_uses_dynamic_stack 0
		.amdhsa_enable_private_segment 0
		.amdhsa_system_sgpr_workgroup_id_x 1
		.amdhsa_system_sgpr_workgroup_id_y 0
		.amdhsa_system_sgpr_workgroup_id_z 0
		.amdhsa_system_sgpr_workgroup_info 0
		.amdhsa_system_vgpr_workitem_id 0
		.amdhsa_next_free_vgpr 1
		.amdhsa_next_free_sgpr 1
		.amdhsa_named_barrier_count 0
		.amdhsa_reserve_vcc 0
		.amdhsa_float_round_mode_32 0
		.amdhsa_float_round_mode_16_64 0
		.amdhsa_float_denorm_mode_32 3
		.amdhsa_float_denorm_mode_16_64 3
		.amdhsa_fp16_overflow 0
		.amdhsa_memory_ordered 1
		.amdhsa_forward_progress 1
		.amdhsa_inst_pref_size 0
		.amdhsa_round_robin_scheduling 0
		.amdhsa_exception_fp_ieee_invalid_op 0
		.amdhsa_exception_fp_denorm_src 0
		.amdhsa_exception_fp_ieee_div_zero 0
		.amdhsa_exception_fp_ieee_overflow 0
		.amdhsa_exception_fp_ieee_underflow 0
		.amdhsa_exception_fp_ieee_inexact 0
		.amdhsa_exception_int_div_zero 0
	.end_amdhsa_kernel
	.section	.text._ZN7rocprim17ROCPRIM_400000_NS6detail17trampoline_kernelINS0_14default_configENS1_35radix_sort_onesweep_config_selectorIhNS0_10empty_typeEEEZZNS1_29radix_sort_onesweep_iterationIS3_Lb0EPKhPhPS5_SB_mNS0_19identity_decomposerENS1_16block_id_wrapperIjLb1EEEEE10hipError_tT1_PNSt15iterator_traitsISG_E10value_typeET2_T3_PNSH_ISM_E10value_typeET4_T5_PSR_SS_PNS1_23onesweep_lookback_stateEbbT6_jjT7_P12ihipStream_tbENKUlT_T0_SG_SL_E_clISA_SA_SB_SB_EEDaSZ_S10_SG_SL_EUlSZ_E_NS1_11comp_targetILNS1_3genE2ELNS1_11target_archE906ELNS1_3gpuE6ELNS1_3repE0EEENS1_47radix_sort_onesweep_sort_config_static_selectorELNS0_4arch9wavefront6targetE0EEEvSG_,"axG",@progbits,_ZN7rocprim17ROCPRIM_400000_NS6detail17trampoline_kernelINS0_14default_configENS1_35radix_sort_onesweep_config_selectorIhNS0_10empty_typeEEEZZNS1_29radix_sort_onesweep_iterationIS3_Lb0EPKhPhPS5_SB_mNS0_19identity_decomposerENS1_16block_id_wrapperIjLb1EEEEE10hipError_tT1_PNSt15iterator_traitsISG_E10value_typeET2_T3_PNSH_ISM_E10value_typeET4_T5_PSR_SS_PNS1_23onesweep_lookback_stateEbbT6_jjT7_P12ihipStream_tbENKUlT_T0_SG_SL_E_clISA_SA_SB_SB_EEDaSZ_S10_SG_SL_EUlSZ_E_NS1_11comp_targetILNS1_3genE2ELNS1_11target_archE906ELNS1_3gpuE6ELNS1_3repE0EEENS1_47radix_sort_onesweep_sort_config_static_selectorELNS0_4arch9wavefront6targetE0EEEvSG_,comdat
.Lfunc_end231:
	.size	_ZN7rocprim17ROCPRIM_400000_NS6detail17trampoline_kernelINS0_14default_configENS1_35radix_sort_onesweep_config_selectorIhNS0_10empty_typeEEEZZNS1_29radix_sort_onesweep_iterationIS3_Lb0EPKhPhPS5_SB_mNS0_19identity_decomposerENS1_16block_id_wrapperIjLb1EEEEE10hipError_tT1_PNSt15iterator_traitsISG_E10value_typeET2_T3_PNSH_ISM_E10value_typeET4_T5_PSR_SS_PNS1_23onesweep_lookback_stateEbbT6_jjT7_P12ihipStream_tbENKUlT_T0_SG_SL_E_clISA_SA_SB_SB_EEDaSZ_S10_SG_SL_EUlSZ_E_NS1_11comp_targetILNS1_3genE2ELNS1_11target_archE906ELNS1_3gpuE6ELNS1_3repE0EEENS1_47radix_sort_onesweep_sort_config_static_selectorELNS0_4arch9wavefront6targetE0EEEvSG_, .Lfunc_end231-_ZN7rocprim17ROCPRIM_400000_NS6detail17trampoline_kernelINS0_14default_configENS1_35radix_sort_onesweep_config_selectorIhNS0_10empty_typeEEEZZNS1_29radix_sort_onesweep_iterationIS3_Lb0EPKhPhPS5_SB_mNS0_19identity_decomposerENS1_16block_id_wrapperIjLb1EEEEE10hipError_tT1_PNSt15iterator_traitsISG_E10value_typeET2_T3_PNSH_ISM_E10value_typeET4_T5_PSR_SS_PNS1_23onesweep_lookback_stateEbbT6_jjT7_P12ihipStream_tbENKUlT_T0_SG_SL_E_clISA_SA_SB_SB_EEDaSZ_S10_SG_SL_EUlSZ_E_NS1_11comp_targetILNS1_3genE2ELNS1_11target_archE906ELNS1_3gpuE6ELNS1_3repE0EEENS1_47radix_sort_onesweep_sort_config_static_selectorELNS0_4arch9wavefront6targetE0EEEvSG_
                                        ; -- End function
	.set _ZN7rocprim17ROCPRIM_400000_NS6detail17trampoline_kernelINS0_14default_configENS1_35radix_sort_onesweep_config_selectorIhNS0_10empty_typeEEEZZNS1_29radix_sort_onesweep_iterationIS3_Lb0EPKhPhPS5_SB_mNS0_19identity_decomposerENS1_16block_id_wrapperIjLb1EEEEE10hipError_tT1_PNSt15iterator_traitsISG_E10value_typeET2_T3_PNSH_ISM_E10value_typeET4_T5_PSR_SS_PNS1_23onesweep_lookback_stateEbbT6_jjT7_P12ihipStream_tbENKUlT_T0_SG_SL_E_clISA_SA_SB_SB_EEDaSZ_S10_SG_SL_EUlSZ_E_NS1_11comp_targetILNS1_3genE2ELNS1_11target_archE906ELNS1_3gpuE6ELNS1_3repE0EEENS1_47radix_sort_onesweep_sort_config_static_selectorELNS0_4arch9wavefront6targetE0EEEvSG_.num_vgpr, 0
	.set _ZN7rocprim17ROCPRIM_400000_NS6detail17trampoline_kernelINS0_14default_configENS1_35radix_sort_onesweep_config_selectorIhNS0_10empty_typeEEEZZNS1_29radix_sort_onesweep_iterationIS3_Lb0EPKhPhPS5_SB_mNS0_19identity_decomposerENS1_16block_id_wrapperIjLb1EEEEE10hipError_tT1_PNSt15iterator_traitsISG_E10value_typeET2_T3_PNSH_ISM_E10value_typeET4_T5_PSR_SS_PNS1_23onesweep_lookback_stateEbbT6_jjT7_P12ihipStream_tbENKUlT_T0_SG_SL_E_clISA_SA_SB_SB_EEDaSZ_S10_SG_SL_EUlSZ_E_NS1_11comp_targetILNS1_3genE2ELNS1_11target_archE906ELNS1_3gpuE6ELNS1_3repE0EEENS1_47radix_sort_onesweep_sort_config_static_selectorELNS0_4arch9wavefront6targetE0EEEvSG_.num_agpr, 0
	.set _ZN7rocprim17ROCPRIM_400000_NS6detail17trampoline_kernelINS0_14default_configENS1_35radix_sort_onesweep_config_selectorIhNS0_10empty_typeEEEZZNS1_29radix_sort_onesweep_iterationIS3_Lb0EPKhPhPS5_SB_mNS0_19identity_decomposerENS1_16block_id_wrapperIjLb1EEEEE10hipError_tT1_PNSt15iterator_traitsISG_E10value_typeET2_T3_PNSH_ISM_E10value_typeET4_T5_PSR_SS_PNS1_23onesweep_lookback_stateEbbT6_jjT7_P12ihipStream_tbENKUlT_T0_SG_SL_E_clISA_SA_SB_SB_EEDaSZ_S10_SG_SL_EUlSZ_E_NS1_11comp_targetILNS1_3genE2ELNS1_11target_archE906ELNS1_3gpuE6ELNS1_3repE0EEENS1_47radix_sort_onesweep_sort_config_static_selectorELNS0_4arch9wavefront6targetE0EEEvSG_.numbered_sgpr, 0
	.set _ZN7rocprim17ROCPRIM_400000_NS6detail17trampoline_kernelINS0_14default_configENS1_35radix_sort_onesweep_config_selectorIhNS0_10empty_typeEEEZZNS1_29radix_sort_onesweep_iterationIS3_Lb0EPKhPhPS5_SB_mNS0_19identity_decomposerENS1_16block_id_wrapperIjLb1EEEEE10hipError_tT1_PNSt15iterator_traitsISG_E10value_typeET2_T3_PNSH_ISM_E10value_typeET4_T5_PSR_SS_PNS1_23onesweep_lookback_stateEbbT6_jjT7_P12ihipStream_tbENKUlT_T0_SG_SL_E_clISA_SA_SB_SB_EEDaSZ_S10_SG_SL_EUlSZ_E_NS1_11comp_targetILNS1_3genE2ELNS1_11target_archE906ELNS1_3gpuE6ELNS1_3repE0EEENS1_47radix_sort_onesweep_sort_config_static_selectorELNS0_4arch9wavefront6targetE0EEEvSG_.num_named_barrier, 0
	.set _ZN7rocprim17ROCPRIM_400000_NS6detail17trampoline_kernelINS0_14default_configENS1_35radix_sort_onesweep_config_selectorIhNS0_10empty_typeEEEZZNS1_29radix_sort_onesweep_iterationIS3_Lb0EPKhPhPS5_SB_mNS0_19identity_decomposerENS1_16block_id_wrapperIjLb1EEEEE10hipError_tT1_PNSt15iterator_traitsISG_E10value_typeET2_T3_PNSH_ISM_E10value_typeET4_T5_PSR_SS_PNS1_23onesweep_lookback_stateEbbT6_jjT7_P12ihipStream_tbENKUlT_T0_SG_SL_E_clISA_SA_SB_SB_EEDaSZ_S10_SG_SL_EUlSZ_E_NS1_11comp_targetILNS1_3genE2ELNS1_11target_archE906ELNS1_3gpuE6ELNS1_3repE0EEENS1_47radix_sort_onesweep_sort_config_static_selectorELNS0_4arch9wavefront6targetE0EEEvSG_.private_seg_size, 0
	.set _ZN7rocprim17ROCPRIM_400000_NS6detail17trampoline_kernelINS0_14default_configENS1_35radix_sort_onesweep_config_selectorIhNS0_10empty_typeEEEZZNS1_29radix_sort_onesweep_iterationIS3_Lb0EPKhPhPS5_SB_mNS0_19identity_decomposerENS1_16block_id_wrapperIjLb1EEEEE10hipError_tT1_PNSt15iterator_traitsISG_E10value_typeET2_T3_PNSH_ISM_E10value_typeET4_T5_PSR_SS_PNS1_23onesweep_lookback_stateEbbT6_jjT7_P12ihipStream_tbENKUlT_T0_SG_SL_E_clISA_SA_SB_SB_EEDaSZ_S10_SG_SL_EUlSZ_E_NS1_11comp_targetILNS1_3genE2ELNS1_11target_archE906ELNS1_3gpuE6ELNS1_3repE0EEENS1_47radix_sort_onesweep_sort_config_static_selectorELNS0_4arch9wavefront6targetE0EEEvSG_.uses_vcc, 0
	.set _ZN7rocprim17ROCPRIM_400000_NS6detail17trampoline_kernelINS0_14default_configENS1_35radix_sort_onesweep_config_selectorIhNS0_10empty_typeEEEZZNS1_29radix_sort_onesweep_iterationIS3_Lb0EPKhPhPS5_SB_mNS0_19identity_decomposerENS1_16block_id_wrapperIjLb1EEEEE10hipError_tT1_PNSt15iterator_traitsISG_E10value_typeET2_T3_PNSH_ISM_E10value_typeET4_T5_PSR_SS_PNS1_23onesweep_lookback_stateEbbT6_jjT7_P12ihipStream_tbENKUlT_T0_SG_SL_E_clISA_SA_SB_SB_EEDaSZ_S10_SG_SL_EUlSZ_E_NS1_11comp_targetILNS1_3genE2ELNS1_11target_archE906ELNS1_3gpuE6ELNS1_3repE0EEENS1_47radix_sort_onesweep_sort_config_static_selectorELNS0_4arch9wavefront6targetE0EEEvSG_.uses_flat_scratch, 0
	.set _ZN7rocprim17ROCPRIM_400000_NS6detail17trampoline_kernelINS0_14default_configENS1_35radix_sort_onesweep_config_selectorIhNS0_10empty_typeEEEZZNS1_29radix_sort_onesweep_iterationIS3_Lb0EPKhPhPS5_SB_mNS0_19identity_decomposerENS1_16block_id_wrapperIjLb1EEEEE10hipError_tT1_PNSt15iterator_traitsISG_E10value_typeET2_T3_PNSH_ISM_E10value_typeET4_T5_PSR_SS_PNS1_23onesweep_lookback_stateEbbT6_jjT7_P12ihipStream_tbENKUlT_T0_SG_SL_E_clISA_SA_SB_SB_EEDaSZ_S10_SG_SL_EUlSZ_E_NS1_11comp_targetILNS1_3genE2ELNS1_11target_archE906ELNS1_3gpuE6ELNS1_3repE0EEENS1_47radix_sort_onesweep_sort_config_static_selectorELNS0_4arch9wavefront6targetE0EEEvSG_.has_dyn_sized_stack, 0
	.set _ZN7rocprim17ROCPRIM_400000_NS6detail17trampoline_kernelINS0_14default_configENS1_35radix_sort_onesweep_config_selectorIhNS0_10empty_typeEEEZZNS1_29radix_sort_onesweep_iterationIS3_Lb0EPKhPhPS5_SB_mNS0_19identity_decomposerENS1_16block_id_wrapperIjLb1EEEEE10hipError_tT1_PNSt15iterator_traitsISG_E10value_typeET2_T3_PNSH_ISM_E10value_typeET4_T5_PSR_SS_PNS1_23onesweep_lookback_stateEbbT6_jjT7_P12ihipStream_tbENKUlT_T0_SG_SL_E_clISA_SA_SB_SB_EEDaSZ_S10_SG_SL_EUlSZ_E_NS1_11comp_targetILNS1_3genE2ELNS1_11target_archE906ELNS1_3gpuE6ELNS1_3repE0EEENS1_47radix_sort_onesweep_sort_config_static_selectorELNS0_4arch9wavefront6targetE0EEEvSG_.has_recursion, 0
	.set _ZN7rocprim17ROCPRIM_400000_NS6detail17trampoline_kernelINS0_14default_configENS1_35radix_sort_onesweep_config_selectorIhNS0_10empty_typeEEEZZNS1_29radix_sort_onesweep_iterationIS3_Lb0EPKhPhPS5_SB_mNS0_19identity_decomposerENS1_16block_id_wrapperIjLb1EEEEE10hipError_tT1_PNSt15iterator_traitsISG_E10value_typeET2_T3_PNSH_ISM_E10value_typeET4_T5_PSR_SS_PNS1_23onesweep_lookback_stateEbbT6_jjT7_P12ihipStream_tbENKUlT_T0_SG_SL_E_clISA_SA_SB_SB_EEDaSZ_S10_SG_SL_EUlSZ_E_NS1_11comp_targetILNS1_3genE2ELNS1_11target_archE906ELNS1_3gpuE6ELNS1_3repE0EEENS1_47radix_sort_onesweep_sort_config_static_selectorELNS0_4arch9wavefront6targetE0EEEvSG_.has_indirect_call, 0
	.section	.AMDGPU.csdata,"",@progbits
; Kernel info:
; codeLenInByte = 0
; TotalNumSgprs: 0
; NumVgprs: 0
; ScratchSize: 0
; MemoryBound: 0
; FloatMode: 240
; IeeeMode: 1
; LDSByteSize: 0 bytes/workgroup (compile time only)
; SGPRBlocks: 0
; VGPRBlocks: 0
; NumSGPRsForWavesPerEU: 1
; NumVGPRsForWavesPerEU: 1
; NamedBarCnt: 0
; Occupancy: 16
; WaveLimiterHint : 0
; COMPUTE_PGM_RSRC2:SCRATCH_EN: 0
; COMPUTE_PGM_RSRC2:USER_SGPR: 2
; COMPUTE_PGM_RSRC2:TRAP_HANDLER: 0
; COMPUTE_PGM_RSRC2:TGID_X_EN: 1
; COMPUTE_PGM_RSRC2:TGID_Y_EN: 0
; COMPUTE_PGM_RSRC2:TGID_Z_EN: 0
; COMPUTE_PGM_RSRC2:TIDIG_COMP_CNT: 0
	.section	.text._ZN7rocprim17ROCPRIM_400000_NS6detail17trampoline_kernelINS0_14default_configENS1_35radix_sort_onesweep_config_selectorIhNS0_10empty_typeEEEZZNS1_29radix_sort_onesweep_iterationIS3_Lb0EPKhPhPS5_SB_mNS0_19identity_decomposerENS1_16block_id_wrapperIjLb1EEEEE10hipError_tT1_PNSt15iterator_traitsISG_E10value_typeET2_T3_PNSH_ISM_E10value_typeET4_T5_PSR_SS_PNS1_23onesweep_lookback_stateEbbT6_jjT7_P12ihipStream_tbENKUlT_T0_SG_SL_E_clISA_SA_SB_SB_EEDaSZ_S10_SG_SL_EUlSZ_E_NS1_11comp_targetILNS1_3genE4ELNS1_11target_archE910ELNS1_3gpuE8ELNS1_3repE0EEENS1_47radix_sort_onesweep_sort_config_static_selectorELNS0_4arch9wavefront6targetE0EEEvSG_,"axG",@progbits,_ZN7rocprim17ROCPRIM_400000_NS6detail17trampoline_kernelINS0_14default_configENS1_35radix_sort_onesweep_config_selectorIhNS0_10empty_typeEEEZZNS1_29radix_sort_onesweep_iterationIS3_Lb0EPKhPhPS5_SB_mNS0_19identity_decomposerENS1_16block_id_wrapperIjLb1EEEEE10hipError_tT1_PNSt15iterator_traitsISG_E10value_typeET2_T3_PNSH_ISM_E10value_typeET4_T5_PSR_SS_PNS1_23onesweep_lookback_stateEbbT6_jjT7_P12ihipStream_tbENKUlT_T0_SG_SL_E_clISA_SA_SB_SB_EEDaSZ_S10_SG_SL_EUlSZ_E_NS1_11comp_targetILNS1_3genE4ELNS1_11target_archE910ELNS1_3gpuE8ELNS1_3repE0EEENS1_47radix_sort_onesweep_sort_config_static_selectorELNS0_4arch9wavefront6targetE0EEEvSG_,comdat
	.protected	_ZN7rocprim17ROCPRIM_400000_NS6detail17trampoline_kernelINS0_14default_configENS1_35radix_sort_onesweep_config_selectorIhNS0_10empty_typeEEEZZNS1_29radix_sort_onesweep_iterationIS3_Lb0EPKhPhPS5_SB_mNS0_19identity_decomposerENS1_16block_id_wrapperIjLb1EEEEE10hipError_tT1_PNSt15iterator_traitsISG_E10value_typeET2_T3_PNSH_ISM_E10value_typeET4_T5_PSR_SS_PNS1_23onesweep_lookback_stateEbbT6_jjT7_P12ihipStream_tbENKUlT_T0_SG_SL_E_clISA_SA_SB_SB_EEDaSZ_S10_SG_SL_EUlSZ_E_NS1_11comp_targetILNS1_3genE4ELNS1_11target_archE910ELNS1_3gpuE8ELNS1_3repE0EEENS1_47radix_sort_onesweep_sort_config_static_selectorELNS0_4arch9wavefront6targetE0EEEvSG_ ; -- Begin function _ZN7rocprim17ROCPRIM_400000_NS6detail17trampoline_kernelINS0_14default_configENS1_35radix_sort_onesweep_config_selectorIhNS0_10empty_typeEEEZZNS1_29radix_sort_onesweep_iterationIS3_Lb0EPKhPhPS5_SB_mNS0_19identity_decomposerENS1_16block_id_wrapperIjLb1EEEEE10hipError_tT1_PNSt15iterator_traitsISG_E10value_typeET2_T3_PNSH_ISM_E10value_typeET4_T5_PSR_SS_PNS1_23onesweep_lookback_stateEbbT6_jjT7_P12ihipStream_tbENKUlT_T0_SG_SL_E_clISA_SA_SB_SB_EEDaSZ_S10_SG_SL_EUlSZ_E_NS1_11comp_targetILNS1_3genE4ELNS1_11target_archE910ELNS1_3gpuE8ELNS1_3repE0EEENS1_47radix_sort_onesweep_sort_config_static_selectorELNS0_4arch9wavefront6targetE0EEEvSG_
	.globl	_ZN7rocprim17ROCPRIM_400000_NS6detail17trampoline_kernelINS0_14default_configENS1_35radix_sort_onesweep_config_selectorIhNS0_10empty_typeEEEZZNS1_29radix_sort_onesweep_iterationIS3_Lb0EPKhPhPS5_SB_mNS0_19identity_decomposerENS1_16block_id_wrapperIjLb1EEEEE10hipError_tT1_PNSt15iterator_traitsISG_E10value_typeET2_T3_PNSH_ISM_E10value_typeET4_T5_PSR_SS_PNS1_23onesweep_lookback_stateEbbT6_jjT7_P12ihipStream_tbENKUlT_T0_SG_SL_E_clISA_SA_SB_SB_EEDaSZ_S10_SG_SL_EUlSZ_E_NS1_11comp_targetILNS1_3genE4ELNS1_11target_archE910ELNS1_3gpuE8ELNS1_3repE0EEENS1_47radix_sort_onesweep_sort_config_static_selectorELNS0_4arch9wavefront6targetE0EEEvSG_
	.p2align	8
	.type	_ZN7rocprim17ROCPRIM_400000_NS6detail17trampoline_kernelINS0_14default_configENS1_35radix_sort_onesweep_config_selectorIhNS0_10empty_typeEEEZZNS1_29radix_sort_onesweep_iterationIS3_Lb0EPKhPhPS5_SB_mNS0_19identity_decomposerENS1_16block_id_wrapperIjLb1EEEEE10hipError_tT1_PNSt15iterator_traitsISG_E10value_typeET2_T3_PNSH_ISM_E10value_typeET4_T5_PSR_SS_PNS1_23onesweep_lookback_stateEbbT6_jjT7_P12ihipStream_tbENKUlT_T0_SG_SL_E_clISA_SA_SB_SB_EEDaSZ_S10_SG_SL_EUlSZ_E_NS1_11comp_targetILNS1_3genE4ELNS1_11target_archE910ELNS1_3gpuE8ELNS1_3repE0EEENS1_47radix_sort_onesweep_sort_config_static_selectorELNS0_4arch9wavefront6targetE0EEEvSG_,@function
_ZN7rocprim17ROCPRIM_400000_NS6detail17trampoline_kernelINS0_14default_configENS1_35radix_sort_onesweep_config_selectorIhNS0_10empty_typeEEEZZNS1_29radix_sort_onesweep_iterationIS3_Lb0EPKhPhPS5_SB_mNS0_19identity_decomposerENS1_16block_id_wrapperIjLb1EEEEE10hipError_tT1_PNSt15iterator_traitsISG_E10value_typeET2_T3_PNSH_ISM_E10value_typeET4_T5_PSR_SS_PNS1_23onesweep_lookback_stateEbbT6_jjT7_P12ihipStream_tbENKUlT_T0_SG_SL_E_clISA_SA_SB_SB_EEDaSZ_S10_SG_SL_EUlSZ_E_NS1_11comp_targetILNS1_3genE4ELNS1_11target_archE910ELNS1_3gpuE8ELNS1_3repE0EEENS1_47radix_sort_onesweep_sort_config_static_selectorELNS0_4arch9wavefront6targetE0EEEvSG_: ; @_ZN7rocprim17ROCPRIM_400000_NS6detail17trampoline_kernelINS0_14default_configENS1_35radix_sort_onesweep_config_selectorIhNS0_10empty_typeEEEZZNS1_29radix_sort_onesweep_iterationIS3_Lb0EPKhPhPS5_SB_mNS0_19identity_decomposerENS1_16block_id_wrapperIjLb1EEEEE10hipError_tT1_PNSt15iterator_traitsISG_E10value_typeET2_T3_PNSH_ISM_E10value_typeET4_T5_PSR_SS_PNS1_23onesweep_lookback_stateEbbT6_jjT7_P12ihipStream_tbENKUlT_T0_SG_SL_E_clISA_SA_SB_SB_EEDaSZ_S10_SG_SL_EUlSZ_E_NS1_11comp_targetILNS1_3genE4ELNS1_11target_archE910ELNS1_3gpuE8ELNS1_3repE0EEENS1_47radix_sort_onesweep_sort_config_static_selectorELNS0_4arch9wavefront6targetE0EEEvSG_
; %bb.0:
	.section	.rodata,"a",@progbits
	.p2align	6, 0x0
	.amdhsa_kernel _ZN7rocprim17ROCPRIM_400000_NS6detail17trampoline_kernelINS0_14default_configENS1_35radix_sort_onesweep_config_selectorIhNS0_10empty_typeEEEZZNS1_29radix_sort_onesweep_iterationIS3_Lb0EPKhPhPS5_SB_mNS0_19identity_decomposerENS1_16block_id_wrapperIjLb1EEEEE10hipError_tT1_PNSt15iterator_traitsISG_E10value_typeET2_T3_PNSH_ISM_E10value_typeET4_T5_PSR_SS_PNS1_23onesweep_lookback_stateEbbT6_jjT7_P12ihipStream_tbENKUlT_T0_SG_SL_E_clISA_SA_SB_SB_EEDaSZ_S10_SG_SL_EUlSZ_E_NS1_11comp_targetILNS1_3genE4ELNS1_11target_archE910ELNS1_3gpuE8ELNS1_3repE0EEENS1_47radix_sort_onesweep_sort_config_static_selectorELNS0_4arch9wavefront6targetE0EEEvSG_
		.amdhsa_group_segment_fixed_size 0
		.amdhsa_private_segment_fixed_size 0
		.amdhsa_kernarg_size 88
		.amdhsa_user_sgpr_count 2
		.amdhsa_user_sgpr_dispatch_ptr 0
		.amdhsa_user_sgpr_queue_ptr 0
		.amdhsa_user_sgpr_kernarg_segment_ptr 1
		.amdhsa_user_sgpr_dispatch_id 0
		.amdhsa_user_sgpr_kernarg_preload_length 0
		.amdhsa_user_sgpr_kernarg_preload_offset 0
		.amdhsa_user_sgpr_private_segment_size 0
		.amdhsa_wavefront_size32 1
		.amdhsa_uses_dynamic_stack 0
		.amdhsa_enable_private_segment 0
		.amdhsa_system_sgpr_workgroup_id_x 1
		.amdhsa_system_sgpr_workgroup_id_y 0
		.amdhsa_system_sgpr_workgroup_id_z 0
		.amdhsa_system_sgpr_workgroup_info 0
		.amdhsa_system_vgpr_workitem_id 0
		.amdhsa_next_free_vgpr 1
		.amdhsa_next_free_sgpr 1
		.amdhsa_named_barrier_count 0
		.amdhsa_reserve_vcc 0
		.amdhsa_float_round_mode_32 0
		.amdhsa_float_round_mode_16_64 0
		.amdhsa_float_denorm_mode_32 3
		.amdhsa_float_denorm_mode_16_64 3
		.amdhsa_fp16_overflow 0
		.amdhsa_memory_ordered 1
		.amdhsa_forward_progress 1
		.amdhsa_inst_pref_size 0
		.amdhsa_round_robin_scheduling 0
		.amdhsa_exception_fp_ieee_invalid_op 0
		.amdhsa_exception_fp_denorm_src 0
		.amdhsa_exception_fp_ieee_div_zero 0
		.amdhsa_exception_fp_ieee_overflow 0
		.amdhsa_exception_fp_ieee_underflow 0
		.amdhsa_exception_fp_ieee_inexact 0
		.amdhsa_exception_int_div_zero 0
	.end_amdhsa_kernel
	.section	.text._ZN7rocprim17ROCPRIM_400000_NS6detail17trampoline_kernelINS0_14default_configENS1_35radix_sort_onesweep_config_selectorIhNS0_10empty_typeEEEZZNS1_29radix_sort_onesweep_iterationIS3_Lb0EPKhPhPS5_SB_mNS0_19identity_decomposerENS1_16block_id_wrapperIjLb1EEEEE10hipError_tT1_PNSt15iterator_traitsISG_E10value_typeET2_T3_PNSH_ISM_E10value_typeET4_T5_PSR_SS_PNS1_23onesweep_lookback_stateEbbT6_jjT7_P12ihipStream_tbENKUlT_T0_SG_SL_E_clISA_SA_SB_SB_EEDaSZ_S10_SG_SL_EUlSZ_E_NS1_11comp_targetILNS1_3genE4ELNS1_11target_archE910ELNS1_3gpuE8ELNS1_3repE0EEENS1_47radix_sort_onesweep_sort_config_static_selectorELNS0_4arch9wavefront6targetE0EEEvSG_,"axG",@progbits,_ZN7rocprim17ROCPRIM_400000_NS6detail17trampoline_kernelINS0_14default_configENS1_35radix_sort_onesweep_config_selectorIhNS0_10empty_typeEEEZZNS1_29radix_sort_onesweep_iterationIS3_Lb0EPKhPhPS5_SB_mNS0_19identity_decomposerENS1_16block_id_wrapperIjLb1EEEEE10hipError_tT1_PNSt15iterator_traitsISG_E10value_typeET2_T3_PNSH_ISM_E10value_typeET4_T5_PSR_SS_PNS1_23onesweep_lookback_stateEbbT6_jjT7_P12ihipStream_tbENKUlT_T0_SG_SL_E_clISA_SA_SB_SB_EEDaSZ_S10_SG_SL_EUlSZ_E_NS1_11comp_targetILNS1_3genE4ELNS1_11target_archE910ELNS1_3gpuE8ELNS1_3repE0EEENS1_47radix_sort_onesweep_sort_config_static_selectorELNS0_4arch9wavefront6targetE0EEEvSG_,comdat
.Lfunc_end232:
	.size	_ZN7rocprim17ROCPRIM_400000_NS6detail17trampoline_kernelINS0_14default_configENS1_35radix_sort_onesweep_config_selectorIhNS0_10empty_typeEEEZZNS1_29radix_sort_onesweep_iterationIS3_Lb0EPKhPhPS5_SB_mNS0_19identity_decomposerENS1_16block_id_wrapperIjLb1EEEEE10hipError_tT1_PNSt15iterator_traitsISG_E10value_typeET2_T3_PNSH_ISM_E10value_typeET4_T5_PSR_SS_PNS1_23onesweep_lookback_stateEbbT6_jjT7_P12ihipStream_tbENKUlT_T0_SG_SL_E_clISA_SA_SB_SB_EEDaSZ_S10_SG_SL_EUlSZ_E_NS1_11comp_targetILNS1_3genE4ELNS1_11target_archE910ELNS1_3gpuE8ELNS1_3repE0EEENS1_47radix_sort_onesweep_sort_config_static_selectorELNS0_4arch9wavefront6targetE0EEEvSG_, .Lfunc_end232-_ZN7rocprim17ROCPRIM_400000_NS6detail17trampoline_kernelINS0_14default_configENS1_35radix_sort_onesweep_config_selectorIhNS0_10empty_typeEEEZZNS1_29radix_sort_onesweep_iterationIS3_Lb0EPKhPhPS5_SB_mNS0_19identity_decomposerENS1_16block_id_wrapperIjLb1EEEEE10hipError_tT1_PNSt15iterator_traitsISG_E10value_typeET2_T3_PNSH_ISM_E10value_typeET4_T5_PSR_SS_PNS1_23onesweep_lookback_stateEbbT6_jjT7_P12ihipStream_tbENKUlT_T0_SG_SL_E_clISA_SA_SB_SB_EEDaSZ_S10_SG_SL_EUlSZ_E_NS1_11comp_targetILNS1_3genE4ELNS1_11target_archE910ELNS1_3gpuE8ELNS1_3repE0EEENS1_47radix_sort_onesweep_sort_config_static_selectorELNS0_4arch9wavefront6targetE0EEEvSG_
                                        ; -- End function
	.set _ZN7rocprim17ROCPRIM_400000_NS6detail17trampoline_kernelINS0_14default_configENS1_35radix_sort_onesweep_config_selectorIhNS0_10empty_typeEEEZZNS1_29radix_sort_onesweep_iterationIS3_Lb0EPKhPhPS5_SB_mNS0_19identity_decomposerENS1_16block_id_wrapperIjLb1EEEEE10hipError_tT1_PNSt15iterator_traitsISG_E10value_typeET2_T3_PNSH_ISM_E10value_typeET4_T5_PSR_SS_PNS1_23onesweep_lookback_stateEbbT6_jjT7_P12ihipStream_tbENKUlT_T0_SG_SL_E_clISA_SA_SB_SB_EEDaSZ_S10_SG_SL_EUlSZ_E_NS1_11comp_targetILNS1_3genE4ELNS1_11target_archE910ELNS1_3gpuE8ELNS1_3repE0EEENS1_47radix_sort_onesweep_sort_config_static_selectorELNS0_4arch9wavefront6targetE0EEEvSG_.num_vgpr, 0
	.set _ZN7rocprim17ROCPRIM_400000_NS6detail17trampoline_kernelINS0_14default_configENS1_35radix_sort_onesweep_config_selectorIhNS0_10empty_typeEEEZZNS1_29radix_sort_onesweep_iterationIS3_Lb0EPKhPhPS5_SB_mNS0_19identity_decomposerENS1_16block_id_wrapperIjLb1EEEEE10hipError_tT1_PNSt15iterator_traitsISG_E10value_typeET2_T3_PNSH_ISM_E10value_typeET4_T5_PSR_SS_PNS1_23onesweep_lookback_stateEbbT6_jjT7_P12ihipStream_tbENKUlT_T0_SG_SL_E_clISA_SA_SB_SB_EEDaSZ_S10_SG_SL_EUlSZ_E_NS1_11comp_targetILNS1_3genE4ELNS1_11target_archE910ELNS1_3gpuE8ELNS1_3repE0EEENS1_47radix_sort_onesweep_sort_config_static_selectorELNS0_4arch9wavefront6targetE0EEEvSG_.num_agpr, 0
	.set _ZN7rocprim17ROCPRIM_400000_NS6detail17trampoline_kernelINS0_14default_configENS1_35radix_sort_onesweep_config_selectorIhNS0_10empty_typeEEEZZNS1_29radix_sort_onesweep_iterationIS3_Lb0EPKhPhPS5_SB_mNS0_19identity_decomposerENS1_16block_id_wrapperIjLb1EEEEE10hipError_tT1_PNSt15iterator_traitsISG_E10value_typeET2_T3_PNSH_ISM_E10value_typeET4_T5_PSR_SS_PNS1_23onesweep_lookback_stateEbbT6_jjT7_P12ihipStream_tbENKUlT_T0_SG_SL_E_clISA_SA_SB_SB_EEDaSZ_S10_SG_SL_EUlSZ_E_NS1_11comp_targetILNS1_3genE4ELNS1_11target_archE910ELNS1_3gpuE8ELNS1_3repE0EEENS1_47radix_sort_onesweep_sort_config_static_selectorELNS0_4arch9wavefront6targetE0EEEvSG_.numbered_sgpr, 0
	.set _ZN7rocprim17ROCPRIM_400000_NS6detail17trampoline_kernelINS0_14default_configENS1_35radix_sort_onesweep_config_selectorIhNS0_10empty_typeEEEZZNS1_29radix_sort_onesweep_iterationIS3_Lb0EPKhPhPS5_SB_mNS0_19identity_decomposerENS1_16block_id_wrapperIjLb1EEEEE10hipError_tT1_PNSt15iterator_traitsISG_E10value_typeET2_T3_PNSH_ISM_E10value_typeET4_T5_PSR_SS_PNS1_23onesweep_lookback_stateEbbT6_jjT7_P12ihipStream_tbENKUlT_T0_SG_SL_E_clISA_SA_SB_SB_EEDaSZ_S10_SG_SL_EUlSZ_E_NS1_11comp_targetILNS1_3genE4ELNS1_11target_archE910ELNS1_3gpuE8ELNS1_3repE0EEENS1_47radix_sort_onesweep_sort_config_static_selectorELNS0_4arch9wavefront6targetE0EEEvSG_.num_named_barrier, 0
	.set _ZN7rocprim17ROCPRIM_400000_NS6detail17trampoline_kernelINS0_14default_configENS1_35radix_sort_onesweep_config_selectorIhNS0_10empty_typeEEEZZNS1_29radix_sort_onesweep_iterationIS3_Lb0EPKhPhPS5_SB_mNS0_19identity_decomposerENS1_16block_id_wrapperIjLb1EEEEE10hipError_tT1_PNSt15iterator_traitsISG_E10value_typeET2_T3_PNSH_ISM_E10value_typeET4_T5_PSR_SS_PNS1_23onesweep_lookback_stateEbbT6_jjT7_P12ihipStream_tbENKUlT_T0_SG_SL_E_clISA_SA_SB_SB_EEDaSZ_S10_SG_SL_EUlSZ_E_NS1_11comp_targetILNS1_3genE4ELNS1_11target_archE910ELNS1_3gpuE8ELNS1_3repE0EEENS1_47radix_sort_onesweep_sort_config_static_selectorELNS0_4arch9wavefront6targetE0EEEvSG_.private_seg_size, 0
	.set _ZN7rocprim17ROCPRIM_400000_NS6detail17trampoline_kernelINS0_14default_configENS1_35radix_sort_onesweep_config_selectorIhNS0_10empty_typeEEEZZNS1_29radix_sort_onesweep_iterationIS3_Lb0EPKhPhPS5_SB_mNS0_19identity_decomposerENS1_16block_id_wrapperIjLb1EEEEE10hipError_tT1_PNSt15iterator_traitsISG_E10value_typeET2_T3_PNSH_ISM_E10value_typeET4_T5_PSR_SS_PNS1_23onesweep_lookback_stateEbbT6_jjT7_P12ihipStream_tbENKUlT_T0_SG_SL_E_clISA_SA_SB_SB_EEDaSZ_S10_SG_SL_EUlSZ_E_NS1_11comp_targetILNS1_3genE4ELNS1_11target_archE910ELNS1_3gpuE8ELNS1_3repE0EEENS1_47radix_sort_onesweep_sort_config_static_selectorELNS0_4arch9wavefront6targetE0EEEvSG_.uses_vcc, 0
	.set _ZN7rocprim17ROCPRIM_400000_NS6detail17trampoline_kernelINS0_14default_configENS1_35radix_sort_onesweep_config_selectorIhNS0_10empty_typeEEEZZNS1_29radix_sort_onesweep_iterationIS3_Lb0EPKhPhPS5_SB_mNS0_19identity_decomposerENS1_16block_id_wrapperIjLb1EEEEE10hipError_tT1_PNSt15iterator_traitsISG_E10value_typeET2_T3_PNSH_ISM_E10value_typeET4_T5_PSR_SS_PNS1_23onesweep_lookback_stateEbbT6_jjT7_P12ihipStream_tbENKUlT_T0_SG_SL_E_clISA_SA_SB_SB_EEDaSZ_S10_SG_SL_EUlSZ_E_NS1_11comp_targetILNS1_3genE4ELNS1_11target_archE910ELNS1_3gpuE8ELNS1_3repE0EEENS1_47radix_sort_onesweep_sort_config_static_selectorELNS0_4arch9wavefront6targetE0EEEvSG_.uses_flat_scratch, 0
	.set _ZN7rocprim17ROCPRIM_400000_NS6detail17trampoline_kernelINS0_14default_configENS1_35radix_sort_onesweep_config_selectorIhNS0_10empty_typeEEEZZNS1_29radix_sort_onesweep_iterationIS3_Lb0EPKhPhPS5_SB_mNS0_19identity_decomposerENS1_16block_id_wrapperIjLb1EEEEE10hipError_tT1_PNSt15iterator_traitsISG_E10value_typeET2_T3_PNSH_ISM_E10value_typeET4_T5_PSR_SS_PNS1_23onesweep_lookback_stateEbbT6_jjT7_P12ihipStream_tbENKUlT_T0_SG_SL_E_clISA_SA_SB_SB_EEDaSZ_S10_SG_SL_EUlSZ_E_NS1_11comp_targetILNS1_3genE4ELNS1_11target_archE910ELNS1_3gpuE8ELNS1_3repE0EEENS1_47radix_sort_onesweep_sort_config_static_selectorELNS0_4arch9wavefront6targetE0EEEvSG_.has_dyn_sized_stack, 0
	.set _ZN7rocprim17ROCPRIM_400000_NS6detail17trampoline_kernelINS0_14default_configENS1_35radix_sort_onesweep_config_selectorIhNS0_10empty_typeEEEZZNS1_29radix_sort_onesweep_iterationIS3_Lb0EPKhPhPS5_SB_mNS0_19identity_decomposerENS1_16block_id_wrapperIjLb1EEEEE10hipError_tT1_PNSt15iterator_traitsISG_E10value_typeET2_T3_PNSH_ISM_E10value_typeET4_T5_PSR_SS_PNS1_23onesweep_lookback_stateEbbT6_jjT7_P12ihipStream_tbENKUlT_T0_SG_SL_E_clISA_SA_SB_SB_EEDaSZ_S10_SG_SL_EUlSZ_E_NS1_11comp_targetILNS1_3genE4ELNS1_11target_archE910ELNS1_3gpuE8ELNS1_3repE0EEENS1_47radix_sort_onesweep_sort_config_static_selectorELNS0_4arch9wavefront6targetE0EEEvSG_.has_recursion, 0
	.set _ZN7rocprim17ROCPRIM_400000_NS6detail17trampoline_kernelINS0_14default_configENS1_35radix_sort_onesweep_config_selectorIhNS0_10empty_typeEEEZZNS1_29radix_sort_onesweep_iterationIS3_Lb0EPKhPhPS5_SB_mNS0_19identity_decomposerENS1_16block_id_wrapperIjLb1EEEEE10hipError_tT1_PNSt15iterator_traitsISG_E10value_typeET2_T3_PNSH_ISM_E10value_typeET4_T5_PSR_SS_PNS1_23onesweep_lookback_stateEbbT6_jjT7_P12ihipStream_tbENKUlT_T0_SG_SL_E_clISA_SA_SB_SB_EEDaSZ_S10_SG_SL_EUlSZ_E_NS1_11comp_targetILNS1_3genE4ELNS1_11target_archE910ELNS1_3gpuE8ELNS1_3repE0EEENS1_47radix_sort_onesweep_sort_config_static_selectorELNS0_4arch9wavefront6targetE0EEEvSG_.has_indirect_call, 0
	.section	.AMDGPU.csdata,"",@progbits
; Kernel info:
; codeLenInByte = 0
; TotalNumSgprs: 0
; NumVgprs: 0
; ScratchSize: 0
; MemoryBound: 0
; FloatMode: 240
; IeeeMode: 1
; LDSByteSize: 0 bytes/workgroup (compile time only)
; SGPRBlocks: 0
; VGPRBlocks: 0
; NumSGPRsForWavesPerEU: 1
; NumVGPRsForWavesPerEU: 1
; NamedBarCnt: 0
; Occupancy: 16
; WaveLimiterHint : 0
; COMPUTE_PGM_RSRC2:SCRATCH_EN: 0
; COMPUTE_PGM_RSRC2:USER_SGPR: 2
; COMPUTE_PGM_RSRC2:TRAP_HANDLER: 0
; COMPUTE_PGM_RSRC2:TGID_X_EN: 1
; COMPUTE_PGM_RSRC2:TGID_Y_EN: 0
; COMPUTE_PGM_RSRC2:TGID_Z_EN: 0
; COMPUTE_PGM_RSRC2:TIDIG_COMP_CNT: 0
	.section	.text._ZN7rocprim17ROCPRIM_400000_NS6detail17trampoline_kernelINS0_14default_configENS1_35radix_sort_onesweep_config_selectorIhNS0_10empty_typeEEEZZNS1_29radix_sort_onesweep_iterationIS3_Lb0EPKhPhPS5_SB_mNS0_19identity_decomposerENS1_16block_id_wrapperIjLb1EEEEE10hipError_tT1_PNSt15iterator_traitsISG_E10value_typeET2_T3_PNSH_ISM_E10value_typeET4_T5_PSR_SS_PNS1_23onesweep_lookback_stateEbbT6_jjT7_P12ihipStream_tbENKUlT_T0_SG_SL_E_clISA_SA_SB_SB_EEDaSZ_S10_SG_SL_EUlSZ_E_NS1_11comp_targetILNS1_3genE3ELNS1_11target_archE908ELNS1_3gpuE7ELNS1_3repE0EEENS1_47radix_sort_onesweep_sort_config_static_selectorELNS0_4arch9wavefront6targetE0EEEvSG_,"axG",@progbits,_ZN7rocprim17ROCPRIM_400000_NS6detail17trampoline_kernelINS0_14default_configENS1_35radix_sort_onesweep_config_selectorIhNS0_10empty_typeEEEZZNS1_29radix_sort_onesweep_iterationIS3_Lb0EPKhPhPS5_SB_mNS0_19identity_decomposerENS1_16block_id_wrapperIjLb1EEEEE10hipError_tT1_PNSt15iterator_traitsISG_E10value_typeET2_T3_PNSH_ISM_E10value_typeET4_T5_PSR_SS_PNS1_23onesweep_lookback_stateEbbT6_jjT7_P12ihipStream_tbENKUlT_T0_SG_SL_E_clISA_SA_SB_SB_EEDaSZ_S10_SG_SL_EUlSZ_E_NS1_11comp_targetILNS1_3genE3ELNS1_11target_archE908ELNS1_3gpuE7ELNS1_3repE0EEENS1_47radix_sort_onesweep_sort_config_static_selectorELNS0_4arch9wavefront6targetE0EEEvSG_,comdat
	.protected	_ZN7rocprim17ROCPRIM_400000_NS6detail17trampoline_kernelINS0_14default_configENS1_35radix_sort_onesweep_config_selectorIhNS0_10empty_typeEEEZZNS1_29radix_sort_onesweep_iterationIS3_Lb0EPKhPhPS5_SB_mNS0_19identity_decomposerENS1_16block_id_wrapperIjLb1EEEEE10hipError_tT1_PNSt15iterator_traitsISG_E10value_typeET2_T3_PNSH_ISM_E10value_typeET4_T5_PSR_SS_PNS1_23onesweep_lookback_stateEbbT6_jjT7_P12ihipStream_tbENKUlT_T0_SG_SL_E_clISA_SA_SB_SB_EEDaSZ_S10_SG_SL_EUlSZ_E_NS1_11comp_targetILNS1_3genE3ELNS1_11target_archE908ELNS1_3gpuE7ELNS1_3repE0EEENS1_47radix_sort_onesweep_sort_config_static_selectorELNS0_4arch9wavefront6targetE0EEEvSG_ ; -- Begin function _ZN7rocprim17ROCPRIM_400000_NS6detail17trampoline_kernelINS0_14default_configENS1_35radix_sort_onesweep_config_selectorIhNS0_10empty_typeEEEZZNS1_29radix_sort_onesweep_iterationIS3_Lb0EPKhPhPS5_SB_mNS0_19identity_decomposerENS1_16block_id_wrapperIjLb1EEEEE10hipError_tT1_PNSt15iterator_traitsISG_E10value_typeET2_T3_PNSH_ISM_E10value_typeET4_T5_PSR_SS_PNS1_23onesweep_lookback_stateEbbT6_jjT7_P12ihipStream_tbENKUlT_T0_SG_SL_E_clISA_SA_SB_SB_EEDaSZ_S10_SG_SL_EUlSZ_E_NS1_11comp_targetILNS1_3genE3ELNS1_11target_archE908ELNS1_3gpuE7ELNS1_3repE0EEENS1_47radix_sort_onesweep_sort_config_static_selectorELNS0_4arch9wavefront6targetE0EEEvSG_
	.globl	_ZN7rocprim17ROCPRIM_400000_NS6detail17trampoline_kernelINS0_14default_configENS1_35radix_sort_onesweep_config_selectorIhNS0_10empty_typeEEEZZNS1_29radix_sort_onesweep_iterationIS3_Lb0EPKhPhPS5_SB_mNS0_19identity_decomposerENS1_16block_id_wrapperIjLb1EEEEE10hipError_tT1_PNSt15iterator_traitsISG_E10value_typeET2_T3_PNSH_ISM_E10value_typeET4_T5_PSR_SS_PNS1_23onesweep_lookback_stateEbbT6_jjT7_P12ihipStream_tbENKUlT_T0_SG_SL_E_clISA_SA_SB_SB_EEDaSZ_S10_SG_SL_EUlSZ_E_NS1_11comp_targetILNS1_3genE3ELNS1_11target_archE908ELNS1_3gpuE7ELNS1_3repE0EEENS1_47radix_sort_onesweep_sort_config_static_selectorELNS0_4arch9wavefront6targetE0EEEvSG_
	.p2align	8
	.type	_ZN7rocprim17ROCPRIM_400000_NS6detail17trampoline_kernelINS0_14default_configENS1_35radix_sort_onesweep_config_selectorIhNS0_10empty_typeEEEZZNS1_29radix_sort_onesweep_iterationIS3_Lb0EPKhPhPS5_SB_mNS0_19identity_decomposerENS1_16block_id_wrapperIjLb1EEEEE10hipError_tT1_PNSt15iterator_traitsISG_E10value_typeET2_T3_PNSH_ISM_E10value_typeET4_T5_PSR_SS_PNS1_23onesweep_lookback_stateEbbT6_jjT7_P12ihipStream_tbENKUlT_T0_SG_SL_E_clISA_SA_SB_SB_EEDaSZ_S10_SG_SL_EUlSZ_E_NS1_11comp_targetILNS1_3genE3ELNS1_11target_archE908ELNS1_3gpuE7ELNS1_3repE0EEENS1_47radix_sort_onesweep_sort_config_static_selectorELNS0_4arch9wavefront6targetE0EEEvSG_,@function
_ZN7rocprim17ROCPRIM_400000_NS6detail17trampoline_kernelINS0_14default_configENS1_35radix_sort_onesweep_config_selectorIhNS0_10empty_typeEEEZZNS1_29radix_sort_onesweep_iterationIS3_Lb0EPKhPhPS5_SB_mNS0_19identity_decomposerENS1_16block_id_wrapperIjLb1EEEEE10hipError_tT1_PNSt15iterator_traitsISG_E10value_typeET2_T3_PNSH_ISM_E10value_typeET4_T5_PSR_SS_PNS1_23onesweep_lookback_stateEbbT6_jjT7_P12ihipStream_tbENKUlT_T0_SG_SL_E_clISA_SA_SB_SB_EEDaSZ_S10_SG_SL_EUlSZ_E_NS1_11comp_targetILNS1_3genE3ELNS1_11target_archE908ELNS1_3gpuE7ELNS1_3repE0EEENS1_47radix_sort_onesweep_sort_config_static_selectorELNS0_4arch9wavefront6targetE0EEEvSG_: ; @_ZN7rocprim17ROCPRIM_400000_NS6detail17trampoline_kernelINS0_14default_configENS1_35radix_sort_onesweep_config_selectorIhNS0_10empty_typeEEEZZNS1_29radix_sort_onesweep_iterationIS3_Lb0EPKhPhPS5_SB_mNS0_19identity_decomposerENS1_16block_id_wrapperIjLb1EEEEE10hipError_tT1_PNSt15iterator_traitsISG_E10value_typeET2_T3_PNSH_ISM_E10value_typeET4_T5_PSR_SS_PNS1_23onesweep_lookback_stateEbbT6_jjT7_P12ihipStream_tbENKUlT_T0_SG_SL_E_clISA_SA_SB_SB_EEDaSZ_S10_SG_SL_EUlSZ_E_NS1_11comp_targetILNS1_3genE3ELNS1_11target_archE908ELNS1_3gpuE7ELNS1_3repE0EEENS1_47radix_sort_onesweep_sort_config_static_selectorELNS0_4arch9wavefront6targetE0EEEvSG_
; %bb.0:
	.section	.rodata,"a",@progbits
	.p2align	6, 0x0
	.amdhsa_kernel _ZN7rocprim17ROCPRIM_400000_NS6detail17trampoline_kernelINS0_14default_configENS1_35radix_sort_onesweep_config_selectorIhNS0_10empty_typeEEEZZNS1_29radix_sort_onesweep_iterationIS3_Lb0EPKhPhPS5_SB_mNS0_19identity_decomposerENS1_16block_id_wrapperIjLb1EEEEE10hipError_tT1_PNSt15iterator_traitsISG_E10value_typeET2_T3_PNSH_ISM_E10value_typeET4_T5_PSR_SS_PNS1_23onesweep_lookback_stateEbbT6_jjT7_P12ihipStream_tbENKUlT_T0_SG_SL_E_clISA_SA_SB_SB_EEDaSZ_S10_SG_SL_EUlSZ_E_NS1_11comp_targetILNS1_3genE3ELNS1_11target_archE908ELNS1_3gpuE7ELNS1_3repE0EEENS1_47radix_sort_onesweep_sort_config_static_selectorELNS0_4arch9wavefront6targetE0EEEvSG_
		.amdhsa_group_segment_fixed_size 0
		.amdhsa_private_segment_fixed_size 0
		.amdhsa_kernarg_size 88
		.amdhsa_user_sgpr_count 2
		.amdhsa_user_sgpr_dispatch_ptr 0
		.amdhsa_user_sgpr_queue_ptr 0
		.amdhsa_user_sgpr_kernarg_segment_ptr 1
		.amdhsa_user_sgpr_dispatch_id 0
		.amdhsa_user_sgpr_kernarg_preload_length 0
		.amdhsa_user_sgpr_kernarg_preload_offset 0
		.amdhsa_user_sgpr_private_segment_size 0
		.amdhsa_wavefront_size32 1
		.amdhsa_uses_dynamic_stack 0
		.amdhsa_enable_private_segment 0
		.amdhsa_system_sgpr_workgroup_id_x 1
		.amdhsa_system_sgpr_workgroup_id_y 0
		.amdhsa_system_sgpr_workgroup_id_z 0
		.amdhsa_system_sgpr_workgroup_info 0
		.amdhsa_system_vgpr_workitem_id 0
		.amdhsa_next_free_vgpr 1
		.amdhsa_next_free_sgpr 1
		.amdhsa_named_barrier_count 0
		.amdhsa_reserve_vcc 0
		.amdhsa_float_round_mode_32 0
		.amdhsa_float_round_mode_16_64 0
		.amdhsa_float_denorm_mode_32 3
		.amdhsa_float_denorm_mode_16_64 3
		.amdhsa_fp16_overflow 0
		.amdhsa_memory_ordered 1
		.amdhsa_forward_progress 1
		.amdhsa_inst_pref_size 0
		.amdhsa_round_robin_scheduling 0
		.amdhsa_exception_fp_ieee_invalid_op 0
		.amdhsa_exception_fp_denorm_src 0
		.amdhsa_exception_fp_ieee_div_zero 0
		.amdhsa_exception_fp_ieee_overflow 0
		.amdhsa_exception_fp_ieee_underflow 0
		.amdhsa_exception_fp_ieee_inexact 0
		.amdhsa_exception_int_div_zero 0
	.end_amdhsa_kernel
	.section	.text._ZN7rocprim17ROCPRIM_400000_NS6detail17trampoline_kernelINS0_14default_configENS1_35radix_sort_onesweep_config_selectorIhNS0_10empty_typeEEEZZNS1_29radix_sort_onesweep_iterationIS3_Lb0EPKhPhPS5_SB_mNS0_19identity_decomposerENS1_16block_id_wrapperIjLb1EEEEE10hipError_tT1_PNSt15iterator_traitsISG_E10value_typeET2_T3_PNSH_ISM_E10value_typeET4_T5_PSR_SS_PNS1_23onesweep_lookback_stateEbbT6_jjT7_P12ihipStream_tbENKUlT_T0_SG_SL_E_clISA_SA_SB_SB_EEDaSZ_S10_SG_SL_EUlSZ_E_NS1_11comp_targetILNS1_3genE3ELNS1_11target_archE908ELNS1_3gpuE7ELNS1_3repE0EEENS1_47radix_sort_onesweep_sort_config_static_selectorELNS0_4arch9wavefront6targetE0EEEvSG_,"axG",@progbits,_ZN7rocprim17ROCPRIM_400000_NS6detail17trampoline_kernelINS0_14default_configENS1_35radix_sort_onesweep_config_selectorIhNS0_10empty_typeEEEZZNS1_29radix_sort_onesweep_iterationIS3_Lb0EPKhPhPS5_SB_mNS0_19identity_decomposerENS1_16block_id_wrapperIjLb1EEEEE10hipError_tT1_PNSt15iterator_traitsISG_E10value_typeET2_T3_PNSH_ISM_E10value_typeET4_T5_PSR_SS_PNS1_23onesweep_lookback_stateEbbT6_jjT7_P12ihipStream_tbENKUlT_T0_SG_SL_E_clISA_SA_SB_SB_EEDaSZ_S10_SG_SL_EUlSZ_E_NS1_11comp_targetILNS1_3genE3ELNS1_11target_archE908ELNS1_3gpuE7ELNS1_3repE0EEENS1_47radix_sort_onesweep_sort_config_static_selectorELNS0_4arch9wavefront6targetE0EEEvSG_,comdat
.Lfunc_end233:
	.size	_ZN7rocprim17ROCPRIM_400000_NS6detail17trampoline_kernelINS0_14default_configENS1_35radix_sort_onesweep_config_selectorIhNS0_10empty_typeEEEZZNS1_29radix_sort_onesweep_iterationIS3_Lb0EPKhPhPS5_SB_mNS0_19identity_decomposerENS1_16block_id_wrapperIjLb1EEEEE10hipError_tT1_PNSt15iterator_traitsISG_E10value_typeET2_T3_PNSH_ISM_E10value_typeET4_T5_PSR_SS_PNS1_23onesweep_lookback_stateEbbT6_jjT7_P12ihipStream_tbENKUlT_T0_SG_SL_E_clISA_SA_SB_SB_EEDaSZ_S10_SG_SL_EUlSZ_E_NS1_11comp_targetILNS1_3genE3ELNS1_11target_archE908ELNS1_3gpuE7ELNS1_3repE0EEENS1_47radix_sort_onesweep_sort_config_static_selectorELNS0_4arch9wavefront6targetE0EEEvSG_, .Lfunc_end233-_ZN7rocprim17ROCPRIM_400000_NS6detail17trampoline_kernelINS0_14default_configENS1_35radix_sort_onesweep_config_selectorIhNS0_10empty_typeEEEZZNS1_29radix_sort_onesweep_iterationIS3_Lb0EPKhPhPS5_SB_mNS0_19identity_decomposerENS1_16block_id_wrapperIjLb1EEEEE10hipError_tT1_PNSt15iterator_traitsISG_E10value_typeET2_T3_PNSH_ISM_E10value_typeET4_T5_PSR_SS_PNS1_23onesweep_lookback_stateEbbT6_jjT7_P12ihipStream_tbENKUlT_T0_SG_SL_E_clISA_SA_SB_SB_EEDaSZ_S10_SG_SL_EUlSZ_E_NS1_11comp_targetILNS1_3genE3ELNS1_11target_archE908ELNS1_3gpuE7ELNS1_3repE0EEENS1_47radix_sort_onesweep_sort_config_static_selectorELNS0_4arch9wavefront6targetE0EEEvSG_
                                        ; -- End function
	.set _ZN7rocprim17ROCPRIM_400000_NS6detail17trampoline_kernelINS0_14default_configENS1_35radix_sort_onesweep_config_selectorIhNS0_10empty_typeEEEZZNS1_29radix_sort_onesweep_iterationIS3_Lb0EPKhPhPS5_SB_mNS0_19identity_decomposerENS1_16block_id_wrapperIjLb1EEEEE10hipError_tT1_PNSt15iterator_traitsISG_E10value_typeET2_T3_PNSH_ISM_E10value_typeET4_T5_PSR_SS_PNS1_23onesweep_lookback_stateEbbT6_jjT7_P12ihipStream_tbENKUlT_T0_SG_SL_E_clISA_SA_SB_SB_EEDaSZ_S10_SG_SL_EUlSZ_E_NS1_11comp_targetILNS1_3genE3ELNS1_11target_archE908ELNS1_3gpuE7ELNS1_3repE0EEENS1_47radix_sort_onesweep_sort_config_static_selectorELNS0_4arch9wavefront6targetE0EEEvSG_.num_vgpr, 0
	.set _ZN7rocprim17ROCPRIM_400000_NS6detail17trampoline_kernelINS0_14default_configENS1_35radix_sort_onesweep_config_selectorIhNS0_10empty_typeEEEZZNS1_29radix_sort_onesweep_iterationIS3_Lb0EPKhPhPS5_SB_mNS0_19identity_decomposerENS1_16block_id_wrapperIjLb1EEEEE10hipError_tT1_PNSt15iterator_traitsISG_E10value_typeET2_T3_PNSH_ISM_E10value_typeET4_T5_PSR_SS_PNS1_23onesweep_lookback_stateEbbT6_jjT7_P12ihipStream_tbENKUlT_T0_SG_SL_E_clISA_SA_SB_SB_EEDaSZ_S10_SG_SL_EUlSZ_E_NS1_11comp_targetILNS1_3genE3ELNS1_11target_archE908ELNS1_3gpuE7ELNS1_3repE0EEENS1_47radix_sort_onesweep_sort_config_static_selectorELNS0_4arch9wavefront6targetE0EEEvSG_.num_agpr, 0
	.set _ZN7rocprim17ROCPRIM_400000_NS6detail17trampoline_kernelINS0_14default_configENS1_35radix_sort_onesweep_config_selectorIhNS0_10empty_typeEEEZZNS1_29radix_sort_onesweep_iterationIS3_Lb0EPKhPhPS5_SB_mNS0_19identity_decomposerENS1_16block_id_wrapperIjLb1EEEEE10hipError_tT1_PNSt15iterator_traitsISG_E10value_typeET2_T3_PNSH_ISM_E10value_typeET4_T5_PSR_SS_PNS1_23onesweep_lookback_stateEbbT6_jjT7_P12ihipStream_tbENKUlT_T0_SG_SL_E_clISA_SA_SB_SB_EEDaSZ_S10_SG_SL_EUlSZ_E_NS1_11comp_targetILNS1_3genE3ELNS1_11target_archE908ELNS1_3gpuE7ELNS1_3repE0EEENS1_47radix_sort_onesweep_sort_config_static_selectorELNS0_4arch9wavefront6targetE0EEEvSG_.numbered_sgpr, 0
	.set _ZN7rocprim17ROCPRIM_400000_NS6detail17trampoline_kernelINS0_14default_configENS1_35radix_sort_onesweep_config_selectorIhNS0_10empty_typeEEEZZNS1_29radix_sort_onesweep_iterationIS3_Lb0EPKhPhPS5_SB_mNS0_19identity_decomposerENS1_16block_id_wrapperIjLb1EEEEE10hipError_tT1_PNSt15iterator_traitsISG_E10value_typeET2_T3_PNSH_ISM_E10value_typeET4_T5_PSR_SS_PNS1_23onesweep_lookback_stateEbbT6_jjT7_P12ihipStream_tbENKUlT_T0_SG_SL_E_clISA_SA_SB_SB_EEDaSZ_S10_SG_SL_EUlSZ_E_NS1_11comp_targetILNS1_3genE3ELNS1_11target_archE908ELNS1_3gpuE7ELNS1_3repE0EEENS1_47radix_sort_onesweep_sort_config_static_selectorELNS0_4arch9wavefront6targetE0EEEvSG_.num_named_barrier, 0
	.set _ZN7rocprim17ROCPRIM_400000_NS6detail17trampoline_kernelINS0_14default_configENS1_35radix_sort_onesweep_config_selectorIhNS0_10empty_typeEEEZZNS1_29radix_sort_onesweep_iterationIS3_Lb0EPKhPhPS5_SB_mNS0_19identity_decomposerENS1_16block_id_wrapperIjLb1EEEEE10hipError_tT1_PNSt15iterator_traitsISG_E10value_typeET2_T3_PNSH_ISM_E10value_typeET4_T5_PSR_SS_PNS1_23onesweep_lookback_stateEbbT6_jjT7_P12ihipStream_tbENKUlT_T0_SG_SL_E_clISA_SA_SB_SB_EEDaSZ_S10_SG_SL_EUlSZ_E_NS1_11comp_targetILNS1_3genE3ELNS1_11target_archE908ELNS1_3gpuE7ELNS1_3repE0EEENS1_47radix_sort_onesweep_sort_config_static_selectorELNS0_4arch9wavefront6targetE0EEEvSG_.private_seg_size, 0
	.set _ZN7rocprim17ROCPRIM_400000_NS6detail17trampoline_kernelINS0_14default_configENS1_35radix_sort_onesweep_config_selectorIhNS0_10empty_typeEEEZZNS1_29radix_sort_onesweep_iterationIS3_Lb0EPKhPhPS5_SB_mNS0_19identity_decomposerENS1_16block_id_wrapperIjLb1EEEEE10hipError_tT1_PNSt15iterator_traitsISG_E10value_typeET2_T3_PNSH_ISM_E10value_typeET4_T5_PSR_SS_PNS1_23onesweep_lookback_stateEbbT6_jjT7_P12ihipStream_tbENKUlT_T0_SG_SL_E_clISA_SA_SB_SB_EEDaSZ_S10_SG_SL_EUlSZ_E_NS1_11comp_targetILNS1_3genE3ELNS1_11target_archE908ELNS1_3gpuE7ELNS1_3repE0EEENS1_47radix_sort_onesweep_sort_config_static_selectorELNS0_4arch9wavefront6targetE0EEEvSG_.uses_vcc, 0
	.set _ZN7rocprim17ROCPRIM_400000_NS6detail17trampoline_kernelINS0_14default_configENS1_35radix_sort_onesweep_config_selectorIhNS0_10empty_typeEEEZZNS1_29radix_sort_onesweep_iterationIS3_Lb0EPKhPhPS5_SB_mNS0_19identity_decomposerENS1_16block_id_wrapperIjLb1EEEEE10hipError_tT1_PNSt15iterator_traitsISG_E10value_typeET2_T3_PNSH_ISM_E10value_typeET4_T5_PSR_SS_PNS1_23onesweep_lookback_stateEbbT6_jjT7_P12ihipStream_tbENKUlT_T0_SG_SL_E_clISA_SA_SB_SB_EEDaSZ_S10_SG_SL_EUlSZ_E_NS1_11comp_targetILNS1_3genE3ELNS1_11target_archE908ELNS1_3gpuE7ELNS1_3repE0EEENS1_47radix_sort_onesweep_sort_config_static_selectorELNS0_4arch9wavefront6targetE0EEEvSG_.uses_flat_scratch, 0
	.set _ZN7rocprim17ROCPRIM_400000_NS6detail17trampoline_kernelINS0_14default_configENS1_35radix_sort_onesweep_config_selectorIhNS0_10empty_typeEEEZZNS1_29radix_sort_onesweep_iterationIS3_Lb0EPKhPhPS5_SB_mNS0_19identity_decomposerENS1_16block_id_wrapperIjLb1EEEEE10hipError_tT1_PNSt15iterator_traitsISG_E10value_typeET2_T3_PNSH_ISM_E10value_typeET4_T5_PSR_SS_PNS1_23onesweep_lookback_stateEbbT6_jjT7_P12ihipStream_tbENKUlT_T0_SG_SL_E_clISA_SA_SB_SB_EEDaSZ_S10_SG_SL_EUlSZ_E_NS1_11comp_targetILNS1_3genE3ELNS1_11target_archE908ELNS1_3gpuE7ELNS1_3repE0EEENS1_47radix_sort_onesweep_sort_config_static_selectorELNS0_4arch9wavefront6targetE0EEEvSG_.has_dyn_sized_stack, 0
	.set _ZN7rocprim17ROCPRIM_400000_NS6detail17trampoline_kernelINS0_14default_configENS1_35radix_sort_onesweep_config_selectorIhNS0_10empty_typeEEEZZNS1_29radix_sort_onesweep_iterationIS3_Lb0EPKhPhPS5_SB_mNS0_19identity_decomposerENS1_16block_id_wrapperIjLb1EEEEE10hipError_tT1_PNSt15iterator_traitsISG_E10value_typeET2_T3_PNSH_ISM_E10value_typeET4_T5_PSR_SS_PNS1_23onesweep_lookback_stateEbbT6_jjT7_P12ihipStream_tbENKUlT_T0_SG_SL_E_clISA_SA_SB_SB_EEDaSZ_S10_SG_SL_EUlSZ_E_NS1_11comp_targetILNS1_3genE3ELNS1_11target_archE908ELNS1_3gpuE7ELNS1_3repE0EEENS1_47radix_sort_onesweep_sort_config_static_selectorELNS0_4arch9wavefront6targetE0EEEvSG_.has_recursion, 0
	.set _ZN7rocprim17ROCPRIM_400000_NS6detail17trampoline_kernelINS0_14default_configENS1_35radix_sort_onesweep_config_selectorIhNS0_10empty_typeEEEZZNS1_29radix_sort_onesweep_iterationIS3_Lb0EPKhPhPS5_SB_mNS0_19identity_decomposerENS1_16block_id_wrapperIjLb1EEEEE10hipError_tT1_PNSt15iterator_traitsISG_E10value_typeET2_T3_PNSH_ISM_E10value_typeET4_T5_PSR_SS_PNS1_23onesweep_lookback_stateEbbT6_jjT7_P12ihipStream_tbENKUlT_T0_SG_SL_E_clISA_SA_SB_SB_EEDaSZ_S10_SG_SL_EUlSZ_E_NS1_11comp_targetILNS1_3genE3ELNS1_11target_archE908ELNS1_3gpuE7ELNS1_3repE0EEENS1_47radix_sort_onesweep_sort_config_static_selectorELNS0_4arch9wavefront6targetE0EEEvSG_.has_indirect_call, 0
	.section	.AMDGPU.csdata,"",@progbits
; Kernel info:
; codeLenInByte = 0
; TotalNumSgprs: 0
; NumVgprs: 0
; ScratchSize: 0
; MemoryBound: 0
; FloatMode: 240
; IeeeMode: 1
; LDSByteSize: 0 bytes/workgroup (compile time only)
; SGPRBlocks: 0
; VGPRBlocks: 0
; NumSGPRsForWavesPerEU: 1
; NumVGPRsForWavesPerEU: 1
; NamedBarCnt: 0
; Occupancy: 16
; WaveLimiterHint : 0
; COMPUTE_PGM_RSRC2:SCRATCH_EN: 0
; COMPUTE_PGM_RSRC2:USER_SGPR: 2
; COMPUTE_PGM_RSRC2:TRAP_HANDLER: 0
; COMPUTE_PGM_RSRC2:TGID_X_EN: 1
; COMPUTE_PGM_RSRC2:TGID_Y_EN: 0
; COMPUTE_PGM_RSRC2:TGID_Z_EN: 0
; COMPUTE_PGM_RSRC2:TIDIG_COMP_CNT: 0
	.section	.text._ZN7rocprim17ROCPRIM_400000_NS6detail17trampoline_kernelINS0_14default_configENS1_35radix_sort_onesweep_config_selectorIhNS0_10empty_typeEEEZZNS1_29radix_sort_onesweep_iterationIS3_Lb0EPKhPhPS5_SB_mNS0_19identity_decomposerENS1_16block_id_wrapperIjLb1EEEEE10hipError_tT1_PNSt15iterator_traitsISG_E10value_typeET2_T3_PNSH_ISM_E10value_typeET4_T5_PSR_SS_PNS1_23onesweep_lookback_stateEbbT6_jjT7_P12ihipStream_tbENKUlT_T0_SG_SL_E_clISA_SA_SB_SB_EEDaSZ_S10_SG_SL_EUlSZ_E_NS1_11comp_targetILNS1_3genE10ELNS1_11target_archE1201ELNS1_3gpuE5ELNS1_3repE0EEENS1_47radix_sort_onesweep_sort_config_static_selectorELNS0_4arch9wavefront6targetE0EEEvSG_,"axG",@progbits,_ZN7rocprim17ROCPRIM_400000_NS6detail17trampoline_kernelINS0_14default_configENS1_35radix_sort_onesweep_config_selectorIhNS0_10empty_typeEEEZZNS1_29radix_sort_onesweep_iterationIS3_Lb0EPKhPhPS5_SB_mNS0_19identity_decomposerENS1_16block_id_wrapperIjLb1EEEEE10hipError_tT1_PNSt15iterator_traitsISG_E10value_typeET2_T3_PNSH_ISM_E10value_typeET4_T5_PSR_SS_PNS1_23onesweep_lookback_stateEbbT6_jjT7_P12ihipStream_tbENKUlT_T0_SG_SL_E_clISA_SA_SB_SB_EEDaSZ_S10_SG_SL_EUlSZ_E_NS1_11comp_targetILNS1_3genE10ELNS1_11target_archE1201ELNS1_3gpuE5ELNS1_3repE0EEENS1_47radix_sort_onesweep_sort_config_static_selectorELNS0_4arch9wavefront6targetE0EEEvSG_,comdat
	.protected	_ZN7rocprim17ROCPRIM_400000_NS6detail17trampoline_kernelINS0_14default_configENS1_35radix_sort_onesweep_config_selectorIhNS0_10empty_typeEEEZZNS1_29radix_sort_onesweep_iterationIS3_Lb0EPKhPhPS5_SB_mNS0_19identity_decomposerENS1_16block_id_wrapperIjLb1EEEEE10hipError_tT1_PNSt15iterator_traitsISG_E10value_typeET2_T3_PNSH_ISM_E10value_typeET4_T5_PSR_SS_PNS1_23onesweep_lookback_stateEbbT6_jjT7_P12ihipStream_tbENKUlT_T0_SG_SL_E_clISA_SA_SB_SB_EEDaSZ_S10_SG_SL_EUlSZ_E_NS1_11comp_targetILNS1_3genE10ELNS1_11target_archE1201ELNS1_3gpuE5ELNS1_3repE0EEENS1_47radix_sort_onesweep_sort_config_static_selectorELNS0_4arch9wavefront6targetE0EEEvSG_ ; -- Begin function _ZN7rocprim17ROCPRIM_400000_NS6detail17trampoline_kernelINS0_14default_configENS1_35radix_sort_onesweep_config_selectorIhNS0_10empty_typeEEEZZNS1_29radix_sort_onesweep_iterationIS3_Lb0EPKhPhPS5_SB_mNS0_19identity_decomposerENS1_16block_id_wrapperIjLb1EEEEE10hipError_tT1_PNSt15iterator_traitsISG_E10value_typeET2_T3_PNSH_ISM_E10value_typeET4_T5_PSR_SS_PNS1_23onesweep_lookback_stateEbbT6_jjT7_P12ihipStream_tbENKUlT_T0_SG_SL_E_clISA_SA_SB_SB_EEDaSZ_S10_SG_SL_EUlSZ_E_NS1_11comp_targetILNS1_3genE10ELNS1_11target_archE1201ELNS1_3gpuE5ELNS1_3repE0EEENS1_47radix_sort_onesweep_sort_config_static_selectorELNS0_4arch9wavefront6targetE0EEEvSG_
	.globl	_ZN7rocprim17ROCPRIM_400000_NS6detail17trampoline_kernelINS0_14default_configENS1_35radix_sort_onesweep_config_selectorIhNS0_10empty_typeEEEZZNS1_29radix_sort_onesweep_iterationIS3_Lb0EPKhPhPS5_SB_mNS0_19identity_decomposerENS1_16block_id_wrapperIjLb1EEEEE10hipError_tT1_PNSt15iterator_traitsISG_E10value_typeET2_T3_PNSH_ISM_E10value_typeET4_T5_PSR_SS_PNS1_23onesweep_lookback_stateEbbT6_jjT7_P12ihipStream_tbENKUlT_T0_SG_SL_E_clISA_SA_SB_SB_EEDaSZ_S10_SG_SL_EUlSZ_E_NS1_11comp_targetILNS1_3genE10ELNS1_11target_archE1201ELNS1_3gpuE5ELNS1_3repE0EEENS1_47radix_sort_onesweep_sort_config_static_selectorELNS0_4arch9wavefront6targetE0EEEvSG_
	.p2align	8
	.type	_ZN7rocprim17ROCPRIM_400000_NS6detail17trampoline_kernelINS0_14default_configENS1_35radix_sort_onesweep_config_selectorIhNS0_10empty_typeEEEZZNS1_29radix_sort_onesweep_iterationIS3_Lb0EPKhPhPS5_SB_mNS0_19identity_decomposerENS1_16block_id_wrapperIjLb1EEEEE10hipError_tT1_PNSt15iterator_traitsISG_E10value_typeET2_T3_PNSH_ISM_E10value_typeET4_T5_PSR_SS_PNS1_23onesweep_lookback_stateEbbT6_jjT7_P12ihipStream_tbENKUlT_T0_SG_SL_E_clISA_SA_SB_SB_EEDaSZ_S10_SG_SL_EUlSZ_E_NS1_11comp_targetILNS1_3genE10ELNS1_11target_archE1201ELNS1_3gpuE5ELNS1_3repE0EEENS1_47radix_sort_onesweep_sort_config_static_selectorELNS0_4arch9wavefront6targetE0EEEvSG_,@function
_ZN7rocprim17ROCPRIM_400000_NS6detail17trampoline_kernelINS0_14default_configENS1_35radix_sort_onesweep_config_selectorIhNS0_10empty_typeEEEZZNS1_29radix_sort_onesweep_iterationIS3_Lb0EPKhPhPS5_SB_mNS0_19identity_decomposerENS1_16block_id_wrapperIjLb1EEEEE10hipError_tT1_PNSt15iterator_traitsISG_E10value_typeET2_T3_PNSH_ISM_E10value_typeET4_T5_PSR_SS_PNS1_23onesweep_lookback_stateEbbT6_jjT7_P12ihipStream_tbENKUlT_T0_SG_SL_E_clISA_SA_SB_SB_EEDaSZ_S10_SG_SL_EUlSZ_E_NS1_11comp_targetILNS1_3genE10ELNS1_11target_archE1201ELNS1_3gpuE5ELNS1_3repE0EEENS1_47radix_sort_onesweep_sort_config_static_selectorELNS0_4arch9wavefront6targetE0EEEvSG_: ; @_ZN7rocprim17ROCPRIM_400000_NS6detail17trampoline_kernelINS0_14default_configENS1_35radix_sort_onesweep_config_selectorIhNS0_10empty_typeEEEZZNS1_29radix_sort_onesweep_iterationIS3_Lb0EPKhPhPS5_SB_mNS0_19identity_decomposerENS1_16block_id_wrapperIjLb1EEEEE10hipError_tT1_PNSt15iterator_traitsISG_E10value_typeET2_T3_PNSH_ISM_E10value_typeET4_T5_PSR_SS_PNS1_23onesweep_lookback_stateEbbT6_jjT7_P12ihipStream_tbENKUlT_T0_SG_SL_E_clISA_SA_SB_SB_EEDaSZ_S10_SG_SL_EUlSZ_E_NS1_11comp_targetILNS1_3genE10ELNS1_11target_archE1201ELNS1_3gpuE5ELNS1_3repE0EEENS1_47radix_sort_onesweep_sort_config_static_selectorELNS0_4arch9wavefront6targetE0EEEvSG_
; %bb.0:
	.section	.rodata,"a",@progbits
	.p2align	6, 0x0
	.amdhsa_kernel _ZN7rocprim17ROCPRIM_400000_NS6detail17trampoline_kernelINS0_14default_configENS1_35radix_sort_onesweep_config_selectorIhNS0_10empty_typeEEEZZNS1_29radix_sort_onesweep_iterationIS3_Lb0EPKhPhPS5_SB_mNS0_19identity_decomposerENS1_16block_id_wrapperIjLb1EEEEE10hipError_tT1_PNSt15iterator_traitsISG_E10value_typeET2_T3_PNSH_ISM_E10value_typeET4_T5_PSR_SS_PNS1_23onesweep_lookback_stateEbbT6_jjT7_P12ihipStream_tbENKUlT_T0_SG_SL_E_clISA_SA_SB_SB_EEDaSZ_S10_SG_SL_EUlSZ_E_NS1_11comp_targetILNS1_3genE10ELNS1_11target_archE1201ELNS1_3gpuE5ELNS1_3repE0EEENS1_47radix_sort_onesweep_sort_config_static_selectorELNS0_4arch9wavefront6targetE0EEEvSG_
		.amdhsa_group_segment_fixed_size 0
		.amdhsa_private_segment_fixed_size 0
		.amdhsa_kernarg_size 88
		.amdhsa_user_sgpr_count 2
		.amdhsa_user_sgpr_dispatch_ptr 0
		.amdhsa_user_sgpr_queue_ptr 0
		.amdhsa_user_sgpr_kernarg_segment_ptr 1
		.amdhsa_user_sgpr_dispatch_id 0
		.amdhsa_user_sgpr_kernarg_preload_length 0
		.amdhsa_user_sgpr_kernarg_preload_offset 0
		.amdhsa_user_sgpr_private_segment_size 0
		.amdhsa_wavefront_size32 1
		.amdhsa_uses_dynamic_stack 0
		.amdhsa_enable_private_segment 0
		.amdhsa_system_sgpr_workgroup_id_x 1
		.amdhsa_system_sgpr_workgroup_id_y 0
		.amdhsa_system_sgpr_workgroup_id_z 0
		.amdhsa_system_sgpr_workgroup_info 0
		.amdhsa_system_vgpr_workitem_id 0
		.amdhsa_next_free_vgpr 1
		.amdhsa_next_free_sgpr 1
		.amdhsa_named_barrier_count 0
		.amdhsa_reserve_vcc 0
		.amdhsa_float_round_mode_32 0
		.amdhsa_float_round_mode_16_64 0
		.amdhsa_float_denorm_mode_32 3
		.amdhsa_float_denorm_mode_16_64 3
		.amdhsa_fp16_overflow 0
		.amdhsa_memory_ordered 1
		.amdhsa_forward_progress 1
		.amdhsa_inst_pref_size 0
		.amdhsa_round_robin_scheduling 0
		.amdhsa_exception_fp_ieee_invalid_op 0
		.amdhsa_exception_fp_denorm_src 0
		.amdhsa_exception_fp_ieee_div_zero 0
		.amdhsa_exception_fp_ieee_overflow 0
		.amdhsa_exception_fp_ieee_underflow 0
		.amdhsa_exception_fp_ieee_inexact 0
		.amdhsa_exception_int_div_zero 0
	.end_amdhsa_kernel
	.section	.text._ZN7rocprim17ROCPRIM_400000_NS6detail17trampoline_kernelINS0_14default_configENS1_35radix_sort_onesweep_config_selectorIhNS0_10empty_typeEEEZZNS1_29radix_sort_onesweep_iterationIS3_Lb0EPKhPhPS5_SB_mNS0_19identity_decomposerENS1_16block_id_wrapperIjLb1EEEEE10hipError_tT1_PNSt15iterator_traitsISG_E10value_typeET2_T3_PNSH_ISM_E10value_typeET4_T5_PSR_SS_PNS1_23onesweep_lookback_stateEbbT6_jjT7_P12ihipStream_tbENKUlT_T0_SG_SL_E_clISA_SA_SB_SB_EEDaSZ_S10_SG_SL_EUlSZ_E_NS1_11comp_targetILNS1_3genE10ELNS1_11target_archE1201ELNS1_3gpuE5ELNS1_3repE0EEENS1_47radix_sort_onesweep_sort_config_static_selectorELNS0_4arch9wavefront6targetE0EEEvSG_,"axG",@progbits,_ZN7rocprim17ROCPRIM_400000_NS6detail17trampoline_kernelINS0_14default_configENS1_35radix_sort_onesweep_config_selectorIhNS0_10empty_typeEEEZZNS1_29radix_sort_onesweep_iterationIS3_Lb0EPKhPhPS5_SB_mNS0_19identity_decomposerENS1_16block_id_wrapperIjLb1EEEEE10hipError_tT1_PNSt15iterator_traitsISG_E10value_typeET2_T3_PNSH_ISM_E10value_typeET4_T5_PSR_SS_PNS1_23onesweep_lookback_stateEbbT6_jjT7_P12ihipStream_tbENKUlT_T0_SG_SL_E_clISA_SA_SB_SB_EEDaSZ_S10_SG_SL_EUlSZ_E_NS1_11comp_targetILNS1_3genE10ELNS1_11target_archE1201ELNS1_3gpuE5ELNS1_3repE0EEENS1_47radix_sort_onesweep_sort_config_static_selectorELNS0_4arch9wavefront6targetE0EEEvSG_,comdat
.Lfunc_end234:
	.size	_ZN7rocprim17ROCPRIM_400000_NS6detail17trampoline_kernelINS0_14default_configENS1_35radix_sort_onesweep_config_selectorIhNS0_10empty_typeEEEZZNS1_29radix_sort_onesweep_iterationIS3_Lb0EPKhPhPS5_SB_mNS0_19identity_decomposerENS1_16block_id_wrapperIjLb1EEEEE10hipError_tT1_PNSt15iterator_traitsISG_E10value_typeET2_T3_PNSH_ISM_E10value_typeET4_T5_PSR_SS_PNS1_23onesweep_lookback_stateEbbT6_jjT7_P12ihipStream_tbENKUlT_T0_SG_SL_E_clISA_SA_SB_SB_EEDaSZ_S10_SG_SL_EUlSZ_E_NS1_11comp_targetILNS1_3genE10ELNS1_11target_archE1201ELNS1_3gpuE5ELNS1_3repE0EEENS1_47radix_sort_onesweep_sort_config_static_selectorELNS0_4arch9wavefront6targetE0EEEvSG_, .Lfunc_end234-_ZN7rocprim17ROCPRIM_400000_NS6detail17trampoline_kernelINS0_14default_configENS1_35radix_sort_onesweep_config_selectorIhNS0_10empty_typeEEEZZNS1_29radix_sort_onesweep_iterationIS3_Lb0EPKhPhPS5_SB_mNS0_19identity_decomposerENS1_16block_id_wrapperIjLb1EEEEE10hipError_tT1_PNSt15iterator_traitsISG_E10value_typeET2_T3_PNSH_ISM_E10value_typeET4_T5_PSR_SS_PNS1_23onesweep_lookback_stateEbbT6_jjT7_P12ihipStream_tbENKUlT_T0_SG_SL_E_clISA_SA_SB_SB_EEDaSZ_S10_SG_SL_EUlSZ_E_NS1_11comp_targetILNS1_3genE10ELNS1_11target_archE1201ELNS1_3gpuE5ELNS1_3repE0EEENS1_47radix_sort_onesweep_sort_config_static_selectorELNS0_4arch9wavefront6targetE0EEEvSG_
                                        ; -- End function
	.set _ZN7rocprim17ROCPRIM_400000_NS6detail17trampoline_kernelINS0_14default_configENS1_35radix_sort_onesweep_config_selectorIhNS0_10empty_typeEEEZZNS1_29radix_sort_onesweep_iterationIS3_Lb0EPKhPhPS5_SB_mNS0_19identity_decomposerENS1_16block_id_wrapperIjLb1EEEEE10hipError_tT1_PNSt15iterator_traitsISG_E10value_typeET2_T3_PNSH_ISM_E10value_typeET4_T5_PSR_SS_PNS1_23onesweep_lookback_stateEbbT6_jjT7_P12ihipStream_tbENKUlT_T0_SG_SL_E_clISA_SA_SB_SB_EEDaSZ_S10_SG_SL_EUlSZ_E_NS1_11comp_targetILNS1_3genE10ELNS1_11target_archE1201ELNS1_3gpuE5ELNS1_3repE0EEENS1_47radix_sort_onesweep_sort_config_static_selectorELNS0_4arch9wavefront6targetE0EEEvSG_.num_vgpr, 0
	.set _ZN7rocprim17ROCPRIM_400000_NS6detail17trampoline_kernelINS0_14default_configENS1_35radix_sort_onesweep_config_selectorIhNS0_10empty_typeEEEZZNS1_29radix_sort_onesweep_iterationIS3_Lb0EPKhPhPS5_SB_mNS0_19identity_decomposerENS1_16block_id_wrapperIjLb1EEEEE10hipError_tT1_PNSt15iterator_traitsISG_E10value_typeET2_T3_PNSH_ISM_E10value_typeET4_T5_PSR_SS_PNS1_23onesweep_lookback_stateEbbT6_jjT7_P12ihipStream_tbENKUlT_T0_SG_SL_E_clISA_SA_SB_SB_EEDaSZ_S10_SG_SL_EUlSZ_E_NS1_11comp_targetILNS1_3genE10ELNS1_11target_archE1201ELNS1_3gpuE5ELNS1_3repE0EEENS1_47radix_sort_onesweep_sort_config_static_selectorELNS0_4arch9wavefront6targetE0EEEvSG_.num_agpr, 0
	.set _ZN7rocprim17ROCPRIM_400000_NS6detail17trampoline_kernelINS0_14default_configENS1_35radix_sort_onesweep_config_selectorIhNS0_10empty_typeEEEZZNS1_29radix_sort_onesweep_iterationIS3_Lb0EPKhPhPS5_SB_mNS0_19identity_decomposerENS1_16block_id_wrapperIjLb1EEEEE10hipError_tT1_PNSt15iterator_traitsISG_E10value_typeET2_T3_PNSH_ISM_E10value_typeET4_T5_PSR_SS_PNS1_23onesweep_lookback_stateEbbT6_jjT7_P12ihipStream_tbENKUlT_T0_SG_SL_E_clISA_SA_SB_SB_EEDaSZ_S10_SG_SL_EUlSZ_E_NS1_11comp_targetILNS1_3genE10ELNS1_11target_archE1201ELNS1_3gpuE5ELNS1_3repE0EEENS1_47radix_sort_onesweep_sort_config_static_selectorELNS0_4arch9wavefront6targetE0EEEvSG_.numbered_sgpr, 0
	.set _ZN7rocprim17ROCPRIM_400000_NS6detail17trampoline_kernelINS0_14default_configENS1_35radix_sort_onesweep_config_selectorIhNS0_10empty_typeEEEZZNS1_29radix_sort_onesweep_iterationIS3_Lb0EPKhPhPS5_SB_mNS0_19identity_decomposerENS1_16block_id_wrapperIjLb1EEEEE10hipError_tT1_PNSt15iterator_traitsISG_E10value_typeET2_T3_PNSH_ISM_E10value_typeET4_T5_PSR_SS_PNS1_23onesweep_lookback_stateEbbT6_jjT7_P12ihipStream_tbENKUlT_T0_SG_SL_E_clISA_SA_SB_SB_EEDaSZ_S10_SG_SL_EUlSZ_E_NS1_11comp_targetILNS1_3genE10ELNS1_11target_archE1201ELNS1_3gpuE5ELNS1_3repE0EEENS1_47radix_sort_onesweep_sort_config_static_selectorELNS0_4arch9wavefront6targetE0EEEvSG_.num_named_barrier, 0
	.set _ZN7rocprim17ROCPRIM_400000_NS6detail17trampoline_kernelINS0_14default_configENS1_35radix_sort_onesweep_config_selectorIhNS0_10empty_typeEEEZZNS1_29radix_sort_onesweep_iterationIS3_Lb0EPKhPhPS5_SB_mNS0_19identity_decomposerENS1_16block_id_wrapperIjLb1EEEEE10hipError_tT1_PNSt15iterator_traitsISG_E10value_typeET2_T3_PNSH_ISM_E10value_typeET4_T5_PSR_SS_PNS1_23onesweep_lookback_stateEbbT6_jjT7_P12ihipStream_tbENKUlT_T0_SG_SL_E_clISA_SA_SB_SB_EEDaSZ_S10_SG_SL_EUlSZ_E_NS1_11comp_targetILNS1_3genE10ELNS1_11target_archE1201ELNS1_3gpuE5ELNS1_3repE0EEENS1_47radix_sort_onesweep_sort_config_static_selectorELNS0_4arch9wavefront6targetE0EEEvSG_.private_seg_size, 0
	.set _ZN7rocprim17ROCPRIM_400000_NS6detail17trampoline_kernelINS0_14default_configENS1_35radix_sort_onesweep_config_selectorIhNS0_10empty_typeEEEZZNS1_29radix_sort_onesweep_iterationIS3_Lb0EPKhPhPS5_SB_mNS0_19identity_decomposerENS1_16block_id_wrapperIjLb1EEEEE10hipError_tT1_PNSt15iterator_traitsISG_E10value_typeET2_T3_PNSH_ISM_E10value_typeET4_T5_PSR_SS_PNS1_23onesweep_lookback_stateEbbT6_jjT7_P12ihipStream_tbENKUlT_T0_SG_SL_E_clISA_SA_SB_SB_EEDaSZ_S10_SG_SL_EUlSZ_E_NS1_11comp_targetILNS1_3genE10ELNS1_11target_archE1201ELNS1_3gpuE5ELNS1_3repE0EEENS1_47radix_sort_onesweep_sort_config_static_selectorELNS0_4arch9wavefront6targetE0EEEvSG_.uses_vcc, 0
	.set _ZN7rocprim17ROCPRIM_400000_NS6detail17trampoline_kernelINS0_14default_configENS1_35radix_sort_onesweep_config_selectorIhNS0_10empty_typeEEEZZNS1_29radix_sort_onesweep_iterationIS3_Lb0EPKhPhPS5_SB_mNS0_19identity_decomposerENS1_16block_id_wrapperIjLb1EEEEE10hipError_tT1_PNSt15iterator_traitsISG_E10value_typeET2_T3_PNSH_ISM_E10value_typeET4_T5_PSR_SS_PNS1_23onesweep_lookback_stateEbbT6_jjT7_P12ihipStream_tbENKUlT_T0_SG_SL_E_clISA_SA_SB_SB_EEDaSZ_S10_SG_SL_EUlSZ_E_NS1_11comp_targetILNS1_3genE10ELNS1_11target_archE1201ELNS1_3gpuE5ELNS1_3repE0EEENS1_47radix_sort_onesweep_sort_config_static_selectorELNS0_4arch9wavefront6targetE0EEEvSG_.uses_flat_scratch, 0
	.set _ZN7rocprim17ROCPRIM_400000_NS6detail17trampoline_kernelINS0_14default_configENS1_35radix_sort_onesweep_config_selectorIhNS0_10empty_typeEEEZZNS1_29radix_sort_onesweep_iterationIS3_Lb0EPKhPhPS5_SB_mNS0_19identity_decomposerENS1_16block_id_wrapperIjLb1EEEEE10hipError_tT1_PNSt15iterator_traitsISG_E10value_typeET2_T3_PNSH_ISM_E10value_typeET4_T5_PSR_SS_PNS1_23onesweep_lookback_stateEbbT6_jjT7_P12ihipStream_tbENKUlT_T0_SG_SL_E_clISA_SA_SB_SB_EEDaSZ_S10_SG_SL_EUlSZ_E_NS1_11comp_targetILNS1_3genE10ELNS1_11target_archE1201ELNS1_3gpuE5ELNS1_3repE0EEENS1_47radix_sort_onesweep_sort_config_static_selectorELNS0_4arch9wavefront6targetE0EEEvSG_.has_dyn_sized_stack, 0
	.set _ZN7rocprim17ROCPRIM_400000_NS6detail17trampoline_kernelINS0_14default_configENS1_35radix_sort_onesweep_config_selectorIhNS0_10empty_typeEEEZZNS1_29radix_sort_onesweep_iterationIS3_Lb0EPKhPhPS5_SB_mNS0_19identity_decomposerENS1_16block_id_wrapperIjLb1EEEEE10hipError_tT1_PNSt15iterator_traitsISG_E10value_typeET2_T3_PNSH_ISM_E10value_typeET4_T5_PSR_SS_PNS1_23onesweep_lookback_stateEbbT6_jjT7_P12ihipStream_tbENKUlT_T0_SG_SL_E_clISA_SA_SB_SB_EEDaSZ_S10_SG_SL_EUlSZ_E_NS1_11comp_targetILNS1_3genE10ELNS1_11target_archE1201ELNS1_3gpuE5ELNS1_3repE0EEENS1_47radix_sort_onesweep_sort_config_static_selectorELNS0_4arch9wavefront6targetE0EEEvSG_.has_recursion, 0
	.set _ZN7rocprim17ROCPRIM_400000_NS6detail17trampoline_kernelINS0_14default_configENS1_35radix_sort_onesweep_config_selectorIhNS0_10empty_typeEEEZZNS1_29radix_sort_onesweep_iterationIS3_Lb0EPKhPhPS5_SB_mNS0_19identity_decomposerENS1_16block_id_wrapperIjLb1EEEEE10hipError_tT1_PNSt15iterator_traitsISG_E10value_typeET2_T3_PNSH_ISM_E10value_typeET4_T5_PSR_SS_PNS1_23onesweep_lookback_stateEbbT6_jjT7_P12ihipStream_tbENKUlT_T0_SG_SL_E_clISA_SA_SB_SB_EEDaSZ_S10_SG_SL_EUlSZ_E_NS1_11comp_targetILNS1_3genE10ELNS1_11target_archE1201ELNS1_3gpuE5ELNS1_3repE0EEENS1_47radix_sort_onesweep_sort_config_static_selectorELNS0_4arch9wavefront6targetE0EEEvSG_.has_indirect_call, 0
	.section	.AMDGPU.csdata,"",@progbits
; Kernel info:
; codeLenInByte = 0
; TotalNumSgprs: 0
; NumVgprs: 0
; ScratchSize: 0
; MemoryBound: 0
; FloatMode: 240
; IeeeMode: 1
; LDSByteSize: 0 bytes/workgroup (compile time only)
; SGPRBlocks: 0
; VGPRBlocks: 0
; NumSGPRsForWavesPerEU: 1
; NumVGPRsForWavesPerEU: 1
; NamedBarCnt: 0
; Occupancy: 16
; WaveLimiterHint : 0
; COMPUTE_PGM_RSRC2:SCRATCH_EN: 0
; COMPUTE_PGM_RSRC2:USER_SGPR: 2
; COMPUTE_PGM_RSRC2:TRAP_HANDLER: 0
; COMPUTE_PGM_RSRC2:TGID_X_EN: 1
; COMPUTE_PGM_RSRC2:TGID_Y_EN: 0
; COMPUTE_PGM_RSRC2:TGID_Z_EN: 0
; COMPUTE_PGM_RSRC2:TIDIG_COMP_CNT: 0
	.section	.text._ZN7rocprim17ROCPRIM_400000_NS6detail17trampoline_kernelINS0_14default_configENS1_35radix_sort_onesweep_config_selectorIhNS0_10empty_typeEEEZZNS1_29radix_sort_onesweep_iterationIS3_Lb0EPKhPhPS5_SB_mNS0_19identity_decomposerENS1_16block_id_wrapperIjLb1EEEEE10hipError_tT1_PNSt15iterator_traitsISG_E10value_typeET2_T3_PNSH_ISM_E10value_typeET4_T5_PSR_SS_PNS1_23onesweep_lookback_stateEbbT6_jjT7_P12ihipStream_tbENKUlT_T0_SG_SL_E_clISA_SA_SB_SB_EEDaSZ_S10_SG_SL_EUlSZ_E_NS1_11comp_targetILNS1_3genE9ELNS1_11target_archE1100ELNS1_3gpuE3ELNS1_3repE0EEENS1_47radix_sort_onesweep_sort_config_static_selectorELNS0_4arch9wavefront6targetE0EEEvSG_,"axG",@progbits,_ZN7rocprim17ROCPRIM_400000_NS6detail17trampoline_kernelINS0_14default_configENS1_35radix_sort_onesweep_config_selectorIhNS0_10empty_typeEEEZZNS1_29radix_sort_onesweep_iterationIS3_Lb0EPKhPhPS5_SB_mNS0_19identity_decomposerENS1_16block_id_wrapperIjLb1EEEEE10hipError_tT1_PNSt15iterator_traitsISG_E10value_typeET2_T3_PNSH_ISM_E10value_typeET4_T5_PSR_SS_PNS1_23onesweep_lookback_stateEbbT6_jjT7_P12ihipStream_tbENKUlT_T0_SG_SL_E_clISA_SA_SB_SB_EEDaSZ_S10_SG_SL_EUlSZ_E_NS1_11comp_targetILNS1_3genE9ELNS1_11target_archE1100ELNS1_3gpuE3ELNS1_3repE0EEENS1_47radix_sort_onesweep_sort_config_static_selectorELNS0_4arch9wavefront6targetE0EEEvSG_,comdat
	.protected	_ZN7rocprim17ROCPRIM_400000_NS6detail17trampoline_kernelINS0_14default_configENS1_35radix_sort_onesweep_config_selectorIhNS0_10empty_typeEEEZZNS1_29radix_sort_onesweep_iterationIS3_Lb0EPKhPhPS5_SB_mNS0_19identity_decomposerENS1_16block_id_wrapperIjLb1EEEEE10hipError_tT1_PNSt15iterator_traitsISG_E10value_typeET2_T3_PNSH_ISM_E10value_typeET4_T5_PSR_SS_PNS1_23onesweep_lookback_stateEbbT6_jjT7_P12ihipStream_tbENKUlT_T0_SG_SL_E_clISA_SA_SB_SB_EEDaSZ_S10_SG_SL_EUlSZ_E_NS1_11comp_targetILNS1_3genE9ELNS1_11target_archE1100ELNS1_3gpuE3ELNS1_3repE0EEENS1_47radix_sort_onesweep_sort_config_static_selectorELNS0_4arch9wavefront6targetE0EEEvSG_ ; -- Begin function _ZN7rocprim17ROCPRIM_400000_NS6detail17trampoline_kernelINS0_14default_configENS1_35radix_sort_onesweep_config_selectorIhNS0_10empty_typeEEEZZNS1_29radix_sort_onesweep_iterationIS3_Lb0EPKhPhPS5_SB_mNS0_19identity_decomposerENS1_16block_id_wrapperIjLb1EEEEE10hipError_tT1_PNSt15iterator_traitsISG_E10value_typeET2_T3_PNSH_ISM_E10value_typeET4_T5_PSR_SS_PNS1_23onesweep_lookback_stateEbbT6_jjT7_P12ihipStream_tbENKUlT_T0_SG_SL_E_clISA_SA_SB_SB_EEDaSZ_S10_SG_SL_EUlSZ_E_NS1_11comp_targetILNS1_3genE9ELNS1_11target_archE1100ELNS1_3gpuE3ELNS1_3repE0EEENS1_47radix_sort_onesweep_sort_config_static_selectorELNS0_4arch9wavefront6targetE0EEEvSG_
	.globl	_ZN7rocprim17ROCPRIM_400000_NS6detail17trampoline_kernelINS0_14default_configENS1_35radix_sort_onesweep_config_selectorIhNS0_10empty_typeEEEZZNS1_29radix_sort_onesweep_iterationIS3_Lb0EPKhPhPS5_SB_mNS0_19identity_decomposerENS1_16block_id_wrapperIjLb1EEEEE10hipError_tT1_PNSt15iterator_traitsISG_E10value_typeET2_T3_PNSH_ISM_E10value_typeET4_T5_PSR_SS_PNS1_23onesweep_lookback_stateEbbT6_jjT7_P12ihipStream_tbENKUlT_T0_SG_SL_E_clISA_SA_SB_SB_EEDaSZ_S10_SG_SL_EUlSZ_E_NS1_11comp_targetILNS1_3genE9ELNS1_11target_archE1100ELNS1_3gpuE3ELNS1_3repE0EEENS1_47radix_sort_onesweep_sort_config_static_selectorELNS0_4arch9wavefront6targetE0EEEvSG_
	.p2align	8
	.type	_ZN7rocprim17ROCPRIM_400000_NS6detail17trampoline_kernelINS0_14default_configENS1_35radix_sort_onesweep_config_selectorIhNS0_10empty_typeEEEZZNS1_29radix_sort_onesweep_iterationIS3_Lb0EPKhPhPS5_SB_mNS0_19identity_decomposerENS1_16block_id_wrapperIjLb1EEEEE10hipError_tT1_PNSt15iterator_traitsISG_E10value_typeET2_T3_PNSH_ISM_E10value_typeET4_T5_PSR_SS_PNS1_23onesweep_lookback_stateEbbT6_jjT7_P12ihipStream_tbENKUlT_T0_SG_SL_E_clISA_SA_SB_SB_EEDaSZ_S10_SG_SL_EUlSZ_E_NS1_11comp_targetILNS1_3genE9ELNS1_11target_archE1100ELNS1_3gpuE3ELNS1_3repE0EEENS1_47radix_sort_onesweep_sort_config_static_selectorELNS0_4arch9wavefront6targetE0EEEvSG_,@function
_ZN7rocprim17ROCPRIM_400000_NS6detail17trampoline_kernelINS0_14default_configENS1_35radix_sort_onesweep_config_selectorIhNS0_10empty_typeEEEZZNS1_29radix_sort_onesweep_iterationIS3_Lb0EPKhPhPS5_SB_mNS0_19identity_decomposerENS1_16block_id_wrapperIjLb1EEEEE10hipError_tT1_PNSt15iterator_traitsISG_E10value_typeET2_T3_PNSH_ISM_E10value_typeET4_T5_PSR_SS_PNS1_23onesweep_lookback_stateEbbT6_jjT7_P12ihipStream_tbENKUlT_T0_SG_SL_E_clISA_SA_SB_SB_EEDaSZ_S10_SG_SL_EUlSZ_E_NS1_11comp_targetILNS1_3genE9ELNS1_11target_archE1100ELNS1_3gpuE3ELNS1_3repE0EEENS1_47radix_sort_onesweep_sort_config_static_selectorELNS0_4arch9wavefront6targetE0EEEvSG_: ; @_ZN7rocprim17ROCPRIM_400000_NS6detail17trampoline_kernelINS0_14default_configENS1_35radix_sort_onesweep_config_selectorIhNS0_10empty_typeEEEZZNS1_29radix_sort_onesweep_iterationIS3_Lb0EPKhPhPS5_SB_mNS0_19identity_decomposerENS1_16block_id_wrapperIjLb1EEEEE10hipError_tT1_PNSt15iterator_traitsISG_E10value_typeET2_T3_PNSH_ISM_E10value_typeET4_T5_PSR_SS_PNS1_23onesweep_lookback_stateEbbT6_jjT7_P12ihipStream_tbENKUlT_T0_SG_SL_E_clISA_SA_SB_SB_EEDaSZ_S10_SG_SL_EUlSZ_E_NS1_11comp_targetILNS1_3genE9ELNS1_11target_archE1100ELNS1_3gpuE3ELNS1_3repE0EEENS1_47radix_sort_onesweep_sort_config_static_selectorELNS0_4arch9wavefront6targetE0EEEvSG_
; %bb.0:
	.section	.rodata,"a",@progbits
	.p2align	6, 0x0
	.amdhsa_kernel _ZN7rocprim17ROCPRIM_400000_NS6detail17trampoline_kernelINS0_14default_configENS1_35radix_sort_onesweep_config_selectorIhNS0_10empty_typeEEEZZNS1_29radix_sort_onesweep_iterationIS3_Lb0EPKhPhPS5_SB_mNS0_19identity_decomposerENS1_16block_id_wrapperIjLb1EEEEE10hipError_tT1_PNSt15iterator_traitsISG_E10value_typeET2_T3_PNSH_ISM_E10value_typeET4_T5_PSR_SS_PNS1_23onesweep_lookback_stateEbbT6_jjT7_P12ihipStream_tbENKUlT_T0_SG_SL_E_clISA_SA_SB_SB_EEDaSZ_S10_SG_SL_EUlSZ_E_NS1_11comp_targetILNS1_3genE9ELNS1_11target_archE1100ELNS1_3gpuE3ELNS1_3repE0EEENS1_47radix_sort_onesweep_sort_config_static_selectorELNS0_4arch9wavefront6targetE0EEEvSG_
		.amdhsa_group_segment_fixed_size 0
		.amdhsa_private_segment_fixed_size 0
		.amdhsa_kernarg_size 88
		.amdhsa_user_sgpr_count 2
		.amdhsa_user_sgpr_dispatch_ptr 0
		.amdhsa_user_sgpr_queue_ptr 0
		.amdhsa_user_sgpr_kernarg_segment_ptr 1
		.amdhsa_user_sgpr_dispatch_id 0
		.amdhsa_user_sgpr_kernarg_preload_length 0
		.amdhsa_user_sgpr_kernarg_preload_offset 0
		.amdhsa_user_sgpr_private_segment_size 0
		.amdhsa_wavefront_size32 1
		.amdhsa_uses_dynamic_stack 0
		.amdhsa_enable_private_segment 0
		.amdhsa_system_sgpr_workgroup_id_x 1
		.amdhsa_system_sgpr_workgroup_id_y 0
		.amdhsa_system_sgpr_workgroup_id_z 0
		.amdhsa_system_sgpr_workgroup_info 0
		.amdhsa_system_vgpr_workitem_id 0
		.amdhsa_next_free_vgpr 1
		.amdhsa_next_free_sgpr 1
		.amdhsa_named_barrier_count 0
		.amdhsa_reserve_vcc 0
		.amdhsa_float_round_mode_32 0
		.amdhsa_float_round_mode_16_64 0
		.amdhsa_float_denorm_mode_32 3
		.amdhsa_float_denorm_mode_16_64 3
		.amdhsa_fp16_overflow 0
		.amdhsa_memory_ordered 1
		.amdhsa_forward_progress 1
		.amdhsa_inst_pref_size 0
		.amdhsa_round_robin_scheduling 0
		.amdhsa_exception_fp_ieee_invalid_op 0
		.amdhsa_exception_fp_denorm_src 0
		.amdhsa_exception_fp_ieee_div_zero 0
		.amdhsa_exception_fp_ieee_overflow 0
		.amdhsa_exception_fp_ieee_underflow 0
		.amdhsa_exception_fp_ieee_inexact 0
		.amdhsa_exception_int_div_zero 0
	.end_amdhsa_kernel
	.section	.text._ZN7rocprim17ROCPRIM_400000_NS6detail17trampoline_kernelINS0_14default_configENS1_35radix_sort_onesweep_config_selectorIhNS0_10empty_typeEEEZZNS1_29radix_sort_onesweep_iterationIS3_Lb0EPKhPhPS5_SB_mNS0_19identity_decomposerENS1_16block_id_wrapperIjLb1EEEEE10hipError_tT1_PNSt15iterator_traitsISG_E10value_typeET2_T3_PNSH_ISM_E10value_typeET4_T5_PSR_SS_PNS1_23onesweep_lookback_stateEbbT6_jjT7_P12ihipStream_tbENKUlT_T0_SG_SL_E_clISA_SA_SB_SB_EEDaSZ_S10_SG_SL_EUlSZ_E_NS1_11comp_targetILNS1_3genE9ELNS1_11target_archE1100ELNS1_3gpuE3ELNS1_3repE0EEENS1_47radix_sort_onesweep_sort_config_static_selectorELNS0_4arch9wavefront6targetE0EEEvSG_,"axG",@progbits,_ZN7rocprim17ROCPRIM_400000_NS6detail17trampoline_kernelINS0_14default_configENS1_35radix_sort_onesweep_config_selectorIhNS0_10empty_typeEEEZZNS1_29radix_sort_onesweep_iterationIS3_Lb0EPKhPhPS5_SB_mNS0_19identity_decomposerENS1_16block_id_wrapperIjLb1EEEEE10hipError_tT1_PNSt15iterator_traitsISG_E10value_typeET2_T3_PNSH_ISM_E10value_typeET4_T5_PSR_SS_PNS1_23onesweep_lookback_stateEbbT6_jjT7_P12ihipStream_tbENKUlT_T0_SG_SL_E_clISA_SA_SB_SB_EEDaSZ_S10_SG_SL_EUlSZ_E_NS1_11comp_targetILNS1_3genE9ELNS1_11target_archE1100ELNS1_3gpuE3ELNS1_3repE0EEENS1_47radix_sort_onesweep_sort_config_static_selectorELNS0_4arch9wavefront6targetE0EEEvSG_,comdat
.Lfunc_end235:
	.size	_ZN7rocprim17ROCPRIM_400000_NS6detail17trampoline_kernelINS0_14default_configENS1_35radix_sort_onesweep_config_selectorIhNS0_10empty_typeEEEZZNS1_29radix_sort_onesweep_iterationIS3_Lb0EPKhPhPS5_SB_mNS0_19identity_decomposerENS1_16block_id_wrapperIjLb1EEEEE10hipError_tT1_PNSt15iterator_traitsISG_E10value_typeET2_T3_PNSH_ISM_E10value_typeET4_T5_PSR_SS_PNS1_23onesweep_lookback_stateEbbT6_jjT7_P12ihipStream_tbENKUlT_T0_SG_SL_E_clISA_SA_SB_SB_EEDaSZ_S10_SG_SL_EUlSZ_E_NS1_11comp_targetILNS1_3genE9ELNS1_11target_archE1100ELNS1_3gpuE3ELNS1_3repE0EEENS1_47radix_sort_onesweep_sort_config_static_selectorELNS0_4arch9wavefront6targetE0EEEvSG_, .Lfunc_end235-_ZN7rocprim17ROCPRIM_400000_NS6detail17trampoline_kernelINS0_14default_configENS1_35radix_sort_onesweep_config_selectorIhNS0_10empty_typeEEEZZNS1_29radix_sort_onesweep_iterationIS3_Lb0EPKhPhPS5_SB_mNS0_19identity_decomposerENS1_16block_id_wrapperIjLb1EEEEE10hipError_tT1_PNSt15iterator_traitsISG_E10value_typeET2_T3_PNSH_ISM_E10value_typeET4_T5_PSR_SS_PNS1_23onesweep_lookback_stateEbbT6_jjT7_P12ihipStream_tbENKUlT_T0_SG_SL_E_clISA_SA_SB_SB_EEDaSZ_S10_SG_SL_EUlSZ_E_NS1_11comp_targetILNS1_3genE9ELNS1_11target_archE1100ELNS1_3gpuE3ELNS1_3repE0EEENS1_47radix_sort_onesweep_sort_config_static_selectorELNS0_4arch9wavefront6targetE0EEEvSG_
                                        ; -- End function
	.set _ZN7rocprim17ROCPRIM_400000_NS6detail17trampoline_kernelINS0_14default_configENS1_35radix_sort_onesweep_config_selectorIhNS0_10empty_typeEEEZZNS1_29radix_sort_onesweep_iterationIS3_Lb0EPKhPhPS5_SB_mNS0_19identity_decomposerENS1_16block_id_wrapperIjLb1EEEEE10hipError_tT1_PNSt15iterator_traitsISG_E10value_typeET2_T3_PNSH_ISM_E10value_typeET4_T5_PSR_SS_PNS1_23onesweep_lookback_stateEbbT6_jjT7_P12ihipStream_tbENKUlT_T0_SG_SL_E_clISA_SA_SB_SB_EEDaSZ_S10_SG_SL_EUlSZ_E_NS1_11comp_targetILNS1_3genE9ELNS1_11target_archE1100ELNS1_3gpuE3ELNS1_3repE0EEENS1_47radix_sort_onesweep_sort_config_static_selectorELNS0_4arch9wavefront6targetE0EEEvSG_.num_vgpr, 0
	.set _ZN7rocprim17ROCPRIM_400000_NS6detail17trampoline_kernelINS0_14default_configENS1_35radix_sort_onesweep_config_selectorIhNS0_10empty_typeEEEZZNS1_29radix_sort_onesweep_iterationIS3_Lb0EPKhPhPS5_SB_mNS0_19identity_decomposerENS1_16block_id_wrapperIjLb1EEEEE10hipError_tT1_PNSt15iterator_traitsISG_E10value_typeET2_T3_PNSH_ISM_E10value_typeET4_T5_PSR_SS_PNS1_23onesweep_lookback_stateEbbT6_jjT7_P12ihipStream_tbENKUlT_T0_SG_SL_E_clISA_SA_SB_SB_EEDaSZ_S10_SG_SL_EUlSZ_E_NS1_11comp_targetILNS1_3genE9ELNS1_11target_archE1100ELNS1_3gpuE3ELNS1_3repE0EEENS1_47radix_sort_onesweep_sort_config_static_selectorELNS0_4arch9wavefront6targetE0EEEvSG_.num_agpr, 0
	.set _ZN7rocprim17ROCPRIM_400000_NS6detail17trampoline_kernelINS0_14default_configENS1_35radix_sort_onesweep_config_selectorIhNS0_10empty_typeEEEZZNS1_29radix_sort_onesweep_iterationIS3_Lb0EPKhPhPS5_SB_mNS0_19identity_decomposerENS1_16block_id_wrapperIjLb1EEEEE10hipError_tT1_PNSt15iterator_traitsISG_E10value_typeET2_T3_PNSH_ISM_E10value_typeET4_T5_PSR_SS_PNS1_23onesweep_lookback_stateEbbT6_jjT7_P12ihipStream_tbENKUlT_T0_SG_SL_E_clISA_SA_SB_SB_EEDaSZ_S10_SG_SL_EUlSZ_E_NS1_11comp_targetILNS1_3genE9ELNS1_11target_archE1100ELNS1_3gpuE3ELNS1_3repE0EEENS1_47radix_sort_onesweep_sort_config_static_selectorELNS0_4arch9wavefront6targetE0EEEvSG_.numbered_sgpr, 0
	.set _ZN7rocprim17ROCPRIM_400000_NS6detail17trampoline_kernelINS0_14default_configENS1_35radix_sort_onesweep_config_selectorIhNS0_10empty_typeEEEZZNS1_29radix_sort_onesweep_iterationIS3_Lb0EPKhPhPS5_SB_mNS0_19identity_decomposerENS1_16block_id_wrapperIjLb1EEEEE10hipError_tT1_PNSt15iterator_traitsISG_E10value_typeET2_T3_PNSH_ISM_E10value_typeET4_T5_PSR_SS_PNS1_23onesweep_lookback_stateEbbT6_jjT7_P12ihipStream_tbENKUlT_T0_SG_SL_E_clISA_SA_SB_SB_EEDaSZ_S10_SG_SL_EUlSZ_E_NS1_11comp_targetILNS1_3genE9ELNS1_11target_archE1100ELNS1_3gpuE3ELNS1_3repE0EEENS1_47radix_sort_onesweep_sort_config_static_selectorELNS0_4arch9wavefront6targetE0EEEvSG_.num_named_barrier, 0
	.set _ZN7rocprim17ROCPRIM_400000_NS6detail17trampoline_kernelINS0_14default_configENS1_35radix_sort_onesweep_config_selectorIhNS0_10empty_typeEEEZZNS1_29radix_sort_onesweep_iterationIS3_Lb0EPKhPhPS5_SB_mNS0_19identity_decomposerENS1_16block_id_wrapperIjLb1EEEEE10hipError_tT1_PNSt15iterator_traitsISG_E10value_typeET2_T3_PNSH_ISM_E10value_typeET4_T5_PSR_SS_PNS1_23onesweep_lookback_stateEbbT6_jjT7_P12ihipStream_tbENKUlT_T0_SG_SL_E_clISA_SA_SB_SB_EEDaSZ_S10_SG_SL_EUlSZ_E_NS1_11comp_targetILNS1_3genE9ELNS1_11target_archE1100ELNS1_3gpuE3ELNS1_3repE0EEENS1_47radix_sort_onesweep_sort_config_static_selectorELNS0_4arch9wavefront6targetE0EEEvSG_.private_seg_size, 0
	.set _ZN7rocprim17ROCPRIM_400000_NS6detail17trampoline_kernelINS0_14default_configENS1_35radix_sort_onesweep_config_selectorIhNS0_10empty_typeEEEZZNS1_29radix_sort_onesweep_iterationIS3_Lb0EPKhPhPS5_SB_mNS0_19identity_decomposerENS1_16block_id_wrapperIjLb1EEEEE10hipError_tT1_PNSt15iterator_traitsISG_E10value_typeET2_T3_PNSH_ISM_E10value_typeET4_T5_PSR_SS_PNS1_23onesweep_lookback_stateEbbT6_jjT7_P12ihipStream_tbENKUlT_T0_SG_SL_E_clISA_SA_SB_SB_EEDaSZ_S10_SG_SL_EUlSZ_E_NS1_11comp_targetILNS1_3genE9ELNS1_11target_archE1100ELNS1_3gpuE3ELNS1_3repE0EEENS1_47radix_sort_onesweep_sort_config_static_selectorELNS0_4arch9wavefront6targetE0EEEvSG_.uses_vcc, 0
	.set _ZN7rocprim17ROCPRIM_400000_NS6detail17trampoline_kernelINS0_14default_configENS1_35radix_sort_onesweep_config_selectorIhNS0_10empty_typeEEEZZNS1_29radix_sort_onesweep_iterationIS3_Lb0EPKhPhPS5_SB_mNS0_19identity_decomposerENS1_16block_id_wrapperIjLb1EEEEE10hipError_tT1_PNSt15iterator_traitsISG_E10value_typeET2_T3_PNSH_ISM_E10value_typeET4_T5_PSR_SS_PNS1_23onesweep_lookback_stateEbbT6_jjT7_P12ihipStream_tbENKUlT_T0_SG_SL_E_clISA_SA_SB_SB_EEDaSZ_S10_SG_SL_EUlSZ_E_NS1_11comp_targetILNS1_3genE9ELNS1_11target_archE1100ELNS1_3gpuE3ELNS1_3repE0EEENS1_47radix_sort_onesweep_sort_config_static_selectorELNS0_4arch9wavefront6targetE0EEEvSG_.uses_flat_scratch, 0
	.set _ZN7rocprim17ROCPRIM_400000_NS6detail17trampoline_kernelINS0_14default_configENS1_35radix_sort_onesweep_config_selectorIhNS0_10empty_typeEEEZZNS1_29radix_sort_onesweep_iterationIS3_Lb0EPKhPhPS5_SB_mNS0_19identity_decomposerENS1_16block_id_wrapperIjLb1EEEEE10hipError_tT1_PNSt15iterator_traitsISG_E10value_typeET2_T3_PNSH_ISM_E10value_typeET4_T5_PSR_SS_PNS1_23onesweep_lookback_stateEbbT6_jjT7_P12ihipStream_tbENKUlT_T0_SG_SL_E_clISA_SA_SB_SB_EEDaSZ_S10_SG_SL_EUlSZ_E_NS1_11comp_targetILNS1_3genE9ELNS1_11target_archE1100ELNS1_3gpuE3ELNS1_3repE0EEENS1_47radix_sort_onesweep_sort_config_static_selectorELNS0_4arch9wavefront6targetE0EEEvSG_.has_dyn_sized_stack, 0
	.set _ZN7rocprim17ROCPRIM_400000_NS6detail17trampoline_kernelINS0_14default_configENS1_35radix_sort_onesweep_config_selectorIhNS0_10empty_typeEEEZZNS1_29radix_sort_onesweep_iterationIS3_Lb0EPKhPhPS5_SB_mNS0_19identity_decomposerENS1_16block_id_wrapperIjLb1EEEEE10hipError_tT1_PNSt15iterator_traitsISG_E10value_typeET2_T3_PNSH_ISM_E10value_typeET4_T5_PSR_SS_PNS1_23onesweep_lookback_stateEbbT6_jjT7_P12ihipStream_tbENKUlT_T0_SG_SL_E_clISA_SA_SB_SB_EEDaSZ_S10_SG_SL_EUlSZ_E_NS1_11comp_targetILNS1_3genE9ELNS1_11target_archE1100ELNS1_3gpuE3ELNS1_3repE0EEENS1_47radix_sort_onesweep_sort_config_static_selectorELNS0_4arch9wavefront6targetE0EEEvSG_.has_recursion, 0
	.set _ZN7rocprim17ROCPRIM_400000_NS6detail17trampoline_kernelINS0_14default_configENS1_35radix_sort_onesweep_config_selectorIhNS0_10empty_typeEEEZZNS1_29radix_sort_onesweep_iterationIS3_Lb0EPKhPhPS5_SB_mNS0_19identity_decomposerENS1_16block_id_wrapperIjLb1EEEEE10hipError_tT1_PNSt15iterator_traitsISG_E10value_typeET2_T3_PNSH_ISM_E10value_typeET4_T5_PSR_SS_PNS1_23onesweep_lookback_stateEbbT6_jjT7_P12ihipStream_tbENKUlT_T0_SG_SL_E_clISA_SA_SB_SB_EEDaSZ_S10_SG_SL_EUlSZ_E_NS1_11comp_targetILNS1_3genE9ELNS1_11target_archE1100ELNS1_3gpuE3ELNS1_3repE0EEENS1_47radix_sort_onesweep_sort_config_static_selectorELNS0_4arch9wavefront6targetE0EEEvSG_.has_indirect_call, 0
	.section	.AMDGPU.csdata,"",@progbits
; Kernel info:
; codeLenInByte = 0
; TotalNumSgprs: 0
; NumVgprs: 0
; ScratchSize: 0
; MemoryBound: 0
; FloatMode: 240
; IeeeMode: 1
; LDSByteSize: 0 bytes/workgroup (compile time only)
; SGPRBlocks: 0
; VGPRBlocks: 0
; NumSGPRsForWavesPerEU: 1
; NumVGPRsForWavesPerEU: 1
; NamedBarCnt: 0
; Occupancy: 16
; WaveLimiterHint : 0
; COMPUTE_PGM_RSRC2:SCRATCH_EN: 0
; COMPUTE_PGM_RSRC2:USER_SGPR: 2
; COMPUTE_PGM_RSRC2:TRAP_HANDLER: 0
; COMPUTE_PGM_RSRC2:TGID_X_EN: 1
; COMPUTE_PGM_RSRC2:TGID_Y_EN: 0
; COMPUTE_PGM_RSRC2:TGID_Z_EN: 0
; COMPUTE_PGM_RSRC2:TIDIG_COMP_CNT: 0
	.section	.text._ZN7rocprim17ROCPRIM_400000_NS6detail17trampoline_kernelINS0_14default_configENS1_35radix_sort_onesweep_config_selectorIhNS0_10empty_typeEEEZZNS1_29radix_sort_onesweep_iterationIS3_Lb0EPKhPhPS5_SB_mNS0_19identity_decomposerENS1_16block_id_wrapperIjLb1EEEEE10hipError_tT1_PNSt15iterator_traitsISG_E10value_typeET2_T3_PNSH_ISM_E10value_typeET4_T5_PSR_SS_PNS1_23onesweep_lookback_stateEbbT6_jjT7_P12ihipStream_tbENKUlT_T0_SG_SL_E_clISA_SA_SB_SB_EEDaSZ_S10_SG_SL_EUlSZ_E_NS1_11comp_targetILNS1_3genE8ELNS1_11target_archE1030ELNS1_3gpuE2ELNS1_3repE0EEENS1_47radix_sort_onesweep_sort_config_static_selectorELNS0_4arch9wavefront6targetE0EEEvSG_,"axG",@progbits,_ZN7rocprim17ROCPRIM_400000_NS6detail17trampoline_kernelINS0_14default_configENS1_35radix_sort_onesweep_config_selectorIhNS0_10empty_typeEEEZZNS1_29radix_sort_onesweep_iterationIS3_Lb0EPKhPhPS5_SB_mNS0_19identity_decomposerENS1_16block_id_wrapperIjLb1EEEEE10hipError_tT1_PNSt15iterator_traitsISG_E10value_typeET2_T3_PNSH_ISM_E10value_typeET4_T5_PSR_SS_PNS1_23onesweep_lookback_stateEbbT6_jjT7_P12ihipStream_tbENKUlT_T0_SG_SL_E_clISA_SA_SB_SB_EEDaSZ_S10_SG_SL_EUlSZ_E_NS1_11comp_targetILNS1_3genE8ELNS1_11target_archE1030ELNS1_3gpuE2ELNS1_3repE0EEENS1_47radix_sort_onesweep_sort_config_static_selectorELNS0_4arch9wavefront6targetE0EEEvSG_,comdat
	.protected	_ZN7rocprim17ROCPRIM_400000_NS6detail17trampoline_kernelINS0_14default_configENS1_35radix_sort_onesweep_config_selectorIhNS0_10empty_typeEEEZZNS1_29radix_sort_onesweep_iterationIS3_Lb0EPKhPhPS5_SB_mNS0_19identity_decomposerENS1_16block_id_wrapperIjLb1EEEEE10hipError_tT1_PNSt15iterator_traitsISG_E10value_typeET2_T3_PNSH_ISM_E10value_typeET4_T5_PSR_SS_PNS1_23onesweep_lookback_stateEbbT6_jjT7_P12ihipStream_tbENKUlT_T0_SG_SL_E_clISA_SA_SB_SB_EEDaSZ_S10_SG_SL_EUlSZ_E_NS1_11comp_targetILNS1_3genE8ELNS1_11target_archE1030ELNS1_3gpuE2ELNS1_3repE0EEENS1_47radix_sort_onesweep_sort_config_static_selectorELNS0_4arch9wavefront6targetE0EEEvSG_ ; -- Begin function _ZN7rocprim17ROCPRIM_400000_NS6detail17trampoline_kernelINS0_14default_configENS1_35radix_sort_onesweep_config_selectorIhNS0_10empty_typeEEEZZNS1_29radix_sort_onesweep_iterationIS3_Lb0EPKhPhPS5_SB_mNS0_19identity_decomposerENS1_16block_id_wrapperIjLb1EEEEE10hipError_tT1_PNSt15iterator_traitsISG_E10value_typeET2_T3_PNSH_ISM_E10value_typeET4_T5_PSR_SS_PNS1_23onesweep_lookback_stateEbbT6_jjT7_P12ihipStream_tbENKUlT_T0_SG_SL_E_clISA_SA_SB_SB_EEDaSZ_S10_SG_SL_EUlSZ_E_NS1_11comp_targetILNS1_3genE8ELNS1_11target_archE1030ELNS1_3gpuE2ELNS1_3repE0EEENS1_47radix_sort_onesweep_sort_config_static_selectorELNS0_4arch9wavefront6targetE0EEEvSG_
	.globl	_ZN7rocprim17ROCPRIM_400000_NS6detail17trampoline_kernelINS0_14default_configENS1_35radix_sort_onesweep_config_selectorIhNS0_10empty_typeEEEZZNS1_29radix_sort_onesweep_iterationIS3_Lb0EPKhPhPS5_SB_mNS0_19identity_decomposerENS1_16block_id_wrapperIjLb1EEEEE10hipError_tT1_PNSt15iterator_traitsISG_E10value_typeET2_T3_PNSH_ISM_E10value_typeET4_T5_PSR_SS_PNS1_23onesweep_lookback_stateEbbT6_jjT7_P12ihipStream_tbENKUlT_T0_SG_SL_E_clISA_SA_SB_SB_EEDaSZ_S10_SG_SL_EUlSZ_E_NS1_11comp_targetILNS1_3genE8ELNS1_11target_archE1030ELNS1_3gpuE2ELNS1_3repE0EEENS1_47radix_sort_onesweep_sort_config_static_selectorELNS0_4arch9wavefront6targetE0EEEvSG_
	.p2align	8
	.type	_ZN7rocprim17ROCPRIM_400000_NS6detail17trampoline_kernelINS0_14default_configENS1_35radix_sort_onesweep_config_selectorIhNS0_10empty_typeEEEZZNS1_29radix_sort_onesweep_iterationIS3_Lb0EPKhPhPS5_SB_mNS0_19identity_decomposerENS1_16block_id_wrapperIjLb1EEEEE10hipError_tT1_PNSt15iterator_traitsISG_E10value_typeET2_T3_PNSH_ISM_E10value_typeET4_T5_PSR_SS_PNS1_23onesweep_lookback_stateEbbT6_jjT7_P12ihipStream_tbENKUlT_T0_SG_SL_E_clISA_SA_SB_SB_EEDaSZ_S10_SG_SL_EUlSZ_E_NS1_11comp_targetILNS1_3genE8ELNS1_11target_archE1030ELNS1_3gpuE2ELNS1_3repE0EEENS1_47radix_sort_onesweep_sort_config_static_selectorELNS0_4arch9wavefront6targetE0EEEvSG_,@function
_ZN7rocprim17ROCPRIM_400000_NS6detail17trampoline_kernelINS0_14default_configENS1_35radix_sort_onesweep_config_selectorIhNS0_10empty_typeEEEZZNS1_29radix_sort_onesweep_iterationIS3_Lb0EPKhPhPS5_SB_mNS0_19identity_decomposerENS1_16block_id_wrapperIjLb1EEEEE10hipError_tT1_PNSt15iterator_traitsISG_E10value_typeET2_T3_PNSH_ISM_E10value_typeET4_T5_PSR_SS_PNS1_23onesweep_lookback_stateEbbT6_jjT7_P12ihipStream_tbENKUlT_T0_SG_SL_E_clISA_SA_SB_SB_EEDaSZ_S10_SG_SL_EUlSZ_E_NS1_11comp_targetILNS1_3genE8ELNS1_11target_archE1030ELNS1_3gpuE2ELNS1_3repE0EEENS1_47radix_sort_onesweep_sort_config_static_selectorELNS0_4arch9wavefront6targetE0EEEvSG_: ; @_ZN7rocprim17ROCPRIM_400000_NS6detail17trampoline_kernelINS0_14default_configENS1_35radix_sort_onesweep_config_selectorIhNS0_10empty_typeEEEZZNS1_29radix_sort_onesweep_iterationIS3_Lb0EPKhPhPS5_SB_mNS0_19identity_decomposerENS1_16block_id_wrapperIjLb1EEEEE10hipError_tT1_PNSt15iterator_traitsISG_E10value_typeET2_T3_PNSH_ISM_E10value_typeET4_T5_PSR_SS_PNS1_23onesweep_lookback_stateEbbT6_jjT7_P12ihipStream_tbENKUlT_T0_SG_SL_E_clISA_SA_SB_SB_EEDaSZ_S10_SG_SL_EUlSZ_E_NS1_11comp_targetILNS1_3genE8ELNS1_11target_archE1030ELNS1_3gpuE2ELNS1_3repE0EEENS1_47radix_sort_onesweep_sort_config_static_selectorELNS0_4arch9wavefront6targetE0EEEvSG_
; %bb.0:
	.section	.rodata,"a",@progbits
	.p2align	6, 0x0
	.amdhsa_kernel _ZN7rocprim17ROCPRIM_400000_NS6detail17trampoline_kernelINS0_14default_configENS1_35radix_sort_onesweep_config_selectorIhNS0_10empty_typeEEEZZNS1_29radix_sort_onesweep_iterationIS3_Lb0EPKhPhPS5_SB_mNS0_19identity_decomposerENS1_16block_id_wrapperIjLb1EEEEE10hipError_tT1_PNSt15iterator_traitsISG_E10value_typeET2_T3_PNSH_ISM_E10value_typeET4_T5_PSR_SS_PNS1_23onesweep_lookback_stateEbbT6_jjT7_P12ihipStream_tbENKUlT_T0_SG_SL_E_clISA_SA_SB_SB_EEDaSZ_S10_SG_SL_EUlSZ_E_NS1_11comp_targetILNS1_3genE8ELNS1_11target_archE1030ELNS1_3gpuE2ELNS1_3repE0EEENS1_47radix_sort_onesweep_sort_config_static_selectorELNS0_4arch9wavefront6targetE0EEEvSG_
		.amdhsa_group_segment_fixed_size 0
		.amdhsa_private_segment_fixed_size 0
		.amdhsa_kernarg_size 88
		.amdhsa_user_sgpr_count 2
		.amdhsa_user_sgpr_dispatch_ptr 0
		.amdhsa_user_sgpr_queue_ptr 0
		.amdhsa_user_sgpr_kernarg_segment_ptr 1
		.amdhsa_user_sgpr_dispatch_id 0
		.amdhsa_user_sgpr_kernarg_preload_length 0
		.amdhsa_user_sgpr_kernarg_preload_offset 0
		.amdhsa_user_sgpr_private_segment_size 0
		.amdhsa_wavefront_size32 1
		.amdhsa_uses_dynamic_stack 0
		.amdhsa_enable_private_segment 0
		.amdhsa_system_sgpr_workgroup_id_x 1
		.amdhsa_system_sgpr_workgroup_id_y 0
		.amdhsa_system_sgpr_workgroup_id_z 0
		.amdhsa_system_sgpr_workgroup_info 0
		.amdhsa_system_vgpr_workitem_id 0
		.amdhsa_next_free_vgpr 1
		.amdhsa_next_free_sgpr 1
		.amdhsa_named_barrier_count 0
		.amdhsa_reserve_vcc 0
		.amdhsa_float_round_mode_32 0
		.amdhsa_float_round_mode_16_64 0
		.amdhsa_float_denorm_mode_32 3
		.amdhsa_float_denorm_mode_16_64 3
		.amdhsa_fp16_overflow 0
		.amdhsa_memory_ordered 1
		.amdhsa_forward_progress 1
		.amdhsa_inst_pref_size 0
		.amdhsa_round_robin_scheduling 0
		.amdhsa_exception_fp_ieee_invalid_op 0
		.amdhsa_exception_fp_denorm_src 0
		.amdhsa_exception_fp_ieee_div_zero 0
		.amdhsa_exception_fp_ieee_overflow 0
		.amdhsa_exception_fp_ieee_underflow 0
		.amdhsa_exception_fp_ieee_inexact 0
		.amdhsa_exception_int_div_zero 0
	.end_amdhsa_kernel
	.section	.text._ZN7rocprim17ROCPRIM_400000_NS6detail17trampoline_kernelINS0_14default_configENS1_35radix_sort_onesweep_config_selectorIhNS0_10empty_typeEEEZZNS1_29radix_sort_onesweep_iterationIS3_Lb0EPKhPhPS5_SB_mNS0_19identity_decomposerENS1_16block_id_wrapperIjLb1EEEEE10hipError_tT1_PNSt15iterator_traitsISG_E10value_typeET2_T3_PNSH_ISM_E10value_typeET4_T5_PSR_SS_PNS1_23onesweep_lookback_stateEbbT6_jjT7_P12ihipStream_tbENKUlT_T0_SG_SL_E_clISA_SA_SB_SB_EEDaSZ_S10_SG_SL_EUlSZ_E_NS1_11comp_targetILNS1_3genE8ELNS1_11target_archE1030ELNS1_3gpuE2ELNS1_3repE0EEENS1_47radix_sort_onesweep_sort_config_static_selectorELNS0_4arch9wavefront6targetE0EEEvSG_,"axG",@progbits,_ZN7rocprim17ROCPRIM_400000_NS6detail17trampoline_kernelINS0_14default_configENS1_35radix_sort_onesweep_config_selectorIhNS0_10empty_typeEEEZZNS1_29radix_sort_onesweep_iterationIS3_Lb0EPKhPhPS5_SB_mNS0_19identity_decomposerENS1_16block_id_wrapperIjLb1EEEEE10hipError_tT1_PNSt15iterator_traitsISG_E10value_typeET2_T3_PNSH_ISM_E10value_typeET4_T5_PSR_SS_PNS1_23onesweep_lookback_stateEbbT6_jjT7_P12ihipStream_tbENKUlT_T0_SG_SL_E_clISA_SA_SB_SB_EEDaSZ_S10_SG_SL_EUlSZ_E_NS1_11comp_targetILNS1_3genE8ELNS1_11target_archE1030ELNS1_3gpuE2ELNS1_3repE0EEENS1_47radix_sort_onesweep_sort_config_static_selectorELNS0_4arch9wavefront6targetE0EEEvSG_,comdat
.Lfunc_end236:
	.size	_ZN7rocprim17ROCPRIM_400000_NS6detail17trampoline_kernelINS0_14default_configENS1_35radix_sort_onesweep_config_selectorIhNS0_10empty_typeEEEZZNS1_29radix_sort_onesweep_iterationIS3_Lb0EPKhPhPS5_SB_mNS0_19identity_decomposerENS1_16block_id_wrapperIjLb1EEEEE10hipError_tT1_PNSt15iterator_traitsISG_E10value_typeET2_T3_PNSH_ISM_E10value_typeET4_T5_PSR_SS_PNS1_23onesweep_lookback_stateEbbT6_jjT7_P12ihipStream_tbENKUlT_T0_SG_SL_E_clISA_SA_SB_SB_EEDaSZ_S10_SG_SL_EUlSZ_E_NS1_11comp_targetILNS1_3genE8ELNS1_11target_archE1030ELNS1_3gpuE2ELNS1_3repE0EEENS1_47radix_sort_onesweep_sort_config_static_selectorELNS0_4arch9wavefront6targetE0EEEvSG_, .Lfunc_end236-_ZN7rocprim17ROCPRIM_400000_NS6detail17trampoline_kernelINS0_14default_configENS1_35radix_sort_onesweep_config_selectorIhNS0_10empty_typeEEEZZNS1_29radix_sort_onesweep_iterationIS3_Lb0EPKhPhPS5_SB_mNS0_19identity_decomposerENS1_16block_id_wrapperIjLb1EEEEE10hipError_tT1_PNSt15iterator_traitsISG_E10value_typeET2_T3_PNSH_ISM_E10value_typeET4_T5_PSR_SS_PNS1_23onesweep_lookback_stateEbbT6_jjT7_P12ihipStream_tbENKUlT_T0_SG_SL_E_clISA_SA_SB_SB_EEDaSZ_S10_SG_SL_EUlSZ_E_NS1_11comp_targetILNS1_3genE8ELNS1_11target_archE1030ELNS1_3gpuE2ELNS1_3repE0EEENS1_47radix_sort_onesweep_sort_config_static_selectorELNS0_4arch9wavefront6targetE0EEEvSG_
                                        ; -- End function
	.set _ZN7rocprim17ROCPRIM_400000_NS6detail17trampoline_kernelINS0_14default_configENS1_35radix_sort_onesweep_config_selectorIhNS0_10empty_typeEEEZZNS1_29radix_sort_onesweep_iterationIS3_Lb0EPKhPhPS5_SB_mNS0_19identity_decomposerENS1_16block_id_wrapperIjLb1EEEEE10hipError_tT1_PNSt15iterator_traitsISG_E10value_typeET2_T3_PNSH_ISM_E10value_typeET4_T5_PSR_SS_PNS1_23onesweep_lookback_stateEbbT6_jjT7_P12ihipStream_tbENKUlT_T0_SG_SL_E_clISA_SA_SB_SB_EEDaSZ_S10_SG_SL_EUlSZ_E_NS1_11comp_targetILNS1_3genE8ELNS1_11target_archE1030ELNS1_3gpuE2ELNS1_3repE0EEENS1_47radix_sort_onesweep_sort_config_static_selectorELNS0_4arch9wavefront6targetE0EEEvSG_.num_vgpr, 0
	.set _ZN7rocprim17ROCPRIM_400000_NS6detail17trampoline_kernelINS0_14default_configENS1_35radix_sort_onesweep_config_selectorIhNS0_10empty_typeEEEZZNS1_29radix_sort_onesweep_iterationIS3_Lb0EPKhPhPS5_SB_mNS0_19identity_decomposerENS1_16block_id_wrapperIjLb1EEEEE10hipError_tT1_PNSt15iterator_traitsISG_E10value_typeET2_T3_PNSH_ISM_E10value_typeET4_T5_PSR_SS_PNS1_23onesweep_lookback_stateEbbT6_jjT7_P12ihipStream_tbENKUlT_T0_SG_SL_E_clISA_SA_SB_SB_EEDaSZ_S10_SG_SL_EUlSZ_E_NS1_11comp_targetILNS1_3genE8ELNS1_11target_archE1030ELNS1_3gpuE2ELNS1_3repE0EEENS1_47radix_sort_onesweep_sort_config_static_selectorELNS0_4arch9wavefront6targetE0EEEvSG_.num_agpr, 0
	.set _ZN7rocprim17ROCPRIM_400000_NS6detail17trampoline_kernelINS0_14default_configENS1_35radix_sort_onesweep_config_selectorIhNS0_10empty_typeEEEZZNS1_29radix_sort_onesweep_iterationIS3_Lb0EPKhPhPS5_SB_mNS0_19identity_decomposerENS1_16block_id_wrapperIjLb1EEEEE10hipError_tT1_PNSt15iterator_traitsISG_E10value_typeET2_T3_PNSH_ISM_E10value_typeET4_T5_PSR_SS_PNS1_23onesweep_lookback_stateEbbT6_jjT7_P12ihipStream_tbENKUlT_T0_SG_SL_E_clISA_SA_SB_SB_EEDaSZ_S10_SG_SL_EUlSZ_E_NS1_11comp_targetILNS1_3genE8ELNS1_11target_archE1030ELNS1_3gpuE2ELNS1_3repE0EEENS1_47radix_sort_onesweep_sort_config_static_selectorELNS0_4arch9wavefront6targetE0EEEvSG_.numbered_sgpr, 0
	.set _ZN7rocprim17ROCPRIM_400000_NS6detail17trampoline_kernelINS0_14default_configENS1_35radix_sort_onesweep_config_selectorIhNS0_10empty_typeEEEZZNS1_29radix_sort_onesweep_iterationIS3_Lb0EPKhPhPS5_SB_mNS0_19identity_decomposerENS1_16block_id_wrapperIjLb1EEEEE10hipError_tT1_PNSt15iterator_traitsISG_E10value_typeET2_T3_PNSH_ISM_E10value_typeET4_T5_PSR_SS_PNS1_23onesweep_lookback_stateEbbT6_jjT7_P12ihipStream_tbENKUlT_T0_SG_SL_E_clISA_SA_SB_SB_EEDaSZ_S10_SG_SL_EUlSZ_E_NS1_11comp_targetILNS1_3genE8ELNS1_11target_archE1030ELNS1_3gpuE2ELNS1_3repE0EEENS1_47radix_sort_onesweep_sort_config_static_selectorELNS0_4arch9wavefront6targetE0EEEvSG_.num_named_barrier, 0
	.set _ZN7rocprim17ROCPRIM_400000_NS6detail17trampoline_kernelINS0_14default_configENS1_35radix_sort_onesweep_config_selectorIhNS0_10empty_typeEEEZZNS1_29radix_sort_onesweep_iterationIS3_Lb0EPKhPhPS5_SB_mNS0_19identity_decomposerENS1_16block_id_wrapperIjLb1EEEEE10hipError_tT1_PNSt15iterator_traitsISG_E10value_typeET2_T3_PNSH_ISM_E10value_typeET4_T5_PSR_SS_PNS1_23onesweep_lookback_stateEbbT6_jjT7_P12ihipStream_tbENKUlT_T0_SG_SL_E_clISA_SA_SB_SB_EEDaSZ_S10_SG_SL_EUlSZ_E_NS1_11comp_targetILNS1_3genE8ELNS1_11target_archE1030ELNS1_3gpuE2ELNS1_3repE0EEENS1_47radix_sort_onesweep_sort_config_static_selectorELNS0_4arch9wavefront6targetE0EEEvSG_.private_seg_size, 0
	.set _ZN7rocprim17ROCPRIM_400000_NS6detail17trampoline_kernelINS0_14default_configENS1_35radix_sort_onesweep_config_selectorIhNS0_10empty_typeEEEZZNS1_29radix_sort_onesweep_iterationIS3_Lb0EPKhPhPS5_SB_mNS0_19identity_decomposerENS1_16block_id_wrapperIjLb1EEEEE10hipError_tT1_PNSt15iterator_traitsISG_E10value_typeET2_T3_PNSH_ISM_E10value_typeET4_T5_PSR_SS_PNS1_23onesweep_lookback_stateEbbT6_jjT7_P12ihipStream_tbENKUlT_T0_SG_SL_E_clISA_SA_SB_SB_EEDaSZ_S10_SG_SL_EUlSZ_E_NS1_11comp_targetILNS1_3genE8ELNS1_11target_archE1030ELNS1_3gpuE2ELNS1_3repE0EEENS1_47radix_sort_onesweep_sort_config_static_selectorELNS0_4arch9wavefront6targetE0EEEvSG_.uses_vcc, 0
	.set _ZN7rocprim17ROCPRIM_400000_NS6detail17trampoline_kernelINS0_14default_configENS1_35radix_sort_onesweep_config_selectorIhNS0_10empty_typeEEEZZNS1_29radix_sort_onesweep_iterationIS3_Lb0EPKhPhPS5_SB_mNS0_19identity_decomposerENS1_16block_id_wrapperIjLb1EEEEE10hipError_tT1_PNSt15iterator_traitsISG_E10value_typeET2_T3_PNSH_ISM_E10value_typeET4_T5_PSR_SS_PNS1_23onesweep_lookback_stateEbbT6_jjT7_P12ihipStream_tbENKUlT_T0_SG_SL_E_clISA_SA_SB_SB_EEDaSZ_S10_SG_SL_EUlSZ_E_NS1_11comp_targetILNS1_3genE8ELNS1_11target_archE1030ELNS1_3gpuE2ELNS1_3repE0EEENS1_47radix_sort_onesweep_sort_config_static_selectorELNS0_4arch9wavefront6targetE0EEEvSG_.uses_flat_scratch, 0
	.set _ZN7rocprim17ROCPRIM_400000_NS6detail17trampoline_kernelINS0_14default_configENS1_35radix_sort_onesweep_config_selectorIhNS0_10empty_typeEEEZZNS1_29radix_sort_onesweep_iterationIS3_Lb0EPKhPhPS5_SB_mNS0_19identity_decomposerENS1_16block_id_wrapperIjLb1EEEEE10hipError_tT1_PNSt15iterator_traitsISG_E10value_typeET2_T3_PNSH_ISM_E10value_typeET4_T5_PSR_SS_PNS1_23onesweep_lookback_stateEbbT6_jjT7_P12ihipStream_tbENKUlT_T0_SG_SL_E_clISA_SA_SB_SB_EEDaSZ_S10_SG_SL_EUlSZ_E_NS1_11comp_targetILNS1_3genE8ELNS1_11target_archE1030ELNS1_3gpuE2ELNS1_3repE0EEENS1_47radix_sort_onesweep_sort_config_static_selectorELNS0_4arch9wavefront6targetE0EEEvSG_.has_dyn_sized_stack, 0
	.set _ZN7rocprim17ROCPRIM_400000_NS6detail17trampoline_kernelINS0_14default_configENS1_35radix_sort_onesweep_config_selectorIhNS0_10empty_typeEEEZZNS1_29radix_sort_onesweep_iterationIS3_Lb0EPKhPhPS5_SB_mNS0_19identity_decomposerENS1_16block_id_wrapperIjLb1EEEEE10hipError_tT1_PNSt15iterator_traitsISG_E10value_typeET2_T3_PNSH_ISM_E10value_typeET4_T5_PSR_SS_PNS1_23onesweep_lookback_stateEbbT6_jjT7_P12ihipStream_tbENKUlT_T0_SG_SL_E_clISA_SA_SB_SB_EEDaSZ_S10_SG_SL_EUlSZ_E_NS1_11comp_targetILNS1_3genE8ELNS1_11target_archE1030ELNS1_3gpuE2ELNS1_3repE0EEENS1_47radix_sort_onesweep_sort_config_static_selectorELNS0_4arch9wavefront6targetE0EEEvSG_.has_recursion, 0
	.set _ZN7rocprim17ROCPRIM_400000_NS6detail17trampoline_kernelINS0_14default_configENS1_35radix_sort_onesweep_config_selectorIhNS0_10empty_typeEEEZZNS1_29radix_sort_onesweep_iterationIS3_Lb0EPKhPhPS5_SB_mNS0_19identity_decomposerENS1_16block_id_wrapperIjLb1EEEEE10hipError_tT1_PNSt15iterator_traitsISG_E10value_typeET2_T3_PNSH_ISM_E10value_typeET4_T5_PSR_SS_PNS1_23onesweep_lookback_stateEbbT6_jjT7_P12ihipStream_tbENKUlT_T0_SG_SL_E_clISA_SA_SB_SB_EEDaSZ_S10_SG_SL_EUlSZ_E_NS1_11comp_targetILNS1_3genE8ELNS1_11target_archE1030ELNS1_3gpuE2ELNS1_3repE0EEENS1_47radix_sort_onesweep_sort_config_static_selectorELNS0_4arch9wavefront6targetE0EEEvSG_.has_indirect_call, 0
	.section	.AMDGPU.csdata,"",@progbits
; Kernel info:
; codeLenInByte = 0
; TotalNumSgprs: 0
; NumVgprs: 0
; ScratchSize: 0
; MemoryBound: 0
; FloatMode: 240
; IeeeMode: 1
; LDSByteSize: 0 bytes/workgroup (compile time only)
; SGPRBlocks: 0
; VGPRBlocks: 0
; NumSGPRsForWavesPerEU: 1
; NumVGPRsForWavesPerEU: 1
; NamedBarCnt: 0
; Occupancy: 16
; WaveLimiterHint : 0
; COMPUTE_PGM_RSRC2:SCRATCH_EN: 0
; COMPUTE_PGM_RSRC2:USER_SGPR: 2
; COMPUTE_PGM_RSRC2:TRAP_HANDLER: 0
; COMPUTE_PGM_RSRC2:TGID_X_EN: 1
; COMPUTE_PGM_RSRC2:TGID_Y_EN: 0
; COMPUTE_PGM_RSRC2:TGID_Z_EN: 0
; COMPUTE_PGM_RSRC2:TIDIG_COMP_CNT: 0
	.section	.text._ZN7rocprim17ROCPRIM_400000_NS6detail17trampoline_kernelINS0_14default_configENS1_35radix_sort_onesweep_config_selectorIhNS0_10empty_typeEEEZZNS1_29radix_sort_onesweep_iterationIS3_Lb0EPKhPhPS5_SB_mNS0_19identity_decomposerENS1_16block_id_wrapperIjLb0EEEEE10hipError_tT1_PNSt15iterator_traitsISG_E10value_typeET2_T3_PNSH_ISM_E10value_typeET4_T5_PSR_SS_PNS1_23onesweep_lookback_stateEbbT6_jjT7_P12ihipStream_tbENKUlT_T0_SG_SL_E_clIS9_SA_SB_SB_EEDaSZ_S10_SG_SL_EUlSZ_E_NS1_11comp_targetILNS1_3genE0ELNS1_11target_archE4294967295ELNS1_3gpuE0ELNS1_3repE0EEENS1_47radix_sort_onesweep_sort_config_static_selectorELNS0_4arch9wavefront6targetE0EEEvSG_,"axG",@progbits,_ZN7rocprim17ROCPRIM_400000_NS6detail17trampoline_kernelINS0_14default_configENS1_35radix_sort_onesweep_config_selectorIhNS0_10empty_typeEEEZZNS1_29radix_sort_onesweep_iterationIS3_Lb0EPKhPhPS5_SB_mNS0_19identity_decomposerENS1_16block_id_wrapperIjLb0EEEEE10hipError_tT1_PNSt15iterator_traitsISG_E10value_typeET2_T3_PNSH_ISM_E10value_typeET4_T5_PSR_SS_PNS1_23onesweep_lookback_stateEbbT6_jjT7_P12ihipStream_tbENKUlT_T0_SG_SL_E_clIS9_SA_SB_SB_EEDaSZ_S10_SG_SL_EUlSZ_E_NS1_11comp_targetILNS1_3genE0ELNS1_11target_archE4294967295ELNS1_3gpuE0ELNS1_3repE0EEENS1_47radix_sort_onesweep_sort_config_static_selectorELNS0_4arch9wavefront6targetE0EEEvSG_,comdat
	.protected	_ZN7rocprim17ROCPRIM_400000_NS6detail17trampoline_kernelINS0_14default_configENS1_35radix_sort_onesweep_config_selectorIhNS0_10empty_typeEEEZZNS1_29radix_sort_onesweep_iterationIS3_Lb0EPKhPhPS5_SB_mNS0_19identity_decomposerENS1_16block_id_wrapperIjLb0EEEEE10hipError_tT1_PNSt15iterator_traitsISG_E10value_typeET2_T3_PNSH_ISM_E10value_typeET4_T5_PSR_SS_PNS1_23onesweep_lookback_stateEbbT6_jjT7_P12ihipStream_tbENKUlT_T0_SG_SL_E_clIS9_SA_SB_SB_EEDaSZ_S10_SG_SL_EUlSZ_E_NS1_11comp_targetILNS1_3genE0ELNS1_11target_archE4294967295ELNS1_3gpuE0ELNS1_3repE0EEENS1_47radix_sort_onesweep_sort_config_static_selectorELNS0_4arch9wavefront6targetE0EEEvSG_ ; -- Begin function _ZN7rocprim17ROCPRIM_400000_NS6detail17trampoline_kernelINS0_14default_configENS1_35radix_sort_onesweep_config_selectorIhNS0_10empty_typeEEEZZNS1_29radix_sort_onesweep_iterationIS3_Lb0EPKhPhPS5_SB_mNS0_19identity_decomposerENS1_16block_id_wrapperIjLb0EEEEE10hipError_tT1_PNSt15iterator_traitsISG_E10value_typeET2_T3_PNSH_ISM_E10value_typeET4_T5_PSR_SS_PNS1_23onesweep_lookback_stateEbbT6_jjT7_P12ihipStream_tbENKUlT_T0_SG_SL_E_clIS9_SA_SB_SB_EEDaSZ_S10_SG_SL_EUlSZ_E_NS1_11comp_targetILNS1_3genE0ELNS1_11target_archE4294967295ELNS1_3gpuE0ELNS1_3repE0EEENS1_47radix_sort_onesweep_sort_config_static_selectorELNS0_4arch9wavefront6targetE0EEEvSG_
	.globl	_ZN7rocprim17ROCPRIM_400000_NS6detail17trampoline_kernelINS0_14default_configENS1_35radix_sort_onesweep_config_selectorIhNS0_10empty_typeEEEZZNS1_29radix_sort_onesweep_iterationIS3_Lb0EPKhPhPS5_SB_mNS0_19identity_decomposerENS1_16block_id_wrapperIjLb0EEEEE10hipError_tT1_PNSt15iterator_traitsISG_E10value_typeET2_T3_PNSH_ISM_E10value_typeET4_T5_PSR_SS_PNS1_23onesweep_lookback_stateEbbT6_jjT7_P12ihipStream_tbENKUlT_T0_SG_SL_E_clIS9_SA_SB_SB_EEDaSZ_S10_SG_SL_EUlSZ_E_NS1_11comp_targetILNS1_3genE0ELNS1_11target_archE4294967295ELNS1_3gpuE0ELNS1_3repE0EEENS1_47radix_sort_onesweep_sort_config_static_selectorELNS0_4arch9wavefront6targetE0EEEvSG_
	.p2align	8
	.type	_ZN7rocprim17ROCPRIM_400000_NS6detail17trampoline_kernelINS0_14default_configENS1_35radix_sort_onesweep_config_selectorIhNS0_10empty_typeEEEZZNS1_29radix_sort_onesweep_iterationIS3_Lb0EPKhPhPS5_SB_mNS0_19identity_decomposerENS1_16block_id_wrapperIjLb0EEEEE10hipError_tT1_PNSt15iterator_traitsISG_E10value_typeET2_T3_PNSH_ISM_E10value_typeET4_T5_PSR_SS_PNS1_23onesweep_lookback_stateEbbT6_jjT7_P12ihipStream_tbENKUlT_T0_SG_SL_E_clIS9_SA_SB_SB_EEDaSZ_S10_SG_SL_EUlSZ_E_NS1_11comp_targetILNS1_3genE0ELNS1_11target_archE4294967295ELNS1_3gpuE0ELNS1_3repE0EEENS1_47radix_sort_onesweep_sort_config_static_selectorELNS0_4arch9wavefront6targetE0EEEvSG_,@function
_ZN7rocprim17ROCPRIM_400000_NS6detail17trampoline_kernelINS0_14default_configENS1_35radix_sort_onesweep_config_selectorIhNS0_10empty_typeEEEZZNS1_29radix_sort_onesweep_iterationIS3_Lb0EPKhPhPS5_SB_mNS0_19identity_decomposerENS1_16block_id_wrapperIjLb0EEEEE10hipError_tT1_PNSt15iterator_traitsISG_E10value_typeET2_T3_PNSH_ISM_E10value_typeET4_T5_PSR_SS_PNS1_23onesweep_lookback_stateEbbT6_jjT7_P12ihipStream_tbENKUlT_T0_SG_SL_E_clIS9_SA_SB_SB_EEDaSZ_S10_SG_SL_EUlSZ_E_NS1_11comp_targetILNS1_3genE0ELNS1_11target_archE4294967295ELNS1_3gpuE0ELNS1_3repE0EEENS1_47radix_sort_onesweep_sort_config_static_selectorELNS0_4arch9wavefront6targetE0EEEvSG_: ; @_ZN7rocprim17ROCPRIM_400000_NS6detail17trampoline_kernelINS0_14default_configENS1_35radix_sort_onesweep_config_selectorIhNS0_10empty_typeEEEZZNS1_29radix_sort_onesweep_iterationIS3_Lb0EPKhPhPS5_SB_mNS0_19identity_decomposerENS1_16block_id_wrapperIjLb0EEEEE10hipError_tT1_PNSt15iterator_traitsISG_E10value_typeET2_T3_PNSH_ISM_E10value_typeET4_T5_PSR_SS_PNS1_23onesweep_lookback_stateEbbT6_jjT7_P12ihipStream_tbENKUlT_T0_SG_SL_E_clIS9_SA_SB_SB_EEDaSZ_S10_SG_SL_EUlSZ_E_NS1_11comp_targetILNS1_3genE0ELNS1_11target_archE4294967295ELNS1_3gpuE0ELNS1_3repE0EEENS1_47radix_sort_onesweep_sort_config_static_selectorELNS0_4arch9wavefront6targetE0EEEvSG_
; %bb.0:
	s_clause 0x3
	s_load_b96 s[16:18], s[0:1], 0x44
	s_load_b64 s[20:21], s[0:1], 0x38
	s_load_b128 s[12:15], s[0:1], 0x0
	s_load_b128 s[8:11], s[0:1], 0x28
	s_bfe_u32 s2, ttmp6, 0x4000c
	s_and_b32 s3, ttmp6, 15
	s_add_co_i32 s2, s2, 1
	s_getreg_b32 s4, hwreg(HW_REG_IB_STS2, 6, 4)
	s_mul_i32 s2, ttmp9, s2
	v_mul_u32_u24_e32 v6, 22, v0
	s_add_co_i32 s3, s3, s2
	s_cmp_eq_u32 s4, 0
	s_mov_b32 s23, 0
	s_cselect_b32 s19, ttmp9, s3
	s_mov_b32 s2, -1
	s_mul_i32 s22, s19, 0x5800
	s_wait_kmcnt 0x0
	s_cmp_ge_u32 s19, s18
	s_cbranch_scc0 .LBB237_112
; %bb.1:
	s_load_b32 s4, s[0:1], 0x20
	v_dual_mov_b32 v7, 0 :: v_dual_mov_b32 v4, 0xff
	s_add_nc_u64 s[2:3], s[12:13], s[22:23]
	v_mov_b32_e32 v1, 0xff
	v_mov_b32_e32 v5, 0xff
	s_delay_alu instid0(VALU_DEP_3) | instskip(SKIP_4) | instid1(SALU_CYCLE_1)
	v_add_nc_u64_e32 v[2:3], s[2:3], v[6:7]
	s_mul_i32 s5, s18, 0xffffa800
	s_mov_b32 s2, exec_lo
	s_wait_kmcnt 0x0
	s_add_co_i32 s18, s4, s5
	v_cmpx_gt_u32_e64 s18, v6
	s_cbranch_execz .LBB237_3
; %bb.2:
	global_load_u8 v5, v[2:3], off
	s_wait_loadcnt 0x0
	v_and_b32_e32 v4, 0xff, v5
.LBB237_3:
	s_or_b32 exec_lo, exec_lo, s2
	v_or_b32_e32 v7, 1, v6
	v_mov_b32_e32 v27, 0xff
	s_mov_b32 s2, exec_lo
	s_delay_alu instid0(VALU_DEP_2)
	v_cmpx_gt_u32_e64 s18, v7
	s_cbranch_execz .LBB237_5
; %bb.4:
	global_load_u8 v1, v[2:3], off offset:1
	s_wait_loadcnt 0x0
	v_and_b32_e32 v27, 0xff, v1
.LBB237_5:
	s_or_b32 exec_lo, exec_lo, s2
	v_dual_mov_b32 v7, 0xff :: v_dual_add_nc_u32 v8, 2, v6
	v_mov_b32_e32 v28, 0xff
	s_delay_alu instid0(VALU_DEP_2)
	v_cmp_gt_u32_e32 vcc_lo, s18, v8
	v_mov_b32_e32 v8, 0xff
	s_and_saveexec_b32 s2, vcc_lo
	s_cbranch_execz .LBB237_7
; %bb.6:
	global_load_u8 v8, v[2:3], off offset:2
	s_wait_loadcnt 0x0
	v_and_b32_e32 v28, 0xff, v8
.LBB237_7:
	s_or_b32 exec_lo, exec_lo, s2
	v_add_nc_u32_e32 v9, 3, v6
	v_mov_b32_e32 v29, 0xff
	s_mov_b32 s2, exec_lo
	s_delay_alu instid0(VALU_DEP_2)
	v_cmpx_gt_u32_e64 s18, v9
	s_cbranch_execz .LBB237_9
; %bb.8:
	global_load_u8 v7, v[2:3], off offset:3
	s_wait_loadcnt 0x0
	v_and_b32_e32 v29, 0xff, v7
.LBB237_9:
	s_or_b32 exec_lo, exec_lo, s2
	v_dual_mov_b32 v9, 0xff :: v_dual_add_nc_u32 v10, 4, v6
	v_mov_b32_e32 v30, 0xff
	s_delay_alu instid0(VALU_DEP_2)
	v_cmp_gt_u32_e32 vcc_lo, s18, v10
	v_mov_b32_e32 v10, 0xff
	s_and_saveexec_b32 s2, vcc_lo
	s_cbranch_execz .LBB237_11
; %bb.10:
	global_load_u8 v10, v[2:3], off offset:4
	s_wait_loadcnt 0x0
	v_and_b32_e32 v30, 0xff, v10
.LBB237_11:
	s_or_b32 exec_lo, exec_lo, s2
	v_add_nc_u32_e32 v11, 5, v6
	;; [unrolled: 25-line block ×9, first 2 shown]
	v_mov_b32_e32 v53, 0xff
	s_mov_b32 s2, exec_lo
	s_delay_alu instid0(VALU_DEP_2)
	v_cmpx_gt_u32_e64 s18, v25
	s_cbranch_execz .LBB237_41
; %bb.40:
	global_load_u8 v23, v[2:3], off offset:19
	s_wait_loadcnt 0x0
	v_and_b32_e32 v53, 0xff, v23
.LBB237_41:
	s_or_b32 exec_lo, exec_lo, s2
	v_dual_mov_b32 v25, 0xff :: v_dual_add_nc_u32 v26, 20, v6
	v_mov_b32_e32 v54, 0xff
	s_delay_alu instid0(VALU_DEP_2)
	v_cmp_gt_u32_e32 vcc_lo, s18, v26
	v_mov_b32_e32 v26, 0xff
	s_and_saveexec_b32 s2, vcc_lo
	s_cbranch_execz .LBB237_43
; %bb.42:
	global_load_u8 v26, v[2:3], off offset:20
	s_wait_loadcnt 0x0
	v_and_b32_e32 v54, 0xff, v26
.LBB237_43:
	s_or_b32 exec_lo, exec_lo, s2
	v_dual_mov_b32 v55, 0xff :: v_dual_add_nc_u32 v38, 21, v6
	s_mov_b32 s2, exec_lo
	s_delay_alu instid0(VALU_DEP_1)
	v_cmpx_gt_u32_e64 s18, v38
	s_cbranch_execz .LBB237_45
; %bb.44:
	global_load_u8 v25, v[2:3], off offset:21
	s_wait_loadcnt 0x0
	v_and_b32_e32 v55, 0xff, v25
.LBB237_45:
	s_or_b32 exec_lo, exec_lo, s2
	v_dual_lshrrev_b32 v2, s16, v4 :: v_dual_mov_b32 v38, 0
	s_lshl_b32 s23, -1, s17
	v_lshrrev_b32_e32 v40, s16, v27
	s_mov_b32 s7, exec_lo
	s_delay_alu instid0(VALU_DEP_2) | instskip(NEXT) | instid1(VALU_DEP_1)
	v_bitop3_b32 v2, v2, s23, v2 bitop3:0x30
	v_dual_lshlrev_b32 v3, 10, v2 :: v_dual_lshrrev_b32 v2, 2, v2
	v_lshlrev_b32_e32 v4, 2, v0
	s_delay_alu instid0(VALU_DEP_2) | instskip(NEXT) | instid1(VALU_DEP_3)
	v_and_or_b32 v3, 0x1c00, v3, v0
	v_and_b32_e32 v2, 62, v2
	ds_store_2addr_stride64_b32 v4, v38, v38 offset1:16
	ds_store_2addr_stride64_b32 v4, v38, v38 offset0:32 offset1:48
	ds_store_2addr_stride64_b32 v4, v38, v38 offset0:64 offset1:80
	;; [unrolled: 1-line block ×3, first 2 shown]
	v_lshl_add_u32 v2, v3, 2, v2
	v_bitop3_b32 v3, v40, s23, v40 bitop3:0x30
	ds_load_u16 v27, v2
	v_dual_lshlrev_b32 v4, 10, v3 :: v_dual_lshrrev_b32 v3, 2, v3
	s_delay_alu instid0(VALU_DEP_1) | instskip(NEXT) | instid1(VALU_DEP_2)
	v_and_or_b32 v4, 0x1c00, v4, v0
	v_and_b32_e32 v3, 62, v3
	s_delay_alu instid0(VALU_DEP_1) | instskip(SKIP_1) | instid1(VALU_DEP_1)
	v_lshl_add_u32 v3, v4, 2, v3
	v_lshrrev_b32_e32 v4, s16, v28
	v_bitop3_b32 v4, v4, s23, v4 bitop3:0x30
	s_wait_dscnt 0x0
	v_add_nc_u16 v38, v27, 1
	ds_store_b16 v2, v38
	ds_load_u16 v28, v3
	v_dual_lshlrev_b32 v38, 10, v4 :: v_dual_lshrrev_b32 v4, 2, v4
	s_delay_alu instid0(VALU_DEP_1) | instskip(NEXT) | instid1(VALU_DEP_2)
	v_and_or_b32 v38, 0x1c00, v38, v0
	v_and_b32_e32 v4, 62, v4
	s_delay_alu instid0(VALU_DEP_1) | instskip(SKIP_1) | instid1(VALU_DEP_1)
	v_lshl_add_u32 v4, v38, 2, v4
	v_lshrrev_b32_e32 v38, s16, v29
	v_bitop3_b32 v38, v38, s23, v38 bitop3:0x30
	s_wait_dscnt 0x0
	v_add_nc_u16 v40, v28, 1
	ds_store_b16 v3, v40
	;; [unrolled: 12-line block ×20, first 2 shown]
	ds_load_u16 v55, v66
	v_dual_lshlrev_b32 v67, 10, v59 :: v_dual_lshrrev_b32 v59, 2, v59
	s_delay_alu instid0(VALU_DEP_1) | instskip(NEXT) | instid1(VALU_DEP_2)
	v_and_or_b32 v67, 0x1c00, v67, v0
	v_and_b32_e32 v59, 62, v59
	s_delay_alu instid0(VALU_DEP_1)
	v_lshl_add_u32 v67, v67, 2, v59
	s_wait_dscnt 0x0
	v_add_nc_u16 v68, v55, 1
	ds_store_b16 v66, v68
	ds_load_u16 v59, v67
	v_lshlrev_b32_e32 v68, 5, v0
	s_wait_dscnt 0x0
	v_add_nc_u16 v69, v59, 1
	ds_store_b16 v67, v69
	s_wait_dscnt 0x0
	s_barrier_signal -1
	s_barrier_wait -1
	ds_load_2addr_b64 v[70:73], v68 offset1:1
	ds_load_2addr_b64 v[74:77], v68 offset0:2 offset1:3
	s_wait_dscnt 0x1
	v_add_nc_u32_e32 v69, v71, v70
	s_delay_alu instid0(VALU_DEP_1) | instskip(SKIP_2) | instid1(VALU_DEP_2)
	v_add3_u32 v69, v69, v72, v73
	v_and_b32_e32 v73, 31, v0
	s_wait_dscnt 0x0
	v_add3_u32 v70, v69, v74, v75
	v_mbcnt_lo_u32_b32 v69, -1, 0
	s_delay_alu instid0(VALU_DEP_2) | instskip(NEXT) | instid1(VALU_DEP_2)
	v_add3_u32 v70, v70, v76, v77
	v_and_b32_e32 v71, 15, v69
	v_and_b32_e32 v74, 16, v69
	s_delay_alu instid0(VALU_DEP_3) | instskip(NEXT) | instid1(VALU_DEP_3)
	v_mov_b32_dpp v72, v70 row_shr:1 row_mask:0xf bank_mask:0xf
	v_cmp_eq_u32_e32 vcc_lo, 0, v71
	v_cmp_lt_u32_e64 s2, 1, v71
	v_cmp_lt_u32_e64 s3, 3, v71
	;; [unrolled: 1-line block ×3, first 2 shown]
	v_cmp_eq_u32_e64 s5, 0, v74
	v_cndmask_b32_e64 v72, v72, 0, vcc_lo
	s_delay_alu instid0(VALU_DEP_1) | instskip(NEXT) | instid1(VALU_DEP_1)
	v_add_nc_u32_e32 v70, v72, v70
	v_mov_b32_dpp v72, v70 row_shr:2 row_mask:0xf bank_mask:0xf
	s_delay_alu instid0(VALU_DEP_1) | instskip(NEXT) | instid1(VALU_DEP_1)
	v_cndmask_b32_e64 v72, 0, v72, s2
	v_add_nc_u32_e32 v70, v70, v72
	s_delay_alu instid0(VALU_DEP_1) | instskip(NEXT) | instid1(VALU_DEP_1)
	v_mov_b32_dpp v72, v70 row_shr:4 row_mask:0xf bank_mask:0xf
	v_cndmask_b32_e64 v72, 0, v72, s3
	s_delay_alu instid0(VALU_DEP_1) | instskip(NEXT) | instid1(VALU_DEP_1)
	v_add_nc_u32_e32 v70, v70, v72
	v_mov_b32_dpp v72, v70 row_shr:8 row_mask:0xf bank_mask:0xf
	s_delay_alu instid0(VALU_DEP_1) | instskip(SKIP_1) | instid1(VALU_DEP_2)
	v_cndmask_b32_e64 v71, 0, v72, s4
	v_bfe_i32 v72, v69, 4, 1
	v_add_nc_u32_e32 v70, v70, v71
	ds_swizzle_b32 v71, v70 offset:swizzle(BROADCAST,32,15)
	s_wait_dscnt 0x0
	v_dual_lshrrev_b32 v72, 5, v0 :: v_dual_bitop2_b32 v71, v72, v71 bitop3:0x40
	s_delay_alu instid0(VALU_DEP_1)
	v_dual_add_nc_u32 v70, v70, v71 :: v_dual_lshlrev_b32 v71, 2, v72
	v_cmpx_eq_u32_e32 31, v73
; %bb.46:
	ds_store_b32 v71, v70 offset:32768
; %bb.47:
	s_or_b32 exec_lo, exec_lo, s7
	v_cmp_lt_u32_e64 s6, 31, v0
	s_mov_b32 s24, exec_lo
	s_wait_dscnt 0x0
	s_barrier_signal -1
	s_barrier_wait -1
	v_cmpx_gt_u32_e32 32, v0
	s_cbranch_execz .LBB237_49
; %bb.48:
	v_mad_i32_i24 v72, 0xffffffe4, v0, v68
	ds_load_b32 v73, v72 offset:32768
	s_wait_dscnt 0x0
	v_mov_b32_dpp v74, v73 row_shr:1 row_mask:0xf bank_mask:0xf
	s_delay_alu instid0(VALU_DEP_1) | instskip(NEXT) | instid1(VALU_DEP_1)
	v_cndmask_b32_e64 v74, v74, 0, vcc_lo
	v_add_nc_u32_e32 v73, v74, v73
	s_delay_alu instid0(VALU_DEP_1) | instskip(NEXT) | instid1(VALU_DEP_1)
	v_mov_b32_dpp v74, v73 row_shr:2 row_mask:0xf bank_mask:0xf
	v_cndmask_b32_e64 v74, 0, v74, s2
	s_delay_alu instid0(VALU_DEP_1) | instskip(NEXT) | instid1(VALU_DEP_1)
	v_add_nc_u32_e32 v73, v73, v74
	v_mov_b32_dpp v74, v73 row_shr:4 row_mask:0xf bank_mask:0xf
	s_delay_alu instid0(VALU_DEP_1) | instskip(NEXT) | instid1(VALU_DEP_1)
	v_cndmask_b32_e64 v74, 0, v74, s3
	v_add_nc_u32_e32 v73, v73, v74
	s_delay_alu instid0(VALU_DEP_1) | instskip(NEXT) | instid1(VALU_DEP_1)
	v_mov_b32_dpp v74, v73 row_shr:8 row_mask:0xf bank_mask:0xf
	v_cndmask_b32_e64 v74, 0, v74, s4
	s_delay_alu instid0(VALU_DEP_1) | instskip(SKIP_3) | instid1(VALU_DEP_1)
	v_add_nc_u32_e32 v73, v73, v74
	ds_swizzle_b32 v74, v73 offset:swizzle(BROADCAST,32,15)
	s_wait_dscnt 0x0
	v_cndmask_b32_e64 v74, v74, 0, s5
	v_add_nc_u32_e32 v73, v73, v74
	ds_store_b32 v72, v73 offset:32768
.LBB237_49:
	s_or_b32 exec_lo, exec_lo, s24
	v_dual_mov_b32 v73, 0 :: v_dual_mov_b32 v72, 0
	s_wait_dscnt 0x0
	s_barrier_signal -1
	s_barrier_wait -1
	s_and_saveexec_b32 s2, s6
; %bb.50:
	ds_load_b32 v72, v71 offset:32764
; %bb.51:
	s_or_b32 exec_lo, exec_lo, s2
	v_sub_co_u32 v71, vcc_lo, v69, 1
	s_wait_dscnt 0x0
	v_add_nc_u32_e32 v70, v72, v70
	s_delay_alu instid0(VALU_DEP_2) | instskip(NEXT) | instid1(VALU_DEP_1)
	v_cmp_gt_i32_e64 s2, 0, v71
	v_cndmask_b32_e64 v69, v71, v69, s2
	v_cmp_gt_u32_e64 s2, 16, v0
	s_delay_alu instid0(VALU_DEP_2)
	v_lshlrev_b32_e32 v69, 2, v69
	ds_bpermute_b32 v69, v69, v70
	ds_load_b32 v70, v73 offset:32892
	ds_load_2addr_b64 v[74:77], v68 offset1:1
	ds_load_b32 v78, v68 offset:24
	s_wait_dscnt 0x3
	v_cndmask_b32_e32 v69, v69, v72, vcc_lo
	ds_load_b64 v[72:73], v68 offset:16
	v_cmp_lt_u32_e32 vcc_lo, 15, v0
	s_wait_dscnt 0x3
	v_lshl_add_u32 v70, v70, 16, v69
	s_wait_dscnt 0x2
	s_delay_alu instid0(VALU_DEP_1) | instskip(NEXT) | instid1(VALU_DEP_1)
	v_add_nc_u32_e32 v71, v70, v74
	v_add_nc_u32_e32 v74, v75, v71
	s_delay_alu instid0(VALU_DEP_1) | instskip(NEXT) | instid1(VALU_DEP_1)
	v_add_nc_u32_e32 v75, v76, v74
	v_add_nc_u32_e32 v76, v77, v75
	s_wait_dscnt 0x0
	s_delay_alu instid0(VALU_DEP_1) | instskip(NEXT) | instid1(VALU_DEP_1)
	v_add_nc_u32_e32 v77, v72, v76
	v_add_nc_u32_e32 v72, v73, v77
	s_delay_alu instid0(VALU_DEP_1)
	v_add_nc_u32_e32 v73, v78, v72
	ds_store_2addr_b64 v68, v[70:71], v[74:75] offset1:1
	ds_store_2addr_b64 v68, v[76:77], v[72:73] offset0:2 offset1:3
	s_wait_dscnt 0x0
	s_barrier_signal -1
	s_barrier_wait -1
	ds_load_u16 v68, v2
	ds_load_u16 v69, v3
	;; [unrolled: 1-line block ×22, first 2 shown]
	v_mov_b64_e32 v[2:3], 0
                                        ; implicit-def: $vgpr4
	s_and_saveexec_b32 s4, s2
	s_cbranch_execz .LBB237_55
; %bb.52:
	v_dual_lshlrev_b32 v2, 12, v0 :: v_dual_lshrrev_b32 v3, 2, v0
	v_add_nc_u32_e32 v4, 1, v0
	s_mov_b32 s5, exec_lo
	s_delay_alu instid0(VALU_DEP_2)
	v_bitop3_b32 v2, v2, 0x70fe, v3 bitop3:0xc8
	v_mov_b32_e32 v3, 0x5800
	ds_load_u16 v2, v2
	v_cmpx_ne_u32_e32 16, v4
; %bb.53:
	v_dual_lshlrev_b32 v3, 12, v4 :: v_dual_lshrrev_b32 v4, 2, v4
	s_delay_alu instid0(VALU_DEP_1)
	v_bitop3_b32 v3, v3, 0x71fe, v4 bitop3:0xc8
	ds_load_u16 v3, v3
; %bb.54:
	s_or_b32 exec_lo, exec_lo, s5
	s_wait_dscnt 0x0
	v_and_b32_e32 v2, 0xffff, v2
	s_mov_b32 s3, 0
	s_delay_alu instid0(VALU_DEP_1) | instid1(SALU_CYCLE_1)
	v_dual_mov_b32 v3, s3 :: v_dual_sub_nc_u32 v4, v3, v2
.LBB237_55:
	s_or_b32 exec_lo, exec_lo, s4
	s_wait_dscnt 0x15
	v_and_b32_e32 v68, 0xffff, v68
	v_and_b32_e32 v27, 0xffff, v27
	s_wait_dscnt 0x14
	v_and_b32_e32 v69, 0xffff, v69
	v_and_b32_e32 v28, 0xffff, v28
	;; [unrolled: 3-line block ×4, first 2 shown]
	v_dual_add_nc_u32 v27, v68, v27 :: v_dual_add_nc_u32 v28, v69, v28
	s_wait_dscnt 0x11
	v_and_b32_e32 v40, 0xffff, v40
	v_and_b32_e32 v31, 0xffff, v31
	s_wait_dscnt 0x10
	v_and_b32_e32 v42, 0xffff, v42
	v_and_b32_e32 v32, 0xffff, v32
	v_add_nc_u32_e32 v29, v70, v29
	s_wait_dscnt 0xf
	v_and_b32_e32 v44, 0xffff, v44
	v_and_b32_e32 v33, 0xffff, v33
	s_wait_dscnt 0xe
	v_and_b32_e32 v46, 0xffff, v46
	v_and_b32_e32 v34, 0xffff, v34
	;; [unrolled: 3-line block ×3, first 2 shown]
	s_wait_dscnt 0x0
	s_barrier_signal -1
	s_barrier_wait -1
	ds_store_b8 v27, v5 offset:128
	ds_store_b8 v28, v1 offset:128
	;; [unrolled: 1-line block ×3, first 2 shown]
	v_dual_add_nc_u32 v1, v38, v30 :: v_dual_add_nc_u32 v27, v44, v33
	v_and_b32_e32 v50, 0xffff, v50
	v_and_b32_e32 v36, 0xffff, v36
	v_add_nc_u32_e32 v5, v40, v31
	v_and_b32_e32 v52, 0xffff, v52
	v_and_b32_e32 v37, 0xffff, v37
	v_add_nc_u32_e32 v8, v42, v32
	v_and_b32_e32 v56, 0xffff, v56
	v_and_b32_e32 v39, 0xffff, v39
	;; [unrolled: 1-line block ×4, first 2 shown]
	v_add_nc_u32_e32 v28, v46, v34
	v_and_b32_e32 v58, 0xffff, v58
	v_and_b32_e32 v43, 0xffff, v43
	ds_store_b8 v1, v7 offset:128
	ds_store_b8 v5, v10 offset:128
	;; [unrolled: 1-line block ×5, first 2 shown]
	v_add_nc_u32_e32 v1, v48, v35
	v_and_b32_e32 v60, 0xffff, v60
	v_and_b32_e32 v45, 0xffff, v45
	v_dual_add_nc_u32 v5, v50, v36 :: v_dual_add_nc_u32 v8, v56, v39
	v_and_b32_e32 v61, 0xffff, v61
	v_and_b32_e32 v47, 0xffff, v47
	v_add_nc_u32_e32 v7, v52, v37
	v_and_b32_e32 v62, 0xffff, v62
	v_and_b32_e32 v49, 0xffff, v49
	;; [unrolled: 1-line block ×4, first 2 shown]
	v_add_nc_u32_e32 v9, v57, v41
	ds_store_b8 v1, v14 offset:128
	ds_store_b8 v5, v13 offset:128
	;; [unrolled: 1-line block ×5, first 2 shown]
	v_dual_add_nc_u32 v1, v58, v43 :: v_dual_add_nc_u32 v5, v60, v45
	v_dual_add_nc_u32 v7, v61, v47 :: v_dual_add_nc_u32 v8, v62, v49
	v_add_nc_u32_e32 v9, v63, v51
	v_and_b32_e32 v64, 0xffff, v64
	v_and_b32_e32 v67, 0xffff, v67
	;; [unrolled: 1-line block ×4, first 2 shown]
	ds_store_b8 v1, v17 offset:128
	ds_store_b8 v5, v20 offset:128
	ds_store_b8 v7, v19 offset:128
	ds_store_b8 v8, v22 offset:128
	ds_store_b8 v9, v21 offset:128
	v_mov_b32_e32 v9, 0
	v_and_b32_e32 v65, 0xffff, v65
	v_and_b32_e32 v54, 0xffff, v54
	;; [unrolled: 1-line block ×4, first 2 shown]
	v_dual_add_nc_u32 v7, v64, v53 :: v_dual_add_nc_u32 v11, v67, v59
	v_dual_mov_b32 v1, v9 :: v_dual_lshlrev_b32 v5, 3, v0
	s_delay_alu instid0(VALU_DEP_3)
	v_dual_add_nc_u32 v8, v65, v54 :: v_dual_add_nc_u32 v10, v66, v55
	s_not_b32 s3, s23
	ds_store_b8 v7, v24 offset:128
	ds_store_b8 v8, v23 offset:128
	;; [unrolled: 1-line block ×4, first 2 shown]
	s_and_saveexec_b32 s4, s2
	s_cbranch_execz .LBB237_65
; %bb.56:
	v_lshl_add_u32 v8, s19, 4, v0
	v_dual_mov_b32 v12, 0 :: v_dual_bitop2_b32 v7, 2.0, v4 bitop3:0x54
	s_mov_b32 s5, 0
	s_mov_b32 s6, s19
	s_delay_alu instid0(VALU_DEP_2)
	v_lshl_add_u64 v[10:11], v[8:9], 2, s[20:21]
	global_store_b32 v8, v7, s[20:21] scale_offset scope:SCOPE_DEV
                                        ; implicit-def: $sgpr2
	s_branch .LBB237_59
.LBB237_57:                             ;   in Loop: Header=BB237_59 Depth=1
	s_or_b32 exec_lo, exec_lo, s23
.LBB237_58:                             ;   in Loop: Header=BB237_59 Depth=1
	s_delay_alu instid0(SALU_CYCLE_1) | instskip(SKIP_2) | instid1(VALU_DEP_2)
	s_or_b32 exec_lo, exec_lo, s7
	v_and_b32_e32 v8, 0x3fffffff, v7
	v_cmp_gt_i32_e64 s2, -2.0, v7
	v_add_nc_u32_e32 v12, v8, v12
	s_and_b32 s7, exec_lo, s2
	s_delay_alu instid0(SALU_CYCLE_1) | instskip(NEXT) | instid1(SALU_CYCLE_1)
	s_or_b32 s5, s7, s5
	s_and_not1_b32 exec_lo, exec_lo, s5
	s_cbranch_execz .LBB237_64
.LBB237_59:                             ; =>This Loop Header: Depth=1
                                        ;     Child Loop BB237_62 Depth 2
	s_or_b32 s2, s2, exec_lo
	s_cmp_eq_u32 s6, 0
	s_cbranch_scc1 .LBB237_63
; %bb.60:                               ;   in Loop: Header=BB237_59 Depth=1
	s_add_co_i32 s6, s6, -1
	s_mov_b32 s7, exec_lo
	s_wait_xcnt 0x0
	v_lshl_or_b32 v8, s6, 4, v0
	global_load_b32 v7, v8, s[20:21] scale_offset scope:SCOPE_DEV
	s_wait_loadcnt 0x0
	v_cmpx_gt_u32_e32 2.0, v7
	s_cbranch_execz .LBB237_58
; %bb.61:                               ;   in Loop: Header=BB237_59 Depth=1
	v_lshl_add_u64 v[14:15], v[8:9], 2, s[20:21]
	s_mov_b32 s23, 0
.LBB237_62:                             ;   Parent Loop BB237_59 Depth=1
                                        ; =>  This Inner Loop Header: Depth=2
	global_load_b32 v7, v[14:15], off scope:SCOPE_DEV
	s_wait_loadcnt 0x0
	v_cmp_lt_u32_e64 s2, 0x3fffffff, v7
	s_or_b32 s23, s2, s23
	s_wait_xcnt 0x0
	s_and_not1_b32 exec_lo, exec_lo, s23
	s_cbranch_execnz .LBB237_62
	s_branch .LBB237_57
.LBB237_63:                             ;   in Loop: Header=BB237_59 Depth=1
                                        ; implicit-def: $sgpr6
	s_and_b32 s7, exec_lo, s2
	s_delay_alu instid0(SALU_CYCLE_1)
	s_or_b32 s5, s7, s5
	s_wait_xcnt 0x0
	s_and_not1_b32 exec_lo, exec_lo, s5
	s_cbranch_execnz .LBB237_59
.LBB237_64:
	s_or_b32 exec_lo, exec_lo, s5
	v_dual_add_nc_u32 v7, v12, v4 :: v_dual_mov_b32 v13, 0
	s_delay_alu instid0(VALU_DEP_1)
	v_or_b32_e32 v7, 0x80000000, v7
	global_store_b32 v[10:11], v7, off scope:SCOPE_DEV
	global_load_b64 v[8:9], v0, s[8:9] scale_offset
	s_wait_xcnt 0x1
	v_sub_nc_u64_e32 v[10:11], v[12:13], v[2:3]
	s_wait_loadcnt 0x0
	s_delay_alu instid0(VALU_DEP_1)
	v_add_nc_u64_e32 v[8:9], v[10:11], v[8:9]
	ds_store_b64 v5, v[8:9]
.LBB237_65:
	s_wait_xcnt 0x0
	s_or_b32 exec_lo, exec_lo, s4
	s_delay_alu instid0(SALU_CYCLE_1)
	s_mov_b32 s4, exec_lo
	s_wait_storecnt_dscnt 0x0
	s_barrier_signal -1
	s_barrier_wait -1
	v_cmpx_gt_u32_e64 s18, v0
	s_cbranch_execz .LBB237_67
; %bb.66:
	ds_load_u8 v7, v0 offset:128
	s_wait_dscnt 0x0
	v_and_b32_e32 v8, 0xff, v7
	s_delay_alu instid0(VALU_DEP_1) | instskip(NEXT) | instid1(VALU_DEP_1)
	v_lshrrev_b32_e32 v8, s16, v8
	v_and_b32_e32 v8, s3, v8
	s_delay_alu instid0(VALU_DEP_1) | instskip(SKIP_3) | instid1(VALU_DEP_1)
	v_lshlrev_b32_e32 v8, 3, v8
	ds_load_b64 v[8:9], v8
	s_wait_dscnt 0x0
	v_add_nc_u64_e32 v[8:9], s[14:15], v[8:9]
	v_add_nc_u64_e32 v[8:9], v[8:9], v[0:1]
	global_store_b8 v[8:9], v7, off
.LBB237_67:
	s_wait_xcnt 0x0
	s_or_b32 exec_lo, exec_lo, s4
	v_or_b32_e32 v7, 0x400, v0
	s_mov_b32 s4, exec_lo
	s_delay_alu instid0(VALU_DEP_1)
	v_cmpx_gt_u32_e64 s18, v7
	s_cbranch_execz .LBB237_69
; %bb.68:
	ds_load_u8 v7, v0 offset:1152
	s_wait_dscnt 0x0
	v_and_b32_e32 v8, 0xff, v7
	s_delay_alu instid0(VALU_DEP_1) | instskip(NEXT) | instid1(VALU_DEP_1)
	v_lshrrev_b32_e32 v8, s16, v8
	v_and_b32_e32 v8, s3, v8
	s_delay_alu instid0(VALU_DEP_1) | instskip(SKIP_3) | instid1(VALU_DEP_1)
	v_lshlrev_b32_e32 v8, 3, v8
	ds_load_b64 v[8:9], v8
	s_wait_dscnt 0x0
	v_add_nc_u64_e32 v[8:9], s[14:15], v[8:9]
	v_add_nc_u64_e32 v[8:9], v[8:9], v[0:1]
	global_store_b8 v[8:9], v7, off offset:1024
.LBB237_69:
	s_wait_xcnt 0x0
	s_or_b32 exec_lo, exec_lo, s4
	v_or_b32_e32 v7, 0x800, v0
	s_mov_b32 s4, exec_lo
	s_delay_alu instid0(VALU_DEP_1)
	v_cmpx_gt_u32_e64 s18, v7
	s_cbranch_execz .LBB237_71
; %bb.70:
	ds_load_u8 v7, v0 offset:2176
	s_wait_dscnt 0x0
	v_and_b32_e32 v8, 0xff, v7
	s_delay_alu instid0(VALU_DEP_1) | instskip(NEXT) | instid1(VALU_DEP_1)
	v_lshrrev_b32_e32 v8, s16, v8
	v_and_b32_e32 v8, s3, v8
	s_delay_alu instid0(VALU_DEP_1) | instskip(SKIP_3) | instid1(VALU_DEP_1)
	v_lshlrev_b32_e32 v8, 3, v8
	ds_load_b64 v[8:9], v8
	s_wait_dscnt 0x0
	v_add_nc_u64_e32 v[8:9], s[14:15], v[8:9]
	v_add_nc_u64_e32 v[8:9], v[8:9], v[0:1]
	global_store_b8 v[8:9], v7, off offset:2048
.LBB237_71:
	;; [unrolled: 22-line block ×21, first 2 shown]
	s_wait_xcnt 0x0
	s_or_b32 exec_lo, exec_lo, s4
	s_load_b32 s2, s[0:1], 0x58
	s_wait_kmcnt 0x0
	s_add_co_i32 s2, s2, -1
	s_delay_alu instid0(SALU_CYCLE_1) | instskip(SKIP_2) | instid1(SALU_CYCLE_1)
	s_cmp_eq_u32 s19, s2
	s_cselect_b32 s2, -1, 0
	s_xor_b32 s3, vcc_lo, -1
	s_and_b32 s3, s3, s2
	s_delay_alu instid0(SALU_CYCLE_1)
	s_and_saveexec_b32 s2, s3
	s_cbranch_execz .LBB237_111
; %bb.110:
	ds_load_b64 v[8:9], v5
	v_mov_b32_e32 v5, 0
	s_delay_alu instid0(VALU_DEP_1) | instskip(SKIP_1) | instid1(VALU_DEP_1)
	v_add_nc_u64_e32 v[2:3], v[2:3], v[4:5]
	s_wait_dscnt 0x0
	v_add_nc_u64_e32 v[2:3], v[2:3], v[8:9]
	global_store_b64 v0, v[2:3], s[10:11] scale_offset
.LBB237_111:
	s_wait_xcnt 0x0
	s_or_b32 exec_lo, exec_lo, s2
	s_mov_b32 s2, 0
.LBB237_112:
	s_delay_alu instid0(SALU_CYCLE_1)
	s_and_b32 vcc_lo, exec_lo, s2
	s_cbranch_vccz .LBB237_135
; %bb.113:
	s_mov_b32 s23, 0
	s_mov_b32 s7, exec_lo
	s_add_nc_u64 s[2:3], s[12:13], s[22:23]
	s_lshl_b32 s12, -1, s17
	s_clause 0x2
	global_load_b128 v[2:5], v6, s[2:3]
	global_load_b32 v8, v6, s[2:3] offset:16
	global_load_u16 v11, v6, s[2:3] offset:20
	v_lshlrev_b32_e32 v7, 2, v0
	s_wait_loadcnt 0x2
	v_and_b32_e32 v1, 0xff, v2
	v_bfe_u32 v10, v2, 8, 8
	v_bfe_u32 v18, v3, 8, 8
	v_and_b32_e32 v13, 0xff, v3
	v_bfe_u32 v20, v3, 16, 8
	v_lshrrev_b32_e32 v1, s16, v1
	v_and_b32_e32 v23, 0xff, v4
	v_and_b32_e32 v30, 0xff, v5
	s_wait_loadcnt 0x1
	v_and_b32_e32 v40, 0xff, v8
	v_bitop3_b32 v1, v1, s12, v1 bitop3:0x30
	s_wait_xcnt 0x0
	s_delay_alu instid0(VALU_DEP_1) | instskip(SKIP_1) | instid1(VALU_DEP_2)
	v_dual_lshlrev_b32 v6, 10, v1 :: v_dual_lshrrev_b32 v1, 2, v1
	v_mov_b32_e32 v9, 0
	v_and_or_b32 v6, 0x1c00, v6, v0
	s_delay_alu instid0(VALU_DEP_3)
	v_and_b32_e32 v1, 62, v1
	ds_store_2addr_stride64_b32 v7, v9, v9 offset1:16
	ds_store_2addr_stride64_b32 v7, v9, v9 offset0:32 offset1:48
	ds_store_2addr_stride64_b32 v7, v9, v9 offset0:64 offset1:80
	;; [unrolled: 1-line block ×3, first 2 shown]
	v_bfe_u32 v9, v2, 16, 8
	v_lshl_add_u32 v6, v6, 2, v1
	v_lshrrev_b32_e32 v1, s16, v10
	ds_load_u16 v14, v6
	v_bitop3_b32 v1, v1, s12, v1 bitop3:0x30
	s_delay_alu instid0(VALU_DEP_1) | instskip(NEXT) | instid1(VALU_DEP_1)
	v_dual_lshlrev_b32 v7, 10, v1 :: v_dual_lshrrev_b32 v1, 2, v1
	v_and_or_b32 v7, 0x1c00, v7, v0
	s_delay_alu instid0(VALU_DEP_2) | instskip(NEXT) | instid1(VALU_DEP_1)
	v_and_b32_e32 v1, 62, v1
	v_lshl_add_u32 v7, v7, 2, v1
	v_lshrrev_b32_e32 v1, s16, v9
	s_wait_dscnt 0x0
	v_add_nc_u16 v10, v14, 1
	s_delay_alu instid0(VALU_DEP_2) | instskip(SKIP_3) | instid1(VALU_DEP_1)
	v_bitop3_b32 v1, v1, s12, v1 bitop3:0x30
	ds_store_b16 v6, v10
	ds_load_u16 v15, v7
	v_dual_lshlrev_b32 v9, 10, v1 :: v_dual_lshrrev_b32 v1, 2, v1
	v_and_or_b32 v9, 0x1c00, v9, v0
	s_delay_alu instid0(VALU_DEP_2) | instskip(NEXT) | instid1(VALU_DEP_1)
	v_dual_lshrrev_b32 v1, 24, v2 :: v_dual_bitop2_b32 v10, 62, v1 bitop3:0x40
	v_lshl_add_u32 v10, v9, 2, v10
	s_delay_alu instid0(VALU_DEP_2) | instskip(NEXT) | instid1(VALU_DEP_1)
	v_lshrrev_b32_e32 v9, s16, v1
	v_bitop3_b32 v9, v9, s12, v9 bitop3:0x30
	s_wait_dscnt 0x0
	v_add_nc_u16 v12, v15, 1
	ds_store_b16 v7, v12
	ds_load_u16 v16, v10
	v_dual_lshlrev_b32 v12, 10, v9 :: v_dual_lshrrev_b32 v9, 2, v9
	s_delay_alu instid0(VALU_DEP_1) | instskip(NEXT) | instid1(VALU_DEP_2)
	v_and_or_b32 v12, 0x1c00, v12, v0
	v_and_b32_e32 v9, 62, v9
	s_delay_alu instid0(VALU_DEP_1) | instskip(SKIP_1) | instid1(VALU_DEP_1)
	v_lshl_add_u32 v12, v12, 2, v9
	v_lshrrev_b32_e32 v9, s16, v13
	v_bitop3_b32 v9, v9, s12, v9 bitop3:0x30
	s_wait_dscnt 0x0
	v_add_nc_u16 v17, v16, 1
	s_delay_alu instid0(VALU_DEP_2) | instskip(SKIP_4) | instid1(VALU_DEP_1)
	v_dual_lshlrev_b32 v13, 10, v9 :: v_dual_lshrrev_b32 v9, 2, v9
	ds_store_b16 v10, v17
	ds_load_u16 v17, v12
	v_and_or_b32 v13, 0x1c00, v13, v0
	v_and_b32_e32 v9, 62, v9
	v_lshl_add_u32 v13, v13, 2, v9
	v_lshrrev_b32_e32 v9, s16, v18
	s_delay_alu instid0(VALU_DEP_1) | instskip(NEXT) | instid1(VALU_DEP_1)
	v_bitop3_b32 v9, v9, s12, v9 bitop3:0x30
	v_dual_lshlrev_b32 v18, 10, v9 :: v_dual_lshrrev_b32 v9, 2, v9
	s_wait_dscnt 0x0
	v_add_nc_u16 v19, v17, 1
	s_delay_alu instid0(VALU_DEP_2) | instskip(NEXT) | instid1(VALU_DEP_3)
	v_and_or_b32 v18, 0x1c00, v18, v0
	v_and_b32_e32 v9, 62, v9
	ds_store_b16 v12, v19
	ds_load_u16 v19, v13
	v_lshl_add_u32 v26, v18, 2, v9
	v_lshrrev_b32_e32 v9, s16, v20
	s_delay_alu instid0(VALU_DEP_1) | instskip(NEXT) | instid1(VALU_DEP_1)
	v_bitop3_b32 v9, v9, s12, v9 bitop3:0x30
	v_dual_lshlrev_b32 v18, 10, v9 :: v_dual_lshrrev_b32 v9, 2, v9
	s_delay_alu instid0(VALU_DEP_1)
	v_and_b32_e32 v9, 62, v9
	s_wait_dscnt 0x0
	v_add_nc_u16 v21, v19, 1
	ds_store_b16 v13, v21
	ds_load_u16 v20, v26
	v_and_or_b32 v21, 0x1c00, v18, v0
	v_lshrrev_b32_e32 v18, 24, v3
	s_delay_alu instid0(VALU_DEP_2) | instskip(NEXT) | instid1(VALU_DEP_2)
	v_lshl_add_u32 v28, v21, 2, v9
	v_lshrrev_b32_e32 v9, s16, v18
	s_delay_alu instid0(VALU_DEP_1)
	v_bitop3_b32 v9, v9, s12, v9 bitop3:0x30
	s_wait_dscnt 0x0
	v_add_nc_u16 v22, v20, 1
	ds_store_b16 v26, v22
	ds_load_u16 v21, v28
	v_dual_lshlrev_b32 v22, 10, v9 :: v_dual_lshrrev_b32 v9, 2, v9
	s_delay_alu instid0(VALU_DEP_1) | instskip(NEXT) | instid1(VALU_DEP_2)
	v_and_or_b32 v22, 0x1c00, v22, v0
	v_and_b32_e32 v9, 62, v9
	s_delay_alu instid0(VALU_DEP_1) | instskip(SKIP_1) | instid1(VALU_DEP_1)
	v_lshl_add_u32 v31, v22, 2, v9
	v_lshrrev_b32_e32 v9, s16, v23
	v_bitop3_b32 v9, v9, s12, v9 bitop3:0x30
	s_wait_dscnt 0x0
	v_add_nc_u16 v24, v21, 1
	s_delay_alu instid0(VALU_DEP_2)
	v_dual_lshlrev_b32 v23, 10, v9 :: v_dual_lshrrev_b32 v9, 2, v9
	ds_store_b16 v28, v24
	ds_load_u16 v22, v31
	v_bfe_u32 v24, v4, 8, 8
	v_and_or_b32 v23, 0x1c00, v23, v0
	v_and_b32_e32 v9, 62, v9
	s_delay_alu instid0(VALU_DEP_1) | instskip(NEXT) | instid1(VALU_DEP_4)
	v_lshl_add_u32 v33, v23, 2, v9
	v_lshrrev_b32_e32 v9, s16, v24
	s_delay_alu instid0(VALU_DEP_1) | instskip(NEXT) | instid1(VALU_DEP_1)
	v_bitop3_b32 v9, v9, s12, v9 bitop3:0x30
	v_dual_lshlrev_b32 v23, 10, v9 :: v_dual_lshrrev_b32 v9, 2, v9
	s_wait_dscnt 0x0
	v_add_nc_u16 v25, v22, 1
	s_delay_alu instid0(VALU_DEP_2) | instskip(NEXT) | instid1(VALU_DEP_3)
	v_and_or_b32 v23, 0x1c00, v23, v0
	v_and_b32_e32 v9, 62, v9
	ds_store_b16 v31, v25
	ds_load_u16 v24, v33
	v_bfe_u32 v25, v4, 16, 8
	v_lshl_add_u32 v35, v23, 2, v9
	s_delay_alu instid0(VALU_DEP_2) | instskip(NEXT) | instid1(VALU_DEP_1)
	v_lshrrev_b32_e32 v9, s16, v25
	v_bitop3_b32 v9, v9, s12, v9 bitop3:0x30
	s_delay_alu instid0(VALU_DEP_1) | instskip(SKIP_2) | instid1(VALU_DEP_2)
	v_dual_lshlrev_b32 v23, 10, v9 :: v_dual_lshrrev_b32 v9, 2, v9
	s_wait_dscnt 0x0
	v_add_nc_u16 v27, v24, 1
	v_and_b32_e32 v9, 62, v9
	ds_store_b16 v33, v27
	ds_load_u16 v25, v35
	v_and_or_b32 v27, 0x1c00, v23, v0
	v_lshrrev_b32_e32 v23, 24, v4
	s_delay_alu instid0(VALU_DEP_2) | instskip(NEXT) | instid1(VALU_DEP_2)
	v_lshl_add_u32 v37, v27, 2, v9
	v_lshrrev_b32_e32 v9, s16, v23
	s_delay_alu instid0(VALU_DEP_1)
	v_bitop3_b32 v9, v9, s12, v9 bitop3:0x30
	s_wait_dscnt 0x0
	v_add_nc_u16 v29, v25, 1
	ds_store_b16 v35, v29
	ds_load_u16 v27, v37
	v_dual_lshlrev_b32 v29, 10, v9 :: v_dual_lshrrev_b32 v9, 2, v9
	s_delay_alu instid0(VALU_DEP_1) | instskip(NEXT) | instid1(VALU_DEP_2)
	v_and_or_b32 v29, 0x1c00, v29, v0
	v_and_b32_e32 v9, 62, v9
	s_delay_alu instid0(VALU_DEP_1) | instskip(SKIP_1) | instid1(VALU_DEP_1)
	v_lshl_add_u32 v39, v29, 2, v9
	v_lshrrev_b32_e32 v9, s16, v30
	v_bitop3_b32 v9, v9, s12, v9 bitop3:0x30
	s_wait_dscnt 0x0
	v_add_nc_u16 v32, v27, 1
	s_delay_alu instid0(VALU_DEP_2)
	v_dual_lshlrev_b32 v29, 10, v9 :: v_dual_lshrrev_b32 v9, 2, v9
	ds_store_b16 v37, v32
	ds_load_u16 v30, v39
	v_bfe_u32 v32, v5, 8, 8
	v_and_or_b32 v29, 0x1c00, v29, v0
	v_and_b32_e32 v9, 62, v9
	s_delay_alu instid0(VALU_DEP_1) | instskip(NEXT) | instid1(VALU_DEP_4)
	v_lshl_add_u32 v41, v29, 2, v9
	v_lshrrev_b32_e32 v9, s16, v32
	s_delay_alu instid0(VALU_DEP_1) | instskip(NEXT) | instid1(VALU_DEP_1)
	v_bitop3_b32 v9, v9, s12, v9 bitop3:0x30
	v_dual_lshlrev_b32 v29, 10, v9 :: v_dual_lshrrev_b32 v9, 2, v9
	s_wait_dscnt 0x0
	v_add_nc_u16 v34, v30, 1
	s_delay_alu instid0(VALU_DEP_2) | instskip(NEXT) | instid1(VALU_DEP_3)
	v_and_or_b32 v29, 0x1c00, v29, v0
	v_and_b32_e32 v9, 62, v9
	ds_store_b16 v39, v34
	ds_load_u16 v32, v41
	v_bfe_u32 v34, v5, 16, 8
	v_lshl_add_u32 v44, v29, 2, v9
	s_delay_alu instid0(VALU_DEP_2) | instskip(NEXT) | instid1(VALU_DEP_1)
	v_lshrrev_b32_e32 v9, s16, v34
	v_bitop3_b32 v9, v9, s12, v9 bitop3:0x30
	s_delay_alu instid0(VALU_DEP_1) | instskip(SKIP_2) | instid1(VALU_DEP_2)
	v_dual_lshlrev_b32 v29, 10, v9 :: v_dual_lshrrev_b32 v9, 2, v9
	s_wait_dscnt 0x0
	v_add_nc_u16 v36, v32, 1
	v_and_b32_e32 v9, 62, v9
	ds_store_b16 v41, v36
	ds_load_u16 v34, v44
	v_and_or_b32 v36, 0x1c00, v29, v0
	v_lshrrev_b32_e32 v29, 24, v5
	s_delay_alu instid0(VALU_DEP_2) | instskip(NEXT) | instid1(VALU_DEP_2)
	v_lshl_add_u32 v45, v36, 2, v9
	v_lshrrev_b32_e32 v9, s16, v29
	s_delay_alu instid0(VALU_DEP_1)
	v_bitop3_b32 v9, v9, s12, v9 bitop3:0x30
	s_wait_dscnt 0x0
	v_add_nc_u16 v38, v34, 1
	ds_store_b16 v44, v38
	ds_load_u16 v36, v45
	v_dual_lshlrev_b32 v38, 10, v9 :: v_dual_lshrrev_b32 v9, 2, v9
	s_delay_alu instid0(VALU_DEP_1) | instskip(NEXT) | instid1(VALU_DEP_2)
	v_and_or_b32 v38, 0x1c00, v38, v0
	v_and_b32_e32 v9, 62, v9
	s_delay_alu instid0(VALU_DEP_1) | instskip(SKIP_1) | instid1(VALU_DEP_1)
	v_lshl_add_u32 v47, v38, 2, v9
	v_lshrrev_b32_e32 v9, s16, v40
	v_bitop3_b32 v9, v9, s12, v9 bitop3:0x30
	s_wait_dscnt 0x0
	v_add_nc_u16 v42, v36, 1
	s_delay_alu instid0(VALU_DEP_2)
	v_dual_lshlrev_b32 v40, 10, v9 :: v_dual_lshrrev_b32 v9, 2, v9
	ds_store_b16 v45, v42
	ds_load_u16 v38, v47
	v_bfe_u32 v42, v8, 8, 8
	v_and_or_b32 v40, 0x1c00, v40, v0
	v_and_b32_e32 v9, 62, v9
	s_delay_alu instid0(VALU_DEP_1) | instskip(NEXT) | instid1(VALU_DEP_4)
	v_lshl_add_u32 v50, v40, 2, v9
	v_lshrrev_b32_e32 v9, s16, v42
	s_delay_alu instid0(VALU_DEP_1) | instskip(NEXT) | instid1(VALU_DEP_1)
	v_bitop3_b32 v9, v9, s12, v9 bitop3:0x30
	v_dual_lshlrev_b32 v42, 10, v9 :: v_dual_lshrrev_b32 v9, 2, v9
	s_wait_dscnt 0x0
	v_add_nc_u16 v43, v38, 1
	s_delay_alu instid0(VALU_DEP_2) | instskip(NEXT) | instid1(VALU_DEP_3)
	v_and_or_b32 v42, 0x1c00, v42, v0
	v_and_b32_e32 v9, 62, v9
	ds_store_b16 v47, v43
	ds_load_u16 v40, v50
	v_bfe_u32 v43, v8, 16, 8
	v_lshl_add_u32 v52, v42, 2, v9
	s_delay_alu instid0(VALU_DEP_2) | instskip(NEXT) | instid1(VALU_DEP_1)
	v_lshrrev_b32_e32 v9, s16, v43
	v_bitop3_b32 v42, v9, s12, v9 bitop3:0x30
	s_wait_loadcnt 0x0
	v_and_b32_e32 v9, 0xffff, v11
	s_delay_alu instid0(VALU_DEP_1) | instskip(SKIP_2) | instid1(VALU_DEP_2)
	v_alignbit_b32 v48, v9, v8, 24
	s_wait_dscnt 0x0
	v_add_nc_u16 v46, v40, 1
	v_and_b32_e32 v48, 0xff, v48
	ds_store_b16 v50, v46
	ds_load_u16 v43, v52
	v_dual_lshlrev_b32 v46, 10, v42 :: v_dual_lshrrev_b32 v42, 2, v42
	s_delay_alu instid0(VALU_DEP_1) | instskip(NEXT) | instid1(VALU_DEP_2)
	v_and_or_b32 v46, 0x1c00, v46, v0
	v_and_b32_e32 v42, 62, v42
	s_delay_alu instid0(VALU_DEP_1) | instskip(SKIP_1) | instid1(VALU_DEP_1)
	v_lshl_add_u32 v53, v46, 2, v42
	v_lshrrev_b32_e32 v42, s16, v48
	v_bitop3_b32 v42, v42, s12, v42 bitop3:0x30
	s_wait_dscnt 0x0
	v_add_nc_u16 v49, v43, 1
	s_delay_alu instid0(VALU_DEP_2)
	v_dual_lshlrev_b32 v48, 10, v42 :: v_dual_lshrrev_b32 v42, 2, v42
	ds_store_b16 v52, v49
	ds_load_u16 v46, v53
	v_and_b32_e32 v49, 0xff, v9
	v_and_or_b32 v48, 0x1c00, v48, v0
	v_and_b32_e32 v42, 62, v42
	s_delay_alu instid0(VALU_DEP_1) | instskip(NEXT) | instid1(VALU_DEP_4)
	v_lshl_add_u32 v54, v48, 2, v42
	v_lshrrev_b32_e32 v42, s16, v49
	s_delay_alu instid0(VALU_DEP_1) | instskip(NEXT) | instid1(VALU_DEP_1)
	v_bitop3_b32 v42, v42, s12, v42 bitop3:0x30
	v_lshlrev_b32_e32 v49, 10, v42
	s_wait_dscnt 0x0
	v_add_nc_u16 v51, v46, 1
	v_lshrrev_b32_e32 v42, 2, v42
	s_delay_alu instid0(VALU_DEP_3) | instskip(SKIP_3) | instid1(VALU_DEP_1)
	v_and_or_b32 v49, 0x1c00, v49, v0
	ds_store_b16 v53, v51
	ds_load_u16 v48, v54
	v_dual_lshrrev_b32 v42, 8, v9 :: v_dual_bitop2_b32 v51, 62, v42 bitop3:0x40
	v_lshl_add_u32 v55, v49, 2, v51
	s_delay_alu instid0(VALU_DEP_2) | instskip(NEXT) | instid1(VALU_DEP_1)
	v_lshrrev_b32_e32 v51, s16, v42
	v_bitop3_b32 v51, v51, s12, v51 bitop3:0x30
	s_wait_dscnt 0x0
	v_add_nc_u16 v56, v48, 1
	ds_store_b16 v54, v56
	ds_load_u16 v49, v55
	v_dual_lshlrev_b32 v56, 10, v51 :: v_dual_lshrrev_b32 v51, 2, v51
	s_delay_alu instid0(VALU_DEP_1) | instskip(NEXT) | instid1(VALU_DEP_2)
	v_and_or_b32 v56, 0x1c00, v56, v0
	v_and_b32_e32 v51, 62, v51
	s_delay_alu instid0(VALU_DEP_1)
	v_lshl_add_u32 v56, v56, 2, v51
	s_wait_dscnt 0x0
	v_add_nc_u16 v57, v49, 1
	ds_store_b16 v55, v57
	ds_load_u16 v51, v56
	v_lshlrev_b32_e32 v57, 5, v0
	s_wait_dscnt 0x0
	v_add_nc_u16 v58, v51, 1
	ds_store_b16 v56, v58
	s_wait_storecnt_dscnt 0x0
	s_barrier_signal -1
	s_barrier_wait -1
	ds_load_2addr_b64 v[58:61], v57 offset1:1
	ds_load_2addr_b64 v[62:65], v57 offset0:2 offset1:3
	s_wait_dscnt 0x1
	v_add_nc_u32_e32 v58, v59, v58
	s_delay_alu instid0(VALU_DEP_1) | instskip(SKIP_1) | instid1(VALU_DEP_1)
	v_add3_u32 v58, v58, v60, v61
	s_wait_dscnt 0x0
	v_add3_u32 v59, v58, v62, v63
	v_mbcnt_lo_u32_b32 v58, -1, 0
	v_and_b32_e32 v62, 31, v0
	s_delay_alu instid0(VALU_DEP_3) | instskip(NEXT) | instid1(VALU_DEP_3)
	v_add3_u32 v59, v59, v64, v65
	v_and_b32_e32 v60, 15, v58
	v_and_b32_e32 v63, 16, v58
	s_delay_alu instid0(VALU_DEP_3) | instskip(NEXT) | instid1(VALU_DEP_3)
	v_mov_b32_dpp v61, v59 row_shr:1 row_mask:0xf bank_mask:0xf
	v_cmp_eq_u32_e32 vcc_lo, 0, v60
	v_cmp_lt_u32_e64 s2, 1, v60
	v_cmp_lt_u32_e64 s3, 3, v60
	v_cmp_lt_u32_e64 s4, 7, v60
	v_cmp_eq_u32_e64 s5, 0, v63
	v_cndmask_b32_e64 v61, v61, 0, vcc_lo
	s_delay_alu instid0(VALU_DEP_1) | instskip(NEXT) | instid1(VALU_DEP_1)
	v_add_nc_u32_e32 v59, v61, v59
	v_mov_b32_dpp v61, v59 row_shr:2 row_mask:0xf bank_mask:0xf
	s_delay_alu instid0(VALU_DEP_1) | instskip(NEXT) | instid1(VALU_DEP_1)
	v_cndmask_b32_e64 v61, 0, v61, s2
	v_add_nc_u32_e32 v59, v59, v61
	s_delay_alu instid0(VALU_DEP_1) | instskip(NEXT) | instid1(VALU_DEP_1)
	v_mov_b32_dpp v61, v59 row_shr:4 row_mask:0xf bank_mask:0xf
	v_cndmask_b32_e64 v61, 0, v61, s3
	s_delay_alu instid0(VALU_DEP_1) | instskip(NEXT) | instid1(VALU_DEP_1)
	v_add_nc_u32_e32 v59, v59, v61
	v_mov_b32_dpp v61, v59 row_shr:8 row_mask:0xf bank_mask:0xf
	s_delay_alu instid0(VALU_DEP_1) | instskip(SKIP_1) | instid1(VALU_DEP_2)
	v_cndmask_b32_e64 v60, 0, v61, s4
	v_bfe_i32 v61, v58, 4, 1
	v_add_nc_u32_e32 v59, v59, v60
	ds_swizzle_b32 v60, v59 offset:swizzle(BROADCAST,32,15)
	s_wait_dscnt 0x0
	v_and_b32_e32 v60, v61, v60
	v_lshrrev_b32_e32 v61, 5, v0
	s_delay_alu instid0(VALU_DEP_1)
	v_dual_add_nc_u32 v59, v59, v60 :: v_dual_lshlrev_b32 v60, 2, v61
	v_cmpx_eq_u32_e32 31, v62
; %bb.114:
	ds_store_b32 v60, v59 offset:32768
; %bb.115:
	s_or_b32 exec_lo, exec_lo, s7
	v_cmp_lt_u32_e64 s6, 31, v0
	s_mov_b32 s13, exec_lo
	s_wait_dscnt 0x0
	s_barrier_signal -1
	s_barrier_wait -1
	v_cmpx_gt_u32_e32 32, v0
	s_cbranch_execz .LBB237_117
; %bb.116:
	v_mad_i32_i24 v61, 0xffffffe4, v0, v57
	ds_load_b32 v62, v61 offset:32768
	s_wait_dscnt 0x0
	v_mov_b32_dpp v63, v62 row_shr:1 row_mask:0xf bank_mask:0xf
	s_delay_alu instid0(VALU_DEP_1) | instskip(NEXT) | instid1(VALU_DEP_1)
	v_cndmask_b32_e64 v63, v63, 0, vcc_lo
	v_add_nc_u32_e32 v62, v63, v62
	s_delay_alu instid0(VALU_DEP_1) | instskip(NEXT) | instid1(VALU_DEP_1)
	v_mov_b32_dpp v63, v62 row_shr:2 row_mask:0xf bank_mask:0xf
	v_cndmask_b32_e64 v63, 0, v63, s2
	s_delay_alu instid0(VALU_DEP_1) | instskip(NEXT) | instid1(VALU_DEP_1)
	v_add_nc_u32_e32 v62, v62, v63
	v_mov_b32_dpp v63, v62 row_shr:4 row_mask:0xf bank_mask:0xf
	s_delay_alu instid0(VALU_DEP_1) | instskip(NEXT) | instid1(VALU_DEP_1)
	v_cndmask_b32_e64 v63, 0, v63, s3
	v_add_nc_u32_e32 v62, v62, v63
	s_delay_alu instid0(VALU_DEP_1) | instskip(NEXT) | instid1(VALU_DEP_1)
	v_mov_b32_dpp v63, v62 row_shr:8 row_mask:0xf bank_mask:0xf
	v_cndmask_b32_e64 v63, 0, v63, s4
	s_delay_alu instid0(VALU_DEP_1) | instskip(SKIP_3) | instid1(VALU_DEP_1)
	v_add_nc_u32_e32 v62, v62, v63
	ds_swizzle_b32 v63, v62 offset:swizzle(BROADCAST,32,15)
	s_wait_dscnt 0x0
	v_cndmask_b32_e64 v63, v63, 0, s5
	v_add_nc_u32_e32 v62, v62, v63
	ds_store_b32 v61, v62 offset:32768
.LBB237_117:
	s_or_b32 exec_lo, exec_lo, s13
	v_dual_mov_b32 v62, 0 :: v_dual_mov_b32 v61, 0
	s_wait_dscnt 0x0
	s_barrier_signal -1
	s_barrier_wait -1
	s_and_saveexec_b32 s2, s6
; %bb.118:
	ds_load_b32 v61, v60 offset:32764
; %bb.119:
	s_or_b32 exec_lo, exec_lo, s2
	v_sub_co_u32 v60, vcc_lo, v58, 1
	s_wait_dscnt 0x0
	v_add_nc_u32_e32 v59, v61, v59
	s_delay_alu instid0(VALU_DEP_2) | instskip(NEXT) | instid1(VALU_DEP_1)
	v_cmp_gt_i32_e64 s2, 0, v60
	v_cndmask_b32_e64 v58, v60, v58, s2
	v_cmp_gt_u32_e64 s2, 16, v0
	s_delay_alu instid0(VALU_DEP_2)
	v_lshlrev_b32_e32 v58, 2, v58
	ds_bpermute_b32 v58, v58, v59
	ds_load_b32 v59, v62 offset:32892
	ds_load_2addr_b64 v[62:65], v57 offset1:1
	ds_load_b32 v66, v57 offset:24
	s_wait_dscnt 0x3
	v_cndmask_b32_e32 v58, v58, v61, vcc_lo
	ds_load_b64 v[60:61], v57 offset:16
	v_cmp_lt_u32_e32 vcc_lo, 15, v0
	s_wait_dscnt 0x3
	v_lshl_add_u32 v58, v59, 16, v58
	s_wait_dscnt 0x2
	s_delay_alu instid0(VALU_DEP_1) | instskip(NEXT) | instid1(VALU_DEP_1)
	v_add_nc_u32_e32 v59, v58, v62
	v_add_nc_u32_e32 v62, v63, v59
	s_delay_alu instid0(VALU_DEP_1) | instskip(NEXT) | instid1(VALU_DEP_1)
	v_add_nc_u32_e32 v63, v64, v62
	v_add_nc_u32_e32 v64, v65, v63
	s_wait_dscnt 0x0
	s_delay_alu instid0(VALU_DEP_1) | instskip(NEXT) | instid1(VALU_DEP_1)
	v_add_nc_u32_e32 v65, v60, v64
	v_add_nc_u32_e32 v60, v61, v65
	s_delay_alu instid0(VALU_DEP_1)
	v_add_nc_u32_e32 v61, v66, v60
	ds_store_2addr_b64 v57, v[58:59], v[62:63] offset1:1
	ds_store_2addr_b64 v57, v[64:65], v[60:61] offset0:2 offset1:3
	s_wait_dscnt 0x0
	s_barrier_signal -1
	s_barrier_wait -1
	ds_load_u16 v57, v6
	ds_load_u16 v58, v7
	;; [unrolled: 1-line block ×22, first 2 shown]
	v_lshrrev_b64 v[12:13], 24, v[8:9]
	v_mov_b64_e32 v[6:7], 0
                                        ; implicit-def: $vgpr10
	s_and_saveexec_b32 s4, s2
	s_cbranch_execz .LBB237_123
; %bb.120:
	v_dual_lshlrev_b32 v6, 12, v0 :: v_dual_lshrrev_b32 v7, 2, v0
	v_add_nc_u32_e32 v9, 1, v0
	s_mov_b32 s5, exec_lo
	s_delay_alu instid0(VALU_DEP_2)
	v_bitop3_b32 v6, v6, 0x70fe, v7 bitop3:0xc8
	v_mov_b32_e32 v7, 0x5800
	ds_load_u16 v6, v6
	v_cmpx_ne_u32_e32 16, v9
; %bb.121:
	v_dual_lshlrev_b32 v7, 12, v9 :: v_dual_lshrrev_b32 v9, 2, v9
	s_delay_alu instid0(VALU_DEP_1)
	v_bitop3_b32 v7, v7, 0x71fe, v9 bitop3:0xc8
	ds_load_u16 v7, v7
; %bb.122:
	s_or_b32 exec_lo, exec_lo, s5
	s_wait_dscnt 0x0
	v_and_b32_e32 v6, 0xffff, v6
	s_mov_b32 s3, 0
	s_delay_alu instid0(VALU_DEP_1) | instid1(SALU_CYCLE_1)
	v_dual_mov_b32 v7, s3 :: v_dual_sub_nc_u32 v10, v7, v6
.LBB237_123:
	s_or_b32 exec_lo, exec_lo, s4
	s_wait_dscnt 0x15
	v_and_b32_e32 v57, 0xffff, v57
	v_and_b32_e32 v14, 0xffff, v14
	s_wait_dscnt 0x14
	v_and_b32_e32 v58, 0xffff, v58
	v_and_b32_e32 v15, 0xffff, v15
	;; [unrolled: 3-line block ×4, first 2 shown]
	v_dual_add_nc_u32 v14, v57, v14 :: v_dual_add_nc_u32 v15, v58, v15
	v_dual_lshrrev_b32 v68, 8, v2 :: v_dual_lshrrev_b32 v69, 16, v2
	s_wait_dscnt 0x11
	v_and_b32_e32 v61, 0xffff, v61
	v_and_b32_e32 v19, 0xffff, v19
	s_wait_dscnt 0x10
	v_and_b32_e32 v62, 0xffff, v62
	v_and_b32_e32 v20, 0xffff, v20
	v_add_nc_u32_e32 v16, v59, v16
	s_wait_dscnt 0xf
	v_and_b32_e32 v63, 0xffff, v63
	v_and_b32_e32 v21, 0xffff, v21
	s_wait_dscnt 0xe
	v_and_b32_e32 v64, 0xffff, v64
	v_and_b32_e32 v22, 0xffff, v22
	;; [unrolled: 3-line block ×3, first 2 shown]
	s_wait_dscnt 0x0
	s_barrier_signal -1
	s_barrier_wait -1
	ds_store_b8 v14, v2 offset:128
	ds_store_b8 v15, v68 offset:128
	;; [unrolled: 1-line block ×3, first 2 shown]
	v_add_nc_u32_e32 v2, v60, v17
	v_and_b32_e32 v35, 0xffff, v35
	v_and_b32_e32 v25, 0xffff, v25
	v_dual_add_nc_u32 v14, v61, v19 :: v_dual_add_nc_u32 v15, v62, v20
	v_dual_lshrrev_b32 v66, 8, v3 :: v_dual_lshrrev_b32 v67, 16, v3
	v_and_b32_e32 v37, 0xffff, v37
	v_and_b32_e32 v27, 0xffff, v27
	;; [unrolled: 1-line block ×4, first 2 shown]
	v_dual_add_nc_u32 v16, v63, v21 :: v_dual_add_nc_u32 v17, v64, v22
	v_and_b32_e32 v41, 0xffff, v41
	v_and_b32_e32 v32, 0xffff, v32
	v_and_b32_e32 v44, 0xffff, v44
	v_and_b32_e32 v34, 0xffff, v34
	ds_store_b8 v2, v1 offset:128
	ds_store_b8 v14, v3 offset:128
	;; [unrolled: 1-line block ×5, first 2 shown]
	v_dual_add_nc_u32 v1, v65, v24 :: v_dual_add_nc_u32 v2, v35, v25
	v_dual_lshrrev_b32 v31, 8, v4 :: v_dual_lshrrev_b32 v33, 16, v4
	v_and_b32_e32 v45, 0xffff, v45
	v_and_b32_e32 v36, 0xffff, v36
	;; [unrolled: 1-line block ×4, first 2 shown]
	v_dual_add_nc_u32 v3, v37, v27 :: v_dual_add_nc_u32 v14, v39, v30
	v_and_b32_e32 v50, 0xffff, v50
	v_and_b32_e32 v40, 0xffff, v40
	;; [unrolled: 1-line block ×4, first 2 shown]
	v_dual_add_nc_u32 v15, v41, v32 :: v_dual_lshrrev_b32 v26, 8, v5
	v_lshrrev_b32_e32 v28, 16, v5
	ds_store_b8 v1, v4 offset:128
	ds_store_b8 v2, v31 offset:128
	ds_store_b8 v3, v33 offset:128
	ds_store_b8 v14, v23 offset:128
	ds_store_b8 v15, v5 offset:128
	v_dual_add_nc_u32 v1, v44, v34 :: v_dual_add_nc_u32 v2, v45, v36
	v_dual_add_nc_u32 v3, v47, v38 :: v_dual_add_nc_u32 v4, v50, v40
	v_dual_add_nc_u32 v5, v52, v43 :: v_dual_lshrrev_b32 v13, 8, v8
	v_lshrrev_b32_e32 v9, 16, v8
	v_and_b32_e32 v53, 0xffff, v53
	v_and_b32_e32 v56, 0xffff, v56
	;; [unrolled: 1-line block ×4, first 2 shown]
	ds_store_b8 v1, v26 offset:128
	ds_store_b8 v2, v28 offset:128
	;; [unrolled: 1-line block ×5, first 2 shown]
	v_mov_b32_e32 v3, 0
	v_and_b32_e32 v54, 0xffff, v54
	v_and_b32_e32 v48, 0xffff, v48
	;; [unrolled: 1-line block ×4, first 2 shown]
	v_dual_add_nc_u32 v2, v53, v46 :: v_dual_add_nc_u32 v8, v56, v51
	v_dual_mov_b32 v1, v3 :: v_dual_lshlrev_b32 v14, 3, v0
	s_delay_alu instid0(VALU_DEP_3)
	v_dual_add_nc_u32 v4, v54, v48 :: v_dual_add_nc_u32 v5, v55, v49
	s_not_b32 s3, s12
	ds_store_b8 v2, v9 offset:128
	ds_store_b8 v4, v12 offset:128
	;; [unrolled: 1-line block ×4, first 2 shown]
	s_and_saveexec_b32 s4, s2
	s_cbranch_execz .LBB237_133
; %bb.124:
	v_lshl_add_u32 v2, s19, 4, v0
	v_dual_mov_b32 v8, 0 :: v_dual_bitop2_b32 v9, 2.0, v10 bitop3:0x54
	s_mov_b32 s5, 0
	s_mov_b32 s6, s19
	s_delay_alu instid0(VALU_DEP_2)
	v_lshl_add_u64 v[4:5], v[2:3], 2, s[20:21]
	global_store_b32 v2, v9, s[20:21] scale_offset scope:SCOPE_DEV
                                        ; implicit-def: $sgpr2
	s_branch .LBB237_127
.LBB237_125:                            ;   in Loop: Header=BB237_127 Depth=1
	s_or_b32 exec_lo, exec_lo, s12
.LBB237_126:                            ;   in Loop: Header=BB237_127 Depth=1
	s_delay_alu instid0(SALU_CYCLE_1) | instskip(SKIP_2) | instid1(VALU_DEP_2)
	s_or_b32 exec_lo, exec_lo, s7
	v_and_b32_e32 v2, 0x3fffffff, v9
	v_cmp_gt_i32_e64 s2, -2.0, v9
	v_add_nc_u32_e32 v8, v2, v8
	s_and_b32 s7, exec_lo, s2
	s_delay_alu instid0(SALU_CYCLE_1) | instskip(NEXT) | instid1(SALU_CYCLE_1)
	s_or_b32 s5, s7, s5
	s_and_not1_b32 exec_lo, exec_lo, s5
	s_cbranch_execz .LBB237_132
.LBB237_127:                            ; =>This Loop Header: Depth=1
                                        ;     Child Loop BB237_130 Depth 2
	s_or_b32 s2, s2, exec_lo
	s_cmp_eq_u32 s6, 0
	s_cbranch_scc1 .LBB237_131
; %bb.128:                              ;   in Loop: Header=BB237_127 Depth=1
	s_add_co_i32 s6, s6, -1
	s_mov_b32 s7, exec_lo
	s_wait_xcnt 0x0
	v_lshl_or_b32 v2, s6, 4, v0
	global_load_b32 v9, v2, s[20:21] scale_offset scope:SCOPE_DEV
	s_wait_loadcnt 0x0
	v_cmpx_gt_u32_e32 2.0, v9
	s_cbranch_execz .LBB237_126
; %bb.129:                              ;   in Loop: Header=BB237_127 Depth=1
	v_lshl_add_u64 v[12:13], v[2:3], 2, s[20:21]
	s_mov_b32 s12, 0
.LBB237_130:                            ;   Parent Loop BB237_127 Depth=1
                                        ; =>  This Inner Loop Header: Depth=2
	global_load_b32 v9, v[12:13], off scope:SCOPE_DEV
	s_wait_loadcnt 0x0
	v_cmp_lt_u32_e64 s2, 0x3fffffff, v9
	s_or_b32 s12, s2, s12
	s_wait_xcnt 0x0
	s_and_not1_b32 exec_lo, exec_lo, s12
	s_cbranch_execnz .LBB237_130
	s_branch .LBB237_125
.LBB237_131:                            ;   in Loop: Header=BB237_127 Depth=1
                                        ; implicit-def: $sgpr6
	s_and_b32 s7, exec_lo, s2
	s_delay_alu instid0(SALU_CYCLE_1)
	s_or_b32 s5, s7, s5
	s_wait_xcnt 0x0
	s_and_not1_b32 exec_lo, exec_lo, s5
	s_cbranch_execnz .LBB237_127
.LBB237_132:
	s_or_b32 exec_lo, exec_lo, s5
	v_dual_mov_b32 v9, 0 :: v_dual_add_nc_u32 v2, v8, v10
	s_delay_alu instid0(VALU_DEP_1) | instskip(SKIP_4) | instid1(VALU_DEP_1)
	v_or_b32_e32 v2, 0x80000000, v2
	global_store_b32 v[4:5], v2, off scope:SCOPE_DEV
	global_load_b64 v[2:3], v0, s[8:9] scale_offset
	v_sub_nc_u64_e32 v[4:5], v[8:9], v[6:7]
	s_wait_loadcnt 0x0
	v_add_nc_u64_e32 v[2:3], v[4:5], v[2:3]
	ds_store_b64 v14, v[2:3]
.LBB237_133:
	s_wait_xcnt 0x0
	s_or_b32 exec_lo, exec_lo, s4
	s_wait_storecnt_dscnt 0x0
	s_barrier_signal -1
	s_barrier_wait -1
	ds_load_u8 v11, v0 offset:21632
	ds_load_u8 v15, v0 offset:1152
	;; [unrolled: 1-line block ×12, first 2 shown]
	s_wait_dscnt 0xb
	v_and_b32_e32 v2, 0xff, v11
	s_wait_dscnt 0xa
	v_and_b32_e32 v3, 0xff, v15
	;; [unrolled: 2-line block ×5, first 2 shown]
	v_dual_lshrrev_b32 v2, s16, v2 :: v_dual_lshrrev_b32 v17, s16, v3
	s_wait_dscnt 0x4
	v_and_b32_e32 v13, 0xff, v33
	s_wait_dscnt 0x3
	v_and_b32_e32 v16, 0xff, v36
	v_and_b32_e32 v12, 0xff, v32
	s_wait_dscnt 0x2
	v_and_b32_e32 v18, 0xff, v34
	v_dual_lshrrev_b32 v4, s16, v4 :: v_dual_bitop2_b32 v2, s3, v2 bitop3:0x40
	v_dual_lshrrev_b32 v21, s16, v13 :: v_dual_lshrrev_b32 v13, s16, v16
	v_and_b32_e32 v9, 0xff, v31
	s_delay_alu instid0(VALU_DEP_4) | instskip(NEXT) | instid1(VALU_DEP_4)
	v_dual_lshrrev_b32 v20, s16, v12 :: v_dual_lshrrev_b32 v12, s16, v18
	v_dual_lshlrev_b32 v2, 3, v2 :: v_dual_lshrrev_b32 v5, s16, v5
	s_delay_alu instid0(VALU_DEP_4) | instskip(NEXT) | instid1(VALU_DEP_3)
	v_dual_lshrrev_b32 v8, s16, v8 :: v_dual_bitop2_b32 v23, s3, v13 bitop3:0x40
	v_dual_lshrrev_b32 v9, s16, v9 :: v_dual_bitop2_b32 v12, s3, v12 bitop3:0x40
	ds_load_b64 v[2:3], v2
	v_dual_lshlrev_b32 v23, 3, v23 :: v_dual_bitop2_b32 v16, s3, v17 bitop3:0x40
	v_and_b32_e32 v5, s3, v5
	v_dual_lshlrev_b32 v9, 3, v12 :: v_dual_bitop2_b32 v22, s3, v9 bitop3:0x40
	s_delay_alu instid0(VALU_DEP_3) | instskip(NEXT) | instid1(VALU_DEP_3)
	v_dual_lshlrev_b32 v12, 3, v16 :: v_dual_bitop2_b32 v25, s3, v21 bitop3:0x40
	v_dual_lshlrev_b32 v16, 3, v5 :: v_dual_bitop2_b32 v4, s3, v4 bitop3:0x40
	s_delay_alu instid0(VALU_DEP_2) | instskip(SKIP_2) | instid1(VALU_DEP_3)
	v_dual_lshlrev_b32 v26, 3, v25 :: v_dual_bitop2_b32 v24, s3, v20 bitop3:0x40
	s_wait_dscnt 0x2
	v_and_b32_e32 v35, 0xff, v37
	v_lshlrev_b32_e32 v13, 3, v4
	v_dual_lshlrev_b32 v22, 3, v22 :: v_dual_bitop2_b32 v8, s3, v8 bitop3:0x40
	v_lshlrev_b32_e32 v24, 3, v24
	s_wait_dscnt 0x1
	v_and_b32_e32 v43, 0xff, v38
	s_delay_alu instid0(VALU_DEP_3)
	v_lshlrev_b32_e32 v18, 3, v8
	ds_load_b64 v[4:5], v9
	ds_load_b64 v[8:9], v12
	;; [unrolled: 1-line block ×5, first 2 shown]
	ds_load_u8 v39, v0 offset:18560
	ds_load_u8 v40, v0 offset:19584
	ds_load_b64 v[20:21], v23
	ds_load_u8 v41, v0 offset:10368
	ds_load_u8 v42, v0 offset:11392
	ds_load_b64 v[22:23], v22
	ds_load_b64 v[24:25], v24
	;; [unrolled: 1-line block ×3, first 2 shown]
	s_wait_dscnt 0xd
	v_add_nc_u64_e32 v[2:3], s[14:15], v[2:3]
	s_delay_alu instid0(VALU_DEP_1)
	v_add_nc_u64_e32 v[2:3], v[2:3], v[0:1]
	s_wait_dscnt 0xc
	v_add_nc_u64_e32 v[4:5], s[14:15], v[4:5]
	s_wait_dscnt 0xb
	;; [unrolled: 2-line block ×6, first 2 shown]
	v_add_nc_u64_e32 v[20:21], s[14:15], v[20:21]
	v_add_nc_u64_e32 v[4:5], v[4:5], v[0:1]
	;; [unrolled: 1-line block ×6, first 2 shown]
	s_clause 0x4
	global_store_b8 v[4:5], v34, off
	global_store_b8 v[8:9], v15, off offset:1024
	global_store_b8 v[12:13], v28, off offset:2048
	;; [unrolled: 1-line block ×4, first 2 shown]
	s_wait_xcnt 0x3
	ds_load_u8 v15, v0 offset:12416
	ds_load_u8 v44, v0 offset:13440
	;; [unrolled: 1-line block ×6, first 2 shown]
	s_wait_dscnt 0xa
	v_and_b32_e32 v8, 0xff, v41
	v_lshrrev_b32_e32 v35, s16, v35
	s_wait_dscnt 0x9
	v_and_b32_e32 v9, 0xff, v42
	v_lshrrev_b32_e32 v43, s16, v43
	s_wait_dscnt 0x8
	v_add_nc_u64_e32 v[4:5], s[14:15], v[22:23]
	s_wait_xcnt 0x1
	v_lshrrev_b32_e32 v17, s16, v8
	v_and_b32_e32 v29, 0xff, v39
	s_wait_xcnt 0x0
	v_dual_lshrrev_b32 v18, s16, v9 :: v_dual_bitop2_b32 v16, s3, v43 bitop3:0x40
	v_and_b32_e32 v35, s3, v35
	v_and_b32_e32 v22, s3, v17
	s_wait_dscnt 0x7
	v_add_nc_u64_e32 v[8:9], s[14:15], v[24:25]
	v_add_nc_u64_e32 v[4:5], v[4:5], v[0:1]
	v_dual_lshlrev_b32 v19, 3, v16 :: v_dual_lshlrev_b32 v12, 3, v35
	s_wait_dscnt 0x6
	v_add_nc_u64_e32 v[16:17], s[14:15], v[26:27]
	s_wait_dscnt 0x4
	v_and_b32_e32 v27, 0xff, v44
	v_and_b32_e32 v23, s3, v18
	v_lshlrev_b32_e32 v22, 3, v22
	ds_load_b64 v[12:13], v12
	ds_load_b64 v[18:19], v19
	v_and_b32_e32 v26, 0xff, v15
	v_lshlrev_b32_e32 v24, 3, v23
	v_add_nc_u64_e32 v[8:9], v[8:9], v[0:1]
	s_wait_dscnt 0x5
	v_and_b32_e32 v28, 0xff, v45
	v_add_nc_u64_e32 v[16:17], v[16:17], v[0:1]
	v_lshrrev_b32_e32 v26, s16, v26
	ds_load_b64 v[22:23], v22
	ds_load_b64 v[24:25], v24
	s_clause 0x1
	global_store_b8 v[4:5], v31, off offset:5120
	global_store_b8 v[8:9], v32, off offset:6144
	s_wait_xcnt 0x0
	v_dual_lshrrev_b32 v9, s16, v27 :: v_dual_bitop2_b32 v8, s3, v26 bitop3:0x40
	v_lshrrev_b32_e32 v26, s16, v28
	global_store_b8 v[16:17], v33, off offset:7168
	v_and_b32_e32 v30, 0xff, v40
	s_wait_xcnt 0x0
	v_and_b32_e32 v16, s3, v9
	v_dual_lshrrev_b32 v29, s16, v29 :: v_dual_bitop2_b32 v17, s3, v26 bitop3:0x40
	s_wait_dscnt 0x6
	v_and_b32_e32 v26, 0xff, v46
	s_wait_dscnt 0x3
	v_add_nc_u64_e32 v[4:5], s[14:15], v[12:13]
	v_lshlrev_b32_e32 v12, 3, v8
	v_dual_lshlrev_b32 v27, 3, v16 :: v_dual_lshlrev_b32 v28, 3, v17
	v_lshrrev_b32_e32 v26, s16, v26
	s_wait_dscnt 0x2
	v_add_nc_u64_e32 v[8:9], s[14:15], v[18:19]
	ds_load_b64 v[12:13], v12
	s_wait_dscnt 0x2
	v_add_nc_u64_e32 v[16:17], s[14:15], v[22:23]
	s_wait_dscnt 0x1
	v_add_nc_u64_e32 v[18:19], s[14:15], v[24:25]
	ds_load_b64 v[22:23], v27
	ds_load_b64 v[24:25], v28
	v_and_b32_e32 v27, 0xff, v47
	v_and_b32_e32 v26, s3, v26
	;; [unrolled: 1-line block ×3, first 2 shown]
	v_lshrrev_b32_e32 v30, s16, v30
	v_add_nc_u64_e32 v[4:5], v[4:5], v[0:1]
	s_delay_alu instid0(VALU_DEP_4) | instskip(NEXT) | instid1(VALU_DEP_3)
	v_dual_lshrrev_b32 v31, s16, v27 :: v_dual_lshlrev_b32 v26, 3, v26
	v_dual_lshrrev_b32 v28, s16, v28 :: v_dual_bitop2_b32 v30, s3, v30 bitop3:0x40
	v_and_b32_e32 v29, s3, v29
	v_add_nc_u64_e32 v[8:9], v[8:9], v[0:1]
	ds_load_b64 v[26:27], v26
	v_and_b32_e32 v28, s3, v28
	v_dual_lshlrev_b32 v34, 3, v30 :: v_dual_bitop2_b32 v31, s3, v31 bitop3:0x40
	v_lshlrev_b32_e32 v33, 3, v29
	s_wait_dscnt 0x3
	v_add_nc_u64_e32 v[12:13], s[14:15], v[12:13]
	s_delay_alu instid0(VALU_DEP_3)
	v_dual_lshlrev_b32 v32, 3, v28 :: v_dual_lshlrev_b32 v31, 3, v31
	ds_load_b64 v[28:29], v31
	ds_load_b64 v[30:31], v32
	;; [unrolled: 1-line block ×4, first 2 shown]
	s_wait_dscnt 0x6
	v_add_nc_u64_e32 v[22:23], s[14:15], v[22:23]
	s_wait_dscnt 0x5
	v_add_nc_u64_e32 v[24:25], s[14:15], v[24:25]
	v_add_nc_u64_e32 v[16:17], v[16:17], v[0:1]
	v_add_nc_u64_e32 v[18:19], v[18:19], v[0:1]
	v_add_nc_u64_e32 v[12:13], v[12:13], v[0:1]
	v_add_nc_u64_e32 v[20:21], v[20:21], v[0:1]
	v_add_nc_u64_e32 v[22:23], v[22:23], v[0:1]
	v_add_nc_u64_e32 v[24:25], v[24:25], v[0:1]
	s_clause 0x6
	global_store_b8 v[4:5], v37, off offset:8192
	global_store_b8 v[8:9], v38, off offset:9216
	global_store_b8 v[16:17], v41, off offset:10240
	global_store_b8 v[18:19], v42, off offset:11264
	global_store_b8 v[12:13], v15, off offset:12288
	global_store_b8 v[22:23], v44, off offset:13312
	global_store_b8 v[24:25], v45, off offset:14336
	s_wait_dscnt 0x4
	s_wait_xcnt 0x6
	v_add_nc_u64_e32 v[4:5], s[14:15], v[26:27]
	s_wait_dscnt 0x3
	s_wait_xcnt 0x5
	v_add_nc_u64_e32 v[8:9], s[14:15], v[28:29]
	;; [unrolled: 3-line block ×3, first 2 shown]
	s_wait_dscnt 0x1
	v_add_nc_u64_e32 v[16:17], s[14:15], v[32:33]
	s_wait_dscnt 0x0
	v_add_nc_u64_e32 v[18:19], s[14:15], v[34:35]
	v_add_nc_u64_e32 v[4:5], v[4:5], v[0:1]
	;; [unrolled: 1-line block ×6, first 2 shown]
	s_clause 0x6
	global_store_b8 v[4:5], v46, off offset:15360
	global_store_b8 v[8:9], v47, off offset:16384
	;; [unrolled: 1-line block ×7, first 2 shown]
	s_load_b32 s0, s[0:1], 0x58
	s_wait_kmcnt 0x0
	s_add_co_i32 s0, s0, -1
	s_delay_alu instid0(SALU_CYCLE_1) | instskip(SKIP_2) | instid1(SALU_CYCLE_1)
	s_cmp_eq_u32 s19, s0
	s_cselect_b32 s0, -1, 0
	s_xor_b32 s1, vcc_lo, -1
	s_and_b32 s0, s1, s0
	s_delay_alu instid0(SALU_CYCLE_1)
	s_and_saveexec_b32 s1, s0
	s_cbranch_execz .LBB237_135
; %bb.134:
	ds_load_b64 v[2:3], v14
	v_mov_b32_e32 v11, 0
	s_delay_alu instid0(VALU_DEP_1) | instskip(SKIP_1) | instid1(VALU_DEP_1)
	v_add_nc_u64_e32 v[4:5], v[6:7], v[10:11]
	s_wait_dscnt 0x0
	v_add_nc_u64_e32 v[2:3], v[4:5], v[2:3]
	global_store_b64 v0, v[2:3], s[10:11] scale_offset
.LBB237_135:
	s_sendmsg sendmsg(MSG_DEALLOC_VGPRS)
	s_endpgm
	.section	.rodata,"a",@progbits
	.p2align	6, 0x0
	.amdhsa_kernel _ZN7rocprim17ROCPRIM_400000_NS6detail17trampoline_kernelINS0_14default_configENS1_35radix_sort_onesweep_config_selectorIhNS0_10empty_typeEEEZZNS1_29radix_sort_onesweep_iterationIS3_Lb0EPKhPhPS5_SB_mNS0_19identity_decomposerENS1_16block_id_wrapperIjLb0EEEEE10hipError_tT1_PNSt15iterator_traitsISG_E10value_typeET2_T3_PNSH_ISM_E10value_typeET4_T5_PSR_SS_PNS1_23onesweep_lookback_stateEbbT6_jjT7_P12ihipStream_tbENKUlT_T0_SG_SL_E_clIS9_SA_SB_SB_EEDaSZ_S10_SG_SL_EUlSZ_E_NS1_11comp_targetILNS1_3genE0ELNS1_11target_archE4294967295ELNS1_3gpuE0ELNS1_3repE0EEENS1_47radix_sort_onesweep_sort_config_static_selectorELNS0_4arch9wavefront6targetE0EEEvSG_
		.amdhsa_group_segment_fixed_size 32904
		.amdhsa_private_segment_fixed_size 0
		.amdhsa_kernarg_size 344
		.amdhsa_user_sgpr_count 2
		.amdhsa_user_sgpr_dispatch_ptr 0
		.amdhsa_user_sgpr_queue_ptr 0
		.amdhsa_user_sgpr_kernarg_segment_ptr 1
		.amdhsa_user_sgpr_dispatch_id 0
		.amdhsa_user_sgpr_kernarg_preload_length 0
		.amdhsa_user_sgpr_kernarg_preload_offset 0
		.amdhsa_user_sgpr_private_segment_size 0
		.amdhsa_wavefront_size32 1
		.amdhsa_uses_dynamic_stack 0
		.amdhsa_enable_private_segment 0
		.amdhsa_system_sgpr_workgroup_id_x 1
		.amdhsa_system_sgpr_workgroup_id_y 0
		.amdhsa_system_sgpr_workgroup_id_z 0
		.amdhsa_system_sgpr_workgroup_info 0
		.amdhsa_system_vgpr_workitem_id 0
		.amdhsa_next_free_vgpr 79
		.amdhsa_next_free_sgpr 25
		.amdhsa_named_barrier_count 0
		.amdhsa_reserve_vcc 1
		.amdhsa_float_round_mode_32 0
		.amdhsa_float_round_mode_16_64 0
		.amdhsa_float_denorm_mode_32 3
		.amdhsa_float_denorm_mode_16_64 3
		.amdhsa_fp16_overflow 0
		.amdhsa_memory_ordered 1
		.amdhsa_forward_progress 1
		.amdhsa_inst_pref_size 110
		.amdhsa_round_robin_scheduling 0
		.amdhsa_exception_fp_ieee_invalid_op 0
		.amdhsa_exception_fp_denorm_src 0
		.amdhsa_exception_fp_ieee_div_zero 0
		.amdhsa_exception_fp_ieee_overflow 0
		.amdhsa_exception_fp_ieee_underflow 0
		.amdhsa_exception_fp_ieee_inexact 0
		.amdhsa_exception_int_div_zero 0
	.end_amdhsa_kernel
	.section	.text._ZN7rocprim17ROCPRIM_400000_NS6detail17trampoline_kernelINS0_14default_configENS1_35radix_sort_onesweep_config_selectorIhNS0_10empty_typeEEEZZNS1_29radix_sort_onesweep_iterationIS3_Lb0EPKhPhPS5_SB_mNS0_19identity_decomposerENS1_16block_id_wrapperIjLb0EEEEE10hipError_tT1_PNSt15iterator_traitsISG_E10value_typeET2_T3_PNSH_ISM_E10value_typeET4_T5_PSR_SS_PNS1_23onesweep_lookback_stateEbbT6_jjT7_P12ihipStream_tbENKUlT_T0_SG_SL_E_clIS9_SA_SB_SB_EEDaSZ_S10_SG_SL_EUlSZ_E_NS1_11comp_targetILNS1_3genE0ELNS1_11target_archE4294967295ELNS1_3gpuE0ELNS1_3repE0EEENS1_47radix_sort_onesweep_sort_config_static_selectorELNS0_4arch9wavefront6targetE0EEEvSG_,"axG",@progbits,_ZN7rocprim17ROCPRIM_400000_NS6detail17trampoline_kernelINS0_14default_configENS1_35radix_sort_onesweep_config_selectorIhNS0_10empty_typeEEEZZNS1_29radix_sort_onesweep_iterationIS3_Lb0EPKhPhPS5_SB_mNS0_19identity_decomposerENS1_16block_id_wrapperIjLb0EEEEE10hipError_tT1_PNSt15iterator_traitsISG_E10value_typeET2_T3_PNSH_ISM_E10value_typeET4_T5_PSR_SS_PNS1_23onesweep_lookback_stateEbbT6_jjT7_P12ihipStream_tbENKUlT_T0_SG_SL_E_clIS9_SA_SB_SB_EEDaSZ_S10_SG_SL_EUlSZ_E_NS1_11comp_targetILNS1_3genE0ELNS1_11target_archE4294967295ELNS1_3gpuE0ELNS1_3repE0EEENS1_47radix_sort_onesweep_sort_config_static_selectorELNS0_4arch9wavefront6targetE0EEEvSG_,comdat
.Lfunc_end237:
	.size	_ZN7rocprim17ROCPRIM_400000_NS6detail17trampoline_kernelINS0_14default_configENS1_35radix_sort_onesweep_config_selectorIhNS0_10empty_typeEEEZZNS1_29radix_sort_onesweep_iterationIS3_Lb0EPKhPhPS5_SB_mNS0_19identity_decomposerENS1_16block_id_wrapperIjLb0EEEEE10hipError_tT1_PNSt15iterator_traitsISG_E10value_typeET2_T3_PNSH_ISM_E10value_typeET4_T5_PSR_SS_PNS1_23onesweep_lookback_stateEbbT6_jjT7_P12ihipStream_tbENKUlT_T0_SG_SL_E_clIS9_SA_SB_SB_EEDaSZ_S10_SG_SL_EUlSZ_E_NS1_11comp_targetILNS1_3genE0ELNS1_11target_archE4294967295ELNS1_3gpuE0ELNS1_3repE0EEENS1_47radix_sort_onesweep_sort_config_static_selectorELNS0_4arch9wavefront6targetE0EEEvSG_, .Lfunc_end237-_ZN7rocprim17ROCPRIM_400000_NS6detail17trampoline_kernelINS0_14default_configENS1_35radix_sort_onesweep_config_selectorIhNS0_10empty_typeEEEZZNS1_29radix_sort_onesweep_iterationIS3_Lb0EPKhPhPS5_SB_mNS0_19identity_decomposerENS1_16block_id_wrapperIjLb0EEEEE10hipError_tT1_PNSt15iterator_traitsISG_E10value_typeET2_T3_PNSH_ISM_E10value_typeET4_T5_PSR_SS_PNS1_23onesweep_lookback_stateEbbT6_jjT7_P12ihipStream_tbENKUlT_T0_SG_SL_E_clIS9_SA_SB_SB_EEDaSZ_S10_SG_SL_EUlSZ_E_NS1_11comp_targetILNS1_3genE0ELNS1_11target_archE4294967295ELNS1_3gpuE0ELNS1_3repE0EEENS1_47radix_sort_onesweep_sort_config_static_selectorELNS0_4arch9wavefront6targetE0EEEvSG_
                                        ; -- End function
	.set _ZN7rocprim17ROCPRIM_400000_NS6detail17trampoline_kernelINS0_14default_configENS1_35radix_sort_onesweep_config_selectorIhNS0_10empty_typeEEEZZNS1_29radix_sort_onesweep_iterationIS3_Lb0EPKhPhPS5_SB_mNS0_19identity_decomposerENS1_16block_id_wrapperIjLb0EEEEE10hipError_tT1_PNSt15iterator_traitsISG_E10value_typeET2_T3_PNSH_ISM_E10value_typeET4_T5_PSR_SS_PNS1_23onesweep_lookback_stateEbbT6_jjT7_P12ihipStream_tbENKUlT_T0_SG_SL_E_clIS9_SA_SB_SB_EEDaSZ_S10_SG_SL_EUlSZ_E_NS1_11comp_targetILNS1_3genE0ELNS1_11target_archE4294967295ELNS1_3gpuE0ELNS1_3repE0EEENS1_47radix_sort_onesweep_sort_config_static_selectorELNS0_4arch9wavefront6targetE0EEEvSG_.num_vgpr, 79
	.set _ZN7rocprim17ROCPRIM_400000_NS6detail17trampoline_kernelINS0_14default_configENS1_35radix_sort_onesweep_config_selectorIhNS0_10empty_typeEEEZZNS1_29radix_sort_onesweep_iterationIS3_Lb0EPKhPhPS5_SB_mNS0_19identity_decomposerENS1_16block_id_wrapperIjLb0EEEEE10hipError_tT1_PNSt15iterator_traitsISG_E10value_typeET2_T3_PNSH_ISM_E10value_typeET4_T5_PSR_SS_PNS1_23onesweep_lookback_stateEbbT6_jjT7_P12ihipStream_tbENKUlT_T0_SG_SL_E_clIS9_SA_SB_SB_EEDaSZ_S10_SG_SL_EUlSZ_E_NS1_11comp_targetILNS1_3genE0ELNS1_11target_archE4294967295ELNS1_3gpuE0ELNS1_3repE0EEENS1_47radix_sort_onesweep_sort_config_static_selectorELNS0_4arch9wavefront6targetE0EEEvSG_.num_agpr, 0
	.set _ZN7rocprim17ROCPRIM_400000_NS6detail17trampoline_kernelINS0_14default_configENS1_35radix_sort_onesweep_config_selectorIhNS0_10empty_typeEEEZZNS1_29radix_sort_onesweep_iterationIS3_Lb0EPKhPhPS5_SB_mNS0_19identity_decomposerENS1_16block_id_wrapperIjLb0EEEEE10hipError_tT1_PNSt15iterator_traitsISG_E10value_typeET2_T3_PNSH_ISM_E10value_typeET4_T5_PSR_SS_PNS1_23onesweep_lookback_stateEbbT6_jjT7_P12ihipStream_tbENKUlT_T0_SG_SL_E_clIS9_SA_SB_SB_EEDaSZ_S10_SG_SL_EUlSZ_E_NS1_11comp_targetILNS1_3genE0ELNS1_11target_archE4294967295ELNS1_3gpuE0ELNS1_3repE0EEENS1_47radix_sort_onesweep_sort_config_static_selectorELNS0_4arch9wavefront6targetE0EEEvSG_.numbered_sgpr, 25
	.set _ZN7rocprim17ROCPRIM_400000_NS6detail17trampoline_kernelINS0_14default_configENS1_35radix_sort_onesweep_config_selectorIhNS0_10empty_typeEEEZZNS1_29radix_sort_onesweep_iterationIS3_Lb0EPKhPhPS5_SB_mNS0_19identity_decomposerENS1_16block_id_wrapperIjLb0EEEEE10hipError_tT1_PNSt15iterator_traitsISG_E10value_typeET2_T3_PNSH_ISM_E10value_typeET4_T5_PSR_SS_PNS1_23onesweep_lookback_stateEbbT6_jjT7_P12ihipStream_tbENKUlT_T0_SG_SL_E_clIS9_SA_SB_SB_EEDaSZ_S10_SG_SL_EUlSZ_E_NS1_11comp_targetILNS1_3genE0ELNS1_11target_archE4294967295ELNS1_3gpuE0ELNS1_3repE0EEENS1_47radix_sort_onesweep_sort_config_static_selectorELNS0_4arch9wavefront6targetE0EEEvSG_.num_named_barrier, 0
	.set _ZN7rocprim17ROCPRIM_400000_NS6detail17trampoline_kernelINS0_14default_configENS1_35radix_sort_onesweep_config_selectorIhNS0_10empty_typeEEEZZNS1_29radix_sort_onesweep_iterationIS3_Lb0EPKhPhPS5_SB_mNS0_19identity_decomposerENS1_16block_id_wrapperIjLb0EEEEE10hipError_tT1_PNSt15iterator_traitsISG_E10value_typeET2_T3_PNSH_ISM_E10value_typeET4_T5_PSR_SS_PNS1_23onesweep_lookback_stateEbbT6_jjT7_P12ihipStream_tbENKUlT_T0_SG_SL_E_clIS9_SA_SB_SB_EEDaSZ_S10_SG_SL_EUlSZ_E_NS1_11comp_targetILNS1_3genE0ELNS1_11target_archE4294967295ELNS1_3gpuE0ELNS1_3repE0EEENS1_47radix_sort_onesweep_sort_config_static_selectorELNS0_4arch9wavefront6targetE0EEEvSG_.private_seg_size, 0
	.set _ZN7rocprim17ROCPRIM_400000_NS6detail17trampoline_kernelINS0_14default_configENS1_35radix_sort_onesweep_config_selectorIhNS0_10empty_typeEEEZZNS1_29radix_sort_onesweep_iterationIS3_Lb0EPKhPhPS5_SB_mNS0_19identity_decomposerENS1_16block_id_wrapperIjLb0EEEEE10hipError_tT1_PNSt15iterator_traitsISG_E10value_typeET2_T3_PNSH_ISM_E10value_typeET4_T5_PSR_SS_PNS1_23onesweep_lookback_stateEbbT6_jjT7_P12ihipStream_tbENKUlT_T0_SG_SL_E_clIS9_SA_SB_SB_EEDaSZ_S10_SG_SL_EUlSZ_E_NS1_11comp_targetILNS1_3genE0ELNS1_11target_archE4294967295ELNS1_3gpuE0ELNS1_3repE0EEENS1_47radix_sort_onesweep_sort_config_static_selectorELNS0_4arch9wavefront6targetE0EEEvSG_.uses_vcc, 1
	.set _ZN7rocprim17ROCPRIM_400000_NS6detail17trampoline_kernelINS0_14default_configENS1_35radix_sort_onesweep_config_selectorIhNS0_10empty_typeEEEZZNS1_29radix_sort_onesweep_iterationIS3_Lb0EPKhPhPS5_SB_mNS0_19identity_decomposerENS1_16block_id_wrapperIjLb0EEEEE10hipError_tT1_PNSt15iterator_traitsISG_E10value_typeET2_T3_PNSH_ISM_E10value_typeET4_T5_PSR_SS_PNS1_23onesweep_lookback_stateEbbT6_jjT7_P12ihipStream_tbENKUlT_T0_SG_SL_E_clIS9_SA_SB_SB_EEDaSZ_S10_SG_SL_EUlSZ_E_NS1_11comp_targetILNS1_3genE0ELNS1_11target_archE4294967295ELNS1_3gpuE0ELNS1_3repE0EEENS1_47radix_sort_onesweep_sort_config_static_selectorELNS0_4arch9wavefront6targetE0EEEvSG_.uses_flat_scratch, 0
	.set _ZN7rocprim17ROCPRIM_400000_NS6detail17trampoline_kernelINS0_14default_configENS1_35radix_sort_onesweep_config_selectorIhNS0_10empty_typeEEEZZNS1_29radix_sort_onesweep_iterationIS3_Lb0EPKhPhPS5_SB_mNS0_19identity_decomposerENS1_16block_id_wrapperIjLb0EEEEE10hipError_tT1_PNSt15iterator_traitsISG_E10value_typeET2_T3_PNSH_ISM_E10value_typeET4_T5_PSR_SS_PNS1_23onesweep_lookback_stateEbbT6_jjT7_P12ihipStream_tbENKUlT_T0_SG_SL_E_clIS9_SA_SB_SB_EEDaSZ_S10_SG_SL_EUlSZ_E_NS1_11comp_targetILNS1_3genE0ELNS1_11target_archE4294967295ELNS1_3gpuE0ELNS1_3repE0EEENS1_47radix_sort_onesweep_sort_config_static_selectorELNS0_4arch9wavefront6targetE0EEEvSG_.has_dyn_sized_stack, 0
	.set _ZN7rocprim17ROCPRIM_400000_NS6detail17trampoline_kernelINS0_14default_configENS1_35radix_sort_onesweep_config_selectorIhNS0_10empty_typeEEEZZNS1_29radix_sort_onesweep_iterationIS3_Lb0EPKhPhPS5_SB_mNS0_19identity_decomposerENS1_16block_id_wrapperIjLb0EEEEE10hipError_tT1_PNSt15iterator_traitsISG_E10value_typeET2_T3_PNSH_ISM_E10value_typeET4_T5_PSR_SS_PNS1_23onesweep_lookback_stateEbbT6_jjT7_P12ihipStream_tbENKUlT_T0_SG_SL_E_clIS9_SA_SB_SB_EEDaSZ_S10_SG_SL_EUlSZ_E_NS1_11comp_targetILNS1_3genE0ELNS1_11target_archE4294967295ELNS1_3gpuE0ELNS1_3repE0EEENS1_47radix_sort_onesweep_sort_config_static_selectorELNS0_4arch9wavefront6targetE0EEEvSG_.has_recursion, 0
	.set _ZN7rocprim17ROCPRIM_400000_NS6detail17trampoline_kernelINS0_14default_configENS1_35radix_sort_onesweep_config_selectorIhNS0_10empty_typeEEEZZNS1_29radix_sort_onesweep_iterationIS3_Lb0EPKhPhPS5_SB_mNS0_19identity_decomposerENS1_16block_id_wrapperIjLb0EEEEE10hipError_tT1_PNSt15iterator_traitsISG_E10value_typeET2_T3_PNSH_ISM_E10value_typeET4_T5_PSR_SS_PNS1_23onesweep_lookback_stateEbbT6_jjT7_P12ihipStream_tbENKUlT_T0_SG_SL_E_clIS9_SA_SB_SB_EEDaSZ_S10_SG_SL_EUlSZ_E_NS1_11comp_targetILNS1_3genE0ELNS1_11target_archE4294967295ELNS1_3gpuE0ELNS1_3repE0EEENS1_47radix_sort_onesweep_sort_config_static_selectorELNS0_4arch9wavefront6targetE0EEEvSG_.has_indirect_call, 0
	.section	.AMDGPU.csdata,"",@progbits
; Kernel info:
; codeLenInByte = 14076
; TotalNumSgprs: 27
; NumVgprs: 79
; ScratchSize: 0
; MemoryBound: 0
; FloatMode: 240
; IeeeMode: 1
; LDSByteSize: 32904 bytes/workgroup (compile time only)
; SGPRBlocks: 0
; VGPRBlocks: 4
; NumSGPRsForWavesPerEU: 27
; NumVGPRsForWavesPerEU: 79
; NamedBarCnt: 0
; Occupancy: 12
; WaveLimiterHint : 0
; COMPUTE_PGM_RSRC2:SCRATCH_EN: 0
; COMPUTE_PGM_RSRC2:USER_SGPR: 2
; COMPUTE_PGM_RSRC2:TRAP_HANDLER: 0
; COMPUTE_PGM_RSRC2:TGID_X_EN: 1
; COMPUTE_PGM_RSRC2:TGID_Y_EN: 0
; COMPUTE_PGM_RSRC2:TGID_Z_EN: 0
; COMPUTE_PGM_RSRC2:TIDIG_COMP_CNT: 0
	.section	.text._ZN7rocprim17ROCPRIM_400000_NS6detail17trampoline_kernelINS0_14default_configENS1_35radix_sort_onesweep_config_selectorIhNS0_10empty_typeEEEZZNS1_29radix_sort_onesweep_iterationIS3_Lb0EPKhPhPS5_SB_mNS0_19identity_decomposerENS1_16block_id_wrapperIjLb0EEEEE10hipError_tT1_PNSt15iterator_traitsISG_E10value_typeET2_T3_PNSH_ISM_E10value_typeET4_T5_PSR_SS_PNS1_23onesweep_lookback_stateEbbT6_jjT7_P12ihipStream_tbENKUlT_T0_SG_SL_E_clIS9_SA_SB_SB_EEDaSZ_S10_SG_SL_EUlSZ_E_NS1_11comp_targetILNS1_3genE6ELNS1_11target_archE950ELNS1_3gpuE13ELNS1_3repE0EEENS1_47radix_sort_onesweep_sort_config_static_selectorELNS0_4arch9wavefront6targetE0EEEvSG_,"axG",@progbits,_ZN7rocprim17ROCPRIM_400000_NS6detail17trampoline_kernelINS0_14default_configENS1_35radix_sort_onesweep_config_selectorIhNS0_10empty_typeEEEZZNS1_29radix_sort_onesweep_iterationIS3_Lb0EPKhPhPS5_SB_mNS0_19identity_decomposerENS1_16block_id_wrapperIjLb0EEEEE10hipError_tT1_PNSt15iterator_traitsISG_E10value_typeET2_T3_PNSH_ISM_E10value_typeET4_T5_PSR_SS_PNS1_23onesweep_lookback_stateEbbT6_jjT7_P12ihipStream_tbENKUlT_T0_SG_SL_E_clIS9_SA_SB_SB_EEDaSZ_S10_SG_SL_EUlSZ_E_NS1_11comp_targetILNS1_3genE6ELNS1_11target_archE950ELNS1_3gpuE13ELNS1_3repE0EEENS1_47radix_sort_onesweep_sort_config_static_selectorELNS0_4arch9wavefront6targetE0EEEvSG_,comdat
	.protected	_ZN7rocprim17ROCPRIM_400000_NS6detail17trampoline_kernelINS0_14default_configENS1_35radix_sort_onesweep_config_selectorIhNS0_10empty_typeEEEZZNS1_29radix_sort_onesweep_iterationIS3_Lb0EPKhPhPS5_SB_mNS0_19identity_decomposerENS1_16block_id_wrapperIjLb0EEEEE10hipError_tT1_PNSt15iterator_traitsISG_E10value_typeET2_T3_PNSH_ISM_E10value_typeET4_T5_PSR_SS_PNS1_23onesweep_lookback_stateEbbT6_jjT7_P12ihipStream_tbENKUlT_T0_SG_SL_E_clIS9_SA_SB_SB_EEDaSZ_S10_SG_SL_EUlSZ_E_NS1_11comp_targetILNS1_3genE6ELNS1_11target_archE950ELNS1_3gpuE13ELNS1_3repE0EEENS1_47radix_sort_onesweep_sort_config_static_selectorELNS0_4arch9wavefront6targetE0EEEvSG_ ; -- Begin function _ZN7rocprim17ROCPRIM_400000_NS6detail17trampoline_kernelINS0_14default_configENS1_35radix_sort_onesweep_config_selectorIhNS0_10empty_typeEEEZZNS1_29radix_sort_onesweep_iterationIS3_Lb0EPKhPhPS5_SB_mNS0_19identity_decomposerENS1_16block_id_wrapperIjLb0EEEEE10hipError_tT1_PNSt15iterator_traitsISG_E10value_typeET2_T3_PNSH_ISM_E10value_typeET4_T5_PSR_SS_PNS1_23onesweep_lookback_stateEbbT6_jjT7_P12ihipStream_tbENKUlT_T0_SG_SL_E_clIS9_SA_SB_SB_EEDaSZ_S10_SG_SL_EUlSZ_E_NS1_11comp_targetILNS1_3genE6ELNS1_11target_archE950ELNS1_3gpuE13ELNS1_3repE0EEENS1_47radix_sort_onesweep_sort_config_static_selectorELNS0_4arch9wavefront6targetE0EEEvSG_
	.globl	_ZN7rocprim17ROCPRIM_400000_NS6detail17trampoline_kernelINS0_14default_configENS1_35radix_sort_onesweep_config_selectorIhNS0_10empty_typeEEEZZNS1_29radix_sort_onesweep_iterationIS3_Lb0EPKhPhPS5_SB_mNS0_19identity_decomposerENS1_16block_id_wrapperIjLb0EEEEE10hipError_tT1_PNSt15iterator_traitsISG_E10value_typeET2_T3_PNSH_ISM_E10value_typeET4_T5_PSR_SS_PNS1_23onesweep_lookback_stateEbbT6_jjT7_P12ihipStream_tbENKUlT_T0_SG_SL_E_clIS9_SA_SB_SB_EEDaSZ_S10_SG_SL_EUlSZ_E_NS1_11comp_targetILNS1_3genE6ELNS1_11target_archE950ELNS1_3gpuE13ELNS1_3repE0EEENS1_47radix_sort_onesweep_sort_config_static_selectorELNS0_4arch9wavefront6targetE0EEEvSG_
	.p2align	8
	.type	_ZN7rocprim17ROCPRIM_400000_NS6detail17trampoline_kernelINS0_14default_configENS1_35radix_sort_onesweep_config_selectorIhNS0_10empty_typeEEEZZNS1_29radix_sort_onesweep_iterationIS3_Lb0EPKhPhPS5_SB_mNS0_19identity_decomposerENS1_16block_id_wrapperIjLb0EEEEE10hipError_tT1_PNSt15iterator_traitsISG_E10value_typeET2_T3_PNSH_ISM_E10value_typeET4_T5_PSR_SS_PNS1_23onesweep_lookback_stateEbbT6_jjT7_P12ihipStream_tbENKUlT_T0_SG_SL_E_clIS9_SA_SB_SB_EEDaSZ_S10_SG_SL_EUlSZ_E_NS1_11comp_targetILNS1_3genE6ELNS1_11target_archE950ELNS1_3gpuE13ELNS1_3repE0EEENS1_47radix_sort_onesweep_sort_config_static_selectorELNS0_4arch9wavefront6targetE0EEEvSG_,@function
_ZN7rocprim17ROCPRIM_400000_NS6detail17trampoline_kernelINS0_14default_configENS1_35radix_sort_onesweep_config_selectorIhNS0_10empty_typeEEEZZNS1_29radix_sort_onesweep_iterationIS3_Lb0EPKhPhPS5_SB_mNS0_19identity_decomposerENS1_16block_id_wrapperIjLb0EEEEE10hipError_tT1_PNSt15iterator_traitsISG_E10value_typeET2_T3_PNSH_ISM_E10value_typeET4_T5_PSR_SS_PNS1_23onesweep_lookback_stateEbbT6_jjT7_P12ihipStream_tbENKUlT_T0_SG_SL_E_clIS9_SA_SB_SB_EEDaSZ_S10_SG_SL_EUlSZ_E_NS1_11comp_targetILNS1_3genE6ELNS1_11target_archE950ELNS1_3gpuE13ELNS1_3repE0EEENS1_47radix_sort_onesweep_sort_config_static_selectorELNS0_4arch9wavefront6targetE0EEEvSG_: ; @_ZN7rocprim17ROCPRIM_400000_NS6detail17trampoline_kernelINS0_14default_configENS1_35radix_sort_onesweep_config_selectorIhNS0_10empty_typeEEEZZNS1_29radix_sort_onesweep_iterationIS3_Lb0EPKhPhPS5_SB_mNS0_19identity_decomposerENS1_16block_id_wrapperIjLb0EEEEE10hipError_tT1_PNSt15iterator_traitsISG_E10value_typeET2_T3_PNSH_ISM_E10value_typeET4_T5_PSR_SS_PNS1_23onesweep_lookback_stateEbbT6_jjT7_P12ihipStream_tbENKUlT_T0_SG_SL_E_clIS9_SA_SB_SB_EEDaSZ_S10_SG_SL_EUlSZ_E_NS1_11comp_targetILNS1_3genE6ELNS1_11target_archE950ELNS1_3gpuE13ELNS1_3repE0EEENS1_47radix_sort_onesweep_sort_config_static_selectorELNS0_4arch9wavefront6targetE0EEEvSG_
; %bb.0:
	.section	.rodata,"a",@progbits
	.p2align	6, 0x0
	.amdhsa_kernel _ZN7rocprim17ROCPRIM_400000_NS6detail17trampoline_kernelINS0_14default_configENS1_35radix_sort_onesweep_config_selectorIhNS0_10empty_typeEEEZZNS1_29radix_sort_onesweep_iterationIS3_Lb0EPKhPhPS5_SB_mNS0_19identity_decomposerENS1_16block_id_wrapperIjLb0EEEEE10hipError_tT1_PNSt15iterator_traitsISG_E10value_typeET2_T3_PNSH_ISM_E10value_typeET4_T5_PSR_SS_PNS1_23onesweep_lookback_stateEbbT6_jjT7_P12ihipStream_tbENKUlT_T0_SG_SL_E_clIS9_SA_SB_SB_EEDaSZ_S10_SG_SL_EUlSZ_E_NS1_11comp_targetILNS1_3genE6ELNS1_11target_archE950ELNS1_3gpuE13ELNS1_3repE0EEENS1_47radix_sort_onesweep_sort_config_static_selectorELNS0_4arch9wavefront6targetE0EEEvSG_
		.amdhsa_group_segment_fixed_size 0
		.amdhsa_private_segment_fixed_size 0
		.amdhsa_kernarg_size 88
		.amdhsa_user_sgpr_count 2
		.amdhsa_user_sgpr_dispatch_ptr 0
		.amdhsa_user_sgpr_queue_ptr 0
		.amdhsa_user_sgpr_kernarg_segment_ptr 1
		.amdhsa_user_sgpr_dispatch_id 0
		.amdhsa_user_sgpr_kernarg_preload_length 0
		.amdhsa_user_sgpr_kernarg_preload_offset 0
		.amdhsa_user_sgpr_private_segment_size 0
		.amdhsa_wavefront_size32 1
		.amdhsa_uses_dynamic_stack 0
		.amdhsa_enable_private_segment 0
		.amdhsa_system_sgpr_workgroup_id_x 1
		.amdhsa_system_sgpr_workgroup_id_y 0
		.amdhsa_system_sgpr_workgroup_id_z 0
		.amdhsa_system_sgpr_workgroup_info 0
		.amdhsa_system_vgpr_workitem_id 0
		.amdhsa_next_free_vgpr 1
		.amdhsa_next_free_sgpr 1
		.amdhsa_named_barrier_count 0
		.amdhsa_reserve_vcc 0
		.amdhsa_float_round_mode_32 0
		.amdhsa_float_round_mode_16_64 0
		.amdhsa_float_denorm_mode_32 3
		.amdhsa_float_denorm_mode_16_64 3
		.amdhsa_fp16_overflow 0
		.amdhsa_memory_ordered 1
		.amdhsa_forward_progress 1
		.amdhsa_inst_pref_size 0
		.amdhsa_round_robin_scheduling 0
		.amdhsa_exception_fp_ieee_invalid_op 0
		.amdhsa_exception_fp_denorm_src 0
		.amdhsa_exception_fp_ieee_div_zero 0
		.amdhsa_exception_fp_ieee_overflow 0
		.amdhsa_exception_fp_ieee_underflow 0
		.amdhsa_exception_fp_ieee_inexact 0
		.amdhsa_exception_int_div_zero 0
	.end_amdhsa_kernel
	.section	.text._ZN7rocprim17ROCPRIM_400000_NS6detail17trampoline_kernelINS0_14default_configENS1_35radix_sort_onesweep_config_selectorIhNS0_10empty_typeEEEZZNS1_29radix_sort_onesweep_iterationIS3_Lb0EPKhPhPS5_SB_mNS0_19identity_decomposerENS1_16block_id_wrapperIjLb0EEEEE10hipError_tT1_PNSt15iterator_traitsISG_E10value_typeET2_T3_PNSH_ISM_E10value_typeET4_T5_PSR_SS_PNS1_23onesweep_lookback_stateEbbT6_jjT7_P12ihipStream_tbENKUlT_T0_SG_SL_E_clIS9_SA_SB_SB_EEDaSZ_S10_SG_SL_EUlSZ_E_NS1_11comp_targetILNS1_3genE6ELNS1_11target_archE950ELNS1_3gpuE13ELNS1_3repE0EEENS1_47radix_sort_onesweep_sort_config_static_selectorELNS0_4arch9wavefront6targetE0EEEvSG_,"axG",@progbits,_ZN7rocprim17ROCPRIM_400000_NS6detail17trampoline_kernelINS0_14default_configENS1_35radix_sort_onesweep_config_selectorIhNS0_10empty_typeEEEZZNS1_29radix_sort_onesweep_iterationIS3_Lb0EPKhPhPS5_SB_mNS0_19identity_decomposerENS1_16block_id_wrapperIjLb0EEEEE10hipError_tT1_PNSt15iterator_traitsISG_E10value_typeET2_T3_PNSH_ISM_E10value_typeET4_T5_PSR_SS_PNS1_23onesweep_lookback_stateEbbT6_jjT7_P12ihipStream_tbENKUlT_T0_SG_SL_E_clIS9_SA_SB_SB_EEDaSZ_S10_SG_SL_EUlSZ_E_NS1_11comp_targetILNS1_3genE6ELNS1_11target_archE950ELNS1_3gpuE13ELNS1_3repE0EEENS1_47radix_sort_onesweep_sort_config_static_selectorELNS0_4arch9wavefront6targetE0EEEvSG_,comdat
.Lfunc_end238:
	.size	_ZN7rocprim17ROCPRIM_400000_NS6detail17trampoline_kernelINS0_14default_configENS1_35radix_sort_onesweep_config_selectorIhNS0_10empty_typeEEEZZNS1_29radix_sort_onesweep_iterationIS3_Lb0EPKhPhPS5_SB_mNS0_19identity_decomposerENS1_16block_id_wrapperIjLb0EEEEE10hipError_tT1_PNSt15iterator_traitsISG_E10value_typeET2_T3_PNSH_ISM_E10value_typeET4_T5_PSR_SS_PNS1_23onesweep_lookback_stateEbbT6_jjT7_P12ihipStream_tbENKUlT_T0_SG_SL_E_clIS9_SA_SB_SB_EEDaSZ_S10_SG_SL_EUlSZ_E_NS1_11comp_targetILNS1_3genE6ELNS1_11target_archE950ELNS1_3gpuE13ELNS1_3repE0EEENS1_47radix_sort_onesweep_sort_config_static_selectorELNS0_4arch9wavefront6targetE0EEEvSG_, .Lfunc_end238-_ZN7rocprim17ROCPRIM_400000_NS6detail17trampoline_kernelINS0_14default_configENS1_35radix_sort_onesweep_config_selectorIhNS0_10empty_typeEEEZZNS1_29radix_sort_onesweep_iterationIS3_Lb0EPKhPhPS5_SB_mNS0_19identity_decomposerENS1_16block_id_wrapperIjLb0EEEEE10hipError_tT1_PNSt15iterator_traitsISG_E10value_typeET2_T3_PNSH_ISM_E10value_typeET4_T5_PSR_SS_PNS1_23onesweep_lookback_stateEbbT6_jjT7_P12ihipStream_tbENKUlT_T0_SG_SL_E_clIS9_SA_SB_SB_EEDaSZ_S10_SG_SL_EUlSZ_E_NS1_11comp_targetILNS1_3genE6ELNS1_11target_archE950ELNS1_3gpuE13ELNS1_3repE0EEENS1_47radix_sort_onesweep_sort_config_static_selectorELNS0_4arch9wavefront6targetE0EEEvSG_
                                        ; -- End function
	.set _ZN7rocprim17ROCPRIM_400000_NS6detail17trampoline_kernelINS0_14default_configENS1_35radix_sort_onesweep_config_selectorIhNS0_10empty_typeEEEZZNS1_29radix_sort_onesweep_iterationIS3_Lb0EPKhPhPS5_SB_mNS0_19identity_decomposerENS1_16block_id_wrapperIjLb0EEEEE10hipError_tT1_PNSt15iterator_traitsISG_E10value_typeET2_T3_PNSH_ISM_E10value_typeET4_T5_PSR_SS_PNS1_23onesweep_lookback_stateEbbT6_jjT7_P12ihipStream_tbENKUlT_T0_SG_SL_E_clIS9_SA_SB_SB_EEDaSZ_S10_SG_SL_EUlSZ_E_NS1_11comp_targetILNS1_3genE6ELNS1_11target_archE950ELNS1_3gpuE13ELNS1_3repE0EEENS1_47radix_sort_onesweep_sort_config_static_selectorELNS0_4arch9wavefront6targetE0EEEvSG_.num_vgpr, 0
	.set _ZN7rocprim17ROCPRIM_400000_NS6detail17trampoline_kernelINS0_14default_configENS1_35radix_sort_onesweep_config_selectorIhNS0_10empty_typeEEEZZNS1_29radix_sort_onesweep_iterationIS3_Lb0EPKhPhPS5_SB_mNS0_19identity_decomposerENS1_16block_id_wrapperIjLb0EEEEE10hipError_tT1_PNSt15iterator_traitsISG_E10value_typeET2_T3_PNSH_ISM_E10value_typeET4_T5_PSR_SS_PNS1_23onesweep_lookback_stateEbbT6_jjT7_P12ihipStream_tbENKUlT_T0_SG_SL_E_clIS9_SA_SB_SB_EEDaSZ_S10_SG_SL_EUlSZ_E_NS1_11comp_targetILNS1_3genE6ELNS1_11target_archE950ELNS1_3gpuE13ELNS1_3repE0EEENS1_47radix_sort_onesweep_sort_config_static_selectorELNS0_4arch9wavefront6targetE0EEEvSG_.num_agpr, 0
	.set _ZN7rocprim17ROCPRIM_400000_NS6detail17trampoline_kernelINS0_14default_configENS1_35radix_sort_onesweep_config_selectorIhNS0_10empty_typeEEEZZNS1_29radix_sort_onesweep_iterationIS3_Lb0EPKhPhPS5_SB_mNS0_19identity_decomposerENS1_16block_id_wrapperIjLb0EEEEE10hipError_tT1_PNSt15iterator_traitsISG_E10value_typeET2_T3_PNSH_ISM_E10value_typeET4_T5_PSR_SS_PNS1_23onesweep_lookback_stateEbbT6_jjT7_P12ihipStream_tbENKUlT_T0_SG_SL_E_clIS9_SA_SB_SB_EEDaSZ_S10_SG_SL_EUlSZ_E_NS1_11comp_targetILNS1_3genE6ELNS1_11target_archE950ELNS1_3gpuE13ELNS1_3repE0EEENS1_47radix_sort_onesweep_sort_config_static_selectorELNS0_4arch9wavefront6targetE0EEEvSG_.numbered_sgpr, 0
	.set _ZN7rocprim17ROCPRIM_400000_NS6detail17trampoline_kernelINS0_14default_configENS1_35radix_sort_onesweep_config_selectorIhNS0_10empty_typeEEEZZNS1_29radix_sort_onesweep_iterationIS3_Lb0EPKhPhPS5_SB_mNS0_19identity_decomposerENS1_16block_id_wrapperIjLb0EEEEE10hipError_tT1_PNSt15iterator_traitsISG_E10value_typeET2_T3_PNSH_ISM_E10value_typeET4_T5_PSR_SS_PNS1_23onesweep_lookback_stateEbbT6_jjT7_P12ihipStream_tbENKUlT_T0_SG_SL_E_clIS9_SA_SB_SB_EEDaSZ_S10_SG_SL_EUlSZ_E_NS1_11comp_targetILNS1_3genE6ELNS1_11target_archE950ELNS1_3gpuE13ELNS1_3repE0EEENS1_47radix_sort_onesweep_sort_config_static_selectorELNS0_4arch9wavefront6targetE0EEEvSG_.num_named_barrier, 0
	.set _ZN7rocprim17ROCPRIM_400000_NS6detail17trampoline_kernelINS0_14default_configENS1_35radix_sort_onesweep_config_selectorIhNS0_10empty_typeEEEZZNS1_29radix_sort_onesweep_iterationIS3_Lb0EPKhPhPS5_SB_mNS0_19identity_decomposerENS1_16block_id_wrapperIjLb0EEEEE10hipError_tT1_PNSt15iterator_traitsISG_E10value_typeET2_T3_PNSH_ISM_E10value_typeET4_T5_PSR_SS_PNS1_23onesweep_lookback_stateEbbT6_jjT7_P12ihipStream_tbENKUlT_T0_SG_SL_E_clIS9_SA_SB_SB_EEDaSZ_S10_SG_SL_EUlSZ_E_NS1_11comp_targetILNS1_3genE6ELNS1_11target_archE950ELNS1_3gpuE13ELNS1_3repE0EEENS1_47radix_sort_onesweep_sort_config_static_selectorELNS0_4arch9wavefront6targetE0EEEvSG_.private_seg_size, 0
	.set _ZN7rocprim17ROCPRIM_400000_NS6detail17trampoline_kernelINS0_14default_configENS1_35radix_sort_onesweep_config_selectorIhNS0_10empty_typeEEEZZNS1_29radix_sort_onesweep_iterationIS3_Lb0EPKhPhPS5_SB_mNS0_19identity_decomposerENS1_16block_id_wrapperIjLb0EEEEE10hipError_tT1_PNSt15iterator_traitsISG_E10value_typeET2_T3_PNSH_ISM_E10value_typeET4_T5_PSR_SS_PNS1_23onesweep_lookback_stateEbbT6_jjT7_P12ihipStream_tbENKUlT_T0_SG_SL_E_clIS9_SA_SB_SB_EEDaSZ_S10_SG_SL_EUlSZ_E_NS1_11comp_targetILNS1_3genE6ELNS1_11target_archE950ELNS1_3gpuE13ELNS1_3repE0EEENS1_47radix_sort_onesweep_sort_config_static_selectorELNS0_4arch9wavefront6targetE0EEEvSG_.uses_vcc, 0
	.set _ZN7rocprim17ROCPRIM_400000_NS6detail17trampoline_kernelINS0_14default_configENS1_35radix_sort_onesweep_config_selectorIhNS0_10empty_typeEEEZZNS1_29radix_sort_onesweep_iterationIS3_Lb0EPKhPhPS5_SB_mNS0_19identity_decomposerENS1_16block_id_wrapperIjLb0EEEEE10hipError_tT1_PNSt15iterator_traitsISG_E10value_typeET2_T3_PNSH_ISM_E10value_typeET4_T5_PSR_SS_PNS1_23onesweep_lookback_stateEbbT6_jjT7_P12ihipStream_tbENKUlT_T0_SG_SL_E_clIS9_SA_SB_SB_EEDaSZ_S10_SG_SL_EUlSZ_E_NS1_11comp_targetILNS1_3genE6ELNS1_11target_archE950ELNS1_3gpuE13ELNS1_3repE0EEENS1_47radix_sort_onesweep_sort_config_static_selectorELNS0_4arch9wavefront6targetE0EEEvSG_.uses_flat_scratch, 0
	.set _ZN7rocprim17ROCPRIM_400000_NS6detail17trampoline_kernelINS0_14default_configENS1_35radix_sort_onesweep_config_selectorIhNS0_10empty_typeEEEZZNS1_29radix_sort_onesweep_iterationIS3_Lb0EPKhPhPS5_SB_mNS0_19identity_decomposerENS1_16block_id_wrapperIjLb0EEEEE10hipError_tT1_PNSt15iterator_traitsISG_E10value_typeET2_T3_PNSH_ISM_E10value_typeET4_T5_PSR_SS_PNS1_23onesweep_lookback_stateEbbT6_jjT7_P12ihipStream_tbENKUlT_T0_SG_SL_E_clIS9_SA_SB_SB_EEDaSZ_S10_SG_SL_EUlSZ_E_NS1_11comp_targetILNS1_3genE6ELNS1_11target_archE950ELNS1_3gpuE13ELNS1_3repE0EEENS1_47radix_sort_onesweep_sort_config_static_selectorELNS0_4arch9wavefront6targetE0EEEvSG_.has_dyn_sized_stack, 0
	.set _ZN7rocprim17ROCPRIM_400000_NS6detail17trampoline_kernelINS0_14default_configENS1_35radix_sort_onesweep_config_selectorIhNS0_10empty_typeEEEZZNS1_29radix_sort_onesweep_iterationIS3_Lb0EPKhPhPS5_SB_mNS0_19identity_decomposerENS1_16block_id_wrapperIjLb0EEEEE10hipError_tT1_PNSt15iterator_traitsISG_E10value_typeET2_T3_PNSH_ISM_E10value_typeET4_T5_PSR_SS_PNS1_23onesweep_lookback_stateEbbT6_jjT7_P12ihipStream_tbENKUlT_T0_SG_SL_E_clIS9_SA_SB_SB_EEDaSZ_S10_SG_SL_EUlSZ_E_NS1_11comp_targetILNS1_3genE6ELNS1_11target_archE950ELNS1_3gpuE13ELNS1_3repE0EEENS1_47radix_sort_onesweep_sort_config_static_selectorELNS0_4arch9wavefront6targetE0EEEvSG_.has_recursion, 0
	.set _ZN7rocprim17ROCPRIM_400000_NS6detail17trampoline_kernelINS0_14default_configENS1_35radix_sort_onesweep_config_selectorIhNS0_10empty_typeEEEZZNS1_29radix_sort_onesweep_iterationIS3_Lb0EPKhPhPS5_SB_mNS0_19identity_decomposerENS1_16block_id_wrapperIjLb0EEEEE10hipError_tT1_PNSt15iterator_traitsISG_E10value_typeET2_T3_PNSH_ISM_E10value_typeET4_T5_PSR_SS_PNS1_23onesweep_lookback_stateEbbT6_jjT7_P12ihipStream_tbENKUlT_T0_SG_SL_E_clIS9_SA_SB_SB_EEDaSZ_S10_SG_SL_EUlSZ_E_NS1_11comp_targetILNS1_3genE6ELNS1_11target_archE950ELNS1_3gpuE13ELNS1_3repE0EEENS1_47radix_sort_onesweep_sort_config_static_selectorELNS0_4arch9wavefront6targetE0EEEvSG_.has_indirect_call, 0
	.section	.AMDGPU.csdata,"",@progbits
; Kernel info:
; codeLenInByte = 0
; TotalNumSgprs: 0
; NumVgprs: 0
; ScratchSize: 0
; MemoryBound: 0
; FloatMode: 240
; IeeeMode: 1
; LDSByteSize: 0 bytes/workgroup (compile time only)
; SGPRBlocks: 0
; VGPRBlocks: 0
; NumSGPRsForWavesPerEU: 1
; NumVGPRsForWavesPerEU: 1
; NamedBarCnt: 0
; Occupancy: 16
; WaveLimiterHint : 0
; COMPUTE_PGM_RSRC2:SCRATCH_EN: 0
; COMPUTE_PGM_RSRC2:USER_SGPR: 2
; COMPUTE_PGM_RSRC2:TRAP_HANDLER: 0
; COMPUTE_PGM_RSRC2:TGID_X_EN: 1
; COMPUTE_PGM_RSRC2:TGID_Y_EN: 0
; COMPUTE_PGM_RSRC2:TGID_Z_EN: 0
; COMPUTE_PGM_RSRC2:TIDIG_COMP_CNT: 0
	.section	.text._ZN7rocprim17ROCPRIM_400000_NS6detail17trampoline_kernelINS0_14default_configENS1_35radix_sort_onesweep_config_selectorIhNS0_10empty_typeEEEZZNS1_29radix_sort_onesweep_iterationIS3_Lb0EPKhPhPS5_SB_mNS0_19identity_decomposerENS1_16block_id_wrapperIjLb0EEEEE10hipError_tT1_PNSt15iterator_traitsISG_E10value_typeET2_T3_PNSH_ISM_E10value_typeET4_T5_PSR_SS_PNS1_23onesweep_lookback_stateEbbT6_jjT7_P12ihipStream_tbENKUlT_T0_SG_SL_E_clIS9_SA_SB_SB_EEDaSZ_S10_SG_SL_EUlSZ_E_NS1_11comp_targetILNS1_3genE5ELNS1_11target_archE942ELNS1_3gpuE9ELNS1_3repE0EEENS1_47radix_sort_onesweep_sort_config_static_selectorELNS0_4arch9wavefront6targetE0EEEvSG_,"axG",@progbits,_ZN7rocprim17ROCPRIM_400000_NS6detail17trampoline_kernelINS0_14default_configENS1_35radix_sort_onesweep_config_selectorIhNS0_10empty_typeEEEZZNS1_29radix_sort_onesweep_iterationIS3_Lb0EPKhPhPS5_SB_mNS0_19identity_decomposerENS1_16block_id_wrapperIjLb0EEEEE10hipError_tT1_PNSt15iterator_traitsISG_E10value_typeET2_T3_PNSH_ISM_E10value_typeET4_T5_PSR_SS_PNS1_23onesweep_lookback_stateEbbT6_jjT7_P12ihipStream_tbENKUlT_T0_SG_SL_E_clIS9_SA_SB_SB_EEDaSZ_S10_SG_SL_EUlSZ_E_NS1_11comp_targetILNS1_3genE5ELNS1_11target_archE942ELNS1_3gpuE9ELNS1_3repE0EEENS1_47radix_sort_onesweep_sort_config_static_selectorELNS0_4arch9wavefront6targetE0EEEvSG_,comdat
	.protected	_ZN7rocprim17ROCPRIM_400000_NS6detail17trampoline_kernelINS0_14default_configENS1_35radix_sort_onesweep_config_selectorIhNS0_10empty_typeEEEZZNS1_29radix_sort_onesweep_iterationIS3_Lb0EPKhPhPS5_SB_mNS0_19identity_decomposerENS1_16block_id_wrapperIjLb0EEEEE10hipError_tT1_PNSt15iterator_traitsISG_E10value_typeET2_T3_PNSH_ISM_E10value_typeET4_T5_PSR_SS_PNS1_23onesweep_lookback_stateEbbT6_jjT7_P12ihipStream_tbENKUlT_T0_SG_SL_E_clIS9_SA_SB_SB_EEDaSZ_S10_SG_SL_EUlSZ_E_NS1_11comp_targetILNS1_3genE5ELNS1_11target_archE942ELNS1_3gpuE9ELNS1_3repE0EEENS1_47radix_sort_onesweep_sort_config_static_selectorELNS0_4arch9wavefront6targetE0EEEvSG_ ; -- Begin function _ZN7rocprim17ROCPRIM_400000_NS6detail17trampoline_kernelINS0_14default_configENS1_35radix_sort_onesweep_config_selectorIhNS0_10empty_typeEEEZZNS1_29radix_sort_onesweep_iterationIS3_Lb0EPKhPhPS5_SB_mNS0_19identity_decomposerENS1_16block_id_wrapperIjLb0EEEEE10hipError_tT1_PNSt15iterator_traitsISG_E10value_typeET2_T3_PNSH_ISM_E10value_typeET4_T5_PSR_SS_PNS1_23onesweep_lookback_stateEbbT6_jjT7_P12ihipStream_tbENKUlT_T0_SG_SL_E_clIS9_SA_SB_SB_EEDaSZ_S10_SG_SL_EUlSZ_E_NS1_11comp_targetILNS1_3genE5ELNS1_11target_archE942ELNS1_3gpuE9ELNS1_3repE0EEENS1_47radix_sort_onesweep_sort_config_static_selectorELNS0_4arch9wavefront6targetE0EEEvSG_
	.globl	_ZN7rocprim17ROCPRIM_400000_NS6detail17trampoline_kernelINS0_14default_configENS1_35radix_sort_onesweep_config_selectorIhNS0_10empty_typeEEEZZNS1_29radix_sort_onesweep_iterationIS3_Lb0EPKhPhPS5_SB_mNS0_19identity_decomposerENS1_16block_id_wrapperIjLb0EEEEE10hipError_tT1_PNSt15iterator_traitsISG_E10value_typeET2_T3_PNSH_ISM_E10value_typeET4_T5_PSR_SS_PNS1_23onesweep_lookback_stateEbbT6_jjT7_P12ihipStream_tbENKUlT_T0_SG_SL_E_clIS9_SA_SB_SB_EEDaSZ_S10_SG_SL_EUlSZ_E_NS1_11comp_targetILNS1_3genE5ELNS1_11target_archE942ELNS1_3gpuE9ELNS1_3repE0EEENS1_47radix_sort_onesweep_sort_config_static_selectorELNS0_4arch9wavefront6targetE0EEEvSG_
	.p2align	8
	.type	_ZN7rocprim17ROCPRIM_400000_NS6detail17trampoline_kernelINS0_14default_configENS1_35radix_sort_onesweep_config_selectorIhNS0_10empty_typeEEEZZNS1_29radix_sort_onesweep_iterationIS3_Lb0EPKhPhPS5_SB_mNS0_19identity_decomposerENS1_16block_id_wrapperIjLb0EEEEE10hipError_tT1_PNSt15iterator_traitsISG_E10value_typeET2_T3_PNSH_ISM_E10value_typeET4_T5_PSR_SS_PNS1_23onesweep_lookback_stateEbbT6_jjT7_P12ihipStream_tbENKUlT_T0_SG_SL_E_clIS9_SA_SB_SB_EEDaSZ_S10_SG_SL_EUlSZ_E_NS1_11comp_targetILNS1_3genE5ELNS1_11target_archE942ELNS1_3gpuE9ELNS1_3repE0EEENS1_47radix_sort_onesweep_sort_config_static_selectorELNS0_4arch9wavefront6targetE0EEEvSG_,@function
_ZN7rocprim17ROCPRIM_400000_NS6detail17trampoline_kernelINS0_14default_configENS1_35radix_sort_onesweep_config_selectorIhNS0_10empty_typeEEEZZNS1_29radix_sort_onesweep_iterationIS3_Lb0EPKhPhPS5_SB_mNS0_19identity_decomposerENS1_16block_id_wrapperIjLb0EEEEE10hipError_tT1_PNSt15iterator_traitsISG_E10value_typeET2_T3_PNSH_ISM_E10value_typeET4_T5_PSR_SS_PNS1_23onesweep_lookback_stateEbbT6_jjT7_P12ihipStream_tbENKUlT_T0_SG_SL_E_clIS9_SA_SB_SB_EEDaSZ_S10_SG_SL_EUlSZ_E_NS1_11comp_targetILNS1_3genE5ELNS1_11target_archE942ELNS1_3gpuE9ELNS1_3repE0EEENS1_47radix_sort_onesweep_sort_config_static_selectorELNS0_4arch9wavefront6targetE0EEEvSG_: ; @_ZN7rocprim17ROCPRIM_400000_NS6detail17trampoline_kernelINS0_14default_configENS1_35radix_sort_onesweep_config_selectorIhNS0_10empty_typeEEEZZNS1_29radix_sort_onesweep_iterationIS3_Lb0EPKhPhPS5_SB_mNS0_19identity_decomposerENS1_16block_id_wrapperIjLb0EEEEE10hipError_tT1_PNSt15iterator_traitsISG_E10value_typeET2_T3_PNSH_ISM_E10value_typeET4_T5_PSR_SS_PNS1_23onesweep_lookback_stateEbbT6_jjT7_P12ihipStream_tbENKUlT_T0_SG_SL_E_clIS9_SA_SB_SB_EEDaSZ_S10_SG_SL_EUlSZ_E_NS1_11comp_targetILNS1_3genE5ELNS1_11target_archE942ELNS1_3gpuE9ELNS1_3repE0EEENS1_47radix_sort_onesweep_sort_config_static_selectorELNS0_4arch9wavefront6targetE0EEEvSG_
; %bb.0:
	.section	.rodata,"a",@progbits
	.p2align	6, 0x0
	.amdhsa_kernel _ZN7rocprim17ROCPRIM_400000_NS6detail17trampoline_kernelINS0_14default_configENS1_35radix_sort_onesweep_config_selectorIhNS0_10empty_typeEEEZZNS1_29radix_sort_onesweep_iterationIS3_Lb0EPKhPhPS5_SB_mNS0_19identity_decomposerENS1_16block_id_wrapperIjLb0EEEEE10hipError_tT1_PNSt15iterator_traitsISG_E10value_typeET2_T3_PNSH_ISM_E10value_typeET4_T5_PSR_SS_PNS1_23onesweep_lookback_stateEbbT6_jjT7_P12ihipStream_tbENKUlT_T0_SG_SL_E_clIS9_SA_SB_SB_EEDaSZ_S10_SG_SL_EUlSZ_E_NS1_11comp_targetILNS1_3genE5ELNS1_11target_archE942ELNS1_3gpuE9ELNS1_3repE0EEENS1_47radix_sort_onesweep_sort_config_static_selectorELNS0_4arch9wavefront6targetE0EEEvSG_
		.amdhsa_group_segment_fixed_size 0
		.amdhsa_private_segment_fixed_size 0
		.amdhsa_kernarg_size 88
		.amdhsa_user_sgpr_count 2
		.amdhsa_user_sgpr_dispatch_ptr 0
		.amdhsa_user_sgpr_queue_ptr 0
		.amdhsa_user_sgpr_kernarg_segment_ptr 1
		.amdhsa_user_sgpr_dispatch_id 0
		.amdhsa_user_sgpr_kernarg_preload_length 0
		.amdhsa_user_sgpr_kernarg_preload_offset 0
		.amdhsa_user_sgpr_private_segment_size 0
		.amdhsa_wavefront_size32 1
		.amdhsa_uses_dynamic_stack 0
		.amdhsa_enable_private_segment 0
		.amdhsa_system_sgpr_workgroup_id_x 1
		.amdhsa_system_sgpr_workgroup_id_y 0
		.amdhsa_system_sgpr_workgroup_id_z 0
		.amdhsa_system_sgpr_workgroup_info 0
		.amdhsa_system_vgpr_workitem_id 0
		.amdhsa_next_free_vgpr 1
		.amdhsa_next_free_sgpr 1
		.amdhsa_named_barrier_count 0
		.amdhsa_reserve_vcc 0
		.amdhsa_float_round_mode_32 0
		.amdhsa_float_round_mode_16_64 0
		.amdhsa_float_denorm_mode_32 3
		.amdhsa_float_denorm_mode_16_64 3
		.amdhsa_fp16_overflow 0
		.amdhsa_memory_ordered 1
		.amdhsa_forward_progress 1
		.amdhsa_inst_pref_size 0
		.amdhsa_round_robin_scheduling 0
		.amdhsa_exception_fp_ieee_invalid_op 0
		.amdhsa_exception_fp_denorm_src 0
		.amdhsa_exception_fp_ieee_div_zero 0
		.amdhsa_exception_fp_ieee_overflow 0
		.amdhsa_exception_fp_ieee_underflow 0
		.amdhsa_exception_fp_ieee_inexact 0
		.amdhsa_exception_int_div_zero 0
	.end_amdhsa_kernel
	.section	.text._ZN7rocprim17ROCPRIM_400000_NS6detail17trampoline_kernelINS0_14default_configENS1_35radix_sort_onesweep_config_selectorIhNS0_10empty_typeEEEZZNS1_29radix_sort_onesweep_iterationIS3_Lb0EPKhPhPS5_SB_mNS0_19identity_decomposerENS1_16block_id_wrapperIjLb0EEEEE10hipError_tT1_PNSt15iterator_traitsISG_E10value_typeET2_T3_PNSH_ISM_E10value_typeET4_T5_PSR_SS_PNS1_23onesweep_lookback_stateEbbT6_jjT7_P12ihipStream_tbENKUlT_T0_SG_SL_E_clIS9_SA_SB_SB_EEDaSZ_S10_SG_SL_EUlSZ_E_NS1_11comp_targetILNS1_3genE5ELNS1_11target_archE942ELNS1_3gpuE9ELNS1_3repE0EEENS1_47radix_sort_onesweep_sort_config_static_selectorELNS0_4arch9wavefront6targetE0EEEvSG_,"axG",@progbits,_ZN7rocprim17ROCPRIM_400000_NS6detail17trampoline_kernelINS0_14default_configENS1_35radix_sort_onesweep_config_selectorIhNS0_10empty_typeEEEZZNS1_29radix_sort_onesweep_iterationIS3_Lb0EPKhPhPS5_SB_mNS0_19identity_decomposerENS1_16block_id_wrapperIjLb0EEEEE10hipError_tT1_PNSt15iterator_traitsISG_E10value_typeET2_T3_PNSH_ISM_E10value_typeET4_T5_PSR_SS_PNS1_23onesweep_lookback_stateEbbT6_jjT7_P12ihipStream_tbENKUlT_T0_SG_SL_E_clIS9_SA_SB_SB_EEDaSZ_S10_SG_SL_EUlSZ_E_NS1_11comp_targetILNS1_3genE5ELNS1_11target_archE942ELNS1_3gpuE9ELNS1_3repE0EEENS1_47radix_sort_onesweep_sort_config_static_selectorELNS0_4arch9wavefront6targetE0EEEvSG_,comdat
.Lfunc_end239:
	.size	_ZN7rocprim17ROCPRIM_400000_NS6detail17trampoline_kernelINS0_14default_configENS1_35radix_sort_onesweep_config_selectorIhNS0_10empty_typeEEEZZNS1_29radix_sort_onesweep_iterationIS3_Lb0EPKhPhPS5_SB_mNS0_19identity_decomposerENS1_16block_id_wrapperIjLb0EEEEE10hipError_tT1_PNSt15iterator_traitsISG_E10value_typeET2_T3_PNSH_ISM_E10value_typeET4_T5_PSR_SS_PNS1_23onesweep_lookback_stateEbbT6_jjT7_P12ihipStream_tbENKUlT_T0_SG_SL_E_clIS9_SA_SB_SB_EEDaSZ_S10_SG_SL_EUlSZ_E_NS1_11comp_targetILNS1_3genE5ELNS1_11target_archE942ELNS1_3gpuE9ELNS1_3repE0EEENS1_47radix_sort_onesweep_sort_config_static_selectorELNS0_4arch9wavefront6targetE0EEEvSG_, .Lfunc_end239-_ZN7rocprim17ROCPRIM_400000_NS6detail17trampoline_kernelINS0_14default_configENS1_35radix_sort_onesweep_config_selectorIhNS0_10empty_typeEEEZZNS1_29radix_sort_onesweep_iterationIS3_Lb0EPKhPhPS5_SB_mNS0_19identity_decomposerENS1_16block_id_wrapperIjLb0EEEEE10hipError_tT1_PNSt15iterator_traitsISG_E10value_typeET2_T3_PNSH_ISM_E10value_typeET4_T5_PSR_SS_PNS1_23onesweep_lookback_stateEbbT6_jjT7_P12ihipStream_tbENKUlT_T0_SG_SL_E_clIS9_SA_SB_SB_EEDaSZ_S10_SG_SL_EUlSZ_E_NS1_11comp_targetILNS1_3genE5ELNS1_11target_archE942ELNS1_3gpuE9ELNS1_3repE0EEENS1_47radix_sort_onesweep_sort_config_static_selectorELNS0_4arch9wavefront6targetE0EEEvSG_
                                        ; -- End function
	.set _ZN7rocprim17ROCPRIM_400000_NS6detail17trampoline_kernelINS0_14default_configENS1_35radix_sort_onesweep_config_selectorIhNS0_10empty_typeEEEZZNS1_29radix_sort_onesweep_iterationIS3_Lb0EPKhPhPS5_SB_mNS0_19identity_decomposerENS1_16block_id_wrapperIjLb0EEEEE10hipError_tT1_PNSt15iterator_traitsISG_E10value_typeET2_T3_PNSH_ISM_E10value_typeET4_T5_PSR_SS_PNS1_23onesweep_lookback_stateEbbT6_jjT7_P12ihipStream_tbENKUlT_T0_SG_SL_E_clIS9_SA_SB_SB_EEDaSZ_S10_SG_SL_EUlSZ_E_NS1_11comp_targetILNS1_3genE5ELNS1_11target_archE942ELNS1_3gpuE9ELNS1_3repE0EEENS1_47radix_sort_onesweep_sort_config_static_selectorELNS0_4arch9wavefront6targetE0EEEvSG_.num_vgpr, 0
	.set _ZN7rocprim17ROCPRIM_400000_NS6detail17trampoline_kernelINS0_14default_configENS1_35radix_sort_onesweep_config_selectorIhNS0_10empty_typeEEEZZNS1_29radix_sort_onesweep_iterationIS3_Lb0EPKhPhPS5_SB_mNS0_19identity_decomposerENS1_16block_id_wrapperIjLb0EEEEE10hipError_tT1_PNSt15iterator_traitsISG_E10value_typeET2_T3_PNSH_ISM_E10value_typeET4_T5_PSR_SS_PNS1_23onesweep_lookback_stateEbbT6_jjT7_P12ihipStream_tbENKUlT_T0_SG_SL_E_clIS9_SA_SB_SB_EEDaSZ_S10_SG_SL_EUlSZ_E_NS1_11comp_targetILNS1_3genE5ELNS1_11target_archE942ELNS1_3gpuE9ELNS1_3repE0EEENS1_47radix_sort_onesweep_sort_config_static_selectorELNS0_4arch9wavefront6targetE0EEEvSG_.num_agpr, 0
	.set _ZN7rocprim17ROCPRIM_400000_NS6detail17trampoline_kernelINS0_14default_configENS1_35radix_sort_onesweep_config_selectorIhNS0_10empty_typeEEEZZNS1_29radix_sort_onesweep_iterationIS3_Lb0EPKhPhPS5_SB_mNS0_19identity_decomposerENS1_16block_id_wrapperIjLb0EEEEE10hipError_tT1_PNSt15iterator_traitsISG_E10value_typeET2_T3_PNSH_ISM_E10value_typeET4_T5_PSR_SS_PNS1_23onesweep_lookback_stateEbbT6_jjT7_P12ihipStream_tbENKUlT_T0_SG_SL_E_clIS9_SA_SB_SB_EEDaSZ_S10_SG_SL_EUlSZ_E_NS1_11comp_targetILNS1_3genE5ELNS1_11target_archE942ELNS1_3gpuE9ELNS1_3repE0EEENS1_47radix_sort_onesweep_sort_config_static_selectorELNS0_4arch9wavefront6targetE0EEEvSG_.numbered_sgpr, 0
	.set _ZN7rocprim17ROCPRIM_400000_NS6detail17trampoline_kernelINS0_14default_configENS1_35radix_sort_onesweep_config_selectorIhNS0_10empty_typeEEEZZNS1_29radix_sort_onesweep_iterationIS3_Lb0EPKhPhPS5_SB_mNS0_19identity_decomposerENS1_16block_id_wrapperIjLb0EEEEE10hipError_tT1_PNSt15iterator_traitsISG_E10value_typeET2_T3_PNSH_ISM_E10value_typeET4_T5_PSR_SS_PNS1_23onesweep_lookback_stateEbbT6_jjT7_P12ihipStream_tbENKUlT_T0_SG_SL_E_clIS9_SA_SB_SB_EEDaSZ_S10_SG_SL_EUlSZ_E_NS1_11comp_targetILNS1_3genE5ELNS1_11target_archE942ELNS1_3gpuE9ELNS1_3repE0EEENS1_47radix_sort_onesweep_sort_config_static_selectorELNS0_4arch9wavefront6targetE0EEEvSG_.num_named_barrier, 0
	.set _ZN7rocprim17ROCPRIM_400000_NS6detail17trampoline_kernelINS0_14default_configENS1_35radix_sort_onesweep_config_selectorIhNS0_10empty_typeEEEZZNS1_29radix_sort_onesweep_iterationIS3_Lb0EPKhPhPS5_SB_mNS0_19identity_decomposerENS1_16block_id_wrapperIjLb0EEEEE10hipError_tT1_PNSt15iterator_traitsISG_E10value_typeET2_T3_PNSH_ISM_E10value_typeET4_T5_PSR_SS_PNS1_23onesweep_lookback_stateEbbT6_jjT7_P12ihipStream_tbENKUlT_T0_SG_SL_E_clIS9_SA_SB_SB_EEDaSZ_S10_SG_SL_EUlSZ_E_NS1_11comp_targetILNS1_3genE5ELNS1_11target_archE942ELNS1_3gpuE9ELNS1_3repE0EEENS1_47radix_sort_onesweep_sort_config_static_selectorELNS0_4arch9wavefront6targetE0EEEvSG_.private_seg_size, 0
	.set _ZN7rocprim17ROCPRIM_400000_NS6detail17trampoline_kernelINS0_14default_configENS1_35radix_sort_onesweep_config_selectorIhNS0_10empty_typeEEEZZNS1_29radix_sort_onesweep_iterationIS3_Lb0EPKhPhPS5_SB_mNS0_19identity_decomposerENS1_16block_id_wrapperIjLb0EEEEE10hipError_tT1_PNSt15iterator_traitsISG_E10value_typeET2_T3_PNSH_ISM_E10value_typeET4_T5_PSR_SS_PNS1_23onesweep_lookback_stateEbbT6_jjT7_P12ihipStream_tbENKUlT_T0_SG_SL_E_clIS9_SA_SB_SB_EEDaSZ_S10_SG_SL_EUlSZ_E_NS1_11comp_targetILNS1_3genE5ELNS1_11target_archE942ELNS1_3gpuE9ELNS1_3repE0EEENS1_47radix_sort_onesweep_sort_config_static_selectorELNS0_4arch9wavefront6targetE0EEEvSG_.uses_vcc, 0
	.set _ZN7rocprim17ROCPRIM_400000_NS6detail17trampoline_kernelINS0_14default_configENS1_35radix_sort_onesweep_config_selectorIhNS0_10empty_typeEEEZZNS1_29radix_sort_onesweep_iterationIS3_Lb0EPKhPhPS5_SB_mNS0_19identity_decomposerENS1_16block_id_wrapperIjLb0EEEEE10hipError_tT1_PNSt15iterator_traitsISG_E10value_typeET2_T3_PNSH_ISM_E10value_typeET4_T5_PSR_SS_PNS1_23onesweep_lookback_stateEbbT6_jjT7_P12ihipStream_tbENKUlT_T0_SG_SL_E_clIS9_SA_SB_SB_EEDaSZ_S10_SG_SL_EUlSZ_E_NS1_11comp_targetILNS1_3genE5ELNS1_11target_archE942ELNS1_3gpuE9ELNS1_3repE0EEENS1_47radix_sort_onesweep_sort_config_static_selectorELNS0_4arch9wavefront6targetE0EEEvSG_.uses_flat_scratch, 0
	.set _ZN7rocprim17ROCPRIM_400000_NS6detail17trampoline_kernelINS0_14default_configENS1_35radix_sort_onesweep_config_selectorIhNS0_10empty_typeEEEZZNS1_29radix_sort_onesweep_iterationIS3_Lb0EPKhPhPS5_SB_mNS0_19identity_decomposerENS1_16block_id_wrapperIjLb0EEEEE10hipError_tT1_PNSt15iterator_traitsISG_E10value_typeET2_T3_PNSH_ISM_E10value_typeET4_T5_PSR_SS_PNS1_23onesweep_lookback_stateEbbT6_jjT7_P12ihipStream_tbENKUlT_T0_SG_SL_E_clIS9_SA_SB_SB_EEDaSZ_S10_SG_SL_EUlSZ_E_NS1_11comp_targetILNS1_3genE5ELNS1_11target_archE942ELNS1_3gpuE9ELNS1_3repE0EEENS1_47radix_sort_onesweep_sort_config_static_selectorELNS0_4arch9wavefront6targetE0EEEvSG_.has_dyn_sized_stack, 0
	.set _ZN7rocprim17ROCPRIM_400000_NS6detail17trampoline_kernelINS0_14default_configENS1_35radix_sort_onesweep_config_selectorIhNS0_10empty_typeEEEZZNS1_29radix_sort_onesweep_iterationIS3_Lb0EPKhPhPS5_SB_mNS0_19identity_decomposerENS1_16block_id_wrapperIjLb0EEEEE10hipError_tT1_PNSt15iterator_traitsISG_E10value_typeET2_T3_PNSH_ISM_E10value_typeET4_T5_PSR_SS_PNS1_23onesweep_lookback_stateEbbT6_jjT7_P12ihipStream_tbENKUlT_T0_SG_SL_E_clIS9_SA_SB_SB_EEDaSZ_S10_SG_SL_EUlSZ_E_NS1_11comp_targetILNS1_3genE5ELNS1_11target_archE942ELNS1_3gpuE9ELNS1_3repE0EEENS1_47radix_sort_onesweep_sort_config_static_selectorELNS0_4arch9wavefront6targetE0EEEvSG_.has_recursion, 0
	.set _ZN7rocprim17ROCPRIM_400000_NS6detail17trampoline_kernelINS0_14default_configENS1_35radix_sort_onesweep_config_selectorIhNS0_10empty_typeEEEZZNS1_29radix_sort_onesweep_iterationIS3_Lb0EPKhPhPS5_SB_mNS0_19identity_decomposerENS1_16block_id_wrapperIjLb0EEEEE10hipError_tT1_PNSt15iterator_traitsISG_E10value_typeET2_T3_PNSH_ISM_E10value_typeET4_T5_PSR_SS_PNS1_23onesweep_lookback_stateEbbT6_jjT7_P12ihipStream_tbENKUlT_T0_SG_SL_E_clIS9_SA_SB_SB_EEDaSZ_S10_SG_SL_EUlSZ_E_NS1_11comp_targetILNS1_3genE5ELNS1_11target_archE942ELNS1_3gpuE9ELNS1_3repE0EEENS1_47radix_sort_onesweep_sort_config_static_selectorELNS0_4arch9wavefront6targetE0EEEvSG_.has_indirect_call, 0
	.section	.AMDGPU.csdata,"",@progbits
; Kernel info:
; codeLenInByte = 0
; TotalNumSgprs: 0
; NumVgprs: 0
; ScratchSize: 0
; MemoryBound: 0
; FloatMode: 240
; IeeeMode: 1
; LDSByteSize: 0 bytes/workgroup (compile time only)
; SGPRBlocks: 0
; VGPRBlocks: 0
; NumSGPRsForWavesPerEU: 1
; NumVGPRsForWavesPerEU: 1
; NamedBarCnt: 0
; Occupancy: 16
; WaveLimiterHint : 0
; COMPUTE_PGM_RSRC2:SCRATCH_EN: 0
; COMPUTE_PGM_RSRC2:USER_SGPR: 2
; COMPUTE_PGM_RSRC2:TRAP_HANDLER: 0
; COMPUTE_PGM_RSRC2:TGID_X_EN: 1
; COMPUTE_PGM_RSRC2:TGID_Y_EN: 0
; COMPUTE_PGM_RSRC2:TGID_Z_EN: 0
; COMPUTE_PGM_RSRC2:TIDIG_COMP_CNT: 0
	.section	.text._ZN7rocprim17ROCPRIM_400000_NS6detail17trampoline_kernelINS0_14default_configENS1_35radix_sort_onesweep_config_selectorIhNS0_10empty_typeEEEZZNS1_29radix_sort_onesweep_iterationIS3_Lb0EPKhPhPS5_SB_mNS0_19identity_decomposerENS1_16block_id_wrapperIjLb0EEEEE10hipError_tT1_PNSt15iterator_traitsISG_E10value_typeET2_T3_PNSH_ISM_E10value_typeET4_T5_PSR_SS_PNS1_23onesweep_lookback_stateEbbT6_jjT7_P12ihipStream_tbENKUlT_T0_SG_SL_E_clIS9_SA_SB_SB_EEDaSZ_S10_SG_SL_EUlSZ_E_NS1_11comp_targetILNS1_3genE2ELNS1_11target_archE906ELNS1_3gpuE6ELNS1_3repE0EEENS1_47radix_sort_onesweep_sort_config_static_selectorELNS0_4arch9wavefront6targetE0EEEvSG_,"axG",@progbits,_ZN7rocprim17ROCPRIM_400000_NS6detail17trampoline_kernelINS0_14default_configENS1_35radix_sort_onesweep_config_selectorIhNS0_10empty_typeEEEZZNS1_29radix_sort_onesweep_iterationIS3_Lb0EPKhPhPS5_SB_mNS0_19identity_decomposerENS1_16block_id_wrapperIjLb0EEEEE10hipError_tT1_PNSt15iterator_traitsISG_E10value_typeET2_T3_PNSH_ISM_E10value_typeET4_T5_PSR_SS_PNS1_23onesweep_lookback_stateEbbT6_jjT7_P12ihipStream_tbENKUlT_T0_SG_SL_E_clIS9_SA_SB_SB_EEDaSZ_S10_SG_SL_EUlSZ_E_NS1_11comp_targetILNS1_3genE2ELNS1_11target_archE906ELNS1_3gpuE6ELNS1_3repE0EEENS1_47radix_sort_onesweep_sort_config_static_selectorELNS0_4arch9wavefront6targetE0EEEvSG_,comdat
	.protected	_ZN7rocprim17ROCPRIM_400000_NS6detail17trampoline_kernelINS0_14default_configENS1_35radix_sort_onesweep_config_selectorIhNS0_10empty_typeEEEZZNS1_29radix_sort_onesweep_iterationIS3_Lb0EPKhPhPS5_SB_mNS0_19identity_decomposerENS1_16block_id_wrapperIjLb0EEEEE10hipError_tT1_PNSt15iterator_traitsISG_E10value_typeET2_T3_PNSH_ISM_E10value_typeET4_T5_PSR_SS_PNS1_23onesweep_lookback_stateEbbT6_jjT7_P12ihipStream_tbENKUlT_T0_SG_SL_E_clIS9_SA_SB_SB_EEDaSZ_S10_SG_SL_EUlSZ_E_NS1_11comp_targetILNS1_3genE2ELNS1_11target_archE906ELNS1_3gpuE6ELNS1_3repE0EEENS1_47radix_sort_onesweep_sort_config_static_selectorELNS0_4arch9wavefront6targetE0EEEvSG_ ; -- Begin function _ZN7rocprim17ROCPRIM_400000_NS6detail17trampoline_kernelINS0_14default_configENS1_35radix_sort_onesweep_config_selectorIhNS0_10empty_typeEEEZZNS1_29radix_sort_onesweep_iterationIS3_Lb0EPKhPhPS5_SB_mNS0_19identity_decomposerENS1_16block_id_wrapperIjLb0EEEEE10hipError_tT1_PNSt15iterator_traitsISG_E10value_typeET2_T3_PNSH_ISM_E10value_typeET4_T5_PSR_SS_PNS1_23onesweep_lookback_stateEbbT6_jjT7_P12ihipStream_tbENKUlT_T0_SG_SL_E_clIS9_SA_SB_SB_EEDaSZ_S10_SG_SL_EUlSZ_E_NS1_11comp_targetILNS1_3genE2ELNS1_11target_archE906ELNS1_3gpuE6ELNS1_3repE0EEENS1_47radix_sort_onesweep_sort_config_static_selectorELNS0_4arch9wavefront6targetE0EEEvSG_
	.globl	_ZN7rocprim17ROCPRIM_400000_NS6detail17trampoline_kernelINS0_14default_configENS1_35radix_sort_onesweep_config_selectorIhNS0_10empty_typeEEEZZNS1_29radix_sort_onesweep_iterationIS3_Lb0EPKhPhPS5_SB_mNS0_19identity_decomposerENS1_16block_id_wrapperIjLb0EEEEE10hipError_tT1_PNSt15iterator_traitsISG_E10value_typeET2_T3_PNSH_ISM_E10value_typeET4_T5_PSR_SS_PNS1_23onesweep_lookback_stateEbbT6_jjT7_P12ihipStream_tbENKUlT_T0_SG_SL_E_clIS9_SA_SB_SB_EEDaSZ_S10_SG_SL_EUlSZ_E_NS1_11comp_targetILNS1_3genE2ELNS1_11target_archE906ELNS1_3gpuE6ELNS1_3repE0EEENS1_47radix_sort_onesweep_sort_config_static_selectorELNS0_4arch9wavefront6targetE0EEEvSG_
	.p2align	8
	.type	_ZN7rocprim17ROCPRIM_400000_NS6detail17trampoline_kernelINS0_14default_configENS1_35radix_sort_onesweep_config_selectorIhNS0_10empty_typeEEEZZNS1_29radix_sort_onesweep_iterationIS3_Lb0EPKhPhPS5_SB_mNS0_19identity_decomposerENS1_16block_id_wrapperIjLb0EEEEE10hipError_tT1_PNSt15iterator_traitsISG_E10value_typeET2_T3_PNSH_ISM_E10value_typeET4_T5_PSR_SS_PNS1_23onesweep_lookback_stateEbbT6_jjT7_P12ihipStream_tbENKUlT_T0_SG_SL_E_clIS9_SA_SB_SB_EEDaSZ_S10_SG_SL_EUlSZ_E_NS1_11comp_targetILNS1_3genE2ELNS1_11target_archE906ELNS1_3gpuE6ELNS1_3repE0EEENS1_47radix_sort_onesweep_sort_config_static_selectorELNS0_4arch9wavefront6targetE0EEEvSG_,@function
_ZN7rocprim17ROCPRIM_400000_NS6detail17trampoline_kernelINS0_14default_configENS1_35radix_sort_onesweep_config_selectorIhNS0_10empty_typeEEEZZNS1_29radix_sort_onesweep_iterationIS3_Lb0EPKhPhPS5_SB_mNS0_19identity_decomposerENS1_16block_id_wrapperIjLb0EEEEE10hipError_tT1_PNSt15iterator_traitsISG_E10value_typeET2_T3_PNSH_ISM_E10value_typeET4_T5_PSR_SS_PNS1_23onesweep_lookback_stateEbbT6_jjT7_P12ihipStream_tbENKUlT_T0_SG_SL_E_clIS9_SA_SB_SB_EEDaSZ_S10_SG_SL_EUlSZ_E_NS1_11comp_targetILNS1_3genE2ELNS1_11target_archE906ELNS1_3gpuE6ELNS1_3repE0EEENS1_47radix_sort_onesweep_sort_config_static_selectorELNS0_4arch9wavefront6targetE0EEEvSG_: ; @_ZN7rocprim17ROCPRIM_400000_NS6detail17trampoline_kernelINS0_14default_configENS1_35radix_sort_onesweep_config_selectorIhNS0_10empty_typeEEEZZNS1_29radix_sort_onesweep_iterationIS3_Lb0EPKhPhPS5_SB_mNS0_19identity_decomposerENS1_16block_id_wrapperIjLb0EEEEE10hipError_tT1_PNSt15iterator_traitsISG_E10value_typeET2_T3_PNSH_ISM_E10value_typeET4_T5_PSR_SS_PNS1_23onesweep_lookback_stateEbbT6_jjT7_P12ihipStream_tbENKUlT_T0_SG_SL_E_clIS9_SA_SB_SB_EEDaSZ_S10_SG_SL_EUlSZ_E_NS1_11comp_targetILNS1_3genE2ELNS1_11target_archE906ELNS1_3gpuE6ELNS1_3repE0EEENS1_47radix_sort_onesweep_sort_config_static_selectorELNS0_4arch9wavefront6targetE0EEEvSG_
; %bb.0:
	.section	.rodata,"a",@progbits
	.p2align	6, 0x0
	.amdhsa_kernel _ZN7rocprim17ROCPRIM_400000_NS6detail17trampoline_kernelINS0_14default_configENS1_35radix_sort_onesweep_config_selectorIhNS0_10empty_typeEEEZZNS1_29radix_sort_onesweep_iterationIS3_Lb0EPKhPhPS5_SB_mNS0_19identity_decomposerENS1_16block_id_wrapperIjLb0EEEEE10hipError_tT1_PNSt15iterator_traitsISG_E10value_typeET2_T3_PNSH_ISM_E10value_typeET4_T5_PSR_SS_PNS1_23onesweep_lookback_stateEbbT6_jjT7_P12ihipStream_tbENKUlT_T0_SG_SL_E_clIS9_SA_SB_SB_EEDaSZ_S10_SG_SL_EUlSZ_E_NS1_11comp_targetILNS1_3genE2ELNS1_11target_archE906ELNS1_3gpuE6ELNS1_3repE0EEENS1_47radix_sort_onesweep_sort_config_static_selectorELNS0_4arch9wavefront6targetE0EEEvSG_
		.amdhsa_group_segment_fixed_size 0
		.amdhsa_private_segment_fixed_size 0
		.amdhsa_kernarg_size 88
		.amdhsa_user_sgpr_count 2
		.amdhsa_user_sgpr_dispatch_ptr 0
		.amdhsa_user_sgpr_queue_ptr 0
		.amdhsa_user_sgpr_kernarg_segment_ptr 1
		.amdhsa_user_sgpr_dispatch_id 0
		.amdhsa_user_sgpr_kernarg_preload_length 0
		.amdhsa_user_sgpr_kernarg_preload_offset 0
		.amdhsa_user_sgpr_private_segment_size 0
		.amdhsa_wavefront_size32 1
		.amdhsa_uses_dynamic_stack 0
		.amdhsa_enable_private_segment 0
		.amdhsa_system_sgpr_workgroup_id_x 1
		.amdhsa_system_sgpr_workgroup_id_y 0
		.amdhsa_system_sgpr_workgroup_id_z 0
		.amdhsa_system_sgpr_workgroup_info 0
		.amdhsa_system_vgpr_workitem_id 0
		.amdhsa_next_free_vgpr 1
		.amdhsa_next_free_sgpr 1
		.amdhsa_named_barrier_count 0
		.amdhsa_reserve_vcc 0
		.amdhsa_float_round_mode_32 0
		.amdhsa_float_round_mode_16_64 0
		.amdhsa_float_denorm_mode_32 3
		.amdhsa_float_denorm_mode_16_64 3
		.amdhsa_fp16_overflow 0
		.amdhsa_memory_ordered 1
		.amdhsa_forward_progress 1
		.amdhsa_inst_pref_size 0
		.amdhsa_round_robin_scheduling 0
		.amdhsa_exception_fp_ieee_invalid_op 0
		.amdhsa_exception_fp_denorm_src 0
		.amdhsa_exception_fp_ieee_div_zero 0
		.amdhsa_exception_fp_ieee_overflow 0
		.amdhsa_exception_fp_ieee_underflow 0
		.amdhsa_exception_fp_ieee_inexact 0
		.amdhsa_exception_int_div_zero 0
	.end_amdhsa_kernel
	.section	.text._ZN7rocprim17ROCPRIM_400000_NS6detail17trampoline_kernelINS0_14default_configENS1_35radix_sort_onesweep_config_selectorIhNS0_10empty_typeEEEZZNS1_29radix_sort_onesweep_iterationIS3_Lb0EPKhPhPS5_SB_mNS0_19identity_decomposerENS1_16block_id_wrapperIjLb0EEEEE10hipError_tT1_PNSt15iterator_traitsISG_E10value_typeET2_T3_PNSH_ISM_E10value_typeET4_T5_PSR_SS_PNS1_23onesweep_lookback_stateEbbT6_jjT7_P12ihipStream_tbENKUlT_T0_SG_SL_E_clIS9_SA_SB_SB_EEDaSZ_S10_SG_SL_EUlSZ_E_NS1_11comp_targetILNS1_3genE2ELNS1_11target_archE906ELNS1_3gpuE6ELNS1_3repE0EEENS1_47radix_sort_onesweep_sort_config_static_selectorELNS0_4arch9wavefront6targetE0EEEvSG_,"axG",@progbits,_ZN7rocprim17ROCPRIM_400000_NS6detail17trampoline_kernelINS0_14default_configENS1_35radix_sort_onesweep_config_selectorIhNS0_10empty_typeEEEZZNS1_29radix_sort_onesweep_iterationIS3_Lb0EPKhPhPS5_SB_mNS0_19identity_decomposerENS1_16block_id_wrapperIjLb0EEEEE10hipError_tT1_PNSt15iterator_traitsISG_E10value_typeET2_T3_PNSH_ISM_E10value_typeET4_T5_PSR_SS_PNS1_23onesweep_lookback_stateEbbT6_jjT7_P12ihipStream_tbENKUlT_T0_SG_SL_E_clIS9_SA_SB_SB_EEDaSZ_S10_SG_SL_EUlSZ_E_NS1_11comp_targetILNS1_3genE2ELNS1_11target_archE906ELNS1_3gpuE6ELNS1_3repE0EEENS1_47radix_sort_onesweep_sort_config_static_selectorELNS0_4arch9wavefront6targetE0EEEvSG_,comdat
.Lfunc_end240:
	.size	_ZN7rocprim17ROCPRIM_400000_NS6detail17trampoline_kernelINS0_14default_configENS1_35radix_sort_onesweep_config_selectorIhNS0_10empty_typeEEEZZNS1_29radix_sort_onesweep_iterationIS3_Lb0EPKhPhPS5_SB_mNS0_19identity_decomposerENS1_16block_id_wrapperIjLb0EEEEE10hipError_tT1_PNSt15iterator_traitsISG_E10value_typeET2_T3_PNSH_ISM_E10value_typeET4_T5_PSR_SS_PNS1_23onesweep_lookback_stateEbbT6_jjT7_P12ihipStream_tbENKUlT_T0_SG_SL_E_clIS9_SA_SB_SB_EEDaSZ_S10_SG_SL_EUlSZ_E_NS1_11comp_targetILNS1_3genE2ELNS1_11target_archE906ELNS1_3gpuE6ELNS1_3repE0EEENS1_47radix_sort_onesweep_sort_config_static_selectorELNS0_4arch9wavefront6targetE0EEEvSG_, .Lfunc_end240-_ZN7rocprim17ROCPRIM_400000_NS6detail17trampoline_kernelINS0_14default_configENS1_35radix_sort_onesweep_config_selectorIhNS0_10empty_typeEEEZZNS1_29radix_sort_onesweep_iterationIS3_Lb0EPKhPhPS5_SB_mNS0_19identity_decomposerENS1_16block_id_wrapperIjLb0EEEEE10hipError_tT1_PNSt15iterator_traitsISG_E10value_typeET2_T3_PNSH_ISM_E10value_typeET4_T5_PSR_SS_PNS1_23onesweep_lookback_stateEbbT6_jjT7_P12ihipStream_tbENKUlT_T0_SG_SL_E_clIS9_SA_SB_SB_EEDaSZ_S10_SG_SL_EUlSZ_E_NS1_11comp_targetILNS1_3genE2ELNS1_11target_archE906ELNS1_3gpuE6ELNS1_3repE0EEENS1_47radix_sort_onesweep_sort_config_static_selectorELNS0_4arch9wavefront6targetE0EEEvSG_
                                        ; -- End function
	.set _ZN7rocprim17ROCPRIM_400000_NS6detail17trampoline_kernelINS0_14default_configENS1_35radix_sort_onesweep_config_selectorIhNS0_10empty_typeEEEZZNS1_29radix_sort_onesweep_iterationIS3_Lb0EPKhPhPS5_SB_mNS0_19identity_decomposerENS1_16block_id_wrapperIjLb0EEEEE10hipError_tT1_PNSt15iterator_traitsISG_E10value_typeET2_T3_PNSH_ISM_E10value_typeET4_T5_PSR_SS_PNS1_23onesweep_lookback_stateEbbT6_jjT7_P12ihipStream_tbENKUlT_T0_SG_SL_E_clIS9_SA_SB_SB_EEDaSZ_S10_SG_SL_EUlSZ_E_NS1_11comp_targetILNS1_3genE2ELNS1_11target_archE906ELNS1_3gpuE6ELNS1_3repE0EEENS1_47radix_sort_onesweep_sort_config_static_selectorELNS0_4arch9wavefront6targetE0EEEvSG_.num_vgpr, 0
	.set _ZN7rocprim17ROCPRIM_400000_NS6detail17trampoline_kernelINS0_14default_configENS1_35radix_sort_onesweep_config_selectorIhNS0_10empty_typeEEEZZNS1_29radix_sort_onesweep_iterationIS3_Lb0EPKhPhPS5_SB_mNS0_19identity_decomposerENS1_16block_id_wrapperIjLb0EEEEE10hipError_tT1_PNSt15iterator_traitsISG_E10value_typeET2_T3_PNSH_ISM_E10value_typeET4_T5_PSR_SS_PNS1_23onesweep_lookback_stateEbbT6_jjT7_P12ihipStream_tbENKUlT_T0_SG_SL_E_clIS9_SA_SB_SB_EEDaSZ_S10_SG_SL_EUlSZ_E_NS1_11comp_targetILNS1_3genE2ELNS1_11target_archE906ELNS1_3gpuE6ELNS1_3repE0EEENS1_47radix_sort_onesweep_sort_config_static_selectorELNS0_4arch9wavefront6targetE0EEEvSG_.num_agpr, 0
	.set _ZN7rocprim17ROCPRIM_400000_NS6detail17trampoline_kernelINS0_14default_configENS1_35radix_sort_onesweep_config_selectorIhNS0_10empty_typeEEEZZNS1_29radix_sort_onesweep_iterationIS3_Lb0EPKhPhPS5_SB_mNS0_19identity_decomposerENS1_16block_id_wrapperIjLb0EEEEE10hipError_tT1_PNSt15iterator_traitsISG_E10value_typeET2_T3_PNSH_ISM_E10value_typeET4_T5_PSR_SS_PNS1_23onesweep_lookback_stateEbbT6_jjT7_P12ihipStream_tbENKUlT_T0_SG_SL_E_clIS9_SA_SB_SB_EEDaSZ_S10_SG_SL_EUlSZ_E_NS1_11comp_targetILNS1_3genE2ELNS1_11target_archE906ELNS1_3gpuE6ELNS1_3repE0EEENS1_47radix_sort_onesweep_sort_config_static_selectorELNS0_4arch9wavefront6targetE0EEEvSG_.numbered_sgpr, 0
	.set _ZN7rocprim17ROCPRIM_400000_NS6detail17trampoline_kernelINS0_14default_configENS1_35radix_sort_onesweep_config_selectorIhNS0_10empty_typeEEEZZNS1_29radix_sort_onesweep_iterationIS3_Lb0EPKhPhPS5_SB_mNS0_19identity_decomposerENS1_16block_id_wrapperIjLb0EEEEE10hipError_tT1_PNSt15iterator_traitsISG_E10value_typeET2_T3_PNSH_ISM_E10value_typeET4_T5_PSR_SS_PNS1_23onesweep_lookback_stateEbbT6_jjT7_P12ihipStream_tbENKUlT_T0_SG_SL_E_clIS9_SA_SB_SB_EEDaSZ_S10_SG_SL_EUlSZ_E_NS1_11comp_targetILNS1_3genE2ELNS1_11target_archE906ELNS1_3gpuE6ELNS1_3repE0EEENS1_47radix_sort_onesweep_sort_config_static_selectorELNS0_4arch9wavefront6targetE0EEEvSG_.num_named_barrier, 0
	.set _ZN7rocprim17ROCPRIM_400000_NS6detail17trampoline_kernelINS0_14default_configENS1_35radix_sort_onesweep_config_selectorIhNS0_10empty_typeEEEZZNS1_29radix_sort_onesweep_iterationIS3_Lb0EPKhPhPS5_SB_mNS0_19identity_decomposerENS1_16block_id_wrapperIjLb0EEEEE10hipError_tT1_PNSt15iterator_traitsISG_E10value_typeET2_T3_PNSH_ISM_E10value_typeET4_T5_PSR_SS_PNS1_23onesweep_lookback_stateEbbT6_jjT7_P12ihipStream_tbENKUlT_T0_SG_SL_E_clIS9_SA_SB_SB_EEDaSZ_S10_SG_SL_EUlSZ_E_NS1_11comp_targetILNS1_3genE2ELNS1_11target_archE906ELNS1_3gpuE6ELNS1_3repE0EEENS1_47radix_sort_onesweep_sort_config_static_selectorELNS0_4arch9wavefront6targetE0EEEvSG_.private_seg_size, 0
	.set _ZN7rocprim17ROCPRIM_400000_NS6detail17trampoline_kernelINS0_14default_configENS1_35radix_sort_onesweep_config_selectorIhNS0_10empty_typeEEEZZNS1_29radix_sort_onesweep_iterationIS3_Lb0EPKhPhPS5_SB_mNS0_19identity_decomposerENS1_16block_id_wrapperIjLb0EEEEE10hipError_tT1_PNSt15iterator_traitsISG_E10value_typeET2_T3_PNSH_ISM_E10value_typeET4_T5_PSR_SS_PNS1_23onesweep_lookback_stateEbbT6_jjT7_P12ihipStream_tbENKUlT_T0_SG_SL_E_clIS9_SA_SB_SB_EEDaSZ_S10_SG_SL_EUlSZ_E_NS1_11comp_targetILNS1_3genE2ELNS1_11target_archE906ELNS1_3gpuE6ELNS1_3repE0EEENS1_47radix_sort_onesweep_sort_config_static_selectorELNS0_4arch9wavefront6targetE0EEEvSG_.uses_vcc, 0
	.set _ZN7rocprim17ROCPRIM_400000_NS6detail17trampoline_kernelINS0_14default_configENS1_35radix_sort_onesweep_config_selectorIhNS0_10empty_typeEEEZZNS1_29radix_sort_onesweep_iterationIS3_Lb0EPKhPhPS5_SB_mNS0_19identity_decomposerENS1_16block_id_wrapperIjLb0EEEEE10hipError_tT1_PNSt15iterator_traitsISG_E10value_typeET2_T3_PNSH_ISM_E10value_typeET4_T5_PSR_SS_PNS1_23onesweep_lookback_stateEbbT6_jjT7_P12ihipStream_tbENKUlT_T0_SG_SL_E_clIS9_SA_SB_SB_EEDaSZ_S10_SG_SL_EUlSZ_E_NS1_11comp_targetILNS1_3genE2ELNS1_11target_archE906ELNS1_3gpuE6ELNS1_3repE0EEENS1_47radix_sort_onesweep_sort_config_static_selectorELNS0_4arch9wavefront6targetE0EEEvSG_.uses_flat_scratch, 0
	.set _ZN7rocprim17ROCPRIM_400000_NS6detail17trampoline_kernelINS0_14default_configENS1_35radix_sort_onesweep_config_selectorIhNS0_10empty_typeEEEZZNS1_29radix_sort_onesweep_iterationIS3_Lb0EPKhPhPS5_SB_mNS0_19identity_decomposerENS1_16block_id_wrapperIjLb0EEEEE10hipError_tT1_PNSt15iterator_traitsISG_E10value_typeET2_T3_PNSH_ISM_E10value_typeET4_T5_PSR_SS_PNS1_23onesweep_lookback_stateEbbT6_jjT7_P12ihipStream_tbENKUlT_T0_SG_SL_E_clIS9_SA_SB_SB_EEDaSZ_S10_SG_SL_EUlSZ_E_NS1_11comp_targetILNS1_3genE2ELNS1_11target_archE906ELNS1_3gpuE6ELNS1_3repE0EEENS1_47radix_sort_onesweep_sort_config_static_selectorELNS0_4arch9wavefront6targetE0EEEvSG_.has_dyn_sized_stack, 0
	.set _ZN7rocprim17ROCPRIM_400000_NS6detail17trampoline_kernelINS0_14default_configENS1_35radix_sort_onesweep_config_selectorIhNS0_10empty_typeEEEZZNS1_29radix_sort_onesweep_iterationIS3_Lb0EPKhPhPS5_SB_mNS0_19identity_decomposerENS1_16block_id_wrapperIjLb0EEEEE10hipError_tT1_PNSt15iterator_traitsISG_E10value_typeET2_T3_PNSH_ISM_E10value_typeET4_T5_PSR_SS_PNS1_23onesweep_lookback_stateEbbT6_jjT7_P12ihipStream_tbENKUlT_T0_SG_SL_E_clIS9_SA_SB_SB_EEDaSZ_S10_SG_SL_EUlSZ_E_NS1_11comp_targetILNS1_3genE2ELNS1_11target_archE906ELNS1_3gpuE6ELNS1_3repE0EEENS1_47radix_sort_onesweep_sort_config_static_selectorELNS0_4arch9wavefront6targetE0EEEvSG_.has_recursion, 0
	.set _ZN7rocprim17ROCPRIM_400000_NS6detail17trampoline_kernelINS0_14default_configENS1_35radix_sort_onesweep_config_selectorIhNS0_10empty_typeEEEZZNS1_29radix_sort_onesweep_iterationIS3_Lb0EPKhPhPS5_SB_mNS0_19identity_decomposerENS1_16block_id_wrapperIjLb0EEEEE10hipError_tT1_PNSt15iterator_traitsISG_E10value_typeET2_T3_PNSH_ISM_E10value_typeET4_T5_PSR_SS_PNS1_23onesweep_lookback_stateEbbT6_jjT7_P12ihipStream_tbENKUlT_T0_SG_SL_E_clIS9_SA_SB_SB_EEDaSZ_S10_SG_SL_EUlSZ_E_NS1_11comp_targetILNS1_3genE2ELNS1_11target_archE906ELNS1_3gpuE6ELNS1_3repE0EEENS1_47radix_sort_onesweep_sort_config_static_selectorELNS0_4arch9wavefront6targetE0EEEvSG_.has_indirect_call, 0
	.section	.AMDGPU.csdata,"",@progbits
; Kernel info:
; codeLenInByte = 0
; TotalNumSgprs: 0
; NumVgprs: 0
; ScratchSize: 0
; MemoryBound: 0
; FloatMode: 240
; IeeeMode: 1
; LDSByteSize: 0 bytes/workgroup (compile time only)
; SGPRBlocks: 0
; VGPRBlocks: 0
; NumSGPRsForWavesPerEU: 1
; NumVGPRsForWavesPerEU: 1
; NamedBarCnt: 0
; Occupancy: 16
; WaveLimiterHint : 0
; COMPUTE_PGM_RSRC2:SCRATCH_EN: 0
; COMPUTE_PGM_RSRC2:USER_SGPR: 2
; COMPUTE_PGM_RSRC2:TRAP_HANDLER: 0
; COMPUTE_PGM_RSRC2:TGID_X_EN: 1
; COMPUTE_PGM_RSRC2:TGID_Y_EN: 0
; COMPUTE_PGM_RSRC2:TGID_Z_EN: 0
; COMPUTE_PGM_RSRC2:TIDIG_COMP_CNT: 0
	.section	.text._ZN7rocprim17ROCPRIM_400000_NS6detail17trampoline_kernelINS0_14default_configENS1_35radix_sort_onesweep_config_selectorIhNS0_10empty_typeEEEZZNS1_29radix_sort_onesweep_iterationIS3_Lb0EPKhPhPS5_SB_mNS0_19identity_decomposerENS1_16block_id_wrapperIjLb0EEEEE10hipError_tT1_PNSt15iterator_traitsISG_E10value_typeET2_T3_PNSH_ISM_E10value_typeET4_T5_PSR_SS_PNS1_23onesweep_lookback_stateEbbT6_jjT7_P12ihipStream_tbENKUlT_T0_SG_SL_E_clIS9_SA_SB_SB_EEDaSZ_S10_SG_SL_EUlSZ_E_NS1_11comp_targetILNS1_3genE4ELNS1_11target_archE910ELNS1_3gpuE8ELNS1_3repE0EEENS1_47radix_sort_onesweep_sort_config_static_selectorELNS0_4arch9wavefront6targetE0EEEvSG_,"axG",@progbits,_ZN7rocprim17ROCPRIM_400000_NS6detail17trampoline_kernelINS0_14default_configENS1_35radix_sort_onesweep_config_selectorIhNS0_10empty_typeEEEZZNS1_29radix_sort_onesweep_iterationIS3_Lb0EPKhPhPS5_SB_mNS0_19identity_decomposerENS1_16block_id_wrapperIjLb0EEEEE10hipError_tT1_PNSt15iterator_traitsISG_E10value_typeET2_T3_PNSH_ISM_E10value_typeET4_T5_PSR_SS_PNS1_23onesweep_lookback_stateEbbT6_jjT7_P12ihipStream_tbENKUlT_T0_SG_SL_E_clIS9_SA_SB_SB_EEDaSZ_S10_SG_SL_EUlSZ_E_NS1_11comp_targetILNS1_3genE4ELNS1_11target_archE910ELNS1_3gpuE8ELNS1_3repE0EEENS1_47radix_sort_onesweep_sort_config_static_selectorELNS0_4arch9wavefront6targetE0EEEvSG_,comdat
	.protected	_ZN7rocprim17ROCPRIM_400000_NS6detail17trampoline_kernelINS0_14default_configENS1_35radix_sort_onesweep_config_selectorIhNS0_10empty_typeEEEZZNS1_29radix_sort_onesweep_iterationIS3_Lb0EPKhPhPS5_SB_mNS0_19identity_decomposerENS1_16block_id_wrapperIjLb0EEEEE10hipError_tT1_PNSt15iterator_traitsISG_E10value_typeET2_T3_PNSH_ISM_E10value_typeET4_T5_PSR_SS_PNS1_23onesweep_lookback_stateEbbT6_jjT7_P12ihipStream_tbENKUlT_T0_SG_SL_E_clIS9_SA_SB_SB_EEDaSZ_S10_SG_SL_EUlSZ_E_NS1_11comp_targetILNS1_3genE4ELNS1_11target_archE910ELNS1_3gpuE8ELNS1_3repE0EEENS1_47radix_sort_onesweep_sort_config_static_selectorELNS0_4arch9wavefront6targetE0EEEvSG_ ; -- Begin function _ZN7rocprim17ROCPRIM_400000_NS6detail17trampoline_kernelINS0_14default_configENS1_35radix_sort_onesweep_config_selectorIhNS0_10empty_typeEEEZZNS1_29radix_sort_onesweep_iterationIS3_Lb0EPKhPhPS5_SB_mNS0_19identity_decomposerENS1_16block_id_wrapperIjLb0EEEEE10hipError_tT1_PNSt15iterator_traitsISG_E10value_typeET2_T3_PNSH_ISM_E10value_typeET4_T5_PSR_SS_PNS1_23onesweep_lookback_stateEbbT6_jjT7_P12ihipStream_tbENKUlT_T0_SG_SL_E_clIS9_SA_SB_SB_EEDaSZ_S10_SG_SL_EUlSZ_E_NS1_11comp_targetILNS1_3genE4ELNS1_11target_archE910ELNS1_3gpuE8ELNS1_3repE0EEENS1_47radix_sort_onesweep_sort_config_static_selectorELNS0_4arch9wavefront6targetE0EEEvSG_
	.globl	_ZN7rocprim17ROCPRIM_400000_NS6detail17trampoline_kernelINS0_14default_configENS1_35radix_sort_onesweep_config_selectorIhNS0_10empty_typeEEEZZNS1_29radix_sort_onesweep_iterationIS3_Lb0EPKhPhPS5_SB_mNS0_19identity_decomposerENS1_16block_id_wrapperIjLb0EEEEE10hipError_tT1_PNSt15iterator_traitsISG_E10value_typeET2_T3_PNSH_ISM_E10value_typeET4_T5_PSR_SS_PNS1_23onesweep_lookback_stateEbbT6_jjT7_P12ihipStream_tbENKUlT_T0_SG_SL_E_clIS9_SA_SB_SB_EEDaSZ_S10_SG_SL_EUlSZ_E_NS1_11comp_targetILNS1_3genE4ELNS1_11target_archE910ELNS1_3gpuE8ELNS1_3repE0EEENS1_47radix_sort_onesweep_sort_config_static_selectorELNS0_4arch9wavefront6targetE0EEEvSG_
	.p2align	8
	.type	_ZN7rocprim17ROCPRIM_400000_NS6detail17trampoline_kernelINS0_14default_configENS1_35radix_sort_onesweep_config_selectorIhNS0_10empty_typeEEEZZNS1_29radix_sort_onesweep_iterationIS3_Lb0EPKhPhPS5_SB_mNS0_19identity_decomposerENS1_16block_id_wrapperIjLb0EEEEE10hipError_tT1_PNSt15iterator_traitsISG_E10value_typeET2_T3_PNSH_ISM_E10value_typeET4_T5_PSR_SS_PNS1_23onesweep_lookback_stateEbbT6_jjT7_P12ihipStream_tbENKUlT_T0_SG_SL_E_clIS9_SA_SB_SB_EEDaSZ_S10_SG_SL_EUlSZ_E_NS1_11comp_targetILNS1_3genE4ELNS1_11target_archE910ELNS1_3gpuE8ELNS1_3repE0EEENS1_47radix_sort_onesweep_sort_config_static_selectorELNS0_4arch9wavefront6targetE0EEEvSG_,@function
_ZN7rocprim17ROCPRIM_400000_NS6detail17trampoline_kernelINS0_14default_configENS1_35radix_sort_onesweep_config_selectorIhNS0_10empty_typeEEEZZNS1_29radix_sort_onesweep_iterationIS3_Lb0EPKhPhPS5_SB_mNS0_19identity_decomposerENS1_16block_id_wrapperIjLb0EEEEE10hipError_tT1_PNSt15iterator_traitsISG_E10value_typeET2_T3_PNSH_ISM_E10value_typeET4_T5_PSR_SS_PNS1_23onesweep_lookback_stateEbbT6_jjT7_P12ihipStream_tbENKUlT_T0_SG_SL_E_clIS9_SA_SB_SB_EEDaSZ_S10_SG_SL_EUlSZ_E_NS1_11comp_targetILNS1_3genE4ELNS1_11target_archE910ELNS1_3gpuE8ELNS1_3repE0EEENS1_47radix_sort_onesweep_sort_config_static_selectorELNS0_4arch9wavefront6targetE0EEEvSG_: ; @_ZN7rocprim17ROCPRIM_400000_NS6detail17trampoline_kernelINS0_14default_configENS1_35radix_sort_onesweep_config_selectorIhNS0_10empty_typeEEEZZNS1_29radix_sort_onesweep_iterationIS3_Lb0EPKhPhPS5_SB_mNS0_19identity_decomposerENS1_16block_id_wrapperIjLb0EEEEE10hipError_tT1_PNSt15iterator_traitsISG_E10value_typeET2_T3_PNSH_ISM_E10value_typeET4_T5_PSR_SS_PNS1_23onesweep_lookback_stateEbbT6_jjT7_P12ihipStream_tbENKUlT_T0_SG_SL_E_clIS9_SA_SB_SB_EEDaSZ_S10_SG_SL_EUlSZ_E_NS1_11comp_targetILNS1_3genE4ELNS1_11target_archE910ELNS1_3gpuE8ELNS1_3repE0EEENS1_47radix_sort_onesweep_sort_config_static_selectorELNS0_4arch9wavefront6targetE0EEEvSG_
; %bb.0:
	.section	.rodata,"a",@progbits
	.p2align	6, 0x0
	.amdhsa_kernel _ZN7rocprim17ROCPRIM_400000_NS6detail17trampoline_kernelINS0_14default_configENS1_35radix_sort_onesweep_config_selectorIhNS0_10empty_typeEEEZZNS1_29radix_sort_onesweep_iterationIS3_Lb0EPKhPhPS5_SB_mNS0_19identity_decomposerENS1_16block_id_wrapperIjLb0EEEEE10hipError_tT1_PNSt15iterator_traitsISG_E10value_typeET2_T3_PNSH_ISM_E10value_typeET4_T5_PSR_SS_PNS1_23onesweep_lookback_stateEbbT6_jjT7_P12ihipStream_tbENKUlT_T0_SG_SL_E_clIS9_SA_SB_SB_EEDaSZ_S10_SG_SL_EUlSZ_E_NS1_11comp_targetILNS1_3genE4ELNS1_11target_archE910ELNS1_3gpuE8ELNS1_3repE0EEENS1_47radix_sort_onesweep_sort_config_static_selectorELNS0_4arch9wavefront6targetE0EEEvSG_
		.amdhsa_group_segment_fixed_size 0
		.amdhsa_private_segment_fixed_size 0
		.amdhsa_kernarg_size 88
		.amdhsa_user_sgpr_count 2
		.amdhsa_user_sgpr_dispatch_ptr 0
		.amdhsa_user_sgpr_queue_ptr 0
		.amdhsa_user_sgpr_kernarg_segment_ptr 1
		.amdhsa_user_sgpr_dispatch_id 0
		.amdhsa_user_sgpr_kernarg_preload_length 0
		.amdhsa_user_sgpr_kernarg_preload_offset 0
		.amdhsa_user_sgpr_private_segment_size 0
		.amdhsa_wavefront_size32 1
		.amdhsa_uses_dynamic_stack 0
		.amdhsa_enable_private_segment 0
		.amdhsa_system_sgpr_workgroup_id_x 1
		.amdhsa_system_sgpr_workgroup_id_y 0
		.amdhsa_system_sgpr_workgroup_id_z 0
		.amdhsa_system_sgpr_workgroup_info 0
		.amdhsa_system_vgpr_workitem_id 0
		.amdhsa_next_free_vgpr 1
		.amdhsa_next_free_sgpr 1
		.amdhsa_named_barrier_count 0
		.amdhsa_reserve_vcc 0
		.amdhsa_float_round_mode_32 0
		.amdhsa_float_round_mode_16_64 0
		.amdhsa_float_denorm_mode_32 3
		.amdhsa_float_denorm_mode_16_64 3
		.amdhsa_fp16_overflow 0
		.amdhsa_memory_ordered 1
		.amdhsa_forward_progress 1
		.amdhsa_inst_pref_size 0
		.amdhsa_round_robin_scheduling 0
		.amdhsa_exception_fp_ieee_invalid_op 0
		.amdhsa_exception_fp_denorm_src 0
		.amdhsa_exception_fp_ieee_div_zero 0
		.amdhsa_exception_fp_ieee_overflow 0
		.amdhsa_exception_fp_ieee_underflow 0
		.amdhsa_exception_fp_ieee_inexact 0
		.amdhsa_exception_int_div_zero 0
	.end_amdhsa_kernel
	.section	.text._ZN7rocprim17ROCPRIM_400000_NS6detail17trampoline_kernelINS0_14default_configENS1_35radix_sort_onesweep_config_selectorIhNS0_10empty_typeEEEZZNS1_29radix_sort_onesweep_iterationIS3_Lb0EPKhPhPS5_SB_mNS0_19identity_decomposerENS1_16block_id_wrapperIjLb0EEEEE10hipError_tT1_PNSt15iterator_traitsISG_E10value_typeET2_T3_PNSH_ISM_E10value_typeET4_T5_PSR_SS_PNS1_23onesweep_lookback_stateEbbT6_jjT7_P12ihipStream_tbENKUlT_T0_SG_SL_E_clIS9_SA_SB_SB_EEDaSZ_S10_SG_SL_EUlSZ_E_NS1_11comp_targetILNS1_3genE4ELNS1_11target_archE910ELNS1_3gpuE8ELNS1_3repE0EEENS1_47radix_sort_onesweep_sort_config_static_selectorELNS0_4arch9wavefront6targetE0EEEvSG_,"axG",@progbits,_ZN7rocprim17ROCPRIM_400000_NS6detail17trampoline_kernelINS0_14default_configENS1_35radix_sort_onesweep_config_selectorIhNS0_10empty_typeEEEZZNS1_29radix_sort_onesweep_iterationIS3_Lb0EPKhPhPS5_SB_mNS0_19identity_decomposerENS1_16block_id_wrapperIjLb0EEEEE10hipError_tT1_PNSt15iterator_traitsISG_E10value_typeET2_T3_PNSH_ISM_E10value_typeET4_T5_PSR_SS_PNS1_23onesweep_lookback_stateEbbT6_jjT7_P12ihipStream_tbENKUlT_T0_SG_SL_E_clIS9_SA_SB_SB_EEDaSZ_S10_SG_SL_EUlSZ_E_NS1_11comp_targetILNS1_3genE4ELNS1_11target_archE910ELNS1_3gpuE8ELNS1_3repE0EEENS1_47radix_sort_onesweep_sort_config_static_selectorELNS0_4arch9wavefront6targetE0EEEvSG_,comdat
.Lfunc_end241:
	.size	_ZN7rocprim17ROCPRIM_400000_NS6detail17trampoline_kernelINS0_14default_configENS1_35radix_sort_onesweep_config_selectorIhNS0_10empty_typeEEEZZNS1_29radix_sort_onesweep_iterationIS3_Lb0EPKhPhPS5_SB_mNS0_19identity_decomposerENS1_16block_id_wrapperIjLb0EEEEE10hipError_tT1_PNSt15iterator_traitsISG_E10value_typeET2_T3_PNSH_ISM_E10value_typeET4_T5_PSR_SS_PNS1_23onesweep_lookback_stateEbbT6_jjT7_P12ihipStream_tbENKUlT_T0_SG_SL_E_clIS9_SA_SB_SB_EEDaSZ_S10_SG_SL_EUlSZ_E_NS1_11comp_targetILNS1_3genE4ELNS1_11target_archE910ELNS1_3gpuE8ELNS1_3repE0EEENS1_47radix_sort_onesweep_sort_config_static_selectorELNS0_4arch9wavefront6targetE0EEEvSG_, .Lfunc_end241-_ZN7rocprim17ROCPRIM_400000_NS6detail17trampoline_kernelINS0_14default_configENS1_35radix_sort_onesweep_config_selectorIhNS0_10empty_typeEEEZZNS1_29radix_sort_onesweep_iterationIS3_Lb0EPKhPhPS5_SB_mNS0_19identity_decomposerENS1_16block_id_wrapperIjLb0EEEEE10hipError_tT1_PNSt15iterator_traitsISG_E10value_typeET2_T3_PNSH_ISM_E10value_typeET4_T5_PSR_SS_PNS1_23onesweep_lookback_stateEbbT6_jjT7_P12ihipStream_tbENKUlT_T0_SG_SL_E_clIS9_SA_SB_SB_EEDaSZ_S10_SG_SL_EUlSZ_E_NS1_11comp_targetILNS1_3genE4ELNS1_11target_archE910ELNS1_3gpuE8ELNS1_3repE0EEENS1_47radix_sort_onesweep_sort_config_static_selectorELNS0_4arch9wavefront6targetE0EEEvSG_
                                        ; -- End function
	.set _ZN7rocprim17ROCPRIM_400000_NS6detail17trampoline_kernelINS0_14default_configENS1_35radix_sort_onesweep_config_selectorIhNS0_10empty_typeEEEZZNS1_29radix_sort_onesweep_iterationIS3_Lb0EPKhPhPS5_SB_mNS0_19identity_decomposerENS1_16block_id_wrapperIjLb0EEEEE10hipError_tT1_PNSt15iterator_traitsISG_E10value_typeET2_T3_PNSH_ISM_E10value_typeET4_T5_PSR_SS_PNS1_23onesweep_lookback_stateEbbT6_jjT7_P12ihipStream_tbENKUlT_T0_SG_SL_E_clIS9_SA_SB_SB_EEDaSZ_S10_SG_SL_EUlSZ_E_NS1_11comp_targetILNS1_3genE4ELNS1_11target_archE910ELNS1_3gpuE8ELNS1_3repE0EEENS1_47radix_sort_onesweep_sort_config_static_selectorELNS0_4arch9wavefront6targetE0EEEvSG_.num_vgpr, 0
	.set _ZN7rocprim17ROCPRIM_400000_NS6detail17trampoline_kernelINS0_14default_configENS1_35radix_sort_onesweep_config_selectorIhNS0_10empty_typeEEEZZNS1_29radix_sort_onesweep_iterationIS3_Lb0EPKhPhPS5_SB_mNS0_19identity_decomposerENS1_16block_id_wrapperIjLb0EEEEE10hipError_tT1_PNSt15iterator_traitsISG_E10value_typeET2_T3_PNSH_ISM_E10value_typeET4_T5_PSR_SS_PNS1_23onesweep_lookback_stateEbbT6_jjT7_P12ihipStream_tbENKUlT_T0_SG_SL_E_clIS9_SA_SB_SB_EEDaSZ_S10_SG_SL_EUlSZ_E_NS1_11comp_targetILNS1_3genE4ELNS1_11target_archE910ELNS1_3gpuE8ELNS1_3repE0EEENS1_47radix_sort_onesweep_sort_config_static_selectorELNS0_4arch9wavefront6targetE0EEEvSG_.num_agpr, 0
	.set _ZN7rocprim17ROCPRIM_400000_NS6detail17trampoline_kernelINS0_14default_configENS1_35radix_sort_onesweep_config_selectorIhNS0_10empty_typeEEEZZNS1_29radix_sort_onesweep_iterationIS3_Lb0EPKhPhPS5_SB_mNS0_19identity_decomposerENS1_16block_id_wrapperIjLb0EEEEE10hipError_tT1_PNSt15iterator_traitsISG_E10value_typeET2_T3_PNSH_ISM_E10value_typeET4_T5_PSR_SS_PNS1_23onesweep_lookback_stateEbbT6_jjT7_P12ihipStream_tbENKUlT_T0_SG_SL_E_clIS9_SA_SB_SB_EEDaSZ_S10_SG_SL_EUlSZ_E_NS1_11comp_targetILNS1_3genE4ELNS1_11target_archE910ELNS1_3gpuE8ELNS1_3repE0EEENS1_47radix_sort_onesweep_sort_config_static_selectorELNS0_4arch9wavefront6targetE0EEEvSG_.numbered_sgpr, 0
	.set _ZN7rocprim17ROCPRIM_400000_NS6detail17trampoline_kernelINS0_14default_configENS1_35radix_sort_onesweep_config_selectorIhNS0_10empty_typeEEEZZNS1_29radix_sort_onesweep_iterationIS3_Lb0EPKhPhPS5_SB_mNS0_19identity_decomposerENS1_16block_id_wrapperIjLb0EEEEE10hipError_tT1_PNSt15iterator_traitsISG_E10value_typeET2_T3_PNSH_ISM_E10value_typeET4_T5_PSR_SS_PNS1_23onesweep_lookback_stateEbbT6_jjT7_P12ihipStream_tbENKUlT_T0_SG_SL_E_clIS9_SA_SB_SB_EEDaSZ_S10_SG_SL_EUlSZ_E_NS1_11comp_targetILNS1_3genE4ELNS1_11target_archE910ELNS1_3gpuE8ELNS1_3repE0EEENS1_47radix_sort_onesweep_sort_config_static_selectorELNS0_4arch9wavefront6targetE0EEEvSG_.num_named_barrier, 0
	.set _ZN7rocprim17ROCPRIM_400000_NS6detail17trampoline_kernelINS0_14default_configENS1_35radix_sort_onesweep_config_selectorIhNS0_10empty_typeEEEZZNS1_29radix_sort_onesweep_iterationIS3_Lb0EPKhPhPS5_SB_mNS0_19identity_decomposerENS1_16block_id_wrapperIjLb0EEEEE10hipError_tT1_PNSt15iterator_traitsISG_E10value_typeET2_T3_PNSH_ISM_E10value_typeET4_T5_PSR_SS_PNS1_23onesweep_lookback_stateEbbT6_jjT7_P12ihipStream_tbENKUlT_T0_SG_SL_E_clIS9_SA_SB_SB_EEDaSZ_S10_SG_SL_EUlSZ_E_NS1_11comp_targetILNS1_3genE4ELNS1_11target_archE910ELNS1_3gpuE8ELNS1_3repE0EEENS1_47radix_sort_onesweep_sort_config_static_selectorELNS0_4arch9wavefront6targetE0EEEvSG_.private_seg_size, 0
	.set _ZN7rocprim17ROCPRIM_400000_NS6detail17trampoline_kernelINS0_14default_configENS1_35radix_sort_onesweep_config_selectorIhNS0_10empty_typeEEEZZNS1_29radix_sort_onesweep_iterationIS3_Lb0EPKhPhPS5_SB_mNS0_19identity_decomposerENS1_16block_id_wrapperIjLb0EEEEE10hipError_tT1_PNSt15iterator_traitsISG_E10value_typeET2_T3_PNSH_ISM_E10value_typeET4_T5_PSR_SS_PNS1_23onesweep_lookback_stateEbbT6_jjT7_P12ihipStream_tbENKUlT_T0_SG_SL_E_clIS9_SA_SB_SB_EEDaSZ_S10_SG_SL_EUlSZ_E_NS1_11comp_targetILNS1_3genE4ELNS1_11target_archE910ELNS1_3gpuE8ELNS1_3repE0EEENS1_47radix_sort_onesweep_sort_config_static_selectorELNS0_4arch9wavefront6targetE0EEEvSG_.uses_vcc, 0
	.set _ZN7rocprim17ROCPRIM_400000_NS6detail17trampoline_kernelINS0_14default_configENS1_35radix_sort_onesweep_config_selectorIhNS0_10empty_typeEEEZZNS1_29radix_sort_onesweep_iterationIS3_Lb0EPKhPhPS5_SB_mNS0_19identity_decomposerENS1_16block_id_wrapperIjLb0EEEEE10hipError_tT1_PNSt15iterator_traitsISG_E10value_typeET2_T3_PNSH_ISM_E10value_typeET4_T5_PSR_SS_PNS1_23onesweep_lookback_stateEbbT6_jjT7_P12ihipStream_tbENKUlT_T0_SG_SL_E_clIS9_SA_SB_SB_EEDaSZ_S10_SG_SL_EUlSZ_E_NS1_11comp_targetILNS1_3genE4ELNS1_11target_archE910ELNS1_3gpuE8ELNS1_3repE0EEENS1_47radix_sort_onesweep_sort_config_static_selectorELNS0_4arch9wavefront6targetE0EEEvSG_.uses_flat_scratch, 0
	.set _ZN7rocprim17ROCPRIM_400000_NS6detail17trampoline_kernelINS0_14default_configENS1_35radix_sort_onesweep_config_selectorIhNS0_10empty_typeEEEZZNS1_29radix_sort_onesweep_iterationIS3_Lb0EPKhPhPS5_SB_mNS0_19identity_decomposerENS1_16block_id_wrapperIjLb0EEEEE10hipError_tT1_PNSt15iterator_traitsISG_E10value_typeET2_T3_PNSH_ISM_E10value_typeET4_T5_PSR_SS_PNS1_23onesweep_lookback_stateEbbT6_jjT7_P12ihipStream_tbENKUlT_T0_SG_SL_E_clIS9_SA_SB_SB_EEDaSZ_S10_SG_SL_EUlSZ_E_NS1_11comp_targetILNS1_3genE4ELNS1_11target_archE910ELNS1_3gpuE8ELNS1_3repE0EEENS1_47radix_sort_onesweep_sort_config_static_selectorELNS0_4arch9wavefront6targetE0EEEvSG_.has_dyn_sized_stack, 0
	.set _ZN7rocprim17ROCPRIM_400000_NS6detail17trampoline_kernelINS0_14default_configENS1_35radix_sort_onesweep_config_selectorIhNS0_10empty_typeEEEZZNS1_29radix_sort_onesweep_iterationIS3_Lb0EPKhPhPS5_SB_mNS0_19identity_decomposerENS1_16block_id_wrapperIjLb0EEEEE10hipError_tT1_PNSt15iterator_traitsISG_E10value_typeET2_T3_PNSH_ISM_E10value_typeET4_T5_PSR_SS_PNS1_23onesweep_lookback_stateEbbT6_jjT7_P12ihipStream_tbENKUlT_T0_SG_SL_E_clIS9_SA_SB_SB_EEDaSZ_S10_SG_SL_EUlSZ_E_NS1_11comp_targetILNS1_3genE4ELNS1_11target_archE910ELNS1_3gpuE8ELNS1_3repE0EEENS1_47radix_sort_onesweep_sort_config_static_selectorELNS0_4arch9wavefront6targetE0EEEvSG_.has_recursion, 0
	.set _ZN7rocprim17ROCPRIM_400000_NS6detail17trampoline_kernelINS0_14default_configENS1_35radix_sort_onesweep_config_selectorIhNS0_10empty_typeEEEZZNS1_29radix_sort_onesweep_iterationIS3_Lb0EPKhPhPS5_SB_mNS0_19identity_decomposerENS1_16block_id_wrapperIjLb0EEEEE10hipError_tT1_PNSt15iterator_traitsISG_E10value_typeET2_T3_PNSH_ISM_E10value_typeET4_T5_PSR_SS_PNS1_23onesweep_lookback_stateEbbT6_jjT7_P12ihipStream_tbENKUlT_T0_SG_SL_E_clIS9_SA_SB_SB_EEDaSZ_S10_SG_SL_EUlSZ_E_NS1_11comp_targetILNS1_3genE4ELNS1_11target_archE910ELNS1_3gpuE8ELNS1_3repE0EEENS1_47radix_sort_onesweep_sort_config_static_selectorELNS0_4arch9wavefront6targetE0EEEvSG_.has_indirect_call, 0
	.section	.AMDGPU.csdata,"",@progbits
; Kernel info:
; codeLenInByte = 0
; TotalNumSgprs: 0
; NumVgprs: 0
; ScratchSize: 0
; MemoryBound: 0
; FloatMode: 240
; IeeeMode: 1
; LDSByteSize: 0 bytes/workgroup (compile time only)
; SGPRBlocks: 0
; VGPRBlocks: 0
; NumSGPRsForWavesPerEU: 1
; NumVGPRsForWavesPerEU: 1
; NamedBarCnt: 0
; Occupancy: 16
; WaveLimiterHint : 0
; COMPUTE_PGM_RSRC2:SCRATCH_EN: 0
; COMPUTE_PGM_RSRC2:USER_SGPR: 2
; COMPUTE_PGM_RSRC2:TRAP_HANDLER: 0
; COMPUTE_PGM_RSRC2:TGID_X_EN: 1
; COMPUTE_PGM_RSRC2:TGID_Y_EN: 0
; COMPUTE_PGM_RSRC2:TGID_Z_EN: 0
; COMPUTE_PGM_RSRC2:TIDIG_COMP_CNT: 0
	.section	.text._ZN7rocprim17ROCPRIM_400000_NS6detail17trampoline_kernelINS0_14default_configENS1_35radix_sort_onesweep_config_selectorIhNS0_10empty_typeEEEZZNS1_29radix_sort_onesweep_iterationIS3_Lb0EPKhPhPS5_SB_mNS0_19identity_decomposerENS1_16block_id_wrapperIjLb0EEEEE10hipError_tT1_PNSt15iterator_traitsISG_E10value_typeET2_T3_PNSH_ISM_E10value_typeET4_T5_PSR_SS_PNS1_23onesweep_lookback_stateEbbT6_jjT7_P12ihipStream_tbENKUlT_T0_SG_SL_E_clIS9_SA_SB_SB_EEDaSZ_S10_SG_SL_EUlSZ_E_NS1_11comp_targetILNS1_3genE3ELNS1_11target_archE908ELNS1_3gpuE7ELNS1_3repE0EEENS1_47radix_sort_onesweep_sort_config_static_selectorELNS0_4arch9wavefront6targetE0EEEvSG_,"axG",@progbits,_ZN7rocprim17ROCPRIM_400000_NS6detail17trampoline_kernelINS0_14default_configENS1_35radix_sort_onesweep_config_selectorIhNS0_10empty_typeEEEZZNS1_29radix_sort_onesweep_iterationIS3_Lb0EPKhPhPS5_SB_mNS0_19identity_decomposerENS1_16block_id_wrapperIjLb0EEEEE10hipError_tT1_PNSt15iterator_traitsISG_E10value_typeET2_T3_PNSH_ISM_E10value_typeET4_T5_PSR_SS_PNS1_23onesweep_lookback_stateEbbT6_jjT7_P12ihipStream_tbENKUlT_T0_SG_SL_E_clIS9_SA_SB_SB_EEDaSZ_S10_SG_SL_EUlSZ_E_NS1_11comp_targetILNS1_3genE3ELNS1_11target_archE908ELNS1_3gpuE7ELNS1_3repE0EEENS1_47radix_sort_onesweep_sort_config_static_selectorELNS0_4arch9wavefront6targetE0EEEvSG_,comdat
	.protected	_ZN7rocprim17ROCPRIM_400000_NS6detail17trampoline_kernelINS0_14default_configENS1_35radix_sort_onesweep_config_selectorIhNS0_10empty_typeEEEZZNS1_29radix_sort_onesweep_iterationIS3_Lb0EPKhPhPS5_SB_mNS0_19identity_decomposerENS1_16block_id_wrapperIjLb0EEEEE10hipError_tT1_PNSt15iterator_traitsISG_E10value_typeET2_T3_PNSH_ISM_E10value_typeET4_T5_PSR_SS_PNS1_23onesweep_lookback_stateEbbT6_jjT7_P12ihipStream_tbENKUlT_T0_SG_SL_E_clIS9_SA_SB_SB_EEDaSZ_S10_SG_SL_EUlSZ_E_NS1_11comp_targetILNS1_3genE3ELNS1_11target_archE908ELNS1_3gpuE7ELNS1_3repE0EEENS1_47radix_sort_onesweep_sort_config_static_selectorELNS0_4arch9wavefront6targetE0EEEvSG_ ; -- Begin function _ZN7rocprim17ROCPRIM_400000_NS6detail17trampoline_kernelINS0_14default_configENS1_35radix_sort_onesweep_config_selectorIhNS0_10empty_typeEEEZZNS1_29radix_sort_onesweep_iterationIS3_Lb0EPKhPhPS5_SB_mNS0_19identity_decomposerENS1_16block_id_wrapperIjLb0EEEEE10hipError_tT1_PNSt15iterator_traitsISG_E10value_typeET2_T3_PNSH_ISM_E10value_typeET4_T5_PSR_SS_PNS1_23onesweep_lookback_stateEbbT6_jjT7_P12ihipStream_tbENKUlT_T0_SG_SL_E_clIS9_SA_SB_SB_EEDaSZ_S10_SG_SL_EUlSZ_E_NS1_11comp_targetILNS1_3genE3ELNS1_11target_archE908ELNS1_3gpuE7ELNS1_3repE0EEENS1_47radix_sort_onesweep_sort_config_static_selectorELNS0_4arch9wavefront6targetE0EEEvSG_
	.globl	_ZN7rocprim17ROCPRIM_400000_NS6detail17trampoline_kernelINS0_14default_configENS1_35radix_sort_onesweep_config_selectorIhNS0_10empty_typeEEEZZNS1_29radix_sort_onesweep_iterationIS3_Lb0EPKhPhPS5_SB_mNS0_19identity_decomposerENS1_16block_id_wrapperIjLb0EEEEE10hipError_tT1_PNSt15iterator_traitsISG_E10value_typeET2_T3_PNSH_ISM_E10value_typeET4_T5_PSR_SS_PNS1_23onesweep_lookback_stateEbbT6_jjT7_P12ihipStream_tbENKUlT_T0_SG_SL_E_clIS9_SA_SB_SB_EEDaSZ_S10_SG_SL_EUlSZ_E_NS1_11comp_targetILNS1_3genE3ELNS1_11target_archE908ELNS1_3gpuE7ELNS1_3repE0EEENS1_47radix_sort_onesweep_sort_config_static_selectorELNS0_4arch9wavefront6targetE0EEEvSG_
	.p2align	8
	.type	_ZN7rocprim17ROCPRIM_400000_NS6detail17trampoline_kernelINS0_14default_configENS1_35radix_sort_onesweep_config_selectorIhNS0_10empty_typeEEEZZNS1_29radix_sort_onesweep_iterationIS3_Lb0EPKhPhPS5_SB_mNS0_19identity_decomposerENS1_16block_id_wrapperIjLb0EEEEE10hipError_tT1_PNSt15iterator_traitsISG_E10value_typeET2_T3_PNSH_ISM_E10value_typeET4_T5_PSR_SS_PNS1_23onesweep_lookback_stateEbbT6_jjT7_P12ihipStream_tbENKUlT_T0_SG_SL_E_clIS9_SA_SB_SB_EEDaSZ_S10_SG_SL_EUlSZ_E_NS1_11comp_targetILNS1_3genE3ELNS1_11target_archE908ELNS1_3gpuE7ELNS1_3repE0EEENS1_47radix_sort_onesweep_sort_config_static_selectorELNS0_4arch9wavefront6targetE0EEEvSG_,@function
_ZN7rocprim17ROCPRIM_400000_NS6detail17trampoline_kernelINS0_14default_configENS1_35radix_sort_onesweep_config_selectorIhNS0_10empty_typeEEEZZNS1_29radix_sort_onesweep_iterationIS3_Lb0EPKhPhPS5_SB_mNS0_19identity_decomposerENS1_16block_id_wrapperIjLb0EEEEE10hipError_tT1_PNSt15iterator_traitsISG_E10value_typeET2_T3_PNSH_ISM_E10value_typeET4_T5_PSR_SS_PNS1_23onesweep_lookback_stateEbbT6_jjT7_P12ihipStream_tbENKUlT_T0_SG_SL_E_clIS9_SA_SB_SB_EEDaSZ_S10_SG_SL_EUlSZ_E_NS1_11comp_targetILNS1_3genE3ELNS1_11target_archE908ELNS1_3gpuE7ELNS1_3repE0EEENS1_47radix_sort_onesweep_sort_config_static_selectorELNS0_4arch9wavefront6targetE0EEEvSG_: ; @_ZN7rocprim17ROCPRIM_400000_NS6detail17trampoline_kernelINS0_14default_configENS1_35radix_sort_onesweep_config_selectorIhNS0_10empty_typeEEEZZNS1_29radix_sort_onesweep_iterationIS3_Lb0EPKhPhPS5_SB_mNS0_19identity_decomposerENS1_16block_id_wrapperIjLb0EEEEE10hipError_tT1_PNSt15iterator_traitsISG_E10value_typeET2_T3_PNSH_ISM_E10value_typeET4_T5_PSR_SS_PNS1_23onesweep_lookback_stateEbbT6_jjT7_P12ihipStream_tbENKUlT_T0_SG_SL_E_clIS9_SA_SB_SB_EEDaSZ_S10_SG_SL_EUlSZ_E_NS1_11comp_targetILNS1_3genE3ELNS1_11target_archE908ELNS1_3gpuE7ELNS1_3repE0EEENS1_47radix_sort_onesweep_sort_config_static_selectorELNS0_4arch9wavefront6targetE0EEEvSG_
; %bb.0:
	.section	.rodata,"a",@progbits
	.p2align	6, 0x0
	.amdhsa_kernel _ZN7rocprim17ROCPRIM_400000_NS6detail17trampoline_kernelINS0_14default_configENS1_35radix_sort_onesweep_config_selectorIhNS0_10empty_typeEEEZZNS1_29radix_sort_onesweep_iterationIS3_Lb0EPKhPhPS5_SB_mNS0_19identity_decomposerENS1_16block_id_wrapperIjLb0EEEEE10hipError_tT1_PNSt15iterator_traitsISG_E10value_typeET2_T3_PNSH_ISM_E10value_typeET4_T5_PSR_SS_PNS1_23onesweep_lookback_stateEbbT6_jjT7_P12ihipStream_tbENKUlT_T0_SG_SL_E_clIS9_SA_SB_SB_EEDaSZ_S10_SG_SL_EUlSZ_E_NS1_11comp_targetILNS1_3genE3ELNS1_11target_archE908ELNS1_3gpuE7ELNS1_3repE0EEENS1_47radix_sort_onesweep_sort_config_static_selectorELNS0_4arch9wavefront6targetE0EEEvSG_
		.amdhsa_group_segment_fixed_size 0
		.amdhsa_private_segment_fixed_size 0
		.amdhsa_kernarg_size 88
		.amdhsa_user_sgpr_count 2
		.amdhsa_user_sgpr_dispatch_ptr 0
		.amdhsa_user_sgpr_queue_ptr 0
		.amdhsa_user_sgpr_kernarg_segment_ptr 1
		.amdhsa_user_sgpr_dispatch_id 0
		.amdhsa_user_sgpr_kernarg_preload_length 0
		.amdhsa_user_sgpr_kernarg_preload_offset 0
		.amdhsa_user_sgpr_private_segment_size 0
		.amdhsa_wavefront_size32 1
		.amdhsa_uses_dynamic_stack 0
		.amdhsa_enable_private_segment 0
		.amdhsa_system_sgpr_workgroup_id_x 1
		.amdhsa_system_sgpr_workgroup_id_y 0
		.amdhsa_system_sgpr_workgroup_id_z 0
		.amdhsa_system_sgpr_workgroup_info 0
		.amdhsa_system_vgpr_workitem_id 0
		.amdhsa_next_free_vgpr 1
		.amdhsa_next_free_sgpr 1
		.amdhsa_named_barrier_count 0
		.amdhsa_reserve_vcc 0
		.amdhsa_float_round_mode_32 0
		.amdhsa_float_round_mode_16_64 0
		.amdhsa_float_denorm_mode_32 3
		.amdhsa_float_denorm_mode_16_64 3
		.amdhsa_fp16_overflow 0
		.amdhsa_memory_ordered 1
		.amdhsa_forward_progress 1
		.amdhsa_inst_pref_size 0
		.amdhsa_round_robin_scheduling 0
		.amdhsa_exception_fp_ieee_invalid_op 0
		.amdhsa_exception_fp_denorm_src 0
		.amdhsa_exception_fp_ieee_div_zero 0
		.amdhsa_exception_fp_ieee_overflow 0
		.amdhsa_exception_fp_ieee_underflow 0
		.amdhsa_exception_fp_ieee_inexact 0
		.amdhsa_exception_int_div_zero 0
	.end_amdhsa_kernel
	.section	.text._ZN7rocprim17ROCPRIM_400000_NS6detail17trampoline_kernelINS0_14default_configENS1_35radix_sort_onesweep_config_selectorIhNS0_10empty_typeEEEZZNS1_29radix_sort_onesweep_iterationIS3_Lb0EPKhPhPS5_SB_mNS0_19identity_decomposerENS1_16block_id_wrapperIjLb0EEEEE10hipError_tT1_PNSt15iterator_traitsISG_E10value_typeET2_T3_PNSH_ISM_E10value_typeET4_T5_PSR_SS_PNS1_23onesweep_lookback_stateEbbT6_jjT7_P12ihipStream_tbENKUlT_T0_SG_SL_E_clIS9_SA_SB_SB_EEDaSZ_S10_SG_SL_EUlSZ_E_NS1_11comp_targetILNS1_3genE3ELNS1_11target_archE908ELNS1_3gpuE7ELNS1_3repE0EEENS1_47radix_sort_onesweep_sort_config_static_selectorELNS0_4arch9wavefront6targetE0EEEvSG_,"axG",@progbits,_ZN7rocprim17ROCPRIM_400000_NS6detail17trampoline_kernelINS0_14default_configENS1_35radix_sort_onesweep_config_selectorIhNS0_10empty_typeEEEZZNS1_29radix_sort_onesweep_iterationIS3_Lb0EPKhPhPS5_SB_mNS0_19identity_decomposerENS1_16block_id_wrapperIjLb0EEEEE10hipError_tT1_PNSt15iterator_traitsISG_E10value_typeET2_T3_PNSH_ISM_E10value_typeET4_T5_PSR_SS_PNS1_23onesweep_lookback_stateEbbT6_jjT7_P12ihipStream_tbENKUlT_T0_SG_SL_E_clIS9_SA_SB_SB_EEDaSZ_S10_SG_SL_EUlSZ_E_NS1_11comp_targetILNS1_3genE3ELNS1_11target_archE908ELNS1_3gpuE7ELNS1_3repE0EEENS1_47radix_sort_onesweep_sort_config_static_selectorELNS0_4arch9wavefront6targetE0EEEvSG_,comdat
.Lfunc_end242:
	.size	_ZN7rocprim17ROCPRIM_400000_NS6detail17trampoline_kernelINS0_14default_configENS1_35radix_sort_onesweep_config_selectorIhNS0_10empty_typeEEEZZNS1_29radix_sort_onesweep_iterationIS3_Lb0EPKhPhPS5_SB_mNS0_19identity_decomposerENS1_16block_id_wrapperIjLb0EEEEE10hipError_tT1_PNSt15iterator_traitsISG_E10value_typeET2_T3_PNSH_ISM_E10value_typeET4_T5_PSR_SS_PNS1_23onesweep_lookback_stateEbbT6_jjT7_P12ihipStream_tbENKUlT_T0_SG_SL_E_clIS9_SA_SB_SB_EEDaSZ_S10_SG_SL_EUlSZ_E_NS1_11comp_targetILNS1_3genE3ELNS1_11target_archE908ELNS1_3gpuE7ELNS1_3repE0EEENS1_47radix_sort_onesweep_sort_config_static_selectorELNS0_4arch9wavefront6targetE0EEEvSG_, .Lfunc_end242-_ZN7rocprim17ROCPRIM_400000_NS6detail17trampoline_kernelINS0_14default_configENS1_35radix_sort_onesweep_config_selectorIhNS0_10empty_typeEEEZZNS1_29radix_sort_onesweep_iterationIS3_Lb0EPKhPhPS5_SB_mNS0_19identity_decomposerENS1_16block_id_wrapperIjLb0EEEEE10hipError_tT1_PNSt15iterator_traitsISG_E10value_typeET2_T3_PNSH_ISM_E10value_typeET4_T5_PSR_SS_PNS1_23onesweep_lookback_stateEbbT6_jjT7_P12ihipStream_tbENKUlT_T0_SG_SL_E_clIS9_SA_SB_SB_EEDaSZ_S10_SG_SL_EUlSZ_E_NS1_11comp_targetILNS1_3genE3ELNS1_11target_archE908ELNS1_3gpuE7ELNS1_3repE0EEENS1_47radix_sort_onesweep_sort_config_static_selectorELNS0_4arch9wavefront6targetE0EEEvSG_
                                        ; -- End function
	.set _ZN7rocprim17ROCPRIM_400000_NS6detail17trampoline_kernelINS0_14default_configENS1_35radix_sort_onesweep_config_selectorIhNS0_10empty_typeEEEZZNS1_29radix_sort_onesweep_iterationIS3_Lb0EPKhPhPS5_SB_mNS0_19identity_decomposerENS1_16block_id_wrapperIjLb0EEEEE10hipError_tT1_PNSt15iterator_traitsISG_E10value_typeET2_T3_PNSH_ISM_E10value_typeET4_T5_PSR_SS_PNS1_23onesweep_lookback_stateEbbT6_jjT7_P12ihipStream_tbENKUlT_T0_SG_SL_E_clIS9_SA_SB_SB_EEDaSZ_S10_SG_SL_EUlSZ_E_NS1_11comp_targetILNS1_3genE3ELNS1_11target_archE908ELNS1_3gpuE7ELNS1_3repE0EEENS1_47radix_sort_onesweep_sort_config_static_selectorELNS0_4arch9wavefront6targetE0EEEvSG_.num_vgpr, 0
	.set _ZN7rocprim17ROCPRIM_400000_NS6detail17trampoline_kernelINS0_14default_configENS1_35radix_sort_onesweep_config_selectorIhNS0_10empty_typeEEEZZNS1_29radix_sort_onesweep_iterationIS3_Lb0EPKhPhPS5_SB_mNS0_19identity_decomposerENS1_16block_id_wrapperIjLb0EEEEE10hipError_tT1_PNSt15iterator_traitsISG_E10value_typeET2_T3_PNSH_ISM_E10value_typeET4_T5_PSR_SS_PNS1_23onesweep_lookback_stateEbbT6_jjT7_P12ihipStream_tbENKUlT_T0_SG_SL_E_clIS9_SA_SB_SB_EEDaSZ_S10_SG_SL_EUlSZ_E_NS1_11comp_targetILNS1_3genE3ELNS1_11target_archE908ELNS1_3gpuE7ELNS1_3repE0EEENS1_47radix_sort_onesweep_sort_config_static_selectorELNS0_4arch9wavefront6targetE0EEEvSG_.num_agpr, 0
	.set _ZN7rocprim17ROCPRIM_400000_NS6detail17trampoline_kernelINS0_14default_configENS1_35radix_sort_onesweep_config_selectorIhNS0_10empty_typeEEEZZNS1_29radix_sort_onesweep_iterationIS3_Lb0EPKhPhPS5_SB_mNS0_19identity_decomposerENS1_16block_id_wrapperIjLb0EEEEE10hipError_tT1_PNSt15iterator_traitsISG_E10value_typeET2_T3_PNSH_ISM_E10value_typeET4_T5_PSR_SS_PNS1_23onesweep_lookback_stateEbbT6_jjT7_P12ihipStream_tbENKUlT_T0_SG_SL_E_clIS9_SA_SB_SB_EEDaSZ_S10_SG_SL_EUlSZ_E_NS1_11comp_targetILNS1_3genE3ELNS1_11target_archE908ELNS1_3gpuE7ELNS1_3repE0EEENS1_47radix_sort_onesweep_sort_config_static_selectorELNS0_4arch9wavefront6targetE0EEEvSG_.numbered_sgpr, 0
	.set _ZN7rocprim17ROCPRIM_400000_NS6detail17trampoline_kernelINS0_14default_configENS1_35radix_sort_onesweep_config_selectorIhNS0_10empty_typeEEEZZNS1_29radix_sort_onesweep_iterationIS3_Lb0EPKhPhPS5_SB_mNS0_19identity_decomposerENS1_16block_id_wrapperIjLb0EEEEE10hipError_tT1_PNSt15iterator_traitsISG_E10value_typeET2_T3_PNSH_ISM_E10value_typeET4_T5_PSR_SS_PNS1_23onesweep_lookback_stateEbbT6_jjT7_P12ihipStream_tbENKUlT_T0_SG_SL_E_clIS9_SA_SB_SB_EEDaSZ_S10_SG_SL_EUlSZ_E_NS1_11comp_targetILNS1_3genE3ELNS1_11target_archE908ELNS1_3gpuE7ELNS1_3repE0EEENS1_47radix_sort_onesweep_sort_config_static_selectorELNS0_4arch9wavefront6targetE0EEEvSG_.num_named_barrier, 0
	.set _ZN7rocprim17ROCPRIM_400000_NS6detail17trampoline_kernelINS0_14default_configENS1_35radix_sort_onesweep_config_selectorIhNS0_10empty_typeEEEZZNS1_29radix_sort_onesweep_iterationIS3_Lb0EPKhPhPS5_SB_mNS0_19identity_decomposerENS1_16block_id_wrapperIjLb0EEEEE10hipError_tT1_PNSt15iterator_traitsISG_E10value_typeET2_T3_PNSH_ISM_E10value_typeET4_T5_PSR_SS_PNS1_23onesweep_lookback_stateEbbT6_jjT7_P12ihipStream_tbENKUlT_T0_SG_SL_E_clIS9_SA_SB_SB_EEDaSZ_S10_SG_SL_EUlSZ_E_NS1_11comp_targetILNS1_3genE3ELNS1_11target_archE908ELNS1_3gpuE7ELNS1_3repE0EEENS1_47radix_sort_onesweep_sort_config_static_selectorELNS0_4arch9wavefront6targetE0EEEvSG_.private_seg_size, 0
	.set _ZN7rocprim17ROCPRIM_400000_NS6detail17trampoline_kernelINS0_14default_configENS1_35radix_sort_onesweep_config_selectorIhNS0_10empty_typeEEEZZNS1_29radix_sort_onesweep_iterationIS3_Lb0EPKhPhPS5_SB_mNS0_19identity_decomposerENS1_16block_id_wrapperIjLb0EEEEE10hipError_tT1_PNSt15iterator_traitsISG_E10value_typeET2_T3_PNSH_ISM_E10value_typeET4_T5_PSR_SS_PNS1_23onesweep_lookback_stateEbbT6_jjT7_P12ihipStream_tbENKUlT_T0_SG_SL_E_clIS9_SA_SB_SB_EEDaSZ_S10_SG_SL_EUlSZ_E_NS1_11comp_targetILNS1_3genE3ELNS1_11target_archE908ELNS1_3gpuE7ELNS1_3repE0EEENS1_47radix_sort_onesweep_sort_config_static_selectorELNS0_4arch9wavefront6targetE0EEEvSG_.uses_vcc, 0
	.set _ZN7rocprim17ROCPRIM_400000_NS6detail17trampoline_kernelINS0_14default_configENS1_35radix_sort_onesweep_config_selectorIhNS0_10empty_typeEEEZZNS1_29radix_sort_onesweep_iterationIS3_Lb0EPKhPhPS5_SB_mNS0_19identity_decomposerENS1_16block_id_wrapperIjLb0EEEEE10hipError_tT1_PNSt15iterator_traitsISG_E10value_typeET2_T3_PNSH_ISM_E10value_typeET4_T5_PSR_SS_PNS1_23onesweep_lookback_stateEbbT6_jjT7_P12ihipStream_tbENKUlT_T0_SG_SL_E_clIS9_SA_SB_SB_EEDaSZ_S10_SG_SL_EUlSZ_E_NS1_11comp_targetILNS1_3genE3ELNS1_11target_archE908ELNS1_3gpuE7ELNS1_3repE0EEENS1_47radix_sort_onesweep_sort_config_static_selectorELNS0_4arch9wavefront6targetE0EEEvSG_.uses_flat_scratch, 0
	.set _ZN7rocprim17ROCPRIM_400000_NS6detail17trampoline_kernelINS0_14default_configENS1_35radix_sort_onesweep_config_selectorIhNS0_10empty_typeEEEZZNS1_29radix_sort_onesweep_iterationIS3_Lb0EPKhPhPS5_SB_mNS0_19identity_decomposerENS1_16block_id_wrapperIjLb0EEEEE10hipError_tT1_PNSt15iterator_traitsISG_E10value_typeET2_T3_PNSH_ISM_E10value_typeET4_T5_PSR_SS_PNS1_23onesweep_lookback_stateEbbT6_jjT7_P12ihipStream_tbENKUlT_T0_SG_SL_E_clIS9_SA_SB_SB_EEDaSZ_S10_SG_SL_EUlSZ_E_NS1_11comp_targetILNS1_3genE3ELNS1_11target_archE908ELNS1_3gpuE7ELNS1_3repE0EEENS1_47radix_sort_onesweep_sort_config_static_selectorELNS0_4arch9wavefront6targetE0EEEvSG_.has_dyn_sized_stack, 0
	.set _ZN7rocprim17ROCPRIM_400000_NS6detail17trampoline_kernelINS0_14default_configENS1_35radix_sort_onesweep_config_selectorIhNS0_10empty_typeEEEZZNS1_29radix_sort_onesweep_iterationIS3_Lb0EPKhPhPS5_SB_mNS0_19identity_decomposerENS1_16block_id_wrapperIjLb0EEEEE10hipError_tT1_PNSt15iterator_traitsISG_E10value_typeET2_T3_PNSH_ISM_E10value_typeET4_T5_PSR_SS_PNS1_23onesweep_lookback_stateEbbT6_jjT7_P12ihipStream_tbENKUlT_T0_SG_SL_E_clIS9_SA_SB_SB_EEDaSZ_S10_SG_SL_EUlSZ_E_NS1_11comp_targetILNS1_3genE3ELNS1_11target_archE908ELNS1_3gpuE7ELNS1_3repE0EEENS1_47radix_sort_onesweep_sort_config_static_selectorELNS0_4arch9wavefront6targetE0EEEvSG_.has_recursion, 0
	.set _ZN7rocprim17ROCPRIM_400000_NS6detail17trampoline_kernelINS0_14default_configENS1_35radix_sort_onesweep_config_selectorIhNS0_10empty_typeEEEZZNS1_29radix_sort_onesweep_iterationIS3_Lb0EPKhPhPS5_SB_mNS0_19identity_decomposerENS1_16block_id_wrapperIjLb0EEEEE10hipError_tT1_PNSt15iterator_traitsISG_E10value_typeET2_T3_PNSH_ISM_E10value_typeET4_T5_PSR_SS_PNS1_23onesweep_lookback_stateEbbT6_jjT7_P12ihipStream_tbENKUlT_T0_SG_SL_E_clIS9_SA_SB_SB_EEDaSZ_S10_SG_SL_EUlSZ_E_NS1_11comp_targetILNS1_3genE3ELNS1_11target_archE908ELNS1_3gpuE7ELNS1_3repE0EEENS1_47radix_sort_onesweep_sort_config_static_selectorELNS0_4arch9wavefront6targetE0EEEvSG_.has_indirect_call, 0
	.section	.AMDGPU.csdata,"",@progbits
; Kernel info:
; codeLenInByte = 0
; TotalNumSgprs: 0
; NumVgprs: 0
; ScratchSize: 0
; MemoryBound: 0
; FloatMode: 240
; IeeeMode: 1
; LDSByteSize: 0 bytes/workgroup (compile time only)
; SGPRBlocks: 0
; VGPRBlocks: 0
; NumSGPRsForWavesPerEU: 1
; NumVGPRsForWavesPerEU: 1
; NamedBarCnt: 0
; Occupancy: 16
; WaveLimiterHint : 0
; COMPUTE_PGM_RSRC2:SCRATCH_EN: 0
; COMPUTE_PGM_RSRC2:USER_SGPR: 2
; COMPUTE_PGM_RSRC2:TRAP_HANDLER: 0
; COMPUTE_PGM_RSRC2:TGID_X_EN: 1
; COMPUTE_PGM_RSRC2:TGID_Y_EN: 0
; COMPUTE_PGM_RSRC2:TGID_Z_EN: 0
; COMPUTE_PGM_RSRC2:TIDIG_COMP_CNT: 0
	.section	.text._ZN7rocprim17ROCPRIM_400000_NS6detail17trampoline_kernelINS0_14default_configENS1_35radix_sort_onesweep_config_selectorIhNS0_10empty_typeEEEZZNS1_29radix_sort_onesweep_iterationIS3_Lb0EPKhPhPS5_SB_mNS0_19identity_decomposerENS1_16block_id_wrapperIjLb0EEEEE10hipError_tT1_PNSt15iterator_traitsISG_E10value_typeET2_T3_PNSH_ISM_E10value_typeET4_T5_PSR_SS_PNS1_23onesweep_lookback_stateEbbT6_jjT7_P12ihipStream_tbENKUlT_T0_SG_SL_E_clIS9_SA_SB_SB_EEDaSZ_S10_SG_SL_EUlSZ_E_NS1_11comp_targetILNS1_3genE10ELNS1_11target_archE1201ELNS1_3gpuE5ELNS1_3repE0EEENS1_47radix_sort_onesweep_sort_config_static_selectorELNS0_4arch9wavefront6targetE0EEEvSG_,"axG",@progbits,_ZN7rocprim17ROCPRIM_400000_NS6detail17trampoline_kernelINS0_14default_configENS1_35radix_sort_onesweep_config_selectorIhNS0_10empty_typeEEEZZNS1_29radix_sort_onesweep_iterationIS3_Lb0EPKhPhPS5_SB_mNS0_19identity_decomposerENS1_16block_id_wrapperIjLb0EEEEE10hipError_tT1_PNSt15iterator_traitsISG_E10value_typeET2_T3_PNSH_ISM_E10value_typeET4_T5_PSR_SS_PNS1_23onesweep_lookback_stateEbbT6_jjT7_P12ihipStream_tbENKUlT_T0_SG_SL_E_clIS9_SA_SB_SB_EEDaSZ_S10_SG_SL_EUlSZ_E_NS1_11comp_targetILNS1_3genE10ELNS1_11target_archE1201ELNS1_3gpuE5ELNS1_3repE0EEENS1_47radix_sort_onesweep_sort_config_static_selectorELNS0_4arch9wavefront6targetE0EEEvSG_,comdat
	.protected	_ZN7rocprim17ROCPRIM_400000_NS6detail17trampoline_kernelINS0_14default_configENS1_35radix_sort_onesweep_config_selectorIhNS0_10empty_typeEEEZZNS1_29radix_sort_onesweep_iterationIS3_Lb0EPKhPhPS5_SB_mNS0_19identity_decomposerENS1_16block_id_wrapperIjLb0EEEEE10hipError_tT1_PNSt15iterator_traitsISG_E10value_typeET2_T3_PNSH_ISM_E10value_typeET4_T5_PSR_SS_PNS1_23onesweep_lookback_stateEbbT6_jjT7_P12ihipStream_tbENKUlT_T0_SG_SL_E_clIS9_SA_SB_SB_EEDaSZ_S10_SG_SL_EUlSZ_E_NS1_11comp_targetILNS1_3genE10ELNS1_11target_archE1201ELNS1_3gpuE5ELNS1_3repE0EEENS1_47radix_sort_onesweep_sort_config_static_selectorELNS0_4arch9wavefront6targetE0EEEvSG_ ; -- Begin function _ZN7rocprim17ROCPRIM_400000_NS6detail17trampoline_kernelINS0_14default_configENS1_35radix_sort_onesweep_config_selectorIhNS0_10empty_typeEEEZZNS1_29radix_sort_onesweep_iterationIS3_Lb0EPKhPhPS5_SB_mNS0_19identity_decomposerENS1_16block_id_wrapperIjLb0EEEEE10hipError_tT1_PNSt15iterator_traitsISG_E10value_typeET2_T3_PNSH_ISM_E10value_typeET4_T5_PSR_SS_PNS1_23onesweep_lookback_stateEbbT6_jjT7_P12ihipStream_tbENKUlT_T0_SG_SL_E_clIS9_SA_SB_SB_EEDaSZ_S10_SG_SL_EUlSZ_E_NS1_11comp_targetILNS1_3genE10ELNS1_11target_archE1201ELNS1_3gpuE5ELNS1_3repE0EEENS1_47radix_sort_onesweep_sort_config_static_selectorELNS0_4arch9wavefront6targetE0EEEvSG_
	.globl	_ZN7rocprim17ROCPRIM_400000_NS6detail17trampoline_kernelINS0_14default_configENS1_35radix_sort_onesweep_config_selectorIhNS0_10empty_typeEEEZZNS1_29radix_sort_onesweep_iterationIS3_Lb0EPKhPhPS5_SB_mNS0_19identity_decomposerENS1_16block_id_wrapperIjLb0EEEEE10hipError_tT1_PNSt15iterator_traitsISG_E10value_typeET2_T3_PNSH_ISM_E10value_typeET4_T5_PSR_SS_PNS1_23onesweep_lookback_stateEbbT6_jjT7_P12ihipStream_tbENKUlT_T0_SG_SL_E_clIS9_SA_SB_SB_EEDaSZ_S10_SG_SL_EUlSZ_E_NS1_11comp_targetILNS1_3genE10ELNS1_11target_archE1201ELNS1_3gpuE5ELNS1_3repE0EEENS1_47radix_sort_onesweep_sort_config_static_selectorELNS0_4arch9wavefront6targetE0EEEvSG_
	.p2align	8
	.type	_ZN7rocprim17ROCPRIM_400000_NS6detail17trampoline_kernelINS0_14default_configENS1_35radix_sort_onesweep_config_selectorIhNS0_10empty_typeEEEZZNS1_29radix_sort_onesweep_iterationIS3_Lb0EPKhPhPS5_SB_mNS0_19identity_decomposerENS1_16block_id_wrapperIjLb0EEEEE10hipError_tT1_PNSt15iterator_traitsISG_E10value_typeET2_T3_PNSH_ISM_E10value_typeET4_T5_PSR_SS_PNS1_23onesweep_lookback_stateEbbT6_jjT7_P12ihipStream_tbENKUlT_T0_SG_SL_E_clIS9_SA_SB_SB_EEDaSZ_S10_SG_SL_EUlSZ_E_NS1_11comp_targetILNS1_3genE10ELNS1_11target_archE1201ELNS1_3gpuE5ELNS1_3repE0EEENS1_47radix_sort_onesweep_sort_config_static_selectorELNS0_4arch9wavefront6targetE0EEEvSG_,@function
_ZN7rocprim17ROCPRIM_400000_NS6detail17trampoline_kernelINS0_14default_configENS1_35radix_sort_onesweep_config_selectorIhNS0_10empty_typeEEEZZNS1_29radix_sort_onesweep_iterationIS3_Lb0EPKhPhPS5_SB_mNS0_19identity_decomposerENS1_16block_id_wrapperIjLb0EEEEE10hipError_tT1_PNSt15iterator_traitsISG_E10value_typeET2_T3_PNSH_ISM_E10value_typeET4_T5_PSR_SS_PNS1_23onesweep_lookback_stateEbbT6_jjT7_P12ihipStream_tbENKUlT_T0_SG_SL_E_clIS9_SA_SB_SB_EEDaSZ_S10_SG_SL_EUlSZ_E_NS1_11comp_targetILNS1_3genE10ELNS1_11target_archE1201ELNS1_3gpuE5ELNS1_3repE0EEENS1_47radix_sort_onesweep_sort_config_static_selectorELNS0_4arch9wavefront6targetE0EEEvSG_: ; @_ZN7rocprim17ROCPRIM_400000_NS6detail17trampoline_kernelINS0_14default_configENS1_35radix_sort_onesweep_config_selectorIhNS0_10empty_typeEEEZZNS1_29radix_sort_onesweep_iterationIS3_Lb0EPKhPhPS5_SB_mNS0_19identity_decomposerENS1_16block_id_wrapperIjLb0EEEEE10hipError_tT1_PNSt15iterator_traitsISG_E10value_typeET2_T3_PNSH_ISM_E10value_typeET4_T5_PSR_SS_PNS1_23onesweep_lookback_stateEbbT6_jjT7_P12ihipStream_tbENKUlT_T0_SG_SL_E_clIS9_SA_SB_SB_EEDaSZ_S10_SG_SL_EUlSZ_E_NS1_11comp_targetILNS1_3genE10ELNS1_11target_archE1201ELNS1_3gpuE5ELNS1_3repE0EEENS1_47radix_sort_onesweep_sort_config_static_selectorELNS0_4arch9wavefront6targetE0EEEvSG_
; %bb.0:
	.section	.rodata,"a",@progbits
	.p2align	6, 0x0
	.amdhsa_kernel _ZN7rocprim17ROCPRIM_400000_NS6detail17trampoline_kernelINS0_14default_configENS1_35radix_sort_onesweep_config_selectorIhNS0_10empty_typeEEEZZNS1_29radix_sort_onesweep_iterationIS3_Lb0EPKhPhPS5_SB_mNS0_19identity_decomposerENS1_16block_id_wrapperIjLb0EEEEE10hipError_tT1_PNSt15iterator_traitsISG_E10value_typeET2_T3_PNSH_ISM_E10value_typeET4_T5_PSR_SS_PNS1_23onesweep_lookback_stateEbbT6_jjT7_P12ihipStream_tbENKUlT_T0_SG_SL_E_clIS9_SA_SB_SB_EEDaSZ_S10_SG_SL_EUlSZ_E_NS1_11comp_targetILNS1_3genE10ELNS1_11target_archE1201ELNS1_3gpuE5ELNS1_3repE0EEENS1_47radix_sort_onesweep_sort_config_static_selectorELNS0_4arch9wavefront6targetE0EEEvSG_
		.amdhsa_group_segment_fixed_size 0
		.amdhsa_private_segment_fixed_size 0
		.amdhsa_kernarg_size 88
		.amdhsa_user_sgpr_count 2
		.amdhsa_user_sgpr_dispatch_ptr 0
		.amdhsa_user_sgpr_queue_ptr 0
		.amdhsa_user_sgpr_kernarg_segment_ptr 1
		.amdhsa_user_sgpr_dispatch_id 0
		.amdhsa_user_sgpr_kernarg_preload_length 0
		.amdhsa_user_sgpr_kernarg_preload_offset 0
		.amdhsa_user_sgpr_private_segment_size 0
		.amdhsa_wavefront_size32 1
		.amdhsa_uses_dynamic_stack 0
		.amdhsa_enable_private_segment 0
		.amdhsa_system_sgpr_workgroup_id_x 1
		.amdhsa_system_sgpr_workgroup_id_y 0
		.amdhsa_system_sgpr_workgroup_id_z 0
		.amdhsa_system_sgpr_workgroup_info 0
		.amdhsa_system_vgpr_workitem_id 0
		.amdhsa_next_free_vgpr 1
		.amdhsa_next_free_sgpr 1
		.amdhsa_named_barrier_count 0
		.amdhsa_reserve_vcc 0
		.amdhsa_float_round_mode_32 0
		.amdhsa_float_round_mode_16_64 0
		.amdhsa_float_denorm_mode_32 3
		.amdhsa_float_denorm_mode_16_64 3
		.amdhsa_fp16_overflow 0
		.amdhsa_memory_ordered 1
		.amdhsa_forward_progress 1
		.amdhsa_inst_pref_size 0
		.amdhsa_round_robin_scheduling 0
		.amdhsa_exception_fp_ieee_invalid_op 0
		.amdhsa_exception_fp_denorm_src 0
		.amdhsa_exception_fp_ieee_div_zero 0
		.amdhsa_exception_fp_ieee_overflow 0
		.amdhsa_exception_fp_ieee_underflow 0
		.amdhsa_exception_fp_ieee_inexact 0
		.amdhsa_exception_int_div_zero 0
	.end_amdhsa_kernel
	.section	.text._ZN7rocprim17ROCPRIM_400000_NS6detail17trampoline_kernelINS0_14default_configENS1_35radix_sort_onesweep_config_selectorIhNS0_10empty_typeEEEZZNS1_29radix_sort_onesweep_iterationIS3_Lb0EPKhPhPS5_SB_mNS0_19identity_decomposerENS1_16block_id_wrapperIjLb0EEEEE10hipError_tT1_PNSt15iterator_traitsISG_E10value_typeET2_T3_PNSH_ISM_E10value_typeET4_T5_PSR_SS_PNS1_23onesweep_lookback_stateEbbT6_jjT7_P12ihipStream_tbENKUlT_T0_SG_SL_E_clIS9_SA_SB_SB_EEDaSZ_S10_SG_SL_EUlSZ_E_NS1_11comp_targetILNS1_3genE10ELNS1_11target_archE1201ELNS1_3gpuE5ELNS1_3repE0EEENS1_47radix_sort_onesweep_sort_config_static_selectorELNS0_4arch9wavefront6targetE0EEEvSG_,"axG",@progbits,_ZN7rocprim17ROCPRIM_400000_NS6detail17trampoline_kernelINS0_14default_configENS1_35radix_sort_onesweep_config_selectorIhNS0_10empty_typeEEEZZNS1_29radix_sort_onesweep_iterationIS3_Lb0EPKhPhPS5_SB_mNS0_19identity_decomposerENS1_16block_id_wrapperIjLb0EEEEE10hipError_tT1_PNSt15iterator_traitsISG_E10value_typeET2_T3_PNSH_ISM_E10value_typeET4_T5_PSR_SS_PNS1_23onesweep_lookback_stateEbbT6_jjT7_P12ihipStream_tbENKUlT_T0_SG_SL_E_clIS9_SA_SB_SB_EEDaSZ_S10_SG_SL_EUlSZ_E_NS1_11comp_targetILNS1_3genE10ELNS1_11target_archE1201ELNS1_3gpuE5ELNS1_3repE0EEENS1_47radix_sort_onesweep_sort_config_static_selectorELNS0_4arch9wavefront6targetE0EEEvSG_,comdat
.Lfunc_end243:
	.size	_ZN7rocprim17ROCPRIM_400000_NS6detail17trampoline_kernelINS0_14default_configENS1_35radix_sort_onesweep_config_selectorIhNS0_10empty_typeEEEZZNS1_29radix_sort_onesweep_iterationIS3_Lb0EPKhPhPS5_SB_mNS0_19identity_decomposerENS1_16block_id_wrapperIjLb0EEEEE10hipError_tT1_PNSt15iterator_traitsISG_E10value_typeET2_T3_PNSH_ISM_E10value_typeET4_T5_PSR_SS_PNS1_23onesweep_lookback_stateEbbT6_jjT7_P12ihipStream_tbENKUlT_T0_SG_SL_E_clIS9_SA_SB_SB_EEDaSZ_S10_SG_SL_EUlSZ_E_NS1_11comp_targetILNS1_3genE10ELNS1_11target_archE1201ELNS1_3gpuE5ELNS1_3repE0EEENS1_47radix_sort_onesweep_sort_config_static_selectorELNS0_4arch9wavefront6targetE0EEEvSG_, .Lfunc_end243-_ZN7rocprim17ROCPRIM_400000_NS6detail17trampoline_kernelINS0_14default_configENS1_35radix_sort_onesweep_config_selectorIhNS0_10empty_typeEEEZZNS1_29radix_sort_onesweep_iterationIS3_Lb0EPKhPhPS5_SB_mNS0_19identity_decomposerENS1_16block_id_wrapperIjLb0EEEEE10hipError_tT1_PNSt15iterator_traitsISG_E10value_typeET2_T3_PNSH_ISM_E10value_typeET4_T5_PSR_SS_PNS1_23onesweep_lookback_stateEbbT6_jjT7_P12ihipStream_tbENKUlT_T0_SG_SL_E_clIS9_SA_SB_SB_EEDaSZ_S10_SG_SL_EUlSZ_E_NS1_11comp_targetILNS1_3genE10ELNS1_11target_archE1201ELNS1_3gpuE5ELNS1_3repE0EEENS1_47radix_sort_onesweep_sort_config_static_selectorELNS0_4arch9wavefront6targetE0EEEvSG_
                                        ; -- End function
	.set _ZN7rocprim17ROCPRIM_400000_NS6detail17trampoline_kernelINS0_14default_configENS1_35radix_sort_onesweep_config_selectorIhNS0_10empty_typeEEEZZNS1_29radix_sort_onesweep_iterationIS3_Lb0EPKhPhPS5_SB_mNS0_19identity_decomposerENS1_16block_id_wrapperIjLb0EEEEE10hipError_tT1_PNSt15iterator_traitsISG_E10value_typeET2_T3_PNSH_ISM_E10value_typeET4_T5_PSR_SS_PNS1_23onesweep_lookback_stateEbbT6_jjT7_P12ihipStream_tbENKUlT_T0_SG_SL_E_clIS9_SA_SB_SB_EEDaSZ_S10_SG_SL_EUlSZ_E_NS1_11comp_targetILNS1_3genE10ELNS1_11target_archE1201ELNS1_3gpuE5ELNS1_3repE0EEENS1_47radix_sort_onesweep_sort_config_static_selectorELNS0_4arch9wavefront6targetE0EEEvSG_.num_vgpr, 0
	.set _ZN7rocprim17ROCPRIM_400000_NS6detail17trampoline_kernelINS0_14default_configENS1_35radix_sort_onesweep_config_selectorIhNS0_10empty_typeEEEZZNS1_29radix_sort_onesweep_iterationIS3_Lb0EPKhPhPS5_SB_mNS0_19identity_decomposerENS1_16block_id_wrapperIjLb0EEEEE10hipError_tT1_PNSt15iterator_traitsISG_E10value_typeET2_T3_PNSH_ISM_E10value_typeET4_T5_PSR_SS_PNS1_23onesweep_lookback_stateEbbT6_jjT7_P12ihipStream_tbENKUlT_T0_SG_SL_E_clIS9_SA_SB_SB_EEDaSZ_S10_SG_SL_EUlSZ_E_NS1_11comp_targetILNS1_3genE10ELNS1_11target_archE1201ELNS1_3gpuE5ELNS1_3repE0EEENS1_47radix_sort_onesweep_sort_config_static_selectorELNS0_4arch9wavefront6targetE0EEEvSG_.num_agpr, 0
	.set _ZN7rocprim17ROCPRIM_400000_NS6detail17trampoline_kernelINS0_14default_configENS1_35radix_sort_onesweep_config_selectorIhNS0_10empty_typeEEEZZNS1_29radix_sort_onesweep_iterationIS3_Lb0EPKhPhPS5_SB_mNS0_19identity_decomposerENS1_16block_id_wrapperIjLb0EEEEE10hipError_tT1_PNSt15iterator_traitsISG_E10value_typeET2_T3_PNSH_ISM_E10value_typeET4_T5_PSR_SS_PNS1_23onesweep_lookback_stateEbbT6_jjT7_P12ihipStream_tbENKUlT_T0_SG_SL_E_clIS9_SA_SB_SB_EEDaSZ_S10_SG_SL_EUlSZ_E_NS1_11comp_targetILNS1_3genE10ELNS1_11target_archE1201ELNS1_3gpuE5ELNS1_3repE0EEENS1_47radix_sort_onesweep_sort_config_static_selectorELNS0_4arch9wavefront6targetE0EEEvSG_.numbered_sgpr, 0
	.set _ZN7rocprim17ROCPRIM_400000_NS6detail17trampoline_kernelINS0_14default_configENS1_35radix_sort_onesweep_config_selectorIhNS0_10empty_typeEEEZZNS1_29radix_sort_onesweep_iterationIS3_Lb0EPKhPhPS5_SB_mNS0_19identity_decomposerENS1_16block_id_wrapperIjLb0EEEEE10hipError_tT1_PNSt15iterator_traitsISG_E10value_typeET2_T3_PNSH_ISM_E10value_typeET4_T5_PSR_SS_PNS1_23onesweep_lookback_stateEbbT6_jjT7_P12ihipStream_tbENKUlT_T0_SG_SL_E_clIS9_SA_SB_SB_EEDaSZ_S10_SG_SL_EUlSZ_E_NS1_11comp_targetILNS1_3genE10ELNS1_11target_archE1201ELNS1_3gpuE5ELNS1_3repE0EEENS1_47radix_sort_onesweep_sort_config_static_selectorELNS0_4arch9wavefront6targetE0EEEvSG_.num_named_barrier, 0
	.set _ZN7rocprim17ROCPRIM_400000_NS6detail17trampoline_kernelINS0_14default_configENS1_35radix_sort_onesweep_config_selectorIhNS0_10empty_typeEEEZZNS1_29radix_sort_onesweep_iterationIS3_Lb0EPKhPhPS5_SB_mNS0_19identity_decomposerENS1_16block_id_wrapperIjLb0EEEEE10hipError_tT1_PNSt15iterator_traitsISG_E10value_typeET2_T3_PNSH_ISM_E10value_typeET4_T5_PSR_SS_PNS1_23onesweep_lookback_stateEbbT6_jjT7_P12ihipStream_tbENKUlT_T0_SG_SL_E_clIS9_SA_SB_SB_EEDaSZ_S10_SG_SL_EUlSZ_E_NS1_11comp_targetILNS1_3genE10ELNS1_11target_archE1201ELNS1_3gpuE5ELNS1_3repE0EEENS1_47radix_sort_onesweep_sort_config_static_selectorELNS0_4arch9wavefront6targetE0EEEvSG_.private_seg_size, 0
	.set _ZN7rocprim17ROCPRIM_400000_NS6detail17trampoline_kernelINS0_14default_configENS1_35radix_sort_onesweep_config_selectorIhNS0_10empty_typeEEEZZNS1_29radix_sort_onesweep_iterationIS3_Lb0EPKhPhPS5_SB_mNS0_19identity_decomposerENS1_16block_id_wrapperIjLb0EEEEE10hipError_tT1_PNSt15iterator_traitsISG_E10value_typeET2_T3_PNSH_ISM_E10value_typeET4_T5_PSR_SS_PNS1_23onesweep_lookback_stateEbbT6_jjT7_P12ihipStream_tbENKUlT_T0_SG_SL_E_clIS9_SA_SB_SB_EEDaSZ_S10_SG_SL_EUlSZ_E_NS1_11comp_targetILNS1_3genE10ELNS1_11target_archE1201ELNS1_3gpuE5ELNS1_3repE0EEENS1_47radix_sort_onesweep_sort_config_static_selectorELNS0_4arch9wavefront6targetE0EEEvSG_.uses_vcc, 0
	.set _ZN7rocprim17ROCPRIM_400000_NS6detail17trampoline_kernelINS0_14default_configENS1_35radix_sort_onesweep_config_selectorIhNS0_10empty_typeEEEZZNS1_29radix_sort_onesweep_iterationIS3_Lb0EPKhPhPS5_SB_mNS0_19identity_decomposerENS1_16block_id_wrapperIjLb0EEEEE10hipError_tT1_PNSt15iterator_traitsISG_E10value_typeET2_T3_PNSH_ISM_E10value_typeET4_T5_PSR_SS_PNS1_23onesweep_lookback_stateEbbT6_jjT7_P12ihipStream_tbENKUlT_T0_SG_SL_E_clIS9_SA_SB_SB_EEDaSZ_S10_SG_SL_EUlSZ_E_NS1_11comp_targetILNS1_3genE10ELNS1_11target_archE1201ELNS1_3gpuE5ELNS1_3repE0EEENS1_47radix_sort_onesweep_sort_config_static_selectorELNS0_4arch9wavefront6targetE0EEEvSG_.uses_flat_scratch, 0
	.set _ZN7rocprim17ROCPRIM_400000_NS6detail17trampoline_kernelINS0_14default_configENS1_35radix_sort_onesweep_config_selectorIhNS0_10empty_typeEEEZZNS1_29radix_sort_onesweep_iterationIS3_Lb0EPKhPhPS5_SB_mNS0_19identity_decomposerENS1_16block_id_wrapperIjLb0EEEEE10hipError_tT1_PNSt15iterator_traitsISG_E10value_typeET2_T3_PNSH_ISM_E10value_typeET4_T5_PSR_SS_PNS1_23onesweep_lookback_stateEbbT6_jjT7_P12ihipStream_tbENKUlT_T0_SG_SL_E_clIS9_SA_SB_SB_EEDaSZ_S10_SG_SL_EUlSZ_E_NS1_11comp_targetILNS1_3genE10ELNS1_11target_archE1201ELNS1_3gpuE5ELNS1_3repE0EEENS1_47radix_sort_onesweep_sort_config_static_selectorELNS0_4arch9wavefront6targetE0EEEvSG_.has_dyn_sized_stack, 0
	.set _ZN7rocprim17ROCPRIM_400000_NS6detail17trampoline_kernelINS0_14default_configENS1_35radix_sort_onesweep_config_selectorIhNS0_10empty_typeEEEZZNS1_29radix_sort_onesweep_iterationIS3_Lb0EPKhPhPS5_SB_mNS0_19identity_decomposerENS1_16block_id_wrapperIjLb0EEEEE10hipError_tT1_PNSt15iterator_traitsISG_E10value_typeET2_T3_PNSH_ISM_E10value_typeET4_T5_PSR_SS_PNS1_23onesweep_lookback_stateEbbT6_jjT7_P12ihipStream_tbENKUlT_T0_SG_SL_E_clIS9_SA_SB_SB_EEDaSZ_S10_SG_SL_EUlSZ_E_NS1_11comp_targetILNS1_3genE10ELNS1_11target_archE1201ELNS1_3gpuE5ELNS1_3repE0EEENS1_47radix_sort_onesweep_sort_config_static_selectorELNS0_4arch9wavefront6targetE0EEEvSG_.has_recursion, 0
	.set _ZN7rocprim17ROCPRIM_400000_NS6detail17trampoline_kernelINS0_14default_configENS1_35radix_sort_onesweep_config_selectorIhNS0_10empty_typeEEEZZNS1_29radix_sort_onesweep_iterationIS3_Lb0EPKhPhPS5_SB_mNS0_19identity_decomposerENS1_16block_id_wrapperIjLb0EEEEE10hipError_tT1_PNSt15iterator_traitsISG_E10value_typeET2_T3_PNSH_ISM_E10value_typeET4_T5_PSR_SS_PNS1_23onesweep_lookback_stateEbbT6_jjT7_P12ihipStream_tbENKUlT_T0_SG_SL_E_clIS9_SA_SB_SB_EEDaSZ_S10_SG_SL_EUlSZ_E_NS1_11comp_targetILNS1_3genE10ELNS1_11target_archE1201ELNS1_3gpuE5ELNS1_3repE0EEENS1_47radix_sort_onesweep_sort_config_static_selectorELNS0_4arch9wavefront6targetE0EEEvSG_.has_indirect_call, 0
	.section	.AMDGPU.csdata,"",@progbits
; Kernel info:
; codeLenInByte = 0
; TotalNumSgprs: 0
; NumVgprs: 0
; ScratchSize: 0
; MemoryBound: 0
; FloatMode: 240
; IeeeMode: 1
; LDSByteSize: 0 bytes/workgroup (compile time only)
; SGPRBlocks: 0
; VGPRBlocks: 0
; NumSGPRsForWavesPerEU: 1
; NumVGPRsForWavesPerEU: 1
; NamedBarCnt: 0
; Occupancy: 16
; WaveLimiterHint : 0
; COMPUTE_PGM_RSRC2:SCRATCH_EN: 0
; COMPUTE_PGM_RSRC2:USER_SGPR: 2
; COMPUTE_PGM_RSRC2:TRAP_HANDLER: 0
; COMPUTE_PGM_RSRC2:TGID_X_EN: 1
; COMPUTE_PGM_RSRC2:TGID_Y_EN: 0
; COMPUTE_PGM_RSRC2:TGID_Z_EN: 0
; COMPUTE_PGM_RSRC2:TIDIG_COMP_CNT: 0
	.section	.text._ZN7rocprim17ROCPRIM_400000_NS6detail17trampoline_kernelINS0_14default_configENS1_35radix_sort_onesweep_config_selectorIhNS0_10empty_typeEEEZZNS1_29radix_sort_onesweep_iterationIS3_Lb0EPKhPhPS5_SB_mNS0_19identity_decomposerENS1_16block_id_wrapperIjLb0EEEEE10hipError_tT1_PNSt15iterator_traitsISG_E10value_typeET2_T3_PNSH_ISM_E10value_typeET4_T5_PSR_SS_PNS1_23onesweep_lookback_stateEbbT6_jjT7_P12ihipStream_tbENKUlT_T0_SG_SL_E_clIS9_SA_SB_SB_EEDaSZ_S10_SG_SL_EUlSZ_E_NS1_11comp_targetILNS1_3genE9ELNS1_11target_archE1100ELNS1_3gpuE3ELNS1_3repE0EEENS1_47radix_sort_onesweep_sort_config_static_selectorELNS0_4arch9wavefront6targetE0EEEvSG_,"axG",@progbits,_ZN7rocprim17ROCPRIM_400000_NS6detail17trampoline_kernelINS0_14default_configENS1_35radix_sort_onesweep_config_selectorIhNS0_10empty_typeEEEZZNS1_29radix_sort_onesweep_iterationIS3_Lb0EPKhPhPS5_SB_mNS0_19identity_decomposerENS1_16block_id_wrapperIjLb0EEEEE10hipError_tT1_PNSt15iterator_traitsISG_E10value_typeET2_T3_PNSH_ISM_E10value_typeET4_T5_PSR_SS_PNS1_23onesweep_lookback_stateEbbT6_jjT7_P12ihipStream_tbENKUlT_T0_SG_SL_E_clIS9_SA_SB_SB_EEDaSZ_S10_SG_SL_EUlSZ_E_NS1_11comp_targetILNS1_3genE9ELNS1_11target_archE1100ELNS1_3gpuE3ELNS1_3repE0EEENS1_47radix_sort_onesweep_sort_config_static_selectorELNS0_4arch9wavefront6targetE0EEEvSG_,comdat
	.protected	_ZN7rocprim17ROCPRIM_400000_NS6detail17trampoline_kernelINS0_14default_configENS1_35radix_sort_onesweep_config_selectorIhNS0_10empty_typeEEEZZNS1_29radix_sort_onesweep_iterationIS3_Lb0EPKhPhPS5_SB_mNS0_19identity_decomposerENS1_16block_id_wrapperIjLb0EEEEE10hipError_tT1_PNSt15iterator_traitsISG_E10value_typeET2_T3_PNSH_ISM_E10value_typeET4_T5_PSR_SS_PNS1_23onesweep_lookback_stateEbbT6_jjT7_P12ihipStream_tbENKUlT_T0_SG_SL_E_clIS9_SA_SB_SB_EEDaSZ_S10_SG_SL_EUlSZ_E_NS1_11comp_targetILNS1_3genE9ELNS1_11target_archE1100ELNS1_3gpuE3ELNS1_3repE0EEENS1_47radix_sort_onesweep_sort_config_static_selectorELNS0_4arch9wavefront6targetE0EEEvSG_ ; -- Begin function _ZN7rocprim17ROCPRIM_400000_NS6detail17trampoline_kernelINS0_14default_configENS1_35radix_sort_onesweep_config_selectorIhNS0_10empty_typeEEEZZNS1_29radix_sort_onesweep_iterationIS3_Lb0EPKhPhPS5_SB_mNS0_19identity_decomposerENS1_16block_id_wrapperIjLb0EEEEE10hipError_tT1_PNSt15iterator_traitsISG_E10value_typeET2_T3_PNSH_ISM_E10value_typeET4_T5_PSR_SS_PNS1_23onesweep_lookback_stateEbbT6_jjT7_P12ihipStream_tbENKUlT_T0_SG_SL_E_clIS9_SA_SB_SB_EEDaSZ_S10_SG_SL_EUlSZ_E_NS1_11comp_targetILNS1_3genE9ELNS1_11target_archE1100ELNS1_3gpuE3ELNS1_3repE0EEENS1_47radix_sort_onesweep_sort_config_static_selectorELNS0_4arch9wavefront6targetE0EEEvSG_
	.globl	_ZN7rocprim17ROCPRIM_400000_NS6detail17trampoline_kernelINS0_14default_configENS1_35radix_sort_onesweep_config_selectorIhNS0_10empty_typeEEEZZNS1_29radix_sort_onesweep_iterationIS3_Lb0EPKhPhPS5_SB_mNS0_19identity_decomposerENS1_16block_id_wrapperIjLb0EEEEE10hipError_tT1_PNSt15iterator_traitsISG_E10value_typeET2_T3_PNSH_ISM_E10value_typeET4_T5_PSR_SS_PNS1_23onesweep_lookback_stateEbbT6_jjT7_P12ihipStream_tbENKUlT_T0_SG_SL_E_clIS9_SA_SB_SB_EEDaSZ_S10_SG_SL_EUlSZ_E_NS1_11comp_targetILNS1_3genE9ELNS1_11target_archE1100ELNS1_3gpuE3ELNS1_3repE0EEENS1_47radix_sort_onesweep_sort_config_static_selectorELNS0_4arch9wavefront6targetE0EEEvSG_
	.p2align	8
	.type	_ZN7rocprim17ROCPRIM_400000_NS6detail17trampoline_kernelINS0_14default_configENS1_35radix_sort_onesweep_config_selectorIhNS0_10empty_typeEEEZZNS1_29radix_sort_onesweep_iterationIS3_Lb0EPKhPhPS5_SB_mNS0_19identity_decomposerENS1_16block_id_wrapperIjLb0EEEEE10hipError_tT1_PNSt15iterator_traitsISG_E10value_typeET2_T3_PNSH_ISM_E10value_typeET4_T5_PSR_SS_PNS1_23onesweep_lookback_stateEbbT6_jjT7_P12ihipStream_tbENKUlT_T0_SG_SL_E_clIS9_SA_SB_SB_EEDaSZ_S10_SG_SL_EUlSZ_E_NS1_11comp_targetILNS1_3genE9ELNS1_11target_archE1100ELNS1_3gpuE3ELNS1_3repE0EEENS1_47radix_sort_onesweep_sort_config_static_selectorELNS0_4arch9wavefront6targetE0EEEvSG_,@function
_ZN7rocprim17ROCPRIM_400000_NS6detail17trampoline_kernelINS0_14default_configENS1_35radix_sort_onesweep_config_selectorIhNS0_10empty_typeEEEZZNS1_29radix_sort_onesweep_iterationIS3_Lb0EPKhPhPS5_SB_mNS0_19identity_decomposerENS1_16block_id_wrapperIjLb0EEEEE10hipError_tT1_PNSt15iterator_traitsISG_E10value_typeET2_T3_PNSH_ISM_E10value_typeET4_T5_PSR_SS_PNS1_23onesweep_lookback_stateEbbT6_jjT7_P12ihipStream_tbENKUlT_T0_SG_SL_E_clIS9_SA_SB_SB_EEDaSZ_S10_SG_SL_EUlSZ_E_NS1_11comp_targetILNS1_3genE9ELNS1_11target_archE1100ELNS1_3gpuE3ELNS1_3repE0EEENS1_47radix_sort_onesweep_sort_config_static_selectorELNS0_4arch9wavefront6targetE0EEEvSG_: ; @_ZN7rocprim17ROCPRIM_400000_NS6detail17trampoline_kernelINS0_14default_configENS1_35radix_sort_onesweep_config_selectorIhNS0_10empty_typeEEEZZNS1_29radix_sort_onesweep_iterationIS3_Lb0EPKhPhPS5_SB_mNS0_19identity_decomposerENS1_16block_id_wrapperIjLb0EEEEE10hipError_tT1_PNSt15iterator_traitsISG_E10value_typeET2_T3_PNSH_ISM_E10value_typeET4_T5_PSR_SS_PNS1_23onesweep_lookback_stateEbbT6_jjT7_P12ihipStream_tbENKUlT_T0_SG_SL_E_clIS9_SA_SB_SB_EEDaSZ_S10_SG_SL_EUlSZ_E_NS1_11comp_targetILNS1_3genE9ELNS1_11target_archE1100ELNS1_3gpuE3ELNS1_3repE0EEENS1_47radix_sort_onesweep_sort_config_static_selectorELNS0_4arch9wavefront6targetE0EEEvSG_
; %bb.0:
	.section	.rodata,"a",@progbits
	.p2align	6, 0x0
	.amdhsa_kernel _ZN7rocprim17ROCPRIM_400000_NS6detail17trampoline_kernelINS0_14default_configENS1_35radix_sort_onesweep_config_selectorIhNS0_10empty_typeEEEZZNS1_29radix_sort_onesweep_iterationIS3_Lb0EPKhPhPS5_SB_mNS0_19identity_decomposerENS1_16block_id_wrapperIjLb0EEEEE10hipError_tT1_PNSt15iterator_traitsISG_E10value_typeET2_T3_PNSH_ISM_E10value_typeET4_T5_PSR_SS_PNS1_23onesweep_lookback_stateEbbT6_jjT7_P12ihipStream_tbENKUlT_T0_SG_SL_E_clIS9_SA_SB_SB_EEDaSZ_S10_SG_SL_EUlSZ_E_NS1_11comp_targetILNS1_3genE9ELNS1_11target_archE1100ELNS1_3gpuE3ELNS1_3repE0EEENS1_47radix_sort_onesweep_sort_config_static_selectorELNS0_4arch9wavefront6targetE0EEEvSG_
		.amdhsa_group_segment_fixed_size 0
		.amdhsa_private_segment_fixed_size 0
		.amdhsa_kernarg_size 88
		.amdhsa_user_sgpr_count 2
		.amdhsa_user_sgpr_dispatch_ptr 0
		.amdhsa_user_sgpr_queue_ptr 0
		.amdhsa_user_sgpr_kernarg_segment_ptr 1
		.amdhsa_user_sgpr_dispatch_id 0
		.amdhsa_user_sgpr_kernarg_preload_length 0
		.amdhsa_user_sgpr_kernarg_preload_offset 0
		.amdhsa_user_sgpr_private_segment_size 0
		.amdhsa_wavefront_size32 1
		.amdhsa_uses_dynamic_stack 0
		.amdhsa_enable_private_segment 0
		.amdhsa_system_sgpr_workgroup_id_x 1
		.amdhsa_system_sgpr_workgroup_id_y 0
		.amdhsa_system_sgpr_workgroup_id_z 0
		.amdhsa_system_sgpr_workgroup_info 0
		.amdhsa_system_vgpr_workitem_id 0
		.amdhsa_next_free_vgpr 1
		.amdhsa_next_free_sgpr 1
		.amdhsa_named_barrier_count 0
		.amdhsa_reserve_vcc 0
		.amdhsa_float_round_mode_32 0
		.amdhsa_float_round_mode_16_64 0
		.amdhsa_float_denorm_mode_32 3
		.amdhsa_float_denorm_mode_16_64 3
		.amdhsa_fp16_overflow 0
		.amdhsa_memory_ordered 1
		.amdhsa_forward_progress 1
		.amdhsa_inst_pref_size 0
		.amdhsa_round_robin_scheduling 0
		.amdhsa_exception_fp_ieee_invalid_op 0
		.amdhsa_exception_fp_denorm_src 0
		.amdhsa_exception_fp_ieee_div_zero 0
		.amdhsa_exception_fp_ieee_overflow 0
		.amdhsa_exception_fp_ieee_underflow 0
		.amdhsa_exception_fp_ieee_inexact 0
		.amdhsa_exception_int_div_zero 0
	.end_amdhsa_kernel
	.section	.text._ZN7rocprim17ROCPRIM_400000_NS6detail17trampoline_kernelINS0_14default_configENS1_35radix_sort_onesweep_config_selectorIhNS0_10empty_typeEEEZZNS1_29radix_sort_onesweep_iterationIS3_Lb0EPKhPhPS5_SB_mNS0_19identity_decomposerENS1_16block_id_wrapperIjLb0EEEEE10hipError_tT1_PNSt15iterator_traitsISG_E10value_typeET2_T3_PNSH_ISM_E10value_typeET4_T5_PSR_SS_PNS1_23onesweep_lookback_stateEbbT6_jjT7_P12ihipStream_tbENKUlT_T0_SG_SL_E_clIS9_SA_SB_SB_EEDaSZ_S10_SG_SL_EUlSZ_E_NS1_11comp_targetILNS1_3genE9ELNS1_11target_archE1100ELNS1_3gpuE3ELNS1_3repE0EEENS1_47radix_sort_onesweep_sort_config_static_selectorELNS0_4arch9wavefront6targetE0EEEvSG_,"axG",@progbits,_ZN7rocprim17ROCPRIM_400000_NS6detail17trampoline_kernelINS0_14default_configENS1_35radix_sort_onesweep_config_selectorIhNS0_10empty_typeEEEZZNS1_29radix_sort_onesweep_iterationIS3_Lb0EPKhPhPS5_SB_mNS0_19identity_decomposerENS1_16block_id_wrapperIjLb0EEEEE10hipError_tT1_PNSt15iterator_traitsISG_E10value_typeET2_T3_PNSH_ISM_E10value_typeET4_T5_PSR_SS_PNS1_23onesweep_lookback_stateEbbT6_jjT7_P12ihipStream_tbENKUlT_T0_SG_SL_E_clIS9_SA_SB_SB_EEDaSZ_S10_SG_SL_EUlSZ_E_NS1_11comp_targetILNS1_3genE9ELNS1_11target_archE1100ELNS1_3gpuE3ELNS1_3repE0EEENS1_47radix_sort_onesweep_sort_config_static_selectorELNS0_4arch9wavefront6targetE0EEEvSG_,comdat
.Lfunc_end244:
	.size	_ZN7rocprim17ROCPRIM_400000_NS6detail17trampoline_kernelINS0_14default_configENS1_35radix_sort_onesweep_config_selectorIhNS0_10empty_typeEEEZZNS1_29radix_sort_onesweep_iterationIS3_Lb0EPKhPhPS5_SB_mNS0_19identity_decomposerENS1_16block_id_wrapperIjLb0EEEEE10hipError_tT1_PNSt15iterator_traitsISG_E10value_typeET2_T3_PNSH_ISM_E10value_typeET4_T5_PSR_SS_PNS1_23onesweep_lookback_stateEbbT6_jjT7_P12ihipStream_tbENKUlT_T0_SG_SL_E_clIS9_SA_SB_SB_EEDaSZ_S10_SG_SL_EUlSZ_E_NS1_11comp_targetILNS1_3genE9ELNS1_11target_archE1100ELNS1_3gpuE3ELNS1_3repE0EEENS1_47radix_sort_onesweep_sort_config_static_selectorELNS0_4arch9wavefront6targetE0EEEvSG_, .Lfunc_end244-_ZN7rocprim17ROCPRIM_400000_NS6detail17trampoline_kernelINS0_14default_configENS1_35radix_sort_onesweep_config_selectorIhNS0_10empty_typeEEEZZNS1_29radix_sort_onesweep_iterationIS3_Lb0EPKhPhPS5_SB_mNS0_19identity_decomposerENS1_16block_id_wrapperIjLb0EEEEE10hipError_tT1_PNSt15iterator_traitsISG_E10value_typeET2_T3_PNSH_ISM_E10value_typeET4_T5_PSR_SS_PNS1_23onesweep_lookback_stateEbbT6_jjT7_P12ihipStream_tbENKUlT_T0_SG_SL_E_clIS9_SA_SB_SB_EEDaSZ_S10_SG_SL_EUlSZ_E_NS1_11comp_targetILNS1_3genE9ELNS1_11target_archE1100ELNS1_3gpuE3ELNS1_3repE0EEENS1_47radix_sort_onesweep_sort_config_static_selectorELNS0_4arch9wavefront6targetE0EEEvSG_
                                        ; -- End function
	.set _ZN7rocprim17ROCPRIM_400000_NS6detail17trampoline_kernelINS0_14default_configENS1_35radix_sort_onesweep_config_selectorIhNS0_10empty_typeEEEZZNS1_29radix_sort_onesweep_iterationIS3_Lb0EPKhPhPS5_SB_mNS0_19identity_decomposerENS1_16block_id_wrapperIjLb0EEEEE10hipError_tT1_PNSt15iterator_traitsISG_E10value_typeET2_T3_PNSH_ISM_E10value_typeET4_T5_PSR_SS_PNS1_23onesweep_lookback_stateEbbT6_jjT7_P12ihipStream_tbENKUlT_T0_SG_SL_E_clIS9_SA_SB_SB_EEDaSZ_S10_SG_SL_EUlSZ_E_NS1_11comp_targetILNS1_3genE9ELNS1_11target_archE1100ELNS1_3gpuE3ELNS1_3repE0EEENS1_47radix_sort_onesweep_sort_config_static_selectorELNS0_4arch9wavefront6targetE0EEEvSG_.num_vgpr, 0
	.set _ZN7rocprim17ROCPRIM_400000_NS6detail17trampoline_kernelINS0_14default_configENS1_35radix_sort_onesweep_config_selectorIhNS0_10empty_typeEEEZZNS1_29radix_sort_onesweep_iterationIS3_Lb0EPKhPhPS5_SB_mNS0_19identity_decomposerENS1_16block_id_wrapperIjLb0EEEEE10hipError_tT1_PNSt15iterator_traitsISG_E10value_typeET2_T3_PNSH_ISM_E10value_typeET4_T5_PSR_SS_PNS1_23onesweep_lookback_stateEbbT6_jjT7_P12ihipStream_tbENKUlT_T0_SG_SL_E_clIS9_SA_SB_SB_EEDaSZ_S10_SG_SL_EUlSZ_E_NS1_11comp_targetILNS1_3genE9ELNS1_11target_archE1100ELNS1_3gpuE3ELNS1_3repE0EEENS1_47radix_sort_onesweep_sort_config_static_selectorELNS0_4arch9wavefront6targetE0EEEvSG_.num_agpr, 0
	.set _ZN7rocprim17ROCPRIM_400000_NS6detail17trampoline_kernelINS0_14default_configENS1_35radix_sort_onesweep_config_selectorIhNS0_10empty_typeEEEZZNS1_29radix_sort_onesweep_iterationIS3_Lb0EPKhPhPS5_SB_mNS0_19identity_decomposerENS1_16block_id_wrapperIjLb0EEEEE10hipError_tT1_PNSt15iterator_traitsISG_E10value_typeET2_T3_PNSH_ISM_E10value_typeET4_T5_PSR_SS_PNS1_23onesweep_lookback_stateEbbT6_jjT7_P12ihipStream_tbENKUlT_T0_SG_SL_E_clIS9_SA_SB_SB_EEDaSZ_S10_SG_SL_EUlSZ_E_NS1_11comp_targetILNS1_3genE9ELNS1_11target_archE1100ELNS1_3gpuE3ELNS1_3repE0EEENS1_47radix_sort_onesweep_sort_config_static_selectorELNS0_4arch9wavefront6targetE0EEEvSG_.numbered_sgpr, 0
	.set _ZN7rocprim17ROCPRIM_400000_NS6detail17trampoline_kernelINS0_14default_configENS1_35radix_sort_onesweep_config_selectorIhNS0_10empty_typeEEEZZNS1_29radix_sort_onesweep_iterationIS3_Lb0EPKhPhPS5_SB_mNS0_19identity_decomposerENS1_16block_id_wrapperIjLb0EEEEE10hipError_tT1_PNSt15iterator_traitsISG_E10value_typeET2_T3_PNSH_ISM_E10value_typeET4_T5_PSR_SS_PNS1_23onesweep_lookback_stateEbbT6_jjT7_P12ihipStream_tbENKUlT_T0_SG_SL_E_clIS9_SA_SB_SB_EEDaSZ_S10_SG_SL_EUlSZ_E_NS1_11comp_targetILNS1_3genE9ELNS1_11target_archE1100ELNS1_3gpuE3ELNS1_3repE0EEENS1_47radix_sort_onesweep_sort_config_static_selectorELNS0_4arch9wavefront6targetE0EEEvSG_.num_named_barrier, 0
	.set _ZN7rocprim17ROCPRIM_400000_NS6detail17trampoline_kernelINS0_14default_configENS1_35radix_sort_onesweep_config_selectorIhNS0_10empty_typeEEEZZNS1_29radix_sort_onesweep_iterationIS3_Lb0EPKhPhPS5_SB_mNS0_19identity_decomposerENS1_16block_id_wrapperIjLb0EEEEE10hipError_tT1_PNSt15iterator_traitsISG_E10value_typeET2_T3_PNSH_ISM_E10value_typeET4_T5_PSR_SS_PNS1_23onesweep_lookback_stateEbbT6_jjT7_P12ihipStream_tbENKUlT_T0_SG_SL_E_clIS9_SA_SB_SB_EEDaSZ_S10_SG_SL_EUlSZ_E_NS1_11comp_targetILNS1_3genE9ELNS1_11target_archE1100ELNS1_3gpuE3ELNS1_3repE0EEENS1_47radix_sort_onesweep_sort_config_static_selectorELNS0_4arch9wavefront6targetE0EEEvSG_.private_seg_size, 0
	.set _ZN7rocprim17ROCPRIM_400000_NS6detail17trampoline_kernelINS0_14default_configENS1_35radix_sort_onesweep_config_selectorIhNS0_10empty_typeEEEZZNS1_29radix_sort_onesweep_iterationIS3_Lb0EPKhPhPS5_SB_mNS0_19identity_decomposerENS1_16block_id_wrapperIjLb0EEEEE10hipError_tT1_PNSt15iterator_traitsISG_E10value_typeET2_T3_PNSH_ISM_E10value_typeET4_T5_PSR_SS_PNS1_23onesweep_lookback_stateEbbT6_jjT7_P12ihipStream_tbENKUlT_T0_SG_SL_E_clIS9_SA_SB_SB_EEDaSZ_S10_SG_SL_EUlSZ_E_NS1_11comp_targetILNS1_3genE9ELNS1_11target_archE1100ELNS1_3gpuE3ELNS1_3repE0EEENS1_47radix_sort_onesweep_sort_config_static_selectorELNS0_4arch9wavefront6targetE0EEEvSG_.uses_vcc, 0
	.set _ZN7rocprim17ROCPRIM_400000_NS6detail17trampoline_kernelINS0_14default_configENS1_35radix_sort_onesweep_config_selectorIhNS0_10empty_typeEEEZZNS1_29radix_sort_onesweep_iterationIS3_Lb0EPKhPhPS5_SB_mNS0_19identity_decomposerENS1_16block_id_wrapperIjLb0EEEEE10hipError_tT1_PNSt15iterator_traitsISG_E10value_typeET2_T3_PNSH_ISM_E10value_typeET4_T5_PSR_SS_PNS1_23onesweep_lookback_stateEbbT6_jjT7_P12ihipStream_tbENKUlT_T0_SG_SL_E_clIS9_SA_SB_SB_EEDaSZ_S10_SG_SL_EUlSZ_E_NS1_11comp_targetILNS1_3genE9ELNS1_11target_archE1100ELNS1_3gpuE3ELNS1_3repE0EEENS1_47radix_sort_onesweep_sort_config_static_selectorELNS0_4arch9wavefront6targetE0EEEvSG_.uses_flat_scratch, 0
	.set _ZN7rocprim17ROCPRIM_400000_NS6detail17trampoline_kernelINS0_14default_configENS1_35radix_sort_onesweep_config_selectorIhNS0_10empty_typeEEEZZNS1_29radix_sort_onesweep_iterationIS3_Lb0EPKhPhPS5_SB_mNS0_19identity_decomposerENS1_16block_id_wrapperIjLb0EEEEE10hipError_tT1_PNSt15iterator_traitsISG_E10value_typeET2_T3_PNSH_ISM_E10value_typeET4_T5_PSR_SS_PNS1_23onesweep_lookback_stateEbbT6_jjT7_P12ihipStream_tbENKUlT_T0_SG_SL_E_clIS9_SA_SB_SB_EEDaSZ_S10_SG_SL_EUlSZ_E_NS1_11comp_targetILNS1_3genE9ELNS1_11target_archE1100ELNS1_3gpuE3ELNS1_3repE0EEENS1_47radix_sort_onesweep_sort_config_static_selectorELNS0_4arch9wavefront6targetE0EEEvSG_.has_dyn_sized_stack, 0
	.set _ZN7rocprim17ROCPRIM_400000_NS6detail17trampoline_kernelINS0_14default_configENS1_35radix_sort_onesweep_config_selectorIhNS0_10empty_typeEEEZZNS1_29radix_sort_onesweep_iterationIS3_Lb0EPKhPhPS5_SB_mNS0_19identity_decomposerENS1_16block_id_wrapperIjLb0EEEEE10hipError_tT1_PNSt15iterator_traitsISG_E10value_typeET2_T3_PNSH_ISM_E10value_typeET4_T5_PSR_SS_PNS1_23onesweep_lookback_stateEbbT6_jjT7_P12ihipStream_tbENKUlT_T0_SG_SL_E_clIS9_SA_SB_SB_EEDaSZ_S10_SG_SL_EUlSZ_E_NS1_11comp_targetILNS1_3genE9ELNS1_11target_archE1100ELNS1_3gpuE3ELNS1_3repE0EEENS1_47radix_sort_onesweep_sort_config_static_selectorELNS0_4arch9wavefront6targetE0EEEvSG_.has_recursion, 0
	.set _ZN7rocprim17ROCPRIM_400000_NS6detail17trampoline_kernelINS0_14default_configENS1_35radix_sort_onesweep_config_selectorIhNS0_10empty_typeEEEZZNS1_29radix_sort_onesweep_iterationIS3_Lb0EPKhPhPS5_SB_mNS0_19identity_decomposerENS1_16block_id_wrapperIjLb0EEEEE10hipError_tT1_PNSt15iterator_traitsISG_E10value_typeET2_T3_PNSH_ISM_E10value_typeET4_T5_PSR_SS_PNS1_23onesweep_lookback_stateEbbT6_jjT7_P12ihipStream_tbENKUlT_T0_SG_SL_E_clIS9_SA_SB_SB_EEDaSZ_S10_SG_SL_EUlSZ_E_NS1_11comp_targetILNS1_3genE9ELNS1_11target_archE1100ELNS1_3gpuE3ELNS1_3repE0EEENS1_47radix_sort_onesweep_sort_config_static_selectorELNS0_4arch9wavefront6targetE0EEEvSG_.has_indirect_call, 0
	.section	.AMDGPU.csdata,"",@progbits
; Kernel info:
; codeLenInByte = 0
; TotalNumSgprs: 0
; NumVgprs: 0
; ScratchSize: 0
; MemoryBound: 0
; FloatMode: 240
; IeeeMode: 1
; LDSByteSize: 0 bytes/workgroup (compile time only)
; SGPRBlocks: 0
; VGPRBlocks: 0
; NumSGPRsForWavesPerEU: 1
; NumVGPRsForWavesPerEU: 1
; NamedBarCnt: 0
; Occupancy: 16
; WaveLimiterHint : 0
; COMPUTE_PGM_RSRC2:SCRATCH_EN: 0
; COMPUTE_PGM_RSRC2:USER_SGPR: 2
; COMPUTE_PGM_RSRC2:TRAP_HANDLER: 0
; COMPUTE_PGM_RSRC2:TGID_X_EN: 1
; COMPUTE_PGM_RSRC2:TGID_Y_EN: 0
; COMPUTE_PGM_RSRC2:TGID_Z_EN: 0
; COMPUTE_PGM_RSRC2:TIDIG_COMP_CNT: 0
	.section	.text._ZN7rocprim17ROCPRIM_400000_NS6detail17trampoline_kernelINS0_14default_configENS1_35radix_sort_onesweep_config_selectorIhNS0_10empty_typeEEEZZNS1_29radix_sort_onesweep_iterationIS3_Lb0EPKhPhPS5_SB_mNS0_19identity_decomposerENS1_16block_id_wrapperIjLb0EEEEE10hipError_tT1_PNSt15iterator_traitsISG_E10value_typeET2_T3_PNSH_ISM_E10value_typeET4_T5_PSR_SS_PNS1_23onesweep_lookback_stateEbbT6_jjT7_P12ihipStream_tbENKUlT_T0_SG_SL_E_clIS9_SA_SB_SB_EEDaSZ_S10_SG_SL_EUlSZ_E_NS1_11comp_targetILNS1_3genE8ELNS1_11target_archE1030ELNS1_3gpuE2ELNS1_3repE0EEENS1_47radix_sort_onesweep_sort_config_static_selectorELNS0_4arch9wavefront6targetE0EEEvSG_,"axG",@progbits,_ZN7rocprim17ROCPRIM_400000_NS6detail17trampoline_kernelINS0_14default_configENS1_35radix_sort_onesweep_config_selectorIhNS0_10empty_typeEEEZZNS1_29radix_sort_onesweep_iterationIS3_Lb0EPKhPhPS5_SB_mNS0_19identity_decomposerENS1_16block_id_wrapperIjLb0EEEEE10hipError_tT1_PNSt15iterator_traitsISG_E10value_typeET2_T3_PNSH_ISM_E10value_typeET4_T5_PSR_SS_PNS1_23onesweep_lookback_stateEbbT6_jjT7_P12ihipStream_tbENKUlT_T0_SG_SL_E_clIS9_SA_SB_SB_EEDaSZ_S10_SG_SL_EUlSZ_E_NS1_11comp_targetILNS1_3genE8ELNS1_11target_archE1030ELNS1_3gpuE2ELNS1_3repE0EEENS1_47radix_sort_onesweep_sort_config_static_selectorELNS0_4arch9wavefront6targetE0EEEvSG_,comdat
	.protected	_ZN7rocprim17ROCPRIM_400000_NS6detail17trampoline_kernelINS0_14default_configENS1_35radix_sort_onesweep_config_selectorIhNS0_10empty_typeEEEZZNS1_29radix_sort_onesweep_iterationIS3_Lb0EPKhPhPS5_SB_mNS0_19identity_decomposerENS1_16block_id_wrapperIjLb0EEEEE10hipError_tT1_PNSt15iterator_traitsISG_E10value_typeET2_T3_PNSH_ISM_E10value_typeET4_T5_PSR_SS_PNS1_23onesweep_lookback_stateEbbT6_jjT7_P12ihipStream_tbENKUlT_T0_SG_SL_E_clIS9_SA_SB_SB_EEDaSZ_S10_SG_SL_EUlSZ_E_NS1_11comp_targetILNS1_3genE8ELNS1_11target_archE1030ELNS1_3gpuE2ELNS1_3repE0EEENS1_47radix_sort_onesweep_sort_config_static_selectorELNS0_4arch9wavefront6targetE0EEEvSG_ ; -- Begin function _ZN7rocprim17ROCPRIM_400000_NS6detail17trampoline_kernelINS0_14default_configENS1_35radix_sort_onesweep_config_selectorIhNS0_10empty_typeEEEZZNS1_29radix_sort_onesweep_iterationIS3_Lb0EPKhPhPS5_SB_mNS0_19identity_decomposerENS1_16block_id_wrapperIjLb0EEEEE10hipError_tT1_PNSt15iterator_traitsISG_E10value_typeET2_T3_PNSH_ISM_E10value_typeET4_T5_PSR_SS_PNS1_23onesweep_lookback_stateEbbT6_jjT7_P12ihipStream_tbENKUlT_T0_SG_SL_E_clIS9_SA_SB_SB_EEDaSZ_S10_SG_SL_EUlSZ_E_NS1_11comp_targetILNS1_3genE8ELNS1_11target_archE1030ELNS1_3gpuE2ELNS1_3repE0EEENS1_47radix_sort_onesweep_sort_config_static_selectorELNS0_4arch9wavefront6targetE0EEEvSG_
	.globl	_ZN7rocprim17ROCPRIM_400000_NS6detail17trampoline_kernelINS0_14default_configENS1_35radix_sort_onesweep_config_selectorIhNS0_10empty_typeEEEZZNS1_29radix_sort_onesweep_iterationIS3_Lb0EPKhPhPS5_SB_mNS0_19identity_decomposerENS1_16block_id_wrapperIjLb0EEEEE10hipError_tT1_PNSt15iterator_traitsISG_E10value_typeET2_T3_PNSH_ISM_E10value_typeET4_T5_PSR_SS_PNS1_23onesweep_lookback_stateEbbT6_jjT7_P12ihipStream_tbENKUlT_T0_SG_SL_E_clIS9_SA_SB_SB_EEDaSZ_S10_SG_SL_EUlSZ_E_NS1_11comp_targetILNS1_3genE8ELNS1_11target_archE1030ELNS1_3gpuE2ELNS1_3repE0EEENS1_47radix_sort_onesweep_sort_config_static_selectorELNS0_4arch9wavefront6targetE0EEEvSG_
	.p2align	8
	.type	_ZN7rocprim17ROCPRIM_400000_NS6detail17trampoline_kernelINS0_14default_configENS1_35radix_sort_onesweep_config_selectorIhNS0_10empty_typeEEEZZNS1_29radix_sort_onesweep_iterationIS3_Lb0EPKhPhPS5_SB_mNS0_19identity_decomposerENS1_16block_id_wrapperIjLb0EEEEE10hipError_tT1_PNSt15iterator_traitsISG_E10value_typeET2_T3_PNSH_ISM_E10value_typeET4_T5_PSR_SS_PNS1_23onesweep_lookback_stateEbbT6_jjT7_P12ihipStream_tbENKUlT_T0_SG_SL_E_clIS9_SA_SB_SB_EEDaSZ_S10_SG_SL_EUlSZ_E_NS1_11comp_targetILNS1_3genE8ELNS1_11target_archE1030ELNS1_3gpuE2ELNS1_3repE0EEENS1_47radix_sort_onesweep_sort_config_static_selectorELNS0_4arch9wavefront6targetE0EEEvSG_,@function
_ZN7rocprim17ROCPRIM_400000_NS6detail17trampoline_kernelINS0_14default_configENS1_35radix_sort_onesweep_config_selectorIhNS0_10empty_typeEEEZZNS1_29radix_sort_onesweep_iterationIS3_Lb0EPKhPhPS5_SB_mNS0_19identity_decomposerENS1_16block_id_wrapperIjLb0EEEEE10hipError_tT1_PNSt15iterator_traitsISG_E10value_typeET2_T3_PNSH_ISM_E10value_typeET4_T5_PSR_SS_PNS1_23onesweep_lookback_stateEbbT6_jjT7_P12ihipStream_tbENKUlT_T0_SG_SL_E_clIS9_SA_SB_SB_EEDaSZ_S10_SG_SL_EUlSZ_E_NS1_11comp_targetILNS1_3genE8ELNS1_11target_archE1030ELNS1_3gpuE2ELNS1_3repE0EEENS1_47radix_sort_onesweep_sort_config_static_selectorELNS0_4arch9wavefront6targetE0EEEvSG_: ; @_ZN7rocprim17ROCPRIM_400000_NS6detail17trampoline_kernelINS0_14default_configENS1_35radix_sort_onesweep_config_selectorIhNS0_10empty_typeEEEZZNS1_29radix_sort_onesweep_iterationIS3_Lb0EPKhPhPS5_SB_mNS0_19identity_decomposerENS1_16block_id_wrapperIjLb0EEEEE10hipError_tT1_PNSt15iterator_traitsISG_E10value_typeET2_T3_PNSH_ISM_E10value_typeET4_T5_PSR_SS_PNS1_23onesweep_lookback_stateEbbT6_jjT7_P12ihipStream_tbENKUlT_T0_SG_SL_E_clIS9_SA_SB_SB_EEDaSZ_S10_SG_SL_EUlSZ_E_NS1_11comp_targetILNS1_3genE8ELNS1_11target_archE1030ELNS1_3gpuE2ELNS1_3repE0EEENS1_47radix_sort_onesweep_sort_config_static_selectorELNS0_4arch9wavefront6targetE0EEEvSG_
; %bb.0:
	.section	.rodata,"a",@progbits
	.p2align	6, 0x0
	.amdhsa_kernel _ZN7rocprim17ROCPRIM_400000_NS6detail17trampoline_kernelINS0_14default_configENS1_35radix_sort_onesweep_config_selectorIhNS0_10empty_typeEEEZZNS1_29radix_sort_onesweep_iterationIS3_Lb0EPKhPhPS5_SB_mNS0_19identity_decomposerENS1_16block_id_wrapperIjLb0EEEEE10hipError_tT1_PNSt15iterator_traitsISG_E10value_typeET2_T3_PNSH_ISM_E10value_typeET4_T5_PSR_SS_PNS1_23onesweep_lookback_stateEbbT6_jjT7_P12ihipStream_tbENKUlT_T0_SG_SL_E_clIS9_SA_SB_SB_EEDaSZ_S10_SG_SL_EUlSZ_E_NS1_11comp_targetILNS1_3genE8ELNS1_11target_archE1030ELNS1_3gpuE2ELNS1_3repE0EEENS1_47radix_sort_onesweep_sort_config_static_selectorELNS0_4arch9wavefront6targetE0EEEvSG_
		.amdhsa_group_segment_fixed_size 0
		.amdhsa_private_segment_fixed_size 0
		.amdhsa_kernarg_size 88
		.amdhsa_user_sgpr_count 2
		.amdhsa_user_sgpr_dispatch_ptr 0
		.amdhsa_user_sgpr_queue_ptr 0
		.amdhsa_user_sgpr_kernarg_segment_ptr 1
		.amdhsa_user_sgpr_dispatch_id 0
		.amdhsa_user_sgpr_kernarg_preload_length 0
		.amdhsa_user_sgpr_kernarg_preload_offset 0
		.amdhsa_user_sgpr_private_segment_size 0
		.amdhsa_wavefront_size32 1
		.amdhsa_uses_dynamic_stack 0
		.amdhsa_enable_private_segment 0
		.amdhsa_system_sgpr_workgroup_id_x 1
		.amdhsa_system_sgpr_workgroup_id_y 0
		.amdhsa_system_sgpr_workgroup_id_z 0
		.amdhsa_system_sgpr_workgroup_info 0
		.amdhsa_system_vgpr_workitem_id 0
		.amdhsa_next_free_vgpr 1
		.amdhsa_next_free_sgpr 1
		.amdhsa_named_barrier_count 0
		.amdhsa_reserve_vcc 0
		.amdhsa_float_round_mode_32 0
		.amdhsa_float_round_mode_16_64 0
		.amdhsa_float_denorm_mode_32 3
		.amdhsa_float_denorm_mode_16_64 3
		.amdhsa_fp16_overflow 0
		.amdhsa_memory_ordered 1
		.amdhsa_forward_progress 1
		.amdhsa_inst_pref_size 0
		.amdhsa_round_robin_scheduling 0
		.amdhsa_exception_fp_ieee_invalid_op 0
		.amdhsa_exception_fp_denorm_src 0
		.amdhsa_exception_fp_ieee_div_zero 0
		.amdhsa_exception_fp_ieee_overflow 0
		.amdhsa_exception_fp_ieee_underflow 0
		.amdhsa_exception_fp_ieee_inexact 0
		.amdhsa_exception_int_div_zero 0
	.end_amdhsa_kernel
	.section	.text._ZN7rocprim17ROCPRIM_400000_NS6detail17trampoline_kernelINS0_14default_configENS1_35radix_sort_onesweep_config_selectorIhNS0_10empty_typeEEEZZNS1_29radix_sort_onesweep_iterationIS3_Lb0EPKhPhPS5_SB_mNS0_19identity_decomposerENS1_16block_id_wrapperIjLb0EEEEE10hipError_tT1_PNSt15iterator_traitsISG_E10value_typeET2_T3_PNSH_ISM_E10value_typeET4_T5_PSR_SS_PNS1_23onesweep_lookback_stateEbbT6_jjT7_P12ihipStream_tbENKUlT_T0_SG_SL_E_clIS9_SA_SB_SB_EEDaSZ_S10_SG_SL_EUlSZ_E_NS1_11comp_targetILNS1_3genE8ELNS1_11target_archE1030ELNS1_3gpuE2ELNS1_3repE0EEENS1_47radix_sort_onesweep_sort_config_static_selectorELNS0_4arch9wavefront6targetE0EEEvSG_,"axG",@progbits,_ZN7rocprim17ROCPRIM_400000_NS6detail17trampoline_kernelINS0_14default_configENS1_35radix_sort_onesweep_config_selectorIhNS0_10empty_typeEEEZZNS1_29radix_sort_onesweep_iterationIS3_Lb0EPKhPhPS5_SB_mNS0_19identity_decomposerENS1_16block_id_wrapperIjLb0EEEEE10hipError_tT1_PNSt15iterator_traitsISG_E10value_typeET2_T3_PNSH_ISM_E10value_typeET4_T5_PSR_SS_PNS1_23onesweep_lookback_stateEbbT6_jjT7_P12ihipStream_tbENKUlT_T0_SG_SL_E_clIS9_SA_SB_SB_EEDaSZ_S10_SG_SL_EUlSZ_E_NS1_11comp_targetILNS1_3genE8ELNS1_11target_archE1030ELNS1_3gpuE2ELNS1_3repE0EEENS1_47radix_sort_onesweep_sort_config_static_selectorELNS0_4arch9wavefront6targetE0EEEvSG_,comdat
.Lfunc_end245:
	.size	_ZN7rocprim17ROCPRIM_400000_NS6detail17trampoline_kernelINS0_14default_configENS1_35radix_sort_onesweep_config_selectorIhNS0_10empty_typeEEEZZNS1_29radix_sort_onesweep_iterationIS3_Lb0EPKhPhPS5_SB_mNS0_19identity_decomposerENS1_16block_id_wrapperIjLb0EEEEE10hipError_tT1_PNSt15iterator_traitsISG_E10value_typeET2_T3_PNSH_ISM_E10value_typeET4_T5_PSR_SS_PNS1_23onesweep_lookback_stateEbbT6_jjT7_P12ihipStream_tbENKUlT_T0_SG_SL_E_clIS9_SA_SB_SB_EEDaSZ_S10_SG_SL_EUlSZ_E_NS1_11comp_targetILNS1_3genE8ELNS1_11target_archE1030ELNS1_3gpuE2ELNS1_3repE0EEENS1_47radix_sort_onesweep_sort_config_static_selectorELNS0_4arch9wavefront6targetE0EEEvSG_, .Lfunc_end245-_ZN7rocprim17ROCPRIM_400000_NS6detail17trampoline_kernelINS0_14default_configENS1_35radix_sort_onesweep_config_selectorIhNS0_10empty_typeEEEZZNS1_29radix_sort_onesweep_iterationIS3_Lb0EPKhPhPS5_SB_mNS0_19identity_decomposerENS1_16block_id_wrapperIjLb0EEEEE10hipError_tT1_PNSt15iterator_traitsISG_E10value_typeET2_T3_PNSH_ISM_E10value_typeET4_T5_PSR_SS_PNS1_23onesweep_lookback_stateEbbT6_jjT7_P12ihipStream_tbENKUlT_T0_SG_SL_E_clIS9_SA_SB_SB_EEDaSZ_S10_SG_SL_EUlSZ_E_NS1_11comp_targetILNS1_3genE8ELNS1_11target_archE1030ELNS1_3gpuE2ELNS1_3repE0EEENS1_47radix_sort_onesweep_sort_config_static_selectorELNS0_4arch9wavefront6targetE0EEEvSG_
                                        ; -- End function
	.set _ZN7rocprim17ROCPRIM_400000_NS6detail17trampoline_kernelINS0_14default_configENS1_35radix_sort_onesweep_config_selectorIhNS0_10empty_typeEEEZZNS1_29radix_sort_onesweep_iterationIS3_Lb0EPKhPhPS5_SB_mNS0_19identity_decomposerENS1_16block_id_wrapperIjLb0EEEEE10hipError_tT1_PNSt15iterator_traitsISG_E10value_typeET2_T3_PNSH_ISM_E10value_typeET4_T5_PSR_SS_PNS1_23onesweep_lookback_stateEbbT6_jjT7_P12ihipStream_tbENKUlT_T0_SG_SL_E_clIS9_SA_SB_SB_EEDaSZ_S10_SG_SL_EUlSZ_E_NS1_11comp_targetILNS1_3genE8ELNS1_11target_archE1030ELNS1_3gpuE2ELNS1_3repE0EEENS1_47radix_sort_onesweep_sort_config_static_selectorELNS0_4arch9wavefront6targetE0EEEvSG_.num_vgpr, 0
	.set _ZN7rocprim17ROCPRIM_400000_NS6detail17trampoline_kernelINS0_14default_configENS1_35radix_sort_onesweep_config_selectorIhNS0_10empty_typeEEEZZNS1_29radix_sort_onesweep_iterationIS3_Lb0EPKhPhPS5_SB_mNS0_19identity_decomposerENS1_16block_id_wrapperIjLb0EEEEE10hipError_tT1_PNSt15iterator_traitsISG_E10value_typeET2_T3_PNSH_ISM_E10value_typeET4_T5_PSR_SS_PNS1_23onesweep_lookback_stateEbbT6_jjT7_P12ihipStream_tbENKUlT_T0_SG_SL_E_clIS9_SA_SB_SB_EEDaSZ_S10_SG_SL_EUlSZ_E_NS1_11comp_targetILNS1_3genE8ELNS1_11target_archE1030ELNS1_3gpuE2ELNS1_3repE0EEENS1_47radix_sort_onesweep_sort_config_static_selectorELNS0_4arch9wavefront6targetE0EEEvSG_.num_agpr, 0
	.set _ZN7rocprim17ROCPRIM_400000_NS6detail17trampoline_kernelINS0_14default_configENS1_35radix_sort_onesweep_config_selectorIhNS0_10empty_typeEEEZZNS1_29radix_sort_onesweep_iterationIS3_Lb0EPKhPhPS5_SB_mNS0_19identity_decomposerENS1_16block_id_wrapperIjLb0EEEEE10hipError_tT1_PNSt15iterator_traitsISG_E10value_typeET2_T3_PNSH_ISM_E10value_typeET4_T5_PSR_SS_PNS1_23onesweep_lookback_stateEbbT6_jjT7_P12ihipStream_tbENKUlT_T0_SG_SL_E_clIS9_SA_SB_SB_EEDaSZ_S10_SG_SL_EUlSZ_E_NS1_11comp_targetILNS1_3genE8ELNS1_11target_archE1030ELNS1_3gpuE2ELNS1_3repE0EEENS1_47radix_sort_onesweep_sort_config_static_selectorELNS0_4arch9wavefront6targetE0EEEvSG_.numbered_sgpr, 0
	.set _ZN7rocprim17ROCPRIM_400000_NS6detail17trampoline_kernelINS0_14default_configENS1_35radix_sort_onesweep_config_selectorIhNS0_10empty_typeEEEZZNS1_29radix_sort_onesweep_iterationIS3_Lb0EPKhPhPS5_SB_mNS0_19identity_decomposerENS1_16block_id_wrapperIjLb0EEEEE10hipError_tT1_PNSt15iterator_traitsISG_E10value_typeET2_T3_PNSH_ISM_E10value_typeET4_T5_PSR_SS_PNS1_23onesweep_lookback_stateEbbT6_jjT7_P12ihipStream_tbENKUlT_T0_SG_SL_E_clIS9_SA_SB_SB_EEDaSZ_S10_SG_SL_EUlSZ_E_NS1_11comp_targetILNS1_3genE8ELNS1_11target_archE1030ELNS1_3gpuE2ELNS1_3repE0EEENS1_47radix_sort_onesweep_sort_config_static_selectorELNS0_4arch9wavefront6targetE0EEEvSG_.num_named_barrier, 0
	.set _ZN7rocprim17ROCPRIM_400000_NS6detail17trampoline_kernelINS0_14default_configENS1_35radix_sort_onesweep_config_selectorIhNS0_10empty_typeEEEZZNS1_29radix_sort_onesweep_iterationIS3_Lb0EPKhPhPS5_SB_mNS0_19identity_decomposerENS1_16block_id_wrapperIjLb0EEEEE10hipError_tT1_PNSt15iterator_traitsISG_E10value_typeET2_T3_PNSH_ISM_E10value_typeET4_T5_PSR_SS_PNS1_23onesweep_lookback_stateEbbT6_jjT7_P12ihipStream_tbENKUlT_T0_SG_SL_E_clIS9_SA_SB_SB_EEDaSZ_S10_SG_SL_EUlSZ_E_NS1_11comp_targetILNS1_3genE8ELNS1_11target_archE1030ELNS1_3gpuE2ELNS1_3repE0EEENS1_47radix_sort_onesweep_sort_config_static_selectorELNS0_4arch9wavefront6targetE0EEEvSG_.private_seg_size, 0
	.set _ZN7rocprim17ROCPRIM_400000_NS6detail17trampoline_kernelINS0_14default_configENS1_35radix_sort_onesweep_config_selectorIhNS0_10empty_typeEEEZZNS1_29radix_sort_onesweep_iterationIS3_Lb0EPKhPhPS5_SB_mNS0_19identity_decomposerENS1_16block_id_wrapperIjLb0EEEEE10hipError_tT1_PNSt15iterator_traitsISG_E10value_typeET2_T3_PNSH_ISM_E10value_typeET4_T5_PSR_SS_PNS1_23onesweep_lookback_stateEbbT6_jjT7_P12ihipStream_tbENKUlT_T0_SG_SL_E_clIS9_SA_SB_SB_EEDaSZ_S10_SG_SL_EUlSZ_E_NS1_11comp_targetILNS1_3genE8ELNS1_11target_archE1030ELNS1_3gpuE2ELNS1_3repE0EEENS1_47radix_sort_onesweep_sort_config_static_selectorELNS0_4arch9wavefront6targetE0EEEvSG_.uses_vcc, 0
	.set _ZN7rocprim17ROCPRIM_400000_NS6detail17trampoline_kernelINS0_14default_configENS1_35radix_sort_onesweep_config_selectorIhNS0_10empty_typeEEEZZNS1_29radix_sort_onesweep_iterationIS3_Lb0EPKhPhPS5_SB_mNS0_19identity_decomposerENS1_16block_id_wrapperIjLb0EEEEE10hipError_tT1_PNSt15iterator_traitsISG_E10value_typeET2_T3_PNSH_ISM_E10value_typeET4_T5_PSR_SS_PNS1_23onesweep_lookback_stateEbbT6_jjT7_P12ihipStream_tbENKUlT_T0_SG_SL_E_clIS9_SA_SB_SB_EEDaSZ_S10_SG_SL_EUlSZ_E_NS1_11comp_targetILNS1_3genE8ELNS1_11target_archE1030ELNS1_3gpuE2ELNS1_3repE0EEENS1_47radix_sort_onesweep_sort_config_static_selectorELNS0_4arch9wavefront6targetE0EEEvSG_.uses_flat_scratch, 0
	.set _ZN7rocprim17ROCPRIM_400000_NS6detail17trampoline_kernelINS0_14default_configENS1_35radix_sort_onesweep_config_selectorIhNS0_10empty_typeEEEZZNS1_29radix_sort_onesweep_iterationIS3_Lb0EPKhPhPS5_SB_mNS0_19identity_decomposerENS1_16block_id_wrapperIjLb0EEEEE10hipError_tT1_PNSt15iterator_traitsISG_E10value_typeET2_T3_PNSH_ISM_E10value_typeET4_T5_PSR_SS_PNS1_23onesweep_lookback_stateEbbT6_jjT7_P12ihipStream_tbENKUlT_T0_SG_SL_E_clIS9_SA_SB_SB_EEDaSZ_S10_SG_SL_EUlSZ_E_NS1_11comp_targetILNS1_3genE8ELNS1_11target_archE1030ELNS1_3gpuE2ELNS1_3repE0EEENS1_47radix_sort_onesweep_sort_config_static_selectorELNS0_4arch9wavefront6targetE0EEEvSG_.has_dyn_sized_stack, 0
	.set _ZN7rocprim17ROCPRIM_400000_NS6detail17trampoline_kernelINS0_14default_configENS1_35radix_sort_onesweep_config_selectorIhNS0_10empty_typeEEEZZNS1_29radix_sort_onesweep_iterationIS3_Lb0EPKhPhPS5_SB_mNS0_19identity_decomposerENS1_16block_id_wrapperIjLb0EEEEE10hipError_tT1_PNSt15iterator_traitsISG_E10value_typeET2_T3_PNSH_ISM_E10value_typeET4_T5_PSR_SS_PNS1_23onesweep_lookback_stateEbbT6_jjT7_P12ihipStream_tbENKUlT_T0_SG_SL_E_clIS9_SA_SB_SB_EEDaSZ_S10_SG_SL_EUlSZ_E_NS1_11comp_targetILNS1_3genE8ELNS1_11target_archE1030ELNS1_3gpuE2ELNS1_3repE0EEENS1_47radix_sort_onesweep_sort_config_static_selectorELNS0_4arch9wavefront6targetE0EEEvSG_.has_recursion, 0
	.set _ZN7rocprim17ROCPRIM_400000_NS6detail17trampoline_kernelINS0_14default_configENS1_35radix_sort_onesweep_config_selectorIhNS0_10empty_typeEEEZZNS1_29radix_sort_onesweep_iterationIS3_Lb0EPKhPhPS5_SB_mNS0_19identity_decomposerENS1_16block_id_wrapperIjLb0EEEEE10hipError_tT1_PNSt15iterator_traitsISG_E10value_typeET2_T3_PNSH_ISM_E10value_typeET4_T5_PSR_SS_PNS1_23onesweep_lookback_stateEbbT6_jjT7_P12ihipStream_tbENKUlT_T0_SG_SL_E_clIS9_SA_SB_SB_EEDaSZ_S10_SG_SL_EUlSZ_E_NS1_11comp_targetILNS1_3genE8ELNS1_11target_archE1030ELNS1_3gpuE2ELNS1_3repE0EEENS1_47radix_sort_onesweep_sort_config_static_selectorELNS0_4arch9wavefront6targetE0EEEvSG_.has_indirect_call, 0
	.section	.AMDGPU.csdata,"",@progbits
; Kernel info:
; codeLenInByte = 0
; TotalNumSgprs: 0
; NumVgprs: 0
; ScratchSize: 0
; MemoryBound: 0
; FloatMode: 240
; IeeeMode: 1
; LDSByteSize: 0 bytes/workgroup (compile time only)
; SGPRBlocks: 0
; VGPRBlocks: 0
; NumSGPRsForWavesPerEU: 1
; NumVGPRsForWavesPerEU: 1
; NamedBarCnt: 0
; Occupancy: 16
; WaveLimiterHint : 0
; COMPUTE_PGM_RSRC2:SCRATCH_EN: 0
; COMPUTE_PGM_RSRC2:USER_SGPR: 2
; COMPUTE_PGM_RSRC2:TRAP_HANDLER: 0
; COMPUTE_PGM_RSRC2:TGID_X_EN: 1
; COMPUTE_PGM_RSRC2:TGID_Y_EN: 0
; COMPUTE_PGM_RSRC2:TGID_Z_EN: 0
; COMPUTE_PGM_RSRC2:TIDIG_COMP_CNT: 0
	.section	.text._ZN7rocprim17ROCPRIM_400000_NS6detail17trampoline_kernelINS0_14default_configENS1_35radix_sort_onesweep_config_selectorIhNS0_10empty_typeEEEZZNS1_29radix_sort_onesweep_iterationIS3_Lb0EPKhPhPS5_SB_mNS0_19identity_decomposerENS1_16block_id_wrapperIjLb0EEEEE10hipError_tT1_PNSt15iterator_traitsISG_E10value_typeET2_T3_PNSH_ISM_E10value_typeET4_T5_PSR_SS_PNS1_23onesweep_lookback_stateEbbT6_jjT7_P12ihipStream_tbENKUlT_T0_SG_SL_E_clISA_SA_SB_SB_EEDaSZ_S10_SG_SL_EUlSZ_E_NS1_11comp_targetILNS1_3genE0ELNS1_11target_archE4294967295ELNS1_3gpuE0ELNS1_3repE0EEENS1_47radix_sort_onesweep_sort_config_static_selectorELNS0_4arch9wavefront6targetE0EEEvSG_,"axG",@progbits,_ZN7rocprim17ROCPRIM_400000_NS6detail17trampoline_kernelINS0_14default_configENS1_35radix_sort_onesweep_config_selectorIhNS0_10empty_typeEEEZZNS1_29radix_sort_onesweep_iterationIS3_Lb0EPKhPhPS5_SB_mNS0_19identity_decomposerENS1_16block_id_wrapperIjLb0EEEEE10hipError_tT1_PNSt15iterator_traitsISG_E10value_typeET2_T3_PNSH_ISM_E10value_typeET4_T5_PSR_SS_PNS1_23onesweep_lookback_stateEbbT6_jjT7_P12ihipStream_tbENKUlT_T0_SG_SL_E_clISA_SA_SB_SB_EEDaSZ_S10_SG_SL_EUlSZ_E_NS1_11comp_targetILNS1_3genE0ELNS1_11target_archE4294967295ELNS1_3gpuE0ELNS1_3repE0EEENS1_47radix_sort_onesweep_sort_config_static_selectorELNS0_4arch9wavefront6targetE0EEEvSG_,comdat
	.protected	_ZN7rocprim17ROCPRIM_400000_NS6detail17trampoline_kernelINS0_14default_configENS1_35radix_sort_onesweep_config_selectorIhNS0_10empty_typeEEEZZNS1_29radix_sort_onesweep_iterationIS3_Lb0EPKhPhPS5_SB_mNS0_19identity_decomposerENS1_16block_id_wrapperIjLb0EEEEE10hipError_tT1_PNSt15iterator_traitsISG_E10value_typeET2_T3_PNSH_ISM_E10value_typeET4_T5_PSR_SS_PNS1_23onesweep_lookback_stateEbbT6_jjT7_P12ihipStream_tbENKUlT_T0_SG_SL_E_clISA_SA_SB_SB_EEDaSZ_S10_SG_SL_EUlSZ_E_NS1_11comp_targetILNS1_3genE0ELNS1_11target_archE4294967295ELNS1_3gpuE0ELNS1_3repE0EEENS1_47radix_sort_onesweep_sort_config_static_selectorELNS0_4arch9wavefront6targetE0EEEvSG_ ; -- Begin function _ZN7rocprim17ROCPRIM_400000_NS6detail17trampoline_kernelINS0_14default_configENS1_35radix_sort_onesweep_config_selectorIhNS0_10empty_typeEEEZZNS1_29radix_sort_onesweep_iterationIS3_Lb0EPKhPhPS5_SB_mNS0_19identity_decomposerENS1_16block_id_wrapperIjLb0EEEEE10hipError_tT1_PNSt15iterator_traitsISG_E10value_typeET2_T3_PNSH_ISM_E10value_typeET4_T5_PSR_SS_PNS1_23onesweep_lookback_stateEbbT6_jjT7_P12ihipStream_tbENKUlT_T0_SG_SL_E_clISA_SA_SB_SB_EEDaSZ_S10_SG_SL_EUlSZ_E_NS1_11comp_targetILNS1_3genE0ELNS1_11target_archE4294967295ELNS1_3gpuE0ELNS1_3repE0EEENS1_47radix_sort_onesweep_sort_config_static_selectorELNS0_4arch9wavefront6targetE0EEEvSG_
	.globl	_ZN7rocprim17ROCPRIM_400000_NS6detail17trampoline_kernelINS0_14default_configENS1_35radix_sort_onesweep_config_selectorIhNS0_10empty_typeEEEZZNS1_29radix_sort_onesweep_iterationIS3_Lb0EPKhPhPS5_SB_mNS0_19identity_decomposerENS1_16block_id_wrapperIjLb0EEEEE10hipError_tT1_PNSt15iterator_traitsISG_E10value_typeET2_T3_PNSH_ISM_E10value_typeET4_T5_PSR_SS_PNS1_23onesweep_lookback_stateEbbT6_jjT7_P12ihipStream_tbENKUlT_T0_SG_SL_E_clISA_SA_SB_SB_EEDaSZ_S10_SG_SL_EUlSZ_E_NS1_11comp_targetILNS1_3genE0ELNS1_11target_archE4294967295ELNS1_3gpuE0ELNS1_3repE0EEENS1_47radix_sort_onesweep_sort_config_static_selectorELNS0_4arch9wavefront6targetE0EEEvSG_
	.p2align	8
	.type	_ZN7rocprim17ROCPRIM_400000_NS6detail17trampoline_kernelINS0_14default_configENS1_35radix_sort_onesweep_config_selectorIhNS0_10empty_typeEEEZZNS1_29radix_sort_onesweep_iterationIS3_Lb0EPKhPhPS5_SB_mNS0_19identity_decomposerENS1_16block_id_wrapperIjLb0EEEEE10hipError_tT1_PNSt15iterator_traitsISG_E10value_typeET2_T3_PNSH_ISM_E10value_typeET4_T5_PSR_SS_PNS1_23onesweep_lookback_stateEbbT6_jjT7_P12ihipStream_tbENKUlT_T0_SG_SL_E_clISA_SA_SB_SB_EEDaSZ_S10_SG_SL_EUlSZ_E_NS1_11comp_targetILNS1_3genE0ELNS1_11target_archE4294967295ELNS1_3gpuE0ELNS1_3repE0EEENS1_47radix_sort_onesweep_sort_config_static_selectorELNS0_4arch9wavefront6targetE0EEEvSG_,@function
_ZN7rocprim17ROCPRIM_400000_NS6detail17trampoline_kernelINS0_14default_configENS1_35radix_sort_onesweep_config_selectorIhNS0_10empty_typeEEEZZNS1_29radix_sort_onesweep_iterationIS3_Lb0EPKhPhPS5_SB_mNS0_19identity_decomposerENS1_16block_id_wrapperIjLb0EEEEE10hipError_tT1_PNSt15iterator_traitsISG_E10value_typeET2_T3_PNSH_ISM_E10value_typeET4_T5_PSR_SS_PNS1_23onesweep_lookback_stateEbbT6_jjT7_P12ihipStream_tbENKUlT_T0_SG_SL_E_clISA_SA_SB_SB_EEDaSZ_S10_SG_SL_EUlSZ_E_NS1_11comp_targetILNS1_3genE0ELNS1_11target_archE4294967295ELNS1_3gpuE0ELNS1_3repE0EEENS1_47radix_sort_onesweep_sort_config_static_selectorELNS0_4arch9wavefront6targetE0EEEvSG_: ; @_ZN7rocprim17ROCPRIM_400000_NS6detail17trampoline_kernelINS0_14default_configENS1_35radix_sort_onesweep_config_selectorIhNS0_10empty_typeEEEZZNS1_29radix_sort_onesweep_iterationIS3_Lb0EPKhPhPS5_SB_mNS0_19identity_decomposerENS1_16block_id_wrapperIjLb0EEEEE10hipError_tT1_PNSt15iterator_traitsISG_E10value_typeET2_T3_PNSH_ISM_E10value_typeET4_T5_PSR_SS_PNS1_23onesweep_lookback_stateEbbT6_jjT7_P12ihipStream_tbENKUlT_T0_SG_SL_E_clISA_SA_SB_SB_EEDaSZ_S10_SG_SL_EUlSZ_E_NS1_11comp_targetILNS1_3genE0ELNS1_11target_archE4294967295ELNS1_3gpuE0ELNS1_3repE0EEENS1_47radix_sort_onesweep_sort_config_static_selectorELNS0_4arch9wavefront6targetE0EEEvSG_
; %bb.0:
	s_clause 0x3
	s_load_b96 s[16:18], s[0:1], 0x44
	s_load_b64 s[20:21], s[0:1], 0x38
	s_load_b128 s[12:15], s[0:1], 0x0
	s_load_b128 s[8:11], s[0:1], 0x28
	s_bfe_u32 s2, ttmp6, 0x4000c
	s_and_b32 s3, ttmp6, 15
	s_add_co_i32 s2, s2, 1
	s_getreg_b32 s4, hwreg(HW_REG_IB_STS2, 6, 4)
	s_mul_i32 s2, ttmp9, s2
	v_mul_u32_u24_e32 v6, 22, v0
	s_add_co_i32 s3, s3, s2
	s_cmp_eq_u32 s4, 0
	s_mov_b32 s23, 0
	s_cselect_b32 s19, ttmp9, s3
	s_mov_b32 s2, -1
	s_mul_i32 s22, s19, 0x5800
	s_wait_kmcnt 0x0
	s_cmp_ge_u32 s19, s18
	s_cbranch_scc0 .LBB246_112
; %bb.1:
	s_load_b32 s4, s[0:1], 0x20
	v_dual_mov_b32 v7, 0 :: v_dual_mov_b32 v4, 0xff
	s_add_nc_u64 s[2:3], s[12:13], s[22:23]
	v_mov_b32_e32 v1, 0xff
	v_mov_b32_e32 v5, 0xff
	s_delay_alu instid0(VALU_DEP_3) | instskip(SKIP_4) | instid1(SALU_CYCLE_1)
	v_add_nc_u64_e32 v[2:3], s[2:3], v[6:7]
	s_mul_i32 s5, s18, 0xffffa800
	s_mov_b32 s2, exec_lo
	s_wait_kmcnt 0x0
	s_add_co_i32 s18, s4, s5
	v_cmpx_gt_u32_e64 s18, v6
	s_cbranch_execz .LBB246_3
; %bb.2:
	global_load_u8 v5, v[2:3], off
	s_wait_loadcnt 0x0
	v_and_b32_e32 v4, 0xff, v5
.LBB246_3:
	s_or_b32 exec_lo, exec_lo, s2
	v_or_b32_e32 v7, 1, v6
	v_mov_b32_e32 v27, 0xff
	s_mov_b32 s2, exec_lo
	s_delay_alu instid0(VALU_DEP_2)
	v_cmpx_gt_u32_e64 s18, v7
	s_cbranch_execz .LBB246_5
; %bb.4:
	global_load_u8 v1, v[2:3], off offset:1
	s_wait_loadcnt 0x0
	v_and_b32_e32 v27, 0xff, v1
.LBB246_5:
	s_or_b32 exec_lo, exec_lo, s2
	v_dual_mov_b32 v7, 0xff :: v_dual_add_nc_u32 v8, 2, v6
	v_mov_b32_e32 v28, 0xff
	s_delay_alu instid0(VALU_DEP_2)
	v_cmp_gt_u32_e32 vcc_lo, s18, v8
	v_mov_b32_e32 v8, 0xff
	s_and_saveexec_b32 s2, vcc_lo
	s_cbranch_execz .LBB246_7
; %bb.6:
	global_load_u8 v8, v[2:3], off offset:2
	s_wait_loadcnt 0x0
	v_and_b32_e32 v28, 0xff, v8
.LBB246_7:
	s_or_b32 exec_lo, exec_lo, s2
	v_add_nc_u32_e32 v9, 3, v6
	v_mov_b32_e32 v29, 0xff
	s_mov_b32 s2, exec_lo
	s_delay_alu instid0(VALU_DEP_2)
	v_cmpx_gt_u32_e64 s18, v9
	s_cbranch_execz .LBB246_9
; %bb.8:
	global_load_u8 v7, v[2:3], off offset:3
	s_wait_loadcnt 0x0
	v_and_b32_e32 v29, 0xff, v7
.LBB246_9:
	s_or_b32 exec_lo, exec_lo, s2
	v_dual_mov_b32 v9, 0xff :: v_dual_add_nc_u32 v10, 4, v6
	v_mov_b32_e32 v30, 0xff
	s_delay_alu instid0(VALU_DEP_2)
	v_cmp_gt_u32_e32 vcc_lo, s18, v10
	v_mov_b32_e32 v10, 0xff
	s_and_saveexec_b32 s2, vcc_lo
	s_cbranch_execz .LBB246_11
; %bb.10:
	global_load_u8 v10, v[2:3], off offset:4
	s_wait_loadcnt 0x0
	v_and_b32_e32 v30, 0xff, v10
.LBB246_11:
	s_or_b32 exec_lo, exec_lo, s2
	v_add_nc_u32_e32 v11, 5, v6
	;; [unrolled: 25-line block ×9, first 2 shown]
	v_mov_b32_e32 v53, 0xff
	s_mov_b32 s2, exec_lo
	s_delay_alu instid0(VALU_DEP_2)
	v_cmpx_gt_u32_e64 s18, v25
	s_cbranch_execz .LBB246_41
; %bb.40:
	global_load_u8 v23, v[2:3], off offset:19
	s_wait_loadcnt 0x0
	v_and_b32_e32 v53, 0xff, v23
.LBB246_41:
	s_or_b32 exec_lo, exec_lo, s2
	v_dual_mov_b32 v25, 0xff :: v_dual_add_nc_u32 v26, 20, v6
	v_mov_b32_e32 v54, 0xff
	s_delay_alu instid0(VALU_DEP_2)
	v_cmp_gt_u32_e32 vcc_lo, s18, v26
	v_mov_b32_e32 v26, 0xff
	s_and_saveexec_b32 s2, vcc_lo
	s_cbranch_execz .LBB246_43
; %bb.42:
	global_load_u8 v26, v[2:3], off offset:20
	s_wait_loadcnt 0x0
	v_and_b32_e32 v54, 0xff, v26
.LBB246_43:
	s_or_b32 exec_lo, exec_lo, s2
	v_dual_mov_b32 v55, 0xff :: v_dual_add_nc_u32 v38, 21, v6
	s_mov_b32 s2, exec_lo
	s_delay_alu instid0(VALU_DEP_1)
	v_cmpx_gt_u32_e64 s18, v38
	s_cbranch_execz .LBB246_45
; %bb.44:
	global_load_u8 v25, v[2:3], off offset:21
	s_wait_loadcnt 0x0
	v_and_b32_e32 v55, 0xff, v25
.LBB246_45:
	s_or_b32 exec_lo, exec_lo, s2
	v_dual_lshrrev_b32 v2, s16, v4 :: v_dual_mov_b32 v38, 0
	s_lshl_b32 s23, -1, s17
	v_lshrrev_b32_e32 v40, s16, v27
	s_mov_b32 s7, exec_lo
	s_delay_alu instid0(VALU_DEP_2) | instskip(NEXT) | instid1(VALU_DEP_1)
	v_bitop3_b32 v2, v2, s23, v2 bitop3:0x30
	v_dual_lshlrev_b32 v3, 10, v2 :: v_dual_lshrrev_b32 v2, 2, v2
	v_lshlrev_b32_e32 v4, 2, v0
	s_delay_alu instid0(VALU_DEP_2) | instskip(NEXT) | instid1(VALU_DEP_3)
	v_and_or_b32 v3, 0x1c00, v3, v0
	v_and_b32_e32 v2, 62, v2
	ds_store_2addr_stride64_b32 v4, v38, v38 offset1:16
	ds_store_2addr_stride64_b32 v4, v38, v38 offset0:32 offset1:48
	ds_store_2addr_stride64_b32 v4, v38, v38 offset0:64 offset1:80
	;; [unrolled: 1-line block ×3, first 2 shown]
	v_lshl_add_u32 v2, v3, 2, v2
	v_bitop3_b32 v3, v40, s23, v40 bitop3:0x30
	ds_load_u16 v27, v2
	v_dual_lshlrev_b32 v4, 10, v3 :: v_dual_lshrrev_b32 v3, 2, v3
	s_delay_alu instid0(VALU_DEP_1) | instskip(NEXT) | instid1(VALU_DEP_2)
	v_and_or_b32 v4, 0x1c00, v4, v0
	v_and_b32_e32 v3, 62, v3
	s_delay_alu instid0(VALU_DEP_1) | instskip(SKIP_1) | instid1(VALU_DEP_1)
	v_lshl_add_u32 v3, v4, 2, v3
	v_lshrrev_b32_e32 v4, s16, v28
	v_bitop3_b32 v4, v4, s23, v4 bitop3:0x30
	s_wait_dscnt 0x0
	v_add_nc_u16 v38, v27, 1
	ds_store_b16 v2, v38
	ds_load_u16 v28, v3
	v_dual_lshlrev_b32 v38, 10, v4 :: v_dual_lshrrev_b32 v4, 2, v4
	s_delay_alu instid0(VALU_DEP_1) | instskip(NEXT) | instid1(VALU_DEP_2)
	v_and_or_b32 v38, 0x1c00, v38, v0
	v_and_b32_e32 v4, 62, v4
	s_delay_alu instid0(VALU_DEP_1) | instskip(SKIP_1) | instid1(VALU_DEP_1)
	v_lshl_add_u32 v4, v38, 2, v4
	v_lshrrev_b32_e32 v38, s16, v29
	v_bitop3_b32 v38, v38, s23, v38 bitop3:0x30
	s_wait_dscnt 0x0
	v_add_nc_u16 v40, v28, 1
	ds_store_b16 v3, v40
	;; [unrolled: 12-line block ×20, first 2 shown]
	ds_load_u16 v55, v66
	v_dual_lshlrev_b32 v67, 10, v59 :: v_dual_lshrrev_b32 v59, 2, v59
	s_delay_alu instid0(VALU_DEP_1) | instskip(NEXT) | instid1(VALU_DEP_2)
	v_and_or_b32 v67, 0x1c00, v67, v0
	v_and_b32_e32 v59, 62, v59
	s_delay_alu instid0(VALU_DEP_1)
	v_lshl_add_u32 v67, v67, 2, v59
	s_wait_dscnt 0x0
	v_add_nc_u16 v68, v55, 1
	ds_store_b16 v66, v68
	ds_load_u16 v59, v67
	v_lshlrev_b32_e32 v68, 5, v0
	s_wait_dscnt 0x0
	v_add_nc_u16 v69, v59, 1
	ds_store_b16 v67, v69
	s_wait_dscnt 0x0
	s_barrier_signal -1
	s_barrier_wait -1
	ds_load_2addr_b64 v[70:73], v68 offset1:1
	ds_load_2addr_b64 v[74:77], v68 offset0:2 offset1:3
	s_wait_dscnt 0x1
	v_add_nc_u32_e32 v69, v71, v70
	s_delay_alu instid0(VALU_DEP_1) | instskip(SKIP_2) | instid1(VALU_DEP_2)
	v_add3_u32 v69, v69, v72, v73
	v_and_b32_e32 v73, 31, v0
	s_wait_dscnt 0x0
	v_add3_u32 v70, v69, v74, v75
	v_mbcnt_lo_u32_b32 v69, -1, 0
	s_delay_alu instid0(VALU_DEP_2) | instskip(NEXT) | instid1(VALU_DEP_2)
	v_add3_u32 v70, v70, v76, v77
	v_and_b32_e32 v71, 15, v69
	v_and_b32_e32 v74, 16, v69
	s_delay_alu instid0(VALU_DEP_3) | instskip(NEXT) | instid1(VALU_DEP_3)
	v_mov_b32_dpp v72, v70 row_shr:1 row_mask:0xf bank_mask:0xf
	v_cmp_eq_u32_e32 vcc_lo, 0, v71
	v_cmp_lt_u32_e64 s2, 1, v71
	v_cmp_lt_u32_e64 s3, 3, v71
	;; [unrolled: 1-line block ×3, first 2 shown]
	v_cmp_eq_u32_e64 s5, 0, v74
	v_cndmask_b32_e64 v72, v72, 0, vcc_lo
	s_delay_alu instid0(VALU_DEP_1) | instskip(NEXT) | instid1(VALU_DEP_1)
	v_add_nc_u32_e32 v70, v72, v70
	v_mov_b32_dpp v72, v70 row_shr:2 row_mask:0xf bank_mask:0xf
	s_delay_alu instid0(VALU_DEP_1) | instskip(NEXT) | instid1(VALU_DEP_1)
	v_cndmask_b32_e64 v72, 0, v72, s2
	v_add_nc_u32_e32 v70, v70, v72
	s_delay_alu instid0(VALU_DEP_1) | instskip(NEXT) | instid1(VALU_DEP_1)
	v_mov_b32_dpp v72, v70 row_shr:4 row_mask:0xf bank_mask:0xf
	v_cndmask_b32_e64 v72, 0, v72, s3
	s_delay_alu instid0(VALU_DEP_1) | instskip(NEXT) | instid1(VALU_DEP_1)
	v_add_nc_u32_e32 v70, v70, v72
	v_mov_b32_dpp v72, v70 row_shr:8 row_mask:0xf bank_mask:0xf
	s_delay_alu instid0(VALU_DEP_1) | instskip(SKIP_1) | instid1(VALU_DEP_2)
	v_cndmask_b32_e64 v71, 0, v72, s4
	v_bfe_i32 v72, v69, 4, 1
	v_add_nc_u32_e32 v70, v70, v71
	ds_swizzle_b32 v71, v70 offset:swizzle(BROADCAST,32,15)
	s_wait_dscnt 0x0
	v_dual_lshrrev_b32 v72, 5, v0 :: v_dual_bitop2_b32 v71, v72, v71 bitop3:0x40
	s_delay_alu instid0(VALU_DEP_1)
	v_dual_add_nc_u32 v70, v70, v71 :: v_dual_lshlrev_b32 v71, 2, v72
	v_cmpx_eq_u32_e32 31, v73
; %bb.46:
	ds_store_b32 v71, v70 offset:32768
; %bb.47:
	s_or_b32 exec_lo, exec_lo, s7
	v_cmp_lt_u32_e64 s6, 31, v0
	s_mov_b32 s24, exec_lo
	s_wait_dscnt 0x0
	s_barrier_signal -1
	s_barrier_wait -1
	v_cmpx_gt_u32_e32 32, v0
	s_cbranch_execz .LBB246_49
; %bb.48:
	v_mad_i32_i24 v72, 0xffffffe4, v0, v68
	ds_load_b32 v73, v72 offset:32768
	s_wait_dscnt 0x0
	v_mov_b32_dpp v74, v73 row_shr:1 row_mask:0xf bank_mask:0xf
	s_delay_alu instid0(VALU_DEP_1) | instskip(NEXT) | instid1(VALU_DEP_1)
	v_cndmask_b32_e64 v74, v74, 0, vcc_lo
	v_add_nc_u32_e32 v73, v74, v73
	s_delay_alu instid0(VALU_DEP_1) | instskip(NEXT) | instid1(VALU_DEP_1)
	v_mov_b32_dpp v74, v73 row_shr:2 row_mask:0xf bank_mask:0xf
	v_cndmask_b32_e64 v74, 0, v74, s2
	s_delay_alu instid0(VALU_DEP_1) | instskip(NEXT) | instid1(VALU_DEP_1)
	v_add_nc_u32_e32 v73, v73, v74
	v_mov_b32_dpp v74, v73 row_shr:4 row_mask:0xf bank_mask:0xf
	s_delay_alu instid0(VALU_DEP_1) | instskip(NEXT) | instid1(VALU_DEP_1)
	v_cndmask_b32_e64 v74, 0, v74, s3
	v_add_nc_u32_e32 v73, v73, v74
	s_delay_alu instid0(VALU_DEP_1) | instskip(NEXT) | instid1(VALU_DEP_1)
	v_mov_b32_dpp v74, v73 row_shr:8 row_mask:0xf bank_mask:0xf
	v_cndmask_b32_e64 v74, 0, v74, s4
	s_delay_alu instid0(VALU_DEP_1) | instskip(SKIP_3) | instid1(VALU_DEP_1)
	v_add_nc_u32_e32 v73, v73, v74
	ds_swizzle_b32 v74, v73 offset:swizzle(BROADCAST,32,15)
	s_wait_dscnt 0x0
	v_cndmask_b32_e64 v74, v74, 0, s5
	v_add_nc_u32_e32 v73, v73, v74
	ds_store_b32 v72, v73 offset:32768
.LBB246_49:
	s_or_b32 exec_lo, exec_lo, s24
	v_dual_mov_b32 v73, 0 :: v_dual_mov_b32 v72, 0
	s_wait_dscnt 0x0
	s_barrier_signal -1
	s_barrier_wait -1
	s_and_saveexec_b32 s2, s6
; %bb.50:
	ds_load_b32 v72, v71 offset:32764
; %bb.51:
	s_or_b32 exec_lo, exec_lo, s2
	v_sub_co_u32 v71, vcc_lo, v69, 1
	s_wait_dscnt 0x0
	v_add_nc_u32_e32 v70, v72, v70
	s_delay_alu instid0(VALU_DEP_2) | instskip(NEXT) | instid1(VALU_DEP_1)
	v_cmp_gt_i32_e64 s2, 0, v71
	v_cndmask_b32_e64 v69, v71, v69, s2
	v_cmp_gt_u32_e64 s2, 16, v0
	s_delay_alu instid0(VALU_DEP_2)
	v_lshlrev_b32_e32 v69, 2, v69
	ds_bpermute_b32 v69, v69, v70
	ds_load_b32 v70, v73 offset:32892
	ds_load_2addr_b64 v[74:77], v68 offset1:1
	ds_load_b32 v78, v68 offset:24
	s_wait_dscnt 0x3
	v_cndmask_b32_e32 v69, v69, v72, vcc_lo
	ds_load_b64 v[72:73], v68 offset:16
	v_cmp_lt_u32_e32 vcc_lo, 15, v0
	s_wait_dscnt 0x3
	v_lshl_add_u32 v70, v70, 16, v69
	s_wait_dscnt 0x2
	s_delay_alu instid0(VALU_DEP_1) | instskip(NEXT) | instid1(VALU_DEP_1)
	v_add_nc_u32_e32 v71, v70, v74
	v_add_nc_u32_e32 v74, v75, v71
	s_delay_alu instid0(VALU_DEP_1) | instskip(NEXT) | instid1(VALU_DEP_1)
	v_add_nc_u32_e32 v75, v76, v74
	v_add_nc_u32_e32 v76, v77, v75
	s_wait_dscnt 0x0
	s_delay_alu instid0(VALU_DEP_1) | instskip(NEXT) | instid1(VALU_DEP_1)
	v_add_nc_u32_e32 v77, v72, v76
	v_add_nc_u32_e32 v72, v73, v77
	s_delay_alu instid0(VALU_DEP_1)
	v_add_nc_u32_e32 v73, v78, v72
	ds_store_2addr_b64 v68, v[70:71], v[74:75] offset1:1
	ds_store_2addr_b64 v68, v[76:77], v[72:73] offset0:2 offset1:3
	s_wait_dscnt 0x0
	s_barrier_signal -1
	s_barrier_wait -1
	ds_load_u16 v68, v2
	ds_load_u16 v69, v3
	ds_load_u16 v70, v4
	ds_load_u16 v38, v38
	ds_load_u16 v40, v40
	ds_load_u16 v42, v42
	ds_load_u16 v44, v44
	ds_load_u16 v46, v46
	ds_load_u16 v48, v48
	ds_load_u16 v50, v50
	ds_load_u16 v52, v52
	ds_load_u16 v56, v56
	ds_load_u16 v57, v57
	ds_load_u16 v58, v58
	ds_load_u16 v60, v60
	ds_load_u16 v61, v61
	ds_load_u16 v62, v62
	ds_load_u16 v63, v63
	ds_load_u16 v64, v64
	ds_load_u16 v65, v65
	ds_load_u16 v66, v66
	ds_load_u16 v67, v67
	v_mov_b64_e32 v[2:3], 0
                                        ; implicit-def: $vgpr4
	s_and_saveexec_b32 s4, s2
	s_cbranch_execz .LBB246_55
; %bb.52:
	v_dual_lshlrev_b32 v2, 12, v0 :: v_dual_lshrrev_b32 v3, 2, v0
	v_add_nc_u32_e32 v4, 1, v0
	s_mov_b32 s5, exec_lo
	s_delay_alu instid0(VALU_DEP_2)
	v_bitop3_b32 v2, v2, 0x70fe, v3 bitop3:0xc8
	v_mov_b32_e32 v3, 0x5800
	ds_load_u16 v2, v2
	v_cmpx_ne_u32_e32 16, v4
; %bb.53:
	v_dual_lshlrev_b32 v3, 12, v4 :: v_dual_lshrrev_b32 v4, 2, v4
	s_delay_alu instid0(VALU_DEP_1)
	v_bitop3_b32 v3, v3, 0x71fe, v4 bitop3:0xc8
	ds_load_u16 v3, v3
; %bb.54:
	s_or_b32 exec_lo, exec_lo, s5
	s_wait_dscnt 0x0
	v_and_b32_e32 v2, 0xffff, v2
	s_mov_b32 s3, 0
	s_delay_alu instid0(VALU_DEP_1) | instid1(SALU_CYCLE_1)
	v_dual_mov_b32 v3, s3 :: v_dual_sub_nc_u32 v4, v3, v2
.LBB246_55:
	s_or_b32 exec_lo, exec_lo, s4
	s_wait_dscnt 0x15
	v_and_b32_e32 v68, 0xffff, v68
	v_and_b32_e32 v27, 0xffff, v27
	s_wait_dscnt 0x14
	v_and_b32_e32 v69, 0xffff, v69
	v_and_b32_e32 v28, 0xffff, v28
	;; [unrolled: 3-line block ×4, first 2 shown]
	v_dual_add_nc_u32 v27, v68, v27 :: v_dual_add_nc_u32 v28, v69, v28
	s_wait_dscnt 0x11
	v_and_b32_e32 v40, 0xffff, v40
	v_and_b32_e32 v31, 0xffff, v31
	s_wait_dscnt 0x10
	v_and_b32_e32 v42, 0xffff, v42
	v_and_b32_e32 v32, 0xffff, v32
	v_add_nc_u32_e32 v29, v70, v29
	s_wait_dscnt 0xf
	v_and_b32_e32 v44, 0xffff, v44
	v_and_b32_e32 v33, 0xffff, v33
	s_wait_dscnt 0xe
	v_and_b32_e32 v46, 0xffff, v46
	v_and_b32_e32 v34, 0xffff, v34
	;; [unrolled: 3-line block ×3, first 2 shown]
	s_wait_dscnt 0x0
	s_barrier_signal -1
	s_barrier_wait -1
	ds_store_b8 v27, v5 offset:128
	ds_store_b8 v28, v1 offset:128
	ds_store_b8 v29, v8 offset:128
	v_dual_add_nc_u32 v1, v38, v30 :: v_dual_add_nc_u32 v27, v44, v33
	v_and_b32_e32 v50, 0xffff, v50
	v_and_b32_e32 v36, 0xffff, v36
	v_add_nc_u32_e32 v5, v40, v31
	v_and_b32_e32 v52, 0xffff, v52
	v_and_b32_e32 v37, 0xffff, v37
	v_add_nc_u32_e32 v8, v42, v32
	v_and_b32_e32 v56, 0xffff, v56
	v_and_b32_e32 v39, 0xffff, v39
	;; [unrolled: 1-line block ×4, first 2 shown]
	v_add_nc_u32_e32 v28, v46, v34
	v_and_b32_e32 v58, 0xffff, v58
	v_and_b32_e32 v43, 0xffff, v43
	ds_store_b8 v1, v7 offset:128
	ds_store_b8 v5, v10 offset:128
	;; [unrolled: 1-line block ×5, first 2 shown]
	v_add_nc_u32_e32 v1, v48, v35
	v_and_b32_e32 v60, 0xffff, v60
	v_and_b32_e32 v45, 0xffff, v45
	v_dual_add_nc_u32 v5, v50, v36 :: v_dual_add_nc_u32 v8, v56, v39
	v_and_b32_e32 v61, 0xffff, v61
	v_and_b32_e32 v47, 0xffff, v47
	v_add_nc_u32_e32 v7, v52, v37
	v_and_b32_e32 v62, 0xffff, v62
	v_and_b32_e32 v49, 0xffff, v49
	;; [unrolled: 1-line block ×4, first 2 shown]
	v_add_nc_u32_e32 v9, v57, v41
	ds_store_b8 v1, v14 offset:128
	ds_store_b8 v5, v13 offset:128
	;; [unrolled: 1-line block ×5, first 2 shown]
	v_dual_add_nc_u32 v1, v58, v43 :: v_dual_add_nc_u32 v5, v60, v45
	v_dual_add_nc_u32 v7, v61, v47 :: v_dual_add_nc_u32 v8, v62, v49
	v_add_nc_u32_e32 v9, v63, v51
	v_and_b32_e32 v64, 0xffff, v64
	v_and_b32_e32 v67, 0xffff, v67
	;; [unrolled: 1-line block ×4, first 2 shown]
	ds_store_b8 v1, v17 offset:128
	ds_store_b8 v5, v20 offset:128
	;; [unrolled: 1-line block ×5, first 2 shown]
	v_mov_b32_e32 v9, 0
	v_and_b32_e32 v65, 0xffff, v65
	v_and_b32_e32 v54, 0xffff, v54
	;; [unrolled: 1-line block ×4, first 2 shown]
	v_dual_add_nc_u32 v7, v64, v53 :: v_dual_add_nc_u32 v11, v67, v59
	v_dual_mov_b32 v1, v9 :: v_dual_lshlrev_b32 v5, 3, v0
	s_delay_alu instid0(VALU_DEP_3)
	v_dual_add_nc_u32 v8, v65, v54 :: v_dual_add_nc_u32 v10, v66, v55
	s_not_b32 s3, s23
	ds_store_b8 v7, v24 offset:128
	ds_store_b8 v8, v23 offset:128
	;; [unrolled: 1-line block ×4, first 2 shown]
	s_and_saveexec_b32 s4, s2
	s_cbranch_execz .LBB246_65
; %bb.56:
	v_lshl_add_u32 v8, s19, 4, v0
	v_dual_mov_b32 v12, 0 :: v_dual_bitop2_b32 v7, 2.0, v4 bitop3:0x54
	s_mov_b32 s5, 0
	s_mov_b32 s6, s19
	s_delay_alu instid0(VALU_DEP_2)
	v_lshl_add_u64 v[10:11], v[8:9], 2, s[20:21]
	global_store_b32 v8, v7, s[20:21] scale_offset scope:SCOPE_DEV
                                        ; implicit-def: $sgpr2
	s_branch .LBB246_59
.LBB246_57:                             ;   in Loop: Header=BB246_59 Depth=1
	s_or_b32 exec_lo, exec_lo, s23
.LBB246_58:                             ;   in Loop: Header=BB246_59 Depth=1
	s_delay_alu instid0(SALU_CYCLE_1) | instskip(SKIP_2) | instid1(VALU_DEP_2)
	s_or_b32 exec_lo, exec_lo, s7
	v_and_b32_e32 v8, 0x3fffffff, v7
	v_cmp_gt_i32_e64 s2, -2.0, v7
	v_add_nc_u32_e32 v12, v8, v12
	s_and_b32 s7, exec_lo, s2
	s_delay_alu instid0(SALU_CYCLE_1) | instskip(NEXT) | instid1(SALU_CYCLE_1)
	s_or_b32 s5, s7, s5
	s_and_not1_b32 exec_lo, exec_lo, s5
	s_cbranch_execz .LBB246_64
.LBB246_59:                             ; =>This Loop Header: Depth=1
                                        ;     Child Loop BB246_62 Depth 2
	s_or_b32 s2, s2, exec_lo
	s_cmp_eq_u32 s6, 0
	s_cbranch_scc1 .LBB246_63
; %bb.60:                               ;   in Loop: Header=BB246_59 Depth=1
	s_add_co_i32 s6, s6, -1
	s_mov_b32 s7, exec_lo
	s_wait_xcnt 0x0
	v_lshl_or_b32 v8, s6, 4, v0
	global_load_b32 v7, v8, s[20:21] scale_offset scope:SCOPE_DEV
	s_wait_loadcnt 0x0
	v_cmpx_gt_u32_e32 2.0, v7
	s_cbranch_execz .LBB246_58
; %bb.61:                               ;   in Loop: Header=BB246_59 Depth=1
	v_lshl_add_u64 v[14:15], v[8:9], 2, s[20:21]
	s_mov_b32 s23, 0
.LBB246_62:                             ;   Parent Loop BB246_59 Depth=1
                                        ; =>  This Inner Loop Header: Depth=2
	global_load_b32 v7, v[14:15], off scope:SCOPE_DEV
	s_wait_loadcnt 0x0
	v_cmp_lt_u32_e64 s2, 0x3fffffff, v7
	s_or_b32 s23, s2, s23
	s_wait_xcnt 0x0
	s_and_not1_b32 exec_lo, exec_lo, s23
	s_cbranch_execnz .LBB246_62
	s_branch .LBB246_57
.LBB246_63:                             ;   in Loop: Header=BB246_59 Depth=1
                                        ; implicit-def: $sgpr6
	s_and_b32 s7, exec_lo, s2
	s_delay_alu instid0(SALU_CYCLE_1)
	s_or_b32 s5, s7, s5
	s_wait_xcnt 0x0
	s_and_not1_b32 exec_lo, exec_lo, s5
	s_cbranch_execnz .LBB246_59
.LBB246_64:
	s_or_b32 exec_lo, exec_lo, s5
	v_dual_add_nc_u32 v7, v12, v4 :: v_dual_mov_b32 v13, 0
	s_delay_alu instid0(VALU_DEP_1)
	v_or_b32_e32 v7, 0x80000000, v7
	global_store_b32 v[10:11], v7, off scope:SCOPE_DEV
	global_load_b64 v[8:9], v0, s[8:9] scale_offset
	s_wait_xcnt 0x1
	v_sub_nc_u64_e32 v[10:11], v[12:13], v[2:3]
	s_wait_loadcnt 0x0
	s_delay_alu instid0(VALU_DEP_1)
	v_add_nc_u64_e32 v[8:9], v[10:11], v[8:9]
	ds_store_b64 v5, v[8:9]
.LBB246_65:
	s_wait_xcnt 0x0
	s_or_b32 exec_lo, exec_lo, s4
	s_delay_alu instid0(SALU_CYCLE_1)
	s_mov_b32 s4, exec_lo
	s_wait_storecnt_dscnt 0x0
	s_barrier_signal -1
	s_barrier_wait -1
	v_cmpx_gt_u32_e64 s18, v0
	s_cbranch_execz .LBB246_67
; %bb.66:
	ds_load_u8 v7, v0 offset:128
	s_wait_dscnt 0x0
	v_and_b32_e32 v8, 0xff, v7
	s_delay_alu instid0(VALU_DEP_1) | instskip(NEXT) | instid1(VALU_DEP_1)
	v_lshrrev_b32_e32 v8, s16, v8
	v_and_b32_e32 v8, s3, v8
	s_delay_alu instid0(VALU_DEP_1) | instskip(SKIP_3) | instid1(VALU_DEP_1)
	v_lshlrev_b32_e32 v8, 3, v8
	ds_load_b64 v[8:9], v8
	s_wait_dscnt 0x0
	v_add_nc_u64_e32 v[8:9], s[14:15], v[8:9]
	v_add_nc_u64_e32 v[8:9], v[8:9], v[0:1]
	global_store_b8 v[8:9], v7, off
.LBB246_67:
	s_wait_xcnt 0x0
	s_or_b32 exec_lo, exec_lo, s4
	v_or_b32_e32 v7, 0x400, v0
	s_mov_b32 s4, exec_lo
	s_delay_alu instid0(VALU_DEP_1)
	v_cmpx_gt_u32_e64 s18, v7
	s_cbranch_execz .LBB246_69
; %bb.68:
	ds_load_u8 v7, v0 offset:1152
	s_wait_dscnt 0x0
	v_and_b32_e32 v8, 0xff, v7
	s_delay_alu instid0(VALU_DEP_1) | instskip(NEXT) | instid1(VALU_DEP_1)
	v_lshrrev_b32_e32 v8, s16, v8
	v_and_b32_e32 v8, s3, v8
	s_delay_alu instid0(VALU_DEP_1) | instskip(SKIP_3) | instid1(VALU_DEP_1)
	v_lshlrev_b32_e32 v8, 3, v8
	ds_load_b64 v[8:9], v8
	s_wait_dscnt 0x0
	v_add_nc_u64_e32 v[8:9], s[14:15], v[8:9]
	v_add_nc_u64_e32 v[8:9], v[8:9], v[0:1]
	global_store_b8 v[8:9], v7, off offset:1024
.LBB246_69:
	s_wait_xcnt 0x0
	s_or_b32 exec_lo, exec_lo, s4
	v_or_b32_e32 v7, 0x800, v0
	s_mov_b32 s4, exec_lo
	s_delay_alu instid0(VALU_DEP_1)
	v_cmpx_gt_u32_e64 s18, v7
	s_cbranch_execz .LBB246_71
; %bb.70:
	ds_load_u8 v7, v0 offset:2176
	s_wait_dscnt 0x0
	v_and_b32_e32 v8, 0xff, v7
	s_delay_alu instid0(VALU_DEP_1) | instskip(NEXT) | instid1(VALU_DEP_1)
	v_lshrrev_b32_e32 v8, s16, v8
	v_and_b32_e32 v8, s3, v8
	s_delay_alu instid0(VALU_DEP_1) | instskip(SKIP_3) | instid1(VALU_DEP_1)
	v_lshlrev_b32_e32 v8, 3, v8
	ds_load_b64 v[8:9], v8
	s_wait_dscnt 0x0
	v_add_nc_u64_e32 v[8:9], s[14:15], v[8:9]
	v_add_nc_u64_e32 v[8:9], v[8:9], v[0:1]
	global_store_b8 v[8:9], v7, off offset:2048
.LBB246_71:
	;; [unrolled: 22-line block ×21, first 2 shown]
	s_wait_xcnt 0x0
	s_or_b32 exec_lo, exec_lo, s4
	s_load_b32 s2, s[0:1], 0x58
	s_wait_kmcnt 0x0
	s_add_co_i32 s2, s2, -1
	s_delay_alu instid0(SALU_CYCLE_1) | instskip(SKIP_2) | instid1(SALU_CYCLE_1)
	s_cmp_eq_u32 s19, s2
	s_cselect_b32 s2, -1, 0
	s_xor_b32 s3, vcc_lo, -1
	s_and_b32 s3, s3, s2
	s_delay_alu instid0(SALU_CYCLE_1)
	s_and_saveexec_b32 s2, s3
	s_cbranch_execz .LBB246_111
; %bb.110:
	ds_load_b64 v[8:9], v5
	v_mov_b32_e32 v5, 0
	s_delay_alu instid0(VALU_DEP_1) | instskip(SKIP_1) | instid1(VALU_DEP_1)
	v_add_nc_u64_e32 v[2:3], v[2:3], v[4:5]
	s_wait_dscnt 0x0
	v_add_nc_u64_e32 v[2:3], v[2:3], v[8:9]
	global_store_b64 v0, v[2:3], s[10:11] scale_offset
.LBB246_111:
	s_wait_xcnt 0x0
	s_or_b32 exec_lo, exec_lo, s2
	s_mov_b32 s2, 0
.LBB246_112:
	s_delay_alu instid0(SALU_CYCLE_1)
	s_and_b32 vcc_lo, exec_lo, s2
	s_cbranch_vccz .LBB246_135
; %bb.113:
	s_mov_b32 s23, 0
	s_mov_b32 s7, exec_lo
	s_add_nc_u64 s[2:3], s[12:13], s[22:23]
	s_lshl_b32 s12, -1, s17
	s_clause 0x2
	global_load_b128 v[2:5], v6, s[2:3]
	global_load_b32 v8, v6, s[2:3] offset:16
	global_load_u16 v11, v6, s[2:3] offset:20
	v_lshlrev_b32_e32 v7, 2, v0
	s_wait_loadcnt 0x2
	v_and_b32_e32 v1, 0xff, v2
	v_bfe_u32 v10, v2, 8, 8
	v_bfe_u32 v18, v3, 8, 8
	v_and_b32_e32 v13, 0xff, v3
	v_bfe_u32 v20, v3, 16, 8
	v_lshrrev_b32_e32 v1, s16, v1
	v_and_b32_e32 v23, 0xff, v4
	v_and_b32_e32 v30, 0xff, v5
	s_wait_loadcnt 0x1
	v_and_b32_e32 v40, 0xff, v8
	v_bitop3_b32 v1, v1, s12, v1 bitop3:0x30
	s_wait_xcnt 0x0
	s_delay_alu instid0(VALU_DEP_1) | instskip(SKIP_1) | instid1(VALU_DEP_2)
	v_dual_lshlrev_b32 v6, 10, v1 :: v_dual_lshrrev_b32 v1, 2, v1
	v_mov_b32_e32 v9, 0
	v_and_or_b32 v6, 0x1c00, v6, v0
	s_delay_alu instid0(VALU_DEP_3)
	v_and_b32_e32 v1, 62, v1
	ds_store_2addr_stride64_b32 v7, v9, v9 offset1:16
	ds_store_2addr_stride64_b32 v7, v9, v9 offset0:32 offset1:48
	ds_store_2addr_stride64_b32 v7, v9, v9 offset0:64 offset1:80
	;; [unrolled: 1-line block ×3, first 2 shown]
	v_bfe_u32 v9, v2, 16, 8
	v_lshl_add_u32 v6, v6, 2, v1
	v_lshrrev_b32_e32 v1, s16, v10
	ds_load_u16 v14, v6
	v_bitop3_b32 v1, v1, s12, v1 bitop3:0x30
	s_delay_alu instid0(VALU_DEP_1) | instskip(NEXT) | instid1(VALU_DEP_1)
	v_dual_lshlrev_b32 v7, 10, v1 :: v_dual_lshrrev_b32 v1, 2, v1
	v_and_or_b32 v7, 0x1c00, v7, v0
	s_delay_alu instid0(VALU_DEP_2) | instskip(NEXT) | instid1(VALU_DEP_1)
	v_and_b32_e32 v1, 62, v1
	v_lshl_add_u32 v7, v7, 2, v1
	v_lshrrev_b32_e32 v1, s16, v9
	s_wait_dscnt 0x0
	v_add_nc_u16 v10, v14, 1
	s_delay_alu instid0(VALU_DEP_2) | instskip(SKIP_3) | instid1(VALU_DEP_1)
	v_bitop3_b32 v1, v1, s12, v1 bitop3:0x30
	ds_store_b16 v6, v10
	ds_load_u16 v15, v7
	v_dual_lshlrev_b32 v9, 10, v1 :: v_dual_lshrrev_b32 v1, 2, v1
	v_and_or_b32 v9, 0x1c00, v9, v0
	s_delay_alu instid0(VALU_DEP_2) | instskip(NEXT) | instid1(VALU_DEP_1)
	v_dual_lshrrev_b32 v1, 24, v2 :: v_dual_bitop2_b32 v10, 62, v1 bitop3:0x40
	v_lshl_add_u32 v10, v9, 2, v10
	s_delay_alu instid0(VALU_DEP_2) | instskip(NEXT) | instid1(VALU_DEP_1)
	v_lshrrev_b32_e32 v9, s16, v1
	v_bitop3_b32 v9, v9, s12, v9 bitop3:0x30
	s_wait_dscnt 0x0
	v_add_nc_u16 v12, v15, 1
	ds_store_b16 v7, v12
	ds_load_u16 v16, v10
	v_dual_lshlrev_b32 v12, 10, v9 :: v_dual_lshrrev_b32 v9, 2, v9
	s_delay_alu instid0(VALU_DEP_1) | instskip(NEXT) | instid1(VALU_DEP_2)
	v_and_or_b32 v12, 0x1c00, v12, v0
	v_and_b32_e32 v9, 62, v9
	s_delay_alu instid0(VALU_DEP_1) | instskip(SKIP_1) | instid1(VALU_DEP_1)
	v_lshl_add_u32 v12, v12, 2, v9
	v_lshrrev_b32_e32 v9, s16, v13
	v_bitop3_b32 v9, v9, s12, v9 bitop3:0x30
	s_wait_dscnt 0x0
	v_add_nc_u16 v17, v16, 1
	s_delay_alu instid0(VALU_DEP_2) | instskip(SKIP_4) | instid1(VALU_DEP_1)
	v_dual_lshlrev_b32 v13, 10, v9 :: v_dual_lshrrev_b32 v9, 2, v9
	ds_store_b16 v10, v17
	ds_load_u16 v17, v12
	v_and_or_b32 v13, 0x1c00, v13, v0
	v_and_b32_e32 v9, 62, v9
	v_lshl_add_u32 v13, v13, 2, v9
	v_lshrrev_b32_e32 v9, s16, v18
	s_delay_alu instid0(VALU_DEP_1) | instskip(NEXT) | instid1(VALU_DEP_1)
	v_bitop3_b32 v9, v9, s12, v9 bitop3:0x30
	v_dual_lshlrev_b32 v18, 10, v9 :: v_dual_lshrrev_b32 v9, 2, v9
	s_wait_dscnt 0x0
	v_add_nc_u16 v19, v17, 1
	s_delay_alu instid0(VALU_DEP_2) | instskip(NEXT) | instid1(VALU_DEP_3)
	v_and_or_b32 v18, 0x1c00, v18, v0
	v_and_b32_e32 v9, 62, v9
	ds_store_b16 v12, v19
	ds_load_u16 v19, v13
	v_lshl_add_u32 v26, v18, 2, v9
	v_lshrrev_b32_e32 v9, s16, v20
	s_delay_alu instid0(VALU_DEP_1) | instskip(NEXT) | instid1(VALU_DEP_1)
	v_bitop3_b32 v9, v9, s12, v9 bitop3:0x30
	v_dual_lshlrev_b32 v18, 10, v9 :: v_dual_lshrrev_b32 v9, 2, v9
	s_delay_alu instid0(VALU_DEP_1)
	v_and_b32_e32 v9, 62, v9
	s_wait_dscnt 0x0
	v_add_nc_u16 v21, v19, 1
	ds_store_b16 v13, v21
	ds_load_u16 v20, v26
	v_and_or_b32 v21, 0x1c00, v18, v0
	v_lshrrev_b32_e32 v18, 24, v3
	s_delay_alu instid0(VALU_DEP_2) | instskip(NEXT) | instid1(VALU_DEP_2)
	v_lshl_add_u32 v28, v21, 2, v9
	v_lshrrev_b32_e32 v9, s16, v18
	s_delay_alu instid0(VALU_DEP_1)
	v_bitop3_b32 v9, v9, s12, v9 bitop3:0x30
	s_wait_dscnt 0x0
	v_add_nc_u16 v22, v20, 1
	ds_store_b16 v26, v22
	ds_load_u16 v21, v28
	v_dual_lshlrev_b32 v22, 10, v9 :: v_dual_lshrrev_b32 v9, 2, v9
	s_delay_alu instid0(VALU_DEP_1) | instskip(NEXT) | instid1(VALU_DEP_2)
	v_and_or_b32 v22, 0x1c00, v22, v0
	v_and_b32_e32 v9, 62, v9
	s_delay_alu instid0(VALU_DEP_1) | instskip(SKIP_1) | instid1(VALU_DEP_1)
	v_lshl_add_u32 v31, v22, 2, v9
	v_lshrrev_b32_e32 v9, s16, v23
	v_bitop3_b32 v9, v9, s12, v9 bitop3:0x30
	s_wait_dscnt 0x0
	v_add_nc_u16 v24, v21, 1
	s_delay_alu instid0(VALU_DEP_2)
	v_dual_lshlrev_b32 v23, 10, v9 :: v_dual_lshrrev_b32 v9, 2, v9
	ds_store_b16 v28, v24
	ds_load_u16 v22, v31
	v_bfe_u32 v24, v4, 8, 8
	v_and_or_b32 v23, 0x1c00, v23, v0
	v_and_b32_e32 v9, 62, v9
	s_delay_alu instid0(VALU_DEP_1) | instskip(NEXT) | instid1(VALU_DEP_4)
	v_lshl_add_u32 v33, v23, 2, v9
	v_lshrrev_b32_e32 v9, s16, v24
	s_delay_alu instid0(VALU_DEP_1) | instskip(NEXT) | instid1(VALU_DEP_1)
	v_bitop3_b32 v9, v9, s12, v9 bitop3:0x30
	v_dual_lshlrev_b32 v23, 10, v9 :: v_dual_lshrrev_b32 v9, 2, v9
	s_wait_dscnt 0x0
	v_add_nc_u16 v25, v22, 1
	s_delay_alu instid0(VALU_DEP_2) | instskip(NEXT) | instid1(VALU_DEP_3)
	v_and_or_b32 v23, 0x1c00, v23, v0
	v_and_b32_e32 v9, 62, v9
	ds_store_b16 v31, v25
	ds_load_u16 v24, v33
	v_bfe_u32 v25, v4, 16, 8
	v_lshl_add_u32 v35, v23, 2, v9
	s_delay_alu instid0(VALU_DEP_2) | instskip(NEXT) | instid1(VALU_DEP_1)
	v_lshrrev_b32_e32 v9, s16, v25
	v_bitop3_b32 v9, v9, s12, v9 bitop3:0x30
	s_delay_alu instid0(VALU_DEP_1) | instskip(SKIP_2) | instid1(VALU_DEP_2)
	v_dual_lshlrev_b32 v23, 10, v9 :: v_dual_lshrrev_b32 v9, 2, v9
	s_wait_dscnt 0x0
	v_add_nc_u16 v27, v24, 1
	v_and_b32_e32 v9, 62, v9
	ds_store_b16 v33, v27
	ds_load_u16 v25, v35
	v_and_or_b32 v27, 0x1c00, v23, v0
	v_lshrrev_b32_e32 v23, 24, v4
	s_delay_alu instid0(VALU_DEP_2) | instskip(NEXT) | instid1(VALU_DEP_2)
	v_lshl_add_u32 v37, v27, 2, v9
	v_lshrrev_b32_e32 v9, s16, v23
	s_delay_alu instid0(VALU_DEP_1)
	v_bitop3_b32 v9, v9, s12, v9 bitop3:0x30
	s_wait_dscnt 0x0
	v_add_nc_u16 v29, v25, 1
	ds_store_b16 v35, v29
	ds_load_u16 v27, v37
	v_dual_lshlrev_b32 v29, 10, v9 :: v_dual_lshrrev_b32 v9, 2, v9
	s_delay_alu instid0(VALU_DEP_1) | instskip(NEXT) | instid1(VALU_DEP_2)
	v_and_or_b32 v29, 0x1c00, v29, v0
	v_and_b32_e32 v9, 62, v9
	s_delay_alu instid0(VALU_DEP_1) | instskip(SKIP_1) | instid1(VALU_DEP_1)
	v_lshl_add_u32 v39, v29, 2, v9
	v_lshrrev_b32_e32 v9, s16, v30
	v_bitop3_b32 v9, v9, s12, v9 bitop3:0x30
	s_wait_dscnt 0x0
	v_add_nc_u16 v32, v27, 1
	s_delay_alu instid0(VALU_DEP_2)
	v_dual_lshlrev_b32 v29, 10, v9 :: v_dual_lshrrev_b32 v9, 2, v9
	ds_store_b16 v37, v32
	ds_load_u16 v30, v39
	v_bfe_u32 v32, v5, 8, 8
	v_and_or_b32 v29, 0x1c00, v29, v0
	v_and_b32_e32 v9, 62, v9
	s_delay_alu instid0(VALU_DEP_1) | instskip(NEXT) | instid1(VALU_DEP_4)
	v_lshl_add_u32 v41, v29, 2, v9
	v_lshrrev_b32_e32 v9, s16, v32
	s_delay_alu instid0(VALU_DEP_1) | instskip(NEXT) | instid1(VALU_DEP_1)
	v_bitop3_b32 v9, v9, s12, v9 bitop3:0x30
	v_dual_lshlrev_b32 v29, 10, v9 :: v_dual_lshrrev_b32 v9, 2, v9
	s_wait_dscnt 0x0
	v_add_nc_u16 v34, v30, 1
	s_delay_alu instid0(VALU_DEP_2) | instskip(NEXT) | instid1(VALU_DEP_3)
	v_and_or_b32 v29, 0x1c00, v29, v0
	v_and_b32_e32 v9, 62, v9
	ds_store_b16 v39, v34
	ds_load_u16 v32, v41
	v_bfe_u32 v34, v5, 16, 8
	v_lshl_add_u32 v44, v29, 2, v9
	s_delay_alu instid0(VALU_DEP_2) | instskip(NEXT) | instid1(VALU_DEP_1)
	v_lshrrev_b32_e32 v9, s16, v34
	v_bitop3_b32 v9, v9, s12, v9 bitop3:0x30
	s_delay_alu instid0(VALU_DEP_1) | instskip(SKIP_2) | instid1(VALU_DEP_2)
	v_dual_lshlrev_b32 v29, 10, v9 :: v_dual_lshrrev_b32 v9, 2, v9
	s_wait_dscnt 0x0
	v_add_nc_u16 v36, v32, 1
	v_and_b32_e32 v9, 62, v9
	ds_store_b16 v41, v36
	ds_load_u16 v34, v44
	v_and_or_b32 v36, 0x1c00, v29, v0
	v_lshrrev_b32_e32 v29, 24, v5
	s_delay_alu instid0(VALU_DEP_2) | instskip(NEXT) | instid1(VALU_DEP_2)
	v_lshl_add_u32 v45, v36, 2, v9
	v_lshrrev_b32_e32 v9, s16, v29
	s_delay_alu instid0(VALU_DEP_1)
	v_bitop3_b32 v9, v9, s12, v9 bitop3:0x30
	s_wait_dscnt 0x0
	v_add_nc_u16 v38, v34, 1
	ds_store_b16 v44, v38
	ds_load_u16 v36, v45
	v_dual_lshlrev_b32 v38, 10, v9 :: v_dual_lshrrev_b32 v9, 2, v9
	s_delay_alu instid0(VALU_DEP_1) | instskip(NEXT) | instid1(VALU_DEP_2)
	v_and_or_b32 v38, 0x1c00, v38, v0
	v_and_b32_e32 v9, 62, v9
	s_delay_alu instid0(VALU_DEP_1) | instskip(SKIP_1) | instid1(VALU_DEP_1)
	v_lshl_add_u32 v47, v38, 2, v9
	v_lshrrev_b32_e32 v9, s16, v40
	v_bitop3_b32 v9, v9, s12, v9 bitop3:0x30
	s_wait_dscnt 0x0
	v_add_nc_u16 v42, v36, 1
	s_delay_alu instid0(VALU_DEP_2)
	v_dual_lshlrev_b32 v40, 10, v9 :: v_dual_lshrrev_b32 v9, 2, v9
	ds_store_b16 v45, v42
	ds_load_u16 v38, v47
	v_bfe_u32 v42, v8, 8, 8
	v_and_or_b32 v40, 0x1c00, v40, v0
	v_and_b32_e32 v9, 62, v9
	s_delay_alu instid0(VALU_DEP_1) | instskip(NEXT) | instid1(VALU_DEP_4)
	v_lshl_add_u32 v50, v40, 2, v9
	v_lshrrev_b32_e32 v9, s16, v42
	s_delay_alu instid0(VALU_DEP_1) | instskip(NEXT) | instid1(VALU_DEP_1)
	v_bitop3_b32 v9, v9, s12, v9 bitop3:0x30
	v_dual_lshlrev_b32 v42, 10, v9 :: v_dual_lshrrev_b32 v9, 2, v9
	s_wait_dscnt 0x0
	v_add_nc_u16 v43, v38, 1
	s_delay_alu instid0(VALU_DEP_2) | instskip(NEXT) | instid1(VALU_DEP_3)
	v_and_or_b32 v42, 0x1c00, v42, v0
	v_and_b32_e32 v9, 62, v9
	ds_store_b16 v47, v43
	ds_load_u16 v40, v50
	v_bfe_u32 v43, v8, 16, 8
	v_lshl_add_u32 v52, v42, 2, v9
	s_delay_alu instid0(VALU_DEP_2) | instskip(NEXT) | instid1(VALU_DEP_1)
	v_lshrrev_b32_e32 v9, s16, v43
	v_bitop3_b32 v42, v9, s12, v9 bitop3:0x30
	s_wait_loadcnt 0x0
	v_and_b32_e32 v9, 0xffff, v11
	s_delay_alu instid0(VALU_DEP_1) | instskip(SKIP_2) | instid1(VALU_DEP_2)
	v_alignbit_b32 v48, v9, v8, 24
	s_wait_dscnt 0x0
	v_add_nc_u16 v46, v40, 1
	v_and_b32_e32 v48, 0xff, v48
	ds_store_b16 v50, v46
	ds_load_u16 v43, v52
	v_dual_lshlrev_b32 v46, 10, v42 :: v_dual_lshrrev_b32 v42, 2, v42
	s_delay_alu instid0(VALU_DEP_1) | instskip(NEXT) | instid1(VALU_DEP_2)
	v_and_or_b32 v46, 0x1c00, v46, v0
	v_and_b32_e32 v42, 62, v42
	s_delay_alu instid0(VALU_DEP_1) | instskip(SKIP_1) | instid1(VALU_DEP_1)
	v_lshl_add_u32 v53, v46, 2, v42
	v_lshrrev_b32_e32 v42, s16, v48
	v_bitop3_b32 v42, v42, s12, v42 bitop3:0x30
	s_wait_dscnt 0x0
	v_add_nc_u16 v49, v43, 1
	s_delay_alu instid0(VALU_DEP_2)
	v_dual_lshlrev_b32 v48, 10, v42 :: v_dual_lshrrev_b32 v42, 2, v42
	ds_store_b16 v52, v49
	ds_load_u16 v46, v53
	v_and_b32_e32 v49, 0xff, v9
	v_and_or_b32 v48, 0x1c00, v48, v0
	v_and_b32_e32 v42, 62, v42
	s_delay_alu instid0(VALU_DEP_1) | instskip(NEXT) | instid1(VALU_DEP_4)
	v_lshl_add_u32 v54, v48, 2, v42
	v_lshrrev_b32_e32 v42, s16, v49
	s_delay_alu instid0(VALU_DEP_1) | instskip(NEXT) | instid1(VALU_DEP_1)
	v_bitop3_b32 v42, v42, s12, v42 bitop3:0x30
	v_lshlrev_b32_e32 v49, 10, v42
	s_wait_dscnt 0x0
	v_add_nc_u16 v51, v46, 1
	v_lshrrev_b32_e32 v42, 2, v42
	s_delay_alu instid0(VALU_DEP_3) | instskip(SKIP_3) | instid1(VALU_DEP_1)
	v_and_or_b32 v49, 0x1c00, v49, v0
	ds_store_b16 v53, v51
	ds_load_u16 v48, v54
	v_dual_lshrrev_b32 v42, 8, v9 :: v_dual_bitop2_b32 v51, 62, v42 bitop3:0x40
	v_lshl_add_u32 v55, v49, 2, v51
	s_delay_alu instid0(VALU_DEP_2) | instskip(NEXT) | instid1(VALU_DEP_1)
	v_lshrrev_b32_e32 v51, s16, v42
	v_bitop3_b32 v51, v51, s12, v51 bitop3:0x30
	s_wait_dscnt 0x0
	v_add_nc_u16 v56, v48, 1
	ds_store_b16 v54, v56
	ds_load_u16 v49, v55
	v_dual_lshlrev_b32 v56, 10, v51 :: v_dual_lshrrev_b32 v51, 2, v51
	s_delay_alu instid0(VALU_DEP_1) | instskip(NEXT) | instid1(VALU_DEP_2)
	v_and_or_b32 v56, 0x1c00, v56, v0
	v_and_b32_e32 v51, 62, v51
	s_delay_alu instid0(VALU_DEP_1)
	v_lshl_add_u32 v56, v56, 2, v51
	s_wait_dscnt 0x0
	v_add_nc_u16 v57, v49, 1
	ds_store_b16 v55, v57
	ds_load_u16 v51, v56
	v_lshlrev_b32_e32 v57, 5, v0
	s_wait_dscnt 0x0
	v_add_nc_u16 v58, v51, 1
	ds_store_b16 v56, v58
	s_wait_storecnt_dscnt 0x0
	s_barrier_signal -1
	s_barrier_wait -1
	ds_load_2addr_b64 v[58:61], v57 offset1:1
	ds_load_2addr_b64 v[62:65], v57 offset0:2 offset1:3
	s_wait_dscnt 0x1
	v_add_nc_u32_e32 v58, v59, v58
	s_delay_alu instid0(VALU_DEP_1) | instskip(SKIP_1) | instid1(VALU_DEP_1)
	v_add3_u32 v58, v58, v60, v61
	s_wait_dscnt 0x0
	v_add3_u32 v59, v58, v62, v63
	v_mbcnt_lo_u32_b32 v58, -1, 0
	v_and_b32_e32 v62, 31, v0
	s_delay_alu instid0(VALU_DEP_3) | instskip(NEXT) | instid1(VALU_DEP_3)
	v_add3_u32 v59, v59, v64, v65
	v_and_b32_e32 v60, 15, v58
	v_and_b32_e32 v63, 16, v58
	s_delay_alu instid0(VALU_DEP_3) | instskip(NEXT) | instid1(VALU_DEP_3)
	v_mov_b32_dpp v61, v59 row_shr:1 row_mask:0xf bank_mask:0xf
	v_cmp_eq_u32_e32 vcc_lo, 0, v60
	v_cmp_lt_u32_e64 s2, 1, v60
	v_cmp_lt_u32_e64 s3, 3, v60
	;; [unrolled: 1-line block ×3, first 2 shown]
	v_cmp_eq_u32_e64 s5, 0, v63
	v_cndmask_b32_e64 v61, v61, 0, vcc_lo
	s_delay_alu instid0(VALU_DEP_1) | instskip(NEXT) | instid1(VALU_DEP_1)
	v_add_nc_u32_e32 v59, v61, v59
	v_mov_b32_dpp v61, v59 row_shr:2 row_mask:0xf bank_mask:0xf
	s_delay_alu instid0(VALU_DEP_1) | instskip(NEXT) | instid1(VALU_DEP_1)
	v_cndmask_b32_e64 v61, 0, v61, s2
	v_add_nc_u32_e32 v59, v59, v61
	s_delay_alu instid0(VALU_DEP_1) | instskip(NEXT) | instid1(VALU_DEP_1)
	v_mov_b32_dpp v61, v59 row_shr:4 row_mask:0xf bank_mask:0xf
	v_cndmask_b32_e64 v61, 0, v61, s3
	s_delay_alu instid0(VALU_DEP_1) | instskip(NEXT) | instid1(VALU_DEP_1)
	v_add_nc_u32_e32 v59, v59, v61
	v_mov_b32_dpp v61, v59 row_shr:8 row_mask:0xf bank_mask:0xf
	s_delay_alu instid0(VALU_DEP_1) | instskip(SKIP_1) | instid1(VALU_DEP_2)
	v_cndmask_b32_e64 v60, 0, v61, s4
	v_bfe_i32 v61, v58, 4, 1
	v_add_nc_u32_e32 v59, v59, v60
	ds_swizzle_b32 v60, v59 offset:swizzle(BROADCAST,32,15)
	s_wait_dscnt 0x0
	v_and_b32_e32 v60, v61, v60
	v_lshrrev_b32_e32 v61, 5, v0
	s_delay_alu instid0(VALU_DEP_1)
	v_dual_add_nc_u32 v59, v59, v60 :: v_dual_lshlrev_b32 v60, 2, v61
	v_cmpx_eq_u32_e32 31, v62
; %bb.114:
	ds_store_b32 v60, v59 offset:32768
; %bb.115:
	s_or_b32 exec_lo, exec_lo, s7
	v_cmp_lt_u32_e64 s6, 31, v0
	s_mov_b32 s13, exec_lo
	s_wait_dscnt 0x0
	s_barrier_signal -1
	s_barrier_wait -1
	v_cmpx_gt_u32_e32 32, v0
	s_cbranch_execz .LBB246_117
; %bb.116:
	v_mad_i32_i24 v61, 0xffffffe4, v0, v57
	ds_load_b32 v62, v61 offset:32768
	s_wait_dscnt 0x0
	v_mov_b32_dpp v63, v62 row_shr:1 row_mask:0xf bank_mask:0xf
	s_delay_alu instid0(VALU_DEP_1) | instskip(NEXT) | instid1(VALU_DEP_1)
	v_cndmask_b32_e64 v63, v63, 0, vcc_lo
	v_add_nc_u32_e32 v62, v63, v62
	s_delay_alu instid0(VALU_DEP_1) | instskip(NEXT) | instid1(VALU_DEP_1)
	v_mov_b32_dpp v63, v62 row_shr:2 row_mask:0xf bank_mask:0xf
	v_cndmask_b32_e64 v63, 0, v63, s2
	s_delay_alu instid0(VALU_DEP_1) | instskip(NEXT) | instid1(VALU_DEP_1)
	v_add_nc_u32_e32 v62, v62, v63
	v_mov_b32_dpp v63, v62 row_shr:4 row_mask:0xf bank_mask:0xf
	s_delay_alu instid0(VALU_DEP_1) | instskip(NEXT) | instid1(VALU_DEP_1)
	v_cndmask_b32_e64 v63, 0, v63, s3
	v_add_nc_u32_e32 v62, v62, v63
	s_delay_alu instid0(VALU_DEP_1) | instskip(NEXT) | instid1(VALU_DEP_1)
	v_mov_b32_dpp v63, v62 row_shr:8 row_mask:0xf bank_mask:0xf
	v_cndmask_b32_e64 v63, 0, v63, s4
	s_delay_alu instid0(VALU_DEP_1) | instskip(SKIP_3) | instid1(VALU_DEP_1)
	v_add_nc_u32_e32 v62, v62, v63
	ds_swizzle_b32 v63, v62 offset:swizzle(BROADCAST,32,15)
	s_wait_dscnt 0x0
	v_cndmask_b32_e64 v63, v63, 0, s5
	v_add_nc_u32_e32 v62, v62, v63
	ds_store_b32 v61, v62 offset:32768
.LBB246_117:
	s_or_b32 exec_lo, exec_lo, s13
	v_dual_mov_b32 v62, 0 :: v_dual_mov_b32 v61, 0
	s_wait_dscnt 0x0
	s_barrier_signal -1
	s_barrier_wait -1
	s_and_saveexec_b32 s2, s6
; %bb.118:
	ds_load_b32 v61, v60 offset:32764
; %bb.119:
	s_or_b32 exec_lo, exec_lo, s2
	v_sub_co_u32 v60, vcc_lo, v58, 1
	s_wait_dscnt 0x0
	v_add_nc_u32_e32 v59, v61, v59
	s_delay_alu instid0(VALU_DEP_2) | instskip(NEXT) | instid1(VALU_DEP_1)
	v_cmp_gt_i32_e64 s2, 0, v60
	v_cndmask_b32_e64 v58, v60, v58, s2
	v_cmp_gt_u32_e64 s2, 16, v0
	s_delay_alu instid0(VALU_DEP_2)
	v_lshlrev_b32_e32 v58, 2, v58
	ds_bpermute_b32 v58, v58, v59
	ds_load_b32 v59, v62 offset:32892
	ds_load_2addr_b64 v[62:65], v57 offset1:1
	ds_load_b32 v66, v57 offset:24
	s_wait_dscnt 0x3
	v_cndmask_b32_e32 v58, v58, v61, vcc_lo
	ds_load_b64 v[60:61], v57 offset:16
	v_cmp_lt_u32_e32 vcc_lo, 15, v0
	s_wait_dscnt 0x3
	v_lshl_add_u32 v58, v59, 16, v58
	s_wait_dscnt 0x2
	s_delay_alu instid0(VALU_DEP_1) | instskip(NEXT) | instid1(VALU_DEP_1)
	v_add_nc_u32_e32 v59, v58, v62
	v_add_nc_u32_e32 v62, v63, v59
	s_delay_alu instid0(VALU_DEP_1) | instskip(NEXT) | instid1(VALU_DEP_1)
	v_add_nc_u32_e32 v63, v64, v62
	v_add_nc_u32_e32 v64, v65, v63
	s_wait_dscnt 0x0
	s_delay_alu instid0(VALU_DEP_1) | instskip(NEXT) | instid1(VALU_DEP_1)
	v_add_nc_u32_e32 v65, v60, v64
	v_add_nc_u32_e32 v60, v61, v65
	s_delay_alu instid0(VALU_DEP_1)
	v_add_nc_u32_e32 v61, v66, v60
	ds_store_2addr_b64 v57, v[58:59], v[62:63] offset1:1
	ds_store_2addr_b64 v57, v[64:65], v[60:61] offset0:2 offset1:3
	s_wait_dscnt 0x0
	s_barrier_signal -1
	s_barrier_wait -1
	ds_load_u16 v57, v6
	ds_load_u16 v58, v7
	;; [unrolled: 1-line block ×22, first 2 shown]
	v_lshrrev_b64 v[12:13], 24, v[8:9]
	v_mov_b64_e32 v[6:7], 0
                                        ; implicit-def: $vgpr10
	s_and_saveexec_b32 s4, s2
	s_cbranch_execz .LBB246_123
; %bb.120:
	v_dual_lshlrev_b32 v6, 12, v0 :: v_dual_lshrrev_b32 v7, 2, v0
	v_add_nc_u32_e32 v9, 1, v0
	s_mov_b32 s5, exec_lo
	s_delay_alu instid0(VALU_DEP_2)
	v_bitop3_b32 v6, v6, 0x70fe, v7 bitop3:0xc8
	v_mov_b32_e32 v7, 0x5800
	ds_load_u16 v6, v6
	v_cmpx_ne_u32_e32 16, v9
; %bb.121:
	v_dual_lshlrev_b32 v7, 12, v9 :: v_dual_lshrrev_b32 v9, 2, v9
	s_delay_alu instid0(VALU_DEP_1)
	v_bitop3_b32 v7, v7, 0x71fe, v9 bitop3:0xc8
	ds_load_u16 v7, v7
; %bb.122:
	s_or_b32 exec_lo, exec_lo, s5
	s_wait_dscnt 0x0
	v_and_b32_e32 v6, 0xffff, v6
	s_mov_b32 s3, 0
	s_delay_alu instid0(VALU_DEP_1) | instid1(SALU_CYCLE_1)
	v_dual_mov_b32 v7, s3 :: v_dual_sub_nc_u32 v10, v7, v6
.LBB246_123:
	s_or_b32 exec_lo, exec_lo, s4
	s_wait_dscnt 0x15
	v_and_b32_e32 v57, 0xffff, v57
	v_and_b32_e32 v14, 0xffff, v14
	s_wait_dscnt 0x14
	v_and_b32_e32 v58, 0xffff, v58
	v_and_b32_e32 v15, 0xffff, v15
	;; [unrolled: 3-line block ×4, first 2 shown]
	v_dual_add_nc_u32 v14, v57, v14 :: v_dual_add_nc_u32 v15, v58, v15
	v_dual_lshrrev_b32 v68, 8, v2 :: v_dual_lshrrev_b32 v69, 16, v2
	s_wait_dscnt 0x11
	v_and_b32_e32 v61, 0xffff, v61
	v_and_b32_e32 v19, 0xffff, v19
	s_wait_dscnt 0x10
	v_and_b32_e32 v62, 0xffff, v62
	v_and_b32_e32 v20, 0xffff, v20
	v_add_nc_u32_e32 v16, v59, v16
	s_wait_dscnt 0xf
	v_and_b32_e32 v63, 0xffff, v63
	v_and_b32_e32 v21, 0xffff, v21
	s_wait_dscnt 0xe
	v_and_b32_e32 v64, 0xffff, v64
	v_and_b32_e32 v22, 0xffff, v22
	;; [unrolled: 3-line block ×3, first 2 shown]
	s_wait_dscnt 0x0
	s_barrier_signal -1
	s_barrier_wait -1
	ds_store_b8 v14, v2 offset:128
	ds_store_b8 v15, v68 offset:128
	;; [unrolled: 1-line block ×3, first 2 shown]
	v_add_nc_u32_e32 v2, v60, v17
	v_and_b32_e32 v35, 0xffff, v35
	v_and_b32_e32 v25, 0xffff, v25
	v_dual_add_nc_u32 v14, v61, v19 :: v_dual_add_nc_u32 v15, v62, v20
	v_dual_lshrrev_b32 v66, 8, v3 :: v_dual_lshrrev_b32 v67, 16, v3
	v_and_b32_e32 v37, 0xffff, v37
	v_and_b32_e32 v27, 0xffff, v27
	;; [unrolled: 1-line block ×4, first 2 shown]
	v_dual_add_nc_u32 v16, v63, v21 :: v_dual_add_nc_u32 v17, v64, v22
	v_and_b32_e32 v41, 0xffff, v41
	v_and_b32_e32 v32, 0xffff, v32
	;; [unrolled: 1-line block ×4, first 2 shown]
	ds_store_b8 v2, v1 offset:128
	ds_store_b8 v14, v3 offset:128
	;; [unrolled: 1-line block ×5, first 2 shown]
	v_dual_add_nc_u32 v1, v65, v24 :: v_dual_add_nc_u32 v2, v35, v25
	v_dual_lshrrev_b32 v31, 8, v4 :: v_dual_lshrrev_b32 v33, 16, v4
	v_and_b32_e32 v45, 0xffff, v45
	v_and_b32_e32 v36, 0xffff, v36
	;; [unrolled: 1-line block ×4, first 2 shown]
	v_dual_add_nc_u32 v3, v37, v27 :: v_dual_add_nc_u32 v14, v39, v30
	v_and_b32_e32 v50, 0xffff, v50
	v_and_b32_e32 v40, 0xffff, v40
	;; [unrolled: 1-line block ×4, first 2 shown]
	v_dual_add_nc_u32 v15, v41, v32 :: v_dual_lshrrev_b32 v26, 8, v5
	v_lshrrev_b32_e32 v28, 16, v5
	ds_store_b8 v1, v4 offset:128
	ds_store_b8 v2, v31 offset:128
	;; [unrolled: 1-line block ×5, first 2 shown]
	v_dual_add_nc_u32 v1, v44, v34 :: v_dual_add_nc_u32 v2, v45, v36
	v_dual_add_nc_u32 v3, v47, v38 :: v_dual_add_nc_u32 v4, v50, v40
	v_dual_add_nc_u32 v5, v52, v43 :: v_dual_lshrrev_b32 v13, 8, v8
	v_lshrrev_b32_e32 v9, 16, v8
	v_and_b32_e32 v53, 0xffff, v53
	v_and_b32_e32 v56, 0xffff, v56
	;; [unrolled: 1-line block ×4, first 2 shown]
	ds_store_b8 v1, v26 offset:128
	ds_store_b8 v2, v28 offset:128
	;; [unrolled: 1-line block ×5, first 2 shown]
	v_mov_b32_e32 v3, 0
	v_and_b32_e32 v54, 0xffff, v54
	v_and_b32_e32 v48, 0xffff, v48
	;; [unrolled: 1-line block ×4, first 2 shown]
	v_dual_add_nc_u32 v2, v53, v46 :: v_dual_add_nc_u32 v8, v56, v51
	v_dual_mov_b32 v1, v3 :: v_dual_lshlrev_b32 v14, 3, v0
	s_delay_alu instid0(VALU_DEP_3)
	v_dual_add_nc_u32 v4, v54, v48 :: v_dual_add_nc_u32 v5, v55, v49
	s_not_b32 s3, s12
	ds_store_b8 v2, v9 offset:128
	ds_store_b8 v4, v12 offset:128
	;; [unrolled: 1-line block ×4, first 2 shown]
	s_and_saveexec_b32 s4, s2
	s_cbranch_execz .LBB246_133
; %bb.124:
	v_lshl_add_u32 v2, s19, 4, v0
	v_dual_mov_b32 v8, 0 :: v_dual_bitop2_b32 v9, 2.0, v10 bitop3:0x54
	s_mov_b32 s5, 0
	s_mov_b32 s6, s19
	s_delay_alu instid0(VALU_DEP_2)
	v_lshl_add_u64 v[4:5], v[2:3], 2, s[20:21]
	global_store_b32 v2, v9, s[20:21] scale_offset scope:SCOPE_DEV
                                        ; implicit-def: $sgpr2
	s_branch .LBB246_127
.LBB246_125:                            ;   in Loop: Header=BB246_127 Depth=1
	s_or_b32 exec_lo, exec_lo, s12
.LBB246_126:                            ;   in Loop: Header=BB246_127 Depth=1
	s_delay_alu instid0(SALU_CYCLE_1) | instskip(SKIP_2) | instid1(VALU_DEP_2)
	s_or_b32 exec_lo, exec_lo, s7
	v_and_b32_e32 v2, 0x3fffffff, v9
	v_cmp_gt_i32_e64 s2, -2.0, v9
	v_add_nc_u32_e32 v8, v2, v8
	s_and_b32 s7, exec_lo, s2
	s_delay_alu instid0(SALU_CYCLE_1) | instskip(NEXT) | instid1(SALU_CYCLE_1)
	s_or_b32 s5, s7, s5
	s_and_not1_b32 exec_lo, exec_lo, s5
	s_cbranch_execz .LBB246_132
.LBB246_127:                            ; =>This Loop Header: Depth=1
                                        ;     Child Loop BB246_130 Depth 2
	s_or_b32 s2, s2, exec_lo
	s_cmp_eq_u32 s6, 0
	s_cbranch_scc1 .LBB246_131
; %bb.128:                              ;   in Loop: Header=BB246_127 Depth=1
	s_add_co_i32 s6, s6, -1
	s_mov_b32 s7, exec_lo
	s_wait_xcnt 0x0
	v_lshl_or_b32 v2, s6, 4, v0
	global_load_b32 v9, v2, s[20:21] scale_offset scope:SCOPE_DEV
	s_wait_loadcnt 0x0
	v_cmpx_gt_u32_e32 2.0, v9
	s_cbranch_execz .LBB246_126
; %bb.129:                              ;   in Loop: Header=BB246_127 Depth=1
	v_lshl_add_u64 v[12:13], v[2:3], 2, s[20:21]
	s_mov_b32 s12, 0
.LBB246_130:                            ;   Parent Loop BB246_127 Depth=1
                                        ; =>  This Inner Loop Header: Depth=2
	global_load_b32 v9, v[12:13], off scope:SCOPE_DEV
	s_wait_loadcnt 0x0
	v_cmp_lt_u32_e64 s2, 0x3fffffff, v9
	s_or_b32 s12, s2, s12
	s_wait_xcnt 0x0
	s_and_not1_b32 exec_lo, exec_lo, s12
	s_cbranch_execnz .LBB246_130
	s_branch .LBB246_125
.LBB246_131:                            ;   in Loop: Header=BB246_127 Depth=1
                                        ; implicit-def: $sgpr6
	s_and_b32 s7, exec_lo, s2
	s_delay_alu instid0(SALU_CYCLE_1)
	s_or_b32 s5, s7, s5
	s_wait_xcnt 0x0
	s_and_not1_b32 exec_lo, exec_lo, s5
	s_cbranch_execnz .LBB246_127
.LBB246_132:
	s_or_b32 exec_lo, exec_lo, s5
	v_dual_mov_b32 v9, 0 :: v_dual_add_nc_u32 v2, v8, v10
	s_delay_alu instid0(VALU_DEP_1) | instskip(SKIP_4) | instid1(VALU_DEP_1)
	v_or_b32_e32 v2, 0x80000000, v2
	global_store_b32 v[4:5], v2, off scope:SCOPE_DEV
	global_load_b64 v[2:3], v0, s[8:9] scale_offset
	v_sub_nc_u64_e32 v[4:5], v[8:9], v[6:7]
	s_wait_loadcnt 0x0
	v_add_nc_u64_e32 v[2:3], v[4:5], v[2:3]
	ds_store_b64 v14, v[2:3]
.LBB246_133:
	s_wait_xcnt 0x0
	s_or_b32 exec_lo, exec_lo, s4
	s_wait_storecnt_dscnt 0x0
	s_barrier_signal -1
	s_barrier_wait -1
	ds_load_u8 v11, v0 offset:21632
	ds_load_u8 v15, v0 offset:1152
	;; [unrolled: 1-line block ×12, first 2 shown]
	s_wait_dscnt 0xb
	v_and_b32_e32 v2, 0xff, v11
	s_wait_dscnt 0xa
	v_and_b32_e32 v3, 0xff, v15
	;; [unrolled: 2-line block ×5, first 2 shown]
	v_dual_lshrrev_b32 v2, s16, v2 :: v_dual_lshrrev_b32 v17, s16, v3
	s_wait_dscnt 0x4
	v_and_b32_e32 v13, 0xff, v33
	s_wait_dscnt 0x3
	v_and_b32_e32 v16, 0xff, v36
	v_and_b32_e32 v12, 0xff, v32
	s_wait_dscnt 0x2
	v_and_b32_e32 v18, 0xff, v34
	v_dual_lshrrev_b32 v4, s16, v4 :: v_dual_bitop2_b32 v2, s3, v2 bitop3:0x40
	v_dual_lshrrev_b32 v21, s16, v13 :: v_dual_lshrrev_b32 v13, s16, v16
	v_and_b32_e32 v9, 0xff, v31
	s_delay_alu instid0(VALU_DEP_4) | instskip(NEXT) | instid1(VALU_DEP_4)
	v_dual_lshrrev_b32 v20, s16, v12 :: v_dual_lshrrev_b32 v12, s16, v18
	v_dual_lshlrev_b32 v2, 3, v2 :: v_dual_lshrrev_b32 v5, s16, v5
	s_delay_alu instid0(VALU_DEP_4) | instskip(NEXT) | instid1(VALU_DEP_3)
	v_dual_lshrrev_b32 v8, s16, v8 :: v_dual_bitop2_b32 v23, s3, v13 bitop3:0x40
	v_dual_lshrrev_b32 v9, s16, v9 :: v_dual_bitop2_b32 v12, s3, v12 bitop3:0x40
	ds_load_b64 v[2:3], v2
	v_dual_lshlrev_b32 v23, 3, v23 :: v_dual_bitop2_b32 v16, s3, v17 bitop3:0x40
	v_and_b32_e32 v5, s3, v5
	v_dual_lshlrev_b32 v9, 3, v12 :: v_dual_bitop2_b32 v22, s3, v9 bitop3:0x40
	s_delay_alu instid0(VALU_DEP_3) | instskip(NEXT) | instid1(VALU_DEP_3)
	v_dual_lshlrev_b32 v12, 3, v16 :: v_dual_bitop2_b32 v25, s3, v21 bitop3:0x40
	v_dual_lshlrev_b32 v16, 3, v5 :: v_dual_bitop2_b32 v4, s3, v4 bitop3:0x40
	s_delay_alu instid0(VALU_DEP_2) | instskip(SKIP_2) | instid1(VALU_DEP_3)
	v_dual_lshlrev_b32 v26, 3, v25 :: v_dual_bitop2_b32 v24, s3, v20 bitop3:0x40
	s_wait_dscnt 0x2
	v_and_b32_e32 v35, 0xff, v37
	v_lshlrev_b32_e32 v13, 3, v4
	v_dual_lshlrev_b32 v22, 3, v22 :: v_dual_bitop2_b32 v8, s3, v8 bitop3:0x40
	v_lshlrev_b32_e32 v24, 3, v24
	s_wait_dscnt 0x1
	v_and_b32_e32 v43, 0xff, v38
	s_delay_alu instid0(VALU_DEP_3)
	v_lshlrev_b32_e32 v18, 3, v8
	ds_load_b64 v[4:5], v9
	ds_load_b64 v[8:9], v12
	ds_load_b64 v[12:13], v13
	ds_load_b64 v[16:17], v16
	ds_load_b64 v[18:19], v18
	ds_load_u8 v39, v0 offset:18560
	ds_load_u8 v40, v0 offset:19584
	ds_load_b64 v[20:21], v23
	ds_load_u8 v41, v0 offset:10368
	ds_load_u8 v42, v0 offset:11392
	ds_load_b64 v[22:23], v22
	ds_load_b64 v[24:25], v24
	;; [unrolled: 1-line block ×3, first 2 shown]
	s_wait_dscnt 0xd
	v_add_nc_u64_e32 v[2:3], s[14:15], v[2:3]
	s_delay_alu instid0(VALU_DEP_1)
	v_add_nc_u64_e32 v[2:3], v[2:3], v[0:1]
	s_wait_dscnt 0xc
	v_add_nc_u64_e32 v[4:5], s[14:15], v[4:5]
	s_wait_dscnt 0xb
	;; [unrolled: 2-line block ×6, first 2 shown]
	v_add_nc_u64_e32 v[20:21], s[14:15], v[20:21]
	v_add_nc_u64_e32 v[4:5], v[4:5], v[0:1]
	;; [unrolled: 1-line block ×6, first 2 shown]
	s_clause 0x4
	global_store_b8 v[4:5], v34, off
	global_store_b8 v[8:9], v15, off offset:1024
	global_store_b8 v[12:13], v28, off offset:2048
	;; [unrolled: 1-line block ×4, first 2 shown]
	s_wait_xcnt 0x3
	ds_load_u8 v15, v0 offset:12416
	ds_load_u8 v44, v0 offset:13440
	;; [unrolled: 1-line block ×6, first 2 shown]
	s_wait_dscnt 0xa
	v_and_b32_e32 v8, 0xff, v41
	v_lshrrev_b32_e32 v35, s16, v35
	s_wait_dscnt 0x9
	v_and_b32_e32 v9, 0xff, v42
	v_lshrrev_b32_e32 v43, s16, v43
	s_wait_dscnt 0x8
	v_add_nc_u64_e32 v[4:5], s[14:15], v[22:23]
	s_wait_xcnt 0x1
	v_lshrrev_b32_e32 v17, s16, v8
	v_and_b32_e32 v29, 0xff, v39
	s_wait_xcnt 0x0
	v_dual_lshrrev_b32 v18, s16, v9 :: v_dual_bitop2_b32 v16, s3, v43 bitop3:0x40
	v_and_b32_e32 v35, s3, v35
	v_and_b32_e32 v22, s3, v17
	s_wait_dscnt 0x7
	v_add_nc_u64_e32 v[8:9], s[14:15], v[24:25]
	v_add_nc_u64_e32 v[4:5], v[4:5], v[0:1]
	v_dual_lshlrev_b32 v19, 3, v16 :: v_dual_lshlrev_b32 v12, 3, v35
	s_wait_dscnt 0x6
	v_add_nc_u64_e32 v[16:17], s[14:15], v[26:27]
	s_wait_dscnt 0x4
	v_and_b32_e32 v27, 0xff, v44
	v_and_b32_e32 v23, s3, v18
	v_lshlrev_b32_e32 v22, 3, v22
	ds_load_b64 v[12:13], v12
	ds_load_b64 v[18:19], v19
	v_and_b32_e32 v26, 0xff, v15
	v_lshlrev_b32_e32 v24, 3, v23
	v_add_nc_u64_e32 v[8:9], v[8:9], v[0:1]
	s_wait_dscnt 0x5
	v_and_b32_e32 v28, 0xff, v45
	v_add_nc_u64_e32 v[16:17], v[16:17], v[0:1]
	v_lshrrev_b32_e32 v26, s16, v26
	ds_load_b64 v[22:23], v22
	ds_load_b64 v[24:25], v24
	s_clause 0x1
	global_store_b8 v[4:5], v31, off offset:5120
	global_store_b8 v[8:9], v32, off offset:6144
	s_wait_xcnt 0x0
	v_dual_lshrrev_b32 v9, s16, v27 :: v_dual_bitop2_b32 v8, s3, v26 bitop3:0x40
	v_lshrrev_b32_e32 v26, s16, v28
	global_store_b8 v[16:17], v33, off offset:7168
	v_and_b32_e32 v30, 0xff, v40
	s_wait_xcnt 0x0
	v_and_b32_e32 v16, s3, v9
	v_dual_lshrrev_b32 v29, s16, v29 :: v_dual_bitop2_b32 v17, s3, v26 bitop3:0x40
	s_wait_dscnt 0x6
	v_and_b32_e32 v26, 0xff, v46
	s_wait_dscnt 0x3
	v_add_nc_u64_e32 v[4:5], s[14:15], v[12:13]
	v_lshlrev_b32_e32 v12, 3, v8
	v_dual_lshlrev_b32 v27, 3, v16 :: v_dual_lshlrev_b32 v28, 3, v17
	v_lshrrev_b32_e32 v26, s16, v26
	s_wait_dscnt 0x2
	v_add_nc_u64_e32 v[8:9], s[14:15], v[18:19]
	ds_load_b64 v[12:13], v12
	s_wait_dscnt 0x2
	v_add_nc_u64_e32 v[16:17], s[14:15], v[22:23]
	s_wait_dscnt 0x1
	v_add_nc_u64_e32 v[18:19], s[14:15], v[24:25]
	ds_load_b64 v[22:23], v27
	ds_load_b64 v[24:25], v28
	v_and_b32_e32 v27, 0xff, v47
	v_and_b32_e32 v26, s3, v26
	;; [unrolled: 1-line block ×3, first 2 shown]
	v_lshrrev_b32_e32 v30, s16, v30
	v_add_nc_u64_e32 v[4:5], v[4:5], v[0:1]
	s_delay_alu instid0(VALU_DEP_4) | instskip(NEXT) | instid1(VALU_DEP_3)
	v_dual_lshrrev_b32 v31, s16, v27 :: v_dual_lshlrev_b32 v26, 3, v26
	v_dual_lshrrev_b32 v28, s16, v28 :: v_dual_bitop2_b32 v30, s3, v30 bitop3:0x40
	v_and_b32_e32 v29, s3, v29
	v_add_nc_u64_e32 v[8:9], v[8:9], v[0:1]
	ds_load_b64 v[26:27], v26
	v_and_b32_e32 v28, s3, v28
	v_dual_lshlrev_b32 v34, 3, v30 :: v_dual_bitop2_b32 v31, s3, v31 bitop3:0x40
	v_lshlrev_b32_e32 v33, 3, v29
	s_wait_dscnt 0x3
	v_add_nc_u64_e32 v[12:13], s[14:15], v[12:13]
	s_delay_alu instid0(VALU_DEP_3)
	v_dual_lshlrev_b32 v32, 3, v28 :: v_dual_lshlrev_b32 v31, 3, v31
	ds_load_b64 v[28:29], v31
	ds_load_b64 v[30:31], v32
	;; [unrolled: 1-line block ×4, first 2 shown]
	s_wait_dscnt 0x6
	v_add_nc_u64_e32 v[22:23], s[14:15], v[22:23]
	s_wait_dscnt 0x5
	v_add_nc_u64_e32 v[24:25], s[14:15], v[24:25]
	v_add_nc_u64_e32 v[16:17], v[16:17], v[0:1]
	;; [unrolled: 1-line block ×7, first 2 shown]
	s_clause 0x6
	global_store_b8 v[4:5], v37, off offset:8192
	global_store_b8 v[8:9], v38, off offset:9216
	;; [unrolled: 1-line block ×7, first 2 shown]
	s_wait_dscnt 0x4
	s_wait_xcnt 0x6
	v_add_nc_u64_e32 v[4:5], s[14:15], v[26:27]
	s_wait_dscnt 0x3
	s_wait_xcnt 0x5
	v_add_nc_u64_e32 v[8:9], s[14:15], v[28:29]
	;; [unrolled: 3-line block ×3, first 2 shown]
	s_wait_dscnt 0x1
	v_add_nc_u64_e32 v[16:17], s[14:15], v[32:33]
	s_wait_dscnt 0x0
	v_add_nc_u64_e32 v[18:19], s[14:15], v[34:35]
	v_add_nc_u64_e32 v[4:5], v[4:5], v[0:1]
	;; [unrolled: 1-line block ×6, first 2 shown]
	s_clause 0x6
	global_store_b8 v[4:5], v46, off offset:15360
	global_store_b8 v[8:9], v47, off offset:16384
	;; [unrolled: 1-line block ×7, first 2 shown]
	s_load_b32 s0, s[0:1], 0x58
	s_wait_kmcnt 0x0
	s_add_co_i32 s0, s0, -1
	s_delay_alu instid0(SALU_CYCLE_1) | instskip(SKIP_2) | instid1(SALU_CYCLE_1)
	s_cmp_eq_u32 s19, s0
	s_cselect_b32 s0, -1, 0
	s_xor_b32 s1, vcc_lo, -1
	s_and_b32 s0, s1, s0
	s_delay_alu instid0(SALU_CYCLE_1)
	s_and_saveexec_b32 s1, s0
	s_cbranch_execz .LBB246_135
; %bb.134:
	ds_load_b64 v[2:3], v14
	v_mov_b32_e32 v11, 0
	s_delay_alu instid0(VALU_DEP_1) | instskip(SKIP_1) | instid1(VALU_DEP_1)
	v_add_nc_u64_e32 v[4:5], v[6:7], v[10:11]
	s_wait_dscnt 0x0
	v_add_nc_u64_e32 v[2:3], v[4:5], v[2:3]
	global_store_b64 v0, v[2:3], s[10:11] scale_offset
.LBB246_135:
	s_sendmsg sendmsg(MSG_DEALLOC_VGPRS)
	s_endpgm
	.section	.rodata,"a",@progbits
	.p2align	6, 0x0
	.amdhsa_kernel _ZN7rocprim17ROCPRIM_400000_NS6detail17trampoline_kernelINS0_14default_configENS1_35radix_sort_onesweep_config_selectorIhNS0_10empty_typeEEEZZNS1_29radix_sort_onesweep_iterationIS3_Lb0EPKhPhPS5_SB_mNS0_19identity_decomposerENS1_16block_id_wrapperIjLb0EEEEE10hipError_tT1_PNSt15iterator_traitsISG_E10value_typeET2_T3_PNSH_ISM_E10value_typeET4_T5_PSR_SS_PNS1_23onesweep_lookback_stateEbbT6_jjT7_P12ihipStream_tbENKUlT_T0_SG_SL_E_clISA_SA_SB_SB_EEDaSZ_S10_SG_SL_EUlSZ_E_NS1_11comp_targetILNS1_3genE0ELNS1_11target_archE4294967295ELNS1_3gpuE0ELNS1_3repE0EEENS1_47radix_sort_onesweep_sort_config_static_selectorELNS0_4arch9wavefront6targetE0EEEvSG_
		.amdhsa_group_segment_fixed_size 32904
		.amdhsa_private_segment_fixed_size 0
		.amdhsa_kernarg_size 344
		.amdhsa_user_sgpr_count 2
		.amdhsa_user_sgpr_dispatch_ptr 0
		.amdhsa_user_sgpr_queue_ptr 0
		.amdhsa_user_sgpr_kernarg_segment_ptr 1
		.amdhsa_user_sgpr_dispatch_id 0
		.amdhsa_user_sgpr_kernarg_preload_length 0
		.amdhsa_user_sgpr_kernarg_preload_offset 0
		.amdhsa_user_sgpr_private_segment_size 0
		.amdhsa_wavefront_size32 1
		.amdhsa_uses_dynamic_stack 0
		.amdhsa_enable_private_segment 0
		.amdhsa_system_sgpr_workgroup_id_x 1
		.amdhsa_system_sgpr_workgroup_id_y 0
		.amdhsa_system_sgpr_workgroup_id_z 0
		.amdhsa_system_sgpr_workgroup_info 0
		.amdhsa_system_vgpr_workitem_id 0
		.amdhsa_next_free_vgpr 79
		.amdhsa_next_free_sgpr 25
		.amdhsa_named_barrier_count 0
		.amdhsa_reserve_vcc 1
		.amdhsa_float_round_mode_32 0
		.amdhsa_float_round_mode_16_64 0
		.amdhsa_float_denorm_mode_32 3
		.amdhsa_float_denorm_mode_16_64 3
		.amdhsa_fp16_overflow 0
		.amdhsa_memory_ordered 1
		.amdhsa_forward_progress 1
		.amdhsa_inst_pref_size 110
		.amdhsa_round_robin_scheduling 0
		.amdhsa_exception_fp_ieee_invalid_op 0
		.amdhsa_exception_fp_denorm_src 0
		.amdhsa_exception_fp_ieee_div_zero 0
		.amdhsa_exception_fp_ieee_overflow 0
		.amdhsa_exception_fp_ieee_underflow 0
		.amdhsa_exception_fp_ieee_inexact 0
		.amdhsa_exception_int_div_zero 0
	.end_amdhsa_kernel
	.section	.text._ZN7rocprim17ROCPRIM_400000_NS6detail17trampoline_kernelINS0_14default_configENS1_35radix_sort_onesweep_config_selectorIhNS0_10empty_typeEEEZZNS1_29radix_sort_onesweep_iterationIS3_Lb0EPKhPhPS5_SB_mNS0_19identity_decomposerENS1_16block_id_wrapperIjLb0EEEEE10hipError_tT1_PNSt15iterator_traitsISG_E10value_typeET2_T3_PNSH_ISM_E10value_typeET4_T5_PSR_SS_PNS1_23onesweep_lookback_stateEbbT6_jjT7_P12ihipStream_tbENKUlT_T0_SG_SL_E_clISA_SA_SB_SB_EEDaSZ_S10_SG_SL_EUlSZ_E_NS1_11comp_targetILNS1_3genE0ELNS1_11target_archE4294967295ELNS1_3gpuE0ELNS1_3repE0EEENS1_47radix_sort_onesweep_sort_config_static_selectorELNS0_4arch9wavefront6targetE0EEEvSG_,"axG",@progbits,_ZN7rocprim17ROCPRIM_400000_NS6detail17trampoline_kernelINS0_14default_configENS1_35radix_sort_onesweep_config_selectorIhNS0_10empty_typeEEEZZNS1_29radix_sort_onesweep_iterationIS3_Lb0EPKhPhPS5_SB_mNS0_19identity_decomposerENS1_16block_id_wrapperIjLb0EEEEE10hipError_tT1_PNSt15iterator_traitsISG_E10value_typeET2_T3_PNSH_ISM_E10value_typeET4_T5_PSR_SS_PNS1_23onesweep_lookback_stateEbbT6_jjT7_P12ihipStream_tbENKUlT_T0_SG_SL_E_clISA_SA_SB_SB_EEDaSZ_S10_SG_SL_EUlSZ_E_NS1_11comp_targetILNS1_3genE0ELNS1_11target_archE4294967295ELNS1_3gpuE0ELNS1_3repE0EEENS1_47radix_sort_onesweep_sort_config_static_selectorELNS0_4arch9wavefront6targetE0EEEvSG_,comdat
.Lfunc_end246:
	.size	_ZN7rocprim17ROCPRIM_400000_NS6detail17trampoline_kernelINS0_14default_configENS1_35radix_sort_onesweep_config_selectorIhNS0_10empty_typeEEEZZNS1_29radix_sort_onesweep_iterationIS3_Lb0EPKhPhPS5_SB_mNS0_19identity_decomposerENS1_16block_id_wrapperIjLb0EEEEE10hipError_tT1_PNSt15iterator_traitsISG_E10value_typeET2_T3_PNSH_ISM_E10value_typeET4_T5_PSR_SS_PNS1_23onesweep_lookback_stateEbbT6_jjT7_P12ihipStream_tbENKUlT_T0_SG_SL_E_clISA_SA_SB_SB_EEDaSZ_S10_SG_SL_EUlSZ_E_NS1_11comp_targetILNS1_3genE0ELNS1_11target_archE4294967295ELNS1_3gpuE0ELNS1_3repE0EEENS1_47radix_sort_onesweep_sort_config_static_selectorELNS0_4arch9wavefront6targetE0EEEvSG_, .Lfunc_end246-_ZN7rocprim17ROCPRIM_400000_NS6detail17trampoline_kernelINS0_14default_configENS1_35radix_sort_onesweep_config_selectorIhNS0_10empty_typeEEEZZNS1_29radix_sort_onesweep_iterationIS3_Lb0EPKhPhPS5_SB_mNS0_19identity_decomposerENS1_16block_id_wrapperIjLb0EEEEE10hipError_tT1_PNSt15iterator_traitsISG_E10value_typeET2_T3_PNSH_ISM_E10value_typeET4_T5_PSR_SS_PNS1_23onesweep_lookback_stateEbbT6_jjT7_P12ihipStream_tbENKUlT_T0_SG_SL_E_clISA_SA_SB_SB_EEDaSZ_S10_SG_SL_EUlSZ_E_NS1_11comp_targetILNS1_3genE0ELNS1_11target_archE4294967295ELNS1_3gpuE0ELNS1_3repE0EEENS1_47radix_sort_onesweep_sort_config_static_selectorELNS0_4arch9wavefront6targetE0EEEvSG_
                                        ; -- End function
	.set _ZN7rocprim17ROCPRIM_400000_NS6detail17trampoline_kernelINS0_14default_configENS1_35radix_sort_onesweep_config_selectorIhNS0_10empty_typeEEEZZNS1_29radix_sort_onesweep_iterationIS3_Lb0EPKhPhPS5_SB_mNS0_19identity_decomposerENS1_16block_id_wrapperIjLb0EEEEE10hipError_tT1_PNSt15iterator_traitsISG_E10value_typeET2_T3_PNSH_ISM_E10value_typeET4_T5_PSR_SS_PNS1_23onesweep_lookback_stateEbbT6_jjT7_P12ihipStream_tbENKUlT_T0_SG_SL_E_clISA_SA_SB_SB_EEDaSZ_S10_SG_SL_EUlSZ_E_NS1_11comp_targetILNS1_3genE0ELNS1_11target_archE4294967295ELNS1_3gpuE0ELNS1_3repE0EEENS1_47radix_sort_onesweep_sort_config_static_selectorELNS0_4arch9wavefront6targetE0EEEvSG_.num_vgpr, 79
	.set _ZN7rocprim17ROCPRIM_400000_NS6detail17trampoline_kernelINS0_14default_configENS1_35radix_sort_onesweep_config_selectorIhNS0_10empty_typeEEEZZNS1_29radix_sort_onesweep_iterationIS3_Lb0EPKhPhPS5_SB_mNS0_19identity_decomposerENS1_16block_id_wrapperIjLb0EEEEE10hipError_tT1_PNSt15iterator_traitsISG_E10value_typeET2_T3_PNSH_ISM_E10value_typeET4_T5_PSR_SS_PNS1_23onesweep_lookback_stateEbbT6_jjT7_P12ihipStream_tbENKUlT_T0_SG_SL_E_clISA_SA_SB_SB_EEDaSZ_S10_SG_SL_EUlSZ_E_NS1_11comp_targetILNS1_3genE0ELNS1_11target_archE4294967295ELNS1_3gpuE0ELNS1_3repE0EEENS1_47radix_sort_onesweep_sort_config_static_selectorELNS0_4arch9wavefront6targetE0EEEvSG_.num_agpr, 0
	.set _ZN7rocprim17ROCPRIM_400000_NS6detail17trampoline_kernelINS0_14default_configENS1_35radix_sort_onesweep_config_selectorIhNS0_10empty_typeEEEZZNS1_29radix_sort_onesweep_iterationIS3_Lb0EPKhPhPS5_SB_mNS0_19identity_decomposerENS1_16block_id_wrapperIjLb0EEEEE10hipError_tT1_PNSt15iterator_traitsISG_E10value_typeET2_T3_PNSH_ISM_E10value_typeET4_T5_PSR_SS_PNS1_23onesweep_lookback_stateEbbT6_jjT7_P12ihipStream_tbENKUlT_T0_SG_SL_E_clISA_SA_SB_SB_EEDaSZ_S10_SG_SL_EUlSZ_E_NS1_11comp_targetILNS1_3genE0ELNS1_11target_archE4294967295ELNS1_3gpuE0ELNS1_3repE0EEENS1_47radix_sort_onesweep_sort_config_static_selectorELNS0_4arch9wavefront6targetE0EEEvSG_.numbered_sgpr, 25
	.set _ZN7rocprim17ROCPRIM_400000_NS6detail17trampoline_kernelINS0_14default_configENS1_35radix_sort_onesweep_config_selectorIhNS0_10empty_typeEEEZZNS1_29radix_sort_onesweep_iterationIS3_Lb0EPKhPhPS5_SB_mNS0_19identity_decomposerENS1_16block_id_wrapperIjLb0EEEEE10hipError_tT1_PNSt15iterator_traitsISG_E10value_typeET2_T3_PNSH_ISM_E10value_typeET4_T5_PSR_SS_PNS1_23onesweep_lookback_stateEbbT6_jjT7_P12ihipStream_tbENKUlT_T0_SG_SL_E_clISA_SA_SB_SB_EEDaSZ_S10_SG_SL_EUlSZ_E_NS1_11comp_targetILNS1_3genE0ELNS1_11target_archE4294967295ELNS1_3gpuE0ELNS1_3repE0EEENS1_47radix_sort_onesweep_sort_config_static_selectorELNS0_4arch9wavefront6targetE0EEEvSG_.num_named_barrier, 0
	.set _ZN7rocprim17ROCPRIM_400000_NS6detail17trampoline_kernelINS0_14default_configENS1_35radix_sort_onesweep_config_selectorIhNS0_10empty_typeEEEZZNS1_29radix_sort_onesweep_iterationIS3_Lb0EPKhPhPS5_SB_mNS0_19identity_decomposerENS1_16block_id_wrapperIjLb0EEEEE10hipError_tT1_PNSt15iterator_traitsISG_E10value_typeET2_T3_PNSH_ISM_E10value_typeET4_T5_PSR_SS_PNS1_23onesweep_lookback_stateEbbT6_jjT7_P12ihipStream_tbENKUlT_T0_SG_SL_E_clISA_SA_SB_SB_EEDaSZ_S10_SG_SL_EUlSZ_E_NS1_11comp_targetILNS1_3genE0ELNS1_11target_archE4294967295ELNS1_3gpuE0ELNS1_3repE0EEENS1_47radix_sort_onesweep_sort_config_static_selectorELNS0_4arch9wavefront6targetE0EEEvSG_.private_seg_size, 0
	.set _ZN7rocprim17ROCPRIM_400000_NS6detail17trampoline_kernelINS0_14default_configENS1_35radix_sort_onesweep_config_selectorIhNS0_10empty_typeEEEZZNS1_29radix_sort_onesweep_iterationIS3_Lb0EPKhPhPS5_SB_mNS0_19identity_decomposerENS1_16block_id_wrapperIjLb0EEEEE10hipError_tT1_PNSt15iterator_traitsISG_E10value_typeET2_T3_PNSH_ISM_E10value_typeET4_T5_PSR_SS_PNS1_23onesweep_lookback_stateEbbT6_jjT7_P12ihipStream_tbENKUlT_T0_SG_SL_E_clISA_SA_SB_SB_EEDaSZ_S10_SG_SL_EUlSZ_E_NS1_11comp_targetILNS1_3genE0ELNS1_11target_archE4294967295ELNS1_3gpuE0ELNS1_3repE0EEENS1_47radix_sort_onesweep_sort_config_static_selectorELNS0_4arch9wavefront6targetE0EEEvSG_.uses_vcc, 1
	.set _ZN7rocprim17ROCPRIM_400000_NS6detail17trampoline_kernelINS0_14default_configENS1_35radix_sort_onesweep_config_selectorIhNS0_10empty_typeEEEZZNS1_29radix_sort_onesweep_iterationIS3_Lb0EPKhPhPS5_SB_mNS0_19identity_decomposerENS1_16block_id_wrapperIjLb0EEEEE10hipError_tT1_PNSt15iterator_traitsISG_E10value_typeET2_T3_PNSH_ISM_E10value_typeET4_T5_PSR_SS_PNS1_23onesweep_lookback_stateEbbT6_jjT7_P12ihipStream_tbENKUlT_T0_SG_SL_E_clISA_SA_SB_SB_EEDaSZ_S10_SG_SL_EUlSZ_E_NS1_11comp_targetILNS1_3genE0ELNS1_11target_archE4294967295ELNS1_3gpuE0ELNS1_3repE0EEENS1_47radix_sort_onesweep_sort_config_static_selectorELNS0_4arch9wavefront6targetE0EEEvSG_.uses_flat_scratch, 0
	.set _ZN7rocprim17ROCPRIM_400000_NS6detail17trampoline_kernelINS0_14default_configENS1_35radix_sort_onesweep_config_selectorIhNS0_10empty_typeEEEZZNS1_29radix_sort_onesweep_iterationIS3_Lb0EPKhPhPS5_SB_mNS0_19identity_decomposerENS1_16block_id_wrapperIjLb0EEEEE10hipError_tT1_PNSt15iterator_traitsISG_E10value_typeET2_T3_PNSH_ISM_E10value_typeET4_T5_PSR_SS_PNS1_23onesweep_lookback_stateEbbT6_jjT7_P12ihipStream_tbENKUlT_T0_SG_SL_E_clISA_SA_SB_SB_EEDaSZ_S10_SG_SL_EUlSZ_E_NS1_11comp_targetILNS1_3genE0ELNS1_11target_archE4294967295ELNS1_3gpuE0ELNS1_3repE0EEENS1_47radix_sort_onesweep_sort_config_static_selectorELNS0_4arch9wavefront6targetE0EEEvSG_.has_dyn_sized_stack, 0
	.set _ZN7rocprim17ROCPRIM_400000_NS6detail17trampoline_kernelINS0_14default_configENS1_35radix_sort_onesweep_config_selectorIhNS0_10empty_typeEEEZZNS1_29radix_sort_onesweep_iterationIS3_Lb0EPKhPhPS5_SB_mNS0_19identity_decomposerENS1_16block_id_wrapperIjLb0EEEEE10hipError_tT1_PNSt15iterator_traitsISG_E10value_typeET2_T3_PNSH_ISM_E10value_typeET4_T5_PSR_SS_PNS1_23onesweep_lookback_stateEbbT6_jjT7_P12ihipStream_tbENKUlT_T0_SG_SL_E_clISA_SA_SB_SB_EEDaSZ_S10_SG_SL_EUlSZ_E_NS1_11comp_targetILNS1_3genE0ELNS1_11target_archE4294967295ELNS1_3gpuE0ELNS1_3repE0EEENS1_47radix_sort_onesweep_sort_config_static_selectorELNS0_4arch9wavefront6targetE0EEEvSG_.has_recursion, 0
	.set _ZN7rocprim17ROCPRIM_400000_NS6detail17trampoline_kernelINS0_14default_configENS1_35radix_sort_onesweep_config_selectorIhNS0_10empty_typeEEEZZNS1_29radix_sort_onesweep_iterationIS3_Lb0EPKhPhPS5_SB_mNS0_19identity_decomposerENS1_16block_id_wrapperIjLb0EEEEE10hipError_tT1_PNSt15iterator_traitsISG_E10value_typeET2_T3_PNSH_ISM_E10value_typeET4_T5_PSR_SS_PNS1_23onesweep_lookback_stateEbbT6_jjT7_P12ihipStream_tbENKUlT_T0_SG_SL_E_clISA_SA_SB_SB_EEDaSZ_S10_SG_SL_EUlSZ_E_NS1_11comp_targetILNS1_3genE0ELNS1_11target_archE4294967295ELNS1_3gpuE0ELNS1_3repE0EEENS1_47radix_sort_onesweep_sort_config_static_selectorELNS0_4arch9wavefront6targetE0EEEvSG_.has_indirect_call, 0
	.section	.AMDGPU.csdata,"",@progbits
; Kernel info:
; codeLenInByte = 14076
; TotalNumSgprs: 27
; NumVgprs: 79
; ScratchSize: 0
; MemoryBound: 0
; FloatMode: 240
; IeeeMode: 1
; LDSByteSize: 32904 bytes/workgroup (compile time only)
; SGPRBlocks: 0
; VGPRBlocks: 4
; NumSGPRsForWavesPerEU: 27
; NumVGPRsForWavesPerEU: 79
; NamedBarCnt: 0
; Occupancy: 12
; WaveLimiterHint : 0
; COMPUTE_PGM_RSRC2:SCRATCH_EN: 0
; COMPUTE_PGM_RSRC2:USER_SGPR: 2
; COMPUTE_PGM_RSRC2:TRAP_HANDLER: 0
; COMPUTE_PGM_RSRC2:TGID_X_EN: 1
; COMPUTE_PGM_RSRC2:TGID_Y_EN: 0
; COMPUTE_PGM_RSRC2:TGID_Z_EN: 0
; COMPUTE_PGM_RSRC2:TIDIG_COMP_CNT: 0
	.section	.text._ZN7rocprim17ROCPRIM_400000_NS6detail17trampoline_kernelINS0_14default_configENS1_35radix_sort_onesweep_config_selectorIhNS0_10empty_typeEEEZZNS1_29radix_sort_onesweep_iterationIS3_Lb0EPKhPhPS5_SB_mNS0_19identity_decomposerENS1_16block_id_wrapperIjLb0EEEEE10hipError_tT1_PNSt15iterator_traitsISG_E10value_typeET2_T3_PNSH_ISM_E10value_typeET4_T5_PSR_SS_PNS1_23onesweep_lookback_stateEbbT6_jjT7_P12ihipStream_tbENKUlT_T0_SG_SL_E_clISA_SA_SB_SB_EEDaSZ_S10_SG_SL_EUlSZ_E_NS1_11comp_targetILNS1_3genE6ELNS1_11target_archE950ELNS1_3gpuE13ELNS1_3repE0EEENS1_47radix_sort_onesweep_sort_config_static_selectorELNS0_4arch9wavefront6targetE0EEEvSG_,"axG",@progbits,_ZN7rocprim17ROCPRIM_400000_NS6detail17trampoline_kernelINS0_14default_configENS1_35radix_sort_onesweep_config_selectorIhNS0_10empty_typeEEEZZNS1_29radix_sort_onesweep_iterationIS3_Lb0EPKhPhPS5_SB_mNS0_19identity_decomposerENS1_16block_id_wrapperIjLb0EEEEE10hipError_tT1_PNSt15iterator_traitsISG_E10value_typeET2_T3_PNSH_ISM_E10value_typeET4_T5_PSR_SS_PNS1_23onesweep_lookback_stateEbbT6_jjT7_P12ihipStream_tbENKUlT_T0_SG_SL_E_clISA_SA_SB_SB_EEDaSZ_S10_SG_SL_EUlSZ_E_NS1_11comp_targetILNS1_3genE6ELNS1_11target_archE950ELNS1_3gpuE13ELNS1_3repE0EEENS1_47radix_sort_onesweep_sort_config_static_selectorELNS0_4arch9wavefront6targetE0EEEvSG_,comdat
	.protected	_ZN7rocprim17ROCPRIM_400000_NS6detail17trampoline_kernelINS0_14default_configENS1_35radix_sort_onesweep_config_selectorIhNS0_10empty_typeEEEZZNS1_29radix_sort_onesweep_iterationIS3_Lb0EPKhPhPS5_SB_mNS0_19identity_decomposerENS1_16block_id_wrapperIjLb0EEEEE10hipError_tT1_PNSt15iterator_traitsISG_E10value_typeET2_T3_PNSH_ISM_E10value_typeET4_T5_PSR_SS_PNS1_23onesweep_lookback_stateEbbT6_jjT7_P12ihipStream_tbENKUlT_T0_SG_SL_E_clISA_SA_SB_SB_EEDaSZ_S10_SG_SL_EUlSZ_E_NS1_11comp_targetILNS1_3genE6ELNS1_11target_archE950ELNS1_3gpuE13ELNS1_3repE0EEENS1_47radix_sort_onesweep_sort_config_static_selectorELNS0_4arch9wavefront6targetE0EEEvSG_ ; -- Begin function _ZN7rocprim17ROCPRIM_400000_NS6detail17trampoline_kernelINS0_14default_configENS1_35radix_sort_onesweep_config_selectorIhNS0_10empty_typeEEEZZNS1_29radix_sort_onesweep_iterationIS3_Lb0EPKhPhPS5_SB_mNS0_19identity_decomposerENS1_16block_id_wrapperIjLb0EEEEE10hipError_tT1_PNSt15iterator_traitsISG_E10value_typeET2_T3_PNSH_ISM_E10value_typeET4_T5_PSR_SS_PNS1_23onesweep_lookback_stateEbbT6_jjT7_P12ihipStream_tbENKUlT_T0_SG_SL_E_clISA_SA_SB_SB_EEDaSZ_S10_SG_SL_EUlSZ_E_NS1_11comp_targetILNS1_3genE6ELNS1_11target_archE950ELNS1_3gpuE13ELNS1_3repE0EEENS1_47radix_sort_onesweep_sort_config_static_selectorELNS0_4arch9wavefront6targetE0EEEvSG_
	.globl	_ZN7rocprim17ROCPRIM_400000_NS6detail17trampoline_kernelINS0_14default_configENS1_35radix_sort_onesweep_config_selectorIhNS0_10empty_typeEEEZZNS1_29radix_sort_onesweep_iterationIS3_Lb0EPKhPhPS5_SB_mNS0_19identity_decomposerENS1_16block_id_wrapperIjLb0EEEEE10hipError_tT1_PNSt15iterator_traitsISG_E10value_typeET2_T3_PNSH_ISM_E10value_typeET4_T5_PSR_SS_PNS1_23onesweep_lookback_stateEbbT6_jjT7_P12ihipStream_tbENKUlT_T0_SG_SL_E_clISA_SA_SB_SB_EEDaSZ_S10_SG_SL_EUlSZ_E_NS1_11comp_targetILNS1_3genE6ELNS1_11target_archE950ELNS1_3gpuE13ELNS1_3repE0EEENS1_47radix_sort_onesweep_sort_config_static_selectorELNS0_4arch9wavefront6targetE0EEEvSG_
	.p2align	8
	.type	_ZN7rocprim17ROCPRIM_400000_NS6detail17trampoline_kernelINS0_14default_configENS1_35radix_sort_onesweep_config_selectorIhNS0_10empty_typeEEEZZNS1_29radix_sort_onesweep_iterationIS3_Lb0EPKhPhPS5_SB_mNS0_19identity_decomposerENS1_16block_id_wrapperIjLb0EEEEE10hipError_tT1_PNSt15iterator_traitsISG_E10value_typeET2_T3_PNSH_ISM_E10value_typeET4_T5_PSR_SS_PNS1_23onesweep_lookback_stateEbbT6_jjT7_P12ihipStream_tbENKUlT_T0_SG_SL_E_clISA_SA_SB_SB_EEDaSZ_S10_SG_SL_EUlSZ_E_NS1_11comp_targetILNS1_3genE6ELNS1_11target_archE950ELNS1_3gpuE13ELNS1_3repE0EEENS1_47radix_sort_onesweep_sort_config_static_selectorELNS0_4arch9wavefront6targetE0EEEvSG_,@function
_ZN7rocprim17ROCPRIM_400000_NS6detail17trampoline_kernelINS0_14default_configENS1_35radix_sort_onesweep_config_selectorIhNS0_10empty_typeEEEZZNS1_29radix_sort_onesweep_iterationIS3_Lb0EPKhPhPS5_SB_mNS0_19identity_decomposerENS1_16block_id_wrapperIjLb0EEEEE10hipError_tT1_PNSt15iterator_traitsISG_E10value_typeET2_T3_PNSH_ISM_E10value_typeET4_T5_PSR_SS_PNS1_23onesweep_lookback_stateEbbT6_jjT7_P12ihipStream_tbENKUlT_T0_SG_SL_E_clISA_SA_SB_SB_EEDaSZ_S10_SG_SL_EUlSZ_E_NS1_11comp_targetILNS1_3genE6ELNS1_11target_archE950ELNS1_3gpuE13ELNS1_3repE0EEENS1_47radix_sort_onesweep_sort_config_static_selectorELNS0_4arch9wavefront6targetE0EEEvSG_: ; @_ZN7rocprim17ROCPRIM_400000_NS6detail17trampoline_kernelINS0_14default_configENS1_35radix_sort_onesweep_config_selectorIhNS0_10empty_typeEEEZZNS1_29radix_sort_onesweep_iterationIS3_Lb0EPKhPhPS5_SB_mNS0_19identity_decomposerENS1_16block_id_wrapperIjLb0EEEEE10hipError_tT1_PNSt15iterator_traitsISG_E10value_typeET2_T3_PNSH_ISM_E10value_typeET4_T5_PSR_SS_PNS1_23onesweep_lookback_stateEbbT6_jjT7_P12ihipStream_tbENKUlT_T0_SG_SL_E_clISA_SA_SB_SB_EEDaSZ_S10_SG_SL_EUlSZ_E_NS1_11comp_targetILNS1_3genE6ELNS1_11target_archE950ELNS1_3gpuE13ELNS1_3repE0EEENS1_47radix_sort_onesweep_sort_config_static_selectorELNS0_4arch9wavefront6targetE0EEEvSG_
; %bb.0:
	.section	.rodata,"a",@progbits
	.p2align	6, 0x0
	.amdhsa_kernel _ZN7rocprim17ROCPRIM_400000_NS6detail17trampoline_kernelINS0_14default_configENS1_35radix_sort_onesweep_config_selectorIhNS0_10empty_typeEEEZZNS1_29radix_sort_onesweep_iterationIS3_Lb0EPKhPhPS5_SB_mNS0_19identity_decomposerENS1_16block_id_wrapperIjLb0EEEEE10hipError_tT1_PNSt15iterator_traitsISG_E10value_typeET2_T3_PNSH_ISM_E10value_typeET4_T5_PSR_SS_PNS1_23onesweep_lookback_stateEbbT6_jjT7_P12ihipStream_tbENKUlT_T0_SG_SL_E_clISA_SA_SB_SB_EEDaSZ_S10_SG_SL_EUlSZ_E_NS1_11comp_targetILNS1_3genE6ELNS1_11target_archE950ELNS1_3gpuE13ELNS1_3repE0EEENS1_47radix_sort_onesweep_sort_config_static_selectorELNS0_4arch9wavefront6targetE0EEEvSG_
		.amdhsa_group_segment_fixed_size 0
		.amdhsa_private_segment_fixed_size 0
		.amdhsa_kernarg_size 88
		.amdhsa_user_sgpr_count 2
		.amdhsa_user_sgpr_dispatch_ptr 0
		.amdhsa_user_sgpr_queue_ptr 0
		.amdhsa_user_sgpr_kernarg_segment_ptr 1
		.amdhsa_user_sgpr_dispatch_id 0
		.amdhsa_user_sgpr_kernarg_preload_length 0
		.amdhsa_user_sgpr_kernarg_preload_offset 0
		.amdhsa_user_sgpr_private_segment_size 0
		.amdhsa_wavefront_size32 1
		.amdhsa_uses_dynamic_stack 0
		.amdhsa_enable_private_segment 0
		.amdhsa_system_sgpr_workgroup_id_x 1
		.amdhsa_system_sgpr_workgroup_id_y 0
		.amdhsa_system_sgpr_workgroup_id_z 0
		.amdhsa_system_sgpr_workgroup_info 0
		.amdhsa_system_vgpr_workitem_id 0
		.amdhsa_next_free_vgpr 1
		.amdhsa_next_free_sgpr 1
		.amdhsa_named_barrier_count 0
		.amdhsa_reserve_vcc 0
		.amdhsa_float_round_mode_32 0
		.amdhsa_float_round_mode_16_64 0
		.amdhsa_float_denorm_mode_32 3
		.amdhsa_float_denorm_mode_16_64 3
		.amdhsa_fp16_overflow 0
		.amdhsa_memory_ordered 1
		.amdhsa_forward_progress 1
		.amdhsa_inst_pref_size 0
		.amdhsa_round_robin_scheduling 0
		.amdhsa_exception_fp_ieee_invalid_op 0
		.amdhsa_exception_fp_denorm_src 0
		.amdhsa_exception_fp_ieee_div_zero 0
		.amdhsa_exception_fp_ieee_overflow 0
		.amdhsa_exception_fp_ieee_underflow 0
		.amdhsa_exception_fp_ieee_inexact 0
		.amdhsa_exception_int_div_zero 0
	.end_amdhsa_kernel
	.section	.text._ZN7rocprim17ROCPRIM_400000_NS6detail17trampoline_kernelINS0_14default_configENS1_35radix_sort_onesweep_config_selectorIhNS0_10empty_typeEEEZZNS1_29radix_sort_onesweep_iterationIS3_Lb0EPKhPhPS5_SB_mNS0_19identity_decomposerENS1_16block_id_wrapperIjLb0EEEEE10hipError_tT1_PNSt15iterator_traitsISG_E10value_typeET2_T3_PNSH_ISM_E10value_typeET4_T5_PSR_SS_PNS1_23onesweep_lookback_stateEbbT6_jjT7_P12ihipStream_tbENKUlT_T0_SG_SL_E_clISA_SA_SB_SB_EEDaSZ_S10_SG_SL_EUlSZ_E_NS1_11comp_targetILNS1_3genE6ELNS1_11target_archE950ELNS1_3gpuE13ELNS1_3repE0EEENS1_47radix_sort_onesweep_sort_config_static_selectorELNS0_4arch9wavefront6targetE0EEEvSG_,"axG",@progbits,_ZN7rocprim17ROCPRIM_400000_NS6detail17trampoline_kernelINS0_14default_configENS1_35radix_sort_onesweep_config_selectorIhNS0_10empty_typeEEEZZNS1_29radix_sort_onesweep_iterationIS3_Lb0EPKhPhPS5_SB_mNS0_19identity_decomposerENS1_16block_id_wrapperIjLb0EEEEE10hipError_tT1_PNSt15iterator_traitsISG_E10value_typeET2_T3_PNSH_ISM_E10value_typeET4_T5_PSR_SS_PNS1_23onesweep_lookback_stateEbbT6_jjT7_P12ihipStream_tbENKUlT_T0_SG_SL_E_clISA_SA_SB_SB_EEDaSZ_S10_SG_SL_EUlSZ_E_NS1_11comp_targetILNS1_3genE6ELNS1_11target_archE950ELNS1_3gpuE13ELNS1_3repE0EEENS1_47radix_sort_onesweep_sort_config_static_selectorELNS0_4arch9wavefront6targetE0EEEvSG_,comdat
.Lfunc_end247:
	.size	_ZN7rocprim17ROCPRIM_400000_NS6detail17trampoline_kernelINS0_14default_configENS1_35radix_sort_onesweep_config_selectorIhNS0_10empty_typeEEEZZNS1_29radix_sort_onesweep_iterationIS3_Lb0EPKhPhPS5_SB_mNS0_19identity_decomposerENS1_16block_id_wrapperIjLb0EEEEE10hipError_tT1_PNSt15iterator_traitsISG_E10value_typeET2_T3_PNSH_ISM_E10value_typeET4_T5_PSR_SS_PNS1_23onesweep_lookback_stateEbbT6_jjT7_P12ihipStream_tbENKUlT_T0_SG_SL_E_clISA_SA_SB_SB_EEDaSZ_S10_SG_SL_EUlSZ_E_NS1_11comp_targetILNS1_3genE6ELNS1_11target_archE950ELNS1_3gpuE13ELNS1_3repE0EEENS1_47radix_sort_onesweep_sort_config_static_selectorELNS0_4arch9wavefront6targetE0EEEvSG_, .Lfunc_end247-_ZN7rocprim17ROCPRIM_400000_NS6detail17trampoline_kernelINS0_14default_configENS1_35radix_sort_onesweep_config_selectorIhNS0_10empty_typeEEEZZNS1_29radix_sort_onesweep_iterationIS3_Lb0EPKhPhPS5_SB_mNS0_19identity_decomposerENS1_16block_id_wrapperIjLb0EEEEE10hipError_tT1_PNSt15iterator_traitsISG_E10value_typeET2_T3_PNSH_ISM_E10value_typeET4_T5_PSR_SS_PNS1_23onesweep_lookback_stateEbbT6_jjT7_P12ihipStream_tbENKUlT_T0_SG_SL_E_clISA_SA_SB_SB_EEDaSZ_S10_SG_SL_EUlSZ_E_NS1_11comp_targetILNS1_3genE6ELNS1_11target_archE950ELNS1_3gpuE13ELNS1_3repE0EEENS1_47radix_sort_onesweep_sort_config_static_selectorELNS0_4arch9wavefront6targetE0EEEvSG_
                                        ; -- End function
	.set _ZN7rocprim17ROCPRIM_400000_NS6detail17trampoline_kernelINS0_14default_configENS1_35radix_sort_onesweep_config_selectorIhNS0_10empty_typeEEEZZNS1_29radix_sort_onesweep_iterationIS3_Lb0EPKhPhPS5_SB_mNS0_19identity_decomposerENS1_16block_id_wrapperIjLb0EEEEE10hipError_tT1_PNSt15iterator_traitsISG_E10value_typeET2_T3_PNSH_ISM_E10value_typeET4_T5_PSR_SS_PNS1_23onesweep_lookback_stateEbbT6_jjT7_P12ihipStream_tbENKUlT_T0_SG_SL_E_clISA_SA_SB_SB_EEDaSZ_S10_SG_SL_EUlSZ_E_NS1_11comp_targetILNS1_3genE6ELNS1_11target_archE950ELNS1_3gpuE13ELNS1_3repE0EEENS1_47radix_sort_onesweep_sort_config_static_selectorELNS0_4arch9wavefront6targetE0EEEvSG_.num_vgpr, 0
	.set _ZN7rocprim17ROCPRIM_400000_NS6detail17trampoline_kernelINS0_14default_configENS1_35radix_sort_onesweep_config_selectorIhNS0_10empty_typeEEEZZNS1_29radix_sort_onesweep_iterationIS3_Lb0EPKhPhPS5_SB_mNS0_19identity_decomposerENS1_16block_id_wrapperIjLb0EEEEE10hipError_tT1_PNSt15iterator_traitsISG_E10value_typeET2_T3_PNSH_ISM_E10value_typeET4_T5_PSR_SS_PNS1_23onesweep_lookback_stateEbbT6_jjT7_P12ihipStream_tbENKUlT_T0_SG_SL_E_clISA_SA_SB_SB_EEDaSZ_S10_SG_SL_EUlSZ_E_NS1_11comp_targetILNS1_3genE6ELNS1_11target_archE950ELNS1_3gpuE13ELNS1_3repE0EEENS1_47radix_sort_onesweep_sort_config_static_selectorELNS0_4arch9wavefront6targetE0EEEvSG_.num_agpr, 0
	.set _ZN7rocprim17ROCPRIM_400000_NS6detail17trampoline_kernelINS0_14default_configENS1_35radix_sort_onesweep_config_selectorIhNS0_10empty_typeEEEZZNS1_29radix_sort_onesweep_iterationIS3_Lb0EPKhPhPS5_SB_mNS0_19identity_decomposerENS1_16block_id_wrapperIjLb0EEEEE10hipError_tT1_PNSt15iterator_traitsISG_E10value_typeET2_T3_PNSH_ISM_E10value_typeET4_T5_PSR_SS_PNS1_23onesweep_lookback_stateEbbT6_jjT7_P12ihipStream_tbENKUlT_T0_SG_SL_E_clISA_SA_SB_SB_EEDaSZ_S10_SG_SL_EUlSZ_E_NS1_11comp_targetILNS1_3genE6ELNS1_11target_archE950ELNS1_3gpuE13ELNS1_3repE0EEENS1_47radix_sort_onesweep_sort_config_static_selectorELNS0_4arch9wavefront6targetE0EEEvSG_.numbered_sgpr, 0
	.set _ZN7rocprim17ROCPRIM_400000_NS6detail17trampoline_kernelINS0_14default_configENS1_35radix_sort_onesweep_config_selectorIhNS0_10empty_typeEEEZZNS1_29radix_sort_onesweep_iterationIS3_Lb0EPKhPhPS5_SB_mNS0_19identity_decomposerENS1_16block_id_wrapperIjLb0EEEEE10hipError_tT1_PNSt15iterator_traitsISG_E10value_typeET2_T3_PNSH_ISM_E10value_typeET4_T5_PSR_SS_PNS1_23onesweep_lookback_stateEbbT6_jjT7_P12ihipStream_tbENKUlT_T0_SG_SL_E_clISA_SA_SB_SB_EEDaSZ_S10_SG_SL_EUlSZ_E_NS1_11comp_targetILNS1_3genE6ELNS1_11target_archE950ELNS1_3gpuE13ELNS1_3repE0EEENS1_47radix_sort_onesweep_sort_config_static_selectorELNS0_4arch9wavefront6targetE0EEEvSG_.num_named_barrier, 0
	.set _ZN7rocprim17ROCPRIM_400000_NS6detail17trampoline_kernelINS0_14default_configENS1_35radix_sort_onesweep_config_selectorIhNS0_10empty_typeEEEZZNS1_29radix_sort_onesweep_iterationIS3_Lb0EPKhPhPS5_SB_mNS0_19identity_decomposerENS1_16block_id_wrapperIjLb0EEEEE10hipError_tT1_PNSt15iterator_traitsISG_E10value_typeET2_T3_PNSH_ISM_E10value_typeET4_T5_PSR_SS_PNS1_23onesweep_lookback_stateEbbT6_jjT7_P12ihipStream_tbENKUlT_T0_SG_SL_E_clISA_SA_SB_SB_EEDaSZ_S10_SG_SL_EUlSZ_E_NS1_11comp_targetILNS1_3genE6ELNS1_11target_archE950ELNS1_3gpuE13ELNS1_3repE0EEENS1_47radix_sort_onesweep_sort_config_static_selectorELNS0_4arch9wavefront6targetE0EEEvSG_.private_seg_size, 0
	.set _ZN7rocprim17ROCPRIM_400000_NS6detail17trampoline_kernelINS0_14default_configENS1_35radix_sort_onesweep_config_selectorIhNS0_10empty_typeEEEZZNS1_29radix_sort_onesweep_iterationIS3_Lb0EPKhPhPS5_SB_mNS0_19identity_decomposerENS1_16block_id_wrapperIjLb0EEEEE10hipError_tT1_PNSt15iterator_traitsISG_E10value_typeET2_T3_PNSH_ISM_E10value_typeET4_T5_PSR_SS_PNS1_23onesweep_lookback_stateEbbT6_jjT7_P12ihipStream_tbENKUlT_T0_SG_SL_E_clISA_SA_SB_SB_EEDaSZ_S10_SG_SL_EUlSZ_E_NS1_11comp_targetILNS1_3genE6ELNS1_11target_archE950ELNS1_3gpuE13ELNS1_3repE0EEENS1_47radix_sort_onesweep_sort_config_static_selectorELNS0_4arch9wavefront6targetE0EEEvSG_.uses_vcc, 0
	.set _ZN7rocprim17ROCPRIM_400000_NS6detail17trampoline_kernelINS0_14default_configENS1_35radix_sort_onesweep_config_selectorIhNS0_10empty_typeEEEZZNS1_29radix_sort_onesweep_iterationIS3_Lb0EPKhPhPS5_SB_mNS0_19identity_decomposerENS1_16block_id_wrapperIjLb0EEEEE10hipError_tT1_PNSt15iterator_traitsISG_E10value_typeET2_T3_PNSH_ISM_E10value_typeET4_T5_PSR_SS_PNS1_23onesweep_lookback_stateEbbT6_jjT7_P12ihipStream_tbENKUlT_T0_SG_SL_E_clISA_SA_SB_SB_EEDaSZ_S10_SG_SL_EUlSZ_E_NS1_11comp_targetILNS1_3genE6ELNS1_11target_archE950ELNS1_3gpuE13ELNS1_3repE0EEENS1_47radix_sort_onesweep_sort_config_static_selectorELNS0_4arch9wavefront6targetE0EEEvSG_.uses_flat_scratch, 0
	.set _ZN7rocprim17ROCPRIM_400000_NS6detail17trampoline_kernelINS0_14default_configENS1_35radix_sort_onesweep_config_selectorIhNS0_10empty_typeEEEZZNS1_29radix_sort_onesweep_iterationIS3_Lb0EPKhPhPS5_SB_mNS0_19identity_decomposerENS1_16block_id_wrapperIjLb0EEEEE10hipError_tT1_PNSt15iterator_traitsISG_E10value_typeET2_T3_PNSH_ISM_E10value_typeET4_T5_PSR_SS_PNS1_23onesweep_lookback_stateEbbT6_jjT7_P12ihipStream_tbENKUlT_T0_SG_SL_E_clISA_SA_SB_SB_EEDaSZ_S10_SG_SL_EUlSZ_E_NS1_11comp_targetILNS1_3genE6ELNS1_11target_archE950ELNS1_3gpuE13ELNS1_3repE0EEENS1_47radix_sort_onesweep_sort_config_static_selectorELNS0_4arch9wavefront6targetE0EEEvSG_.has_dyn_sized_stack, 0
	.set _ZN7rocprim17ROCPRIM_400000_NS6detail17trampoline_kernelINS0_14default_configENS1_35radix_sort_onesweep_config_selectorIhNS0_10empty_typeEEEZZNS1_29radix_sort_onesweep_iterationIS3_Lb0EPKhPhPS5_SB_mNS0_19identity_decomposerENS1_16block_id_wrapperIjLb0EEEEE10hipError_tT1_PNSt15iterator_traitsISG_E10value_typeET2_T3_PNSH_ISM_E10value_typeET4_T5_PSR_SS_PNS1_23onesweep_lookback_stateEbbT6_jjT7_P12ihipStream_tbENKUlT_T0_SG_SL_E_clISA_SA_SB_SB_EEDaSZ_S10_SG_SL_EUlSZ_E_NS1_11comp_targetILNS1_3genE6ELNS1_11target_archE950ELNS1_3gpuE13ELNS1_3repE0EEENS1_47radix_sort_onesweep_sort_config_static_selectorELNS0_4arch9wavefront6targetE0EEEvSG_.has_recursion, 0
	.set _ZN7rocprim17ROCPRIM_400000_NS6detail17trampoline_kernelINS0_14default_configENS1_35radix_sort_onesweep_config_selectorIhNS0_10empty_typeEEEZZNS1_29radix_sort_onesweep_iterationIS3_Lb0EPKhPhPS5_SB_mNS0_19identity_decomposerENS1_16block_id_wrapperIjLb0EEEEE10hipError_tT1_PNSt15iterator_traitsISG_E10value_typeET2_T3_PNSH_ISM_E10value_typeET4_T5_PSR_SS_PNS1_23onesweep_lookback_stateEbbT6_jjT7_P12ihipStream_tbENKUlT_T0_SG_SL_E_clISA_SA_SB_SB_EEDaSZ_S10_SG_SL_EUlSZ_E_NS1_11comp_targetILNS1_3genE6ELNS1_11target_archE950ELNS1_3gpuE13ELNS1_3repE0EEENS1_47radix_sort_onesweep_sort_config_static_selectorELNS0_4arch9wavefront6targetE0EEEvSG_.has_indirect_call, 0
	.section	.AMDGPU.csdata,"",@progbits
; Kernel info:
; codeLenInByte = 0
; TotalNumSgprs: 0
; NumVgprs: 0
; ScratchSize: 0
; MemoryBound: 0
; FloatMode: 240
; IeeeMode: 1
; LDSByteSize: 0 bytes/workgroup (compile time only)
; SGPRBlocks: 0
; VGPRBlocks: 0
; NumSGPRsForWavesPerEU: 1
; NumVGPRsForWavesPerEU: 1
; NamedBarCnt: 0
; Occupancy: 16
; WaveLimiterHint : 0
; COMPUTE_PGM_RSRC2:SCRATCH_EN: 0
; COMPUTE_PGM_RSRC2:USER_SGPR: 2
; COMPUTE_PGM_RSRC2:TRAP_HANDLER: 0
; COMPUTE_PGM_RSRC2:TGID_X_EN: 1
; COMPUTE_PGM_RSRC2:TGID_Y_EN: 0
; COMPUTE_PGM_RSRC2:TGID_Z_EN: 0
; COMPUTE_PGM_RSRC2:TIDIG_COMP_CNT: 0
	.section	.text._ZN7rocprim17ROCPRIM_400000_NS6detail17trampoline_kernelINS0_14default_configENS1_35radix_sort_onesweep_config_selectorIhNS0_10empty_typeEEEZZNS1_29radix_sort_onesweep_iterationIS3_Lb0EPKhPhPS5_SB_mNS0_19identity_decomposerENS1_16block_id_wrapperIjLb0EEEEE10hipError_tT1_PNSt15iterator_traitsISG_E10value_typeET2_T3_PNSH_ISM_E10value_typeET4_T5_PSR_SS_PNS1_23onesweep_lookback_stateEbbT6_jjT7_P12ihipStream_tbENKUlT_T0_SG_SL_E_clISA_SA_SB_SB_EEDaSZ_S10_SG_SL_EUlSZ_E_NS1_11comp_targetILNS1_3genE5ELNS1_11target_archE942ELNS1_3gpuE9ELNS1_3repE0EEENS1_47radix_sort_onesweep_sort_config_static_selectorELNS0_4arch9wavefront6targetE0EEEvSG_,"axG",@progbits,_ZN7rocprim17ROCPRIM_400000_NS6detail17trampoline_kernelINS0_14default_configENS1_35radix_sort_onesweep_config_selectorIhNS0_10empty_typeEEEZZNS1_29radix_sort_onesweep_iterationIS3_Lb0EPKhPhPS5_SB_mNS0_19identity_decomposerENS1_16block_id_wrapperIjLb0EEEEE10hipError_tT1_PNSt15iterator_traitsISG_E10value_typeET2_T3_PNSH_ISM_E10value_typeET4_T5_PSR_SS_PNS1_23onesweep_lookback_stateEbbT6_jjT7_P12ihipStream_tbENKUlT_T0_SG_SL_E_clISA_SA_SB_SB_EEDaSZ_S10_SG_SL_EUlSZ_E_NS1_11comp_targetILNS1_3genE5ELNS1_11target_archE942ELNS1_3gpuE9ELNS1_3repE0EEENS1_47radix_sort_onesweep_sort_config_static_selectorELNS0_4arch9wavefront6targetE0EEEvSG_,comdat
	.protected	_ZN7rocprim17ROCPRIM_400000_NS6detail17trampoline_kernelINS0_14default_configENS1_35radix_sort_onesweep_config_selectorIhNS0_10empty_typeEEEZZNS1_29radix_sort_onesweep_iterationIS3_Lb0EPKhPhPS5_SB_mNS0_19identity_decomposerENS1_16block_id_wrapperIjLb0EEEEE10hipError_tT1_PNSt15iterator_traitsISG_E10value_typeET2_T3_PNSH_ISM_E10value_typeET4_T5_PSR_SS_PNS1_23onesweep_lookback_stateEbbT6_jjT7_P12ihipStream_tbENKUlT_T0_SG_SL_E_clISA_SA_SB_SB_EEDaSZ_S10_SG_SL_EUlSZ_E_NS1_11comp_targetILNS1_3genE5ELNS1_11target_archE942ELNS1_3gpuE9ELNS1_3repE0EEENS1_47radix_sort_onesweep_sort_config_static_selectorELNS0_4arch9wavefront6targetE0EEEvSG_ ; -- Begin function _ZN7rocprim17ROCPRIM_400000_NS6detail17trampoline_kernelINS0_14default_configENS1_35radix_sort_onesweep_config_selectorIhNS0_10empty_typeEEEZZNS1_29radix_sort_onesweep_iterationIS3_Lb0EPKhPhPS5_SB_mNS0_19identity_decomposerENS1_16block_id_wrapperIjLb0EEEEE10hipError_tT1_PNSt15iterator_traitsISG_E10value_typeET2_T3_PNSH_ISM_E10value_typeET4_T5_PSR_SS_PNS1_23onesweep_lookback_stateEbbT6_jjT7_P12ihipStream_tbENKUlT_T0_SG_SL_E_clISA_SA_SB_SB_EEDaSZ_S10_SG_SL_EUlSZ_E_NS1_11comp_targetILNS1_3genE5ELNS1_11target_archE942ELNS1_3gpuE9ELNS1_3repE0EEENS1_47radix_sort_onesweep_sort_config_static_selectorELNS0_4arch9wavefront6targetE0EEEvSG_
	.globl	_ZN7rocprim17ROCPRIM_400000_NS6detail17trampoline_kernelINS0_14default_configENS1_35radix_sort_onesweep_config_selectorIhNS0_10empty_typeEEEZZNS1_29radix_sort_onesweep_iterationIS3_Lb0EPKhPhPS5_SB_mNS0_19identity_decomposerENS1_16block_id_wrapperIjLb0EEEEE10hipError_tT1_PNSt15iterator_traitsISG_E10value_typeET2_T3_PNSH_ISM_E10value_typeET4_T5_PSR_SS_PNS1_23onesweep_lookback_stateEbbT6_jjT7_P12ihipStream_tbENKUlT_T0_SG_SL_E_clISA_SA_SB_SB_EEDaSZ_S10_SG_SL_EUlSZ_E_NS1_11comp_targetILNS1_3genE5ELNS1_11target_archE942ELNS1_3gpuE9ELNS1_3repE0EEENS1_47radix_sort_onesweep_sort_config_static_selectorELNS0_4arch9wavefront6targetE0EEEvSG_
	.p2align	8
	.type	_ZN7rocprim17ROCPRIM_400000_NS6detail17trampoline_kernelINS0_14default_configENS1_35radix_sort_onesweep_config_selectorIhNS0_10empty_typeEEEZZNS1_29radix_sort_onesweep_iterationIS3_Lb0EPKhPhPS5_SB_mNS0_19identity_decomposerENS1_16block_id_wrapperIjLb0EEEEE10hipError_tT1_PNSt15iterator_traitsISG_E10value_typeET2_T3_PNSH_ISM_E10value_typeET4_T5_PSR_SS_PNS1_23onesweep_lookback_stateEbbT6_jjT7_P12ihipStream_tbENKUlT_T0_SG_SL_E_clISA_SA_SB_SB_EEDaSZ_S10_SG_SL_EUlSZ_E_NS1_11comp_targetILNS1_3genE5ELNS1_11target_archE942ELNS1_3gpuE9ELNS1_3repE0EEENS1_47radix_sort_onesweep_sort_config_static_selectorELNS0_4arch9wavefront6targetE0EEEvSG_,@function
_ZN7rocprim17ROCPRIM_400000_NS6detail17trampoline_kernelINS0_14default_configENS1_35radix_sort_onesweep_config_selectorIhNS0_10empty_typeEEEZZNS1_29radix_sort_onesweep_iterationIS3_Lb0EPKhPhPS5_SB_mNS0_19identity_decomposerENS1_16block_id_wrapperIjLb0EEEEE10hipError_tT1_PNSt15iterator_traitsISG_E10value_typeET2_T3_PNSH_ISM_E10value_typeET4_T5_PSR_SS_PNS1_23onesweep_lookback_stateEbbT6_jjT7_P12ihipStream_tbENKUlT_T0_SG_SL_E_clISA_SA_SB_SB_EEDaSZ_S10_SG_SL_EUlSZ_E_NS1_11comp_targetILNS1_3genE5ELNS1_11target_archE942ELNS1_3gpuE9ELNS1_3repE0EEENS1_47radix_sort_onesweep_sort_config_static_selectorELNS0_4arch9wavefront6targetE0EEEvSG_: ; @_ZN7rocprim17ROCPRIM_400000_NS6detail17trampoline_kernelINS0_14default_configENS1_35radix_sort_onesweep_config_selectorIhNS0_10empty_typeEEEZZNS1_29radix_sort_onesweep_iterationIS3_Lb0EPKhPhPS5_SB_mNS0_19identity_decomposerENS1_16block_id_wrapperIjLb0EEEEE10hipError_tT1_PNSt15iterator_traitsISG_E10value_typeET2_T3_PNSH_ISM_E10value_typeET4_T5_PSR_SS_PNS1_23onesweep_lookback_stateEbbT6_jjT7_P12ihipStream_tbENKUlT_T0_SG_SL_E_clISA_SA_SB_SB_EEDaSZ_S10_SG_SL_EUlSZ_E_NS1_11comp_targetILNS1_3genE5ELNS1_11target_archE942ELNS1_3gpuE9ELNS1_3repE0EEENS1_47radix_sort_onesweep_sort_config_static_selectorELNS0_4arch9wavefront6targetE0EEEvSG_
; %bb.0:
	.section	.rodata,"a",@progbits
	.p2align	6, 0x0
	.amdhsa_kernel _ZN7rocprim17ROCPRIM_400000_NS6detail17trampoline_kernelINS0_14default_configENS1_35radix_sort_onesweep_config_selectorIhNS0_10empty_typeEEEZZNS1_29radix_sort_onesweep_iterationIS3_Lb0EPKhPhPS5_SB_mNS0_19identity_decomposerENS1_16block_id_wrapperIjLb0EEEEE10hipError_tT1_PNSt15iterator_traitsISG_E10value_typeET2_T3_PNSH_ISM_E10value_typeET4_T5_PSR_SS_PNS1_23onesweep_lookback_stateEbbT6_jjT7_P12ihipStream_tbENKUlT_T0_SG_SL_E_clISA_SA_SB_SB_EEDaSZ_S10_SG_SL_EUlSZ_E_NS1_11comp_targetILNS1_3genE5ELNS1_11target_archE942ELNS1_3gpuE9ELNS1_3repE0EEENS1_47radix_sort_onesweep_sort_config_static_selectorELNS0_4arch9wavefront6targetE0EEEvSG_
		.amdhsa_group_segment_fixed_size 0
		.amdhsa_private_segment_fixed_size 0
		.amdhsa_kernarg_size 88
		.amdhsa_user_sgpr_count 2
		.amdhsa_user_sgpr_dispatch_ptr 0
		.amdhsa_user_sgpr_queue_ptr 0
		.amdhsa_user_sgpr_kernarg_segment_ptr 1
		.amdhsa_user_sgpr_dispatch_id 0
		.amdhsa_user_sgpr_kernarg_preload_length 0
		.amdhsa_user_sgpr_kernarg_preload_offset 0
		.amdhsa_user_sgpr_private_segment_size 0
		.amdhsa_wavefront_size32 1
		.amdhsa_uses_dynamic_stack 0
		.amdhsa_enable_private_segment 0
		.amdhsa_system_sgpr_workgroup_id_x 1
		.amdhsa_system_sgpr_workgroup_id_y 0
		.amdhsa_system_sgpr_workgroup_id_z 0
		.amdhsa_system_sgpr_workgroup_info 0
		.amdhsa_system_vgpr_workitem_id 0
		.amdhsa_next_free_vgpr 1
		.amdhsa_next_free_sgpr 1
		.amdhsa_named_barrier_count 0
		.amdhsa_reserve_vcc 0
		.amdhsa_float_round_mode_32 0
		.amdhsa_float_round_mode_16_64 0
		.amdhsa_float_denorm_mode_32 3
		.amdhsa_float_denorm_mode_16_64 3
		.amdhsa_fp16_overflow 0
		.amdhsa_memory_ordered 1
		.amdhsa_forward_progress 1
		.amdhsa_inst_pref_size 0
		.amdhsa_round_robin_scheduling 0
		.amdhsa_exception_fp_ieee_invalid_op 0
		.amdhsa_exception_fp_denorm_src 0
		.amdhsa_exception_fp_ieee_div_zero 0
		.amdhsa_exception_fp_ieee_overflow 0
		.amdhsa_exception_fp_ieee_underflow 0
		.amdhsa_exception_fp_ieee_inexact 0
		.amdhsa_exception_int_div_zero 0
	.end_amdhsa_kernel
	.section	.text._ZN7rocprim17ROCPRIM_400000_NS6detail17trampoline_kernelINS0_14default_configENS1_35radix_sort_onesweep_config_selectorIhNS0_10empty_typeEEEZZNS1_29radix_sort_onesweep_iterationIS3_Lb0EPKhPhPS5_SB_mNS0_19identity_decomposerENS1_16block_id_wrapperIjLb0EEEEE10hipError_tT1_PNSt15iterator_traitsISG_E10value_typeET2_T3_PNSH_ISM_E10value_typeET4_T5_PSR_SS_PNS1_23onesweep_lookback_stateEbbT6_jjT7_P12ihipStream_tbENKUlT_T0_SG_SL_E_clISA_SA_SB_SB_EEDaSZ_S10_SG_SL_EUlSZ_E_NS1_11comp_targetILNS1_3genE5ELNS1_11target_archE942ELNS1_3gpuE9ELNS1_3repE0EEENS1_47radix_sort_onesweep_sort_config_static_selectorELNS0_4arch9wavefront6targetE0EEEvSG_,"axG",@progbits,_ZN7rocprim17ROCPRIM_400000_NS6detail17trampoline_kernelINS0_14default_configENS1_35radix_sort_onesweep_config_selectorIhNS0_10empty_typeEEEZZNS1_29radix_sort_onesweep_iterationIS3_Lb0EPKhPhPS5_SB_mNS0_19identity_decomposerENS1_16block_id_wrapperIjLb0EEEEE10hipError_tT1_PNSt15iterator_traitsISG_E10value_typeET2_T3_PNSH_ISM_E10value_typeET4_T5_PSR_SS_PNS1_23onesweep_lookback_stateEbbT6_jjT7_P12ihipStream_tbENKUlT_T0_SG_SL_E_clISA_SA_SB_SB_EEDaSZ_S10_SG_SL_EUlSZ_E_NS1_11comp_targetILNS1_3genE5ELNS1_11target_archE942ELNS1_3gpuE9ELNS1_3repE0EEENS1_47radix_sort_onesweep_sort_config_static_selectorELNS0_4arch9wavefront6targetE0EEEvSG_,comdat
.Lfunc_end248:
	.size	_ZN7rocprim17ROCPRIM_400000_NS6detail17trampoline_kernelINS0_14default_configENS1_35radix_sort_onesweep_config_selectorIhNS0_10empty_typeEEEZZNS1_29radix_sort_onesweep_iterationIS3_Lb0EPKhPhPS5_SB_mNS0_19identity_decomposerENS1_16block_id_wrapperIjLb0EEEEE10hipError_tT1_PNSt15iterator_traitsISG_E10value_typeET2_T3_PNSH_ISM_E10value_typeET4_T5_PSR_SS_PNS1_23onesweep_lookback_stateEbbT6_jjT7_P12ihipStream_tbENKUlT_T0_SG_SL_E_clISA_SA_SB_SB_EEDaSZ_S10_SG_SL_EUlSZ_E_NS1_11comp_targetILNS1_3genE5ELNS1_11target_archE942ELNS1_3gpuE9ELNS1_3repE0EEENS1_47radix_sort_onesweep_sort_config_static_selectorELNS0_4arch9wavefront6targetE0EEEvSG_, .Lfunc_end248-_ZN7rocprim17ROCPRIM_400000_NS6detail17trampoline_kernelINS0_14default_configENS1_35radix_sort_onesweep_config_selectorIhNS0_10empty_typeEEEZZNS1_29radix_sort_onesweep_iterationIS3_Lb0EPKhPhPS5_SB_mNS0_19identity_decomposerENS1_16block_id_wrapperIjLb0EEEEE10hipError_tT1_PNSt15iterator_traitsISG_E10value_typeET2_T3_PNSH_ISM_E10value_typeET4_T5_PSR_SS_PNS1_23onesweep_lookback_stateEbbT6_jjT7_P12ihipStream_tbENKUlT_T0_SG_SL_E_clISA_SA_SB_SB_EEDaSZ_S10_SG_SL_EUlSZ_E_NS1_11comp_targetILNS1_3genE5ELNS1_11target_archE942ELNS1_3gpuE9ELNS1_3repE0EEENS1_47radix_sort_onesweep_sort_config_static_selectorELNS0_4arch9wavefront6targetE0EEEvSG_
                                        ; -- End function
	.set _ZN7rocprim17ROCPRIM_400000_NS6detail17trampoline_kernelINS0_14default_configENS1_35radix_sort_onesweep_config_selectorIhNS0_10empty_typeEEEZZNS1_29radix_sort_onesweep_iterationIS3_Lb0EPKhPhPS5_SB_mNS0_19identity_decomposerENS1_16block_id_wrapperIjLb0EEEEE10hipError_tT1_PNSt15iterator_traitsISG_E10value_typeET2_T3_PNSH_ISM_E10value_typeET4_T5_PSR_SS_PNS1_23onesweep_lookback_stateEbbT6_jjT7_P12ihipStream_tbENKUlT_T0_SG_SL_E_clISA_SA_SB_SB_EEDaSZ_S10_SG_SL_EUlSZ_E_NS1_11comp_targetILNS1_3genE5ELNS1_11target_archE942ELNS1_3gpuE9ELNS1_3repE0EEENS1_47radix_sort_onesweep_sort_config_static_selectorELNS0_4arch9wavefront6targetE0EEEvSG_.num_vgpr, 0
	.set _ZN7rocprim17ROCPRIM_400000_NS6detail17trampoline_kernelINS0_14default_configENS1_35radix_sort_onesweep_config_selectorIhNS0_10empty_typeEEEZZNS1_29radix_sort_onesweep_iterationIS3_Lb0EPKhPhPS5_SB_mNS0_19identity_decomposerENS1_16block_id_wrapperIjLb0EEEEE10hipError_tT1_PNSt15iterator_traitsISG_E10value_typeET2_T3_PNSH_ISM_E10value_typeET4_T5_PSR_SS_PNS1_23onesweep_lookback_stateEbbT6_jjT7_P12ihipStream_tbENKUlT_T0_SG_SL_E_clISA_SA_SB_SB_EEDaSZ_S10_SG_SL_EUlSZ_E_NS1_11comp_targetILNS1_3genE5ELNS1_11target_archE942ELNS1_3gpuE9ELNS1_3repE0EEENS1_47radix_sort_onesweep_sort_config_static_selectorELNS0_4arch9wavefront6targetE0EEEvSG_.num_agpr, 0
	.set _ZN7rocprim17ROCPRIM_400000_NS6detail17trampoline_kernelINS0_14default_configENS1_35radix_sort_onesweep_config_selectorIhNS0_10empty_typeEEEZZNS1_29radix_sort_onesweep_iterationIS3_Lb0EPKhPhPS5_SB_mNS0_19identity_decomposerENS1_16block_id_wrapperIjLb0EEEEE10hipError_tT1_PNSt15iterator_traitsISG_E10value_typeET2_T3_PNSH_ISM_E10value_typeET4_T5_PSR_SS_PNS1_23onesweep_lookback_stateEbbT6_jjT7_P12ihipStream_tbENKUlT_T0_SG_SL_E_clISA_SA_SB_SB_EEDaSZ_S10_SG_SL_EUlSZ_E_NS1_11comp_targetILNS1_3genE5ELNS1_11target_archE942ELNS1_3gpuE9ELNS1_3repE0EEENS1_47radix_sort_onesweep_sort_config_static_selectorELNS0_4arch9wavefront6targetE0EEEvSG_.numbered_sgpr, 0
	.set _ZN7rocprim17ROCPRIM_400000_NS6detail17trampoline_kernelINS0_14default_configENS1_35radix_sort_onesweep_config_selectorIhNS0_10empty_typeEEEZZNS1_29radix_sort_onesweep_iterationIS3_Lb0EPKhPhPS5_SB_mNS0_19identity_decomposerENS1_16block_id_wrapperIjLb0EEEEE10hipError_tT1_PNSt15iterator_traitsISG_E10value_typeET2_T3_PNSH_ISM_E10value_typeET4_T5_PSR_SS_PNS1_23onesweep_lookback_stateEbbT6_jjT7_P12ihipStream_tbENKUlT_T0_SG_SL_E_clISA_SA_SB_SB_EEDaSZ_S10_SG_SL_EUlSZ_E_NS1_11comp_targetILNS1_3genE5ELNS1_11target_archE942ELNS1_3gpuE9ELNS1_3repE0EEENS1_47radix_sort_onesweep_sort_config_static_selectorELNS0_4arch9wavefront6targetE0EEEvSG_.num_named_barrier, 0
	.set _ZN7rocprim17ROCPRIM_400000_NS6detail17trampoline_kernelINS0_14default_configENS1_35radix_sort_onesweep_config_selectorIhNS0_10empty_typeEEEZZNS1_29radix_sort_onesweep_iterationIS3_Lb0EPKhPhPS5_SB_mNS0_19identity_decomposerENS1_16block_id_wrapperIjLb0EEEEE10hipError_tT1_PNSt15iterator_traitsISG_E10value_typeET2_T3_PNSH_ISM_E10value_typeET4_T5_PSR_SS_PNS1_23onesweep_lookback_stateEbbT6_jjT7_P12ihipStream_tbENKUlT_T0_SG_SL_E_clISA_SA_SB_SB_EEDaSZ_S10_SG_SL_EUlSZ_E_NS1_11comp_targetILNS1_3genE5ELNS1_11target_archE942ELNS1_3gpuE9ELNS1_3repE0EEENS1_47radix_sort_onesweep_sort_config_static_selectorELNS0_4arch9wavefront6targetE0EEEvSG_.private_seg_size, 0
	.set _ZN7rocprim17ROCPRIM_400000_NS6detail17trampoline_kernelINS0_14default_configENS1_35radix_sort_onesweep_config_selectorIhNS0_10empty_typeEEEZZNS1_29radix_sort_onesweep_iterationIS3_Lb0EPKhPhPS5_SB_mNS0_19identity_decomposerENS1_16block_id_wrapperIjLb0EEEEE10hipError_tT1_PNSt15iterator_traitsISG_E10value_typeET2_T3_PNSH_ISM_E10value_typeET4_T5_PSR_SS_PNS1_23onesweep_lookback_stateEbbT6_jjT7_P12ihipStream_tbENKUlT_T0_SG_SL_E_clISA_SA_SB_SB_EEDaSZ_S10_SG_SL_EUlSZ_E_NS1_11comp_targetILNS1_3genE5ELNS1_11target_archE942ELNS1_3gpuE9ELNS1_3repE0EEENS1_47radix_sort_onesweep_sort_config_static_selectorELNS0_4arch9wavefront6targetE0EEEvSG_.uses_vcc, 0
	.set _ZN7rocprim17ROCPRIM_400000_NS6detail17trampoline_kernelINS0_14default_configENS1_35radix_sort_onesweep_config_selectorIhNS0_10empty_typeEEEZZNS1_29radix_sort_onesweep_iterationIS3_Lb0EPKhPhPS5_SB_mNS0_19identity_decomposerENS1_16block_id_wrapperIjLb0EEEEE10hipError_tT1_PNSt15iterator_traitsISG_E10value_typeET2_T3_PNSH_ISM_E10value_typeET4_T5_PSR_SS_PNS1_23onesweep_lookback_stateEbbT6_jjT7_P12ihipStream_tbENKUlT_T0_SG_SL_E_clISA_SA_SB_SB_EEDaSZ_S10_SG_SL_EUlSZ_E_NS1_11comp_targetILNS1_3genE5ELNS1_11target_archE942ELNS1_3gpuE9ELNS1_3repE0EEENS1_47radix_sort_onesweep_sort_config_static_selectorELNS0_4arch9wavefront6targetE0EEEvSG_.uses_flat_scratch, 0
	.set _ZN7rocprim17ROCPRIM_400000_NS6detail17trampoline_kernelINS0_14default_configENS1_35radix_sort_onesweep_config_selectorIhNS0_10empty_typeEEEZZNS1_29radix_sort_onesweep_iterationIS3_Lb0EPKhPhPS5_SB_mNS0_19identity_decomposerENS1_16block_id_wrapperIjLb0EEEEE10hipError_tT1_PNSt15iterator_traitsISG_E10value_typeET2_T3_PNSH_ISM_E10value_typeET4_T5_PSR_SS_PNS1_23onesweep_lookback_stateEbbT6_jjT7_P12ihipStream_tbENKUlT_T0_SG_SL_E_clISA_SA_SB_SB_EEDaSZ_S10_SG_SL_EUlSZ_E_NS1_11comp_targetILNS1_3genE5ELNS1_11target_archE942ELNS1_3gpuE9ELNS1_3repE0EEENS1_47radix_sort_onesweep_sort_config_static_selectorELNS0_4arch9wavefront6targetE0EEEvSG_.has_dyn_sized_stack, 0
	.set _ZN7rocprim17ROCPRIM_400000_NS6detail17trampoline_kernelINS0_14default_configENS1_35radix_sort_onesweep_config_selectorIhNS0_10empty_typeEEEZZNS1_29radix_sort_onesweep_iterationIS3_Lb0EPKhPhPS5_SB_mNS0_19identity_decomposerENS1_16block_id_wrapperIjLb0EEEEE10hipError_tT1_PNSt15iterator_traitsISG_E10value_typeET2_T3_PNSH_ISM_E10value_typeET4_T5_PSR_SS_PNS1_23onesweep_lookback_stateEbbT6_jjT7_P12ihipStream_tbENKUlT_T0_SG_SL_E_clISA_SA_SB_SB_EEDaSZ_S10_SG_SL_EUlSZ_E_NS1_11comp_targetILNS1_3genE5ELNS1_11target_archE942ELNS1_3gpuE9ELNS1_3repE0EEENS1_47radix_sort_onesweep_sort_config_static_selectorELNS0_4arch9wavefront6targetE0EEEvSG_.has_recursion, 0
	.set _ZN7rocprim17ROCPRIM_400000_NS6detail17trampoline_kernelINS0_14default_configENS1_35radix_sort_onesweep_config_selectorIhNS0_10empty_typeEEEZZNS1_29radix_sort_onesweep_iterationIS3_Lb0EPKhPhPS5_SB_mNS0_19identity_decomposerENS1_16block_id_wrapperIjLb0EEEEE10hipError_tT1_PNSt15iterator_traitsISG_E10value_typeET2_T3_PNSH_ISM_E10value_typeET4_T5_PSR_SS_PNS1_23onesweep_lookback_stateEbbT6_jjT7_P12ihipStream_tbENKUlT_T0_SG_SL_E_clISA_SA_SB_SB_EEDaSZ_S10_SG_SL_EUlSZ_E_NS1_11comp_targetILNS1_3genE5ELNS1_11target_archE942ELNS1_3gpuE9ELNS1_3repE0EEENS1_47radix_sort_onesweep_sort_config_static_selectorELNS0_4arch9wavefront6targetE0EEEvSG_.has_indirect_call, 0
	.section	.AMDGPU.csdata,"",@progbits
; Kernel info:
; codeLenInByte = 0
; TotalNumSgprs: 0
; NumVgprs: 0
; ScratchSize: 0
; MemoryBound: 0
; FloatMode: 240
; IeeeMode: 1
; LDSByteSize: 0 bytes/workgroup (compile time only)
; SGPRBlocks: 0
; VGPRBlocks: 0
; NumSGPRsForWavesPerEU: 1
; NumVGPRsForWavesPerEU: 1
; NamedBarCnt: 0
; Occupancy: 16
; WaveLimiterHint : 0
; COMPUTE_PGM_RSRC2:SCRATCH_EN: 0
; COMPUTE_PGM_RSRC2:USER_SGPR: 2
; COMPUTE_PGM_RSRC2:TRAP_HANDLER: 0
; COMPUTE_PGM_RSRC2:TGID_X_EN: 1
; COMPUTE_PGM_RSRC2:TGID_Y_EN: 0
; COMPUTE_PGM_RSRC2:TGID_Z_EN: 0
; COMPUTE_PGM_RSRC2:TIDIG_COMP_CNT: 0
	.section	.text._ZN7rocprim17ROCPRIM_400000_NS6detail17trampoline_kernelINS0_14default_configENS1_35radix_sort_onesweep_config_selectorIhNS0_10empty_typeEEEZZNS1_29radix_sort_onesweep_iterationIS3_Lb0EPKhPhPS5_SB_mNS0_19identity_decomposerENS1_16block_id_wrapperIjLb0EEEEE10hipError_tT1_PNSt15iterator_traitsISG_E10value_typeET2_T3_PNSH_ISM_E10value_typeET4_T5_PSR_SS_PNS1_23onesweep_lookback_stateEbbT6_jjT7_P12ihipStream_tbENKUlT_T0_SG_SL_E_clISA_SA_SB_SB_EEDaSZ_S10_SG_SL_EUlSZ_E_NS1_11comp_targetILNS1_3genE2ELNS1_11target_archE906ELNS1_3gpuE6ELNS1_3repE0EEENS1_47radix_sort_onesweep_sort_config_static_selectorELNS0_4arch9wavefront6targetE0EEEvSG_,"axG",@progbits,_ZN7rocprim17ROCPRIM_400000_NS6detail17trampoline_kernelINS0_14default_configENS1_35radix_sort_onesweep_config_selectorIhNS0_10empty_typeEEEZZNS1_29radix_sort_onesweep_iterationIS3_Lb0EPKhPhPS5_SB_mNS0_19identity_decomposerENS1_16block_id_wrapperIjLb0EEEEE10hipError_tT1_PNSt15iterator_traitsISG_E10value_typeET2_T3_PNSH_ISM_E10value_typeET4_T5_PSR_SS_PNS1_23onesweep_lookback_stateEbbT6_jjT7_P12ihipStream_tbENKUlT_T0_SG_SL_E_clISA_SA_SB_SB_EEDaSZ_S10_SG_SL_EUlSZ_E_NS1_11comp_targetILNS1_3genE2ELNS1_11target_archE906ELNS1_3gpuE6ELNS1_3repE0EEENS1_47radix_sort_onesweep_sort_config_static_selectorELNS0_4arch9wavefront6targetE0EEEvSG_,comdat
	.protected	_ZN7rocprim17ROCPRIM_400000_NS6detail17trampoline_kernelINS0_14default_configENS1_35radix_sort_onesweep_config_selectorIhNS0_10empty_typeEEEZZNS1_29radix_sort_onesweep_iterationIS3_Lb0EPKhPhPS5_SB_mNS0_19identity_decomposerENS1_16block_id_wrapperIjLb0EEEEE10hipError_tT1_PNSt15iterator_traitsISG_E10value_typeET2_T3_PNSH_ISM_E10value_typeET4_T5_PSR_SS_PNS1_23onesweep_lookback_stateEbbT6_jjT7_P12ihipStream_tbENKUlT_T0_SG_SL_E_clISA_SA_SB_SB_EEDaSZ_S10_SG_SL_EUlSZ_E_NS1_11comp_targetILNS1_3genE2ELNS1_11target_archE906ELNS1_3gpuE6ELNS1_3repE0EEENS1_47radix_sort_onesweep_sort_config_static_selectorELNS0_4arch9wavefront6targetE0EEEvSG_ ; -- Begin function _ZN7rocprim17ROCPRIM_400000_NS6detail17trampoline_kernelINS0_14default_configENS1_35radix_sort_onesweep_config_selectorIhNS0_10empty_typeEEEZZNS1_29radix_sort_onesweep_iterationIS3_Lb0EPKhPhPS5_SB_mNS0_19identity_decomposerENS1_16block_id_wrapperIjLb0EEEEE10hipError_tT1_PNSt15iterator_traitsISG_E10value_typeET2_T3_PNSH_ISM_E10value_typeET4_T5_PSR_SS_PNS1_23onesweep_lookback_stateEbbT6_jjT7_P12ihipStream_tbENKUlT_T0_SG_SL_E_clISA_SA_SB_SB_EEDaSZ_S10_SG_SL_EUlSZ_E_NS1_11comp_targetILNS1_3genE2ELNS1_11target_archE906ELNS1_3gpuE6ELNS1_3repE0EEENS1_47radix_sort_onesweep_sort_config_static_selectorELNS0_4arch9wavefront6targetE0EEEvSG_
	.globl	_ZN7rocprim17ROCPRIM_400000_NS6detail17trampoline_kernelINS0_14default_configENS1_35radix_sort_onesweep_config_selectorIhNS0_10empty_typeEEEZZNS1_29radix_sort_onesweep_iterationIS3_Lb0EPKhPhPS5_SB_mNS0_19identity_decomposerENS1_16block_id_wrapperIjLb0EEEEE10hipError_tT1_PNSt15iterator_traitsISG_E10value_typeET2_T3_PNSH_ISM_E10value_typeET4_T5_PSR_SS_PNS1_23onesweep_lookback_stateEbbT6_jjT7_P12ihipStream_tbENKUlT_T0_SG_SL_E_clISA_SA_SB_SB_EEDaSZ_S10_SG_SL_EUlSZ_E_NS1_11comp_targetILNS1_3genE2ELNS1_11target_archE906ELNS1_3gpuE6ELNS1_3repE0EEENS1_47radix_sort_onesweep_sort_config_static_selectorELNS0_4arch9wavefront6targetE0EEEvSG_
	.p2align	8
	.type	_ZN7rocprim17ROCPRIM_400000_NS6detail17trampoline_kernelINS0_14default_configENS1_35radix_sort_onesweep_config_selectorIhNS0_10empty_typeEEEZZNS1_29radix_sort_onesweep_iterationIS3_Lb0EPKhPhPS5_SB_mNS0_19identity_decomposerENS1_16block_id_wrapperIjLb0EEEEE10hipError_tT1_PNSt15iterator_traitsISG_E10value_typeET2_T3_PNSH_ISM_E10value_typeET4_T5_PSR_SS_PNS1_23onesweep_lookback_stateEbbT6_jjT7_P12ihipStream_tbENKUlT_T0_SG_SL_E_clISA_SA_SB_SB_EEDaSZ_S10_SG_SL_EUlSZ_E_NS1_11comp_targetILNS1_3genE2ELNS1_11target_archE906ELNS1_3gpuE6ELNS1_3repE0EEENS1_47radix_sort_onesweep_sort_config_static_selectorELNS0_4arch9wavefront6targetE0EEEvSG_,@function
_ZN7rocprim17ROCPRIM_400000_NS6detail17trampoline_kernelINS0_14default_configENS1_35radix_sort_onesweep_config_selectorIhNS0_10empty_typeEEEZZNS1_29radix_sort_onesweep_iterationIS3_Lb0EPKhPhPS5_SB_mNS0_19identity_decomposerENS1_16block_id_wrapperIjLb0EEEEE10hipError_tT1_PNSt15iterator_traitsISG_E10value_typeET2_T3_PNSH_ISM_E10value_typeET4_T5_PSR_SS_PNS1_23onesweep_lookback_stateEbbT6_jjT7_P12ihipStream_tbENKUlT_T0_SG_SL_E_clISA_SA_SB_SB_EEDaSZ_S10_SG_SL_EUlSZ_E_NS1_11comp_targetILNS1_3genE2ELNS1_11target_archE906ELNS1_3gpuE6ELNS1_3repE0EEENS1_47radix_sort_onesweep_sort_config_static_selectorELNS0_4arch9wavefront6targetE0EEEvSG_: ; @_ZN7rocprim17ROCPRIM_400000_NS6detail17trampoline_kernelINS0_14default_configENS1_35radix_sort_onesweep_config_selectorIhNS0_10empty_typeEEEZZNS1_29radix_sort_onesweep_iterationIS3_Lb0EPKhPhPS5_SB_mNS0_19identity_decomposerENS1_16block_id_wrapperIjLb0EEEEE10hipError_tT1_PNSt15iterator_traitsISG_E10value_typeET2_T3_PNSH_ISM_E10value_typeET4_T5_PSR_SS_PNS1_23onesweep_lookback_stateEbbT6_jjT7_P12ihipStream_tbENKUlT_T0_SG_SL_E_clISA_SA_SB_SB_EEDaSZ_S10_SG_SL_EUlSZ_E_NS1_11comp_targetILNS1_3genE2ELNS1_11target_archE906ELNS1_3gpuE6ELNS1_3repE0EEENS1_47radix_sort_onesweep_sort_config_static_selectorELNS0_4arch9wavefront6targetE0EEEvSG_
; %bb.0:
	.section	.rodata,"a",@progbits
	.p2align	6, 0x0
	.amdhsa_kernel _ZN7rocprim17ROCPRIM_400000_NS6detail17trampoline_kernelINS0_14default_configENS1_35radix_sort_onesweep_config_selectorIhNS0_10empty_typeEEEZZNS1_29radix_sort_onesweep_iterationIS3_Lb0EPKhPhPS5_SB_mNS0_19identity_decomposerENS1_16block_id_wrapperIjLb0EEEEE10hipError_tT1_PNSt15iterator_traitsISG_E10value_typeET2_T3_PNSH_ISM_E10value_typeET4_T5_PSR_SS_PNS1_23onesweep_lookback_stateEbbT6_jjT7_P12ihipStream_tbENKUlT_T0_SG_SL_E_clISA_SA_SB_SB_EEDaSZ_S10_SG_SL_EUlSZ_E_NS1_11comp_targetILNS1_3genE2ELNS1_11target_archE906ELNS1_3gpuE6ELNS1_3repE0EEENS1_47radix_sort_onesweep_sort_config_static_selectorELNS0_4arch9wavefront6targetE0EEEvSG_
		.amdhsa_group_segment_fixed_size 0
		.amdhsa_private_segment_fixed_size 0
		.amdhsa_kernarg_size 88
		.amdhsa_user_sgpr_count 2
		.amdhsa_user_sgpr_dispatch_ptr 0
		.amdhsa_user_sgpr_queue_ptr 0
		.amdhsa_user_sgpr_kernarg_segment_ptr 1
		.amdhsa_user_sgpr_dispatch_id 0
		.amdhsa_user_sgpr_kernarg_preload_length 0
		.amdhsa_user_sgpr_kernarg_preload_offset 0
		.amdhsa_user_sgpr_private_segment_size 0
		.amdhsa_wavefront_size32 1
		.amdhsa_uses_dynamic_stack 0
		.amdhsa_enable_private_segment 0
		.amdhsa_system_sgpr_workgroup_id_x 1
		.amdhsa_system_sgpr_workgroup_id_y 0
		.amdhsa_system_sgpr_workgroup_id_z 0
		.amdhsa_system_sgpr_workgroup_info 0
		.amdhsa_system_vgpr_workitem_id 0
		.amdhsa_next_free_vgpr 1
		.amdhsa_next_free_sgpr 1
		.amdhsa_named_barrier_count 0
		.amdhsa_reserve_vcc 0
		.amdhsa_float_round_mode_32 0
		.amdhsa_float_round_mode_16_64 0
		.amdhsa_float_denorm_mode_32 3
		.amdhsa_float_denorm_mode_16_64 3
		.amdhsa_fp16_overflow 0
		.amdhsa_memory_ordered 1
		.amdhsa_forward_progress 1
		.amdhsa_inst_pref_size 0
		.amdhsa_round_robin_scheduling 0
		.amdhsa_exception_fp_ieee_invalid_op 0
		.amdhsa_exception_fp_denorm_src 0
		.amdhsa_exception_fp_ieee_div_zero 0
		.amdhsa_exception_fp_ieee_overflow 0
		.amdhsa_exception_fp_ieee_underflow 0
		.amdhsa_exception_fp_ieee_inexact 0
		.amdhsa_exception_int_div_zero 0
	.end_amdhsa_kernel
	.section	.text._ZN7rocprim17ROCPRIM_400000_NS6detail17trampoline_kernelINS0_14default_configENS1_35radix_sort_onesweep_config_selectorIhNS0_10empty_typeEEEZZNS1_29radix_sort_onesweep_iterationIS3_Lb0EPKhPhPS5_SB_mNS0_19identity_decomposerENS1_16block_id_wrapperIjLb0EEEEE10hipError_tT1_PNSt15iterator_traitsISG_E10value_typeET2_T3_PNSH_ISM_E10value_typeET4_T5_PSR_SS_PNS1_23onesweep_lookback_stateEbbT6_jjT7_P12ihipStream_tbENKUlT_T0_SG_SL_E_clISA_SA_SB_SB_EEDaSZ_S10_SG_SL_EUlSZ_E_NS1_11comp_targetILNS1_3genE2ELNS1_11target_archE906ELNS1_3gpuE6ELNS1_3repE0EEENS1_47radix_sort_onesweep_sort_config_static_selectorELNS0_4arch9wavefront6targetE0EEEvSG_,"axG",@progbits,_ZN7rocprim17ROCPRIM_400000_NS6detail17trampoline_kernelINS0_14default_configENS1_35radix_sort_onesweep_config_selectorIhNS0_10empty_typeEEEZZNS1_29radix_sort_onesweep_iterationIS3_Lb0EPKhPhPS5_SB_mNS0_19identity_decomposerENS1_16block_id_wrapperIjLb0EEEEE10hipError_tT1_PNSt15iterator_traitsISG_E10value_typeET2_T3_PNSH_ISM_E10value_typeET4_T5_PSR_SS_PNS1_23onesweep_lookback_stateEbbT6_jjT7_P12ihipStream_tbENKUlT_T0_SG_SL_E_clISA_SA_SB_SB_EEDaSZ_S10_SG_SL_EUlSZ_E_NS1_11comp_targetILNS1_3genE2ELNS1_11target_archE906ELNS1_3gpuE6ELNS1_3repE0EEENS1_47radix_sort_onesweep_sort_config_static_selectorELNS0_4arch9wavefront6targetE0EEEvSG_,comdat
.Lfunc_end249:
	.size	_ZN7rocprim17ROCPRIM_400000_NS6detail17trampoline_kernelINS0_14default_configENS1_35radix_sort_onesweep_config_selectorIhNS0_10empty_typeEEEZZNS1_29radix_sort_onesweep_iterationIS3_Lb0EPKhPhPS5_SB_mNS0_19identity_decomposerENS1_16block_id_wrapperIjLb0EEEEE10hipError_tT1_PNSt15iterator_traitsISG_E10value_typeET2_T3_PNSH_ISM_E10value_typeET4_T5_PSR_SS_PNS1_23onesweep_lookback_stateEbbT6_jjT7_P12ihipStream_tbENKUlT_T0_SG_SL_E_clISA_SA_SB_SB_EEDaSZ_S10_SG_SL_EUlSZ_E_NS1_11comp_targetILNS1_3genE2ELNS1_11target_archE906ELNS1_3gpuE6ELNS1_3repE0EEENS1_47radix_sort_onesweep_sort_config_static_selectorELNS0_4arch9wavefront6targetE0EEEvSG_, .Lfunc_end249-_ZN7rocprim17ROCPRIM_400000_NS6detail17trampoline_kernelINS0_14default_configENS1_35radix_sort_onesweep_config_selectorIhNS0_10empty_typeEEEZZNS1_29radix_sort_onesweep_iterationIS3_Lb0EPKhPhPS5_SB_mNS0_19identity_decomposerENS1_16block_id_wrapperIjLb0EEEEE10hipError_tT1_PNSt15iterator_traitsISG_E10value_typeET2_T3_PNSH_ISM_E10value_typeET4_T5_PSR_SS_PNS1_23onesweep_lookback_stateEbbT6_jjT7_P12ihipStream_tbENKUlT_T0_SG_SL_E_clISA_SA_SB_SB_EEDaSZ_S10_SG_SL_EUlSZ_E_NS1_11comp_targetILNS1_3genE2ELNS1_11target_archE906ELNS1_3gpuE6ELNS1_3repE0EEENS1_47radix_sort_onesweep_sort_config_static_selectorELNS0_4arch9wavefront6targetE0EEEvSG_
                                        ; -- End function
	.set _ZN7rocprim17ROCPRIM_400000_NS6detail17trampoline_kernelINS0_14default_configENS1_35radix_sort_onesweep_config_selectorIhNS0_10empty_typeEEEZZNS1_29radix_sort_onesweep_iterationIS3_Lb0EPKhPhPS5_SB_mNS0_19identity_decomposerENS1_16block_id_wrapperIjLb0EEEEE10hipError_tT1_PNSt15iterator_traitsISG_E10value_typeET2_T3_PNSH_ISM_E10value_typeET4_T5_PSR_SS_PNS1_23onesweep_lookback_stateEbbT6_jjT7_P12ihipStream_tbENKUlT_T0_SG_SL_E_clISA_SA_SB_SB_EEDaSZ_S10_SG_SL_EUlSZ_E_NS1_11comp_targetILNS1_3genE2ELNS1_11target_archE906ELNS1_3gpuE6ELNS1_3repE0EEENS1_47radix_sort_onesweep_sort_config_static_selectorELNS0_4arch9wavefront6targetE0EEEvSG_.num_vgpr, 0
	.set _ZN7rocprim17ROCPRIM_400000_NS6detail17trampoline_kernelINS0_14default_configENS1_35radix_sort_onesweep_config_selectorIhNS0_10empty_typeEEEZZNS1_29radix_sort_onesweep_iterationIS3_Lb0EPKhPhPS5_SB_mNS0_19identity_decomposerENS1_16block_id_wrapperIjLb0EEEEE10hipError_tT1_PNSt15iterator_traitsISG_E10value_typeET2_T3_PNSH_ISM_E10value_typeET4_T5_PSR_SS_PNS1_23onesweep_lookback_stateEbbT6_jjT7_P12ihipStream_tbENKUlT_T0_SG_SL_E_clISA_SA_SB_SB_EEDaSZ_S10_SG_SL_EUlSZ_E_NS1_11comp_targetILNS1_3genE2ELNS1_11target_archE906ELNS1_3gpuE6ELNS1_3repE0EEENS1_47radix_sort_onesweep_sort_config_static_selectorELNS0_4arch9wavefront6targetE0EEEvSG_.num_agpr, 0
	.set _ZN7rocprim17ROCPRIM_400000_NS6detail17trampoline_kernelINS0_14default_configENS1_35radix_sort_onesweep_config_selectorIhNS0_10empty_typeEEEZZNS1_29radix_sort_onesweep_iterationIS3_Lb0EPKhPhPS5_SB_mNS0_19identity_decomposerENS1_16block_id_wrapperIjLb0EEEEE10hipError_tT1_PNSt15iterator_traitsISG_E10value_typeET2_T3_PNSH_ISM_E10value_typeET4_T5_PSR_SS_PNS1_23onesweep_lookback_stateEbbT6_jjT7_P12ihipStream_tbENKUlT_T0_SG_SL_E_clISA_SA_SB_SB_EEDaSZ_S10_SG_SL_EUlSZ_E_NS1_11comp_targetILNS1_3genE2ELNS1_11target_archE906ELNS1_3gpuE6ELNS1_3repE0EEENS1_47radix_sort_onesweep_sort_config_static_selectorELNS0_4arch9wavefront6targetE0EEEvSG_.numbered_sgpr, 0
	.set _ZN7rocprim17ROCPRIM_400000_NS6detail17trampoline_kernelINS0_14default_configENS1_35radix_sort_onesweep_config_selectorIhNS0_10empty_typeEEEZZNS1_29radix_sort_onesweep_iterationIS3_Lb0EPKhPhPS5_SB_mNS0_19identity_decomposerENS1_16block_id_wrapperIjLb0EEEEE10hipError_tT1_PNSt15iterator_traitsISG_E10value_typeET2_T3_PNSH_ISM_E10value_typeET4_T5_PSR_SS_PNS1_23onesweep_lookback_stateEbbT6_jjT7_P12ihipStream_tbENKUlT_T0_SG_SL_E_clISA_SA_SB_SB_EEDaSZ_S10_SG_SL_EUlSZ_E_NS1_11comp_targetILNS1_3genE2ELNS1_11target_archE906ELNS1_3gpuE6ELNS1_3repE0EEENS1_47radix_sort_onesweep_sort_config_static_selectorELNS0_4arch9wavefront6targetE0EEEvSG_.num_named_barrier, 0
	.set _ZN7rocprim17ROCPRIM_400000_NS6detail17trampoline_kernelINS0_14default_configENS1_35radix_sort_onesweep_config_selectorIhNS0_10empty_typeEEEZZNS1_29radix_sort_onesweep_iterationIS3_Lb0EPKhPhPS5_SB_mNS0_19identity_decomposerENS1_16block_id_wrapperIjLb0EEEEE10hipError_tT1_PNSt15iterator_traitsISG_E10value_typeET2_T3_PNSH_ISM_E10value_typeET4_T5_PSR_SS_PNS1_23onesweep_lookback_stateEbbT6_jjT7_P12ihipStream_tbENKUlT_T0_SG_SL_E_clISA_SA_SB_SB_EEDaSZ_S10_SG_SL_EUlSZ_E_NS1_11comp_targetILNS1_3genE2ELNS1_11target_archE906ELNS1_3gpuE6ELNS1_3repE0EEENS1_47radix_sort_onesweep_sort_config_static_selectorELNS0_4arch9wavefront6targetE0EEEvSG_.private_seg_size, 0
	.set _ZN7rocprim17ROCPRIM_400000_NS6detail17trampoline_kernelINS0_14default_configENS1_35radix_sort_onesweep_config_selectorIhNS0_10empty_typeEEEZZNS1_29radix_sort_onesweep_iterationIS3_Lb0EPKhPhPS5_SB_mNS0_19identity_decomposerENS1_16block_id_wrapperIjLb0EEEEE10hipError_tT1_PNSt15iterator_traitsISG_E10value_typeET2_T3_PNSH_ISM_E10value_typeET4_T5_PSR_SS_PNS1_23onesweep_lookback_stateEbbT6_jjT7_P12ihipStream_tbENKUlT_T0_SG_SL_E_clISA_SA_SB_SB_EEDaSZ_S10_SG_SL_EUlSZ_E_NS1_11comp_targetILNS1_3genE2ELNS1_11target_archE906ELNS1_3gpuE6ELNS1_3repE0EEENS1_47radix_sort_onesweep_sort_config_static_selectorELNS0_4arch9wavefront6targetE0EEEvSG_.uses_vcc, 0
	.set _ZN7rocprim17ROCPRIM_400000_NS6detail17trampoline_kernelINS0_14default_configENS1_35radix_sort_onesweep_config_selectorIhNS0_10empty_typeEEEZZNS1_29radix_sort_onesweep_iterationIS3_Lb0EPKhPhPS5_SB_mNS0_19identity_decomposerENS1_16block_id_wrapperIjLb0EEEEE10hipError_tT1_PNSt15iterator_traitsISG_E10value_typeET2_T3_PNSH_ISM_E10value_typeET4_T5_PSR_SS_PNS1_23onesweep_lookback_stateEbbT6_jjT7_P12ihipStream_tbENKUlT_T0_SG_SL_E_clISA_SA_SB_SB_EEDaSZ_S10_SG_SL_EUlSZ_E_NS1_11comp_targetILNS1_3genE2ELNS1_11target_archE906ELNS1_3gpuE6ELNS1_3repE0EEENS1_47radix_sort_onesweep_sort_config_static_selectorELNS0_4arch9wavefront6targetE0EEEvSG_.uses_flat_scratch, 0
	.set _ZN7rocprim17ROCPRIM_400000_NS6detail17trampoline_kernelINS0_14default_configENS1_35radix_sort_onesweep_config_selectorIhNS0_10empty_typeEEEZZNS1_29radix_sort_onesweep_iterationIS3_Lb0EPKhPhPS5_SB_mNS0_19identity_decomposerENS1_16block_id_wrapperIjLb0EEEEE10hipError_tT1_PNSt15iterator_traitsISG_E10value_typeET2_T3_PNSH_ISM_E10value_typeET4_T5_PSR_SS_PNS1_23onesweep_lookback_stateEbbT6_jjT7_P12ihipStream_tbENKUlT_T0_SG_SL_E_clISA_SA_SB_SB_EEDaSZ_S10_SG_SL_EUlSZ_E_NS1_11comp_targetILNS1_3genE2ELNS1_11target_archE906ELNS1_3gpuE6ELNS1_3repE0EEENS1_47radix_sort_onesweep_sort_config_static_selectorELNS0_4arch9wavefront6targetE0EEEvSG_.has_dyn_sized_stack, 0
	.set _ZN7rocprim17ROCPRIM_400000_NS6detail17trampoline_kernelINS0_14default_configENS1_35radix_sort_onesweep_config_selectorIhNS0_10empty_typeEEEZZNS1_29radix_sort_onesweep_iterationIS3_Lb0EPKhPhPS5_SB_mNS0_19identity_decomposerENS1_16block_id_wrapperIjLb0EEEEE10hipError_tT1_PNSt15iterator_traitsISG_E10value_typeET2_T3_PNSH_ISM_E10value_typeET4_T5_PSR_SS_PNS1_23onesweep_lookback_stateEbbT6_jjT7_P12ihipStream_tbENKUlT_T0_SG_SL_E_clISA_SA_SB_SB_EEDaSZ_S10_SG_SL_EUlSZ_E_NS1_11comp_targetILNS1_3genE2ELNS1_11target_archE906ELNS1_3gpuE6ELNS1_3repE0EEENS1_47radix_sort_onesweep_sort_config_static_selectorELNS0_4arch9wavefront6targetE0EEEvSG_.has_recursion, 0
	.set _ZN7rocprim17ROCPRIM_400000_NS6detail17trampoline_kernelINS0_14default_configENS1_35radix_sort_onesweep_config_selectorIhNS0_10empty_typeEEEZZNS1_29radix_sort_onesweep_iterationIS3_Lb0EPKhPhPS5_SB_mNS0_19identity_decomposerENS1_16block_id_wrapperIjLb0EEEEE10hipError_tT1_PNSt15iterator_traitsISG_E10value_typeET2_T3_PNSH_ISM_E10value_typeET4_T5_PSR_SS_PNS1_23onesweep_lookback_stateEbbT6_jjT7_P12ihipStream_tbENKUlT_T0_SG_SL_E_clISA_SA_SB_SB_EEDaSZ_S10_SG_SL_EUlSZ_E_NS1_11comp_targetILNS1_3genE2ELNS1_11target_archE906ELNS1_3gpuE6ELNS1_3repE0EEENS1_47radix_sort_onesweep_sort_config_static_selectorELNS0_4arch9wavefront6targetE0EEEvSG_.has_indirect_call, 0
	.section	.AMDGPU.csdata,"",@progbits
; Kernel info:
; codeLenInByte = 0
; TotalNumSgprs: 0
; NumVgprs: 0
; ScratchSize: 0
; MemoryBound: 0
; FloatMode: 240
; IeeeMode: 1
; LDSByteSize: 0 bytes/workgroup (compile time only)
; SGPRBlocks: 0
; VGPRBlocks: 0
; NumSGPRsForWavesPerEU: 1
; NumVGPRsForWavesPerEU: 1
; NamedBarCnt: 0
; Occupancy: 16
; WaveLimiterHint : 0
; COMPUTE_PGM_RSRC2:SCRATCH_EN: 0
; COMPUTE_PGM_RSRC2:USER_SGPR: 2
; COMPUTE_PGM_RSRC2:TRAP_HANDLER: 0
; COMPUTE_PGM_RSRC2:TGID_X_EN: 1
; COMPUTE_PGM_RSRC2:TGID_Y_EN: 0
; COMPUTE_PGM_RSRC2:TGID_Z_EN: 0
; COMPUTE_PGM_RSRC2:TIDIG_COMP_CNT: 0
	.section	.text._ZN7rocprim17ROCPRIM_400000_NS6detail17trampoline_kernelINS0_14default_configENS1_35radix_sort_onesweep_config_selectorIhNS0_10empty_typeEEEZZNS1_29radix_sort_onesweep_iterationIS3_Lb0EPKhPhPS5_SB_mNS0_19identity_decomposerENS1_16block_id_wrapperIjLb0EEEEE10hipError_tT1_PNSt15iterator_traitsISG_E10value_typeET2_T3_PNSH_ISM_E10value_typeET4_T5_PSR_SS_PNS1_23onesweep_lookback_stateEbbT6_jjT7_P12ihipStream_tbENKUlT_T0_SG_SL_E_clISA_SA_SB_SB_EEDaSZ_S10_SG_SL_EUlSZ_E_NS1_11comp_targetILNS1_3genE4ELNS1_11target_archE910ELNS1_3gpuE8ELNS1_3repE0EEENS1_47radix_sort_onesweep_sort_config_static_selectorELNS0_4arch9wavefront6targetE0EEEvSG_,"axG",@progbits,_ZN7rocprim17ROCPRIM_400000_NS6detail17trampoline_kernelINS0_14default_configENS1_35radix_sort_onesweep_config_selectorIhNS0_10empty_typeEEEZZNS1_29radix_sort_onesweep_iterationIS3_Lb0EPKhPhPS5_SB_mNS0_19identity_decomposerENS1_16block_id_wrapperIjLb0EEEEE10hipError_tT1_PNSt15iterator_traitsISG_E10value_typeET2_T3_PNSH_ISM_E10value_typeET4_T5_PSR_SS_PNS1_23onesweep_lookback_stateEbbT6_jjT7_P12ihipStream_tbENKUlT_T0_SG_SL_E_clISA_SA_SB_SB_EEDaSZ_S10_SG_SL_EUlSZ_E_NS1_11comp_targetILNS1_3genE4ELNS1_11target_archE910ELNS1_3gpuE8ELNS1_3repE0EEENS1_47radix_sort_onesweep_sort_config_static_selectorELNS0_4arch9wavefront6targetE0EEEvSG_,comdat
	.protected	_ZN7rocprim17ROCPRIM_400000_NS6detail17trampoline_kernelINS0_14default_configENS1_35radix_sort_onesweep_config_selectorIhNS0_10empty_typeEEEZZNS1_29radix_sort_onesweep_iterationIS3_Lb0EPKhPhPS5_SB_mNS0_19identity_decomposerENS1_16block_id_wrapperIjLb0EEEEE10hipError_tT1_PNSt15iterator_traitsISG_E10value_typeET2_T3_PNSH_ISM_E10value_typeET4_T5_PSR_SS_PNS1_23onesweep_lookback_stateEbbT6_jjT7_P12ihipStream_tbENKUlT_T0_SG_SL_E_clISA_SA_SB_SB_EEDaSZ_S10_SG_SL_EUlSZ_E_NS1_11comp_targetILNS1_3genE4ELNS1_11target_archE910ELNS1_3gpuE8ELNS1_3repE0EEENS1_47radix_sort_onesweep_sort_config_static_selectorELNS0_4arch9wavefront6targetE0EEEvSG_ ; -- Begin function _ZN7rocprim17ROCPRIM_400000_NS6detail17trampoline_kernelINS0_14default_configENS1_35radix_sort_onesweep_config_selectorIhNS0_10empty_typeEEEZZNS1_29radix_sort_onesweep_iterationIS3_Lb0EPKhPhPS5_SB_mNS0_19identity_decomposerENS1_16block_id_wrapperIjLb0EEEEE10hipError_tT1_PNSt15iterator_traitsISG_E10value_typeET2_T3_PNSH_ISM_E10value_typeET4_T5_PSR_SS_PNS1_23onesweep_lookback_stateEbbT6_jjT7_P12ihipStream_tbENKUlT_T0_SG_SL_E_clISA_SA_SB_SB_EEDaSZ_S10_SG_SL_EUlSZ_E_NS1_11comp_targetILNS1_3genE4ELNS1_11target_archE910ELNS1_3gpuE8ELNS1_3repE0EEENS1_47radix_sort_onesweep_sort_config_static_selectorELNS0_4arch9wavefront6targetE0EEEvSG_
	.globl	_ZN7rocprim17ROCPRIM_400000_NS6detail17trampoline_kernelINS0_14default_configENS1_35radix_sort_onesweep_config_selectorIhNS0_10empty_typeEEEZZNS1_29radix_sort_onesweep_iterationIS3_Lb0EPKhPhPS5_SB_mNS0_19identity_decomposerENS1_16block_id_wrapperIjLb0EEEEE10hipError_tT1_PNSt15iterator_traitsISG_E10value_typeET2_T3_PNSH_ISM_E10value_typeET4_T5_PSR_SS_PNS1_23onesweep_lookback_stateEbbT6_jjT7_P12ihipStream_tbENKUlT_T0_SG_SL_E_clISA_SA_SB_SB_EEDaSZ_S10_SG_SL_EUlSZ_E_NS1_11comp_targetILNS1_3genE4ELNS1_11target_archE910ELNS1_3gpuE8ELNS1_3repE0EEENS1_47radix_sort_onesweep_sort_config_static_selectorELNS0_4arch9wavefront6targetE0EEEvSG_
	.p2align	8
	.type	_ZN7rocprim17ROCPRIM_400000_NS6detail17trampoline_kernelINS0_14default_configENS1_35radix_sort_onesweep_config_selectorIhNS0_10empty_typeEEEZZNS1_29radix_sort_onesweep_iterationIS3_Lb0EPKhPhPS5_SB_mNS0_19identity_decomposerENS1_16block_id_wrapperIjLb0EEEEE10hipError_tT1_PNSt15iterator_traitsISG_E10value_typeET2_T3_PNSH_ISM_E10value_typeET4_T5_PSR_SS_PNS1_23onesweep_lookback_stateEbbT6_jjT7_P12ihipStream_tbENKUlT_T0_SG_SL_E_clISA_SA_SB_SB_EEDaSZ_S10_SG_SL_EUlSZ_E_NS1_11comp_targetILNS1_3genE4ELNS1_11target_archE910ELNS1_3gpuE8ELNS1_3repE0EEENS1_47radix_sort_onesweep_sort_config_static_selectorELNS0_4arch9wavefront6targetE0EEEvSG_,@function
_ZN7rocprim17ROCPRIM_400000_NS6detail17trampoline_kernelINS0_14default_configENS1_35radix_sort_onesweep_config_selectorIhNS0_10empty_typeEEEZZNS1_29radix_sort_onesweep_iterationIS3_Lb0EPKhPhPS5_SB_mNS0_19identity_decomposerENS1_16block_id_wrapperIjLb0EEEEE10hipError_tT1_PNSt15iterator_traitsISG_E10value_typeET2_T3_PNSH_ISM_E10value_typeET4_T5_PSR_SS_PNS1_23onesweep_lookback_stateEbbT6_jjT7_P12ihipStream_tbENKUlT_T0_SG_SL_E_clISA_SA_SB_SB_EEDaSZ_S10_SG_SL_EUlSZ_E_NS1_11comp_targetILNS1_3genE4ELNS1_11target_archE910ELNS1_3gpuE8ELNS1_3repE0EEENS1_47radix_sort_onesweep_sort_config_static_selectorELNS0_4arch9wavefront6targetE0EEEvSG_: ; @_ZN7rocprim17ROCPRIM_400000_NS6detail17trampoline_kernelINS0_14default_configENS1_35radix_sort_onesweep_config_selectorIhNS0_10empty_typeEEEZZNS1_29radix_sort_onesweep_iterationIS3_Lb0EPKhPhPS5_SB_mNS0_19identity_decomposerENS1_16block_id_wrapperIjLb0EEEEE10hipError_tT1_PNSt15iterator_traitsISG_E10value_typeET2_T3_PNSH_ISM_E10value_typeET4_T5_PSR_SS_PNS1_23onesweep_lookback_stateEbbT6_jjT7_P12ihipStream_tbENKUlT_T0_SG_SL_E_clISA_SA_SB_SB_EEDaSZ_S10_SG_SL_EUlSZ_E_NS1_11comp_targetILNS1_3genE4ELNS1_11target_archE910ELNS1_3gpuE8ELNS1_3repE0EEENS1_47radix_sort_onesweep_sort_config_static_selectorELNS0_4arch9wavefront6targetE0EEEvSG_
; %bb.0:
	.section	.rodata,"a",@progbits
	.p2align	6, 0x0
	.amdhsa_kernel _ZN7rocprim17ROCPRIM_400000_NS6detail17trampoline_kernelINS0_14default_configENS1_35radix_sort_onesweep_config_selectorIhNS0_10empty_typeEEEZZNS1_29radix_sort_onesweep_iterationIS3_Lb0EPKhPhPS5_SB_mNS0_19identity_decomposerENS1_16block_id_wrapperIjLb0EEEEE10hipError_tT1_PNSt15iterator_traitsISG_E10value_typeET2_T3_PNSH_ISM_E10value_typeET4_T5_PSR_SS_PNS1_23onesweep_lookback_stateEbbT6_jjT7_P12ihipStream_tbENKUlT_T0_SG_SL_E_clISA_SA_SB_SB_EEDaSZ_S10_SG_SL_EUlSZ_E_NS1_11comp_targetILNS1_3genE4ELNS1_11target_archE910ELNS1_3gpuE8ELNS1_3repE0EEENS1_47radix_sort_onesweep_sort_config_static_selectorELNS0_4arch9wavefront6targetE0EEEvSG_
		.amdhsa_group_segment_fixed_size 0
		.amdhsa_private_segment_fixed_size 0
		.amdhsa_kernarg_size 88
		.amdhsa_user_sgpr_count 2
		.amdhsa_user_sgpr_dispatch_ptr 0
		.amdhsa_user_sgpr_queue_ptr 0
		.amdhsa_user_sgpr_kernarg_segment_ptr 1
		.amdhsa_user_sgpr_dispatch_id 0
		.amdhsa_user_sgpr_kernarg_preload_length 0
		.amdhsa_user_sgpr_kernarg_preload_offset 0
		.amdhsa_user_sgpr_private_segment_size 0
		.amdhsa_wavefront_size32 1
		.amdhsa_uses_dynamic_stack 0
		.amdhsa_enable_private_segment 0
		.amdhsa_system_sgpr_workgroup_id_x 1
		.amdhsa_system_sgpr_workgroup_id_y 0
		.amdhsa_system_sgpr_workgroup_id_z 0
		.amdhsa_system_sgpr_workgroup_info 0
		.amdhsa_system_vgpr_workitem_id 0
		.amdhsa_next_free_vgpr 1
		.amdhsa_next_free_sgpr 1
		.amdhsa_named_barrier_count 0
		.amdhsa_reserve_vcc 0
		.amdhsa_float_round_mode_32 0
		.amdhsa_float_round_mode_16_64 0
		.amdhsa_float_denorm_mode_32 3
		.amdhsa_float_denorm_mode_16_64 3
		.amdhsa_fp16_overflow 0
		.amdhsa_memory_ordered 1
		.amdhsa_forward_progress 1
		.amdhsa_inst_pref_size 0
		.amdhsa_round_robin_scheduling 0
		.amdhsa_exception_fp_ieee_invalid_op 0
		.amdhsa_exception_fp_denorm_src 0
		.amdhsa_exception_fp_ieee_div_zero 0
		.amdhsa_exception_fp_ieee_overflow 0
		.amdhsa_exception_fp_ieee_underflow 0
		.amdhsa_exception_fp_ieee_inexact 0
		.amdhsa_exception_int_div_zero 0
	.end_amdhsa_kernel
	.section	.text._ZN7rocprim17ROCPRIM_400000_NS6detail17trampoline_kernelINS0_14default_configENS1_35radix_sort_onesweep_config_selectorIhNS0_10empty_typeEEEZZNS1_29radix_sort_onesweep_iterationIS3_Lb0EPKhPhPS5_SB_mNS0_19identity_decomposerENS1_16block_id_wrapperIjLb0EEEEE10hipError_tT1_PNSt15iterator_traitsISG_E10value_typeET2_T3_PNSH_ISM_E10value_typeET4_T5_PSR_SS_PNS1_23onesweep_lookback_stateEbbT6_jjT7_P12ihipStream_tbENKUlT_T0_SG_SL_E_clISA_SA_SB_SB_EEDaSZ_S10_SG_SL_EUlSZ_E_NS1_11comp_targetILNS1_3genE4ELNS1_11target_archE910ELNS1_3gpuE8ELNS1_3repE0EEENS1_47radix_sort_onesweep_sort_config_static_selectorELNS0_4arch9wavefront6targetE0EEEvSG_,"axG",@progbits,_ZN7rocprim17ROCPRIM_400000_NS6detail17trampoline_kernelINS0_14default_configENS1_35radix_sort_onesweep_config_selectorIhNS0_10empty_typeEEEZZNS1_29radix_sort_onesweep_iterationIS3_Lb0EPKhPhPS5_SB_mNS0_19identity_decomposerENS1_16block_id_wrapperIjLb0EEEEE10hipError_tT1_PNSt15iterator_traitsISG_E10value_typeET2_T3_PNSH_ISM_E10value_typeET4_T5_PSR_SS_PNS1_23onesweep_lookback_stateEbbT6_jjT7_P12ihipStream_tbENKUlT_T0_SG_SL_E_clISA_SA_SB_SB_EEDaSZ_S10_SG_SL_EUlSZ_E_NS1_11comp_targetILNS1_3genE4ELNS1_11target_archE910ELNS1_3gpuE8ELNS1_3repE0EEENS1_47radix_sort_onesweep_sort_config_static_selectorELNS0_4arch9wavefront6targetE0EEEvSG_,comdat
.Lfunc_end250:
	.size	_ZN7rocprim17ROCPRIM_400000_NS6detail17trampoline_kernelINS0_14default_configENS1_35radix_sort_onesweep_config_selectorIhNS0_10empty_typeEEEZZNS1_29radix_sort_onesweep_iterationIS3_Lb0EPKhPhPS5_SB_mNS0_19identity_decomposerENS1_16block_id_wrapperIjLb0EEEEE10hipError_tT1_PNSt15iterator_traitsISG_E10value_typeET2_T3_PNSH_ISM_E10value_typeET4_T5_PSR_SS_PNS1_23onesweep_lookback_stateEbbT6_jjT7_P12ihipStream_tbENKUlT_T0_SG_SL_E_clISA_SA_SB_SB_EEDaSZ_S10_SG_SL_EUlSZ_E_NS1_11comp_targetILNS1_3genE4ELNS1_11target_archE910ELNS1_3gpuE8ELNS1_3repE0EEENS1_47radix_sort_onesweep_sort_config_static_selectorELNS0_4arch9wavefront6targetE0EEEvSG_, .Lfunc_end250-_ZN7rocprim17ROCPRIM_400000_NS6detail17trampoline_kernelINS0_14default_configENS1_35radix_sort_onesweep_config_selectorIhNS0_10empty_typeEEEZZNS1_29radix_sort_onesweep_iterationIS3_Lb0EPKhPhPS5_SB_mNS0_19identity_decomposerENS1_16block_id_wrapperIjLb0EEEEE10hipError_tT1_PNSt15iterator_traitsISG_E10value_typeET2_T3_PNSH_ISM_E10value_typeET4_T5_PSR_SS_PNS1_23onesweep_lookback_stateEbbT6_jjT7_P12ihipStream_tbENKUlT_T0_SG_SL_E_clISA_SA_SB_SB_EEDaSZ_S10_SG_SL_EUlSZ_E_NS1_11comp_targetILNS1_3genE4ELNS1_11target_archE910ELNS1_3gpuE8ELNS1_3repE0EEENS1_47radix_sort_onesweep_sort_config_static_selectorELNS0_4arch9wavefront6targetE0EEEvSG_
                                        ; -- End function
	.set _ZN7rocprim17ROCPRIM_400000_NS6detail17trampoline_kernelINS0_14default_configENS1_35radix_sort_onesweep_config_selectorIhNS0_10empty_typeEEEZZNS1_29radix_sort_onesweep_iterationIS3_Lb0EPKhPhPS5_SB_mNS0_19identity_decomposerENS1_16block_id_wrapperIjLb0EEEEE10hipError_tT1_PNSt15iterator_traitsISG_E10value_typeET2_T3_PNSH_ISM_E10value_typeET4_T5_PSR_SS_PNS1_23onesweep_lookback_stateEbbT6_jjT7_P12ihipStream_tbENKUlT_T0_SG_SL_E_clISA_SA_SB_SB_EEDaSZ_S10_SG_SL_EUlSZ_E_NS1_11comp_targetILNS1_3genE4ELNS1_11target_archE910ELNS1_3gpuE8ELNS1_3repE0EEENS1_47radix_sort_onesweep_sort_config_static_selectorELNS0_4arch9wavefront6targetE0EEEvSG_.num_vgpr, 0
	.set _ZN7rocprim17ROCPRIM_400000_NS6detail17trampoline_kernelINS0_14default_configENS1_35radix_sort_onesweep_config_selectorIhNS0_10empty_typeEEEZZNS1_29radix_sort_onesweep_iterationIS3_Lb0EPKhPhPS5_SB_mNS0_19identity_decomposerENS1_16block_id_wrapperIjLb0EEEEE10hipError_tT1_PNSt15iterator_traitsISG_E10value_typeET2_T3_PNSH_ISM_E10value_typeET4_T5_PSR_SS_PNS1_23onesweep_lookback_stateEbbT6_jjT7_P12ihipStream_tbENKUlT_T0_SG_SL_E_clISA_SA_SB_SB_EEDaSZ_S10_SG_SL_EUlSZ_E_NS1_11comp_targetILNS1_3genE4ELNS1_11target_archE910ELNS1_3gpuE8ELNS1_3repE0EEENS1_47radix_sort_onesweep_sort_config_static_selectorELNS0_4arch9wavefront6targetE0EEEvSG_.num_agpr, 0
	.set _ZN7rocprim17ROCPRIM_400000_NS6detail17trampoline_kernelINS0_14default_configENS1_35radix_sort_onesweep_config_selectorIhNS0_10empty_typeEEEZZNS1_29radix_sort_onesweep_iterationIS3_Lb0EPKhPhPS5_SB_mNS0_19identity_decomposerENS1_16block_id_wrapperIjLb0EEEEE10hipError_tT1_PNSt15iterator_traitsISG_E10value_typeET2_T3_PNSH_ISM_E10value_typeET4_T5_PSR_SS_PNS1_23onesweep_lookback_stateEbbT6_jjT7_P12ihipStream_tbENKUlT_T0_SG_SL_E_clISA_SA_SB_SB_EEDaSZ_S10_SG_SL_EUlSZ_E_NS1_11comp_targetILNS1_3genE4ELNS1_11target_archE910ELNS1_3gpuE8ELNS1_3repE0EEENS1_47radix_sort_onesweep_sort_config_static_selectorELNS0_4arch9wavefront6targetE0EEEvSG_.numbered_sgpr, 0
	.set _ZN7rocprim17ROCPRIM_400000_NS6detail17trampoline_kernelINS0_14default_configENS1_35radix_sort_onesweep_config_selectorIhNS0_10empty_typeEEEZZNS1_29radix_sort_onesweep_iterationIS3_Lb0EPKhPhPS5_SB_mNS0_19identity_decomposerENS1_16block_id_wrapperIjLb0EEEEE10hipError_tT1_PNSt15iterator_traitsISG_E10value_typeET2_T3_PNSH_ISM_E10value_typeET4_T5_PSR_SS_PNS1_23onesweep_lookback_stateEbbT6_jjT7_P12ihipStream_tbENKUlT_T0_SG_SL_E_clISA_SA_SB_SB_EEDaSZ_S10_SG_SL_EUlSZ_E_NS1_11comp_targetILNS1_3genE4ELNS1_11target_archE910ELNS1_3gpuE8ELNS1_3repE0EEENS1_47radix_sort_onesweep_sort_config_static_selectorELNS0_4arch9wavefront6targetE0EEEvSG_.num_named_barrier, 0
	.set _ZN7rocprim17ROCPRIM_400000_NS6detail17trampoline_kernelINS0_14default_configENS1_35radix_sort_onesweep_config_selectorIhNS0_10empty_typeEEEZZNS1_29radix_sort_onesweep_iterationIS3_Lb0EPKhPhPS5_SB_mNS0_19identity_decomposerENS1_16block_id_wrapperIjLb0EEEEE10hipError_tT1_PNSt15iterator_traitsISG_E10value_typeET2_T3_PNSH_ISM_E10value_typeET4_T5_PSR_SS_PNS1_23onesweep_lookback_stateEbbT6_jjT7_P12ihipStream_tbENKUlT_T0_SG_SL_E_clISA_SA_SB_SB_EEDaSZ_S10_SG_SL_EUlSZ_E_NS1_11comp_targetILNS1_3genE4ELNS1_11target_archE910ELNS1_3gpuE8ELNS1_3repE0EEENS1_47radix_sort_onesweep_sort_config_static_selectorELNS0_4arch9wavefront6targetE0EEEvSG_.private_seg_size, 0
	.set _ZN7rocprim17ROCPRIM_400000_NS6detail17trampoline_kernelINS0_14default_configENS1_35radix_sort_onesweep_config_selectorIhNS0_10empty_typeEEEZZNS1_29radix_sort_onesweep_iterationIS3_Lb0EPKhPhPS5_SB_mNS0_19identity_decomposerENS1_16block_id_wrapperIjLb0EEEEE10hipError_tT1_PNSt15iterator_traitsISG_E10value_typeET2_T3_PNSH_ISM_E10value_typeET4_T5_PSR_SS_PNS1_23onesweep_lookback_stateEbbT6_jjT7_P12ihipStream_tbENKUlT_T0_SG_SL_E_clISA_SA_SB_SB_EEDaSZ_S10_SG_SL_EUlSZ_E_NS1_11comp_targetILNS1_3genE4ELNS1_11target_archE910ELNS1_3gpuE8ELNS1_3repE0EEENS1_47radix_sort_onesweep_sort_config_static_selectorELNS0_4arch9wavefront6targetE0EEEvSG_.uses_vcc, 0
	.set _ZN7rocprim17ROCPRIM_400000_NS6detail17trampoline_kernelINS0_14default_configENS1_35radix_sort_onesweep_config_selectorIhNS0_10empty_typeEEEZZNS1_29radix_sort_onesweep_iterationIS3_Lb0EPKhPhPS5_SB_mNS0_19identity_decomposerENS1_16block_id_wrapperIjLb0EEEEE10hipError_tT1_PNSt15iterator_traitsISG_E10value_typeET2_T3_PNSH_ISM_E10value_typeET4_T5_PSR_SS_PNS1_23onesweep_lookback_stateEbbT6_jjT7_P12ihipStream_tbENKUlT_T0_SG_SL_E_clISA_SA_SB_SB_EEDaSZ_S10_SG_SL_EUlSZ_E_NS1_11comp_targetILNS1_3genE4ELNS1_11target_archE910ELNS1_3gpuE8ELNS1_3repE0EEENS1_47radix_sort_onesweep_sort_config_static_selectorELNS0_4arch9wavefront6targetE0EEEvSG_.uses_flat_scratch, 0
	.set _ZN7rocprim17ROCPRIM_400000_NS6detail17trampoline_kernelINS0_14default_configENS1_35radix_sort_onesweep_config_selectorIhNS0_10empty_typeEEEZZNS1_29radix_sort_onesweep_iterationIS3_Lb0EPKhPhPS5_SB_mNS0_19identity_decomposerENS1_16block_id_wrapperIjLb0EEEEE10hipError_tT1_PNSt15iterator_traitsISG_E10value_typeET2_T3_PNSH_ISM_E10value_typeET4_T5_PSR_SS_PNS1_23onesweep_lookback_stateEbbT6_jjT7_P12ihipStream_tbENKUlT_T0_SG_SL_E_clISA_SA_SB_SB_EEDaSZ_S10_SG_SL_EUlSZ_E_NS1_11comp_targetILNS1_3genE4ELNS1_11target_archE910ELNS1_3gpuE8ELNS1_3repE0EEENS1_47radix_sort_onesweep_sort_config_static_selectorELNS0_4arch9wavefront6targetE0EEEvSG_.has_dyn_sized_stack, 0
	.set _ZN7rocprim17ROCPRIM_400000_NS6detail17trampoline_kernelINS0_14default_configENS1_35radix_sort_onesweep_config_selectorIhNS0_10empty_typeEEEZZNS1_29radix_sort_onesweep_iterationIS3_Lb0EPKhPhPS5_SB_mNS0_19identity_decomposerENS1_16block_id_wrapperIjLb0EEEEE10hipError_tT1_PNSt15iterator_traitsISG_E10value_typeET2_T3_PNSH_ISM_E10value_typeET4_T5_PSR_SS_PNS1_23onesweep_lookback_stateEbbT6_jjT7_P12ihipStream_tbENKUlT_T0_SG_SL_E_clISA_SA_SB_SB_EEDaSZ_S10_SG_SL_EUlSZ_E_NS1_11comp_targetILNS1_3genE4ELNS1_11target_archE910ELNS1_3gpuE8ELNS1_3repE0EEENS1_47radix_sort_onesweep_sort_config_static_selectorELNS0_4arch9wavefront6targetE0EEEvSG_.has_recursion, 0
	.set _ZN7rocprim17ROCPRIM_400000_NS6detail17trampoline_kernelINS0_14default_configENS1_35radix_sort_onesweep_config_selectorIhNS0_10empty_typeEEEZZNS1_29radix_sort_onesweep_iterationIS3_Lb0EPKhPhPS5_SB_mNS0_19identity_decomposerENS1_16block_id_wrapperIjLb0EEEEE10hipError_tT1_PNSt15iterator_traitsISG_E10value_typeET2_T3_PNSH_ISM_E10value_typeET4_T5_PSR_SS_PNS1_23onesweep_lookback_stateEbbT6_jjT7_P12ihipStream_tbENKUlT_T0_SG_SL_E_clISA_SA_SB_SB_EEDaSZ_S10_SG_SL_EUlSZ_E_NS1_11comp_targetILNS1_3genE4ELNS1_11target_archE910ELNS1_3gpuE8ELNS1_3repE0EEENS1_47radix_sort_onesweep_sort_config_static_selectorELNS0_4arch9wavefront6targetE0EEEvSG_.has_indirect_call, 0
	.section	.AMDGPU.csdata,"",@progbits
; Kernel info:
; codeLenInByte = 0
; TotalNumSgprs: 0
; NumVgprs: 0
; ScratchSize: 0
; MemoryBound: 0
; FloatMode: 240
; IeeeMode: 1
; LDSByteSize: 0 bytes/workgroup (compile time only)
; SGPRBlocks: 0
; VGPRBlocks: 0
; NumSGPRsForWavesPerEU: 1
; NumVGPRsForWavesPerEU: 1
; NamedBarCnt: 0
; Occupancy: 16
; WaveLimiterHint : 0
; COMPUTE_PGM_RSRC2:SCRATCH_EN: 0
; COMPUTE_PGM_RSRC2:USER_SGPR: 2
; COMPUTE_PGM_RSRC2:TRAP_HANDLER: 0
; COMPUTE_PGM_RSRC2:TGID_X_EN: 1
; COMPUTE_PGM_RSRC2:TGID_Y_EN: 0
; COMPUTE_PGM_RSRC2:TGID_Z_EN: 0
; COMPUTE_PGM_RSRC2:TIDIG_COMP_CNT: 0
	.section	.text._ZN7rocprim17ROCPRIM_400000_NS6detail17trampoline_kernelINS0_14default_configENS1_35radix_sort_onesweep_config_selectorIhNS0_10empty_typeEEEZZNS1_29radix_sort_onesweep_iterationIS3_Lb0EPKhPhPS5_SB_mNS0_19identity_decomposerENS1_16block_id_wrapperIjLb0EEEEE10hipError_tT1_PNSt15iterator_traitsISG_E10value_typeET2_T3_PNSH_ISM_E10value_typeET4_T5_PSR_SS_PNS1_23onesweep_lookback_stateEbbT6_jjT7_P12ihipStream_tbENKUlT_T0_SG_SL_E_clISA_SA_SB_SB_EEDaSZ_S10_SG_SL_EUlSZ_E_NS1_11comp_targetILNS1_3genE3ELNS1_11target_archE908ELNS1_3gpuE7ELNS1_3repE0EEENS1_47radix_sort_onesweep_sort_config_static_selectorELNS0_4arch9wavefront6targetE0EEEvSG_,"axG",@progbits,_ZN7rocprim17ROCPRIM_400000_NS6detail17trampoline_kernelINS0_14default_configENS1_35radix_sort_onesweep_config_selectorIhNS0_10empty_typeEEEZZNS1_29radix_sort_onesweep_iterationIS3_Lb0EPKhPhPS5_SB_mNS0_19identity_decomposerENS1_16block_id_wrapperIjLb0EEEEE10hipError_tT1_PNSt15iterator_traitsISG_E10value_typeET2_T3_PNSH_ISM_E10value_typeET4_T5_PSR_SS_PNS1_23onesweep_lookback_stateEbbT6_jjT7_P12ihipStream_tbENKUlT_T0_SG_SL_E_clISA_SA_SB_SB_EEDaSZ_S10_SG_SL_EUlSZ_E_NS1_11comp_targetILNS1_3genE3ELNS1_11target_archE908ELNS1_3gpuE7ELNS1_3repE0EEENS1_47radix_sort_onesweep_sort_config_static_selectorELNS0_4arch9wavefront6targetE0EEEvSG_,comdat
	.protected	_ZN7rocprim17ROCPRIM_400000_NS6detail17trampoline_kernelINS0_14default_configENS1_35radix_sort_onesweep_config_selectorIhNS0_10empty_typeEEEZZNS1_29radix_sort_onesweep_iterationIS3_Lb0EPKhPhPS5_SB_mNS0_19identity_decomposerENS1_16block_id_wrapperIjLb0EEEEE10hipError_tT1_PNSt15iterator_traitsISG_E10value_typeET2_T3_PNSH_ISM_E10value_typeET4_T5_PSR_SS_PNS1_23onesweep_lookback_stateEbbT6_jjT7_P12ihipStream_tbENKUlT_T0_SG_SL_E_clISA_SA_SB_SB_EEDaSZ_S10_SG_SL_EUlSZ_E_NS1_11comp_targetILNS1_3genE3ELNS1_11target_archE908ELNS1_3gpuE7ELNS1_3repE0EEENS1_47radix_sort_onesweep_sort_config_static_selectorELNS0_4arch9wavefront6targetE0EEEvSG_ ; -- Begin function _ZN7rocprim17ROCPRIM_400000_NS6detail17trampoline_kernelINS0_14default_configENS1_35radix_sort_onesweep_config_selectorIhNS0_10empty_typeEEEZZNS1_29radix_sort_onesweep_iterationIS3_Lb0EPKhPhPS5_SB_mNS0_19identity_decomposerENS1_16block_id_wrapperIjLb0EEEEE10hipError_tT1_PNSt15iterator_traitsISG_E10value_typeET2_T3_PNSH_ISM_E10value_typeET4_T5_PSR_SS_PNS1_23onesweep_lookback_stateEbbT6_jjT7_P12ihipStream_tbENKUlT_T0_SG_SL_E_clISA_SA_SB_SB_EEDaSZ_S10_SG_SL_EUlSZ_E_NS1_11comp_targetILNS1_3genE3ELNS1_11target_archE908ELNS1_3gpuE7ELNS1_3repE0EEENS1_47radix_sort_onesweep_sort_config_static_selectorELNS0_4arch9wavefront6targetE0EEEvSG_
	.globl	_ZN7rocprim17ROCPRIM_400000_NS6detail17trampoline_kernelINS0_14default_configENS1_35radix_sort_onesweep_config_selectorIhNS0_10empty_typeEEEZZNS1_29radix_sort_onesweep_iterationIS3_Lb0EPKhPhPS5_SB_mNS0_19identity_decomposerENS1_16block_id_wrapperIjLb0EEEEE10hipError_tT1_PNSt15iterator_traitsISG_E10value_typeET2_T3_PNSH_ISM_E10value_typeET4_T5_PSR_SS_PNS1_23onesweep_lookback_stateEbbT6_jjT7_P12ihipStream_tbENKUlT_T0_SG_SL_E_clISA_SA_SB_SB_EEDaSZ_S10_SG_SL_EUlSZ_E_NS1_11comp_targetILNS1_3genE3ELNS1_11target_archE908ELNS1_3gpuE7ELNS1_3repE0EEENS1_47radix_sort_onesweep_sort_config_static_selectorELNS0_4arch9wavefront6targetE0EEEvSG_
	.p2align	8
	.type	_ZN7rocprim17ROCPRIM_400000_NS6detail17trampoline_kernelINS0_14default_configENS1_35radix_sort_onesweep_config_selectorIhNS0_10empty_typeEEEZZNS1_29radix_sort_onesweep_iterationIS3_Lb0EPKhPhPS5_SB_mNS0_19identity_decomposerENS1_16block_id_wrapperIjLb0EEEEE10hipError_tT1_PNSt15iterator_traitsISG_E10value_typeET2_T3_PNSH_ISM_E10value_typeET4_T5_PSR_SS_PNS1_23onesweep_lookback_stateEbbT6_jjT7_P12ihipStream_tbENKUlT_T0_SG_SL_E_clISA_SA_SB_SB_EEDaSZ_S10_SG_SL_EUlSZ_E_NS1_11comp_targetILNS1_3genE3ELNS1_11target_archE908ELNS1_3gpuE7ELNS1_3repE0EEENS1_47radix_sort_onesweep_sort_config_static_selectorELNS0_4arch9wavefront6targetE0EEEvSG_,@function
_ZN7rocprim17ROCPRIM_400000_NS6detail17trampoline_kernelINS0_14default_configENS1_35radix_sort_onesweep_config_selectorIhNS0_10empty_typeEEEZZNS1_29radix_sort_onesweep_iterationIS3_Lb0EPKhPhPS5_SB_mNS0_19identity_decomposerENS1_16block_id_wrapperIjLb0EEEEE10hipError_tT1_PNSt15iterator_traitsISG_E10value_typeET2_T3_PNSH_ISM_E10value_typeET4_T5_PSR_SS_PNS1_23onesweep_lookback_stateEbbT6_jjT7_P12ihipStream_tbENKUlT_T0_SG_SL_E_clISA_SA_SB_SB_EEDaSZ_S10_SG_SL_EUlSZ_E_NS1_11comp_targetILNS1_3genE3ELNS1_11target_archE908ELNS1_3gpuE7ELNS1_3repE0EEENS1_47radix_sort_onesweep_sort_config_static_selectorELNS0_4arch9wavefront6targetE0EEEvSG_: ; @_ZN7rocprim17ROCPRIM_400000_NS6detail17trampoline_kernelINS0_14default_configENS1_35radix_sort_onesweep_config_selectorIhNS0_10empty_typeEEEZZNS1_29radix_sort_onesweep_iterationIS3_Lb0EPKhPhPS5_SB_mNS0_19identity_decomposerENS1_16block_id_wrapperIjLb0EEEEE10hipError_tT1_PNSt15iterator_traitsISG_E10value_typeET2_T3_PNSH_ISM_E10value_typeET4_T5_PSR_SS_PNS1_23onesweep_lookback_stateEbbT6_jjT7_P12ihipStream_tbENKUlT_T0_SG_SL_E_clISA_SA_SB_SB_EEDaSZ_S10_SG_SL_EUlSZ_E_NS1_11comp_targetILNS1_3genE3ELNS1_11target_archE908ELNS1_3gpuE7ELNS1_3repE0EEENS1_47radix_sort_onesweep_sort_config_static_selectorELNS0_4arch9wavefront6targetE0EEEvSG_
; %bb.0:
	.section	.rodata,"a",@progbits
	.p2align	6, 0x0
	.amdhsa_kernel _ZN7rocprim17ROCPRIM_400000_NS6detail17trampoline_kernelINS0_14default_configENS1_35radix_sort_onesweep_config_selectorIhNS0_10empty_typeEEEZZNS1_29radix_sort_onesweep_iterationIS3_Lb0EPKhPhPS5_SB_mNS0_19identity_decomposerENS1_16block_id_wrapperIjLb0EEEEE10hipError_tT1_PNSt15iterator_traitsISG_E10value_typeET2_T3_PNSH_ISM_E10value_typeET4_T5_PSR_SS_PNS1_23onesweep_lookback_stateEbbT6_jjT7_P12ihipStream_tbENKUlT_T0_SG_SL_E_clISA_SA_SB_SB_EEDaSZ_S10_SG_SL_EUlSZ_E_NS1_11comp_targetILNS1_3genE3ELNS1_11target_archE908ELNS1_3gpuE7ELNS1_3repE0EEENS1_47radix_sort_onesweep_sort_config_static_selectorELNS0_4arch9wavefront6targetE0EEEvSG_
		.amdhsa_group_segment_fixed_size 0
		.amdhsa_private_segment_fixed_size 0
		.amdhsa_kernarg_size 88
		.amdhsa_user_sgpr_count 2
		.amdhsa_user_sgpr_dispatch_ptr 0
		.amdhsa_user_sgpr_queue_ptr 0
		.amdhsa_user_sgpr_kernarg_segment_ptr 1
		.amdhsa_user_sgpr_dispatch_id 0
		.amdhsa_user_sgpr_kernarg_preload_length 0
		.amdhsa_user_sgpr_kernarg_preload_offset 0
		.amdhsa_user_sgpr_private_segment_size 0
		.amdhsa_wavefront_size32 1
		.amdhsa_uses_dynamic_stack 0
		.amdhsa_enable_private_segment 0
		.amdhsa_system_sgpr_workgroup_id_x 1
		.amdhsa_system_sgpr_workgroup_id_y 0
		.amdhsa_system_sgpr_workgroup_id_z 0
		.amdhsa_system_sgpr_workgroup_info 0
		.amdhsa_system_vgpr_workitem_id 0
		.amdhsa_next_free_vgpr 1
		.amdhsa_next_free_sgpr 1
		.amdhsa_named_barrier_count 0
		.amdhsa_reserve_vcc 0
		.amdhsa_float_round_mode_32 0
		.amdhsa_float_round_mode_16_64 0
		.amdhsa_float_denorm_mode_32 3
		.amdhsa_float_denorm_mode_16_64 3
		.amdhsa_fp16_overflow 0
		.amdhsa_memory_ordered 1
		.amdhsa_forward_progress 1
		.amdhsa_inst_pref_size 0
		.amdhsa_round_robin_scheduling 0
		.amdhsa_exception_fp_ieee_invalid_op 0
		.amdhsa_exception_fp_denorm_src 0
		.amdhsa_exception_fp_ieee_div_zero 0
		.amdhsa_exception_fp_ieee_overflow 0
		.amdhsa_exception_fp_ieee_underflow 0
		.amdhsa_exception_fp_ieee_inexact 0
		.amdhsa_exception_int_div_zero 0
	.end_amdhsa_kernel
	.section	.text._ZN7rocprim17ROCPRIM_400000_NS6detail17trampoline_kernelINS0_14default_configENS1_35radix_sort_onesweep_config_selectorIhNS0_10empty_typeEEEZZNS1_29radix_sort_onesweep_iterationIS3_Lb0EPKhPhPS5_SB_mNS0_19identity_decomposerENS1_16block_id_wrapperIjLb0EEEEE10hipError_tT1_PNSt15iterator_traitsISG_E10value_typeET2_T3_PNSH_ISM_E10value_typeET4_T5_PSR_SS_PNS1_23onesweep_lookback_stateEbbT6_jjT7_P12ihipStream_tbENKUlT_T0_SG_SL_E_clISA_SA_SB_SB_EEDaSZ_S10_SG_SL_EUlSZ_E_NS1_11comp_targetILNS1_3genE3ELNS1_11target_archE908ELNS1_3gpuE7ELNS1_3repE0EEENS1_47radix_sort_onesweep_sort_config_static_selectorELNS0_4arch9wavefront6targetE0EEEvSG_,"axG",@progbits,_ZN7rocprim17ROCPRIM_400000_NS6detail17trampoline_kernelINS0_14default_configENS1_35radix_sort_onesweep_config_selectorIhNS0_10empty_typeEEEZZNS1_29radix_sort_onesweep_iterationIS3_Lb0EPKhPhPS5_SB_mNS0_19identity_decomposerENS1_16block_id_wrapperIjLb0EEEEE10hipError_tT1_PNSt15iterator_traitsISG_E10value_typeET2_T3_PNSH_ISM_E10value_typeET4_T5_PSR_SS_PNS1_23onesweep_lookback_stateEbbT6_jjT7_P12ihipStream_tbENKUlT_T0_SG_SL_E_clISA_SA_SB_SB_EEDaSZ_S10_SG_SL_EUlSZ_E_NS1_11comp_targetILNS1_3genE3ELNS1_11target_archE908ELNS1_3gpuE7ELNS1_3repE0EEENS1_47radix_sort_onesweep_sort_config_static_selectorELNS0_4arch9wavefront6targetE0EEEvSG_,comdat
.Lfunc_end251:
	.size	_ZN7rocprim17ROCPRIM_400000_NS6detail17trampoline_kernelINS0_14default_configENS1_35radix_sort_onesweep_config_selectorIhNS0_10empty_typeEEEZZNS1_29radix_sort_onesweep_iterationIS3_Lb0EPKhPhPS5_SB_mNS0_19identity_decomposerENS1_16block_id_wrapperIjLb0EEEEE10hipError_tT1_PNSt15iterator_traitsISG_E10value_typeET2_T3_PNSH_ISM_E10value_typeET4_T5_PSR_SS_PNS1_23onesweep_lookback_stateEbbT6_jjT7_P12ihipStream_tbENKUlT_T0_SG_SL_E_clISA_SA_SB_SB_EEDaSZ_S10_SG_SL_EUlSZ_E_NS1_11comp_targetILNS1_3genE3ELNS1_11target_archE908ELNS1_3gpuE7ELNS1_3repE0EEENS1_47radix_sort_onesweep_sort_config_static_selectorELNS0_4arch9wavefront6targetE0EEEvSG_, .Lfunc_end251-_ZN7rocprim17ROCPRIM_400000_NS6detail17trampoline_kernelINS0_14default_configENS1_35radix_sort_onesweep_config_selectorIhNS0_10empty_typeEEEZZNS1_29radix_sort_onesweep_iterationIS3_Lb0EPKhPhPS5_SB_mNS0_19identity_decomposerENS1_16block_id_wrapperIjLb0EEEEE10hipError_tT1_PNSt15iterator_traitsISG_E10value_typeET2_T3_PNSH_ISM_E10value_typeET4_T5_PSR_SS_PNS1_23onesweep_lookback_stateEbbT6_jjT7_P12ihipStream_tbENKUlT_T0_SG_SL_E_clISA_SA_SB_SB_EEDaSZ_S10_SG_SL_EUlSZ_E_NS1_11comp_targetILNS1_3genE3ELNS1_11target_archE908ELNS1_3gpuE7ELNS1_3repE0EEENS1_47radix_sort_onesweep_sort_config_static_selectorELNS0_4arch9wavefront6targetE0EEEvSG_
                                        ; -- End function
	.set _ZN7rocprim17ROCPRIM_400000_NS6detail17trampoline_kernelINS0_14default_configENS1_35radix_sort_onesweep_config_selectorIhNS0_10empty_typeEEEZZNS1_29radix_sort_onesweep_iterationIS3_Lb0EPKhPhPS5_SB_mNS0_19identity_decomposerENS1_16block_id_wrapperIjLb0EEEEE10hipError_tT1_PNSt15iterator_traitsISG_E10value_typeET2_T3_PNSH_ISM_E10value_typeET4_T5_PSR_SS_PNS1_23onesweep_lookback_stateEbbT6_jjT7_P12ihipStream_tbENKUlT_T0_SG_SL_E_clISA_SA_SB_SB_EEDaSZ_S10_SG_SL_EUlSZ_E_NS1_11comp_targetILNS1_3genE3ELNS1_11target_archE908ELNS1_3gpuE7ELNS1_3repE0EEENS1_47radix_sort_onesweep_sort_config_static_selectorELNS0_4arch9wavefront6targetE0EEEvSG_.num_vgpr, 0
	.set _ZN7rocprim17ROCPRIM_400000_NS6detail17trampoline_kernelINS0_14default_configENS1_35radix_sort_onesweep_config_selectorIhNS0_10empty_typeEEEZZNS1_29radix_sort_onesweep_iterationIS3_Lb0EPKhPhPS5_SB_mNS0_19identity_decomposerENS1_16block_id_wrapperIjLb0EEEEE10hipError_tT1_PNSt15iterator_traitsISG_E10value_typeET2_T3_PNSH_ISM_E10value_typeET4_T5_PSR_SS_PNS1_23onesweep_lookback_stateEbbT6_jjT7_P12ihipStream_tbENKUlT_T0_SG_SL_E_clISA_SA_SB_SB_EEDaSZ_S10_SG_SL_EUlSZ_E_NS1_11comp_targetILNS1_3genE3ELNS1_11target_archE908ELNS1_3gpuE7ELNS1_3repE0EEENS1_47radix_sort_onesweep_sort_config_static_selectorELNS0_4arch9wavefront6targetE0EEEvSG_.num_agpr, 0
	.set _ZN7rocprim17ROCPRIM_400000_NS6detail17trampoline_kernelINS0_14default_configENS1_35radix_sort_onesweep_config_selectorIhNS0_10empty_typeEEEZZNS1_29radix_sort_onesweep_iterationIS3_Lb0EPKhPhPS5_SB_mNS0_19identity_decomposerENS1_16block_id_wrapperIjLb0EEEEE10hipError_tT1_PNSt15iterator_traitsISG_E10value_typeET2_T3_PNSH_ISM_E10value_typeET4_T5_PSR_SS_PNS1_23onesweep_lookback_stateEbbT6_jjT7_P12ihipStream_tbENKUlT_T0_SG_SL_E_clISA_SA_SB_SB_EEDaSZ_S10_SG_SL_EUlSZ_E_NS1_11comp_targetILNS1_3genE3ELNS1_11target_archE908ELNS1_3gpuE7ELNS1_3repE0EEENS1_47radix_sort_onesweep_sort_config_static_selectorELNS0_4arch9wavefront6targetE0EEEvSG_.numbered_sgpr, 0
	.set _ZN7rocprim17ROCPRIM_400000_NS6detail17trampoline_kernelINS0_14default_configENS1_35radix_sort_onesweep_config_selectorIhNS0_10empty_typeEEEZZNS1_29radix_sort_onesweep_iterationIS3_Lb0EPKhPhPS5_SB_mNS0_19identity_decomposerENS1_16block_id_wrapperIjLb0EEEEE10hipError_tT1_PNSt15iterator_traitsISG_E10value_typeET2_T3_PNSH_ISM_E10value_typeET4_T5_PSR_SS_PNS1_23onesweep_lookback_stateEbbT6_jjT7_P12ihipStream_tbENKUlT_T0_SG_SL_E_clISA_SA_SB_SB_EEDaSZ_S10_SG_SL_EUlSZ_E_NS1_11comp_targetILNS1_3genE3ELNS1_11target_archE908ELNS1_3gpuE7ELNS1_3repE0EEENS1_47radix_sort_onesweep_sort_config_static_selectorELNS0_4arch9wavefront6targetE0EEEvSG_.num_named_barrier, 0
	.set _ZN7rocprim17ROCPRIM_400000_NS6detail17trampoline_kernelINS0_14default_configENS1_35radix_sort_onesweep_config_selectorIhNS0_10empty_typeEEEZZNS1_29radix_sort_onesweep_iterationIS3_Lb0EPKhPhPS5_SB_mNS0_19identity_decomposerENS1_16block_id_wrapperIjLb0EEEEE10hipError_tT1_PNSt15iterator_traitsISG_E10value_typeET2_T3_PNSH_ISM_E10value_typeET4_T5_PSR_SS_PNS1_23onesweep_lookback_stateEbbT6_jjT7_P12ihipStream_tbENKUlT_T0_SG_SL_E_clISA_SA_SB_SB_EEDaSZ_S10_SG_SL_EUlSZ_E_NS1_11comp_targetILNS1_3genE3ELNS1_11target_archE908ELNS1_3gpuE7ELNS1_3repE0EEENS1_47radix_sort_onesweep_sort_config_static_selectorELNS0_4arch9wavefront6targetE0EEEvSG_.private_seg_size, 0
	.set _ZN7rocprim17ROCPRIM_400000_NS6detail17trampoline_kernelINS0_14default_configENS1_35radix_sort_onesweep_config_selectorIhNS0_10empty_typeEEEZZNS1_29radix_sort_onesweep_iterationIS3_Lb0EPKhPhPS5_SB_mNS0_19identity_decomposerENS1_16block_id_wrapperIjLb0EEEEE10hipError_tT1_PNSt15iterator_traitsISG_E10value_typeET2_T3_PNSH_ISM_E10value_typeET4_T5_PSR_SS_PNS1_23onesweep_lookback_stateEbbT6_jjT7_P12ihipStream_tbENKUlT_T0_SG_SL_E_clISA_SA_SB_SB_EEDaSZ_S10_SG_SL_EUlSZ_E_NS1_11comp_targetILNS1_3genE3ELNS1_11target_archE908ELNS1_3gpuE7ELNS1_3repE0EEENS1_47radix_sort_onesweep_sort_config_static_selectorELNS0_4arch9wavefront6targetE0EEEvSG_.uses_vcc, 0
	.set _ZN7rocprim17ROCPRIM_400000_NS6detail17trampoline_kernelINS0_14default_configENS1_35radix_sort_onesweep_config_selectorIhNS0_10empty_typeEEEZZNS1_29radix_sort_onesweep_iterationIS3_Lb0EPKhPhPS5_SB_mNS0_19identity_decomposerENS1_16block_id_wrapperIjLb0EEEEE10hipError_tT1_PNSt15iterator_traitsISG_E10value_typeET2_T3_PNSH_ISM_E10value_typeET4_T5_PSR_SS_PNS1_23onesweep_lookback_stateEbbT6_jjT7_P12ihipStream_tbENKUlT_T0_SG_SL_E_clISA_SA_SB_SB_EEDaSZ_S10_SG_SL_EUlSZ_E_NS1_11comp_targetILNS1_3genE3ELNS1_11target_archE908ELNS1_3gpuE7ELNS1_3repE0EEENS1_47radix_sort_onesweep_sort_config_static_selectorELNS0_4arch9wavefront6targetE0EEEvSG_.uses_flat_scratch, 0
	.set _ZN7rocprim17ROCPRIM_400000_NS6detail17trampoline_kernelINS0_14default_configENS1_35radix_sort_onesweep_config_selectorIhNS0_10empty_typeEEEZZNS1_29radix_sort_onesweep_iterationIS3_Lb0EPKhPhPS5_SB_mNS0_19identity_decomposerENS1_16block_id_wrapperIjLb0EEEEE10hipError_tT1_PNSt15iterator_traitsISG_E10value_typeET2_T3_PNSH_ISM_E10value_typeET4_T5_PSR_SS_PNS1_23onesweep_lookback_stateEbbT6_jjT7_P12ihipStream_tbENKUlT_T0_SG_SL_E_clISA_SA_SB_SB_EEDaSZ_S10_SG_SL_EUlSZ_E_NS1_11comp_targetILNS1_3genE3ELNS1_11target_archE908ELNS1_3gpuE7ELNS1_3repE0EEENS1_47radix_sort_onesweep_sort_config_static_selectorELNS0_4arch9wavefront6targetE0EEEvSG_.has_dyn_sized_stack, 0
	.set _ZN7rocprim17ROCPRIM_400000_NS6detail17trampoline_kernelINS0_14default_configENS1_35radix_sort_onesweep_config_selectorIhNS0_10empty_typeEEEZZNS1_29radix_sort_onesweep_iterationIS3_Lb0EPKhPhPS5_SB_mNS0_19identity_decomposerENS1_16block_id_wrapperIjLb0EEEEE10hipError_tT1_PNSt15iterator_traitsISG_E10value_typeET2_T3_PNSH_ISM_E10value_typeET4_T5_PSR_SS_PNS1_23onesweep_lookback_stateEbbT6_jjT7_P12ihipStream_tbENKUlT_T0_SG_SL_E_clISA_SA_SB_SB_EEDaSZ_S10_SG_SL_EUlSZ_E_NS1_11comp_targetILNS1_3genE3ELNS1_11target_archE908ELNS1_3gpuE7ELNS1_3repE0EEENS1_47radix_sort_onesweep_sort_config_static_selectorELNS0_4arch9wavefront6targetE0EEEvSG_.has_recursion, 0
	.set _ZN7rocprim17ROCPRIM_400000_NS6detail17trampoline_kernelINS0_14default_configENS1_35radix_sort_onesweep_config_selectorIhNS0_10empty_typeEEEZZNS1_29radix_sort_onesweep_iterationIS3_Lb0EPKhPhPS5_SB_mNS0_19identity_decomposerENS1_16block_id_wrapperIjLb0EEEEE10hipError_tT1_PNSt15iterator_traitsISG_E10value_typeET2_T3_PNSH_ISM_E10value_typeET4_T5_PSR_SS_PNS1_23onesweep_lookback_stateEbbT6_jjT7_P12ihipStream_tbENKUlT_T0_SG_SL_E_clISA_SA_SB_SB_EEDaSZ_S10_SG_SL_EUlSZ_E_NS1_11comp_targetILNS1_3genE3ELNS1_11target_archE908ELNS1_3gpuE7ELNS1_3repE0EEENS1_47radix_sort_onesweep_sort_config_static_selectorELNS0_4arch9wavefront6targetE0EEEvSG_.has_indirect_call, 0
	.section	.AMDGPU.csdata,"",@progbits
; Kernel info:
; codeLenInByte = 0
; TotalNumSgprs: 0
; NumVgprs: 0
; ScratchSize: 0
; MemoryBound: 0
; FloatMode: 240
; IeeeMode: 1
; LDSByteSize: 0 bytes/workgroup (compile time only)
; SGPRBlocks: 0
; VGPRBlocks: 0
; NumSGPRsForWavesPerEU: 1
; NumVGPRsForWavesPerEU: 1
; NamedBarCnt: 0
; Occupancy: 16
; WaveLimiterHint : 0
; COMPUTE_PGM_RSRC2:SCRATCH_EN: 0
; COMPUTE_PGM_RSRC2:USER_SGPR: 2
; COMPUTE_PGM_RSRC2:TRAP_HANDLER: 0
; COMPUTE_PGM_RSRC2:TGID_X_EN: 1
; COMPUTE_PGM_RSRC2:TGID_Y_EN: 0
; COMPUTE_PGM_RSRC2:TGID_Z_EN: 0
; COMPUTE_PGM_RSRC2:TIDIG_COMP_CNT: 0
	.section	.text._ZN7rocprim17ROCPRIM_400000_NS6detail17trampoline_kernelINS0_14default_configENS1_35radix_sort_onesweep_config_selectorIhNS0_10empty_typeEEEZZNS1_29radix_sort_onesweep_iterationIS3_Lb0EPKhPhPS5_SB_mNS0_19identity_decomposerENS1_16block_id_wrapperIjLb0EEEEE10hipError_tT1_PNSt15iterator_traitsISG_E10value_typeET2_T3_PNSH_ISM_E10value_typeET4_T5_PSR_SS_PNS1_23onesweep_lookback_stateEbbT6_jjT7_P12ihipStream_tbENKUlT_T0_SG_SL_E_clISA_SA_SB_SB_EEDaSZ_S10_SG_SL_EUlSZ_E_NS1_11comp_targetILNS1_3genE10ELNS1_11target_archE1201ELNS1_3gpuE5ELNS1_3repE0EEENS1_47radix_sort_onesweep_sort_config_static_selectorELNS0_4arch9wavefront6targetE0EEEvSG_,"axG",@progbits,_ZN7rocprim17ROCPRIM_400000_NS6detail17trampoline_kernelINS0_14default_configENS1_35radix_sort_onesweep_config_selectorIhNS0_10empty_typeEEEZZNS1_29radix_sort_onesweep_iterationIS3_Lb0EPKhPhPS5_SB_mNS0_19identity_decomposerENS1_16block_id_wrapperIjLb0EEEEE10hipError_tT1_PNSt15iterator_traitsISG_E10value_typeET2_T3_PNSH_ISM_E10value_typeET4_T5_PSR_SS_PNS1_23onesweep_lookback_stateEbbT6_jjT7_P12ihipStream_tbENKUlT_T0_SG_SL_E_clISA_SA_SB_SB_EEDaSZ_S10_SG_SL_EUlSZ_E_NS1_11comp_targetILNS1_3genE10ELNS1_11target_archE1201ELNS1_3gpuE5ELNS1_3repE0EEENS1_47radix_sort_onesweep_sort_config_static_selectorELNS0_4arch9wavefront6targetE0EEEvSG_,comdat
	.protected	_ZN7rocprim17ROCPRIM_400000_NS6detail17trampoline_kernelINS0_14default_configENS1_35radix_sort_onesweep_config_selectorIhNS0_10empty_typeEEEZZNS1_29radix_sort_onesweep_iterationIS3_Lb0EPKhPhPS5_SB_mNS0_19identity_decomposerENS1_16block_id_wrapperIjLb0EEEEE10hipError_tT1_PNSt15iterator_traitsISG_E10value_typeET2_T3_PNSH_ISM_E10value_typeET4_T5_PSR_SS_PNS1_23onesweep_lookback_stateEbbT6_jjT7_P12ihipStream_tbENKUlT_T0_SG_SL_E_clISA_SA_SB_SB_EEDaSZ_S10_SG_SL_EUlSZ_E_NS1_11comp_targetILNS1_3genE10ELNS1_11target_archE1201ELNS1_3gpuE5ELNS1_3repE0EEENS1_47radix_sort_onesweep_sort_config_static_selectorELNS0_4arch9wavefront6targetE0EEEvSG_ ; -- Begin function _ZN7rocprim17ROCPRIM_400000_NS6detail17trampoline_kernelINS0_14default_configENS1_35radix_sort_onesweep_config_selectorIhNS0_10empty_typeEEEZZNS1_29radix_sort_onesweep_iterationIS3_Lb0EPKhPhPS5_SB_mNS0_19identity_decomposerENS1_16block_id_wrapperIjLb0EEEEE10hipError_tT1_PNSt15iterator_traitsISG_E10value_typeET2_T3_PNSH_ISM_E10value_typeET4_T5_PSR_SS_PNS1_23onesweep_lookback_stateEbbT6_jjT7_P12ihipStream_tbENKUlT_T0_SG_SL_E_clISA_SA_SB_SB_EEDaSZ_S10_SG_SL_EUlSZ_E_NS1_11comp_targetILNS1_3genE10ELNS1_11target_archE1201ELNS1_3gpuE5ELNS1_3repE0EEENS1_47radix_sort_onesweep_sort_config_static_selectorELNS0_4arch9wavefront6targetE0EEEvSG_
	.globl	_ZN7rocprim17ROCPRIM_400000_NS6detail17trampoline_kernelINS0_14default_configENS1_35radix_sort_onesweep_config_selectorIhNS0_10empty_typeEEEZZNS1_29radix_sort_onesweep_iterationIS3_Lb0EPKhPhPS5_SB_mNS0_19identity_decomposerENS1_16block_id_wrapperIjLb0EEEEE10hipError_tT1_PNSt15iterator_traitsISG_E10value_typeET2_T3_PNSH_ISM_E10value_typeET4_T5_PSR_SS_PNS1_23onesweep_lookback_stateEbbT6_jjT7_P12ihipStream_tbENKUlT_T0_SG_SL_E_clISA_SA_SB_SB_EEDaSZ_S10_SG_SL_EUlSZ_E_NS1_11comp_targetILNS1_3genE10ELNS1_11target_archE1201ELNS1_3gpuE5ELNS1_3repE0EEENS1_47radix_sort_onesweep_sort_config_static_selectorELNS0_4arch9wavefront6targetE0EEEvSG_
	.p2align	8
	.type	_ZN7rocprim17ROCPRIM_400000_NS6detail17trampoline_kernelINS0_14default_configENS1_35radix_sort_onesweep_config_selectorIhNS0_10empty_typeEEEZZNS1_29radix_sort_onesweep_iterationIS3_Lb0EPKhPhPS5_SB_mNS0_19identity_decomposerENS1_16block_id_wrapperIjLb0EEEEE10hipError_tT1_PNSt15iterator_traitsISG_E10value_typeET2_T3_PNSH_ISM_E10value_typeET4_T5_PSR_SS_PNS1_23onesweep_lookback_stateEbbT6_jjT7_P12ihipStream_tbENKUlT_T0_SG_SL_E_clISA_SA_SB_SB_EEDaSZ_S10_SG_SL_EUlSZ_E_NS1_11comp_targetILNS1_3genE10ELNS1_11target_archE1201ELNS1_3gpuE5ELNS1_3repE0EEENS1_47radix_sort_onesweep_sort_config_static_selectorELNS0_4arch9wavefront6targetE0EEEvSG_,@function
_ZN7rocprim17ROCPRIM_400000_NS6detail17trampoline_kernelINS0_14default_configENS1_35radix_sort_onesweep_config_selectorIhNS0_10empty_typeEEEZZNS1_29radix_sort_onesweep_iterationIS3_Lb0EPKhPhPS5_SB_mNS0_19identity_decomposerENS1_16block_id_wrapperIjLb0EEEEE10hipError_tT1_PNSt15iterator_traitsISG_E10value_typeET2_T3_PNSH_ISM_E10value_typeET4_T5_PSR_SS_PNS1_23onesweep_lookback_stateEbbT6_jjT7_P12ihipStream_tbENKUlT_T0_SG_SL_E_clISA_SA_SB_SB_EEDaSZ_S10_SG_SL_EUlSZ_E_NS1_11comp_targetILNS1_3genE10ELNS1_11target_archE1201ELNS1_3gpuE5ELNS1_3repE0EEENS1_47radix_sort_onesweep_sort_config_static_selectorELNS0_4arch9wavefront6targetE0EEEvSG_: ; @_ZN7rocprim17ROCPRIM_400000_NS6detail17trampoline_kernelINS0_14default_configENS1_35radix_sort_onesweep_config_selectorIhNS0_10empty_typeEEEZZNS1_29radix_sort_onesweep_iterationIS3_Lb0EPKhPhPS5_SB_mNS0_19identity_decomposerENS1_16block_id_wrapperIjLb0EEEEE10hipError_tT1_PNSt15iterator_traitsISG_E10value_typeET2_T3_PNSH_ISM_E10value_typeET4_T5_PSR_SS_PNS1_23onesweep_lookback_stateEbbT6_jjT7_P12ihipStream_tbENKUlT_T0_SG_SL_E_clISA_SA_SB_SB_EEDaSZ_S10_SG_SL_EUlSZ_E_NS1_11comp_targetILNS1_3genE10ELNS1_11target_archE1201ELNS1_3gpuE5ELNS1_3repE0EEENS1_47radix_sort_onesweep_sort_config_static_selectorELNS0_4arch9wavefront6targetE0EEEvSG_
; %bb.0:
	.section	.rodata,"a",@progbits
	.p2align	6, 0x0
	.amdhsa_kernel _ZN7rocprim17ROCPRIM_400000_NS6detail17trampoline_kernelINS0_14default_configENS1_35radix_sort_onesweep_config_selectorIhNS0_10empty_typeEEEZZNS1_29radix_sort_onesweep_iterationIS3_Lb0EPKhPhPS5_SB_mNS0_19identity_decomposerENS1_16block_id_wrapperIjLb0EEEEE10hipError_tT1_PNSt15iterator_traitsISG_E10value_typeET2_T3_PNSH_ISM_E10value_typeET4_T5_PSR_SS_PNS1_23onesweep_lookback_stateEbbT6_jjT7_P12ihipStream_tbENKUlT_T0_SG_SL_E_clISA_SA_SB_SB_EEDaSZ_S10_SG_SL_EUlSZ_E_NS1_11comp_targetILNS1_3genE10ELNS1_11target_archE1201ELNS1_3gpuE5ELNS1_3repE0EEENS1_47radix_sort_onesweep_sort_config_static_selectorELNS0_4arch9wavefront6targetE0EEEvSG_
		.amdhsa_group_segment_fixed_size 0
		.amdhsa_private_segment_fixed_size 0
		.amdhsa_kernarg_size 88
		.amdhsa_user_sgpr_count 2
		.amdhsa_user_sgpr_dispatch_ptr 0
		.amdhsa_user_sgpr_queue_ptr 0
		.amdhsa_user_sgpr_kernarg_segment_ptr 1
		.amdhsa_user_sgpr_dispatch_id 0
		.amdhsa_user_sgpr_kernarg_preload_length 0
		.amdhsa_user_sgpr_kernarg_preload_offset 0
		.amdhsa_user_sgpr_private_segment_size 0
		.amdhsa_wavefront_size32 1
		.amdhsa_uses_dynamic_stack 0
		.amdhsa_enable_private_segment 0
		.amdhsa_system_sgpr_workgroup_id_x 1
		.amdhsa_system_sgpr_workgroup_id_y 0
		.amdhsa_system_sgpr_workgroup_id_z 0
		.amdhsa_system_sgpr_workgroup_info 0
		.amdhsa_system_vgpr_workitem_id 0
		.amdhsa_next_free_vgpr 1
		.amdhsa_next_free_sgpr 1
		.amdhsa_named_barrier_count 0
		.amdhsa_reserve_vcc 0
		.amdhsa_float_round_mode_32 0
		.amdhsa_float_round_mode_16_64 0
		.amdhsa_float_denorm_mode_32 3
		.amdhsa_float_denorm_mode_16_64 3
		.amdhsa_fp16_overflow 0
		.amdhsa_memory_ordered 1
		.amdhsa_forward_progress 1
		.amdhsa_inst_pref_size 0
		.amdhsa_round_robin_scheduling 0
		.amdhsa_exception_fp_ieee_invalid_op 0
		.amdhsa_exception_fp_denorm_src 0
		.amdhsa_exception_fp_ieee_div_zero 0
		.amdhsa_exception_fp_ieee_overflow 0
		.amdhsa_exception_fp_ieee_underflow 0
		.amdhsa_exception_fp_ieee_inexact 0
		.amdhsa_exception_int_div_zero 0
	.end_amdhsa_kernel
	.section	.text._ZN7rocprim17ROCPRIM_400000_NS6detail17trampoline_kernelINS0_14default_configENS1_35radix_sort_onesweep_config_selectorIhNS0_10empty_typeEEEZZNS1_29radix_sort_onesweep_iterationIS3_Lb0EPKhPhPS5_SB_mNS0_19identity_decomposerENS1_16block_id_wrapperIjLb0EEEEE10hipError_tT1_PNSt15iterator_traitsISG_E10value_typeET2_T3_PNSH_ISM_E10value_typeET4_T5_PSR_SS_PNS1_23onesweep_lookback_stateEbbT6_jjT7_P12ihipStream_tbENKUlT_T0_SG_SL_E_clISA_SA_SB_SB_EEDaSZ_S10_SG_SL_EUlSZ_E_NS1_11comp_targetILNS1_3genE10ELNS1_11target_archE1201ELNS1_3gpuE5ELNS1_3repE0EEENS1_47radix_sort_onesweep_sort_config_static_selectorELNS0_4arch9wavefront6targetE0EEEvSG_,"axG",@progbits,_ZN7rocprim17ROCPRIM_400000_NS6detail17trampoline_kernelINS0_14default_configENS1_35radix_sort_onesweep_config_selectorIhNS0_10empty_typeEEEZZNS1_29radix_sort_onesweep_iterationIS3_Lb0EPKhPhPS5_SB_mNS0_19identity_decomposerENS1_16block_id_wrapperIjLb0EEEEE10hipError_tT1_PNSt15iterator_traitsISG_E10value_typeET2_T3_PNSH_ISM_E10value_typeET4_T5_PSR_SS_PNS1_23onesweep_lookback_stateEbbT6_jjT7_P12ihipStream_tbENKUlT_T0_SG_SL_E_clISA_SA_SB_SB_EEDaSZ_S10_SG_SL_EUlSZ_E_NS1_11comp_targetILNS1_3genE10ELNS1_11target_archE1201ELNS1_3gpuE5ELNS1_3repE0EEENS1_47radix_sort_onesweep_sort_config_static_selectorELNS0_4arch9wavefront6targetE0EEEvSG_,comdat
.Lfunc_end252:
	.size	_ZN7rocprim17ROCPRIM_400000_NS6detail17trampoline_kernelINS0_14default_configENS1_35radix_sort_onesweep_config_selectorIhNS0_10empty_typeEEEZZNS1_29radix_sort_onesweep_iterationIS3_Lb0EPKhPhPS5_SB_mNS0_19identity_decomposerENS1_16block_id_wrapperIjLb0EEEEE10hipError_tT1_PNSt15iterator_traitsISG_E10value_typeET2_T3_PNSH_ISM_E10value_typeET4_T5_PSR_SS_PNS1_23onesweep_lookback_stateEbbT6_jjT7_P12ihipStream_tbENKUlT_T0_SG_SL_E_clISA_SA_SB_SB_EEDaSZ_S10_SG_SL_EUlSZ_E_NS1_11comp_targetILNS1_3genE10ELNS1_11target_archE1201ELNS1_3gpuE5ELNS1_3repE0EEENS1_47radix_sort_onesweep_sort_config_static_selectorELNS0_4arch9wavefront6targetE0EEEvSG_, .Lfunc_end252-_ZN7rocprim17ROCPRIM_400000_NS6detail17trampoline_kernelINS0_14default_configENS1_35radix_sort_onesweep_config_selectorIhNS0_10empty_typeEEEZZNS1_29radix_sort_onesweep_iterationIS3_Lb0EPKhPhPS5_SB_mNS0_19identity_decomposerENS1_16block_id_wrapperIjLb0EEEEE10hipError_tT1_PNSt15iterator_traitsISG_E10value_typeET2_T3_PNSH_ISM_E10value_typeET4_T5_PSR_SS_PNS1_23onesweep_lookback_stateEbbT6_jjT7_P12ihipStream_tbENKUlT_T0_SG_SL_E_clISA_SA_SB_SB_EEDaSZ_S10_SG_SL_EUlSZ_E_NS1_11comp_targetILNS1_3genE10ELNS1_11target_archE1201ELNS1_3gpuE5ELNS1_3repE0EEENS1_47radix_sort_onesweep_sort_config_static_selectorELNS0_4arch9wavefront6targetE0EEEvSG_
                                        ; -- End function
	.set _ZN7rocprim17ROCPRIM_400000_NS6detail17trampoline_kernelINS0_14default_configENS1_35radix_sort_onesweep_config_selectorIhNS0_10empty_typeEEEZZNS1_29radix_sort_onesweep_iterationIS3_Lb0EPKhPhPS5_SB_mNS0_19identity_decomposerENS1_16block_id_wrapperIjLb0EEEEE10hipError_tT1_PNSt15iterator_traitsISG_E10value_typeET2_T3_PNSH_ISM_E10value_typeET4_T5_PSR_SS_PNS1_23onesweep_lookback_stateEbbT6_jjT7_P12ihipStream_tbENKUlT_T0_SG_SL_E_clISA_SA_SB_SB_EEDaSZ_S10_SG_SL_EUlSZ_E_NS1_11comp_targetILNS1_3genE10ELNS1_11target_archE1201ELNS1_3gpuE5ELNS1_3repE0EEENS1_47radix_sort_onesweep_sort_config_static_selectorELNS0_4arch9wavefront6targetE0EEEvSG_.num_vgpr, 0
	.set _ZN7rocprim17ROCPRIM_400000_NS6detail17trampoline_kernelINS0_14default_configENS1_35radix_sort_onesweep_config_selectorIhNS0_10empty_typeEEEZZNS1_29radix_sort_onesweep_iterationIS3_Lb0EPKhPhPS5_SB_mNS0_19identity_decomposerENS1_16block_id_wrapperIjLb0EEEEE10hipError_tT1_PNSt15iterator_traitsISG_E10value_typeET2_T3_PNSH_ISM_E10value_typeET4_T5_PSR_SS_PNS1_23onesweep_lookback_stateEbbT6_jjT7_P12ihipStream_tbENKUlT_T0_SG_SL_E_clISA_SA_SB_SB_EEDaSZ_S10_SG_SL_EUlSZ_E_NS1_11comp_targetILNS1_3genE10ELNS1_11target_archE1201ELNS1_3gpuE5ELNS1_3repE0EEENS1_47radix_sort_onesweep_sort_config_static_selectorELNS0_4arch9wavefront6targetE0EEEvSG_.num_agpr, 0
	.set _ZN7rocprim17ROCPRIM_400000_NS6detail17trampoline_kernelINS0_14default_configENS1_35radix_sort_onesweep_config_selectorIhNS0_10empty_typeEEEZZNS1_29radix_sort_onesweep_iterationIS3_Lb0EPKhPhPS5_SB_mNS0_19identity_decomposerENS1_16block_id_wrapperIjLb0EEEEE10hipError_tT1_PNSt15iterator_traitsISG_E10value_typeET2_T3_PNSH_ISM_E10value_typeET4_T5_PSR_SS_PNS1_23onesweep_lookback_stateEbbT6_jjT7_P12ihipStream_tbENKUlT_T0_SG_SL_E_clISA_SA_SB_SB_EEDaSZ_S10_SG_SL_EUlSZ_E_NS1_11comp_targetILNS1_3genE10ELNS1_11target_archE1201ELNS1_3gpuE5ELNS1_3repE0EEENS1_47radix_sort_onesweep_sort_config_static_selectorELNS0_4arch9wavefront6targetE0EEEvSG_.numbered_sgpr, 0
	.set _ZN7rocprim17ROCPRIM_400000_NS6detail17trampoline_kernelINS0_14default_configENS1_35radix_sort_onesweep_config_selectorIhNS0_10empty_typeEEEZZNS1_29radix_sort_onesweep_iterationIS3_Lb0EPKhPhPS5_SB_mNS0_19identity_decomposerENS1_16block_id_wrapperIjLb0EEEEE10hipError_tT1_PNSt15iterator_traitsISG_E10value_typeET2_T3_PNSH_ISM_E10value_typeET4_T5_PSR_SS_PNS1_23onesweep_lookback_stateEbbT6_jjT7_P12ihipStream_tbENKUlT_T0_SG_SL_E_clISA_SA_SB_SB_EEDaSZ_S10_SG_SL_EUlSZ_E_NS1_11comp_targetILNS1_3genE10ELNS1_11target_archE1201ELNS1_3gpuE5ELNS1_3repE0EEENS1_47radix_sort_onesweep_sort_config_static_selectorELNS0_4arch9wavefront6targetE0EEEvSG_.num_named_barrier, 0
	.set _ZN7rocprim17ROCPRIM_400000_NS6detail17trampoline_kernelINS0_14default_configENS1_35radix_sort_onesweep_config_selectorIhNS0_10empty_typeEEEZZNS1_29radix_sort_onesweep_iterationIS3_Lb0EPKhPhPS5_SB_mNS0_19identity_decomposerENS1_16block_id_wrapperIjLb0EEEEE10hipError_tT1_PNSt15iterator_traitsISG_E10value_typeET2_T3_PNSH_ISM_E10value_typeET4_T5_PSR_SS_PNS1_23onesweep_lookback_stateEbbT6_jjT7_P12ihipStream_tbENKUlT_T0_SG_SL_E_clISA_SA_SB_SB_EEDaSZ_S10_SG_SL_EUlSZ_E_NS1_11comp_targetILNS1_3genE10ELNS1_11target_archE1201ELNS1_3gpuE5ELNS1_3repE0EEENS1_47radix_sort_onesweep_sort_config_static_selectorELNS0_4arch9wavefront6targetE0EEEvSG_.private_seg_size, 0
	.set _ZN7rocprim17ROCPRIM_400000_NS6detail17trampoline_kernelINS0_14default_configENS1_35radix_sort_onesweep_config_selectorIhNS0_10empty_typeEEEZZNS1_29radix_sort_onesweep_iterationIS3_Lb0EPKhPhPS5_SB_mNS0_19identity_decomposerENS1_16block_id_wrapperIjLb0EEEEE10hipError_tT1_PNSt15iterator_traitsISG_E10value_typeET2_T3_PNSH_ISM_E10value_typeET4_T5_PSR_SS_PNS1_23onesweep_lookback_stateEbbT6_jjT7_P12ihipStream_tbENKUlT_T0_SG_SL_E_clISA_SA_SB_SB_EEDaSZ_S10_SG_SL_EUlSZ_E_NS1_11comp_targetILNS1_3genE10ELNS1_11target_archE1201ELNS1_3gpuE5ELNS1_3repE0EEENS1_47radix_sort_onesweep_sort_config_static_selectorELNS0_4arch9wavefront6targetE0EEEvSG_.uses_vcc, 0
	.set _ZN7rocprim17ROCPRIM_400000_NS6detail17trampoline_kernelINS0_14default_configENS1_35radix_sort_onesweep_config_selectorIhNS0_10empty_typeEEEZZNS1_29radix_sort_onesweep_iterationIS3_Lb0EPKhPhPS5_SB_mNS0_19identity_decomposerENS1_16block_id_wrapperIjLb0EEEEE10hipError_tT1_PNSt15iterator_traitsISG_E10value_typeET2_T3_PNSH_ISM_E10value_typeET4_T5_PSR_SS_PNS1_23onesweep_lookback_stateEbbT6_jjT7_P12ihipStream_tbENKUlT_T0_SG_SL_E_clISA_SA_SB_SB_EEDaSZ_S10_SG_SL_EUlSZ_E_NS1_11comp_targetILNS1_3genE10ELNS1_11target_archE1201ELNS1_3gpuE5ELNS1_3repE0EEENS1_47radix_sort_onesweep_sort_config_static_selectorELNS0_4arch9wavefront6targetE0EEEvSG_.uses_flat_scratch, 0
	.set _ZN7rocprim17ROCPRIM_400000_NS6detail17trampoline_kernelINS0_14default_configENS1_35radix_sort_onesweep_config_selectorIhNS0_10empty_typeEEEZZNS1_29radix_sort_onesweep_iterationIS3_Lb0EPKhPhPS5_SB_mNS0_19identity_decomposerENS1_16block_id_wrapperIjLb0EEEEE10hipError_tT1_PNSt15iterator_traitsISG_E10value_typeET2_T3_PNSH_ISM_E10value_typeET4_T5_PSR_SS_PNS1_23onesweep_lookback_stateEbbT6_jjT7_P12ihipStream_tbENKUlT_T0_SG_SL_E_clISA_SA_SB_SB_EEDaSZ_S10_SG_SL_EUlSZ_E_NS1_11comp_targetILNS1_3genE10ELNS1_11target_archE1201ELNS1_3gpuE5ELNS1_3repE0EEENS1_47radix_sort_onesweep_sort_config_static_selectorELNS0_4arch9wavefront6targetE0EEEvSG_.has_dyn_sized_stack, 0
	.set _ZN7rocprim17ROCPRIM_400000_NS6detail17trampoline_kernelINS0_14default_configENS1_35radix_sort_onesweep_config_selectorIhNS0_10empty_typeEEEZZNS1_29radix_sort_onesweep_iterationIS3_Lb0EPKhPhPS5_SB_mNS0_19identity_decomposerENS1_16block_id_wrapperIjLb0EEEEE10hipError_tT1_PNSt15iterator_traitsISG_E10value_typeET2_T3_PNSH_ISM_E10value_typeET4_T5_PSR_SS_PNS1_23onesweep_lookback_stateEbbT6_jjT7_P12ihipStream_tbENKUlT_T0_SG_SL_E_clISA_SA_SB_SB_EEDaSZ_S10_SG_SL_EUlSZ_E_NS1_11comp_targetILNS1_3genE10ELNS1_11target_archE1201ELNS1_3gpuE5ELNS1_3repE0EEENS1_47radix_sort_onesweep_sort_config_static_selectorELNS0_4arch9wavefront6targetE0EEEvSG_.has_recursion, 0
	.set _ZN7rocprim17ROCPRIM_400000_NS6detail17trampoline_kernelINS0_14default_configENS1_35radix_sort_onesweep_config_selectorIhNS0_10empty_typeEEEZZNS1_29radix_sort_onesweep_iterationIS3_Lb0EPKhPhPS5_SB_mNS0_19identity_decomposerENS1_16block_id_wrapperIjLb0EEEEE10hipError_tT1_PNSt15iterator_traitsISG_E10value_typeET2_T3_PNSH_ISM_E10value_typeET4_T5_PSR_SS_PNS1_23onesweep_lookback_stateEbbT6_jjT7_P12ihipStream_tbENKUlT_T0_SG_SL_E_clISA_SA_SB_SB_EEDaSZ_S10_SG_SL_EUlSZ_E_NS1_11comp_targetILNS1_3genE10ELNS1_11target_archE1201ELNS1_3gpuE5ELNS1_3repE0EEENS1_47radix_sort_onesweep_sort_config_static_selectorELNS0_4arch9wavefront6targetE0EEEvSG_.has_indirect_call, 0
	.section	.AMDGPU.csdata,"",@progbits
; Kernel info:
; codeLenInByte = 0
; TotalNumSgprs: 0
; NumVgprs: 0
; ScratchSize: 0
; MemoryBound: 0
; FloatMode: 240
; IeeeMode: 1
; LDSByteSize: 0 bytes/workgroup (compile time only)
; SGPRBlocks: 0
; VGPRBlocks: 0
; NumSGPRsForWavesPerEU: 1
; NumVGPRsForWavesPerEU: 1
; NamedBarCnt: 0
; Occupancy: 16
; WaveLimiterHint : 0
; COMPUTE_PGM_RSRC2:SCRATCH_EN: 0
; COMPUTE_PGM_RSRC2:USER_SGPR: 2
; COMPUTE_PGM_RSRC2:TRAP_HANDLER: 0
; COMPUTE_PGM_RSRC2:TGID_X_EN: 1
; COMPUTE_PGM_RSRC2:TGID_Y_EN: 0
; COMPUTE_PGM_RSRC2:TGID_Z_EN: 0
; COMPUTE_PGM_RSRC2:TIDIG_COMP_CNT: 0
	.section	.text._ZN7rocprim17ROCPRIM_400000_NS6detail17trampoline_kernelINS0_14default_configENS1_35radix_sort_onesweep_config_selectorIhNS0_10empty_typeEEEZZNS1_29radix_sort_onesweep_iterationIS3_Lb0EPKhPhPS5_SB_mNS0_19identity_decomposerENS1_16block_id_wrapperIjLb0EEEEE10hipError_tT1_PNSt15iterator_traitsISG_E10value_typeET2_T3_PNSH_ISM_E10value_typeET4_T5_PSR_SS_PNS1_23onesweep_lookback_stateEbbT6_jjT7_P12ihipStream_tbENKUlT_T0_SG_SL_E_clISA_SA_SB_SB_EEDaSZ_S10_SG_SL_EUlSZ_E_NS1_11comp_targetILNS1_3genE9ELNS1_11target_archE1100ELNS1_3gpuE3ELNS1_3repE0EEENS1_47radix_sort_onesweep_sort_config_static_selectorELNS0_4arch9wavefront6targetE0EEEvSG_,"axG",@progbits,_ZN7rocprim17ROCPRIM_400000_NS6detail17trampoline_kernelINS0_14default_configENS1_35radix_sort_onesweep_config_selectorIhNS0_10empty_typeEEEZZNS1_29radix_sort_onesweep_iterationIS3_Lb0EPKhPhPS5_SB_mNS0_19identity_decomposerENS1_16block_id_wrapperIjLb0EEEEE10hipError_tT1_PNSt15iterator_traitsISG_E10value_typeET2_T3_PNSH_ISM_E10value_typeET4_T5_PSR_SS_PNS1_23onesweep_lookback_stateEbbT6_jjT7_P12ihipStream_tbENKUlT_T0_SG_SL_E_clISA_SA_SB_SB_EEDaSZ_S10_SG_SL_EUlSZ_E_NS1_11comp_targetILNS1_3genE9ELNS1_11target_archE1100ELNS1_3gpuE3ELNS1_3repE0EEENS1_47radix_sort_onesweep_sort_config_static_selectorELNS0_4arch9wavefront6targetE0EEEvSG_,comdat
	.protected	_ZN7rocprim17ROCPRIM_400000_NS6detail17trampoline_kernelINS0_14default_configENS1_35radix_sort_onesweep_config_selectorIhNS0_10empty_typeEEEZZNS1_29radix_sort_onesweep_iterationIS3_Lb0EPKhPhPS5_SB_mNS0_19identity_decomposerENS1_16block_id_wrapperIjLb0EEEEE10hipError_tT1_PNSt15iterator_traitsISG_E10value_typeET2_T3_PNSH_ISM_E10value_typeET4_T5_PSR_SS_PNS1_23onesweep_lookback_stateEbbT6_jjT7_P12ihipStream_tbENKUlT_T0_SG_SL_E_clISA_SA_SB_SB_EEDaSZ_S10_SG_SL_EUlSZ_E_NS1_11comp_targetILNS1_3genE9ELNS1_11target_archE1100ELNS1_3gpuE3ELNS1_3repE0EEENS1_47radix_sort_onesweep_sort_config_static_selectorELNS0_4arch9wavefront6targetE0EEEvSG_ ; -- Begin function _ZN7rocprim17ROCPRIM_400000_NS6detail17trampoline_kernelINS0_14default_configENS1_35radix_sort_onesweep_config_selectorIhNS0_10empty_typeEEEZZNS1_29radix_sort_onesweep_iterationIS3_Lb0EPKhPhPS5_SB_mNS0_19identity_decomposerENS1_16block_id_wrapperIjLb0EEEEE10hipError_tT1_PNSt15iterator_traitsISG_E10value_typeET2_T3_PNSH_ISM_E10value_typeET4_T5_PSR_SS_PNS1_23onesweep_lookback_stateEbbT6_jjT7_P12ihipStream_tbENKUlT_T0_SG_SL_E_clISA_SA_SB_SB_EEDaSZ_S10_SG_SL_EUlSZ_E_NS1_11comp_targetILNS1_3genE9ELNS1_11target_archE1100ELNS1_3gpuE3ELNS1_3repE0EEENS1_47radix_sort_onesweep_sort_config_static_selectorELNS0_4arch9wavefront6targetE0EEEvSG_
	.globl	_ZN7rocprim17ROCPRIM_400000_NS6detail17trampoline_kernelINS0_14default_configENS1_35radix_sort_onesweep_config_selectorIhNS0_10empty_typeEEEZZNS1_29radix_sort_onesweep_iterationIS3_Lb0EPKhPhPS5_SB_mNS0_19identity_decomposerENS1_16block_id_wrapperIjLb0EEEEE10hipError_tT1_PNSt15iterator_traitsISG_E10value_typeET2_T3_PNSH_ISM_E10value_typeET4_T5_PSR_SS_PNS1_23onesweep_lookback_stateEbbT6_jjT7_P12ihipStream_tbENKUlT_T0_SG_SL_E_clISA_SA_SB_SB_EEDaSZ_S10_SG_SL_EUlSZ_E_NS1_11comp_targetILNS1_3genE9ELNS1_11target_archE1100ELNS1_3gpuE3ELNS1_3repE0EEENS1_47radix_sort_onesweep_sort_config_static_selectorELNS0_4arch9wavefront6targetE0EEEvSG_
	.p2align	8
	.type	_ZN7rocprim17ROCPRIM_400000_NS6detail17trampoline_kernelINS0_14default_configENS1_35radix_sort_onesweep_config_selectorIhNS0_10empty_typeEEEZZNS1_29radix_sort_onesweep_iterationIS3_Lb0EPKhPhPS5_SB_mNS0_19identity_decomposerENS1_16block_id_wrapperIjLb0EEEEE10hipError_tT1_PNSt15iterator_traitsISG_E10value_typeET2_T3_PNSH_ISM_E10value_typeET4_T5_PSR_SS_PNS1_23onesweep_lookback_stateEbbT6_jjT7_P12ihipStream_tbENKUlT_T0_SG_SL_E_clISA_SA_SB_SB_EEDaSZ_S10_SG_SL_EUlSZ_E_NS1_11comp_targetILNS1_3genE9ELNS1_11target_archE1100ELNS1_3gpuE3ELNS1_3repE0EEENS1_47radix_sort_onesweep_sort_config_static_selectorELNS0_4arch9wavefront6targetE0EEEvSG_,@function
_ZN7rocprim17ROCPRIM_400000_NS6detail17trampoline_kernelINS0_14default_configENS1_35radix_sort_onesweep_config_selectorIhNS0_10empty_typeEEEZZNS1_29radix_sort_onesweep_iterationIS3_Lb0EPKhPhPS5_SB_mNS0_19identity_decomposerENS1_16block_id_wrapperIjLb0EEEEE10hipError_tT1_PNSt15iterator_traitsISG_E10value_typeET2_T3_PNSH_ISM_E10value_typeET4_T5_PSR_SS_PNS1_23onesweep_lookback_stateEbbT6_jjT7_P12ihipStream_tbENKUlT_T0_SG_SL_E_clISA_SA_SB_SB_EEDaSZ_S10_SG_SL_EUlSZ_E_NS1_11comp_targetILNS1_3genE9ELNS1_11target_archE1100ELNS1_3gpuE3ELNS1_3repE0EEENS1_47radix_sort_onesweep_sort_config_static_selectorELNS0_4arch9wavefront6targetE0EEEvSG_: ; @_ZN7rocprim17ROCPRIM_400000_NS6detail17trampoline_kernelINS0_14default_configENS1_35radix_sort_onesweep_config_selectorIhNS0_10empty_typeEEEZZNS1_29radix_sort_onesweep_iterationIS3_Lb0EPKhPhPS5_SB_mNS0_19identity_decomposerENS1_16block_id_wrapperIjLb0EEEEE10hipError_tT1_PNSt15iterator_traitsISG_E10value_typeET2_T3_PNSH_ISM_E10value_typeET4_T5_PSR_SS_PNS1_23onesweep_lookback_stateEbbT6_jjT7_P12ihipStream_tbENKUlT_T0_SG_SL_E_clISA_SA_SB_SB_EEDaSZ_S10_SG_SL_EUlSZ_E_NS1_11comp_targetILNS1_3genE9ELNS1_11target_archE1100ELNS1_3gpuE3ELNS1_3repE0EEENS1_47radix_sort_onesweep_sort_config_static_selectorELNS0_4arch9wavefront6targetE0EEEvSG_
; %bb.0:
	.section	.rodata,"a",@progbits
	.p2align	6, 0x0
	.amdhsa_kernel _ZN7rocprim17ROCPRIM_400000_NS6detail17trampoline_kernelINS0_14default_configENS1_35radix_sort_onesweep_config_selectorIhNS0_10empty_typeEEEZZNS1_29radix_sort_onesweep_iterationIS3_Lb0EPKhPhPS5_SB_mNS0_19identity_decomposerENS1_16block_id_wrapperIjLb0EEEEE10hipError_tT1_PNSt15iterator_traitsISG_E10value_typeET2_T3_PNSH_ISM_E10value_typeET4_T5_PSR_SS_PNS1_23onesweep_lookback_stateEbbT6_jjT7_P12ihipStream_tbENKUlT_T0_SG_SL_E_clISA_SA_SB_SB_EEDaSZ_S10_SG_SL_EUlSZ_E_NS1_11comp_targetILNS1_3genE9ELNS1_11target_archE1100ELNS1_3gpuE3ELNS1_3repE0EEENS1_47radix_sort_onesweep_sort_config_static_selectorELNS0_4arch9wavefront6targetE0EEEvSG_
		.amdhsa_group_segment_fixed_size 0
		.amdhsa_private_segment_fixed_size 0
		.amdhsa_kernarg_size 88
		.amdhsa_user_sgpr_count 2
		.amdhsa_user_sgpr_dispatch_ptr 0
		.amdhsa_user_sgpr_queue_ptr 0
		.amdhsa_user_sgpr_kernarg_segment_ptr 1
		.amdhsa_user_sgpr_dispatch_id 0
		.amdhsa_user_sgpr_kernarg_preload_length 0
		.amdhsa_user_sgpr_kernarg_preload_offset 0
		.amdhsa_user_sgpr_private_segment_size 0
		.amdhsa_wavefront_size32 1
		.amdhsa_uses_dynamic_stack 0
		.amdhsa_enable_private_segment 0
		.amdhsa_system_sgpr_workgroup_id_x 1
		.amdhsa_system_sgpr_workgroup_id_y 0
		.amdhsa_system_sgpr_workgroup_id_z 0
		.amdhsa_system_sgpr_workgroup_info 0
		.amdhsa_system_vgpr_workitem_id 0
		.amdhsa_next_free_vgpr 1
		.amdhsa_next_free_sgpr 1
		.amdhsa_named_barrier_count 0
		.amdhsa_reserve_vcc 0
		.amdhsa_float_round_mode_32 0
		.amdhsa_float_round_mode_16_64 0
		.amdhsa_float_denorm_mode_32 3
		.amdhsa_float_denorm_mode_16_64 3
		.amdhsa_fp16_overflow 0
		.amdhsa_memory_ordered 1
		.amdhsa_forward_progress 1
		.amdhsa_inst_pref_size 0
		.amdhsa_round_robin_scheduling 0
		.amdhsa_exception_fp_ieee_invalid_op 0
		.amdhsa_exception_fp_denorm_src 0
		.amdhsa_exception_fp_ieee_div_zero 0
		.amdhsa_exception_fp_ieee_overflow 0
		.amdhsa_exception_fp_ieee_underflow 0
		.amdhsa_exception_fp_ieee_inexact 0
		.amdhsa_exception_int_div_zero 0
	.end_amdhsa_kernel
	.section	.text._ZN7rocprim17ROCPRIM_400000_NS6detail17trampoline_kernelINS0_14default_configENS1_35radix_sort_onesweep_config_selectorIhNS0_10empty_typeEEEZZNS1_29radix_sort_onesweep_iterationIS3_Lb0EPKhPhPS5_SB_mNS0_19identity_decomposerENS1_16block_id_wrapperIjLb0EEEEE10hipError_tT1_PNSt15iterator_traitsISG_E10value_typeET2_T3_PNSH_ISM_E10value_typeET4_T5_PSR_SS_PNS1_23onesweep_lookback_stateEbbT6_jjT7_P12ihipStream_tbENKUlT_T0_SG_SL_E_clISA_SA_SB_SB_EEDaSZ_S10_SG_SL_EUlSZ_E_NS1_11comp_targetILNS1_3genE9ELNS1_11target_archE1100ELNS1_3gpuE3ELNS1_3repE0EEENS1_47radix_sort_onesweep_sort_config_static_selectorELNS0_4arch9wavefront6targetE0EEEvSG_,"axG",@progbits,_ZN7rocprim17ROCPRIM_400000_NS6detail17trampoline_kernelINS0_14default_configENS1_35radix_sort_onesweep_config_selectorIhNS0_10empty_typeEEEZZNS1_29radix_sort_onesweep_iterationIS3_Lb0EPKhPhPS5_SB_mNS0_19identity_decomposerENS1_16block_id_wrapperIjLb0EEEEE10hipError_tT1_PNSt15iterator_traitsISG_E10value_typeET2_T3_PNSH_ISM_E10value_typeET4_T5_PSR_SS_PNS1_23onesweep_lookback_stateEbbT6_jjT7_P12ihipStream_tbENKUlT_T0_SG_SL_E_clISA_SA_SB_SB_EEDaSZ_S10_SG_SL_EUlSZ_E_NS1_11comp_targetILNS1_3genE9ELNS1_11target_archE1100ELNS1_3gpuE3ELNS1_3repE0EEENS1_47radix_sort_onesweep_sort_config_static_selectorELNS0_4arch9wavefront6targetE0EEEvSG_,comdat
.Lfunc_end253:
	.size	_ZN7rocprim17ROCPRIM_400000_NS6detail17trampoline_kernelINS0_14default_configENS1_35radix_sort_onesweep_config_selectorIhNS0_10empty_typeEEEZZNS1_29radix_sort_onesweep_iterationIS3_Lb0EPKhPhPS5_SB_mNS0_19identity_decomposerENS1_16block_id_wrapperIjLb0EEEEE10hipError_tT1_PNSt15iterator_traitsISG_E10value_typeET2_T3_PNSH_ISM_E10value_typeET4_T5_PSR_SS_PNS1_23onesweep_lookback_stateEbbT6_jjT7_P12ihipStream_tbENKUlT_T0_SG_SL_E_clISA_SA_SB_SB_EEDaSZ_S10_SG_SL_EUlSZ_E_NS1_11comp_targetILNS1_3genE9ELNS1_11target_archE1100ELNS1_3gpuE3ELNS1_3repE0EEENS1_47radix_sort_onesweep_sort_config_static_selectorELNS0_4arch9wavefront6targetE0EEEvSG_, .Lfunc_end253-_ZN7rocprim17ROCPRIM_400000_NS6detail17trampoline_kernelINS0_14default_configENS1_35radix_sort_onesweep_config_selectorIhNS0_10empty_typeEEEZZNS1_29radix_sort_onesweep_iterationIS3_Lb0EPKhPhPS5_SB_mNS0_19identity_decomposerENS1_16block_id_wrapperIjLb0EEEEE10hipError_tT1_PNSt15iterator_traitsISG_E10value_typeET2_T3_PNSH_ISM_E10value_typeET4_T5_PSR_SS_PNS1_23onesweep_lookback_stateEbbT6_jjT7_P12ihipStream_tbENKUlT_T0_SG_SL_E_clISA_SA_SB_SB_EEDaSZ_S10_SG_SL_EUlSZ_E_NS1_11comp_targetILNS1_3genE9ELNS1_11target_archE1100ELNS1_3gpuE3ELNS1_3repE0EEENS1_47radix_sort_onesweep_sort_config_static_selectorELNS0_4arch9wavefront6targetE0EEEvSG_
                                        ; -- End function
	.set _ZN7rocprim17ROCPRIM_400000_NS6detail17trampoline_kernelINS0_14default_configENS1_35radix_sort_onesweep_config_selectorIhNS0_10empty_typeEEEZZNS1_29radix_sort_onesweep_iterationIS3_Lb0EPKhPhPS5_SB_mNS0_19identity_decomposerENS1_16block_id_wrapperIjLb0EEEEE10hipError_tT1_PNSt15iterator_traitsISG_E10value_typeET2_T3_PNSH_ISM_E10value_typeET4_T5_PSR_SS_PNS1_23onesweep_lookback_stateEbbT6_jjT7_P12ihipStream_tbENKUlT_T0_SG_SL_E_clISA_SA_SB_SB_EEDaSZ_S10_SG_SL_EUlSZ_E_NS1_11comp_targetILNS1_3genE9ELNS1_11target_archE1100ELNS1_3gpuE3ELNS1_3repE0EEENS1_47radix_sort_onesweep_sort_config_static_selectorELNS0_4arch9wavefront6targetE0EEEvSG_.num_vgpr, 0
	.set _ZN7rocprim17ROCPRIM_400000_NS6detail17trampoline_kernelINS0_14default_configENS1_35radix_sort_onesweep_config_selectorIhNS0_10empty_typeEEEZZNS1_29radix_sort_onesweep_iterationIS3_Lb0EPKhPhPS5_SB_mNS0_19identity_decomposerENS1_16block_id_wrapperIjLb0EEEEE10hipError_tT1_PNSt15iterator_traitsISG_E10value_typeET2_T3_PNSH_ISM_E10value_typeET4_T5_PSR_SS_PNS1_23onesweep_lookback_stateEbbT6_jjT7_P12ihipStream_tbENKUlT_T0_SG_SL_E_clISA_SA_SB_SB_EEDaSZ_S10_SG_SL_EUlSZ_E_NS1_11comp_targetILNS1_3genE9ELNS1_11target_archE1100ELNS1_3gpuE3ELNS1_3repE0EEENS1_47radix_sort_onesweep_sort_config_static_selectorELNS0_4arch9wavefront6targetE0EEEvSG_.num_agpr, 0
	.set _ZN7rocprim17ROCPRIM_400000_NS6detail17trampoline_kernelINS0_14default_configENS1_35radix_sort_onesweep_config_selectorIhNS0_10empty_typeEEEZZNS1_29radix_sort_onesweep_iterationIS3_Lb0EPKhPhPS5_SB_mNS0_19identity_decomposerENS1_16block_id_wrapperIjLb0EEEEE10hipError_tT1_PNSt15iterator_traitsISG_E10value_typeET2_T3_PNSH_ISM_E10value_typeET4_T5_PSR_SS_PNS1_23onesweep_lookback_stateEbbT6_jjT7_P12ihipStream_tbENKUlT_T0_SG_SL_E_clISA_SA_SB_SB_EEDaSZ_S10_SG_SL_EUlSZ_E_NS1_11comp_targetILNS1_3genE9ELNS1_11target_archE1100ELNS1_3gpuE3ELNS1_3repE0EEENS1_47radix_sort_onesweep_sort_config_static_selectorELNS0_4arch9wavefront6targetE0EEEvSG_.numbered_sgpr, 0
	.set _ZN7rocprim17ROCPRIM_400000_NS6detail17trampoline_kernelINS0_14default_configENS1_35radix_sort_onesweep_config_selectorIhNS0_10empty_typeEEEZZNS1_29radix_sort_onesweep_iterationIS3_Lb0EPKhPhPS5_SB_mNS0_19identity_decomposerENS1_16block_id_wrapperIjLb0EEEEE10hipError_tT1_PNSt15iterator_traitsISG_E10value_typeET2_T3_PNSH_ISM_E10value_typeET4_T5_PSR_SS_PNS1_23onesweep_lookback_stateEbbT6_jjT7_P12ihipStream_tbENKUlT_T0_SG_SL_E_clISA_SA_SB_SB_EEDaSZ_S10_SG_SL_EUlSZ_E_NS1_11comp_targetILNS1_3genE9ELNS1_11target_archE1100ELNS1_3gpuE3ELNS1_3repE0EEENS1_47radix_sort_onesweep_sort_config_static_selectorELNS0_4arch9wavefront6targetE0EEEvSG_.num_named_barrier, 0
	.set _ZN7rocprim17ROCPRIM_400000_NS6detail17trampoline_kernelINS0_14default_configENS1_35radix_sort_onesweep_config_selectorIhNS0_10empty_typeEEEZZNS1_29radix_sort_onesweep_iterationIS3_Lb0EPKhPhPS5_SB_mNS0_19identity_decomposerENS1_16block_id_wrapperIjLb0EEEEE10hipError_tT1_PNSt15iterator_traitsISG_E10value_typeET2_T3_PNSH_ISM_E10value_typeET4_T5_PSR_SS_PNS1_23onesweep_lookback_stateEbbT6_jjT7_P12ihipStream_tbENKUlT_T0_SG_SL_E_clISA_SA_SB_SB_EEDaSZ_S10_SG_SL_EUlSZ_E_NS1_11comp_targetILNS1_3genE9ELNS1_11target_archE1100ELNS1_3gpuE3ELNS1_3repE0EEENS1_47radix_sort_onesweep_sort_config_static_selectorELNS0_4arch9wavefront6targetE0EEEvSG_.private_seg_size, 0
	.set _ZN7rocprim17ROCPRIM_400000_NS6detail17trampoline_kernelINS0_14default_configENS1_35radix_sort_onesweep_config_selectorIhNS0_10empty_typeEEEZZNS1_29radix_sort_onesweep_iterationIS3_Lb0EPKhPhPS5_SB_mNS0_19identity_decomposerENS1_16block_id_wrapperIjLb0EEEEE10hipError_tT1_PNSt15iterator_traitsISG_E10value_typeET2_T3_PNSH_ISM_E10value_typeET4_T5_PSR_SS_PNS1_23onesweep_lookback_stateEbbT6_jjT7_P12ihipStream_tbENKUlT_T0_SG_SL_E_clISA_SA_SB_SB_EEDaSZ_S10_SG_SL_EUlSZ_E_NS1_11comp_targetILNS1_3genE9ELNS1_11target_archE1100ELNS1_3gpuE3ELNS1_3repE0EEENS1_47radix_sort_onesweep_sort_config_static_selectorELNS0_4arch9wavefront6targetE0EEEvSG_.uses_vcc, 0
	.set _ZN7rocprim17ROCPRIM_400000_NS6detail17trampoline_kernelINS0_14default_configENS1_35radix_sort_onesweep_config_selectorIhNS0_10empty_typeEEEZZNS1_29radix_sort_onesweep_iterationIS3_Lb0EPKhPhPS5_SB_mNS0_19identity_decomposerENS1_16block_id_wrapperIjLb0EEEEE10hipError_tT1_PNSt15iterator_traitsISG_E10value_typeET2_T3_PNSH_ISM_E10value_typeET4_T5_PSR_SS_PNS1_23onesweep_lookback_stateEbbT6_jjT7_P12ihipStream_tbENKUlT_T0_SG_SL_E_clISA_SA_SB_SB_EEDaSZ_S10_SG_SL_EUlSZ_E_NS1_11comp_targetILNS1_3genE9ELNS1_11target_archE1100ELNS1_3gpuE3ELNS1_3repE0EEENS1_47radix_sort_onesweep_sort_config_static_selectorELNS0_4arch9wavefront6targetE0EEEvSG_.uses_flat_scratch, 0
	.set _ZN7rocprim17ROCPRIM_400000_NS6detail17trampoline_kernelINS0_14default_configENS1_35radix_sort_onesweep_config_selectorIhNS0_10empty_typeEEEZZNS1_29radix_sort_onesweep_iterationIS3_Lb0EPKhPhPS5_SB_mNS0_19identity_decomposerENS1_16block_id_wrapperIjLb0EEEEE10hipError_tT1_PNSt15iterator_traitsISG_E10value_typeET2_T3_PNSH_ISM_E10value_typeET4_T5_PSR_SS_PNS1_23onesweep_lookback_stateEbbT6_jjT7_P12ihipStream_tbENKUlT_T0_SG_SL_E_clISA_SA_SB_SB_EEDaSZ_S10_SG_SL_EUlSZ_E_NS1_11comp_targetILNS1_3genE9ELNS1_11target_archE1100ELNS1_3gpuE3ELNS1_3repE0EEENS1_47radix_sort_onesweep_sort_config_static_selectorELNS0_4arch9wavefront6targetE0EEEvSG_.has_dyn_sized_stack, 0
	.set _ZN7rocprim17ROCPRIM_400000_NS6detail17trampoline_kernelINS0_14default_configENS1_35radix_sort_onesweep_config_selectorIhNS0_10empty_typeEEEZZNS1_29radix_sort_onesweep_iterationIS3_Lb0EPKhPhPS5_SB_mNS0_19identity_decomposerENS1_16block_id_wrapperIjLb0EEEEE10hipError_tT1_PNSt15iterator_traitsISG_E10value_typeET2_T3_PNSH_ISM_E10value_typeET4_T5_PSR_SS_PNS1_23onesweep_lookback_stateEbbT6_jjT7_P12ihipStream_tbENKUlT_T0_SG_SL_E_clISA_SA_SB_SB_EEDaSZ_S10_SG_SL_EUlSZ_E_NS1_11comp_targetILNS1_3genE9ELNS1_11target_archE1100ELNS1_3gpuE3ELNS1_3repE0EEENS1_47radix_sort_onesweep_sort_config_static_selectorELNS0_4arch9wavefront6targetE0EEEvSG_.has_recursion, 0
	.set _ZN7rocprim17ROCPRIM_400000_NS6detail17trampoline_kernelINS0_14default_configENS1_35radix_sort_onesweep_config_selectorIhNS0_10empty_typeEEEZZNS1_29radix_sort_onesweep_iterationIS3_Lb0EPKhPhPS5_SB_mNS0_19identity_decomposerENS1_16block_id_wrapperIjLb0EEEEE10hipError_tT1_PNSt15iterator_traitsISG_E10value_typeET2_T3_PNSH_ISM_E10value_typeET4_T5_PSR_SS_PNS1_23onesweep_lookback_stateEbbT6_jjT7_P12ihipStream_tbENKUlT_T0_SG_SL_E_clISA_SA_SB_SB_EEDaSZ_S10_SG_SL_EUlSZ_E_NS1_11comp_targetILNS1_3genE9ELNS1_11target_archE1100ELNS1_3gpuE3ELNS1_3repE0EEENS1_47radix_sort_onesweep_sort_config_static_selectorELNS0_4arch9wavefront6targetE0EEEvSG_.has_indirect_call, 0
	.section	.AMDGPU.csdata,"",@progbits
; Kernel info:
; codeLenInByte = 0
; TotalNumSgprs: 0
; NumVgprs: 0
; ScratchSize: 0
; MemoryBound: 0
; FloatMode: 240
; IeeeMode: 1
; LDSByteSize: 0 bytes/workgroup (compile time only)
; SGPRBlocks: 0
; VGPRBlocks: 0
; NumSGPRsForWavesPerEU: 1
; NumVGPRsForWavesPerEU: 1
; NamedBarCnt: 0
; Occupancy: 16
; WaveLimiterHint : 0
; COMPUTE_PGM_RSRC2:SCRATCH_EN: 0
; COMPUTE_PGM_RSRC2:USER_SGPR: 2
; COMPUTE_PGM_RSRC2:TRAP_HANDLER: 0
; COMPUTE_PGM_RSRC2:TGID_X_EN: 1
; COMPUTE_PGM_RSRC2:TGID_Y_EN: 0
; COMPUTE_PGM_RSRC2:TGID_Z_EN: 0
; COMPUTE_PGM_RSRC2:TIDIG_COMP_CNT: 0
	.section	.text._ZN7rocprim17ROCPRIM_400000_NS6detail17trampoline_kernelINS0_14default_configENS1_35radix_sort_onesweep_config_selectorIhNS0_10empty_typeEEEZZNS1_29radix_sort_onesweep_iterationIS3_Lb0EPKhPhPS5_SB_mNS0_19identity_decomposerENS1_16block_id_wrapperIjLb0EEEEE10hipError_tT1_PNSt15iterator_traitsISG_E10value_typeET2_T3_PNSH_ISM_E10value_typeET4_T5_PSR_SS_PNS1_23onesweep_lookback_stateEbbT6_jjT7_P12ihipStream_tbENKUlT_T0_SG_SL_E_clISA_SA_SB_SB_EEDaSZ_S10_SG_SL_EUlSZ_E_NS1_11comp_targetILNS1_3genE8ELNS1_11target_archE1030ELNS1_3gpuE2ELNS1_3repE0EEENS1_47radix_sort_onesweep_sort_config_static_selectorELNS0_4arch9wavefront6targetE0EEEvSG_,"axG",@progbits,_ZN7rocprim17ROCPRIM_400000_NS6detail17trampoline_kernelINS0_14default_configENS1_35radix_sort_onesweep_config_selectorIhNS0_10empty_typeEEEZZNS1_29radix_sort_onesweep_iterationIS3_Lb0EPKhPhPS5_SB_mNS0_19identity_decomposerENS1_16block_id_wrapperIjLb0EEEEE10hipError_tT1_PNSt15iterator_traitsISG_E10value_typeET2_T3_PNSH_ISM_E10value_typeET4_T5_PSR_SS_PNS1_23onesweep_lookback_stateEbbT6_jjT7_P12ihipStream_tbENKUlT_T0_SG_SL_E_clISA_SA_SB_SB_EEDaSZ_S10_SG_SL_EUlSZ_E_NS1_11comp_targetILNS1_3genE8ELNS1_11target_archE1030ELNS1_3gpuE2ELNS1_3repE0EEENS1_47radix_sort_onesweep_sort_config_static_selectorELNS0_4arch9wavefront6targetE0EEEvSG_,comdat
	.protected	_ZN7rocprim17ROCPRIM_400000_NS6detail17trampoline_kernelINS0_14default_configENS1_35radix_sort_onesweep_config_selectorIhNS0_10empty_typeEEEZZNS1_29radix_sort_onesweep_iterationIS3_Lb0EPKhPhPS5_SB_mNS0_19identity_decomposerENS1_16block_id_wrapperIjLb0EEEEE10hipError_tT1_PNSt15iterator_traitsISG_E10value_typeET2_T3_PNSH_ISM_E10value_typeET4_T5_PSR_SS_PNS1_23onesweep_lookback_stateEbbT6_jjT7_P12ihipStream_tbENKUlT_T0_SG_SL_E_clISA_SA_SB_SB_EEDaSZ_S10_SG_SL_EUlSZ_E_NS1_11comp_targetILNS1_3genE8ELNS1_11target_archE1030ELNS1_3gpuE2ELNS1_3repE0EEENS1_47radix_sort_onesweep_sort_config_static_selectorELNS0_4arch9wavefront6targetE0EEEvSG_ ; -- Begin function _ZN7rocprim17ROCPRIM_400000_NS6detail17trampoline_kernelINS0_14default_configENS1_35radix_sort_onesweep_config_selectorIhNS0_10empty_typeEEEZZNS1_29radix_sort_onesweep_iterationIS3_Lb0EPKhPhPS5_SB_mNS0_19identity_decomposerENS1_16block_id_wrapperIjLb0EEEEE10hipError_tT1_PNSt15iterator_traitsISG_E10value_typeET2_T3_PNSH_ISM_E10value_typeET4_T5_PSR_SS_PNS1_23onesweep_lookback_stateEbbT6_jjT7_P12ihipStream_tbENKUlT_T0_SG_SL_E_clISA_SA_SB_SB_EEDaSZ_S10_SG_SL_EUlSZ_E_NS1_11comp_targetILNS1_3genE8ELNS1_11target_archE1030ELNS1_3gpuE2ELNS1_3repE0EEENS1_47radix_sort_onesweep_sort_config_static_selectorELNS0_4arch9wavefront6targetE0EEEvSG_
	.globl	_ZN7rocprim17ROCPRIM_400000_NS6detail17trampoline_kernelINS0_14default_configENS1_35radix_sort_onesweep_config_selectorIhNS0_10empty_typeEEEZZNS1_29radix_sort_onesweep_iterationIS3_Lb0EPKhPhPS5_SB_mNS0_19identity_decomposerENS1_16block_id_wrapperIjLb0EEEEE10hipError_tT1_PNSt15iterator_traitsISG_E10value_typeET2_T3_PNSH_ISM_E10value_typeET4_T5_PSR_SS_PNS1_23onesweep_lookback_stateEbbT6_jjT7_P12ihipStream_tbENKUlT_T0_SG_SL_E_clISA_SA_SB_SB_EEDaSZ_S10_SG_SL_EUlSZ_E_NS1_11comp_targetILNS1_3genE8ELNS1_11target_archE1030ELNS1_3gpuE2ELNS1_3repE0EEENS1_47radix_sort_onesweep_sort_config_static_selectorELNS0_4arch9wavefront6targetE0EEEvSG_
	.p2align	8
	.type	_ZN7rocprim17ROCPRIM_400000_NS6detail17trampoline_kernelINS0_14default_configENS1_35radix_sort_onesweep_config_selectorIhNS0_10empty_typeEEEZZNS1_29radix_sort_onesweep_iterationIS3_Lb0EPKhPhPS5_SB_mNS0_19identity_decomposerENS1_16block_id_wrapperIjLb0EEEEE10hipError_tT1_PNSt15iterator_traitsISG_E10value_typeET2_T3_PNSH_ISM_E10value_typeET4_T5_PSR_SS_PNS1_23onesweep_lookback_stateEbbT6_jjT7_P12ihipStream_tbENKUlT_T0_SG_SL_E_clISA_SA_SB_SB_EEDaSZ_S10_SG_SL_EUlSZ_E_NS1_11comp_targetILNS1_3genE8ELNS1_11target_archE1030ELNS1_3gpuE2ELNS1_3repE0EEENS1_47radix_sort_onesweep_sort_config_static_selectorELNS0_4arch9wavefront6targetE0EEEvSG_,@function
_ZN7rocprim17ROCPRIM_400000_NS6detail17trampoline_kernelINS0_14default_configENS1_35radix_sort_onesweep_config_selectorIhNS0_10empty_typeEEEZZNS1_29radix_sort_onesweep_iterationIS3_Lb0EPKhPhPS5_SB_mNS0_19identity_decomposerENS1_16block_id_wrapperIjLb0EEEEE10hipError_tT1_PNSt15iterator_traitsISG_E10value_typeET2_T3_PNSH_ISM_E10value_typeET4_T5_PSR_SS_PNS1_23onesweep_lookback_stateEbbT6_jjT7_P12ihipStream_tbENKUlT_T0_SG_SL_E_clISA_SA_SB_SB_EEDaSZ_S10_SG_SL_EUlSZ_E_NS1_11comp_targetILNS1_3genE8ELNS1_11target_archE1030ELNS1_3gpuE2ELNS1_3repE0EEENS1_47radix_sort_onesweep_sort_config_static_selectorELNS0_4arch9wavefront6targetE0EEEvSG_: ; @_ZN7rocprim17ROCPRIM_400000_NS6detail17trampoline_kernelINS0_14default_configENS1_35radix_sort_onesweep_config_selectorIhNS0_10empty_typeEEEZZNS1_29radix_sort_onesweep_iterationIS3_Lb0EPKhPhPS5_SB_mNS0_19identity_decomposerENS1_16block_id_wrapperIjLb0EEEEE10hipError_tT1_PNSt15iterator_traitsISG_E10value_typeET2_T3_PNSH_ISM_E10value_typeET4_T5_PSR_SS_PNS1_23onesweep_lookback_stateEbbT6_jjT7_P12ihipStream_tbENKUlT_T0_SG_SL_E_clISA_SA_SB_SB_EEDaSZ_S10_SG_SL_EUlSZ_E_NS1_11comp_targetILNS1_3genE8ELNS1_11target_archE1030ELNS1_3gpuE2ELNS1_3repE0EEENS1_47radix_sort_onesweep_sort_config_static_selectorELNS0_4arch9wavefront6targetE0EEEvSG_
; %bb.0:
	.section	.rodata,"a",@progbits
	.p2align	6, 0x0
	.amdhsa_kernel _ZN7rocprim17ROCPRIM_400000_NS6detail17trampoline_kernelINS0_14default_configENS1_35radix_sort_onesweep_config_selectorIhNS0_10empty_typeEEEZZNS1_29radix_sort_onesweep_iterationIS3_Lb0EPKhPhPS5_SB_mNS0_19identity_decomposerENS1_16block_id_wrapperIjLb0EEEEE10hipError_tT1_PNSt15iterator_traitsISG_E10value_typeET2_T3_PNSH_ISM_E10value_typeET4_T5_PSR_SS_PNS1_23onesweep_lookback_stateEbbT6_jjT7_P12ihipStream_tbENKUlT_T0_SG_SL_E_clISA_SA_SB_SB_EEDaSZ_S10_SG_SL_EUlSZ_E_NS1_11comp_targetILNS1_3genE8ELNS1_11target_archE1030ELNS1_3gpuE2ELNS1_3repE0EEENS1_47radix_sort_onesweep_sort_config_static_selectorELNS0_4arch9wavefront6targetE0EEEvSG_
		.amdhsa_group_segment_fixed_size 0
		.amdhsa_private_segment_fixed_size 0
		.amdhsa_kernarg_size 88
		.amdhsa_user_sgpr_count 2
		.amdhsa_user_sgpr_dispatch_ptr 0
		.amdhsa_user_sgpr_queue_ptr 0
		.amdhsa_user_sgpr_kernarg_segment_ptr 1
		.amdhsa_user_sgpr_dispatch_id 0
		.amdhsa_user_sgpr_kernarg_preload_length 0
		.amdhsa_user_sgpr_kernarg_preload_offset 0
		.amdhsa_user_sgpr_private_segment_size 0
		.amdhsa_wavefront_size32 1
		.amdhsa_uses_dynamic_stack 0
		.amdhsa_enable_private_segment 0
		.amdhsa_system_sgpr_workgroup_id_x 1
		.amdhsa_system_sgpr_workgroup_id_y 0
		.amdhsa_system_sgpr_workgroup_id_z 0
		.amdhsa_system_sgpr_workgroup_info 0
		.amdhsa_system_vgpr_workitem_id 0
		.amdhsa_next_free_vgpr 1
		.amdhsa_next_free_sgpr 1
		.amdhsa_named_barrier_count 0
		.amdhsa_reserve_vcc 0
		.amdhsa_float_round_mode_32 0
		.amdhsa_float_round_mode_16_64 0
		.amdhsa_float_denorm_mode_32 3
		.amdhsa_float_denorm_mode_16_64 3
		.amdhsa_fp16_overflow 0
		.amdhsa_memory_ordered 1
		.amdhsa_forward_progress 1
		.amdhsa_inst_pref_size 0
		.amdhsa_round_robin_scheduling 0
		.amdhsa_exception_fp_ieee_invalid_op 0
		.amdhsa_exception_fp_denorm_src 0
		.amdhsa_exception_fp_ieee_div_zero 0
		.amdhsa_exception_fp_ieee_overflow 0
		.amdhsa_exception_fp_ieee_underflow 0
		.amdhsa_exception_fp_ieee_inexact 0
		.amdhsa_exception_int_div_zero 0
	.end_amdhsa_kernel
	.section	.text._ZN7rocprim17ROCPRIM_400000_NS6detail17trampoline_kernelINS0_14default_configENS1_35radix_sort_onesweep_config_selectorIhNS0_10empty_typeEEEZZNS1_29radix_sort_onesweep_iterationIS3_Lb0EPKhPhPS5_SB_mNS0_19identity_decomposerENS1_16block_id_wrapperIjLb0EEEEE10hipError_tT1_PNSt15iterator_traitsISG_E10value_typeET2_T3_PNSH_ISM_E10value_typeET4_T5_PSR_SS_PNS1_23onesweep_lookback_stateEbbT6_jjT7_P12ihipStream_tbENKUlT_T0_SG_SL_E_clISA_SA_SB_SB_EEDaSZ_S10_SG_SL_EUlSZ_E_NS1_11comp_targetILNS1_3genE8ELNS1_11target_archE1030ELNS1_3gpuE2ELNS1_3repE0EEENS1_47radix_sort_onesweep_sort_config_static_selectorELNS0_4arch9wavefront6targetE0EEEvSG_,"axG",@progbits,_ZN7rocprim17ROCPRIM_400000_NS6detail17trampoline_kernelINS0_14default_configENS1_35radix_sort_onesweep_config_selectorIhNS0_10empty_typeEEEZZNS1_29radix_sort_onesweep_iterationIS3_Lb0EPKhPhPS5_SB_mNS0_19identity_decomposerENS1_16block_id_wrapperIjLb0EEEEE10hipError_tT1_PNSt15iterator_traitsISG_E10value_typeET2_T3_PNSH_ISM_E10value_typeET4_T5_PSR_SS_PNS1_23onesweep_lookback_stateEbbT6_jjT7_P12ihipStream_tbENKUlT_T0_SG_SL_E_clISA_SA_SB_SB_EEDaSZ_S10_SG_SL_EUlSZ_E_NS1_11comp_targetILNS1_3genE8ELNS1_11target_archE1030ELNS1_3gpuE2ELNS1_3repE0EEENS1_47radix_sort_onesweep_sort_config_static_selectorELNS0_4arch9wavefront6targetE0EEEvSG_,comdat
.Lfunc_end254:
	.size	_ZN7rocprim17ROCPRIM_400000_NS6detail17trampoline_kernelINS0_14default_configENS1_35radix_sort_onesweep_config_selectorIhNS0_10empty_typeEEEZZNS1_29radix_sort_onesweep_iterationIS3_Lb0EPKhPhPS5_SB_mNS0_19identity_decomposerENS1_16block_id_wrapperIjLb0EEEEE10hipError_tT1_PNSt15iterator_traitsISG_E10value_typeET2_T3_PNSH_ISM_E10value_typeET4_T5_PSR_SS_PNS1_23onesweep_lookback_stateEbbT6_jjT7_P12ihipStream_tbENKUlT_T0_SG_SL_E_clISA_SA_SB_SB_EEDaSZ_S10_SG_SL_EUlSZ_E_NS1_11comp_targetILNS1_3genE8ELNS1_11target_archE1030ELNS1_3gpuE2ELNS1_3repE0EEENS1_47radix_sort_onesweep_sort_config_static_selectorELNS0_4arch9wavefront6targetE0EEEvSG_, .Lfunc_end254-_ZN7rocprim17ROCPRIM_400000_NS6detail17trampoline_kernelINS0_14default_configENS1_35radix_sort_onesweep_config_selectorIhNS0_10empty_typeEEEZZNS1_29radix_sort_onesweep_iterationIS3_Lb0EPKhPhPS5_SB_mNS0_19identity_decomposerENS1_16block_id_wrapperIjLb0EEEEE10hipError_tT1_PNSt15iterator_traitsISG_E10value_typeET2_T3_PNSH_ISM_E10value_typeET4_T5_PSR_SS_PNS1_23onesweep_lookback_stateEbbT6_jjT7_P12ihipStream_tbENKUlT_T0_SG_SL_E_clISA_SA_SB_SB_EEDaSZ_S10_SG_SL_EUlSZ_E_NS1_11comp_targetILNS1_3genE8ELNS1_11target_archE1030ELNS1_3gpuE2ELNS1_3repE0EEENS1_47radix_sort_onesweep_sort_config_static_selectorELNS0_4arch9wavefront6targetE0EEEvSG_
                                        ; -- End function
	.set _ZN7rocprim17ROCPRIM_400000_NS6detail17trampoline_kernelINS0_14default_configENS1_35radix_sort_onesweep_config_selectorIhNS0_10empty_typeEEEZZNS1_29radix_sort_onesweep_iterationIS3_Lb0EPKhPhPS5_SB_mNS0_19identity_decomposerENS1_16block_id_wrapperIjLb0EEEEE10hipError_tT1_PNSt15iterator_traitsISG_E10value_typeET2_T3_PNSH_ISM_E10value_typeET4_T5_PSR_SS_PNS1_23onesweep_lookback_stateEbbT6_jjT7_P12ihipStream_tbENKUlT_T0_SG_SL_E_clISA_SA_SB_SB_EEDaSZ_S10_SG_SL_EUlSZ_E_NS1_11comp_targetILNS1_3genE8ELNS1_11target_archE1030ELNS1_3gpuE2ELNS1_3repE0EEENS1_47radix_sort_onesweep_sort_config_static_selectorELNS0_4arch9wavefront6targetE0EEEvSG_.num_vgpr, 0
	.set _ZN7rocprim17ROCPRIM_400000_NS6detail17trampoline_kernelINS0_14default_configENS1_35radix_sort_onesweep_config_selectorIhNS0_10empty_typeEEEZZNS1_29radix_sort_onesweep_iterationIS3_Lb0EPKhPhPS5_SB_mNS0_19identity_decomposerENS1_16block_id_wrapperIjLb0EEEEE10hipError_tT1_PNSt15iterator_traitsISG_E10value_typeET2_T3_PNSH_ISM_E10value_typeET4_T5_PSR_SS_PNS1_23onesweep_lookback_stateEbbT6_jjT7_P12ihipStream_tbENKUlT_T0_SG_SL_E_clISA_SA_SB_SB_EEDaSZ_S10_SG_SL_EUlSZ_E_NS1_11comp_targetILNS1_3genE8ELNS1_11target_archE1030ELNS1_3gpuE2ELNS1_3repE0EEENS1_47radix_sort_onesweep_sort_config_static_selectorELNS0_4arch9wavefront6targetE0EEEvSG_.num_agpr, 0
	.set _ZN7rocprim17ROCPRIM_400000_NS6detail17trampoline_kernelINS0_14default_configENS1_35radix_sort_onesweep_config_selectorIhNS0_10empty_typeEEEZZNS1_29radix_sort_onesweep_iterationIS3_Lb0EPKhPhPS5_SB_mNS0_19identity_decomposerENS1_16block_id_wrapperIjLb0EEEEE10hipError_tT1_PNSt15iterator_traitsISG_E10value_typeET2_T3_PNSH_ISM_E10value_typeET4_T5_PSR_SS_PNS1_23onesweep_lookback_stateEbbT6_jjT7_P12ihipStream_tbENKUlT_T0_SG_SL_E_clISA_SA_SB_SB_EEDaSZ_S10_SG_SL_EUlSZ_E_NS1_11comp_targetILNS1_3genE8ELNS1_11target_archE1030ELNS1_3gpuE2ELNS1_3repE0EEENS1_47radix_sort_onesweep_sort_config_static_selectorELNS0_4arch9wavefront6targetE0EEEvSG_.numbered_sgpr, 0
	.set _ZN7rocprim17ROCPRIM_400000_NS6detail17trampoline_kernelINS0_14default_configENS1_35radix_sort_onesweep_config_selectorIhNS0_10empty_typeEEEZZNS1_29radix_sort_onesweep_iterationIS3_Lb0EPKhPhPS5_SB_mNS0_19identity_decomposerENS1_16block_id_wrapperIjLb0EEEEE10hipError_tT1_PNSt15iterator_traitsISG_E10value_typeET2_T3_PNSH_ISM_E10value_typeET4_T5_PSR_SS_PNS1_23onesweep_lookback_stateEbbT6_jjT7_P12ihipStream_tbENKUlT_T0_SG_SL_E_clISA_SA_SB_SB_EEDaSZ_S10_SG_SL_EUlSZ_E_NS1_11comp_targetILNS1_3genE8ELNS1_11target_archE1030ELNS1_3gpuE2ELNS1_3repE0EEENS1_47radix_sort_onesweep_sort_config_static_selectorELNS0_4arch9wavefront6targetE0EEEvSG_.num_named_barrier, 0
	.set _ZN7rocprim17ROCPRIM_400000_NS6detail17trampoline_kernelINS0_14default_configENS1_35radix_sort_onesweep_config_selectorIhNS0_10empty_typeEEEZZNS1_29radix_sort_onesweep_iterationIS3_Lb0EPKhPhPS5_SB_mNS0_19identity_decomposerENS1_16block_id_wrapperIjLb0EEEEE10hipError_tT1_PNSt15iterator_traitsISG_E10value_typeET2_T3_PNSH_ISM_E10value_typeET4_T5_PSR_SS_PNS1_23onesweep_lookback_stateEbbT6_jjT7_P12ihipStream_tbENKUlT_T0_SG_SL_E_clISA_SA_SB_SB_EEDaSZ_S10_SG_SL_EUlSZ_E_NS1_11comp_targetILNS1_3genE8ELNS1_11target_archE1030ELNS1_3gpuE2ELNS1_3repE0EEENS1_47radix_sort_onesweep_sort_config_static_selectorELNS0_4arch9wavefront6targetE0EEEvSG_.private_seg_size, 0
	.set _ZN7rocprim17ROCPRIM_400000_NS6detail17trampoline_kernelINS0_14default_configENS1_35radix_sort_onesweep_config_selectorIhNS0_10empty_typeEEEZZNS1_29radix_sort_onesweep_iterationIS3_Lb0EPKhPhPS5_SB_mNS0_19identity_decomposerENS1_16block_id_wrapperIjLb0EEEEE10hipError_tT1_PNSt15iterator_traitsISG_E10value_typeET2_T3_PNSH_ISM_E10value_typeET4_T5_PSR_SS_PNS1_23onesweep_lookback_stateEbbT6_jjT7_P12ihipStream_tbENKUlT_T0_SG_SL_E_clISA_SA_SB_SB_EEDaSZ_S10_SG_SL_EUlSZ_E_NS1_11comp_targetILNS1_3genE8ELNS1_11target_archE1030ELNS1_3gpuE2ELNS1_3repE0EEENS1_47radix_sort_onesweep_sort_config_static_selectorELNS0_4arch9wavefront6targetE0EEEvSG_.uses_vcc, 0
	.set _ZN7rocprim17ROCPRIM_400000_NS6detail17trampoline_kernelINS0_14default_configENS1_35radix_sort_onesweep_config_selectorIhNS0_10empty_typeEEEZZNS1_29radix_sort_onesweep_iterationIS3_Lb0EPKhPhPS5_SB_mNS0_19identity_decomposerENS1_16block_id_wrapperIjLb0EEEEE10hipError_tT1_PNSt15iterator_traitsISG_E10value_typeET2_T3_PNSH_ISM_E10value_typeET4_T5_PSR_SS_PNS1_23onesweep_lookback_stateEbbT6_jjT7_P12ihipStream_tbENKUlT_T0_SG_SL_E_clISA_SA_SB_SB_EEDaSZ_S10_SG_SL_EUlSZ_E_NS1_11comp_targetILNS1_3genE8ELNS1_11target_archE1030ELNS1_3gpuE2ELNS1_3repE0EEENS1_47radix_sort_onesweep_sort_config_static_selectorELNS0_4arch9wavefront6targetE0EEEvSG_.uses_flat_scratch, 0
	.set _ZN7rocprim17ROCPRIM_400000_NS6detail17trampoline_kernelINS0_14default_configENS1_35radix_sort_onesweep_config_selectorIhNS0_10empty_typeEEEZZNS1_29radix_sort_onesweep_iterationIS3_Lb0EPKhPhPS5_SB_mNS0_19identity_decomposerENS1_16block_id_wrapperIjLb0EEEEE10hipError_tT1_PNSt15iterator_traitsISG_E10value_typeET2_T3_PNSH_ISM_E10value_typeET4_T5_PSR_SS_PNS1_23onesweep_lookback_stateEbbT6_jjT7_P12ihipStream_tbENKUlT_T0_SG_SL_E_clISA_SA_SB_SB_EEDaSZ_S10_SG_SL_EUlSZ_E_NS1_11comp_targetILNS1_3genE8ELNS1_11target_archE1030ELNS1_3gpuE2ELNS1_3repE0EEENS1_47radix_sort_onesweep_sort_config_static_selectorELNS0_4arch9wavefront6targetE0EEEvSG_.has_dyn_sized_stack, 0
	.set _ZN7rocprim17ROCPRIM_400000_NS6detail17trampoline_kernelINS0_14default_configENS1_35radix_sort_onesweep_config_selectorIhNS0_10empty_typeEEEZZNS1_29radix_sort_onesweep_iterationIS3_Lb0EPKhPhPS5_SB_mNS0_19identity_decomposerENS1_16block_id_wrapperIjLb0EEEEE10hipError_tT1_PNSt15iterator_traitsISG_E10value_typeET2_T3_PNSH_ISM_E10value_typeET4_T5_PSR_SS_PNS1_23onesweep_lookback_stateEbbT6_jjT7_P12ihipStream_tbENKUlT_T0_SG_SL_E_clISA_SA_SB_SB_EEDaSZ_S10_SG_SL_EUlSZ_E_NS1_11comp_targetILNS1_3genE8ELNS1_11target_archE1030ELNS1_3gpuE2ELNS1_3repE0EEENS1_47radix_sort_onesweep_sort_config_static_selectorELNS0_4arch9wavefront6targetE0EEEvSG_.has_recursion, 0
	.set _ZN7rocprim17ROCPRIM_400000_NS6detail17trampoline_kernelINS0_14default_configENS1_35radix_sort_onesweep_config_selectorIhNS0_10empty_typeEEEZZNS1_29radix_sort_onesweep_iterationIS3_Lb0EPKhPhPS5_SB_mNS0_19identity_decomposerENS1_16block_id_wrapperIjLb0EEEEE10hipError_tT1_PNSt15iterator_traitsISG_E10value_typeET2_T3_PNSH_ISM_E10value_typeET4_T5_PSR_SS_PNS1_23onesweep_lookback_stateEbbT6_jjT7_P12ihipStream_tbENKUlT_T0_SG_SL_E_clISA_SA_SB_SB_EEDaSZ_S10_SG_SL_EUlSZ_E_NS1_11comp_targetILNS1_3genE8ELNS1_11target_archE1030ELNS1_3gpuE2ELNS1_3repE0EEENS1_47radix_sort_onesweep_sort_config_static_selectorELNS0_4arch9wavefront6targetE0EEEvSG_.has_indirect_call, 0
	.section	.AMDGPU.csdata,"",@progbits
; Kernel info:
; codeLenInByte = 0
; TotalNumSgprs: 0
; NumVgprs: 0
; ScratchSize: 0
; MemoryBound: 0
; FloatMode: 240
; IeeeMode: 1
; LDSByteSize: 0 bytes/workgroup (compile time only)
; SGPRBlocks: 0
; VGPRBlocks: 0
; NumSGPRsForWavesPerEU: 1
; NumVGPRsForWavesPerEU: 1
; NamedBarCnt: 0
; Occupancy: 16
; WaveLimiterHint : 0
; COMPUTE_PGM_RSRC2:SCRATCH_EN: 0
; COMPUTE_PGM_RSRC2:USER_SGPR: 2
; COMPUTE_PGM_RSRC2:TRAP_HANDLER: 0
; COMPUTE_PGM_RSRC2:TGID_X_EN: 1
; COMPUTE_PGM_RSRC2:TGID_Y_EN: 0
; COMPUTE_PGM_RSRC2:TGID_Z_EN: 0
; COMPUTE_PGM_RSRC2:TIDIG_COMP_CNT: 0
	.section	.text._ZN7rocprim17ROCPRIM_400000_NS6detail17trampoline_kernelINS0_13kernel_configILj256ELj4ELj4294967295EEENS1_37radix_sort_block_sort_config_selectorIaNS0_10empty_typeEEEZNS1_21radix_sort_block_sortIS4_Lb1EPKaPaPS6_SC_NS0_19identity_decomposerEEE10hipError_tT1_T2_T3_T4_jRjT5_jjP12ihipStream_tbEUlT_E_NS1_11comp_targetILNS1_3genE0ELNS1_11target_archE4294967295ELNS1_3gpuE0ELNS1_3repE0EEENS1_44radix_sort_block_sort_config_static_selectorELNS0_4arch9wavefront6targetE0EEEvSF_,"axG",@progbits,_ZN7rocprim17ROCPRIM_400000_NS6detail17trampoline_kernelINS0_13kernel_configILj256ELj4ELj4294967295EEENS1_37radix_sort_block_sort_config_selectorIaNS0_10empty_typeEEEZNS1_21radix_sort_block_sortIS4_Lb1EPKaPaPS6_SC_NS0_19identity_decomposerEEE10hipError_tT1_T2_T3_T4_jRjT5_jjP12ihipStream_tbEUlT_E_NS1_11comp_targetILNS1_3genE0ELNS1_11target_archE4294967295ELNS1_3gpuE0ELNS1_3repE0EEENS1_44radix_sort_block_sort_config_static_selectorELNS0_4arch9wavefront6targetE0EEEvSF_,comdat
	.protected	_ZN7rocprim17ROCPRIM_400000_NS6detail17trampoline_kernelINS0_13kernel_configILj256ELj4ELj4294967295EEENS1_37radix_sort_block_sort_config_selectorIaNS0_10empty_typeEEEZNS1_21radix_sort_block_sortIS4_Lb1EPKaPaPS6_SC_NS0_19identity_decomposerEEE10hipError_tT1_T2_T3_T4_jRjT5_jjP12ihipStream_tbEUlT_E_NS1_11comp_targetILNS1_3genE0ELNS1_11target_archE4294967295ELNS1_3gpuE0ELNS1_3repE0EEENS1_44radix_sort_block_sort_config_static_selectorELNS0_4arch9wavefront6targetE0EEEvSF_ ; -- Begin function _ZN7rocprim17ROCPRIM_400000_NS6detail17trampoline_kernelINS0_13kernel_configILj256ELj4ELj4294967295EEENS1_37radix_sort_block_sort_config_selectorIaNS0_10empty_typeEEEZNS1_21radix_sort_block_sortIS4_Lb1EPKaPaPS6_SC_NS0_19identity_decomposerEEE10hipError_tT1_T2_T3_T4_jRjT5_jjP12ihipStream_tbEUlT_E_NS1_11comp_targetILNS1_3genE0ELNS1_11target_archE4294967295ELNS1_3gpuE0ELNS1_3repE0EEENS1_44radix_sort_block_sort_config_static_selectorELNS0_4arch9wavefront6targetE0EEEvSF_
	.globl	_ZN7rocprim17ROCPRIM_400000_NS6detail17trampoline_kernelINS0_13kernel_configILj256ELj4ELj4294967295EEENS1_37radix_sort_block_sort_config_selectorIaNS0_10empty_typeEEEZNS1_21radix_sort_block_sortIS4_Lb1EPKaPaPS6_SC_NS0_19identity_decomposerEEE10hipError_tT1_T2_T3_T4_jRjT5_jjP12ihipStream_tbEUlT_E_NS1_11comp_targetILNS1_3genE0ELNS1_11target_archE4294967295ELNS1_3gpuE0ELNS1_3repE0EEENS1_44radix_sort_block_sort_config_static_selectorELNS0_4arch9wavefront6targetE0EEEvSF_
	.p2align	8
	.type	_ZN7rocprim17ROCPRIM_400000_NS6detail17trampoline_kernelINS0_13kernel_configILj256ELj4ELj4294967295EEENS1_37radix_sort_block_sort_config_selectorIaNS0_10empty_typeEEEZNS1_21radix_sort_block_sortIS4_Lb1EPKaPaPS6_SC_NS0_19identity_decomposerEEE10hipError_tT1_T2_T3_T4_jRjT5_jjP12ihipStream_tbEUlT_E_NS1_11comp_targetILNS1_3genE0ELNS1_11target_archE4294967295ELNS1_3gpuE0ELNS1_3repE0EEENS1_44radix_sort_block_sort_config_static_selectorELNS0_4arch9wavefront6targetE0EEEvSF_,@function
_ZN7rocprim17ROCPRIM_400000_NS6detail17trampoline_kernelINS0_13kernel_configILj256ELj4ELj4294967295EEENS1_37radix_sort_block_sort_config_selectorIaNS0_10empty_typeEEEZNS1_21radix_sort_block_sortIS4_Lb1EPKaPaPS6_SC_NS0_19identity_decomposerEEE10hipError_tT1_T2_T3_T4_jRjT5_jjP12ihipStream_tbEUlT_E_NS1_11comp_targetILNS1_3genE0ELNS1_11target_archE4294967295ELNS1_3gpuE0ELNS1_3repE0EEENS1_44radix_sort_block_sort_config_static_selectorELNS0_4arch9wavefront6targetE0EEEvSF_: ; @_ZN7rocprim17ROCPRIM_400000_NS6detail17trampoline_kernelINS0_13kernel_configILj256ELj4ELj4294967295EEENS1_37radix_sort_block_sort_config_selectorIaNS0_10empty_typeEEEZNS1_21radix_sort_block_sortIS4_Lb1EPKaPaPS6_SC_NS0_19identity_decomposerEEE10hipError_tT1_T2_T3_T4_jRjT5_jjP12ihipStream_tbEUlT_E_NS1_11comp_targetILNS1_3genE0ELNS1_11target_archE4294967295ELNS1_3gpuE0ELNS1_3repE0EEENS1_44radix_sort_block_sort_config_static_selectorELNS0_4arch9wavefront6targetE0EEEvSF_
; %bb.0:
	s_clause 0x1
	s_load_b128 s[16:19], s[0:1], 0x0
	s_load_b32 s2, s[0:1], 0x20
	s_bfe_u32 s3, ttmp6, 0x4000c
	s_and_b32 s4, ttmp6, 15
	s_add_co_i32 s3, s3, 1
	s_getreg_b32 s5, hwreg(HW_REG_IB_STS2, 6, 4)
	s_mul_i32 s3, ttmp9, s3
	v_and_b32_e32 v8, 0x3ff, v0
	s_add_co_i32 s4, s4, s3
	s_cmp_eq_u32 s5, 0
	v_mbcnt_lo_u32_b32 v2, -1, 0
	s_cselect_b32 s3, ttmp9, s4
	v_dual_mov_b32 v3, 0 :: v_dual_lshlrev_b32 v1, 2, v8
	s_mov_b32 s21, 0
	s_lshl_b32 s20, s3, 10
	s_delay_alu instid0(VALU_DEP_1) | instskip(NEXT) | instid1(VALU_DEP_2)
	v_mov_b32_e32 v5, v3
	v_and_b32_e32 v4, 0x380, v1
	s_wait_kmcnt 0x0
	s_add_nc_u64 s[4:5], s[16:17], s[20:21]
	s_delay_alu instid0(SALU_CYCLE_1) | instskip(SKIP_1) | instid1(SALU_CYCLE_1)
	v_add_nc_u64_e32 v[6:7], s[4:5], v[2:3]
	s_lshr_b32 s4, s2, 10
	s_cmp_lg_u32 s3, s4
	s_cselect_b32 s25, -1, 0
	s_cmp_eq_u32 s3, s4
	s_delay_alu instid0(VALU_DEP_1)
	v_add_nc_u64_e32 v[6:7], v[6:7], v[4:5]
	s_mov_b32 s4, -1
	s_cbranch_scc1 .LBB255_2
; %bb.1:
	s_clause 0x2
	global_load_u8 v5, v[6:7], off offset:64
	global_load_u8 v3, v[6:7], off offset:32
	global_load_u8 v1, v[6:7], off
	s_mov_b32 s3, -1
	s_load_b64 s[22:23], s[0:1], 0x28
	s_sub_co_i32 s24, s2, s20
                                        ; implicit-def: $vgpr9
	s_cbranch_execnz .LBB255_10
	s_branch .LBB255_3
.LBB255_2:
	s_mov_b32 s3, s21
                                        ; implicit-def: $vgpr1
                                        ; implicit-def: $vgpr3
                                        ; implicit-def: $vgpr5
	s_load_b64 s[22:23], s[0:1], 0x28
	s_and_not1_b32 vcc_lo, exec_lo, s4
	s_sub_co_i32 s24, s2, s20
                                        ; implicit-def: $vgpr9
	s_cbranch_vccnz .LBB255_10
.LBB255_3:
	v_or_b32_e32 v10, v2, v4
	v_mov_b32_e32 v9, 0x80
	s_wait_loadcnt 0x0
	v_mov_b32_e32 v1, 0x80
	v_mov_b32_e32 v3, 0x80
	;; [unrolled: 1-line block ×3, first 2 shown]
	s_mov_b32 s2, exec_lo
	v_cmpx_gt_u32_e64 s24, v10
	s_cbranch_execz .LBB255_5
; %bb.4:
	global_load_u8 v1, v[6:7], off
	v_mov_b32_e32 v9, 0x80
	v_mov_b32_e32 v3, 0x80
	;; [unrolled: 1-line block ×3, first 2 shown]
.LBB255_5:
	s_wait_xcnt 0x0
	s_or_b32 exec_lo, exec_lo, s2
	v_or_b32_e32 v11, 32, v10
	s_mov_b32 s2, exec_lo
	s_delay_alu instid0(VALU_DEP_1)
	v_cmpx_gt_u32_e64 s24, v11
	s_cbranch_execz .LBB255_7
; %bb.6:
	global_load_u8 v3, v[6:7], off offset:32
.LBB255_7:
	s_wait_xcnt 0x0
	s_or_b32 exec_lo, exec_lo, s2
	v_or_b32_e32 v11, 64, v10
	s_mov_b32 s2, exec_lo
	s_delay_alu instid0(VALU_DEP_1)
	v_cmpx_gt_u32_e64 s24, v11
	s_cbranch_execz .LBB255_9
; %bb.8:
	global_load_u8 v5, v[6:7], off offset:64
.LBB255_9:
	s_wait_xcnt 0x0
	s_or_b32 exec_lo, exec_lo, s2
	v_or_b32_e32 v10, 0x60, v10
	s_delay_alu instid0(VALU_DEP_1)
	v_cmp_gt_u32_e64 s3, s24, v10
.LBB255_10:
	s_delay_alu instid0(VALU_DEP_1)
	s_and_saveexec_b32 s2, s3
	s_cbranch_execz .LBB255_12
; %bb.11:
	global_load_u8 v9, v[6:7], off offset:96
.LBB255_12:
	s_wait_xcnt 0x0
	s_or_b32 exec_lo, exec_lo, s2
	s_load_b32 s6, s[0:1], 0x3c
	v_bfe_u32 v7, v0, 10, 10
	v_bfe_u32 v0, v0, 20, 10
	s_get_pc_i64 s[4:5]
	s_add_nc_u64 s[4:5], s[4:5], _ZN7rocprim17ROCPRIM_400000_NS16block_radix_sortIaLj256ELj4ENS0_10empty_typeELj1ELj1ELj0ELNS0_26block_radix_rank_algorithmE1ELNS0_18block_padding_hintE2ELNS0_4arch9wavefront6targetE0EE19radix_bits_per_passE@rel64+4
	s_wait_loadcnt 0x0
	v_xor_b32_e32 v3, 0x7f, v3
	s_load_b32 s26, s[4:5], 0x0
	v_xor_b32_e32 v6, 0x7f, v9
	v_and_b32_e32 v12, 0x3e0, v8
	v_xor_b32_e32 v1, 0x7f, v1
	v_xor_b32_e32 v5, 0x7f, v5
	v_sub_co_u32 v13, s2, v2, 1
	v_lshlrev_b16 v3, 8, v3
	v_lshlrev_b16 v6, 8, v6
	v_dual_lshrrev_b32 v16, 3, v8 :: v_dual_bitop2_b32 v11, 16, v2 bitop3:0x40
	s_delay_alu instid0(VALU_DEP_4) | instskip(NEXT) | instid1(VALU_DEP_4)
	v_cmp_gt_i32_e32 vcc_lo, 0, v13
	v_bitop3_b16 v1, v1, v3, 0xff bitop3:0xec
	s_delay_alu instid0(VALU_DEP_4)
	v_bitop3_b16 v3, v5, v6, 0xff bitop3:0xec
	v_dual_lshlrev_b32 v9, 5, v8 :: v_dual_bitop2_b32 v10, 15, v2 bitop3:0x40
	s_wait_kmcnt 0x0
	s_lshr_b32 s3, s6, 16
	s_and_b32 s5, s6, 0xffff
	v_mad_u32_u24 v0, v0, s3, v7
	v_min_u32_e32 v7, 0xe0, v12
	s_mov_b32 s14, 0
	v_dual_cndmask_b32 v5, v13, v2, vcc_lo :: v_dual_bitop2_b32 v17, 7, v2 bitop3:0x40
	s_delay_alu instid0(VALU_DEP_3) | instskip(NEXT) | instid1(VALU_DEP_3)
	v_mad_u32 v0, v0, s5, v8
	v_or_b32_e32 v6, 31, v7
	v_and_b32_e32 v1, 0xffff, v1
	s_delay_alu instid0(VALU_DEP_4)
	v_dual_lshlrev_b32 v3, 16, v3 :: v_dual_lshlrev_b32 v14, 2, v5
	v_and_b32_e32 v16, 0x7c, v16
	s_mov_b32 s15, s14
	s_mov_b32 s16, s14
	;; [unrolled: 1-line block ×3, first 2 shown]
	v_cmp_eq_u32_e64 s3, 0, v10
	v_cmp_lt_u32_e64 s4, 1, v10
	v_lshrrev_b32_e32 v0, 3, v0
	v_cmp_lt_u32_e64 s5, 3, v10
	v_cmp_lt_u32_e64 s6, 7, v10
	v_cmp_eq_u32_e64 s7, 0, v11
	v_mov_b64_e32 v[10:11], s[14:15]
	v_and_b32_e32 v15, 0x1ffffffc, v0
	v_mul_i32_i24_e32 v0, 0xffffffe4, v8
	v_mov_b64_e32 v[12:13], s[16:17]
	v_cmp_gt_u32_e64 s0, 8, v8
	v_cmp_lt_u32_e64 s1, 31, v8
	v_cmp_eq_u32_e64 s8, v8, v6
	v_or_b32_e32 v20, v1, v3
	v_cmp_eq_u32_e64 s9, 0, v8
	v_cmp_eq_u32_e64 s10, 0, v17
	v_cmp_lt_u32_e64 s11, 1, v17
	v_cmp_lt_u32_e64 s12, 3, v17
	v_add_nc_u32_e32 v17, -4, v16
	v_add_nc_u32_e32 v18, v9, v0
	v_add_nc_u32_e32 v19, v2, v4
	s_add_co_i32 s27, s23, s22
	s_branch .LBB255_14
.LBB255_13:                             ;   in Loop: Header=BB255_14 Depth=1
	s_and_not1_b32 vcc_lo, exec_lo, s14
	s_mov_b32 s23, s13
	s_cbranch_vccz .LBB255_30
.LBB255_14:                             ; =>This Inner Loop Header: Depth=1
	v_and_b32_e32 v0, 0xff, v20
	s_min_u32 s13, s26, s23
	ds_store_2addr_b64 v9, v[10:11], v[12:13] offset0:4 offset1:5
	ds_store_2addr_b64 v9, v[10:11], v[12:13] offset0:6 offset1:7
	s_lshl_b32 s28, -1, s13
	s_wait_dscnt 0x0
	v_lshrrev_b32_e32 v0, s22, v0
	s_barrier_signal -1
	s_barrier_wait -1
	s_delay_alu instid0(VALU_DEP_1) | instskip(NEXT) | instid1(VALU_DEP_1)
	v_bitop3_b32 v2, v0, s28, v0 bitop3:0x30
	; wave barrier
	v_lshlrev_b32_e32 v3, 30, v2
	v_bitop3_b32 v1, v0, 1, s28 bitop3:0x40
	v_dual_lshlrev_b32 v4, 29, v2 :: v_dual_lshlrev_b32 v5, 28, v2
	v_dual_lshlrev_b32 v6, 27, v2 :: v_dual_lshlrev_b32 v7, 26, v2
	s_delay_alu instid0(VALU_DEP_3) | instskip(NEXT) | instid1(VALU_DEP_1)
	v_add_co_u32 v0, s13, v1, -1
	v_cndmask_b32_e64 v1, 0, 1, s13
	v_cmp_gt_i32_e64 s13, 0, v3
	v_cmp_gt_i32_e64 s14, 0, v4
	v_dual_lshlrev_b32 v21, 25, v2 :: v_dual_lshlrev_b32 v22, 24, v2
	s_delay_alu instid0(VALU_DEP_4)
	v_cmp_ne_u32_e32 vcc_lo, 0, v1
	v_not_b32_e32 v1, v3
	v_not_b32_e32 v3, v4
	;; [unrolled: 1-line block ×3, first 2 shown]
	v_cmp_gt_i32_e64 s15, 0, v5
	v_cmp_gt_i32_e64 s16, 0, v6
	v_dual_ashrrev_i32 v1, 31, v1 :: v_dual_bitop2_b32 v0, vcc_lo, v0 bitop3:0x14
	v_not_b32_e32 v5, v6
	v_dual_ashrrev_i32 v3, 31, v3 :: v_dual_ashrrev_i32 v4, 31, v4
	v_not_b32_e32 v6, v7
	s_delay_alu instid0(VALU_DEP_4) | instskip(SKIP_1) | instid1(VALU_DEP_4)
	v_xor_b32_e32 v1, s13, v1
	v_cmp_gt_i32_e64 s17, 0, v7
	v_dual_ashrrev_i32 v5, 31, v5 :: v_dual_bitop2_b32 v3, s14, v3 bitop3:0x14
	v_not_b32_e32 v7, v22
	v_ashrrev_i32_e32 v6, 31, v6
	v_bitop3_b32 v0, v0, v1, exec_lo bitop3:0x80
	v_not_b32_e32 v1, v21
	v_xor_b32_e32 v4, s15, v4
	v_xor_b32_e32 v5, s16, v5
	v_cmp_gt_i32_e32 vcc_lo, 0, v21
	v_cmp_gt_i32_e64 s13, 0, v22
	v_ashrrev_i32_e32 v1, 31, v1
	v_bitop3_b32 v0, v0, v4, v3 bitop3:0x80
	v_dual_ashrrev_i32 v3, 31, v7 :: v_dual_bitop2_b32 v4, s17, v6 bitop3:0x14
	s_delay_alu instid0(VALU_DEP_3) | instskip(NEXT) | instid1(VALU_DEP_2)
	v_xor_b32_e32 v1, vcc_lo, v1
	v_xor_b32_e32 v3, s13, v3
	s_delay_alu instid0(VALU_DEP_3) | instskip(NEXT) | instid1(VALU_DEP_1)
	v_bitop3_b32 v0, v0, v4, v5 bitop3:0x80
	v_bitop3_b32 v0, v0, v3, v1 bitop3:0x80
	v_lshlrev_b32_e32 v1, 5, v2
	s_delay_alu instid0(VALU_DEP_2) | instskip(SKIP_1) | instid1(VALU_DEP_3)
	v_mbcnt_lo_u32_b32 v21, v0, 0
	v_cmp_ne_u32_e64 s13, 0, v0
	v_add_nc_u32_e32 v22, v15, v1
	s_delay_alu instid0(VALU_DEP_3) | instskip(SKIP_1) | instid1(SALU_CYCLE_1)
	v_cmp_eq_u32_e32 vcc_lo, 0, v21
	s_and_b32 s14, s13, vcc_lo
	s_and_saveexec_b32 s13, s14
; %bb.15:                               ;   in Loop: Header=BB255_14 Depth=1
	v_bcnt_u32_b32 v0, v0, 0
	ds_store_b32 v22, v0 offset:32
; %bb.16:                               ;   in Loop: Header=BB255_14 Depth=1
	s_or_b32 exec_lo, exec_lo, s13
	v_bfe_u32 v0, v20, 8, 8
	s_not_b32 s28, s28
	; wave barrier
	s_delay_alu instid0(VALU_DEP_1) | instskip(NEXT) | instid1(VALU_DEP_1)
	v_lshrrev_b32_e32 v0, s22, v0
	v_and_b32_e32 v1, s28, v0
	s_delay_alu instid0(VALU_DEP_1) | instskip(SKIP_2) | instid1(VALU_DEP_2)
	v_lshlrev_b32_e32 v2, 5, v1
	v_bitop3_b32 v0, v0, 1, s28 bitop3:0x80
	v_lshlrev_b32_e32 v4, 30, v1
	v_add_co_u32 v0, s13, v0, -1
	s_delay_alu instid0(VALU_DEP_1) | instskip(NEXT) | instid1(VALU_DEP_1)
	v_cndmask_b32_e64 v3, 0, 1, s13
	v_cmp_ne_u32_e32 vcc_lo, 0, v3
	s_delay_alu instid0(VALU_DEP_4) | instskip(NEXT) | instid1(VALU_DEP_1)
	v_not_b32_e32 v3, v4
	v_dual_ashrrev_i32 v3, 31, v3 :: v_dual_bitop2_b32 v0, vcc_lo, v0 bitop3:0x14
	v_dual_lshlrev_b32 v5, 29, v1 :: v_dual_lshlrev_b32 v6, 28, v1
	v_dual_lshlrev_b32 v7, 27, v1 :: v_dual_lshlrev_b32 v23, 26, v1
	v_lshlrev_b32_e32 v24, 25, v1
	v_cmp_gt_i32_e64 s13, 0, v4
	s_delay_alu instid0(VALU_DEP_4)
	v_cmp_gt_i32_e64 s14, 0, v5
	v_not_b32_e32 v4, v5
	v_not_b32_e32 v5, v6
	v_lshlrev_b32_e32 v1, 24, v1
	v_cmp_gt_i32_e64 s15, 0, v6
	v_cmp_gt_i32_e64 s16, 0, v7
	v_not_b32_e32 v6, v7
	v_dual_ashrrev_i32 v4, 31, v4 :: v_dual_ashrrev_i32 v5, 31, v5
	v_xor_b32_e32 v3, s13, v3
	v_not_b32_e32 v7, v23
	v_cmp_gt_i32_e64 s17, 0, v23
	s_delay_alu instid0(VALU_DEP_4) | instskip(NEXT) | instid1(VALU_DEP_4)
	v_dual_ashrrev_i32 v6, 31, v6 :: v_dual_bitop2_b32 v4, s14, v4 bitop3:0x14
	v_bitop3_b32 v0, v0, v3, exec_lo bitop3:0x80
	s_delay_alu instid0(VALU_DEP_4)
	v_ashrrev_i32_e32 v3, 31, v7
	v_not_b32_e32 v7, v24
	v_xor_b32_e32 v5, s15, v5
	v_not_b32_e32 v23, v1
	v_xor_b32_e32 v6, s16, v6
	v_xor_b32_e32 v3, s17, v3
	v_cmp_gt_i32_e32 vcc_lo, 0, v24
	v_bitop3_b32 v0, v0, v5, v4 bitop3:0x80
	v_ashrrev_i32_e32 v4, 31, v7
	v_cmp_gt_i32_e64 s13, 0, v1
	v_dual_ashrrev_i32 v1, 31, v23 :: v_dual_add_nc_u32 v24, v15, v2
	s_delay_alu instid0(VALU_DEP_4) | instskip(NEXT) | instid1(VALU_DEP_4)
	v_bitop3_b32 v0, v0, v3, v6 bitop3:0x80
	v_xor_b32_e32 v2, vcc_lo, v4
	s_delay_alu instid0(VALU_DEP_3) | instskip(SKIP_2) | instid1(VALU_DEP_1)
	v_xor_b32_e32 v1, s13, v1
	ds_load_b32 v23, v24 offset:32
	; wave barrier
	v_bitop3_b32 v0, v0, v1, v2 bitop3:0x80
	v_mbcnt_lo_u32_b32 v25, v0, 0
	v_cmp_ne_u32_e64 s13, 0, v0
	s_delay_alu instid0(VALU_DEP_2) | instskip(SKIP_1) | instid1(SALU_CYCLE_1)
	v_cmp_eq_u32_e32 vcc_lo, 0, v25
	s_and_b32 s14, s13, vcc_lo
	s_and_saveexec_b32 s13, s14
	s_cbranch_execz .LBB255_18
; %bb.17:                               ;   in Loop: Header=BB255_14 Depth=1
	s_wait_dscnt 0x0
	v_bcnt_u32_b32 v0, v0, v23
	ds_store_b32 v24, v0 offset:32
.LBB255_18:                             ;   in Loop: Header=BB255_14 Depth=1
	s_or_b32 exec_lo, exec_lo, s13
	v_bfe_u32 v0, v20, 16, 8
	; wave barrier
	s_delay_alu instid0(VALU_DEP_1) | instskip(NEXT) | instid1(VALU_DEP_1)
	v_lshrrev_b32_e32 v0, s22, v0
	v_and_b32_e32 v1, s28, v0
	s_delay_alu instid0(VALU_DEP_1) | instskip(SKIP_2) | instid1(VALU_DEP_2)
	v_lshlrev_b32_e32 v2, 5, v1
	v_bitop3_b32 v0, v0, 1, s28 bitop3:0x80
	v_lshlrev_b32_e32 v4, 30, v1
	v_add_co_u32 v0, s13, v0, -1
	s_delay_alu instid0(VALU_DEP_1) | instskip(NEXT) | instid1(VALU_DEP_1)
	v_cndmask_b32_e64 v3, 0, 1, s13
	v_cmp_ne_u32_e32 vcc_lo, 0, v3
	s_delay_alu instid0(VALU_DEP_4) | instskip(NEXT) | instid1(VALU_DEP_1)
	v_not_b32_e32 v3, v4
	v_dual_ashrrev_i32 v3, 31, v3 :: v_dual_bitop2_b32 v0, vcc_lo, v0 bitop3:0x14
	v_dual_lshlrev_b32 v5, 29, v1 :: v_dual_lshlrev_b32 v6, 28, v1
	v_dual_lshlrev_b32 v7, 27, v1 :: v_dual_lshlrev_b32 v26, 26, v1
	v_lshlrev_b32_e32 v27, 25, v1
	v_cmp_gt_i32_e64 s13, 0, v4
	s_delay_alu instid0(VALU_DEP_4)
	v_cmp_gt_i32_e64 s14, 0, v5
	v_not_b32_e32 v4, v5
	v_not_b32_e32 v5, v6
	v_lshlrev_b32_e32 v1, 24, v1
	v_cmp_gt_i32_e64 s15, 0, v6
	v_cmp_gt_i32_e64 s16, 0, v7
	v_not_b32_e32 v6, v7
	v_not_b32_e32 v7, v26
	v_dual_ashrrev_i32 v4, 31, v4 :: v_dual_ashrrev_i32 v5, 31, v5
	s_delay_alu instid0(VALU_DEP_3) | instskip(SKIP_1) | instid1(VALU_DEP_3)
	v_dual_ashrrev_i32 v6, 31, v6 :: v_dual_bitop2_b32 v3, s13, v3 bitop3:0x14
	v_cmp_gt_i32_e64 s17, 0, v26
	v_dual_ashrrev_i32 v7, 31, v7 :: v_dual_bitop2_b32 v4, s14, v4 bitop3:0x14
	s_delay_alu instid0(VALU_DEP_3)
	v_bitop3_b32 v0, v0, v3, exec_lo bitop3:0x80
	v_not_b32_e32 v3, v27
	v_xor_b32_e32 v5, s15, v5
	v_not_b32_e32 v26, v1
	v_xor_b32_e32 v6, s16, v6
	v_xor_b32_e32 v7, s17, v7
	v_cmp_gt_i32_e32 vcc_lo, 0, v27
	v_ashrrev_i32_e32 v3, 31, v3
	v_bitop3_b32 v0, v0, v5, v4 bitop3:0x80
	v_cmp_gt_i32_e64 s13, 0, v1
	v_ashrrev_i32_e32 v1, 31, v26
	s_delay_alu instid0(VALU_DEP_4) | instskip(NEXT) | instid1(VALU_DEP_4)
	v_dual_add_nc_u32 v28, v15, v2 :: v_dual_bitop2_b32 v2, vcc_lo, v3 bitop3:0x14
	v_bitop3_b32 v0, v0, v7, v6 bitop3:0x80
	s_delay_alu instid0(VALU_DEP_3) | instskip(SKIP_2) | instid1(VALU_DEP_1)
	v_xor_b32_e32 v1, s13, v1
	ds_load_b32 v27, v28 offset:32
	; wave barrier
	v_bitop3_b32 v0, v0, v1, v2 bitop3:0x80
	v_mbcnt_lo_u32_b32 v29, v0, 0
	v_cmp_ne_u32_e64 s13, 0, v0
	s_delay_alu instid0(VALU_DEP_2) | instskip(SKIP_1) | instid1(SALU_CYCLE_1)
	v_cmp_eq_u32_e32 vcc_lo, 0, v29
	s_and_b32 s14, s13, vcc_lo
	s_and_saveexec_b32 s13, s14
	s_cbranch_execz .LBB255_20
; %bb.19:                               ;   in Loop: Header=BB255_14 Depth=1
	s_wait_dscnt 0x0
	v_bcnt_u32_b32 v0, v0, v27
	ds_store_b32 v28, v0 offset:32
.LBB255_20:                             ;   in Loop: Header=BB255_14 Depth=1
	s_or_b32 exec_lo, exec_lo, s13
	v_lshrrev_b32_e32 v26, 24, v20
	; wave barrier
	s_delay_alu instid0(VALU_DEP_1) | instskip(NEXT) | instid1(VALU_DEP_1)
	v_lshrrev_b32_e32 v0, s22, v26
	v_and_b32_e32 v1, s28, v0
	s_delay_alu instid0(VALU_DEP_1) | instskip(SKIP_1) | instid1(VALU_DEP_1)
	v_lshlrev_b32_e32 v4, 30, v1
	v_bitop3_b32 v0, v0, 1, s28 bitop3:0x80
	v_add_co_u32 v0, s13, v0, -1
	s_delay_alu instid0(VALU_DEP_1) | instskip(NEXT) | instid1(VALU_DEP_4)
	v_cndmask_b32_e64 v3, 0, 1, s13
	v_cmp_gt_i32_e64 s13, 0, v4
	s_delay_alu instid0(VALU_DEP_2) | instskip(SKIP_1) | instid1(VALU_DEP_1)
	v_cmp_ne_u32_e32 vcc_lo, 0, v3
	v_not_b32_e32 v3, v4
	v_dual_ashrrev_i32 v3, 31, v3 :: v_dual_lshlrev_b32 v5, 29, v1
	v_dual_lshlrev_b32 v6, 28, v1 :: v_dual_lshlrev_b32 v7, 27, v1
	v_dual_lshlrev_b32 v30, 26, v1 :: v_dual_lshlrev_b32 v2, 5, v1
	s_delay_alu instid0(VALU_DEP_3) | instskip(SKIP_1) | instid1(VALU_DEP_4)
	v_cmp_gt_i32_e64 s14, 0, v5
	v_not_b32_e32 v4, v5
	v_not_b32_e32 v5, v6
	v_dual_lshlrev_b32 v31, 25, v1 :: v_dual_lshlrev_b32 v1, 24, v1
	v_cmp_gt_i32_e64 s15, 0, v6
	v_cmp_gt_i32_e64 s16, 0, v7
	v_not_b32_e32 v6, v7
	v_not_b32_e32 v7, v30
	v_dual_ashrrev_i32 v5, 31, v5 :: v_dual_bitop2_b32 v0, vcc_lo, v0 bitop3:0x14
	v_dual_ashrrev_i32 v4, 31, v4 :: v_dual_bitop2_b32 v3, s13, v3 bitop3:0x14
	v_cmp_gt_i32_e64 s17, 0, v30
	s_delay_alu instid0(VALU_DEP_4)
	v_dual_ashrrev_i32 v6, 31, v6 :: v_dual_ashrrev_i32 v7, 31, v7
	v_not_b32_e32 v30, v1
	v_xor_b32_e32 v5, s15, v5
	v_bitop3_b32 v0, v0, v3, exec_lo bitop3:0x80
	v_not_b32_e32 v3, v31
	v_xor_b32_e32 v4, s14, v4
	v_xor_b32_e32 v6, s16, v6
	;; [unrolled: 1-line block ×3, first 2 shown]
	v_cmp_gt_i32_e32 vcc_lo, 0, v31
	v_ashrrev_i32_e32 v3, 31, v3
	v_cmp_gt_i32_e64 s13, 0, v1
	v_ashrrev_i32_e32 v1, 31, v30
	v_bitop3_b32 v0, v0, v5, v4 bitop3:0x80
	s_delay_alu instid0(VALU_DEP_4) | instskip(NEXT) | instid1(VALU_DEP_3)
	v_dual_add_nc_u32 v31, v15, v2 :: v_dual_bitop2_b32 v2, vcc_lo, v3 bitop3:0x14
	v_xor_b32_e32 v1, s13, v1
	s_delay_alu instid0(VALU_DEP_3) | instskip(SKIP_2) | instid1(VALU_DEP_1)
	v_bitop3_b32 v0, v0, v7, v6 bitop3:0x80
	ds_load_b32 v30, v31 offset:32
	; wave barrier
	v_bitop3_b32 v0, v0, v1, v2 bitop3:0x80
	v_mbcnt_lo_u32_b32 v32, v0, 0
	v_cmp_ne_u32_e64 s13, 0, v0
	s_delay_alu instid0(VALU_DEP_2) | instskip(SKIP_1) | instid1(SALU_CYCLE_1)
	v_cmp_eq_u32_e32 vcc_lo, 0, v32
	s_and_b32 s14, s13, vcc_lo
	s_and_saveexec_b32 s13, s14
	s_cbranch_execz .LBB255_22
; %bb.21:                               ;   in Loop: Header=BB255_14 Depth=1
	s_wait_dscnt 0x0
	v_bcnt_u32_b32 v0, v0, v30
	ds_store_b32 v31, v0 offset:32
.LBB255_22:                             ;   in Loop: Header=BB255_14 Depth=1
	s_or_b32 exec_lo, exec_lo, s13
	; wave barrier
	s_wait_dscnt 0x0
	s_barrier_signal -1
	s_barrier_wait -1
	ds_load_2addr_b64 v[4:7], v9 offset0:4 offset1:5
	ds_load_2addr_b64 v[0:3], v9 offset0:6 offset1:7
	s_wait_dscnt 0x1
	v_add_nc_u32_e32 v33, v5, v4
	s_delay_alu instid0(VALU_DEP_1) | instskip(SKIP_1) | instid1(VALU_DEP_1)
	v_add3_u32 v33, v33, v6, v7
	s_wait_dscnt 0x0
	v_add3_u32 v33, v33, v0, v1
	s_delay_alu instid0(VALU_DEP_1) | instskip(NEXT) | instid1(VALU_DEP_1)
	v_add3_u32 v3, v33, v2, v3
	v_mov_b32_dpp v33, v3 row_shr:1 row_mask:0xf bank_mask:0xf
	s_delay_alu instid0(VALU_DEP_1) | instskip(NEXT) | instid1(VALU_DEP_1)
	v_cndmask_b32_e64 v33, v33, 0, s3
	v_add_nc_u32_e32 v3, v33, v3
	s_delay_alu instid0(VALU_DEP_1) | instskip(NEXT) | instid1(VALU_DEP_1)
	v_mov_b32_dpp v33, v3 row_shr:2 row_mask:0xf bank_mask:0xf
	v_cndmask_b32_e64 v33, 0, v33, s4
	s_delay_alu instid0(VALU_DEP_1) | instskip(NEXT) | instid1(VALU_DEP_1)
	v_add_nc_u32_e32 v3, v3, v33
	v_mov_b32_dpp v33, v3 row_shr:4 row_mask:0xf bank_mask:0xf
	s_delay_alu instid0(VALU_DEP_1) | instskip(NEXT) | instid1(VALU_DEP_1)
	v_cndmask_b32_e64 v33, 0, v33, s5
	v_add_nc_u32_e32 v3, v3, v33
	s_delay_alu instid0(VALU_DEP_1) | instskip(NEXT) | instid1(VALU_DEP_1)
	v_mov_b32_dpp v33, v3 row_shr:8 row_mask:0xf bank_mask:0xf
	v_cndmask_b32_e64 v33, 0, v33, s6
	s_delay_alu instid0(VALU_DEP_1) | instskip(SKIP_3) | instid1(VALU_DEP_1)
	v_add_nc_u32_e32 v3, v3, v33
	ds_swizzle_b32 v33, v3 offset:swizzle(BROADCAST,32,15)
	s_wait_dscnt 0x0
	v_cndmask_b32_e64 v33, v33, 0, s7
	v_add_nc_u32_e32 v3, v3, v33
	s_and_saveexec_b32 s13, s8
; %bb.23:                               ;   in Loop: Header=BB255_14 Depth=1
	ds_store_b32 v16, v3
; %bb.24:                               ;   in Loop: Header=BB255_14 Depth=1
	s_or_b32 exec_lo, exec_lo, s13
	s_wait_dscnt 0x0
	s_barrier_signal -1
	s_barrier_wait -1
	s_and_saveexec_b32 s13, s0
	s_cbranch_execz .LBB255_26
; %bb.25:                               ;   in Loop: Header=BB255_14 Depth=1
	ds_load_b32 v33, v18
	s_wait_dscnt 0x0
	v_mov_b32_dpp v34, v33 row_shr:1 row_mask:0xf bank_mask:0xf
	s_delay_alu instid0(VALU_DEP_1) | instskip(NEXT) | instid1(VALU_DEP_1)
	v_cndmask_b32_e64 v34, v34, 0, s10
	v_add_nc_u32_e32 v33, v34, v33
	s_delay_alu instid0(VALU_DEP_1) | instskip(NEXT) | instid1(VALU_DEP_1)
	v_mov_b32_dpp v34, v33 row_shr:2 row_mask:0xf bank_mask:0xf
	v_cndmask_b32_e64 v34, 0, v34, s11
	s_delay_alu instid0(VALU_DEP_1) | instskip(NEXT) | instid1(VALU_DEP_1)
	v_add_nc_u32_e32 v33, v33, v34
	v_mov_b32_dpp v34, v33 row_shr:4 row_mask:0xf bank_mask:0xf
	s_delay_alu instid0(VALU_DEP_1) | instskip(NEXT) | instid1(VALU_DEP_1)
	v_cndmask_b32_e64 v34, 0, v34, s12
	v_add_nc_u32_e32 v33, v33, v34
	ds_store_b32 v18, v33
.LBB255_26:                             ;   in Loop: Header=BB255_14 Depth=1
	s_or_b32 exec_lo, exec_lo, s13
	v_mov_b32_e32 v33, 0
	s_wait_dscnt 0x0
	s_barrier_signal -1
	s_barrier_wait -1
	s_and_saveexec_b32 s13, s1
; %bb.27:                               ;   in Loop: Header=BB255_14 Depth=1
	ds_load_b32 v33, v17
; %bb.28:                               ;   in Loop: Header=BB255_14 Depth=1
	s_or_b32 exec_lo, exec_lo, s13
	s_wait_dscnt 0x0
	v_add_nc_u32_e32 v3, v33, v3
	v_add_nc_u32_e32 v23, v25, v23
	s_add_co_i32 s22, s22, 8
	s_mov_b32 s14, -1
	s_cmp_ge_u32 s22, s27
	ds_bpermute_b32 v3, v14, v3
	s_wait_dscnt 0x0
	v_cndmask_b32_e64 v3, v3, v33, s2
	s_delay_alu instid0(VALU_DEP_1) | instskip(NEXT) | instid1(VALU_DEP_1)
	v_cndmask_b32_e64 v34, v3, 0, s9
	v_add_nc_u32_e32 v35, v34, v4
	s_delay_alu instid0(VALU_DEP_1) | instskip(NEXT) | instid1(VALU_DEP_1)
	v_add_nc_u32_e32 v4, v35, v5
	v_add_nc_u32_e32 v5, v4, v6
	s_delay_alu instid0(VALU_DEP_1) | instskip(NEXT) | instid1(VALU_DEP_1)
	v_add_nc_u32_e32 v6, v5, v7
	;; [unrolled: 3-line block ×3, first 2 shown]
	v_add_nc_u32_e32 v1, v0, v2
	ds_store_2addr_b64 v9, v[34:35], v[4:5] offset0:4 offset1:5
	ds_store_2addr_b64 v9, v[6:7], v[0:1] offset0:6 offset1:7
	s_wait_dscnt 0x0
	s_barrier_signal -1
	s_barrier_wait -1
	ds_load_b32 v6, v22 offset:32
	ds_load_b32 v5, v24 offset:32
	;; [unrolled: 1-line block ×4, first 2 shown]
	v_dual_mov_b32 v0, v20 :: v_dual_lshrrev_b32 v2, 16, v20
	v_dual_lshrrev_b32 v1, 8, v20 :: v_dual_add_nc_u32 v22, v29, v27
	v_add_nc_u32_e32 v7, v32, v30
	s_delay_alu instid0(VALU_DEP_3)
	v_readfirstlane_b32 s13, v0
	s_wait_dscnt 0x0
	s_cbranch_scc1 .LBB255_13
; %bb.29:                               ;   in Loop: Header=BB255_14 Depth=1
	v_dual_add_nc_u32 v24, v6, v21 :: v_dual_add_nc_u32 v28, v7, v3
	v_dual_add_nc_u32 v25, v23, v5 :: v_dual_add_nc_u32 v27, v22, v4
	s_barrier_signal -1
	s_barrier_wait -1
	ds_store_b8 v24, v20
	ds_store_b8 v25, v1
	;; [unrolled: 1-line block ×4, first 2 shown]
	s_wait_dscnt 0x0
	s_barrier_signal -1
	s_barrier_wait -1
	ds_load_u8 v20, v19 offset:96
	ds_load_u8 v24, v19 offset:64
	ds_load_u8 v25, v19
	ds_load_u8 v27, v19 offset:32
	s_add_co_i32 s13, s23, -8
	s_mov_b32 s14, 0
	s_wait_dscnt 0x0
	s_barrier_signal -1
	s_barrier_wait -1
	v_perm_b32 v20, v24, v20, 0xc0c0004
	v_perm_b32 v24, v25, v27, 0xc0c0004
	s_delay_alu instid0(VALU_DEP_1)
	v_lshl_or_b32 v20, v20, 16, v24
	s_branch .LBB255_13
.LBB255_30:
	v_dual_add_nc_u32 v6, v6, v21 :: v_dual_add_nc_u32 v3, v7, v3
	v_dual_add_nc_u32 v5, v23, v5 :: v_dual_add_nc_u32 v4, v22, v4
	s_barrier_signal -1
	s_barrier_wait -1
	ds_store_b8 v6, v0
	ds_store_b8 v5, v1
	ds_store_b8 v4, v2
	ds_store_b8 v3, v26
	s_wait_dscnt 0x0
	s_barrier_signal -1
	s_barrier_wait -1
	ds_load_u8 v3, v8
	ds_load_u8 v4, v8 offset:256
	ds_load_u8 v6, v8 offset:512
	;; [unrolled: 1-line block ×3, first 2 shown]
	v_mov_b32_e32 v9, 0
	s_add_nc_u64 s[0:1], s[18:19], s[20:21]
	s_and_not1_b32 vcc_lo, exec_lo, s25
	s_delay_alu instid0(VALU_DEP_1)
	v_add_nc_u64_e32 v[0:1], s[0:1], v[8:9]
	s_wait_dscnt 0x3
	v_xor_b32_e32 v5, 0x7f, v3
	s_wait_dscnt 0x2
	v_xor_b32_e32 v4, 0x7f, v4
	;; [unrolled: 2-line block ×3, first 2 shown]
	s_cbranch_vccnz .LBB255_34
; %bb.31:
	s_mov_b32 s0, -1
	s_clause 0x2
	global_store_b8 v[0:1], v5, off
	global_store_b8 v[0:1], v4, off offset:256
	global_store_b8 v[0:1], v3, off offset:512
	s_cbranch_execz .LBB255_35
; %bb.32:
	s_wait_xcnt 0x0
	s_and_saveexec_b32 s1, s0
	s_cbranch_execz .LBB255_42
.LBB255_33:
	s_wait_dscnt 0x0
	v_xor_b32_e32 v2, 0x7f, v2
	global_store_b8 v[0:1], v2, off offset:768
	s_endpgm
.LBB255_34:
	s_mov_b32 s0, 0
.LBB255_35:
	s_mov_b32 s0, exec_lo
	s_wait_xcnt 0x0
	v_cmpx_gt_u32_e64 s24, v8
	s_cbranch_execz .LBB255_37
; %bb.36:
	global_store_b8 v[0:1], v5, off
.LBB255_37:
	s_wait_xcnt 0x0
	s_or_b32 exec_lo, exec_lo, s0
	v_add_nc_u32_e32 v5, 0x100, v8
	s_mov_b32 s0, exec_lo
	s_delay_alu instid0(VALU_DEP_1)
	v_cmpx_gt_u32_e64 s24, v5
	s_cbranch_execz .LBB255_39
; %bb.38:
	global_store_b8 v[0:1], v4, off offset:256
.LBB255_39:
	s_wait_xcnt 0x0
	s_or_b32 exec_lo, exec_lo, s0
	v_add_nc_u32_e32 v4, 0x200, v8
	s_mov_b32 s0, exec_lo
	s_delay_alu instid0(VALU_DEP_1)
	v_cmpx_gt_u32_e64 s24, v4
	s_cbranch_execz .LBB255_41
; %bb.40:
	global_store_b8 v[0:1], v3, off offset:512
.LBB255_41:
	s_wait_xcnt 0x0
	s_or_b32 exec_lo, exec_lo, s0
	v_add_nc_u32_e32 v3, 0x300, v8
	s_delay_alu instid0(VALU_DEP_1)
	v_cmp_gt_u32_e64 s0, s24, v3
	s_and_saveexec_b32 s1, s0
	s_cbranch_execnz .LBB255_33
.LBB255_42:
	s_endpgm
	.section	.rodata,"a",@progbits
	.p2align	6, 0x0
	.amdhsa_kernel _ZN7rocprim17ROCPRIM_400000_NS6detail17trampoline_kernelINS0_13kernel_configILj256ELj4ELj4294967295EEENS1_37radix_sort_block_sort_config_selectorIaNS0_10empty_typeEEEZNS1_21radix_sort_block_sortIS4_Lb1EPKaPaPS6_SC_NS0_19identity_decomposerEEE10hipError_tT1_T2_T3_T4_jRjT5_jjP12ihipStream_tbEUlT_E_NS1_11comp_targetILNS1_3genE0ELNS1_11target_archE4294967295ELNS1_3gpuE0ELNS1_3repE0EEENS1_44radix_sort_block_sort_config_static_selectorELNS0_4arch9wavefront6targetE0EEEvSF_
		.amdhsa_group_segment_fixed_size 8224
		.amdhsa_private_segment_fixed_size 0
		.amdhsa_kernarg_size 304
		.amdhsa_user_sgpr_count 2
		.amdhsa_user_sgpr_dispatch_ptr 0
		.amdhsa_user_sgpr_queue_ptr 0
		.amdhsa_user_sgpr_kernarg_segment_ptr 1
		.amdhsa_user_sgpr_dispatch_id 0
		.amdhsa_user_sgpr_kernarg_preload_length 0
		.amdhsa_user_sgpr_kernarg_preload_offset 0
		.amdhsa_user_sgpr_private_segment_size 0
		.amdhsa_wavefront_size32 1
		.amdhsa_uses_dynamic_stack 0
		.amdhsa_enable_private_segment 0
		.amdhsa_system_sgpr_workgroup_id_x 1
		.amdhsa_system_sgpr_workgroup_id_y 0
		.amdhsa_system_sgpr_workgroup_id_z 0
		.amdhsa_system_sgpr_workgroup_info 0
		.amdhsa_system_vgpr_workitem_id 2
		.amdhsa_next_free_vgpr 36
		.amdhsa_next_free_sgpr 29
		.amdhsa_named_barrier_count 0
		.amdhsa_reserve_vcc 1
		.amdhsa_float_round_mode_32 0
		.amdhsa_float_round_mode_16_64 0
		.amdhsa_float_denorm_mode_32 3
		.amdhsa_float_denorm_mode_16_64 3
		.amdhsa_fp16_overflow 0
		.amdhsa_memory_ordered 1
		.amdhsa_forward_progress 1
		.amdhsa_inst_pref_size 29
		.amdhsa_round_robin_scheduling 0
		.amdhsa_exception_fp_ieee_invalid_op 0
		.amdhsa_exception_fp_denorm_src 0
		.amdhsa_exception_fp_ieee_div_zero 0
		.amdhsa_exception_fp_ieee_overflow 0
		.amdhsa_exception_fp_ieee_underflow 0
		.amdhsa_exception_fp_ieee_inexact 0
		.amdhsa_exception_int_div_zero 0
	.end_amdhsa_kernel
	.section	.text._ZN7rocprim17ROCPRIM_400000_NS6detail17trampoline_kernelINS0_13kernel_configILj256ELj4ELj4294967295EEENS1_37radix_sort_block_sort_config_selectorIaNS0_10empty_typeEEEZNS1_21radix_sort_block_sortIS4_Lb1EPKaPaPS6_SC_NS0_19identity_decomposerEEE10hipError_tT1_T2_T3_T4_jRjT5_jjP12ihipStream_tbEUlT_E_NS1_11comp_targetILNS1_3genE0ELNS1_11target_archE4294967295ELNS1_3gpuE0ELNS1_3repE0EEENS1_44radix_sort_block_sort_config_static_selectorELNS0_4arch9wavefront6targetE0EEEvSF_,"axG",@progbits,_ZN7rocprim17ROCPRIM_400000_NS6detail17trampoline_kernelINS0_13kernel_configILj256ELj4ELj4294967295EEENS1_37radix_sort_block_sort_config_selectorIaNS0_10empty_typeEEEZNS1_21radix_sort_block_sortIS4_Lb1EPKaPaPS6_SC_NS0_19identity_decomposerEEE10hipError_tT1_T2_T3_T4_jRjT5_jjP12ihipStream_tbEUlT_E_NS1_11comp_targetILNS1_3genE0ELNS1_11target_archE4294967295ELNS1_3gpuE0ELNS1_3repE0EEENS1_44radix_sort_block_sort_config_static_selectorELNS0_4arch9wavefront6targetE0EEEvSF_,comdat
.Lfunc_end255:
	.size	_ZN7rocprim17ROCPRIM_400000_NS6detail17trampoline_kernelINS0_13kernel_configILj256ELj4ELj4294967295EEENS1_37radix_sort_block_sort_config_selectorIaNS0_10empty_typeEEEZNS1_21radix_sort_block_sortIS4_Lb1EPKaPaPS6_SC_NS0_19identity_decomposerEEE10hipError_tT1_T2_T3_T4_jRjT5_jjP12ihipStream_tbEUlT_E_NS1_11comp_targetILNS1_3genE0ELNS1_11target_archE4294967295ELNS1_3gpuE0ELNS1_3repE0EEENS1_44radix_sort_block_sort_config_static_selectorELNS0_4arch9wavefront6targetE0EEEvSF_, .Lfunc_end255-_ZN7rocprim17ROCPRIM_400000_NS6detail17trampoline_kernelINS0_13kernel_configILj256ELj4ELj4294967295EEENS1_37radix_sort_block_sort_config_selectorIaNS0_10empty_typeEEEZNS1_21radix_sort_block_sortIS4_Lb1EPKaPaPS6_SC_NS0_19identity_decomposerEEE10hipError_tT1_T2_T3_T4_jRjT5_jjP12ihipStream_tbEUlT_E_NS1_11comp_targetILNS1_3genE0ELNS1_11target_archE4294967295ELNS1_3gpuE0ELNS1_3repE0EEENS1_44radix_sort_block_sort_config_static_selectorELNS0_4arch9wavefront6targetE0EEEvSF_
                                        ; -- End function
	.set _ZN7rocprim17ROCPRIM_400000_NS6detail17trampoline_kernelINS0_13kernel_configILj256ELj4ELj4294967295EEENS1_37radix_sort_block_sort_config_selectorIaNS0_10empty_typeEEEZNS1_21radix_sort_block_sortIS4_Lb1EPKaPaPS6_SC_NS0_19identity_decomposerEEE10hipError_tT1_T2_T3_T4_jRjT5_jjP12ihipStream_tbEUlT_E_NS1_11comp_targetILNS1_3genE0ELNS1_11target_archE4294967295ELNS1_3gpuE0ELNS1_3repE0EEENS1_44radix_sort_block_sort_config_static_selectorELNS0_4arch9wavefront6targetE0EEEvSF_.num_vgpr, 36
	.set _ZN7rocprim17ROCPRIM_400000_NS6detail17trampoline_kernelINS0_13kernel_configILj256ELj4ELj4294967295EEENS1_37radix_sort_block_sort_config_selectorIaNS0_10empty_typeEEEZNS1_21radix_sort_block_sortIS4_Lb1EPKaPaPS6_SC_NS0_19identity_decomposerEEE10hipError_tT1_T2_T3_T4_jRjT5_jjP12ihipStream_tbEUlT_E_NS1_11comp_targetILNS1_3genE0ELNS1_11target_archE4294967295ELNS1_3gpuE0ELNS1_3repE0EEENS1_44radix_sort_block_sort_config_static_selectorELNS0_4arch9wavefront6targetE0EEEvSF_.num_agpr, 0
	.set _ZN7rocprim17ROCPRIM_400000_NS6detail17trampoline_kernelINS0_13kernel_configILj256ELj4ELj4294967295EEENS1_37radix_sort_block_sort_config_selectorIaNS0_10empty_typeEEEZNS1_21radix_sort_block_sortIS4_Lb1EPKaPaPS6_SC_NS0_19identity_decomposerEEE10hipError_tT1_T2_T3_T4_jRjT5_jjP12ihipStream_tbEUlT_E_NS1_11comp_targetILNS1_3genE0ELNS1_11target_archE4294967295ELNS1_3gpuE0ELNS1_3repE0EEENS1_44radix_sort_block_sort_config_static_selectorELNS0_4arch9wavefront6targetE0EEEvSF_.numbered_sgpr, 29
	.set _ZN7rocprim17ROCPRIM_400000_NS6detail17trampoline_kernelINS0_13kernel_configILj256ELj4ELj4294967295EEENS1_37radix_sort_block_sort_config_selectorIaNS0_10empty_typeEEEZNS1_21radix_sort_block_sortIS4_Lb1EPKaPaPS6_SC_NS0_19identity_decomposerEEE10hipError_tT1_T2_T3_T4_jRjT5_jjP12ihipStream_tbEUlT_E_NS1_11comp_targetILNS1_3genE0ELNS1_11target_archE4294967295ELNS1_3gpuE0ELNS1_3repE0EEENS1_44radix_sort_block_sort_config_static_selectorELNS0_4arch9wavefront6targetE0EEEvSF_.num_named_barrier, 0
	.set _ZN7rocprim17ROCPRIM_400000_NS6detail17trampoline_kernelINS0_13kernel_configILj256ELj4ELj4294967295EEENS1_37radix_sort_block_sort_config_selectorIaNS0_10empty_typeEEEZNS1_21radix_sort_block_sortIS4_Lb1EPKaPaPS6_SC_NS0_19identity_decomposerEEE10hipError_tT1_T2_T3_T4_jRjT5_jjP12ihipStream_tbEUlT_E_NS1_11comp_targetILNS1_3genE0ELNS1_11target_archE4294967295ELNS1_3gpuE0ELNS1_3repE0EEENS1_44radix_sort_block_sort_config_static_selectorELNS0_4arch9wavefront6targetE0EEEvSF_.private_seg_size, 0
	.set _ZN7rocprim17ROCPRIM_400000_NS6detail17trampoline_kernelINS0_13kernel_configILj256ELj4ELj4294967295EEENS1_37radix_sort_block_sort_config_selectorIaNS0_10empty_typeEEEZNS1_21radix_sort_block_sortIS4_Lb1EPKaPaPS6_SC_NS0_19identity_decomposerEEE10hipError_tT1_T2_T3_T4_jRjT5_jjP12ihipStream_tbEUlT_E_NS1_11comp_targetILNS1_3genE0ELNS1_11target_archE4294967295ELNS1_3gpuE0ELNS1_3repE0EEENS1_44radix_sort_block_sort_config_static_selectorELNS0_4arch9wavefront6targetE0EEEvSF_.uses_vcc, 1
	.set _ZN7rocprim17ROCPRIM_400000_NS6detail17trampoline_kernelINS0_13kernel_configILj256ELj4ELj4294967295EEENS1_37radix_sort_block_sort_config_selectorIaNS0_10empty_typeEEEZNS1_21radix_sort_block_sortIS4_Lb1EPKaPaPS6_SC_NS0_19identity_decomposerEEE10hipError_tT1_T2_T3_T4_jRjT5_jjP12ihipStream_tbEUlT_E_NS1_11comp_targetILNS1_3genE0ELNS1_11target_archE4294967295ELNS1_3gpuE0ELNS1_3repE0EEENS1_44radix_sort_block_sort_config_static_selectorELNS0_4arch9wavefront6targetE0EEEvSF_.uses_flat_scratch, 0
	.set _ZN7rocprim17ROCPRIM_400000_NS6detail17trampoline_kernelINS0_13kernel_configILj256ELj4ELj4294967295EEENS1_37radix_sort_block_sort_config_selectorIaNS0_10empty_typeEEEZNS1_21radix_sort_block_sortIS4_Lb1EPKaPaPS6_SC_NS0_19identity_decomposerEEE10hipError_tT1_T2_T3_T4_jRjT5_jjP12ihipStream_tbEUlT_E_NS1_11comp_targetILNS1_3genE0ELNS1_11target_archE4294967295ELNS1_3gpuE0ELNS1_3repE0EEENS1_44radix_sort_block_sort_config_static_selectorELNS0_4arch9wavefront6targetE0EEEvSF_.has_dyn_sized_stack, 0
	.set _ZN7rocprim17ROCPRIM_400000_NS6detail17trampoline_kernelINS0_13kernel_configILj256ELj4ELj4294967295EEENS1_37radix_sort_block_sort_config_selectorIaNS0_10empty_typeEEEZNS1_21radix_sort_block_sortIS4_Lb1EPKaPaPS6_SC_NS0_19identity_decomposerEEE10hipError_tT1_T2_T3_T4_jRjT5_jjP12ihipStream_tbEUlT_E_NS1_11comp_targetILNS1_3genE0ELNS1_11target_archE4294967295ELNS1_3gpuE0ELNS1_3repE0EEENS1_44radix_sort_block_sort_config_static_selectorELNS0_4arch9wavefront6targetE0EEEvSF_.has_recursion, 0
	.set _ZN7rocprim17ROCPRIM_400000_NS6detail17trampoline_kernelINS0_13kernel_configILj256ELj4ELj4294967295EEENS1_37radix_sort_block_sort_config_selectorIaNS0_10empty_typeEEEZNS1_21radix_sort_block_sortIS4_Lb1EPKaPaPS6_SC_NS0_19identity_decomposerEEE10hipError_tT1_T2_T3_T4_jRjT5_jjP12ihipStream_tbEUlT_E_NS1_11comp_targetILNS1_3genE0ELNS1_11target_archE4294967295ELNS1_3gpuE0ELNS1_3repE0EEENS1_44radix_sort_block_sort_config_static_selectorELNS0_4arch9wavefront6targetE0EEEvSF_.has_indirect_call, 0
	.section	.AMDGPU.csdata,"",@progbits
; Kernel info:
; codeLenInByte = 3640
; TotalNumSgprs: 31
; NumVgprs: 36
; ScratchSize: 0
; MemoryBound: 0
; FloatMode: 240
; IeeeMode: 1
; LDSByteSize: 8224 bytes/workgroup (compile time only)
; SGPRBlocks: 0
; VGPRBlocks: 2
; NumSGPRsForWavesPerEU: 31
; NumVGPRsForWavesPerEU: 36
; NamedBarCnt: 0
; Occupancy: 16
; WaveLimiterHint : 1
; COMPUTE_PGM_RSRC2:SCRATCH_EN: 0
; COMPUTE_PGM_RSRC2:USER_SGPR: 2
; COMPUTE_PGM_RSRC2:TRAP_HANDLER: 0
; COMPUTE_PGM_RSRC2:TGID_X_EN: 1
; COMPUTE_PGM_RSRC2:TGID_Y_EN: 0
; COMPUTE_PGM_RSRC2:TGID_Z_EN: 0
; COMPUTE_PGM_RSRC2:TIDIG_COMP_CNT: 2
	.section	.text._ZN7rocprim17ROCPRIM_400000_NS6detail17trampoline_kernelINS0_13kernel_configILj256ELj4ELj4294967295EEENS1_37radix_sort_block_sort_config_selectorIaNS0_10empty_typeEEEZNS1_21radix_sort_block_sortIS4_Lb1EPKaPaPS6_SC_NS0_19identity_decomposerEEE10hipError_tT1_T2_T3_T4_jRjT5_jjP12ihipStream_tbEUlT_E_NS1_11comp_targetILNS1_3genE5ELNS1_11target_archE942ELNS1_3gpuE9ELNS1_3repE0EEENS1_44radix_sort_block_sort_config_static_selectorELNS0_4arch9wavefront6targetE0EEEvSF_,"axG",@progbits,_ZN7rocprim17ROCPRIM_400000_NS6detail17trampoline_kernelINS0_13kernel_configILj256ELj4ELj4294967295EEENS1_37radix_sort_block_sort_config_selectorIaNS0_10empty_typeEEEZNS1_21radix_sort_block_sortIS4_Lb1EPKaPaPS6_SC_NS0_19identity_decomposerEEE10hipError_tT1_T2_T3_T4_jRjT5_jjP12ihipStream_tbEUlT_E_NS1_11comp_targetILNS1_3genE5ELNS1_11target_archE942ELNS1_3gpuE9ELNS1_3repE0EEENS1_44radix_sort_block_sort_config_static_selectorELNS0_4arch9wavefront6targetE0EEEvSF_,comdat
	.protected	_ZN7rocprim17ROCPRIM_400000_NS6detail17trampoline_kernelINS0_13kernel_configILj256ELj4ELj4294967295EEENS1_37radix_sort_block_sort_config_selectorIaNS0_10empty_typeEEEZNS1_21radix_sort_block_sortIS4_Lb1EPKaPaPS6_SC_NS0_19identity_decomposerEEE10hipError_tT1_T2_T3_T4_jRjT5_jjP12ihipStream_tbEUlT_E_NS1_11comp_targetILNS1_3genE5ELNS1_11target_archE942ELNS1_3gpuE9ELNS1_3repE0EEENS1_44radix_sort_block_sort_config_static_selectorELNS0_4arch9wavefront6targetE0EEEvSF_ ; -- Begin function _ZN7rocprim17ROCPRIM_400000_NS6detail17trampoline_kernelINS0_13kernel_configILj256ELj4ELj4294967295EEENS1_37radix_sort_block_sort_config_selectorIaNS0_10empty_typeEEEZNS1_21radix_sort_block_sortIS4_Lb1EPKaPaPS6_SC_NS0_19identity_decomposerEEE10hipError_tT1_T2_T3_T4_jRjT5_jjP12ihipStream_tbEUlT_E_NS1_11comp_targetILNS1_3genE5ELNS1_11target_archE942ELNS1_3gpuE9ELNS1_3repE0EEENS1_44radix_sort_block_sort_config_static_selectorELNS0_4arch9wavefront6targetE0EEEvSF_
	.globl	_ZN7rocprim17ROCPRIM_400000_NS6detail17trampoline_kernelINS0_13kernel_configILj256ELj4ELj4294967295EEENS1_37radix_sort_block_sort_config_selectorIaNS0_10empty_typeEEEZNS1_21radix_sort_block_sortIS4_Lb1EPKaPaPS6_SC_NS0_19identity_decomposerEEE10hipError_tT1_T2_T3_T4_jRjT5_jjP12ihipStream_tbEUlT_E_NS1_11comp_targetILNS1_3genE5ELNS1_11target_archE942ELNS1_3gpuE9ELNS1_3repE0EEENS1_44radix_sort_block_sort_config_static_selectorELNS0_4arch9wavefront6targetE0EEEvSF_
	.p2align	8
	.type	_ZN7rocprim17ROCPRIM_400000_NS6detail17trampoline_kernelINS0_13kernel_configILj256ELj4ELj4294967295EEENS1_37radix_sort_block_sort_config_selectorIaNS0_10empty_typeEEEZNS1_21radix_sort_block_sortIS4_Lb1EPKaPaPS6_SC_NS0_19identity_decomposerEEE10hipError_tT1_T2_T3_T4_jRjT5_jjP12ihipStream_tbEUlT_E_NS1_11comp_targetILNS1_3genE5ELNS1_11target_archE942ELNS1_3gpuE9ELNS1_3repE0EEENS1_44radix_sort_block_sort_config_static_selectorELNS0_4arch9wavefront6targetE0EEEvSF_,@function
_ZN7rocprim17ROCPRIM_400000_NS6detail17trampoline_kernelINS0_13kernel_configILj256ELj4ELj4294967295EEENS1_37radix_sort_block_sort_config_selectorIaNS0_10empty_typeEEEZNS1_21radix_sort_block_sortIS4_Lb1EPKaPaPS6_SC_NS0_19identity_decomposerEEE10hipError_tT1_T2_T3_T4_jRjT5_jjP12ihipStream_tbEUlT_E_NS1_11comp_targetILNS1_3genE5ELNS1_11target_archE942ELNS1_3gpuE9ELNS1_3repE0EEENS1_44radix_sort_block_sort_config_static_selectorELNS0_4arch9wavefront6targetE0EEEvSF_: ; @_ZN7rocprim17ROCPRIM_400000_NS6detail17trampoline_kernelINS0_13kernel_configILj256ELj4ELj4294967295EEENS1_37radix_sort_block_sort_config_selectorIaNS0_10empty_typeEEEZNS1_21radix_sort_block_sortIS4_Lb1EPKaPaPS6_SC_NS0_19identity_decomposerEEE10hipError_tT1_T2_T3_T4_jRjT5_jjP12ihipStream_tbEUlT_E_NS1_11comp_targetILNS1_3genE5ELNS1_11target_archE942ELNS1_3gpuE9ELNS1_3repE0EEENS1_44radix_sort_block_sort_config_static_selectorELNS0_4arch9wavefront6targetE0EEEvSF_
; %bb.0:
	.section	.rodata,"a",@progbits
	.p2align	6, 0x0
	.amdhsa_kernel _ZN7rocprim17ROCPRIM_400000_NS6detail17trampoline_kernelINS0_13kernel_configILj256ELj4ELj4294967295EEENS1_37radix_sort_block_sort_config_selectorIaNS0_10empty_typeEEEZNS1_21radix_sort_block_sortIS4_Lb1EPKaPaPS6_SC_NS0_19identity_decomposerEEE10hipError_tT1_T2_T3_T4_jRjT5_jjP12ihipStream_tbEUlT_E_NS1_11comp_targetILNS1_3genE5ELNS1_11target_archE942ELNS1_3gpuE9ELNS1_3repE0EEENS1_44radix_sort_block_sort_config_static_selectorELNS0_4arch9wavefront6targetE0EEEvSF_
		.amdhsa_group_segment_fixed_size 0
		.amdhsa_private_segment_fixed_size 0
		.amdhsa_kernarg_size 48
		.amdhsa_user_sgpr_count 2
		.amdhsa_user_sgpr_dispatch_ptr 0
		.amdhsa_user_sgpr_queue_ptr 0
		.amdhsa_user_sgpr_kernarg_segment_ptr 1
		.amdhsa_user_sgpr_dispatch_id 0
		.amdhsa_user_sgpr_kernarg_preload_length 0
		.amdhsa_user_sgpr_kernarg_preload_offset 0
		.amdhsa_user_sgpr_private_segment_size 0
		.amdhsa_wavefront_size32 1
		.amdhsa_uses_dynamic_stack 0
		.amdhsa_enable_private_segment 0
		.amdhsa_system_sgpr_workgroup_id_x 1
		.amdhsa_system_sgpr_workgroup_id_y 0
		.amdhsa_system_sgpr_workgroup_id_z 0
		.amdhsa_system_sgpr_workgroup_info 0
		.amdhsa_system_vgpr_workitem_id 0
		.amdhsa_next_free_vgpr 1
		.amdhsa_next_free_sgpr 1
		.amdhsa_named_barrier_count 0
		.amdhsa_reserve_vcc 0
		.amdhsa_float_round_mode_32 0
		.amdhsa_float_round_mode_16_64 0
		.amdhsa_float_denorm_mode_32 3
		.amdhsa_float_denorm_mode_16_64 3
		.amdhsa_fp16_overflow 0
		.amdhsa_memory_ordered 1
		.amdhsa_forward_progress 1
		.amdhsa_inst_pref_size 0
		.amdhsa_round_robin_scheduling 0
		.amdhsa_exception_fp_ieee_invalid_op 0
		.amdhsa_exception_fp_denorm_src 0
		.amdhsa_exception_fp_ieee_div_zero 0
		.amdhsa_exception_fp_ieee_overflow 0
		.amdhsa_exception_fp_ieee_underflow 0
		.amdhsa_exception_fp_ieee_inexact 0
		.amdhsa_exception_int_div_zero 0
	.end_amdhsa_kernel
	.section	.text._ZN7rocprim17ROCPRIM_400000_NS6detail17trampoline_kernelINS0_13kernel_configILj256ELj4ELj4294967295EEENS1_37radix_sort_block_sort_config_selectorIaNS0_10empty_typeEEEZNS1_21radix_sort_block_sortIS4_Lb1EPKaPaPS6_SC_NS0_19identity_decomposerEEE10hipError_tT1_T2_T3_T4_jRjT5_jjP12ihipStream_tbEUlT_E_NS1_11comp_targetILNS1_3genE5ELNS1_11target_archE942ELNS1_3gpuE9ELNS1_3repE0EEENS1_44radix_sort_block_sort_config_static_selectorELNS0_4arch9wavefront6targetE0EEEvSF_,"axG",@progbits,_ZN7rocprim17ROCPRIM_400000_NS6detail17trampoline_kernelINS0_13kernel_configILj256ELj4ELj4294967295EEENS1_37radix_sort_block_sort_config_selectorIaNS0_10empty_typeEEEZNS1_21radix_sort_block_sortIS4_Lb1EPKaPaPS6_SC_NS0_19identity_decomposerEEE10hipError_tT1_T2_T3_T4_jRjT5_jjP12ihipStream_tbEUlT_E_NS1_11comp_targetILNS1_3genE5ELNS1_11target_archE942ELNS1_3gpuE9ELNS1_3repE0EEENS1_44radix_sort_block_sort_config_static_selectorELNS0_4arch9wavefront6targetE0EEEvSF_,comdat
.Lfunc_end256:
	.size	_ZN7rocprim17ROCPRIM_400000_NS6detail17trampoline_kernelINS0_13kernel_configILj256ELj4ELj4294967295EEENS1_37radix_sort_block_sort_config_selectorIaNS0_10empty_typeEEEZNS1_21radix_sort_block_sortIS4_Lb1EPKaPaPS6_SC_NS0_19identity_decomposerEEE10hipError_tT1_T2_T3_T4_jRjT5_jjP12ihipStream_tbEUlT_E_NS1_11comp_targetILNS1_3genE5ELNS1_11target_archE942ELNS1_3gpuE9ELNS1_3repE0EEENS1_44radix_sort_block_sort_config_static_selectorELNS0_4arch9wavefront6targetE0EEEvSF_, .Lfunc_end256-_ZN7rocprim17ROCPRIM_400000_NS6detail17trampoline_kernelINS0_13kernel_configILj256ELj4ELj4294967295EEENS1_37radix_sort_block_sort_config_selectorIaNS0_10empty_typeEEEZNS1_21radix_sort_block_sortIS4_Lb1EPKaPaPS6_SC_NS0_19identity_decomposerEEE10hipError_tT1_T2_T3_T4_jRjT5_jjP12ihipStream_tbEUlT_E_NS1_11comp_targetILNS1_3genE5ELNS1_11target_archE942ELNS1_3gpuE9ELNS1_3repE0EEENS1_44radix_sort_block_sort_config_static_selectorELNS0_4arch9wavefront6targetE0EEEvSF_
                                        ; -- End function
	.set _ZN7rocprim17ROCPRIM_400000_NS6detail17trampoline_kernelINS0_13kernel_configILj256ELj4ELj4294967295EEENS1_37radix_sort_block_sort_config_selectorIaNS0_10empty_typeEEEZNS1_21radix_sort_block_sortIS4_Lb1EPKaPaPS6_SC_NS0_19identity_decomposerEEE10hipError_tT1_T2_T3_T4_jRjT5_jjP12ihipStream_tbEUlT_E_NS1_11comp_targetILNS1_3genE5ELNS1_11target_archE942ELNS1_3gpuE9ELNS1_3repE0EEENS1_44radix_sort_block_sort_config_static_selectorELNS0_4arch9wavefront6targetE0EEEvSF_.num_vgpr, 0
	.set _ZN7rocprim17ROCPRIM_400000_NS6detail17trampoline_kernelINS0_13kernel_configILj256ELj4ELj4294967295EEENS1_37radix_sort_block_sort_config_selectorIaNS0_10empty_typeEEEZNS1_21radix_sort_block_sortIS4_Lb1EPKaPaPS6_SC_NS0_19identity_decomposerEEE10hipError_tT1_T2_T3_T4_jRjT5_jjP12ihipStream_tbEUlT_E_NS1_11comp_targetILNS1_3genE5ELNS1_11target_archE942ELNS1_3gpuE9ELNS1_3repE0EEENS1_44radix_sort_block_sort_config_static_selectorELNS0_4arch9wavefront6targetE0EEEvSF_.num_agpr, 0
	.set _ZN7rocprim17ROCPRIM_400000_NS6detail17trampoline_kernelINS0_13kernel_configILj256ELj4ELj4294967295EEENS1_37radix_sort_block_sort_config_selectorIaNS0_10empty_typeEEEZNS1_21radix_sort_block_sortIS4_Lb1EPKaPaPS6_SC_NS0_19identity_decomposerEEE10hipError_tT1_T2_T3_T4_jRjT5_jjP12ihipStream_tbEUlT_E_NS1_11comp_targetILNS1_3genE5ELNS1_11target_archE942ELNS1_3gpuE9ELNS1_3repE0EEENS1_44radix_sort_block_sort_config_static_selectorELNS0_4arch9wavefront6targetE0EEEvSF_.numbered_sgpr, 0
	.set _ZN7rocprim17ROCPRIM_400000_NS6detail17trampoline_kernelINS0_13kernel_configILj256ELj4ELj4294967295EEENS1_37radix_sort_block_sort_config_selectorIaNS0_10empty_typeEEEZNS1_21radix_sort_block_sortIS4_Lb1EPKaPaPS6_SC_NS0_19identity_decomposerEEE10hipError_tT1_T2_T3_T4_jRjT5_jjP12ihipStream_tbEUlT_E_NS1_11comp_targetILNS1_3genE5ELNS1_11target_archE942ELNS1_3gpuE9ELNS1_3repE0EEENS1_44radix_sort_block_sort_config_static_selectorELNS0_4arch9wavefront6targetE0EEEvSF_.num_named_barrier, 0
	.set _ZN7rocprim17ROCPRIM_400000_NS6detail17trampoline_kernelINS0_13kernel_configILj256ELj4ELj4294967295EEENS1_37radix_sort_block_sort_config_selectorIaNS0_10empty_typeEEEZNS1_21radix_sort_block_sortIS4_Lb1EPKaPaPS6_SC_NS0_19identity_decomposerEEE10hipError_tT1_T2_T3_T4_jRjT5_jjP12ihipStream_tbEUlT_E_NS1_11comp_targetILNS1_3genE5ELNS1_11target_archE942ELNS1_3gpuE9ELNS1_3repE0EEENS1_44radix_sort_block_sort_config_static_selectorELNS0_4arch9wavefront6targetE0EEEvSF_.private_seg_size, 0
	.set _ZN7rocprim17ROCPRIM_400000_NS6detail17trampoline_kernelINS0_13kernel_configILj256ELj4ELj4294967295EEENS1_37radix_sort_block_sort_config_selectorIaNS0_10empty_typeEEEZNS1_21radix_sort_block_sortIS4_Lb1EPKaPaPS6_SC_NS0_19identity_decomposerEEE10hipError_tT1_T2_T3_T4_jRjT5_jjP12ihipStream_tbEUlT_E_NS1_11comp_targetILNS1_3genE5ELNS1_11target_archE942ELNS1_3gpuE9ELNS1_3repE0EEENS1_44radix_sort_block_sort_config_static_selectorELNS0_4arch9wavefront6targetE0EEEvSF_.uses_vcc, 0
	.set _ZN7rocprim17ROCPRIM_400000_NS6detail17trampoline_kernelINS0_13kernel_configILj256ELj4ELj4294967295EEENS1_37radix_sort_block_sort_config_selectorIaNS0_10empty_typeEEEZNS1_21radix_sort_block_sortIS4_Lb1EPKaPaPS6_SC_NS0_19identity_decomposerEEE10hipError_tT1_T2_T3_T4_jRjT5_jjP12ihipStream_tbEUlT_E_NS1_11comp_targetILNS1_3genE5ELNS1_11target_archE942ELNS1_3gpuE9ELNS1_3repE0EEENS1_44radix_sort_block_sort_config_static_selectorELNS0_4arch9wavefront6targetE0EEEvSF_.uses_flat_scratch, 0
	.set _ZN7rocprim17ROCPRIM_400000_NS6detail17trampoline_kernelINS0_13kernel_configILj256ELj4ELj4294967295EEENS1_37radix_sort_block_sort_config_selectorIaNS0_10empty_typeEEEZNS1_21radix_sort_block_sortIS4_Lb1EPKaPaPS6_SC_NS0_19identity_decomposerEEE10hipError_tT1_T2_T3_T4_jRjT5_jjP12ihipStream_tbEUlT_E_NS1_11comp_targetILNS1_3genE5ELNS1_11target_archE942ELNS1_3gpuE9ELNS1_3repE0EEENS1_44radix_sort_block_sort_config_static_selectorELNS0_4arch9wavefront6targetE0EEEvSF_.has_dyn_sized_stack, 0
	.set _ZN7rocprim17ROCPRIM_400000_NS6detail17trampoline_kernelINS0_13kernel_configILj256ELj4ELj4294967295EEENS1_37radix_sort_block_sort_config_selectorIaNS0_10empty_typeEEEZNS1_21radix_sort_block_sortIS4_Lb1EPKaPaPS6_SC_NS0_19identity_decomposerEEE10hipError_tT1_T2_T3_T4_jRjT5_jjP12ihipStream_tbEUlT_E_NS1_11comp_targetILNS1_3genE5ELNS1_11target_archE942ELNS1_3gpuE9ELNS1_3repE0EEENS1_44radix_sort_block_sort_config_static_selectorELNS0_4arch9wavefront6targetE0EEEvSF_.has_recursion, 0
	.set _ZN7rocprim17ROCPRIM_400000_NS6detail17trampoline_kernelINS0_13kernel_configILj256ELj4ELj4294967295EEENS1_37radix_sort_block_sort_config_selectorIaNS0_10empty_typeEEEZNS1_21radix_sort_block_sortIS4_Lb1EPKaPaPS6_SC_NS0_19identity_decomposerEEE10hipError_tT1_T2_T3_T4_jRjT5_jjP12ihipStream_tbEUlT_E_NS1_11comp_targetILNS1_3genE5ELNS1_11target_archE942ELNS1_3gpuE9ELNS1_3repE0EEENS1_44radix_sort_block_sort_config_static_selectorELNS0_4arch9wavefront6targetE0EEEvSF_.has_indirect_call, 0
	.section	.AMDGPU.csdata,"",@progbits
; Kernel info:
; codeLenInByte = 0
; TotalNumSgprs: 0
; NumVgprs: 0
; ScratchSize: 0
; MemoryBound: 0
; FloatMode: 240
; IeeeMode: 1
; LDSByteSize: 0 bytes/workgroup (compile time only)
; SGPRBlocks: 0
; VGPRBlocks: 0
; NumSGPRsForWavesPerEU: 1
; NumVGPRsForWavesPerEU: 1
; NamedBarCnt: 0
; Occupancy: 16
; WaveLimiterHint : 0
; COMPUTE_PGM_RSRC2:SCRATCH_EN: 0
; COMPUTE_PGM_RSRC2:USER_SGPR: 2
; COMPUTE_PGM_RSRC2:TRAP_HANDLER: 0
; COMPUTE_PGM_RSRC2:TGID_X_EN: 1
; COMPUTE_PGM_RSRC2:TGID_Y_EN: 0
; COMPUTE_PGM_RSRC2:TGID_Z_EN: 0
; COMPUTE_PGM_RSRC2:TIDIG_COMP_CNT: 0
	.section	.text._ZN7rocprim17ROCPRIM_400000_NS6detail17trampoline_kernelINS0_13kernel_configILj256ELj4ELj4294967295EEENS1_37radix_sort_block_sort_config_selectorIaNS0_10empty_typeEEEZNS1_21radix_sort_block_sortIS4_Lb1EPKaPaPS6_SC_NS0_19identity_decomposerEEE10hipError_tT1_T2_T3_T4_jRjT5_jjP12ihipStream_tbEUlT_E_NS1_11comp_targetILNS1_3genE4ELNS1_11target_archE910ELNS1_3gpuE8ELNS1_3repE0EEENS1_44radix_sort_block_sort_config_static_selectorELNS0_4arch9wavefront6targetE0EEEvSF_,"axG",@progbits,_ZN7rocprim17ROCPRIM_400000_NS6detail17trampoline_kernelINS0_13kernel_configILj256ELj4ELj4294967295EEENS1_37radix_sort_block_sort_config_selectorIaNS0_10empty_typeEEEZNS1_21radix_sort_block_sortIS4_Lb1EPKaPaPS6_SC_NS0_19identity_decomposerEEE10hipError_tT1_T2_T3_T4_jRjT5_jjP12ihipStream_tbEUlT_E_NS1_11comp_targetILNS1_3genE4ELNS1_11target_archE910ELNS1_3gpuE8ELNS1_3repE0EEENS1_44radix_sort_block_sort_config_static_selectorELNS0_4arch9wavefront6targetE0EEEvSF_,comdat
	.protected	_ZN7rocprim17ROCPRIM_400000_NS6detail17trampoline_kernelINS0_13kernel_configILj256ELj4ELj4294967295EEENS1_37radix_sort_block_sort_config_selectorIaNS0_10empty_typeEEEZNS1_21radix_sort_block_sortIS4_Lb1EPKaPaPS6_SC_NS0_19identity_decomposerEEE10hipError_tT1_T2_T3_T4_jRjT5_jjP12ihipStream_tbEUlT_E_NS1_11comp_targetILNS1_3genE4ELNS1_11target_archE910ELNS1_3gpuE8ELNS1_3repE0EEENS1_44radix_sort_block_sort_config_static_selectorELNS0_4arch9wavefront6targetE0EEEvSF_ ; -- Begin function _ZN7rocprim17ROCPRIM_400000_NS6detail17trampoline_kernelINS0_13kernel_configILj256ELj4ELj4294967295EEENS1_37radix_sort_block_sort_config_selectorIaNS0_10empty_typeEEEZNS1_21radix_sort_block_sortIS4_Lb1EPKaPaPS6_SC_NS0_19identity_decomposerEEE10hipError_tT1_T2_T3_T4_jRjT5_jjP12ihipStream_tbEUlT_E_NS1_11comp_targetILNS1_3genE4ELNS1_11target_archE910ELNS1_3gpuE8ELNS1_3repE0EEENS1_44radix_sort_block_sort_config_static_selectorELNS0_4arch9wavefront6targetE0EEEvSF_
	.globl	_ZN7rocprim17ROCPRIM_400000_NS6detail17trampoline_kernelINS0_13kernel_configILj256ELj4ELj4294967295EEENS1_37radix_sort_block_sort_config_selectorIaNS0_10empty_typeEEEZNS1_21radix_sort_block_sortIS4_Lb1EPKaPaPS6_SC_NS0_19identity_decomposerEEE10hipError_tT1_T2_T3_T4_jRjT5_jjP12ihipStream_tbEUlT_E_NS1_11comp_targetILNS1_3genE4ELNS1_11target_archE910ELNS1_3gpuE8ELNS1_3repE0EEENS1_44radix_sort_block_sort_config_static_selectorELNS0_4arch9wavefront6targetE0EEEvSF_
	.p2align	8
	.type	_ZN7rocprim17ROCPRIM_400000_NS6detail17trampoline_kernelINS0_13kernel_configILj256ELj4ELj4294967295EEENS1_37radix_sort_block_sort_config_selectorIaNS0_10empty_typeEEEZNS1_21radix_sort_block_sortIS4_Lb1EPKaPaPS6_SC_NS0_19identity_decomposerEEE10hipError_tT1_T2_T3_T4_jRjT5_jjP12ihipStream_tbEUlT_E_NS1_11comp_targetILNS1_3genE4ELNS1_11target_archE910ELNS1_3gpuE8ELNS1_3repE0EEENS1_44radix_sort_block_sort_config_static_selectorELNS0_4arch9wavefront6targetE0EEEvSF_,@function
_ZN7rocprim17ROCPRIM_400000_NS6detail17trampoline_kernelINS0_13kernel_configILj256ELj4ELj4294967295EEENS1_37radix_sort_block_sort_config_selectorIaNS0_10empty_typeEEEZNS1_21radix_sort_block_sortIS4_Lb1EPKaPaPS6_SC_NS0_19identity_decomposerEEE10hipError_tT1_T2_T3_T4_jRjT5_jjP12ihipStream_tbEUlT_E_NS1_11comp_targetILNS1_3genE4ELNS1_11target_archE910ELNS1_3gpuE8ELNS1_3repE0EEENS1_44radix_sort_block_sort_config_static_selectorELNS0_4arch9wavefront6targetE0EEEvSF_: ; @_ZN7rocprim17ROCPRIM_400000_NS6detail17trampoline_kernelINS0_13kernel_configILj256ELj4ELj4294967295EEENS1_37radix_sort_block_sort_config_selectorIaNS0_10empty_typeEEEZNS1_21radix_sort_block_sortIS4_Lb1EPKaPaPS6_SC_NS0_19identity_decomposerEEE10hipError_tT1_T2_T3_T4_jRjT5_jjP12ihipStream_tbEUlT_E_NS1_11comp_targetILNS1_3genE4ELNS1_11target_archE910ELNS1_3gpuE8ELNS1_3repE0EEENS1_44radix_sort_block_sort_config_static_selectorELNS0_4arch9wavefront6targetE0EEEvSF_
; %bb.0:
	.section	.rodata,"a",@progbits
	.p2align	6, 0x0
	.amdhsa_kernel _ZN7rocprim17ROCPRIM_400000_NS6detail17trampoline_kernelINS0_13kernel_configILj256ELj4ELj4294967295EEENS1_37radix_sort_block_sort_config_selectorIaNS0_10empty_typeEEEZNS1_21radix_sort_block_sortIS4_Lb1EPKaPaPS6_SC_NS0_19identity_decomposerEEE10hipError_tT1_T2_T3_T4_jRjT5_jjP12ihipStream_tbEUlT_E_NS1_11comp_targetILNS1_3genE4ELNS1_11target_archE910ELNS1_3gpuE8ELNS1_3repE0EEENS1_44radix_sort_block_sort_config_static_selectorELNS0_4arch9wavefront6targetE0EEEvSF_
		.amdhsa_group_segment_fixed_size 0
		.amdhsa_private_segment_fixed_size 0
		.amdhsa_kernarg_size 48
		.amdhsa_user_sgpr_count 2
		.amdhsa_user_sgpr_dispatch_ptr 0
		.amdhsa_user_sgpr_queue_ptr 0
		.amdhsa_user_sgpr_kernarg_segment_ptr 1
		.amdhsa_user_sgpr_dispatch_id 0
		.amdhsa_user_sgpr_kernarg_preload_length 0
		.amdhsa_user_sgpr_kernarg_preload_offset 0
		.amdhsa_user_sgpr_private_segment_size 0
		.amdhsa_wavefront_size32 1
		.amdhsa_uses_dynamic_stack 0
		.amdhsa_enable_private_segment 0
		.amdhsa_system_sgpr_workgroup_id_x 1
		.amdhsa_system_sgpr_workgroup_id_y 0
		.amdhsa_system_sgpr_workgroup_id_z 0
		.amdhsa_system_sgpr_workgroup_info 0
		.amdhsa_system_vgpr_workitem_id 0
		.amdhsa_next_free_vgpr 1
		.amdhsa_next_free_sgpr 1
		.amdhsa_named_barrier_count 0
		.amdhsa_reserve_vcc 0
		.amdhsa_float_round_mode_32 0
		.amdhsa_float_round_mode_16_64 0
		.amdhsa_float_denorm_mode_32 3
		.amdhsa_float_denorm_mode_16_64 3
		.amdhsa_fp16_overflow 0
		.amdhsa_memory_ordered 1
		.amdhsa_forward_progress 1
		.amdhsa_inst_pref_size 0
		.amdhsa_round_robin_scheduling 0
		.amdhsa_exception_fp_ieee_invalid_op 0
		.amdhsa_exception_fp_denorm_src 0
		.amdhsa_exception_fp_ieee_div_zero 0
		.amdhsa_exception_fp_ieee_overflow 0
		.amdhsa_exception_fp_ieee_underflow 0
		.amdhsa_exception_fp_ieee_inexact 0
		.amdhsa_exception_int_div_zero 0
	.end_amdhsa_kernel
	.section	.text._ZN7rocprim17ROCPRIM_400000_NS6detail17trampoline_kernelINS0_13kernel_configILj256ELj4ELj4294967295EEENS1_37radix_sort_block_sort_config_selectorIaNS0_10empty_typeEEEZNS1_21radix_sort_block_sortIS4_Lb1EPKaPaPS6_SC_NS0_19identity_decomposerEEE10hipError_tT1_T2_T3_T4_jRjT5_jjP12ihipStream_tbEUlT_E_NS1_11comp_targetILNS1_3genE4ELNS1_11target_archE910ELNS1_3gpuE8ELNS1_3repE0EEENS1_44radix_sort_block_sort_config_static_selectorELNS0_4arch9wavefront6targetE0EEEvSF_,"axG",@progbits,_ZN7rocprim17ROCPRIM_400000_NS6detail17trampoline_kernelINS0_13kernel_configILj256ELj4ELj4294967295EEENS1_37radix_sort_block_sort_config_selectorIaNS0_10empty_typeEEEZNS1_21radix_sort_block_sortIS4_Lb1EPKaPaPS6_SC_NS0_19identity_decomposerEEE10hipError_tT1_T2_T3_T4_jRjT5_jjP12ihipStream_tbEUlT_E_NS1_11comp_targetILNS1_3genE4ELNS1_11target_archE910ELNS1_3gpuE8ELNS1_3repE0EEENS1_44radix_sort_block_sort_config_static_selectorELNS0_4arch9wavefront6targetE0EEEvSF_,comdat
.Lfunc_end257:
	.size	_ZN7rocprim17ROCPRIM_400000_NS6detail17trampoline_kernelINS0_13kernel_configILj256ELj4ELj4294967295EEENS1_37radix_sort_block_sort_config_selectorIaNS0_10empty_typeEEEZNS1_21radix_sort_block_sortIS4_Lb1EPKaPaPS6_SC_NS0_19identity_decomposerEEE10hipError_tT1_T2_T3_T4_jRjT5_jjP12ihipStream_tbEUlT_E_NS1_11comp_targetILNS1_3genE4ELNS1_11target_archE910ELNS1_3gpuE8ELNS1_3repE0EEENS1_44radix_sort_block_sort_config_static_selectorELNS0_4arch9wavefront6targetE0EEEvSF_, .Lfunc_end257-_ZN7rocprim17ROCPRIM_400000_NS6detail17trampoline_kernelINS0_13kernel_configILj256ELj4ELj4294967295EEENS1_37radix_sort_block_sort_config_selectorIaNS0_10empty_typeEEEZNS1_21radix_sort_block_sortIS4_Lb1EPKaPaPS6_SC_NS0_19identity_decomposerEEE10hipError_tT1_T2_T3_T4_jRjT5_jjP12ihipStream_tbEUlT_E_NS1_11comp_targetILNS1_3genE4ELNS1_11target_archE910ELNS1_3gpuE8ELNS1_3repE0EEENS1_44radix_sort_block_sort_config_static_selectorELNS0_4arch9wavefront6targetE0EEEvSF_
                                        ; -- End function
	.set _ZN7rocprim17ROCPRIM_400000_NS6detail17trampoline_kernelINS0_13kernel_configILj256ELj4ELj4294967295EEENS1_37radix_sort_block_sort_config_selectorIaNS0_10empty_typeEEEZNS1_21radix_sort_block_sortIS4_Lb1EPKaPaPS6_SC_NS0_19identity_decomposerEEE10hipError_tT1_T2_T3_T4_jRjT5_jjP12ihipStream_tbEUlT_E_NS1_11comp_targetILNS1_3genE4ELNS1_11target_archE910ELNS1_3gpuE8ELNS1_3repE0EEENS1_44radix_sort_block_sort_config_static_selectorELNS0_4arch9wavefront6targetE0EEEvSF_.num_vgpr, 0
	.set _ZN7rocprim17ROCPRIM_400000_NS6detail17trampoline_kernelINS0_13kernel_configILj256ELj4ELj4294967295EEENS1_37radix_sort_block_sort_config_selectorIaNS0_10empty_typeEEEZNS1_21radix_sort_block_sortIS4_Lb1EPKaPaPS6_SC_NS0_19identity_decomposerEEE10hipError_tT1_T2_T3_T4_jRjT5_jjP12ihipStream_tbEUlT_E_NS1_11comp_targetILNS1_3genE4ELNS1_11target_archE910ELNS1_3gpuE8ELNS1_3repE0EEENS1_44radix_sort_block_sort_config_static_selectorELNS0_4arch9wavefront6targetE0EEEvSF_.num_agpr, 0
	.set _ZN7rocprim17ROCPRIM_400000_NS6detail17trampoline_kernelINS0_13kernel_configILj256ELj4ELj4294967295EEENS1_37radix_sort_block_sort_config_selectorIaNS0_10empty_typeEEEZNS1_21radix_sort_block_sortIS4_Lb1EPKaPaPS6_SC_NS0_19identity_decomposerEEE10hipError_tT1_T2_T3_T4_jRjT5_jjP12ihipStream_tbEUlT_E_NS1_11comp_targetILNS1_3genE4ELNS1_11target_archE910ELNS1_3gpuE8ELNS1_3repE0EEENS1_44radix_sort_block_sort_config_static_selectorELNS0_4arch9wavefront6targetE0EEEvSF_.numbered_sgpr, 0
	.set _ZN7rocprim17ROCPRIM_400000_NS6detail17trampoline_kernelINS0_13kernel_configILj256ELj4ELj4294967295EEENS1_37radix_sort_block_sort_config_selectorIaNS0_10empty_typeEEEZNS1_21radix_sort_block_sortIS4_Lb1EPKaPaPS6_SC_NS0_19identity_decomposerEEE10hipError_tT1_T2_T3_T4_jRjT5_jjP12ihipStream_tbEUlT_E_NS1_11comp_targetILNS1_3genE4ELNS1_11target_archE910ELNS1_3gpuE8ELNS1_3repE0EEENS1_44radix_sort_block_sort_config_static_selectorELNS0_4arch9wavefront6targetE0EEEvSF_.num_named_barrier, 0
	.set _ZN7rocprim17ROCPRIM_400000_NS6detail17trampoline_kernelINS0_13kernel_configILj256ELj4ELj4294967295EEENS1_37radix_sort_block_sort_config_selectorIaNS0_10empty_typeEEEZNS1_21radix_sort_block_sortIS4_Lb1EPKaPaPS6_SC_NS0_19identity_decomposerEEE10hipError_tT1_T2_T3_T4_jRjT5_jjP12ihipStream_tbEUlT_E_NS1_11comp_targetILNS1_3genE4ELNS1_11target_archE910ELNS1_3gpuE8ELNS1_3repE0EEENS1_44radix_sort_block_sort_config_static_selectorELNS0_4arch9wavefront6targetE0EEEvSF_.private_seg_size, 0
	.set _ZN7rocprim17ROCPRIM_400000_NS6detail17trampoline_kernelINS0_13kernel_configILj256ELj4ELj4294967295EEENS1_37radix_sort_block_sort_config_selectorIaNS0_10empty_typeEEEZNS1_21radix_sort_block_sortIS4_Lb1EPKaPaPS6_SC_NS0_19identity_decomposerEEE10hipError_tT1_T2_T3_T4_jRjT5_jjP12ihipStream_tbEUlT_E_NS1_11comp_targetILNS1_3genE4ELNS1_11target_archE910ELNS1_3gpuE8ELNS1_3repE0EEENS1_44radix_sort_block_sort_config_static_selectorELNS0_4arch9wavefront6targetE0EEEvSF_.uses_vcc, 0
	.set _ZN7rocprim17ROCPRIM_400000_NS6detail17trampoline_kernelINS0_13kernel_configILj256ELj4ELj4294967295EEENS1_37radix_sort_block_sort_config_selectorIaNS0_10empty_typeEEEZNS1_21radix_sort_block_sortIS4_Lb1EPKaPaPS6_SC_NS0_19identity_decomposerEEE10hipError_tT1_T2_T3_T4_jRjT5_jjP12ihipStream_tbEUlT_E_NS1_11comp_targetILNS1_3genE4ELNS1_11target_archE910ELNS1_3gpuE8ELNS1_3repE0EEENS1_44radix_sort_block_sort_config_static_selectorELNS0_4arch9wavefront6targetE0EEEvSF_.uses_flat_scratch, 0
	.set _ZN7rocprim17ROCPRIM_400000_NS6detail17trampoline_kernelINS0_13kernel_configILj256ELj4ELj4294967295EEENS1_37radix_sort_block_sort_config_selectorIaNS0_10empty_typeEEEZNS1_21radix_sort_block_sortIS4_Lb1EPKaPaPS6_SC_NS0_19identity_decomposerEEE10hipError_tT1_T2_T3_T4_jRjT5_jjP12ihipStream_tbEUlT_E_NS1_11comp_targetILNS1_3genE4ELNS1_11target_archE910ELNS1_3gpuE8ELNS1_3repE0EEENS1_44radix_sort_block_sort_config_static_selectorELNS0_4arch9wavefront6targetE0EEEvSF_.has_dyn_sized_stack, 0
	.set _ZN7rocprim17ROCPRIM_400000_NS6detail17trampoline_kernelINS0_13kernel_configILj256ELj4ELj4294967295EEENS1_37radix_sort_block_sort_config_selectorIaNS0_10empty_typeEEEZNS1_21radix_sort_block_sortIS4_Lb1EPKaPaPS6_SC_NS0_19identity_decomposerEEE10hipError_tT1_T2_T3_T4_jRjT5_jjP12ihipStream_tbEUlT_E_NS1_11comp_targetILNS1_3genE4ELNS1_11target_archE910ELNS1_3gpuE8ELNS1_3repE0EEENS1_44radix_sort_block_sort_config_static_selectorELNS0_4arch9wavefront6targetE0EEEvSF_.has_recursion, 0
	.set _ZN7rocprim17ROCPRIM_400000_NS6detail17trampoline_kernelINS0_13kernel_configILj256ELj4ELj4294967295EEENS1_37radix_sort_block_sort_config_selectorIaNS0_10empty_typeEEEZNS1_21radix_sort_block_sortIS4_Lb1EPKaPaPS6_SC_NS0_19identity_decomposerEEE10hipError_tT1_T2_T3_T4_jRjT5_jjP12ihipStream_tbEUlT_E_NS1_11comp_targetILNS1_3genE4ELNS1_11target_archE910ELNS1_3gpuE8ELNS1_3repE0EEENS1_44radix_sort_block_sort_config_static_selectorELNS0_4arch9wavefront6targetE0EEEvSF_.has_indirect_call, 0
	.section	.AMDGPU.csdata,"",@progbits
; Kernel info:
; codeLenInByte = 0
; TotalNumSgprs: 0
; NumVgprs: 0
; ScratchSize: 0
; MemoryBound: 0
; FloatMode: 240
; IeeeMode: 1
; LDSByteSize: 0 bytes/workgroup (compile time only)
; SGPRBlocks: 0
; VGPRBlocks: 0
; NumSGPRsForWavesPerEU: 1
; NumVGPRsForWavesPerEU: 1
; NamedBarCnt: 0
; Occupancy: 16
; WaveLimiterHint : 0
; COMPUTE_PGM_RSRC2:SCRATCH_EN: 0
; COMPUTE_PGM_RSRC2:USER_SGPR: 2
; COMPUTE_PGM_RSRC2:TRAP_HANDLER: 0
; COMPUTE_PGM_RSRC2:TGID_X_EN: 1
; COMPUTE_PGM_RSRC2:TGID_Y_EN: 0
; COMPUTE_PGM_RSRC2:TGID_Z_EN: 0
; COMPUTE_PGM_RSRC2:TIDIG_COMP_CNT: 0
	.section	.text._ZN7rocprim17ROCPRIM_400000_NS6detail17trampoline_kernelINS0_13kernel_configILj256ELj4ELj4294967295EEENS1_37radix_sort_block_sort_config_selectorIaNS0_10empty_typeEEEZNS1_21radix_sort_block_sortIS4_Lb1EPKaPaPS6_SC_NS0_19identity_decomposerEEE10hipError_tT1_T2_T3_T4_jRjT5_jjP12ihipStream_tbEUlT_E_NS1_11comp_targetILNS1_3genE3ELNS1_11target_archE908ELNS1_3gpuE7ELNS1_3repE0EEENS1_44radix_sort_block_sort_config_static_selectorELNS0_4arch9wavefront6targetE0EEEvSF_,"axG",@progbits,_ZN7rocprim17ROCPRIM_400000_NS6detail17trampoline_kernelINS0_13kernel_configILj256ELj4ELj4294967295EEENS1_37radix_sort_block_sort_config_selectorIaNS0_10empty_typeEEEZNS1_21radix_sort_block_sortIS4_Lb1EPKaPaPS6_SC_NS0_19identity_decomposerEEE10hipError_tT1_T2_T3_T4_jRjT5_jjP12ihipStream_tbEUlT_E_NS1_11comp_targetILNS1_3genE3ELNS1_11target_archE908ELNS1_3gpuE7ELNS1_3repE0EEENS1_44radix_sort_block_sort_config_static_selectorELNS0_4arch9wavefront6targetE0EEEvSF_,comdat
	.protected	_ZN7rocprim17ROCPRIM_400000_NS6detail17trampoline_kernelINS0_13kernel_configILj256ELj4ELj4294967295EEENS1_37radix_sort_block_sort_config_selectorIaNS0_10empty_typeEEEZNS1_21radix_sort_block_sortIS4_Lb1EPKaPaPS6_SC_NS0_19identity_decomposerEEE10hipError_tT1_T2_T3_T4_jRjT5_jjP12ihipStream_tbEUlT_E_NS1_11comp_targetILNS1_3genE3ELNS1_11target_archE908ELNS1_3gpuE7ELNS1_3repE0EEENS1_44radix_sort_block_sort_config_static_selectorELNS0_4arch9wavefront6targetE0EEEvSF_ ; -- Begin function _ZN7rocprim17ROCPRIM_400000_NS6detail17trampoline_kernelINS0_13kernel_configILj256ELj4ELj4294967295EEENS1_37radix_sort_block_sort_config_selectorIaNS0_10empty_typeEEEZNS1_21radix_sort_block_sortIS4_Lb1EPKaPaPS6_SC_NS0_19identity_decomposerEEE10hipError_tT1_T2_T3_T4_jRjT5_jjP12ihipStream_tbEUlT_E_NS1_11comp_targetILNS1_3genE3ELNS1_11target_archE908ELNS1_3gpuE7ELNS1_3repE0EEENS1_44radix_sort_block_sort_config_static_selectorELNS0_4arch9wavefront6targetE0EEEvSF_
	.globl	_ZN7rocprim17ROCPRIM_400000_NS6detail17trampoline_kernelINS0_13kernel_configILj256ELj4ELj4294967295EEENS1_37radix_sort_block_sort_config_selectorIaNS0_10empty_typeEEEZNS1_21radix_sort_block_sortIS4_Lb1EPKaPaPS6_SC_NS0_19identity_decomposerEEE10hipError_tT1_T2_T3_T4_jRjT5_jjP12ihipStream_tbEUlT_E_NS1_11comp_targetILNS1_3genE3ELNS1_11target_archE908ELNS1_3gpuE7ELNS1_3repE0EEENS1_44radix_sort_block_sort_config_static_selectorELNS0_4arch9wavefront6targetE0EEEvSF_
	.p2align	8
	.type	_ZN7rocprim17ROCPRIM_400000_NS6detail17trampoline_kernelINS0_13kernel_configILj256ELj4ELj4294967295EEENS1_37radix_sort_block_sort_config_selectorIaNS0_10empty_typeEEEZNS1_21radix_sort_block_sortIS4_Lb1EPKaPaPS6_SC_NS0_19identity_decomposerEEE10hipError_tT1_T2_T3_T4_jRjT5_jjP12ihipStream_tbEUlT_E_NS1_11comp_targetILNS1_3genE3ELNS1_11target_archE908ELNS1_3gpuE7ELNS1_3repE0EEENS1_44radix_sort_block_sort_config_static_selectorELNS0_4arch9wavefront6targetE0EEEvSF_,@function
_ZN7rocprim17ROCPRIM_400000_NS6detail17trampoline_kernelINS0_13kernel_configILj256ELj4ELj4294967295EEENS1_37radix_sort_block_sort_config_selectorIaNS0_10empty_typeEEEZNS1_21radix_sort_block_sortIS4_Lb1EPKaPaPS6_SC_NS0_19identity_decomposerEEE10hipError_tT1_T2_T3_T4_jRjT5_jjP12ihipStream_tbEUlT_E_NS1_11comp_targetILNS1_3genE3ELNS1_11target_archE908ELNS1_3gpuE7ELNS1_3repE0EEENS1_44radix_sort_block_sort_config_static_selectorELNS0_4arch9wavefront6targetE0EEEvSF_: ; @_ZN7rocprim17ROCPRIM_400000_NS6detail17trampoline_kernelINS0_13kernel_configILj256ELj4ELj4294967295EEENS1_37radix_sort_block_sort_config_selectorIaNS0_10empty_typeEEEZNS1_21radix_sort_block_sortIS4_Lb1EPKaPaPS6_SC_NS0_19identity_decomposerEEE10hipError_tT1_T2_T3_T4_jRjT5_jjP12ihipStream_tbEUlT_E_NS1_11comp_targetILNS1_3genE3ELNS1_11target_archE908ELNS1_3gpuE7ELNS1_3repE0EEENS1_44radix_sort_block_sort_config_static_selectorELNS0_4arch9wavefront6targetE0EEEvSF_
; %bb.0:
	.section	.rodata,"a",@progbits
	.p2align	6, 0x0
	.amdhsa_kernel _ZN7rocprim17ROCPRIM_400000_NS6detail17trampoline_kernelINS0_13kernel_configILj256ELj4ELj4294967295EEENS1_37radix_sort_block_sort_config_selectorIaNS0_10empty_typeEEEZNS1_21radix_sort_block_sortIS4_Lb1EPKaPaPS6_SC_NS0_19identity_decomposerEEE10hipError_tT1_T2_T3_T4_jRjT5_jjP12ihipStream_tbEUlT_E_NS1_11comp_targetILNS1_3genE3ELNS1_11target_archE908ELNS1_3gpuE7ELNS1_3repE0EEENS1_44radix_sort_block_sort_config_static_selectorELNS0_4arch9wavefront6targetE0EEEvSF_
		.amdhsa_group_segment_fixed_size 0
		.amdhsa_private_segment_fixed_size 0
		.amdhsa_kernarg_size 48
		.amdhsa_user_sgpr_count 2
		.amdhsa_user_sgpr_dispatch_ptr 0
		.amdhsa_user_sgpr_queue_ptr 0
		.amdhsa_user_sgpr_kernarg_segment_ptr 1
		.amdhsa_user_sgpr_dispatch_id 0
		.amdhsa_user_sgpr_kernarg_preload_length 0
		.amdhsa_user_sgpr_kernarg_preload_offset 0
		.amdhsa_user_sgpr_private_segment_size 0
		.amdhsa_wavefront_size32 1
		.amdhsa_uses_dynamic_stack 0
		.amdhsa_enable_private_segment 0
		.amdhsa_system_sgpr_workgroup_id_x 1
		.amdhsa_system_sgpr_workgroup_id_y 0
		.amdhsa_system_sgpr_workgroup_id_z 0
		.amdhsa_system_sgpr_workgroup_info 0
		.amdhsa_system_vgpr_workitem_id 0
		.amdhsa_next_free_vgpr 1
		.amdhsa_next_free_sgpr 1
		.amdhsa_named_barrier_count 0
		.amdhsa_reserve_vcc 0
		.amdhsa_float_round_mode_32 0
		.amdhsa_float_round_mode_16_64 0
		.amdhsa_float_denorm_mode_32 3
		.amdhsa_float_denorm_mode_16_64 3
		.amdhsa_fp16_overflow 0
		.amdhsa_memory_ordered 1
		.amdhsa_forward_progress 1
		.amdhsa_inst_pref_size 0
		.amdhsa_round_robin_scheduling 0
		.amdhsa_exception_fp_ieee_invalid_op 0
		.amdhsa_exception_fp_denorm_src 0
		.amdhsa_exception_fp_ieee_div_zero 0
		.amdhsa_exception_fp_ieee_overflow 0
		.amdhsa_exception_fp_ieee_underflow 0
		.amdhsa_exception_fp_ieee_inexact 0
		.amdhsa_exception_int_div_zero 0
	.end_amdhsa_kernel
	.section	.text._ZN7rocprim17ROCPRIM_400000_NS6detail17trampoline_kernelINS0_13kernel_configILj256ELj4ELj4294967295EEENS1_37radix_sort_block_sort_config_selectorIaNS0_10empty_typeEEEZNS1_21radix_sort_block_sortIS4_Lb1EPKaPaPS6_SC_NS0_19identity_decomposerEEE10hipError_tT1_T2_T3_T4_jRjT5_jjP12ihipStream_tbEUlT_E_NS1_11comp_targetILNS1_3genE3ELNS1_11target_archE908ELNS1_3gpuE7ELNS1_3repE0EEENS1_44radix_sort_block_sort_config_static_selectorELNS0_4arch9wavefront6targetE0EEEvSF_,"axG",@progbits,_ZN7rocprim17ROCPRIM_400000_NS6detail17trampoline_kernelINS0_13kernel_configILj256ELj4ELj4294967295EEENS1_37radix_sort_block_sort_config_selectorIaNS0_10empty_typeEEEZNS1_21radix_sort_block_sortIS4_Lb1EPKaPaPS6_SC_NS0_19identity_decomposerEEE10hipError_tT1_T2_T3_T4_jRjT5_jjP12ihipStream_tbEUlT_E_NS1_11comp_targetILNS1_3genE3ELNS1_11target_archE908ELNS1_3gpuE7ELNS1_3repE0EEENS1_44radix_sort_block_sort_config_static_selectorELNS0_4arch9wavefront6targetE0EEEvSF_,comdat
.Lfunc_end258:
	.size	_ZN7rocprim17ROCPRIM_400000_NS6detail17trampoline_kernelINS0_13kernel_configILj256ELj4ELj4294967295EEENS1_37radix_sort_block_sort_config_selectorIaNS0_10empty_typeEEEZNS1_21radix_sort_block_sortIS4_Lb1EPKaPaPS6_SC_NS0_19identity_decomposerEEE10hipError_tT1_T2_T3_T4_jRjT5_jjP12ihipStream_tbEUlT_E_NS1_11comp_targetILNS1_3genE3ELNS1_11target_archE908ELNS1_3gpuE7ELNS1_3repE0EEENS1_44radix_sort_block_sort_config_static_selectorELNS0_4arch9wavefront6targetE0EEEvSF_, .Lfunc_end258-_ZN7rocprim17ROCPRIM_400000_NS6detail17trampoline_kernelINS0_13kernel_configILj256ELj4ELj4294967295EEENS1_37radix_sort_block_sort_config_selectorIaNS0_10empty_typeEEEZNS1_21radix_sort_block_sortIS4_Lb1EPKaPaPS6_SC_NS0_19identity_decomposerEEE10hipError_tT1_T2_T3_T4_jRjT5_jjP12ihipStream_tbEUlT_E_NS1_11comp_targetILNS1_3genE3ELNS1_11target_archE908ELNS1_3gpuE7ELNS1_3repE0EEENS1_44radix_sort_block_sort_config_static_selectorELNS0_4arch9wavefront6targetE0EEEvSF_
                                        ; -- End function
	.set _ZN7rocprim17ROCPRIM_400000_NS6detail17trampoline_kernelINS0_13kernel_configILj256ELj4ELj4294967295EEENS1_37radix_sort_block_sort_config_selectorIaNS0_10empty_typeEEEZNS1_21radix_sort_block_sortIS4_Lb1EPKaPaPS6_SC_NS0_19identity_decomposerEEE10hipError_tT1_T2_T3_T4_jRjT5_jjP12ihipStream_tbEUlT_E_NS1_11comp_targetILNS1_3genE3ELNS1_11target_archE908ELNS1_3gpuE7ELNS1_3repE0EEENS1_44radix_sort_block_sort_config_static_selectorELNS0_4arch9wavefront6targetE0EEEvSF_.num_vgpr, 0
	.set _ZN7rocprim17ROCPRIM_400000_NS6detail17trampoline_kernelINS0_13kernel_configILj256ELj4ELj4294967295EEENS1_37radix_sort_block_sort_config_selectorIaNS0_10empty_typeEEEZNS1_21radix_sort_block_sortIS4_Lb1EPKaPaPS6_SC_NS0_19identity_decomposerEEE10hipError_tT1_T2_T3_T4_jRjT5_jjP12ihipStream_tbEUlT_E_NS1_11comp_targetILNS1_3genE3ELNS1_11target_archE908ELNS1_3gpuE7ELNS1_3repE0EEENS1_44radix_sort_block_sort_config_static_selectorELNS0_4arch9wavefront6targetE0EEEvSF_.num_agpr, 0
	.set _ZN7rocprim17ROCPRIM_400000_NS6detail17trampoline_kernelINS0_13kernel_configILj256ELj4ELj4294967295EEENS1_37radix_sort_block_sort_config_selectorIaNS0_10empty_typeEEEZNS1_21radix_sort_block_sortIS4_Lb1EPKaPaPS6_SC_NS0_19identity_decomposerEEE10hipError_tT1_T2_T3_T4_jRjT5_jjP12ihipStream_tbEUlT_E_NS1_11comp_targetILNS1_3genE3ELNS1_11target_archE908ELNS1_3gpuE7ELNS1_3repE0EEENS1_44radix_sort_block_sort_config_static_selectorELNS0_4arch9wavefront6targetE0EEEvSF_.numbered_sgpr, 0
	.set _ZN7rocprim17ROCPRIM_400000_NS6detail17trampoline_kernelINS0_13kernel_configILj256ELj4ELj4294967295EEENS1_37radix_sort_block_sort_config_selectorIaNS0_10empty_typeEEEZNS1_21radix_sort_block_sortIS4_Lb1EPKaPaPS6_SC_NS0_19identity_decomposerEEE10hipError_tT1_T2_T3_T4_jRjT5_jjP12ihipStream_tbEUlT_E_NS1_11comp_targetILNS1_3genE3ELNS1_11target_archE908ELNS1_3gpuE7ELNS1_3repE0EEENS1_44radix_sort_block_sort_config_static_selectorELNS0_4arch9wavefront6targetE0EEEvSF_.num_named_barrier, 0
	.set _ZN7rocprim17ROCPRIM_400000_NS6detail17trampoline_kernelINS0_13kernel_configILj256ELj4ELj4294967295EEENS1_37radix_sort_block_sort_config_selectorIaNS0_10empty_typeEEEZNS1_21radix_sort_block_sortIS4_Lb1EPKaPaPS6_SC_NS0_19identity_decomposerEEE10hipError_tT1_T2_T3_T4_jRjT5_jjP12ihipStream_tbEUlT_E_NS1_11comp_targetILNS1_3genE3ELNS1_11target_archE908ELNS1_3gpuE7ELNS1_3repE0EEENS1_44radix_sort_block_sort_config_static_selectorELNS0_4arch9wavefront6targetE0EEEvSF_.private_seg_size, 0
	.set _ZN7rocprim17ROCPRIM_400000_NS6detail17trampoline_kernelINS0_13kernel_configILj256ELj4ELj4294967295EEENS1_37radix_sort_block_sort_config_selectorIaNS0_10empty_typeEEEZNS1_21radix_sort_block_sortIS4_Lb1EPKaPaPS6_SC_NS0_19identity_decomposerEEE10hipError_tT1_T2_T3_T4_jRjT5_jjP12ihipStream_tbEUlT_E_NS1_11comp_targetILNS1_3genE3ELNS1_11target_archE908ELNS1_3gpuE7ELNS1_3repE0EEENS1_44radix_sort_block_sort_config_static_selectorELNS0_4arch9wavefront6targetE0EEEvSF_.uses_vcc, 0
	.set _ZN7rocprim17ROCPRIM_400000_NS6detail17trampoline_kernelINS0_13kernel_configILj256ELj4ELj4294967295EEENS1_37radix_sort_block_sort_config_selectorIaNS0_10empty_typeEEEZNS1_21radix_sort_block_sortIS4_Lb1EPKaPaPS6_SC_NS0_19identity_decomposerEEE10hipError_tT1_T2_T3_T4_jRjT5_jjP12ihipStream_tbEUlT_E_NS1_11comp_targetILNS1_3genE3ELNS1_11target_archE908ELNS1_3gpuE7ELNS1_3repE0EEENS1_44radix_sort_block_sort_config_static_selectorELNS0_4arch9wavefront6targetE0EEEvSF_.uses_flat_scratch, 0
	.set _ZN7rocprim17ROCPRIM_400000_NS6detail17trampoline_kernelINS0_13kernel_configILj256ELj4ELj4294967295EEENS1_37radix_sort_block_sort_config_selectorIaNS0_10empty_typeEEEZNS1_21radix_sort_block_sortIS4_Lb1EPKaPaPS6_SC_NS0_19identity_decomposerEEE10hipError_tT1_T2_T3_T4_jRjT5_jjP12ihipStream_tbEUlT_E_NS1_11comp_targetILNS1_3genE3ELNS1_11target_archE908ELNS1_3gpuE7ELNS1_3repE0EEENS1_44radix_sort_block_sort_config_static_selectorELNS0_4arch9wavefront6targetE0EEEvSF_.has_dyn_sized_stack, 0
	.set _ZN7rocprim17ROCPRIM_400000_NS6detail17trampoline_kernelINS0_13kernel_configILj256ELj4ELj4294967295EEENS1_37radix_sort_block_sort_config_selectorIaNS0_10empty_typeEEEZNS1_21radix_sort_block_sortIS4_Lb1EPKaPaPS6_SC_NS0_19identity_decomposerEEE10hipError_tT1_T2_T3_T4_jRjT5_jjP12ihipStream_tbEUlT_E_NS1_11comp_targetILNS1_3genE3ELNS1_11target_archE908ELNS1_3gpuE7ELNS1_3repE0EEENS1_44radix_sort_block_sort_config_static_selectorELNS0_4arch9wavefront6targetE0EEEvSF_.has_recursion, 0
	.set _ZN7rocprim17ROCPRIM_400000_NS6detail17trampoline_kernelINS0_13kernel_configILj256ELj4ELj4294967295EEENS1_37radix_sort_block_sort_config_selectorIaNS0_10empty_typeEEEZNS1_21radix_sort_block_sortIS4_Lb1EPKaPaPS6_SC_NS0_19identity_decomposerEEE10hipError_tT1_T2_T3_T4_jRjT5_jjP12ihipStream_tbEUlT_E_NS1_11comp_targetILNS1_3genE3ELNS1_11target_archE908ELNS1_3gpuE7ELNS1_3repE0EEENS1_44radix_sort_block_sort_config_static_selectorELNS0_4arch9wavefront6targetE0EEEvSF_.has_indirect_call, 0
	.section	.AMDGPU.csdata,"",@progbits
; Kernel info:
; codeLenInByte = 0
; TotalNumSgprs: 0
; NumVgprs: 0
; ScratchSize: 0
; MemoryBound: 0
; FloatMode: 240
; IeeeMode: 1
; LDSByteSize: 0 bytes/workgroup (compile time only)
; SGPRBlocks: 0
; VGPRBlocks: 0
; NumSGPRsForWavesPerEU: 1
; NumVGPRsForWavesPerEU: 1
; NamedBarCnt: 0
; Occupancy: 16
; WaveLimiterHint : 0
; COMPUTE_PGM_RSRC2:SCRATCH_EN: 0
; COMPUTE_PGM_RSRC2:USER_SGPR: 2
; COMPUTE_PGM_RSRC2:TRAP_HANDLER: 0
; COMPUTE_PGM_RSRC2:TGID_X_EN: 1
; COMPUTE_PGM_RSRC2:TGID_Y_EN: 0
; COMPUTE_PGM_RSRC2:TGID_Z_EN: 0
; COMPUTE_PGM_RSRC2:TIDIG_COMP_CNT: 0
	.section	.text._ZN7rocprim17ROCPRIM_400000_NS6detail17trampoline_kernelINS0_13kernel_configILj256ELj4ELj4294967295EEENS1_37radix_sort_block_sort_config_selectorIaNS0_10empty_typeEEEZNS1_21radix_sort_block_sortIS4_Lb1EPKaPaPS6_SC_NS0_19identity_decomposerEEE10hipError_tT1_T2_T3_T4_jRjT5_jjP12ihipStream_tbEUlT_E_NS1_11comp_targetILNS1_3genE2ELNS1_11target_archE906ELNS1_3gpuE6ELNS1_3repE0EEENS1_44radix_sort_block_sort_config_static_selectorELNS0_4arch9wavefront6targetE0EEEvSF_,"axG",@progbits,_ZN7rocprim17ROCPRIM_400000_NS6detail17trampoline_kernelINS0_13kernel_configILj256ELj4ELj4294967295EEENS1_37radix_sort_block_sort_config_selectorIaNS0_10empty_typeEEEZNS1_21radix_sort_block_sortIS4_Lb1EPKaPaPS6_SC_NS0_19identity_decomposerEEE10hipError_tT1_T2_T3_T4_jRjT5_jjP12ihipStream_tbEUlT_E_NS1_11comp_targetILNS1_3genE2ELNS1_11target_archE906ELNS1_3gpuE6ELNS1_3repE0EEENS1_44radix_sort_block_sort_config_static_selectorELNS0_4arch9wavefront6targetE0EEEvSF_,comdat
	.protected	_ZN7rocprim17ROCPRIM_400000_NS6detail17trampoline_kernelINS0_13kernel_configILj256ELj4ELj4294967295EEENS1_37radix_sort_block_sort_config_selectorIaNS0_10empty_typeEEEZNS1_21radix_sort_block_sortIS4_Lb1EPKaPaPS6_SC_NS0_19identity_decomposerEEE10hipError_tT1_T2_T3_T4_jRjT5_jjP12ihipStream_tbEUlT_E_NS1_11comp_targetILNS1_3genE2ELNS1_11target_archE906ELNS1_3gpuE6ELNS1_3repE0EEENS1_44radix_sort_block_sort_config_static_selectorELNS0_4arch9wavefront6targetE0EEEvSF_ ; -- Begin function _ZN7rocprim17ROCPRIM_400000_NS6detail17trampoline_kernelINS0_13kernel_configILj256ELj4ELj4294967295EEENS1_37radix_sort_block_sort_config_selectorIaNS0_10empty_typeEEEZNS1_21radix_sort_block_sortIS4_Lb1EPKaPaPS6_SC_NS0_19identity_decomposerEEE10hipError_tT1_T2_T3_T4_jRjT5_jjP12ihipStream_tbEUlT_E_NS1_11comp_targetILNS1_3genE2ELNS1_11target_archE906ELNS1_3gpuE6ELNS1_3repE0EEENS1_44radix_sort_block_sort_config_static_selectorELNS0_4arch9wavefront6targetE0EEEvSF_
	.globl	_ZN7rocprim17ROCPRIM_400000_NS6detail17trampoline_kernelINS0_13kernel_configILj256ELj4ELj4294967295EEENS1_37radix_sort_block_sort_config_selectorIaNS0_10empty_typeEEEZNS1_21radix_sort_block_sortIS4_Lb1EPKaPaPS6_SC_NS0_19identity_decomposerEEE10hipError_tT1_T2_T3_T4_jRjT5_jjP12ihipStream_tbEUlT_E_NS1_11comp_targetILNS1_3genE2ELNS1_11target_archE906ELNS1_3gpuE6ELNS1_3repE0EEENS1_44radix_sort_block_sort_config_static_selectorELNS0_4arch9wavefront6targetE0EEEvSF_
	.p2align	8
	.type	_ZN7rocprim17ROCPRIM_400000_NS6detail17trampoline_kernelINS0_13kernel_configILj256ELj4ELj4294967295EEENS1_37radix_sort_block_sort_config_selectorIaNS0_10empty_typeEEEZNS1_21radix_sort_block_sortIS4_Lb1EPKaPaPS6_SC_NS0_19identity_decomposerEEE10hipError_tT1_T2_T3_T4_jRjT5_jjP12ihipStream_tbEUlT_E_NS1_11comp_targetILNS1_3genE2ELNS1_11target_archE906ELNS1_3gpuE6ELNS1_3repE0EEENS1_44radix_sort_block_sort_config_static_selectorELNS0_4arch9wavefront6targetE0EEEvSF_,@function
_ZN7rocprim17ROCPRIM_400000_NS6detail17trampoline_kernelINS0_13kernel_configILj256ELj4ELj4294967295EEENS1_37radix_sort_block_sort_config_selectorIaNS0_10empty_typeEEEZNS1_21radix_sort_block_sortIS4_Lb1EPKaPaPS6_SC_NS0_19identity_decomposerEEE10hipError_tT1_T2_T3_T4_jRjT5_jjP12ihipStream_tbEUlT_E_NS1_11comp_targetILNS1_3genE2ELNS1_11target_archE906ELNS1_3gpuE6ELNS1_3repE0EEENS1_44radix_sort_block_sort_config_static_selectorELNS0_4arch9wavefront6targetE0EEEvSF_: ; @_ZN7rocprim17ROCPRIM_400000_NS6detail17trampoline_kernelINS0_13kernel_configILj256ELj4ELj4294967295EEENS1_37radix_sort_block_sort_config_selectorIaNS0_10empty_typeEEEZNS1_21radix_sort_block_sortIS4_Lb1EPKaPaPS6_SC_NS0_19identity_decomposerEEE10hipError_tT1_T2_T3_T4_jRjT5_jjP12ihipStream_tbEUlT_E_NS1_11comp_targetILNS1_3genE2ELNS1_11target_archE906ELNS1_3gpuE6ELNS1_3repE0EEENS1_44radix_sort_block_sort_config_static_selectorELNS0_4arch9wavefront6targetE0EEEvSF_
; %bb.0:
	.section	.rodata,"a",@progbits
	.p2align	6, 0x0
	.amdhsa_kernel _ZN7rocprim17ROCPRIM_400000_NS6detail17trampoline_kernelINS0_13kernel_configILj256ELj4ELj4294967295EEENS1_37radix_sort_block_sort_config_selectorIaNS0_10empty_typeEEEZNS1_21radix_sort_block_sortIS4_Lb1EPKaPaPS6_SC_NS0_19identity_decomposerEEE10hipError_tT1_T2_T3_T4_jRjT5_jjP12ihipStream_tbEUlT_E_NS1_11comp_targetILNS1_3genE2ELNS1_11target_archE906ELNS1_3gpuE6ELNS1_3repE0EEENS1_44radix_sort_block_sort_config_static_selectorELNS0_4arch9wavefront6targetE0EEEvSF_
		.amdhsa_group_segment_fixed_size 0
		.amdhsa_private_segment_fixed_size 0
		.amdhsa_kernarg_size 48
		.amdhsa_user_sgpr_count 2
		.amdhsa_user_sgpr_dispatch_ptr 0
		.amdhsa_user_sgpr_queue_ptr 0
		.amdhsa_user_sgpr_kernarg_segment_ptr 1
		.amdhsa_user_sgpr_dispatch_id 0
		.amdhsa_user_sgpr_kernarg_preload_length 0
		.amdhsa_user_sgpr_kernarg_preload_offset 0
		.amdhsa_user_sgpr_private_segment_size 0
		.amdhsa_wavefront_size32 1
		.amdhsa_uses_dynamic_stack 0
		.amdhsa_enable_private_segment 0
		.amdhsa_system_sgpr_workgroup_id_x 1
		.amdhsa_system_sgpr_workgroup_id_y 0
		.amdhsa_system_sgpr_workgroup_id_z 0
		.amdhsa_system_sgpr_workgroup_info 0
		.amdhsa_system_vgpr_workitem_id 0
		.amdhsa_next_free_vgpr 1
		.amdhsa_next_free_sgpr 1
		.amdhsa_named_barrier_count 0
		.amdhsa_reserve_vcc 0
		.amdhsa_float_round_mode_32 0
		.amdhsa_float_round_mode_16_64 0
		.amdhsa_float_denorm_mode_32 3
		.amdhsa_float_denorm_mode_16_64 3
		.amdhsa_fp16_overflow 0
		.amdhsa_memory_ordered 1
		.amdhsa_forward_progress 1
		.amdhsa_inst_pref_size 0
		.amdhsa_round_robin_scheduling 0
		.amdhsa_exception_fp_ieee_invalid_op 0
		.amdhsa_exception_fp_denorm_src 0
		.amdhsa_exception_fp_ieee_div_zero 0
		.amdhsa_exception_fp_ieee_overflow 0
		.amdhsa_exception_fp_ieee_underflow 0
		.amdhsa_exception_fp_ieee_inexact 0
		.amdhsa_exception_int_div_zero 0
	.end_amdhsa_kernel
	.section	.text._ZN7rocprim17ROCPRIM_400000_NS6detail17trampoline_kernelINS0_13kernel_configILj256ELj4ELj4294967295EEENS1_37radix_sort_block_sort_config_selectorIaNS0_10empty_typeEEEZNS1_21radix_sort_block_sortIS4_Lb1EPKaPaPS6_SC_NS0_19identity_decomposerEEE10hipError_tT1_T2_T3_T4_jRjT5_jjP12ihipStream_tbEUlT_E_NS1_11comp_targetILNS1_3genE2ELNS1_11target_archE906ELNS1_3gpuE6ELNS1_3repE0EEENS1_44radix_sort_block_sort_config_static_selectorELNS0_4arch9wavefront6targetE0EEEvSF_,"axG",@progbits,_ZN7rocprim17ROCPRIM_400000_NS6detail17trampoline_kernelINS0_13kernel_configILj256ELj4ELj4294967295EEENS1_37radix_sort_block_sort_config_selectorIaNS0_10empty_typeEEEZNS1_21radix_sort_block_sortIS4_Lb1EPKaPaPS6_SC_NS0_19identity_decomposerEEE10hipError_tT1_T2_T3_T4_jRjT5_jjP12ihipStream_tbEUlT_E_NS1_11comp_targetILNS1_3genE2ELNS1_11target_archE906ELNS1_3gpuE6ELNS1_3repE0EEENS1_44radix_sort_block_sort_config_static_selectorELNS0_4arch9wavefront6targetE0EEEvSF_,comdat
.Lfunc_end259:
	.size	_ZN7rocprim17ROCPRIM_400000_NS6detail17trampoline_kernelINS0_13kernel_configILj256ELj4ELj4294967295EEENS1_37radix_sort_block_sort_config_selectorIaNS0_10empty_typeEEEZNS1_21radix_sort_block_sortIS4_Lb1EPKaPaPS6_SC_NS0_19identity_decomposerEEE10hipError_tT1_T2_T3_T4_jRjT5_jjP12ihipStream_tbEUlT_E_NS1_11comp_targetILNS1_3genE2ELNS1_11target_archE906ELNS1_3gpuE6ELNS1_3repE0EEENS1_44radix_sort_block_sort_config_static_selectorELNS0_4arch9wavefront6targetE0EEEvSF_, .Lfunc_end259-_ZN7rocprim17ROCPRIM_400000_NS6detail17trampoline_kernelINS0_13kernel_configILj256ELj4ELj4294967295EEENS1_37radix_sort_block_sort_config_selectorIaNS0_10empty_typeEEEZNS1_21radix_sort_block_sortIS4_Lb1EPKaPaPS6_SC_NS0_19identity_decomposerEEE10hipError_tT1_T2_T3_T4_jRjT5_jjP12ihipStream_tbEUlT_E_NS1_11comp_targetILNS1_3genE2ELNS1_11target_archE906ELNS1_3gpuE6ELNS1_3repE0EEENS1_44radix_sort_block_sort_config_static_selectorELNS0_4arch9wavefront6targetE0EEEvSF_
                                        ; -- End function
	.set _ZN7rocprim17ROCPRIM_400000_NS6detail17trampoline_kernelINS0_13kernel_configILj256ELj4ELj4294967295EEENS1_37radix_sort_block_sort_config_selectorIaNS0_10empty_typeEEEZNS1_21radix_sort_block_sortIS4_Lb1EPKaPaPS6_SC_NS0_19identity_decomposerEEE10hipError_tT1_T2_T3_T4_jRjT5_jjP12ihipStream_tbEUlT_E_NS1_11comp_targetILNS1_3genE2ELNS1_11target_archE906ELNS1_3gpuE6ELNS1_3repE0EEENS1_44radix_sort_block_sort_config_static_selectorELNS0_4arch9wavefront6targetE0EEEvSF_.num_vgpr, 0
	.set _ZN7rocprim17ROCPRIM_400000_NS6detail17trampoline_kernelINS0_13kernel_configILj256ELj4ELj4294967295EEENS1_37radix_sort_block_sort_config_selectorIaNS0_10empty_typeEEEZNS1_21radix_sort_block_sortIS4_Lb1EPKaPaPS6_SC_NS0_19identity_decomposerEEE10hipError_tT1_T2_T3_T4_jRjT5_jjP12ihipStream_tbEUlT_E_NS1_11comp_targetILNS1_3genE2ELNS1_11target_archE906ELNS1_3gpuE6ELNS1_3repE0EEENS1_44radix_sort_block_sort_config_static_selectorELNS0_4arch9wavefront6targetE0EEEvSF_.num_agpr, 0
	.set _ZN7rocprim17ROCPRIM_400000_NS6detail17trampoline_kernelINS0_13kernel_configILj256ELj4ELj4294967295EEENS1_37radix_sort_block_sort_config_selectorIaNS0_10empty_typeEEEZNS1_21radix_sort_block_sortIS4_Lb1EPKaPaPS6_SC_NS0_19identity_decomposerEEE10hipError_tT1_T2_T3_T4_jRjT5_jjP12ihipStream_tbEUlT_E_NS1_11comp_targetILNS1_3genE2ELNS1_11target_archE906ELNS1_3gpuE6ELNS1_3repE0EEENS1_44radix_sort_block_sort_config_static_selectorELNS0_4arch9wavefront6targetE0EEEvSF_.numbered_sgpr, 0
	.set _ZN7rocprim17ROCPRIM_400000_NS6detail17trampoline_kernelINS0_13kernel_configILj256ELj4ELj4294967295EEENS1_37radix_sort_block_sort_config_selectorIaNS0_10empty_typeEEEZNS1_21radix_sort_block_sortIS4_Lb1EPKaPaPS6_SC_NS0_19identity_decomposerEEE10hipError_tT1_T2_T3_T4_jRjT5_jjP12ihipStream_tbEUlT_E_NS1_11comp_targetILNS1_3genE2ELNS1_11target_archE906ELNS1_3gpuE6ELNS1_3repE0EEENS1_44radix_sort_block_sort_config_static_selectorELNS0_4arch9wavefront6targetE0EEEvSF_.num_named_barrier, 0
	.set _ZN7rocprim17ROCPRIM_400000_NS6detail17trampoline_kernelINS0_13kernel_configILj256ELj4ELj4294967295EEENS1_37radix_sort_block_sort_config_selectorIaNS0_10empty_typeEEEZNS1_21radix_sort_block_sortIS4_Lb1EPKaPaPS6_SC_NS0_19identity_decomposerEEE10hipError_tT1_T2_T3_T4_jRjT5_jjP12ihipStream_tbEUlT_E_NS1_11comp_targetILNS1_3genE2ELNS1_11target_archE906ELNS1_3gpuE6ELNS1_3repE0EEENS1_44radix_sort_block_sort_config_static_selectorELNS0_4arch9wavefront6targetE0EEEvSF_.private_seg_size, 0
	.set _ZN7rocprim17ROCPRIM_400000_NS6detail17trampoline_kernelINS0_13kernel_configILj256ELj4ELj4294967295EEENS1_37radix_sort_block_sort_config_selectorIaNS0_10empty_typeEEEZNS1_21radix_sort_block_sortIS4_Lb1EPKaPaPS6_SC_NS0_19identity_decomposerEEE10hipError_tT1_T2_T3_T4_jRjT5_jjP12ihipStream_tbEUlT_E_NS1_11comp_targetILNS1_3genE2ELNS1_11target_archE906ELNS1_3gpuE6ELNS1_3repE0EEENS1_44radix_sort_block_sort_config_static_selectorELNS0_4arch9wavefront6targetE0EEEvSF_.uses_vcc, 0
	.set _ZN7rocprim17ROCPRIM_400000_NS6detail17trampoline_kernelINS0_13kernel_configILj256ELj4ELj4294967295EEENS1_37radix_sort_block_sort_config_selectorIaNS0_10empty_typeEEEZNS1_21radix_sort_block_sortIS4_Lb1EPKaPaPS6_SC_NS0_19identity_decomposerEEE10hipError_tT1_T2_T3_T4_jRjT5_jjP12ihipStream_tbEUlT_E_NS1_11comp_targetILNS1_3genE2ELNS1_11target_archE906ELNS1_3gpuE6ELNS1_3repE0EEENS1_44radix_sort_block_sort_config_static_selectorELNS0_4arch9wavefront6targetE0EEEvSF_.uses_flat_scratch, 0
	.set _ZN7rocprim17ROCPRIM_400000_NS6detail17trampoline_kernelINS0_13kernel_configILj256ELj4ELj4294967295EEENS1_37radix_sort_block_sort_config_selectorIaNS0_10empty_typeEEEZNS1_21radix_sort_block_sortIS4_Lb1EPKaPaPS6_SC_NS0_19identity_decomposerEEE10hipError_tT1_T2_T3_T4_jRjT5_jjP12ihipStream_tbEUlT_E_NS1_11comp_targetILNS1_3genE2ELNS1_11target_archE906ELNS1_3gpuE6ELNS1_3repE0EEENS1_44radix_sort_block_sort_config_static_selectorELNS0_4arch9wavefront6targetE0EEEvSF_.has_dyn_sized_stack, 0
	.set _ZN7rocprim17ROCPRIM_400000_NS6detail17trampoline_kernelINS0_13kernel_configILj256ELj4ELj4294967295EEENS1_37radix_sort_block_sort_config_selectorIaNS0_10empty_typeEEEZNS1_21radix_sort_block_sortIS4_Lb1EPKaPaPS6_SC_NS0_19identity_decomposerEEE10hipError_tT1_T2_T3_T4_jRjT5_jjP12ihipStream_tbEUlT_E_NS1_11comp_targetILNS1_3genE2ELNS1_11target_archE906ELNS1_3gpuE6ELNS1_3repE0EEENS1_44radix_sort_block_sort_config_static_selectorELNS0_4arch9wavefront6targetE0EEEvSF_.has_recursion, 0
	.set _ZN7rocprim17ROCPRIM_400000_NS6detail17trampoline_kernelINS0_13kernel_configILj256ELj4ELj4294967295EEENS1_37radix_sort_block_sort_config_selectorIaNS0_10empty_typeEEEZNS1_21radix_sort_block_sortIS4_Lb1EPKaPaPS6_SC_NS0_19identity_decomposerEEE10hipError_tT1_T2_T3_T4_jRjT5_jjP12ihipStream_tbEUlT_E_NS1_11comp_targetILNS1_3genE2ELNS1_11target_archE906ELNS1_3gpuE6ELNS1_3repE0EEENS1_44radix_sort_block_sort_config_static_selectorELNS0_4arch9wavefront6targetE0EEEvSF_.has_indirect_call, 0
	.section	.AMDGPU.csdata,"",@progbits
; Kernel info:
; codeLenInByte = 0
; TotalNumSgprs: 0
; NumVgprs: 0
; ScratchSize: 0
; MemoryBound: 0
; FloatMode: 240
; IeeeMode: 1
; LDSByteSize: 0 bytes/workgroup (compile time only)
; SGPRBlocks: 0
; VGPRBlocks: 0
; NumSGPRsForWavesPerEU: 1
; NumVGPRsForWavesPerEU: 1
; NamedBarCnt: 0
; Occupancy: 16
; WaveLimiterHint : 0
; COMPUTE_PGM_RSRC2:SCRATCH_EN: 0
; COMPUTE_PGM_RSRC2:USER_SGPR: 2
; COMPUTE_PGM_RSRC2:TRAP_HANDLER: 0
; COMPUTE_PGM_RSRC2:TGID_X_EN: 1
; COMPUTE_PGM_RSRC2:TGID_Y_EN: 0
; COMPUTE_PGM_RSRC2:TGID_Z_EN: 0
; COMPUTE_PGM_RSRC2:TIDIG_COMP_CNT: 0
	.section	.text._ZN7rocprim17ROCPRIM_400000_NS6detail17trampoline_kernelINS0_13kernel_configILj256ELj4ELj4294967295EEENS1_37radix_sort_block_sort_config_selectorIaNS0_10empty_typeEEEZNS1_21radix_sort_block_sortIS4_Lb1EPKaPaPS6_SC_NS0_19identity_decomposerEEE10hipError_tT1_T2_T3_T4_jRjT5_jjP12ihipStream_tbEUlT_E_NS1_11comp_targetILNS1_3genE10ELNS1_11target_archE1201ELNS1_3gpuE5ELNS1_3repE0EEENS1_44radix_sort_block_sort_config_static_selectorELNS0_4arch9wavefront6targetE0EEEvSF_,"axG",@progbits,_ZN7rocprim17ROCPRIM_400000_NS6detail17trampoline_kernelINS0_13kernel_configILj256ELj4ELj4294967295EEENS1_37radix_sort_block_sort_config_selectorIaNS0_10empty_typeEEEZNS1_21radix_sort_block_sortIS4_Lb1EPKaPaPS6_SC_NS0_19identity_decomposerEEE10hipError_tT1_T2_T3_T4_jRjT5_jjP12ihipStream_tbEUlT_E_NS1_11comp_targetILNS1_3genE10ELNS1_11target_archE1201ELNS1_3gpuE5ELNS1_3repE0EEENS1_44radix_sort_block_sort_config_static_selectorELNS0_4arch9wavefront6targetE0EEEvSF_,comdat
	.protected	_ZN7rocprim17ROCPRIM_400000_NS6detail17trampoline_kernelINS0_13kernel_configILj256ELj4ELj4294967295EEENS1_37radix_sort_block_sort_config_selectorIaNS0_10empty_typeEEEZNS1_21radix_sort_block_sortIS4_Lb1EPKaPaPS6_SC_NS0_19identity_decomposerEEE10hipError_tT1_T2_T3_T4_jRjT5_jjP12ihipStream_tbEUlT_E_NS1_11comp_targetILNS1_3genE10ELNS1_11target_archE1201ELNS1_3gpuE5ELNS1_3repE0EEENS1_44radix_sort_block_sort_config_static_selectorELNS0_4arch9wavefront6targetE0EEEvSF_ ; -- Begin function _ZN7rocprim17ROCPRIM_400000_NS6detail17trampoline_kernelINS0_13kernel_configILj256ELj4ELj4294967295EEENS1_37radix_sort_block_sort_config_selectorIaNS0_10empty_typeEEEZNS1_21radix_sort_block_sortIS4_Lb1EPKaPaPS6_SC_NS0_19identity_decomposerEEE10hipError_tT1_T2_T3_T4_jRjT5_jjP12ihipStream_tbEUlT_E_NS1_11comp_targetILNS1_3genE10ELNS1_11target_archE1201ELNS1_3gpuE5ELNS1_3repE0EEENS1_44radix_sort_block_sort_config_static_selectorELNS0_4arch9wavefront6targetE0EEEvSF_
	.globl	_ZN7rocprim17ROCPRIM_400000_NS6detail17trampoline_kernelINS0_13kernel_configILj256ELj4ELj4294967295EEENS1_37radix_sort_block_sort_config_selectorIaNS0_10empty_typeEEEZNS1_21radix_sort_block_sortIS4_Lb1EPKaPaPS6_SC_NS0_19identity_decomposerEEE10hipError_tT1_T2_T3_T4_jRjT5_jjP12ihipStream_tbEUlT_E_NS1_11comp_targetILNS1_3genE10ELNS1_11target_archE1201ELNS1_3gpuE5ELNS1_3repE0EEENS1_44radix_sort_block_sort_config_static_selectorELNS0_4arch9wavefront6targetE0EEEvSF_
	.p2align	8
	.type	_ZN7rocprim17ROCPRIM_400000_NS6detail17trampoline_kernelINS0_13kernel_configILj256ELj4ELj4294967295EEENS1_37radix_sort_block_sort_config_selectorIaNS0_10empty_typeEEEZNS1_21radix_sort_block_sortIS4_Lb1EPKaPaPS6_SC_NS0_19identity_decomposerEEE10hipError_tT1_T2_T3_T4_jRjT5_jjP12ihipStream_tbEUlT_E_NS1_11comp_targetILNS1_3genE10ELNS1_11target_archE1201ELNS1_3gpuE5ELNS1_3repE0EEENS1_44radix_sort_block_sort_config_static_selectorELNS0_4arch9wavefront6targetE0EEEvSF_,@function
_ZN7rocprim17ROCPRIM_400000_NS6detail17trampoline_kernelINS0_13kernel_configILj256ELj4ELj4294967295EEENS1_37radix_sort_block_sort_config_selectorIaNS0_10empty_typeEEEZNS1_21radix_sort_block_sortIS4_Lb1EPKaPaPS6_SC_NS0_19identity_decomposerEEE10hipError_tT1_T2_T3_T4_jRjT5_jjP12ihipStream_tbEUlT_E_NS1_11comp_targetILNS1_3genE10ELNS1_11target_archE1201ELNS1_3gpuE5ELNS1_3repE0EEENS1_44radix_sort_block_sort_config_static_selectorELNS0_4arch9wavefront6targetE0EEEvSF_: ; @_ZN7rocprim17ROCPRIM_400000_NS6detail17trampoline_kernelINS0_13kernel_configILj256ELj4ELj4294967295EEENS1_37radix_sort_block_sort_config_selectorIaNS0_10empty_typeEEEZNS1_21radix_sort_block_sortIS4_Lb1EPKaPaPS6_SC_NS0_19identity_decomposerEEE10hipError_tT1_T2_T3_T4_jRjT5_jjP12ihipStream_tbEUlT_E_NS1_11comp_targetILNS1_3genE10ELNS1_11target_archE1201ELNS1_3gpuE5ELNS1_3repE0EEENS1_44radix_sort_block_sort_config_static_selectorELNS0_4arch9wavefront6targetE0EEEvSF_
; %bb.0:
	.section	.rodata,"a",@progbits
	.p2align	6, 0x0
	.amdhsa_kernel _ZN7rocprim17ROCPRIM_400000_NS6detail17trampoline_kernelINS0_13kernel_configILj256ELj4ELj4294967295EEENS1_37radix_sort_block_sort_config_selectorIaNS0_10empty_typeEEEZNS1_21radix_sort_block_sortIS4_Lb1EPKaPaPS6_SC_NS0_19identity_decomposerEEE10hipError_tT1_T2_T3_T4_jRjT5_jjP12ihipStream_tbEUlT_E_NS1_11comp_targetILNS1_3genE10ELNS1_11target_archE1201ELNS1_3gpuE5ELNS1_3repE0EEENS1_44radix_sort_block_sort_config_static_selectorELNS0_4arch9wavefront6targetE0EEEvSF_
		.amdhsa_group_segment_fixed_size 0
		.amdhsa_private_segment_fixed_size 0
		.amdhsa_kernarg_size 48
		.amdhsa_user_sgpr_count 2
		.amdhsa_user_sgpr_dispatch_ptr 0
		.amdhsa_user_sgpr_queue_ptr 0
		.amdhsa_user_sgpr_kernarg_segment_ptr 1
		.amdhsa_user_sgpr_dispatch_id 0
		.amdhsa_user_sgpr_kernarg_preload_length 0
		.amdhsa_user_sgpr_kernarg_preload_offset 0
		.amdhsa_user_sgpr_private_segment_size 0
		.amdhsa_wavefront_size32 1
		.amdhsa_uses_dynamic_stack 0
		.amdhsa_enable_private_segment 0
		.amdhsa_system_sgpr_workgroup_id_x 1
		.amdhsa_system_sgpr_workgroup_id_y 0
		.amdhsa_system_sgpr_workgroup_id_z 0
		.amdhsa_system_sgpr_workgroup_info 0
		.amdhsa_system_vgpr_workitem_id 0
		.amdhsa_next_free_vgpr 1
		.amdhsa_next_free_sgpr 1
		.amdhsa_named_barrier_count 0
		.amdhsa_reserve_vcc 0
		.amdhsa_float_round_mode_32 0
		.amdhsa_float_round_mode_16_64 0
		.amdhsa_float_denorm_mode_32 3
		.amdhsa_float_denorm_mode_16_64 3
		.amdhsa_fp16_overflow 0
		.amdhsa_memory_ordered 1
		.amdhsa_forward_progress 1
		.amdhsa_inst_pref_size 0
		.amdhsa_round_robin_scheduling 0
		.amdhsa_exception_fp_ieee_invalid_op 0
		.amdhsa_exception_fp_denorm_src 0
		.amdhsa_exception_fp_ieee_div_zero 0
		.amdhsa_exception_fp_ieee_overflow 0
		.amdhsa_exception_fp_ieee_underflow 0
		.amdhsa_exception_fp_ieee_inexact 0
		.amdhsa_exception_int_div_zero 0
	.end_amdhsa_kernel
	.section	.text._ZN7rocprim17ROCPRIM_400000_NS6detail17trampoline_kernelINS0_13kernel_configILj256ELj4ELj4294967295EEENS1_37radix_sort_block_sort_config_selectorIaNS0_10empty_typeEEEZNS1_21radix_sort_block_sortIS4_Lb1EPKaPaPS6_SC_NS0_19identity_decomposerEEE10hipError_tT1_T2_T3_T4_jRjT5_jjP12ihipStream_tbEUlT_E_NS1_11comp_targetILNS1_3genE10ELNS1_11target_archE1201ELNS1_3gpuE5ELNS1_3repE0EEENS1_44radix_sort_block_sort_config_static_selectorELNS0_4arch9wavefront6targetE0EEEvSF_,"axG",@progbits,_ZN7rocprim17ROCPRIM_400000_NS6detail17trampoline_kernelINS0_13kernel_configILj256ELj4ELj4294967295EEENS1_37radix_sort_block_sort_config_selectorIaNS0_10empty_typeEEEZNS1_21radix_sort_block_sortIS4_Lb1EPKaPaPS6_SC_NS0_19identity_decomposerEEE10hipError_tT1_T2_T3_T4_jRjT5_jjP12ihipStream_tbEUlT_E_NS1_11comp_targetILNS1_3genE10ELNS1_11target_archE1201ELNS1_3gpuE5ELNS1_3repE0EEENS1_44radix_sort_block_sort_config_static_selectorELNS0_4arch9wavefront6targetE0EEEvSF_,comdat
.Lfunc_end260:
	.size	_ZN7rocprim17ROCPRIM_400000_NS6detail17trampoline_kernelINS0_13kernel_configILj256ELj4ELj4294967295EEENS1_37radix_sort_block_sort_config_selectorIaNS0_10empty_typeEEEZNS1_21radix_sort_block_sortIS4_Lb1EPKaPaPS6_SC_NS0_19identity_decomposerEEE10hipError_tT1_T2_T3_T4_jRjT5_jjP12ihipStream_tbEUlT_E_NS1_11comp_targetILNS1_3genE10ELNS1_11target_archE1201ELNS1_3gpuE5ELNS1_3repE0EEENS1_44radix_sort_block_sort_config_static_selectorELNS0_4arch9wavefront6targetE0EEEvSF_, .Lfunc_end260-_ZN7rocprim17ROCPRIM_400000_NS6detail17trampoline_kernelINS0_13kernel_configILj256ELj4ELj4294967295EEENS1_37radix_sort_block_sort_config_selectorIaNS0_10empty_typeEEEZNS1_21radix_sort_block_sortIS4_Lb1EPKaPaPS6_SC_NS0_19identity_decomposerEEE10hipError_tT1_T2_T3_T4_jRjT5_jjP12ihipStream_tbEUlT_E_NS1_11comp_targetILNS1_3genE10ELNS1_11target_archE1201ELNS1_3gpuE5ELNS1_3repE0EEENS1_44radix_sort_block_sort_config_static_selectorELNS0_4arch9wavefront6targetE0EEEvSF_
                                        ; -- End function
	.set _ZN7rocprim17ROCPRIM_400000_NS6detail17trampoline_kernelINS0_13kernel_configILj256ELj4ELj4294967295EEENS1_37radix_sort_block_sort_config_selectorIaNS0_10empty_typeEEEZNS1_21radix_sort_block_sortIS4_Lb1EPKaPaPS6_SC_NS0_19identity_decomposerEEE10hipError_tT1_T2_T3_T4_jRjT5_jjP12ihipStream_tbEUlT_E_NS1_11comp_targetILNS1_3genE10ELNS1_11target_archE1201ELNS1_3gpuE5ELNS1_3repE0EEENS1_44radix_sort_block_sort_config_static_selectorELNS0_4arch9wavefront6targetE0EEEvSF_.num_vgpr, 0
	.set _ZN7rocprim17ROCPRIM_400000_NS6detail17trampoline_kernelINS0_13kernel_configILj256ELj4ELj4294967295EEENS1_37radix_sort_block_sort_config_selectorIaNS0_10empty_typeEEEZNS1_21radix_sort_block_sortIS4_Lb1EPKaPaPS6_SC_NS0_19identity_decomposerEEE10hipError_tT1_T2_T3_T4_jRjT5_jjP12ihipStream_tbEUlT_E_NS1_11comp_targetILNS1_3genE10ELNS1_11target_archE1201ELNS1_3gpuE5ELNS1_3repE0EEENS1_44radix_sort_block_sort_config_static_selectorELNS0_4arch9wavefront6targetE0EEEvSF_.num_agpr, 0
	.set _ZN7rocprim17ROCPRIM_400000_NS6detail17trampoline_kernelINS0_13kernel_configILj256ELj4ELj4294967295EEENS1_37radix_sort_block_sort_config_selectorIaNS0_10empty_typeEEEZNS1_21radix_sort_block_sortIS4_Lb1EPKaPaPS6_SC_NS0_19identity_decomposerEEE10hipError_tT1_T2_T3_T4_jRjT5_jjP12ihipStream_tbEUlT_E_NS1_11comp_targetILNS1_3genE10ELNS1_11target_archE1201ELNS1_3gpuE5ELNS1_3repE0EEENS1_44radix_sort_block_sort_config_static_selectorELNS0_4arch9wavefront6targetE0EEEvSF_.numbered_sgpr, 0
	.set _ZN7rocprim17ROCPRIM_400000_NS6detail17trampoline_kernelINS0_13kernel_configILj256ELj4ELj4294967295EEENS1_37radix_sort_block_sort_config_selectorIaNS0_10empty_typeEEEZNS1_21radix_sort_block_sortIS4_Lb1EPKaPaPS6_SC_NS0_19identity_decomposerEEE10hipError_tT1_T2_T3_T4_jRjT5_jjP12ihipStream_tbEUlT_E_NS1_11comp_targetILNS1_3genE10ELNS1_11target_archE1201ELNS1_3gpuE5ELNS1_3repE0EEENS1_44radix_sort_block_sort_config_static_selectorELNS0_4arch9wavefront6targetE0EEEvSF_.num_named_barrier, 0
	.set _ZN7rocprim17ROCPRIM_400000_NS6detail17trampoline_kernelINS0_13kernel_configILj256ELj4ELj4294967295EEENS1_37radix_sort_block_sort_config_selectorIaNS0_10empty_typeEEEZNS1_21radix_sort_block_sortIS4_Lb1EPKaPaPS6_SC_NS0_19identity_decomposerEEE10hipError_tT1_T2_T3_T4_jRjT5_jjP12ihipStream_tbEUlT_E_NS1_11comp_targetILNS1_3genE10ELNS1_11target_archE1201ELNS1_3gpuE5ELNS1_3repE0EEENS1_44radix_sort_block_sort_config_static_selectorELNS0_4arch9wavefront6targetE0EEEvSF_.private_seg_size, 0
	.set _ZN7rocprim17ROCPRIM_400000_NS6detail17trampoline_kernelINS0_13kernel_configILj256ELj4ELj4294967295EEENS1_37radix_sort_block_sort_config_selectorIaNS0_10empty_typeEEEZNS1_21radix_sort_block_sortIS4_Lb1EPKaPaPS6_SC_NS0_19identity_decomposerEEE10hipError_tT1_T2_T3_T4_jRjT5_jjP12ihipStream_tbEUlT_E_NS1_11comp_targetILNS1_3genE10ELNS1_11target_archE1201ELNS1_3gpuE5ELNS1_3repE0EEENS1_44radix_sort_block_sort_config_static_selectorELNS0_4arch9wavefront6targetE0EEEvSF_.uses_vcc, 0
	.set _ZN7rocprim17ROCPRIM_400000_NS6detail17trampoline_kernelINS0_13kernel_configILj256ELj4ELj4294967295EEENS1_37radix_sort_block_sort_config_selectorIaNS0_10empty_typeEEEZNS1_21radix_sort_block_sortIS4_Lb1EPKaPaPS6_SC_NS0_19identity_decomposerEEE10hipError_tT1_T2_T3_T4_jRjT5_jjP12ihipStream_tbEUlT_E_NS1_11comp_targetILNS1_3genE10ELNS1_11target_archE1201ELNS1_3gpuE5ELNS1_3repE0EEENS1_44radix_sort_block_sort_config_static_selectorELNS0_4arch9wavefront6targetE0EEEvSF_.uses_flat_scratch, 0
	.set _ZN7rocprim17ROCPRIM_400000_NS6detail17trampoline_kernelINS0_13kernel_configILj256ELj4ELj4294967295EEENS1_37radix_sort_block_sort_config_selectorIaNS0_10empty_typeEEEZNS1_21radix_sort_block_sortIS4_Lb1EPKaPaPS6_SC_NS0_19identity_decomposerEEE10hipError_tT1_T2_T3_T4_jRjT5_jjP12ihipStream_tbEUlT_E_NS1_11comp_targetILNS1_3genE10ELNS1_11target_archE1201ELNS1_3gpuE5ELNS1_3repE0EEENS1_44radix_sort_block_sort_config_static_selectorELNS0_4arch9wavefront6targetE0EEEvSF_.has_dyn_sized_stack, 0
	.set _ZN7rocprim17ROCPRIM_400000_NS6detail17trampoline_kernelINS0_13kernel_configILj256ELj4ELj4294967295EEENS1_37radix_sort_block_sort_config_selectorIaNS0_10empty_typeEEEZNS1_21radix_sort_block_sortIS4_Lb1EPKaPaPS6_SC_NS0_19identity_decomposerEEE10hipError_tT1_T2_T3_T4_jRjT5_jjP12ihipStream_tbEUlT_E_NS1_11comp_targetILNS1_3genE10ELNS1_11target_archE1201ELNS1_3gpuE5ELNS1_3repE0EEENS1_44radix_sort_block_sort_config_static_selectorELNS0_4arch9wavefront6targetE0EEEvSF_.has_recursion, 0
	.set _ZN7rocprim17ROCPRIM_400000_NS6detail17trampoline_kernelINS0_13kernel_configILj256ELj4ELj4294967295EEENS1_37radix_sort_block_sort_config_selectorIaNS0_10empty_typeEEEZNS1_21radix_sort_block_sortIS4_Lb1EPKaPaPS6_SC_NS0_19identity_decomposerEEE10hipError_tT1_T2_T3_T4_jRjT5_jjP12ihipStream_tbEUlT_E_NS1_11comp_targetILNS1_3genE10ELNS1_11target_archE1201ELNS1_3gpuE5ELNS1_3repE0EEENS1_44radix_sort_block_sort_config_static_selectorELNS0_4arch9wavefront6targetE0EEEvSF_.has_indirect_call, 0
	.section	.AMDGPU.csdata,"",@progbits
; Kernel info:
; codeLenInByte = 0
; TotalNumSgprs: 0
; NumVgprs: 0
; ScratchSize: 0
; MemoryBound: 0
; FloatMode: 240
; IeeeMode: 1
; LDSByteSize: 0 bytes/workgroup (compile time only)
; SGPRBlocks: 0
; VGPRBlocks: 0
; NumSGPRsForWavesPerEU: 1
; NumVGPRsForWavesPerEU: 1
; NamedBarCnt: 0
; Occupancy: 16
; WaveLimiterHint : 0
; COMPUTE_PGM_RSRC2:SCRATCH_EN: 0
; COMPUTE_PGM_RSRC2:USER_SGPR: 2
; COMPUTE_PGM_RSRC2:TRAP_HANDLER: 0
; COMPUTE_PGM_RSRC2:TGID_X_EN: 1
; COMPUTE_PGM_RSRC2:TGID_Y_EN: 0
; COMPUTE_PGM_RSRC2:TGID_Z_EN: 0
; COMPUTE_PGM_RSRC2:TIDIG_COMP_CNT: 0
	.section	.text._ZN7rocprim17ROCPRIM_400000_NS6detail17trampoline_kernelINS0_13kernel_configILj256ELj4ELj4294967295EEENS1_37radix_sort_block_sort_config_selectorIaNS0_10empty_typeEEEZNS1_21radix_sort_block_sortIS4_Lb1EPKaPaPS6_SC_NS0_19identity_decomposerEEE10hipError_tT1_T2_T3_T4_jRjT5_jjP12ihipStream_tbEUlT_E_NS1_11comp_targetILNS1_3genE10ELNS1_11target_archE1200ELNS1_3gpuE4ELNS1_3repE0EEENS1_44radix_sort_block_sort_config_static_selectorELNS0_4arch9wavefront6targetE0EEEvSF_,"axG",@progbits,_ZN7rocprim17ROCPRIM_400000_NS6detail17trampoline_kernelINS0_13kernel_configILj256ELj4ELj4294967295EEENS1_37radix_sort_block_sort_config_selectorIaNS0_10empty_typeEEEZNS1_21radix_sort_block_sortIS4_Lb1EPKaPaPS6_SC_NS0_19identity_decomposerEEE10hipError_tT1_T2_T3_T4_jRjT5_jjP12ihipStream_tbEUlT_E_NS1_11comp_targetILNS1_3genE10ELNS1_11target_archE1200ELNS1_3gpuE4ELNS1_3repE0EEENS1_44radix_sort_block_sort_config_static_selectorELNS0_4arch9wavefront6targetE0EEEvSF_,comdat
	.protected	_ZN7rocprim17ROCPRIM_400000_NS6detail17trampoline_kernelINS0_13kernel_configILj256ELj4ELj4294967295EEENS1_37radix_sort_block_sort_config_selectorIaNS0_10empty_typeEEEZNS1_21radix_sort_block_sortIS4_Lb1EPKaPaPS6_SC_NS0_19identity_decomposerEEE10hipError_tT1_T2_T3_T4_jRjT5_jjP12ihipStream_tbEUlT_E_NS1_11comp_targetILNS1_3genE10ELNS1_11target_archE1200ELNS1_3gpuE4ELNS1_3repE0EEENS1_44radix_sort_block_sort_config_static_selectorELNS0_4arch9wavefront6targetE0EEEvSF_ ; -- Begin function _ZN7rocprim17ROCPRIM_400000_NS6detail17trampoline_kernelINS0_13kernel_configILj256ELj4ELj4294967295EEENS1_37radix_sort_block_sort_config_selectorIaNS0_10empty_typeEEEZNS1_21radix_sort_block_sortIS4_Lb1EPKaPaPS6_SC_NS0_19identity_decomposerEEE10hipError_tT1_T2_T3_T4_jRjT5_jjP12ihipStream_tbEUlT_E_NS1_11comp_targetILNS1_3genE10ELNS1_11target_archE1200ELNS1_3gpuE4ELNS1_3repE0EEENS1_44radix_sort_block_sort_config_static_selectorELNS0_4arch9wavefront6targetE0EEEvSF_
	.globl	_ZN7rocprim17ROCPRIM_400000_NS6detail17trampoline_kernelINS0_13kernel_configILj256ELj4ELj4294967295EEENS1_37radix_sort_block_sort_config_selectorIaNS0_10empty_typeEEEZNS1_21radix_sort_block_sortIS4_Lb1EPKaPaPS6_SC_NS0_19identity_decomposerEEE10hipError_tT1_T2_T3_T4_jRjT5_jjP12ihipStream_tbEUlT_E_NS1_11comp_targetILNS1_3genE10ELNS1_11target_archE1200ELNS1_3gpuE4ELNS1_3repE0EEENS1_44radix_sort_block_sort_config_static_selectorELNS0_4arch9wavefront6targetE0EEEvSF_
	.p2align	8
	.type	_ZN7rocprim17ROCPRIM_400000_NS6detail17trampoline_kernelINS0_13kernel_configILj256ELj4ELj4294967295EEENS1_37radix_sort_block_sort_config_selectorIaNS0_10empty_typeEEEZNS1_21radix_sort_block_sortIS4_Lb1EPKaPaPS6_SC_NS0_19identity_decomposerEEE10hipError_tT1_T2_T3_T4_jRjT5_jjP12ihipStream_tbEUlT_E_NS1_11comp_targetILNS1_3genE10ELNS1_11target_archE1200ELNS1_3gpuE4ELNS1_3repE0EEENS1_44radix_sort_block_sort_config_static_selectorELNS0_4arch9wavefront6targetE0EEEvSF_,@function
_ZN7rocprim17ROCPRIM_400000_NS6detail17trampoline_kernelINS0_13kernel_configILj256ELj4ELj4294967295EEENS1_37radix_sort_block_sort_config_selectorIaNS0_10empty_typeEEEZNS1_21radix_sort_block_sortIS4_Lb1EPKaPaPS6_SC_NS0_19identity_decomposerEEE10hipError_tT1_T2_T3_T4_jRjT5_jjP12ihipStream_tbEUlT_E_NS1_11comp_targetILNS1_3genE10ELNS1_11target_archE1200ELNS1_3gpuE4ELNS1_3repE0EEENS1_44radix_sort_block_sort_config_static_selectorELNS0_4arch9wavefront6targetE0EEEvSF_: ; @_ZN7rocprim17ROCPRIM_400000_NS6detail17trampoline_kernelINS0_13kernel_configILj256ELj4ELj4294967295EEENS1_37radix_sort_block_sort_config_selectorIaNS0_10empty_typeEEEZNS1_21radix_sort_block_sortIS4_Lb1EPKaPaPS6_SC_NS0_19identity_decomposerEEE10hipError_tT1_T2_T3_T4_jRjT5_jjP12ihipStream_tbEUlT_E_NS1_11comp_targetILNS1_3genE10ELNS1_11target_archE1200ELNS1_3gpuE4ELNS1_3repE0EEENS1_44radix_sort_block_sort_config_static_selectorELNS0_4arch9wavefront6targetE0EEEvSF_
; %bb.0:
	.section	.rodata,"a",@progbits
	.p2align	6, 0x0
	.amdhsa_kernel _ZN7rocprim17ROCPRIM_400000_NS6detail17trampoline_kernelINS0_13kernel_configILj256ELj4ELj4294967295EEENS1_37radix_sort_block_sort_config_selectorIaNS0_10empty_typeEEEZNS1_21radix_sort_block_sortIS4_Lb1EPKaPaPS6_SC_NS0_19identity_decomposerEEE10hipError_tT1_T2_T3_T4_jRjT5_jjP12ihipStream_tbEUlT_E_NS1_11comp_targetILNS1_3genE10ELNS1_11target_archE1200ELNS1_3gpuE4ELNS1_3repE0EEENS1_44radix_sort_block_sort_config_static_selectorELNS0_4arch9wavefront6targetE0EEEvSF_
		.amdhsa_group_segment_fixed_size 0
		.amdhsa_private_segment_fixed_size 0
		.amdhsa_kernarg_size 48
		.amdhsa_user_sgpr_count 2
		.amdhsa_user_sgpr_dispatch_ptr 0
		.amdhsa_user_sgpr_queue_ptr 0
		.amdhsa_user_sgpr_kernarg_segment_ptr 1
		.amdhsa_user_sgpr_dispatch_id 0
		.amdhsa_user_sgpr_kernarg_preload_length 0
		.amdhsa_user_sgpr_kernarg_preload_offset 0
		.amdhsa_user_sgpr_private_segment_size 0
		.amdhsa_wavefront_size32 1
		.amdhsa_uses_dynamic_stack 0
		.amdhsa_enable_private_segment 0
		.amdhsa_system_sgpr_workgroup_id_x 1
		.amdhsa_system_sgpr_workgroup_id_y 0
		.amdhsa_system_sgpr_workgroup_id_z 0
		.amdhsa_system_sgpr_workgroup_info 0
		.amdhsa_system_vgpr_workitem_id 0
		.amdhsa_next_free_vgpr 1
		.amdhsa_next_free_sgpr 1
		.amdhsa_named_barrier_count 0
		.amdhsa_reserve_vcc 0
		.amdhsa_float_round_mode_32 0
		.amdhsa_float_round_mode_16_64 0
		.amdhsa_float_denorm_mode_32 3
		.amdhsa_float_denorm_mode_16_64 3
		.amdhsa_fp16_overflow 0
		.amdhsa_memory_ordered 1
		.amdhsa_forward_progress 1
		.amdhsa_inst_pref_size 0
		.amdhsa_round_robin_scheduling 0
		.amdhsa_exception_fp_ieee_invalid_op 0
		.amdhsa_exception_fp_denorm_src 0
		.amdhsa_exception_fp_ieee_div_zero 0
		.amdhsa_exception_fp_ieee_overflow 0
		.amdhsa_exception_fp_ieee_underflow 0
		.amdhsa_exception_fp_ieee_inexact 0
		.amdhsa_exception_int_div_zero 0
	.end_amdhsa_kernel
	.section	.text._ZN7rocprim17ROCPRIM_400000_NS6detail17trampoline_kernelINS0_13kernel_configILj256ELj4ELj4294967295EEENS1_37radix_sort_block_sort_config_selectorIaNS0_10empty_typeEEEZNS1_21radix_sort_block_sortIS4_Lb1EPKaPaPS6_SC_NS0_19identity_decomposerEEE10hipError_tT1_T2_T3_T4_jRjT5_jjP12ihipStream_tbEUlT_E_NS1_11comp_targetILNS1_3genE10ELNS1_11target_archE1200ELNS1_3gpuE4ELNS1_3repE0EEENS1_44radix_sort_block_sort_config_static_selectorELNS0_4arch9wavefront6targetE0EEEvSF_,"axG",@progbits,_ZN7rocprim17ROCPRIM_400000_NS6detail17trampoline_kernelINS0_13kernel_configILj256ELj4ELj4294967295EEENS1_37radix_sort_block_sort_config_selectorIaNS0_10empty_typeEEEZNS1_21radix_sort_block_sortIS4_Lb1EPKaPaPS6_SC_NS0_19identity_decomposerEEE10hipError_tT1_T2_T3_T4_jRjT5_jjP12ihipStream_tbEUlT_E_NS1_11comp_targetILNS1_3genE10ELNS1_11target_archE1200ELNS1_3gpuE4ELNS1_3repE0EEENS1_44radix_sort_block_sort_config_static_selectorELNS0_4arch9wavefront6targetE0EEEvSF_,comdat
.Lfunc_end261:
	.size	_ZN7rocprim17ROCPRIM_400000_NS6detail17trampoline_kernelINS0_13kernel_configILj256ELj4ELj4294967295EEENS1_37radix_sort_block_sort_config_selectorIaNS0_10empty_typeEEEZNS1_21radix_sort_block_sortIS4_Lb1EPKaPaPS6_SC_NS0_19identity_decomposerEEE10hipError_tT1_T2_T3_T4_jRjT5_jjP12ihipStream_tbEUlT_E_NS1_11comp_targetILNS1_3genE10ELNS1_11target_archE1200ELNS1_3gpuE4ELNS1_3repE0EEENS1_44radix_sort_block_sort_config_static_selectorELNS0_4arch9wavefront6targetE0EEEvSF_, .Lfunc_end261-_ZN7rocprim17ROCPRIM_400000_NS6detail17trampoline_kernelINS0_13kernel_configILj256ELj4ELj4294967295EEENS1_37radix_sort_block_sort_config_selectorIaNS0_10empty_typeEEEZNS1_21radix_sort_block_sortIS4_Lb1EPKaPaPS6_SC_NS0_19identity_decomposerEEE10hipError_tT1_T2_T3_T4_jRjT5_jjP12ihipStream_tbEUlT_E_NS1_11comp_targetILNS1_3genE10ELNS1_11target_archE1200ELNS1_3gpuE4ELNS1_3repE0EEENS1_44radix_sort_block_sort_config_static_selectorELNS0_4arch9wavefront6targetE0EEEvSF_
                                        ; -- End function
	.set _ZN7rocprim17ROCPRIM_400000_NS6detail17trampoline_kernelINS0_13kernel_configILj256ELj4ELj4294967295EEENS1_37radix_sort_block_sort_config_selectorIaNS0_10empty_typeEEEZNS1_21radix_sort_block_sortIS4_Lb1EPKaPaPS6_SC_NS0_19identity_decomposerEEE10hipError_tT1_T2_T3_T4_jRjT5_jjP12ihipStream_tbEUlT_E_NS1_11comp_targetILNS1_3genE10ELNS1_11target_archE1200ELNS1_3gpuE4ELNS1_3repE0EEENS1_44radix_sort_block_sort_config_static_selectorELNS0_4arch9wavefront6targetE0EEEvSF_.num_vgpr, 0
	.set _ZN7rocprim17ROCPRIM_400000_NS6detail17trampoline_kernelINS0_13kernel_configILj256ELj4ELj4294967295EEENS1_37radix_sort_block_sort_config_selectorIaNS0_10empty_typeEEEZNS1_21radix_sort_block_sortIS4_Lb1EPKaPaPS6_SC_NS0_19identity_decomposerEEE10hipError_tT1_T2_T3_T4_jRjT5_jjP12ihipStream_tbEUlT_E_NS1_11comp_targetILNS1_3genE10ELNS1_11target_archE1200ELNS1_3gpuE4ELNS1_3repE0EEENS1_44radix_sort_block_sort_config_static_selectorELNS0_4arch9wavefront6targetE0EEEvSF_.num_agpr, 0
	.set _ZN7rocprim17ROCPRIM_400000_NS6detail17trampoline_kernelINS0_13kernel_configILj256ELj4ELj4294967295EEENS1_37radix_sort_block_sort_config_selectorIaNS0_10empty_typeEEEZNS1_21radix_sort_block_sortIS4_Lb1EPKaPaPS6_SC_NS0_19identity_decomposerEEE10hipError_tT1_T2_T3_T4_jRjT5_jjP12ihipStream_tbEUlT_E_NS1_11comp_targetILNS1_3genE10ELNS1_11target_archE1200ELNS1_3gpuE4ELNS1_3repE0EEENS1_44radix_sort_block_sort_config_static_selectorELNS0_4arch9wavefront6targetE0EEEvSF_.numbered_sgpr, 0
	.set _ZN7rocprim17ROCPRIM_400000_NS6detail17trampoline_kernelINS0_13kernel_configILj256ELj4ELj4294967295EEENS1_37radix_sort_block_sort_config_selectorIaNS0_10empty_typeEEEZNS1_21radix_sort_block_sortIS4_Lb1EPKaPaPS6_SC_NS0_19identity_decomposerEEE10hipError_tT1_T2_T3_T4_jRjT5_jjP12ihipStream_tbEUlT_E_NS1_11comp_targetILNS1_3genE10ELNS1_11target_archE1200ELNS1_3gpuE4ELNS1_3repE0EEENS1_44radix_sort_block_sort_config_static_selectorELNS0_4arch9wavefront6targetE0EEEvSF_.num_named_barrier, 0
	.set _ZN7rocprim17ROCPRIM_400000_NS6detail17trampoline_kernelINS0_13kernel_configILj256ELj4ELj4294967295EEENS1_37radix_sort_block_sort_config_selectorIaNS0_10empty_typeEEEZNS1_21radix_sort_block_sortIS4_Lb1EPKaPaPS6_SC_NS0_19identity_decomposerEEE10hipError_tT1_T2_T3_T4_jRjT5_jjP12ihipStream_tbEUlT_E_NS1_11comp_targetILNS1_3genE10ELNS1_11target_archE1200ELNS1_3gpuE4ELNS1_3repE0EEENS1_44radix_sort_block_sort_config_static_selectorELNS0_4arch9wavefront6targetE0EEEvSF_.private_seg_size, 0
	.set _ZN7rocprim17ROCPRIM_400000_NS6detail17trampoline_kernelINS0_13kernel_configILj256ELj4ELj4294967295EEENS1_37radix_sort_block_sort_config_selectorIaNS0_10empty_typeEEEZNS1_21radix_sort_block_sortIS4_Lb1EPKaPaPS6_SC_NS0_19identity_decomposerEEE10hipError_tT1_T2_T3_T4_jRjT5_jjP12ihipStream_tbEUlT_E_NS1_11comp_targetILNS1_3genE10ELNS1_11target_archE1200ELNS1_3gpuE4ELNS1_3repE0EEENS1_44radix_sort_block_sort_config_static_selectorELNS0_4arch9wavefront6targetE0EEEvSF_.uses_vcc, 0
	.set _ZN7rocprim17ROCPRIM_400000_NS6detail17trampoline_kernelINS0_13kernel_configILj256ELj4ELj4294967295EEENS1_37radix_sort_block_sort_config_selectorIaNS0_10empty_typeEEEZNS1_21radix_sort_block_sortIS4_Lb1EPKaPaPS6_SC_NS0_19identity_decomposerEEE10hipError_tT1_T2_T3_T4_jRjT5_jjP12ihipStream_tbEUlT_E_NS1_11comp_targetILNS1_3genE10ELNS1_11target_archE1200ELNS1_3gpuE4ELNS1_3repE0EEENS1_44radix_sort_block_sort_config_static_selectorELNS0_4arch9wavefront6targetE0EEEvSF_.uses_flat_scratch, 0
	.set _ZN7rocprim17ROCPRIM_400000_NS6detail17trampoline_kernelINS0_13kernel_configILj256ELj4ELj4294967295EEENS1_37radix_sort_block_sort_config_selectorIaNS0_10empty_typeEEEZNS1_21radix_sort_block_sortIS4_Lb1EPKaPaPS6_SC_NS0_19identity_decomposerEEE10hipError_tT1_T2_T3_T4_jRjT5_jjP12ihipStream_tbEUlT_E_NS1_11comp_targetILNS1_3genE10ELNS1_11target_archE1200ELNS1_3gpuE4ELNS1_3repE0EEENS1_44radix_sort_block_sort_config_static_selectorELNS0_4arch9wavefront6targetE0EEEvSF_.has_dyn_sized_stack, 0
	.set _ZN7rocprim17ROCPRIM_400000_NS6detail17trampoline_kernelINS0_13kernel_configILj256ELj4ELj4294967295EEENS1_37radix_sort_block_sort_config_selectorIaNS0_10empty_typeEEEZNS1_21radix_sort_block_sortIS4_Lb1EPKaPaPS6_SC_NS0_19identity_decomposerEEE10hipError_tT1_T2_T3_T4_jRjT5_jjP12ihipStream_tbEUlT_E_NS1_11comp_targetILNS1_3genE10ELNS1_11target_archE1200ELNS1_3gpuE4ELNS1_3repE0EEENS1_44radix_sort_block_sort_config_static_selectorELNS0_4arch9wavefront6targetE0EEEvSF_.has_recursion, 0
	.set _ZN7rocprim17ROCPRIM_400000_NS6detail17trampoline_kernelINS0_13kernel_configILj256ELj4ELj4294967295EEENS1_37radix_sort_block_sort_config_selectorIaNS0_10empty_typeEEEZNS1_21radix_sort_block_sortIS4_Lb1EPKaPaPS6_SC_NS0_19identity_decomposerEEE10hipError_tT1_T2_T3_T4_jRjT5_jjP12ihipStream_tbEUlT_E_NS1_11comp_targetILNS1_3genE10ELNS1_11target_archE1200ELNS1_3gpuE4ELNS1_3repE0EEENS1_44radix_sort_block_sort_config_static_selectorELNS0_4arch9wavefront6targetE0EEEvSF_.has_indirect_call, 0
	.section	.AMDGPU.csdata,"",@progbits
; Kernel info:
; codeLenInByte = 0
; TotalNumSgprs: 0
; NumVgprs: 0
; ScratchSize: 0
; MemoryBound: 0
; FloatMode: 240
; IeeeMode: 1
; LDSByteSize: 0 bytes/workgroup (compile time only)
; SGPRBlocks: 0
; VGPRBlocks: 0
; NumSGPRsForWavesPerEU: 1
; NumVGPRsForWavesPerEU: 1
; NamedBarCnt: 0
; Occupancy: 16
; WaveLimiterHint : 0
; COMPUTE_PGM_RSRC2:SCRATCH_EN: 0
; COMPUTE_PGM_RSRC2:USER_SGPR: 2
; COMPUTE_PGM_RSRC2:TRAP_HANDLER: 0
; COMPUTE_PGM_RSRC2:TGID_X_EN: 1
; COMPUTE_PGM_RSRC2:TGID_Y_EN: 0
; COMPUTE_PGM_RSRC2:TGID_Z_EN: 0
; COMPUTE_PGM_RSRC2:TIDIG_COMP_CNT: 0
	.section	.text._ZN7rocprim17ROCPRIM_400000_NS6detail17trampoline_kernelINS0_13kernel_configILj256ELj4ELj4294967295EEENS1_37radix_sort_block_sort_config_selectorIaNS0_10empty_typeEEEZNS1_21radix_sort_block_sortIS4_Lb1EPKaPaPS6_SC_NS0_19identity_decomposerEEE10hipError_tT1_T2_T3_T4_jRjT5_jjP12ihipStream_tbEUlT_E_NS1_11comp_targetILNS1_3genE9ELNS1_11target_archE1100ELNS1_3gpuE3ELNS1_3repE0EEENS1_44radix_sort_block_sort_config_static_selectorELNS0_4arch9wavefront6targetE0EEEvSF_,"axG",@progbits,_ZN7rocprim17ROCPRIM_400000_NS6detail17trampoline_kernelINS0_13kernel_configILj256ELj4ELj4294967295EEENS1_37radix_sort_block_sort_config_selectorIaNS0_10empty_typeEEEZNS1_21radix_sort_block_sortIS4_Lb1EPKaPaPS6_SC_NS0_19identity_decomposerEEE10hipError_tT1_T2_T3_T4_jRjT5_jjP12ihipStream_tbEUlT_E_NS1_11comp_targetILNS1_3genE9ELNS1_11target_archE1100ELNS1_3gpuE3ELNS1_3repE0EEENS1_44radix_sort_block_sort_config_static_selectorELNS0_4arch9wavefront6targetE0EEEvSF_,comdat
	.protected	_ZN7rocprim17ROCPRIM_400000_NS6detail17trampoline_kernelINS0_13kernel_configILj256ELj4ELj4294967295EEENS1_37radix_sort_block_sort_config_selectorIaNS0_10empty_typeEEEZNS1_21radix_sort_block_sortIS4_Lb1EPKaPaPS6_SC_NS0_19identity_decomposerEEE10hipError_tT1_T2_T3_T4_jRjT5_jjP12ihipStream_tbEUlT_E_NS1_11comp_targetILNS1_3genE9ELNS1_11target_archE1100ELNS1_3gpuE3ELNS1_3repE0EEENS1_44radix_sort_block_sort_config_static_selectorELNS0_4arch9wavefront6targetE0EEEvSF_ ; -- Begin function _ZN7rocprim17ROCPRIM_400000_NS6detail17trampoline_kernelINS0_13kernel_configILj256ELj4ELj4294967295EEENS1_37radix_sort_block_sort_config_selectorIaNS0_10empty_typeEEEZNS1_21radix_sort_block_sortIS4_Lb1EPKaPaPS6_SC_NS0_19identity_decomposerEEE10hipError_tT1_T2_T3_T4_jRjT5_jjP12ihipStream_tbEUlT_E_NS1_11comp_targetILNS1_3genE9ELNS1_11target_archE1100ELNS1_3gpuE3ELNS1_3repE0EEENS1_44radix_sort_block_sort_config_static_selectorELNS0_4arch9wavefront6targetE0EEEvSF_
	.globl	_ZN7rocprim17ROCPRIM_400000_NS6detail17trampoline_kernelINS0_13kernel_configILj256ELj4ELj4294967295EEENS1_37radix_sort_block_sort_config_selectorIaNS0_10empty_typeEEEZNS1_21radix_sort_block_sortIS4_Lb1EPKaPaPS6_SC_NS0_19identity_decomposerEEE10hipError_tT1_T2_T3_T4_jRjT5_jjP12ihipStream_tbEUlT_E_NS1_11comp_targetILNS1_3genE9ELNS1_11target_archE1100ELNS1_3gpuE3ELNS1_3repE0EEENS1_44radix_sort_block_sort_config_static_selectorELNS0_4arch9wavefront6targetE0EEEvSF_
	.p2align	8
	.type	_ZN7rocprim17ROCPRIM_400000_NS6detail17trampoline_kernelINS0_13kernel_configILj256ELj4ELj4294967295EEENS1_37radix_sort_block_sort_config_selectorIaNS0_10empty_typeEEEZNS1_21radix_sort_block_sortIS4_Lb1EPKaPaPS6_SC_NS0_19identity_decomposerEEE10hipError_tT1_T2_T3_T4_jRjT5_jjP12ihipStream_tbEUlT_E_NS1_11comp_targetILNS1_3genE9ELNS1_11target_archE1100ELNS1_3gpuE3ELNS1_3repE0EEENS1_44radix_sort_block_sort_config_static_selectorELNS0_4arch9wavefront6targetE0EEEvSF_,@function
_ZN7rocprim17ROCPRIM_400000_NS6detail17trampoline_kernelINS0_13kernel_configILj256ELj4ELj4294967295EEENS1_37radix_sort_block_sort_config_selectorIaNS0_10empty_typeEEEZNS1_21radix_sort_block_sortIS4_Lb1EPKaPaPS6_SC_NS0_19identity_decomposerEEE10hipError_tT1_T2_T3_T4_jRjT5_jjP12ihipStream_tbEUlT_E_NS1_11comp_targetILNS1_3genE9ELNS1_11target_archE1100ELNS1_3gpuE3ELNS1_3repE0EEENS1_44radix_sort_block_sort_config_static_selectorELNS0_4arch9wavefront6targetE0EEEvSF_: ; @_ZN7rocprim17ROCPRIM_400000_NS6detail17trampoline_kernelINS0_13kernel_configILj256ELj4ELj4294967295EEENS1_37radix_sort_block_sort_config_selectorIaNS0_10empty_typeEEEZNS1_21radix_sort_block_sortIS4_Lb1EPKaPaPS6_SC_NS0_19identity_decomposerEEE10hipError_tT1_T2_T3_T4_jRjT5_jjP12ihipStream_tbEUlT_E_NS1_11comp_targetILNS1_3genE9ELNS1_11target_archE1100ELNS1_3gpuE3ELNS1_3repE0EEENS1_44radix_sort_block_sort_config_static_selectorELNS0_4arch9wavefront6targetE0EEEvSF_
; %bb.0:
	.section	.rodata,"a",@progbits
	.p2align	6, 0x0
	.amdhsa_kernel _ZN7rocprim17ROCPRIM_400000_NS6detail17trampoline_kernelINS0_13kernel_configILj256ELj4ELj4294967295EEENS1_37radix_sort_block_sort_config_selectorIaNS0_10empty_typeEEEZNS1_21radix_sort_block_sortIS4_Lb1EPKaPaPS6_SC_NS0_19identity_decomposerEEE10hipError_tT1_T2_T3_T4_jRjT5_jjP12ihipStream_tbEUlT_E_NS1_11comp_targetILNS1_3genE9ELNS1_11target_archE1100ELNS1_3gpuE3ELNS1_3repE0EEENS1_44radix_sort_block_sort_config_static_selectorELNS0_4arch9wavefront6targetE0EEEvSF_
		.amdhsa_group_segment_fixed_size 0
		.amdhsa_private_segment_fixed_size 0
		.amdhsa_kernarg_size 48
		.amdhsa_user_sgpr_count 2
		.amdhsa_user_sgpr_dispatch_ptr 0
		.amdhsa_user_sgpr_queue_ptr 0
		.amdhsa_user_sgpr_kernarg_segment_ptr 1
		.amdhsa_user_sgpr_dispatch_id 0
		.amdhsa_user_sgpr_kernarg_preload_length 0
		.amdhsa_user_sgpr_kernarg_preload_offset 0
		.amdhsa_user_sgpr_private_segment_size 0
		.amdhsa_wavefront_size32 1
		.amdhsa_uses_dynamic_stack 0
		.amdhsa_enable_private_segment 0
		.amdhsa_system_sgpr_workgroup_id_x 1
		.amdhsa_system_sgpr_workgroup_id_y 0
		.amdhsa_system_sgpr_workgroup_id_z 0
		.amdhsa_system_sgpr_workgroup_info 0
		.amdhsa_system_vgpr_workitem_id 0
		.amdhsa_next_free_vgpr 1
		.amdhsa_next_free_sgpr 1
		.amdhsa_named_barrier_count 0
		.amdhsa_reserve_vcc 0
		.amdhsa_float_round_mode_32 0
		.amdhsa_float_round_mode_16_64 0
		.amdhsa_float_denorm_mode_32 3
		.amdhsa_float_denorm_mode_16_64 3
		.amdhsa_fp16_overflow 0
		.amdhsa_memory_ordered 1
		.amdhsa_forward_progress 1
		.amdhsa_inst_pref_size 0
		.amdhsa_round_robin_scheduling 0
		.amdhsa_exception_fp_ieee_invalid_op 0
		.amdhsa_exception_fp_denorm_src 0
		.amdhsa_exception_fp_ieee_div_zero 0
		.amdhsa_exception_fp_ieee_overflow 0
		.amdhsa_exception_fp_ieee_underflow 0
		.amdhsa_exception_fp_ieee_inexact 0
		.amdhsa_exception_int_div_zero 0
	.end_amdhsa_kernel
	.section	.text._ZN7rocprim17ROCPRIM_400000_NS6detail17trampoline_kernelINS0_13kernel_configILj256ELj4ELj4294967295EEENS1_37radix_sort_block_sort_config_selectorIaNS0_10empty_typeEEEZNS1_21radix_sort_block_sortIS4_Lb1EPKaPaPS6_SC_NS0_19identity_decomposerEEE10hipError_tT1_T2_T3_T4_jRjT5_jjP12ihipStream_tbEUlT_E_NS1_11comp_targetILNS1_3genE9ELNS1_11target_archE1100ELNS1_3gpuE3ELNS1_3repE0EEENS1_44radix_sort_block_sort_config_static_selectorELNS0_4arch9wavefront6targetE0EEEvSF_,"axG",@progbits,_ZN7rocprim17ROCPRIM_400000_NS6detail17trampoline_kernelINS0_13kernel_configILj256ELj4ELj4294967295EEENS1_37radix_sort_block_sort_config_selectorIaNS0_10empty_typeEEEZNS1_21radix_sort_block_sortIS4_Lb1EPKaPaPS6_SC_NS0_19identity_decomposerEEE10hipError_tT1_T2_T3_T4_jRjT5_jjP12ihipStream_tbEUlT_E_NS1_11comp_targetILNS1_3genE9ELNS1_11target_archE1100ELNS1_3gpuE3ELNS1_3repE0EEENS1_44radix_sort_block_sort_config_static_selectorELNS0_4arch9wavefront6targetE0EEEvSF_,comdat
.Lfunc_end262:
	.size	_ZN7rocprim17ROCPRIM_400000_NS6detail17trampoline_kernelINS0_13kernel_configILj256ELj4ELj4294967295EEENS1_37radix_sort_block_sort_config_selectorIaNS0_10empty_typeEEEZNS1_21radix_sort_block_sortIS4_Lb1EPKaPaPS6_SC_NS0_19identity_decomposerEEE10hipError_tT1_T2_T3_T4_jRjT5_jjP12ihipStream_tbEUlT_E_NS1_11comp_targetILNS1_3genE9ELNS1_11target_archE1100ELNS1_3gpuE3ELNS1_3repE0EEENS1_44radix_sort_block_sort_config_static_selectorELNS0_4arch9wavefront6targetE0EEEvSF_, .Lfunc_end262-_ZN7rocprim17ROCPRIM_400000_NS6detail17trampoline_kernelINS0_13kernel_configILj256ELj4ELj4294967295EEENS1_37radix_sort_block_sort_config_selectorIaNS0_10empty_typeEEEZNS1_21radix_sort_block_sortIS4_Lb1EPKaPaPS6_SC_NS0_19identity_decomposerEEE10hipError_tT1_T2_T3_T4_jRjT5_jjP12ihipStream_tbEUlT_E_NS1_11comp_targetILNS1_3genE9ELNS1_11target_archE1100ELNS1_3gpuE3ELNS1_3repE0EEENS1_44radix_sort_block_sort_config_static_selectorELNS0_4arch9wavefront6targetE0EEEvSF_
                                        ; -- End function
	.set _ZN7rocprim17ROCPRIM_400000_NS6detail17trampoline_kernelINS0_13kernel_configILj256ELj4ELj4294967295EEENS1_37radix_sort_block_sort_config_selectorIaNS0_10empty_typeEEEZNS1_21radix_sort_block_sortIS4_Lb1EPKaPaPS6_SC_NS0_19identity_decomposerEEE10hipError_tT1_T2_T3_T4_jRjT5_jjP12ihipStream_tbEUlT_E_NS1_11comp_targetILNS1_3genE9ELNS1_11target_archE1100ELNS1_3gpuE3ELNS1_3repE0EEENS1_44radix_sort_block_sort_config_static_selectorELNS0_4arch9wavefront6targetE0EEEvSF_.num_vgpr, 0
	.set _ZN7rocprim17ROCPRIM_400000_NS6detail17trampoline_kernelINS0_13kernel_configILj256ELj4ELj4294967295EEENS1_37radix_sort_block_sort_config_selectorIaNS0_10empty_typeEEEZNS1_21radix_sort_block_sortIS4_Lb1EPKaPaPS6_SC_NS0_19identity_decomposerEEE10hipError_tT1_T2_T3_T4_jRjT5_jjP12ihipStream_tbEUlT_E_NS1_11comp_targetILNS1_3genE9ELNS1_11target_archE1100ELNS1_3gpuE3ELNS1_3repE0EEENS1_44radix_sort_block_sort_config_static_selectorELNS0_4arch9wavefront6targetE0EEEvSF_.num_agpr, 0
	.set _ZN7rocprim17ROCPRIM_400000_NS6detail17trampoline_kernelINS0_13kernel_configILj256ELj4ELj4294967295EEENS1_37radix_sort_block_sort_config_selectorIaNS0_10empty_typeEEEZNS1_21radix_sort_block_sortIS4_Lb1EPKaPaPS6_SC_NS0_19identity_decomposerEEE10hipError_tT1_T2_T3_T4_jRjT5_jjP12ihipStream_tbEUlT_E_NS1_11comp_targetILNS1_3genE9ELNS1_11target_archE1100ELNS1_3gpuE3ELNS1_3repE0EEENS1_44radix_sort_block_sort_config_static_selectorELNS0_4arch9wavefront6targetE0EEEvSF_.numbered_sgpr, 0
	.set _ZN7rocprim17ROCPRIM_400000_NS6detail17trampoline_kernelINS0_13kernel_configILj256ELj4ELj4294967295EEENS1_37radix_sort_block_sort_config_selectorIaNS0_10empty_typeEEEZNS1_21radix_sort_block_sortIS4_Lb1EPKaPaPS6_SC_NS0_19identity_decomposerEEE10hipError_tT1_T2_T3_T4_jRjT5_jjP12ihipStream_tbEUlT_E_NS1_11comp_targetILNS1_3genE9ELNS1_11target_archE1100ELNS1_3gpuE3ELNS1_3repE0EEENS1_44radix_sort_block_sort_config_static_selectorELNS0_4arch9wavefront6targetE0EEEvSF_.num_named_barrier, 0
	.set _ZN7rocprim17ROCPRIM_400000_NS6detail17trampoline_kernelINS0_13kernel_configILj256ELj4ELj4294967295EEENS1_37radix_sort_block_sort_config_selectorIaNS0_10empty_typeEEEZNS1_21radix_sort_block_sortIS4_Lb1EPKaPaPS6_SC_NS0_19identity_decomposerEEE10hipError_tT1_T2_T3_T4_jRjT5_jjP12ihipStream_tbEUlT_E_NS1_11comp_targetILNS1_3genE9ELNS1_11target_archE1100ELNS1_3gpuE3ELNS1_3repE0EEENS1_44radix_sort_block_sort_config_static_selectorELNS0_4arch9wavefront6targetE0EEEvSF_.private_seg_size, 0
	.set _ZN7rocprim17ROCPRIM_400000_NS6detail17trampoline_kernelINS0_13kernel_configILj256ELj4ELj4294967295EEENS1_37radix_sort_block_sort_config_selectorIaNS0_10empty_typeEEEZNS1_21radix_sort_block_sortIS4_Lb1EPKaPaPS6_SC_NS0_19identity_decomposerEEE10hipError_tT1_T2_T3_T4_jRjT5_jjP12ihipStream_tbEUlT_E_NS1_11comp_targetILNS1_3genE9ELNS1_11target_archE1100ELNS1_3gpuE3ELNS1_3repE0EEENS1_44radix_sort_block_sort_config_static_selectorELNS0_4arch9wavefront6targetE0EEEvSF_.uses_vcc, 0
	.set _ZN7rocprim17ROCPRIM_400000_NS6detail17trampoline_kernelINS0_13kernel_configILj256ELj4ELj4294967295EEENS1_37radix_sort_block_sort_config_selectorIaNS0_10empty_typeEEEZNS1_21radix_sort_block_sortIS4_Lb1EPKaPaPS6_SC_NS0_19identity_decomposerEEE10hipError_tT1_T2_T3_T4_jRjT5_jjP12ihipStream_tbEUlT_E_NS1_11comp_targetILNS1_3genE9ELNS1_11target_archE1100ELNS1_3gpuE3ELNS1_3repE0EEENS1_44radix_sort_block_sort_config_static_selectorELNS0_4arch9wavefront6targetE0EEEvSF_.uses_flat_scratch, 0
	.set _ZN7rocprim17ROCPRIM_400000_NS6detail17trampoline_kernelINS0_13kernel_configILj256ELj4ELj4294967295EEENS1_37radix_sort_block_sort_config_selectorIaNS0_10empty_typeEEEZNS1_21radix_sort_block_sortIS4_Lb1EPKaPaPS6_SC_NS0_19identity_decomposerEEE10hipError_tT1_T2_T3_T4_jRjT5_jjP12ihipStream_tbEUlT_E_NS1_11comp_targetILNS1_3genE9ELNS1_11target_archE1100ELNS1_3gpuE3ELNS1_3repE0EEENS1_44radix_sort_block_sort_config_static_selectorELNS0_4arch9wavefront6targetE0EEEvSF_.has_dyn_sized_stack, 0
	.set _ZN7rocprim17ROCPRIM_400000_NS6detail17trampoline_kernelINS0_13kernel_configILj256ELj4ELj4294967295EEENS1_37radix_sort_block_sort_config_selectorIaNS0_10empty_typeEEEZNS1_21radix_sort_block_sortIS4_Lb1EPKaPaPS6_SC_NS0_19identity_decomposerEEE10hipError_tT1_T2_T3_T4_jRjT5_jjP12ihipStream_tbEUlT_E_NS1_11comp_targetILNS1_3genE9ELNS1_11target_archE1100ELNS1_3gpuE3ELNS1_3repE0EEENS1_44radix_sort_block_sort_config_static_selectorELNS0_4arch9wavefront6targetE0EEEvSF_.has_recursion, 0
	.set _ZN7rocprim17ROCPRIM_400000_NS6detail17trampoline_kernelINS0_13kernel_configILj256ELj4ELj4294967295EEENS1_37radix_sort_block_sort_config_selectorIaNS0_10empty_typeEEEZNS1_21radix_sort_block_sortIS4_Lb1EPKaPaPS6_SC_NS0_19identity_decomposerEEE10hipError_tT1_T2_T3_T4_jRjT5_jjP12ihipStream_tbEUlT_E_NS1_11comp_targetILNS1_3genE9ELNS1_11target_archE1100ELNS1_3gpuE3ELNS1_3repE0EEENS1_44radix_sort_block_sort_config_static_selectorELNS0_4arch9wavefront6targetE0EEEvSF_.has_indirect_call, 0
	.section	.AMDGPU.csdata,"",@progbits
; Kernel info:
; codeLenInByte = 0
; TotalNumSgprs: 0
; NumVgprs: 0
; ScratchSize: 0
; MemoryBound: 0
; FloatMode: 240
; IeeeMode: 1
; LDSByteSize: 0 bytes/workgroup (compile time only)
; SGPRBlocks: 0
; VGPRBlocks: 0
; NumSGPRsForWavesPerEU: 1
; NumVGPRsForWavesPerEU: 1
; NamedBarCnt: 0
; Occupancy: 16
; WaveLimiterHint : 0
; COMPUTE_PGM_RSRC2:SCRATCH_EN: 0
; COMPUTE_PGM_RSRC2:USER_SGPR: 2
; COMPUTE_PGM_RSRC2:TRAP_HANDLER: 0
; COMPUTE_PGM_RSRC2:TGID_X_EN: 1
; COMPUTE_PGM_RSRC2:TGID_Y_EN: 0
; COMPUTE_PGM_RSRC2:TGID_Z_EN: 0
; COMPUTE_PGM_RSRC2:TIDIG_COMP_CNT: 0
	.section	.text._ZN7rocprim17ROCPRIM_400000_NS6detail17trampoline_kernelINS0_13kernel_configILj256ELj4ELj4294967295EEENS1_37radix_sort_block_sort_config_selectorIaNS0_10empty_typeEEEZNS1_21radix_sort_block_sortIS4_Lb1EPKaPaPS6_SC_NS0_19identity_decomposerEEE10hipError_tT1_T2_T3_T4_jRjT5_jjP12ihipStream_tbEUlT_E_NS1_11comp_targetILNS1_3genE8ELNS1_11target_archE1030ELNS1_3gpuE2ELNS1_3repE0EEENS1_44radix_sort_block_sort_config_static_selectorELNS0_4arch9wavefront6targetE0EEEvSF_,"axG",@progbits,_ZN7rocprim17ROCPRIM_400000_NS6detail17trampoline_kernelINS0_13kernel_configILj256ELj4ELj4294967295EEENS1_37radix_sort_block_sort_config_selectorIaNS0_10empty_typeEEEZNS1_21radix_sort_block_sortIS4_Lb1EPKaPaPS6_SC_NS0_19identity_decomposerEEE10hipError_tT1_T2_T3_T4_jRjT5_jjP12ihipStream_tbEUlT_E_NS1_11comp_targetILNS1_3genE8ELNS1_11target_archE1030ELNS1_3gpuE2ELNS1_3repE0EEENS1_44radix_sort_block_sort_config_static_selectorELNS0_4arch9wavefront6targetE0EEEvSF_,comdat
	.protected	_ZN7rocprim17ROCPRIM_400000_NS6detail17trampoline_kernelINS0_13kernel_configILj256ELj4ELj4294967295EEENS1_37radix_sort_block_sort_config_selectorIaNS0_10empty_typeEEEZNS1_21radix_sort_block_sortIS4_Lb1EPKaPaPS6_SC_NS0_19identity_decomposerEEE10hipError_tT1_T2_T3_T4_jRjT5_jjP12ihipStream_tbEUlT_E_NS1_11comp_targetILNS1_3genE8ELNS1_11target_archE1030ELNS1_3gpuE2ELNS1_3repE0EEENS1_44radix_sort_block_sort_config_static_selectorELNS0_4arch9wavefront6targetE0EEEvSF_ ; -- Begin function _ZN7rocprim17ROCPRIM_400000_NS6detail17trampoline_kernelINS0_13kernel_configILj256ELj4ELj4294967295EEENS1_37radix_sort_block_sort_config_selectorIaNS0_10empty_typeEEEZNS1_21radix_sort_block_sortIS4_Lb1EPKaPaPS6_SC_NS0_19identity_decomposerEEE10hipError_tT1_T2_T3_T4_jRjT5_jjP12ihipStream_tbEUlT_E_NS1_11comp_targetILNS1_3genE8ELNS1_11target_archE1030ELNS1_3gpuE2ELNS1_3repE0EEENS1_44radix_sort_block_sort_config_static_selectorELNS0_4arch9wavefront6targetE0EEEvSF_
	.globl	_ZN7rocprim17ROCPRIM_400000_NS6detail17trampoline_kernelINS0_13kernel_configILj256ELj4ELj4294967295EEENS1_37radix_sort_block_sort_config_selectorIaNS0_10empty_typeEEEZNS1_21radix_sort_block_sortIS4_Lb1EPKaPaPS6_SC_NS0_19identity_decomposerEEE10hipError_tT1_T2_T3_T4_jRjT5_jjP12ihipStream_tbEUlT_E_NS1_11comp_targetILNS1_3genE8ELNS1_11target_archE1030ELNS1_3gpuE2ELNS1_3repE0EEENS1_44radix_sort_block_sort_config_static_selectorELNS0_4arch9wavefront6targetE0EEEvSF_
	.p2align	8
	.type	_ZN7rocprim17ROCPRIM_400000_NS6detail17trampoline_kernelINS0_13kernel_configILj256ELj4ELj4294967295EEENS1_37radix_sort_block_sort_config_selectorIaNS0_10empty_typeEEEZNS1_21radix_sort_block_sortIS4_Lb1EPKaPaPS6_SC_NS0_19identity_decomposerEEE10hipError_tT1_T2_T3_T4_jRjT5_jjP12ihipStream_tbEUlT_E_NS1_11comp_targetILNS1_3genE8ELNS1_11target_archE1030ELNS1_3gpuE2ELNS1_3repE0EEENS1_44radix_sort_block_sort_config_static_selectorELNS0_4arch9wavefront6targetE0EEEvSF_,@function
_ZN7rocprim17ROCPRIM_400000_NS6detail17trampoline_kernelINS0_13kernel_configILj256ELj4ELj4294967295EEENS1_37radix_sort_block_sort_config_selectorIaNS0_10empty_typeEEEZNS1_21radix_sort_block_sortIS4_Lb1EPKaPaPS6_SC_NS0_19identity_decomposerEEE10hipError_tT1_T2_T3_T4_jRjT5_jjP12ihipStream_tbEUlT_E_NS1_11comp_targetILNS1_3genE8ELNS1_11target_archE1030ELNS1_3gpuE2ELNS1_3repE0EEENS1_44radix_sort_block_sort_config_static_selectorELNS0_4arch9wavefront6targetE0EEEvSF_: ; @_ZN7rocprim17ROCPRIM_400000_NS6detail17trampoline_kernelINS0_13kernel_configILj256ELj4ELj4294967295EEENS1_37radix_sort_block_sort_config_selectorIaNS0_10empty_typeEEEZNS1_21radix_sort_block_sortIS4_Lb1EPKaPaPS6_SC_NS0_19identity_decomposerEEE10hipError_tT1_T2_T3_T4_jRjT5_jjP12ihipStream_tbEUlT_E_NS1_11comp_targetILNS1_3genE8ELNS1_11target_archE1030ELNS1_3gpuE2ELNS1_3repE0EEENS1_44radix_sort_block_sort_config_static_selectorELNS0_4arch9wavefront6targetE0EEEvSF_
; %bb.0:
	.section	.rodata,"a",@progbits
	.p2align	6, 0x0
	.amdhsa_kernel _ZN7rocprim17ROCPRIM_400000_NS6detail17trampoline_kernelINS0_13kernel_configILj256ELj4ELj4294967295EEENS1_37radix_sort_block_sort_config_selectorIaNS0_10empty_typeEEEZNS1_21radix_sort_block_sortIS4_Lb1EPKaPaPS6_SC_NS0_19identity_decomposerEEE10hipError_tT1_T2_T3_T4_jRjT5_jjP12ihipStream_tbEUlT_E_NS1_11comp_targetILNS1_3genE8ELNS1_11target_archE1030ELNS1_3gpuE2ELNS1_3repE0EEENS1_44radix_sort_block_sort_config_static_selectorELNS0_4arch9wavefront6targetE0EEEvSF_
		.amdhsa_group_segment_fixed_size 0
		.amdhsa_private_segment_fixed_size 0
		.amdhsa_kernarg_size 48
		.amdhsa_user_sgpr_count 2
		.amdhsa_user_sgpr_dispatch_ptr 0
		.amdhsa_user_sgpr_queue_ptr 0
		.amdhsa_user_sgpr_kernarg_segment_ptr 1
		.amdhsa_user_sgpr_dispatch_id 0
		.amdhsa_user_sgpr_kernarg_preload_length 0
		.amdhsa_user_sgpr_kernarg_preload_offset 0
		.amdhsa_user_sgpr_private_segment_size 0
		.amdhsa_wavefront_size32 1
		.amdhsa_uses_dynamic_stack 0
		.amdhsa_enable_private_segment 0
		.amdhsa_system_sgpr_workgroup_id_x 1
		.amdhsa_system_sgpr_workgroup_id_y 0
		.amdhsa_system_sgpr_workgroup_id_z 0
		.amdhsa_system_sgpr_workgroup_info 0
		.amdhsa_system_vgpr_workitem_id 0
		.amdhsa_next_free_vgpr 1
		.amdhsa_next_free_sgpr 1
		.amdhsa_named_barrier_count 0
		.amdhsa_reserve_vcc 0
		.amdhsa_float_round_mode_32 0
		.amdhsa_float_round_mode_16_64 0
		.amdhsa_float_denorm_mode_32 3
		.amdhsa_float_denorm_mode_16_64 3
		.amdhsa_fp16_overflow 0
		.amdhsa_memory_ordered 1
		.amdhsa_forward_progress 1
		.amdhsa_inst_pref_size 0
		.amdhsa_round_robin_scheduling 0
		.amdhsa_exception_fp_ieee_invalid_op 0
		.amdhsa_exception_fp_denorm_src 0
		.amdhsa_exception_fp_ieee_div_zero 0
		.amdhsa_exception_fp_ieee_overflow 0
		.amdhsa_exception_fp_ieee_underflow 0
		.amdhsa_exception_fp_ieee_inexact 0
		.amdhsa_exception_int_div_zero 0
	.end_amdhsa_kernel
	.section	.text._ZN7rocprim17ROCPRIM_400000_NS6detail17trampoline_kernelINS0_13kernel_configILj256ELj4ELj4294967295EEENS1_37radix_sort_block_sort_config_selectorIaNS0_10empty_typeEEEZNS1_21radix_sort_block_sortIS4_Lb1EPKaPaPS6_SC_NS0_19identity_decomposerEEE10hipError_tT1_T2_T3_T4_jRjT5_jjP12ihipStream_tbEUlT_E_NS1_11comp_targetILNS1_3genE8ELNS1_11target_archE1030ELNS1_3gpuE2ELNS1_3repE0EEENS1_44radix_sort_block_sort_config_static_selectorELNS0_4arch9wavefront6targetE0EEEvSF_,"axG",@progbits,_ZN7rocprim17ROCPRIM_400000_NS6detail17trampoline_kernelINS0_13kernel_configILj256ELj4ELj4294967295EEENS1_37radix_sort_block_sort_config_selectorIaNS0_10empty_typeEEEZNS1_21radix_sort_block_sortIS4_Lb1EPKaPaPS6_SC_NS0_19identity_decomposerEEE10hipError_tT1_T2_T3_T4_jRjT5_jjP12ihipStream_tbEUlT_E_NS1_11comp_targetILNS1_3genE8ELNS1_11target_archE1030ELNS1_3gpuE2ELNS1_3repE0EEENS1_44radix_sort_block_sort_config_static_selectorELNS0_4arch9wavefront6targetE0EEEvSF_,comdat
.Lfunc_end263:
	.size	_ZN7rocprim17ROCPRIM_400000_NS6detail17trampoline_kernelINS0_13kernel_configILj256ELj4ELj4294967295EEENS1_37radix_sort_block_sort_config_selectorIaNS0_10empty_typeEEEZNS1_21radix_sort_block_sortIS4_Lb1EPKaPaPS6_SC_NS0_19identity_decomposerEEE10hipError_tT1_T2_T3_T4_jRjT5_jjP12ihipStream_tbEUlT_E_NS1_11comp_targetILNS1_3genE8ELNS1_11target_archE1030ELNS1_3gpuE2ELNS1_3repE0EEENS1_44radix_sort_block_sort_config_static_selectorELNS0_4arch9wavefront6targetE0EEEvSF_, .Lfunc_end263-_ZN7rocprim17ROCPRIM_400000_NS6detail17trampoline_kernelINS0_13kernel_configILj256ELj4ELj4294967295EEENS1_37radix_sort_block_sort_config_selectorIaNS0_10empty_typeEEEZNS1_21radix_sort_block_sortIS4_Lb1EPKaPaPS6_SC_NS0_19identity_decomposerEEE10hipError_tT1_T2_T3_T4_jRjT5_jjP12ihipStream_tbEUlT_E_NS1_11comp_targetILNS1_3genE8ELNS1_11target_archE1030ELNS1_3gpuE2ELNS1_3repE0EEENS1_44radix_sort_block_sort_config_static_selectorELNS0_4arch9wavefront6targetE0EEEvSF_
                                        ; -- End function
	.set _ZN7rocprim17ROCPRIM_400000_NS6detail17trampoline_kernelINS0_13kernel_configILj256ELj4ELj4294967295EEENS1_37radix_sort_block_sort_config_selectorIaNS0_10empty_typeEEEZNS1_21radix_sort_block_sortIS4_Lb1EPKaPaPS6_SC_NS0_19identity_decomposerEEE10hipError_tT1_T2_T3_T4_jRjT5_jjP12ihipStream_tbEUlT_E_NS1_11comp_targetILNS1_3genE8ELNS1_11target_archE1030ELNS1_3gpuE2ELNS1_3repE0EEENS1_44radix_sort_block_sort_config_static_selectorELNS0_4arch9wavefront6targetE0EEEvSF_.num_vgpr, 0
	.set _ZN7rocprim17ROCPRIM_400000_NS6detail17trampoline_kernelINS0_13kernel_configILj256ELj4ELj4294967295EEENS1_37radix_sort_block_sort_config_selectorIaNS0_10empty_typeEEEZNS1_21radix_sort_block_sortIS4_Lb1EPKaPaPS6_SC_NS0_19identity_decomposerEEE10hipError_tT1_T2_T3_T4_jRjT5_jjP12ihipStream_tbEUlT_E_NS1_11comp_targetILNS1_3genE8ELNS1_11target_archE1030ELNS1_3gpuE2ELNS1_3repE0EEENS1_44radix_sort_block_sort_config_static_selectorELNS0_4arch9wavefront6targetE0EEEvSF_.num_agpr, 0
	.set _ZN7rocprim17ROCPRIM_400000_NS6detail17trampoline_kernelINS0_13kernel_configILj256ELj4ELj4294967295EEENS1_37radix_sort_block_sort_config_selectorIaNS0_10empty_typeEEEZNS1_21radix_sort_block_sortIS4_Lb1EPKaPaPS6_SC_NS0_19identity_decomposerEEE10hipError_tT1_T2_T3_T4_jRjT5_jjP12ihipStream_tbEUlT_E_NS1_11comp_targetILNS1_3genE8ELNS1_11target_archE1030ELNS1_3gpuE2ELNS1_3repE0EEENS1_44radix_sort_block_sort_config_static_selectorELNS0_4arch9wavefront6targetE0EEEvSF_.numbered_sgpr, 0
	.set _ZN7rocprim17ROCPRIM_400000_NS6detail17trampoline_kernelINS0_13kernel_configILj256ELj4ELj4294967295EEENS1_37radix_sort_block_sort_config_selectorIaNS0_10empty_typeEEEZNS1_21radix_sort_block_sortIS4_Lb1EPKaPaPS6_SC_NS0_19identity_decomposerEEE10hipError_tT1_T2_T3_T4_jRjT5_jjP12ihipStream_tbEUlT_E_NS1_11comp_targetILNS1_3genE8ELNS1_11target_archE1030ELNS1_3gpuE2ELNS1_3repE0EEENS1_44radix_sort_block_sort_config_static_selectorELNS0_4arch9wavefront6targetE0EEEvSF_.num_named_barrier, 0
	.set _ZN7rocprim17ROCPRIM_400000_NS6detail17trampoline_kernelINS0_13kernel_configILj256ELj4ELj4294967295EEENS1_37radix_sort_block_sort_config_selectorIaNS0_10empty_typeEEEZNS1_21radix_sort_block_sortIS4_Lb1EPKaPaPS6_SC_NS0_19identity_decomposerEEE10hipError_tT1_T2_T3_T4_jRjT5_jjP12ihipStream_tbEUlT_E_NS1_11comp_targetILNS1_3genE8ELNS1_11target_archE1030ELNS1_3gpuE2ELNS1_3repE0EEENS1_44radix_sort_block_sort_config_static_selectorELNS0_4arch9wavefront6targetE0EEEvSF_.private_seg_size, 0
	.set _ZN7rocprim17ROCPRIM_400000_NS6detail17trampoline_kernelINS0_13kernel_configILj256ELj4ELj4294967295EEENS1_37radix_sort_block_sort_config_selectorIaNS0_10empty_typeEEEZNS1_21radix_sort_block_sortIS4_Lb1EPKaPaPS6_SC_NS0_19identity_decomposerEEE10hipError_tT1_T2_T3_T4_jRjT5_jjP12ihipStream_tbEUlT_E_NS1_11comp_targetILNS1_3genE8ELNS1_11target_archE1030ELNS1_3gpuE2ELNS1_3repE0EEENS1_44radix_sort_block_sort_config_static_selectorELNS0_4arch9wavefront6targetE0EEEvSF_.uses_vcc, 0
	.set _ZN7rocprim17ROCPRIM_400000_NS6detail17trampoline_kernelINS0_13kernel_configILj256ELj4ELj4294967295EEENS1_37radix_sort_block_sort_config_selectorIaNS0_10empty_typeEEEZNS1_21radix_sort_block_sortIS4_Lb1EPKaPaPS6_SC_NS0_19identity_decomposerEEE10hipError_tT1_T2_T3_T4_jRjT5_jjP12ihipStream_tbEUlT_E_NS1_11comp_targetILNS1_3genE8ELNS1_11target_archE1030ELNS1_3gpuE2ELNS1_3repE0EEENS1_44radix_sort_block_sort_config_static_selectorELNS0_4arch9wavefront6targetE0EEEvSF_.uses_flat_scratch, 0
	.set _ZN7rocprim17ROCPRIM_400000_NS6detail17trampoline_kernelINS0_13kernel_configILj256ELj4ELj4294967295EEENS1_37radix_sort_block_sort_config_selectorIaNS0_10empty_typeEEEZNS1_21radix_sort_block_sortIS4_Lb1EPKaPaPS6_SC_NS0_19identity_decomposerEEE10hipError_tT1_T2_T3_T4_jRjT5_jjP12ihipStream_tbEUlT_E_NS1_11comp_targetILNS1_3genE8ELNS1_11target_archE1030ELNS1_3gpuE2ELNS1_3repE0EEENS1_44radix_sort_block_sort_config_static_selectorELNS0_4arch9wavefront6targetE0EEEvSF_.has_dyn_sized_stack, 0
	.set _ZN7rocprim17ROCPRIM_400000_NS6detail17trampoline_kernelINS0_13kernel_configILj256ELj4ELj4294967295EEENS1_37radix_sort_block_sort_config_selectorIaNS0_10empty_typeEEEZNS1_21radix_sort_block_sortIS4_Lb1EPKaPaPS6_SC_NS0_19identity_decomposerEEE10hipError_tT1_T2_T3_T4_jRjT5_jjP12ihipStream_tbEUlT_E_NS1_11comp_targetILNS1_3genE8ELNS1_11target_archE1030ELNS1_3gpuE2ELNS1_3repE0EEENS1_44radix_sort_block_sort_config_static_selectorELNS0_4arch9wavefront6targetE0EEEvSF_.has_recursion, 0
	.set _ZN7rocprim17ROCPRIM_400000_NS6detail17trampoline_kernelINS0_13kernel_configILj256ELj4ELj4294967295EEENS1_37radix_sort_block_sort_config_selectorIaNS0_10empty_typeEEEZNS1_21radix_sort_block_sortIS4_Lb1EPKaPaPS6_SC_NS0_19identity_decomposerEEE10hipError_tT1_T2_T3_T4_jRjT5_jjP12ihipStream_tbEUlT_E_NS1_11comp_targetILNS1_3genE8ELNS1_11target_archE1030ELNS1_3gpuE2ELNS1_3repE0EEENS1_44radix_sort_block_sort_config_static_selectorELNS0_4arch9wavefront6targetE0EEEvSF_.has_indirect_call, 0
	.section	.AMDGPU.csdata,"",@progbits
; Kernel info:
; codeLenInByte = 0
; TotalNumSgprs: 0
; NumVgprs: 0
; ScratchSize: 0
; MemoryBound: 0
; FloatMode: 240
; IeeeMode: 1
; LDSByteSize: 0 bytes/workgroup (compile time only)
; SGPRBlocks: 0
; VGPRBlocks: 0
; NumSGPRsForWavesPerEU: 1
; NumVGPRsForWavesPerEU: 1
; NamedBarCnt: 0
; Occupancy: 16
; WaveLimiterHint : 0
; COMPUTE_PGM_RSRC2:SCRATCH_EN: 0
; COMPUTE_PGM_RSRC2:USER_SGPR: 2
; COMPUTE_PGM_RSRC2:TRAP_HANDLER: 0
; COMPUTE_PGM_RSRC2:TGID_X_EN: 1
; COMPUTE_PGM_RSRC2:TGID_Y_EN: 0
; COMPUTE_PGM_RSRC2:TGID_Z_EN: 0
; COMPUTE_PGM_RSRC2:TIDIG_COMP_CNT: 0
	.section	.text._ZN7rocprim17ROCPRIM_400000_NS6detail44device_merge_sort_compile_time_verifier_archINS1_11comp_targetILNS1_3genE0ELNS1_11target_archE4294967295ELNS1_3gpuE0ELNS1_3repE0EEES8_NS1_28merge_sort_block_sort_configILj256ELj4ELNS0_20block_sort_algorithmE0EEENS0_14default_configENS1_37merge_sort_block_sort_config_selectorIaNS0_10empty_typeEEENS1_38merge_sort_block_merge_config_selectorIaSE_EEEEvv,"axG",@progbits,_ZN7rocprim17ROCPRIM_400000_NS6detail44device_merge_sort_compile_time_verifier_archINS1_11comp_targetILNS1_3genE0ELNS1_11target_archE4294967295ELNS1_3gpuE0ELNS1_3repE0EEES8_NS1_28merge_sort_block_sort_configILj256ELj4ELNS0_20block_sort_algorithmE0EEENS0_14default_configENS1_37merge_sort_block_sort_config_selectorIaNS0_10empty_typeEEENS1_38merge_sort_block_merge_config_selectorIaSE_EEEEvv,comdat
	.protected	_ZN7rocprim17ROCPRIM_400000_NS6detail44device_merge_sort_compile_time_verifier_archINS1_11comp_targetILNS1_3genE0ELNS1_11target_archE4294967295ELNS1_3gpuE0ELNS1_3repE0EEES8_NS1_28merge_sort_block_sort_configILj256ELj4ELNS0_20block_sort_algorithmE0EEENS0_14default_configENS1_37merge_sort_block_sort_config_selectorIaNS0_10empty_typeEEENS1_38merge_sort_block_merge_config_selectorIaSE_EEEEvv ; -- Begin function _ZN7rocprim17ROCPRIM_400000_NS6detail44device_merge_sort_compile_time_verifier_archINS1_11comp_targetILNS1_3genE0ELNS1_11target_archE4294967295ELNS1_3gpuE0ELNS1_3repE0EEES8_NS1_28merge_sort_block_sort_configILj256ELj4ELNS0_20block_sort_algorithmE0EEENS0_14default_configENS1_37merge_sort_block_sort_config_selectorIaNS0_10empty_typeEEENS1_38merge_sort_block_merge_config_selectorIaSE_EEEEvv
	.globl	_ZN7rocprim17ROCPRIM_400000_NS6detail44device_merge_sort_compile_time_verifier_archINS1_11comp_targetILNS1_3genE0ELNS1_11target_archE4294967295ELNS1_3gpuE0ELNS1_3repE0EEES8_NS1_28merge_sort_block_sort_configILj256ELj4ELNS0_20block_sort_algorithmE0EEENS0_14default_configENS1_37merge_sort_block_sort_config_selectorIaNS0_10empty_typeEEENS1_38merge_sort_block_merge_config_selectorIaSE_EEEEvv
	.p2align	8
	.type	_ZN7rocprim17ROCPRIM_400000_NS6detail44device_merge_sort_compile_time_verifier_archINS1_11comp_targetILNS1_3genE0ELNS1_11target_archE4294967295ELNS1_3gpuE0ELNS1_3repE0EEES8_NS1_28merge_sort_block_sort_configILj256ELj4ELNS0_20block_sort_algorithmE0EEENS0_14default_configENS1_37merge_sort_block_sort_config_selectorIaNS0_10empty_typeEEENS1_38merge_sort_block_merge_config_selectorIaSE_EEEEvv,@function
_ZN7rocprim17ROCPRIM_400000_NS6detail44device_merge_sort_compile_time_verifier_archINS1_11comp_targetILNS1_3genE0ELNS1_11target_archE4294967295ELNS1_3gpuE0ELNS1_3repE0EEES8_NS1_28merge_sort_block_sort_configILj256ELj4ELNS0_20block_sort_algorithmE0EEENS0_14default_configENS1_37merge_sort_block_sort_config_selectorIaNS0_10empty_typeEEENS1_38merge_sort_block_merge_config_selectorIaSE_EEEEvv: ; @_ZN7rocprim17ROCPRIM_400000_NS6detail44device_merge_sort_compile_time_verifier_archINS1_11comp_targetILNS1_3genE0ELNS1_11target_archE4294967295ELNS1_3gpuE0ELNS1_3repE0EEES8_NS1_28merge_sort_block_sort_configILj256ELj4ELNS0_20block_sort_algorithmE0EEENS0_14default_configENS1_37merge_sort_block_sort_config_selectorIaNS0_10empty_typeEEENS1_38merge_sort_block_merge_config_selectorIaSE_EEEEvv
; %bb.0:
	s_endpgm
	.section	.rodata,"a",@progbits
	.p2align	6, 0x0
	.amdhsa_kernel _ZN7rocprim17ROCPRIM_400000_NS6detail44device_merge_sort_compile_time_verifier_archINS1_11comp_targetILNS1_3genE0ELNS1_11target_archE4294967295ELNS1_3gpuE0ELNS1_3repE0EEES8_NS1_28merge_sort_block_sort_configILj256ELj4ELNS0_20block_sort_algorithmE0EEENS0_14default_configENS1_37merge_sort_block_sort_config_selectorIaNS0_10empty_typeEEENS1_38merge_sort_block_merge_config_selectorIaSE_EEEEvv
		.amdhsa_group_segment_fixed_size 0
		.amdhsa_private_segment_fixed_size 0
		.amdhsa_kernarg_size 0
		.amdhsa_user_sgpr_count 0
		.amdhsa_user_sgpr_dispatch_ptr 0
		.amdhsa_user_sgpr_queue_ptr 0
		.amdhsa_user_sgpr_kernarg_segment_ptr 0
		.amdhsa_user_sgpr_dispatch_id 0
		.amdhsa_user_sgpr_kernarg_preload_length 0
		.amdhsa_user_sgpr_kernarg_preload_offset 0
		.amdhsa_user_sgpr_private_segment_size 0
		.amdhsa_wavefront_size32 1
		.amdhsa_uses_dynamic_stack 0
		.amdhsa_enable_private_segment 0
		.amdhsa_system_sgpr_workgroup_id_x 1
		.amdhsa_system_sgpr_workgroup_id_y 0
		.amdhsa_system_sgpr_workgroup_id_z 0
		.amdhsa_system_sgpr_workgroup_info 0
		.amdhsa_system_vgpr_workitem_id 0
		.amdhsa_next_free_vgpr 1
		.amdhsa_next_free_sgpr 1
		.amdhsa_named_barrier_count 0
		.amdhsa_reserve_vcc 0
		.amdhsa_float_round_mode_32 0
		.amdhsa_float_round_mode_16_64 0
		.amdhsa_float_denorm_mode_32 3
		.amdhsa_float_denorm_mode_16_64 3
		.amdhsa_fp16_overflow 0
		.amdhsa_memory_ordered 1
		.amdhsa_forward_progress 1
		.amdhsa_inst_pref_size 1
		.amdhsa_round_robin_scheduling 0
		.amdhsa_exception_fp_ieee_invalid_op 0
		.amdhsa_exception_fp_denorm_src 0
		.amdhsa_exception_fp_ieee_div_zero 0
		.amdhsa_exception_fp_ieee_overflow 0
		.amdhsa_exception_fp_ieee_underflow 0
		.amdhsa_exception_fp_ieee_inexact 0
		.amdhsa_exception_int_div_zero 0
	.end_amdhsa_kernel
	.section	.text._ZN7rocprim17ROCPRIM_400000_NS6detail44device_merge_sort_compile_time_verifier_archINS1_11comp_targetILNS1_3genE0ELNS1_11target_archE4294967295ELNS1_3gpuE0ELNS1_3repE0EEES8_NS1_28merge_sort_block_sort_configILj256ELj4ELNS0_20block_sort_algorithmE0EEENS0_14default_configENS1_37merge_sort_block_sort_config_selectorIaNS0_10empty_typeEEENS1_38merge_sort_block_merge_config_selectorIaSE_EEEEvv,"axG",@progbits,_ZN7rocprim17ROCPRIM_400000_NS6detail44device_merge_sort_compile_time_verifier_archINS1_11comp_targetILNS1_3genE0ELNS1_11target_archE4294967295ELNS1_3gpuE0ELNS1_3repE0EEES8_NS1_28merge_sort_block_sort_configILj256ELj4ELNS0_20block_sort_algorithmE0EEENS0_14default_configENS1_37merge_sort_block_sort_config_selectorIaNS0_10empty_typeEEENS1_38merge_sort_block_merge_config_selectorIaSE_EEEEvv,comdat
.Lfunc_end264:
	.size	_ZN7rocprim17ROCPRIM_400000_NS6detail44device_merge_sort_compile_time_verifier_archINS1_11comp_targetILNS1_3genE0ELNS1_11target_archE4294967295ELNS1_3gpuE0ELNS1_3repE0EEES8_NS1_28merge_sort_block_sort_configILj256ELj4ELNS0_20block_sort_algorithmE0EEENS0_14default_configENS1_37merge_sort_block_sort_config_selectorIaNS0_10empty_typeEEENS1_38merge_sort_block_merge_config_selectorIaSE_EEEEvv, .Lfunc_end264-_ZN7rocprim17ROCPRIM_400000_NS6detail44device_merge_sort_compile_time_verifier_archINS1_11comp_targetILNS1_3genE0ELNS1_11target_archE4294967295ELNS1_3gpuE0ELNS1_3repE0EEES8_NS1_28merge_sort_block_sort_configILj256ELj4ELNS0_20block_sort_algorithmE0EEENS0_14default_configENS1_37merge_sort_block_sort_config_selectorIaNS0_10empty_typeEEENS1_38merge_sort_block_merge_config_selectorIaSE_EEEEvv
                                        ; -- End function
	.set _ZN7rocprim17ROCPRIM_400000_NS6detail44device_merge_sort_compile_time_verifier_archINS1_11comp_targetILNS1_3genE0ELNS1_11target_archE4294967295ELNS1_3gpuE0ELNS1_3repE0EEES8_NS1_28merge_sort_block_sort_configILj256ELj4ELNS0_20block_sort_algorithmE0EEENS0_14default_configENS1_37merge_sort_block_sort_config_selectorIaNS0_10empty_typeEEENS1_38merge_sort_block_merge_config_selectorIaSE_EEEEvv.num_vgpr, 0
	.set _ZN7rocprim17ROCPRIM_400000_NS6detail44device_merge_sort_compile_time_verifier_archINS1_11comp_targetILNS1_3genE0ELNS1_11target_archE4294967295ELNS1_3gpuE0ELNS1_3repE0EEES8_NS1_28merge_sort_block_sort_configILj256ELj4ELNS0_20block_sort_algorithmE0EEENS0_14default_configENS1_37merge_sort_block_sort_config_selectorIaNS0_10empty_typeEEENS1_38merge_sort_block_merge_config_selectorIaSE_EEEEvv.num_agpr, 0
	.set _ZN7rocprim17ROCPRIM_400000_NS6detail44device_merge_sort_compile_time_verifier_archINS1_11comp_targetILNS1_3genE0ELNS1_11target_archE4294967295ELNS1_3gpuE0ELNS1_3repE0EEES8_NS1_28merge_sort_block_sort_configILj256ELj4ELNS0_20block_sort_algorithmE0EEENS0_14default_configENS1_37merge_sort_block_sort_config_selectorIaNS0_10empty_typeEEENS1_38merge_sort_block_merge_config_selectorIaSE_EEEEvv.numbered_sgpr, 0
	.set _ZN7rocprim17ROCPRIM_400000_NS6detail44device_merge_sort_compile_time_verifier_archINS1_11comp_targetILNS1_3genE0ELNS1_11target_archE4294967295ELNS1_3gpuE0ELNS1_3repE0EEES8_NS1_28merge_sort_block_sort_configILj256ELj4ELNS0_20block_sort_algorithmE0EEENS0_14default_configENS1_37merge_sort_block_sort_config_selectorIaNS0_10empty_typeEEENS1_38merge_sort_block_merge_config_selectorIaSE_EEEEvv.num_named_barrier, 0
	.set _ZN7rocprim17ROCPRIM_400000_NS6detail44device_merge_sort_compile_time_verifier_archINS1_11comp_targetILNS1_3genE0ELNS1_11target_archE4294967295ELNS1_3gpuE0ELNS1_3repE0EEES8_NS1_28merge_sort_block_sort_configILj256ELj4ELNS0_20block_sort_algorithmE0EEENS0_14default_configENS1_37merge_sort_block_sort_config_selectorIaNS0_10empty_typeEEENS1_38merge_sort_block_merge_config_selectorIaSE_EEEEvv.private_seg_size, 0
	.set _ZN7rocprim17ROCPRIM_400000_NS6detail44device_merge_sort_compile_time_verifier_archINS1_11comp_targetILNS1_3genE0ELNS1_11target_archE4294967295ELNS1_3gpuE0ELNS1_3repE0EEES8_NS1_28merge_sort_block_sort_configILj256ELj4ELNS0_20block_sort_algorithmE0EEENS0_14default_configENS1_37merge_sort_block_sort_config_selectorIaNS0_10empty_typeEEENS1_38merge_sort_block_merge_config_selectorIaSE_EEEEvv.uses_vcc, 0
	.set _ZN7rocprim17ROCPRIM_400000_NS6detail44device_merge_sort_compile_time_verifier_archINS1_11comp_targetILNS1_3genE0ELNS1_11target_archE4294967295ELNS1_3gpuE0ELNS1_3repE0EEES8_NS1_28merge_sort_block_sort_configILj256ELj4ELNS0_20block_sort_algorithmE0EEENS0_14default_configENS1_37merge_sort_block_sort_config_selectorIaNS0_10empty_typeEEENS1_38merge_sort_block_merge_config_selectorIaSE_EEEEvv.uses_flat_scratch, 0
	.set _ZN7rocprim17ROCPRIM_400000_NS6detail44device_merge_sort_compile_time_verifier_archINS1_11comp_targetILNS1_3genE0ELNS1_11target_archE4294967295ELNS1_3gpuE0ELNS1_3repE0EEES8_NS1_28merge_sort_block_sort_configILj256ELj4ELNS0_20block_sort_algorithmE0EEENS0_14default_configENS1_37merge_sort_block_sort_config_selectorIaNS0_10empty_typeEEENS1_38merge_sort_block_merge_config_selectorIaSE_EEEEvv.has_dyn_sized_stack, 0
	.set _ZN7rocprim17ROCPRIM_400000_NS6detail44device_merge_sort_compile_time_verifier_archINS1_11comp_targetILNS1_3genE0ELNS1_11target_archE4294967295ELNS1_3gpuE0ELNS1_3repE0EEES8_NS1_28merge_sort_block_sort_configILj256ELj4ELNS0_20block_sort_algorithmE0EEENS0_14default_configENS1_37merge_sort_block_sort_config_selectorIaNS0_10empty_typeEEENS1_38merge_sort_block_merge_config_selectorIaSE_EEEEvv.has_recursion, 0
	.set _ZN7rocprim17ROCPRIM_400000_NS6detail44device_merge_sort_compile_time_verifier_archINS1_11comp_targetILNS1_3genE0ELNS1_11target_archE4294967295ELNS1_3gpuE0ELNS1_3repE0EEES8_NS1_28merge_sort_block_sort_configILj256ELj4ELNS0_20block_sort_algorithmE0EEENS0_14default_configENS1_37merge_sort_block_sort_config_selectorIaNS0_10empty_typeEEENS1_38merge_sort_block_merge_config_selectorIaSE_EEEEvv.has_indirect_call, 0
	.section	.AMDGPU.csdata,"",@progbits
; Kernel info:
; codeLenInByte = 4
; TotalNumSgprs: 0
; NumVgprs: 0
; ScratchSize: 0
; MemoryBound: 0
; FloatMode: 240
; IeeeMode: 1
; LDSByteSize: 0 bytes/workgroup (compile time only)
; SGPRBlocks: 0
; VGPRBlocks: 0
; NumSGPRsForWavesPerEU: 1
; NumVGPRsForWavesPerEU: 1
; NamedBarCnt: 0
; Occupancy: 16
; WaveLimiterHint : 0
; COMPUTE_PGM_RSRC2:SCRATCH_EN: 0
; COMPUTE_PGM_RSRC2:USER_SGPR: 0
; COMPUTE_PGM_RSRC2:TRAP_HANDLER: 0
; COMPUTE_PGM_RSRC2:TGID_X_EN: 1
; COMPUTE_PGM_RSRC2:TGID_Y_EN: 0
; COMPUTE_PGM_RSRC2:TGID_Z_EN: 0
; COMPUTE_PGM_RSRC2:TIDIG_COMP_CNT: 0
	.section	.text._ZN7rocprim17ROCPRIM_400000_NS6detail44device_merge_sort_compile_time_verifier_archINS1_11comp_targetILNS1_3genE5ELNS1_11target_archE942ELNS1_3gpuE9ELNS1_3repE0EEES8_NS1_28merge_sort_block_sort_configILj256ELj4ELNS0_20block_sort_algorithmE0EEENS0_14default_configENS1_37merge_sort_block_sort_config_selectorIaNS0_10empty_typeEEENS1_38merge_sort_block_merge_config_selectorIaSE_EEEEvv,"axG",@progbits,_ZN7rocprim17ROCPRIM_400000_NS6detail44device_merge_sort_compile_time_verifier_archINS1_11comp_targetILNS1_3genE5ELNS1_11target_archE942ELNS1_3gpuE9ELNS1_3repE0EEES8_NS1_28merge_sort_block_sort_configILj256ELj4ELNS0_20block_sort_algorithmE0EEENS0_14default_configENS1_37merge_sort_block_sort_config_selectorIaNS0_10empty_typeEEENS1_38merge_sort_block_merge_config_selectorIaSE_EEEEvv,comdat
	.protected	_ZN7rocprim17ROCPRIM_400000_NS6detail44device_merge_sort_compile_time_verifier_archINS1_11comp_targetILNS1_3genE5ELNS1_11target_archE942ELNS1_3gpuE9ELNS1_3repE0EEES8_NS1_28merge_sort_block_sort_configILj256ELj4ELNS0_20block_sort_algorithmE0EEENS0_14default_configENS1_37merge_sort_block_sort_config_selectorIaNS0_10empty_typeEEENS1_38merge_sort_block_merge_config_selectorIaSE_EEEEvv ; -- Begin function _ZN7rocprim17ROCPRIM_400000_NS6detail44device_merge_sort_compile_time_verifier_archINS1_11comp_targetILNS1_3genE5ELNS1_11target_archE942ELNS1_3gpuE9ELNS1_3repE0EEES8_NS1_28merge_sort_block_sort_configILj256ELj4ELNS0_20block_sort_algorithmE0EEENS0_14default_configENS1_37merge_sort_block_sort_config_selectorIaNS0_10empty_typeEEENS1_38merge_sort_block_merge_config_selectorIaSE_EEEEvv
	.globl	_ZN7rocprim17ROCPRIM_400000_NS6detail44device_merge_sort_compile_time_verifier_archINS1_11comp_targetILNS1_3genE5ELNS1_11target_archE942ELNS1_3gpuE9ELNS1_3repE0EEES8_NS1_28merge_sort_block_sort_configILj256ELj4ELNS0_20block_sort_algorithmE0EEENS0_14default_configENS1_37merge_sort_block_sort_config_selectorIaNS0_10empty_typeEEENS1_38merge_sort_block_merge_config_selectorIaSE_EEEEvv
	.p2align	8
	.type	_ZN7rocprim17ROCPRIM_400000_NS6detail44device_merge_sort_compile_time_verifier_archINS1_11comp_targetILNS1_3genE5ELNS1_11target_archE942ELNS1_3gpuE9ELNS1_3repE0EEES8_NS1_28merge_sort_block_sort_configILj256ELj4ELNS0_20block_sort_algorithmE0EEENS0_14default_configENS1_37merge_sort_block_sort_config_selectorIaNS0_10empty_typeEEENS1_38merge_sort_block_merge_config_selectorIaSE_EEEEvv,@function
_ZN7rocprim17ROCPRIM_400000_NS6detail44device_merge_sort_compile_time_verifier_archINS1_11comp_targetILNS1_3genE5ELNS1_11target_archE942ELNS1_3gpuE9ELNS1_3repE0EEES8_NS1_28merge_sort_block_sort_configILj256ELj4ELNS0_20block_sort_algorithmE0EEENS0_14default_configENS1_37merge_sort_block_sort_config_selectorIaNS0_10empty_typeEEENS1_38merge_sort_block_merge_config_selectorIaSE_EEEEvv: ; @_ZN7rocprim17ROCPRIM_400000_NS6detail44device_merge_sort_compile_time_verifier_archINS1_11comp_targetILNS1_3genE5ELNS1_11target_archE942ELNS1_3gpuE9ELNS1_3repE0EEES8_NS1_28merge_sort_block_sort_configILj256ELj4ELNS0_20block_sort_algorithmE0EEENS0_14default_configENS1_37merge_sort_block_sort_config_selectorIaNS0_10empty_typeEEENS1_38merge_sort_block_merge_config_selectorIaSE_EEEEvv
; %bb.0:
	s_endpgm
	.section	.rodata,"a",@progbits
	.p2align	6, 0x0
	.amdhsa_kernel _ZN7rocprim17ROCPRIM_400000_NS6detail44device_merge_sort_compile_time_verifier_archINS1_11comp_targetILNS1_3genE5ELNS1_11target_archE942ELNS1_3gpuE9ELNS1_3repE0EEES8_NS1_28merge_sort_block_sort_configILj256ELj4ELNS0_20block_sort_algorithmE0EEENS0_14default_configENS1_37merge_sort_block_sort_config_selectorIaNS0_10empty_typeEEENS1_38merge_sort_block_merge_config_selectorIaSE_EEEEvv
		.amdhsa_group_segment_fixed_size 0
		.amdhsa_private_segment_fixed_size 0
		.amdhsa_kernarg_size 0
		.amdhsa_user_sgpr_count 0
		.amdhsa_user_sgpr_dispatch_ptr 0
		.amdhsa_user_sgpr_queue_ptr 0
		.amdhsa_user_sgpr_kernarg_segment_ptr 0
		.amdhsa_user_sgpr_dispatch_id 0
		.amdhsa_user_sgpr_kernarg_preload_length 0
		.amdhsa_user_sgpr_kernarg_preload_offset 0
		.amdhsa_user_sgpr_private_segment_size 0
		.amdhsa_wavefront_size32 1
		.amdhsa_uses_dynamic_stack 0
		.amdhsa_enable_private_segment 0
		.amdhsa_system_sgpr_workgroup_id_x 1
		.amdhsa_system_sgpr_workgroup_id_y 0
		.amdhsa_system_sgpr_workgroup_id_z 0
		.amdhsa_system_sgpr_workgroup_info 0
		.amdhsa_system_vgpr_workitem_id 0
		.amdhsa_next_free_vgpr 1
		.amdhsa_next_free_sgpr 1
		.amdhsa_named_barrier_count 0
		.amdhsa_reserve_vcc 0
		.amdhsa_float_round_mode_32 0
		.amdhsa_float_round_mode_16_64 0
		.amdhsa_float_denorm_mode_32 3
		.amdhsa_float_denorm_mode_16_64 3
		.amdhsa_fp16_overflow 0
		.amdhsa_memory_ordered 1
		.amdhsa_forward_progress 1
		.amdhsa_inst_pref_size 1
		.amdhsa_round_robin_scheduling 0
		.amdhsa_exception_fp_ieee_invalid_op 0
		.amdhsa_exception_fp_denorm_src 0
		.amdhsa_exception_fp_ieee_div_zero 0
		.amdhsa_exception_fp_ieee_overflow 0
		.amdhsa_exception_fp_ieee_underflow 0
		.amdhsa_exception_fp_ieee_inexact 0
		.amdhsa_exception_int_div_zero 0
	.end_amdhsa_kernel
	.section	.text._ZN7rocprim17ROCPRIM_400000_NS6detail44device_merge_sort_compile_time_verifier_archINS1_11comp_targetILNS1_3genE5ELNS1_11target_archE942ELNS1_3gpuE9ELNS1_3repE0EEES8_NS1_28merge_sort_block_sort_configILj256ELj4ELNS0_20block_sort_algorithmE0EEENS0_14default_configENS1_37merge_sort_block_sort_config_selectorIaNS0_10empty_typeEEENS1_38merge_sort_block_merge_config_selectorIaSE_EEEEvv,"axG",@progbits,_ZN7rocprim17ROCPRIM_400000_NS6detail44device_merge_sort_compile_time_verifier_archINS1_11comp_targetILNS1_3genE5ELNS1_11target_archE942ELNS1_3gpuE9ELNS1_3repE0EEES8_NS1_28merge_sort_block_sort_configILj256ELj4ELNS0_20block_sort_algorithmE0EEENS0_14default_configENS1_37merge_sort_block_sort_config_selectorIaNS0_10empty_typeEEENS1_38merge_sort_block_merge_config_selectorIaSE_EEEEvv,comdat
.Lfunc_end265:
	.size	_ZN7rocprim17ROCPRIM_400000_NS6detail44device_merge_sort_compile_time_verifier_archINS1_11comp_targetILNS1_3genE5ELNS1_11target_archE942ELNS1_3gpuE9ELNS1_3repE0EEES8_NS1_28merge_sort_block_sort_configILj256ELj4ELNS0_20block_sort_algorithmE0EEENS0_14default_configENS1_37merge_sort_block_sort_config_selectorIaNS0_10empty_typeEEENS1_38merge_sort_block_merge_config_selectorIaSE_EEEEvv, .Lfunc_end265-_ZN7rocprim17ROCPRIM_400000_NS6detail44device_merge_sort_compile_time_verifier_archINS1_11comp_targetILNS1_3genE5ELNS1_11target_archE942ELNS1_3gpuE9ELNS1_3repE0EEES8_NS1_28merge_sort_block_sort_configILj256ELj4ELNS0_20block_sort_algorithmE0EEENS0_14default_configENS1_37merge_sort_block_sort_config_selectorIaNS0_10empty_typeEEENS1_38merge_sort_block_merge_config_selectorIaSE_EEEEvv
                                        ; -- End function
	.set _ZN7rocprim17ROCPRIM_400000_NS6detail44device_merge_sort_compile_time_verifier_archINS1_11comp_targetILNS1_3genE5ELNS1_11target_archE942ELNS1_3gpuE9ELNS1_3repE0EEES8_NS1_28merge_sort_block_sort_configILj256ELj4ELNS0_20block_sort_algorithmE0EEENS0_14default_configENS1_37merge_sort_block_sort_config_selectorIaNS0_10empty_typeEEENS1_38merge_sort_block_merge_config_selectorIaSE_EEEEvv.num_vgpr, 0
	.set _ZN7rocprim17ROCPRIM_400000_NS6detail44device_merge_sort_compile_time_verifier_archINS1_11comp_targetILNS1_3genE5ELNS1_11target_archE942ELNS1_3gpuE9ELNS1_3repE0EEES8_NS1_28merge_sort_block_sort_configILj256ELj4ELNS0_20block_sort_algorithmE0EEENS0_14default_configENS1_37merge_sort_block_sort_config_selectorIaNS0_10empty_typeEEENS1_38merge_sort_block_merge_config_selectorIaSE_EEEEvv.num_agpr, 0
	.set _ZN7rocprim17ROCPRIM_400000_NS6detail44device_merge_sort_compile_time_verifier_archINS1_11comp_targetILNS1_3genE5ELNS1_11target_archE942ELNS1_3gpuE9ELNS1_3repE0EEES8_NS1_28merge_sort_block_sort_configILj256ELj4ELNS0_20block_sort_algorithmE0EEENS0_14default_configENS1_37merge_sort_block_sort_config_selectorIaNS0_10empty_typeEEENS1_38merge_sort_block_merge_config_selectorIaSE_EEEEvv.numbered_sgpr, 0
	.set _ZN7rocprim17ROCPRIM_400000_NS6detail44device_merge_sort_compile_time_verifier_archINS1_11comp_targetILNS1_3genE5ELNS1_11target_archE942ELNS1_3gpuE9ELNS1_3repE0EEES8_NS1_28merge_sort_block_sort_configILj256ELj4ELNS0_20block_sort_algorithmE0EEENS0_14default_configENS1_37merge_sort_block_sort_config_selectorIaNS0_10empty_typeEEENS1_38merge_sort_block_merge_config_selectorIaSE_EEEEvv.num_named_barrier, 0
	.set _ZN7rocprim17ROCPRIM_400000_NS6detail44device_merge_sort_compile_time_verifier_archINS1_11comp_targetILNS1_3genE5ELNS1_11target_archE942ELNS1_3gpuE9ELNS1_3repE0EEES8_NS1_28merge_sort_block_sort_configILj256ELj4ELNS0_20block_sort_algorithmE0EEENS0_14default_configENS1_37merge_sort_block_sort_config_selectorIaNS0_10empty_typeEEENS1_38merge_sort_block_merge_config_selectorIaSE_EEEEvv.private_seg_size, 0
	.set _ZN7rocprim17ROCPRIM_400000_NS6detail44device_merge_sort_compile_time_verifier_archINS1_11comp_targetILNS1_3genE5ELNS1_11target_archE942ELNS1_3gpuE9ELNS1_3repE0EEES8_NS1_28merge_sort_block_sort_configILj256ELj4ELNS0_20block_sort_algorithmE0EEENS0_14default_configENS1_37merge_sort_block_sort_config_selectorIaNS0_10empty_typeEEENS1_38merge_sort_block_merge_config_selectorIaSE_EEEEvv.uses_vcc, 0
	.set _ZN7rocprim17ROCPRIM_400000_NS6detail44device_merge_sort_compile_time_verifier_archINS1_11comp_targetILNS1_3genE5ELNS1_11target_archE942ELNS1_3gpuE9ELNS1_3repE0EEES8_NS1_28merge_sort_block_sort_configILj256ELj4ELNS0_20block_sort_algorithmE0EEENS0_14default_configENS1_37merge_sort_block_sort_config_selectorIaNS0_10empty_typeEEENS1_38merge_sort_block_merge_config_selectorIaSE_EEEEvv.uses_flat_scratch, 0
	.set _ZN7rocprim17ROCPRIM_400000_NS6detail44device_merge_sort_compile_time_verifier_archINS1_11comp_targetILNS1_3genE5ELNS1_11target_archE942ELNS1_3gpuE9ELNS1_3repE0EEES8_NS1_28merge_sort_block_sort_configILj256ELj4ELNS0_20block_sort_algorithmE0EEENS0_14default_configENS1_37merge_sort_block_sort_config_selectorIaNS0_10empty_typeEEENS1_38merge_sort_block_merge_config_selectorIaSE_EEEEvv.has_dyn_sized_stack, 0
	.set _ZN7rocprim17ROCPRIM_400000_NS6detail44device_merge_sort_compile_time_verifier_archINS1_11comp_targetILNS1_3genE5ELNS1_11target_archE942ELNS1_3gpuE9ELNS1_3repE0EEES8_NS1_28merge_sort_block_sort_configILj256ELj4ELNS0_20block_sort_algorithmE0EEENS0_14default_configENS1_37merge_sort_block_sort_config_selectorIaNS0_10empty_typeEEENS1_38merge_sort_block_merge_config_selectorIaSE_EEEEvv.has_recursion, 0
	.set _ZN7rocprim17ROCPRIM_400000_NS6detail44device_merge_sort_compile_time_verifier_archINS1_11comp_targetILNS1_3genE5ELNS1_11target_archE942ELNS1_3gpuE9ELNS1_3repE0EEES8_NS1_28merge_sort_block_sort_configILj256ELj4ELNS0_20block_sort_algorithmE0EEENS0_14default_configENS1_37merge_sort_block_sort_config_selectorIaNS0_10empty_typeEEENS1_38merge_sort_block_merge_config_selectorIaSE_EEEEvv.has_indirect_call, 0
	.section	.AMDGPU.csdata,"",@progbits
; Kernel info:
; codeLenInByte = 4
; TotalNumSgprs: 0
; NumVgprs: 0
; ScratchSize: 0
; MemoryBound: 0
; FloatMode: 240
; IeeeMode: 1
; LDSByteSize: 0 bytes/workgroup (compile time only)
; SGPRBlocks: 0
; VGPRBlocks: 0
; NumSGPRsForWavesPerEU: 1
; NumVGPRsForWavesPerEU: 1
; NamedBarCnt: 0
; Occupancy: 16
; WaveLimiterHint : 0
; COMPUTE_PGM_RSRC2:SCRATCH_EN: 0
; COMPUTE_PGM_RSRC2:USER_SGPR: 0
; COMPUTE_PGM_RSRC2:TRAP_HANDLER: 0
; COMPUTE_PGM_RSRC2:TGID_X_EN: 1
; COMPUTE_PGM_RSRC2:TGID_Y_EN: 0
; COMPUTE_PGM_RSRC2:TGID_Z_EN: 0
; COMPUTE_PGM_RSRC2:TIDIG_COMP_CNT: 0
	.section	.text._ZN7rocprim17ROCPRIM_400000_NS6detail44device_merge_sort_compile_time_verifier_archINS1_11comp_targetILNS1_3genE4ELNS1_11target_archE910ELNS1_3gpuE8ELNS1_3repE0EEES8_NS1_28merge_sort_block_sort_configILj256ELj4ELNS0_20block_sort_algorithmE0EEENS0_14default_configENS1_37merge_sort_block_sort_config_selectorIaNS0_10empty_typeEEENS1_38merge_sort_block_merge_config_selectorIaSE_EEEEvv,"axG",@progbits,_ZN7rocprim17ROCPRIM_400000_NS6detail44device_merge_sort_compile_time_verifier_archINS1_11comp_targetILNS1_3genE4ELNS1_11target_archE910ELNS1_3gpuE8ELNS1_3repE0EEES8_NS1_28merge_sort_block_sort_configILj256ELj4ELNS0_20block_sort_algorithmE0EEENS0_14default_configENS1_37merge_sort_block_sort_config_selectorIaNS0_10empty_typeEEENS1_38merge_sort_block_merge_config_selectorIaSE_EEEEvv,comdat
	.protected	_ZN7rocprim17ROCPRIM_400000_NS6detail44device_merge_sort_compile_time_verifier_archINS1_11comp_targetILNS1_3genE4ELNS1_11target_archE910ELNS1_3gpuE8ELNS1_3repE0EEES8_NS1_28merge_sort_block_sort_configILj256ELj4ELNS0_20block_sort_algorithmE0EEENS0_14default_configENS1_37merge_sort_block_sort_config_selectorIaNS0_10empty_typeEEENS1_38merge_sort_block_merge_config_selectorIaSE_EEEEvv ; -- Begin function _ZN7rocprim17ROCPRIM_400000_NS6detail44device_merge_sort_compile_time_verifier_archINS1_11comp_targetILNS1_3genE4ELNS1_11target_archE910ELNS1_3gpuE8ELNS1_3repE0EEES8_NS1_28merge_sort_block_sort_configILj256ELj4ELNS0_20block_sort_algorithmE0EEENS0_14default_configENS1_37merge_sort_block_sort_config_selectorIaNS0_10empty_typeEEENS1_38merge_sort_block_merge_config_selectorIaSE_EEEEvv
	.globl	_ZN7rocprim17ROCPRIM_400000_NS6detail44device_merge_sort_compile_time_verifier_archINS1_11comp_targetILNS1_3genE4ELNS1_11target_archE910ELNS1_3gpuE8ELNS1_3repE0EEES8_NS1_28merge_sort_block_sort_configILj256ELj4ELNS0_20block_sort_algorithmE0EEENS0_14default_configENS1_37merge_sort_block_sort_config_selectorIaNS0_10empty_typeEEENS1_38merge_sort_block_merge_config_selectorIaSE_EEEEvv
	.p2align	8
	.type	_ZN7rocprim17ROCPRIM_400000_NS6detail44device_merge_sort_compile_time_verifier_archINS1_11comp_targetILNS1_3genE4ELNS1_11target_archE910ELNS1_3gpuE8ELNS1_3repE0EEES8_NS1_28merge_sort_block_sort_configILj256ELj4ELNS0_20block_sort_algorithmE0EEENS0_14default_configENS1_37merge_sort_block_sort_config_selectorIaNS0_10empty_typeEEENS1_38merge_sort_block_merge_config_selectorIaSE_EEEEvv,@function
_ZN7rocprim17ROCPRIM_400000_NS6detail44device_merge_sort_compile_time_verifier_archINS1_11comp_targetILNS1_3genE4ELNS1_11target_archE910ELNS1_3gpuE8ELNS1_3repE0EEES8_NS1_28merge_sort_block_sort_configILj256ELj4ELNS0_20block_sort_algorithmE0EEENS0_14default_configENS1_37merge_sort_block_sort_config_selectorIaNS0_10empty_typeEEENS1_38merge_sort_block_merge_config_selectorIaSE_EEEEvv: ; @_ZN7rocprim17ROCPRIM_400000_NS6detail44device_merge_sort_compile_time_verifier_archINS1_11comp_targetILNS1_3genE4ELNS1_11target_archE910ELNS1_3gpuE8ELNS1_3repE0EEES8_NS1_28merge_sort_block_sort_configILj256ELj4ELNS0_20block_sort_algorithmE0EEENS0_14default_configENS1_37merge_sort_block_sort_config_selectorIaNS0_10empty_typeEEENS1_38merge_sort_block_merge_config_selectorIaSE_EEEEvv
; %bb.0:
	s_endpgm
	.section	.rodata,"a",@progbits
	.p2align	6, 0x0
	.amdhsa_kernel _ZN7rocprim17ROCPRIM_400000_NS6detail44device_merge_sort_compile_time_verifier_archINS1_11comp_targetILNS1_3genE4ELNS1_11target_archE910ELNS1_3gpuE8ELNS1_3repE0EEES8_NS1_28merge_sort_block_sort_configILj256ELj4ELNS0_20block_sort_algorithmE0EEENS0_14default_configENS1_37merge_sort_block_sort_config_selectorIaNS0_10empty_typeEEENS1_38merge_sort_block_merge_config_selectorIaSE_EEEEvv
		.amdhsa_group_segment_fixed_size 0
		.amdhsa_private_segment_fixed_size 0
		.amdhsa_kernarg_size 0
		.amdhsa_user_sgpr_count 0
		.amdhsa_user_sgpr_dispatch_ptr 0
		.amdhsa_user_sgpr_queue_ptr 0
		.amdhsa_user_sgpr_kernarg_segment_ptr 0
		.amdhsa_user_sgpr_dispatch_id 0
		.amdhsa_user_sgpr_kernarg_preload_length 0
		.amdhsa_user_sgpr_kernarg_preload_offset 0
		.amdhsa_user_sgpr_private_segment_size 0
		.amdhsa_wavefront_size32 1
		.amdhsa_uses_dynamic_stack 0
		.amdhsa_enable_private_segment 0
		.amdhsa_system_sgpr_workgroup_id_x 1
		.amdhsa_system_sgpr_workgroup_id_y 0
		.amdhsa_system_sgpr_workgroup_id_z 0
		.amdhsa_system_sgpr_workgroup_info 0
		.amdhsa_system_vgpr_workitem_id 0
		.amdhsa_next_free_vgpr 1
		.amdhsa_next_free_sgpr 1
		.amdhsa_named_barrier_count 0
		.amdhsa_reserve_vcc 0
		.amdhsa_float_round_mode_32 0
		.amdhsa_float_round_mode_16_64 0
		.amdhsa_float_denorm_mode_32 3
		.amdhsa_float_denorm_mode_16_64 3
		.amdhsa_fp16_overflow 0
		.amdhsa_memory_ordered 1
		.amdhsa_forward_progress 1
		.amdhsa_inst_pref_size 1
		.amdhsa_round_robin_scheduling 0
		.amdhsa_exception_fp_ieee_invalid_op 0
		.amdhsa_exception_fp_denorm_src 0
		.amdhsa_exception_fp_ieee_div_zero 0
		.amdhsa_exception_fp_ieee_overflow 0
		.amdhsa_exception_fp_ieee_underflow 0
		.amdhsa_exception_fp_ieee_inexact 0
		.amdhsa_exception_int_div_zero 0
	.end_amdhsa_kernel
	.section	.text._ZN7rocprim17ROCPRIM_400000_NS6detail44device_merge_sort_compile_time_verifier_archINS1_11comp_targetILNS1_3genE4ELNS1_11target_archE910ELNS1_3gpuE8ELNS1_3repE0EEES8_NS1_28merge_sort_block_sort_configILj256ELj4ELNS0_20block_sort_algorithmE0EEENS0_14default_configENS1_37merge_sort_block_sort_config_selectorIaNS0_10empty_typeEEENS1_38merge_sort_block_merge_config_selectorIaSE_EEEEvv,"axG",@progbits,_ZN7rocprim17ROCPRIM_400000_NS6detail44device_merge_sort_compile_time_verifier_archINS1_11comp_targetILNS1_3genE4ELNS1_11target_archE910ELNS1_3gpuE8ELNS1_3repE0EEES8_NS1_28merge_sort_block_sort_configILj256ELj4ELNS0_20block_sort_algorithmE0EEENS0_14default_configENS1_37merge_sort_block_sort_config_selectorIaNS0_10empty_typeEEENS1_38merge_sort_block_merge_config_selectorIaSE_EEEEvv,comdat
.Lfunc_end266:
	.size	_ZN7rocprim17ROCPRIM_400000_NS6detail44device_merge_sort_compile_time_verifier_archINS1_11comp_targetILNS1_3genE4ELNS1_11target_archE910ELNS1_3gpuE8ELNS1_3repE0EEES8_NS1_28merge_sort_block_sort_configILj256ELj4ELNS0_20block_sort_algorithmE0EEENS0_14default_configENS1_37merge_sort_block_sort_config_selectorIaNS0_10empty_typeEEENS1_38merge_sort_block_merge_config_selectorIaSE_EEEEvv, .Lfunc_end266-_ZN7rocprim17ROCPRIM_400000_NS6detail44device_merge_sort_compile_time_verifier_archINS1_11comp_targetILNS1_3genE4ELNS1_11target_archE910ELNS1_3gpuE8ELNS1_3repE0EEES8_NS1_28merge_sort_block_sort_configILj256ELj4ELNS0_20block_sort_algorithmE0EEENS0_14default_configENS1_37merge_sort_block_sort_config_selectorIaNS0_10empty_typeEEENS1_38merge_sort_block_merge_config_selectorIaSE_EEEEvv
                                        ; -- End function
	.set _ZN7rocprim17ROCPRIM_400000_NS6detail44device_merge_sort_compile_time_verifier_archINS1_11comp_targetILNS1_3genE4ELNS1_11target_archE910ELNS1_3gpuE8ELNS1_3repE0EEES8_NS1_28merge_sort_block_sort_configILj256ELj4ELNS0_20block_sort_algorithmE0EEENS0_14default_configENS1_37merge_sort_block_sort_config_selectorIaNS0_10empty_typeEEENS1_38merge_sort_block_merge_config_selectorIaSE_EEEEvv.num_vgpr, 0
	.set _ZN7rocprim17ROCPRIM_400000_NS6detail44device_merge_sort_compile_time_verifier_archINS1_11comp_targetILNS1_3genE4ELNS1_11target_archE910ELNS1_3gpuE8ELNS1_3repE0EEES8_NS1_28merge_sort_block_sort_configILj256ELj4ELNS0_20block_sort_algorithmE0EEENS0_14default_configENS1_37merge_sort_block_sort_config_selectorIaNS0_10empty_typeEEENS1_38merge_sort_block_merge_config_selectorIaSE_EEEEvv.num_agpr, 0
	.set _ZN7rocprim17ROCPRIM_400000_NS6detail44device_merge_sort_compile_time_verifier_archINS1_11comp_targetILNS1_3genE4ELNS1_11target_archE910ELNS1_3gpuE8ELNS1_3repE0EEES8_NS1_28merge_sort_block_sort_configILj256ELj4ELNS0_20block_sort_algorithmE0EEENS0_14default_configENS1_37merge_sort_block_sort_config_selectorIaNS0_10empty_typeEEENS1_38merge_sort_block_merge_config_selectorIaSE_EEEEvv.numbered_sgpr, 0
	.set _ZN7rocprim17ROCPRIM_400000_NS6detail44device_merge_sort_compile_time_verifier_archINS1_11comp_targetILNS1_3genE4ELNS1_11target_archE910ELNS1_3gpuE8ELNS1_3repE0EEES8_NS1_28merge_sort_block_sort_configILj256ELj4ELNS0_20block_sort_algorithmE0EEENS0_14default_configENS1_37merge_sort_block_sort_config_selectorIaNS0_10empty_typeEEENS1_38merge_sort_block_merge_config_selectorIaSE_EEEEvv.num_named_barrier, 0
	.set _ZN7rocprim17ROCPRIM_400000_NS6detail44device_merge_sort_compile_time_verifier_archINS1_11comp_targetILNS1_3genE4ELNS1_11target_archE910ELNS1_3gpuE8ELNS1_3repE0EEES8_NS1_28merge_sort_block_sort_configILj256ELj4ELNS0_20block_sort_algorithmE0EEENS0_14default_configENS1_37merge_sort_block_sort_config_selectorIaNS0_10empty_typeEEENS1_38merge_sort_block_merge_config_selectorIaSE_EEEEvv.private_seg_size, 0
	.set _ZN7rocprim17ROCPRIM_400000_NS6detail44device_merge_sort_compile_time_verifier_archINS1_11comp_targetILNS1_3genE4ELNS1_11target_archE910ELNS1_3gpuE8ELNS1_3repE0EEES8_NS1_28merge_sort_block_sort_configILj256ELj4ELNS0_20block_sort_algorithmE0EEENS0_14default_configENS1_37merge_sort_block_sort_config_selectorIaNS0_10empty_typeEEENS1_38merge_sort_block_merge_config_selectorIaSE_EEEEvv.uses_vcc, 0
	.set _ZN7rocprim17ROCPRIM_400000_NS6detail44device_merge_sort_compile_time_verifier_archINS1_11comp_targetILNS1_3genE4ELNS1_11target_archE910ELNS1_3gpuE8ELNS1_3repE0EEES8_NS1_28merge_sort_block_sort_configILj256ELj4ELNS0_20block_sort_algorithmE0EEENS0_14default_configENS1_37merge_sort_block_sort_config_selectorIaNS0_10empty_typeEEENS1_38merge_sort_block_merge_config_selectorIaSE_EEEEvv.uses_flat_scratch, 0
	.set _ZN7rocprim17ROCPRIM_400000_NS6detail44device_merge_sort_compile_time_verifier_archINS1_11comp_targetILNS1_3genE4ELNS1_11target_archE910ELNS1_3gpuE8ELNS1_3repE0EEES8_NS1_28merge_sort_block_sort_configILj256ELj4ELNS0_20block_sort_algorithmE0EEENS0_14default_configENS1_37merge_sort_block_sort_config_selectorIaNS0_10empty_typeEEENS1_38merge_sort_block_merge_config_selectorIaSE_EEEEvv.has_dyn_sized_stack, 0
	.set _ZN7rocprim17ROCPRIM_400000_NS6detail44device_merge_sort_compile_time_verifier_archINS1_11comp_targetILNS1_3genE4ELNS1_11target_archE910ELNS1_3gpuE8ELNS1_3repE0EEES8_NS1_28merge_sort_block_sort_configILj256ELj4ELNS0_20block_sort_algorithmE0EEENS0_14default_configENS1_37merge_sort_block_sort_config_selectorIaNS0_10empty_typeEEENS1_38merge_sort_block_merge_config_selectorIaSE_EEEEvv.has_recursion, 0
	.set _ZN7rocprim17ROCPRIM_400000_NS6detail44device_merge_sort_compile_time_verifier_archINS1_11comp_targetILNS1_3genE4ELNS1_11target_archE910ELNS1_3gpuE8ELNS1_3repE0EEES8_NS1_28merge_sort_block_sort_configILj256ELj4ELNS0_20block_sort_algorithmE0EEENS0_14default_configENS1_37merge_sort_block_sort_config_selectorIaNS0_10empty_typeEEENS1_38merge_sort_block_merge_config_selectorIaSE_EEEEvv.has_indirect_call, 0
	.section	.AMDGPU.csdata,"",@progbits
; Kernel info:
; codeLenInByte = 4
; TotalNumSgprs: 0
; NumVgprs: 0
; ScratchSize: 0
; MemoryBound: 0
; FloatMode: 240
; IeeeMode: 1
; LDSByteSize: 0 bytes/workgroup (compile time only)
; SGPRBlocks: 0
; VGPRBlocks: 0
; NumSGPRsForWavesPerEU: 1
; NumVGPRsForWavesPerEU: 1
; NamedBarCnt: 0
; Occupancy: 16
; WaveLimiterHint : 0
; COMPUTE_PGM_RSRC2:SCRATCH_EN: 0
; COMPUTE_PGM_RSRC2:USER_SGPR: 0
; COMPUTE_PGM_RSRC2:TRAP_HANDLER: 0
; COMPUTE_PGM_RSRC2:TGID_X_EN: 1
; COMPUTE_PGM_RSRC2:TGID_Y_EN: 0
; COMPUTE_PGM_RSRC2:TGID_Z_EN: 0
; COMPUTE_PGM_RSRC2:TIDIG_COMP_CNT: 0
	.section	.text._ZN7rocprim17ROCPRIM_400000_NS6detail44device_merge_sort_compile_time_verifier_archINS1_11comp_targetILNS1_3genE3ELNS1_11target_archE908ELNS1_3gpuE7ELNS1_3repE0EEES8_NS1_28merge_sort_block_sort_configILj256ELj4ELNS0_20block_sort_algorithmE0EEENS0_14default_configENS1_37merge_sort_block_sort_config_selectorIaNS0_10empty_typeEEENS1_38merge_sort_block_merge_config_selectorIaSE_EEEEvv,"axG",@progbits,_ZN7rocprim17ROCPRIM_400000_NS6detail44device_merge_sort_compile_time_verifier_archINS1_11comp_targetILNS1_3genE3ELNS1_11target_archE908ELNS1_3gpuE7ELNS1_3repE0EEES8_NS1_28merge_sort_block_sort_configILj256ELj4ELNS0_20block_sort_algorithmE0EEENS0_14default_configENS1_37merge_sort_block_sort_config_selectorIaNS0_10empty_typeEEENS1_38merge_sort_block_merge_config_selectorIaSE_EEEEvv,comdat
	.protected	_ZN7rocprim17ROCPRIM_400000_NS6detail44device_merge_sort_compile_time_verifier_archINS1_11comp_targetILNS1_3genE3ELNS1_11target_archE908ELNS1_3gpuE7ELNS1_3repE0EEES8_NS1_28merge_sort_block_sort_configILj256ELj4ELNS0_20block_sort_algorithmE0EEENS0_14default_configENS1_37merge_sort_block_sort_config_selectorIaNS0_10empty_typeEEENS1_38merge_sort_block_merge_config_selectorIaSE_EEEEvv ; -- Begin function _ZN7rocprim17ROCPRIM_400000_NS6detail44device_merge_sort_compile_time_verifier_archINS1_11comp_targetILNS1_3genE3ELNS1_11target_archE908ELNS1_3gpuE7ELNS1_3repE0EEES8_NS1_28merge_sort_block_sort_configILj256ELj4ELNS0_20block_sort_algorithmE0EEENS0_14default_configENS1_37merge_sort_block_sort_config_selectorIaNS0_10empty_typeEEENS1_38merge_sort_block_merge_config_selectorIaSE_EEEEvv
	.globl	_ZN7rocprim17ROCPRIM_400000_NS6detail44device_merge_sort_compile_time_verifier_archINS1_11comp_targetILNS1_3genE3ELNS1_11target_archE908ELNS1_3gpuE7ELNS1_3repE0EEES8_NS1_28merge_sort_block_sort_configILj256ELj4ELNS0_20block_sort_algorithmE0EEENS0_14default_configENS1_37merge_sort_block_sort_config_selectorIaNS0_10empty_typeEEENS1_38merge_sort_block_merge_config_selectorIaSE_EEEEvv
	.p2align	8
	.type	_ZN7rocprim17ROCPRIM_400000_NS6detail44device_merge_sort_compile_time_verifier_archINS1_11comp_targetILNS1_3genE3ELNS1_11target_archE908ELNS1_3gpuE7ELNS1_3repE0EEES8_NS1_28merge_sort_block_sort_configILj256ELj4ELNS0_20block_sort_algorithmE0EEENS0_14default_configENS1_37merge_sort_block_sort_config_selectorIaNS0_10empty_typeEEENS1_38merge_sort_block_merge_config_selectorIaSE_EEEEvv,@function
_ZN7rocprim17ROCPRIM_400000_NS6detail44device_merge_sort_compile_time_verifier_archINS1_11comp_targetILNS1_3genE3ELNS1_11target_archE908ELNS1_3gpuE7ELNS1_3repE0EEES8_NS1_28merge_sort_block_sort_configILj256ELj4ELNS0_20block_sort_algorithmE0EEENS0_14default_configENS1_37merge_sort_block_sort_config_selectorIaNS0_10empty_typeEEENS1_38merge_sort_block_merge_config_selectorIaSE_EEEEvv: ; @_ZN7rocprim17ROCPRIM_400000_NS6detail44device_merge_sort_compile_time_verifier_archINS1_11comp_targetILNS1_3genE3ELNS1_11target_archE908ELNS1_3gpuE7ELNS1_3repE0EEES8_NS1_28merge_sort_block_sort_configILj256ELj4ELNS0_20block_sort_algorithmE0EEENS0_14default_configENS1_37merge_sort_block_sort_config_selectorIaNS0_10empty_typeEEENS1_38merge_sort_block_merge_config_selectorIaSE_EEEEvv
; %bb.0:
	s_endpgm
	.section	.rodata,"a",@progbits
	.p2align	6, 0x0
	.amdhsa_kernel _ZN7rocprim17ROCPRIM_400000_NS6detail44device_merge_sort_compile_time_verifier_archINS1_11comp_targetILNS1_3genE3ELNS1_11target_archE908ELNS1_3gpuE7ELNS1_3repE0EEES8_NS1_28merge_sort_block_sort_configILj256ELj4ELNS0_20block_sort_algorithmE0EEENS0_14default_configENS1_37merge_sort_block_sort_config_selectorIaNS0_10empty_typeEEENS1_38merge_sort_block_merge_config_selectorIaSE_EEEEvv
		.amdhsa_group_segment_fixed_size 0
		.amdhsa_private_segment_fixed_size 0
		.amdhsa_kernarg_size 0
		.amdhsa_user_sgpr_count 0
		.amdhsa_user_sgpr_dispatch_ptr 0
		.amdhsa_user_sgpr_queue_ptr 0
		.amdhsa_user_sgpr_kernarg_segment_ptr 0
		.amdhsa_user_sgpr_dispatch_id 0
		.amdhsa_user_sgpr_kernarg_preload_length 0
		.amdhsa_user_sgpr_kernarg_preload_offset 0
		.amdhsa_user_sgpr_private_segment_size 0
		.amdhsa_wavefront_size32 1
		.amdhsa_uses_dynamic_stack 0
		.amdhsa_enable_private_segment 0
		.amdhsa_system_sgpr_workgroup_id_x 1
		.amdhsa_system_sgpr_workgroup_id_y 0
		.amdhsa_system_sgpr_workgroup_id_z 0
		.amdhsa_system_sgpr_workgroup_info 0
		.amdhsa_system_vgpr_workitem_id 0
		.amdhsa_next_free_vgpr 1
		.amdhsa_next_free_sgpr 1
		.amdhsa_named_barrier_count 0
		.amdhsa_reserve_vcc 0
		.amdhsa_float_round_mode_32 0
		.amdhsa_float_round_mode_16_64 0
		.amdhsa_float_denorm_mode_32 3
		.amdhsa_float_denorm_mode_16_64 3
		.amdhsa_fp16_overflow 0
		.amdhsa_memory_ordered 1
		.amdhsa_forward_progress 1
		.amdhsa_inst_pref_size 1
		.amdhsa_round_robin_scheduling 0
		.amdhsa_exception_fp_ieee_invalid_op 0
		.amdhsa_exception_fp_denorm_src 0
		.amdhsa_exception_fp_ieee_div_zero 0
		.amdhsa_exception_fp_ieee_overflow 0
		.amdhsa_exception_fp_ieee_underflow 0
		.amdhsa_exception_fp_ieee_inexact 0
		.amdhsa_exception_int_div_zero 0
	.end_amdhsa_kernel
	.section	.text._ZN7rocprim17ROCPRIM_400000_NS6detail44device_merge_sort_compile_time_verifier_archINS1_11comp_targetILNS1_3genE3ELNS1_11target_archE908ELNS1_3gpuE7ELNS1_3repE0EEES8_NS1_28merge_sort_block_sort_configILj256ELj4ELNS0_20block_sort_algorithmE0EEENS0_14default_configENS1_37merge_sort_block_sort_config_selectorIaNS0_10empty_typeEEENS1_38merge_sort_block_merge_config_selectorIaSE_EEEEvv,"axG",@progbits,_ZN7rocprim17ROCPRIM_400000_NS6detail44device_merge_sort_compile_time_verifier_archINS1_11comp_targetILNS1_3genE3ELNS1_11target_archE908ELNS1_3gpuE7ELNS1_3repE0EEES8_NS1_28merge_sort_block_sort_configILj256ELj4ELNS0_20block_sort_algorithmE0EEENS0_14default_configENS1_37merge_sort_block_sort_config_selectorIaNS0_10empty_typeEEENS1_38merge_sort_block_merge_config_selectorIaSE_EEEEvv,comdat
.Lfunc_end267:
	.size	_ZN7rocprim17ROCPRIM_400000_NS6detail44device_merge_sort_compile_time_verifier_archINS1_11comp_targetILNS1_3genE3ELNS1_11target_archE908ELNS1_3gpuE7ELNS1_3repE0EEES8_NS1_28merge_sort_block_sort_configILj256ELj4ELNS0_20block_sort_algorithmE0EEENS0_14default_configENS1_37merge_sort_block_sort_config_selectorIaNS0_10empty_typeEEENS1_38merge_sort_block_merge_config_selectorIaSE_EEEEvv, .Lfunc_end267-_ZN7rocprim17ROCPRIM_400000_NS6detail44device_merge_sort_compile_time_verifier_archINS1_11comp_targetILNS1_3genE3ELNS1_11target_archE908ELNS1_3gpuE7ELNS1_3repE0EEES8_NS1_28merge_sort_block_sort_configILj256ELj4ELNS0_20block_sort_algorithmE0EEENS0_14default_configENS1_37merge_sort_block_sort_config_selectorIaNS0_10empty_typeEEENS1_38merge_sort_block_merge_config_selectorIaSE_EEEEvv
                                        ; -- End function
	.set _ZN7rocprim17ROCPRIM_400000_NS6detail44device_merge_sort_compile_time_verifier_archINS1_11comp_targetILNS1_3genE3ELNS1_11target_archE908ELNS1_3gpuE7ELNS1_3repE0EEES8_NS1_28merge_sort_block_sort_configILj256ELj4ELNS0_20block_sort_algorithmE0EEENS0_14default_configENS1_37merge_sort_block_sort_config_selectorIaNS0_10empty_typeEEENS1_38merge_sort_block_merge_config_selectorIaSE_EEEEvv.num_vgpr, 0
	.set _ZN7rocprim17ROCPRIM_400000_NS6detail44device_merge_sort_compile_time_verifier_archINS1_11comp_targetILNS1_3genE3ELNS1_11target_archE908ELNS1_3gpuE7ELNS1_3repE0EEES8_NS1_28merge_sort_block_sort_configILj256ELj4ELNS0_20block_sort_algorithmE0EEENS0_14default_configENS1_37merge_sort_block_sort_config_selectorIaNS0_10empty_typeEEENS1_38merge_sort_block_merge_config_selectorIaSE_EEEEvv.num_agpr, 0
	.set _ZN7rocprim17ROCPRIM_400000_NS6detail44device_merge_sort_compile_time_verifier_archINS1_11comp_targetILNS1_3genE3ELNS1_11target_archE908ELNS1_3gpuE7ELNS1_3repE0EEES8_NS1_28merge_sort_block_sort_configILj256ELj4ELNS0_20block_sort_algorithmE0EEENS0_14default_configENS1_37merge_sort_block_sort_config_selectorIaNS0_10empty_typeEEENS1_38merge_sort_block_merge_config_selectorIaSE_EEEEvv.numbered_sgpr, 0
	.set _ZN7rocprim17ROCPRIM_400000_NS6detail44device_merge_sort_compile_time_verifier_archINS1_11comp_targetILNS1_3genE3ELNS1_11target_archE908ELNS1_3gpuE7ELNS1_3repE0EEES8_NS1_28merge_sort_block_sort_configILj256ELj4ELNS0_20block_sort_algorithmE0EEENS0_14default_configENS1_37merge_sort_block_sort_config_selectorIaNS0_10empty_typeEEENS1_38merge_sort_block_merge_config_selectorIaSE_EEEEvv.num_named_barrier, 0
	.set _ZN7rocprim17ROCPRIM_400000_NS6detail44device_merge_sort_compile_time_verifier_archINS1_11comp_targetILNS1_3genE3ELNS1_11target_archE908ELNS1_3gpuE7ELNS1_3repE0EEES8_NS1_28merge_sort_block_sort_configILj256ELj4ELNS0_20block_sort_algorithmE0EEENS0_14default_configENS1_37merge_sort_block_sort_config_selectorIaNS0_10empty_typeEEENS1_38merge_sort_block_merge_config_selectorIaSE_EEEEvv.private_seg_size, 0
	.set _ZN7rocprim17ROCPRIM_400000_NS6detail44device_merge_sort_compile_time_verifier_archINS1_11comp_targetILNS1_3genE3ELNS1_11target_archE908ELNS1_3gpuE7ELNS1_3repE0EEES8_NS1_28merge_sort_block_sort_configILj256ELj4ELNS0_20block_sort_algorithmE0EEENS0_14default_configENS1_37merge_sort_block_sort_config_selectorIaNS0_10empty_typeEEENS1_38merge_sort_block_merge_config_selectorIaSE_EEEEvv.uses_vcc, 0
	.set _ZN7rocprim17ROCPRIM_400000_NS6detail44device_merge_sort_compile_time_verifier_archINS1_11comp_targetILNS1_3genE3ELNS1_11target_archE908ELNS1_3gpuE7ELNS1_3repE0EEES8_NS1_28merge_sort_block_sort_configILj256ELj4ELNS0_20block_sort_algorithmE0EEENS0_14default_configENS1_37merge_sort_block_sort_config_selectorIaNS0_10empty_typeEEENS1_38merge_sort_block_merge_config_selectorIaSE_EEEEvv.uses_flat_scratch, 0
	.set _ZN7rocprim17ROCPRIM_400000_NS6detail44device_merge_sort_compile_time_verifier_archINS1_11comp_targetILNS1_3genE3ELNS1_11target_archE908ELNS1_3gpuE7ELNS1_3repE0EEES8_NS1_28merge_sort_block_sort_configILj256ELj4ELNS0_20block_sort_algorithmE0EEENS0_14default_configENS1_37merge_sort_block_sort_config_selectorIaNS0_10empty_typeEEENS1_38merge_sort_block_merge_config_selectorIaSE_EEEEvv.has_dyn_sized_stack, 0
	.set _ZN7rocprim17ROCPRIM_400000_NS6detail44device_merge_sort_compile_time_verifier_archINS1_11comp_targetILNS1_3genE3ELNS1_11target_archE908ELNS1_3gpuE7ELNS1_3repE0EEES8_NS1_28merge_sort_block_sort_configILj256ELj4ELNS0_20block_sort_algorithmE0EEENS0_14default_configENS1_37merge_sort_block_sort_config_selectorIaNS0_10empty_typeEEENS1_38merge_sort_block_merge_config_selectorIaSE_EEEEvv.has_recursion, 0
	.set _ZN7rocprim17ROCPRIM_400000_NS6detail44device_merge_sort_compile_time_verifier_archINS1_11comp_targetILNS1_3genE3ELNS1_11target_archE908ELNS1_3gpuE7ELNS1_3repE0EEES8_NS1_28merge_sort_block_sort_configILj256ELj4ELNS0_20block_sort_algorithmE0EEENS0_14default_configENS1_37merge_sort_block_sort_config_selectorIaNS0_10empty_typeEEENS1_38merge_sort_block_merge_config_selectorIaSE_EEEEvv.has_indirect_call, 0
	.section	.AMDGPU.csdata,"",@progbits
; Kernel info:
; codeLenInByte = 4
; TotalNumSgprs: 0
; NumVgprs: 0
; ScratchSize: 0
; MemoryBound: 0
; FloatMode: 240
; IeeeMode: 1
; LDSByteSize: 0 bytes/workgroup (compile time only)
; SGPRBlocks: 0
; VGPRBlocks: 0
; NumSGPRsForWavesPerEU: 1
; NumVGPRsForWavesPerEU: 1
; NamedBarCnt: 0
; Occupancy: 16
; WaveLimiterHint : 0
; COMPUTE_PGM_RSRC2:SCRATCH_EN: 0
; COMPUTE_PGM_RSRC2:USER_SGPR: 0
; COMPUTE_PGM_RSRC2:TRAP_HANDLER: 0
; COMPUTE_PGM_RSRC2:TGID_X_EN: 1
; COMPUTE_PGM_RSRC2:TGID_Y_EN: 0
; COMPUTE_PGM_RSRC2:TGID_Z_EN: 0
; COMPUTE_PGM_RSRC2:TIDIG_COMP_CNT: 0
	.section	.text._ZN7rocprim17ROCPRIM_400000_NS6detail44device_merge_sort_compile_time_verifier_archINS1_11comp_targetILNS1_3genE2ELNS1_11target_archE906ELNS1_3gpuE6ELNS1_3repE0EEES8_NS1_28merge_sort_block_sort_configILj256ELj4ELNS0_20block_sort_algorithmE0EEENS0_14default_configENS1_37merge_sort_block_sort_config_selectorIaNS0_10empty_typeEEENS1_38merge_sort_block_merge_config_selectorIaSE_EEEEvv,"axG",@progbits,_ZN7rocprim17ROCPRIM_400000_NS6detail44device_merge_sort_compile_time_verifier_archINS1_11comp_targetILNS1_3genE2ELNS1_11target_archE906ELNS1_3gpuE6ELNS1_3repE0EEES8_NS1_28merge_sort_block_sort_configILj256ELj4ELNS0_20block_sort_algorithmE0EEENS0_14default_configENS1_37merge_sort_block_sort_config_selectorIaNS0_10empty_typeEEENS1_38merge_sort_block_merge_config_selectorIaSE_EEEEvv,comdat
	.protected	_ZN7rocprim17ROCPRIM_400000_NS6detail44device_merge_sort_compile_time_verifier_archINS1_11comp_targetILNS1_3genE2ELNS1_11target_archE906ELNS1_3gpuE6ELNS1_3repE0EEES8_NS1_28merge_sort_block_sort_configILj256ELj4ELNS0_20block_sort_algorithmE0EEENS0_14default_configENS1_37merge_sort_block_sort_config_selectorIaNS0_10empty_typeEEENS1_38merge_sort_block_merge_config_selectorIaSE_EEEEvv ; -- Begin function _ZN7rocprim17ROCPRIM_400000_NS6detail44device_merge_sort_compile_time_verifier_archINS1_11comp_targetILNS1_3genE2ELNS1_11target_archE906ELNS1_3gpuE6ELNS1_3repE0EEES8_NS1_28merge_sort_block_sort_configILj256ELj4ELNS0_20block_sort_algorithmE0EEENS0_14default_configENS1_37merge_sort_block_sort_config_selectorIaNS0_10empty_typeEEENS1_38merge_sort_block_merge_config_selectorIaSE_EEEEvv
	.globl	_ZN7rocprim17ROCPRIM_400000_NS6detail44device_merge_sort_compile_time_verifier_archINS1_11comp_targetILNS1_3genE2ELNS1_11target_archE906ELNS1_3gpuE6ELNS1_3repE0EEES8_NS1_28merge_sort_block_sort_configILj256ELj4ELNS0_20block_sort_algorithmE0EEENS0_14default_configENS1_37merge_sort_block_sort_config_selectorIaNS0_10empty_typeEEENS1_38merge_sort_block_merge_config_selectorIaSE_EEEEvv
	.p2align	8
	.type	_ZN7rocprim17ROCPRIM_400000_NS6detail44device_merge_sort_compile_time_verifier_archINS1_11comp_targetILNS1_3genE2ELNS1_11target_archE906ELNS1_3gpuE6ELNS1_3repE0EEES8_NS1_28merge_sort_block_sort_configILj256ELj4ELNS0_20block_sort_algorithmE0EEENS0_14default_configENS1_37merge_sort_block_sort_config_selectorIaNS0_10empty_typeEEENS1_38merge_sort_block_merge_config_selectorIaSE_EEEEvv,@function
_ZN7rocprim17ROCPRIM_400000_NS6detail44device_merge_sort_compile_time_verifier_archINS1_11comp_targetILNS1_3genE2ELNS1_11target_archE906ELNS1_3gpuE6ELNS1_3repE0EEES8_NS1_28merge_sort_block_sort_configILj256ELj4ELNS0_20block_sort_algorithmE0EEENS0_14default_configENS1_37merge_sort_block_sort_config_selectorIaNS0_10empty_typeEEENS1_38merge_sort_block_merge_config_selectorIaSE_EEEEvv: ; @_ZN7rocprim17ROCPRIM_400000_NS6detail44device_merge_sort_compile_time_verifier_archINS1_11comp_targetILNS1_3genE2ELNS1_11target_archE906ELNS1_3gpuE6ELNS1_3repE0EEES8_NS1_28merge_sort_block_sort_configILj256ELj4ELNS0_20block_sort_algorithmE0EEENS0_14default_configENS1_37merge_sort_block_sort_config_selectorIaNS0_10empty_typeEEENS1_38merge_sort_block_merge_config_selectorIaSE_EEEEvv
; %bb.0:
	s_endpgm
	.section	.rodata,"a",@progbits
	.p2align	6, 0x0
	.amdhsa_kernel _ZN7rocprim17ROCPRIM_400000_NS6detail44device_merge_sort_compile_time_verifier_archINS1_11comp_targetILNS1_3genE2ELNS1_11target_archE906ELNS1_3gpuE6ELNS1_3repE0EEES8_NS1_28merge_sort_block_sort_configILj256ELj4ELNS0_20block_sort_algorithmE0EEENS0_14default_configENS1_37merge_sort_block_sort_config_selectorIaNS0_10empty_typeEEENS1_38merge_sort_block_merge_config_selectorIaSE_EEEEvv
		.amdhsa_group_segment_fixed_size 0
		.amdhsa_private_segment_fixed_size 0
		.amdhsa_kernarg_size 0
		.amdhsa_user_sgpr_count 0
		.amdhsa_user_sgpr_dispatch_ptr 0
		.amdhsa_user_sgpr_queue_ptr 0
		.amdhsa_user_sgpr_kernarg_segment_ptr 0
		.amdhsa_user_sgpr_dispatch_id 0
		.amdhsa_user_sgpr_kernarg_preload_length 0
		.amdhsa_user_sgpr_kernarg_preload_offset 0
		.amdhsa_user_sgpr_private_segment_size 0
		.amdhsa_wavefront_size32 1
		.amdhsa_uses_dynamic_stack 0
		.amdhsa_enable_private_segment 0
		.amdhsa_system_sgpr_workgroup_id_x 1
		.amdhsa_system_sgpr_workgroup_id_y 0
		.amdhsa_system_sgpr_workgroup_id_z 0
		.amdhsa_system_sgpr_workgroup_info 0
		.amdhsa_system_vgpr_workitem_id 0
		.amdhsa_next_free_vgpr 1
		.amdhsa_next_free_sgpr 1
		.amdhsa_named_barrier_count 0
		.amdhsa_reserve_vcc 0
		.amdhsa_float_round_mode_32 0
		.amdhsa_float_round_mode_16_64 0
		.amdhsa_float_denorm_mode_32 3
		.amdhsa_float_denorm_mode_16_64 3
		.amdhsa_fp16_overflow 0
		.amdhsa_memory_ordered 1
		.amdhsa_forward_progress 1
		.amdhsa_inst_pref_size 1
		.amdhsa_round_robin_scheduling 0
		.amdhsa_exception_fp_ieee_invalid_op 0
		.amdhsa_exception_fp_denorm_src 0
		.amdhsa_exception_fp_ieee_div_zero 0
		.amdhsa_exception_fp_ieee_overflow 0
		.amdhsa_exception_fp_ieee_underflow 0
		.amdhsa_exception_fp_ieee_inexact 0
		.amdhsa_exception_int_div_zero 0
	.end_amdhsa_kernel
	.section	.text._ZN7rocprim17ROCPRIM_400000_NS6detail44device_merge_sort_compile_time_verifier_archINS1_11comp_targetILNS1_3genE2ELNS1_11target_archE906ELNS1_3gpuE6ELNS1_3repE0EEES8_NS1_28merge_sort_block_sort_configILj256ELj4ELNS0_20block_sort_algorithmE0EEENS0_14default_configENS1_37merge_sort_block_sort_config_selectorIaNS0_10empty_typeEEENS1_38merge_sort_block_merge_config_selectorIaSE_EEEEvv,"axG",@progbits,_ZN7rocprim17ROCPRIM_400000_NS6detail44device_merge_sort_compile_time_verifier_archINS1_11comp_targetILNS1_3genE2ELNS1_11target_archE906ELNS1_3gpuE6ELNS1_3repE0EEES8_NS1_28merge_sort_block_sort_configILj256ELj4ELNS0_20block_sort_algorithmE0EEENS0_14default_configENS1_37merge_sort_block_sort_config_selectorIaNS0_10empty_typeEEENS1_38merge_sort_block_merge_config_selectorIaSE_EEEEvv,comdat
.Lfunc_end268:
	.size	_ZN7rocprim17ROCPRIM_400000_NS6detail44device_merge_sort_compile_time_verifier_archINS1_11comp_targetILNS1_3genE2ELNS1_11target_archE906ELNS1_3gpuE6ELNS1_3repE0EEES8_NS1_28merge_sort_block_sort_configILj256ELj4ELNS0_20block_sort_algorithmE0EEENS0_14default_configENS1_37merge_sort_block_sort_config_selectorIaNS0_10empty_typeEEENS1_38merge_sort_block_merge_config_selectorIaSE_EEEEvv, .Lfunc_end268-_ZN7rocprim17ROCPRIM_400000_NS6detail44device_merge_sort_compile_time_verifier_archINS1_11comp_targetILNS1_3genE2ELNS1_11target_archE906ELNS1_3gpuE6ELNS1_3repE0EEES8_NS1_28merge_sort_block_sort_configILj256ELj4ELNS0_20block_sort_algorithmE0EEENS0_14default_configENS1_37merge_sort_block_sort_config_selectorIaNS0_10empty_typeEEENS1_38merge_sort_block_merge_config_selectorIaSE_EEEEvv
                                        ; -- End function
	.set _ZN7rocprim17ROCPRIM_400000_NS6detail44device_merge_sort_compile_time_verifier_archINS1_11comp_targetILNS1_3genE2ELNS1_11target_archE906ELNS1_3gpuE6ELNS1_3repE0EEES8_NS1_28merge_sort_block_sort_configILj256ELj4ELNS0_20block_sort_algorithmE0EEENS0_14default_configENS1_37merge_sort_block_sort_config_selectorIaNS0_10empty_typeEEENS1_38merge_sort_block_merge_config_selectorIaSE_EEEEvv.num_vgpr, 0
	.set _ZN7rocprim17ROCPRIM_400000_NS6detail44device_merge_sort_compile_time_verifier_archINS1_11comp_targetILNS1_3genE2ELNS1_11target_archE906ELNS1_3gpuE6ELNS1_3repE0EEES8_NS1_28merge_sort_block_sort_configILj256ELj4ELNS0_20block_sort_algorithmE0EEENS0_14default_configENS1_37merge_sort_block_sort_config_selectorIaNS0_10empty_typeEEENS1_38merge_sort_block_merge_config_selectorIaSE_EEEEvv.num_agpr, 0
	.set _ZN7rocprim17ROCPRIM_400000_NS6detail44device_merge_sort_compile_time_verifier_archINS1_11comp_targetILNS1_3genE2ELNS1_11target_archE906ELNS1_3gpuE6ELNS1_3repE0EEES8_NS1_28merge_sort_block_sort_configILj256ELj4ELNS0_20block_sort_algorithmE0EEENS0_14default_configENS1_37merge_sort_block_sort_config_selectorIaNS0_10empty_typeEEENS1_38merge_sort_block_merge_config_selectorIaSE_EEEEvv.numbered_sgpr, 0
	.set _ZN7rocprim17ROCPRIM_400000_NS6detail44device_merge_sort_compile_time_verifier_archINS1_11comp_targetILNS1_3genE2ELNS1_11target_archE906ELNS1_3gpuE6ELNS1_3repE0EEES8_NS1_28merge_sort_block_sort_configILj256ELj4ELNS0_20block_sort_algorithmE0EEENS0_14default_configENS1_37merge_sort_block_sort_config_selectorIaNS0_10empty_typeEEENS1_38merge_sort_block_merge_config_selectorIaSE_EEEEvv.num_named_barrier, 0
	.set _ZN7rocprim17ROCPRIM_400000_NS6detail44device_merge_sort_compile_time_verifier_archINS1_11comp_targetILNS1_3genE2ELNS1_11target_archE906ELNS1_3gpuE6ELNS1_3repE0EEES8_NS1_28merge_sort_block_sort_configILj256ELj4ELNS0_20block_sort_algorithmE0EEENS0_14default_configENS1_37merge_sort_block_sort_config_selectorIaNS0_10empty_typeEEENS1_38merge_sort_block_merge_config_selectorIaSE_EEEEvv.private_seg_size, 0
	.set _ZN7rocprim17ROCPRIM_400000_NS6detail44device_merge_sort_compile_time_verifier_archINS1_11comp_targetILNS1_3genE2ELNS1_11target_archE906ELNS1_3gpuE6ELNS1_3repE0EEES8_NS1_28merge_sort_block_sort_configILj256ELj4ELNS0_20block_sort_algorithmE0EEENS0_14default_configENS1_37merge_sort_block_sort_config_selectorIaNS0_10empty_typeEEENS1_38merge_sort_block_merge_config_selectorIaSE_EEEEvv.uses_vcc, 0
	.set _ZN7rocprim17ROCPRIM_400000_NS6detail44device_merge_sort_compile_time_verifier_archINS1_11comp_targetILNS1_3genE2ELNS1_11target_archE906ELNS1_3gpuE6ELNS1_3repE0EEES8_NS1_28merge_sort_block_sort_configILj256ELj4ELNS0_20block_sort_algorithmE0EEENS0_14default_configENS1_37merge_sort_block_sort_config_selectorIaNS0_10empty_typeEEENS1_38merge_sort_block_merge_config_selectorIaSE_EEEEvv.uses_flat_scratch, 0
	.set _ZN7rocprim17ROCPRIM_400000_NS6detail44device_merge_sort_compile_time_verifier_archINS1_11comp_targetILNS1_3genE2ELNS1_11target_archE906ELNS1_3gpuE6ELNS1_3repE0EEES8_NS1_28merge_sort_block_sort_configILj256ELj4ELNS0_20block_sort_algorithmE0EEENS0_14default_configENS1_37merge_sort_block_sort_config_selectorIaNS0_10empty_typeEEENS1_38merge_sort_block_merge_config_selectorIaSE_EEEEvv.has_dyn_sized_stack, 0
	.set _ZN7rocprim17ROCPRIM_400000_NS6detail44device_merge_sort_compile_time_verifier_archINS1_11comp_targetILNS1_3genE2ELNS1_11target_archE906ELNS1_3gpuE6ELNS1_3repE0EEES8_NS1_28merge_sort_block_sort_configILj256ELj4ELNS0_20block_sort_algorithmE0EEENS0_14default_configENS1_37merge_sort_block_sort_config_selectorIaNS0_10empty_typeEEENS1_38merge_sort_block_merge_config_selectorIaSE_EEEEvv.has_recursion, 0
	.set _ZN7rocprim17ROCPRIM_400000_NS6detail44device_merge_sort_compile_time_verifier_archINS1_11comp_targetILNS1_3genE2ELNS1_11target_archE906ELNS1_3gpuE6ELNS1_3repE0EEES8_NS1_28merge_sort_block_sort_configILj256ELj4ELNS0_20block_sort_algorithmE0EEENS0_14default_configENS1_37merge_sort_block_sort_config_selectorIaNS0_10empty_typeEEENS1_38merge_sort_block_merge_config_selectorIaSE_EEEEvv.has_indirect_call, 0
	.section	.AMDGPU.csdata,"",@progbits
; Kernel info:
; codeLenInByte = 4
; TotalNumSgprs: 0
; NumVgprs: 0
; ScratchSize: 0
; MemoryBound: 0
; FloatMode: 240
; IeeeMode: 1
; LDSByteSize: 0 bytes/workgroup (compile time only)
; SGPRBlocks: 0
; VGPRBlocks: 0
; NumSGPRsForWavesPerEU: 1
; NumVGPRsForWavesPerEU: 1
; NamedBarCnt: 0
; Occupancy: 16
; WaveLimiterHint : 0
; COMPUTE_PGM_RSRC2:SCRATCH_EN: 0
; COMPUTE_PGM_RSRC2:USER_SGPR: 0
; COMPUTE_PGM_RSRC2:TRAP_HANDLER: 0
; COMPUTE_PGM_RSRC2:TGID_X_EN: 1
; COMPUTE_PGM_RSRC2:TGID_Y_EN: 0
; COMPUTE_PGM_RSRC2:TGID_Z_EN: 0
; COMPUTE_PGM_RSRC2:TIDIG_COMP_CNT: 0
	.section	.text._ZN7rocprim17ROCPRIM_400000_NS6detail44device_merge_sort_compile_time_verifier_archINS1_11comp_targetILNS1_3genE10ELNS1_11target_archE1201ELNS1_3gpuE5ELNS1_3repE0EEES8_NS1_28merge_sort_block_sort_configILj256ELj4ELNS0_20block_sort_algorithmE0EEENS0_14default_configENS1_37merge_sort_block_sort_config_selectorIaNS0_10empty_typeEEENS1_38merge_sort_block_merge_config_selectorIaSE_EEEEvv,"axG",@progbits,_ZN7rocprim17ROCPRIM_400000_NS6detail44device_merge_sort_compile_time_verifier_archINS1_11comp_targetILNS1_3genE10ELNS1_11target_archE1201ELNS1_3gpuE5ELNS1_3repE0EEES8_NS1_28merge_sort_block_sort_configILj256ELj4ELNS0_20block_sort_algorithmE0EEENS0_14default_configENS1_37merge_sort_block_sort_config_selectorIaNS0_10empty_typeEEENS1_38merge_sort_block_merge_config_selectorIaSE_EEEEvv,comdat
	.protected	_ZN7rocprim17ROCPRIM_400000_NS6detail44device_merge_sort_compile_time_verifier_archINS1_11comp_targetILNS1_3genE10ELNS1_11target_archE1201ELNS1_3gpuE5ELNS1_3repE0EEES8_NS1_28merge_sort_block_sort_configILj256ELj4ELNS0_20block_sort_algorithmE0EEENS0_14default_configENS1_37merge_sort_block_sort_config_selectorIaNS0_10empty_typeEEENS1_38merge_sort_block_merge_config_selectorIaSE_EEEEvv ; -- Begin function _ZN7rocprim17ROCPRIM_400000_NS6detail44device_merge_sort_compile_time_verifier_archINS1_11comp_targetILNS1_3genE10ELNS1_11target_archE1201ELNS1_3gpuE5ELNS1_3repE0EEES8_NS1_28merge_sort_block_sort_configILj256ELj4ELNS0_20block_sort_algorithmE0EEENS0_14default_configENS1_37merge_sort_block_sort_config_selectorIaNS0_10empty_typeEEENS1_38merge_sort_block_merge_config_selectorIaSE_EEEEvv
	.globl	_ZN7rocprim17ROCPRIM_400000_NS6detail44device_merge_sort_compile_time_verifier_archINS1_11comp_targetILNS1_3genE10ELNS1_11target_archE1201ELNS1_3gpuE5ELNS1_3repE0EEES8_NS1_28merge_sort_block_sort_configILj256ELj4ELNS0_20block_sort_algorithmE0EEENS0_14default_configENS1_37merge_sort_block_sort_config_selectorIaNS0_10empty_typeEEENS1_38merge_sort_block_merge_config_selectorIaSE_EEEEvv
	.p2align	8
	.type	_ZN7rocprim17ROCPRIM_400000_NS6detail44device_merge_sort_compile_time_verifier_archINS1_11comp_targetILNS1_3genE10ELNS1_11target_archE1201ELNS1_3gpuE5ELNS1_3repE0EEES8_NS1_28merge_sort_block_sort_configILj256ELj4ELNS0_20block_sort_algorithmE0EEENS0_14default_configENS1_37merge_sort_block_sort_config_selectorIaNS0_10empty_typeEEENS1_38merge_sort_block_merge_config_selectorIaSE_EEEEvv,@function
_ZN7rocprim17ROCPRIM_400000_NS6detail44device_merge_sort_compile_time_verifier_archINS1_11comp_targetILNS1_3genE10ELNS1_11target_archE1201ELNS1_3gpuE5ELNS1_3repE0EEES8_NS1_28merge_sort_block_sort_configILj256ELj4ELNS0_20block_sort_algorithmE0EEENS0_14default_configENS1_37merge_sort_block_sort_config_selectorIaNS0_10empty_typeEEENS1_38merge_sort_block_merge_config_selectorIaSE_EEEEvv: ; @_ZN7rocprim17ROCPRIM_400000_NS6detail44device_merge_sort_compile_time_verifier_archINS1_11comp_targetILNS1_3genE10ELNS1_11target_archE1201ELNS1_3gpuE5ELNS1_3repE0EEES8_NS1_28merge_sort_block_sort_configILj256ELj4ELNS0_20block_sort_algorithmE0EEENS0_14default_configENS1_37merge_sort_block_sort_config_selectorIaNS0_10empty_typeEEENS1_38merge_sort_block_merge_config_selectorIaSE_EEEEvv
; %bb.0:
	s_endpgm
	.section	.rodata,"a",@progbits
	.p2align	6, 0x0
	.amdhsa_kernel _ZN7rocprim17ROCPRIM_400000_NS6detail44device_merge_sort_compile_time_verifier_archINS1_11comp_targetILNS1_3genE10ELNS1_11target_archE1201ELNS1_3gpuE5ELNS1_3repE0EEES8_NS1_28merge_sort_block_sort_configILj256ELj4ELNS0_20block_sort_algorithmE0EEENS0_14default_configENS1_37merge_sort_block_sort_config_selectorIaNS0_10empty_typeEEENS1_38merge_sort_block_merge_config_selectorIaSE_EEEEvv
		.amdhsa_group_segment_fixed_size 0
		.amdhsa_private_segment_fixed_size 0
		.amdhsa_kernarg_size 0
		.amdhsa_user_sgpr_count 0
		.amdhsa_user_sgpr_dispatch_ptr 0
		.amdhsa_user_sgpr_queue_ptr 0
		.amdhsa_user_sgpr_kernarg_segment_ptr 0
		.amdhsa_user_sgpr_dispatch_id 0
		.amdhsa_user_sgpr_kernarg_preload_length 0
		.amdhsa_user_sgpr_kernarg_preload_offset 0
		.amdhsa_user_sgpr_private_segment_size 0
		.amdhsa_wavefront_size32 1
		.amdhsa_uses_dynamic_stack 0
		.amdhsa_enable_private_segment 0
		.amdhsa_system_sgpr_workgroup_id_x 1
		.amdhsa_system_sgpr_workgroup_id_y 0
		.amdhsa_system_sgpr_workgroup_id_z 0
		.amdhsa_system_sgpr_workgroup_info 0
		.amdhsa_system_vgpr_workitem_id 0
		.amdhsa_next_free_vgpr 1
		.amdhsa_next_free_sgpr 1
		.amdhsa_named_barrier_count 0
		.amdhsa_reserve_vcc 0
		.amdhsa_float_round_mode_32 0
		.amdhsa_float_round_mode_16_64 0
		.amdhsa_float_denorm_mode_32 3
		.amdhsa_float_denorm_mode_16_64 3
		.amdhsa_fp16_overflow 0
		.amdhsa_memory_ordered 1
		.amdhsa_forward_progress 1
		.amdhsa_inst_pref_size 1
		.amdhsa_round_robin_scheduling 0
		.amdhsa_exception_fp_ieee_invalid_op 0
		.amdhsa_exception_fp_denorm_src 0
		.amdhsa_exception_fp_ieee_div_zero 0
		.amdhsa_exception_fp_ieee_overflow 0
		.amdhsa_exception_fp_ieee_underflow 0
		.amdhsa_exception_fp_ieee_inexact 0
		.amdhsa_exception_int_div_zero 0
	.end_amdhsa_kernel
	.section	.text._ZN7rocprim17ROCPRIM_400000_NS6detail44device_merge_sort_compile_time_verifier_archINS1_11comp_targetILNS1_3genE10ELNS1_11target_archE1201ELNS1_3gpuE5ELNS1_3repE0EEES8_NS1_28merge_sort_block_sort_configILj256ELj4ELNS0_20block_sort_algorithmE0EEENS0_14default_configENS1_37merge_sort_block_sort_config_selectorIaNS0_10empty_typeEEENS1_38merge_sort_block_merge_config_selectorIaSE_EEEEvv,"axG",@progbits,_ZN7rocprim17ROCPRIM_400000_NS6detail44device_merge_sort_compile_time_verifier_archINS1_11comp_targetILNS1_3genE10ELNS1_11target_archE1201ELNS1_3gpuE5ELNS1_3repE0EEES8_NS1_28merge_sort_block_sort_configILj256ELj4ELNS0_20block_sort_algorithmE0EEENS0_14default_configENS1_37merge_sort_block_sort_config_selectorIaNS0_10empty_typeEEENS1_38merge_sort_block_merge_config_selectorIaSE_EEEEvv,comdat
.Lfunc_end269:
	.size	_ZN7rocprim17ROCPRIM_400000_NS6detail44device_merge_sort_compile_time_verifier_archINS1_11comp_targetILNS1_3genE10ELNS1_11target_archE1201ELNS1_3gpuE5ELNS1_3repE0EEES8_NS1_28merge_sort_block_sort_configILj256ELj4ELNS0_20block_sort_algorithmE0EEENS0_14default_configENS1_37merge_sort_block_sort_config_selectorIaNS0_10empty_typeEEENS1_38merge_sort_block_merge_config_selectorIaSE_EEEEvv, .Lfunc_end269-_ZN7rocprim17ROCPRIM_400000_NS6detail44device_merge_sort_compile_time_verifier_archINS1_11comp_targetILNS1_3genE10ELNS1_11target_archE1201ELNS1_3gpuE5ELNS1_3repE0EEES8_NS1_28merge_sort_block_sort_configILj256ELj4ELNS0_20block_sort_algorithmE0EEENS0_14default_configENS1_37merge_sort_block_sort_config_selectorIaNS0_10empty_typeEEENS1_38merge_sort_block_merge_config_selectorIaSE_EEEEvv
                                        ; -- End function
	.set _ZN7rocprim17ROCPRIM_400000_NS6detail44device_merge_sort_compile_time_verifier_archINS1_11comp_targetILNS1_3genE10ELNS1_11target_archE1201ELNS1_3gpuE5ELNS1_3repE0EEES8_NS1_28merge_sort_block_sort_configILj256ELj4ELNS0_20block_sort_algorithmE0EEENS0_14default_configENS1_37merge_sort_block_sort_config_selectorIaNS0_10empty_typeEEENS1_38merge_sort_block_merge_config_selectorIaSE_EEEEvv.num_vgpr, 0
	.set _ZN7rocprim17ROCPRIM_400000_NS6detail44device_merge_sort_compile_time_verifier_archINS1_11comp_targetILNS1_3genE10ELNS1_11target_archE1201ELNS1_3gpuE5ELNS1_3repE0EEES8_NS1_28merge_sort_block_sort_configILj256ELj4ELNS0_20block_sort_algorithmE0EEENS0_14default_configENS1_37merge_sort_block_sort_config_selectorIaNS0_10empty_typeEEENS1_38merge_sort_block_merge_config_selectorIaSE_EEEEvv.num_agpr, 0
	.set _ZN7rocprim17ROCPRIM_400000_NS6detail44device_merge_sort_compile_time_verifier_archINS1_11comp_targetILNS1_3genE10ELNS1_11target_archE1201ELNS1_3gpuE5ELNS1_3repE0EEES8_NS1_28merge_sort_block_sort_configILj256ELj4ELNS0_20block_sort_algorithmE0EEENS0_14default_configENS1_37merge_sort_block_sort_config_selectorIaNS0_10empty_typeEEENS1_38merge_sort_block_merge_config_selectorIaSE_EEEEvv.numbered_sgpr, 0
	.set _ZN7rocprim17ROCPRIM_400000_NS6detail44device_merge_sort_compile_time_verifier_archINS1_11comp_targetILNS1_3genE10ELNS1_11target_archE1201ELNS1_3gpuE5ELNS1_3repE0EEES8_NS1_28merge_sort_block_sort_configILj256ELj4ELNS0_20block_sort_algorithmE0EEENS0_14default_configENS1_37merge_sort_block_sort_config_selectorIaNS0_10empty_typeEEENS1_38merge_sort_block_merge_config_selectorIaSE_EEEEvv.num_named_barrier, 0
	.set _ZN7rocprim17ROCPRIM_400000_NS6detail44device_merge_sort_compile_time_verifier_archINS1_11comp_targetILNS1_3genE10ELNS1_11target_archE1201ELNS1_3gpuE5ELNS1_3repE0EEES8_NS1_28merge_sort_block_sort_configILj256ELj4ELNS0_20block_sort_algorithmE0EEENS0_14default_configENS1_37merge_sort_block_sort_config_selectorIaNS0_10empty_typeEEENS1_38merge_sort_block_merge_config_selectorIaSE_EEEEvv.private_seg_size, 0
	.set _ZN7rocprim17ROCPRIM_400000_NS6detail44device_merge_sort_compile_time_verifier_archINS1_11comp_targetILNS1_3genE10ELNS1_11target_archE1201ELNS1_3gpuE5ELNS1_3repE0EEES8_NS1_28merge_sort_block_sort_configILj256ELj4ELNS0_20block_sort_algorithmE0EEENS0_14default_configENS1_37merge_sort_block_sort_config_selectorIaNS0_10empty_typeEEENS1_38merge_sort_block_merge_config_selectorIaSE_EEEEvv.uses_vcc, 0
	.set _ZN7rocprim17ROCPRIM_400000_NS6detail44device_merge_sort_compile_time_verifier_archINS1_11comp_targetILNS1_3genE10ELNS1_11target_archE1201ELNS1_3gpuE5ELNS1_3repE0EEES8_NS1_28merge_sort_block_sort_configILj256ELj4ELNS0_20block_sort_algorithmE0EEENS0_14default_configENS1_37merge_sort_block_sort_config_selectorIaNS0_10empty_typeEEENS1_38merge_sort_block_merge_config_selectorIaSE_EEEEvv.uses_flat_scratch, 0
	.set _ZN7rocprim17ROCPRIM_400000_NS6detail44device_merge_sort_compile_time_verifier_archINS1_11comp_targetILNS1_3genE10ELNS1_11target_archE1201ELNS1_3gpuE5ELNS1_3repE0EEES8_NS1_28merge_sort_block_sort_configILj256ELj4ELNS0_20block_sort_algorithmE0EEENS0_14default_configENS1_37merge_sort_block_sort_config_selectorIaNS0_10empty_typeEEENS1_38merge_sort_block_merge_config_selectorIaSE_EEEEvv.has_dyn_sized_stack, 0
	.set _ZN7rocprim17ROCPRIM_400000_NS6detail44device_merge_sort_compile_time_verifier_archINS1_11comp_targetILNS1_3genE10ELNS1_11target_archE1201ELNS1_3gpuE5ELNS1_3repE0EEES8_NS1_28merge_sort_block_sort_configILj256ELj4ELNS0_20block_sort_algorithmE0EEENS0_14default_configENS1_37merge_sort_block_sort_config_selectorIaNS0_10empty_typeEEENS1_38merge_sort_block_merge_config_selectorIaSE_EEEEvv.has_recursion, 0
	.set _ZN7rocprim17ROCPRIM_400000_NS6detail44device_merge_sort_compile_time_verifier_archINS1_11comp_targetILNS1_3genE10ELNS1_11target_archE1201ELNS1_3gpuE5ELNS1_3repE0EEES8_NS1_28merge_sort_block_sort_configILj256ELj4ELNS0_20block_sort_algorithmE0EEENS0_14default_configENS1_37merge_sort_block_sort_config_selectorIaNS0_10empty_typeEEENS1_38merge_sort_block_merge_config_selectorIaSE_EEEEvv.has_indirect_call, 0
	.section	.AMDGPU.csdata,"",@progbits
; Kernel info:
; codeLenInByte = 4
; TotalNumSgprs: 0
; NumVgprs: 0
; ScratchSize: 0
; MemoryBound: 0
; FloatMode: 240
; IeeeMode: 1
; LDSByteSize: 0 bytes/workgroup (compile time only)
; SGPRBlocks: 0
; VGPRBlocks: 0
; NumSGPRsForWavesPerEU: 1
; NumVGPRsForWavesPerEU: 1
; NamedBarCnt: 0
; Occupancy: 16
; WaveLimiterHint : 0
; COMPUTE_PGM_RSRC2:SCRATCH_EN: 0
; COMPUTE_PGM_RSRC2:USER_SGPR: 0
; COMPUTE_PGM_RSRC2:TRAP_HANDLER: 0
; COMPUTE_PGM_RSRC2:TGID_X_EN: 1
; COMPUTE_PGM_RSRC2:TGID_Y_EN: 0
; COMPUTE_PGM_RSRC2:TGID_Z_EN: 0
; COMPUTE_PGM_RSRC2:TIDIG_COMP_CNT: 0
	.section	.text._ZN7rocprim17ROCPRIM_400000_NS6detail44device_merge_sort_compile_time_verifier_archINS1_11comp_targetILNS1_3genE10ELNS1_11target_archE1200ELNS1_3gpuE4ELNS1_3repE0EEENS3_ILS4_10ELS5_1201ELS6_5ELS7_0EEENS1_28merge_sort_block_sort_configILj256ELj4ELNS0_20block_sort_algorithmE0EEENS0_14default_configENS1_37merge_sort_block_sort_config_selectorIaNS0_10empty_typeEEENS1_38merge_sort_block_merge_config_selectorIaSF_EEEEvv,"axG",@progbits,_ZN7rocprim17ROCPRIM_400000_NS6detail44device_merge_sort_compile_time_verifier_archINS1_11comp_targetILNS1_3genE10ELNS1_11target_archE1200ELNS1_3gpuE4ELNS1_3repE0EEENS3_ILS4_10ELS5_1201ELS6_5ELS7_0EEENS1_28merge_sort_block_sort_configILj256ELj4ELNS0_20block_sort_algorithmE0EEENS0_14default_configENS1_37merge_sort_block_sort_config_selectorIaNS0_10empty_typeEEENS1_38merge_sort_block_merge_config_selectorIaSF_EEEEvv,comdat
	.protected	_ZN7rocprim17ROCPRIM_400000_NS6detail44device_merge_sort_compile_time_verifier_archINS1_11comp_targetILNS1_3genE10ELNS1_11target_archE1200ELNS1_3gpuE4ELNS1_3repE0EEENS3_ILS4_10ELS5_1201ELS6_5ELS7_0EEENS1_28merge_sort_block_sort_configILj256ELj4ELNS0_20block_sort_algorithmE0EEENS0_14default_configENS1_37merge_sort_block_sort_config_selectorIaNS0_10empty_typeEEENS1_38merge_sort_block_merge_config_selectorIaSF_EEEEvv ; -- Begin function _ZN7rocprim17ROCPRIM_400000_NS6detail44device_merge_sort_compile_time_verifier_archINS1_11comp_targetILNS1_3genE10ELNS1_11target_archE1200ELNS1_3gpuE4ELNS1_3repE0EEENS3_ILS4_10ELS5_1201ELS6_5ELS7_0EEENS1_28merge_sort_block_sort_configILj256ELj4ELNS0_20block_sort_algorithmE0EEENS0_14default_configENS1_37merge_sort_block_sort_config_selectorIaNS0_10empty_typeEEENS1_38merge_sort_block_merge_config_selectorIaSF_EEEEvv
	.globl	_ZN7rocprim17ROCPRIM_400000_NS6detail44device_merge_sort_compile_time_verifier_archINS1_11comp_targetILNS1_3genE10ELNS1_11target_archE1200ELNS1_3gpuE4ELNS1_3repE0EEENS3_ILS4_10ELS5_1201ELS6_5ELS7_0EEENS1_28merge_sort_block_sort_configILj256ELj4ELNS0_20block_sort_algorithmE0EEENS0_14default_configENS1_37merge_sort_block_sort_config_selectorIaNS0_10empty_typeEEENS1_38merge_sort_block_merge_config_selectorIaSF_EEEEvv
	.p2align	8
	.type	_ZN7rocprim17ROCPRIM_400000_NS6detail44device_merge_sort_compile_time_verifier_archINS1_11comp_targetILNS1_3genE10ELNS1_11target_archE1200ELNS1_3gpuE4ELNS1_3repE0EEENS3_ILS4_10ELS5_1201ELS6_5ELS7_0EEENS1_28merge_sort_block_sort_configILj256ELj4ELNS0_20block_sort_algorithmE0EEENS0_14default_configENS1_37merge_sort_block_sort_config_selectorIaNS0_10empty_typeEEENS1_38merge_sort_block_merge_config_selectorIaSF_EEEEvv,@function
_ZN7rocprim17ROCPRIM_400000_NS6detail44device_merge_sort_compile_time_verifier_archINS1_11comp_targetILNS1_3genE10ELNS1_11target_archE1200ELNS1_3gpuE4ELNS1_3repE0EEENS3_ILS4_10ELS5_1201ELS6_5ELS7_0EEENS1_28merge_sort_block_sort_configILj256ELj4ELNS0_20block_sort_algorithmE0EEENS0_14default_configENS1_37merge_sort_block_sort_config_selectorIaNS0_10empty_typeEEENS1_38merge_sort_block_merge_config_selectorIaSF_EEEEvv: ; @_ZN7rocprim17ROCPRIM_400000_NS6detail44device_merge_sort_compile_time_verifier_archINS1_11comp_targetILNS1_3genE10ELNS1_11target_archE1200ELNS1_3gpuE4ELNS1_3repE0EEENS3_ILS4_10ELS5_1201ELS6_5ELS7_0EEENS1_28merge_sort_block_sort_configILj256ELj4ELNS0_20block_sort_algorithmE0EEENS0_14default_configENS1_37merge_sort_block_sort_config_selectorIaNS0_10empty_typeEEENS1_38merge_sort_block_merge_config_selectorIaSF_EEEEvv
; %bb.0:
	s_endpgm
	.section	.rodata,"a",@progbits
	.p2align	6, 0x0
	.amdhsa_kernel _ZN7rocprim17ROCPRIM_400000_NS6detail44device_merge_sort_compile_time_verifier_archINS1_11comp_targetILNS1_3genE10ELNS1_11target_archE1200ELNS1_3gpuE4ELNS1_3repE0EEENS3_ILS4_10ELS5_1201ELS6_5ELS7_0EEENS1_28merge_sort_block_sort_configILj256ELj4ELNS0_20block_sort_algorithmE0EEENS0_14default_configENS1_37merge_sort_block_sort_config_selectorIaNS0_10empty_typeEEENS1_38merge_sort_block_merge_config_selectorIaSF_EEEEvv
		.amdhsa_group_segment_fixed_size 0
		.amdhsa_private_segment_fixed_size 0
		.amdhsa_kernarg_size 0
		.amdhsa_user_sgpr_count 0
		.amdhsa_user_sgpr_dispatch_ptr 0
		.amdhsa_user_sgpr_queue_ptr 0
		.amdhsa_user_sgpr_kernarg_segment_ptr 0
		.amdhsa_user_sgpr_dispatch_id 0
		.amdhsa_user_sgpr_kernarg_preload_length 0
		.amdhsa_user_sgpr_kernarg_preload_offset 0
		.amdhsa_user_sgpr_private_segment_size 0
		.amdhsa_wavefront_size32 1
		.amdhsa_uses_dynamic_stack 0
		.amdhsa_enable_private_segment 0
		.amdhsa_system_sgpr_workgroup_id_x 1
		.amdhsa_system_sgpr_workgroup_id_y 0
		.amdhsa_system_sgpr_workgroup_id_z 0
		.amdhsa_system_sgpr_workgroup_info 0
		.amdhsa_system_vgpr_workitem_id 0
		.amdhsa_next_free_vgpr 1
		.amdhsa_next_free_sgpr 1
		.amdhsa_named_barrier_count 0
		.amdhsa_reserve_vcc 0
		.amdhsa_float_round_mode_32 0
		.amdhsa_float_round_mode_16_64 0
		.amdhsa_float_denorm_mode_32 3
		.amdhsa_float_denorm_mode_16_64 3
		.amdhsa_fp16_overflow 0
		.amdhsa_memory_ordered 1
		.amdhsa_forward_progress 1
		.amdhsa_inst_pref_size 1
		.amdhsa_round_robin_scheduling 0
		.amdhsa_exception_fp_ieee_invalid_op 0
		.amdhsa_exception_fp_denorm_src 0
		.amdhsa_exception_fp_ieee_div_zero 0
		.amdhsa_exception_fp_ieee_overflow 0
		.amdhsa_exception_fp_ieee_underflow 0
		.amdhsa_exception_fp_ieee_inexact 0
		.amdhsa_exception_int_div_zero 0
	.end_amdhsa_kernel
	.section	.text._ZN7rocprim17ROCPRIM_400000_NS6detail44device_merge_sort_compile_time_verifier_archINS1_11comp_targetILNS1_3genE10ELNS1_11target_archE1200ELNS1_3gpuE4ELNS1_3repE0EEENS3_ILS4_10ELS5_1201ELS6_5ELS7_0EEENS1_28merge_sort_block_sort_configILj256ELj4ELNS0_20block_sort_algorithmE0EEENS0_14default_configENS1_37merge_sort_block_sort_config_selectorIaNS0_10empty_typeEEENS1_38merge_sort_block_merge_config_selectorIaSF_EEEEvv,"axG",@progbits,_ZN7rocprim17ROCPRIM_400000_NS6detail44device_merge_sort_compile_time_verifier_archINS1_11comp_targetILNS1_3genE10ELNS1_11target_archE1200ELNS1_3gpuE4ELNS1_3repE0EEENS3_ILS4_10ELS5_1201ELS6_5ELS7_0EEENS1_28merge_sort_block_sort_configILj256ELj4ELNS0_20block_sort_algorithmE0EEENS0_14default_configENS1_37merge_sort_block_sort_config_selectorIaNS0_10empty_typeEEENS1_38merge_sort_block_merge_config_selectorIaSF_EEEEvv,comdat
.Lfunc_end270:
	.size	_ZN7rocprim17ROCPRIM_400000_NS6detail44device_merge_sort_compile_time_verifier_archINS1_11comp_targetILNS1_3genE10ELNS1_11target_archE1200ELNS1_3gpuE4ELNS1_3repE0EEENS3_ILS4_10ELS5_1201ELS6_5ELS7_0EEENS1_28merge_sort_block_sort_configILj256ELj4ELNS0_20block_sort_algorithmE0EEENS0_14default_configENS1_37merge_sort_block_sort_config_selectorIaNS0_10empty_typeEEENS1_38merge_sort_block_merge_config_selectorIaSF_EEEEvv, .Lfunc_end270-_ZN7rocprim17ROCPRIM_400000_NS6detail44device_merge_sort_compile_time_verifier_archINS1_11comp_targetILNS1_3genE10ELNS1_11target_archE1200ELNS1_3gpuE4ELNS1_3repE0EEENS3_ILS4_10ELS5_1201ELS6_5ELS7_0EEENS1_28merge_sort_block_sort_configILj256ELj4ELNS0_20block_sort_algorithmE0EEENS0_14default_configENS1_37merge_sort_block_sort_config_selectorIaNS0_10empty_typeEEENS1_38merge_sort_block_merge_config_selectorIaSF_EEEEvv
                                        ; -- End function
	.set _ZN7rocprim17ROCPRIM_400000_NS6detail44device_merge_sort_compile_time_verifier_archINS1_11comp_targetILNS1_3genE10ELNS1_11target_archE1200ELNS1_3gpuE4ELNS1_3repE0EEENS3_ILS4_10ELS5_1201ELS6_5ELS7_0EEENS1_28merge_sort_block_sort_configILj256ELj4ELNS0_20block_sort_algorithmE0EEENS0_14default_configENS1_37merge_sort_block_sort_config_selectorIaNS0_10empty_typeEEENS1_38merge_sort_block_merge_config_selectorIaSF_EEEEvv.num_vgpr, 0
	.set _ZN7rocprim17ROCPRIM_400000_NS6detail44device_merge_sort_compile_time_verifier_archINS1_11comp_targetILNS1_3genE10ELNS1_11target_archE1200ELNS1_3gpuE4ELNS1_3repE0EEENS3_ILS4_10ELS5_1201ELS6_5ELS7_0EEENS1_28merge_sort_block_sort_configILj256ELj4ELNS0_20block_sort_algorithmE0EEENS0_14default_configENS1_37merge_sort_block_sort_config_selectorIaNS0_10empty_typeEEENS1_38merge_sort_block_merge_config_selectorIaSF_EEEEvv.num_agpr, 0
	.set _ZN7rocprim17ROCPRIM_400000_NS6detail44device_merge_sort_compile_time_verifier_archINS1_11comp_targetILNS1_3genE10ELNS1_11target_archE1200ELNS1_3gpuE4ELNS1_3repE0EEENS3_ILS4_10ELS5_1201ELS6_5ELS7_0EEENS1_28merge_sort_block_sort_configILj256ELj4ELNS0_20block_sort_algorithmE0EEENS0_14default_configENS1_37merge_sort_block_sort_config_selectorIaNS0_10empty_typeEEENS1_38merge_sort_block_merge_config_selectorIaSF_EEEEvv.numbered_sgpr, 0
	.set _ZN7rocprim17ROCPRIM_400000_NS6detail44device_merge_sort_compile_time_verifier_archINS1_11comp_targetILNS1_3genE10ELNS1_11target_archE1200ELNS1_3gpuE4ELNS1_3repE0EEENS3_ILS4_10ELS5_1201ELS6_5ELS7_0EEENS1_28merge_sort_block_sort_configILj256ELj4ELNS0_20block_sort_algorithmE0EEENS0_14default_configENS1_37merge_sort_block_sort_config_selectorIaNS0_10empty_typeEEENS1_38merge_sort_block_merge_config_selectorIaSF_EEEEvv.num_named_barrier, 0
	.set _ZN7rocprim17ROCPRIM_400000_NS6detail44device_merge_sort_compile_time_verifier_archINS1_11comp_targetILNS1_3genE10ELNS1_11target_archE1200ELNS1_3gpuE4ELNS1_3repE0EEENS3_ILS4_10ELS5_1201ELS6_5ELS7_0EEENS1_28merge_sort_block_sort_configILj256ELj4ELNS0_20block_sort_algorithmE0EEENS0_14default_configENS1_37merge_sort_block_sort_config_selectorIaNS0_10empty_typeEEENS1_38merge_sort_block_merge_config_selectorIaSF_EEEEvv.private_seg_size, 0
	.set _ZN7rocprim17ROCPRIM_400000_NS6detail44device_merge_sort_compile_time_verifier_archINS1_11comp_targetILNS1_3genE10ELNS1_11target_archE1200ELNS1_3gpuE4ELNS1_3repE0EEENS3_ILS4_10ELS5_1201ELS6_5ELS7_0EEENS1_28merge_sort_block_sort_configILj256ELj4ELNS0_20block_sort_algorithmE0EEENS0_14default_configENS1_37merge_sort_block_sort_config_selectorIaNS0_10empty_typeEEENS1_38merge_sort_block_merge_config_selectorIaSF_EEEEvv.uses_vcc, 0
	.set _ZN7rocprim17ROCPRIM_400000_NS6detail44device_merge_sort_compile_time_verifier_archINS1_11comp_targetILNS1_3genE10ELNS1_11target_archE1200ELNS1_3gpuE4ELNS1_3repE0EEENS3_ILS4_10ELS5_1201ELS6_5ELS7_0EEENS1_28merge_sort_block_sort_configILj256ELj4ELNS0_20block_sort_algorithmE0EEENS0_14default_configENS1_37merge_sort_block_sort_config_selectorIaNS0_10empty_typeEEENS1_38merge_sort_block_merge_config_selectorIaSF_EEEEvv.uses_flat_scratch, 0
	.set _ZN7rocprim17ROCPRIM_400000_NS6detail44device_merge_sort_compile_time_verifier_archINS1_11comp_targetILNS1_3genE10ELNS1_11target_archE1200ELNS1_3gpuE4ELNS1_3repE0EEENS3_ILS4_10ELS5_1201ELS6_5ELS7_0EEENS1_28merge_sort_block_sort_configILj256ELj4ELNS0_20block_sort_algorithmE0EEENS0_14default_configENS1_37merge_sort_block_sort_config_selectorIaNS0_10empty_typeEEENS1_38merge_sort_block_merge_config_selectorIaSF_EEEEvv.has_dyn_sized_stack, 0
	.set _ZN7rocprim17ROCPRIM_400000_NS6detail44device_merge_sort_compile_time_verifier_archINS1_11comp_targetILNS1_3genE10ELNS1_11target_archE1200ELNS1_3gpuE4ELNS1_3repE0EEENS3_ILS4_10ELS5_1201ELS6_5ELS7_0EEENS1_28merge_sort_block_sort_configILj256ELj4ELNS0_20block_sort_algorithmE0EEENS0_14default_configENS1_37merge_sort_block_sort_config_selectorIaNS0_10empty_typeEEENS1_38merge_sort_block_merge_config_selectorIaSF_EEEEvv.has_recursion, 0
	.set _ZN7rocprim17ROCPRIM_400000_NS6detail44device_merge_sort_compile_time_verifier_archINS1_11comp_targetILNS1_3genE10ELNS1_11target_archE1200ELNS1_3gpuE4ELNS1_3repE0EEENS3_ILS4_10ELS5_1201ELS6_5ELS7_0EEENS1_28merge_sort_block_sort_configILj256ELj4ELNS0_20block_sort_algorithmE0EEENS0_14default_configENS1_37merge_sort_block_sort_config_selectorIaNS0_10empty_typeEEENS1_38merge_sort_block_merge_config_selectorIaSF_EEEEvv.has_indirect_call, 0
	.section	.AMDGPU.csdata,"",@progbits
; Kernel info:
; codeLenInByte = 4
; TotalNumSgprs: 0
; NumVgprs: 0
; ScratchSize: 0
; MemoryBound: 0
; FloatMode: 240
; IeeeMode: 1
; LDSByteSize: 0 bytes/workgroup (compile time only)
; SGPRBlocks: 0
; VGPRBlocks: 0
; NumSGPRsForWavesPerEU: 1
; NumVGPRsForWavesPerEU: 1
; NamedBarCnt: 0
; Occupancy: 16
; WaveLimiterHint : 0
; COMPUTE_PGM_RSRC2:SCRATCH_EN: 0
; COMPUTE_PGM_RSRC2:USER_SGPR: 0
; COMPUTE_PGM_RSRC2:TRAP_HANDLER: 0
; COMPUTE_PGM_RSRC2:TGID_X_EN: 1
; COMPUTE_PGM_RSRC2:TGID_Y_EN: 0
; COMPUTE_PGM_RSRC2:TGID_Z_EN: 0
; COMPUTE_PGM_RSRC2:TIDIG_COMP_CNT: 0
	.section	.text._ZN7rocprim17ROCPRIM_400000_NS6detail44device_merge_sort_compile_time_verifier_archINS1_11comp_targetILNS1_3genE9ELNS1_11target_archE1100ELNS1_3gpuE3ELNS1_3repE0EEES8_NS1_28merge_sort_block_sort_configILj256ELj4ELNS0_20block_sort_algorithmE0EEENS0_14default_configENS1_37merge_sort_block_sort_config_selectorIaNS0_10empty_typeEEENS1_38merge_sort_block_merge_config_selectorIaSE_EEEEvv,"axG",@progbits,_ZN7rocprim17ROCPRIM_400000_NS6detail44device_merge_sort_compile_time_verifier_archINS1_11comp_targetILNS1_3genE9ELNS1_11target_archE1100ELNS1_3gpuE3ELNS1_3repE0EEES8_NS1_28merge_sort_block_sort_configILj256ELj4ELNS0_20block_sort_algorithmE0EEENS0_14default_configENS1_37merge_sort_block_sort_config_selectorIaNS0_10empty_typeEEENS1_38merge_sort_block_merge_config_selectorIaSE_EEEEvv,comdat
	.protected	_ZN7rocprim17ROCPRIM_400000_NS6detail44device_merge_sort_compile_time_verifier_archINS1_11comp_targetILNS1_3genE9ELNS1_11target_archE1100ELNS1_3gpuE3ELNS1_3repE0EEES8_NS1_28merge_sort_block_sort_configILj256ELj4ELNS0_20block_sort_algorithmE0EEENS0_14default_configENS1_37merge_sort_block_sort_config_selectorIaNS0_10empty_typeEEENS1_38merge_sort_block_merge_config_selectorIaSE_EEEEvv ; -- Begin function _ZN7rocprim17ROCPRIM_400000_NS6detail44device_merge_sort_compile_time_verifier_archINS1_11comp_targetILNS1_3genE9ELNS1_11target_archE1100ELNS1_3gpuE3ELNS1_3repE0EEES8_NS1_28merge_sort_block_sort_configILj256ELj4ELNS0_20block_sort_algorithmE0EEENS0_14default_configENS1_37merge_sort_block_sort_config_selectorIaNS0_10empty_typeEEENS1_38merge_sort_block_merge_config_selectorIaSE_EEEEvv
	.globl	_ZN7rocprim17ROCPRIM_400000_NS6detail44device_merge_sort_compile_time_verifier_archINS1_11comp_targetILNS1_3genE9ELNS1_11target_archE1100ELNS1_3gpuE3ELNS1_3repE0EEES8_NS1_28merge_sort_block_sort_configILj256ELj4ELNS0_20block_sort_algorithmE0EEENS0_14default_configENS1_37merge_sort_block_sort_config_selectorIaNS0_10empty_typeEEENS1_38merge_sort_block_merge_config_selectorIaSE_EEEEvv
	.p2align	8
	.type	_ZN7rocprim17ROCPRIM_400000_NS6detail44device_merge_sort_compile_time_verifier_archINS1_11comp_targetILNS1_3genE9ELNS1_11target_archE1100ELNS1_3gpuE3ELNS1_3repE0EEES8_NS1_28merge_sort_block_sort_configILj256ELj4ELNS0_20block_sort_algorithmE0EEENS0_14default_configENS1_37merge_sort_block_sort_config_selectorIaNS0_10empty_typeEEENS1_38merge_sort_block_merge_config_selectorIaSE_EEEEvv,@function
_ZN7rocprim17ROCPRIM_400000_NS6detail44device_merge_sort_compile_time_verifier_archINS1_11comp_targetILNS1_3genE9ELNS1_11target_archE1100ELNS1_3gpuE3ELNS1_3repE0EEES8_NS1_28merge_sort_block_sort_configILj256ELj4ELNS0_20block_sort_algorithmE0EEENS0_14default_configENS1_37merge_sort_block_sort_config_selectorIaNS0_10empty_typeEEENS1_38merge_sort_block_merge_config_selectorIaSE_EEEEvv: ; @_ZN7rocprim17ROCPRIM_400000_NS6detail44device_merge_sort_compile_time_verifier_archINS1_11comp_targetILNS1_3genE9ELNS1_11target_archE1100ELNS1_3gpuE3ELNS1_3repE0EEES8_NS1_28merge_sort_block_sort_configILj256ELj4ELNS0_20block_sort_algorithmE0EEENS0_14default_configENS1_37merge_sort_block_sort_config_selectorIaNS0_10empty_typeEEENS1_38merge_sort_block_merge_config_selectorIaSE_EEEEvv
; %bb.0:
	s_endpgm
	.section	.rodata,"a",@progbits
	.p2align	6, 0x0
	.amdhsa_kernel _ZN7rocprim17ROCPRIM_400000_NS6detail44device_merge_sort_compile_time_verifier_archINS1_11comp_targetILNS1_3genE9ELNS1_11target_archE1100ELNS1_3gpuE3ELNS1_3repE0EEES8_NS1_28merge_sort_block_sort_configILj256ELj4ELNS0_20block_sort_algorithmE0EEENS0_14default_configENS1_37merge_sort_block_sort_config_selectorIaNS0_10empty_typeEEENS1_38merge_sort_block_merge_config_selectorIaSE_EEEEvv
		.amdhsa_group_segment_fixed_size 0
		.amdhsa_private_segment_fixed_size 0
		.amdhsa_kernarg_size 0
		.amdhsa_user_sgpr_count 0
		.amdhsa_user_sgpr_dispatch_ptr 0
		.amdhsa_user_sgpr_queue_ptr 0
		.amdhsa_user_sgpr_kernarg_segment_ptr 0
		.amdhsa_user_sgpr_dispatch_id 0
		.amdhsa_user_sgpr_kernarg_preload_length 0
		.amdhsa_user_sgpr_kernarg_preload_offset 0
		.amdhsa_user_sgpr_private_segment_size 0
		.amdhsa_wavefront_size32 1
		.amdhsa_uses_dynamic_stack 0
		.amdhsa_enable_private_segment 0
		.amdhsa_system_sgpr_workgroup_id_x 1
		.amdhsa_system_sgpr_workgroup_id_y 0
		.amdhsa_system_sgpr_workgroup_id_z 0
		.amdhsa_system_sgpr_workgroup_info 0
		.amdhsa_system_vgpr_workitem_id 0
		.amdhsa_next_free_vgpr 1
		.amdhsa_next_free_sgpr 1
		.amdhsa_named_barrier_count 0
		.amdhsa_reserve_vcc 0
		.amdhsa_float_round_mode_32 0
		.amdhsa_float_round_mode_16_64 0
		.amdhsa_float_denorm_mode_32 3
		.amdhsa_float_denorm_mode_16_64 3
		.amdhsa_fp16_overflow 0
		.amdhsa_memory_ordered 1
		.amdhsa_forward_progress 1
		.amdhsa_inst_pref_size 1
		.amdhsa_round_robin_scheduling 0
		.amdhsa_exception_fp_ieee_invalid_op 0
		.amdhsa_exception_fp_denorm_src 0
		.amdhsa_exception_fp_ieee_div_zero 0
		.amdhsa_exception_fp_ieee_overflow 0
		.amdhsa_exception_fp_ieee_underflow 0
		.amdhsa_exception_fp_ieee_inexact 0
		.amdhsa_exception_int_div_zero 0
	.end_amdhsa_kernel
	.section	.text._ZN7rocprim17ROCPRIM_400000_NS6detail44device_merge_sort_compile_time_verifier_archINS1_11comp_targetILNS1_3genE9ELNS1_11target_archE1100ELNS1_3gpuE3ELNS1_3repE0EEES8_NS1_28merge_sort_block_sort_configILj256ELj4ELNS0_20block_sort_algorithmE0EEENS0_14default_configENS1_37merge_sort_block_sort_config_selectorIaNS0_10empty_typeEEENS1_38merge_sort_block_merge_config_selectorIaSE_EEEEvv,"axG",@progbits,_ZN7rocprim17ROCPRIM_400000_NS6detail44device_merge_sort_compile_time_verifier_archINS1_11comp_targetILNS1_3genE9ELNS1_11target_archE1100ELNS1_3gpuE3ELNS1_3repE0EEES8_NS1_28merge_sort_block_sort_configILj256ELj4ELNS0_20block_sort_algorithmE0EEENS0_14default_configENS1_37merge_sort_block_sort_config_selectorIaNS0_10empty_typeEEENS1_38merge_sort_block_merge_config_selectorIaSE_EEEEvv,comdat
.Lfunc_end271:
	.size	_ZN7rocprim17ROCPRIM_400000_NS6detail44device_merge_sort_compile_time_verifier_archINS1_11comp_targetILNS1_3genE9ELNS1_11target_archE1100ELNS1_3gpuE3ELNS1_3repE0EEES8_NS1_28merge_sort_block_sort_configILj256ELj4ELNS0_20block_sort_algorithmE0EEENS0_14default_configENS1_37merge_sort_block_sort_config_selectorIaNS0_10empty_typeEEENS1_38merge_sort_block_merge_config_selectorIaSE_EEEEvv, .Lfunc_end271-_ZN7rocprim17ROCPRIM_400000_NS6detail44device_merge_sort_compile_time_verifier_archINS1_11comp_targetILNS1_3genE9ELNS1_11target_archE1100ELNS1_3gpuE3ELNS1_3repE0EEES8_NS1_28merge_sort_block_sort_configILj256ELj4ELNS0_20block_sort_algorithmE0EEENS0_14default_configENS1_37merge_sort_block_sort_config_selectorIaNS0_10empty_typeEEENS1_38merge_sort_block_merge_config_selectorIaSE_EEEEvv
                                        ; -- End function
	.set _ZN7rocprim17ROCPRIM_400000_NS6detail44device_merge_sort_compile_time_verifier_archINS1_11comp_targetILNS1_3genE9ELNS1_11target_archE1100ELNS1_3gpuE3ELNS1_3repE0EEES8_NS1_28merge_sort_block_sort_configILj256ELj4ELNS0_20block_sort_algorithmE0EEENS0_14default_configENS1_37merge_sort_block_sort_config_selectorIaNS0_10empty_typeEEENS1_38merge_sort_block_merge_config_selectorIaSE_EEEEvv.num_vgpr, 0
	.set _ZN7rocprim17ROCPRIM_400000_NS6detail44device_merge_sort_compile_time_verifier_archINS1_11comp_targetILNS1_3genE9ELNS1_11target_archE1100ELNS1_3gpuE3ELNS1_3repE0EEES8_NS1_28merge_sort_block_sort_configILj256ELj4ELNS0_20block_sort_algorithmE0EEENS0_14default_configENS1_37merge_sort_block_sort_config_selectorIaNS0_10empty_typeEEENS1_38merge_sort_block_merge_config_selectorIaSE_EEEEvv.num_agpr, 0
	.set _ZN7rocprim17ROCPRIM_400000_NS6detail44device_merge_sort_compile_time_verifier_archINS1_11comp_targetILNS1_3genE9ELNS1_11target_archE1100ELNS1_3gpuE3ELNS1_3repE0EEES8_NS1_28merge_sort_block_sort_configILj256ELj4ELNS0_20block_sort_algorithmE0EEENS0_14default_configENS1_37merge_sort_block_sort_config_selectorIaNS0_10empty_typeEEENS1_38merge_sort_block_merge_config_selectorIaSE_EEEEvv.numbered_sgpr, 0
	.set _ZN7rocprim17ROCPRIM_400000_NS6detail44device_merge_sort_compile_time_verifier_archINS1_11comp_targetILNS1_3genE9ELNS1_11target_archE1100ELNS1_3gpuE3ELNS1_3repE0EEES8_NS1_28merge_sort_block_sort_configILj256ELj4ELNS0_20block_sort_algorithmE0EEENS0_14default_configENS1_37merge_sort_block_sort_config_selectorIaNS0_10empty_typeEEENS1_38merge_sort_block_merge_config_selectorIaSE_EEEEvv.num_named_barrier, 0
	.set _ZN7rocprim17ROCPRIM_400000_NS6detail44device_merge_sort_compile_time_verifier_archINS1_11comp_targetILNS1_3genE9ELNS1_11target_archE1100ELNS1_3gpuE3ELNS1_3repE0EEES8_NS1_28merge_sort_block_sort_configILj256ELj4ELNS0_20block_sort_algorithmE0EEENS0_14default_configENS1_37merge_sort_block_sort_config_selectorIaNS0_10empty_typeEEENS1_38merge_sort_block_merge_config_selectorIaSE_EEEEvv.private_seg_size, 0
	.set _ZN7rocprim17ROCPRIM_400000_NS6detail44device_merge_sort_compile_time_verifier_archINS1_11comp_targetILNS1_3genE9ELNS1_11target_archE1100ELNS1_3gpuE3ELNS1_3repE0EEES8_NS1_28merge_sort_block_sort_configILj256ELj4ELNS0_20block_sort_algorithmE0EEENS0_14default_configENS1_37merge_sort_block_sort_config_selectorIaNS0_10empty_typeEEENS1_38merge_sort_block_merge_config_selectorIaSE_EEEEvv.uses_vcc, 0
	.set _ZN7rocprim17ROCPRIM_400000_NS6detail44device_merge_sort_compile_time_verifier_archINS1_11comp_targetILNS1_3genE9ELNS1_11target_archE1100ELNS1_3gpuE3ELNS1_3repE0EEES8_NS1_28merge_sort_block_sort_configILj256ELj4ELNS0_20block_sort_algorithmE0EEENS0_14default_configENS1_37merge_sort_block_sort_config_selectorIaNS0_10empty_typeEEENS1_38merge_sort_block_merge_config_selectorIaSE_EEEEvv.uses_flat_scratch, 0
	.set _ZN7rocprim17ROCPRIM_400000_NS6detail44device_merge_sort_compile_time_verifier_archINS1_11comp_targetILNS1_3genE9ELNS1_11target_archE1100ELNS1_3gpuE3ELNS1_3repE0EEES8_NS1_28merge_sort_block_sort_configILj256ELj4ELNS0_20block_sort_algorithmE0EEENS0_14default_configENS1_37merge_sort_block_sort_config_selectorIaNS0_10empty_typeEEENS1_38merge_sort_block_merge_config_selectorIaSE_EEEEvv.has_dyn_sized_stack, 0
	.set _ZN7rocprim17ROCPRIM_400000_NS6detail44device_merge_sort_compile_time_verifier_archINS1_11comp_targetILNS1_3genE9ELNS1_11target_archE1100ELNS1_3gpuE3ELNS1_3repE0EEES8_NS1_28merge_sort_block_sort_configILj256ELj4ELNS0_20block_sort_algorithmE0EEENS0_14default_configENS1_37merge_sort_block_sort_config_selectorIaNS0_10empty_typeEEENS1_38merge_sort_block_merge_config_selectorIaSE_EEEEvv.has_recursion, 0
	.set _ZN7rocprim17ROCPRIM_400000_NS6detail44device_merge_sort_compile_time_verifier_archINS1_11comp_targetILNS1_3genE9ELNS1_11target_archE1100ELNS1_3gpuE3ELNS1_3repE0EEES8_NS1_28merge_sort_block_sort_configILj256ELj4ELNS0_20block_sort_algorithmE0EEENS0_14default_configENS1_37merge_sort_block_sort_config_selectorIaNS0_10empty_typeEEENS1_38merge_sort_block_merge_config_selectorIaSE_EEEEvv.has_indirect_call, 0
	.section	.AMDGPU.csdata,"",@progbits
; Kernel info:
; codeLenInByte = 4
; TotalNumSgprs: 0
; NumVgprs: 0
; ScratchSize: 0
; MemoryBound: 0
; FloatMode: 240
; IeeeMode: 1
; LDSByteSize: 0 bytes/workgroup (compile time only)
; SGPRBlocks: 0
; VGPRBlocks: 0
; NumSGPRsForWavesPerEU: 1
; NumVGPRsForWavesPerEU: 1
; NamedBarCnt: 0
; Occupancy: 16
; WaveLimiterHint : 0
; COMPUTE_PGM_RSRC2:SCRATCH_EN: 0
; COMPUTE_PGM_RSRC2:USER_SGPR: 0
; COMPUTE_PGM_RSRC2:TRAP_HANDLER: 0
; COMPUTE_PGM_RSRC2:TGID_X_EN: 1
; COMPUTE_PGM_RSRC2:TGID_Y_EN: 0
; COMPUTE_PGM_RSRC2:TGID_Z_EN: 0
; COMPUTE_PGM_RSRC2:TIDIG_COMP_CNT: 0
	.section	.text._ZN7rocprim17ROCPRIM_400000_NS6detail44device_merge_sort_compile_time_verifier_archINS1_11comp_targetILNS1_3genE8ELNS1_11target_archE1030ELNS1_3gpuE2ELNS1_3repE0EEES8_NS1_28merge_sort_block_sort_configILj256ELj4ELNS0_20block_sort_algorithmE0EEENS0_14default_configENS1_37merge_sort_block_sort_config_selectorIaNS0_10empty_typeEEENS1_38merge_sort_block_merge_config_selectorIaSE_EEEEvv,"axG",@progbits,_ZN7rocprim17ROCPRIM_400000_NS6detail44device_merge_sort_compile_time_verifier_archINS1_11comp_targetILNS1_3genE8ELNS1_11target_archE1030ELNS1_3gpuE2ELNS1_3repE0EEES8_NS1_28merge_sort_block_sort_configILj256ELj4ELNS0_20block_sort_algorithmE0EEENS0_14default_configENS1_37merge_sort_block_sort_config_selectorIaNS0_10empty_typeEEENS1_38merge_sort_block_merge_config_selectorIaSE_EEEEvv,comdat
	.protected	_ZN7rocprim17ROCPRIM_400000_NS6detail44device_merge_sort_compile_time_verifier_archINS1_11comp_targetILNS1_3genE8ELNS1_11target_archE1030ELNS1_3gpuE2ELNS1_3repE0EEES8_NS1_28merge_sort_block_sort_configILj256ELj4ELNS0_20block_sort_algorithmE0EEENS0_14default_configENS1_37merge_sort_block_sort_config_selectorIaNS0_10empty_typeEEENS1_38merge_sort_block_merge_config_selectorIaSE_EEEEvv ; -- Begin function _ZN7rocprim17ROCPRIM_400000_NS6detail44device_merge_sort_compile_time_verifier_archINS1_11comp_targetILNS1_3genE8ELNS1_11target_archE1030ELNS1_3gpuE2ELNS1_3repE0EEES8_NS1_28merge_sort_block_sort_configILj256ELj4ELNS0_20block_sort_algorithmE0EEENS0_14default_configENS1_37merge_sort_block_sort_config_selectorIaNS0_10empty_typeEEENS1_38merge_sort_block_merge_config_selectorIaSE_EEEEvv
	.globl	_ZN7rocprim17ROCPRIM_400000_NS6detail44device_merge_sort_compile_time_verifier_archINS1_11comp_targetILNS1_3genE8ELNS1_11target_archE1030ELNS1_3gpuE2ELNS1_3repE0EEES8_NS1_28merge_sort_block_sort_configILj256ELj4ELNS0_20block_sort_algorithmE0EEENS0_14default_configENS1_37merge_sort_block_sort_config_selectorIaNS0_10empty_typeEEENS1_38merge_sort_block_merge_config_selectorIaSE_EEEEvv
	.p2align	8
	.type	_ZN7rocprim17ROCPRIM_400000_NS6detail44device_merge_sort_compile_time_verifier_archINS1_11comp_targetILNS1_3genE8ELNS1_11target_archE1030ELNS1_3gpuE2ELNS1_3repE0EEES8_NS1_28merge_sort_block_sort_configILj256ELj4ELNS0_20block_sort_algorithmE0EEENS0_14default_configENS1_37merge_sort_block_sort_config_selectorIaNS0_10empty_typeEEENS1_38merge_sort_block_merge_config_selectorIaSE_EEEEvv,@function
_ZN7rocprim17ROCPRIM_400000_NS6detail44device_merge_sort_compile_time_verifier_archINS1_11comp_targetILNS1_3genE8ELNS1_11target_archE1030ELNS1_3gpuE2ELNS1_3repE0EEES8_NS1_28merge_sort_block_sort_configILj256ELj4ELNS0_20block_sort_algorithmE0EEENS0_14default_configENS1_37merge_sort_block_sort_config_selectorIaNS0_10empty_typeEEENS1_38merge_sort_block_merge_config_selectorIaSE_EEEEvv: ; @_ZN7rocprim17ROCPRIM_400000_NS6detail44device_merge_sort_compile_time_verifier_archINS1_11comp_targetILNS1_3genE8ELNS1_11target_archE1030ELNS1_3gpuE2ELNS1_3repE0EEES8_NS1_28merge_sort_block_sort_configILj256ELj4ELNS0_20block_sort_algorithmE0EEENS0_14default_configENS1_37merge_sort_block_sort_config_selectorIaNS0_10empty_typeEEENS1_38merge_sort_block_merge_config_selectorIaSE_EEEEvv
; %bb.0:
	s_endpgm
	.section	.rodata,"a",@progbits
	.p2align	6, 0x0
	.amdhsa_kernel _ZN7rocprim17ROCPRIM_400000_NS6detail44device_merge_sort_compile_time_verifier_archINS1_11comp_targetILNS1_3genE8ELNS1_11target_archE1030ELNS1_3gpuE2ELNS1_3repE0EEES8_NS1_28merge_sort_block_sort_configILj256ELj4ELNS0_20block_sort_algorithmE0EEENS0_14default_configENS1_37merge_sort_block_sort_config_selectorIaNS0_10empty_typeEEENS1_38merge_sort_block_merge_config_selectorIaSE_EEEEvv
		.amdhsa_group_segment_fixed_size 0
		.amdhsa_private_segment_fixed_size 0
		.amdhsa_kernarg_size 0
		.amdhsa_user_sgpr_count 0
		.amdhsa_user_sgpr_dispatch_ptr 0
		.amdhsa_user_sgpr_queue_ptr 0
		.amdhsa_user_sgpr_kernarg_segment_ptr 0
		.amdhsa_user_sgpr_dispatch_id 0
		.amdhsa_user_sgpr_kernarg_preload_length 0
		.amdhsa_user_sgpr_kernarg_preload_offset 0
		.amdhsa_user_sgpr_private_segment_size 0
		.amdhsa_wavefront_size32 1
		.amdhsa_uses_dynamic_stack 0
		.amdhsa_enable_private_segment 0
		.amdhsa_system_sgpr_workgroup_id_x 1
		.amdhsa_system_sgpr_workgroup_id_y 0
		.amdhsa_system_sgpr_workgroup_id_z 0
		.amdhsa_system_sgpr_workgroup_info 0
		.amdhsa_system_vgpr_workitem_id 0
		.amdhsa_next_free_vgpr 1
		.amdhsa_next_free_sgpr 1
		.amdhsa_named_barrier_count 0
		.amdhsa_reserve_vcc 0
		.amdhsa_float_round_mode_32 0
		.amdhsa_float_round_mode_16_64 0
		.amdhsa_float_denorm_mode_32 3
		.amdhsa_float_denorm_mode_16_64 3
		.amdhsa_fp16_overflow 0
		.amdhsa_memory_ordered 1
		.amdhsa_forward_progress 1
		.amdhsa_inst_pref_size 1
		.amdhsa_round_robin_scheduling 0
		.amdhsa_exception_fp_ieee_invalid_op 0
		.amdhsa_exception_fp_denorm_src 0
		.amdhsa_exception_fp_ieee_div_zero 0
		.amdhsa_exception_fp_ieee_overflow 0
		.amdhsa_exception_fp_ieee_underflow 0
		.amdhsa_exception_fp_ieee_inexact 0
		.amdhsa_exception_int_div_zero 0
	.end_amdhsa_kernel
	.section	.text._ZN7rocprim17ROCPRIM_400000_NS6detail44device_merge_sort_compile_time_verifier_archINS1_11comp_targetILNS1_3genE8ELNS1_11target_archE1030ELNS1_3gpuE2ELNS1_3repE0EEES8_NS1_28merge_sort_block_sort_configILj256ELj4ELNS0_20block_sort_algorithmE0EEENS0_14default_configENS1_37merge_sort_block_sort_config_selectorIaNS0_10empty_typeEEENS1_38merge_sort_block_merge_config_selectorIaSE_EEEEvv,"axG",@progbits,_ZN7rocprim17ROCPRIM_400000_NS6detail44device_merge_sort_compile_time_verifier_archINS1_11comp_targetILNS1_3genE8ELNS1_11target_archE1030ELNS1_3gpuE2ELNS1_3repE0EEES8_NS1_28merge_sort_block_sort_configILj256ELj4ELNS0_20block_sort_algorithmE0EEENS0_14default_configENS1_37merge_sort_block_sort_config_selectorIaNS0_10empty_typeEEENS1_38merge_sort_block_merge_config_selectorIaSE_EEEEvv,comdat
.Lfunc_end272:
	.size	_ZN7rocprim17ROCPRIM_400000_NS6detail44device_merge_sort_compile_time_verifier_archINS1_11comp_targetILNS1_3genE8ELNS1_11target_archE1030ELNS1_3gpuE2ELNS1_3repE0EEES8_NS1_28merge_sort_block_sort_configILj256ELj4ELNS0_20block_sort_algorithmE0EEENS0_14default_configENS1_37merge_sort_block_sort_config_selectorIaNS0_10empty_typeEEENS1_38merge_sort_block_merge_config_selectorIaSE_EEEEvv, .Lfunc_end272-_ZN7rocprim17ROCPRIM_400000_NS6detail44device_merge_sort_compile_time_verifier_archINS1_11comp_targetILNS1_3genE8ELNS1_11target_archE1030ELNS1_3gpuE2ELNS1_3repE0EEES8_NS1_28merge_sort_block_sort_configILj256ELj4ELNS0_20block_sort_algorithmE0EEENS0_14default_configENS1_37merge_sort_block_sort_config_selectorIaNS0_10empty_typeEEENS1_38merge_sort_block_merge_config_selectorIaSE_EEEEvv
                                        ; -- End function
	.set _ZN7rocprim17ROCPRIM_400000_NS6detail44device_merge_sort_compile_time_verifier_archINS1_11comp_targetILNS1_3genE8ELNS1_11target_archE1030ELNS1_3gpuE2ELNS1_3repE0EEES8_NS1_28merge_sort_block_sort_configILj256ELj4ELNS0_20block_sort_algorithmE0EEENS0_14default_configENS1_37merge_sort_block_sort_config_selectorIaNS0_10empty_typeEEENS1_38merge_sort_block_merge_config_selectorIaSE_EEEEvv.num_vgpr, 0
	.set _ZN7rocprim17ROCPRIM_400000_NS6detail44device_merge_sort_compile_time_verifier_archINS1_11comp_targetILNS1_3genE8ELNS1_11target_archE1030ELNS1_3gpuE2ELNS1_3repE0EEES8_NS1_28merge_sort_block_sort_configILj256ELj4ELNS0_20block_sort_algorithmE0EEENS0_14default_configENS1_37merge_sort_block_sort_config_selectorIaNS0_10empty_typeEEENS1_38merge_sort_block_merge_config_selectorIaSE_EEEEvv.num_agpr, 0
	.set _ZN7rocprim17ROCPRIM_400000_NS6detail44device_merge_sort_compile_time_verifier_archINS1_11comp_targetILNS1_3genE8ELNS1_11target_archE1030ELNS1_3gpuE2ELNS1_3repE0EEES8_NS1_28merge_sort_block_sort_configILj256ELj4ELNS0_20block_sort_algorithmE0EEENS0_14default_configENS1_37merge_sort_block_sort_config_selectorIaNS0_10empty_typeEEENS1_38merge_sort_block_merge_config_selectorIaSE_EEEEvv.numbered_sgpr, 0
	.set _ZN7rocprim17ROCPRIM_400000_NS6detail44device_merge_sort_compile_time_verifier_archINS1_11comp_targetILNS1_3genE8ELNS1_11target_archE1030ELNS1_3gpuE2ELNS1_3repE0EEES8_NS1_28merge_sort_block_sort_configILj256ELj4ELNS0_20block_sort_algorithmE0EEENS0_14default_configENS1_37merge_sort_block_sort_config_selectorIaNS0_10empty_typeEEENS1_38merge_sort_block_merge_config_selectorIaSE_EEEEvv.num_named_barrier, 0
	.set _ZN7rocprim17ROCPRIM_400000_NS6detail44device_merge_sort_compile_time_verifier_archINS1_11comp_targetILNS1_3genE8ELNS1_11target_archE1030ELNS1_3gpuE2ELNS1_3repE0EEES8_NS1_28merge_sort_block_sort_configILj256ELj4ELNS0_20block_sort_algorithmE0EEENS0_14default_configENS1_37merge_sort_block_sort_config_selectorIaNS0_10empty_typeEEENS1_38merge_sort_block_merge_config_selectorIaSE_EEEEvv.private_seg_size, 0
	.set _ZN7rocprim17ROCPRIM_400000_NS6detail44device_merge_sort_compile_time_verifier_archINS1_11comp_targetILNS1_3genE8ELNS1_11target_archE1030ELNS1_3gpuE2ELNS1_3repE0EEES8_NS1_28merge_sort_block_sort_configILj256ELj4ELNS0_20block_sort_algorithmE0EEENS0_14default_configENS1_37merge_sort_block_sort_config_selectorIaNS0_10empty_typeEEENS1_38merge_sort_block_merge_config_selectorIaSE_EEEEvv.uses_vcc, 0
	.set _ZN7rocprim17ROCPRIM_400000_NS6detail44device_merge_sort_compile_time_verifier_archINS1_11comp_targetILNS1_3genE8ELNS1_11target_archE1030ELNS1_3gpuE2ELNS1_3repE0EEES8_NS1_28merge_sort_block_sort_configILj256ELj4ELNS0_20block_sort_algorithmE0EEENS0_14default_configENS1_37merge_sort_block_sort_config_selectorIaNS0_10empty_typeEEENS1_38merge_sort_block_merge_config_selectorIaSE_EEEEvv.uses_flat_scratch, 0
	.set _ZN7rocprim17ROCPRIM_400000_NS6detail44device_merge_sort_compile_time_verifier_archINS1_11comp_targetILNS1_3genE8ELNS1_11target_archE1030ELNS1_3gpuE2ELNS1_3repE0EEES8_NS1_28merge_sort_block_sort_configILj256ELj4ELNS0_20block_sort_algorithmE0EEENS0_14default_configENS1_37merge_sort_block_sort_config_selectorIaNS0_10empty_typeEEENS1_38merge_sort_block_merge_config_selectorIaSE_EEEEvv.has_dyn_sized_stack, 0
	.set _ZN7rocprim17ROCPRIM_400000_NS6detail44device_merge_sort_compile_time_verifier_archINS1_11comp_targetILNS1_3genE8ELNS1_11target_archE1030ELNS1_3gpuE2ELNS1_3repE0EEES8_NS1_28merge_sort_block_sort_configILj256ELj4ELNS0_20block_sort_algorithmE0EEENS0_14default_configENS1_37merge_sort_block_sort_config_selectorIaNS0_10empty_typeEEENS1_38merge_sort_block_merge_config_selectorIaSE_EEEEvv.has_recursion, 0
	.set _ZN7rocprim17ROCPRIM_400000_NS6detail44device_merge_sort_compile_time_verifier_archINS1_11comp_targetILNS1_3genE8ELNS1_11target_archE1030ELNS1_3gpuE2ELNS1_3repE0EEES8_NS1_28merge_sort_block_sort_configILj256ELj4ELNS0_20block_sort_algorithmE0EEENS0_14default_configENS1_37merge_sort_block_sort_config_selectorIaNS0_10empty_typeEEENS1_38merge_sort_block_merge_config_selectorIaSE_EEEEvv.has_indirect_call, 0
	.section	.AMDGPU.csdata,"",@progbits
; Kernel info:
; codeLenInByte = 4
; TotalNumSgprs: 0
; NumVgprs: 0
; ScratchSize: 0
; MemoryBound: 0
; FloatMode: 240
; IeeeMode: 1
; LDSByteSize: 0 bytes/workgroup (compile time only)
; SGPRBlocks: 0
; VGPRBlocks: 0
; NumSGPRsForWavesPerEU: 1
; NumVGPRsForWavesPerEU: 1
; NamedBarCnt: 0
; Occupancy: 16
; WaveLimiterHint : 0
; COMPUTE_PGM_RSRC2:SCRATCH_EN: 0
; COMPUTE_PGM_RSRC2:USER_SGPR: 0
; COMPUTE_PGM_RSRC2:TRAP_HANDLER: 0
; COMPUTE_PGM_RSRC2:TGID_X_EN: 1
; COMPUTE_PGM_RSRC2:TGID_Y_EN: 0
; COMPUTE_PGM_RSRC2:TGID_Z_EN: 0
; COMPUTE_PGM_RSRC2:TIDIG_COMP_CNT: 0
	.section	.text._ZN7rocprim17ROCPRIM_400000_NS6detail17trampoline_kernelINS0_14default_configENS1_38merge_sort_block_merge_config_selectorIaNS0_10empty_typeEEEZZNS1_27merge_sort_block_merge_implIS3_PaPS5_jNS1_19radix_merge_compareILb1ELb0EaNS0_19identity_decomposerEEEEE10hipError_tT0_T1_T2_jT3_P12ihipStream_tbPNSt15iterator_traitsISE_E10value_typeEPNSK_ISF_E10value_typeEPSG_NS1_7vsmem_tEENKUlT_SE_SF_SG_E_clIS8_S8_S9_S9_EESD_ST_SE_SF_SG_EUlST_E_NS1_11comp_targetILNS1_3genE0ELNS1_11target_archE4294967295ELNS1_3gpuE0ELNS1_3repE0EEENS1_48merge_mergepath_partition_config_static_selectorELNS0_4arch9wavefront6targetE0EEEvSF_,"axG",@progbits,_ZN7rocprim17ROCPRIM_400000_NS6detail17trampoline_kernelINS0_14default_configENS1_38merge_sort_block_merge_config_selectorIaNS0_10empty_typeEEEZZNS1_27merge_sort_block_merge_implIS3_PaPS5_jNS1_19radix_merge_compareILb1ELb0EaNS0_19identity_decomposerEEEEE10hipError_tT0_T1_T2_jT3_P12ihipStream_tbPNSt15iterator_traitsISE_E10value_typeEPNSK_ISF_E10value_typeEPSG_NS1_7vsmem_tEENKUlT_SE_SF_SG_E_clIS8_S8_S9_S9_EESD_ST_SE_SF_SG_EUlST_E_NS1_11comp_targetILNS1_3genE0ELNS1_11target_archE4294967295ELNS1_3gpuE0ELNS1_3repE0EEENS1_48merge_mergepath_partition_config_static_selectorELNS0_4arch9wavefront6targetE0EEEvSF_,comdat
	.protected	_ZN7rocprim17ROCPRIM_400000_NS6detail17trampoline_kernelINS0_14default_configENS1_38merge_sort_block_merge_config_selectorIaNS0_10empty_typeEEEZZNS1_27merge_sort_block_merge_implIS3_PaPS5_jNS1_19radix_merge_compareILb1ELb0EaNS0_19identity_decomposerEEEEE10hipError_tT0_T1_T2_jT3_P12ihipStream_tbPNSt15iterator_traitsISE_E10value_typeEPNSK_ISF_E10value_typeEPSG_NS1_7vsmem_tEENKUlT_SE_SF_SG_E_clIS8_S8_S9_S9_EESD_ST_SE_SF_SG_EUlST_E_NS1_11comp_targetILNS1_3genE0ELNS1_11target_archE4294967295ELNS1_3gpuE0ELNS1_3repE0EEENS1_48merge_mergepath_partition_config_static_selectorELNS0_4arch9wavefront6targetE0EEEvSF_ ; -- Begin function _ZN7rocprim17ROCPRIM_400000_NS6detail17trampoline_kernelINS0_14default_configENS1_38merge_sort_block_merge_config_selectorIaNS0_10empty_typeEEEZZNS1_27merge_sort_block_merge_implIS3_PaPS5_jNS1_19radix_merge_compareILb1ELb0EaNS0_19identity_decomposerEEEEE10hipError_tT0_T1_T2_jT3_P12ihipStream_tbPNSt15iterator_traitsISE_E10value_typeEPNSK_ISF_E10value_typeEPSG_NS1_7vsmem_tEENKUlT_SE_SF_SG_E_clIS8_S8_S9_S9_EESD_ST_SE_SF_SG_EUlST_E_NS1_11comp_targetILNS1_3genE0ELNS1_11target_archE4294967295ELNS1_3gpuE0ELNS1_3repE0EEENS1_48merge_mergepath_partition_config_static_selectorELNS0_4arch9wavefront6targetE0EEEvSF_
	.globl	_ZN7rocprim17ROCPRIM_400000_NS6detail17trampoline_kernelINS0_14default_configENS1_38merge_sort_block_merge_config_selectorIaNS0_10empty_typeEEEZZNS1_27merge_sort_block_merge_implIS3_PaPS5_jNS1_19radix_merge_compareILb1ELb0EaNS0_19identity_decomposerEEEEE10hipError_tT0_T1_T2_jT3_P12ihipStream_tbPNSt15iterator_traitsISE_E10value_typeEPNSK_ISF_E10value_typeEPSG_NS1_7vsmem_tEENKUlT_SE_SF_SG_E_clIS8_S8_S9_S9_EESD_ST_SE_SF_SG_EUlST_E_NS1_11comp_targetILNS1_3genE0ELNS1_11target_archE4294967295ELNS1_3gpuE0ELNS1_3repE0EEENS1_48merge_mergepath_partition_config_static_selectorELNS0_4arch9wavefront6targetE0EEEvSF_
	.p2align	8
	.type	_ZN7rocprim17ROCPRIM_400000_NS6detail17trampoline_kernelINS0_14default_configENS1_38merge_sort_block_merge_config_selectorIaNS0_10empty_typeEEEZZNS1_27merge_sort_block_merge_implIS3_PaPS5_jNS1_19radix_merge_compareILb1ELb0EaNS0_19identity_decomposerEEEEE10hipError_tT0_T1_T2_jT3_P12ihipStream_tbPNSt15iterator_traitsISE_E10value_typeEPNSK_ISF_E10value_typeEPSG_NS1_7vsmem_tEENKUlT_SE_SF_SG_E_clIS8_S8_S9_S9_EESD_ST_SE_SF_SG_EUlST_E_NS1_11comp_targetILNS1_3genE0ELNS1_11target_archE4294967295ELNS1_3gpuE0ELNS1_3repE0EEENS1_48merge_mergepath_partition_config_static_selectorELNS0_4arch9wavefront6targetE0EEEvSF_,@function
_ZN7rocprim17ROCPRIM_400000_NS6detail17trampoline_kernelINS0_14default_configENS1_38merge_sort_block_merge_config_selectorIaNS0_10empty_typeEEEZZNS1_27merge_sort_block_merge_implIS3_PaPS5_jNS1_19radix_merge_compareILb1ELb0EaNS0_19identity_decomposerEEEEE10hipError_tT0_T1_T2_jT3_P12ihipStream_tbPNSt15iterator_traitsISE_E10value_typeEPNSK_ISF_E10value_typeEPSG_NS1_7vsmem_tEENKUlT_SE_SF_SG_E_clIS8_S8_S9_S9_EESD_ST_SE_SF_SG_EUlST_E_NS1_11comp_targetILNS1_3genE0ELNS1_11target_archE4294967295ELNS1_3gpuE0ELNS1_3repE0EEENS1_48merge_mergepath_partition_config_static_selectorELNS0_4arch9wavefront6targetE0EEEvSF_: ; @_ZN7rocprim17ROCPRIM_400000_NS6detail17trampoline_kernelINS0_14default_configENS1_38merge_sort_block_merge_config_selectorIaNS0_10empty_typeEEEZZNS1_27merge_sort_block_merge_implIS3_PaPS5_jNS1_19radix_merge_compareILb1ELb0EaNS0_19identity_decomposerEEEEE10hipError_tT0_T1_T2_jT3_P12ihipStream_tbPNSt15iterator_traitsISE_E10value_typeEPNSK_ISF_E10value_typeEPSG_NS1_7vsmem_tEENKUlT_SE_SF_SG_E_clIS8_S8_S9_S9_EESD_ST_SE_SF_SG_EUlST_E_NS1_11comp_targetILNS1_3genE0ELNS1_11target_archE4294967295ELNS1_3gpuE0ELNS1_3repE0EEENS1_48merge_mergepath_partition_config_static_selectorELNS0_4arch9wavefront6targetE0EEEvSF_
; %bb.0:
	s_load_b32 s2, s[0:1], 0x0
	s_bfe_u32 s3, ttmp6, 0x4000c
	s_and_b32 s4, ttmp6, 15
	s_add_co_i32 s3, s3, 1
	s_getreg_b32 s5, hwreg(HW_REG_IB_STS2, 6, 4)
	s_mul_i32 s3, ttmp9, s3
	s_delay_alu instid0(SALU_CYCLE_1) | instskip(SKIP_2) | instid1(SALU_CYCLE_1)
	s_add_co_i32 s4, s4, s3
	s_cmp_eq_u32 s5, 0
	s_cselect_b32 s3, ttmp9, s4
	v_lshl_or_b32 v8, s3, 7, v0
	s_wait_kmcnt 0x0
	s_delay_alu instid0(VALU_DEP_1)
	v_cmp_gt_u32_e32 vcc_lo, s2, v8
	s_and_saveexec_b32 s2, vcc_lo
	s_cbranch_execz .LBB273_6
; %bb.1:
	s_load_b64 s[2:3], s[0:1], 0x4
	s_wait_kmcnt 0x0
	s_lshr_b32 s4, s2, 9
	s_delay_alu instid0(SALU_CYCLE_1) | instskip(NEXT) | instid1(SALU_CYCLE_1)
	s_and_b32 s4, s4, 0x7ffffe
	s_sub_co_i32 s5, 0, s4
	s_add_co_i32 s4, s4, -1
	s_delay_alu instid0(SALU_CYCLE_1) | instskip(SKIP_2) | instid1(VALU_DEP_1)
	v_and_b32_e32 v1, s4, v8
	v_and_b32_e32 v0, s5, v8
	s_mov_b32 s4, exec_lo
	v_dual_lshlrev_b32 v1, 10, v1 :: v_dual_lshlrev_b32 v0, 10, v0
	s_delay_alu instid0(VALU_DEP_1) | instskip(SKIP_1) | instid1(VALU_DEP_2)
	v_add_min_u32_e64 v2, v0, s2, s3
	v_min_u32_e32 v0, s3, v0
	v_add_min_u32_e64 v3, v2, s2, s3
	s_load_b64 s[2:3], s[0:1], 0x20
	s_delay_alu instid0(VALU_DEP_1) | instskip(NEXT) | instid1(VALU_DEP_1)
	v_dual_sub_nc_u32 v4, v3, v0 :: v_dual_sub_nc_u32 v3, v3, v2
	v_min_u32_e32 v10, v4, v1
	v_sub_nc_u32_e32 v1, v2, v0
	s_delay_alu instid0(VALU_DEP_2) | instskip(NEXT) | instid1(VALU_DEP_2)
	v_sub_nc_u32_e64 v9, v10, v3 clamp
	v_min_u32_e32 v11, v10, v1
	s_delay_alu instid0(VALU_DEP_1)
	v_cmpx_lt_u32_e64 v9, v11
	s_cbranch_execz .LBB273_5
; %bb.2:
	s_wait_xcnt 0x0
	s_load_b64 s[0:1], s[0:1], 0x10
	v_mov_b32_e32 v3, 0
	s_delay_alu instid0(VALU_DEP_1) | instskip(SKIP_1) | instid1(VALU_DEP_1)
	v_mov_b32_e32 v1, v3
	s_wait_kmcnt 0x0
	v_add_nc_u64_e32 v[4:5], s[0:1], v[0:1]
	v_add_nc_u64_e32 v[6:7], s[0:1], v[2:3]
	s_mov_b32 s0, 0
.LBB273_3:                              ; =>This Inner Loop Header: Depth=1
	v_add_nc_u32_e32 v1, v11, v9
	s_delay_alu instid0(VALU_DEP_1) | instskip(NEXT) | instid1(VALU_DEP_1)
	v_dual_mov_b32 v13, v3 :: v_dual_lshrrev_b32 v2, 1, v1
	v_xad_u32 v12, v2, -1, v10
	v_add_nc_u64_e32 v[14:15], v[4:5], v[2:3]
	s_delay_alu instid0(VALU_DEP_2)
	v_add_nc_u64_e32 v[12:13], v[6:7], v[12:13]
	s_clause 0x1
	global_load_i8 v1, v[14:15], off
	global_load_i8 v16, v[12:13], off
	s_wait_xcnt 0x0
	v_add_nc_u32_e32 v12, 1, v2
	s_wait_loadcnt 0x0
	v_cmp_gt_i16_e32 vcc_lo, v16, v1
	s_delay_alu instid0(VALU_DEP_2) | instskip(NEXT) | instid1(VALU_DEP_1)
	v_dual_cndmask_b32 v11, v11, v2, vcc_lo :: v_dual_cndmask_b32 v9, v12, v9, vcc_lo
	v_cmp_ge_u32_e32 vcc_lo, v9, v11
	s_or_b32 s0, vcc_lo, s0
	s_delay_alu instid0(SALU_CYCLE_1)
	s_and_not1_b32 exec_lo, exec_lo, s0
	s_cbranch_execnz .LBB273_3
; %bb.4:
	s_or_b32 exec_lo, exec_lo, s0
.LBB273_5:
	s_delay_alu instid0(SALU_CYCLE_1)
	s_or_b32 exec_lo, exec_lo, s4
	v_add_nc_u32_e32 v0, v9, v0
	s_wait_kmcnt 0x0
	global_store_b32 v8, v0, s[2:3] scale_offset
.LBB273_6:
	s_endpgm
	.section	.rodata,"a",@progbits
	.p2align	6, 0x0
	.amdhsa_kernel _ZN7rocprim17ROCPRIM_400000_NS6detail17trampoline_kernelINS0_14default_configENS1_38merge_sort_block_merge_config_selectorIaNS0_10empty_typeEEEZZNS1_27merge_sort_block_merge_implIS3_PaPS5_jNS1_19radix_merge_compareILb1ELb0EaNS0_19identity_decomposerEEEEE10hipError_tT0_T1_T2_jT3_P12ihipStream_tbPNSt15iterator_traitsISE_E10value_typeEPNSK_ISF_E10value_typeEPSG_NS1_7vsmem_tEENKUlT_SE_SF_SG_E_clIS8_S8_S9_S9_EESD_ST_SE_SF_SG_EUlST_E_NS1_11comp_targetILNS1_3genE0ELNS1_11target_archE4294967295ELNS1_3gpuE0ELNS1_3repE0EEENS1_48merge_mergepath_partition_config_static_selectorELNS0_4arch9wavefront6targetE0EEEvSF_
		.amdhsa_group_segment_fixed_size 0
		.amdhsa_private_segment_fixed_size 0
		.amdhsa_kernarg_size 40
		.amdhsa_user_sgpr_count 2
		.amdhsa_user_sgpr_dispatch_ptr 0
		.amdhsa_user_sgpr_queue_ptr 0
		.amdhsa_user_sgpr_kernarg_segment_ptr 1
		.amdhsa_user_sgpr_dispatch_id 0
		.amdhsa_user_sgpr_kernarg_preload_length 0
		.amdhsa_user_sgpr_kernarg_preload_offset 0
		.amdhsa_user_sgpr_private_segment_size 0
		.amdhsa_wavefront_size32 1
		.amdhsa_uses_dynamic_stack 0
		.amdhsa_enable_private_segment 0
		.amdhsa_system_sgpr_workgroup_id_x 1
		.amdhsa_system_sgpr_workgroup_id_y 0
		.amdhsa_system_sgpr_workgroup_id_z 0
		.amdhsa_system_sgpr_workgroup_info 0
		.amdhsa_system_vgpr_workitem_id 0
		.amdhsa_next_free_vgpr 17
		.amdhsa_next_free_sgpr 6
		.amdhsa_named_barrier_count 0
		.amdhsa_reserve_vcc 1
		.amdhsa_float_round_mode_32 0
		.amdhsa_float_round_mode_16_64 0
		.amdhsa_float_denorm_mode_32 3
		.amdhsa_float_denorm_mode_16_64 3
		.amdhsa_fp16_overflow 0
		.amdhsa_memory_ordered 1
		.amdhsa_forward_progress 1
		.amdhsa_inst_pref_size 4
		.amdhsa_round_robin_scheduling 0
		.amdhsa_exception_fp_ieee_invalid_op 0
		.amdhsa_exception_fp_denorm_src 0
		.amdhsa_exception_fp_ieee_div_zero 0
		.amdhsa_exception_fp_ieee_overflow 0
		.amdhsa_exception_fp_ieee_underflow 0
		.amdhsa_exception_fp_ieee_inexact 0
		.amdhsa_exception_int_div_zero 0
	.end_amdhsa_kernel
	.section	.text._ZN7rocprim17ROCPRIM_400000_NS6detail17trampoline_kernelINS0_14default_configENS1_38merge_sort_block_merge_config_selectorIaNS0_10empty_typeEEEZZNS1_27merge_sort_block_merge_implIS3_PaPS5_jNS1_19radix_merge_compareILb1ELb0EaNS0_19identity_decomposerEEEEE10hipError_tT0_T1_T2_jT3_P12ihipStream_tbPNSt15iterator_traitsISE_E10value_typeEPNSK_ISF_E10value_typeEPSG_NS1_7vsmem_tEENKUlT_SE_SF_SG_E_clIS8_S8_S9_S9_EESD_ST_SE_SF_SG_EUlST_E_NS1_11comp_targetILNS1_3genE0ELNS1_11target_archE4294967295ELNS1_3gpuE0ELNS1_3repE0EEENS1_48merge_mergepath_partition_config_static_selectorELNS0_4arch9wavefront6targetE0EEEvSF_,"axG",@progbits,_ZN7rocprim17ROCPRIM_400000_NS6detail17trampoline_kernelINS0_14default_configENS1_38merge_sort_block_merge_config_selectorIaNS0_10empty_typeEEEZZNS1_27merge_sort_block_merge_implIS3_PaPS5_jNS1_19radix_merge_compareILb1ELb0EaNS0_19identity_decomposerEEEEE10hipError_tT0_T1_T2_jT3_P12ihipStream_tbPNSt15iterator_traitsISE_E10value_typeEPNSK_ISF_E10value_typeEPSG_NS1_7vsmem_tEENKUlT_SE_SF_SG_E_clIS8_S8_S9_S9_EESD_ST_SE_SF_SG_EUlST_E_NS1_11comp_targetILNS1_3genE0ELNS1_11target_archE4294967295ELNS1_3gpuE0ELNS1_3repE0EEENS1_48merge_mergepath_partition_config_static_selectorELNS0_4arch9wavefront6targetE0EEEvSF_,comdat
.Lfunc_end273:
	.size	_ZN7rocprim17ROCPRIM_400000_NS6detail17trampoline_kernelINS0_14default_configENS1_38merge_sort_block_merge_config_selectorIaNS0_10empty_typeEEEZZNS1_27merge_sort_block_merge_implIS3_PaPS5_jNS1_19radix_merge_compareILb1ELb0EaNS0_19identity_decomposerEEEEE10hipError_tT0_T1_T2_jT3_P12ihipStream_tbPNSt15iterator_traitsISE_E10value_typeEPNSK_ISF_E10value_typeEPSG_NS1_7vsmem_tEENKUlT_SE_SF_SG_E_clIS8_S8_S9_S9_EESD_ST_SE_SF_SG_EUlST_E_NS1_11comp_targetILNS1_3genE0ELNS1_11target_archE4294967295ELNS1_3gpuE0ELNS1_3repE0EEENS1_48merge_mergepath_partition_config_static_selectorELNS0_4arch9wavefront6targetE0EEEvSF_, .Lfunc_end273-_ZN7rocprim17ROCPRIM_400000_NS6detail17trampoline_kernelINS0_14default_configENS1_38merge_sort_block_merge_config_selectorIaNS0_10empty_typeEEEZZNS1_27merge_sort_block_merge_implIS3_PaPS5_jNS1_19radix_merge_compareILb1ELb0EaNS0_19identity_decomposerEEEEE10hipError_tT0_T1_T2_jT3_P12ihipStream_tbPNSt15iterator_traitsISE_E10value_typeEPNSK_ISF_E10value_typeEPSG_NS1_7vsmem_tEENKUlT_SE_SF_SG_E_clIS8_S8_S9_S9_EESD_ST_SE_SF_SG_EUlST_E_NS1_11comp_targetILNS1_3genE0ELNS1_11target_archE4294967295ELNS1_3gpuE0ELNS1_3repE0EEENS1_48merge_mergepath_partition_config_static_selectorELNS0_4arch9wavefront6targetE0EEEvSF_
                                        ; -- End function
	.set _ZN7rocprim17ROCPRIM_400000_NS6detail17trampoline_kernelINS0_14default_configENS1_38merge_sort_block_merge_config_selectorIaNS0_10empty_typeEEEZZNS1_27merge_sort_block_merge_implIS3_PaPS5_jNS1_19radix_merge_compareILb1ELb0EaNS0_19identity_decomposerEEEEE10hipError_tT0_T1_T2_jT3_P12ihipStream_tbPNSt15iterator_traitsISE_E10value_typeEPNSK_ISF_E10value_typeEPSG_NS1_7vsmem_tEENKUlT_SE_SF_SG_E_clIS8_S8_S9_S9_EESD_ST_SE_SF_SG_EUlST_E_NS1_11comp_targetILNS1_3genE0ELNS1_11target_archE4294967295ELNS1_3gpuE0ELNS1_3repE0EEENS1_48merge_mergepath_partition_config_static_selectorELNS0_4arch9wavefront6targetE0EEEvSF_.num_vgpr, 17
	.set _ZN7rocprim17ROCPRIM_400000_NS6detail17trampoline_kernelINS0_14default_configENS1_38merge_sort_block_merge_config_selectorIaNS0_10empty_typeEEEZZNS1_27merge_sort_block_merge_implIS3_PaPS5_jNS1_19radix_merge_compareILb1ELb0EaNS0_19identity_decomposerEEEEE10hipError_tT0_T1_T2_jT3_P12ihipStream_tbPNSt15iterator_traitsISE_E10value_typeEPNSK_ISF_E10value_typeEPSG_NS1_7vsmem_tEENKUlT_SE_SF_SG_E_clIS8_S8_S9_S9_EESD_ST_SE_SF_SG_EUlST_E_NS1_11comp_targetILNS1_3genE0ELNS1_11target_archE4294967295ELNS1_3gpuE0ELNS1_3repE0EEENS1_48merge_mergepath_partition_config_static_selectorELNS0_4arch9wavefront6targetE0EEEvSF_.num_agpr, 0
	.set _ZN7rocprim17ROCPRIM_400000_NS6detail17trampoline_kernelINS0_14default_configENS1_38merge_sort_block_merge_config_selectorIaNS0_10empty_typeEEEZZNS1_27merge_sort_block_merge_implIS3_PaPS5_jNS1_19radix_merge_compareILb1ELb0EaNS0_19identity_decomposerEEEEE10hipError_tT0_T1_T2_jT3_P12ihipStream_tbPNSt15iterator_traitsISE_E10value_typeEPNSK_ISF_E10value_typeEPSG_NS1_7vsmem_tEENKUlT_SE_SF_SG_E_clIS8_S8_S9_S9_EESD_ST_SE_SF_SG_EUlST_E_NS1_11comp_targetILNS1_3genE0ELNS1_11target_archE4294967295ELNS1_3gpuE0ELNS1_3repE0EEENS1_48merge_mergepath_partition_config_static_selectorELNS0_4arch9wavefront6targetE0EEEvSF_.numbered_sgpr, 6
	.set _ZN7rocprim17ROCPRIM_400000_NS6detail17trampoline_kernelINS0_14default_configENS1_38merge_sort_block_merge_config_selectorIaNS0_10empty_typeEEEZZNS1_27merge_sort_block_merge_implIS3_PaPS5_jNS1_19radix_merge_compareILb1ELb0EaNS0_19identity_decomposerEEEEE10hipError_tT0_T1_T2_jT3_P12ihipStream_tbPNSt15iterator_traitsISE_E10value_typeEPNSK_ISF_E10value_typeEPSG_NS1_7vsmem_tEENKUlT_SE_SF_SG_E_clIS8_S8_S9_S9_EESD_ST_SE_SF_SG_EUlST_E_NS1_11comp_targetILNS1_3genE0ELNS1_11target_archE4294967295ELNS1_3gpuE0ELNS1_3repE0EEENS1_48merge_mergepath_partition_config_static_selectorELNS0_4arch9wavefront6targetE0EEEvSF_.num_named_barrier, 0
	.set _ZN7rocprim17ROCPRIM_400000_NS6detail17trampoline_kernelINS0_14default_configENS1_38merge_sort_block_merge_config_selectorIaNS0_10empty_typeEEEZZNS1_27merge_sort_block_merge_implIS3_PaPS5_jNS1_19radix_merge_compareILb1ELb0EaNS0_19identity_decomposerEEEEE10hipError_tT0_T1_T2_jT3_P12ihipStream_tbPNSt15iterator_traitsISE_E10value_typeEPNSK_ISF_E10value_typeEPSG_NS1_7vsmem_tEENKUlT_SE_SF_SG_E_clIS8_S8_S9_S9_EESD_ST_SE_SF_SG_EUlST_E_NS1_11comp_targetILNS1_3genE0ELNS1_11target_archE4294967295ELNS1_3gpuE0ELNS1_3repE0EEENS1_48merge_mergepath_partition_config_static_selectorELNS0_4arch9wavefront6targetE0EEEvSF_.private_seg_size, 0
	.set _ZN7rocprim17ROCPRIM_400000_NS6detail17trampoline_kernelINS0_14default_configENS1_38merge_sort_block_merge_config_selectorIaNS0_10empty_typeEEEZZNS1_27merge_sort_block_merge_implIS3_PaPS5_jNS1_19radix_merge_compareILb1ELb0EaNS0_19identity_decomposerEEEEE10hipError_tT0_T1_T2_jT3_P12ihipStream_tbPNSt15iterator_traitsISE_E10value_typeEPNSK_ISF_E10value_typeEPSG_NS1_7vsmem_tEENKUlT_SE_SF_SG_E_clIS8_S8_S9_S9_EESD_ST_SE_SF_SG_EUlST_E_NS1_11comp_targetILNS1_3genE0ELNS1_11target_archE4294967295ELNS1_3gpuE0ELNS1_3repE0EEENS1_48merge_mergepath_partition_config_static_selectorELNS0_4arch9wavefront6targetE0EEEvSF_.uses_vcc, 1
	.set _ZN7rocprim17ROCPRIM_400000_NS6detail17trampoline_kernelINS0_14default_configENS1_38merge_sort_block_merge_config_selectorIaNS0_10empty_typeEEEZZNS1_27merge_sort_block_merge_implIS3_PaPS5_jNS1_19radix_merge_compareILb1ELb0EaNS0_19identity_decomposerEEEEE10hipError_tT0_T1_T2_jT3_P12ihipStream_tbPNSt15iterator_traitsISE_E10value_typeEPNSK_ISF_E10value_typeEPSG_NS1_7vsmem_tEENKUlT_SE_SF_SG_E_clIS8_S8_S9_S9_EESD_ST_SE_SF_SG_EUlST_E_NS1_11comp_targetILNS1_3genE0ELNS1_11target_archE4294967295ELNS1_3gpuE0ELNS1_3repE0EEENS1_48merge_mergepath_partition_config_static_selectorELNS0_4arch9wavefront6targetE0EEEvSF_.uses_flat_scratch, 0
	.set _ZN7rocprim17ROCPRIM_400000_NS6detail17trampoline_kernelINS0_14default_configENS1_38merge_sort_block_merge_config_selectorIaNS0_10empty_typeEEEZZNS1_27merge_sort_block_merge_implIS3_PaPS5_jNS1_19radix_merge_compareILb1ELb0EaNS0_19identity_decomposerEEEEE10hipError_tT0_T1_T2_jT3_P12ihipStream_tbPNSt15iterator_traitsISE_E10value_typeEPNSK_ISF_E10value_typeEPSG_NS1_7vsmem_tEENKUlT_SE_SF_SG_E_clIS8_S8_S9_S9_EESD_ST_SE_SF_SG_EUlST_E_NS1_11comp_targetILNS1_3genE0ELNS1_11target_archE4294967295ELNS1_3gpuE0ELNS1_3repE0EEENS1_48merge_mergepath_partition_config_static_selectorELNS0_4arch9wavefront6targetE0EEEvSF_.has_dyn_sized_stack, 0
	.set _ZN7rocprim17ROCPRIM_400000_NS6detail17trampoline_kernelINS0_14default_configENS1_38merge_sort_block_merge_config_selectorIaNS0_10empty_typeEEEZZNS1_27merge_sort_block_merge_implIS3_PaPS5_jNS1_19radix_merge_compareILb1ELb0EaNS0_19identity_decomposerEEEEE10hipError_tT0_T1_T2_jT3_P12ihipStream_tbPNSt15iterator_traitsISE_E10value_typeEPNSK_ISF_E10value_typeEPSG_NS1_7vsmem_tEENKUlT_SE_SF_SG_E_clIS8_S8_S9_S9_EESD_ST_SE_SF_SG_EUlST_E_NS1_11comp_targetILNS1_3genE0ELNS1_11target_archE4294967295ELNS1_3gpuE0ELNS1_3repE0EEENS1_48merge_mergepath_partition_config_static_selectorELNS0_4arch9wavefront6targetE0EEEvSF_.has_recursion, 0
	.set _ZN7rocprim17ROCPRIM_400000_NS6detail17trampoline_kernelINS0_14default_configENS1_38merge_sort_block_merge_config_selectorIaNS0_10empty_typeEEEZZNS1_27merge_sort_block_merge_implIS3_PaPS5_jNS1_19radix_merge_compareILb1ELb0EaNS0_19identity_decomposerEEEEE10hipError_tT0_T1_T2_jT3_P12ihipStream_tbPNSt15iterator_traitsISE_E10value_typeEPNSK_ISF_E10value_typeEPSG_NS1_7vsmem_tEENKUlT_SE_SF_SG_E_clIS8_S8_S9_S9_EESD_ST_SE_SF_SG_EUlST_E_NS1_11comp_targetILNS1_3genE0ELNS1_11target_archE4294967295ELNS1_3gpuE0ELNS1_3repE0EEENS1_48merge_mergepath_partition_config_static_selectorELNS0_4arch9wavefront6targetE0EEEvSF_.has_indirect_call, 0
	.section	.AMDGPU.csdata,"",@progbits
; Kernel info:
; codeLenInByte = 420
; TotalNumSgprs: 8
; NumVgprs: 17
; ScratchSize: 0
; MemoryBound: 0
; FloatMode: 240
; IeeeMode: 1
; LDSByteSize: 0 bytes/workgroup (compile time only)
; SGPRBlocks: 0
; VGPRBlocks: 1
; NumSGPRsForWavesPerEU: 8
; NumVGPRsForWavesPerEU: 17
; NamedBarCnt: 0
; Occupancy: 16
; WaveLimiterHint : 0
; COMPUTE_PGM_RSRC2:SCRATCH_EN: 0
; COMPUTE_PGM_RSRC2:USER_SGPR: 2
; COMPUTE_PGM_RSRC2:TRAP_HANDLER: 0
; COMPUTE_PGM_RSRC2:TGID_X_EN: 1
; COMPUTE_PGM_RSRC2:TGID_Y_EN: 0
; COMPUTE_PGM_RSRC2:TGID_Z_EN: 0
; COMPUTE_PGM_RSRC2:TIDIG_COMP_CNT: 0
	.section	.text._ZN7rocprim17ROCPRIM_400000_NS6detail17trampoline_kernelINS0_14default_configENS1_38merge_sort_block_merge_config_selectorIaNS0_10empty_typeEEEZZNS1_27merge_sort_block_merge_implIS3_PaPS5_jNS1_19radix_merge_compareILb1ELb0EaNS0_19identity_decomposerEEEEE10hipError_tT0_T1_T2_jT3_P12ihipStream_tbPNSt15iterator_traitsISE_E10value_typeEPNSK_ISF_E10value_typeEPSG_NS1_7vsmem_tEENKUlT_SE_SF_SG_E_clIS8_S8_S9_S9_EESD_ST_SE_SF_SG_EUlST_E_NS1_11comp_targetILNS1_3genE10ELNS1_11target_archE1201ELNS1_3gpuE5ELNS1_3repE0EEENS1_48merge_mergepath_partition_config_static_selectorELNS0_4arch9wavefront6targetE0EEEvSF_,"axG",@progbits,_ZN7rocprim17ROCPRIM_400000_NS6detail17trampoline_kernelINS0_14default_configENS1_38merge_sort_block_merge_config_selectorIaNS0_10empty_typeEEEZZNS1_27merge_sort_block_merge_implIS3_PaPS5_jNS1_19radix_merge_compareILb1ELb0EaNS0_19identity_decomposerEEEEE10hipError_tT0_T1_T2_jT3_P12ihipStream_tbPNSt15iterator_traitsISE_E10value_typeEPNSK_ISF_E10value_typeEPSG_NS1_7vsmem_tEENKUlT_SE_SF_SG_E_clIS8_S8_S9_S9_EESD_ST_SE_SF_SG_EUlST_E_NS1_11comp_targetILNS1_3genE10ELNS1_11target_archE1201ELNS1_3gpuE5ELNS1_3repE0EEENS1_48merge_mergepath_partition_config_static_selectorELNS0_4arch9wavefront6targetE0EEEvSF_,comdat
	.protected	_ZN7rocprim17ROCPRIM_400000_NS6detail17trampoline_kernelINS0_14default_configENS1_38merge_sort_block_merge_config_selectorIaNS0_10empty_typeEEEZZNS1_27merge_sort_block_merge_implIS3_PaPS5_jNS1_19radix_merge_compareILb1ELb0EaNS0_19identity_decomposerEEEEE10hipError_tT0_T1_T2_jT3_P12ihipStream_tbPNSt15iterator_traitsISE_E10value_typeEPNSK_ISF_E10value_typeEPSG_NS1_7vsmem_tEENKUlT_SE_SF_SG_E_clIS8_S8_S9_S9_EESD_ST_SE_SF_SG_EUlST_E_NS1_11comp_targetILNS1_3genE10ELNS1_11target_archE1201ELNS1_3gpuE5ELNS1_3repE0EEENS1_48merge_mergepath_partition_config_static_selectorELNS0_4arch9wavefront6targetE0EEEvSF_ ; -- Begin function _ZN7rocprim17ROCPRIM_400000_NS6detail17trampoline_kernelINS0_14default_configENS1_38merge_sort_block_merge_config_selectorIaNS0_10empty_typeEEEZZNS1_27merge_sort_block_merge_implIS3_PaPS5_jNS1_19radix_merge_compareILb1ELb0EaNS0_19identity_decomposerEEEEE10hipError_tT0_T1_T2_jT3_P12ihipStream_tbPNSt15iterator_traitsISE_E10value_typeEPNSK_ISF_E10value_typeEPSG_NS1_7vsmem_tEENKUlT_SE_SF_SG_E_clIS8_S8_S9_S9_EESD_ST_SE_SF_SG_EUlST_E_NS1_11comp_targetILNS1_3genE10ELNS1_11target_archE1201ELNS1_3gpuE5ELNS1_3repE0EEENS1_48merge_mergepath_partition_config_static_selectorELNS0_4arch9wavefront6targetE0EEEvSF_
	.globl	_ZN7rocprim17ROCPRIM_400000_NS6detail17trampoline_kernelINS0_14default_configENS1_38merge_sort_block_merge_config_selectorIaNS0_10empty_typeEEEZZNS1_27merge_sort_block_merge_implIS3_PaPS5_jNS1_19radix_merge_compareILb1ELb0EaNS0_19identity_decomposerEEEEE10hipError_tT0_T1_T2_jT3_P12ihipStream_tbPNSt15iterator_traitsISE_E10value_typeEPNSK_ISF_E10value_typeEPSG_NS1_7vsmem_tEENKUlT_SE_SF_SG_E_clIS8_S8_S9_S9_EESD_ST_SE_SF_SG_EUlST_E_NS1_11comp_targetILNS1_3genE10ELNS1_11target_archE1201ELNS1_3gpuE5ELNS1_3repE0EEENS1_48merge_mergepath_partition_config_static_selectorELNS0_4arch9wavefront6targetE0EEEvSF_
	.p2align	8
	.type	_ZN7rocprim17ROCPRIM_400000_NS6detail17trampoline_kernelINS0_14default_configENS1_38merge_sort_block_merge_config_selectorIaNS0_10empty_typeEEEZZNS1_27merge_sort_block_merge_implIS3_PaPS5_jNS1_19radix_merge_compareILb1ELb0EaNS0_19identity_decomposerEEEEE10hipError_tT0_T1_T2_jT3_P12ihipStream_tbPNSt15iterator_traitsISE_E10value_typeEPNSK_ISF_E10value_typeEPSG_NS1_7vsmem_tEENKUlT_SE_SF_SG_E_clIS8_S8_S9_S9_EESD_ST_SE_SF_SG_EUlST_E_NS1_11comp_targetILNS1_3genE10ELNS1_11target_archE1201ELNS1_3gpuE5ELNS1_3repE0EEENS1_48merge_mergepath_partition_config_static_selectorELNS0_4arch9wavefront6targetE0EEEvSF_,@function
_ZN7rocprim17ROCPRIM_400000_NS6detail17trampoline_kernelINS0_14default_configENS1_38merge_sort_block_merge_config_selectorIaNS0_10empty_typeEEEZZNS1_27merge_sort_block_merge_implIS3_PaPS5_jNS1_19radix_merge_compareILb1ELb0EaNS0_19identity_decomposerEEEEE10hipError_tT0_T1_T2_jT3_P12ihipStream_tbPNSt15iterator_traitsISE_E10value_typeEPNSK_ISF_E10value_typeEPSG_NS1_7vsmem_tEENKUlT_SE_SF_SG_E_clIS8_S8_S9_S9_EESD_ST_SE_SF_SG_EUlST_E_NS1_11comp_targetILNS1_3genE10ELNS1_11target_archE1201ELNS1_3gpuE5ELNS1_3repE0EEENS1_48merge_mergepath_partition_config_static_selectorELNS0_4arch9wavefront6targetE0EEEvSF_: ; @_ZN7rocprim17ROCPRIM_400000_NS6detail17trampoline_kernelINS0_14default_configENS1_38merge_sort_block_merge_config_selectorIaNS0_10empty_typeEEEZZNS1_27merge_sort_block_merge_implIS3_PaPS5_jNS1_19radix_merge_compareILb1ELb0EaNS0_19identity_decomposerEEEEE10hipError_tT0_T1_T2_jT3_P12ihipStream_tbPNSt15iterator_traitsISE_E10value_typeEPNSK_ISF_E10value_typeEPSG_NS1_7vsmem_tEENKUlT_SE_SF_SG_E_clIS8_S8_S9_S9_EESD_ST_SE_SF_SG_EUlST_E_NS1_11comp_targetILNS1_3genE10ELNS1_11target_archE1201ELNS1_3gpuE5ELNS1_3repE0EEENS1_48merge_mergepath_partition_config_static_selectorELNS0_4arch9wavefront6targetE0EEEvSF_
; %bb.0:
	.section	.rodata,"a",@progbits
	.p2align	6, 0x0
	.amdhsa_kernel _ZN7rocprim17ROCPRIM_400000_NS6detail17trampoline_kernelINS0_14default_configENS1_38merge_sort_block_merge_config_selectorIaNS0_10empty_typeEEEZZNS1_27merge_sort_block_merge_implIS3_PaPS5_jNS1_19radix_merge_compareILb1ELb0EaNS0_19identity_decomposerEEEEE10hipError_tT0_T1_T2_jT3_P12ihipStream_tbPNSt15iterator_traitsISE_E10value_typeEPNSK_ISF_E10value_typeEPSG_NS1_7vsmem_tEENKUlT_SE_SF_SG_E_clIS8_S8_S9_S9_EESD_ST_SE_SF_SG_EUlST_E_NS1_11comp_targetILNS1_3genE10ELNS1_11target_archE1201ELNS1_3gpuE5ELNS1_3repE0EEENS1_48merge_mergepath_partition_config_static_selectorELNS0_4arch9wavefront6targetE0EEEvSF_
		.amdhsa_group_segment_fixed_size 0
		.amdhsa_private_segment_fixed_size 0
		.amdhsa_kernarg_size 40
		.amdhsa_user_sgpr_count 2
		.amdhsa_user_sgpr_dispatch_ptr 0
		.amdhsa_user_sgpr_queue_ptr 0
		.amdhsa_user_sgpr_kernarg_segment_ptr 1
		.amdhsa_user_sgpr_dispatch_id 0
		.amdhsa_user_sgpr_kernarg_preload_length 0
		.amdhsa_user_sgpr_kernarg_preload_offset 0
		.amdhsa_user_sgpr_private_segment_size 0
		.amdhsa_wavefront_size32 1
		.amdhsa_uses_dynamic_stack 0
		.amdhsa_enable_private_segment 0
		.amdhsa_system_sgpr_workgroup_id_x 1
		.amdhsa_system_sgpr_workgroup_id_y 0
		.amdhsa_system_sgpr_workgroup_id_z 0
		.amdhsa_system_sgpr_workgroup_info 0
		.amdhsa_system_vgpr_workitem_id 0
		.amdhsa_next_free_vgpr 1
		.amdhsa_next_free_sgpr 1
		.amdhsa_named_barrier_count 0
		.amdhsa_reserve_vcc 0
		.amdhsa_float_round_mode_32 0
		.amdhsa_float_round_mode_16_64 0
		.amdhsa_float_denorm_mode_32 3
		.amdhsa_float_denorm_mode_16_64 3
		.amdhsa_fp16_overflow 0
		.amdhsa_memory_ordered 1
		.amdhsa_forward_progress 1
		.amdhsa_inst_pref_size 0
		.amdhsa_round_robin_scheduling 0
		.amdhsa_exception_fp_ieee_invalid_op 0
		.amdhsa_exception_fp_denorm_src 0
		.amdhsa_exception_fp_ieee_div_zero 0
		.amdhsa_exception_fp_ieee_overflow 0
		.amdhsa_exception_fp_ieee_underflow 0
		.amdhsa_exception_fp_ieee_inexact 0
		.amdhsa_exception_int_div_zero 0
	.end_amdhsa_kernel
	.section	.text._ZN7rocprim17ROCPRIM_400000_NS6detail17trampoline_kernelINS0_14default_configENS1_38merge_sort_block_merge_config_selectorIaNS0_10empty_typeEEEZZNS1_27merge_sort_block_merge_implIS3_PaPS5_jNS1_19radix_merge_compareILb1ELb0EaNS0_19identity_decomposerEEEEE10hipError_tT0_T1_T2_jT3_P12ihipStream_tbPNSt15iterator_traitsISE_E10value_typeEPNSK_ISF_E10value_typeEPSG_NS1_7vsmem_tEENKUlT_SE_SF_SG_E_clIS8_S8_S9_S9_EESD_ST_SE_SF_SG_EUlST_E_NS1_11comp_targetILNS1_3genE10ELNS1_11target_archE1201ELNS1_3gpuE5ELNS1_3repE0EEENS1_48merge_mergepath_partition_config_static_selectorELNS0_4arch9wavefront6targetE0EEEvSF_,"axG",@progbits,_ZN7rocprim17ROCPRIM_400000_NS6detail17trampoline_kernelINS0_14default_configENS1_38merge_sort_block_merge_config_selectorIaNS0_10empty_typeEEEZZNS1_27merge_sort_block_merge_implIS3_PaPS5_jNS1_19radix_merge_compareILb1ELb0EaNS0_19identity_decomposerEEEEE10hipError_tT0_T1_T2_jT3_P12ihipStream_tbPNSt15iterator_traitsISE_E10value_typeEPNSK_ISF_E10value_typeEPSG_NS1_7vsmem_tEENKUlT_SE_SF_SG_E_clIS8_S8_S9_S9_EESD_ST_SE_SF_SG_EUlST_E_NS1_11comp_targetILNS1_3genE10ELNS1_11target_archE1201ELNS1_3gpuE5ELNS1_3repE0EEENS1_48merge_mergepath_partition_config_static_selectorELNS0_4arch9wavefront6targetE0EEEvSF_,comdat
.Lfunc_end274:
	.size	_ZN7rocprim17ROCPRIM_400000_NS6detail17trampoline_kernelINS0_14default_configENS1_38merge_sort_block_merge_config_selectorIaNS0_10empty_typeEEEZZNS1_27merge_sort_block_merge_implIS3_PaPS5_jNS1_19radix_merge_compareILb1ELb0EaNS0_19identity_decomposerEEEEE10hipError_tT0_T1_T2_jT3_P12ihipStream_tbPNSt15iterator_traitsISE_E10value_typeEPNSK_ISF_E10value_typeEPSG_NS1_7vsmem_tEENKUlT_SE_SF_SG_E_clIS8_S8_S9_S9_EESD_ST_SE_SF_SG_EUlST_E_NS1_11comp_targetILNS1_3genE10ELNS1_11target_archE1201ELNS1_3gpuE5ELNS1_3repE0EEENS1_48merge_mergepath_partition_config_static_selectorELNS0_4arch9wavefront6targetE0EEEvSF_, .Lfunc_end274-_ZN7rocprim17ROCPRIM_400000_NS6detail17trampoline_kernelINS0_14default_configENS1_38merge_sort_block_merge_config_selectorIaNS0_10empty_typeEEEZZNS1_27merge_sort_block_merge_implIS3_PaPS5_jNS1_19radix_merge_compareILb1ELb0EaNS0_19identity_decomposerEEEEE10hipError_tT0_T1_T2_jT3_P12ihipStream_tbPNSt15iterator_traitsISE_E10value_typeEPNSK_ISF_E10value_typeEPSG_NS1_7vsmem_tEENKUlT_SE_SF_SG_E_clIS8_S8_S9_S9_EESD_ST_SE_SF_SG_EUlST_E_NS1_11comp_targetILNS1_3genE10ELNS1_11target_archE1201ELNS1_3gpuE5ELNS1_3repE0EEENS1_48merge_mergepath_partition_config_static_selectorELNS0_4arch9wavefront6targetE0EEEvSF_
                                        ; -- End function
	.set _ZN7rocprim17ROCPRIM_400000_NS6detail17trampoline_kernelINS0_14default_configENS1_38merge_sort_block_merge_config_selectorIaNS0_10empty_typeEEEZZNS1_27merge_sort_block_merge_implIS3_PaPS5_jNS1_19radix_merge_compareILb1ELb0EaNS0_19identity_decomposerEEEEE10hipError_tT0_T1_T2_jT3_P12ihipStream_tbPNSt15iterator_traitsISE_E10value_typeEPNSK_ISF_E10value_typeEPSG_NS1_7vsmem_tEENKUlT_SE_SF_SG_E_clIS8_S8_S9_S9_EESD_ST_SE_SF_SG_EUlST_E_NS1_11comp_targetILNS1_3genE10ELNS1_11target_archE1201ELNS1_3gpuE5ELNS1_3repE0EEENS1_48merge_mergepath_partition_config_static_selectorELNS0_4arch9wavefront6targetE0EEEvSF_.num_vgpr, 0
	.set _ZN7rocprim17ROCPRIM_400000_NS6detail17trampoline_kernelINS0_14default_configENS1_38merge_sort_block_merge_config_selectorIaNS0_10empty_typeEEEZZNS1_27merge_sort_block_merge_implIS3_PaPS5_jNS1_19radix_merge_compareILb1ELb0EaNS0_19identity_decomposerEEEEE10hipError_tT0_T1_T2_jT3_P12ihipStream_tbPNSt15iterator_traitsISE_E10value_typeEPNSK_ISF_E10value_typeEPSG_NS1_7vsmem_tEENKUlT_SE_SF_SG_E_clIS8_S8_S9_S9_EESD_ST_SE_SF_SG_EUlST_E_NS1_11comp_targetILNS1_3genE10ELNS1_11target_archE1201ELNS1_3gpuE5ELNS1_3repE0EEENS1_48merge_mergepath_partition_config_static_selectorELNS0_4arch9wavefront6targetE0EEEvSF_.num_agpr, 0
	.set _ZN7rocprim17ROCPRIM_400000_NS6detail17trampoline_kernelINS0_14default_configENS1_38merge_sort_block_merge_config_selectorIaNS0_10empty_typeEEEZZNS1_27merge_sort_block_merge_implIS3_PaPS5_jNS1_19radix_merge_compareILb1ELb0EaNS0_19identity_decomposerEEEEE10hipError_tT0_T1_T2_jT3_P12ihipStream_tbPNSt15iterator_traitsISE_E10value_typeEPNSK_ISF_E10value_typeEPSG_NS1_7vsmem_tEENKUlT_SE_SF_SG_E_clIS8_S8_S9_S9_EESD_ST_SE_SF_SG_EUlST_E_NS1_11comp_targetILNS1_3genE10ELNS1_11target_archE1201ELNS1_3gpuE5ELNS1_3repE0EEENS1_48merge_mergepath_partition_config_static_selectorELNS0_4arch9wavefront6targetE0EEEvSF_.numbered_sgpr, 0
	.set _ZN7rocprim17ROCPRIM_400000_NS6detail17trampoline_kernelINS0_14default_configENS1_38merge_sort_block_merge_config_selectorIaNS0_10empty_typeEEEZZNS1_27merge_sort_block_merge_implIS3_PaPS5_jNS1_19radix_merge_compareILb1ELb0EaNS0_19identity_decomposerEEEEE10hipError_tT0_T1_T2_jT3_P12ihipStream_tbPNSt15iterator_traitsISE_E10value_typeEPNSK_ISF_E10value_typeEPSG_NS1_7vsmem_tEENKUlT_SE_SF_SG_E_clIS8_S8_S9_S9_EESD_ST_SE_SF_SG_EUlST_E_NS1_11comp_targetILNS1_3genE10ELNS1_11target_archE1201ELNS1_3gpuE5ELNS1_3repE0EEENS1_48merge_mergepath_partition_config_static_selectorELNS0_4arch9wavefront6targetE0EEEvSF_.num_named_barrier, 0
	.set _ZN7rocprim17ROCPRIM_400000_NS6detail17trampoline_kernelINS0_14default_configENS1_38merge_sort_block_merge_config_selectorIaNS0_10empty_typeEEEZZNS1_27merge_sort_block_merge_implIS3_PaPS5_jNS1_19radix_merge_compareILb1ELb0EaNS0_19identity_decomposerEEEEE10hipError_tT0_T1_T2_jT3_P12ihipStream_tbPNSt15iterator_traitsISE_E10value_typeEPNSK_ISF_E10value_typeEPSG_NS1_7vsmem_tEENKUlT_SE_SF_SG_E_clIS8_S8_S9_S9_EESD_ST_SE_SF_SG_EUlST_E_NS1_11comp_targetILNS1_3genE10ELNS1_11target_archE1201ELNS1_3gpuE5ELNS1_3repE0EEENS1_48merge_mergepath_partition_config_static_selectorELNS0_4arch9wavefront6targetE0EEEvSF_.private_seg_size, 0
	.set _ZN7rocprim17ROCPRIM_400000_NS6detail17trampoline_kernelINS0_14default_configENS1_38merge_sort_block_merge_config_selectorIaNS0_10empty_typeEEEZZNS1_27merge_sort_block_merge_implIS3_PaPS5_jNS1_19radix_merge_compareILb1ELb0EaNS0_19identity_decomposerEEEEE10hipError_tT0_T1_T2_jT3_P12ihipStream_tbPNSt15iterator_traitsISE_E10value_typeEPNSK_ISF_E10value_typeEPSG_NS1_7vsmem_tEENKUlT_SE_SF_SG_E_clIS8_S8_S9_S9_EESD_ST_SE_SF_SG_EUlST_E_NS1_11comp_targetILNS1_3genE10ELNS1_11target_archE1201ELNS1_3gpuE5ELNS1_3repE0EEENS1_48merge_mergepath_partition_config_static_selectorELNS0_4arch9wavefront6targetE0EEEvSF_.uses_vcc, 0
	.set _ZN7rocprim17ROCPRIM_400000_NS6detail17trampoline_kernelINS0_14default_configENS1_38merge_sort_block_merge_config_selectorIaNS0_10empty_typeEEEZZNS1_27merge_sort_block_merge_implIS3_PaPS5_jNS1_19radix_merge_compareILb1ELb0EaNS0_19identity_decomposerEEEEE10hipError_tT0_T1_T2_jT3_P12ihipStream_tbPNSt15iterator_traitsISE_E10value_typeEPNSK_ISF_E10value_typeEPSG_NS1_7vsmem_tEENKUlT_SE_SF_SG_E_clIS8_S8_S9_S9_EESD_ST_SE_SF_SG_EUlST_E_NS1_11comp_targetILNS1_3genE10ELNS1_11target_archE1201ELNS1_3gpuE5ELNS1_3repE0EEENS1_48merge_mergepath_partition_config_static_selectorELNS0_4arch9wavefront6targetE0EEEvSF_.uses_flat_scratch, 0
	.set _ZN7rocprim17ROCPRIM_400000_NS6detail17trampoline_kernelINS0_14default_configENS1_38merge_sort_block_merge_config_selectorIaNS0_10empty_typeEEEZZNS1_27merge_sort_block_merge_implIS3_PaPS5_jNS1_19radix_merge_compareILb1ELb0EaNS0_19identity_decomposerEEEEE10hipError_tT0_T1_T2_jT3_P12ihipStream_tbPNSt15iterator_traitsISE_E10value_typeEPNSK_ISF_E10value_typeEPSG_NS1_7vsmem_tEENKUlT_SE_SF_SG_E_clIS8_S8_S9_S9_EESD_ST_SE_SF_SG_EUlST_E_NS1_11comp_targetILNS1_3genE10ELNS1_11target_archE1201ELNS1_3gpuE5ELNS1_3repE0EEENS1_48merge_mergepath_partition_config_static_selectorELNS0_4arch9wavefront6targetE0EEEvSF_.has_dyn_sized_stack, 0
	.set _ZN7rocprim17ROCPRIM_400000_NS6detail17trampoline_kernelINS0_14default_configENS1_38merge_sort_block_merge_config_selectorIaNS0_10empty_typeEEEZZNS1_27merge_sort_block_merge_implIS3_PaPS5_jNS1_19radix_merge_compareILb1ELb0EaNS0_19identity_decomposerEEEEE10hipError_tT0_T1_T2_jT3_P12ihipStream_tbPNSt15iterator_traitsISE_E10value_typeEPNSK_ISF_E10value_typeEPSG_NS1_7vsmem_tEENKUlT_SE_SF_SG_E_clIS8_S8_S9_S9_EESD_ST_SE_SF_SG_EUlST_E_NS1_11comp_targetILNS1_3genE10ELNS1_11target_archE1201ELNS1_3gpuE5ELNS1_3repE0EEENS1_48merge_mergepath_partition_config_static_selectorELNS0_4arch9wavefront6targetE0EEEvSF_.has_recursion, 0
	.set _ZN7rocprim17ROCPRIM_400000_NS6detail17trampoline_kernelINS0_14default_configENS1_38merge_sort_block_merge_config_selectorIaNS0_10empty_typeEEEZZNS1_27merge_sort_block_merge_implIS3_PaPS5_jNS1_19radix_merge_compareILb1ELb0EaNS0_19identity_decomposerEEEEE10hipError_tT0_T1_T2_jT3_P12ihipStream_tbPNSt15iterator_traitsISE_E10value_typeEPNSK_ISF_E10value_typeEPSG_NS1_7vsmem_tEENKUlT_SE_SF_SG_E_clIS8_S8_S9_S9_EESD_ST_SE_SF_SG_EUlST_E_NS1_11comp_targetILNS1_3genE10ELNS1_11target_archE1201ELNS1_3gpuE5ELNS1_3repE0EEENS1_48merge_mergepath_partition_config_static_selectorELNS0_4arch9wavefront6targetE0EEEvSF_.has_indirect_call, 0
	.section	.AMDGPU.csdata,"",@progbits
; Kernel info:
; codeLenInByte = 0
; TotalNumSgprs: 0
; NumVgprs: 0
; ScratchSize: 0
; MemoryBound: 0
; FloatMode: 240
; IeeeMode: 1
; LDSByteSize: 0 bytes/workgroup (compile time only)
; SGPRBlocks: 0
; VGPRBlocks: 0
; NumSGPRsForWavesPerEU: 1
; NumVGPRsForWavesPerEU: 1
; NamedBarCnt: 0
; Occupancy: 16
; WaveLimiterHint : 0
; COMPUTE_PGM_RSRC2:SCRATCH_EN: 0
; COMPUTE_PGM_RSRC2:USER_SGPR: 2
; COMPUTE_PGM_RSRC2:TRAP_HANDLER: 0
; COMPUTE_PGM_RSRC2:TGID_X_EN: 1
; COMPUTE_PGM_RSRC2:TGID_Y_EN: 0
; COMPUTE_PGM_RSRC2:TGID_Z_EN: 0
; COMPUTE_PGM_RSRC2:TIDIG_COMP_CNT: 0
	.section	.text._ZN7rocprim17ROCPRIM_400000_NS6detail17trampoline_kernelINS0_14default_configENS1_38merge_sort_block_merge_config_selectorIaNS0_10empty_typeEEEZZNS1_27merge_sort_block_merge_implIS3_PaPS5_jNS1_19radix_merge_compareILb1ELb0EaNS0_19identity_decomposerEEEEE10hipError_tT0_T1_T2_jT3_P12ihipStream_tbPNSt15iterator_traitsISE_E10value_typeEPNSK_ISF_E10value_typeEPSG_NS1_7vsmem_tEENKUlT_SE_SF_SG_E_clIS8_S8_S9_S9_EESD_ST_SE_SF_SG_EUlST_E_NS1_11comp_targetILNS1_3genE5ELNS1_11target_archE942ELNS1_3gpuE9ELNS1_3repE0EEENS1_48merge_mergepath_partition_config_static_selectorELNS0_4arch9wavefront6targetE0EEEvSF_,"axG",@progbits,_ZN7rocprim17ROCPRIM_400000_NS6detail17trampoline_kernelINS0_14default_configENS1_38merge_sort_block_merge_config_selectorIaNS0_10empty_typeEEEZZNS1_27merge_sort_block_merge_implIS3_PaPS5_jNS1_19radix_merge_compareILb1ELb0EaNS0_19identity_decomposerEEEEE10hipError_tT0_T1_T2_jT3_P12ihipStream_tbPNSt15iterator_traitsISE_E10value_typeEPNSK_ISF_E10value_typeEPSG_NS1_7vsmem_tEENKUlT_SE_SF_SG_E_clIS8_S8_S9_S9_EESD_ST_SE_SF_SG_EUlST_E_NS1_11comp_targetILNS1_3genE5ELNS1_11target_archE942ELNS1_3gpuE9ELNS1_3repE0EEENS1_48merge_mergepath_partition_config_static_selectorELNS0_4arch9wavefront6targetE0EEEvSF_,comdat
	.protected	_ZN7rocprim17ROCPRIM_400000_NS6detail17trampoline_kernelINS0_14default_configENS1_38merge_sort_block_merge_config_selectorIaNS0_10empty_typeEEEZZNS1_27merge_sort_block_merge_implIS3_PaPS5_jNS1_19radix_merge_compareILb1ELb0EaNS0_19identity_decomposerEEEEE10hipError_tT0_T1_T2_jT3_P12ihipStream_tbPNSt15iterator_traitsISE_E10value_typeEPNSK_ISF_E10value_typeEPSG_NS1_7vsmem_tEENKUlT_SE_SF_SG_E_clIS8_S8_S9_S9_EESD_ST_SE_SF_SG_EUlST_E_NS1_11comp_targetILNS1_3genE5ELNS1_11target_archE942ELNS1_3gpuE9ELNS1_3repE0EEENS1_48merge_mergepath_partition_config_static_selectorELNS0_4arch9wavefront6targetE0EEEvSF_ ; -- Begin function _ZN7rocprim17ROCPRIM_400000_NS6detail17trampoline_kernelINS0_14default_configENS1_38merge_sort_block_merge_config_selectorIaNS0_10empty_typeEEEZZNS1_27merge_sort_block_merge_implIS3_PaPS5_jNS1_19radix_merge_compareILb1ELb0EaNS0_19identity_decomposerEEEEE10hipError_tT0_T1_T2_jT3_P12ihipStream_tbPNSt15iterator_traitsISE_E10value_typeEPNSK_ISF_E10value_typeEPSG_NS1_7vsmem_tEENKUlT_SE_SF_SG_E_clIS8_S8_S9_S9_EESD_ST_SE_SF_SG_EUlST_E_NS1_11comp_targetILNS1_3genE5ELNS1_11target_archE942ELNS1_3gpuE9ELNS1_3repE0EEENS1_48merge_mergepath_partition_config_static_selectorELNS0_4arch9wavefront6targetE0EEEvSF_
	.globl	_ZN7rocprim17ROCPRIM_400000_NS6detail17trampoline_kernelINS0_14default_configENS1_38merge_sort_block_merge_config_selectorIaNS0_10empty_typeEEEZZNS1_27merge_sort_block_merge_implIS3_PaPS5_jNS1_19radix_merge_compareILb1ELb0EaNS0_19identity_decomposerEEEEE10hipError_tT0_T1_T2_jT3_P12ihipStream_tbPNSt15iterator_traitsISE_E10value_typeEPNSK_ISF_E10value_typeEPSG_NS1_7vsmem_tEENKUlT_SE_SF_SG_E_clIS8_S8_S9_S9_EESD_ST_SE_SF_SG_EUlST_E_NS1_11comp_targetILNS1_3genE5ELNS1_11target_archE942ELNS1_3gpuE9ELNS1_3repE0EEENS1_48merge_mergepath_partition_config_static_selectorELNS0_4arch9wavefront6targetE0EEEvSF_
	.p2align	8
	.type	_ZN7rocprim17ROCPRIM_400000_NS6detail17trampoline_kernelINS0_14default_configENS1_38merge_sort_block_merge_config_selectorIaNS0_10empty_typeEEEZZNS1_27merge_sort_block_merge_implIS3_PaPS5_jNS1_19radix_merge_compareILb1ELb0EaNS0_19identity_decomposerEEEEE10hipError_tT0_T1_T2_jT3_P12ihipStream_tbPNSt15iterator_traitsISE_E10value_typeEPNSK_ISF_E10value_typeEPSG_NS1_7vsmem_tEENKUlT_SE_SF_SG_E_clIS8_S8_S9_S9_EESD_ST_SE_SF_SG_EUlST_E_NS1_11comp_targetILNS1_3genE5ELNS1_11target_archE942ELNS1_3gpuE9ELNS1_3repE0EEENS1_48merge_mergepath_partition_config_static_selectorELNS0_4arch9wavefront6targetE0EEEvSF_,@function
_ZN7rocprim17ROCPRIM_400000_NS6detail17trampoline_kernelINS0_14default_configENS1_38merge_sort_block_merge_config_selectorIaNS0_10empty_typeEEEZZNS1_27merge_sort_block_merge_implIS3_PaPS5_jNS1_19radix_merge_compareILb1ELb0EaNS0_19identity_decomposerEEEEE10hipError_tT0_T1_T2_jT3_P12ihipStream_tbPNSt15iterator_traitsISE_E10value_typeEPNSK_ISF_E10value_typeEPSG_NS1_7vsmem_tEENKUlT_SE_SF_SG_E_clIS8_S8_S9_S9_EESD_ST_SE_SF_SG_EUlST_E_NS1_11comp_targetILNS1_3genE5ELNS1_11target_archE942ELNS1_3gpuE9ELNS1_3repE0EEENS1_48merge_mergepath_partition_config_static_selectorELNS0_4arch9wavefront6targetE0EEEvSF_: ; @_ZN7rocprim17ROCPRIM_400000_NS6detail17trampoline_kernelINS0_14default_configENS1_38merge_sort_block_merge_config_selectorIaNS0_10empty_typeEEEZZNS1_27merge_sort_block_merge_implIS3_PaPS5_jNS1_19radix_merge_compareILb1ELb0EaNS0_19identity_decomposerEEEEE10hipError_tT0_T1_T2_jT3_P12ihipStream_tbPNSt15iterator_traitsISE_E10value_typeEPNSK_ISF_E10value_typeEPSG_NS1_7vsmem_tEENKUlT_SE_SF_SG_E_clIS8_S8_S9_S9_EESD_ST_SE_SF_SG_EUlST_E_NS1_11comp_targetILNS1_3genE5ELNS1_11target_archE942ELNS1_3gpuE9ELNS1_3repE0EEENS1_48merge_mergepath_partition_config_static_selectorELNS0_4arch9wavefront6targetE0EEEvSF_
; %bb.0:
	.section	.rodata,"a",@progbits
	.p2align	6, 0x0
	.amdhsa_kernel _ZN7rocprim17ROCPRIM_400000_NS6detail17trampoline_kernelINS0_14default_configENS1_38merge_sort_block_merge_config_selectorIaNS0_10empty_typeEEEZZNS1_27merge_sort_block_merge_implIS3_PaPS5_jNS1_19radix_merge_compareILb1ELb0EaNS0_19identity_decomposerEEEEE10hipError_tT0_T1_T2_jT3_P12ihipStream_tbPNSt15iterator_traitsISE_E10value_typeEPNSK_ISF_E10value_typeEPSG_NS1_7vsmem_tEENKUlT_SE_SF_SG_E_clIS8_S8_S9_S9_EESD_ST_SE_SF_SG_EUlST_E_NS1_11comp_targetILNS1_3genE5ELNS1_11target_archE942ELNS1_3gpuE9ELNS1_3repE0EEENS1_48merge_mergepath_partition_config_static_selectorELNS0_4arch9wavefront6targetE0EEEvSF_
		.amdhsa_group_segment_fixed_size 0
		.amdhsa_private_segment_fixed_size 0
		.amdhsa_kernarg_size 40
		.amdhsa_user_sgpr_count 2
		.amdhsa_user_sgpr_dispatch_ptr 0
		.amdhsa_user_sgpr_queue_ptr 0
		.amdhsa_user_sgpr_kernarg_segment_ptr 1
		.amdhsa_user_sgpr_dispatch_id 0
		.amdhsa_user_sgpr_kernarg_preload_length 0
		.amdhsa_user_sgpr_kernarg_preload_offset 0
		.amdhsa_user_sgpr_private_segment_size 0
		.amdhsa_wavefront_size32 1
		.amdhsa_uses_dynamic_stack 0
		.amdhsa_enable_private_segment 0
		.amdhsa_system_sgpr_workgroup_id_x 1
		.amdhsa_system_sgpr_workgroup_id_y 0
		.amdhsa_system_sgpr_workgroup_id_z 0
		.amdhsa_system_sgpr_workgroup_info 0
		.amdhsa_system_vgpr_workitem_id 0
		.amdhsa_next_free_vgpr 1
		.amdhsa_next_free_sgpr 1
		.amdhsa_named_barrier_count 0
		.amdhsa_reserve_vcc 0
		.amdhsa_float_round_mode_32 0
		.amdhsa_float_round_mode_16_64 0
		.amdhsa_float_denorm_mode_32 3
		.amdhsa_float_denorm_mode_16_64 3
		.amdhsa_fp16_overflow 0
		.amdhsa_memory_ordered 1
		.amdhsa_forward_progress 1
		.amdhsa_inst_pref_size 0
		.amdhsa_round_robin_scheduling 0
		.amdhsa_exception_fp_ieee_invalid_op 0
		.amdhsa_exception_fp_denorm_src 0
		.amdhsa_exception_fp_ieee_div_zero 0
		.amdhsa_exception_fp_ieee_overflow 0
		.amdhsa_exception_fp_ieee_underflow 0
		.amdhsa_exception_fp_ieee_inexact 0
		.amdhsa_exception_int_div_zero 0
	.end_amdhsa_kernel
	.section	.text._ZN7rocprim17ROCPRIM_400000_NS6detail17trampoline_kernelINS0_14default_configENS1_38merge_sort_block_merge_config_selectorIaNS0_10empty_typeEEEZZNS1_27merge_sort_block_merge_implIS3_PaPS5_jNS1_19radix_merge_compareILb1ELb0EaNS0_19identity_decomposerEEEEE10hipError_tT0_T1_T2_jT3_P12ihipStream_tbPNSt15iterator_traitsISE_E10value_typeEPNSK_ISF_E10value_typeEPSG_NS1_7vsmem_tEENKUlT_SE_SF_SG_E_clIS8_S8_S9_S9_EESD_ST_SE_SF_SG_EUlST_E_NS1_11comp_targetILNS1_3genE5ELNS1_11target_archE942ELNS1_3gpuE9ELNS1_3repE0EEENS1_48merge_mergepath_partition_config_static_selectorELNS0_4arch9wavefront6targetE0EEEvSF_,"axG",@progbits,_ZN7rocprim17ROCPRIM_400000_NS6detail17trampoline_kernelINS0_14default_configENS1_38merge_sort_block_merge_config_selectorIaNS0_10empty_typeEEEZZNS1_27merge_sort_block_merge_implIS3_PaPS5_jNS1_19radix_merge_compareILb1ELb0EaNS0_19identity_decomposerEEEEE10hipError_tT0_T1_T2_jT3_P12ihipStream_tbPNSt15iterator_traitsISE_E10value_typeEPNSK_ISF_E10value_typeEPSG_NS1_7vsmem_tEENKUlT_SE_SF_SG_E_clIS8_S8_S9_S9_EESD_ST_SE_SF_SG_EUlST_E_NS1_11comp_targetILNS1_3genE5ELNS1_11target_archE942ELNS1_3gpuE9ELNS1_3repE0EEENS1_48merge_mergepath_partition_config_static_selectorELNS0_4arch9wavefront6targetE0EEEvSF_,comdat
.Lfunc_end275:
	.size	_ZN7rocprim17ROCPRIM_400000_NS6detail17trampoline_kernelINS0_14default_configENS1_38merge_sort_block_merge_config_selectorIaNS0_10empty_typeEEEZZNS1_27merge_sort_block_merge_implIS3_PaPS5_jNS1_19radix_merge_compareILb1ELb0EaNS0_19identity_decomposerEEEEE10hipError_tT0_T1_T2_jT3_P12ihipStream_tbPNSt15iterator_traitsISE_E10value_typeEPNSK_ISF_E10value_typeEPSG_NS1_7vsmem_tEENKUlT_SE_SF_SG_E_clIS8_S8_S9_S9_EESD_ST_SE_SF_SG_EUlST_E_NS1_11comp_targetILNS1_3genE5ELNS1_11target_archE942ELNS1_3gpuE9ELNS1_3repE0EEENS1_48merge_mergepath_partition_config_static_selectorELNS0_4arch9wavefront6targetE0EEEvSF_, .Lfunc_end275-_ZN7rocprim17ROCPRIM_400000_NS6detail17trampoline_kernelINS0_14default_configENS1_38merge_sort_block_merge_config_selectorIaNS0_10empty_typeEEEZZNS1_27merge_sort_block_merge_implIS3_PaPS5_jNS1_19radix_merge_compareILb1ELb0EaNS0_19identity_decomposerEEEEE10hipError_tT0_T1_T2_jT3_P12ihipStream_tbPNSt15iterator_traitsISE_E10value_typeEPNSK_ISF_E10value_typeEPSG_NS1_7vsmem_tEENKUlT_SE_SF_SG_E_clIS8_S8_S9_S9_EESD_ST_SE_SF_SG_EUlST_E_NS1_11comp_targetILNS1_3genE5ELNS1_11target_archE942ELNS1_3gpuE9ELNS1_3repE0EEENS1_48merge_mergepath_partition_config_static_selectorELNS0_4arch9wavefront6targetE0EEEvSF_
                                        ; -- End function
	.set _ZN7rocprim17ROCPRIM_400000_NS6detail17trampoline_kernelINS0_14default_configENS1_38merge_sort_block_merge_config_selectorIaNS0_10empty_typeEEEZZNS1_27merge_sort_block_merge_implIS3_PaPS5_jNS1_19radix_merge_compareILb1ELb0EaNS0_19identity_decomposerEEEEE10hipError_tT0_T1_T2_jT3_P12ihipStream_tbPNSt15iterator_traitsISE_E10value_typeEPNSK_ISF_E10value_typeEPSG_NS1_7vsmem_tEENKUlT_SE_SF_SG_E_clIS8_S8_S9_S9_EESD_ST_SE_SF_SG_EUlST_E_NS1_11comp_targetILNS1_3genE5ELNS1_11target_archE942ELNS1_3gpuE9ELNS1_3repE0EEENS1_48merge_mergepath_partition_config_static_selectorELNS0_4arch9wavefront6targetE0EEEvSF_.num_vgpr, 0
	.set _ZN7rocprim17ROCPRIM_400000_NS6detail17trampoline_kernelINS0_14default_configENS1_38merge_sort_block_merge_config_selectorIaNS0_10empty_typeEEEZZNS1_27merge_sort_block_merge_implIS3_PaPS5_jNS1_19radix_merge_compareILb1ELb0EaNS0_19identity_decomposerEEEEE10hipError_tT0_T1_T2_jT3_P12ihipStream_tbPNSt15iterator_traitsISE_E10value_typeEPNSK_ISF_E10value_typeEPSG_NS1_7vsmem_tEENKUlT_SE_SF_SG_E_clIS8_S8_S9_S9_EESD_ST_SE_SF_SG_EUlST_E_NS1_11comp_targetILNS1_3genE5ELNS1_11target_archE942ELNS1_3gpuE9ELNS1_3repE0EEENS1_48merge_mergepath_partition_config_static_selectorELNS0_4arch9wavefront6targetE0EEEvSF_.num_agpr, 0
	.set _ZN7rocprim17ROCPRIM_400000_NS6detail17trampoline_kernelINS0_14default_configENS1_38merge_sort_block_merge_config_selectorIaNS0_10empty_typeEEEZZNS1_27merge_sort_block_merge_implIS3_PaPS5_jNS1_19radix_merge_compareILb1ELb0EaNS0_19identity_decomposerEEEEE10hipError_tT0_T1_T2_jT3_P12ihipStream_tbPNSt15iterator_traitsISE_E10value_typeEPNSK_ISF_E10value_typeEPSG_NS1_7vsmem_tEENKUlT_SE_SF_SG_E_clIS8_S8_S9_S9_EESD_ST_SE_SF_SG_EUlST_E_NS1_11comp_targetILNS1_3genE5ELNS1_11target_archE942ELNS1_3gpuE9ELNS1_3repE0EEENS1_48merge_mergepath_partition_config_static_selectorELNS0_4arch9wavefront6targetE0EEEvSF_.numbered_sgpr, 0
	.set _ZN7rocprim17ROCPRIM_400000_NS6detail17trampoline_kernelINS0_14default_configENS1_38merge_sort_block_merge_config_selectorIaNS0_10empty_typeEEEZZNS1_27merge_sort_block_merge_implIS3_PaPS5_jNS1_19radix_merge_compareILb1ELb0EaNS0_19identity_decomposerEEEEE10hipError_tT0_T1_T2_jT3_P12ihipStream_tbPNSt15iterator_traitsISE_E10value_typeEPNSK_ISF_E10value_typeEPSG_NS1_7vsmem_tEENKUlT_SE_SF_SG_E_clIS8_S8_S9_S9_EESD_ST_SE_SF_SG_EUlST_E_NS1_11comp_targetILNS1_3genE5ELNS1_11target_archE942ELNS1_3gpuE9ELNS1_3repE0EEENS1_48merge_mergepath_partition_config_static_selectorELNS0_4arch9wavefront6targetE0EEEvSF_.num_named_barrier, 0
	.set _ZN7rocprim17ROCPRIM_400000_NS6detail17trampoline_kernelINS0_14default_configENS1_38merge_sort_block_merge_config_selectorIaNS0_10empty_typeEEEZZNS1_27merge_sort_block_merge_implIS3_PaPS5_jNS1_19radix_merge_compareILb1ELb0EaNS0_19identity_decomposerEEEEE10hipError_tT0_T1_T2_jT3_P12ihipStream_tbPNSt15iterator_traitsISE_E10value_typeEPNSK_ISF_E10value_typeEPSG_NS1_7vsmem_tEENKUlT_SE_SF_SG_E_clIS8_S8_S9_S9_EESD_ST_SE_SF_SG_EUlST_E_NS1_11comp_targetILNS1_3genE5ELNS1_11target_archE942ELNS1_3gpuE9ELNS1_3repE0EEENS1_48merge_mergepath_partition_config_static_selectorELNS0_4arch9wavefront6targetE0EEEvSF_.private_seg_size, 0
	.set _ZN7rocprim17ROCPRIM_400000_NS6detail17trampoline_kernelINS0_14default_configENS1_38merge_sort_block_merge_config_selectorIaNS0_10empty_typeEEEZZNS1_27merge_sort_block_merge_implIS3_PaPS5_jNS1_19radix_merge_compareILb1ELb0EaNS0_19identity_decomposerEEEEE10hipError_tT0_T1_T2_jT3_P12ihipStream_tbPNSt15iterator_traitsISE_E10value_typeEPNSK_ISF_E10value_typeEPSG_NS1_7vsmem_tEENKUlT_SE_SF_SG_E_clIS8_S8_S9_S9_EESD_ST_SE_SF_SG_EUlST_E_NS1_11comp_targetILNS1_3genE5ELNS1_11target_archE942ELNS1_3gpuE9ELNS1_3repE0EEENS1_48merge_mergepath_partition_config_static_selectorELNS0_4arch9wavefront6targetE0EEEvSF_.uses_vcc, 0
	.set _ZN7rocprim17ROCPRIM_400000_NS6detail17trampoline_kernelINS0_14default_configENS1_38merge_sort_block_merge_config_selectorIaNS0_10empty_typeEEEZZNS1_27merge_sort_block_merge_implIS3_PaPS5_jNS1_19radix_merge_compareILb1ELb0EaNS0_19identity_decomposerEEEEE10hipError_tT0_T1_T2_jT3_P12ihipStream_tbPNSt15iterator_traitsISE_E10value_typeEPNSK_ISF_E10value_typeEPSG_NS1_7vsmem_tEENKUlT_SE_SF_SG_E_clIS8_S8_S9_S9_EESD_ST_SE_SF_SG_EUlST_E_NS1_11comp_targetILNS1_3genE5ELNS1_11target_archE942ELNS1_3gpuE9ELNS1_3repE0EEENS1_48merge_mergepath_partition_config_static_selectorELNS0_4arch9wavefront6targetE0EEEvSF_.uses_flat_scratch, 0
	.set _ZN7rocprim17ROCPRIM_400000_NS6detail17trampoline_kernelINS0_14default_configENS1_38merge_sort_block_merge_config_selectorIaNS0_10empty_typeEEEZZNS1_27merge_sort_block_merge_implIS3_PaPS5_jNS1_19radix_merge_compareILb1ELb0EaNS0_19identity_decomposerEEEEE10hipError_tT0_T1_T2_jT3_P12ihipStream_tbPNSt15iterator_traitsISE_E10value_typeEPNSK_ISF_E10value_typeEPSG_NS1_7vsmem_tEENKUlT_SE_SF_SG_E_clIS8_S8_S9_S9_EESD_ST_SE_SF_SG_EUlST_E_NS1_11comp_targetILNS1_3genE5ELNS1_11target_archE942ELNS1_3gpuE9ELNS1_3repE0EEENS1_48merge_mergepath_partition_config_static_selectorELNS0_4arch9wavefront6targetE0EEEvSF_.has_dyn_sized_stack, 0
	.set _ZN7rocprim17ROCPRIM_400000_NS6detail17trampoline_kernelINS0_14default_configENS1_38merge_sort_block_merge_config_selectorIaNS0_10empty_typeEEEZZNS1_27merge_sort_block_merge_implIS3_PaPS5_jNS1_19radix_merge_compareILb1ELb0EaNS0_19identity_decomposerEEEEE10hipError_tT0_T1_T2_jT3_P12ihipStream_tbPNSt15iterator_traitsISE_E10value_typeEPNSK_ISF_E10value_typeEPSG_NS1_7vsmem_tEENKUlT_SE_SF_SG_E_clIS8_S8_S9_S9_EESD_ST_SE_SF_SG_EUlST_E_NS1_11comp_targetILNS1_3genE5ELNS1_11target_archE942ELNS1_3gpuE9ELNS1_3repE0EEENS1_48merge_mergepath_partition_config_static_selectorELNS0_4arch9wavefront6targetE0EEEvSF_.has_recursion, 0
	.set _ZN7rocprim17ROCPRIM_400000_NS6detail17trampoline_kernelINS0_14default_configENS1_38merge_sort_block_merge_config_selectorIaNS0_10empty_typeEEEZZNS1_27merge_sort_block_merge_implIS3_PaPS5_jNS1_19radix_merge_compareILb1ELb0EaNS0_19identity_decomposerEEEEE10hipError_tT0_T1_T2_jT3_P12ihipStream_tbPNSt15iterator_traitsISE_E10value_typeEPNSK_ISF_E10value_typeEPSG_NS1_7vsmem_tEENKUlT_SE_SF_SG_E_clIS8_S8_S9_S9_EESD_ST_SE_SF_SG_EUlST_E_NS1_11comp_targetILNS1_3genE5ELNS1_11target_archE942ELNS1_3gpuE9ELNS1_3repE0EEENS1_48merge_mergepath_partition_config_static_selectorELNS0_4arch9wavefront6targetE0EEEvSF_.has_indirect_call, 0
	.section	.AMDGPU.csdata,"",@progbits
; Kernel info:
; codeLenInByte = 0
; TotalNumSgprs: 0
; NumVgprs: 0
; ScratchSize: 0
; MemoryBound: 0
; FloatMode: 240
; IeeeMode: 1
; LDSByteSize: 0 bytes/workgroup (compile time only)
; SGPRBlocks: 0
; VGPRBlocks: 0
; NumSGPRsForWavesPerEU: 1
; NumVGPRsForWavesPerEU: 1
; NamedBarCnt: 0
; Occupancy: 16
; WaveLimiterHint : 0
; COMPUTE_PGM_RSRC2:SCRATCH_EN: 0
; COMPUTE_PGM_RSRC2:USER_SGPR: 2
; COMPUTE_PGM_RSRC2:TRAP_HANDLER: 0
; COMPUTE_PGM_RSRC2:TGID_X_EN: 1
; COMPUTE_PGM_RSRC2:TGID_Y_EN: 0
; COMPUTE_PGM_RSRC2:TGID_Z_EN: 0
; COMPUTE_PGM_RSRC2:TIDIG_COMP_CNT: 0
	.section	.text._ZN7rocprim17ROCPRIM_400000_NS6detail17trampoline_kernelINS0_14default_configENS1_38merge_sort_block_merge_config_selectorIaNS0_10empty_typeEEEZZNS1_27merge_sort_block_merge_implIS3_PaPS5_jNS1_19radix_merge_compareILb1ELb0EaNS0_19identity_decomposerEEEEE10hipError_tT0_T1_T2_jT3_P12ihipStream_tbPNSt15iterator_traitsISE_E10value_typeEPNSK_ISF_E10value_typeEPSG_NS1_7vsmem_tEENKUlT_SE_SF_SG_E_clIS8_S8_S9_S9_EESD_ST_SE_SF_SG_EUlST_E_NS1_11comp_targetILNS1_3genE4ELNS1_11target_archE910ELNS1_3gpuE8ELNS1_3repE0EEENS1_48merge_mergepath_partition_config_static_selectorELNS0_4arch9wavefront6targetE0EEEvSF_,"axG",@progbits,_ZN7rocprim17ROCPRIM_400000_NS6detail17trampoline_kernelINS0_14default_configENS1_38merge_sort_block_merge_config_selectorIaNS0_10empty_typeEEEZZNS1_27merge_sort_block_merge_implIS3_PaPS5_jNS1_19radix_merge_compareILb1ELb0EaNS0_19identity_decomposerEEEEE10hipError_tT0_T1_T2_jT3_P12ihipStream_tbPNSt15iterator_traitsISE_E10value_typeEPNSK_ISF_E10value_typeEPSG_NS1_7vsmem_tEENKUlT_SE_SF_SG_E_clIS8_S8_S9_S9_EESD_ST_SE_SF_SG_EUlST_E_NS1_11comp_targetILNS1_3genE4ELNS1_11target_archE910ELNS1_3gpuE8ELNS1_3repE0EEENS1_48merge_mergepath_partition_config_static_selectorELNS0_4arch9wavefront6targetE0EEEvSF_,comdat
	.protected	_ZN7rocprim17ROCPRIM_400000_NS6detail17trampoline_kernelINS0_14default_configENS1_38merge_sort_block_merge_config_selectorIaNS0_10empty_typeEEEZZNS1_27merge_sort_block_merge_implIS3_PaPS5_jNS1_19radix_merge_compareILb1ELb0EaNS0_19identity_decomposerEEEEE10hipError_tT0_T1_T2_jT3_P12ihipStream_tbPNSt15iterator_traitsISE_E10value_typeEPNSK_ISF_E10value_typeEPSG_NS1_7vsmem_tEENKUlT_SE_SF_SG_E_clIS8_S8_S9_S9_EESD_ST_SE_SF_SG_EUlST_E_NS1_11comp_targetILNS1_3genE4ELNS1_11target_archE910ELNS1_3gpuE8ELNS1_3repE0EEENS1_48merge_mergepath_partition_config_static_selectorELNS0_4arch9wavefront6targetE0EEEvSF_ ; -- Begin function _ZN7rocprim17ROCPRIM_400000_NS6detail17trampoline_kernelINS0_14default_configENS1_38merge_sort_block_merge_config_selectorIaNS0_10empty_typeEEEZZNS1_27merge_sort_block_merge_implIS3_PaPS5_jNS1_19radix_merge_compareILb1ELb0EaNS0_19identity_decomposerEEEEE10hipError_tT0_T1_T2_jT3_P12ihipStream_tbPNSt15iterator_traitsISE_E10value_typeEPNSK_ISF_E10value_typeEPSG_NS1_7vsmem_tEENKUlT_SE_SF_SG_E_clIS8_S8_S9_S9_EESD_ST_SE_SF_SG_EUlST_E_NS1_11comp_targetILNS1_3genE4ELNS1_11target_archE910ELNS1_3gpuE8ELNS1_3repE0EEENS1_48merge_mergepath_partition_config_static_selectorELNS0_4arch9wavefront6targetE0EEEvSF_
	.globl	_ZN7rocprim17ROCPRIM_400000_NS6detail17trampoline_kernelINS0_14default_configENS1_38merge_sort_block_merge_config_selectorIaNS0_10empty_typeEEEZZNS1_27merge_sort_block_merge_implIS3_PaPS5_jNS1_19radix_merge_compareILb1ELb0EaNS0_19identity_decomposerEEEEE10hipError_tT0_T1_T2_jT3_P12ihipStream_tbPNSt15iterator_traitsISE_E10value_typeEPNSK_ISF_E10value_typeEPSG_NS1_7vsmem_tEENKUlT_SE_SF_SG_E_clIS8_S8_S9_S9_EESD_ST_SE_SF_SG_EUlST_E_NS1_11comp_targetILNS1_3genE4ELNS1_11target_archE910ELNS1_3gpuE8ELNS1_3repE0EEENS1_48merge_mergepath_partition_config_static_selectorELNS0_4arch9wavefront6targetE0EEEvSF_
	.p2align	8
	.type	_ZN7rocprim17ROCPRIM_400000_NS6detail17trampoline_kernelINS0_14default_configENS1_38merge_sort_block_merge_config_selectorIaNS0_10empty_typeEEEZZNS1_27merge_sort_block_merge_implIS3_PaPS5_jNS1_19radix_merge_compareILb1ELb0EaNS0_19identity_decomposerEEEEE10hipError_tT0_T1_T2_jT3_P12ihipStream_tbPNSt15iterator_traitsISE_E10value_typeEPNSK_ISF_E10value_typeEPSG_NS1_7vsmem_tEENKUlT_SE_SF_SG_E_clIS8_S8_S9_S9_EESD_ST_SE_SF_SG_EUlST_E_NS1_11comp_targetILNS1_3genE4ELNS1_11target_archE910ELNS1_3gpuE8ELNS1_3repE0EEENS1_48merge_mergepath_partition_config_static_selectorELNS0_4arch9wavefront6targetE0EEEvSF_,@function
_ZN7rocprim17ROCPRIM_400000_NS6detail17trampoline_kernelINS0_14default_configENS1_38merge_sort_block_merge_config_selectorIaNS0_10empty_typeEEEZZNS1_27merge_sort_block_merge_implIS3_PaPS5_jNS1_19radix_merge_compareILb1ELb0EaNS0_19identity_decomposerEEEEE10hipError_tT0_T1_T2_jT3_P12ihipStream_tbPNSt15iterator_traitsISE_E10value_typeEPNSK_ISF_E10value_typeEPSG_NS1_7vsmem_tEENKUlT_SE_SF_SG_E_clIS8_S8_S9_S9_EESD_ST_SE_SF_SG_EUlST_E_NS1_11comp_targetILNS1_3genE4ELNS1_11target_archE910ELNS1_3gpuE8ELNS1_3repE0EEENS1_48merge_mergepath_partition_config_static_selectorELNS0_4arch9wavefront6targetE0EEEvSF_: ; @_ZN7rocprim17ROCPRIM_400000_NS6detail17trampoline_kernelINS0_14default_configENS1_38merge_sort_block_merge_config_selectorIaNS0_10empty_typeEEEZZNS1_27merge_sort_block_merge_implIS3_PaPS5_jNS1_19radix_merge_compareILb1ELb0EaNS0_19identity_decomposerEEEEE10hipError_tT0_T1_T2_jT3_P12ihipStream_tbPNSt15iterator_traitsISE_E10value_typeEPNSK_ISF_E10value_typeEPSG_NS1_7vsmem_tEENKUlT_SE_SF_SG_E_clIS8_S8_S9_S9_EESD_ST_SE_SF_SG_EUlST_E_NS1_11comp_targetILNS1_3genE4ELNS1_11target_archE910ELNS1_3gpuE8ELNS1_3repE0EEENS1_48merge_mergepath_partition_config_static_selectorELNS0_4arch9wavefront6targetE0EEEvSF_
; %bb.0:
	.section	.rodata,"a",@progbits
	.p2align	6, 0x0
	.amdhsa_kernel _ZN7rocprim17ROCPRIM_400000_NS6detail17trampoline_kernelINS0_14default_configENS1_38merge_sort_block_merge_config_selectorIaNS0_10empty_typeEEEZZNS1_27merge_sort_block_merge_implIS3_PaPS5_jNS1_19radix_merge_compareILb1ELb0EaNS0_19identity_decomposerEEEEE10hipError_tT0_T1_T2_jT3_P12ihipStream_tbPNSt15iterator_traitsISE_E10value_typeEPNSK_ISF_E10value_typeEPSG_NS1_7vsmem_tEENKUlT_SE_SF_SG_E_clIS8_S8_S9_S9_EESD_ST_SE_SF_SG_EUlST_E_NS1_11comp_targetILNS1_3genE4ELNS1_11target_archE910ELNS1_3gpuE8ELNS1_3repE0EEENS1_48merge_mergepath_partition_config_static_selectorELNS0_4arch9wavefront6targetE0EEEvSF_
		.amdhsa_group_segment_fixed_size 0
		.amdhsa_private_segment_fixed_size 0
		.amdhsa_kernarg_size 40
		.amdhsa_user_sgpr_count 2
		.amdhsa_user_sgpr_dispatch_ptr 0
		.amdhsa_user_sgpr_queue_ptr 0
		.amdhsa_user_sgpr_kernarg_segment_ptr 1
		.amdhsa_user_sgpr_dispatch_id 0
		.amdhsa_user_sgpr_kernarg_preload_length 0
		.amdhsa_user_sgpr_kernarg_preload_offset 0
		.amdhsa_user_sgpr_private_segment_size 0
		.amdhsa_wavefront_size32 1
		.amdhsa_uses_dynamic_stack 0
		.amdhsa_enable_private_segment 0
		.amdhsa_system_sgpr_workgroup_id_x 1
		.amdhsa_system_sgpr_workgroup_id_y 0
		.amdhsa_system_sgpr_workgroup_id_z 0
		.amdhsa_system_sgpr_workgroup_info 0
		.amdhsa_system_vgpr_workitem_id 0
		.amdhsa_next_free_vgpr 1
		.amdhsa_next_free_sgpr 1
		.amdhsa_named_barrier_count 0
		.amdhsa_reserve_vcc 0
		.amdhsa_float_round_mode_32 0
		.amdhsa_float_round_mode_16_64 0
		.amdhsa_float_denorm_mode_32 3
		.amdhsa_float_denorm_mode_16_64 3
		.amdhsa_fp16_overflow 0
		.amdhsa_memory_ordered 1
		.amdhsa_forward_progress 1
		.amdhsa_inst_pref_size 0
		.amdhsa_round_robin_scheduling 0
		.amdhsa_exception_fp_ieee_invalid_op 0
		.amdhsa_exception_fp_denorm_src 0
		.amdhsa_exception_fp_ieee_div_zero 0
		.amdhsa_exception_fp_ieee_overflow 0
		.amdhsa_exception_fp_ieee_underflow 0
		.amdhsa_exception_fp_ieee_inexact 0
		.amdhsa_exception_int_div_zero 0
	.end_amdhsa_kernel
	.section	.text._ZN7rocprim17ROCPRIM_400000_NS6detail17trampoline_kernelINS0_14default_configENS1_38merge_sort_block_merge_config_selectorIaNS0_10empty_typeEEEZZNS1_27merge_sort_block_merge_implIS3_PaPS5_jNS1_19radix_merge_compareILb1ELb0EaNS0_19identity_decomposerEEEEE10hipError_tT0_T1_T2_jT3_P12ihipStream_tbPNSt15iterator_traitsISE_E10value_typeEPNSK_ISF_E10value_typeEPSG_NS1_7vsmem_tEENKUlT_SE_SF_SG_E_clIS8_S8_S9_S9_EESD_ST_SE_SF_SG_EUlST_E_NS1_11comp_targetILNS1_3genE4ELNS1_11target_archE910ELNS1_3gpuE8ELNS1_3repE0EEENS1_48merge_mergepath_partition_config_static_selectorELNS0_4arch9wavefront6targetE0EEEvSF_,"axG",@progbits,_ZN7rocprim17ROCPRIM_400000_NS6detail17trampoline_kernelINS0_14default_configENS1_38merge_sort_block_merge_config_selectorIaNS0_10empty_typeEEEZZNS1_27merge_sort_block_merge_implIS3_PaPS5_jNS1_19radix_merge_compareILb1ELb0EaNS0_19identity_decomposerEEEEE10hipError_tT0_T1_T2_jT3_P12ihipStream_tbPNSt15iterator_traitsISE_E10value_typeEPNSK_ISF_E10value_typeEPSG_NS1_7vsmem_tEENKUlT_SE_SF_SG_E_clIS8_S8_S9_S9_EESD_ST_SE_SF_SG_EUlST_E_NS1_11comp_targetILNS1_3genE4ELNS1_11target_archE910ELNS1_3gpuE8ELNS1_3repE0EEENS1_48merge_mergepath_partition_config_static_selectorELNS0_4arch9wavefront6targetE0EEEvSF_,comdat
.Lfunc_end276:
	.size	_ZN7rocprim17ROCPRIM_400000_NS6detail17trampoline_kernelINS0_14default_configENS1_38merge_sort_block_merge_config_selectorIaNS0_10empty_typeEEEZZNS1_27merge_sort_block_merge_implIS3_PaPS5_jNS1_19radix_merge_compareILb1ELb0EaNS0_19identity_decomposerEEEEE10hipError_tT0_T1_T2_jT3_P12ihipStream_tbPNSt15iterator_traitsISE_E10value_typeEPNSK_ISF_E10value_typeEPSG_NS1_7vsmem_tEENKUlT_SE_SF_SG_E_clIS8_S8_S9_S9_EESD_ST_SE_SF_SG_EUlST_E_NS1_11comp_targetILNS1_3genE4ELNS1_11target_archE910ELNS1_3gpuE8ELNS1_3repE0EEENS1_48merge_mergepath_partition_config_static_selectorELNS0_4arch9wavefront6targetE0EEEvSF_, .Lfunc_end276-_ZN7rocprim17ROCPRIM_400000_NS6detail17trampoline_kernelINS0_14default_configENS1_38merge_sort_block_merge_config_selectorIaNS0_10empty_typeEEEZZNS1_27merge_sort_block_merge_implIS3_PaPS5_jNS1_19radix_merge_compareILb1ELb0EaNS0_19identity_decomposerEEEEE10hipError_tT0_T1_T2_jT3_P12ihipStream_tbPNSt15iterator_traitsISE_E10value_typeEPNSK_ISF_E10value_typeEPSG_NS1_7vsmem_tEENKUlT_SE_SF_SG_E_clIS8_S8_S9_S9_EESD_ST_SE_SF_SG_EUlST_E_NS1_11comp_targetILNS1_3genE4ELNS1_11target_archE910ELNS1_3gpuE8ELNS1_3repE0EEENS1_48merge_mergepath_partition_config_static_selectorELNS0_4arch9wavefront6targetE0EEEvSF_
                                        ; -- End function
	.set _ZN7rocprim17ROCPRIM_400000_NS6detail17trampoline_kernelINS0_14default_configENS1_38merge_sort_block_merge_config_selectorIaNS0_10empty_typeEEEZZNS1_27merge_sort_block_merge_implIS3_PaPS5_jNS1_19radix_merge_compareILb1ELb0EaNS0_19identity_decomposerEEEEE10hipError_tT0_T1_T2_jT3_P12ihipStream_tbPNSt15iterator_traitsISE_E10value_typeEPNSK_ISF_E10value_typeEPSG_NS1_7vsmem_tEENKUlT_SE_SF_SG_E_clIS8_S8_S9_S9_EESD_ST_SE_SF_SG_EUlST_E_NS1_11comp_targetILNS1_3genE4ELNS1_11target_archE910ELNS1_3gpuE8ELNS1_3repE0EEENS1_48merge_mergepath_partition_config_static_selectorELNS0_4arch9wavefront6targetE0EEEvSF_.num_vgpr, 0
	.set _ZN7rocprim17ROCPRIM_400000_NS6detail17trampoline_kernelINS0_14default_configENS1_38merge_sort_block_merge_config_selectorIaNS0_10empty_typeEEEZZNS1_27merge_sort_block_merge_implIS3_PaPS5_jNS1_19radix_merge_compareILb1ELb0EaNS0_19identity_decomposerEEEEE10hipError_tT0_T1_T2_jT3_P12ihipStream_tbPNSt15iterator_traitsISE_E10value_typeEPNSK_ISF_E10value_typeEPSG_NS1_7vsmem_tEENKUlT_SE_SF_SG_E_clIS8_S8_S9_S9_EESD_ST_SE_SF_SG_EUlST_E_NS1_11comp_targetILNS1_3genE4ELNS1_11target_archE910ELNS1_3gpuE8ELNS1_3repE0EEENS1_48merge_mergepath_partition_config_static_selectorELNS0_4arch9wavefront6targetE0EEEvSF_.num_agpr, 0
	.set _ZN7rocprim17ROCPRIM_400000_NS6detail17trampoline_kernelINS0_14default_configENS1_38merge_sort_block_merge_config_selectorIaNS0_10empty_typeEEEZZNS1_27merge_sort_block_merge_implIS3_PaPS5_jNS1_19radix_merge_compareILb1ELb0EaNS0_19identity_decomposerEEEEE10hipError_tT0_T1_T2_jT3_P12ihipStream_tbPNSt15iterator_traitsISE_E10value_typeEPNSK_ISF_E10value_typeEPSG_NS1_7vsmem_tEENKUlT_SE_SF_SG_E_clIS8_S8_S9_S9_EESD_ST_SE_SF_SG_EUlST_E_NS1_11comp_targetILNS1_3genE4ELNS1_11target_archE910ELNS1_3gpuE8ELNS1_3repE0EEENS1_48merge_mergepath_partition_config_static_selectorELNS0_4arch9wavefront6targetE0EEEvSF_.numbered_sgpr, 0
	.set _ZN7rocprim17ROCPRIM_400000_NS6detail17trampoline_kernelINS0_14default_configENS1_38merge_sort_block_merge_config_selectorIaNS0_10empty_typeEEEZZNS1_27merge_sort_block_merge_implIS3_PaPS5_jNS1_19radix_merge_compareILb1ELb0EaNS0_19identity_decomposerEEEEE10hipError_tT0_T1_T2_jT3_P12ihipStream_tbPNSt15iterator_traitsISE_E10value_typeEPNSK_ISF_E10value_typeEPSG_NS1_7vsmem_tEENKUlT_SE_SF_SG_E_clIS8_S8_S9_S9_EESD_ST_SE_SF_SG_EUlST_E_NS1_11comp_targetILNS1_3genE4ELNS1_11target_archE910ELNS1_3gpuE8ELNS1_3repE0EEENS1_48merge_mergepath_partition_config_static_selectorELNS0_4arch9wavefront6targetE0EEEvSF_.num_named_barrier, 0
	.set _ZN7rocprim17ROCPRIM_400000_NS6detail17trampoline_kernelINS0_14default_configENS1_38merge_sort_block_merge_config_selectorIaNS0_10empty_typeEEEZZNS1_27merge_sort_block_merge_implIS3_PaPS5_jNS1_19radix_merge_compareILb1ELb0EaNS0_19identity_decomposerEEEEE10hipError_tT0_T1_T2_jT3_P12ihipStream_tbPNSt15iterator_traitsISE_E10value_typeEPNSK_ISF_E10value_typeEPSG_NS1_7vsmem_tEENKUlT_SE_SF_SG_E_clIS8_S8_S9_S9_EESD_ST_SE_SF_SG_EUlST_E_NS1_11comp_targetILNS1_3genE4ELNS1_11target_archE910ELNS1_3gpuE8ELNS1_3repE0EEENS1_48merge_mergepath_partition_config_static_selectorELNS0_4arch9wavefront6targetE0EEEvSF_.private_seg_size, 0
	.set _ZN7rocprim17ROCPRIM_400000_NS6detail17trampoline_kernelINS0_14default_configENS1_38merge_sort_block_merge_config_selectorIaNS0_10empty_typeEEEZZNS1_27merge_sort_block_merge_implIS3_PaPS5_jNS1_19radix_merge_compareILb1ELb0EaNS0_19identity_decomposerEEEEE10hipError_tT0_T1_T2_jT3_P12ihipStream_tbPNSt15iterator_traitsISE_E10value_typeEPNSK_ISF_E10value_typeEPSG_NS1_7vsmem_tEENKUlT_SE_SF_SG_E_clIS8_S8_S9_S9_EESD_ST_SE_SF_SG_EUlST_E_NS1_11comp_targetILNS1_3genE4ELNS1_11target_archE910ELNS1_3gpuE8ELNS1_3repE0EEENS1_48merge_mergepath_partition_config_static_selectorELNS0_4arch9wavefront6targetE0EEEvSF_.uses_vcc, 0
	.set _ZN7rocprim17ROCPRIM_400000_NS6detail17trampoline_kernelINS0_14default_configENS1_38merge_sort_block_merge_config_selectorIaNS0_10empty_typeEEEZZNS1_27merge_sort_block_merge_implIS3_PaPS5_jNS1_19radix_merge_compareILb1ELb0EaNS0_19identity_decomposerEEEEE10hipError_tT0_T1_T2_jT3_P12ihipStream_tbPNSt15iterator_traitsISE_E10value_typeEPNSK_ISF_E10value_typeEPSG_NS1_7vsmem_tEENKUlT_SE_SF_SG_E_clIS8_S8_S9_S9_EESD_ST_SE_SF_SG_EUlST_E_NS1_11comp_targetILNS1_3genE4ELNS1_11target_archE910ELNS1_3gpuE8ELNS1_3repE0EEENS1_48merge_mergepath_partition_config_static_selectorELNS0_4arch9wavefront6targetE0EEEvSF_.uses_flat_scratch, 0
	.set _ZN7rocprim17ROCPRIM_400000_NS6detail17trampoline_kernelINS0_14default_configENS1_38merge_sort_block_merge_config_selectorIaNS0_10empty_typeEEEZZNS1_27merge_sort_block_merge_implIS3_PaPS5_jNS1_19radix_merge_compareILb1ELb0EaNS0_19identity_decomposerEEEEE10hipError_tT0_T1_T2_jT3_P12ihipStream_tbPNSt15iterator_traitsISE_E10value_typeEPNSK_ISF_E10value_typeEPSG_NS1_7vsmem_tEENKUlT_SE_SF_SG_E_clIS8_S8_S9_S9_EESD_ST_SE_SF_SG_EUlST_E_NS1_11comp_targetILNS1_3genE4ELNS1_11target_archE910ELNS1_3gpuE8ELNS1_3repE0EEENS1_48merge_mergepath_partition_config_static_selectorELNS0_4arch9wavefront6targetE0EEEvSF_.has_dyn_sized_stack, 0
	.set _ZN7rocprim17ROCPRIM_400000_NS6detail17trampoline_kernelINS0_14default_configENS1_38merge_sort_block_merge_config_selectorIaNS0_10empty_typeEEEZZNS1_27merge_sort_block_merge_implIS3_PaPS5_jNS1_19radix_merge_compareILb1ELb0EaNS0_19identity_decomposerEEEEE10hipError_tT0_T1_T2_jT3_P12ihipStream_tbPNSt15iterator_traitsISE_E10value_typeEPNSK_ISF_E10value_typeEPSG_NS1_7vsmem_tEENKUlT_SE_SF_SG_E_clIS8_S8_S9_S9_EESD_ST_SE_SF_SG_EUlST_E_NS1_11comp_targetILNS1_3genE4ELNS1_11target_archE910ELNS1_3gpuE8ELNS1_3repE0EEENS1_48merge_mergepath_partition_config_static_selectorELNS0_4arch9wavefront6targetE0EEEvSF_.has_recursion, 0
	.set _ZN7rocprim17ROCPRIM_400000_NS6detail17trampoline_kernelINS0_14default_configENS1_38merge_sort_block_merge_config_selectorIaNS0_10empty_typeEEEZZNS1_27merge_sort_block_merge_implIS3_PaPS5_jNS1_19radix_merge_compareILb1ELb0EaNS0_19identity_decomposerEEEEE10hipError_tT0_T1_T2_jT3_P12ihipStream_tbPNSt15iterator_traitsISE_E10value_typeEPNSK_ISF_E10value_typeEPSG_NS1_7vsmem_tEENKUlT_SE_SF_SG_E_clIS8_S8_S9_S9_EESD_ST_SE_SF_SG_EUlST_E_NS1_11comp_targetILNS1_3genE4ELNS1_11target_archE910ELNS1_3gpuE8ELNS1_3repE0EEENS1_48merge_mergepath_partition_config_static_selectorELNS0_4arch9wavefront6targetE0EEEvSF_.has_indirect_call, 0
	.section	.AMDGPU.csdata,"",@progbits
; Kernel info:
; codeLenInByte = 0
; TotalNumSgprs: 0
; NumVgprs: 0
; ScratchSize: 0
; MemoryBound: 0
; FloatMode: 240
; IeeeMode: 1
; LDSByteSize: 0 bytes/workgroup (compile time only)
; SGPRBlocks: 0
; VGPRBlocks: 0
; NumSGPRsForWavesPerEU: 1
; NumVGPRsForWavesPerEU: 1
; NamedBarCnt: 0
; Occupancy: 16
; WaveLimiterHint : 0
; COMPUTE_PGM_RSRC2:SCRATCH_EN: 0
; COMPUTE_PGM_RSRC2:USER_SGPR: 2
; COMPUTE_PGM_RSRC2:TRAP_HANDLER: 0
; COMPUTE_PGM_RSRC2:TGID_X_EN: 1
; COMPUTE_PGM_RSRC2:TGID_Y_EN: 0
; COMPUTE_PGM_RSRC2:TGID_Z_EN: 0
; COMPUTE_PGM_RSRC2:TIDIG_COMP_CNT: 0
	.section	.text._ZN7rocprim17ROCPRIM_400000_NS6detail17trampoline_kernelINS0_14default_configENS1_38merge_sort_block_merge_config_selectorIaNS0_10empty_typeEEEZZNS1_27merge_sort_block_merge_implIS3_PaPS5_jNS1_19radix_merge_compareILb1ELb0EaNS0_19identity_decomposerEEEEE10hipError_tT0_T1_T2_jT3_P12ihipStream_tbPNSt15iterator_traitsISE_E10value_typeEPNSK_ISF_E10value_typeEPSG_NS1_7vsmem_tEENKUlT_SE_SF_SG_E_clIS8_S8_S9_S9_EESD_ST_SE_SF_SG_EUlST_E_NS1_11comp_targetILNS1_3genE3ELNS1_11target_archE908ELNS1_3gpuE7ELNS1_3repE0EEENS1_48merge_mergepath_partition_config_static_selectorELNS0_4arch9wavefront6targetE0EEEvSF_,"axG",@progbits,_ZN7rocprim17ROCPRIM_400000_NS6detail17trampoline_kernelINS0_14default_configENS1_38merge_sort_block_merge_config_selectorIaNS0_10empty_typeEEEZZNS1_27merge_sort_block_merge_implIS3_PaPS5_jNS1_19radix_merge_compareILb1ELb0EaNS0_19identity_decomposerEEEEE10hipError_tT0_T1_T2_jT3_P12ihipStream_tbPNSt15iterator_traitsISE_E10value_typeEPNSK_ISF_E10value_typeEPSG_NS1_7vsmem_tEENKUlT_SE_SF_SG_E_clIS8_S8_S9_S9_EESD_ST_SE_SF_SG_EUlST_E_NS1_11comp_targetILNS1_3genE3ELNS1_11target_archE908ELNS1_3gpuE7ELNS1_3repE0EEENS1_48merge_mergepath_partition_config_static_selectorELNS0_4arch9wavefront6targetE0EEEvSF_,comdat
	.protected	_ZN7rocprim17ROCPRIM_400000_NS6detail17trampoline_kernelINS0_14default_configENS1_38merge_sort_block_merge_config_selectorIaNS0_10empty_typeEEEZZNS1_27merge_sort_block_merge_implIS3_PaPS5_jNS1_19radix_merge_compareILb1ELb0EaNS0_19identity_decomposerEEEEE10hipError_tT0_T1_T2_jT3_P12ihipStream_tbPNSt15iterator_traitsISE_E10value_typeEPNSK_ISF_E10value_typeEPSG_NS1_7vsmem_tEENKUlT_SE_SF_SG_E_clIS8_S8_S9_S9_EESD_ST_SE_SF_SG_EUlST_E_NS1_11comp_targetILNS1_3genE3ELNS1_11target_archE908ELNS1_3gpuE7ELNS1_3repE0EEENS1_48merge_mergepath_partition_config_static_selectorELNS0_4arch9wavefront6targetE0EEEvSF_ ; -- Begin function _ZN7rocprim17ROCPRIM_400000_NS6detail17trampoline_kernelINS0_14default_configENS1_38merge_sort_block_merge_config_selectorIaNS0_10empty_typeEEEZZNS1_27merge_sort_block_merge_implIS3_PaPS5_jNS1_19radix_merge_compareILb1ELb0EaNS0_19identity_decomposerEEEEE10hipError_tT0_T1_T2_jT3_P12ihipStream_tbPNSt15iterator_traitsISE_E10value_typeEPNSK_ISF_E10value_typeEPSG_NS1_7vsmem_tEENKUlT_SE_SF_SG_E_clIS8_S8_S9_S9_EESD_ST_SE_SF_SG_EUlST_E_NS1_11comp_targetILNS1_3genE3ELNS1_11target_archE908ELNS1_3gpuE7ELNS1_3repE0EEENS1_48merge_mergepath_partition_config_static_selectorELNS0_4arch9wavefront6targetE0EEEvSF_
	.globl	_ZN7rocprim17ROCPRIM_400000_NS6detail17trampoline_kernelINS0_14default_configENS1_38merge_sort_block_merge_config_selectorIaNS0_10empty_typeEEEZZNS1_27merge_sort_block_merge_implIS3_PaPS5_jNS1_19radix_merge_compareILb1ELb0EaNS0_19identity_decomposerEEEEE10hipError_tT0_T1_T2_jT3_P12ihipStream_tbPNSt15iterator_traitsISE_E10value_typeEPNSK_ISF_E10value_typeEPSG_NS1_7vsmem_tEENKUlT_SE_SF_SG_E_clIS8_S8_S9_S9_EESD_ST_SE_SF_SG_EUlST_E_NS1_11comp_targetILNS1_3genE3ELNS1_11target_archE908ELNS1_3gpuE7ELNS1_3repE0EEENS1_48merge_mergepath_partition_config_static_selectorELNS0_4arch9wavefront6targetE0EEEvSF_
	.p2align	8
	.type	_ZN7rocprim17ROCPRIM_400000_NS6detail17trampoline_kernelINS0_14default_configENS1_38merge_sort_block_merge_config_selectorIaNS0_10empty_typeEEEZZNS1_27merge_sort_block_merge_implIS3_PaPS5_jNS1_19radix_merge_compareILb1ELb0EaNS0_19identity_decomposerEEEEE10hipError_tT0_T1_T2_jT3_P12ihipStream_tbPNSt15iterator_traitsISE_E10value_typeEPNSK_ISF_E10value_typeEPSG_NS1_7vsmem_tEENKUlT_SE_SF_SG_E_clIS8_S8_S9_S9_EESD_ST_SE_SF_SG_EUlST_E_NS1_11comp_targetILNS1_3genE3ELNS1_11target_archE908ELNS1_3gpuE7ELNS1_3repE0EEENS1_48merge_mergepath_partition_config_static_selectorELNS0_4arch9wavefront6targetE0EEEvSF_,@function
_ZN7rocprim17ROCPRIM_400000_NS6detail17trampoline_kernelINS0_14default_configENS1_38merge_sort_block_merge_config_selectorIaNS0_10empty_typeEEEZZNS1_27merge_sort_block_merge_implIS3_PaPS5_jNS1_19radix_merge_compareILb1ELb0EaNS0_19identity_decomposerEEEEE10hipError_tT0_T1_T2_jT3_P12ihipStream_tbPNSt15iterator_traitsISE_E10value_typeEPNSK_ISF_E10value_typeEPSG_NS1_7vsmem_tEENKUlT_SE_SF_SG_E_clIS8_S8_S9_S9_EESD_ST_SE_SF_SG_EUlST_E_NS1_11comp_targetILNS1_3genE3ELNS1_11target_archE908ELNS1_3gpuE7ELNS1_3repE0EEENS1_48merge_mergepath_partition_config_static_selectorELNS0_4arch9wavefront6targetE0EEEvSF_: ; @_ZN7rocprim17ROCPRIM_400000_NS6detail17trampoline_kernelINS0_14default_configENS1_38merge_sort_block_merge_config_selectorIaNS0_10empty_typeEEEZZNS1_27merge_sort_block_merge_implIS3_PaPS5_jNS1_19radix_merge_compareILb1ELb0EaNS0_19identity_decomposerEEEEE10hipError_tT0_T1_T2_jT3_P12ihipStream_tbPNSt15iterator_traitsISE_E10value_typeEPNSK_ISF_E10value_typeEPSG_NS1_7vsmem_tEENKUlT_SE_SF_SG_E_clIS8_S8_S9_S9_EESD_ST_SE_SF_SG_EUlST_E_NS1_11comp_targetILNS1_3genE3ELNS1_11target_archE908ELNS1_3gpuE7ELNS1_3repE0EEENS1_48merge_mergepath_partition_config_static_selectorELNS0_4arch9wavefront6targetE0EEEvSF_
; %bb.0:
	.section	.rodata,"a",@progbits
	.p2align	6, 0x0
	.amdhsa_kernel _ZN7rocprim17ROCPRIM_400000_NS6detail17trampoline_kernelINS0_14default_configENS1_38merge_sort_block_merge_config_selectorIaNS0_10empty_typeEEEZZNS1_27merge_sort_block_merge_implIS3_PaPS5_jNS1_19radix_merge_compareILb1ELb0EaNS0_19identity_decomposerEEEEE10hipError_tT0_T1_T2_jT3_P12ihipStream_tbPNSt15iterator_traitsISE_E10value_typeEPNSK_ISF_E10value_typeEPSG_NS1_7vsmem_tEENKUlT_SE_SF_SG_E_clIS8_S8_S9_S9_EESD_ST_SE_SF_SG_EUlST_E_NS1_11comp_targetILNS1_3genE3ELNS1_11target_archE908ELNS1_3gpuE7ELNS1_3repE0EEENS1_48merge_mergepath_partition_config_static_selectorELNS0_4arch9wavefront6targetE0EEEvSF_
		.amdhsa_group_segment_fixed_size 0
		.amdhsa_private_segment_fixed_size 0
		.amdhsa_kernarg_size 40
		.amdhsa_user_sgpr_count 2
		.amdhsa_user_sgpr_dispatch_ptr 0
		.amdhsa_user_sgpr_queue_ptr 0
		.amdhsa_user_sgpr_kernarg_segment_ptr 1
		.amdhsa_user_sgpr_dispatch_id 0
		.amdhsa_user_sgpr_kernarg_preload_length 0
		.amdhsa_user_sgpr_kernarg_preload_offset 0
		.amdhsa_user_sgpr_private_segment_size 0
		.amdhsa_wavefront_size32 1
		.amdhsa_uses_dynamic_stack 0
		.amdhsa_enable_private_segment 0
		.amdhsa_system_sgpr_workgroup_id_x 1
		.amdhsa_system_sgpr_workgroup_id_y 0
		.amdhsa_system_sgpr_workgroup_id_z 0
		.amdhsa_system_sgpr_workgroup_info 0
		.amdhsa_system_vgpr_workitem_id 0
		.amdhsa_next_free_vgpr 1
		.amdhsa_next_free_sgpr 1
		.amdhsa_named_barrier_count 0
		.amdhsa_reserve_vcc 0
		.amdhsa_float_round_mode_32 0
		.amdhsa_float_round_mode_16_64 0
		.amdhsa_float_denorm_mode_32 3
		.amdhsa_float_denorm_mode_16_64 3
		.amdhsa_fp16_overflow 0
		.amdhsa_memory_ordered 1
		.amdhsa_forward_progress 1
		.amdhsa_inst_pref_size 0
		.amdhsa_round_robin_scheduling 0
		.amdhsa_exception_fp_ieee_invalid_op 0
		.amdhsa_exception_fp_denorm_src 0
		.amdhsa_exception_fp_ieee_div_zero 0
		.amdhsa_exception_fp_ieee_overflow 0
		.amdhsa_exception_fp_ieee_underflow 0
		.amdhsa_exception_fp_ieee_inexact 0
		.amdhsa_exception_int_div_zero 0
	.end_amdhsa_kernel
	.section	.text._ZN7rocprim17ROCPRIM_400000_NS6detail17trampoline_kernelINS0_14default_configENS1_38merge_sort_block_merge_config_selectorIaNS0_10empty_typeEEEZZNS1_27merge_sort_block_merge_implIS3_PaPS5_jNS1_19radix_merge_compareILb1ELb0EaNS0_19identity_decomposerEEEEE10hipError_tT0_T1_T2_jT3_P12ihipStream_tbPNSt15iterator_traitsISE_E10value_typeEPNSK_ISF_E10value_typeEPSG_NS1_7vsmem_tEENKUlT_SE_SF_SG_E_clIS8_S8_S9_S9_EESD_ST_SE_SF_SG_EUlST_E_NS1_11comp_targetILNS1_3genE3ELNS1_11target_archE908ELNS1_3gpuE7ELNS1_3repE0EEENS1_48merge_mergepath_partition_config_static_selectorELNS0_4arch9wavefront6targetE0EEEvSF_,"axG",@progbits,_ZN7rocprim17ROCPRIM_400000_NS6detail17trampoline_kernelINS0_14default_configENS1_38merge_sort_block_merge_config_selectorIaNS0_10empty_typeEEEZZNS1_27merge_sort_block_merge_implIS3_PaPS5_jNS1_19radix_merge_compareILb1ELb0EaNS0_19identity_decomposerEEEEE10hipError_tT0_T1_T2_jT3_P12ihipStream_tbPNSt15iterator_traitsISE_E10value_typeEPNSK_ISF_E10value_typeEPSG_NS1_7vsmem_tEENKUlT_SE_SF_SG_E_clIS8_S8_S9_S9_EESD_ST_SE_SF_SG_EUlST_E_NS1_11comp_targetILNS1_3genE3ELNS1_11target_archE908ELNS1_3gpuE7ELNS1_3repE0EEENS1_48merge_mergepath_partition_config_static_selectorELNS0_4arch9wavefront6targetE0EEEvSF_,comdat
.Lfunc_end277:
	.size	_ZN7rocprim17ROCPRIM_400000_NS6detail17trampoline_kernelINS0_14default_configENS1_38merge_sort_block_merge_config_selectorIaNS0_10empty_typeEEEZZNS1_27merge_sort_block_merge_implIS3_PaPS5_jNS1_19radix_merge_compareILb1ELb0EaNS0_19identity_decomposerEEEEE10hipError_tT0_T1_T2_jT3_P12ihipStream_tbPNSt15iterator_traitsISE_E10value_typeEPNSK_ISF_E10value_typeEPSG_NS1_7vsmem_tEENKUlT_SE_SF_SG_E_clIS8_S8_S9_S9_EESD_ST_SE_SF_SG_EUlST_E_NS1_11comp_targetILNS1_3genE3ELNS1_11target_archE908ELNS1_3gpuE7ELNS1_3repE0EEENS1_48merge_mergepath_partition_config_static_selectorELNS0_4arch9wavefront6targetE0EEEvSF_, .Lfunc_end277-_ZN7rocprim17ROCPRIM_400000_NS6detail17trampoline_kernelINS0_14default_configENS1_38merge_sort_block_merge_config_selectorIaNS0_10empty_typeEEEZZNS1_27merge_sort_block_merge_implIS3_PaPS5_jNS1_19radix_merge_compareILb1ELb0EaNS0_19identity_decomposerEEEEE10hipError_tT0_T1_T2_jT3_P12ihipStream_tbPNSt15iterator_traitsISE_E10value_typeEPNSK_ISF_E10value_typeEPSG_NS1_7vsmem_tEENKUlT_SE_SF_SG_E_clIS8_S8_S9_S9_EESD_ST_SE_SF_SG_EUlST_E_NS1_11comp_targetILNS1_3genE3ELNS1_11target_archE908ELNS1_3gpuE7ELNS1_3repE0EEENS1_48merge_mergepath_partition_config_static_selectorELNS0_4arch9wavefront6targetE0EEEvSF_
                                        ; -- End function
	.set _ZN7rocprim17ROCPRIM_400000_NS6detail17trampoline_kernelINS0_14default_configENS1_38merge_sort_block_merge_config_selectorIaNS0_10empty_typeEEEZZNS1_27merge_sort_block_merge_implIS3_PaPS5_jNS1_19radix_merge_compareILb1ELb0EaNS0_19identity_decomposerEEEEE10hipError_tT0_T1_T2_jT3_P12ihipStream_tbPNSt15iterator_traitsISE_E10value_typeEPNSK_ISF_E10value_typeEPSG_NS1_7vsmem_tEENKUlT_SE_SF_SG_E_clIS8_S8_S9_S9_EESD_ST_SE_SF_SG_EUlST_E_NS1_11comp_targetILNS1_3genE3ELNS1_11target_archE908ELNS1_3gpuE7ELNS1_3repE0EEENS1_48merge_mergepath_partition_config_static_selectorELNS0_4arch9wavefront6targetE0EEEvSF_.num_vgpr, 0
	.set _ZN7rocprim17ROCPRIM_400000_NS6detail17trampoline_kernelINS0_14default_configENS1_38merge_sort_block_merge_config_selectorIaNS0_10empty_typeEEEZZNS1_27merge_sort_block_merge_implIS3_PaPS5_jNS1_19radix_merge_compareILb1ELb0EaNS0_19identity_decomposerEEEEE10hipError_tT0_T1_T2_jT3_P12ihipStream_tbPNSt15iterator_traitsISE_E10value_typeEPNSK_ISF_E10value_typeEPSG_NS1_7vsmem_tEENKUlT_SE_SF_SG_E_clIS8_S8_S9_S9_EESD_ST_SE_SF_SG_EUlST_E_NS1_11comp_targetILNS1_3genE3ELNS1_11target_archE908ELNS1_3gpuE7ELNS1_3repE0EEENS1_48merge_mergepath_partition_config_static_selectorELNS0_4arch9wavefront6targetE0EEEvSF_.num_agpr, 0
	.set _ZN7rocprim17ROCPRIM_400000_NS6detail17trampoline_kernelINS0_14default_configENS1_38merge_sort_block_merge_config_selectorIaNS0_10empty_typeEEEZZNS1_27merge_sort_block_merge_implIS3_PaPS5_jNS1_19radix_merge_compareILb1ELb0EaNS0_19identity_decomposerEEEEE10hipError_tT0_T1_T2_jT3_P12ihipStream_tbPNSt15iterator_traitsISE_E10value_typeEPNSK_ISF_E10value_typeEPSG_NS1_7vsmem_tEENKUlT_SE_SF_SG_E_clIS8_S8_S9_S9_EESD_ST_SE_SF_SG_EUlST_E_NS1_11comp_targetILNS1_3genE3ELNS1_11target_archE908ELNS1_3gpuE7ELNS1_3repE0EEENS1_48merge_mergepath_partition_config_static_selectorELNS0_4arch9wavefront6targetE0EEEvSF_.numbered_sgpr, 0
	.set _ZN7rocprim17ROCPRIM_400000_NS6detail17trampoline_kernelINS0_14default_configENS1_38merge_sort_block_merge_config_selectorIaNS0_10empty_typeEEEZZNS1_27merge_sort_block_merge_implIS3_PaPS5_jNS1_19radix_merge_compareILb1ELb0EaNS0_19identity_decomposerEEEEE10hipError_tT0_T1_T2_jT3_P12ihipStream_tbPNSt15iterator_traitsISE_E10value_typeEPNSK_ISF_E10value_typeEPSG_NS1_7vsmem_tEENKUlT_SE_SF_SG_E_clIS8_S8_S9_S9_EESD_ST_SE_SF_SG_EUlST_E_NS1_11comp_targetILNS1_3genE3ELNS1_11target_archE908ELNS1_3gpuE7ELNS1_3repE0EEENS1_48merge_mergepath_partition_config_static_selectorELNS0_4arch9wavefront6targetE0EEEvSF_.num_named_barrier, 0
	.set _ZN7rocprim17ROCPRIM_400000_NS6detail17trampoline_kernelINS0_14default_configENS1_38merge_sort_block_merge_config_selectorIaNS0_10empty_typeEEEZZNS1_27merge_sort_block_merge_implIS3_PaPS5_jNS1_19radix_merge_compareILb1ELb0EaNS0_19identity_decomposerEEEEE10hipError_tT0_T1_T2_jT3_P12ihipStream_tbPNSt15iterator_traitsISE_E10value_typeEPNSK_ISF_E10value_typeEPSG_NS1_7vsmem_tEENKUlT_SE_SF_SG_E_clIS8_S8_S9_S9_EESD_ST_SE_SF_SG_EUlST_E_NS1_11comp_targetILNS1_3genE3ELNS1_11target_archE908ELNS1_3gpuE7ELNS1_3repE0EEENS1_48merge_mergepath_partition_config_static_selectorELNS0_4arch9wavefront6targetE0EEEvSF_.private_seg_size, 0
	.set _ZN7rocprim17ROCPRIM_400000_NS6detail17trampoline_kernelINS0_14default_configENS1_38merge_sort_block_merge_config_selectorIaNS0_10empty_typeEEEZZNS1_27merge_sort_block_merge_implIS3_PaPS5_jNS1_19radix_merge_compareILb1ELb0EaNS0_19identity_decomposerEEEEE10hipError_tT0_T1_T2_jT3_P12ihipStream_tbPNSt15iterator_traitsISE_E10value_typeEPNSK_ISF_E10value_typeEPSG_NS1_7vsmem_tEENKUlT_SE_SF_SG_E_clIS8_S8_S9_S9_EESD_ST_SE_SF_SG_EUlST_E_NS1_11comp_targetILNS1_3genE3ELNS1_11target_archE908ELNS1_3gpuE7ELNS1_3repE0EEENS1_48merge_mergepath_partition_config_static_selectorELNS0_4arch9wavefront6targetE0EEEvSF_.uses_vcc, 0
	.set _ZN7rocprim17ROCPRIM_400000_NS6detail17trampoline_kernelINS0_14default_configENS1_38merge_sort_block_merge_config_selectorIaNS0_10empty_typeEEEZZNS1_27merge_sort_block_merge_implIS3_PaPS5_jNS1_19radix_merge_compareILb1ELb0EaNS0_19identity_decomposerEEEEE10hipError_tT0_T1_T2_jT3_P12ihipStream_tbPNSt15iterator_traitsISE_E10value_typeEPNSK_ISF_E10value_typeEPSG_NS1_7vsmem_tEENKUlT_SE_SF_SG_E_clIS8_S8_S9_S9_EESD_ST_SE_SF_SG_EUlST_E_NS1_11comp_targetILNS1_3genE3ELNS1_11target_archE908ELNS1_3gpuE7ELNS1_3repE0EEENS1_48merge_mergepath_partition_config_static_selectorELNS0_4arch9wavefront6targetE0EEEvSF_.uses_flat_scratch, 0
	.set _ZN7rocprim17ROCPRIM_400000_NS6detail17trampoline_kernelINS0_14default_configENS1_38merge_sort_block_merge_config_selectorIaNS0_10empty_typeEEEZZNS1_27merge_sort_block_merge_implIS3_PaPS5_jNS1_19radix_merge_compareILb1ELb0EaNS0_19identity_decomposerEEEEE10hipError_tT0_T1_T2_jT3_P12ihipStream_tbPNSt15iterator_traitsISE_E10value_typeEPNSK_ISF_E10value_typeEPSG_NS1_7vsmem_tEENKUlT_SE_SF_SG_E_clIS8_S8_S9_S9_EESD_ST_SE_SF_SG_EUlST_E_NS1_11comp_targetILNS1_3genE3ELNS1_11target_archE908ELNS1_3gpuE7ELNS1_3repE0EEENS1_48merge_mergepath_partition_config_static_selectorELNS0_4arch9wavefront6targetE0EEEvSF_.has_dyn_sized_stack, 0
	.set _ZN7rocprim17ROCPRIM_400000_NS6detail17trampoline_kernelINS0_14default_configENS1_38merge_sort_block_merge_config_selectorIaNS0_10empty_typeEEEZZNS1_27merge_sort_block_merge_implIS3_PaPS5_jNS1_19radix_merge_compareILb1ELb0EaNS0_19identity_decomposerEEEEE10hipError_tT0_T1_T2_jT3_P12ihipStream_tbPNSt15iterator_traitsISE_E10value_typeEPNSK_ISF_E10value_typeEPSG_NS1_7vsmem_tEENKUlT_SE_SF_SG_E_clIS8_S8_S9_S9_EESD_ST_SE_SF_SG_EUlST_E_NS1_11comp_targetILNS1_3genE3ELNS1_11target_archE908ELNS1_3gpuE7ELNS1_3repE0EEENS1_48merge_mergepath_partition_config_static_selectorELNS0_4arch9wavefront6targetE0EEEvSF_.has_recursion, 0
	.set _ZN7rocprim17ROCPRIM_400000_NS6detail17trampoline_kernelINS0_14default_configENS1_38merge_sort_block_merge_config_selectorIaNS0_10empty_typeEEEZZNS1_27merge_sort_block_merge_implIS3_PaPS5_jNS1_19radix_merge_compareILb1ELb0EaNS0_19identity_decomposerEEEEE10hipError_tT0_T1_T2_jT3_P12ihipStream_tbPNSt15iterator_traitsISE_E10value_typeEPNSK_ISF_E10value_typeEPSG_NS1_7vsmem_tEENKUlT_SE_SF_SG_E_clIS8_S8_S9_S9_EESD_ST_SE_SF_SG_EUlST_E_NS1_11comp_targetILNS1_3genE3ELNS1_11target_archE908ELNS1_3gpuE7ELNS1_3repE0EEENS1_48merge_mergepath_partition_config_static_selectorELNS0_4arch9wavefront6targetE0EEEvSF_.has_indirect_call, 0
	.section	.AMDGPU.csdata,"",@progbits
; Kernel info:
; codeLenInByte = 0
; TotalNumSgprs: 0
; NumVgprs: 0
; ScratchSize: 0
; MemoryBound: 0
; FloatMode: 240
; IeeeMode: 1
; LDSByteSize: 0 bytes/workgroup (compile time only)
; SGPRBlocks: 0
; VGPRBlocks: 0
; NumSGPRsForWavesPerEU: 1
; NumVGPRsForWavesPerEU: 1
; NamedBarCnt: 0
; Occupancy: 16
; WaveLimiterHint : 0
; COMPUTE_PGM_RSRC2:SCRATCH_EN: 0
; COMPUTE_PGM_RSRC2:USER_SGPR: 2
; COMPUTE_PGM_RSRC2:TRAP_HANDLER: 0
; COMPUTE_PGM_RSRC2:TGID_X_EN: 1
; COMPUTE_PGM_RSRC2:TGID_Y_EN: 0
; COMPUTE_PGM_RSRC2:TGID_Z_EN: 0
; COMPUTE_PGM_RSRC2:TIDIG_COMP_CNT: 0
	.section	.text._ZN7rocprim17ROCPRIM_400000_NS6detail17trampoline_kernelINS0_14default_configENS1_38merge_sort_block_merge_config_selectorIaNS0_10empty_typeEEEZZNS1_27merge_sort_block_merge_implIS3_PaPS5_jNS1_19radix_merge_compareILb1ELb0EaNS0_19identity_decomposerEEEEE10hipError_tT0_T1_T2_jT3_P12ihipStream_tbPNSt15iterator_traitsISE_E10value_typeEPNSK_ISF_E10value_typeEPSG_NS1_7vsmem_tEENKUlT_SE_SF_SG_E_clIS8_S8_S9_S9_EESD_ST_SE_SF_SG_EUlST_E_NS1_11comp_targetILNS1_3genE2ELNS1_11target_archE906ELNS1_3gpuE6ELNS1_3repE0EEENS1_48merge_mergepath_partition_config_static_selectorELNS0_4arch9wavefront6targetE0EEEvSF_,"axG",@progbits,_ZN7rocprim17ROCPRIM_400000_NS6detail17trampoline_kernelINS0_14default_configENS1_38merge_sort_block_merge_config_selectorIaNS0_10empty_typeEEEZZNS1_27merge_sort_block_merge_implIS3_PaPS5_jNS1_19radix_merge_compareILb1ELb0EaNS0_19identity_decomposerEEEEE10hipError_tT0_T1_T2_jT3_P12ihipStream_tbPNSt15iterator_traitsISE_E10value_typeEPNSK_ISF_E10value_typeEPSG_NS1_7vsmem_tEENKUlT_SE_SF_SG_E_clIS8_S8_S9_S9_EESD_ST_SE_SF_SG_EUlST_E_NS1_11comp_targetILNS1_3genE2ELNS1_11target_archE906ELNS1_3gpuE6ELNS1_3repE0EEENS1_48merge_mergepath_partition_config_static_selectorELNS0_4arch9wavefront6targetE0EEEvSF_,comdat
	.protected	_ZN7rocprim17ROCPRIM_400000_NS6detail17trampoline_kernelINS0_14default_configENS1_38merge_sort_block_merge_config_selectorIaNS0_10empty_typeEEEZZNS1_27merge_sort_block_merge_implIS3_PaPS5_jNS1_19radix_merge_compareILb1ELb0EaNS0_19identity_decomposerEEEEE10hipError_tT0_T1_T2_jT3_P12ihipStream_tbPNSt15iterator_traitsISE_E10value_typeEPNSK_ISF_E10value_typeEPSG_NS1_7vsmem_tEENKUlT_SE_SF_SG_E_clIS8_S8_S9_S9_EESD_ST_SE_SF_SG_EUlST_E_NS1_11comp_targetILNS1_3genE2ELNS1_11target_archE906ELNS1_3gpuE6ELNS1_3repE0EEENS1_48merge_mergepath_partition_config_static_selectorELNS0_4arch9wavefront6targetE0EEEvSF_ ; -- Begin function _ZN7rocprim17ROCPRIM_400000_NS6detail17trampoline_kernelINS0_14default_configENS1_38merge_sort_block_merge_config_selectorIaNS0_10empty_typeEEEZZNS1_27merge_sort_block_merge_implIS3_PaPS5_jNS1_19radix_merge_compareILb1ELb0EaNS0_19identity_decomposerEEEEE10hipError_tT0_T1_T2_jT3_P12ihipStream_tbPNSt15iterator_traitsISE_E10value_typeEPNSK_ISF_E10value_typeEPSG_NS1_7vsmem_tEENKUlT_SE_SF_SG_E_clIS8_S8_S9_S9_EESD_ST_SE_SF_SG_EUlST_E_NS1_11comp_targetILNS1_3genE2ELNS1_11target_archE906ELNS1_3gpuE6ELNS1_3repE0EEENS1_48merge_mergepath_partition_config_static_selectorELNS0_4arch9wavefront6targetE0EEEvSF_
	.globl	_ZN7rocprim17ROCPRIM_400000_NS6detail17trampoline_kernelINS0_14default_configENS1_38merge_sort_block_merge_config_selectorIaNS0_10empty_typeEEEZZNS1_27merge_sort_block_merge_implIS3_PaPS5_jNS1_19radix_merge_compareILb1ELb0EaNS0_19identity_decomposerEEEEE10hipError_tT0_T1_T2_jT3_P12ihipStream_tbPNSt15iterator_traitsISE_E10value_typeEPNSK_ISF_E10value_typeEPSG_NS1_7vsmem_tEENKUlT_SE_SF_SG_E_clIS8_S8_S9_S9_EESD_ST_SE_SF_SG_EUlST_E_NS1_11comp_targetILNS1_3genE2ELNS1_11target_archE906ELNS1_3gpuE6ELNS1_3repE0EEENS1_48merge_mergepath_partition_config_static_selectorELNS0_4arch9wavefront6targetE0EEEvSF_
	.p2align	8
	.type	_ZN7rocprim17ROCPRIM_400000_NS6detail17trampoline_kernelINS0_14default_configENS1_38merge_sort_block_merge_config_selectorIaNS0_10empty_typeEEEZZNS1_27merge_sort_block_merge_implIS3_PaPS5_jNS1_19radix_merge_compareILb1ELb0EaNS0_19identity_decomposerEEEEE10hipError_tT0_T1_T2_jT3_P12ihipStream_tbPNSt15iterator_traitsISE_E10value_typeEPNSK_ISF_E10value_typeEPSG_NS1_7vsmem_tEENKUlT_SE_SF_SG_E_clIS8_S8_S9_S9_EESD_ST_SE_SF_SG_EUlST_E_NS1_11comp_targetILNS1_3genE2ELNS1_11target_archE906ELNS1_3gpuE6ELNS1_3repE0EEENS1_48merge_mergepath_partition_config_static_selectorELNS0_4arch9wavefront6targetE0EEEvSF_,@function
_ZN7rocprim17ROCPRIM_400000_NS6detail17trampoline_kernelINS0_14default_configENS1_38merge_sort_block_merge_config_selectorIaNS0_10empty_typeEEEZZNS1_27merge_sort_block_merge_implIS3_PaPS5_jNS1_19radix_merge_compareILb1ELb0EaNS0_19identity_decomposerEEEEE10hipError_tT0_T1_T2_jT3_P12ihipStream_tbPNSt15iterator_traitsISE_E10value_typeEPNSK_ISF_E10value_typeEPSG_NS1_7vsmem_tEENKUlT_SE_SF_SG_E_clIS8_S8_S9_S9_EESD_ST_SE_SF_SG_EUlST_E_NS1_11comp_targetILNS1_3genE2ELNS1_11target_archE906ELNS1_3gpuE6ELNS1_3repE0EEENS1_48merge_mergepath_partition_config_static_selectorELNS0_4arch9wavefront6targetE0EEEvSF_: ; @_ZN7rocprim17ROCPRIM_400000_NS6detail17trampoline_kernelINS0_14default_configENS1_38merge_sort_block_merge_config_selectorIaNS0_10empty_typeEEEZZNS1_27merge_sort_block_merge_implIS3_PaPS5_jNS1_19radix_merge_compareILb1ELb0EaNS0_19identity_decomposerEEEEE10hipError_tT0_T1_T2_jT3_P12ihipStream_tbPNSt15iterator_traitsISE_E10value_typeEPNSK_ISF_E10value_typeEPSG_NS1_7vsmem_tEENKUlT_SE_SF_SG_E_clIS8_S8_S9_S9_EESD_ST_SE_SF_SG_EUlST_E_NS1_11comp_targetILNS1_3genE2ELNS1_11target_archE906ELNS1_3gpuE6ELNS1_3repE0EEENS1_48merge_mergepath_partition_config_static_selectorELNS0_4arch9wavefront6targetE0EEEvSF_
; %bb.0:
	.section	.rodata,"a",@progbits
	.p2align	6, 0x0
	.amdhsa_kernel _ZN7rocprim17ROCPRIM_400000_NS6detail17trampoline_kernelINS0_14default_configENS1_38merge_sort_block_merge_config_selectorIaNS0_10empty_typeEEEZZNS1_27merge_sort_block_merge_implIS3_PaPS5_jNS1_19radix_merge_compareILb1ELb0EaNS0_19identity_decomposerEEEEE10hipError_tT0_T1_T2_jT3_P12ihipStream_tbPNSt15iterator_traitsISE_E10value_typeEPNSK_ISF_E10value_typeEPSG_NS1_7vsmem_tEENKUlT_SE_SF_SG_E_clIS8_S8_S9_S9_EESD_ST_SE_SF_SG_EUlST_E_NS1_11comp_targetILNS1_3genE2ELNS1_11target_archE906ELNS1_3gpuE6ELNS1_3repE0EEENS1_48merge_mergepath_partition_config_static_selectorELNS0_4arch9wavefront6targetE0EEEvSF_
		.amdhsa_group_segment_fixed_size 0
		.amdhsa_private_segment_fixed_size 0
		.amdhsa_kernarg_size 40
		.amdhsa_user_sgpr_count 2
		.amdhsa_user_sgpr_dispatch_ptr 0
		.amdhsa_user_sgpr_queue_ptr 0
		.amdhsa_user_sgpr_kernarg_segment_ptr 1
		.amdhsa_user_sgpr_dispatch_id 0
		.amdhsa_user_sgpr_kernarg_preload_length 0
		.amdhsa_user_sgpr_kernarg_preload_offset 0
		.amdhsa_user_sgpr_private_segment_size 0
		.amdhsa_wavefront_size32 1
		.amdhsa_uses_dynamic_stack 0
		.amdhsa_enable_private_segment 0
		.amdhsa_system_sgpr_workgroup_id_x 1
		.amdhsa_system_sgpr_workgroup_id_y 0
		.amdhsa_system_sgpr_workgroup_id_z 0
		.amdhsa_system_sgpr_workgroup_info 0
		.amdhsa_system_vgpr_workitem_id 0
		.amdhsa_next_free_vgpr 1
		.amdhsa_next_free_sgpr 1
		.amdhsa_named_barrier_count 0
		.amdhsa_reserve_vcc 0
		.amdhsa_float_round_mode_32 0
		.amdhsa_float_round_mode_16_64 0
		.amdhsa_float_denorm_mode_32 3
		.amdhsa_float_denorm_mode_16_64 3
		.amdhsa_fp16_overflow 0
		.amdhsa_memory_ordered 1
		.amdhsa_forward_progress 1
		.amdhsa_inst_pref_size 0
		.amdhsa_round_robin_scheduling 0
		.amdhsa_exception_fp_ieee_invalid_op 0
		.amdhsa_exception_fp_denorm_src 0
		.amdhsa_exception_fp_ieee_div_zero 0
		.amdhsa_exception_fp_ieee_overflow 0
		.amdhsa_exception_fp_ieee_underflow 0
		.amdhsa_exception_fp_ieee_inexact 0
		.amdhsa_exception_int_div_zero 0
	.end_amdhsa_kernel
	.section	.text._ZN7rocprim17ROCPRIM_400000_NS6detail17trampoline_kernelINS0_14default_configENS1_38merge_sort_block_merge_config_selectorIaNS0_10empty_typeEEEZZNS1_27merge_sort_block_merge_implIS3_PaPS5_jNS1_19radix_merge_compareILb1ELb0EaNS0_19identity_decomposerEEEEE10hipError_tT0_T1_T2_jT3_P12ihipStream_tbPNSt15iterator_traitsISE_E10value_typeEPNSK_ISF_E10value_typeEPSG_NS1_7vsmem_tEENKUlT_SE_SF_SG_E_clIS8_S8_S9_S9_EESD_ST_SE_SF_SG_EUlST_E_NS1_11comp_targetILNS1_3genE2ELNS1_11target_archE906ELNS1_3gpuE6ELNS1_3repE0EEENS1_48merge_mergepath_partition_config_static_selectorELNS0_4arch9wavefront6targetE0EEEvSF_,"axG",@progbits,_ZN7rocprim17ROCPRIM_400000_NS6detail17trampoline_kernelINS0_14default_configENS1_38merge_sort_block_merge_config_selectorIaNS0_10empty_typeEEEZZNS1_27merge_sort_block_merge_implIS3_PaPS5_jNS1_19radix_merge_compareILb1ELb0EaNS0_19identity_decomposerEEEEE10hipError_tT0_T1_T2_jT3_P12ihipStream_tbPNSt15iterator_traitsISE_E10value_typeEPNSK_ISF_E10value_typeEPSG_NS1_7vsmem_tEENKUlT_SE_SF_SG_E_clIS8_S8_S9_S9_EESD_ST_SE_SF_SG_EUlST_E_NS1_11comp_targetILNS1_3genE2ELNS1_11target_archE906ELNS1_3gpuE6ELNS1_3repE0EEENS1_48merge_mergepath_partition_config_static_selectorELNS0_4arch9wavefront6targetE0EEEvSF_,comdat
.Lfunc_end278:
	.size	_ZN7rocprim17ROCPRIM_400000_NS6detail17trampoline_kernelINS0_14default_configENS1_38merge_sort_block_merge_config_selectorIaNS0_10empty_typeEEEZZNS1_27merge_sort_block_merge_implIS3_PaPS5_jNS1_19radix_merge_compareILb1ELb0EaNS0_19identity_decomposerEEEEE10hipError_tT0_T1_T2_jT3_P12ihipStream_tbPNSt15iterator_traitsISE_E10value_typeEPNSK_ISF_E10value_typeEPSG_NS1_7vsmem_tEENKUlT_SE_SF_SG_E_clIS8_S8_S9_S9_EESD_ST_SE_SF_SG_EUlST_E_NS1_11comp_targetILNS1_3genE2ELNS1_11target_archE906ELNS1_3gpuE6ELNS1_3repE0EEENS1_48merge_mergepath_partition_config_static_selectorELNS0_4arch9wavefront6targetE0EEEvSF_, .Lfunc_end278-_ZN7rocprim17ROCPRIM_400000_NS6detail17trampoline_kernelINS0_14default_configENS1_38merge_sort_block_merge_config_selectorIaNS0_10empty_typeEEEZZNS1_27merge_sort_block_merge_implIS3_PaPS5_jNS1_19radix_merge_compareILb1ELb0EaNS0_19identity_decomposerEEEEE10hipError_tT0_T1_T2_jT3_P12ihipStream_tbPNSt15iterator_traitsISE_E10value_typeEPNSK_ISF_E10value_typeEPSG_NS1_7vsmem_tEENKUlT_SE_SF_SG_E_clIS8_S8_S9_S9_EESD_ST_SE_SF_SG_EUlST_E_NS1_11comp_targetILNS1_3genE2ELNS1_11target_archE906ELNS1_3gpuE6ELNS1_3repE0EEENS1_48merge_mergepath_partition_config_static_selectorELNS0_4arch9wavefront6targetE0EEEvSF_
                                        ; -- End function
	.set _ZN7rocprim17ROCPRIM_400000_NS6detail17trampoline_kernelINS0_14default_configENS1_38merge_sort_block_merge_config_selectorIaNS0_10empty_typeEEEZZNS1_27merge_sort_block_merge_implIS3_PaPS5_jNS1_19radix_merge_compareILb1ELb0EaNS0_19identity_decomposerEEEEE10hipError_tT0_T1_T2_jT3_P12ihipStream_tbPNSt15iterator_traitsISE_E10value_typeEPNSK_ISF_E10value_typeEPSG_NS1_7vsmem_tEENKUlT_SE_SF_SG_E_clIS8_S8_S9_S9_EESD_ST_SE_SF_SG_EUlST_E_NS1_11comp_targetILNS1_3genE2ELNS1_11target_archE906ELNS1_3gpuE6ELNS1_3repE0EEENS1_48merge_mergepath_partition_config_static_selectorELNS0_4arch9wavefront6targetE0EEEvSF_.num_vgpr, 0
	.set _ZN7rocprim17ROCPRIM_400000_NS6detail17trampoline_kernelINS0_14default_configENS1_38merge_sort_block_merge_config_selectorIaNS0_10empty_typeEEEZZNS1_27merge_sort_block_merge_implIS3_PaPS5_jNS1_19radix_merge_compareILb1ELb0EaNS0_19identity_decomposerEEEEE10hipError_tT0_T1_T2_jT3_P12ihipStream_tbPNSt15iterator_traitsISE_E10value_typeEPNSK_ISF_E10value_typeEPSG_NS1_7vsmem_tEENKUlT_SE_SF_SG_E_clIS8_S8_S9_S9_EESD_ST_SE_SF_SG_EUlST_E_NS1_11comp_targetILNS1_3genE2ELNS1_11target_archE906ELNS1_3gpuE6ELNS1_3repE0EEENS1_48merge_mergepath_partition_config_static_selectorELNS0_4arch9wavefront6targetE0EEEvSF_.num_agpr, 0
	.set _ZN7rocprim17ROCPRIM_400000_NS6detail17trampoline_kernelINS0_14default_configENS1_38merge_sort_block_merge_config_selectorIaNS0_10empty_typeEEEZZNS1_27merge_sort_block_merge_implIS3_PaPS5_jNS1_19radix_merge_compareILb1ELb0EaNS0_19identity_decomposerEEEEE10hipError_tT0_T1_T2_jT3_P12ihipStream_tbPNSt15iterator_traitsISE_E10value_typeEPNSK_ISF_E10value_typeEPSG_NS1_7vsmem_tEENKUlT_SE_SF_SG_E_clIS8_S8_S9_S9_EESD_ST_SE_SF_SG_EUlST_E_NS1_11comp_targetILNS1_3genE2ELNS1_11target_archE906ELNS1_3gpuE6ELNS1_3repE0EEENS1_48merge_mergepath_partition_config_static_selectorELNS0_4arch9wavefront6targetE0EEEvSF_.numbered_sgpr, 0
	.set _ZN7rocprim17ROCPRIM_400000_NS6detail17trampoline_kernelINS0_14default_configENS1_38merge_sort_block_merge_config_selectorIaNS0_10empty_typeEEEZZNS1_27merge_sort_block_merge_implIS3_PaPS5_jNS1_19radix_merge_compareILb1ELb0EaNS0_19identity_decomposerEEEEE10hipError_tT0_T1_T2_jT3_P12ihipStream_tbPNSt15iterator_traitsISE_E10value_typeEPNSK_ISF_E10value_typeEPSG_NS1_7vsmem_tEENKUlT_SE_SF_SG_E_clIS8_S8_S9_S9_EESD_ST_SE_SF_SG_EUlST_E_NS1_11comp_targetILNS1_3genE2ELNS1_11target_archE906ELNS1_3gpuE6ELNS1_3repE0EEENS1_48merge_mergepath_partition_config_static_selectorELNS0_4arch9wavefront6targetE0EEEvSF_.num_named_barrier, 0
	.set _ZN7rocprim17ROCPRIM_400000_NS6detail17trampoline_kernelINS0_14default_configENS1_38merge_sort_block_merge_config_selectorIaNS0_10empty_typeEEEZZNS1_27merge_sort_block_merge_implIS3_PaPS5_jNS1_19radix_merge_compareILb1ELb0EaNS0_19identity_decomposerEEEEE10hipError_tT0_T1_T2_jT3_P12ihipStream_tbPNSt15iterator_traitsISE_E10value_typeEPNSK_ISF_E10value_typeEPSG_NS1_7vsmem_tEENKUlT_SE_SF_SG_E_clIS8_S8_S9_S9_EESD_ST_SE_SF_SG_EUlST_E_NS1_11comp_targetILNS1_3genE2ELNS1_11target_archE906ELNS1_3gpuE6ELNS1_3repE0EEENS1_48merge_mergepath_partition_config_static_selectorELNS0_4arch9wavefront6targetE0EEEvSF_.private_seg_size, 0
	.set _ZN7rocprim17ROCPRIM_400000_NS6detail17trampoline_kernelINS0_14default_configENS1_38merge_sort_block_merge_config_selectorIaNS0_10empty_typeEEEZZNS1_27merge_sort_block_merge_implIS3_PaPS5_jNS1_19radix_merge_compareILb1ELb0EaNS0_19identity_decomposerEEEEE10hipError_tT0_T1_T2_jT3_P12ihipStream_tbPNSt15iterator_traitsISE_E10value_typeEPNSK_ISF_E10value_typeEPSG_NS1_7vsmem_tEENKUlT_SE_SF_SG_E_clIS8_S8_S9_S9_EESD_ST_SE_SF_SG_EUlST_E_NS1_11comp_targetILNS1_3genE2ELNS1_11target_archE906ELNS1_3gpuE6ELNS1_3repE0EEENS1_48merge_mergepath_partition_config_static_selectorELNS0_4arch9wavefront6targetE0EEEvSF_.uses_vcc, 0
	.set _ZN7rocprim17ROCPRIM_400000_NS6detail17trampoline_kernelINS0_14default_configENS1_38merge_sort_block_merge_config_selectorIaNS0_10empty_typeEEEZZNS1_27merge_sort_block_merge_implIS3_PaPS5_jNS1_19radix_merge_compareILb1ELb0EaNS0_19identity_decomposerEEEEE10hipError_tT0_T1_T2_jT3_P12ihipStream_tbPNSt15iterator_traitsISE_E10value_typeEPNSK_ISF_E10value_typeEPSG_NS1_7vsmem_tEENKUlT_SE_SF_SG_E_clIS8_S8_S9_S9_EESD_ST_SE_SF_SG_EUlST_E_NS1_11comp_targetILNS1_3genE2ELNS1_11target_archE906ELNS1_3gpuE6ELNS1_3repE0EEENS1_48merge_mergepath_partition_config_static_selectorELNS0_4arch9wavefront6targetE0EEEvSF_.uses_flat_scratch, 0
	.set _ZN7rocprim17ROCPRIM_400000_NS6detail17trampoline_kernelINS0_14default_configENS1_38merge_sort_block_merge_config_selectorIaNS0_10empty_typeEEEZZNS1_27merge_sort_block_merge_implIS3_PaPS5_jNS1_19radix_merge_compareILb1ELb0EaNS0_19identity_decomposerEEEEE10hipError_tT0_T1_T2_jT3_P12ihipStream_tbPNSt15iterator_traitsISE_E10value_typeEPNSK_ISF_E10value_typeEPSG_NS1_7vsmem_tEENKUlT_SE_SF_SG_E_clIS8_S8_S9_S9_EESD_ST_SE_SF_SG_EUlST_E_NS1_11comp_targetILNS1_3genE2ELNS1_11target_archE906ELNS1_3gpuE6ELNS1_3repE0EEENS1_48merge_mergepath_partition_config_static_selectorELNS0_4arch9wavefront6targetE0EEEvSF_.has_dyn_sized_stack, 0
	.set _ZN7rocprim17ROCPRIM_400000_NS6detail17trampoline_kernelINS0_14default_configENS1_38merge_sort_block_merge_config_selectorIaNS0_10empty_typeEEEZZNS1_27merge_sort_block_merge_implIS3_PaPS5_jNS1_19radix_merge_compareILb1ELb0EaNS0_19identity_decomposerEEEEE10hipError_tT0_T1_T2_jT3_P12ihipStream_tbPNSt15iterator_traitsISE_E10value_typeEPNSK_ISF_E10value_typeEPSG_NS1_7vsmem_tEENKUlT_SE_SF_SG_E_clIS8_S8_S9_S9_EESD_ST_SE_SF_SG_EUlST_E_NS1_11comp_targetILNS1_3genE2ELNS1_11target_archE906ELNS1_3gpuE6ELNS1_3repE0EEENS1_48merge_mergepath_partition_config_static_selectorELNS0_4arch9wavefront6targetE0EEEvSF_.has_recursion, 0
	.set _ZN7rocprim17ROCPRIM_400000_NS6detail17trampoline_kernelINS0_14default_configENS1_38merge_sort_block_merge_config_selectorIaNS0_10empty_typeEEEZZNS1_27merge_sort_block_merge_implIS3_PaPS5_jNS1_19radix_merge_compareILb1ELb0EaNS0_19identity_decomposerEEEEE10hipError_tT0_T1_T2_jT3_P12ihipStream_tbPNSt15iterator_traitsISE_E10value_typeEPNSK_ISF_E10value_typeEPSG_NS1_7vsmem_tEENKUlT_SE_SF_SG_E_clIS8_S8_S9_S9_EESD_ST_SE_SF_SG_EUlST_E_NS1_11comp_targetILNS1_3genE2ELNS1_11target_archE906ELNS1_3gpuE6ELNS1_3repE0EEENS1_48merge_mergepath_partition_config_static_selectorELNS0_4arch9wavefront6targetE0EEEvSF_.has_indirect_call, 0
	.section	.AMDGPU.csdata,"",@progbits
; Kernel info:
; codeLenInByte = 0
; TotalNumSgprs: 0
; NumVgprs: 0
; ScratchSize: 0
; MemoryBound: 0
; FloatMode: 240
; IeeeMode: 1
; LDSByteSize: 0 bytes/workgroup (compile time only)
; SGPRBlocks: 0
; VGPRBlocks: 0
; NumSGPRsForWavesPerEU: 1
; NumVGPRsForWavesPerEU: 1
; NamedBarCnt: 0
; Occupancy: 16
; WaveLimiterHint : 0
; COMPUTE_PGM_RSRC2:SCRATCH_EN: 0
; COMPUTE_PGM_RSRC2:USER_SGPR: 2
; COMPUTE_PGM_RSRC2:TRAP_HANDLER: 0
; COMPUTE_PGM_RSRC2:TGID_X_EN: 1
; COMPUTE_PGM_RSRC2:TGID_Y_EN: 0
; COMPUTE_PGM_RSRC2:TGID_Z_EN: 0
; COMPUTE_PGM_RSRC2:TIDIG_COMP_CNT: 0
	.section	.text._ZN7rocprim17ROCPRIM_400000_NS6detail17trampoline_kernelINS0_14default_configENS1_38merge_sort_block_merge_config_selectorIaNS0_10empty_typeEEEZZNS1_27merge_sort_block_merge_implIS3_PaPS5_jNS1_19radix_merge_compareILb1ELb0EaNS0_19identity_decomposerEEEEE10hipError_tT0_T1_T2_jT3_P12ihipStream_tbPNSt15iterator_traitsISE_E10value_typeEPNSK_ISF_E10value_typeEPSG_NS1_7vsmem_tEENKUlT_SE_SF_SG_E_clIS8_S8_S9_S9_EESD_ST_SE_SF_SG_EUlST_E_NS1_11comp_targetILNS1_3genE9ELNS1_11target_archE1100ELNS1_3gpuE3ELNS1_3repE0EEENS1_48merge_mergepath_partition_config_static_selectorELNS0_4arch9wavefront6targetE0EEEvSF_,"axG",@progbits,_ZN7rocprim17ROCPRIM_400000_NS6detail17trampoline_kernelINS0_14default_configENS1_38merge_sort_block_merge_config_selectorIaNS0_10empty_typeEEEZZNS1_27merge_sort_block_merge_implIS3_PaPS5_jNS1_19radix_merge_compareILb1ELb0EaNS0_19identity_decomposerEEEEE10hipError_tT0_T1_T2_jT3_P12ihipStream_tbPNSt15iterator_traitsISE_E10value_typeEPNSK_ISF_E10value_typeEPSG_NS1_7vsmem_tEENKUlT_SE_SF_SG_E_clIS8_S8_S9_S9_EESD_ST_SE_SF_SG_EUlST_E_NS1_11comp_targetILNS1_3genE9ELNS1_11target_archE1100ELNS1_3gpuE3ELNS1_3repE0EEENS1_48merge_mergepath_partition_config_static_selectorELNS0_4arch9wavefront6targetE0EEEvSF_,comdat
	.protected	_ZN7rocprim17ROCPRIM_400000_NS6detail17trampoline_kernelINS0_14default_configENS1_38merge_sort_block_merge_config_selectorIaNS0_10empty_typeEEEZZNS1_27merge_sort_block_merge_implIS3_PaPS5_jNS1_19radix_merge_compareILb1ELb0EaNS0_19identity_decomposerEEEEE10hipError_tT0_T1_T2_jT3_P12ihipStream_tbPNSt15iterator_traitsISE_E10value_typeEPNSK_ISF_E10value_typeEPSG_NS1_7vsmem_tEENKUlT_SE_SF_SG_E_clIS8_S8_S9_S9_EESD_ST_SE_SF_SG_EUlST_E_NS1_11comp_targetILNS1_3genE9ELNS1_11target_archE1100ELNS1_3gpuE3ELNS1_3repE0EEENS1_48merge_mergepath_partition_config_static_selectorELNS0_4arch9wavefront6targetE0EEEvSF_ ; -- Begin function _ZN7rocprim17ROCPRIM_400000_NS6detail17trampoline_kernelINS0_14default_configENS1_38merge_sort_block_merge_config_selectorIaNS0_10empty_typeEEEZZNS1_27merge_sort_block_merge_implIS3_PaPS5_jNS1_19radix_merge_compareILb1ELb0EaNS0_19identity_decomposerEEEEE10hipError_tT0_T1_T2_jT3_P12ihipStream_tbPNSt15iterator_traitsISE_E10value_typeEPNSK_ISF_E10value_typeEPSG_NS1_7vsmem_tEENKUlT_SE_SF_SG_E_clIS8_S8_S9_S9_EESD_ST_SE_SF_SG_EUlST_E_NS1_11comp_targetILNS1_3genE9ELNS1_11target_archE1100ELNS1_3gpuE3ELNS1_3repE0EEENS1_48merge_mergepath_partition_config_static_selectorELNS0_4arch9wavefront6targetE0EEEvSF_
	.globl	_ZN7rocprim17ROCPRIM_400000_NS6detail17trampoline_kernelINS0_14default_configENS1_38merge_sort_block_merge_config_selectorIaNS0_10empty_typeEEEZZNS1_27merge_sort_block_merge_implIS3_PaPS5_jNS1_19radix_merge_compareILb1ELb0EaNS0_19identity_decomposerEEEEE10hipError_tT0_T1_T2_jT3_P12ihipStream_tbPNSt15iterator_traitsISE_E10value_typeEPNSK_ISF_E10value_typeEPSG_NS1_7vsmem_tEENKUlT_SE_SF_SG_E_clIS8_S8_S9_S9_EESD_ST_SE_SF_SG_EUlST_E_NS1_11comp_targetILNS1_3genE9ELNS1_11target_archE1100ELNS1_3gpuE3ELNS1_3repE0EEENS1_48merge_mergepath_partition_config_static_selectorELNS0_4arch9wavefront6targetE0EEEvSF_
	.p2align	8
	.type	_ZN7rocprim17ROCPRIM_400000_NS6detail17trampoline_kernelINS0_14default_configENS1_38merge_sort_block_merge_config_selectorIaNS0_10empty_typeEEEZZNS1_27merge_sort_block_merge_implIS3_PaPS5_jNS1_19radix_merge_compareILb1ELb0EaNS0_19identity_decomposerEEEEE10hipError_tT0_T1_T2_jT3_P12ihipStream_tbPNSt15iterator_traitsISE_E10value_typeEPNSK_ISF_E10value_typeEPSG_NS1_7vsmem_tEENKUlT_SE_SF_SG_E_clIS8_S8_S9_S9_EESD_ST_SE_SF_SG_EUlST_E_NS1_11comp_targetILNS1_3genE9ELNS1_11target_archE1100ELNS1_3gpuE3ELNS1_3repE0EEENS1_48merge_mergepath_partition_config_static_selectorELNS0_4arch9wavefront6targetE0EEEvSF_,@function
_ZN7rocprim17ROCPRIM_400000_NS6detail17trampoline_kernelINS0_14default_configENS1_38merge_sort_block_merge_config_selectorIaNS0_10empty_typeEEEZZNS1_27merge_sort_block_merge_implIS3_PaPS5_jNS1_19radix_merge_compareILb1ELb0EaNS0_19identity_decomposerEEEEE10hipError_tT0_T1_T2_jT3_P12ihipStream_tbPNSt15iterator_traitsISE_E10value_typeEPNSK_ISF_E10value_typeEPSG_NS1_7vsmem_tEENKUlT_SE_SF_SG_E_clIS8_S8_S9_S9_EESD_ST_SE_SF_SG_EUlST_E_NS1_11comp_targetILNS1_3genE9ELNS1_11target_archE1100ELNS1_3gpuE3ELNS1_3repE0EEENS1_48merge_mergepath_partition_config_static_selectorELNS0_4arch9wavefront6targetE0EEEvSF_: ; @_ZN7rocprim17ROCPRIM_400000_NS6detail17trampoline_kernelINS0_14default_configENS1_38merge_sort_block_merge_config_selectorIaNS0_10empty_typeEEEZZNS1_27merge_sort_block_merge_implIS3_PaPS5_jNS1_19radix_merge_compareILb1ELb0EaNS0_19identity_decomposerEEEEE10hipError_tT0_T1_T2_jT3_P12ihipStream_tbPNSt15iterator_traitsISE_E10value_typeEPNSK_ISF_E10value_typeEPSG_NS1_7vsmem_tEENKUlT_SE_SF_SG_E_clIS8_S8_S9_S9_EESD_ST_SE_SF_SG_EUlST_E_NS1_11comp_targetILNS1_3genE9ELNS1_11target_archE1100ELNS1_3gpuE3ELNS1_3repE0EEENS1_48merge_mergepath_partition_config_static_selectorELNS0_4arch9wavefront6targetE0EEEvSF_
; %bb.0:
	.section	.rodata,"a",@progbits
	.p2align	6, 0x0
	.amdhsa_kernel _ZN7rocprim17ROCPRIM_400000_NS6detail17trampoline_kernelINS0_14default_configENS1_38merge_sort_block_merge_config_selectorIaNS0_10empty_typeEEEZZNS1_27merge_sort_block_merge_implIS3_PaPS5_jNS1_19radix_merge_compareILb1ELb0EaNS0_19identity_decomposerEEEEE10hipError_tT0_T1_T2_jT3_P12ihipStream_tbPNSt15iterator_traitsISE_E10value_typeEPNSK_ISF_E10value_typeEPSG_NS1_7vsmem_tEENKUlT_SE_SF_SG_E_clIS8_S8_S9_S9_EESD_ST_SE_SF_SG_EUlST_E_NS1_11comp_targetILNS1_3genE9ELNS1_11target_archE1100ELNS1_3gpuE3ELNS1_3repE0EEENS1_48merge_mergepath_partition_config_static_selectorELNS0_4arch9wavefront6targetE0EEEvSF_
		.amdhsa_group_segment_fixed_size 0
		.amdhsa_private_segment_fixed_size 0
		.amdhsa_kernarg_size 40
		.amdhsa_user_sgpr_count 2
		.amdhsa_user_sgpr_dispatch_ptr 0
		.amdhsa_user_sgpr_queue_ptr 0
		.amdhsa_user_sgpr_kernarg_segment_ptr 1
		.amdhsa_user_sgpr_dispatch_id 0
		.amdhsa_user_sgpr_kernarg_preload_length 0
		.amdhsa_user_sgpr_kernarg_preload_offset 0
		.amdhsa_user_sgpr_private_segment_size 0
		.amdhsa_wavefront_size32 1
		.amdhsa_uses_dynamic_stack 0
		.amdhsa_enable_private_segment 0
		.amdhsa_system_sgpr_workgroup_id_x 1
		.amdhsa_system_sgpr_workgroup_id_y 0
		.amdhsa_system_sgpr_workgroup_id_z 0
		.amdhsa_system_sgpr_workgroup_info 0
		.amdhsa_system_vgpr_workitem_id 0
		.amdhsa_next_free_vgpr 1
		.amdhsa_next_free_sgpr 1
		.amdhsa_named_barrier_count 0
		.amdhsa_reserve_vcc 0
		.amdhsa_float_round_mode_32 0
		.amdhsa_float_round_mode_16_64 0
		.amdhsa_float_denorm_mode_32 3
		.amdhsa_float_denorm_mode_16_64 3
		.amdhsa_fp16_overflow 0
		.amdhsa_memory_ordered 1
		.amdhsa_forward_progress 1
		.amdhsa_inst_pref_size 0
		.amdhsa_round_robin_scheduling 0
		.amdhsa_exception_fp_ieee_invalid_op 0
		.amdhsa_exception_fp_denorm_src 0
		.amdhsa_exception_fp_ieee_div_zero 0
		.amdhsa_exception_fp_ieee_overflow 0
		.amdhsa_exception_fp_ieee_underflow 0
		.amdhsa_exception_fp_ieee_inexact 0
		.amdhsa_exception_int_div_zero 0
	.end_amdhsa_kernel
	.section	.text._ZN7rocprim17ROCPRIM_400000_NS6detail17trampoline_kernelINS0_14default_configENS1_38merge_sort_block_merge_config_selectorIaNS0_10empty_typeEEEZZNS1_27merge_sort_block_merge_implIS3_PaPS5_jNS1_19radix_merge_compareILb1ELb0EaNS0_19identity_decomposerEEEEE10hipError_tT0_T1_T2_jT3_P12ihipStream_tbPNSt15iterator_traitsISE_E10value_typeEPNSK_ISF_E10value_typeEPSG_NS1_7vsmem_tEENKUlT_SE_SF_SG_E_clIS8_S8_S9_S9_EESD_ST_SE_SF_SG_EUlST_E_NS1_11comp_targetILNS1_3genE9ELNS1_11target_archE1100ELNS1_3gpuE3ELNS1_3repE0EEENS1_48merge_mergepath_partition_config_static_selectorELNS0_4arch9wavefront6targetE0EEEvSF_,"axG",@progbits,_ZN7rocprim17ROCPRIM_400000_NS6detail17trampoline_kernelINS0_14default_configENS1_38merge_sort_block_merge_config_selectorIaNS0_10empty_typeEEEZZNS1_27merge_sort_block_merge_implIS3_PaPS5_jNS1_19radix_merge_compareILb1ELb0EaNS0_19identity_decomposerEEEEE10hipError_tT0_T1_T2_jT3_P12ihipStream_tbPNSt15iterator_traitsISE_E10value_typeEPNSK_ISF_E10value_typeEPSG_NS1_7vsmem_tEENKUlT_SE_SF_SG_E_clIS8_S8_S9_S9_EESD_ST_SE_SF_SG_EUlST_E_NS1_11comp_targetILNS1_3genE9ELNS1_11target_archE1100ELNS1_3gpuE3ELNS1_3repE0EEENS1_48merge_mergepath_partition_config_static_selectorELNS0_4arch9wavefront6targetE0EEEvSF_,comdat
.Lfunc_end279:
	.size	_ZN7rocprim17ROCPRIM_400000_NS6detail17trampoline_kernelINS0_14default_configENS1_38merge_sort_block_merge_config_selectorIaNS0_10empty_typeEEEZZNS1_27merge_sort_block_merge_implIS3_PaPS5_jNS1_19radix_merge_compareILb1ELb0EaNS0_19identity_decomposerEEEEE10hipError_tT0_T1_T2_jT3_P12ihipStream_tbPNSt15iterator_traitsISE_E10value_typeEPNSK_ISF_E10value_typeEPSG_NS1_7vsmem_tEENKUlT_SE_SF_SG_E_clIS8_S8_S9_S9_EESD_ST_SE_SF_SG_EUlST_E_NS1_11comp_targetILNS1_3genE9ELNS1_11target_archE1100ELNS1_3gpuE3ELNS1_3repE0EEENS1_48merge_mergepath_partition_config_static_selectorELNS0_4arch9wavefront6targetE0EEEvSF_, .Lfunc_end279-_ZN7rocprim17ROCPRIM_400000_NS6detail17trampoline_kernelINS0_14default_configENS1_38merge_sort_block_merge_config_selectorIaNS0_10empty_typeEEEZZNS1_27merge_sort_block_merge_implIS3_PaPS5_jNS1_19radix_merge_compareILb1ELb0EaNS0_19identity_decomposerEEEEE10hipError_tT0_T1_T2_jT3_P12ihipStream_tbPNSt15iterator_traitsISE_E10value_typeEPNSK_ISF_E10value_typeEPSG_NS1_7vsmem_tEENKUlT_SE_SF_SG_E_clIS8_S8_S9_S9_EESD_ST_SE_SF_SG_EUlST_E_NS1_11comp_targetILNS1_3genE9ELNS1_11target_archE1100ELNS1_3gpuE3ELNS1_3repE0EEENS1_48merge_mergepath_partition_config_static_selectorELNS0_4arch9wavefront6targetE0EEEvSF_
                                        ; -- End function
	.set _ZN7rocprim17ROCPRIM_400000_NS6detail17trampoline_kernelINS0_14default_configENS1_38merge_sort_block_merge_config_selectorIaNS0_10empty_typeEEEZZNS1_27merge_sort_block_merge_implIS3_PaPS5_jNS1_19radix_merge_compareILb1ELb0EaNS0_19identity_decomposerEEEEE10hipError_tT0_T1_T2_jT3_P12ihipStream_tbPNSt15iterator_traitsISE_E10value_typeEPNSK_ISF_E10value_typeEPSG_NS1_7vsmem_tEENKUlT_SE_SF_SG_E_clIS8_S8_S9_S9_EESD_ST_SE_SF_SG_EUlST_E_NS1_11comp_targetILNS1_3genE9ELNS1_11target_archE1100ELNS1_3gpuE3ELNS1_3repE0EEENS1_48merge_mergepath_partition_config_static_selectorELNS0_4arch9wavefront6targetE0EEEvSF_.num_vgpr, 0
	.set _ZN7rocprim17ROCPRIM_400000_NS6detail17trampoline_kernelINS0_14default_configENS1_38merge_sort_block_merge_config_selectorIaNS0_10empty_typeEEEZZNS1_27merge_sort_block_merge_implIS3_PaPS5_jNS1_19radix_merge_compareILb1ELb0EaNS0_19identity_decomposerEEEEE10hipError_tT0_T1_T2_jT3_P12ihipStream_tbPNSt15iterator_traitsISE_E10value_typeEPNSK_ISF_E10value_typeEPSG_NS1_7vsmem_tEENKUlT_SE_SF_SG_E_clIS8_S8_S9_S9_EESD_ST_SE_SF_SG_EUlST_E_NS1_11comp_targetILNS1_3genE9ELNS1_11target_archE1100ELNS1_3gpuE3ELNS1_3repE0EEENS1_48merge_mergepath_partition_config_static_selectorELNS0_4arch9wavefront6targetE0EEEvSF_.num_agpr, 0
	.set _ZN7rocprim17ROCPRIM_400000_NS6detail17trampoline_kernelINS0_14default_configENS1_38merge_sort_block_merge_config_selectorIaNS0_10empty_typeEEEZZNS1_27merge_sort_block_merge_implIS3_PaPS5_jNS1_19radix_merge_compareILb1ELb0EaNS0_19identity_decomposerEEEEE10hipError_tT0_T1_T2_jT3_P12ihipStream_tbPNSt15iterator_traitsISE_E10value_typeEPNSK_ISF_E10value_typeEPSG_NS1_7vsmem_tEENKUlT_SE_SF_SG_E_clIS8_S8_S9_S9_EESD_ST_SE_SF_SG_EUlST_E_NS1_11comp_targetILNS1_3genE9ELNS1_11target_archE1100ELNS1_3gpuE3ELNS1_3repE0EEENS1_48merge_mergepath_partition_config_static_selectorELNS0_4arch9wavefront6targetE0EEEvSF_.numbered_sgpr, 0
	.set _ZN7rocprim17ROCPRIM_400000_NS6detail17trampoline_kernelINS0_14default_configENS1_38merge_sort_block_merge_config_selectorIaNS0_10empty_typeEEEZZNS1_27merge_sort_block_merge_implIS3_PaPS5_jNS1_19radix_merge_compareILb1ELb0EaNS0_19identity_decomposerEEEEE10hipError_tT0_T1_T2_jT3_P12ihipStream_tbPNSt15iterator_traitsISE_E10value_typeEPNSK_ISF_E10value_typeEPSG_NS1_7vsmem_tEENKUlT_SE_SF_SG_E_clIS8_S8_S9_S9_EESD_ST_SE_SF_SG_EUlST_E_NS1_11comp_targetILNS1_3genE9ELNS1_11target_archE1100ELNS1_3gpuE3ELNS1_3repE0EEENS1_48merge_mergepath_partition_config_static_selectorELNS0_4arch9wavefront6targetE0EEEvSF_.num_named_barrier, 0
	.set _ZN7rocprim17ROCPRIM_400000_NS6detail17trampoline_kernelINS0_14default_configENS1_38merge_sort_block_merge_config_selectorIaNS0_10empty_typeEEEZZNS1_27merge_sort_block_merge_implIS3_PaPS5_jNS1_19radix_merge_compareILb1ELb0EaNS0_19identity_decomposerEEEEE10hipError_tT0_T1_T2_jT3_P12ihipStream_tbPNSt15iterator_traitsISE_E10value_typeEPNSK_ISF_E10value_typeEPSG_NS1_7vsmem_tEENKUlT_SE_SF_SG_E_clIS8_S8_S9_S9_EESD_ST_SE_SF_SG_EUlST_E_NS1_11comp_targetILNS1_3genE9ELNS1_11target_archE1100ELNS1_3gpuE3ELNS1_3repE0EEENS1_48merge_mergepath_partition_config_static_selectorELNS0_4arch9wavefront6targetE0EEEvSF_.private_seg_size, 0
	.set _ZN7rocprim17ROCPRIM_400000_NS6detail17trampoline_kernelINS0_14default_configENS1_38merge_sort_block_merge_config_selectorIaNS0_10empty_typeEEEZZNS1_27merge_sort_block_merge_implIS3_PaPS5_jNS1_19radix_merge_compareILb1ELb0EaNS0_19identity_decomposerEEEEE10hipError_tT0_T1_T2_jT3_P12ihipStream_tbPNSt15iterator_traitsISE_E10value_typeEPNSK_ISF_E10value_typeEPSG_NS1_7vsmem_tEENKUlT_SE_SF_SG_E_clIS8_S8_S9_S9_EESD_ST_SE_SF_SG_EUlST_E_NS1_11comp_targetILNS1_3genE9ELNS1_11target_archE1100ELNS1_3gpuE3ELNS1_3repE0EEENS1_48merge_mergepath_partition_config_static_selectorELNS0_4arch9wavefront6targetE0EEEvSF_.uses_vcc, 0
	.set _ZN7rocprim17ROCPRIM_400000_NS6detail17trampoline_kernelINS0_14default_configENS1_38merge_sort_block_merge_config_selectorIaNS0_10empty_typeEEEZZNS1_27merge_sort_block_merge_implIS3_PaPS5_jNS1_19radix_merge_compareILb1ELb0EaNS0_19identity_decomposerEEEEE10hipError_tT0_T1_T2_jT3_P12ihipStream_tbPNSt15iterator_traitsISE_E10value_typeEPNSK_ISF_E10value_typeEPSG_NS1_7vsmem_tEENKUlT_SE_SF_SG_E_clIS8_S8_S9_S9_EESD_ST_SE_SF_SG_EUlST_E_NS1_11comp_targetILNS1_3genE9ELNS1_11target_archE1100ELNS1_3gpuE3ELNS1_3repE0EEENS1_48merge_mergepath_partition_config_static_selectorELNS0_4arch9wavefront6targetE0EEEvSF_.uses_flat_scratch, 0
	.set _ZN7rocprim17ROCPRIM_400000_NS6detail17trampoline_kernelINS0_14default_configENS1_38merge_sort_block_merge_config_selectorIaNS0_10empty_typeEEEZZNS1_27merge_sort_block_merge_implIS3_PaPS5_jNS1_19radix_merge_compareILb1ELb0EaNS0_19identity_decomposerEEEEE10hipError_tT0_T1_T2_jT3_P12ihipStream_tbPNSt15iterator_traitsISE_E10value_typeEPNSK_ISF_E10value_typeEPSG_NS1_7vsmem_tEENKUlT_SE_SF_SG_E_clIS8_S8_S9_S9_EESD_ST_SE_SF_SG_EUlST_E_NS1_11comp_targetILNS1_3genE9ELNS1_11target_archE1100ELNS1_3gpuE3ELNS1_3repE0EEENS1_48merge_mergepath_partition_config_static_selectorELNS0_4arch9wavefront6targetE0EEEvSF_.has_dyn_sized_stack, 0
	.set _ZN7rocprim17ROCPRIM_400000_NS6detail17trampoline_kernelINS0_14default_configENS1_38merge_sort_block_merge_config_selectorIaNS0_10empty_typeEEEZZNS1_27merge_sort_block_merge_implIS3_PaPS5_jNS1_19radix_merge_compareILb1ELb0EaNS0_19identity_decomposerEEEEE10hipError_tT0_T1_T2_jT3_P12ihipStream_tbPNSt15iterator_traitsISE_E10value_typeEPNSK_ISF_E10value_typeEPSG_NS1_7vsmem_tEENKUlT_SE_SF_SG_E_clIS8_S8_S9_S9_EESD_ST_SE_SF_SG_EUlST_E_NS1_11comp_targetILNS1_3genE9ELNS1_11target_archE1100ELNS1_3gpuE3ELNS1_3repE0EEENS1_48merge_mergepath_partition_config_static_selectorELNS0_4arch9wavefront6targetE0EEEvSF_.has_recursion, 0
	.set _ZN7rocprim17ROCPRIM_400000_NS6detail17trampoline_kernelINS0_14default_configENS1_38merge_sort_block_merge_config_selectorIaNS0_10empty_typeEEEZZNS1_27merge_sort_block_merge_implIS3_PaPS5_jNS1_19radix_merge_compareILb1ELb0EaNS0_19identity_decomposerEEEEE10hipError_tT0_T1_T2_jT3_P12ihipStream_tbPNSt15iterator_traitsISE_E10value_typeEPNSK_ISF_E10value_typeEPSG_NS1_7vsmem_tEENKUlT_SE_SF_SG_E_clIS8_S8_S9_S9_EESD_ST_SE_SF_SG_EUlST_E_NS1_11comp_targetILNS1_3genE9ELNS1_11target_archE1100ELNS1_3gpuE3ELNS1_3repE0EEENS1_48merge_mergepath_partition_config_static_selectorELNS0_4arch9wavefront6targetE0EEEvSF_.has_indirect_call, 0
	.section	.AMDGPU.csdata,"",@progbits
; Kernel info:
; codeLenInByte = 0
; TotalNumSgprs: 0
; NumVgprs: 0
; ScratchSize: 0
; MemoryBound: 0
; FloatMode: 240
; IeeeMode: 1
; LDSByteSize: 0 bytes/workgroup (compile time only)
; SGPRBlocks: 0
; VGPRBlocks: 0
; NumSGPRsForWavesPerEU: 1
; NumVGPRsForWavesPerEU: 1
; NamedBarCnt: 0
; Occupancy: 16
; WaveLimiterHint : 0
; COMPUTE_PGM_RSRC2:SCRATCH_EN: 0
; COMPUTE_PGM_RSRC2:USER_SGPR: 2
; COMPUTE_PGM_RSRC2:TRAP_HANDLER: 0
; COMPUTE_PGM_RSRC2:TGID_X_EN: 1
; COMPUTE_PGM_RSRC2:TGID_Y_EN: 0
; COMPUTE_PGM_RSRC2:TGID_Z_EN: 0
; COMPUTE_PGM_RSRC2:TIDIG_COMP_CNT: 0
	.section	.text._ZN7rocprim17ROCPRIM_400000_NS6detail17trampoline_kernelINS0_14default_configENS1_38merge_sort_block_merge_config_selectorIaNS0_10empty_typeEEEZZNS1_27merge_sort_block_merge_implIS3_PaPS5_jNS1_19radix_merge_compareILb1ELb0EaNS0_19identity_decomposerEEEEE10hipError_tT0_T1_T2_jT3_P12ihipStream_tbPNSt15iterator_traitsISE_E10value_typeEPNSK_ISF_E10value_typeEPSG_NS1_7vsmem_tEENKUlT_SE_SF_SG_E_clIS8_S8_S9_S9_EESD_ST_SE_SF_SG_EUlST_E_NS1_11comp_targetILNS1_3genE8ELNS1_11target_archE1030ELNS1_3gpuE2ELNS1_3repE0EEENS1_48merge_mergepath_partition_config_static_selectorELNS0_4arch9wavefront6targetE0EEEvSF_,"axG",@progbits,_ZN7rocprim17ROCPRIM_400000_NS6detail17trampoline_kernelINS0_14default_configENS1_38merge_sort_block_merge_config_selectorIaNS0_10empty_typeEEEZZNS1_27merge_sort_block_merge_implIS3_PaPS5_jNS1_19radix_merge_compareILb1ELb0EaNS0_19identity_decomposerEEEEE10hipError_tT0_T1_T2_jT3_P12ihipStream_tbPNSt15iterator_traitsISE_E10value_typeEPNSK_ISF_E10value_typeEPSG_NS1_7vsmem_tEENKUlT_SE_SF_SG_E_clIS8_S8_S9_S9_EESD_ST_SE_SF_SG_EUlST_E_NS1_11comp_targetILNS1_3genE8ELNS1_11target_archE1030ELNS1_3gpuE2ELNS1_3repE0EEENS1_48merge_mergepath_partition_config_static_selectorELNS0_4arch9wavefront6targetE0EEEvSF_,comdat
	.protected	_ZN7rocprim17ROCPRIM_400000_NS6detail17trampoline_kernelINS0_14default_configENS1_38merge_sort_block_merge_config_selectorIaNS0_10empty_typeEEEZZNS1_27merge_sort_block_merge_implIS3_PaPS5_jNS1_19radix_merge_compareILb1ELb0EaNS0_19identity_decomposerEEEEE10hipError_tT0_T1_T2_jT3_P12ihipStream_tbPNSt15iterator_traitsISE_E10value_typeEPNSK_ISF_E10value_typeEPSG_NS1_7vsmem_tEENKUlT_SE_SF_SG_E_clIS8_S8_S9_S9_EESD_ST_SE_SF_SG_EUlST_E_NS1_11comp_targetILNS1_3genE8ELNS1_11target_archE1030ELNS1_3gpuE2ELNS1_3repE0EEENS1_48merge_mergepath_partition_config_static_selectorELNS0_4arch9wavefront6targetE0EEEvSF_ ; -- Begin function _ZN7rocprim17ROCPRIM_400000_NS6detail17trampoline_kernelINS0_14default_configENS1_38merge_sort_block_merge_config_selectorIaNS0_10empty_typeEEEZZNS1_27merge_sort_block_merge_implIS3_PaPS5_jNS1_19radix_merge_compareILb1ELb0EaNS0_19identity_decomposerEEEEE10hipError_tT0_T1_T2_jT3_P12ihipStream_tbPNSt15iterator_traitsISE_E10value_typeEPNSK_ISF_E10value_typeEPSG_NS1_7vsmem_tEENKUlT_SE_SF_SG_E_clIS8_S8_S9_S9_EESD_ST_SE_SF_SG_EUlST_E_NS1_11comp_targetILNS1_3genE8ELNS1_11target_archE1030ELNS1_3gpuE2ELNS1_3repE0EEENS1_48merge_mergepath_partition_config_static_selectorELNS0_4arch9wavefront6targetE0EEEvSF_
	.globl	_ZN7rocprim17ROCPRIM_400000_NS6detail17trampoline_kernelINS0_14default_configENS1_38merge_sort_block_merge_config_selectorIaNS0_10empty_typeEEEZZNS1_27merge_sort_block_merge_implIS3_PaPS5_jNS1_19radix_merge_compareILb1ELb0EaNS0_19identity_decomposerEEEEE10hipError_tT0_T1_T2_jT3_P12ihipStream_tbPNSt15iterator_traitsISE_E10value_typeEPNSK_ISF_E10value_typeEPSG_NS1_7vsmem_tEENKUlT_SE_SF_SG_E_clIS8_S8_S9_S9_EESD_ST_SE_SF_SG_EUlST_E_NS1_11comp_targetILNS1_3genE8ELNS1_11target_archE1030ELNS1_3gpuE2ELNS1_3repE0EEENS1_48merge_mergepath_partition_config_static_selectorELNS0_4arch9wavefront6targetE0EEEvSF_
	.p2align	8
	.type	_ZN7rocprim17ROCPRIM_400000_NS6detail17trampoline_kernelINS0_14default_configENS1_38merge_sort_block_merge_config_selectorIaNS0_10empty_typeEEEZZNS1_27merge_sort_block_merge_implIS3_PaPS5_jNS1_19radix_merge_compareILb1ELb0EaNS0_19identity_decomposerEEEEE10hipError_tT0_T1_T2_jT3_P12ihipStream_tbPNSt15iterator_traitsISE_E10value_typeEPNSK_ISF_E10value_typeEPSG_NS1_7vsmem_tEENKUlT_SE_SF_SG_E_clIS8_S8_S9_S9_EESD_ST_SE_SF_SG_EUlST_E_NS1_11comp_targetILNS1_3genE8ELNS1_11target_archE1030ELNS1_3gpuE2ELNS1_3repE0EEENS1_48merge_mergepath_partition_config_static_selectorELNS0_4arch9wavefront6targetE0EEEvSF_,@function
_ZN7rocprim17ROCPRIM_400000_NS6detail17trampoline_kernelINS0_14default_configENS1_38merge_sort_block_merge_config_selectorIaNS0_10empty_typeEEEZZNS1_27merge_sort_block_merge_implIS3_PaPS5_jNS1_19radix_merge_compareILb1ELb0EaNS0_19identity_decomposerEEEEE10hipError_tT0_T1_T2_jT3_P12ihipStream_tbPNSt15iterator_traitsISE_E10value_typeEPNSK_ISF_E10value_typeEPSG_NS1_7vsmem_tEENKUlT_SE_SF_SG_E_clIS8_S8_S9_S9_EESD_ST_SE_SF_SG_EUlST_E_NS1_11comp_targetILNS1_3genE8ELNS1_11target_archE1030ELNS1_3gpuE2ELNS1_3repE0EEENS1_48merge_mergepath_partition_config_static_selectorELNS0_4arch9wavefront6targetE0EEEvSF_: ; @_ZN7rocprim17ROCPRIM_400000_NS6detail17trampoline_kernelINS0_14default_configENS1_38merge_sort_block_merge_config_selectorIaNS0_10empty_typeEEEZZNS1_27merge_sort_block_merge_implIS3_PaPS5_jNS1_19radix_merge_compareILb1ELb0EaNS0_19identity_decomposerEEEEE10hipError_tT0_T1_T2_jT3_P12ihipStream_tbPNSt15iterator_traitsISE_E10value_typeEPNSK_ISF_E10value_typeEPSG_NS1_7vsmem_tEENKUlT_SE_SF_SG_E_clIS8_S8_S9_S9_EESD_ST_SE_SF_SG_EUlST_E_NS1_11comp_targetILNS1_3genE8ELNS1_11target_archE1030ELNS1_3gpuE2ELNS1_3repE0EEENS1_48merge_mergepath_partition_config_static_selectorELNS0_4arch9wavefront6targetE0EEEvSF_
; %bb.0:
	.section	.rodata,"a",@progbits
	.p2align	6, 0x0
	.amdhsa_kernel _ZN7rocprim17ROCPRIM_400000_NS6detail17trampoline_kernelINS0_14default_configENS1_38merge_sort_block_merge_config_selectorIaNS0_10empty_typeEEEZZNS1_27merge_sort_block_merge_implIS3_PaPS5_jNS1_19radix_merge_compareILb1ELb0EaNS0_19identity_decomposerEEEEE10hipError_tT0_T1_T2_jT3_P12ihipStream_tbPNSt15iterator_traitsISE_E10value_typeEPNSK_ISF_E10value_typeEPSG_NS1_7vsmem_tEENKUlT_SE_SF_SG_E_clIS8_S8_S9_S9_EESD_ST_SE_SF_SG_EUlST_E_NS1_11comp_targetILNS1_3genE8ELNS1_11target_archE1030ELNS1_3gpuE2ELNS1_3repE0EEENS1_48merge_mergepath_partition_config_static_selectorELNS0_4arch9wavefront6targetE0EEEvSF_
		.amdhsa_group_segment_fixed_size 0
		.amdhsa_private_segment_fixed_size 0
		.amdhsa_kernarg_size 40
		.amdhsa_user_sgpr_count 2
		.amdhsa_user_sgpr_dispatch_ptr 0
		.amdhsa_user_sgpr_queue_ptr 0
		.amdhsa_user_sgpr_kernarg_segment_ptr 1
		.amdhsa_user_sgpr_dispatch_id 0
		.amdhsa_user_sgpr_kernarg_preload_length 0
		.amdhsa_user_sgpr_kernarg_preload_offset 0
		.amdhsa_user_sgpr_private_segment_size 0
		.amdhsa_wavefront_size32 1
		.amdhsa_uses_dynamic_stack 0
		.amdhsa_enable_private_segment 0
		.amdhsa_system_sgpr_workgroup_id_x 1
		.amdhsa_system_sgpr_workgroup_id_y 0
		.amdhsa_system_sgpr_workgroup_id_z 0
		.amdhsa_system_sgpr_workgroup_info 0
		.amdhsa_system_vgpr_workitem_id 0
		.amdhsa_next_free_vgpr 1
		.amdhsa_next_free_sgpr 1
		.amdhsa_named_barrier_count 0
		.amdhsa_reserve_vcc 0
		.amdhsa_float_round_mode_32 0
		.amdhsa_float_round_mode_16_64 0
		.amdhsa_float_denorm_mode_32 3
		.amdhsa_float_denorm_mode_16_64 3
		.amdhsa_fp16_overflow 0
		.amdhsa_memory_ordered 1
		.amdhsa_forward_progress 1
		.amdhsa_inst_pref_size 0
		.amdhsa_round_robin_scheduling 0
		.amdhsa_exception_fp_ieee_invalid_op 0
		.amdhsa_exception_fp_denorm_src 0
		.amdhsa_exception_fp_ieee_div_zero 0
		.amdhsa_exception_fp_ieee_overflow 0
		.amdhsa_exception_fp_ieee_underflow 0
		.amdhsa_exception_fp_ieee_inexact 0
		.amdhsa_exception_int_div_zero 0
	.end_amdhsa_kernel
	.section	.text._ZN7rocprim17ROCPRIM_400000_NS6detail17trampoline_kernelINS0_14default_configENS1_38merge_sort_block_merge_config_selectorIaNS0_10empty_typeEEEZZNS1_27merge_sort_block_merge_implIS3_PaPS5_jNS1_19radix_merge_compareILb1ELb0EaNS0_19identity_decomposerEEEEE10hipError_tT0_T1_T2_jT3_P12ihipStream_tbPNSt15iterator_traitsISE_E10value_typeEPNSK_ISF_E10value_typeEPSG_NS1_7vsmem_tEENKUlT_SE_SF_SG_E_clIS8_S8_S9_S9_EESD_ST_SE_SF_SG_EUlST_E_NS1_11comp_targetILNS1_3genE8ELNS1_11target_archE1030ELNS1_3gpuE2ELNS1_3repE0EEENS1_48merge_mergepath_partition_config_static_selectorELNS0_4arch9wavefront6targetE0EEEvSF_,"axG",@progbits,_ZN7rocprim17ROCPRIM_400000_NS6detail17trampoline_kernelINS0_14default_configENS1_38merge_sort_block_merge_config_selectorIaNS0_10empty_typeEEEZZNS1_27merge_sort_block_merge_implIS3_PaPS5_jNS1_19radix_merge_compareILb1ELb0EaNS0_19identity_decomposerEEEEE10hipError_tT0_T1_T2_jT3_P12ihipStream_tbPNSt15iterator_traitsISE_E10value_typeEPNSK_ISF_E10value_typeEPSG_NS1_7vsmem_tEENKUlT_SE_SF_SG_E_clIS8_S8_S9_S9_EESD_ST_SE_SF_SG_EUlST_E_NS1_11comp_targetILNS1_3genE8ELNS1_11target_archE1030ELNS1_3gpuE2ELNS1_3repE0EEENS1_48merge_mergepath_partition_config_static_selectorELNS0_4arch9wavefront6targetE0EEEvSF_,comdat
.Lfunc_end280:
	.size	_ZN7rocprim17ROCPRIM_400000_NS6detail17trampoline_kernelINS0_14default_configENS1_38merge_sort_block_merge_config_selectorIaNS0_10empty_typeEEEZZNS1_27merge_sort_block_merge_implIS3_PaPS5_jNS1_19radix_merge_compareILb1ELb0EaNS0_19identity_decomposerEEEEE10hipError_tT0_T1_T2_jT3_P12ihipStream_tbPNSt15iterator_traitsISE_E10value_typeEPNSK_ISF_E10value_typeEPSG_NS1_7vsmem_tEENKUlT_SE_SF_SG_E_clIS8_S8_S9_S9_EESD_ST_SE_SF_SG_EUlST_E_NS1_11comp_targetILNS1_3genE8ELNS1_11target_archE1030ELNS1_3gpuE2ELNS1_3repE0EEENS1_48merge_mergepath_partition_config_static_selectorELNS0_4arch9wavefront6targetE0EEEvSF_, .Lfunc_end280-_ZN7rocprim17ROCPRIM_400000_NS6detail17trampoline_kernelINS0_14default_configENS1_38merge_sort_block_merge_config_selectorIaNS0_10empty_typeEEEZZNS1_27merge_sort_block_merge_implIS3_PaPS5_jNS1_19radix_merge_compareILb1ELb0EaNS0_19identity_decomposerEEEEE10hipError_tT0_T1_T2_jT3_P12ihipStream_tbPNSt15iterator_traitsISE_E10value_typeEPNSK_ISF_E10value_typeEPSG_NS1_7vsmem_tEENKUlT_SE_SF_SG_E_clIS8_S8_S9_S9_EESD_ST_SE_SF_SG_EUlST_E_NS1_11comp_targetILNS1_3genE8ELNS1_11target_archE1030ELNS1_3gpuE2ELNS1_3repE0EEENS1_48merge_mergepath_partition_config_static_selectorELNS0_4arch9wavefront6targetE0EEEvSF_
                                        ; -- End function
	.set _ZN7rocprim17ROCPRIM_400000_NS6detail17trampoline_kernelINS0_14default_configENS1_38merge_sort_block_merge_config_selectorIaNS0_10empty_typeEEEZZNS1_27merge_sort_block_merge_implIS3_PaPS5_jNS1_19radix_merge_compareILb1ELb0EaNS0_19identity_decomposerEEEEE10hipError_tT0_T1_T2_jT3_P12ihipStream_tbPNSt15iterator_traitsISE_E10value_typeEPNSK_ISF_E10value_typeEPSG_NS1_7vsmem_tEENKUlT_SE_SF_SG_E_clIS8_S8_S9_S9_EESD_ST_SE_SF_SG_EUlST_E_NS1_11comp_targetILNS1_3genE8ELNS1_11target_archE1030ELNS1_3gpuE2ELNS1_3repE0EEENS1_48merge_mergepath_partition_config_static_selectorELNS0_4arch9wavefront6targetE0EEEvSF_.num_vgpr, 0
	.set _ZN7rocprim17ROCPRIM_400000_NS6detail17trampoline_kernelINS0_14default_configENS1_38merge_sort_block_merge_config_selectorIaNS0_10empty_typeEEEZZNS1_27merge_sort_block_merge_implIS3_PaPS5_jNS1_19radix_merge_compareILb1ELb0EaNS0_19identity_decomposerEEEEE10hipError_tT0_T1_T2_jT3_P12ihipStream_tbPNSt15iterator_traitsISE_E10value_typeEPNSK_ISF_E10value_typeEPSG_NS1_7vsmem_tEENKUlT_SE_SF_SG_E_clIS8_S8_S9_S9_EESD_ST_SE_SF_SG_EUlST_E_NS1_11comp_targetILNS1_3genE8ELNS1_11target_archE1030ELNS1_3gpuE2ELNS1_3repE0EEENS1_48merge_mergepath_partition_config_static_selectorELNS0_4arch9wavefront6targetE0EEEvSF_.num_agpr, 0
	.set _ZN7rocprim17ROCPRIM_400000_NS6detail17trampoline_kernelINS0_14default_configENS1_38merge_sort_block_merge_config_selectorIaNS0_10empty_typeEEEZZNS1_27merge_sort_block_merge_implIS3_PaPS5_jNS1_19radix_merge_compareILb1ELb0EaNS0_19identity_decomposerEEEEE10hipError_tT0_T1_T2_jT3_P12ihipStream_tbPNSt15iterator_traitsISE_E10value_typeEPNSK_ISF_E10value_typeEPSG_NS1_7vsmem_tEENKUlT_SE_SF_SG_E_clIS8_S8_S9_S9_EESD_ST_SE_SF_SG_EUlST_E_NS1_11comp_targetILNS1_3genE8ELNS1_11target_archE1030ELNS1_3gpuE2ELNS1_3repE0EEENS1_48merge_mergepath_partition_config_static_selectorELNS0_4arch9wavefront6targetE0EEEvSF_.numbered_sgpr, 0
	.set _ZN7rocprim17ROCPRIM_400000_NS6detail17trampoline_kernelINS0_14default_configENS1_38merge_sort_block_merge_config_selectorIaNS0_10empty_typeEEEZZNS1_27merge_sort_block_merge_implIS3_PaPS5_jNS1_19radix_merge_compareILb1ELb0EaNS0_19identity_decomposerEEEEE10hipError_tT0_T1_T2_jT3_P12ihipStream_tbPNSt15iterator_traitsISE_E10value_typeEPNSK_ISF_E10value_typeEPSG_NS1_7vsmem_tEENKUlT_SE_SF_SG_E_clIS8_S8_S9_S9_EESD_ST_SE_SF_SG_EUlST_E_NS1_11comp_targetILNS1_3genE8ELNS1_11target_archE1030ELNS1_3gpuE2ELNS1_3repE0EEENS1_48merge_mergepath_partition_config_static_selectorELNS0_4arch9wavefront6targetE0EEEvSF_.num_named_barrier, 0
	.set _ZN7rocprim17ROCPRIM_400000_NS6detail17trampoline_kernelINS0_14default_configENS1_38merge_sort_block_merge_config_selectorIaNS0_10empty_typeEEEZZNS1_27merge_sort_block_merge_implIS3_PaPS5_jNS1_19radix_merge_compareILb1ELb0EaNS0_19identity_decomposerEEEEE10hipError_tT0_T1_T2_jT3_P12ihipStream_tbPNSt15iterator_traitsISE_E10value_typeEPNSK_ISF_E10value_typeEPSG_NS1_7vsmem_tEENKUlT_SE_SF_SG_E_clIS8_S8_S9_S9_EESD_ST_SE_SF_SG_EUlST_E_NS1_11comp_targetILNS1_3genE8ELNS1_11target_archE1030ELNS1_3gpuE2ELNS1_3repE0EEENS1_48merge_mergepath_partition_config_static_selectorELNS0_4arch9wavefront6targetE0EEEvSF_.private_seg_size, 0
	.set _ZN7rocprim17ROCPRIM_400000_NS6detail17trampoline_kernelINS0_14default_configENS1_38merge_sort_block_merge_config_selectorIaNS0_10empty_typeEEEZZNS1_27merge_sort_block_merge_implIS3_PaPS5_jNS1_19radix_merge_compareILb1ELb0EaNS0_19identity_decomposerEEEEE10hipError_tT0_T1_T2_jT3_P12ihipStream_tbPNSt15iterator_traitsISE_E10value_typeEPNSK_ISF_E10value_typeEPSG_NS1_7vsmem_tEENKUlT_SE_SF_SG_E_clIS8_S8_S9_S9_EESD_ST_SE_SF_SG_EUlST_E_NS1_11comp_targetILNS1_3genE8ELNS1_11target_archE1030ELNS1_3gpuE2ELNS1_3repE0EEENS1_48merge_mergepath_partition_config_static_selectorELNS0_4arch9wavefront6targetE0EEEvSF_.uses_vcc, 0
	.set _ZN7rocprim17ROCPRIM_400000_NS6detail17trampoline_kernelINS0_14default_configENS1_38merge_sort_block_merge_config_selectorIaNS0_10empty_typeEEEZZNS1_27merge_sort_block_merge_implIS3_PaPS5_jNS1_19radix_merge_compareILb1ELb0EaNS0_19identity_decomposerEEEEE10hipError_tT0_T1_T2_jT3_P12ihipStream_tbPNSt15iterator_traitsISE_E10value_typeEPNSK_ISF_E10value_typeEPSG_NS1_7vsmem_tEENKUlT_SE_SF_SG_E_clIS8_S8_S9_S9_EESD_ST_SE_SF_SG_EUlST_E_NS1_11comp_targetILNS1_3genE8ELNS1_11target_archE1030ELNS1_3gpuE2ELNS1_3repE0EEENS1_48merge_mergepath_partition_config_static_selectorELNS0_4arch9wavefront6targetE0EEEvSF_.uses_flat_scratch, 0
	.set _ZN7rocprim17ROCPRIM_400000_NS6detail17trampoline_kernelINS0_14default_configENS1_38merge_sort_block_merge_config_selectorIaNS0_10empty_typeEEEZZNS1_27merge_sort_block_merge_implIS3_PaPS5_jNS1_19radix_merge_compareILb1ELb0EaNS0_19identity_decomposerEEEEE10hipError_tT0_T1_T2_jT3_P12ihipStream_tbPNSt15iterator_traitsISE_E10value_typeEPNSK_ISF_E10value_typeEPSG_NS1_7vsmem_tEENKUlT_SE_SF_SG_E_clIS8_S8_S9_S9_EESD_ST_SE_SF_SG_EUlST_E_NS1_11comp_targetILNS1_3genE8ELNS1_11target_archE1030ELNS1_3gpuE2ELNS1_3repE0EEENS1_48merge_mergepath_partition_config_static_selectorELNS0_4arch9wavefront6targetE0EEEvSF_.has_dyn_sized_stack, 0
	.set _ZN7rocprim17ROCPRIM_400000_NS6detail17trampoline_kernelINS0_14default_configENS1_38merge_sort_block_merge_config_selectorIaNS0_10empty_typeEEEZZNS1_27merge_sort_block_merge_implIS3_PaPS5_jNS1_19radix_merge_compareILb1ELb0EaNS0_19identity_decomposerEEEEE10hipError_tT0_T1_T2_jT3_P12ihipStream_tbPNSt15iterator_traitsISE_E10value_typeEPNSK_ISF_E10value_typeEPSG_NS1_7vsmem_tEENKUlT_SE_SF_SG_E_clIS8_S8_S9_S9_EESD_ST_SE_SF_SG_EUlST_E_NS1_11comp_targetILNS1_3genE8ELNS1_11target_archE1030ELNS1_3gpuE2ELNS1_3repE0EEENS1_48merge_mergepath_partition_config_static_selectorELNS0_4arch9wavefront6targetE0EEEvSF_.has_recursion, 0
	.set _ZN7rocprim17ROCPRIM_400000_NS6detail17trampoline_kernelINS0_14default_configENS1_38merge_sort_block_merge_config_selectorIaNS0_10empty_typeEEEZZNS1_27merge_sort_block_merge_implIS3_PaPS5_jNS1_19radix_merge_compareILb1ELb0EaNS0_19identity_decomposerEEEEE10hipError_tT0_T1_T2_jT3_P12ihipStream_tbPNSt15iterator_traitsISE_E10value_typeEPNSK_ISF_E10value_typeEPSG_NS1_7vsmem_tEENKUlT_SE_SF_SG_E_clIS8_S8_S9_S9_EESD_ST_SE_SF_SG_EUlST_E_NS1_11comp_targetILNS1_3genE8ELNS1_11target_archE1030ELNS1_3gpuE2ELNS1_3repE0EEENS1_48merge_mergepath_partition_config_static_selectorELNS0_4arch9wavefront6targetE0EEEvSF_.has_indirect_call, 0
	.section	.AMDGPU.csdata,"",@progbits
; Kernel info:
; codeLenInByte = 0
; TotalNumSgprs: 0
; NumVgprs: 0
; ScratchSize: 0
; MemoryBound: 0
; FloatMode: 240
; IeeeMode: 1
; LDSByteSize: 0 bytes/workgroup (compile time only)
; SGPRBlocks: 0
; VGPRBlocks: 0
; NumSGPRsForWavesPerEU: 1
; NumVGPRsForWavesPerEU: 1
; NamedBarCnt: 0
; Occupancy: 16
; WaveLimiterHint : 0
; COMPUTE_PGM_RSRC2:SCRATCH_EN: 0
; COMPUTE_PGM_RSRC2:USER_SGPR: 2
; COMPUTE_PGM_RSRC2:TRAP_HANDLER: 0
; COMPUTE_PGM_RSRC2:TGID_X_EN: 1
; COMPUTE_PGM_RSRC2:TGID_Y_EN: 0
; COMPUTE_PGM_RSRC2:TGID_Z_EN: 0
; COMPUTE_PGM_RSRC2:TIDIG_COMP_CNT: 0
	.section	.text._ZN7rocprim17ROCPRIM_400000_NS6detail17trampoline_kernelINS0_14default_configENS1_38merge_sort_block_merge_config_selectorIaNS0_10empty_typeEEEZZNS1_27merge_sort_block_merge_implIS3_PaPS5_jNS1_19radix_merge_compareILb1ELb0EaNS0_19identity_decomposerEEEEE10hipError_tT0_T1_T2_jT3_P12ihipStream_tbPNSt15iterator_traitsISE_E10value_typeEPNSK_ISF_E10value_typeEPSG_NS1_7vsmem_tEENKUlT_SE_SF_SG_E_clIS8_S8_S9_S9_EESD_ST_SE_SF_SG_EUlST_E0_NS1_11comp_targetILNS1_3genE0ELNS1_11target_archE4294967295ELNS1_3gpuE0ELNS1_3repE0EEENS1_38merge_mergepath_config_static_selectorELNS0_4arch9wavefront6targetE0EEEvSF_,"axG",@progbits,_ZN7rocprim17ROCPRIM_400000_NS6detail17trampoline_kernelINS0_14default_configENS1_38merge_sort_block_merge_config_selectorIaNS0_10empty_typeEEEZZNS1_27merge_sort_block_merge_implIS3_PaPS5_jNS1_19radix_merge_compareILb1ELb0EaNS0_19identity_decomposerEEEEE10hipError_tT0_T1_T2_jT3_P12ihipStream_tbPNSt15iterator_traitsISE_E10value_typeEPNSK_ISF_E10value_typeEPSG_NS1_7vsmem_tEENKUlT_SE_SF_SG_E_clIS8_S8_S9_S9_EESD_ST_SE_SF_SG_EUlST_E0_NS1_11comp_targetILNS1_3genE0ELNS1_11target_archE4294967295ELNS1_3gpuE0ELNS1_3repE0EEENS1_38merge_mergepath_config_static_selectorELNS0_4arch9wavefront6targetE0EEEvSF_,comdat
	.protected	_ZN7rocprim17ROCPRIM_400000_NS6detail17trampoline_kernelINS0_14default_configENS1_38merge_sort_block_merge_config_selectorIaNS0_10empty_typeEEEZZNS1_27merge_sort_block_merge_implIS3_PaPS5_jNS1_19radix_merge_compareILb1ELb0EaNS0_19identity_decomposerEEEEE10hipError_tT0_T1_T2_jT3_P12ihipStream_tbPNSt15iterator_traitsISE_E10value_typeEPNSK_ISF_E10value_typeEPSG_NS1_7vsmem_tEENKUlT_SE_SF_SG_E_clIS8_S8_S9_S9_EESD_ST_SE_SF_SG_EUlST_E0_NS1_11comp_targetILNS1_3genE0ELNS1_11target_archE4294967295ELNS1_3gpuE0ELNS1_3repE0EEENS1_38merge_mergepath_config_static_selectorELNS0_4arch9wavefront6targetE0EEEvSF_ ; -- Begin function _ZN7rocprim17ROCPRIM_400000_NS6detail17trampoline_kernelINS0_14default_configENS1_38merge_sort_block_merge_config_selectorIaNS0_10empty_typeEEEZZNS1_27merge_sort_block_merge_implIS3_PaPS5_jNS1_19radix_merge_compareILb1ELb0EaNS0_19identity_decomposerEEEEE10hipError_tT0_T1_T2_jT3_P12ihipStream_tbPNSt15iterator_traitsISE_E10value_typeEPNSK_ISF_E10value_typeEPSG_NS1_7vsmem_tEENKUlT_SE_SF_SG_E_clIS8_S8_S9_S9_EESD_ST_SE_SF_SG_EUlST_E0_NS1_11comp_targetILNS1_3genE0ELNS1_11target_archE4294967295ELNS1_3gpuE0ELNS1_3repE0EEENS1_38merge_mergepath_config_static_selectorELNS0_4arch9wavefront6targetE0EEEvSF_
	.globl	_ZN7rocprim17ROCPRIM_400000_NS6detail17trampoline_kernelINS0_14default_configENS1_38merge_sort_block_merge_config_selectorIaNS0_10empty_typeEEEZZNS1_27merge_sort_block_merge_implIS3_PaPS5_jNS1_19radix_merge_compareILb1ELb0EaNS0_19identity_decomposerEEEEE10hipError_tT0_T1_T2_jT3_P12ihipStream_tbPNSt15iterator_traitsISE_E10value_typeEPNSK_ISF_E10value_typeEPSG_NS1_7vsmem_tEENKUlT_SE_SF_SG_E_clIS8_S8_S9_S9_EESD_ST_SE_SF_SG_EUlST_E0_NS1_11comp_targetILNS1_3genE0ELNS1_11target_archE4294967295ELNS1_3gpuE0ELNS1_3repE0EEENS1_38merge_mergepath_config_static_selectorELNS0_4arch9wavefront6targetE0EEEvSF_
	.p2align	8
	.type	_ZN7rocprim17ROCPRIM_400000_NS6detail17trampoline_kernelINS0_14default_configENS1_38merge_sort_block_merge_config_selectorIaNS0_10empty_typeEEEZZNS1_27merge_sort_block_merge_implIS3_PaPS5_jNS1_19radix_merge_compareILb1ELb0EaNS0_19identity_decomposerEEEEE10hipError_tT0_T1_T2_jT3_P12ihipStream_tbPNSt15iterator_traitsISE_E10value_typeEPNSK_ISF_E10value_typeEPSG_NS1_7vsmem_tEENKUlT_SE_SF_SG_E_clIS8_S8_S9_S9_EESD_ST_SE_SF_SG_EUlST_E0_NS1_11comp_targetILNS1_3genE0ELNS1_11target_archE4294967295ELNS1_3gpuE0ELNS1_3repE0EEENS1_38merge_mergepath_config_static_selectorELNS0_4arch9wavefront6targetE0EEEvSF_,@function
_ZN7rocprim17ROCPRIM_400000_NS6detail17trampoline_kernelINS0_14default_configENS1_38merge_sort_block_merge_config_selectorIaNS0_10empty_typeEEEZZNS1_27merge_sort_block_merge_implIS3_PaPS5_jNS1_19radix_merge_compareILb1ELb0EaNS0_19identity_decomposerEEEEE10hipError_tT0_T1_T2_jT3_P12ihipStream_tbPNSt15iterator_traitsISE_E10value_typeEPNSK_ISF_E10value_typeEPSG_NS1_7vsmem_tEENKUlT_SE_SF_SG_E_clIS8_S8_S9_S9_EESD_ST_SE_SF_SG_EUlST_E0_NS1_11comp_targetILNS1_3genE0ELNS1_11target_archE4294967295ELNS1_3gpuE0ELNS1_3repE0EEENS1_38merge_mergepath_config_static_selectorELNS0_4arch9wavefront6targetE0EEEvSF_: ; @_ZN7rocprim17ROCPRIM_400000_NS6detail17trampoline_kernelINS0_14default_configENS1_38merge_sort_block_merge_config_selectorIaNS0_10empty_typeEEEZZNS1_27merge_sort_block_merge_implIS3_PaPS5_jNS1_19radix_merge_compareILb1ELb0EaNS0_19identity_decomposerEEEEE10hipError_tT0_T1_T2_jT3_P12ihipStream_tbPNSt15iterator_traitsISE_E10value_typeEPNSK_ISF_E10value_typeEPSG_NS1_7vsmem_tEENKUlT_SE_SF_SG_E_clIS8_S8_S9_S9_EESD_ST_SE_SF_SG_EUlST_E0_NS1_11comp_targetILNS1_3genE0ELNS1_11target_archE4294967295ELNS1_3gpuE0ELNS1_3repE0EEENS1_38merge_mergepath_config_static_selectorELNS0_4arch9wavefront6targetE0EEEvSF_
; %bb.0:
	s_bfe_u32 s2, ttmp6, 0x40010
	s_and_b32 s4, ttmp7, 0xffff
	s_add_co_i32 s5, s2, 1
	s_clause 0x1
	s_load_b32 s6, s[0:1], 0x30
	s_load_b64 s[2:3], s[0:1], 0x40
	s_bfe_u32 s8, ttmp6, 0x4000c
	s_mul_i32 s5, s4, s5
	s_bfe_u32 s7, ttmp6, 0x40004
	s_add_co_i32 s8, s8, 1
	s_bfe_u32 s9, ttmp6, 0x40014
	s_add_co_i32 s7, s7, s5
	s_and_b32 s5, ttmp6, 15
	s_mul_i32 s8, ttmp9, s8
	s_lshr_b32 s10, ttmp7, 16
	s_add_co_i32 s9, s9, 1
	s_add_co_i32 s5, s5, s8
	s_mul_i32 s8, s10, s9
	s_bfe_u32 s9, ttmp6, 0x40008
	s_getreg_b32 s11, hwreg(HW_REG_IB_STS2, 6, 4)
	s_add_co_i32 s9, s9, s8
	s_cmp_eq_u32 s11, 0
	s_cselect_b32 s8, s10, s9
	s_cselect_b32 s4, s4, s7
	s_wait_kmcnt 0x0
	s_mul_i32 s8, s3, s8
	s_cselect_b32 s3, ttmp9, s5
	s_add_co_i32 s4, s8, s4
	s_mov_b32 s5, 0
	s_mul_i32 s4, s4, s2
	s_delay_alu instid0(SALU_CYCLE_1) | instskip(NEXT) | instid1(SALU_CYCLE_1)
	s_add_co_i32 s4, s4, s3
	s_cmp_ge_u32 s4, s6
	s_cbranch_scc1 .LBB281_49
; %bb.1:
	v_mov_b32_e32 v1, 0
	s_add_nc_u64 s[6:7], s[0:1], 64
	global_load_b32 v2, v1, s[6:7] offset:14
	s_clause 0x2
	s_load_b64 s[8:9], s[0:1], 0x28
	s_load_b64 s[10:11], s[0:1], 0x38
	;; [unrolled: 1-line block ×3, first 2 shown]
	s_wait_kmcnt 0x0
	s_lshr_b32 s20, s8, 10
	s_delay_alu instid0(SALU_CYCLE_1) | instskip(SKIP_2) | instid1(SALU_CYCLE_1)
	s_cmp_lg_u32 s4, s20
	s_cselect_b32 s14, -1, 0
	s_lshl_b64 s[16:17], s[4:5], 2
	s_add_nc_u64 s[10:11], s[10:11], s[16:17]
	s_load_b64 s[16:17], s[10:11], 0x0
	s_wait_xcnt 0x0
	s_lshr_b32 s10, s9, 9
	s_delay_alu instid0(SALU_CYCLE_1) | instskip(NEXT) | instid1(SALU_CYCLE_1)
	s_and_b32 s10, s10, 0x7ffffe
	s_sub_co_i32 s11, 0, s10
	s_lshl_b32 s10, s4, 10
	s_and_b32 s15, s4, s11
	s_or_b32 s11, s4, s11
	s_lshl_b32 s18, s15, 11
	s_lshl_b32 s15, s15, 10
	s_add_co_i32 s18, s18, s9
	s_sub_co_i32 s19, s10, s15
	s_sub_co_i32 s15, s18, s15
	s_add_co_i32 s18, s18, s19
	s_min_u32 s19, s8, s15
	s_add_co_i32 s15, s15, s9
	s_wait_kmcnt 0x0
	s_sub_co_i32 s9, s18, s16
	s_sub_co_i32 s21, s18, s17
	s_min_u32 s18, s8, s9
	s_addk_co_i32 s21, 0x400
	s_cmp_eq_u32 s11, -1
	s_cselect_b32 s9, s15, s21
	s_cselect_b32 s11, s19, s17
	s_min_u32 s15, s9, s8
	s_sub_co_i32 s9, s11, s16
	s_sub_co_i32 s15, s15, s18
	s_cmp_lt_u32 s3, s2
	s_mov_b32 s3, s5
	s_cselect_b32 s2, 12, 18
	s_mov_b32 s17, s5
	s_add_nc_u64 s[2:3], s[6:7], s[2:3]
	s_mov_b32 s19, s5
	s_load_u16 s2, s[2:3], 0x0
	s_add_nc_u64 s[6:7], s[12:13], s[16:17]
	s_cmp_eq_u32 s4, s20
	s_add_nc_u64 s[12:13], s[12:13], s[18:19]
	s_wait_loadcnt 0x0
	v_lshrrev_b32_e32 v3, 16, v2
	v_and_b32_e32 v2, 0xffff, v2
	s_delay_alu instid0(VALU_DEP_1) | instskip(SKIP_1) | instid1(VALU_DEP_1)
	v_mul_lo_u32 v2, v2, v3
	s_wait_kmcnt 0x0
	v_mul_lo_u32 v8, v2, s2
	s_mov_b32 s2, -1
	s_delay_alu instid0(VALU_DEP_1) | instskip(NEXT) | instid1(VALU_DEP_1)
	v_add_nc_u32_e32 v6, v8, v0
	v_add_nc_u32_e32 v4, v6, v8
	s_cbranch_scc1 .LBB281_3
; %bb.2:
	v_sub_co_u32 v10, vcc_lo, v0, s9
	v_dual_mov_b32 v11, v1 :: v_dual_mov_b32 v7, v1
	v_add_nc_u64_e32 v[2:3], s[6:7], v[0:1]
	v_sub_co_u32 v14, s2, v6, s9
	s_delay_alu instid0(VALU_DEP_3) | instskip(SKIP_3) | instid1(VALU_DEP_3)
	v_add_nc_u64_e32 v[10:11], s[12:13], v[10:11]
	v_dual_mov_b32 v15, v1 :: v_dual_mov_b32 v5, v1
	v_add_nc_u64_e32 v[12:13], s[6:7], v[6:7]
	v_dual_mov_b32 v17, v1 :: v_dual_add_nc_u32 v18, v4, v8
	v_add_nc_u64_e32 v[14:15], s[12:13], v[14:15]
	v_dual_cndmask_b32 v3, v11, v3 :: v_dual_cndmask_b32 v2, v10, v2
	v_sub_co_u32 v16, vcc_lo, v4, s9
	v_add_nc_u64_e32 v[10:11], s[6:7], v[4:5]
	s_delay_alu instid0(VALU_DEP_4) | instskip(SKIP_1) | instid1(VALU_DEP_4)
	v_dual_mov_b32 v19, v1 :: v_dual_cndmask_b32 v13, v15, v13, s2
	v_dual_cndmask_b32 v12, v14, v12, s2 :: v_dual_mov_b32 v25, v1
	v_add_nc_u64_e32 v[14:15], s[12:13], v[16:17]
	v_add_nc_u32_e32 v16, v18, v8
	s_delay_alu instid0(VALU_DEP_4)
	v_add_nc_u64_e32 v[20:21], s[6:7], v[18:19]
	v_sub_co_u32 v18, s2, v18, s9
	s_add_co_i32 s11, s15, s9
	v_dual_mov_b32 v27, v1 :: v_dual_cndmask_b32 v11, v15, v11, vcc_lo
	v_add_nc_u64_e32 v[22:23], s[6:7], v[16:17]
	v_sub_co_u32 v24, s3, v16, s9
	v_dual_add_nc_u32 v16, v16, v8 :: v_dual_cndmask_b32 v10, v14, v10, vcc_lo
	v_mov_b32_e32 v29, v1
	v_add_nc_u64_e32 v[14:15], s[12:13], v[18:19]
	s_delay_alu instid0(VALU_DEP_4) | instskip(NEXT) | instid1(VALU_DEP_4)
	v_add_nc_u64_e32 v[18:19], s[12:13], v[24:25]
	v_add_nc_u32_e32 v26, v16, v8
	v_add_nc_u64_e32 v[24:25], s[6:7], v[16:17]
	v_sub_co_u32 v16, vcc_lo, v16, s9
	s_delay_alu instid0(VALU_DEP_3) | instskip(SKIP_2) | instid1(VALU_DEP_4)
	v_add_nc_u32_e32 v28, v26, v8
	v_add_nc_u64_e32 v[30:31], s[6:7], v[26:27]
	v_sub_co_u32 v26, s4, v26, s9
	v_add_nc_u64_e32 v[16:17], s[12:13], v[16:17]
	s_delay_alu instid0(VALU_DEP_4) | instskip(SKIP_3) | instid1(VALU_DEP_3)
	v_add_nc_u64_e32 v[32:33], s[6:7], v[28:29]
	v_sub_co_u32 v28, s5, v28, s9
	v_dual_cndmask_b32 v15, v15, v21, s2 :: v_dual_cndmask_b32 v14, v14, v20, s2
	v_add_nc_u64_e32 v[26:27], s[12:13], v[26:27]
	v_add_nc_u64_e32 v[20:21], s[12:13], v[28:29]
	v_dual_cndmask_b32 v19, v19, v23, s3 :: v_dual_cndmask_b32 v18, v18, v22, s3
	v_dual_cndmask_b32 v17, v17, v25 :: v_dual_cndmask_b32 v16, v16, v24
	s_delay_alu instid0(VALU_DEP_4) | instskip(NEXT) | instid1(VALU_DEP_4)
	v_dual_cndmask_b32 v23, v27, v31, s4 :: v_dual_cndmask_b32 v22, v26, v30, s4
	v_dual_cndmask_b32 v21, v21, v33, s5 :: v_dual_cndmask_b32 v20, v20, v32, s5
	global_load_u8 v1, v[2:3], off
	global_load_u8 v5, v[12:13], off
	;; [unrolled: 1-line block ×8, first 2 shown]
	s_wait_loadcnt 0x6
	v_perm_b32 v1, v1, v5, 0xc0c0004
	s_wait_loadcnt 0x4
	v_perm_b32 v2, v7, v9, 0xc0c0004
	;; [unrolled: 2-line block ×4, first 2 shown]
	v_lshl_or_b32 v2, v2, 16, v1
	s_delay_alu instid0(VALU_DEP_2)
	v_lshl_or_b32 v3, v5, 16, v3
	s_cbranch_execz .LBB281_4
	s_branch .LBB281_19
.LBB281_3:
                                        ; implicit-def: $vgpr2_vgpr3
                                        ; implicit-def: $sgpr11
	s_and_not1_b32 vcc_lo, exec_lo, s2
	s_cbranch_vccnz .LBB281_19
.LBB281_4:
	v_mov_b64_e32 v[2:3], 0
	s_add_co_i32 s11, s15, s9
	s_mov_b32 s2, exec_lo
	v_cmpx_gt_u32_e64 s11, v0
	s_cbranch_execnz .LBB281_50
; %bb.5:
	s_or_b32 exec_lo, exec_lo, s2
	s_delay_alu instid0(SALU_CYCLE_1)
	s_mov_b32 s2, exec_lo
	v_cmpx_gt_u32_e64 s11, v6
	s_cbranch_execnz .LBB281_51
.LBB281_6:
	s_or_b32 exec_lo, exec_lo, s2
	s_delay_alu instid0(SALU_CYCLE_1)
	s_mov_b32 s2, exec_lo
	v_cmpx_gt_u32_e64 s11, v4
	s_cbranch_execz .LBB281_8
.LBB281_7:
	v_sub_co_u32 v10, vcc_lo, v4, s9
	v_mov_b32_e32 v5, 0
	s_delay_alu instid0(VALU_DEP_1) | instskip(SKIP_1) | instid1(VALU_DEP_1)
	v_add_nc_u64_e32 v[6:7], s[6:7], v[4:5]
	v_mov_b32_e32 v11, v5
	v_add_nc_u64_e32 v[10:11], s[12:13], v[10:11]
	s_delay_alu instid0(VALU_DEP_1) | instskip(SKIP_3) | instid1(VALU_DEP_1)
	v_dual_cndmask_b32 v7, v11, v7 :: v_dual_cndmask_b32 v6, v10, v6
	global_load_u8 v1, v[6:7], off
	s_wait_loadcnt 0x0
	v_perm_b32 v1, v1, v2, 0xc0c0304
	v_lshlrev_b32_e32 v1, 16, v1
	s_delay_alu instid0(VALU_DEP_1)
	v_and_or_b32 v2, 0xffff, v2, v1
.LBB281_8:
	s_or_b32 exec_lo, exec_lo, s2
	v_add_nc_u32_e32 v4, v4, v8
	s_mov_b32 s2, exec_lo
	s_delay_alu instid0(VALU_DEP_1)
	v_cmpx_gt_u32_e64 s11, v4
	s_cbranch_execz .LBB281_10
; %bb.9:
	v_sub_co_u32 v10, vcc_lo, v4, s9
	v_mov_b32_e32 v5, 0
	s_delay_alu instid0(VALU_DEP_1) | instskip(SKIP_1) | instid1(VALU_DEP_1)
	v_add_nc_u64_e32 v[6:7], s[6:7], v[4:5]
	v_mov_b32_e32 v11, v5
	v_add_nc_u64_e32 v[10:11], s[12:13], v[10:11]
	s_delay_alu instid0(VALU_DEP_1) | instskip(SKIP_3) | instid1(VALU_DEP_1)
	v_dual_cndmask_b32 v7, v11, v7 :: v_dual_cndmask_b32 v6, v10, v6
	global_load_u8 v1, v[6:7], off
	s_wait_loadcnt 0x0
	v_perm_b32 v1, v2, v1, 0xc0c0006
	v_lshlrev_b32_e32 v1, 16, v1
	s_delay_alu instid0(VALU_DEP_1)
	v_and_or_b32 v2, 0xffff, v2, v1
.LBB281_10:
	s_or_b32 exec_lo, exec_lo, s2
	v_add_nc_u32_e32 v4, v4, v8
	s_mov_b32 s2, exec_lo
	s_delay_alu instid0(VALU_DEP_1)
	v_cmpx_gt_u32_e64 s11, v4
	s_cbranch_execz .LBB281_12
; %bb.11:
	v_sub_co_u32 v10, vcc_lo, v4, s9
	v_mov_b32_e32 v5, 0
	s_delay_alu instid0(VALU_DEP_1) | instskip(SKIP_1) | instid1(VALU_DEP_1)
	v_add_nc_u64_e32 v[6:7], s[6:7], v[4:5]
	v_mov_b32_e32 v11, v5
	v_add_nc_u64_e32 v[10:11], s[12:13], v[10:11]
	s_delay_alu instid0(VALU_DEP_1)
	v_dual_cndmask_b32 v7, v11, v7 :: v_dual_cndmask_b32 v6, v10, v6
	global_load_u8 v1, v[6:7], off
	s_wait_loadcnt 0x0
	v_perm_b32 v3, v1, v3, 0x3020104
.LBB281_12:
	s_or_b32 exec_lo, exec_lo, s2
	v_add_nc_u32_e32 v4, v4, v8
	s_mov_b32 s2, exec_lo
	s_delay_alu instid0(VALU_DEP_1)
	v_cmpx_gt_u32_e64 s11, v4
	s_cbranch_execz .LBB281_14
; %bb.13:
	v_sub_co_u32 v10, vcc_lo, v4, s9
	v_mov_b32_e32 v5, 0
	s_delay_alu instid0(VALU_DEP_1) | instskip(SKIP_1) | instid1(VALU_DEP_1)
	v_add_nc_u64_e32 v[6:7], s[6:7], v[4:5]
	v_mov_b32_e32 v11, v5
	v_add_nc_u64_e32 v[10:11], s[12:13], v[10:11]
	s_delay_alu instid0(VALU_DEP_1)
	v_dual_cndmask_b32 v7, v11, v7 :: v_dual_cndmask_b32 v6, v10, v6
	global_load_u8 v1, v[6:7], off
	s_wait_loadcnt 0x0
	v_perm_b32 v3, v3, v1, 0x7060004
.LBB281_14:
	;; [unrolled: 19-line block ×3, first 2 shown]
	s_or_b32 exec_lo, exec_lo, s2
	v_add_nc_u32_e32 v4, v4, v8
	s_mov_b32 s2, exec_lo
	s_delay_alu instid0(VALU_DEP_1)
	v_cmpx_gt_u32_e64 s11, v4
	s_cbranch_execz .LBB281_18
; %bb.17:
	v_mov_b32_e32 v5, 0
	s_delay_alu instid0(VALU_DEP_1) | instskip(SKIP_1) | instid1(VALU_DEP_1)
	v_add_nc_u64_e32 v[6:7], s[6:7], v[4:5]
	v_sub_co_u32 v4, vcc_lo, v4, s9
	v_add_nc_u64_e32 v[4:5], s[12:13], v[4:5]
	s_delay_alu instid0(VALU_DEP_1)
	v_dual_cndmask_b32 v5, v5, v7 :: v_dual_cndmask_b32 v4, v4, v6
	global_load_u8 v1, v[4:5], off
	s_wait_loadcnt 0x0
	v_perm_b32 v3, v3, v1, 0x60504
.LBB281_18:
	s_or_b32 exec_lo, exec_lo, s2
.LBB281_19:
	s_load_b64 s[12:13], s[0:1], 0x10
	v_dual_lshlrev_b32 v6, 3, v0 :: v_dual_lshrrev_b32 v7, 8, v2
	s_delay_alu instid0(VALU_DEP_2) | instskip(SKIP_1) | instid1(VALU_DEP_3)
	v_lshrrev_b64 v[4:5], 24, v[2:3]
	v_dual_lshrrev_b32 v8, 16, v2 :: v_dual_lshrrev_b32 v5, 8, v3
	v_min_u32_e32 v1, s11, v6
	v_dual_lshrrev_b32 v9, 16, v3 :: v_dual_lshrrev_b32 v11, 24, v3
	s_wait_xcnt 0x0
	s_mov_b32 s0, exec_lo
	ds_store_b8 v0, v2
	ds_store_b8 v0, v7 offset:128
	ds_store_b8 v0, v8 offset:256
	;; [unrolled: 1-line block ×7, first 2 shown]
	v_sub_nc_u32_e64 v10, v1, s15 clamp
	v_min_u32_e32 v12, s9, v1
	s_wait_dscnt 0x0
	s_barrier_signal -1
	s_barrier_wait -1
	s_delay_alu instid0(VALU_DEP_1)
	v_cmpx_lt_u32_e64 v10, v12
	s_cbranch_execz .LBB281_23
; %bb.20:
	v_add_nc_u32_e32 v13, s9, v1
	s_mov_b32 s1, 0
.LBB281_21:                             ; =>This Inner Loop Header: Depth=1
	v_add_nc_u32_e32 v14, v12, v10
	s_delay_alu instid0(VALU_DEP_1) | instskip(NEXT) | instid1(VALU_DEP_1)
	v_lshrrev_b32_e32 v14, 1, v14
	v_xad_u32 v15, v14, -1, v13
	ds_load_i8 v16, v14
	ds_load_i8 v15, v15
	s_wait_dscnt 0x0
	v_cmp_gt_i16_e32 vcc_lo, v15, v16
	v_dual_cndmask_b32 v12, v12, v14 :: v_dual_add_nc_u32 v17, 1, v14
	s_delay_alu instid0(VALU_DEP_1) | instskip(NEXT) | instid1(VALU_DEP_1)
	v_cndmask_b32_e32 v10, v17, v10, vcc_lo
	v_cmp_ge_u32_e32 vcc_lo, v10, v12
	s_or_b32 s1, vcc_lo, s1
	s_delay_alu instid0(SALU_CYCLE_1)
	s_and_not1_b32 exec_lo, exec_lo, s1
	s_cbranch_execnz .LBB281_21
; %bb.22:
	s_or_b32 exec_lo, exec_lo, s1
.LBB281_23:
	s_delay_alu instid0(SALU_CYCLE_1) | instskip(SKIP_2) | instid1(VALU_DEP_2)
	s_or_b32 exec_lo, exec_lo, s0
	v_sub_nc_u32_e32 v1, v1, v10
	v_cmp_ge_u32_e32 vcc_lo, s9, v10
	v_add_nc_u32_e32 v12, s9, v1
	s_delay_alu instid0(VALU_DEP_1) | instskip(SKIP_1) | instid1(SALU_CYCLE_1)
	v_cmp_ge_u32_e64 s0, s11, v12
	s_or_b32 s0, vcc_lo, s0
	s_and_saveexec_b32 s15, s0
	s_cbranch_execz .LBB281_29
; %bb.24:
	v_cmp_gt_u32_e32 vcc_lo, s9, v10
                                        ; implicit-def: $vgpr1
	s_and_saveexec_b32 s0, vcc_lo
; %bb.25:
	ds_load_u8 v1, v10
; %bb.26:
	s_or_b32 exec_lo, exec_lo, s0
	v_cmp_le_u32_e64 s0, s11, v12
	s_mov_b32 s2, exec_lo
                                        ; implicit-def: $vgpr2
	v_cmpx_gt_u32_e64 s11, v12
; %bb.27:
	ds_load_u8 v2, v12
; %bb.28:
	s_or_b32 exec_lo, exec_lo, s2
	s_wait_dscnt 0x0
	v_bfe_i32 v3, v1, 0, 8
	v_bfe_i32 v4, v2, 0, 8
	s_delay_alu instid0(VALU_DEP_1) | instskip(SKIP_1) | instid1(SALU_CYCLE_1)
	v_cmp_le_i16_e64 s1, v4, v3
	s_and_b32 s1, vcc_lo, s1
	s_or_b32 vcc_lo, s0, s1
	v_dual_mov_b32 v3, s9 :: v_dual_cndmask_b32 v4, v12, v10
	s_delay_alu instid0(VALU_DEP_1) | instskip(NEXT) | instid1(VALU_DEP_1)
	v_dual_cndmask_b32 v5, s11, v3 :: v_dual_add_nc_u32 v4, 1, v4
	v_add_min_u32_e64 v5, v5, -1, v4
	v_cndmask_b32_e32 v8, v10, v4, vcc_lo
	v_cndmask_b32_e32 v4, v4, v12, vcc_lo
	ds_load_u8 v5, v5
	v_cmp_gt_u32_e64 s0, s9, v8
	v_cmp_le_u32_e64 s2, s11, v4
	s_wait_dscnt 0x0
	v_cndmask_b32_e32 v7, v5, v2, vcc_lo
	v_cndmask_b32_e32 v5, v1, v5, vcc_lo
	v_cndmask_b32_e32 v2, v2, v1, vcc_lo
	s_delay_alu instid0(VALU_DEP_3) | instskip(NEXT) | instid1(VALU_DEP_3)
	v_bfe_i32 v9, v7, 0, 8
	v_bfe_i32 v10, v5, 0, 8
	s_delay_alu instid0(VALU_DEP_1) | instskip(SKIP_1) | instid1(SALU_CYCLE_1)
	v_cmp_le_i16_e64 s1, v9, v10
	s_and_b32 s0, s0, s1
	s_or_b32 s0, s2, s0
	s_delay_alu instid0(SALU_CYCLE_1) | instskip(NEXT) | instid1(VALU_DEP_1)
	v_cndmask_b32_e64 v9, v4, v8, s0
	v_dual_cndmask_b32 v10, s11, v3, s0 :: v_dual_add_nc_u32 v9, 1, v9
	s_delay_alu instid0(VALU_DEP_1)
	v_add_min_u32_e64 v10, v10, -1, v9
	v_dual_cndmask_b32 v8, v8, v9, s0 :: v_dual_cndmask_b32 v4, v9, v4, s0
	ds_load_u8 v10, v10
	v_cmp_gt_u32_e64 s1, s9, v8
	v_cmp_le_u32_e64 s3, s11, v4
	s_wait_dscnt 0x0
	v_dual_cndmask_b32 v11, v10, v7, s0 :: v_dual_cndmask_b32 v10, v5, v10, s0
	v_cndmask_b32_e64 v7, v7, v5, s0
	s_delay_alu instid0(VALU_DEP_2) | instskip(NEXT) | instid1(VALU_DEP_3)
	v_bfe_i32 v12, v11, 0, 8
	v_bfe_i32 v13, v10, 0, 8
	s_delay_alu instid0(VALU_DEP_1) | instskip(SKIP_1) | instid1(SALU_CYCLE_1)
	v_cmp_le_i16_e64 s2, v12, v13
	s_and_b32 s1, s1, s2
	s_or_b32 s1, s3, s1
	s_delay_alu instid0(SALU_CYCLE_1) | instskip(NEXT) | instid1(VALU_DEP_1)
	v_cndmask_b32_e64 v9, v4, v8, s1
	v_dual_cndmask_b32 v12, s11, v3, s1 :: v_dual_add_nc_u32 v9, 1, v9
	s_delay_alu instid0(VALU_DEP_1)
	v_add_min_u32_e64 v12, v12, -1, v9
	v_dual_cndmask_b32 v8, v8, v9, s1 :: v_dual_cndmask_b32 v4, v9, v4, s1
	ds_load_u8 v12, v12
	v_cmp_gt_u32_e64 s2, s9, v8
	v_cmp_le_u32_e64 s4, s11, v4
	s_wait_dscnt 0x0
	v_dual_cndmask_b32 v13, v12, v11, s1 :: v_dual_cndmask_b32 v12, v10, v12, s1
	s_delay_alu instid0(VALU_DEP_1) | instskip(NEXT) | instid1(VALU_DEP_2)
	v_bfe_i32 v14, v13, 0, 8
	v_bfe_i32 v15, v12, 0, 8
	s_delay_alu instid0(VALU_DEP_1) | instskip(SKIP_1) | instid1(SALU_CYCLE_1)
	v_cmp_le_i16_e64 s3, v14, v15
	s_and_b32 s2, s2, s3
	s_or_b32 s2, s4, s2
	s_delay_alu instid0(SALU_CYCLE_1) | instskip(NEXT) | instid1(VALU_DEP_1)
	v_cndmask_b32_e64 v9, v4, v8, s2
	v_dual_cndmask_b32 v14, s11, v3, s2 :: v_dual_add_nc_u32 v9, 1, v9
	s_delay_alu instid0(VALU_DEP_1)
	v_add_min_u32_e64 v14, v14, -1, v9
	v_cndmask_b32_e64 v4, v9, v4, s2
	ds_load_u8 v14, v14
	v_cmp_le_u32_e64 s5, s11, v4
	s_wait_dscnt 0x0
	v_dual_cndmask_b32 v15, v14, v13, s2 :: v_dual_cndmask_b32 v14, v12, v14, s2
	v_cndmask_b32_e64 v8, v8, v9, s2
	s_delay_alu instid0(VALU_DEP_2) | instskip(NEXT) | instid1(VALU_DEP_3)
	v_bfe_i32 v16, v15, 0, 8
	v_bfe_i32 v17, v14, 0, 8
	s_delay_alu instid0(VALU_DEP_3) | instskip(NEXT) | instid1(VALU_DEP_2)
	v_cmp_gt_u32_e64 s3, s9, v8
	v_cmp_le_i16_e64 s4, v16, v17
	s_and_b32 s3, s3, s4
	s_delay_alu instid0(SALU_CYCLE_1) | instskip(NEXT) | instid1(SALU_CYCLE_1)
	s_or_b32 s3, s5, s3
	v_cndmask_b32_e64 v9, v4, v8, s3
	s_delay_alu instid0(VALU_DEP_1) | instskip(NEXT) | instid1(VALU_DEP_1)
	v_dual_cndmask_b32 v16, s11, v3, s3 :: v_dual_add_nc_u32 v9, 1, v9
	v_add_min_u32_e64 v16, v16, -1, v9
	v_cndmask_b32_e64 v4, v9, v4, s3
	ds_load_u8 v16, v16
	v_cmp_le_u32_e64 s6, s11, v4
	s_wait_dscnt 0x0
	v_dual_cndmask_b32 v17, v16, v15, s3 :: v_dual_cndmask_b32 v16, v14, v16, s3
	v_cndmask_b32_e64 v8, v8, v9, s3
	s_delay_alu instid0(VALU_DEP_2) | instskip(NEXT) | instid1(VALU_DEP_3)
	v_bfe_i32 v18, v17, 0, 8
	v_bfe_i32 v19, v16, 0, 8
	s_delay_alu instid0(VALU_DEP_3) | instskip(NEXT) | instid1(VALU_DEP_2)
	v_cmp_gt_u32_e64 s4, s9, v8
	v_cmp_le_i16_e64 s5, v18, v19
	s_and_b32 s4, s4, s5
	s_delay_alu instid0(SALU_CYCLE_1) | instskip(NEXT) | instid1(SALU_CYCLE_1)
	s_or_b32 s4, s6, s4
	v_cndmask_b32_e64 v9, v4, v8, s4
	s_delay_alu instid0(VALU_DEP_1) | instskip(NEXT) | instid1(VALU_DEP_1)
	v_dual_cndmask_b32 v18, s11, v3, s4 :: v_dual_add_nc_u32 v9, 1, v9
	v_add_min_u32_e64 v18, v18, -1, v9
	v_dual_cndmask_b32 v4, v9, v4, s4 :: v_dual_cndmask_b32 v8, v8, v9, s4
	ds_load_u8 v18, v18
	v_cmp_le_u32_e64 s7, s11, v4
	v_cmp_gt_u32_e64 s5, s9, v8
	s_wait_dscnt 0x0
	v_dual_cndmask_b32 v19, v18, v17, s4 :: v_dual_cndmask_b32 v18, v16, v18, s4
	s_delay_alu instid0(VALU_DEP_1) | instskip(NEXT) | instid1(VALU_DEP_2)
	v_bfe_i32 v20, v19, 0, 8
	v_bfe_i32 v21, v18, 0, 8
	s_delay_alu instid0(VALU_DEP_1) | instskip(SKIP_1) | instid1(SALU_CYCLE_1)
	v_cmp_le_i16_e64 s6, v20, v21
	s_and_b32 s5, s5, s6
	s_or_b32 s5, s7, s5
	s_delay_alu instid0(SALU_CYCLE_1) | instskip(NEXT) | instid1(VALU_DEP_1)
	v_cndmask_b32_e64 v9, v4, v8, s5
	v_dual_cndmask_b32 v3, s11, v3, s5 :: v_dual_add_nc_u32 v9, 1, v9
	s_delay_alu instid0(VALU_DEP_1)
	v_add_min_u32_e64 v3, v3, -1, v9
	v_dual_cndmask_b32 v5, v9, v4, s5 :: v_dual_cndmask_b32 v1, v8, v9, s5
	v_dual_cndmask_b32 v8, v11, v10, s1 :: v_dual_cndmask_b32 v4, v13, v12, s2
	ds_load_u8 v3, v3
	v_cmp_le_u32_e64 s1, s11, v5
	v_cmp_gt_u32_e32 vcc_lo, s9, v1
	v_dual_cndmask_b32 v5, v17, v16, s4 :: v_dual_cndmask_b32 v9, v19, v18, s5
	s_wait_dscnt 0x0
	v_cndmask_b32_e64 v20, v3, v19, s5
	v_cndmask_b32_e64 v21, v18, v3, s5
	s_delay_alu instid0(VALU_DEP_2) | instskip(NEXT) | instid1(VALU_DEP_2)
	v_bfe_i32 v3, v20, 0, 8
	v_bfe_i32 v22, v21, 0, 8
	s_delay_alu instid0(VALU_DEP_1) | instskip(SKIP_2) | instid1(SALU_CYCLE_1)
	v_cmp_le_i16_e64 s0, v3, v22
	v_cndmask_b32_e64 v3, v15, v14, s3
	s_and_b32 s0, vcc_lo, s0
	s_or_b32 vcc_lo, s1, s0
	v_cndmask_b32_e32 v11, v20, v21, vcc_lo
.LBB281_29:
	s_or_b32 exec_lo, exec_lo, s15
	v_dual_mov_b32 v1, 0 :: v_dual_lshrrev_b32 v10, 2, v0
	v_perm_b32 v3, v3, v5, 0xc0c0004
	s_delay_alu instid0(VALU_DEP_3) | instskip(SKIP_1) | instid1(VALU_DEP_4)
	v_perm_b32 v5, v9, v11, 0xc0c0004
	v_perm_b32 v2, v2, v7, 0xc0c0004
	v_and_b32_e32 v10, 28, v10
	v_perm_b32 v4, v8, v4, 0xc0c0004
	s_mov_b32 s11, 0
	v_lshl_or_b32 v3, v5, 16, v3
	s_wait_kmcnt 0x0
	s_add_nc_u64 s[0:1], s[12:13], s[10:11]
	v_lshl_or_b32 v2, v4, 16, v2
	v_dual_add_nc_u32 v4, 4, v0 :: v_dual_add_nc_u32 v6, v10, v6
	v_add_nc_u32_e32 v5, 8, v0
	s_barrier_signal -1
	s_barrier_wait -1
	s_barrier_signal -1
	s_barrier_wait -1
	ds_store_2addr_b32 v6, v2, v3 offset1:1
	v_add_nc_u64_e32 v[2:3], s[0:1], v[0:1]
	v_dual_add_nc_u32 v6, 12, v0 :: v_dual_add_nc_u32 v7, 16, v0
	v_dual_add_nc_u32 v8, 20, v0 :: v_dual_add_nc_u32 v9, 24, v0
	v_add_nc_u32_e32 v10, 28, v0
	s_and_b32 vcc_lo, exec_lo, s14
	s_wait_dscnt 0x0
	s_cbranch_vccz .LBB281_31
; %bb.30:
	s_barrier_signal -1
	s_barrier_wait -1
	ds_load_u8 v11, v0
	ds_load_u8 v12, v4 offset:128
	ds_load_u8 v13, v5 offset:256
	;; [unrolled: 1-line block ×7, first 2 shown]
	s_mov_b32 s11, -1
	s_wait_dscnt 0x7
	global_store_b8 v[2:3], v11, off
	s_wait_dscnt 0x6
	global_store_b8 v[2:3], v12, off offset:128
	s_wait_dscnt 0x5
	global_store_b8 v[2:3], v13, off offset:256
	;; [unrolled: 2-line block ×6, first 2 shown]
	s_cbranch_execz .LBB281_32
	s_branch .LBB281_47
.LBB281_31:
                                        ; implicit-def: $vgpr1
.LBB281_32:
	s_barrier_signal -1
	s_barrier_wait -1
	s_wait_storecnt_dscnt 0x0
	s_wait_xcnt 0x4
	ds_load_u8 v13, v4 offset:128
	ds_load_u8 v12, v5 offset:256
	;; [unrolled: 1-line block ×7, first 2 shown]
	v_or_b32_e32 v7, 0x80, v0
	s_sub_co_i32 s0, s8, s10
	s_mov_b32 s1, exec_lo
	s_wait_xcnt 0x0
	v_cmpx_gt_u32_e64 s0, v0
	s_cbranch_execz .LBB281_34
; %bb.33:
	ds_load_u8 v8, v0
	s_wait_dscnt 0x0
	global_store_b8 v[2:3], v8, off
.LBB281_34:
	s_wait_xcnt 0x0
	s_or_b32 exec_lo, exec_lo, s1
	v_or_b32_e32 v8, 0x100, v0
	s_mov_b32 s1, exec_lo
	v_cmpx_gt_u32_e64 s0, v7
	s_cbranch_execz .LBB281_36
; %bb.35:
	s_wait_dscnt 0x6
	global_store_b8 v[2:3], v13, off offset:128
.LBB281_36:
	s_wait_xcnt 0x0
	s_or_b32 exec_lo, exec_lo, s1
	v_or_b32_e32 v7, 0x180, v0
	s_mov_b32 s1, exec_lo
	v_cmpx_gt_u32_e64 s0, v8
	s_cbranch_execz .LBB281_38
; %bb.37:
	s_wait_dscnt 0x5
	global_store_b8 v[2:3], v12, off offset:256
.LBB281_38:
	;; [unrolled: 10-line block ×4, first 2 shown]
	s_wait_xcnt 0x0
	s_or_b32 exec_lo, exec_lo, s1
	s_wait_dscnt 0x3
	v_or_b32_e32 v6, 0x300, v0
	s_mov_b32 s1, exec_lo
	v_cmpx_gt_u32_e64 s0, v7
	s_cbranch_execz .LBB281_44
; %bb.43:
	s_wait_dscnt 0x2
	global_store_b8 v[2:3], v5, off offset:640
.LBB281_44:
	s_wait_xcnt 0x0
	s_or_b32 exec_lo, exec_lo, s1
	v_or_b32_e32 v0, 0x380, v0
	s_mov_b32 s1, exec_lo
	v_cmpx_gt_u32_e64 s0, v6
	s_cbranch_execz .LBB281_46
; %bb.45:
	s_wait_dscnt 0x1
	global_store_b8 v[2:3], v4, off offset:768
.LBB281_46:
	s_wait_xcnt 0x0
	s_or_b32 exec_lo, exec_lo, s1
	v_cmp_gt_u32_e64 s11, s0, v0
.LBB281_47:
	s_wait_xcnt 0x0
	s_delay_alu instid0(VALU_DEP_1)
	s_and_saveexec_b32 s0, s11
	s_cbranch_execz .LBB281_49
; %bb.48:
	s_wait_dscnt 0x0
	global_store_b8 v[2:3], v1, off offset:896
.LBB281_49:
	s_endpgm
.LBB281_50:
	v_sub_co_u32 v10, vcc_lo, v0, s9
	v_mov_b32_e32 v1, 0
	s_mov_b32 s3, 0
	s_delay_alu instid0(VALU_DEP_1) | instskip(SKIP_1) | instid1(VALU_DEP_1)
	v_add_nc_u64_e32 v[2:3], s[6:7], v[0:1]
	v_mov_b32_e32 v11, v1
	v_add_nc_u64_e32 v[10:11], s[12:13], v[10:11]
	s_delay_alu instid0(VALU_DEP_1)
	v_dual_cndmask_b32 v3, v11, v3 :: v_dual_cndmask_b32 v2, v10, v2
	global_load_u8 v1, v[2:3], off
	s_wait_xcnt 0x0
	v_mov_b32_e32 v3, s3
	s_wait_loadcnt 0x0
	v_and_b32_e32 v2, 0xffff, v1
	s_or_b32 exec_lo, exec_lo, s2
	s_delay_alu instid0(SALU_CYCLE_1)
	s_mov_b32 s2, exec_lo
	v_cmpx_gt_u32_e64 s11, v6
	s_cbranch_execz .LBB281_6
.LBB281_51:
	v_mov_b32_e32 v7, 0
	s_delay_alu instid0(VALU_DEP_1) | instskip(SKIP_1) | instid1(VALU_DEP_1)
	v_add_nc_u64_e32 v[10:11], s[6:7], v[6:7]
	v_sub_co_u32 v6, vcc_lo, v6, s9
	v_add_nc_u64_e32 v[6:7], s[12:13], v[6:7]
	s_delay_alu instid0(VALU_DEP_1) | instskip(SKIP_4) | instid1(SALU_CYCLE_1)
	v_dual_cndmask_b32 v7, v7, v11 :: v_dual_cndmask_b32 v6, v6, v10
	global_load_u8 v1, v[6:7], off
	s_wait_loadcnt 0x0
	v_perm_b32 v2, v2, v1, 0x7060004
	s_or_b32 exec_lo, exec_lo, s2
	s_mov_b32 s2, exec_lo
	v_cmpx_gt_u32_e64 s11, v4
	s_cbranch_execnz .LBB281_7
	s_branch .LBB281_8
	.section	.rodata,"a",@progbits
	.p2align	6, 0x0
	.amdhsa_kernel _ZN7rocprim17ROCPRIM_400000_NS6detail17trampoline_kernelINS0_14default_configENS1_38merge_sort_block_merge_config_selectorIaNS0_10empty_typeEEEZZNS1_27merge_sort_block_merge_implIS3_PaPS5_jNS1_19radix_merge_compareILb1ELb0EaNS0_19identity_decomposerEEEEE10hipError_tT0_T1_T2_jT3_P12ihipStream_tbPNSt15iterator_traitsISE_E10value_typeEPNSK_ISF_E10value_typeEPSG_NS1_7vsmem_tEENKUlT_SE_SF_SG_E_clIS8_S8_S9_S9_EESD_ST_SE_SF_SG_EUlST_E0_NS1_11comp_targetILNS1_3genE0ELNS1_11target_archE4294967295ELNS1_3gpuE0ELNS1_3repE0EEENS1_38merge_mergepath_config_static_selectorELNS0_4arch9wavefront6targetE0EEEvSF_
		.amdhsa_group_segment_fixed_size 1056
		.amdhsa_private_segment_fixed_size 0
		.amdhsa_kernarg_size 320
		.amdhsa_user_sgpr_count 2
		.amdhsa_user_sgpr_dispatch_ptr 0
		.amdhsa_user_sgpr_queue_ptr 0
		.amdhsa_user_sgpr_kernarg_segment_ptr 1
		.amdhsa_user_sgpr_dispatch_id 0
		.amdhsa_user_sgpr_kernarg_preload_length 0
		.amdhsa_user_sgpr_kernarg_preload_offset 0
		.amdhsa_user_sgpr_private_segment_size 0
		.amdhsa_wavefront_size32 1
		.amdhsa_uses_dynamic_stack 0
		.amdhsa_enable_private_segment 0
		.amdhsa_system_sgpr_workgroup_id_x 1
		.amdhsa_system_sgpr_workgroup_id_y 1
		.amdhsa_system_sgpr_workgroup_id_z 1
		.amdhsa_system_sgpr_workgroup_info 0
		.amdhsa_system_vgpr_workitem_id 0
		.amdhsa_next_free_vgpr 34
		.amdhsa_next_free_sgpr 22
		.amdhsa_named_barrier_count 0
		.amdhsa_reserve_vcc 1
		.amdhsa_float_round_mode_32 0
		.amdhsa_float_round_mode_16_64 0
		.amdhsa_float_denorm_mode_32 3
		.amdhsa_float_denorm_mode_16_64 3
		.amdhsa_fp16_overflow 0
		.amdhsa_memory_ordered 1
		.amdhsa_forward_progress 1
		.amdhsa_inst_pref_size 32
		.amdhsa_round_robin_scheduling 0
		.amdhsa_exception_fp_ieee_invalid_op 0
		.amdhsa_exception_fp_denorm_src 0
		.amdhsa_exception_fp_ieee_div_zero 0
		.amdhsa_exception_fp_ieee_overflow 0
		.amdhsa_exception_fp_ieee_underflow 0
		.amdhsa_exception_fp_ieee_inexact 0
		.amdhsa_exception_int_div_zero 0
	.end_amdhsa_kernel
	.section	.text._ZN7rocprim17ROCPRIM_400000_NS6detail17trampoline_kernelINS0_14default_configENS1_38merge_sort_block_merge_config_selectorIaNS0_10empty_typeEEEZZNS1_27merge_sort_block_merge_implIS3_PaPS5_jNS1_19radix_merge_compareILb1ELb0EaNS0_19identity_decomposerEEEEE10hipError_tT0_T1_T2_jT3_P12ihipStream_tbPNSt15iterator_traitsISE_E10value_typeEPNSK_ISF_E10value_typeEPSG_NS1_7vsmem_tEENKUlT_SE_SF_SG_E_clIS8_S8_S9_S9_EESD_ST_SE_SF_SG_EUlST_E0_NS1_11comp_targetILNS1_3genE0ELNS1_11target_archE4294967295ELNS1_3gpuE0ELNS1_3repE0EEENS1_38merge_mergepath_config_static_selectorELNS0_4arch9wavefront6targetE0EEEvSF_,"axG",@progbits,_ZN7rocprim17ROCPRIM_400000_NS6detail17trampoline_kernelINS0_14default_configENS1_38merge_sort_block_merge_config_selectorIaNS0_10empty_typeEEEZZNS1_27merge_sort_block_merge_implIS3_PaPS5_jNS1_19radix_merge_compareILb1ELb0EaNS0_19identity_decomposerEEEEE10hipError_tT0_T1_T2_jT3_P12ihipStream_tbPNSt15iterator_traitsISE_E10value_typeEPNSK_ISF_E10value_typeEPSG_NS1_7vsmem_tEENKUlT_SE_SF_SG_E_clIS8_S8_S9_S9_EESD_ST_SE_SF_SG_EUlST_E0_NS1_11comp_targetILNS1_3genE0ELNS1_11target_archE4294967295ELNS1_3gpuE0ELNS1_3repE0EEENS1_38merge_mergepath_config_static_selectorELNS0_4arch9wavefront6targetE0EEEvSF_,comdat
.Lfunc_end281:
	.size	_ZN7rocprim17ROCPRIM_400000_NS6detail17trampoline_kernelINS0_14default_configENS1_38merge_sort_block_merge_config_selectorIaNS0_10empty_typeEEEZZNS1_27merge_sort_block_merge_implIS3_PaPS5_jNS1_19radix_merge_compareILb1ELb0EaNS0_19identity_decomposerEEEEE10hipError_tT0_T1_T2_jT3_P12ihipStream_tbPNSt15iterator_traitsISE_E10value_typeEPNSK_ISF_E10value_typeEPSG_NS1_7vsmem_tEENKUlT_SE_SF_SG_E_clIS8_S8_S9_S9_EESD_ST_SE_SF_SG_EUlST_E0_NS1_11comp_targetILNS1_3genE0ELNS1_11target_archE4294967295ELNS1_3gpuE0ELNS1_3repE0EEENS1_38merge_mergepath_config_static_selectorELNS0_4arch9wavefront6targetE0EEEvSF_, .Lfunc_end281-_ZN7rocprim17ROCPRIM_400000_NS6detail17trampoline_kernelINS0_14default_configENS1_38merge_sort_block_merge_config_selectorIaNS0_10empty_typeEEEZZNS1_27merge_sort_block_merge_implIS3_PaPS5_jNS1_19radix_merge_compareILb1ELb0EaNS0_19identity_decomposerEEEEE10hipError_tT0_T1_T2_jT3_P12ihipStream_tbPNSt15iterator_traitsISE_E10value_typeEPNSK_ISF_E10value_typeEPSG_NS1_7vsmem_tEENKUlT_SE_SF_SG_E_clIS8_S8_S9_S9_EESD_ST_SE_SF_SG_EUlST_E0_NS1_11comp_targetILNS1_3genE0ELNS1_11target_archE4294967295ELNS1_3gpuE0ELNS1_3repE0EEENS1_38merge_mergepath_config_static_selectorELNS0_4arch9wavefront6targetE0EEEvSF_
                                        ; -- End function
	.set _ZN7rocprim17ROCPRIM_400000_NS6detail17trampoline_kernelINS0_14default_configENS1_38merge_sort_block_merge_config_selectorIaNS0_10empty_typeEEEZZNS1_27merge_sort_block_merge_implIS3_PaPS5_jNS1_19radix_merge_compareILb1ELb0EaNS0_19identity_decomposerEEEEE10hipError_tT0_T1_T2_jT3_P12ihipStream_tbPNSt15iterator_traitsISE_E10value_typeEPNSK_ISF_E10value_typeEPSG_NS1_7vsmem_tEENKUlT_SE_SF_SG_E_clIS8_S8_S9_S9_EESD_ST_SE_SF_SG_EUlST_E0_NS1_11comp_targetILNS1_3genE0ELNS1_11target_archE4294967295ELNS1_3gpuE0ELNS1_3repE0EEENS1_38merge_mergepath_config_static_selectorELNS0_4arch9wavefront6targetE0EEEvSF_.num_vgpr, 34
	.set _ZN7rocprim17ROCPRIM_400000_NS6detail17trampoline_kernelINS0_14default_configENS1_38merge_sort_block_merge_config_selectorIaNS0_10empty_typeEEEZZNS1_27merge_sort_block_merge_implIS3_PaPS5_jNS1_19radix_merge_compareILb1ELb0EaNS0_19identity_decomposerEEEEE10hipError_tT0_T1_T2_jT3_P12ihipStream_tbPNSt15iterator_traitsISE_E10value_typeEPNSK_ISF_E10value_typeEPSG_NS1_7vsmem_tEENKUlT_SE_SF_SG_E_clIS8_S8_S9_S9_EESD_ST_SE_SF_SG_EUlST_E0_NS1_11comp_targetILNS1_3genE0ELNS1_11target_archE4294967295ELNS1_3gpuE0ELNS1_3repE0EEENS1_38merge_mergepath_config_static_selectorELNS0_4arch9wavefront6targetE0EEEvSF_.num_agpr, 0
	.set _ZN7rocprim17ROCPRIM_400000_NS6detail17trampoline_kernelINS0_14default_configENS1_38merge_sort_block_merge_config_selectorIaNS0_10empty_typeEEEZZNS1_27merge_sort_block_merge_implIS3_PaPS5_jNS1_19radix_merge_compareILb1ELb0EaNS0_19identity_decomposerEEEEE10hipError_tT0_T1_T2_jT3_P12ihipStream_tbPNSt15iterator_traitsISE_E10value_typeEPNSK_ISF_E10value_typeEPSG_NS1_7vsmem_tEENKUlT_SE_SF_SG_E_clIS8_S8_S9_S9_EESD_ST_SE_SF_SG_EUlST_E0_NS1_11comp_targetILNS1_3genE0ELNS1_11target_archE4294967295ELNS1_3gpuE0ELNS1_3repE0EEENS1_38merge_mergepath_config_static_selectorELNS0_4arch9wavefront6targetE0EEEvSF_.numbered_sgpr, 22
	.set _ZN7rocprim17ROCPRIM_400000_NS6detail17trampoline_kernelINS0_14default_configENS1_38merge_sort_block_merge_config_selectorIaNS0_10empty_typeEEEZZNS1_27merge_sort_block_merge_implIS3_PaPS5_jNS1_19radix_merge_compareILb1ELb0EaNS0_19identity_decomposerEEEEE10hipError_tT0_T1_T2_jT3_P12ihipStream_tbPNSt15iterator_traitsISE_E10value_typeEPNSK_ISF_E10value_typeEPSG_NS1_7vsmem_tEENKUlT_SE_SF_SG_E_clIS8_S8_S9_S9_EESD_ST_SE_SF_SG_EUlST_E0_NS1_11comp_targetILNS1_3genE0ELNS1_11target_archE4294967295ELNS1_3gpuE0ELNS1_3repE0EEENS1_38merge_mergepath_config_static_selectorELNS0_4arch9wavefront6targetE0EEEvSF_.num_named_barrier, 0
	.set _ZN7rocprim17ROCPRIM_400000_NS6detail17trampoline_kernelINS0_14default_configENS1_38merge_sort_block_merge_config_selectorIaNS0_10empty_typeEEEZZNS1_27merge_sort_block_merge_implIS3_PaPS5_jNS1_19radix_merge_compareILb1ELb0EaNS0_19identity_decomposerEEEEE10hipError_tT0_T1_T2_jT3_P12ihipStream_tbPNSt15iterator_traitsISE_E10value_typeEPNSK_ISF_E10value_typeEPSG_NS1_7vsmem_tEENKUlT_SE_SF_SG_E_clIS8_S8_S9_S9_EESD_ST_SE_SF_SG_EUlST_E0_NS1_11comp_targetILNS1_3genE0ELNS1_11target_archE4294967295ELNS1_3gpuE0ELNS1_3repE0EEENS1_38merge_mergepath_config_static_selectorELNS0_4arch9wavefront6targetE0EEEvSF_.private_seg_size, 0
	.set _ZN7rocprim17ROCPRIM_400000_NS6detail17trampoline_kernelINS0_14default_configENS1_38merge_sort_block_merge_config_selectorIaNS0_10empty_typeEEEZZNS1_27merge_sort_block_merge_implIS3_PaPS5_jNS1_19radix_merge_compareILb1ELb0EaNS0_19identity_decomposerEEEEE10hipError_tT0_T1_T2_jT3_P12ihipStream_tbPNSt15iterator_traitsISE_E10value_typeEPNSK_ISF_E10value_typeEPSG_NS1_7vsmem_tEENKUlT_SE_SF_SG_E_clIS8_S8_S9_S9_EESD_ST_SE_SF_SG_EUlST_E0_NS1_11comp_targetILNS1_3genE0ELNS1_11target_archE4294967295ELNS1_3gpuE0ELNS1_3repE0EEENS1_38merge_mergepath_config_static_selectorELNS0_4arch9wavefront6targetE0EEEvSF_.uses_vcc, 1
	.set _ZN7rocprim17ROCPRIM_400000_NS6detail17trampoline_kernelINS0_14default_configENS1_38merge_sort_block_merge_config_selectorIaNS0_10empty_typeEEEZZNS1_27merge_sort_block_merge_implIS3_PaPS5_jNS1_19radix_merge_compareILb1ELb0EaNS0_19identity_decomposerEEEEE10hipError_tT0_T1_T2_jT3_P12ihipStream_tbPNSt15iterator_traitsISE_E10value_typeEPNSK_ISF_E10value_typeEPSG_NS1_7vsmem_tEENKUlT_SE_SF_SG_E_clIS8_S8_S9_S9_EESD_ST_SE_SF_SG_EUlST_E0_NS1_11comp_targetILNS1_3genE0ELNS1_11target_archE4294967295ELNS1_3gpuE0ELNS1_3repE0EEENS1_38merge_mergepath_config_static_selectorELNS0_4arch9wavefront6targetE0EEEvSF_.uses_flat_scratch, 0
	.set _ZN7rocprim17ROCPRIM_400000_NS6detail17trampoline_kernelINS0_14default_configENS1_38merge_sort_block_merge_config_selectorIaNS0_10empty_typeEEEZZNS1_27merge_sort_block_merge_implIS3_PaPS5_jNS1_19radix_merge_compareILb1ELb0EaNS0_19identity_decomposerEEEEE10hipError_tT0_T1_T2_jT3_P12ihipStream_tbPNSt15iterator_traitsISE_E10value_typeEPNSK_ISF_E10value_typeEPSG_NS1_7vsmem_tEENKUlT_SE_SF_SG_E_clIS8_S8_S9_S9_EESD_ST_SE_SF_SG_EUlST_E0_NS1_11comp_targetILNS1_3genE0ELNS1_11target_archE4294967295ELNS1_3gpuE0ELNS1_3repE0EEENS1_38merge_mergepath_config_static_selectorELNS0_4arch9wavefront6targetE0EEEvSF_.has_dyn_sized_stack, 0
	.set _ZN7rocprim17ROCPRIM_400000_NS6detail17trampoline_kernelINS0_14default_configENS1_38merge_sort_block_merge_config_selectorIaNS0_10empty_typeEEEZZNS1_27merge_sort_block_merge_implIS3_PaPS5_jNS1_19radix_merge_compareILb1ELb0EaNS0_19identity_decomposerEEEEE10hipError_tT0_T1_T2_jT3_P12ihipStream_tbPNSt15iterator_traitsISE_E10value_typeEPNSK_ISF_E10value_typeEPSG_NS1_7vsmem_tEENKUlT_SE_SF_SG_E_clIS8_S8_S9_S9_EESD_ST_SE_SF_SG_EUlST_E0_NS1_11comp_targetILNS1_3genE0ELNS1_11target_archE4294967295ELNS1_3gpuE0ELNS1_3repE0EEENS1_38merge_mergepath_config_static_selectorELNS0_4arch9wavefront6targetE0EEEvSF_.has_recursion, 0
	.set _ZN7rocprim17ROCPRIM_400000_NS6detail17trampoline_kernelINS0_14default_configENS1_38merge_sort_block_merge_config_selectorIaNS0_10empty_typeEEEZZNS1_27merge_sort_block_merge_implIS3_PaPS5_jNS1_19radix_merge_compareILb1ELb0EaNS0_19identity_decomposerEEEEE10hipError_tT0_T1_T2_jT3_P12ihipStream_tbPNSt15iterator_traitsISE_E10value_typeEPNSK_ISF_E10value_typeEPSG_NS1_7vsmem_tEENKUlT_SE_SF_SG_E_clIS8_S8_S9_S9_EESD_ST_SE_SF_SG_EUlST_E0_NS1_11comp_targetILNS1_3genE0ELNS1_11target_archE4294967295ELNS1_3gpuE0ELNS1_3repE0EEENS1_38merge_mergepath_config_static_selectorELNS0_4arch9wavefront6targetE0EEEvSF_.has_indirect_call, 0
	.section	.AMDGPU.csdata,"",@progbits
; Kernel info:
; codeLenInByte = 4016
; TotalNumSgprs: 24
; NumVgprs: 34
; ScratchSize: 0
; MemoryBound: 0
; FloatMode: 240
; IeeeMode: 1
; LDSByteSize: 1056 bytes/workgroup (compile time only)
; SGPRBlocks: 0
; VGPRBlocks: 2
; NumSGPRsForWavesPerEU: 24
; NumVGPRsForWavesPerEU: 34
; NamedBarCnt: 0
; Occupancy: 16
; WaveLimiterHint : 1
; COMPUTE_PGM_RSRC2:SCRATCH_EN: 0
; COMPUTE_PGM_RSRC2:USER_SGPR: 2
; COMPUTE_PGM_RSRC2:TRAP_HANDLER: 0
; COMPUTE_PGM_RSRC2:TGID_X_EN: 1
; COMPUTE_PGM_RSRC2:TGID_Y_EN: 1
; COMPUTE_PGM_RSRC2:TGID_Z_EN: 1
; COMPUTE_PGM_RSRC2:TIDIG_COMP_CNT: 0
	.section	.text._ZN7rocprim17ROCPRIM_400000_NS6detail17trampoline_kernelINS0_14default_configENS1_38merge_sort_block_merge_config_selectorIaNS0_10empty_typeEEEZZNS1_27merge_sort_block_merge_implIS3_PaPS5_jNS1_19radix_merge_compareILb1ELb0EaNS0_19identity_decomposerEEEEE10hipError_tT0_T1_T2_jT3_P12ihipStream_tbPNSt15iterator_traitsISE_E10value_typeEPNSK_ISF_E10value_typeEPSG_NS1_7vsmem_tEENKUlT_SE_SF_SG_E_clIS8_S8_S9_S9_EESD_ST_SE_SF_SG_EUlST_E0_NS1_11comp_targetILNS1_3genE10ELNS1_11target_archE1201ELNS1_3gpuE5ELNS1_3repE0EEENS1_38merge_mergepath_config_static_selectorELNS0_4arch9wavefront6targetE0EEEvSF_,"axG",@progbits,_ZN7rocprim17ROCPRIM_400000_NS6detail17trampoline_kernelINS0_14default_configENS1_38merge_sort_block_merge_config_selectorIaNS0_10empty_typeEEEZZNS1_27merge_sort_block_merge_implIS3_PaPS5_jNS1_19radix_merge_compareILb1ELb0EaNS0_19identity_decomposerEEEEE10hipError_tT0_T1_T2_jT3_P12ihipStream_tbPNSt15iterator_traitsISE_E10value_typeEPNSK_ISF_E10value_typeEPSG_NS1_7vsmem_tEENKUlT_SE_SF_SG_E_clIS8_S8_S9_S9_EESD_ST_SE_SF_SG_EUlST_E0_NS1_11comp_targetILNS1_3genE10ELNS1_11target_archE1201ELNS1_3gpuE5ELNS1_3repE0EEENS1_38merge_mergepath_config_static_selectorELNS0_4arch9wavefront6targetE0EEEvSF_,comdat
	.protected	_ZN7rocprim17ROCPRIM_400000_NS6detail17trampoline_kernelINS0_14default_configENS1_38merge_sort_block_merge_config_selectorIaNS0_10empty_typeEEEZZNS1_27merge_sort_block_merge_implIS3_PaPS5_jNS1_19radix_merge_compareILb1ELb0EaNS0_19identity_decomposerEEEEE10hipError_tT0_T1_T2_jT3_P12ihipStream_tbPNSt15iterator_traitsISE_E10value_typeEPNSK_ISF_E10value_typeEPSG_NS1_7vsmem_tEENKUlT_SE_SF_SG_E_clIS8_S8_S9_S9_EESD_ST_SE_SF_SG_EUlST_E0_NS1_11comp_targetILNS1_3genE10ELNS1_11target_archE1201ELNS1_3gpuE5ELNS1_3repE0EEENS1_38merge_mergepath_config_static_selectorELNS0_4arch9wavefront6targetE0EEEvSF_ ; -- Begin function _ZN7rocprim17ROCPRIM_400000_NS6detail17trampoline_kernelINS0_14default_configENS1_38merge_sort_block_merge_config_selectorIaNS0_10empty_typeEEEZZNS1_27merge_sort_block_merge_implIS3_PaPS5_jNS1_19radix_merge_compareILb1ELb0EaNS0_19identity_decomposerEEEEE10hipError_tT0_T1_T2_jT3_P12ihipStream_tbPNSt15iterator_traitsISE_E10value_typeEPNSK_ISF_E10value_typeEPSG_NS1_7vsmem_tEENKUlT_SE_SF_SG_E_clIS8_S8_S9_S9_EESD_ST_SE_SF_SG_EUlST_E0_NS1_11comp_targetILNS1_3genE10ELNS1_11target_archE1201ELNS1_3gpuE5ELNS1_3repE0EEENS1_38merge_mergepath_config_static_selectorELNS0_4arch9wavefront6targetE0EEEvSF_
	.globl	_ZN7rocprim17ROCPRIM_400000_NS6detail17trampoline_kernelINS0_14default_configENS1_38merge_sort_block_merge_config_selectorIaNS0_10empty_typeEEEZZNS1_27merge_sort_block_merge_implIS3_PaPS5_jNS1_19radix_merge_compareILb1ELb0EaNS0_19identity_decomposerEEEEE10hipError_tT0_T1_T2_jT3_P12ihipStream_tbPNSt15iterator_traitsISE_E10value_typeEPNSK_ISF_E10value_typeEPSG_NS1_7vsmem_tEENKUlT_SE_SF_SG_E_clIS8_S8_S9_S9_EESD_ST_SE_SF_SG_EUlST_E0_NS1_11comp_targetILNS1_3genE10ELNS1_11target_archE1201ELNS1_3gpuE5ELNS1_3repE0EEENS1_38merge_mergepath_config_static_selectorELNS0_4arch9wavefront6targetE0EEEvSF_
	.p2align	8
	.type	_ZN7rocprim17ROCPRIM_400000_NS6detail17trampoline_kernelINS0_14default_configENS1_38merge_sort_block_merge_config_selectorIaNS0_10empty_typeEEEZZNS1_27merge_sort_block_merge_implIS3_PaPS5_jNS1_19radix_merge_compareILb1ELb0EaNS0_19identity_decomposerEEEEE10hipError_tT0_T1_T2_jT3_P12ihipStream_tbPNSt15iterator_traitsISE_E10value_typeEPNSK_ISF_E10value_typeEPSG_NS1_7vsmem_tEENKUlT_SE_SF_SG_E_clIS8_S8_S9_S9_EESD_ST_SE_SF_SG_EUlST_E0_NS1_11comp_targetILNS1_3genE10ELNS1_11target_archE1201ELNS1_3gpuE5ELNS1_3repE0EEENS1_38merge_mergepath_config_static_selectorELNS0_4arch9wavefront6targetE0EEEvSF_,@function
_ZN7rocprim17ROCPRIM_400000_NS6detail17trampoline_kernelINS0_14default_configENS1_38merge_sort_block_merge_config_selectorIaNS0_10empty_typeEEEZZNS1_27merge_sort_block_merge_implIS3_PaPS5_jNS1_19radix_merge_compareILb1ELb0EaNS0_19identity_decomposerEEEEE10hipError_tT0_T1_T2_jT3_P12ihipStream_tbPNSt15iterator_traitsISE_E10value_typeEPNSK_ISF_E10value_typeEPSG_NS1_7vsmem_tEENKUlT_SE_SF_SG_E_clIS8_S8_S9_S9_EESD_ST_SE_SF_SG_EUlST_E0_NS1_11comp_targetILNS1_3genE10ELNS1_11target_archE1201ELNS1_3gpuE5ELNS1_3repE0EEENS1_38merge_mergepath_config_static_selectorELNS0_4arch9wavefront6targetE0EEEvSF_: ; @_ZN7rocprim17ROCPRIM_400000_NS6detail17trampoline_kernelINS0_14default_configENS1_38merge_sort_block_merge_config_selectorIaNS0_10empty_typeEEEZZNS1_27merge_sort_block_merge_implIS3_PaPS5_jNS1_19radix_merge_compareILb1ELb0EaNS0_19identity_decomposerEEEEE10hipError_tT0_T1_T2_jT3_P12ihipStream_tbPNSt15iterator_traitsISE_E10value_typeEPNSK_ISF_E10value_typeEPSG_NS1_7vsmem_tEENKUlT_SE_SF_SG_E_clIS8_S8_S9_S9_EESD_ST_SE_SF_SG_EUlST_E0_NS1_11comp_targetILNS1_3genE10ELNS1_11target_archE1201ELNS1_3gpuE5ELNS1_3repE0EEENS1_38merge_mergepath_config_static_selectorELNS0_4arch9wavefront6targetE0EEEvSF_
; %bb.0:
	.section	.rodata,"a",@progbits
	.p2align	6, 0x0
	.amdhsa_kernel _ZN7rocprim17ROCPRIM_400000_NS6detail17trampoline_kernelINS0_14default_configENS1_38merge_sort_block_merge_config_selectorIaNS0_10empty_typeEEEZZNS1_27merge_sort_block_merge_implIS3_PaPS5_jNS1_19radix_merge_compareILb1ELb0EaNS0_19identity_decomposerEEEEE10hipError_tT0_T1_T2_jT3_P12ihipStream_tbPNSt15iterator_traitsISE_E10value_typeEPNSK_ISF_E10value_typeEPSG_NS1_7vsmem_tEENKUlT_SE_SF_SG_E_clIS8_S8_S9_S9_EESD_ST_SE_SF_SG_EUlST_E0_NS1_11comp_targetILNS1_3genE10ELNS1_11target_archE1201ELNS1_3gpuE5ELNS1_3repE0EEENS1_38merge_mergepath_config_static_selectorELNS0_4arch9wavefront6targetE0EEEvSF_
		.amdhsa_group_segment_fixed_size 0
		.amdhsa_private_segment_fixed_size 0
		.amdhsa_kernarg_size 64
		.amdhsa_user_sgpr_count 2
		.amdhsa_user_sgpr_dispatch_ptr 0
		.amdhsa_user_sgpr_queue_ptr 0
		.amdhsa_user_sgpr_kernarg_segment_ptr 1
		.amdhsa_user_sgpr_dispatch_id 0
		.amdhsa_user_sgpr_kernarg_preload_length 0
		.amdhsa_user_sgpr_kernarg_preload_offset 0
		.amdhsa_user_sgpr_private_segment_size 0
		.amdhsa_wavefront_size32 1
		.amdhsa_uses_dynamic_stack 0
		.amdhsa_enable_private_segment 0
		.amdhsa_system_sgpr_workgroup_id_x 1
		.amdhsa_system_sgpr_workgroup_id_y 0
		.amdhsa_system_sgpr_workgroup_id_z 0
		.amdhsa_system_sgpr_workgroup_info 0
		.amdhsa_system_vgpr_workitem_id 0
		.amdhsa_next_free_vgpr 1
		.amdhsa_next_free_sgpr 1
		.amdhsa_named_barrier_count 0
		.amdhsa_reserve_vcc 0
		.amdhsa_float_round_mode_32 0
		.amdhsa_float_round_mode_16_64 0
		.amdhsa_float_denorm_mode_32 3
		.amdhsa_float_denorm_mode_16_64 3
		.amdhsa_fp16_overflow 0
		.amdhsa_memory_ordered 1
		.amdhsa_forward_progress 1
		.amdhsa_inst_pref_size 0
		.amdhsa_round_robin_scheduling 0
		.amdhsa_exception_fp_ieee_invalid_op 0
		.amdhsa_exception_fp_denorm_src 0
		.amdhsa_exception_fp_ieee_div_zero 0
		.amdhsa_exception_fp_ieee_overflow 0
		.amdhsa_exception_fp_ieee_underflow 0
		.amdhsa_exception_fp_ieee_inexact 0
		.amdhsa_exception_int_div_zero 0
	.end_amdhsa_kernel
	.section	.text._ZN7rocprim17ROCPRIM_400000_NS6detail17trampoline_kernelINS0_14default_configENS1_38merge_sort_block_merge_config_selectorIaNS0_10empty_typeEEEZZNS1_27merge_sort_block_merge_implIS3_PaPS5_jNS1_19radix_merge_compareILb1ELb0EaNS0_19identity_decomposerEEEEE10hipError_tT0_T1_T2_jT3_P12ihipStream_tbPNSt15iterator_traitsISE_E10value_typeEPNSK_ISF_E10value_typeEPSG_NS1_7vsmem_tEENKUlT_SE_SF_SG_E_clIS8_S8_S9_S9_EESD_ST_SE_SF_SG_EUlST_E0_NS1_11comp_targetILNS1_3genE10ELNS1_11target_archE1201ELNS1_3gpuE5ELNS1_3repE0EEENS1_38merge_mergepath_config_static_selectorELNS0_4arch9wavefront6targetE0EEEvSF_,"axG",@progbits,_ZN7rocprim17ROCPRIM_400000_NS6detail17trampoline_kernelINS0_14default_configENS1_38merge_sort_block_merge_config_selectorIaNS0_10empty_typeEEEZZNS1_27merge_sort_block_merge_implIS3_PaPS5_jNS1_19radix_merge_compareILb1ELb0EaNS0_19identity_decomposerEEEEE10hipError_tT0_T1_T2_jT3_P12ihipStream_tbPNSt15iterator_traitsISE_E10value_typeEPNSK_ISF_E10value_typeEPSG_NS1_7vsmem_tEENKUlT_SE_SF_SG_E_clIS8_S8_S9_S9_EESD_ST_SE_SF_SG_EUlST_E0_NS1_11comp_targetILNS1_3genE10ELNS1_11target_archE1201ELNS1_3gpuE5ELNS1_3repE0EEENS1_38merge_mergepath_config_static_selectorELNS0_4arch9wavefront6targetE0EEEvSF_,comdat
.Lfunc_end282:
	.size	_ZN7rocprim17ROCPRIM_400000_NS6detail17trampoline_kernelINS0_14default_configENS1_38merge_sort_block_merge_config_selectorIaNS0_10empty_typeEEEZZNS1_27merge_sort_block_merge_implIS3_PaPS5_jNS1_19radix_merge_compareILb1ELb0EaNS0_19identity_decomposerEEEEE10hipError_tT0_T1_T2_jT3_P12ihipStream_tbPNSt15iterator_traitsISE_E10value_typeEPNSK_ISF_E10value_typeEPSG_NS1_7vsmem_tEENKUlT_SE_SF_SG_E_clIS8_S8_S9_S9_EESD_ST_SE_SF_SG_EUlST_E0_NS1_11comp_targetILNS1_3genE10ELNS1_11target_archE1201ELNS1_3gpuE5ELNS1_3repE0EEENS1_38merge_mergepath_config_static_selectorELNS0_4arch9wavefront6targetE0EEEvSF_, .Lfunc_end282-_ZN7rocprim17ROCPRIM_400000_NS6detail17trampoline_kernelINS0_14default_configENS1_38merge_sort_block_merge_config_selectorIaNS0_10empty_typeEEEZZNS1_27merge_sort_block_merge_implIS3_PaPS5_jNS1_19radix_merge_compareILb1ELb0EaNS0_19identity_decomposerEEEEE10hipError_tT0_T1_T2_jT3_P12ihipStream_tbPNSt15iterator_traitsISE_E10value_typeEPNSK_ISF_E10value_typeEPSG_NS1_7vsmem_tEENKUlT_SE_SF_SG_E_clIS8_S8_S9_S9_EESD_ST_SE_SF_SG_EUlST_E0_NS1_11comp_targetILNS1_3genE10ELNS1_11target_archE1201ELNS1_3gpuE5ELNS1_3repE0EEENS1_38merge_mergepath_config_static_selectorELNS0_4arch9wavefront6targetE0EEEvSF_
                                        ; -- End function
	.set _ZN7rocprim17ROCPRIM_400000_NS6detail17trampoline_kernelINS0_14default_configENS1_38merge_sort_block_merge_config_selectorIaNS0_10empty_typeEEEZZNS1_27merge_sort_block_merge_implIS3_PaPS5_jNS1_19radix_merge_compareILb1ELb0EaNS0_19identity_decomposerEEEEE10hipError_tT0_T1_T2_jT3_P12ihipStream_tbPNSt15iterator_traitsISE_E10value_typeEPNSK_ISF_E10value_typeEPSG_NS1_7vsmem_tEENKUlT_SE_SF_SG_E_clIS8_S8_S9_S9_EESD_ST_SE_SF_SG_EUlST_E0_NS1_11comp_targetILNS1_3genE10ELNS1_11target_archE1201ELNS1_3gpuE5ELNS1_3repE0EEENS1_38merge_mergepath_config_static_selectorELNS0_4arch9wavefront6targetE0EEEvSF_.num_vgpr, 0
	.set _ZN7rocprim17ROCPRIM_400000_NS6detail17trampoline_kernelINS0_14default_configENS1_38merge_sort_block_merge_config_selectorIaNS0_10empty_typeEEEZZNS1_27merge_sort_block_merge_implIS3_PaPS5_jNS1_19radix_merge_compareILb1ELb0EaNS0_19identity_decomposerEEEEE10hipError_tT0_T1_T2_jT3_P12ihipStream_tbPNSt15iterator_traitsISE_E10value_typeEPNSK_ISF_E10value_typeEPSG_NS1_7vsmem_tEENKUlT_SE_SF_SG_E_clIS8_S8_S9_S9_EESD_ST_SE_SF_SG_EUlST_E0_NS1_11comp_targetILNS1_3genE10ELNS1_11target_archE1201ELNS1_3gpuE5ELNS1_3repE0EEENS1_38merge_mergepath_config_static_selectorELNS0_4arch9wavefront6targetE0EEEvSF_.num_agpr, 0
	.set _ZN7rocprim17ROCPRIM_400000_NS6detail17trampoline_kernelINS0_14default_configENS1_38merge_sort_block_merge_config_selectorIaNS0_10empty_typeEEEZZNS1_27merge_sort_block_merge_implIS3_PaPS5_jNS1_19radix_merge_compareILb1ELb0EaNS0_19identity_decomposerEEEEE10hipError_tT0_T1_T2_jT3_P12ihipStream_tbPNSt15iterator_traitsISE_E10value_typeEPNSK_ISF_E10value_typeEPSG_NS1_7vsmem_tEENKUlT_SE_SF_SG_E_clIS8_S8_S9_S9_EESD_ST_SE_SF_SG_EUlST_E0_NS1_11comp_targetILNS1_3genE10ELNS1_11target_archE1201ELNS1_3gpuE5ELNS1_3repE0EEENS1_38merge_mergepath_config_static_selectorELNS0_4arch9wavefront6targetE0EEEvSF_.numbered_sgpr, 0
	.set _ZN7rocprim17ROCPRIM_400000_NS6detail17trampoline_kernelINS0_14default_configENS1_38merge_sort_block_merge_config_selectorIaNS0_10empty_typeEEEZZNS1_27merge_sort_block_merge_implIS3_PaPS5_jNS1_19radix_merge_compareILb1ELb0EaNS0_19identity_decomposerEEEEE10hipError_tT0_T1_T2_jT3_P12ihipStream_tbPNSt15iterator_traitsISE_E10value_typeEPNSK_ISF_E10value_typeEPSG_NS1_7vsmem_tEENKUlT_SE_SF_SG_E_clIS8_S8_S9_S9_EESD_ST_SE_SF_SG_EUlST_E0_NS1_11comp_targetILNS1_3genE10ELNS1_11target_archE1201ELNS1_3gpuE5ELNS1_3repE0EEENS1_38merge_mergepath_config_static_selectorELNS0_4arch9wavefront6targetE0EEEvSF_.num_named_barrier, 0
	.set _ZN7rocprim17ROCPRIM_400000_NS6detail17trampoline_kernelINS0_14default_configENS1_38merge_sort_block_merge_config_selectorIaNS0_10empty_typeEEEZZNS1_27merge_sort_block_merge_implIS3_PaPS5_jNS1_19radix_merge_compareILb1ELb0EaNS0_19identity_decomposerEEEEE10hipError_tT0_T1_T2_jT3_P12ihipStream_tbPNSt15iterator_traitsISE_E10value_typeEPNSK_ISF_E10value_typeEPSG_NS1_7vsmem_tEENKUlT_SE_SF_SG_E_clIS8_S8_S9_S9_EESD_ST_SE_SF_SG_EUlST_E0_NS1_11comp_targetILNS1_3genE10ELNS1_11target_archE1201ELNS1_3gpuE5ELNS1_3repE0EEENS1_38merge_mergepath_config_static_selectorELNS0_4arch9wavefront6targetE0EEEvSF_.private_seg_size, 0
	.set _ZN7rocprim17ROCPRIM_400000_NS6detail17trampoline_kernelINS0_14default_configENS1_38merge_sort_block_merge_config_selectorIaNS0_10empty_typeEEEZZNS1_27merge_sort_block_merge_implIS3_PaPS5_jNS1_19radix_merge_compareILb1ELb0EaNS0_19identity_decomposerEEEEE10hipError_tT0_T1_T2_jT3_P12ihipStream_tbPNSt15iterator_traitsISE_E10value_typeEPNSK_ISF_E10value_typeEPSG_NS1_7vsmem_tEENKUlT_SE_SF_SG_E_clIS8_S8_S9_S9_EESD_ST_SE_SF_SG_EUlST_E0_NS1_11comp_targetILNS1_3genE10ELNS1_11target_archE1201ELNS1_3gpuE5ELNS1_3repE0EEENS1_38merge_mergepath_config_static_selectorELNS0_4arch9wavefront6targetE0EEEvSF_.uses_vcc, 0
	.set _ZN7rocprim17ROCPRIM_400000_NS6detail17trampoline_kernelINS0_14default_configENS1_38merge_sort_block_merge_config_selectorIaNS0_10empty_typeEEEZZNS1_27merge_sort_block_merge_implIS3_PaPS5_jNS1_19radix_merge_compareILb1ELb0EaNS0_19identity_decomposerEEEEE10hipError_tT0_T1_T2_jT3_P12ihipStream_tbPNSt15iterator_traitsISE_E10value_typeEPNSK_ISF_E10value_typeEPSG_NS1_7vsmem_tEENKUlT_SE_SF_SG_E_clIS8_S8_S9_S9_EESD_ST_SE_SF_SG_EUlST_E0_NS1_11comp_targetILNS1_3genE10ELNS1_11target_archE1201ELNS1_3gpuE5ELNS1_3repE0EEENS1_38merge_mergepath_config_static_selectorELNS0_4arch9wavefront6targetE0EEEvSF_.uses_flat_scratch, 0
	.set _ZN7rocprim17ROCPRIM_400000_NS6detail17trampoline_kernelINS0_14default_configENS1_38merge_sort_block_merge_config_selectorIaNS0_10empty_typeEEEZZNS1_27merge_sort_block_merge_implIS3_PaPS5_jNS1_19radix_merge_compareILb1ELb0EaNS0_19identity_decomposerEEEEE10hipError_tT0_T1_T2_jT3_P12ihipStream_tbPNSt15iterator_traitsISE_E10value_typeEPNSK_ISF_E10value_typeEPSG_NS1_7vsmem_tEENKUlT_SE_SF_SG_E_clIS8_S8_S9_S9_EESD_ST_SE_SF_SG_EUlST_E0_NS1_11comp_targetILNS1_3genE10ELNS1_11target_archE1201ELNS1_3gpuE5ELNS1_3repE0EEENS1_38merge_mergepath_config_static_selectorELNS0_4arch9wavefront6targetE0EEEvSF_.has_dyn_sized_stack, 0
	.set _ZN7rocprim17ROCPRIM_400000_NS6detail17trampoline_kernelINS0_14default_configENS1_38merge_sort_block_merge_config_selectorIaNS0_10empty_typeEEEZZNS1_27merge_sort_block_merge_implIS3_PaPS5_jNS1_19radix_merge_compareILb1ELb0EaNS0_19identity_decomposerEEEEE10hipError_tT0_T1_T2_jT3_P12ihipStream_tbPNSt15iterator_traitsISE_E10value_typeEPNSK_ISF_E10value_typeEPSG_NS1_7vsmem_tEENKUlT_SE_SF_SG_E_clIS8_S8_S9_S9_EESD_ST_SE_SF_SG_EUlST_E0_NS1_11comp_targetILNS1_3genE10ELNS1_11target_archE1201ELNS1_3gpuE5ELNS1_3repE0EEENS1_38merge_mergepath_config_static_selectorELNS0_4arch9wavefront6targetE0EEEvSF_.has_recursion, 0
	.set _ZN7rocprim17ROCPRIM_400000_NS6detail17trampoline_kernelINS0_14default_configENS1_38merge_sort_block_merge_config_selectorIaNS0_10empty_typeEEEZZNS1_27merge_sort_block_merge_implIS3_PaPS5_jNS1_19radix_merge_compareILb1ELb0EaNS0_19identity_decomposerEEEEE10hipError_tT0_T1_T2_jT3_P12ihipStream_tbPNSt15iterator_traitsISE_E10value_typeEPNSK_ISF_E10value_typeEPSG_NS1_7vsmem_tEENKUlT_SE_SF_SG_E_clIS8_S8_S9_S9_EESD_ST_SE_SF_SG_EUlST_E0_NS1_11comp_targetILNS1_3genE10ELNS1_11target_archE1201ELNS1_3gpuE5ELNS1_3repE0EEENS1_38merge_mergepath_config_static_selectorELNS0_4arch9wavefront6targetE0EEEvSF_.has_indirect_call, 0
	.section	.AMDGPU.csdata,"",@progbits
; Kernel info:
; codeLenInByte = 0
; TotalNumSgprs: 0
; NumVgprs: 0
; ScratchSize: 0
; MemoryBound: 0
; FloatMode: 240
; IeeeMode: 1
; LDSByteSize: 0 bytes/workgroup (compile time only)
; SGPRBlocks: 0
; VGPRBlocks: 0
; NumSGPRsForWavesPerEU: 1
; NumVGPRsForWavesPerEU: 1
; NamedBarCnt: 0
; Occupancy: 16
; WaveLimiterHint : 0
; COMPUTE_PGM_RSRC2:SCRATCH_EN: 0
; COMPUTE_PGM_RSRC2:USER_SGPR: 2
; COMPUTE_PGM_RSRC2:TRAP_HANDLER: 0
; COMPUTE_PGM_RSRC2:TGID_X_EN: 1
; COMPUTE_PGM_RSRC2:TGID_Y_EN: 0
; COMPUTE_PGM_RSRC2:TGID_Z_EN: 0
; COMPUTE_PGM_RSRC2:TIDIG_COMP_CNT: 0
	.section	.text._ZN7rocprim17ROCPRIM_400000_NS6detail17trampoline_kernelINS0_14default_configENS1_38merge_sort_block_merge_config_selectorIaNS0_10empty_typeEEEZZNS1_27merge_sort_block_merge_implIS3_PaPS5_jNS1_19radix_merge_compareILb1ELb0EaNS0_19identity_decomposerEEEEE10hipError_tT0_T1_T2_jT3_P12ihipStream_tbPNSt15iterator_traitsISE_E10value_typeEPNSK_ISF_E10value_typeEPSG_NS1_7vsmem_tEENKUlT_SE_SF_SG_E_clIS8_S8_S9_S9_EESD_ST_SE_SF_SG_EUlST_E0_NS1_11comp_targetILNS1_3genE5ELNS1_11target_archE942ELNS1_3gpuE9ELNS1_3repE0EEENS1_38merge_mergepath_config_static_selectorELNS0_4arch9wavefront6targetE0EEEvSF_,"axG",@progbits,_ZN7rocprim17ROCPRIM_400000_NS6detail17trampoline_kernelINS0_14default_configENS1_38merge_sort_block_merge_config_selectorIaNS0_10empty_typeEEEZZNS1_27merge_sort_block_merge_implIS3_PaPS5_jNS1_19radix_merge_compareILb1ELb0EaNS0_19identity_decomposerEEEEE10hipError_tT0_T1_T2_jT3_P12ihipStream_tbPNSt15iterator_traitsISE_E10value_typeEPNSK_ISF_E10value_typeEPSG_NS1_7vsmem_tEENKUlT_SE_SF_SG_E_clIS8_S8_S9_S9_EESD_ST_SE_SF_SG_EUlST_E0_NS1_11comp_targetILNS1_3genE5ELNS1_11target_archE942ELNS1_3gpuE9ELNS1_3repE0EEENS1_38merge_mergepath_config_static_selectorELNS0_4arch9wavefront6targetE0EEEvSF_,comdat
	.protected	_ZN7rocprim17ROCPRIM_400000_NS6detail17trampoline_kernelINS0_14default_configENS1_38merge_sort_block_merge_config_selectorIaNS0_10empty_typeEEEZZNS1_27merge_sort_block_merge_implIS3_PaPS5_jNS1_19radix_merge_compareILb1ELb0EaNS0_19identity_decomposerEEEEE10hipError_tT0_T1_T2_jT3_P12ihipStream_tbPNSt15iterator_traitsISE_E10value_typeEPNSK_ISF_E10value_typeEPSG_NS1_7vsmem_tEENKUlT_SE_SF_SG_E_clIS8_S8_S9_S9_EESD_ST_SE_SF_SG_EUlST_E0_NS1_11comp_targetILNS1_3genE5ELNS1_11target_archE942ELNS1_3gpuE9ELNS1_3repE0EEENS1_38merge_mergepath_config_static_selectorELNS0_4arch9wavefront6targetE0EEEvSF_ ; -- Begin function _ZN7rocprim17ROCPRIM_400000_NS6detail17trampoline_kernelINS0_14default_configENS1_38merge_sort_block_merge_config_selectorIaNS0_10empty_typeEEEZZNS1_27merge_sort_block_merge_implIS3_PaPS5_jNS1_19radix_merge_compareILb1ELb0EaNS0_19identity_decomposerEEEEE10hipError_tT0_T1_T2_jT3_P12ihipStream_tbPNSt15iterator_traitsISE_E10value_typeEPNSK_ISF_E10value_typeEPSG_NS1_7vsmem_tEENKUlT_SE_SF_SG_E_clIS8_S8_S9_S9_EESD_ST_SE_SF_SG_EUlST_E0_NS1_11comp_targetILNS1_3genE5ELNS1_11target_archE942ELNS1_3gpuE9ELNS1_3repE0EEENS1_38merge_mergepath_config_static_selectorELNS0_4arch9wavefront6targetE0EEEvSF_
	.globl	_ZN7rocprim17ROCPRIM_400000_NS6detail17trampoline_kernelINS0_14default_configENS1_38merge_sort_block_merge_config_selectorIaNS0_10empty_typeEEEZZNS1_27merge_sort_block_merge_implIS3_PaPS5_jNS1_19radix_merge_compareILb1ELb0EaNS0_19identity_decomposerEEEEE10hipError_tT0_T1_T2_jT3_P12ihipStream_tbPNSt15iterator_traitsISE_E10value_typeEPNSK_ISF_E10value_typeEPSG_NS1_7vsmem_tEENKUlT_SE_SF_SG_E_clIS8_S8_S9_S9_EESD_ST_SE_SF_SG_EUlST_E0_NS1_11comp_targetILNS1_3genE5ELNS1_11target_archE942ELNS1_3gpuE9ELNS1_3repE0EEENS1_38merge_mergepath_config_static_selectorELNS0_4arch9wavefront6targetE0EEEvSF_
	.p2align	8
	.type	_ZN7rocprim17ROCPRIM_400000_NS6detail17trampoline_kernelINS0_14default_configENS1_38merge_sort_block_merge_config_selectorIaNS0_10empty_typeEEEZZNS1_27merge_sort_block_merge_implIS3_PaPS5_jNS1_19radix_merge_compareILb1ELb0EaNS0_19identity_decomposerEEEEE10hipError_tT0_T1_T2_jT3_P12ihipStream_tbPNSt15iterator_traitsISE_E10value_typeEPNSK_ISF_E10value_typeEPSG_NS1_7vsmem_tEENKUlT_SE_SF_SG_E_clIS8_S8_S9_S9_EESD_ST_SE_SF_SG_EUlST_E0_NS1_11comp_targetILNS1_3genE5ELNS1_11target_archE942ELNS1_3gpuE9ELNS1_3repE0EEENS1_38merge_mergepath_config_static_selectorELNS0_4arch9wavefront6targetE0EEEvSF_,@function
_ZN7rocprim17ROCPRIM_400000_NS6detail17trampoline_kernelINS0_14default_configENS1_38merge_sort_block_merge_config_selectorIaNS0_10empty_typeEEEZZNS1_27merge_sort_block_merge_implIS3_PaPS5_jNS1_19radix_merge_compareILb1ELb0EaNS0_19identity_decomposerEEEEE10hipError_tT0_T1_T2_jT3_P12ihipStream_tbPNSt15iterator_traitsISE_E10value_typeEPNSK_ISF_E10value_typeEPSG_NS1_7vsmem_tEENKUlT_SE_SF_SG_E_clIS8_S8_S9_S9_EESD_ST_SE_SF_SG_EUlST_E0_NS1_11comp_targetILNS1_3genE5ELNS1_11target_archE942ELNS1_3gpuE9ELNS1_3repE0EEENS1_38merge_mergepath_config_static_selectorELNS0_4arch9wavefront6targetE0EEEvSF_: ; @_ZN7rocprim17ROCPRIM_400000_NS6detail17trampoline_kernelINS0_14default_configENS1_38merge_sort_block_merge_config_selectorIaNS0_10empty_typeEEEZZNS1_27merge_sort_block_merge_implIS3_PaPS5_jNS1_19radix_merge_compareILb1ELb0EaNS0_19identity_decomposerEEEEE10hipError_tT0_T1_T2_jT3_P12ihipStream_tbPNSt15iterator_traitsISE_E10value_typeEPNSK_ISF_E10value_typeEPSG_NS1_7vsmem_tEENKUlT_SE_SF_SG_E_clIS8_S8_S9_S9_EESD_ST_SE_SF_SG_EUlST_E0_NS1_11comp_targetILNS1_3genE5ELNS1_11target_archE942ELNS1_3gpuE9ELNS1_3repE0EEENS1_38merge_mergepath_config_static_selectorELNS0_4arch9wavefront6targetE0EEEvSF_
; %bb.0:
	.section	.rodata,"a",@progbits
	.p2align	6, 0x0
	.amdhsa_kernel _ZN7rocprim17ROCPRIM_400000_NS6detail17trampoline_kernelINS0_14default_configENS1_38merge_sort_block_merge_config_selectorIaNS0_10empty_typeEEEZZNS1_27merge_sort_block_merge_implIS3_PaPS5_jNS1_19radix_merge_compareILb1ELb0EaNS0_19identity_decomposerEEEEE10hipError_tT0_T1_T2_jT3_P12ihipStream_tbPNSt15iterator_traitsISE_E10value_typeEPNSK_ISF_E10value_typeEPSG_NS1_7vsmem_tEENKUlT_SE_SF_SG_E_clIS8_S8_S9_S9_EESD_ST_SE_SF_SG_EUlST_E0_NS1_11comp_targetILNS1_3genE5ELNS1_11target_archE942ELNS1_3gpuE9ELNS1_3repE0EEENS1_38merge_mergepath_config_static_selectorELNS0_4arch9wavefront6targetE0EEEvSF_
		.amdhsa_group_segment_fixed_size 0
		.amdhsa_private_segment_fixed_size 0
		.amdhsa_kernarg_size 64
		.amdhsa_user_sgpr_count 2
		.amdhsa_user_sgpr_dispatch_ptr 0
		.amdhsa_user_sgpr_queue_ptr 0
		.amdhsa_user_sgpr_kernarg_segment_ptr 1
		.amdhsa_user_sgpr_dispatch_id 0
		.amdhsa_user_sgpr_kernarg_preload_length 0
		.amdhsa_user_sgpr_kernarg_preload_offset 0
		.amdhsa_user_sgpr_private_segment_size 0
		.amdhsa_wavefront_size32 1
		.amdhsa_uses_dynamic_stack 0
		.amdhsa_enable_private_segment 0
		.amdhsa_system_sgpr_workgroup_id_x 1
		.amdhsa_system_sgpr_workgroup_id_y 0
		.amdhsa_system_sgpr_workgroup_id_z 0
		.amdhsa_system_sgpr_workgroup_info 0
		.amdhsa_system_vgpr_workitem_id 0
		.amdhsa_next_free_vgpr 1
		.amdhsa_next_free_sgpr 1
		.amdhsa_named_barrier_count 0
		.amdhsa_reserve_vcc 0
		.amdhsa_float_round_mode_32 0
		.amdhsa_float_round_mode_16_64 0
		.amdhsa_float_denorm_mode_32 3
		.amdhsa_float_denorm_mode_16_64 3
		.amdhsa_fp16_overflow 0
		.amdhsa_memory_ordered 1
		.amdhsa_forward_progress 1
		.amdhsa_inst_pref_size 0
		.amdhsa_round_robin_scheduling 0
		.amdhsa_exception_fp_ieee_invalid_op 0
		.amdhsa_exception_fp_denorm_src 0
		.amdhsa_exception_fp_ieee_div_zero 0
		.amdhsa_exception_fp_ieee_overflow 0
		.amdhsa_exception_fp_ieee_underflow 0
		.amdhsa_exception_fp_ieee_inexact 0
		.amdhsa_exception_int_div_zero 0
	.end_amdhsa_kernel
	.section	.text._ZN7rocprim17ROCPRIM_400000_NS6detail17trampoline_kernelINS0_14default_configENS1_38merge_sort_block_merge_config_selectorIaNS0_10empty_typeEEEZZNS1_27merge_sort_block_merge_implIS3_PaPS5_jNS1_19radix_merge_compareILb1ELb0EaNS0_19identity_decomposerEEEEE10hipError_tT0_T1_T2_jT3_P12ihipStream_tbPNSt15iterator_traitsISE_E10value_typeEPNSK_ISF_E10value_typeEPSG_NS1_7vsmem_tEENKUlT_SE_SF_SG_E_clIS8_S8_S9_S9_EESD_ST_SE_SF_SG_EUlST_E0_NS1_11comp_targetILNS1_3genE5ELNS1_11target_archE942ELNS1_3gpuE9ELNS1_3repE0EEENS1_38merge_mergepath_config_static_selectorELNS0_4arch9wavefront6targetE0EEEvSF_,"axG",@progbits,_ZN7rocprim17ROCPRIM_400000_NS6detail17trampoline_kernelINS0_14default_configENS1_38merge_sort_block_merge_config_selectorIaNS0_10empty_typeEEEZZNS1_27merge_sort_block_merge_implIS3_PaPS5_jNS1_19radix_merge_compareILb1ELb0EaNS0_19identity_decomposerEEEEE10hipError_tT0_T1_T2_jT3_P12ihipStream_tbPNSt15iterator_traitsISE_E10value_typeEPNSK_ISF_E10value_typeEPSG_NS1_7vsmem_tEENKUlT_SE_SF_SG_E_clIS8_S8_S9_S9_EESD_ST_SE_SF_SG_EUlST_E0_NS1_11comp_targetILNS1_3genE5ELNS1_11target_archE942ELNS1_3gpuE9ELNS1_3repE0EEENS1_38merge_mergepath_config_static_selectorELNS0_4arch9wavefront6targetE0EEEvSF_,comdat
.Lfunc_end283:
	.size	_ZN7rocprim17ROCPRIM_400000_NS6detail17trampoline_kernelINS0_14default_configENS1_38merge_sort_block_merge_config_selectorIaNS0_10empty_typeEEEZZNS1_27merge_sort_block_merge_implIS3_PaPS5_jNS1_19radix_merge_compareILb1ELb0EaNS0_19identity_decomposerEEEEE10hipError_tT0_T1_T2_jT3_P12ihipStream_tbPNSt15iterator_traitsISE_E10value_typeEPNSK_ISF_E10value_typeEPSG_NS1_7vsmem_tEENKUlT_SE_SF_SG_E_clIS8_S8_S9_S9_EESD_ST_SE_SF_SG_EUlST_E0_NS1_11comp_targetILNS1_3genE5ELNS1_11target_archE942ELNS1_3gpuE9ELNS1_3repE0EEENS1_38merge_mergepath_config_static_selectorELNS0_4arch9wavefront6targetE0EEEvSF_, .Lfunc_end283-_ZN7rocprim17ROCPRIM_400000_NS6detail17trampoline_kernelINS0_14default_configENS1_38merge_sort_block_merge_config_selectorIaNS0_10empty_typeEEEZZNS1_27merge_sort_block_merge_implIS3_PaPS5_jNS1_19radix_merge_compareILb1ELb0EaNS0_19identity_decomposerEEEEE10hipError_tT0_T1_T2_jT3_P12ihipStream_tbPNSt15iterator_traitsISE_E10value_typeEPNSK_ISF_E10value_typeEPSG_NS1_7vsmem_tEENKUlT_SE_SF_SG_E_clIS8_S8_S9_S9_EESD_ST_SE_SF_SG_EUlST_E0_NS1_11comp_targetILNS1_3genE5ELNS1_11target_archE942ELNS1_3gpuE9ELNS1_3repE0EEENS1_38merge_mergepath_config_static_selectorELNS0_4arch9wavefront6targetE0EEEvSF_
                                        ; -- End function
	.set _ZN7rocprim17ROCPRIM_400000_NS6detail17trampoline_kernelINS0_14default_configENS1_38merge_sort_block_merge_config_selectorIaNS0_10empty_typeEEEZZNS1_27merge_sort_block_merge_implIS3_PaPS5_jNS1_19radix_merge_compareILb1ELb0EaNS0_19identity_decomposerEEEEE10hipError_tT0_T1_T2_jT3_P12ihipStream_tbPNSt15iterator_traitsISE_E10value_typeEPNSK_ISF_E10value_typeEPSG_NS1_7vsmem_tEENKUlT_SE_SF_SG_E_clIS8_S8_S9_S9_EESD_ST_SE_SF_SG_EUlST_E0_NS1_11comp_targetILNS1_3genE5ELNS1_11target_archE942ELNS1_3gpuE9ELNS1_3repE0EEENS1_38merge_mergepath_config_static_selectorELNS0_4arch9wavefront6targetE0EEEvSF_.num_vgpr, 0
	.set _ZN7rocprim17ROCPRIM_400000_NS6detail17trampoline_kernelINS0_14default_configENS1_38merge_sort_block_merge_config_selectorIaNS0_10empty_typeEEEZZNS1_27merge_sort_block_merge_implIS3_PaPS5_jNS1_19radix_merge_compareILb1ELb0EaNS0_19identity_decomposerEEEEE10hipError_tT0_T1_T2_jT3_P12ihipStream_tbPNSt15iterator_traitsISE_E10value_typeEPNSK_ISF_E10value_typeEPSG_NS1_7vsmem_tEENKUlT_SE_SF_SG_E_clIS8_S8_S9_S9_EESD_ST_SE_SF_SG_EUlST_E0_NS1_11comp_targetILNS1_3genE5ELNS1_11target_archE942ELNS1_3gpuE9ELNS1_3repE0EEENS1_38merge_mergepath_config_static_selectorELNS0_4arch9wavefront6targetE0EEEvSF_.num_agpr, 0
	.set _ZN7rocprim17ROCPRIM_400000_NS6detail17trampoline_kernelINS0_14default_configENS1_38merge_sort_block_merge_config_selectorIaNS0_10empty_typeEEEZZNS1_27merge_sort_block_merge_implIS3_PaPS5_jNS1_19radix_merge_compareILb1ELb0EaNS0_19identity_decomposerEEEEE10hipError_tT0_T1_T2_jT3_P12ihipStream_tbPNSt15iterator_traitsISE_E10value_typeEPNSK_ISF_E10value_typeEPSG_NS1_7vsmem_tEENKUlT_SE_SF_SG_E_clIS8_S8_S9_S9_EESD_ST_SE_SF_SG_EUlST_E0_NS1_11comp_targetILNS1_3genE5ELNS1_11target_archE942ELNS1_3gpuE9ELNS1_3repE0EEENS1_38merge_mergepath_config_static_selectorELNS0_4arch9wavefront6targetE0EEEvSF_.numbered_sgpr, 0
	.set _ZN7rocprim17ROCPRIM_400000_NS6detail17trampoline_kernelINS0_14default_configENS1_38merge_sort_block_merge_config_selectorIaNS0_10empty_typeEEEZZNS1_27merge_sort_block_merge_implIS3_PaPS5_jNS1_19radix_merge_compareILb1ELb0EaNS0_19identity_decomposerEEEEE10hipError_tT0_T1_T2_jT3_P12ihipStream_tbPNSt15iterator_traitsISE_E10value_typeEPNSK_ISF_E10value_typeEPSG_NS1_7vsmem_tEENKUlT_SE_SF_SG_E_clIS8_S8_S9_S9_EESD_ST_SE_SF_SG_EUlST_E0_NS1_11comp_targetILNS1_3genE5ELNS1_11target_archE942ELNS1_3gpuE9ELNS1_3repE0EEENS1_38merge_mergepath_config_static_selectorELNS0_4arch9wavefront6targetE0EEEvSF_.num_named_barrier, 0
	.set _ZN7rocprim17ROCPRIM_400000_NS6detail17trampoline_kernelINS0_14default_configENS1_38merge_sort_block_merge_config_selectorIaNS0_10empty_typeEEEZZNS1_27merge_sort_block_merge_implIS3_PaPS5_jNS1_19radix_merge_compareILb1ELb0EaNS0_19identity_decomposerEEEEE10hipError_tT0_T1_T2_jT3_P12ihipStream_tbPNSt15iterator_traitsISE_E10value_typeEPNSK_ISF_E10value_typeEPSG_NS1_7vsmem_tEENKUlT_SE_SF_SG_E_clIS8_S8_S9_S9_EESD_ST_SE_SF_SG_EUlST_E0_NS1_11comp_targetILNS1_3genE5ELNS1_11target_archE942ELNS1_3gpuE9ELNS1_3repE0EEENS1_38merge_mergepath_config_static_selectorELNS0_4arch9wavefront6targetE0EEEvSF_.private_seg_size, 0
	.set _ZN7rocprim17ROCPRIM_400000_NS6detail17trampoline_kernelINS0_14default_configENS1_38merge_sort_block_merge_config_selectorIaNS0_10empty_typeEEEZZNS1_27merge_sort_block_merge_implIS3_PaPS5_jNS1_19radix_merge_compareILb1ELb0EaNS0_19identity_decomposerEEEEE10hipError_tT0_T1_T2_jT3_P12ihipStream_tbPNSt15iterator_traitsISE_E10value_typeEPNSK_ISF_E10value_typeEPSG_NS1_7vsmem_tEENKUlT_SE_SF_SG_E_clIS8_S8_S9_S9_EESD_ST_SE_SF_SG_EUlST_E0_NS1_11comp_targetILNS1_3genE5ELNS1_11target_archE942ELNS1_3gpuE9ELNS1_3repE0EEENS1_38merge_mergepath_config_static_selectorELNS0_4arch9wavefront6targetE0EEEvSF_.uses_vcc, 0
	.set _ZN7rocprim17ROCPRIM_400000_NS6detail17trampoline_kernelINS0_14default_configENS1_38merge_sort_block_merge_config_selectorIaNS0_10empty_typeEEEZZNS1_27merge_sort_block_merge_implIS3_PaPS5_jNS1_19radix_merge_compareILb1ELb0EaNS0_19identity_decomposerEEEEE10hipError_tT0_T1_T2_jT3_P12ihipStream_tbPNSt15iterator_traitsISE_E10value_typeEPNSK_ISF_E10value_typeEPSG_NS1_7vsmem_tEENKUlT_SE_SF_SG_E_clIS8_S8_S9_S9_EESD_ST_SE_SF_SG_EUlST_E0_NS1_11comp_targetILNS1_3genE5ELNS1_11target_archE942ELNS1_3gpuE9ELNS1_3repE0EEENS1_38merge_mergepath_config_static_selectorELNS0_4arch9wavefront6targetE0EEEvSF_.uses_flat_scratch, 0
	.set _ZN7rocprim17ROCPRIM_400000_NS6detail17trampoline_kernelINS0_14default_configENS1_38merge_sort_block_merge_config_selectorIaNS0_10empty_typeEEEZZNS1_27merge_sort_block_merge_implIS3_PaPS5_jNS1_19radix_merge_compareILb1ELb0EaNS0_19identity_decomposerEEEEE10hipError_tT0_T1_T2_jT3_P12ihipStream_tbPNSt15iterator_traitsISE_E10value_typeEPNSK_ISF_E10value_typeEPSG_NS1_7vsmem_tEENKUlT_SE_SF_SG_E_clIS8_S8_S9_S9_EESD_ST_SE_SF_SG_EUlST_E0_NS1_11comp_targetILNS1_3genE5ELNS1_11target_archE942ELNS1_3gpuE9ELNS1_3repE0EEENS1_38merge_mergepath_config_static_selectorELNS0_4arch9wavefront6targetE0EEEvSF_.has_dyn_sized_stack, 0
	.set _ZN7rocprim17ROCPRIM_400000_NS6detail17trampoline_kernelINS0_14default_configENS1_38merge_sort_block_merge_config_selectorIaNS0_10empty_typeEEEZZNS1_27merge_sort_block_merge_implIS3_PaPS5_jNS1_19radix_merge_compareILb1ELb0EaNS0_19identity_decomposerEEEEE10hipError_tT0_T1_T2_jT3_P12ihipStream_tbPNSt15iterator_traitsISE_E10value_typeEPNSK_ISF_E10value_typeEPSG_NS1_7vsmem_tEENKUlT_SE_SF_SG_E_clIS8_S8_S9_S9_EESD_ST_SE_SF_SG_EUlST_E0_NS1_11comp_targetILNS1_3genE5ELNS1_11target_archE942ELNS1_3gpuE9ELNS1_3repE0EEENS1_38merge_mergepath_config_static_selectorELNS0_4arch9wavefront6targetE0EEEvSF_.has_recursion, 0
	.set _ZN7rocprim17ROCPRIM_400000_NS6detail17trampoline_kernelINS0_14default_configENS1_38merge_sort_block_merge_config_selectorIaNS0_10empty_typeEEEZZNS1_27merge_sort_block_merge_implIS3_PaPS5_jNS1_19radix_merge_compareILb1ELb0EaNS0_19identity_decomposerEEEEE10hipError_tT0_T1_T2_jT3_P12ihipStream_tbPNSt15iterator_traitsISE_E10value_typeEPNSK_ISF_E10value_typeEPSG_NS1_7vsmem_tEENKUlT_SE_SF_SG_E_clIS8_S8_S9_S9_EESD_ST_SE_SF_SG_EUlST_E0_NS1_11comp_targetILNS1_3genE5ELNS1_11target_archE942ELNS1_3gpuE9ELNS1_3repE0EEENS1_38merge_mergepath_config_static_selectorELNS0_4arch9wavefront6targetE0EEEvSF_.has_indirect_call, 0
	.section	.AMDGPU.csdata,"",@progbits
; Kernel info:
; codeLenInByte = 0
; TotalNumSgprs: 0
; NumVgprs: 0
; ScratchSize: 0
; MemoryBound: 0
; FloatMode: 240
; IeeeMode: 1
; LDSByteSize: 0 bytes/workgroup (compile time only)
; SGPRBlocks: 0
; VGPRBlocks: 0
; NumSGPRsForWavesPerEU: 1
; NumVGPRsForWavesPerEU: 1
; NamedBarCnt: 0
; Occupancy: 16
; WaveLimiterHint : 0
; COMPUTE_PGM_RSRC2:SCRATCH_EN: 0
; COMPUTE_PGM_RSRC2:USER_SGPR: 2
; COMPUTE_PGM_RSRC2:TRAP_HANDLER: 0
; COMPUTE_PGM_RSRC2:TGID_X_EN: 1
; COMPUTE_PGM_RSRC2:TGID_Y_EN: 0
; COMPUTE_PGM_RSRC2:TGID_Z_EN: 0
; COMPUTE_PGM_RSRC2:TIDIG_COMP_CNT: 0
	.section	.text._ZN7rocprim17ROCPRIM_400000_NS6detail17trampoline_kernelINS0_14default_configENS1_38merge_sort_block_merge_config_selectorIaNS0_10empty_typeEEEZZNS1_27merge_sort_block_merge_implIS3_PaPS5_jNS1_19radix_merge_compareILb1ELb0EaNS0_19identity_decomposerEEEEE10hipError_tT0_T1_T2_jT3_P12ihipStream_tbPNSt15iterator_traitsISE_E10value_typeEPNSK_ISF_E10value_typeEPSG_NS1_7vsmem_tEENKUlT_SE_SF_SG_E_clIS8_S8_S9_S9_EESD_ST_SE_SF_SG_EUlST_E0_NS1_11comp_targetILNS1_3genE4ELNS1_11target_archE910ELNS1_3gpuE8ELNS1_3repE0EEENS1_38merge_mergepath_config_static_selectorELNS0_4arch9wavefront6targetE0EEEvSF_,"axG",@progbits,_ZN7rocprim17ROCPRIM_400000_NS6detail17trampoline_kernelINS0_14default_configENS1_38merge_sort_block_merge_config_selectorIaNS0_10empty_typeEEEZZNS1_27merge_sort_block_merge_implIS3_PaPS5_jNS1_19radix_merge_compareILb1ELb0EaNS0_19identity_decomposerEEEEE10hipError_tT0_T1_T2_jT3_P12ihipStream_tbPNSt15iterator_traitsISE_E10value_typeEPNSK_ISF_E10value_typeEPSG_NS1_7vsmem_tEENKUlT_SE_SF_SG_E_clIS8_S8_S9_S9_EESD_ST_SE_SF_SG_EUlST_E0_NS1_11comp_targetILNS1_3genE4ELNS1_11target_archE910ELNS1_3gpuE8ELNS1_3repE0EEENS1_38merge_mergepath_config_static_selectorELNS0_4arch9wavefront6targetE0EEEvSF_,comdat
	.protected	_ZN7rocprim17ROCPRIM_400000_NS6detail17trampoline_kernelINS0_14default_configENS1_38merge_sort_block_merge_config_selectorIaNS0_10empty_typeEEEZZNS1_27merge_sort_block_merge_implIS3_PaPS5_jNS1_19radix_merge_compareILb1ELb0EaNS0_19identity_decomposerEEEEE10hipError_tT0_T1_T2_jT3_P12ihipStream_tbPNSt15iterator_traitsISE_E10value_typeEPNSK_ISF_E10value_typeEPSG_NS1_7vsmem_tEENKUlT_SE_SF_SG_E_clIS8_S8_S9_S9_EESD_ST_SE_SF_SG_EUlST_E0_NS1_11comp_targetILNS1_3genE4ELNS1_11target_archE910ELNS1_3gpuE8ELNS1_3repE0EEENS1_38merge_mergepath_config_static_selectorELNS0_4arch9wavefront6targetE0EEEvSF_ ; -- Begin function _ZN7rocprim17ROCPRIM_400000_NS6detail17trampoline_kernelINS0_14default_configENS1_38merge_sort_block_merge_config_selectorIaNS0_10empty_typeEEEZZNS1_27merge_sort_block_merge_implIS3_PaPS5_jNS1_19radix_merge_compareILb1ELb0EaNS0_19identity_decomposerEEEEE10hipError_tT0_T1_T2_jT3_P12ihipStream_tbPNSt15iterator_traitsISE_E10value_typeEPNSK_ISF_E10value_typeEPSG_NS1_7vsmem_tEENKUlT_SE_SF_SG_E_clIS8_S8_S9_S9_EESD_ST_SE_SF_SG_EUlST_E0_NS1_11comp_targetILNS1_3genE4ELNS1_11target_archE910ELNS1_3gpuE8ELNS1_3repE0EEENS1_38merge_mergepath_config_static_selectorELNS0_4arch9wavefront6targetE0EEEvSF_
	.globl	_ZN7rocprim17ROCPRIM_400000_NS6detail17trampoline_kernelINS0_14default_configENS1_38merge_sort_block_merge_config_selectorIaNS0_10empty_typeEEEZZNS1_27merge_sort_block_merge_implIS3_PaPS5_jNS1_19radix_merge_compareILb1ELb0EaNS0_19identity_decomposerEEEEE10hipError_tT0_T1_T2_jT3_P12ihipStream_tbPNSt15iterator_traitsISE_E10value_typeEPNSK_ISF_E10value_typeEPSG_NS1_7vsmem_tEENKUlT_SE_SF_SG_E_clIS8_S8_S9_S9_EESD_ST_SE_SF_SG_EUlST_E0_NS1_11comp_targetILNS1_3genE4ELNS1_11target_archE910ELNS1_3gpuE8ELNS1_3repE0EEENS1_38merge_mergepath_config_static_selectorELNS0_4arch9wavefront6targetE0EEEvSF_
	.p2align	8
	.type	_ZN7rocprim17ROCPRIM_400000_NS6detail17trampoline_kernelINS0_14default_configENS1_38merge_sort_block_merge_config_selectorIaNS0_10empty_typeEEEZZNS1_27merge_sort_block_merge_implIS3_PaPS5_jNS1_19radix_merge_compareILb1ELb0EaNS0_19identity_decomposerEEEEE10hipError_tT0_T1_T2_jT3_P12ihipStream_tbPNSt15iterator_traitsISE_E10value_typeEPNSK_ISF_E10value_typeEPSG_NS1_7vsmem_tEENKUlT_SE_SF_SG_E_clIS8_S8_S9_S9_EESD_ST_SE_SF_SG_EUlST_E0_NS1_11comp_targetILNS1_3genE4ELNS1_11target_archE910ELNS1_3gpuE8ELNS1_3repE0EEENS1_38merge_mergepath_config_static_selectorELNS0_4arch9wavefront6targetE0EEEvSF_,@function
_ZN7rocprim17ROCPRIM_400000_NS6detail17trampoline_kernelINS0_14default_configENS1_38merge_sort_block_merge_config_selectorIaNS0_10empty_typeEEEZZNS1_27merge_sort_block_merge_implIS3_PaPS5_jNS1_19radix_merge_compareILb1ELb0EaNS0_19identity_decomposerEEEEE10hipError_tT0_T1_T2_jT3_P12ihipStream_tbPNSt15iterator_traitsISE_E10value_typeEPNSK_ISF_E10value_typeEPSG_NS1_7vsmem_tEENKUlT_SE_SF_SG_E_clIS8_S8_S9_S9_EESD_ST_SE_SF_SG_EUlST_E0_NS1_11comp_targetILNS1_3genE4ELNS1_11target_archE910ELNS1_3gpuE8ELNS1_3repE0EEENS1_38merge_mergepath_config_static_selectorELNS0_4arch9wavefront6targetE0EEEvSF_: ; @_ZN7rocprim17ROCPRIM_400000_NS6detail17trampoline_kernelINS0_14default_configENS1_38merge_sort_block_merge_config_selectorIaNS0_10empty_typeEEEZZNS1_27merge_sort_block_merge_implIS3_PaPS5_jNS1_19radix_merge_compareILb1ELb0EaNS0_19identity_decomposerEEEEE10hipError_tT0_T1_T2_jT3_P12ihipStream_tbPNSt15iterator_traitsISE_E10value_typeEPNSK_ISF_E10value_typeEPSG_NS1_7vsmem_tEENKUlT_SE_SF_SG_E_clIS8_S8_S9_S9_EESD_ST_SE_SF_SG_EUlST_E0_NS1_11comp_targetILNS1_3genE4ELNS1_11target_archE910ELNS1_3gpuE8ELNS1_3repE0EEENS1_38merge_mergepath_config_static_selectorELNS0_4arch9wavefront6targetE0EEEvSF_
; %bb.0:
	.section	.rodata,"a",@progbits
	.p2align	6, 0x0
	.amdhsa_kernel _ZN7rocprim17ROCPRIM_400000_NS6detail17trampoline_kernelINS0_14default_configENS1_38merge_sort_block_merge_config_selectorIaNS0_10empty_typeEEEZZNS1_27merge_sort_block_merge_implIS3_PaPS5_jNS1_19radix_merge_compareILb1ELb0EaNS0_19identity_decomposerEEEEE10hipError_tT0_T1_T2_jT3_P12ihipStream_tbPNSt15iterator_traitsISE_E10value_typeEPNSK_ISF_E10value_typeEPSG_NS1_7vsmem_tEENKUlT_SE_SF_SG_E_clIS8_S8_S9_S9_EESD_ST_SE_SF_SG_EUlST_E0_NS1_11comp_targetILNS1_3genE4ELNS1_11target_archE910ELNS1_3gpuE8ELNS1_3repE0EEENS1_38merge_mergepath_config_static_selectorELNS0_4arch9wavefront6targetE0EEEvSF_
		.amdhsa_group_segment_fixed_size 0
		.amdhsa_private_segment_fixed_size 0
		.amdhsa_kernarg_size 64
		.amdhsa_user_sgpr_count 2
		.amdhsa_user_sgpr_dispatch_ptr 0
		.amdhsa_user_sgpr_queue_ptr 0
		.amdhsa_user_sgpr_kernarg_segment_ptr 1
		.amdhsa_user_sgpr_dispatch_id 0
		.amdhsa_user_sgpr_kernarg_preload_length 0
		.amdhsa_user_sgpr_kernarg_preload_offset 0
		.amdhsa_user_sgpr_private_segment_size 0
		.amdhsa_wavefront_size32 1
		.amdhsa_uses_dynamic_stack 0
		.amdhsa_enable_private_segment 0
		.amdhsa_system_sgpr_workgroup_id_x 1
		.amdhsa_system_sgpr_workgroup_id_y 0
		.amdhsa_system_sgpr_workgroup_id_z 0
		.amdhsa_system_sgpr_workgroup_info 0
		.amdhsa_system_vgpr_workitem_id 0
		.amdhsa_next_free_vgpr 1
		.amdhsa_next_free_sgpr 1
		.amdhsa_named_barrier_count 0
		.amdhsa_reserve_vcc 0
		.amdhsa_float_round_mode_32 0
		.amdhsa_float_round_mode_16_64 0
		.amdhsa_float_denorm_mode_32 3
		.amdhsa_float_denorm_mode_16_64 3
		.amdhsa_fp16_overflow 0
		.amdhsa_memory_ordered 1
		.amdhsa_forward_progress 1
		.amdhsa_inst_pref_size 0
		.amdhsa_round_robin_scheduling 0
		.amdhsa_exception_fp_ieee_invalid_op 0
		.amdhsa_exception_fp_denorm_src 0
		.amdhsa_exception_fp_ieee_div_zero 0
		.amdhsa_exception_fp_ieee_overflow 0
		.amdhsa_exception_fp_ieee_underflow 0
		.amdhsa_exception_fp_ieee_inexact 0
		.amdhsa_exception_int_div_zero 0
	.end_amdhsa_kernel
	.section	.text._ZN7rocprim17ROCPRIM_400000_NS6detail17trampoline_kernelINS0_14default_configENS1_38merge_sort_block_merge_config_selectorIaNS0_10empty_typeEEEZZNS1_27merge_sort_block_merge_implIS3_PaPS5_jNS1_19radix_merge_compareILb1ELb0EaNS0_19identity_decomposerEEEEE10hipError_tT0_T1_T2_jT3_P12ihipStream_tbPNSt15iterator_traitsISE_E10value_typeEPNSK_ISF_E10value_typeEPSG_NS1_7vsmem_tEENKUlT_SE_SF_SG_E_clIS8_S8_S9_S9_EESD_ST_SE_SF_SG_EUlST_E0_NS1_11comp_targetILNS1_3genE4ELNS1_11target_archE910ELNS1_3gpuE8ELNS1_3repE0EEENS1_38merge_mergepath_config_static_selectorELNS0_4arch9wavefront6targetE0EEEvSF_,"axG",@progbits,_ZN7rocprim17ROCPRIM_400000_NS6detail17trampoline_kernelINS0_14default_configENS1_38merge_sort_block_merge_config_selectorIaNS0_10empty_typeEEEZZNS1_27merge_sort_block_merge_implIS3_PaPS5_jNS1_19radix_merge_compareILb1ELb0EaNS0_19identity_decomposerEEEEE10hipError_tT0_T1_T2_jT3_P12ihipStream_tbPNSt15iterator_traitsISE_E10value_typeEPNSK_ISF_E10value_typeEPSG_NS1_7vsmem_tEENKUlT_SE_SF_SG_E_clIS8_S8_S9_S9_EESD_ST_SE_SF_SG_EUlST_E0_NS1_11comp_targetILNS1_3genE4ELNS1_11target_archE910ELNS1_3gpuE8ELNS1_3repE0EEENS1_38merge_mergepath_config_static_selectorELNS0_4arch9wavefront6targetE0EEEvSF_,comdat
.Lfunc_end284:
	.size	_ZN7rocprim17ROCPRIM_400000_NS6detail17trampoline_kernelINS0_14default_configENS1_38merge_sort_block_merge_config_selectorIaNS0_10empty_typeEEEZZNS1_27merge_sort_block_merge_implIS3_PaPS5_jNS1_19radix_merge_compareILb1ELb0EaNS0_19identity_decomposerEEEEE10hipError_tT0_T1_T2_jT3_P12ihipStream_tbPNSt15iterator_traitsISE_E10value_typeEPNSK_ISF_E10value_typeEPSG_NS1_7vsmem_tEENKUlT_SE_SF_SG_E_clIS8_S8_S9_S9_EESD_ST_SE_SF_SG_EUlST_E0_NS1_11comp_targetILNS1_3genE4ELNS1_11target_archE910ELNS1_3gpuE8ELNS1_3repE0EEENS1_38merge_mergepath_config_static_selectorELNS0_4arch9wavefront6targetE0EEEvSF_, .Lfunc_end284-_ZN7rocprim17ROCPRIM_400000_NS6detail17trampoline_kernelINS0_14default_configENS1_38merge_sort_block_merge_config_selectorIaNS0_10empty_typeEEEZZNS1_27merge_sort_block_merge_implIS3_PaPS5_jNS1_19radix_merge_compareILb1ELb0EaNS0_19identity_decomposerEEEEE10hipError_tT0_T1_T2_jT3_P12ihipStream_tbPNSt15iterator_traitsISE_E10value_typeEPNSK_ISF_E10value_typeEPSG_NS1_7vsmem_tEENKUlT_SE_SF_SG_E_clIS8_S8_S9_S9_EESD_ST_SE_SF_SG_EUlST_E0_NS1_11comp_targetILNS1_3genE4ELNS1_11target_archE910ELNS1_3gpuE8ELNS1_3repE0EEENS1_38merge_mergepath_config_static_selectorELNS0_4arch9wavefront6targetE0EEEvSF_
                                        ; -- End function
	.set _ZN7rocprim17ROCPRIM_400000_NS6detail17trampoline_kernelINS0_14default_configENS1_38merge_sort_block_merge_config_selectorIaNS0_10empty_typeEEEZZNS1_27merge_sort_block_merge_implIS3_PaPS5_jNS1_19radix_merge_compareILb1ELb0EaNS0_19identity_decomposerEEEEE10hipError_tT0_T1_T2_jT3_P12ihipStream_tbPNSt15iterator_traitsISE_E10value_typeEPNSK_ISF_E10value_typeEPSG_NS1_7vsmem_tEENKUlT_SE_SF_SG_E_clIS8_S8_S9_S9_EESD_ST_SE_SF_SG_EUlST_E0_NS1_11comp_targetILNS1_3genE4ELNS1_11target_archE910ELNS1_3gpuE8ELNS1_3repE0EEENS1_38merge_mergepath_config_static_selectorELNS0_4arch9wavefront6targetE0EEEvSF_.num_vgpr, 0
	.set _ZN7rocprim17ROCPRIM_400000_NS6detail17trampoline_kernelINS0_14default_configENS1_38merge_sort_block_merge_config_selectorIaNS0_10empty_typeEEEZZNS1_27merge_sort_block_merge_implIS3_PaPS5_jNS1_19radix_merge_compareILb1ELb0EaNS0_19identity_decomposerEEEEE10hipError_tT0_T1_T2_jT3_P12ihipStream_tbPNSt15iterator_traitsISE_E10value_typeEPNSK_ISF_E10value_typeEPSG_NS1_7vsmem_tEENKUlT_SE_SF_SG_E_clIS8_S8_S9_S9_EESD_ST_SE_SF_SG_EUlST_E0_NS1_11comp_targetILNS1_3genE4ELNS1_11target_archE910ELNS1_3gpuE8ELNS1_3repE0EEENS1_38merge_mergepath_config_static_selectorELNS0_4arch9wavefront6targetE0EEEvSF_.num_agpr, 0
	.set _ZN7rocprim17ROCPRIM_400000_NS6detail17trampoline_kernelINS0_14default_configENS1_38merge_sort_block_merge_config_selectorIaNS0_10empty_typeEEEZZNS1_27merge_sort_block_merge_implIS3_PaPS5_jNS1_19radix_merge_compareILb1ELb0EaNS0_19identity_decomposerEEEEE10hipError_tT0_T1_T2_jT3_P12ihipStream_tbPNSt15iterator_traitsISE_E10value_typeEPNSK_ISF_E10value_typeEPSG_NS1_7vsmem_tEENKUlT_SE_SF_SG_E_clIS8_S8_S9_S9_EESD_ST_SE_SF_SG_EUlST_E0_NS1_11comp_targetILNS1_3genE4ELNS1_11target_archE910ELNS1_3gpuE8ELNS1_3repE0EEENS1_38merge_mergepath_config_static_selectorELNS0_4arch9wavefront6targetE0EEEvSF_.numbered_sgpr, 0
	.set _ZN7rocprim17ROCPRIM_400000_NS6detail17trampoline_kernelINS0_14default_configENS1_38merge_sort_block_merge_config_selectorIaNS0_10empty_typeEEEZZNS1_27merge_sort_block_merge_implIS3_PaPS5_jNS1_19radix_merge_compareILb1ELb0EaNS0_19identity_decomposerEEEEE10hipError_tT0_T1_T2_jT3_P12ihipStream_tbPNSt15iterator_traitsISE_E10value_typeEPNSK_ISF_E10value_typeEPSG_NS1_7vsmem_tEENKUlT_SE_SF_SG_E_clIS8_S8_S9_S9_EESD_ST_SE_SF_SG_EUlST_E0_NS1_11comp_targetILNS1_3genE4ELNS1_11target_archE910ELNS1_3gpuE8ELNS1_3repE0EEENS1_38merge_mergepath_config_static_selectorELNS0_4arch9wavefront6targetE0EEEvSF_.num_named_barrier, 0
	.set _ZN7rocprim17ROCPRIM_400000_NS6detail17trampoline_kernelINS0_14default_configENS1_38merge_sort_block_merge_config_selectorIaNS0_10empty_typeEEEZZNS1_27merge_sort_block_merge_implIS3_PaPS5_jNS1_19radix_merge_compareILb1ELb0EaNS0_19identity_decomposerEEEEE10hipError_tT0_T1_T2_jT3_P12ihipStream_tbPNSt15iterator_traitsISE_E10value_typeEPNSK_ISF_E10value_typeEPSG_NS1_7vsmem_tEENKUlT_SE_SF_SG_E_clIS8_S8_S9_S9_EESD_ST_SE_SF_SG_EUlST_E0_NS1_11comp_targetILNS1_3genE4ELNS1_11target_archE910ELNS1_3gpuE8ELNS1_3repE0EEENS1_38merge_mergepath_config_static_selectorELNS0_4arch9wavefront6targetE0EEEvSF_.private_seg_size, 0
	.set _ZN7rocprim17ROCPRIM_400000_NS6detail17trampoline_kernelINS0_14default_configENS1_38merge_sort_block_merge_config_selectorIaNS0_10empty_typeEEEZZNS1_27merge_sort_block_merge_implIS3_PaPS5_jNS1_19radix_merge_compareILb1ELb0EaNS0_19identity_decomposerEEEEE10hipError_tT0_T1_T2_jT3_P12ihipStream_tbPNSt15iterator_traitsISE_E10value_typeEPNSK_ISF_E10value_typeEPSG_NS1_7vsmem_tEENKUlT_SE_SF_SG_E_clIS8_S8_S9_S9_EESD_ST_SE_SF_SG_EUlST_E0_NS1_11comp_targetILNS1_3genE4ELNS1_11target_archE910ELNS1_3gpuE8ELNS1_3repE0EEENS1_38merge_mergepath_config_static_selectorELNS0_4arch9wavefront6targetE0EEEvSF_.uses_vcc, 0
	.set _ZN7rocprim17ROCPRIM_400000_NS6detail17trampoline_kernelINS0_14default_configENS1_38merge_sort_block_merge_config_selectorIaNS0_10empty_typeEEEZZNS1_27merge_sort_block_merge_implIS3_PaPS5_jNS1_19radix_merge_compareILb1ELb0EaNS0_19identity_decomposerEEEEE10hipError_tT0_T1_T2_jT3_P12ihipStream_tbPNSt15iterator_traitsISE_E10value_typeEPNSK_ISF_E10value_typeEPSG_NS1_7vsmem_tEENKUlT_SE_SF_SG_E_clIS8_S8_S9_S9_EESD_ST_SE_SF_SG_EUlST_E0_NS1_11comp_targetILNS1_3genE4ELNS1_11target_archE910ELNS1_3gpuE8ELNS1_3repE0EEENS1_38merge_mergepath_config_static_selectorELNS0_4arch9wavefront6targetE0EEEvSF_.uses_flat_scratch, 0
	.set _ZN7rocprim17ROCPRIM_400000_NS6detail17trampoline_kernelINS0_14default_configENS1_38merge_sort_block_merge_config_selectorIaNS0_10empty_typeEEEZZNS1_27merge_sort_block_merge_implIS3_PaPS5_jNS1_19radix_merge_compareILb1ELb0EaNS0_19identity_decomposerEEEEE10hipError_tT0_T1_T2_jT3_P12ihipStream_tbPNSt15iterator_traitsISE_E10value_typeEPNSK_ISF_E10value_typeEPSG_NS1_7vsmem_tEENKUlT_SE_SF_SG_E_clIS8_S8_S9_S9_EESD_ST_SE_SF_SG_EUlST_E0_NS1_11comp_targetILNS1_3genE4ELNS1_11target_archE910ELNS1_3gpuE8ELNS1_3repE0EEENS1_38merge_mergepath_config_static_selectorELNS0_4arch9wavefront6targetE0EEEvSF_.has_dyn_sized_stack, 0
	.set _ZN7rocprim17ROCPRIM_400000_NS6detail17trampoline_kernelINS0_14default_configENS1_38merge_sort_block_merge_config_selectorIaNS0_10empty_typeEEEZZNS1_27merge_sort_block_merge_implIS3_PaPS5_jNS1_19radix_merge_compareILb1ELb0EaNS0_19identity_decomposerEEEEE10hipError_tT0_T1_T2_jT3_P12ihipStream_tbPNSt15iterator_traitsISE_E10value_typeEPNSK_ISF_E10value_typeEPSG_NS1_7vsmem_tEENKUlT_SE_SF_SG_E_clIS8_S8_S9_S9_EESD_ST_SE_SF_SG_EUlST_E0_NS1_11comp_targetILNS1_3genE4ELNS1_11target_archE910ELNS1_3gpuE8ELNS1_3repE0EEENS1_38merge_mergepath_config_static_selectorELNS0_4arch9wavefront6targetE0EEEvSF_.has_recursion, 0
	.set _ZN7rocprim17ROCPRIM_400000_NS6detail17trampoline_kernelINS0_14default_configENS1_38merge_sort_block_merge_config_selectorIaNS0_10empty_typeEEEZZNS1_27merge_sort_block_merge_implIS3_PaPS5_jNS1_19radix_merge_compareILb1ELb0EaNS0_19identity_decomposerEEEEE10hipError_tT0_T1_T2_jT3_P12ihipStream_tbPNSt15iterator_traitsISE_E10value_typeEPNSK_ISF_E10value_typeEPSG_NS1_7vsmem_tEENKUlT_SE_SF_SG_E_clIS8_S8_S9_S9_EESD_ST_SE_SF_SG_EUlST_E0_NS1_11comp_targetILNS1_3genE4ELNS1_11target_archE910ELNS1_3gpuE8ELNS1_3repE0EEENS1_38merge_mergepath_config_static_selectorELNS0_4arch9wavefront6targetE0EEEvSF_.has_indirect_call, 0
	.section	.AMDGPU.csdata,"",@progbits
; Kernel info:
; codeLenInByte = 0
; TotalNumSgprs: 0
; NumVgprs: 0
; ScratchSize: 0
; MemoryBound: 0
; FloatMode: 240
; IeeeMode: 1
; LDSByteSize: 0 bytes/workgroup (compile time only)
; SGPRBlocks: 0
; VGPRBlocks: 0
; NumSGPRsForWavesPerEU: 1
; NumVGPRsForWavesPerEU: 1
; NamedBarCnt: 0
; Occupancy: 16
; WaveLimiterHint : 0
; COMPUTE_PGM_RSRC2:SCRATCH_EN: 0
; COMPUTE_PGM_RSRC2:USER_SGPR: 2
; COMPUTE_PGM_RSRC2:TRAP_HANDLER: 0
; COMPUTE_PGM_RSRC2:TGID_X_EN: 1
; COMPUTE_PGM_RSRC2:TGID_Y_EN: 0
; COMPUTE_PGM_RSRC2:TGID_Z_EN: 0
; COMPUTE_PGM_RSRC2:TIDIG_COMP_CNT: 0
	.section	.text._ZN7rocprim17ROCPRIM_400000_NS6detail17trampoline_kernelINS0_14default_configENS1_38merge_sort_block_merge_config_selectorIaNS0_10empty_typeEEEZZNS1_27merge_sort_block_merge_implIS3_PaPS5_jNS1_19radix_merge_compareILb1ELb0EaNS0_19identity_decomposerEEEEE10hipError_tT0_T1_T2_jT3_P12ihipStream_tbPNSt15iterator_traitsISE_E10value_typeEPNSK_ISF_E10value_typeEPSG_NS1_7vsmem_tEENKUlT_SE_SF_SG_E_clIS8_S8_S9_S9_EESD_ST_SE_SF_SG_EUlST_E0_NS1_11comp_targetILNS1_3genE3ELNS1_11target_archE908ELNS1_3gpuE7ELNS1_3repE0EEENS1_38merge_mergepath_config_static_selectorELNS0_4arch9wavefront6targetE0EEEvSF_,"axG",@progbits,_ZN7rocprim17ROCPRIM_400000_NS6detail17trampoline_kernelINS0_14default_configENS1_38merge_sort_block_merge_config_selectorIaNS0_10empty_typeEEEZZNS1_27merge_sort_block_merge_implIS3_PaPS5_jNS1_19radix_merge_compareILb1ELb0EaNS0_19identity_decomposerEEEEE10hipError_tT0_T1_T2_jT3_P12ihipStream_tbPNSt15iterator_traitsISE_E10value_typeEPNSK_ISF_E10value_typeEPSG_NS1_7vsmem_tEENKUlT_SE_SF_SG_E_clIS8_S8_S9_S9_EESD_ST_SE_SF_SG_EUlST_E0_NS1_11comp_targetILNS1_3genE3ELNS1_11target_archE908ELNS1_3gpuE7ELNS1_3repE0EEENS1_38merge_mergepath_config_static_selectorELNS0_4arch9wavefront6targetE0EEEvSF_,comdat
	.protected	_ZN7rocprim17ROCPRIM_400000_NS6detail17trampoline_kernelINS0_14default_configENS1_38merge_sort_block_merge_config_selectorIaNS0_10empty_typeEEEZZNS1_27merge_sort_block_merge_implIS3_PaPS5_jNS1_19radix_merge_compareILb1ELb0EaNS0_19identity_decomposerEEEEE10hipError_tT0_T1_T2_jT3_P12ihipStream_tbPNSt15iterator_traitsISE_E10value_typeEPNSK_ISF_E10value_typeEPSG_NS1_7vsmem_tEENKUlT_SE_SF_SG_E_clIS8_S8_S9_S9_EESD_ST_SE_SF_SG_EUlST_E0_NS1_11comp_targetILNS1_3genE3ELNS1_11target_archE908ELNS1_3gpuE7ELNS1_3repE0EEENS1_38merge_mergepath_config_static_selectorELNS0_4arch9wavefront6targetE0EEEvSF_ ; -- Begin function _ZN7rocprim17ROCPRIM_400000_NS6detail17trampoline_kernelINS0_14default_configENS1_38merge_sort_block_merge_config_selectorIaNS0_10empty_typeEEEZZNS1_27merge_sort_block_merge_implIS3_PaPS5_jNS1_19radix_merge_compareILb1ELb0EaNS0_19identity_decomposerEEEEE10hipError_tT0_T1_T2_jT3_P12ihipStream_tbPNSt15iterator_traitsISE_E10value_typeEPNSK_ISF_E10value_typeEPSG_NS1_7vsmem_tEENKUlT_SE_SF_SG_E_clIS8_S8_S9_S9_EESD_ST_SE_SF_SG_EUlST_E0_NS1_11comp_targetILNS1_3genE3ELNS1_11target_archE908ELNS1_3gpuE7ELNS1_3repE0EEENS1_38merge_mergepath_config_static_selectorELNS0_4arch9wavefront6targetE0EEEvSF_
	.globl	_ZN7rocprim17ROCPRIM_400000_NS6detail17trampoline_kernelINS0_14default_configENS1_38merge_sort_block_merge_config_selectorIaNS0_10empty_typeEEEZZNS1_27merge_sort_block_merge_implIS3_PaPS5_jNS1_19radix_merge_compareILb1ELb0EaNS0_19identity_decomposerEEEEE10hipError_tT0_T1_T2_jT3_P12ihipStream_tbPNSt15iterator_traitsISE_E10value_typeEPNSK_ISF_E10value_typeEPSG_NS1_7vsmem_tEENKUlT_SE_SF_SG_E_clIS8_S8_S9_S9_EESD_ST_SE_SF_SG_EUlST_E0_NS1_11comp_targetILNS1_3genE3ELNS1_11target_archE908ELNS1_3gpuE7ELNS1_3repE0EEENS1_38merge_mergepath_config_static_selectorELNS0_4arch9wavefront6targetE0EEEvSF_
	.p2align	8
	.type	_ZN7rocprim17ROCPRIM_400000_NS6detail17trampoline_kernelINS0_14default_configENS1_38merge_sort_block_merge_config_selectorIaNS0_10empty_typeEEEZZNS1_27merge_sort_block_merge_implIS3_PaPS5_jNS1_19radix_merge_compareILb1ELb0EaNS0_19identity_decomposerEEEEE10hipError_tT0_T1_T2_jT3_P12ihipStream_tbPNSt15iterator_traitsISE_E10value_typeEPNSK_ISF_E10value_typeEPSG_NS1_7vsmem_tEENKUlT_SE_SF_SG_E_clIS8_S8_S9_S9_EESD_ST_SE_SF_SG_EUlST_E0_NS1_11comp_targetILNS1_3genE3ELNS1_11target_archE908ELNS1_3gpuE7ELNS1_3repE0EEENS1_38merge_mergepath_config_static_selectorELNS0_4arch9wavefront6targetE0EEEvSF_,@function
_ZN7rocprim17ROCPRIM_400000_NS6detail17trampoline_kernelINS0_14default_configENS1_38merge_sort_block_merge_config_selectorIaNS0_10empty_typeEEEZZNS1_27merge_sort_block_merge_implIS3_PaPS5_jNS1_19radix_merge_compareILb1ELb0EaNS0_19identity_decomposerEEEEE10hipError_tT0_T1_T2_jT3_P12ihipStream_tbPNSt15iterator_traitsISE_E10value_typeEPNSK_ISF_E10value_typeEPSG_NS1_7vsmem_tEENKUlT_SE_SF_SG_E_clIS8_S8_S9_S9_EESD_ST_SE_SF_SG_EUlST_E0_NS1_11comp_targetILNS1_3genE3ELNS1_11target_archE908ELNS1_3gpuE7ELNS1_3repE0EEENS1_38merge_mergepath_config_static_selectorELNS0_4arch9wavefront6targetE0EEEvSF_: ; @_ZN7rocprim17ROCPRIM_400000_NS6detail17trampoline_kernelINS0_14default_configENS1_38merge_sort_block_merge_config_selectorIaNS0_10empty_typeEEEZZNS1_27merge_sort_block_merge_implIS3_PaPS5_jNS1_19radix_merge_compareILb1ELb0EaNS0_19identity_decomposerEEEEE10hipError_tT0_T1_T2_jT3_P12ihipStream_tbPNSt15iterator_traitsISE_E10value_typeEPNSK_ISF_E10value_typeEPSG_NS1_7vsmem_tEENKUlT_SE_SF_SG_E_clIS8_S8_S9_S9_EESD_ST_SE_SF_SG_EUlST_E0_NS1_11comp_targetILNS1_3genE3ELNS1_11target_archE908ELNS1_3gpuE7ELNS1_3repE0EEENS1_38merge_mergepath_config_static_selectorELNS0_4arch9wavefront6targetE0EEEvSF_
; %bb.0:
	.section	.rodata,"a",@progbits
	.p2align	6, 0x0
	.amdhsa_kernel _ZN7rocprim17ROCPRIM_400000_NS6detail17trampoline_kernelINS0_14default_configENS1_38merge_sort_block_merge_config_selectorIaNS0_10empty_typeEEEZZNS1_27merge_sort_block_merge_implIS3_PaPS5_jNS1_19radix_merge_compareILb1ELb0EaNS0_19identity_decomposerEEEEE10hipError_tT0_T1_T2_jT3_P12ihipStream_tbPNSt15iterator_traitsISE_E10value_typeEPNSK_ISF_E10value_typeEPSG_NS1_7vsmem_tEENKUlT_SE_SF_SG_E_clIS8_S8_S9_S9_EESD_ST_SE_SF_SG_EUlST_E0_NS1_11comp_targetILNS1_3genE3ELNS1_11target_archE908ELNS1_3gpuE7ELNS1_3repE0EEENS1_38merge_mergepath_config_static_selectorELNS0_4arch9wavefront6targetE0EEEvSF_
		.amdhsa_group_segment_fixed_size 0
		.amdhsa_private_segment_fixed_size 0
		.amdhsa_kernarg_size 64
		.amdhsa_user_sgpr_count 2
		.amdhsa_user_sgpr_dispatch_ptr 0
		.amdhsa_user_sgpr_queue_ptr 0
		.amdhsa_user_sgpr_kernarg_segment_ptr 1
		.amdhsa_user_sgpr_dispatch_id 0
		.amdhsa_user_sgpr_kernarg_preload_length 0
		.amdhsa_user_sgpr_kernarg_preload_offset 0
		.amdhsa_user_sgpr_private_segment_size 0
		.amdhsa_wavefront_size32 1
		.amdhsa_uses_dynamic_stack 0
		.amdhsa_enable_private_segment 0
		.amdhsa_system_sgpr_workgroup_id_x 1
		.amdhsa_system_sgpr_workgroup_id_y 0
		.amdhsa_system_sgpr_workgroup_id_z 0
		.amdhsa_system_sgpr_workgroup_info 0
		.amdhsa_system_vgpr_workitem_id 0
		.amdhsa_next_free_vgpr 1
		.amdhsa_next_free_sgpr 1
		.amdhsa_named_barrier_count 0
		.amdhsa_reserve_vcc 0
		.amdhsa_float_round_mode_32 0
		.amdhsa_float_round_mode_16_64 0
		.amdhsa_float_denorm_mode_32 3
		.amdhsa_float_denorm_mode_16_64 3
		.amdhsa_fp16_overflow 0
		.amdhsa_memory_ordered 1
		.amdhsa_forward_progress 1
		.amdhsa_inst_pref_size 0
		.amdhsa_round_robin_scheduling 0
		.amdhsa_exception_fp_ieee_invalid_op 0
		.amdhsa_exception_fp_denorm_src 0
		.amdhsa_exception_fp_ieee_div_zero 0
		.amdhsa_exception_fp_ieee_overflow 0
		.amdhsa_exception_fp_ieee_underflow 0
		.amdhsa_exception_fp_ieee_inexact 0
		.amdhsa_exception_int_div_zero 0
	.end_amdhsa_kernel
	.section	.text._ZN7rocprim17ROCPRIM_400000_NS6detail17trampoline_kernelINS0_14default_configENS1_38merge_sort_block_merge_config_selectorIaNS0_10empty_typeEEEZZNS1_27merge_sort_block_merge_implIS3_PaPS5_jNS1_19radix_merge_compareILb1ELb0EaNS0_19identity_decomposerEEEEE10hipError_tT0_T1_T2_jT3_P12ihipStream_tbPNSt15iterator_traitsISE_E10value_typeEPNSK_ISF_E10value_typeEPSG_NS1_7vsmem_tEENKUlT_SE_SF_SG_E_clIS8_S8_S9_S9_EESD_ST_SE_SF_SG_EUlST_E0_NS1_11comp_targetILNS1_3genE3ELNS1_11target_archE908ELNS1_3gpuE7ELNS1_3repE0EEENS1_38merge_mergepath_config_static_selectorELNS0_4arch9wavefront6targetE0EEEvSF_,"axG",@progbits,_ZN7rocprim17ROCPRIM_400000_NS6detail17trampoline_kernelINS0_14default_configENS1_38merge_sort_block_merge_config_selectorIaNS0_10empty_typeEEEZZNS1_27merge_sort_block_merge_implIS3_PaPS5_jNS1_19radix_merge_compareILb1ELb0EaNS0_19identity_decomposerEEEEE10hipError_tT0_T1_T2_jT3_P12ihipStream_tbPNSt15iterator_traitsISE_E10value_typeEPNSK_ISF_E10value_typeEPSG_NS1_7vsmem_tEENKUlT_SE_SF_SG_E_clIS8_S8_S9_S9_EESD_ST_SE_SF_SG_EUlST_E0_NS1_11comp_targetILNS1_3genE3ELNS1_11target_archE908ELNS1_3gpuE7ELNS1_3repE0EEENS1_38merge_mergepath_config_static_selectorELNS0_4arch9wavefront6targetE0EEEvSF_,comdat
.Lfunc_end285:
	.size	_ZN7rocprim17ROCPRIM_400000_NS6detail17trampoline_kernelINS0_14default_configENS1_38merge_sort_block_merge_config_selectorIaNS0_10empty_typeEEEZZNS1_27merge_sort_block_merge_implIS3_PaPS5_jNS1_19radix_merge_compareILb1ELb0EaNS0_19identity_decomposerEEEEE10hipError_tT0_T1_T2_jT3_P12ihipStream_tbPNSt15iterator_traitsISE_E10value_typeEPNSK_ISF_E10value_typeEPSG_NS1_7vsmem_tEENKUlT_SE_SF_SG_E_clIS8_S8_S9_S9_EESD_ST_SE_SF_SG_EUlST_E0_NS1_11comp_targetILNS1_3genE3ELNS1_11target_archE908ELNS1_3gpuE7ELNS1_3repE0EEENS1_38merge_mergepath_config_static_selectorELNS0_4arch9wavefront6targetE0EEEvSF_, .Lfunc_end285-_ZN7rocprim17ROCPRIM_400000_NS6detail17trampoline_kernelINS0_14default_configENS1_38merge_sort_block_merge_config_selectorIaNS0_10empty_typeEEEZZNS1_27merge_sort_block_merge_implIS3_PaPS5_jNS1_19radix_merge_compareILb1ELb0EaNS0_19identity_decomposerEEEEE10hipError_tT0_T1_T2_jT3_P12ihipStream_tbPNSt15iterator_traitsISE_E10value_typeEPNSK_ISF_E10value_typeEPSG_NS1_7vsmem_tEENKUlT_SE_SF_SG_E_clIS8_S8_S9_S9_EESD_ST_SE_SF_SG_EUlST_E0_NS1_11comp_targetILNS1_3genE3ELNS1_11target_archE908ELNS1_3gpuE7ELNS1_3repE0EEENS1_38merge_mergepath_config_static_selectorELNS0_4arch9wavefront6targetE0EEEvSF_
                                        ; -- End function
	.set _ZN7rocprim17ROCPRIM_400000_NS6detail17trampoline_kernelINS0_14default_configENS1_38merge_sort_block_merge_config_selectorIaNS0_10empty_typeEEEZZNS1_27merge_sort_block_merge_implIS3_PaPS5_jNS1_19radix_merge_compareILb1ELb0EaNS0_19identity_decomposerEEEEE10hipError_tT0_T1_T2_jT3_P12ihipStream_tbPNSt15iterator_traitsISE_E10value_typeEPNSK_ISF_E10value_typeEPSG_NS1_7vsmem_tEENKUlT_SE_SF_SG_E_clIS8_S8_S9_S9_EESD_ST_SE_SF_SG_EUlST_E0_NS1_11comp_targetILNS1_3genE3ELNS1_11target_archE908ELNS1_3gpuE7ELNS1_3repE0EEENS1_38merge_mergepath_config_static_selectorELNS0_4arch9wavefront6targetE0EEEvSF_.num_vgpr, 0
	.set _ZN7rocprim17ROCPRIM_400000_NS6detail17trampoline_kernelINS0_14default_configENS1_38merge_sort_block_merge_config_selectorIaNS0_10empty_typeEEEZZNS1_27merge_sort_block_merge_implIS3_PaPS5_jNS1_19radix_merge_compareILb1ELb0EaNS0_19identity_decomposerEEEEE10hipError_tT0_T1_T2_jT3_P12ihipStream_tbPNSt15iterator_traitsISE_E10value_typeEPNSK_ISF_E10value_typeEPSG_NS1_7vsmem_tEENKUlT_SE_SF_SG_E_clIS8_S8_S9_S9_EESD_ST_SE_SF_SG_EUlST_E0_NS1_11comp_targetILNS1_3genE3ELNS1_11target_archE908ELNS1_3gpuE7ELNS1_3repE0EEENS1_38merge_mergepath_config_static_selectorELNS0_4arch9wavefront6targetE0EEEvSF_.num_agpr, 0
	.set _ZN7rocprim17ROCPRIM_400000_NS6detail17trampoline_kernelINS0_14default_configENS1_38merge_sort_block_merge_config_selectorIaNS0_10empty_typeEEEZZNS1_27merge_sort_block_merge_implIS3_PaPS5_jNS1_19radix_merge_compareILb1ELb0EaNS0_19identity_decomposerEEEEE10hipError_tT0_T1_T2_jT3_P12ihipStream_tbPNSt15iterator_traitsISE_E10value_typeEPNSK_ISF_E10value_typeEPSG_NS1_7vsmem_tEENKUlT_SE_SF_SG_E_clIS8_S8_S9_S9_EESD_ST_SE_SF_SG_EUlST_E0_NS1_11comp_targetILNS1_3genE3ELNS1_11target_archE908ELNS1_3gpuE7ELNS1_3repE0EEENS1_38merge_mergepath_config_static_selectorELNS0_4arch9wavefront6targetE0EEEvSF_.numbered_sgpr, 0
	.set _ZN7rocprim17ROCPRIM_400000_NS6detail17trampoline_kernelINS0_14default_configENS1_38merge_sort_block_merge_config_selectorIaNS0_10empty_typeEEEZZNS1_27merge_sort_block_merge_implIS3_PaPS5_jNS1_19radix_merge_compareILb1ELb0EaNS0_19identity_decomposerEEEEE10hipError_tT0_T1_T2_jT3_P12ihipStream_tbPNSt15iterator_traitsISE_E10value_typeEPNSK_ISF_E10value_typeEPSG_NS1_7vsmem_tEENKUlT_SE_SF_SG_E_clIS8_S8_S9_S9_EESD_ST_SE_SF_SG_EUlST_E0_NS1_11comp_targetILNS1_3genE3ELNS1_11target_archE908ELNS1_3gpuE7ELNS1_3repE0EEENS1_38merge_mergepath_config_static_selectorELNS0_4arch9wavefront6targetE0EEEvSF_.num_named_barrier, 0
	.set _ZN7rocprim17ROCPRIM_400000_NS6detail17trampoline_kernelINS0_14default_configENS1_38merge_sort_block_merge_config_selectorIaNS0_10empty_typeEEEZZNS1_27merge_sort_block_merge_implIS3_PaPS5_jNS1_19radix_merge_compareILb1ELb0EaNS0_19identity_decomposerEEEEE10hipError_tT0_T1_T2_jT3_P12ihipStream_tbPNSt15iterator_traitsISE_E10value_typeEPNSK_ISF_E10value_typeEPSG_NS1_7vsmem_tEENKUlT_SE_SF_SG_E_clIS8_S8_S9_S9_EESD_ST_SE_SF_SG_EUlST_E0_NS1_11comp_targetILNS1_3genE3ELNS1_11target_archE908ELNS1_3gpuE7ELNS1_3repE0EEENS1_38merge_mergepath_config_static_selectorELNS0_4arch9wavefront6targetE0EEEvSF_.private_seg_size, 0
	.set _ZN7rocprim17ROCPRIM_400000_NS6detail17trampoline_kernelINS0_14default_configENS1_38merge_sort_block_merge_config_selectorIaNS0_10empty_typeEEEZZNS1_27merge_sort_block_merge_implIS3_PaPS5_jNS1_19radix_merge_compareILb1ELb0EaNS0_19identity_decomposerEEEEE10hipError_tT0_T1_T2_jT3_P12ihipStream_tbPNSt15iterator_traitsISE_E10value_typeEPNSK_ISF_E10value_typeEPSG_NS1_7vsmem_tEENKUlT_SE_SF_SG_E_clIS8_S8_S9_S9_EESD_ST_SE_SF_SG_EUlST_E0_NS1_11comp_targetILNS1_3genE3ELNS1_11target_archE908ELNS1_3gpuE7ELNS1_3repE0EEENS1_38merge_mergepath_config_static_selectorELNS0_4arch9wavefront6targetE0EEEvSF_.uses_vcc, 0
	.set _ZN7rocprim17ROCPRIM_400000_NS6detail17trampoline_kernelINS0_14default_configENS1_38merge_sort_block_merge_config_selectorIaNS0_10empty_typeEEEZZNS1_27merge_sort_block_merge_implIS3_PaPS5_jNS1_19radix_merge_compareILb1ELb0EaNS0_19identity_decomposerEEEEE10hipError_tT0_T1_T2_jT3_P12ihipStream_tbPNSt15iterator_traitsISE_E10value_typeEPNSK_ISF_E10value_typeEPSG_NS1_7vsmem_tEENKUlT_SE_SF_SG_E_clIS8_S8_S9_S9_EESD_ST_SE_SF_SG_EUlST_E0_NS1_11comp_targetILNS1_3genE3ELNS1_11target_archE908ELNS1_3gpuE7ELNS1_3repE0EEENS1_38merge_mergepath_config_static_selectorELNS0_4arch9wavefront6targetE0EEEvSF_.uses_flat_scratch, 0
	.set _ZN7rocprim17ROCPRIM_400000_NS6detail17trampoline_kernelINS0_14default_configENS1_38merge_sort_block_merge_config_selectorIaNS0_10empty_typeEEEZZNS1_27merge_sort_block_merge_implIS3_PaPS5_jNS1_19radix_merge_compareILb1ELb0EaNS0_19identity_decomposerEEEEE10hipError_tT0_T1_T2_jT3_P12ihipStream_tbPNSt15iterator_traitsISE_E10value_typeEPNSK_ISF_E10value_typeEPSG_NS1_7vsmem_tEENKUlT_SE_SF_SG_E_clIS8_S8_S9_S9_EESD_ST_SE_SF_SG_EUlST_E0_NS1_11comp_targetILNS1_3genE3ELNS1_11target_archE908ELNS1_3gpuE7ELNS1_3repE0EEENS1_38merge_mergepath_config_static_selectorELNS0_4arch9wavefront6targetE0EEEvSF_.has_dyn_sized_stack, 0
	.set _ZN7rocprim17ROCPRIM_400000_NS6detail17trampoline_kernelINS0_14default_configENS1_38merge_sort_block_merge_config_selectorIaNS0_10empty_typeEEEZZNS1_27merge_sort_block_merge_implIS3_PaPS5_jNS1_19radix_merge_compareILb1ELb0EaNS0_19identity_decomposerEEEEE10hipError_tT0_T1_T2_jT3_P12ihipStream_tbPNSt15iterator_traitsISE_E10value_typeEPNSK_ISF_E10value_typeEPSG_NS1_7vsmem_tEENKUlT_SE_SF_SG_E_clIS8_S8_S9_S9_EESD_ST_SE_SF_SG_EUlST_E0_NS1_11comp_targetILNS1_3genE3ELNS1_11target_archE908ELNS1_3gpuE7ELNS1_3repE0EEENS1_38merge_mergepath_config_static_selectorELNS0_4arch9wavefront6targetE0EEEvSF_.has_recursion, 0
	.set _ZN7rocprim17ROCPRIM_400000_NS6detail17trampoline_kernelINS0_14default_configENS1_38merge_sort_block_merge_config_selectorIaNS0_10empty_typeEEEZZNS1_27merge_sort_block_merge_implIS3_PaPS5_jNS1_19radix_merge_compareILb1ELb0EaNS0_19identity_decomposerEEEEE10hipError_tT0_T1_T2_jT3_P12ihipStream_tbPNSt15iterator_traitsISE_E10value_typeEPNSK_ISF_E10value_typeEPSG_NS1_7vsmem_tEENKUlT_SE_SF_SG_E_clIS8_S8_S9_S9_EESD_ST_SE_SF_SG_EUlST_E0_NS1_11comp_targetILNS1_3genE3ELNS1_11target_archE908ELNS1_3gpuE7ELNS1_3repE0EEENS1_38merge_mergepath_config_static_selectorELNS0_4arch9wavefront6targetE0EEEvSF_.has_indirect_call, 0
	.section	.AMDGPU.csdata,"",@progbits
; Kernel info:
; codeLenInByte = 0
; TotalNumSgprs: 0
; NumVgprs: 0
; ScratchSize: 0
; MemoryBound: 0
; FloatMode: 240
; IeeeMode: 1
; LDSByteSize: 0 bytes/workgroup (compile time only)
; SGPRBlocks: 0
; VGPRBlocks: 0
; NumSGPRsForWavesPerEU: 1
; NumVGPRsForWavesPerEU: 1
; NamedBarCnt: 0
; Occupancy: 16
; WaveLimiterHint : 0
; COMPUTE_PGM_RSRC2:SCRATCH_EN: 0
; COMPUTE_PGM_RSRC2:USER_SGPR: 2
; COMPUTE_PGM_RSRC2:TRAP_HANDLER: 0
; COMPUTE_PGM_RSRC2:TGID_X_EN: 1
; COMPUTE_PGM_RSRC2:TGID_Y_EN: 0
; COMPUTE_PGM_RSRC2:TGID_Z_EN: 0
; COMPUTE_PGM_RSRC2:TIDIG_COMP_CNT: 0
	.section	.text._ZN7rocprim17ROCPRIM_400000_NS6detail17trampoline_kernelINS0_14default_configENS1_38merge_sort_block_merge_config_selectorIaNS0_10empty_typeEEEZZNS1_27merge_sort_block_merge_implIS3_PaPS5_jNS1_19radix_merge_compareILb1ELb0EaNS0_19identity_decomposerEEEEE10hipError_tT0_T1_T2_jT3_P12ihipStream_tbPNSt15iterator_traitsISE_E10value_typeEPNSK_ISF_E10value_typeEPSG_NS1_7vsmem_tEENKUlT_SE_SF_SG_E_clIS8_S8_S9_S9_EESD_ST_SE_SF_SG_EUlST_E0_NS1_11comp_targetILNS1_3genE2ELNS1_11target_archE906ELNS1_3gpuE6ELNS1_3repE0EEENS1_38merge_mergepath_config_static_selectorELNS0_4arch9wavefront6targetE0EEEvSF_,"axG",@progbits,_ZN7rocprim17ROCPRIM_400000_NS6detail17trampoline_kernelINS0_14default_configENS1_38merge_sort_block_merge_config_selectorIaNS0_10empty_typeEEEZZNS1_27merge_sort_block_merge_implIS3_PaPS5_jNS1_19radix_merge_compareILb1ELb0EaNS0_19identity_decomposerEEEEE10hipError_tT0_T1_T2_jT3_P12ihipStream_tbPNSt15iterator_traitsISE_E10value_typeEPNSK_ISF_E10value_typeEPSG_NS1_7vsmem_tEENKUlT_SE_SF_SG_E_clIS8_S8_S9_S9_EESD_ST_SE_SF_SG_EUlST_E0_NS1_11comp_targetILNS1_3genE2ELNS1_11target_archE906ELNS1_3gpuE6ELNS1_3repE0EEENS1_38merge_mergepath_config_static_selectorELNS0_4arch9wavefront6targetE0EEEvSF_,comdat
	.protected	_ZN7rocprim17ROCPRIM_400000_NS6detail17trampoline_kernelINS0_14default_configENS1_38merge_sort_block_merge_config_selectorIaNS0_10empty_typeEEEZZNS1_27merge_sort_block_merge_implIS3_PaPS5_jNS1_19radix_merge_compareILb1ELb0EaNS0_19identity_decomposerEEEEE10hipError_tT0_T1_T2_jT3_P12ihipStream_tbPNSt15iterator_traitsISE_E10value_typeEPNSK_ISF_E10value_typeEPSG_NS1_7vsmem_tEENKUlT_SE_SF_SG_E_clIS8_S8_S9_S9_EESD_ST_SE_SF_SG_EUlST_E0_NS1_11comp_targetILNS1_3genE2ELNS1_11target_archE906ELNS1_3gpuE6ELNS1_3repE0EEENS1_38merge_mergepath_config_static_selectorELNS0_4arch9wavefront6targetE0EEEvSF_ ; -- Begin function _ZN7rocprim17ROCPRIM_400000_NS6detail17trampoline_kernelINS0_14default_configENS1_38merge_sort_block_merge_config_selectorIaNS0_10empty_typeEEEZZNS1_27merge_sort_block_merge_implIS3_PaPS5_jNS1_19radix_merge_compareILb1ELb0EaNS0_19identity_decomposerEEEEE10hipError_tT0_T1_T2_jT3_P12ihipStream_tbPNSt15iterator_traitsISE_E10value_typeEPNSK_ISF_E10value_typeEPSG_NS1_7vsmem_tEENKUlT_SE_SF_SG_E_clIS8_S8_S9_S9_EESD_ST_SE_SF_SG_EUlST_E0_NS1_11comp_targetILNS1_3genE2ELNS1_11target_archE906ELNS1_3gpuE6ELNS1_3repE0EEENS1_38merge_mergepath_config_static_selectorELNS0_4arch9wavefront6targetE0EEEvSF_
	.globl	_ZN7rocprim17ROCPRIM_400000_NS6detail17trampoline_kernelINS0_14default_configENS1_38merge_sort_block_merge_config_selectorIaNS0_10empty_typeEEEZZNS1_27merge_sort_block_merge_implIS3_PaPS5_jNS1_19radix_merge_compareILb1ELb0EaNS0_19identity_decomposerEEEEE10hipError_tT0_T1_T2_jT3_P12ihipStream_tbPNSt15iterator_traitsISE_E10value_typeEPNSK_ISF_E10value_typeEPSG_NS1_7vsmem_tEENKUlT_SE_SF_SG_E_clIS8_S8_S9_S9_EESD_ST_SE_SF_SG_EUlST_E0_NS1_11comp_targetILNS1_3genE2ELNS1_11target_archE906ELNS1_3gpuE6ELNS1_3repE0EEENS1_38merge_mergepath_config_static_selectorELNS0_4arch9wavefront6targetE0EEEvSF_
	.p2align	8
	.type	_ZN7rocprim17ROCPRIM_400000_NS6detail17trampoline_kernelINS0_14default_configENS1_38merge_sort_block_merge_config_selectorIaNS0_10empty_typeEEEZZNS1_27merge_sort_block_merge_implIS3_PaPS5_jNS1_19radix_merge_compareILb1ELb0EaNS0_19identity_decomposerEEEEE10hipError_tT0_T1_T2_jT3_P12ihipStream_tbPNSt15iterator_traitsISE_E10value_typeEPNSK_ISF_E10value_typeEPSG_NS1_7vsmem_tEENKUlT_SE_SF_SG_E_clIS8_S8_S9_S9_EESD_ST_SE_SF_SG_EUlST_E0_NS1_11comp_targetILNS1_3genE2ELNS1_11target_archE906ELNS1_3gpuE6ELNS1_3repE0EEENS1_38merge_mergepath_config_static_selectorELNS0_4arch9wavefront6targetE0EEEvSF_,@function
_ZN7rocprim17ROCPRIM_400000_NS6detail17trampoline_kernelINS0_14default_configENS1_38merge_sort_block_merge_config_selectorIaNS0_10empty_typeEEEZZNS1_27merge_sort_block_merge_implIS3_PaPS5_jNS1_19radix_merge_compareILb1ELb0EaNS0_19identity_decomposerEEEEE10hipError_tT0_T1_T2_jT3_P12ihipStream_tbPNSt15iterator_traitsISE_E10value_typeEPNSK_ISF_E10value_typeEPSG_NS1_7vsmem_tEENKUlT_SE_SF_SG_E_clIS8_S8_S9_S9_EESD_ST_SE_SF_SG_EUlST_E0_NS1_11comp_targetILNS1_3genE2ELNS1_11target_archE906ELNS1_3gpuE6ELNS1_3repE0EEENS1_38merge_mergepath_config_static_selectorELNS0_4arch9wavefront6targetE0EEEvSF_: ; @_ZN7rocprim17ROCPRIM_400000_NS6detail17trampoline_kernelINS0_14default_configENS1_38merge_sort_block_merge_config_selectorIaNS0_10empty_typeEEEZZNS1_27merge_sort_block_merge_implIS3_PaPS5_jNS1_19radix_merge_compareILb1ELb0EaNS0_19identity_decomposerEEEEE10hipError_tT0_T1_T2_jT3_P12ihipStream_tbPNSt15iterator_traitsISE_E10value_typeEPNSK_ISF_E10value_typeEPSG_NS1_7vsmem_tEENKUlT_SE_SF_SG_E_clIS8_S8_S9_S9_EESD_ST_SE_SF_SG_EUlST_E0_NS1_11comp_targetILNS1_3genE2ELNS1_11target_archE906ELNS1_3gpuE6ELNS1_3repE0EEENS1_38merge_mergepath_config_static_selectorELNS0_4arch9wavefront6targetE0EEEvSF_
; %bb.0:
	.section	.rodata,"a",@progbits
	.p2align	6, 0x0
	.amdhsa_kernel _ZN7rocprim17ROCPRIM_400000_NS6detail17trampoline_kernelINS0_14default_configENS1_38merge_sort_block_merge_config_selectorIaNS0_10empty_typeEEEZZNS1_27merge_sort_block_merge_implIS3_PaPS5_jNS1_19radix_merge_compareILb1ELb0EaNS0_19identity_decomposerEEEEE10hipError_tT0_T1_T2_jT3_P12ihipStream_tbPNSt15iterator_traitsISE_E10value_typeEPNSK_ISF_E10value_typeEPSG_NS1_7vsmem_tEENKUlT_SE_SF_SG_E_clIS8_S8_S9_S9_EESD_ST_SE_SF_SG_EUlST_E0_NS1_11comp_targetILNS1_3genE2ELNS1_11target_archE906ELNS1_3gpuE6ELNS1_3repE0EEENS1_38merge_mergepath_config_static_selectorELNS0_4arch9wavefront6targetE0EEEvSF_
		.amdhsa_group_segment_fixed_size 0
		.amdhsa_private_segment_fixed_size 0
		.amdhsa_kernarg_size 64
		.amdhsa_user_sgpr_count 2
		.amdhsa_user_sgpr_dispatch_ptr 0
		.amdhsa_user_sgpr_queue_ptr 0
		.amdhsa_user_sgpr_kernarg_segment_ptr 1
		.amdhsa_user_sgpr_dispatch_id 0
		.amdhsa_user_sgpr_kernarg_preload_length 0
		.amdhsa_user_sgpr_kernarg_preload_offset 0
		.amdhsa_user_sgpr_private_segment_size 0
		.amdhsa_wavefront_size32 1
		.amdhsa_uses_dynamic_stack 0
		.amdhsa_enable_private_segment 0
		.amdhsa_system_sgpr_workgroup_id_x 1
		.amdhsa_system_sgpr_workgroup_id_y 0
		.amdhsa_system_sgpr_workgroup_id_z 0
		.amdhsa_system_sgpr_workgroup_info 0
		.amdhsa_system_vgpr_workitem_id 0
		.amdhsa_next_free_vgpr 1
		.amdhsa_next_free_sgpr 1
		.amdhsa_named_barrier_count 0
		.amdhsa_reserve_vcc 0
		.amdhsa_float_round_mode_32 0
		.amdhsa_float_round_mode_16_64 0
		.amdhsa_float_denorm_mode_32 3
		.amdhsa_float_denorm_mode_16_64 3
		.amdhsa_fp16_overflow 0
		.amdhsa_memory_ordered 1
		.amdhsa_forward_progress 1
		.amdhsa_inst_pref_size 0
		.amdhsa_round_robin_scheduling 0
		.amdhsa_exception_fp_ieee_invalid_op 0
		.amdhsa_exception_fp_denorm_src 0
		.amdhsa_exception_fp_ieee_div_zero 0
		.amdhsa_exception_fp_ieee_overflow 0
		.amdhsa_exception_fp_ieee_underflow 0
		.amdhsa_exception_fp_ieee_inexact 0
		.amdhsa_exception_int_div_zero 0
	.end_amdhsa_kernel
	.section	.text._ZN7rocprim17ROCPRIM_400000_NS6detail17trampoline_kernelINS0_14default_configENS1_38merge_sort_block_merge_config_selectorIaNS0_10empty_typeEEEZZNS1_27merge_sort_block_merge_implIS3_PaPS5_jNS1_19radix_merge_compareILb1ELb0EaNS0_19identity_decomposerEEEEE10hipError_tT0_T1_T2_jT3_P12ihipStream_tbPNSt15iterator_traitsISE_E10value_typeEPNSK_ISF_E10value_typeEPSG_NS1_7vsmem_tEENKUlT_SE_SF_SG_E_clIS8_S8_S9_S9_EESD_ST_SE_SF_SG_EUlST_E0_NS1_11comp_targetILNS1_3genE2ELNS1_11target_archE906ELNS1_3gpuE6ELNS1_3repE0EEENS1_38merge_mergepath_config_static_selectorELNS0_4arch9wavefront6targetE0EEEvSF_,"axG",@progbits,_ZN7rocprim17ROCPRIM_400000_NS6detail17trampoline_kernelINS0_14default_configENS1_38merge_sort_block_merge_config_selectorIaNS0_10empty_typeEEEZZNS1_27merge_sort_block_merge_implIS3_PaPS5_jNS1_19radix_merge_compareILb1ELb0EaNS0_19identity_decomposerEEEEE10hipError_tT0_T1_T2_jT3_P12ihipStream_tbPNSt15iterator_traitsISE_E10value_typeEPNSK_ISF_E10value_typeEPSG_NS1_7vsmem_tEENKUlT_SE_SF_SG_E_clIS8_S8_S9_S9_EESD_ST_SE_SF_SG_EUlST_E0_NS1_11comp_targetILNS1_3genE2ELNS1_11target_archE906ELNS1_3gpuE6ELNS1_3repE0EEENS1_38merge_mergepath_config_static_selectorELNS0_4arch9wavefront6targetE0EEEvSF_,comdat
.Lfunc_end286:
	.size	_ZN7rocprim17ROCPRIM_400000_NS6detail17trampoline_kernelINS0_14default_configENS1_38merge_sort_block_merge_config_selectorIaNS0_10empty_typeEEEZZNS1_27merge_sort_block_merge_implIS3_PaPS5_jNS1_19radix_merge_compareILb1ELb0EaNS0_19identity_decomposerEEEEE10hipError_tT0_T1_T2_jT3_P12ihipStream_tbPNSt15iterator_traitsISE_E10value_typeEPNSK_ISF_E10value_typeEPSG_NS1_7vsmem_tEENKUlT_SE_SF_SG_E_clIS8_S8_S9_S9_EESD_ST_SE_SF_SG_EUlST_E0_NS1_11comp_targetILNS1_3genE2ELNS1_11target_archE906ELNS1_3gpuE6ELNS1_3repE0EEENS1_38merge_mergepath_config_static_selectorELNS0_4arch9wavefront6targetE0EEEvSF_, .Lfunc_end286-_ZN7rocprim17ROCPRIM_400000_NS6detail17trampoline_kernelINS0_14default_configENS1_38merge_sort_block_merge_config_selectorIaNS0_10empty_typeEEEZZNS1_27merge_sort_block_merge_implIS3_PaPS5_jNS1_19radix_merge_compareILb1ELb0EaNS0_19identity_decomposerEEEEE10hipError_tT0_T1_T2_jT3_P12ihipStream_tbPNSt15iterator_traitsISE_E10value_typeEPNSK_ISF_E10value_typeEPSG_NS1_7vsmem_tEENKUlT_SE_SF_SG_E_clIS8_S8_S9_S9_EESD_ST_SE_SF_SG_EUlST_E0_NS1_11comp_targetILNS1_3genE2ELNS1_11target_archE906ELNS1_3gpuE6ELNS1_3repE0EEENS1_38merge_mergepath_config_static_selectorELNS0_4arch9wavefront6targetE0EEEvSF_
                                        ; -- End function
	.set _ZN7rocprim17ROCPRIM_400000_NS6detail17trampoline_kernelINS0_14default_configENS1_38merge_sort_block_merge_config_selectorIaNS0_10empty_typeEEEZZNS1_27merge_sort_block_merge_implIS3_PaPS5_jNS1_19radix_merge_compareILb1ELb0EaNS0_19identity_decomposerEEEEE10hipError_tT0_T1_T2_jT3_P12ihipStream_tbPNSt15iterator_traitsISE_E10value_typeEPNSK_ISF_E10value_typeEPSG_NS1_7vsmem_tEENKUlT_SE_SF_SG_E_clIS8_S8_S9_S9_EESD_ST_SE_SF_SG_EUlST_E0_NS1_11comp_targetILNS1_3genE2ELNS1_11target_archE906ELNS1_3gpuE6ELNS1_3repE0EEENS1_38merge_mergepath_config_static_selectorELNS0_4arch9wavefront6targetE0EEEvSF_.num_vgpr, 0
	.set _ZN7rocprim17ROCPRIM_400000_NS6detail17trampoline_kernelINS0_14default_configENS1_38merge_sort_block_merge_config_selectorIaNS0_10empty_typeEEEZZNS1_27merge_sort_block_merge_implIS3_PaPS5_jNS1_19radix_merge_compareILb1ELb0EaNS0_19identity_decomposerEEEEE10hipError_tT0_T1_T2_jT3_P12ihipStream_tbPNSt15iterator_traitsISE_E10value_typeEPNSK_ISF_E10value_typeEPSG_NS1_7vsmem_tEENKUlT_SE_SF_SG_E_clIS8_S8_S9_S9_EESD_ST_SE_SF_SG_EUlST_E0_NS1_11comp_targetILNS1_3genE2ELNS1_11target_archE906ELNS1_3gpuE6ELNS1_3repE0EEENS1_38merge_mergepath_config_static_selectorELNS0_4arch9wavefront6targetE0EEEvSF_.num_agpr, 0
	.set _ZN7rocprim17ROCPRIM_400000_NS6detail17trampoline_kernelINS0_14default_configENS1_38merge_sort_block_merge_config_selectorIaNS0_10empty_typeEEEZZNS1_27merge_sort_block_merge_implIS3_PaPS5_jNS1_19radix_merge_compareILb1ELb0EaNS0_19identity_decomposerEEEEE10hipError_tT0_T1_T2_jT3_P12ihipStream_tbPNSt15iterator_traitsISE_E10value_typeEPNSK_ISF_E10value_typeEPSG_NS1_7vsmem_tEENKUlT_SE_SF_SG_E_clIS8_S8_S9_S9_EESD_ST_SE_SF_SG_EUlST_E0_NS1_11comp_targetILNS1_3genE2ELNS1_11target_archE906ELNS1_3gpuE6ELNS1_3repE0EEENS1_38merge_mergepath_config_static_selectorELNS0_4arch9wavefront6targetE0EEEvSF_.numbered_sgpr, 0
	.set _ZN7rocprim17ROCPRIM_400000_NS6detail17trampoline_kernelINS0_14default_configENS1_38merge_sort_block_merge_config_selectorIaNS0_10empty_typeEEEZZNS1_27merge_sort_block_merge_implIS3_PaPS5_jNS1_19radix_merge_compareILb1ELb0EaNS0_19identity_decomposerEEEEE10hipError_tT0_T1_T2_jT3_P12ihipStream_tbPNSt15iterator_traitsISE_E10value_typeEPNSK_ISF_E10value_typeEPSG_NS1_7vsmem_tEENKUlT_SE_SF_SG_E_clIS8_S8_S9_S9_EESD_ST_SE_SF_SG_EUlST_E0_NS1_11comp_targetILNS1_3genE2ELNS1_11target_archE906ELNS1_3gpuE6ELNS1_3repE0EEENS1_38merge_mergepath_config_static_selectorELNS0_4arch9wavefront6targetE0EEEvSF_.num_named_barrier, 0
	.set _ZN7rocprim17ROCPRIM_400000_NS6detail17trampoline_kernelINS0_14default_configENS1_38merge_sort_block_merge_config_selectorIaNS0_10empty_typeEEEZZNS1_27merge_sort_block_merge_implIS3_PaPS5_jNS1_19radix_merge_compareILb1ELb0EaNS0_19identity_decomposerEEEEE10hipError_tT0_T1_T2_jT3_P12ihipStream_tbPNSt15iterator_traitsISE_E10value_typeEPNSK_ISF_E10value_typeEPSG_NS1_7vsmem_tEENKUlT_SE_SF_SG_E_clIS8_S8_S9_S9_EESD_ST_SE_SF_SG_EUlST_E0_NS1_11comp_targetILNS1_3genE2ELNS1_11target_archE906ELNS1_3gpuE6ELNS1_3repE0EEENS1_38merge_mergepath_config_static_selectorELNS0_4arch9wavefront6targetE0EEEvSF_.private_seg_size, 0
	.set _ZN7rocprim17ROCPRIM_400000_NS6detail17trampoline_kernelINS0_14default_configENS1_38merge_sort_block_merge_config_selectorIaNS0_10empty_typeEEEZZNS1_27merge_sort_block_merge_implIS3_PaPS5_jNS1_19radix_merge_compareILb1ELb0EaNS0_19identity_decomposerEEEEE10hipError_tT0_T1_T2_jT3_P12ihipStream_tbPNSt15iterator_traitsISE_E10value_typeEPNSK_ISF_E10value_typeEPSG_NS1_7vsmem_tEENKUlT_SE_SF_SG_E_clIS8_S8_S9_S9_EESD_ST_SE_SF_SG_EUlST_E0_NS1_11comp_targetILNS1_3genE2ELNS1_11target_archE906ELNS1_3gpuE6ELNS1_3repE0EEENS1_38merge_mergepath_config_static_selectorELNS0_4arch9wavefront6targetE0EEEvSF_.uses_vcc, 0
	.set _ZN7rocprim17ROCPRIM_400000_NS6detail17trampoline_kernelINS0_14default_configENS1_38merge_sort_block_merge_config_selectorIaNS0_10empty_typeEEEZZNS1_27merge_sort_block_merge_implIS3_PaPS5_jNS1_19radix_merge_compareILb1ELb0EaNS0_19identity_decomposerEEEEE10hipError_tT0_T1_T2_jT3_P12ihipStream_tbPNSt15iterator_traitsISE_E10value_typeEPNSK_ISF_E10value_typeEPSG_NS1_7vsmem_tEENKUlT_SE_SF_SG_E_clIS8_S8_S9_S9_EESD_ST_SE_SF_SG_EUlST_E0_NS1_11comp_targetILNS1_3genE2ELNS1_11target_archE906ELNS1_3gpuE6ELNS1_3repE0EEENS1_38merge_mergepath_config_static_selectorELNS0_4arch9wavefront6targetE0EEEvSF_.uses_flat_scratch, 0
	.set _ZN7rocprim17ROCPRIM_400000_NS6detail17trampoline_kernelINS0_14default_configENS1_38merge_sort_block_merge_config_selectorIaNS0_10empty_typeEEEZZNS1_27merge_sort_block_merge_implIS3_PaPS5_jNS1_19radix_merge_compareILb1ELb0EaNS0_19identity_decomposerEEEEE10hipError_tT0_T1_T2_jT3_P12ihipStream_tbPNSt15iterator_traitsISE_E10value_typeEPNSK_ISF_E10value_typeEPSG_NS1_7vsmem_tEENKUlT_SE_SF_SG_E_clIS8_S8_S9_S9_EESD_ST_SE_SF_SG_EUlST_E0_NS1_11comp_targetILNS1_3genE2ELNS1_11target_archE906ELNS1_3gpuE6ELNS1_3repE0EEENS1_38merge_mergepath_config_static_selectorELNS0_4arch9wavefront6targetE0EEEvSF_.has_dyn_sized_stack, 0
	.set _ZN7rocprim17ROCPRIM_400000_NS6detail17trampoline_kernelINS0_14default_configENS1_38merge_sort_block_merge_config_selectorIaNS0_10empty_typeEEEZZNS1_27merge_sort_block_merge_implIS3_PaPS5_jNS1_19radix_merge_compareILb1ELb0EaNS0_19identity_decomposerEEEEE10hipError_tT0_T1_T2_jT3_P12ihipStream_tbPNSt15iterator_traitsISE_E10value_typeEPNSK_ISF_E10value_typeEPSG_NS1_7vsmem_tEENKUlT_SE_SF_SG_E_clIS8_S8_S9_S9_EESD_ST_SE_SF_SG_EUlST_E0_NS1_11comp_targetILNS1_3genE2ELNS1_11target_archE906ELNS1_3gpuE6ELNS1_3repE0EEENS1_38merge_mergepath_config_static_selectorELNS0_4arch9wavefront6targetE0EEEvSF_.has_recursion, 0
	.set _ZN7rocprim17ROCPRIM_400000_NS6detail17trampoline_kernelINS0_14default_configENS1_38merge_sort_block_merge_config_selectorIaNS0_10empty_typeEEEZZNS1_27merge_sort_block_merge_implIS3_PaPS5_jNS1_19radix_merge_compareILb1ELb0EaNS0_19identity_decomposerEEEEE10hipError_tT0_T1_T2_jT3_P12ihipStream_tbPNSt15iterator_traitsISE_E10value_typeEPNSK_ISF_E10value_typeEPSG_NS1_7vsmem_tEENKUlT_SE_SF_SG_E_clIS8_S8_S9_S9_EESD_ST_SE_SF_SG_EUlST_E0_NS1_11comp_targetILNS1_3genE2ELNS1_11target_archE906ELNS1_3gpuE6ELNS1_3repE0EEENS1_38merge_mergepath_config_static_selectorELNS0_4arch9wavefront6targetE0EEEvSF_.has_indirect_call, 0
	.section	.AMDGPU.csdata,"",@progbits
; Kernel info:
; codeLenInByte = 0
; TotalNumSgprs: 0
; NumVgprs: 0
; ScratchSize: 0
; MemoryBound: 0
; FloatMode: 240
; IeeeMode: 1
; LDSByteSize: 0 bytes/workgroup (compile time only)
; SGPRBlocks: 0
; VGPRBlocks: 0
; NumSGPRsForWavesPerEU: 1
; NumVGPRsForWavesPerEU: 1
; NamedBarCnt: 0
; Occupancy: 16
; WaveLimiterHint : 0
; COMPUTE_PGM_RSRC2:SCRATCH_EN: 0
; COMPUTE_PGM_RSRC2:USER_SGPR: 2
; COMPUTE_PGM_RSRC2:TRAP_HANDLER: 0
; COMPUTE_PGM_RSRC2:TGID_X_EN: 1
; COMPUTE_PGM_RSRC2:TGID_Y_EN: 0
; COMPUTE_PGM_RSRC2:TGID_Z_EN: 0
; COMPUTE_PGM_RSRC2:TIDIG_COMP_CNT: 0
	.section	.text._ZN7rocprim17ROCPRIM_400000_NS6detail17trampoline_kernelINS0_14default_configENS1_38merge_sort_block_merge_config_selectorIaNS0_10empty_typeEEEZZNS1_27merge_sort_block_merge_implIS3_PaPS5_jNS1_19radix_merge_compareILb1ELb0EaNS0_19identity_decomposerEEEEE10hipError_tT0_T1_T2_jT3_P12ihipStream_tbPNSt15iterator_traitsISE_E10value_typeEPNSK_ISF_E10value_typeEPSG_NS1_7vsmem_tEENKUlT_SE_SF_SG_E_clIS8_S8_S9_S9_EESD_ST_SE_SF_SG_EUlST_E0_NS1_11comp_targetILNS1_3genE9ELNS1_11target_archE1100ELNS1_3gpuE3ELNS1_3repE0EEENS1_38merge_mergepath_config_static_selectorELNS0_4arch9wavefront6targetE0EEEvSF_,"axG",@progbits,_ZN7rocprim17ROCPRIM_400000_NS6detail17trampoline_kernelINS0_14default_configENS1_38merge_sort_block_merge_config_selectorIaNS0_10empty_typeEEEZZNS1_27merge_sort_block_merge_implIS3_PaPS5_jNS1_19radix_merge_compareILb1ELb0EaNS0_19identity_decomposerEEEEE10hipError_tT0_T1_T2_jT3_P12ihipStream_tbPNSt15iterator_traitsISE_E10value_typeEPNSK_ISF_E10value_typeEPSG_NS1_7vsmem_tEENKUlT_SE_SF_SG_E_clIS8_S8_S9_S9_EESD_ST_SE_SF_SG_EUlST_E0_NS1_11comp_targetILNS1_3genE9ELNS1_11target_archE1100ELNS1_3gpuE3ELNS1_3repE0EEENS1_38merge_mergepath_config_static_selectorELNS0_4arch9wavefront6targetE0EEEvSF_,comdat
	.protected	_ZN7rocprim17ROCPRIM_400000_NS6detail17trampoline_kernelINS0_14default_configENS1_38merge_sort_block_merge_config_selectorIaNS0_10empty_typeEEEZZNS1_27merge_sort_block_merge_implIS3_PaPS5_jNS1_19radix_merge_compareILb1ELb0EaNS0_19identity_decomposerEEEEE10hipError_tT0_T1_T2_jT3_P12ihipStream_tbPNSt15iterator_traitsISE_E10value_typeEPNSK_ISF_E10value_typeEPSG_NS1_7vsmem_tEENKUlT_SE_SF_SG_E_clIS8_S8_S9_S9_EESD_ST_SE_SF_SG_EUlST_E0_NS1_11comp_targetILNS1_3genE9ELNS1_11target_archE1100ELNS1_3gpuE3ELNS1_3repE0EEENS1_38merge_mergepath_config_static_selectorELNS0_4arch9wavefront6targetE0EEEvSF_ ; -- Begin function _ZN7rocprim17ROCPRIM_400000_NS6detail17trampoline_kernelINS0_14default_configENS1_38merge_sort_block_merge_config_selectorIaNS0_10empty_typeEEEZZNS1_27merge_sort_block_merge_implIS3_PaPS5_jNS1_19radix_merge_compareILb1ELb0EaNS0_19identity_decomposerEEEEE10hipError_tT0_T1_T2_jT3_P12ihipStream_tbPNSt15iterator_traitsISE_E10value_typeEPNSK_ISF_E10value_typeEPSG_NS1_7vsmem_tEENKUlT_SE_SF_SG_E_clIS8_S8_S9_S9_EESD_ST_SE_SF_SG_EUlST_E0_NS1_11comp_targetILNS1_3genE9ELNS1_11target_archE1100ELNS1_3gpuE3ELNS1_3repE0EEENS1_38merge_mergepath_config_static_selectorELNS0_4arch9wavefront6targetE0EEEvSF_
	.globl	_ZN7rocprim17ROCPRIM_400000_NS6detail17trampoline_kernelINS0_14default_configENS1_38merge_sort_block_merge_config_selectorIaNS0_10empty_typeEEEZZNS1_27merge_sort_block_merge_implIS3_PaPS5_jNS1_19radix_merge_compareILb1ELb0EaNS0_19identity_decomposerEEEEE10hipError_tT0_T1_T2_jT3_P12ihipStream_tbPNSt15iterator_traitsISE_E10value_typeEPNSK_ISF_E10value_typeEPSG_NS1_7vsmem_tEENKUlT_SE_SF_SG_E_clIS8_S8_S9_S9_EESD_ST_SE_SF_SG_EUlST_E0_NS1_11comp_targetILNS1_3genE9ELNS1_11target_archE1100ELNS1_3gpuE3ELNS1_3repE0EEENS1_38merge_mergepath_config_static_selectorELNS0_4arch9wavefront6targetE0EEEvSF_
	.p2align	8
	.type	_ZN7rocprim17ROCPRIM_400000_NS6detail17trampoline_kernelINS0_14default_configENS1_38merge_sort_block_merge_config_selectorIaNS0_10empty_typeEEEZZNS1_27merge_sort_block_merge_implIS3_PaPS5_jNS1_19radix_merge_compareILb1ELb0EaNS0_19identity_decomposerEEEEE10hipError_tT0_T1_T2_jT3_P12ihipStream_tbPNSt15iterator_traitsISE_E10value_typeEPNSK_ISF_E10value_typeEPSG_NS1_7vsmem_tEENKUlT_SE_SF_SG_E_clIS8_S8_S9_S9_EESD_ST_SE_SF_SG_EUlST_E0_NS1_11comp_targetILNS1_3genE9ELNS1_11target_archE1100ELNS1_3gpuE3ELNS1_3repE0EEENS1_38merge_mergepath_config_static_selectorELNS0_4arch9wavefront6targetE0EEEvSF_,@function
_ZN7rocprim17ROCPRIM_400000_NS6detail17trampoline_kernelINS0_14default_configENS1_38merge_sort_block_merge_config_selectorIaNS0_10empty_typeEEEZZNS1_27merge_sort_block_merge_implIS3_PaPS5_jNS1_19radix_merge_compareILb1ELb0EaNS0_19identity_decomposerEEEEE10hipError_tT0_T1_T2_jT3_P12ihipStream_tbPNSt15iterator_traitsISE_E10value_typeEPNSK_ISF_E10value_typeEPSG_NS1_7vsmem_tEENKUlT_SE_SF_SG_E_clIS8_S8_S9_S9_EESD_ST_SE_SF_SG_EUlST_E0_NS1_11comp_targetILNS1_3genE9ELNS1_11target_archE1100ELNS1_3gpuE3ELNS1_3repE0EEENS1_38merge_mergepath_config_static_selectorELNS0_4arch9wavefront6targetE0EEEvSF_: ; @_ZN7rocprim17ROCPRIM_400000_NS6detail17trampoline_kernelINS0_14default_configENS1_38merge_sort_block_merge_config_selectorIaNS0_10empty_typeEEEZZNS1_27merge_sort_block_merge_implIS3_PaPS5_jNS1_19radix_merge_compareILb1ELb0EaNS0_19identity_decomposerEEEEE10hipError_tT0_T1_T2_jT3_P12ihipStream_tbPNSt15iterator_traitsISE_E10value_typeEPNSK_ISF_E10value_typeEPSG_NS1_7vsmem_tEENKUlT_SE_SF_SG_E_clIS8_S8_S9_S9_EESD_ST_SE_SF_SG_EUlST_E0_NS1_11comp_targetILNS1_3genE9ELNS1_11target_archE1100ELNS1_3gpuE3ELNS1_3repE0EEENS1_38merge_mergepath_config_static_selectorELNS0_4arch9wavefront6targetE0EEEvSF_
; %bb.0:
	.section	.rodata,"a",@progbits
	.p2align	6, 0x0
	.amdhsa_kernel _ZN7rocprim17ROCPRIM_400000_NS6detail17trampoline_kernelINS0_14default_configENS1_38merge_sort_block_merge_config_selectorIaNS0_10empty_typeEEEZZNS1_27merge_sort_block_merge_implIS3_PaPS5_jNS1_19radix_merge_compareILb1ELb0EaNS0_19identity_decomposerEEEEE10hipError_tT0_T1_T2_jT3_P12ihipStream_tbPNSt15iterator_traitsISE_E10value_typeEPNSK_ISF_E10value_typeEPSG_NS1_7vsmem_tEENKUlT_SE_SF_SG_E_clIS8_S8_S9_S9_EESD_ST_SE_SF_SG_EUlST_E0_NS1_11comp_targetILNS1_3genE9ELNS1_11target_archE1100ELNS1_3gpuE3ELNS1_3repE0EEENS1_38merge_mergepath_config_static_selectorELNS0_4arch9wavefront6targetE0EEEvSF_
		.amdhsa_group_segment_fixed_size 0
		.amdhsa_private_segment_fixed_size 0
		.amdhsa_kernarg_size 64
		.amdhsa_user_sgpr_count 2
		.amdhsa_user_sgpr_dispatch_ptr 0
		.amdhsa_user_sgpr_queue_ptr 0
		.amdhsa_user_sgpr_kernarg_segment_ptr 1
		.amdhsa_user_sgpr_dispatch_id 0
		.amdhsa_user_sgpr_kernarg_preload_length 0
		.amdhsa_user_sgpr_kernarg_preload_offset 0
		.amdhsa_user_sgpr_private_segment_size 0
		.amdhsa_wavefront_size32 1
		.amdhsa_uses_dynamic_stack 0
		.amdhsa_enable_private_segment 0
		.amdhsa_system_sgpr_workgroup_id_x 1
		.amdhsa_system_sgpr_workgroup_id_y 0
		.amdhsa_system_sgpr_workgroup_id_z 0
		.amdhsa_system_sgpr_workgroup_info 0
		.amdhsa_system_vgpr_workitem_id 0
		.amdhsa_next_free_vgpr 1
		.amdhsa_next_free_sgpr 1
		.amdhsa_named_barrier_count 0
		.amdhsa_reserve_vcc 0
		.amdhsa_float_round_mode_32 0
		.amdhsa_float_round_mode_16_64 0
		.amdhsa_float_denorm_mode_32 3
		.amdhsa_float_denorm_mode_16_64 3
		.amdhsa_fp16_overflow 0
		.amdhsa_memory_ordered 1
		.amdhsa_forward_progress 1
		.amdhsa_inst_pref_size 0
		.amdhsa_round_robin_scheduling 0
		.amdhsa_exception_fp_ieee_invalid_op 0
		.amdhsa_exception_fp_denorm_src 0
		.amdhsa_exception_fp_ieee_div_zero 0
		.amdhsa_exception_fp_ieee_overflow 0
		.amdhsa_exception_fp_ieee_underflow 0
		.amdhsa_exception_fp_ieee_inexact 0
		.amdhsa_exception_int_div_zero 0
	.end_amdhsa_kernel
	.section	.text._ZN7rocprim17ROCPRIM_400000_NS6detail17trampoline_kernelINS0_14default_configENS1_38merge_sort_block_merge_config_selectorIaNS0_10empty_typeEEEZZNS1_27merge_sort_block_merge_implIS3_PaPS5_jNS1_19radix_merge_compareILb1ELb0EaNS0_19identity_decomposerEEEEE10hipError_tT0_T1_T2_jT3_P12ihipStream_tbPNSt15iterator_traitsISE_E10value_typeEPNSK_ISF_E10value_typeEPSG_NS1_7vsmem_tEENKUlT_SE_SF_SG_E_clIS8_S8_S9_S9_EESD_ST_SE_SF_SG_EUlST_E0_NS1_11comp_targetILNS1_3genE9ELNS1_11target_archE1100ELNS1_3gpuE3ELNS1_3repE0EEENS1_38merge_mergepath_config_static_selectorELNS0_4arch9wavefront6targetE0EEEvSF_,"axG",@progbits,_ZN7rocprim17ROCPRIM_400000_NS6detail17trampoline_kernelINS0_14default_configENS1_38merge_sort_block_merge_config_selectorIaNS0_10empty_typeEEEZZNS1_27merge_sort_block_merge_implIS3_PaPS5_jNS1_19radix_merge_compareILb1ELb0EaNS0_19identity_decomposerEEEEE10hipError_tT0_T1_T2_jT3_P12ihipStream_tbPNSt15iterator_traitsISE_E10value_typeEPNSK_ISF_E10value_typeEPSG_NS1_7vsmem_tEENKUlT_SE_SF_SG_E_clIS8_S8_S9_S9_EESD_ST_SE_SF_SG_EUlST_E0_NS1_11comp_targetILNS1_3genE9ELNS1_11target_archE1100ELNS1_3gpuE3ELNS1_3repE0EEENS1_38merge_mergepath_config_static_selectorELNS0_4arch9wavefront6targetE0EEEvSF_,comdat
.Lfunc_end287:
	.size	_ZN7rocprim17ROCPRIM_400000_NS6detail17trampoline_kernelINS0_14default_configENS1_38merge_sort_block_merge_config_selectorIaNS0_10empty_typeEEEZZNS1_27merge_sort_block_merge_implIS3_PaPS5_jNS1_19radix_merge_compareILb1ELb0EaNS0_19identity_decomposerEEEEE10hipError_tT0_T1_T2_jT3_P12ihipStream_tbPNSt15iterator_traitsISE_E10value_typeEPNSK_ISF_E10value_typeEPSG_NS1_7vsmem_tEENKUlT_SE_SF_SG_E_clIS8_S8_S9_S9_EESD_ST_SE_SF_SG_EUlST_E0_NS1_11comp_targetILNS1_3genE9ELNS1_11target_archE1100ELNS1_3gpuE3ELNS1_3repE0EEENS1_38merge_mergepath_config_static_selectorELNS0_4arch9wavefront6targetE0EEEvSF_, .Lfunc_end287-_ZN7rocprim17ROCPRIM_400000_NS6detail17trampoline_kernelINS0_14default_configENS1_38merge_sort_block_merge_config_selectorIaNS0_10empty_typeEEEZZNS1_27merge_sort_block_merge_implIS3_PaPS5_jNS1_19radix_merge_compareILb1ELb0EaNS0_19identity_decomposerEEEEE10hipError_tT0_T1_T2_jT3_P12ihipStream_tbPNSt15iterator_traitsISE_E10value_typeEPNSK_ISF_E10value_typeEPSG_NS1_7vsmem_tEENKUlT_SE_SF_SG_E_clIS8_S8_S9_S9_EESD_ST_SE_SF_SG_EUlST_E0_NS1_11comp_targetILNS1_3genE9ELNS1_11target_archE1100ELNS1_3gpuE3ELNS1_3repE0EEENS1_38merge_mergepath_config_static_selectorELNS0_4arch9wavefront6targetE0EEEvSF_
                                        ; -- End function
	.set _ZN7rocprim17ROCPRIM_400000_NS6detail17trampoline_kernelINS0_14default_configENS1_38merge_sort_block_merge_config_selectorIaNS0_10empty_typeEEEZZNS1_27merge_sort_block_merge_implIS3_PaPS5_jNS1_19radix_merge_compareILb1ELb0EaNS0_19identity_decomposerEEEEE10hipError_tT0_T1_T2_jT3_P12ihipStream_tbPNSt15iterator_traitsISE_E10value_typeEPNSK_ISF_E10value_typeEPSG_NS1_7vsmem_tEENKUlT_SE_SF_SG_E_clIS8_S8_S9_S9_EESD_ST_SE_SF_SG_EUlST_E0_NS1_11comp_targetILNS1_3genE9ELNS1_11target_archE1100ELNS1_3gpuE3ELNS1_3repE0EEENS1_38merge_mergepath_config_static_selectorELNS0_4arch9wavefront6targetE0EEEvSF_.num_vgpr, 0
	.set _ZN7rocprim17ROCPRIM_400000_NS6detail17trampoline_kernelINS0_14default_configENS1_38merge_sort_block_merge_config_selectorIaNS0_10empty_typeEEEZZNS1_27merge_sort_block_merge_implIS3_PaPS5_jNS1_19radix_merge_compareILb1ELb0EaNS0_19identity_decomposerEEEEE10hipError_tT0_T1_T2_jT3_P12ihipStream_tbPNSt15iterator_traitsISE_E10value_typeEPNSK_ISF_E10value_typeEPSG_NS1_7vsmem_tEENKUlT_SE_SF_SG_E_clIS8_S8_S9_S9_EESD_ST_SE_SF_SG_EUlST_E0_NS1_11comp_targetILNS1_3genE9ELNS1_11target_archE1100ELNS1_3gpuE3ELNS1_3repE0EEENS1_38merge_mergepath_config_static_selectorELNS0_4arch9wavefront6targetE0EEEvSF_.num_agpr, 0
	.set _ZN7rocprim17ROCPRIM_400000_NS6detail17trampoline_kernelINS0_14default_configENS1_38merge_sort_block_merge_config_selectorIaNS0_10empty_typeEEEZZNS1_27merge_sort_block_merge_implIS3_PaPS5_jNS1_19radix_merge_compareILb1ELb0EaNS0_19identity_decomposerEEEEE10hipError_tT0_T1_T2_jT3_P12ihipStream_tbPNSt15iterator_traitsISE_E10value_typeEPNSK_ISF_E10value_typeEPSG_NS1_7vsmem_tEENKUlT_SE_SF_SG_E_clIS8_S8_S9_S9_EESD_ST_SE_SF_SG_EUlST_E0_NS1_11comp_targetILNS1_3genE9ELNS1_11target_archE1100ELNS1_3gpuE3ELNS1_3repE0EEENS1_38merge_mergepath_config_static_selectorELNS0_4arch9wavefront6targetE0EEEvSF_.numbered_sgpr, 0
	.set _ZN7rocprim17ROCPRIM_400000_NS6detail17trampoline_kernelINS0_14default_configENS1_38merge_sort_block_merge_config_selectorIaNS0_10empty_typeEEEZZNS1_27merge_sort_block_merge_implIS3_PaPS5_jNS1_19radix_merge_compareILb1ELb0EaNS0_19identity_decomposerEEEEE10hipError_tT0_T1_T2_jT3_P12ihipStream_tbPNSt15iterator_traitsISE_E10value_typeEPNSK_ISF_E10value_typeEPSG_NS1_7vsmem_tEENKUlT_SE_SF_SG_E_clIS8_S8_S9_S9_EESD_ST_SE_SF_SG_EUlST_E0_NS1_11comp_targetILNS1_3genE9ELNS1_11target_archE1100ELNS1_3gpuE3ELNS1_3repE0EEENS1_38merge_mergepath_config_static_selectorELNS0_4arch9wavefront6targetE0EEEvSF_.num_named_barrier, 0
	.set _ZN7rocprim17ROCPRIM_400000_NS6detail17trampoline_kernelINS0_14default_configENS1_38merge_sort_block_merge_config_selectorIaNS0_10empty_typeEEEZZNS1_27merge_sort_block_merge_implIS3_PaPS5_jNS1_19radix_merge_compareILb1ELb0EaNS0_19identity_decomposerEEEEE10hipError_tT0_T1_T2_jT3_P12ihipStream_tbPNSt15iterator_traitsISE_E10value_typeEPNSK_ISF_E10value_typeEPSG_NS1_7vsmem_tEENKUlT_SE_SF_SG_E_clIS8_S8_S9_S9_EESD_ST_SE_SF_SG_EUlST_E0_NS1_11comp_targetILNS1_3genE9ELNS1_11target_archE1100ELNS1_3gpuE3ELNS1_3repE0EEENS1_38merge_mergepath_config_static_selectorELNS0_4arch9wavefront6targetE0EEEvSF_.private_seg_size, 0
	.set _ZN7rocprim17ROCPRIM_400000_NS6detail17trampoline_kernelINS0_14default_configENS1_38merge_sort_block_merge_config_selectorIaNS0_10empty_typeEEEZZNS1_27merge_sort_block_merge_implIS3_PaPS5_jNS1_19radix_merge_compareILb1ELb0EaNS0_19identity_decomposerEEEEE10hipError_tT0_T1_T2_jT3_P12ihipStream_tbPNSt15iterator_traitsISE_E10value_typeEPNSK_ISF_E10value_typeEPSG_NS1_7vsmem_tEENKUlT_SE_SF_SG_E_clIS8_S8_S9_S9_EESD_ST_SE_SF_SG_EUlST_E0_NS1_11comp_targetILNS1_3genE9ELNS1_11target_archE1100ELNS1_3gpuE3ELNS1_3repE0EEENS1_38merge_mergepath_config_static_selectorELNS0_4arch9wavefront6targetE0EEEvSF_.uses_vcc, 0
	.set _ZN7rocprim17ROCPRIM_400000_NS6detail17trampoline_kernelINS0_14default_configENS1_38merge_sort_block_merge_config_selectorIaNS0_10empty_typeEEEZZNS1_27merge_sort_block_merge_implIS3_PaPS5_jNS1_19radix_merge_compareILb1ELb0EaNS0_19identity_decomposerEEEEE10hipError_tT0_T1_T2_jT3_P12ihipStream_tbPNSt15iterator_traitsISE_E10value_typeEPNSK_ISF_E10value_typeEPSG_NS1_7vsmem_tEENKUlT_SE_SF_SG_E_clIS8_S8_S9_S9_EESD_ST_SE_SF_SG_EUlST_E0_NS1_11comp_targetILNS1_3genE9ELNS1_11target_archE1100ELNS1_3gpuE3ELNS1_3repE0EEENS1_38merge_mergepath_config_static_selectorELNS0_4arch9wavefront6targetE0EEEvSF_.uses_flat_scratch, 0
	.set _ZN7rocprim17ROCPRIM_400000_NS6detail17trampoline_kernelINS0_14default_configENS1_38merge_sort_block_merge_config_selectorIaNS0_10empty_typeEEEZZNS1_27merge_sort_block_merge_implIS3_PaPS5_jNS1_19radix_merge_compareILb1ELb0EaNS0_19identity_decomposerEEEEE10hipError_tT0_T1_T2_jT3_P12ihipStream_tbPNSt15iterator_traitsISE_E10value_typeEPNSK_ISF_E10value_typeEPSG_NS1_7vsmem_tEENKUlT_SE_SF_SG_E_clIS8_S8_S9_S9_EESD_ST_SE_SF_SG_EUlST_E0_NS1_11comp_targetILNS1_3genE9ELNS1_11target_archE1100ELNS1_3gpuE3ELNS1_3repE0EEENS1_38merge_mergepath_config_static_selectorELNS0_4arch9wavefront6targetE0EEEvSF_.has_dyn_sized_stack, 0
	.set _ZN7rocprim17ROCPRIM_400000_NS6detail17trampoline_kernelINS0_14default_configENS1_38merge_sort_block_merge_config_selectorIaNS0_10empty_typeEEEZZNS1_27merge_sort_block_merge_implIS3_PaPS5_jNS1_19radix_merge_compareILb1ELb0EaNS0_19identity_decomposerEEEEE10hipError_tT0_T1_T2_jT3_P12ihipStream_tbPNSt15iterator_traitsISE_E10value_typeEPNSK_ISF_E10value_typeEPSG_NS1_7vsmem_tEENKUlT_SE_SF_SG_E_clIS8_S8_S9_S9_EESD_ST_SE_SF_SG_EUlST_E0_NS1_11comp_targetILNS1_3genE9ELNS1_11target_archE1100ELNS1_3gpuE3ELNS1_3repE0EEENS1_38merge_mergepath_config_static_selectorELNS0_4arch9wavefront6targetE0EEEvSF_.has_recursion, 0
	.set _ZN7rocprim17ROCPRIM_400000_NS6detail17trampoline_kernelINS0_14default_configENS1_38merge_sort_block_merge_config_selectorIaNS0_10empty_typeEEEZZNS1_27merge_sort_block_merge_implIS3_PaPS5_jNS1_19radix_merge_compareILb1ELb0EaNS0_19identity_decomposerEEEEE10hipError_tT0_T1_T2_jT3_P12ihipStream_tbPNSt15iterator_traitsISE_E10value_typeEPNSK_ISF_E10value_typeEPSG_NS1_7vsmem_tEENKUlT_SE_SF_SG_E_clIS8_S8_S9_S9_EESD_ST_SE_SF_SG_EUlST_E0_NS1_11comp_targetILNS1_3genE9ELNS1_11target_archE1100ELNS1_3gpuE3ELNS1_3repE0EEENS1_38merge_mergepath_config_static_selectorELNS0_4arch9wavefront6targetE0EEEvSF_.has_indirect_call, 0
	.section	.AMDGPU.csdata,"",@progbits
; Kernel info:
; codeLenInByte = 0
; TotalNumSgprs: 0
; NumVgprs: 0
; ScratchSize: 0
; MemoryBound: 0
; FloatMode: 240
; IeeeMode: 1
; LDSByteSize: 0 bytes/workgroup (compile time only)
; SGPRBlocks: 0
; VGPRBlocks: 0
; NumSGPRsForWavesPerEU: 1
; NumVGPRsForWavesPerEU: 1
; NamedBarCnt: 0
; Occupancy: 16
; WaveLimiterHint : 0
; COMPUTE_PGM_RSRC2:SCRATCH_EN: 0
; COMPUTE_PGM_RSRC2:USER_SGPR: 2
; COMPUTE_PGM_RSRC2:TRAP_HANDLER: 0
; COMPUTE_PGM_RSRC2:TGID_X_EN: 1
; COMPUTE_PGM_RSRC2:TGID_Y_EN: 0
; COMPUTE_PGM_RSRC2:TGID_Z_EN: 0
; COMPUTE_PGM_RSRC2:TIDIG_COMP_CNT: 0
	.section	.text._ZN7rocprim17ROCPRIM_400000_NS6detail17trampoline_kernelINS0_14default_configENS1_38merge_sort_block_merge_config_selectorIaNS0_10empty_typeEEEZZNS1_27merge_sort_block_merge_implIS3_PaPS5_jNS1_19radix_merge_compareILb1ELb0EaNS0_19identity_decomposerEEEEE10hipError_tT0_T1_T2_jT3_P12ihipStream_tbPNSt15iterator_traitsISE_E10value_typeEPNSK_ISF_E10value_typeEPSG_NS1_7vsmem_tEENKUlT_SE_SF_SG_E_clIS8_S8_S9_S9_EESD_ST_SE_SF_SG_EUlST_E0_NS1_11comp_targetILNS1_3genE8ELNS1_11target_archE1030ELNS1_3gpuE2ELNS1_3repE0EEENS1_38merge_mergepath_config_static_selectorELNS0_4arch9wavefront6targetE0EEEvSF_,"axG",@progbits,_ZN7rocprim17ROCPRIM_400000_NS6detail17trampoline_kernelINS0_14default_configENS1_38merge_sort_block_merge_config_selectorIaNS0_10empty_typeEEEZZNS1_27merge_sort_block_merge_implIS3_PaPS5_jNS1_19radix_merge_compareILb1ELb0EaNS0_19identity_decomposerEEEEE10hipError_tT0_T1_T2_jT3_P12ihipStream_tbPNSt15iterator_traitsISE_E10value_typeEPNSK_ISF_E10value_typeEPSG_NS1_7vsmem_tEENKUlT_SE_SF_SG_E_clIS8_S8_S9_S9_EESD_ST_SE_SF_SG_EUlST_E0_NS1_11comp_targetILNS1_3genE8ELNS1_11target_archE1030ELNS1_3gpuE2ELNS1_3repE0EEENS1_38merge_mergepath_config_static_selectorELNS0_4arch9wavefront6targetE0EEEvSF_,comdat
	.protected	_ZN7rocprim17ROCPRIM_400000_NS6detail17trampoline_kernelINS0_14default_configENS1_38merge_sort_block_merge_config_selectorIaNS0_10empty_typeEEEZZNS1_27merge_sort_block_merge_implIS3_PaPS5_jNS1_19radix_merge_compareILb1ELb0EaNS0_19identity_decomposerEEEEE10hipError_tT0_T1_T2_jT3_P12ihipStream_tbPNSt15iterator_traitsISE_E10value_typeEPNSK_ISF_E10value_typeEPSG_NS1_7vsmem_tEENKUlT_SE_SF_SG_E_clIS8_S8_S9_S9_EESD_ST_SE_SF_SG_EUlST_E0_NS1_11comp_targetILNS1_3genE8ELNS1_11target_archE1030ELNS1_3gpuE2ELNS1_3repE0EEENS1_38merge_mergepath_config_static_selectorELNS0_4arch9wavefront6targetE0EEEvSF_ ; -- Begin function _ZN7rocprim17ROCPRIM_400000_NS6detail17trampoline_kernelINS0_14default_configENS1_38merge_sort_block_merge_config_selectorIaNS0_10empty_typeEEEZZNS1_27merge_sort_block_merge_implIS3_PaPS5_jNS1_19radix_merge_compareILb1ELb0EaNS0_19identity_decomposerEEEEE10hipError_tT0_T1_T2_jT3_P12ihipStream_tbPNSt15iterator_traitsISE_E10value_typeEPNSK_ISF_E10value_typeEPSG_NS1_7vsmem_tEENKUlT_SE_SF_SG_E_clIS8_S8_S9_S9_EESD_ST_SE_SF_SG_EUlST_E0_NS1_11comp_targetILNS1_3genE8ELNS1_11target_archE1030ELNS1_3gpuE2ELNS1_3repE0EEENS1_38merge_mergepath_config_static_selectorELNS0_4arch9wavefront6targetE0EEEvSF_
	.globl	_ZN7rocprim17ROCPRIM_400000_NS6detail17trampoline_kernelINS0_14default_configENS1_38merge_sort_block_merge_config_selectorIaNS0_10empty_typeEEEZZNS1_27merge_sort_block_merge_implIS3_PaPS5_jNS1_19radix_merge_compareILb1ELb0EaNS0_19identity_decomposerEEEEE10hipError_tT0_T1_T2_jT3_P12ihipStream_tbPNSt15iterator_traitsISE_E10value_typeEPNSK_ISF_E10value_typeEPSG_NS1_7vsmem_tEENKUlT_SE_SF_SG_E_clIS8_S8_S9_S9_EESD_ST_SE_SF_SG_EUlST_E0_NS1_11comp_targetILNS1_3genE8ELNS1_11target_archE1030ELNS1_3gpuE2ELNS1_3repE0EEENS1_38merge_mergepath_config_static_selectorELNS0_4arch9wavefront6targetE0EEEvSF_
	.p2align	8
	.type	_ZN7rocprim17ROCPRIM_400000_NS6detail17trampoline_kernelINS0_14default_configENS1_38merge_sort_block_merge_config_selectorIaNS0_10empty_typeEEEZZNS1_27merge_sort_block_merge_implIS3_PaPS5_jNS1_19radix_merge_compareILb1ELb0EaNS0_19identity_decomposerEEEEE10hipError_tT0_T1_T2_jT3_P12ihipStream_tbPNSt15iterator_traitsISE_E10value_typeEPNSK_ISF_E10value_typeEPSG_NS1_7vsmem_tEENKUlT_SE_SF_SG_E_clIS8_S8_S9_S9_EESD_ST_SE_SF_SG_EUlST_E0_NS1_11comp_targetILNS1_3genE8ELNS1_11target_archE1030ELNS1_3gpuE2ELNS1_3repE0EEENS1_38merge_mergepath_config_static_selectorELNS0_4arch9wavefront6targetE0EEEvSF_,@function
_ZN7rocprim17ROCPRIM_400000_NS6detail17trampoline_kernelINS0_14default_configENS1_38merge_sort_block_merge_config_selectorIaNS0_10empty_typeEEEZZNS1_27merge_sort_block_merge_implIS3_PaPS5_jNS1_19radix_merge_compareILb1ELb0EaNS0_19identity_decomposerEEEEE10hipError_tT0_T1_T2_jT3_P12ihipStream_tbPNSt15iterator_traitsISE_E10value_typeEPNSK_ISF_E10value_typeEPSG_NS1_7vsmem_tEENKUlT_SE_SF_SG_E_clIS8_S8_S9_S9_EESD_ST_SE_SF_SG_EUlST_E0_NS1_11comp_targetILNS1_3genE8ELNS1_11target_archE1030ELNS1_3gpuE2ELNS1_3repE0EEENS1_38merge_mergepath_config_static_selectorELNS0_4arch9wavefront6targetE0EEEvSF_: ; @_ZN7rocprim17ROCPRIM_400000_NS6detail17trampoline_kernelINS0_14default_configENS1_38merge_sort_block_merge_config_selectorIaNS0_10empty_typeEEEZZNS1_27merge_sort_block_merge_implIS3_PaPS5_jNS1_19radix_merge_compareILb1ELb0EaNS0_19identity_decomposerEEEEE10hipError_tT0_T1_T2_jT3_P12ihipStream_tbPNSt15iterator_traitsISE_E10value_typeEPNSK_ISF_E10value_typeEPSG_NS1_7vsmem_tEENKUlT_SE_SF_SG_E_clIS8_S8_S9_S9_EESD_ST_SE_SF_SG_EUlST_E0_NS1_11comp_targetILNS1_3genE8ELNS1_11target_archE1030ELNS1_3gpuE2ELNS1_3repE0EEENS1_38merge_mergepath_config_static_selectorELNS0_4arch9wavefront6targetE0EEEvSF_
; %bb.0:
	.section	.rodata,"a",@progbits
	.p2align	6, 0x0
	.amdhsa_kernel _ZN7rocprim17ROCPRIM_400000_NS6detail17trampoline_kernelINS0_14default_configENS1_38merge_sort_block_merge_config_selectorIaNS0_10empty_typeEEEZZNS1_27merge_sort_block_merge_implIS3_PaPS5_jNS1_19radix_merge_compareILb1ELb0EaNS0_19identity_decomposerEEEEE10hipError_tT0_T1_T2_jT3_P12ihipStream_tbPNSt15iterator_traitsISE_E10value_typeEPNSK_ISF_E10value_typeEPSG_NS1_7vsmem_tEENKUlT_SE_SF_SG_E_clIS8_S8_S9_S9_EESD_ST_SE_SF_SG_EUlST_E0_NS1_11comp_targetILNS1_3genE8ELNS1_11target_archE1030ELNS1_3gpuE2ELNS1_3repE0EEENS1_38merge_mergepath_config_static_selectorELNS0_4arch9wavefront6targetE0EEEvSF_
		.amdhsa_group_segment_fixed_size 0
		.amdhsa_private_segment_fixed_size 0
		.amdhsa_kernarg_size 64
		.amdhsa_user_sgpr_count 2
		.amdhsa_user_sgpr_dispatch_ptr 0
		.amdhsa_user_sgpr_queue_ptr 0
		.amdhsa_user_sgpr_kernarg_segment_ptr 1
		.amdhsa_user_sgpr_dispatch_id 0
		.amdhsa_user_sgpr_kernarg_preload_length 0
		.amdhsa_user_sgpr_kernarg_preload_offset 0
		.amdhsa_user_sgpr_private_segment_size 0
		.amdhsa_wavefront_size32 1
		.amdhsa_uses_dynamic_stack 0
		.amdhsa_enable_private_segment 0
		.amdhsa_system_sgpr_workgroup_id_x 1
		.amdhsa_system_sgpr_workgroup_id_y 0
		.amdhsa_system_sgpr_workgroup_id_z 0
		.amdhsa_system_sgpr_workgroup_info 0
		.amdhsa_system_vgpr_workitem_id 0
		.amdhsa_next_free_vgpr 1
		.amdhsa_next_free_sgpr 1
		.amdhsa_named_barrier_count 0
		.amdhsa_reserve_vcc 0
		.amdhsa_float_round_mode_32 0
		.amdhsa_float_round_mode_16_64 0
		.amdhsa_float_denorm_mode_32 3
		.amdhsa_float_denorm_mode_16_64 3
		.amdhsa_fp16_overflow 0
		.amdhsa_memory_ordered 1
		.amdhsa_forward_progress 1
		.amdhsa_inst_pref_size 0
		.amdhsa_round_robin_scheduling 0
		.amdhsa_exception_fp_ieee_invalid_op 0
		.amdhsa_exception_fp_denorm_src 0
		.amdhsa_exception_fp_ieee_div_zero 0
		.amdhsa_exception_fp_ieee_overflow 0
		.amdhsa_exception_fp_ieee_underflow 0
		.amdhsa_exception_fp_ieee_inexact 0
		.amdhsa_exception_int_div_zero 0
	.end_amdhsa_kernel
	.section	.text._ZN7rocprim17ROCPRIM_400000_NS6detail17trampoline_kernelINS0_14default_configENS1_38merge_sort_block_merge_config_selectorIaNS0_10empty_typeEEEZZNS1_27merge_sort_block_merge_implIS3_PaPS5_jNS1_19radix_merge_compareILb1ELb0EaNS0_19identity_decomposerEEEEE10hipError_tT0_T1_T2_jT3_P12ihipStream_tbPNSt15iterator_traitsISE_E10value_typeEPNSK_ISF_E10value_typeEPSG_NS1_7vsmem_tEENKUlT_SE_SF_SG_E_clIS8_S8_S9_S9_EESD_ST_SE_SF_SG_EUlST_E0_NS1_11comp_targetILNS1_3genE8ELNS1_11target_archE1030ELNS1_3gpuE2ELNS1_3repE0EEENS1_38merge_mergepath_config_static_selectorELNS0_4arch9wavefront6targetE0EEEvSF_,"axG",@progbits,_ZN7rocprim17ROCPRIM_400000_NS6detail17trampoline_kernelINS0_14default_configENS1_38merge_sort_block_merge_config_selectorIaNS0_10empty_typeEEEZZNS1_27merge_sort_block_merge_implIS3_PaPS5_jNS1_19radix_merge_compareILb1ELb0EaNS0_19identity_decomposerEEEEE10hipError_tT0_T1_T2_jT3_P12ihipStream_tbPNSt15iterator_traitsISE_E10value_typeEPNSK_ISF_E10value_typeEPSG_NS1_7vsmem_tEENKUlT_SE_SF_SG_E_clIS8_S8_S9_S9_EESD_ST_SE_SF_SG_EUlST_E0_NS1_11comp_targetILNS1_3genE8ELNS1_11target_archE1030ELNS1_3gpuE2ELNS1_3repE0EEENS1_38merge_mergepath_config_static_selectorELNS0_4arch9wavefront6targetE0EEEvSF_,comdat
.Lfunc_end288:
	.size	_ZN7rocprim17ROCPRIM_400000_NS6detail17trampoline_kernelINS0_14default_configENS1_38merge_sort_block_merge_config_selectorIaNS0_10empty_typeEEEZZNS1_27merge_sort_block_merge_implIS3_PaPS5_jNS1_19radix_merge_compareILb1ELb0EaNS0_19identity_decomposerEEEEE10hipError_tT0_T1_T2_jT3_P12ihipStream_tbPNSt15iterator_traitsISE_E10value_typeEPNSK_ISF_E10value_typeEPSG_NS1_7vsmem_tEENKUlT_SE_SF_SG_E_clIS8_S8_S9_S9_EESD_ST_SE_SF_SG_EUlST_E0_NS1_11comp_targetILNS1_3genE8ELNS1_11target_archE1030ELNS1_3gpuE2ELNS1_3repE0EEENS1_38merge_mergepath_config_static_selectorELNS0_4arch9wavefront6targetE0EEEvSF_, .Lfunc_end288-_ZN7rocprim17ROCPRIM_400000_NS6detail17trampoline_kernelINS0_14default_configENS1_38merge_sort_block_merge_config_selectorIaNS0_10empty_typeEEEZZNS1_27merge_sort_block_merge_implIS3_PaPS5_jNS1_19radix_merge_compareILb1ELb0EaNS0_19identity_decomposerEEEEE10hipError_tT0_T1_T2_jT3_P12ihipStream_tbPNSt15iterator_traitsISE_E10value_typeEPNSK_ISF_E10value_typeEPSG_NS1_7vsmem_tEENKUlT_SE_SF_SG_E_clIS8_S8_S9_S9_EESD_ST_SE_SF_SG_EUlST_E0_NS1_11comp_targetILNS1_3genE8ELNS1_11target_archE1030ELNS1_3gpuE2ELNS1_3repE0EEENS1_38merge_mergepath_config_static_selectorELNS0_4arch9wavefront6targetE0EEEvSF_
                                        ; -- End function
	.set _ZN7rocprim17ROCPRIM_400000_NS6detail17trampoline_kernelINS0_14default_configENS1_38merge_sort_block_merge_config_selectorIaNS0_10empty_typeEEEZZNS1_27merge_sort_block_merge_implIS3_PaPS5_jNS1_19radix_merge_compareILb1ELb0EaNS0_19identity_decomposerEEEEE10hipError_tT0_T1_T2_jT3_P12ihipStream_tbPNSt15iterator_traitsISE_E10value_typeEPNSK_ISF_E10value_typeEPSG_NS1_7vsmem_tEENKUlT_SE_SF_SG_E_clIS8_S8_S9_S9_EESD_ST_SE_SF_SG_EUlST_E0_NS1_11comp_targetILNS1_3genE8ELNS1_11target_archE1030ELNS1_3gpuE2ELNS1_3repE0EEENS1_38merge_mergepath_config_static_selectorELNS0_4arch9wavefront6targetE0EEEvSF_.num_vgpr, 0
	.set _ZN7rocprim17ROCPRIM_400000_NS6detail17trampoline_kernelINS0_14default_configENS1_38merge_sort_block_merge_config_selectorIaNS0_10empty_typeEEEZZNS1_27merge_sort_block_merge_implIS3_PaPS5_jNS1_19radix_merge_compareILb1ELb0EaNS0_19identity_decomposerEEEEE10hipError_tT0_T1_T2_jT3_P12ihipStream_tbPNSt15iterator_traitsISE_E10value_typeEPNSK_ISF_E10value_typeEPSG_NS1_7vsmem_tEENKUlT_SE_SF_SG_E_clIS8_S8_S9_S9_EESD_ST_SE_SF_SG_EUlST_E0_NS1_11comp_targetILNS1_3genE8ELNS1_11target_archE1030ELNS1_3gpuE2ELNS1_3repE0EEENS1_38merge_mergepath_config_static_selectorELNS0_4arch9wavefront6targetE0EEEvSF_.num_agpr, 0
	.set _ZN7rocprim17ROCPRIM_400000_NS6detail17trampoline_kernelINS0_14default_configENS1_38merge_sort_block_merge_config_selectorIaNS0_10empty_typeEEEZZNS1_27merge_sort_block_merge_implIS3_PaPS5_jNS1_19radix_merge_compareILb1ELb0EaNS0_19identity_decomposerEEEEE10hipError_tT0_T1_T2_jT3_P12ihipStream_tbPNSt15iterator_traitsISE_E10value_typeEPNSK_ISF_E10value_typeEPSG_NS1_7vsmem_tEENKUlT_SE_SF_SG_E_clIS8_S8_S9_S9_EESD_ST_SE_SF_SG_EUlST_E0_NS1_11comp_targetILNS1_3genE8ELNS1_11target_archE1030ELNS1_3gpuE2ELNS1_3repE0EEENS1_38merge_mergepath_config_static_selectorELNS0_4arch9wavefront6targetE0EEEvSF_.numbered_sgpr, 0
	.set _ZN7rocprim17ROCPRIM_400000_NS6detail17trampoline_kernelINS0_14default_configENS1_38merge_sort_block_merge_config_selectorIaNS0_10empty_typeEEEZZNS1_27merge_sort_block_merge_implIS3_PaPS5_jNS1_19radix_merge_compareILb1ELb0EaNS0_19identity_decomposerEEEEE10hipError_tT0_T1_T2_jT3_P12ihipStream_tbPNSt15iterator_traitsISE_E10value_typeEPNSK_ISF_E10value_typeEPSG_NS1_7vsmem_tEENKUlT_SE_SF_SG_E_clIS8_S8_S9_S9_EESD_ST_SE_SF_SG_EUlST_E0_NS1_11comp_targetILNS1_3genE8ELNS1_11target_archE1030ELNS1_3gpuE2ELNS1_3repE0EEENS1_38merge_mergepath_config_static_selectorELNS0_4arch9wavefront6targetE0EEEvSF_.num_named_barrier, 0
	.set _ZN7rocprim17ROCPRIM_400000_NS6detail17trampoline_kernelINS0_14default_configENS1_38merge_sort_block_merge_config_selectorIaNS0_10empty_typeEEEZZNS1_27merge_sort_block_merge_implIS3_PaPS5_jNS1_19radix_merge_compareILb1ELb0EaNS0_19identity_decomposerEEEEE10hipError_tT0_T1_T2_jT3_P12ihipStream_tbPNSt15iterator_traitsISE_E10value_typeEPNSK_ISF_E10value_typeEPSG_NS1_7vsmem_tEENKUlT_SE_SF_SG_E_clIS8_S8_S9_S9_EESD_ST_SE_SF_SG_EUlST_E0_NS1_11comp_targetILNS1_3genE8ELNS1_11target_archE1030ELNS1_3gpuE2ELNS1_3repE0EEENS1_38merge_mergepath_config_static_selectorELNS0_4arch9wavefront6targetE0EEEvSF_.private_seg_size, 0
	.set _ZN7rocprim17ROCPRIM_400000_NS6detail17trampoline_kernelINS0_14default_configENS1_38merge_sort_block_merge_config_selectorIaNS0_10empty_typeEEEZZNS1_27merge_sort_block_merge_implIS3_PaPS5_jNS1_19radix_merge_compareILb1ELb0EaNS0_19identity_decomposerEEEEE10hipError_tT0_T1_T2_jT3_P12ihipStream_tbPNSt15iterator_traitsISE_E10value_typeEPNSK_ISF_E10value_typeEPSG_NS1_7vsmem_tEENKUlT_SE_SF_SG_E_clIS8_S8_S9_S9_EESD_ST_SE_SF_SG_EUlST_E0_NS1_11comp_targetILNS1_3genE8ELNS1_11target_archE1030ELNS1_3gpuE2ELNS1_3repE0EEENS1_38merge_mergepath_config_static_selectorELNS0_4arch9wavefront6targetE0EEEvSF_.uses_vcc, 0
	.set _ZN7rocprim17ROCPRIM_400000_NS6detail17trampoline_kernelINS0_14default_configENS1_38merge_sort_block_merge_config_selectorIaNS0_10empty_typeEEEZZNS1_27merge_sort_block_merge_implIS3_PaPS5_jNS1_19radix_merge_compareILb1ELb0EaNS0_19identity_decomposerEEEEE10hipError_tT0_T1_T2_jT3_P12ihipStream_tbPNSt15iterator_traitsISE_E10value_typeEPNSK_ISF_E10value_typeEPSG_NS1_7vsmem_tEENKUlT_SE_SF_SG_E_clIS8_S8_S9_S9_EESD_ST_SE_SF_SG_EUlST_E0_NS1_11comp_targetILNS1_3genE8ELNS1_11target_archE1030ELNS1_3gpuE2ELNS1_3repE0EEENS1_38merge_mergepath_config_static_selectorELNS0_4arch9wavefront6targetE0EEEvSF_.uses_flat_scratch, 0
	.set _ZN7rocprim17ROCPRIM_400000_NS6detail17trampoline_kernelINS0_14default_configENS1_38merge_sort_block_merge_config_selectorIaNS0_10empty_typeEEEZZNS1_27merge_sort_block_merge_implIS3_PaPS5_jNS1_19radix_merge_compareILb1ELb0EaNS0_19identity_decomposerEEEEE10hipError_tT0_T1_T2_jT3_P12ihipStream_tbPNSt15iterator_traitsISE_E10value_typeEPNSK_ISF_E10value_typeEPSG_NS1_7vsmem_tEENKUlT_SE_SF_SG_E_clIS8_S8_S9_S9_EESD_ST_SE_SF_SG_EUlST_E0_NS1_11comp_targetILNS1_3genE8ELNS1_11target_archE1030ELNS1_3gpuE2ELNS1_3repE0EEENS1_38merge_mergepath_config_static_selectorELNS0_4arch9wavefront6targetE0EEEvSF_.has_dyn_sized_stack, 0
	.set _ZN7rocprim17ROCPRIM_400000_NS6detail17trampoline_kernelINS0_14default_configENS1_38merge_sort_block_merge_config_selectorIaNS0_10empty_typeEEEZZNS1_27merge_sort_block_merge_implIS3_PaPS5_jNS1_19radix_merge_compareILb1ELb0EaNS0_19identity_decomposerEEEEE10hipError_tT0_T1_T2_jT3_P12ihipStream_tbPNSt15iterator_traitsISE_E10value_typeEPNSK_ISF_E10value_typeEPSG_NS1_7vsmem_tEENKUlT_SE_SF_SG_E_clIS8_S8_S9_S9_EESD_ST_SE_SF_SG_EUlST_E0_NS1_11comp_targetILNS1_3genE8ELNS1_11target_archE1030ELNS1_3gpuE2ELNS1_3repE0EEENS1_38merge_mergepath_config_static_selectorELNS0_4arch9wavefront6targetE0EEEvSF_.has_recursion, 0
	.set _ZN7rocprim17ROCPRIM_400000_NS6detail17trampoline_kernelINS0_14default_configENS1_38merge_sort_block_merge_config_selectorIaNS0_10empty_typeEEEZZNS1_27merge_sort_block_merge_implIS3_PaPS5_jNS1_19radix_merge_compareILb1ELb0EaNS0_19identity_decomposerEEEEE10hipError_tT0_T1_T2_jT3_P12ihipStream_tbPNSt15iterator_traitsISE_E10value_typeEPNSK_ISF_E10value_typeEPSG_NS1_7vsmem_tEENKUlT_SE_SF_SG_E_clIS8_S8_S9_S9_EESD_ST_SE_SF_SG_EUlST_E0_NS1_11comp_targetILNS1_3genE8ELNS1_11target_archE1030ELNS1_3gpuE2ELNS1_3repE0EEENS1_38merge_mergepath_config_static_selectorELNS0_4arch9wavefront6targetE0EEEvSF_.has_indirect_call, 0
	.section	.AMDGPU.csdata,"",@progbits
; Kernel info:
; codeLenInByte = 0
; TotalNumSgprs: 0
; NumVgprs: 0
; ScratchSize: 0
; MemoryBound: 0
; FloatMode: 240
; IeeeMode: 1
; LDSByteSize: 0 bytes/workgroup (compile time only)
; SGPRBlocks: 0
; VGPRBlocks: 0
; NumSGPRsForWavesPerEU: 1
; NumVGPRsForWavesPerEU: 1
; NamedBarCnt: 0
; Occupancy: 16
; WaveLimiterHint : 0
; COMPUTE_PGM_RSRC2:SCRATCH_EN: 0
; COMPUTE_PGM_RSRC2:USER_SGPR: 2
; COMPUTE_PGM_RSRC2:TRAP_HANDLER: 0
; COMPUTE_PGM_RSRC2:TGID_X_EN: 1
; COMPUTE_PGM_RSRC2:TGID_Y_EN: 0
; COMPUTE_PGM_RSRC2:TGID_Z_EN: 0
; COMPUTE_PGM_RSRC2:TIDIG_COMP_CNT: 0
	.section	.text._ZN7rocprim17ROCPRIM_400000_NS6detail17trampoline_kernelINS0_14default_configENS1_38merge_sort_block_merge_config_selectorIaNS0_10empty_typeEEEZZNS1_27merge_sort_block_merge_implIS3_PaPS5_jNS1_19radix_merge_compareILb1ELb0EaNS0_19identity_decomposerEEEEE10hipError_tT0_T1_T2_jT3_P12ihipStream_tbPNSt15iterator_traitsISE_E10value_typeEPNSK_ISF_E10value_typeEPSG_NS1_7vsmem_tEENKUlT_SE_SF_SG_E_clIS8_S8_S9_S9_EESD_ST_SE_SF_SG_EUlST_E1_NS1_11comp_targetILNS1_3genE0ELNS1_11target_archE4294967295ELNS1_3gpuE0ELNS1_3repE0EEENS1_36merge_oddeven_config_static_selectorELNS0_4arch9wavefront6targetE0EEEvSF_,"axG",@progbits,_ZN7rocprim17ROCPRIM_400000_NS6detail17trampoline_kernelINS0_14default_configENS1_38merge_sort_block_merge_config_selectorIaNS0_10empty_typeEEEZZNS1_27merge_sort_block_merge_implIS3_PaPS5_jNS1_19radix_merge_compareILb1ELb0EaNS0_19identity_decomposerEEEEE10hipError_tT0_T1_T2_jT3_P12ihipStream_tbPNSt15iterator_traitsISE_E10value_typeEPNSK_ISF_E10value_typeEPSG_NS1_7vsmem_tEENKUlT_SE_SF_SG_E_clIS8_S8_S9_S9_EESD_ST_SE_SF_SG_EUlST_E1_NS1_11comp_targetILNS1_3genE0ELNS1_11target_archE4294967295ELNS1_3gpuE0ELNS1_3repE0EEENS1_36merge_oddeven_config_static_selectorELNS0_4arch9wavefront6targetE0EEEvSF_,comdat
	.protected	_ZN7rocprim17ROCPRIM_400000_NS6detail17trampoline_kernelINS0_14default_configENS1_38merge_sort_block_merge_config_selectorIaNS0_10empty_typeEEEZZNS1_27merge_sort_block_merge_implIS3_PaPS5_jNS1_19radix_merge_compareILb1ELb0EaNS0_19identity_decomposerEEEEE10hipError_tT0_T1_T2_jT3_P12ihipStream_tbPNSt15iterator_traitsISE_E10value_typeEPNSK_ISF_E10value_typeEPSG_NS1_7vsmem_tEENKUlT_SE_SF_SG_E_clIS8_S8_S9_S9_EESD_ST_SE_SF_SG_EUlST_E1_NS1_11comp_targetILNS1_3genE0ELNS1_11target_archE4294967295ELNS1_3gpuE0ELNS1_3repE0EEENS1_36merge_oddeven_config_static_selectorELNS0_4arch9wavefront6targetE0EEEvSF_ ; -- Begin function _ZN7rocprim17ROCPRIM_400000_NS6detail17trampoline_kernelINS0_14default_configENS1_38merge_sort_block_merge_config_selectorIaNS0_10empty_typeEEEZZNS1_27merge_sort_block_merge_implIS3_PaPS5_jNS1_19radix_merge_compareILb1ELb0EaNS0_19identity_decomposerEEEEE10hipError_tT0_T1_T2_jT3_P12ihipStream_tbPNSt15iterator_traitsISE_E10value_typeEPNSK_ISF_E10value_typeEPSG_NS1_7vsmem_tEENKUlT_SE_SF_SG_E_clIS8_S8_S9_S9_EESD_ST_SE_SF_SG_EUlST_E1_NS1_11comp_targetILNS1_3genE0ELNS1_11target_archE4294967295ELNS1_3gpuE0ELNS1_3repE0EEENS1_36merge_oddeven_config_static_selectorELNS0_4arch9wavefront6targetE0EEEvSF_
	.globl	_ZN7rocprim17ROCPRIM_400000_NS6detail17trampoline_kernelINS0_14default_configENS1_38merge_sort_block_merge_config_selectorIaNS0_10empty_typeEEEZZNS1_27merge_sort_block_merge_implIS3_PaPS5_jNS1_19radix_merge_compareILb1ELb0EaNS0_19identity_decomposerEEEEE10hipError_tT0_T1_T2_jT3_P12ihipStream_tbPNSt15iterator_traitsISE_E10value_typeEPNSK_ISF_E10value_typeEPSG_NS1_7vsmem_tEENKUlT_SE_SF_SG_E_clIS8_S8_S9_S9_EESD_ST_SE_SF_SG_EUlST_E1_NS1_11comp_targetILNS1_3genE0ELNS1_11target_archE4294967295ELNS1_3gpuE0ELNS1_3repE0EEENS1_36merge_oddeven_config_static_selectorELNS0_4arch9wavefront6targetE0EEEvSF_
	.p2align	8
	.type	_ZN7rocprim17ROCPRIM_400000_NS6detail17trampoline_kernelINS0_14default_configENS1_38merge_sort_block_merge_config_selectorIaNS0_10empty_typeEEEZZNS1_27merge_sort_block_merge_implIS3_PaPS5_jNS1_19radix_merge_compareILb1ELb0EaNS0_19identity_decomposerEEEEE10hipError_tT0_T1_T2_jT3_P12ihipStream_tbPNSt15iterator_traitsISE_E10value_typeEPNSK_ISF_E10value_typeEPSG_NS1_7vsmem_tEENKUlT_SE_SF_SG_E_clIS8_S8_S9_S9_EESD_ST_SE_SF_SG_EUlST_E1_NS1_11comp_targetILNS1_3genE0ELNS1_11target_archE4294967295ELNS1_3gpuE0ELNS1_3repE0EEENS1_36merge_oddeven_config_static_selectorELNS0_4arch9wavefront6targetE0EEEvSF_,@function
_ZN7rocprim17ROCPRIM_400000_NS6detail17trampoline_kernelINS0_14default_configENS1_38merge_sort_block_merge_config_selectorIaNS0_10empty_typeEEEZZNS1_27merge_sort_block_merge_implIS3_PaPS5_jNS1_19radix_merge_compareILb1ELb0EaNS0_19identity_decomposerEEEEE10hipError_tT0_T1_T2_jT3_P12ihipStream_tbPNSt15iterator_traitsISE_E10value_typeEPNSK_ISF_E10value_typeEPSG_NS1_7vsmem_tEENKUlT_SE_SF_SG_E_clIS8_S8_S9_S9_EESD_ST_SE_SF_SG_EUlST_E1_NS1_11comp_targetILNS1_3genE0ELNS1_11target_archE4294967295ELNS1_3gpuE0ELNS1_3repE0EEENS1_36merge_oddeven_config_static_selectorELNS0_4arch9wavefront6targetE0EEEvSF_: ; @_ZN7rocprim17ROCPRIM_400000_NS6detail17trampoline_kernelINS0_14default_configENS1_38merge_sort_block_merge_config_selectorIaNS0_10empty_typeEEEZZNS1_27merge_sort_block_merge_implIS3_PaPS5_jNS1_19radix_merge_compareILb1ELb0EaNS0_19identity_decomposerEEEEE10hipError_tT0_T1_T2_jT3_P12ihipStream_tbPNSt15iterator_traitsISE_E10value_typeEPNSK_ISF_E10value_typeEPSG_NS1_7vsmem_tEENKUlT_SE_SF_SG_E_clIS8_S8_S9_S9_EESD_ST_SE_SF_SG_EUlST_E1_NS1_11comp_targetILNS1_3genE0ELNS1_11target_archE4294967295ELNS1_3gpuE0ELNS1_3repE0EEENS1_36merge_oddeven_config_static_selectorELNS0_4arch9wavefront6targetE0EEEvSF_
; %bb.0:
	s_load_b32 s10, s[0:1], 0x20
	s_bfe_u32 s2, ttmp6, 0x4000c
	s_and_b32 s3, ttmp6, 15
	s_add_co_i32 s2, s2, 1
	s_getreg_b32 s4, hwreg(HW_REG_IB_STS2, 6, 4)
	s_mul_i32 s2, ttmp9, s2
	s_mov_b32 s9, 0
	s_add_co_i32 s3, s3, s2
	s_cmp_eq_u32 s4, 0
	s_cselect_b32 s13, ttmp9, s3
	s_wait_kmcnt 0x0
	s_lshr_b32 s2, s10, 8
	s_delay_alu instid0(SALU_CYCLE_1) | instskip(SKIP_4) | instid1(SALU_CYCLE_1)
	s_cmp_lg_u32 s13, s2
	s_cselect_b32 s3, -1, 0
	s_cmp_eq_u32 s13, s2
	s_cselect_b32 s11, -1, 0
	s_lshl_b32 s8, s13, 8
	s_sub_co_i32 s2, s10, s8
	s_delay_alu instid0(SALU_CYCLE_1) | instskip(SKIP_1) | instid1(SALU_CYCLE_1)
	v_cmp_gt_u32_e64 s2, s2, v0
	s_or_b32 s4, s3, s2
	s_and_saveexec_b32 s5, s4
	s_cbranch_execz .LBB289_20
; %bb.1:
	s_clause 0x1
	s_load_b128 s[4:7], s[0:1], 0x0
	s_load_b32 s12, s[0:1], 0x24
	v_add_nc_u32_e32 v2, s8, v0
	s_wait_kmcnt 0x0
	s_add_nc_u64 s[0:1], s[4:5], s[8:9]
	global_load_i8 v1, v0, s[0:1]
	s_wait_xcnt 0x0
	s_lshr_b32 s0, s12, 8
	s_delay_alu instid0(SALU_CYCLE_1) | instskip(NEXT) | instid1(SALU_CYCLE_1)
	s_sub_co_i32 s1, 0, s0
	s_and_b32 s1, s13, s1
	s_delay_alu instid0(SALU_CYCLE_1) | instskip(SKIP_4) | instid1(SALU_CYCLE_1)
	s_and_b32 s0, s1, s0
	s_lshl_b32 s13, s1, 8
	s_sub_co_i32 s1, 0, s12
	s_cmp_eq_u32 s0, 0
	s_cselect_b32 s0, -1, 0
	s_and_b32 s14, s0, exec_lo
	s_cselect_b32 s1, s12, s1
	s_delay_alu instid0(SALU_CYCLE_1) | instskip(NEXT) | instid1(SALU_CYCLE_1)
	s_add_co_i32 s1, s1, s13
	s_cmp_gt_u32 s10, s1
	s_cbranch_scc1 .LBB289_3
; %bb.2:
	v_cmp_gt_u32_e32 vcc_lo, s10, v2
	s_or_b32 s8, vcc_lo, s3
	s_delay_alu instid0(SALU_CYCLE_1)
	s_and_b32 s9, s8, exec_lo
	s_cbranch_execz .LBB289_4
	s_branch .LBB289_18
.LBB289_3:
.LBB289_4:
	s_min_u32 s3, s1, s10
	s_and_b32 vcc_lo, exec_lo, s11
	s_add_co_i32 s8, s13, s3
	s_add_co_i32 s12, s3, s12
	v_subrev_nc_u32_e32 v0, s8, v2
	s_min_u32 s8, s13, s3
	s_delay_alu instid0(VALU_DEP_1) | instid1(SALU_CYCLE_1)
	v_add_nc_u32_e32 v0, s8, v0
	s_min_u32 s8, s12, s10
	s_cbranch_vccz .LBB289_12
; %bb.5:
                                        ; implicit-def: $vgpr2
	s_and_saveexec_b32 s10, s2
	s_cbranch_execz .LBB289_11
; %bb.6:
	v_mov_b32_e32 v2, s3
	s_cmp_ge_u32 s1, s8
	s_cbranch_scc1 .LBB289_10
; %bb.7:
	v_dual_mov_b32 v3, s8 :: v_dual_mov_b32 v2, s3
	s_mov_b32 s2, 0
.LBB289_8:                              ; =>This Inner Loop Header: Depth=1
	s_delay_alu instid0(VALU_DEP_1) | instskip(NEXT) | instid1(VALU_DEP_1)
	v_add_nc_u32_e32 v4, v2, v3
	v_lshrrev_b32_e32 v4, 1, v4
	global_load_i8 v5, v4, s[4:5]
	s_wait_loadcnt 0x0
	v_cmp_gt_i16_e32 vcc_lo, v5, v1
	v_cndmask_b32_e64 v6, 0, 1, vcc_lo
	v_cmp_le_i16_e32 vcc_lo, v1, v5
	v_cndmask_b32_e64 v5, 0, 1, vcc_lo
	s_delay_alu instid0(VALU_DEP_1) | instskip(NEXT) | instid1(VALU_DEP_1)
	v_cndmask_b32_e64 v5, v5, v6, s0
	v_and_b32_e32 v5, 1, v5
	s_delay_alu instid0(VALU_DEP_1) | instskip(SKIP_1) | instid1(VALU_DEP_1)
	v_cmp_eq_u32_e32 vcc_lo, 1, v5
	v_dual_cndmask_b32 v3, v4, v3 :: v_dual_add_nc_u32 v6, 1, v4
	v_cndmask_b32_e32 v2, v2, v6, vcc_lo
	s_delay_alu instid0(VALU_DEP_1) | instskip(SKIP_1) | instid1(SALU_CYCLE_1)
	v_cmp_ge_u32_e32 vcc_lo, v2, v3
	s_or_b32 s2, vcc_lo, s2
	s_and_not1_b32 exec_lo, exec_lo, s2
	s_cbranch_execnz .LBB289_8
; %bb.9:
	s_or_b32 exec_lo, exec_lo, s2
.LBB289_10:
	s_delay_alu instid0(VALU_DEP_1)
	v_add_nc_u32_e32 v2, v2, v0
	s_or_b32 s9, s9, exec_lo
.LBB289_11:
	s_or_b32 exec_lo, exec_lo, s10
	s_branch .LBB289_18
.LBB289_12:
                                        ; implicit-def: $vgpr2
	s_cbranch_execz .LBB289_18
; %bb.13:
	v_mov_b32_e32 v2, s3
	s_cmp_ge_u32 s1, s8
	s_cbranch_scc1 .LBB289_17
; %bb.14:
	v_dual_mov_b32 v3, s8 :: v_dual_mov_b32 v2, s3
	s_mov_b32 s1, 0
.LBB289_15:                             ; =>This Inner Loop Header: Depth=1
	s_delay_alu instid0(VALU_DEP_1) | instskip(NEXT) | instid1(VALU_DEP_1)
	v_add_nc_u32_e32 v4, v2, v3
	v_lshrrev_b32_e32 v4, 1, v4
	global_load_i8 v5, v4, s[4:5]
	s_wait_loadcnt 0x0
	v_cmp_gt_i16_e32 vcc_lo, v5, v1
	v_cndmask_b32_e64 v6, 0, 1, vcc_lo
	v_cmp_le_i16_e32 vcc_lo, v1, v5
	v_cndmask_b32_e64 v5, 0, 1, vcc_lo
	s_delay_alu instid0(VALU_DEP_1) | instskip(NEXT) | instid1(VALU_DEP_1)
	v_cndmask_b32_e64 v5, v5, v6, s0
	v_and_b32_e32 v5, 1, v5
	s_delay_alu instid0(VALU_DEP_1) | instskip(SKIP_1) | instid1(VALU_DEP_1)
	v_cmp_eq_u32_e32 vcc_lo, 1, v5
	v_dual_cndmask_b32 v3, v4, v3 :: v_dual_add_nc_u32 v6, 1, v4
	v_cndmask_b32_e32 v2, v2, v6, vcc_lo
	s_delay_alu instid0(VALU_DEP_1) | instskip(SKIP_1) | instid1(SALU_CYCLE_1)
	v_cmp_ge_u32_e32 vcc_lo, v2, v3
	s_or_b32 s1, vcc_lo, s1
	s_and_not1_b32 exec_lo, exec_lo, s1
	s_cbranch_execnz .LBB289_15
; %bb.16:
	s_or_b32 exec_lo, exec_lo, s1
.LBB289_17:
	s_delay_alu instid0(VALU_DEP_1)
	v_add_nc_u32_e32 v2, v2, v0
	s_mov_b32 s9, -1
.LBB289_18:
	s_delay_alu instid0(SALU_CYCLE_1)
	s_and_b32 exec_lo, exec_lo, s9
	s_cbranch_execz .LBB289_20
; %bb.19:
	s_wait_loadcnt 0x0
	global_store_b8 v2, v1, s[6:7]
.LBB289_20:
	s_endpgm
	.section	.rodata,"a",@progbits
	.p2align	6, 0x0
	.amdhsa_kernel _ZN7rocprim17ROCPRIM_400000_NS6detail17trampoline_kernelINS0_14default_configENS1_38merge_sort_block_merge_config_selectorIaNS0_10empty_typeEEEZZNS1_27merge_sort_block_merge_implIS3_PaPS5_jNS1_19radix_merge_compareILb1ELb0EaNS0_19identity_decomposerEEEEE10hipError_tT0_T1_T2_jT3_P12ihipStream_tbPNSt15iterator_traitsISE_E10value_typeEPNSK_ISF_E10value_typeEPSG_NS1_7vsmem_tEENKUlT_SE_SF_SG_E_clIS8_S8_S9_S9_EESD_ST_SE_SF_SG_EUlST_E1_NS1_11comp_targetILNS1_3genE0ELNS1_11target_archE4294967295ELNS1_3gpuE0ELNS1_3repE0EEENS1_36merge_oddeven_config_static_selectorELNS0_4arch9wavefront6targetE0EEEvSF_
		.amdhsa_group_segment_fixed_size 0
		.amdhsa_private_segment_fixed_size 0
		.amdhsa_kernarg_size 48
		.amdhsa_user_sgpr_count 2
		.amdhsa_user_sgpr_dispatch_ptr 0
		.amdhsa_user_sgpr_queue_ptr 0
		.amdhsa_user_sgpr_kernarg_segment_ptr 1
		.amdhsa_user_sgpr_dispatch_id 0
		.amdhsa_user_sgpr_kernarg_preload_length 0
		.amdhsa_user_sgpr_kernarg_preload_offset 0
		.amdhsa_user_sgpr_private_segment_size 0
		.amdhsa_wavefront_size32 1
		.amdhsa_uses_dynamic_stack 0
		.amdhsa_enable_private_segment 0
		.amdhsa_system_sgpr_workgroup_id_x 1
		.amdhsa_system_sgpr_workgroup_id_y 0
		.amdhsa_system_sgpr_workgroup_id_z 0
		.amdhsa_system_sgpr_workgroup_info 0
		.amdhsa_system_vgpr_workitem_id 0
		.amdhsa_next_free_vgpr 7
		.amdhsa_next_free_sgpr 15
		.amdhsa_named_barrier_count 0
		.amdhsa_reserve_vcc 1
		.amdhsa_float_round_mode_32 0
		.amdhsa_float_round_mode_16_64 0
		.amdhsa_float_denorm_mode_32 3
		.amdhsa_float_denorm_mode_16_64 3
		.amdhsa_fp16_overflow 0
		.amdhsa_memory_ordered 1
		.amdhsa_forward_progress 1
		.amdhsa_inst_pref_size 5
		.amdhsa_round_robin_scheduling 0
		.amdhsa_exception_fp_ieee_invalid_op 0
		.amdhsa_exception_fp_denorm_src 0
		.amdhsa_exception_fp_ieee_div_zero 0
		.amdhsa_exception_fp_ieee_overflow 0
		.amdhsa_exception_fp_ieee_underflow 0
		.amdhsa_exception_fp_ieee_inexact 0
		.amdhsa_exception_int_div_zero 0
	.end_amdhsa_kernel
	.section	.text._ZN7rocprim17ROCPRIM_400000_NS6detail17trampoline_kernelINS0_14default_configENS1_38merge_sort_block_merge_config_selectorIaNS0_10empty_typeEEEZZNS1_27merge_sort_block_merge_implIS3_PaPS5_jNS1_19radix_merge_compareILb1ELb0EaNS0_19identity_decomposerEEEEE10hipError_tT0_T1_T2_jT3_P12ihipStream_tbPNSt15iterator_traitsISE_E10value_typeEPNSK_ISF_E10value_typeEPSG_NS1_7vsmem_tEENKUlT_SE_SF_SG_E_clIS8_S8_S9_S9_EESD_ST_SE_SF_SG_EUlST_E1_NS1_11comp_targetILNS1_3genE0ELNS1_11target_archE4294967295ELNS1_3gpuE0ELNS1_3repE0EEENS1_36merge_oddeven_config_static_selectorELNS0_4arch9wavefront6targetE0EEEvSF_,"axG",@progbits,_ZN7rocprim17ROCPRIM_400000_NS6detail17trampoline_kernelINS0_14default_configENS1_38merge_sort_block_merge_config_selectorIaNS0_10empty_typeEEEZZNS1_27merge_sort_block_merge_implIS3_PaPS5_jNS1_19radix_merge_compareILb1ELb0EaNS0_19identity_decomposerEEEEE10hipError_tT0_T1_T2_jT3_P12ihipStream_tbPNSt15iterator_traitsISE_E10value_typeEPNSK_ISF_E10value_typeEPSG_NS1_7vsmem_tEENKUlT_SE_SF_SG_E_clIS8_S8_S9_S9_EESD_ST_SE_SF_SG_EUlST_E1_NS1_11comp_targetILNS1_3genE0ELNS1_11target_archE4294967295ELNS1_3gpuE0ELNS1_3repE0EEENS1_36merge_oddeven_config_static_selectorELNS0_4arch9wavefront6targetE0EEEvSF_,comdat
.Lfunc_end289:
	.size	_ZN7rocprim17ROCPRIM_400000_NS6detail17trampoline_kernelINS0_14default_configENS1_38merge_sort_block_merge_config_selectorIaNS0_10empty_typeEEEZZNS1_27merge_sort_block_merge_implIS3_PaPS5_jNS1_19radix_merge_compareILb1ELb0EaNS0_19identity_decomposerEEEEE10hipError_tT0_T1_T2_jT3_P12ihipStream_tbPNSt15iterator_traitsISE_E10value_typeEPNSK_ISF_E10value_typeEPSG_NS1_7vsmem_tEENKUlT_SE_SF_SG_E_clIS8_S8_S9_S9_EESD_ST_SE_SF_SG_EUlST_E1_NS1_11comp_targetILNS1_3genE0ELNS1_11target_archE4294967295ELNS1_3gpuE0ELNS1_3repE0EEENS1_36merge_oddeven_config_static_selectorELNS0_4arch9wavefront6targetE0EEEvSF_, .Lfunc_end289-_ZN7rocprim17ROCPRIM_400000_NS6detail17trampoline_kernelINS0_14default_configENS1_38merge_sort_block_merge_config_selectorIaNS0_10empty_typeEEEZZNS1_27merge_sort_block_merge_implIS3_PaPS5_jNS1_19radix_merge_compareILb1ELb0EaNS0_19identity_decomposerEEEEE10hipError_tT0_T1_T2_jT3_P12ihipStream_tbPNSt15iterator_traitsISE_E10value_typeEPNSK_ISF_E10value_typeEPSG_NS1_7vsmem_tEENKUlT_SE_SF_SG_E_clIS8_S8_S9_S9_EESD_ST_SE_SF_SG_EUlST_E1_NS1_11comp_targetILNS1_3genE0ELNS1_11target_archE4294967295ELNS1_3gpuE0ELNS1_3repE0EEENS1_36merge_oddeven_config_static_selectorELNS0_4arch9wavefront6targetE0EEEvSF_
                                        ; -- End function
	.set _ZN7rocprim17ROCPRIM_400000_NS6detail17trampoline_kernelINS0_14default_configENS1_38merge_sort_block_merge_config_selectorIaNS0_10empty_typeEEEZZNS1_27merge_sort_block_merge_implIS3_PaPS5_jNS1_19radix_merge_compareILb1ELb0EaNS0_19identity_decomposerEEEEE10hipError_tT0_T1_T2_jT3_P12ihipStream_tbPNSt15iterator_traitsISE_E10value_typeEPNSK_ISF_E10value_typeEPSG_NS1_7vsmem_tEENKUlT_SE_SF_SG_E_clIS8_S8_S9_S9_EESD_ST_SE_SF_SG_EUlST_E1_NS1_11comp_targetILNS1_3genE0ELNS1_11target_archE4294967295ELNS1_3gpuE0ELNS1_3repE0EEENS1_36merge_oddeven_config_static_selectorELNS0_4arch9wavefront6targetE0EEEvSF_.num_vgpr, 7
	.set _ZN7rocprim17ROCPRIM_400000_NS6detail17trampoline_kernelINS0_14default_configENS1_38merge_sort_block_merge_config_selectorIaNS0_10empty_typeEEEZZNS1_27merge_sort_block_merge_implIS3_PaPS5_jNS1_19radix_merge_compareILb1ELb0EaNS0_19identity_decomposerEEEEE10hipError_tT0_T1_T2_jT3_P12ihipStream_tbPNSt15iterator_traitsISE_E10value_typeEPNSK_ISF_E10value_typeEPSG_NS1_7vsmem_tEENKUlT_SE_SF_SG_E_clIS8_S8_S9_S9_EESD_ST_SE_SF_SG_EUlST_E1_NS1_11comp_targetILNS1_3genE0ELNS1_11target_archE4294967295ELNS1_3gpuE0ELNS1_3repE0EEENS1_36merge_oddeven_config_static_selectorELNS0_4arch9wavefront6targetE0EEEvSF_.num_agpr, 0
	.set _ZN7rocprim17ROCPRIM_400000_NS6detail17trampoline_kernelINS0_14default_configENS1_38merge_sort_block_merge_config_selectorIaNS0_10empty_typeEEEZZNS1_27merge_sort_block_merge_implIS3_PaPS5_jNS1_19radix_merge_compareILb1ELb0EaNS0_19identity_decomposerEEEEE10hipError_tT0_T1_T2_jT3_P12ihipStream_tbPNSt15iterator_traitsISE_E10value_typeEPNSK_ISF_E10value_typeEPSG_NS1_7vsmem_tEENKUlT_SE_SF_SG_E_clIS8_S8_S9_S9_EESD_ST_SE_SF_SG_EUlST_E1_NS1_11comp_targetILNS1_3genE0ELNS1_11target_archE4294967295ELNS1_3gpuE0ELNS1_3repE0EEENS1_36merge_oddeven_config_static_selectorELNS0_4arch9wavefront6targetE0EEEvSF_.numbered_sgpr, 15
	.set _ZN7rocprim17ROCPRIM_400000_NS6detail17trampoline_kernelINS0_14default_configENS1_38merge_sort_block_merge_config_selectorIaNS0_10empty_typeEEEZZNS1_27merge_sort_block_merge_implIS3_PaPS5_jNS1_19radix_merge_compareILb1ELb0EaNS0_19identity_decomposerEEEEE10hipError_tT0_T1_T2_jT3_P12ihipStream_tbPNSt15iterator_traitsISE_E10value_typeEPNSK_ISF_E10value_typeEPSG_NS1_7vsmem_tEENKUlT_SE_SF_SG_E_clIS8_S8_S9_S9_EESD_ST_SE_SF_SG_EUlST_E1_NS1_11comp_targetILNS1_3genE0ELNS1_11target_archE4294967295ELNS1_3gpuE0ELNS1_3repE0EEENS1_36merge_oddeven_config_static_selectorELNS0_4arch9wavefront6targetE0EEEvSF_.num_named_barrier, 0
	.set _ZN7rocprim17ROCPRIM_400000_NS6detail17trampoline_kernelINS0_14default_configENS1_38merge_sort_block_merge_config_selectorIaNS0_10empty_typeEEEZZNS1_27merge_sort_block_merge_implIS3_PaPS5_jNS1_19radix_merge_compareILb1ELb0EaNS0_19identity_decomposerEEEEE10hipError_tT0_T1_T2_jT3_P12ihipStream_tbPNSt15iterator_traitsISE_E10value_typeEPNSK_ISF_E10value_typeEPSG_NS1_7vsmem_tEENKUlT_SE_SF_SG_E_clIS8_S8_S9_S9_EESD_ST_SE_SF_SG_EUlST_E1_NS1_11comp_targetILNS1_3genE0ELNS1_11target_archE4294967295ELNS1_3gpuE0ELNS1_3repE0EEENS1_36merge_oddeven_config_static_selectorELNS0_4arch9wavefront6targetE0EEEvSF_.private_seg_size, 0
	.set _ZN7rocprim17ROCPRIM_400000_NS6detail17trampoline_kernelINS0_14default_configENS1_38merge_sort_block_merge_config_selectorIaNS0_10empty_typeEEEZZNS1_27merge_sort_block_merge_implIS3_PaPS5_jNS1_19radix_merge_compareILb1ELb0EaNS0_19identity_decomposerEEEEE10hipError_tT0_T1_T2_jT3_P12ihipStream_tbPNSt15iterator_traitsISE_E10value_typeEPNSK_ISF_E10value_typeEPSG_NS1_7vsmem_tEENKUlT_SE_SF_SG_E_clIS8_S8_S9_S9_EESD_ST_SE_SF_SG_EUlST_E1_NS1_11comp_targetILNS1_3genE0ELNS1_11target_archE4294967295ELNS1_3gpuE0ELNS1_3repE0EEENS1_36merge_oddeven_config_static_selectorELNS0_4arch9wavefront6targetE0EEEvSF_.uses_vcc, 1
	.set _ZN7rocprim17ROCPRIM_400000_NS6detail17trampoline_kernelINS0_14default_configENS1_38merge_sort_block_merge_config_selectorIaNS0_10empty_typeEEEZZNS1_27merge_sort_block_merge_implIS3_PaPS5_jNS1_19radix_merge_compareILb1ELb0EaNS0_19identity_decomposerEEEEE10hipError_tT0_T1_T2_jT3_P12ihipStream_tbPNSt15iterator_traitsISE_E10value_typeEPNSK_ISF_E10value_typeEPSG_NS1_7vsmem_tEENKUlT_SE_SF_SG_E_clIS8_S8_S9_S9_EESD_ST_SE_SF_SG_EUlST_E1_NS1_11comp_targetILNS1_3genE0ELNS1_11target_archE4294967295ELNS1_3gpuE0ELNS1_3repE0EEENS1_36merge_oddeven_config_static_selectorELNS0_4arch9wavefront6targetE0EEEvSF_.uses_flat_scratch, 0
	.set _ZN7rocprim17ROCPRIM_400000_NS6detail17trampoline_kernelINS0_14default_configENS1_38merge_sort_block_merge_config_selectorIaNS0_10empty_typeEEEZZNS1_27merge_sort_block_merge_implIS3_PaPS5_jNS1_19radix_merge_compareILb1ELb0EaNS0_19identity_decomposerEEEEE10hipError_tT0_T1_T2_jT3_P12ihipStream_tbPNSt15iterator_traitsISE_E10value_typeEPNSK_ISF_E10value_typeEPSG_NS1_7vsmem_tEENKUlT_SE_SF_SG_E_clIS8_S8_S9_S9_EESD_ST_SE_SF_SG_EUlST_E1_NS1_11comp_targetILNS1_3genE0ELNS1_11target_archE4294967295ELNS1_3gpuE0ELNS1_3repE0EEENS1_36merge_oddeven_config_static_selectorELNS0_4arch9wavefront6targetE0EEEvSF_.has_dyn_sized_stack, 0
	.set _ZN7rocprim17ROCPRIM_400000_NS6detail17trampoline_kernelINS0_14default_configENS1_38merge_sort_block_merge_config_selectorIaNS0_10empty_typeEEEZZNS1_27merge_sort_block_merge_implIS3_PaPS5_jNS1_19radix_merge_compareILb1ELb0EaNS0_19identity_decomposerEEEEE10hipError_tT0_T1_T2_jT3_P12ihipStream_tbPNSt15iterator_traitsISE_E10value_typeEPNSK_ISF_E10value_typeEPSG_NS1_7vsmem_tEENKUlT_SE_SF_SG_E_clIS8_S8_S9_S9_EESD_ST_SE_SF_SG_EUlST_E1_NS1_11comp_targetILNS1_3genE0ELNS1_11target_archE4294967295ELNS1_3gpuE0ELNS1_3repE0EEENS1_36merge_oddeven_config_static_selectorELNS0_4arch9wavefront6targetE0EEEvSF_.has_recursion, 0
	.set _ZN7rocprim17ROCPRIM_400000_NS6detail17trampoline_kernelINS0_14default_configENS1_38merge_sort_block_merge_config_selectorIaNS0_10empty_typeEEEZZNS1_27merge_sort_block_merge_implIS3_PaPS5_jNS1_19radix_merge_compareILb1ELb0EaNS0_19identity_decomposerEEEEE10hipError_tT0_T1_T2_jT3_P12ihipStream_tbPNSt15iterator_traitsISE_E10value_typeEPNSK_ISF_E10value_typeEPSG_NS1_7vsmem_tEENKUlT_SE_SF_SG_E_clIS8_S8_S9_S9_EESD_ST_SE_SF_SG_EUlST_E1_NS1_11comp_targetILNS1_3genE0ELNS1_11target_archE4294967295ELNS1_3gpuE0ELNS1_3repE0EEENS1_36merge_oddeven_config_static_selectorELNS0_4arch9wavefront6targetE0EEEvSF_.has_indirect_call, 0
	.section	.AMDGPU.csdata,"",@progbits
; Kernel info:
; codeLenInByte = 632
; TotalNumSgprs: 17
; NumVgprs: 7
; ScratchSize: 0
; MemoryBound: 0
; FloatMode: 240
; IeeeMode: 1
; LDSByteSize: 0 bytes/workgroup (compile time only)
; SGPRBlocks: 0
; VGPRBlocks: 0
; NumSGPRsForWavesPerEU: 17
; NumVGPRsForWavesPerEU: 7
; NamedBarCnt: 0
; Occupancy: 16
; WaveLimiterHint : 0
; COMPUTE_PGM_RSRC2:SCRATCH_EN: 0
; COMPUTE_PGM_RSRC2:USER_SGPR: 2
; COMPUTE_PGM_RSRC2:TRAP_HANDLER: 0
; COMPUTE_PGM_RSRC2:TGID_X_EN: 1
; COMPUTE_PGM_RSRC2:TGID_Y_EN: 0
; COMPUTE_PGM_RSRC2:TGID_Z_EN: 0
; COMPUTE_PGM_RSRC2:TIDIG_COMP_CNT: 0
	.section	.text._ZN7rocprim17ROCPRIM_400000_NS6detail17trampoline_kernelINS0_14default_configENS1_38merge_sort_block_merge_config_selectorIaNS0_10empty_typeEEEZZNS1_27merge_sort_block_merge_implIS3_PaPS5_jNS1_19radix_merge_compareILb1ELb0EaNS0_19identity_decomposerEEEEE10hipError_tT0_T1_T2_jT3_P12ihipStream_tbPNSt15iterator_traitsISE_E10value_typeEPNSK_ISF_E10value_typeEPSG_NS1_7vsmem_tEENKUlT_SE_SF_SG_E_clIS8_S8_S9_S9_EESD_ST_SE_SF_SG_EUlST_E1_NS1_11comp_targetILNS1_3genE10ELNS1_11target_archE1201ELNS1_3gpuE5ELNS1_3repE0EEENS1_36merge_oddeven_config_static_selectorELNS0_4arch9wavefront6targetE0EEEvSF_,"axG",@progbits,_ZN7rocprim17ROCPRIM_400000_NS6detail17trampoline_kernelINS0_14default_configENS1_38merge_sort_block_merge_config_selectorIaNS0_10empty_typeEEEZZNS1_27merge_sort_block_merge_implIS3_PaPS5_jNS1_19radix_merge_compareILb1ELb0EaNS0_19identity_decomposerEEEEE10hipError_tT0_T1_T2_jT3_P12ihipStream_tbPNSt15iterator_traitsISE_E10value_typeEPNSK_ISF_E10value_typeEPSG_NS1_7vsmem_tEENKUlT_SE_SF_SG_E_clIS8_S8_S9_S9_EESD_ST_SE_SF_SG_EUlST_E1_NS1_11comp_targetILNS1_3genE10ELNS1_11target_archE1201ELNS1_3gpuE5ELNS1_3repE0EEENS1_36merge_oddeven_config_static_selectorELNS0_4arch9wavefront6targetE0EEEvSF_,comdat
	.protected	_ZN7rocprim17ROCPRIM_400000_NS6detail17trampoline_kernelINS0_14default_configENS1_38merge_sort_block_merge_config_selectorIaNS0_10empty_typeEEEZZNS1_27merge_sort_block_merge_implIS3_PaPS5_jNS1_19radix_merge_compareILb1ELb0EaNS0_19identity_decomposerEEEEE10hipError_tT0_T1_T2_jT3_P12ihipStream_tbPNSt15iterator_traitsISE_E10value_typeEPNSK_ISF_E10value_typeEPSG_NS1_7vsmem_tEENKUlT_SE_SF_SG_E_clIS8_S8_S9_S9_EESD_ST_SE_SF_SG_EUlST_E1_NS1_11comp_targetILNS1_3genE10ELNS1_11target_archE1201ELNS1_3gpuE5ELNS1_3repE0EEENS1_36merge_oddeven_config_static_selectorELNS0_4arch9wavefront6targetE0EEEvSF_ ; -- Begin function _ZN7rocprim17ROCPRIM_400000_NS6detail17trampoline_kernelINS0_14default_configENS1_38merge_sort_block_merge_config_selectorIaNS0_10empty_typeEEEZZNS1_27merge_sort_block_merge_implIS3_PaPS5_jNS1_19radix_merge_compareILb1ELb0EaNS0_19identity_decomposerEEEEE10hipError_tT0_T1_T2_jT3_P12ihipStream_tbPNSt15iterator_traitsISE_E10value_typeEPNSK_ISF_E10value_typeEPSG_NS1_7vsmem_tEENKUlT_SE_SF_SG_E_clIS8_S8_S9_S9_EESD_ST_SE_SF_SG_EUlST_E1_NS1_11comp_targetILNS1_3genE10ELNS1_11target_archE1201ELNS1_3gpuE5ELNS1_3repE0EEENS1_36merge_oddeven_config_static_selectorELNS0_4arch9wavefront6targetE0EEEvSF_
	.globl	_ZN7rocprim17ROCPRIM_400000_NS6detail17trampoline_kernelINS0_14default_configENS1_38merge_sort_block_merge_config_selectorIaNS0_10empty_typeEEEZZNS1_27merge_sort_block_merge_implIS3_PaPS5_jNS1_19radix_merge_compareILb1ELb0EaNS0_19identity_decomposerEEEEE10hipError_tT0_T1_T2_jT3_P12ihipStream_tbPNSt15iterator_traitsISE_E10value_typeEPNSK_ISF_E10value_typeEPSG_NS1_7vsmem_tEENKUlT_SE_SF_SG_E_clIS8_S8_S9_S9_EESD_ST_SE_SF_SG_EUlST_E1_NS1_11comp_targetILNS1_3genE10ELNS1_11target_archE1201ELNS1_3gpuE5ELNS1_3repE0EEENS1_36merge_oddeven_config_static_selectorELNS0_4arch9wavefront6targetE0EEEvSF_
	.p2align	8
	.type	_ZN7rocprim17ROCPRIM_400000_NS6detail17trampoline_kernelINS0_14default_configENS1_38merge_sort_block_merge_config_selectorIaNS0_10empty_typeEEEZZNS1_27merge_sort_block_merge_implIS3_PaPS5_jNS1_19radix_merge_compareILb1ELb0EaNS0_19identity_decomposerEEEEE10hipError_tT0_T1_T2_jT3_P12ihipStream_tbPNSt15iterator_traitsISE_E10value_typeEPNSK_ISF_E10value_typeEPSG_NS1_7vsmem_tEENKUlT_SE_SF_SG_E_clIS8_S8_S9_S9_EESD_ST_SE_SF_SG_EUlST_E1_NS1_11comp_targetILNS1_3genE10ELNS1_11target_archE1201ELNS1_3gpuE5ELNS1_3repE0EEENS1_36merge_oddeven_config_static_selectorELNS0_4arch9wavefront6targetE0EEEvSF_,@function
_ZN7rocprim17ROCPRIM_400000_NS6detail17trampoline_kernelINS0_14default_configENS1_38merge_sort_block_merge_config_selectorIaNS0_10empty_typeEEEZZNS1_27merge_sort_block_merge_implIS3_PaPS5_jNS1_19radix_merge_compareILb1ELb0EaNS0_19identity_decomposerEEEEE10hipError_tT0_T1_T2_jT3_P12ihipStream_tbPNSt15iterator_traitsISE_E10value_typeEPNSK_ISF_E10value_typeEPSG_NS1_7vsmem_tEENKUlT_SE_SF_SG_E_clIS8_S8_S9_S9_EESD_ST_SE_SF_SG_EUlST_E1_NS1_11comp_targetILNS1_3genE10ELNS1_11target_archE1201ELNS1_3gpuE5ELNS1_3repE0EEENS1_36merge_oddeven_config_static_selectorELNS0_4arch9wavefront6targetE0EEEvSF_: ; @_ZN7rocprim17ROCPRIM_400000_NS6detail17trampoline_kernelINS0_14default_configENS1_38merge_sort_block_merge_config_selectorIaNS0_10empty_typeEEEZZNS1_27merge_sort_block_merge_implIS3_PaPS5_jNS1_19radix_merge_compareILb1ELb0EaNS0_19identity_decomposerEEEEE10hipError_tT0_T1_T2_jT3_P12ihipStream_tbPNSt15iterator_traitsISE_E10value_typeEPNSK_ISF_E10value_typeEPSG_NS1_7vsmem_tEENKUlT_SE_SF_SG_E_clIS8_S8_S9_S9_EESD_ST_SE_SF_SG_EUlST_E1_NS1_11comp_targetILNS1_3genE10ELNS1_11target_archE1201ELNS1_3gpuE5ELNS1_3repE0EEENS1_36merge_oddeven_config_static_selectorELNS0_4arch9wavefront6targetE0EEEvSF_
; %bb.0:
	.section	.rodata,"a",@progbits
	.p2align	6, 0x0
	.amdhsa_kernel _ZN7rocprim17ROCPRIM_400000_NS6detail17trampoline_kernelINS0_14default_configENS1_38merge_sort_block_merge_config_selectorIaNS0_10empty_typeEEEZZNS1_27merge_sort_block_merge_implIS3_PaPS5_jNS1_19radix_merge_compareILb1ELb0EaNS0_19identity_decomposerEEEEE10hipError_tT0_T1_T2_jT3_P12ihipStream_tbPNSt15iterator_traitsISE_E10value_typeEPNSK_ISF_E10value_typeEPSG_NS1_7vsmem_tEENKUlT_SE_SF_SG_E_clIS8_S8_S9_S9_EESD_ST_SE_SF_SG_EUlST_E1_NS1_11comp_targetILNS1_3genE10ELNS1_11target_archE1201ELNS1_3gpuE5ELNS1_3repE0EEENS1_36merge_oddeven_config_static_selectorELNS0_4arch9wavefront6targetE0EEEvSF_
		.amdhsa_group_segment_fixed_size 0
		.amdhsa_private_segment_fixed_size 0
		.amdhsa_kernarg_size 48
		.amdhsa_user_sgpr_count 2
		.amdhsa_user_sgpr_dispatch_ptr 0
		.amdhsa_user_sgpr_queue_ptr 0
		.amdhsa_user_sgpr_kernarg_segment_ptr 1
		.amdhsa_user_sgpr_dispatch_id 0
		.amdhsa_user_sgpr_kernarg_preload_length 0
		.amdhsa_user_sgpr_kernarg_preload_offset 0
		.amdhsa_user_sgpr_private_segment_size 0
		.amdhsa_wavefront_size32 1
		.amdhsa_uses_dynamic_stack 0
		.amdhsa_enable_private_segment 0
		.amdhsa_system_sgpr_workgroup_id_x 1
		.amdhsa_system_sgpr_workgroup_id_y 0
		.amdhsa_system_sgpr_workgroup_id_z 0
		.amdhsa_system_sgpr_workgroup_info 0
		.amdhsa_system_vgpr_workitem_id 0
		.amdhsa_next_free_vgpr 1
		.amdhsa_next_free_sgpr 1
		.amdhsa_named_barrier_count 0
		.amdhsa_reserve_vcc 0
		.amdhsa_float_round_mode_32 0
		.amdhsa_float_round_mode_16_64 0
		.amdhsa_float_denorm_mode_32 3
		.amdhsa_float_denorm_mode_16_64 3
		.amdhsa_fp16_overflow 0
		.amdhsa_memory_ordered 1
		.amdhsa_forward_progress 1
		.amdhsa_inst_pref_size 0
		.amdhsa_round_robin_scheduling 0
		.amdhsa_exception_fp_ieee_invalid_op 0
		.amdhsa_exception_fp_denorm_src 0
		.amdhsa_exception_fp_ieee_div_zero 0
		.amdhsa_exception_fp_ieee_overflow 0
		.amdhsa_exception_fp_ieee_underflow 0
		.amdhsa_exception_fp_ieee_inexact 0
		.amdhsa_exception_int_div_zero 0
	.end_amdhsa_kernel
	.section	.text._ZN7rocprim17ROCPRIM_400000_NS6detail17trampoline_kernelINS0_14default_configENS1_38merge_sort_block_merge_config_selectorIaNS0_10empty_typeEEEZZNS1_27merge_sort_block_merge_implIS3_PaPS5_jNS1_19radix_merge_compareILb1ELb0EaNS0_19identity_decomposerEEEEE10hipError_tT0_T1_T2_jT3_P12ihipStream_tbPNSt15iterator_traitsISE_E10value_typeEPNSK_ISF_E10value_typeEPSG_NS1_7vsmem_tEENKUlT_SE_SF_SG_E_clIS8_S8_S9_S9_EESD_ST_SE_SF_SG_EUlST_E1_NS1_11comp_targetILNS1_3genE10ELNS1_11target_archE1201ELNS1_3gpuE5ELNS1_3repE0EEENS1_36merge_oddeven_config_static_selectorELNS0_4arch9wavefront6targetE0EEEvSF_,"axG",@progbits,_ZN7rocprim17ROCPRIM_400000_NS6detail17trampoline_kernelINS0_14default_configENS1_38merge_sort_block_merge_config_selectorIaNS0_10empty_typeEEEZZNS1_27merge_sort_block_merge_implIS3_PaPS5_jNS1_19radix_merge_compareILb1ELb0EaNS0_19identity_decomposerEEEEE10hipError_tT0_T1_T2_jT3_P12ihipStream_tbPNSt15iterator_traitsISE_E10value_typeEPNSK_ISF_E10value_typeEPSG_NS1_7vsmem_tEENKUlT_SE_SF_SG_E_clIS8_S8_S9_S9_EESD_ST_SE_SF_SG_EUlST_E1_NS1_11comp_targetILNS1_3genE10ELNS1_11target_archE1201ELNS1_3gpuE5ELNS1_3repE0EEENS1_36merge_oddeven_config_static_selectorELNS0_4arch9wavefront6targetE0EEEvSF_,comdat
.Lfunc_end290:
	.size	_ZN7rocprim17ROCPRIM_400000_NS6detail17trampoline_kernelINS0_14default_configENS1_38merge_sort_block_merge_config_selectorIaNS0_10empty_typeEEEZZNS1_27merge_sort_block_merge_implIS3_PaPS5_jNS1_19radix_merge_compareILb1ELb0EaNS0_19identity_decomposerEEEEE10hipError_tT0_T1_T2_jT3_P12ihipStream_tbPNSt15iterator_traitsISE_E10value_typeEPNSK_ISF_E10value_typeEPSG_NS1_7vsmem_tEENKUlT_SE_SF_SG_E_clIS8_S8_S9_S9_EESD_ST_SE_SF_SG_EUlST_E1_NS1_11comp_targetILNS1_3genE10ELNS1_11target_archE1201ELNS1_3gpuE5ELNS1_3repE0EEENS1_36merge_oddeven_config_static_selectorELNS0_4arch9wavefront6targetE0EEEvSF_, .Lfunc_end290-_ZN7rocprim17ROCPRIM_400000_NS6detail17trampoline_kernelINS0_14default_configENS1_38merge_sort_block_merge_config_selectorIaNS0_10empty_typeEEEZZNS1_27merge_sort_block_merge_implIS3_PaPS5_jNS1_19radix_merge_compareILb1ELb0EaNS0_19identity_decomposerEEEEE10hipError_tT0_T1_T2_jT3_P12ihipStream_tbPNSt15iterator_traitsISE_E10value_typeEPNSK_ISF_E10value_typeEPSG_NS1_7vsmem_tEENKUlT_SE_SF_SG_E_clIS8_S8_S9_S9_EESD_ST_SE_SF_SG_EUlST_E1_NS1_11comp_targetILNS1_3genE10ELNS1_11target_archE1201ELNS1_3gpuE5ELNS1_3repE0EEENS1_36merge_oddeven_config_static_selectorELNS0_4arch9wavefront6targetE0EEEvSF_
                                        ; -- End function
	.set _ZN7rocprim17ROCPRIM_400000_NS6detail17trampoline_kernelINS0_14default_configENS1_38merge_sort_block_merge_config_selectorIaNS0_10empty_typeEEEZZNS1_27merge_sort_block_merge_implIS3_PaPS5_jNS1_19radix_merge_compareILb1ELb0EaNS0_19identity_decomposerEEEEE10hipError_tT0_T1_T2_jT3_P12ihipStream_tbPNSt15iterator_traitsISE_E10value_typeEPNSK_ISF_E10value_typeEPSG_NS1_7vsmem_tEENKUlT_SE_SF_SG_E_clIS8_S8_S9_S9_EESD_ST_SE_SF_SG_EUlST_E1_NS1_11comp_targetILNS1_3genE10ELNS1_11target_archE1201ELNS1_3gpuE5ELNS1_3repE0EEENS1_36merge_oddeven_config_static_selectorELNS0_4arch9wavefront6targetE0EEEvSF_.num_vgpr, 0
	.set _ZN7rocprim17ROCPRIM_400000_NS6detail17trampoline_kernelINS0_14default_configENS1_38merge_sort_block_merge_config_selectorIaNS0_10empty_typeEEEZZNS1_27merge_sort_block_merge_implIS3_PaPS5_jNS1_19radix_merge_compareILb1ELb0EaNS0_19identity_decomposerEEEEE10hipError_tT0_T1_T2_jT3_P12ihipStream_tbPNSt15iterator_traitsISE_E10value_typeEPNSK_ISF_E10value_typeEPSG_NS1_7vsmem_tEENKUlT_SE_SF_SG_E_clIS8_S8_S9_S9_EESD_ST_SE_SF_SG_EUlST_E1_NS1_11comp_targetILNS1_3genE10ELNS1_11target_archE1201ELNS1_3gpuE5ELNS1_3repE0EEENS1_36merge_oddeven_config_static_selectorELNS0_4arch9wavefront6targetE0EEEvSF_.num_agpr, 0
	.set _ZN7rocprim17ROCPRIM_400000_NS6detail17trampoline_kernelINS0_14default_configENS1_38merge_sort_block_merge_config_selectorIaNS0_10empty_typeEEEZZNS1_27merge_sort_block_merge_implIS3_PaPS5_jNS1_19radix_merge_compareILb1ELb0EaNS0_19identity_decomposerEEEEE10hipError_tT0_T1_T2_jT3_P12ihipStream_tbPNSt15iterator_traitsISE_E10value_typeEPNSK_ISF_E10value_typeEPSG_NS1_7vsmem_tEENKUlT_SE_SF_SG_E_clIS8_S8_S9_S9_EESD_ST_SE_SF_SG_EUlST_E1_NS1_11comp_targetILNS1_3genE10ELNS1_11target_archE1201ELNS1_3gpuE5ELNS1_3repE0EEENS1_36merge_oddeven_config_static_selectorELNS0_4arch9wavefront6targetE0EEEvSF_.numbered_sgpr, 0
	.set _ZN7rocprim17ROCPRIM_400000_NS6detail17trampoline_kernelINS0_14default_configENS1_38merge_sort_block_merge_config_selectorIaNS0_10empty_typeEEEZZNS1_27merge_sort_block_merge_implIS3_PaPS5_jNS1_19radix_merge_compareILb1ELb0EaNS0_19identity_decomposerEEEEE10hipError_tT0_T1_T2_jT3_P12ihipStream_tbPNSt15iterator_traitsISE_E10value_typeEPNSK_ISF_E10value_typeEPSG_NS1_7vsmem_tEENKUlT_SE_SF_SG_E_clIS8_S8_S9_S9_EESD_ST_SE_SF_SG_EUlST_E1_NS1_11comp_targetILNS1_3genE10ELNS1_11target_archE1201ELNS1_3gpuE5ELNS1_3repE0EEENS1_36merge_oddeven_config_static_selectorELNS0_4arch9wavefront6targetE0EEEvSF_.num_named_barrier, 0
	.set _ZN7rocprim17ROCPRIM_400000_NS6detail17trampoline_kernelINS0_14default_configENS1_38merge_sort_block_merge_config_selectorIaNS0_10empty_typeEEEZZNS1_27merge_sort_block_merge_implIS3_PaPS5_jNS1_19radix_merge_compareILb1ELb0EaNS0_19identity_decomposerEEEEE10hipError_tT0_T1_T2_jT3_P12ihipStream_tbPNSt15iterator_traitsISE_E10value_typeEPNSK_ISF_E10value_typeEPSG_NS1_7vsmem_tEENKUlT_SE_SF_SG_E_clIS8_S8_S9_S9_EESD_ST_SE_SF_SG_EUlST_E1_NS1_11comp_targetILNS1_3genE10ELNS1_11target_archE1201ELNS1_3gpuE5ELNS1_3repE0EEENS1_36merge_oddeven_config_static_selectorELNS0_4arch9wavefront6targetE0EEEvSF_.private_seg_size, 0
	.set _ZN7rocprim17ROCPRIM_400000_NS6detail17trampoline_kernelINS0_14default_configENS1_38merge_sort_block_merge_config_selectorIaNS0_10empty_typeEEEZZNS1_27merge_sort_block_merge_implIS3_PaPS5_jNS1_19radix_merge_compareILb1ELb0EaNS0_19identity_decomposerEEEEE10hipError_tT0_T1_T2_jT3_P12ihipStream_tbPNSt15iterator_traitsISE_E10value_typeEPNSK_ISF_E10value_typeEPSG_NS1_7vsmem_tEENKUlT_SE_SF_SG_E_clIS8_S8_S9_S9_EESD_ST_SE_SF_SG_EUlST_E1_NS1_11comp_targetILNS1_3genE10ELNS1_11target_archE1201ELNS1_3gpuE5ELNS1_3repE0EEENS1_36merge_oddeven_config_static_selectorELNS0_4arch9wavefront6targetE0EEEvSF_.uses_vcc, 0
	.set _ZN7rocprim17ROCPRIM_400000_NS6detail17trampoline_kernelINS0_14default_configENS1_38merge_sort_block_merge_config_selectorIaNS0_10empty_typeEEEZZNS1_27merge_sort_block_merge_implIS3_PaPS5_jNS1_19radix_merge_compareILb1ELb0EaNS0_19identity_decomposerEEEEE10hipError_tT0_T1_T2_jT3_P12ihipStream_tbPNSt15iterator_traitsISE_E10value_typeEPNSK_ISF_E10value_typeEPSG_NS1_7vsmem_tEENKUlT_SE_SF_SG_E_clIS8_S8_S9_S9_EESD_ST_SE_SF_SG_EUlST_E1_NS1_11comp_targetILNS1_3genE10ELNS1_11target_archE1201ELNS1_3gpuE5ELNS1_3repE0EEENS1_36merge_oddeven_config_static_selectorELNS0_4arch9wavefront6targetE0EEEvSF_.uses_flat_scratch, 0
	.set _ZN7rocprim17ROCPRIM_400000_NS6detail17trampoline_kernelINS0_14default_configENS1_38merge_sort_block_merge_config_selectorIaNS0_10empty_typeEEEZZNS1_27merge_sort_block_merge_implIS3_PaPS5_jNS1_19radix_merge_compareILb1ELb0EaNS0_19identity_decomposerEEEEE10hipError_tT0_T1_T2_jT3_P12ihipStream_tbPNSt15iterator_traitsISE_E10value_typeEPNSK_ISF_E10value_typeEPSG_NS1_7vsmem_tEENKUlT_SE_SF_SG_E_clIS8_S8_S9_S9_EESD_ST_SE_SF_SG_EUlST_E1_NS1_11comp_targetILNS1_3genE10ELNS1_11target_archE1201ELNS1_3gpuE5ELNS1_3repE0EEENS1_36merge_oddeven_config_static_selectorELNS0_4arch9wavefront6targetE0EEEvSF_.has_dyn_sized_stack, 0
	.set _ZN7rocprim17ROCPRIM_400000_NS6detail17trampoline_kernelINS0_14default_configENS1_38merge_sort_block_merge_config_selectorIaNS0_10empty_typeEEEZZNS1_27merge_sort_block_merge_implIS3_PaPS5_jNS1_19radix_merge_compareILb1ELb0EaNS0_19identity_decomposerEEEEE10hipError_tT0_T1_T2_jT3_P12ihipStream_tbPNSt15iterator_traitsISE_E10value_typeEPNSK_ISF_E10value_typeEPSG_NS1_7vsmem_tEENKUlT_SE_SF_SG_E_clIS8_S8_S9_S9_EESD_ST_SE_SF_SG_EUlST_E1_NS1_11comp_targetILNS1_3genE10ELNS1_11target_archE1201ELNS1_3gpuE5ELNS1_3repE0EEENS1_36merge_oddeven_config_static_selectorELNS0_4arch9wavefront6targetE0EEEvSF_.has_recursion, 0
	.set _ZN7rocprim17ROCPRIM_400000_NS6detail17trampoline_kernelINS0_14default_configENS1_38merge_sort_block_merge_config_selectorIaNS0_10empty_typeEEEZZNS1_27merge_sort_block_merge_implIS3_PaPS5_jNS1_19radix_merge_compareILb1ELb0EaNS0_19identity_decomposerEEEEE10hipError_tT0_T1_T2_jT3_P12ihipStream_tbPNSt15iterator_traitsISE_E10value_typeEPNSK_ISF_E10value_typeEPSG_NS1_7vsmem_tEENKUlT_SE_SF_SG_E_clIS8_S8_S9_S9_EESD_ST_SE_SF_SG_EUlST_E1_NS1_11comp_targetILNS1_3genE10ELNS1_11target_archE1201ELNS1_3gpuE5ELNS1_3repE0EEENS1_36merge_oddeven_config_static_selectorELNS0_4arch9wavefront6targetE0EEEvSF_.has_indirect_call, 0
	.section	.AMDGPU.csdata,"",@progbits
; Kernel info:
; codeLenInByte = 0
; TotalNumSgprs: 0
; NumVgprs: 0
; ScratchSize: 0
; MemoryBound: 0
; FloatMode: 240
; IeeeMode: 1
; LDSByteSize: 0 bytes/workgroup (compile time only)
; SGPRBlocks: 0
; VGPRBlocks: 0
; NumSGPRsForWavesPerEU: 1
; NumVGPRsForWavesPerEU: 1
; NamedBarCnt: 0
; Occupancy: 16
; WaveLimiterHint : 0
; COMPUTE_PGM_RSRC2:SCRATCH_EN: 0
; COMPUTE_PGM_RSRC2:USER_SGPR: 2
; COMPUTE_PGM_RSRC2:TRAP_HANDLER: 0
; COMPUTE_PGM_RSRC2:TGID_X_EN: 1
; COMPUTE_PGM_RSRC2:TGID_Y_EN: 0
; COMPUTE_PGM_RSRC2:TGID_Z_EN: 0
; COMPUTE_PGM_RSRC2:TIDIG_COMP_CNT: 0
	.section	.text._ZN7rocprim17ROCPRIM_400000_NS6detail17trampoline_kernelINS0_14default_configENS1_38merge_sort_block_merge_config_selectorIaNS0_10empty_typeEEEZZNS1_27merge_sort_block_merge_implIS3_PaPS5_jNS1_19radix_merge_compareILb1ELb0EaNS0_19identity_decomposerEEEEE10hipError_tT0_T1_T2_jT3_P12ihipStream_tbPNSt15iterator_traitsISE_E10value_typeEPNSK_ISF_E10value_typeEPSG_NS1_7vsmem_tEENKUlT_SE_SF_SG_E_clIS8_S8_S9_S9_EESD_ST_SE_SF_SG_EUlST_E1_NS1_11comp_targetILNS1_3genE5ELNS1_11target_archE942ELNS1_3gpuE9ELNS1_3repE0EEENS1_36merge_oddeven_config_static_selectorELNS0_4arch9wavefront6targetE0EEEvSF_,"axG",@progbits,_ZN7rocprim17ROCPRIM_400000_NS6detail17trampoline_kernelINS0_14default_configENS1_38merge_sort_block_merge_config_selectorIaNS0_10empty_typeEEEZZNS1_27merge_sort_block_merge_implIS3_PaPS5_jNS1_19radix_merge_compareILb1ELb0EaNS0_19identity_decomposerEEEEE10hipError_tT0_T1_T2_jT3_P12ihipStream_tbPNSt15iterator_traitsISE_E10value_typeEPNSK_ISF_E10value_typeEPSG_NS1_7vsmem_tEENKUlT_SE_SF_SG_E_clIS8_S8_S9_S9_EESD_ST_SE_SF_SG_EUlST_E1_NS1_11comp_targetILNS1_3genE5ELNS1_11target_archE942ELNS1_3gpuE9ELNS1_3repE0EEENS1_36merge_oddeven_config_static_selectorELNS0_4arch9wavefront6targetE0EEEvSF_,comdat
	.protected	_ZN7rocprim17ROCPRIM_400000_NS6detail17trampoline_kernelINS0_14default_configENS1_38merge_sort_block_merge_config_selectorIaNS0_10empty_typeEEEZZNS1_27merge_sort_block_merge_implIS3_PaPS5_jNS1_19radix_merge_compareILb1ELb0EaNS0_19identity_decomposerEEEEE10hipError_tT0_T1_T2_jT3_P12ihipStream_tbPNSt15iterator_traitsISE_E10value_typeEPNSK_ISF_E10value_typeEPSG_NS1_7vsmem_tEENKUlT_SE_SF_SG_E_clIS8_S8_S9_S9_EESD_ST_SE_SF_SG_EUlST_E1_NS1_11comp_targetILNS1_3genE5ELNS1_11target_archE942ELNS1_3gpuE9ELNS1_3repE0EEENS1_36merge_oddeven_config_static_selectorELNS0_4arch9wavefront6targetE0EEEvSF_ ; -- Begin function _ZN7rocprim17ROCPRIM_400000_NS6detail17trampoline_kernelINS0_14default_configENS1_38merge_sort_block_merge_config_selectorIaNS0_10empty_typeEEEZZNS1_27merge_sort_block_merge_implIS3_PaPS5_jNS1_19radix_merge_compareILb1ELb0EaNS0_19identity_decomposerEEEEE10hipError_tT0_T1_T2_jT3_P12ihipStream_tbPNSt15iterator_traitsISE_E10value_typeEPNSK_ISF_E10value_typeEPSG_NS1_7vsmem_tEENKUlT_SE_SF_SG_E_clIS8_S8_S9_S9_EESD_ST_SE_SF_SG_EUlST_E1_NS1_11comp_targetILNS1_3genE5ELNS1_11target_archE942ELNS1_3gpuE9ELNS1_3repE0EEENS1_36merge_oddeven_config_static_selectorELNS0_4arch9wavefront6targetE0EEEvSF_
	.globl	_ZN7rocprim17ROCPRIM_400000_NS6detail17trampoline_kernelINS0_14default_configENS1_38merge_sort_block_merge_config_selectorIaNS0_10empty_typeEEEZZNS1_27merge_sort_block_merge_implIS3_PaPS5_jNS1_19radix_merge_compareILb1ELb0EaNS0_19identity_decomposerEEEEE10hipError_tT0_T1_T2_jT3_P12ihipStream_tbPNSt15iterator_traitsISE_E10value_typeEPNSK_ISF_E10value_typeEPSG_NS1_7vsmem_tEENKUlT_SE_SF_SG_E_clIS8_S8_S9_S9_EESD_ST_SE_SF_SG_EUlST_E1_NS1_11comp_targetILNS1_3genE5ELNS1_11target_archE942ELNS1_3gpuE9ELNS1_3repE0EEENS1_36merge_oddeven_config_static_selectorELNS0_4arch9wavefront6targetE0EEEvSF_
	.p2align	8
	.type	_ZN7rocprim17ROCPRIM_400000_NS6detail17trampoline_kernelINS0_14default_configENS1_38merge_sort_block_merge_config_selectorIaNS0_10empty_typeEEEZZNS1_27merge_sort_block_merge_implIS3_PaPS5_jNS1_19radix_merge_compareILb1ELb0EaNS0_19identity_decomposerEEEEE10hipError_tT0_T1_T2_jT3_P12ihipStream_tbPNSt15iterator_traitsISE_E10value_typeEPNSK_ISF_E10value_typeEPSG_NS1_7vsmem_tEENKUlT_SE_SF_SG_E_clIS8_S8_S9_S9_EESD_ST_SE_SF_SG_EUlST_E1_NS1_11comp_targetILNS1_3genE5ELNS1_11target_archE942ELNS1_3gpuE9ELNS1_3repE0EEENS1_36merge_oddeven_config_static_selectorELNS0_4arch9wavefront6targetE0EEEvSF_,@function
_ZN7rocprim17ROCPRIM_400000_NS6detail17trampoline_kernelINS0_14default_configENS1_38merge_sort_block_merge_config_selectorIaNS0_10empty_typeEEEZZNS1_27merge_sort_block_merge_implIS3_PaPS5_jNS1_19radix_merge_compareILb1ELb0EaNS0_19identity_decomposerEEEEE10hipError_tT0_T1_T2_jT3_P12ihipStream_tbPNSt15iterator_traitsISE_E10value_typeEPNSK_ISF_E10value_typeEPSG_NS1_7vsmem_tEENKUlT_SE_SF_SG_E_clIS8_S8_S9_S9_EESD_ST_SE_SF_SG_EUlST_E1_NS1_11comp_targetILNS1_3genE5ELNS1_11target_archE942ELNS1_3gpuE9ELNS1_3repE0EEENS1_36merge_oddeven_config_static_selectorELNS0_4arch9wavefront6targetE0EEEvSF_: ; @_ZN7rocprim17ROCPRIM_400000_NS6detail17trampoline_kernelINS0_14default_configENS1_38merge_sort_block_merge_config_selectorIaNS0_10empty_typeEEEZZNS1_27merge_sort_block_merge_implIS3_PaPS5_jNS1_19radix_merge_compareILb1ELb0EaNS0_19identity_decomposerEEEEE10hipError_tT0_T1_T2_jT3_P12ihipStream_tbPNSt15iterator_traitsISE_E10value_typeEPNSK_ISF_E10value_typeEPSG_NS1_7vsmem_tEENKUlT_SE_SF_SG_E_clIS8_S8_S9_S9_EESD_ST_SE_SF_SG_EUlST_E1_NS1_11comp_targetILNS1_3genE5ELNS1_11target_archE942ELNS1_3gpuE9ELNS1_3repE0EEENS1_36merge_oddeven_config_static_selectorELNS0_4arch9wavefront6targetE0EEEvSF_
; %bb.0:
	.section	.rodata,"a",@progbits
	.p2align	6, 0x0
	.amdhsa_kernel _ZN7rocprim17ROCPRIM_400000_NS6detail17trampoline_kernelINS0_14default_configENS1_38merge_sort_block_merge_config_selectorIaNS0_10empty_typeEEEZZNS1_27merge_sort_block_merge_implIS3_PaPS5_jNS1_19radix_merge_compareILb1ELb0EaNS0_19identity_decomposerEEEEE10hipError_tT0_T1_T2_jT3_P12ihipStream_tbPNSt15iterator_traitsISE_E10value_typeEPNSK_ISF_E10value_typeEPSG_NS1_7vsmem_tEENKUlT_SE_SF_SG_E_clIS8_S8_S9_S9_EESD_ST_SE_SF_SG_EUlST_E1_NS1_11comp_targetILNS1_3genE5ELNS1_11target_archE942ELNS1_3gpuE9ELNS1_3repE0EEENS1_36merge_oddeven_config_static_selectorELNS0_4arch9wavefront6targetE0EEEvSF_
		.amdhsa_group_segment_fixed_size 0
		.amdhsa_private_segment_fixed_size 0
		.amdhsa_kernarg_size 48
		.amdhsa_user_sgpr_count 2
		.amdhsa_user_sgpr_dispatch_ptr 0
		.amdhsa_user_sgpr_queue_ptr 0
		.amdhsa_user_sgpr_kernarg_segment_ptr 1
		.amdhsa_user_sgpr_dispatch_id 0
		.amdhsa_user_sgpr_kernarg_preload_length 0
		.amdhsa_user_sgpr_kernarg_preload_offset 0
		.amdhsa_user_sgpr_private_segment_size 0
		.amdhsa_wavefront_size32 1
		.amdhsa_uses_dynamic_stack 0
		.amdhsa_enable_private_segment 0
		.amdhsa_system_sgpr_workgroup_id_x 1
		.amdhsa_system_sgpr_workgroup_id_y 0
		.amdhsa_system_sgpr_workgroup_id_z 0
		.amdhsa_system_sgpr_workgroup_info 0
		.amdhsa_system_vgpr_workitem_id 0
		.amdhsa_next_free_vgpr 1
		.amdhsa_next_free_sgpr 1
		.amdhsa_named_barrier_count 0
		.amdhsa_reserve_vcc 0
		.amdhsa_float_round_mode_32 0
		.amdhsa_float_round_mode_16_64 0
		.amdhsa_float_denorm_mode_32 3
		.amdhsa_float_denorm_mode_16_64 3
		.amdhsa_fp16_overflow 0
		.amdhsa_memory_ordered 1
		.amdhsa_forward_progress 1
		.amdhsa_inst_pref_size 0
		.amdhsa_round_robin_scheduling 0
		.amdhsa_exception_fp_ieee_invalid_op 0
		.amdhsa_exception_fp_denorm_src 0
		.amdhsa_exception_fp_ieee_div_zero 0
		.amdhsa_exception_fp_ieee_overflow 0
		.amdhsa_exception_fp_ieee_underflow 0
		.amdhsa_exception_fp_ieee_inexact 0
		.amdhsa_exception_int_div_zero 0
	.end_amdhsa_kernel
	.section	.text._ZN7rocprim17ROCPRIM_400000_NS6detail17trampoline_kernelINS0_14default_configENS1_38merge_sort_block_merge_config_selectorIaNS0_10empty_typeEEEZZNS1_27merge_sort_block_merge_implIS3_PaPS5_jNS1_19radix_merge_compareILb1ELb0EaNS0_19identity_decomposerEEEEE10hipError_tT0_T1_T2_jT3_P12ihipStream_tbPNSt15iterator_traitsISE_E10value_typeEPNSK_ISF_E10value_typeEPSG_NS1_7vsmem_tEENKUlT_SE_SF_SG_E_clIS8_S8_S9_S9_EESD_ST_SE_SF_SG_EUlST_E1_NS1_11comp_targetILNS1_3genE5ELNS1_11target_archE942ELNS1_3gpuE9ELNS1_3repE0EEENS1_36merge_oddeven_config_static_selectorELNS0_4arch9wavefront6targetE0EEEvSF_,"axG",@progbits,_ZN7rocprim17ROCPRIM_400000_NS6detail17trampoline_kernelINS0_14default_configENS1_38merge_sort_block_merge_config_selectorIaNS0_10empty_typeEEEZZNS1_27merge_sort_block_merge_implIS3_PaPS5_jNS1_19radix_merge_compareILb1ELb0EaNS0_19identity_decomposerEEEEE10hipError_tT0_T1_T2_jT3_P12ihipStream_tbPNSt15iterator_traitsISE_E10value_typeEPNSK_ISF_E10value_typeEPSG_NS1_7vsmem_tEENKUlT_SE_SF_SG_E_clIS8_S8_S9_S9_EESD_ST_SE_SF_SG_EUlST_E1_NS1_11comp_targetILNS1_3genE5ELNS1_11target_archE942ELNS1_3gpuE9ELNS1_3repE0EEENS1_36merge_oddeven_config_static_selectorELNS0_4arch9wavefront6targetE0EEEvSF_,comdat
.Lfunc_end291:
	.size	_ZN7rocprim17ROCPRIM_400000_NS6detail17trampoline_kernelINS0_14default_configENS1_38merge_sort_block_merge_config_selectorIaNS0_10empty_typeEEEZZNS1_27merge_sort_block_merge_implIS3_PaPS5_jNS1_19radix_merge_compareILb1ELb0EaNS0_19identity_decomposerEEEEE10hipError_tT0_T1_T2_jT3_P12ihipStream_tbPNSt15iterator_traitsISE_E10value_typeEPNSK_ISF_E10value_typeEPSG_NS1_7vsmem_tEENKUlT_SE_SF_SG_E_clIS8_S8_S9_S9_EESD_ST_SE_SF_SG_EUlST_E1_NS1_11comp_targetILNS1_3genE5ELNS1_11target_archE942ELNS1_3gpuE9ELNS1_3repE0EEENS1_36merge_oddeven_config_static_selectorELNS0_4arch9wavefront6targetE0EEEvSF_, .Lfunc_end291-_ZN7rocprim17ROCPRIM_400000_NS6detail17trampoline_kernelINS0_14default_configENS1_38merge_sort_block_merge_config_selectorIaNS0_10empty_typeEEEZZNS1_27merge_sort_block_merge_implIS3_PaPS5_jNS1_19radix_merge_compareILb1ELb0EaNS0_19identity_decomposerEEEEE10hipError_tT0_T1_T2_jT3_P12ihipStream_tbPNSt15iterator_traitsISE_E10value_typeEPNSK_ISF_E10value_typeEPSG_NS1_7vsmem_tEENKUlT_SE_SF_SG_E_clIS8_S8_S9_S9_EESD_ST_SE_SF_SG_EUlST_E1_NS1_11comp_targetILNS1_3genE5ELNS1_11target_archE942ELNS1_3gpuE9ELNS1_3repE0EEENS1_36merge_oddeven_config_static_selectorELNS0_4arch9wavefront6targetE0EEEvSF_
                                        ; -- End function
	.set _ZN7rocprim17ROCPRIM_400000_NS6detail17trampoline_kernelINS0_14default_configENS1_38merge_sort_block_merge_config_selectorIaNS0_10empty_typeEEEZZNS1_27merge_sort_block_merge_implIS3_PaPS5_jNS1_19radix_merge_compareILb1ELb0EaNS0_19identity_decomposerEEEEE10hipError_tT0_T1_T2_jT3_P12ihipStream_tbPNSt15iterator_traitsISE_E10value_typeEPNSK_ISF_E10value_typeEPSG_NS1_7vsmem_tEENKUlT_SE_SF_SG_E_clIS8_S8_S9_S9_EESD_ST_SE_SF_SG_EUlST_E1_NS1_11comp_targetILNS1_3genE5ELNS1_11target_archE942ELNS1_3gpuE9ELNS1_3repE0EEENS1_36merge_oddeven_config_static_selectorELNS0_4arch9wavefront6targetE0EEEvSF_.num_vgpr, 0
	.set _ZN7rocprim17ROCPRIM_400000_NS6detail17trampoline_kernelINS0_14default_configENS1_38merge_sort_block_merge_config_selectorIaNS0_10empty_typeEEEZZNS1_27merge_sort_block_merge_implIS3_PaPS5_jNS1_19radix_merge_compareILb1ELb0EaNS0_19identity_decomposerEEEEE10hipError_tT0_T1_T2_jT3_P12ihipStream_tbPNSt15iterator_traitsISE_E10value_typeEPNSK_ISF_E10value_typeEPSG_NS1_7vsmem_tEENKUlT_SE_SF_SG_E_clIS8_S8_S9_S9_EESD_ST_SE_SF_SG_EUlST_E1_NS1_11comp_targetILNS1_3genE5ELNS1_11target_archE942ELNS1_3gpuE9ELNS1_3repE0EEENS1_36merge_oddeven_config_static_selectorELNS0_4arch9wavefront6targetE0EEEvSF_.num_agpr, 0
	.set _ZN7rocprim17ROCPRIM_400000_NS6detail17trampoline_kernelINS0_14default_configENS1_38merge_sort_block_merge_config_selectorIaNS0_10empty_typeEEEZZNS1_27merge_sort_block_merge_implIS3_PaPS5_jNS1_19radix_merge_compareILb1ELb0EaNS0_19identity_decomposerEEEEE10hipError_tT0_T1_T2_jT3_P12ihipStream_tbPNSt15iterator_traitsISE_E10value_typeEPNSK_ISF_E10value_typeEPSG_NS1_7vsmem_tEENKUlT_SE_SF_SG_E_clIS8_S8_S9_S9_EESD_ST_SE_SF_SG_EUlST_E1_NS1_11comp_targetILNS1_3genE5ELNS1_11target_archE942ELNS1_3gpuE9ELNS1_3repE0EEENS1_36merge_oddeven_config_static_selectorELNS0_4arch9wavefront6targetE0EEEvSF_.numbered_sgpr, 0
	.set _ZN7rocprim17ROCPRIM_400000_NS6detail17trampoline_kernelINS0_14default_configENS1_38merge_sort_block_merge_config_selectorIaNS0_10empty_typeEEEZZNS1_27merge_sort_block_merge_implIS3_PaPS5_jNS1_19radix_merge_compareILb1ELb0EaNS0_19identity_decomposerEEEEE10hipError_tT0_T1_T2_jT3_P12ihipStream_tbPNSt15iterator_traitsISE_E10value_typeEPNSK_ISF_E10value_typeEPSG_NS1_7vsmem_tEENKUlT_SE_SF_SG_E_clIS8_S8_S9_S9_EESD_ST_SE_SF_SG_EUlST_E1_NS1_11comp_targetILNS1_3genE5ELNS1_11target_archE942ELNS1_3gpuE9ELNS1_3repE0EEENS1_36merge_oddeven_config_static_selectorELNS0_4arch9wavefront6targetE0EEEvSF_.num_named_barrier, 0
	.set _ZN7rocprim17ROCPRIM_400000_NS6detail17trampoline_kernelINS0_14default_configENS1_38merge_sort_block_merge_config_selectorIaNS0_10empty_typeEEEZZNS1_27merge_sort_block_merge_implIS3_PaPS5_jNS1_19radix_merge_compareILb1ELb0EaNS0_19identity_decomposerEEEEE10hipError_tT0_T1_T2_jT3_P12ihipStream_tbPNSt15iterator_traitsISE_E10value_typeEPNSK_ISF_E10value_typeEPSG_NS1_7vsmem_tEENKUlT_SE_SF_SG_E_clIS8_S8_S9_S9_EESD_ST_SE_SF_SG_EUlST_E1_NS1_11comp_targetILNS1_3genE5ELNS1_11target_archE942ELNS1_3gpuE9ELNS1_3repE0EEENS1_36merge_oddeven_config_static_selectorELNS0_4arch9wavefront6targetE0EEEvSF_.private_seg_size, 0
	.set _ZN7rocprim17ROCPRIM_400000_NS6detail17trampoline_kernelINS0_14default_configENS1_38merge_sort_block_merge_config_selectorIaNS0_10empty_typeEEEZZNS1_27merge_sort_block_merge_implIS3_PaPS5_jNS1_19radix_merge_compareILb1ELb0EaNS0_19identity_decomposerEEEEE10hipError_tT0_T1_T2_jT3_P12ihipStream_tbPNSt15iterator_traitsISE_E10value_typeEPNSK_ISF_E10value_typeEPSG_NS1_7vsmem_tEENKUlT_SE_SF_SG_E_clIS8_S8_S9_S9_EESD_ST_SE_SF_SG_EUlST_E1_NS1_11comp_targetILNS1_3genE5ELNS1_11target_archE942ELNS1_3gpuE9ELNS1_3repE0EEENS1_36merge_oddeven_config_static_selectorELNS0_4arch9wavefront6targetE0EEEvSF_.uses_vcc, 0
	.set _ZN7rocprim17ROCPRIM_400000_NS6detail17trampoline_kernelINS0_14default_configENS1_38merge_sort_block_merge_config_selectorIaNS0_10empty_typeEEEZZNS1_27merge_sort_block_merge_implIS3_PaPS5_jNS1_19radix_merge_compareILb1ELb0EaNS0_19identity_decomposerEEEEE10hipError_tT0_T1_T2_jT3_P12ihipStream_tbPNSt15iterator_traitsISE_E10value_typeEPNSK_ISF_E10value_typeEPSG_NS1_7vsmem_tEENKUlT_SE_SF_SG_E_clIS8_S8_S9_S9_EESD_ST_SE_SF_SG_EUlST_E1_NS1_11comp_targetILNS1_3genE5ELNS1_11target_archE942ELNS1_3gpuE9ELNS1_3repE0EEENS1_36merge_oddeven_config_static_selectorELNS0_4arch9wavefront6targetE0EEEvSF_.uses_flat_scratch, 0
	.set _ZN7rocprim17ROCPRIM_400000_NS6detail17trampoline_kernelINS0_14default_configENS1_38merge_sort_block_merge_config_selectorIaNS0_10empty_typeEEEZZNS1_27merge_sort_block_merge_implIS3_PaPS5_jNS1_19radix_merge_compareILb1ELb0EaNS0_19identity_decomposerEEEEE10hipError_tT0_T1_T2_jT3_P12ihipStream_tbPNSt15iterator_traitsISE_E10value_typeEPNSK_ISF_E10value_typeEPSG_NS1_7vsmem_tEENKUlT_SE_SF_SG_E_clIS8_S8_S9_S9_EESD_ST_SE_SF_SG_EUlST_E1_NS1_11comp_targetILNS1_3genE5ELNS1_11target_archE942ELNS1_3gpuE9ELNS1_3repE0EEENS1_36merge_oddeven_config_static_selectorELNS0_4arch9wavefront6targetE0EEEvSF_.has_dyn_sized_stack, 0
	.set _ZN7rocprim17ROCPRIM_400000_NS6detail17trampoline_kernelINS0_14default_configENS1_38merge_sort_block_merge_config_selectorIaNS0_10empty_typeEEEZZNS1_27merge_sort_block_merge_implIS3_PaPS5_jNS1_19radix_merge_compareILb1ELb0EaNS0_19identity_decomposerEEEEE10hipError_tT0_T1_T2_jT3_P12ihipStream_tbPNSt15iterator_traitsISE_E10value_typeEPNSK_ISF_E10value_typeEPSG_NS1_7vsmem_tEENKUlT_SE_SF_SG_E_clIS8_S8_S9_S9_EESD_ST_SE_SF_SG_EUlST_E1_NS1_11comp_targetILNS1_3genE5ELNS1_11target_archE942ELNS1_3gpuE9ELNS1_3repE0EEENS1_36merge_oddeven_config_static_selectorELNS0_4arch9wavefront6targetE0EEEvSF_.has_recursion, 0
	.set _ZN7rocprim17ROCPRIM_400000_NS6detail17trampoline_kernelINS0_14default_configENS1_38merge_sort_block_merge_config_selectorIaNS0_10empty_typeEEEZZNS1_27merge_sort_block_merge_implIS3_PaPS5_jNS1_19radix_merge_compareILb1ELb0EaNS0_19identity_decomposerEEEEE10hipError_tT0_T1_T2_jT3_P12ihipStream_tbPNSt15iterator_traitsISE_E10value_typeEPNSK_ISF_E10value_typeEPSG_NS1_7vsmem_tEENKUlT_SE_SF_SG_E_clIS8_S8_S9_S9_EESD_ST_SE_SF_SG_EUlST_E1_NS1_11comp_targetILNS1_3genE5ELNS1_11target_archE942ELNS1_3gpuE9ELNS1_3repE0EEENS1_36merge_oddeven_config_static_selectorELNS0_4arch9wavefront6targetE0EEEvSF_.has_indirect_call, 0
	.section	.AMDGPU.csdata,"",@progbits
; Kernel info:
; codeLenInByte = 0
; TotalNumSgprs: 0
; NumVgprs: 0
; ScratchSize: 0
; MemoryBound: 0
; FloatMode: 240
; IeeeMode: 1
; LDSByteSize: 0 bytes/workgroup (compile time only)
; SGPRBlocks: 0
; VGPRBlocks: 0
; NumSGPRsForWavesPerEU: 1
; NumVGPRsForWavesPerEU: 1
; NamedBarCnt: 0
; Occupancy: 16
; WaveLimiterHint : 0
; COMPUTE_PGM_RSRC2:SCRATCH_EN: 0
; COMPUTE_PGM_RSRC2:USER_SGPR: 2
; COMPUTE_PGM_RSRC2:TRAP_HANDLER: 0
; COMPUTE_PGM_RSRC2:TGID_X_EN: 1
; COMPUTE_PGM_RSRC2:TGID_Y_EN: 0
; COMPUTE_PGM_RSRC2:TGID_Z_EN: 0
; COMPUTE_PGM_RSRC2:TIDIG_COMP_CNT: 0
	.section	.text._ZN7rocprim17ROCPRIM_400000_NS6detail17trampoline_kernelINS0_14default_configENS1_38merge_sort_block_merge_config_selectorIaNS0_10empty_typeEEEZZNS1_27merge_sort_block_merge_implIS3_PaPS5_jNS1_19radix_merge_compareILb1ELb0EaNS0_19identity_decomposerEEEEE10hipError_tT0_T1_T2_jT3_P12ihipStream_tbPNSt15iterator_traitsISE_E10value_typeEPNSK_ISF_E10value_typeEPSG_NS1_7vsmem_tEENKUlT_SE_SF_SG_E_clIS8_S8_S9_S9_EESD_ST_SE_SF_SG_EUlST_E1_NS1_11comp_targetILNS1_3genE4ELNS1_11target_archE910ELNS1_3gpuE8ELNS1_3repE0EEENS1_36merge_oddeven_config_static_selectorELNS0_4arch9wavefront6targetE0EEEvSF_,"axG",@progbits,_ZN7rocprim17ROCPRIM_400000_NS6detail17trampoline_kernelINS0_14default_configENS1_38merge_sort_block_merge_config_selectorIaNS0_10empty_typeEEEZZNS1_27merge_sort_block_merge_implIS3_PaPS5_jNS1_19radix_merge_compareILb1ELb0EaNS0_19identity_decomposerEEEEE10hipError_tT0_T1_T2_jT3_P12ihipStream_tbPNSt15iterator_traitsISE_E10value_typeEPNSK_ISF_E10value_typeEPSG_NS1_7vsmem_tEENKUlT_SE_SF_SG_E_clIS8_S8_S9_S9_EESD_ST_SE_SF_SG_EUlST_E1_NS1_11comp_targetILNS1_3genE4ELNS1_11target_archE910ELNS1_3gpuE8ELNS1_3repE0EEENS1_36merge_oddeven_config_static_selectorELNS0_4arch9wavefront6targetE0EEEvSF_,comdat
	.protected	_ZN7rocprim17ROCPRIM_400000_NS6detail17trampoline_kernelINS0_14default_configENS1_38merge_sort_block_merge_config_selectorIaNS0_10empty_typeEEEZZNS1_27merge_sort_block_merge_implIS3_PaPS5_jNS1_19radix_merge_compareILb1ELb0EaNS0_19identity_decomposerEEEEE10hipError_tT0_T1_T2_jT3_P12ihipStream_tbPNSt15iterator_traitsISE_E10value_typeEPNSK_ISF_E10value_typeEPSG_NS1_7vsmem_tEENKUlT_SE_SF_SG_E_clIS8_S8_S9_S9_EESD_ST_SE_SF_SG_EUlST_E1_NS1_11comp_targetILNS1_3genE4ELNS1_11target_archE910ELNS1_3gpuE8ELNS1_3repE0EEENS1_36merge_oddeven_config_static_selectorELNS0_4arch9wavefront6targetE0EEEvSF_ ; -- Begin function _ZN7rocprim17ROCPRIM_400000_NS6detail17trampoline_kernelINS0_14default_configENS1_38merge_sort_block_merge_config_selectorIaNS0_10empty_typeEEEZZNS1_27merge_sort_block_merge_implIS3_PaPS5_jNS1_19radix_merge_compareILb1ELb0EaNS0_19identity_decomposerEEEEE10hipError_tT0_T1_T2_jT3_P12ihipStream_tbPNSt15iterator_traitsISE_E10value_typeEPNSK_ISF_E10value_typeEPSG_NS1_7vsmem_tEENKUlT_SE_SF_SG_E_clIS8_S8_S9_S9_EESD_ST_SE_SF_SG_EUlST_E1_NS1_11comp_targetILNS1_3genE4ELNS1_11target_archE910ELNS1_3gpuE8ELNS1_3repE0EEENS1_36merge_oddeven_config_static_selectorELNS0_4arch9wavefront6targetE0EEEvSF_
	.globl	_ZN7rocprim17ROCPRIM_400000_NS6detail17trampoline_kernelINS0_14default_configENS1_38merge_sort_block_merge_config_selectorIaNS0_10empty_typeEEEZZNS1_27merge_sort_block_merge_implIS3_PaPS5_jNS1_19radix_merge_compareILb1ELb0EaNS0_19identity_decomposerEEEEE10hipError_tT0_T1_T2_jT3_P12ihipStream_tbPNSt15iterator_traitsISE_E10value_typeEPNSK_ISF_E10value_typeEPSG_NS1_7vsmem_tEENKUlT_SE_SF_SG_E_clIS8_S8_S9_S9_EESD_ST_SE_SF_SG_EUlST_E1_NS1_11comp_targetILNS1_3genE4ELNS1_11target_archE910ELNS1_3gpuE8ELNS1_3repE0EEENS1_36merge_oddeven_config_static_selectorELNS0_4arch9wavefront6targetE0EEEvSF_
	.p2align	8
	.type	_ZN7rocprim17ROCPRIM_400000_NS6detail17trampoline_kernelINS0_14default_configENS1_38merge_sort_block_merge_config_selectorIaNS0_10empty_typeEEEZZNS1_27merge_sort_block_merge_implIS3_PaPS5_jNS1_19radix_merge_compareILb1ELb0EaNS0_19identity_decomposerEEEEE10hipError_tT0_T1_T2_jT3_P12ihipStream_tbPNSt15iterator_traitsISE_E10value_typeEPNSK_ISF_E10value_typeEPSG_NS1_7vsmem_tEENKUlT_SE_SF_SG_E_clIS8_S8_S9_S9_EESD_ST_SE_SF_SG_EUlST_E1_NS1_11comp_targetILNS1_3genE4ELNS1_11target_archE910ELNS1_3gpuE8ELNS1_3repE0EEENS1_36merge_oddeven_config_static_selectorELNS0_4arch9wavefront6targetE0EEEvSF_,@function
_ZN7rocprim17ROCPRIM_400000_NS6detail17trampoline_kernelINS0_14default_configENS1_38merge_sort_block_merge_config_selectorIaNS0_10empty_typeEEEZZNS1_27merge_sort_block_merge_implIS3_PaPS5_jNS1_19radix_merge_compareILb1ELb0EaNS0_19identity_decomposerEEEEE10hipError_tT0_T1_T2_jT3_P12ihipStream_tbPNSt15iterator_traitsISE_E10value_typeEPNSK_ISF_E10value_typeEPSG_NS1_7vsmem_tEENKUlT_SE_SF_SG_E_clIS8_S8_S9_S9_EESD_ST_SE_SF_SG_EUlST_E1_NS1_11comp_targetILNS1_3genE4ELNS1_11target_archE910ELNS1_3gpuE8ELNS1_3repE0EEENS1_36merge_oddeven_config_static_selectorELNS0_4arch9wavefront6targetE0EEEvSF_: ; @_ZN7rocprim17ROCPRIM_400000_NS6detail17trampoline_kernelINS0_14default_configENS1_38merge_sort_block_merge_config_selectorIaNS0_10empty_typeEEEZZNS1_27merge_sort_block_merge_implIS3_PaPS5_jNS1_19radix_merge_compareILb1ELb0EaNS0_19identity_decomposerEEEEE10hipError_tT0_T1_T2_jT3_P12ihipStream_tbPNSt15iterator_traitsISE_E10value_typeEPNSK_ISF_E10value_typeEPSG_NS1_7vsmem_tEENKUlT_SE_SF_SG_E_clIS8_S8_S9_S9_EESD_ST_SE_SF_SG_EUlST_E1_NS1_11comp_targetILNS1_3genE4ELNS1_11target_archE910ELNS1_3gpuE8ELNS1_3repE0EEENS1_36merge_oddeven_config_static_selectorELNS0_4arch9wavefront6targetE0EEEvSF_
; %bb.0:
	.section	.rodata,"a",@progbits
	.p2align	6, 0x0
	.amdhsa_kernel _ZN7rocprim17ROCPRIM_400000_NS6detail17trampoline_kernelINS0_14default_configENS1_38merge_sort_block_merge_config_selectorIaNS0_10empty_typeEEEZZNS1_27merge_sort_block_merge_implIS3_PaPS5_jNS1_19radix_merge_compareILb1ELb0EaNS0_19identity_decomposerEEEEE10hipError_tT0_T1_T2_jT3_P12ihipStream_tbPNSt15iterator_traitsISE_E10value_typeEPNSK_ISF_E10value_typeEPSG_NS1_7vsmem_tEENKUlT_SE_SF_SG_E_clIS8_S8_S9_S9_EESD_ST_SE_SF_SG_EUlST_E1_NS1_11comp_targetILNS1_3genE4ELNS1_11target_archE910ELNS1_3gpuE8ELNS1_3repE0EEENS1_36merge_oddeven_config_static_selectorELNS0_4arch9wavefront6targetE0EEEvSF_
		.amdhsa_group_segment_fixed_size 0
		.amdhsa_private_segment_fixed_size 0
		.amdhsa_kernarg_size 48
		.amdhsa_user_sgpr_count 2
		.amdhsa_user_sgpr_dispatch_ptr 0
		.amdhsa_user_sgpr_queue_ptr 0
		.amdhsa_user_sgpr_kernarg_segment_ptr 1
		.amdhsa_user_sgpr_dispatch_id 0
		.amdhsa_user_sgpr_kernarg_preload_length 0
		.amdhsa_user_sgpr_kernarg_preload_offset 0
		.amdhsa_user_sgpr_private_segment_size 0
		.amdhsa_wavefront_size32 1
		.amdhsa_uses_dynamic_stack 0
		.amdhsa_enable_private_segment 0
		.amdhsa_system_sgpr_workgroup_id_x 1
		.amdhsa_system_sgpr_workgroup_id_y 0
		.amdhsa_system_sgpr_workgroup_id_z 0
		.amdhsa_system_sgpr_workgroup_info 0
		.amdhsa_system_vgpr_workitem_id 0
		.amdhsa_next_free_vgpr 1
		.amdhsa_next_free_sgpr 1
		.amdhsa_named_barrier_count 0
		.amdhsa_reserve_vcc 0
		.amdhsa_float_round_mode_32 0
		.amdhsa_float_round_mode_16_64 0
		.amdhsa_float_denorm_mode_32 3
		.amdhsa_float_denorm_mode_16_64 3
		.amdhsa_fp16_overflow 0
		.amdhsa_memory_ordered 1
		.amdhsa_forward_progress 1
		.amdhsa_inst_pref_size 0
		.amdhsa_round_robin_scheduling 0
		.amdhsa_exception_fp_ieee_invalid_op 0
		.amdhsa_exception_fp_denorm_src 0
		.amdhsa_exception_fp_ieee_div_zero 0
		.amdhsa_exception_fp_ieee_overflow 0
		.amdhsa_exception_fp_ieee_underflow 0
		.amdhsa_exception_fp_ieee_inexact 0
		.amdhsa_exception_int_div_zero 0
	.end_amdhsa_kernel
	.section	.text._ZN7rocprim17ROCPRIM_400000_NS6detail17trampoline_kernelINS0_14default_configENS1_38merge_sort_block_merge_config_selectorIaNS0_10empty_typeEEEZZNS1_27merge_sort_block_merge_implIS3_PaPS5_jNS1_19radix_merge_compareILb1ELb0EaNS0_19identity_decomposerEEEEE10hipError_tT0_T1_T2_jT3_P12ihipStream_tbPNSt15iterator_traitsISE_E10value_typeEPNSK_ISF_E10value_typeEPSG_NS1_7vsmem_tEENKUlT_SE_SF_SG_E_clIS8_S8_S9_S9_EESD_ST_SE_SF_SG_EUlST_E1_NS1_11comp_targetILNS1_3genE4ELNS1_11target_archE910ELNS1_3gpuE8ELNS1_3repE0EEENS1_36merge_oddeven_config_static_selectorELNS0_4arch9wavefront6targetE0EEEvSF_,"axG",@progbits,_ZN7rocprim17ROCPRIM_400000_NS6detail17trampoline_kernelINS0_14default_configENS1_38merge_sort_block_merge_config_selectorIaNS0_10empty_typeEEEZZNS1_27merge_sort_block_merge_implIS3_PaPS5_jNS1_19radix_merge_compareILb1ELb0EaNS0_19identity_decomposerEEEEE10hipError_tT0_T1_T2_jT3_P12ihipStream_tbPNSt15iterator_traitsISE_E10value_typeEPNSK_ISF_E10value_typeEPSG_NS1_7vsmem_tEENKUlT_SE_SF_SG_E_clIS8_S8_S9_S9_EESD_ST_SE_SF_SG_EUlST_E1_NS1_11comp_targetILNS1_3genE4ELNS1_11target_archE910ELNS1_3gpuE8ELNS1_3repE0EEENS1_36merge_oddeven_config_static_selectorELNS0_4arch9wavefront6targetE0EEEvSF_,comdat
.Lfunc_end292:
	.size	_ZN7rocprim17ROCPRIM_400000_NS6detail17trampoline_kernelINS0_14default_configENS1_38merge_sort_block_merge_config_selectorIaNS0_10empty_typeEEEZZNS1_27merge_sort_block_merge_implIS3_PaPS5_jNS1_19radix_merge_compareILb1ELb0EaNS0_19identity_decomposerEEEEE10hipError_tT0_T1_T2_jT3_P12ihipStream_tbPNSt15iterator_traitsISE_E10value_typeEPNSK_ISF_E10value_typeEPSG_NS1_7vsmem_tEENKUlT_SE_SF_SG_E_clIS8_S8_S9_S9_EESD_ST_SE_SF_SG_EUlST_E1_NS1_11comp_targetILNS1_3genE4ELNS1_11target_archE910ELNS1_3gpuE8ELNS1_3repE0EEENS1_36merge_oddeven_config_static_selectorELNS0_4arch9wavefront6targetE0EEEvSF_, .Lfunc_end292-_ZN7rocprim17ROCPRIM_400000_NS6detail17trampoline_kernelINS0_14default_configENS1_38merge_sort_block_merge_config_selectorIaNS0_10empty_typeEEEZZNS1_27merge_sort_block_merge_implIS3_PaPS5_jNS1_19radix_merge_compareILb1ELb0EaNS0_19identity_decomposerEEEEE10hipError_tT0_T1_T2_jT3_P12ihipStream_tbPNSt15iterator_traitsISE_E10value_typeEPNSK_ISF_E10value_typeEPSG_NS1_7vsmem_tEENKUlT_SE_SF_SG_E_clIS8_S8_S9_S9_EESD_ST_SE_SF_SG_EUlST_E1_NS1_11comp_targetILNS1_3genE4ELNS1_11target_archE910ELNS1_3gpuE8ELNS1_3repE0EEENS1_36merge_oddeven_config_static_selectorELNS0_4arch9wavefront6targetE0EEEvSF_
                                        ; -- End function
	.set _ZN7rocprim17ROCPRIM_400000_NS6detail17trampoline_kernelINS0_14default_configENS1_38merge_sort_block_merge_config_selectorIaNS0_10empty_typeEEEZZNS1_27merge_sort_block_merge_implIS3_PaPS5_jNS1_19radix_merge_compareILb1ELb0EaNS0_19identity_decomposerEEEEE10hipError_tT0_T1_T2_jT3_P12ihipStream_tbPNSt15iterator_traitsISE_E10value_typeEPNSK_ISF_E10value_typeEPSG_NS1_7vsmem_tEENKUlT_SE_SF_SG_E_clIS8_S8_S9_S9_EESD_ST_SE_SF_SG_EUlST_E1_NS1_11comp_targetILNS1_3genE4ELNS1_11target_archE910ELNS1_3gpuE8ELNS1_3repE0EEENS1_36merge_oddeven_config_static_selectorELNS0_4arch9wavefront6targetE0EEEvSF_.num_vgpr, 0
	.set _ZN7rocprim17ROCPRIM_400000_NS6detail17trampoline_kernelINS0_14default_configENS1_38merge_sort_block_merge_config_selectorIaNS0_10empty_typeEEEZZNS1_27merge_sort_block_merge_implIS3_PaPS5_jNS1_19radix_merge_compareILb1ELb0EaNS0_19identity_decomposerEEEEE10hipError_tT0_T1_T2_jT3_P12ihipStream_tbPNSt15iterator_traitsISE_E10value_typeEPNSK_ISF_E10value_typeEPSG_NS1_7vsmem_tEENKUlT_SE_SF_SG_E_clIS8_S8_S9_S9_EESD_ST_SE_SF_SG_EUlST_E1_NS1_11comp_targetILNS1_3genE4ELNS1_11target_archE910ELNS1_3gpuE8ELNS1_3repE0EEENS1_36merge_oddeven_config_static_selectorELNS0_4arch9wavefront6targetE0EEEvSF_.num_agpr, 0
	.set _ZN7rocprim17ROCPRIM_400000_NS6detail17trampoline_kernelINS0_14default_configENS1_38merge_sort_block_merge_config_selectorIaNS0_10empty_typeEEEZZNS1_27merge_sort_block_merge_implIS3_PaPS5_jNS1_19radix_merge_compareILb1ELb0EaNS0_19identity_decomposerEEEEE10hipError_tT0_T1_T2_jT3_P12ihipStream_tbPNSt15iterator_traitsISE_E10value_typeEPNSK_ISF_E10value_typeEPSG_NS1_7vsmem_tEENKUlT_SE_SF_SG_E_clIS8_S8_S9_S9_EESD_ST_SE_SF_SG_EUlST_E1_NS1_11comp_targetILNS1_3genE4ELNS1_11target_archE910ELNS1_3gpuE8ELNS1_3repE0EEENS1_36merge_oddeven_config_static_selectorELNS0_4arch9wavefront6targetE0EEEvSF_.numbered_sgpr, 0
	.set _ZN7rocprim17ROCPRIM_400000_NS6detail17trampoline_kernelINS0_14default_configENS1_38merge_sort_block_merge_config_selectorIaNS0_10empty_typeEEEZZNS1_27merge_sort_block_merge_implIS3_PaPS5_jNS1_19radix_merge_compareILb1ELb0EaNS0_19identity_decomposerEEEEE10hipError_tT0_T1_T2_jT3_P12ihipStream_tbPNSt15iterator_traitsISE_E10value_typeEPNSK_ISF_E10value_typeEPSG_NS1_7vsmem_tEENKUlT_SE_SF_SG_E_clIS8_S8_S9_S9_EESD_ST_SE_SF_SG_EUlST_E1_NS1_11comp_targetILNS1_3genE4ELNS1_11target_archE910ELNS1_3gpuE8ELNS1_3repE0EEENS1_36merge_oddeven_config_static_selectorELNS0_4arch9wavefront6targetE0EEEvSF_.num_named_barrier, 0
	.set _ZN7rocprim17ROCPRIM_400000_NS6detail17trampoline_kernelINS0_14default_configENS1_38merge_sort_block_merge_config_selectorIaNS0_10empty_typeEEEZZNS1_27merge_sort_block_merge_implIS3_PaPS5_jNS1_19radix_merge_compareILb1ELb0EaNS0_19identity_decomposerEEEEE10hipError_tT0_T1_T2_jT3_P12ihipStream_tbPNSt15iterator_traitsISE_E10value_typeEPNSK_ISF_E10value_typeEPSG_NS1_7vsmem_tEENKUlT_SE_SF_SG_E_clIS8_S8_S9_S9_EESD_ST_SE_SF_SG_EUlST_E1_NS1_11comp_targetILNS1_3genE4ELNS1_11target_archE910ELNS1_3gpuE8ELNS1_3repE0EEENS1_36merge_oddeven_config_static_selectorELNS0_4arch9wavefront6targetE0EEEvSF_.private_seg_size, 0
	.set _ZN7rocprim17ROCPRIM_400000_NS6detail17trampoline_kernelINS0_14default_configENS1_38merge_sort_block_merge_config_selectorIaNS0_10empty_typeEEEZZNS1_27merge_sort_block_merge_implIS3_PaPS5_jNS1_19radix_merge_compareILb1ELb0EaNS0_19identity_decomposerEEEEE10hipError_tT0_T1_T2_jT3_P12ihipStream_tbPNSt15iterator_traitsISE_E10value_typeEPNSK_ISF_E10value_typeEPSG_NS1_7vsmem_tEENKUlT_SE_SF_SG_E_clIS8_S8_S9_S9_EESD_ST_SE_SF_SG_EUlST_E1_NS1_11comp_targetILNS1_3genE4ELNS1_11target_archE910ELNS1_3gpuE8ELNS1_3repE0EEENS1_36merge_oddeven_config_static_selectorELNS0_4arch9wavefront6targetE0EEEvSF_.uses_vcc, 0
	.set _ZN7rocprim17ROCPRIM_400000_NS6detail17trampoline_kernelINS0_14default_configENS1_38merge_sort_block_merge_config_selectorIaNS0_10empty_typeEEEZZNS1_27merge_sort_block_merge_implIS3_PaPS5_jNS1_19radix_merge_compareILb1ELb0EaNS0_19identity_decomposerEEEEE10hipError_tT0_T1_T2_jT3_P12ihipStream_tbPNSt15iterator_traitsISE_E10value_typeEPNSK_ISF_E10value_typeEPSG_NS1_7vsmem_tEENKUlT_SE_SF_SG_E_clIS8_S8_S9_S9_EESD_ST_SE_SF_SG_EUlST_E1_NS1_11comp_targetILNS1_3genE4ELNS1_11target_archE910ELNS1_3gpuE8ELNS1_3repE0EEENS1_36merge_oddeven_config_static_selectorELNS0_4arch9wavefront6targetE0EEEvSF_.uses_flat_scratch, 0
	.set _ZN7rocprim17ROCPRIM_400000_NS6detail17trampoline_kernelINS0_14default_configENS1_38merge_sort_block_merge_config_selectorIaNS0_10empty_typeEEEZZNS1_27merge_sort_block_merge_implIS3_PaPS5_jNS1_19radix_merge_compareILb1ELb0EaNS0_19identity_decomposerEEEEE10hipError_tT0_T1_T2_jT3_P12ihipStream_tbPNSt15iterator_traitsISE_E10value_typeEPNSK_ISF_E10value_typeEPSG_NS1_7vsmem_tEENKUlT_SE_SF_SG_E_clIS8_S8_S9_S9_EESD_ST_SE_SF_SG_EUlST_E1_NS1_11comp_targetILNS1_3genE4ELNS1_11target_archE910ELNS1_3gpuE8ELNS1_3repE0EEENS1_36merge_oddeven_config_static_selectorELNS0_4arch9wavefront6targetE0EEEvSF_.has_dyn_sized_stack, 0
	.set _ZN7rocprim17ROCPRIM_400000_NS6detail17trampoline_kernelINS0_14default_configENS1_38merge_sort_block_merge_config_selectorIaNS0_10empty_typeEEEZZNS1_27merge_sort_block_merge_implIS3_PaPS5_jNS1_19radix_merge_compareILb1ELb0EaNS0_19identity_decomposerEEEEE10hipError_tT0_T1_T2_jT3_P12ihipStream_tbPNSt15iterator_traitsISE_E10value_typeEPNSK_ISF_E10value_typeEPSG_NS1_7vsmem_tEENKUlT_SE_SF_SG_E_clIS8_S8_S9_S9_EESD_ST_SE_SF_SG_EUlST_E1_NS1_11comp_targetILNS1_3genE4ELNS1_11target_archE910ELNS1_3gpuE8ELNS1_3repE0EEENS1_36merge_oddeven_config_static_selectorELNS0_4arch9wavefront6targetE0EEEvSF_.has_recursion, 0
	.set _ZN7rocprim17ROCPRIM_400000_NS6detail17trampoline_kernelINS0_14default_configENS1_38merge_sort_block_merge_config_selectorIaNS0_10empty_typeEEEZZNS1_27merge_sort_block_merge_implIS3_PaPS5_jNS1_19radix_merge_compareILb1ELb0EaNS0_19identity_decomposerEEEEE10hipError_tT0_T1_T2_jT3_P12ihipStream_tbPNSt15iterator_traitsISE_E10value_typeEPNSK_ISF_E10value_typeEPSG_NS1_7vsmem_tEENKUlT_SE_SF_SG_E_clIS8_S8_S9_S9_EESD_ST_SE_SF_SG_EUlST_E1_NS1_11comp_targetILNS1_3genE4ELNS1_11target_archE910ELNS1_3gpuE8ELNS1_3repE0EEENS1_36merge_oddeven_config_static_selectorELNS0_4arch9wavefront6targetE0EEEvSF_.has_indirect_call, 0
	.section	.AMDGPU.csdata,"",@progbits
; Kernel info:
; codeLenInByte = 0
; TotalNumSgprs: 0
; NumVgprs: 0
; ScratchSize: 0
; MemoryBound: 0
; FloatMode: 240
; IeeeMode: 1
; LDSByteSize: 0 bytes/workgroup (compile time only)
; SGPRBlocks: 0
; VGPRBlocks: 0
; NumSGPRsForWavesPerEU: 1
; NumVGPRsForWavesPerEU: 1
; NamedBarCnt: 0
; Occupancy: 16
; WaveLimiterHint : 0
; COMPUTE_PGM_RSRC2:SCRATCH_EN: 0
; COMPUTE_PGM_RSRC2:USER_SGPR: 2
; COMPUTE_PGM_RSRC2:TRAP_HANDLER: 0
; COMPUTE_PGM_RSRC2:TGID_X_EN: 1
; COMPUTE_PGM_RSRC2:TGID_Y_EN: 0
; COMPUTE_PGM_RSRC2:TGID_Z_EN: 0
; COMPUTE_PGM_RSRC2:TIDIG_COMP_CNT: 0
	.section	.text._ZN7rocprim17ROCPRIM_400000_NS6detail17trampoline_kernelINS0_14default_configENS1_38merge_sort_block_merge_config_selectorIaNS0_10empty_typeEEEZZNS1_27merge_sort_block_merge_implIS3_PaPS5_jNS1_19radix_merge_compareILb1ELb0EaNS0_19identity_decomposerEEEEE10hipError_tT0_T1_T2_jT3_P12ihipStream_tbPNSt15iterator_traitsISE_E10value_typeEPNSK_ISF_E10value_typeEPSG_NS1_7vsmem_tEENKUlT_SE_SF_SG_E_clIS8_S8_S9_S9_EESD_ST_SE_SF_SG_EUlST_E1_NS1_11comp_targetILNS1_3genE3ELNS1_11target_archE908ELNS1_3gpuE7ELNS1_3repE0EEENS1_36merge_oddeven_config_static_selectorELNS0_4arch9wavefront6targetE0EEEvSF_,"axG",@progbits,_ZN7rocprim17ROCPRIM_400000_NS6detail17trampoline_kernelINS0_14default_configENS1_38merge_sort_block_merge_config_selectorIaNS0_10empty_typeEEEZZNS1_27merge_sort_block_merge_implIS3_PaPS5_jNS1_19radix_merge_compareILb1ELb0EaNS0_19identity_decomposerEEEEE10hipError_tT0_T1_T2_jT3_P12ihipStream_tbPNSt15iterator_traitsISE_E10value_typeEPNSK_ISF_E10value_typeEPSG_NS1_7vsmem_tEENKUlT_SE_SF_SG_E_clIS8_S8_S9_S9_EESD_ST_SE_SF_SG_EUlST_E1_NS1_11comp_targetILNS1_3genE3ELNS1_11target_archE908ELNS1_3gpuE7ELNS1_3repE0EEENS1_36merge_oddeven_config_static_selectorELNS0_4arch9wavefront6targetE0EEEvSF_,comdat
	.protected	_ZN7rocprim17ROCPRIM_400000_NS6detail17trampoline_kernelINS0_14default_configENS1_38merge_sort_block_merge_config_selectorIaNS0_10empty_typeEEEZZNS1_27merge_sort_block_merge_implIS3_PaPS5_jNS1_19radix_merge_compareILb1ELb0EaNS0_19identity_decomposerEEEEE10hipError_tT0_T1_T2_jT3_P12ihipStream_tbPNSt15iterator_traitsISE_E10value_typeEPNSK_ISF_E10value_typeEPSG_NS1_7vsmem_tEENKUlT_SE_SF_SG_E_clIS8_S8_S9_S9_EESD_ST_SE_SF_SG_EUlST_E1_NS1_11comp_targetILNS1_3genE3ELNS1_11target_archE908ELNS1_3gpuE7ELNS1_3repE0EEENS1_36merge_oddeven_config_static_selectorELNS0_4arch9wavefront6targetE0EEEvSF_ ; -- Begin function _ZN7rocprim17ROCPRIM_400000_NS6detail17trampoline_kernelINS0_14default_configENS1_38merge_sort_block_merge_config_selectorIaNS0_10empty_typeEEEZZNS1_27merge_sort_block_merge_implIS3_PaPS5_jNS1_19radix_merge_compareILb1ELb0EaNS0_19identity_decomposerEEEEE10hipError_tT0_T1_T2_jT3_P12ihipStream_tbPNSt15iterator_traitsISE_E10value_typeEPNSK_ISF_E10value_typeEPSG_NS1_7vsmem_tEENKUlT_SE_SF_SG_E_clIS8_S8_S9_S9_EESD_ST_SE_SF_SG_EUlST_E1_NS1_11comp_targetILNS1_3genE3ELNS1_11target_archE908ELNS1_3gpuE7ELNS1_3repE0EEENS1_36merge_oddeven_config_static_selectorELNS0_4arch9wavefront6targetE0EEEvSF_
	.globl	_ZN7rocprim17ROCPRIM_400000_NS6detail17trampoline_kernelINS0_14default_configENS1_38merge_sort_block_merge_config_selectorIaNS0_10empty_typeEEEZZNS1_27merge_sort_block_merge_implIS3_PaPS5_jNS1_19radix_merge_compareILb1ELb0EaNS0_19identity_decomposerEEEEE10hipError_tT0_T1_T2_jT3_P12ihipStream_tbPNSt15iterator_traitsISE_E10value_typeEPNSK_ISF_E10value_typeEPSG_NS1_7vsmem_tEENKUlT_SE_SF_SG_E_clIS8_S8_S9_S9_EESD_ST_SE_SF_SG_EUlST_E1_NS1_11comp_targetILNS1_3genE3ELNS1_11target_archE908ELNS1_3gpuE7ELNS1_3repE0EEENS1_36merge_oddeven_config_static_selectorELNS0_4arch9wavefront6targetE0EEEvSF_
	.p2align	8
	.type	_ZN7rocprim17ROCPRIM_400000_NS6detail17trampoline_kernelINS0_14default_configENS1_38merge_sort_block_merge_config_selectorIaNS0_10empty_typeEEEZZNS1_27merge_sort_block_merge_implIS3_PaPS5_jNS1_19radix_merge_compareILb1ELb0EaNS0_19identity_decomposerEEEEE10hipError_tT0_T1_T2_jT3_P12ihipStream_tbPNSt15iterator_traitsISE_E10value_typeEPNSK_ISF_E10value_typeEPSG_NS1_7vsmem_tEENKUlT_SE_SF_SG_E_clIS8_S8_S9_S9_EESD_ST_SE_SF_SG_EUlST_E1_NS1_11comp_targetILNS1_3genE3ELNS1_11target_archE908ELNS1_3gpuE7ELNS1_3repE0EEENS1_36merge_oddeven_config_static_selectorELNS0_4arch9wavefront6targetE0EEEvSF_,@function
_ZN7rocprim17ROCPRIM_400000_NS6detail17trampoline_kernelINS0_14default_configENS1_38merge_sort_block_merge_config_selectorIaNS0_10empty_typeEEEZZNS1_27merge_sort_block_merge_implIS3_PaPS5_jNS1_19radix_merge_compareILb1ELb0EaNS0_19identity_decomposerEEEEE10hipError_tT0_T1_T2_jT3_P12ihipStream_tbPNSt15iterator_traitsISE_E10value_typeEPNSK_ISF_E10value_typeEPSG_NS1_7vsmem_tEENKUlT_SE_SF_SG_E_clIS8_S8_S9_S9_EESD_ST_SE_SF_SG_EUlST_E1_NS1_11comp_targetILNS1_3genE3ELNS1_11target_archE908ELNS1_3gpuE7ELNS1_3repE0EEENS1_36merge_oddeven_config_static_selectorELNS0_4arch9wavefront6targetE0EEEvSF_: ; @_ZN7rocprim17ROCPRIM_400000_NS6detail17trampoline_kernelINS0_14default_configENS1_38merge_sort_block_merge_config_selectorIaNS0_10empty_typeEEEZZNS1_27merge_sort_block_merge_implIS3_PaPS5_jNS1_19radix_merge_compareILb1ELb0EaNS0_19identity_decomposerEEEEE10hipError_tT0_T1_T2_jT3_P12ihipStream_tbPNSt15iterator_traitsISE_E10value_typeEPNSK_ISF_E10value_typeEPSG_NS1_7vsmem_tEENKUlT_SE_SF_SG_E_clIS8_S8_S9_S9_EESD_ST_SE_SF_SG_EUlST_E1_NS1_11comp_targetILNS1_3genE3ELNS1_11target_archE908ELNS1_3gpuE7ELNS1_3repE0EEENS1_36merge_oddeven_config_static_selectorELNS0_4arch9wavefront6targetE0EEEvSF_
; %bb.0:
	.section	.rodata,"a",@progbits
	.p2align	6, 0x0
	.amdhsa_kernel _ZN7rocprim17ROCPRIM_400000_NS6detail17trampoline_kernelINS0_14default_configENS1_38merge_sort_block_merge_config_selectorIaNS0_10empty_typeEEEZZNS1_27merge_sort_block_merge_implIS3_PaPS5_jNS1_19radix_merge_compareILb1ELb0EaNS0_19identity_decomposerEEEEE10hipError_tT0_T1_T2_jT3_P12ihipStream_tbPNSt15iterator_traitsISE_E10value_typeEPNSK_ISF_E10value_typeEPSG_NS1_7vsmem_tEENKUlT_SE_SF_SG_E_clIS8_S8_S9_S9_EESD_ST_SE_SF_SG_EUlST_E1_NS1_11comp_targetILNS1_3genE3ELNS1_11target_archE908ELNS1_3gpuE7ELNS1_3repE0EEENS1_36merge_oddeven_config_static_selectorELNS0_4arch9wavefront6targetE0EEEvSF_
		.amdhsa_group_segment_fixed_size 0
		.amdhsa_private_segment_fixed_size 0
		.amdhsa_kernarg_size 48
		.amdhsa_user_sgpr_count 2
		.amdhsa_user_sgpr_dispatch_ptr 0
		.amdhsa_user_sgpr_queue_ptr 0
		.amdhsa_user_sgpr_kernarg_segment_ptr 1
		.amdhsa_user_sgpr_dispatch_id 0
		.amdhsa_user_sgpr_kernarg_preload_length 0
		.amdhsa_user_sgpr_kernarg_preload_offset 0
		.amdhsa_user_sgpr_private_segment_size 0
		.amdhsa_wavefront_size32 1
		.amdhsa_uses_dynamic_stack 0
		.amdhsa_enable_private_segment 0
		.amdhsa_system_sgpr_workgroup_id_x 1
		.amdhsa_system_sgpr_workgroup_id_y 0
		.amdhsa_system_sgpr_workgroup_id_z 0
		.amdhsa_system_sgpr_workgroup_info 0
		.amdhsa_system_vgpr_workitem_id 0
		.amdhsa_next_free_vgpr 1
		.amdhsa_next_free_sgpr 1
		.amdhsa_named_barrier_count 0
		.amdhsa_reserve_vcc 0
		.amdhsa_float_round_mode_32 0
		.amdhsa_float_round_mode_16_64 0
		.amdhsa_float_denorm_mode_32 3
		.amdhsa_float_denorm_mode_16_64 3
		.amdhsa_fp16_overflow 0
		.amdhsa_memory_ordered 1
		.amdhsa_forward_progress 1
		.amdhsa_inst_pref_size 0
		.amdhsa_round_robin_scheduling 0
		.amdhsa_exception_fp_ieee_invalid_op 0
		.amdhsa_exception_fp_denorm_src 0
		.amdhsa_exception_fp_ieee_div_zero 0
		.amdhsa_exception_fp_ieee_overflow 0
		.amdhsa_exception_fp_ieee_underflow 0
		.amdhsa_exception_fp_ieee_inexact 0
		.amdhsa_exception_int_div_zero 0
	.end_amdhsa_kernel
	.section	.text._ZN7rocprim17ROCPRIM_400000_NS6detail17trampoline_kernelINS0_14default_configENS1_38merge_sort_block_merge_config_selectorIaNS0_10empty_typeEEEZZNS1_27merge_sort_block_merge_implIS3_PaPS5_jNS1_19radix_merge_compareILb1ELb0EaNS0_19identity_decomposerEEEEE10hipError_tT0_T1_T2_jT3_P12ihipStream_tbPNSt15iterator_traitsISE_E10value_typeEPNSK_ISF_E10value_typeEPSG_NS1_7vsmem_tEENKUlT_SE_SF_SG_E_clIS8_S8_S9_S9_EESD_ST_SE_SF_SG_EUlST_E1_NS1_11comp_targetILNS1_3genE3ELNS1_11target_archE908ELNS1_3gpuE7ELNS1_3repE0EEENS1_36merge_oddeven_config_static_selectorELNS0_4arch9wavefront6targetE0EEEvSF_,"axG",@progbits,_ZN7rocprim17ROCPRIM_400000_NS6detail17trampoline_kernelINS0_14default_configENS1_38merge_sort_block_merge_config_selectorIaNS0_10empty_typeEEEZZNS1_27merge_sort_block_merge_implIS3_PaPS5_jNS1_19radix_merge_compareILb1ELb0EaNS0_19identity_decomposerEEEEE10hipError_tT0_T1_T2_jT3_P12ihipStream_tbPNSt15iterator_traitsISE_E10value_typeEPNSK_ISF_E10value_typeEPSG_NS1_7vsmem_tEENKUlT_SE_SF_SG_E_clIS8_S8_S9_S9_EESD_ST_SE_SF_SG_EUlST_E1_NS1_11comp_targetILNS1_3genE3ELNS1_11target_archE908ELNS1_3gpuE7ELNS1_3repE0EEENS1_36merge_oddeven_config_static_selectorELNS0_4arch9wavefront6targetE0EEEvSF_,comdat
.Lfunc_end293:
	.size	_ZN7rocprim17ROCPRIM_400000_NS6detail17trampoline_kernelINS0_14default_configENS1_38merge_sort_block_merge_config_selectorIaNS0_10empty_typeEEEZZNS1_27merge_sort_block_merge_implIS3_PaPS5_jNS1_19radix_merge_compareILb1ELb0EaNS0_19identity_decomposerEEEEE10hipError_tT0_T1_T2_jT3_P12ihipStream_tbPNSt15iterator_traitsISE_E10value_typeEPNSK_ISF_E10value_typeEPSG_NS1_7vsmem_tEENKUlT_SE_SF_SG_E_clIS8_S8_S9_S9_EESD_ST_SE_SF_SG_EUlST_E1_NS1_11comp_targetILNS1_3genE3ELNS1_11target_archE908ELNS1_3gpuE7ELNS1_3repE0EEENS1_36merge_oddeven_config_static_selectorELNS0_4arch9wavefront6targetE0EEEvSF_, .Lfunc_end293-_ZN7rocprim17ROCPRIM_400000_NS6detail17trampoline_kernelINS0_14default_configENS1_38merge_sort_block_merge_config_selectorIaNS0_10empty_typeEEEZZNS1_27merge_sort_block_merge_implIS3_PaPS5_jNS1_19radix_merge_compareILb1ELb0EaNS0_19identity_decomposerEEEEE10hipError_tT0_T1_T2_jT3_P12ihipStream_tbPNSt15iterator_traitsISE_E10value_typeEPNSK_ISF_E10value_typeEPSG_NS1_7vsmem_tEENKUlT_SE_SF_SG_E_clIS8_S8_S9_S9_EESD_ST_SE_SF_SG_EUlST_E1_NS1_11comp_targetILNS1_3genE3ELNS1_11target_archE908ELNS1_3gpuE7ELNS1_3repE0EEENS1_36merge_oddeven_config_static_selectorELNS0_4arch9wavefront6targetE0EEEvSF_
                                        ; -- End function
	.set _ZN7rocprim17ROCPRIM_400000_NS6detail17trampoline_kernelINS0_14default_configENS1_38merge_sort_block_merge_config_selectorIaNS0_10empty_typeEEEZZNS1_27merge_sort_block_merge_implIS3_PaPS5_jNS1_19radix_merge_compareILb1ELb0EaNS0_19identity_decomposerEEEEE10hipError_tT0_T1_T2_jT3_P12ihipStream_tbPNSt15iterator_traitsISE_E10value_typeEPNSK_ISF_E10value_typeEPSG_NS1_7vsmem_tEENKUlT_SE_SF_SG_E_clIS8_S8_S9_S9_EESD_ST_SE_SF_SG_EUlST_E1_NS1_11comp_targetILNS1_3genE3ELNS1_11target_archE908ELNS1_3gpuE7ELNS1_3repE0EEENS1_36merge_oddeven_config_static_selectorELNS0_4arch9wavefront6targetE0EEEvSF_.num_vgpr, 0
	.set _ZN7rocprim17ROCPRIM_400000_NS6detail17trampoline_kernelINS0_14default_configENS1_38merge_sort_block_merge_config_selectorIaNS0_10empty_typeEEEZZNS1_27merge_sort_block_merge_implIS3_PaPS5_jNS1_19radix_merge_compareILb1ELb0EaNS0_19identity_decomposerEEEEE10hipError_tT0_T1_T2_jT3_P12ihipStream_tbPNSt15iterator_traitsISE_E10value_typeEPNSK_ISF_E10value_typeEPSG_NS1_7vsmem_tEENKUlT_SE_SF_SG_E_clIS8_S8_S9_S9_EESD_ST_SE_SF_SG_EUlST_E1_NS1_11comp_targetILNS1_3genE3ELNS1_11target_archE908ELNS1_3gpuE7ELNS1_3repE0EEENS1_36merge_oddeven_config_static_selectorELNS0_4arch9wavefront6targetE0EEEvSF_.num_agpr, 0
	.set _ZN7rocprim17ROCPRIM_400000_NS6detail17trampoline_kernelINS0_14default_configENS1_38merge_sort_block_merge_config_selectorIaNS0_10empty_typeEEEZZNS1_27merge_sort_block_merge_implIS3_PaPS5_jNS1_19radix_merge_compareILb1ELb0EaNS0_19identity_decomposerEEEEE10hipError_tT0_T1_T2_jT3_P12ihipStream_tbPNSt15iterator_traitsISE_E10value_typeEPNSK_ISF_E10value_typeEPSG_NS1_7vsmem_tEENKUlT_SE_SF_SG_E_clIS8_S8_S9_S9_EESD_ST_SE_SF_SG_EUlST_E1_NS1_11comp_targetILNS1_3genE3ELNS1_11target_archE908ELNS1_3gpuE7ELNS1_3repE0EEENS1_36merge_oddeven_config_static_selectorELNS0_4arch9wavefront6targetE0EEEvSF_.numbered_sgpr, 0
	.set _ZN7rocprim17ROCPRIM_400000_NS6detail17trampoline_kernelINS0_14default_configENS1_38merge_sort_block_merge_config_selectorIaNS0_10empty_typeEEEZZNS1_27merge_sort_block_merge_implIS3_PaPS5_jNS1_19radix_merge_compareILb1ELb0EaNS0_19identity_decomposerEEEEE10hipError_tT0_T1_T2_jT3_P12ihipStream_tbPNSt15iterator_traitsISE_E10value_typeEPNSK_ISF_E10value_typeEPSG_NS1_7vsmem_tEENKUlT_SE_SF_SG_E_clIS8_S8_S9_S9_EESD_ST_SE_SF_SG_EUlST_E1_NS1_11comp_targetILNS1_3genE3ELNS1_11target_archE908ELNS1_3gpuE7ELNS1_3repE0EEENS1_36merge_oddeven_config_static_selectorELNS0_4arch9wavefront6targetE0EEEvSF_.num_named_barrier, 0
	.set _ZN7rocprim17ROCPRIM_400000_NS6detail17trampoline_kernelINS0_14default_configENS1_38merge_sort_block_merge_config_selectorIaNS0_10empty_typeEEEZZNS1_27merge_sort_block_merge_implIS3_PaPS5_jNS1_19radix_merge_compareILb1ELb0EaNS0_19identity_decomposerEEEEE10hipError_tT0_T1_T2_jT3_P12ihipStream_tbPNSt15iterator_traitsISE_E10value_typeEPNSK_ISF_E10value_typeEPSG_NS1_7vsmem_tEENKUlT_SE_SF_SG_E_clIS8_S8_S9_S9_EESD_ST_SE_SF_SG_EUlST_E1_NS1_11comp_targetILNS1_3genE3ELNS1_11target_archE908ELNS1_3gpuE7ELNS1_3repE0EEENS1_36merge_oddeven_config_static_selectorELNS0_4arch9wavefront6targetE0EEEvSF_.private_seg_size, 0
	.set _ZN7rocprim17ROCPRIM_400000_NS6detail17trampoline_kernelINS0_14default_configENS1_38merge_sort_block_merge_config_selectorIaNS0_10empty_typeEEEZZNS1_27merge_sort_block_merge_implIS3_PaPS5_jNS1_19radix_merge_compareILb1ELb0EaNS0_19identity_decomposerEEEEE10hipError_tT0_T1_T2_jT3_P12ihipStream_tbPNSt15iterator_traitsISE_E10value_typeEPNSK_ISF_E10value_typeEPSG_NS1_7vsmem_tEENKUlT_SE_SF_SG_E_clIS8_S8_S9_S9_EESD_ST_SE_SF_SG_EUlST_E1_NS1_11comp_targetILNS1_3genE3ELNS1_11target_archE908ELNS1_3gpuE7ELNS1_3repE0EEENS1_36merge_oddeven_config_static_selectorELNS0_4arch9wavefront6targetE0EEEvSF_.uses_vcc, 0
	.set _ZN7rocprim17ROCPRIM_400000_NS6detail17trampoline_kernelINS0_14default_configENS1_38merge_sort_block_merge_config_selectorIaNS0_10empty_typeEEEZZNS1_27merge_sort_block_merge_implIS3_PaPS5_jNS1_19radix_merge_compareILb1ELb0EaNS0_19identity_decomposerEEEEE10hipError_tT0_T1_T2_jT3_P12ihipStream_tbPNSt15iterator_traitsISE_E10value_typeEPNSK_ISF_E10value_typeEPSG_NS1_7vsmem_tEENKUlT_SE_SF_SG_E_clIS8_S8_S9_S9_EESD_ST_SE_SF_SG_EUlST_E1_NS1_11comp_targetILNS1_3genE3ELNS1_11target_archE908ELNS1_3gpuE7ELNS1_3repE0EEENS1_36merge_oddeven_config_static_selectorELNS0_4arch9wavefront6targetE0EEEvSF_.uses_flat_scratch, 0
	.set _ZN7rocprim17ROCPRIM_400000_NS6detail17trampoline_kernelINS0_14default_configENS1_38merge_sort_block_merge_config_selectorIaNS0_10empty_typeEEEZZNS1_27merge_sort_block_merge_implIS3_PaPS5_jNS1_19radix_merge_compareILb1ELb0EaNS0_19identity_decomposerEEEEE10hipError_tT0_T1_T2_jT3_P12ihipStream_tbPNSt15iterator_traitsISE_E10value_typeEPNSK_ISF_E10value_typeEPSG_NS1_7vsmem_tEENKUlT_SE_SF_SG_E_clIS8_S8_S9_S9_EESD_ST_SE_SF_SG_EUlST_E1_NS1_11comp_targetILNS1_3genE3ELNS1_11target_archE908ELNS1_3gpuE7ELNS1_3repE0EEENS1_36merge_oddeven_config_static_selectorELNS0_4arch9wavefront6targetE0EEEvSF_.has_dyn_sized_stack, 0
	.set _ZN7rocprim17ROCPRIM_400000_NS6detail17trampoline_kernelINS0_14default_configENS1_38merge_sort_block_merge_config_selectorIaNS0_10empty_typeEEEZZNS1_27merge_sort_block_merge_implIS3_PaPS5_jNS1_19radix_merge_compareILb1ELb0EaNS0_19identity_decomposerEEEEE10hipError_tT0_T1_T2_jT3_P12ihipStream_tbPNSt15iterator_traitsISE_E10value_typeEPNSK_ISF_E10value_typeEPSG_NS1_7vsmem_tEENKUlT_SE_SF_SG_E_clIS8_S8_S9_S9_EESD_ST_SE_SF_SG_EUlST_E1_NS1_11comp_targetILNS1_3genE3ELNS1_11target_archE908ELNS1_3gpuE7ELNS1_3repE0EEENS1_36merge_oddeven_config_static_selectorELNS0_4arch9wavefront6targetE0EEEvSF_.has_recursion, 0
	.set _ZN7rocprim17ROCPRIM_400000_NS6detail17trampoline_kernelINS0_14default_configENS1_38merge_sort_block_merge_config_selectorIaNS0_10empty_typeEEEZZNS1_27merge_sort_block_merge_implIS3_PaPS5_jNS1_19radix_merge_compareILb1ELb0EaNS0_19identity_decomposerEEEEE10hipError_tT0_T1_T2_jT3_P12ihipStream_tbPNSt15iterator_traitsISE_E10value_typeEPNSK_ISF_E10value_typeEPSG_NS1_7vsmem_tEENKUlT_SE_SF_SG_E_clIS8_S8_S9_S9_EESD_ST_SE_SF_SG_EUlST_E1_NS1_11comp_targetILNS1_3genE3ELNS1_11target_archE908ELNS1_3gpuE7ELNS1_3repE0EEENS1_36merge_oddeven_config_static_selectorELNS0_4arch9wavefront6targetE0EEEvSF_.has_indirect_call, 0
	.section	.AMDGPU.csdata,"",@progbits
; Kernel info:
; codeLenInByte = 0
; TotalNumSgprs: 0
; NumVgprs: 0
; ScratchSize: 0
; MemoryBound: 0
; FloatMode: 240
; IeeeMode: 1
; LDSByteSize: 0 bytes/workgroup (compile time only)
; SGPRBlocks: 0
; VGPRBlocks: 0
; NumSGPRsForWavesPerEU: 1
; NumVGPRsForWavesPerEU: 1
; NamedBarCnt: 0
; Occupancy: 16
; WaveLimiterHint : 0
; COMPUTE_PGM_RSRC2:SCRATCH_EN: 0
; COMPUTE_PGM_RSRC2:USER_SGPR: 2
; COMPUTE_PGM_RSRC2:TRAP_HANDLER: 0
; COMPUTE_PGM_RSRC2:TGID_X_EN: 1
; COMPUTE_PGM_RSRC2:TGID_Y_EN: 0
; COMPUTE_PGM_RSRC2:TGID_Z_EN: 0
; COMPUTE_PGM_RSRC2:TIDIG_COMP_CNT: 0
	.section	.text._ZN7rocprim17ROCPRIM_400000_NS6detail17trampoline_kernelINS0_14default_configENS1_38merge_sort_block_merge_config_selectorIaNS0_10empty_typeEEEZZNS1_27merge_sort_block_merge_implIS3_PaPS5_jNS1_19radix_merge_compareILb1ELb0EaNS0_19identity_decomposerEEEEE10hipError_tT0_T1_T2_jT3_P12ihipStream_tbPNSt15iterator_traitsISE_E10value_typeEPNSK_ISF_E10value_typeEPSG_NS1_7vsmem_tEENKUlT_SE_SF_SG_E_clIS8_S8_S9_S9_EESD_ST_SE_SF_SG_EUlST_E1_NS1_11comp_targetILNS1_3genE2ELNS1_11target_archE906ELNS1_3gpuE6ELNS1_3repE0EEENS1_36merge_oddeven_config_static_selectorELNS0_4arch9wavefront6targetE0EEEvSF_,"axG",@progbits,_ZN7rocprim17ROCPRIM_400000_NS6detail17trampoline_kernelINS0_14default_configENS1_38merge_sort_block_merge_config_selectorIaNS0_10empty_typeEEEZZNS1_27merge_sort_block_merge_implIS3_PaPS5_jNS1_19radix_merge_compareILb1ELb0EaNS0_19identity_decomposerEEEEE10hipError_tT0_T1_T2_jT3_P12ihipStream_tbPNSt15iterator_traitsISE_E10value_typeEPNSK_ISF_E10value_typeEPSG_NS1_7vsmem_tEENKUlT_SE_SF_SG_E_clIS8_S8_S9_S9_EESD_ST_SE_SF_SG_EUlST_E1_NS1_11comp_targetILNS1_3genE2ELNS1_11target_archE906ELNS1_3gpuE6ELNS1_3repE0EEENS1_36merge_oddeven_config_static_selectorELNS0_4arch9wavefront6targetE0EEEvSF_,comdat
	.protected	_ZN7rocprim17ROCPRIM_400000_NS6detail17trampoline_kernelINS0_14default_configENS1_38merge_sort_block_merge_config_selectorIaNS0_10empty_typeEEEZZNS1_27merge_sort_block_merge_implIS3_PaPS5_jNS1_19radix_merge_compareILb1ELb0EaNS0_19identity_decomposerEEEEE10hipError_tT0_T1_T2_jT3_P12ihipStream_tbPNSt15iterator_traitsISE_E10value_typeEPNSK_ISF_E10value_typeEPSG_NS1_7vsmem_tEENKUlT_SE_SF_SG_E_clIS8_S8_S9_S9_EESD_ST_SE_SF_SG_EUlST_E1_NS1_11comp_targetILNS1_3genE2ELNS1_11target_archE906ELNS1_3gpuE6ELNS1_3repE0EEENS1_36merge_oddeven_config_static_selectorELNS0_4arch9wavefront6targetE0EEEvSF_ ; -- Begin function _ZN7rocprim17ROCPRIM_400000_NS6detail17trampoline_kernelINS0_14default_configENS1_38merge_sort_block_merge_config_selectorIaNS0_10empty_typeEEEZZNS1_27merge_sort_block_merge_implIS3_PaPS5_jNS1_19radix_merge_compareILb1ELb0EaNS0_19identity_decomposerEEEEE10hipError_tT0_T1_T2_jT3_P12ihipStream_tbPNSt15iterator_traitsISE_E10value_typeEPNSK_ISF_E10value_typeEPSG_NS1_7vsmem_tEENKUlT_SE_SF_SG_E_clIS8_S8_S9_S9_EESD_ST_SE_SF_SG_EUlST_E1_NS1_11comp_targetILNS1_3genE2ELNS1_11target_archE906ELNS1_3gpuE6ELNS1_3repE0EEENS1_36merge_oddeven_config_static_selectorELNS0_4arch9wavefront6targetE0EEEvSF_
	.globl	_ZN7rocprim17ROCPRIM_400000_NS6detail17trampoline_kernelINS0_14default_configENS1_38merge_sort_block_merge_config_selectorIaNS0_10empty_typeEEEZZNS1_27merge_sort_block_merge_implIS3_PaPS5_jNS1_19radix_merge_compareILb1ELb0EaNS0_19identity_decomposerEEEEE10hipError_tT0_T1_T2_jT3_P12ihipStream_tbPNSt15iterator_traitsISE_E10value_typeEPNSK_ISF_E10value_typeEPSG_NS1_7vsmem_tEENKUlT_SE_SF_SG_E_clIS8_S8_S9_S9_EESD_ST_SE_SF_SG_EUlST_E1_NS1_11comp_targetILNS1_3genE2ELNS1_11target_archE906ELNS1_3gpuE6ELNS1_3repE0EEENS1_36merge_oddeven_config_static_selectorELNS0_4arch9wavefront6targetE0EEEvSF_
	.p2align	8
	.type	_ZN7rocprim17ROCPRIM_400000_NS6detail17trampoline_kernelINS0_14default_configENS1_38merge_sort_block_merge_config_selectorIaNS0_10empty_typeEEEZZNS1_27merge_sort_block_merge_implIS3_PaPS5_jNS1_19radix_merge_compareILb1ELb0EaNS0_19identity_decomposerEEEEE10hipError_tT0_T1_T2_jT3_P12ihipStream_tbPNSt15iterator_traitsISE_E10value_typeEPNSK_ISF_E10value_typeEPSG_NS1_7vsmem_tEENKUlT_SE_SF_SG_E_clIS8_S8_S9_S9_EESD_ST_SE_SF_SG_EUlST_E1_NS1_11comp_targetILNS1_3genE2ELNS1_11target_archE906ELNS1_3gpuE6ELNS1_3repE0EEENS1_36merge_oddeven_config_static_selectorELNS0_4arch9wavefront6targetE0EEEvSF_,@function
_ZN7rocprim17ROCPRIM_400000_NS6detail17trampoline_kernelINS0_14default_configENS1_38merge_sort_block_merge_config_selectorIaNS0_10empty_typeEEEZZNS1_27merge_sort_block_merge_implIS3_PaPS5_jNS1_19radix_merge_compareILb1ELb0EaNS0_19identity_decomposerEEEEE10hipError_tT0_T1_T2_jT3_P12ihipStream_tbPNSt15iterator_traitsISE_E10value_typeEPNSK_ISF_E10value_typeEPSG_NS1_7vsmem_tEENKUlT_SE_SF_SG_E_clIS8_S8_S9_S9_EESD_ST_SE_SF_SG_EUlST_E1_NS1_11comp_targetILNS1_3genE2ELNS1_11target_archE906ELNS1_3gpuE6ELNS1_3repE0EEENS1_36merge_oddeven_config_static_selectorELNS0_4arch9wavefront6targetE0EEEvSF_: ; @_ZN7rocprim17ROCPRIM_400000_NS6detail17trampoline_kernelINS0_14default_configENS1_38merge_sort_block_merge_config_selectorIaNS0_10empty_typeEEEZZNS1_27merge_sort_block_merge_implIS3_PaPS5_jNS1_19radix_merge_compareILb1ELb0EaNS0_19identity_decomposerEEEEE10hipError_tT0_T1_T2_jT3_P12ihipStream_tbPNSt15iterator_traitsISE_E10value_typeEPNSK_ISF_E10value_typeEPSG_NS1_7vsmem_tEENKUlT_SE_SF_SG_E_clIS8_S8_S9_S9_EESD_ST_SE_SF_SG_EUlST_E1_NS1_11comp_targetILNS1_3genE2ELNS1_11target_archE906ELNS1_3gpuE6ELNS1_3repE0EEENS1_36merge_oddeven_config_static_selectorELNS0_4arch9wavefront6targetE0EEEvSF_
; %bb.0:
	.section	.rodata,"a",@progbits
	.p2align	6, 0x0
	.amdhsa_kernel _ZN7rocprim17ROCPRIM_400000_NS6detail17trampoline_kernelINS0_14default_configENS1_38merge_sort_block_merge_config_selectorIaNS0_10empty_typeEEEZZNS1_27merge_sort_block_merge_implIS3_PaPS5_jNS1_19radix_merge_compareILb1ELb0EaNS0_19identity_decomposerEEEEE10hipError_tT0_T1_T2_jT3_P12ihipStream_tbPNSt15iterator_traitsISE_E10value_typeEPNSK_ISF_E10value_typeEPSG_NS1_7vsmem_tEENKUlT_SE_SF_SG_E_clIS8_S8_S9_S9_EESD_ST_SE_SF_SG_EUlST_E1_NS1_11comp_targetILNS1_3genE2ELNS1_11target_archE906ELNS1_3gpuE6ELNS1_3repE0EEENS1_36merge_oddeven_config_static_selectorELNS0_4arch9wavefront6targetE0EEEvSF_
		.amdhsa_group_segment_fixed_size 0
		.amdhsa_private_segment_fixed_size 0
		.amdhsa_kernarg_size 48
		.amdhsa_user_sgpr_count 2
		.amdhsa_user_sgpr_dispatch_ptr 0
		.amdhsa_user_sgpr_queue_ptr 0
		.amdhsa_user_sgpr_kernarg_segment_ptr 1
		.amdhsa_user_sgpr_dispatch_id 0
		.amdhsa_user_sgpr_kernarg_preload_length 0
		.amdhsa_user_sgpr_kernarg_preload_offset 0
		.amdhsa_user_sgpr_private_segment_size 0
		.amdhsa_wavefront_size32 1
		.amdhsa_uses_dynamic_stack 0
		.amdhsa_enable_private_segment 0
		.amdhsa_system_sgpr_workgroup_id_x 1
		.amdhsa_system_sgpr_workgroup_id_y 0
		.amdhsa_system_sgpr_workgroup_id_z 0
		.amdhsa_system_sgpr_workgroup_info 0
		.amdhsa_system_vgpr_workitem_id 0
		.amdhsa_next_free_vgpr 1
		.amdhsa_next_free_sgpr 1
		.amdhsa_named_barrier_count 0
		.amdhsa_reserve_vcc 0
		.amdhsa_float_round_mode_32 0
		.amdhsa_float_round_mode_16_64 0
		.amdhsa_float_denorm_mode_32 3
		.amdhsa_float_denorm_mode_16_64 3
		.amdhsa_fp16_overflow 0
		.amdhsa_memory_ordered 1
		.amdhsa_forward_progress 1
		.amdhsa_inst_pref_size 0
		.amdhsa_round_robin_scheduling 0
		.amdhsa_exception_fp_ieee_invalid_op 0
		.amdhsa_exception_fp_denorm_src 0
		.amdhsa_exception_fp_ieee_div_zero 0
		.amdhsa_exception_fp_ieee_overflow 0
		.amdhsa_exception_fp_ieee_underflow 0
		.amdhsa_exception_fp_ieee_inexact 0
		.amdhsa_exception_int_div_zero 0
	.end_amdhsa_kernel
	.section	.text._ZN7rocprim17ROCPRIM_400000_NS6detail17trampoline_kernelINS0_14default_configENS1_38merge_sort_block_merge_config_selectorIaNS0_10empty_typeEEEZZNS1_27merge_sort_block_merge_implIS3_PaPS5_jNS1_19radix_merge_compareILb1ELb0EaNS0_19identity_decomposerEEEEE10hipError_tT0_T1_T2_jT3_P12ihipStream_tbPNSt15iterator_traitsISE_E10value_typeEPNSK_ISF_E10value_typeEPSG_NS1_7vsmem_tEENKUlT_SE_SF_SG_E_clIS8_S8_S9_S9_EESD_ST_SE_SF_SG_EUlST_E1_NS1_11comp_targetILNS1_3genE2ELNS1_11target_archE906ELNS1_3gpuE6ELNS1_3repE0EEENS1_36merge_oddeven_config_static_selectorELNS0_4arch9wavefront6targetE0EEEvSF_,"axG",@progbits,_ZN7rocprim17ROCPRIM_400000_NS6detail17trampoline_kernelINS0_14default_configENS1_38merge_sort_block_merge_config_selectorIaNS0_10empty_typeEEEZZNS1_27merge_sort_block_merge_implIS3_PaPS5_jNS1_19radix_merge_compareILb1ELb0EaNS0_19identity_decomposerEEEEE10hipError_tT0_T1_T2_jT3_P12ihipStream_tbPNSt15iterator_traitsISE_E10value_typeEPNSK_ISF_E10value_typeEPSG_NS1_7vsmem_tEENKUlT_SE_SF_SG_E_clIS8_S8_S9_S9_EESD_ST_SE_SF_SG_EUlST_E1_NS1_11comp_targetILNS1_3genE2ELNS1_11target_archE906ELNS1_3gpuE6ELNS1_3repE0EEENS1_36merge_oddeven_config_static_selectorELNS0_4arch9wavefront6targetE0EEEvSF_,comdat
.Lfunc_end294:
	.size	_ZN7rocprim17ROCPRIM_400000_NS6detail17trampoline_kernelINS0_14default_configENS1_38merge_sort_block_merge_config_selectorIaNS0_10empty_typeEEEZZNS1_27merge_sort_block_merge_implIS3_PaPS5_jNS1_19radix_merge_compareILb1ELb0EaNS0_19identity_decomposerEEEEE10hipError_tT0_T1_T2_jT3_P12ihipStream_tbPNSt15iterator_traitsISE_E10value_typeEPNSK_ISF_E10value_typeEPSG_NS1_7vsmem_tEENKUlT_SE_SF_SG_E_clIS8_S8_S9_S9_EESD_ST_SE_SF_SG_EUlST_E1_NS1_11comp_targetILNS1_3genE2ELNS1_11target_archE906ELNS1_3gpuE6ELNS1_3repE0EEENS1_36merge_oddeven_config_static_selectorELNS0_4arch9wavefront6targetE0EEEvSF_, .Lfunc_end294-_ZN7rocprim17ROCPRIM_400000_NS6detail17trampoline_kernelINS0_14default_configENS1_38merge_sort_block_merge_config_selectorIaNS0_10empty_typeEEEZZNS1_27merge_sort_block_merge_implIS3_PaPS5_jNS1_19radix_merge_compareILb1ELb0EaNS0_19identity_decomposerEEEEE10hipError_tT0_T1_T2_jT3_P12ihipStream_tbPNSt15iterator_traitsISE_E10value_typeEPNSK_ISF_E10value_typeEPSG_NS1_7vsmem_tEENKUlT_SE_SF_SG_E_clIS8_S8_S9_S9_EESD_ST_SE_SF_SG_EUlST_E1_NS1_11comp_targetILNS1_3genE2ELNS1_11target_archE906ELNS1_3gpuE6ELNS1_3repE0EEENS1_36merge_oddeven_config_static_selectorELNS0_4arch9wavefront6targetE0EEEvSF_
                                        ; -- End function
	.set _ZN7rocprim17ROCPRIM_400000_NS6detail17trampoline_kernelINS0_14default_configENS1_38merge_sort_block_merge_config_selectorIaNS0_10empty_typeEEEZZNS1_27merge_sort_block_merge_implIS3_PaPS5_jNS1_19radix_merge_compareILb1ELb0EaNS0_19identity_decomposerEEEEE10hipError_tT0_T1_T2_jT3_P12ihipStream_tbPNSt15iterator_traitsISE_E10value_typeEPNSK_ISF_E10value_typeEPSG_NS1_7vsmem_tEENKUlT_SE_SF_SG_E_clIS8_S8_S9_S9_EESD_ST_SE_SF_SG_EUlST_E1_NS1_11comp_targetILNS1_3genE2ELNS1_11target_archE906ELNS1_3gpuE6ELNS1_3repE0EEENS1_36merge_oddeven_config_static_selectorELNS0_4arch9wavefront6targetE0EEEvSF_.num_vgpr, 0
	.set _ZN7rocprim17ROCPRIM_400000_NS6detail17trampoline_kernelINS0_14default_configENS1_38merge_sort_block_merge_config_selectorIaNS0_10empty_typeEEEZZNS1_27merge_sort_block_merge_implIS3_PaPS5_jNS1_19radix_merge_compareILb1ELb0EaNS0_19identity_decomposerEEEEE10hipError_tT0_T1_T2_jT3_P12ihipStream_tbPNSt15iterator_traitsISE_E10value_typeEPNSK_ISF_E10value_typeEPSG_NS1_7vsmem_tEENKUlT_SE_SF_SG_E_clIS8_S8_S9_S9_EESD_ST_SE_SF_SG_EUlST_E1_NS1_11comp_targetILNS1_3genE2ELNS1_11target_archE906ELNS1_3gpuE6ELNS1_3repE0EEENS1_36merge_oddeven_config_static_selectorELNS0_4arch9wavefront6targetE0EEEvSF_.num_agpr, 0
	.set _ZN7rocprim17ROCPRIM_400000_NS6detail17trampoline_kernelINS0_14default_configENS1_38merge_sort_block_merge_config_selectorIaNS0_10empty_typeEEEZZNS1_27merge_sort_block_merge_implIS3_PaPS5_jNS1_19radix_merge_compareILb1ELb0EaNS0_19identity_decomposerEEEEE10hipError_tT0_T1_T2_jT3_P12ihipStream_tbPNSt15iterator_traitsISE_E10value_typeEPNSK_ISF_E10value_typeEPSG_NS1_7vsmem_tEENKUlT_SE_SF_SG_E_clIS8_S8_S9_S9_EESD_ST_SE_SF_SG_EUlST_E1_NS1_11comp_targetILNS1_3genE2ELNS1_11target_archE906ELNS1_3gpuE6ELNS1_3repE0EEENS1_36merge_oddeven_config_static_selectorELNS0_4arch9wavefront6targetE0EEEvSF_.numbered_sgpr, 0
	.set _ZN7rocprim17ROCPRIM_400000_NS6detail17trampoline_kernelINS0_14default_configENS1_38merge_sort_block_merge_config_selectorIaNS0_10empty_typeEEEZZNS1_27merge_sort_block_merge_implIS3_PaPS5_jNS1_19radix_merge_compareILb1ELb0EaNS0_19identity_decomposerEEEEE10hipError_tT0_T1_T2_jT3_P12ihipStream_tbPNSt15iterator_traitsISE_E10value_typeEPNSK_ISF_E10value_typeEPSG_NS1_7vsmem_tEENKUlT_SE_SF_SG_E_clIS8_S8_S9_S9_EESD_ST_SE_SF_SG_EUlST_E1_NS1_11comp_targetILNS1_3genE2ELNS1_11target_archE906ELNS1_3gpuE6ELNS1_3repE0EEENS1_36merge_oddeven_config_static_selectorELNS0_4arch9wavefront6targetE0EEEvSF_.num_named_barrier, 0
	.set _ZN7rocprim17ROCPRIM_400000_NS6detail17trampoline_kernelINS0_14default_configENS1_38merge_sort_block_merge_config_selectorIaNS0_10empty_typeEEEZZNS1_27merge_sort_block_merge_implIS3_PaPS5_jNS1_19radix_merge_compareILb1ELb0EaNS0_19identity_decomposerEEEEE10hipError_tT0_T1_T2_jT3_P12ihipStream_tbPNSt15iterator_traitsISE_E10value_typeEPNSK_ISF_E10value_typeEPSG_NS1_7vsmem_tEENKUlT_SE_SF_SG_E_clIS8_S8_S9_S9_EESD_ST_SE_SF_SG_EUlST_E1_NS1_11comp_targetILNS1_3genE2ELNS1_11target_archE906ELNS1_3gpuE6ELNS1_3repE0EEENS1_36merge_oddeven_config_static_selectorELNS0_4arch9wavefront6targetE0EEEvSF_.private_seg_size, 0
	.set _ZN7rocprim17ROCPRIM_400000_NS6detail17trampoline_kernelINS0_14default_configENS1_38merge_sort_block_merge_config_selectorIaNS0_10empty_typeEEEZZNS1_27merge_sort_block_merge_implIS3_PaPS5_jNS1_19radix_merge_compareILb1ELb0EaNS0_19identity_decomposerEEEEE10hipError_tT0_T1_T2_jT3_P12ihipStream_tbPNSt15iterator_traitsISE_E10value_typeEPNSK_ISF_E10value_typeEPSG_NS1_7vsmem_tEENKUlT_SE_SF_SG_E_clIS8_S8_S9_S9_EESD_ST_SE_SF_SG_EUlST_E1_NS1_11comp_targetILNS1_3genE2ELNS1_11target_archE906ELNS1_3gpuE6ELNS1_3repE0EEENS1_36merge_oddeven_config_static_selectorELNS0_4arch9wavefront6targetE0EEEvSF_.uses_vcc, 0
	.set _ZN7rocprim17ROCPRIM_400000_NS6detail17trampoline_kernelINS0_14default_configENS1_38merge_sort_block_merge_config_selectorIaNS0_10empty_typeEEEZZNS1_27merge_sort_block_merge_implIS3_PaPS5_jNS1_19radix_merge_compareILb1ELb0EaNS0_19identity_decomposerEEEEE10hipError_tT0_T1_T2_jT3_P12ihipStream_tbPNSt15iterator_traitsISE_E10value_typeEPNSK_ISF_E10value_typeEPSG_NS1_7vsmem_tEENKUlT_SE_SF_SG_E_clIS8_S8_S9_S9_EESD_ST_SE_SF_SG_EUlST_E1_NS1_11comp_targetILNS1_3genE2ELNS1_11target_archE906ELNS1_3gpuE6ELNS1_3repE0EEENS1_36merge_oddeven_config_static_selectorELNS0_4arch9wavefront6targetE0EEEvSF_.uses_flat_scratch, 0
	.set _ZN7rocprim17ROCPRIM_400000_NS6detail17trampoline_kernelINS0_14default_configENS1_38merge_sort_block_merge_config_selectorIaNS0_10empty_typeEEEZZNS1_27merge_sort_block_merge_implIS3_PaPS5_jNS1_19radix_merge_compareILb1ELb0EaNS0_19identity_decomposerEEEEE10hipError_tT0_T1_T2_jT3_P12ihipStream_tbPNSt15iterator_traitsISE_E10value_typeEPNSK_ISF_E10value_typeEPSG_NS1_7vsmem_tEENKUlT_SE_SF_SG_E_clIS8_S8_S9_S9_EESD_ST_SE_SF_SG_EUlST_E1_NS1_11comp_targetILNS1_3genE2ELNS1_11target_archE906ELNS1_3gpuE6ELNS1_3repE0EEENS1_36merge_oddeven_config_static_selectorELNS0_4arch9wavefront6targetE0EEEvSF_.has_dyn_sized_stack, 0
	.set _ZN7rocprim17ROCPRIM_400000_NS6detail17trampoline_kernelINS0_14default_configENS1_38merge_sort_block_merge_config_selectorIaNS0_10empty_typeEEEZZNS1_27merge_sort_block_merge_implIS3_PaPS5_jNS1_19radix_merge_compareILb1ELb0EaNS0_19identity_decomposerEEEEE10hipError_tT0_T1_T2_jT3_P12ihipStream_tbPNSt15iterator_traitsISE_E10value_typeEPNSK_ISF_E10value_typeEPSG_NS1_7vsmem_tEENKUlT_SE_SF_SG_E_clIS8_S8_S9_S9_EESD_ST_SE_SF_SG_EUlST_E1_NS1_11comp_targetILNS1_3genE2ELNS1_11target_archE906ELNS1_3gpuE6ELNS1_3repE0EEENS1_36merge_oddeven_config_static_selectorELNS0_4arch9wavefront6targetE0EEEvSF_.has_recursion, 0
	.set _ZN7rocprim17ROCPRIM_400000_NS6detail17trampoline_kernelINS0_14default_configENS1_38merge_sort_block_merge_config_selectorIaNS0_10empty_typeEEEZZNS1_27merge_sort_block_merge_implIS3_PaPS5_jNS1_19radix_merge_compareILb1ELb0EaNS0_19identity_decomposerEEEEE10hipError_tT0_T1_T2_jT3_P12ihipStream_tbPNSt15iterator_traitsISE_E10value_typeEPNSK_ISF_E10value_typeEPSG_NS1_7vsmem_tEENKUlT_SE_SF_SG_E_clIS8_S8_S9_S9_EESD_ST_SE_SF_SG_EUlST_E1_NS1_11comp_targetILNS1_3genE2ELNS1_11target_archE906ELNS1_3gpuE6ELNS1_3repE0EEENS1_36merge_oddeven_config_static_selectorELNS0_4arch9wavefront6targetE0EEEvSF_.has_indirect_call, 0
	.section	.AMDGPU.csdata,"",@progbits
; Kernel info:
; codeLenInByte = 0
; TotalNumSgprs: 0
; NumVgprs: 0
; ScratchSize: 0
; MemoryBound: 0
; FloatMode: 240
; IeeeMode: 1
; LDSByteSize: 0 bytes/workgroup (compile time only)
; SGPRBlocks: 0
; VGPRBlocks: 0
; NumSGPRsForWavesPerEU: 1
; NumVGPRsForWavesPerEU: 1
; NamedBarCnt: 0
; Occupancy: 16
; WaveLimiterHint : 0
; COMPUTE_PGM_RSRC2:SCRATCH_EN: 0
; COMPUTE_PGM_RSRC2:USER_SGPR: 2
; COMPUTE_PGM_RSRC2:TRAP_HANDLER: 0
; COMPUTE_PGM_RSRC2:TGID_X_EN: 1
; COMPUTE_PGM_RSRC2:TGID_Y_EN: 0
; COMPUTE_PGM_RSRC2:TGID_Z_EN: 0
; COMPUTE_PGM_RSRC2:TIDIG_COMP_CNT: 0
	.section	.text._ZN7rocprim17ROCPRIM_400000_NS6detail17trampoline_kernelINS0_14default_configENS1_38merge_sort_block_merge_config_selectorIaNS0_10empty_typeEEEZZNS1_27merge_sort_block_merge_implIS3_PaPS5_jNS1_19radix_merge_compareILb1ELb0EaNS0_19identity_decomposerEEEEE10hipError_tT0_T1_T2_jT3_P12ihipStream_tbPNSt15iterator_traitsISE_E10value_typeEPNSK_ISF_E10value_typeEPSG_NS1_7vsmem_tEENKUlT_SE_SF_SG_E_clIS8_S8_S9_S9_EESD_ST_SE_SF_SG_EUlST_E1_NS1_11comp_targetILNS1_3genE9ELNS1_11target_archE1100ELNS1_3gpuE3ELNS1_3repE0EEENS1_36merge_oddeven_config_static_selectorELNS0_4arch9wavefront6targetE0EEEvSF_,"axG",@progbits,_ZN7rocprim17ROCPRIM_400000_NS6detail17trampoline_kernelINS0_14default_configENS1_38merge_sort_block_merge_config_selectorIaNS0_10empty_typeEEEZZNS1_27merge_sort_block_merge_implIS3_PaPS5_jNS1_19radix_merge_compareILb1ELb0EaNS0_19identity_decomposerEEEEE10hipError_tT0_T1_T2_jT3_P12ihipStream_tbPNSt15iterator_traitsISE_E10value_typeEPNSK_ISF_E10value_typeEPSG_NS1_7vsmem_tEENKUlT_SE_SF_SG_E_clIS8_S8_S9_S9_EESD_ST_SE_SF_SG_EUlST_E1_NS1_11comp_targetILNS1_3genE9ELNS1_11target_archE1100ELNS1_3gpuE3ELNS1_3repE0EEENS1_36merge_oddeven_config_static_selectorELNS0_4arch9wavefront6targetE0EEEvSF_,comdat
	.protected	_ZN7rocprim17ROCPRIM_400000_NS6detail17trampoline_kernelINS0_14default_configENS1_38merge_sort_block_merge_config_selectorIaNS0_10empty_typeEEEZZNS1_27merge_sort_block_merge_implIS3_PaPS5_jNS1_19radix_merge_compareILb1ELb0EaNS0_19identity_decomposerEEEEE10hipError_tT0_T1_T2_jT3_P12ihipStream_tbPNSt15iterator_traitsISE_E10value_typeEPNSK_ISF_E10value_typeEPSG_NS1_7vsmem_tEENKUlT_SE_SF_SG_E_clIS8_S8_S9_S9_EESD_ST_SE_SF_SG_EUlST_E1_NS1_11comp_targetILNS1_3genE9ELNS1_11target_archE1100ELNS1_3gpuE3ELNS1_3repE0EEENS1_36merge_oddeven_config_static_selectorELNS0_4arch9wavefront6targetE0EEEvSF_ ; -- Begin function _ZN7rocprim17ROCPRIM_400000_NS6detail17trampoline_kernelINS0_14default_configENS1_38merge_sort_block_merge_config_selectorIaNS0_10empty_typeEEEZZNS1_27merge_sort_block_merge_implIS3_PaPS5_jNS1_19radix_merge_compareILb1ELb0EaNS0_19identity_decomposerEEEEE10hipError_tT0_T1_T2_jT3_P12ihipStream_tbPNSt15iterator_traitsISE_E10value_typeEPNSK_ISF_E10value_typeEPSG_NS1_7vsmem_tEENKUlT_SE_SF_SG_E_clIS8_S8_S9_S9_EESD_ST_SE_SF_SG_EUlST_E1_NS1_11comp_targetILNS1_3genE9ELNS1_11target_archE1100ELNS1_3gpuE3ELNS1_3repE0EEENS1_36merge_oddeven_config_static_selectorELNS0_4arch9wavefront6targetE0EEEvSF_
	.globl	_ZN7rocprim17ROCPRIM_400000_NS6detail17trampoline_kernelINS0_14default_configENS1_38merge_sort_block_merge_config_selectorIaNS0_10empty_typeEEEZZNS1_27merge_sort_block_merge_implIS3_PaPS5_jNS1_19radix_merge_compareILb1ELb0EaNS0_19identity_decomposerEEEEE10hipError_tT0_T1_T2_jT3_P12ihipStream_tbPNSt15iterator_traitsISE_E10value_typeEPNSK_ISF_E10value_typeEPSG_NS1_7vsmem_tEENKUlT_SE_SF_SG_E_clIS8_S8_S9_S9_EESD_ST_SE_SF_SG_EUlST_E1_NS1_11comp_targetILNS1_3genE9ELNS1_11target_archE1100ELNS1_3gpuE3ELNS1_3repE0EEENS1_36merge_oddeven_config_static_selectorELNS0_4arch9wavefront6targetE0EEEvSF_
	.p2align	8
	.type	_ZN7rocprim17ROCPRIM_400000_NS6detail17trampoline_kernelINS0_14default_configENS1_38merge_sort_block_merge_config_selectorIaNS0_10empty_typeEEEZZNS1_27merge_sort_block_merge_implIS3_PaPS5_jNS1_19radix_merge_compareILb1ELb0EaNS0_19identity_decomposerEEEEE10hipError_tT0_T1_T2_jT3_P12ihipStream_tbPNSt15iterator_traitsISE_E10value_typeEPNSK_ISF_E10value_typeEPSG_NS1_7vsmem_tEENKUlT_SE_SF_SG_E_clIS8_S8_S9_S9_EESD_ST_SE_SF_SG_EUlST_E1_NS1_11comp_targetILNS1_3genE9ELNS1_11target_archE1100ELNS1_3gpuE3ELNS1_3repE0EEENS1_36merge_oddeven_config_static_selectorELNS0_4arch9wavefront6targetE0EEEvSF_,@function
_ZN7rocprim17ROCPRIM_400000_NS6detail17trampoline_kernelINS0_14default_configENS1_38merge_sort_block_merge_config_selectorIaNS0_10empty_typeEEEZZNS1_27merge_sort_block_merge_implIS3_PaPS5_jNS1_19radix_merge_compareILb1ELb0EaNS0_19identity_decomposerEEEEE10hipError_tT0_T1_T2_jT3_P12ihipStream_tbPNSt15iterator_traitsISE_E10value_typeEPNSK_ISF_E10value_typeEPSG_NS1_7vsmem_tEENKUlT_SE_SF_SG_E_clIS8_S8_S9_S9_EESD_ST_SE_SF_SG_EUlST_E1_NS1_11comp_targetILNS1_3genE9ELNS1_11target_archE1100ELNS1_3gpuE3ELNS1_3repE0EEENS1_36merge_oddeven_config_static_selectorELNS0_4arch9wavefront6targetE0EEEvSF_: ; @_ZN7rocprim17ROCPRIM_400000_NS6detail17trampoline_kernelINS0_14default_configENS1_38merge_sort_block_merge_config_selectorIaNS0_10empty_typeEEEZZNS1_27merge_sort_block_merge_implIS3_PaPS5_jNS1_19radix_merge_compareILb1ELb0EaNS0_19identity_decomposerEEEEE10hipError_tT0_T1_T2_jT3_P12ihipStream_tbPNSt15iterator_traitsISE_E10value_typeEPNSK_ISF_E10value_typeEPSG_NS1_7vsmem_tEENKUlT_SE_SF_SG_E_clIS8_S8_S9_S9_EESD_ST_SE_SF_SG_EUlST_E1_NS1_11comp_targetILNS1_3genE9ELNS1_11target_archE1100ELNS1_3gpuE3ELNS1_3repE0EEENS1_36merge_oddeven_config_static_selectorELNS0_4arch9wavefront6targetE0EEEvSF_
; %bb.0:
	.section	.rodata,"a",@progbits
	.p2align	6, 0x0
	.amdhsa_kernel _ZN7rocprim17ROCPRIM_400000_NS6detail17trampoline_kernelINS0_14default_configENS1_38merge_sort_block_merge_config_selectorIaNS0_10empty_typeEEEZZNS1_27merge_sort_block_merge_implIS3_PaPS5_jNS1_19radix_merge_compareILb1ELb0EaNS0_19identity_decomposerEEEEE10hipError_tT0_T1_T2_jT3_P12ihipStream_tbPNSt15iterator_traitsISE_E10value_typeEPNSK_ISF_E10value_typeEPSG_NS1_7vsmem_tEENKUlT_SE_SF_SG_E_clIS8_S8_S9_S9_EESD_ST_SE_SF_SG_EUlST_E1_NS1_11comp_targetILNS1_3genE9ELNS1_11target_archE1100ELNS1_3gpuE3ELNS1_3repE0EEENS1_36merge_oddeven_config_static_selectorELNS0_4arch9wavefront6targetE0EEEvSF_
		.amdhsa_group_segment_fixed_size 0
		.amdhsa_private_segment_fixed_size 0
		.amdhsa_kernarg_size 48
		.amdhsa_user_sgpr_count 2
		.amdhsa_user_sgpr_dispatch_ptr 0
		.amdhsa_user_sgpr_queue_ptr 0
		.amdhsa_user_sgpr_kernarg_segment_ptr 1
		.amdhsa_user_sgpr_dispatch_id 0
		.amdhsa_user_sgpr_kernarg_preload_length 0
		.amdhsa_user_sgpr_kernarg_preload_offset 0
		.amdhsa_user_sgpr_private_segment_size 0
		.amdhsa_wavefront_size32 1
		.amdhsa_uses_dynamic_stack 0
		.amdhsa_enable_private_segment 0
		.amdhsa_system_sgpr_workgroup_id_x 1
		.amdhsa_system_sgpr_workgroup_id_y 0
		.amdhsa_system_sgpr_workgroup_id_z 0
		.amdhsa_system_sgpr_workgroup_info 0
		.amdhsa_system_vgpr_workitem_id 0
		.amdhsa_next_free_vgpr 1
		.amdhsa_next_free_sgpr 1
		.amdhsa_named_barrier_count 0
		.amdhsa_reserve_vcc 0
		.amdhsa_float_round_mode_32 0
		.amdhsa_float_round_mode_16_64 0
		.amdhsa_float_denorm_mode_32 3
		.amdhsa_float_denorm_mode_16_64 3
		.amdhsa_fp16_overflow 0
		.amdhsa_memory_ordered 1
		.amdhsa_forward_progress 1
		.amdhsa_inst_pref_size 0
		.amdhsa_round_robin_scheduling 0
		.amdhsa_exception_fp_ieee_invalid_op 0
		.amdhsa_exception_fp_denorm_src 0
		.amdhsa_exception_fp_ieee_div_zero 0
		.amdhsa_exception_fp_ieee_overflow 0
		.amdhsa_exception_fp_ieee_underflow 0
		.amdhsa_exception_fp_ieee_inexact 0
		.amdhsa_exception_int_div_zero 0
	.end_amdhsa_kernel
	.section	.text._ZN7rocprim17ROCPRIM_400000_NS6detail17trampoline_kernelINS0_14default_configENS1_38merge_sort_block_merge_config_selectorIaNS0_10empty_typeEEEZZNS1_27merge_sort_block_merge_implIS3_PaPS5_jNS1_19radix_merge_compareILb1ELb0EaNS0_19identity_decomposerEEEEE10hipError_tT0_T1_T2_jT3_P12ihipStream_tbPNSt15iterator_traitsISE_E10value_typeEPNSK_ISF_E10value_typeEPSG_NS1_7vsmem_tEENKUlT_SE_SF_SG_E_clIS8_S8_S9_S9_EESD_ST_SE_SF_SG_EUlST_E1_NS1_11comp_targetILNS1_3genE9ELNS1_11target_archE1100ELNS1_3gpuE3ELNS1_3repE0EEENS1_36merge_oddeven_config_static_selectorELNS0_4arch9wavefront6targetE0EEEvSF_,"axG",@progbits,_ZN7rocprim17ROCPRIM_400000_NS6detail17trampoline_kernelINS0_14default_configENS1_38merge_sort_block_merge_config_selectorIaNS0_10empty_typeEEEZZNS1_27merge_sort_block_merge_implIS3_PaPS5_jNS1_19radix_merge_compareILb1ELb0EaNS0_19identity_decomposerEEEEE10hipError_tT0_T1_T2_jT3_P12ihipStream_tbPNSt15iterator_traitsISE_E10value_typeEPNSK_ISF_E10value_typeEPSG_NS1_7vsmem_tEENKUlT_SE_SF_SG_E_clIS8_S8_S9_S9_EESD_ST_SE_SF_SG_EUlST_E1_NS1_11comp_targetILNS1_3genE9ELNS1_11target_archE1100ELNS1_3gpuE3ELNS1_3repE0EEENS1_36merge_oddeven_config_static_selectorELNS0_4arch9wavefront6targetE0EEEvSF_,comdat
.Lfunc_end295:
	.size	_ZN7rocprim17ROCPRIM_400000_NS6detail17trampoline_kernelINS0_14default_configENS1_38merge_sort_block_merge_config_selectorIaNS0_10empty_typeEEEZZNS1_27merge_sort_block_merge_implIS3_PaPS5_jNS1_19radix_merge_compareILb1ELb0EaNS0_19identity_decomposerEEEEE10hipError_tT0_T1_T2_jT3_P12ihipStream_tbPNSt15iterator_traitsISE_E10value_typeEPNSK_ISF_E10value_typeEPSG_NS1_7vsmem_tEENKUlT_SE_SF_SG_E_clIS8_S8_S9_S9_EESD_ST_SE_SF_SG_EUlST_E1_NS1_11comp_targetILNS1_3genE9ELNS1_11target_archE1100ELNS1_3gpuE3ELNS1_3repE0EEENS1_36merge_oddeven_config_static_selectorELNS0_4arch9wavefront6targetE0EEEvSF_, .Lfunc_end295-_ZN7rocprim17ROCPRIM_400000_NS6detail17trampoline_kernelINS0_14default_configENS1_38merge_sort_block_merge_config_selectorIaNS0_10empty_typeEEEZZNS1_27merge_sort_block_merge_implIS3_PaPS5_jNS1_19radix_merge_compareILb1ELb0EaNS0_19identity_decomposerEEEEE10hipError_tT0_T1_T2_jT3_P12ihipStream_tbPNSt15iterator_traitsISE_E10value_typeEPNSK_ISF_E10value_typeEPSG_NS1_7vsmem_tEENKUlT_SE_SF_SG_E_clIS8_S8_S9_S9_EESD_ST_SE_SF_SG_EUlST_E1_NS1_11comp_targetILNS1_3genE9ELNS1_11target_archE1100ELNS1_3gpuE3ELNS1_3repE0EEENS1_36merge_oddeven_config_static_selectorELNS0_4arch9wavefront6targetE0EEEvSF_
                                        ; -- End function
	.set _ZN7rocprim17ROCPRIM_400000_NS6detail17trampoline_kernelINS0_14default_configENS1_38merge_sort_block_merge_config_selectorIaNS0_10empty_typeEEEZZNS1_27merge_sort_block_merge_implIS3_PaPS5_jNS1_19radix_merge_compareILb1ELb0EaNS0_19identity_decomposerEEEEE10hipError_tT0_T1_T2_jT3_P12ihipStream_tbPNSt15iterator_traitsISE_E10value_typeEPNSK_ISF_E10value_typeEPSG_NS1_7vsmem_tEENKUlT_SE_SF_SG_E_clIS8_S8_S9_S9_EESD_ST_SE_SF_SG_EUlST_E1_NS1_11comp_targetILNS1_3genE9ELNS1_11target_archE1100ELNS1_3gpuE3ELNS1_3repE0EEENS1_36merge_oddeven_config_static_selectorELNS0_4arch9wavefront6targetE0EEEvSF_.num_vgpr, 0
	.set _ZN7rocprim17ROCPRIM_400000_NS6detail17trampoline_kernelINS0_14default_configENS1_38merge_sort_block_merge_config_selectorIaNS0_10empty_typeEEEZZNS1_27merge_sort_block_merge_implIS3_PaPS5_jNS1_19radix_merge_compareILb1ELb0EaNS0_19identity_decomposerEEEEE10hipError_tT0_T1_T2_jT3_P12ihipStream_tbPNSt15iterator_traitsISE_E10value_typeEPNSK_ISF_E10value_typeEPSG_NS1_7vsmem_tEENKUlT_SE_SF_SG_E_clIS8_S8_S9_S9_EESD_ST_SE_SF_SG_EUlST_E1_NS1_11comp_targetILNS1_3genE9ELNS1_11target_archE1100ELNS1_3gpuE3ELNS1_3repE0EEENS1_36merge_oddeven_config_static_selectorELNS0_4arch9wavefront6targetE0EEEvSF_.num_agpr, 0
	.set _ZN7rocprim17ROCPRIM_400000_NS6detail17trampoline_kernelINS0_14default_configENS1_38merge_sort_block_merge_config_selectorIaNS0_10empty_typeEEEZZNS1_27merge_sort_block_merge_implIS3_PaPS5_jNS1_19radix_merge_compareILb1ELb0EaNS0_19identity_decomposerEEEEE10hipError_tT0_T1_T2_jT3_P12ihipStream_tbPNSt15iterator_traitsISE_E10value_typeEPNSK_ISF_E10value_typeEPSG_NS1_7vsmem_tEENKUlT_SE_SF_SG_E_clIS8_S8_S9_S9_EESD_ST_SE_SF_SG_EUlST_E1_NS1_11comp_targetILNS1_3genE9ELNS1_11target_archE1100ELNS1_3gpuE3ELNS1_3repE0EEENS1_36merge_oddeven_config_static_selectorELNS0_4arch9wavefront6targetE0EEEvSF_.numbered_sgpr, 0
	.set _ZN7rocprim17ROCPRIM_400000_NS6detail17trampoline_kernelINS0_14default_configENS1_38merge_sort_block_merge_config_selectorIaNS0_10empty_typeEEEZZNS1_27merge_sort_block_merge_implIS3_PaPS5_jNS1_19radix_merge_compareILb1ELb0EaNS0_19identity_decomposerEEEEE10hipError_tT0_T1_T2_jT3_P12ihipStream_tbPNSt15iterator_traitsISE_E10value_typeEPNSK_ISF_E10value_typeEPSG_NS1_7vsmem_tEENKUlT_SE_SF_SG_E_clIS8_S8_S9_S9_EESD_ST_SE_SF_SG_EUlST_E1_NS1_11comp_targetILNS1_3genE9ELNS1_11target_archE1100ELNS1_3gpuE3ELNS1_3repE0EEENS1_36merge_oddeven_config_static_selectorELNS0_4arch9wavefront6targetE0EEEvSF_.num_named_barrier, 0
	.set _ZN7rocprim17ROCPRIM_400000_NS6detail17trampoline_kernelINS0_14default_configENS1_38merge_sort_block_merge_config_selectorIaNS0_10empty_typeEEEZZNS1_27merge_sort_block_merge_implIS3_PaPS5_jNS1_19radix_merge_compareILb1ELb0EaNS0_19identity_decomposerEEEEE10hipError_tT0_T1_T2_jT3_P12ihipStream_tbPNSt15iterator_traitsISE_E10value_typeEPNSK_ISF_E10value_typeEPSG_NS1_7vsmem_tEENKUlT_SE_SF_SG_E_clIS8_S8_S9_S9_EESD_ST_SE_SF_SG_EUlST_E1_NS1_11comp_targetILNS1_3genE9ELNS1_11target_archE1100ELNS1_3gpuE3ELNS1_3repE0EEENS1_36merge_oddeven_config_static_selectorELNS0_4arch9wavefront6targetE0EEEvSF_.private_seg_size, 0
	.set _ZN7rocprim17ROCPRIM_400000_NS6detail17trampoline_kernelINS0_14default_configENS1_38merge_sort_block_merge_config_selectorIaNS0_10empty_typeEEEZZNS1_27merge_sort_block_merge_implIS3_PaPS5_jNS1_19radix_merge_compareILb1ELb0EaNS0_19identity_decomposerEEEEE10hipError_tT0_T1_T2_jT3_P12ihipStream_tbPNSt15iterator_traitsISE_E10value_typeEPNSK_ISF_E10value_typeEPSG_NS1_7vsmem_tEENKUlT_SE_SF_SG_E_clIS8_S8_S9_S9_EESD_ST_SE_SF_SG_EUlST_E1_NS1_11comp_targetILNS1_3genE9ELNS1_11target_archE1100ELNS1_3gpuE3ELNS1_3repE0EEENS1_36merge_oddeven_config_static_selectorELNS0_4arch9wavefront6targetE0EEEvSF_.uses_vcc, 0
	.set _ZN7rocprim17ROCPRIM_400000_NS6detail17trampoline_kernelINS0_14default_configENS1_38merge_sort_block_merge_config_selectorIaNS0_10empty_typeEEEZZNS1_27merge_sort_block_merge_implIS3_PaPS5_jNS1_19radix_merge_compareILb1ELb0EaNS0_19identity_decomposerEEEEE10hipError_tT0_T1_T2_jT3_P12ihipStream_tbPNSt15iterator_traitsISE_E10value_typeEPNSK_ISF_E10value_typeEPSG_NS1_7vsmem_tEENKUlT_SE_SF_SG_E_clIS8_S8_S9_S9_EESD_ST_SE_SF_SG_EUlST_E1_NS1_11comp_targetILNS1_3genE9ELNS1_11target_archE1100ELNS1_3gpuE3ELNS1_3repE0EEENS1_36merge_oddeven_config_static_selectorELNS0_4arch9wavefront6targetE0EEEvSF_.uses_flat_scratch, 0
	.set _ZN7rocprim17ROCPRIM_400000_NS6detail17trampoline_kernelINS0_14default_configENS1_38merge_sort_block_merge_config_selectorIaNS0_10empty_typeEEEZZNS1_27merge_sort_block_merge_implIS3_PaPS5_jNS1_19radix_merge_compareILb1ELb0EaNS0_19identity_decomposerEEEEE10hipError_tT0_T1_T2_jT3_P12ihipStream_tbPNSt15iterator_traitsISE_E10value_typeEPNSK_ISF_E10value_typeEPSG_NS1_7vsmem_tEENKUlT_SE_SF_SG_E_clIS8_S8_S9_S9_EESD_ST_SE_SF_SG_EUlST_E1_NS1_11comp_targetILNS1_3genE9ELNS1_11target_archE1100ELNS1_3gpuE3ELNS1_3repE0EEENS1_36merge_oddeven_config_static_selectorELNS0_4arch9wavefront6targetE0EEEvSF_.has_dyn_sized_stack, 0
	.set _ZN7rocprim17ROCPRIM_400000_NS6detail17trampoline_kernelINS0_14default_configENS1_38merge_sort_block_merge_config_selectorIaNS0_10empty_typeEEEZZNS1_27merge_sort_block_merge_implIS3_PaPS5_jNS1_19radix_merge_compareILb1ELb0EaNS0_19identity_decomposerEEEEE10hipError_tT0_T1_T2_jT3_P12ihipStream_tbPNSt15iterator_traitsISE_E10value_typeEPNSK_ISF_E10value_typeEPSG_NS1_7vsmem_tEENKUlT_SE_SF_SG_E_clIS8_S8_S9_S9_EESD_ST_SE_SF_SG_EUlST_E1_NS1_11comp_targetILNS1_3genE9ELNS1_11target_archE1100ELNS1_3gpuE3ELNS1_3repE0EEENS1_36merge_oddeven_config_static_selectorELNS0_4arch9wavefront6targetE0EEEvSF_.has_recursion, 0
	.set _ZN7rocprim17ROCPRIM_400000_NS6detail17trampoline_kernelINS0_14default_configENS1_38merge_sort_block_merge_config_selectorIaNS0_10empty_typeEEEZZNS1_27merge_sort_block_merge_implIS3_PaPS5_jNS1_19radix_merge_compareILb1ELb0EaNS0_19identity_decomposerEEEEE10hipError_tT0_T1_T2_jT3_P12ihipStream_tbPNSt15iterator_traitsISE_E10value_typeEPNSK_ISF_E10value_typeEPSG_NS1_7vsmem_tEENKUlT_SE_SF_SG_E_clIS8_S8_S9_S9_EESD_ST_SE_SF_SG_EUlST_E1_NS1_11comp_targetILNS1_3genE9ELNS1_11target_archE1100ELNS1_3gpuE3ELNS1_3repE0EEENS1_36merge_oddeven_config_static_selectorELNS0_4arch9wavefront6targetE0EEEvSF_.has_indirect_call, 0
	.section	.AMDGPU.csdata,"",@progbits
; Kernel info:
; codeLenInByte = 0
; TotalNumSgprs: 0
; NumVgprs: 0
; ScratchSize: 0
; MemoryBound: 0
; FloatMode: 240
; IeeeMode: 1
; LDSByteSize: 0 bytes/workgroup (compile time only)
; SGPRBlocks: 0
; VGPRBlocks: 0
; NumSGPRsForWavesPerEU: 1
; NumVGPRsForWavesPerEU: 1
; NamedBarCnt: 0
; Occupancy: 16
; WaveLimiterHint : 0
; COMPUTE_PGM_RSRC2:SCRATCH_EN: 0
; COMPUTE_PGM_RSRC2:USER_SGPR: 2
; COMPUTE_PGM_RSRC2:TRAP_HANDLER: 0
; COMPUTE_PGM_RSRC2:TGID_X_EN: 1
; COMPUTE_PGM_RSRC2:TGID_Y_EN: 0
; COMPUTE_PGM_RSRC2:TGID_Z_EN: 0
; COMPUTE_PGM_RSRC2:TIDIG_COMP_CNT: 0
	.section	.text._ZN7rocprim17ROCPRIM_400000_NS6detail17trampoline_kernelINS0_14default_configENS1_38merge_sort_block_merge_config_selectorIaNS0_10empty_typeEEEZZNS1_27merge_sort_block_merge_implIS3_PaPS5_jNS1_19radix_merge_compareILb1ELb0EaNS0_19identity_decomposerEEEEE10hipError_tT0_T1_T2_jT3_P12ihipStream_tbPNSt15iterator_traitsISE_E10value_typeEPNSK_ISF_E10value_typeEPSG_NS1_7vsmem_tEENKUlT_SE_SF_SG_E_clIS8_S8_S9_S9_EESD_ST_SE_SF_SG_EUlST_E1_NS1_11comp_targetILNS1_3genE8ELNS1_11target_archE1030ELNS1_3gpuE2ELNS1_3repE0EEENS1_36merge_oddeven_config_static_selectorELNS0_4arch9wavefront6targetE0EEEvSF_,"axG",@progbits,_ZN7rocprim17ROCPRIM_400000_NS6detail17trampoline_kernelINS0_14default_configENS1_38merge_sort_block_merge_config_selectorIaNS0_10empty_typeEEEZZNS1_27merge_sort_block_merge_implIS3_PaPS5_jNS1_19radix_merge_compareILb1ELb0EaNS0_19identity_decomposerEEEEE10hipError_tT0_T1_T2_jT3_P12ihipStream_tbPNSt15iterator_traitsISE_E10value_typeEPNSK_ISF_E10value_typeEPSG_NS1_7vsmem_tEENKUlT_SE_SF_SG_E_clIS8_S8_S9_S9_EESD_ST_SE_SF_SG_EUlST_E1_NS1_11comp_targetILNS1_3genE8ELNS1_11target_archE1030ELNS1_3gpuE2ELNS1_3repE0EEENS1_36merge_oddeven_config_static_selectorELNS0_4arch9wavefront6targetE0EEEvSF_,comdat
	.protected	_ZN7rocprim17ROCPRIM_400000_NS6detail17trampoline_kernelINS0_14default_configENS1_38merge_sort_block_merge_config_selectorIaNS0_10empty_typeEEEZZNS1_27merge_sort_block_merge_implIS3_PaPS5_jNS1_19radix_merge_compareILb1ELb0EaNS0_19identity_decomposerEEEEE10hipError_tT0_T1_T2_jT3_P12ihipStream_tbPNSt15iterator_traitsISE_E10value_typeEPNSK_ISF_E10value_typeEPSG_NS1_7vsmem_tEENKUlT_SE_SF_SG_E_clIS8_S8_S9_S9_EESD_ST_SE_SF_SG_EUlST_E1_NS1_11comp_targetILNS1_3genE8ELNS1_11target_archE1030ELNS1_3gpuE2ELNS1_3repE0EEENS1_36merge_oddeven_config_static_selectorELNS0_4arch9wavefront6targetE0EEEvSF_ ; -- Begin function _ZN7rocprim17ROCPRIM_400000_NS6detail17trampoline_kernelINS0_14default_configENS1_38merge_sort_block_merge_config_selectorIaNS0_10empty_typeEEEZZNS1_27merge_sort_block_merge_implIS3_PaPS5_jNS1_19radix_merge_compareILb1ELb0EaNS0_19identity_decomposerEEEEE10hipError_tT0_T1_T2_jT3_P12ihipStream_tbPNSt15iterator_traitsISE_E10value_typeEPNSK_ISF_E10value_typeEPSG_NS1_7vsmem_tEENKUlT_SE_SF_SG_E_clIS8_S8_S9_S9_EESD_ST_SE_SF_SG_EUlST_E1_NS1_11comp_targetILNS1_3genE8ELNS1_11target_archE1030ELNS1_3gpuE2ELNS1_3repE0EEENS1_36merge_oddeven_config_static_selectorELNS0_4arch9wavefront6targetE0EEEvSF_
	.globl	_ZN7rocprim17ROCPRIM_400000_NS6detail17trampoline_kernelINS0_14default_configENS1_38merge_sort_block_merge_config_selectorIaNS0_10empty_typeEEEZZNS1_27merge_sort_block_merge_implIS3_PaPS5_jNS1_19radix_merge_compareILb1ELb0EaNS0_19identity_decomposerEEEEE10hipError_tT0_T1_T2_jT3_P12ihipStream_tbPNSt15iterator_traitsISE_E10value_typeEPNSK_ISF_E10value_typeEPSG_NS1_7vsmem_tEENKUlT_SE_SF_SG_E_clIS8_S8_S9_S9_EESD_ST_SE_SF_SG_EUlST_E1_NS1_11comp_targetILNS1_3genE8ELNS1_11target_archE1030ELNS1_3gpuE2ELNS1_3repE0EEENS1_36merge_oddeven_config_static_selectorELNS0_4arch9wavefront6targetE0EEEvSF_
	.p2align	8
	.type	_ZN7rocprim17ROCPRIM_400000_NS6detail17trampoline_kernelINS0_14default_configENS1_38merge_sort_block_merge_config_selectorIaNS0_10empty_typeEEEZZNS1_27merge_sort_block_merge_implIS3_PaPS5_jNS1_19radix_merge_compareILb1ELb0EaNS0_19identity_decomposerEEEEE10hipError_tT0_T1_T2_jT3_P12ihipStream_tbPNSt15iterator_traitsISE_E10value_typeEPNSK_ISF_E10value_typeEPSG_NS1_7vsmem_tEENKUlT_SE_SF_SG_E_clIS8_S8_S9_S9_EESD_ST_SE_SF_SG_EUlST_E1_NS1_11comp_targetILNS1_3genE8ELNS1_11target_archE1030ELNS1_3gpuE2ELNS1_3repE0EEENS1_36merge_oddeven_config_static_selectorELNS0_4arch9wavefront6targetE0EEEvSF_,@function
_ZN7rocprim17ROCPRIM_400000_NS6detail17trampoline_kernelINS0_14default_configENS1_38merge_sort_block_merge_config_selectorIaNS0_10empty_typeEEEZZNS1_27merge_sort_block_merge_implIS3_PaPS5_jNS1_19radix_merge_compareILb1ELb0EaNS0_19identity_decomposerEEEEE10hipError_tT0_T1_T2_jT3_P12ihipStream_tbPNSt15iterator_traitsISE_E10value_typeEPNSK_ISF_E10value_typeEPSG_NS1_7vsmem_tEENKUlT_SE_SF_SG_E_clIS8_S8_S9_S9_EESD_ST_SE_SF_SG_EUlST_E1_NS1_11comp_targetILNS1_3genE8ELNS1_11target_archE1030ELNS1_3gpuE2ELNS1_3repE0EEENS1_36merge_oddeven_config_static_selectorELNS0_4arch9wavefront6targetE0EEEvSF_: ; @_ZN7rocprim17ROCPRIM_400000_NS6detail17trampoline_kernelINS0_14default_configENS1_38merge_sort_block_merge_config_selectorIaNS0_10empty_typeEEEZZNS1_27merge_sort_block_merge_implIS3_PaPS5_jNS1_19radix_merge_compareILb1ELb0EaNS0_19identity_decomposerEEEEE10hipError_tT0_T1_T2_jT3_P12ihipStream_tbPNSt15iterator_traitsISE_E10value_typeEPNSK_ISF_E10value_typeEPSG_NS1_7vsmem_tEENKUlT_SE_SF_SG_E_clIS8_S8_S9_S9_EESD_ST_SE_SF_SG_EUlST_E1_NS1_11comp_targetILNS1_3genE8ELNS1_11target_archE1030ELNS1_3gpuE2ELNS1_3repE0EEENS1_36merge_oddeven_config_static_selectorELNS0_4arch9wavefront6targetE0EEEvSF_
; %bb.0:
	.section	.rodata,"a",@progbits
	.p2align	6, 0x0
	.amdhsa_kernel _ZN7rocprim17ROCPRIM_400000_NS6detail17trampoline_kernelINS0_14default_configENS1_38merge_sort_block_merge_config_selectorIaNS0_10empty_typeEEEZZNS1_27merge_sort_block_merge_implIS3_PaPS5_jNS1_19radix_merge_compareILb1ELb0EaNS0_19identity_decomposerEEEEE10hipError_tT0_T1_T2_jT3_P12ihipStream_tbPNSt15iterator_traitsISE_E10value_typeEPNSK_ISF_E10value_typeEPSG_NS1_7vsmem_tEENKUlT_SE_SF_SG_E_clIS8_S8_S9_S9_EESD_ST_SE_SF_SG_EUlST_E1_NS1_11comp_targetILNS1_3genE8ELNS1_11target_archE1030ELNS1_3gpuE2ELNS1_3repE0EEENS1_36merge_oddeven_config_static_selectorELNS0_4arch9wavefront6targetE0EEEvSF_
		.amdhsa_group_segment_fixed_size 0
		.amdhsa_private_segment_fixed_size 0
		.amdhsa_kernarg_size 48
		.amdhsa_user_sgpr_count 2
		.amdhsa_user_sgpr_dispatch_ptr 0
		.amdhsa_user_sgpr_queue_ptr 0
		.amdhsa_user_sgpr_kernarg_segment_ptr 1
		.amdhsa_user_sgpr_dispatch_id 0
		.amdhsa_user_sgpr_kernarg_preload_length 0
		.amdhsa_user_sgpr_kernarg_preload_offset 0
		.amdhsa_user_sgpr_private_segment_size 0
		.amdhsa_wavefront_size32 1
		.amdhsa_uses_dynamic_stack 0
		.amdhsa_enable_private_segment 0
		.amdhsa_system_sgpr_workgroup_id_x 1
		.amdhsa_system_sgpr_workgroup_id_y 0
		.amdhsa_system_sgpr_workgroup_id_z 0
		.amdhsa_system_sgpr_workgroup_info 0
		.amdhsa_system_vgpr_workitem_id 0
		.amdhsa_next_free_vgpr 1
		.amdhsa_next_free_sgpr 1
		.amdhsa_named_barrier_count 0
		.amdhsa_reserve_vcc 0
		.amdhsa_float_round_mode_32 0
		.amdhsa_float_round_mode_16_64 0
		.amdhsa_float_denorm_mode_32 3
		.amdhsa_float_denorm_mode_16_64 3
		.amdhsa_fp16_overflow 0
		.amdhsa_memory_ordered 1
		.amdhsa_forward_progress 1
		.amdhsa_inst_pref_size 0
		.amdhsa_round_robin_scheduling 0
		.amdhsa_exception_fp_ieee_invalid_op 0
		.amdhsa_exception_fp_denorm_src 0
		.amdhsa_exception_fp_ieee_div_zero 0
		.amdhsa_exception_fp_ieee_overflow 0
		.amdhsa_exception_fp_ieee_underflow 0
		.amdhsa_exception_fp_ieee_inexact 0
		.amdhsa_exception_int_div_zero 0
	.end_amdhsa_kernel
	.section	.text._ZN7rocprim17ROCPRIM_400000_NS6detail17trampoline_kernelINS0_14default_configENS1_38merge_sort_block_merge_config_selectorIaNS0_10empty_typeEEEZZNS1_27merge_sort_block_merge_implIS3_PaPS5_jNS1_19radix_merge_compareILb1ELb0EaNS0_19identity_decomposerEEEEE10hipError_tT0_T1_T2_jT3_P12ihipStream_tbPNSt15iterator_traitsISE_E10value_typeEPNSK_ISF_E10value_typeEPSG_NS1_7vsmem_tEENKUlT_SE_SF_SG_E_clIS8_S8_S9_S9_EESD_ST_SE_SF_SG_EUlST_E1_NS1_11comp_targetILNS1_3genE8ELNS1_11target_archE1030ELNS1_3gpuE2ELNS1_3repE0EEENS1_36merge_oddeven_config_static_selectorELNS0_4arch9wavefront6targetE0EEEvSF_,"axG",@progbits,_ZN7rocprim17ROCPRIM_400000_NS6detail17trampoline_kernelINS0_14default_configENS1_38merge_sort_block_merge_config_selectorIaNS0_10empty_typeEEEZZNS1_27merge_sort_block_merge_implIS3_PaPS5_jNS1_19radix_merge_compareILb1ELb0EaNS0_19identity_decomposerEEEEE10hipError_tT0_T1_T2_jT3_P12ihipStream_tbPNSt15iterator_traitsISE_E10value_typeEPNSK_ISF_E10value_typeEPSG_NS1_7vsmem_tEENKUlT_SE_SF_SG_E_clIS8_S8_S9_S9_EESD_ST_SE_SF_SG_EUlST_E1_NS1_11comp_targetILNS1_3genE8ELNS1_11target_archE1030ELNS1_3gpuE2ELNS1_3repE0EEENS1_36merge_oddeven_config_static_selectorELNS0_4arch9wavefront6targetE0EEEvSF_,comdat
.Lfunc_end296:
	.size	_ZN7rocprim17ROCPRIM_400000_NS6detail17trampoline_kernelINS0_14default_configENS1_38merge_sort_block_merge_config_selectorIaNS0_10empty_typeEEEZZNS1_27merge_sort_block_merge_implIS3_PaPS5_jNS1_19radix_merge_compareILb1ELb0EaNS0_19identity_decomposerEEEEE10hipError_tT0_T1_T2_jT3_P12ihipStream_tbPNSt15iterator_traitsISE_E10value_typeEPNSK_ISF_E10value_typeEPSG_NS1_7vsmem_tEENKUlT_SE_SF_SG_E_clIS8_S8_S9_S9_EESD_ST_SE_SF_SG_EUlST_E1_NS1_11comp_targetILNS1_3genE8ELNS1_11target_archE1030ELNS1_3gpuE2ELNS1_3repE0EEENS1_36merge_oddeven_config_static_selectorELNS0_4arch9wavefront6targetE0EEEvSF_, .Lfunc_end296-_ZN7rocprim17ROCPRIM_400000_NS6detail17trampoline_kernelINS0_14default_configENS1_38merge_sort_block_merge_config_selectorIaNS0_10empty_typeEEEZZNS1_27merge_sort_block_merge_implIS3_PaPS5_jNS1_19radix_merge_compareILb1ELb0EaNS0_19identity_decomposerEEEEE10hipError_tT0_T1_T2_jT3_P12ihipStream_tbPNSt15iterator_traitsISE_E10value_typeEPNSK_ISF_E10value_typeEPSG_NS1_7vsmem_tEENKUlT_SE_SF_SG_E_clIS8_S8_S9_S9_EESD_ST_SE_SF_SG_EUlST_E1_NS1_11comp_targetILNS1_3genE8ELNS1_11target_archE1030ELNS1_3gpuE2ELNS1_3repE0EEENS1_36merge_oddeven_config_static_selectorELNS0_4arch9wavefront6targetE0EEEvSF_
                                        ; -- End function
	.set _ZN7rocprim17ROCPRIM_400000_NS6detail17trampoline_kernelINS0_14default_configENS1_38merge_sort_block_merge_config_selectorIaNS0_10empty_typeEEEZZNS1_27merge_sort_block_merge_implIS3_PaPS5_jNS1_19radix_merge_compareILb1ELb0EaNS0_19identity_decomposerEEEEE10hipError_tT0_T1_T2_jT3_P12ihipStream_tbPNSt15iterator_traitsISE_E10value_typeEPNSK_ISF_E10value_typeEPSG_NS1_7vsmem_tEENKUlT_SE_SF_SG_E_clIS8_S8_S9_S9_EESD_ST_SE_SF_SG_EUlST_E1_NS1_11comp_targetILNS1_3genE8ELNS1_11target_archE1030ELNS1_3gpuE2ELNS1_3repE0EEENS1_36merge_oddeven_config_static_selectorELNS0_4arch9wavefront6targetE0EEEvSF_.num_vgpr, 0
	.set _ZN7rocprim17ROCPRIM_400000_NS6detail17trampoline_kernelINS0_14default_configENS1_38merge_sort_block_merge_config_selectorIaNS0_10empty_typeEEEZZNS1_27merge_sort_block_merge_implIS3_PaPS5_jNS1_19radix_merge_compareILb1ELb0EaNS0_19identity_decomposerEEEEE10hipError_tT0_T1_T2_jT3_P12ihipStream_tbPNSt15iterator_traitsISE_E10value_typeEPNSK_ISF_E10value_typeEPSG_NS1_7vsmem_tEENKUlT_SE_SF_SG_E_clIS8_S8_S9_S9_EESD_ST_SE_SF_SG_EUlST_E1_NS1_11comp_targetILNS1_3genE8ELNS1_11target_archE1030ELNS1_3gpuE2ELNS1_3repE0EEENS1_36merge_oddeven_config_static_selectorELNS0_4arch9wavefront6targetE0EEEvSF_.num_agpr, 0
	.set _ZN7rocprim17ROCPRIM_400000_NS6detail17trampoline_kernelINS0_14default_configENS1_38merge_sort_block_merge_config_selectorIaNS0_10empty_typeEEEZZNS1_27merge_sort_block_merge_implIS3_PaPS5_jNS1_19radix_merge_compareILb1ELb0EaNS0_19identity_decomposerEEEEE10hipError_tT0_T1_T2_jT3_P12ihipStream_tbPNSt15iterator_traitsISE_E10value_typeEPNSK_ISF_E10value_typeEPSG_NS1_7vsmem_tEENKUlT_SE_SF_SG_E_clIS8_S8_S9_S9_EESD_ST_SE_SF_SG_EUlST_E1_NS1_11comp_targetILNS1_3genE8ELNS1_11target_archE1030ELNS1_3gpuE2ELNS1_3repE0EEENS1_36merge_oddeven_config_static_selectorELNS0_4arch9wavefront6targetE0EEEvSF_.numbered_sgpr, 0
	.set _ZN7rocprim17ROCPRIM_400000_NS6detail17trampoline_kernelINS0_14default_configENS1_38merge_sort_block_merge_config_selectorIaNS0_10empty_typeEEEZZNS1_27merge_sort_block_merge_implIS3_PaPS5_jNS1_19radix_merge_compareILb1ELb0EaNS0_19identity_decomposerEEEEE10hipError_tT0_T1_T2_jT3_P12ihipStream_tbPNSt15iterator_traitsISE_E10value_typeEPNSK_ISF_E10value_typeEPSG_NS1_7vsmem_tEENKUlT_SE_SF_SG_E_clIS8_S8_S9_S9_EESD_ST_SE_SF_SG_EUlST_E1_NS1_11comp_targetILNS1_3genE8ELNS1_11target_archE1030ELNS1_3gpuE2ELNS1_3repE0EEENS1_36merge_oddeven_config_static_selectorELNS0_4arch9wavefront6targetE0EEEvSF_.num_named_barrier, 0
	.set _ZN7rocprim17ROCPRIM_400000_NS6detail17trampoline_kernelINS0_14default_configENS1_38merge_sort_block_merge_config_selectorIaNS0_10empty_typeEEEZZNS1_27merge_sort_block_merge_implIS3_PaPS5_jNS1_19radix_merge_compareILb1ELb0EaNS0_19identity_decomposerEEEEE10hipError_tT0_T1_T2_jT3_P12ihipStream_tbPNSt15iterator_traitsISE_E10value_typeEPNSK_ISF_E10value_typeEPSG_NS1_7vsmem_tEENKUlT_SE_SF_SG_E_clIS8_S8_S9_S9_EESD_ST_SE_SF_SG_EUlST_E1_NS1_11comp_targetILNS1_3genE8ELNS1_11target_archE1030ELNS1_3gpuE2ELNS1_3repE0EEENS1_36merge_oddeven_config_static_selectorELNS0_4arch9wavefront6targetE0EEEvSF_.private_seg_size, 0
	.set _ZN7rocprim17ROCPRIM_400000_NS6detail17trampoline_kernelINS0_14default_configENS1_38merge_sort_block_merge_config_selectorIaNS0_10empty_typeEEEZZNS1_27merge_sort_block_merge_implIS3_PaPS5_jNS1_19radix_merge_compareILb1ELb0EaNS0_19identity_decomposerEEEEE10hipError_tT0_T1_T2_jT3_P12ihipStream_tbPNSt15iterator_traitsISE_E10value_typeEPNSK_ISF_E10value_typeEPSG_NS1_7vsmem_tEENKUlT_SE_SF_SG_E_clIS8_S8_S9_S9_EESD_ST_SE_SF_SG_EUlST_E1_NS1_11comp_targetILNS1_3genE8ELNS1_11target_archE1030ELNS1_3gpuE2ELNS1_3repE0EEENS1_36merge_oddeven_config_static_selectorELNS0_4arch9wavefront6targetE0EEEvSF_.uses_vcc, 0
	.set _ZN7rocprim17ROCPRIM_400000_NS6detail17trampoline_kernelINS0_14default_configENS1_38merge_sort_block_merge_config_selectorIaNS0_10empty_typeEEEZZNS1_27merge_sort_block_merge_implIS3_PaPS5_jNS1_19radix_merge_compareILb1ELb0EaNS0_19identity_decomposerEEEEE10hipError_tT0_T1_T2_jT3_P12ihipStream_tbPNSt15iterator_traitsISE_E10value_typeEPNSK_ISF_E10value_typeEPSG_NS1_7vsmem_tEENKUlT_SE_SF_SG_E_clIS8_S8_S9_S9_EESD_ST_SE_SF_SG_EUlST_E1_NS1_11comp_targetILNS1_3genE8ELNS1_11target_archE1030ELNS1_3gpuE2ELNS1_3repE0EEENS1_36merge_oddeven_config_static_selectorELNS0_4arch9wavefront6targetE0EEEvSF_.uses_flat_scratch, 0
	.set _ZN7rocprim17ROCPRIM_400000_NS6detail17trampoline_kernelINS0_14default_configENS1_38merge_sort_block_merge_config_selectorIaNS0_10empty_typeEEEZZNS1_27merge_sort_block_merge_implIS3_PaPS5_jNS1_19radix_merge_compareILb1ELb0EaNS0_19identity_decomposerEEEEE10hipError_tT0_T1_T2_jT3_P12ihipStream_tbPNSt15iterator_traitsISE_E10value_typeEPNSK_ISF_E10value_typeEPSG_NS1_7vsmem_tEENKUlT_SE_SF_SG_E_clIS8_S8_S9_S9_EESD_ST_SE_SF_SG_EUlST_E1_NS1_11comp_targetILNS1_3genE8ELNS1_11target_archE1030ELNS1_3gpuE2ELNS1_3repE0EEENS1_36merge_oddeven_config_static_selectorELNS0_4arch9wavefront6targetE0EEEvSF_.has_dyn_sized_stack, 0
	.set _ZN7rocprim17ROCPRIM_400000_NS6detail17trampoline_kernelINS0_14default_configENS1_38merge_sort_block_merge_config_selectorIaNS0_10empty_typeEEEZZNS1_27merge_sort_block_merge_implIS3_PaPS5_jNS1_19radix_merge_compareILb1ELb0EaNS0_19identity_decomposerEEEEE10hipError_tT0_T1_T2_jT3_P12ihipStream_tbPNSt15iterator_traitsISE_E10value_typeEPNSK_ISF_E10value_typeEPSG_NS1_7vsmem_tEENKUlT_SE_SF_SG_E_clIS8_S8_S9_S9_EESD_ST_SE_SF_SG_EUlST_E1_NS1_11comp_targetILNS1_3genE8ELNS1_11target_archE1030ELNS1_3gpuE2ELNS1_3repE0EEENS1_36merge_oddeven_config_static_selectorELNS0_4arch9wavefront6targetE0EEEvSF_.has_recursion, 0
	.set _ZN7rocprim17ROCPRIM_400000_NS6detail17trampoline_kernelINS0_14default_configENS1_38merge_sort_block_merge_config_selectorIaNS0_10empty_typeEEEZZNS1_27merge_sort_block_merge_implIS3_PaPS5_jNS1_19radix_merge_compareILb1ELb0EaNS0_19identity_decomposerEEEEE10hipError_tT0_T1_T2_jT3_P12ihipStream_tbPNSt15iterator_traitsISE_E10value_typeEPNSK_ISF_E10value_typeEPSG_NS1_7vsmem_tEENKUlT_SE_SF_SG_E_clIS8_S8_S9_S9_EESD_ST_SE_SF_SG_EUlST_E1_NS1_11comp_targetILNS1_3genE8ELNS1_11target_archE1030ELNS1_3gpuE2ELNS1_3repE0EEENS1_36merge_oddeven_config_static_selectorELNS0_4arch9wavefront6targetE0EEEvSF_.has_indirect_call, 0
	.section	.AMDGPU.csdata,"",@progbits
; Kernel info:
; codeLenInByte = 0
; TotalNumSgprs: 0
; NumVgprs: 0
; ScratchSize: 0
; MemoryBound: 0
; FloatMode: 240
; IeeeMode: 1
; LDSByteSize: 0 bytes/workgroup (compile time only)
; SGPRBlocks: 0
; VGPRBlocks: 0
; NumSGPRsForWavesPerEU: 1
; NumVGPRsForWavesPerEU: 1
; NamedBarCnt: 0
; Occupancy: 16
; WaveLimiterHint : 0
; COMPUTE_PGM_RSRC2:SCRATCH_EN: 0
; COMPUTE_PGM_RSRC2:USER_SGPR: 2
; COMPUTE_PGM_RSRC2:TRAP_HANDLER: 0
; COMPUTE_PGM_RSRC2:TGID_X_EN: 1
; COMPUTE_PGM_RSRC2:TGID_Y_EN: 0
; COMPUTE_PGM_RSRC2:TGID_Z_EN: 0
; COMPUTE_PGM_RSRC2:TIDIG_COMP_CNT: 0
	.section	.text._ZN7rocprim17ROCPRIM_400000_NS6detail17trampoline_kernelINS0_14default_configENS1_25transform_config_selectorIaLb1EEEZNS1_14transform_implILb1ES3_S5_PaS7_NS0_8identityIaEEEE10hipError_tT2_T3_mT4_P12ihipStream_tbEUlT_E_NS1_11comp_targetILNS1_3genE0ELNS1_11target_archE4294967295ELNS1_3gpuE0ELNS1_3repE0EEENS1_30default_config_static_selectorELNS0_4arch9wavefront6targetE0EEEvT1_,"axG",@progbits,_ZN7rocprim17ROCPRIM_400000_NS6detail17trampoline_kernelINS0_14default_configENS1_25transform_config_selectorIaLb1EEEZNS1_14transform_implILb1ES3_S5_PaS7_NS0_8identityIaEEEE10hipError_tT2_T3_mT4_P12ihipStream_tbEUlT_E_NS1_11comp_targetILNS1_3genE0ELNS1_11target_archE4294967295ELNS1_3gpuE0ELNS1_3repE0EEENS1_30default_config_static_selectorELNS0_4arch9wavefront6targetE0EEEvT1_,comdat
	.protected	_ZN7rocprim17ROCPRIM_400000_NS6detail17trampoline_kernelINS0_14default_configENS1_25transform_config_selectorIaLb1EEEZNS1_14transform_implILb1ES3_S5_PaS7_NS0_8identityIaEEEE10hipError_tT2_T3_mT4_P12ihipStream_tbEUlT_E_NS1_11comp_targetILNS1_3genE0ELNS1_11target_archE4294967295ELNS1_3gpuE0ELNS1_3repE0EEENS1_30default_config_static_selectorELNS0_4arch9wavefront6targetE0EEEvT1_ ; -- Begin function _ZN7rocprim17ROCPRIM_400000_NS6detail17trampoline_kernelINS0_14default_configENS1_25transform_config_selectorIaLb1EEEZNS1_14transform_implILb1ES3_S5_PaS7_NS0_8identityIaEEEE10hipError_tT2_T3_mT4_P12ihipStream_tbEUlT_E_NS1_11comp_targetILNS1_3genE0ELNS1_11target_archE4294967295ELNS1_3gpuE0ELNS1_3repE0EEENS1_30default_config_static_selectorELNS0_4arch9wavefront6targetE0EEEvT1_
	.globl	_ZN7rocprim17ROCPRIM_400000_NS6detail17trampoline_kernelINS0_14default_configENS1_25transform_config_selectorIaLb1EEEZNS1_14transform_implILb1ES3_S5_PaS7_NS0_8identityIaEEEE10hipError_tT2_T3_mT4_P12ihipStream_tbEUlT_E_NS1_11comp_targetILNS1_3genE0ELNS1_11target_archE4294967295ELNS1_3gpuE0ELNS1_3repE0EEENS1_30default_config_static_selectorELNS0_4arch9wavefront6targetE0EEEvT1_
	.p2align	8
	.type	_ZN7rocprim17ROCPRIM_400000_NS6detail17trampoline_kernelINS0_14default_configENS1_25transform_config_selectorIaLb1EEEZNS1_14transform_implILb1ES3_S5_PaS7_NS0_8identityIaEEEE10hipError_tT2_T3_mT4_P12ihipStream_tbEUlT_E_NS1_11comp_targetILNS1_3genE0ELNS1_11target_archE4294967295ELNS1_3gpuE0ELNS1_3repE0EEENS1_30default_config_static_selectorELNS0_4arch9wavefront6targetE0EEEvT1_,@function
_ZN7rocprim17ROCPRIM_400000_NS6detail17trampoline_kernelINS0_14default_configENS1_25transform_config_selectorIaLb1EEEZNS1_14transform_implILb1ES3_S5_PaS7_NS0_8identityIaEEEE10hipError_tT2_T3_mT4_P12ihipStream_tbEUlT_E_NS1_11comp_targetILNS1_3genE0ELNS1_11target_archE4294967295ELNS1_3gpuE0ELNS1_3repE0EEENS1_30default_config_static_selectorELNS0_4arch9wavefront6targetE0EEEvT1_: ; @_ZN7rocprim17ROCPRIM_400000_NS6detail17trampoline_kernelINS0_14default_configENS1_25transform_config_selectorIaLb1EEEZNS1_14transform_implILb1ES3_S5_PaS7_NS0_8identityIaEEEE10hipError_tT2_T3_mT4_P12ihipStream_tbEUlT_E_NS1_11comp_targetILNS1_3genE0ELNS1_11target_archE4294967295ELNS1_3gpuE0ELNS1_3repE0EEENS1_30default_config_static_selectorELNS0_4arch9wavefront6targetE0EEEvT1_
; %bb.0:
	s_clause 0x1
	s_load_b256 s[4:11], s[0:1], 0x0
	s_load_b32 s3, s[0:1], 0x28
	s_wait_xcnt 0x0
	s_bfe_u32 s0, ttmp6, 0x4000c
	s_and_b32 s1, ttmp6, 15
	s_add_co_i32 s0, s0, 1
	s_getreg_b32 s2, hwreg(HW_REG_IB_STS2, 6, 4)
	s_mul_i32 s0, ttmp9, s0
	s_delay_alu instid0(SALU_CYCLE_1)
	s_add_co_i32 s0, s1, s0
	s_cmp_eq_u32 s2, 0
	s_mov_b32 s1, 0
	s_wait_kmcnt 0x0
	s_cselect_b32 s9, ttmp9, s0
	s_mov_b32 s2, -1
	s_lshl_b32 s0, s9, 10
	s_add_nc_u64 s[4:5], s[4:5], s[6:7]
	s_add_nc_u64 s[6:7], s[10:11], s[6:7]
	s_add_co_i32 s3, s3, -1
	s_add_nc_u64 s[12:13], s[4:5], s[0:1]
	s_cmp_lg_u32 s9, s3
	s_add_nc_u64 s[10:11], s[6:7], s[0:1]
	s_cbranch_scc0 .LBB297_2
; %bb.1:
	global_load_b64 v[2:3], v0, s[12:13] scale_offset th:TH_LOAD_NT
	s_mov_b32 s2, 0
	s_wait_loadcnt 0x0
	global_store_b64 v0, v[2:3], s[10:11] scale_offset
.LBB297_2:
	s_and_not1_b32 vcc_lo, exec_lo, s2
	s_cbranch_vccnz .LBB297_33
; %bb.3:
	s_sub_co_i32 s7, s8, s0
	v_dual_mov_b32 v4, 0 :: v_dual_mov_b32 v5, 0
	v_cmp_gt_u32_e32 vcc_lo, s7, v0
	v_dual_mov_b32 v10, 0 :: v_dual_mov_b32 v6, 0
	v_dual_mov_b32 v7, 0 :: v_dual_mov_b32 v8, 0
	v_mov_b32_e32 v9, 0
	s_wait_xcnt 0x0
	s_and_saveexec_b32 s0, vcc_lo
	s_cbranch_execz .LBB297_5
; %bb.4:
	global_load_u8 v5, v0, s[12:13]
	v_dual_mov_b32 v10, 0 :: v_dual_mov_b32 v6, 0
	v_dual_mov_b32 v7, 0 :: v_dual_mov_b32 v8, 0
	v_mov_b32_e32 v9, 0
.LBB297_5:
	s_wait_xcnt 0x0
	s_or_b32 exec_lo, exec_lo, s0
	v_or_b32_e32 v1, 0x80, v0
	v_mov_b32_e32 v11, v4
	s_delay_alu instid0(VALU_DEP_2)
	v_cmp_gt_u32_e64 s0, s7, v1
	s_and_saveexec_b32 s1, s0
	s_cbranch_execz .LBB297_7
; %bb.6:
	global_load_u8 v11, v0, s[12:13] offset:128
.LBB297_7:
	s_wait_xcnt 0x0
	s_or_b32 exec_lo, exec_lo, s1
	v_or_b32_e32 v1, 0x100, v0
	s_delay_alu instid0(VALU_DEP_1)
	v_cmp_gt_u32_e64 s1, s7, v1
	s_and_saveexec_b32 s2, s1
	s_cbranch_execz .LBB297_9
; %bb.8:
	global_load_u8 v4, v0, s[12:13] offset:256
.LBB297_9:
	s_wait_xcnt 0x0
	s_or_b32 exec_lo, exec_lo, s2
	v_or_b32_e32 v1, 0x180, v0
	s_delay_alu instid0(VALU_DEP_1)
	;; [unrolled: 10-line block ×5, first 2 shown]
	v_cmp_gt_u32_e64 s5, s7, v1
	s_and_saveexec_b32 s6, s5
	s_cbranch_execz .LBB297_17
; %bb.16:
	global_load_u8 v8, v0, s[12:13] offset:768
.LBB297_17:
	s_wait_xcnt 0x0
	s_or_b32 exec_lo, exec_lo, s6
	v_or_b32_e32 v1, 0x380, v0
	s_delay_alu instid0(VALU_DEP_1) | instskip(SKIP_3) | instid1(SALU_CYCLE_1)
	v_cmp_gt_u32_e64 s6, s7, v1
	v_cmp_le_u32_e64 s7, s7, v1
	v_mov_b32_e32 v1, 0
	s_and_saveexec_b32 s8, s7
	s_xor_b32 s7, exec_lo, s8
	s_delay_alu instid0(SALU_CYCLE_1)
	s_and_not1_saveexec_b32 s7, s7
	s_cbranch_execz .LBB297_19
; %bb.18:
	v_add_nc_u64_e32 v[2:3], s[12:13], v[0:1]
	global_load_u8 v9, v[2:3], off offset:896
.LBB297_19:
	s_wait_xcnt 0x0
	s_or_b32 exec_lo, exec_lo, s7
	s_wait_loadcnt 0x0
	v_and_b32_e32 v2, 0xff, v5
	v_add_nc_u64_e32 v[0:1], s[10:11], v[0:1]
	s_delay_alu instid0(VALU_DEP_2) | instskip(NEXT) | instid1(VALU_DEP_1)
	v_and_b32_e32 v2, 0xffff, v2
	v_dual_mov_b32 v3, 0 :: v_dual_cndmask_b32 v2, 0, v2
	s_and_saveexec_b32 s7, vcc_lo
	s_cbranch_execz .LBB297_21
; %bb.20:
	global_store_b8 v[0:1], v2, off
.LBB297_21:
	s_wait_xcnt 0x0
	s_or_b32 exec_lo, exec_lo, s7
	v_perm_b32 v5, v5, v11, 0xc0c0004
	v_perm_b32 v4, v4, v10, 0xc0c0004
	s_delay_alu instid0(VALU_DEP_1) | instskip(NEXT) | instid1(VALU_DEP_1)
	v_lshl_or_b32 v10, v4, 16, v5
	v_cndmask_b32_e64 v4, v2, v10, s0
	s_delay_alu instid0(VALU_DEP_1)
	v_lshrrev_b32_e32 v11, 8, v4
	s_and_saveexec_b32 s7, s0
	s_cbranch_execz .LBB297_23
; %bb.22:
	global_store_b8 v[0:1], v11, off offset:128
.LBB297_23:
	s_wait_xcnt 0x0
	s_or_b32 exec_lo, exec_lo, s7
	v_bitop3_b16 v4, v2, v4, 0xff00 bitop3:0xf8
	s_delay_alu instid0(VALU_DEP_1) | instskip(SKIP_1) | instid1(VALU_DEP_2)
	v_and_b32_e32 v12, 0xffff, v4
	v_lshrrev_b64 v[4:5], 24, v[2:3]
	v_cndmask_b32_e64 v3, v12, v10, s1
	s_and_saveexec_b32 s0, s1
	s_cbranch_execz .LBB297_25
; %bb.24:
	global_store_d16_hi_b8 v[0:1], v3, off offset:256
.LBB297_25:
	s_wait_xcnt 0x0
	s_or_b32 exec_lo, exec_lo, s0
	v_lshlrev_b16 v5, 8, v11
	v_perm_b32 v3, v3, v4, 0xc0c0006
	v_perm_b32 v4, v6, v7, 0xc0c0004
	s_delay_alu instid0(VALU_DEP_3) | instskip(NEXT) | instid1(VALU_DEP_1)
	v_or_b32_e32 v2, v2, v5
	v_and_b32_e32 v2, 0xffff, v2
	s_delay_alu instid0(VALU_DEP_1) | instskip(SKIP_1) | instid1(VALU_DEP_2)
	v_lshl_or_b32 v2, v3, 16, v2
	v_perm_b32 v3, v8, v9, 0xc0c0004
	v_cndmask_b32_e64 v2, v2, v10, s2
	s_delay_alu instid0(VALU_DEP_2)
	v_lshl_or_b32 v3, v3, 16, v4
	s_and_saveexec_b32 s0, s2
	s_cbranch_execz .LBB297_27
; %bb.26:
	s_delay_alu instid0(VALU_DEP_2)
	v_lshrrev_b32_e32 v2, 24, v2
	global_store_b8 v[0:1], v2, off offset:384
.LBB297_27:
	s_wait_xcnt 0x0
	s_or_b32 exec_lo, exec_lo, s0
	v_cndmask_b32_e64 v2, 0, v3, s3
	s_and_saveexec_b32 s0, s3
	s_cbranch_execz .LBB297_29
; %bb.28:
	global_store_b8 v[0:1], v2, off offset:512
.LBB297_29:
	s_wait_xcnt 0x0
	s_or_b32 exec_lo, exec_lo, s0
	v_and_b32_e32 v4, 0xff, v2
	s_delay_alu instid0(VALU_DEP_1) | instskip(NEXT) | instid1(VALU_DEP_1)
	v_cndmask_b32_e64 v4, v4, v3, s4
	v_lshrrev_b32_e32 v4, 8, v4
	s_and_saveexec_b32 s0, s4
	s_cbranch_execnz .LBB297_34
; %bb.30:
	s_or_b32 exec_lo, exec_lo, s0
	s_delay_alu instid0(VALU_DEP_1)
	v_perm_b32 v2, v2, v4, 0xc0c0004
	s_and_saveexec_b32 s0, s5
	s_cbranch_execnz .LBB297_35
.LBB297_31:
	s_or_b32 exec_lo, exec_lo, s0
	s_and_saveexec_b32 s0, s6
	s_cbranch_execz .LBB297_33
.LBB297_32:
	v_cndmask_b32_e64 v2, v2, v3, s6
	s_delay_alu instid0(VALU_DEP_1)
	v_lshrrev_b32_e32 v2, 24, v2
	global_store_b8 v[0:1], v2, off offset:896
.LBB297_33:
	s_endpgm
.LBB297_34:
	global_store_b8 v[0:1], v4, off offset:640
	s_wait_xcnt 0x0
	s_or_b32 exec_lo, exec_lo, s0
	v_perm_b32 v2, v2, v4, 0xc0c0004
	s_and_saveexec_b32 s0, s5
	s_cbranch_execz .LBB297_31
.LBB297_35:
	s_delay_alu instid0(VALU_DEP_1)
	v_cndmask_b32_e64 v4, v2, v3, s5
	global_store_d16_hi_b8 v[0:1], v4, off offset:768
	s_wait_xcnt 0x0
	s_or_b32 exec_lo, exec_lo, s0
	s_and_saveexec_b32 s0, s6
	s_cbranch_execnz .LBB297_32
	s_branch .LBB297_33
	.section	.rodata,"a",@progbits
	.p2align	6, 0x0
	.amdhsa_kernel _ZN7rocprim17ROCPRIM_400000_NS6detail17trampoline_kernelINS0_14default_configENS1_25transform_config_selectorIaLb1EEEZNS1_14transform_implILb1ES3_S5_PaS7_NS0_8identityIaEEEE10hipError_tT2_T3_mT4_P12ihipStream_tbEUlT_E_NS1_11comp_targetILNS1_3genE0ELNS1_11target_archE4294967295ELNS1_3gpuE0ELNS1_3repE0EEENS1_30default_config_static_selectorELNS0_4arch9wavefront6targetE0EEEvT1_
		.amdhsa_group_segment_fixed_size 0
		.amdhsa_private_segment_fixed_size 0
		.amdhsa_kernarg_size 296
		.amdhsa_user_sgpr_count 2
		.amdhsa_user_sgpr_dispatch_ptr 0
		.amdhsa_user_sgpr_queue_ptr 0
		.amdhsa_user_sgpr_kernarg_segment_ptr 1
		.amdhsa_user_sgpr_dispatch_id 0
		.amdhsa_user_sgpr_kernarg_preload_length 0
		.amdhsa_user_sgpr_kernarg_preload_offset 0
		.amdhsa_user_sgpr_private_segment_size 0
		.amdhsa_wavefront_size32 1
		.amdhsa_uses_dynamic_stack 0
		.amdhsa_enable_private_segment 0
		.amdhsa_system_sgpr_workgroup_id_x 1
		.amdhsa_system_sgpr_workgroup_id_y 0
		.amdhsa_system_sgpr_workgroup_id_z 0
		.amdhsa_system_sgpr_workgroup_info 0
		.amdhsa_system_vgpr_workitem_id 0
		.amdhsa_next_free_vgpr 13
		.amdhsa_next_free_sgpr 14
		.amdhsa_named_barrier_count 0
		.amdhsa_reserve_vcc 1
		.amdhsa_float_round_mode_32 0
		.amdhsa_float_round_mode_16_64 0
		.amdhsa_float_denorm_mode_32 3
		.amdhsa_float_denorm_mode_16_64 3
		.amdhsa_fp16_overflow 0
		.amdhsa_memory_ordered 1
		.amdhsa_forward_progress 1
		.amdhsa_inst_pref_size 10
		.amdhsa_round_robin_scheduling 0
		.amdhsa_exception_fp_ieee_invalid_op 0
		.amdhsa_exception_fp_denorm_src 0
		.amdhsa_exception_fp_ieee_div_zero 0
		.amdhsa_exception_fp_ieee_overflow 0
		.amdhsa_exception_fp_ieee_underflow 0
		.amdhsa_exception_fp_ieee_inexact 0
		.amdhsa_exception_int_div_zero 0
	.end_amdhsa_kernel
	.section	.text._ZN7rocprim17ROCPRIM_400000_NS6detail17trampoline_kernelINS0_14default_configENS1_25transform_config_selectorIaLb1EEEZNS1_14transform_implILb1ES3_S5_PaS7_NS0_8identityIaEEEE10hipError_tT2_T3_mT4_P12ihipStream_tbEUlT_E_NS1_11comp_targetILNS1_3genE0ELNS1_11target_archE4294967295ELNS1_3gpuE0ELNS1_3repE0EEENS1_30default_config_static_selectorELNS0_4arch9wavefront6targetE0EEEvT1_,"axG",@progbits,_ZN7rocprim17ROCPRIM_400000_NS6detail17trampoline_kernelINS0_14default_configENS1_25transform_config_selectorIaLb1EEEZNS1_14transform_implILb1ES3_S5_PaS7_NS0_8identityIaEEEE10hipError_tT2_T3_mT4_P12ihipStream_tbEUlT_E_NS1_11comp_targetILNS1_3genE0ELNS1_11target_archE4294967295ELNS1_3gpuE0ELNS1_3repE0EEENS1_30default_config_static_selectorELNS0_4arch9wavefront6targetE0EEEvT1_,comdat
.Lfunc_end297:
	.size	_ZN7rocprim17ROCPRIM_400000_NS6detail17trampoline_kernelINS0_14default_configENS1_25transform_config_selectorIaLb1EEEZNS1_14transform_implILb1ES3_S5_PaS7_NS0_8identityIaEEEE10hipError_tT2_T3_mT4_P12ihipStream_tbEUlT_E_NS1_11comp_targetILNS1_3genE0ELNS1_11target_archE4294967295ELNS1_3gpuE0ELNS1_3repE0EEENS1_30default_config_static_selectorELNS0_4arch9wavefront6targetE0EEEvT1_, .Lfunc_end297-_ZN7rocprim17ROCPRIM_400000_NS6detail17trampoline_kernelINS0_14default_configENS1_25transform_config_selectorIaLb1EEEZNS1_14transform_implILb1ES3_S5_PaS7_NS0_8identityIaEEEE10hipError_tT2_T3_mT4_P12ihipStream_tbEUlT_E_NS1_11comp_targetILNS1_3genE0ELNS1_11target_archE4294967295ELNS1_3gpuE0ELNS1_3repE0EEENS1_30default_config_static_selectorELNS0_4arch9wavefront6targetE0EEEvT1_
                                        ; -- End function
	.set _ZN7rocprim17ROCPRIM_400000_NS6detail17trampoline_kernelINS0_14default_configENS1_25transform_config_selectorIaLb1EEEZNS1_14transform_implILb1ES3_S5_PaS7_NS0_8identityIaEEEE10hipError_tT2_T3_mT4_P12ihipStream_tbEUlT_E_NS1_11comp_targetILNS1_3genE0ELNS1_11target_archE4294967295ELNS1_3gpuE0ELNS1_3repE0EEENS1_30default_config_static_selectorELNS0_4arch9wavefront6targetE0EEEvT1_.num_vgpr, 13
	.set _ZN7rocprim17ROCPRIM_400000_NS6detail17trampoline_kernelINS0_14default_configENS1_25transform_config_selectorIaLb1EEEZNS1_14transform_implILb1ES3_S5_PaS7_NS0_8identityIaEEEE10hipError_tT2_T3_mT4_P12ihipStream_tbEUlT_E_NS1_11comp_targetILNS1_3genE0ELNS1_11target_archE4294967295ELNS1_3gpuE0ELNS1_3repE0EEENS1_30default_config_static_selectorELNS0_4arch9wavefront6targetE0EEEvT1_.num_agpr, 0
	.set _ZN7rocprim17ROCPRIM_400000_NS6detail17trampoline_kernelINS0_14default_configENS1_25transform_config_selectorIaLb1EEEZNS1_14transform_implILb1ES3_S5_PaS7_NS0_8identityIaEEEE10hipError_tT2_T3_mT4_P12ihipStream_tbEUlT_E_NS1_11comp_targetILNS1_3genE0ELNS1_11target_archE4294967295ELNS1_3gpuE0ELNS1_3repE0EEENS1_30default_config_static_selectorELNS0_4arch9wavefront6targetE0EEEvT1_.numbered_sgpr, 14
	.set _ZN7rocprim17ROCPRIM_400000_NS6detail17trampoline_kernelINS0_14default_configENS1_25transform_config_selectorIaLb1EEEZNS1_14transform_implILb1ES3_S5_PaS7_NS0_8identityIaEEEE10hipError_tT2_T3_mT4_P12ihipStream_tbEUlT_E_NS1_11comp_targetILNS1_3genE0ELNS1_11target_archE4294967295ELNS1_3gpuE0ELNS1_3repE0EEENS1_30default_config_static_selectorELNS0_4arch9wavefront6targetE0EEEvT1_.num_named_barrier, 0
	.set _ZN7rocprim17ROCPRIM_400000_NS6detail17trampoline_kernelINS0_14default_configENS1_25transform_config_selectorIaLb1EEEZNS1_14transform_implILb1ES3_S5_PaS7_NS0_8identityIaEEEE10hipError_tT2_T3_mT4_P12ihipStream_tbEUlT_E_NS1_11comp_targetILNS1_3genE0ELNS1_11target_archE4294967295ELNS1_3gpuE0ELNS1_3repE0EEENS1_30default_config_static_selectorELNS0_4arch9wavefront6targetE0EEEvT1_.private_seg_size, 0
	.set _ZN7rocprim17ROCPRIM_400000_NS6detail17trampoline_kernelINS0_14default_configENS1_25transform_config_selectorIaLb1EEEZNS1_14transform_implILb1ES3_S5_PaS7_NS0_8identityIaEEEE10hipError_tT2_T3_mT4_P12ihipStream_tbEUlT_E_NS1_11comp_targetILNS1_3genE0ELNS1_11target_archE4294967295ELNS1_3gpuE0ELNS1_3repE0EEENS1_30default_config_static_selectorELNS0_4arch9wavefront6targetE0EEEvT1_.uses_vcc, 1
	.set _ZN7rocprim17ROCPRIM_400000_NS6detail17trampoline_kernelINS0_14default_configENS1_25transform_config_selectorIaLb1EEEZNS1_14transform_implILb1ES3_S5_PaS7_NS0_8identityIaEEEE10hipError_tT2_T3_mT4_P12ihipStream_tbEUlT_E_NS1_11comp_targetILNS1_3genE0ELNS1_11target_archE4294967295ELNS1_3gpuE0ELNS1_3repE0EEENS1_30default_config_static_selectorELNS0_4arch9wavefront6targetE0EEEvT1_.uses_flat_scratch, 0
	.set _ZN7rocprim17ROCPRIM_400000_NS6detail17trampoline_kernelINS0_14default_configENS1_25transform_config_selectorIaLb1EEEZNS1_14transform_implILb1ES3_S5_PaS7_NS0_8identityIaEEEE10hipError_tT2_T3_mT4_P12ihipStream_tbEUlT_E_NS1_11comp_targetILNS1_3genE0ELNS1_11target_archE4294967295ELNS1_3gpuE0ELNS1_3repE0EEENS1_30default_config_static_selectorELNS0_4arch9wavefront6targetE0EEEvT1_.has_dyn_sized_stack, 0
	.set _ZN7rocprim17ROCPRIM_400000_NS6detail17trampoline_kernelINS0_14default_configENS1_25transform_config_selectorIaLb1EEEZNS1_14transform_implILb1ES3_S5_PaS7_NS0_8identityIaEEEE10hipError_tT2_T3_mT4_P12ihipStream_tbEUlT_E_NS1_11comp_targetILNS1_3genE0ELNS1_11target_archE4294967295ELNS1_3gpuE0ELNS1_3repE0EEENS1_30default_config_static_selectorELNS0_4arch9wavefront6targetE0EEEvT1_.has_recursion, 0
	.set _ZN7rocprim17ROCPRIM_400000_NS6detail17trampoline_kernelINS0_14default_configENS1_25transform_config_selectorIaLb1EEEZNS1_14transform_implILb1ES3_S5_PaS7_NS0_8identityIaEEEE10hipError_tT2_T3_mT4_P12ihipStream_tbEUlT_E_NS1_11comp_targetILNS1_3genE0ELNS1_11target_archE4294967295ELNS1_3gpuE0ELNS1_3repE0EEENS1_30default_config_static_selectorELNS0_4arch9wavefront6targetE0EEEvT1_.has_indirect_call, 0
	.section	.AMDGPU.csdata,"",@progbits
; Kernel info:
; codeLenInByte = 1176
; TotalNumSgprs: 16
; NumVgprs: 13
; ScratchSize: 0
; MemoryBound: 0
; FloatMode: 240
; IeeeMode: 1
; LDSByteSize: 0 bytes/workgroup (compile time only)
; SGPRBlocks: 0
; VGPRBlocks: 0
; NumSGPRsForWavesPerEU: 16
; NumVGPRsForWavesPerEU: 13
; NamedBarCnt: 0
; Occupancy: 16
; WaveLimiterHint : 0
; COMPUTE_PGM_RSRC2:SCRATCH_EN: 0
; COMPUTE_PGM_RSRC2:USER_SGPR: 2
; COMPUTE_PGM_RSRC2:TRAP_HANDLER: 0
; COMPUTE_PGM_RSRC2:TGID_X_EN: 1
; COMPUTE_PGM_RSRC2:TGID_Y_EN: 0
; COMPUTE_PGM_RSRC2:TGID_Z_EN: 0
; COMPUTE_PGM_RSRC2:TIDIG_COMP_CNT: 0
	.section	.text._ZN7rocprim17ROCPRIM_400000_NS6detail17trampoline_kernelINS0_14default_configENS1_25transform_config_selectorIaLb1EEEZNS1_14transform_implILb1ES3_S5_PaS7_NS0_8identityIaEEEE10hipError_tT2_T3_mT4_P12ihipStream_tbEUlT_E_NS1_11comp_targetILNS1_3genE10ELNS1_11target_archE1201ELNS1_3gpuE5ELNS1_3repE0EEENS1_30default_config_static_selectorELNS0_4arch9wavefront6targetE0EEEvT1_,"axG",@progbits,_ZN7rocprim17ROCPRIM_400000_NS6detail17trampoline_kernelINS0_14default_configENS1_25transform_config_selectorIaLb1EEEZNS1_14transform_implILb1ES3_S5_PaS7_NS0_8identityIaEEEE10hipError_tT2_T3_mT4_P12ihipStream_tbEUlT_E_NS1_11comp_targetILNS1_3genE10ELNS1_11target_archE1201ELNS1_3gpuE5ELNS1_3repE0EEENS1_30default_config_static_selectorELNS0_4arch9wavefront6targetE0EEEvT1_,comdat
	.protected	_ZN7rocprim17ROCPRIM_400000_NS6detail17trampoline_kernelINS0_14default_configENS1_25transform_config_selectorIaLb1EEEZNS1_14transform_implILb1ES3_S5_PaS7_NS0_8identityIaEEEE10hipError_tT2_T3_mT4_P12ihipStream_tbEUlT_E_NS1_11comp_targetILNS1_3genE10ELNS1_11target_archE1201ELNS1_3gpuE5ELNS1_3repE0EEENS1_30default_config_static_selectorELNS0_4arch9wavefront6targetE0EEEvT1_ ; -- Begin function _ZN7rocprim17ROCPRIM_400000_NS6detail17trampoline_kernelINS0_14default_configENS1_25transform_config_selectorIaLb1EEEZNS1_14transform_implILb1ES3_S5_PaS7_NS0_8identityIaEEEE10hipError_tT2_T3_mT4_P12ihipStream_tbEUlT_E_NS1_11comp_targetILNS1_3genE10ELNS1_11target_archE1201ELNS1_3gpuE5ELNS1_3repE0EEENS1_30default_config_static_selectorELNS0_4arch9wavefront6targetE0EEEvT1_
	.globl	_ZN7rocprim17ROCPRIM_400000_NS6detail17trampoline_kernelINS0_14default_configENS1_25transform_config_selectorIaLb1EEEZNS1_14transform_implILb1ES3_S5_PaS7_NS0_8identityIaEEEE10hipError_tT2_T3_mT4_P12ihipStream_tbEUlT_E_NS1_11comp_targetILNS1_3genE10ELNS1_11target_archE1201ELNS1_3gpuE5ELNS1_3repE0EEENS1_30default_config_static_selectorELNS0_4arch9wavefront6targetE0EEEvT1_
	.p2align	8
	.type	_ZN7rocprim17ROCPRIM_400000_NS6detail17trampoline_kernelINS0_14default_configENS1_25transform_config_selectorIaLb1EEEZNS1_14transform_implILb1ES3_S5_PaS7_NS0_8identityIaEEEE10hipError_tT2_T3_mT4_P12ihipStream_tbEUlT_E_NS1_11comp_targetILNS1_3genE10ELNS1_11target_archE1201ELNS1_3gpuE5ELNS1_3repE0EEENS1_30default_config_static_selectorELNS0_4arch9wavefront6targetE0EEEvT1_,@function
_ZN7rocprim17ROCPRIM_400000_NS6detail17trampoline_kernelINS0_14default_configENS1_25transform_config_selectorIaLb1EEEZNS1_14transform_implILb1ES3_S5_PaS7_NS0_8identityIaEEEE10hipError_tT2_T3_mT4_P12ihipStream_tbEUlT_E_NS1_11comp_targetILNS1_3genE10ELNS1_11target_archE1201ELNS1_3gpuE5ELNS1_3repE0EEENS1_30default_config_static_selectorELNS0_4arch9wavefront6targetE0EEEvT1_: ; @_ZN7rocprim17ROCPRIM_400000_NS6detail17trampoline_kernelINS0_14default_configENS1_25transform_config_selectorIaLb1EEEZNS1_14transform_implILb1ES3_S5_PaS7_NS0_8identityIaEEEE10hipError_tT2_T3_mT4_P12ihipStream_tbEUlT_E_NS1_11comp_targetILNS1_3genE10ELNS1_11target_archE1201ELNS1_3gpuE5ELNS1_3repE0EEENS1_30default_config_static_selectorELNS0_4arch9wavefront6targetE0EEEvT1_
; %bb.0:
	.section	.rodata,"a",@progbits
	.p2align	6, 0x0
	.amdhsa_kernel _ZN7rocprim17ROCPRIM_400000_NS6detail17trampoline_kernelINS0_14default_configENS1_25transform_config_selectorIaLb1EEEZNS1_14transform_implILb1ES3_S5_PaS7_NS0_8identityIaEEEE10hipError_tT2_T3_mT4_P12ihipStream_tbEUlT_E_NS1_11comp_targetILNS1_3genE10ELNS1_11target_archE1201ELNS1_3gpuE5ELNS1_3repE0EEENS1_30default_config_static_selectorELNS0_4arch9wavefront6targetE0EEEvT1_
		.amdhsa_group_segment_fixed_size 0
		.amdhsa_private_segment_fixed_size 0
		.amdhsa_kernarg_size 40
		.amdhsa_user_sgpr_count 2
		.amdhsa_user_sgpr_dispatch_ptr 0
		.amdhsa_user_sgpr_queue_ptr 0
		.amdhsa_user_sgpr_kernarg_segment_ptr 1
		.amdhsa_user_sgpr_dispatch_id 0
		.amdhsa_user_sgpr_kernarg_preload_length 0
		.amdhsa_user_sgpr_kernarg_preload_offset 0
		.amdhsa_user_sgpr_private_segment_size 0
		.amdhsa_wavefront_size32 1
		.amdhsa_uses_dynamic_stack 0
		.amdhsa_enable_private_segment 0
		.amdhsa_system_sgpr_workgroup_id_x 1
		.amdhsa_system_sgpr_workgroup_id_y 0
		.amdhsa_system_sgpr_workgroup_id_z 0
		.amdhsa_system_sgpr_workgroup_info 0
		.amdhsa_system_vgpr_workitem_id 0
		.amdhsa_next_free_vgpr 1
		.amdhsa_next_free_sgpr 1
		.amdhsa_named_barrier_count 0
		.amdhsa_reserve_vcc 0
		.amdhsa_float_round_mode_32 0
		.amdhsa_float_round_mode_16_64 0
		.amdhsa_float_denorm_mode_32 3
		.amdhsa_float_denorm_mode_16_64 3
		.amdhsa_fp16_overflow 0
		.amdhsa_memory_ordered 1
		.amdhsa_forward_progress 1
		.amdhsa_inst_pref_size 0
		.amdhsa_round_robin_scheduling 0
		.amdhsa_exception_fp_ieee_invalid_op 0
		.amdhsa_exception_fp_denorm_src 0
		.amdhsa_exception_fp_ieee_div_zero 0
		.amdhsa_exception_fp_ieee_overflow 0
		.amdhsa_exception_fp_ieee_underflow 0
		.amdhsa_exception_fp_ieee_inexact 0
		.amdhsa_exception_int_div_zero 0
	.end_amdhsa_kernel
	.section	.text._ZN7rocprim17ROCPRIM_400000_NS6detail17trampoline_kernelINS0_14default_configENS1_25transform_config_selectorIaLb1EEEZNS1_14transform_implILb1ES3_S5_PaS7_NS0_8identityIaEEEE10hipError_tT2_T3_mT4_P12ihipStream_tbEUlT_E_NS1_11comp_targetILNS1_3genE10ELNS1_11target_archE1201ELNS1_3gpuE5ELNS1_3repE0EEENS1_30default_config_static_selectorELNS0_4arch9wavefront6targetE0EEEvT1_,"axG",@progbits,_ZN7rocprim17ROCPRIM_400000_NS6detail17trampoline_kernelINS0_14default_configENS1_25transform_config_selectorIaLb1EEEZNS1_14transform_implILb1ES3_S5_PaS7_NS0_8identityIaEEEE10hipError_tT2_T3_mT4_P12ihipStream_tbEUlT_E_NS1_11comp_targetILNS1_3genE10ELNS1_11target_archE1201ELNS1_3gpuE5ELNS1_3repE0EEENS1_30default_config_static_selectorELNS0_4arch9wavefront6targetE0EEEvT1_,comdat
.Lfunc_end298:
	.size	_ZN7rocprim17ROCPRIM_400000_NS6detail17trampoline_kernelINS0_14default_configENS1_25transform_config_selectorIaLb1EEEZNS1_14transform_implILb1ES3_S5_PaS7_NS0_8identityIaEEEE10hipError_tT2_T3_mT4_P12ihipStream_tbEUlT_E_NS1_11comp_targetILNS1_3genE10ELNS1_11target_archE1201ELNS1_3gpuE5ELNS1_3repE0EEENS1_30default_config_static_selectorELNS0_4arch9wavefront6targetE0EEEvT1_, .Lfunc_end298-_ZN7rocprim17ROCPRIM_400000_NS6detail17trampoline_kernelINS0_14default_configENS1_25transform_config_selectorIaLb1EEEZNS1_14transform_implILb1ES3_S5_PaS7_NS0_8identityIaEEEE10hipError_tT2_T3_mT4_P12ihipStream_tbEUlT_E_NS1_11comp_targetILNS1_3genE10ELNS1_11target_archE1201ELNS1_3gpuE5ELNS1_3repE0EEENS1_30default_config_static_selectorELNS0_4arch9wavefront6targetE0EEEvT1_
                                        ; -- End function
	.set _ZN7rocprim17ROCPRIM_400000_NS6detail17trampoline_kernelINS0_14default_configENS1_25transform_config_selectorIaLb1EEEZNS1_14transform_implILb1ES3_S5_PaS7_NS0_8identityIaEEEE10hipError_tT2_T3_mT4_P12ihipStream_tbEUlT_E_NS1_11comp_targetILNS1_3genE10ELNS1_11target_archE1201ELNS1_3gpuE5ELNS1_3repE0EEENS1_30default_config_static_selectorELNS0_4arch9wavefront6targetE0EEEvT1_.num_vgpr, 0
	.set _ZN7rocprim17ROCPRIM_400000_NS6detail17trampoline_kernelINS0_14default_configENS1_25transform_config_selectorIaLb1EEEZNS1_14transform_implILb1ES3_S5_PaS7_NS0_8identityIaEEEE10hipError_tT2_T3_mT4_P12ihipStream_tbEUlT_E_NS1_11comp_targetILNS1_3genE10ELNS1_11target_archE1201ELNS1_3gpuE5ELNS1_3repE0EEENS1_30default_config_static_selectorELNS0_4arch9wavefront6targetE0EEEvT1_.num_agpr, 0
	.set _ZN7rocprim17ROCPRIM_400000_NS6detail17trampoline_kernelINS0_14default_configENS1_25transform_config_selectorIaLb1EEEZNS1_14transform_implILb1ES3_S5_PaS7_NS0_8identityIaEEEE10hipError_tT2_T3_mT4_P12ihipStream_tbEUlT_E_NS1_11comp_targetILNS1_3genE10ELNS1_11target_archE1201ELNS1_3gpuE5ELNS1_3repE0EEENS1_30default_config_static_selectorELNS0_4arch9wavefront6targetE0EEEvT1_.numbered_sgpr, 0
	.set _ZN7rocprim17ROCPRIM_400000_NS6detail17trampoline_kernelINS0_14default_configENS1_25transform_config_selectorIaLb1EEEZNS1_14transform_implILb1ES3_S5_PaS7_NS0_8identityIaEEEE10hipError_tT2_T3_mT4_P12ihipStream_tbEUlT_E_NS1_11comp_targetILNS1_3genE10ELNS1_11target_archE1201ELNS1_3gpuE5ELNS1_3repE0EEENS1_30default_config_static_selectorELNS0_4arch9wavefront6targetE0EEEvT1_.num_named_barrier, 0
	.set _ZN7rocprim17ROCPRIM_400000_NS6detail17trampoline_kernelINS0_14default_configENS1_25transform_config_selectorIaLb1EEEZNS1_14transform_implILb1ES3_S5_PaS7_NS0_8identityIaEEEE10hipError_tT2_T3_mT4_P12ihipStream_tbEUlT_E_NS1_11comp_targetILNS1_3genE10ELNS1_11target_archE1201ELNS1_3gpuE5ELNS1_3repE0EEENS1_30default_config_static_selectorELNS0_4arch9wavefront6targetE0EEEvT1_.private_seg_size, 0
	.set _ZN7rocprim17ROCPRIM_400000_NS6detail17trampoline_kernelINS0_14default_configENS1_25transform_config_selectorIaLb1EEEZNS1_14transform_implILb1ES3_S5_PaS7_NS0_8identityIaEEEE10hipError_tT2_T3_mT4_P12ihipStream_tbEUlT_E_NS1_11comp_targetILNS1_3genE10ELNS1_11target_archE1201ELNS1_3gpuE5ELNS1_3repE0EEENS1_30default_config_static_selectorELNS0_4arch9wavefront6targetE0EEEvT1_.uses_vcc, 0
	.set _ZN7rocprim17ROCPRIM_400000_NS6detail17trampoline_kernelINS0_14default_configENS1_25transform_config_selectorIaLb1EEEZNS1_14transform_implILb1ES3_S5_PaS7_NS0_8identityIaEEEE10hipError_tT2_T3_mT4_P12ihipStream_tbEUlT_E_NS1_11comp_targetILNS1_3genE10ELNS1_11target_archE1201ELNS1_3gpuE5ELNS1_3repE0EEENS1_30default_config_static_selectorELNS0_4arch9wavefront6targetE0EEEvT1_.uses_flat_scratch, 0
	.set _ZN7rocprim17ROCPRIM_400000_NS6detail17trampoline_kernelINS0_14default_configENS1_25transform_config_selectorIaLb1EEEZNS1_14transform_implILb1ES3_S5_PaS7_NS0_8identityIaEEEE10hipError_tT2_T3_mT4_P12ihipStream_tbEUlT_E_NS1_11comp_targetILNS1_3genE10ELNS1_11target_archE1201ELNS1_3gpuE5ELNS1_3repE0EEENS1_30default_config_static_selectorELNS0_4arch9wavefront6targetE0EEEvT1_.has_dyn_sized_stack, 0
	.set _ZN7rocprim17ROCPRIM_400000_NS6detail17trampoline_kernelINS0_14default_configENS1_25transform_config_selectorIaLb1EEEZNS1_14transform_implILb1ES3_S5_PaS7_NS0_8identityIaEEEE10hipError_tT2_T3_mT4_P12ihipStream_tbEUlT_E_NS1_11comp_targetILNS1_3genE10ELNS1_11target_archE1201ELNS1_3gpuE5ELNS1_3repE0EEENS1_30default_config_static_selectorELNS0_4arch9wavefront6targetE0EEEvT1_.has_recursion, 0
	.set _ZN7rocprim17ROCPRIM_400000_NS6detail17trampoline_kernelINS0_14default_configENS1_25transform_config_selectorIaLb1EEEZNS1_14transform_implILb1ES3_S5_PaS7_NS0_8identityIaEEEE10hipError_tT2_T3_mT4_P12ihipStream_tbEUlT_E_NS1_11comp_targetILNS1_3genE10ELNS1_11target_archE1201ELNS1_3gpuE5ELNS1_3repE0EEENS1_30default_config_static_selectorELNS0_4arch9wavefront6targetE0EEEvT1_.has_indirect_call, 0
	.section	.AMDGPU.csdata,"",@progbits
; Kernel info:
; codeLenInByte = 0
; TotalNumSgprs: 0
; NumVgprs: 0
; ScratchSize: 0
; MemoryBound: 0
; FloatMode: 240
; IeeeMode: 1
; LDSByteSize: 0 bytes/workgroup (compile time only)
; SGPRBlocks: 0
; VGPRBlocks: 0
; NumSGPRsForWavesPerEU: 1
; NumVGPRsForWavesPerEU: 1
; NamedBarCnt: 0
; Occupancy: 16
; WaveLimiterHint : 0
; COMPUTE_PGM_RSRC2:SCRATCH_EN: 0
; COMPUTE_PGM_RSRC2:USER_SGPR: 2
; COMPUTE_PGM_RSRC2:TRAP_HANDLER: 0
; COMPUTE_PGM_RSRC2:TGID_X_EN: 1
; COMPUTE_PGM_RSRC2:TGID_Y_EN: 0
; COMPUTE_PGM_RSRC2:TGID_Z_EN: 0
; COMPUTE_PGM_RSRC2:TIDIG_COMP_CNT: 0
	.section	.text._ZN7rocprim17ROCPRIM_400000_NS6detail17trampoline_kernelINS0_14default_configENS1_25transform_config_selectorIaLb1EEEZNS1_14transform_implILb1ES3_S5_PaS7_NS0_8identityIaEEEE10hipError_tT2_T3_mT4_P12ihipStream_tbEUlT_E_NS1_11comp_targetILNS1_3genE5ELNS1_11target_archE942ELNS1_3gpuE9ELNS1_3repE0EEENS1_30default_config_static_selectorELNS0_4arch9wavefront6targetE0EEEvT1_,"axG",@progbits,_ZN7rocprim17ROCPRIM_400000_NS6detail17trampoline_kernelINS0_14default_configENS1_25transform_config_selectorIaLb1EEEZNS1_14transform_implILb1ES3_S5_PaS7_NS0_8identityIaEEEE10hipError_tT2_T3_mT4_P12ihipStream_tbEUlT_E_NS1_11comp_targetILNS1_3genE5ELNS1_11target_archE942ELNS1_3gpuE9ELNS1_3repE0EEENS1_30default_config_static_selectorELNS0_4arch9wavefront6targetE0EEEvT1_,comdat
	.protected	_ZN7rocprim17ROCPRIM_400000_NS6detail17trampoline_kernelINS0_14default_configENS1_25transform_config_selectorIaLb1EEEZNS1_14transform_implILb1ES3_S5_PaS7_NS0_8identityIaEEEE10hipError_tT2_T3_mT4_P12ihipStream_tbEUlT_E_NS1_11comp_targetILNS1_3genE5ELNS1_11target_archE942ELNS1_3gpuE9ELNS1_3repE0EEENS1_30default_config_static_selectorELNS0_4arch9wavefront6targetE0EEEvT1_ ; -- Begin function _ZN7rocprim17ROCPRIM_400000_NS6detail17trampoline_kernelINS0_14default_configENS1_25transform_config_selectorIaLb1EEEZNS1_14transform_implILb1ES3_S5_PaS7_NS0_8identityIaEEEE10hipError_tT2_T3_mT4_P12ihipStream_tbEUlT_E_NS1_11comp_targetILNS1_3genE5ELNS1_11target_archE942ELNS1_3gpuE9ELNS1_3repE0EEENS1_30default_config_static_selectorELNS0_4arch9wavefront6targetE0EEEvT1_
	.globl	_ZN7rocprim17ROCPRIM_400000_NS6detail17trampoline_kernelINS0_14default_configENS1_25transform_config_selectorIaLb1EEEZNS1_14transform_implILb1ES3_S5_PaS7_NS0_8identityIaEEEE10hipError_tT2_T3_mT4_P12ihipStream_tbEUlT_E_NS1_11comp_targetILNS1_3genE5ELNS1_11target_archE942ELNS1_3gpuE9ELNS1_3repE0EEENS1_30default_config_static_selectorELNS0_4arch9wavefront6targetE0EEEvT1_
	.p2align	8
	.type	_ZN7rocprim17ROCPRIM_400000_NS6detail17trampoline_kernelINS0_14default_configENS1_25transform_config_selectorIaLb1EEEZNS1_14transform_implILb1ES3_S5_PaS7_NS0_8identityIaEEEE10hipError_tT2_T3_mT4_P12ihipStream_tbEUlT_E_NS1_11comp_targetILNS1_3genE5ELNS1_11target_archE942ELNS1_3gpuE9ELNS1_3repE0EEENS1_30default_config_static_selectorELNS0_4arch9wavefront6targetE0EEEvT1_,@function
_ZN7rocprim17ROCPRIM_400000_NS6detail17trampoline_kernelINS0_14default_configENS1_25transform_config_selectorIaLb1EEEZNS1_14transform_implILb1ES3_S5_PaS7_NS0_8identityIaEEEE10hipError_tT2_T3_mT4_P12ihipStream_tbEUlT_E_NS1_11comp_targetILNS1_3genE5ELNS1_11target_archE942ELNS1_3gpuE9ELNS1_3repE0EEENS1_30default_config_static_selectorELNS0_4arch9wavefront6targetE0EEEvT1_: ; @_ZN7rocprim17ROCPRIM_400000_NS6detail17trampoline_kernelINS0_14default_configENS1_25transform_config_selectorIaLb1EEEZNS1_14transform_implILb1ES3_S5_PaS7_NS0_8identityIaEEEE10hipError_tT2_T3_mT4_P12ihipStream_tbEUlT_E_NS1_11comp_targetILNS1_3genE5ELNS1_11target_archE942ELNS1_3gpuE9ELNS1_3repE0EEENS1_30default_config_static_selectorELNS0_4arch9wavefront6targetE0EEEvT1_
; %bb.0:
	.section	.rodata,"a",@progbits
	.p2align	6, 0x0
	.amdhsa_kernel _ZN7rocprim17ROCPRIM_400000_NS6detail17trampoline_kernelINS0_14default_configENS1_25transform_config_selectorIaLb1EEEZNS1_14transform_implILb1ES3_S5_PaS7_NS0_8identityIaEEEE10hipError_tT2_T3_mT4_P12ihipStream_tbEUlT_E_NS1_11comp_targetILNS1_3genE5ELNS1_11target_archE942ELNS1_3gpuE9ELNS1_3repE0EEENS1_30default_config_static_selectorELNS0_4arch9wavefront6targetE0EEEvT1_
		.amdhsa_group_segment_fixed_size 0
		.amdhsa_private_segment_fixed_size 0
		.amdhsa_kernarg_size 40
		.amdhsa_user_sgpr_count 2
		.amdhsa_user_sgpr_dispatch_ptr 0
		.amdhsa_user_sgpr_queue_ptr 0
		.amdhsa_user_sgpr_kernarg_segment_ptr 1
		.amdhsa_user_sgpr_dispatch_id 0
		.amdhsa_user_sgpr_kernarg_preload_length 0
		.amdhsa_user_sgpr_kernarg_preload_offset 0
		.amdhsa_user_sgpr_private_segment_size 0
		.amdhsa_wavefront_size32 1
		.amdhsa_uses_dynamic_stack 0
		.amdhsa_enable_private_segment 0
		.amdhsa_system_sgpr_workgroup_id_x 1
		.amdhsa_system_sgpr_workgroup_id_y 0
		.amdhsa_system_sgpr_workgroup_id_z 0
		.amdhsa_system_sgpr_workgroup_info 0
		.amdhsa_system_vgpr_workitem_id 0
		.amdhsa_next_free_vgpr 1
		.amdhsa_next_free_sgpr 1
		.amdhsa_named_barrier_count 0
		.amdhsa_reserve_vcc 0
		.amdhsa_float_round_mode_32 0
		.amdhsa_float_round_mode_16_64 0
		.amdhsa_float_denorm_mode_32 3
		.amdhsa_float_denorm_mode_16_64 3
		.amdhsa_fp16_overflow 0
		.amdhsa_memory_ordered 1
		.amdhsa_forward_progress 1
		.amdhsa_inst_pref_size 0
		.amdhsa_round_robin_scheduling 0
		.amdhsa_exception_fp_ieee_invalid_op 0
		.amdhsa_exception_fp_denorm_src 0
		.amdhsa_exception_fp_ieee_div_zero 0
		.amdhsa_exception_fp_ieee_overflow 0
		.amdhsa_exception_fp_ieee_underflow 0
		.amdhsa_exception_fp_ieee_inexact 0
		.amdhsa_exception_int_div_zero 0
	.end_amdhsa_kernel
	.section	.text._ZN7rocprim17ROCPRIM_400000_NS6detail17trampoline_kernelINS0_14default_configENS1_25transform_config_selectorIaLb1EEEZNS1_14transform_implILb1ES3_S5_PaS7_NS0_8identityIaEEEE10hipError_tT2_T3_mT4_P12ihipStream_tbEUlT_E_NS1_11comp_targetILNS1_3genE5ELNS1_11target_archE942ELNS1_3gpuE9ELNS1_3repE0EEENS1_30default_config_static_selectorELNS0_4arch9wavefront6targetE0EEEvT1_,"axG",@progbits,_ZN7rocprim17ROCPRIM_400000_NS6detail17trampoline_kernelINS0_14default_configENS1_25transform_config_selectorIaLb1EEEZNS1_14transform_implILb1ES3_S5_PaS7_NS0_8identityIaEEEE10hipError_tT2_T3_mT4_P12ihipStream_tbEUlT_E_NS1_11comp_targetILNS1_3genE5ELNS1_11target_archE942ELNS1_3gpuE9ELNS1_3repE0EEENS1_30default_config_static_selectorELNS0_4arch9wavefront6targetE0EEEvT1_,comdat
.Lfunc_end299:
	.size	_ZN7rocprim17ROCPRIM_400000_NS6detail17trampoline_kernelINS0_14default_configENS1_25transform_config_selectorIaLb1EEEZNS1_14transform_implILb1ES3_S5_PaS7_NS0_8identityIaEEEE10hipError_tT2_T3_mT4_P12ihipStream_tbEUlT_E_NS1_11comp_targetILNS1_3genE5ELNS1_11target_archE942ELNS1_3gpuE9ELNS1_3repE0EEENS1_30default_config_static_selectorELNS0_4arch9wavefront6targetE0EEEvT1_, .Lfunc_end299-_ZN7rocprim17ROCPRIM_400000_NS6detail17trampoline_kernelINS0_14default_configENS1_25transform_config_selectorIaLb1EEEZNS1_14transform_implILb1ES3_S5_PaS7_NS0_8identityIaEEEE10hipError_tT2_T3_mT4_P12ihipStream_tbEUlT_E_NS1_11comp_targetILNS1_3genE5ELNS1_11target_archE942ELNS1_3gpuE9ELNS1_3repE0EEENS1_30default_config_static_selectorELNS0_4arch9wavefront6targetE0EEEvT1_
                                        ; -- End function
	.set _ZN7rocprim17ROCPRIM_400000_NS6detail17trampoline_kernelINS0_14default_configENS1_25transform_config_selectorIaLb1EEEZNS1_14transform_implILb1ES3_S5_PaS7_NS0_8identityIaEEEE10hipError_tT2_T3_mT4_P12ihipStream_tbEUlT_E_NS1_11comp_targetILNS1_3genE5ELNS1_11target_archE942ELNS1_3gpuE9ELNS1_3repE0EEENS1_30default_config_static_selectorELNS0_4arch9wavefront6targetE0EEEvT1_.num_vgpr, 0
	.set _ZN7rocprim17ROCPRIM_400000_NS6detail17trampoline_kernelINS0_14default_configENS1_25transform_config_selectorIaLb1EEEZNS1_14transform_implILb1ES3_S5_PaS7_NS0_8identityIaEEEE10hipError_tT2_T3_mT4_P12ihipStream_tbEUlT_E_NS1_11comp_targetILNS1_3genE5ELNS1_11target_archE942ELNS1_3gpuE9ELNS1_3repE0EEENS1_30default_config_static_selectorELNS0_4arch9wavefront6targetE0EEEvT1_.num_agpr, 0
	.set _ZN7rocprim17ROCPRIM_400000_NS6detail17trampoline_kernelINS0_14default_configENS1_25transform_config_selectorIaLb1EEEZNS1_14transform_implILb1ES3_S5_PaS7_NS0_8identityIaEEEE10hipError_tT2_T3_mT4_P12ihipStream_tbEUlT_E_NS1_11comp_targetILNS1_3genE5ELNS1_11target_archE942ELNS1_3gpuE9ELNS1_3repE0EEENS1_30default_config_static_selectorELNS0_4arch9wavefront6targetE0EEEvT1_.numbered_sgpr, 0
	.set _ZN7rocprim17ROCPRIM_400000_NS6detail17trampoline_kernelINS0_14default_configENS1_25transform_config_selectorIaLb1EEEZNS1_14transform_implILb1ES3_S5_PaS7_NS0_8identityIaEEEE10hipError_tT2_T3_mT4_P12ihipStream_tbEUlT_E_NS1_11comp_targetILNS1_3genE5ELNS1_11target_archE942ELNS1_3gpuE9ELNS1_3repE0EEENS1_30default_config_static_selectorELNS0_4arch9wavefront6targetE0EEEvT1_.num_named_barrier, 0
	.set _ZN7rocprim17ROCPRIM_400000_NS6detail17trampoline_kernelINS0_14default_configENS1_25transform_config_selectorIaLb1EEEZNS1_14transform_implILb1ES3_S5_PaS7_NS0_8identityIaEEEE10hipError_tT2_T3_mT4_P12ihipStream_tbEUlT_E_NS1_11comp_targetILNS1_3genE5ELNS1_11target_archE942ELNS1_3gpuE9ELNS1_3repE0EEENS1_30default_config_static_selectorELNS0_4arch9wavefront6targetE0EEEvT1_.private_seg_size, 0
	.set _ZN7rocprim17ROCPRIM_400000_NS6detail17trampoline_kernelINS0_14default_configENS1_25transform_config_selectorIaLb1EEEZNS1_14transform_implILb1ES3_S5_PaS7_NS0_8identityIaEEEE10hipError_tT2_T3_mT4_P12ihipStream_tbEUlT_E_NS1_11comp_targetILNS1_3genE5ELNS1_11target_archE942ELNS1_3gpuE9ELNS1_3repE0EEENS1_30default_config_static_selectorELNS0_4arch9wavefront6targetE0EEEvT1_.uses_vcc, 0
	.set _ZN7rocprim17ROCPRIM_400000_NS6detail17trampoline_kernelINS0_14default_configENS1_25transform_config_selectorIaLb1EEEZNS1_14transform_implILb1ES3_S5_PaS7_NS0_8identityIaEEEE10hipError_tT2_T3_mT4_P12ihipStream_tbEUlT_E_NS1_11comp_targetILNS1_3genE5ELNS1_11target_archE942ELNS1_3gpuE9ELNS1_3repE0EEENS1_30default_config_static_selectorELNS0_4arch9wavefront6targetE0EEEvT1_.uses_flat_scratch, 0
	.set _ZN7rocprim17ROCPRIM_400000_NS6detail17trampoline_kernelINS0_14default_configENS1_25transform_config_selectorIaLb1EEEZNS1_14transform_implILb1ES3_S5_PaS7_NS0_8identityIaEEEE10hipError_tT2_T3_mT4_P12ihipStream_tbEUlT_E_NS1_11comp_targetILNS1_3genE5ELNS1_11target_archE942ELNS1_3gpuE9ELNS1_3repE0EEENS1_30default_config_static_selectorELNS0_4arch9wavefront6targetE0EEEvT1_.has_dyn_sized_stack, 0
	.set _ZN7rocprim17ROCPRIM_400000_NS6detail17trampoline_kernelINS0_14default_configENS1_25transform_config_selectorIaLb1EEEZNS1_14transform_implILb1ES3_S5_PaS7_NS0_8identityIaEEEE10hipError_tT2_T3_mT4_P12ihipStream_tbEUlT_E_NS1_11comp_targetILNS1_3genE5ELNS1_11target_archE942ELNS1_3gpuE9ELNS1_3repE0EEENS1_30default_config_static_selectorELNS0_4arch9wavefront6targetE0EEEvT1_.has_recursion, 0
	.set _ZN7rocprim17ROCPRIM_400000_NS6detail17trampoline_kernelINS0_14default_configENS1_25transform_config_selectorIaLb1EEEZNS1_14transform_implILb1ES3_S5_PaS7_NS0_8identityIaEEEE10hipError_tT2_T3_mT4_P12ihipStream_tbEUlT_E_NS1_11comp_targetILNS1_3genE5ELNS1_11target_archE942ELNS1_3gpuE9ELNS1_3repE0EEENS1_30default_config_static_selectorELNS0_4arch9wavefront6targetE0EEEvT1_.has_indirect_call, 0
	.section	.AMDGPU.csdata,"",@progbits
; Kernel info:
; codeLenInByte = 0
; TotalNumSgprs: 0
; NumVgprs: 0
; ScratchSize: 0
; MemoryBound: 0
; FloatMode: 240
; IeeeMode: 1
; LDSByteSize: 0 bytes/workgroup (compile time only)
; SGPRBlocks: 0
; VGPRBlocks: 0
; NumSGPRsForWavesPerEU: 1
; NumVGPRsForWavesPerEU: 1
; NamedBarCnt: 0
; Occupancy: 16
; WaveLimiterHint : 0
; COMPUTE_PGM_RSRC2:SCRATCH_EN: 0
; COMPUTE_PGM_RSRC2:USER_SGPR: 2
; COMPUTE_PGM_RSRC2:TRAP_HANDLER: 0
; COMPUTE_PGM_RSRC2:TGID_X_EN: 1
; COMPUTE_PGM_RSRC2:TGID_Y_EN: 0
; COMPUTE_PGM_RSRC2:TGID_Z_EN: 0
; COMPUTE_PGM_RSRC2:TIDIG_COMP_CNT: 0
	.section	.text._ZN7rocprim17ROCPRIM_400000_NS6detail17trampoline_kernelINS0_14default_configENS1_25transform_config_selectorIaLb1EEEZNS1_14transform_implILb1ES3_S5_PaS7_NS0_8identityIaEEEE10hipError_tT2_T3_mT4_P12ihipStream_tbEUlT_E_NS1_11comp_targetILNS1_3genE4ELNS1_11target_archE910ELNS1_3gpuE8ELNS1_3repE0EEENS1_30default_config_static_selectorELNS0_4arch9wavefront6targetE0EEEvT1_,"axG",@progbits,_ZN7rocprim17ROCPRIM_400000_NS6detail17trampoline_kernelINS0_14default_configENS1_25transform_config_selectorIaLb1EEEZNS1_14transform_implILb1ES3_S5_PaS7_NS0_8identityIaEEEE10hipError_tT2_T3_mT4_P12ihipStream_tbEUlT_E_NS1_11comp_targetILNS1_3genE4ELNS1_11target_archE910ELNS1_3gpuE8ELNS1_3repE0EEENS1_30default_config_static_selectorELNS0_4arch9wavefront6targetE0EEEvT1_,comdat
	.protected	_ZN7rocprim17ROCPRIM_400000_NS6detail17trampoline_kernelINS0_14default_configENS1_25transform_config_selectorIaLb1EEEZNS1_14transform_implILb1ES3_S5_PaS7_NS0_8identityIaEEEE10hipError_tT2_T3_mT4_P12ihipStream_tbEUlT_E_NS1_11comp_targetILNS1_3genE4ELNS1_11target_archE910ELNS1_3gpuE8ELNS1_3repE0EEENS1_30default_config_static_selectorELNS0_4arch9wavefront6targetE0EEEvT1_ ; -- Begin function _ZN7rocprim17ROCPRIM_400000_NS6detail17trampoline_kernelINS0_14default_configENS1_25transform_config_selectorIaLb1EEEZNS1_14transform_implILb1ES3_S5_PaS7_NS0_8identityIaEEEE10hipError_tT2_T3_mT4_P12ihipStream_tbEUlT_E_NS1_11comp_targetILNS1_3genE4ELNS1_11target_archE910ELNS1_3gpuE8ELNS1_3repE0EEENS1_30default_config_static_selectorELNS0_4arch9wavefront6targetE0EEEvT1_
	.globl	_ZN7rocprim17ROCPRIM_400000_NS6detail17trampoline_kernelINS0_14default_configENS1_25transform_config_selectorIaLb1EEEZNS1_14transform_implILb1ES3_S5_PaS7_NS0_8identityIaEEEE10hipError_tT2_T3_mT4_P12ihipStream_tbEUlT_E_NS1_11comp_targetILNS1_3genE4ELNS1_11target_archE910ELNS1_3gpuE8ELNS1_3repE0EEENS1_30default_config_static_selectorELNS0_4arch9wavefront6targetE0EEEvT1_
	.p2align	8
	.type	_ZN7rocprim17ROCPRIM_400000_NS6detail17trampoline_kernelINS0_14default_configENS1_25transform_config_selectorIaLb1EEEZNS1_14transform_implILb1ES3_S5_PaS7_NS0_8identityIaEEEE10hipError_tT2_T3_mT4_P12ihipStream_tbEUlT_E_NS1_11comp_targetILNS1_3genE4ELNS1_11target_archE910ELNS1_3gpuE8ELNS1_3repE0EEENS1_30default_config_static_selectorELNS0_4arch9wavefront6targetE0EEEvT1_,@function
_ZN7rocprim17ROCPRIM_400000_NS6detail17trampoline_kernelINS0_14default_configENS1_25transform_config_selectorIaLb1EEEZNS1_14transform_implILb1ES3_S5_PaS7_NS0_8identityIaEEEE10hipError_tT2_T3_mT4_P12ihipStream_tbEUlT_E_NS1_11comp_targetILNS1_3genE4ELNS1_11target_archE910ELNS1_3gpuE8ELNS1_3repE0EEENS1_30default_config_static_selectorELNS0_4arch9wavefront6targetE0EEEvT1_: ; @_ZN7rocprim17ROCPRIM_400000_NS6detail17trampoline_kernelINS0_14default_configENS1_25transform_config_selectorIaLb1EEEZNS1_14transform_implILb1ES3_S5_PaS7_NS0_8identityIaEEEE10hipError_tT2_T3_mT4_P12ihipStream_tbEUlT_E_NS1_11comp_targetILNS1_3genE4ELNS1_11target_archE910ELNS1_3gpuE8ELNS1_3repE0EEENS1_30default_config_static_selectorELNS0_4arch9wavefront6targetE0EEEvT1_
; %bb.0:
	.section	.rodata,"a",@progbits
	.p2align	6, 0x0
	.amdhsa_kernel _ZN7rocprim17ROCPRIM_400000_NS6detail17trampoline_kernelINS0_14default_configENS1_25transform_config_selectorIaLb1EEEZNS1_14transform_implILb1ES3_S5_PaS7_NS0_8identityIaEEEE10hipError_tT2_T3_mT4_P12ihipStream_tbEUlT_E_NS1_11comp_targetILNS1_3genE4ELNS1_11target_archE910ELNS1_3gpuE8ELNS1_3repE0EEENS1_30default_config_static_selectorELNS0_4arch9wavefront6targetE0EEEvT1_
		.amdhsa_group_segment_fixed_size 0
		.amdhsa_private_segment_fixed_size 0
		.amdhsa_kernarg_size 40
		.amdhsa_user_sgpr_count 2
		.amdhsa_user_sgpr_dispatch_ptr 0
		.amdhsa_user_sgpr_queue_ptr 0
		.amdhsa_user_sgpr_kernarg_segment_ptr 1
		.amdhsa_user_sgpr_dispatch_id 0
		.amdhsa_user_sgpr_kernarg_preload_length 0
		.amdhsa_user_sgpr_kernarg_preload_offset 0
		.amdhsa_user_sgpr_private_segment_size 0
		.amdhsa_wavefront_size32 1
		.amdhsa_uses_dynamic_stack 0
		.amdhsa_enable_private_segment 0
		.amdhsa_system_sgpr_workgroup_id_x 1
		.amdhsa_system_sgpr_workgroup_id_y 0
		.amdhsa_system_sgpr_workgroup_id_z 0
		.amdhsa_system_sgpr_workgroup_info 0
		.amdhsa_system_vgpr_workitem_id 0
		.amdhsa_next_free_vgpr 1
		.amdhsa_next_free_sgpr 1
		.amdhsa_named_barrier_count 0
		.amdhsa_reserve_vcc 0
		.amdhsa_float_round_mode_32 0
		.amdhsa_float_round_mode_16_64 0
		.amdhsa_float_denorm_mode_32 3
		.amdhsa_float_denorm_mode_16_64 3
		.amdhsa_fp16_overflow 0
		.amdhsa_memory_ordered 1
		.amdhsa_forward_progress 1
		.amdhsa_inst_pref_size 0
		.amdhsa_round_robin_scheduling 0
		.amdhsa_exception_fp_ieee_invalid_op 0
		.amdhsa_exception_fp_denorm_src 0
		.amdhsa_exception_fp_ieee_div_zero 0
		.amdhsa_exception_fp_ieee_overflow 0
		.amdhsa_exception_fp_ieee_underflow 0
		.amdhsa_exception_fp_ieee_inexact 0
		.amdhsa_exception_int_div_zero 0
	.end_amdhsa_kernel
	.section	.text._ZN7rocprim17ROCPRIM_400000_NS6detail17trampoline_kernelINS0_14default_configENS1_25transform_config_selectorIaLb1EEEZNS1_14transform_implILb1ES3_S5_PaS7_NS0_8identityIaEEEE10hipError_tT2_T3_mT4_P12ihipStream_tbEUlT_E_NS1_11comp_targetILNS1_3genE4ELNS1_11target_archE910ELNS1_3gpuE8ELNS1_3repE0EEENS1_30default_config_static_selectorELNS0_4arch9wavefront6targetE0EEEvT1_,"axG",@progbits,_ZN7rocprim17ROCPRIM_400000_NS6detail17trampoline_kernelINS0_14default_configENS1_25transform_config_selectorIaLb1EEEZNS1_14transform_implILb1ES3_S5_PaS7_NS0_8identityIaEEEE10hipError_tT2_T3_mT4_P12ihipStream_tbEUlT_E_NS1_11comp_targetILNS1_3genE4ELNS1_11target_archE910ELNS1_3gpuE8ELNS1_3repE0EEENS1_30default_config_static_selectorELNS0_4arch9wavefront6targetE0EEEvT1_,comdat
.Lfunc_end300:
	.size	_ZN7rocprim17ROCPRIM_400000_NS6detail17trampoline_kernelINS0_14default_configENS1_25transform_config_selectorIaLb1EEEZNS1_14transform_implILb1ES3_S5_PaS7_NS0_8identityIaEEEE10hipError_tT2_T3_mT4_P12ihipStream_tbEUlT_E_NS1_11comp_targetILNS1_3genE4ELNS1_11target_archE910ELNS1_3gpuE8ELNS1_3repE0EEENS1_30default_config_static_selectorELNS0_4arch9wavefront6targetE0EEEvT1_, .Lfunc_end300-_ZN7rocprim17ROCPRIM_400000_NS6detail17trampoline_kernelINS0_14default_configENS1_25transform_config_selectorIaLb1EEEZNS1_14transform_implILb1ES3_S5_PaS7_NS0_8identityIaEEEE10hipError_tT2_T3_mT4_P12ihipStream_tbEUlT_E_NS1_11comp_targetILNS1_3genE4ELNS1_11target_archE910ELNS1_3gpuE8ELNS1_3repE0EEENS1_30default_config_static_selectorELNS0_4arch9wavefront6targetE0EEEvT1_
                                        ; -- End function
	.set _ZN7rocprim17ROCPRIM_400000_NS6detail17trampoline_kernelINS0_14default_configENS1_25transform_config_selectorIaLb1EEEZNS1_14transform_implILb1ES3_S5_PaS7_NS0_8identityIaEEEE10hipError_tT2_T3_mT4_P12ihipStream_tbEUlT_E_NS1_11comp_targetILNS1_3genE4ELNS1_11target_archE910ELNS1_3gpuE8ELNS1_3repE0EEENS1_30default_config_static_selectorELNS0_4arch9wavefront6targetE0EEEvT1_.num_vgpr, 0
	.set _ZN7rocprim17ROCPRIM_400000_NS6detail17trampoline_kernelINS0_14default_configENS1_25transform_config_selectorIaLb1EEEZNS1_14transform_implILb1ES3_S5_PaS7_NS0_8identityIaEEEE10hipError_tT2_T3_mT4_P12ihipStream_tbEUlT_E_NS1_11comp_targetILNS1_3genE4ELNS1_11target_archE910ELNS1_3gpuE8ELNS1_3repE0EEENS1_30default_config_static_selectorELNS0_4arch9wavefront6targetE0EEEvT1_.num_agpr, 0
	.set _ZN7rocprim17ROCPRIM_400000_NS6detail17trampoline_kernelINS0_14default_configENS1_25transform_config_selectorIaLb1EEEZNS1_14transform_implILb1ES3_S5_PaS7_NS0_8identityIaEEEE10hipError_tT2_T3_mT4_P12ihipStream_tbEUlT_E_NS1_11comp_targetILNS1_3genE4ELNS1_11target_archE910ELNS1_3gpuE8ELNS1_3repE0EEENS1_30default_config_static_selectorELNS0_4arch9wavefront6targetE0EEEvT1_.numbered_sgpr, 0
	.set _ZN7rocprim17ROCPRIM_400000_NS6detail17trampoline_kernelINS0_14default_configENS1_25transform_config_selectorIaLb1EEEZNS1_14transform_implILb1ES3_S5_PaS7_NS0_8identityIaEEEE10hipError_tT2_T3_mT4_P12ihipStream_tbEUlT_E_NS1_11comp_targetILNS1_3genE4ELNS1_11target_archE910ELNS1_3gpuE8ELNS1_3repE0EEENS1_30default_config_static_selectorELNS0_4arch9wavefront6targetE0EEEvT1_.num_named_barrier, 0
	.set _ZN7rocprim17ROCPRIM_400000_NS6detail17trampoline_kernelINS0_14default_configENS1_25transform_config_selectorIaLb1EEEZNS1_14transform_implILb1ES3_S5_PaS7_NS0_8identityIaEEEE10hipError_tT2_T3_mT4_P12ihipStream_tbEUlT_E_NS1_11comp_targetILNS1_3genE4ELNS1_11target_archE910ELNS1_3gpuE8ELNS1_3repE0EEENS1_30default_config_static_selectorELNS0_4arch9wavefront6targetE0EEEvT1_.private_seg_size, 0
	.set _ZN7rocprim17ROCPRIM_400000_NS6detail17trampoline_kernelINS0_14default_configENS1_25transform_config_selectorIaLb1EEEZNS1_14transform_implILb1ES3_S5_PaS7_NS0_8identityIaEEEE10hipError_tT2_T3_mT4_P12ihipStream_tbEUlT_E_NS1_11comp_targetILNS1_3genE4ELNS1_11target_archE910ELNS1_3gpuE8ELNS1_3repE0EEENS1_30default_config_static_selectorELNS0_4arch9wavefront6targetE0EEEvT1_.uses_vcc, 0
	.set _ZN7rocprim17ROCPRIM_400000_NS6detail17trampoline_kernelINS0_14default_configENS1_25transform_config_selectorIaLb1EEEZNS1_14transform_implILb1ES3_S5_PaS7_NS0_8identityIaEEEE10hipError_tT2_T3_mT4_P12ihipStream_tbEUlT_E_NS1_11comp_targetILNS1_3genE4ELNS1_11target_archE910ELNS1_3gpuE8ELNS1_3repE0EEENS1_30default_config_static_selectorELNS0_4arch9wavefront6targetE0EEEvT1_.uses_flat_scratch, 0
	.set _ZN7rocprim17ROCPRIM_400000_NS6detail17trampoline_kernelINS0_14default_configENS1_25transform_config_selectorIaLb1EEEZNS1_14transform_implILb1ES3_S5_PaS7_NS0_8identityIaEEEE10hipError_tT2_T3_mT4_P12ihipStream_tbEUlT_E_NS1_11comp_targetILNS1_3genE4ELNS1_11target_archE910ELNS1_3gpuE8ELNS1_3repE0EEENS1_30default_config_static_selectorELNS0_4arch9wavefront6targetE0EEEvT1_.has_dyn_sized_stack, 0
	.set _ZN7rocprim17ROCPRIM_400000_NS6detail17trampoline_kernelINS0_14default_configENS1_25transform_config_selectorIaLb1EEEZNS1_14transform_implILb1ES3_S5_PaS7_NS0_8identityIaEEEE10hipError_tT2_T3_mT4_P12ihipStream_tbEUlT_E_NS1_11comp_targetILNS1_3genE4ELNS1_11target_archE910ELNS1_3gpuE8ELNS1_3repE0EEENS1_30default_config_static_selectorELNS0_4arch9wavefront6targetE0EEEvT1_.has_recursion, 0
	.set _ZN7rocprim17ROCPRIM_400000_NS6detail17trampoline_kernelINS0_14default_configENS1_25transform_config_selectorIaLb1EEEZNS1_14transform_implILb1ES3_S5_PaS7_NS0_8identityIaEEEE10hipError_tT2_T3_mT4_P12ihipStream_tbEUlT_E_NS1_11comp_targetILNS1_3genE4ELNS1_11target_archE910ELNS1_3gpuE8ELNS1_3repE0EEENS1_30default_config_static_selectorELNS0_4arch9wavefront6targetE0EEEvT1_.has_indirect_call, 0
	.section	.AMDGPU.csdata,"",@progbits
; Kernel info:
; codeLenInByte = 0
; TotalNumSgprs: 0
; NumVgprs: 0
; ScratchSize: 0
; MemoryBound: 0
; FloatMode: 240
; IeeeMode: 1
; LDSByteSize: 0 bytes/workgroup (compile time only)
; SGPRBlocks: 0
; VGPRBlocks: 0
; NumSGPRsForWavesPerEU: 1
; NumVGPRsForWavesPerEU: 1
; NamedBarCnt: 0
; Occupancy: 16
; WaveLimiterHint : 0
; COMPUTE_PGM_RSRC2:SCRATCH_EN: 0
; COMPUTE_PGM_RSRC2:USER_SGPR: 2
; COMPUTE_PGM_RSRC2:TRAP_HANDLER: 0
; COMPUTE_PGM_RSRC2:TGID_X_EN: 1
; COMPUTE_PGM_RSRC2:TGID_Y_EN: 0
; COMPUTE_PGM_RSRC2:TGID_Z_EN: 0
; COMPUTE_PGM_RSRC2:TIDIG_COMP_CNT: 0
	.section	.text._ZN7rocprim17ROCPRIM_400000_NS6detail17trampoline_kernelINS0_14default_configENS1_25transform_config_selectorIaLb1EEEZNS1_14transform_implILb1ES3_S5_PaS7_NS0_8identityIaEEEE10hipError_tT2_T3_mT4_P12ihipStream_tbEUlT_E_NS1_11comp_targetILNS1_3genE3ELNS1_11target_archE908ELNS1_3gpuE7ELNS1_3repE0EEENS1_30default_config_static_selectorELNS0_4arch9wavefront6targetE0EEEvT1_,"axG",@progbits,_ZN7rocprim17ROCPRIM_400000_NS6detail17trampoline_kernelINS0_14default_configENS1_25transform_config_selectorIaLb1EEEZNS1_14transform_implILb1ES3_S5_PaS7_NS0_8identityIaEEEE10hipError_tT2_T3_mT4_P12ihipStream_tbEUlT_E_NS1_11comp_targetILNS1_3genE3ELNS1_11target_archE908ELNS1_3gpuE7ELNS1_3repE0EEENS1_30default_config_static_selectorELNS0_4arch9wavefront6targetE0EEEvT1_,comdat
	.protected	_ZN7rocprim17ROCPRIM_400000_NS6detail17trampoline_kernelINS0_14default_configENS1_25transform_config_selectorIaLb1EEEZNS1_14transform_implILb1ES3_S5_PaS7_NS0_8identityIaEEEE10hipError_tT2_T3_mT4_P12ihipStream_tbEUlT_E_NS1_11comp_targetILNS1_3genE3ELNS1_11target_archE908ELNS1_3gpuE7ELNS1_3repE0EEENS1_30default_config_static_selectorELNS0_4arch9wavefront6targetE0EEEvT1_ ; -- Begin function _ZN7rocprim17ROCPRIM_400000_NS6detail17trampoline_kernelINS0_14default_configENS1_25transform_config_selectorIaLb1EEEZNS1_14transform_implILb1ES3_S5_PaS7_NS0_8identityIaEEEE10hipError_tT2_T3_mT4_P12ihipStream_tbEUlT_E_NS1_11comp_targetILNS1_3genE3ELNS1_11target_archE908ELNS1_3gpuE7ELNS1_3repE0EEENS1_30default_config_static_selectorELNS0_4arch9wavefront6targetE0EEEvT1_
	.globl	_ZN7rocprim17ROCPRIM_400000_NS6detail17trampoline_kernelINS0_14default_configENS1_25transform_config_selectorIaLb1EEEZNS1_14transform_implILb1ES3_S5_PaS7_NS0_8identityIaEEEE10hipError_tT2_T3_mT4_P12ihipStream_tbEUlT_E_NS1_11comp_targetILNS1_3genE3ELNS1_11target_archE908ELNS1_3gpuE7ELNS1_3repE0EEENS1_30default_config_static_selectorELNS0_4arch9wavefront6targetE0EEEvT1_
	.p2align	8
	.type	_ZN7rocprim17ROCPRIM_400000_NS6detail17trampoline_kernelINS0_14default_configENS1_25transform_config_selectorIaLb1EEEZNS1_14transform_implILb1ES3_S5_PaS7_NS0_8identityIaEEEE10hipError_tT2_T3_mT4_P12ihipStream_tbEUlT_E_NS1_11comp_targetILNS1_3genE3ELNS1_11target_archE908ELNS1_3gpuE7ELNS1_3repE0EEENS1_30default_config_static_selectorELNS0_4arch9wavefront6targetE0EEEvT1_,@function
_ZN7rocprim17ROCPRIM_400000_NS6detail17trampoline_kernelINS0_14default_configENS1_25transform_config_selectorIaLb1EEEZNS1_14transform_implILb1ES3_S5_PaS7_NS0_8identityIaEEEE10hipError_tT2_T3_mT4_P12ihipStream_tbEUlT_E_NS1_11comp_targetILNS1_3genE3ELNS1_11target_archE908ELNS1_3gpuE7ELNS1_3repE0EEENS1_30default_config_static_selectorELNS0_4arch9wavefront6targetE0EEEvT1_: ; @_ZN7rocprim17ROCPRIM_400000_NS6detail17trampoline_kernelINS0_14default_configENS1_25transform_config_selectorIaLb1EEEZNS1_14transform_implILb1ES3_S5_PaS7_NS0_8identityIaEEEE10hipError_tT2_T3_mT4_P12ihipStream_tbEUlT_E_NS1_11comp_targetILNS1_3genE3ELNS1_11target_archE908ELNS1_3gpuE7ELNS1_3repE0EEENS1_30default_config_static_selectorELNS0_4arch9wavefront6targetE0EEEvT1_
; %bb.0:
	.section	.rodata,"a",@progbits
	.p2align	6, 0x0
	.amdhsa_kernel _ZN7rocprim17ROCPRIM_400000_NS6detail17trampoline_kernelINS0_14default_configENS1_25transform_config_selectorIaLb1EEEZNS1_14transform_implILb1ES3_S5_PaS7_NS0_8identityIaEEEE10hipError_tT2_T3_mT4_P12ihipStream_tbEUlT_E_NS1_11comp_targetILNS1_3genE3ELNS1_11target_archE908ELNS1_3gpuE7ELNS1_3repE0EEENS1_30default_config_static_selectorELNS0_4arch9wavefront6targetE0EEEvT1_
		.amdhsa_group_segment_fixed_size 0
		.amdhsa_private_segment_fixed_size 0
		.amdhsa_kernarg_size 40
		.amdhsa_user_sgpr_count 2
		.amdhsa_user_sgpr_dispatch_ptr 0
		.amdhsa_user_sgpr_queue_ptr 0
		.amdhsa_user_sgpr_kernarg_segment_ptr 1
		.amdhsa_user_sgpr_dispatch_id 0
		.amdhsa_user_sgpr_kernarg_preload_length 0
		.amdhsa_user_sgpr_kernarg_preload_offset 0
		.amdhsa_user_sgpr_private_segment_size 0
		.amdhsa_wavefront_size32 1
		.amdhsa_uses_dynamic_stack 0
		.amdhsa_enable_private_segment 0
		.amdhsa_system_sgpr_workgroup_id_x 1
		.amdhsa_system_sgpr_workgroup_id_y 0
		.amdhsa_system_sgpr_workgroup_id_z 0
		.amdhsa_system_sgpr_workgroup_info 0
		.amdhsa_system_vgpr_workitem_id 0
		.amdhsa_next_free_vgpr 1
		.amdhsa_next_free_sgpr 1
		.amdhsa_named_barrier_count 0
		.amdhsa_reserve_vcc 0
		.amdhsa_float_round_mode_32 0
		.amdhsa_float_round_mode_16_64 0
		.amdhsa_float_denorm_mode_32 3
		.amdhsa_float_denorm_mode_16_64 3
		.amdhsa_fp16_overflow 0
		.amdhsa_memory_ordered 1
		.amdhsa_forward_progress 1
		.amdhsa_inst_pref_size 0
		.amdhsa_round_robin_scheduling 0
		.amdhsa_exception_fp_ieee_invalid_op 0
		.amdhsa_exception_fp_denorm_src 0
		.amdhsa_exception_fp_ieee_div_zero 0
		.amdhsa_exception_fp_ieee_overflow 0
		.amdhsa_exception_fp_ieee_underflow 0
		.amdhsa_exception_fp_ieee_inexact 0
		.amdhsa_exception_int_div_zero 0
	.end_amdhsa_kernel
	.section	.text._ZN7rocprim17ROCPRIM_400000_NS6detail17trampoline_kernelINS0_14default_configENS1_25transform_config_selectorIaLb1EEEZNS1_14transform_implILb1ES3_S5_PaS7_NS0_8identityIaEEEE10hipError_tT2_T3_mT4_P12ihipStream_tbEUlT_E_NS1_11comp_targetILNS1_3genE3ELNS1_11target_archE908ELNS1_3gpuE7ELNS1_3repE0EEENS1_30default_config_static_selectorELNS0_4arch9wavefront6targetE0EEEvT1_,"axG",@progbits,_ZN7rocprim17ROCPRIM_400000_NS6detail17trampoline_kernelINS0_14default_configENS1_25transform_config_selectorIaLb1EEEZNS1_14transform_implILb1ES3_S5_PaS7_NS0_8identityIaEEEE10hipError_tT2_T3_mT4_P12ihipStream_tbEUlT_E_NS1_11comp_targetILNS1_3genE3ELNS1_11target_archE908ELNS1_3gpuE7ELNS1_3repE0EEENS1_30default_config_static_selectorELNS0_4arch9wavefront6targetE0EEEvT1_,comdat
.Lfunc_end301:
	.size	_ZN7rocprim17ROCPRIM_400000_NS6detail17trampoline_kernelINS0_14default_configENS1_25transform_config_selectorIaLb1EEEZNS1_14transform_implILb1ES3_S5_PaS7_NS0_8identityIaEEEE10hipError_tT2_T3_mT4_P12ihipStream_tbEUlT_E_NS1_11comp_targetILNS1_3genE3ELNS1_11target_archE908ELNS1_3gpuE7ELNS1_3repE0EEENS1_30default_config_static_selectorELNS0_4arch9wavefront6targetE0EEEvT1_, .Lfunc_end301-_ZN7rocprim17ROCPRIM_400000_NS6detail17trampoline_kernelINS0_14default_configENS1_25transform_config_selectorIaLb1EEEZNS1_14transform_implILb1ES3_S5_PaS7_NS0_8identityIaEEEE10hipError_tT2_T3_mT4_P12ihipStream_tbEUlT_E_NS1_11comp_targetILNS1_3genE3ELNS1_11target_archE908ELNS1_3gpuE7ELNS1_3repE0EEENS1_30default_config_static_selectorELNS0_4arch9wavefront6targetE0EEEvT1_
                                        ; -- End function
	.set _ZN7rocprim17ROCPRIM_400000_NS6detail17trampoline_kernelINS0_14default_configENS1_25transform_config_selectorIaLb1EEEZNS1_14transform_implILb1ES3_S5_PaS7_NS0_8identityIaEEEE10hipError_tT2_T3_mT4_P12ihipStream_tbEUlT_E_NS1_11comp_targetILNS1_3genE3ELNS1_11target_archE908ELNS1_3gpuE7ELNS1_3repE0EEENS1_30default_config_static_selectorELNS0_4arch9wavefront6targetE0EEEvT1_.num_vgpr, 0
	.set _ZN7rocprim17ROCPRIM_400000_NS6detail17trampoline_kernelINS0_14default_configENS1_25transform_config_selectorIaLb1EEEZNS1_14transform_implILb1ES3_S5_PaS7_NS0_8identityIaEEEE10hipError_tT2_T3_mT4_P12ihipStream_tbEUlT_E_NS1_11comp_targetILNS1_3genE3ELNS1_11target_archE908ELNS1_3gpuE7ELNS1_3repE0EEENS1_30default_config_static_selectorELNS0_4arch9wavefront6targetE0EEEvT1_.num_agpr, 0
	.set _ZN7rocprim17ROCPRIM_400000_NS6detail17trampoline_kernelINS0_14default_configENS1_25transform_config_selectorIaLb1EEEZNS1_14transform_implILb1ES3_S5_PaS7_NS0_8identityIaEEEE10hipError_tT2_T3_mT4_P12ihipStream_tbEUlT_E_NS1_11comp_targetILNS1_3genE3ELNS1_11target_archE908ELNS1_3gpuE7ELNS1_3repE0EEENS1_30default_config_static_selectorELNS0_4arch9wavefront6targetE0EEEvT1_.numbered_sgpr, 0
	.set _ZN7rocprim17ROCPRIM_400000_NS6detail17trampoline_kernelINS0_14default_configENS1_25transform_config_selectorIaLb1EEEZNS1_14transform_implILb1ES3_S5_PaS7_NS0_8identityIaEEEE10hipError_tT2_T3_mT4_P12ihipStream_tbEUlT_E_NS1_11comp_targetILNS1_3genE3ELNS1_11target_archE908ELNS1_3gpuE7ELNS1_3repE0EEENS1_30default_config_static_selectorELNS0_4arch9wavefront6targetE0EEEvT1_.num_named_barrier, 0
	.set _ZN7rocprim17ROCPRIM_400000_NS6detail17trampoline_kernelINS0_14default_configENS1_25transform_config_selectorIaLb1EEEZNS1_14transform_implILb1ES3_S5_PaS7_NS0_8identityIaEEEE10hipError_tT2_T3_mT4_P12ihipStream_tbEUlT_E_NS1_11comp_targetILNS1_3genE3ELNS1_11target_archE908ELNS1_3gpuE7ELNS1_3repE0EEENS1_30default_config_static_selectorELNS0_4arch9wavefront6targetE0EEEvT1_.private_seg_size, 0
	.set _ZN7rocprim17ROCPRIM_400000_NS6detail17trampoline_kernelINS0_14default_configENS1_25transform_config_selectorIaLb1EEEZNS1_14transform_implILb1ES3_S5_PaS7_NS0_8identityIaEEEE10hipError_tT2_T3_mT4_P12ihipStream_tbEUlT_E_NS1_11comp_targetILNS1_3genE3ELNS1_11target_archE908ELNS1_3gpuE7ELNS1_3repE0EEENS1_30default_config_static_selectorELNS0_4arch9wavefront6targetE0EEEvT1_.uses_vcc, 0
	.set _ZN7rocprim17ROCPRIM_400000_NS6detail17trampoline_kernelINS0_14default_configENS1_25transform_config_selectorIaLb1EEEZNS1_14transform_implILb1ES3_S5_PaS7_NS0_8identityIaEEEE10hipError_tT2_T3_mT4_P12ihipStream_tbEUlT_E_NS1_11comp_targetILNS1_3genE3ELNS1_11target_archE908ELNS1_3gpuE7ELNS1_3repE0EEENS1_30default_config_static_selectorELNS0_4arch9wavefront6targetE0EEEvT1_.uses_flat_scratch, 0
	.set _ZN7rocprim17ROCPRIM_400000_NS6detail17trampoline_kernelINS0_14default_configENS1_25transform_config_selectorIaLb1EEEZNS1_14transform_implILb1ES3_S5_PaS7_NS0_8identityIaEEEE10hipError_tT2_T3_mT4_P12ihipStream_tbEUlT_E_NS1_11comp_targetILNS1_3genE3ELNS1_11target_archE908ELNS1_3gpuE7ELNS1_3repE0EEENS1_30default_config_static_selectorELNS0_4arch9wavefront6targetE0EEEvT1_.has_dyn_sized_stack, 0
	.set _ZN7rocprim17ROCPRIM_400000_NS6detail17trampoline_kernelINS0_14default_configENS1_25transform_config_selectorIaLb1EEEZNS1_14transform_implILb1ES3_S5_PaS7_NS0_8identityIaEEEE10hipError_tT2_T3_mT4_P12ihipStream_tbEUlT_E_NS1_11comp_targetILNS1_3genE3ELNS1_11target_archE908ELNS1_3gpuE7ELNS1_3repE0EEENS1_30default_config_static_selectorELNS0_4arch9wavefront6targetE0EEEvT1_.has_recursion, 0
	.set _ZN7rocprim17ROCPRIM_400000_NS6detail17trampoline_kernelINS0_14default_configENS1_25transform_config_selectorIaLb1EEEZNS1_14transform_implILb1ES3_S5_PaS7_NS0_8identityIaEEEE10hipError_tT2_T3_mT4_P12ihipStream_tbEUlT_E_NS1_11comp_targetILNS1_3genE3ELNS1_11target_archE908ELNS1_3gpuE7ELNS1_3repE0EEENS1_30default_config_static_selectorELNS0_4arch9wavefront6targetE0EEEvT1_.has_indirect_call, 0
	.section	.AMDGPU.csdata,"",@progbits
; Kernel info:
; codeLenInByte = 0
; TotalNumSgprs: 0
; NumVgprs: 0
; ScratchSize: 0
; MemoryBound: 0
; FloatMode: 240
; IeeeMode: 1
; LDSByteSize: 0 bytes/workgroup (compile time only)
; SGPRBlocks: 0
; VGPRBlocks: 0
; NumSGPRsForWavesPerEU: 1
; NumVGPRsForWavesPerEU: 1
; NamedBarCnt: 0
; Occupancy: 16
; WaveLimiterHint : 0
; COMPUTE_PGM_RSRC2:SCRATCH_EN: 0
; COMPUTE_PGM_RSRC2:USER_SGPR: 2
; COMPUTE_PGM_RSRC2:TRAP_HANDLER: 0
; COMPUTE_PGM_RSRC2:TGID_X_EN: 1
; COMPUTE_PGM_RSRC2:TGID_Y_EN: 0
; COMPUTE_PGM_RSRC2:TGID_Z_EN: 0
; COMPUTE_PGM_RSRC2:TIDIG_COMP_CNT: 0
	.section	.text._ZN7rocprim17ROCPRIM_400000_NS6detail17trampoline_kernelINS0_14default_configENS1_25transform_config_selectorIaLb1EEEZNS1_14transform_implILb1ES3_S5_PaS7_NS0_8identityIaEEEE10hipError_tT2_T3_mT4_P12ihipStream_tbEUlT_E_NS1_11comp_targetILNS1_3genE2ELNS1_11target_archE906ELNS1_3gpuE6ELNS1_3repE0EEENS1_30default_config_static_selectorELNS0_4arch9wavefront6targetE0EEEvT1_,"axG",@progbits,_ZN7rocprim17ROCPRIM_400000_NS6detail17trampoline_kernelINS0_14default_configENS1_25transform_config_selectorIaLb1EEEZNS1_14transform_implILb1ES3_S5_PaS7_NS0_8identityIaEEEE10hipError_tT2_T3_mT4_P12ihipStream_tbEUlT_E_NS1_11comp_targetILNS1_3genE2ELNS1_11target_archE906ELNS1_3gpuE6ELNS1_3repE0EEENS1_30default_config_static_selectorELNS0_4arch9wavefront6targetE0EEEvT1_,comdat
	.protected	_ZN7rocprim17ROCPRIM_400000_NS6detail17trampoline_kernelINS0_14default_configENS1_25transform_config_selectorIaLb1EEEZNS1_14transform_implILb1ES3_S5_PaS7_NS0_8identityIaEEEE10hipError_tT2_T3_mT4_P12ihipStream_tbEUlT_E_NS1_11comp_targetILNS1_3genE2ELNS1_11target_archE906ELNS1_3gpuE6ELNS1_3repE0EEENS1_30default_config_static_selectorELNS0_4arch9wavefront6targetE0EEEvT1_ ; -- Begin function _ZN7rocprim17ROCPRIM_400000_NS6detail17trampoline_kernelINS0_14default_configENS1_25transform_config_selectorIaLb1EEEZNS1_14transform_implILb1ES3_S5_PaS7_NS0_8identityIaEEEE10hipError_tT2_T3_mT4_P12ihipStream_tbEUlT_E_NS1_11comp_targetILNS1_3genE2ELNS1_11target_archE906ELNS1_3gpuE6ELNS1_3repE0EEENS1_30default_config_static_selectorELNS0_4arch9wavefront6targetE0EEEvT1_
	.globl	_ZN7rocprim17ROCPRIM_400000_NS6detail17trampoline_kernelINS0_14default_configENS1_25transform_config_selectorIaLb1EEEZNS1_14transform_implILb1ES3_S5_PaS7_NS0_8identityIaEEEE10hipError_tT2_T3_mT4_P12ihipStream_tbEUlT_E_NS1_11comp_targetILNS1_3genE2ELNS1_11target_archE906ELNS1_3gpuE6ELNS1_3repE0EEENS1_30default_config_static_selectorELNS0_4arch9wavefront6targetE0EEEvT1_
	.p2align	8
	.type	_ZN7rocprim17ROCPRIM_400000_NS6detail17trampoline_kernelINS0_14default_configENS1_25transform_config_selectorIaLb1EEEZNS1_14transform_implILb1ES3_S5_PaS7_NS0_8identityIaEEEE10hipError_tT2_T3_mT4_P12ihipStream_tbEUlT_E_NS1_11comp_targetILNS1_3genE2ELNS1_11target_archE906ELNS1_3gpuE6ELNS1_3repE0EEENS1_30default_config_static_selectorELNS0_4arch9wavefront6targetE0EEEvT1_,@function
_ZN7rocprim17ROCPRIM_400000_NS6detail17trampoline_kernelINS0_14default_configENS1_25transform_config_selectorIaLb1EEEZNS1_14transform_implILb1ES3_S5_PaS7_NS0_8identityIaEEEE10hipError_tT2_T3_mT4_P12ihipStream_tbEUlT_E_NS1_11comp_targetILNS1_3genE2ELNS1_11target_archE906ELNS1_3gpuE6ELNS1_3repE0EEENS1_30default_config_static_selectorELNS0_4arch9wavefront6targetE0EEEvT1_: ; @_ZN7rocprim17ROCPRIM_400000_NS6detail17trampoline_kernelINS0_14default_configENS1_25transform_config_selectorIaLb1EEEZNS1_14transform_implILb1ES3_S5_PaS7_NS0_8identityIaEEEE10hipError_tT2_T3_mT4_P12ihipStream_tbEUlT_E_NS1_11comp_targetILNS1_3genE2ELNS1_11target_archE906ELNS1_3gpuE6ELNS1_3repE0EEENS1_30default_config_static_selectorELNS0_4arch9wavefront6targetE0EEEvT1_
; %bb.0:
	.section	.rodata,"a",@progbits
	.p2align	6, 0x0
	.amdhsa_kernel _ZN7rocprim17ROCPRIM_400000_NS6detail17trampoline_kernelINS0_14default_configENS1_25transform_config_selectorIaLb1EEEZNS1_14transform_implILb1ES3_S5_PaS7_NS0_8identityIaEEEE10hipError_tT2_T3_mT4_P12ihipStream_tbEUlT_E_NS1_11comp_targetILNS1_3genE2ELNS1_11target_archE906ELNS1_3gpuE6ELNS1_3repE0EEENS1_30default_config_static_selectorELNS0_4arch9wavefront6targetE0EEEvT1_
		.amdhsa_group_segment_fixed_size 0
		.amdhsa_private_segment_fixed_size 0
		.amdhsa_kernarg_size 40
		.amdhsa_user_sgpr_count 2
		.amdhsa_user_sgpr_dispatch_ptr 0
		.amdhsa_user_sgpr_queue_ptr 0
		.amdhsa_user_sgpr_kernarg_segment_ptr 1
		.amdhsa_user_sgpr_dispatch_id 0
		.amdhsa_user_sgpr_kernarg_preload_length 0
		.amdhsa_user_sgpr_kernarg_preload_offset 0
		.amdhsa_user_sgpr_private_segment_size 0
		.amdhsa_wavefront_size32 1
		.amdhsa_uses_dynamic_stack 0
		.amdhsa_enable_private_segment 0
		.amdhsa_system_sgpr_workgroup_id_x 1
		.amdhsa_system_sgpr_workgroup_id_y 0
		.amdhsa_system_sgpr_workgroup_id_z 0
		.amdhsa_system_sgpr_workgroup_info 0
		.amdhsa_system_vgpr_workitem_id 0
		.amdhsa_next_free_vgpr 1
		.amdhsa_next_free_sgpr 1
		.amdhsa_named_barrier_count 0
		.amdhsa_reserve_vcc 0
		.amdhsa_float_round_mode_32 0
		.amdhsa_float_round_mode_16_64 0
		.amdhsa_float_denorm_mode_32 3
		.amdhsa_float_denorm_mode_16_64 3
		.amdhsa_fp16_overflow 0
		.amdhsa_memory_ordered 1
		.amdhsa_forward_progress 1
		.amdhsa_inst_pref_size 0
		.amdhsa_round_robin_scheduling 0
		.amdhsa_exception_fp_ieee_invalid_op 0
		.amdhsa_exception_fp_denorm_src 0
		.amdhsa_exception_fp_ieee_div_zero 0
		.amdhsa_exception_fp_ieee_overflow 0
		.amdhsa_exception_fp_ieee_underflow 0
		.amdhsa_exception_fp_ieee_inexact 0
		.amdhsa_exception_int_div_zero 0
	.end_amdhsa_kernel
	.section	.text._ZN7rocprim17ROCPRIM_400000_NS6detail17trampoline_kernelINS0_14default_configENS1_25transform_config_selectorIaLb1EEEZNS1_14transform_implILb1ES3_S5_PaS7_NS0_8identityIaEEEE10hipError_tT2_T3_mT4_P12ihipStream_tbEUlT_E_NS1_11comp_targetILNS1_3genE2ELNS1_11target_archE906ELNS1_3gpuE6ELNS1_3repE0EEENS1_30default_config_static_selectorELNS0_4arch9wavefront6targetE0EEEvT1_,"axG",@progbits,_ZN7rocprim17ROCPRIM_400000_NS6detail17trampoline_kernelINS0_14default_configENS1_25transform_config_selectorIaLb1EEEZNS1_14transform_implILb1ES3_S5_PaS7_NS0_8identityIaEEEE10hipError_tT2_T3_mT4_P12ihipStream_tbEUlT_E_NS1_11comp_targetILNS1_3genE2ELNS1_11target_archE906ELNS1_3gpuE6ELNS1_3repE0EEENS1_30default_config_static_selectorELNS0_4arch9wavefront6targetE0EEEvT1_,comdat
.Lfunc_end302:
	.size	_ZN7rocprim17ROCPRIM_400000_NS6detail17trampoline_kernelINS0_14default_configENS1_25transform_config_selectorIaLb1EEEZNS1_14transform_implILb1ES3_S5_PaS7_NS0_8identityIaEEEE10hipError_tT2_T3_mT4_P12ihipStream_tbEUlT_E_NS1_11comp_targetILNS1_3genE2ELNS1_11target_archE906ELNS1_3gpuE6ELNS1_3repE0EEENS1_30default_config_static_selectorELNS0_4arch9wavefront6targetE0EEEvT1_, .Lfunc_end302-_ZN7rocprim17ROCPRIM_400000_NS6detail17trampoline_kernelINS0_14default_configENS1_25transform_config_selectorIaLb1EEEZNS1_14transform_implILb1ES3_S5_PaS7_NS0_8identityIaEEEE10hipError_tT2_T3_mT4_P12ihipStream_tbEUlT_E_NS1_11comp_targetILNS1_3genE2ELNS1_11target_archE906ELNS1_3gpuE6ELNS1_3repE0EEENS1_30default_config_static_selectorELNS0_4arch9wavefront6targetE0EEEvT1_
                                        ; -- End function
	.set _ZN7rocprim17ROCPRIM_400000_NS6detail17trampoline_kernelINS0_14default_configENS1_25transform_config_selectorIaLb1EEEZNS1_14transform_implILb1ES3_S5_PaS7_NS0_8identityIaEEEE10hipError_tT2_T3_mT4_P12ihipStream_tbEUlT_E_NS1_11comp_targetILNS1_3genE2ELNS1_11target_archE906ELNS1_3gpuE6ELNS1_3repE0EEENS1_30default_config_static_selectorELNS0_4arch9wavefront6targetE0EEEvT1_.num_vgpr, 0
	.set _ZN7rocprim17ROCPRIM_400000_NS6detail17trampoline_kernelINS0_14default_configENS1_25transform_config_selectorIaLb1EEEZNS1_14transform_implILb1ES3_S5_PaS7_NS0_8identityIaEEEE10hipError_tT2_T3_mT4_P12ihipStream_tbEUlT_E_NS1_11comp_targetILNS1_3genE2ELNS1_11target_archE906ELNS1_3gpuE6ELNS1_3repE0EEENS1_30default_config_static_selectorELNS0_4arch9wavefront6targetE0EEEvT1_.num_agpr, 0
	.set _ZN7rocprim17ROCPRIM_400000_NS6detail17trampoline_kernelINS0_14default_configENS1_25transform_config_selectorIaLb1EEEZNS1_14transform_implILb1ES3_S5_PaS7_NS0_8identityIaEEEE10hipError_tT2_T3_mT4_P12ihipStream_tbEUlT_E_NS1_11comp_targetILNS1_3genE2ELNS1_11target_archE906ELNS1_3gpuE6ELNS1_3repE0EEENS1_30default_config_static_selectorELNS0_4arch9wavefront6targetE0EEEvT1_.numbered_sgpr, 0
	.set _ZN7rocprim17ROCPRIM_400000_NS6detail17trampoline_kernelINS0_14default_configENS1_25transform_config_selectorIaLb1EEEZNS1_14transform_implILb1ES3_S5_PaS7_NS0_8identityIaEEEE10hipError_tT2_T3_mT4_P12ihipStream_tbEUlT_E_NS1_11comp_targetILNS1_3genE2ELNS1_11target_archE906ELNS1_3gpuE6ELNS1_3repE0EEENS1_30default_config_static_selectorELNS0_4arch9wavefront6targetE0EEEvT1_.num_named_barrier, 0
	.set _ZN7rocprim17ROCPRIM_400000_NS6detail17trampoline_kernelINS0_14default_configENS1_25transform_config_selectorIaLb1EEEZNS1_14transform_implILb1ES3_S5_PaS7_NS0_8identityIaEEEE10hipError_tT2_T3_mT4_P12ihipStream_tbEUlT_E_NS1_11comp_targetILNS1_3genE2ELNS1_11target_archE906ELNS1_3gpuE6ELNS1_3repE0EEENS1_30default_config_static_selectorELNS0_4arch9wavefront6targetE0EEEvT1_.private_seg_size, 0
	.set _ZN7rocprim17ROCPRIM_400000_NS6detail17trampoline_kernelINS0_14default_configENS1_25transform_config_selectorIaLb1EEEZNS1_14transform_implILb1ES3_S5_PaS7_NS0_8identityIaEEEE10hipError_tT2_T3_mT4_P12ihipStream_tbEUlT_E_NS1_11comp_targetILNS1_3genE2ELNS1_11target_archE906ELNS1_3gpuE6ELNS1_3repE0EEENS1_30default_config_static_selectorELNS0_4arch9wavefront6targetE0EEEvT1_.uses_vcc, 0
	.set _ZN7rocprim17ROCPRIM_400000_NS6detail17trampoline_kernelINS0_14default_configENS1_25transform_config_selectorIaLb1EEEZNS1_14transform_implILb1ES3_S5_PaS7_NS0_8identityIaEEEE10hipError_tT2_T3_mT4_P12ihipStream_tbEUlT_E_NS1_11comp_targetILNS1_3genE2ELNS1_11target_archE906ELNS1_3gpuE6ELNS1_3repE0EEENS1_30default_config_static_selectorELNS0_4arch9wavefront6targetE0EEEvT1_.uses_flat_scratch, 0
	.set _ZN7rocprim17ROCPRIM_400000_NS6detail17trampoline_kernelINS0_14default_configENS1_25transform_config_selectorIaLb1EEEZNS1_14transform_implILb1ES3_S5_PaS7_NS0_8identityIaEEEE10hipError_tT2_T3_mT4_P12ihipStream_tbEUlT_E_NS1_11comp_targetILNS1_3genE2ELNS1_11target_archE906ELNS1_3gpuE6ELNS1_3repE0EEENS1_30default_config_static_selectorELNS0_4arch9wavefront6targetE0EEEvT1_.has_dyn_sized_stack, 0
	.set _ZN7rocprim17ROCPRIM_400000_NS6detail17trampoline_kernelINS0_14default_configENS1_25transform_config_selectorIaLb1EEEZNS1_14transform_implILb1ES3_S5_PaS7_NS0_8identityIaEEEE10hipError_tT2_T3_mT4_P12ihipStream_tbEUlT_E_NS1_11comp_targetILNS1_3genE2ELNS1_11target_archE906ELNS1_3gpuE6ELNS1_3repE0EEENS1_30default_config_static_selectorELNS0_4arch9wavefront6targetE0EEEvT1_.has_recursion, 0
	.set _ZN7rocprim17ROCPRIM_400000_NS6detail17trampoline_kernelINS0_14default_configENS1_25transform_config_selectorIaLb1EEEZNS1_14transform_implILb1ES3_S5_PaS7_NS0_8identityIaEEEE10hipError_tT2_T3_mT4_P12ihipStream_tbEUlT_E_NS1_11comp_targetILNS1_3genE2ELNS1_11target_archE906ELNS1_3gpuE6ELNS1_3repE0EEENS1_30default_config_static_selectorELNS0_4arch9wavefront6targetE0EEEvT1_.has_indirect_call, 0
	.section	.AMDGPU.csdata,"",@progbits
; Kernel info:
; codeLenInByte = 0
; TotalNumSgprs: 0
; NumVgprs: 0
; ScratchSize: 0
; MemoryBound: 0
; FloatMode: 240
; IeeeMode: 1
; LDSByteSize: 0 bytes/workgroup (compile time only)
; SGPRBlocks: 0
; VGPRBlocks: 0
; NumSGPRsForWavesPerEU: 1
; NumVGPRsForWavesPerEU: 1
; NamedBarCnt: 0
; Occupancy: 16
; WaveLimiterHint : 0
; COMPUTE_PGM_RSRC2:SCRATCH_EN: 0
; COMPUTE_PGM_RSRC2:USER_SGPR: 2
; COMPUTE_PGM_RSRC2:TRAP_HANDLER: 0
; COMPUTE_PGM_RSRC2:TGID_X_EN: 1
; COMPUTE_PGM_RSRC2:TGID_Y_EN: 0
; COMPUTE_PGM_RSRC2:TGID_Z_EN: 0
; COMPUTE_PGM_RSRC2:TIDIG_COMP_CNT: 0
	.section	.text._ZN7rocprim17ROCPRIM_400000_NS6detail17trampoline_kernelINS0_14default_configENS1_25transform_config_selectorIaLb1EEEZNS1_14transform_implILb1ES3_S5_PaS7_NS0_8identityIaEEEE10hipError_tT2_T3_mT4_P12ihipStream_tbEUlT_E_NS1_11comp_targetILNS1_3genE9ELNS1_11target_archE1100ELNS1_3gpuE3ELNS1_3repE0EEENS1_30default_config_static_selectorELNS0_4arch9wavefront6targetE0EEEvT1_,"axG",@progbits,_ZN7rocprim17ROCPRIM_400000_NS6detail17trampoline_kernelINS0_14default_configENS1_25transform_config_selectorIaLb1EEEZNS1_14transform_implILb1ES3_S5_PaS7_NS0_8identityIaEEEE10hipError_tT2_T3_mT4_P12ihipStream_tbEUlT_E_NS1_11comp_targetILNS1_3genE9ELNS1_11target_archE1100ELNS1_3gpuE3ELNS1_3repE0EEENS1_30default_config_static_selectorELNS0_4arch9wavefront6targetE0EEEvT1_,comdat
	.protected	_ZN7rocprim17ROCPRIM_400000_NS6detail17trampoline_kernelINS0_14default_configENS1_25transform_config_selectorIaLb1EEEZNS1_14transform_implILb1ES3_S5_PaS7_NS0_8identityIaEEEE10hipError_tT2_T3_mT4_P12ihipStream_tbEUlT_E_NS1_11comp_targetILNS1_3genE9ELNS1_11target_archE1100ELNS1_3gpuE3ELNS1_3repE0EEENS1_30default_config_static_selectorELNS0_4arch9wavefront6targetE0EEEvT1_ ; -- Begin function _ZN7rocprim17ROCPRIM_400000_NS6detail17trampoline_kernelINS0_14default_configENS1_25transform_config_selectorIaLb1EEEZNS1_14transform_implILb1ES3_S5_PaS7_NS0_8identityIaEEEE10hipError_tT2_T3_mT4_P12ihipStream_tbEUlT_E_NS1_11comp_targetILNS1_3genE9ELNS1_11target_archE1100ELNS1_3gpuE3ELNS1_3repE0EEENS1_30default_config_static_selectorELNS0_4arch9wavefront6targetE0EEEvT1_
	.globl	_ZN7rocprim17ROCPRIM_400000_NS6detail17trampoline_kernelINS0_14default_configENS1_25transform_config_selectorIaLb1EEEZNS1_14transform_implILb1ES3_S5_PaS7_NS0_8identityIaEEEE10hipError_tT2_T3_mT4_P12ihipStream_tbEUlT_E_NS1_11comp_targetILNS1_3genE9ELNS1_11target_archE1100ELNS1_3gpuE3ELNS1_3repE0EEENS1_30default_config_static_selectorELNS0_4arch9wavefront6targetE0EEEvT1_
	.p2align	8
	.type	_ZN7rocprim17ROCPRIM_400000_NS6detail17trampoline_kernelINS0_14default_configENS1_25transform_config_selectorIaLb1EEEZNS1_14transform_implILb1ES3_S5_PaS7_NS0_8identityIaEEEE10hipError_tT2_T3_mT4_P12ihipStream_tbEUlT_E_NS1_11comp_targetILNS1_3genE9ELNS1_11target_archE1100ELNS1_3gpuE3ELNS1_3repE0EEENS1_30default_config_static_selectorELNS0_4arch9wavefront6targetE0EEEvT1_,@function
_ZN7rocprim17ROCPRIM_400000_NS6detail17trampoline_kernelINS0_14default_configENS1_25transform_config_selectorIaLb1EEEZNS1_14transform_implILb1ES3_S5_PaS7_NS0_8identityIaEEEE10hipError_tT2_T3_mT4_P12ihipStream_tbEUlT_E_NS1_11comp_targetILNS1_3genE9ELNS1_11target_archE1100ELNS1_3gpuE3ELNS1_3repE0EEENS1_30default_config_static_selectorELNS0_4arch9wavefront6targetE0EEEvT1_: ; @_ZN7rocprim17ROCPRIM_400000_NS6detail17trampoline_kernelINS0_14default_configENS1_25transform_config_selectorIaLb1EEEZNS1_14transform_implILb1ES3_S5_PaS7_NS0_8identityIaEEEE10hipError_tT2_T3_mT4_P12ihipStream_tbEUlT_E_NS1_11comp_targetILNS1_3genE9ELNS1_11target_archE1100ELNS1_3gpuE3ELNS1_3repE0EEENS1_30default_config_static_selectorELNS0_4arch9wavefront6targetE0EEEvT1_
; %bb.0:
	.section	.rodata,"a",@progbits
	.p2align	6, 0x0
	.amdhsa_kernel _ZN7rocprim17ROCPRIM_400000_NS6detail17trampoline_kernelINS0_14default_configENS1_25transform_config_selectorIaLb1EEEZNS1_14transform_implILb1ES3_S5_PaS7_NS0_8identityIaEEEE10hipError_tT2_T3_mT4_P12ihipStream_tbEUlT_E_NS1_11comp_targetILNS1_3genE9ELNS1_11target_archE1100ELNS1_3gpuE3ELNS1_3repE0EEENS1_30default_config_static_selectorELNS0_4arch9wavefront6targetE0EEEvT1_
		.amdhsa_group_segment_fixed_size 0
		.amdhsa_private_segment_fixed_size 0
		.amdhsa_kernarg_size 40
		.amdhsa_user_sgpr_count 2
		.amdhsa_user_sgpr_dispatch_ptr 0
		.amdhsa_user_sgpr_queue_ptr 0
		.amdhsa_user_sgpr_kernarg_segment_ptr 1
		.amdhsa_user_sgpr_dispatch_id 0
		.amdhsa_user_sgpr_kernarg_preload_length 0
		.amdhsa_user_sgpr_kernarg_preload_offset 0
		.amdhsa_user_sgpr_private_segment_size 0
		.amdhsa_wavefront_size32 1
		.amdhsa_uses_dynamic_stack 0
		.amdhsa_enable_private_segment 0
		.amdhsa_system_sgpr_workgroup_id_x 1
		.amdhsa_system_sgpr_workgroup_id_y 0
		.amdhsa_system_sgpr_workgroup_id_z 0
		.amdhsa_system_sgpr_workgroup_info 0
		.amdhsa_system_vgpr_workitem_id 0
		.amdhsa_next_free_vgpr 1
		.amdhsa_next_free_sgpr 1
		.amdhsa_named_barrier_count 0
		.amdhsa_reserve_vcc 0
		.amdhsa_float_round_mode_32 0
		.amdhsa_float_round_mode_16_64 0
		.amdhsa_float_denorm_mode_32 3
		.amdhsa_float_denorm_mode_16_64 3
		.amdhsa_fp16_overflow 0
		.amdhsa_memory_ordered 1
		.amdhsa_forward_progress 1
		.amdhsa_inst_pref_size 0
		.amdhsa_round_robin_scheduling 0
		.amdhsa_exception_fp_ieee_invalid_op 0
		.amdhsa_exception_fp_denorm_src 0
		.amdhsa_exception_fp_ieee_div_zero 0
		.amdhsa_exception_fp_ieee_overflow 0
		.amdhsa_exception_fp_ieee_underflow 0
		.amdhsa_exception_fp_ieee_inexact 0
		.amdhsa_exception_int_div_zero 0
	.end_amdhsa_kernel
	.section	.text._ZN7rocprim17ROCPRIM_400000_NS6detail17trampoline_kernelINS0_14default_configENS1_25transform_config_selectorIaLb1EEEZNS1_14transform_implILb1ES3_S5_PaS7_NS0_8identityIaEEEE10hipError_tT2_T3_mT4_P12ihipStream_tbEUlT_E_NS1_11comp_targetILNS1_3genE9ELNS1_11target_archE1100ELNS1_3gpuE3ELNS1_3repE0EEENS1_30default_config_static_selectorELNS0_4arch9wavefront6targetE0EEEvT1_,"axG",@progbits,_ZN7rocprim17ROCPRIM_400000_NS6detail17trampoline_kernelINS0_14default_configENS1_25transform_config_selectorIaLb1EEEZNS1_14transform_implILb1ES3_S5_PaS7_NS0_8identityIaEEEE10hipError_tT2_T3_mT4_P12ihipStream_tbEUlT_E_NS1_11comp_targetILNS1_3genE9ELNS1_11target_archE1100ELNS1_3gpuE3ELNS1_3repE0EEENS1_30default_config_static_selectorELNS0_4arch9wavefront6targetE0EEEvT1_,comdat
.Lfunc_end303:
	.size	_ZN7rocprim17ROCPRIM_400000_NS6detail17trampoline_kernelINS0_14default_configENS1_25transform_config_selectorIaLb1EEEZNS1_14transform_implILb1ES3_S5_PaS7_NS0_8identityIaEEEE10hipError_tT2_T3_mT4_P12ihipStream_tbEUlT_E_NS1_11comp_targetILNS1_3genE9ELNS1_11target_archE1100ELNS1_3gpuE3ELNS1_3repE0EEENS1_30default_config_static_selectorELNS0_4arch9wavefront6targetE0EEEvT1_, .Lfunc_end303-_ZN7rocprim17ROCPRIM_400000_NS6detail17trampoline_kernelINS0_14default_configENS1_25transform_config_selectorIaLb1EEEZNS1_14transform_implILb1ES3_S5_PaS7_NS0_8identityIaEEEE10hipError_tT2_T3_mT4_P12ihipStream_tbEUlT_E_NS1_11comp_targetILNS1_3genE9ELNS1_11target_archE1100ELNS1_3gpuE3ELNS1_3repE0EEENS1_30default_config_static_selectorELNS0_4arch9wavefront6targetE0EEEvT1_
                                        ; -- End function
	.set _ZN7rocprim17ROCPRIM_400000_NS6detail17trampoline_kernelINS0_14default_configENS1_25transform_config_selectorIaLb1EEEZNS1_14transform_implILb1ES3_S5_PaS7_NS0_8identityIaEEEE10hipError_tT2_T3_mT4_P12ihipStream_tbEUlT_E_NS1_11comp_targetILNS1_3genE9ELNS1_11target_archE1100ELNS1_3gpuE3ELNS1_3repE0EEENS1_30default_config_static_selectorELNS0_4arch9wavefront6targetE0EEEvT1_.num_vgpr, 0
	.set _ZN7rocprim17ROCPRIM_400000_NS6detail17trampoline_kernelINS0_14default_configENS1_25transform_config_selectorIaLb1EEEZNS1_14transform_implILb1ES3_S5_PaS7_NS0_8identityIaEEEE10hipError_tT2_T3_mT4_P12ihipStream_tbEUlT_E_NS1_11comp_targetILNS1_3genE9ELNS1_11target_archE1100ELNS1_3gpuE3ELNS1_3repE0EEENS1_30default_config_static_selectorELNS0_4arch9wavefront6targetE0EEEvT1_.num_agpr, 0
	.set _ZN7rocprim17ROCPRIM_400000_NS6detail17trampoline_kernelINS0_14default_configENS1_25transform_config_selectorIaLb1EEEZNS1_14transform_implILb1ES3_S5_PaS7_NS0_8identityIaEEEE10hipError_tT2_T3_mT4_P12ihipStream_tbEUlT_E_NS1_11comp_targetILNS1_3genE9ELNS1_11target_archE1100ELNS1_3gpuE3ELNS1_3repE0EEENS1_30default_config_static_selectorELNS0_4arch9wavefront6targetE0EEEvT1_.numbered_sgpr, 0
	.set _ZN7rocprim17ROCPRIM_400000_NS6detail17trampoline_kernelINS0_14default_configENS1_25transform_config_selectorIaLb1EEEZNS1_14transform_implILb1ES3_S5_PaS7_NS0_8identityIaEEEE10hipError_tT2_T3_mT4_P12ihipStream_tbEUlT_E_NS1_11comp_targetILNS1_3genE9ELNS1_11target_archE1100ELNS1_3gpuE3ELNS1_3repE0EEENS1_30default_config_static_selectorELNS0_4arch9wavefront6targetE0EEEvT1_.num_named_barrier, 0
	.set _ZN7rocprim17ROCPRIM_400000_NS6detail17trampoline_kernelINS0_14default_configENS1_25transform_config_selectorIaLb1EEEZNS1_14transform_implILb1ES3_S5_PaS7_NS0_8identityIaEEEE10hipError_tT2_T3_mT4_P12ihipStream_tbEUlT_E_NS1_11comp_targetILNS1_3genE9ELNS1_11target_archE1100ELNS1_3gpuE3ELNS1_3repE0EEENS1_30default_config_static_selectorELNS0_4arch9wavefront6targetE0EEEvT1_.private_seg_size, 0
	.set _ZN7rocprim17ROCPRIM_400000_NS6detail17trampoline_kernelINS0_14default_configENS1_25transform_config_selectorIaLb1EEEZNS1_14transform_implILb1ES3_S5_PaS7_NS0_8identityIaEEEE10hipError_tT2_T3_mT4_P12ihipStream_tbEUlT_E_NS1_11comp_targetILNS1_3genE9ELNS1_11target_archE1100ELNS1_3gpuE3ELNS1_3repE0EEENS1_30default_config_static_selectorELNS0_4arch9wavefront6targetE0EEEvT1_.uses_vcc, 0
	.set _ZN7rocprim17ROCPRIM_400000_NS6detail17trampoline_kernelINS0_14default_configENS1_25transform_config_selectorIaLb1EEEZNS1_14transform_implILb1ES3_S5_PaS7_NS0_8identityIaEEEE10hipError_tT2_T3_mT4_P12ihipStream_tbEUlT_E_NS1_11comp_targetILNS1_3genE9ELNS1_11target_archE1100ELNS1_3gpuE3ELNS1_3repE0EEENS1_30default_config_static_selectorELNS0_4arch9wavefront6targetE0EEEvT1_.uses_flat_scratch, 0
	.set _ZN7rocprim17ROCPRIM_400000_NS6detail17trampoline_kernelINS0_14default_configENS1_25transform_config_selectorIaLb1EEEZNS1_14transform_implILb1ES3_S5_PaS7_NS0_8identityIaEEEE10hipError_tT2_T3_mT4_P12ihipStream_tbEUlT_E_NS1_11comp_targetILNS1_3genE9ELNS1_11target_archE1100ELNS1_3gpuE3ELNS1_3repE0EEENS1_30default_config_static_selectorELNS0_4arch9wavefront6targetE0EEEvT1_.has_dyn_sized_stack, 0
	.set _ZN7rocprim17ROCPRIM_400000_NS6detail17trampoline_kernelINS0_14default_configENS1_25transform_config_selectorIaLb1EEEZNS1_14transform_implILb1ES3_S5_PaS7_NS0_8identityIaEEEE10hipError_tT2_T3_mT4_P12ihipStream_tbEUlT_E_NS1_11comp_targetILNS1_3genE9ELNS1_11target_archE1100ELNS1_3gpuE3ELNS1_3repE0EEENS1_30default_config_static_selectorELNS0_4arch9wavefront6targetE0EEEvT1_.has_recursion, 0
	.set _ZN7rocprim17ROCPRIM_400000_NS6detail17trampoline_kernelINS0_14default_configENS1_25transform_config_selectorIaLb1EEEZNS1_14transform_implILb1ES3_S5_PaS7_NS0_8identityIaEEEE10hipError_tT2_T3_mT4_P12ihipStream_tbEUlT_E_NS1_11comp_targetILNS1_3genE9ELNS1_11target_archE1100ELNS1_3gpuE3ELNS1_3repE0EEENS1_30default_config_static_selectorELNS0_4arch9wavefront6targetE0EEEvT1_.has_indirect_call, 0
	.section	.AMDGPU.csdata,"",@progbits
; Kernel info:
; codeLenInByte = 0
; TotalNumSgprs: 0
; NumVgprs: 0
; ScratchSize: 0
; MemoryBound: 0
; FloatMode: 240
; IeeeMode: 1
; LDSByteSize: 0 bytes/workgroup (compile time only)
; SGPRBlocks: 0
; VGPRBlocks: 0
; NumSGPRsForWavesPerEU: 1
; NumVGPRsForWavesPerEU: 1
; NamedBarCnt: 0
; Occupancy: 16
; WaveLimiterHint : 0
; COMPUTE_PGM_RSRC2:SCRATCH_EN: 0
; COMPUTE_PGM_RSRC2:USER_SGPR: 2
; COMPUTE_PGM_RSRC2:TRAP_HANDLER: 0
; COMPUTE_PGM_RSRC2:TGID_X_EN: 1
; COMPUTE_PGM_RSRC2:TGID_Y_EN: 0
; COMPUTE_PGM_RSRC2:TGID_Z_EN: 0
; COMPUTE_PGM_RSRC2:TIDIG_COMP_CNT: 0
	.section	.text._ZN7rocprim17ROCPRIM_400000_NS6detail17trampoline_kernelINS0_14default_configENS1_25transform_config_selectorIaLb1EEEZNS1_14transform_implILb1ES3_S5_PaS7_NS0_8identityIaEEEE10hipError_tT2_T3_mT4_P12ihipStream_tbEUlT_E_NS1_11comp_targetILNS1_3genE8ELNS1_11target_archE1030ELNS1_3gpuE2ELNS1_3repE0EEENS1_30default_config_static_selectorELNS0_4arch9wavefront6targetE0EEEvT1_,"axG",@progbits,_ZN7rocprim17ROCPRIM_400000_NS6detail17trampoline_kernelINS0_14default_configENS1_25transform_config_selectorIaLb1EEEZNS1_14transform_implILb1ES3_S5_PaS7_NS0_8identityIaEEEE10hipError_tT2_T3_mT4_P12ihipStream_tbEUlT_E_NS1_11comp_targetILNS1_3genE8ELNS1_11target_archE1030ELNS1_3gpuE2ELNS1_3repE0EEENS1_30default_config_static_selectorELNS0_4arch9wavefront6targetE0EEEvT1_,comdat
	.protected	_ZN7rocprim17ROCPRIM_400000_NS6detail17trampoline_kernelINS0_14default_configENS1_25transform_config_selectorIaLb1EEEZNS1_14transform_implILb1ES3_S5_PaS7_NS0_8identityIaEEEE10hipError_tT2_T3_mT4_P12ihipStream_tbEUlT_E_NS1_11comp_targetILNS1_3genE8ELNS1_11target_archE1030ELNS1_3gpuE2ELNS1_3repE0EEENS1_30default_config_static_selectorELNS0_4arch9wavefront6targetE0EEEvT1_ ; -- Begin function _ZN7rocprim17ROCPRIM_400000_NS6detail17trampoline_kernelINS0_14default_configENS1_25transform_config_selectorIaLb1EEEZNS1_14transform_implILb1ES3_S5_PaS7_NS0_8identityIaEEEE10hipError_tT2_T3_mT4_P12ihipStream_tbEUlT_E_NS1_11comp_targetILNS1_3genE8ELNS1_11target_archE1030ELNS1_3gpuE2ELNS1_3repE0EEENS1_30default_config_static_selectorELNS0_4arch9wavefront6targetE0EEEvT1_
	.globl	_ZN7rocprim17ROCPRIM_400000_NS6detail17trampoline_kernelINS0_14default_configENS1_25transform_config_selectorIaLb1EEEZNS1_14transform_implILb1ES3_S5_PaS7_NS0_8identityIaEEEE10hipError_tT2_T3_mT4_P12ihipStream_tbEUlT_E_NS1_11comp_targetILNS1_3genE8ELNS1_11target_archE1030ELNS1_3gpuE2ELNS1_3repE0EEENS1_30default_config_static_selectorELNS0_4arch9wavefront6targetE0EEEvT1_
	.p2align	8
	.type	_ZN7rocprim17ROCPRIM_400000_NS6detail17trampoline_kernelINS0_14default_configENS1_25transform_config_selectorIaLb1EEEZNS1_14transform_implILb1ES3_S5_PaS7_NS0_8identityIaEEEE10hipError_tT2_T3_mT4_P12ihipStream_tbEUlT_E_NS1_11comp_targetILNS1_3genE8ELNS1_11target_archE1030ELNS1_3gpuE2ELNS1_3repE0EEENS1_30default_config_static_selectorELNS0_4arch9wavefront6targetE0EEEvT1_,@function
_ZN7rocprim17ROCPRIM_400000_NS6detail17trampoline_kernelINS0_14default_configENS1_25transform_config_selectorIaLb1EEEZNS1_14transform_implILb1ES3_S5_PaS7_NS0_8identityIaEEEE10hipError_tT2_T3_mT4_P12ihipStream_tbEUlT_E_NS1_11comp_targetILNS1_3genE8ELNS1_11target_archE1030ELNS1_3gpuE2ELNS1_3repE0EEENS1_30default_config_static_selectorELNS0_4arch9wavefront6targetE0EEEvT1_: ; @_ZN7rocprim17ROCPRIM_400000_NS6detail17trampoline_kernelINS0_14default_configENS1_25transform_config_selectorIaLb1EEEZNS1_14transform_implILb1ES3_S5_PaS7_NS0_8identityIaEEEE10hipError_tT2_T3_mT4_P12ihipStream_tbEUlT_E_NS1_11comp_targetILNS1_3genE8ELNS1_11target_archE1030ELNS1_3gpuE2ELNS1_3repE0EEENS1_30default_config_static_selectorELNS0_4arch9wavefront6targetE0EEEvT1_
; %bb.0:
	.section	.rodata,"a",@progbits
	.p2align	6, 0x0
	.amdhsa_kernel _ZN7rocprim17ROCPRIM_400000_NS6detail17trampoline_kernelINS0_14default_configENS1_25transform_config_selectorIaLb1EEEZNS1_14transform_implILb1ES3_S5_PaS7_NS0_8identityIaEEEE10hipError_tT2_T3_mT4_P12ihipStream_tbEUlT_E_NS1_11comp_targetILNS1_3genE8ELNS1_11target_archE1030ELNS1_3gpuE2ELNS1_3repE0EEENS1_30default_config_static_selectorELNS0_4arch9wavefront6targetE0EEEvT1_
		.amdhsa_group_segment_fixed_size 0
		.amdhsa_private_segment_fixed_size 0
		.amdhsa_kernarg_size 40
		.amdhsa_user_sgpr_count 2
		.amdhsa_user_sgpr_dispatch_ptr 0
		.amdhsa_user_sgpr_queue_ptr 0
		.amdhsa_user_sgpr_kernarg_segment_ptr 1
		.amdhsa_user_sgpr_dispatch_id 0
		.amdhsa_user_sgpr_kernarg_preload_length 0
		.amdhsa_user_sgpr_kernarg_preload_offset 0
		.amdhsa_user_sgpr_private_segment_size 0
		.amdhsa_wavefront_size32 1
		.amdhsa_uses_dynamic_stack 0
		.amdhsa_enable_private_segment 0
		.amdhsa_system_sgpr_workgroup_id_x 1
		.amdhsa_system_sgpr_workgroup_id_y 0
		.amdhsa_system_sgpr_workgroup_id_z 0
		.amdhsa_system_sgpr_workgroup_info 0
		.amdhsa_system_vgpr_workitem_id 0
		.amdhsa_next_free_vgpr 1
		.amdhsa_next_free_sgpr 1
		.amdhsa_named_barrier_count 0
		.amdhsa_reserve_vcc 0
		.amdhsa_float_round_mode_32 0
		.amdhsa_float_round_mode_16_64 0
		.amdhsa_float_denorm_mode_32 3
		.amdhsa_float_denorm_mode_16_64 3
		.amdhsa_fp16_overflow 0
		.amdhsa_memory_ordered 1
		.amdhsa_forward_progress 1
		.amdhsa_inst_pref_size 0
		.amdhsa_round_robin_scheduling 0
		.amdhsa_exception_fp_ieee_invalid_op 0
		.amdhsa_exception_fp_denorm_src 0
		.amdhsa_exception_fp_ieee_div_zero 0
		.amdhsa_exception_fp_ieee_overflow 0
		.amdhsa_exception_fp_ieee_underflow 0
		.amdhsa_exception_fp_ieee_inexact 0
		.amdhsa_exception_int_div_zero 0
	.end_amdhsa_kernel
	.section	.text._ZN7rocprim17ROCPRIM_400000_NS6detail17trampoline_kernelINS0_14default_configENS1_25transform_config_selectorIaLb1EEEZNS1_14transform_implILb1ES3_S5_PaS7_NS0_8identityIaEEEE10hipError_tT2_T3_mT4_P12ihipStream_tbEUlT_E_NS1_11comp_targetILNS1_3genE8ELNS1_11target_archE1030ELNS1_3gpuE2ELNS1_3repE0EEENS1_30default_config_static_selectorELNS0_4arch9wavefront6targetE0EEEvT1_,"axG",@progbits,_ZN7rocprim17ROCPRIM_400000_NS6detail17trampoline_kernelINS0_14default_configENS1_25transform_config_selectorIaLb1EEEZNS1_14transform_implILb1ES3_S5_PaS7_NS0_8identityIaEEEE10hipError_tT2_T3_mT4_P12ihipStream_tbEUlT_E_NS1_11comp_targetILNS1_3genE8ELNS1_11target_archE1030ELNS1_3gpuE2ELNS1_3repE0EEENS1_30default_config_static_selectorELNS0_4arch9wavefront6targetE0EEEvT1_,comdat
.Lfunc_end304:
	.size	_ZN7rocprim17ROCPRIM_400000_NS6detail17trampoline_kernelINS0_14default_configENS1_25transform_config_selectorIaLb1EEEZNS1_14transform_implILb1ES3_S5_PaS7_NS0_8identityIaEEEE10hipError_tT2_T3_mT4_P12ihipStream_tbEUlT_E_NS1_11comp_targetILNS1_3genE8ELNS1_11target_archE1030ELNS1_3gpuE2ELNS1_3repE0EEENS1_30default_config_static_selectorELNS0_4arch9wavefront6targetE0EEEvT1_, .Lfunc_end304-_ZN7rocprim17ROCPRIM_400000_NS6detail17trampoline_kernelINS0_14default_configENS1_25transform_config_selectorIaLb1EEEZNS1_14transform_implILb1ES3_S5_PaS7_NS0_8identityIaEEEE10hipError_tT2_T3_mT4_P12ihipStream_tbEUlT_E_NS1_11comp_targetILNS1_3genE8ELNS1_11target_archE1030ELNS1_3gpuE2ELNS1_3repE0EEENS1_30default_config_static_selectorELNS0_4arch9wavefront6targetE0EEEvT1_
                                        ; -- End function
	.set _ZN7rocprim17ROCPRIM_400000_NS6detail17trampoline_kernelINS0_14default_configENS1_25transform_config_selectorIaLb1EEEZNS1_14transform_implILb1ES3_S5_PaS7_NS0_8identityIaEEEE10hipError_tT2_T3_mT4_P12ihipStream_tbEUlT_E_NS1_11comp_targetILNS1_3genE8ELNS1_11target_archE1030ELNS1_3gpuE2ELNS1_3repE0EEENS1_30default_config_static_selectorELNS0_4arch9wavefront6targetE0EEEvT1_.num_vgpr, 0
	.set _ZN7rocprim17ROCPRIM_400000_NS6detail17trampoline_kernelINS0_14default_configENS1_25transform_config_selectorIaLb1EEEZNS1_14transform_implILb1ES3_S5_PaS7_NS0_8identityIaEEEE10hipError_tT2_T3_mT4_P12ihipStream_tbEUlT_E_NS1_11comp_targetILNS1_3genE8ELNS1_11target_archE1030ELNS1_3gpuE2ELNS1_3repE0EEENS1_30default_config_static_selectorELNS0_4arch9wavefront6targetE0EEEvT1_.num_agpr, 0
	.set _ZN7rocprim17ROCPRIM_400000_NS6detail17trampoline_kernelINS0_14default_configENS1_25transform_config_selectorIaLb1EEEZNS1_14transform_implILb1ES3_S5_PaS7_NS0_8identityIaEEEE10hipError_tT2_T3_mT4_P12ihipStream_tbEUlT_E_NS1_11comp_targetILNS1_3genE8ELNS1_11target_archE1030ELNS1_3gpuE2ELNS1_3repE0EEENS1_30default_config_static_selectorELNS0_4arch9wavefront6targetE0EEEvT1_.numbered_sgpr, 0
	.set _ZN7rocprim17ROCPRIM_400000_NS6detail17trampoline_kernelINS0_14default_configENS1_25transform_config_selectorIaLb1EEEZNS1_14transform_implILb1ES3_S5_PaS7_NS0_8identityIaEEEE10hipError_tT2_T3_mT4_P12ihipStream_tbEUlT_E_NS1_11comp_targetILNS1_3genE8ELNS1_11target_archE1030ELNS1_3gpuE2ELNS1_3repE0EEENS1_30default_config_static_selectorELNS0_4arch9wavefront6targetE0EEEvT1_.num_named_barrier, 0
	.set _ZN7rocprim17ROCPRIM_400000_NS6detail17trampoline_kernelINS0_14default_configENS1_25transform_config_selectorIaLb1EEEZNS1_14transform_implILb1ES3_S5_PaS7_NS0_8identityIaEEEE10hipError_tT2_T3_mT4_P12ihipStream_tbEUlT_E_NS1_11comp_targetILNS1_3genE8ELNS1_11target_archE1030ELNS1_3gpuE2ELNS1_3repE0EEENS1_30default_config_static_selectorELNS0_4arch9wavefront6targetE0EEEvT1_.private_seg_size, 0
	.set _ZN7rocprim17ROCPRIM_400000_NS6detail17trampoline_kernelINS0_14default_configENS1_25transform_config_selectorIaLb1EEEZNS1_14transform_implILb1ES3_S5_PaS7_NS0_8identityIaEEEE10hipError_tT2_T3_mT4_P12ihipStream_tbEUlT_E_NS1_11comp_targetILNS1_3genE8ELNS1_11target_archE1030ELNS1_3gpuE2ELNS1_3repE0EEENS1_30default_config_static_selectorELNS0_4arch9wavefront6targetE0EEEvT1_.uses_vcc, 0
	.set _ZN7rocprim17ROCPRIM_400000_NS6detail17trampoline_kernelINS0_14default_configENS1_25transform_config_selectorIaLb1EEEZNS1_14transform_implILb1ES3_S5_PaS7_NS0_8identityIaEEEE10hipError_tT2_T3_mT4_P12ihipStream_tbEUlT_E_NS1_11comp_targetILNS1_3genE8ELNS1_11target_archE1030ELNS1_3gpuE2ELNS1_3repE0EEENS1_30default_config_static_selectorELNS0_4arch9wavefront6targetE0EEEvT1_.uses_flat_scratch, 0
	.set _ZN7rocprim17ROCPRIM_400000_NS6detail17trampoline_kernelINS0_14default_configENS1_25transform_config_selectorIaLb1EEEZNS1_14transform_implILb1ES3_S5_PaS7_NS0_8identityIaEEEE10hipError_tT2_T3_mT4_P12ihipStream_tbEUlT_E_NS1_11comp_targetILNS1_3genE8ELNS1_11target_archE1030ELNS1_3gpuE2ELNS1_3repE0EEENS1_30default_config_static_selectorELNS0_4arch9wavefront6targetE0EEEvT1_.has_dyn_sized_stack, 0
	.set _ZN7rocprim17ROCPRIM_400000_NS6detail17trampoline_kernelINS0_14default_configENS1_25transform_config_selectorIaLb1EEEZNS1_14transform_implILb1ES3_S5_PaS7_NS0_8identityIaEEEE10hipError_tT2_T3_mT4_P12ihipStream_tbEUlT_E_NS1_11comp_targetILNS1_3genE8ELNS1_11target_archE1030ELNS1_3gpuE2ELNS1_3repE0EEENS1_30default_config_static_selectorELNS0_4arch9wavefront6targetE0EEEvT1_.has_recursion, 0
	.set _ZN7rocprim17ROCPRIM_400000_NS6detail17trampoline_kernelINS0_14default_configENS1_25transform_config_selectorIaLb1EEEZNS1_14transform_implILb1ES3_S5_PaS7_NS0_8identityIaEEEE10hipError_tT2_T3_mT4_P12ihipStream_tbEUlT_E_NS1_11comp_targetILNS1_3genE8ELNS1_11target_archE1030ELNS1_3gpuE2ELNS1_3repE0EEENS1_30default_config_static_selectorELNS0_4arch9wavefront6targetE0EEEvT1_.has_indirect_call, 0
	.section	.AMDGPU.csdata,"",@progbits
; Kernel info:
; codeLenInByte = 0
; TotalNumSgprs: 0
; NumVgprs: 0
; ScratchSize: 0
; MemoryBound: 0
; FloatMode: 240
; IeeeMode: 1
; LDSByteSize: 0 bytes/workgroup (compile time only)
; SGPRBlocks: 0
; VGPRBlocks: 0
; NumSGPRsForWavesPerEU: 1
; NumVGPRsForWavesPerEU: 1
; NamedBarCnt: 0
; Occupancy: 16
; WaveLimiterHint : 0
; COMPUTE_PGM_RSRC2:SCRATCH_EN: 0
; COMPUTE_PGM_RSRC2:USER_SGPR: 2
; COMPUTE_PGM_RSRC2:TRAP_HANDLER: 0
; COMPUTE_PGM_RSRC2:TGID_X_EN: 1
; COMPUTE_PGM_RSRC2:TGID_Y_EN: 0
; COMPUTE_PGM_RSRC2:TGID_Z_EN: 0
; COMPUTE_PGM_RSRC2:TIDIG_COMP_CNT: 0
	.section	.text._ZN7rocprim17ROCPRIM_400000_NS6detail17trampoline_kernelINS0_14default_configENS1_38merge_sort_block_merge_config_selectorIaNS0_10empty_typeEEEZZNS1_27merge_sort_block_merge_implIS3_PaPS5_jNS1_19radix_merge_compareILb1ELb1EaNS0_19identity_decomposerEEEEE10hipError_tT0_T1_T2_jT3_P12ihipStream_tbPNSt15iterator_traitsISE_E10value_typeEPNSK_ISF_E10value_typeEPSG_NS1_7vsmem_tEENKUlT_SE_SF_SG_E_clIS8_S8_S9_S9_EESD_ST_SE_SF_SG_EUlST_E_NS1_11comp_targetILNS1_3genE0ELNS1_11target_archE4294967295ELNS1_3gpuE0ELNS1_3repE0EEENS1_48merge_mergepath_partition_config_static_selectorELNS0_4arch9wavefront6targetE0EEEvSF_,"axG",@progbits,_ZN7rocprim17ROCPRIM_400000_NS6detail17trampoline_kernelINS0_14default_configENS1_38merge_sort_block_merge_config_selectorIaNS0_10empty_typeEEEZZNS1_27merge_sort_block_merge_implIS3_PaPS5_jNS1_19radix_merge_compareILb1ELb1EaNS0_19identity_decomposerEEEEE10hipError_tT0_T1_T2_jT3_P12ihipStream_tbPNSt15iterator_traitsISE_E10value_typeEPNSK_ISF_E10value_typeEPSG_NS1_7vsmem_tEENKUlT_SE_SF_SG_E_clIS8_S8_S9_S9_EESD_ST_SE_SF_SG_EUlST_E_NS1_11comp_targetILNS1_3genE0ELNS1_11target_archE4294967295ELNS1_3gpuE0ELNS1_3repE0EEENS1_48merge_mergepath_partition_config_static_selectorELNS0_4arch9wavefront6targetE0EEEvSF_,comdat
	.protected	_ZN7rocprim17ROCPRIM_400000_NS6detail17trampoline_kernelINS0_14default_configENS1_38merge_sort_block_merge_config_selectorIaNS0_10empty_typeEEEZZNS1_27merge_sort_block_merge_implIS3_PaPS5_jNS1_19radix_merge_compareILb1ELb1EaNS0_19identity_decomposerEEEEE10hipError_tT0_T1_T2_jT3_P12ihipStream_tbPNSt15iterator_traitsISE_E10value_typeEPNSK_ISF_E10value_typeEPSG_NS1_7vsmem_tEENKUlT_SE_SF_SG_E_clIS8_S8_S9_S9_EESD_ST_SE_SF_SG_EUlST_E_NS1_11comp_targetILNS1_3genE0ELNS1_11target_archE4294967295ELNS1_3gpuE0ELNS1_3repE0EEENS1_48merge_mergepath_partition_config_static_selectorELNS0_4arch9wavefront6targetE0EEEvSF_ ; -- Begin function _ZN7rocprim17ROCPRIM_400000_NS6detail17trampoline_kernelINS0_14default_configENS1_38merge_sort_block_merge_config_selectorIaNS0_10empty_typeEEEZZNS1_27merge_sort_block_merge_implIS3_PaPS5_jNS1_19radix_merge_compareILb1ELb1EaNS0_19identity_decomposerEEEEE10hipError_tT0_T1_T2_jT3_P12ihipStream_tbPNSt15iterator_traitsISE_E10value_typeEPNSK_ISF_E10value_typeEPSG_NS1_7vsmem_tEENKUlT_SE_SF_SG_E_clIS8_S8_S9_S9_EESD_ST_SE_SF_SG_EUlST_E_NS1_11comp_targetILNS1_3genE0ELNS1_11target_archE4294967295ELNS1_3gpuE0ELNS1_3repE0EEENS1_48merge_mergepath_partition_config_static_selectorELNS0_4arch9wavefront6targetE0EEEvSF_
	.globl	_ZN7rocprim17ROCPRIM_400000_NS6detail17trampoline_kernelINS0_14default_configENS1_38merge_sort_block_merge_config_selectorIaNS0_10empty_typeEEEZZNS1_27merge_sort_block_merge_implIS3_PaPS5_jNS1_19radix_merge_compareILb1ELb1EaNS0_19identity_decomposerEEEEE10hipError_tT0_T1_T2_jT3_P12ihipStream_tbPNSt15iterator_traitsISE_E10value_typeEPNSK_ISF_E10value_typeEPSG_NS1_7vsmem_tEENKUlT_SE_SF_SG_E_clIS8_S8_S9_S9_EESD_ST_SE_SF_SG_EUlST_E_NS1_11comp_targetILNS1_3genE0ELNS1_11target_archE4294967295ELNS1_3gpuE0ELNS1_3repE0EEENS1_48merge_mergepath_partition_config_static_selectorELNS0_4arch9wavefront6targetE0EEEvSF_
	.p2align	8
	.type	_ZN7rocprim17ROCPRIM_400000_NS6detail17trampoline_kernelINS0_14default_configENS1_38merge_sort_block_merge_config_selectorIaNS0_10empty_typeEEEZZNS1_27merge_sort_block_merge_implIS3_PaPS5_jNS1_19radix_merge_compareILb1ELb1EaNS0_19identity_decomposerEEEEE10hipError_tT0_T1_T2_jT3_P12ihipStream_tbPNSt15iterator_traitsISE_E10value_typeEPNSK_ISF_E10value_typeEPSG_NS1_7vsmem_tEENKUlT_SE_SF_SG_E_clIS8_S8_S9_S9_EESD_ST_SE_SF_SG_EUlST_E_NS1_11comp_targetILNS1_3genE0ELNS1_11target_archE4294967295ELNS1_3gpuE0ELNS1_3repE0EEENS1_48merge_mergepath_partition_config_static_selectorELNS0_4arch9wavefront6targetE0EEEvSF_,@function
_ZN7rocprim17ROCPRIM_400000_NS6detail17trampoline_kernelINS0_14default_configENS1_38merge_sort_block_merge_config_selectorIaNS0_10empty_typeEEEZZNS1_27merge_sort_block_merge_implIS3_PaPS5_jNS1_19radix_merge_compareILb1ELb1EaNS0_19identity_decomposerEEEEE10hipError_tT0_T1_T2_jT3_P12ihipStream_tbPNSt15iterator_traitsISE_E10value_typeEPNSK_ISF_E10value_typeEPSG_NS1_7vsmem_tEENKUlT_SE_SF_SG_E_clIS8_S8_S9_S9_EESD_ST_SE_SF_SG_EUlST_E_NS1_11comp_targetILNS1_3genE0ELNS1_11target_archE4294967295ELNS1_3gpuE0ELNS1_3repE0EEENS1_48merge_mergepath_partition_config_static_selectorELNS0_4arch9wavefront6targetE0EEEvSF_: ; @_ZN7rocprim17ROCPRIM_400000_NS6detail17trampoline_kernelINS0_14default_configENS1_38merge_sort_block_merge_config_selectorIaNS0_10empty_typeEEEZZNS1_27merge_sort_block_merge_implIS3_PaPS5_jNS1_19radix_merge_compareILb1ELb1EaNS0_19identity_decomposerEEEEE10hipError_tT0_T1_T2_jT3_P12ihipStream_tbPNSt15iterator_traitsISE_E10value_typeEPNSK_ISF_E10value_typeEPSG_NS1_7vsmem_tEENKUlT_SE_SF_SG_E_clIS8_S8_S9_S9_EESD_ST_SE_SF_SG_EUlST_E_NS1_11comp_targetILNS1_3genE0ELNS1_11target_archE4294967295ELNS1_3gpuE0ELNS1_3repE0EEENS1_48merge_mergepath_partition_config_static_selectorELNS0_4arch9wavefront6targetE0EEEvSF_
; %bb.0:
	s_load_b32 s2, s[0:1], 0x0
	s_bfe_u32 s3, ttmp6, 0x4000c
	s_and_b32 s4, ttmp6, 15
	s_add_co_i32 s3, s3, 1
	s_getreg_b32 s5, hwreg(HW_REG_IB_STS2, 6, 4)
	s_mul_i32 s3, ttmp9, s3
	s_delay_alu instid0(SALU_CYCLE_1) | instskip(SKIP_2) | instid1(SALU_CYCLE_1)
	s_add_co_i32 s4, s4, s3
	s_cmp_eq_u32 s5, 0
	s_cselect_b32 s3, ttmp9, s4
	v_lshl_or_b32 v8, s3, 7, v0
	s_wait_kmcnt 0x0
	s_delay_alu instid0(VALU_DEP_1)
	v_cmp_gt_u32_e32 vcc_lo, s2, v8
	s_and_saveexec_b32 s2, vcc_lo
	s_cbranch_execz .LBB305_6
; %bb.1:
	s_load_b64 s[2:3], s[0:1], 0x4
	s_mov_b32 s7, exec_lo
	s_wait_kmcnt 0x0
	s_lshr_b32 s4, s2, 9
	s_delay_alu instid0(SALU_CYCLE_1) | instskip(NEXT) | instid1(SALU_CYCLE_1)
	s_and_b32 s4, s4, 0x7ffffe
	s_sub_co_i32 s5, 0, s4
	s_add_co_i32 s4, s4, -1
	s_delay_alu instid0(SALU_CYCLE_1) | instskip(NEXT) | instid1(VALU_DEP_1)
	v_and_b32_e32 v1, s4, v8
	v_dual_lshlrev_b32 v1, 10, v1 :: v_dual_bitop2_b32 v0, s5, v8 bitop3:0x40
	s_delay_alu instid0(VALU_DEP_1) | instskip(NEXT) | instid1(VALU_DEP_1)
	v_lshlrev_b32_e32 v0, 10, v0
	v_add_min_u32_e64 v2, v0, s2, s3
	v_min_u32_e32 v0, s3, v0
	s_delay_alu instid0(VALU_DEP_2) | instskip(SKIP_1) | instid1(VALU_DEP_1)
	v_add_min_u32_e64 v3, v2, s2, s3
	s_load_b64 s[2:3], s[0:1], 0x20
	v_dual_sub_nc_u32 v4, v3, v0 :: v_dual_sub_nc_u32 v3, v3, v2
	s_delay_alu instid0(VALU_DEP_1) | instskip(SKIP_1) | instid1(VALU_DEP_2)
	v_min_u32_e32 v10, v4, v1
	v_sub_nc_u32_e32 v1, v2, v0
	v_sub_nc_u32_e64 v9, v10, v3 clamp
	s_delay_alu instid0(VALU_DEP_2) | instskip(NEXT) | instid1(VALU_DEP_1)
	v_min_u32_e32 v11, v10, v1
	v_cmpx_lt_u32_e64 v9, v11
	s_cbranch_execz .LBB305_5
; %bb.2:
	s_load_b96 s[4:6], s[0:1], 0x10
	v_mov_b32_e32 v3, 0
	s_wait_xcnt 0x0
	s_mov_b32 s0, 0
	s_delay_alu instid0(VALU_DEP_1) | instskip(SKIP_1) | instid1(VALU_DEP_1)
	v_mov_b32_e32 v1, v3
	s_wait_kmcnt 0x0
	v_add_nc_u64_e32 v[4:5], s[4:5], v[0:1]
	v_add_nc_u64_e32 v[6:7], s[4:5], v[2:3]
.LBB305_3:                              ; =>This Inner Loop Header: Depth=1
	v_add_nc_u32_e32 v1, v11, v9
	s_delay_alu instid0(VALU_DEP_1) | instskip(NEXT) | instid1(VALU_DEP_1)
	v_dual_mov_b32 v13, v3 :: v_dual_lshrrev_b32 v2, 1, v1
	v_xad_u32 v12, v2, -1, v10
	v_add_nc_u64_e32 v[14:15], v[4:5], v[2:3]
	s_delay_alu instid0(VALU_DEP_2)
	v_add_nc_u64_e32 v[12:13], v[6:7], v[12:13]
	s_clause 0x1
	global_load_u8 v1, v[14:15], off
	global_load_u8 v16, v[12:13], off
	s_wait_loadcnt 0x1
	s_wait_xcnt 0x0
	v_dual_add_nc_u32 v13, 1, v2 :: v_dual_bitop2_b32 v1, s6, v1 bitop3:0x40
	s_wait_loadcnt 0x0
	v_and_b32_e32 v12, s6, v16
	s_delay_alu instid0(VALU_DEP_2) | instskip(NEXT) | instid1(VALU_DEP_2)
	v_bfe_i32 v1, v1, 0, 8
	v_bfe_i32 v12, v12, 0, 8
	s_delay_alu instid0(VALU_DEP_1) | instskip(SKIP_1) | instid1(VALU_DEP_1)
	v_cmp_gt_i16_e32 vcc_lo, v12, v1
	v_dual_cndmask_b32 v11, v11, v2, vcc_lo :: v_dual_cndmask_b32 v9, v13, v9, vcc_lo
	v_cmp_ge_u32_e32 vcc_lo, v9, v11
	s_or_b32 s0, vcc_lo, s0
	s_delay_alu instid0(SALU_CYCLE_1)
	s_and_not1_b32 exec_lo, exec_lo, s0
	s_cbranch_execnz .LBB305_3
; %bb.4:
	s_or_b32 exec_lo, exec_lo, s0
.LBB305_5:
	s_delay_alu instid0(SALU_CYCLE_1)
	s_or_b32 exec_lo, exec_lo, s7
	v_add_nc_u32_e32 v0, v9, v0
	s_wait_kmcnt 0x0
	global_store_b32 v8, v0, s[2:3] scale_offset
.LBB305_6:
	s_endpgm
	.section	.rodata,"a",@progbits
	.p2align	6, 0x0
	.amdhsa_kernel _ZN7rocprim17ROCPRIM_400000_NS6detail17trampoline_kernelINS0_14default_configENS1_38merge_sort_block_merge_config_selectorIaNS0_10empty_typeEEEZZNS1_27merge_sort_block_merge_implIS3_PaPS5_jNS1_19radix_merge_compareILb1ELb1EaNS0_19identity_decomposerEEEEE10hipError_tT0_T1_T2_jT3_P12ihipStream_tbPNSt15iterator_traitsISE_E10value_typeEPNSK_ISF_E10value_typeEPSG_NS1_7vsmem_tEENKUlT_SE_SF_SG_E_clIS8_S8_S9_S9_EESD_ST_SE_SF_SG_EUlST_E_NS1_11comp_targetILNS1_3genE0ELNS1_11target_archE4294967295ELNS1_3gpuE0ELNS1_3repE0EEENS1_48merge_mergepath_partition_config_static_selectorELNS0_4arch9wavefront6targetE0EEEvSF_
		.amdhsa_group_segment_fixed_size 0
		.amdhsa_private_segment_fixed_size 0
		.amdhsa_kernarg_size 40
		.amdhsa_user_sgpr_count 2
		.amdhsa_user_sgpr_dispatch_ptr 0
		.amdhsa_user_sgpr_queue_ptr 0
		.amdhsa_user_sgpr_kernarg_segment_ptr 1
		.amdhsa_user_sgpr_dispatch_id 0
		.amdhsa_user_sgpr_kernarg_preload_length 0
		.amdhsa_user_sgpr_kernarg_preload_offset 0
		.amdhsa_user_sgpr_private_segment_size 0
		.amdhsa_wavefront_size32 1
		.amdhsa_uses_dynamic_stack 0
		.amdhsa_enable_private_segment 0
		.amdhsa_system_sgpr_workgroup_id_x 1
		.amdhsa_system_sgpr_workgroup_id_y 0
		.amdhsa_system_sgpr_workgroup_id_z 0
		.amdhsa_system_sgpr_workgroup_info 0
		.amdhsa_system_vgpr_workitem_id 0
		.amdhsa_next_free_vgpr 17
		.amdhsa_next_free_sgpr 8
		.amdhsa_named_barrier_count 0
		.amdhsa_reserve_vcc 1
		.amdhsa_float_round_mode_32 0
		.amdhsa_float_round_mode_16_64 0
		.amdhsa_float_denorm_mode_32 3
		.amdhsa_float_denorm_mode_16_64 3
		.amdhsa_fp16_overflow 0
		.amdhsa_memory_ordered 1
		.amdhsa_forward_progress 1
		.amdhsa_inst_pref_size 4
		.amdhsa_round_robin_scheduling 0
		.amdhsa_exception_fp_ieee_invalid_op 0
		.amdhsa_exception_fp_denorm_src 0
		.amdhsa_exception_fp_ieee_div_zero 0
		.amdhsa_exception_fp_ieee_overflow 0
		.amdhsa_exception_fp_ieee_underflow 0
		.amdhsa_exception_fp_ieee_inexact 0
		.amdhsa_exception_int_div_zero 0
	.end_amdhsa_kernel
	.section	.text._ZN7rocprim17ROCPRIM_400000_NS6detail17trampoline_kernelINS0_14default_configENS1_38merge_sort_block_merge_config_selectorIaNS0_10empty_typeEEEZZNS1_27merge_sort_block_merge_implIS3_PaPS5_jNS1_19radix_merge_compareILb1ELb1EaNS0_19identity_decomposerEEEEE10hipError_tT0_T1_T2_jT3_P12ihipStream_tbPNSt15iterator_traitsISE_E10value_typeEPNSK_ISF_E10value_typeEPSG_NS1_7vsmem_tEENKUlT_SE_SF_SG_E_clIS8_S8_S9_S9_EESD_ST_SE_SF_SG_EUlST_E_NS1_11comp_targetILNS1_3genE0ELNS1_11target_archE4294967295ELNS1_3gpuE0ELNS1_3repE0EEENS1_48merge_mergepath_partition_config_static_selectorELNS0_4arch9wavefront6targetE0EEEvSF_,"axG",@progbits,_ZN7rocprim17ROCPRIM_400000_NS6detail17trampoline_kernelINS0_14default_configENS1_38merge_sort_block_merge_config_selectorIaNS0_10empty_typeEEEZZNS1_27merge_sort_block_merge_implIS3_PaPS5_jNS1_19radix_merge_compareILb1ELb1EaNS0_19identity_decomposerEEEEE10hipError_tT0_T1_T2_jT3_P12ihipStream_tbPNSt15iterator_traitsISE_E10value_typeEPNSK_ISF_E10value_typeEPSG_NS1_7vsmem_tEENKUlT_SE_SF_SG_E_clIS8_S8_S9_S9_EESD_ST_SE_SF_SG_EUlST_E_NS1_11comp_targetILNS1_3genE0ELNS1_11target_archE4294967295ELNS1_3gpuE0ELNS1_3repE0EEENS1_48merge_mergepath_partition_config_static_selectorELNS0_4arch9wavefront6targetE0EEEvSF_,comdat
.Lfunc_end305:
	.size	_ZN7rocprim17ROCPRIM_400000_NS6detail17trampoline_kernelINS0_14default_configENS1_38merge_sort_block_merge_config_selectorIaNS0_10empty_typeEEEZZNS1_27merge_sort_block_merge_implIS3_PaPS5_jNS1_19radix_merge_compareILb1ELb1EaNS0_19identity_decomposerEEEEE10hipError_tT0_T1_T2_jT3_P12ihipStream_tbPNSt15iterator_traitsISE_E10value_typeEPNSK_ISF_E10value_typeEPSG_NS1_7vsmem_tEENKUlT_SE_SF_SG_E_clIS8_S8_S9_S9_EESD_ST_SE_SF_SG_EUlST_E_NS1_11comp_targetILNS1_3genE0ELNS1_11target_archE4294967295ELNS1_3gpuE0ELNS1_3repE0EEENS1_48merge_mergepath_partition_config_static_selectorELNS0_4arch9wavefront6targetE0EEEvSF_, .Lfunc_end305-_ZN7rocprim17ROCPRIM_400000_NS6detail17trampoline_kernelINS0_14default_configENS1_38merge_sort_block_merge_config_selectorIaNS0_10empty_typeEEEZZNS1_27merge_sort_block_merge_implIS3_PaPS5_jNS1_19radix_merge_compareILb1ELb1EaNS0_19identity_decomposerEEEEE10hipError_tT0_T1_T2_jT3_P12ihipStream_tbPNSt15iterator_traitsISE_E10value_typeEPNSK_ISF_E10value_typeEPSG_NS1_7vsmem_tEENKUlT_SE_SF_SG_E_clIS8_S8_S9_S9_EESD_ST_SE_SF_SG_EUlST_E_NS1_11comp_targetILNS1_3genE0ELNS1_11target_archE4294967295ELNS1_3gpuE0ELNS1_3repE0EEENS1_48merge_mergepath_partition_config_static_selectorELNS0_4arch9wavefront6targetE0EEEvSF_
                                        ; -- End function
	.set _ZN7rocprim17ROCPRIM_400000_NS6detail17trampoline_kernelINS0_14default_configENS1_38merge_sort_block_merge_config_selectorIaNS0_10empty_typeEEEZZNS1_27merge_sort_block_merge_implIS3_PaPS5_jNS1_19radix_merge_compareILb1ELb1EaNS0_19identity_decomposerEEEEE10hipError_tT0_T1_T2_jT3_P12ihipStream_tbPNSt15iterator_traitsISE_E10value_typeEPNSK_ISF_E10value_typeEPSG_NS1_7vsmem_tEENKUlT_SE_SF_SG_E_clIS8_S8_S9_S9_EESD_ST_SE_SF_SG_EUlST_E_NS1_11comp_targetILNS1_3genE0ELNS1_11target_archE4294967295ELNS1_3gpuE0ELNS1_3repE0EEENS1_48merge_mergepath_partition_config_static_selectorELNS0_4arch9wavefront6targetE0EEEvSF_.num_vgpr, 17
	.set _ZN7rocprim17ROCPRIM_400000_NS6detail17trampoline_kernelINS0_14default_configENS1_38merge_sort_block_merge_config_selectorIaNS0_10empty_typeEEEZZNS1_27merge_sort_block_merge_implIS3_PaPS5_jNS1_19radix_merge_compareILb1ELb1EaNS0_19identity_decomposerEEEEE10hipError_tT0_T1_T2_jT3_P12ihipStream_tbPNSt15iterator_traitsISE_E10value_typeEPNSK_ISF_E10value_typeEPSG_NS1_7vsmem_tEENKUlT_SE_SF_SG_E_clIS8_S8_S9_S9_EESD_ST_SE_SF_SG_EUlST_E_NS1_11comp_targetILNS1_3genE0ELNS1_11target_archE4294967295ELNS1_3gpuE0ELNS1_3repE0EEENS1_48merge_mergepath_partition_config_static_selectorELNS0_4arch9wavefront6targetE0EEEvSF_.num_agpr, 0
	.set _ZN7rocprim17ROCPRIM_400000_NS6detail17trampoline_kernelINS0_14default_configENS1_38merge_sort_block_merge_config_selectorIaNS0_10empty_typeEEEZZNS1_27merge_sort_block_merge_implIS3_PaPS5_jNS1_19radix_merge_compareILb1ELb1EaNS0_19identity_decomposerEEEEE10hipError_tT0_T1_T2_jT3_P12ihipStream_tbPNSt15iterator_traitsISE_E10value_typeEPNSK_ISF_E10value_typeEPSG_NS1_7vsmem_tEENKUlT_SE_SF_SG_E_clIS8_S8_S9_S9_EESD_ST_SE_SF_SG_EUlST_E_NS1_11comp_targetILNS1_3genE0ELNS1_11target_archE4294967295ELNS1_3gpuE0ELNS1_3repE0EEENS1_48merge_mergepath_partition_config_static_selectorELNS0_4arch9wavefront6targetE0EEEvSF_.numbered_sgpr, 8
	.set _ZN7rocprim17ROCPRIM_400000_NS6detail17trampoline_kernelINS0_14default_configENS1_38merge_sort_block_merge_config_selectorIaNS0_10empty_typeEEEZZNS1_27merge_sort_block_merge_implIS3_PaPS5_jNS1_19radix_merge_compareILb1ELb1EaNS0_19identity_decomposerEEEEE10hipError_tT0_T1_T2_jT3_P12ihipStream_tbPNSt15iterator_traitsISE_E10value_typeEPNSK_ISF_E10value_typeEPSG_NS1_7vsmem_tEENKUlT_SE_SF_SG_E_clIS8_S8_S9_S9_EESD_ST_SE_SF_SG_EUlST_E_NS1_11comp_targetILNS1_3genE0ELNS1_11target_archE4294967295ELNS1_3gpuE0ELNS1_3repE0EEENS1_48merge_mergepath_partition_config_static_selectorELNS0_4arch9wavefront6targetE0EEEvSF_.num_named_barrier, 0
	.set _ZN7rocprim17ROCPRIM_400000_NS6detail17trampoline_kernelINS0_14default_configENS1_38merge_sort_block_merge_config_selectorIaNS0_10empty_typeEEEZZNS1_27merge_sort_block_merge_implIS3_PaPS5_jNS1_19radix_merge_compareILb1ELb1EaNS0_19identity_decomposerEEEEE10hipError_tT0_T1_T2_jT3_P12ihipStream_tbPNSt15iterator_traitsISE_E10value_typeEPNSK_ISF_E10value_typeEPSG_NS1_7vsmem_tEENKUlT_SE_SF_SG_E_clIS8_S8_S9_S9_EESD_ST_SE_SF_SG_EUlST_E_NS1_11comp_targetILNS1_3genE0ELNS1_11target_archE4294967295ELNS1_3gpuE0ELNS1_3repE0EEENS1_48merge_mergepath_partition_config_static_selectorELNS0_4arch9wavefront6targetE0EEEvSF_.private_seg_size, 0
	.set _ZN7rocprim17ROCPRIM_400000_NS6detail17trampoline_kernelINS0_14default_configENS1_38merge_sort_block_merge_config_selectorIaNS0_10empty_typeEEEZZNS1_27merge_sort_block_merge_implIS3_PaPS5_jNS1_19radix_merge_compareILb1ELb1EaNS0_19identity_decomposerEEEEE10hipError_tT0_T1_T2_jT3_P12ihipStream_tbPNSt15iterator_traitsISE_E10value_typeEPNSK_ISF_E10value_typeEPSG_NS1_7vsmem_tEENKUlT_SE_SF_SG_E_clIS8_S8_S9_S9_EESD_ST_SE_SF_SG_EUlST_E_NS1_11comp_targetILNS1_3genE0ELNS1_11target_archE4294967295ELNS1_3gpuE0ELNS1_3repE0EEENS1_48merge_mergepath_partition_config_static_selectorELNS0_4arch9wavefront6targetE0EEEvSF_.uses_vcc, 1
	.set _ZN7rocprim17ROCPRIM_400000_NS6detail17trampoline_kernelINS0_14default_configENS1_38merge_sort_block_merge_config_selectorIaNS0_10empty_typeEEEZZNS1_27merge_sort_block_merge_implIS3_PaPS5_jNS1_19radix_merge_compareILb1ELb1EaNS0_19identity_decomposerEEEEE10hipError_tT0_T1_T2_jT3_P12ihipStream_tbPNSt15iterator_traitsISE_E10value_typeEPNSK_ISF_E10value_typeEPSG_NS1_7vsmem_tEENKUlT_SE_SF_SG_E_clIS8_S8_S9_S9_EESD_ST_SE_SF_SG_EUlST_E_NS1_11comp_targetILNS1_3genE0ELNS1_11target_archE4294967295ELNS1_3gpuE0ELNS1_3repE0EEENS1_48merge_mergepath_partition_config_static_selectorELNS0_4arch9wavefront6targetE0EEEvSF_.uses_flat_scratch, 0
	.set _ZN7rocprim17ROCPRIM_400000_NS6detail17trampoline_kernelINS0_14default_configENS1_38merge_sort_block_merge_config_selectorIaNS0_10empty_typeEEEZZNS1_27merge_sort_block_merge_implIS3_PaPS5_jNS1_19radix_merge_compareILb1ELb1EaNS0_19identity_decomposerEEEEE10hipError_tT0_T1_T2_jT3_P12ihipStream_tbPNSt15iterator_traitsISE_E10value_typeEPNSK_ISF_E10value_typeEPSG_NS1_7vsmem_tEENKUlT_SE_SF_SG_E_clIS8_S8_S9_S9_EESD_ST_SE_SF_SG_EUlST_E_NS1_11comp_targetILNS1_3genE0ELNS1_11target_archE4294967295ELNS1_3gpuE0ELNS1_3repE0EEENS1_48merge_mergepath_partition_config_static_selectorELNS0_4arch9wavefront6targetE0EEEvSF_.has_dyn_sized_stack, 0
	.set _ZN7rocprim17ROCPRIM_400000_NS6detail17trampoline_kernelINS0_14default_configENS1_38merge_sort_block_merge_config_selectorIaNS0_10empty_typeEEEZZNS1_27merge_sort_block_merge_implIS3_PaPS5_jNS1_19radix_merge_compareILb1ELb1EaNS0_19identity_decomposerEEEEE10hipError_tT0_T1_T2_jT3_P12ihipStream_tbPNSt15iterator_traitsISE_E10value_typeEPNSK_ISF_E10value_typeEPSG_NS1_7vsmem_tEENKUlT_SE_SF_SG_E_clIS8_S8_S9_S9_EESD_ST_SE_SF_SG_EUlST_E_NS1_11comp_targetILNS1_3genE0ELNS1_11target_archE4294967295ELNS1_3gpuE0ELNS1_3repE0EEENS1_48merge_mergepath_partition_config_static_selectorELNS0_4arch9wavefront6targetE0EEEvSF_.has_recursion, 0
	.set _ZN7rocprim17ROCPRIM_400000_NS6detail17trampoline_kernelINS0_14default_configENS1_38merge_sort_block_merge_config_selectorIaNS0_10empty_typeEEEZZNS1_27merge_sort_block_merge_implIS3_PaPS5_jNS1_19radix_merge_compareILb1ELb1EaNS0_19identity_decomposerEEEEE10hipError_tT0_T1_T2_jT3_P12ihipStream_tbPNSt15iterator_traitsISE_E10value_typeEPNSK_ISF_E10value_typeEPSG_NS1_7vsmem_tEENKUlT_SE_SF_SG_E_clIS8_S8_S9_S9_EESD_ST_SE_SF_SG_EUlST_E_NS1_11comp_targetILNS1_3genE0ELNS1_11target_archE4294967295ELNS1_3gpuE0ELNS1_3repE0EEENS1_48merge_mergepath_partition_config_static_selectorELNS0_4arch9wavefront6targetE0EEEvSF_.has_indirect_call, 0
	.section	.AMDGPU.csdata,"",@progbits
; Kernel info:
; codeLenInByte = 456
; TotalNumSgprs: 10
; NumVgprs: 17
; ScratchSize: 0
; MemoryBound: 0
; FloatMode: 240
; IeeeMode: 1
; LDSByteSize: 0 bytes/workgroup (compile time only)
; SGPRBlocks: 0
; VGPRBlocks: 1
; NumSGPRsForWavesPerEU: 10
; NumVGPRsForWavesPerEU: 17
; NamedBarCnt: 0
; Occupancy: 16
; WaveLimiterHint : 0
; COMPUTE_PGM_RSRC2:SCRATCH_EN: 0
; COMPUTE_PGM_RSRC2:USER_SGPR: 2
; COMPUTE_PGM_RSRC2:TRAP_HANDLER: 0
; COMPUTE_PGM_RSRC2:TGID_X_EN: 1
; COMPUTE_PGM_RSRC2:TGID_Y_EN: 0
; COMPUTE_PGM_RSRC2:TGID_Z_EN: 0
; COMPUTE_PGM_RSRC2:TIDIG_COMP_CNT: 0
	.section	.text._ZN7rocprim17ROCPRIM_400000_NS6detail17trampoline_kernelINS0_14default_configENS1_38merge_sort_block_merge_config_selectorIaNS0_10empty_typeEEEZZNS1_27merge_sort_block_merge_implIS3_PaPS5_jNS1_19radix_merge_compareILb1ELb1EaNS0_19identity_decomposerEEEEE10hipError_tT0_T1_T2_jT3_P12ihipStream_tbPNSt15iterator_traitsISE_E10value_typeEPNSK_ISF_E10value_typeEPSG_NS1_7vsmem_tEENKUlT_SE_SF_SG_E_clIS8_S8_S9_S9_EESD_ST_SE_SF_SG_EUlST_E_NS1_11comp_targetILNS1_3genE10ELNS1_11target_archE1201ELNS1_3gpuE5ELNS1_3repE0EEENS1_48merge_mergepath_partition_config_static_selectorELNS0_4arch9wavefront6targetE0EEEvSF_,"axG",@progbits,_ZN7rocprim17ROCPRIM_400000_NS6detail17trampoline_kernelINS0_14default_configENS1_38merge_sort_block_merge_config_selectorIaNS0_10empty_typeEEEZZNS1_27merge_sort_block_merge_implIS3_PaPS5_jNS1_19radix_merge_compareILb1ELb1EaNS0_19identity_decomposerEEEEE10hipError_tT0_T1_T2_jT3_P12ihipStream_tbPNSt15iterator_traitsISE_E10value_typeEPNSK_ISF_E10value_typeEPSG_NS1_7vsmem_tEENKUlT_SE_SF_SG_E_clIS8_S8_S9_S9_EESD_ST_SE_SF_SG_EUlST_E_NS1_11comp_targetILNS1_3genE10ELNS1_11target_archE1201ELNS1_3gpuE5ELNS1_3repE0EEENS1_48merge_mergepath_partition_config_static_selectorELNS0_4arch9wavefront6targetE0EEEvSF_,comdat
	.protected	_ZN7rocprim17ROCPRIM_400000_NS6detail17trampoline_kernelINS0_14default_configENS1_38merge_sort_block_merge_config_selectorIaNS0_10empty_typeEEEZZNS1_27merge_sort_block_merge_implIS3_PaPS5_jNS1_19radix_merge_compareILb1ELb1EaNS0_19identity_decomposerEEEEE10hipError_tT0_T1_T2_jT3_P12ihipStream_tbPNSt15iterator_traitsISE_E10value_typeEPNSK_ISF_E10value_typeEPSG_NS1_7vsmem_tEENKUlT_SE_SF_SG_E_clIS8_S8_S9_S9_EESD_ST_SE_SF_SG_EUlST_E_NS1_11comp_targetILNS1_3genE10ELNS1_11target_archE1201ELNS1_3gpuE5ELNS1_3repE0EEENS1_48merge_mergepath_partition_config_static_selectorELNS0_4arch9wavefront6targetE0EEEvSF_ ; -- Begin function _ZN7rocprim17ROCPRIM_400000_NS6detail17trampoline_kernelINS0_14default_configENS1_38merge_sort_block_merge_config_selectorIaNS0_10empty_typeEEEZZNS1_27merge_sort_block_merge_implIS3_PaPS5_jNS1_19radix_merge_compareILb1ELb1EaNS0_19identity_decomposerEEEEE10hipError_tT0_T1_T2_jT3_P12ihipStream_tbPNSt15iterator_traitsISE_E10value_typeEPNSK_ISF_E10value_typeEPSG_NS1_7vsmem_tEENKUlT_SE_SF_SG_E_clIS8_S8_S9_S9_EESD_ST_SE_SF_SG_EUlST_E_NS1_11comp_targetILNS1_3genE10ELNS1_11target_archE1201ELNS1_3gpuE5ELNS1_3repE0EEENS1_48merge_mergepath_partition_config_static_selectorELNS0_4arch9wavefront6targetE0EEEvSF_
	.globl	_ZN7rocprim17ROCPRIM_400000_NS6detail17trampoline_kernelINS0_14default_configENS1_38merge_sort_block_merge_config_selectorIaNS0_10empty_typeEEEZZNS1_27merge_sort_block_merge_implIS3_PaPS5_jNS1_19radix_merge_compareILb1ELb1EaNS0_19identity_decomposerEEEEE10hipError_tT0_T1_T2_jT3_P12ihipStream_tbPNSt15iterator_traitsISE_E10value_typeEPNSK_ISF_E10value_typeEPSG_NS1_7vsmem_tEENKUlT_SE_SF_SG_E_clIS8_S8_S9_S9_EESD_ST_SE_SF_SG_EUlST_E_NS1_11comp_targetILNS1_3genE10ELNS1_11target_archE1201ELNS1_3gpuE5ELNS1_3repE0EEENS1_48merge_mergepath_partition_config_static_selectorELNS0_4arch9wavefront6targetE0EEEvSF_
	.p2align	8
	.type	_ZN7rocprim17ROCPRIM_400000_NS6detail17trampoline_kernelINS0_14default_configENS1_38merge_sort_block_merge_config_selectorIaNS0_10empty_typeEEEZZNS1_27merge_sort_block_merge_implIS3_PaPS5_jNS1_19radix_merge_compareILb1ELb1EaNS0_19identity_decomposerEEEEE10hipError_tT0_T1_T2_jT3_P12ihipStream_tbPNSt15iterator_traitsISE_E10value_typeEPNSK_ISF_E10value_typeEPSG_NS1_7vsmem_tEENKUlT_SE_SF_SG_E_clIS8_S8_S9_S9_EESD_ST_SE_SF_SG_EUlST_E_NS1_11comp_targetILNS1_3genE10ELNS1_11target_archE1201ELNS1_3gpuE5ELNS1_3repE0EEENS1_48merge_mergepath_partition_config_static_selectorELNS0_4arch9wavefront6targetE0EEEvSF_,@function
_ZN7rocprim17ROCPRIM_400000_NS6detail17trampoline_kernelINS0_14default_configENS1_38merge_sort_block_merge_config_selectorIaNS0_10empty_typeEEEZZNS1_27merge_sort_block_merge_implIS3_PaPS5_jNS1_19radix_merge_compareILb1ELb1EaNS0_19identity_decomposerEEEEE10hipError_tT0_T1_T2_jT3_P12ihipStream_tbPNSt15iterator_traitsISE_E10value_typeEPNSK_ISF_E10value_typeEPSG_NS1_7vsmem_tEENKUlT_SE_SF_SG_E_clIS8_S8_S9_S9_EESD_ST_SE_SF_SG_EUlST_E_NS1_11comp_targetILNS1_3genE10ELNS1_11target_archE1201ELNS1_3gpuE5ELNS1_3repE0EEENS1_48merge_mergepath_partition_config_static_selectorELNS0_4arch9wavefront6targetE0EEEvSF_: ; @_ZN7rocprim17ROCPRIM_400000_NS6detail17trampoline_kernelINS0_14default_configENS1_38merge_sort_block_merge_config_selectorIaNS0_10empty_typeEEEZZNS1_27merge_sort_block_merge_implIS3_PaPS5_jNS1_19radix_merge_compareILb1ELb1EaNS0_19identity_decomposerEEEEE10hipError_tT0_T1_T2_jT3_P12ihipStream_tbPNSt15iterator_traitsISE_E10value_typeEPNSK_ISF_E10value_typeEPSG_NS1_7vsmem_tEENKUlT_SE_SF_SG_E_clIS8_S8_S9_S9_EESD_ST_SE_SF_SG_EUlST_E_NS1_11comp_targetILNS1_3genE10ELNS1_11target_archE1201ELNS1_3gpuE5ELNS1_3repE0EEENS1_48merge_mergepath_partition_config_static_selectorELNS0_4arch9wavefront6targetE0EEEvSF_
; %bb.0:
	.section	.rodata,"a",@progbits
	.p2align	6, 0x0
	.amdhsa_kernel _ZN7rocprim17ROCPRIM_400000_NS6detail17trampoline_kernelINS0_14default_configENS1_38merge_sort_block_merge_config_selectorIaNS0_10empty_typeEEEZZNS1_27merge_sort_block_merge_implIS3_PaPS5_jNS1_19radix_merge_compareILb1ELb1EaNS0_19identity_decomposerEEEEE10hipError_tT0_T1_T2_jT3_P12ihipStream_tbPNSt15iterator_traitsISE_E10value_typeEPNSK_ISF_E10value_typeEPSG_NS1_7vsmem_tEENKUlT_SE_SF_SG_E_clIS8_S8_S9_S9_EESD_ST_SE_SF_SG_EUlST_E_NS1_11comp_targetILNS1_3genE10ELNS1_11target_archE1201ELNS1_3gpuE5ELNS1_3repE0EEENS1_48merge_mergepath_partition_config_static_selectorELNS0_4arch9wavefront6targetE0EEEvSF_
		.amdhsa_group_segment_fixed_size 0
		.amdhsa_private_segment_fixed_size 0
		.amdhsa_kernarg_size 40
		.amdhsa_user_sgpr_count 2
		.amdhsa_user_sgpr_dispatch_ptr 0
		.amdhsa_user_sgpr_queue_ptr 0
		.amdhsa_user_sgpr_kernarg_segment_ptr 1
		.amdhsa_user_sgpr_dispatch_id 0
		.amdhsa_user_sgpr_kernarg_preload_length 0
		.amdhsa_user_sgpr_kernarg_preload_offset 0
		.amdhsa_user_sgpr_private_segment_size 0
		.amdhsa_wavefront_size32 1
		.amdhsa_uses_dynamic_stack 0
		.amdhsa_enable_private_segment 0
		.amdhsa_system_sgpr_workgroup_id_x 1
		.amdhsa_system_sgpr_workgroup_id_y 0
		.amdhsa_system_sgpr_workgroup_id_z 0
		.amdhsa_system_sgpr_workgroup_info 0
		.amdhsa_system_vgpr_workitem_id 0
		.amdhsa_next_free_vgpr 1
		.amdhsa_next_free_sgpr 1
		.amdhsa_named_barrier_count 0
		.amdhsa_reserve_vcc 0
		.amdhsa_float_round_mode_32 0
		.amdhsa_float_round_mode_16_64 0
		.amdhsa_float_denorm_mode_32 3
		.amdhsa_float_denorm_mode_16_64 3
		.amdhsa_fp16_overflow 0
		.amdhsa_memory_ordered 1
		.amdhsa_forward_progress 1
		.amdhsa_inst_pref_size 0
		.amdhsa_round_robin_scheduling 0
		.amdhsa_exception_fp_ieee_invalid_op 0
		.amdhsa_exception_fp_denorm_src 0
		.amdhsa_exception_fp_ieee_div_zero 0
		.amdhsa_exception_fp_ieee_overflow 0
		.amdhsa_exception_fp_ieee_underflow 0
		.amdhsa_exception_fp_ieee_inexact 0
		.amdhsa_exception_int_div_zero 0
	.end_amdhsa_kernel
	.section	.text._ZN7rocprim17ROCPRIM_400000_NS6detail17trampoline_kernelINS0_14default_configENS1_38merge_sort_block_merge_config_selectorIaNS0_10empty_typeEEEZZNS1_27merge_sort_block_merge_implIS3_PaPS5_jNS1_19radix_merge_compareILb1ELb1EaNS0_19identity_decomposerEEEEE10hipError_tT0_T1_T2_jT3_P12ihipStream_tbPNSt15iterator_traitsISE_E10value_typeEPNSK_ISF_E10value_typeEPSG_NS1_7vsmem_tEENKUlT_SE_SF_SG_E_clIS8_S8_S9_S9_EESD_ST_SE_SF_SG_EUlST_E_NS1_11comp_targetILNS1_3genE10ELNS1_11target_archE1201ELNS1_3gpuE5ELNS1_3repE0EEENS1_48merge_mergepath_partition_config_static_selectorELNS0_4arch9wavefront6targetE0EEEvSF_,"axG",@progbits,_ZN7rocprim17ROCPRIM_400000_NS6detail17trampoline_kernelINS0_14default_configENS1_38merge_sort_block_merge_config_selectorIaNS0_10empty_typeEEEZZNS1_27merge_sort_block_merge_implIS3_PaPS5_jNS1_19radix_merge_compareILb1ELb1EaNS0_19identity_decomposerEEEEE10hipError_tT0_T1_T2_jT3_P12ihipStream_tbPNSt15iterator_traitsISE_E10value_typeEPNSK_ISF_E10value_typeEPSG_NS1_7vsmem_tEENKUlT_SE_SF_SG_E_clIS8_S8_S9_S9_EESD_ST_SE_SF_SG_EUlST_E_NS1_11comp_targetILNS1_3genE10ELNS1_11target_archE1201ELNS1_3gpuE5ELNS1_3repE0EEENS1_48merge_mergepath_partition_config_static_selectorELNS0_4arch9wavefront6targetE0EEEvSF_,comdat
.Lfunc_end306:
	.size	_ZN7rocprim17ROCPRIM_400000_NS6detail17trampoline_kernelINS0_14default_configENS1_38merge_sort_block_merge_config_selectorIaNS0_10empty_typeEEEZZNS1_27merge_sort_block_merge_implIS3_PaPS5_jNS1_19radix_merge_compareILb1ELb1EaNS0_19identity_decomposerEEEEE10hipError_tT0_T1_T2_jT3_P12ihipStream_tbPNSt15iterator_traitsISE_E10value_typeEPNSK_ISF_E10value_typeEPSG_NS1_7vsmem_tEENKUlT_SE_SF_SG_E_clIS8_S8_S9_S9_EESD_ST_SE_SF_SG_EUlST_E_NS1_11comp_targetILNS1_3genE10ELNS1_11target_archE1201ELNS1_3gpuE5ELNS1_3repE0EEENS1_48merge_mergepath_partition_config_static_selectorELNS0_4arch9wavefront6targetE0EEEvSF_, .Lfunc_end306-_ZN7rocprim17ROCPRIM_400000_NS6detail17trampoline_kernelINS0_14default_configENS1_38merge_sort_block_merge_config_selectorIaNS0_10empty_typeEEEZZNS1_27merge_sort_block_merge_implIS3_PaPS5_jNS1_19radix_merge_compareILb1ELb1EaNS0_19identity_decomposerEEEEE10hipError_tT0_T1_T2_jT3_P12ihipStream_tbPNSt15iterator_traitsISE_E10value_typeEPNSK_ISF_E10value_typeEPSG_NS1_7vsmem_tEENKUlT_SE_SF_SG_E_clIS8_S8_S9_S9_EESD_ST_SE_SF_SG_EUlST_E_NS1_11comp_targetILNS1_3genE10ELNS1_11target_archE1201ELNS1_3gpuE5ELNS1_3repE0EEENS1_48merge_mergepath_partition_config_static_selectorELNS0_4arch9wavefront6targetE0EEEvSF_
                                        ; -- End function
	.set _ZN7rocprim17ROCPRIM_400000_NS6detail17trampoline_kernelINS0_14default_configENS1_38merge_sort_block_merge_config_selectorIaNS0_10empty_typeEEEZZNS1_27merge_sort_block_merge_implIS3_PaPS5_jNS1_19radix_merge_compareILb1ELb1EaNS0_19identity_decomposerEEEEE10hipError_tT0_T1_T2_jT3_P12ihipStream_tbPNSt15iterator_traitsISE_E10value_typeEPNSK_ISF_E10value_typeEPSG_NS1_7vsmem_tEENKUlT_SE_SF_SG_E_clIS8_S8_S9_S9_EESD_ST_SE_SF_SG_EUlST_E_NS1_11comp_targetILNS1_3genE10ELNS1_11target_archE1201ELNS1_3gpuE5ELNS1_3repE0EEENS1_48merge_mergepath_partition_config_static_selectorELNS0_4arch9wavefront6targetE0EEEvSF_.num_vgpr, 0
	.set _ZN7rocprim17ROCPRIM_400000_NS6detail17trampoline_kernelINS0_14default_configENS1_38merge_sort_block_merge_config_selectorIaNS0_10empty_typeEEEZZNS1_27merge_sort_block_merge_implIS3_PaPS5_jNS1_19radix_merge_compareILb1ELb1EaNS0_19identity_decomposerEEEEE10hipError_tT0_T1_T2_jT3_P12ihipStream_tbPNSt15iterator_traitsISE_E10value_typeEPNSK_ISF_E10value_typeEPSG_NS1_7vsmem_tEENKUlT_SE_SF_SG_E_clIS8_S8_S9_S9_EESD_ST_SE_SF_SG_EUlST_E_NS1_11comp_targetILNS1_3genE10ELNS1_11target_archE1201ELNS1_3gpuE5ELNS1_3repE0EEENS1_48merge_mergepath_partition_config_static_selectorELNS0_4arch9wavefront6targetE0EEEvSF_.num_agpr, 0
	.set _ZN7rocprim17ROCPRIM_400000_NS6detail17trampoline_kernelINS0_14default_configENS1_38merge_sort_block_merge_config_selectorIaNS0_10empty_typeEEEZZNS1_27merge_sort_block_merge_implIS3_PaPS5_jNS1_19radix_merge_compareILb1ELb1EaNS0_19identity_decomposerEEEEE10hipError_tT0_T1_T2_jT3_P12ihipStream_tbPNSt15iterator_traitsISE_E10value_typeEPNSK_ISF_E10value_typeEPSG_NS1_7vsmem_tEENKUlT_SE_SF_SG_E_clIS8_S8_S9_S9_EESD_ST_SE_SF_SG_EUlST_E_NS1_11comp_targetILNS1_3genE10ELNS1_11target_archE1201ELNS1_3gpuE5ELNS1_3repE0EEENS1_48merge_mergepath_partition_config_static_selectorELNS0_4arch9wavefront6targetE0EEEvSF_.numbered_sgpr, 0
	.set _ZN7rocprim17ROCPRIM_400000_NS6detail17trampoline_kernelINS0_14default_configENS1_38merge_sort_block_merge_config_selectorIaNS0_10empty_typeEEEZZNS1_27merge_sort_block_merge_implIS3_PaPS5_jNS1_19radix_merge_compareILb1ELb1EaNS0_19identity_decomposerEEEEE10hipError_tT0_T1_T2_jT3_P12ihipStream_tbPNSt15iterator_traitsISE_E10value_typeEPNSK_ISF_E10value_typeEPSG_NS1_7vsmem_tEENKUlT_SE_SF_SG_E_clIS8_S8_S9_S9_EESD_ST_SE_SF_SG_EUlST_E_NS1_11comp_targetILNS1_3genE10ELNS1_11target_archE1201ELNS1_3gpuE5ELNS1_3repE0EEENS1_48merge_mergepath_partition_config_static_selectorELNS0_4arch9wavefront6targetE0EEEvSF_.num_named_barrier, 0
	.set _ZN7rocprim17ROCPRIM_400000_NS6detail17trampoline_kernelINS0_14default_configENS1_38merge_sort_block_merge_config_selectorIaNS0_10empty_typeEEEZZNS1_27merge_sort_block_merge_implIS3_PaPS5_jNS1_19radix_merge_compareILb1ELb1EaNS0_19identity_decomposerEEEEE10hipError_tT0_T1_T2_jT3_P12ihipStream_tbPNSt15iterator_traitsISE_E10value_typeEPNSK_ISF_E10value_typeEPSG_NS1_7vsmem_tEENKUlT_SE_SF_SG_E_clIS8_S8_S9_S9_EESD_ST_SE_SF_SG_EUlST_E_NS1_11comp_targetILNS1_3genE10ELNS1_11target_archE1201ELNS1_3gpuE5ELNS1_3repE0EEENS1_48merge_mergepath_partition_config_static_selectorELNS0_4arch9wavefront6targetE0EEEvSF_.private_seg_size, 0
	.set _ZN7rocprim17ROCPRIM_400000_NS6detail17trampoline_kernelINS0_14default_configENS1_38merge_sort_block_merge_config_selectorIaNS0_10empty_typeEEEZZNS1_27merge_sort_block_merge_implIS3_PaPS5_jNS1_19radix_merge_compareILb1ELb1EaNS0_19identity_decomposerEEEEE10hipError_tT0_T1_T2_jT3_P12ihipStream_tbPNSt15iterator_traitsISE_E10value_typeEPNSK_ISF_E10value_typeEPSG_NS1_7vsmem_tEENKUlT_SE_SF_SG_E_clIS8_S8_S9_S9_EESD_ST_SE_SF_SG_EUlST_E_NS1_11comp_targetILNS1_3genE10ELNS1_11target_archE1201ELNS1_3gpuE5ELNS1_3repE0EEENS1_48merge_mergepath_partition_config_static_selectorELNS0_4arch9wavefront6targetE0EEEvSF_.uses_vcc, 0
	.set _ZN7rocprim17ROCPRIM_400000_NS6detail17trampoline_kernelINS0_14default_configENS1_38merge_sort_block_merge_config_selectorIaNS0_10empty_typeEEEZZNS1_27merge_sort_block_merge_implIS3_PaPS5_jNS1_19radix_merge_compareILb1ELb1EaNS0_19identity_decomposerEEEEE10hipError_tT0_T1_T2_jT3_P12ihipStream_tbPNSt15iterator_traitsISE_E10value_typeEPNSK_ISF_E10value_typeEPSG_NS1_7vsmem_tEENKUlT_SE_SF_SG_E_clIS8_S8_S9_S9_EESD_ST_SE_SF_SG_EUlST_E_NS1_11comp_targetILNS1_3genE10ELNS1_11target_archE1201ELNS1_3gpuE5ELNS1_3repE0EEENS1_48merge_mergepath_partition_config_static_selectorELNS0_4arch9wavefront6targetE0EEEvSF_.uses_flat_scratch, 0
	.set _ZN7rocprim17ROCPRIM_400000_NS6detail17trampoline_kernelINS0_14default_configENS1_38merge_sort_block_merge_config_selectorIaNS0_10empty_typeEEEZZNS1_27merge_sort_block_merge_implIS3_PaPS5_jNS1_19radix_merge_compareILb1ELb1EaNS0_19identity_decomposerEEEEE10hipError_tT0_T1_T2_jT3_P12ihipStream_tbPNSt15iterator_traitsISE_E10value_typeEPNSK_ISF_E10value_typeEPSG_NS1_7vsmem_tEENKUlT_SE_SF_SG_E_clIS8_S8_S9_S9_EESD_ST_SE_SF_SG_EUlST_E_NS1_11comp_targetILNS1_3genE10ELNS1_11target_archE1201ELNS1_3gpuE5ELNS1_3repE0EEENS1_48merge_mergepath_partition_config_static_selectorELNS0_4arch9wavefront6targetE0EEEvSF_.has_dyn_sized_stack, 0
	.set _ZN7rocprim17ROCPRIM_400000_NS6detail17trampoline_kernelINS0_14default_configENS1_38merge_sort_block_merge_config_selectorIaNS0_10empty_typeEEEZZNS1_27merge_sort_block_merge_implIS3_PaPS5_jNS1_19radix_merge_compareILb1ELb1EaNS0_19identity_decomposerEEEEE10hipError_tT0_T1_T2_jT3_P12ihipStream_tbPNSt15iterator_traitsISE_E10value_typeEPNSK_ISF_E10value_typeEPSG_NS1_7vsmem_tEENKUlT_SE_SF_SG_E_clIS8_S8_S9_S9_EESD_ST_SE_SF_SG_EUlST_E_NS1_11comp_targetILNS1_3genE10ELNS1_11target_archE1201ELNS1_3gpuE5ELNS1_3repE0EEENS1_48merge_mergepath_partition_config_static_selectorELNS0_4arch9wavefront6targetE0EEEvSF_.has_recursion, 0
	.set _ZN7rocprim17ROCPRIM_400000_NS6detail17trampoline_kernelINS0_14default_configENS1_38merge_sort_block_merge_config_selectorIaNS0_10empty_typeEEEZZNS1_27merge_sort_block_merge_implIS3_PaPS5_jNS1_19radix_merge_compareILb1ELb1EaNS0_19identity_decomposerEEEEE10hipError_tT0_T1_T2_jT3_P12ihipStream_tbPNSt15iterator_traitsISE_E10value_typeEPNSK_ISF_E10value_typeEPSG_NS1_7vsmem_tEENKUlT_SE_SF_SG_E_clIS8_S8_S9_S9_EESD_ST_SE_SF_SG_EUlST_E_NS1_11comp_targetILNS1_3genE10ELNS1_11target_archE1201ELNS1_3gpuE5ELNS1_3repE0EEENS1_48merge_mergepath_partition_config_static_selectorELNS0_4arch9wavefront6targetE0EEEvSF_.has_indirect_call, 0
	.section	.AMDGPU.csdata,"",@progbits
; Kernel info:
; codeLenInByte = 0
; TotalNumSgprs: 0
; NumVgprs: 0
; ScratchSize: 0
; MemoryBound: 0
; FloatMode: 240
; IeeeMode: 1
; LDSByteSize: 0 bytes/workgroup (compile time only)
; SGPRBlocks: 0
; VGPRBlocks: 0
; NumSGPRsForWavesPerEU: 1
; NumVGPRsForWavesPerEU: 1
; NamedBarCnt: 0
; Occupancy: 16
; WaveLimiterHint : 0
; COMPUTE_PGM_RSRC2:SCRATCH_EN: 0
; COMPUTE_PGM_RSRC2:USER_SGPR: 2
; COMPUTE_PGM_RSRC2:TRAP_HANDLER: 0
; COMPUTE_PGM_RSRC2:TGID_X_EN: 1
; COMPUTE_PGM_RSRC2:TGID_Y_EN: 0
; COMPUTE_PGM_RSRC2:TGID_Z_EN: 0
; COMPUTE_PGM_RSRC2:TIDIG_COMP_CNT: 0
	.section	.text._ZN7rocprim17ROCPRIM_400000_NS6detail17trampoline_kernelINS0_14default_configENS1_38merge_sort_block_merge_config_selectorIaNS0_10empty_typeEEEZZNS1_27merge_sort_block_merge_implIS3_PaPS5_jNS1_19radix_merge_compareILb1ELb1EaNS0_19identity_decomposerEEEEE10hipError_tT0_T1_T2_jT3_P12ihipStream_tbPNSt15iterator_traitsISE_E10value_typeEPNSK_ISF_E10value_typeEPSG_NS1_7vsmem_tEENKUlT_SE_SF_SG_E_clIS8_S8_S9_S9_EESD_ST_SE_SF_SG_EUlST_E_NS1_11comp_targetILNS1_3genE5ELNS1_11target_archE942ELNS1_3gpuE9ELNS1_3repE0EEENS1_48merge_mergepath_partition_config_static_selectorELNS0_4arch9wavefront6targetE0EEEvSF_,"axG",@progbits,_ZN7rocprim17ROCPRIM_400000_NS6detail17trampoline_kernelINS0_14default_configENS1_38merge_sort_block_merge_config_selectorIaNS0_10empty_typeEEEZZNS1_27merge_sort_block_merge_implIS3_PaPS5_jNS1_19radix_merge_compareILb1ELb1EaNS0_19identity_decomposerEEEEE10hipError_tT0_T1_T2_jT3_P12ihipStream_tbPNSt15iterator_traitsISE_E10value_typeEPNSK_ISF_E10value_typeEPSG_NS1_7vsmem_tEENKUlT_SE_SF_SG_E_clIS8_S8_S9_S9_EESD_ST_SE_SF_SG_EUlST_E_NS1_11comp_targetILNS1_3genE5ELNS1_11target_archE942ELNS1_3gpuE9ELNS1_3repE0EEENS1_48merge_mergepath_partition_config_static_selectorELNS0_4arch9wavefront6targetE0EEEvSF_,comdat
	.protected	_ZN7rocprim17ROCPRIM_400000_NS6detail17trampoline_kernelINS0_14default_configENS1_38merge_sort_block_merge_config_selectorIaNS0_10empty_typeEEEZZNS1_27merge_sort_block_merge_implIS3_PaPS5_jNS1_19radix_merge_compareILb1ELb1EaNS0_19identity_decomposerEEEEE10hipError_tT0_T1_T2_jT3_P12ihipStream_tbPNSt15iterator_traitsISE_E10value_typeEPNSK_ISF_E10value_typeEPSG_NS1_7vsmem_tEENKUlT_SE_SF_SG_E_clIS8_S8_S9_S9_EESD_ST_SE_SF_SG_EUlST_E_NS1_11comp_targetILNS1_3genE5ELNS1_11target_archE942ELNS1_3gpuE9ELNS1_3repE0EEENS1_48merge_mergepath_partition_config_static_selectorELNS0_4arch9wavefront6targetE0EEEvSF_ ; -- Begin function _ZN7rocprim17ROCPRIM_400000_NS6detail17trampoline_kernelINS0_14default_configENS1_38merge_sort_block_merge_config_selectorIaNS0_10empty_typeEEEZZNS1_27merge_sort_block_merge_implIS3_PaPS5_jNS1_19radix_merge_compareILb1ELb1EaNS0_19identity_decomposerEEEEE10hipError_tT0_T1_T2_jT3_P12ihipStream_tbPNSt15iterator_traitsISE_E10value_typeEPNSK_ISF_E10value_typeEPSG_NS1_7vsmem_tEENKUlT_SE_SF_SG_E_clIS8_S8_S9_S9_EESD_ST_SE_SF_SG_EUlST_E_NS1_11comp_targetILNS1_3genE5ELNS1_11target_archE942ELNS1_3gpuE9ELNS1_3repE0EEENS1_48merge_mergepath_partition_config_static_selectorELNS0_4arch9wavefront6targetE0EEEvSF_
	.globl	_ZN7rocprim17ROCPRIM_400000_NS6detail17trampoline_kernelINS0_14default_configENS1_38merge_sort_block_merge_config_selectorIaNS0_10empty_typeEEEZZNS1_27merge_sort_block_merge_implIS3_PaPS5_jNS1_19radix_merge_compareILb1ELb1EaNS0_19identity_decomposerEEEEE10hipError_tT0_T1_T2_jT3_P12ihipStream_tbPNSt15iterator_traitsISE_E10value_typeEPNSK_ISF_E10value_typeEPSG_NS1_7vsmem_tEENKUlT_SE_SF_SG_E_clIS8_S8_S9_S9_EESD_ST_SE_SF_SG_EUlST_E_NS1_11comp_targetILNS1_3genE5ELNS1_11target_archE942ELNS1_3gpuE9ELNS1_3repE0EEENS1_48merge_mergepath_partition_config_static_selectorELNS0_4arch9wavefront6targetE0EEEvSF_
	.p2align	8
	.type	_ZN7rocprim17ROCPRIM_400000_NS6detail17trampoline_kernelINS0_14default_configENS1_38merge_sort_block_merge_config_selectorIaNS0_10empty_typeEEEZZNS1_27merge_sort_block_merge_implIS3_PaPS5_jNS1_19radix_merge_compareILb1ELb1EaNS0_19identity_decomposerEEEEE10hipError_tT0_T1_T2_jT3_P12ihipStream_tbPNSt15iterator_traitsISE_E10value_typeEPNSK_ISF_E10value_typeEPSG_NS1_7vsmem_tEENKUlT_SE_SF_SG_E_clIS8_S8_S9_S9_EESD_ST_SE_SF_SG_EUlST_E_NS1_11comp_targetILNS1_3genE5ELNS1_11target_archE942ELNS1_3gpuE9ELNS1_3repE0EEENS1_48merge_mergepath_partition_config_static_selectorELNS0_4arch9wavefront6targetE0EEEvSF_,@function
_ZN7rocprim17ROCPRIM_400000_NS6detail17trampoline_kernelINS0_14default_configENS1_38merge_sort_block_merge_config_selectorIaNS0_10empty_typeEEEZZNS1_27merge_sort_block_merge_implIS3_PaPS5_jNS1_19radix_merge_compareILb1ELb1EaNS0_19identity_decomposerEEEEE10hipError_tT0_T1_T2_jT3_P12ihipStream_tbPNSt15iterator_traitsISE_E10value_typeEPNSK_ISF_E10value_typeEPSG_NS1_7vsmem_tEENKUlT_SE_SF_SG_E_clIS8_S8_S9_S9_EESD_ST_SE_SF_SG_EUlST_E_NS1_11comp_targetILNS1_3genE5ELNS1_11target_archE942ELNS1_3gpuE9ELNS1_3repE0EEENS1_48merge_mergepath_partition_config_static_selectorELNS0_4arch9wavefront6targetE0EEEvSF_: ; @_ZN7rocprim17ROCPRIM_400000_NS6detail17trampoline_kernelINS0_14default_configENS1_38merge_sort_block_merge_config_selectorIaNS0_10empty_typeEEEZZNS1_27merge_sort_block_merge_implIS3_PaPS5_jNS1_19radix_merge_compareILb1ELb1EaNS0_19identity_decomposerEEEEE10hipError_tT0_T1_T2_jT3_P12ihipStream_tbPNSt15iterator_traitsISE_E10value_typeEPNSK_ISF_E10value_typeEPSG_NS1_7vsmem_tEENKUlT_SE_SF_SG_E_clIS8_S8_S9_S9_EESD_ST_SE_SF_SG_EUlST_E_NS1_11comp_targetILNS1_3genE5ELNS1_11target_archE942ELNS1_3gpuE9ELNS1_3repE0EEENS1_48merge_mergepath_partition_config_static_selectorELNS0_4arch9wavefront6targetE0EEEvSF_
; %bb.0:
	.section	.rodata,"a",@progbits
	.p2align	6, 0x0
	.amdhsa_kernel _ZN7rocprim17ROCPRIM_400000_NS6detail17trampoline_kernelINS0_14default_configENS1_38merge_sort_block_merge_config_selectorIaNS0_10empty_typeEEEZZNS1_27merge_sort_block_merge_implIS3_PaPS5_jNS1_19radix_merge_compareILb1ELb1EaNS0_19identity_decomposerEEEEE10hipError_tT0_T1_T2_jT3_P12ihipStream_tbPNSt15iterator_traitsISE_E10value_typeEPNSK_ISF_E10value_typeEPSG_NS1_7vsmem_tEENKUlT_SE_SF_SG_E_clIS8_S8_S9_S9_EESD_ST_SE_SF_SG_EUlST_E_NS1_11comp_targetILNS1_3genE5ELNS1_11target_archE942ELNS1_3gpuE9ELNS1_3repE0EEENS1_48merge_mergepath_partition_config_static_selectorELNS0_4arch9wavefront6targetE0EEEvSF_
		.amdhsa_group_segment_fixed_size 0
		.amdhsa_private_segment_fixed_size 0
		.amdhsa_kernarg_size 40
		.amdhsa_user_sgpr_count 2
		.amdhsa_user_sgpr_dispatch_ptr 0
		.amdhsa_user_sgpr_queue_ptr 0
		.amdhsa_user_sgpr_kernarg_segment_ptr 1
		.amdhsa_user_sgpr_dispatch_id 0
		.amdhsa_user_sgpr_kernarg_preload_length 0
		.amdhsa_user_sgpr_kernarg_preload_offset 0
		.amdhsa_user_sgpr_private_segment_size 0
		.amdhsa_wavefront_size32 1
		.amdhsa_uses_dynamic_stack 0
		.amdhsa_enable_private_segment 0
		.amdhsa_system_sgpr_workgroup_id_x 1
		.amdhsa_system_sgpr_workgroup_id_y 0
		.amdhsa_system_sgpr_workgroup_id_z 0
		.amdhsa_system_sgpr_workgroup_info 0
		.amdhsa_system_vgpr_workitem_id 0
		.amdhsa_next_free_vgpr 1
		.amdhsa_next_free_sgpr 1
		.amdhsa_named_barrier_count 0
		.amdhsa_reserve_vcc 0
		.amdhsa_float_round_mode_32 0
		.amdhsa_float_round_mode_16_64 0
		.amdhsa_float_denorm_mode_32 3
		.amdhsa_float_denorm_mode_16_64 3
		.amdhsa_fp16_overflow 0
		.amdhsa_memory_ordered 1
		.amdhsa_forward_progress 1
		.amdhsa_inst_pref_size 0
		.amdhsa_round_robin_scheduling 0
		.amdhsa_exception_fp_ieee_invalid_op 0
		.amdhsa_exception_fp_denorm_src 0
		.amdhsa_exception_fp_ieee_div_zero 0
		.amdhsa_exception_fp_ieee_overflow 0
		.amdhsa_exception_fp_ieee_underflow 0
		.amdhsa_exception_fp_ieee_inexact 0
		.amdhsa_exception_int_div_zero 0
	.end_amdhsa_kernel
	.section	.text._ZN7rocprim17ROCPRIM_400000_NS6detail17trampoline_kernelINS0_14default_configENS1_38merge_sort_block_merge_config_selectorIaNS0_10empty_typeEEEZZNS1_27merge_sort_block_merge_implIS3_PaPS5_jNS1_19radix_merge_compareILb1ELb1EaNS0_19identity_decomposerEEEEE10hipError_tT0_T1_T2_jT3_P12ihipStream_tbPNSt15iterator_traitsISE_E10value_typeEPNSK_ISF_E10value_typeEPSG_NS1_7vsmem_tEENKUlT_SE_SF_SG_E_clIS8_S8_S9_S9_EESD_ST_SE_SF_SG_EUlST_E_NS1_11comp_targetILNS1_3genE5ELNS1_11target_archE942ELNS1_3gpuE9ELNS1_3repE0EEENS1_48merge_mergepath_partition_config_static_selectorELNS0_4arch9wavefront6targetE0EEEvSF_,"axG",@progbits,_ZN7rocprim17ROCPRIM_400000_NS6detail17trampoline_kernelINS0_14default_configENS1_38merge_sort_block_merge_config_selectorIaNS0_10empty_typeEEEZZNS1_27merge_sort_block_merge_implIS3_PaPS5_jNS1_19radix_merge_compareILb1ELb1EaNS0_19identity_decomposerEEEEE10hipError_tT0_T1_T2_jT3_P12ihipStream_tbPNSt15iterator_traitsISE_E10value_typeEPNSK_ISF_E10value_typeEPSG_NS1_7vsmem_tEENKUlT_SE_SF_SG_E_clIS8_S8_S9_S9_EESD_ST_SE_SF_SG_EUlST_E_NS1_11comp_targetILNS1_3genE5ELNS1_11target_archE942ELNS1_3gpuE9ELNS1_3repE0EEENS1_48merge_mergepath_partition_config_static_selectorELNS0_4arch9wavefront6targetE0EEEvSF_,comdat
.Lfunc_end307:
	.size	_ZN7rocprim17ROCPRIM_400000_NS6detail17trampoline_kernelINS0_14default_configENS1_38merge_sort_block_merge_config_selectorIaNS0_10empty_typeEEEZZNS1_27merge_sort_block_merge_implIS3_PaPS5_jNS1_19radix_merge_compareILb1ELb1EaNS0_19identity_decomposerEEEEE10hipError_tT0_T1_T2_jT3_P12ihipStream_tbPNSt15iterator_traitsISE_E10value_typeEPNSK_ISF_E10value_typeEPSG_NS1_7vsmem_tEENKUlT_SE_SF_SG_E_clIS8_S8_S9_S9_EESD_ST_SE_SF_SG_EUlST_E_NS1_11comp_targetILNS1_3genE5ELNS1_11target_archE942ELNS1_3gpuE9ELNS1_3repE0EEENS1_48merge_mergepath_partition_config_static_selectorELNS0_4arch9wavefront6targetE0EEEvSF_, .Lfunc_end307-_ZN7rocprim17ROCPRIM_400000_NS6detail17trampoline_kernelINS0_14default_configENS1_38merge_sort_block_merge_config_selectorIaNS0_10empty_typeEEEZZNS1_27merge_sort_block_merge_implIS3_PaPS5_jNS1_19radix_merge_compareILb1ELb1EaNS0_19identity_decomposerEEEEE10hipError_tT0_T1_T2_jT3_P12ihipStream_tbPNSt15iterator_traitsISE_E10value_typeEPNSK_ISF_E10value_typeEPSG_NS1_7vsmem_tEENKUlT_SE_SF_SG_E_clIS8_S8_S9_S9_EESD_ST_SE_SF_SG_EUlST_E_NS1_11comp_targetILNS1_3genE5ELNS1_11target_archE942ELNS1_3gpuE9ELNS1_3repE0EEENS1_48merge_mergepath_partition_config_static_selectorELNS0_4arch9wavefront6targetE0EEEvSF_
                                        ; -- End function
	.set _ZN7rocprim17ROCPRIM_400000_NS6detail17trampoline_kernelINS0_14default_configENS1_38merge_sort_block_merge_config_selectorIaNS0_10empty_typeEEEZZNS1_27merge_sort_block_merge_implIS3_PaPS5_jNS1_19radix_merge_compareILb1ELb1EaNS0_19identity_decomposerEEEEE10hipError_tT0_T1_T2_jT3_P12ihipStream_tbPNSt15iterator_traitsISE_E10value_typeEPNSK_ISF_E10value_typeEPSG_NS1_7vsmem_tEENKUlT_SE_SF_SG_E_clIS8_S8_S9_S9_EESD_ST_SE_SF_SG_EUlST_E_NS1_11comp_targetILNS1_3genE5ELNS1_11target_archE942ELNS1_3gpuE9ELNS1_3repE0EEENS1_48merge_mergepath_partition_config_static_selectorELNS0_4arch9wavefront6targetE0EEEvSF_.num_vgpr, 0
	.set _ZN7rocprim17ROCPRIM_400000_NS6detail17trampoline_kernelINS0_14default_configENS1_38merge_sort_block_merge_config_selectorIaNS0_10empty_typeEEEZZNS1_27merge_sort_block_merge_implIS3_PaPS5_jNS1_19radix_merge_compareILb1ELb1EaNS0_19identity_decomposerEEEEE10hipError_tT0_T1_T2_jT3_P12ihipStream_tbPNSt15iterator_traitsISE_E10value_typeEPNSK_ISF_E10value_typeEPSG_NS1_7vsmem_tEENKUlT_SE_SF_SG_E_clIS8_S8_S9_S9_EESD_ST_SE_SF_SG_EUlST_E_NS1_11comp_targetILNS1_3genE5ELNS1_11target_archE942ELNS1_3gpuE9ELNS1_3repE0EEENS1_48merge_mergepath_partition_config_static_selectorELNS0_4arch9wavefront6targetE0EEEvSF_.num_agpr, 0
	.set _ZN7rocprim17ROCPRIM_400000_NS6detail17trampoline_kernelINS0_14default_configENS1_38merge_sort_block_merge_config_selectorIaNS0_10empty_typeEEEZZNS1_27merge_sort_block_merge_implIS3_PaPS5_jNS1_19radix_merge_compareILb1ELb1EaNS0_19identity_decomposerEEEEE10hipError_tT0_T1_T2_jT3_P12ihipStream_tbPNSt15iterator_traitsISE_E10value_typeEPNSK_ISF_E10value_typeEPSG_NS1_7vsmem_tEENKUlT_SE_SF_SG_E_clIS8_S8_S9_S9_EESD_ST_SE_SF_SG_EUlST_E_NS1_11comp_targetILNS1_3genE5ELNS1_11target_archE942ELNS1_3gpuE9ELNS1_3repE0EEENS1_48merge_mergepath_partition_config_static_selectorELNS0_4arch9wavefront6targetE0EEEvSF_.numbered_sgpr, 0
	.set _ZN7rocprim17ROCPRIM_400000_NS6detail17trampoline_kernelINS0_14default_configENS1_38merge_sort_block_merge_config_selectorIaNS0_10empty_typeEEEZZNS1_27merge_sort_block_merge_implIS3_PaPS5_jNS1_19radix_merge_compareILb1ELb1EaNS0_19identity_decomposerEEEEE10hipError_tT0_T1_T2_jT3_P12ihipStream_tbPNSt15iterator_traitsISE_E10value_typeEPNSK_ISF_E10value_typeEPSG_NS1_7vsmem_tEENKUlT_SE_SF_SG_E_clIS8_S8_S9_S9_EESD_ST_SE_SF_SG_EUlST_E_NS1_11comp_targetILNS1_3genE5ELNS1_11target_archE942ELNS1_3gpuE9ELNS1_3repE0EEENS1_48merge_mergepath_partition_config_static_selectorELNS0_4arch9wavefront6targetE0EEEvSF_.num_named_barrier, 0
	.set _ZN7rocprim17ROCPRIM_400000_NS6detail17trampoline_kernelINS0_14default_configENS1_38merge_sort_block_merge_config_selectorIaNS0_10empty_typeEEEZZNS1_27merge_sort_block_merge_implIS3_PaPS5_jNS1_19radix_merge_compareILb1ELb1EaNS0_19identity_decomposerEEEEE10hipError_tT0_T1_T2_jT3_P12ihipStream_tbPNSt15iterator_traitsISE_E10value_typeEPNSK_ISF_E10value_typeEPSG_NS1_7vsmem_tEENKUlT_SE_SF_SG_E_clIS8_S8_S9_S9_EESD_ST_SE_SF_SG_EUlST_E_NS1_11comp_targetILNS1_3genE5ELNS1_11target_archE942ELNS1_3gpuE9ELNS1_3repE0EEENS1_48merge_mergepath_partition_config_static_selectorELNS0_4arch9wavefront6targetE0EEEvSF_.private_seg_size, 0
	.set _ZN7rocprim17ROCPRIM_400000_NS6detail17trampoline_kernelINS0_14default_configENS1_38merge_sort_block_merge_config_selectorIaNS0_10empty_typeEEEZZNS1_27merge_sort_block_merge_implIS3_PaPS5_jNS1_19radix_merge_compareILb1ELb1EaNS0_19identity_decomposerEEEEE10hipError_tT0_T1_T2_jT3_P12ihipStream_tbPNSt15iterator_traitsISE_E10value_typeEPNSK_ISF_E10value_typeEPSG_NS1_7vsmem_tEENKUlT_SE_SF_SG_E_clIS8_S8_S9_S9_EESD_ST_SE_SF_SG_EUlST_E_NS1_11comp_targetILNS1_3genE5ELNS1_11target_archE942ELNS1_3gpuE9ELNS1_3repE0EEENS1_48merge_mergepath_partition_config_static_selectorELNS0_4arch9wavefront6targetE0EEEvSF_.uses_vcc, 0
	.set _ZN7rocprim17ROCPRIM_400000_NS6detail17trampoline_kernelINS0_14default_configENS1_38merge_sort_block_merge_config_selectorIaNS0_10empty_typeEEEZZNS1_27merge_sort_block_merge_implIS3_PaPS5_jNS1_19radix_merge_compareILb1ELb1EaNS0_19identity_decomposerEEEEE10hipError_tT0_T1_T2_jT3_P12ihipStream_tbPNSt15iterator_traitsISE_E10value_typeEPNSK_ISF_E10value_typeEPSG_NS1_7vsmem_tEENKUlT_SE_SF_SG_E_clIS8_S8_S9_S9_EESD_ST_SE_SF_SG_EUlST_E_NS1_11comp_targetILNS1_3genE5ELNS1_11target_archE942ELNS1_3gpuE9ELNS1_3repE0EEENS1_48merge_mergepath_partition_config_static_selectorELNS0_4arch9wavefront6targetE0EEEvSF_.uses_flat_scratch, 0
	.set _ZN7rocprim17ROCPRIM_400000_NS6detail17trampoline_kernelINS0_14default_configENS1_38merge_sort_block_merge_config_selectorIaNS0_10empty_typeEEEZZNS1_27merge_sort_block_merge_implIS3_PaPS5_jNS1_19radix_merge_compareILb1ELb1EaNS0_19identity_decomposerEEEEE10hipError_tT0_T1_T2_jT3_P12ihipStream_tbPNSt15iterator_traitsISE_E10value_typeEPNSK_ISF_E10value_typeEPSG_NS1_7vsmem_tEENKUlT_SE_SF_SG_E_clIS8_S8_S9_S9_EESD_ST_SE_SF_SG_EUlST_E_NS1_11comp_targetILNS1_3genE5ELNS1_11target_archE942ELNS1_3gpuE9ELNS1_3repE0EEENS1_48merge_mergepath_partition_config_static_selectorELNS0_4arch9wavefront6targetE0EEEvSF_.has_dyn_sized_stack, 0
	.set _ZN7rocprim17ROCPRIM_400000_NS6detail17trampoline_kernelINS0_14default_configENS1_38merge_sort_block_merge_config_selectorIaNS0_10empty_typeEEEZZNS1_27merge_sort_block_merge_implIS3_PaPS5_jNS1_19radix_merge_compareILb1ELb1EaNS0_19identity_decomposerEEEEE10hipError_tT0_T1_T2_jT3_P12ihipStream_tbPNSt15iterator_traitsISE_E10value_typeEPNSK_ISF_E10value_typeEPSG_NS1_7vsmem_tEENKUlT_SE_SF_SG_E_clIS8_S8_S9_S9_EESD_ST_SE_SF_SG_EUlST_E_NS1_11comp_targetILNS1_3genE5ELNS1_11target_archE942ELNS1_3gpuE9ELNS1_3repE0EEENS1_48merge_mergepath_partition_config_static_selectorELNS0_4arch9wavefront6targetE0EEEvSF_.has_recursion, 0
	.set _ZN7rocprim17ROCPRIM_400000_NS6detail17trampoline_kernelINS0_14default_configENS1_38merge_sort_block_merge_config_selectorIaNS0_10empty_typeEEEZZNS1_27merge_sort_block_merge_implIS3_PaPS5_jNS1_19radix_merge_compareILb1ELb1EaNS0_19identity_decomposerEEEEE10hipError_tT0_T1_T2_jT3_P12ihipStream_tbPNSt15iterator_traitsISE_E10value_typeEPNSK_ISF_E10value_typeEPSG_NS1_7vsmem_tEENKUlT_SE_SF_SG_E_clIS8_S8_S9_S9_EESD_ST_SE_SF_SG_EUlST_E_NS1_11comp_targetILNS1_3genE5ELNS1_11target_archE942ELNS1_3gpuE9ELNS1_3repE0EEENS1_48merge_mergepath_partition_config_static_selectorELNS0_4arch9wavefront6targetE0EEEvSF_.has_indirect_call, 0
	.section	.AMDGPU.csdata,"",@progbits
; Kernel info:
; codeLenInByte = 0
; TotalNumSgprs: 0
; NumVgprs: 0
; ScratchSize: 0
; MemoryBound: 0
; FloatMode: 240
; IeeeMode: 1
; LDSByteSize: 0 bytes/workgroup (compile time only)
; SGPRBlocks: 0
; VGPRBlocks: 0
; NumSGPRsForWavesPerEU: 1
; NumVGPRsForWavesPerEU: 1
; NamedBarCnt: 0
; Occupancy: 16
; WaveLimiterHint : 0
; COMPUTE_PGM_RSRC2:SCRATCH_EN: 0
; COMPUTE_PGM_RSRC2:USER_SGPR: 2
; COMPUTE_PGM_RSRC2:TRAP_HANDLER: 0
; COMPUTE_PGM_RSRC2:TGID_X_EN: 1
; COMPUTE_PGM_RSRC2:TGID_Y_EN: 0
; COMPUTE_PGM_RSRC2:TGID_Z_EN: 0
; COMPUTE_PGM_RSRC2:TIDIG_COMP_CNT: 0
	.section	.text._ZN7rocprim17ROCPRIM_400000_NS6detail17trampoline_kernelINS0_14default_configENS1_38merge_sort_block_merge_config_selectorIaNS0_10empty_typeEEEZZNS1_27merge_sort_block_merge_implIS3_PaPS5_jNS1_19radix_merge_compareILb1ELb1EaNS0_19identity_decomposerEEEEE10hipError_tT0_T1_T2_jT3_P12ihipStream_tbPNSt15iterator_traitsISE_E10value_typeEPNSK_ISF_E10value_typeEPSG_NS1_7vsmem_tEENKUlT_SE_SF_SG_E_clIS8_S8_S9_S9_EESD_ST_SE_SF_SG_EUlST_E_NS1_11comp_targetILNS1_3genE4ELNS1_11target_archE910ELNS1_3gpuE8ELNS1_3repE0EEENS1_48merge_mergepath_partition_config_static_selectorELNS0_4arch9wavefront6targetE0EEEvSF_,"axG",@progbits,_ZN7rocprim17ROCPRIM_400000_NS6detail17trampoline_kernelINS0_14default_configENS1_38merge_sort_block_merge_config_selectorIaNS0_10empty_typeEEEZZNS1_27merge_sort_block_merge_implIS3_PaPS5_jNS1_19radix_merge_compareILb1ELb1EaNS0_19identity_decomposerEEEEE10hipError_tT0_T1_T2_jT3_P12ihipStream_tbPNSt15iterator_traitsISE_E10value_typeEPNSK_ISF_E10value_typeEPSG_NS1_7vsmem_tEENKUlT_SE_SF_SG_E_clIS8_S8_S9_S9_EESD_ST_SE_SF_SG_EUlST_E_NS1_11comp_targetILNS1_3genE4ELNS1_11target_archE910ELNS1_3gpuE8ELNS1_3repE0EEENS1_48merge_mergepath_partition_config_static_selectorELNS0_4arch9wavefront6targetE0EEEvSF_,comdat
	.protected	_ZN7rocprim17ROCPRIM_400000_NS6detail17trampoline_kernelINS0_14default_configENS1_38merge_sort_block_merge_config_selectorIaNS0_10empty_typeEEEZZNS1_27merge_sort_block_merge_implIS3_PaPS5_jNS1_19radix_merge_compareILb1ELb1EaNS0_19identity_decomposerEEEEE10hipError_tT0_T1_T2_jT3_P12ihipStream_tbPNSt15iterator_traitsISE_E10value_typeEPNSK_ISF_E10value_typeEPSG_NS1_7vsmem_tEENKUlT_SE_SF_SG_E_clIS8_S8_S9_S9_EESD_ST_SE_SF_SG_EUlST_E_NS1_11comp_targetILNS1_3genE4ELNS1_11target_archE910ELNS1_3gpuE8ELNS1_3repE0EEENS1_48merge_mergepath_partition_config_static_selectorELNS0_4arch9wavefront6targetE0EEEvSF_ ; -- Begin function _ZN7rocprim17ROCPRIM_400000_NS6detail17trampoline_kernelINS0_14default_configENS1_38merge_sort_block_merge_config_selectorIaNS0_10empty_typeEEEZZNS1_27merge_sort_block_merge_implIS3_PaPS5_jNS1_19radix_merge_compareILb1ELb1EaNS0_19identity_decomposerEEEEE10hipError_tT0_T1_T2_jT3_P12ihipStream_tbPNSt15iterator_traitsISE_E10value_typeEPNSK_ISF_E10value_typeEPSG_NS1_7vsmem_tEENKUlT_SE_SF_SG_E_clIS8_S8_S9_S9_EESD_ST_SE_SF_SG_EUlST_E_NS1_11comp_targetILNS1_3genE4ELNS1_11target_archE910ELNS1_3gpuE8ELNS1_3repE0EEENS1_48merge_mergepath_partition_config_static_selectorELNS0_4arch9wavefront6targetE0EEEvSF_
	.globl	_ZN7rocprim17ROCPRIM_400000_NS6detail17trampoline_kernelINS0_14default_configENS1_38merge_sort_block_merge_config_selectorIaNS0_10empty_typeEEEZZNS1_27merge_sort_block_merge_implIS3_PaPS5_jNS1_19radix_merge_compareILb1ELb1EaNS0_19identity_decomposerEEEEE10hipError_tT0_T1_T2_jT3_P12ihipStream_tbPNSt15iterator_traitsISE_E10value_typeEPNSK_ISF_E10value_typeEPSG_NS1_7vsmem_tEENKUlT_SE_SF_SG_E_clIS8_S8_S9_S9_EESD_ST_SE_SF_SG_EUlST_E_NS1_11comp_targetILNS1_3genE4ELNS1_11target_archE910ELNS1_3gpuE8ELNS1_3repE0EEENS1_48merge_mergepath_partition_config_static_selectorELNS0_4arch9wavefront6targetE0EEEvSF_
	.p2align	8
	.type	_ZN7rocprim17ROCPRIM_400000_NS6detail17trampoline_kernelINS0_14default_configENS1_38merge_sort_block_merge_config_selectorIaNS0_10empty_typeEEEZZNS1_27merge_sort_block_merge_implIS3_PaPS5_jNS1_19radix_merge_compareILb1ELb1EaNS0_19identity_decomposerEEEEE10hipError_tT0_T1_T2_jT3_P12ihipStream_tbPNSt15iterator_traitsISE_E10value_typeEPNSK_ISF_E10value_typeEPSG_NS1_7vsmem_tEENKUlT_SE_SF_SG_E_clIS8_S8_S9_S9_EESD_ST_SE_SF_SG_EUlST_E_NS1_11comp_targetILNS1_3genE4ELNS1_11target_archE910ELNS1_3gpuE8ELNS1_3repE0EEENS1_48merge_mergepath_partition_config_static_selectorELNS0_4arch9wavefront6targetE0EEEvSF_,@function
_ZN7rocprim17ROCPRIM_400000_NS6detail17trampoline_kernelINS0_14default_configENS1_38merge_sort_block_merge_config_selectorIaNS0_10empty_typeEEEZZNS1_27merge_sort_block_merge_implIS3_PaPS5_jNS1_19radix_merge_compareILb1ELb1EaNS0_19identity_decomposerEEEEE10hipError_tT0_T1_T2_jT3_P12ihipStream_tbPNSt15iterator_traitsISE_E10value_typeEPNSK_ISF_E10value_typeEPSG_NS1_7vsmem_tEENKUlT_SE_SF_SG_E_clIS8_S8_S9_S9_EESD_ST_SE_SF_SG_EUlST_E_NS1_11comp_targetILNS1_3genE4ELNS1_11target_archE910ELNS1_3gpuE8ELNS1_3repE0EEENS1_48merge_mergepath_partition_config_static_selectorELNS0_4arch9wavefront6targetE0EEEvSF_: ; @_ZN7rocprim17ROCPRIM_400000_NS6detail17trampoline_kernelINS0_14default_configENS1_38merge_sort_block_merge_config_selectorIaNS0_10empty_typeEEEZZNS1_27merge_sort_block_merge_implIS3_PaPS5_jNS1_19radix_merge_compareILb1ELb1EaNS0_19identity_decomposerEEEEE10hipError_tT0_T1_T2_jT3_P12ihipStream_tbPNSt15iterator_traitsISE_E10value_typeEPNSK_ISF_E10value_typeEPSG_NS1_7vsmem_tEENKUlT_SE_SF_SG_E_clIS8_S8_S9_S9_EESD_ST_SE_SF_SG_EUlST_E_NS1_11comp_targetILNS1_3genE4ELNS1_11target_archE910ELNS1_3gpuE8ELNS1_3repE0EEENS1_48merge_mergepath_partition_config_static_selectorELNS0_4arch9wavefront6targetE0EEEvSF_
; %bb.0:
	.section	.rodata,"a",@progbits
	.p2align	6, 0x0
	.amdhsa_kernel _ZN7rocprim17ROCPRIM_400000_NS6detail17trampoline_kernelINS0_14default_configENS1_38merge_sort_block_merge_config_selectorIaNS0_10empty_typeEEEZZNS1_27merge_sort_block_merge_implIS3_PaPS5_jNS1_19radix_merge_compareILb1ELb1EaNS0_19identity_decomposerEEEEE10hipError_tT0_T1_T2_jT3_P12ihipStream_tbPNSt15iterator_traitsISE_E10value_typeEPNSK_ISF_E10value_typeEPSG_NS1_7vsmem_tEENKUlT_SE_SF_SG_E_clIS8_S8_S9_S9_EESD_ST_SE_SF_SG_EUlST_E_NS1_11comp_targetILNS1_3genE4ELNS1_11target_archE910ELNS1_3gpuE8ELNS1_3repE0EEENS1_48merge_mergepath_partition_config_static_selectorELNS0_4arch9wavefront6targetE0EEEvSF_
		.amdhsa_group_segment_fixed_size 0
		.amdhsa_private_segment_fixed_size 0
		.amdhsa_kernarg_size 40
		.amdhsa_user_sgpr_count 2
		.amdhsa_user_sgpr_dispatch_ptr 0
		.amdhsa_user_sgpr_queue_ptr 0
		.amdhsa_user_sgpr_kernarg_segment_ptr 1
		.amdhsa_user_sgpr_dispatch_id 0
		.amdhsa_user_sgpr_kernarg_preload_length 0
		.amdhsa_user_sgpr_kernarg_preload_offset 0
		.amdhsa_user_sgpr_private_segment_size 0
		.amdhsa_wavefront_size32 1
		.amdhsa_uses_dynamic_stack 0
		.amdhsa_enable_private_segment 0
		.amdhsa_system_sgpr_workgroup_id_x 1
		.amdhsa_system_sgpr_workgroup_id_y 0
		.amdhsa_system_sgpr_workgroup_id_z 0
		.amdhsa_system_sgpr_workgroup_info 0
		.amdhsa_system_vgpr_workitem_id 0
		.amdhsa_next_free_vgpr 1
		.amdhsa_next_free_sgpr 1
		.amdhsa_named_barrier_count 0
		.amdhsa_reserve_vcc 0
		.amdhsa_float_round_mode_32 0
		.amdhsa_float_round_mode_16_64 0
		.amdhsa_float_denorm_mode_32 3
		.amdhsa_float_denorm_mode_16_64 3
		.amdhsa_fp16_overflow 0
		.amdhsa_memory_ordered 1
		.amdhsa_forward_progress 1
		.amdhsa_inst_pref_size 0
		.amdhsa_round_robin_scheduling 0
		.amdhsa_exception_fp_ieee_invalid_op 0
		.amdhsa_exception_fp_denorm_src 0
		.amdhsa_exception_fp_ieee_div_zero 0
		.amdhsa_exception_fp_ieee_overflow 0
		.amdhsa_exception_fp_ieee_underflow 0
		.amdhsa_exception_fp_ieee_inexact 0
		.amdhsa_exception_int_div_zero 0
	.end_amdhsa_kernel
	.section	.text._ZN7rocprim17ROCPRIM_400000_NS6detail17trampoline_kernelINS0_14default_configENS1_38merge_sort_block_merge_config_selectorIaNS0_10empty_typeEEEZZNS1_27merge_sort_block_merge_implIS3_PaPS5_jNS1_19radix_merge_compareILb1ELb1EaNS0_19identity_decomposerEEEEE10hipError_tT0_T1_T2_jT3_P12ihipStream_tbPNSt15iterator_traitsISE_E10value_typeEPNSK_ISF_E10value_typeEPSG_NS1_7vsmem_tEENKUlT_SE_SF_SG_E_clIS8_S8_S9_S9_EESD_ST_SE_SF_SG_EUlST_E_NS1_11comp_targetILNS1_3genE4ELNS1_11target_archE910ELNS1_3gpuE8ELNS1_3repE0EEENS1_48merge_mergepath_partition_config_static_selectorELNS0_4arch9wavefront6targetE0EEEvSF_,"axG",@progbits,_ZN7rocprim17ROCPRIM_400000_NS6detail17trampoline_kernelINS0_14default_configENS1_38merge_sort_block_merge_config_selectorIaNS0_10empty_typeEEEZZNS1_27merge_sort_block_merge_implIS3_PaPS5_jNS1_19radix_merge_compareILb1ELb1EaNS0_19identity_decomposerEEEEE10hipError_tT0_T1_T2_jT3_P12ihipStream_tbPNSt15iterator_traitsISE_E10value_typeEPNSK_ISF_E10value_typeEPSG_NS1_7vsmem_tEENKUlT_SE_SF_SG_E_clIS8_S8_S9_S9_EESD_ST_SE_SF_SG_EUlST_E_NS1_11comp_targetILNS1_3genE4ELNS1_11target_archE910ELNS1_3gpuE8ELNS1_3repE0EEENS1_48merge_mergepath_partition_config_static_selectorELNS0_4arch9wavefront6targetE0EEEvSF_,comdat
.Lfunc_end308:
	.size	_ZN7rocprim17ROCPRIM_400000_NS6detail17trampoline_kernelINS0_14default_configENS1_38merge_sort_block_merge_config_selectorIaNS0_10empty_typeEEEZZNS1_27merge_sort_block_merge_implIS3_PaPS5_jNS1_19radix_merge_compareILb1ELb1EaNS0_19identity_decomposerEEEEE10hipError_tT0_T1_T2_jT3_P12ihipStream_tbPNSt15iterator_traitsISE_E10value_typeEPNSK_ISF_E10value_typeEPSG_NS1_7vsmem_tEENKUlT_SE_SF_SG_E_clIS8_S8_S9_S9_EESD_ST_SE_SF_SG_EUlST_E_NS1_11comp_targetILNS1_3genE4ELNS1_11target_archE910ELNS1_3gpuE8ELNS1_3repE0EEENS1_48merge_mergepath_partition_config_static_selectorELNS0_4arch9wavefront6targetE0EEEvSF_, .Lfunc_end308-_ZN7rocprim17ROCPRIM_400000_NS6detail17trampoline_kernelINS0_14default_configENS1_38merge_sort_block_merge_config_selectorIaNS0_10empty_typeEEEZZNS1_27merge_sort_block_merge_implIS3_PaPS5_jNS1_19radix_merge_compareILb1ELb1EaNS0_19identity_decomposerEEEEE10hipError_tT0_T1_T2_jT3_P12ihipStream_tbPNSt15iterator_traitsISE_E10value_typeEPNSK_ISF_E10value_typeEPSG_NS1_7vsmem_tEENKUlT_SE_SF_SG_E_clIS8_S8_S9_S9_EESD_ST_SE_SF_SG_EUlST_E_NS1_11comp_targetILNS1_3genE4ELNS1_11target_archE910ELNS1_3gpuE8ELNS1_3repE0EEENS1_48merge_mergepath_partition_config_static_selectorELNS0_4arch9wavefront6targetE0EEEvSF_
                                        ; -- End function
	.set _ZN7rocprim17ROCPRIM_400000_NS6detail17trampoline_kernelINS0_14default_configENS1_38merge_sort_block_merge_config_selectorIaNS0_10empty_typeEEEZZNS1_27merge_sort_block_merge_implIS3_PaPS5_jNS1_19radix_merge_compareILb1ELb1EaNS0_19identity_decomposerEEEEE10hipError_tT0_T1_T2_jT3_P12ihipStream_tbPNSt15iterator_traitsISE_E10value_typeEPNSK_ISF_E10value_typeEPSG_NS1_7vsmem_tEENKUlT_SE_SF_SG_E_clIS8_S8_S9_S9_EESD_ST_SE_SF_SG_EUlST_E_NS1_11comp_targetILNS1_3genE4ELNS1_11target_archE910ELNS1_3gpuE8ELNS1_3repE0EEENS1_48merge_mergepath_partition_config_static_selectorELNS0_4arch9wavefront6targetE0EEEvSF_.num_vgpr, 0
	.set _ZN7rocprim17ROCPRIM_400000_NS6detail17trampoline_kernelINS0_14default_configENS1_38merge_sort_block_merge_config_selectorIaNS0_10empty_typeEEEZZNS1_27merge_sort_block_merge_implIS3_PaPS5_jNS1_19radix_merge_compareILb1ELb1EaNS0_19identity_decomposerEEEEE10hipError_tT0_T1_T2_jT3_P12ihipStream_tbPNSt15iterator_traitsISE_E10value_typeEPNSK_ISF_E10value_typeEPSG_NS1_7vsmem_tEENKUlT_SE_SF_SG_E_clIS8_S8_S9_S9_EESD_ST_SE_SF_SG_EUlST_E_NS1_11comp_targetILNS1_3genE4ELNS1_11target_archE910ELNS1_3gpuE8ELNS1_3repE0EEENS1_48merge_mergepath_partition_config_static_selectorELNS0_4arch9wavefront6targetE0EEEvSF_.num_agpr, 0
	.set _ZN7rocprim17ROCPRIM_400000_NS6detail17trampoline_kernelINS0_14default_configENS1_38merge_sort_block_merge_config_selectorIaNS0_10empty_typeEEEZZNS1_27merge_sort_block_merge_implIS3_PaPS5_jNS1_19radix_merge_compareILb1ELb1EaNS0_19identity_decomposerEEEEE10hipError_tT0_T1_T2_jT3_P12ihipStream_tbPNSt15iterator_traitsISE_E10value_typeEPNSK_ISF_E10value_typeEPSG_NS1_7vsmem_tEENKUlT_SE_SF_SG_E_clIS8_S8_S9_S9_EESD_ST_SE_SF_SG_EUlST_E_NS1_11comp_targetILNS1_3genE4ELNS1_11target_archE910ELNS1_3gpuE8ELNS1_3repE0EEENS1_48merge_mergepath_partition_config_static_selectorELNS0_4arch9wavefront6targetE0EEEvSF_.numbered_sgpr, 0
	.set _ZN7rocprim17ROCPRIM_400000_NS6detail17trampoline_kernelINS0_14default_configENS1_38merge_sort_block_merge_config_selectorIaNS0_10empty_typeEEEZZNS1_27merge_sort_block_merge_implIS3_PaPS5_jNS1_19radix_merge_compareILb1ELb1EaNS0_19identity_decomposerEEEEE10hipError_tT0_T1_T2_jT3_P12ihipStream_tbPNSt15iterator_traitsISE_E10value_typeEPNSK_ISF_E10value_typeEPSG_NS1_7vsmem_tEENKUlT_SE_SF_SG_E_clIS8_S8_S9_S9_EESD_ST_SE_SF_SG_EUlST_E_NS1_11comp_targetILNS1_3genE4ELNS1_11target_archE910ELNS1_3gpuE8ELNS1_3repE0EEENS1_48merge_mergepath_partition_config_static_selectorELNS0_4arch9wavefront6targetE0EEEvSF_.num_named_barrier, 0
	.set _ZN7rocprim17ROCPRIM_400000_NS6detail17trampoline_kernelINS0_14default_configENS1_38merge_sort_block_merge_config_selectorIaNS0_10empty_typeEEEZZNS1_27merge_sort_block_merge_implIS3_PaPS5_jNS1_19radix_merge_compareILb1ELb1EaNS0_19identity_decomposerEEEEE10hipError_tT0_T1_T2_jT3_P12ihipStream_tbPNSt15iterator_traitsISE_E10value_typeEPNSK_ISF_E10value_typeEPSG_NS1_7vsmem_tEENKUlT_SE_SF_SG_E_clIS8_S8_S9_S9_EESD_ST_SE_SF_SG_EUlST_E_NS1_11comp_targetILNS1_3genE4ELNS1_11target_archE910ELNS1_3gpuE8ELNS1_3repE0EEENS1_48merge_mergepath_partition_config_static_selectorELNS0_4arch9wavefront6targetE0EEEvSF_.private_seg_size, 0
	.set _ZN7rocprim17ROCPRIM_400000_NS6detail17trampoline_kernelINS0_14default_configENS1_38merge_sort_block_merge_config_selectorIaNS0_10empty_typeEEEZZNS1_27merge_sort_block_merge_implIS3_PaPS5_jNS1_19radix_merge_compareILb1ELb1EaNS0_19identity_decomposerEEEEE10hipError_tT0_T1_T2_jT3_P12ihipStream_tbPNSt15iterator_traitsISE_E10value_typeEPNSK_ISF_E10value_typeEPSG_NS1_7vsmem_tEENKUlT_SE_SF_SG_E_clIS8_S8_S9_S9_EESD_ST_SE_SF_SG_EUlST_E_NS1_11comp_targetILNS1_3genE4ELNS1_11target_archE910ELNS1_3gpuE8ELNS1_3repE0EEENS1_48merge_mergepath_partition_config_static_selectorELNS0_4arch9wavefront6targetE0EEEvSF_.uses_vcc, 0
	.set _ZN7rocprim17ROCPRIM_400000_NS6detail17trampoline_kernelINS0_14default_configENS1_38merge_sort_block_merge_config_selectorIaNS0_10empty_typeEEEZZNS1_27merge_sort_block_merge_implIS3_PaPS5_jNS1_19radix_merge_compareILb1ELb1EaNS0_19identity_decomposerEEEEE10hipError_tT0_T1_T2_jT3_P12ihipStream_tbPNSt15iterator_traitsISE_E10value_typeEPNSK_ISF_E10value_typeEPSG_NS1_7vsmem_tEENKUlT_SE_SF_SG_E_clIS8_S8_S9_S9_EESD_ST_SE_SF_SG_EUlST_E_NS1_11comp_targetILNS1_3genE4ELNS1_11target_archE910ELNS1_3gpuE8ELNS1_3repE0EEENS1_48merge_mergepath_partition_config_static_selectorELNS0_4arch9wavefront6targetE0EEEvSF_.uses_flat_scratch, 0
	.set _ZN7rocprim17ROCPRIM_400000_NS6detail17trampoline_kernelINS0_14default_configENS1_38merge_sort_block_merge_config_selectorIaNS0_10empty_typeEEEZZNS1_27merge_sort_block_merge_implIS3_PaPS5_jNS1_19radix_merge_compareILb1ELb1EaNS0_19identity_decomposerEEEEE10hipError_tT0_T1_T2_jT3_P12ihipStream_tbPNSt15iterator_traitsISE_E10value_typeEPNSK_ISF_E10value_typeEPSG_NS1_7vsmem_tEENKUlT_SE_SF_SG_E_clIS8_S8_S9_S9_EESD_ST_SE_SF_SG_EUlST_E_NS1_11comp_targetILNS1_3genE4ELNS1_11target_archE910ELNS1_3gpuE8ELNS1_3repE0EEENS1_48merge_mergepath_partition_config_static_selectorELNS0_4arch9wavefront6targetE0EEEvSF_.has_dyn_sized_stack, 0
	.set _ZN7rocprim17ROCPRIM_400000_NS6detail17trampoline_kernelINS0_14default_configENS1_38merge_sort_block_merge_config_selectorIaNS0_10empty_typeEEEZZNS1_27merge_sort_block_merge_implIS3_PaPS5_jNS1_19radix_merge_compareILb1ELb1EaNS0_19identity_decomposerEEEEE10hipError_tT0_T1_T2_jT3_P12ihipStream_tbPNSt15iterator_traitsISE_E10value_typeEPNSK_ISF_E10value_typeEPSG_NS1_7vsmem_tEENKUlT_SE_SF_SG_E_clIS8_S8_S9_S9_EESD_ST_SE_SF_SG_EUlST_E_NS1_11comp_targetILNS1_3genE4ELNS1_11target_archE910ELNS1_3gpuE8ELNS1_3repE0EEENS1_48merge_mergepath_partition_config_static_selectorELNS0_4arch9wavefront6targetE0EEEvSF_.has_recursion, 0
	.set _ZN7rocprim17ROCPRIM_400000_NS6detail17trampoline_kernelINS0_14default_configENS1_38merge_sort_block_merge_config_selectorIaNS0_10empty_typeEEEZZNS1_27merge_sort_block_merge_implIS3_PaPS5_jNS1_19radix_merge_compareILb1ELb1EaNS0_19identity_decomposerEEEEE10hipError_tT0_T1_T2_jT3_P12ihipStream_tbPNSt15iterator_traitsISE_E10value_typeEPNSK_ISF_E10value_typeEPSG_NS1_7vsmem_tEENKUlT_SE_SF_SG_E_clIS8_S8_S9_S9_EESD_ST_SE_SF_SG_EUlST_E_NS1_11comp_targetILNS1_3genE4ELNS1_11target_archE910ELNS1_3gpuE8ELNS1_3repE0EEENS1_48merge_mergepath_partition_config_static_selectorELNS0_4arch9wavefront6targetE0EEEvSF_.has_indirect_call, 0
	.section	.AMDGPU.csdata,"",@progbits
; Kernel info:
; codeLenInByte = 0
; TotalNumSgprs: 0
; NumVgprs: 0
; ScratchSize: 0
; MemoryBound: 0
; FloatMode: 240
; IeeeMode: 1
; LDSByteSize: 0 bytes/workgroup (compile time only)
; SGPRBlocks: 0
; VGPRBlocks: 0
; NumSGPRsForWavesPerEU: 1
; NumVGPRsForWavesPerEU: 1
; NamedBarCnt: 0
; Occupancy: 16
; WaveLimiterHint : 0
; COMPUTE_PGM_RSRC2:SCRATCH_EN: 0
; COMPUTE_PGM_RSRC2:USER_SGPR: 2
; COMPUTE_PGM_RSRC2:TRAP_HANDLER: 0
; COMPUTE_PGM_RSRC2:TGID_X_EN: 1
; COMPUTE_PGM_RSRC2:TGID_Y_EN: 0
; COMPUTE_PGM_RSRC2:TGID_Z_EN: 0
; COMPUTE_PGM_RSRC2:TIDIG_COMP_CNT: 0
	.section	.text._ZN7rocprim17ROCPRIM_400000_NS6detail17trampoline_kernelINS0_14default_configENS1_38merge_sort_block_merge_config_selectorIaNS0_10empty_typeEEEZZNS1_27merge_sort_block_merge_implIS3_PaPS5_jNS1_19radix_merge_compareILb1ELb1EaNS0_19identity_decomposerEEEEE10hipError_tT0_T1_T2_jT3_P12ihipStream_tbPNSt15iterator_traitsISE_E10value_typeEPNSK_ISF_E10value_typeEPSG_NS1_7vsmem_tEENKUlT_SE_SF_SG_E_clIS8_S8_S9_S9_EESD_ST_SE_SF_SG_EUlST_E_NS1_11comp_targetILNS1_3genE3ELNS1_11target_archE908ELNS1_3gpuE7ELNS1_3repE0EEENS1_48merge_mergepath_partition_config_static_selectorELNS0_4arch9wavefront6targetE0EEEvSF_,"axG",@progbits,_ZN7rocprim17ROCPRIM_400000_NS6detail17trampoline_kernelINS0_14default_configENS1_38merge_sort_block_merge_config_selectorIaNS0_10empty_typeEEEZZNS1_27merge_sort_block_merge_implIS3_PaPS5_jNS1_19radix_merge_compareILb1ELb1EaNS0_19identity_decomposerEEEEE10hipError_tT0_T1_T2_jT3_P12ihipStream_tbPNSt15iterator_traitsISE_E10value_typeEPNSK_ISF_E10value_typeEPSG_NS1_7vsmem_tEENKUlT_SE_SF_SG_E_clIS8_S8_S9_S9_EESD_ST_SE_SF_SG_EUlST_E_NS1_11comp_targetILNS1_3genE3ELNS1_11target_archE908ELNS1_3gpuE7ELNS1_3repE0EEENS1_48merge_mergepath_partition_config_static_selectorELNS0_4arch9wavefront6targetE0EEEvSF_,comdat
	.protected	_ZN7rocprim17ROCPRIM_400000_NS6detail17trampoline_kernelINS0_14default_configENS1_38merge_sort_block_merge_config_selectorIaNS0_10empty_typeEEEZZNS1_27merge_sort_block_merge_implIS3_PaPS5_jNS1_19radix_merge_compareILb1ELb1EaNS0_19identity_decomposerEEEEE10hipError_tT0_T1_T2_jT3_P12ihipStream_tbPNSt15iterator_traitsISE_E10value_typeEPNSK_ISF_E10value_typeEPSG_NS1_7vsmem_tEENKUlT_SE_SF_SG_E_clIS8_S8_S9_S9_EESD_ST_SE_SF_SG_EUlST_E_NS1_11comp_targetILNS1_3genE3ELNS1_11target_archE908ELNS1_3gpuE7ELNS1_3repE0EEENS1_48merge_mergepath_partition_config_static_selectorELNS0_4arch9wavefront6targetE0EEEvSF_ ; -- Begin function _ZN7rocprim17ROCPRIM_400000_NS6detail17trampoline_kernelINS0_14default_configENS1_38merge_sort_block_merge_config_selectorIaNS0_10empty_typeEEEZZNS1_27merge_sort_block_merge_implIS3_PaPS5_jNS1_19radix_merge_compareILb1ELb1EaNS0_19identity_decomposerEEEEE10hipError_tT0_T1_T2_jT3_P12ihipStream_tbPNSt15iterator_traitsISE_E10value_typeEPNSK_ISF_E10value_typeEPSG_NS1_7vsmem_tEENKUlT_SE_SF_SG_E_clIS8_S8_S9_S9_EESD_ST_SE_SF_SG_EUlST_E_NS1_11comp_targetILNS1_3genE3ELNS1_11target_archE908ELNS1_3gpuE7ELNS1_3repE0EEENS1_48merge_mergepath_partition_config_static_selectorELNS0_4arch9wavefront6targetE0EEEvSF_
	.globl	_ZN7rocprim17ROCPRIM_400000_NS6detail17trampoline_kernelINS0_14default_configENS1_38merge_sort_block_merge_config_selectorIaNS0_10empty_typeEEEZZNS1_27merge_sort_block_merge_implIS3_PaPS5_jNS1_19radix_merge_compareILb1ELb1EaNS0_19identity_decomposerEEEEE10hipError_tT0_T1_T2_jT3_P12ihipStream_tbPNSt15iterator_traitsISE_E10value_typeEPNSK_ISF_E10value_typeEPSG_NS1_7vsmem_tEENKUlT_SE_SF_SG_E_clIS8_S8_S9_S9_EESD_ST_SE_SF_SG_EUlST_E_NS1_11comp_targetILNS1_3genE3ELNS1_11target_archE908ELNS1_3gpuE7ELNS1_3repE0EEENS1_48merge_mergepath_partition_config_static_selectorELNS0_4arch9wavefront6targetE0EEEvSF_
	.p2align	8
	.type	_ZN7rocprim17ROCPRIM_400000_NS6detail17trampoline_kernelINS0_14default_configENS1_38merge_sort_block_merge_config_selectorIaNS0_10empty_typeEEEZZNS1_27merge_sort_block_merge_implIS3_PaPS5_jNS1_19radix_merge_compareILb1ELb1EaNS0_19identity_decomposerEEEEE10hipError_tT0_T1_T2_jT3_P12ihipStream_tbPNSt15iterator_traitsISE_E10value_typeEPNSK_ISF_E10value_typeEPSG_NS1_7vsmem_tEENKUlT_SE_SF_SG_E_clIS8_S8_S9_S9_EESD_ST_SE_SF_SG_EUlST_E_NS1_11comp_targetILNS1_3genE3ELNS1_11target_archE908ELNS1_3gpuE7ELNS1_3repE0EEENS1_48merge_mergepath_partition_config_static_selectorELNS0_4arch9wavefront6targetE0EEEvSF_,@function
_ZN7rocprim17ROCPRIM_400000_NS6detail17trampoline_kernelINS0_14default_configENS1_38merge_sort_block_merge_config_selectorIaNS0_10empty_typeEEEZZNS1_27merge_sort_block_merge_implIS3_PaPS5_jNS1_19radix_merge_compareILb1ELb1EaNS0_19identity_decomposerEEEEE10hipError_tT0_T1_T2_jT3_P12ihipStream_tbPNSt15iterator_traitsISE_E10value_typeEPNSK_ISF_E10value_typeEPSG_NS1_7vsmem_tEENKUlT_SE_SF_SG_E_clIS8_S8_S9_S9_EESD_ST_SE_SF_SG_EUlST_E_NS1_11comp_targetILNS1_3genE3ELNS1_11target_archE908ELNS1_3gpuE7ELNS1_3repE0EEENS1_48merge_mergepath_partition_config_static_selectorELNS0_4arch9wavefront6targetE0EEEvSF_: ; @_ZN7rocprim17ROCPRIM_400000_NS6detail17trampoline_kernelINS0_14default_configENS1_38merge_sort_block_merge_config_selectorIaNS0_10empty_typeEEEZZNS1_27merge_sort_block_merge_implIS3_PaPS5_jNS1_19radix_merge_compareILb1ELb1EaNS0_19identity_decomposerEEEEE10hipError_tT0_T1_T2_jT3_P12ihipStream_tbPNSt15iterator_traitsISE_E10value_typeEPNSK_ISF_E10value_typeEPSG_NS1_7vsmem_tEENKUlT_SE_SF_SG_E_clIS8_S8_S9_S9_EESD_ST_SE_SF_SG_EUlST_E_NS1_11comp_targetILNS1_3genE3ELNS1_11target_archE908ELNS1_3gpuE7ELNS1_3repE0EEENS1_48merge_mergepath_partition_config_static_selectorELNS0_4arch9wavefront6targetE0EEEvSF_
; %bb.0:
	.section	.rodata,"a",@progbits
	.p2align	6, 0x0
	.amdhsa_kernel _ZN7rocprim17ROCPRIM_400000_NS6detail17trampoline_kernelINS0_14default_configENS1_38merge_sort_block_merge_config_selectorIaNS0_10empty_typeEEEZZNS1_27merge_sort_block_merge_implIS3_PaPS5_jNS1_19radix_merge_compareILb1ELb1EaNS0_19identity_decomposerEEEEE10hipError_tT0_T1_T2_jT3_P12ihipStream_tbPNSt15iterator_traitsISE_E10value_typeEPNSK_ISF_E10value_typeEPSG_NS1_7vsmem_tEENKUlT_SE_SF_SG_E_clIS8_S8_S9_S9_EESD_ST_SE_SF_SG_EUlST_E_NS1_11comp_targetILNS1_3genE3ELNS1_11target_archE908ELNS1_3gpuE7ELNS1_3repE0EEENS1_48merge_mergepath_partition_config_static_selectorELNS0_4arch9wavefront6targetE0EEEvSF_
		.amdhsa_group_segment_fixed_size 0
		.amdhsa_private_segment_fixed_size 0
		.amdhsa_kernarg_size 40
		.amdhsa_user_sgpr_count 2
		.amdhsa_user_sgpr_dispatch_ptr 0
		.amdhsa_user_sgpr_queue_ptr 0
		.amdhsa_user_sgpr_kernarg_segment_ptr 1
		.amdhsa_user_sgpr_dispatch_id 0
		.amdhsa_user_sgpr_kernarg_preload_length 0
		.amdhsa_user_sgpr_kernarg_preload_offset 0
		.amdhsa_user_sgpr_private_segment_size 0
		.amdhsa_wavefront_size32 1
		.amdhsa_uses_dynamic_stack 0
		.amdhsa_enable_private_segment 0
		.amdhsa_system_sgpr_workgroup_id_x 1
		.amdhsa_system_sgpr_workgroup_id_y 0
		.amdhsa_system_sgpr_workgroup_id_z 0
		.amdhsa_system_sgpr_workgroup_info 0
		.amdhsa_system_vgpr_workitem_id 0
		.amdhsa_next_free_vgpr 1
		.amdhsa_next_free_sgpr 1
		.amdhsa_named_barrier_count 0
		.amdhsa_reserve_vcc 0
		.amdhsa_float_round_mode_32 0
		.amdhsa_float_round_mode_16_64 0
		.amdhsa_float_denorm_mode_32 3
		.amdhsa_float_denorm_mode_16_64 3
		.amdhsa_fp16_overflow 0
		.amdhsa_memory_ordered 1
		.amdhsa_forward_progress 1
		.amdhsa_inst_pref_size 0
		.amdhsa_round_robin_scheduling 0
		.amdhsa_exception_fp_ieee_invalid_op 0
		.amdhsa_exception_fp_denorm_src 0
		.amdhsa_exception_fp_ieee_div_zero 0
		.amdhsa_exception_fp_ieee_overflow 0
		.amdhsa_exception_fp_ieee_underflow 0
		.amdhsa_exception_fp_ieee_inexact 0
		.amdhsa_exception_int_div_zero 0
	.end_amdhsa_kernel
	.section	.text._ZN7rocprim17ROCPRIM_400000_NS6detail17trampoline_kernelINS0_14default_configENS1_38merge_sort_block_merge_config_selectorIaNS0_10empty_typeEEEZZNS1_27merge_sort_block_merge_implIS3_PaPS5_jNS1_19radix_merge_compareILb1ELb1EaNS0_19identity_decomposerEEEEE10hipError_tT0_T1_T2_jT3_P12ihipStream_tbPNSt15iterator_traitsISE_E10value_typeEPNSK_ISF_E10value_typeEPSG_NS1_7vsmem_tEENKUlT_SE_SF_SG_E_clIS8_S8_S9_S9_EESD_ST_SE_SF_SG_EUlST_E_NS1_11comp_targetILNS1_3genE3ELNS1_11target_archE908ELNS1_3gpuE7ELNS1_3repE0EEENS1_48merge_mergepath_partition_config_static_selectorELNS0_4arch9wavefront6targetE0EEEvSF_,"axG",@progbits,_ZN7rocprim17ROCPRIM_400000_NS6detail17trampoline_kernelINS0_14default_configENS1_38merge_sort_block_merge_config_selectorIaNS0_10empty_typeEEEZZNS1_27merge_sort_block_merge_implIS3_PaPS5_jNS1_19radix_merge_compareILb1ELb1EaNS0_19identity_decomposerEEEEE10hipError_tT0_T1_T2_jT3_P12ihipStream_tbPNSt15iterator_traitsISE_E10value_typeEPNSK_ISF_E10value_typeEPSG_NS1_7vsmem_tEENKUlT_SE_SF_SG_E_clIS8_S8_S9_S9_EESD_ST_SE_SF_SG_EUlST_E_NS1_11comp_targetILNS1_3genE3ELNS1_11target_archE908ELNS1_3gpuE7ELNS1_3repE0EEENS1_48merge_mergepath_partition_config_static_selectorELNS0_4arch9wavefront6targetE0EEEvSF_,comdat
.Lfunc_end309:
	.size	_ZN7rocprim17ROCPRIM_400000_NS6detail17trampoline_kernelINS0_14default_configENS1_38merge_sort_block_merge_config_selectorIaNS0_10empty_typeEEEZZNS1_27merge_sort_block_merge_implIS3_PaPS5_jNS1_19radix_merge_compareILb1ELb1EaNS0_19identity_decomposerEEEEE10hipError_tT0_T1_T2_jT3_P12ihipStream_tbPNSt15iterator_traitsISE_E10value_typeEPNSK_ISF_E10value_typeEPSG_NS1_7vsmem_tEENKUlT_SE_SF_SG_E_clIS8_S8_S9_S9_EESD_ST_SE_SF_SG_EUlST_E_NS1_11comp_targetILNS1_3genE3ELNS1_11target_archE908ELNS1_3gpuE7ELNS1_3repE0EEENS1_48merge_mergepath_partition_config_static_selectorELNS0_4arch9wavefront6targetE0EEEvSF_, .Lfunc_end309-_ZN7rocprim17ROCPRIM_400000_NS6detail17trampoline_kernelINS0_14default_configENS1_38merge_sort_block_merge_config_selectorIaNS0_10empty_typeEEEZZNS1_27merge_sort_block_merge_implIS3_PaPS5_jNS1_19radix_merge_compareILb1ELb1EaNS0_19identity_decomposerEEEEE10hipError_tT0_T1_T2_jT3_P12ihipStream_tbPNSt15iterator_traitsISE_E10value_typeEPNSK_ISF_E10value_typeEPSG_NS1_7vsmem_tEENKUlT_SE_SF_SG_E_clIS8_S8_S9_S9_EESD_ST_SE_SF_SG_EUlST_E_NS1_11comp_targetILNS1_3genE3ELNS1_11target_archE908ELNS1_3gpuE7ELNS1_3repE0EEENS1_48merge_mergepath_partition_config_static_selectorELNS0_4arch9wavefront6targetE0EEEvSF_
                                        ; -- End function
	.set _ZN7rocprim17ROCPRIM_400000_NS6detail17trampoline_kernelINS0_14default_configENS1_38merge_sort_block_merge_config_selectorIaNS0_10empty_typeEEEZZNS1_27merge_sort_block_merge_implIS3_PaPS5_jNS1_19radix_merge_compareILb1ELb1EaNS0_19identity_decomposerEEEEE10hipError_tT0_T1_T2_jT3_P12ihipStream_tbPNSt15iterator_traitsISE_E10value_typeEPNSK_ISF_E10value_typeEPSG_NS1_7vsmem_tEENKUlT_SE_SF_SG_E_clIS8_S8_S9_S9_EESD_ST_SE_SF_SG_EUlST_E_NS1_11comp_targetILNS1_3genE3ELNS1_11target_archE908ELNS1_3gpuE7ELNS1_3repE0EEENS1_48merge_mergepath_partition_config_static_selectorELNS0_4arch9wavefront6targetE0EEEvSF_.num_vgpr, 0
	.set _ZN7rocprim17ROCPRIM_400000_NS6detail17trampoline_kernelINS0_14default_configENS1_38merge_sort_block_merge_config_selectorIaNS0_10empty_typeEEEZZNS1_27merge_sort_block_merge_implIS3_PaPS5_jNS1_19radix_merge_compareILb1ELb1EaNS0_19identity_decomposerEEEEE10hipError_tT0_T1_T2_jT3_P12ihipStream_tbPNSt15iterator_traitsISE_E10value_typeEPNSK_ISF_E10value_typeEPSG_NS1_7vsmem_tEENKUlT_SE_SF_SG_E_clIS8_S8_S9_S9_EESD_ST_SE_SF_SG_EUlST_E_NS1_11comp_targetILNS1_3genE3ELNS1_11target_archE908ELNS1_3gpuE7ELNS1_3repE0EEENS1_48merge_mergepath_partition_config_static_selectorELNS0_4arch9wavefront6targetE0EEEvSF_.num_agpr, 0
	.set _ZN7rocprim17ROCPRIM_400000_NS6detail17trampoline_kernelINS0_14default_configENS1_38merge_sort_block_merge_config_selectorIaNS0_10empty_typeEEEZZNS1_27merge_sort_block_merge_implIS3_PaPS5_jNS1_19radix_merge_compareILb1ELb1EaNS0_19identity_decomposerEEEEE10hipError_tT0_T1_T2_jT3_P12ihipStream_tbPNSt15iterator_traitsISE_E10value_typeEPNSK_ISF_E10value_typeEPSG_NS1_7vsmem_tEENKUlT_SE_SF_SG_E_clIS8_S8_S9_S9_EESD_ST_SE_SF_SG_EUlST_E_NS1_11comp_targetILNS1_3genE3ELNS1_11target_archE908ELNS1_3gpuE7ELNS1_3repE0EEENS1_48merge_mergepath_partition_config_static_selectorELNS0_4arch9wavefront6targetE0EEEvSF_.numbered_sgpr, 0
	.set _ZN7rocprim17ROCPRIM_400000_NS6detail17trampoline_kernelINS0_14default_configENS1_38merge_sort_block_merge_config_selectorIaNS0_10empty_typeEEEZZNS1_27merge_sort_block_merge_implIS3_PaPS5_jNS1_19radix_merge_compareILb1ELb1EaNS0_19identity_decomposerEEEEE10hipError_tT0_T1_T2_jT3_P12ihipStream_tbPNSt15iterator_traitsISE_E10value_typeEPNSK_ISF_E10value_typeEPSG_NS1_7vsmem_tEENKUlT_SE_SF_SG_E_clIS8_S8_S9_S9_EESD_ST_SE_SF_SG_EUlST_E_NS1_11comp_targetILNS1_3genE3ELNS1_11target_archE908ELNS1_3gpuE7ELNS1_3repE0EEENS1_48merge_mergepath_partition_config_static_selectorELNS0_4arch9wavefront6targetE0EEEvSF_.num_named_barrier, 0
	.set _ZN7rocprim17ROCPRIM_400000_NS6detail17trampoline_kernelINS0_14default_configENS1_38merge_sort_block_merge_config_selectorIaNS0_10empty_typeEEEZZNS1_27merge_sort_block_merge_implIS3_PaPS5_jNS1_19radix_merge_compareILb1ELb1EaNS0_19identity_decomposerEEEEE10hipError_tT0_T1_T2_jT3_P12ihipStream_tbPNSt15iterator_traitsISE_E10value_typeEPNSK_ISF_E10value_typeEPSG_NS1_7vsmem_tEENKUlT_SE_SF_SG_E_clIS8_S8_S9_S9_EESD_ST_SE_SF_SG_EUlST_E_NS1_11comp_targetILNS1_3genE3ELNS1_11target_archE908ELNS1_3gpuE7ELNS1_3repE0EEENS1_48merge_mergepath_partition_config_static_selectorELNS0_4arch9wavefront6targetE0EEEvSF_.private_seg_size, 0
	.set _ZN7rocprim17ROCPRIM_400000_NS6detail17trampoline_kernelINS0_14default_configENS1_38merge_sort_block_merge_config_selectorIaNS0_10empty_typeEEEZZNS1_27merge_sort_block_merge_implIS3_PaPS5_jNS1_19radix_merge_compareILb1ELb1EaNS0_19identity_decomposerEEEEE10hipError_tT0_T1_T2_jT3_P12ihipStream_tbPNSt15iterator_traitsISE_E10value_typeEPNSK_ISF_E10value_typeEPSG_NS1_7vsmem_tEENKUlT_SE_SF_SG_E_clIS8_S8_S9_S9_EESD_ST_SE_SF_SG_EUlST_E_NS1_11comp_targetILNS1_3genE3ELNS1_11target_archE908ELNS1_3gpuE7ELNS1_3repE0EEENS1_48merge_mergepath_partition_config_static_selectorELNS0_4arch9wavefront6targetE0EEEvSF_.uses_vcc, 0
	.set _ZN7rocprim17ROCPRIM_400000_NS6detail17trampoline_kernelINS0_14default_configENS1_38merge_sort_block_merge_config_selectorIaNS0_10empty_typeEEEZZNS1_27merge_sort_block_merge_implIS3_PaPS5_jNS1_19radix_merge_compareILb1ELb1EaNS0_19identity_decomposerEEEEE10hipError_tT0_T1_T2_jT3_P12ihipStream_tbPNSt15iterator_traitsISE_E10value_typeEPNSK_ISF_E10value_typeEPSG_NS1_7vsmem_tEENKUlT_SE_SF_SG_E_clIS8_S8_S9_S9_EESD_ST_SE_SF_SG_EUlST_E_NS1_11comp_targetILNS1_3genE3ELNS1_11target_archE908ELNS1_3gpuE7ELNS1_3repE0EEENS1_48merge_mergepath_partition_config_static_selectorELNS0_4arch9wavefront6targetE0EEEvSF_.uses_flat_scratch, 0
	.set _ZN7rocprim17ROCPRIM_400000_NS6detail17trampoline_kernelINS0_14default_configENS1_38merge_sort_block_merge_config_selectorIaNS0_10empty_typeEEEZZNS1_27merge_sort_block_merge_implIS3_PaPS5_jNS1_19radix_merge_compareILb1ELb1EaNS0_19identity_decomposerEEEEE10hipError_tT0_T1_T2_jT3_P12ihipStream_tbPNSt15iterator_traitsISE_E10value_typeEPNSK_ISF_E10value_typeEPSG_NS1_7vsmem_tEENKUlT_SE_SF_SG_E_clIS8_S8_S9_S9_EESD_ST_SE_SF_SG_EUlST_E_NS1_11comp_targetILNS1_3genE3ELNS1_11target_archE908ELNS1_3gpuE7ELNS1_3repE0EEENS1_48merge_mergepath_partition_config_static_selectorELNS0_4arch9wavefront6targetE0EEEvSF_.has_dyn_sized_stack, 0
	.set _ZN7rocprim17ROCPRIM_400000_NS6detail17trampoline_kernelINS0_14default_configENS1_38merge_sort_block_merge_config_selectorIaNS0_10empty_typeEEEZZNS1_27merge_sort_block_merge_implIS3_PaPS5_jNS1_19radix_merge_compareILb1ELb1EaNS0_19identity_decomposerEEEEE10hipError_tT0_T1_T2_jT3_P12ihipStream_tbPNSt15iterator_traitsISE_E10value_typeEPNSK_ISF_E10value_typeEPSG_NS1_7vsmem_tEENKUlT_SE_SF_SG_E_clIS8_S8_S9_S9_EESD_ST_SE_SF_SG_EUlST_E_NS1_11comp_targetILNS1_3genE3ELNS1_11target_archE908ELNS1_3gpuE7ELNS1_3repE0EEENS1_48merge_mergepath_partition_config_static_selectorELNS0_4arch9wavefront6targetE0EEEvSF_.has_recursion, 0
	.set _ZN7rocprim17ROCPRIM_400000_NS6detail17trampoline_kernelINS0_14default_configENS1_38merge_sort_block_merge_config_selectorIaNS0_10empty_typeEEEZZNS1_27merge_sort_block_merge_implIS3_PaPS5_jNS1_19radix_merge_compareILb1ELb1EaNS0_19identity_decomposerEEEEE10hipError_tT0_T1_T2_jT3_P12ihipStream_tbPNSt15iterator_traitsISE_E10value_typeEPNSK_ISF_E10value_typeEPSG_NS1_7vsmem_tEENKUlT_SE_SF_SG_E_clIS8_S8_S9_S9_EESD_ST_SE_SF_SG_EUlST_E_NS1_11comp_targetILNS1_3genE3ELNS1_11target_archE908ELNS1_3gpuE7ELNS1_3repE0EEENS1_48merge_mergepath_partition_config_static_selectorELNS0_4arch9wavefront6targetE0EEEvSF_.has_indirect_call, 0
	.section	.AMDGPU.csdata,"",@progbits
; Kernel info:
; codeLenInByte = 0
; TotalNumSgprs: 0
; NumVgprs: 0
; ScratchSize: 0
; MemoryBound: 0
; FloatMode: 240
; IeeeMode: 1
; LDSByteSize: 0 bytes/workgroup (compile time only)
; SGPRBlocks: 0
; VGPRBlocks: 0
; NumSGPRsForWavesPerEU: 1
; NumVGPRsForWavesPerEU: 1
; NamedBarCnt: 0
; Occupancy: 16
; WaveLimiterHint : 0
; COMPUTE_PGM_RSRC2:SCRATCH_EN: 0
; COMPUTE_PGM_RSRC2:USER_SGPR: 2
; COMPUTE_PGM_RSRC2:TRAP_HANDLER: 0
; COMPUTE_PGM_RSRC2:TGID_X_EN: 1
; COMPUTE_PGM_RSRC2:TGID_Y_EN: 0
; COMPUTE_PGM_RSRC2:TGID_Z_EN: 0
; COMPUTE_PGM_RSRC2:TIDIG_COMP_CNT: 0
	.section	.text._ZN7rocprim17ROCPRIM_400000_NS6detail17trampoline_kernelINS0_14default_configENS1_38merge_sort_block_merge_config_selectorIaNS0_10empty_typeEEEZZNS1_27merge_sort_block_merge_implIS3_PaPS5_jNS1_19radix_merge_compareILb1ELb1EaNS0_19identity_decomposerEEEEE10hipError_tT0_T1_T2_jT3_P12ihipStream_tbPNSt15iterator_traitsISE_E10value_typeEPNSK_ISF_E10value_typeEPSG_NS1_7vsmem_tEENKUlT_SE_SF_SG_E_clIS8_S8_S9_S9_EESD_ST_SE_SF_SG_EUlST_E_NS1_11comp_targetILNS1_3genE2ELNS1_11target_archE906ELNS1_3gpuE6ELNS1_3repE0EEENS1_48merge_mergepath_partition_config_static_selectorELNS0_4arch9wavefront6targetE0EEEvSF_,"axG",@progbits,_ZN7rocprim17ROCPRIM_400000_NS6detail17trampoline_kernelINS0_14default_configENS1_38merge_sort_block_merge_config_selectorIaNS0_10empty_typeEEEZZNS1_27merge_sort_block_merge_implIS3_PaPS5_jNS1_19radix_merge_compareILb1ELb1EaNS0_19identity_decomposerEEEEE10hipError_tT0_T1_T2_jT3_P12ihipStream_tbPNSt15iterator_traitsISE_E10value_typeEPNSK_ISF_E10value_typeEPSG_NS1_7vsmem_tEENKUlT_SE_SF_SG_E_clIS8_S8_S9_S9_EESD_ST_SE_SF_SG_EUlST_E_NS1_11comp_targetILNS1_3genE2ELNS1_11target_archE906ELNS1_3gpuE6ELNS1_3repE0EEENS1_48merge_mergepath_partition_config_static_selectorELNS0_4arch9wavefront6targetE0EEEvSF_,comdat
	.protected	_ZN7rocprim17ROCPRIM_400000_NS6detail17trampoline_kernelINS0_14default_configENS1_38merge_sort_block_merge_config_selectorIaNS0_10empty_typeEEEZZNS1_27merge_sort_block_merge_implIS3_PaPS5_jNS1_19radix_merge_compareILb1ELb1EaNS0_19identity_decomposerEEEEE10hipError_tT0_T1_T2_jT3_P12ihipStream_tbPNSt15iterator_traitsISE_E10value_typeEPNSK_ISF_E10value_typeEPSG_NS1_7vsmem_tEENKUlT_SE_SF_SG_E_clIS8_S8_S9_S9_EESD_ST_SE_SF_SG_EUlST_E_NS1_11comp_targetILNS1_3genE2ELNS1_11target_archE906ELNS1_3gpuE6ELNS1_3repE0EEENS1_48merge_mergepath_partition_config_static_selectorELNS0_4arch9wavefront6targetE0EEEvSF_ ; -- Begin function _ZN7rocprim17ROCPRIM_400000_NS6detail17trampoline_kernelINS0_14default_configENS1_38merge_sort_block_merge_config_selectorIaNS0_10empty_typeEEEZZNS1_27merge_sort_block_merge_implIS3_PaPS5_jNS1_19radix_merge_compareILb1ELb1EaNS0_19identity_decomposerEEEEE10hipError_tT0_T1_T2_jT3_P12ihipStream_tbPNSt15iterator_traitsISE_E10value_typeEPNSK_ISF_E10value_typeEPSG_NS1_7vsmem_tEENKUlT_SE_SF_SG_E_clIS8_S8_S9_S9_EESD_ST_SE_SF_SG_EUlST_E_NS1_11comp_targetILNS1_3genE2ELNS1_11target_archE906ELNS1_3gpuE6ELNS1_3repE0EEENS1_48merge_mergepath_partition_config_static_selectorELNS0_4arch9wavefront6targetE0EEEvSF_
	.globl	_ZN7rocprim17ROCPRIM_400000_NS6detail17trampoline_kernelINS0_14default_configENS1_38merge_sort_block_merge_config_selectorIaNS0_10empty_typeEEEZZNS1_27merge_sort_block_merge_implIS3_PaPS5_jNS1_19radix_merge_compareILb1ELb1EaNS0_19identity_decomposerEEEEE10hipError_tT0_T1_T2_jT3_P12ihipStream_tbPNSt15iterator_traitsISE_E10value_typeEPNSK_ISF_E10value_typeEPSG_NS1_7vsmem_tEENKUlT_SE_SF_SG_E_clIS8_S8_S9_S9_EESD_ST_SE_SF_SG_EUlST_E_NS1_11comp_targetILNS1_3genE2ELNS1_11target_archE906ELNS1_3gpuE6ELNS1_3repE0EEENS1_48merge_mergepath_partition_config_static_selectorELNS0_4arch9wavefront6targetE0EEEvSF_
	.p2align	8
	.type	_ZN7rocprim17ROCPRIM_400000_NS6detail17trampoline_kernelINS0_14default_configENS1_38merge_sort_block_merge_config_selectorIaNS0_10empty_typeEEEZZNS1_27merge_sort_block_merge_implIS3_PaPS5_jNS1_19radix_merge_compareILb1ELb1EaNS0_19identity_decomposerEEEEE10hipError_tT0_T1_T2_jT3_P12ihipStream_tbPNSt15iterator_traitsISE_E10value_typeEPNSK_ISF_E10value_typeEPSG_NS1_7vsmem_tEENKUlT_SE_SF_SG_E_clIS8_S8_S9_S9_EESD_ST_SE_SF_SG_EUlST_E_NS1_11comp_targetILNS1_3genE2ELNS1_11target_archE906ELNS1_3gpuE6ELNS1_3repE0EEENS1_48merge_mergepath_partition_config_static_selectorELNS0_4arch9wavefront6targetE0EEEvSF_,@function
_ZN7rocprim17ROCPRIM_400000_NS6detail17trampoline_kernelINS0_14default_configENS1_38merge_sort_block_merge_config_selectorIaNS0_10empty_typeEEEZZNS1_27merge_sort_block_merge_implIS3_PaPS5_jNS1_19radix_merge_compareILb1ELb1EaNS0_19identity_decomposerEEEEE10hipError_tT0_T1_T2_jT3_P12ihipStream_tbPNSt15iterator_traitsISE_E10value_typeEPNSK_ISF_E10value_typeEPSG_NS1_7vsmem_tEENKUlT_SE_SF_SG_E_clIS8_S8_S9_S9_EESD_ST_SE_SF_SG_EUlST_E_NS1_11comp_targetILNS1_3genE2ELNS1_11target_archE906ELNS1_3gpuE6ELNS1_3repE0EEENS1_48merge_mergepath_partition_config_static_selectorELNS0_4arch9wavefront6targetE0EEEvSF_: ; @_ZN7rocprim17ROCPRIM_400000_NS6detail17trampoline_kernelINS0_14default_configENS1_38merge_sort_block_merge_config_selectorIaNS0_10empty_typeEEEZZNS1_27merge_sort_block_merge_implIS3_PaPS5_jNS1_19radix_merge_compareILb1ELb1EaNS0_19identity_decomposerEEEEE10hipError_tT0_T1_T2_jT3_P12ihipStream_tbPNSt15iterator_traitsISE_E10value_typeEPNSK_ISF_E10value_typeEPSG_NS1_7vsmem_tEENKUlT_SE_SF_SG_E_clIS8_S8_S9_S9_EESD_ST_SE_SF_SG_EUlST_E_NS1_11comp_targetILNS1_3genE2ELNS1_11target_archE906ELNS1_3gpuE6ELNS1_3repE0EEENS1_48merge_mergepath_partition_config_static_selectorELNS0_4arch9wavefront6targetE0EEEvSF_
; %bb.0:
	.section	.rodata,"a",@progbits
	.p2align	6, 0x0
	.amdhsa_kernel _ZN7rocprim17ROCPRIM_400000_NS6detail17trampoline_kernelINS0_14default_configENS1_38merge_sort_block_merge_config_selectorIaNS0_10empty_typeEEEZZNS1_27merge_sort_block_merge_implIS3_PaPS5_jNS1_19radix_merge_compareILb1ELb1EaNS0_19identity_decomposerEEEEE10hipError_tT0_T1_T2_jT3_P12ihipStream_tbPNSt15iterator_traitsISE_E10value_typeEPNSK_ISF_E10value_typeEPSG_NS1_7vsmem_tEENKUlT_SE_SF_SG_E_clIS8_S8_S9_S9_EESD_ST_SE_SF_SG_EUlST_E_NS1_11comp_targetILNS1_3genE2ELNS1_11target_archE906ELNS1_3gpuE6ELNS1_3repE0EEENS1_48merge_mergepath_partition_config_static_selectorELNS0_4arch9wavefront6targetE0EEEvSF_
		.amdhsa_group_segment_fixed_size 0
		.amdhsa_private_segment_fixed_size 0
		.amdhsa_kernarg_size 40
		.amdhsa_user_sgpr_count 2
		.amdhsa_user_sgpr_dispatch_ptr 0
		.amdhsa_user_sgpr_queue_ptr 0
		.amdhsa_user_sgpr_kernarg_segment_ptr 1
		.amdhsa_user_sgpr_dispatch_id 0
		.amdhsa_user_sgpr_kernarg_preload_length 0
		.amdhsa_user_sgpr_kernarg_preload_offset 0
		.amdhsa_user_sgpr_private_segment_size 0
		.amdhsa_wavefront_size32 1
		.amdhsa_uses_dynamic_stack 0
		.amdhsa_enable_private_segment 0
		.amdhsa_system_sgpr_workgroup_id_x 1
		.amdhsa_system_sgpr_workgroup_id_y 0
		.amdhsa_system_sgpr_workgroup_id_z 0
		.amdhsa_system_sgpr_workgroup_info 0
		.amdhsa_system_vgpr_workitem_id 0
		.amdhsa_next_free_vgpr 1
		.amdhsa_next_free_sgpr 1
		.amdhsa_named_barrier_count 0
		.amdhsa_reserve_vcc 0
		.amdhsa_float_round_mode_32 0
		.amdhsa_float_round_mode_16_64 0
		.amdhsa_float_denorm_mode_32 3
		.amdhsa_float_denorm_mode_16_64 3
		.amdhsa_fp16_overflow 0
		.amdhsa_memory_ordered 1
		.amdhsa_forward_progress 1
		.amdhsa_inst_pref_size 0
		.amdhsa_round_robin_scheduling 0
		.amdhsa_exception_fp_ieee_invalid_op 0
		.amdhsa_exception_fp_denorm_src 0
		.amdhsa_exception_fp_ieee_div_zero 0
		.amdhsa_exception_fp_ieee_overflow 0
		.amdhsa_exception_fp_ieee_underflow 0
		.amdhsa_exception_fp_ieee_inexact 0
		.amdhsa_exception_int_div_zero 0
	.end_amdhsa_kernel
	.section	.text._ZN7rocprim17ROCPRIM_400000_NS6detail17trampoline_kernelINS0_14default_configENS1_38merge_sort_block_merge_config_selectorIaNS0_10empty_typeEEEZZNS1_27merge_sort_block_merge_implIS3_PaPS5_jNS1_19radix_merge_compareILb1ELb1EaNS0_19identity_decomposerEEEEE10hipError_tT0_T1_T2_jT3_P12ihipStream_tbPNSt15iterator_traitsISE_E10value_typeEPNSK_ISF_E10value_typeEPSG_NS1_7vsmem_tEENKUlT_SE_SF_SG_E_clIS8_S8_S9_S9_EESD_ST_SE_SF_SG_EUlST_E_NS1_11comp_targetILNS1_3genE2ELNS1_11target_archE906ELNS1_3gpuE6ELNS1_3repE0EEENS1_48merge_mergepath_partition_config_static_selectorELNS0_4arch9wavefront6targetE0EEEvSF_,"axG",@progbits,_ZN7rocprim17ROCPRIM_400000_NS6detail17trampoline_kernelINS0_14default_configENS1_38merge_sort_block_merge_config_selectorIaNS0_10empty_typeEEEZZNS1_27merge_sort_block_merge_implIS3_PaPS5_jNS1_19radix_merge_compareILb1ELb1EaNS0_19identity_decomposerEEEEE10hipError_tT0_T1_T2_jT3_P12ihipStream_tbPNSt15iterator_traitsISE_E10value_typeEPNSK_ISF_E10value_typeEPSG_NS1_7vsmem_tEENKUlT_SE_SF_SG_E_clIS8_S8_S9_S9_EESD_ST_SE_SF_SG_EUlST_E_NS1_11comp_targetILNS1_3genE2ELNS1_11target_archE906ELNS1_3gpuE6ELNS1_3repE0EEENS1_48merge_mergepath_partition_config_static_selectorELNS0_4arch9wavefront6targetE0EEEvSF_,comdat
.Lfunc_end310:
	.size	_ZN7rocprim17ROCPRIM_400000_NS6detail17trampoline_kernelINS0_14default_configENS1_38merge_sort_block_merge_config_selectorIaNS0_10empty_typeEEEZZNS1_27merge_sort_block_merge_implIS3_PaPS5_jNS1_19radix_merge_compareILb1ELb1EaNS0_19identity_decomposerEEEEE10hipError_tT0_T1_T2_jT3_P12ihipStream_tbPNSt15iterator_traitsISE_E10value_typeEPNSK_ISF_E10value_typeEPSG_NS1_7vsmem_tEENKUlT_SE_SF_SG_E_clIS8_S8_S9_S9_EESD_ST_SE_SF_SG_EUlST_E_NS1_11comp_targetILNS1_3genE2ELNS1_11target_archE906ELNS1_3gpuE6ELNS1_3repE0EEENS1_48merge_mergepath_partition_config_static_selectorELNS0_4arch9wavefront6targetE0EEEvSF_, .Lfunc_end310-_ZN7rocprim17ROCPRIM_400000_NS6detail17trampoline_kernelINS0_14default_configENS1_38merge_sort_block_merge_config_selectorIaNS0_10empty_typeEEEZZNS1_27merge_sort_block_merge_implIS3_PaPS5_jNS1_19radix_merge_compareILb1ELb1EaNS0_19identity_decomposerEEEEE10hipError_tT0_T1_T2_jT3_P12ihipStream_tbPNSt15iterator_traitsISE_E10value_typeEPNSK_ISF_E10value_typeEPSG_NS1_7vsmem_tEENKUlT_SE_SF_SG_E_clIS8_S8_S9_S9_EESD_ST_SE_SF_SG_EUlST_E_NS1_11comp_targetILNS1_3genE2ELNS1_11target_archE906ELNS1_3gpuE6ELNS1_3repE0EEENS1_48merge_mergepath_partition_config_static_selectorELNS0_4arch9wavefront6targetE0EEEvSF_
                                        ; -- End function
	.set _ZN7rocprim17ROCPRIM_400000_NS6detail17trampoline_kernelINS0_14default_configENS1_38merge_sort_block_merge_config_selectorIaNS0_10empty_typeEEEZZNS1_27merge_sort_block_merge_implIS3_PaPS5_jNS1_19radix_merge_compareILb1ELb1EaNS0_19identity_decomposerEEEEE10hipError_tT0_T1_T2_jT3_P12ihipStream_tbPNSt15iterator_traitsISE_E10value_typeEPNSK_ISF_E10value_typeEPSG_NS1_7vsmem_tEENKUlT_SE_SF_SG_E_clIS8_S8_S9_S9_EESD_ST_SE_SF_SG_EUlST_E_NS1_11comp_targetILNS1_3genE2ELNS1_11target_archE906ELNS1_3gpuE6ELNS1_3repE0EEENS1_48merge_mergepath_partition_config_static_selectorELNS0_4arch9wavefront6targetE0EEEvSF_.num_vgpr, 0
	.set _ZN7rocprim17ROCPRIM_400000_NS6detail17trampoline_kernelINS0_14default_configENS1_38merge_sort_block_merge_config_selectorIaNS0_10empty_typeEEEZZNS1_27merge_sort_block_merge_implIS3_PaPS5_jNS1_19radix_merge_compareILb1ELb1EaNS0_19identity_decomposerEEEEE10hipError_tT0_T1_T2_jT3_P12ihipStream_tbPNSt15iterator_traitsISE_E10value_typeEPNSK_ISF_E10value_typeEPSG_NS1_7vsmem_tEENKUlT_SE_SF_SG_E_clIS8_S8_S9_S9_EESD_ST_SE_SF_SG_EUlST_E_NS1_11comp_targetILNS1_3genE2ELNS1_11target_archE906ELNS1_3gpuE6ELNS1_3repE0EEENS1_48merge_mergepath_partition_config_static_selectorELNS0_4arch9wavefront6targetE0EEEvSF_.num_agpr, 0
	.set _ZN7rocprim17ROCPRIM_400000_NS6detail17trampoline_kernelINS0_14default_configENS1_38merge_sort_block_merge_config_selectorIaNS0_10empty_typeEEEZZNS1_27merge_sort_block_merge_implIS3_PaPS5_jNS1_19radix_merge_compareILb1ELb1EaNS0_19identity_decomposerEEEEE10hipError_tT0_T1_T2_jT3_P12ihipStream_tbPNSt15iterator_traitsISE_E10value_typeEPNSK_ISF_E10value_typeEPSG_NS1_7vsmem_tEENKUlT_SE_SF_SG_E_clIS8_S8_S9_S9_EESD_ST_SE_SF_SG_EUlST_E_NS1_11comp_targetILNS1_3genE2ELNS1_11target_archE906ELNS1_3gpuE6ELNS1_3repE0EEENS1_48merge_mergepath_partition_config_static_selectorELNS0_4arch9wavefront6targetE0EEEvSF_.numbered_sgpr, 0
	.set _ZN7rocprim17ROCPRIM_400000_NS6detail17trampoline_kernelINS0_14default_configENS1_38merge_sort_block_merge_config_selectorIaNS0_10empty_typeEEEZZNS1_27merge_sort_block_merge_implIS3_PaPS5_jNS1_19radix_merge_compareILb1ELb1EaNS0_19identity_decomposerEEEEE10hipError_tT0_T1_T2_jT3_P12ihipStream_tbPNSt15iterator_traitsISE_E10value_typeEPNSK_ISF_E10value_typeEPSG_NS1_7vsmem_tEENKUlT_SE_SF_SG_E_clIS8_S8_S9_S9_EESD_ST_SE_SF_SG_EUlST_E_NS1_11comp_targetILNS1_3genE2ELNS1_11target_archE906ELNS1_3gpuE6ELNS1_3repE0EEENS1_48merge_mergepath_partition_config_static_selectorELNS0_4arch9wavefront6targetE0EEEvSF_.num_named_barrier, 0
	.set _ZN7rocprim17ROCPRIM_400000_NS6detail17trampoline_kernelINS0_14default_configENS1_38merge_sort_block_merge_config_selectorIaNS0_10empty_typeEEEZZNS1_27merge_sort_block_merge_implIS3_PaPS5_jNS1_19radix_merge_compareILb1ELb1EaNS0_19identity_decomposerEEEEE10hipError_tT0_T1_T2_jT3_P12ihipStream_tbPNSt15iterator_traitsISE_E10value_typeEPNSK_ISF_E10value_typeEPSG_NS1_7vsmem_tEENKUlT_SE_SF_SG_E_clIS8_S8_S9_S9_EESD_ST_SE_SF_SG_EUlST_E_NS1_11comp_targetILNS1_3genE2ELNS1_11target_archE906ELNS1_3gpuE6ELNS1_3repE0EEENS1_48merge_mergepath_partition_config_static_selectorELNS0_4arch9wavefront6targetE0EEEvSF_.private_seg_size, 0
	.set _ZN7rocprim17ROCPRIM_400000_NS6detail17trampoline_kernelINS0_14default_configENS1_38merge_sort_block_merge_config_selectorIaNS0_10empty_typeEEEZZNS1_27merge_sort_block_merge_implIS3_PaPS5_jNS1_19radix_merge_compareILb1ELb1EaNS0_19identity_decomposerEEEEE10hipError_tT0_T1_T2_jT3_P12ihipStream_tbPNSt15iterator_traitsISE_E10value_typeEPNSK_ISF_E10value_typeEPSG_NS1_7vsmem_tEENKUlT_SE_SF_SG_E_clIS8_S8_S9_S9_EESD_ST_SE_SF_SG_EUlST_E_NS1_11comp_targetILNS1_3genE2ELNS1_11target_archE906ELNS1_3gpuE6ELNS1_3repE0EEENS1_48merge_mergepath_partition_config_static_selectorELNS0_4arch9wavefront6targetE0EEEvSF_.uses_vcc, 0
	.set _ZN7rocprim17ROCPRIM_400000_NS6detail17trampoline_kernelINS0_14default_configENS1_38merge_sort_block_merge_config_selectorIaNS0_10empty_typeEEEZZNS1_27merge_sort_block_merge_implIS3_PaPS5_jNS1_19radix_merge_compareILb1ELb1EaNS0_19identity_decomposerEEEEE10hipError_tT0_T1_T2_jT3_P12ihipStream_tbPNSt15iterator_traitsISE_E10value_typeEPNSK_ISF_E10value_typeEPSG_NS1_7vsmem_tEENKUlT_SE_SF_SG_E_clIS8_S8_S9_S9_EESD_ST_SE_SF_SG_EUlST_E_NS1_11comp_targetILNS1_3genE2ELNS1_11target_archE906ELNS1_3gpuE6ELNS1_3repE0EEENS1_48merge_mergepath_partition_config_static_selectorELNS0_4arch9wavefront6targetE0EEEvSF_.uses_flat_scratch, 0
	.set _ZN7rocprim17ROCPRIM_400000_NS6detail17trampoline_kernelINS0_14default_configENS1_38merge_sort_block_merge_config_selectorIaNS0_10empty_typeEEEZZNS1_27merge_sort_block_merge_implIS3_PaPS5_jNS1_19radix_merge_compareILb1ELb1EaNS0_19identity_decomposerEEEEE10hipError_tT0_T1_T2_jT3_P12ihipStream_tbPNSt15iterator_traitsISE_E10value_typeEPNSK_ISF_E10value_typeEPSG_NS1_7vsmem_tEENKUlT_SE_SF_SG_E_clIS8_S8_S9_S9_EESD_ST_SE_SF_SG_EUlST_E_NS1_11comp_targetILNS1_3genE2ELNS1_11target_archE906ELNS1_3gpuE6ELNS1_3repE0EEENS1_48merge_mergepath_partition_config_static_selectorELNS0_4arch9wavefront6targetE0EEEvSF_.has_dyn_sized_stack, 0
	.set _ZN7rocprim17ROCPRIM_400000_NS6detail17trampoline_kernelINS0_14default_configENS1_38merge_sort_block_merge_config_selectorIaNS0_10empty_typeEEEZZNS1_27merge_sort_block_merge_implIS3_PaPS5_jNS1_19radix_merge_compareILb1ELb1EaNS0_19identity_decomposerEEEEE10hipError_tT0_T1_T2_jT3_P12ihipStream_tbPNSt15iterator_traitsISE_E10value_typeEPNSK_ISF_E10value_typeEPSG_NS1_7vsmem_tEENKUlT_SE_SF_SG_E_clIS8_S8_S9_S9_EESD_ST_SE_SF_SG_EUlST_E_NS1_11comp_targetILNS1_3genE2ELNS1_11target_archE906ELNS1_3gpuE6ELNS1_3repE0EEENS1_48merge_mergepath_partition_config_static_selectorELNS0_4arch9wavefront6targetE0EEEvSF_.has_recursion, 0
	.set _ZN7rocprim17ROCPRIM_400000_NS6detail17trampoline_kernelINS0_14default_configENS1_38merge_sort_block_merge_config_selectorIaNS0_10empty_typeEEEZZNS1_27merge_sort_block_merge_implIS3_PaPS5_jNS1_19radix_merge_compareILb1ELb1EaNS0_19identity_decomposerEEEEE10hipError_tT0_T1_T2_jT3_P12ihipStream_tbPNSt15iterator_traitsISE_E10value_typeEPNSK_ISF_E10value_typeEPSG_NS1_7vsmem_tEENKUlT_SE_SF_SG_E_clIS8_S8_S9_S9_EESD_ST_SE_SF_SG_EUlST_E_NS1_11comp_targetILNS1_3genE2ELNS1_11target_archE906ELNS1_3gpuE6ELNS1_3repE0EEENS1_48merge_mergepath_partition_config_static_selectorELNS0_4arch9wavefront6targetE0EEEvSF_.has_indirect_call, 0
	.section	.AMDGPU.csdata,"",@progbits
; Kernel info:
; codeLenInByte = 0
; TotalNumSgprs: 0
; NumVgprs: 0
; ScratchSize: 0
; MemoryBound: 0
; FloatMode: 240
; IeeeMode: 1
; LDSByteSize: 0 bytes/workgroup (compile time only)
; SGPRBlocks: 0
; VGPRBlocks: 0
; NumSGPRsForWavesPerEU: 1
; NumVGPRsForWavesPerEU: 1
; NamedBarCnt: 0
; Occupancy: 16
; WaveLimiterHint : 0
; COMPUTE_PGM_RSRC2:SCRATCH_EN: 0
; COMPUTE_PGM_RSRC2:USER_SGPR: 2
; COMPUTE_PGM_RSRC2:TRAP_HANDLER: 0
; COMPUTE_PGM_RSRC2:TGID_X_EN: 1
; COMPUTE_PGM_RSRC2:TGID_Y_EN: 0
; COMPUTE_PGM_RSRC2:TGID_Z_EN: 0
; COMPUTE_PGM_RSRC2:TIDIG_COMP_CNT: 0
	.section	.text._ZN7rocprim17ROCPRIM_400000_NS6detail17trampoline_kernelINS0_14default_configENS1_38merge_sort_block_merge_config_selectorIaNS0_10empty_typeEEEZZNS1_27merge_sort_block_merge_implIS3_PaPS5_jNS1_19radix_merge_compareILb1ELb1EaNS0_19identity_decomposerEEEEE10hipError_tT0_T1_T2_jT3_P12ihipStream_tbPNSt15iterator_traitsISE_E10value_typeEPNSK_ISF_E10value_typeEPSG_NS1_7vsmem_tEENKUlT_SE_SF_SG_E_clIS8_S8_S9_S9_EESD_ST_SE_SF_SG_EUlST_E_NS1_11comp_targetILNS1_3genE9ELNS1_11target_archE1100ELNS1_3gpuE3ELNS1_3repE0EEENS1_48merge_mergepath_partition_config_static_selectorELNS0_4arch9wavefront6targetE0EEEvSF_,"axG",@progbits,_ZN7rocprim17ROCPRIM_400000_NS6detail17trampoline_kernelINS0_14default_configENS1_38merge_sort_block_merge_config_selectorIaNS0_10empty_typeEEEZZNS1_27merge_sort_block_merge_implIS3_PaPS5_jNS1_19radix_merge_compareILb1ELb1EaNS0_19identity_decomposerEEEEE10hipError_tT0_T1_T2_jT3_P12ihipStream_tbPNSt15iterator_traitsISE_E10value_typeEPNSK_ISF_E10value_typeEPSG_NS1_7vsmem_tEENKUlT_SE_SF_SG_E_clIS8_S8_S9_S9_EESD_ST_SE_SF_SG_EUlST_E_NS1_11comp_targetILNS1_3genE9ELNS1_11target_archE1100ELNS1_3gpuE3ELNS1_3repE0EEENS1_48merge_mergepath_partition_config_static_selectorELNS0_4arch9wavefront6targetE0EEEvSF_,comdat
	.protected	_ZN7rocprim17ROCPRIM_400000_NS6detail17trampoline_kernelINS0_14default_configENS1_38merge_sort_block_merge_config_selectorIaNS0_10empty_typeEEEZZNS1_27merge_sort_block_merge_implIS3_PaPS5_jNS1_19radix_merge_compareILb1ELb1EaNS0_19identity_decomposerEEEEE10hipError_tT0_T1_T2_jT3_P12ihipStream_tbPNSt15iterator_traitsISE_E10value_typeEPNSK_ISF_E10value_typeEPSG_NS1_7vsmem_tEENKUlT_SE_SF_SG_E_clIS8_S8_S9_S9_EESD_ST_SE_SF_SG_EUlST_E_NS1_11comp_targetILNS1_3genE9ELNS1_11target_archE1100ELNS1_3gpuE3ELNS1_3repE0EEENS1_48merge_mergepath_partition_config_static_selectorELNS0_4arch9wavefront6targetE0EEEvSF_ ; -- Begin function _ZN7rocprim17ROCPRIM_400000_NS6detail17trampoline_kernelINS0_14default_configENS1_38merge_sort_block_merge_config_selectorIaNS0_10empty_typeEEEZZNS1_27merge_sort_block_merge_implIS3_PaPS5_jNS1_19radix_merge_compareILb1ELb1EaNS0_19identity_decomposerEEEEE10hipError_tT0_T1_T2_jT3_P12ihipStream_tbPNSt15iterator_traitsISE_E10value_typeEPNSK_ISF_E10value_typeEPSG_NS1_7vsmem_tEENKUlT_SE_SF_SG_E_clIS8_S8_S9_S9_EESD_ST_SE_SF_SG_EUlST_E_NS1_11comp_targetILNS1_3genE9ELNS1_11target_archE1100ELNS1_3gpuE3ELNS1_3repE0EEENS1_48merge_mergepath_partition_config_static_selectorELNS0_4arch9wavefront6targetE0EEEvSF_
	.globl	_ZN7rocprim17ROCPRIM_400000_NS6detail17trampoline_kernelINS0_14default_configENS1_38merge_sort_block_merge_config_selectorIaNS0_10empty_typeEEEZZNS1_27merge_sort_block_merge_implIS3_PaPS5_jNS1_19radix_merge_compareILb1ELb1EaNS0_19identity_decomposerEEEEE10hipError_tT0_T1_T2_jT3_P12ihipStream_tbPNSt15iterator_traitsISE_E10value_typeEPNSK_ISF_E10value_typeEPSG_NS1_7vsmem_tEENKUlT_SE_SF_SG_E_clIS8_S8_S9_S9_EESD_ST_SE_SF_SG_EUlST_E_NS1_11comp_targetILNS1_3genE9ELNS1_11target_archE1100ELNS1_3gpuE3ELNS1_3repE0EEENS1_48merge_mergepath_partition_config_static_selectorELNS0_4arch9wavefront6targetE0EEEvSF_
	.p2align	8
	.type	_ZN7rocprim17ROCPRIM_400000_NS6detail17trampoline_kernelINS0_14default_configENS1_38merge_sort_block_merge_config_selectorIaNS0_10empty_typeEEEZZNS1_27merge_sort_block_merge_implIS3_PaPS5_jNS1_19radix_merge_compareILb1ELb1EaNS0_19identity_decomposerEEEEE10hipError_tT0_T1_T2_jT3_P12ihipStream_tbPNSt15iterator_traitsISE_E10value_typeEPNSK_ISF_E10value_typeEPSG_NS1_7vsmem_tEENKUlT_SE_SF_SG_E_clIS8_S8_S9_S9_EESD_ST_SE_SF_SG_EUlST_E_NS1_11comp_targetILNS1_3genE9ELNS1_11target_archE1100ELNS1_3gpuE3ELNS1_3repE0EEENS1_48merge_mergepath_partition_config_static_selectorELNS0_4arch9wavefront6targetE0EEEvSF_,@function
_ZN7rocprim17ROCPRIM_400000_NS6detail17trampoline_kernelINS0_14default_configENS1_38merge_sort_block_merge_config_selectorIaNS0_10empty_typeEEEZZNS1_27merge_sort_block_merge_implIS3_PaPS5_jNS1_19radix_merge_compareILb1ELb1EaNS0_19identity_decomposerEEEEE10hipError_tT0_T1_T2_jT3_P12ihipStream_tbPNSt15iterator_traitsISE_E10value_typeEPNSK_ISF_E10value_typeEPSG_NS1_7vsmem_tEENKUlT_SE_SF_SG_E_clIS8_S8_S9_S9_EESD_ST_SE_SF_SG_EUlST_E_NS1_11comp_targetILNS1_3genE9ELNS1_11target_archE1100ELNS1_3gpuE3ELNS1_3repE0EEENS1_48merge_mergepath_partition_config_static_selectorELNS0_4arch9wavefront6targetE0EEEvSF_: ; @_ZN7rocprim17ROCPRIM_400000_NS6detail17trampoline_kernelINS0_14default_configENS1_38merge_sort_block_merge_config_selectorIaNS0_10empty_typeEEEZZNS1_27merge_sort_block_merge_implIS3_PaPS5_jNS1_19radix_merge_compareILb1ELb1EaNS0_19identity_decomposerEEEEE10hipError_tT0_T1_T2_jT3_P12ihipStream_tbPNSt15iterator_traitsISE_E10value_typeEPNSK_ISF_E10value_typeEPSG_NS1_7vsmem_tEENKUlT_SE_SF_SG_E_clIS8_S8_S9_S9_EESD_ST_SE_SF_SG_EUlST_E_NS1_11comp_targetILNS1_3genE9ELNS1_11target_archE1100ELNS1_3gpuE3ELNS1_3repE0EEENS1_48merge_mergepath_partition_config_static_selectorELNS0_4arch9wavefront6targetE0EEEvSF_
; %bb.0:
	.section	.rodata,"a",@progbits
	.p2align	6, 0x0
	.amdhsa_kernel _ZN7rocprim17ROCPRIM_400000_NS6detail17trampoline_kernelINS0_14default_configENS1_38merge_sort_block_merge_config_selectorIaNS0_10empty_typeEEEZZNS1_27merge_sort_block_merge_implIS3_PaPS5_jNS1_19radix_merge_compareILb1ELb1EaNS0_19identity_decomposerEEEEE10hipError_tT0_T1_T2_jT3_P12ihipStream_tbPNSt15iterator_traitsISE_E10value_typeEPNSK_ISF_E10value_typeEPSG_NS1_7vsmem_tEENKUlT_SE_SF_SG_E_clIS8_S8_S9_S9_EESD_ST_SE_SF_SG_EUlST_E_NS1_11comp_targetILNS1_3genE9ELNS1_11target_archE1100ELNS1_3gpuE3ELNS1_3repE0EEENS1_48merge_mergepath_partition_config_static_selectorELNS0_4arch9wavefront6targetE0EEEvSF_
		.amdhsa_group_segment_fixed_size 0
		.amdhsa_private_segment_fixed_size 0
		.amdhsa_kernarg_size 40
		.amdhsa_user_sgpr_count 2
		.amdhsa_user_sgpr_dispatch_ptr 0
		.amdhsa_user_sgpr_queue_ptr 0
		.amdhsa_user_sgpr_kernarg_segment_ptr 1
		.amdhsa_user_sgpr_dispatch_id 0
		.amdhsa_user_sgpr_kernarg_preload_length 0
		.amdhsa_user_sgpr_kernarg_preload_offset 0
		.amdhsa_user_sgpr_private_segment_size 0
		.amdhsa_wavefront_size32 1
		.amdhsa_uses_dynamic_stack 0
		.amdhsa_enable_private_segment 0
		.amdhsa_system_sgpr_workgroup_id_x 1
		.amdhsa_system_sgpr_workgroup_id_y 0
		.amdhsa_system_sgpr_workgroup_id_z 0
		.amdhsa_system_sgpr_workgroup_info 0
		.amdhsa_system_vgpr_workitem_id 0
		.amdhsa_next_free_vgpr 1
		.amdhsa_next_free_sgpr 1
		.amdhsa_named_barrier_count 0
		.amdhsa_reserve_vcc 0
		.amdhsa_float_round_mode_32 0
		.amdhsa_float_round_mode_16_64 0
		.amdhsa_float_denorm_mode_32 3
		.amdhsa_float_denorm_mode_16_64 3
		.amdhsa_fp16_overflow 0
		.amdhsa_memory_ordered 1
		.amdhsa_forward_progress 1
		.amdhsa_inst_pref_size 0
		.amdhsa_round_robin_scheduling 0
		.amdhsa_exception_fp_ieee_invalid_op 0
		.amdhsa_exception_fp_denorm_src 0
		.amdhsa_exception_fp_ieee_div_zero 0
		.amdhsa_exception_fp_ieee_overflow 0
		.amdhsa_exception_fp_ieee_underflow 0
		.amdhsa_exception_fp_ieee_inexact 0
		.amdhsa_exception_int_div_zero 0
	.end_amdhsa_kernel
	.section	.text._ZN7rocprim17ROCPRIM_400000_NS6detail17trampoline_kernelINS0_14default_configENS1_38merge_sort_block_merge_config_selectorIaNS0_10empty_typeEEEZZNS1_27merge_sort_block_merge_implIS3_PaPS5_jNS1_19radix_merge_compareILb1ELb1EaNS0_19identity_decomposerEEEEE10hipError_tT0_T1_T2_jT3_P12ihipStream_tbPNSt15iterator_traitsISE_E10value_typeEPNSK_ISF_E10value_typeEPSG_NS1_7vsmem_tEENKUlT_SE_SF_SG_E_clIS8_S8_S9_S9_EESD_ST_SE_SF_SG_EUlST_E_NS1_11comp_targetILNS1_3genE9ELNS1_11target_archE1100ELNS1_3gpuE3ELNS1_3repE0EEENS1_48merge_mergepath_partition_config_static_selectorELNS0_4arch9wavefront6targetE0EEEvSF_,"axG",@progbits,_ZN7rocprim17ROCPRIM_400000_NS6detail17trampoline_kernelINS0_14default_configENS1_38merge_sort_block_merge_config_selectorIaNS0_10empty_typeEEEZZNS1_27merge_sort_block_merge_implIS3_PaPS5_jNS1_19radix_merge_compareILb1ELb1EaNS0_19identity_decomposerEEEEE10hipError_tT0_T1_T2_jT3_P12ihipStream_tbPNSt15iterator_traitsISE_E10value_typeEPNSK_ISF_E10value_typeEPSG_NS1_7vsmem_tEENKUlT_SE_SF_SG_E_clIS8_S8_S9_S9_EESD_ST_SE_SF_SG_EUlST_E_NS1_11comp_targetILNS1_3genE9ELNS1_11target_archE1100ELNS1_3gpuE3ELNS1_3repE0EEENS1_48merge_mergepath_partition_config_static_selectorELNS0_4arch9wavefront6targetE0EEEvSF_,comdat
.Lfunc_end311:
	.size	_ZN7rocprim17ROCPRIM_400000_NS6detail17trampoline_kernelINS0_14default_configENS1_38merge_sort_block_merge_config_selectorIaNS0_10empty_typeEEEZZNS1_27merge_sort_block_merge_implIS3_PaPS5_jNS1_19radix_merge_compareILb1ELb1EaNS0_19identity_decomposerEEEEE10hipError_tT0_T1_T2_jT3_P12ihipStream_tbPNSt15iterator_traitsISE_E10value_typeEPNSK_ISF_E10value_typeEPSG_NS1_7vsmem_tEENKUlT_SE_SF_SG_E_clIS8_S8_S9_S9_EESD_ST_SE_SF_SG_EUlST_E_NS1_11comp_targetILNS1_3genE9ELNS1_11target_archE1100ELNS1_3gpuE3ELNS1_3repE0EEENS1_48merge_mergepath_partition_config_static_selectorELNS0_4arch9wavefront6targetE0EEEvSF_, .Lfunc_end311-_ZN7rocprim17ROCPRIM_400000_NS6detail17trampoline_kernelINS0_14default_configENS1_38merge_sort_block_merge_config_selectorIaNS0_10empty_typeEEEZZNS1_27merge_sort_block_merge_implIS3_PaPS5_jNS1_19radix_merge_compareILb1ELb1EaNS0_19identity_decomposerEEEEE10hipError_tT0_T1_T2_jT3_P12ihipStream_tbPNSt15iterator_traitsISE_E10value_typeEPNSK_ISF_E10value_typeEPSG_NS1_7vsmem_tEENKUlT_SE_SF_SG_E_clIS8_S8_S9_S9_EESD_ST_SE_SF_SG_EUlST_E_NS1_11comp_targetILNS1_3genE9ELNS1_11target_archE1100ELNS1_3gpuE3ELNS1_3repE0EEENS1_48merge_mergepath_partition_config_static_selectorELNS0_4arch9wavefront6targetE0EEEvSF_
                                        ; -- End function
	.set _ZN7rocprim17ROCPRIM_400000_NS6detail17trampoline_kernelINS0_14default_configENS1_38merge_sort_block_merge_config_selectorIaNS0_10empty_typeEEEZZNS1_27merge_sort_block_merge_implIS3_PaPS5_jNS1_19radix_merge_compareILb1ELb1EaNS0_19identity_decomposerEEEEE10hipError_tT0_T1_T2_jT3_P12ihipStream_tbPNSt15iterator_traitsISE_E10value_typeEPNSK_ISF_E10value_typeEPSG_NS1_7vsmem_tEENKUlT_SE_SF_SG_E_clIS8_S8_S9_S9_EESD_ST_SE_SF_SG_EUlST_E_NS1_11comp_targetILNS1_3genE9ELNS1_11target_archE1100ELNS1_3gpuE3ELNS1_3repE0EEENS1_48merge_mergepath_partition_config_static_selectorELNS0_4arch9wavefront6targetE0EEEvSF_.num_vgpr, 0
	.set _ZN7rocprim17ROCPRIM_400000_NS6detail17trampoline_kernelINS0_14default_configENS1_38merge_sort_block_merge_config_selectorIaNS0_10empty_typeEEEZZNS1_27merge_sort_block_merge_implIS3_PaPS5_jNS1_19radix_merge_compareILb1ELb1EaNS0_19identity_decomposerEEEEE10hipError_tT0_T1_T2_jT3_P12ihipStream_tbPNSt15iterator_traitsISE_E10value_typeEPNSK_ISF_E10value_typeEPSG_NS1_7vsmem_tEENKUlT_SE_SF_SG_E_clIS8_S8_S9_S9_EESD_ST_SE_SF_SG_EUlST_E_NS1_11comp_targetILNS1_3genE9ELNS1_11target_archE1100ELNS1_3gpuE3ELNS1_3repE0EEENS1_48merge_mergepath_partition_config_static_selectorELNS0_4arch9wavefront6targetE0EEEvSF_.num_agpr, 0
	.set _ZN7rocprim17ROCPRIM_400000_NS6detail17trampoline_kernelINS0_14default_configENS1_38merge_sort_block_merge_config_selectorIaNS0_10empty_typeEEEZZNS1_27merge_sort_block_merge_implIS3_PaPS5_jNS1_19radix_merge_compareILb1ELb1EaNS0_19identity_decomposerEEEEE10hipError_tT0_T1_T2_jT3_P12ihipStream_tbPNSt15iterator_traitsISE_E10value_typeEPNSK_ISF_E10value_typeEPSG_NS1_7vsmem_tEENKUlT_SE_SF_SG_E_clIS8_S8_S9_S9_EESD_ST_SE_SF_SG_EUlST_E_NS1_11comp_targetILNS1_3genE9ELNS1_11target_archE1100ELNS1_3gpuE3ELNS1_3repE0EEENS1_48merge_mergepath_partition_config_static_selectorELNS0_4arch9wavefront6targetE0EEEvSF_.numbered_sgpr, 0
	.set _ZN7rocprim17ROCPRIM_400000_NS6detail17trampoline_kernelINS0_14default_configENS1_38merge_sort_block_merge_config_selectorIaNS0_10empty_typeEEEZZNS1_27merge_sort_block_merge_implIS3_PaPS5_jNS1_19radix_merge_compareILb1ELb1EaNS0_19identity_decomposerEEEEE10hipError_tT0_T1_T2_jT3_P12ihipStream_tbPNSt15iterator_traitsISE_E10value_typeEPNSK_ISF_E10value_typeEPSG_NS1_7vsmem_tEENKUlT_SE_SF_SG_E_clIS8_S8_S9_S9_EESD_ST_SE_SF_SG_EUlST_E_NS1_11comp_targetILNS1_3genE9ELNS1_11target_archE1100ELNS1_3gpuE3ELNS1_3repE0EEENS1_48merge_mergepath_partition_config_static_selectorELNS0_4arch9wavefront6targetE0EEEvSF_.num_named_barrier, 0
	.set _ZN7rocprim17ROCPRIM_400000_NS6detail17trampoline_kernelINS0_14default_configENS1_38merge_sort_block_merge_config_selectorIaNS0_10empty_typeEEEZZNS1_27merge_sort_block_merge_implIS3_PaPS5_jNS1_19radix_merge_compareILb1ELb1EaNS0_19identity_decomposerEEEEE10hipError_tT0_T1_T2_jT3_P12ihipStream_tbPNSt15iterator_traitsISE_E10value_typeEPNSK_ISF_E10value_typeEPSG_NS1_7vsmem_tEENKUlT_SE_SF_SG_E_clIS8_S8_S9_S9_EESD_ST_SE_SF_SG_EUlST_E_NS1_11comp_targetILNS1_3genE9ELNS1_11target_archE1100ELNS1_3gpuE3ELNS1_3repE0EEENS1_48merge_mergepath_partition_config_static_selectorELNS0_4arch9wavefront6targetE0EEEvSF_.private_seg_size, 0
	.set _ZN7rocprim17ROCPRIM_400000_NS6detail17trampoline_kernelINS0_14default_configENS1_38merge_sort_block_merge_config_selectorIaNS0_10empty_typeEEEZZNS1_27merge_sort_block_merge_implIS3_PaPS5_jNS1_19radix_merge_compareILb1ELb1EaNS0_19identity_decomposerEEEEE10hipError_tT0_T1_T2_jT3_P12ihipStream_tbPNSt15iterator_traitsISE_E10value_typeEPNSK_ISF_E10value_typeEPSG_NS1_7vsmem_tEENKUlT_SE_SF_SG_E_clIS8_S8_S9_S9_EESD_ST_SE_SF_SG_EUlST_E_NS1_11comp_targetILNS1_3genE9ELNS1_11target_archE1100ELNS1_3gpuE3ELNS1_3repE0EEENS1_48merge_mergepath_partition_config_static_selectorELNS0_4arch9wavefront6targetE0EEEvSF_.uses_vcc, 0
	.set _ZN7rocprim17ROCPRIM_400000_NS6detail17trampoline_kernelINS0_14default_configENS1_38merge_sort_block_merge_config_selectorIaNS0_10empty_typeEEEZZNS1_27merge_sort_block_merge_implIS3_PaPS5_jNS1_19radix_merge_compareILb1ELb1EaNS0_19identity_decomposerEEEEE10hipError_tT0_T1_T2_jT3_P12ihipStream_tbPNSt15iterator_traitsISE_E10value_typeEPNSK_ISF_E10value_typeEPSG_NS1_7vsmem_tEENKUlT_SE_SF_SG_E_clIS8_S8_S9_S9_EESD_ST_SE_SF_SG_EUlST_E_NS1_11comp_targetILNS1_3genE9ELNS1_11target_archE1100ELNS1_3gpuE3ELNS1_3repE0EEENS1_48merge_mergepath_partition_config_static_selectorELNS0_4arch9wavefront6targetE0EEEvSF_.uses_flat_scratch, 0
	.set _ZN7rocprim17ROCPRIM_400000_NS6detail17trampoline_kernelINS0_14default_configENS1_38merge_sort_block_merge_config_selectorIaNS0_10empty_typeEEEZZNS1_27merge_sort_block_merge_implIS3_PaPS5_jNS1_19radix_merge_compareILb1ELb1EaNS0_19identity_decomposerEEEEE10hipError_tT0_T1_T2_jT3_P12ihipStream_tbPNSt15iterator_traitsISE_E10value_typeEPNSK_ISF_E10value_typeEPSG_NS1_7vsmem_tEENKUlT_SE_SF_SG_E_clIS8_S8_S9_S9_EESD_ST_SE_SF_SG_EUlST_E_NS1_11comp_targetILNS1_3genE9ELNS1_11target_archE1100ELNS1_3gpuE3ELNS1_3repE0EEENS1_48merge_mergepath_partition_config_static_selectorELNS0_4arch9wavefront6targetE0EEEvSF_.has_dyn_sized_stack, 0
	.set _ZN7rocprim17ROCPRIM_400000_NS6detail17trampoline_kernelINS0_14default_configENS1_38merge_sort_block_merge_config_selectorIaNS0_10empty_typeEEEZZNS1_27merge_sort_block_merge_implIS3_PaPS5_jNS1_19radix_merge_compareILb1ELb1EaNS0_19identity_decomposerEEEEE10hipError_tT0_T1_T2_jT3_P12ihipStream_tbPNSt15iterator_traitsISE_E10value_typeEPNSK_ISF_E10value_typeEPSG_NS1_7vsmem_tEENKUlT_SE_SF_SG_E_clIS8_S8_S9_S9_EESD_ST_SE_SF_SG_EUlST_E_NS1_11comp_targetILNS1_3genE9ELNS1_11target_archE1100ELNS1_3gpuE3ELNS1_3repE0EEENS1_48merge_mergepath_partition_config_static_selectorELNS0_4arch9wavefront6targetE0EEEvSF_.has_recursion, 0
	.set _ZN7rocprim17ROCPRIM_400000_NS6detail17trampoline_kernelINS0_14default_configENS1_38merge_sort_block_merge_config_selectorIaNS0_10empty_typeEEEZZNS1_27merge_sort_block_merge_implIS3_PaPS5_jNS1_19radix_merge_compareILb1ELb1EaNS0_19identity_decomposerEEEEE10hipError_tT0_T1_T2_jT3_P12ihipStream_tbPNSt15iterator_traitsISE_E10value_typeEPNSK_ISF_E10value_typeEPSG_NS1_7vsmem_tEENKUlT_SE_SF_SG_E_clIS8_S8_S9_S9_EESD_ST_SE_SF_SG_EUlST_E_NS1_11comp_targetILNS1_3genE9ELNS1_11target_archE1100ELNS1_3gpuE3ELNS1_3repE0EEENS1_48merge_mergepath_partition_config_static_selectorELNS0_4arch9wavefront6targetE0EEEvSF_.has_indirect_call, 0
	.section	.AMDGPU.csdata,"",@progbits
; Kernel info:
; codeLenInByte = 0
; TotalNumSgprs: 0
; NumVgprs: 0
; ScratchSize: 0
; MemoryBound: 0
; FloatMode: 240
; IeeeMode: 1
; LDSByteSize: 0 bytes/workgroup (compile time only)
; SGPRBlocks: 0
; VGPRBlocks: 0
; NumSGPRsForWavesPerEU: 1
; NumVGPRsForWavesPerEU: 1
; NamedBarCnt: 0
; Occupancy: 16
; WaveLimiterHint : 0
; COMPUTE_PGM_RSRC2:SCRATCH_EN: 0
; COMPUTE_PGM_RSRC2:USER_SGPR: 2
; COMPUTE_PGM_RSRC2:TRAP_HANDLER: 0
; COMPUTE_PGM_RSRC2:TGID_X_EN: 1
; COMPUTE_PGM_RSRC2:TGID_Y_EN: 0
; COMPUTE_PGM_RSRC2:TGID_Z_EN: 0
; COMPUTE_PGM_RSRC2:TIDIG_COMP_CNT: 0
	.section	.text._ZN7rocprim17ROCPRIM_400000_NS6detail17trampoline_kernelINS0_14default_configENS1_38merge_sort_block_merge_config_selectorIaNS0_10empty_typeEEEZZNS1_27merge_sort_block_merge_implIS3_PaPS5_jNS1_19radix_merge_compareILb1ELb1EaNS0_19identity_decomposerEEEEE10hipError_tT0_T1_T2_jT3_P12ihipStream_tbPNSt15iterator_traitsISE_E10value_typeEPNSK_ISF_E10value_typeEPSG_NS1_7vsmem_tEENKUlT_SE_SF_SG_E_clIS8_S8_S9_S9_EESD_ST_SE_SF_SG_EUlST_E_NS1_11comp_targetILNS1_3genE8ELNS1_11target_archE1030ELNS1_3gpuE2ELNS1_3repE0EEENS1_48merge_mergepath_partition_config_static_selectorELNS0_4arch9wavefront6targetE0EEEvSF_,"axG",@progbits,_ZN7rocprim17ROCPRIM_400000_NS6detail17trampoline_kernelINS0_14default_configENS1_38merge_sort_block_merge_config_selectorIaNS0_10empty_typeEEEZZNS1_27merge_sort_block_merge_implIS3_PaPS5_jNS1_19radix_merge_compareILb1ELb1EaNS0_19identity_decomposerEEEEE10hipError_tT0_T1_T2_jT3_P12ihipStream_tbPNSt15iterator_traitsISE_E10value_typeEPNSK_ISF_E10value_typeEPSG_NS1_7vsmem_tEENKUlT_SE_SF_SG_E_clIS8_S8_S9_S9_EESD_ST_SE_SF_SG_EUlST_E_NS1_11comp_targetILNS1_3genE8ELNS1_11target_archE1030ELNS1_3gpuE2ELNS1_3repE0EEENS1_48merge_mergepath_partition_config_static_selectorELNS0_4arch9wavefront6targetE0EEEvSF_,comdat
	.protected	_ZN7rocprim17ROCPRIM_400000_NS6detail17trampoline_kernelINS0_14default_configENS1_38merge_sort_block_merge_config_selectorIaNS0_10empty_typeEEEZZNS1_27merge_sort_block_merge_implIS3_PaPS5_jNS1_19radix_merge_compareILb1ELb1EaNS0_19identity_decomposerEEEEE10hipError_tT0_T1_T2_jT3_P12ihipStream_tbPNSt15iterator_traitsISE_E10value_typeEPNSK_ISF_E10value_typeEPSG_NS1_7vsmem_tEENKUlT_SE_SF_SG_E_clIS8_S8_S9_S9_EESD_ST_SE_SF_SG_EUlST_E_NS1_11comp_targetILNS1_3genE8ELNS1_11target_archE1030ELNS1_3gpuE2ELNS1_3repE0EEENS1_48merge_mergepath_partition_config_static_selectorELNS0_4arch9wavefront6targetE0EEEvSF_ ; -- Begin function _ZN7rocprim17ROCPRIM_400000_NS6detail17trampoline_kernelINS0_14default_configENS1_38merge_sort_block_merge_config_selectorIaNS0_10empty_typeEEEZZNS1_27merge_sort_block_merge_implIS3_PaPS5_jNS1_19radix_merge_compareILb1ELb1EaNS0_19identity_decomposerEEEEE10hipError_tT0_T1_T2_jT3_P12ihipStream_tbPNSt15iterator_traitsISE_E10value_typeEPNSK_ISF_E10value_typeEPSG_NS1_7vsmem_tEENKUlT_SE_SF_SG_E_clIS8_S8_S9_S9_EESD_ST_SE_SF_SG_EUlST_E_NS1_11comp_targetILNS1_3genE8ELNS1_11target_archE1030ELNS1_3gpuE2ELNS1_3repE0EEENS1_48merge_mergepath_partition_config_static_selectorELNS0_4arch9wavefront6targetE0EEEvSF_
	.globl	_ZN7rocprim17ROCPRIM_400000_NS6detail17trampoline_kernelINS0_14default_configENS1_38merge_sort_block_merge_config_selectorIaNS0_10empty_typeEEEZZNS1_27merge_sort_block_merge_implIS3_PaPS5_jNS1_19radix_merge_compareILb1ELb1EaNS0_19identity_decomposerEEEEE10hipError_tT0_T1_T2_jT3_P12ihipStream_tbPNSt15iterator_traitsISE_E10value_typeEPNSK_ISF_E10value_typeEPSG_NS1_7vsmem_tEENKUlT_SE_SF_SG_E_clIS8_S8_S9_S9_EESD_ST_SE_SF_SG_EUlST_E_NS1_11comp_targetILNS1_3genE8ELNS1_11target_archE1030ELNS1_3gpuE2ELNS1_3repE0EEENS1_48merge_mergepath_partition_config_static_selectorELNS0_4arch9wavefront6targetE0EEEvSF_
	.p2align	8
	.type	_ZN7rocprim17ROCPRIM_400000_NS6detail17trampoline_kernelINS0_14default_configENS1_38merge_sort_block_merge_config_selectorIaNS0_10empty_typeEEEZZNS1_27merge_sort_block_merge_implIS3_PaPS5_jNS1_19radix_merge_compareILb1ELb1EaNS0_19identity_decomposerEEEEE10hipError_tT0_T1_T2_jT3_P12ihipStream_tbPNSt15iterator_traitsISE_E10value_typeEPNSK_ISF_E10value_typeEPSG_NS1_7vsmem_tEENKUlT_SE_SF_SG_E_clIS8_S8_S9_S9_EESD_ST_SE_SF_SG_EUlST_E_NS1_11comp_targetILNS1_3genE8ELNS1_11target_archE1030ELNS1_3gpuE2ELNS1_3repE0EEENS1_48merge_mergepath_partition_config_static_selectorELNS0_4arch9wavefront6targetE0EEEvSF_,@function
_ZN7rocprim17ROCPRIM_400000_NS6detail17trampoline_kernelINS0_14default_configENS1_38merge_sort_block_merge_config_selectorIaNS0_10empty_typeEEEZZNS1_27merge_sort_block_merge_implIS3_PaPS5_jNS1_19radix_merge_compareILb1ELb1EaNS0_19identity_decomposerEEEEE10hipError_tT0_T1_T2_jT3_P12ihipStream_tbPNSt15iterator_traitsISE_E10value_typeEPNSK_ISF_E10value_typeEPSG_NS1_7vsmem_tEENKUlT_SE_SF_SG_E_clIS8_S8_S9_S9_EESD_ST_SE_SF_SG_EUlST_E_NS1_11comp_targetILNS1_3genE8ELNS1_11target_archE1030ELNS1_3gpuE2ELNS1_3repE0EEENS1_48merge_mergepath_partition_config_static_selectorELNS0_4arch9wavefront6targetE0EEEvSF_: ; @_ZN7rocprim17ROCPRIM_400000_NS6detail17trampoline_kernelINS0_14default_configENS1_38merge_sort_block_merge_config_selectorIaNS0_10empty_typeEEEZZNS1_27merge_sort_block_merge_implIS3_PaPS5_jNS1_19radix_merge_compareILb1ELb1EaNS0_19identity_decomposerEEEEE10hipError_tT0_T1_T2_jT3_P12ihipStream_tbPNSt15iterator_traitsISE_E10value_typeEPNSK_ISF_E10value_typeEPSG_NS1_7vsmem_tEENKUlT_SE_SF_SG_E_clIS8_S8_S9_S9_EESD_ST_SE_SF_SG_EUlST_E_NS1_11comp_targetILNS1_3genE8ELNS1_11target_archE1030ELNS1_3gpuE2ELNS1_3repE0EEENS1_48merge_mergepath_partition_config_static_selectorELNS0_4arch9wavefront6targetE0EEEvSF_
; %bb.0:
	.section	.rodata,"a",@progbits
	.p2align	6, 0x0
	.amdhsa_kernel _ZN7rocprim17ROCPRIM_400000_NS6detail17trampoline_kernelINS0_14default_configENS1_38merge_sort_block_merge_config_selectorIaNS0_10empty_typeEEEZZNS1_27merge_sort_block_merge_implIS3_PaPS5_jNS1_19radix_merge_compareILb1ELb1EaNS0_19identity_decomposerEEEEE10hipError_tT0_T1_T2_jT3_P12ihipStream_tbPNSt15iterator_traitsISE_E10value_typeEPNSK_ISF_E10value_typeEPSG_NS1_7vsmem_tEENKUlT_SE_SF_SG_E_clIS8_S8_S9_S9_EESD_ST_SE_SF_SG_EUlST_E_NS1_11comp_targetILNS1_3genE8ELNS1_11target_archE1030ELNS1_3gpuE2ELNS1_3repE0EEENS1_48merge_mergepath_partition_config_static_selectorELNS0_4arch9wavefront6targetE0EEEvSF_
		.amdhsa_group_segment_fixed_size 0
		.amdhsa_private_segment_fixed_size 0
		.amdhsa_kernarg_size 40
		.amdhsa_user_sgpr_count 2
		.amdhsa_user_sgpr_dispatch_ptr 0
		.amdhsa_user_sgpr_queue_ptr 0
		.amdhsa_user_sgpr_kernarg_segment_ptr 1
		.amdhsa_user_sgpr_dispatch_id 0
		.amdhsa_user_sgpr_kernarg_preload_length 0
		.amdhsa_user_sgpr_kernarg_preload_offset 0
		.amdhsa_user_sgpr_private_segment_size 0
		.amdhsa_wavefront_size32 1
		.amdhsa_uses_dynamic_stack 0
		.amdhsa_enable_private_segment 0
		.amdhsa_system_sgpr_workgroup_id_x 1
		.amdhsa_system_sgpr_workgroup_id_y 0
		.amdhsa_system_sgpr_workgroup_id_z 0
		.amdhsa_system_sgpr_workgroup_info 0
		.amdhsa_system_vgpr_workitem_id 0
		.amdhsa_next_free_vgpr 1
		.amdhsa_next_free_sgpr 1
		.amdhsa_named_barrier_count 0
		.amdhsa_reserve_vcc 0
		.amdhsa_float_round_mode_32 0
		.amdhsa_float_round_mode_16_64 0
		.amdhsa_float_denorm_mode_32 3
		.amdhsa_float_denorm_mode_16_64 3
		.amdhsa_fp16_overflow 0
		.amdhsa_memory_ordered 1
		.amdhsa_forward_progress 1
		.amdhsa_inst_pref_size 0
		.amdhsa_round_robin_scheduling 0
		.amdhsa_exception_fp_ieee_invalid_op 0
		.amdhsa_exception_fp_denorm_src 0
		.amdhsa_exception_fp_ieee_div_zero 0
		.amdhsa_exception_fp_ieee_overflow 0
		.amdhsa_exception_fp_ieee_underflow 0
		.amdhsa_exception_fp_ieee_inexact 0
		.amdhsa_exception_int_div_zero 0
	.end_amdhsa_kernel
	.section	.text._ZN7rocprim17ROCPRIM_400000_NS6detail17trampoline_kernelINS0_14default_configENS1_38merge_sort_block_merge_config_selectorIaNS0_10empty_typeEEEZZNS1_27merge_sort_block_merge_implIS3_PaPS5_jNS1_19radix_merge_compareILb1ELb1EaNS0_19identity_decomposerEEEEE10hipError_tT0_T1_T2_jT3_P12ihipStream_tbPNSt15iterator_traitsISE_E10value_typeEPNSK_ISF_E10value_typeEPSG_NS1_7vsmem_tEENKUlT_SE_SF_SG_E_clIS8_S8_S9_S9_EESD_ST_SE_SF_SG_EUlST_E_NS1_11comp_targetILNS1_3genE8ELNS1_11target_archE1030ELNS1_3gpuE2ELNS1_3repE0EEENS1_48merge_mergepath_partition_config_static_selectorELNS0_4arch9wavefront6targetE0EEEvSF_,"axG",@progbits,_ZN7rocprim17ROCPRIM_400000_NS6detail17trampoline_kernelINS0_14default_configENS1_38merge_sort_block_merge_config_selectorIaNS0_10empty_typeEEEZZNS1_27merge_sort_block_merge_implIS3_PaPS5_jNS1_19radix_merge_compareILb1ELb1EaNS0_19identity_decomposerEEEEE10hipError_tT0_T1_T2_jT3_P12ihipStream_tbPNSt15iterator_traitsISE_E10value_typeEPNSK_ISF_E10value_typeEPSG_NS1_7vsmem_tEENKUlT_SE_SF_SG_E_clIS8_S8_S9_S9_EESD_ST_SE_SF_SG_EUlST_E_NS1_11comp_targetILNS1_3genE8ELNS1_11target_archE1030ELNS1_3gpuE2ELNS1_3repE0EEENS1_48merge_mergepath_partition_config_static_selectorELNS0_4arch9wavefront6targetE0EEEvSF_,comdat
.Lfunc_end312:
	.size	_ZN7rocprim17ROCPRIM_400000_NS6detail17trampoline_kernelINS0_14default_configENS1_38merge_sort_block_merge_config_selectorIaNS0_10empty_typeEEEZZNS1_27merge_sort_block_merge_implIS3_PaPS5_jNS1_19radix_merge_compareILb1ELb1EaNS0_19identity_decomposerEEEEE10hipError_tT0_T1_T2_jT3_P12ihipStream_tbPNSt15iterator_traitsISE_E10value_typeEPNSK_ISF_E10value_typeEPSG_NS1_7vsmem_tEENKUlT_SE_SF_SG_E_clIS8_S8_S9_S9_EESD_ST_SE_SF_SG_EUlST_E_NS1_11comp_targetILNS1_3genE8ELNS1_11target_archE1030ELNS1_3gpuE2ELNS1_3repE0EEENS1_48merge_mergepath_partition_config_static_selectorELNS0_4arch9wavefront6targetE0EEEvSF_, .Lfunc_end312-_ZN7rocprim17ROCPRIM_400000_NS6detail17trampoline_kernelINS0_14default_configENS1_38merge_sort_block_merge_config_selectorIaNS0_10empty_typeEEEZZNS1_27merge_sort_block_merge_implIS3_PaPS5_jNS1_19radix_merge_compareILb1ELb1EaNS0_19identity_decomposerEEEEE10hipError_tT0_T1_T2_jT3_P12ihipStream_tbPNSt15iterator_traitsISE_E10value_typeEPNSK_ISF_E10value_typeEPSG_NS1_7vsmem_tEENKUlT_SE_SF_SG_E_clIS8_S8_S9_S9_EESD_ST_SE_SF_SG_EUlST_E_NS1_11comp_targetILNS1_3genE8ELNS1_11target_archE1030ELNS1_3gpuE2ELNS1_3repE0EEENS1_48merge_mergepath_partition_config_static_selectorELNS0_4arch9wavefront6targetE0EEEvSF_
                                        ; -- End function
	.set _ZN7rocprim17ROCPRIM_400000_NS6detail17trampoline_kernelINS0_14default_configENS1_38merge_sort_block_merge_config_selectorIaNS0_10empty_typeEEEZZNS1_27merge_sort_block_merge_implIS3_PaPS5_jNS1_19radix_merge_compareILb1ELb1EaNS0_19identity_decomposerEEEEE10hipError_tT0_T1_T2_jT3_P12ihipStream_tbPNSt15iterator_traitsISE_E10value_typeEPNSK_ISF_E10value_typeEPSG_NS1_7vsmem_tEENKUlT_SE_SF_SG_E_clIS8_S8_S9_S9_EESD_ST_SE_SF_SG_EUlST_E_NS1_11comp_targetILNS1_3genE8ELNS1_11target_archE1030ELNS1_3gpuE2ELNS1_3repE0EEENS1_48merge_mergepath_partition_config_static_selectorELNS0_4arch9wavefront6targetE0EEEvSF_.num_vgpr, 0
	.set _ZN7rocprim17ROCPRIM_400000_NS6detail17trampoline_kernelINS0_14default_configENS1_38merge_sort_block_merge_config_selectorIaNS0_10empty_typeEEEZZNS1_27merge_sort_block_merge_implIS3_PaPS5_jNS1_19radix_merge_compareILb1ELb1EaNS0_19identity_decomposerEEEEE10hipError_tT0_T1_T2_jT3_P12ihipStream_tbPNSt15iterator_traitsISE_E10value_typeEPNSK_ISF_E10value_typeEPSG_NS1_7vsmem_tEENKUlT_SE_SF_SG_E_clIS8_S8_S9_S9_EESD_ST_SE_SF_SG_EUlST_E_NS1_11comp_targetILNS1_3genE8ELNS1_11target_archE1030ELNS1_3gpuE2ELNS1_3repE0EEENS1_48merge_mergepath_partition_config_static_selectorELNS0_4arch9wavefront6targetE0EEEvSF_.num_agpr, 0
	.set _ZN7rocprim17ROCPRIM_400000_NS6detail17trampoline_kernelINS0_14default_configENS1_38merge_sort_block_merge_config_selectorIaNS0_10empty_typeEEEZZNS1_27merge_sort_block_merge_implIS3_PaPS5_jNS1_19radix_merge_compareILb1ELb1EaNS0_19identity_decomposerEEEEE10hipError_tT0_T1_T2_jT3_P12ihipStream_tbPNSt15iterator_traitsISE_E10value_typeEPNSK_ISF_E10value_typeEPSG_NS1_7vsmem_tEENKUlT_SE_SF_SG_E_clIS8_S8_S9_S9_EESD_ST_SE_SF_SG_EUlST_E_NS1_11comp_targetILNS1_3genE8ELNS1_11target_archE1030ELNS1_3gpuE2ELNS1_3repE0EEENS1_48merge_mergepath_partition_config_static_selectorELNS0_4arch9wavefront6targetE0EEEvSF_.numbered_sgpr, 0
	.set _ZN7rocprim17ROCPRIM_400000_NS6detail17trampoline_kernelINS0_14default_configENS1_38merge_sort_block_merge_config_selectorIaNS0_10empty_typeEEEZZNS1_27merge_sort_block_merge_implIS3_PaPS5_jNS1_19radix_merge_compareILb1ELb1EaNS0_19identity_decomposerEEEEE10hipError_tT0_T1_T2_jT3_P12ihipStream_tbPNSt15iterator_traitsISE_E10value_typeEPNSK_ISF_E10value_typeEPSG_NS1_7vsmem_tEENKUlT_SE_SF_SG_E_clIS8_S8_S9_S9_EESD_ST_SE_SF_SG_EUlST_E_NS1_11comp_targetILNS1_3genE8ELNS1_11target_archE1030ELNS1_3gpuE2ELNS1_3repE0EEENS1_48merge_mergepath_partition_config_static_selectorELNS0_4arch9wavefront6targetE0EEEvSF_.num_named_barrier, 0
	.set _ZN7rocprim17ROCPRIM_400000_NS6detail17trampoline_kernelINS0_14default_configENS1_38merge_sort_block_merge_config_selectorIaNS0_10empty_typeEEEZZNS1_27merge_sort_block_merge_implIS3_PaPS5_jNS1_19radix_merge_compareILb1ELb1EaNS0_19identity_decomposerEEEEE10hipError_tT0_T1_T2_jT3_P12ihipStream_tbPNSt15iterator_traitsISE_E10value_typeEPNSK_ISF_E10value_typeEPSG_NS1_7vsmem_tEENKUlT_SE_SF_SG_E_clIS8_S8_S9_S9_EESD_ST_SE_SF_SG_EUlST_E_NS1_11comp_targetILNS1_3genE8ELNS1_11target_archE1030ELNS1_3gpuE2ELNS1_3repE0EEENS1_48merge_mergepath_partition_config_static_selectorELNS0_4arch9wavefront6targetE0EEEvSF_.private_seg_size, 0
	.set _ZN7rocprim17ROCPRIM_400000_NS6detail17trampoline_kernelINS0_14default_configENS1_38merge_sort_block_merge_config_selectorIaNS0_10empty_typeEEEZZNS1_27merge_sort_block_merge_implIS3_PaPS5_jNS1_19radix_merge_compareILb1ELb1EaNS0_19identity_decomposerEEEEE10hipError_tT0_T1_T2_jT3_P12ihipStream_tbPNSt15iterator_traitsISE_E10value_typeEPNSK_ISF_E10value_typeEPSG_NS1_7vsmem_tEENKUlT_SE_SF_SG_E_clIS8_S8_S9_S9_EESD_ST_SE_SF_SG_EUlST_E_NS1_11comp_targetILNS1_3genE8ELNS1_11target_archE1030ELNS1_3gpuE2ELNS1_3repE0EEENS1_48merge_mergepath_partition_config_static_selectorELNS0_4arch9wavefront6targetE0EEEvSF_.uses_vcc, 0
	.set _ZN7rocprim17ROCPRIM_400000_NS6detail17trampoline_kernelINS0_14default_configENS1_38merge_sort_block_merge_config_selectorIaNS0_10empty_typeEEEZZNS1_27merge_sort_block_merge_implIS3_PaPS5_jNS1_19radix_merge_compareILb1ELb1EaNS0_19identity_decomposerEEEEE10hipError_tT0_T1_T2_jT3_P12ihipStream_tbPNSt15iterator_traitsISE_E10value_typeEPNSK_ISF_E10value_typeEPSG_NS1_7vsmem_tEENKUlT_SE_SF_SG_E_clIS8_S8_S9_S9_EESD_ST_SE_SF_SG_EUlST_E_NS1_11comp_targetILNS1_3genE8ELNS1_11target_archE1030ELNS1_3gpuE2ELNS1_3repE0EEENS1_48merge_mergepath_partition_config_static_selectorELNS0_4arch9wavefront6targetE0EEEvSF_.uses_flat_scratch, 0
	.set _ZN7rocprim17ROCPRIM_400000_NS6detail17trampoline_kernelINS0_14default_configENS1_38merge_sort_block_merge_config_selectorIaNS0_10empty_typeEEEZZNS1_27merge_sort_block_merge_implIS3_PaPS5_jNS1_19radix_merge_compareILb1ELb1EaNS0_19identity_decomposerEEEEE10hipError_tT0_T1_T2_jT3_P12ihipStream_tbPNSt15iterator_traitsISE_E10value_typeEPNSK_ISF_E10value_typeEPSG_NS1_7vsmem_tEENKUlT_SE_SF_SG_E_clIS8_S8_S9_S9_EESD_ST_SE_SF_SG_EUlST_E_NS1_11comp_targetILNS1_3genE8ELNS1_11target_archE1030ELNS1_3gpuE2ELNS1_3repE0EEENS1_48merge_mergepath_partition_config_static_selectorELNS0_4arch9wavefront6targetE0EEEvSF_.has_dyn_sized_stack, 0
	.set _ZN7rocprim17ROCPRIM_400000_NS6detail17trampoline_kernelINS0_14default_configENS1_38merge_sort_block_merge_config_selectorIaNS0_10empty_typeEEEZZNS1_27merge_sort_block_merge_implIS3_PaPS5_jNS1_19radix_merge_compareILb1ELb1EaNS0_19identity_decomposerEEEEE10hipError_tT0_T1_T2_jT3_P12ihipStream_tbPNSt15iterator_traitsISE_E10value_typeEPNSK_ISF_E10value_typeEPSG_NS1_7vsmem_tEENKUlT_SE_SF_SG_E_clIS8_S8_S9_S9_EESD_ST_SE_SF_SG_EUlST_E_NS1_11comp_targetILNS1_3genE8ELNS1_11target_archE1030ELNS1_3gpuE2ELNS1_3repE0EEENS1_48merge_mergepath_partition_config_static_selectorELNS0_4arch9wavefront6targetE0EEEvSF_.has_recursion, 0
	.set _ZN7rocprim17ROCPRIM_400000_NS6detail17trampoline_kernelINS0_14default_configENS1_38merge_sort_block_merge_config_selectorIaNS0_10empty_typeEEEZZNS1_27merge_sort_block_merge_implIS3_PaPS5_jNS1_19radix_merge_compareILb1ELb1EaNS0_19identity_decomposerEEEEE10hipError_tT0_T1_T2_jT3_P12ihipStream_tbPNSt15iterator_traitsISE_E10value_typeEPNSK_ISF_E10value_typeEPSG_NS1_7vsmem_tEENKUlT_SE_SF_SG_E_clIS8_S8_S9_S9_EESD_ST_SE_SF_SG_EUlST_E_NS1_11comp_targetILNS1_3genE8ELNS1_11target_archE1030ELNS1_3gpuE2ELNS1_3repE0EEENS1_48merge_mergepath_partition_config_static_selectorELNS0_4arch9wavefront6targetE0EEEvSF_.has_indirect_call, 0
	.section	.AMDGPU.csdata,"",@progbits
; Kernel info:
; codeLenInByte = 0
; TotalNumSgprs: 0
; NumVgprs: 0
; ScratchSize: 0
; MemoryBound: 0
; FloatMode: 240
; IeeeMode: 1
; LDSByteSize: 0 bytes/workgroup (compile time only)
; SGPRBlocks: 0
; VGPRBlocks: 0
; NumSGPRsForWavesPerEU: 1
; NumVGPRsForWavesPerEU: 1
; NamedBarCnt: 0
; Occupancy: 16
; WaveLimiterHint : 0
; COMPUTE_PGM_RSRC2:SCRATCH_EN: 0
; COMPUTE_PGM_RSRC2:USER_SGPR: 2
; COMPUTE_PGM_RSRC2:TRAP_HANDLER: 0
; COMPUTE_PGM_RSRC2:TGID_X_EN: 1
; COMPUTE_PGM_RSRC2:TGID_Y_EN: 0
; COMPUTE_PGM_RSRC2:TGID_Z_EN: 0
; COMPUTE_PGM_RSRC2:TIDIG_COMP_CNT: 0
	.section	.text._ZN7rocprim17ROCPRIM_400000_NS6detail17trampoline_kernelINS0_14default_configENS1_38merge_sort_block_merge_config_selectorIaNS0_10empty_typeEEEZZNS1_27merge_sort_block_merge_implIS3_PaPS5_jNS1_19radix_merge_compareILb1ELb1EaNS0_19identity_decomposerEEEEE10hipError_tT0_T1_T2_jT3_P12ihipStream_tbPNSt15iterator_traitsISE_E10value_typeEPNSK_ISF_E10value_typeEPSG_NS1_7vsmem_tEENKUlT_SE_SF_SG_E_clIS8_S8_S9_S9_EESD_ST_SE_SF_SG_EUlST_E0_NS1_11comp_targetILNS1_3genE0ELNS1_11target_archE4294967295ELNS1_3gpuE0ELNS1_3repE0EEENS1_38merge_mergepath_config_static_selectorELNS0_4arch9wavefront6targetE0EEEvSF_,"axG",@progbits,_ZN7rocprim17ROCPRIM_400000_NS6detail17trampoline_kernelINS0_14default_configENS1_38merge_sort_block_merge_config_selectorIaNS0_10empty_typeEEEZZNS1_27merge_sort_block_merge_implIS3_PaPS5_jNS1_19radix_merge_compareILb1ELb1EaNS0_19identity_decomposerEEEEE10hipError_tT0_T1_T2_jT3_P12ihipStream_tbPNSt15iterator_traitsISE_E10value_typeEPNSK_ISF_E10value_typeEPSG_NS1_7vsmem_tEENKUlT_SE_SF_SG_E_clIS8_S8_S9_S9_EESD_ST_SE_SF_SG_EUlST_E0_NS1_11comp_targetILNS1_3genE0ELNS1_11target_archE4294967295ELNS1_3gpuE0ELNS1_3repE0EEENS1_38merge_mergepath_config_static_selectorELNS0_4arch9wavefront6targetE0EEEvSF_,comdat
	.protected	_ZN7rocprim17ROCPRIM_400000_NS6detail17trampoline_kernelINS0_14default_configENS1_38merge_sort_block_merge_config_selectorIaNS0_10empty_typeEEEZZNS1_27merge_sort_block_merge_implIS3_PaPS5_jNS1_19radix_merge_compareILb1ELb1EaNS0_19identity_decomposerEEEEE10hipError_tT0_T1_T2_jT3_P12ihipStream_tbPNSt15iterator_traitsISE_E10value_typeEPNSK_ISF_E10value_typeEPSG_NS1_7vsmem_tEENKUlT_SE_SF_SG_E_clIS8_S8_S9_S9_EESD_ST_SE_SF_SG_EUlST_E0_NS1_11comp_targetILNS1_3genE0ELNS1_11target_archE4294967295ELNS1_3gpuE0ELNS1_3repE0EEENS1_38merge_mergepath_config_static_selectorELNS0_4arch9wavefront6targetE0EEEvSF_ ; -- Begin function _ZN7rocprim17ROCPRIM_400000_NS6detail17trampoline_kernelINS0_14default_configENS1_38merge_sort_block_merge_config_selectorIaNS0_10empty_typeEEEZZNS1_27merge_sort_block_merge_implIS3_PaPS5_jNS1_19radix_merge_compareILb1ELb1EaNS0_19identity_decomposerEEEEE10hipError_tT0_T1_T2_jT3_P12ihipStream_tbPNSt15iterator_traitsISE_E10value_typeEPNSK_ISF_E10value_typeEPSG_NS1_7vsmem_tEENKUlT_SE_SF_SG_E_clIS8_S8_S9_S9_EESD_ST_SE_SF_SG_EUlST_E0_NS1_11comp_targetILNS1_3genE0ELNS1_11target_archE4294967295ELNS1_3gpuE0ELNS1_3repE0EEENS1_38merge_mergepath_config_static_selectorELNS0_4arch9wavefront6targetE0EEEvSF_
	.globl	_ZN7rocprim17ROCPRIM_400000_NS6detail17trampoline_kernelINS0_14default_configENS1_38merge_sort_block_merge_config_selectorIaNS0_10empty_typeEEEZZNS1_27merge_sort_block_merge_implIS3_PaPS5_jNS1_19radix_merge_compareILb1ELb1EaNS0_19identity_decomposerEEEEE10hipError_tT0_T1_T2_jT3_P12ihipStream_tbPNSt15iterator_traitsISE_E10value_typeEPNSK_ISF_E10value_typeEPSG_NS1_7vsmem_tEENKUlT_SE_SF_SG_E_clIS8_S8_S9_S9_EESD_ST_SE_SF_SG_EUlST_E0_NS1_11comp_targetILNS1_3genE0ELNS1_11target_archE4294967295ELNS1_3gpuE0ELNS1_3repE0EEENS1_38merge_mergepath_config_static_selectorELNS0_4arch9wavefront6targetE0EEEvSF_
	.p2align	8
	.type	_ZN7rocprim17ROCPRIM_400000_NS6detail17trampoline_kernelINS0_14default_configENS1_38merge_sort_block_merge_config_selectorIaNS0_10empty_typeEEEZZNS1_27merge_sort_block_merge_implIS3_PaPS5_jNS1_19radix_merge_compareILb1ELb1EaNS0_19identity_decomposerEEEEE10hipError_tT0_T1_T2_jT3_P12ihipStream_tbPNSt15iterator_traitsISE_E10value_typeEPNSK_ISF_E10value_typeEPSG_NS1_7vsmem_tEENKUlT_SE_SF_SG_E_clIS8_S8_S9_S9_EESD_ST_SE_SF_SG_EUlST_E0_NS1_11comp_targetILNS1_3genE0ELNS1_11target_archE4294967295ELNS1_3gpuE0ELNS1_3repE0EEENS1_38merge_mergepath_config_static_selectorELNS0_4arch9wavefront6targetE0EEEvSF_,@function
_ZN7rocprim17ROCPRIM_400000_NS6detail17trampoline_kernelINS0_14default_configENS1_38merge_sort_block_merge_config_selectorIaNS0_10empty_typeEEEZZNS1_27merge_sort_block_merge_implIS3_PaPS5_jNS1_19radix_merge_compareILb1ELb1EaNS0_19identity_decomposerEEEEE10hipError_tT0_T1_T2_jT3_P12ihipStream_tbPNSt15iterator_traitsISE_E10value_typeEPNSK_ISF_E10value_typeEPSG_NS1_7vsmem_tEENKUlT_SE_SF_SG_E_clIS8_S8_S9_S9_EESD_ST_SE_SF_SG_EUlST_E0_NS1_11comp_targetILNS1_3genE0ELNS1_11target_archE4294967295ELNS1_3gpuE0ELNS1_3repE0EEENS1_38merge_mergepath_config_static_selectorELNS0_4arch9wavefront6targetE0EEEvSF_: ; @_ZN7rocprim17ROCPRIM_400000_NS6detail17trampoline_kernelINS0_14default_configENS1_38merge_sort_block_merge_config_selectorIaNS0_10empty_typeEEEZZNS1_27merge_sort_block_merge_implIS3_PaPS5_jNS1_19radix_merge_compareILb1ELb1EaNS0_19identity_decomposerEEEEE10hipError_tT0_T1_T2_jT3_P12ihipStream_tbPNSt15iterator_traitsISE_E10value_typeEPNSK_ISF_E10value_typeEPSG_NS1_7vsmem_tEENKUlT_SE_SF_SG_E_clIS8_S8_S9_S9_EESD_ST_SE_SF_SG_EUlST_E0_NS1_11comp_targetILNS1_3genE0ELNS1_11target_archE4294967295ELNS1_3gpuE0ELNS1_3repE0EEENS1_38merge_mergepath_config_static_selectorELNS0_4arch9wavefront6targetE0EEEvSF_
; %bb.0:
	s_bfe_u32 s2, ttmp6, 0x40010
	s_and_b32 s4, ttmp7, 0xffff
	s_add_co_i32 s5, s2, 1
	s_clause 0x1
	s_load_b32 s6, s[0:1], 0x30
	s_load_b64 s[2:3], s[0:1], 0x40
	s_bfe_u32 s8, ttmp6, 0x4000c
	s_mul_i32 s5, s4, s5
	s_bfe_u32 s7, ttmp6, 0x40004
	s_add_co_i32 s8, s8, 1
	s_bfe_u32 s9, ttmp6, 0x40014
	s_add_co_i32 s7, s7, s5
	s_and_b32 s5, ttmp6, 15
	s_mul_i32 s8, ttmp9, s8
	s_lshr_b32 s10, ttmp7, 16
	s_add_co_i32 s9, s9, 1
	s_add_co_i32 s5, s5, s8
	s_mul_i32 s8, s10, s9
	s_bfe_u32 s9, ttmp6, 0x40008
	s_getreg_b32 s11, hwreg(HW_REG_IB_STS2, 6, 4)
	s_add_co_i32 s9, s9, s8
	s_cmp_eq_u32 s11, 0
	s_cselect_b32 s8, s10, s9
	s_cselect_b32 s4, s4, s7
	s_wait_kmcnt 0x0
	s_mul_i32 s8, s3, s8
	s_cselect_b32 s3, ttmp9, s5
	s_add_co_i32 s4, s8, s4
	s_mov_b32 s5, 0
	s_mul_i32 s4, s4, s2
	s_delay_alu instid0(SALU_CYCLE_1) | instskip(NEXT) | instid1(SALU_CYCLE_1)
	s_add_co_i32 s4, s4, s3
	s_cmp_ge_u32 s4, s6
	s_cbranch_scc1 .LBB313_49
; %bb.1:
	v_mov_b32_e32 v1, 0
	s_add_nc_u64 s[6:7], s[0:1], 64
	global_load_b32 v2, v1, s[6:7] offset:14
	s_clause 0x2
	s_load_b64 s[8:9], s[0:1], 0x28
	s_load_b64 s[10:11], s[0:1], 0x38
	;; [unrolled: 1-line block ×3, first 2 shown]
	s_wait_kmcnt 0x0
	s_lshr_b32 s20, s8, 10
	s_delay_alu instid0(SALU_CYCLE_1) | instskip(SKIP_2) | instid1(SALU_CYCLE_1)
	s_cmp_lg_u32 s4, s20
	s_cselect_b32 s14, -1, 0
	s_lshl_b64 s[16:17], s[4:5], 2
	s_add_nc_u64 s[10:11], s[10:11], s[16:17]
	s_load_b64 s[16:17], s[10:11], 0x0
	s_wait_xcnt 0x0
	s_lshr_b32 s10, s9, 9
	s_delay_alu instid0(SALU_CYCLE_1) | instskip(NEXT) | instid1(SALU_CYCLE_1)
	s_and_b32 s10, s10, 0x7ffffe
	s_sub_co_i32 s11, 0, s10
	s_lshl_b32 s10, s4, 10
	s_and_b32 s15, s4, s11
	s_or_b32 s11, s4, s11
	s_lshl_b32 s18, s15, 11
	s_lshl_b32 s15, s15, 10
	s_add_co_i32 s18, s18, s9
	s_sub_co_i32 s19, s10, s15
	s_sub_co_i32 s15, s18, s15
	s_add_co_i32 s18, s18, s19
	s_min_u32 s19, s8, s15
	s_add_co_i32 s15, s15, s9
	s_wait_kmcnt 0x0
	s_sub_co_i32 s9, s18, s16
	s_sub_co_i32 s21, s18, s17
	s_min_u32 s18, s8, s9
	s_addk_co_i32 s21, 0x400
	s_cmp_eq_u32 s11, -1
	s_cselect_b32 s9, s15, s21
	s_cselect_b32 s11, s19, s17
	s_min_u32 s15, s9, s8
	s_sub_co_i32 s9, s11, s16
	s_sub_co_i32 s15, s15, s18
	s_cmp_lt_u32 s3, s2
	s_mov_b32 s3, s5
	s_cselect_b32 s2, 12, 18
	s_mov_b32 s17, s5
	s_add_nc_u64 s[2:3], s[6:7], s[2:3]
	s_mov_b32 s19, s5
	s_load_u16 s2, s[2:3], 0x0
	s_add_nc_u64 s[6:7], s[12:13], s[16:17]
	s_cmp_eq_u32 s4, s20
	s_add_nc_u64 s[12:13], s[12:13], s[18:19]
	s_wait_loadcnt 0x0
	v_lshrrev_b32_e32 v3, 16, v2
	v_and_b32_e32 v2, 0xffff, v2
	s_delay_alu instid0(VALU_DEP_1) | instskip(SKIP_1) | instid1(VALU_DEP_1)
	v_mul_lo_u32 v2, v2, v3
	s_wait_kmcnt 0x0
	v_mul_lo_u32 v8, v2, s2
	s_mov_b32 s2, -1
	s_delay_alu instid0(VALU_DEP_1) | instskip(NEXT) | instid1(VALU_DEP_1)
	v_add_nc_u32_e32 v6, v8, v0
	v_add_nc_u32_e32 v4, v6, v8
	s_cbranch_scc1 .LBB313_3
; %bb.2:
	v_sub_co_u32 v10, vcc_lo, v0, s9
	v_dual_mov_b32 v11, v1 :: v_dual_mov_b32 v7, v1
	v_add_nc_u64_e32 v[2:3], s[6:7], v[0:1]
	v_sub_co_u32 v14, s2, v6, s9
	s_delay_alu instid0(VALU_DEP_3) | instskip(SKIP_3) | instid1(VALU_DEP_3)
	v_add_nc_u64_e32 v[10:11], s[12:13], v[10:11]
	v_dual_mov_b32 v15, v1 :: v_dual_mov_b32 v5, v1
	v_add_nc_u64_e32 v[12:13], s[6:7], v[6:7]
	v_dual_mov_b32 v17, v1 :: v_dual_add_nc_u32 v18, v4, v8
	v_add_nc_u64_e32 v[14:15], s[12:13], v[14:15]
	v_dual_cndmask_b32 v3, v11, v3 :: v_dual_cndmask_b32 v2, v10, v2
	v_sub_co_u32 v16, vcc_lo, v4, s9
	v_add_nc_u64_e32 v[10:11], s[6:7], v[4:5]
	s_delay_alu instid0(VALU_DEP_4) | instskip(SKIP_1) | instid1(VALU_DEP_4)
	v_dual_mov_b32 v19, v1 :: v_dual_cndmask_b32 v13, v15, v13, s2
	v_dual_cndmask_b32 v12, v14, v12, s2 :: v_dual_mov_b32 v25, v1
	v_add_nc_u64_e32 v[14:15], s[12:13], v[16:17]
	v_add_nc_u32_e32 v16, v18, v8
	s_delay_alu instid0(VALU_DEP_4)
	v_add_nc_u64_e32 v[20:21], s[6:7], v[18:19]
	v_sub_co_u32 v18, s2, v18, s9
	s_add_co_i32 s11, s15, s9
	v_dual_mov_b32 v27, v1 :: v_dual_cndmask_b32 v11, v15, v11, vcc_lo
	v_add_nc_u64_e32 v[22:23], s[6:7], v[16:17]
	v_sub_co_u32 v24, s3, v16, s9
	v_dual_add_nc_u32 v16, v16, v8 :: v_dual_cndmask_b32 v10, v14, v10, vcc_lo
	v_mov_b32_e32 v29, v1
	v_add_nc_u64_e32 v[14:15], s[12:13], v[18:19]
	s_delay_alu instid0(VALU_DEP_4) | instskip(NEXT) | instid1(VALU_DEP_4)
	v_add_nc_u64_e32 v[18:19], s[12:13], v[24:25]
	v_add_nc_u32_e32 v26, v16, v8
	v_add_nc_u64_e32 v[24:25], s[6:7], v[16:17]
	v_sub_co_u32 v16, vcc_lo, v16, s9
	s_delay_alu instid0(VALU_DEP_3) | instskip(SKIP_2) | instid1(VALU_DEP_4)
	v_add_nc_u32_e32 v28, v26, v8
	v_add_nc_u64_e32 v[30:31], s[6:7], v[26:27]
	v_sub_co_u32 v26, s4, v26, s9
	v_add_nc_u64_e32 v[16:17], s[12:13], v[16:17]
	s_delay_alu instid0(VALU_DEP_4) | instskip(SKIP_3) | instid1(VALU_DEP_3)
	v_add_nc_u64_e32 v[32:33], s[6:7], v[28:29]
	v_sub_co_u32 v28, s5, v28, s9
	v_dual_cndmask_b32 v15, v15, v21, s2 :: v_dual_cndmask_b32 v14, v14, v20, s2
	v_add_nc_u64_e32 v[26:27], s[12:13], v[26:27]
	v_add_nc_u64_e32 v[20:21], s[12:13], v[28:29]
	v_dual_cndmask_b32 v19, v19, v23, s3 :: v_dual_cndmask_b32 v18, v18, v22, s3
	v_dual_cndmask_b32 v17, v17, v25 :: v_dual_cndmask_b32 v16, v16, v24
	s_delay_alu instid0(VALU_DEP_4) | instskip(NEXT) | instid1(VALU_DEP_4)
	v_dual_cndmask_b32 v23, v27, v31, s4 :: v_dual_cndmask_b32 v22, v26, v30, s4
	v_dual_cndmask_b32 v21, v21, v33, s5 :: v_dual_cndmask_b32 v20, v20, v32, s5
	global_load_u8 v1, v[2:3], off
	global_load_u8 v5, v[12:13], off
	;; [unrolled: 1-line block ×8, first 2 shown]
	s_wait_loadcnt 0x6
	v_perm_b32 v1, v1, v5, 0xc0c0004
	s_wait_loadcnt 0x4
	v_perm_b32 v2, v7, v9, 0xc0c0004
	;; [unrolled: 2-line block ×4, first 2 shown]
	v_lshl_or_b32 v2, v2, 16, v1
	s_delay_alu instid0(VALU_DEP_2)
	v_lshl_or_b32 v3, v5, 16, v3
	s_cbranch_execz .LBB313_4
	s_branch .LBB313_19
.LBB313_3:
                                        ; implicit-def: $vgpr2_vgpr3
                                        ; implicit-def: $sgpr11
	s_and_not1_b32 vcc_lo, exec_lo, s2
	s_cbranch_vccnz .LBB313_19
.LBB313_4:
	v_mov_b64_e32 v[2:3], 0
	s_add_co_i32 s11, s15, s9
	s_mov_b32 s2, exec_lo
	v_cmpx_gt_u32_e64 s11, v0
	s_cbranch_execnz .LBB313_50
; %bb.5:
	s_or_b32 exec_lo, exec_lo, s2
	s_delay_alu instid0(SALU_CYCLE_1)
	s_mov_b32 s2, exec_lo
	v_cmpx_gt_u32_e64 s11, v6
	s_cbranch_execnz .LBB313_51
.LBB313_6:
	s_or_b32 exec_lo, exec_lo, s2
	s_delay_alu instid0(SALU_CYCLE_1)
	s_mov_b32 s2, exec_lo
	v_cmpx_gt_u32_e64 s11, v4
	s_cbranch_execz .LBB313_8
.LBB313_7:
	v_sub_co_u32 v10, vcc_lo, v4, s9
	v_mov_b32_e32 v5, 0
	s_delay_alu instid0(VALU_DEP_1) | instskip(SKIP_1) | instid1(VALU_DEP_1)
	v_add_nc_u64_e32 v[6:7], s[6:7], v[4:5]
	v_mov_b32_e32 v11, v5
	v_add_nc_u64_e32 v[10:11], s[12:13], v[10:11]
	s_delay_alu instid0(VALU_DEP_1) | instskip(SKIP_3) | instid1(VALU_DEP_1)
	v_dual_cndmask_b32 v7, v11, v7 :: v_dual_cndmask_b32 v6, v10, v6
	global_load_u8 v1, v[6:7], off
	s_wait_loadcnt 0x0
	v_perm_b32 v1, v1, v2, 0xc0c0304
	v_lshlrev_b32_e32 v1, 16, v1
	s_delay_alu instid0(VALU_DEP_1)
	v_and_or_b32 v2, 0xffff, v2, v1
.LBB313_8:
	s_or_b32 exec_lo, exec_lo, s2
	v_add_nc_u32_e32 v4, v4, v8
	s_mov_b32 s2, exec_lo
	s_delay_alu instid0(VALU_DEP_1)
	v_cmpx_gt_u32_e64 s11, v4
	s_cbranch_execz .LBB313_10
; %bb.9:
	v_sub_co_u32 v10, vcc_lo, v4, s9
	v_mov_b32_e32 v5, 0
	s_delay_alu instid0(VALU_DEP_1) | instskip(SKIP_1) | instid1(VALU_DEP_1)
	v_add_nc_u64_e32 v[6:7], s[6:7], v[4:5]
	v_mov_b32_e32 v11, v5
	v_add_nc_u64_e32 v[10:11], s[12:13], v[10:11]
	s_delay_alu instid0(VALU_DEP_1) | instskip(SKIP_3) | instid1(VALU_DEP_1)
	v_dual_cndmask_b32 v7, v11, v7 :: v_dual_cndmask_b32 v6, v10, v6
	global_load_u8 v1, v[6:7], off
	s_wait_loadcnt 0x0
	v_perm_b32 v1, v2, v1, 0xc0c0006
	v_lshlrev_b32_e32 v1, 16, v1
	s_delay_alu instid0(VALU_DEP_1)
	v_and_or_b32 v2, 0xffff, v2, v1
.LBB313_10:
	s_or_b32 exec_lo, exec_lo, s2
	v_add_nc_u32_e32 v4, v4, v8
	s_mov_b32 s2, exec_lo
	s_delay_alu instid0(VALU_DEP_1)
	v_cmpx_gt_u32_e64 s11, v4
	s_cbranch_execz .LBB313_12
; %bb.11:
	v_sub_co_u32 v10, vcc_lo, v4, s9
	v_mov_b32_e32 v5, 0
	s_delay_alu instid0(VALU_DEP_1) | instskip(SKIP_1) | instid1(VALU_DEP_1)
	v_add_nc_u64_e32 v[6:7], s[6:7], v[4:5]
	v_mov_b32_e32 v11, v5
	v_add_nc_u64_e32 v[10:11], s[12:13], v[10:11]
	s_delay_alu instid0(VALU_DEP_1)
	v_dual_cndmask_b32 v7, v11, v7 :: v_dual_cndmask_b32 v6, v10, v6
	global_load_u8 v1, v[6:7], off
	s_wait_loadcnt 0x0
	v_perm_b32 v3, v1, v3, 0x3020104
.LBB313_12:
	s_or_b32 exec_lo, exec_lo, s2
	v_add_nc_u32_e32 v4, v4, v8
	s_mov_b32 s2, exec_lo
	s_delay_alu instid0(VALU_DEP_1)
	v_cmpx_gt_u32_e64 s11, v4
	s_cbranch_execz .LBB313_14
; %bb.13:
	v_sub_co_u32 v10, vcc_lo, v4, s9
	v_mov_b32_e32 v5, 0
	s_delay_alu instid0(VALU_DEP_1) | instskip(SKIP_1) | instid1(VALU_DEP_1)
	v_add_nc_u64_e32 v[6:7], s[6:7], v[4:5]
	v_mov_b32_e32 v11, v5
	v_add_nc_u64_e32 v[10:11], s[12:13], v[10:11]
	s_delay_alu instid0(VALU_DEP_1)
	v_dual_cndmask_b32 v7, v11, v7 :: v_dual_cndmask_b32 v6, v10, v6
	global_load_u8 v1, v[6:7], off
	s_wait_loadcnt 0x0
	v_perm_b32 v3, v3, v1, 0x7060004
.LBB313_14:
	;; [unrolled: 19-line block ×3, first 2 shown]
	s_or_b32 exec_lo, exec_lo, s2
	v_add_nc_u32_e32 v4, v4, v8
	s_mov_b32 s2, exec_lo
	s_delay_alu instid0(VALU_DEP_1)
	v_cmpx_gt_u32_e64 s11, v4
	s_cbranch_execz .LBB313_18
; %bb.17:
	v_mov_b32_e32 v5, 0
	s_delay_alu instid0(VALU_DEP_1) | instskip(SKIP_1) | instid1(VALU_DEP_1)
	v_add_nc_u64_e32 v[6:7], s[6:7], v[4:5]
	v_sub_co_u32 v4, vcc_lo, v4, s9
	v_add_nc_u64_e32 v[4:5], s[12:13], v[4:5]
	s_delay_alu instid0(VALU_DEP_1)
	v_dual_cndmask_b32 v5, v5, v7 :: v_dual_cndmask_b32 v4, v4, v6
	global_load_u8 v1, v[4:5], off
	s_wait_loadcnt 0x0
	v_perm_b32 v3, v3, v1, 0x60504
.LBB313_18:
	s_or_b32 exec_lo, exec_lo, s2
.LBB313_19:
	s_clause 0x1
	s_load_b64 s[12:13], s[0:1], 0x10
	s_load_b32 s16, s[0:1], 0x34
	v_dual_lshlrev_b32 v6, 3, v0 :: v_dual_lshrrev_b32 v7, 8, v2
	v_lshrrev_b64 v[4:5], 24, v[2:3]
	v_dual_lshrrev_b32 v8, 16, v2 :: v_dual_lshrrev_b32 v9, 8, v3
	s_delay_alu instid0(VALU_DEP_3)
	v_min_u32_e32 v1, s11, v6
	v_dual_lshrrev_b32 v10, 16, v3 :: v_dual_lshrrev_b32 v11, 24, v3
	s_wait_xcnt 0x0
	s_mov_b32 s0, exec_lo
	ds_store_b8 v0, v2
	ds_store_b8 v0, v7 offset:128
	ds_store_b8 v0, v8 offset:256
	;; [unrolled: 1-line block ×7, first 2 shown]
	v_sub_nc_u32_e64 v5, v1, s15 clamp
	v_min_u32_e32 v12, s9, v1
	s_wait_dscnt 0x0
	s_barrier_signal -1
	s_barrier_wait -1
	s_delay_alu instid0(VALU_DEP_1)
	v_cmpx_lt_u32_e64 v5, v12
	s_cbranch_execz .LBB313_23
; %bb.20:
	v_add_nc_u32_e32 v13, s9, v1
	s_mov_b32 s1, 0
.LBB313_21:                             ; =>This Inner Loop Header: Depth=1
	v_add_nc_u32_e32 v14, v12, v5
	s_delay_alu instid0(VALU_DEP_1) | instskip(NEXT) | instid1(VALU_DEP_1)
	v_lshrrev_b32_e32 v14, 1, v14
	v_xad_u32 v15, v14, -1, v13
	ds_load_u8 v16, v14
	ds_load_u8 v15, v15
	s_wait_dscnt 0x1
	s_wait_kmcnt 0x0
	v_and_b32_e32 v16, s16, v16
	s_wait_dscnt 0x0
	v_and_b32_e32 v15, s16, v15
	s_delay_alu instid0(VALU_DEP_2) | instskip(NEXT) | instid1(VALU_DEP_2)
	v_bfe_i32 v16, v16, 0, 8
	v_bfe_i32 v15, v15, 0, 8
	s_delay_alu instid0(VALU_DEP_1) | instskip(SKIP_1) | instid1(VALU_DEP_1)
	v_cmp_gt_i16_e32 vcc_lo, v15, v16
	v_dual_cndmask_b32 v12, v12, v14 :: v_dual_add_nc_u32 v17, 1, v14
	v_cndmask_b32_e32 v5, v17, v5, vcc_lo
	s_delay_alu instid0(VALU_DEP_1) | instskip(SKIP_1) | instid1(SALU_CYCLE_1)
	v_cmp_ge_u32_e32 vcc_lo, v5, v12
	s_or_b32 s1, vcc_lo, s1
	s_and_not1_b32 exec_lo, exec_lo, s1
	s_cbranch_execnz .LBB313_21
; %bb.22:
	s_or_b32 exec_lo, exec_lo, s1
.LBB313_23:
	s_delay_alu instid0(SALU_CYCLE_1) | instskip(SKIP_2) | instid1(VALU_DEP_2)
	s_or_b32 exec_lo, exec_lo, s0
	v_sub_nc_u32_e32 v1, v1, v5
	v_cmp_ge_u32_e32 vcc_lo, s9, v5
	v_add_nc_u32_e32 v12, s9, v1
	s_delay_alu instid0(VALU_DEP_1) | instskip(SKIP_1) | instid1(SALU_CYCLE_1)
	v_cmp_ge_u32_e64 s0, s11, v12
	s_or_b32 s0, vcc_lo, s0
	s_and_saveexec_b32 s15, s0
	s_cbranch_execz .LBB313_29
; %bb.24:
	v_cmp_gt_u32_e32 vcc_lo, s9, v5
                                        ; implicit-def: $vgpr1
	s_and_saveexec_b32 s0, vcc_lo
; %bb.25:
	ds_load_u8 v1, v5
; %bb.26:
	s_or_b32 exec_lo, exec_lo, s0
	v_cmp_le_u32_e64 s0, s11, v12
	s_mov_b32 s2, exec_lo
                                        ; implicit-def: $vgpr2
	v_cmpx_gt_u32_e64 s11, v12
; %bb.27:
	ds_load_u8 v2, v12
; %bb.28:
	s_or_b32 exec_lo, exec_lo, s2
	s_wait_dscnt 0x0
	s_wait_kmcnt 0x0
	v_and_b32_e32 v3, s16, v2
	v_and_b32_e32 v4, s16, v1
	s_delay_alu instid0(VALU_DEP_2) | instskip(NEXT) | instid1(VALU_DEP_2)
	v_bfe_i32 v3, v3, 0, 8
	v_bfe_i32 v4, v4, 0, 8
	s_delay_alu instid0(VALU_DEP_1) | instskip(SKIP_2) | instid1(SALU_CYCLE_1)
	v_cmp_le_i16_e64 s1, v3, v4
	v_mov_b32_e32 v3, s9
	s_and_b32 s1, vcc_lo, s1
	s_or_b32 vcc_lo, s0, s1
	v_cndmask_b32_e32 v4, v12, v5, vcc_lo
	s_delay_alu instid0(VALU_DEP_1) | instskip(NEXT) | instid1(VALU_DEP_1)
	v_dual_cndmask_b32 v7, s11, v3 :: v_dual_add_nc_u32 v4, 1, v4
	v_add_min_u32_e64 v7, v7, -1, v4
	v_cndmask_b32_e32 v5, v5, v4, vcc_lo
	v_cndmask_b32_e32 v4, v4, v12, vcc_lo
	ds_load_u8 v7, v7
	v_cmp_gt_u32_e64 s0, s9, v5
	v_cmp_le_u32_e64 s2, s11, v4
	s_wait_dscnt 0x0
	v_dual_cndmask_b32 v8, v7, v2 :: v_dual_cndmask_b32 v7, v1, v7
	s_delay_alu instid0(VALU_DEP_1) | instskip(NEXT) | instid1(VALU_DEP_2)
	v_and_b32_e32 v9, s16, v8
	v_and_b32_e32 v10, s16, v7
	s_delay_alu instid0(VALU_DEP_2) | instskip(NEXT) | instid1(VALU_DEP_2)
	v_bfe_i32 v9, v9, 0, 8
	v_bfe_i32 v10, v10, 0, 8
	s_delay_alu instid0(VALU_DEP_1) | instskip(SKIP_1) | instid1(SALU_CYCLE_1)
	v_cmp_le_i16_e64 s1, v9, v10
	s_and_b32 s0, s0, s1
	s_or_b32 s0, s2, s0
	s_delay_alu instid0(SALU_CYCLE_1) | instskip(NEXT) | instid1(VALU_DEP_1)
	v_cndmask_b32_e64 v9, v4, v5, s0
	v_dual_cndmask_b32 v10, s11, v3, s0 :: v_dual_add_nc_u32 v9, 1, v9
	s_delay_alu instid0(VALU_DEP_1)
	v_add_min_u32_e64 v10, v10, -1, v9
	v_cndmask_b32_e64 v5, v5, v9, s0
	v_cndmask_b32_e64 v4, v9, v4, s0
	ds_load_u8 v10, v10
	v_cmp_gt_u32_e64 s1, s9, v5
	v_cmp_le_u32_e64 s3, s11, v4
	s_wait_dscnt 0x0
	v_dual_cndmask_b32 v11, v10, v8, s0 :: v_dual_cndmask_b32 v10, v7, v10, s0
	v_cndmask_b32_e64 v7, v8, v7, s0
	s_delay_alu instid0(VALU_DEP_2) | instskip(NEXT) | instid1(VALU_DEP_3)
	v_and_b32_e32 v12, s16, v11
	v_and_b32_e32 v13, s16, v10
	s_delay_alu instid0(VALU_DEP_2) | instskip(NEXT) | instid1(VALU_DEP_2)
	v_bfe_i32 v12, v12, 0, 8
	v_bfe_i32 v13, v13, 0, 8
	s_delay_alu instid0(VALU_DEP_1) | instskip(SKIP_1) | instid1(SALU_CYCLE_1)
	v_cmp_le_i16_e64 s2, v12, v13
	s_and_b32 s1, s1, s2
	s_or_b32 s1, s3, s1
	s_delay_alu instid0(SALU_CYCLE_1) | instskip(SKIP_1) | instid1(VALU_DEP_2)
	v_cndmask_b32_e64 v9, v4, v5, s1
	v_cndmask_b32_e64 v12, s11, v3, s1
	v_dual_cndmask_b32 v8, v11, v10, s1 :: v_dual_add_nc_u32 v9, 1, v9
	s_delay_alu instid0(VALU_DEP_1)
	v_add_min_u32_e64 v12, v12, -1, v9
	v_cndmask_b32_e64 v4, v9, v4, s1
	ds_load_u8 v12, v12
	v_cmp_le_u32_e64 s4, s11, v4
	s_wait_dscnt 0x0
	v_dual_cndmask_b32 v13, v12, v11, s1 :: v_dual_cndmask_b32 v12, v10, v12, s1
	s_delay_alu instid0(VALU_DEP_1) | instskip(NEXT) | instid1(VALU_DEP_2)
	v_dual_cndmask_b32 v5, v5, v9, s1 :: v_dual_bitop2_b32 v15, s16, v12 bitop3:0x40
	v_and_b32_e32 v14, s16, v13
	s_delay_alu instid0(VALU_DEP_2) | instskip(NEXT) | instid1(VALU_DEP_3)
	v_cmp_gt_u32_e64 s2, s9, v5
	v_bfe_i32 v15, v15, 0, 8
	s_delay_alu instid0(VALU_DEP_3) | instskip(NEXT) | instid1(VALU_DEP_1)
	v_bfe_i32 v14, v14, 0, 8
	v_cmp_le_i16_e64 s3, v14, v15
	s_and_b32 s2, s2, s3
	s_delay_alu instid0(SALU_CYCLE_1) | instskip(NEXT) | instid1(SALU_CYCLE_1)
	s_or_b32 s2, s4, s2
	v_cndmask_b32_e64 v9, v4, v5, s2
	s_delay_alu instid0(VALU_DEP_1) | instskip(NEXT) | instid1(VALU_DEP_1)
	v_dual_cndmask_b32 v14, s11, v3, s2 :: v_dual_add_nc_u32 v9, 1, v9
	v_add_min_u32_e64 v14, v14, -1, v9
	v_cndmask_b32_e64 v4, v9, v4, s2
	ds_load_u8 v14, v14
	v_cmp_le_u32_e64 s5, s11, v4
	s_wait_dscnt 0x0
	v_dual_cndmask_b32 v15, v14, v13, s2 :: v_dual_cndmask_b32 v14, v12, v14, s2
	s_delay_alu instid0(VALU_DEP_1) | instskip(NEXT) | instid1(VALU_DEP_2)
	v_and_b32_e32 v17, s16, v14
	v_dual_cndmask_b32 v5, v5, v9, s2 :: v_dual_bitop2_b32 v16, s16, v15 bitop3:0x40
	s_delay_alu instid0(VALU_DEP_2) | instskip(NEXT) | instid1(VALU_DEP_2)
	v_bfe_i32 v17, v17, 0, 8
	v_bfe_i32 v16, v16, 0, 8
	s_delay_alu instid0(VALU_DEP_3) | instskip(NEXT) | instid1(VALU_DEP_2)
	v_cmp_gt_u32_e64 s3, s9, v5
	v_cmp_le_i16_e64 s4, v16, v17
	s_and_b32 s3, s3, s4
	s_delay_alu instid0(SALU_CYCLE_1) | instskip(NEXT) | instid1(SALU_CYCLE_1)
	s_or_b32 s3, s5, s3
	v_cndmask_b32_e64 v9, v4, v5, s3
	s_delay_alu instid0(VALU_DEP_1) | instskip(NEXT) | instid1(VALU_DEP_1)
	v_dual_cndmask_b32 v16, s11, v3, s3 :: v_dual_add_nc_u32 v9, 1, v9
	v_add_min_u32_e64 v16, v16, -1, v9
	ds_load_u8 v16, v16
	s_wait_dscnt 0x0
	v_dual_cndmask_b32 v17, v16, v15, s3 :: v_dual_cndmask_b32 v16, v14, v16, s3
	v_cndmask_b32_e64 v5, v5, v9, s3
	s_delay_alu instid0(VALU_DEP_2) | instskip(NEXT) | instid1(VALU_DEP_3)
	v_and_b32_e32 v18, s16, v17
	v_and_b32_e32 v19, s16, v16
	v_cndmask_b32_e64 v4, v9, v4, s3
	s_delay_alu instid0(VALU_DEP_4) | instskip(NEXT) | instid1(VALU_DEP_4)
	v_cmp_gt_u32_e64 s4, s9, v5
	v_bfe_i32 v18, v18, 0, 8
	s_delay_alu instid0(VALU_DEP_4) | instskip(NEXT) | instid1(VALU_DEP_4)
	v_bfe_i32 v19, v19, 0, 8
	v_cmp_le_u32_e64 s6, s11, v4
	s_delay_alu instid0(VALU_DEP_2) | instskip(SKIP_1) | instid1(SALU_CYCLE_1)
	v_cmp_le_i16_e64 s5, v18, v19
	s_and_b32 s4, s4, s5
	s_or_b32 s4, s6, s4
	s_delay_alu instid0(SALU_CYCLE_1) | instskip(NEXT) | instid1(VALU_DEP_1)
	v_cndmask_b32_e64 v9, v4, v5, s4
	v_dual_cndmask_b32 v18, s11, v3, s4 :: v_dual_add_nc_u32 v9, 1, v9
	s_delay_alu instid0(VALU_DEP_1)
	v_add_min_u32_e64 v18, v18, -1, v9
	v_cndmask_b32_e64 v5, v5, v9, s4
	ds_load_u8 v18, v18
	v_cmp_gt_u32_e64 s5, s9, v5
	s_wait_dscnt 0x0
	v_dual_cndmask_b32 v19, v18, v17, s4 :: v_dual_cndmask_b32 v18, v16, v18, s4
	s_delay_alu instid0(VALU_DEP_1) | instskip(NEXT) | instid1(VALU_DEP_2)
	v_dual_cndmask_b32 v4, v9, v4, s4 :: v_dual_bitop2_b32 v20, s16, v19 bitop3:0x40
	v_and_b32_e32 v21, s16, v18
	s_delay_alu instid0(VALU_DEP_2) | instskip(NEXT) | instid1(VALU_DEP_3)
	v_cmp_le_u32_e64 s7, s11, v4
	v_bfe_i32 v20, v20, 0, 8
	s_delay_alu instid0(VALU_DEP_3) | instskip(NEXT) | instid1(VALU_DEP_1)
	v_bfe_i32 v21, v21, 0, 8
	v_cmp_le_i16_e64 s6, v20, v21
	s_and_b32 s5, s5, s6
	s_delay_alu instid0(SALU_CYCLE_1) | instskip(NEXT) | instid1(SALU_CYCLE_1)
	s_or_b32 s5, s7, s5
	v_cndmask_b32_e64 v9, v4, v5, s5
	v_cndmask_b32_e64 v3, s11, v3, s5
	s_delay_alu instid0(VALU_DEP_2) | instskip(SKIP_1) | instid1(VALU_DEP_2)
	v_dual_cndmask_b32 v10, v19, v18, s5 :: v_dual_add_nc_u32 v9, 1, v9
	v_cndmask_b32_e32 v2, v2, v1, vcc_lo
	v_add_min_u32_e64 v3, v3, -1, v9
	v_cndmask_b32_e64 v1, v5, v9, s5
	v_cndmask_b32_e64 v9, v9, v4, s5
	;; [unrolled: 1-line block ×3, first 2 shown]
	ds_load_u8 v3, v3
	v_cmp_gt_u32_e32 vcc_lo, s9, v1
	v_cmp_le_u32_e64 s1, s11, v9
	s_wait_dscnt 0x0
	v_dual_cndmask_b32 v9, v17, v16, s4 :: v_dual_cndmask_b32 v20, v3, v19, s5
	s_delay_alu instid0(VALU_DEP_1) | instskip(NEXT) | instid1(VALU_DEP_1)
	v_dual_cndmask_b32 v21, v18, v3, s5 :: v_dual_bitop2_b32 v3, s16, v20 bitop3:0x40
	v_and_b32_e32 v22, s16, v21
	s_delay_alu instid0(VALU_DEP_2) | instskip(NEXT) | instid1(VALU_DEP_2)
	v_bfe_i32 v3, v3, 0, 8
	v_bfe_i32 v5, v22, 0, 8
	s_delay_alu instid0(VALU_DEP_1) | instskip(SKIP_2) | instid1(SALU_CYCLE_1)
	v_cmp_le_i16_e64 s0, v3, v5
	v_cndmask_b32_e64 v3, v15, v14, s3
	s_and_b32 s0, vcc_lo, s0
	s_or_b32 vcc_lo, s1, s0
	v_cndmask_b32_e32 v11, v20, v21, vcc_lo
.LBB313_29:
	s_or_b32 exec_lo, exec_lo, s15
	v_dual_lshrrev_b32 v5, 2, v0 :: v_dual_mov_b32 v1, 0
	v_perm_b32 v3, v3, v9, 0xc0c0004
	s_delay_alu instid0(VALU_DEP_3) | instskip(SKIP_1) | instid1(VALU_DEP_4)
	v_perm_b32 v9, v10, v11, 0xc0c0004
	v_perm_b32 v2, v2, v7, 0xc0c0004
	v_and_b32_e32 v5, 28, v5
	v_perm_b32 v4, v8, v4, 0xc0c0004
	s_mov_b32 s11, 0
	v_lshl_or_b32 v3, v9, 16, v3
	s_wait_kmcnt 0x0
	s_add_nc_u64 s[0:1], s[12:13], s[10:11]
	v_lshl_or_b32 v2, v4, 16, v2
	v_dual_add_nc_u32 v4, 4, v0 :: v_dual_add_nc_u32 v5, v5, v6
	v_add_nc_u32_e32 v6, 12, v0
	s_barrier_signal -1
	s_barrier_wait -1
	s_barrier_signal -1
	s_barrier_wait -1
	ds_store_2addr_b32 v5, v2, v3 offset1:1
	v_add_nc_u64_e32 v[2:3], s[0:1], v[0:1]
	v_dual_add_nc_u32 v5, 8, v0 :: v_dual_add_nc_u32 v7, 16, v0
	v_dual_add_nc_u32 v8, 20, v0 :: v_dual_add_nc_u32 v9, 24, v0
	v_add_nc_u32_e32 v10, 28, v0
	s_and_b32 vcc_lo, exec_lo, s14
	s_wait_dscnt 0x0
	s_cbranch_vccz .LBB313_31
; %bb.30:
	s_barrier_signal -1
	s_barrier_wait -1
	ds_load_u8 v11, v0
	ds_load_u8 v12, v4 offset:128
	ds_load_u8 v13, v5 offset:256
	;; [unrolled: 1-line block ×7, first 2 shown]
	s_mov_b32 s11, -1
	s_wait_dscnt 0x7
	global_store_b8 v[2:3], v11, off
	s_wait_dscnt 0x6
	global_store_b8 v[2:3], v12, off offset:128
	s_wait_dscnt 0x5
	global_store_b8 v[2:3], v13, off offset:256
	;; [unrolled: 2-line block ×6, first 2 shown]
	s_cbranch_execz .LBB313_32
	s_branch .LBB313_47
.LBB313_31:
                                        ; implicit-def: $vgpr1
.LBB313_32:
	s_barrier_signal -1
	s_barrier_wait -1
	s_wait_storecnt_dscnt 0x0
	s_wait_xcnt 0x4
	ds_load_u8 v13, v4 offset:128
	ds_load_u8 v12, v5 offset:256
	;; [unrolled: 1-line block ×7, first 2 shown]
	v_or_b32_e32 v7, 0x80, v0
	s_sub_co_i32 s0, s8, s10
	s_mov_b32 s1, exec_lo
	s_wait_xcnt 0x0
	v_cmpx_gt_u32_e64 s0, v0
	s_cbranch_execz .LBB313_34
; %bb.33:
	ds_load_u8 v8, v0
	s_wait_dscnt 0x0
	global_store_b8 v[2:3], v8, off
.LBB313_34:
	s_wait_xcnt 0x0
	s_or_b32 exec_lo, exec_lo, s1
	v_or_b32_e32 v8, 0x100, v0
	s_mov_b32 s1, exec_lo
	v_cmpx_gt_u32_e64 s0, v7
	s_cbranch_execz .LBB313_36
; %bb.35:
	s_wait_dscnt 0x6
	global_store_b8 v[2:3], v13, off offset:128
.LBB313_36:
	s_wait_xcnt 0x0
	s_or_b32 exec_lo, exec_lo, s1
	v_or_b32_e32 v7, 0x180, v0
	s_mov_b32 s1, exec_lo
	v_cmpx_gt_u32_e64 s0, v8
	s_cbranch_execz .LBB313_38
; %bb.37:
	s_wait_dscnt 0x5
	global_store_b8 v[2:3], v12, off offset:256
.LBB313_38:
	s_wait_xcnt 0x0
	s_or_b32 exec_lo, exec_lo, s1
	v_or_b32_e32 v8, 0x200, v0
	s_mov_b32 s1, exec_lo
	v_cmpx_gt_u32_e64 s0, v7
	s_cbranch_execz .LBB313_40
; %bb.39:
	s_wait_dscnt 0x4
	global_store_b8 v[2:3], v11, off offset:384
.LBB313_40:
	s_wait_xcnt 0x0
	s_or_b32 exec_lo, exec_lo, s1
	v_or_b32_e32 v7, 0x280, v0
	s_mov_b32 s1, exec_lo
	v_cmpx_gt_u32_e64 s0, v8
	s_cbranch_execz .LBB313_42
; %bb.41:
	s_wait_dscnt 0x3
	global_store_b8 v[2:3], v6, off offset:512
.LBB313_42:
	s_wait_xcnt 0x0
	s_or_b32 exec_lo, exec_lo, s1
	s_wait_dscnt 0x3
	v_or_b32_e32 v6, 0x300, v0
	s_mov_b32 s1, exec_lo
	v_cmpx_gt_u32_e64 s0, v7
	s_cbranch_execz .LBB313_44
; %bb.43:
	s_wait_dscnt 0x2
	global_store_b8 v[2:3], v5, off offset:640
.LBB313_44:
	s_wait_xcnt 0x0
	s_or_b32 exec_lo, exec_lo, s1
	v_or_b32_e32 v0, 0x380, v0
	s_mov_b32 s1, exec_lo
	v_cmpx_gt_u32_e64 s0, v6
	s_cbranch_execz .LBB313_46
; %bb.45:
	s_wait_dscnt 0x1
	global_store_b8 v[2:3], v4, off offset:768
.LBB313_46:
	s_wait_xcnt 0x0
	s_or_b32 exec_lo, exec_lo, s1
	v_cmp_gt_u32_e64 s11, s0, v0
.LBB313_47:
	s_wait_xcnt 0x0
	s_delay_alu instid0(VALU_DEP_1)
	s_and_saveexec_b32 s0, s11
	s_cbranch_execz .LBB313_49
; %bb.48:
	s_wait_dscnt 0x0
	global_store_b8 v[2:3], v1, off offset:896
.LBB313_49:
	s_endpgm
.LBB313_50:
	v_sub_co_u32 v10, vcc_lo, v0, s9
	v_mov_b32_e32 v1, 0
	s_mov_b32 s3, 0
	s_delay_alu instid0(VALU_DEP_1) | instskip(SKIP_1) | instid1(VALU_DEP_1)
	v_add_nc_u64_e32 v[2:3], s[6:7], v[0:1]
	v_mov_b32_e32 v11, v1
	v_add_nc_u64_e32 v[10:11], s[12:13], v[10:11]
	s_delay_alu instid0(VALU_DEP_1)
	v_dual_cndmask_b32 v3, v11, v3 :: v_dual_cndmask_b32 v2, v10, v2
	global_load_u8 v1, v[2:3], off
	s_wait_xcnt 0x0
	v_mov_b32_e32 v3, s3
	s_wait_loadcnt 0x0
	v_and_b32_e32 v2, 0xffff, v1
	s_or_b32 exec_lo, exec_lo, s2
	s_delay_alu instid0(SALU_CYCLE_1)
	s_mov_b32 s2, exec_lo
	v_cmpx_gt_u32_e64 s11, v6
	s_cbranch_execz .LBB313_6
.LBB313_51:
	v_mov_b32_e32 v7, 0
	s_delay_alu instid0(VALU_DEP_1) | instskip(SKIP_1) | instid1(VALU_DEP_1)
	v_add_nc_u64_e32 v[10:11], s[6:7], v[6:7]
	v_sub_co_u32 v6, vcc_lo, v6, s9
	v_add_nc_u64_e32 v[6:7], s[12:13], v[6:7]
	s_delay_alu instid0(VALU_DEP_1) | instskip(SKIP_4) | instid1(SALU_CYCLE_1)
	v_dual_cndmask_b32 v7, v7, v11 :: v_dual_cndmask_b32 v6, v6, v10
	global_load_u8 v1, v[6:7], off
	s_wait_loadcnt 0x0
	v_perm_b32 v2, v2, v1, 0x7060004
	s_or_b32 exec_lo, exec_lo, s2
	s_mov_b32 s2, exec_lo
	v_cmpx_gt_u32_e64 s11, v4
	s_cbranch_execnz .LBB313_7
	s_branch .LBB313_8
	.section	.rodata,"a",@progbits
	.p2align	6, 0x0
	.amdhsa_kernel _ZN7rocprim17ROCPRIM_400000_NS6detail17trampoline_kernelINS0_14default_configENS1_38merge_sort_block_merge_config_selectorIaNS0_10empty_typeEEEZZNS1_27merge_sort_block_merge_implIS3_PaPS5_jNS1_19radix_merge_compareILb1ELb1EaNS0_19identity_decomposerEEEEE10hipError_tT0_T1_T2_jT3_P12ihipStream_tbPNSt15iterator_traitsISE_E10value_typeEPNSK_ISF_E10value_typeEPSG_NS1_7vsmem_tEENKUlT_SE_SF_SG_E_clIS8_S8_S9_S9_EESD_ST_SE_SF_SG_EUlST_E0_NS1_11comp_targetILNS1_3genE0ELNS1_11target_archE4294967295ELNS1_3gpuE0ELNS1_3repE0EEENS1_38merge_mergepath_config_static_selectorELNS0_4arch9wavefront6targetE0EEEvSF_
		.amdhsa_group_segment_fixed_size 1056
		.amdhsa_private_segment_fixed_size 0
		.amdhsa_kernarg_size 320
		.amdhsa_user_sgpr_count 2
		.amdhsa_user_sgpr_dispatch_ptr 0
		.amdhsa_user_sgpr_queue_ptr 0
		.amdhsa_user_sgpr_kernarg_segment_ptr 1
		.amdhsa_user_sgpr_dispatch_id 0
		.amdhsa_user_sgpr_kernarg_preload_length 0
		.amdhsa_user_sgpr_kernarg_preload_offset 0
		.amdhsa_user_sgpr_private_segment_size 0
		.amdhsa_wavefront_size32 1
		.amdhsa_uses_dynamic_stack 0
		.amdhsa_enable_private_segment 0
		.amdhsa_system_sgpr_workgroup_id_x 1
		.amdhsa_system_sgpr_workgroup_id_y 1
		.amdhsa_system_sgpr_workgroup_id_z 1
		.amdhsa_system_sgpr_workgroup_info 0
		.amdhsa_system_vgpr_workitem_id 0
		.amdhsa_next_free_vgpr 34
		.amdhsa_next_free_sgpr 22
		.amdhsa_named_barrier_count 0
		.amdhsa_reserve_vcc 1
		.amdhsa_float_round_mode_32 0
		.amdhsa_float_round_mode_16_64 0
		.amdhsa_float_denorm_mode_32 3
		.amdhsa_float_denorm_mode_16_64 3
		.amdhsa_fp16_overflow 0
		.amdhsa_memory_ordered 1
		.amdhsa_forward_progress 1
		.amdhsa_inst_pref_size 33
		.amdhsa_round_robin_scheduling 0
		.amdhsa_exception_fp_ieee_invalid_op 0
		.amdhsa_exception_fp_denorm_src 0
		.amdhsa_exception_fp_ieee_div_zero 0
		.amdhsa_exception_fp_ieee_overflow 0
		.amdhsa_exception_fp_ieee_underflow 0
		.amdhsa_exception_fp_ieee_inexact 0
		.amdhsa_exception_int_div_zero 0
	.end_amdhsa_kernel
	.section	.text._ZN7rocprim17ROCPRIM_400000_NS6detail17trampoline_kernelINS0_14default_configENS1_38merge_sort_block_merge_config_selectorIaNS0_10empty_typeEEEZZNS1_27merge_sort_block_merge_implIS3_PaPS5_jNS1_19radix_merge_compareILb1ELb1EaNS0_19identity_decomposerEEEEE10hipError_tT0_T1_T2_jT3_P12ihipStream_tbPNSt15iterator_traitsISE_E10value_typeEPNSK_ISF_E10value_typeEPSG_NS1_7vsmem_tEENKUlT_SE_SF_SG_E_clIS8_S8_S9_S9_EESD_ST_SE_SF_SG_EUlST_E0_NS1_11comp_targetILNS1_3genE0ELNS1_11target_archE4294967295ELNS1_3gpuE0ELNS1_3repE0EEENS1_38merge_mergepath_config_static_selectorELNS0_4arch9wavefront6targetE0EEEvSF_,"axG",@progbits,_ZN7rocprim17ROCPRIM_400000_NS6detail17trampoline_kernelINS0_14default_configENS1_38merge_sort_block_merge_config_selectorIaNS0_10empty_typeEEEZZNS1_27merge_sort_block_merge_implIS3_PaPS5_jNS1_19radix_merge_compareILb1ELb1EaNS0_19identity_decomposerEEEEE10hipError_tT0_T1_T2_jT3_P12ihipStream_tbPNSt15iterator_traitsISE_E10value_typeEPNSK_ISF_E10value_typeEPSG_NS1_7vsmem_tEENKUlT_SE_SF_SG_E_clIS8_S8_S9_S9_EESD_ST_SE_SF_SG_EUlST_E0_NS1_11comp_targetILNS1_3genE0ELNS1_11target_archE4294967295ELNS1_3gpuE0ELNS1_3repE0EEENS1_38merge_mergepath_config_static_selectorELNS0_4arch9wavefront6targetE0EEEvSF_,comdat
.Lfunc_end313:
	.size	_ZN7rocprim17ROCPRIM_400000_NS6detail17trampoline_kernelINS0_14default_configENS1_38merge_sort_block_merge_config_selectorIaNS0_10empty_typeEEEZZNS1_27merge_sort_block_merge_implIS3_PaPS5_jNS1_19radix_merge_compareILb1ELb1EaNS0_19identity_decomposerEEEEE10hipError_tT0_T1_T2_jT3_P12ihipStream_tbPNSt15iterator_traitsISE_E10value_typeEPNSK_ISF_E10value_typeEPSG_NS1_7vsmem_tEENKUlT_SE_SF_SG_E_clIS8_S8_S9_S9_EESD_ST_SE_SF_SG_EUlST_E0_NS1_11comp_targetILNS1_3genE0ELNS1_11target_archE4294967295ELNS1_3gpuE0ELNS1_3repE0EEENS1_38merge_mergepath_config_static_selectorELNS0_4arch9wavefront6targetE0EEEvSF_, .Lfunc_end313-_ZN7rocprim17ROCPRIM_400000_NS6detail17trampoline_kernelINS0_14default_configENS1_38merge_sort_block_merge_config_selectorIaNS0_10empty_typeEEEZZNS1_27merge_sort_block_merge_implIS3_PaPS5_jNS1_19radix_merge_compareILb1ELb1EaNS0_19identity_decomposerEEEEE10hipError_tT0_T1_T2_jT3_P12ihipStream_tbPNSt15iterator_traitsISE_E10value_typeEPNSK_ISF_E10value_typeEPSG_NS1_7vsmem_tEENKUlT_SE_SF_SG_E_clIS8_S8_S9_S9_EESD_ST_SE_SF_SG_EUlST_E0_NS1_11comp_targetILNS1_3genE0ELNS1_11target_archE4294967295ELNS1_3gpuE0ELNS1_3repE0EEENS1_38merge_mergepath_config_static_selectorELNS0_4arch9wavefront6targetE0EEEvSF_
                                        ; -- End function
	.set _ZN7rocprim17ROCPRIM_400000_NS6detail17trampoline_kernelINS0_14default_configENS1_38merge_sort_block_merge_config_selectorIaNS0_10empty_typeEEEZZNS1_27merge_sort_block_merge_implIS3_PaPS5_jNS1_19radix_merge_compareILb1ELb1EaNS0_19identity_decomposerEEEEE10hipError_tT0_T1_T2_jT3_P12ihipStream_tbPNSt15iterator_traitsISE_E10value_typeEPNSK_ISF_E10value_typeEPSG_NS1_7vsmem_tEENKUlT_SE_SF_SG_E_clIS8_S8_S9_S9_EESD_ST_SE_SF_SG_EUlST_E0_NS1_11comp_targetILNS1_3genE0ELNS1_11target_archE4294967295ELNS1_3gpuE0ELNS1_3repE0EEENS1_38merge_mergepath_config_static_selectorELNS0_4arch9wavefront6targetE0EEEvSF_.num_vgpr, 34
	.set _ZN7rocprim17ROCPRIM_400000_NS6detail17trampoline_kernelINS0_14default_configENS1_38merge_sort_block_merge_config_selectorIaNS0_10empty_typeEEEZZNS1_27merge_sort_block_merge_implIS3_PaPS5_jNS1_19radix_merge_compareILb1ELb1EaNS0_19identity_decomposerEEEEE10hipError_tT0_T1_T2_jT3_P12ihipStream_tbPNSt15iterator_traitsISE_E10value_typeEPNSK_ISF_E10value_typeEPSG_NS1_7vsmem_tEENKUlT_SE_SF_SG_E_clIS8_S8_S9_S9_EESD_ST_SE_SF_SG_EUlST_E0_NS1_11comp_targetILNS1_3genE0ELNS1_11target_archE4294967295ELNS1_3gpuE0ELNS1_3repE0EEENS1_38merge_mergepath_config_static_selectorELNS0_4arch9wavefront6targetE0EEEvSF_.num_agpr, 0
	.set _ZN7rocprim17ROCPRIM_400000_NS6detail17trampoline_kernelINS0_14default_configENS1_38merge_sort_block_merge_config_selectorIaNS0_10empty_typeEEEZZNS1_27merge_sort_block_merge_implIS3_PaPS5_jNS1_19radix_merge_compareILb1ELb1EaNS0_19identity_decomposerEEEEE10hipError_tT0_T1_T2_jT3_P12ihipStream_tbPNSt15iterator_traitsISE_E10value_typeEPNSK_ISF_E10value_typeEPSG_NS1_7vsmem_tEENKUlT_SE_SF_SG_E_clIS8_S8_S9_S9_EESD_ST_SE_SF_SG_EUlST_E0_NS1_11comp_targetILNS1_3genE0ELNS1_11target_archE4294967295ELNS1_3gpuE0ELNS1_3repE0EEENS1_38merge_mergepath_config_static_selectorELNS0_4arch9wavefront6targetE0EEEvSF_.numbered_sgpr, 22
	.set _ZN7rocprim17ROCPRIM_400000_NS6detail17trampoline_kernelINS0_14default_configENS1_38merge_sort_block_merge_config_selectorIaNS0_10empty_typeEEEZZNS1_27merge_sort_block_merge_implIS3_PaPS5_jNS1_19radix_merge_compareILb1ELb1EaNS0_19identity_decomposerEEEEE10hipError_tT0_T1_T2_jT3_P12ihipStream_tbPNSt15iterator_traitsISE_E10value_typeEPNSK_ISF_E10value_typeEPSG_NS1_7vsmem_tEENKUlT_SE_SF_SG_E_clIS8_S8_S9_S9_EESD_ST_SE_SF_SG_EUlST_E0_NS1_11comp_targetILNS1_3genE0ELNS1_11target_archE4294967295ELNS1_3gpuE0ELNS1_3repE0EEENS1_38merge_mergepath_config_static_selectorELNS0_4arch9wavefront6targetE0EEEvSF_.num_named_barrier, 0
	.set _ZN7rocprim17ROCPRIM_400000_NS6detail17trampoline_kernelINS0_14default_configENS1_38merge_sort_block_merge_config_selectorIaNS0_10empty_typeEEEZZNS1_27merge_sort_block_merge_implIS3_PaPS5_jNS1_19radix_merge_compareILb1ELb1EaNS0_19identity_decomposerEEEEE10hipError_tT0_T1_T2_jT3_P12ihipStream_tbPNSt15iterator_traitsISE_E10value_typeEPNSK_ISF_E10value_typeEPSG_NS1_7vsmem_tEENKUlT_SE_SF_SG_E_clIS8_S8_S9_S9_EESD_ST_SE_SF_SG_EUlST_E0_NS1_11comp_targetILNS1_3genE0ELNS1_11target_archE4294967295ELNS1_3gpuE0ELNS1_3repE0EEENS1_38merge_mergepath_config_static_selectorELNS0_4arch9wavefront6targetE0EEEvSF_.private_seg_size, 0
	.set _ZN7rocprim17ROCPRIM_400000_NS6detail17trampoline_kernelINS0_14default_configENS1_38merge_sort_block_merge_config_selectorIaNS0_10empty_typeEEEZZNS1_27merge_sort_block_merge_implIS3_PaPS5_jNS1_19radix_merge_compareILb1ELb1EaNS0_19identity_decomposerEEEEE10hipError_tT0_T1_T2_jT3_P12ihipStream_tbPNSt15iterator_traitsISE_E10value_typeEPNSK_ISF_E10value_typeEPSG_NS1_7vsmem_tEENKUlT_SE_SF_SG_E_clIS8_S8_S9_S9_EESD_ST_SE_SF_SG_EUlST_E0_NS1_11comp_targetILNS1_3genE0ELNS1_11target_archE4294967295ELNS1_3gpuE0ELNS1_3repE0EEENS1_38merge_mergepath_config_static_selectorELNS0_4arch9wavefront6targetE0EEEvSF_.uses_vcc, 1
	.set _ZN7rocprim17ROCPRIM_400000_NS6detail17trampoline_kernelINS0_14default_configENS1_38merge_sort_block_merge_config_selectorIaNS0_10empty_typeEEEZZNS1_27merge_sort_block_merge_implIS3_PaPS5_jNS1_19radix_merge_compareILb1ELb1EaNS0_19identity_decomposerEEEEE10hipError_tT0_T1_T2_jT3_P12ihipStream_tbPNSt15iterator_traitsISE_E10value_typeEPNSK_ISF_E10value_typeEPSG_NS1_7vsmem_tEENKUlT_SE_SF_SG_E_clIS8_S8_S9_S9_EESD_ST_SE_SF_SG_EUlST_E0_NS1_11comp_targetILNS1_3genE0ELNS1_11target_archE4294967295ELNS1_3gpuE0ELNS1_3repE0EEENS1_38merge_mergepath_config_static_selectorELNS0_4arch9wavefront6targetE0EEEvSF_.uses_flat_scratch, 0
	.set _ZN7rocprim17ROCPRIM_400000_NS6detail17trampoline_kernelINS0_14default_configENS1_38merge_sort_block_merge_config_selectorIaNS0_10empty_typeEEEZZNS1_27merge_sort_block_merge_implIS3_PaPS5_jNS1_19radix_merge_compareILb1ELb1EaNS0_19identity_decomposerEEEEE10hipError_tT0_T1_T2_jT3_P12ihipStream_tbPNSt15iterator_traitsISE_E10value_typeEPNSK_ISF_E10value_typeEPSG_NS1_7vsmem_tEENKUlT_SE_SF_SG_E_clIS8_S8_S9_S9_EESD_ST_SE_SF_SG_EUlST_E0_NS1_11comp_targetILNS1_3genE0ELNS1_11target_archE4294967295ELNS1_3gpuE0ELNS1_3repE0EEENS1_38merge_mergepath_config_static_selectorELNS0_4arch9wavefront6targetE0EEEvSF_.has_dyn_sized_stack, 0
	.set _ZN7rocprim17ROCPRIM_400000_NS6detail17trampoline_kernelINS0_14default_configENS1_38merge_sort_block_merge_config_selectorIaNS0_10empty_typeEEEZZNS1_27merge_sort_block_merge_implIS3_PaPS5_jNS1_19radix_merge_compareILb1ELb1EaNS0_19identity_decomposerEEEEE10hipError_tT0_T1_T2_jT3_P12ihipStream_tbPNSt15iterator_traitsISE_E10value_typeEPNSK_ISF_E10value_typeEPSG_NS1_7vsmem_tEENKUlT_SE_SF_SG_E_clIS8_S8_S9_S9_EESD_ST_SE_SF_SG_EUlST_E0_NS1_11comp_targetILNS1_3genE0ELNS1_11target_archE4294967295ELNS1_3gpuE0ELNS1_3repE0EEENS1_38merge_mergepath_config_static_selectorELNS0_4arch9wavefront6targetE0EEEvSF_.has_recursion, 0
	.set _ZN7rocprim17ROCPRIM_400000_NS6detail17trampoline_kernelINS0_14default_configENS1_38merge_sort_block_merge_config_selectorIaNS0_10empty_typeEEEZZNS1_27merge_sort_block_merge_implIS3_PaPS5_jNS1_19radix_merge_compareILb1ELb1EaNS0_19identity_decomposerEEEEE10hipError_tT0_T1_T2_jT3_P12ihipStream_tbPNSt15iterator_traitsISE_E10value_typeEPNSK_ISF_E10value_typeEPSG_NS1_7vsmem_tEENKUlT_SE_SF_SG_E_clIS8_S8_S9_S9_EESD_ST_SE_SF_SG_EUlST_E0_NS1_11comp_targetILNS1_3genE0ELNS1_11target_archE4294967295ELNS1_3gpuE0ELNS1_3repE0EEENS1_38merge_mergepath_config_static_selectorELNS0_4arch9wavefront6targetE0EEEvSF_.has_indirect_call, 0
	.section	.AMDGPU.csdata,"",@progbits
; Kernel info:
; codeLenInByte = 4192
; TotalNumSgprs: 24
; NumVgprs: 34
; ScratchSize: 0
; MemoryBound: 0
; FloatMode: 240
; IeeeMode: 1
; LDSByteSize: 1056 bytes/workgroup (compile time only)
; SGPRBlocks: 0
; VGPRBlocks: 2
; NumSGPRsForWavesPerEU: 24
; NumVGPRsForWavesPerEU: 34
; NamedBarCnt: 0
; Occupancy: 16
; WaveLimiterHint : 1
; COMPUTE_PGM_RSRC2:SCRATCH_EN: 0
; COMPUTE_PGM_RSRC2:USER_SGPR: 2
; COMPUTE_PGM_RSRC2:TRAP_HANDLER: 0
; COMPUTE_PGM_RSRC2:TGID_X_EN: 1
; COMPUTE_PGM_RSRC2:TGID_Y_EN: 1
; COMPUTE_PGM_RSRC2:TGID_Z_EN: 1
; COMPUTE_PGM_RSRC2:TIDIG_COMP_CNT: 0
	.section	.text._ZN7rocprim17ROCPRIM_400000_NS6detail17trampoline_kernelINS0_14default_configENS1_38merge_sort_block_merge_config_selectorIaNS0_10empty_typeEEEZZNS1_27merge_sort_block_merge_implIS3_PaPS5_jNS1_19radix_merge_compareILb1ELb1EaNS0_19identity_decomposerEEEEE10hipError_tT0_T1_T2_jT3_P12ihipStream_tbPNSt15iterator_traitsISE_E10value_typeEPNSK_ISF_E10value_typeEPSG_NS1_7vsmem_tEENKUlT_SE_SF_SG_E_clIS8_S8_S9_S9_EESD_ST_SE_SF_SG_EUlST_E0_NS1_11comp_targetILNS1_3genE10ELNS1_11target_archE1201ELNS1_3gpuE5ELNS1_3repE0EEENS1_38merge_mergepath_config_static_selectorELNS0_4arch9wavefront6targetE0EEEvSF_,"axG",@progbits,_ZN7rocprim17ROCPRIM_400000_NS6detail17trampoline_kernelINS0_14default_configENS1_38merge_sort_block_merge_config_selectorIaNS0_10empty_typeEEEZZNS1_27merge_sort_block_merge_implIS3_PaPS5_jNS1_19radix_merge_compareILb1ELb1EaNS0_19identity_decomposerEEEEE10hipError_tT0_T1_T2_jT3_P12ihipStream_tbPNSt15iterator_traitsISE_E10value_typeEPNSK_ISF_E10value_typeEPSG_NS1_7vsmem_tEENKUlT_SE_SF_SG_E_clIS8_S8_S9_S9_EESD_ST_SE_SF_SG_EUlST_E0_NS1_11comp_targetILNS1_3genE10ELNS1_11target_archE1201ELNS1_3gpuE5ELNS1_3repE0EEENS1_38merge_mergepath_config_static_selectorELNS0_4arch9wavefront6targetE0EEEvSF_,comdat
	.protected	_ZN7rocprim17ROCPRIM_400000_NS6detail17trampoline_kernelINS0_14default_configENS1_38merge_sort_block_merge_config_selectorIaNS0_10empty_typeEEEZZNS1_27merge_sort_block_merge_implIS3_PaPS5_jNS1_19radix_merge_compareILb1ELb1EaNS0_19identity_decomposerEEEEE10hipError_tT0_T1_T2_jT3_P12ihipStream_tbPNSt15iterator_traitsISE_E10value_typeEPNSK_ISF_E10value_typeEPSG_NS1_7vsmem_tEENKUlT_SE_SF_SG_E_clIS8_S8_S9_S9_EESD_ST_SE_SF_SG_EUlST_E0_NS1_11comp_targetILNS1_3genE10ELNS1_11target_archE1201ELNS1_3gpuE5ELNS1_3repE0EEENS1_38merge_mergepath_config_static_selectorELNS0_4arch9wavefront6targetE0EEEvSF_ ; -- Begin function _ZN7rocprim17ROCPRIM_400000_NS6detail17trampoline_kernelINS0_14default_configENS1_38merge_sort_block_merge_config_selectorIaNS0_10empty_typeEEEZZNS1_27merge_sort_block_merge_implIS3_PaPS5_jNS1_19radix_merge_compareILb1ELb1EaNS0_19identity_decomposerEEEEE10hipError_tT0_T1_T2_jT3_P12ihipStream_tbPNSt15iterator_traitsISE_E10value_typeEPNSK_ISF_E10value_typeEPSG_NS1_7vsmem_tEENKUlT_SE_SF_SG_E_clIS8_S8_S9_S9_EESD_ST_SE_SF_SG_EUlST_E0_NS1_11comp_targetILNS1_3genE10ELNS1_11target_archE1201ELNS1_3gpuE5ELNS1_3repE0EEENS1_38merge_mergepath_config_static_selectorELNS0_4arch9wavefront6targetE0EEEvSF_
	.globl	_ZN7rocprim17ROCPRIM_400000_NS6detail17trampoline_kernelINS0_14default_configENS1_38merge_sort_block_merge_config_selectorIaNS0_10empty_typeEEEZZNS1_27merge_sort_block_merge_implIS3_PaPS5_jNS1_19radix_merge_compareILb1ELb1EaNS0_19identity_decomposerEEEEE10hipError_tT0_T1_T2_jT3_P12ihipStream_tbPNSt15iterator_traitsISE_E10value_typeEPNSK_ISF_E10value_typeEPSG_NS1_7vsmem_tEENKUlT_SE_SF_SG_E_clIS8_S8_S9_S9_EESD_ST_SE_SF_SG_EUlST_E0_NS1_11comp_targetILNS1_3genE10ELNS1_11target_archE1201ELNS1_3gpuE5ELNS1_3repE0EEENS1_38merge_mergepath_config_static_selectorELNS0_4arch9wavefront6targetE0EEEvSF_
	.p2align	8
	.type	_ZN7rocprim17ROCPRIM_400000_NS6detail17trampoline_kernelINS0_14default_configENS1_38merge_sort_block_merge_config_selectorIaNS0_10empty_typeEEEZZNS1_27merge_sort_block_merge_implIS3_PaPS5_jNS1_19radix_merge_compareILb1ELb1EaNS0_19identity_decomposerEEEEE10hipError_tT0_T1_T2_jT3_P12ihipStream_tbPNSt15iterator_traitsISE_E10value_typeEPNSK_ISF_E10value_typeEPSG_NS1_7vsmem_tEENKUlT_SE_SF_SG_E_clIS8_S8_S9_S9_EESD_ST_SE_SF_SG_EUlST_E0_NS1_11comp_targetILNS1_3genE10ELNS1_11target_archE1201ELNS1_3gpuE5ELNS1_3repE0EEENS1_38merge_mergepath_config_static_selectorELNS0_4arch9wavefront6targetE0EEEvSF_,@function
_ZN7rocprim17ROCPRIM_400000_NS6detail17trampoline_kernelINS0_14default_configENS1_38merge_sort_block_merge_config_selectorIaNS0_10empty_typeEEEZZNS1_27merge_sort_block_merge_implIS3_PaPS5_jNS1_19radix_merge_compareILb1ELb1EaNS0_19identity_decomposerEEEEE10hipError_tT0_T1_T2_jT3_P12ihipStream_tbPNSt15iterator_traitsISE_E10value_typeEPNSK_ISF_E10value_typeEPSG_NS1_7vsmem_tEENKUlT_SE_SF_SG_E_clIS8_S8_S9_S9_EESD_ST_SE_SF_SG_EUlST_E0_NS1_11comp_targetILNS1_3genE10ELNS1_11target_archE1201ELNS1_3gpuE5ELNS1_3repE0EEENS1_38merge_mergepath_config_static_selectorELNS0_4arch9wavefront6targetE0EEEvSF_: ; @_ZN7rocprim17ROCPRIM_400000_NS6detail17trampoline_kernelINS0_14default_configENS1_38merge_sort_block_merge_config_selectorIaNS0_10empty_typeEEEZZNS1_27merge_sort_block_merge_implIS3_PaPS5_jNS1_19radix_merge_compareILb1ELb1EaNS0_19identity_decomposerEEEEE10hipError_tT0_T1_T2_jT3_P12ihipStream_tbPNSt15iterator_traitsISE_E10value_typeEPNSK_ISF_E10value_typeEPSG_NS1_7vsmem_tEENKUlT_SE_SF_SG_E_clIS8_S8_S9_S9_EESD_ST_SE_SF_SG_EUlST_E0_NS1_11comp_targetILNS1_3genE10ELNS1_11target_archE1201ELNS1_3gpuE5ELNS1_3repE0EEENS1_38merge_mergepath_config_static_selectorELNS0_4arch9wavefront6targetE0EEEvSF_
; %bb.0:
	.section	.rodata,"a",@progbits
	.p2align	6, 0x0
	.amdhsa_kernel _ZN7rocprim17ROCPRIM_400000_NS6detail17trampoline_kernelINS0_14default_configENS1_38merge_sort_block_merge_config_selectorIaNS0_10empty_typeEEEZZNS1_27merge_sort_block_merge_implIS3_PaPS5_jNS1_19radix_merge_compareILb1ELb1EaNS0_19identity_decomposerEEEEE10hipError_tT0_T1_T2_jT3_P12ihipStream_tbPNSt15iterator_traitsISE_E10value_typeEPNSK_ISF_E10value_typeEPSG_NS1_7vsmem_tEENKUlT_SE_SF_SG_E_clIS8_S8_S9_S9_EESD_ST_SE_SF_SG_EUlST_E0_NS1_11comp_targetILNS1_3genE10ELNS1_11target_archE1201ELNS1_3gpuE5ELNS1_3repE0EEENS1_38merge_mergepath_config_static_selectorELNS0_4arch9wavefront6targetE0EEEvSF_
		.amdhsa_group_segment_fixed_size 0
		.amdhsa_private_segment_fixed_size 0
		.amdhsa_kernarg_size 64
		.amdhsa_user_sgpr_count 2
		.amdhsa_user_sgpr_dispatch_ptr 0
		.amdhsa_user_sgpr_queue_ptr 0
		.amdhsa_user_sgpr_kernarg_segment_ptr 1
		.amdhsa_user_sgpr_dispatch_id 0
		.amdhsa_user_sgpr_kernarg_preload_length 0
		.amdhsa_user_sgpr_kernarg_preload_offset 0
		.amdhsa_user_sgpr_private_segment_size 0
		.amdhsa_wavefront_size32 1
		.amdhsa_uses_dynamic_stack 0
		.amdhsa_enable_private_segment 0
		.amdhsa_system_sgpr_workgroup_id_x 1
		.amdhsa_system_sgpr_workgroup_id_y 0
		.amdhsa_system_sgpr_workgroup_id_z 0
		.amdhsa_system_sgpr_workgroup_info 0
		.amdhsa_system_vgpr_workitem_id 0
		.amdhsa_next_free_vgpr 1
		.amdhsa_next_free_sgpr 1
		.amdhsa_named_barrier_count 0
		.amdhsa_reserve_vcc 0
		.amdhsa_float_round_mode_32 0
		.amdhsa_float_round_mode_16_64 0
		.amdhsa_float_denorm_mode_32 3
		.amdhsa_float_denorm_mode_16_64 3
		.amdhsa_fp16_overflow 0
		.amdhsa_memory_ordered 1
		.amdhsa_forward_progress 1
		.amdhsa_inst_pref_size 0
		.amdhsa_round_robin_scheduling 0
		.amdhsa_exception_fp_ieee_invalid_op 0
		.amdhsa_exception_fp_denorm_src 0
		.amdhsa_exception_fp_ieee_div_zero 0
		.amdhsa_exception_fp_ieee_overflow 0
		.amdhsa_exception_fp_ieee_underflow 0
		.amdhsa_exception_fp_ieee_inexact 0
		.amdhsa_exception_int_div_zero 0
	.end_amdhsa_kernel
	.section	.text._ZN7rocprim17ROCPRIM_400000_NS6detail17trampoline_kernelINS0_14default_configENS1_38merge_sort_block_merge_config_selectorIaNS0_10empty_typeEEEZZNS1_27merge_sort_block_merge_implIS3_PaPS5_jNS1_19radix_merge_compareILb1ELb1EaNS0_19identity_decomposerEEEEE10hipError_tT0_T1_T2_jT3_P12ihipStream_tbPNSt15iterator_traitsISE_E10value_typeEPNSK_ISF_E10value_typeEPSG_NS1_7vsmem_tEENKUlT_SE_SF_SG_E_clIS8_S8_S9_S9_EESD_ST_SE_SF_SG_EUlST_E0_NS1_11comp_targetILNS1_3genE10ELNS1_11target_archE1201ELNS1_3gpuE5ELNS1_3repE0EEENS1_38merge_mergepath_config_static_selectorELNS0_4arch9wavefront6targetE0EEEvSF_,"axG",@progbits,_ZN7rocprim17ROCPRIM_400000_NS6detail17trampoline_kernelINS0_14default_configENS1_38merge_sort_block_merge_config_selectorIaNS0_10empty_typeEEEZZNS1_27merge_sort_block_merge_implIS3_PaPS5_jNS1_19radix_merge_compareILb1ELb1EaNS0_19identity_decomposerEEEEE10hipError_tT0_T1_T2_jT3_P12ihipStream_tbPNSt15iterator_traitsISE_E10value_typeEPNSK_ISF_E10value_typeEPSG_NS1_7vsmem_tEENKUlT_SE_SF_SG_E_clIS8_S8_S9_S9_EESD_ST_SE_SF_SG_EUlST_E0_NS1_11comp_targetILNS1_3genE10ELNS1_11target_archE1201ELNS1_3gpuE5ELNS1_3repE0EEENS1_38merge_mergepath_config_static_selectorELNS0_4arch9wavefront6targetE0EEEvSF_,comdat
.Lfunc_end314:
	.size	_ZN7rocprim17ROCPRIM_400000_NS6detail17trampoline_kernelINS0_14default_configENS1_38merge_sort_block_merge_config_selectorIaNS0_10empty_typeEEEZZNS1_27merge_sort_block_merge_implIS3_PaPS5_jNS1_19radix_merge_compareILb1ELb1EaNS0_19identity_decomposerEEEEE10hipError_tT0_T1_T2_jT3_P12ihipStream_tbPNSt15iterator_traitsISE_E10value_typeEPNSK_ISF_E10value_typeEPSG_NS1_7vsmem_tEENKUlT_SE_SF_SG_E_clIS8_S8_S9_S9_EESD_ST_SE_SF_SG_EUlST_E0_NS1_11comp_targetILNS1_3genE10ELNS1_11target_archE1201ELNS1_3gpuE5ELNS1_3repE0EEENS1_38merge_mergepath_config_static_selectorELNS0_4arch9wavefront6targetE0EEEvSF_, .Lfunc_end314-_ZN7rocprim17ROCPRIM_400000_NS6detail17trampoline_kernelINS0_14default_configENS1_38merge_sort_block_merge_config_selectorIaNS0_10empty_typeEEEZZNS1_27merge_sort_block_merge_implIS3_PaPS5_jNS1_19radix_merge_compareILb1ELb1EaNS0_19identity_decomposerEEEEE10hipError_tT0_T1_T2_jT3_P12ihipStream_tbPNSt15iterator_traitsISE_E10value_typeEPNSK_ISF_E10value_typeEPSG_NS1_7vsmem_tEENKUlT_SE_SF_SG_E_clIS8_S8_S9_S9_EESD_ST_SE_SF_SG_EUlST_E0_NS1_11comp_targetILNS1_3genE10ELNS1_11target_archE1201ELNS1_3gpuE5ELNS1_3repE0EEENS1_38merge_mergepath_config_static_selectorELNS0_4arch9wavefront6targetE0EEEvSF_
                                        ; -- End function
	.set _ZN7rocprim17ROCPRIM_400000_NS6detail17trampoline_kernelINS0_14default_configENS1_38merge_sort_block_merge_config_selectorIaNS0_10empty_typeEEEZZNS1_27merge_sort_block_merge_implIS3_PaPS5_jNS1_19radix_merge_compareILb1ELb1EaNS0_19identity_decomposerEEEEE10hipError_tT0_T1_T2_jT3_P12ihipStream_tbPNSt15iterator_traitsISE_E10value_typeEPNSK_ISF_E10value_typeEPSG_NS1_7vsmem_tEENKUlT_SE_SF_SG_E_clIS8_S8_S9_S9_EESD_ST_SE_SF_SG_EUlST_E0_NS1_11comp_targetILNS1_3genE10ELNS1_11target_archE1201ELNS1_3gpuE5ELNS1_3repE0EEENS1_38merge_mergepath_config_static_selectorELNS0_4arch9wavefront6targetE0EEEvSF_.num_vgpr, 0
	.set _ZN7rocprim17ROCPRIM_400000_NS6detail17trampoline_kernelINS0_14default_configENS1_38merge_sort_block_merge_config_selectorIaNS0_10empty_typeEEEZZNS1_27merge_sort_block_merge_implIS3_PaPS5_jNS1_19radix_merge_compareILb1ELb1EaNS0_19identity_decomposerEEEEE10hipError_tT0_T1_T2_jT3_P12ihipStream_tbPNSt15iterator_traitsISE_E10value_typeEPNSK_ISF_E10value_typeEPSG_NS1_7vsmem_tEENKUlT_SE_SF_SG_E_clIS8_S8_S9_S9_EESD_ST_SE_SF_SG_EUlST_E0_NS1_11comp_targetILNS1_3genE10ELNS1_11target_archE1201ELNS1_3gpuE5ELNS1_3repE0EEENS1_38merge_mergepath_config_static_selectorELNS0_4arch9wavefront6targetE0EEEvSF_.num_agpr, 0
	.set _ZN7rocprim17ROCPRIM_400000_NS6detail17trampoline_kernelINS0_14default_configENS1_38merge_sort_block_merge_config_selectorIaNS0_10empty_typeEEEZZNS1_27merge_sort_block_merge_implIS3_PaPS5_jNS1_19radix_merge_compareILb1ELb1EaNS0_19identity_decomposerEEEEE10hipError_tT0_T1_T2_jT3_P12ihipStream_tbPNSt15iterator_traitsISE_E10value_typeEPNSK_ISF_E10value_typeEPSG_NS1_7vsmem_tEENKUlT_SE_SF_SG_E_clIS8_S8_S9_S9_EESD_ST_SE_SF_SG_EUlST_E0_NS1_11comp_targetILNS1_3genE10ELNS1_11target_archE1201ELNS1_3gpuE5ELNS1_3repE0EEENS1_38merge_mergepath_config_static_selectorELNS0_4arch9wavefront6targetE0EEEvSF_.numbered_sgpr, 0
	.set _ZN7rocprim17ROCPRIM_400000_NS6detail17trampoline_kernelINS0_14default_configENS1_38merge_sort_block_merge_config_selectorIaNS0_10empty_typeEEEZZNS1_27merge_sort_block_merge_implIS3_PaPS5_jNS1_19radix_merge_compareILb1ELb1EaNS0_19identity_decomposerEEEEE10hipError_tT0_T1_T2_jT3_P12ihipStream_tbPNSt15iterator_traitsISE_E10value_typeEPNSK_ISF_E10value_typeEPSG_NS1_7vsmem_tEENKUlT_SE_SF_SG_E_clIS8_S8_S9_S9_EESD_ST_SE_SF_SG_EUlST_E0_NS1_11comp_targetILNS1_3genE10ELNS1_11target_archE1201ELNS1_3gpuE5ELNS1_3repE0EEENS1_38merge_mergepath_config_static_selectorELNS0_4arch9wavefront6targetE0EEEvSF_.num_named_barrier, 0
	.set _ZN7rocprim17ROCPRIM_400000_NS6detail17trampoline_kernelINS0_14default_configENS1_38merge_sort_block_merge_config_selectorIaNS0_10empty_typeEEEZZNS1_27merge_sort_block_merge_implIS3_PaPS5_jNS1_19radix_merge_compareILb1ELb1EaNS0_19identity_decomposerEEEEE10hipError_tT0_T1_T2_jT3_P12ihipStream_tbPNSt15iterator_traitsISE_E10value_typeEPNSK_ISF_E10value_typeEPSG_NS1_7vsmem_tEENKUlT_SE_SF_SG_E_clIS8_S8_S9_S9_EESD_ST_SE_SF_SG_EUlST_E0_NS1_11comp_targetILNS1_3genE10ELNS1_11target_archE1201ELNS1_3gpuE5ELNS1_3repE0EEENS1_38merge_mergepath_config_static_selectorELNS0_4arch9wavefront6targetE0EEEvSF_.private_seg_size, 0
	.set _ZN7rocprim17ROCPRIM_400000_NS6detail17trampoline_kernelINS0_14default_configENS1_38merge_sort_block_merge_config_selectorIaNS0_10empty_typeEEEZZNS1_27merge_sort_block_merge_implIS3_PaPS5_jNS1_19radix_merge_compareILb1ELb1EaNS0_19identity_decomposerEEEEE10hipError_tT0_T1_T2_jT3_P12ihipStream_tbPNSt15iterator_traitsISE_E10value_typeEPNSK_ISF_E10value_typeEPSG_NS1_7vsmem_tEENKUlT_SE_SF_SG_E_clIS8_S8_S9_S9_EESD_ST_SE_SF_SG_EUlST_E0_NS1_11comp_targetILNS1_3genE10ELNS1_11target_archE1201ELNS1_3gpuE5ELNS1_3repE0EEENS1_38merge_mergepath_config_static_selectorELNS0_4arch9wavefront6targetE0EEEvSF_.uses_vcc, 0
	.set _ZN7rocprim17ROCPRIM_400000_NS6detail17trampoline_kernelINS0_14default_configENS1_38merge_sort_block_merge_config_selectorIaNS0_10empty_typeEEEZZNS1_27merge_sort_block_merge_implIS3_PaPS5_jNS1_19radix_merge_compareILb1ELb1EaNS0_19identity_decomposerEEEEE10hipError_tT0_T1_T2_jT3_P12ihipStream_tbPNSt15iterator_traitsISE_E10value_typeEPNSK_ISF_E10value_typeEPSG_NS1_7vsmem_tEENKUlT_SE_SF_SG_E_clIS8_S8_S9_S9_EESD_ST_SE_SF_SG_EUlST_E0_NS1_11comp_targetILNS1_3genE10ELNS1_11target_archE1201ELNS1_3gpuE5ELNS1_3repE0EEENS1_38merge_mergepath_config_static_selectorELNS0_4arch9wavefront6targetE0EEEvSF_.uses_flat_scratch, 0
	.set _ZN7rocprim17ROCPRIM_400000_NS6detail17trampoline_kernelINS0_14default_configENS1_38merge_sort_block_merge_config_selectorIaNS0_10empty_typeEEEZZNS1_27merge_sort_block_merge_implIS3_PaPS5_jNS1_19radix_merge_compareILb1ELb1EaNS0_19identity_decomposerEEEEE10hipError_tT0_T1_T2_jT3_P12ihipStream_tbPNSt15iterator_traitsISE_E10value_typeEPNSK_ISF_E10value_typeEPSG_NS1_7vsmem_tEENKUlT_SE_SF_SG_E_clIS8_S8_S9_S9_EESD_ST_SE_SF_SG_EUlST_E0_NS1_11comp_targetILNS1_3genE10ELNS1_11target_archE1201ELNS1_3gpuE5ELNS1_3repE0EEENS1_38merge_mergepath_config_static_selectorELNS0_4arch9wavefront6targetE0EEEvSF_.has_dyn_sized_stack, 0
	.set _ZN7rocprim17ROCPRIM_400000_NS6detail17trampoline_kernelINS0_14default_configENS1_38merge_sort_block_merge_config_selectorIaNS0_10empty_typeEEEZZNS1_27merge_sort_block_merge_implIS3_PaPS5_jNS1_19radix_merge_compareILb1ELb1EaNS0_19identity_decomposerEEEEE10hipError_tT0_T1_T2_jT3_P12ihipStream_tbPNSt15iterator_traitsISE_E10value_typeEPNSK_ISF_E10value_typeEPSG_NS1_7vsmem_tEENKUlT_SE_SF_SG_E_clIS8_S8_S9_S9_EESD_ST_SE_SF_SG_EUlST_E0_NS1_11comp_targetILNS1_3genE10ELNS1_11target_archE1201ELNS1_3gpuE5ELNS1_3repE0EEENS1_38merge_mergepath_config_static_selectorELNS0_4arch9wavefront6targetE0EEEvSF_.has_recursion, 0
	.set _ZN7rocprim17ROCPRIM_400000_NS6detail17trampoline_kernelINS0_14default_configENS1_38merge_sort_block_merge_config_selectorIaNS0_10empty_typeEEEZZNS1_27merge_sort_block_merge_implIS3_PaPS5_jNS1_19radix_merge_compareILb1ELb1EaNS0_19identity_decomposerEEEEE10hipError_tT0_T1_T2_jT3_P12ihipStream_tbPNSt15iterator_traitsISE_E10value_typeEPNSK_ISF_E10value_typeEPSG_NS1_7vsmem_tEENKUlT_SE_SF_SG_E_clIS8_S8_S9_S9_EESD_ST_SE_SF_SG_EUlST_E0_NS1_11comp_targetILNS1_3genE10ELNS1_11target_archE1201ELNS1_3gpuE5ELNS1_3repE0EEENS1_38merge_mergepath_config_static_selectorELNS0_4arch9wavefront6targetE0EEEvSF_.has_indirect_call, 0
	.section	.AMDGPU.csdata,"",@progbits
; Kernel info:
; codeLenInByte = 0
; TotalNumSgprs: 0
; NumVgprs: 0
; ScratchSize: 0
; MemoryBound: 0
; FloatMode: 240
; IeeeMode: 1
; LDSByteSize: 0 bytes/workgroup (compile time only)
; SGPRBlocks: 0
; VGPRBlocks: 0
; NumSGPRsForWavesPerEU: 1
; NumVGPRsForWavesPerEU: 1
; NamedBarCnt: 0
; Occupancy: 16
; WaveLimiterHint : 0
; COMPUTE_PGM_RSRC2:SCRATCH_EN: 0
; COMPUTE_PGM_RSRC2:USER_SGPR: 2
; COMPUTE_PGM_RSRC2:TRAP_HANDLER: 0
; COMPUTE_PGM_RSRC2:TGID_X_EN: 1
; COMPUTE_PGM_RSRC2:TGID_Y_EN: 0
; COMPUTE_PGM_RSRC2:TGID_Z_EN: 0
; COMPUTE_PGM_RSRC2:TIDIG_COMP_CNT: 0
	.section	.text._ZN7rocprim17ROCPRIM_400000_NS6detail17trampoline_kernelINS0_14default_configENS1_38merge_sort_block_merge_config_selectorIaNS0_10empty_typeEEEZZNS1_27merge_sort_block_merge_implIS3_PaPS5_jNS1_19radix_merge_compareILb1ELb1EaNS0_19identity_decomposerEEEEE10hipError_tT0_T1_T2_jT3_P12ihipStream_tbPNSt15iterator_traitsISE_E10value_typeEPNSK_ISF_E10value_typeEPSG_NS1_7vsmem_tEENKUlT_SE_SF_SG_E_clIS8_S8_S9_S9_EESD_ST_SE_SF_SG_EUlST_E0_NS1_11comp_targetILNS1_3genE5ELNS1_11target_archE942ELNS1_3gpuE9ELNS1_3repE0EEENS1_38merge_mergepath_config_static_selectorELNS0_4arch9wavefront6targetE0EEEvSF_,"axG",@progbits,_ZN7rocprim17ROCPRIM_400000_NS6detail17trampoline_kernelINS0_14default_configENS1_38merge_sort_block_merge_config_selectorIaNS0_10empty_typeEEEZZNS1_27merge_sort_block_merge_implIS3_PaPS5_jNS1_19radix_merge_compareILb1ELb1EaNS0_19identity_decomposerEEEEE10hipError_tT0_T1_T2_jT3_P12ihipStream_tbPNSt15iterator_traitsISE_E10value_typeEPNSK_ISF_E10value_typeEPSG_NS1_7vsmem_tEENKUlT_SE_SF_SG_E_clIS8_S8_S9_S9_EESD_ST_SE_SF_SG_EUlST_E0_NS1_11comp_targetILNS1_3genE5ELNS1_11target_archE942ELNS1_3gpuE9ELNS1_3repE0EEENS1_38merge_mergepath_config_static_selectorELNS0_4arch9wavefront6targetE0EEEvSF_,comdat
	.protected	_ZN7rocprim17ROCPRIM_400000_NS6detail17trampoline_kernelINS0_14default_configENS1_38merge_sort_block_merge_config_selectorIaNS0_10empty_typeEEEZZNS1_27merge_sort_block_merge_implIS3_PaPS5_jNS1_19radix_merge_compareILb1ELb1EaNS0_19identity_decomposerEEEEE10hipError_tT0_T1_T2_jT3_P12ihipStream_tbPNSt15iterator_traitsISE_E10value_typeEPNSK_ISF_E10value_typeEPSG_NS1_7vsmem_tEENKUlT_SE_SF_SG_E_clIS8_S8_S9_S9_EESD_ST_SE_SF_SG_EUlST_E0_NS1_11comp_targetILNS1_3genE5ELNS1_11target_archE942ELNS1_3gpuE9ELNS1_3repE0EEENS1_38merge_mergepath_config_static_selectorELNS0_4arch9wavefront6targetE0EEEvSF_ ; -- Begin function _ZN7rocprim17ROCPRIM_400000_NS6detail17trampoline_kernelINS0_14default_configENS1_38merge_sort_block_merge_config_selectorIaNS0_10empty_typeEEEZZNS1_27merge_sort_block_merge_implIS3_PaPS5_jNS1_19radix_merge_compareILb1ELb1EaNS0_19identity_decomposerEEEEE10hipError_tT0_T1_T2_jT3_P12ihipStream_tbPNSt15iterator_traitsISE_E10value_typeEPNSK_ISF_E10value_typeEPSG_NS1_7vsmem_tEENKUlT_SE_SF_SG_E_clIS8_S8_S9_S9_EESD_ST_SE_SF_SG_EUlST_E0_NS1_11comp_targetILNS1_3genE5ELNS1_11target_archE942ELNS1_3gpuE9ELNS1_3repE0EEENS1_38merge_mergepath_config_static_selectorELNS0_4arch9wavefront6targetE0EEEvSF_
	.globl	_ZN7rocprim17ROCPRIM_400000_NS6detail17trampoline_kernelINS0_14default_configENS1_38merge_sort_block_merge_config_selectorIaNS0_10empty_typeEEEZZNS1_27merge_sort_block_merge_implIS3_PaPS5_jNS1_19radix_merge_compareILb1ELb1EaNS0_19identity_decomposerEEEEE10hipError_tT0_T1_T2_jT3_P12ihipStream_tbPNSt15iterator_traitsISE_E10value_typeEPNSK_ISF_E10value_typeEPSG_NS1_7vsmem_tEENKUlT_SE_SF_SG_E_clIS8_S8_S9_S9_EESD_ST_SE_SF_SG_EUlST_E0_NS1_11comp_targetILNS1_3genE5ELNS1_11target_archE942ELNS1_3gpuE9ELNS1_3repE0EEENS1_38merge_mergepath_config_static_selectorELNS0_4arch9wavefront6targetE0EEEvSF_
	.p2align	8
	.type	_ZN7rocprim17ROCPRIM_400000_NS6detail17trampoline_kernelINS0_14default_configENS1_38merge_sort_block_merge_config_selectorIaNS0_10empty_typeEEEZZNS1_27merge_sort_block_merge_implIS3_PaPS5_jNS1_19radix_merge_compareILb1ELb1EaNS0_19identity_decomposerEEEEE10hipError_tT0_T1_T2_jT3_P12ihipStream_tbPNSt15iterator_traitsISE_E10value_typeEPNSK_ISF_E10value_typeEPSG_NS1_7vsmem_tEENKUlT_SE_SF_SG_E_clIS8_S8_S9_S9_EESD_ST_SE_SF_SG_EUlST_E0_NS1_11comp_targetILNS1_3genE5ELNS1_11target_archE942ELNS1_3gpuE9ELNS1_3repE0EEENS1_38merge_mergepath_config_static_selectorELNS0_4arch9wavefront6targetE0EEEvSF_,@function
_ZN7rocprim17ROCPRIM_400000_NS6detail17trampoline_kernelINS0_14default_configENS1_38merge_sort_block_merge_config_selectorIaNS0_10empty_typeEEEZZNS1_27merge_sort_block_merge_implIS3_PaPS5_jNS1_19radix_merge_compareILb1ELb1EaNS0_19identity_decomposerEEEEE10hipError_tT0_T1_T2_jT3_P12ihipStream_tbPNSt15iterator_traitsISE_E10value_typeEPNSK_ISF_E10value_typeEPSG_NS1_7vsmem_tEENKUlT_SE_SF_SG_E_clIS8_S8_S9_S9_EESD_ST_SE_SF_SG_EUlST_E0_NS1_11comp_targetILNS1_3genE5ELNS1_11target_archE942ELNS1_3gpuE9ELNS1_3repE0EEENS1_38merge_mergepath_config_static_selectorELNS0_4arch9wavefront6targetE0EEEvSF_: ; @_ZN7rocprim17ROCPRIM_400000_NS6detail17trampoline_kernelINS0_14default_configENS1_38merge_sort_block_merge_config_selectorIaNS0_10empty_typeEEEZZNS1_27merge_sort_block_merge_implIS3_PaPS5_jNS1_19radix_merge_compareILb1ELb1EaNS0_19identity_decomposerEEEEE10hipError_tT0_T1_T2_jT3_P12ihipStream_tbPNSt15iterator_traitsISE_E10value_typeEPNSK_ISF_E10value_typeEPSG_NS1_7vsmem_tEENKUlT_SE_SF_SG_E_clIS8_S8_S9_S9_EESD_ST_SE_SF_SG_EUlST_E0_NS1_11comp_targetILNS1_3genE5ELNS1_11target_archE942ELNS1_3gpuE9ELNS1_3repE0EEENS1_38merge_mergepath_config_static_selectorELNS0_4arch9wavefront6targetE0EEEvSF_
; %bb.0:
	.section	.rodata,"a",@progbits
	.p2align	6, 0x0
	.amdhsa_kernel _ZN7rocprim17ROCPRIM_400000_NS6detail17trampoline_kernelINS0_14default_configENS1_38merge_sort_block_merge_config_selectorIaNS0_10empty_typeEEEZZNS1_27merge_sort_block_merge_implIS3_PaPS5_jNS1_19radix_merge_compareILb1ELb1EaNS0_19identity_decomposerEEEEE10hipError_tT0_T1_T2_jT3_P12ihipStream_tbPNSt15iterator_traitsISE_E10value_typeEPNSK_ISF_E10value_typeEPSG_NS1_7vsmem_tEENKUlT_SE_SF_SG_E_clIS8_S8_S9_S9_EESD_ST_SE_SF_SG_EUlST_E0_NS1_11comp_targetILNS1_3genE5ELNS1_11target_archE942ELNS1_3gpuE9ELNS1_3repE0EEENS1_38merge_mergepath_config_static_selectorELNS0_4arch9wavefront6targetE0EEEvSF_
		.amdhsa_group_segment_fixed_size 0
		.amdhsa_private_segment_fixed_size 0
		.amdhsa_kernarg_size 64
		.amdhsa_user_sgpr_count 2
		.amdhsa_user_sgpr_dispatch_ptr 0
		.amdhsa_user_sgpr_queue_ptr 0
		.amdhsa_user_sgpr_kernarg_segment_ptr 1
		.amdhsa_user_sgpr_dispatch_id 0
		.amdhsa_user_sgpr_kernarg_preload_length 0
		.amdhsa_user_sgpr_kernarg_preload_offset 0
		.amdhsa_user_sgpr_private_segment_size 0
		.amdhsa_wavefront_size32 1
		.amdhsa_uses_dynamic_stack 0
		.amdhsa_enable_private_segment 0
		.amdhsa_system_sgpr_workgroup_id_x 1
		.amdhsa_system_sgpr_workgroup_id_y 0
		.amdhsa_system_sgpr_workgroup_id_z 0
		.amdhsa_system_sgpr_workgroup_info 0
		.amdhsa_system_vgpr_workitem_id 0
		.amdhsa_next_free_vgpr 1
		.amdhsa_next_free_sgpr 1
		.amdhsa_named_barrier_count 0
		.amdhsa_reserve_vcc 0
		.amdhsa_float_round_mode_32 0
		.amdhsa_float_round_mode_16_64 0
		.amdhsa_float_denorm_mode_32 3
		.amdhsa_float_denorm_mode_16_64 3
		.amdhsa_fp16_overflow 0
		.amdhsa_memory_ordered 1
		.amdhsa_forward_progress 1
		.amdhsa_inst_pref_size 0
		.amdhsa_round_robin_scheduling 0
		.amdhsa_exception_fp_ieee_invalid_op 0
		.amdhsa_exception_fp_denorm_src 0
		.amdhsa_exception_fp_ieee_div_zero 0
		.amdhsa_exception_fp_ieee_overflow 0
		.amdhsa_exception_fp_ieee_underflow 0
		.amdhsa_exception_fp_ieee_inexact 0
		.amdhsa_exception_int_div_zero 0
	.end_amdhsa_kernel
	.section	.text._ZN7rocprim17ROCPRIM_400000_NS6detail17trampoline_kernelINS0_14default_configENS1_38merge_sort_block_merge_config_selectorIaNS0_10empty_typeEEEZZNS1_27merge_sort_block_merge_implIS3_PaPS5_jNS1_19radix_merge_compareILb1ELb1EaNS0_19identity_decomposerEEEEE10hipError_tT0_T1_T2_jT3_P12ihipStream_tbPNSt15iterator_traitsISE_E10value_typeEPNSK_ISF_E10value_typeEPSG_NS1_7vsmem_tEENKUlT_SE_SF_SG_E_clIS8_S8_S9_S9_EESD_ST_SE_SF_SG_EUlST_E0_NS1_11comp_targetILNS1_3genE5ELNS1_11target_archE942ELNS1_3gpuE9ELNS1_3repE0EEENS1_38merge_mergepath_config_static_selectorELNS0_4arch9wavefront6targetE0EEEvSF_,"axG",@progbits,_ZN7rocprim17ROCPRIM_400000_NS6detail17trampoline_kernelINS0_14default_configENS1_38merge_sort_block_merge_config_selectorIaNS0_10empty_typeEEEZZNS1_27merge_sort_block_merge_implIS3_PaPS5_jNS1_19radix_merge_compareILb1ELb1EaNS0_19identity_decomposerEEEEE10hipError_tT0_T1_T2_jT3_P12ihipStream_tbPNSt15iterator_traitsISE_E10value_typeEPNSK_ISF_E10value_typeEPSG_NS1_7vsmem_tEENKUlT_SE_SF_SG_E_clIS8_S8_S9_S9_EESD_ST_SE_SF_SG_EUlST_E0_NS1_11comp_targetILNS1_3genE5ELNS1_11target_archE942ELNS1_3gpuE9ELNS1_3repE0EEENS1_38merge_mergepath_config_static_selectorELNS0_4arch9wavefront6targetE0EEEvSF_,comdat
.Lfunc_end315:
	.size	_ZN7rocprim17ROCPRIM_400000_NS6detail17trampoline_kernelINS0_14default_configENS1_38merge_sort_block_merge_config_selectorIaNS0_10empty_typeEEEZZNS1_27merge_sort_block_merge_implIS3_PaPS5_jNS1_19radix_merge_compareILb1ELb1EaNS0_19identity_decomposerEEEEE10hipError_tT0_T1_T2_jT3_P12ihipStream_tbPNSt15iterator_traitsISE_E10value_typeEPNSK_ISF_E10value_typeEPSG_NS1_7vsmem_tEENKUlT_SE_SF_SG_E_clIS8_S8_S9_S9_EESD_ST_SE_SF_SG_EUlST_E0_NS1_11comp_targetILNS1_3genE5ELNS1_11target_archE942ELNS1_3gpuE9ELNS1_3repE0EEENS1_38merge_mergepath_config_static_selectorELNS0_4arch9wavefront6targetE0EEEvSF_, .Lfunc_end315-_ZN7rocprim17ROCPRIM_400000_NS6detail17trampoline_kernelINS0_14default_configENS1_38merge_sort_block_merge_config_selectorIaNS0_10empty_typeEEEZZNS1_27merge_sort_block_merge_implIS3_PaPS5_jNS1_19radix_merge_compareILb1ELb1EaNS0_19identity_decomposerEEEEE10hipError_tT0_T1_T2_jT3_P12ihipStream_tbPNSt15iterator_traitsISE_E10value_typeEPNSK_ISF_E10value_typeEPSG_NS1_7vsmem_tEENKUlT_SE_SF_SG_E_clIS8_S8_S9_S9_EESD_ST_SE_SF_SG_EUlST_E0_NS1_11comp_targetILNS1_3genE5ELNS1_11target_archE942ELNS1_3gpuE9ELNS1_3repE0EEENS1_38merge_mergepath_config_static_selectorELNS0_4arch9wavefront6targetE0EEEvSF_
                                        ; -- End function
	.set _ZN7rocprim17ROCPRIM_400000_NS6detail17trampoline_kernelINS0_14default_configENS1_38merge_sort_block_merge_config_selectorIaNS0_10empty_typeEEEZZNS1_27merge_sort_block_merge_implIS3_PaPS5_jNS1_19radix_merge_compareILb1ELb1EaNS0_19identity_decomposerEEEEE10hipError_tT0_T1_T2_jT3_P12ihipStream_tbPNSt15iterator_traitsISE_E10value_typeEPNSK_ISF_E10value_typeEPSG_NS1_7vsmem_tEENKUlT_SE_SF_SG_E_clIS8_S8_S9_S9_EESD_ST_SE_SF_SG_EUlST_E0_NS1_11comp_targetILNS1_3genE5ELNS1_11target_archE942ELNS1_3gpuE9ELNS1_3repE0EEENS1_38merge_mergepath_config_static_selectorELNS0_4arch9wavefront6targetE0EEEvSF_.num_vgpr, 0
	.set _ZN7rocprim17ROCPRIM_400000_NS6detail17trampoline_kernelINS0_14default_configENS1_38merge_sort_block_merge_config_selectorIaNS0_10empty_typeEEEZZNS1_27merge_sort_block_merge_implIS3_PaPS5_jNS1_19radix_merge_compareILb1ELb1EaNS0_19identity_decomposerEEEEE10hipError_tT0_T1_T2_jT3_P12ihipStream_tbPNSt15iterator_traitsISE_E10value_typeEPNSK_ISF_E10value_typeEPSG_NS1_7vsmem_tEENKUlT_SE_SF_SG_E_clIS8_S8_S9_S9_EESD_ST_SE_SF_SG_EUlST_E0_NS1_11comp_targetILNS1_3genE5ELNS1_11target_archE942ELNS1_3gpuE9ELNS1_3repE0EEENS1_38merge_mergepath_config_static_selectorELNS0_4arch9wavefront6targetE0EEEvSF_.num_agpr, 0
	.set _ZN7rocprim17ROCPRIM_400000_NS6detail17trampoline_kernelINS0_14default_configENS1_38merge_sort_block_merge_config_selectorIaNS0_10empty_typeEEEZZNS1_27merge_sort_block_merge_implIS3_PaPS5_jNS1_19radix_merge_compareILb1ELb1EaNS0_19identity_decomposerEEEEE10hipError_tT0_T1_T2_jT3_P12ihipStream_tbPNSt15iterator_traitsISE_E10value_typeEPNSK_ISF_E10value_typeEPSG_NS1_7vsmem_tEENKUlT_SE_SF_SG_E_clIS8_S8_S9_S9_EESD_ST_SE_SF_SG_EUlST_E0_NS1_11comp_targetILNS1_3genE5ELNS1_11target_archE942ELNS1_3gpuE9ELNS1_3repE0EEENS1_38merge_mergepath_config_static_selectorELNS0_4arch9wavefront6targetE0EEEvSF_.numbered_sgpr, 0
	.set _ZN7rocprim17ROCPRIM_400000_NS6detail17trampoline_kernelINS0_14default_configENS1_38merge_sort_block_merge_config_selectorIaNS0_10empty_typeEEEZZNS1_27merge_sort_block_merge_implIS3_PaPS5_jNS1_19radix_merge_compareILb1ELb1EaNS0_19identity_decomposerEEEEE10hipError_tT0_T1_T2_jT3_P12ihipStream_tbPNSt15iterator_traitsISE_E10value_typeEPNSK_ISF_E10value_typeEPSG_NS1_7vsmem_tEENKUlT_SE_SF_SG_E_clIS8_S8_S9_S9_EESD_ST_SE_SF_SG_EUlST_E0_NS1_11comp_targetILNS1_3genE5ELNS1_11target_archE942ELNS1_3gpuE9ELNS1_3repE0EEENS1_38merge_mergepath_config_static_selectorELNS0_4arch9wavefront6targetE0EEEvSF_.num_named_barrier, 0
	.set _ZN7rocprim17ROCPRIM_400000_NS6detail17trampoline_kernelINS0_14default_configENS1_38merge_sort_block_merge_config_selectorIaNS0_10empty_typeEEEZZNS1_27merge_sort_block_merge_implIS3_PaPS5_jNS1_19radix_merge_compareILb1ELb1EaNS0_19identity_decomposerEEEEE10hipError_tT0_T1_T2_jT3_P12ihipStream_tbPNSt15iterator_traitsISE_E10value_typeEPNSK_ISF_E10value_typeEPSG_NS1_7vsmem_tEENKUlT_SE_SF_SG_E_clIS8_S8_S9_S9_EESD_ST_SE_SF_SG_EUlST_E0_NS1_11comp_targetILNS1_3genE5ELNS1_11target_archE942ELNS1_3gpuE9ELNS1_3repE0EEENS1_38merge_mergepath_config_static_selectorELNS0_4arch9wavefront6targetE0EEEvSF_.private_seg_size, 0
	.set _ZN7rocprim17ROCPRIM_400000_NS6detail17trampoline_kernelINS0_14default_configENS1_38merge_sort_block_merge_config_selectorIaNS0_10empty_typeEEEZZNS1_27merge_sort_block_merge_implIS3_PaPS5_jNS1_19radix_merge_compareILb1ELb1EaNS0_19identity_decomposerEEEEE10hipError_tT0_T1_T2_jT3_P12ihipStream_tbPNSt15iterator_traitsISE_E10value_typeEPNSK_ISF_E10value_typeEPSG_NS1_7vsmem_tEENKUlT_SE_SF_SG_E_clIS8_S8_S9_S9_EESD_ST_SE_SF_SG_EUlST_E0_NS1_11comp_targetILNS1_3genE5ELNS1_11target_archE942ELNS1_3gpuE9ELNS1_3repE0EEENS1_38merge_mergepath_config_static_selectorELNS0_4arch9wavefront6targetE0EEEvSF_.uses_vcc, 0
	.set _ZN7rocprim17ROCPRIM_400000_NS6detail17trampoline_kernelINS0_14default_configENS1_38merge_sort_block_merge_config_selectorIaNS0_10empty_typeEEEZZNS1_27merge_sort_block_merge_implIS3_PaPS5_jNS1_19radix_merge_compareILb1ELb1EaNS0_19identity_decomposerEEEEE10hipError_tT0_T1_T2_jT3_P12ihipStream_tbPNSt15iterator_traitsISE_E10value_typeEPNSK_ISF_E10value_typeEPSG_NS1_7vsmem_tEENKUlT_SE_SF_SG_E_clIS8_S8_S9_S9_EESD_ST_SE_SF_SG_EUlST_E0_NS1_11comp_targetILNS1_3genE5ELNS1_11target_archE942ELNS1_3gpuE9ELNS1_3repE0EEENS1_38merge_mergepath_config_static_selectorELNS0_4arch9wavefront6targetE0EEEvSF_.uses_flat_scratch, 0
	.set _ZN7rocprim17ROCPRIM_400000_NS6detail17trampoline_kernelINS0_14default_configENS1_38merge_sort_block_merge_config_selectorIaNS0_10empty_typeEEEZZNS1_27merge_sort_block_merge_implIS3_PaPS5_jNS1_19radix_merge_compareILb1ELb1EaNS0_19identity_decomposerEEEEE10hipError_tT0_T1_T2_jT3_P12ihipStream_tbPNSt15iterator_traitsISE_E10value_typeEPNSK_ISF_E10value_typeEPSG_NS1_7vsmem_tEENKUlT_SE_SF_SG_E_clIS8_S8_S9_S9_EESD_ST_SE_SF_SG_EUlST_E0_NS1_11comp_targetILNS1_3genE5ELNS1_11target_archE942ELNS1_3gpuE9ELNS1_3repE0EEENS1_38merge_mergepath_config_static_selectorELNS0_4arch9wavefront6targetE0EEEvSF_.has_dyn_sized_stack, 0
	.set _ZN7rocprim17ROCPRIM_400000_NS6detail17trampoline_kernelINS0_14default_configENS1_38merge_sort_block_merge_config_selectorIaNS0_10empty_typeEEEZZNS1_27merge_sort_block_merge_implIS3_PaPS5_jNS1_19radix_merge_compareILb1ELb1EaNS0_19identity_decomposerEEEEE10hipError_tT0_T1_T2_jT3_P12ihipStream_tbPNSt15iterator_traitsISE_E10value_typeEPNSK_ISF_E10value_typeEPSG_NS1_7vsmem_tEENKUlT_SE_SF_SG_E_clIS8_S8_S9_S9_EESD_ST_SE_SF_SG_EUlST_E0_NS1_11comp_targetILNS1_3genE5ELNS1_11target_archE942ELNS1_3gpuE9ELNS1_3repE0EEENS1_38merge_mergepath_config_static_selectorELNS0_4arch9wavefront6targetE0EEEvSF_.has_recursion, 0
	.set _ZN7rocprim17ROCPRIM_400000_NS6detail17trampoline_kernelINS0_14default_configENS1_38merge_sort_block_merge_config_selectorIaNS0_10empty_typeEEEZZNS1_27merge_sort_block_merge_implIS3_PaPS5_jNS1_19radix_merge_compareILb1ELb1EaNS0_19identity_decomposerEEEEE10hipError_tT0_T1_T2_jT3_P12ihipStream_tbPNSt15iterator_traitsISE_E10value_typeEPNSK_ISF_E10value_typeEPSG_NS1_7vsmem_tEENKUlT_SE_SF_SG_E_clIS8_S8_S9_S9_EESD_ST_SE_SF_SG_EUlST_E0_NS1_11comp_targetILNS1_3genE5ELNS1_11target_archE942ELNS1_3gpuE9ELNS1_3repE0EEENS1_38merge_mergepath_config_static_selectorELNS0_4arch9wavefront6targetE0EEEvSF_.has_indirect_call, 0
	.section	.AMDGPU.csdata,"",@progbits
; Kernel info:
; codeLenInByte = 0
; TotalNumSgprs: 0
; NumVgprs: 0
; ScratchSize: 0
; MemoryBound: 0
; FloatMode: 240
; IeeeMode: 1
; LDSByteSize: 0 bytes/workgroup (compile time only)
; SGPRBlocks: 0
; VGPRBlocks: 0
; NumSGPRsForWavesPerEU: 1
; NumVGPRsForWavesPerEU: 1
; NamedBarCnt: 0
; Occupancy: 16
; WaveLimiterHint : 0
; COMPUTE_PGM_RSRC2:SCRATCH_EN: 0
; COMPUTE_PGM_RSRC2:USER_SGPR: 2
; COMPUTE_PGM_RSRC2:TRAP_HANDLER: 0
; COMPUTE_PGM_RSRC2:TGID_X_EN: 1
; COMPUTE_PGM_RSRC2:TGID_Y_EN: 0
; COMPUTE_PGM_RSRC2:TGID_Z_EN: 0
; COMPUTE_PGM_RSRC2:TIDIG_COMP_CNT: 0
	.section	.text._ZN7rocprim17ROCPRIM_400000_NS6detail17trampoline_kernelINS0_14default_configENS1_38merge_sort_block_merge_config_selectorIaNS0_10empty_typeEEEZZNS1_27merge_sort_block_merge_implIS3_PaPS5_jNS1_19radix_merge_compareILb1ELb1EaNS0_19identity_decomposerEEEEE10hipError_tT0_T1_T2_jT3_P12ihipStream_tbPNSt15iterator_traitsISE_E10value_typeEPNSK_ISF_E10value_typeEPSG_NS1_7vsmem_tEENKUlT_SE_SF_SG_E_clIS8_S8_S9_S9_EESD_ST_SE_SF_SG_EUlST_E0_NS1_11comp_targetILNS1_3genE4ELNS1_11target_archE910ELNS1_3gpuE8ELNS1_3repE0EEENS1_38merge_mergepath_config_static_selectorELNS0_4arch9wavefront6targetE0EEEvSF_,"axG",@progbits,_ZN7rocprim17ROCPRIM_400000_NS6detail17trampoline_kernelINS0_14default_configENS1_38merge_sort_block_merge_config_selectorIaNS0_10empty_typeEEEZZNS1_27merge_sort_block_merge_implIS3_PaPS5_jNS1_19radix_merge_compareILb1ELb1EaNS0_19identity_decomposerEEEEE10hipError_tT0_T1_T2_jT3_P12ihipStream_tbPNSt15iterator_traitsISE_E10value_typeEPNSK_ISF_E10value_typeEPSG_NS1_7vsmem_tEENKUlT_SE_SF_SG_E_clIS8_S8_S9_S9_EESD_ST_SE_SF_SG_EUlST_E0_NS1_11comp_targetILNS1_3genE4ELNS1_11target_archE910ELNS1_3gpuE8ELNS1_3repE0EEENS1_38merge_mergepath_config_static_selectorELNS0_4arch9wavefront6targetE0EEEvSF_,comdat
	.protected	_ZN7rocprim17ROCPRIM_400000_NS6detail17trampoline_kernelINS0_14default_configENS1_38merge_sort_block_merge_config_selectorIaNS0_10empty_typeEEEZZNS1_27merge_sort_block_merge_implIS3_PaPS5_jNS1_19radix_merge_compareILb1ELb1EaNS0_19identity_decomposerEEEEE10hipError_tT0_T1_T2_jT3_P12ihipStream_tbPNSt15iterator_traitsISE_E10value_typeEPNSK_ISF_E10value_typeEPSG_NS1_7vsmem_tEENKUlT_SE_SF_SG_E_clIS8_S8_S9_S9_EESD_ST_SE_SF_SG_EUlST_E0_NS1_11comp_targetILNS1_3genE4ELNS1_11target_archE910ELNS1_3gpuE8ELNS1_3repE0EEENS1_38merge_mergepath_config_static_selectorELNS0_4arch9wavefront6targetE0EEEvSF_ ; -- Begin function _ZN7rocprim17ROCPRIM_400000_NS6detail17trampoline_kernelINS0_14default_configENS1_38merge_sort_block_merge_config_selectorIaNS0_10empty_typeEEEZZNS1_27merge_sort_block_merge_implIS3_PaPS5_jNS1_19radix_merge_compareILb1ELb1EaNS0_19identity_decomposerEEEEE10hipError_tT0_T1_T2_jT3_P12ihipStream_tbPNSt15iterator_traitsISE_E10value_typeEPNSK_ISF_E10value_typeEPSG_NS1_7vsmem_tEENKUlT_SE_SF_SG_E_clIS8_S8_S9_S9_EESD_ST_SE_SF_SG_EUlST_E0_NS1_11comp_targetILNS1_3genE4ELNS1_11target_archE910ELNS1_3gpuE8ELNS1_3repE0EEENS1_38merge_mergepath_config_static_selectorELNS0_4arch9wavefront6targetE0EEEvSF_
	.globl	_ZN7rocprim17ROCPRIM_400000_NS6detail17trampoline_kernelINS0_14default_configENS1_38merge_sort_block_merge_config_selectorIaNS0_10empty_typeEEEZZNS1_27merge_sort_block_merge_implIS3_PaPS5_jNS1_19radix_merge_compareILb1ELb1EaNS0_19identity_decomposerEEEEE10hipError_tT0_T1_T2_jT3_P12ihipStream_tbPNSt15iterator_traitsISE_E10value_typeEPNSK_ISF_E10value_typeEPSG_NS1_7vsmem_tEENKUlT_SE_SF_SG_E_clIS8_S8_S9_S9_EESD_ST_SE_SF_SG_EUlST_E0_NS1_11comp_targetILNS1_3genE4ELNS1_11target_archE910ELNS1_3gpuE8ELNS1_3repE0EEENS1_38merge_mergepath_config_static_selectorELNS0_4arch9wavefront6targetE0EEEvSF_
	.p2align	8
	.type	_ZN7rocprim17ROCPRIM_400000_NS6detail17trampoline_kernelINS0_14default_configENS1_38merge_sort_block_merge_config_selectorIaNS0_10empty_typeEEEZZNS1_27merge_sort_block_merge_implIS3_PaPS5_jNS1_19radix_merge_compareILb1ELb1EaNS0_19identity_decomposerEEEEE10hipError_tT0_T1_T2_jT3_P12ihipStream_tbPNSt15iterator_traitsISE_E10value_typeEPNSK_ISF_E10value_typeEPSG_NS1_7vsmem_tEENKUlT_SE_SF_SG_E_clIS8_S8_S9_S9_EESD_ST_SE_SF_SG_EUlST_E0_NS1_11comp_targetILNS1_3genE4ELNS1_11target_archE910ELNS1_3gpuE8ELNS1_3repE0EEENS1_38merge_mergepath_config_static_selectorELNS0_4arch9wavefront6targetE0EEEvSF_,@function
_ZN7rocprim17ROCPRIM_400000_NS6detail17trampoline_kernelINS0_14default_configENS1_38merge_sort_block_merge_config_selectorIaNS0_10empty_typeEEEZZNS1_27merge_sort_block_merge_implIS3_PaPS5_jNS1_19radix_merge_compareILb1ELb1EaNS0_19identity_decomposerEEEEE10hipError_tT0_T1_T2_jT3_P12ihipStream_tbPNSt15iterator_traitsISE_E10value_typeEPNSK_ISF_E10value_typeEPSG_NS1_7vsmem_tEENKUlT_SE_SF_SG_E_clIS8_S8_S9_S9_EESD_ST_SE_SF_SG_EUlST_E0_NS1_11comp_targetILNS1_3genE4ELNS1_11target_archE910ELNS1_3gpuE8ELNS1_3repE0EEENS1_38merge_mergepath_config_static_selectorELNS0_4arch9wavefront6targetE0EEEvSF_: ; @_ZN7rocprim17ROCPRIM_400000_NS6detail17trampoline_kernelINS0_14default_configENS1_38merge_sort_block_merge_config_selectorIaNS0_10empty_typeEEEZZNS1_27merge_sort_block_merge_implIS3_PaPS5_jNS1_19radix_merge_compareILb1ELb1EaNS0_19identity_decomposerEEEEE10hipError_tT0_T1_T2_jT3_P12ihipStream_tbPNSt15iterator_traitsISE_E10value_typeEPNSK_ISF_E10value_typeEPSG_NS1_7vsmem_tEENKUlT_SE_SF_SG_E_clIS8_S8_S9_S9_EESD_ST_SE_SF_SG_EUlST_E0_NS1_11comp_targetILNS1_3genE4ELNS1_11target_archE910ELNS1_3gpuE8ELNS1_3repE0EEENS1_38merge_mergepath_config_static_selectorELNS0_4arch9wavefront6targetE0EEEvSF_
; %bb.0:
	.section	.rodata,"a",@progbits
	.p2align	6, 0x0
	.amdhsa_kernel _ZN7rocprim17ROCPRIM_400000_NS6detail17trampoline_kernelINS0_14default_configENS1_38merge_sort_block_merge_config_selectorIaNS0_10empty_typeEEEZZNS1_27merge_sort_block_merge_implIS3_PaPS5_jNS1_19radix_merge_compareILb1ELb1EaNS0_19identity_decomposerEEEEE10hipError_tT0_T1_T2_jT3_P12ihipStream_tbPNSt15iterator_traitsISE_E10value_typeEPNSK_ISF_E10value_typeEPSG_NS1_7vsmem_tEENKUlT_SE_SF_SG_E_clIS8_S8_S9_S9_EESD_ST_SE_SF_SG_EUlST_E0_NS1_11comp_targetILNS1_3genE4ELNS1_11target_archE910ELNS1_3gpuE8ELNS1_3repE0EEENS1_38merge_mergepath_config_static_selectorELNS0_4arch9wavefront6targetE0EEEvSF_
		.amdhsa_group_segment_fixed_size 0
		.amdhsa_private_segment_fixed_size 0
		.amdhsa_kernarg_size 64
		.amdhsa_user_sgpr_count 2
		.amdhsa_user_sgpr_dispatch_ptr 0
		.amdhsa_user_sgpr_queue_ptr 0
		.amdhsa_user_sgpr_kernarg_segment_ptr 1
		.amdhsa_user_sgpr_dispatch_id 0
		.amdhsa_user_sgpr_kernarg_preload_length 0
		.amdhsa_user_sgpr_kernarg_preload_offset 0
		.amdhsa_user_sgpr_private_segment_size 0
		.amdhsa_wavefront_size32 1
		.amdhsa_uses_dynamic_stack 0
		.amdhsa_enable_private_segment 0
		.amdhsa_system_sgpr_workgroup_id_x 1
		.amdhsa_system_sgpr_workgroup_id_y 0
		.amdhsa_system_sgpr_workgroup_id_z 0
		.amdhsa_system_sgpr_workgroup_info 0
		.amdhsa_system_vgpr_workitem_id 0
		.amdhsa_next_free_vgpr 1
		.amdhsa_next_free_sgpr 1
		.amdhsa_named_barrier_count 0
		.amdhsa_reserve_vcc 0
		.amdhsa_float_round_mode_32 0
		.amdhsa_float_round_mode_16_64 0
		.amdhsa_float_denorm_mode_32 3
		.amdhsa_float_denorm_mode_16_64 3
		.amdhsa_fp16_overflow 0
		.amdhsa_memory_ordered 1
		.amdhsa_forward_progress 1
		.amdhsa_inst_pref_size 0
		.amdhsa_round_robin_scheduling 0
		.amdhsa_exception_fp_ieee_invalid_op 0
		.amdhsa_exception_fp_denorm_src 0
		.amdhsa_exception_fp_ieee_div_zero 0
		.amdhsa_exception_fp_ieee_overflow 0
		.amdhsa_exception_fp_ieee_underflow 0
		.amdhsa_exception_fp_ieee_inexact 0
		.amdhsa_exception_int_div_zero 0
	.end_amdhsa_kernel
	.section	.text._ZN7rocprim17ROCPRIM_400000_NS6detail17trampoline_kernelINS0_14default_configENS1_38merge_sort_block_merge_config_selectorIaNS0_10empty_typeEEEZZNS1_27merge_sort_block_merge_implIS3_PaPS5_jNS1_19radix_merge_compareILb1ELb1EaNS0_19identity_decomposerEEEEE10hipError_tT0_T1_T2_jT3_P12ihipStream_tbPNSt15iterator_traitsISE_E10value_typeEPNSK_ISF_E10value_typeEPSG_NS1_7vsmem_tEENKUlT_SE_SF_SG_E_clIS8_S8_S9_S9_EESD_ST_SE_SF_SG_EUlST_E0_NS1_11comp_targetILNS1_3genE4ELNS1_11target_archE910ELNS1_3gpuE8ELNS1_3repE0EEENS1_38merge_mergepath_config_static_selectorELNS0_4arch9wavefront6targetE0EEEvSF_,"axG",@progbits,_ZN7rocprim17ROCPRIM_400000_NS6detail17trampoline_kernelINS0_14default_configENS1_38merge_sort_block_merge_config_selectorIaNS0_10empty_typeEEEZZNS1_27merge_sort_block_merge_implIS3_PaPS5_jNS1_19radix_merge_compareILb1ELb1EaNS0_19identity_decomposerEEEEE10hipError_tT0_T1_T2_jT3_P12ihipStream_tbPNSt15iterator_traitsISE_E10value_typeEPNSK_ISF_E10value_typeEPSG_NS1_7vsmem_tEENKUlT_SE_SF_SG_E_clIS8_S8_S9_S9_EESD_ST_SE_SF_SG_EUlST_E0_NS1_11comp_targetILNS1_3genE4ELNS1_11target_archE910ELNS1_3gpuE8ELNS1_3repE0EEENS1_38merge_mergepath_config_static_selectorELNS0_4arch9wavefront6targetE0EEEvSF_,comdat
.Lfunc_end316:
	.size	_ZN7rocprim17ROCPRIM_400000_NS6detail17trampoline_kernelINS0_14default_configENS1_38merge_sort_block_merge_config_selectorIaNS0_10empty_typeEEEZZNS1_27merge_sort_block_merge_implIS3_PaPS5_jNS1_19radix_merge_compareILb1ELb1EaNS0_19identity_decomposerEEEEE10hipError_tT0_T1_T2_jT3_P12ihipStream_tbPNSt15iterator_traitsISE_E10value_typeEPNSK_ISF_E10value_typeEPSG_NS1_7vsmem_tEENKUlT_SE_SF_SG_E_clIS8_S8_S9_S9_EESD_ST_SE_SF_SG_EUlST_E0_NS1_11comp_targetILNS1_3genE4ELNS1_11target_archE910ELNS1_3gpuE8ELNS1_3repE0EEENS1_38merge_mergepath_config_static_selectorELNS0_4arch9wavefront6targetE0EEEvSF_, .Lfunc_end316-_ZN7rocprim17ROCPRIM_400000_NS6detail17trampoline_kernelINS0_14default_configENS1_38merge_sort_block_merge_config_selectorIaNS0_10empty_typeEEEZZNS1_27merge_sort_block_merge_implIS3_PaPS5_jNS1_19radix_merge_compareILb1ELb1EaNS0_19identity_decomposerEEEEE10hipError_tT0_T1_T2_jT3_P12ihipStream_tbPNSt15iterator_traitsISE_E10value_typeEPNSK_ISF_E10value_typeEPSG_NS1_7vsmem_tEENKUlT_SE_SF_SG_E_clIS8_S8_S9_S9_EESD_ST_SE_SF_SG_EUlST_E0_NS1_11comp_targetILNS1_3genE4ELNS1_11target_archE910ELNS1_3gpuE8ELNS1_3repE0EEENS1_38merge_mergepath_config_static_selectorELNS0_4arch9wavefront6targetE0EEEvSF_
                                        ; -- End function
	.set _ZN7rocprim17ROCPRIM_400000_NS6detail17trampoline_kernelINS0_14default_configENS1_38merge_sort_block_merge_config_selectorIaNS0_10empty_typeEEEZZNS1_27merge_sort_block_merge_implIS3_PaPS5_jNS1_19radix_merge_compareILb1ELb1EaNS0_19identity_decomposerEEEEE10hipError_tT0_T1_T2_jT3_P12ihipStream_tbPNSt15iterator_traitsISE_E10value_typeEPNSK_ISF_E10value_typeEPSG_NS1_7vsmem_tEENKUlT_SE_SF_SG_E_clIS8_S8_S9_S9_EESD_ST_SE_SF_SG_EUlST_E0_NS1_11comp_targetILNS1_3genE4ELNS1_11target_archE910ELNS1_3gpuE8ELNS1_3repE0EEENS1_38merge_mergepath_config_static_selectorELNS0_4arch9wavefront6targetE0EEEvSF_.num_vgpr, 0
	.set _ZN7rocprim17ROCPRIM_400000_NS6detail17trampoline_kernelINS0_14default_configENS1_38merge_sort_block_merge_config_selectorIaNS0_10empty_typeEEEZZNS1_27merge_sort_block_merge_implIS3_PaPS5_jNS1_19radix_merge_compareILb1ELb1EaNS0_19identity_decomposerEEEEE10hipError_tT0_T1_T2_jT3_P12ihipStream_tbPNSt15iterator_traitsISE_E10value_typeEPNSK_ISF_E10value_typeEPSG_NS1_7vsmem_tEENKUlT_SE_SF_SG_E_clIS8_S8_S9_S9_EESD_ST_SE_SF_SG_EUlST_E0_NS1_11comp_targetILNS1_3genE4ELNS1_11target_archE910ELNS1_3gpuE8ELNS1_3repE0EEENS1_38merge_mergepath_config_static_selectorELNS0_4arch9wavefront6targetE0EEEvSF_.num_agpr, 0
	.set _ZN7rocprim17ROCPRIM_400000_NS6detail17trampoline_kernelINS0_14default_configENS1_38merge_sort_block_merge_config_selectorIaNS0_10empty_typeEEEZZNS1_27merge_sort_block_merge_implIS3_PaPS5_jNS1_19radix_merge_compareILb1ELb1EaNS0_19identity_decomposerEEEEE10hipError_tT0_T1_T2_jT3_P12ihipStream_tbPNSt15iterator_traitsISE_E10value_typeEPNSK_ISF_E10value_typeEPSG_NS1_7vsmem_tEENKUlT_SE_SF_SG_E_clIS8_S8_S9_S9_EESD_ST_SE_SF_SG_EUlST_E0_NS1_11comp_targetILNS1_3genE4ELNS1_11target_archE910ELNS1_3gpuE8ELNS1_3repE0EEENS1_38merge_mergepath_config_static_selectorELNS0_4arch9wavefront6targetE0EEEvSF_.numbered_sgpr, 0
	.set _ZN7rocprim17ROCPRIM_400000_NS6detail17trampoline_kernelINS0_14default_configENS1_38merge_sort_block_merge_config_selectorIaNS0_10empty_typeEEEZZNS1_27merge_sort_block_merge_implIS3_PaPS5_jNS1_19radix_merge_compareILb1ELb1EaNS0_19identity_decomposerEEEEE10hipError_tT0_T1_T2_jT3_P12ihipStream_tbPNSt15iterator_traitsISE_E10value_typeEPNSK_ISF_E10value_typeEPSG_NS1_7vsmem_tEENKUlT_SE_SF_SG_E_clIS8_S8_S9_S9_EESD_ST_SE_SF_SG_EUlST_E0_NS1_11comp_targetILNS1_3genE4ELNS1_11target_archE910ELNS1_3gpuE8ELNS1_3repE0EEENS1_38merge_mergepath_config_static_selectorELNS0_4arch9wavefront6targetE0EEEvSF_.num_named_barrier, 0
	.set _ZN7rocprim17ROCPRIM_400000_NS6detail17trampoline_kernelINS0_14default_configENS1_38merge_sort_block_merge_config_selectorIaNS0_10empty_typeEEEZZNS1_27merge_sort_block_merge_implIS3_PaPS5_jNS1_19radix_merge_compareILb1ELb1EaNS0_19identity_decomposerEEEEE10hipError_tT0_T1_T2_jT3_P12ihipStream_tbPNSt15iterator_traitsISE_E10value_typeEPNSK_ISF_E10value_typeEPSG_NS1_7vsmem_tEENKUlT_SE_SF_SG_E_clIS8_S8_S9_S9_EESD_ST_SE_SF_SG_EUlST_E0_NS1_11comp_targetILNS1_3genE4ELNS1_11target_archE910ELNS1_3gpuE8ELNS1_3repE0EEENS1_38merge_mergepath_config_static_selectorELNS0_4arch9wavefront6targetE0EEEvSF_.private_seg_size, 0
	.set _ZN7rocprim17ROCPRIM_400000_NS6detail17trampoline_kernelINS0_14default_configENS1_38merge_sort_block_merge_config_selectorIaNS0_10empty_typeEEEZZNS1_27merge_sort_block_merge_implIS3_PaPS5_jNS1_19radix_merge_compareILb1ELb1EaNS0_19identity_decomposerEEEEE10hipError_tT0_T1_T2_jT3_P12ihipStream_tbPNSt15iterator_traitsISE_E10value_typeEPNSK_ISF_E10value_typeEPSG_NS1_7vsmem_tEENKUlT_SE_SF_SG_E_clIS8_S8_S9_S9_EESD_ST_SE_SF_SG_EUlST_E0_NS1_11comp_targetILNS1_3genE4ELNS1_11target_archE910ELNS1_3gpuE8ELNS1_3repE0EEENS1_38merge_mergepath_config_static_selectorELNS0_4arch9wavefront6targetE0EEEvSF_.uses_vcc, 0
	.set _ZN7rocprim17ROCPRIM_400000_NS6detail17trampoline_kernelINS0_14default_configENS1_38merge_sort_block_merge_config_selectorIaNS0_10empty_typeEEEZZNS1_27merge_sort_block_merge_implIS3_PaPS5_jNS1_19radix_merge_compareILb1ELb1EaNS0_19identity_decomposerEEEEE10hipError_tT0_T1_T2_jT3_P12ihipStream_tbPNSt15iterator_traitsISE_E10value_typeEPNSK_ISF_E10value_typeEPSG_NS1_7vsmem_tEENKUlT_SE_SF_SG_E_clIS8_S8_S9_S9_EESD_ST_SE_SF_SG_EUlST_E0_NS1_11comp_targetILNS1_3genE4ELNS1_11target_archE910ELNS1_3gpuE8ELNS1_3repE0EEENS1_38merge_mergepath_config_static_selectorELNS0_4arch9wavefront6targetE0EEEvSF_.uses_flat_scratch, 0
	.set _ZN7rocprim17ROCPRIM_400000_NS6detail17trampoline_kernelINS0_14default_configENS1_38merge_sort_block_merge_config_selectorIaNS0_10empty_typeEEEZZNS1_27merge_sort_block_merge_implIS3_PaPS5_jNS1_19radix_merge_compareILb1ELb1EaNS0_19identity_decomposerEEEEE10hipError_tT0_T1_T2_jT3_P12ihipStream_tbPNSt15iterator_traitsISE_E10value_typeEPNSK_ISF_E10value_typeEPSG_NS1_7vsmem_tEENKUlT_SE_SF_SG_E_clIS8_S8_S9_S9_EESD_ST_SE_SF_SG_EUlST_E0_NS1_11comp_targetILNS1_3genE4ELNS1_11target_archE910ELNS1_3gpuE8ELNS1_3repE0EEENS1_38merge_mergepath_config_static_selectorELNS0_4arch9wavefront6targetE0EEEvSF_.has_dyn_sized_stack, 0
	.set _ZN7rocprim17ROCPRIM_400000_NS6detail17trampoline_kernelINS0_14default_configENS1_38merge_sort_block_merge_config_selectorIaNS0_10empty_typeEEEZZNS1_27merge_sort_block_merge_implIS3_PaPS5_jNS1_19radix_merge_compareILb1ELb1EaNS0_19identity_decomposerEEEEE10hipError_tT0_T1_T2_jT3_P12ihipStream_tbPNSt15iterator_traitsISE_E10value_typeEPNSK_ISF_E10value_typeEPSG_NS1_7vsmem_tEENKUlT_SE_SF_SG_E_clIS8_S8_S9_S9_EESD_ST_SE_SF_SG_EUlST_E0_NS1_11comp_targetILNS1_3genE4ELNS1_11target_archE910ELNS1_3gpuE8ELNS1_3repE0EEENS1_38merge_mergepath_config_static_selectorELNS0_4arch9wavefront6targetE0EEEvSF_.has_recursion, 0
	.set _ZN7rocprim17ROCPRIM_400000_NS6detail17trampoline_kernelINS0_14default_configENS1_38merge_sort_block_merge_config_selectorIaNS0_10empty_typeEEEZZNS1_27merge_sort_block_merge_implIS3_PaPS5_jNS1_19radix_merge_compareILb1ELb1EaNS0_19identity_decomposerEEEEE10hipError_tT0_T1_T2_jT3_P12ihipStream_tbPNSt15iterator_traitsISE_E10value_typeEPNSK_ISF_E10value_typeEPSG_NS1_7vsmem_tEENKUlT_SE_SF_SG_E_clIS8_S8_S9_S9_EESD_ST_SE_SF_SG_EUlST_E0_NS1_11comp_targetILNS1_3genE4ELNS1_11target_archE910ELNS1_3gpuE8ELNS1_3repE0EEENS1_38merge_mergepath_config_static_selectorELNS0_4arch9wavefront6targetE0EEEvSF_.has_indirect_call, 0
	.section	.AMDGPU.csdata,"",@progbits
; Kernel info:
; codeLenInByte = 0
; TotalNumSgprs: 0
; NumVgprs: 0
; ScratchSize: 0
; MemoryBound: 0
; FloatMode: 240
; IeeeMode: 1
; LDSByteSize: 0 bytes/workgroup (compile time only)
; SGPRBlocks: 0
; VGPRBlocks: 0
; NumSGPRsForWavesPerEU: 1
; NumVGPRsForWavesPerEU: 1
; NamedBarCnt: 0
; Occupancy: 16
; WaveLimiterHint : 0
; COMPUTE_PGM_RSRC2:SCRATCH_EN: 0
; COMPUTE_PGM_RSRC2:USER_SGPR: 2
; COMPUTE_PGM_RSRC2:TRAP_HANDLER: 0
; COMPUTE_PGM_RSRC2:TGID_X_EN: 1
; COMPUTE_PGM_RSRC2:TGID_Y_EN: 0
; COMPUTE_PGM_RSRC2:TGID_Z_EN: 0
; COMPUTE_PGM_RSRC2:TIDIG_COMP_CNT: 0
	.section	.text._ZN7rocprim17ROCPRIM_400000_NS6detail17trampoline_kernelINS0_14default_configENS1_38merge_sort_block_merge_config_selectorIaNS0_10empty_typeEEEZZNS1_27merge_sort_block_merge_implIS3_PaPS5_jNS1_19radix_merge_compareILb1ELb1EaNS0_19identity_decomposerEEEEE10hipError_tT0_T1_T2_jT3_P12ihipStream_tbPNSt15iterator_traitsISE_E10value_typeEPNSK_ISF_E10value_typeEPSG_NS1_7vsmem_tEENKUlT_SE_SF_SG_E_clIS8_S8_S9_S9_EESD_ST_SE_SF_SG_EUlST_E0_NS1_11comp_targetILNS1_3genE3ELNS1_11target_archE908ELNS1_3gpuE7ELNS1_3repE0EEENS1_38merge_mergepath_config_static_selectorELNS0_4arch9wavefront6targetE0EEEvSF_,"axG",@progbits,_ZN7rocprim17ROCPRIM_400000_NS6detail17trampoline_kernelINS0_14default_configENS1_38merge_sort_block_merge_config_selectorIaNS0_10empty_typeEEEZZNS1_27merge_sort_block_merge_implIS3_PaPS5_jNS1_19radix_merge_compareILb1ELb1EaNS0_19identity_decomposerEEEEE10hipError_tT0_T1_T2_jT3_P12ihipStream_tbPNSt15iterator_traitsISE_E10value_typeEPNSK_ISF_E10value_typeEPSG_NS1_7vsmem_tEENKUlT_SE_SF_SG_E_clIS8_S8_S9_S9_EESD_ST_SE_SF_SG_EUlST_E0_NS1_11comp_targetILNS1_3genE3ELNS1_11target_archE908ELNS1_3gpuE7ELNS1_3repE0EEENS1_38merge_mergepath_config_static_selectorELNS0_4arch9wavefront6targetE0EEEvSF_,comdat
	.protected	_ZN7rocprim17ROCPRIM_400000_NS6detail17trampoline_kernelINS0_14default_configENS1_38merge_sort_block_merge_config_selectorIaNS0_10empty_typeEEEZZNS1_27merge_sort_block_merge_implIS3_PaPS5_jNS1_19radix_merge_compareILb1ELb1EaNS0_19identity_decomposerEEEEE10hipError_tT0_T1_T2_jT3_P12ihipStream_tbPNSt15iterator_traitsISE_E10value_typeEPNSK_ISF_E10value_typeEPSG_NS1_7vsmem_tEENKUlT_SE_SF_SG_E_clIS8_S8_S9_S9_EESD_ST_SE_SF_SG_EUlST_E0_NS1_11comp_targetILNS1_3genE3ELNS1_11target_archE908ELNS1_3gpuE7ELNS1_3repE0EEENS1_38merge_mergepath_config_static_selectorELNS0_4arch9wavefront6targetE0EEEvSF_ ; -- Begin function _ZN7rocprim17ROCPRIM_400000_NS6detail17trampoline_kernelINS0_14default_configENS1_38merge_sort_block_merge_config_selectorIaNS0_10empty_typeEEEZZNS1_27merge_sort_block_merge_implIS3_PaPS5_jNS1_19radix_merge_compareILb1ELb1EaNS0_19identity_decomposerEEEEE10hipError_tT0_T1_T2_jT3_P12ihipStream_tbPNSt15iterator_traitsISE_E10value_typeEPNSK_ISF_E10value_typeEPSG_NS1_7vsmem_tEENKUlT_SE_SF_SG_E_clIS8_S8_S9_S9_EESD_ST_SE_SF_SG_EUlST_E0_NS1_11comp_targetILNS1_3genE3ELNS1_11target_archE908ELNS1_3gpuE7ELNS1_3repE0EEENS1_38merge_mergepath_config_static_selectorELNS0_4arch9wavefront6targetE0EEEvSF_
	.globl	_ZN7rocprim17ROCPRIM_400000_NS6detail17trampoline_kernelINS0_14default_configENS1_38merge_sort_block_merge_config_selectorIaNS0_10empty_typeEEEZZNS1_27merge_sort_block_merge_implIS3_PaPS5_jNS1_19radix_merge_compareILb1ELb1EaNS0_19identity_decomposerEEEEE10hipError_tT0_T1_T2_jT3_P12ihipStream_tbPNSt15iterator_traitsISE_E10value_typeEPNSK_ISF_E10value_typeEPSG_NS1_7vsmem_tEENKUlT_SE_SF_SG_E_clIS8_S8_S9_S9_EESD_ST_SE_SF_SG_EUlST_E0_NS1_11comp_targetILNS1_3genE3ELNS1_11target_archE908ELNS1_3gpuE7ELNS1_3repE0EEENS1_38merge_mergepath_config_static_selectorELNS0_4arch9wavefront6targetE0EEEvSF_
	.p2align	8
	.type	_ZN7rocprim17ROCPRIM_400000_NS6detail17trampoline_kernelINS0_14default_configENS1_38merge_sort_block_merge_config_selectorIaNS0_10empty_typeEEEZZNS1_27merge_sort_block_merge_implIS3_PaPS5_jNS1_19radix_merge_compareILb1ELb1EaNS0_19identity_decomposerEEEEE10hipError_tT0_T1_T2_jT3_P12ihipStream_tbPNSt15iterator_traitsISE_E10value_typeEPNSK_ISF_E10value_typeEPSG_NS1_7vsmem_tEENKUlT_SE_SF_SG_E_clIS8_S8_S9_S9_EESD_ST_SE_SF_SG_EUlST_E0_NS1_11comp_targetILNS1_3genE3ELNS1_11target_archE908ELNS1_3gpuE7ELNS1_3repE0EEENS1_38merge_mergepath_config_static_selectorELNS0_4arch9wavefront6targetE0EEEvSF_,@function
_ZN7rocprim17ROCPRIM_400000_NS6detail17trampoline_kernelINS0_14default_configENS1_38merge_sort_block_merge_config_selectorIaNS0_10empty_typeEEEZZNS1_27merge_sort_block_merge_implIS3_PaPS5_jNS1_19radix_merge_compareILb1ELb1EaNS0_19identity_decomposerEEEEE10hipError_tT0_T1_T2_jT3_P12ihipStream_tbPNSt15iterator_traitsISE_E10value_typeEPNSK_ISF_E10value_typeEPSG_NS1_7vsmem_tEENKUlT_SE_SF_SG_E_clIS8_S8_S9_S9_EESD_ST_SE_SF_SG_EUlST_E0_NS1_11comp_targetILNS1_3genE3ELNS1_11target_archE908ELNS1_3gpuE7ELNS1_3repE0EEENS1_38merge_mergepath_config_static_selectorELNS0_4arch9wavefront6targetE0EEEvSF_: ; @_ZN7rocprim17ROCPRIM_400000_NS6detail17trampoline_kernelINS0_14default_configENS1_38merge_sort_block_merge_config_selectorIaNS0_10empty_typeEEEZZNS1_27merge_sort_block_merge_implIS3_PaPS5_jNS1_19radix_merge_compareILb1ELb1EaNS0_19identity_decomposerEEEEE10hipError_tT0_T1_T2_jT3_P12ihipStream_tbPNSt15iterator_traitsISE_E10value_typeEPNSK_ISF_E10value_typeEPSG_NS1_7vsmem_tEENKUlT_SE_SF_SG_E_clIS8_S8_S9_S9_EESD_ST_SE_SF_SG_EUlST_E0_NS1_11comp_targetILNS1_3genE3ELNS1_11target_archE908ELNS1_3gpuE7ELNS1_3repE0EEENS1_38merge_mergepath_config_static_selectorELNS0_4arch9wavefront6targetE0EEEvSF_
; %bb.0:
	.section	.rodata,"a",@progbits
	.p2align	6, 0x0
	.amdhsa_kernel _ZN7rocprim17ROCPRIM_400000_NS6detail17trampoline_kernelINS0_14default_configENS1_38merge_sort_block_merge_config_selectorIaNS0_10empty_typeEEEZZNS1_27merge_sort_block_merge_implIS3_PaPS5_jNS1_19radix_merge_compareILb1ELb1EaNS0_19identity_decomposerEEEEE10hipError_tT0_T1_T2_jT3_P12ihipStream_tbPNSt15iterator_traitsISE_E10value_typeEPNSK_ISF_E10value_typeEPSG_NS1_7vsmem_tEENKUlT_SE_SF_SG_E_clIS8_S8_S9_S9_EESD_ST_SE_SF_SG_EUlST_E0_NS1_11comp_targetILNS1_3genE3ELNS1_11target_archE908ELNS1_3gpuE7ELNS1_3repE0EEENS1_38merge_mergepath_config_static_selectorELNS0_4arch9wavefront6targetE0EEEvSF_
		.amdhsa_group_segment_fixed_size 0
		.amdhsa_private_segment_fixed_size 0
		.amdhsa_kernarg_size 64
		.amdhsa_user_sgpr_count 2
		.amdhsa_user_sgpr_dispatch_ptr 0
		.amdhsa_user_sgpr_queue_ptr 0
		.amdhsa_user_sgpr_kernarg_segment_ptr 1
		.amdhsa_user_sgpr_dispatch_id 0
		.amdhsa_user_sgpr_kernarg_preload_length 0
		.amdhsa_user_sgpr_kernarg_preload_offset 0
		.amdhsa_user_sgpr_private_segment_size 0
		.amdhsa_wavefront_size32 1
		.amdhsa_uses_dynamic_stack 0
		.amdhsa_enable_private_segment 0
		.amdhsa_system_sgpr_workgroup_id_x 1
		.amdhsa_system_sgpr_workgroup_id_y 0
		.amdhsa_system_sgpr_workgroup_id_z 0
		.amdhsa_system_sgpr_workgroup_info 0
		.amdhsa_system_vgpr_workitem_id 0
		.amdhsa_next_free_vgpr 1
		.amdhsa_next_free_sgpr 1
		.amdhsa_named_barrier_count 0
		.amdhsa_reserve_vcc 0
		.amdhsa_float_round_mode_32 0
		.amdhsa_float_round_mode_16_64 0
		.amdhsa_float_denorm_mode_32 3
		.amdhsa_float_denorm_mode_16_64 3
		.amdhsa_fp16_overflow 0
		.amdhsa_memory_ordered 1
		.amdhsa_forward_progress 1
		.amdhsa_inst_pref_size 0
		.amdhsa_round_robin_scheduling 0
		.amdhsa_exception_fp_ieee_invalid_op 0
		.amdhsa_exception_fp_denorm_src 0
		.amdhsa_exception_fp_ieee_div_zero 0
		.amdhsa_exception_fp_ieee_overflow 0
		.amdhsa_exception_fp_ieee_underflow 0
		.amdhsa_exception_fp_ieee_inexact 0
		.amdhsa_exception_int_div_zero 0
	.end_amdhsa_kernel
	.section	.text._ZN7rocprim17ROCPRIM_400000_NS6detail17trampoline_kernelINS0_14default_configENS1_38merge_sort_block_merge_config_selectorIaNS0_10empty_typeEEEZZNS1_27merge_sort_block_merge_implIS3_PaPS5_jNS1_19radix_merge_compareILb1ELb1EaNS0_19identity_decomposerEEEEE10hipError_tT0_T1_T2_jT3_P12ihipStream_tbPNSt15iterator_traitsISE_E10value_typeEPNSK_ISF_E10value_typeEPSG_NS1_7vsmem_tEENKUlT_SE_SF_SG_E_clIS8_S8_S9_S9_EESD_ST_SE_SF_SG_EUlST_E0_NS1_11comp_targetILNS1_3genE3ELNS1_11target_archE908ELNS1_3gpuE7ELNS1_3repE0EEENS1_38merge_mergepath_config_static_selectorELNS0_4arch9wavefront6targetE0EEEvSF_,"axG",@progbits,_ZN7rocprim17ROCPRIM_400000_NS6detail17trampoline_kernelINS0_14default_configENS1_38merge_sort_block_merge_config_selectorIaNS0_10empty_typeEEEZZNS1_27merge_sort_block_merge_implIS3_PaPS5_jNS1_19radix_merge_compareILb1ELb1EaNS0_19identity_decomposerEEEEE10hipError_tT0_T1_T2_jT3_P12ihipStream_tbPNSt15iterator_traitsISE_E10value_typeEPNSK_ISF_E10value_typeEPSG_NS1_7vsmem_tEENKUlT_SE_SF_SG_E_clIS8_S8_S9_S9_EESD_ST_SE_SF_SG_EUlST_E0_NS1_11comp_targetILNS1_3genE3ELNS1_11target_archE908ELNS1_3gpuE7ELNS1_3repE0EEENS1_38merge_mergepath_config_static_selectorELNS0_4arch9wavefront6targetE0EEEvSF_,comdat
.Lfunc_end317:
	.size	_ZN7rocprim17ROCPRIM_400000_NS6detail17trampoline_kernelINS0_14default_configENS1_38merge_sort_block_merge_config_selectorIaNS0_10empty_typeEEEZZNS1_27merge_sort_block_merge_implIS3_PaPS5_jNS1_19radix_merge_compareILb1ELb1EaNS0_19identity_decomposerEEEEE10hipError_tT0_T1_T2_jT3_P12ihipStream_tbPNSt15iterator_traitsISE_E10value_typeEPNSK_ISF_E10value_typeEPSG_NS1_7vsmem_tEENKUlT_SE_SF_SG_E_clIS8_S8_S9_S9_EESD_ST_SE_SF_SG_EUlST_E0_NS1_11comp_targetILNS1_3genE3ELNS1_11target_archE908ELNS1_3gpuE7ELNS1_3repE0EEENS1_38merge_mergepath_config_static_selectorELNS0_4arch9wavefront6targetE0EEEvSF_, .Lfunc_end317-_ZN7rocprim17ROCPRIM_400000_NS6detail17trampoline_kernelINS0_14default_configENS1_38merge_sort_block_merge_config_selectorIaNS0_10empty_typeEEEZZNS1_27merge_sort_block_merge_implIS3_PaPS5_jNS1_19radix_merge_compareILb1ELb1EaNS0_19identity_decomposerEEEEE10hipError_tT0_T1_T2_jT3_P12ihipStream_tbPNSt15iterator_traitsISE_E10value_typeEPNSK_ISF_E10value_typeEPSG_NS1_7vsmem_tEENKUlT_SE_SF_SG_E_clIS8_S8_S9_S9_EESD_ST_SE_SF_SG_EUlST_E0_NS1_11comp_targetILNS1_3genE3ELNS1_11target_archE908ELNS1_3gpuE7ELNS1_3repE0EEENS1_38merge_mergepath_config_static_selectorELNS0_4arch9wavefront6targetE0EEEvSF_
                                        ; -- End function
	.set _ZN7rocprim17ROCPRIM_400000_NS6detail17trampoline_kernelINS0_14default_configENS1_38merge_sort_block_merge_config_selectorIaNS0_10empty_typeEEEZZNS1_27merge_sort_block_merge_implIS3_PaPS5_jNS1_19radix_merge_compareILb1ELb1EaNS0_19identity_decomposerEEEEE10hipError_tT0_T1_T2_jT3_P12ihipStream_tbPNSt15iterator_traitsISE_E10value_typeEPNSK_ISF_E10value_typeEPSG_NS1_7vsmem_tEENKUlT_SE_SF_SG_E_clIS8_S8_S9_S9_EESD_ST_SE_SF_SG_EUlST_E0_NS1_11comp_targetILNS1_3genE3ELNS1_11target_archE908ELNS1_3gpuE7ELNS1_3repE0EEENS1_38merge_mergepath_config_static_selectorELNS0_4arch9wavefront6targetE0EEEvSF_.num_vgpr, 0
	.set _ZN7rocprim17ROCPRIM_400000_NS6detail17trampoline_kernelINS0_14default_configENS1_38merge_sort_block_merge_config_selectorIaNS0_10empty_typeEEEZZNS1_27merge_sort_block_merge_implIS3_PaPS5_jNS1_19radix_merge_compareILb1ELb1EaNS0_19identity_decomposerEEEEE10hipError_tT0_T1_T2_jT3_P12ihipStream_tbPNSt15iterator_traitsISE_E10value_typeEPNSK_ISF_E10value_typeEPSG_NS1_7vsmem_tEENKUlT_SE_SF_SG_E_clIS8_S8_S9_S9_EESD_ST_SE_SF_SG_EUlST_E0_NS1_11comp_targetILNS1_3genE3ELNS1_11target_archE908ELNS1_3gpuE7ELNS1_3repE0EEENS1_38merge_mergepath_config_static_selectorELNS0_4arch9wavefront6targetE0EEEvSF_.num_agpr, 0
	.set _ZN7rocprim17ROCPRIM_400000_NS6detail17trampoline_kernelINS0_14default_configENS1_38merge_sort_block_merge_config_selectorIaNS0_10empty_typeEEEZZNS1_27merge_sort_block_merge_implIS3_PaPS5_jNS1_19radix_merge_compareILb1ELb1EaNS0_19identity_decomposerEEEEE10hipError_tT0_T1_T2_jT3_P12ihipStream_tbPNSt15iterator_traitsISE_E10value_typeEPNSK_ISF_E10value_typeEPSG_NS1_7vsmem_tEENKUlT_SE_SF_SG_E_clIS8_S8_S9_S9_EESD_ST_SE_SF_SG_EUlST_E0_NS1_11comp_targetILNS1_3genE3ELNS1_11target_archE908ELNS1_3gpuE7ELNS1_3repE0EEENS1_38merge_mergepath_config_static_selectorELNS0_4arch9wavefront6targetE0EEEvSF_.numbered_sgpr, 0
	.set _ZN7rocprim17ROCPRIM_400000_NS6detail17trampoline_kernelINS0_14default_configENS1_38merge_sort_block_merge_config_selectorIaNS0_10empty_typeEEEZZNS1_27merge_sort_block_merge_implIS3_PaPS5_jNS1_19radix_merge_compareILb1ELb1EaNS0_19identity_decomposerEEEEE10hipError_tT0_T1_T2_jT3_P12ihipStream_tbPNSt15iterator_traitsISE_E10value_typeEPNSK_ISF_E10value_typeEPSG_NS1_7vsmem_tEENKUlT_SE_SF_SG_E_clIS8_S8_S9_S9_EESD_ST_SE_SF_SG_EUlST_E0_NS1_11comp_targetILNS1_3genE3ELNS1_11target_archE908ELNS1_3gpuE7ELNS1_3repE0EEENS1_38merge_mergepath_config_static_selectorELNS0_4arch9wavefront6targetE0EEEvSF_.num_named_barrier, 0
	.set _ZN7rocprim17ROCPRIM_400000_NS6detail17trampoline_kernelINS0_14default_configENS1_38merge_sort_block_merge_config_selectorIaNS0_10empty_typeEEEZZNS1_27merge_sort_block_merge_implIS3_PaPS5_jNS1_19radix_merge_compareILb1ELb1EaNS0_19identity_decomposerEEEEE10hipError_tT0_T1_T2_jT3_P12ihipStream_tbPNSt15iterator_traitsISE_E10value_typeEPNSK_ISF_E10value_typeEPSG_NS1_7vsmem_tEENKUlT_SE_SF_SG_E_clIS8_S8_S9_S9_EESD_ST_SE_SF_SG_EUlST_E0_NS1_11comp_targetILNS1_3genE3ELNS1_11target_archE908ELNS1_3gpuE7ELNS1_3repE0EEENS1_38merge_mergepath_config_static_selectorELNS0_4arch9wavefront6targetE0EEEvSF_.private_seg_size, 0
	.set _ZN7rocprim17ROCPRIM_400000_NS6detail17trampoline_kernelINS0_14default_configENS1_38merge_sort_block_merge_config_selectorIaNS0_10empty_typeEEEZZNS1_27merge_sort_block_merge_implIS3_PaPS5_jNS1_19radix_merge_compareILb1ELb1EaNS0_19identity_decomposerEEEEE10hipError_tT0_T1_T2_jT3_P12ihipStream_tbPNSt15iterator_traitsISE_E10value_typeEPNSK_ISF_E10value_typeEPSG_NS1_7vsmem_tEENKUlT_SE_SF_SG_E_clIS8_S8_S9_S9_EESD_ST_SE_SF_SG_EUlST_E0_NS1_11comp_targetILNS1_3genE3ELNS1_11target_archE908ELNS1_3gpuE7ELNS1_3repE0EEENS1_38merge_mergepath_config_static_selectorELNS0_4arch9wavefront6targetE0EEEvSF_.uses_vcc, 0
	.set _ZN7rocprim17ROCPRIM_400000_NS6detail17trampoline_kernelINS0_14default_configENS1_38merge_sort_block_merge_config_selectorIaNS0_10empty_typeEEEZZNS1_27merge_sort_block_merge_implIS3_PaPS5_jNS1_19radix_merge_compareILb1ELb1EaNS0_19identity_decomposerEEEEE10hipError_tT0_T1_T2_jT3_P12ihipStream_tbPNSt15iterator_traitsISE_E10value_typeEPNSK_ISF_E10value_typeEPSG_NS1_7vsmem_tEENKUlT_SE_SF_SG_E_clIS8_S8_S9_S9_EESD_ST_SE_SF_SG_EUlST_E0_NS1_11comp_targetILNS1_3genE3ELNS1_11target_archE908ELNS1_3gpuE7ELNS1_3repE0EEENS1_38merge_mergepath_config_static_selectorELNS0_4arch9wavefront6targetE0EEEvSF_.uses_flat_scratch, 0
	.set _ZN7rocprim17ROCPRIM_400000_NS6detail17trampoline_kernelINS0_14default_configENS1_38merge_sort_block_merge_config_selectorIaNS0_10empty_typeEEEZZNS1_27merge_sort_block_merge_implIS3_PaPS5_jNS1_19radix_merge_compareILb1ELb1EaNS0_19identity_decomposerEEEEE10hipError_tT0_T1_T2_jT3_P12ihipStream_tbPNSt15iterator_traitsISE_E10value_typeEPNSK_ISF_E10value_typeEPSG_NS1_7vsmem_tEENKUlT_SE_SF_SG_E_clIS8_S8_S9_S9_EESD_ST_SE_SF_SG_EUlST_E0_NS1_11comp_targetILNS1_3genE3ELNS1_11target_archE908ELNS1_3gpuE7ELNS1_3repE0EEENS1_38merge_mergepath_config_static_selectorELNS0_4arch9wavefront6targetE0EEEvSF_.has_dyn_sized_stack, 0
	.set _ZN7rocprim17ROCPRIM_400000_NS6detail17trampoline_kernelINS0_14default_configENS1_38merge_sort_block_merge_config_selectorIaNS0_10empty_typeEEEZZNS1_27merge_sort_block_merge_implIS3_PaPS5_jNS1_19radix_merge_compareILb1ELb1EaNS0_19identity_decomposerEEEEE10hipError_tT0_T1_T2_jT3_P12ihipStream_tbPNSt15iterator_traitsISE_E10value_typeEPNSK_ISF_E10value_typeEPSG_NS1_7vsmem_tEENKUlT_SE_SF_SG_E_clIS8_S8_S9_S9_EESD_ST_SE_SF_SG_EUlST_E0_NS1_11comp_targetILNS1_3genE3ELNS1_11target_archE908ELNS1_3gpuE7ELNS1_3repE0EEENS1_38merge_mergepath_config_static_selectorELNS0_4arch9wavefront6targetE0EEEvSF_.has_recursion, 0
	.set _ZN7rocprim17ROCPRIM_400000_NS6detail17trampoline_kernelINS0_14default_configENS1_38merge_sort_block_merge_config_selectorIaNS0_10empty_typeEEEZZNS1_27merge_sort_block_merge_implIS3_PaPS5_jNS1_19radix_merge_compareILb1ELb1EaNS0_19identity_decomposerEEEEE10hipError_tT0_T1_T2_jT3_P12ihipStream_tbPNSt15iterator_traitsISE_E10value_typeEPNSK_ISF_E10value_typeEPSG_NS1_7vsmem_tEENKUlT_SE_SF_SG_E_clIS8_S8_S9_S9_EESD_ST_SE_SF_SG_EUlST_E0_NS1_11comp_targetILNS1_3genE3ELNS1_11target_archE908ELNS1_3gpuE7ELNS1_3repE0EEENS1_38merge_mergepath_config_static_selectorELNS0_4arch9wavefront6targetE0EEEvSF_.has_indirect_call, 0
	.section	.AMDGPU.csdata,"",@progbits
; Kernel info:
; codeLenInByte = 0
; TotalNumSgprs: 0
; NumVgprs: 0
; ScratchSize: 0
; MemoryBound: 0
; FloatMode: 240
; IeeeMode: 1
; LDSByteSize: 0 bytes/workgroup (compile time only)
; SGPRBlocks: 0
; VGPRBlocks: 0
; NumSGPRsForWavesPerEU: 1
; NumVGPRsForWavesPerEU: 1
; NamedBarCnt: 0
; Occupancy: 16
; WaveLimiterHint : 0
; COMPUTE_PGM_RSRC2:SCRATCH_EN: 0
; COMPUTE_PGM_RSRC2:USER_SGPR: 2
; COMPUTE_PGM_RSRC2:TRAP_HANDLER: 0
; COMPUTE_PGM_RSRC2:TGID_X_EN: 1
; COMPUTE_PGM_RSRC2:TGID_Y_EN: 0
; COMPUTE_PGM_RSRC2:TGID_Z_EN: 0
; COMPUTE_PGM_RSRC2:TIDIG_COMP_CNT: 0
	.section	.text._ZN7rocprim17ROCPRIM_400000_NS6detail17trampoline_kernelINS0_14default_configENS1_38merge_sort_block_merge_config_selectorIaNS0_10empty_typeEEEZZNS1_27merge_sort_block_merge_implIS3_PaPS5_jNS1_19radix_merge_compareILb1ELb1EaNS0_19identity_decomposerEEEEE10hipError_tT0_T1_T2_jT3_P12ihipStream_tbPNSt15iterator_traitsISE_E10value_typeEPNSK_ISF_E10value_typeEPSG_NS1_7vsmem_tEENKUlT_SE_SF_SG_E_clIS8_S8_S9_S9_EESD_ST_SE_SF_SG_EUlST_E0_NS1_11comp_targetILNS1_3genE2ELNS1_11target_archE906ELNS1_3gpuE6ELNS1_3repE0EEENS1_38merge_mergepath_config_static_selectorELNS0_4arch9wavefront6targetE0EEEvSF_,"axG",@progbits,_ZN7rocprim17ROCPRIM_400000_NS6detail17trampoline_kernelINS0_14default_configENS1_38merge_sort_block_merge_config_selectorIaNS0_10empty_typeEEEZZNS1_27merge_sort_block_merge_implIS3_PaPS5_jNS1_19radix_merge_compareILb1ELb1EaNS0_19identity_decomposerEEEEE10hipError_tT0_T1_T2_jT3_P12ihipStream_tbPNSt15iterator_traitsISE_E10value_typeEPNSK_ISF_E10value_typeEPSG_NS1_7vsmem_tEENKUlT_SE_SF_SG_E_clIS8_S8_S9_S9_EESD_ST_SE_SF_SG_EUlST_E0_NS1_11comp_targetILNS1_3genE2ELNS1_11target_archE906ELNS1_3gpuE6ELNS1_3repE0EEENS1_38merge_mergepath_config_static_selectorELNS0_4arch9wavefront6targetE0EEEvSF_,comdat
	.protected	_ZN7rocprim17ROCPRIM_400000_NS6detail17trampoline_kernelINS0_14default_configENS1_38merge_sort_block_merge_config_selectorIaNS0_10empty_typeEEEZZNS1_27merge_sort_block_merge_implIS3_PaPS5_jNS1_19radix_merge_compareILb1ELb1EaNS0_19identity_decomposerEEEEE10hipError_tT0_T1_T2_jT3_P12ihipStream_tbPNSt15iterator_traitsISE_E10value_typeEPNSK_ISF_E10value_typeEPSG_NS1_7vsmem_tEENKUlT_SE_SF_SG_E_clIS8_S8_S9_S9_EESD_ST_SE_SF_SG_EUlST_E0_NS1_11comp_targetILNS1_3genE2ELNS1_11target_archE906ELNS1_3gpuE6ELNS1_3repE0EEENS1_38merge_mergepath_config_static_selectorELNS0_4arch9wavefront6targetE0EEEvSF_ ; -- Begin function _ZN7rocprim17ROCPRIM_400000_NS6detail17trampoline_kernelINS0_14default_configENS1_38merge_sort_block_merge_config_selectorIaNS0_10empty_typeEEEZZNS1_27merge_sort_block_merge_implIS3_PaPS5_jNS1_19radix_merge_compareILb1ELb1EaNS0_19identity_decomposerEEEEE10hipError_tT0_T1_T2_jT3_P12ihipStream_tbPNSt15iterator_traitsISE_E10value_typeEPNSK_ISF_E10value_typeEPSG_NS1_7vsmem_tEENKUlT_SE_SF_SG_E_clIS8_S8_S9_S9_EESD_ST_SE_SF_SG_EUlST_E0_NS1_11comp_targetILNS1_3genE2ELNS1_11target_archE906ELNS1_3gpuE6ELNS1_3repE0EEENS1_38merge_mergepath_config_static_selectorELNS0_4arch9wavefront6targetE0EEEvSF_
	.globl	_ZN7rocprim17ROCPRIM_400000_NS6detail17trampoline_kernelINS0_14default_configENS1_38merge_sort_block_merge_config_selectorIaNS0_10empty_typeEEEZZNS1_27merge_sort_block_merge_implIS3_PaPS5_jNS1_19radix_merge_compareILb1ELb1EaNS0_19identity_decomposerEEEEE10hipError_tT0_T1_T2_jT3_P12ihipStream_tbPNSt15iterator_traitsISE_E10value_typeEPNSK_ISF_E10value_typeEPSG_NS1_7vsmem_tEENKUlT_SE_SF_SG_E_clIS8_S8_S9_S9_EESD_ST_SE_SF_SG_EUlST_E0_NS1_11comp_targetILNS1_3genE2ELNS1_11target_archE906ELNS1_3gpuE6ELNS1_3repE0EEENS1_38merge_mergepath_config_static_selectorELNS0_4arch9wavefront6targetE0EEEvSF_
	.p2align	8
	.type	_ZN7rocprim17ROCPRIM_400000_NS6detail17trampoline_kernelINS0_14default_configENS1_38merge_sort_block_merge_config_selectorIaNS0_10empty_typeEEEZZNS1_27merge_sort_block_merge_implIS3_PaPS5_jNS1_19radix_merge_compareILb1ELb1EaNS0_19identity_decomposerEEEEE10hipError_tT0_T1_T2_jT3_P12ihipStream_tbPNSt15iterator_traitsISE_E10value_typeEPNSK_ISF_E10value_typeEPSG_NS1_7vsmem_tEENKUlT_SE_SF_SG_E_clIS8_S8_S9_S9_EESD_ST_SE_SF_SG_EUlST_E0_NS1_11comp_targetILNS1_3genE2ELNS1_11target_archE906ELNS1_3gpuE6ELNS1_3repE0EEENS1_38merge_mergepath_config_static_selectorELNS0_4arch9wavefront6targetE0EEEvSF_,@function
_ZN7rocprim17ROCPRIM_400000_NS6detail17trampoline_kernelINS0_14default_configENS1_38merge_sort_block_merge_config_selectorIaNS0_10empty_typeEEEZZNS1_27merge_sort_block_merge_implIS3_PaPS5_jNS1_19radix_merge_compareILb1ELb1EaNS0_19identity_decomposerEEEEE10hipError_tT0_T1_T2_jT3_P12ihipStream_tbPNSt15iterator_traitsISE_E10value_typeEPNSK_ISF_E10value_typeEPSG_NS1_7vsmem_tEENKUlT_SE_SF_SG_E_clIS8_S8_S9_S9_EESD_ST_SE_SF_SG_EUlST_E0_NS1_11comp_targetILNS1_3genE2ELNS1_11target_archE906ELNS1_3gpuE6ELNS1_3repE0EEENS1_38merge_mergepath_config_static_selectorELNS0_4arch9wavefront6targetE0EEEvSF_: ; @_ZN7rocprim17ROCPRIM_400000_NS6detail17trampoline_kernelINS0_14default_configENS1_38merge_sort_block_merge_config_selectorIaNS0_10empty_typeEEEZZNS1_27merge_sort_block_merge_implIS3_PaPS5_jNS1_19radix_merge_compareILb1ELb1EaNS0_19identity_decomposerEEEEE10hipError_tT0_T1_T2_jT3_P12ihipStream_tbPNSt15iterator_traitsISE_E10value_typeEPNSK_ISF_E10value_typeEPSG_NS1_7vsmem_tEENKUlT_SE_SF_SG_E_clIS8_S8_S9_S9_EESD_ST_SE_SF_SG_EUlST_E0_NS1_11comp_targetILNS1_3genE2ELNS1_11target_archE906ELNS1_3gpuE6ELNS1_3repE0EEENS1_38merge_mergepath_config_static_selectorELNS0_4arch9wavefront6targetE0EEEvSF_
; %bb.0:
	.section	.rodata,"a",@progbits
	.p2align	6, 0x0
	.amdhsa_kernel _ZN7rocprim17ROCPRIM_400000_NS6detail17trampoline_kernelINS0_14default_configENS1_38merge_sort_block_merge_config_selectorIaNS0_10empty_typeEEEZZNS1_27merge_sort_block_merge_implIS3_PaPS5_jNS1_19radix_merge_compareILb1ELb1EaNS0_19identity_decomposerEEEEE10hipError_tT0_T1_T2_jT3_P12ihipStream_tbPNSt15iterator_traitsISE_E10value_typeEPNSK_ISF_E10value_typeEPSG_NS1_7vsmem_tEENKUlT_SE_SF_SG_E_clIS8_S8_S9_S9_EESD_ST_SE_SF_SG_EUlST_E0_NS1_11comp_targetILNS1_3genE2ELNS1_11target_archE906ELNS1_3gpuE6ELNS1_3repE0EEENS1_38merge_mergepath_config_static_selectorELNS0_4arch9wavefront6targetE0EEEvSF_
		.amdhsa_group_segment_fixed_size 0
		.amdhsa_private_segment_fixed_size 0
		.amdhsa_kernarg_size 64
		.amdhsa_user_sgpr_count 2
		.amdhsa_user_sgpr_dispatch_ptr 0
		.amdhsa_user_sgpr_queue_ptr 0
		.amdhsa_user_sgpr_kernarg_segment_ptr 1
		.amdhsa_user_sgpr_dispatch_id 0
		.amdhsa_user_sgpr_kernarg_preload_length 0
		.amdhsa_user_sgpr_kernarg_preload_offset 0
		.amdhsa_user_sgpr_private_segment_size 0
		.amdhsa_wavefront_size32 1
		.amdhsa_uses_dynamic_stack 0
		.amdhsa_enable_private_segment 0
		.amdhsa_system_sgpr_workgroup_id_x 1
		.amdhsa_system_sgpr_workgroup_id_y 0
		.amdhsa_system_sgpr_workgroup_id_z 0
		.amdhsa_system_sgpr_workgroup_info 0
		.amdhsa_system_vgpr_workitem_id 0
		.amdhsa_next_free_vgpr 1
		.amdhsa_next_free_sgpr 1
		.amdhsa_named_barrier_count 0
		.amdhsa_reserve_vcc 0
		.amdhsa_float_round_mode_32 0
		.amdhsa_float_round_mode_16_64 0
		.amdhsa_float_denorm_mode_32 3
		.amdhsa_float_denorm_mode_16_64 3
		.amdhsa_fp16_overflow 0
		.amdhsa_memory_ordered 1
		.amdhsa_forward_progress 1
		.amdhsa_inst_pref_size 0
		.amdhsa_round_robin_scheduling 0
		.amdhsa_exception_fp_ieee_invalid_op 0
		.amdhsa_exception_fp_denorm_src 0
		.amdhsa_exception_fp_ieee_div_zero 0
		.amdhsa_exception_fp_ieee_overflow 0
		.amdhsa_exception_fp_ieee_underflow 0
		.amdhsa_exception_fp_ieee_inexact 0
		.amdhsa_exception_int_div_zero 0
	.end_amdhsa_kernel
	.section	.text._ZN7rocprim17ROCPRIM_400000_NS6detail17trampoline_kernelINS0_14default_configENS1_38merge_sort_block_merge_config_selectorIaNS0_10empty_typeEEEZZNS1_27merge_sort_block_merge_implIS3_PaPS5_jNS1_19radix_merge_compareILb1ELb1EaNS0_19identity_decomposerEEEEE10hipError_tT0_T1_T2_jT3_P12ihipStream_tbPNSt15iterator_traitsISE_E10value_typeEPNSK_ISF_E10value_typeEPSG_NS1_7vsmem_tEENKUlT_SE_SF_SG_E_clIS8_S8_S9_S9_EESD_ST_SE_SF_SG_EUlST_E0_NS1_11comp_targetILNS1_3genE2ELNS1_11target_archE906ELNS1_3gpuE6ELNS1_3repE0EEENS1_38merge_mergepath_config_static_selectorELNS0_4arch9wavefront6targetE0EEEvSF_,"axG",@progbits,_ZN7rocprim17ROCPRIM_400000_NS6detail17trampoline_kernelINS0_14default_configENS1_38merge_sort_block_merge_config_selectorIaNS0_10empty_typeEEEZZNS1_27merge_sort_block_merge_implIS3_PaPS5_jNS1_19radix_merge_compareILb1ELb1EaNS0_19identity_decomposerEEEEE10hipError_tT0_T1_T2_jT3_P12ihipStream_tbPNSt15iterator_traitsISE_E10value_typeEPNSK_ISF_E10value_typeEPSG_NS1_7vsmem_tEENKUlT_SE_SF_SG_E_clIS8_S8_S9_S9_EESD_ST_SE_SF_SG_EUlST_E0_NS1_11comp_targetILNS1_3genE2ELNS1_11target_archE906ELNS1_3gpuE6ELNS1_3repE0EEENS1_38merge_mergepath_config_static_selectorELNS0_4arch9wavefront6targetE0EEEvSF_,comdat
.Lfunc_end318:
	.size	_ZN7rocprim17ROCPRIM_400000_NS6detail17trampoline_kernelINS0_14default_configENS1_38merge_sort_block_merge_config_selectorIaNS0_10empty_typeEEEZZNS1_27merge_sort_block_merge_implIS3_PaPS5_jNS1_19radix_merge_compareILb1ELb1EaNS0_19identity_decomposerEEEEE10hipError_tT0_T1_T2_jT3_P12ihipStream_tbPNSt15iterator_traitsISE_E10value_typeEPNSK_ISF_E10value_typeEPSG_NS1_7vsmem_tEENKUlT_SE_SF_SG_E_clIS8_S8_S9_S9_EESD_ST_SE_SF_SG_EUlST_E0_NS1_11comp_targetILNS1_3genE2ELNS1_11target_archE906ELNS1_3gpuE6ELNS1_3repE0EEENS1_38merge_mergepath_config_static_selectorELNS0_4arch9wavefront6targetE0EEEvSF_, .Lfunc_end318-_ZN7rocprim17ROCPRIM_400000_NS6detail17trampoline_kernelINS0_14default_configENS1_38merge_sort_block_merge_config_selectorIaNS0_10empty_typeEEEZZNS1_27merge_sort_block_merge_implIS3_PaPS5_jNS1_19radix_merge_compareILb1ELb1EaNS0_19identity_decomposerEEEEE10hipError_tT0_T1_T2_jT3_P12ihipStream_tbPNSt15iterator_traitsISE_E10value_typeEPNSK_ISF_E10value_typeEPSG_NS1_7vsmem_tEENKUlT_SE_SF_SG_E_clIS8_S8_S9_S9_EESD_ST_SE_SF_SG_EUlST_E0_NS1_11comp_targetILNS1_3genE2ELNS1_11target_archE906ELNS1_3gpuE6ELNS1_3repE0EEENS1_38merge_mergepath_config_static_selectorELNS0_4arch9wavefront6targetE0EEEvSF_
                                        ; -- End function
	.set _ZN7rocprim17ROCPRIM_400000_NS6detail17trampoline_kernelINS0_14default_configENS1_38merge_sort_block_merge_config_selectorIaNS0_10empty_typeEEEZZNS1_27merge_sort_block_merge_implIS3_PaPS5_jNS1_19radix_merge_compareILb1ELb1EaNS0_19identity_decomposerEEEEE10hipError_tT0_T1_T2_jT3_P12ihipStream_tbPNSt15iterator_traitsISE_E10value_typeEPNSK_ISF_E10value_typeEPSG_NS1_7vsmem_tEENKUlT_SE_SF_SG_E_clIS8_S8_S9_S9_EESD_ST_SE_SF_SG_EUlST_E0_NS1_11comp_targetILNS1_3genE2ELNS1_11target_archE906ELNS1_3gpuE6ELNS1_3repE0EEENS1_38merge_mergepath_config_static_selectorELNS0_4arch9wavefront6targetE0EEEvSF_.num_vgpr, 0
	.set _ZN7rocprim17ROCPRIM_400000_NS6detail17trampoline_kernelINS0_14default_configENS1_38merge_sort_block_merge_config_selectorIaNS0_10empty_typeEEEZZNS1_27merge_sort_block_merge_implIS3_PaPS5_jNS1_19radix_merge_compareILb1ELb1EaNS0_19identity_decomposerEEEEE10hipError_tT0_T1_T2_jT3_P12ihipStream_tbPNSt15iterator_traitsISE_E10value_typeEPNSK_ISF_E10value_typeEPSG_NS1_7vsmem_tEENKUlT_SE_SF_SG_E_clIS8_S8_S9_S9_EESD_ST_SE_SF_SG_EUlST_E0_NS1_11comp_targetILNS1_3genE2ELNS1_11target_archE906ELNS1_3gpuE6ELNS1_3repE0EEENS1_38merge_mergepath_config_static_selectorELNS0_4arch9wavefront6targetE0EEEvSF_.num_agpr, 0
	.set _ZN7rocprim17ROCPRIM_400000_NS6detail17trampoline_kernelINS0_14default_configENS1_38merge_sort_block_merge_config_selectorIaNS0_10empty_typeEEEZZNS1_27merge_sort_block_merge_implIS3_PaPS5_jNS1_19radix_merge_compareILb1ELb1EaNS0_19identity_decomposerEEEEE10hipError_tT0_T1_T2_jT3_P12ihipStream_tbPNSt15iterator_traitsISE_E10value_typeEPNSK_ISF_E10value_typeEPSG_NS1_7vsmem_tEENKUlT_SE_SF_SG_E_clIS8_S8_S9_S9_EESD_ST_SE_SF_SG_EUlST_E0_NS1_11comp_targetILNS1_3genE2ELNS1_11target_archE906ELNS1_3gpuE6ELNS1_3repE0EEENS1_38merge_mergepath_config_static_selectorELNS0_4arch9wavefront6targetE0EEEvSF_.numbered_sgpr, 0
	.set _ZN7rocprim17ROCPRIM_400000_NS6detail17trampoline_kernelINS0_14default_configENS1_38merge_sort_block_merge_config_selectorIaNS0_10empty_typeEEEZZNS1_27merge_sort_block_merge_implIS3_PaPS5_jNS1_19radix_merge_compareILb1ELb1EaNS0_19identity_decomposerEEEEE10hipError_tT0_T1_T2_jT3_P12ihipStream_tbPNSt15iterator_traitsISE_E10value_typeEPNSK_ISF_E10value_typeEPSG_NS1_7vsmem_tEENKUlT_SE_SF_SG_E_clIS8_S8_S9_S9_EESD_ST_SE_SF_SG_EUlST_E0_NS1_11comp_targetILNS1_3genE2ELNS1_11target_archE906ELNS1_3gpuE6ELNS1_3repE0EEENS1_38merge_mergepath_config_static_selectorELNS0_4arch9wavefront6targetE0EEEvSF_.num_named_barrier, 0
	.set _ZN7rocprim17ROCPRIM_400000_NS6detail17trampoline_kernelINS0_14default_configENS1_38merge_sort_block_merge_config_selectorIaNS0_10empty_typeEEEZZNS1_27merge_sort_block_merge_implIS3_PaPS5_jNS1_19radix_merge_compareILb1ELb1EaNS0_19identity_decomposerEEEEE10hipError_tT0_T1_T2_jT3_P12ihipStream_tbPNSt15iterator_traitsISE_E10value_typeEPNSK_ISF_E10value_typeEPSG_NS1_7vsmem_tEENKUlT_SE_SF_SG_E_clIS8_S8_S9_S9_EESD_ST_SE_SF_SG_EUlST_E0_NS1_11comp_targetILNS1_3genE2ELNS1_11target_archE906ELNS1_3gpuE6ELNS1_3repE0EEENS1_38merge_mergepath_config_static_selectorELNS0_4arch9wavefront6targetE0EEEvSF_.private_seg_size, 0
	.set _ZN7rocprim17ROCPRIM_400000_NS6detail17trampoline_kernelINS0_14default_configENS1_38merge_sort_block_merge_config_selectorIaNS0_10empty_typeEEEZZNS1_27merge_sort_block_merge_implIS3_PaPS5_jNS1_19radix_merge_compareILb1ELb1EaNS0_19identity_decomposerEEEEE10hipError_tT0_T1_T2_jT3_P12ihipStream_tbPNSt15iterator_traitsISE_E10value_typeEPNSK_ISF_E10value_typeEPSG_NS1_7vsmem_tEENKUlT_SE_SF_SG_E_clIS8_S8_S9_S9_EESD_ST_SE_SF_SG_EUlST_E0_NS1_11comp_targetILNS1_3genE2ELNS1_11target_archE906ELNS1_3gpuE6ELNS1_3repE0EEENS1_38merge_mergepath_config_static_selectorELNS0_4arch9wavefront6targetE0EEEvSF_.uses_vcc, 0
	.set _ZN7rocprim17ROCPRIM_400000_NS6detail17trampoline_kernelINS0_14default_configENS1_38merge_sort_block_merge_config_selectorIaNS0_10empty_typeEEEZZNS1_27merge_sort_block_merge_implIS3_PaPS5_jNS1_19radix_merge_compareILb1ELb1EaNS0_19identity_decomposerEEEEE10hipError_tT0_T1_T2_jT3_P12ihipStream_tbPNSt15iterator_traitsISE_E10value_typeEPNSK_ISF_E10value_typeEPSG_NS1_7vsmem_tEENKUlT_SE_SF_SG_E_clIS8_S8_S9_S9_EESD_ST_SE_SF_SG_EUlST_E0_NS1_11comp_targetILNS1_3genE2ELNS1_11target_archE906ELNS1_3gpuE6ELNS1_3repE0EEENS1_38merge_mergepath_config_static_selectorELNS0_4arch9wavefront6targetE0EEEvSF_.uses_flat_scratch, 0
	.set _ZN7rocprim17ROCPRIM_400000_NS6detail17trampoline_kernelINS0_14default_configENS1_38merge_sort_block_merge_config_selectorIaNS0_10empty_typeEEEZZNS1_27merge_sort_block_merge_implIS3_PaPS5_jNS1_19radix_merge_compareILb1ELb1EaNS0_19identity_decomposerEEEEE10hipError_tT0_T1_T2_jT3_P12ihipStream_tbPNSt15iterator_traitsISE_E10value_typeEPNSK_ISF_E10value_typeEPSG_NS1_7vsmem_tEENKUlT_SE_SF_SG_E_clIS8_S8_S9_S9_EESD_ST_SE_SF_SG_EUlST_E0_NS1_11comp_targetILNS1_3genE2ELNS1_11target_archE906ELNS1_3gpuE6ELNS1_3repE0EEENS1_38merge_mergepath_config_static_selectorELNS0_4arch9wavefront6targetE0EEEvSF_.has_dyn_sized_stack, 0
	.set _ZN7rocprim17ROCPRIM_400000_NS6detail17trampoline_kernelINS0_14default_configENS1_38merge_sort_block_merge_config_selectorIaNS0_10empty_typeEEEZZNS1_27merge_sort_block_merge_implIS3_PaPS5_jNS1_19radix_merge_compareILb1ELb1EaNS0_19identity_decomposerEEEEE10hipError_tT0_T1_T2_jT3_P12ihipStream_tbPNSt15iterator_traitsISE_E10value_typeEPNSK_ISF_E10value_typeEPSG_NS1_7vsmem_tEENKUlT_SE_SF_SG_E_clIS8_S8_S9_S9_EESD_ST_SE_SF_SG_EUlST_E0_NS1_11comp_targetILNS1_3genE2ELNS1_11target_archE906ELNS1_3gpuE6ELNS1_3repE0EEENS1_38merge_mergepath_config_static_selectorELNS0_4arch9wavefront6targetE0EEEvSF_.has_recursion, 0
	.set _ZN7rocprim17ROCPRIM_400000_NS6detail17trampoline_kernelINS0_14default_configENS1_38merge_sort_block_merge_config_selectorIaNS0_10empty_typeEEEZZNS1_27merge_sort_block_merge_implIS3_PaPS5_jNS1_19radix_merge_compareILb1ELb1EaNS0_19identity_decomposerEEEEE10hipError_tT0_T1_T2_jT3_P12ihipStream_tbPNSt15iterator_traitsISE_E10value_typeEPNSK_ISF_E10value_typeEPSG_NS1_7vsmem_tEENKUlT_SE_SF_SG_E_clIS8_S8_S9_S9_EESD_ST_SE_SF_SG_EUlST_E0_NS1_11comp_targetILNS1_3genE2ELNS1_11target_archE906ELNS1_3gpuE6ELNS1_3repE0EEENS1_38merge_mergepath_config_static_selectorELNS0_4arch9wavefront6targetE0EEEvSF_.has_indirect_call, 0
	.section	.AMDGPU.csdata,"",@progbits
; Kernel info:
; codeLenInByte = 0
; TotalNumSgprs: 0
; NumVgprs: 0
; ScratchSize: 0
; MemoryBound: 0
; FloatMode: 240
; IeeeMode: 1
; LDSByteSize: 0 bytes/workgroup (compile time only)
; SGPRBlocks: 0
; VGPRBlocks: 0
; NumSGPRsForWavesPerEU: 1
; NumVGPRsForWavesPerEU: 1
; NamedBarCnt: 0
; Occupancy: 16
; WaveLimiterHint : 0
; COMPUTE_PGM_RSRC2:SCRATCH_EN: 0
; COMPUTE_PGM_RSRC2:USER_SGPR: 2
; COMPUTE_PGM_RSRC2:TRAP_HANDLER: 0
; COMPUTE_PGM_RSRC2:TGID_X_EN: 1
; COMPUTE_PGM_RSRC2:TGID_Y_EN: 0
; COMPUTE_PGM_RSRC2:TGID_Z_EN: 0
; COMPUTE_PGM_RSRC2:TIDIG_COMP_CNT: 0
	.section	.text._ZN7rocprim17ROCPRIM_400000_NS6detail17trampoline_kernelINS0_14default_configENS1_38merge_sort_block_merge_config_selectorIaNS0_10empty_typeEEEZZNS1_27merge_sort_block_merge_implIS3_PaPS5_jNS1_19radix_merge_compareILb1ELb1EaNS0_19identity_decomposerEEEEE10hipError_tT0_T1_T2_jT3_P12ihipStream_tbPNSt15iterator_traitsISE_E10value_typeEPNSK_ISF_E10value_typeEPSG_NS1_7vsmem_tEENKUlT_SE_SF_SG_E_clIS8_S8_S9_S9_EESD_ST_SE_SF_SG_EUlST_E0_NS1_11comp_targetILNS1_3genE9ELNS1_11target_archE1100ELNS1_3gpuE3ELNS1_3repE0EEENS1_38merge_mergepath_config_static_selectorELNS0_4arch9wavefront6targetE0EEEvSF_,"axG",@progbits,_ZN7rocprim17ROCPRIM_400000_NS6detail17trampoline_kernelINS0_14default_configENS1_38merge_sort_block_merge_config_selectorIaNS0_10empty_typeEEEZZNS1_27merge_sort_block_merge_implIS3_PaPS5_jNS1_19radix_merge_compareILb1ELb1EaNS0_19identity_decomposerEEEEE10hipError_tT0_T1_T2_jT3_P12ihipStream_tbPNSt15iterator_traitsISE_E10value_typeEPNSK_ISF_E10value_typeEPSG_NS1_7vsmem_tEENKUlT_SE_SF_SG_E_clIS8_S8_S9_S9_EESD_ST_SE_SF_SG_EUlST_E0_NS1_11comp_targetILNS1_3genE9ELNS1_11target_archE1100ELNS1_3gpuE3ELNS1_3repE0EEENS1_38merge_mergepath_config_static_selectorELNS0_4arch9wavefront6targetE0EEEvSF_,comdat
	.protected	_ZN7rocprim17ROCPRIM_400000_NS6detail17trampoline_kernelINS0_14default_configENS1_38merge_sort_block_merge_config_selectorIaNS0_10empty_typeEEEZZNS1_27merge_sort_block_merge_implIS3_PaPS5_jNS1_19radix_merge_compareILb1ELb1EaNS0_19identity_decomposerEEEEE10hipError_tT0_T1_T2_jT3_P12ihipStream_tbPNSt15iterator_traitsISE_E10value_typeEPNSK_ISF_E10value_typeEPSG_NS1_7vsmem_tEENKUlT_SE_SF_SG_E_clIS8_S8_S9_S9_EESD_ST_SE_SF_SG_EUlST_E0_NS1_11comp_targetILNS1_3genE9ELNS1_11target_archE1100ELNS1_3gpuE3ELNS1_3repE0EEENS1_38merge_mergepath_config_static_selectorELNS0_4arch9wavefront6targetE0EEEvSF_ ; -- Begin function _ZN7rocprim17ROCPRIM_400000_NS6detail17trampoline_kernelINS0_14default_configENS1_38merge_sort_block_merge_config_selectorIaNS0_10empty_typeEEEZZNS1_27merge_sort_block_merge_implIS3_PaPS5_jNS1_19radix_merge_compareILb1ELb1EaNS0_19identity_decomposerEEEEE10hipError_tT0_T1_T2_jT3_P12ihipStream_tbPNSt15iterator_traitsISE_E10value_typeEPNSK_ISF_E10value_typeEPSG_NS1_7vsmem_tEENKUlT_SE_SF_SG_E_clIS8_S8_S9_S9_EESD_ST_SE_SF_SG_EUlST_E0_NS1_11comp_targetILNS1_3genE9ELNS1_11target_archE1100ELNS1_3gpuE3ELNS1_3repE0EEENS1_38merge_mergepath_config_static_selectorELNS0_4arch9wavefront6targetE0EEEvSF_
	.globl	_ZN7rocprim17ROCPRIM_400000_NS6detail17trampoline_kernelINS0_14default_configENS1_38merge_sort_block_merge_config_selectorIaNS0_10empty_typeEEEZZNS1_27merge_sort_block_merge_implIS3_PaPS5_jNS1_19radix_merge_compareILb1ELb1EaNS0_19identity_decomposerEEEEE10hipError_tT0_T1_T2_jT3_P12ihipStream_tbPNSt15iterator_traitsISE_E10value_typeEPNSK_ISF_E10value_typeEPSG_NS1_7vsmem_tEENKUlT_SE_SF_SG_E_clIS8_S8_S9_S9_EESD_ST_SE_SF_SG_EUlST_E0_NS1_11comp_targetILNS1_3genE9ELNS1_11target_archE1100ELNS1_3gpuE3ELNS1_3repE0EEENS1_38merge_mergepath_config_static_selectorELNS0_4arch9wavefront6targetE0EEEvSF_
	.p2align	8
	.type	_ZN7rocprim17ROCPRIM_400000_NS6detail17trampoline_kernelINS0_14default_configENS1_38merge_sort_block_merge_config_selectorIaNS0_10empty_typeEEEZZNS1_27merge_sort_block_merge_implIS3_PaPS5_jNS1_19radix_merge_compareILb1ELb1EaNS0_19identity_decomposerEEEEE10hipError_tT0_T1_T2_jT3_P12ihipStream_tbPNSt15iterator_traitsISE_E10value_typeEPNSK_ISF_E10value_typeEPSG_NS1_7vsmem_tEENKUlT_SE_SF_SG_E_clIS8_S8_S9_S9_EESD_ST_SE_SF_SG_EUlST_E0_NS1_11comp_targetILNS1_3genE9ELNS1_11target_archE1100ELNS1_3gpuE3ELNS1_3repE0EEENS1_38merge_mergepath_config_static_selectorELNS0_4arch9wavefront6targetE0EEEvSF_,@function
_ZN7rocprim17ROCPRIM_400000_NS6detail17trampoline_kernelINS0_14default_configENS1_38merge_sort_block_merge_config_selectorIaNS0_10empty_typeEEEZZNS1_27merge_sort_block_merge_implIS3_PaPS5_jNS1_19radix_merge_compareILb1ELb1EaNS0_19identity_decomposerEEEEE10hipError_tT0_T1_T2_jT3_P12ihipStream_tbPNSt15iterator_traitsISE_E10value_typeEPNSK_ISF_E10value_typeEPSG_NS1_7vsmem_tEENKUlT_SE_SF_SG_E_clIS8_S8_S9_S9_EESD_ST_SE_SF_SG_EUlST_E0_NS1_11comp_targetILNS1_3genE9ELNS1_11target_archE1100ELNS1_3gpuE3ELNS1_3repE0EEENS1_38merge_mergepath_config_static_selectorELNS0_4arch9wavefront6targetE0EEEvSF_: ; @_ZN7rocprim17ROCPRIM_400000_NS6detail17trampoline_kernelINS0_14default_configENS1_38merge_sort_block_merge_config_selectorIaNS0_10empty_typeEEEZZNS1_27merge_sort_block_merge_implIS3_PaPS5_jNS1_19radix_merge_compareILb1ELb1EaNS0_19identity_decomposerEEEEE10hipError_tT0_T1_T2_jT3_P12ihipStream_tbPNSt15iterator_traitsISE_E10value_typeEPNSK_ISF_E10value_typeEPSG_NS1_7vsmem_tEENKUlT_SE_SF_SG_E_clIS8_S8_S9_S9_EESD_ST_SE_SF_SG_EUlST_E0_NS1_11comp_targetILNS1_3genE9ELNS1_11target_archE1100ELNS1_3gpuE3ELNS1_3repE0EEENS1_38merge_mergepath_config_static_selectorELNS0_4arch9wavefront6targetE0EEEvSF_
; %bb.0:
	.section	.rodata,"a",@progbits
	.p2align	6, 0x0
	.amdhsa_kernel _ZN7rocprim17ROCPRIM_400000_NS6detail17trampoline_kernelINS0_14default_configENS1_38merge_sort_block_merge_config_selectorIaNS0_10empty_typeEEEZZNS1_27merge_sort_block_merge_implIS3_PaPS5_jNS1_19radix_merge_compareILb1ELb1EaNS0_19identity_decomposerEEEEE10hipError_tT0_T1_T2_jT3_P12ihipStream_tbPNSt15iterator_traitsISE_E10value_typeEPNSK_ISF_E10value_typeEPSG_NS1_7vsmem_tEENKUlT_SE_SF_SG_E_clIS8_S8_S9_S9_EESD_ST_SE_SF_SG_EUlST_E0_NS1_11comp_targetILNS1_3genE9ELNS1_11target_archE1100ELNS1_3gpuE3ELNS1_3repE0EEENS1_38merge_mergepath_config_static_selectorELNS0_4arch9wavefront6targetE0EEEvSF_
		.amdhsa_group_segment_fixed_size 0
		.amdhsa_private_segment_fixed_size 0
		.amdhsa_kernarg_size 64
		.amdhsa_user_sgpr_count 2
		.amdhsa_user_sgpr_dispatch_ptr 0
		.amdhsa_user_sgpr_queue_ptr 0
		.amdhsa_user_sgpr_kernarg_segment_ptr 1
		.amdhsa_user_sgpr_dispatch_id 0
		.amdhsa_user_sgpr_kernarg_preload_length 0
		.amdhsa_user_sgpr_kernarg_preload_offset 0
		.amdhsa_user_sgpr_private_segment_size 0
		.amdhsa_wavefront_size32 1
		.amdhsa_uses_dynamic_stack 0
		.amdhsa_enable_private_segment 0
		.amdhsa_system_sgpr_workgroup_id_x 1
		.amdhsa_system_sgpr_workgroup_id_y 0
		.amdhsa_system_sgpr_workgroup_id_z 0
		.amdhsa_system_sgpr_workgroup_info 0
		.amdhsa_system_vgpr_workitem_id 0
		.amdhsa_next_free_vgpr 1
		.amdhsa_next_free_sgpr 1
		.amdhsa_named_barrier_count 0
		.amdhsa_reserve_vcc 0
		.amdhsa_float_round_mode_32 0
		.amdhsa_float_round_mode_16_64 0
		.amdhsa_float_denorm_mode_32 3
		.amdhsa_float_denorm_mode_16_64 3
		.amdhsa_fp16_overflow 0
		.amdhsa_memory_ordered 1
		.amdhsa_forward_progress 1
		.amdhsa_inst_pref_size 0
		.amdhsa_round_robin_scheduling 0
		.amdhsa_exception_fp_ieee_invalid_op 0
		.amdhsa_exception_fp_denorm_src 0
		.amdhsa_exception_fp_ieee_div_zero 0
		.amdhsa_exception_fp_ieee_overflow 0
		.amdhsa_exception_fp_ieee_underflow 0
		.amdhsa_exception_fp_ieee_inexact 0
		.amdhsa_exception_int_div_zero 0
	.end_amdhsa_kernel
	.section	.text._ZN7rocprim17ROCPRIM_400000_NS6detail17trampoline_kernelINS0_14default_configENS1_38merge_sort_block_merge_config_selectorIaNS0_10empty_typeEEEZZNS1_27merge_sort_block_merge_implIS3_PaPS5_jNS1_19radix_merge_compareILb1ELb1EaNS0_19identity_decomposerEEEEE10hipError_tT0_T1_T2_jT3_P12ihipStream_tbPNSt15iterator_traitsISE_E10value_typeEPNSK_ISF_E10value_typeEPSG_NS1_7vsmem_tEENKUlT_SE_SF_SG_E_clIS8_S8_S9_S9_EESD_ST_SE_SF_SG_EUlST_E0_NS1_11comp_targetILNS1_3genE9ELNS1_11target_archE1100ELNS1_3gpuE3ELNS1_3repE0EEENS1_38merge_mergepath_config_static_selectorELNS0_4arch9wavefront6targetE0EEEvSF_,"axG",@progbits,_ZN7rocprim17ROCPRIM_400000_NS6detail17trampoline_kernelINS0_14default_configENS1_38merge_sort_block_merge_config_selectorIaNS0_10empty_typeEEEZZNS1_27merge_sort_block_merge_implIS3_PaPS5_jNS1_19radix_merge_compareILb1ELb1EaNS0_19identity_decomposerEEEEE10hipError_tT0_T1_T2_jT3_P12ihipStream_tbPNSt15iterator_traitsISE_E10value_typeEPNSK_ISF_E10value_typeEPSG_NS1_7vsmem_tEENKUlT_SE_SF_SG_E_clIS8_S8_S9_S9_EESD_ST_SE_SF_SG_EUlST_E0_NS1_11comp_targetILNS1_3genE9ELNS1_11target_archE1100ELNS1_3gpuE3ELNS1_3repE0EEENS1_38merge_mergepath_config_static_selectorELNS0_4arch9wavefront6targetE0EEEvSF_,comdat
.Lfunc_end319:
	.size	_ZN7rocprim17ROCPRIM_400000_NS6detail17trampoline_kernelINS0_14default_configENS1_38merge_sort_block_merge_config_selectorIaNS0_10empty_typeEEEZZNS1_27merge_sort_block_merge_implIS3_PaPS5_jNS1_19radix_merge_compareILb1ELb1EaNS0_19identity_decomposerEEEEE10hipError_tT0_T1_T2_jT3_P12ihipStream_tbPNSt15iterator_traitsISE_E10value_typeEPNSK_ISF_E10value_typeEPSG_NS1_7vsmem_tEENKUlT_SE_SF_SG_E_clIS8_S8_S9_S9_EESD_ST_SE_SF_SG_EUlST_E0_NS1_11comp_targetILNS1_3genE9ELNS1_11target_archE1100ELNS1_3gpuE3ELNS1_3repE0EEENS1_38merge_mergepath_config_static_selectorELNS0_4arch9wavefront6targetE0EEEvSF_, .Lfunc_end319-_ZN7rocprim17ROCPRIM_400000_NS6detail17trampoline_kernelINS0_14default_configENS1_38merge_sort_block_merge_config_selectorIaNS0_10empty_typeEEEZZNS1_27merge_sort_block_merge_implIS3_PaPS5_jNS1_19radix_merge_compareILb1ELb1EaNS0_19identity_decomposerEEEEE10hipError_tT0_T1_T2_jT3_P12ihipStream_tbPNSt15iterator_traitsISE_E10value_typeEPNSK_ISF_E10value_typeEPSG_NS1_7vsmem_tEENKUlT_SE_SF_SG_E_clIS8_S8_S9_S9_EESD_ST_SE_SF_SG_EUlST_E0_NS1_11comp_targetILNS1_3genE9ELNS1_11target_archE1100ELNS1_3gpuE3ELNS1_3repE0EEENS1_38merge_mergepath_config_static_selectorELNS0_4arch9wavefront6targetE0EEEvSF_
                                        ; -- End function
	.set _ZN7rocprim17ROCPRIM_400000_NS6detail17trampoline_kernelINS0_14default_configENS1_38merge_sort_block_merge_config_selectorIaNS0_10empty_typeEEEZZNS1_27merge_sort_block_merge_implIS3_PaPS5_jNS1_19radix_merge_compareILb1ELb1EaNS0_19identity_decomposerEEEEE10hipError_tT0_T1_T2_jT3_P12ihipStream_tbPNSt15iterator_traitsISE_E10value_typeEPNSK_ISF_E10value_typeEPSG_NS1_7vsmem_tEENKUlT_SE_SF_SG_E_clIS8_S8_S9_S9_EESD_ST_SE_SF_SG_EUlST_E0_NS1_11comp_targetILNS1_3genE9ELNS1_11target_archE1100ELNS1_3gpuE3ELNS1_3repE0EEENS1_38merge_mergepath_config_static_selectorELNS0_4arch9wavefront6targetE0EEEvSF_.num_vgpr, 0
	.set _ZN7rocprim17ROCPRIM_400000_NS6detail17trampoline_kernelINS0_14default_configENS1_38merge_sort_block_merge_config_selectorIaNS0_10empty_typeEEEZZNS1_27merge_sort_block_merge_implIS3_PaPS5_jNS1_19radix_merge_compareILb1ELb1EaNS0_19identity_decomposerEEEEE10hipError_tT0_T1_T2_jT3_P12ihipStream_tbPNSt15iterator_traitsISE_E10value_typeEPNSK_ISF_E10value_typeEPSG_NS1_7vsmem_tEENKUlT_SE_SF_SG_E_clIS8_S8_S9_S9_EESD_ST_SE_SF_SG_EUlST_E0_NS1_11comp_targetILNS1_3genE9ELNS1_11target_archE1100ELNS1_3gpuE3ELNS1_3repE0EEENS1_38merge_mergepath_config_static_selectorELNS0_4arch9wavefront6targetE0EEEvSF_.num_agpr, 0
	.set _ZN7rocprim17ROCPRIM_400000_NS6detail17trampoline_kernelINS0_14default_configENS1_38merge_sort_block_merge_config_selectorIaNS0_10empty_typeEEEZZNS1_27merge_sort_block_merge_implIS3_PaPS5_jNS1_19radix_merge_compareILb1ELb1EaNS0_19identity_decomposerEEEEE10hipError_tT0_T1_T2_jT3_P12ihipStream_tbPNSt15iterator_traitsISE_E10value_typeEPNSK_ISF_E10value_typeEPSG_NS1_7vsmem_tEENKUlT_SE_SF_SG_E_clIS8_S8_S9_S9_EESD_ST_SE_SF_SG_EUlST_E0_NS1_11comp_targetILNS1_3genE9ELNS1_11target_archE1100ELNS1_3gpuE3ELNS1_3repE0EEENS1_38merge_mergepath_config_static_selectorELNS0_4arch9wavefront6targetE0EEEvSF_.numbered_sgpr, 0
	.set _ZN7rocprim17ROCPRIM_400000_NS6detail17trampoline_kernelINS0_14default_configENS1_38merge_sort_block_merge_config_selectorIaNS0_10empty_typeEEEZZNS1_27merge_sort_block_merge_implIS3_PaPS5_jNS1_19radix_merge_compareILb1ELb1EaNS0_19identity_decomposerEEEEE10hipError_tT0_T1_T2_jT3_P12ihipStream_tbPNSt15iterator_traitsISE_E10value_typeEPNSK_ISF_E10value_typeEPSG_NS1_7vsmem_tEENKUlT_SE_SF_SG_E_clIS8_S8_S9_S9_EESD_ST_SE_SF_SG_EUlST_E0_NS1_11comp_targetILNS1_3genE9ELNS1_11target_archE1100ELNS1_3gpuE3ELNS1_3repE0EEENS1_38merge_mergepath_config_static_selectorELNS0_4arch9wavefront6targetE0EEEvSF_.num_named_barrier, 0
	.set _ZN7rocprim17ROCPRIM_400000_NS6detail17trampoline_kernelINS0_14default_configENS1_38merge_sort_block_merge_config_selectorIaNS0_10empty_typeEEEZZNS1_27merge_sort_block_merge_implIS3_PaPS5_jNS1_19radix_merge_compareILb1ELb1EaNS0_19identity_decomposerEEEEE10hipError_tT0_T1_T2_jT3_P12ihipStream_tbPNSt15iterator_traitsISE_E10value_typeEPNSK_ISF_E10value_typeEPSG_NS1_7vsmem_tEENKUlT_SE_SF_SG_E_clIS8_S8_S9_S9_EESD_ST_SE_SF_SG_EUlST_E0_NS1_11comp_targetILNS1_3genE9ELNS1_11target_archE1100ELNS1_3gpuE3ELNS1_3repE0EEENS1_38merge_mergepath_config_static_selectorELNS0_4arch9wavefront6targetE0EEEvSF_.private_seg_size, 0
	.set _ZN7rocprim17ROCPRIM_400000_NS6detail17trampoline_kernelINS0_14default_configENS1_38merge_sort_block_merge_config_selectorIaNS0_10empty_typeEEEZZNS1_27merge_sort_block_merge_implIS3_PaPS5_jNS1_19radix_merge_compareILb1ELb1EaNS0_19identity_decomposerEEEEE10hipError_tT0_T1_T2_jT3_P12ihipStream_tbPNSt15iterator_traitsISE_E10value_typeEPNSK_ISF_E10value_typeEPSG_NS1_7vsmem_tEENKUlT_SE_SF_SG_E_clIS8_S8_S9_S9_EESD_ST_SE_SF_SG_EUlST_E0_NS1_11comp_targetILNS1_3genE9ELNS1_11target_archE1100ELNS1_3gpuE3ELNS1_3repE0EEENS1_38merge_mergepath_config_static_selectorELNS0_4arch9wavefront6targetE0EEEvSF_.uses_vcc, 0
	.set _ZN7rocprim17ROCPRIM_400000_NS6detail17trampoline_kernelINS0_14default_configENS1_38merge_sort_block_merge_config_selectorIaNS0_10empty_typeEEEZZNS1_27merge_sort_block_merge_implIS3_PaPS5_jNS1_19radix_merge_compareILb1ELb1EaNS0_19identity_decomposerEEEEE10hipError_tT0_T1_T2_jT3_P12ihipStream_tbPNSt15iterator_traitsISE_E10value_typeEPNSK_ISF_E10value_typeEPSG_NS1_7vsmem_tEENKUlT_SE_SF_SG_E_clIS8_S8_S9_S9_EESD_ST_SE_SF_SG_EUlST_E0_NS1_11comp_targetILNS1_3genE9ELNS1_11target_archE1100ELNS1_3gpuE3ELNS1_3repE0EEENS1_38merge_mergepath_config_static_selectorELNS0_4arch9wavefront6targetE0EEEvSF_.uses_flat_scratch, 0
	.set _ZN7rocprim17ROCPRIM_400000_NS6detail17trampoline_kernelINS0_14default_configENS1_38merge_sort_block_merge_config_selectorIaNS0_10empty_typeEEEZZNS1_27merge_sort_block_merge_implIS3_PaPS5_jNS1_19radix_merge_compareILb1ELb1EaNS0_19identity_decomposerEEEEE10hipError_tT0_T1_T2_jT3_P12ihipStream_tbPNSt15iterator_traitsISE_E10value_typeEPNSK_ISF_E10value_typeEPSG_NS1_7vsmem_tEENKUlT_SE_SF_SG_E_clIS8_S8_S9_S9_EESD_ST_SE_SF_SG_EUlST_E0_NS1_11comp_targetILNS1_3genE9ELNS1_11target_archE1100ELNS1_3gpuE3ELNS1_3repE0EEENS1_38merge_mergepath_config_static_selectorELNS0_4arch9wavefront6targetE0EEEvSF_.has_dyn_sized_stack, 0
	.set _ZN7rocprim17ROCPRIM_400000_NS6detail17trampoline_kernelINS0_14default_configENS1_38merge_sort_block_merge_config_selectorIaNS0_10empty_typeEEEZZNS1_27merge_sort_block_merge_implIS3_PaPS5_jNS1_19radix_merge_compareILb1ELb1EaNS0_19identity_decomposerEEEEE10hipError_tT0_T1_T2_jT3_P12ihipStream_tbPNSt15iterator_traitsISE_E10value_typeEPNSK_ISF_E10value_typeEPSG_NS1_7vsmem_tEENKUlT_SE_SF_SG_E_clIS8_S8_S9_S9_EESD_ST_SE_SF_SG_EUlST_E0_NS1_11comp_targetILNS1_3genE9ELNS1_11target_archE1100ELNS1_3gpuE3ELNS1_3repE0EEENS1_38merge_mergepath_config_static_selectorELNS0_4arch9wavefront6targetE0EEEvSF_.has_recursion, 0
	.set _ZN7rocprim17ROCPRIM_400000_NS6detail17trampoline_kernelINS0_14default_configENS1_38merge_sort_block_merge_config_selectorIaNS0_10empty_typeEEEZZNS1_27merge_sort_block_merge_implIS3_PaPS5_jNS1_19radix_merge_compareILb1ELb1EaNS0_19identity_decomposerEEEEE10hipError_tT0_T1_T2_jT3_P12ihipStream_tbPNSt15iterator_traitsISE_E10value_typeEPNSK_ISF_E10value_typeEPSG_NS1_7vsmem_tEENKUlT_SE_SF_SG_E_clIS8_S8_S9_S9_EESD_ST_SE_SF_SG_EUlST_E0_NS1_11comp_targetILNS1_3genE9ELNS1_11target_archE1100ELNS1_3gpuE3ELNS1_3repE0EEENS1_38merge_mergepath_config_static_selectorELNS0_4arch9wavefront6targetE0EEEvSF_.has_indirect_call, 0
	.section	.AMDGPU.csdata,"",@progbits
; Kernel info:
; codeLenInByte = 0
; TotalNumSgprs: 0
; NumVgprs: 0
; ScratchSize: 0
; MemoryBound: 0
; FloatMode: 240
; IeeeMode: 1
; LDSByteSize: 0 bytes/workgroup (compile time only)
; SGPRBlocks: 0
; VGPRBlocks: 0
; NumSGPRsForWavesPerEU: 1
; NumVGPRsForWavesPerEU: 1
; NamedBarCnt: 0
; Occupancy: 16
; WaveLimiterHint : 0
; COMPUTE_PGM_RSRC2:SCRATCH_EN: 0
; COMPUTE_PGM_RSRC2:USER_SGPR: 2
; COMPUTE_PGM_RSRC2:TRAP_HANDLER: 0
; COMPUTE_PGM_RSRC2:TGID_X_EN: 1
; COMPUTE_PGM_RSRC2:TGID_Y_EN: 0
; COMPUTE_PGM_RSRC2:TGID_Z_EN: 0
; COMPUTE_PGM_RSRC2:TIDIG_COMP_CNT: 0
	.section	.text._ZN7rocprim17ROCPRIM_400000_NS6detail17trampoline_kernelINS0_14default_configENS1_38merge_sort_block_merge_config_selectorIaNS0_10empty_typeEEEZZNS1_27merge_sort_block_merge_implIS3_PaPS5_jNS1_19radix_merge_compareILb1ELb1EaNS0_19identity_decomposerEEEEE10hipError_tT0_T1_T2_jT3_P12ihipStream_tbPNSt15iterator_traitsISE_E10value_typeEPNSK_ISF_E10value_typeEPSG_NS1_7vsmem_tEENKUlT_SE_SF_SG_E_clIS8_S8_S9_S9_EESD_ST_SE_SF_SG_EUlST_E0_NS1_11comp_targetILNS1_3genE8ELNS1_11target_archE1030ELNS1_3gpuE2ELNS1_3repE0EEENS1_38merge_mergepath_config_static_selectorELNS0_4arch9wavefront6targetE0EEEvSF_,"axG",@progbits,_ZN7rocprim17ROCPRIM_400000_NS6detail17trampoline_kernelINS0_14default_configENS1_38merge_sort_block_merge_config_selectorIaNS0_10empty_typeEEEZZNS1_27merge_sort_block_merge_implIS3_PaPS5_jNS1_19radix_merge_compareILb1ELb1EaNS0_19identity_decomposerEEEEE10hipError_tT0_T1_T2_jT3_P12ihipStream_tbPNSt15iterator_traitsISE_E10value_typeEPNSK_ISF_E10value_typeEPSG_NS1_7vsmem_tEENKUlT_SE_SF_SG_E_clIS8_S8_S9_S9_EESD_ST_SE_SF_SG_EUlST_E0_NS1_11comp_targetILNS1_3genE8ELNS1_11target_archE1030ELNS1_3gpuE2ELNS1_3repE0EEENS1_38merge_mergepath_config_static_selectorELNS0_4arch9wavefront6targetE0EEEvSF_,comdat
	.protected	_ZN7rocprim17ROCPRIM_400000_NS6detail17trampoline_kernelINS0_14default_configENS1_38merge_sort_block_merge_config_selectorIaNS0_10empty_typeEEEZZNS1_27merge_sort_block_merge_implIS3_PaPS5_jNS1_19radix_merge_compareILb1ELb1EaNS0_19identity_decomposerEEEEE10hipError_tT0_T1_T2_jT3_P12ihipStream_tbPNSt15iterator_traitsISE_E10value_typeEPNSK_ISF_E10value_typeEPSG_NS1_7vsmem_tEENKUlT_SE_SF_SG_E_clIS8_S8_S9_S9_EESD_ST_SE_SF_SG_EUlST_E0_NS1_11comp_targetILNS1_3genE8ELNS1_11target_archE1030ELNS1_3gpuE2ELNS1_3repE0EEENS1_38merge_mergepath_config_static_selectorELNS0_4arch9wavefront6targetE0EEEvSF_ ; -- Begin function _ZN7rocprim17ROCPRIM_400000_NS6detail17trampoline_kernelINS0_14default_configENS1_38merge_sort_block_merge_config_selectorIaNS0_10empty_typeEEEZZNS1_27merge_sort_block_merge_implIS3_PaPS5_jNS1_19radix_merge_compareILb1ELb1EaNS0_19identity_decomposerEEEEE10hipError_tT0_T1_T2_jT3_P12ihipStream_tbPNSt15iterator_traitsISE_E10value_typeEPNSK_ISF_E10value_typeEPSG_NS1_7vsmem_tEENKUlT_SE_SF_SG_E_clIS8_S8_S9_S9_EESD_ST_SE_SF_SG_EUlST_E0_NS1_11comp_targetILNS1_3genE8ELNS1_11target_archE1030ELNS1_3gpuE2ELNS1_3repE0EEENS1_38merge_mergepath_config_static_selectorELNS0_4arch9wavefront6targetE0EEEvSF_
	.globl	_ZN7rocprim17ROCPRIM_400000_NS6detail17trampoline_kernelINS0_14default_configENS1_38merge_sort_block_merge_config_selectorIaNS0_10empty_typeEEEZZNS1_27merge_sort_block_merge_implIS3_PaPS5_jNS1_19radix_merge_compareILb1ELb1EaNS0_19identity_decomposerEEEEE10hipError_tT0_T1_T2_jT3_P12ihipStream_tbPNSt15iterator_traitsISE_E10value_typeEPNSK_ISF_E10value_typeEPSG_NS1_7vsmem_tEENKUlT_SE_SF_SG_E_clIS8_S8_S9_S9_EESD_ST_SE_SF_SG_EUlST_E0_NS1_11comp_targetILNS1_3genE8ELNS1_11target_archE1030ELNS1_3gpuE2ELNS1_3repE0EEENS1_38merge_mergepath_config_static_selectorELNS0_4arch9wavefront6targetE0EEEvSF_
	.p2align	8
	.type	_ZN7rocprim17ROCPRIM_400000_NS6detail17trampoline_kernelINS0_14default_configENS1_38merge_sort_block_merge_config_selectorIaNS0_10empty_typeEEEZZNS1_27merge_sort_block_merge_implIS3_PaPS5_jNS1_19radix_merge_compareILb1ELb1EaNS0_19identity_decomposerEEEEE10hipError_tT0_T1_T2_jT3_P12ihipStream_tbPNSt15iterator_traitsISE_E10value_typeEPNSK_ISF_E10value_typeEPSG_NS1_7vsmem_tEENKUlT_SE_SF_SG_E_clIS8_S8_S9_S9_EESD_ST_SE_SF_SG_EUlST_E0_NS1_11comp_targetILNS1_3genE8ELNS1_11target_archE1030ELNS1_3gpuE2ELNS1_3repE0EEENS1_38merge_mergepath_config_static_selectorELNS0_4arch9wavefront6targetE0EEEvSF_,@function
_ZN7rocprim17ROCPRIM_400000_NS6detail17trampoline_kernelINS0_14default_configENS1_38merge_sort_block_merge_config_selectorIaNS0_10empty_typeEEEZZNS1_27merge_sort_block_merge_implIS3_PaPS5_jNS1_19radix_merge_compareILb1ELb1EaNS0_19identity_decomposerEEEEE10hipError_tT0_T1_T2_jT3_P12ihipStream_tbPNSt15iterator_traitsISE_E10value_typeEPNSK_ISF_E10value_typeEPSG_NS1_7vsmem_tEENKUlT_SE_SF_SG_E_clIS8_S8_S9_S9_EESD_ST_SE_SF_SG_EUlST_E0_NS1_11comp_targetILNS1_3genE8ELNS1_11target_archE1030ELNS1_3gpuE2ELNS1_3repE0EEENS1_38merge_mergepath_config_static_selectorELNS0_4arch9wavefront6targetE0EEEvSF_: ; @_ZN7rocprim17ROCPRIM_400000_NS6detail17trampoline_kernelINS0_14default_configENS1_38merge_sort_block_merge_config_selectorIaNS0_10empty_typeEEEZZNS1_27merge_sort_block_merge_implIS3_PaPS5_jNS1_19radix_merge_compareILb1ELb1EaNS0_19identity_decomposerEEEEE10hipError_tT0_T1_T2_jT3_P12ihipStream_tbPNSt15iterator_traitsISE_E10value_typeEPNSK_ISF_E10value_typeEPSG_NS1_7vsmem_tEENKUlT_SE_SF_SG_E_clIS8_S8_S9_S9_EESD_ST_SE_SF_SG_EUlST_E0_NS1_11comp_targetILNS1_3genE8ELNS1_11target_archE1030ELNS1_3gpuE2ELNS1_3repE0EEENS1_38merge_mergepath_config_static_selectorELNS0_4arch9wavefront6targetE0EEEvSF_
; %bb.0:
	.section	.rodata,"a",@progbits
	.p2align	6, 0x0
	.amdhsa_kernel _ZN7rocprim17ROCPRIM_400000_NS6detail17trampoline_kernelINS0_14default_configENS1_38merge_sort_block_merge_config_selectorIaNS0_10empty_typeEEEZZNS1_27merge_sort_block_merge_implIS3_PaPS5_jNS1_19radix_merge_compareILb1ELb1EaNS0_19identity_decomposerEEEEE10hipError_tT0_T1_T2_jT3_P12ihipStream_tbPNSt15iterator_traitsISE_E10value_typeEPNSK_ISF_E10value_typeEPSG_NS1_7vsmem_tEENKUlT_SE_SF_SG_E_clIS8_S8_S9_S9_EESD_ST_SE_SF_SG_EUlST_E0_NS1_11comp_targetILNS1_3genE8ELNS1_11target_archE1030ELNS1_3gpuE2ELNS1_3repE0EEENS1_38merge_mergepath_config_static_selectorELNS0_4arch9wavefront6targetE0EEEvSF_
		.amdhsa_group_segment_fixed_size 0
		.amdhsa_private_segment_fixed_size 0
		.amdhsa_kernarg_size 64
		.amdhsa_user_sgpr_count 2
		.amdhsa_user_sgpr_dispatch_ptr 0
		.amdhsa_user_sgpr_queue_ptr 0
		.amdhsa_user_sgpr_kernarg_segment_ptr 1
		.amdhsa_user_sgpr_dispatch_id 0
		.amdhsa_user_sgpr_kernarg_preload_length 0
		.amdhsa_user_sgpr_kernarg_preload_offset 0
		.amdhsa_user_sgpr_private_segment_size 0
		.amdhsa_wavefront_size32 1
		.amdhsa_uses_dynamic_stack 0
		.amdhsa_enable_private_segment 0
		.amdhsa_system_sgpr_workgroup_id_x 1
		.amdhsa_system_sgpr_workgroup_id_y 0
		.amdhsa_system_sgpr_workgroup_id_z 0
		.amdhsa_system_sgpr_workgroup_info 0
		.amdhsa_system_vgpr_workitem_id 0
		.amdhsa_next_free_vgpr 1
		.amdhsa_next_free_sgpr 1
		.amdhsa_named_barrier_count 0
		.amdhsa_reserve_vcc 0
		.amdhsa_float_round_mode_32 0
		.amdhsa_float_round_mode_16_64 0
		.amdhsa_float_denorm_mode_32 3
		.amdhsa_float_denorm_mode_16_64 3
		.amdhsa_fp16_overflow 0
		.amdhsa_memory_ordered 1
		.amdhsa_forward_progress 1
		.amdhsa_inst_pref_size 0
		.amdhsa_round_robin_scheduling 0
		.amdhsa_exception_fp_ieee_invalid_op 0
		.amdhsa_exception_fp_denorm_src 0
		.amdhsa_exception_fp_ieee_div_zero 0
		.amdhsa_exception_fp_ieee_overflow 0
		.amdhsa_exception_fp_ieee_underflow 0
		.amdhsa_exception_fp_ieee_inexact 0
		.amdhsa_exception_int_div_zero 0
	.end_amdhsa_kernel
	.section	.text._ZN7rocprim17ROCPRIM_400000_NS6detail17trampoline_kernelINS0_14default_configENS1_38merge_sort_block_merge_config_selectorIaNS0_10empty_typeEEEZZNS1_27merge_sort_block_merge_implIS3_PaPS5_jNS1_19radix_merge_compareILb1ELb1EaNS0_19identity_decomposerEEEEE10hipError_tT0_T1_T2_jT3_P12ihipStream_tbPNSt15iterator_traitsISE_E10value_typeEPNSK_ISF_E10value_typeEPSG_NS1_7vsmem_tEENKUlT_SE_SF_SG_E_clIS8_S8_S9_S9_EESD_ST_SE_SF_SG_EUlST_E0_NS1_11comp_targetILNS1_3genE8ELNS1_11target_archE1030ELNS1_3gpuE2ELNS1_3repE0EEENS1_38merge_mergepath_config_static_selectorELNS0_4arch9wavefront6targetE0EEEvSF_,"axG",@progbits,_ZN7rocprim17ROCPRIM_400000_NS6detail17trampoline_kernelINS0_14default_configENS1_38merge_sort_block_merge_config_selectorIaNS0_10empty_typeEEEZZNS1_27merge_sort_block_merge_implIS3_PaPS5_jNS1_19radix_merge_compareILb1ELb1EaNS0_19identity_decomposerEEEEE10hipError_tT0_T1_T2_jT3_P12ihipStream_tbPNSt15iterator_traitsISE_E10value_typeEPNSK_ISF_E10value_typeEPSG_NS1_7vsmem_tEENKUlT_SE_SF_SG_E_clIS8_S8_S9_S9_EESD_ST_SE_SF_SG_EUlST_E0_NS1_11comp_targetILNS1_3genE8ELNS1_11target_archE1030ELNS1_3gpuE2ELNS1_3repE0EEENS1_38merge_mergepath_config_static_selectorELNS0_4arch9wavefront6targetE0EEEvSF_,comdat
.Lfunc_end320:
	.size	_ZN7rocprim17ROCPRIM_400000_NS6detail17trampoline_kernelINS0_14default_configENS1_38merge_sort_block_merge_config_selectorIaNS0_10empty_typeEEEZZNS1_27merge_sort_block_merge_implIS3_PaPS5_jNS1_19radix_merge_compareILb1ELb1EaNS0_19identity_decomposerEEEEE10hipError_tT0_T1_T2_jT3_P12ihipStream_tbPNSt15iterator_traitsISE_E10value_typeEPNSK_ISF_E10value_typeEPSG_NS1_7vsmem_tEENKUlT_SE_SF_SG_E_clIS8_S8_S9_S9_EESD_ST_SE_SF_SG_EUlST_E0_NS1_11comp_targetILNS1_3genE8ELNS1_11target_archE1030ELNS1_3gpuE2ELNS1_3repE0EEENS1_38merge_mergepath_config_static_selectorELNS0_4arch9wavefront6targetE0EEEvSF_, .Lfunc_end320-_ZN7rocprim17ROCPRIM_400000_NS6detail17trampoline_kernelINS0_14default_configENS1_38merge_sort_block_merge_config_selectorIaNS0_10empty_typeEEEZZNS1_27merge_sort_block_merge_implIS3_PaPS5_jNS1_19radix_merge_compareILb1ELb1EaNS0_19identity_decomposerEEEEE10hipError_tT0_T1_T2_jT3_P12ihipStream_tbPNSt15iterator_traitsISE_E10value_typeEPNSK_ISF_E10value_typeEPSG_NS1_7vsmem_tEENKUlT_SE_SF_SG_E_clIS8_S8_S9_S9_EESD_ST_SE_SF_SG_EUlST_E0_NS1_11comp_targetILNS1_3genE8ELNS1_11target_archE1030ELNS1_3gpuE2ELNS1_3repE0EEENS1_38merge_mergepath_config_static_selectorELNS0_4arch9wavefront6targetE0EEEvSF_
                                        ; -- End function
	.set _ZN7rocprim17ROCPRIM_400000_NS6detail17trampoline_kernelINS0_14default_configENS1_38merge_sort_block_merge_config_selectorIaNS0_10empty_typeEEEZZNS1_27merge_sort_block_merge_implIS3_PaPS5_jNS1_19radix_merge_compareILb1ELb1EaNS0_19identity_decomposerEEEEE10hipError_tT0_T1_T2_jT3_P12ihipStream_tbPNSt15iterator_traitsISE_E10value_typeEPNSK_ISF_E10value_typeEPSG_NS1_7vsmem_tEENKUlT_SE_SF_SG_E_clIS8_S8_S9_S9_EESD_ST_SE_SF_SG_EUlST_E0_NS1_11comp_targetILNS1_3genE8ELNS1_11target_archE1030ELNS1_3gpuE2ELNS1_3repE0EEENS1_38merge_mergepath_config_static_selectorELNS0_4arch9wavefront6targetE0EEEvSF_.num_vgpr, 0
	.set _ZN7rocprim17ROCPRIM_400000_NS6detail17trampoline_kernelINS0_14default_configENS1_38merge_sort_block_merge_config_selectorIaNS0_10empty_typeEEEZZNS1_27merge_sort_block_merge_implIS3_PaPS5_jNS1_19radix_merge_compareILb1ELb1EaNS0_19identity_decomposerEEEEE10hipError_tT0_T1_T2_jT3_P12ihipStream_tbPNSt15iterator_traitsISE_E10value_typeEPNSK_ISF_E10value_typeEPSG_NS1_7vsmem_tEENKUlT_SE_SF_SG_E_clIS8_S8_S9_S9_EESD_ST_SE_SF_SG_EUlST_E0_NS1_11comp_targetILNS1_3genE8ELNS1_11target_archE1030ELNS1_3gpuE2ELNS1_3repE0EEENS1_38merge_mergepath_config_static_selectorELNS0_4arch9wavefront6targetE0EEEvSF_.num_agpr, 0
	.set _ZN7rocprim17ROCPRIM_400000_NS6detail17trampoline_kernelINS0_14default_configENS1_38merge_sort_block_merge_config_selectorIaNS0_10empty_typeEEEZZNS1_27merge_sort_block_merge_implIS3_PaPS5_jNS1_19radix_merge_compareILb1ELb1EaNS0_19identity_decomposerEEEEE10hipError_tT0_T1_T2_jT3_P12ihipStream_tbPNSt15iterator_traitsISE_E10value_typeEPNSK_ISF_E10value_typeEPSG_NS1_7vsmem_tEENKUlT_SE_SF_SG_E_clIS8_S8_S9_S9_EESD_ST_SE_SF_SG_EUlST_E0_NS1_11comp_targetILNS1_3genE8ELNS1_11target_archE1030ELNS1_3gpuE2ELNS1_3repE0EEENS1_38merge_mergepath_config_static_selectorELNS0_4arch9wavefront6targetE0EEEvSF_.numbered_sgpr, 0
	.set _ZN7rocprim17ROCPRIM_400000_NS6detail17trampoline_kernelINS0_14default_configENS1_38merge_sort_block_merge_config_selectorIaNS0_10empty_typeEEEZZNS1_27merge_sort_block_merge_implIS3_PaPS5_jNS1_19radix_merge_compareILb1ELb1EaNS0_19identity_decomposerEEEEE10hipError_tT0_T1_T2_jT3_P12ihipStream_tbPNSt15iterator_traitsISE_E10value_typeEPNSK_ISF_E10value_typeEPSG_NS1_7vsmem_tEENKUlT_SE_SF_SG_E_clIS8_S8_S9_S9_EESD_ST_SE_SF_SG_EUlST_E0_NS1_11comp_targetILNS1_3genE8ELNS1_11target_archE1030ELNS1_3gpuE2ELNS1_3repE0EEENS1_38merge_mergepath_config_static_selectorELNS0_4arch9wavefront6targetE0EEEvSF_.num_named_barrier, 0
	.set _ZN7rocprim17ROCPRIM_400000_NS6detail17trampoline_kernelINS0_14default_configENS1_38merge_sort_block_merge_config_selectorIaNS0_10empty_typeEEEZZNS1_27merge_sort_block_merge_implIS3_PaPS5_jNS1_19radix_merge_compareILb1ELb1EaNS0_19identity_decomposerEEEEE10hipError_tT0_T1_T2_jT3_P12ihipStream_tbPNSt15iterator_traitsISE_E10value_typeEPNSK_ISF_E10value_typeEPSG_NS1_7vsmem_tEENKUlT_SE_SF_SG_E_clIS8_S8_S9_S9_EESD_ST_SE_SF_SG_EUlST_E0_NS1_11comp_targetILNS1_3genE8ELNS1_11target_archE1030ELNS1_3gpuE2ELNS1_3repE0EEENS1_38merge_mergepath_config_static_selectorELNS0_4arch9wavefront6targetE0EEEvSF_.private_seg_size, 0
	.set _ZN7rocprim17ROCPRIM_400000_NS6detail17trampoline_kernelINS0_14default_configENS1_38merge_sort_block_merge_config_selectorIaNS0_10empty_typeEEEZZNS1_27merge_sort_block_merge_implIS3_PaPS5_jNS1_19radix_merge_compareILb1ELb1EaNS0_19identity_decomposerEEEEE10hipError_tT0_T1_T2_jT3_P12ihipStream_tbPNSt15iterator_traitsISE_E10value_typeEPNSK_ISF_E10value_typeEPSG_NS1_7vsmem_tEENKUlT_SE_SF_SG_E_clIS8_S8_S9_S9_EESD_ST_SE_SF_SG_EUlST_E0_NS1_11comp_targetILNS1_3genE8ELNS1_11target_archE1030ELNS1_3gpuE2ELNS1_3repE0EEENS1_38merge_mergepath_config_static_selectorELNS0_4arch9wavefront6targetE0EEEvSF_.uses_vcc, 0
	.set _ZN7rocprim17ROCPRIM_400000_NS6detail17trampoline_kernelINS0_14default_configENS1_38merge_sort_block_merge_config_selectorIaNS0_10empty_typeEEEZZNS1_27merge_sort_block_merge_implIS3_PaPS5_jNS1_19radix_merge_compareILb1ELb1EaNS0_19identity_decomposerEEEEE10hipError_tT0_T1_T2_jT3_P12ihipStream_tbPNSt15iterator_traitsISE_E10value_typeEPNSK_ISF_E10value_typeEPSG_NS1_7vsmem_tEENKUlT_SE_SF_SG_E_clIS8_S8_S9_S9_EESD_ST_SE_SF_SG_EUlST_E0_NS1_11comp_targetILNS1_3genE8ELNS1_11target_archE1030ELNS1_3gpuE2ELNS1_3repE0EEENS1_38merge_mergepath_config_static_selectorELNS0_4arch9wavefront6targetE0EEEvSF_.uses_flat_scratch, 0
	.set _ZN7rocprim17ROCPRIM_400000_NS6detail17trampoline_kernelINS0_14default_configENS1_38merge_sort_block_merge_config_selectorIaNS0_10empty_typeEEEZZNS1_27merge_sort_block_merge_implIS3_PaPS5_jNS1_19radix_merge_compareILb1ELb1EaNS0_19identity_decomposerEEEEE10hipError_tT0_T1_T2_jT3_P12ihipStream_tbPNSt15iterator_traitsISE_E10value_typeEPNSK_ISF_E10value_typeEPSG_NS1_7vsmem_tEENKUlT_SE_SF_SG_E_clIS8_S8_S9_S9_EESD_ST_SE_SF_SG_EUlST_E0_NS1_11comp_targetILNS1_3genE8ELNS1_11target_archE1030ELNS1_3gpuE2ELNS1_3repE0EEENS1_38merge_mergepath_config_static_selectorELNS0_4arch9wavefront6targetE0EEEvSF_.has_dyn_sized_stack, 0
	.set _ZN7rocprim17ROCPRIM_400000_NS6detail17trampoline_kernelINS0_14default_configENS1_38merge_sort_block_merge_config_selectorIaNS0_10empty_typeEEEZZNS1_27merge_sort_block_merge_implIS3_PaPS5_jNS1_19radix_merge_compareILb1ELb1EaNS0_19identity_decomposerEEEEE10hipError_tT0_T1_T2_jT3_P12ihipStream_tbPNSt15iterator_traitsISE_E10value_typeEPNSK_ISF_E10value_typeEPSG_NS1_7vsmem_tEENKUlT_SE_SF_SG_E_clIS8_S8_S9_S9_EESD_ST_SE_SF_SG_EUlST_E0_NS1_11comp_targetILNS1_3genE8ELNS1_11target_archE1030ELNS1_3gpuE2ELNS1_3repE0EEENS1_38merge_mergepath_config_static_selectorELNS0_4arch9wavefront6targetE0EEEvSF_.has_recursion, 0
	.set _ZN7rocprim17ROCPRIM_400000_NS6detail17trampoline_kernelINS0_14default_configENS1_38merge_sort_block_merge_config_selectorIaNS0_10empty_typeEEEZZNS1_27merge_sort_block_merge_implIS3_PaPS5_jNS1_19radix_merge_compareILb1ELb1EaNS0_19identity_decomposerEEEEE10hipError_tT0_T1_T2_jT3_P12ihipStream_tbPNSt15iterator_traitsISE_E10value_typeEPNSK_ISF_E10value_typeEPSG_NS1_7vsmem_tEENKUlT_SE_SF_SG_E_clIS8_S8_S9_S9_EESD_ST_SE_SF_SG_EUlST_E0_NS1_11comp_targetILNS1_3genE8ELNS1_11target_archE1030ELNS1_3gpuE2ELNS1_3repE0EEENS1_38merge_mergepath_config_static_selectorELNS0_4arch9wavefront6targetE0EEEvSF_.has_indirect_call, 0
	.section	.AMDGPU.csdata,"",@progbits
; Kernel info:
; codeLenInByte = 0
; TotalNumSgprs: 0
; NumVgprs: 0
; ScratchSize: 0
; MemoryBound: 0
; FloatMode: 240
; IeeeMode: 1
; LDSByteSize: 0 bytes/workgroup (compile time only)
; SGPRBlocks: 0
; VGPRBlocks: 0
; NumSGPRsForWavesPerEU: 1
; NumVGPRsForWavesPerEU: 1
; NamedBarCnt: 0
; Occupancy: 16
; WaveLimiterHint : 0
; COMPUTE_PGM_RSRC2:SCRATCH_EN: 0
; COMPUTE_PGM_RSRC2:USER_SGPR: 2
; COMPUTE_PGM_RSRC2:TRAP_HANDLER: 0
; COMPUTE_PGM_RSRC2:TGID_X_EN: 1
; COMPUTE_PGM_RSRC2:TGID_Y_EN: 0
; COMPUTE_PGM_RSRC2:TGID_Z_EN: 0
; COMPUTE_PGM_RSRC2:TIDIG_COMP_CNT: 0
	.section	.text._ZN7rocprim17ROCPRIM_400000_NS6detail17trampoline_kernelINS0_14default_configENS1_38merge_sort_block_merge_config_selectorIaNS0_10empty_typeEEEZZNS1_27merge_sort_block_merge_implIS3_PaPS5_jNS1_19radix_merge_compareILb1ELb1EaNS0_19identity_decomposerEEEEE10hipError_tT0_T1_T2_jT3_P12ihipStream_tbPNSt15iterator_traitsISE_E10value_typeEPNSK_ISF_E10value_typeEPSG_NS1_7vsmem_tEENKUlT_SE_SF_SG_E_clIS8_S8_S9_S9_EESD_ST_SE_SF_SG_EUlST_E1_NS1_11comp_targetILNS1_3genE0ELNS1_11target_archE4294967295ELNS1_3gpuE0ELNS1_3repE0EEENS1_36merge_oddeven_config_static_selectorELNS0_4arch9wavefront6targetE0EEEvSF_,"axG",@progbits,_ZN7rocprim17ROCPRIM_400000_NS6detail17trampoline_kernelINS0_14default_configENS1_38merge_sort_block_merge_config_selectorIaNS0_10empty_typeEEEZZNS1_27merge_sort_block_merge_implIS3_PaPS5_jNS1_19radix_merge_compareILb1ELb1EaNS0_19identity_decomposerEEEEE10hipError_tT0_T1_T2_jT3_P12ihipStream_tbPNSt15iterator_traitsISE_E10value_typeEPNSK_ISF_E10value_typeEPSG_NS1_7vsmem_tEENKUlT_SE_SF_SG_E_clIS8_S8_S9_S9_EESD_ST_SE_SF_SG_EUlST_E1_NS1_11comp_targetILNS1_3genE0ELNS1_11target_archE4294967295ELNS1_3gpuE0ELNS1_3repE0EEENS1_36merge_oddeven_config_static_selectorELNS0_4arch9wavefront6targetE0EEEvSF_,comdat
	.protected	_ZN7rocprim17ROCPRIM_400000_NS6detail17trampoline_kernelINS0_14default_configENS1_38merge_sort_block_merge_config_selectorIaNS0_10empty_typeEEEZZNS1_27merge_sort_block_merge_implIS3_PaPS5_jNS1_19radix_merge_compareILb1ELb1EaNS0_19identity_decomposerEEEEE10hipError_tT0_T1_T2_jT3_P12ihipStream_tbPNSt15iterator_traitsISE_E10value_typeEPNSK_ISF_E10value_typeEPSG_NS1_7vsmem_tEENKUlT_SE_SF_SG_E_clIS8_S8_S9_S9_EESD_ST_SE_SF_SG_EUlST_E1_NS1_11comp_targetILNS1_3genE0ELNS1_11target_archE4294967295ELNS1_3gpuE0ELNS1_3repE0EEENS1_36merge_oddeven_config_static_selectorELNS0_4arch9wavefront6targetE0EEEvSF_ ; -- Begin function _ZN7rocprim17ROCPRIM_400000_NS6detail17trampoline_kernelINS0_14default_configENS1_38merge_sort_block_merge_config_selectorIaNS0_10empty_typeEEEZZNS1_27merge_sort_block_merge_implIS3_PaPS5_jNS1_19radix_merge_compareILb1ELb1EaNS0_19identity_decomposerEEEEE10hipError_tT0_T1_T2_jT3_P12ihipStream_tbPNSt15iterator_traitsISE_E10value_typeEPNSK_ISF_E10value_typeEPSG_NS1_7vsmem_tEENKUlT_SE_SF_SG_E_clIS8_S8_S9_S9_EESD_ST_SE_SF_SG_EUlST_E1_NS1_11comp_targetILNS1_3genE0ELNS1_11target_archE4294967295ELNS1_3gpuE0ELNS1_3repE0EEENS1_36merge_oddeven_config_static_selectorELNS0_4arch9wavefront6targetE0EEEvSF_
	.globl	_ZN7rocprim17ROCPRIM_400000_NS6detail17trampoline_kernelINS0_14default_configENS1_38merge_sort_block_merge_config_selectorIaNS0_10empty_typeEEEZZNS1_27merge_sort_block_merge_implIS3_PaPS5_jNS1_19radix_merge_compareILb1ELb1EaNS0_19identity_decomposerEEEEE10hipError_tT0_T1_T2_jT3_P12ihipStream_tbPNSt15iterator_traitsISE_E10value_typeEPNSK_ISF_E10value_typeEPSG_NS1_7vsmem_tEENKUlT_SE_SF_SG_E_clIS8_S8_S9_S9_EESD_ST_SE_SF_SG_EUlST_E1_NS1_11comp_targetILNS1_3genE0ELNS1_11target_archE4294967295ELNS1_3gpuE0ELNS1_3repE0EEENS1_36merge_oddeven_config_static_selectorELNS0_4arch9wavefront6targetE0EEEvSF_
	.p2align	8
	.type	_ZN7rocprim17ROCPRIM_400000_NS6detail17trampoline_kernelINS0_14default_configENS1_38merge_sort_block_merge_config_selectorIaNS0_10empty_typeEEEZZNS1_27merge_sort_block_merge_implIS3_PaPS5_jNS1_19radix_merge_compareILb1ELb1EaNS0_19identity_decomposerEEEEE10hipError_tT0_T1_T2_jT3_P12ihipStream_tbPNSt15iterator_traitsISE_E10value_typeEPNSK_ISF_E10value_typeEPSG_NS1_7vsmem_tEENKUlT_SE_SF_SG_E_clIS8_S8_S9_S9_EESD_ST_SE_SF_SG_EUlST_E1_NS1_11comp_targetILNS1_3genE0ELNS1_11target_archE4294967295ELNS1_3gpuE0ELNS1_3repE0EEENS1_36merge_oddeven_config_static_selectorELNS0_4arch9wavefront6targetE0EEEvSF_,@function
_ZN7rocprim17ROCPRIM_400000_NS6detail17trampoline_kernelINS0_14default_configENS1_38merge_sort_block_merge_config_selectorIaNS0_10empty_typeEEEZZNS1_27merge_sort_block_merge_implIS3_PaPS5_jNS1_19radix_merge_compareILb1ELb1EaNS0_19identity_decomposerEEEEE10hipError_tT0_T1_T2_jT3_P12ihipStream_tbPNSt15iterator_traitsISE_E10value_typeEPNSK_ISF_E10value_typeEPSG_NS1_7vsmem_tEENKUlT_SE_SF_SG_E_clIS8_S8_S9_S9_EESD_ST_SE_SF_SG_EUlST_E1_NS1_11comp_targetILNS1_3genE0ELNS1_11target_archE4294967295ELNS1_3gpuE0ELNS1_3repE0EEENS1_36merge_oddeven_config_static_selectorELNS0_4arch9wavefront6targetE0EEEvSF_: ; @_ZN7rocprim17ROCPRIM_400000_NS6detail17trampoline_kernelINS0_14default_configENS1_38merge_sort_block_merge_config_selectorIaNS0_10empty_typeEEEZZNS1_27merge_sort_block_merge_implIS3_PaPS5_jNS1_19radix_merge_compareILb1ELb1EaNS0_19identity_decomposerEEEEE10hipError_tT0_T1_T2_jT3_P12ihipStream_tbPNSt15iterator_traitsISE_E10value_typeEPNSK_ISF_E10value_typeEPSG_NS1_7vsmem_tEENKUlT_SE_SF_SG_E_clIS8_S8_S9_S9_EESD_ST_SE_SF_SG_EUlST_E1_NS1_11comp_targetILNS1_3genE0ELNS1_11target_archE4294967295ELNS1_3gpuE0ELNS1_3repE0EEENS1_36merge_oddeven_config_static_selectorELNS0_4arch9wavefront6targetE0EEEvSF_
; %bb.0:
	s_load_b32 s11, s[0:1], 0x20
	s_bfe_u32 s2, ttmp6, 0x4000c
	s_and_b32 s3, ttmp6, 15
	s_add_co_i32 s2, s2, 1
	s_getreg_b32 s4, hwreg(HW_REG_IB_STS2, 6, 4)
	s_mul_i32 s2, ttmp9, s2
	s_mov_b32 s9, 0
	s_add_co_i32 s3, s3, s2
	s_cmp_eq_u32 s4, 0
	s_cselect_b32 s2, ttmp9, s3
	s_wait_kmcnt 0x0
	s_lshr_b32 s3, s11, 8
	s_delay_alu instid0(SALU_CYCLE_1) | instskip(SKIP_4) | instid1(SALU_CYCLE_1)
	s_cmp_lg_u32 s2, s3
	s_cselect_b32 s15, -1, 0
	s_cmp_eq_u32 s2, s3
	s_cselect_b32 s12, -1, 0
	s_lshl_b32 s8, s2, 8
	s_sub_co_i32 s3, s11, s8
	s_delay_alu instid0(SALU_CYCLE_1) | instskip(SKIP_1) | instid1(SALU_CYCLE_1)
	v_cmp_gt_u32_e64 s3, s3, v0
	s_or_b32 s4, s15, s3
	s_and_saveexec_b32 s5, s4
	s_cbranch_execz .LBB321_20
; %bb.1:
	s_clause 0x1
	s_load_b128 s[4:7], s[0:1], 0x0
	s_load_b32 s13, s[0:1], 0x24
	v_add_nc_u32_e32 v3, s8, v0
	s_wait_kmcnt 0x0
	s_add_nc_u64 s[16:17], s[4:5], s[8:9]
	s_lshr_b32 s10, s13, 8
	global_load_u8 v1, v0, s[16:17]
	s_sub_co_i32 s14, 0, s10
	s_wait_xcnt 0x0
	s_sub_co_i32 s16, 0, s13
	s_and_b32 s2, s2, s14
	s_delay_alu instid0(SALU_CYCLE_1) | instskip(SKIP_3) | instid1(SALU_CYCLE_1)
	s_and_b32 s10, s2, s10
	s_lshl_b32 s14, s2, 8
	s_cmp_eq_u32 s10, 0
	s_cselect_b32 s2, -1, 0
	s_and_b32 s10, s2, exec_lo
	s_cselect_b32 s10, s13, s16
	s_delay_alu instid0(SALU_CYCLE_1) | instskip(NEXT) | instid1(SALU_CYCLE_1)
	s_add_co_i32 s10, s10, s14
	s_cmp_gt_u32 s11, s10
	s_cbranch_scc1 .LBB321_3
; %bb.2:
	v_cmp_gt_u32_e32 vcc_lo, s11, v3
	s_or_b32 s9, vcc_lo, s15
	s_delay_alu instid0(SALU_CYCLE_1)
	s_and_b32 s9, s9, exec_lo
	s_cbranch_execz .LBB321_4
	s_branch .LBB321_18
.LBB321_3:
.LBB321_4:
	s_load_b32 s0, s[0:1], 0x28
	s_wait_xcnt 0x0
	s_min_u32 s1, s10, s11
	s_and_b32 vcc_lo, exec_lo, s12
	s_add_co_i32 s8, s14, s1
	s_add_co_i32 s13, s1, s13
	v_subrev_nc_u32_e32 v0, s8, v3
	s_min_u32 s8, s14, s1
	s_delay_alu instid0(VALU_DEP_1) | instid1(SALU_CYCLE_1)
	v_add_nc_u32_e32 v0, s8, v0
	s_min_u32 s8, s13, s11
	s_wait_loadcnt 0x0
	s_wait_kmcnt 0x0
	v_and_b32_e32 v2, s0, v1
	s_delay_alu instid0(VALU_DEP_1)
	v_bfe_i32 v2, v2, 0, 8
	s_cbranch_vccz .LBB321_12
; %bb.5:
                                        ; implicit-def: $vgpr3
	s_and_saveexec_b32 s11, s3
	s_cbranch_execz .LBB321_11
; %bb.6:
	v_mov_b32_e32 v3, s1
	s_cmp_ge_u32 s10, s8
	s_cbranch_scc1 .LBB321_10
; %bb.7:
	v_dual_mov_b32 v4, s8 :: v_dual_mov_b32 v3, s1
	s_mov_b32 s3, 0
.LBB321_8:                              ; =>This Inner Loop Header: Depth=1
	s_delay_alu instid0(VALU_DEP_1) | instskip(NEXT) | instid1(VALU_DEP_1)
	v_add_nc_u32_e32 v5, v3, v4
	v_lshrrev_b32_e32 v5, 1, v5
	global_load_u8 v6, v5, s[4:5]
	s_wait_loadcnt 0x0
	v_and_b32_e32 v6, s0, v6
	s_delay_alu instid0(VALU_DEP_1) | instskip(NEXT) | instid1(VALU_DEP_1)
	v_bfe_i32 v6, v6, 0, 8
	v_cmp_gt_i16_e32 vcc_lo, v6, v2
	v_cndmask_b32_e64 v7, 0, 1, vcc_lo
	v_cmp_le_i16_e32 vcc_lo, v2, v6
	v_cndmask_b32_e64 v6, 0, 1, vcc_lo
	s_delay_alu instid0(VALU_DEP_1) | instskip(NEXT) | instid1(VALU_DEP_1)
	v_dual_cndmask_b32 v6, v6, v7, s2 :: v_dual_add_nc_u32 v7, 1, v5
	v_and_b32_e32 v6, 1, v6
	s_delay_alu instid0(VALU_DEP_1) | instskip(NEXT) | instid1(VALU_DEP_3)
	v_cmp_eq_u32_e32 vcc_lo, 1, v6
	v_dual_cndmask_b32 v4, v5, v4 :: v_dual_cndmask_b32 v3, v3, v7
	s_delay_alu instid0(VALU_DEP_1) | instskip(SKIP_1) | instid1(SALU_CYCLE_1)
	v_cmp_ge_u32_e32 vcc_lo, v3, v4
	s_or_b32 s3, vcc_lo, s3
	s_and_not1_b32 exec_lo, exec_lo, s3
	s_cbranch_execnz .LBB321_8
; %bb.9:
	s_or_b32 exec_lo, exec_lo, s3
.LBB321_10:
	s_delay_alu instid0(VALU_DEP_1)
	v_add_nc_u32_e32 v3, v3, v0
	s_or_b32 s9, s9, exec_lo
.LBB321_11:
	s_or_b32 exec_lo, exec_lo, s11
	s_branch .LBB321_18
.LBB321_12:
                                        ; implicit-def: $vgpr3
	s_cbranch_execz .LBB321_18
; %bb.13:
	v_mov_b32_e32 v3, s1
	s_cmp_ge_u32 s10, s8
	s_cbranch_scc1 .LBB321_17
; %bb.14:
	v_dual_mov_b32 v4, s8 :: v_dual_mov_b32 v3, s1
	s_mov_b32 s1, 0
.LBB321_15:                             ; =>This Inner Loop Header: Depth=1
	s_delay_alu instid0(VALU_DEP_1) | instskip(NEXT) | instid1(VALU_DEP_1)
	v_add_nc_u32_e32 v5, v3, v4
	v_lshrrev_b32_e32 v5, 1, v5
	global_load_u8 v6, v5, s[4:5]
	s_wait_loadcnt 0x0
	v_and_b32_e32 v6, s0, v6
	s_delay_alu instid0(VALU_DEP_1) | instskip(NEXT) | instid1(VALU_DEP_1)
	v_bfe_i32 v6, v6, 0, 8
	v_cmp_gt_i16_e32 vcc_lo, v6, v2
	v_cndmask_b32_e64 v7, 0, 1, vcc_lo
	v_cmp_le_i16_e32 vcc_lo, v2, v6
	v_cndmask_b32_e64 v6, 0, 1, vcc_lo
	s_delay_alu instid0(VALU_DEP_1) | instskip(NEXT) | instid1(VALU_DEP_1)
	v_dual_cndmask_b32 v6, v6, v7, s2 :: v_dual_add_nc_u32 v7, 1, v5
	v_and_b32_e32 v6, 1, v6
	s_delay_alu instid0(VALU_DEP_1) | instskip(NEXT) | instid1(VALU_DEP_3)
	v_cmp_eq_u32_e32 vcc_lo, 1, v6
	v_dual_cndmask_b32 v4, v5, v4 :: v_dual_cndmask_b32 v3, v3, v7
	s_delay_alu instid0(VALU_DEP_1) | instskip(SKIP_1) | instid1(SALU_CYCLE_1)
	v_cmp_ge_u32_e32 vcc_lo, v3, v4
	s_or_b32 s1, vcc_lo, s1
	s_and_not1_b32 exec_lo, exec_lo, s1
	s_cbranch_execnz .LBB321_15
; %bb.16:
	s_or_b32 exec_lo, exec_lo, s1
.LBB321_17:
	s_delay_alu instid0(VALU_DEP_1)
	v_add_nc_u32_e32 v3, v3, v0
	s_mov_b32 s9, -1
.LBB321_18:
	s_delay_alu instid0(SALU_CYCLE_1)
	s_and_b32 exec_lo, exec_lo, s9
	s_cbranch_execz .LBB321_20
; %bb.19:
	s_wait_loadcnt 0x0
	global_store_b8 v3, v1, s[6:7]
.LBB321_20:
	s_endpgm
	.section	.rodata,"a",@progbits
	.p2align	6, 0x0
	.amdhsa_kernel _ZN7rocprim17ROCPRIM_400000_NS6detail17trampoline_kernelINS0_14default_configENS1_38merge_sort_block_merge_config_selectorIaNS0_10empty_typeEEEZZNS1_27merge_sort_block_merge_implIS3_PaPS5_jNS1_19radix_merge_compareILb1ELb1EaNS0_19identity_decomposerEEEEE10hipError_tT0_T1_T2_jT3_P12ihipStream_tbPNSt15iterator_traitsISE_E10value_typeEPNSK_ISF_E10value_typeEPSG_NS1_7vsmem_tEENKUlT_SE_SF_SG_E_clIS8_S8_S9_S9_EESD_ST_SE_SF_SG_EUlST_E1_NS1_11comp_targetILNS1_3genE0ELNS1_11target_archE4294967295ELNS1_3gpuE0ELNS1_3repE0EEENS1_36merge_oddeven_config_static_selectorELNS0_4arch9wavefront6targetE0EEEvSF_
		.amdhsa_group_segment_fixed_size 0
		.amdhsa_private_segment_fixed_size 0
		.amdhsa_kernarg_size 48
		.amdhsa_user_sgpr_count 2
		.amdhsa_user_sgpr_dispatch_ptr 0
		.amdhsa_user_sgpr_queue_ptr 0
		.amdhsa_user_sgpr_kernarg_segment_ptr 1
		.amdhsa_user_sgpr_dispatch_id 0
		.amdhsa_user_sgpr_kernarg_preload_length 0
		.amdhsa_user_sgpr_kernarg_preload_offset 0
		.amdhsa_user_sgpr_private_segment_size 0
		.amdhsa_wavefront_size32 1
		.amdhsa_uses_dynamic_stack 0
		.amdhsa_enable_private_segment 0
		.amdhsa_system_sgpr_workgroup_id_x 1
		.amdhsa_system_sgpr_workgroup_id_y 0
		.amdhsa_system_sgpr_workgroup_id_z 0
		.amdhsa_system_sgpr_workgroup_info 0
		.amdhsa_system_vgpr_workitem_id 0
		.amdhsa_next_free_vgpr 8
		.amdhsa_next_free_sgpr 18
		.amdhsa_named_barrier_count 0
		.amdhsa_reserve_vcc 1
		.amdhsa_float_round_mode_32 0
		.amdhsa_float_round_mode_16_64 0
		.amdhsa_float_denorm_mode_32 3
		.amdhsa_float_denorm_mode_16_64 3
		.amdhsa_fp16_overflow 0
		.amdhsa_memory_ordered 1
		.amdhsa_forward_progress 1
		.amdhsa_inst_pref_size 6
		.amdhsa_round_robin_scheduling 0
		.amdhsa_exception_fp_ieee_invalid_op 0
		.amdhsa_exception_fp_denorm_src 0
		.amdhsa_exception_fp_ieee_div_zero 0
		.amdhsa_exception_fp_ieee_overflow 0
		.amdhsa_exception_fp_ieee_underflow 0
		.amdhsa_exception_fp_ieee_inexact 0
		.amdhsa_exception_int_div_zero 0
	.end_amdhsa_kernel
	.section	.text._ZN7rocprim17ROCPRIM_400000_NS6detail17trampoline_kernelINS0_14default_configENS1_38merge_sort_block_merge_config_selectorIaNS0_10empty_typeEEEZZNS1_27merge_sort_block_merge_implIS3_PaPS5_jNS1_19radix_merge_compareILb1ELb1EaNS0_19identity_decomposerEEEEE10hipError_tT0_T1_T2_jT3_P12ihipStream_tbPNSt15iterator_traitsISE_E10value_typeEPNSK_ISF_E10value_typeEPSG_NS1_7vsmem_tEENKUlT_SE_SF_SG_E_clIS8_S8_S9_S9_EESD_ST_SE_SF_SG_EUlST_E1_NS1_11comp_targetILNS1_3genE0ELNS1_11target_archE4294967295ELNS1_3gpuE0ELNS1_3repE0EEENS1_36merge_oddeven_config_static_selectorELNS0_4arch9wavefront6targetE0EEEvSF_,"axG",@progbits,_ZN7rocprim17ROCPRIM_400000_NS6detail17trampoline_kernelINS0_14default_configENS1_38merge_sort_block_merge_config_selectorIaNS0_10empty_typeEEEZZNS1_27merge_sort_block_merge_implIS3_PaPS5_jNS1_19radix_merge_compareILb1ELb1EaNS0_19identity_decomposerEEEEE10hipError_tT0_T1_T2_jT3_P12ihipStream_tbPNSt15iterator_traitsISE_E10value_typeEPNSK_ISF_E10value_typeEPSG_NS1_7vsmem_tEENKUlT_SE_SF_SG_E_clIS8_S8_S9_S9_EESD_ST_SE_SF_SG_EUlST_E1_NS1_11comp_targetILNS1_3genE0ELNS1_11target_archE4294967295ELNS1_3gpuE0ELNS1_3repE0EEENS1_36merge_oddeven_config_static_selectorELNS0_4arch9wavefront6targetE0EEEvSF_,comdat
.Lfunc_end321:
	.size	_ZN7rocprim17ROCPRIM_400000_NS6detail17trampoline_kernelINS0_14default_configENS1_38merge_sort_block_merge_config_selectorIaNS0_10empty_typeEEEZZNS1_27merge_sort_block_merge_implIS3_PaPS5_jNS1_19radix_merge_compareILb1ELb1EaNS0_19identity_decomposerEEEEE10hipError_tT0_T1_T2_jT3_P12ihipStream_tbPNSt15iterator_traitsISE_E10value_typeEPNSK_ISF_E10value_typeEPSG_NS1_7vsmem_tEENKUlT_SE_SF_SG_E_clIS8_S8_S9_S9_EESD_ST_SE_SF_SG_EUlST_E1_NS1_11comp_targetILNS1_3genE0ELNS1_11target_archE4294967295ELNS1_3gpuE0ELNS1_3repE0EEENS1_36merge_oddeven_config_static_selectorELNS0_4arch9wavefront6targetE0EEEvSF_, .Lfunc_end321-_ZN7rocprim17ROCPRIM_400000_NS6detail17trampoline_kernelINS0_14default_configENS1_38merge_sort_block_merge_config_selectorIaNS0_10empty_typeEEEZZNS1_27merge_sort_block_merge_implIS3_PaPS5_jNS1_19radix_merge_compareILb1ELb1EaNS0_19identity_decomposerEEEEE10hipError_tT0_T1_T2_jT3_P12ihipStream_tbPNSt15iterator_traitsISE_E10value_typeEPNSK_ISF_E10value_typeEPSG_NS1_7vsmem_tEENKUlT_SE_SF_SG_E_clIS8_S8_S9_S9_EESD_ST_SE_SF_SG_EUlST_E1_NS1_11comp_targetILNS1_3genE0ELNS1_11target_archE4294967295ELNS1_3gpuE0ELNS1_3repE0EEENS1_36merge_oddeven_config_static_selectorELNS0_4arch9wavefront6targetE0EEEvSF_
                                        ; -- End function
	.set _ZN7rocprim17ROCPRIM_400000_NS6detail17trampoline_kernelINS0_14default_configENS1_38merge_sort_block_merge_config_selectorIaNS0_10empty_typeEEEZZNS1_27merge_sort_block_merge_implIS3_PaPS5_jNS1_19radix_merge_compareILb1ELb1EaNS0_19identity_decomposerEEEEE10hipError_tT0_T1_T2_jT3_P12ihipStream_tbPNSt15iterator_traitsISE_E10value_typeEPNSK_ISF_E10value_typeEPSG_NS1_7vsmem_tEENKUlT_SE_SF_SG_E_clIS8_S8_S9_S9_EESD_ST_SE_SF_SG_EUlST_E1_NS1_11comp_targetILNS1_3genE0ELNS1_11target_archE4294967295ELNS1_3gpuE0ELNS1_3repE0EEENS1_36merge_oddeven_config_static_selectorELNS0_4arch9wavefront6targetE0EEEvSF_.num_vgpr, 8
	.set _ZN7rocprim17ROCPRIM_400000_NS6detail17trampoline_kernelINS0_14default_configENS1_38merge_sort_block_merge_config_selectorIaNS0_10empty_typeEEEZZNS1_27merge_sort_block_merge_implIS3_PaPS5_jNS1_19radix_merge_compareILb1ELb1EaNS0_19identity_decomposerEEEEE10hipError_tT0_T1_T2_jT3_P12ihipStream_tbPNSt15iterator_traitsISE_E10value_typeEPNSK_ISF_E10value_typeEPSG_NS1_7vsmem_tEENKUlT_SE_SF_SG_E_clIS8_S8_S9_S9_EESD_ST_SE_SF_SG_EUlST_E1_NS1_11comp_targetILNS1_3genE0ELNS1_11target_archE4294967295ELNS1_3gpuE0ELNS1_3repE0EEENS1_36merge_oddeven_config_static_selectorELNS0_4arch9wavefront6targetE0EEEvSF_.num_agpr, 0
	.set _ZN7rocprim17ROCPRIM_400000_NS6detail17trampoline_kernelINS0_14default_configENS1_38merge_sort_block_merge_config_selectorIaNS0_10empty_typeEEEZZNS1_27merge_sort_block_merge_implIS3_PaPS5_jNS1_19radix_merge_compareILb1ELb1EaNS0_19identity_decomposerEEEEE10hipError_tT0_T1_T2_jT3_P12ihipStream_tbPNSt15iterator_traitsISE_E10value_typeEPNSK_ISF_E10value_typeEPSG_NS1_7vsmem_tEENKUlT_SE_SF_SG_E_clIS8_S8_S9_S9_EESD_ST_SE_SF_SG_EUlST_E1_NS1_11comp_targetILNS1_3genE0ELNS1_11target_archE4294967295ELNS1_3gpuE0ELNS1_3repE0EEENS1_36merge_oddeven_config_static_selectorELNS0_4arch9wavefront6targetE0EEEvSF_.numbered_sgpr, 18
	.set _ZN7rocprim17ROCPRIM_400000_NS6detail17trampoline_kernelINS0_14default_configENS1_38merge_sort_block_merge_config_selectorIaNS0_10empty_typeEEEZZNS1_27merge_sort_block_merge_implIS3_PaPS5_jNS1_19radix_merge_compareILb1ELb1EaNS0_19identity_decomposerEEEEE10hipError_tT0_T1_T2_jT3_P12ihipStream_tbPNSt15iterator_traitsISE_E10value_typeEPNSK_ISF_E10value_typeEPSG_NS1_7vsmem_tEENKUlT_SE_SF_SG_E_clIS8_S8_S9_S9_EESD_ST_SE_SF_SG_EUlST_E1_NS1_11comp_targetILNS1_3genE0ELNS1_11target_archE4294967295ELNS1_3gpuE0ELNS1_3repE0EEENS1_36merge_oddeven_config_static_selectorELNS0_4arch9wavefront6targetE0EEEvSF_.num_named_barrier, 0
	.set _ZN7rocprim17ROCPRIM_400000_NS6detail17trampoline_kernelINS0_14default_configENS1_38merge_sort_block_merge_config_selectorIaNS0_10empty_typeEEEZZNS1_27merge_sort_block_merge_implIS3_PaPS5_jNS1_19radix_merge_compareILb1ELb1EaNS0_19identity_decomposerEEEEE10hipError_tT0_T1_T2_jT3_P12ihipStream_tbPNSt15iterator_traitsISE_E10value_typeEPNSK_ISF_E10value_typeEPSG_NS1_7vsmem_tEENKUlT_SE_SF_SG_E_clIS8_S8_S9_S9_EESD_ST_SE_SF_SG_EUlST_E1_NS1_11comp_targetILNS1_3genE0ELNS1_11target_archE4294967295ELNS1_3gpuE0ELNS1_3repE0EEENS1_36merge_oddeven_config_static_selectorELNS0_4arch9wavefront6targetE0EEEvSF_.private_seg_size, 0
	.set _ZN7rocprim17ROCPRIM_400000_NS6detail17trampoline_kernelINS0_14default_configENS1_38merge_sort_block_merge_config_selectorIaNS0_10empty_typeEEEZZNS1_27merge_sort_block_merge_implIS3_PaPS5_jNS1_19radix_merge_compareILb1ELb1EaNS0_19identity_decomposerEEEEE10hipError_tT0_T1_T2_jT3_P12ihipStream_tbPNSt15iterator_traitsISE_E10value_typeEPNSK_ISF_E10value_typeEPSG_NS1_7vsmem_tEENKUlT_SE_SF_SG_E_clIS8_S8_S9_S9_EESD_ST_SE_SF_SG_EUlST_E1_NS1_11comp_targetILNS1_3genE0ELNS1_11target_archE4294967295ELNS1_3gpuE0ELNS1_3repE0EEENS1_36merge_oddeven_config_static_selectorELNS0_4arch9wavefront6targetE0EEEvSF_.uses_vcc, 1
	.set _ZN7rocprim17ROCPRIM_400000_NS6detail17trampoline_kernelINS0_14default_configENS1_38merge_sort_block_merge_config_selectorIaNS0_10empty_typeEEEZZNS1_27merge_sort_block_merge_implIS3_PaPS5_jNS1_19radix_merge_compareILb1ELb1EaNS0_19identity_decomposerEEEEE10hipError_tT0_T1_T2_jT3_P12ihipStream_tbPNSt15iterator_traitsISE_E10value_typeEPNSK_ISF_E10value_typeEPSG_NS1_7vsmem_tEENKUlT_SE_SF_SG_E_clIS8_S8_S9_S9_EESD_ST_SE_SF_SG_EUlST_E1_NS1_11comp_targetILNS1_3genE0ELNS1_11target_archE4294967295ELNS1_3gpuE0ELNS1_3repE0EEENS1_36merge_oddeven_config_static_selectorELNS0_4arch9wavefront6targetE0EEEvSF_.uses_flat_scratch, 0
	.set _ZN7rocprim17ROCPRIM_400000_NS6detail17trampoline_kernelINS0_14default_configENS1_38merge_sort_block_merge_config_selectorIaNS0_10empty_typeEEEZZNS1_27merge_sort_block_merge_implIS3_PaPS5_jNS1_19radix_merge_compareILb1ELb1EaNS0_19identity_decomposerEEEEE10hipError_tT0_T1_T2_jT3_P12ihipStream_tbPNSt15iterator_traitsISE_E10value_typeEPNSK_ISF_E10value_typeEPSG_NS1_7vsmem_tEENKUlT_SE_SF_SG_E_clIS8_S8_S9_S9_EESD_ST_SE_SF_SG_EUlST_E1_NS1_11comp_targetILNS1_3genE0ELNS1_11target_archE4294967295ELNS1_3gpuE0ELNS1_3repE0EEENS1_36merge_oddeven_config_static_selectorELNS0_4arch9wavefront6targetE0EEEvSF_.has_dyn_sized_stack, 0
	.set _ZN7rocprim17ROCPRIM_400000_NS6detail17trampoline_kernelINS0_14default_configENS1_38merge_sort_block_merge_config_selectorIaNS0_10empty_typeEEEZZNS1_27merge_sort_block_merge_implIS3_PaPS5_jNS1_19radix_merge_compareILb1ELb1EaNS0_19identity_decomposerEEEEE10hipError_tT0_T1_T2_jT3_P12ihipStream_tbPNSt15iterator_traitsISE_E10value_typeEPNSK_ISF_E10value_typeEPSG_NS1_7vsmem_tEENKUlT_SE_SF_SG_E_clIS8_S8_S9_S9_EESD_ST_SE_SF_SG_EUlST_E1_NS1_11comp_targetILNS1_3genE0ELNS1_11target_archE4294967295ELNS1_3gpuE0ELNS1_3repE0EEENS1_36merge_oddeven_config_static_selectorELNS0_4arch9wavefront6targetE0EEEvSF_.has_recursion, 0
	.set _ZN7rocprim17ROCPRIM_400000_NS6detail17trampoline_kernelINS0_14default_configENS1_38merge_sort_block_merge_config_selectorIaNS0_10empty_typeEEEZZNS1_27merge_sort_block_merge_implIS3_PaPS5_jNS1_19radix_merge_compareILb1ELb1EaNS0_19identity_decomposerEEEEE10hipError_tT0_T1_T2_jT3_P12ihipStream_tbPNSt15iterator_traitsISE_E10value_typeEPNSK_ISF_E10value_typeEPSG_NS1_7vsmem_tEENKUlT_SE_SF_SG_E_clIS8_S8_S9_S9_EESD_ST_SE_SF_SG_EUlST_E1_NS1_11comp_targetILNS1_3genE0ELNS1_11target_archE4294967295ELNS1_3gpuE0ELNS1_3repE0EEENS1_36merge_oddeven_config_static_selectorELNS0_4arch9wavefront6targetE0EEEvSF_.has_indirect_call, 0
	.section	.AMDGPU.csdata,"",@progbits
; Kernel info:
; codeLenInByte = 696
; TotalNumSgprs: 20
; NumVgprs: 8
; ScratchSize: 0
; MemoryBound: 0
; FloatMode: 240
; IeeeMode: 1
; LDSByteSize: 0 bytes/workgroup (compile time only)
; SGPRBlocks: 0
; VGPRBlocks: 0
; NumSGPRsForWavesPerEU: 20
; NumVGPRsForWavesPerEU: 8
; NamedBarCnt: 0
; Occupancy: 16
; WaveLimiterHint : 0
; COMPUTE_PGM_RSRC2:SCRATCH_EN: 0
; COMPUTE_PGM_RSRC2:USER_SGPR: 2
; COMPUTE_PGM_RSRC2:TRAP_HANDLER: 0
; COMPUTE_PGM_RSRC2:TGID_X_EN: 1
; COMPUTE_PGM_RSRC2:TGID_Y_EN: 0
; COMPUTE_PGM_RSRC2:TGID_Z_EN: 0
; COMPUTE_PGM_RSRC2:TIDIG_COMP_CNT: 0
	.section	.text._ZN7rocprim17ROCPRIM_400000_NS6detail17trampoline_kernelINS0_14default_configENS1_38merge_sort_block_merge_config_selectorIaNS0_10empty_typeEEEZZNS1_27merge_sort_block_merge_implIS3_PaPS5_jNS1_19radix_merge_compareILb1ELb1EaNS0_19identity_decomposerEEEEE10hipError_tT0_T1_T2_jT3_P12ihipStream_tbPNSt15iterator_traitsISE_E10value_typeEPNSK_ISF_E10value_typeEPSG_NS1_7vsmem_tEENKUlT_SE_SF_SG_E_clIS8_S8_S9_S9_EESD_ST_SE_SF_SG_EUlST_E1_NS1_11comp_targetILNS1_3genE10ELNS1_11target_archE1201ELNS1_3gpuE5ELNS1_3repE0EEENS1_36merge_oddeven_config_static_selectorELNS0_4arch9wavefront6targetE0EEEvSF_,"axG",@progbits,_ZN7rocprim17ROCPRIM_400000_NS6detail17trampoline_kernelINS0_14default_configENS1_38merge_sort_block_merge_config_selectorIaNS0_10empty_typeEEEZZNS1_27merge_sort_block_merge_implIS3_PaPS5_jNS1_19radix_merge_compareILb1ELb1EaNS0_19identity_decomposerEEEEE10hipError_tT0_T1_T2_jT3_P12ihipStream_tbPNSt15iterator_traitsISE_E10value_typeEPNSK_ISF_E10value_typeEPSG_NS1_7vsmem_tEENKUlT_SE_SF_SG_E_clIS8_S8_S9_S9_EESD_ST_SE_SF_SG_EUlST_E1_NS1_11comp_targetILNS1_3genE10ELNS1_11target_archE1201ELNS1_3gpuE5ELNS1_3repE0EEENS1_36merge_oddeven_config_static_selectorELNS0_4arch9wavefront6targetE0EEEvSF_,comdat
	.protected	_ZN7rocprim17ROCPRIM_400000_NS6detail17trampoline_kernelINS0_14default_configENS1_38merge_sort_block_merge_config_selectorIaNS0_10empty_typeEEEZZNS1_27merge_sort_block_merge_implIS3_PaPS5_jNS1_19radix_merge_compareILb1ELb1EaNS0_19identity_decomposerEEEEE10hipError_tT0_T1_T2_jT3_P12ihipStream_tbPNSt15iterator_traitsISE_E10value_typeEPNSK_ISF_E10value_typeEPSG_NS1_7vsmem_tEENKUlT_SE_SF_SG_E_clIS8_S8_S9_S9_EESD_ST_SE_SF_SG_EUlST_E1_NS1_11comp_targetILNS1_3genE10ELNS1_11target_archE1201ELNS1_3gpuE5ELNS1_3repE0EEENS1_36merge_oddeven_config_static_selectorELNS0_4arch9wavefront6targetE0EEEvSF_ ; -- Begin function _ZN7rocprim17ROCPRIM_400000_NS6detail17trampoline_kernelINS0_14default_configENS1_38merge_sort_block_merge_config_selectorIaNS0_10empty_typeEEEZZNS1_27merge_sort_block_merge_implIS3_PaPS5_jNS1_19radix_merge_compareILb1ELb1EaNS0_19identity_decomposerEEEEE10hipError_tT0_T1_T2_jT3_P12ihipStream_tbPNSt15iterator_traitsISE_E10value_typeEPNSK_ISF_E10value_typeEPSG_NS1_7vsmem_tEENKUlT_SE_SF_SG_E_clIS8_S8_S9_S9_EESD_ST_SE_SF_SG_EUlST_E1_NS1_11comp_targetILNS1_3genE10ELNS1_11target_archE1201ELNS1_3gpuE5ELNS1_3repE0EEENS1_36merge_oddeven_config_static_selectorELNS0_4arch9wavefront6targetE0EEEvSF_
	.globl	_ZN7rocprim17ROCPRIM_400000_NS6detail17trampoline_kernelINS0_14default_configENS1_38merge_sort_block_merge_config_selectorIaNS0_10empty_typeEEEZZNS1_27merge_sort_block_merge_implIS3_PaPS5_jNS1_19radix_merge_compareILb1ELb1EaNS0_19identity_decomposerEEEEE10hipError_tT0_T1_T2_jT3_P12ihipStream_tbPNSt15iterator_traitsISE_E10value_typeEPNSK_ISF_E10value_typeEPSG_NS1_7vsmem_tEENKUlT_SE_SF_SG_E_clIS8_S8_S9_S9_EESD_ST_SE_SF_SG_EUlST_E1_NS1_11comp_targetILNS1_3genE10ELNS1_11target_archE1201ELNS1_3gpuE5ELNS1_3repE0EEENS1_36merge_oddeven_config_static_selectorELNS0_4arch9wavefront6targetE0EEEvSF_
	.p2align	8
	.type	_ZN7rocprim17ROCPRIM_400000_NS6detail17trampoline_kernelINS0_14default_configENS1_38merge_sort_block_merge_config_selectorIaNS0_10empty_typeEEEZZNS1_27merge_sort_block_merge_implIS3_PaPS5_jNS1_19radix_merge_compareILb1ELb1EaNS0_19identity_decomposerEEEEE10hipError_tT0_T1_T2_jT3_P12ihipStream_tbPNSt15iterator_traitsISE_E10value_typeEPNSK_ISF_E10value_typeEPSG_NS1_7vsmem_tEENKUlT_SE_SF_SG_E_clIS8_S8_S9_S9_EESD_ST_SE_SF_SG_EUlST_E1_NS1_11comp_targetILNS1_3genE10ELNS1_11target_archE1201ELNS1_3gpuE5ELNS1_3repE0EEENS1_36merge_oddeven_config_static_selectorELNS0_4arch9wavefront6targetE0EEEvSF_,@function
_ZN7rocprim17ROCPRIM_400000_NS6detail17trampoline_kernelINS0_14default_configENS1_38merge_sort_block_merge_config_selectorIaNS0_10empty_typeEEEZZNS1_27merge_sort_block_merge_implIS3_PaPS5_jNS1_19radix_merge_compareILb1ELb1EaNS0_19identity_decomposerEEEEE10hipError_tT0_T1_T2_jT3_P12ihipStream_tbPNSt15iterator_traitsISE_E10value_typeEPNSK_ISF_E10value_typeEPSG_NS1_7vsmem_tEENKUlT_SE_SF_SG_E_clIS8_S8_S9_S9_EESD_ST_SE_SF_SG_EUlST_E1_NS1_11comp_targetILNS1_3genE10ELNS1_11target_archE1201ELNS1_3gpuE5ELNS1_3repE0EEENS1_36merge_oddeven_config_static_selectorELNS0_4arch9wavefront6targetE0EEEvSF_: ; @_ZN7rocprim17ROCPRIM_400000_NS6detail17trampoline_kernelINS0_14default_configENS1_38merge_sort_block_merge_config_selectorIaNS0_10empty_typeEEEZZNS1_27merge_sort_block_merge_implIS3_PaPS5_jNS1_19radix_merge_compareILb1ELb1EaNS0_19identity_decomposerEEEEE10hipError_tT0_T1_T2_jT3_P12ihipStream_tbPNSt15iterator_traitsISE_E10value_typeEPNSK_ISF_E10value_typeEPSG_NS1_7vsmem_tEENKUlT_SE_SF_SG_E_clIS8_S8_S9_S9_EESD_ST_SE_SF_SG_EUlST_E1_NS1_11comp_targetILNS1_3genE10ELNS1_11target_archE1201ELNS1_3gpuE5ELNS1_3repE0EEENS1_36merge_oddeven_config_static_selectorELNS0_4arch9wavefront6targetE0EEEvSF_
; %bb.0:
	.section	.rodata,"a",@progbits
	.p2align	6, 0x0
	.amdhsa_kernel _ZN7rocprim17ROCPRIM_400000_NS6detail17trampoline_kernelINS0_14default_configENS1_38merge_sort_block_merge_config_selectorIaNS0_10empty_typeEEEZZNS1_27merge_sort_block_merge_implIS3_PaPS5_jNS1_19radix_merge_compareILb1ELb1EaNS0_19identity_decomposerEEEEE10hipError_tT0_T1_T2_jT3_P12ihipStream_tbPNSt15iterator_traitsISE_E10value_typeEPNSK_ISF_E10value_typeEPSG_NS1_7vsmem_tEENKUlT_SE_SF_SG_E_clIS8_S8_S9_S9_EESD_ST_SE_SF_SG_EUlST_E1_NS1_11comp_targetILNS1_3genE10ELNS1_11target_archE1201ELNS1_3gpuE5ELNS1_3repE0EEENS1_36merge_oddeven_config_static_selectorELNS0_4arch9wavefront6targetE0EEEvSF_
		.amdhsa_group_segment_fixed_size 0
		.amdhsa_private_segment_fixed_size 0
		.amdhsa_kernarg_size 48
		.amdhsa_user_sgpr_count 2
		.amdhsa_user_sgpr_dispatch_ptr 0
		.amdhsa_user_sgpr_queue_ptr 0
		.amdhsa_user_sgpr_kernarg_segment_ptr 1
		.amdhsa_user_sgpr_dispatch_id 0
		.amdhsa_user_sgpr_kernarg_preload_length 0
		.amdhsa_user_sgpr_kernarg_preload_offset 0
		.amdhsa_user_sgpr_private_segment_size 0
		.amdhsa_wavefront_size32 1
		.amdhsa_uses_dynamic_stack 0
		.amdhsa_enable_private_segment 0
		.amdhsa_system_sgpr_workgroup_id_x 1
		.amdhsa_system_sgpr_workgroup_id_y 0
		.amdhsa_system_sgpr_workgroup_id_z 0
		.amdhsa_system_sgpr_workgroup_info 0
		.amdhsa_system_vgpr_workitem_id 0
		.amdhsa_next_free_vgpr 1
		.amdhsa_next_free_sgpr 1
		.amdhsa_named_barrier_count 0
		.amdhsa_reserve_vcc 0
		.amdhsa_float_round_mode_32 0
		.amdhsa_float_round_mode_16_64 0
		.amdhsa_float_denorm_mode_32 3
		.amdhsa_float_denorm_mode_16_64 3
		.amdhsa_fp16_overflow 0
		.amdhsa_memory_ordered 1
		.amdhsa_forward_progress 1
		.amdhsa_inst_pref_size 0
		.amdhsa_round_robin_scheduling 0
		.amdhsa_exception_fp_ieee_invalid_op 0
		.amdhsa_exception_fp_denorm_src 0
		.amdhsa_exception_fp_ieee_div_zero 0
		.amdhsa_exception_fp_ieee_overflow 0
		.amdhsa_exception_fp_ieee_underflow 0
		.amdhsa_exception_fp_ieee_inexact 0
		.amdhsa_exception_int_div_zero 0
	.end_amdhsa_kernel
	.section	.text._ZN7rocprim17ROCPRIM_400000_NS6detail17trampoline_kernelINS0_14default_configENS1_38merge_sort_block_merge_config_selectorIaNS0_10empty_typeEEEZZNS1_27merge_sort_block_merge_implIS3_PaPS5_jNS1_19radix_merge_compareILb1ELb1EaNS0_19identity_decomposerEEEEE10hipError_tT0_T1_T2_jT3_P12ihipStream_tbPNSt15iterator_traitsISE_E10value_typeEPNSK_ISF_E10value_typeEPSG_NS1_7vsmem_tEENKUlT_SE_SF_SG_E_clIS8_S8_S9_S9_EESD_ST_SE_SF_SG_EUlST_E1_NS1_11comp_targetILNS1_3genE10ELNS1_11target_archE1201ELNS1_3gpuE5ELNS1_3repE0EEENS1_36merge_oddeven_config_static_selectorELNS0_4arch9wavefront6targetE0EEEvSF_,"axG",@progbits,_ZN7rocprim17ROCPRIM_400000_NS6detail17trampoline_kernelINS0_14default_configENS1_38merge_sort_block_merge_config_selectorIaNS0_10empty_typeEEEZZNS1_27merge_sort_block_merge_implIS3_PaPS5_jNS1_19radix_merge_compareILb1ELb1EaNS0_19identity_decomposerEEEEE10hipError_tT0_T1_T2_jT3_P12ihipStream_tbPNSt15iterator_traitsISE_E10value_typeEPNSK_ISF_E10value_typeEPSG_NS1_7vsmem_tEENKUlT_SE_SF_SG_E_clIS8_S8_S9_S9_EESD_ST_SE_SF_SG_EUlST_E1_NS1_11comp_targetILNS1_3genE10ELNS1_11target_archE1201ELNS1_3gpuE5ELNS1_3repE0EEENS1_36merge_oddeven_config_static_selectorELNS0_4arch9wavefront6targetE0EEEvSF_,comdat
.Lfunc_end322:
	.size	_ZN7rocprim17ROCPRIM_400000_NS6detail17trampoline_kernelINS0_14default_configENS1_38merge_sort_block_merge_config_selectorIaNS0_10empty_typeEEEZZNS1_27merge_sort_block_merge_implIS3_PaPS5_jNS1_19radix_merge_compareILb1ELb1EaNS0_19identity_decomposerEEEEE10hipError_tT0_T1_T2_jT3_P12ihipStream_tbPNSt15iterator_traitsISE_E10value_typeEPNSK_ISF_E10value_typeEPSG_NS1_7vsmem_tEENKUlT_SE_SF_SG_E_clIS8_S8_S9_S9_EESD_ST_SE_SF_SG_EUlST_E1_NS1_11comp_targetILNS1_3genE10ELNS1_11target_archE1201ELNS1_3gpuE5ELNS1_3repE0EEENS1_36merge_oddeven_config_static_selectorELNS0_4arch9wavefront6targetE0EEEvSF_, .Lfunc_end322-_ZN7rocprim17ROCPRIM_400000_NS6detail17trampoline_kernelINS0_14default_configENS1_38merge_sort_block_merge_config_selectorIaNS0_10empty_typeEEEZZNS1_27merge_sort_block_merge_implIS3_PaPS5_jNS1_19radix_merge_compareILb1ELb1EaNS0_19identity_decomposerEEEEE10hipError_tT0_T1_T2_jT3_P12ihipStream_tbPNSt15iterator_traitsISE_E10value_typeEPNSK_ISF_E10value_typeEPSG_NS1_7vsmem_tEENKUlT_SE_SF_SG_E_clIS8_S8_S9_S9_EESD_ST_SE_SF_SG_EUlST_E1_NS1_11comp_targetILNS1_3genE10ELNS1_11target_archE1201ELNS1_3gpuE5ELNS1_3repE0EEENS1_36merge_oddeven_config_static_selectorELNS0_4arch9wavefront6targetE0EEEvSF_
                                        ; -- End function
	.set _ZN7rocprim17ROCPRIM_400000_NS6detail17trampoline_kernelINS0_14default_configENS1_38merge_sort_block_merge_config_selectorIaNS0_10empty_typeEEEZZNS1_27merge_sort_block_merge_implIS3_PaPS5_jNS1_19radix_merge_compareILb1ELb1EaNS0_19identity_decomposerEEEEE10hipError_tT0_T1_T2_jT3_P12ihipStream_tbPNSt15iterator_traitsISE_E10value_typeEPNSK_ISF_E10value_typeEPSG_NS1_7vsmem_tEENKUlT_SE_SF_SG_E_clIS8_S8_S9_S9_EESD_ST_SE_SF_SG_EUlST_E1_NS1_11comp_targetILNS1_3genE10ELNS1_11target_archE1201ELNS1_3gpuE5ELNS1_3repE0EEENS1_36merge_oddeven_config_static_selectorELNS0_4arch9wavefront6targetE0EEEvSF_.num_vgpr, 0
	.set _ZN7rocprim17ROCPRIM_400000_NS6detail17trampoline_kernelINS0_14default_configENS1_38merge_sort_block_merge_config_selectorIaNS0_10empty_typeEEEZZNS1_27merge_sort_block_merge_implIS3_PaPS5_jNS1_19radix_merge_compareILb1ELb1EaNS0_19identity_decomposerEEEEE10hipError_tT0_T1_T2_jT3_P12ihipStream_tbPNSt15iterator_traitsISE_E10value_typeEPNSK_ISF_E10value_typeEPSG_NS1_7vsmem_tEENKUlT_SE_SF_SG_E_clIS8_S8_S9_S9_EESD_ST_SE_SF_SG_EUlST_E1_NS1_11comp_targetILNS1_3genE10ELNS1_11target_archE1201ELNS1_3gpuE5ELNS1_3repE0EEENS1_36merge_oddeven_config_static_selectorELNS0_4arch9wavefront6targetE0EEEvSF_.num_agpr, 0
	.set _ZN7rocprim17ROCPRIM_400000_NS6detail17trampoline_kernelINS0_14default_configENS1_38merge_sort_block_merge_config_selectorIaNS0_10empty_typeEEEZZNS1_27merge_sort_block_merge_implIS3_PaPS5_jNS1_19radix_merge_compareILb1ELb1EaNS0_19identity_decomposerEEEEE10hipError_tT0_T1_T2_jT3_P12ihipStream_tbPNSt15iterator_traitsISE_E10value_typeEPNSK_ISF_E10value_typeEPSG_NS1_7vsmem_tEENKUlT_SE_SF_SG_E_clIS8_S8_S9_S9_EESD_ST_SE_SF_SG_EUlST_E1_NS1_11comp_targetILNS1_3genE10ELNS1_11target_archE1201ELNS1_3gpuE5ELNS1_3repE0EEENS1_36merge_oddeven_config_static_selectorELNS0_4arch9wavefront6targetE0EEEvSF_.numbered_sgpr, 0
	.set _ZN7rocprim17ROCPRIM_400000_NS6detail17trampoline_kernelINS0_14default_configENS1_38merge_sort_block_merge_config_selectorIaNS0_10empty_typeEEEZZNS1_27merge_sort_block_merge_implIS3_PaPS5_jNS1_19radix_merge_compareILb1ELb1EaNS0_19identity_decomposerEEEEE10hipError_tT0_T1_T2_jT3_P12ihipStream_tbPNSt15iterator_traitsISE_E10value_typeEPNSK_ISF_E10value_typeEPSG_NS1_7vsmem_tEENKUlT_SE_SF_SG_E_clIS8_S8_S9_S9_EESD_ST_SE_SF_SG_EUlST_E1_NS1_11comp_targetILNS1_3genE10ELNS1_11target_archE1201ELNS1_3gpuE5ELNS1_3repE0EEENS1_36merge_oddeven_config_static_selectorELNS0_4arch9wavefront6targetE0EEEvSF_.num_named_barrier, 0
	.set _ZN7rocprim17ROCPRIM_400000_NS6detail17trampoline_kernelINS0_14default_configENS1_38merge_sort_block_merge_config_selectorIaNS0_10empty_typeEEEZZNS1_27merge_sort_block_merge_implIS3_PaPS5_jNS1_19radix_merge_compareILb1ELb1EaNS0_19identity_decomposerEEEEE10hipError_tT0_T1_T2_jT3_P12ihipStream_tbPNSt15iterator_traitsISE_E10value_typeEPNSK_ISF_E10value_typeEPSG_NS1_7vsmem_tEENKUlT_SE_SF_SG_E_clIS8_S8_S9_S9_EESD_ST_SE_SF_SG_EUlST_E1_NS1_11comp_targetILNS1_3genE10ELNS1_11target_archE1201ELNS1_3gpuE5ELNS1_3repE0EEENS1_36merge_oddeven_config_static_selectorELNS0_4arch9wavefront6targetE0EEEvSF_.private_seg_size, 0
	.set _ZN7rocprim17ROCPRIM_400000_NS6detail17trampoline_kernelINS0_14default_configENS1_38merge_sort_block_merge_config_selectorIaNS0_10empty_typeEEEZZNS1_27merge_sort_block_merge_implIS3_PaPS5_jNS1_19radix_merge_compareILb1ELb1EaNS0_19identity_decomposerEEEEE10hipError_tT0_T1_T2_jT3_P12ihipStream_tbPNSt15iterator_traitsISE_E10value_typeEPNSK_ISF_E10value_typeEPSG_NS1_7vsmem_tEENKUlT_SE_SF_SG_E_clIS8_S8_S9_S9_EESD_ST_SE_SF_SG_EUlST_E1_NS1_11comp_targetILNS1_3genE10ELNS1_11target_archE1201ELNS1_3gpuE5ELNS1_3repE0EEENS1_36merge_oddeven_config_static_selectorELNS0_4arch9wavefront6targetE0EEEvSF_.uses_vcc, 0
	.set _ZN7rocprim17ROCPRIM_400000_NS6detail17trampoline_kernelINS0_14default_configENS1_38merge_sort_block_merge_config_selectorIaNS0_10empty_typeEEEZZNS1_27merge_sort_block_merge_implIS3_PaPS5_jNS1_19radix_merge_compareILb1ELb1EaNS0_19identity_decomposerEEEEE10hipError_tT0_T1_T2_jT3_P12ihipStream_tbPNSt15iterator_traitsISE_E10value_typeEPNSK_ISF_E10value_typeEPSG_NS1_7vsmem_tEENKUlT_SE_SF_SG_E_clIS8_S8_S9_S9_EESD_ST_SE_SF_SG_EUlST_E1_NS1_11comp_targetILNS1_3genE10ELNS1_11target_archE1201ELNS1_3gpuE5ELNS1_3repE0EEENS1_36merge_oddeven_config_static_selectorELNS0_4arch9wavefront6targetE0EEEvSF_.uses_flat_scratch, 0
	.set _ZN7rocprim17ROCPRIM_400000_NS6detail17trampoline_kernelINS0_14default_configENS1_38merge_sort_block_merge_config_selectorIaNS0_10empty_typeEEEZZNS1_27merge_sort_block_merge_implIS3_PaPS5_jNS1_19radix_merge_compareILb1ELb1EaNS0_19identity_decomposerEEEEE10hipError_tT0_T1_T2_jT3_P12ihipStream_tbPNSt15iterator_traitsISE_E10value_typeEPNSK_ISF_E10value_typeEPSG_NS1_7vsmem_tEENKUlT_SE_SF_SG_E_clIS8_S8_S9_S9_EESD_ST_SE_SF_SG_EUlST_E1_NS1_11comp_targetILNS1_3genE10ELNS1_11target_archE1201ELNS1_3gpuE5ELNS1_3repE0EEENS1_36merge_oddeven_config_static_selectorELNS0_4arch9wavefront6targetE0EEEvSF_.has_dyn_sized_stack, 0
	.set _ZN7rocprim17ROCPRIM_400000_NS6detail17trampoline_kernelINS0_14default_configENS1_38merge_sort_block_merge_config_selectorIaNS0_10empty_typeEEEZZNS1_27merge_sort_block_merge_implIS3_PaPS5_jNS1_19radix_merge_compareILb1ELb1EaNS0_19identity_decomposerEEEEE10hipError_tT0_T1_T2_jT3_P12ihipStream_tbPNSt15iterator_traitsISE_E10value_typeEPNSK_ISF_E10value_typeEPSG_NS1_7vsmem_tEENKUlT_SE_SF_SG_E_clIS8_S8_S9_S9_EESD_ST_SE_SF_SG_EUlST_E1_NS1_11comp_targetILNS1_3genE10ELNS1_11target_archE1201ELNS1_3gpuE5ELNS1_3repE0EEENS1_36merge_oddeven_config_static_selectorELNS0_4arch9wavefront6targetE0EEEvSF_.has_recursion, 0
	.set _ZN7rocprim17ROCPRIM_400000_NS6detail17trampoline_kernelINS0_14default_configENS1_38merge_sort_block_merge_config_selectorIaNS0_10empty_typeEEEZZNS1_27merge_sort_block_merge_implIS3_PaPS5_jNS1_19radix_merge_compareILb1ELb1EaNS0_19identity_decomposerEEEEE10hipError_tT0_T1_T2_jT3_P12ihipStream_tbPNSt15iterator_traitsISE_E10value_typeEPNSK_ISF_E10value_typeEPSG_NS1_7vsmem_tEENKUlT_SE_SF_SG_E_clIS8_S8_S9_S9_EESD_ST_SE_SF_SG_EUlST_E1_NS1_11comp_targetILNS1_3genE10ELNS1_11target_archE1201ELNS1_3gpuE5ELNS1_3repE0EEENS1_36merge_oddeven_config_static_selectorELNS0_4arch9wavefront6targetE0EEEvSF_.has_indirect_call, 0
	.section	.AMDGPU.csdata,"",@progbits
; Kernel info:
; codeLenInByte = 0
; TotalNumSgprs: 0
; NumVgprs: 0
; ScratchSize: 0
; MemoryBound: 0
; FloatMode: 240
; IeeeMode: 1
; LDSByteSize: 0 bytes/workgroup (compile time only)
; SGPRBlocks: 0
; VGPRBlocks: 0
; NumSGPRsForWavesPerEU: 1
; NumVGPRsForWavesPerEU: 1
; NamedBarCnt: 0
; Occupancy: 16
; WaveLimiterHint : 0
; COMPUTE_PGM_RSRC2:SCRATCH_EN: 0
; COMPUTE_PGM_RSRC2:USER_SGPR: 2
; COMPUTE_PGM_RSRC2:TRAP_HANDLER: 0
; COMPUTE_PGM_RSRC2:TGID_X_EN: 1
; COMPUTE_PGM_RSRC2:TGID_Y_EN: 0
; COMPUTE_PGM_RSRC2:TGID_Z_EN: 0
; COMPUTE_PGM_RSRC2:TIDIG_COMP_CNT: 0
	.section	.text._ZN7rocprim17ROCPRIM_400000_NS6detail17trampoline_kernelINS0_14default_configENS1_38merge_sort_block_merge_config_selectorIaNS0_10empty_typeEEEZZNS1_27merge_sort_block_merge_implIS3_PaPS5_jNS1_19radix_merge_compareILb1ELb1EaNS0_19identity_decomposerEEEEE10hipError_tT0_T1_T2_jT3_P12ihipStream_tbPNSt15iterator_traitsISE_E10value_typeEPNSK_ISF_E10value_typeEPSG_NS1_7vsmem_tEENKUlT_SE_SF_SG_E_clIS8_S8_S9_S9_EESD_ST_SE_SF_SG_EUlST_E1_NS1_11comp_targetILNS1_3genE5ELNS1_11target_archE942ELNS1_3gpuE9ELNS1_3repE0EEENS1_36merge_oddeven_config_static_selectorELNS0_4arch9wavefront6targetE0EEEvSF_,"axG",@progbits,_ZN7rocprim17ROCPRIM_400000_NS6detail17trampoline_kernelINS0_14default_configENS1_38merge_sort_block_merge_config_selectorIaNS0_10empty_typeEEEZZNS1_27merge_sort_block_merge_implIS3_PaPS5_jNS1_19radix_merge_compareILb1ELb1EaNS0_19identity_decomposerEEEEE10hipError_tT0_T1_T2_jT3_P12ihipStream_tbPNSt15iterator_traitsISE_E10value_typeEPNSK_ISF_E10value_typeEPSG_NS1_7vsmem_tEENKUlT_SE_SF_SG_E_clIS8_S8_S9_S9_EESD_ST_SE_SF_SG_EUlST_E1_NS1_11comp_targetILNS1_3genE5ELNS1_11target_archE942ELNS1_3gpuE9ELNS1_3repE0EEENS1_36merge_oddeven_config_static_selectorELNS0_4arch9wavefront6targetE0EEEvSF_,comdat
	.protected	_ZN7rocprim17ROCPRIM_400000_NS6detail17trampoline_kernelINS0_14default_configENS1_38merge_sort_block_merge_config_selectorIaNS0_10empty_typeEEEZZNS1_27merge_sort_block_merge_implIS3_PaPS5_jNS1_19radix_merge_compareILb1ELb1EaNS0_19identity_decomposerEEEEE10hipError_tT0_T1_T2_jT3_P12ihipStream_tbPNSt15iterator_traitsISE_E10value_typeEPNSK_ISF_E10value_typeEPSG_NS1_7vsmem_tEENKUlT_SE_SF_SG_E_clIS8_S8_S9_S9_EESD_ST_SE_SF_SG_EUlST_E1_NS1_11comp_targetILNS1_3genE5ELNS1_11target_archE942ELNS1_3gpuE9ELNS1_3repE0EEENS1_36merge_oddeven_config_static_selectorELNS0_4arch9wavefront6targetE0EEEvSF_ ; -- Begin function _ZN7rocprim17ROCPRIM_400000_NS6detail17trampoline_kernelINS0_14default_configENS1_38merge_sort_block_merge_config_selectorIaNS0_10empty_typeEEEZZNS1_27merge_sort_block_merge_implIS3_PaPS5_jNS1_19radix_merge_compareILb1ELb1EaNS0_19identity_decomposerEEEEE10hipError_tT0_T1_T2_jT3_P12ihipStream_tbPNSt15iterator_traitsISE_E10value_typeEPNSK_ISF_E10value_typeEPSG_NS1_7vsmem_tEENKUlT_SE_SF_SG_E_clIS8_S8_S9_S9_EESD_ST_SE_SF_SG_EUlST_E1_NS1_11comp_targetILNS1_3genE5ELNS1_11target_archE942ELNS1_3gpuE9ELNS1_3repE0EEENS1_36merge_oddeven_config_static_selectorELNS0_4arch9wavefront6targetE0EEEvSF_
	.globl	_ZN7rocprim17ROCPRIM_400000_NS6detail17trampoline_kernelINS0_14default_configENS1_38merge_sort_block_merge_config_selectorIaNS0_10empty_typeEEEZZNS1_27merge_sort_block_merge_implIS3_PaPS5_jNS1_19radix_merge_compareILb1ELb1EaNS0_19identity_decomposerEEEEE10hipError_tT0_T1_T2_jT3_P12ihipStream_tbPNSt15iterator_traitsISE_E10value_typeEPNSK_ISF_E10value_typeEPSG_NS1_7vsmem_tEENKUlT_SE_SF_SG_E_clIS8_S8_S9_S9_EESD_ST_SE_SF_SG_EUlST_E1_NS1_11comp_targetILNS1_3genE5ELNS1_11target_archE942ELNS1_3gpuE9ELNS1_3repE0EEENS1_36merge_oddeven_config_static_selectorELNS0_4arch9wavefront6targetE0EEEvSF_
	.p2align	8
	.type	_ZN7rocprim17ROCPRIM_400000_NS6detail17trampoline_kernelINS0_14default_configENS1_38merge_sort_block_merge_config_selectorIaNS0_10empty_typeEEEZZNS1_27merge_sort_block_merge_implIS3_PaPS5_jNS1_19radix_merge_compareILb1ELb1EaNS0_19identity_decomposerEEEEE10hipError_tT0_T1_T2_jT3_P12ihipStream_tbPNSt15iterator_traitsISE_E10value_typeEPNSK_ISF_E10value_typeEPSG_NS1_7vsmem_tEENKUlT_SE_SF_SG_E_clIS8_S8_S9_S9_EESD_ST_SE_SF_SG_EUlST_E1_NS1_11comp_targetILNS1_3genE5ELNS1_11target_archE942ELNS1_3gpuE9ELNS1_3repE0EEENS1_36merge_oddeven_config_static_selectorELNS0_4arch9wavefront6targetE0EEEvSF_,@function
_ZN7rocprim17ROCPRIM_400000_NS6detail17trampoline_kernelINS0_14default_configENS1_38merge_sort_block_merge_config_selectorIaNS0_10empty_typeEEEZZNS1_27merge_sort_block_merge_implIS3_PaPS5_jNS1_19radix_merge_compareILb1ELb1EaNS0_19identity_decomposerEEEEE10hipError_tT0_T1_T2_jT3_P12ihipStream_tbPNSt15iterator_traitsISE_E10value_typeEPNSK_ISF_E10value_typeEPSG_NS1_7vsmem_tEENKUlT_SE_SF_SG_E_clIS8_S8_S9_S9_EESD_ST_SE_SF_SG_EUlST_E1_NS1_11comp_targetILNS1_3genE5ELNS1_11target_archE942ELNS1_3gpuE9ELNS1_3repE0EEENS1_36merge_oddeven_config_static_selectorELNS0_4arch9wavefront6targetE0EEEvSF_: ; @_ZN7rocprim17ROCPRIM_400000_NS6detail17trampoline_kernelINS0_14default_configENS1_38merge_sort_block_merge_config_selectorIaNS0_10empty_typeEEEZZNS1_27merge_sort_block_merge_implIS3_PaPS5_jNS1_19radix_merge_compareILb1ELb1EaNS0_19identity_decomposerEEEEE10hipError_tT0_T1_T2_jT3_P12ihipStream_tbPNSt15iterator_traitsISE_E10value_typeEPNSK_ISF_E10value_typeEPSG_NS1_7vsmem_tEENKUlT_SE_SF_SG_E_clIS8_S8_S9_S9_EESD_ST_SE_SF_SG_EUlST_E1_NS1_11comp_targetILNS1_3genE5ELNS1_11target_archE942ELNS1_3gpuE9ELNS1_3repE0EEENS1_36merge_oddeven_config_static_selectorELNS0_4arch9wavefront6targetE0EEEvSF_
; %bb.0:
	.section	.rodata,"a",@progbits
	.p2align	6, 0x0
	.amdhsa_kernel _ZN7rocprim17ROCPRIM_400000_NS6detail17trampoline_kernelINS0_14default_configENS1_38merge_sort_block_merge_config_selectorIaNS0_10empty_typeEEEZZNS1_27merge_sort_block_merge_implIS3_PaPS5_jNS1_19radix_merge_compareILb1ELb1EaNS0_19identity_decomposerEEEEE10hipError_tT0_T1_T2_jT3_P12ihipStream_tbPNSt15iterator_traitsISE_E10value_typeEPNSK_ISF_E10value_typeEPSG_NS1_7vsmem_tEENKUlT_SE_SF_SG_E_clIS8_S8_S9_S9_EESD_ST_SE_SF_SG_EUlST_E1_NS1_11comp_targetILNS1_3genE5ELNS1_11target_archE942ELNS1_3gpuE9ELNS1_3repE0EEENS1_36merge_oddeven_config_static_selectorELNS0_4arch9wavefront6targetE0EEEvSF_
		.amdhsa_group_segment_fixed_size 0
		.amdhsa_private_segment_fixed_size 0
		.amdhsa_kernarg_size 48
		.amdhsa_user_sgpr_count 2
		.amdhsa_user_sgpr_dispatch_ptr 0
		.amdhsa_user_sgpr_queue_ptr 0
		.amdhsa_user_sgpr_kernarg_segment_ptr 1
		.amdhsa_user_sgpr_dispatch_id 0
		.amdhsa_user_sgpr_kernarg_preload_length 0
		.amdhsa_user_sgpr_kernarg_preload_offset 0
		.amdhsa_user_sgpr_private_segment_size 0
		.amdhsa_wavefront_size32 1
		.amdhsa_uses_dynamic_stack 0
		.amdhsa_enable_private_segment 0
		.amdhsa_system_sgpr_workgroup_id_x 1
		.amdhsa_system_sgpr_workgroup_id_y 0
		.amdhsa_system_sgpr_workgroup_id_z 0
		.amdhsa_system_sgpr_workgroup_info 0
		.amdhsa_system_vgpr_workitem_id 0
		.amdhsa_next_free_vgpr 1
		.amdhsa_next_free_sgpr 1
		.amdhsa_named_barrier_count 0
		.amdhsa_reserve_vcc 0
		.amdhsa_float_round_mode_32 0
		.amdhsa_float_round_mode_16_64 0
		.amdhsa_float_denorm_mode_32 3
		.amdhsa_float_denorm_mode_16_64 3
		.amdhsa_fp16_overflow 0
		.amdhsa_memory_ordered 1
		.amdhsa_forward_progress 1
		.amdhsa_inst_pref_size 0
		.amdhsa_round_robin_scheduling 0
		.amdhsa_exception_fp_ieee_invalid_op 0
		.amdhsa_exception_fp_denorm_src 0
		.amdhsa_exception_fp_ieee_div_zero 0
		.amdhsa_exception_fp_ieee_overflow 0
		.amdhsa_exception_fp_ieee_underflow 0
		.amdhsa_exception_fp_ieee_inexact 0
		.amdhsa_exception_int_div_zero 0
	.end_amdhsa_kernel
	.section	.text._ZN7rocprim17ROCPRIM_400000_NS6detail17trampoline_kernelINS0_14default_configENS1_38merge_sort_block_merge_config_selectorIaNS0_10empty_typeEEEZZNS1_27merge_sort_block_merge_implIS3_PaPS5_jNS1_19radix_merge_compareILb1ELb1EaNS0_19identity_decomposerEEEEE10hipError_tT0_T1_T2_jT3_P12ihipStream_tbPNSt15iterator_traitsISE_E10value_typeEPNSK_ISF_E10value_typeEPSG_NS1_7vsmem_tEENKUlT_SE_SF_SG_E_clIS8_S8_S9_S9_EESD_ST_SE_SF_SG_EUlST_E1_NS1_11comp_targetILNS1_3genE5ELNS1_11target_archE942ELNS1_3gpuE9ELNS1_3repE0EEENS1_36merge_oddeven_config_static_selectorELNS0_4arch9wavefront6targetE0EEEvSF_,"axG",@progbits,_ZN7rocprim17ROCPRIM_400000_NS6detail17trampoline_kernelINS0_14default_configENS1_38merge_sort_block_merge_config_selectorIaNS0_10empty_typeEEEZZNS1_27merge_sort_block_merge_implIS3_PaPS5_jNS1_19radix_merge_compareILb1ELb1EaNS0_19identity_decomposerEEEEE10hipError_tT0_T1_T2_jT3_P12ihipStream_tbPNSt15iterator_traitsISE_E10value_typeEPNSK_ISF_E10value_typeEPSG_NS1_7vsmem_tEENKUlT_SE_SF_SG_E_clIS8_S8_S9_S9_EESD_ST_SE_SF_SG_EUlST_E1_NS1_11comp_targetILNS1_3genE5ELNS1_11target_archE942ELNS1_3gpuE9ELNS1_3repE0EEENS1_36merge_oddeven_config_static_selectorELNS0_4arch9wavefront6targetE0EEEvSF_,comdat
.Lfunc_end323:
	.size	_ZN7rocprim17ROCPRIM_400000_NS6detail17trampoline_kernelINS0_14default_configENS1_38merge_sort_block_merge_config_selectorIaNS0_10empty_typeEEEZZNS1_27merge_sort_block_merge_implIS3_PaPS5_jNS1_19radix_merge_compareILb1ELb1EaNS0_19identity_decomposerEEEEE10hipError_tT0_T1_T2_jT3_P12ihipStream_tbPNSt15iterator_traitsISE_E10value_typeEPNSK_ISF_E10value_typeEPSG_NS1_7vsmem_tEENKUlT_SE_SF_SG_E_clIS8_S8_S9_S9_EESD_ST_SE_SF_SG_EUlST_E1_NS1_11comp_targetILNS1_3genE5ELNS1_11target_archE942ELNS1_3gpuE9ELNS1_3repE0EEENS1_36merge_oddeven_config_static_selectorELNS0_4arch9wavefront6targetE0EEEvSF_, .Lfunc_end323-_ZN7rocprim17ROCPRIM_400000_NS6detail17trampoline_kernelINS0_14default_configENS1_38merge_sort_block_merge_config_selectorIaNS0_10empty_typeEEEZZNS1_27merge_sort_block_merge_implIS3_PaPS5_jNS1_19radix_merge_compareILb1ELb1EaNS0_19identity_decomposerEEEEE10hipError_tT0_T1_T2_jT3_P12ihipStream_tbPNSt15iterator_traitsISE_E10value_typeEPNSK_ISF_E10value_typeEPSG_NS1_7vsmem_tEENKUlT_SE_SF_SG_E_clIS8_S8_S9_S9_EESD_ST_SE_SF_SG_EUlST_E1_NS1_11comp_targetILNS1_3genE5ELNS1_11target_archE942ELNS1_3gpuE9ELNS1_3repE0EEENS1_36merge_oddeven_config_static_selectorELNS0_4arch9wavefront6targetE0EEEvSF_
                                        ; -- End function
	.set _ZN7rocprim17ROCPRIM_400000_NS6detail17trampoline_kernelINS0_14default_configENS1_38merge_sort_block_merge_config_selectorIaNS0_10empty_typeEEEZZNS1_27merge_sort_block_merge_implIS3_PaPS5_jNS1_19radix_merge_compareILb1ELb1EaNS0_19identity_decomposerEEEEE10hipError_tT0_T1_T2_jT3_P12ihipStream_tbPNSt15iterator_traitsISE_E10value_typeEPNSK_ISF_E10value_typeEPSG_NS1_7vsmem_tEENKUlT_SE_SF_SG_E_clIS8_S8_S9_S9_EESD_ST_SE_SF_SG_EUlST_E1_NS1_11comp_targetILNS1_3genE5ELNS1_11target_archE942ELNS1_3gpuE9ELNS1_3repE0EEENS1_36merge_oddeven_config_static_selectorELNS0_4arch9wavefront6targetE0EEEvSF_.num_vgpr, 0
	.set _ZN7rocprim17ROCPRIM_400000_NS6detail17trampoline_kernelINS0_14default_configENS1_38merge_sort_block_merge_config_selectorIaNS0_10empty_typeEEEZZNS1_27merge_sort_block_merge_implIS3_PaPS5_jNS1_19radix_merge_compareILb1ELb1EaNS0_19identity_decomposerEEEEE10hipError_tT0_T1_T2_jT3_P12ihipStream_tbPNSt15iterator_traitsISE_E10value_typeEPNSK_ISF_E10value_typeEPSG_NS1_7vsmem_tEENKUlT_SE_SF_SG_E_clIS8_S8_S9_S9_EESD_ST_SE_SF_SG_EUlST_E1_NS1_11comp_targetILNS1_3genE5ELNS1_11target_archE942ELNS1_3gpuE9ELNS1_3repE0EEENS1_36merge_oddeven_config_static_selectorELNS0_4arch9wavefront6targetE0EEEvSF_.num_agpr, 0
	.set _ZN7rocprim17ROCPRIM_400000_NS6detail17trampoline_kernelINS0_14default_configENS1_38merge_sort_block_merge_config_selectorIaNS0_10empty_typeEEEZZNS1_27merge_sort_block_merge_implIS3_PaPS5_jNS1_19radix_merge_compareILb1ELb1EaNS0_19identity_decomposerEEEEE10hipError_tT0_T1_T2_jT3_P12ihipStream_tbPNSt15iterator_traitsISE_E10value_typeEPNSK_ISF_E10value_typeEPSG_NS1_7vsmem_tEENKUlT_SE_SF_SG_E_clIS8_S8_S9_S9_EESD_ST_SE_SF_SG_EUlST_E1_NS1_11comp_targetILNS1_3genE5ELNS1_11target_archE942ELNS1_3gpuE9ELNS1_3repE0EEENS1_36merge_oddeven_config_static_selectorELNS0_4arch9wavefront6targetE0EEEvSF_.numbered_sgpr, 0
	.set _ZN7rocprim17ROCPRIM_400000_NS6detail17trampoline_kernelINS0_14default_configENS1_38merge_sort_block_merge_config_selectorIaNS0_10empty_typeEEEZZNS1_27merge_sort_block_merge_implIS3_PaPS5_jNS1_19radix_merge_compareILb1ELb1EaNS0_19identity_decomposerEEEEE10hipError_tT0_T1_T2_jT3_P12ihipStream_tbPNSt15iterator_traitsISE_E10value_typeEPNSK_ISF_E10value_typeEPSG_NS1_7vsmem_tEENKUlT_SE_SF_SG_E_clIS8_S8_S9_S9_EESD_ST_SE_SF_SG_EUlST_E1_NS1_11comp_targetILNS1_3genE5ELNS1_11target_archE942ELNS1_3gpuE9ELNS1_3repE0EEENS1_36merge_oddeven_config_static_selectorELNS0_4arch9wavefront6targetE0EEEvSF_.num_named_barrier, 0
	.set _ZN7rocprim17ROCPRIM_400000_NS6detail17trampoline_kernelINS0_14default_configENS1_38merge_sort_block_merge_config_selectorIaNS0_10empty_typeEEEZZNS1_27merge_sort_block_merge_implIS3_PaPS5_jNS1_19radix_merge_compareILb1ELb1EaNS0_19identity_decomposerEEEEE10hipError_tT0_T1_T2_jT3_P12ihipStream_tbPNSt15iterator_traitsISE_E10value_typeEPNSK_ISF_E10value_typeEPSG_NS1_7vsmem_tEENKUlT_SE_SF_SG_E_clIS8_S8_S9_S9_EESD_ST_SE_SF_SG_EUlST_E1_NS1_11comp_targetILNS1_3genE5ELNS1_11target_archE942ELNS1_3gpuE9ELNS1_3repE0EEENS1_36merge_oddeven_config_static_selectorELNS0_4arch9wavefront6targetE0EEEvSF_.private_seg_size, 0
	.set _ZN7rocprim17ROCPRIM_400000_NS6detail17trampoline_kernelINS0_14default_configENS1_38merge_sort_block_merge_config_selectorIaNS0_10empty_typeEEEZZNS1_27merge_sort_block_merge_implIS3_PaPS5_jNS1_19radix_merge_compareILb1ELb1EaNS0_19identity_decomposerEEEEE10hipError_tT0_T1_T2_jT3_P12ihipStream_tbPNSt15iterator_traitsISE_E10value_typeEPNSK_ISF_E10value_typeEPSG_NS1_7vsmem_tEENKUlT_SE_SF_SG_E_clIS8_S8_S9_S9_EESD_ST_SE_SF_SG_EUlST_E1_NS1_11comp_targetILNS1_3genE5ELNS1_11target_archE942ELNS1_3gpuE9ELNS1_3repE0EEENS1_36merge_oddeven_config_static_selectorELNS0_4arch9wavefront6targetE0EEEvSF_.uses_vcc, 0
	.set _ZN7rocprim17ROCPRIM_400000_NS6detail17trampoline_kernelINS0_14default_configENS1_38merge_sort_block_merge_config_selectorIaNS0_10empty_typeEEEZZNS1_27merge_sort_block_merge_implIS3_PaPS5_jNS1_19radix_merge_compareILb1ELb1EaNS0_19identity_decomposerEEEEE10hipError_tT0_T1_T2_jT3_P12ihipStream_tbPNSt15iterator_traitsISE_E10value_typeEPNSK_ISF_E10value_typeEPSG_NS1_7vsmem_tEENKUlT_SE_SF_SG_E_clIS8_S8_S9_S9_EESD_ST_SE_SF_SG_EUlST_E1_NS1_11comp_targetILNS1_3genE5ELNS1_11target_archE942ELNS1_3gpuE9ELNS1_3repE0EEENS1_36merge_oddeven_config_static_selectorELNS0_4arch9wavefront6targetE0EEEvSF_.uses_flat_scratch, 0
	.set _ZN7rocprim17ROCPRIM_400000_NS6detail17trampoline_kernelINS0_14default_configENS1_38merge_sort_block_merge_config_selectorIaNS0_10empty_typeEEEZZNS1_27merge_sort_block_merge_implIS3_PaPS5_jNS1_19radix_merge_compareILb1ELb1EaNS0_19identity_decomposerEEEEE10hipError_tT0_T1_T2_jT3_P12ihipStream_tbPNSt15iterator_traitsISE_E10value_typeEPNSK_ISF_E10value_typeEPSG_NS1_7vsmem_tEENKUlT_SE_SF_SG_E_clIS8_S8_S9_S9_EESD_ST_SE_SF_SG_EUlST_E1_NS1_11comp_targetILNS1_3genE5ELNS1_11target_archE942ELNS1_3gpuE9ELNS1_3repE0EEENS1_36merge_oddeven_config_static_selectorELNS0_4arch9wavefront6targetE0EEEvSF_.has_dyn_sized_stack, 0
	.set _ZN7rocprim17ROCPRIM_400000_NS6detail17trampoline_kernelINS0_14default_configENS1_38merge_sort_block_merge_config_selectorIaNS0_10empty_typeEEEZZNS1_27merge_sort_block_merge_implIS3_PaPS5_jNS1_19radix_merge_compareILb1ELb1EaNS0_19identity_decomposerEEEEE10hipError_tT0_T1_T2_jT3_P12ihipStream_tbPNSt15iterator_traitsISE_E10value_typeEPNSK_ISF_E10value_typeEPSG_NS1_7vsmem_tEENKUlT_SE_SF_SG_E_clIS8_S8_S9_S9_EESD_ST_SE_SF_SG_EUlST_E1_NS1_11comp_targetILNS1_3genE5ELNS1_11target_archE942ELNS1_3gpuE9ELNS1_3repE0EEENS1_36merge_oddeven_config_static_selectorELNS0_4arch9wavefront6targetE0EEEvSF_.has_recursion, 0
	.set _ZN7rocprim17ROCPRIM_400000_NS6detail17trampoline_kernelINS0_14default_configENS1_38merge_sort_block_merge_config_selectorIaNS0_10empty_typeEEEZZNS1_27merge_sort_block_merge_implIS3_PaPS5_jNS1_19radix_merge_compareILb1ELb1EaNS0_19identity_decomposerEEEEE10hipError_tT0_T1_T2_jT3_P12ihipStream_tbPNSt15iterator_traitsISE_E10value_typeEPNSK_ISF_E10value_typeEPSG_NS1_7vsmem_tEENKUlT_SE_SF_SG_E_clIS8_S8_S9_S9_EESD_ST_SE_SF_SG_EUlST_E1_NS1_11comp_targetILNS1_3genE5ELNS1_11target_archE942ELNS1_3gpuE9ELNS1_3repE0EEENS1_36merge_oddeven_config_static_selectorELNS0_4arch9wavefront6targetE0EEEvSF_.has_indirect_call, 0
	.section	.AMDGPU.csdata,"",@progbits
; Kernel info:
; codeLenInByte = 0
; TotalNumSgprs: 0
; NumVgprs: 0
; ScratchSize: 0
; MemoryBound: 0
; FloatMode: 240
; IeeeMode: 1
; LDSByteSize: 0 bytes/workgroup (compile time only)
; SGPRBlocks: 0
; VGPRBlocks: 0
; NumSGPRsForWavesPerEU: 1
; NumVGPRsForWavesPerEU: 1
; NamedBarCnt: 0
; Occupancy: 16
; WaveLimiterHint : 0
; COMPUTE_PGM_RSRC2:SCRATCH_EN: 0
; COMPUTE_PGM_RSRC2:USER_SGPR: 2
; COMPUTE_PGM_RSRC2:TRAP_HANDLER: 0
; COMPUTE_PGM_RSRC2:TGID_X_EN: 1
; COMPUTE_PGM_RSRC2:TGID_Y_EN: 0
; COMPUTE_PGM_RSRC2:TGID_Z_EN: 0
; COMPUTE_PGM_RSRC2:TIDIG_COMP_CNT: 0
	.section	.text._ZN7rocprim17ROCPRIM_400000_NS6detail17trampoline_kernelINS0_14default_configENS1_38merge_sort_block_merge_config_selectorIaNS0_10empty_typeEEEZZNS1_27merge_sort_block_merge_implIS3_PaPS5_jNS1_19radix_merge_compareILb1ELb1EaNS0_19identity_decomposerEEEEE10hipError_tT0_T1_T2_jT3_P12ihipStream_tbPNSt15iterator_traitsISE_E10value_typeEPNSK_ISF_E10value_typeEPSG_NS1_7vsmem_tEENKUlT_SE_SF_SG_E_clIS8_S8_S9_S9_EESD_ST_SE_SF_SG_EUlST_E1_NS1_11comp_targetILNS1_3genE4ELNS1_11target_archE910ELNS1_3gpuE8ELNS1_3repE0EEENS1_36merge_oddeven_config_static_selectorELNS0_4arch9wavefront6targetE0EEEvSF_,"axG",@progbits,_ZN7rocprim17ROCPRIM_400000_NS6detail17trampoline_kernelINS0_14default_configENS1_38merge_sort_block_merge_config_selectorIaNS0_10empty_typeEEEZZNS1_27merge_sort_block_merge_implIS3_PaPS5_jNS1_19radix_merge_compareILb1ELb1EaNS0_19identity_decomposerEEEEE10hipError_tT0_T1_T2_jT3_P12ihipStream_tbPNSt15iterator_traitsISE_E10value_typeEPNSK_ISF_E10value_typeEPSG_NS1_7vsmem_tEENKUlT_SE_SF_SG_E_clIS8_S8_S9_S9_EESD_ST_SE_SF_SG_EUlST_E1_NS1_11comp_targetILNS1_3genE4ELNS1_11target_archE910ELNS1_3gpuE8ELNS1_3repE0EEENS1_36merge_oddeven_config_static_selectorELNS0_4arch9wavefront6targetE0EEEvSF_,comdat
	.protected	_ZN7rocprim17ROCPRIM_400000_NS6detail17trampoline_kernelINS0_14default_configENS1_38merge_sort_block_merge_config_selectorIaNS0_10empty_typeEEEZZNS1_27merge_sort_block_merge_implIS3_PaPS5_jNS1_19radix_merge_compareILb1ELb1EaNS0_19identity_decomposerEEEEE10hipError_tT0_T1_T2_jT3_P12ihipStream_tbPNSt15iterator_traitsISE_E10value_typeEPNSK_ISF_E10value_typeEPSG_NS1_7vsmem_tEENKUlT_SE_SF_SG_E_clIS8_S8_S9_S9_EESD_ST_SE_SF_SG_EUlST_E1_NS1_11comp_targetILNS1_3genE4ELNS1_11target_archE910ELNS1_3gpuE8ELNS1_3repE0EEENS1_36merge_oddeven_config_static_selectorELNS0_4arch9wavefront6targetE0EEEvSF_ ; -- Begin function _ZN7rocprim17ROCPRIM_400000_NS6detail17trampoline_kernelINS0_14default_configENS1_38merge_sort_block_merge_config_selectorIaNS0_10empty_typeEEEZZNS1_27merge_sort_block_merge_implIS3_PaPS5_jNS1_19radix_merge_compareILb1ELb1EaNS0_19identity_decomposerEEEEE10hipError_tT0_T1_T2_jT3_P12ihipStream_tbPNSt15iterator_traitsISE_E10value_typeEPNSK_ISF_E10value_typeEPSG_NS1_7vsmem_tEENKUlT_SE_SF_SG_E_clIS8_S8_S9_S9_EESD_ST_SE_SF_SG_EUlST_E1_NS1_11comp_targetILNS1_3genE4ELNS1_11target_archE910ELNS1_3gpuE8ELNS1_3repE0EEENS1_36merge_oddeven_config_static_selectorELNS0_4arch9wavefront6targetE0EEEvSF_
	.globl	_ZN7rocprim17ROCPRIM_400000_NS6detail17trampoline_kernelINS0_14default_configENS1_38merge_sort_block_merge_config_selectorIaNS0_10empty_typeEEEZZNS1_27merge_sort_block_merge_implIS3_PaPS5_jNS1_19radix_merge_compareILb1ELb1EaNS0_19identity_decomposerEEEEE10hipError_tT0_T1_T2_jT3_P12ihipStream_tbPNSt15iterator_traitsISE_E10value_typeEPNSK_ISF_E10value_typeEPSG_NS1_7vsmem_tEENKUlT_SE_SF_SG_E_clIS8_S8_S9_S9_EESD_ST_SE_SF_SG_EUlST_E1_NS1_11comp_targetILNS1_3genE4ELNS1_11target_archE910ELNS1_3gpuE8ELNS1_3repE0EEENS1_36merge_oddeven_config_static_selectorELNS0_4arch9wavefront6targetE0EEEvSF_
	.p2align	8
	.type	_ZN7rocprim17ROCPRIM_400000_NS6detail17trampoline_kernelINS0_14default_configENS1_38merge_sort_block_merge_config_selectorIaNS0_10empty_typeEEEZZNS1_27merge_sort_block_merge_implIS3_PaPS5_jNS1_19radix_merge_compareILb1ELb1EaNS0_19identity_decomposerEEEEE10hipError_tT0_T1_T2_jT3_P12ihipStream_tbPNSt15iterator_traitsISE_E10value_typeEPNSK_ISF_E10value_typeEPSG_NS1_7vsmem_tEENKUlT_SE_SF_SG_E_clIS8_S8_S9_S9_EESD_ST_SE_SF_SG_EUlST_E1_NS1_11comp_targetILNS1_3genE4ELNS1_11target_archE910ELNS1_3gpuE8ELNS1_3repE0EEENS1_36merge_oddeven_config_static_selectorELNS0_4arch9wavefront6targetE0EEEvSF_,@function
_ZN7rocprim17ROCPRIM_400000_NS6detail17trampoline_kernelINS0_14default_configENS1_38merge_sort_block_merge_config_selectorIaNS0_10empty_typeEEEZZNS1_27merge_sort_block_merge_implIS3_PaPS5_jNS1_19radix_merge_compareILb1ELb1EaNS0_19identity_decomposerEEEEE10hipError_tT0_T1_T2_jT3_P12ihipStream_tbPNSt15iterator_traitsISE_E10value_typeEPNSK_ISF_E10value_typeEPSG_NS1_7vsmem_tEENKUlT_SE_SF_SG_E_clIS8_S8_S9_S9_EESD_ST_SE_SF_SG_EUlST_E1_NS1_11comp_targetILNS1_3genE4ELNS1_11target_archE910ELNS1_3gpuE8ELNS1_3repE0EEENS1_36merge_oddeven_config_static_selectorELNS0_4arch9wavefront6targetE0EEEvSF_: ; @_ZN7rocprim17ROCPRIM_400000_NS6detail17trampoline_kernelINS0_14default_configENS1_38merge_sort_block_merge_config_selectorIaNS0_10empty_typeEEEZZNS1_27merge_sort_block_merge_implIS3_PaPS5_jNS1_19radix_merge_compareILb1ELb1EaNS0_19identity_decomposerEEEEE10hipError_tT0_T1_T2_jT3_P12ihipStream_tbPNSt15iterator_traitsISE_E10value_typeEPNSK_ISF_E10value_typeEPSG_NS1_7vsmem_tEENKUlT_SE_SF_SG_E_clIS8_S8_S9_S9_EESD_ST_SE_SF_SG_EUlST_E1_NS1_11comp_targetILNS1_3genE4ELNS1_11target_archE910ELNS1_3gpuE8ELNS1_3repE0EEENS1_36merge_oddeven_config_static_selectorELNS0_4arch9wavefront6targetE0EEEvSF_
; %bb.0:
	.section	.rodata,"a",@progbits
	.p2align	6, 0x0
	.amdhsa_kernel _ZN7rocprim17ROCPRIM_400000_NS6detail17trampoline_kernelINS0_14default_configENS1_38merge_sort_block_merge_config_selectorIaNS0_10empty_typeEEEZZNS1_27merge_sort_block_merge_implIS3_PaPS5_jNS1_19radix_merge_compareILb1ELb1EaNS0_19identity_decomposerEEEEE10hipError_tT0_T1_T2_jT3_P12ihipStream_tbPNSt15iterator_traitsISE_E10value_typeEPNSK_ISF_E10value_typeEPSG_NS1_7vsmem_tEENKUlT_SE_SF_SG_E_clIS8_S8_S9_S9_EESD_ST_SE_SF_SG_EUlST_E1_NS1_11comp_targetILNS1_3genE4ELNS1_11target_archE910ELNS1_3gpuE8ELNS1_3repE0EEENS1_36merge_oddeven_config_static_selectorELNS0_4arch9wavefront6targetE0EEEvSF_
		.amdhsa_group_segment_fixed_size 0
		.amdhsa_private_segment_fixed_size 0
		.amdhsa_kernarg_size 48
		.amdhsa_user_sgpr_count 2
		.amdhsa_user_sgpr_dispatch_ptr 0
		.amdhsa_user_sgpr_queue_ptr 0
		.amdhsa_user_sgpr_kernarg_segment_ptr 1
		.amdhsa_user_sgpr_dispatch_id 0
		.amdhsa_user_sgpr_kernarg_preload_length 0
		.amdhsa_user_sgpr_kernarg_preload_offset 0
		.amdhsa_user_sgpr_private_segment_size 0
		.amdhsa_wavefront_size32 1
		.amdhsa_uses_dynamic_stack 0
		.amdhsa_enable_private_segment 0
		.amdhsa_system_sgpr_workgroup_id_x 1
		.amdhsa_system_sgpr_workgroup_id_y 0
		.amdhsa_system_sgpr_workgroup_id_z 0
		.amdhsa_system_sgpr_workgroup_info 0
		.amdhsa_system_vgpr_workitem_id 0
		.amdhsa_next_free_vgpr 1
		.amdhsa_next_free_sgpr 1
		.amdhsa_named_barrier_count 0
		.amdhsa_reserve_vcc 0
		.amdhsa_float_round_mode_32 0
		.amdhsa_float_round_mode_16_64 0
		.amdhsa_float_denorm_mode_32 3
		.amdhsa_float_denorm_mode_16_64 3
		.amdhsa_fp16_overflow 0
		.amdhsa_memory_ordered 1
		.amdhsa_forward_progress 1
		.amdhsa_inst_pref_size 0
		.amdhsa_round_robin_scheduling 0
		.amdhsa_exception_fp_ieee_invalid_op 0
		.amdhsa_exception_fp_denorm_src 0
		.amdhsa_exception_fp_ieee_div_zero 0
		.amdhsa_exception_fp_ieee_overflow 0
		.amdhsa_exception_fp_ieee_underflow 0
		.amdhsa_exception_fp_ieee_inexact 0
		.amdhsa_exception_int_div_zero 0
	.end_amdhsa_kernel
	.section	.text._ZN7rocprim17ROCPRIM_400000_NS6detail17trampoline_kernelINS0_14default_configENS1_38merge_sort_block_merge_config_selectorIaNS0_10empty_typeEEEZZNS1_27merge_sort_block_merge_implIS3_PaPS5_jNS1_19radix_merge_compareILb1ELb1EaNS0_19identity_decomposerEEEEE10hipError_tT0_T1_T2_jT3_P12ihipStream_tbPNSt15iterator_traitsISE_E10value_typeEPNSK_ISF_E10value_typeEPSG_NS1_7vsmem_tEENKUlT_SE_SF_SG_E_clIS8_S8_S9_S9_EESD_ST_SE_SF_SG_EUlST_E1_NS1_11comp_targetILNS1_3genE4ELNS1_11target_archE910ELNS1_3gpuE8ELNS1_3repE0EEENS1_36merge_oddeven_config_static_selectorELNS0_4arch9wavefront6targetE0EEEvSF_,"axG",@progbits,_ZN7rocprim17ROCPRIM_400000_NS6detail17trampoline_kernelINS0_14default_configENS1_38merge_sort_block_merge_config_selectorIaNS0_10empty_typeEEEZZNS1_27merge_sort_block_merge_implIS3_PaPS5_jNS1_19radix_merge_compareILb1ELb1EaNS0_19identity_decomposerEEEEE10hipError_tT0_T1_T2_jT3_P12ihipStream_tbPNSt15iterator_traitsISE_E10value_typeEPNSK_ISF_E10value_typeEPSG_NS1_7vsmem_tEENKUlT_SE_SF_SG_E_clIS8_S8_S9_S9_EESD_ST_SE_SF_SG_EUlST_E1_NS1_11comp_targetILNS1_3genE4ELNS1_11target_archE910ELNS1_3gpuE8ELNS1_3repE0EEENS1_36merge_oddeven_config_static_selectorELNS0_4arch9wavefront6targetE0EEEvSF_,comdat
.Lfunc_end324:
	.size	_ZN7rocprim17ROCPRIM_400000_NS6detail17trampoline_kernelINS0_14default_configENS1_38merge_sort_block_merge_config_selectorIaNS0_10empty_typeEEEZZNS1_27merge_sort_block_merge_implIS3_PaPS5_jNS1_19radix_merge_compareILb1ELb1EaNS0_19identity_decomposerEEEEE10hipError_tT0_T1_T2_jT3_P12ihipStream_tbPNSt15iterator_traitsISE_E10value_typeEPNSK_ISF_E10value_typeEPSG_NS1_7vsmem_tEENKUlT_SE_SF_SG_E_clIS8_S8_S9_S9_EESD_ST_SE_SF_SG_EUlST_E1_NS1_11comp_targetILNS1_3genE4ELNS1_11target_archE910ELNS1_3gpuE8ELNS1_3repE0EEENS1_36merge_oddeven_config_static_selectorELNS0_4arch9wavefront6targetE0EEEvSF_, .Lfunc_end324-_ZN7rocprim17ROCPRIM_400000_NS6detail17trampoline_kernelINS0_14default_configENS1_38merge_sort_block_merge_config_selectorIaNS0_10empty_typeEEEZZNS1_27merge_sort_block_merge_implIS3_PaPS5_jNS1_19radix_merge_compareILb1ELb1EaNS0_19identity_decomposerEEEEE10hipError_tT0_T1_T2_jT3_P12ihipStream_tbPNSt15iterator_traitsISE_E10value_typeEPNSK_ISF_E10value_typeEPSG_NS1_7vsmem_tEENKUlT_SE_SF_SG_E_clIS8_S8_S9_S9_EESD_ST_SE_SF_SG_EUlST_E1_NS1_11comp_targetILNS1_3genE4ELNS1_11target_archE910ELNS1_3gpuE8ELNS1_3repE0EEENS1_36merge_oddeven_config_static_selectorELNS0_4arch9wavefront6targetE0EEEvSF_
                                        ; -- End function
	.set _ZN7rocprim17ROCPRIM_400000_NS6detail17trampoline_kernelINS0_14default_configENS1_38merge_sort_block_merge_config_selectorIaNS0_10empty_typeEEEZZNS1_27merge_sort_block_merge_implIS3_PaPS5_jNS1_19radix_merge_compareILb1ELb1EaNS0_19identity_decomposerEEEEE10hipError_tT0_T1_T2_jT3_P12ihipStream_tbPNSt15iterator_traitsISE_E10value_typeEPNSK_ISF_E10value_typeEPSG_NS1_7vsmem_tEENKUlT_SE_SF_SG_E_clIS8_S8_S9_S9_EESD_ST_SE_SF_SG_EUlST_E1_NS1_11comp_targetILNS1_3genE4ELNS1_11target_archE910ELNS1_3gpuE8ELNS1_3repE0EEENS1_36merge_oddeven_config_static_selectorELNS0_4arch9wavefront6targetE0EEEvSF_.num_vgpr, 0
	.set _ZN7rocprim17ROCPRIM_400000_NS6detail17trampoline_kernelINS0_14default_configENS1_38merge_sort_block_merge_config_selectorIaNS0_10empty_typeEEEZZNS1_27merge_sort_block_merge_implIS3_PaPS5_jNS1_19radix_merge_compareILb1ELb1EaNS0_19identity_decomposerEEEEE10hipError_tT0_T1_T2_jT3_P12ihipStream_tbPNSt15iterator_traitsISE_E10value_typeEPNSK_ISF_E10value_typeEPSG_NS1_7vsmem_tEENKUlT_SE_SF_SG_E_clIS8_S8_S9_S9_EESD_ST_SE_SF_SG_EUlST_E1_NS1_11comp_targetILNS1_3genE4ELNS1_11target_archE910ELNS1_3gpuE8ELNS1_3repE0EEENS1_36merge_oddeven_config_static_selectorELNS0_4arch9wavefront6targetE0EEEvSF_.num_agpr, 0
	.set _ZN7rocprim17ROCPRIM_400000_NS6detail17trampoline_kernelINS0_14default_configENS1_38merge_sort_block_merge_config_selectorIaNS0_10empty_typeEEEZZNS1_27merge_sort_block_merge_implIS3_PaPS5_jNS1_19radix_merge_compareILb1ELb1EaNS0_19identity_decomposerEEEEE10hipError_tT0_T1_T2_jT3_P12ihipStream_tbPNSt15iterator_traitsISE_E10value_typeEPNSK_ISF_E10value_typeEPSG_NS1_7vsmem_tEENKUlT_SE_SF_SG_E_clIS8_S8_S9_S9_EESD_ST_SE_SF_SG_EUlST_E1_NS1_11comp_targetILNS1_3genE4ELNS1_11target_archE910ELNS1_3gpuE8ELNS1_3repE0EEENS1_36merge_oddeven_config_static_selectorELNS0_4arch9wavefront6targetE0EEEvSF_.numbered_sgpr, 0
	.set _ZN7rocprim17ROCPRIM_400000_NS6detail17trampoline_kernelINS0_14default_configENS1_38merge_sort_block_merge_config_selectorIaNS0_10empty_typeEEEZZNS1_27merge_sort_block_merge_implIS3_PaPS5_jNS1_19radix_merge_compareILb1ELb1EaNS0_19identity_decomposerEEEEE10hipError_tT0_T1_T2_jT3_P12ihipStream_tbPNSt15iterator_traitsISE_E10value_typeEPNSK_ISF_E10value_typeEPSG_NS1_7vsmem_tEENKUlT_SE_SF_SG_E_clIS8_S8_S9_S9_EESD_ST_SE_SF_SG_EUlST_E1_NS1_11comp_targetILNS1_3genE4ELNS1_11target_archE910ELNS1_3gpuE8ELNS1_3repE0EEENS1_36merge_oddeven_config_static_selectorELNS0_4arch9wavefront6targetE0EEEvSF_.num_named_barrier, 0
	.set _ZN7rocprim17ROCPRIM_400000_NS6detail17trampoline_kernelINS0_14default_configENS1_38merge_sort_block_merge_config_selectorIaNS0_10empty_typeEEEZZNS1_27merge_sort_block_merge_implIS3_PaPS5_jNS1_19radix_merge_compareILb1ELb1EaNS0_19identity_decomposerEEEEE10hipError_tT0_T1_T2_jT3_P12ihipStream_tbPNSt15iterator_traitsISE_E10value_typeEPNSK_ISF_E10value_typeEPSG_NS1_7vsmem_tEENKUlT_SE_SF_SG_E_clIS8_S8_S9_S9_EESD_ST_SE_SF_SG_EUlST_E1_NS1_11comp_targetILNS1_3genE4ELNS1_11target_archE910ELNS1_3gpuE8ELNS1_3repE0EEENS1_36merge_oddeven_config_static_selectorELNS0_4arch9wavefront6targetE0EEEvSF_.private_seg_size, 0
	.set _ZN7rocprim17ROCPRIM_400000_NS6detail17trampoline_kernelINS0_14default_configENS1_38merge_sort_block_merge_config_selectorIaNS0_10empty_typeEEEZZNS1_27merge_sort_block_merge_implIS3_PaPS5_jNS1_19radix_merge_compareILb1ELb1EaNS0_19identity_decomposerEEEEE10hipError_tT0_T1_T2_jT3_P12ihipStream_tbPNSt15iterator_traitsISE_E10value_typeEPNSK_ISF_E10value_typeEPSG_NS1_7vsmem_tEENKUlT_SE_SF_SG_E_clIS8_S8_S9_S9_EESD_ST_SE_SF_SG_EUlST_E1_NS1_11comp_targetILNS1_3genE4ELNS1_11target_archE910ELNS1_3gpuE8ELNS1_3repE0EEENS1_36merge_oddeven_config_static_selectorELNS0_4arch9wavefront6targetE0EEEvSF_.uses_vcc, 0
	.set _ZN7rocprim17ROCPRIM_400000_NS6detail17trampoline_kernelINS0_14default_configENS1_38merge_sort_block_merge_config_selectorIaNS0_10empty_typeEEEZZNS1_27merge_sort_block_merge_implIS3_PaPS5_jNS1_19radix_merge_compareILb1ELb1EaNS0_19identity_decomposerEEEEE10hipError_tT0_T1_T2_jT3_P12ihipStream_tbPNSt15iterator_traitsISE_E10value_typeEPNSK_ISF_E10value_typeEPSG_NS1_7vsmem_tEENKUlT_SE_SF_SG_E_clIS8_S8_S9_S9_EESD_ST_SE_SF_SG_EUlST_E1_NS1_11comp_targetILNS1_3genE4ELNS1_11target_archE910ELNS1_3gpuE8ELNS1_3repE0EEENS1_36merge_oddeven_config_static_selectorELNS0_4arch9wavefront6targetE0EEEvSF_.uses_flat_scratch, 0
	.set _ZN7rocprim17ROCPRIM_400000_NS6detail17trampoline_kernelINS0_14default_configENS1_38merge_sort_block_merge_config_selectorIaNS0_10empty_typeEEEZZNS1_27merge_sort_block_merge_implIS3_PaPS5_jNS1_19radix_merge_compareILb1ELb1EaNS0_19identity_decomposerEEEEE10hipError_tT0_T1_T2_jT3_P12ihipStream_tbPNSt15iterator_traitsISE_E10value_typeEPNSK_ISF_E10value_typeEPSG_NS1_7vsmem_tEENKUlT_SE_SF_SG_E_clIS8_S8_S9_S9_EESD_ST_SE_SF_SG_EUlST_E1_NS1_11comp_targetILNS1_3genE4ELNS1_11target_archE910ELNS1_3gpuE8ELNS1_3repE0EEENS1_36merge_oddeven_config_static_selectorELNS0_4arch9wavefront6targetE0EEEvSF_.has_dyn_sized_stack, 0
	.set _ZN7rocprim17ROCPRIM_400000_NS6detail17trampoline_kernelINS0_14default_configENS1_38merge_sort_block_merge_config_selectorIaNS0_10empty_typeEEEZZNS1_27merge_sort_block_merge_implIS3_PaPS5_jNS1_19radix_merge_compareILb1ELb1EaNS0_19identity_decomposerEEEEE10hipError_tT0_T1_T2_jT3_P12ihipStream_tbPNSt15iterator_traitsISE_E10value_typeEPNSK_ISF_E10value_typeEPSG_NS1_7vsmem_tEENKUlT_SE_SF_SG_E_clIS8_S8_S9_S9_EESD_ST_SE_SF_SG_EUlST_E1_NS1_11comp_targetILNS1_3genE4ELNS1_11target_archE910ELNS1_3gpuE8ELNS1_3repE0EEENS1_36merge_oddeven_config_static_selectorELNS0_4arch9wavefront6targetE0EEEvSF_.has_recursion, 0
	.set _ZN7rocprim17ROCPRIM_400000_NS6detail17trampoline_kernelINS0_14default_configENS1_38merge_sort_block_merge_config_selectorIaNS0_10empty_typeEEEZZNS1_27merge_sort_block_merge_implIS3_PaPS5_jNS1_19radix_merge_compareILb1ELb1EaNS0_19identity_decomposerEEEEE10hipError_tT0_T1_T2_jT3_P12ihipStream_tbPNSt15iterator_traitsISE_E10value_typeEPNSK_ISF_E10value_typeEPSG_NS1_7vsmem_tEENKUlT_SE_SF_SG_E_clIS8_S8_S9_S9_EESD_ST_SE_SF_SG_EUlST_E1_NS1_11comp_targetILNS1_3genE4ELNS1_11target_archE910ELNS1_3gpuE8ELNS1_3repE0EEENS1_36merge_oddeven_config_static_selectorELNS0_4arch9wavefront6targetE0EEEvSF_.has_indirect_call, 0
	.section	.AMDGPU.csdata,"",@progbits
; Kernel info:
; codeLenInByte = 0
; TotalNumSgprs: 0
; NumVgprs: 0
; ScratchSize: 0
; MemoryBound: 0
; FloatMode: 240
; IeeeMode: 1
; LDSByteSize: 0 bytes/workgroup (compile time only)
; SGPRBlocks: 0
; VGPRBlocks: 0
; NumSGPRsForWavesPerEU: 1
; NumVGPRsForWavesPerEU: 1
; NamedBarCnt: 0
; Occupancy: 16
; WaveLimiterHint : 0
; COMPUTE_PGM_RSRC2:SCRATCH_EN: 0
; COMPUTE_PGM_RSRC2:USER_SGPR: 2
; COMPUTE_PGM_RSRC2:TRAP_HANDLER: 0
; COMPUTE_PGM_RSRC2:TGID_X_EN: 1
; COMPUTE_PGM_RSRC2:TGID_Y_EN: 0
; COMPUTE_PGM_RSRC2:TGID_Z_EN: 0
; COMPUTE_PGM_RSRC2:TIDIG_COMP_CNT: 0
	.section	.text._ZN7rocprim17ROCPRIM_400000_NS6detail17trampoline_kernelINS0_14default_configENS1_38merge_sort_block_merge_config_selectorIaNS0_10empty_typeEEEZZNS1_27merge_sort_block_merge_implIS3_PaPS5_jNS1_19radix_merge_compareILb1ELb1EaNS0_19identity_decomposerEEEEE10hipError_tT0_T1_T2_jT3_P12ihipStream_tbPNSt15iterator_traitsISE_E10value_typeEPNSK_ISF_E10value_typeEPSG_NS1_7vsmem_tEENKUlT_SE_SF_SG_E_clIS8_S8_S9_S9_EESD_ST_SE_SF_SG_EUlST_E1_NS1_11comp_targetILNS1_3genE3ELNS1_11target_archE908ELNS1_3gpuE7ELNS1_3repE0EEENS1_36merge_oddeven_config_static_selectorELNS0_4arch9wavefront6targetE0EEEvSF_,"axG",@progbits,_ZN7rocprim17ROCPRIM_400000_NS6detail17trampoline_kernelINS0_14default_configENS1_38merge_sort_block_merge_config_selectorIaNS0_10empty_typeEEEZZNS1_27merge_sort_block_merge_implIS3_PaPS5_jNS1_19radix_merge_compareILb1ELb1EaNS0_19identity_decomposerEEEEE10hipError_tT0_T1_T2_jT3_P12ihipStream_tbPNSt15iterator_traitsISE_E10value_typeEPNSK_ISF_E10value_typeEPSG_NS1_7vsmem_tEENKUlT_SE_SF_SG_E_clIS8_S8_S9_S9_EESD_ST_SE_SF_SG_EUlST_E1_NS1_11comp_targetILNS1_3genE3ELNS1_11target_archE908ELNS1_3gpuE7ELNS1_3repE0EEENS1_36merge_oddeven_config_static_selectorELNS0_4arch9wavefront6targetE0EEEvSF_,comdat
	.protected	_ZN7rocprim17ROCPRIM_400000_NS6detail17trampoline_kernelINS0_14default_configENS1_38merge_sort_block_merge_config_selectorIaNS0_10empty_typeEEEZZNS1_27merge_sort_block_merge_implIS3_PaPS5_jNS1_19radix_merge_compareILb1ELb1EaNS0_19identity_decomposerEEEEE10hipError_tT0_T1_T2_jT3_P12ihipStream_tbPNSt15iterator_traitsISE_E10value_typeEPNSK_ISF_E10value_typeEPSG_NS1_7vsmem_tEENKUlT_SE_SF_SG_E_clIS8_S8_S9_S9_EESD_ST_SE_SF_SG_EUlST_E1_NS1_11comp_targetILNS1_3genE3ELNS1_11target_archE908ELNS1_3gpuE7ELNS1_3repE0EEENS1_36merge_oddeven_config_static_selectorELNS0_4arch9wavefront6targetE0EEEvSF_ ; -- Begin function _ZN7rocprim17ROCPRIM_400000_NS6detail17trampoline_kernelINS0_14default_configENS1_38merge_sort_block_merge_config_selectorIaNS0_10empty_typeEEEZZNS1_27merge_sort_block_merge_implIS3_PaPS5_jNS1_19radix_merge_compareILb1ELb1EaNS0_19identity_decomposerEEEEE10hipError_tT0_T1_T2_jT3_P12ihipStream_tbPNSt15iterator_traitsISE_E10value_typeEPNSK_ISF_E10value_typeEPSG_NS1_7vsmem_tEENKUlT_SE_SF_SG_E_clIS8_S8_S9_S9_EESD_ST_SE_SF_SG_EUlST_E1_NS1_11comp_targetILNS1_3genE3ELNS1_11target_archE908ELNS1_3gpuE7ELNS1_3repE0EEENS1_36merge_oddeven_config_static_selectorELNS0_4arch9wavefront6targetE0EEEvSF_
	.globl	_ZN7rocprim17ROCPRIM_400000_NS6detail17trampoline_kernelINS0_14default_configENS1_38merge_sort_block_merge_config_selectorIaNS0_10empty_typeEEEZZNS1_27merge_sort_block_merge_implIS3_PaPS5_jNS1_19radix_merge_compareILb1ELb1EaNS0_19identity_decomposerEEEEE10hipError_tT0_T1_T2_jT3_P12ihipStream_tbPNSt15iterator_traitsISE_E10value_typeEPNSK_ISF_E10value_typeEPSG_NS1_7vsmem_tEENKUlT_SE_SF_SG_E_clIS8_S8_S9_S9_EESD_ST_SE_SF_SG_EUlST_E1_NS1_11comp_targetILNS1_3genE3ELNS1_11target_archE908ELNS1_3gpuE7ELNS1_3repE0EEENS1_36merge_oddeven_config_static_selectorELNS0_4arch9wavefront6targetE0EEEvSF_
	.p2align	8
	.type	_ZN7rocprim17ROCPRIM_400000_NS6detail17trampoline_kernelINS0_14default_configENS1_38merge_sort_block_merge_config_selectorIaNS0_10empty_typeEEEZZNS1_27merge_sort_block_merge_implIS3_PaPS5_jNS1_19radix_merge_compareILb1ELb1EaNS0_19identity_decomposerEEEEE10hipError_tT0_T1_T2_jT3_P12ihipStream_tbPNSt15iterator_traitsISE_E10value_typeEPNSK_ISF_E10value_typeEPSG_NS1_7vsmem_tEENKUlT_SE_SF_SG_E_clIS8_S8_S9_S9_EESD_ST_SE_SF_SG_EUlST_E1_NS1_11comp_targetILNS1_3genE3ELNS1_11target_archE908ELNS1_3gpuE7ELNS1_3repE0EEENS1_36merge_oddeven_config_static_selectorELNS0_4arch9wavefront6targetE0EEEvSF_,@function
_ZN7rocprim17ROCPRIM_400000_NS6detail17trampoline_kernelINS0_14default_configENS1_38merge_sort_block_merge_config_selectorIaNS0_10empty_typeEEEZZNS1_27merge_sort_block_merge_implIS3_PaPS5_jNS1_19radix_merge_compareILb1ELb1EaNS0_19identity_decomposerEEEEE10hipError_tT0_T1_T2_jT3_P12ihipStream_tbPNSt15iterator_traitsISE_E10value_typeEPNSK_ISF_E10value_typeEPSG_NS1_7vsmem_tEENKUlT_SE_SF_SG_E_clIS8_S8_S9_S9_EESD_ST_SE_SF_SG_EUlST_E1_NS1_11comp_targetILNS1_3genE3ELNS1_11target_archE908ELNS1_3gpuE7ELNS1_3repE0EEENS1_36merge_oddeven_config_static_selectorELNS0_4arch9wavefront6targetE0EEEvSF_: ; @_ZN7rocprim17ROCPRIM_400000_NS6detail17trampoline_kernelINS0_14default_configENS1_38merge_sort_block_merge_config_selectorIaNS0_10empty_typeEEEZZNS1_27merge_sort_block_merge_implIS3_PaPS5_jNS1_19radix_merge_compareILb1ELb1EaNS0_19identity_decomposerEEEEE10hipError_tT0_T1_T2_jT3_P12ihipStream_tbPNSt15iterator_traitsISE_E10value_typeEPNSK_ISF_E10value_typeEPSG_NS1_7vsmem_tEENKUlT_SE_SF_SG_E_clIS8_S8_S9_S9_EESD_ST_SE_SF_SG_EUlST_E1_NS1_11comp_targetILNS1_3genE3ELNS1_11target_archE908ELNS1_3gpuE7ELNS1_3repE0EEENS1_36merge_oddeven_config_static_selectorELNS0_4arch9wavefront6targetE0EEEvSF_
; %bb.0:
	.section	.rodata,"a",@progbits
	.p2align	6, 0x0
	.amdhsa_kernel _ZN7rocprim17ROCPRIM_400000_NS6detail17trampoline_kernelINS0_14default_configENS1_38merge_sort_block_merge_config_selectorIaNS0_10empty_typeEEEZZNS1_27merge_sort_block_merge_implIS3_PaPS5_jNS1_19radix_merge_compareILb1ELb1EaNS0_19identity_decomposerEEEEE10hipError_tT0_T1_T2_jT3_P12ihipStream_tbPNSt15iterator_traitsISE_E10value_typeEPNSK_ISF_E10value_typeEPSG_NS1_7vsmem_tEENKUlT_SE_SF_SG_E_clIS8_S8_S9_S9_EESD_ST_SE_SF_SG_EUlST_E1_NS1_11comp_targetILNS1_3genE3ELNS1_11target_archE908ELNS1_3gpuE7ELNS1_3repE0EEENS1_36merge_oddeven_config_static_selectorELNS0_4arch9wavefront6targetE0EEEvSF_
		.amdhsa_group_segment_fixed_size 0
		.amdhsa_private_segment_fixed_size 0
		.amdhsa_kernarg_size 48
		.amdhsa_user_sgpr_count 2
		.amdhsa_user_sgpr_dispatch_ptr 0
		.amdhsa_user_sgpr_queue_ptr 0
		.amdhsa_user_sgpr_kernarg_segment_ptr 1
		.amdhsa_user_sgpr_dispatch_id 0
		.amdhsa_user_sgpr_kernarg_preload_length 0
		.amdhsa_user_sgpr_kernarg_preload_offset 0
		.amdhsa_user_sgpr_private_segment_size 0
		.amdhsa_wavefront_size32 1
		.amdhsa_uses_dynamic_stack 0
		.amdhsa_enable_private_segment 0
		.amdhsa_system_sgpr_workgroup_id_x 1
		.amdhsa_system_sgpr_workgroup_id_y 0
		.amdhsa_system_sgpr_workgroup_id_z 0
		.amdhsa_system_sgpr_workgroup_info 0
		.amdhsa_system_vgpr_workitem_id 0
		.amdhsa_next_free_vgpr 1
		.amdhsa_next_free_sgpr 1
		.amdhsa_named_barrier_count 0
		.amdhsa_reserve_vcc 0
		.amdhsa_float_round_mode_32 0
		.amdhsa_float_round_mode_16_64 0
		.amdhsa_float_denorm_mode_32 3
		.amdhsa_float_denorm_mode_16_64 3
		.amdhsa_fp16_overflow 0
		.amdhsa_memory_ordered 1
		.amdhsa_forward_progress 1
		.amdhsa_inst_pref_size 0
		.amdhsa_round_robin_scheduling 0
		.amdhsa_exception_fp_ieee_invalid_op 0
		.amdhsa_exception_fp_denorm_src 0
		.amdhsa_exception_fp_ieee_div_zero 0
		.amdhsa_exception_fp_ieee_overflow 0
		.amdhsa_exception_fp_ieee_underflow 0
		.amdhsa_exception_fp_ieee_inexact 0
		.amdhsa_exception_int_div_zero 0
	.end_amdhsa_kernel
	.section	.text._ZN7rocprim17ROCPRIM_400000_NS6detail17trampoline_kernelINS0_14default_configENS1_38merge_sort_block_merge_config_selectorIaNS0_10empty_typeEEEZZNS1_27merge_sort_block_merge_implIS3_PaPS5_jNS1_19radix_merge_compareILb1ELb1EaNS0_19identity_decomposerEEEEE10hipError_tT0_T1_T2_jT3_P12ihipStream_tbPNSt15iterator_traitsISE_E10value_typeEPNSK_ISF_E10value_typeEPSG_NS1_7vsmem_tEENKUlT_SE_SF_SG_E_clIS8_S8_S9_S9_EESD_ST_SE_SF_SG_EUlST_E1_NS1_11comp_targetILNS1_3genE3ELNS1_11target_archE908ELNS1_3gpuE7ELNS1_3repE0EEENS1_36merge_oddeven_config_static_selectorELNS0_4arch9wavefront6targetE0EEEvSF_,"axG",@progbits,_ZN7rocprim17ROCPRIM_400000_NS6detail17trampoline_kernelINS0_14default_configENS1_38merge_sort_block_merge_config_selectorIaNS0_10empty_typeEEEZZNS1_27merge_sort_block_merge_implIS3_PaPS5_jNS1_19radix_merge_compareILb1ELb1EaNS0_19identity_decomposerEEEEE10hipError_tT0_T1_T2_jT3_P12ihipStream_tbPNSt15iterator_traitsISE_E10value_typeEPNSK_ISF_E10value_typeEPSG_NS1_7vsmem_tEENKUlT_SE_SF_SG_E_clIS8_S8_S9_S9_EESD_ST_SE_SF_SG_EUlST_E1_NS1_11comp_targetILNS1_3genE3ELNS1_11target_archE908ELNS1_3gpuE7ELNS1_3repE0EEENS1_36merge_oddeven_config_static_selectorELNS0_4arch9wavefront6targetE0EEEvSF_,comdat
.Lfunc_end325:
	.size	_ZN7rocprim17ROCPRIM_400000_NS6detail17trampoline_kernelINS0_14default_configENS1_38merge_sort_block_merge_config_selectorIaNS0_10empty_typeEEEZZNS1_27merge_sort_block_merge_implIS3_PaPS5_jNS1_19radix_merge_compareILb1ELb1EaNS0_19identity_decomposerEEEEE10hipError_tT0_T1_T2_jT3_P12ihipStream_tbPNSt15iterator_traitsISE_E10value_typeEPNSK_ISF_E10value_typeEPSG_NS1_7vsmem_tEENKUlT_SE_SF_SG_E_clIS8_S8_S9_S9_EESD_ST_SE_SF_SG_EUlST_E1_NS1_11comp_targetILNS1_3genE3ELNS1_11target_archE908ELNS1_3gpuE7ELNS1_3repE0EEENS1_36merge_oddeven_config_static_selectorELNS0_4arch9wavefront6targetE0EEEvSF_, .Lfunc_end325-_ZN7rocprim17ROCPRIM_400000_NS6detail17trampoline_kernelINS0_14default_configENS1_38merge_sort_block_merge_config_selectorIaNS0_10empty_typeEEEZZNS1_27merge_sort_block_merge_implIS3_PaPS5_jNS1_19radix_merge_compareILb1ELb1EaNS0_19identity_decomposerEEEEE10hipError_tT0_T1_T2_jT3_P12ihipStream_tbPNSt15iterator_traitsISE_E10value_typeEPNSK_ISF_E10value_typeEPSG_NS1_7vsmem_tEENKUlT_SE_SF_SG_E_clIS8_S8_S9_S9_EESD_ST_SE_SF_SG_EUlST_E1_NS1_11comp_targetILNS1_3genE3ELNS1_11target_archE908ELNS1_3gpuE7ELNS1_3repE0EEENS1_36merge_oddeven_config_static_selectorELNS0_4arch9wavefront6targetE0EEEvSF_
                                        ; -- End function
	.set _ZN7rocprim17ROCPRIM_400000_NS6detail17trampoline_kernelINS0_14default_configENS1_38merge_sort_block_merge_config_selectorIaNS0_10empty_typeEEEZZNS1_27merge_sort_block_merge_implIS3_PaPS5_jNS1_19radix_merge_compareILb1ELb1EaNS0_19identity_decomposerEEEEE10hipError_tT0_T1_T2_jT3_P12ihipStream_tbPNSt15iterator_traitsISE_E10value_typeEPNSK_ISF_E10value_typeEPSG_NS1_7vsmem_tEENKUlT_SE_SF_SG_E_clIS8_S8_S9_S9_EESD_ST_SE_SF_SG_EUlST_E1_NS1_11comp_targetILNS1_3genE3ELNS1_11target_archE908ELNS1_3gpuE7ELNS1_3repE0EEENS1_36merge_oddeven_config_static_selectorELNS0_4arch9wavefront6targetE0EEEvSF_.num_vgpr, 0
	.set _ZN7rocprim17ROCPRIM_400000_NS6detail17trampoline_kernelINS0_14default_configENS1_38merge_sort_block_merge_config_selectorIaNS0_10empty_typeEEEZZNS1_27merge_sort_block_merge_implIS3_PaPS5_jNS1_19radix_merge_compareILb1ELb1EaNS0_19identity_decomposerEEEEE10hipError_tT0_T1_T2_jT3_P12ihipStream_tbPNSt15iterator_traitsISE_E10value_typeEPNSK_ISF_E10value_typeEPSG_NS1_7vsmem_tEENKUlT_SE_SF_SG_E_clIS8_S8_S9_S9_EESD_ST_SE_SF_SG_EUlST_E1_NS1_11comp_targetILNS1_3genE3ELNS1_11target_archE908ELNS1_3gpuE7ELNS1_3repE0EEENS1_36merge_oddeven_config_static_selectorELNS0_4arch9wavefront6targetE0EEEvSF_.num_agpr, 0
	.set _ZN7rocprim17ROCPRIM_400000_NS6detail17trampoline_kernelINS0_14default_configENS1_38merge_sort_block_merge_config_selectorIaNS0_10empty_typeEEEZZNS1_27merge_sort_block_merge_implIS3_PaPS5_jNS1_19radix_merge_compareILb1ELb1EaNS0_19identity_decomposerEEEEE10hipError_tT0_T1_T2_jT3_P12ihipStream_tbPNSt15iterator_traitsISE_E10value_typeEPNSK_ISF_E10value_typeEPSG_NS1_7vsmem_tEENKUlT_SE_SF_SG_E_clIS8_S8_S9_S9_EESD_ST_SE_SF_SG_EUlST_E1_NS1_11comp_targetILNS1_3genE3ELNS1_11target_archE908ELNS1_3gpuE7ELNS1_3repE0EEENS1_36merge_oddeven_config_static_selectorELNS0_4arch9wavefront6targetE0EEEvSF_.numbered_sgpr, 0
	.set _ZN7rocprim17ROCPRIM_400000_NS6detail17trampoline_kernelINS0_14default_configENS1_38merge_sort_block_merge_config_selectorIaNS0_10empty_typeEEEZZNS1_27merge_sort_block_merge_implIS3_PaPS5_jNS1_19radix_merge_compareILb1ELb1EaNS0_19identity_decomposerEEEEE10hipError_tT0_T1_T2_jT3_P12ihipStream_tbPNSt15iterator_traitsISE_E10value_typeEPNSK_ISF_E10value_typeEPSG_NS1_7vsmem_tEENKUlT_SE_SF_SG_E_clIS8_S8_S9_S9_EESD_ST_SE_SF_SG_EUlST_E1_NS1_11comp_targetILNS1_3genE3ELNS1_11target_archE908ELNS1_3gpuE7ELNS1_3repE0EEENS1_36merge_oddeven_config_static_selectorELNS0_4arch9wavefront6targetE0EEEvSF_.num_named_barrier, 0
	.set _ZN7rocprim17ROCPRIM_400000_NS6detail17trampoline_kernelINS0_14default_configENS1_38merge_sort_block_merge_config_selectorIaNS0_10empty_typeEEEZZNS1_27merge_sort_block_merge_implIS3_PaPS5_jNS1_19radix_merge_compareILb1ELb1EaNS0_19identity_decomposerEEEEE10hipError_tT0_T1_T2_jT3_P12ihipStream_tbPNSt15iterator_traitsISE_E10value_typeEPNSK_ISF_E10value_typeEPSG_NS1_7vsmem_tEENKUlT_SE_SF_SG_E_clIS8_S8_S9_S9_EESD_ST_SE_SF_SG_EUlST_E1_NS1_11comp_targetILNS1_3genE3ELNS1_11target_archE908ELNS1_3gpuE7ELNS1_3repE0EEENS1_36merge_oddeven_config_static_selectorELNS0_4arch9wavefront6targetE0EEEvSF_.private_seg_size, 0
	.set _ZN7rocprim17ROCPRIM_400000_NS6detail17trampoline_kernelINS0_14default_configENS1_38merge_sort_block_merge_config_selectorIaNS0_10empty_typeEEEZZNS1_27merge_sort_block_merge_implIS3_PaPS5_jNS1_19radix_merge_compareILb1ELb1EaNS0_19identity_decomposerEEEEE10hipError_tT0_T1_T2_jT3_P12ihipStream_tbPNSt15iterator_traitsISE_E10value_typeEPNSK_ISF_E10value_typeEPSG_NS1_7vsmem_tEENKUlT_SE_SF_SG_E_clIS8_S8_S9_S9_EESD_ST_SE_SF_SG_EUlST_E1_NS1_11comp_targetILNS1_3genE3ELNS1_11target_archE908ELNS1_3gpuE7ELNS1_3repE0EEENS1_36merge_oddeven_config_static_selectorELNS0_4arch9wavefront6targetE0EEEvSF_.uses_vcc, 0
	.set _ZN7rocprim17ROCPRIM_400000_NS6detail17trampoline_kernelINS0_14default_configENS1_38merge_sort_block_merge_config_selectorIaNS0_10empty_typeEEEZZNS1_27merge_sort_block_merge_implIS3_PaPS5_jNS1_19radix_merge_compareILb1ELb1EaNS0_19identity_decomposerEEEEE10hipError_tT0_T1_T2_jT3_P12ihipStream_tbPNSt15iterator_traitsISE_E10value_typeEPNSK_ISF_E10value_typeEPSG_NS1_7vsmem_tEENKUlT_SE_SF_SG_E_clIS8_S8_S9_S9_EESD_ST_SE_SF_SG_EUlST_E1_NS1_11comp_targetILNS1_3genE3ELNS1_11target_archE908ELNS1_3gpuE7ELNS1_3repE0EEENS1_36merge_oddeven_config_static_selectorELNS0_4arch9wavefront6targetE0EEEvSF_.uses_flat_scratch, 0
	.set _ZN7rocprim17ROCPRIM_400000_NS6detail17trampoline_kernelINS0_14default_configENS1_38merge_sort_block_merge_config_selectorIaNS0_10empty_typeEEEZZNS1_27merge_sort_block_merge_implIS3_PaPS5_jNS1_19radix_merge_compareILb1ELb1EaNS0_19identity_decomposerEEEEE10hipError_tT0_T1_T2_jT3_P12ihipStream_tbPNSt15iterator_traitsISE_E10value_typeEPNSK_ISF_E10value_typeEPSG_NS1_7vsmem_tEENKUlT_SE_SF_SG_E_clIS8_S8_S9_S9_EESD_ST_SE_SF_SG_EUlST_E1_NS1_11comp_targetILNS1_3genE3ELNS1_11target_archE908ELNS1_3gpuE7ELNS1_3repE0EEENS1_36merge_oddeven_config_static_selectorELNS0_4arch9wavefront6targetE0EEEvSF_.has_dyn_sized_stack, 0
	.set _ZN7rocprim17ROCPRIM_400000_NS6detail17trampoline_kernelINS0_14default_configENS1_38merge_sort_block_merge_config_selectorIaNS0_10empty_typeEEEZZNS1_27merge_sort_block_merge_implIS3_PaPS5_jNS1_19radix_merge_compareILb1ELb1EaNS0_19identity_decomposerEEEEE10hipError_tT0_T1_T2_jT3_P12ihipStream_tbPNSt15iterator_traitsISE_E10value_typeEPNSK_ISF_E10value_typeEPSG_NS1_7vsmem_tEENKUlT_SE_SF_SG_E_clIS8_S8_S9_S9_EESD_ST_SE_SF_SG_EUlST_E1_NS1_11comp_targetILNS1_3genE3ELNS1_11target_archE908ELNS1_3gpuE7ELNS1_3repE0EEENS1_36merge_oddeven_config_static_selectorELNS0_4arch9wavefront6targetE0EEEvSF_.has_recursion, 0
	.set _ZN7rocprim17ROCPRIM_400000_NS6detail17trampoline_kernelINS0_14default_configENS1_38merge_sort_block_merge_config_selectorIaNS0_10empty_typeEEEZZNS1_27merge_sort_block_merge_implIS3_PaPS5_jNS1_19radix_merge_compareILb1ELb1EaNS0_19identity_decomposerEEEEE10hipError_tT0_T1_T2_jT3_P12ihipStream_tbPNSt15iterator_traitsISE_E10value_typeEPNSK_ISF_E10value_typeEPSG_NS1_7vsmem_tEENKUlT_SE_SF_SG_E_clIS8_S8_S9_S9_EESD_ST_SE_SF_SG_EUlST_E1_NS1_11comp_targetILNS1_3genE3ELNS1_11target_archE908ELNS1_3gpuE7ELNS1_3repE0EEENS1_36merge_oddeven_config_static_selectorELNS0_4arch9wavefront6targetE0EEEvSF_.has_indirect_call, 0
	.section	.AMDGPU.csdata,"",@progbits
; Kernel info:
; codeLenInByte = 0
; TotalNumSgprs: 0
; NumVgprs: 0
; ScratchSize: 0
; MemoryBound: 0
; FloatMode: 240
; IeeeMode: 1
; LDSByteSize: 0 bytes/workgroup (compile time only)
; SGPRBlocks: 0
; VGPRBlocks: 0
; NumSGPRsForWavesPerEU: 1
; NumVGPRsForWavesPerEU: 1
; NamedBarCnt: 0
; Occupancy: 16
; WaveLimiterHint : 0
; COMPUTE_PGM_RSRC2:SCRATCH_EN: 0
; COMPUTE_PGM_RSRC2:USER_SGPR: 2
; COMPUTE_PGM_RSRC2:TRAP_HANDLER: 0
; COMPUTE_PGM_RSRC2:TGID_X_EN: 1
; COMPUTE_PGM_RSRC2:TGID_Y_EN: 0
; COMPUTE_PGM_RSRC2:TGID_Z_EN: 0
; COMPUTE_PGM_RSRC2:TIDIG_COMP_CNT: 0
	.section	.text._ZN7rocprim17ROCPRIM_400000_NS6detail17trampoline_kernelINS0_14default_configENS1_38merge_sort_block_merge_config_selectorIaNS0_10empty_typeEEEZZNS1_27merge_sort_block_merge_implIS3_PaPS5_jNS1_19radix_merge_compareILb1ELb1EaNS0_19identity_decomposerEEEEE10hipError_tT0_T1_T2_jT3_P12ihipStream_tbPNSt15iterator_traitsISE_E10value_typeEPNSK_ISF_E10value_typeEPSG_NS1_7vsmem_tEENKUlT_SE_SF_SG_E_clIS8_S8_S9_S9_EESD_ST_SE_SF_SG_EUlST_E1_NS1_11comp_targetILNS1_3genE2ELNS1_11target_archE906ELNS1_3gpuE6ELNS1_3repE0EEENS1_36merge_oddeven_config_static_selectorELNS0_4arch9wavefront6targetE0EEEvSF_,"axG",@progbits,_ZN7rocprim17ROCPRIM_400000_NS6detail17trampoline_kernelINS0_14default_configENS1_38merge_sort_block_merge_config_selectorIaNS0_10empty_typeEEEZZNS1_27merge_sort_block_merge_implIS3_PaPS5_jNS1_19radix_merge_compareILb1ELb1EaNS0_19identity_decomposerEEEEE10hipError_tT0_T1_T2_jT3_P12ihipStream_tbPNSt15iterator_traitsISE_E10value_typeEPNSK_ISF_E10value_typeEPSG_NS1_7vsmem_tEENKUlT_SE_SF_SG_E_clIS8_S8_S9_S9_EESD_ST_SE_SF_SG_EUlST_E1_NS1_11comp_targetILNS1_3genE2ELNS1_11target_archE906ELNS1_3gpuE6ELNS1_3repE0EEENS1_36merge_oddeven_config_static_selectorELNS0_4arch9wavefront6targetE0EEEvSF_,comdat
	.protected	_ZN7rocprim17ROCPRIM_400000_NS6detail17trampoline_kernelINS0_14default_configENS1_38merge_sort_block_merge_config_selectorIaNS0_10empty_typeEEEZZNS1_27merge_sort_block_merge_implIS3_PaPS5_jNS1_19radix_merge_compareILb1ELb1EaNS0_19identity_decomposerEEEEE10hipError_tT0_T1_T2_jT3_P12ihipStream_tbPNSt15iterator_traitsISE_E10value_typeEPNSK_ISF_E10value_typeEPSG_NS1_7vsmem_tEENKUlT_SE_SF_SG_E_clIS8_S8_S9_S9_EESD_ST_SE_SF_SG_EUlST_E1_NS1_11comp_targetILNS1_3genE2ELNS1_11target_archE906ELNS1_3gpuE6ELNS1_3repE0EEENS1_36merge_oddeven_config_static_selectorELNS0_4arch9wavefront6targetE0EEEvSF_ ; -- Begin function _ZN7rocprim17ROCPRIM_400000_NS6detail17trampoline_kernelINS0_14default_configENS1_38merge_sort_block_merge_config_selectorIaNS0_10empty_typeEEEZZNS1_27merge_sort_block_merge_implIS3_PaPS5_jNS1_19radix_merge_compareILb1ELb1EaNS0_19identity_decomposerEEEEE10hipError_tT0_T1_T2_jT3_P12ihipStream_tbPNSt15iterator_traitsISE_E10value_typeEPNSK_ISF_E10value_typeEPSG_NS1_7vsmem_tEENKUlT_SE_SF_SG_E_clIS8_S8_S9_S9_EESD_ST_SE_SF_SG_EUlST_E1_NS1_11comp_targetILNS1_3genE2ELNS1_11target_archE906ELNS1_3gpuE6ELNS1_3repE0EEENS1_36merge_oddeven_config_static_selectorELNS0_4arch9wavefront6targetE0EEEvSF_
	.globl	_ZN7rocprim17ROCPRIM_400000_NS6detail17trampoline_kernelINS0_14default_configENS1_38merge_sort_block_merge_config_selectorIaNS0_10empty_typeEEEZZNS1_27merge_sort_block_merge_implIS3_PaPS5_jNS1_19radix_merge_compareILb1ELb1EaNS0_19identity_decomposerEEEEE10hipError_tT0_T1_T2_jT3_P12ihipStream_tbPNSt15iterator_traitsISE_E10value_typeEPNSK_ISF_E10value_typeEPSG_NS1_7vsmem_tEENKUlT_SE_SF_SG_E_clIS8_S8_S9_S9_EESD_ST_SE_SF_SG_EUlST_E1_NS1_11comp_targetILNS1_3genE2ELNS1_11target_archE906ELNS1_3gpuE6ELNS1_3repE0EEENS1_36merge_oddeven_config_static_selectorELNS0_4arch9wavefront6targetE0EEEvSF_
	.p2align	8
	.type	_ZN7rocprim17ROCPRIM_400000_NS6detail17trampoline_kernelINS0_14default_configENS1_38merge_sort_block_merge_config_selectorIaNS0_10empty_typeEEEZZNS1_27merge_sort_block_merge_implIS3_PaPS5_jNS1_19radix_merge_compareILb1ELb1EaNS0_19identity_decomposerEEEEE10hipError_tT0_T1_T2_jT3_P12ihipStream_tbPNSt15iterator_traitsISE_E10value_typeEPNSK_ISF_E10value_typeEPSG_NS1_7vsmem_tEENKUlT_SE_SF_SG_E_clIS8_S8_S9_S9_EESD_ST_SE_SF_SG_EUlST_E1_NS1_11comp_targetILNS1_3genE2ELNS1_11target_archE906ELNS1_3gpuE6ELNS1_3repE0EEENS1_36merge_oddeven_config_static_selectorELNS0_4arch9wavefront6targetE0EEEvSF_,@function
_ZN7rocprim17ROCPRIM_400000_NS6detail17trampoline_kernelINS0_14default_configENS1_38merge_sort_block_merge_config_selectorIaNS0_10empty_typeEEEZZNS1_27merge_sort_block_merge_implIS3_PaPS5_jNS1_19radix_merge_compareILb1ELb1EaNS0_19identity_decomposerEEEEE10hipError_tT0_T1_T2_jT3_P12ihipStream_tbPNSt15iterator_traitsISE_E10value_typeEPNSK_ISF_E10value_typeEPSG_NS1_7vsmem_tEENKUlT_SE_SF_SG_E_clIS8_S8_S9_S9_EESD_ST_SE_SF_SG_EUlST_E1_NS1_11comp_targetILNS1_3genE2ELNS1_11target_archE906ELNS1_3gpuE6ELNS1_3repE0EEENS1_36merge_oddeven_config_static_selectorELNS0_4arch9wavefront6targetE0EEEvSF_: ; @_ZN7rocprim17ROCPRIM_400000_NS6detail17trampoline_kernelINS0_14default_configENS1_38merge_sort_block_merge_config_selectorIaNS0_10empty_typeEEEZZNS1_27merge_sort_block_merge_implIS3_PaPS5_jNS1_19radix_merge_compareILb1ELb1EaNS0_19identity_decomposerEEEEE10hipError_tT0_T1_T2_jT3_P12ihipStream_tbPNSt15iterator_traitsISE_E10value_typeEPNSK_ISF_E10value_typeEPSG_NS1_7vsmem_tEENKUlT_SE_SF_SG_E_clIS8_S8_S9_S9_EESD_ST_SE_SF_SG_EUlST_E1_NS1_11comp_targetILNS1_3genE2ELNS1_11target_archE906ELNS1_3gpuE6ELNS1_3repE0EEENS1_36merge_oddeven_config_static_selectorELNS0_4arch9wavefront6targetE0EEEvSF_
; %bb.0:
	.section	.rodata,"a",@progbits
	.p2align	6, 0x0
	.amdhsa_kernel _ZN7rocprim17ROCPRIM_400000_NS6detail17trampoline_kernelINS0_14default_configENS1_38merge_sort_block_merge_config_selectorIaNS0_10empty_typeEEEZZNS1_27merge_sort_block_merge_implIS3_PaPS5_jNS1_19radix_merge_compareILb1ELb1EaNS0_19identity_decomposerEEEEE10hipError_tT0_T1_T2_jT3_P12ihipStream_tbPNSt15iterator_traitsISE_E10value_typeEPNSK_ISF_E10value_typeEPSG_NS1_7vsmem_tEENKUlT_SE_SF_SG_E_clIS8_S8_S9_S9_EESD_ST_SE_SF_SG_EUlST_E1_NS1_11comp_targetILNS1_3genE2ELNS1_11target_archE906ELNS1_3gpuE6ELNS1_3repE0EEENS1_36merge_oddeven_config_static_selectorELNS0_4arch9wavefront6targetE0EEEvSF_
		.amdhsa_group_segment_fixed_size 0
		.amdhsa_private_segment_fixed_size 0
		.amdhsa_kernarg_size 48
		.amdhsa_user_sgpr_count 2
		.amdhsa_user_sgpr_dispatch_ptr 0
		.amdhsa_user_sgpr_queue_ptr 0
		.amdhsa_user_sgpr_kernarg_segment_ptr 1
		.amdhsa_user_sgpr_dispatch_id 0
		.amdhsa_user_sgpr_kernarg_preload_length 0
		.amdhsa_user_sgpr_kernarg_preload_offset 0
		.amdhsa_user_sgpr_private_segment_size 0
		.amdhsa_wavefront_size32 1
		.amdhsa_uses_dynamic_stack 0
		.amdhsa_enable_private_segment 0
		.amdhsa_system_sgpr_workgroup_id_x 1
		.amdhsa_system_sgpr_workgroup_id_y 0
		.amdhsa_system_sgpr_workgroup_id_z 0
		.amdhsa_system_sgpr_workgroup_info 0
		.amdhsa_system_vgpr_workitem_id 0
		.amdhsa_next_free_vgpr 1
		.amdhsa_next_free_sgpr 1
		.amdhsa_named_barrier_count 0
		.amdhsa_reserve_vcc 0
		.amdhsa_float_round_mode_32 0
		.amdhsa_float_round_mode_16_64 0
		.amdhsa_float_denorm_mode_32 3
		.amdhsa_float_denorm_mode_16_64 3
		.amdhsa_fp16_overflow 0
		.amdhsa_memory_ordered 1
		.amdhsa_forward_progress 1
		.amdhsa_inst_pref_size 0
		.amdhsa_round_robin_scheduling 0
		.amdhsa_exception_fp_ieee_invalid_op 0
		.amdhsa_exception_fp_denorm_src 0
		.amdhsa_exception_fp_ieee_div_zero 0
		.amdhsa_exception_fp_ieee_overflow 0
		.amdhsa_exception_fp_ieee_underflow 0
		.amdhsa_exception_fp_ieee_inexact 0
		.amdhsa_exception_int_div_zero 0
	.end_amdhsa_kernel
	.section	.text._ZN7rocprim17ROCPRIM_400000_NS6detail17trampoline_kernelINS0_14default_configENS1_38merge_sort_block_merge_config_selectorIaNS0_10empty_typeEEEZZNS1_27merge_sort_block_merge_implIS3_PaPS5_jNS1_19radix_merge_compareILb1ELb1EaNS0_19identity_decomposerEEEEE10hipError_tT0_T1_T2_jT3_P12ihipStream_tbPNSt15iterator_traitsISE_E10value_typeEPNSK_ISF_E10value_typeEPSG_NS1_7vsmem_tEENKUlT_SE_SF_SG_E_clIS8_S8_S9_S9_EESD_ST_SE_SF_SG_EUlST_E1_NS1_11comp_targetILNS1_3genE2ELNS1_11target_archE906ELNS1_3gpuE6ELNS1_3repE0EEENS1_36merge_oddeven_config_static_selectorELNS0_4arch9wavefront6targetE0EEEvSF_,"axG",@progbits,_ZN7rocprim17ROCPRIM_400000_NS6detail17trampoline_kernelINS0_14default_configENS1_38merge_sort_block_merge_config_selectorIaNS0_10empty_typeEEEZZNS1_27merge_sort_block_merge_implIS3_PaPS5_jNS1_19radix_merge_compareILb1ELb1EaNS0_19identity_decomposerEEEEE10hipError_tT0_T1_T2_jT3_P12ihipStream_tbPNSt15iterator_traitsISE_E10value_typeEPNSK_ISF_E10value_typeEPSG_NS1_7vsmem_tEENKUlT_SE_SF_SG_E_clIS8_S8_S9_S9_EESD_ST_SE_SF_SG_EUlST_E1_NS1_11comp_targetILNS1_3genE2ELNS1_11target_archE906ELNS1_3gpuE6ELNS1_3repE0EEENS1_36merge_oddeven_config_static_selectorELNS0_4arch9wavefront6targetE0EEEvSF_,comdat
.Lfunc_end326:
	.size	_ZN7rocprim17ROCPRIM_400000_NS6detail17trampoline_kernelINS0_14default_configENS1_38merge_sort_block_merge_config_selectorIaNS0_10empty_typeEEEZZNS1_27merge_sort_block_merge_implIS3_PaPS5_jNS1_19radix_merge_compareILb1ELb1EaNS0_19identity_decomposerEEEEE10hipError_tT0_T1_T2_jT3_P12ihipStream_tbPNSt15iterator_traitsISE_E10value_typeEPNSK_ISF_E10value_typeEPSG_NS1_7vsmem_tEENKUlT_SE_SF_SG_E_clIS8_S8_S9_S9_EESD_ST_SE_SF_SG_EUlST_E1_NS1_11comp_targetILNS1_3genE2ELNS1_11target_archE906ELNS1_3gpuE6ELNS1_3repE0EEENS1_36merge_oddeven_config_static_selectorELNS0_4arch9wavefront6targetE0EEEvSF_, .Lfunc_end326-_ZN7rocprim17ROCPRIM_400000_NS6detail17trampoline_kernelINS0_14default_configENS1_38merge_sort_block_merge_config_selectorIaNS0_10empty_typeEEEZZNS1_27merge_sort_block_merge_implIS3_PaPS5_jNS1_19radix_merge_compareILb1ELb1EaNS0_19identity_decomposerEEEEE10hipError_tT0_T1_T2_jT3_P12ihipStream_tbPNSt15iterator_traitsISE_E10value_typeEPNSK_ISF_E10value_typeEPSG_NS1_7vsmem_tEENKUlT_SE_SF_SG_E_clIS8_S8_S9_S9_EESD_ST_SE_SF_SG_EUlST_E1_NS1_11comp_targetILNS1_3genE2ELNS1_11target_archE906ELNS1_3gpuE6ELNS1_3repE0EEENS1_36merge_oddeven_config_static_selectorELNS0_4arch9wavefront6targetE0EEEvSF_
                                        ; -- End function
	.set _ZN7rocprim17ROCPRIM_400000_NS6detail17trampoline_kernelINS0_14default_configENS1_38merge_sort_block_merge_config_selectorIaNS0_10empty_typeEEEZZNS1_27merge_sort_block_merge_implIS3_PaPS5_jNS1_19radix_merge_compareILb1ELb1EaNS0_19identity_decomposerEEEEE10hipError_tT0_T1_T2_jT3_P12ihipStream_tbPNSt15iterator_traitsISE_E10value_typeEPNSK_ISF_E10value_typeEPSG_NS1_7vsmem_tEENKUlT_SE_SF_SG_E_clIS8_S8_S9_S9_EESD_ST_SE_SF_SG_EUlST_E1_NS1_11comp_targetILNS1_3genE2ELNS1_11target_archE906ELNS1_3gpuE6ELNS1_3repE0EEENS1_36merge_oddeven_config_static_selectorELNS0_4arch9wavefront6targetE0EEEvSF_.num_vgpr, 0
	.set _ZN7rocprim17ROCPRIM_400000_NS6detail17trampoline_kernelINS0_14default_configENS1_38merge_sort_block_merge_config_selectorIaNS0_10empty_typeEEEZZNS1_27merge_sort_block_merge_implIS3_PaPS5_jNS1_19radix_merge_compareILb1ELb1EaNS0_19identity_decomposerEEEEE10hipError_tT0_T1_T2_jT3_P12ihipStream_tbPNSt15iterator_traitsISE_E10value_typeEPNSK_ISF_E10value_typeEPSG_NS1_7vsmem_tEENKUlT_SE_SF_SG_E_clIS8_S8_S9_S9_EESD_ST_SE_SF_SG_EUlST_E1_NS1_11comp_targetILNS1_3genE2ELNS1_11target_archE906ELNS1_3gpuE6ELNS1_3repE0EEENS1_36merge_oddeven_config_static_selectorELNS0_4arch9wavefront6targetE0EEEvSF_.num_agpr, 0
	.set _ZN7rocprim17ROCPRIM_400000_NS6detail17trampoline_kernelINS0_14default_configENS1_38merge_sort_block_merge_config_selectorIaNS0_10empty_typeEEEZZNS1_27merge_sort_block_merge_implIS3_PaPS5_jNS1_19radix_merge_compareILb1ELb1EaNS0_19identity_decomposerEEEEE10hipError_tT0_T1_T2_jT3_P12ihipStream_tbPNSt15iterator_traitsISE_E10value_typeEPNSK_ISF_E10value_typeEPSG_NS1_7vsmem_tEENKUlT_SE_SF_SG_E_clIS8_S8_S9_S9_EESD_ST_SE_SF_SG_EUlST_E1_NS1_11comp_targetILNS1_3genE2ELNS1_11target_archE906ELNS1_3gpuE6ELNS1_3repE0EEENS1_36merge_oddeven_config_static_selectorELNS0_4arch9wavefront6targetE0EEEvSF_.numbered_sgpr, 0
	.set _ZN7rocprim17ROCPRIM_400000_NS6detail17trampoline_kernelINS0_14default_configENS1_38merge_sort_block_merge_config_selectorIaNS0_10empty_typeEEEZZNS1_27merge_sort_block_merge_implIS3_PaPS5_jNS1_19radix_merge_compareILb1ELb1EaNS0_19identity_decomposerEEEEE10hipError_tT0_T1_T2_jT3_P12ihipStream_tbPNSt15iterator_traitsISE_E10value_typeEPNSK_ISF_E10value_typeEPSG_NS1_7vsmem_tEENKUlT_SE_SF_SG_E_clIS8_S8_S9_S9_EESD_ST_SE_SF_SG_EUlST_E1_NS1_11comp_targetILNS1_3genE2ELNS1_11target_archE906ELNS1_3gpuE6ELNS1_3repE0EEENS1_36merge_oddeven_config_static_selectorELNS0_4arch9wavefront6targetE0EEEvSF_.num_named_barrier, 0
	.set _ZN7rocprim17ROCPRIM_400000_NS6detail17trampoline_kernelINS0_14default_configENS1_38merge_sort_block_merge_config_selectorIaNS0_10empty_typeEEEZZNS1_27merge_sort_block_merge_implIS3_PaPS5_jNS1_19radix_merge_compareILb1ELb1EaNS0_19identity_decomposerEEEEE10hipError_tT0_T1_T2_jT3_P12ihipStream_tbPNSt15iterator_traitsISE_E10value_typeEPNSK_ISF_E10value_typeEPSG_NS1_7vsmem_tEENKUlT_SE_SF_SG_E_clIS8_S8_S9_S9_EESD_ST_SE_SF_SG_EUlST_E1_NS1_11comp_targetILNS1_3genE2ELNS1_11target_archE906ELNS1_3gpuE6ELNS1_3repE0EEENS1_36merge_oddeven_config_static_selectorELNS0_4arch9wavefront6targetE0EEEvSF_.private_seg_size, 0
	.set _ZN7rocprim17ROCPRIM_400000_NS6detail17trampoline_kernelINS0_14default_configENS1_38merge_sort_block_merge_config_selectorIaNS0_10empty_typeEEEZZNS1_27merge_sort_block_merge_implIS3_PaPS5_jNS1_19radix_merge_compareILb1ELb1EaNS0_19identity_decomposerEEEEE10hipError_tT0_T1_T2_jT3_P12ihipStream_tbPNSt15iterator_traitsISE_E10value_typeEPNSK_ISF_E10value_typeEPSG_NS1_7vsmem_tEENKUlT_SE_SF_SG_E_clIS8_S8_S9_S9_EESD_ST_SE_SF_SG_EUlST_E1_NS1_11comp_targetILNS1_3genE2ELNS1_11target_archE906ELNS1_3gpuE6ELNS1_3repE0EEENS1_36merge_oddeven_config_static_selectorELNS0_4arch9wavefront6targetE0EEEvSF_.uses_vcc, 0
	.set _ZN7rocprim17ROCPRIM_400000_NS6detail17trampoline_kernelINS0_14default_configENS1_38merge_sort_block_merge_config_selectorIaNS0_10empty_typeEEEZZNS1_27merge_sort_block_merge_implIS3_PaPS5_jNS1_19radix_merge_compareILb1ELb1EaNS0_19identity_decomposerEEEEE10hipError_tT0_T1_T2_jT3_P12ihipStream_tbPNSt15iterator_traitsISE_E10value_typeEPNSK_ISF_E10value_typeEPSG_NS1_7vsmem_tEENKUlT_SE_SF_SG_E_clIS8_S8_S9_S9_EESD_ST_SE_SF_SG_EUlST_E1_NS1_11comp_targetILNS1_3genE2ELNS1_11target_archE906ELNS1_3gpuE6ELNS1_3repE0EEENS1_36merge_oddeven_config_static_selectorELNS0_4arch9wavefront6targetE0EEEvSF_.uses_flat_scratch, 0
	.set _ZN7rocprim17ROCPRIM_400000_NS6detail17trampoline_kernelINS0_14default_configENS1_38merge_sort_block_merge_config_selectorIaNS0_10empty_typeEEEZZNS1_27merge_sort_block_merge_implIS3_PaPS5_jNS1_19radix_merge_compareILb1ELb1EaNS0_19identity_decomposerEEEEE10hipError_tT0_T1_T2_jT3_P12ihipStream_tbPNSt15iterator_traitsISE_E10value_typeEPNSK_ISF_E10value_typeEPSG_NS1_7vsmem_tEENKUlT_SE_SF_SG_E_clIS8_S8_S9_S9_EESD_ST_SE_SF_SG_EUlST_E1_NS1_11comp_targetILNS1_3genE2ELNS1_11target_archE906ELNS1_3gpuE6ELNS1_3repE0EEENS1_36merge_oddeven_config_static_selectorELNS0_4arch9wavefront6targetE0EEEvSF_.has_dyn_sized_stack, 0
	.set _ZN7rocprim17ROCPRIM_400000_NS6detail17trampoline_kernelINS0_14default_configENS1_38merge_sort_block_merge_config_selectorIaNS0_10empty_typeEEEZZNS1_27merge_sort_block_merge_implIS3_PaPS5_jNS1_19radix_merge_compareILb1ELb1EaNS0_19identity_decomposerEEEEE10hipError_tT0_T1_T2_jT3_P12ihipStream_tbPNSt15iterator_traitsISE_E10value_typeEPNSK_ISF_E10value_typeEPSG_NS1_7vsmem_tEENKUlT_SE_SF_SG_E_clIS8_S8_S9_S9_EESD_ST_SE_SF_SG_EUlST_E1_NS1_11comp_targetILNS1_3genE2ELNS1_11target_archE906ELNS1_3gpuE6ELNS1_3repE0EEENS1_36merge_oddeven_config_static_selectorELNS0_4arch9wavefront6targetE0EEEvSF_.has_recursion, 0
	.set _ZN7rocprim17ROCPRIM_400000_NS6detail17trampoline_kernelINS0_14default_configENS1_38merge_sort_block_merge_config_selectorIaNS0_10empty_typeEEEZZNS1_27merge_sort_block_merge_implIS3_PaPS5_jNS1_19radix_merge_compareILb1ELb1EaNS0_19identity_decomposerEEEEE10hipError_tT0_T1_T2_jT3_P12ihipStream_tbPNSt15iterator_traitsISE_E10value_typeEPNSK_ISF_E10value_typeEPSG_NS1_7vsmem_tEENKUlT_SE_SF_SG_E_clIS8_S8_S9_S9_EESD_ST_SE_SF_SG_EUlST_E1_NS1_11comp_targetILNS1_3genE2ELNS1_11target_archE906ELNS1_3gpuE6ELNS1_3repE0EEENS1_36merge_oddeven_config_static_selectorELNS0_4arch9wavefront6targetE0EEEvSF_.has_indirect_call, 0
	.section	.AMDGPU.csdata,"",@progbits
; Kernel info:
; codeLenInByte = 0
; TotalNumSgprs: 0
; NumVgprs: 0
; ScratchSize: 0
; MemoryBound: 0
; FloatMode: 240
; IeeeMode: 1
; LDSByteSize: 0 bytes/workgroup (compile time only)
; SGPRBlocks: 0
; VGPRBlocks: 0
; NumSGPRsForWavesPerEU: 1
; NumVGPRsForWavesPerEU: 1
; NamedBarCnt: 0
; Occupancy: 16
; WaveLimiterHint : 0
; COMPUTE_PGM_RSRC2:SCRATCH_EN: 0
; COMPUTE_PGM_RSRC2:USER_SGPR: 2
; COMPUTE_PGM_RSRC2:TRAP_HANDLER: 0
; COMPUTE_PGM_RSRC2:TGID_X_EN: 1
; COMPUTE_PGM_RSRC2:TGID_Y_EN: 0
; COMPUTE_PGM_RSRC2:TGID_Z_EN: 0
; COMPUTE_PGM_RSRC2:TIDIG_COMP_CNT: 0
	.section	.text._ZN7rocprim17ROCPRIM_400000_NS6detail17trampoline_kernelINS0_14default_configENS1_38merge_sort_block_merge_config_selectorIaNS0_10empty_typeEEEZZNS1_27merge_sort_block_merge_implIS3_PaPS5_jNS1_19radix_merge_compareILb1ELb1EaNS0_19identity_decomposerEEEEE10hipError_tT0_T1_T2_jT3_P12ihipStream_tbPNSt15iterator_traitsISE_E10value_typeEPNSK_ISF_E10value_typeEPSG_NS1_7vsmem_tEENKUlT_SE_SF_SG_E_clIS8_S8_S9_S9_EESD_ST_SE_SF_SG_EUlST_E1_NS1_11comp_targetILNS1_3genE9ELNS1_11target_archE1100ELNS1_3gpuE3ELNS1_3repE0EEENS1_36merge_oddeven_config_static_selectorELNS0_4arch9wavefront6targetE0EEEvSF_,"axG",@progbits,_ZN7rocprim17ROCPRIM_400000_NS6detail17trampoline_kernelINS0_14default_configENS1_38merge_sort_block_merge_config_selectorIaNS0_10empty_typeEEEZZNS1_27merge_sort_block_merge_implIS3_PaPS5_jNS1_19radix_merge_compareILb1ELb1EaNS0_19identity_decomposerEEEEE10hipError_tT0_T1_T2_jT3_P12ihipStream_tbPNSt15iterator_traitsISE_E10value_typeEPNSK_ISF_E10value_typeEPSG_NS1_7vsmem_tEENKUlT_SE_SF_SG_E_clIS8_S8_S9_S9_EESD_ST_SE_SF_SG_EUlST_E1_NS1_11comp_targetILNS1_3genE9ELNS1_11target_archE1100ELNS1_3gpuE3ELNS1_3repE0EEENS1_36merge_oddeven_config_static_selectorELNS0_4arch9wavefront6targetE0EEEvSF_,comdat
	.protected	_ZN7rocprim17ROCPRIM_400000_NS6detail17trampoline_kernelINS0_14default_configENS1_38merge_sort_block_merge_config_selectorIaNS0_10empty_typeEEEZZNS1_27merge_sort_block_merge_implIS3_PaPS5_jNS1_19radix_merge_compareILb1ELb1EaNS0_19identity_decomposerEEEEE10hipError_tT0_T1_T2_jT3_P12ihipStream_tbPNSt15iterator_traitsISE_E10value_typeEPNSK_ISF_E10value_typeEPSG_NS1_7vsmem_tEENKUlT_SE_SF_SG_E_clIS8_S8_S9_S9_EESD_ST_SE_SF_SG_EUlST_E1_NS1_11comp_targetILNS1_3genE9ELNS1_11target_archE1100ELNS1_3gpuE3ELNS1_3repE0EEENS1_36merge_oddeven_config_static_selectorELNS0_4arch9wavefront6targetE0EEEvSF_ ; -- Begin function _ZN7rocprim17ROCPRIM_400000_NS6detail17trampoline_kernelINS0_14default_configENS1_38merge_sort_block_merge_config_selectorIaNS0_10empty_typeEEEZZNS1_27merge_sort_block_merge_implIS3_PaPS5_jNS1_19radix_merge_compareILb1ELb1EaNS0_19identity_decomposerEEEEE10hipError_tT0_T1_T2_jT3_P12ihipStream_tbPNSt15iterator_traitsISE_E10value_typeEPNSK_ISF_E10value_typeEPSG_NS1_7vsmem_tEENKUlT_SE_SF_SG_E_clIS8_S8_S9_S9_EESD_ST_SE_SF_SG_EUlST_E1_NS1_11comp_targetILNS1_3genE9ELNS1_11target_archE1100ELNS1_3gpuE3ELNS1_3repE0EEENS1_36merge_oddeven_config_static_selectorELNS0_4arch9wavefront6targetE0EEEvSF_
	.globl	_ZN7rocprim17ROCPRIM_400000_NS6detail17trampoline_kernelINS0_14default_configENS1_38merge_sort_block_merge_config_selectorIaNS0_10empty_typeEEEZZNS1_27merge_sort_block_merge_implIS3_PaPS5_jNS1_19radix_merge_compareILb1ELb1EaNS0_19identity_decomposerEEEEE10hipError_tT0_T1_T2_jT3_P12ihipStream_tbPNSt15iterator_traitsISE_E10value_typeEPNSK_ISF_E10value_typeEPSG_NS1_7vsmem_tEENKUlT_SE_SF_SG_E_clIS8_S8_S9_S9_EESD_ST_SE_SF_SG_EUlST_E1_NS1_11comp_targetILNS1_3genE9ELNS1_11target_archE1100ELNS1_3gpuE3ELNS1_3repE0EEENS1_36merge_oddeven_config_static_selectorELNS0_4arch9wavefront6targetE0EEEvSF_
	.p2align	8
	.type	_ZN7rocprim17ROCPRIM_400000_NS6detail17trampoline_kernelINS0_14default_configENS1_38merge_sort_block_merge_config_selectorIaNS0_10empty_typeEEEZZNS1_27merge_sort_block_merge_implIS3_PaPS5_jNS1_19radix_merge_compareILb1ELb1EaNS0_19identity_decomposerEEEEE10hipError_tT0_T1_T2_jT3_P12ihipStream_tbPNSt15iterator_traitsISE_E10value_typeEPNSK_ISF_E10value_typeEPSG_NS1_7vsmem_tEENKUlT_SE_SF_SG_E_clIS8_S8_S9_S9_EESD_ST_SE_SF_SG_EUlST_E1_NS1_11comp_targetILNS1_3genE9ELNS1_11target_archE1100ELNS1_3gpuE3ELNS1_3repE0EEENS1_36merge_oddeven_config_static_selectorELNS0_4arch9wavefront6targetE0EEEvSF_,@function
_ZN7rocprim17ROCPRIM_400000_NS6detail17trampoline_kernelINS0_14default_configENS1_38merge_sort_block_merge_config_selectorIaNS0_10empty_typeEEEZZNS1_27merge_sort_block_merge_implIS3_PaPS5_jNS1_19radix_merge_compareILb1ELb1EaNS0_19identity_decomposerEEEEE10hipError_tT0_T1_T2_jT3_P12ihipStream_tbPNSt15iterator_traitsISE_E10value_typeEPNSK_ISF_E10value_typeEPSG_NS1_7vsmem_tEENKUlT_SE_SF_SG_E_clIS8_S8_S9_S9_EESD_ST_SE_SF_SG_EUlST_E1_NS1_11comp_targetILNS1_3genE9ELNS1_11target_archE1100ELNS1_3gpuE3ELNS1_3repE0EEENS1_36merge_oddeven_config_static_selectorELNS0_4arch9wavefront6targetE0EEEvSF_: ; @_ZN7rocprim17ROCPRIM_400000_NS6detail17trampoline_kernelINS0_14default_configENS1_38merge_sort_block_merge_config_selectorIaNS0_10empty_typeEEEZZNS1_27merge_sort_block_merge_implIS3_PaPS5_jNS1_19radix_merge_compareILb1ELb1EaNS0_19identity_decomposerEEEEE10hipError_tT0_T1_T2_jT3_P12ihipStream_tbPNSt15iterator_traitsISE_E10value_typeEPNSK_ISF_E10value_typeEPSG_NS1_7vsmem_tEENKUlT_SE_SF_SG_E_clIS8_S8_S9_S9_EESD_ST_SE_SF_SG_EUlST_E1_NS1_11comp_targetILNS1_3genE9ELNS1_11target_archE1100ELNS1_3gpuE3ELNS1_3repE0EEENS1_36merge_oddeven_config_static_selectorELNS0_4arch9wavefront6targetE0EEEvSF_
; %bb.0:
	.section	.rodata,"a",@progbits
	.p2align	6, 0x0
	.amdhsa_kernel _ZN7rocprim17ROCPRIM_400000_NS6detail17trampoline_kernelINS0_14default_configENS1_38merge_sort_block_merge_config_selectorIaNS0_10empty_typeEEEZZNS1_27merge_sort_block_merge_implIS3_PaPS5_jNS1_19radix_merge_compareILb1ELb1EaNS0_19identity_decomposerEEEEE10hipError_tT0_T1_T2_jT3_P12ihipStream_tbPNSt15iterator_traitsISE_E10value_typeEPNSK_ISF_E10value_typeEPSG_NS1_7vsmem_tEENKUlT_SE_SF_SG_E_clIS8_S8_S9_S9_EESD_ST_SE_SF_SG_EUlST_E1_NS1_11comp_targetILNS1_3genE9ELNS1_11target_archE1100ELNS1_3gpuE3ELNS1_3repE0EEENS1_36merge_oddeven_config_static_selectorELNS0_4arch9wavefront6targetE0EEEvSF_
		.amdhsa_group_segment_fixed_size 0
		.amdhsa_private_segment_fixed_size 0
		.amdhsa_kernarg_size 48
		.amdhsa_user_sgpr_count 2
		.amdhsa_user_sgpr_dispatch_ptr 0
		.amdhsa_user_sgpr_queue_ptr 0
		.amdhsa_user_sgpr_kernarg_segment_ptr 1
		.amdhsa_user_sgpr_dispatch_id 0
		.amdhsa_user_sgpr_kernarg_preload_length 0
		.amdhsa_user_sgpr_kernarg_preload_offset 0
		.amdhsa_user_sgpr_private_segment_size 0
		.amdhsa_wavefront_size32 1
		.amdhsa_uses_dynamic_stack 0
		.amdhsa_enable_private_segment 0
		.amdhsa_system_sgpr_workgroup_id_x 1
		.amdhsa_system_sgpr_workgroup_id_y 0
		.amdhsa_system_sgpr_workgroup_id_z 0
		.amdhsa_system_sgpr_workgroup_info 0
		.amdhsa_system_vgpr_workitem_id 0
		.amdhsa_next_free_vgpr 1
		.amdhsa_next_free_sgpr 1
		.amdhsa_named_barrier_count 0
		.amdhsa_reserve_vcc 0
		.amdhsa_float_round_mode_32 0
		.amdhsa_float_round_mode_16_64 0
		.amdhsa_float_denorm_mode_32 3
		.amdhsa_float_denorm_mode_16_64 3
		.amdhsa_fp16_overflow 0
		.amdhsa_memory_ordered 1
		.amdhsa_forward_progress 1
		.amdhsa_inst_pref_size 0
		.amdhsa_round_robin_scheduling 0
		.amdhsa_exception_fp_ieee_invalid_op 0
		.amdhsa_exception_fp_denorm_src 0
		.amdhsa_exception_fp_ieee_div_zero 0
		.amdhsa_exception_fp_ieee_overflow 0
		.amdhsa_exception_fp_ieee_underflow 0
		.amdhsa_exception_fp_ieee_inexact 0
		.amdhsa_exception_int_div_zero 0
	.end_amdhsa_kernel
	.section	.text._ZN7rocprim17ROCPRIM_400000_NS6detail17trampoline_kernelINS0_14default_configENS1_38merge_sort_block_merge_config_selectorIaNS0_10empty_typeEEEZZNS1_27merge_sort_block_merge_implIS3_PaPS5_jNS1_19radix_merge_compareILb1ELb1EaNS0_19identity_decomposerEEEEE10hipError_tT0_T1_T2_jT3_P12ihipStream_tbPNSt15iterator_traitsISE_E10value_typeEPNSK_ISF_E10value_typeEPSG_NS1_7vsmem_tEENKUlT_SE_SF_SG_E_clIS8_S8_S9_S9_EESD_ST_SE_SF_SG_EUlST_E1_NS1_11comp_targetILNS1_3genE9ELNS1_11target_archE1100ELNS1_3gpuE3ELNS1_3repE0EEENS1_36merge_oddeven_config_static_selectorELNS0_4arch9wavefront6targetE0EEEvSF_,"axG",@progbits,_ZN7rocprim17ROCPRIM_400000_NS6detail17trampoline_kernelINS0_14default_configENS1_38merge_sort_block_merge_config_selectorIaNS0_10empty_typeEEEZZNS1_27merge_sort_block_merge_implIS3_PaPS5_jNS1_19radix_merge_compareILb1ELb1EaNS0_19identity_decomposerEEEEE10hipError_tT0_T1_T2_jT3_P12ihipStream_tbPNSt15iterator_traitsISE_E10value_typeEPNSK_ISF_E10value_typeEPSG_NS1_7vsmem_tEENKUlT_SE_SF_SG_E_clIS8_S8_S9_S9_EESD_ST_SE_SF_SG_EUlST_E1_NS1_11comp_targetILNS1_3genE9ELNS1_11target_archE1100ELNS1_3gpuE3ELNS1_3repE0EEENS1_36merge_oddeven_config_static_selectorELNS0_4arch9wavefront6targetE0EEEvSF_,comdat
.Lfunc_end327:
	.size	_ZN7rocprim17ROCPRIM_400000_NS6detail17trampoline_kernelINS0_14default_configENS1_38merge_sort_block_merge_config_selectorIaNS0_10empty_typeEEEZZNS1_27merge_sort_block_merge_implIS3_PaPS5_jNS1_19radix_merge_compareILb1ELb1EaNS0_19identity_decomposerEEEEE10hipError_tT0_T1_T2_jT3_P12ihipStream_tbPNSt15iterator_traitsISE_E10value_typeEPNSK_ISF_E10value_typeEPSG_NS1_7vsmem_tEENKUlT_SE_SF_SG_E_clIS8_S8_S9_S9_EESD_ST_SE_SF_SG_EUlST_E1_NS1_11comp_targetILNS1_3genE9ELNS1_11target_archE1100ELNS1_3gpuE3ELNS1_3repE0EEENS1_36merge_oddeven_config_static_selectorELNS0_4arch9wavefront6targetE0EEEvSF_, .Lfunc_end327-_ZN7rocprim17ROCPRIM_400000_NS6detail17trampoline_kernelINS0_14default_configENS1_38merge_sort_block_merge_config_selectorIaNS0_10empty_typeEEEZZNS1_27merge_sort_block_merge_implIS3_PaPS5_jNS1_19radix_merge_compareILb1ELb1EaNS0_19identity_decomposerEEEEE10hipError_tT0_T1_T2_jT3_P12ihipStream_tbPNSt15iterator_traitsISE_E10value_typeEPNSK_ISF_E10value_typeEPSG_NS1_7vsmem_tEENKUlT_SE_SF_SG_E_clIS8_S8_S9_S9_EESD_ST_SE_SF_SG_EUlST_E1_NS1_11comp_targetILNS1_3genE9ELNS1_11target_archE1100ELNS1_3gpuE3ELNS1_3repE0EEENS1_36merge_oddeven_config_static_selectorELNS0_4arch9wavefront6targetE0EEEvSF_
                                        ; -- End function
	.set _ZN7rocprim17ROCPRIM_400000_NS6detail17trampoline_kernelINS0_14default_configENS1_38merge_sort_block_merge_config_selectorIaNS0_10empty_typeEEEZZNS1_27merge_sort_block_merge_implIS3_PaPS5_jNS1_19radix_merge_compareILb1ELb1EaNS0_19identity_decomposerEEEEE10hipError_tT0_T1_T2_jT3_P12ihipStream_tbPNSt15iterator_traitsISE_E10value_typeEPNSK_ISF_E10value_typeEPSG_NS1_7vsmem_tEENKUlT_SE_SF_SG_E_clIS8_S8_S9_S9_EESD_ST_SE_SF_SG_EUlST_E1_NS1_11comp_targetILNS1_3genE9ELNS1_11target_archE1100ELNS1_3gpuE3ELNS1_3repE0EEENS1_36merge_oddeven_config_static_selectorELNS0_4arch9wavefront6targetE0EEEvSF_.num_vgpr, 0
	.set _ZN7rocprim17ROCPRIM_400000_NS6detail17trampoline_kernelINS0_14default_configENS1_38merge_sort_block_merge_config_selectorIaNS0_10empty_typeEEEZZNS1_27merge_sort_block_merge_implIS3_PaPS5_jNS1_19radix_merge_compareILb1ELb1EaNS0_19identity_decomposerEEEEE10hipError_tT0_T1_T2_jT3_P12ihipStream_tbPNSt15iterator_traitsISE_E10value_typeEPNSK_ISF_E10value_typeEPSG_NS1_7vsmem_tEENKUlT_SE_SF_SG_E_clIS8_S8_S9_S9_EESD_ST_SE_SF_SG_EUlST_E1_NS1_11comp_targetILNS1_3genE9ELNS1_11target_archE1100ELNS1_3gpuE3ELNS1_3repE0EEENS1_36merge_oddeven_config_static_selectorELNS0_4arch9wavefront6targetE0EEEvSF_.num_agpr, 0
	.set _ZN7rocprim17ROCPRIM_400000_NS6detail17trampoline_kernelINS0_14default_configENS1_38merge_sort_block_merge_config_selectorIaNS0_10empty_typeEEEZZNS1_27merge_sort_block_merge_implIS3_PaPS5_jNS1_19radix_merge_compareILb1ELb1EaNS0_19identity_decomposerEEEEE10hipError_tT0_T1_T2_jT3_P12ihipStream_tbPNSt15iterator_traitsISE_E10value_typeEPNSK_ISF_E10value_typeEPSG_NS1_7vsmem_tEENKUlT_SE_SF_SG_E_clIS8_S8_S9_S9_EESD_ST_SE_SF_SG_EUlST_E1_NS1_11comp_targetILNS1_3genE9ELNS1_11target_archE1100ELNS1_3gpuE3ELNS1_3repE0EEENS1_36merge_oddeven_config_static_selectorELNS0_4arch9wavefront6targetE0EEEvSF_.numbered_sgpr, 0
	.set _ZN7rocprim17ROCPRIM_400000_NS6detail17trampoline_kernelINS0_14default_configENS1_38merge_sort_block_merge_config_selectorIaNS0_10empty_typeEEEZZNS1_27merge_sort_block_merge_implIS3_PaPS5_jNS1_19radix_merge_compareILb1ELb1EaNS0_19identity_decomposerEEEEE10hipError_tT0_T1_T2_jT3_P12ihipStream_tbPNSt15iterator_traitsISE_E10value_typeEPNSK_ISF_E10value_typeEPSG_NS1_7vsmem_tEENKUlT_SE_SF_SG_E_clIS8_S8_S9_S9_EESD_ST_SE_SF_SG_EUlST_E1_NS1_11comp_targetILNS1_3genE9ELNS1_11target_archE1100ELNS1_3gpuE3ELNS1_3repE0EEENS1_36merge_oddeven_config_static_selectorELNS0_4arch9wavefront6targetE0EEEvSF_.num_named_barrier, 0
	.set _ZN7rocprim17ROCPRIM_400000_NS6detail17trampoline_kernelINS0_14default_configENS1_38merge_sort_block_merge_config_selectorIaNS0_10empty_typeEEEZZNS1_27merge_sort_block_merge_implIS3_PaPS5_jNS1_19radix_merge_compareILb1ELb1EaNS0_19identity_decomposerEEEEE10hipError_tT0_T1_T2_jT3_P12ihipStream_tbPNSt15iterator_traitsISE_E10value_typeEPNSK_ISF_E10value_typeEPSG_NS1_7vsmem_tEENKUlT_SE_SF_SG_E_clIS8_S8_S9_S9_EESD_ST_SE_SF_SG_EUlST_E1_NS1_11comp_targetILNS1_3genE9ELNS1_11target_archE1100ELNS1_3gpuE3ELNS1_3repE0EEENS1_36merge_oddeven_config_static_selectorELNS0_4arch9wavefront6targetE0EEEvSF_.private_seg_size, 0
	.set _ZN7rocprim17ROCPRIM_400000_NS6detail17trampoline_kernelINS0_14default_configENS1_38merge_sort_block_merge_config_selectorIaNS0_10empty_typeEEEZZNS1_27merge_sort_block_merge_implIS3_PaPS5_jNS1_19radix_merge_compareILb1ELb1EaNS0_19identity_decomposerEEEEE10hipError_tT0_T1_T2_jT3_P12ihipStream_tbPNSt15iterator_traitsISE_E10value_typeEPNSK_ISF_E10value_typeEPSG_NS1_7vsmem_tEENKUlT_SE_SF_SG_E_clIS8_S8_S9_S9_EESD_ST_SE_SF_SG_EUlST_E1_NS1_11comp_targetILNS1_3genE9ELNS1_11target_archE1100ELNS1_3gpuE3ELNS1_3repE0EEENS1_36merge_oddeven_config_static_selectorELNS0_4arch9wavefront6targetE0EEEvSF_.uses_vcc, 0
	.set _ZN7rocprim17ROCPRIM_400000_NS6detail17trampoline_kernelINS0_14default_configENS1_38merge_sort_block_merge_config_selectorIaNS0_10empty_typeEEEZZNS1_27merge_sort_block_merge_implIS3_PaPS5_jNS1_19radix_merge_compareILb1ELb1EaNS0_19identity_decomposerEEEEE10hipError_tT0_T1_T2_jT3_P12ihipStream_tbPNSt15iterator_traitsISE_E10value_typeEPNSK_ISF_E10value_typeEPSG_NS1_7vsmem_tEENKUlT_SE_SF_SG_E_clIS8_S8_S9_S9_EESD_ST_SE_SF_SG_EUlST_E1_NS1_11comp_targetILNS1_3genE9ELNS1_11target_archE1100ELNS1_3gpuE3ELNS1_3repE0EEENS1_36merge_oddeven_config_static_selectorELNS0_4arch9wavefront6targetE0EEEvSF_.uses_flat_scratch, 0
	.set _ZN7rocprim17ROCPRIM_400000_NS6detail17trampoline_kernelINS0_14default_configENS1_38merge_sort_block_merge_config_selectorIaNS0_10empty_typeEEEZZNS1_27merge_sort_block_merge_implIS3_PaPS5_jNS1_19radix_merge_compareILb1ELb1EaNS0_19identity_decomposerEEEEE10hipError_tT0_T1_T2_jT3_P12ihipStream_tbPNSt15iterator_traitsISE_E10value_typeEPNSK_ISF_E10value_typeEPSG_NS1_7vsmem_tEENKUlT_SE_SF_SG_E_clIS8_S8_S9_S9_EESD_ST_SE_SF_SG_EUlST_E1_NS1_11comp_targetILNS1_3genE9ELNS1_11target_archE1100ELNS1_3gpuE3ELNS1_3repE0EEENS1_36merge_oddeven_config_static_selectorELNS0_4arch9wavefront6targetE0EEEvSF_.has_dyn_sized_stack, 0
	.set _ZN7rocprim17ROCPRIM_400000_NS6detail17trampoline_kernelINS0_14default_configENS1_38merge_sort_block_merge_config_selectorIaNS0_10empty_typeEEEZZNS1_27merge_sort_block_merge_implIS3_PaPS5_jNS1_19radix_merge_compareILb1ELb1EaNS0_19identity_decomposerEEEEE10hipError_tT0_T1_T2_jT3_P12ihipStream_tbPNSt15iterator_traitsISE_E10value_typeEPNSK_ISF_E10value_typeEPSG_NS1_7vsmem_tEENKUlT_SE_SF_SG_E_clIS8_S8_S9_S9_EESD_ST_SE_SF_SG_EUlST_E1_NS1_11comp_targetILNS1_3genE9ELNS1_11target_archE1100ELNS1_3gpuE3ELNS1_3repE0EEENS1_36merge_oddeven_config_static_selectorELNS0_4arch9wavefront6targetE0EEEvSF_.has_recursion, 0
	.set _ZN7rocprim17ROCPRIM_400000_NS6detail17trampoline_kernelINS0_14default_configENS1_38merge_sort_block_merge_config_selectorIaNS0_10empty_typeEEEZZNS1_27merge_sort_block_merge_implIS3_PaPS5_jNS1_19radix_merge_compareILb1ELb1EaNS0_19identity_decomposerEEEEE10hipError_tT0_T1_T2_jT3_P12ihipStream_tbPNSt15iterator_traitsISE_E10value_typeEPNSK_ISF_E10value_typeEPSG_NS1_7vsmem_tEENKUlT_SE_SF_SG_E_clIS8_S8_S9_S9_EESD_ST_SE_SF_SG_EUlST_E1_NS1_11comp_targetILNS1_3genE9ELNS1_11target_archE1100ELNS1_3gpuE3ELNS1_3repE0EEENS1_36merge_oddeven_config_static_selectorELNS0_4arch9wavefront6targetE0EEEvSF_.has_indirect_call, 0
	.section	.AMDGPU.csdata,"",@progbits
; Kernel info:
; codeLenInByte = 0
; TotalNumSgprs: 0
; NumVgprs: 0
; ScratchSize: 0
; MemoryBound: 0
; FloatMode: 240
; IeeeMode: 1
; LDSByteSize: 0 bytes/workgroup (compile time only)
; SGPRBlocks: 0
; VGPRBlocks: 0
; NumSGPRsForWavesPerEU: 1
; NumVGPRsForWavesPerEU: 1
; NamedBarCnt: 0
; Occupancy: 16
; WaveLimiterHint : 0
; COMPUTE_PGM_RSRC2:SCRATCH_EN: 0
; COMPUTE_PGM_RSRC2:USER_SGPR: 2
; COMPUTE_PGM_RSRC2:TRAP_HANDLER: 0
; COMPUTE_PGM_RSRC2:TGID_X_EN: 1
; COMPUTE_PGM_RSRC2:TGID_Y_EN: 0
; COMPUTE_PGM_RSRC2:TGID_Z_EN: 0
; COMPUTE_PGM_RSRC2:TIDIG_COMP_CNT: 0
	.section	.text._ZN7rocprim17ROCPRIM_400000_NS6detail17trampoline_kernelINS0_14default_configENS1_38merge_sort_block_merge_config_selectorIaNS0_10empty_typeEEEZZNS1_27merge_sort_block_merge_implIS3_PaPS5_jNS1_19radix_merge_compareILb1ELb1EaNS0_19identity_decomposerEEEEE10hipError_tT0_T1_T2_jT3_P12ihipStream_tbPNSt15iterator_traitsISE_E10value_typeEPNSK_ISF_E10value_typeEPSG_NS1_7vsmem_tEENKUlT_SE_SF_SG_E_clIS8_S8_S9_S9_EESD_ST_SE_SF_SG_EUlST_E1_NS1_11comp_targetILNS1_3genE8ELNS1_11target_archE1030ELNS1_3gpuE2ELNS1_3repE0EEENS1_36merge_oddeven_config_static_selectorELNS0_4arch9wavefront6targetE0EEEvSF_,"axG",@progbits,_ZN7rocprim17ROCPRIM_400000_NS6detail17trampoline_kernelINS0_14default_configENS1_38merge_sort_block_merge_config_selectorIaNS0_10empty_typeEEEZZNS1_27merge_sort_block_merge_implIS3_PaPS5_jNS1_19radix_merge_compareILb1ELb1EaNS0_19identity_decomposerEEEEE10hipError_tT0_T1_T2_jT3_P12ihipStream_tbPNSt15iterator_traitsISE_E10value_typeEPNSK_ISF_E10value_typeEPSG_NS1_7vsmem_tEENKUlT_SE_SF_SG_E_clIS8_S8_S9_S9_EESD_ST_SE_SF_SG_EUlST_E1_NS1_11comp_targetILNS1_3genE8ELNS1_11target_archE1030ELNS1_3gpuE2ELNS1_3repE0EEENS1_36merge_oddeven_config_static_selectorELNS0_4arch9wavefront6targetE0EEEvSF_,comdat
	.protected	_ZN7rocprim17ROCPRIM_400000_NS6detail17trampoline_kernelINS0_14default_configENS1_38merge_sort_block_merge_config_selectorIaNS0_10empty_typeEEEZZNS1_27merge_sort_block_merge_implIS3_PaPS5_jNS1_19radix_merge_compareILb1ELb1EaNS0_19identity_decomposerEEEEE10hipError_tT0_T1_T2_jT3_P12ihipStream_tbPNSt15iterator_traitsISE_E10value_typeEPNSK_ISF_E10value_typeEPSG_NS1_7vsmem_tEENKUlT_SE_SF_SG_E_clIS8_S8_S9_S9_EESD_ST_SE_SF_SG_EUlST_E1_NS1_11comp_targetILNS1_3genE8ELNS1_11target_archE1030ELNS1_3gpuE2ELNS1_3repE0EEENS1_36merge_oddeven_config_static_selectorELNS0_4arch9wavefront6targetE0EEEvSF_ ; -- Begin function _ZN7rocprim17ROCPRIM_400000_NS6detail17trampoline_kernelINS0_14default_configENS1_38merge_sort_block_merge_config_selectorIaNS0_10empty_typeEEEZZNS1_27merge_sort_block_merge_implIS3_PaPS5_jNS1_19radix_merge_compareILb1ELb1EaNS0_19identity_decomposerEEEEE10hipError_tT0_T1_T2_jT3_P12ihipStream_tbPNSt15iterator_traitsISE_E10value_typeEPNSK_ISF_E10value_typeEPSG_NS1_7vsmem_tEENKUlT_SE_SF_SG_E_clIS8_S8_S9_S9_EESD_ST_SE_SF_SG_EUlST_E1_NS1_11comp_targetILNS1_3genE8ELNS1_11target_archE1030ELNS1_3gpuE2ELNS1_3repE0EEENS1_36merge_oddeven_config_static_selectorELNS0_4arch9wavefront6targetE0EEEvSF_
	.globl	_ZN7rocprim17ROCPRIM_400000_NS6detail17trampoline_kernelINS0_14default_configENS1_38merge_sort_block_merge_config_selectorIaNS0_10empty_typeEEEZZNS1_27merge_sort_block_merge_implIS3_PaPS5_jNS1_19radix_merge_compareILb1ELb1EaNS0_19identity_decomposerEEEEE10hipError_tT0_T1_T2_jT3_P12ihipStream_tbPNSt15iterator_traitsISE_E10value_typeEPNSK_ISF_E10value_typeEPSG_NS1_7vsmem_tEENKUlT_SE_SF_SG_E_clIS8_S8_S9_S9_EESD_ST_SE_SF_SG_EUlST_E1_NS1_11comp_targetILNS1_3genE8ELNS1_11target_archE1030ELNS1_3gpuE2ELNS1_3repE0EEENS1_36merge_oddeven_config_static_selectorELNS0_4arch9wavefront6targetE0EEEvSF_
	.p2align	8
	.type	_ZN7rocprim17ROCPRIM_400000_NS6detail17trampoline_kernelINS0_14default_configENS1_38merge_sort_block_merge_config_selectorIaNS0_10empty_typeEEEZZNS1_27merge_sort_block_merge_implIS3_PaPS5_jNS1_19radix_merge_compareILb1ELb1EaNS0_19identity_decomposerEEEEE10hipError_tT0_T1_T2_jT3_P12ihipStream_tbPNSt15iterator_traitsISE_E10value_typeEPNSK_ISF_E10value_typeEPSG_NS1_7vsmem_tEENKUlT_SE_SF_SG_E_clIS8_S8_S9_S9_EESD_ST_SE_SF_SG_EUlST_E1_NS1_11comp_targetILNS1_3genE8ELNS1_11target_archE1030ELNS1_3gpuE2ELNS1_3repE0EEENS1_36merge_oddeven_config_static_selectorELNS0_4arch9wavefront6targetE0EEEvSF_,@function
_ZN7rocprim17ROCPRIM_400000_NS6detail17trampoline_kernelINS0_14default_configENS1_38merge_sort_block_merge_config_selectorIaNS0_10empty_typeEEEZZNS1_27merge_sort_block_merge_implIS3_PaPS5_jNS1_19radix_merge_compareILb1ELb1EaNS0_19identity_decomposerEEEEE10hipError_tT0_T1_T2_jT3_P12ihipStream_tbPNSt15iterator_traitsISE_E10value_typeEPNSK_ISF_E10value_typeEPSG_NS1_7vsmem_tEENKUlT_SE_SF_SG_E_clIS8_S8_S9_S9_EESD_ST_SE_SF_SG_EUlST_E1_NS1_11comp_targetILNS1_3genE8ELNS1_11target_archE1030ELNS1_3gpuE2ELNS1_3repE0EEENS1_36merge_oddeven_config_static_selectorELNS0_4arch9wavefront6targetE0EEEvSF_: ; @_ZN7rocprim17ROCPRIM_400000_NS6detail17trampoline_kernelINS0_14default_configENS1_38merge_sort_block_merge_config_selectorIaNS0_10empty_typeEEEZZNS1_27merge_sort_block_merge_implIS3_PaPS5_jNS1_19radix_merge_compareILb1ELb1EaNS0_19identity_decomposerEEEEE10hipError_tT0_T1_T2_jT3_P12ihipStream_tbPNSt15iterator_traitsISE_E10value_typeEPNSK_ISF_E10value_typeEPSG_NS1_7vsmem_tEENKUlT_SE_SF_SG_E_clIS8_S8_S9_S9_EESD_ST_SE_SF_SG_EUlST_E1_NS1_11comp_targetILNS1_3genE8ELNS1_11target_archE1030ELNS1_3gpuE2ELNS1_3repE0EEENS1_36merge_oddeven_config_static_selectorELNS0_4arch9wavefront6targetE0EEEvSF_
; %bb.0:
	.section	.rodata,"a",@progbits
	.p2align	6, 0x0
	.amdhsa_kernel _ZN7rocprim17ROCPRIM_400000_NS6detail17trampoline_kernelINS0_14default_configENS1_38merge_sort_block_merge_config_selectorIaNS0_10empty_typeEEEZZNS1_27merge_sort_block_merge_implIS3_PaPS5_jNS1_19radix_merge_compareILb1ELb1EaNS0_19identity_decomposerEEEEE10hipError_tT0_T1_T2_jT3_P12ihipStream_tbPNSt15iterator_traitsISE_E10value_typeEPNSK_ISF_E10value_typeEPSG_NS1_7vsmem_tEENKUlT_SE_SF_SG_E_clIS8_S8_S9_S9_EESD_ST_SE_SF_SG_EUlST_E1_NS1_11comp_targetILNS1_3genE8ELNS1_11target_archE1030ELNS1_3gpuE2ELNS1_3repE0EEENS1_36merge_oddeven_config_static_selectorELNS0_4arch9wavefront6targetE0EEEvSF_
		.amdhsa_group_segment_fixed_size 0
		.amdhsa_private_segment_fixed_size 0
		.amdhsa_kernarg_size 48
		.amdhsa_user_sgpr_count 2
		.amdhsa_user_sgpr_dispatch_ptr 0
		.amdhsa_user_sgpr_queue_ptr 0
		.amdhsa_user_sgpr_kernarg_segment_ptr 1
		.amdhsa_user_sgpr_dispatch_id 0
		.amdhsa_user_sgpr_kernarg_preload_length 0
		.amdhsa_user_sgpr_kernarg_preload_offset 0
		.amdhsa_user_sgpr_private_segment_size 0
		.amdhsa_wavefront_size32 1
		.amdhsa_uses_dynamic_stack 0
		.amdhsa_enable_private_segment 0
		.amdhsa_system_sgpr_workgroup_id_x 1
		.amdhsa_system_sgpr_workgroup_id_y 0
		.amdhsa_system_sgpr_workgroup_id_z 0
		.amdhsa_system_sgpr_workgroup_info 0
		.amdhsa_system_vgpr_workitem_id 0
		.amdhsa_next_free_vgpr 1
		.amdhsa_next_free_sgpr 1
		.amdhsa_named_barrier_count 0
		.amdhsa_reserve_vcc 0
		.amdhsa_float_round_mode_32 0
		.amdhsa_float_round_mode_16_64 0
		.amdhsa_float_denorm_mode_32 3
		.amdhsa_float_denorm_mode_16_64 3
		.amdhsa_fp16_overflow 0
		.amdhsa_memory_ordered 1
		.amdhsa_forward_progress 1
		.amdhsa_inst_pref_size 0
		.amdhsa_round_robin_scheduling 0
		.amdhsa_exception_fp_ieee_invalid_op 0
		.amdhsa_exception_fp_denorm_src 0
		.amdhsa_exception_fp_ieee_div_zero 0
		.amdhsa_exception_fp_ieee_overflow 0
		.amdhsa_exception_fp_ieee_underflow 0
		.amdhsa_exception_fp_ieee_inexact 0
		.amdhsa_exception_int_div_zero 0
	.end_amdhsa_kernel
	.section	.text._ZN7rocprim17ROCPRIM_400000_NS6detail17trampoline_kernelINS0_14default_configENS1_38merge_sort_block_merge_config_selectorIaNS0_10empty_typeEEEZZNS1_27merge_sort_block_merge_implIS3_PaPS5_jNS1_19radix_merge_compareILb1ELb1EaNS0_19identity_decomposerEEEEE10hipError_tT0_T1_T2_jT3_P12ihipStream_tbPNSt15iterator_traitsISE_E10value_typeEPNSK_ISF_E10value_typeEPSG_NS1_7vsmem_tEENKUlT_SE_SF_SG_E_clIS8_S8_S9_S9_EESD_ST_SE_SF_SG_EUlST_E1_NS1_11comp_targetILNS1_3genE8ELNS1_11target_archE1030ELNS1_3gpuE2ELNS1_3repE0EEENS1_36merge_oddeven_config_static_selectorELNS0_4arch9wavefront6targetE0EEEvSF_,"axG",@progbits,_ZN7rocprim17ROCPRIM_400000_NS6detail17trampoline_kernelINS0_14default_configENS1_38merge_sort_block_merge_config_selectorIaNS0_10empty_typeEEEZZNS1_27merge_sort_block_merge_implIS3_PaPS5_jNS1_19radix_merge_compareILb1ELb1EaNS0_19identity_decomposerEEEEE10hipError_tT0_T1_T2_jT3_P12ihipStream_tbPNSt15iterator_traitsISE_E10value_typeEPNSK_ISF_E10value_typeEPSG_NS1_7vsmem_tEENKUlT_SE_SF_SG_E_clIS8_S8_S9_S9_EESD_ST_SE_SF_SG_EUlST_E1_NS1_11comp_targetILNS1_3genE8ELNS1_11target_archE1030ELNS1_3gpuE2ELNS1_3repE0EEENS1_36merge_oddeven_config_static_selectorELNS0_4arch9wavefront6targetE0EEEvSF_,comdat
.Lfunc_end328:
	.size	_ZN7rocprim17ROCPRIM_400000_NS6detail17trampoline_kernelINS0_14default_configENS1_38merge_sort_block_merge_config_selectorIaNS0_10empty_typeEEEZZNS1_27merge_sort_block_merge_implIS3_PaPS5_jNS1_19radix_merge_compareILb1ELb1EaNS0_19identity_decomposerEEEEE10hipError_tT0_T1_T2_jT3_P12ihipStream_tbPNSt15iterator_traitsISE_E10value_typeEPNSK_ISF_E10value_typeEPSG_NS1_7vsmem_tEENKUlT_SE_SF_SG_E_clIS8_S8_S9_S9_EESD_ST_SE_SF_SG_EUlST_E1_NS1_11comp_targetILNS1_3genE8ELNS1_11target_archE1030ELNS1_3gpuE2ELNS1_3repE0EEENS1_36merge_oddeven_config_static_selectorELNS0_4arch9wavefront6targetE0EEEvSF_, .Lfunc_end328-_ZN7rocprim17ROCPRIM_400000_NS6detail17trampoline_kernelINS0_14default_configENS1_38merge_sort_block_merge_config_selectorIaNS0_10empty_typeEEEZZNS1_27merge_sort_block_merge_implIS3_PaPS5_jNS1_19radix_merge_compareILb1ELb1EaNS0_19identity_decomposerEEEEE10hipError_tT0_T1_T2_jT3_P12ihipStream_tbPNSt15iterator_traitsISE_E10value_typeEPNSK_ISF_E10value_typeEPSG_NS1_7vsmem_tEENKUlT_SE_SF_SG_E_clIS8_S8_S9_S9_EESD_ST_SE_SF_SG_EUlST_E1_NS1_11comp_targetILNS1_3genE8ELNS1_11target_archE1030ELNS1_3gpuE2ELNS1_3repE0EEENS1_36merge_oddeven_config_static_selectorELNS0_4arch9wavefront6targetE0EEEvSF_
                                        ; -- End function
	.set _ZN7rocprim17ROCPRIM_400000_NS6detail17trampoline_kernelINS0_14default_configENS1_38merge_sort_block_merge_config_selectorIaNS0_10empty_typeEEEZZNS1_27merge_sort_block_merge_implIS3_PaPS5_jNS1_19radix_merge_compareILb1ELb1EaNS0_19identity_decomposerEEEEE10hipError_tT0_T1_T2_jT3_P12ihipStream_tbPNSt15iterator_traitsISE_E10value_typeEPNSK_ISF_E10value_typeEPSG_NS1_7vsmem_tEENKUlT_SE_SF_SG_E_clIS8_S8_S9_S9_EESD_ST_SE_SF_SG_EUlST_E1_NS1_11comp_targetILNS1_3genE8ELNS1_11target_archE1030ELNS1_3gpuE2ELNS1_3repE0EEENS1_36merge_oddeven_config_static_selectorELNS0_4arch9wavefront6targetE0EEEvSF_.num_vgpr, 0
	.set _ZN7rocprim17ROCPRIM_400000_NS6detail17trampoline_kernelINS0_14default_configENS1_38merge_sort_block_merge_config_selectorIaNS0_10empty_typeEEEZZNS1_27merge_sort_block_merge_implIS3_PaPS5_jNS1_19radix_merge_compareILb1ELb1EaNS0_19identity_decomposerEEEEE10hipError_tT0_T1_T2_jT3_P12ihipStream_tbPNSt15iterator_traitsISE_E10value_typeEPNSK_ISF_E10value_typeEPSG_NS1_7vsmem_tEENKUlT_SE_SF_SG_E_clIS8_S8_S9_S9_EESD_ST_SE_SF_SG_EUlST_E1_NS1_11comp_targetILNS1_3genE8ELNS1_11target_archE1030ELNS1_3gpuE2ELNS1_3repE0EEENS1_36merge_oddeven_config_static_selectorELNS0_4arch9wavefront6targetE0EEEvSF_.num_agpr, 0
	.set _ZN7rocprim17ROCPRIM_400000_NS6detail17trampoline_kernelINS0_14default_configENS1_38merge_sort_block_merge_config_selectorIaNS0_10empty_typeEEEZZNS1_27merge_sort_block_merge_implIS3_PaPS5_jNS1_19radix_merge_compareILb1ELb1EaNS0_19identity_decomposerEEEEE10hipError_tT0_T1_T2_jT3_P12ihipStream_tbPNSt15iterator_traitsISE_E10value_typeEPNSK_ISF_E10value_typeEPSG_NS1_7vsmem_tEENKUlT_SE_SF_SG_E_clIS8_S8_S9_S9_EESD_ST_SE_SF_SG_EUlST_E1_NS1_11comp_targetILNS1_3genE8ELNS1_11target_archE1030ELNS1_3gpuE2ELNS1_3repE0EEENS1_36merge_oddeven_config_static_selectorELNS0_4arch9wavefront6targetE0EEEvSF_.numbered_sgpr, 0
	.set _ZN7rocprim17ROCPRIM_400000_NS6detail17trampoline_kernelINS0_14default_configENS1_38merge_sort_block_merge_config_selectorIaNS0_10empty_typeEEEZZNS1_27merge_sort_block_merge_implIS3_PaPS5_jNS1_19radix_merge_compareILb1ELb1EaNS0_19identity_decomposerEEEEE10hipError_tT0_T1_T2_jT3_P12ihipStream_tbPNSt15iterator_traitsISE_E10value_typeEPNSK_ISF_E10value_typeEPSG_NS1_7vsmem_tEENKUlT_SE_SF_SG_E_clIS8_S8_S9_S9_EESD_ST_SE_SF_SG_EUlST_E1_NS1_11comp_targetILNS1_3genE8ELNS1_11target_archE1030ELNS1_3gpuE2ELNS1_3repE0EEENS1_36merge_oddeven_config_static_selectorELNS0_4arch9wavefront6targetE0EEEvSF_.num_named_barrier, 0
	.set _ZN7rocprim17ROCPRIM_400000_NS6detail17trampoline_kernelINS0_14default_configENS1_38merge_sort_block_merge_config_selectorIaNS0_10empty_typeEEEZZNS1_27merge_sort_block_merge_implIS3_PaPS5_jNS1_19radix_merge_compareILb1ELb1EaNS0_19identity_decomposerEEEEE10hipError_tT0_T1_T2_jT3_P12ihipStream_tbPNSt15iterator_traitsISE_E10value_typeEPNSK_ISF_E10value_typeEPSG_NS1_7vsmem_tEENKUlT_SE_SF_SG_E_clIS8_S8_S9_S9_EESD_ST_SE_SF_SG_EUlST_E1_NS1_11comp_targetILNS1_3genE8ELNS1_11target_archE1030ELNS1_3gpuE2ELNS1_3repE0EEENS1_36merge_oddeven_config_static_selectorELNS0_4arch9wavefront6targetE0EEEvSF_.private_seg_size, 0
	.set _ZN7rocprim17ROCPRIM_400000_NS6detail17trampoline_kernelINS0_14default_configENS1_38merge_sort_block_merge_config_selectorIaNS0_10empty_typeEEEZZNS1_27merge_sort_block_merge_implIS3_PaPS5_jNS1_19radix_merge_compareILb1ELb1EaNS0_19identity_decomposerEEEEE10hipError_tT0_T1_T2_jT3_P12ihipStream_tbPNSt15iterator_traitsISE_E10value_typeEPNSK_ISF_E10value_typeEPSG_NS1_7vsmem_tEENKUlT_SE_SF_SG_E_clIS8_S8_S9_S9_EESD_ST_SE_SF_SG_EUlST_E1_NS1_11comp_targetILNS1_3genE8ELNS1_11target_archE1030ELNS1_3gpuE2ELNS1_3repE0EEENS1_36merge_oddeven_config_static_selectorELNS0_4arch9wavefront6targetE0EEEvSF_.uses_vcc, 0
	.set _ZN7rocprim17ROCPRIM_400000_NS6detail17trampoline_kernelINS0_14default_configENS1_38merge_sort_block_merge_config_selectorIaNS0_10empty_typeEEEZZNS1_27merge_sort_block_merge_implIS3_PaPS5_jNS1_19radix_merge_compareILb1ELb1EaNS0_19identity_decomposerEEEEE10hipError_tT0_T1_T2_jT3_P12ihipStream_tbPNSt15iterator_traitsISE_E10value_typeEPNSK_ISF_E10value_typeEPSG_NS1_7vsmem_tEENKUlT_SE_SF_SG_E_clIS8_S8_S9_S9_EESD_ST_SE_SF_SG_EUlST_E1_NS1_11comp_targetILNS1_3genE8ELNS1_11target_archE1030ELNS1_3gpuE2ELNS1_3repE0EEENS1_36merge_oddeven_config_static_selectorELNS0_4arch9wavefront6targetE0EEEvSF_.uses_flat_scratch, 0
	.set _ZN7rocprim17ROCPRIM_400000_NS6detail17trampoline_kernelINS0_14default_configENS1_38merge_sort_block_merge_config_selectorIaNS0_10empty_typeEEEZZNS1_27merge_sort_block_merge_implIS3_PaPS5_jNS1_19radix_merge_compareILb1ELb1EaNS0_19identity_decomposerEEEEE10hipError_tT0_T1_T2_jT3_P12ihipStream_tbPNSt15iterator_traitsISE_E10value_typeEPNSK_ISF_E10value_typeEPSG_NS1_7vsmem_tEENKUlT_SE_SF_SG_E_clIS8_S8_S9_S9_EESD_ST_SE_SF_SG_EUlST_E1_NS1_11comp_targetILNS1_3genE8ELNS1_11target_archE1030ELNS1_3gpuE2ELNS1_3repE0EEENS1_36merge_oddeven_config_static_selectorELNS0_4arch9wavefront6targetE0EEEvSF_.has_dyn_sized_stack, 0
	.set _ZN7rocprim17ROCPRIM_400000_NS6detail17trampoline_kernelINS0_14default_configENS1_38merge_sort_block_merge_config_selectorIaNS0_10empty_typeEEEZZNS1_27merge_sort_block_merge_implIS3_PaPS5_jNS1_19radix_merge_compareILb1ELb1EaNS0_19identity_decomposerEEEEE10hipError_tT0_T1_T2_jT3_P12ihipStream_tbPNSt15iterator_traitsISE_E10value_typeEPNSK_ISF_E10value_typeEPSG_NS1_7vsmem_tEENKUlT_SE_SF_SG_E_clIS8_S8_S9_S9_EESD_ST_SE_SF_SG_EUlST_E1_NS1_11comp_targetILNS1_3genE8ELNS1_11target_archE1030ELNS1_3gpuE2ELNS1_3repE0EEENS1_36merge_oddeven_config_static_selectorELNS0_4arch9wavefront6targetE0EEEvSF_.has_recursion, 0
	.set _ZN7rocprim17ROCPRIM_400000_NS6detail17trampoline_kernelINS0_14default_configENS1_38merge_sort_block_merge_config_selectorIaNS0_10empty_typeEEEZZNS1_27merge_sort_block_merge_implIS3_PaPS5_jNS1_19radix_merge_compareILb1ELb1EaNS0_19identity_decomposerEEEEE10hipError_tT0_T1_T2_jT3_P12ihipStream_tbPNSt15iterator_traitsISE_E10value_typeEPNSK_ISF_E10value_typeEPSG_NS1_7vsmem_tEENKUlT_SE_SF_SG_E_clIS8_S8_S9_S9_EESD_ST_SE_SF_SG_EUlST_E1_NS1_11comp_targetILNS1_3genE8ELNS1_11target_archE1030ELNS1_3gpuE2ELNS1_3repE0EEENS1_36merge_oddeven_config_static_selectorELNS0_4arch9wavefront6targetE0EEEvSF_.has_indirect_call, 0
	.section	.AMDGPU.csdata,"",@progbits
; Kernel info:
; codeLenInByte = 0
; TotalNumSgprs: 0
; NumVgprs: 0
; ScratchSize: 0
; MemoryBound: 0
; FloatMode: 240
; IeeeMode: 1
; LDSByteSize: 0 bytes/workgroup (compile time only)
; SGPRBlocks: 0
; VGPRBlocks: 0
; NumSGPRsForWavesPerEU: 1
; NumVGPRsForWavesPerEU: 1
; NamedBarCnt: 0
; Occupancy: 16
; WaveLimiterHint : 0
; COMPUTE_PGM_RSRC2:SCRATCH_EN: 0
; COMPUTE_PGM_RSRC2:USER_SGPR: 2
; COMPUTE_PGM_RSRC2:TRAP_HANDLER: 0
; COMPUTE_PGM_RSRC2:TGID_X_EN: 1
; COMPUTE_PGM_RSRC2:TGID_Y_EN: 0
; COMPUTE_PGM_RSRC2:TGID_Z_EN: 0
; COMPUTE_PGM_RSRC2:TIDIG_COMP_CNT: 0
	.section	.text._ZN7rocprim17ROCPRIM_400000_NS6detail17trampoline_kernelINS0_14default_configENS1_35radix_sort_onesweep_config_selectorIaNS0_10empty_typeEEEZNS1_34radix_sort_onesweep_global_offsetsIS3_Lb1EPKaPS5_mNS0_19identity_decomposerEEE10hipError_tT1_T2_PT3_SF_jT4_jjP12ihipStream_tbEUlT_E_NS1_11comp_targetILNS1_3genE0ELNS1_11target_archE4294967295ELNS1_3gpuE0ELNS1_3repE0EEENS1_52radix_sort_onesweep_histogram_config_static_selectorELNS0_4arch9wavefront6targetE0EEEvSD_,"axG",@progbits,_ZN7rocprim17ROCPRIM_400000_NS6detail17trampoline_kernelINS0_14default_configENS1_35radix_sort_onesweep_config_selectorIaNS0_10empty_typeEEEZNS1_34radix_sort_onesweep_global_offsetsIS3_Lb1EPKaPS5_mNS0_19identity_decomposerEEE10hipError_tT1_T2_PT3_SF_jT4_jjP12ihipStream_tbEUlT_E_NS1_11comp_targetILNS1_3genE0ELNS1_11target_archE4294967295ELNS1_3gpuE0ELNS1_3repE0EEENS1_52radix_sort_onesweep_histogram_config_static_selectorELNS0_4arch9wavefront6targetE0EEEvSD_,comdat
	.protected	_ZN7rocprim17ROCPRIM_400000_NS6detail17trampoline_kernelINS0_14default_configENS1_35radix_sort_onesweep_config_selectorIaNS0_10empty_typeEEEZNS1_34radix_sort_onesweep_global_offsetsIS3_Lb1EPKaPS5_mNS0_19identity_decomposerEEE10hipError_tT1_T2_PT3_SF_jT4_jjP12ihipStream_tbEUlT_E_NS1_11comp_targetILNS1_3genE0ELNS1_11target_archE4294967295ELNS1_3gpuE0ELNS1_3repE0EEENS1_52radix_sort_onesweep_histogram_config_static_selectorELNS0_4arch9wavefront6targetE0EEEvSD_ ; -- Begin function _ZN7rocprim17ROCPRIM_400000_NS6detail17trampoline_kernelINS0_14default_configENS1_35radix_sort_onesweep_config_selectorIaNS0_10empty_typeEEEZNS1_34radix_sort_onesweep_global_offsetsIS3_Lb1EPKaPS5_mNS0_19identity_decomposerEEE10hipError_tT1_T2_PT3_SF_jT4_jjP12ihipStream_tbEUlT_E_NS1_11comp_targetILNS1_3genE0ELNS1_11target_archE4294967295ELNS1_3gpuE0ELNS1_3repE0EEENS1_52radix_sort_onesweep_histogram_config_static_selectorELNS0_4arch9wavefront6targetE0EEEvSD_
	.globl	_ZN7rocprim17ROCPRIM_400000_NS6detail17trampoline_kernelINS0_14default_configENS1_35radix_sort_onesweep_config_selectorIaNS0_10empty_typeEEEZNS1_34radix_sort_onesweep_global_offsetsIS3_Lb1EPKaPS5_mNS0_19identity_decomposerEEE10hipError_tT1_T2_PT3_SF_jT4_jjP12ihipStream_tbEUlT_E_NS1_11comp_targetILNS1_3genE0ELNS1_11target_archE4294967295ELNS1_3gpuE0ELNS1_3repE0EEENS1_52radix_sort_onesweep_histogram_config_static_selectorELNS0_4arch9wavefront6targetE0EEEvSD_
	.p2align	8
	.type	_ZN7rocprim17ROCPRIM_400000_NS6detail17trampoline_kernelINS0_14default_configENS1_35radix_sort_onesweep_config_selectorIaNS0_10empty_typeEEEZNS1_34radix_sort_onesweep_global_offsetsIS3_Lb1EPKaPS5_mNS0_19identity_decomposerEEE10hipError_tT1_T2_PT3_SF_jT4_jjP12ihipStream_tbEUlT_E_NS1_11comp_targetILNS1_3genE0ELNS1_11target_archE4294967295ELNS1_3gpuE0ELNS1_3repE0EEENS1_52radix_sort_onesweep_histogram_config_static_selectorELNS0_4arch9wavefront6targetE0EEEvSD_,@function
_ZN7rocprim17ROCPRIM_400000_NS6detail17trampoline_kernelINS0_14default_configENS1_35radix_sort_onesweep_config_selectorIaNS0_10empty_typeEEEZNS1_34radix_sort_onesweep_global_offsetsIS3_Lb1EPKaPS5_mNS0_19identity_decomposerEEE10hipError_tT1_T2_PT3_SF_jT4_jjP12ihipStream_tbEUlT_E_NS1_11comp_targetILNS1_3genE0ELNS1_11target_archE4294967295ELNS1_3gpuE0ELNS1_3repE0EEENS1_52radix_sort_onesweep_histogram_config_static_selectorELNS0_4arch9wavefront6targetE0EEEvSD_: ; @_ZN7rocprim17ROCPRIM_400000_NS6detail17trampoline_kernelINS0_14default_configENS1_35radix_sort_onesweep_config_selectorIaNS0_10empty_typeEEEZNS1_34radix_sort_onesweep_global_offsetsIS3_Lb1EPKaPS5_mNS0_19identity_decomposerEEE10hipError_tT1_T2_PT3_SF_jT4_jjP12ihipStream_tbEUlT_E_NS1_11comp_targetILNS1_3genE0ELNS1_11target_archE4294967295ELNS1_3gpuE0ELNS1_3repE0EEENS1_52radix_sort_onesweep_histogram_config_static_selectorELNS0_4arch9wavefront6targetE0EEEvSD_
; %bb.0:
	s_clause 0x1
	s_load_b64 s[8:9], s[0:1], 0x18
	s_load_b128 s[4:7], s[0:1], 0x0
	s_bfe_u32 s10, ttmp6, 0x4000c
	s_load_b64 s[2:3], s[0:1], 0x24
	s_add_co_i32 s10, s10, 1
	s_and_b32 s11, ttmp6, 15
	s_mul_i32 s10, ttmp9, s10
	s_getreg_b32 s12, hwreg(HW_REG_IB_STS2, 6, 4)
	s_add_co_i32 s10, s11, s10
	s_cmp_eq_u32 s12, 0
	s_mov_b32 s11, 0
	s_cselect_b32 s10, ttmp9, s10
	v_and_b32_e32 v1, 3, v0
	s_wait_kmcnt 0x0
	v_cmp_le_u64_e64 s9, s[8:9], s[10:11]
	s_mul_u64 s[10:11], s[10:11], 0x5800
	s_delay_alu instid0(SALU_CYCLE_1)
	s_add_nc_u64 s[4:5], s[4:5], s[10:11]
	s_and_b32 vcc_lo, exec_lo, s9
	s_mov_b32 s9, -1
	s_cbranch_vccz .LBB329_207
; %bb.1:
	s_load_b32 s1, s[0:1], 0x10
	v_dual_mov_b32 v21, 0 :: v_dual_mov_b32 v23, 0
	v_dual_mov_b32 v20, 0 :: v_dual_mov_b32 v19, 0
	;; [unrolled: 1-line block ×10, first 2 shown]
	v_mov_b32_e32 v2, 0
	s_wait_xcnt 0x0
	s_mul_i32 s0, s8, 0xffffa800
	s_wait_kmcnt 0x0
	s_add_co_i32 s1, s1, s0
	s_mov_b32 s0, exec_lo
	v_cmpx_gt_u32_e64 s1, v0
	s_cbranch_execz .LBB329_3
; %bb.2:
	global_load_u8 v23, v0, s[4:5]
	v_dual_mov_b32 v20, 0 :: v_dual_mov_b32 v19, 0
	v_dual_mov_b32 v18, 0 :: v_dual_mov_b32 v17, 0
	v_dual_mov_b32 v16, 0 :: v_dual_mov_b32 v15, 0
	v_dual_mov_b32 v14, 0 :: v_dual_mov_b32 v13, 0
	v_dual_mov_b32 v12, 0 :: v_dual_mov_b32 v11, 0
	v_dual_mov_b32 v10, 0 :: v_dual_mov_b32 v9, 0
	v_dual_mov_b32 v8, 0 :: v_dual_mov_b32 v7, 0
	v_dual_mov_b32 v6, 0 :: v_dual_mov_b32 v5, 0
	v_dual_mov_b32 v4, 0 :: v_dual_mov_b32 v3, 0
	v_mov_b32_e32 v2, 0
.LBB329_3:
	s_wait_xcnt 0x0
	s_or_b32 exec_lo, exec_lo, s0
	v_or_b32_e32 v22, 0x400, v0
	v_mov_b32_e32 v24, v21
	s_mov_b32 s0, exec_lo
	s_delay_alu instid0(VALU_DEP_2)
	v_cmpx_gt_u32_e64 s1, v22
	s_cbranch_execz .LBB329_5
; %bb.4:
	global_load_u8 v24, v0, s[4:5] offset:1024
.LBB329_5:
	s_wait_xcnt 0x0
	s_or_b32 exec_lo, exec_lo, s0
	v_or_b32_e32 v25, 0x800, v0
	s_mov_b32 s0, exec_lo
	s_delay_alu instid0(VALU_DEP_1)
	v_cmpx_gt_u32_e64 s1, v25
	s_cbranch_execz .LBB329_7
; %bb.6:
	global_load_u8 v21, v0, s[4:5] offset:2048
.LBB329_7:
	s_wait_xcnt 0x0
	s_or_b32 exec_lo, exec_lo, s0
	v_or_b32_e32 v26, 0xc00, v0
	s_mov_b32 s0, exec_lo
	s_delay_alu instid0(VALU_DEP_1)
	;; [unrolled: 10-line block ×20, first 2 shown]
	v_cmpx_gt_u32_e64 s1, v44
	s_cbranch_execz .LBB329_45
; %bb.44:
	global_load_u8 v2, v0, s[4:5] offset:21504
.LBB329_45:
	s_wait_xcnt 0x0
	s_or_b32 exec_lo, exec_lo, s0
	s_delay_alu instid0(SALU_CYCLE_1)
	s_mov_b32 s0, exec_lo
	v_cmpx_gt_u32_e32 0x80, v0
; %bb.46:
	v_dual_mov_b32 v46, 0 :: v_dual_lshlrev_b32 v45, 2, v0
	ds_store_b32 v45, v46
; %bb.47:
	s_or_b32 exec_lo, exec_lo, s0
	s_cmp_le_u32 s3, s2
	s_wait_loadcnt 0x0
	v_xor_b32_e32 v23, 0x7f, v23
	s_cselect_b32 s8, -1, 0
	v_cmp_le_u32_e32 vcc_lo, s1, v0
	s_and_b32 s0, s8, exec_lo
	s_cselect_b32 s9, 8, 10
	v_and_b32_e32 v23, 0xff, v23
	v_mov_b32_e32 v45, s9
	s_nor_b32 s10, s8, vcc_lo
	s_wait_dscnt 0x0
	s_barrier_signal -1
	s_barrier_wait -1
	s_and_saveexec_b32 s0, s10
	s_cbranch_execz .LBB329_49
; %bb.48:
	v_dual_lshrrev_b32 v45, s2, v23 :: v_dual_lshlrev_b32 v46, 2, v1
	s_sub_co_i32 s10, s3, s2
	s_delay_alu instid0(SALU_CYCLE_1)
	s_min_u32 s10, s10, 4
	s_delay_alu instid0(VALU_DEP_1) | instid1(SALU_CYCLE_1)
	v_bfe_u32 v45, v45, 0, s10
	s_delay_alu instid0(VALU_DEP_1)
	v_lshl_or_b32 v45, v45, 4, v46
	v_mov_b32_e32 v46, 1
	ds_add_u32 v45, v46
	v_mov_b32_e32 v45, 0
.LBB329_49:
	s_or_b32 exec_lo, exec_lo, s0
	s_mov_b32 s10, -1
	s_mov_b32 s11, exec_lo
	s_delay_alu instid0(VALU_DEP_1)
	v_cmpx_gt_i32_e32 10, v45
; %bb.50:
	v_cmp_eq_u32_e64 s0, 0, v45
	s_or_not1_b32 s10, s0, exec_lo
; %bb.51:
	s_or_b32 exec_lo, exec_lo, s11
	s_and_saveexec_b32 s0, s10
	s_cbranch_execz .LBB329_54
; %bb.52:
	s_add_co_i32 s10, s2, 4
	s_delay_alu instid0(SALU_CYCLE_1) | instskip(SKIP_2) | instid1(SALU_CYCLE_1)
	s_cmp_gt_u32 s3, s10
	s_cselect_b32 s11, -1, 0
	s_xor_b32 s12, vcc_lo, -1
	s_and_b32 s11, s11, s12
	s_delay_alu instid0(SALU_CYCLE_1)
	s_and_b32 exec_lo, exec_lo, s11
	s_cbranch_execz .LBB329_54
; %bb.53:
	v_dual_lshrrev_b32 v23, s10, v23 :: v_dual_lshlrev_b32 v45, 2, v1
	s_sub_co_i32 s10, s3, s10
	s_delay_alu instid0(SALU_CYCLE_1)
	s_min_u32 s10, s10, 4
	s_delay_alu instid0(VALU_DEP_1) | instid1(SALU_CYCLE_1)
	v_bfe_u32 v23, v23, 0, s10
	s_delay_alu instid0(VALU_DEP_1)
	v_lshl_or_b32 v23, v23, 4, v45
	v_mov_b32_e32 v45, 1
	ds_add_u32 v23, v45 offset:256
.LBB329_54:
	s_or_b32 exec_lo, exec_lo, s0
	v_xor_b32_e32 v23, 0x7f, v24
	v_cmp_le_u32_e32 vcc_lo, s1, v22
	s_delay_alu instid0(VALU_DEP_2) | instskip(SKIP_2) | instid1(SALU_CYCLE_1)
	v_and_b32_e32 v22, 0xff, v23
	v_mov_b32_e32 v23, s9
	s_nor_b32 s10, s8, vcc_lo
	s_and_saveexec_b32 s0, s10
	s_cbranch_execz .LBB329_56
; %bb.55:
	v_dual_lshrrev_b32 v23, s2, v22 :: v_dual_lshlrev_b32 v24, 2, v1
	s_sub_co_i32 s10, s3, s2
	s_delay_alu instid0(SALU_CYCLE_1)
	s_min_u32 s10, s10, 4
	s_delay_alu instid0(VALU_DEP_1) | instid1(SALU_CYCLE_1)
	v_bfe_u32 v23, v23, 0, s10
	s_delay_alu instid0(VALU_DEP_1)
	v_lshl_or_b32 v23, v23, 4, v24
	v_mov_b32_e32 v24, 1
	ds_add_u32 v23, v24
	v_mov_b32_e32 v23, 0
.LBB329_56:
	s_or_b32 exec_lo, exec_lo, s0
	s_mov_b32 s10, -1
	s_mov_b32 s11, exec_lo
	s_delay_alu instid0(VALU_DEP_1)
	v_cmpx_gt_i32_e32 10, v23
; %bb.57:
	v_cmp_eq_u32_e64 s0, 0, v23
	s_or_not1_b32 s10, s0, exec_lo
; %bb.58:
	s_or_b32 exec_lo, exec_lo, s11
	s_and_saveexec_b32 s0, s10
	s_cbranch_execz .LBB329_61
; %bb.59:
	s_add_co_i32 s10, s2, 4
	s_delay_alu instid0(SALU_CYCLE_1) | instskip(SKIP_2) | instid1(SALU_CYCLE_1)
	s_cmp_gt_u32 s3, s10
	s_cselect_b32 s11, -1, 0
	s_xor_b32 s12, vcc_lo, -1
	s_and_b32 s11, s11, s12
	s_delay_alu instid0(SALU_CYCLE_1)
	s_and_b32 exec_lo, exec_lo, s11
	s_cbranch_execz .LBB329_61
; %bb.60:
	v_dual_lshrrev_b32 v22, s10, v22 :: v_dual_lshlrev_b32 v23, 2, v1
	s_sub_co_i32 s10, s3, s10
	s_delay_alu instid0(SALU_CYCLE_1)
	s_min_u32 s10, s10, 4
	s_delay_alu instid0(VALU_DEP_1) | instid1(SALU_CYCLE_1)
	v_bfe_u32 v22, v22, 0, s10
	s_delay_alu instid0(VALU_DEP_1)
	v_lshl_or_b32 v22, v22, 4, v23
	v_mov_b32_e32 v23, 1
	ds_add_u32 v22, v23 offset:256
.LBB329_61:
	s_or_b32 exec_lo, exec_lo, s0
	v_xor_b32_e32 v21, 0x7f, v21
	v_cmp_le_u32_e32 vcc_lo, s1, v25
	v_mov_b32_e32 v22, s9
	s_delay_alu instid0(VALU_DEP_3) | instskip(SKIP_1) | instid1(SALU_CYCLE_1)
	v_and_b32_e32 v21, 0xff, v21
	s_nor_b32 s10, s8, vcc_lo
	s_and_saveexec_b32 s0, s10
	s_cbranch_execz .LBB329_63
; %bb.62:
	s_delay_alu instid0(VALU_DEP_1)
	v_lshrrev_b32_e32 v22, s2, v21
	s_sub_co_i32 s10, s3, s2
	v_lshlrev_b32_e32 v23, 2, v1
	s_min_u32 s10, s10, 4
	s_delay_alu instid0(VALU_DEP_2) | instid1(SALU_CYCLE_1)
	v_bfe_u32 v22, v22, 0, s10
	s_delay_alu instid0(VALU_DEP_1)
	v_lshl_or_b32 v22, v22, 4, v23
	v_mov_b32_e32 v23, 1
	ds_add_u32 v22, v23
	v_mov_b32_e32 v22, 0
.LBB329_63:
	s_or_b32 exec_lo, exec_lo, s0
	s_mov_b32 s10, -1
	s_mov_b32 s11, exec_lo
	s_delay_alu instid0(VALU_DEP_1)
	v_cmpx_gt_i32_e32 10, v22
; %bb.64:
	v_cmp_eq_u32_e64 s0, 0, v22
	s_or_not1_b32 s10, s0, exec_lo
; %bb.65:
	s_or_b32 exec_lo, exec_lo, s11
	s_and_saveexec_b32 s0, s10
	s_cbranch_execz .LBB329_68
; %bb.66:
	s_add_co_i32 s10, s2, 4
	s_delay_alu instid0(SALU_CYCLE_1) | instskip(SKIP_2) | instid1(SALU_CYCLE_1)
	s_cmp_gt_u32 s3, s10
	s_cselect_b32 s11, -1, 0
	s_xor_b32 s12, vcc_lo, -1
	s_and_b32 s11, s11, s12
	s_delay_alu instid0(SALU_CYCLE_1)
	s_and_b32 exec_lo, exec_lo, s11
	s_cbranch_execz .LBB329_68
; %bb.67:
	v_lshrrev_b32_e32 v21, s10, v21
	s_sub_co_i32 s10, s3, s10
	v_lshlrev_b32_e32 v22, 2, v1
	s_min_u32 s10, s10, 4
	s_delay_alu instid0(VALU_DEP_2) | instid1(SALU_CYCLE_1)
	v_bfe_u32 v21, v21, 0, s10
	s_delay_alu instid0(VALU_DEP_1)
	v_lshl_or_b32 v21, v21, 4, v22
	v_mov_b32_e32 v22, 1
	ds_add_u32 v21, v22 offset:256
.LBB329_68:
	s_or_b32 exec_lo, exec_lo, s0
	v_xor_b32_e32 v20, 0x7f, v20
	v_cmp_le_u32_e32 vcc_lo, s1, v26
	v_mov_b32_e32 v21, s9
	s_delay_alu instid0(VALU_DEP_3) | instskip(SKIP_1) | instid1(SALU_CYCLE_1)
	v_and_b32_e32 v20, 0xff, v20
	s_nor_b32 s10, s8, vcc_lo
	s_and_saveexec_b32 s0, s10
	s_cbranch_execz .LBB329_70
; %bb.69:
	s_delay_alu instid0(VALU_DEP_1) | instskip(SKIP_1) | instid1(SALU_CYCLE_1)
	v_dual_lshrrev_b32 v21, s2, v20 :: v_dual_lshlrev_b32 v22, 2, v1
	s_sub_co_i32 s10, s3, s2
	s_min_u32 s10, s10, 4
	s_delay_alu instid0(VALU_DEP_1) | instid1(SALU_CYCLE_1)
	v_bfe_u32 v21, v21, 0, s10
	s_delay_alu instid0(VALU_DEP_1)
	v_lshl_or_b32 v21, v21, 4, v22
	v_mov_b32_e32 v22, 1
	ds_add_u32 v21, v22
	v_mov_b32_e32 v21, 0
.LBB329_70:
	s_or_b32 exec_lo, exec_lo, s0
	s_mov_b32 s10, -1
	s_mov_b32 s11, exec_lo
	s_delay_alu instid0(VALU_DEP_1)
	v_cmpx_gt_i32_e32 10, v21
; %bb.71:
	v_cmp_eq_u32_e64 s0, 0, v21
	s_or_not1_b32 s10, s0, exec_lo
; %bb.72:
	s_or_b32 exec_lo, exec_lo, s11
	s_and_saveexec_b32 s0, s10
	s_cbranch_execz .LBB329_75
; %bb.73:
	s_add_co_i32 s10, s2, 4
	s_delay_alu instid0(SALU_CYCLE_1) | instskip(SKIP_2) | instid1(SALU_CYCLE_1)
	s_cmp_gt_u32 s3, s10
	s_cselect_b32 s11, -1, 0
	s_xor_b32 s12, vcc_lo, -1
	s_and_b32 s11, s11, s12
	s_delay_alu instid0(SALU_CYCLE_1)
	s_and_b32 exec_lo, exec_lo, s11
	s_cbranch_execz .LBB329_75
; %bb.74:
	v_dual_lshrrev_b32 v20, s10, v20 :: v_dual_lshlrev_b32 v21, 2, v1
	s_sub_co_i32 s10, s3, s10
	s_delay_alu instid0(SALU_CYCLE_1)
	s_min_u32 s10, s10, 4
	s_delay_alu instid0(VALU_DEP_1) | instid1(SALU_CYCLE_1)
	v_bfe_u32 v20, v20, 0, s10
	s_delay_alu instid0(VALU_DEP_1)
	v_lshl_or_b32 v20, v20, 4, v21
	v_mov_b32_e32 v21, 1
	ds_add_u32 v20, v21 offset:256
.LBB329_75:
	s_or_b32 exec_lo, exec_lo, s0
	v_xor_b32_e32 v19, 0x7f, v19
	v_cmp_le_u32_e32 vcc_lo, s1, v27
	v_mov_b32_e32 v20, s9
	s_delay_alu instid0(VALU_DEP_3) | instskip(SKIP_1) | instid1(SALU_CYCLE_1)
	v_and_b32_e32 v19, 0xff, v19
	s_nor_b32 s10, s8, vcc_lo
	s_and_saveexec_b32 s0, s10
	s_cbranch_execz .LBB329_77
; %bb.76:
	s_delay_alu instid0(VALU_DEP_1) | instskip(SKIP_1) | instid1(SALU_CYCLE_1)
	v_dual_lshrrev_b32 v20, s2, v19 :: v_dual_lshlrev_b32 v21, 2, v1
	s_sub_co_i32 s10, s3, s2
	s_min_u32 s10, s10, 4
	s_delay_alu instid0(VALU_DEP_1) | instid1(SALU_CYCLE_1)
	v_bfe_u32 v20, v20, 0, s10
	s_delay_alu instid0(VALU_DEP_1)
	v_lshl_or_b32 v20, v20, 4, v21
	v_mov_b32_e32 v21, 1
	ds_add_u32 v20, v21
	v_mov_b32_e32 v20, 0
.LBB329_77:
	s_or_b32 exec_lo, exec_lo, s0
	s_mov_b32 s10, -1
	s_mov_b32 s11, exec_lo
	s_delay_alu instid0(VALU_DEP_1)
	v_cmpx_gt_i32_e32 10, v20
; %bb.78:
	v_cmp_eq_u32_e64 s0, 0, v20
	s_or_not1_b32 s10, s0, exec_lo
; %bb.79:
	s_or_b32 exec_lo, exec_lo, s11
	s_and_saveexec_b32 s0, s10
	s_cbranch_execz .LBB329_82
; %bb.80:
	s_add_co_i32 s10, s2, 4
	s_delay_alu instid0(SALU_CYCLE_1) | instskip(SKIP_2) | instid1(SALU_CYCLE_1)
	s_cmp_gt_u32 s3, s10
	s_cselect_b32 s11, -1, 0
	s_xor_b32 s12, vcc_lo, -1
	s_and_b32 s11, s11, s12
	s_delay_alu instid0(SALU_CYCLE_1)
	s_and_b32 exec_lo, exec_lo, s11
	s_cbranch_execz .LBB329_82
; %bb.81:
	v_dual_lshrrev_b32 v19, s10, v19 :: v_dual_lshlrev_b32 v20, 2, v1
	s_sub_co_i32 s10, s3, s10
	s_delay_alu instid0(SALU_CYCLE_1)
	s_min_u32 s10, s10, 4
	s_delay_alu instid0(VALU_DEP_1) | instid1(SALU_CYCLE_1)
	v_bfe_u32 v19, v19, 0, s10
	s_delay_alu instid0(VALU_DEP_1)
	v_lshl_or_b32 v19, v19, 4, v20
	v_mov_b32_e32 v20, 1
	ds_add_u32 v19, v20 offset:256
.LBB329_82:
	;; [unrolled: 56-line block ×3, first 2 shown]
	s_or_b32 exec_lo, exec_lo, s0
	v_xor_b32_e32 v17, 0x7f, v17
	v_cmp_le_u32_e32 vcc_lo, s1, v29
	v_mov_b32_e32 v18, s9
	s_delay_alu instid0(VALU_DEP_3) | instskip(SKIP_1) | instid1(SALU_CYCLE_1)
	v_and_b32_e32 v17, 0xff, v17
	s_nor_b32 s10, s8, vcc_lo
	s_and_saveexec_b32 s0, s10
	s_cbranch_execz .LBB329_91
; %bb.90:
	s_delay_alu instid0(VALU_DEP_1)
	v_lshrrev_b32_e32 v18, s2, v17
	s_sub_co_i32 s10, s3, s2
	v_lshlrev_b32_e32 v19, 2, v1
	s_min_u32 s10, s10, 4
	s_delay_alu instid0(VALU_DEP_2) | instid1(SALU_CYCLE_1)
	v_bfe_u32 v18, v18, 0, s10
	s_delay_alu instid0(VALU_DEP_1)
	v_lshl_or_b32 v18, v18, 4, v19
	v_mov_b32_e32 v19, 1
	ds_add_u32 v18, v19
	v_mov_b32_e32 v18, 0
.LBB329_91:
	s_or_b32 exec_lo, exec_lo, s0
	s_mov_b32 s10, -1
	s_mov_b32 s11, exec_lo
	s_delay_alu instid0(VALU_DEP_1)
	v_cmpx_gt_i32_e32 10, v18
; %bb.92:
	v_cmp_eq_u32_e64 s0, 0, v18
	s_or_not1_b32 s10, s0, exec_lo
; %bb.93:
	s_or_b32 exec_lo, exec_lo, s11
	s_and_saveexec_b32 s0, s10
	s_cbranch_execz .LBB329_96
; %bb.94:
	s_add_co_i32 s10, s2, 4
	s_delay_alu instid0(SALU_CYCLE_1) | instskip(SKIP_2) | instid1(SALU_CYCLE_1)
	s_cmp_gt_u32 s3, s10
	s_cselect_b32 s11, -1, 0
	s_xor_b32 s12, vcc_lo, -1
	s_and_b32 s11, s11, s12
	s_delay_alu instid0(SALU_CYCLE_1)
	s_and_b32 exec_lo, exec_lo, s11
	s_cbranch_execz .LBB329_96
; %bb.95:
	v_lshrrev_b32_e32 v17, s10, v17
	s_sub_co_i32 s10, s3, s10
	v_lshlrev_b32_e32 v18, 2, v1
	s_min_u32 s10, s10, 4
	s_delay_alu instid0(VALU_DEP_2) | instid1(SALU_CYCLE_1)
	v_bfe_u32 v17, v17, 0, s10
	s_delay_alu instid0(VALU_DEP_1)
	v_lshl_or_b32 v17, v17, 4, v18
	v_mov_b32_e32 v18, 1
	ds_add_u32 v17, v18 offset:256
.LBB329_96:
	s_or_b32 exec_lo, exec_lo, s0
	v_xor_b32_e32 v16, 0x7f, v16
	v_cmp_le_u32_e32 vcc_lo, s1, v30
	v_mov_b32_e32 v17, s9
	s_delay_alu instid0(VALU_DEP_3) | instskip(SKIP_1) | instid1(SALU_CYCLE_1)
	v_and_b32_e32 v16, 0xff, v16
	s_nor_b32 s10, s8, vcc_lo
	s_and_saveexec_b32 s0, s10
	s_cbranch_execz .LBB329_98
; %bb.97:
	s_delay_alu instid0(VALU_DEP_1) | instskip(SKIP_1) | instid1(SALU_CYCLE_1)
	v_dual_lshrrev_b32 v17, s2, v16 :: v_dual_lshlrev_b32 v18, 2, v1
	s_sub_co_i32 s10, s3, s2
	s_min_u32 s10, s10, 4
	s_delay_alu instid0(VALU_DEP_1) | instid1(SALU_CYCLE_1)
	v_bfe_u32 v17, v17, 0, s10
	s_delay_alu instid0(VALU_DEP_1)
	v_lshl_or_b32 v17, v17, 4, v18
	v_mov_b32_e32 v18, 1
	ds_add_u32 v17, v18
	v_mov_b32_e32 v17, 0
.LBB329_98:
	s_or_b32 exec_lo, exec_lo, s0
	s_mov_b32 s10, -1
	s_mov_b32 s11, exec_lo
	s_delay_alu instid0(VALU_DEP_1)
	v_cmpx_gt_i32_e32 10, v17
; %bb.99:
	v_cmp_eq_u32_e64 s0, 0, v17
	s_or_not1_b32 s10, s0, exec_lo
; %bb.100:
	s_or_b32 exec_lo, exec_lo, s11
	s_and_saveexec_b32 s0, s10
	s_cbranch_execz .LBB329_103
; %bb.101:
	s_add_co_i32 s10, s2, 4
	s_delay_alu instid0(SALU_CYCLE_1) | instskip(SKIP_2) | instid1(SALU_CYCLE_1)
	s_cmp_gt_u32 s3, s10
	s_cselect_b32 s11, -1, 0
	s_xor_b32 s12, vcc_lo, -1
	s_and_b32 s11, s11, s12
	s_delay_alu instid0(SALU_CYCLE_1)
	s_and_b32 exec_lo, exec_lo, s11
	s_cbranch_execz .LBB329_103
; %bb.102:
	v_dual_lshrrev_b32 v16, s10, v16 :: v_dual_lshlrev_b32 v17, 2, v1
	s_sub_co_i32 s10, s3, s10
	s_delay_alu instid0(SALU_CYCLE_1)
	s_min_u32 s10, s10, 4
	s_delay_alu instid0(VALU_DEP_1) | instid1(SALU_CYCLE_1)
	v_bfe_u32 v16, v16, 0, s10
	s_delay_alu instid0(VALU_DEP_1)
	v_lshl_or_b32 v16, v16, 4, v17
	v_mov_b32_e32 v17, 1
	ds_add_u32 v16, v17 offset:256
.LBB329_103:
	s_or_b32 exec_lo, exec_lo, s0
	v_xor_b32_e32 v15, 0x7f, v15
	v_cmp_le_u32_e32 vcc_lo, s1, v31
	v_mov_b32_e32 v16, s9
	s_delay_alu instid0(VALU_DEP_3) | instskip(SKIP_1) | instid1(SALU_CYCLE_1)
	v_and_b32_e32 v15, 0xff, v15
	s_nor_b32 s10, s8, vcc_lo
	s_and_saveexec_b32 s0, s10
	s_cbranch_execz .LBB329_105
; %bb.104:
	s_delay_alu instid0(VALU_DEP_1) | instskip(SKIP_1) | instid1(SALU_CYCLE_1)
	v_dual_lshrrev_b32 v16, s2, v15 :: v_dual_lshlrev_b32 v17, 2, v1
	s_sub_co_i32 s10, s3, s2
	s_min_u32 s10, s10, 4
	s_delay_alu instid0(VALU_DEP_1) | instid1(SALU_CYCLE_1)
	v_bfe_u32 v16, v16, 0, s10
	s_delay_alu instid0(VALU_DEP_1)
	v_lshl_or_b32 v16, v16, 4, v17
	v_mov_b32_e32 v17, 1
	ds_add_u32 v16, v17
	v_mov_b32_e32 v16, 0
.LBB329_105:
	s_or_b32 exec_lo, exec_lo, s0
	s_mov_b32 s10, -1
	s_mov_b32 s11, exec_lo
	s_delay_alu instid0(VALU_DEP_1)
	v_cmpx_gt_i32_e32 10, v16
; %bb.106:
	v_cmp_eq_u32_e64 s0, 0, v16
	s_or_not1_b32 s10, s0, exec_lo
; %bb.107:
	s_or_b32 exec_lo, exec_lo, s11
	s_and_saveexec_b32 s0, s10
	s_cbranch_execz .LBB329_110
; %bb.108:
	s_add_co_i32 s10, s2, 4
	s_delay_alu instid0(SALU_CYCLE_1) | instskip(SKIP_2) | instid1(SALU_CYCLE_1)
	s_cmp_gt_u32 s3, s10
	s_cselect_b32 s11, -1, 0
	s_xor_b32 s12, vcc_lo, -1
	s_and_b32 s11, s11, s12
	s_delay_alu instid0(SALU_CYCLE_1)
	s_and_b32 exec_lo, exec_lo, s11
	s_cbranch_execz .LBB329_110
; %bb.109:
	v_dual_lshrrev_b32 v15, s10, v15 :: v_dual_lshlrev_b32 v16, 2, v1
	s_sub_co_i32 s10, s3, s10
	s_delay_alu instid0(SALU_CYCLE_1)
	s_min_u32 s10, s10, 4
	s_delay_alu instid0(VALU_DEP_1) | instid1(SALU_CYCLE_1)
	v_bfe_u32 v15, v15, 0, s10
	s_delay_alu instid0(VALU_DEP_1)
	v_lshl_or_b32 v15, v15, 4, v16
	v_mov_b32_e32 v16, 1
	ds_add_u32 v15, v16 offset:256
.LBB329_110:
	;; [unrolled: 56-line block ×3, first 2 shown]
	s_or_b32 exec_lo, exec_lo, s0
	v_xor_b32_e32 v13, 0x7f, v13
	v_cmp_le_u32_e32 vcc_lo, s1, v33
	v_mov_b32_e32 v14, s9
	s_delay_alu instid0(VALU_DEP_3) | instskip(SKIP_1) | instid1(SALU_CYCLE_1)
	v_and_b32_e32 v13, 0xff, v13
	s_nor_b32 s10, s8, vcc_lo
	s_and_saveexec_b32 s0, s10
	s_cbranch_execz .LBB329_119
; %bb.118:
	s_delay_alu instid0(VALU_DEP_1)
	v_lshrrev_b32_e32 v14, s2, v13
	s_sub_co_i32 s10, s3, s2
	v_lshlrev_b32_e32 v15, 2, v1
	s_min_u32 s10, s10, 4
	s_delay_alu instid0(VALU_DEP_2) | instid1(SALU_CYCLE_1)
	v_bfe_u32 v14, v14, 0, s10
	s_delay_alu instid0(VALU_DEP_1)
	v_lshl_or_b32 v14, v14, 4, v15
	v_mov_b32_e32 v15, 1
	ds_add_u32 v14, v15
	v_mov_b32_e32 v14, 0
.LBB329_119:
	s_or_b32 exec_lo, exec_lo, s0
	s_mov_b32 s10, -1
	s_mov_b32 s11, exec_lo
	s_delay_alu instid0(VALU_DEP_1)
	v_cmpx_gt_i32_e32 10, v14
; %bb.120:
	v_cmp_eq_u32_e64 s0, 0, v14
	s_or_not1_b32 s10, s0, exec_lo
; %bb.121:
	s_or_b32 exec_lo, exec_lo, s11
	s_and_saveexec_b32 s0, s10
	s_cbranch_execz .LBB329_124
; %bb.122:
	s_add_co_i32 s10, s2, 4
	s_delay_alu instid0(SALU_CYCLE_1) | instskip(SKIP_2) | instid1(SALU_CYCLE_1)
	s_cmp_gt_u32 s3, s10
	s_cselect_b32 s11, -1, 0
	s_xor_b32 s12, vcc_lo, -1
	s_and_b32 s11, s11, s12
	s_delay_alu instid0(SALU_CYCLE_1)
	s_and_b32 exec_lo, exec_lo, s11
	s_cbranch_execz .LBB329_124
; %bb.123:
	v_lshrrev_b32_e32 v13, s10, v13
	s_sub_co_i32 s10, s3, s10
	v_lshlrev_b32_e32 v14, 2, v1
	s_min_u32 s10, s10, 4
	s_delay_alu instid0(VALU_DEP_2) | instid1(SALU_CYCLE_1)
	v_bfe_u32 v13, v13, 0, s10
	s_delay_alu instid0(VALU_DEP_1)
	v_lshl_or_b32 v13, v13, 4, v14
	v_mov_b32_e32 v14, 1
	ds_add_u32 v13, v14 offset:256
.LBB329_124:
	s_or_b32 exec_lo, exec_lo, s0
	v_xor_b32_e32 v12, 0x7f, v12
	v_cmp_le_u32_e32 vcc_lo, s1, v34
	v_mov_b32_e32 v13, s9
	s_delay_alu instid0(VALU_DEP_3) | instskip(SKIP_1) | instid1(SALU_CYCLE_1)
	v_and_b32_e32 v12, 0xff, v12
	s_nor_b32 s10, s8, vcc_lo
	s_and_saveexec_b32 s0, s10
	s_cbranch_execz .LBB329_126
; %bb.125:
	s_delay_alu instid0(VALU_DEP_1) | instskip(SKIP_1) | instid1(SALU_CYCLE_1)
	v_dual_lshrrev_b32 v13, s2, v12 :: v_dual_lshlrev_b32 v14, 2, v1
	s_sub_co_i32 s10, s3, s2
	s_min_u32 s10, s10, 4
	s_delay_alu instid0(VALU_DEP_1) | instid1(SALU_CYCLE_1)
	v_bfe_u32 v13, v13, 0, s10
	s_delay_alu instid0(VALU_DEP_1)
	v_lshl_or_b32 v13, v13, 4, v14
	v_mov_b32_e32 v14, 1
	ds_add_u32 v13, v14
	v_mov_b32_e32 v13, 0
.LBB329_126:
	s_or_b32 exec_lo, exec_lo, s0
	s_mov_b32 s10, -1
	s_mov_b32 s11, exec_lo
	s_delay_alu instid0(VALU_DEP_1)
	v_cmpx_gt_i32_e32 10, v13
; %bb.127:
	v_cmp_eq_u32_e64 s0, 0, v13
	s_or_not1_b32 s10, s0, exec_lo
; %bb.128:
	s_or_b32 exec_lo, exec_lo, s11
	s_and_saveexec_b32 s0, s10
	s_cbranch_execz .LBB329_131
; %bb.129:
	s_add_co_i32 s10, s2, 4
	s_delay_alu instid0(SALU_CYCLE_1) | instskip(SKIP_2) | instid1(SALU_CYCLE_1)
	s_cmp_gt_u32 s3, s10
	s_cselect_b32 s11, -1, 0
	s_xor_b32 s12, vcc_lo, -1
	s_and_b32 s11, s11, s12
	s_delay_alu instid0(SALU_CYCLE_1)
	s_and_b32 exec_lo, exec_lo, s11
	s_cbranch_execz .LBB329_131
; %bb.130:
	v_dual_lshrrev_b32 v12, s10, v12 :: v_dual_lshlrev_b32 v13, 2, v1
	s_sub_co_i32 s10, s3, s10
	s_delay_alu instid0(SALU_CYCLE_1)
	s_min_u32 s10, s10, 4
	s_delay_alu instid0(VALU_DEP_1) | instid1(SALU_CYCLE_1)
	v_bfe_u32 v12, v12, 0, s10
	s_delay_alu instid0(VALU_DEP_1)
	v_lshl_or_b32 v12, v12, 4, v13
	v_mov_b32_e32 v13, 1
	ds_add_u32 v12, v13 offset:256
.LBB329_131:
	s_or_b32 exec_lo, exec_lo, s0
	v_xor_b32_e32 v11, 0x7f, v11
	v_cmp_le_u32_e32 vcc_lo, s1, v35
	v_mov_b32_e32 v12, s9
	s_delay_alu instid0(VALU_DEP_3) | instskip(SKIP_1) | instid1(SALU_CYCLE_1)
	v_and_b32_e32 v11, 0xff, v11
	s_nor_b32 s10, s8, vcc_lo
	s_and_saveexec_b32 s0, s10
	s_cbranch_execz .LBB329_133
; %bb.132:
	s_delay_alu instid0(VALU_DEP_1) | instskip(SKIP_1) | instid1(SALU_CYCLE_1)
	v_dual_lshrrev_b32 v12, s2, v11 :: v_dual_lshlrev_b32 v13, 2, v1
	s_sub_co_i32 s10, s3, s2
	s_min_u32 s10, s10, 4
	s_delay_alu instid0(VALU_DEP_1) | instid1(SALU_CYCLE_1)
	v_bfe_u32 v12, v12, 0, s10
	s_delay_alu instid0(VALU_DEP_1)
	v_lshl_or_b32 v12, v12, 4, v13
	v_mov_b32_e32 v13, 1
	ds_add_u32 v12, v13
	v_mov_b32_e32 v12, 0
.LBB329_133:
	s_or_b32 exec_lo, exec_lo, s0
	s_mov_b32 s10, -1
	s_mov_b32 s11, exec_lo
	s_delay_alu instid0(VALU_DEP_1)
	v_cmpx_gt_i32_e32 10, v12
; %bb.134:
	v_cmp_eq_u32_e64 s0, 0, v12
	s_or_not1_b32 s10, s0, exec_lo
; %bb.135:
	s_or_b32 exec_lo, exec_lo, s11
	s_and_saveexec_b32 s0, s10
	s_cbranch_execz .LBB329_138
; %bb.136:
	s_add_co_i32 s10, s2, 4
	s_delay_alu instid0(SALU_CYCLE_1) | instskip(SKIP_2) | instid1(SALU_CYCLE_1)
	s_cmp_gt_u32 s3, s10
	s_cselect_b32 s11, -1, 0
	s_xor_b32 s12, vcc_lo, -1
	s_and_b32 s11, s11, s12
	s_delay_alu instid0(SALU_CYCLE_1)
	s_and_b32 exec_lo, exec_lo, s11
	s_cbranch_execz .LBB329_138
; %bb.137:
	v_dual_lshrrev_b32 v11, s10, v11 :: v_dual_lshlrev_b32 v12, 2, v1
	s_sub_co_i32 s10, s3, s10
	s_delay_alu instid0(SALU_CYCLE_1)
	s_min_u32 s10, s10, 4
	s_delay_alu instid0(VALU_DEP_1) | instid1(SALU_CYCLE_1)
	v_bfe_u32 v11, v11, 0, s10
	s_delay_alu instid0(VALU_DEP_1)
	v_lshl_or_b32 v11, v11, 4, v12
	v_mov_b32_e32 v12, 1
	ds_add_u32 v11, v12 offset:256
.LBB329_138:
	;; [unrolled: 56-line block ×3, first 2 shown]
	s_or_b32 exec_lo, exec_lo, s0
	v_xor_b32_e32 v9, 0x7f, v9
	v_cmp_le_u32_e32 vcc_lo, s1, v37
	v_mov_b32_e32 v10, s9
	s_delay_alu instid0(VALU_DEP_3) | instskip(SKIP_1) | instid1(SALU_CYCLE_1)
	v_and_b32_e32 v9, 0xff, v9
	s_nor_b32 s10, s8, vcc_lo
	s_and_saveexec_b32 s0, s10
	s_cbranch_execz .LBB329_147
; %bb.146:
	s_delay_alu instid0(VALU_DEP_1)
	v_lshrrev_b32_e32 v10, s2, v9
	s_sub_co_i32 s10, s3, s2
	v_lshlrev_b32_e32 v11, 2, v1
	s_min_u32 s10, s10, 4
	s_delay_alu instid0(VALU_DEP_2) | instid1(SALU_CYCLE_1)
	v_bfe_u32 v10, v10, 0, s10
	s_delay_alu instid0(VALU_DEP_1)
	v_lshl_or_b32 v10, v10, 4, v11
	v_mov_b32_e32 v11, 1
	ds_add_u32 v10, v11
	v_mov_b32_e32 v10, 0
.LBB329_147:
	s_or_b32 exec_lo, exec_lo, s0
	s_mov_b32 s10, -1
	s_mov_b32 s11, exec_lo
	s_delay_alu instid0(VALU_DEP_1)
	v_cmpx_gt_i32_e32 10, v10
; %bb.148:
	v_cmp_eq_u32_e64 s0, 0, v10
	s_or_not1_b32 s10, s0, exec_lo
; %bb.149:
	s_or_b32 exec_lo, exec_lo, s11
	s_and_saveexec_b32 s0, s10
	s_cbranch_execz .LBB329_152
; %bb.150:
	s_add_co_i32 s10, s2, 4
	s_delay_alu instid0(SALU_CYCLE_1) | instskip(SKIP_2) | instid1(SALU_CYCLE_1)
	s_cmp_gt_u32 s3, s10
	s_cselect_b32 s11, -1, 0
	s_xor_b32 s12, vcc_lo, -1
	s_and_b32 s11, s11, s12
	s_delay_alu instid0(SALU_CYCLE_1)
	s_and_b32 exec_lo, exec_lo, s11
	s_cbranch_execz .LBB329_152
; %bb.151:
	v_lshrrev_b32_e32 v9, s10, v9
	s_sub_co_i32 s10, s3, s10
	v_lshlrev_b32_e32 v10, 2, v1
	s_min_u32 s10, s10, 4
	s_delay_alu instid0(VALU_DEP_2) | instid1(SALU_CYCLE_1)
	v_bfe_u32 v9, v9, 0, s10
	s_delay_alu instid0(VALU_DEP_1)
	v_lshl_or_b32 v9, v9, 4, v10
	v_mov_b32_e32 v10, 1
	ds_add_u32 v9, v10 offset:256
.LBB329_152:
	s_or_b32 exec_lo, exec_lo, s0
	v_xor_b32_e32 v8, 0x7f, v8
	v_cmp_le_u32_e32 vcc_lo, s1, v38
	v_mov_b32_e32 v9, s9
	s_delay_alu instid0(VALU_DEP_3) | instskip(SKIP_1) | instid1(SALU_CYCLE_1)
	v_and_b32_e32 v8, 0xff, v8
	s_nor_b32 s10, s8, vcc_lo
	s_and_saveexec_b32 s0, s10
	s_cbranch_execz .LBB329_154
; %bb.153:
	s_delay_alu instid0(VALU_DEP_1) | instskip(SKIP_1) | instid1(SALU_CYCLE_1)
	v_dual_lshrrev_b32 v9, s2, v8 :: v_dual_lshlrev_b32 v10, 2, v1
	s_sub_co_i32 s10, s3, s2
	s_min_u32 s10, s10, 4
	s_delay_alu instid0(VALU_DEP_1) | instid1(SALU_CYCLE_1)
	v_bfe_u32 v9, v9, 0, s10
	s_delay_alu instid0(VALU_DEP_1)
	v_lshl_or_b32 v9, v9, 4, v10
	v_mov_b32_e32 v10, 1
	ds_add_u32 v9, v10
	v_mov_b32_e32 v9, 0
.LBB329_154:
	s_or_b32 exec_lo, exec_lo, s0
	s_mov_b32 s10, -1
	s_mov_b32 s11, exec_lo
	s_delay_alu instid0(VALU_DEP_1)
	v_cmpx_gt_i32_e32 10, v9
; %bb.155:
	v_cmp_eq_u32_e64 s0, 0, v9
	s_or_not1_b32 s10, s0, exec_lo
; %bb.156:
	s_or_b32 exec_lo, exec_lo, s11
	s_and_saveexec_b32 s0, s10
	s_cbranch_execz .LBB329_159
; %bb.157:
	s_add_co_i32 s10, s2, 4
	s_delay_alu instid0(SALU_CYCLE_1) | instskip(SKIP_2) | instid1(SALU_CYCLE_1)
	s_cmp_gt_u32 s3, s10
	s_cselect_b32 s11, -1, 0
	s_xor_b32 s12, vcc_lo, -1
	s_and_b32 s11, s11, s12
	s_delay_alu instid0(SALU_CYCLE_1)
	s_and_b32 exec_lo, exec_lo, s11
	s_cbranch_execz .LBB329_159
; %bb.158:
	v_dual_lshrrev_b32 v8, s10, v8 :: v_dual_lshlrev_b32 v9, 2, v1
	s_sub_co_i32 s10, s3, s10
	s_delay_alu instid0(SALU_CYCLE_1)
	s_min_u32 s10, s10, 4
	s_delay_alu instid0(VALU_DEP_1) | instid1(SALU_CYCLE_1)
	v_bfe_u32 v8, v8, 0, s10
	s_delay_alu instid0(VALU_DEP_1)
	v_lshl_or_b32 v8, v8, 4, v9
	v_mov_b32_e32 v9, 1
	ds_add_u32 v8, v9 offset:256
.LBB329_159:
	s_or_b32 exec_lo, exec_lo, s0
	v_xor_b32_e32 v7, 0x7f, v7
	v_cmp_le_u32_e32 vcc_lo, s1, v39
	v_mov_b32_e32 v8, s9
	s_delay_alu instid0(VALU_DEP_3) | instskip(SKIP_1) | instid1(SALU_CYCLE_1)
	v_and_b32_e32 v7, 0xff, v7
	s_nor_b32 s10, s8, vcc_lo
	s_and_saveexec_b32 s0, s10
	s_cbranch_execz .LBB329_161
; %bb.160:
	s_delay_alu instid0(VALU_DEP_1) | instskip(SKIP_1) | instid1(SALU_CYCLE_1)
	v_dual_lshrrev_b32 v8, s2, v7 :: v_dual_lshlrev_b32 v9, 2, v1
	s_sub_co_i32 s10, s3, s2
	s_min_u32 s10, s10, 4
	s_delay_alu instid0(VALU_DEP_1) | instid1(SALU_CYCLE_1)
	v_bfe_u32 v8, v8, 0, s10
	s_delay_alu instid0(VALU_DEP_1)
	v_lshl_or_b32 v8, v8, 4, v9
	v_mov_b32_e32 v9, 1
	ds_add_u32 v8, v9
	v_mov_b32_e32 v8, 0
.LBB329_161:
	s_or_b32 exec_lo, exec_lo, s0
	s_mov_b32 s10, -1
	s_mov_b32 s11, exec_lo
	s_delay_alu instid0(VALU_DEP_1)
	v_cmpx_gt_i32_e32 10, v8
; %bb.162:
	v_cmp_eq_u32_e64 s0, 0, v8
	s_or_not1_b32 s10, s0, exec_lo
; %bb.163:
	s_or_b32 exec_lo, exec_lo, s11
	s_and_saveexec_b32 s0, s10
	s_cbranch_execz .LBB329_166
; %bb.164:
	s_add_co_i32 s10, s2, 4
	s_delay_alu instid0(SALU_CYCLE_1) | instskip(SKIP_2) | instid1(SALU_CYCLE_1)
	s_cmp_gt_u32 s3, s10
	s_cselect_b32 s11, -1, 0
	s_xor_b32 s12, vcc_lo, -1
	s_and_b32 s11, s11, s12
	s_delay_alu instid0(SALU_CYCLE_1)
	s_and_b32 exec_lo, exec_lo, s11
	s_cbranch_execz .LBB329_166
; %bb.165:
	v_dual_lshrrev_b32 v7, s10, v7 :: v_dual_lshlrev_b32 v8, 2, v1
	s_sub_co_i32 s10, s3, s10
	s_delay_alu instid0(SALU_CYCLE_1)
	s_min_u32 s10, s10, 4
	s_delay_alu instid0(VALU_DEP_1) | instid1(SALU_CYCLE_1)
	v_bfe_u32 v7, v7, 0, s10
	s_delay_alu instid0(VALU_DEP_1)
	v_lshl_or_b32 v7, v7, 4, v8
	v_mov_b32_e32 v8, 1
	ds_add_u32 v7, v8 offset:256
.LBB329_166:
	;; [unrolled: 56-line block ×3, first 2 shown]
	s_or_b32 exec_lo, exec_lo, s0
	v_xor_b32_e32 v5, 0x7f, v5
	v_cmp_le_u32_e32 vcc_lo, s1, v41
	v_mov_b32_e32 v6, s9
	s_delay_alu instid0(VALU_DEP_3) | instskip(SKIP_1) | instid1(SALU_CYCLE_1)
	v_and_b32_e32 v5, 0xff, v5
	s_nor_b32 s10, s8, vcc_lo
	s_and_saveexec_b32 s0, s10
	s_cbranch_execz .LBB329_175
; %bb.174:
	s_delay_alu instid0(VALU_DEP_1)
	v_lshrrev_b32_e32 v6, s2, v5
	s_sub_co_i32 s10, s3, s2
	v_lshlrev_b32_e32 v7, 2, v1
	s_min_u32 s10, s10, 4
	s_delay_alu instid0(VALU_DEP_2) | instid1(SALU_CYCLE_1)
	v_bfe_u32 v6, v6, 0, s10
	s_delay_alu instid0(VALU_DEP_1)
	v_lshl_or_b32 v6, v6, 4, v7
	v_mov_b32_e32 v7, 1
	ds_add_u32 v6, v7
	v_mov_b32_e32 v6, 0
.LBB329_175:
	s_or_b32 exec_lo, exec_lo, s0
	s_mov_b32 s10, -1
	s_mov_b32 s11, exec_lo
	s_delay_alu instid0(VALU_DEP_1)
	v_cmpx_gt_i32_e32 10, v6
; %bb.176:
	v_cmp_eq_u32_e64 s0, 0, v6
	s_or_not1_b32 s10, s0, exec_lo
; %bb.177:
	s_or_b32 exec_lo, exec_lo, s11
	s_and_saveexec_b32 s0, s10
	s_cbranch_execz .LBB329_180
; %bb.178:
	s_add_co_i32 s10, s2, 4
	s_delay_alu instid0(SALU_CYCLE_1) | instskip(SKIP_2) | instid1(SALU_CYCLE_1)
	s_cmp_gt_u32 s3, s10
	s_cselect_b32 s11, -1, 0
	s_xor_b32 s12, vcc_lo, -1
	s_and_b32 s11, s11, s12
	s_delay_alu instid0(SALU_CYCLE_1)
	s_and_b32 exec_lo, exec_lo, s11
	s_cbranch_execz .LBB329_180
; %bb.179:
	v_lshrrev_b32_e32 v5, s10, v5
	s_sub_co_i32 s10, s3, s10
	v_lshlrev_b32_e32 v6, 2, v1
	s_min_u32 s10, s10, 4
	s_delay_alu instid0(VALU_DEP_2) | instid1(SALU_CYCLE_1)
	v_bfe_u32 v5, v5, 0, s10
	s_delay_alu instid0(VALU_DEP_1)
	v_lshl_or_b32 v5, v5, 4, v6
	v_mov_b32_e32 v6, 1
	ds_add_u32 v5, v6 offset:256
.LBB329_180:
	s_or_b32 exec_lo, exec_lo, s0
	v_xor_b32_e32 v4, 0x7f, v4
	v_cmp_le_u32_e32 vcc_lo, s1, v42
	v_mov_b32_e32 v5, s9
	s_delay_alu instid0(VALU_DEP_3) | instskip(SKIP_1) | instid1(SALU_CYCLE_1)
	v_and_b32_e32 v4, 0xff, v4
	s_nor_b32 s10, s8, vcc_lo
	s_and_saveexec_b32 s0, s10
	s_cbranch_execz .LBB329_182
; %bb.181:
	s_delay_alu instid0(VALU_DEP_1) | instskip(SKIP_1) | instid1(SALU_CYCLE_1)
	v_dual_lshrrev_b32 v5, s2, v4 :: v_dual_lshlrev_b32 v6, 2, v1
	s_sub_co_i32 s10, s3, s2
	s_min_u32 s10, s10, 4
	s_delay_alu instid0(VALU_DEP_1) | instid1(SALU_CYCLE_1)
	v_bfe_u32 v5, v5, 0, s10
	s_delay_alu instid0(VALU_DEP_1)
	v_lshl_or_b32 v5, v5, 4, v6
	v_mov_b32_e32 v6, 1
	ds_add_u32 v5, v6
	v_mov_b32_e32 v5, 0
.LBB329_182:
	s_or_b32 exec_lo, exec_lo, s0
	s_mov_b32 s10, -1
	s_mov_b32 s11, exec_lo
	s_delay_alu instid0(VALU_DEP_1)
	v_cmpx_gt_i32_e32 10, v5
; %bb.183:
	v_cmp_eq_u32_e64 s0, 0, v5
	s_or_not1_b32 s10, s0, exec_lo
; %bb.184:
	s_or_b32 exec_lo, exec_lo, s11
	s_and_saveexec_b32 s0, s10
	s_cbranch_execz .LBB329_187
; %bb.185:
	s_add_co_i32 s10, s2, 4
	s_delay_alu instid0(SALU_CYCLE_1) | instskip(SKIP_2) | instid1(SALU_CYCLE_1)
	s_cmp_gt_u32 s3, s10
	s_cselect_b32 s11, -1, 0
	s_xor_b32 s12, vcc_lo, -1
	s_and_b32 s11, s11, s12
	s_delay_alu instid0(SALU_CYCLE_1)
	s_and_b32 exec_lo, exec_lo, s11
	s_cbranch_execz .LBB329_187
; %bb.186:
	v_dual_lshrrev_b32 v4, s10, v4 :: v_dual_lshlrev_b32 v5, 2, v1
	s_sub_co_i32 s10, s3, s10
	s_delay_alu instid0(SALU_CYCLE_1)
	s_min_u32 s10, s10, 4
	s_delay_alu instid0(VALU_DEP_1) | instid1(SALU_CYCLE_1)
	v_bfe_u32 v4, v4, 0, s10
	s_delay_alu instid0(VALU_DEP_1)
	v_lshl_or_b32 v4, v4, 4, v5
	v_mov_b32_e32 v5, 1
	ds_add_u32 v4, v5 offset:256
.LBB329_187:
	s_or_b32 exec_lo, exec_lo, s0
	v_xor_b32_e32 v3, 0x7f, v3
	v_cmp_le_u32_e32 vcc_lo, s1, v43
	v_mov_b32_e32 v4, s9
	s_delay_alu instid0(VALU_DEP_3) | instskip(SKIP_1) | instid1(SALU_CYCLE_1)
	v_and_b32_e32 v3, 0xff, v3
	s_nor_b32 s10, s8, vcc_lo
	s_and_saveexec_b32 s0, s10
	s_cbranch_execz .LBB329_189
; %bb.188:
	s_delay_alu instid0(VALU_DEP_1) | instskip(SKIP_1) | instid1(SALU_CYCLE_1)
	v_dual_lshrrev_b32 v4, s2, v3 :: v_dual_lshlrev_b32 v5, 2, v1
	s_sub_co_i32 s10, s3, s2
	s_min_u32 s10, s10, 4
	s_delay_alu instid0(VALU_DEP_1) | instid1(SALU_CYCLE_1)
	v_bfe_u32 v4, v4, 0, s10
	s_delay_alu instid0(VALU_DEP_1)
	v_lshl_or_b32 v4, v4, 4, v5
	v_mov_b32_e32 v5, 1
	ds_add_u32 v4, v5
	v_mov_b32_e32 v4, 0
.LBB329_189:
	s_or_b32 exec_lo, exec_lo, s0
	s_mov_b32 s10, -1
	s_mov_b32 s11, exec_lo
	s_delay_alu instid0(VALU_DEP_1)
	v_cmpx_gt_i32_e32 10, v4
; %bb.190:
	v_cmp_eq_u32_e64 s0, 0, v4
	s_or_not1_b32 s10, s0, exec_lo
; %bb.191:
	s_or_b32 exec_lo, exec_lo, s11
	s_and_saveexec_b32 s0, s10
	s_cbranch_execz .LBB329_194
; %bb.192:
	s_add_co_i32 s10, s2, 4
	s_delay_alu instid0(SALU_CYCLE_1) | instskip(SKIP_2) | instid1(SALU_CYCLE_1)
	s_cmp_gt_u32 s3, s10
	s_cselect_b32 s11, -1, 0
	s_xor_b32 s12, vcc_lo, -1
	s_and_b32 s11, s11, s12
	s_delay_alu instid0(SALU_CYCLE_1)
	s_and_b32 exec_lo, exec_lo, s11
	s_cbranch_execz .LBB329_194
; %bb.193:
	v_dual_lshrrev_b32 v3, s10, v3 :: v_dual_lshlrev_b32 v4, 2, v1
	s_sub_co_i32 s10, s3, s10
	s_delay_alu instid0(SALU_CYCLE_1)
	s_min_u32 s10, s10, 4
	s_delay_alu instid0(VALU_DEP_1) | instid1(SALU_CYCLE_1)
	v_bfe_u32 v3, v3, 0, s10
	s_delay_alu instid0(VALU_DEP_1)
	v_lshl_or_b32 v3, v3, 4, v4
	v_mov_b32_e32 v4, 1
	ds_add_u32 v3, v4 offset:256
.LBB329_194:
	;; [unrolled: 56-line block ×3, first 2 shown]
	s_or_b32 exec_lo, exec_lo, s0
	s_cmp_gt_u32 s3, s2
	s_wait_dscnt 0x0
	s_barrier_signal -1
	s_barrier_wait -1
	s_cbranch_scc0 .LBB329_206
; %bb.202:
	v_dual_mov_b32 v3, 0 :: v_dual_lshlrev_b32 v4, 4, v0
	v_mov_b32_e32 v5, v0
	s_mov_b32 s0, s2
	v_cmp_gt_u32_e32 vcc_lo, 16, v0
	s_branch .LBB329_204
.LBB329_203:                            ;   in Loop: Header=BB329_204 Depth=1
	s_wait_xcnt 0x0
	s_or_b32 exec_lo, exec_lo, s1
	v_add_nc_u32_e32 v5, 16, v5
	v_add_nc_u32_e32 v4, 0x100, v4
	s_add_co_i32 s0, s0, 4
	s_delay_alu instid0(SALU_CYCLE_1)
	s_cmp_lt_u32 s0, s3
	s_cbranch_scc0 .LBB329_206
.LBB329_204:                            ; =>This Inner Loop Header: Depth=1
	s_and_saveexec_b32 s1, vcc_lo
	s_cbranch_execz .LBB329_203
; %bb.205:                              ;   in Loop: Header=BB329_204 Depth=1
	ds_load_2addr_b32 v[6:7], v4 offset1:1
	ds_load_2addr_b32 v[8:9], v4 offset0:2 offset1:3
	s_wait_dscnt 0x1
	v_add_nc_u32_e32 v2, v7, v6
	s_wait_dscnt 0x0
	s_delay_alu instid0(VALU_DEP_1)
	v_add3_u32 v2, v2, v8, v9
	global_atomic_add_u64 v5, v[2:3], s[6:7] scale_offset scope:SCOPE_DEV
	s_branch .LBB329_203
.LBB329_206:
	s_mov_b32 s9, 0
.LBB329_207:
	s_delay_alu instid0(SALU_CYCLE_1)
	s_and_b32 vcc_lo, exec_lo, s9
	s_cbranch_vccz .LBB329_268
; %bb.208:
	s_clause 0x15
	global_load_u8 v10, v0, s[4:5]
	global_load_u8 v11, v0, s[4:5] offset:1024
	global_load_u8 v12, v0, s[4:5] offset:2048
	;; [unrolled: 1-line block ×21, first 2 shown]
	s_cmp_lg_u32 s2, 0
	s_cselect_b32 s0, -1, 0
	s_cmp_lg_u32 s3, 8
	s_cselect_b32 s1, -1, 0
	s_delay_alu instid0(SALU_CYCLE_1)
	s_or_b32 s1, s0, s1
	v_cmp_gt_u32_e64 s0, 0x80, v0
	s_and_b32 vcc_lo, exec_lo, s1
	s_mov_b32 s1, -1
	s_cbranch_vccz .LBB329_263
; %bb.209:
	s_wait_xcnt 0x0
	s_and_saveexec_b32 s1, s0
; %bb.210:
	v_dual_mov_b32 v3, 0 :: v_dual_lshlrev_b32 v2, 2, v0
	ds_store_b32 v2, v3
; %bb.211:
	s_or_b32 exec_lo, exec_lo, s1
	s_cmp_gt_u32 s3, s2
	s_wait_storecnt 0x0
	s_wait_loadcnt_dscnt 0x0
	s_cselect_b32 s1, -1, 0
	s_barrier_signal -1
	s_and_b32 vcc_lo, exec_lo, s1
	s_barrier_wait -1
	s_cbranch_vccz .LBB329_257
; %bb.212:
	v_xor_b32_e32 v2, 0x7f, v10
	s_sub_co_i32 s4, s3, s2
	v_mov_b32_e32 v27, 1
	s_min_u32 s4, s4, 4
	s_mov_b32 s9, -1
	v_and_b32_e32 v3, 0xff, v2
	s_lshl_b32 s5, -1, s4
	s_add_co_i32 s4, s2, 4
	s_delay_alu instid0(VALU_DEP_1) | instskip(NEXT) | instid1(VALU_DEP_1)
	v_dual_lshlrev_b32 v2, 2, v1 :: v_dual_lshrrev_b32 v26, s2, v3
	v_bitop3_b32 v26, v26, s5, v26 bitop3:0x30
	s_not_b32 s5, s5
	s_cmp_le_u32 s3, s4
	s_cselect_b32 s8, -1, 0
	s_delay_alu instid0(VALU_DEP_1) | instskip(SKIP_3) | instid1(VALU_DEP_1)
	v_lshl_or_b32 v26, v26, 4, v2
	s_and_b32 vcc_lo, exec_lo, s8
	ds_add_u32 v26, v27
	v_xor_b32_e32 v26, 0x7f, v11
                                        ; implicit-def: $vgpr27
	v_and_b32_e32 v26, 0xff, v26
	s_cbranch_vccz .LBB329_214
; %bb.213:
	s_delay_alu instid0(VALU_DEP_1) | instskip(SKIP_1) | instid1(VALU_DEP_1)
	v_lshrrev_b32_e32 v27, s2, v26
	s_mov_b32 s9, 0
	v_and_b32_e32 v27, s5, v27
	s_delay_alu instid0(VALU_DEP_1)
	v_lshlrev_b32_e32 v27, 4, v27
.LBB329_214:
	s_and_not1_b32 vcc_lo, exec_lo, s9
	s_cbranch_vccnz .LBB329_216
; %bb.215:
	s_sub_co_i32 s9, s3, s4
	v_dual_lshrrev_b32 v3, s4, v3 :: v_dual_lshrrev_b32 v27, s2, v26
	s_min_u32 s9, s9, 4
	v_mov_b32_e32 v28, 1
	s_lshl_b32 s9, -1, s9
	s_delay_alu instid0(VALU_DEP_2) | instid1(SALU_CYCLE_1)
	v_bitop3_b32 v3, v3, s9, v3 bitop3:0x30
	v_and_b32_e32 v27, s5, v27
	s_delay_alu instid0(VALU_DEP_2) | instskip(NEXT) | instid1(VALU_DEP_2)
	v_lshl_or_b32 v3, v3, 4, v2
	v_lshl_or_b32 v27, v27, 4, v2
	ds_add_u32 v3, v28 offset:256
	ds_add_u32 v27, v28
	v_lshrrev_b32_e32 v3, s4, v26
	s_delay_alu instid0(VALU_DEP_1) | instskip(NEXT) | instid1(VALU_DEP_1)
	v_bitop3_b32 v3, v3, s9, v3 bitop3:0x30
	v_lshl_add_u32 v27, v3, 4, 0x100
.LBB329_216:
	v_xor_b32_e32 v3, 0x7f, v12
	s_and_b32 vcc_lo, exec_lo, s8
	s_delay_alu instid0(VALU_DEP_2) | instskip(NEXT) | instid1(VALU_DEP_2)
	v_dual_mov_b32 v28, 1 :: v_dual_add_nc_u32 v27, v27, v2
	v_and_b32_e32 v26, 0xff, v3
	s_delay_alu instid0(VALU_DEP_1) | instskip(NEXT) | instid1(VALU_DEP_1)
	v_lshrrev_b32_e32 v3, s2, v26
	v_and_b32_e32 v3, s5, v3
	s_delay_alu instid0(VALU_DEP_1) | instskip(SKIP_3) | instid1(VALU_DEP_1)
	v_lshl_or_b32 v3, v3, 4, v2
	ds_add_u32 v27, v28
	ds_add_u32 v3, v28
	v_xor_b32_e32 v3, 0x7f, v13
	v_and_b32_e32 v3, 0xff, v3
	s_cbranch_vccz .LBB329_218
; %bb.217:
	s_delay_alu instid0(VALU_DEP_1) | instskip(NEXT) | instid1(VALU_DEP_1)
	v_lshrrev_b32_e32 v27, s2, v3
	v_and_b32_e32 v27, s5, v27
	s_delay_alu instid0(VALU_DEP_1)
	v_lshlrev_b32_e32 v27, 4, v27
	s_cbranch_execz .LBB329_219
	s_branch .LBB329_220
.LBB329_218:
                                        ; implicit-def: $vgpr27
.LBB329_219:
	s_sub_co_i32 s9, s3, s4
	s_delay_alu instid0(VALU_DEP_1) | instskip(SKIP_3) | instid1(VALU_DEP_2)
	v_dual_lshrrev_b32 v26, s4, v26 :: v_dual_lshrrev_b32 v27, s2, v3
	s_min_u32 s9, s9, 4
	v_lshrrev_b32_e32 v3, s4, v3
	s_lshl_b32 s9, -1, s9
	v_dual_mov_b32 v28, 1 :: v_dual_bitop2_b32 v27, s5, v27 bitop3:0x40
	v_bitop3_b32 v26, v26, s9, v26 bitop3:0x30
	s_delay_alu instid0(VALU_DEP_3) | instskip(NEXT) | instid1(VALU_DEP_3)
	v_bitop3_b32 v3, v3, s9, v3 bitop3:0x30
	v_lshl_or_b32 v27, v27, 4, v2
	s_delay_alu instid0(VALU_DEP_3)
	v_lshl_or_b32 v26, v26, 4, v2
	ds_add_u32 v26, v28 offset:256
	ds_add_u32 v27, v28
	v_lshl_add_u32 v27, v3, 4, 0x100
.LBB329_220:
	v_xor_b32_e32 v3, 0x7f, v14
	s_and_b32 vcc_lo, exec_lo, s8
	s_delay_alu instid0(VALU_DEP_2) | instskip(NEXT) | instid1(VALU_DEP_2)
	v_dual_mov_b32 v28, 1 :: v_dual_add_nc_u32 v27, v27, v2
	v_and_b32_e32 v26, 0xff, v3
	s_delay_alu instid0(VALU_DEP_1) | instskip(NEXT) | instid1(VALU_DEP_1)
	v_lshrrev_b32_e32 v3, s2, v26
	v_and_b32_e32 v3, s5, v3
	s_delay_alu instid0(VALU_DEP_1) | instskip(SKIP_3) | instid1(VALU_DEP_1)
	v_lshl_or_b32 v3, v3, 4, v2
	ds_add_u32 v27, v28
	ds_add_u32 v3, v28
	v_xor_b32_e32 v3, 0x7f, v15
	v_and_b32_e32 v3, 0xff, v3
	s_cbranch_vccz .LBB329_222
; %bb.221:
	s_delay_alu instid0(VALU_DEP_1) | instskip(NEXT) | instid1(VALU_DEP_1)
	v_lshrrev_b32_e32 v27, s2, v3
	v_and_b32_e32 v27, s5, v27
	s_delay_alu instid0(VALU_DEP_1)
	v_lshlrev_b32_e32 v27, 4, v27
	s_cbranch_execz .LBB329_223
	s_branch .LBB329_224
.LBB329_222:
                                        ; implicit-def: $vgpr27
.LBB329_223:
	s_sub_co_i32 s9, s3, s4
	s_delay_alu instid0(VALU_DEP_1) | instskip(SKIP_3) | instid1(VALU_DEP_2)
	v_dual_lshrrev_b32 v26, s4, v26 :: v_dual_lshrrev_b32 v27, s2, v3
	s_min_u32 s9, s9, 4
	v_lshrrev_b32_e32 v3, s4, v3
	s_lshl_b32 s9, -1, s9
	v_dual_mov_b32 v28, 1 :: v_dual_bitop2_b32 v27, s5, v27 bitop3:0x40
	v_bitop3_b32 v26, v26, s9, v26 bitop3:0x30
	s_delay_alu instid0(VALU_DEP_3) | instskip(NEXT) | instid1(VALU_DEP_3)
	v_bitop3_b32 v3, v3, s9, v3 bitop3:0x30
	v_lshl_or_b32 v27, v27, 4, v2
	s_delay_alu instid0(VALU_DEP_3)
	v_lshl_or_b32 v26, v26, 4, v2
	ds_add_u32 v26, v28 offset:256
	ds_add_u32 v27, v28
	v_lshl_add_u32 v27, v3, 4, 0x100
.LBB329_224:
	;; [unrolled: 43-line block ×9, first 2 shown]
	v_xor_b32_e32 v3, 0x7f, v5
	s_and_b32 vcc_lo, exec_lo, s8
	s_delay_alu instid0(VALU_DEP_2) | instskip(NEXT) | instid1(VALU_DEP_2)
	v_dual_mov_b32 v28, 1 :: v_dual_add_nc_u32 v27, v27, v2
	v_and_b32_e32 v26, 0xff, v3
	s_delay_alu instid0(VALU_DEP_1) | instskip(NEXT) | instid1(VALU_DEP_1)
	v_lshrrev_b32_e32 v3, s2, v26
	v_and_b32_e32 v3, s5, v3
	s_delay_alu instid0(VALU_DEP_1) | instskip(SKIP_3) | instid1(VALU_DEP_1)
	v_lshl_or_b32 v3, v3, 4, v2
	ds_add_u32 v27, v28
	ds_add_u32 v3, v28
	v_xor_b32_e32 v3, 0x7f, v4
	v_and_b32_e32 v3, 0xff, v3
	s_cbranch_vccz .LBB329_254
; %bb.253:
	s_delay_alu instid0(VALU_DEP_1) | instskip(NEXT) | instid1(VALU_DEP_1)
	v_lshrrev_b32_e32 v27, s2, v3
	v_and_b32_e32 v27, s5, v27
	s_delay_alu instid0(VALU_DEP_1)
	v_lshlrev_b32_e32 v27, 4, v27
	s_cbranch_execz .LBB329_255
	s_branch .LBB329_256
.LBB329_254:
                                        ; implicit-def: $vgpr27
.LBB329_255:
	s_sub_co_i32 s8, s3, s4
	s_delay_alu instid0(VALU_DEP_1)
	v_dual_lshrrev_b32 v26, s4, v26 :: v_dual_lshrrev_b32 v27, s2, v3
	s_min_u32 s8, s8, 4
	v_mov_b32_e32 v28, 1
	s_lshl_b32 s8, -1, s8
	s_delay_alu instid0(VALU_DEP_2) | instid1(SALU_CYCLE_1)
	v_bitop3_b32 v26, v26, s8, v26 bitop3:0x30
	v_and_b32_e32 v27, s5, v27
	s_delay_alu instid0(VALU_DEP_2) | instskip(NEXT) | instid1(VALU_DEP_2)
	v_lshl_or_b32 v26, v26, 4, v2
	v_lshl_or_b32 v2, v27, 4, v2
	ds_add_u32 v26, v28 offset:256
	ds_add_u32 v2, v28
	v_lshrrev_b32_e32 v2, s4, v3
	s_delay_alu instid0(VALU_DEP_1) | instskip(NEXT) | instid1(VALU_DEP_1)
	v_bitop3_b32 v2, v2, s8, v2 bitop3:0x30
	v_lshl_add_u32 v27, v2, 4, 0x100
.LBB329_256:
	s_delay_alu instid0(VALU_DEP_1)
	v_lshl_add_u32 v2, v1, 2, v27
	v_mov_b32_e32 v3, 1
	ds_add_u32 v2, v3
.LBB329_257:
	s_and_b32 vcc_lo, exec_lo, s1
	s_wait_dscnt 0x0
	s_barrier_signal -1
	s_barrier_wait -1
	s_cbranch_vccz .LBB329_262
; %bb.258:
	v_dual_mov_b32 v3, 0 :: v_dual_lshlrev_b32 v26, 4, v0
	v_mov_b32_e32 v27, v0
	v_cmp_gt_u32_e32 vcc_lo, 16, v0
	s_branch .LBB329_260
.LBB329_259:                            ;   in Loop: Header=BB329_260 Depth=1
	s_wait_xcnt 0x0
	s_or_b32 exec_lo, exec_lo, s1
	v_add_nc_u32_e32 v27, 16, v27
	v_add_nc_u32_e32 v26, 0x100, v26
	s_add_co_i32 s2, s2, 4
	s_delay_alu instid0(SALU_CYCLE_1)
	s_cmp_ge_u32 s2, s3
	s_cbranch_scc1 .LBB329_262
.LBB329_260:                            ; =>This Inner Loop Header: Depth=1
	s_and_saveexec_b32 s1, vcc_lo
	s_cbranch_execz .LBB329_259
; %bb.261:                              ;   in Loop: Header=BB329_260 Depth=1
	ds_load_2addr_b32 v[28:29], v26 offset1:1
	ds_load_2addr_b32 v[30:31], v26 offset0:2 offset1:3
	s_wait_dscnt 0x1
	v_add_nc_u32_e32 v2, v29, v28
	s_wait_dscnt 0x0
	s_delay_alu instid0(VALU_DEP_1)
	v_add3_u32 v2, v2, v30, v31
	global_atomic_add_u64 v27, v[2:3], s[6:7] scale_offset scope:SCOPE_DEV
	s_branch .LBB329_259
.LBB329_262:
	s_mov_b32 s1, 0
.LBB329_263:
	s_delay_alu instid0(SALU_CYCLE_1)
	s_and_b32 vcc_lo, exec_lo, s1
	s_cbranch_vccz .LBB329_268
; %bb.264:
	s_wait_xcnt 0x0
	s_and_saveexec_b32 s1, s0
; %bb.265:
	v_dual_mov_b32 v3, 0 :: v_dual_lshlrev_b32 v2, 2, v0
	ds_store_b32 v2, v3
; %bb.266:
	s_or_b32 exec_lo, exec_lo, s1
	s_wait_loadcnt 0x15
	v_xor_b32_e32 v2, 0x7f, v10
	s_wait_loadcnt 0x14
	v_xor_b32_e32 v3, 0x7f, v11
	;; [unrolled: 2-line block ×9, first 2 shown]
	v_dual_lshlrev_b32 v24, 4, v2 :: v_dual_lshlrev_b32 v1, 2, v1
	v_xor_b32_e32 v11, 0x7f, v13
	v_xor_b32_e32 v13, 0x7f, v15
	;; [unrolled: 1-line block ×6, first 2 shown]
	s_wait_loadcnt 0x6
	v_xor_b32_e32 v23, 0x7f, v25
	v_and_or_b32 v24, 0xf0, v24, v1
	v_dual_mov_b32 v26, 1 :: v_dual_lshlrev_b32 v25, 4, v3
	v_and_or_b32 v2, 0xf0, v2, v1
	s_wait_storecnt 0x0
	s_wait_loadcnt_dscnt 0x0
	s_barrier_signal -1
	s_barrier_wait -1
	v_and_or_b32 v25, 0xf0, v25, v1
	ds_add_u32 v24, v26
	v_lshlrev_b32_e32 v24, 4, v10
	ds_add_u32 v2, v26 offset:256
	v_and_or_b32 v2, 0xf0, v3, v1
	v_lshlrev_b32_e32 v3, 4, v11
	ds_add_u32 v25, v26
	v_and_or_b32 v24, 0xf0, v24, v1
	v_and_or_b32 v10, 0xf0, v10, v1
	ds_add_u32 v2, v26 offset:256
	v_lshlrev_b32_e32 v2, 4, v12
	v_and_or_b32 v3, 0xf0, v3, v1
	ds_add_u32 v24, v26
	ds_add_u32 v10, v26 offset:256
	v_and_or_b32 v10, 0xf0, v11, v1
	v_and_or_b32 v11, 0xf0, v12, v1
	v_xor_b32_e32 v6, 0x7f, v6
	ds_add_u32 v3, v26
	v_lshlrev_b32_e32 v3, 4, v13
	v_and_or_b32 v2, 0xf0, v2, v1
	ds_add_u32 v10, v26 offset:256
	ds_add_u32 v2, v26
	v_lshlrev_b32_e32 v2, 4, v14
	v_and_or_b32 v3, 0xf0, v3, v1
	ds_add_u32 v11, v26 offset:256
	v_and_or_b32 v10, 0xf0, v13, v1
	v_lshlrev_b32_e32 v11, 4, v15
	v_and_or_b32 v2, 0xf0, v2, v1
	ds_add_u32 v3, v26
	v_and_or_b32 v3, 0xf0, v14, v1
	ds_add_u32 v10, v26 offset:256
	v_and_or_b32 v10, 0xf0, v11, v1
	ds_add_u32 v2, v26
	v_lshlrev_b32_e32 v2, 4, v16
	ds_add_u32 v3, v26 offset:256
	v_and_or_b32 v3, 0xf0, v15, v1
	ds_add_u32 v10, v26
	v_lshlrev_b32_e32 v10, 4, v17
	v_and_or_b32 v2, 0xf0, v2, v1
	v_and_or_b32 v11, 0xf0, v16, v1
	ds_add_u32 v3, v26 offset:256
	v_lshlrev_b32_e32 v3, 4, v18
	v_and_or_b32 v10, 0xf0, v10, v1
	ds_add_u32 v2, v26
	ds_add_u32 v11, v26 offset:256
	v_and_or_b32 v2, 0xf0, v17, v1
	v_and_or_b32 v11, 0xf0, v18, v1
	v_xor_b32_e32 v7, 0x7f, v7
	ds_add_u32 v10, v26
	v_lshlrev_b32_e32 v10, 4, v19
	v_and_or_b32 v3, 0xf0, v3, v1
	ds_add_u32 v2, v26 offset:256
	ds_add_u32 v3, v26
	v_lshlrev_b32_e32 v2, 4, v20
	v_and_or_b32 v3, 0xf0, v10, v1
	ds_add_u32 v11, v26 offset:256
	v_and_or_b32 v10, 0xf0, v19, v1
	v_lshlrev_b32_e32 v11, 4, v21
	v_and_or_b32 v2, 0xf0, v2, v1
	ds_add_u32 v3, v26
	v_and_or_b32 v3, 0xf0, v20, v1
	ds_add_u32 v10, v26 offset:256
	v_and_or_b32 v10, 0xf0, v11, v1
	ds_add_u32 v2, v26
	v_lshlrev_b32_e32 v2, 4, v22
	ds_add_u32 v3, v26 offset:256
	v_and_or_b32 v3, 0xf0, v21, v1
	ds_add_u32 v10, v26
	v_lshlrev_b32_e32 v10, 4, v23
	v_and_or_b32 v2, 0xf0, v2, v1
	v_and_or_b32 v11, 0xf0, v22, v1
	ds_add_u32 v3, v26 offset:256
	v_lshlrev_b32_e32 v3, 4, v6
	v_and_or_b32 v10, 0xf0, v10, v1
	v_xor_b32_e32 v8, 0x7f, v8
	ds_add_u32 v2, v26
	ds_add_u32 v11, v26 offset:256
	v_and_or_b32 v2, 0xf0, v23, v1
	v_xor_b32_e32 v9, 0x7f, v9
	ds_add_u32 v10, v26
	v_lshlrev_b32_e32 v10, 4, v7
	v_and_or_b32 v3, 0xf0, v3, v1
	v_and_or_b32 v6, 0xf0, v6, v1
	ds_add_u32 v2, v26 offset:256
	ds_add_u32 v3, v26
	v_lshlrev_b32_e32 v2, 4, v8
	v_and_or_b32 v3, 0xf0, v10, v1
	ds_add_u32 v6, v26 offset:256
	v_and_or_b32 v6, 0xf0, v7, v1
	v_lshlrev_b32_e32 v7, 4, v9
	v_xor_b32_e32 v5, 0x7f, v5
	v_and_or_b32 v2, 0xf0, v2, v1
	v_xor_b32_e32 v4, 0x7f, v4
	ds_add_u32 v3, v26
	v_and_or_b32 v3, 0xf0, v8, v1
	ds_add_u32 v6, v26 offset:256
	v_and_or_b32 v6, 0xf0, v7, v1
	ds_add_u32 v2, v26
	v_lshlrev_b32_e32 v2, 4, v5
	ds_add_u32 v3, v26 offset:256
	v_lshlrev_b32_e32 v3, 4, v4
	ds_add_u32 v6, v26
	v_and_or_b32 v6, 0xf0, v9, v1
	v_and_or_b32 v2, 0xf0, v2, v1
	;; [unrolled: 1-line block ×5, first 2 shown]
	ds_add_u32 v6, v26 offset:256
	ds_add_u32 v2, v26
	ds_add_u32 v5, v26 offset:256
	ds_add_u32 v3, v26
	ds_add_u32 v1, v26 offset:256
	s_wait_dscnt 0x0
	s_barrier_signal -1
	s_barrier_wait -1
	s_mov_b32 s0, exec_lo
	v_cmpx_gt_u32_e32 16, v0
	s_cbranch_execz .LBB329_268
; %bb.267:
	v_lshlrev_b32_e32 v1, 4, v0
	ds_load_2addr_b32 v[2:3], v1 offset1:1
	ds_load_2addr_b32 v[4:5], v1 offset0:2 offset1:3
	s_wait_dscnt 0x1
	v_dual_mov_b32 v3, 0 :: v_dual_add_nc_u32 v2, v3, v2
	s_wait_dscnt 0x0
	s_delay_alu instid0(VALU_DEP_1)
	v_add3_u32 v2, v2, v4, v5
	global_atomic_add_u64 v0, v[2:3], s[6:7] scale_offset scope:SCOPE_DEV
	ds_load_2addr_b32 v[4:5], v1 offset0:64 offset1:65
	ds_load_2addr_b32 v[6:7], v1 offset0:66 offset1:67
	s_wait_dscnt 0x1
	v_add_nc_u32_e32 v1, v5, v4
	s_wait_dscnt 0x0
	s_wait_xcnt 0x0
	s_delay_alu instid0(VALU_DEP_1)
	v_add3_u32 v2, v1, v6, v7
	global_atomic_add_u64 v0, v[2:3], s[6:7] offset:128 scale_offset scope:SCOPE_DEV
.LBB329_268:
	s_endpgm
	.section	.rodata,"a",@progbits
	.p2align	6, 0x0
	.amdhsa_kernel _ZN7rocprim17ROCPRIM_400000_NS6detail17trampoline_kernelINS0_14default_configENS1_35radix_sort_onesweep_config_selectorIaNS0_10empty_typeEEEZNS1_34radix_sort_onesweep_global_offsetsIS3_Lb1EPKaPS5_mNS0_19identity_decomposerEEE10hipError_tT1_T2_PT3_SF_jT4_jjP12ihipStream_tbEUlT_E_NS1_11comp_targetILNS1_3genE0ELNS1_11target_archE4294967295ELNS1_3gpuE0ELNS1_3repE0EEENS1_52radix_sort_onesweep_histogram_config_static_selectorELNS0_4arch9wavefront6targetE0EEEvSD_
		.amdhsa_group_segment_fixed_size 512
		.amdhsa_private_segment_fixed_size 0
		.amdhsa_kernarg_size 48
		.amdhsa_user_sgpr_count 2
		.amdhsa_user_sgpr_dispatch_ptr 0
		.amdhsa_user_sgpr_queue_ptr 0
		.amdhsa_user_sgpr_kernarg_segment_ptr 1
		.amdhsa_user_sgpr_dispatch_id 0
		.amdhsa_user_sgpr_kernarg_preload_length 0
		.amdhsa_user_sgpr_kernarg_preload_offset 0
		.amdhsa_user_sgpr_private_segment_size 0
		.amdhsa_wavefront_size32 1
		.amdhsa_uses_dynamic_stack 0
		.amdhsa_enable_private_segment 0
		.amdhsa_system_sgpr_workgroup_id_x 1
		.amdhsa_system_sgpr_workgroup_id_y 0
		.amdhsa_system_sgpr_workgroup_id_z 0
		.amdhsa_system_sgpr_workgroup_info 0
		.amdhsa_system_vgpr_workitem_id 0
		.amdhsa_next_free_vgpr 47
		.amdhsa_next_free_sgpr 13
		.amdhsa_named_barrier_count 0
		.amdhsa_reserve_vcc 1
		.amdhsa_float_round_mode_32 0
		.amdhsa_float_round_mode_16_64 0
		.amdhsa_float_denorm_mode_32 3
		.amdhsa_float_denorm_mode_16_64 3
		.amdhsa_fp16_overflow 0
		.amdhsa_memory_ordered 1
		.amdhsa_forward_progress 1
		.amdhsa_inst_pref_size 90
		.amdhsa_round_robin_scheduling 0
		.amdhsa_exception_fp_ieee_invalid_op 0
		.amdhsa_exception_fp_denorm_src 0
		.amdhsa_exception_fp_ieee_div_zero 0
		.amdhsa_exception_fp_ieee_overflow 0
		.amdhsa_exception_fp_ieee_underflow 0
		.amdhsa_exception_fp_ieee_inexact 0
		.amdhsa_exception_int_div_zero 0
	.end_amdhsa_kernel
	.section	.text._ZN7rocprim17ROCPRIM_400000_NS6detail17trampoline_kernelINS0_14default_configENS1_35radix_sort_onesweep_config_selectorIaNS0_10empty_typeEEEZNS1_34radix_sort_onesweep_global_offsetsIS3_Lb1EPKaPS5_mNS0_19identity_decomposerEEE10hipError_tT1_T2_PT3_SF_jT4_jjP12ihipStream_tbEUlT_E_NS1_11comp_targetILNS1_3genE0ELNS1_11target_archE4294967295ELNS1_3gpuE0ELNS1_3repE0EEENS1_52radix_sort_onesweep_histogram_config_static_selectorELNS0_4arch9wavefront6targetE0EEEvSD_,"axG",@progbits,_ZN7rocprim17ROCPRIM_400000_NS6detail17trampoline_kernelINS0_14default_configENS1_35radix_sort_onesweep_config_selectorIaNS0_10empty_typeEEEZNS1_34radix_sort_onesweep_global_offsetsIS3_Lb1EPKaPS5_mNS0_19identity_decomposerEEE10hipError_tT1_T2_PT3_SF_jT4_jjP12ihipStream_tbEUlT_E_NS1_11comp_targetILNS1_3genE0ELNS1_11target_archE4294967295ELNS1_3gpuE0ELNS1_3repE0EEENS1_52radix_sort_onesweep_histogram_config_static_selectorELNS0_4arch9wavefront6targetE0EEEvSD_,comdat
.Lfunc_end329:
	.size	_ZN7rocprim17ROCPRIM_400000_NS6detail17trampoline_kernelINS0_14default_configENS1_35radix_sort_onesweep_config_selectorIaNS0_10empty_typeEEEZNS1_34radix_sort_onesweep_global_offsetsIS3_Lb1EPKaPS5_mNS0_19identity_decomposerEEE10hipError_tT1_T2_PT3_SF_jT4_jjP12ihipStream_tbEUlT_E_NS1_11comp_targetILNS1_3genE0ELNS1_11target_archE4294967295ELNS1_3gpuE0ELNS1_3repE0EEENS1_52radix_sort_onesweep_histogram_config_static_selectorELNS0_4arch9wavefront6targetE0EEEvSD_, .Lfunc_end329-_ZN7rocprim17ROCPRIM_400000_NS6detail17trampoline_kernelINS0_14default_configENS1_35radix_sort_onesweep_config_selectorIaNS0_10empty_typeEEEZNS1_34radix_sort_onesweep_global_offsetsIS3_Lb1EPKaPS5_mNS0_19identity_decomposerEEE10hipError_tT1_T2_PT3_SF_jT4_jjP12ihipStream_tbEUlT_E_NS1_11comp_targetILNS1_3genE0ELNS1_11target_archE4294967295ELNS1_3gpuE0ELNS1_3repE0EEENS1_52radix_sort_onesweep_histogram_config_static_selectorELNS0_4arch9wavefront6targetE0EEEvSD_
                                        ; -- End function
	.set _ZN7rocprim17ROCPRIM_400000_NS6detail17trampoline_kernelINS0_14default_configENS1_35radix_sort_onesweep_config_selectorIaNS0_10empty_typeEEEZNS1_34radix_sort_onesweep_global_offsetsIS3_Lb1EPKaPS5_mNS0_19identity_decomposerEEE10hipError_tT1_T2_PT3_SF_jT4_jjP12ihipStream_tbEUlT_E_NS1_11comp_targetILNS1_3genE0ELNS1_11target_archE4294967295ELNS1_3gpuE0ELNS1_3repE0EEENS1_52radix_sort_onesweep_histogram_config_static_selectorELNS0_4arch9wavefront6targetE0EEEvSD_.num_vgpr, 47
	.set _ZN7rocprim17ROCPRIM_400000_NS6detail17trampoline_kernelINS0_14default_configENS1_35radix_sort_onesweep_config_selectorIaNS0_10empty_typeEEEZNS1_34radix_sort_onesweep_global_offsetsIS3_Lb1EPKaPS5_mNS0_19identity_decomposerEEE10hipError_tT1_T2_PT3_SF_jT4_jjP12ihipStream_tbEUlT_E_NS1_11comp_targetILNS1_3genE0ELNS1_11target_archE4294967295ELNS1_3gpuE0ELNS1_3repE0EEENS1_52radix_sort_onesweep_histogram_config_static_selectorELNS0_4arch9wavefront6targetE0EEEvSD_.num_agpr, 0
	.set _ZN7rocprim17ROCPRIM_400000_NS6detail17trampoline_kernelINS0_14default_configENS1_35radix_sort_onesweep_config_selectorIaNS0_10empty_typeEEEZNS1_34radix_sort_onesweep_global_offsetsIS3_Lb1EPKaPS5_mNS0_19identity_decomposerEEE10hipError_tT1_T2_PT3_SF_jT4_jjP12ihipStream_tbEUlT_E_NS1_11comp_targetILNS1_3genE0ELNS1_11target_archE4294967295ELNS1_3gpuE0ELNS1_3repE0EEENS1_52radix_sort_onesweep_histogram_config_static_selectorELNS0_4arch9wavefront6targetE0EEEvSD_.numbered_sgpr, 13
	.set _ZN7rocprim17ROCPRIM_400000_NS6detail17trampoline_kernelINS0_14default_configENS1_35radix_sort_onesweep_config_selectorIaNS0_10empty_typeEEEZNS1_34radix_sort_onesweep_global_offsetsIS3_Lb1EPKaPS5_mNS0_19identity_decomposerEEE10hipError_tT1_T2_PT3_SF_jT4_jjP12ihipStream_tbEUlT_E_NS1_11comp_targetILNS1_3genE0ELNS1_11target_archE4294967295ELNS1_3gpuE0ELNS1_3repE0EEENS1_52radix_sort_onesweep_histogram_config_static_selectorELNS0_4arch9wavefront6targetE0EEEvSD_.num_named_barrier, 0
	.set _ZN7rocprim17ROCPRIM_400000_NS6detail17trampoline_kernelINS0_14default_configENS1_35radix_sort_onesweep_config_selectorIaNS0_10empty_typeEEEZNS1_34radix_sort_onesweep_global_offsetsIS3_Lb1EPKaPS5_mNS0_19identity_decomposerEEE10hipError_tT1_T2_PT3_SF_jT4_jjP12ihipStream_tbEUlT_E_NS1_11comp_targetILNS1_3genE0ELNS1_11target_archE4294967295ELNS1_3gpuE0ELNS1_3repE0EEENS1_52radix_sort_onesweep_histogram_config_static_selectorELNS0_4arch9wavefront6targetE0EEEvSD_.private_seg_size, 0
	.set _ZN7rocprim17ROCPRIM_400000_NS6detail17trampoline_kernelINS0_14default_configENS1_35radix_sort_onesweep_config_selectorIaNS0_10empty_typeEEEZNS1_34radix_sort_onesweep_global_offsetsIS3_Lb1EPKaPS5_mNS0_19identity_decomposerEEE10hipError_tT1_T2_PT3_SF_jT4_jjP12ihipStream_tbEUlT_E_NS1_11comp_targetILNS1_3genE0ELNS1_11target_archE4294967295ELNS1_3gpuE0ELNS1_3repE0EEENS1_52radix_sort_onesweep_histogram_config_static_selectorELNS0_4arch9wavefront6targetE0EEEvSD_.uses_vcc, 1
	.set _ZN7rocprim17ROCPRIM_400000_NS6detail17trampoline_kernelINS0_14default_configENS1_35radix_sort_onesweep_config_selectorIaNS0_10empty_typeEEEZNS1_34radix_sort_onesweep_global_offsetsIS3_Lb1EPKaPS5_mNS0_19identity_decomposerEEE10hipError_tT1_T2_PT3_SF_jT4_jjP12ihipStream_tbEUlT_E_NS1_11comp_targetILNS1_3genE0ELNS1_11target_archE4294967295ELNS1_3gpuE0ELNS1_3repE0EEENS1_52radix_sort_onesweep_histogram_config_static_selectorELNS0_4arch9wavefront6targetE0EEEvSD_.uses_flat_scratch, 0
	.set _ZN7rocprim17ROCPRIM_400000_NS6detail17trampoline_kernelINS0_14default_configENS1_35radix_sort_onesweep_config_selectorIaNS0_10empty_typeEEEZNS1_34radix_sort_onesweep_global_offsetsIS3_Lb1EPKaPS5_mNS0_19identity_decomposerEEE10hipError_tT1_T2_PT3_SF_jT4_jjP12ihipStream_tbEUlT_E_NS1_11comp_targetILNS1_3genE0ELNS1_11target_archE4294967295ELNS1_3gpuE0ELNS1_3repE0EEENS1_52radix_sort_onesweep_histogram_config_static_selectorELNS0_4arch9wavefront6targetE0EEEvSD_.has_dyn_sized_stack, 0
	.set _ZN7rocprim17ROCPRIM_400000_NS6detail17trampoline_kernelINS0_14default_configENS1_35radix_sort_onesweep_config_selectorIaNS0_10empty_typeEEEZNS1_34radix_sort_onesweep_global_offsetsIS3_Lb1EPKaPS5_mNS0_19identity_decomposerEEE10hipError_tT1_T2_PT3_SF_jT4_jjP12ihipStream_tbEUlT_E_NS1_11comp_targetILNS1_3genE0ELNS1_11target_archE4294967295ELNS1_3gpuE0ELNS1_3repE0EEENS1_52radix_sort_onesweep_histogram_config_static_selectorELNS0_4arch9wavefront6targetE0EEEvSD_.has_recursion, 0
	.set _ZN7rocprim17ROCPRIM_400000_NS6detail17trampoline_kernelINS0_14default_configENS1_35radix_sort_onesweep_config_selectorIaNS0_10empty_typeEEEZNS1_34radix_sort_onesweep_global_offsetsIS3_Lb1EPKaPS5_mNS0_19identity_decomposerEEE10hipError_tT1_T2_PT3_SF_jT4_jjP12ihipStream_tbEUlT_E_NS1_11comp_targetILNS1_3genE0ELNS1_11target_archE4294967295ELNS1_3gpuE0ELNS1_3repE0EEENS1_52radix_sort_onesweep_histogram_config_static_selectorELNS0_4arch9wavefront6targetE0EEEvSD_.has_indirect_call, 0
	.section	.AMDGPU.csdata,"",@progbits
; Kernel info:
; codeLenInByte = 11492
; TotalNumSgprs: 15
; NumVgprs: 47
; ScratchSize: 0
; MemoryBound: 0
; FloatMode: 240
; IeeeMode: 1
; LDSByteSize: 512 bytes/workgroup (compile time only)
; SGPRBlocks: 0
; VGPRBlocks: 2
; NumSGPRsForWavesPerEU: 15
; NumVGPRsForWavesPerEU: 47
; NamedBarCnt: 0
; Occupancy: 16
; WaveLimiterHint : 1
; COMPUTE_PGM_RSRC2:SCRATCH_EN: 0
; COMPUTE_PGM_RSRC2:USER_SGPR: 2
; COMPUTE_PGM_RSRC2:TRAP_HANDLER: 0
; COMPUTE_PGM_RSRC2:TGID_X_EN: 1
; COMPUTE_PGM_RSRC2:TGID_Y_EN: 0
; COMPUTE_PGM_RSRC2:TGID_Z_EN: 0
; COMPUTE_PGM_RSRC2:TIDIG_COMP_CNT: 0
	.section	.text._ZN7rocprim17ROCPRIM_400000_NS6detail17trampoline_kernelINS0_14default_configENS1_35radix_sort_onesweep_config_selectorIaNS0_10empty_typeEEEZNS1_34radix_sort_onesweep_global_offsetsIS3_Lb1EPKaPS5_mNS0_19identity_decomposerEEE10hipError_tT1_T2_PT3_SF_jT4_jjP12ihipStream_tbEUlT_E_NS1_11comp_targetILNS1_3genE6ELNS1_11target_archE950ELNS1_3gpuE13ELNS1_3repE0EEENS1_52radix_sort_onesweep_histogram_config_static_selectorELNS0_4arch9wavefront6targetE0EEEvSD_,"axG",@progbits,_ZN7rocprim17ROCPRIM_400000_NS6detail17trampoline_kernelINS0_14default_configENS1_35radix_sort_onesweep_config_selectorIaNS0_10empty_typeEEEZNS1_34radix_sort_onesweep_global_offsetsIS3_Lb1EPKaPS5_mNS0_19identity_decomposerEEE10hipError_tT1_T2_PT3_SF_jT4_jjP12ihipStream_tbEUlT_E_NS1_11comp_targetILNS1_3genE6ELNS1_11target_archE950ELNS1_3gpuE13ELNS1_3repE0EEENS1_52radix_sort_onesweep_histogram_config_static_selectorELNS0_4arch9wavefront6targetE0EEEvSD_,comdat
	.protected	_ZN7rocprim17ROCPRIM_400000_NS6detail17trampoline_kernelINS0_14default_configENS1_35radix_sort_onesweep_config_selectorIaNS0_10empty_typeEEEZNS1_34radix_sort_onesweep_global_offsetsIS3_Lb1EPKaPS5_mNS0_19identity_decomposerEEE10hipError_tT1_T2_PT3_SF_jT4_jjP12ihipStream_tbEUlT_E_NS1_11comp_targetILNS1_3genE6ELNS1_11target_archE950ELNS1_3gpuE13ELNS1_3repE0EEENS1_52radix_sort_onesweep_histogram_config_static_selectorELNS0_4arch9wavefront6targetE0EEEvSD_ ; -- Begin function _ZN7rocprim17ROCPRIM_400000_NS6detail17trampoline_kernelINS0_14default_configENS1_35radix_sort_onesweep_config_selectorIaNS0_10empty_typeEEEZNS1_34radix_sort_onesweep_global_offsetsIS3_Lb1EPKaPS5_mNS0_19identity_decomposerEEE10hipError_tT1_T2_PT3_SF_jT4_jjP12ihipStream_tbEUlT_E_NS1_11comp_targetILNS1_3genE6ELNS1_11target_archE950ELNS1_3gpuE13ELNS1_3repE0EEENS1_52radix_sort_onesweep_histogram_config_static_selectorELNS0_4arch9wavefront6targetE0EEEvSD_
	.globl	_ZN7rocprim17ROCPRIM_400000_NS6detail17trampoline_kernelINS0_14default_configENS1_35radix_sort_onesweep_config_selectorIaNS0_10empty_typeEEEZNS1_34radix_sort_onesweep_global_offsetsIS3_Lb1EPKaPS5_mNS0_19identity_decomposerEEE10hipError_tT1_T2_PT3_SF_jT4_jjP12ihipStream_tbEUlT_E_NS1_11comp_targetILNS1_3genE6ELNS1_11target_archE950ELNS1_3gpuE13ELNS1_3repE0EEENS1_52radix_sort_onesweep_histogram_config_static_selectorELNS0_4arch9wavefront6targetE0EEEvSD_
	.p2align	8
	.type	_ZN7rocprim17ROCPRIM_400000_NS6detail17trampoline_kernelINS0_14default_configENS1_35radix_sort_onesweep_config_selectorIaNS0_10empty_typeEEEZNS1_34radix_sort_onesweep_global_offsetsIS3_Lb1EPKaPS5_mNS0_19identity_decomposerEEE10hipError_tT1_T2_PT3_SF_jT4_jjP12ihipStream_tbEUlT_E_NS1_11comp_targetILNS1_3genE6ELNS1_11target_archE950ELNS1_3gpuE13ELNS1_3repE0EEENS1_52radix_sort_onesweep_histogram_config_static_selectorELNS0_4arch9wavefront6targetE0EEEvSD_,@function
_ZN7rocprim17ROCPRIM_400000_NS6detail17trampoline_kernelINS0_14default_configENS1_35radix_sort_onesweep_config_selectorIaNS0_10empty_typeEEEZNS1_34radix_sort_onesweep_global_offsetsIS3_Lb1EPKaPS5_mNS0_19identity_decomposerEEE10hipError_tT1_T2_PT3_SF_jT4_jjP12ihipStream_tbEUlT_E_NS1_11comp_targetILNS1_3genE6ELNS1_11target_archE950ELNS1_3gpuE13ELNS1_3repE0EEENS1_52radix_sort_onesweep_histogram_config_static_selectorELNS0_4arch9wavefront6targetE0EEEvSD_: ; @_ZN7rocprim17ROCPRIM_400000_NS6detail17trampoline_kernelINS0_14default_configENS1_35radix_sort_onesweep_config_selectorIaNS0_10empty_typeEEEZNS1_34radix_sort_onesweep_global_offsetsIS3_Lb1EPKaPS5_mNS0_19identity_decomposerEEE10hipError_tT1_T2_PT3_SF_jT4_jjP12ihipStream_tbEUlT_E_NS1_11comp_targetILNS1_3genE6ELNS1_11target_archE950ELNS1_3gpuE13ELNS1_3repE0EEENS1_52radix_sort_onesweep_histogram_config_static_selectorELNS0_4arch9wavefront6targetE0EEEvSD_
; %bb.0:
	.section	.rodata,"a",@progbits
	.p2align	6, 0x0
	.amdhsa_kernel _ZN7rocprim17ROCPRIM_400000_NS6detail17trampoline_kernelINS0_14default_configENS1_35radix_sort_onesweep_config_selectorIaNS0_10empty_typeEEEZNS1_34radix_sort_onesweep_global_offsetsIS3_Lb1EPKaPS5_mNS0_19identity_decomposerEEE10hipError_tT1_T2_PT3_SF_jT4_jjP12ihipStream_tbEUlT_E_NS1_11comp_targetILNS1_3genE6ELNS1_11target_archE950ELNS1_3gpuE13ELNS1_3repE0EEENS1_52radix_sort_onesweep_histogram_config_static_selectorELNS0_4arch9wavefront6targetE0EEEvSD_
		.amdhsa_group_segment_fixed_size 0
		.amdhsa_private_segment_fixed_size 0
		.amdhsa_kernarg_size 48
		.amdhsa_user_sgpr_count 2
		.amdhsa_user_sgpr_dispatch_ptr 0
		.amdhsa_user_sgpr_queue_ptr 0
		.amdhsa_user_sgpr_kernarg_segment_ptr 1
		.amdhsa_user_sgpr_dispatch_id 0
		.amdhsa_user_sgpr_kernarg_preload_length 0
		.amdhsa_user_sgpr_kernarg_preload_offset 0
		.amdhsa_user_sgpr_private_segment_size 0
		.amdhsa_wavefront_size32 1
		.amdhsa_uses_dynamic_stack 0
		.amdhsa_enable_private_segment 0
		.amdhsa_system_sgpr_workgroup_id_x 1
		.amdhsa_system_sgpr_workgroup_id_y 0
		.amdhsa_system_sgpr_workgroup_id_z 0
		.amdhsa_system_sgpr_workgroup_info 0
		.amdhsa_system_vgpr_workitem_id 0
		.amdhsa_next_free_vgpr 1
		.amdhsa_next_free_sgpr 1
		.amdhsa_named_barrier_count 0
		.amdhsa_reserve_vcc 0
		.amdhsa_float_round_mode_32 0
		.amdhsa_float_round_mode_16_64 0
		.amdhsa_float_denorm_mode_32 3
		.amdhsa_float_denorm_mode_16_64 3
		.amdhsa_fp16_overflow 0
		.amdhsa_memory_ordered 1
		.amdhsa_forward_progress 1
		.amdhsa_inst_pref_size 0
		.amdhsa_round_robin_scheduling 0
		.amdhsa_exception_fp_ieee_invalid_op 0
		.amdhsa_exception_fp_denorm_src 0
		.amdhsa_exception_fp_ieee_div_zero 0
		.amdhsa_exception_fp_ieee_overflow 0
		.amdhsa_exception_fp_ieee_underflow 0
		.amdhsa_exception_fp_ieee_inexact 0
		.amdhsa_exception_int_div_zero 0
	.end_amdhsa_kernel
	.section	.text._ZN7rocprim17ROCPRIM_400000_NS6detail17trampoline_kernelINS0_14default_configENS1_35radix_sort_onesweep_config_selectorIaNS0_10empty_typeEEEZNS1_34radix_sort_onesweep_global_offsetsIS3_Lb1EPKaPS5_mNS0_19identity_decomposerEEE10hipError_tT1_T2_PT3_SF_jT4_jjP12ihipStream_tbEUlT_E_NS1_11comp_targetILNS1_3genE6ELNS1_11target_archE950ELNS1_3gpuE13ELNS1_3repE0EEENS1_52radix_sort_onesweep_histogram_config_static_selectorELNS0_4arch9wavefront6targetE0EEEvSD_,"axG",@progbits,_ZN7rocprim17ROCPRIM_400000_NS6detail17trampoline_kernelINS0_14default_configENS1_35radix_sort_onesweep_config_selectorIaNS0_10empty_typeEEEZNS1_34radix_sort_onesweep_global_offsetsIS3_Lb1EPKaPS5_mNS0_19identity_decomposerEEE10hipError_tT1_T2_PT3_SF_jT4_jjP12ihipStream_tbEUlT_E_NS1_11comp_targetILNS1_3genE6ELNS1_11target_archE950ELNS1_3gpuE13ELNS1_3repE0EEENS1_52radix_sort_onesweep_histogram_config_static_selectorELNS0_4arch9wavefront6targetE0EEEvSD_,comdat
.Lfunc_end330:
	.size	_ZN7rocprim17ROCPRIM_400000_NS6detail17trampoline_kernelINS0_14default_configENS1_35radix_sort_onesweep_config_selectorIaNS0_10empty_typeEEEZNS1_34radix_sort_onesweep_global_offsetsIS3_Lb1EPKaPS5_mNS0_19identity_decomposerEEE10hipError_tT1_T2_PT3_SF_jT4_jjP12ihipStream_tbEUlT_E_NS1_11comp_targetILNS1_3genE6ELNS1_11target_archE950ELNS1_3gpuE13ELNS1_3repE0EEENS1_52radix_sort_onesweep_histogram_config_static_selectorELNS0_4arch9wavefront6targetE0EEEvSD_, .Lfunc_end330-_ZN7rocprim17ROCPRIM_400000_NS6detail17trampoline_kernelINS0_14default_configENS1_35radix_sort_onesweep_config_selectorIaNS0_10empty_typeEEEZNS1_34radix_sort_onesweep_global_offsetsIS3_Lb1EPKaPS5_mNS0_19identity_decomposerEEE10hipError_tT1_T2_PT3_SF_jT4_jjP12ihipStream_tbEUlT_E_NS1_11comp_targetILNS1_3genE6ELNS1_11target_archE950ELNS1_3gpuE13ELNS1_3repE0EEENS1_52radix_sort_onesweep_histogram_config_static_selectorELNS0_4arch9wavefront6targetE0EEEvSD_
                                        ; -- End function
	.set _ZN7rocprim17ROCPRIM_400000_NS6detail17trampoline_kernelINS0_14default_configENS1_35radix_sort_onesweep_config_selectorIaNS0_10empty_typeEEEZNS1_34radix_sort_onesweep_global_offsetsIS3_Lb1EPKaPS5_mNS0_19identity_decomposerEEE10hipError_tT1_T2_PT3_SF_jT4_jjP12ihipStream_tbEUlT_E_NS1_11comp_targetILNS1_3genE6ELNS1_11target_archE950ELNS1_3gpuE13ELNS1_3repE0EEENS1_52radix_sort_onesweep_histogram_config_static_selectorELNS0_4arch9wavefront6targetE0EEEvSD_.num_vgpr, 0
	.set _ZN7rocprim17ROCPRIM_400000_NS6detail17trampoline_kernelINS0_14default_configENS1_35radix_sort_onesweep_config_selectorIaNS0_10empty_typeEEEZNS1_34radix_sort_onesweep_global_offsetsIS3_Lb1EPKaPS5_mNS0_19identity_decomposerEEE10hipError_tT1_T2_PT3_SF_jT4_jjP12ihipStream_tbEUlT_E_NS1_11comp_targetILNS1_3genE6ELNS1_11target_archE950ELNS1_3gpuE13ELNS1_3repE0EEENS1_52radix_sort_onesweep_histogram_config_static_selectorELNS0_4arch9wavefront6targetE0EEEvSD_.num_agpr, 0
	.set _ZN7rocprim17ROCPRIM_400000_NS6detail17trampoline_kernelINS0_14default_configENS1_35radix_sort_onesweep_config_selectorIaNS0_10empty_typeEEEZNS1_34radix_sort_onesweep_global_offsetsIS3_Lb1EPKaPS5_mNS0_19identity_decomposerEEE10hipError_tT1_T2_PT3_SF_jT4_jjP12ihipStream_tbEUlT_E_NS1_11comp_targetILNS1_3genE6ELNS1_11target_archE950ELNS1_3gpuE13ELNS1_3repE0EEENS1_52radix_sort_onesweep_histogram_config_static_selectorELNS0_4arch9wavefront6targetE0EEEvSD_.numbered_sgpr, 0
	.set _ZN7rocprim17ROCPRIM_400000_NS6detail17trampoline_kernelINS0_14default_configENS1_35radix_sort_onesweep_config_selectorIaNS0_10empty_typeEEEZNS1_34radix_sort_onesweep_global_offsetsIS3_Lb1EPKaPS5_mNS0_19identity_decomposerEEE10hipError_tT1_T2_PT3_SF_jT4_jjP12ihipStream_tbEUlT_E_NS1_11comp_targetILNS1_3genE6ELNS1_11target_archE950ELNS1_3gpuE13ELNS1_3repE0EEENS1_52radix_sort_onesweep_histogram_config_static_selectorELNS0_4arch9wavefront6targetE0EEEvSD_.num_named_barrier, 0
	.set _ZN7rocprim17ROCPRIM_400000_NS6detail17trampoline_kernelINS0_14default_configENS1_35radix_sort_onesweep_config_selectorIaNS0_10empty_typeEEEZNS1_34radix_sort_onesweep_global_offsetsIS3_Lb1EPKaPS5_mNS0_19identity_decomposerEEE10hipError_tT1_T2_PT3_SF_jT4_jjP12ihipStream_tbEUlT_E_NS1_11comp_targetILNS1_3genE6ELNS1_11target_archE950ELNS1_3gpuE13ELNS1_3repE0EEENS1_52radix_sort_onesweep_histogram_config_static_selectorELNS0_4arch9wavefront6targetE0EEEvSD_.private_seg_size, 0
	.set _ZN7rocprim17ROCPRIM_400000_NS6detail17trampoline_kernelINS0_14default_configENS1_35radix_sort_onesweep_config_selectorIaNS0_10empty_typeEEEZNS1_34radix_sort_onesweep_global_offsetsIS3_Lb1EPKaPS5_mNS0_19identity_decomposerEEE10hipError_tT1_T2_PT3_SF_jT4_jjP12ihipStream_tbEUlT_E_NS1_11comp_targetILNS1_3genE6ELNS1_11target_archE950ELNS1_3gpuE13ELNS1_3repE0EEENS1_52radix_sort_onesweep_histogram_config_static_selectorELNS0_4arch9wavefront6targetE0EEEvSD_.uses_vcc, 0
	.set _ZN7rocprim17ROCPRIM_400000_NS6detail17trampoline_kernelINS0_14default_configENS1_35radix_sort_onesweep_config_selectorIaNS0_10empty_typeEEEZNS1_34radix_sort_onesweep_global_offsetsIS3_Lb1EPKaPS5_mNS0_19identity_decomposerEEE10hipError_tT1_T2_PT3_SF_jT4_jjP12ihipStream_tbEUlT_E_NS1_11comp_targetILNS1_3genE6ELNS1_11target_archE950ELNS1_3gpuE13ELNS1_3repE0EEENS1_52radix_sort_onesweep_histogram_config_static_selectorELNS0_4arch9wavefront6targetE0EEEvSD_.uses_flat_scratch, 0
	.set _ZN7rocprim17ROCPRIM_400000_NS6detail17trampoline_kernelINS0_14default_configENS1_35radix_sort_onesweep_config_selectorIaNS0_10empty_typeEEEZNS1_34radix_sort_onesweep_global_offsetsIS3_Lb1EPKaPS5_mNS0_19identity_decomposerEEE10hipError_tT1_T2_PT3_SF_jT4_jjP12ihipStream_tbEUlT_E_NS1_11comp_targetILNS1_3genE6ELNS1_11target_archE950ELNS1_3gpuE13ELNS1_3repE0EEENS1_52radix_sort_onesweep_histogram_config_static_selectorELNS0_4arch9wavefront6targetE0EEEvSD_.has_dyn_sized_stack, 0
	.set _ZN7rocprim17ROCPRIM_400000_NS6detail17trampoline_kernelINS0_14default_configENS1_35radix_sort_onesweep_config_selectorIaNS0_10empty_typeEEEZNS1_34radix_sort_onesweep_global_offsetsIS3_Lb1EPKaPS5_mNS0_19identity_decomposerEEE10hipError_tT1_T2_PT3_SF_jT4_jjP12ihipStream_tbEUlT_E_NS1_11comp_targetILNS1_3genE6ELNS1_11target_archE950ELNS1_3gpuE13ELNS1_3repE0EEENS1_52radix_sort_onesweep_histogram_config_static_selectorELNS0_4arch9wavefront6targetE0EEEvSD_.has_recursion, 0
	.set _ZN7rocprim17ROCPRIM_400000_NS6detail17trampoline_kernelINS0_14default_configENS1_35radix_sort_onesweep_config_selectorIaNS0_10empty_typeEEEZNS1_34radix_sort_onesweep_global_offsetsIS3_Lb1EPKaPS5_mNS0_19identity_decomposerEEE10hipError_tT1_T2_PT3_SF_jT4_jjP12ihipStream_tbEUlT_E_NS1_11comp_targetILNS1_3genE6ELNS1_11target_archE950ELNS1_3gpuE13ELNS1_3repE0EEENS1_52radix_sort_onesweep_histogram_config_static_selectorELNS0_4arch9wavefront6targetE0EEEvSD_.has_indirect_call, 0
	.section	.AMDGPU.csdata,"",@progbits
; Kernel info:
; codeLenInByte = 0
; TotalNumSgprs: 0
; NumVgprs: 0
; ScratchSize: 0
; MemoryBound: 0
; FloatMode: 240
; IeeeMode: 1
; LDSByteSize: 0 bytes/workgroup (compile time only)
; SGPRBlocks: 0
; VGPRBlocks: 0
; NumSGPRsForWavesPerEU: 1
; NumVGPRsForWavesPerEU: 1
; NamedBarCnt: 0
; Occupancy: 16
; WaveLimiterHint : 0
; COMPUTE_PGM_RSRC2:SCRATCH_EN: 0
; COMPUTE_PGM_RSRC2:USER_SGPR: 2
; COMPUTE_PGM_RSRC2:TRAP_HANDLER: 0
; COMPUTE_PGM_RSRC2:TGID_X_EN: 1
; COMPUTE_PGM_RSRC2:TGID_Y_EN: 0
; COMPUTE_PGM_RSRC2:TGID_Z_EN: 0
; COMPUTE_PGM_RSRC2:TIDIG_COMP_CNT: 0
	.section	.text._ZN7rocprim17ROCPRIM_400000_NS6detail17trampoline_kernelINS0_14default_configENS1_35radix_sort_onesweep_config_selectorIaNS0_10empty_typeEEEZNS1_34radix_sort_onesweep_global_offsetsIS3_Lb1EPKaPS5_mNS0_19identity_decomposerEEE10hipError_tT1_T2_PT3_SF_jT4_jjP12ihipStream_tbEUlT_E_NS1_11comp_targetILNS1_3genE5ELNS1_11target_archE942ELNS1_3gpuE9ELNS1_3repE0EEENS1_52radix_sort_onesweep_histogram_config_static_selectorELNS0_4arch9wavefront6targetE0EEEvSD_,"axG",@progbits,_ZN7rocprim17ROCPRIM_400000_NS6detail17trampoline_kernelINS0_14default_configENS1_35radix_sort_onesweep_config_selectorIaNS0_10empty_typeEEEZNS1_34radix_sort_onesweep_global_offsetsIS3_Lb1EPKaPS5_mNS0_19identity_decomposerEEE10hipError_tT1_T2_PT3_SF_jT4_jjP12ihipStream_tbEUlT_E_NS1_11comp_targetILNS1_3genE5ELNS1_11target_archE942ELNS1_3gpuE9ELNS1_3repE0EEENS1_52radix_sort_onesweep_histogram_config_static_selectorELNS0_4arch9wavefront6targetE0EEEvSD_,comdat
	.protected	_ZN7rocprim17ROCPRIM_400000_NS6detail17trampoline_kernelINS0_14default_configENS1_35radix_sort_onesweep_config_selectorIaNS0_10empty_typeEEEZNS1_34radix_sort_onesweep_global_offsetsIS3_Lb1EPKaPS5_mNS0_19identity_decomposerEEE10hipError_tT1_T2_PT3_SF_jT4_jjP12ihipStream_tbEUlT_E_NS1_11comp_targetILNS1_3genE5ELNS1_11target_archE942ELNS1_3gpuE9ELNS1_3repE0EEENS1_52radix_sort_onesweep_histogram_config_static_selectorELNS0_4arch9wavefront6targetE0EEEvSD_ ; -- Begin function _ZN7rocprim17ROCPRIM_400000_NS6detail17trampoline_kernelINS0_14default_configENS1_35radix_sort_onesweep_config_selectorIaNS0_10empty_typeEEEZNS1_34radix_sort_onesweep_global_offsetsIS3_Lb1EPKaPS5_mNS0_19identity_decomposerEEE10hipError_tT1_T2_PT3_SF_jT4_jjP12ihipStream_tbEUlT_E_NS1_11comp_targetILNS1_3genE5ELNS1_11target_archE942ELNS1_3gpuE9ELNS1_3repE0EEENS1_52radix_sort_onesweep_histogram_config_static_selectorELNS0_4arch9wavefront6targetE0EEEvSD_
	.globl	_ZN7rocprim17ROCPRIM_400000_NS6detail17trampoline_kernelINS0_14default_configENS1_35radix_sort_onesweep_config_selectorIaNS0_10empty_typeEEEZNS1_34radix_sort_onesweep_global_offsetsIS3_Lb1EPKaPS5_mNS0_19identity_decomposerEEE10hipError_tT1_T2_PT3_SF_jT4_jjP12ihipStream_tbEUlT_E_NS1_11comp_targetILNS1_3genE5ELNS1_11target_archE942ELNS1_3gpuE9ELNS1_3repE0EEENS1_52radix_sort_onesweep_histogram_config_static_selectorELNS0_4arch9wavefront6targetE0EEEvSD_
	.p2align	8
	.type	_ZN7rocprim17ROCPRIM_400000_NS6detail17trampoline_kernelINS0_14default_configENS1_35radix_sort_onesweep_config_selectorIaNS0_10empty_typeEEEZNS1_34radix_sort_onesweep_global_offsetsIS3_Lb1EPKaPS5_mNS0_19identity_decomposerEEE10hipError_tT1_T2_PT3_SF_jT4_jjP12ihipStream_tbEUlT_E_NS1_11comp_targetILNS1_3genE5ELNS1_11target_archE942ELNS1_3gpuE9ELNS1_3repE0EEENS1_52radix_sort_onesweep_histogram_config_static_selectorELNS0_4arch9wavefront6targetE0EEEvSD_,@function
_ZN7rocprim17ROCPRIM_400000_NS6detail17trampoline_kernelINS0_14default_configENS1_35radix_sort_onesweep_config_selectorIaNS0_10empty_typeEEEZNS1_34radix_sort_onesweep_global_offsetsIS3_Lb1EPKaPS5_mNS0_19identity_decomposerEEE10hipError_tT1_T2_PT3_SF_jT4_jjP12ihipStream_tbEUlT_E_NS1_11comp_targetILNS1_3genE5ELNS1_11target_archE942ELNS1_3gpuE9ELNS1_3repE0EEENS1_52radix_sort_onesweep_histogram_config_static_selectorELNS0_4arch9wavefront6targetE0EEEvSD_: ; @_ZN7rocprim17ROCPRIM_400000_NS6detail17trampoline_kernelINS0_14default_configENS1_35radix_sort_onesweep_config_selectorIaNS0_10empty_typeEEEZNS1_34radix_sort_onesweep_global_offsetsIS3_Lb1EPKaPS5_mNS0_19identity_decomposerEEE10hipError_tT1_T2_PT3_SF_jT4_jjP12ihipStream_tbEUlT_E_NS1_11comp_targetILNS1_3genE5ELNS1_11target_archE942ELNS1_3gpuE9ELNS1_3repE0EEENS1_52radix_sort_onesweep_histogram_config_static_selectorELNS0_4arch9wavefront6targetE0EEEvSD_
; %bb.0:
	.section	.rodata,"a",@progbits
	.p2align	6, 0x0
	.amdhsa_kernel _ZN7rocprim17ROCPRIM_400000_NS6detail17trampoline_kernelINS0_14default_configENS1_35radix_sort_onesweep_config_selectorIaNS0_10empty_typeEEEZNS1_34radix_sort_onesweep_global_offsetsIS3_Lb1EPKaPS5_mNS0_19identity_decomposerEEE10hipError_tT1_T2_PT3_SF_jT4_jjP12ihipStream_tbEUlT_E_NS1_11comp_targetILNS1_3genE5ELNS1_11target_archE942ELNS1_3gpuE9ELNS1_3repE0EEENS1_52radix_sort_onesweep_histogram_config_static_selectorELNS0_4arch9wavefront6targetE0EEEvSD_
		.amdhsa_group_segment_fixed_size 0
		.amdhsa_private_segment_fixed_size 0
		.amdhsa_kernarg_size 48
		.amdhsa_user_sgpr_count 2
		.amdhsa_user_sgpr_dispatch_ptr 0
		.amdhsa_user_sgpr_queue_ptr 0
		.amdhsa_user_sgpr_kernarg_segment_ptr 1
		.amdhsa_user_sgpr_dispatch_id 0
		.amdhsa_user_sgpr_kernarg_preload_length 0
		.amdhsa_user_sgpr_kernarg_preload_offset 0
		.amdhsa_user_sgpr_private_segment_size 0
		.amdhsa_wavefront_size32 1
		.amdhsa_uses_dynamic_stack 0
		.amdhsa_enable_private_segment 0
		.amdhsa_system_sgpr_workgroup_id_x 1
		.amdhsa_system_sgpr_workgroup_id_y 0
		.amdhsa_system_sgpr_workgroup_id_z 0
		.amdhsa_system_sgpr_workgroup_info 0
		.amdhsa_system_vgpr_workitem_id 0
		.amdhsa_next_free_vgpr 1
		.amdhsa_next_free_sgpr 1
		.amdhsa_named_barrier_count 0
		.amdhsa_reserve_vcc 0
		.amdhsa_float_round_mode_32 0
		.amdhsa_float_round_mode_16_64 0
		.amdhsa_float_denorm_mode_32 3
		.amdhsa_float_denorm_mode_16_64 3
		.amdhsa_fp16_overflow 0
		.amdhsa_memory_ordered 1
		.amdhsa_forward_progress 1
		.amdhsa_inst_pref_size 0
		.amdhsa_round_robin_scheduling 0
		.amdhsa_exception_fp_ieee_invalid_op 0
		.amdhsa_exception_fp_denorm_src 0
		.amdhsa_exception_fp_ieee_div_zero 0
		.amdhsa_exception_fp_ieee_overflow 0
		.amdhsa_exception_fp_ieee_underflow 0
		.amdhsa_exception_fp_ieee_inexact 0
		.amdhsa_exception_int_div_zero 0
	.end_amdhsa_kernel
	.section	.text._ZN7rocprim17ROCPRIM_400000_NS6detail17trampoline_kernelINS0_14default_configENS1_35radix_sort_onesweep_config_selectorIaNS0_10empty_typeEEEZNS1_34radix_sort_onesweep_global_offsetsIS3_Lb1EPKaPS5_mNS0_19identity_decomposerEEE10hipError_tT1_T2_PT3_SF_jT4_jjP12ihipStream_tbEUlT_E_NS1_11comp_targetILNS1_3genE5ELNS1_11target_archE942ELNS1_3gpuE9ELNS1_3repE0EEENS1_52radix_sort_onesweep_histogram_config_static_selectorELNS0_4arch9wavefront6targetE0EEEvSD_,"axG",@progbits,_ZN7rocprim17ROCPRIM_400000_NS6detail17trampoline_kernelINS0_14default_configENS1_35radix_sort_onesweep_config_selectorIaNS0_10empty_typeEEEZNS1_34radix_sort_onesweep_global_offsetsIS3_Lb1EPKaPS5_mNS0_19identity_decomposerEEE10hipError_tT1_T2_PT3_SF_jT4_jjP12ihipStream_tbEUlT_E_NS1_11comp_targetILNS1_3genE5ELNS1_11target_archE942ELNS1_3gpuE9ELNS1_3repE0EEENS1_52radix_sort_onesweep_histogram_config_static_selectorELNS0_4arch9wavefront6targetE0EEEvSD_,comdat
.Lfunc_end331:
	.size	_ZN7rocprim17ROCPRIM_400000_NS6detail17trampoline_kernelINS0_14default_configENS1_35radix_sort_onesweep_config_selectorIaNS0_10empty_typeEEEZNS1_34radix_sort_onesweep_global_offsetsIS3_Lb1EPKaPS5_mNS0_19identity_decomposerEEE10hipError_tT1_T2_PT3_SF_jT4_jjP12ihipStream_tbEUlT_E_NS1_11comp_targetILNS1_3genE5ELNS1_11target_archE942ELNS1_3gpuE9ELNS1_3repE0EEENS1_52radix_sort_onesweep_histogram_config_static_selectorELNS0_4arch9wavefront6targetE0EEEvSD_, .Lfunc_end331-_ZN7rocprim17ROCPRIM_400000_NS6detail17trampoline_kernelINS0_14default_configENS1_35radix_sort_onesweep_config_selectorIaNS0_10empty_typeEEEZNS1_34radix_sort_onesweep_global_offsetsIS3_Lb1EPKaPS5_mNS0_19identity_decomposerEEE10hipError_tT1_T2_PT3_SF_jT4_jjP12ihipStream_tbEUlT_E_NS1_11comp_targetILNS1_3genE5ELNS1_11target_archE942ELNS1_3gpuE9ELNS1_3repE0EEENS1_52radix_sort_onesweep_histogram_config_static_selectorELNS0_4arch9wavefront6targetE0EEEvSD_
                                        ; -- End function
	.set _ZN7rocprim17ROCPRIM_400000_NS6detail17trampoline_kernelINS0_14default_configENS1_35radix_sort_onesweep_config_selectorIaNS0_10empty_typeEEEZNS1_34radix_sort_onesweep_global_offsetsIS3_Lb1EPKaPS5_mNS0_19identity_decomposerEEE10hipError_tT1_T2_PT3_SF_jT4_jjP12ihipStream_tbEUlT_E_NS1_11comp_targetILNS1_3genE5ELNS1_11target_archE942ELNS1_3gpuE9ELNS1_3repE0EEENS1_52radix_sort_onesweep_histogram_config_static_selectorELNS0_4arch9wavefront6targetE0EEEvSD_.num_vgpr, 0
	.set _ZN7rocprim17ROCPRIM_400000_NS6detail17trampoline_kernelINS0_14default_configENS1_35radix_sort_onesweep_config_selectorIaNS0_10empty_typeEEEZNS1_34radix_sort_onesweep_global_offsetsIS3_Lb1EPKaPS5_mNS0_19identity_decomposerEEE10hipError_tT1_T2_PT3_SF_jT4_jjP12ihipStream_tbEUlT_E_NS1_11comp_targetILNS1_3genE5ELNS1_11target_archE942ELNS1_3gpuE9ELNS1_3repE0EEENS1_52radix_sort_onesweep_histogram_config_static_selectorELNS0_4arch9wavefront6targetE0EEEvSD_.num_agpr, 0
	.set _ZN7rocprim17ROCPRIM_400000_NS6detail17trampoline_kernelINS0_14default_configENS1_35radix_sort_onesweep_config_selectorIaNS0_10empty_typeEEEZNS1_34radix_sort_onesweep_global_offsetsIS3_Lb1EPKaPS5_mNS0_19identity_decomposerEEE10hipError_tT1_T2_PT3_SF_jT4_jjP12ihipStream_tbEUlT_E_NS1_11comp_targetILNS1_3genE5ELNS1_11target_archE942ELNS1_3gpuE9ELNS1_3repE0EEENS1_52radix_sort_onesweep_histogram_config_static_selectorELNS0_4arch9wavefront6targetE0EEEvSD_.numbered_sgpr, 0
	.set _ZN7rocprim17ROCPRIM_400000_NS6detail17trampoline_kernelINS0_14default_configENS1_35radix_sort_onesweep_config_selectorIaNS0_10empty_typeEEEZNS1_34radix_sort_onesweep_global_offsetsIS3_Lb1EPKaPS5_mNS0_19identity_decomposerEEE10hipError_tT1_T2_PT3_SF_jT4_jjP12ihipStream_tbEUlT_E_NS1_11comp_targetILNS1_3genE5ELNS1_11target_archE942ELNS1_3gpuE9ELNS1_3repE0EEENS1_52radix_sort_onesweep_histogram_config_static_selectorELNS0_4arch9wavefront6targetE0EEEvSD_.num_named_barrier, 0
	.set _ZN7rocprim17ROCPRIM_400000_NS6detail17trampoline_kernelINS0_14default_configENS1_35radix_sort_onesweep_config_selectorIaNS0_10empty_typeEEEZNS1_34radix_sort_onesweep_global_offsetsIS3_Lb1EPKaPS5_mNS0_19identity_decomposerEEE10hipError_tT1_T2_PT3_SF_jT4_jjP12ihipStream_tbEUlT_E_NS1_11comp_targetILNS1_3genE5ELNS1_11target_archE942ELNS1_3gpuE9ELNS1_3repE0EEENS1_52radix_sort_onesweep_histogram_config_static_selectorELNS0_4arch9wavefront6targetE0EEEvSD_.private_seg_size, 0
	.set _ZN7rocprim17ROCPRIM_400000_NS6detail17trampoline_kernelINS0_14default_configENS1_35radix_sort_onesweep_config_selectorIaNS0_10empty_typeEEEZNS1_34radix_sort_onesweep_global_offsetsIS3_Lb1EPKaPS5_mNS0_19identity_decomposerEEE10hipError_tT1_T2_PT3_SF_jT4_jjP12ihipStream_tbEUlT_E_NS1_11comp_targetILNS1_3genE5ELNS1_11target_archE942ELNS1_3gpuE9ELNS1_3repE0EEENS1_52radix_sort_onesweep_histogram_config_static_selectorELNS0_4arch9wavefront6targetE0EEEvSD_.uses_vcc, 0
	.set _ZN7rocprim17ROCPRIM_400000_NS6detail17trampoline_kernelINS0_14default_configENS1_35radix_sort_onesweep_config_selectorIaNS0_10empty_typeEEEZNS1_34radix_sort_onesweep_global_offsetsIS3_Lb1EPKaPS5_mNS0_19identity_decomposerEEE10hipError_tT1_T2_PT3_SF_jT4_jjP12ihipStream_tbEUlT_E_NS1_11comp_targetILNS1_3genE5ELNS1_11target_archE942ELNS1_3gpuE9ELNS1_3repE0EEENS1_52radix_sort_onesweep_histogram_config_static_selectorELNS0_4arch9wavefront6targetE0EEEvSD_.uses_flat_scratch, 0
	.set _ZN7rocprim17ROCPRIM_400000_NS6detail17trampoline_kernelINS0_14default_configENS1_35radix_sort_onesweep_config_selectorIaNS0_10empty_typeEEEZNS1_34radix_sort_onesweep_global_offsetsIS3_Lb1EPKaPS5_mNS0_19identity_decomposerEEE10hipError_tT1_T2_PT3_SF_jT4_jjP12ihipStream_tbEUlT_E_NS1_11comp_targetILNS1_3genE5ELNS1_11target_archE942ELNS1_3gpuE9ELNS1_3repE0EEENS1_52radix_sort_onesweep_histogram_config_static_selectorELNS0_4arch9wavefront6targetE0EEEvSD_.has_dyn_sized_stack, 0
	.set _ZN7rocprim17ROCPRIM_400000_NS6detail17trampoline_kernelINS0_14default_configENS1_35radix_sort_onesweep_config_selectorIaNS0_10empty_typeEEEZNS1_34radix_sort_onesweep_global_offsetsIS3_Lb1EPKaPS5_mNS0_19identity_decomposerEEE10hipError_tT1_T2_PT3_SF_jT4_jjP12ihipStream_tbEUlT_E_NS1_11comp_targetILNS1_3genE5ELNS1_11target_archE942ELNS1_3gpuE9ELNS1_3repE0EEENS1_52radix_sort_onesweep_histogram_config_static_selectorELNS0_4arch9wavefront6targetE0EEEvSD_.has_recursion, 0
	.set _ZN7rocprim17ROCPRIM_400000_NS6detail17trampoline_kernelINS0_14default_configENS1_35radix_sort_onesweep_config_selectorIaNS0_10empty_typeEEEZNS1_34radix_sort_onesweep_global_offsetsIS3_Lb1EPKaPS5_mNS0_19identity_decomposerEEE10hipError_tT1_T2_PT3_SF_jT4_jjP12ihipStream_tbEUlT_E_NS1_11comp_targetILNS1_3genE5ELNS1_11target_archE942ELNS1_3gpuE9ELNS1_3repE0EEENS1_52radix_sort_onesweep_histogram_config_static_selectorELNS0_4arch9wavefront6targetE0EEEvSD_.has_indirect_call, 0
	.section	.AMDGPU.csdata,"",@progbits
; Kernel info:
; codeLenInByte = 0
; TotalNumSgprs: 0
; NumVgprs: 0
; ScratchSize: 0
; MemoryBound: 0
; FloatMode: 240
; IeeeMode: 1
; LDSByteSize: 0 bytes/workgroup (compile time only)
; SGPRBlocks: 0
; VGPRBlocks: 0
; NumSGPRsForWavesPerEU: 1
; NumVGPRsForWavesPerEU: 1
; NamedBarCnt: 0
; Occupancy: 16
; WaveLimiterHint : 0
; COMPUTE_PGM_RSRC2:SCRATCH_EN: 0
; COMPUTE_PGM_RSRC2:USER_SGPR: 2
; COMPUTE_PGM_RSRC2:TRAP_HANDLER: 0
; COMPUTE_PGM_RSRC2:TGID_X_EN: 1
; COMPUTE_PGM_RSRC2:TGID_Y_EN: 0
; COMPUTE_PGM_RSRC2:TGID_Z_EN: 0
; COMPUTE_PGM_RSRC2:TIDIG_COMP_CNT: 0
	.section	.text._ZN7rocprim17ROCPRIM_400000_NS6detail17trampoline_kernelINS0_14default_configENS1_35radix_sort_onesweep_config_selectorIaNS0_10empty_typeEEEZNS1_34radix_sort_onesweep_global_offsetsIS3_Lb1EPKaPS5_mNS0_19identity_decomposerEEE10hipError_tT1_T2_PT3_SF_jT4_jjP12ihipStream_tbEUlT_E_NS1_11comp_targetILNS1_3genE2ELNS1_11target_archE906ELNS1_3gpuE6ELNS1_3repE0EEENS1_52radix_sort_onesweep_histogram_config_static_selectorELNS0_4arch9wavefront6targetE0EEEvSD_,"axG",@progbits,_ZN7rocprim17ROCPRIM_400000_NS6detail17trampoline_kernelINS0_14default_configENS1_35radix_sort_onesweep_config_selectorIaNS0_10empty_typeEEEZNS1_34radix_sort_onesweep_global_offsetsIS3_Lb1EPKaPS5_mNS0_19identity_decomposerEEE10hipError_tT1_T2_PT3_SF_jT4_jjP12ihipStream_tbEUlT_E_NS1_11comp_targetILNS1_3genE2ELNS1_11target_archE906ELNS1_3gpuE6ELNS1_3repE0EEENS1_52radix_sort_onesweep_histogram_config_static_selectorELNS0_4arch9wavefront6targetE0EEEvSD_,comdat
	.protected	_ZN7rocprim17ROCPRIM_400000_NS6detail17trampoline_kernelINS0_14default_configENS1_35radix_sort_onesweep_config_selectorIaNS0_10empty_typeEEEZNS1_34radix_sort_onesweep_global_offsetsIS3_Lb1EPKaPS5_mNS0_19identity_decomposerEEE10hipError_tT1_T2_PT3_SF_jT4_jjP12ihipStream_tbEUlT_E_NS1_11comp_targetILNS1_3genE2ELNS1_11target_archE906ELNS1_3gpuE6ELNS1_3repE0EEENS1_52radix_sort_onesweep_histogram_config_static_selectorELNS0_4arch9wavefront6targetE0EEEvSD_ ; -- Begin function _ZN7rocprim17ROCPRIM_400000_NS6detail17trampoline_kernelINS0_14default_configENS1_35radix_sort_onesweep_config_selectorIaNS0_10empty_typeEEEZNS1_34radix_sort_onesweep_global_offsetsIS3_Lb1EPKaPS5_mNS0_19identity_decomposerEEE10hipError_tT1_T2_PT3_SF_jT4_jjP12ihipStream_tbEUlT_E_NS1_11comp_targetILNS1_3genE2ELNS1_11target_archE906ELNS1_3gpuE6ELNS1_3repE0EEENS1_52radix_sort_onesweep_histogram_config_static_selectorELNS0_4arch9wavefront6targetE0EEEvSD_
	.globl	_ZN7rocprim17ROCPRIM_400000_NS6detail17trampoline_kernelINS0_14default_configENS1_35radix_sort_onesweep_config_selectorIaNS0_10empty_typeEEEZNS1_34radix_sort_onesweep_global_offsetsIS3_Lb1EPKaPS5_mNS0_19identity_decomposerEEE10hipError_tT1_T2_PT3_SF_jT4_jjP12ihipStream_tbEUlT_E_NS1_11comp_targetILNS1_3genE2ELNS1_11target_archE906ELNS1_3gpuE6ELNS1_3repE0EEENS1_52radix_sort_onesweep_histogram_config_static_selectorELNS0_4arch9wavefront6targetE0EEEvSD_
	.p2align	8
	.type	_ZN7rocprim17ROCPRIM_400000_NS6detail17trampoline_kernelINS0_14default_configENS1_35radix_sort_onesweep_config_selectorIaNS0_10empty_typeEEEZNS1_34radix_sort_onesweep_global_offsetsIS3_Lb1EPKaPS5_mNS0_19identity_decomposerEEE10hipError_tT1_T2_PT3_SF_jT4_jjP12ihipStream_tbEUlT_E_NS1_11comp_targetILNS1_3genE2ELNS1_11target_archE906ELNS1_3gpuE6ELNS1_3repE0EEENS1_52radix_sort_onesweep_histogram_config_static_selectorELNS0_4arch9wavefront6targetE0EEEvSD_,@function
_ZN7rocprim17ROCPRIM_400000_NS6detail17trampoline_kernelINS0_14default_configENS1_35radix_sort_onesweep_config_selectorIaNS0_10empty_typeEEEZNS1_34radix_sort_onesweep_global_offsetsIS3_Lb1EPKaPS5_mNS0_19identity_decomposerEEE10hipError_tT1_T2_PT3_SF_jT4_jjP12ihipStream_tbEUlT_E_NS1_11comp_targetILNS1_3genE2ELNS1_11target_archE906ELNS1_3gpuE6ELNS1_3repE0EEENS1_52radix_sort_onesweep_histogram_config_static_selectorELNS0_4arch9wavefront6targetE0EEEvSD_: ; @_ZN7rocprim17ROCPRIM_400000_NS6detail17trampoline_kernelINS0_14default_configENS1_35radix_sort_onesweep_config_selectorIaNS0_10empty_typeEEEZNS1_34radix_sort_onesweep_global_offsetsIS3_Lb1EPKaPS5_mNS0_19identity_decomposerEEE10hipError_tT1_T2_PT3_SF_jT4_jjP12ihipStream_tbEUlT_E_NS1_11comp_targetILNS1_3genE2ELNS1_11target_archE906ELNS1_3gpuE6ELNS1_3repE0EEENS1_52radix_sort_onesweep_histogram_config_static_selectorELNS0_4arch9wavefront6targetE0EEEvSD_
; %bb.0:
	.section	.rodata,"a",@progbits
	.p2align	6, 0x0
	.amdhsa_kernel _ZN7rocprim17ROCPRIM_400000_NS6detail17trampoline_kernelINS0_14default_configENS1_35radix_sort_onesweep_config_selectorIaNS0_10empty_typeEEEZNS1_34radix_sort_onesweep_global_offsetsIS3_Lb1EPKaPS5_mNS0_19identity_decomposerEEE10hipError_tT1_T2_PT3_SF_jT4_jjP12ihipStream_tbEUlT_E_NS1_11comp_targetILNS1_3genE2ELNS1_11target_archE906ELNS1_3gpuE6ELNS1_3repE0EEENS1_52radix_sort_onesweep_histogram_config_static_selectorELNS0_4arch9wavefront6targetE0EEEvSD_
		.amdhsa_group_segment_fixed_size 0
		.amdhsa_private_segment_fixed_size 0
		.amdhsa_kernarg_size 48
		.amdhsa_user_sgpr_count 2
		.amdhsa_user_sgpr_dispatch_ptr 0
		.amdhsa_user_sgpr_queue_ptr 0
		.amdhsa_user_sgpr_kernarg_segment_ptr 1
		.amdhsa_user_sgpr_dispatch_id 0
		.amdhsa_user_sgpr_kernarg_preload_length 0
		.amdhsa_user_sgpr_kernarg_preload_offset 0
		.amdhsa_user_sgpr_private_segment_size 0
		.amdhsa_wavefront_size32 1
		.amdhsa_uses_dynamic_stack 0
		.amdhsa_enable_private_segment 0
		.amdhsa_system_sgpr_workgroup_id_x 1
		.amdhsa_system_sgpr_workgroup_id_y 0
		.amdhsa_system_sgpr_workgroup_id_z 0
		.amdhsa_system_sgpr_workgroup_info 0
		.amdhsa_system_vgpr_workitem_id 0
		.amdhsa_next_free_vgpr 1
		.amdhsa_next_free_sgpr 1
		.amdhsa_named_barrier_count 0
		.amdhsa_reserve_vcc 0
		.amdhsa_float_round_mode_32 0
		.amdhsa_float_round_mode_16_64 0
		.amdhsa_float_denorm_mode_32 3
		.amdhsa_float_denorm_mode_16_64 3
		.amdhsa_fp16_overflow 0
		.amdhsa_memory_ordered 1
		.amdhsa_forward_progress 1
		.amdhsa_inst_pref_size 0
		.amdhsa_round_robin_scheduling 0
		.amdhsa_exception_fp_ieee_invalid_op 0
		.amdhsa_exception_fp_denorm_src 0
		.amdhsa_exception_fp_ieee_div_zero 0
		.amdhsa_exception_fp_ieee_overflow 0
		.amdhsa_exception_fp_ieee_underflow 0
		.amdhsa_exception_fp_ieee_inexact 0
		.amdhsa_exception_int_div_zero 0
	.end_amdhsa_kernel
	.section	.text._ZN7rocprim17ROCPRIM_400000_NS6detail17trampoline_kernelINS0_14default_configENS1_35radix_sort_onesweep_config_selectorIaNS0_10empty_typeEEEZNS1_34radix_sort_onesweep_global_offsetsIS3_Lb1EPKaPS5_mNS0_19identity_decomposerEEE10hipError_tT1_T2_PT3_SF_jT4_jjP12ihipStream_tbEUlT_E_NS1_11comp_targetILNS1_3genE2ELNS1_11target_archE906ELNS1_3gpuE6ELNS1_3repE0EEENS1_52radix_sort_onesweep_histogram_config_static_selectorELNS0_4arch9wavefront6targetE0EEEvSD_,"axG",@progbits,_ZN7rocprim17ROCPRIM_400000_NS6detail17trampoline_kernelINS0_14default_configENS1_35radix_sort_onesweep_config_selectorIaNS0_10empty_typeEEEZNS1_34radix_sort_onesweep_global_offsetsIS3_Lb1EPKaPS5_mNS0_19identity_decomposerEEE10hipError_tT1_T2_PT3_SF_jT4_jjP12ihipStream_tbEUlT_E_NS1_11comp_targetILNS1_3genE2ELNS1_11target_archE906ELNS1_3gpuE6ELNS1_3repE0EEENS1_52radix_sort_onesweep_histogram_config_static_selectorELNS0_4arch9wavefront6targetE0EEEvSD_,comdat
.Lfunc_end332:
	.size	_ZN7rocprim17ROCPRIM_400000_NS6detail17trampoline_kernelINS0_14default_configENS1_35radix_sort_onesweep_config_selectorIaNS0_10empty_typeEEEZNS1_34radix_sort_onesweep_global_offsetsIS3_Lb1EPKaPS5_mNS0_19identity_decomposerEEE10hipError_tT1_T2_PT3_SF_jT4_jjP12ihipStream_tbEUlT_E_NS1_11comp_targetILNS1_3genE2ELNS1_11target_archE906ELNS1_3gpuE6ELNS1_3repE0EEENS1_52radix_sort_onesweep_histogram_config_static_selectorELNS0_4arch9wavefront6targetE0EEEvSD_, .Lfunc_end332-_ZN7rocprim17ROCPRIM_400000_NS6detail17trampoline_kernelINS0_14default_configENS1_35radix_sort_onesweep_config_selectorIaNS0_10empty_typeEEEZNS1_34radix_sort_onesweep_global_offsetsIS3_Lb1EPKaPS5_mNS0_19identity_decomposerEEE10hipError_tT1_T2_PT3_SF_jT4_jjP12ihipStream_tbEUlT_E_NS1_11comp_targetILNS1_3genE2ELNS1_11target_archE906ELNS1_3gpuE6ELNS1_3repE0EEENS1_52radix_sort_onesweep_histogram_config_static_selectorELNS0_4arch9wavefront6targetE0EEEvSD_
                                        ; -- End function
	.set _ZN7rocprim17ROCPRIM_400000_NS6detail17trampoline_kernelINS0_14default_configENS1_35radix_sort_onesweep_config_selectorIaNS0_10empty_typeEEEZNS1_34radix_sort_onesweep_global_offsetsIS3_Lb1EPKaPS5_mNS0_19identity_decomposerEEE10hipError_tT1_T2_PT3_SF_jT4_jjP12ihipStream_tbEUlT_E_NS1_11comp_targetILNS1_3genE2ELNS1_11target_archE906ELNS1_3gpuE6ELNS1_3repE0EEENS1_52radix_sort_onesweep_histogram_config_static_selectorELNS0_4arch9wavefront6targetE0EEEvSD_.num_vgpr, 0
	.set _ZN7rocprim17ROCPRIM_400000_NS6detail17trampoline_kernelINS0_14default_configENS1_35radix_sort_onesweep_config_selectorIaNS0_10empty_typeEEEZNS1_34radix_sort_onesweep_global_offsetsIS3_Lb1EPKaPS5_mNS0_19identity_decomposerEEE10hipError_tT1_T2_PT3_SF_jT4_jjP12ihipStream_tbEUlT_E_NS1_11comp_targetILNS1_3genE2ELNS1_11target_archE906ELNS1_3gpuE6ELNS1_3repE0EEENS1_52radix_sort_onesweep_histogram_config_static_selectorELNS0_4arch9wavefront6targetE0EEEvSD_.num_agpr, 0
	.set _ZN7rocprim17ROCPRIM_400000_NS6detail17trampoline_kernelINS0_14default_configENS1_35radix_sort_onesweep_config_selectorIaNS0_10empty_typeEEEZNS1_34radix_sort_onesweep_global_offsetsIS3_Lb1EPKaPS5_mNS0_19identity_decomposerEEE10hipError_tT1_T2_PT3_SF_jT4_jjP12ihipStream_tbEUlT_E_NS1_11comp_targetILNS1_3genE2ELNS1_11target_archE906ELNS1_3gpuE6ELNS1_3repE0EEENS1_52radix_sort_onesweep_histogram_config_static_selectorELNS0_4arch9wavefront6targetE0EEEvSD_.numbered_sgpr, 0
	.set _ZN7rocprim17ROCPRIM_400000_NS6detail17trampoline_kernelINS0_14default_configENS1_35radix_sort_onesweep_config_selectorIaNS0_10empty_typeEEEZNS1_34radix_sort_onesweep_global_offsetsIS3_Lb1EPKaPS5_mNS0_19identity_decomposerEEE10hipError_tT1_T2_PT3_SF_jT4_jjP12ihipStream_tbEUlT_E_NS1_11comp_targetILNS1_3genE2ELNS1_11target_archE906ELNS1_3gpuE6ELNS1_3repE0EEENS1_52radix_sort_onesweep_histogram_config_static_selectorELNS0_4arch9wavefront6targetE0EEEvSD_.num_named_barrier, 0
	.set _ZN7rocprim17ROCPRIM_400000_NS6detail17trampoline_kernelINS0_14default_configENS1_35radix_sort_onesweep_config_selectorIaNS0_10empty_typeEEEZNS1_34radix_sort_onesweep_global_offsetsIS3_Lb1EPKaPS5_mNS0_19identity_decomposerEEE10hipError_tT1_T2_PT3_SF_jT4_jjP12ihipStream_tbEUlT_E_NS1_11comp_targetILNS1_3genE2ELNS1_11target_archE906ELNS1_3gpuE6ELNS1_3repE0EEENS1_52radix_sort_onesweep_histogram_config_static_selectorELNS0_4arch9wavefront6targetE0EEEvSD_.private_seg_size, 0
	.set _ZN7rocprim17ROCPRIM_400000_NS6detail17trampoline_kernelINS0_14default_configENS1_35radix_sort_onesweep_config_selectorIaNS0_10empty_typeEEEZNS1_34radix_sort_onesweep_global_offsetsIS3_Lb1EPKaPS5_mNS0_19identity_decomposerEEE10hipError_tT1_T2_PT3_SF_jT4_jjP12ihipStream_tbEUlT_E_NS1_11comp_targetILNS1_3genE2ELNS1_11target_archE906ELNS1_3gpuE6ELNS1_3repE0EEENS1_52radix_sort_onesweep_histogram_config_static_selectorELNS0_4arch9wavefront6targetE0EEEvSD_.uses_vcc, 0
	.set _ZN7rocprim17ROCPRIM_400000_NS6detail17trampoline_kernelINS0_14default_configENS1_35radix_sort_onesweep_config_selectorIaNS0_10empty_typeEEEZNS1_34radix_sort_onesweep_global_offsetsIS3_Lb1EPKaPS5_mNS0_19identity_decomposerEEE10hipError_tT1_T2_PT3_SF_jT4_jjP12ihipStream_tbEUlT_E_NS1_11comp_targetILNS1_3genE2ELNS1_11target_archE906ELNS1_3gpuE6ELNS1_3repE0EEENS1_52radix_sort_onesweep_histogram_config_static_selectorELNS0_4arch9wavefront6targetE0EEEvSD_.uses_flat_scratch, 0
	.set _ZN7rocprim17ROCPRIM_400000_NS6detail17trampoline_kernelINS0_14default_configENS1_35radix_sort_onesweep_config_selectorIaNS0_10empty_typeEEEZNS1_34radix_sort_onesweep_global_offsetsIS3_Lb1EPKaPS5_mNS0_19identity_decomposerEEE10hipError_tT1_T2_PT3_SF_jT4_jjP12ihipStream_tbEUlT_E_NS1_11comp_targetILNS1_3genE2ELNS1_11target_archE906ELNS1_3gpuE6ELNS1_3repE0EEENS1_52radix_sort_onesweep_histogram_config_static_selectorELNS0_4arch9wavefront6targetE0EEEvSD_.has_dyn_sized_stack, 0
	.set _ZN7rocprim17ROCPRIM_400000_NS6detail17trampoline_kernelINS0_14default_configENS1_35radix_sort_onesweep_config_selectorIaNS0_10empty_typeEEEZNS1_34radix_sort_onesweep_global_offsetsIS3_Lb1EPKaPS5_mNS0_19identity_decomposerEEE10hipError_tT1_T2_PT3_SF_jT4_jjP12ihipStream_tbEUlT_E_NS1_11comp_targetILNS1_3genE2ELNS1_11target_archE906ELNS1_3gpuE6ELNS1_3repE0EEENS1_52radix_sort_onesweep_histogram_config_static_selectorELNS0_4arch9wavefront6targetE0EEEvSD_.has_recursion, 0
	.set _ZN7rocprim17ROCPRIM_400000_NS6detail17trampoline_kernelINS0_14default_configENS1_35radix_sort_onesweep_config_selectorIaNS0_10empty_typeEEEZNS1_34radix_sort_onesweep_global_offsetsIS3_Lb1EPKaPS5_mNS0_19identity_decomposerEEE10hipError_tT1_T2_PT3_SF_jT4_jjP12ihipStream_tbEUlT_E_NS1_11comp_targetILNS1_3genE2ELNS1_11target_archE906ELNS1_3gpuE6ELNS1_3repE0EEENS1_52radix_sort_onesweep_histogram_config_static_selectorELNS0_4arch9wavefront6targetE0EEEvSD_.has_indirect_call, 0
	.section	.AMDGPU.csdata,"",@progbits
; Kernel info:
; codeLenInByte = 0
; TotalNumSgprs: 0
; NumVgprs: 0
; ScratchSize: 0
; MemoryBound: 0
; FloatMode: 240
; IeeeMode: 1
; LDSByteSize: 0 bytes/workgroup (compile time only)
; SGPRBlocks: 0
; VGPRBlocks: 0
; NumSGPRsForWavesPerEU: 1
; NumVGPRsForWavesPerEU: 1
; NamedBarCnt: 0
; Occupancy: 16
; WaveLimiterHint : 0
; COMPUTE_PGM_RSRC2:SCRATCH_EN: 0
; COMPUTE_PGM_RSRC2:USER_SGPR: 2
; COMPUTE_PGM_RSRC2:TRAP_HANDLER: 0
; COMPUTE_PGM_RSRC2:TGID_X_EN: 1
; COMPUTE_PGM_RSRC2:TGID_Y_EN: 0
; COMPUTE_PGM_RSRC2:TGID_Z_EN: 0
; COMPUTE_PGM_RSRC2:TIDIG_COMP_CNT: 0
	.section	.text._ZN7rocprim17ROCPRIM_400000_NS6detail17trampoline_kernelINS0_14default_configENS1_35radix_sort_onesweep_config_selectorIaNS0_10empty_typeEEEZNS1_34radix_sort_onesweep_global_offsetsIS3_Lb1EPKaPS5_mNS0_19identity_decomposerEEE10hipError_tT1_T2_PT3_SF_jT4_jjP12ihipStream_tbEUlT_E_NS1_11comp_targetILNS1_3genE4ELNS1_11target_archE910ELNS1_3gpuE8ELNS1_3repE0EEENS1_52radix_sort_onesweep_histogram_config_static_selectorELNS0_4arch9wavefront6targetE0EEEvSD_,"axG",@progbits,_ZN7rocprim17ROCPRIM_400000_NS6detail17trampoline_kernelINS0_14default_configENS1_35radix_sort_onesweep_config_selectorIaNS0_10empty_typeEEEZNS1_34radix_sort_onesweep_global_offsetsIS3_Lb1EPKaPS5_mNS0_19identity_decomposerEEE10hipError_tT1_T2_PT3_SF_jT4_jjP12ihipStream_tbEUlT_E_NS1_11comp_targetILNS1_3genE4ELNS1_11target_archE910ELNS1_3gpuE8ELNS1_3repE0EEENS1_52radix_sort_onesweep_histogram_config_static_selectorELNS0_4arch9wavefront6targetE0EEEvSD_,comdat
	.protected	_ZN7rocprim17ROCPRIM_400000_NS6detail17trampoline_kernelINS0_14default_configENS1_35radix_sort_onesweep_config_selectorIaNS0_10empty_typeEEEZNS1_34radix_sort_onesweep_global_offsetsIS3_Lb1EPKaPS5_mNS0_19identity_decomposerEEE10hipError_tT1_T2_PT3_SF_jT4_jjP12ihipStream_tbEUlT_E_NS1_11comp_targetILNS1_3genE4ELNS1_11target_archE910ELNS1_3gpuE8ELNS1_3repE0EEENS1_52radix_sort_onesweep_histogram_config_static_selectorELNS0_4arch9wavefront6targetE0EEEvSD_ ; -- Begin function _ZN7rocprim17ROCPRIM_400000_NS6detail17trampoline_kernelINS0_14default_configENS1_35radix_sort_onesweep_config_selectorIaNS0_10empty_typeEEEZNS1_34radix_sort_onesweep_global_offsetsIS3_Lb1EPKaPS5_mNS0_19identity_decomposerEEE10hipError_tT1_T2_PT3_SF_jT4_jjP12ihipStream_tbEUlT_E_NS1_11comp_targetILNS1_3genE4ELNS1_11target_archE910ELNS1_3gpuE8ELNS1_3repE0EEENS1_52radix_sort_onesweep_histogram_config_static_selectorELNS0_4arch9wavefront6targetE0EEEvSD_
	.globl	_ZN7rocprim17ROCPRIM_400000_NS6detail17trampoline_kernelINS0_14default_configENS1_35radix_sort_onesweep_config_selectorIaNS0_10empty_typeEEEZNS1_34radix_sort_onesweep_global_offsetsIS3_Lb1EPKaPS5_mNS0_19identity_decomposerEEE10hipError_tT1_T2_PT3_SF_jT4_jjP12ihipStream_tbEUlT_E_NS1_11comp_targetILNS1_3genE4ELNS1_11target_archE910ELNS1_3gpuE8ELNS1_3repE0EEENS1_52radix_sort_onesweep_histogram_config_static_selectorELNS0_4arch9wavefront6targetE0EEEvSD_
	.p2align	8
	.type	_ZN7rocprim17ROCPRIM_400000_NS6detail17trampoline_kernelINS0_14default_configENS1_35radix_sort_onesweep_config_selectorIaNS0_10empty_typeEEEZNS1_34radix_sort_onesweep_global_offsetsIS3_Lb1EPKaPS5_mNS0_19identity_decomposerEEE10hipError_tT1_T2_PT3_SF_jT4_jjP12ihipStream_tbEUlT_E_NS1_11comp_targetILNS1_3genE4ELNS1_11target_archE910ELNS1_3gpuE8ELNS1_3repE0EEENS1_52radix_sort_onesweep_histogram_config_static_selectorELNS0_4arch9wavefront6targetE0EEEvSD_,@function
_ZN7rocprim17ROCPRIM_400000_NS6detail17trampoline_kernelINS0_14default_configENS1_35radix_sort_onesweep_config_selectorIaNS0_10empty_typeEEEZNS1_34radix_sort_onesweep_global_offsetsIS3_Lb1EPKaPS5_mNS0_19identity_decomposerEEE10hipError_tT1_T2_PT3_SF_jT4_jjP12ihipStream_tbEUlT_E_NS1_11comp_targetILNS1_3genE4ELNS1_11target_archE910ELNS1_3gpuE8ELNS1_3repE0EEENS1_52radix_sort_onesweep_histogram_config_static_selectorELNS0_4arch9wavefront6targetE0EEEvSD_: ; @_ZN7rocprim17ROCPRIM_400000_NS6detail17trampoline_kernelINS0_14default_configENS1_35radix_sort_onesweep_config_selectorIaNS0_10empty_typeEEEZNS1_34radix_sort_onesweep_global_offsetsIS3_Lb1EPKaPS5_mNS0_19identity_decomposerEEE10hipError_tT1_T2_PT3_SF_jT4_jjP12ihipStream_tbEUlT_E_NS1_11comp_targetILNS1_3genE4ELNS1_11target_archE910ELNS1_3gpuE8ELNS1_3repE0EEENS1_52radix_sort_onesweep_histogram_config_static_selectorELNS0_4arch9wavefront6targetE0EEEvSD_
; %bb.0:
	.section	.rodata,"a",@progbits
	.p2align	6, 0x0
	.amdhsa_kernel _ZN7rocprim17ROCPRIM_400000_NS6detail17trampoline_kernelINS0_14default_configENS1_35radix_sort_onesweep_config_selectorIaNS0_10empty_typeEEEZNS1_34radix_sort_onesweep_global_offsetsIS3_Lb1EPKaPS5_mNS0_19identity_decomposerEEE10hipError_tT1_T2_PT3_SF_jT4_jjP12ihipStream_tbEUlT_E_NS1_11comp_targetILNS1_3genE4ELNS1_11target_archE910ELNS1_3gpuE8ELNS1_3repE0EEENS1_52radix_sort_onesweep_histogram_config_static_selectorELNS0_4arch9wavefront6targetE0EEEvSD_
		.amdhsa_group_segment_fixed_size 0
		.amdhsa_private_segment_fixed_size 0
		.amdhsa_kernarg_size 48
		.amdhsa_user_sgpr_count 2
		.amdhsa_user_sgpr_dispatch_ptr 0
		.amdhsa_user_sgpr_queue_ptr 0
		.amdhsa_user_sgpr_kernarg_segment_ptr 1
		.amdhsa_user_sgpr_dispatch_id 0
		.amdhsa_user_sgpr_kernarg_preload_length 0
		.amdhsa_user_sgpr_kernarg_preload_offset 0
		.amdhsa_user_sgpr_private_segment_size 0
		.amdhsa_wavefront_size32 1
		.amdhsa_uses_dynamic_stack 0
		.amdhsa_enable_private_segment 0
		.amdhsa_system_sgpr_workgroup_id_x 1
		.amdhsa_system_sgpr_workgroup_id_y 0
		.amdhsa_system_sgpr_workgroup_id_z 0
		.amdhsa_system_sgpr_workgroup_info 0
		.amdhsa_system_vgpr_workitem_id 0
		.amdhsa_next_free_vgpr 1
		.amdhsa_next_free_sgpr 1
		.amdhsa_named_barrier_count 0
		.amdhsa_reserve_vcc 0
		.amdhsa_float_round_mode_32 0
		.amdhsa_float_round_mode_16_64 0
		.amdhsa_float_denorm_mode_32 3
		.amdhsa_float_denorm_mode_16_64 3
		.amdhsa_fp16_overflow 0
		.amdhsa_memory_ordered 1
		.amdhsa_forward_progress 1
		.amdhsa_inst_pref_size 0
		.amdhsa_round_robin_scheduling 0
		.amdhsa_exception_fp_ieee_invalid_op 0
		.amdhsa_exception_fp_denorm_src 0
		.amdhsa_exception_fp_ieee_div_zero 0
		.amdhsa_exception_fp_ieee_overflow 0
		.amdhsa_exception_fp_ieee_underflow 0
		.amdhsa_exception_fp_ieee_inexact 0
		.amdhsa_exception_int_div_zero 0
	.end_amdhsa_kernel
	.section	.text._ZN7rocprim17ROCPRIM_400000_NS6detail17trampoline_kernelINS0_14default_configENS1_35radix_sort_onesweep_config_selectorIaNS0_10empty_typeEEEZNS1_34radix_sort_onesweep_global_offsetsIS3_Lb1EPKaPS5_mNS0_19identity_decomposerEEE10hipError_tT1_T2_PT3_SF_jT4_jjP12ihipStream_tbEUlT_E_NS1_11comp_targetILNS1_3genE4ELNS1_11target_archE910ELNS1_3gpuE8ELNS1_3repE0EEENS1_52radix_sort_onesweep_histogram_config_static_selectorELNS0_4arch9wavefront6targetE0EEEvSD_,"axG",@progbits,_ZN7rocprim17ROCPRIM_400000_NS6detail17trampoline_kernelINS0_14default_configENS1_35radix_sort_onesweep_config_selectorIaNS0_10empty_typeEEEZNS1_34radix_sort_onesweep_global_offsetsIS3_Lb1EPKaPS5_mNS0_19identity_decomposerEEE10hipError_tT1_T2_PT3_SF_jT4_jjP12ihipStream_tbEUlT_E_NS1_11comp_targetILNS1_3genE4ELNS1_11target_archE910ELNS1_3gpuE8ELNS1_3repE0EEENS1_52radix_sort_onesweep_histogram_config_static_selectorELNS0_4arch9wavefront6targetE0EEEvSD_,comdat
.Lfunc_end333:
	.size	_ZN7rocprim17ROCPRIM_400000_NS6detail17trampoline_kernelINS0_14default_configENS1_35radix_sort_onesweep_config_selectorIaNS0_10empty_typeEEEZNS1_34radix_sort_onesweep_global_offsetsIS3_Lb1EPKaPS5_mNS0_19identity_decomposerEEE10hipError_tT1_T2_PT3_SF_jT4_jjP12ihipStream_tbEUlT_E_NS1_11comp_targetILNS1_3genE4ELNS1_11target_archE910ELNS1_3gpuE8ELNS1_3repE0EEENS1_52radix_sort_onesweep_histogram_config_static_selectorELNS0_4arch9wavefront6targetE0EEEvSD_, .Lfunc_end333-_ZN7rocprim17ROCPRIM_400000_NS6detail17trampoline_kernelINS0_14default_configENS1_35radix_sort_onesweep_config_selectorIaNS0_10empty_typeEEEZNS1_34radix_sort_onesweep_global_offsetsIS3_Lb1EPKaPS5_mNS0_19identity_decomposerEEE10hipError_tT1_T2_PT3_SF_jT4_jjP12ihipStream_tbEUlT_E_NS1_11comp_targetILNS1_3genE4ELNS1_11target_archE910ELNS1_3gpuE8ELNS1_3repE0EEENS1_52radix_sort_onesweep_histogram_config_static_selectorELNS0_4arch9wavefront6targetE0EEEvSD_
                                        ; -- End function
	.set _ZN7rocprim17ROCPRIM_400000_NS6detail17trampoline_kernelINS0_14default_configENS1_35radix_sort_onesweep_config_selectorIaNS0_10empty_typeEEEZNS1_34radix_sort_onesweep_global_offsetsIS3_Lb1EPKaPS5_mNS0_19identity_decomposerEEE10hipError_tT1_T2_PT3_SF_jT4_jjP12ihipStream_tbEUlT_E_NS1_11comp_targetILNS1_3genE4ELNS1_11target_archE910ELNS1_3gpuE8ELNS1_3repE0EEENS1_52radix_sort_onesweep_histogram_config_static_selectorELNS0_4arch9wavefront6targetE0EEEvSD_.num_vgpr, 0
	.set _ZN7rocprim17ROCPRIM_400000_NS6detail17trampoline_kernelINS0_14default_configENS1_35radix_sort_onesweep_config_selectorIaNS0_10empty_typeEEEZNS1_34radix_sort_onesweep_global_offsetsIS3_Lb1EPKaPS5_mNS0_19identity_decomposerEEE10hipError_tT1_T2_PT3_SF_jT4_jjP12ihipStream_tbEUlT_E_NS1_11comp_targetILNS1_3genE4ELNS1_11target_archE910ELNS1_3gpuE8ELNS1_3repE0EEENS1_52radix_sort_onesweep_histogram_config_static_selectorELNS0_4arch9wavefront6targetE0EEEvSD_.num_agpr, 0
	.set _ZN7rocprim17ROCPRIM_400000_NS6detail17trampoline_kernelINS0_14default_configENS1_35radix_sort_onesweep_config_selectorIaNS0_10empty_typeEEEZNS1_34radix_sort_onesweep_global_offsetsIS3_Lb1EPKaPS5_mNS0_19identity_decomposerEEE10hipError_tT1_T2_PT3_SF_jT4_jjP12ihipStream_tbEUlT_E_NS1_11comp_targetILNS1_3genE4ELNS1_11target_archE910ELNS1_3gpuE8ELNS1_3repE0EEENS1_52radix_sort_onesweep_histogram_config_static_selectorELNS0_4arch9wavefront6targetE0EEEvSD_.numbered_sgpr, 0
	.set _ZN7rocprim17ROCPRIM_400000_NS6detail17trampoline_kernelINS0_14default_configENS1_35radix_sort_onesweep_config_selectorIaNS0_10empty_typeEEEZNS1_34radix_sort_onesweep_global_offsetsIS3_Lb1EPKaPS5_mNS0_19identity_decomposerEEE10hipError_tT1_T2_PT3_SF_jT4_jjP12ihipStream_tbEUlT_E_NS1_11comp_targetILNS1_3genE4ELNS1_11target_archE910ELNS1_3gpuE8ELNS1_3repE0EEENS1_52radix_sort_onesweep_histogram_config_static_selectorELNS0_4arch9wavefront6targetE0EEEvSD_.num_named_barrier, 0
	.set _ZN7rocprim17ROCPRIM_400000_NS6detail17trampoline_kernelINS0_14default_configENS1_35radix_sort_onesweep_config_selectorIaNS0_10empty_typeEEEZNS1_34radix_sort_onesweep_global_offsetsIS3_Lb1EPKaPS5_mNS0_19identity_decomposerEEE10hipError_tT1_T2_PT3_SF_jT4_jjP12ihipStream_tbEUlT_E_NS1_11comp_targetILNS1_3genE4ELNS1_11target_archE910ELNS1_3gpuE8ELNS1_3repE0EEENS1_52radix_sort_onesweep_histogram_config_static_selectorELNS0_4arch9wavefront6targetE0EEEvSD_.private_seg_size, 0
	.set _ZN7rocprim17ROCPRIM_400000_NS6detail17trampoline_kernelINS0_14default_configENS1_35radix_sort_onesweep_config_selectorIaNS0_10empty_typeEEEZNS1_34radix_sort_onesweep_global_offsetsIS3_Lb1EPKaPS5_mNS0_19identity_decomposerEEE10hipError_tT1_T2_PT3_SF_jT4_jjP12ihipStream_tbEUlT_E_NS1_11comp_targetILNS1_3genE4ELNS1_11target_archE910ELNS1_3gpuE8ELNS1_3repE0EEENS1_52radix_sort_onesweep_histogram_config_static_selectorELNS0_4arch9wavefront6targetE0EEEvSD_.uses_vcc, 0
	.set _ZN7rocprim17ROCPRIM_400000_NS6detail17trampoline_kernelINS0_14default_configENS1_35radix_sort_onesweep_config_selectorIaNS0_10empty_typeEEEZNS1_34radix_sort_onesweep_global_offsetsIS3_Lb1EPKaPS5_mNS0_19identity_decomposerEEE10hipError_tT1_T2_PT3_SF_jT4_jjP12ihipStream_tbEUlT_E_NS1_11comp_targetILNS1_3genE4ELNS1_11target_archE910ELNS1_3gpuE8ELNS1_3repE0EEENS1_52radix_sort_onesweep_histogram_config_static_selectorELNS0_4arch9wavefront6targetE0EEEvSD_.uses_flat_scratch, 0
	.set _ZN7rocprim17ROCPRIM_400000_NS6detail17trampoline_kernelINS0_14default_configENS1_35radix_sort_onesweep_config_selectorIaNS0_10empty_typeEEEZNS1_34radix_sort_onesweep_global_offsetsIS3_Lb1EPKaPS5_mNS0_19identity_decomposerEEE10hipError_tT1_T2_PT3_SF_jT4_jjP12ihipStream_tbEUlT_E_NS1_11comp_targetILNS1_3genE4ELNS1_11target_archE910ELNS1_3gpuE8ELNS1_3repE0EEENS1_52radix_sort_onesweep_histogram_config_static_selectorELNS0_4arch9wavefront6targetE0EEEvSD_.has_dyn_sized_stack, 0
	.set _ZN7rocprim17ROCPRIM_400000_NS6detail17trampoline_kernelINS0_14default_configENS1_35radix_sort_onesweep_config_selectorIaNS0_10empty_typeEEEZNS1_34radix_sort_onesweep_global_offsetsIS3_Lb1EPKaPS5_mNS0_19identity_decomposerEEE10hipError_tT1_T2_PT3_SF_jT4_jjP12ihipStream_tbEUlT_E_NS1_11comp_targetILNS1_3genE4ELNS1_11target_archE910ELNS1_3gpuE8ELNS1_3repE0EEENS1_52radix_sort_onesweep_histogram_config_static_selectorELNS0_4arch9wavefront6targetE0EEEvSD_.has_recursion, 0
	.set _ZN7rocprim17ROCPRIM_400000_NS6detail17trampoline_kernelINS0_14default_configENS1_35radix_sort_onesweep_config_selectorIaNS0_10empty_typeEEEZNS1_34radix_sort_onesweep_global_offsetsIS3_Lb1EPKaPS5_mNS0_19identity_decomposerEEE10hipError_tT1_T2_PT3_SF_jT4_jjP12ihipStream_tbEUlT_E_NS1_11comp_targetILNS1_3genE4ELNS1_11target_archE910ELNS1_3gpuE8ELNS1_3repE0EEENS1_52radix_sort_onesweep_histogram_config_static_selectorELNS0_4arch9wavefront6targetE0EEEvSD_.has_indirect_call, 0
	.section	.AMDGPU.csdata,"",@progbits
; Kernel info:
; codeLenInByte = 0
; TotalNumSgprs: 0
; NumVgprs: 0
; ScratchSize: 0
; MemoryBound: 0
; FloatMode: 240
; IeeeMode: 1
; LDSByteSize: 0 bytes/workgroup (compile time only)
; SGPRBlocks: 0
; VGPRBlocks: 0
; NumSGPRsForWavesPerEU: 1
; NumVGPRsForWavesPerEU: 1
; NamedBarCnt: 0
; Occupancy: 16
; WaveLimiterHint : 0
; COMPUTE_PGM_RSRC2:SCRATCH_EN: 0
; COMPUTE_PGM_RSRC2:USER_SGPR: 2
; COMPUTE_PGM_RSRC2:TRAP_HANDLER: 0
; COMPUTE_PGM_RSRC2:TGID_X_EN: 1
; COMPUTE_PGM_RSRC2:TGID_Y_EN: 0
; COMPUTE_PGM_RSRC2:TGID_Z_EN: 0
; COMPUTE_PGM_RSRC2:TIDIG_COMP_CNT: 0
	.section	.text._ZN7rocprim17ROCPRIM_400000_NS6detail17trampoline_kernelINS0_14default_configENS1_35radix_sort_onesweep_config_selectorIaNS0_10empty_typeEEEZNS1_34radix_sort_onesweep_global_offsetsIS3_Lb1EPKaPS5_mNS0_19identity_decomposerEEE10hipError_tT1_T2_PT3_SF_jT4_jjP12ihipStream_tbEUlT_E_NS1_11comp_targetILNS1_3genE3ELNS1_11target_archE908ELNS1_3gpuE7ELNS1_3repE0EEENS1_52radix_sort_onesweep_histogram_config_static_selectorELNS0_4arch9wavefront6targetE0EEEvSD_,"axG",@progbits,_ZN7rocprim17ROCPRIM_400000_NS6detail17trampoline_kernelINS0_14default_configENS1_35radix_sort_onesweep_config_selectorIaNS0_10empty_typeEEEZNS1_34radix_sort_onesweep_global_offsetsIS3_Lb1EPKaPS5_mNS0_19identity_decomposerEEE10hipError_tT1_T2_PT3_SF_jT4_jjP12ihipStream_tbEUlT_E_NS1_11comp_targetILNS1_3genE3ELNS1_11target_archE908ELNS1_3gpuE7ELNS1_3repE0EEENS1_52radix_sort_onesweep_histogram_config_static_selectorELNS0_4arch9wavefront6targetE0EEEvSD_,comdat
	.protected	_ZN7rocprim17ROCPRIM_400000_NS6detail17trampoline_kernelINS0_14default_configENS1_35radix_sort_onesweep_config_selectorIaNS0_10empty_typeEEEZNS1_34radix_sort_onesweep_global_offsetsIS3_Lb1EPKaPS5_mNS0_19identity_decomposerEEE10hipError_tT1_T2_PT3_SF_jT4_jjP12ihipStream_tbEUlT_E_NS1_11comp_targetILNS1_3genE3ELNS1_11target_archE908ELNS1_3gpuE7ELNS1_3repE0EEENS1_52radix_sort_onesweep_histogram_config_static_selectorELNS0_4arch9wavefront6targetE0EEEvSD_ ; -- Begin function _ZN7rocprim17ROCPRIM_400000_NS6detail17trampoline_kernelINS0_14default_configENS1_35radix_sort_onesweep_config_selectorIaNS0_10empty_typeEEEZNS1_34radix_sort_onesweep_global_offsetsIS3_Lb1EPKaPS5_mNS0_19identity_decomposerEEE10hipError_tT1_T2_PT3_SF_jT4_jjP12ihipStream_tbEUlT_E_NS1_11comp_targetILNS1_3genE3ELNS1_11target_archE908ELNS1_3gpuE7ELNS1_3repE0EEENS1_52radix_sort_onesweep_histogram_config_static_selectorELNS0_4arch9wavefront6targetE0EEEvSD_
	.globl	_ZN7rocprim17ROCPRIM_400000_NS6detail17trampoline_kernelINS0_14default_configENS1_35radix_sort_onesweep_config_selectorIaNS0_10empty_typeEEEZNS1_34radix_sort_onesweep_global_offsetsIS3_Lb1EPKaPS5_mNS0_19identity_decomposerEEE10hipError_tT1_T2_PT3_SF_jT4_jjP12ihipStream_tbEUlT_E_NS1_11comp_targetILNS1_3genE3ELNS1_11target_archE908ELNS1_3gpuE7ELNS1_3repE0EEENS1_52radix_sort_onesweep_histogram_config_static_selectorELNS0_4arch9wavefront6targetE0EEEvSD_
	.p2align	8
	.type	_ZN7rocprim17ROCPRIM_400000_NS6detail17trampoline_kernelINS0_14default_configENS1_35radix_sort_onesweep_config_selectorIaNS0_10empty_typeEEEZNS1_34radix_sort_onesweep_global_offsetsIS3_Lb1EPKaPS5_mNS0_19identity_decomposerEEE10hipError_tT1_T2_PT3_SF_jT4_jjP12ihipStream_tbEUlT_E_NS1_11comp_targetILNS1_3genE3ELNS1_11target_archE908ELNS1_3gpuE7ELNS1_3repE0EEENS1_52radix_sort_onesweep_histogram_config_static_selectorELNS0_4arch9wavefront6targetE0EEEvSD_,@function
_ZN7rocprim17ROCPRIM_400000_NS6detail17trampoline_kernelINS0_14default_configENS1_35radix_sort_onesweep_config_selectorIaNS0_10empty_typeEEEZNS1_34radix_sort_onesweep_global_offsetsIS3_Lb1EPKaPS5_mNS0_19identity_decomposerEEE10hipError_tT1_T2_PT3_SF_jT4_jjP12ihipStream_tbEUlT_E_NS1_11comp_targetILNS1_3genE3ELNS1_11target_archE908ELNS1_3gpuE7ELNS1_3repE0EEENS1_52radix_sort_onesweep_histogram_config_static_selectorELNS0_4arch9wavefront6targetE0EEEvSD_: ; @_ZN7rocprim17ROCPRIM_400000_NS6detail17trampoline_kernelINS0_14default_configENS1_35radix_sort_onesweep_config_selectorIaNS0_10empty_typeEEEZNS1_34radix_sort_onesweep_global_offsetsIS3_Lb1EPKaPS5_mNS0_19identity_decomposerEEE10hipError_tT1_T2_PT3_SF_jT4_jjP12ihipStream_tbEUlT_E_NS1_11comp_targetILNS1_3genE3ELNS1_11target_archE908ELNS1_3gpuE7ELNS1_3repE0EEENS1_52radix_sort_onesweep_histogram_config_static_selectorELNS0_4arch9wavefront6targetE0EEEvSD_
; %bb.0:
	.section	.rodata,"a",@progbits
	.p2align	6, 0x0
	.amdhsa_kernel _ZN7rocprim17ROCPRIM_400000_NS6detail17trampoline_kernelINS0_14default_configENS1_35radix_sort_onesweep_config_selectorIaNS0_10empty_typeEEEZNS1_34radix_sort_onesweep_global_offsetsIS3_Lb1EPKaPS5_mNS0_19identity_decomposerEEE10hipError_tT1_T2_PT3_SF_jT4_jjP12ihipStream_tbEUlT_E_NS1_11comp_targetILNS1_3genE3ELNS1_11target_archE908ELNS1_3gpuE7ELNS1_3repE0EEENS1_52radix_sort_onesweep_histogram_config_static_selectorELNS0_4arch9wavefront6targetE0EEEvSD_
		.amdhsa_group_segment_fixed_size 0
		.amdhsa_private_segment_fixed_size 0
		.amdhsa_kernarg_size 48
		.amdhsa_user_sgpr_count 2
		.amdhsa_user_sgpr_dispatch_ptr 0
		.amdhsa_user_sgpr_queue_ptr 0
		.amdhsa_user_sgpr_kernarg_segment_ptr 1
		.amdhsa_user_sgpr_dispatch_id 0
		.amdhsa_user_sgpr_kernarg_preload_length 0
		.amdhsa_user_sgpr_kernarg_preload_offset 0
		.amdhsa_user_sgpr_private_segment_size 0
		.amdhsa_wavefront_size32 1
		.amdhsa_uses_dynamic_stack 0
		.amdhsa_enable_private_segment 0
		.amdhsa_system_sgpr_workgroup_id_x 1
		.amdhsa_system_sgpr_workgroup_id_y 0
		.amdhsa_system_sgpr_workgroup_id_z 0
		.amdhsa_system_sgpr_workgroup_info 0
		.amdhsa_system_vgpr_workitem_id 0
		.amdhsa_next_free_vgpr 1
		.amdhsa_next_free_sgpr 1
		.amdhsa_named_barrier_count 0
		.amdhsa_reserve_vcc 0
		.amdhsa_float_round_mode_32 0
		.amdhsa_float_round_mode_16_64 0
		.amdhsa_float_denorm_mode_32 3
		.amdhsa_float_denorm_mode_16_64 3
		.amdhsa_fp16_overflow 0
		.amdhsa_memory_ordered 1
		.amdhsa_forward_progress 1
		.amdhsa_inst_pref_size 0
		.amdhsa_round_robin_scheduling 0
		.amdhsa_exception_fp_ieee_invalid_op 0
		.amdhsa_exception_fp_denorm_src 0
		.amdhsa_exception_fp_ieee_div_zero 0
		.amdhsa_exception_fp_ieee_overflow 0
		.amdhsa_exception_fp_ieee_underflow 0
		.amdhsa_exception_fp_ieee_inexact 0
		.amdhsa_exception_int_div_zero 0
	.end_amdhsa_kernel
	.section	.text._ZN7rocprim17ROCPRIM_400000_NS6detail17trampoline_kernelINS0_14default_configENS1_35radix_sort_onesweep_config_selectorIaNS0_10empty_typeEEEZNS1_34radix_sort_onesweep_global_offsetsIS3_Lb1EPKaPS5_mNS0_19identity_decomposerEEE10hipError_tT1_T2_PT3_SF_jT4_jjP12ihipStream_tbEUlT_E_NS1_11comp_targetILNS1_3genE3ELNS1_11target_archE908ELNS1_3gpuE7ELNS1_3repE0EEENS1_52radix_sort_onesweep_histogram_config_static_selectorELNS0_4arch9wavefront6targetE0EEEvSD_,"axG",@progbits,_ZN7rocprim17ROCPRIM_400000_NS6detail17trampoline_kernelINS0_14default_configENS1_35radix_sort_onesweep_config_selectorIaNS0_10empty_typeEEEZNS1_34radix_sort_onesweep_global_offsetsIS3_Lb1EPKaPS5_mNS0_19identity_decomposerEEE10hipError_tT1_T2_PT3_SF_jT4_jjP12ihipStream_tbEUlT_E_NS1_11comp_targetILNS1_3genE3ELNS1_11target_archE908ELNS1_3gpuE7ELNS1_3repE0EEENS1_52radix_sort_onesweep_histogram_config_static_selectorELNS0_4arch9wavefront6targetE0EEEvSD_,comdat
.Lfunc_end334:
	.size	_ZN7rocprim17ROCPRIM_400000_NS6detail17trampoline_kernelINS0_14default_configENS1_35radix_sort_onesweep_config_selectorIaNS0_10empty_typeEEEZNS1_34radix_sort_onesweep_global_offsetsIS3_Lb1EPKaPS5_mNS0_19identity_decomposerEEE10hipError_tT1_T2_PT3_SF_jT4_jjP12ihipStream_tbEUlT_E_NS1_11comp_targetILNS1_3genE3ELNS1_11target_archE908ELNS1_3gpuE7ELNS1_3repE0EEENS1_52radix_sort_onesweep_histogram_config_static_selectorELNS0_4arch9wavefront6targetE0EEEvSD_, .Lfunc_end334-_ZN7rocprim17ROCPRIM_400000_NS6detail17trampoline_kernelINS0_14default_configENS1_35radix_sort_onesweep_config_selectorIaNS0_10empty_typeEEEZNS1_34radix_sort_onesweep_global_offsetsIS3_Lb1EPKaPS5_mNS0_19identity_decomposerEEE10hipError_tT1_T2_PT3_SF_jT4_jjP12ihipStream_tbEUlT_E_NS1_11comp_targetILNS1_3genE3ELNS1_11target_archE908ELNS1_3gpuE7ELNS1_3repE0EEENS1_52radix_sort_onesweep_histogram_config_static_selectorELNS0_4arch9wavefront6targetE0EEEvSD_
                                        ; -- End function
	.set _ZN7rocprim17ROCPRIM_400000_NS6detail17trampoline_kernelINS0_14default_configENS1_35radix_sort_onesweep_config_selectorIaNS0_10empty_typeEEEZNS1_34radix_sort_onesweep_global_offsetsIS3_Lb1EPKaPS5_mNS0_19identity_decomposerEEE10hipError_tT1_T2_PT3_SF_jT4_jjP12ihipStream_tbEUlT_E_NS1_11comp_targetILNS1_3genE3ELNS1_11target_archE908ELNS1_3gpuE7ELNS1_3repE0EEENS1_52radix_sort_onesweep_histogram_config_static_selectorELNS0_4arch9wavefront6targetE0EEEvSD_.num_vgpr, 0
	.set _ZN7rocprim17ROCPRIM_400000_NS6detail17trampoline_kernelINS0_14default_configENS1_35radix_sort_onesweep_config_selectorIaNS0_10empty_typeEEEZNS1_34radix_sort_onesweep_global_offsetsIS3_Lb1EPKaPS5_mNS0_19identity_decomposerEEE10hipError_tT1_T2_PT3_SF_jT4_jjP12ihipStream_tbEUlT_E_NS1_11comp_targetILNS1_3genE3ELNS1_11target_archE908ELNS1_3gpuE7ELNS1_3repE0EEENS1_52radix_sort_onesweep_histogram_config_static_selectorELNS0_4arch9wavefront6targetE0EEEvSD_.num_agpr, 0
	.set _ZN7rocprim17ROCPRIM_400000_NS6detail17trampoline_kernelINS0_14default_configENS1_35radix_sort_onesweep_config_selectorIaNS0_10empty_typeEEEZNS1_34radix_sort_onesweep_global_offsetsIS3_Lb1EPKaPS5_mNS0_19identity_decomposerEEE10hipError_tT1_T2_PT3_SF_jT4_jjP12ihipStream_tbEUlT_E_NS1_11comp_targetILNS1_3genE3ELNS1_11target_archE908ELNS1_3gpuE7ELNS1_3repE0EEENS1_52radix_sort_onesweep_histogram_config_static_selectorELNS0_4arch9wavefront6targetE0EEEvSD_.numbered_sgpr, 0
	.set _ZN7rocprim17ROCPRIM_400000_NS6detail17trampoline_kernelINS0_14default_configENS1_35radix_sort_onesweep_config_selectorIaNS0_10empty_typeEEEZNS1_34radix_sort_onesweep_global_offsetsIS3_Lb1EPKaPS5_mNS0_19identity_decomposerEEE10hipError_tT1_T2_PT3_SF_jT4_jjP12ihipStream_tbEUlT_E_NS1_11comp_targetILNS1_3genE3ELNS1_11target_archE908ELNS1_3gpuE7ELNS1_3repE0EEENS1_52radix_sort_onesweep_histogram_config_static_selectorELNS0_4arch9wavefront6targetE0EEEvSD_.num_named_barrier, 0
	.set _ZN7rocprim17ROCPRIM_400000_NS6detail17trampoline_kernelINS0_14default_configENS1_35radix_sort_onesweep_config_selectorIaNS0_10empty_typeEEEZNS1_34radix_sort_onesweep_global_offsetsIS3_Lb1EPKaPS5_mNS0_19identity_decomposerEEE10hipError_tT1_T2_PT3_SF_jT4_jjP12ihipStream_tbEUlT_E_NS1_11comp_targetILNS1_3genE3ELNS1_11target_archE908ELNS1_3gpuE7ELNS1_3repE0EEENS1_52radix_sort_onesweep_histogram_config_static_selectorELNS0_4arch9wavefront6targetE0EEEvSD_.private_seg_size, 0
	.set _ZN7rocprim17ROCPRIM_400000_NS6detail17trampoline_kernelINS0_14default_configENS1_35radix_sort_onesweep_config_selectorIaNS0_10empty_typeEEEZNS1_34radix_sort_onesweep_global_offsetsIS3_Lb1EPKaPS5_mNS0_19identity_decomposerEEE10hipError_tT1_T2_PT3_SF_jT4_jjP12ihipStream_tbEUlT_E_NS1_11comp_targetILNS1_3genE3ELNS1_11target_archE908ELNS1_3gpuE7ELNS1_3repE0EEENS1_52radix_sort_onesweep_histogram_config_static_selectorELNS0_4arch9wavefront6targetE0EEEvSD_.uses_vcc, 0
	.set _ZN7rocprim17ROCPRIM_400000_NS6detail17trampoline_kernelINS0_14default_configENS1_35radix_sort_onesweep_config_selectorIaNS0_10empty_typeEEEZNS1_34radix_sort_onesweep_global_offsetsIS3_Lb1EPKaPS5_mNS0_19identity_decomposerEEE10hipError_tT1_T2_PT3_SF_jT4_jjP12ihipStream_tbEUlT_E_NS1_11comp_targetILNS1_3genE3ELNS1_11target_archE908ELNS1_3gpuE7ELNS1_3repE0EEENS1_52radix_sort_onesweep_histogram_config_static_selectorELNS0_4arch9wavefront6targetE0EEEvSD_.uses_flat_scratch, 0
	.set _ZN7rocprim17ROCPRIM_400000_NS6detail17trampoline_kernelINS0_14default_configENS1_35radix_sort_onesweep_config_selectorIaNS0_10empty_typeEEEZNS1_34radix_sort_onesweep_global_offsetsIS3_Lb1EPKaPS5_mNS0_19identity_decomposerEEE10hipError_tT1_T2_PT3_SF_jT4_jjP12ihipStream_tbEUlT_E_NS1_11comp_targetILNS1_3genE3ELNS1_11target_archE908ELNS1_3gpuE7ELNS1_3repE0EEENS1_52radix_sort_onesweep_histogram_config_static_selectorELNS0_4arch9wavefront6targetE0EEEvSD_.has_dyn_sized_stack, 0
	.set _ZN7rocprim17ROCPRIM_400000_NS6detail17trampoline_kernelINS0_14default_configENS1_35radix_sort_onesweep_config_selectorIaNS0_10empty_typeEEEZNS1_34radix_sort_onesweep_global_offsetsIS3_Lb1EPKaPS5_mNS0_19identity_decomposerEEE10hipError_tT1_T2_PT3_SF_jT4_jjP12ihipStream_tbEUlT_E_NS1_11comp_targetILNS1_3genE3ELNS1_11target_archE908ELNS1_3gpuE7ELNS1_3repE0EEENS1_52radix_sort_onesweep_histogram_config_static_selectorELNS0_4arch9wavefront6targetE0EEEvSD_.has_recursion, 0
	.set _ZN7rocprim17ROCPRIM_400000_NS6detail17trampoline_kernelINS0_14default_configENS1_35radix_sort_onesweep_config_selectorIaNS0_10empty_typeEEEZNS1_34radix_sort_onesweep_global_offsetsIS3_Lb1EPKaPS5_mNS0_19identity_decomposerEEE10hipError_tT1_T2_PT3_SF_jT4_jjP12ihipStream_tbEUlT_E_NS1_11comp_targetILNS1_3genE3ELNS1_11target_archE908ELNS1_3gpuE7ELNS1_3repE0EEENS1_52radix_sort_onesweep_histogram_config_static_selectorELNS0_4arch9wavefront6targetE0EEEvSD_.has_indirect_call, 0
	.section	.AMDGPU.csdata,"",@progbits
; Kernel info:
; codeLenInByte = 0
; TotalNumSgprs: 0
; NumVgprs: 0
; ScratchSize: 0
; MemoryBound: 0
; FloatMode: 240
; IeeeMode: 1
; LDSByteSize: 0 bytes/workgroup (compile time only)
; SGPRBlocks: 0
; VGPRBlocks: 0
; NumSGPRsForWavesPerEU: 1
; NumVGPRsForWavesPerEU: 1
; NamedBarCnt: 0
; Occupancy: 16
; WaveLimiterHint : 0
; COMPUTE_PGM_RSRC2:SCRATCH_EN: 0
; COMPUTE_PGM_RSRC2:USER_SGPR: 2
; COMPUTE_PGM_RSRC2:TRAP_HANDLER: 0
; COMPUTE_PGM_RSRC2:TGID_X_EN: 1
; COMPUTE_PGM_RSRC2:TGID_Y_EN: 0
; COMPUTE_PGM_RSRC2:TGID_Z_EN: 0
; COMPUTE_PGM_RSRC2:TIDIG_COMP_CNT: 0
	.section	.text._ZN7rocprim17ROCPRIM_400000_NS6detail17trampoline_kernelINS0_14default_configENS1_35radix_sort_onesweep_config_selectorIaNS0_10empty_typeEEEZNS1_34radix_sort_onesweep_global_offsetsIS3_Lb1EPKaPS5_mNS0_19identity_decomposerEEE10hipError_tT1_T2_PT3_SF_jT4_jjP12ihipStream_tbEUlT_E_NS1_11comp_targetILNS1_3genE10ELNS1_11target_archE1201ELNS1_3gpuE5ELNS1_3repE0EEENS1_52radix_sort_onesweep_histogram_config_static_selectorELNS0_4arch9wavefront6targetE0EEEvSD_,"axG",@progbits,_ZN7rocprim17ROCPRIM_400000_NS6detail17trampoline_kernelINS0_14default_configENS1_35radix_sort_onesweep_config_selectorIaNS0_10empty_typeEEEZNS1_34radix_sort_onesweep_global_offsetsIS3_Lb1EPKaPS5_mNS0_19identity_decomposerEEE10hipError_tT1_T2_PT3_SF_jT4_jjP12ihipStream_tbEUlT_E_NS1_11comp_targetILNS1_3genE10ELNS1_11target_archE1201ELNS1_3gpuE5ELNS1_3repE0EEENS1_52radix_sort_onesweep_histogram_config_static_selectorELNS0_4arch9wavefront6targetE0EEEvSD_,comdat
	.protected	_ZN7rocprim17ROCPRIM_400000_NS6detail17trampoline_kernelINS0_14default_configENS1_35radix_sort_onesweep_config_selectorIaNS0_10empty_typeEEEZNS1_34radix_sort_onesweep_global_offsetsIS3_Lb1EPKaPS5_mNS0_19identity_decomposerEEE10hipError_tT1_T2_PT3_SF_jT4_jjP12ihipStream_tbEUlT_E_NS1_11comp_targetILNS1_3genE10ELNS1_11target_archE1201ELNS1_3gpuE5ELNS1_3repE0EEENS1_52radix_sort_onesweep_histogram_config_static_selectorELNS0_4arch9wavefront6targetE0EEEvSD_ ; -- Begin function _ZN7rocprim17ROCPRIM_400000_NS6detail17trampoline_kernelINS0_14default_configENS1_35radix_sort_onesweep_config_selectorIaNS0_10empty_typeEEEZNS1_34radix_sort_onesweep_global_offsetsIS3_Lb1EPKaPS5_mNS0_19identity_decomposerEEE10hipError_tT1_T2_PT3_SF_jT4_jjP12ihipStream_tbEUlT_E_NS1_11comp_targetILNS1_3genE10ELNS1_11target_archE1201ELNS1_3gpuE5ELNS1_3repE0EEENS1_52radix_sort_onesweep_histogram_config_static_selectorELNS0_4arch9wavefront6targetE0EEEvSD_
	.globl	_ZN7rocprim17ROCPRIM_400000_NS6detail17trampoline_kernelINS0_14default_configENS1_35radix_sort_onesweep_config_selectorIaNS0_10empty_typeEEEZNS1_34radix_sort_onesweep_global_offsetsIS3_Lb1EPKaPS5_mNS0_19identity_decomposerEEE10hipError_tT1_T2_PT3_SF_jT4_jjP12ihipStream_tbEUlT_E_NS1_11comp_targetILNS1_3genE10ELNS1_11target_archE1201ELNS1_3gpuE5ELNS1_3repE0EEENS1_52radix_sort_onesweep_histogram_config_static_selectorELNS0_4arch9wavefront6targetE0EEEvSD_
	.p2align	8
	.type	_ZN7rocprim17ROCPRIM_400000_NS6detail17trampoline_kernelINS0_14default_configENS1_35radix_sort_onesweep_config_selectorIaNS0_10empty_typeEEEZNS1_34radix_sort_onesweep_global_offsetsIS3_Lb1EPKaPS5_mNS0_19identity_decomposerEEE10hipError_tT1_T2_PT3_SF_jT4_jjP12ihipStream_tbEUlT_E_NS1_11comp_targetILNS1_3genE10ELNS1_11target_archE1201ELNS1_3gpuE5ELNS1_3repE0EEENS1_52radix_sort_onesweep_histogram_config_static_selectorELNS0_4arch9wavefront6targetE0EEEvSD_,@function
_ZN7rocprim17ROCPRIM_400000_NS6detail17trampoline_kernelINS0_14default_configENS1_35radix_sort_onesweep_config_selectorIaNS0_10empty_typeEEEZNS1_34radix_sort_onesweep_global_offsetsIS3_Lb1EPKaPS5_mNS0_19identity_decomposerEEE10hipError_tT1_T2_PT3_SF_jT4_jjP12ihipStream_tbEUlT_E_NS1_11comp_targetILNS1_3genE10ELNS1_11target_archE1201ELNS1_3gpuE5ELNS1_3repE0EEENS1_52radix_sort_onesweep_histogram_config_static_selectorELNS0_4arch9wavefront6targetE0EEEvSD_: ; @_ZN7rocprim17ROCPRIM_400000_NS6detail17trampoline_kernelINS0_14default_configENS1_35radix_sort_onesweep_config_selectorIaNS0_10empty_typeEEEZNS1_34radix_sort_onesweep_global_offsetsIS3_Lb1EPKaPS5_mNS0_19identity_decomposerEEE10hipError_tT1_T2_PT3_SF_jT4_jjP12ihipStream_tbEUlT_E_NS1_11comp_targetILNS1_3genE10ELNS1_11target_archE1201ELNS1_3gpuE5ELNS1_3repE0EEENS1_52radix_sort_onesweep_histogram_config_static_selectorELNS0_4arch9wavefront6targetE0EEEvSD_
; %bb.0:
	.section	.rodata,"a",@progbits
	.p2align	6, 0x0
	.amdhsa_kernel _ZN7rocprim17ROCPRIM_400000_NS6detail17trampoline_kernelINS0_14default_configENS1_35radix_sort_onesweep_config_selectorIaNS0_10empty_typeEEEZNS1_34radix_sort_onesweep_global_offsetsIS3_Lb1EPKaPS5_mNS0_19identity_decomposerEEE10hipError_tT1_T2_PT3_SF_jT4_jjP12ihipStream_tbEUlT_E_NS1_11comp_targetILNS1_3genE10ELNS1_11target_archE1201ELNS1_3gpuE5ELNS1_3repE0EEENS1_52radix_sort_onesweep_histogram_config_static_selectorELNS0_4arch9wavefront6targetE0EEEvSD_
		.amdhsa_group_segment_fixed_size 0
		.amdhsa_private_segment_fixed_size 0
		.amdhsa_kernarg_size 48
		.amdhsa_user_sgpr_count 2
		.amdhsa_user_sgpr_dispatch_ptr 0
		.amdhsa_user_sgpr_queue_ptr 0
		.amdhsa_user_sgpr_kernarg_segment_ptr 1
		.amdhsa_user_sgpr_dispatch_id 0
		.amdhsa_user_sgpr_kernarg_preload_length 0
		.amdhsa_user_sgpr_kernarg_preload_offset 0
		.amdhsa_user_sgpr_private_segment_size 0
		.amdhsa_wavefront_size32 1
		.amdhsa_uses_dynamic_stack 0
		.amdhsa_enable_private_segment 0
		.amdhsa_system_sgpr_workgroup_id_x 1
		.amdhsa_system_sgpr_workgroup_id_y 0
		.amdhsa_system_sgpr_workgroup_id_z 0
		.amdhsa_system_sgpr_workgroup_info 0
		.amdhsa_system_vgpr_workitem_id 0
		.amdhsa_next_free_vgpr 1
		.amdhsa_next_free_sgpr 1
		.amdhsa_named_barrier_count 0
		.amdhsa_reserve_vcc 0
		.amdhsa_float_round_mode_32 0
		.amdhsa_float_round_mode_16_64 0
		.amdhsa_float_denorm_mode_32 3
		.amdhsa_float_denorm_mode_16_64 3
		.amdhsa_fp16_overflow 0
		.amdhsa_memory_ordered 1
		.amdhsa_forward_progress 1
		.amdhsa_inst_pref_size 0
		.amdhsa_round_robin_scheduling 0
		.amdhsa_exception_fp_ieee_invalid_op 0
		.amdhsa_exception_fp_denorm_src 0
		.amdhsa_exception_fp_ieee_div_zero 0
		.amdhsa_exception_fp_ieee_overflow 0
		.amdhsa_exception_fp_ieee_underflow 0
		.amdhsa_exception_fp_ieee_inexact 0
		.amdhsa_exception_int_div_zero 0
	.end_amdhsa_kernel
	.section	.text._ZN7rocprim17ROCPRIM_400000_NS6detail17trampoline_kernelINS0_14default_configENS1_35radix_sort_onesweep_config_selectorIaNS0_10empty_typeEEEZNS1_34radix_sort_onesweep_global_offsetsIS3_Lb1EPKaPS5_mNS0_19identity_decomposerEEE10hipError_tT1_T2_PT3_SF_jT4_jjP12ihipStream_tbEUlT_E_NS1_11comp_targetILNS1_3genE10ELNS1_11target_archE1201ELNS1_3gpuE5ELNS1_3repE0EEENS1_52radix_sort_onesweep_histogram_config_static_selectorELNS0_4arch9wavefront6targetE0EEEvSD_,"axG",@progbits,_ZN7rocprim17ROCPRIM_400000_NS6detail17trampoline_kernelINS0_14default_configENS1_35radix_sort_onesweep_config_selectorIaNS0_10empty_typeEEEZNS1_34radix_sort_onesweep_global_offsetsIS3_Lb1EPKaPS5_mNS0_19identity_decomposerEEE10hipError_tT1_T2_PT3_SF_jT4_jjP12ihipStream_tbEUlT_E_NS1_11comp_targetILNS1_3genE10ELNS1_11target_archE1201ELNS1_3gpuE5ELNS1_3repE0EEENS1_52radix_sort_onesweep_histogram_config_static_selectorELNS0_4arch9wavefront6targetE0EEEvSD_,comdat
.Lfunc_end335:
	.size	_ZN7rocprim17ROCPRIM_400000_NS6detail17trampoline_kernelINS0_14default_configENS1_35radix_sort_onesweep_config_selectorIaNS0_10empty_typeEEEZNS1_34radix_sort_onesweep_global_offsetsIS3_Lb1EPKaPS5_mNS0_19identity_decomposerEEE10hipError_tT1_T2_PT3_SF_jT4_jjP12ihipStream_tbEUlT_E_NS1_11comp_targetILNS1_3genE10ELNS1_11target_archE1201ELNS1_3gpuE5ELNS1_3repE0EEENS1_52radix_sort_onesweep_histogram_config_static_selectorELNS0_4arch9wavefront6targetE0EEEvSD_, .Lfunc_end335-_ZN7rocprim17ROCPRIM_400000_NS6detail17trampoline_kernelINS0_14default_configENS1_35radix_sort_onesweep_config_selectorIaNS0_10empty_typeEEEZNS1_34radix_sort_onesweep_global_offsetsIS3_Lb1EPKaPS5_mNS0_19identity_decomposerEEE10hipError_tT1_T2_PT3_SF_jT4_jjP12ihipStream_tbEUlT_E_NS1_11comp_targetILNS1_3genE10ELNS1_11target_archE1201ELNS1_3gpuE5ELNS1_3repE0EEENS1_52radix_sort_onesweep_histogram_config_static_selectorELNS0_4arch9wavefront6targetE0EEEvSD_
                                        ; -- End function
	.set _ZN7rocprim17ROCPRIM_400000_NS6detail17trampoline_kernelINS0_14default_configENS1_35radix_sort_onesweep_config_selectorIaNS0_10empty_typeEEEZNS1_34radix_sort_onesweep_global_offsetsIS3_Lb1EPKaPS5_mNS0_19identity_decomposerEEE10hipError_tT1_T2_PT3_SF_jT4_jjP12ihipStream_tbEUlT_E_NS1_11comp_targetILNS1_3genE10ELNS1_11target_archE1201ELNS1_3gpuE5ELNS1_3repE0EEENS1_52radix_sort_onesweep_histogram_config_static_selectorELNS0_4arch9wavefront6targetE0EEEvSD_.num_vgpr, 0
	.set _ZN7rocprim17ROCPRIM_400000_NS6detail17trampoline_kernelINS0_14default_configENS1_35radix_sort_onesweep_config_selectorIaNS0_10empty_typeEEEZNS1_34radix_sort_onesweep_global_offsetsIS3_Lb1EPKaPS5_mNS0_19identity_decomposerEEE10hipError_tT1_T2_PT3_SF_jT4_jjP12ihipStream_tbEUlT_E_NS1_11comp_targetILNS1_3genE10ELNS1_11target_archE1201ELNS1_3gpuE5ELNS1_3repE0EEENS1_52radix_sort_onesweep_histogram_config_static_selectorELNS0_4arch9wavefront6targetE0EEEvSD_.num_agpr, 0
	.set _ZN7rocprim17ROCPRIM_400000_NS6detail17trampoline_kernelINS0_14default_configENS1_35radix_sort_onesweep_config_selectorIaNS0_10empty_typeEEEZNS1_34radix_sort_onesweep_global_offsetsIS3_Lb1EPKaPS5_mNS0_19identity_decomposerEEE10hipError_tT1_T2_PT3_SF_jT4_jjP12ihipStream_tbEUlT_E_NS1_11comp_targetILNS1_3genE10ELNS1_11target_archE1201ELNS1_3gpuE5ELNS1_3repE0EEENS1_52radix_sort_onesweep_histogram_config_static_selectorELNS0_4arch9wavefront6targetE0EEEvSD_.numbered_sgpr, 0
	.set _ZN7rocprim17ROCPRIM_400000_NS6detail17trampoline_kernelINS0_14default_configENS1_35radix_sort_onesweep_config_selectorIaNS0_10empty_typeEEEZNS1_34radix_sort_onesweep_global_offsetsIS3_Lb1EPKaPS5_mNS0_19identity_decomposerEEE10hipError_tT1_T2_PT3_SF_jT4_jjP12ihipStream_tbEUlT_E_NS1_11comp_targetILNS1_3genE10ELNS1_11target_archE1201ELNS1_3gpuE5ELNS1_3repE0EEENS1_52radix_sort_onesweep_histogram_config_static_selectorELNS0_4arch9wavefront6targetE0EEEvSD_.num_named_barrier, 0
	.set _ZN7rocprim17ROCPRIM_400000_NS6detail17trampoline_kernelINS0_14default_configENS1_35radix_sort_onesweep_config_selectorIaNS0_10empty_typeEEEZNS1_34radix_sort_onesweep_global_offsetsIS3_Lb1EPKaPS5_mNS0_19identity_decomposerEEE10hipError_tT1_T2_PT3_SF_jT4_jjP12ihipStream_tbEUlT_E_NS1_11comp_targetILNS1_3genE10ELNS1_11target_archE1201ELNS1_3gpuE5ELNS1_3repE0EEENS1_52radix_sort_onesweep_histogram_config_static_selectorELNS0_4arch9wavefront6targetE0EEEvSD_.private_seg_size, 0
	.set _ZN7rocprim17ROCPRIM_400000_NS6detail17trampoline_kernelINS0_14default_configENS1_35radix_sort_onesweep_config_selectorIaNS0_10empty_typeEEEZNS1_34radix_sort_onesweep_global_offsetsIS3_Lb1EPKaPS5_mNS0_19identity_decomposerEEE10hipError_tT1_T2_PT3_SF_jT4_jjP12ihipStream_tbEUlT_E_NS1_11comp_targetILNS1_3genE10ELNS1_11target_archE1201ELNS1_3gpuE5ELNS1_3repE0EEENS1_52radix_sort_onesweep_histogram_config_static_selectorELNS0_4arch9wavefront6targetE0EEEvSD_.uses_vcc, 0
	.set _ZN7rocprim17ROCPRIM_400000_NS6detail17trampoline_kernelINS0_14default_configENS1_35radix_sort_onesweep_config_selectorIaNS0_10empty_typeEEEZNS1_34radix_sort_onesweep_global_offsetsIS3_Lb1EPKaPS5_mNS0_19identity_decomposerEEE10hipError_tT1_T2_PT3_SF_jT4_jjP12ihipStream_tbEUlT_E_NS1_11comp_targetILNS1_3genE10ELNS1_11target_archE1201ELNS1_3gpuE5ELNS1_3repE0EEENS1_52radix_sort_onesweep_histogram_config_static_selectorELNS0_4arch9wavefront6targetE0EEEvSD_.uses_flat_scratch, 0
	.set _ZN7rocprim17ROCPRIM_400000_NS6detail17trampoline_kernelINS0_14default_configENS1_35radix_sort_onesweep_config_selectorIaNS0_10empty_typeEEEZNS1_34radix_sort_onesweep_global_offsetsIS3_Lb1EPKaPS5_mNS0_19identity_decomposerEEE10hipError_tT1_T2_PT3_SF_jT4_jjP12ihipStream_tbEUlT_E_NS1_11comp_targetILNS1_3genE10ELNS1_11target_archE1201ELNS1_3gpuE5ELNS1_3repE0EEENS1_52radix_sort_onesweep_histogram_config_static_selectorELNS0_4arch9wavefront6targetE0EEEvSD_.has_dyn_sized_stack, 0
	.set _ZN7rocprim17ROCPRIM_400000_NS6detail17trampoline_kernelINS0_14default_configENS1_35radix_sort_onesweep_config_selectorIaNS0_10empty_typeEEEZNS1_34radix_sort_onesweep_global_offsetsIS3_Lb1EPKaPS5_mNS0_19identity_decomposerEEE10hipError_tT1_T2_PT3_SF_jT4_jjP12ihipStream_tbEUlT_E_NS1_11comp_targetILNS1_3genE10ELNS1_11target_archE1201ELNS1_3gpuE5ELNS1_3repE0EEENS1_52radix_sort_onesweep_histogram_config_static_selectorELNS0_4arch9wavefront6targetE0EEEvSD_.has_recursion, 0
	.set _ZN7rocprim17ROCPRIM_400000_NS6detail17trampoline_kernelINS0_14default_configENS1_35radix_sort_onesweep_config_selectorIaNS0_10empty_typeEEEZNS1_34radix_sort_onesweep_global_offsetsIS3_Lb1EPKaPS5_mNS0_19identity_decomposerEEE10hipError_tT1_T2_PT3_SF_jT4_jjP12ihipStream_tbEUlT_E_NS1_11comp_targetILNS1_3genE10ELNS1_11target_archE1201ELNS1_3gpuE5ELNS1_3repE0EEENS1_52radix_sort_onesweep_histogram_config_static_selectorELNS0_4arch9wavefront6targetE0EEEvSD_.has_indirect_call, 0
	.section	.AMDGPU.csdata,"",@progbits
; Kernel info:
; codeLenInByte = 0
; TotalNumSgprs: 0
; NumVgprs: 0
; ScratchSize: 0
; MemoryBound: 0
; FloatMode: 240
; IeeeMode: 1
; LDSByteSize: 0 bytes/workgroup (compile time only)
; SGPRBlocks: 0
; VGPRBlocks: 0
; NumSGPRsForWavesPerEU: 1
; NumVGPRsForWavesPerEU: 1
; NamedBarCnt: 0
; Occupancy: 16
; WaveLimiterHint : 0
; COMPUTE_PGM_RSRC2:SCRATCH_EN: 0
; COMPUTE_PGM_RSRC2:USER_SGPR: 2
; COMPUTE_PGM_RSRC2:TRAP_HANDLER: 0
; COMPUTE_PGM_RSRC2:TGID_X_EN: 1
; COMPUTE_PGM_RSRC2:TGID_Y_EN: 0
; COMPUTE_PGM_RSRC2:TGID_Z_EN: 0
; COMPUTE_PGM_RSRC2:TIDIG_COMP_CNT: 0
	.section	.text._ZN7rocprim17ROCPRIM_400000_NS6detail17trampoline_kernelINS0_14default_configENS1_35radix_sort_onesweep_config_selectorIaNS0_10empty_typeEEEZNS1_34radix_sort_onesweep_global_offsetsIS3_Lb1EPKaPS5_mNS0_19identity_decomposerEEE10hipError_tT1_T2_PT3_SF_jT4_jjP12ihipStream_tbEUlT_E_NS1_11comp_targetILNS1_3genE9ELNS1_11target_archE1100ELNS1_3gpuE3ELNS1_3repE0EEENS1_52radix_sort_onesweep_histogram_config_static_selectorELNS0_4arch9wavefront6targetE0EEEvSD_,"axG",@progbits,_ZN7rocprim17ROCPRIM_400000_NS6detail17trampoline_kernelINS0_14default_configENS1_35radix_sort_onesweep_config_selectorIaNS0_10empty_typeEEEZNS1_34radix_sort_onesweep_global_offsetsIS3_Lb1EPKaPS5_mNS0_19identity_decomposerEEE10hipError_tT1_T2_PT3_SF_jT4_jjP12ihipStream_tbEUlT_E_NS1_11comp_targetILNS1_3genE9ELNS1_11target_archE1100ELNS1_3gpuE3ELNS1_3repE0EEENS1_52radix_sort_onesweep_histogram_config_static_selectorELNS0_4arch9wavefront6targetE0EEEvSD_,comdat
	.protected	_ZN7rocprim17ROCPRIM_400000_NS6detail17trampoline_kernelINS0_14default_configENS1_35radix_sort_onesweep_config_selectorIaNS0_10empty_typeEEEZNS1_34radix_sort_onesweep_global_offsetsIS3_Lb1EPKaPS5_mNS0_19identity_decomposerEEE10hipError_tT1_T2_PT3_SF_jT4_jjP12ihipStream_tbEUlT_E_NS1_11comp_targetILNS1_3genE9ELNS1_11target_archE1100ELNS1_3gpuE3ELNS1_3repE0EEENS1_52radix_sort_onesweep_histogram_config_static_selectorELNS0_4arch9wavefront6targetE0EEEvSD_ ; -- Begin function _ZN7rocprim17ROCPRIM_400000_NS6detail17trampoline_kernelINS0_14default_configENS1_35radix_sort_onesweep_config_selectorIaNS0_10empty_typeEEEZNS1_34radix_sort_onesweep_global_offsetsIS3_Lb1EPKaPS5_mNS0_19identity_decomposerEEE10hipError_tT1_T2_PT3_SF_jT4_jjP12ihipStream_tbEUlT_E_NS1_11comp_targetILNS1_3genE9ELNS1_11target_archE1100ELNS1_3gpuE3ELNS1_3repE0EEENS1_52radix_sort_onesweep_histogram_config_static_selectorELNS0_4arch9wavefront6targetE0EEEvSD_
	.globl	_ZN7rocprim17ROCPRIM_400000_NS6detail17trampoline_kernelINS0_14default_configENS1_35radix_sort_onesweep_config_selectorIaNS0_10empty_typeEEEZNS1_34radix_sort_onesweep_global_offsetsIS3_Lb1EPKaPS5_mNS0_19identity_decomposerEEE10hipError_tT1_T2_PT3_SF_jT4_jjP12ihipStream_tbEUlT_E_NS1_11comp_targetILNS1_3genE9ELNS1_11target_archE1100ELNS1_3gpuE3ELNS1_3repE0EEENS1_52radix_sort_onesweep_histogram_config_static_selectorELNS0_4arch9wavefront6targetE0EEEvSD_
	.p2align	8
	.type	_ZN7rocprim17ROCPRIM_400000_NS6detail17trampoline_kernelINS0_14default_configENS1_35radix_sort_onesweep_config_selectorIaNS0_10empty_typeEEEZNS1_34radix_sort_onesweep_global_offsetsIS3_Lb1EPKaPS5_mNS0_19identity_decomposerEEE10hipError_tT1_T2_PT3_SF_jT4_jjP12ihipStream_tbEUlT_E_NS1_11comp_targetILNS1_3genE9ELNS1_11target_archE1100ELNS1_3gpuE3ELNS1_3repE0EEENS1_52radix_sort_onesweep_histogram_config_static_selectorELNS0_4arch9wavefront6targetE0EEEvSD_,@function
_ZN7rocprim17ROCPRIM_400000_NS6detail17trampoline_kernelINS0_14default_configENS1_35radix_sort_onesweep_config_selectorIaNS0_10empty_typeEEEZNS1_34radix_sort_onesweep_global_offsetsIS3_Lb1EPKaPS5_mNS0_19identity_decomposerEEE10hipError_tT1_T2_PT3_SF_jT4_jjP12ihipStream_tbEUlT_E_NS1_11comp_targetILNS1_3genE9ELNS1_11target_archE1100ELNS1_3gpuE3ELNS1_3repE0EEENS1_52radix_sort_onesweep_histogram_config_static_selectorELNS0_4arch9wavefront6targetE0EEEvSD_: ; @_ZN7rocprim17ROCPRIM_400000_NS6detail17trampoline_kernelINS0_14default_configENS1_35radix_sort_onesweep_config_selectorIaNS0_10empty_typeEEEZNS1_34radix_sort_onesweep_global_offsetsIS3_Lb1EPKaPS5_mNS0_19identity_decomposerEEE10hipError_tT1_T2_PT3_SF_jT4_jjP12ihipStream_tbEUlT_E_NS1_11comp_targetILNS1_3genE9ELNS1_11target_archE1100ELNS1_3gpuE3ELNS1_3repE0EEENS1_52radix_sort_onesweep_histogram_config_static_selectorELNS0_4arch9wavefront6targetE0EEEvSD_
; %bb.0:
	.section	.rodata,"a",@progbits
	.p2align	6, 0x0
	.amdhsa_kernel _ZN7rocprim17ROCPRIM_400000_NS6detail17trampoline_kernelINS0_14default_configENS1_35radix_sort_onesweep_config_selectorIaNS0_10empty_typeEEEZNS1_34radix_sort_onesweep_global_offsetsIS3_Lb1EPKaPS5_mNS0_19identity_decomposerEEE10hipError_tT1_T2_PT3_SF_jT4_jjP12ihipStream_tbEUlT_E_NS1_11comp_targetILNS1_3genE9ELNS1_11target_archE1100ELNS1_3gpuE3ELNS1_3repE0EEENS1_52radix_sort_onesweep_histogram_config_static_selectorELNS0_4arch9wavefront6targetE0EEEvSD_
		.amdhsa_group_segment_fixed_size 0
		.amdhsa_private_segment_fixed_size 0
		.amdhsa_kernarg_size 48
		.amdhsa_user_sgpr_count 2
		.amdhsa_user_sgpr_dispatch_ptr 0
		.amdhsa_user_sgpr_queue_ptr 0
		.amdhsa_user_sgpr_kernarg_segment_ptr 1
		.amdhsa_user_sgpr_dispatch_id 0
		.amdhsa_user_sgpr_kernarg_preload_length 0
		.amdhsa_user_sgpr_kernarg_preload_offset 0
		.amdhsa_user_sgpr_private_segment_size 0
		.amdhsa_wavefront_size32 1
		.amdhsa_uses_dynamic_stack 0
		.amdhsa_enable_private_segment 0
		.amdhsa_system_sgpr_workgroup_id_x 1
		.amdhsa_system_sgpr_workgroup_id_y 0
		.amdhsa_system_sgpr_workgroup_id_z 0
		.amdhsa_system_sgpr_workgroup_info 0
		.amdhsa_system_vgpr_workitem_id 0
		.amdhsa_next_free_vgpr 1
		.amdhsa_next_free_sgpr 1
		.amdhsa_named_barrier_count 0
		.amdhsa_reserve_vcc 0
		.amdhsa_float_round_mode_32 0
		.amdhsa_float_round_mode_16_64 0
		.amdhsa_float_denorm_mode_32 3
		.amdhsa_float_denorm_mode_16_64 3
		.amdhsa_fp16_overflow 0
		.amdhsa_memory_ordered 1
		.amdhsa_forward_progress 1
		.amdhsa_inst_pref_size 0
		.amdhsa_round_robin_scheduling 0
		.amdhsa_exception_fp_ieee_invalid_op 0
		.amdhsa_exception_fp_denorm_src 0
		.amdhsa_exception_fp_ieee_div_zero 0
		.amdhsa_exception_fp_ieee_overflow 0
		.amdhsa_exception_fp_ieee_underflow 0
		.amdhsa_exception_fp_ieee_inexact 0
		.amdhsa_exception_int_div_zero 0
	.end_amdhsa_kernel
	.section	.text._ZN7rocprim17ROCPRIM_400000_NS6detail17trampoline_kernelINS0_14default_configENS1_35radix_sort_onesweep_config_selectorIaNS0_10empty_typeEEEZNS1_34radix_sort_onesweep_global_offsetsIS3_Lb1EPKaPS5_mNS0_19identity_decomposerEEE10hipError_tT1_T2_PT3_SF_jT4_jjP12ihipStream_tbEUlT_E_NS1_11comp_targetILNS1_3genE9ELNS1_11target_archE1100ELNS1_3gpuE3ELNS1_3repE0EEENS1_52radix_sort_onesweep_histogram_config_static_selectorELNS0_4arch9wavefront6targetE0EEEvSD_,"axG",@progbits,_ZN7rocprim17ROCPRIM_400000_NS6detail17trampoline_kernelINS0_14default_configENS1_35radix_sort_onesweep_config_selectorIaNS0_10empty_typeEEEZNS1_34radix_sort_onesweep_global_offsetsIS3_Lb1EPKaPS5_mNS0_19identity_decomposerEEE10hipError_tT1_T2_PT3_SF_jT4_jjP12ihipStream_tbEUlT_E_NS1_11comp_targetILNS1_3genE9ELNS1_11target_archE1100ELNS1_3gpuE3ELNS1_3repE0EEENS1_52radix_sort_onesweep_histogram_config_static_selectorELNS0_4arch9wavefront6targetE0EEEvSD_,comdat
.Lfunc_end336:
	.size	_ZN7rocprim17ROCPRIM_400000_NS6detail17trampoline_kernelINS0_14default_configENS1_35radix_sort_onesweep_config_selectorIaNS0_10empty_typeEEEZNS1_34radix_sort_onesweep_global_offsetsIS3_Lb1EPKaPS5_mNS0_19identity_decomposerEEE10hipError_tT1_T2_PT3_SF_jT4_jjP12ihipStream_tbEUlT_E_NS1_11comp_targetILNS1_3genE9ELNS1_11target_archE1100ELNS1_3gpuE3ELNS1_3repE0EEENS1_52radix_sort_onesweep_histogram_config_static_selectorELNS0_4arch9wavefront6targetE0EEEvSD_, .Lfunc_end336-_ZN7rocprim17ROCPRIM_400000_NS6detail17trampoline_kernelINS0_14default_configENS1_35radix_sort_onesweep_config_selectorIaNS0_10empty_typeEEEZNS1_34radix_sort_onesweep_global_offsetsIS3_Lb1EPKaPS5_mNS0_19identity_decomposerEEE10hipError_tT1_T2_PT3_SF_jT4_jjP12ihipStream_tbEUlT_E_NS1_11comp_targetILNS1_3genE9ELNS1_11target_archE1100ELNS1_3gpuE3ELNS1_3repE0EEENS1_52radix_sort_onesweep_histogram_config_static_selectorELNS0_4arch9wavefront6targetE0EEEvSD_
                                        ; -- End function
	.set _ZN7rocprim17ROCPRIM_400000_NS6detail17trampoline_kernelINS0_14default_configENS1_35radix_sort_onesweep_config_selectorIaNS0_10empty_typeEEEZNS1_34radix_sort_onesweep_global_offsetsIS3_Lb1EPKaPS5_mNS0_19identity_decomposerEEE10hipError_tT1_T2_PT3_SF_jT4_jjP12ihipStream_tbEUlT_E_NS1_11comp_targetILNS1_3genE9ELNS1_11target_archE1100ELNS1_3gpuE3ELNS1_3repE0EEENS1_52radix_sort_onesweep_histogram_config_static_selectorELNS0_4arch9wavefront6targetE0EEEvSD_.num_vgpr, 0
	.set _ZN7rocprim17ROCPRIM_400000_NS6detail17trampoline_kernelINS0_14default_configENS1_35radix_sort_onesweep_config_selectorIaNS0_10empty_typeEEEZNS1_34radix_sort_onesweep_global_offsetsIS3_Lb1EPKaPS5_mNS0_19identity_decomposerEEE10hipError_tT1_T2_PT3_SF_jT4_jjP12ihipStream_tbEUlT_E_NS1_11comp_targetILNS1_3genE9ELNS1_11target_archE1100ELNS1_3gpuE3ELNS1_3repE0EEENS1_52radix_sort_onesweep_histogram_config_static_selectorELNS0_4arch9wavefront6targetE0EEEvSD_.num_agpr, 0
	.set _ZN7rocprim17ROCPRIM_400000_NS6detail17trampoline_kernelINS0_14default_configENS1_35radix_sort_onesweep_config_selectorIaNS0_10empty_typeEEEZNS1_34radix_sort_onesweep_global_offsetsIS3_Lb1EPKaPS5_mNS0_19identity_decomposerEEE10hipError_tT1_T2_PT3_SF_jT4_jjP12ihipStream_tbEUlT_E_NS1_11comp_targetILNS1_3genE9ELNS1_11target_archE1100ELNS1_3gpuE3ELNS1_3repE0EEENS1_52radix_sort_onesweep_histogram_config_static_selectorELNS0_4arch9wavefront6targetE0EEEvSD_.numbered_sgpr, 0
	.set _ZN7rocprim17ROCPRIM_400000_NS6detail17trampoline_kernelINS0_14default_configENS1_35radix_sort_onesweep_config_selectorIaNS0_10empty_typeEEEZNS1_34radix_sort_onesweep_global_offsetsIS3_Lb1EPKaPS5_mNS0_19identity_decomposerEEE10hipError_tT1_T2_PT3_SF_jT4_jjP12ihipStream_tbEUlT_E_NS1_11comp_targetILNS1_3genE9ELNS1_11target_archE1100ELNS1_3gpuE3ELNS1_3repE0EEENS1_52radix_sort_onesweep_histogram_config_static_selectorELNS0_4arch9wavefront6targetE0EEEvSD_.num_named_barrier, 0
	.set _ZN7rocprim17ROCPRIM_400000_NS6detail17trampoline_kernelINS0_14default_configENS1_35radix_sort_onesweep_config_selectorIaNS0_10empty_typeEEEZNS1_34radix_sort_onesweep_global_offsetsIS3_Lb1EPKaPS5_mNS0_19identity_decomposerEEE10hipError_tT1_T2_PT3_SF_jT4_jjP12ihipStream_tbEUlT_E_NS1_11comp_targetILNS1_3genE9ELNS1_11target_archE1100ELNS1_3gpuE3ELNS1_3repE0EEENS1_52radix_sort_onesweep_histogram_config_static_selectorELNS0_4arch9wavefront6targetE0EEEvSD_.private_seg_size, 0
	.set _ZN7rocprim17ROCPRIM_400000_NS6detail17trampoline_kernelINS0_14default_configENS1_35radix_sort_onesweep_config_selectorIaNS0_10empty_typeEEEZNS1_34radix_sort_onesweep_global_offsetsIS3_Lb1EPKaPS5_mNS0_19identity_decomposerEEE10hipError_tT1_T2_PT3_SF_jT4_jjP12ihipStream_tbEUlT_E_NS1_11comp_targetILNS1_3genE9ELNS1_11target_archE1100ELNS1_3gpuE3ELNS1_3repE0EEENS1_52radix_sort_onesweep_histogram_config_static_selectorELNS0_4arch9wavefront6targetE0EEEvSD_.uses_vcc, 0
	.set _ZN7rocprim17ROCPRIM_400000_NS6detail17trampoline_kernelINS0_14default_configENS1_35radix_sort_onesweep_config_selectorIaNS0_10empty_typeEEEZNS1_34radix_sort_onesweep_global_offsetsIS3_Lb1EPKaPS5_mNS0_19identity_decomposerEEE10hipError_tT1_T2_PT3_SF_jT4_jjP12ihipStream_tbEUlT_E_NS1_11comp_targetILNS1_3genE9ELNS1_11target_archE1100ELNS1_3gpuE3ELNS1_3repE0EEENS1_52radix_sort_onesweep_histogram_config_static_selectorELNS0_4arch9wavefront6targetE0EEEvSD_.uses_flat_scratch, 0
	.set _ZN7rocprim17ROCPRIM_400000_NS6detail17trampoline_kernelINS0_14default_configENS1_35radix_sort_onesweep_config_selectorIaNS0_10empty_typeEEEZNS1_34radix_sort_onesweep_global_offsetsIS3_Lb1EPKaPS5_mNS0_19identity_decomposerEEE10hipError_tT1_T2_PT3_SF_jT4_jjP12ihipStream_tbEUlT_E_NS1_11comp_targetILNS1_3genE9ELNS1_11target_archE1100ELNS1_3gpuE3ELNS1_3repE0EEENS1_52radix_sort_onesweep_histogram_config_static_selectorELNS0_4arch9wavefront6targetE0EEEvSD_.has_dyn_sized_stack, 0
	.set _ZN7rocprim17ROCPRIM_400000_NS6detail17trampoline_kernelINS0_14default_configENS1_35radix_sort_onesweep_config_selectorIaNS0_10empty_typeEEEZNS1_34radix_sort_onesweep_global_offsetsIS3_Lb1EPKaPS5_mNS0_19identity_decomposerEEE10hipError_tT1_T2_PT3_SF_jT4_jjP12ihipStream_tbEUlT_E_NS1_11comp_targetILNS1_3genE9ELNS1_11target_archE1100ELNS1_3gpuE3ELNS1_3repE0EEENS1_52radix_sort_onesweep_histogram_config_static_selectorELNS0_4arch9wavefront6targetE0EEEvSD_.has_recursion, 0
	.set _ZN7rocprim17ROCPRIM_400000_NS6detail17trampoline_kernelINS0_14default_configENS1_35radix_sort_onesweep_config_selectorIaNS0_10empty_typeEEEZNS1_34radix_sort_onesweep_global_offsetsIS3_Lb1EPKaPS5_mNS0_19identity_decomposerEEE10hipError_tT1_T2_PT3_SF_jT4_jjP12ihipStream_tbEUlT_E_NS1_11comp_targetILNS1_3genE9ELNS1_11target_archE1100ELNS1_3gpuE3ELNS1_3repE0EEENS1_52radix_sort_onesweep_histogram_config_static_selectorELNS0_4arch9wavefront6targetE0EEEvSD_.has_indirect_call, 0
	.section	.AMDGPU.csdata,"",@progbits
; Kernel info:
; codeLenInByte = 0
; TotalNumSgprs: 0
; NumVgprs: 0
; ScratchSize: 0
; MemoryBound: 0
; FloatMode: 240
; IeeeMode: 1
; LDSByteSize: 0 bytes/workgroup (compile time only)
; SGPRBlocks: 0
; VGPRBlocks: 0
; NumSGPRsForWavesPerEU: 1
; NumVGPRsForWavesPerEU: 1
; NamedBarCnt: 0
; Occupancy: 16
; WaveLimiterHint : 0
; COMPUTE_PGM_RSRC2:SCRATCH_EN: 0
; COMPUTE_PGM_RSRC2:USER_SGPR: 2
; COMPUTE_PGM_RSRC2:TRAP_HANDLER: 0
; COMPUTE_PGM_RSRC2:TGID_X_EN: 1
; COMPUTE_PGM_RSRC2:TGID_Y_EN: 0
; COMPUTE_PGM_RSRC2:TGID_Z_EN: 0
; COMPUTE_PGM_RSRC2:TIDIG_COMP_CNT: 0
	.section	.text._ZN7rocprim17ROCPRIM_400000_NS6detail17trampoline_kernelINS0_14default_configENS1_35radix_sort_onesweep_config_selectorIaNS0_10empty_typeEEEZNS1_34radix_sort_onesweep_global_offsetsIS3_Lb1EPKaPS5_mNS0_19identity_decomposerEEE10hipError_tT1_T2_PT3_SF_jT4_jjP12ihipStream_tbEUlT_E_NS1_11comp_targetILNS1_3genE8ELNS1_11target_archE1030ELNS1_3gpuE2ELNS1_3repE0EEENS1_52radix_sort_onesweep_histogram_config_static_selectorELNS0_4arch9wavefront6targetE0EEEvSD_,"axG",@progbits,_ZN7rocprim17ROCPRIM_400000_NS6detail17trampoline_kernelINS0_14default_configENS1_35radix_sort_onesweep_config_selectorIaNS0_10empty_typeEEEZNS1_34radix_sort_onesweep_global_offsetsIS3_Lb1EPKaPS5_mNS0_19identity_decomposerEEE10hipError_tT1_T2_PT3_SF_jT4_jjP12ihipStream_tbEUlT_E_NS1_11comp_targetILNS1_3genE8ELNS1_11target_archE1030ELNS1_3gpuE2ELNS1_3repE0EEENS1_52radix_sort_onesweep_histogram_config_static_selectorELNS0_4arch9wavefront6targetE0EEEvSD_,comdat
	.protected	_ZN7rocprim17ROCPRIM_400000_NS6detail17trampoline_kernelINS0_14default_configENS1_35radix_sort_onesweep_config_selectorIaNS0_10empty_typeEEEZNS1_34radix_sort_onesweep_global_offsetsIS3_Lb1EPKaPS5_mNS0_19identity_decomposerEEE10hipError_tT1_T2_PT3_SF_jT4_jjP12ihipStream_tbEUlT_E_NS1_11comp_targetILNS1_3genE8ELNS1_11target_archE1030ELNS1_3gpuE2ELNS1_3repE0EEENS1_52radix_sort_onesweep_histogram_config_static_selectorELNS0_4arch9wavefront6targetE0EEEvSD_ ; -- Begin function _ZN7rocprim17ROCPRIM_400000_NS6detail17trampoline_kernelINS0_14default_configENS1_35radix_sort_onesweep_config_selectorIaNS0_10empty_typeEEEZNS1_34radix_sort_onesweep_global_offsetsIS3_Lb1EPKaPS5_mNS0_19identity_decomposerEEE10hipError_tT1_T2_PT3_SF_jT4_jjP12ihipStream_tbEUlT_E_NS1_11comp_targetILNS1_3genE8ELNS1_11target_archE1030ELNS1_3gpuE2ELNS1_3repE0EEENS1_52radix_sort_onesweep_histogram_config_static_selectorELNS0_4arch9wavefront6targetE0EEEvSD_
	.globl	_ZN7rocprim17ROCPRIM_400000_NS6detail17trampoline_kernelINS0_14default_configENS1_35radix_sort_onesweep_config_selectorIaNS0_10empty_typeEEEZNS1_34radix_sort_onesweep_global_offsetsIS3_Lb1EPKaPS5_mNS0_19identity_decomposerEEE10hipError_tT1_T2_PT3_SF_jT4_jjP12ihipStream_tbEUlT_E_NS1_11comp_targetILNS1_3genE8ELNS1_11target_archE1030ELNS1_3gpuE2ELNS1_3repE0EEENS1_52radix_sort_onesweep_histogram_config_static_selectorELNS0_4arch9wavefront6targetE0EEEvSD_
	.p2align	8
	.type	_ZN7rocprim17ROCPRIM_400000_NS6detail17trampoline_kernelINS0_14default_configENS1_35radix_sort_onesweep_config_selectorIaNS0_10empty_typeEEEZNS1_34radix_sort_onesweep_global_offsetsIS3_Lb1EPKaPS5_mNS0_19identity_decomposerEEE10hipError_tT1_T2_PT3_SF_jT4_jjP12ihipStream_tbEUlT_E_NS1_11comp_targetILNS1_3genE8ELNS1_11target_archE1030ELNS1_3gpuE2ELNS1_3repE0EEENS1_52radix_sort_onesweep_histogram_config_static_selectorELNS0_4arch9wavefront6targetE0EEEvSD_,@function
_ZN7rocprim17ROCPRIM_400000_NS6detail17trampoline_kernelINS0_14default_configENS1_35radix_sort_onesweep_config_selectorIaNS0_10empty_typeEEEZNS1_34radix_sort_onesweep_global_offsetsIS3_Lb1EPKaPS5_mNS0_19identity_decomposerEEE10hipError_tT1_T2_PT3_SF_jT4_jjP12ihipStream_tbEUlT_E_NS1_11comp_targetILNS1_3genE8ELNS1_11target_archE1030ELNS1_3gpuE2ELNS1_3repE0EEENS1_52radix_sort_onesweep_histogram_config_static_selectorELNS0_4arch9wavefront6targetE0EEEvSD_: ; @_ZN7rocprim17ROCPRIM_400000_NS6detail17trampoline_kernelINS0_14default_configENS1_35radix_sort_onesweep_config_selectorIaNS0_10empty_typeEEEZNS1_34radix_sort_onesweep_global_offsetsIS3_Lb1EPKaPS5_mNS0_19identity_decomposerEEE10hipError_tT1_T2_PT3_SF_jT4_jjP12ihipStream_tbEUlT_E_NS1_11comp_targetILNS1_3genE8ELNS1_11target_archE1030ELNS1_3gpuE2ELNS1_3repE0EEENS1_52radix_sort_onesweep_histogram_config_static_selectorELNS0_4arch9wavefront6targetE0EEEvSD_
; %bb.0:
	.section	.rodata,"a",@progbits
	.p2align	6, 0x0
	.amdhsa_kernel _ZN7rocprim17ROCPRIM_400000_NS6detail17trampoline_kernelINS0_14default_configENS1_35radix_sort_onesweep_config_selectorIaNS0_10empty_typeEEEZNS1_34radix_sort_onesweep_global_offsetsIS3_Lb1EPKaPS5_mNS0_19identity_decomposerEEE10hipError_tT1_T2_PT3_SF_jT4_jjP12ihipStream_tbEUlT_E_NS1_11comp_targetILNS1_3genE8ELNS1_11target_archE1030ELNS1_3gpuE2ELNS1_3repE0EEENS1_52radix_sort_onesweep_histogram_config_static_selectorELNS0_4arch9wavefront6targetE0EEEvSD_
		.amdhsa_group_segment_fixed_size 0
		.amdhsa_private_segment_fixed_size 0
		.amdhsa_kernarg_size 48
		.amdhsa_user_sgpr_count 2
		.amdhsa_user_sgpr_dispatch_ptr 0
		.amdhsa_user_sgpr_queue_ptr 0
		.amdhsa_user_sgpr_kernarg_segment_ptr 1
		.amdhsa_user_sgpr_dispatch_id 0
		.amdhsa_user_sgpr_kernarg_preload_length 0
		.amdhsa_user_sgpr_kernarg_preload_offset 0
		.amdhsa_user_sgpr_private_segment_size 0
		.amdhsa_wavefront_size32 1
		.amdhsa_uses_dynamic_stack 0
		.amdhsa_enable_private_segment 0
		.amdhsa_system_sgpr_workgroup_id_x 1
		.amdhsa_system_sgpr_workgroup_id_y 0
		.amdhsa_system_sgpr_workgroup_id_z 0
		.amdhsa_system_sgpr_workgroup_info 0
		.amdhsa_system_vgpr_workitem_id 0
		.amdhsa_next_free_vgpr 1
		.amdhsa_next_free_sgpr 1
		.amdhsa_named_barrier_count 0
		.amdhsa_reserve_vcc 0
		.amdhsa_float_round_mode_32 0
		.amdhsa_float_round_mode_16_64 0
		.amdhsa_float_denorm_mode_32 3
		.amdhsa_float_denorm_mode_16_64 3
		.amdhsa_fp16_overflow 0
		.amdhsa_memory_ordered 1
		.amdhsa_forward_progress 1
		.amdhsa_inst_pref_size 0
		.amdhsa_round_robin_scheduling 0
		.amdhsa_exception_fp_ieee_invalid_op 0
		.amdhsa_exception_fp_denorm_src 0
		.amdhsa_exception_fp_ieee_div_zero 0
		.amdhsa_exception_fp_ieee_overflow 0
		.amdhsa_exception_fp_ieee_underflow 0
		.amdhsa_exception_fp_ieee_inexact 0
		.amdhsa_exception_int_div_zero 0
	.end_amdhsa_kernel
	.section	.text._ZN7rocprim17ROCPRIM_400000_NS6detail17trampoline_kernelINS0_14default_configENS1_35radix_sort_onesweep_config_selectorIaNS0_10empty_typeEEEZNS1_34radix_sort_onesweep_global_offsetsIS3_Lb1EPKaPS5_mNS0_19identity_decomposerEEE10hipError_tT1_T2_PT3_SF_jT4_jjP12ihipStream_tbEUlT_E_NS1_11comp_targetILNS1_3genE8ELNS1_11target_archE1030ELNS1_3gpuE2ELNS1_3repE0EEENS1_52radix_sort_onesweep_histogram_config_static_selectorELNS0_4arch9wavefront6targetE0EEEvSD_,"axG",@progbits,_ZN7rocprim17ROCPRIM_400000_NS6detail17trampoline_kernelINS0_14default_configENS1_35radix_sort_onesweep_config_selectorIaNS0_10empty_typeEEEZNS1_34radix_sort_onesweep_global_offsetsIS3_Lb1EPKaPS5_mNS0_19identity_decomposerEEE10hipError_tT1_T2_PT3_SF_jT4_jjP12ihipStream_tbEUlT_E_NS1_11comp_targetILNS1_3genE8ELNS1_11target_archE1030ELNS1_3gpuE2ELNS1_3repE0EEENS1_52radix_sort_onesweep_histogram_config_static_selectorELNS0_4arch9wavefront6targetE0EEEvSD_,comdat
.Lfunc_end337:
	.size	_ZN7rocprim17ROCPRIM_400000_NS6detail17trampoline_kernelINS0_14default_configENS1_35radix_sort_onesweep_config_selectorIaNS0_10empty_typeEEEZNS1_34radix_sort_onesweep_global_offsetsIS3_Lb1EPKaPS5_mNS0_19identity_decomposerEEE10hipError_tT1_T2_PT3_SF_jT4_jjP12ihipStream_tbEUlT_E_NS1_11comp_targetILNS1_3genE8ELNS1_11target_archE1030ELNS1_3gpuE2ELNS1_3repE0EEENS1_52radix_sort_onesweep_histogram_config_static_selectorELNS0_4arch9wavefront6targetE0EEEvSD_, .Lfunc_end337-_ZN7rocprim17ROCPRIM_400000_NS6detail17trampoline_kernelINS0_14default_configENS1_35radix_sort_onesweep_config_selectorIaNS0_10empty_typeEEEZNS1_34radix_sort_onesweep_global_offsetsIS3_Lb1EPKaPS5_mNS0_19identity_decomposerEEE10hipError_tT1_T2_PT3_SF_jT4_jjP12ihipStream_tbEUlT_E_NS1_11comp_targetILNS1_3genE8ELNS1_11target_archE1030ELNS1_3gpuE2ELNS1_3repE0EEENS1_52radix_sort_onesweep_histogram_config_static_selectorELNS0_4arch9wavefront6targetE0EEEvSD_
                                        ; -- End function
	.set _ZN7rocprim17ROCPRIM_400000_NS6detail17trampoline_kernelINS0_14default_configENS1_35radix_sort_onesweep_config_selectorIaNS0_10empty_typeEEEZNS1_34radix_sort_onesweep_global_offsetsIS3_Lb1EPKaPS5_mNS0_19identity_decomposerEEE10hipError_tT1_T2_PT3_SF_jT4_jjP12ihipStream_tbEUlT_E_NS1_11comp_targetILNS1_3genE8ELNS1_11target_archE1030ELNS1_3gpuE2ELNS1_3repE0EEENS1_52radix_sort_onesweep_histogram_config_static_selectorELNS0_4arch9wavefront6targetE0EEEvSD_.num_vgpr, 0
	.set _ZN7rocprim17ROCPRIM_400000_NS6detail17trampoline_kernelINS0_14default_configENS1_35radix_sort_onesweep_config_selectorIaNS0_10empty_typeEEEZNS1_34radix_sort_onesweep_global_offsetsIS3_Lb1EPKaPS5_mNS0_19identity_decomposerEEE10hipError_tT1_T2_PT3_SF_jT4_jjP12ihipStream_tbEUlT_E_NS1_11comp_targetILNS1_3genE8ELNS1_11target_archE1030ELNS1_3gpuE2ELNS1_3repE0EEENS1_52radix_sort_onesweep_histogram_config_static_selectorELNS0_4arch9wavefront6targetE0EEEvSD_.num_agpr, 0
	.set _ZN7rocprim17ROCPRIM_400000_NS6detail17trampoline_kernelINS0_14default_configENS1_35radix_sort_onesweep_config_selectorIaNS0_10empty_typeEEEZNS1_34radix_sort_onesweep_global_offsetsIS3_Lb1EPKaPS5_mNS0_19identity_decomposerEEE10hipError_tT1_T2_PT3_SF_jT4_jjP12ihipStream_tbEUlT_E_NS1_11comp_targetILNS1_3genE8ELNS1_11target_archE1030ELNS1_3gpuE2ELNS1_3repE0EEENS1_52radix_sort_onesweep_histogram_config_static_selectorELNS0_4arch9wavefront6targetE0EEEvSD_.numbered_sgpr, 0
	.set _ZN7rocprim17ROCPRIM_400000_NS6detail17trampoline_kernelINS0_14default_configENS1_35radix_sort_onesweep_config_selectorIaNS0_10empty_typeEEEZNS1_34radix_sort_onesweep_global_offsetsIS3_Lb1EPKaPS5_mNS0_19identity_decomposerEEE10hipError_tT1_T2_PT3_SF_jT4_jjP12ihipStream_tbEUlT_E_NS1_11comp_targetILNS1_3genE8ELNS1_11target_archE1030ELNS1_3gpuE2ELNS1_3repE0EEENS1_52radix_sort_onesweep_histogram_config_static_selectorELNS0_4arch9wavefront6targetE0EEEvSD_.num_named_barrier, 0
	.set _ZN7rocprim17ROCPRIM_400000_NS6detail17trampoline_kernelINS0_14default_configENS1_35radix_sort_onesweep_config_selectorIaNS0_10empty_typeEEEZNS1_34radix_sort_onesweep_global_offsetsIS3_Lb1EPKaPS5_mNS0_19identity_decomposerEEE10hipError_tT1_T2_PT3_SF_jT4_jjP12ihipStream_tbEUlT_E_NS1_11comp_targetILNS1_3genE8ELNS1_11target_archE1030ELNS1_3gpuE2ELNS1_3repE0EEENS1_52radix_sort_onesweep_histogram_config_static_selectorELNS0_4arch9wavefront6targetE0EEEvSD_.private_seg_size, 0
	.set _ZN7rocprim17ROCPRIM_400000_NS6detail17trampoline_kernelINS0_14default_configENS1_35radix_sort_onesweep_config_selectorIaNS0_10empty_typeEEEZNS1_34radix_sort_onesweep_global_offsetsIS3_Lb1EPKaPS5_mNS0_19identity_decomposerEEE10hipError_tT1_T2_PT3_SF_jT4_jjP12ihipStream_tbEUlT_E_NS1_11comp_targetILNS1_3genE8ELNS1_11target_archE1030ELNS1_3gpuE2ELNS1_3repE0EEENS1_52radix_sort_onesweep_histogram_config_static_selectorELNS0_4arch9wavefront6targetE0EEEvSD_.uses_vcc, 0
	.set _ZN7rocprim17ROCPRIM_400000_NS6detail17trampoline_kernelINS0_14default_configENS1_35radix_sort_onesweep_config_selectorIaNS0_10empty_typeEEEZNS1_34radix_sort_onesweep_global_offsetsIS3_Lb1EPKaPS5_mNS0_19identity_decomposerEEE10hipError_tT1_T2_PT3_SF_jT4_jjP12ihipStream_tbEUlT_E_NS1_11comp_targetILNS1_3genE8ELNS1_11target_archE1030ELNS1_3gpuE2ELNS1_3repE0EEENS1_52radix_sort_onesweep_histogram_config_static_selectorELNS0_4arch9wavefront6targetE0EEEvSD_.uses_flat_scratch, 0
	.set _ZN7rocprim17ROCPRIM_400000_NS6detail17trampoline_kernelINS0_14default_configENS1_35radix_sort_onesweep_config_selectorIaNS0_10empty_typeEEEZNS1_34radix_sort_onesweep_global_offsetsIS3_Lb1EPKaPS5_mNS0_19identity_decomposerEEE10hipError_tT1_T2_PT3_SF_jT4_jjP12ihipStream_tbEUlT_E_NS1_11comp_targetILNS1_3genE8ELNS1_11target_archE1030ELNS1_3gpuE2ELNS1_3repE0EEENS1_52radix_sort_onesweep_histogram_config_static_selectorELNS0_4arch9wavefront6targetE0EEEvSD_.has_dyn_sized_stack, 0
	.set _ZN7rocprim17ROCPRIM_400000_NS6detail17trampoline_kernelINS0_14default_configENS1_35radix_sort_onesweep_config_selectorIaNS0_10empty_typeEEEZNS1_34radix_sort_onesweep_global_offsetsIS3_Lb1EPKaPS5_mNS0_19identity_decomposerEEE10hipError_tT1_T2_PT3_SF_jT4_jjP12ihipStream_tbEUlT_E_NS1_11comp_targetILNS1_3genE8ELNS1_11target_archE1030ELNS1_3gpuE2ELNS1_3repE0EEENS1_52radix_sort_onesweep_histogram_config_static_selectorELNS0_4arch9wavefront6targetE0EEEvSD_.has_recursion, 0
	.set _ZN7rocprim17ROCPRIM_400000_NS6detail17trampoline_kernelINS0_14default_configENS1_35radix_sort_onesweep_config_selectorIaNS0_10empty_typeEEEZNS1_34radix_sort_onesweep_global_offsetsIS3_Lb1EPKaPS5_mNS0_19identity_decomposerEEE10hipError_tT1_T2_PT3_SF_jT4_jjP12ihipStream_tbEUlT_E_NS1_11comp_targetILNS1_3genE8ELNS1_11target_archE1030ELNS1_3gpuE2ELNS1_3repE0EEENS1_52radix_sort_onesweep_histogram_config_static_selectorELNS0_4arch9wavefront6targetE0EEEvSD_.has_indirect_call, 0
	.section	.AMDGPU.csdata,"",@progbits
; Kernel info:
; codeLenInByte = 0
; TotalNumSgprs: 0
; NumVgprs: 0
; ScratchSize: 0
; MemoryBound: 0
; FloatMode: 240
; IeeeMode: 1
; LDSByteSize: 0 bytes/workgroup (compile time only)
; SGPRBlocks: 0
; VGPRBlocks: 0
; NumSGPRsForWavesPerEU: 1
; NumVGPRsForWavesPerEU: 1
; NamedBarCnt: 0
; Occupancy: 16
; WaveLimiterHint : 0
; COMPUTE_PGM_RSRC2:SCRATCH_EN: 0
; COMPUTE_PGM_RSRC2:USER_SGPR: 2
; COMPUTE_PGM_RSRC2:TRAP_HANDLER: 0
; COMPUTE_PGM_RSRC2:TGID_X_EN: 1
; COMPUTE_PGM_RSRC2:TGID_Y_EN: 0
; COMPUTE_PGM_RSRC2:TGID_Z_EN: 0
; COMPUTE_PGM_RSRC2:TIDIG_COMP_CNT: 0
	.section	.text._ZN7rocprim17ROCPRIM_400000_NS6detail17trampoline_kernelINS0_14default_configENS1_35radix_sort_onesweep_config_selectorIaNS0_10empty_typeEEEZNS1_34radix_sort_onesweep_global_offsetsIS3_Lb1EPKaPS5_mNS0_19identity_decomposerEEE10hipError_tT1_T2_PT3_SF_jT4_jjP12ihipStream_tbEUlT_E0_NS1_11comp_targetILNS1_3genE0ELNS1_11target_archE4294967295ELNS1_3gpuE0ELNS1_3repE0EEENS1_52radix_sort_onesweep_histogram_config_static_selectorELNS0_4arch9wavefront6targetE0EEEvSD_,"axG",@progbits,_ZN7rocprim17ROCPRIM_400000_NS6detail17trampoline_kernelINS0_14default_configENS1_35radix_sort_onesweep_config_selectorIaNS0_10empty_typeEEEZNS1_34radix_sort_onesweep_global_offsetsIS3_Lb1EPKaPS5_mNS0_19identity_decomposerEEE10hipError_tT1_T2_PT3_SF_jT4_jjP12ihipStream_tbEUlT_E0_NS1_11comp_targetILNS1_3genE0ELNS1_11target_archE4294967295ELNS1_3gpuE0ELNS1_3repE0EEENS1_52radix_sort_onesweep_histogram_config_static_selectorELNS0_4arch9wavefront6targetE0EEEvSD_,comdat
	.protected	_ZN7rocprim17ROCPRIM_400000_NS6detail17trampoline_kernelINS0_14default_configENS1_35radix_sort_onesweep_config_selectorIaNS0_10empty_typeEEEZNS1_34radix_sort_onesweep_global_offsetsIS3_Lb1EPKaPS5_mNS0_19identity_decomposerEEE10hipError_tT1_T2_PT3_SF_jT4_jjP12ihipStream_tbEUlT_E0_NS1_11comp_targetILNS1_3genE0ELNS1_11target_archE4294967295ELNS1_3gpuE0ELNS1_3repE0EEENS1_52radix_sort_onesweep_histogram_config_static_selectorELNS0_4arch9wavefront6targetE0EEEvSD_ ; -- Begin function _ZN7rocprim17ROCPRIM_400000_NS6detail17trampoline_kernelINS0_14default_configENS1_35radix_sort_onesweep_config_selectorIaNS0_10empty_typeEEEZNS1_34radix_sort_onesweep_global_offsetsIS3_Lb1EPKaPS5_mNS0_19identity_decomposerEEE10hipError_tT1_T2_PT3_SF_jT4_jjP12ihipStream_tbEUlT_E0_NS1_11comp_targetILNS1_3genE0ELNS1_11target_archE4294967295ELNS1_3gpuE0ELNS1_3repE0EEENS1_52radix_sort_onesweep_histogram_config_static_selectorELNS0_4arch9wavefront6targetE0EEEvSD_
	.globl	_ZN7rocprim17ROCPRIM_400000_NS6detail17trampoline_kernelINS0_14default_configENS1_35radix_sort_onesweep_config_selectorIaNS0_10empty_typeEEEZNS1_34radix_sort_onesweep_global_offsetsIS3_Lb1EPKaPS5_mNS0_19identity_decomposerEEE10hipError_tT1_T2_PT3_SF_jT4_jjP12ihipStream_tbEUlT_E0_NS1_11comp_targetILNS1_3genE0ELNS1_11target_archE4294967295ELNS1_3gpuE0ELNS1_3repE0EEENS1_52radix_sort_onesweep_histogram_config_static_selectorELNS0_4arch9wavefront6targetE0EEEvSD_
	.p2align	8
	.type	_ZN7rocprim17ROCPRIM_400000_NS6detail17trampoline_kernelINS0_14default_configENS1_35radix_sort_onesweep_config_selectorIaNS0_10empty_typeEEEZNS1_34radix_sort_onesweep_global_offsetsIS3_Lb1EPKaPS5_mNS0_19identity_decomposerEEE10hipError_tT1_T2_PT3_SF_jT4_jjP12ihipStream_tbEUlT_E0_NS1_11comp_targetILNS1_3genE0ELNS1_11target_archE4294967295ELNS1_3gpuE0ELNS1_3repE0EEENS1_52radix_sort_onesweep_histogram_config_static_selectorELNS0_4arch9wavefront6targetE0EEEvSD_,@function
_ZN7rocprim17ROCPRIM_400000_NS6detail17trampoline_kernelINS0_14default_configENS1_35radix_sort_onesweep_config_selectorIaNS0_10empty_typeEEEZNS1_34radix_sort_onesweep_global_offsetsIS3_Lb1EPKaPS5_mNS0_19identity_decomposerEEE10hipError_tT1_T2_PT3_SF_jT4_jjP12ihipStream_tbEUlT_E0_NS1_11comp_targetILNS1_3genE0ELNS1_11target_archE4294967295ELNS1_3gpuE0ELNS1_3repE0EEENS1_52radix_sort_onesweep_histogram_config_static_selectorELNS0_4arch9wavefront6targetE0EEEvSD_: ; @_ZN7rocprim17ROCPRIM_400000_NS6detail17trampoline_kernelINS0_14default_configENS1_35radix_sort_onesweep_config_selectorIaNS0_10empty_typeEEEZNS1_34radix_sort_onesweep_global_offsetsIS3_Lb1EPKaPS5_mNS0_19identity_decomposerEEE10hipError_tT1_T2_PT3_SF_jT4_jjP12ihipStream_tbEUlT_E0_NS1_11comp_targetILNS1_3genE0ELNS1_11target_archE4294967295ELNS1_3gpuE0ELNS1_3repE0EEENS1_52radix_sort_onesweep_histogram_config_static_selectorELNS0_4arch9wavefront6targetE0EEEvSD_
; %bb.0:
	s_load_b64 s[0:1], s[0:1], 0x0
	s_bfe_u32 s2, ttmp6, 0x4000c
	s_and_b32 s3, ttmp6, 15
	s_add_co_i32 s2, s2, 1
	s_getreg_b32 s4, hwreg(HW_REG_IB_STS2, 6, 4)
	s_mul_i32 s2, ttmp9, s2
	v_cmp_gt_u32_e32 vcc_lo, 16, v0
	s_add_co_i32 s3, s3, s2
	s_cmp_eq_u32 s4, 0
                                        ; implicit-def: $vgpr2_vgpr3
	s_cselect_b32 s2, ttmp9, s3
	s_mov_b32 s3, 0
	s_lshl_b32 s2, s2, 4
	s_delay_alu instid0(SALU_CYCLE_1)
	s_lshl_b64 s[2:3], s[2:3], 3
	s_wait_kmcnt 0x0
	s_add_nc_u64 s[8:9], s[0:1], s[2:3]
	s_and_saveexec_b32 s0, vcc_lo
	s_cbranch_execz .LBB338_2
; %bb.1:
	global_load_b64 v[2:3], v0, s[8:9] scale_offset
.LBB338_2:
	s_wait_xcnt 0x0
	s_or_b32 exec_lo, exec_lo, s0
	v_mbcnt_lo_u32_b32 v1, -1, 0
	s_wait_loadcnt 0x0
	v_mov_b32_dpp v6, v2 row_shr:1 row_mask:0xf bank_mask:0xf
	v_mov_b32_dpp v9, v3 row_shr:1 row_mask:0xf bank_mask:0xf
	s_delay_alu instid0(VALU_DEP_3) | instskip(NEXT) | instid1(VALU_DEP_1)
	v_dual_mov_b32 v4, v2 :: v_dual_bitop2_b32 v10, 15, v1 bitop3:0x40
	v_cmp_ne_u32_e64 s0, 0, v10
	s_and_saveexec_b32 s1, s0
; %bb.3:
	v_mov_b32_e32 v8, 0
	s_delay_alu instid0(VALU_DEP_1) | instskip(NEXT) | instid1(VALU_DEP_1)
	v_mov_b32_e32 v7, v8
	v_add_nc_u64_e32 v[4:5], v[2:3], v[6:7]
	s_delay_alu instid0(VALU_DEP_1)
	v_add_nc_u64_e32 v[2:3], v[8:9], v[4:5]
; %bb.4:
	s_or_b32 exec_lo, exec_lo, s1
	v_mov_b32_dpp v6, v4 row_shr:2 row_mask:0xf bank_mask:0xf
	s_delay_alu instid0(VALU_DEP_2)
	v_mov_b32_dpp v9, v3 row_shr:2 row_mask:0xf bank_mask:0xf
	v_cmp_lt_u32_e64 s1, 1, v10
	s_and_saveexec_b32 s2, s1
; %bb.5:
	v_mov_b32_e32 v8, 0
	s_delay_alu instid0(VALU_DEP_1) | instskip(NEXT) | instid1(VALU_DEP_1)
	v_mov_b32_e32 v7, v8
	v_add_nc_u64_e32 v[4:5], v[2:3], v[6:7]
	s_delay_alu instid0(VALU_DEP_1)
	v_add_nc_u64_e32 v[2:3], v[8:9], v[4:5]
; %bb.6:
	s_or_b32 exec_lo, exec_lo, s2
	v_mov_b32_dpp v6, v4 row_shr:4 row_mask:0xf bank_mask:0xf
	s_delay_alu instid0(VALU_DEP_2)
	v_mov_b32_dpp v9, v3 row_shr:4 row_mask:0xf bank_mask:0xf
	v_cmp_lt_u32_e64 s2, 3, v10
	;; [unrolled: 14-line block ×3, first 2 shown]
	s_and_saveexec_b32 s4, s3
; %bb.9:
	v_mov_b32_e32 v8, 0
	s_delay_alu instid0(VALU_DEP_1) | instskip(NEXT) | instid1(VALU_DEP_1)
	v_mov_b32_e32 v7, v8
	v_add_nc_u64_e32 v[4:5], v[2:3], v[6:7]
	s_delay_alu instid0(VALU_DEP_1)
	v_add_nc_u64_e32 v[2:3], v[8:9], v[4:5]
; %bb.10:
	s_or_b32 exec_lo, exec_lo, s4
	ds_swizzle_b32 v4, v4 offset:swizzle(BROADCAST,32,15)
	ds_swizzle_b32 v7, v3 offset:swizzle(BROADCAST,32,15)
	v_and_b32_e32 v5, 16, v1
	s_delay_alu instid0(VALU_DEP_1)
	v_cmp_ne_u32_e64 s4, 0, v5
	s_and_saveexec_b32 s5, s4
	s_cbranch_execz .LBB338_12
; %bb.11:
	v_mov_b32_e32 v6, 0
	s_delay_alu instid0(VALU_DEP_1) | instskip(SKIP_1) | instid1(VALU_DEP_1)
	v_mov_b32_e32 v5, v6
	s_wait_dscnt 0x1
	v_add_nc_u64_e32 v[2:3], v[2:3], v[4:5]
	s_wait_dscnt 0x0
	s_delay_alu instid0(VALU_DEP_1)
	v_add_nc_u64_e32 v[2:3], v[2:3], v[6:7]
.LBB338_12:
	s_or_b32 exec_lo, exec_lo, s5
	s_wait_dscnt 0x1
	v_dual_lshrrev_b32 v12, 5, v0 :: v_dual_bitop2_b32 v4, 31, v0 bitop3:0x40
	s_mov_b32 s6, exec_lo
	s_delay_alu instid0(VALU_DEP_1)
	v_cmpx_eq_u32_e32 31, v4
; %bb.13:
	s_delay_alu instid0(VALU_DEP_2)
	v_lshlrev_b32_e32 v4, 3, v12
	ds_store_b64 v4, v[2:3]
; %bb.14:
	s_or_b32 exec_lo, exec_lo, s6
	v_cmp_lt_u32_e64 s5, 31, v0
	s_mov_b32 s7, exec_lo
	s_wait_dscnt 0x0
	s_barrier_signal -1
	s_barrier_wait -1
	v_cmpx_gt_u32_e32 32, v0
	s_cbranch_execz .LBB338_26
; %bb.15:
	v_lshlrev_b32_e32 v13, 3, v0
	ds_load_b64 v[4:5], v13
	s_wait_dscnt 0x0
	v_mov_b32_dpp v8, v4 row_shr:1 row_mask:0xf bank_mask:0xf
	v_mov_b32_dpp v11, v5 row_shr:1 row_mask:0xf bank_mask:0xf
	v_mov_b32_e32 v6, v4
	s_and_saveexec_b32 s6, s0
; %bb.16:
	v_mov_b32_e32 v10, 0
	s_delay_alu instid0(VALU_DEP_1) | instskip(NEXT) | instid1(VALU_DEP_1)
	v_mov_b32_e32 v9, v10
	v_add_nc_u64_e32 v[6:7], v[4:5], v[8:9]
	s_delay_alu instid0(VALU_DEP_1)
	v_add_nc_u64_e32 v[4:5], v[10:11], v[6:7]
; %bb.17:
	s_or_b32 exec_lo, exec_lo, s6
	v_mov_b32_dpp v8, v6 row_shr:2 row_mask:0xf bank_mask:0xf
	s_delay_alu instid0(VALU_DEP_2)
	v_mov_b32_dpp v11, v5 row_shr:2 row_mask:0xf bank_mask:0xf
	s_and_saveexec_b32 s0, s1
; %bb.18:
	v_mov_b32_e32 v10, 0
	s_delay_alu instid0(VALU_DEP_1) | instskip(NEXT) | instid1(VALU_DEP_1)
	v_mov_b32_e32 v9, v10
	v_add_nc_u64_e32 v[6:7], v[4:5], v[8:9]
	s_delay_alu instid0(VALU_DEP_1)
	v_add_nc_u64_e32 v[4:5], v[10:11], v[6:7]
; %bb.19:
	s_or_b32 exec_lo, exec_lo, s0
	v_mov_b32_dpp v8, v6 row_shr:4 row_mask:0xf bank_mask:0xf
	s_delay_alu instid0(VALU_DEP_2)
	v_mov_b32_dpp v11, v5 row_shr:4 row_mask:0xf bank_mask:0xf
	;; [unrolled: 13-line block ×3, first 2 shown]
	s_and_saveexec_b32 s0, s3
; %bb.22:
	v_mov_b32_e32 v10, 0
	s_delay_alu instid0(VALU_DEP_1) | instskip(NEXT) | instid1(VALU_DEP_1)
	v_mov_b32_e32 v9, v10
	v_add_nc_u64_e32 v[6:7], v[4:5], v[8:9]
	s_delay_alu instid0(VALU_DEP_1)
	v_add_nc_u64_e32 v[4:5], v[10:11], v[6:7]
; %bb.23:
	s_or_b32 exec_lo, exec_lo, s0
	ds_swizzle_b32 v6, v6 offset:swizzle(BROADCAST,32,15)
	ds_swizzle_b32 v9, v5 offset:swizzle(BROADCAST,32,15)
	s_and_saveexec_b32 s0, s4
	s_cbranch_execz .LBB338_25
; %bb.24:
	v_mov_b32_e32 v8, 0
	s_delay_alu instid0(VALU_DEP_1) | instskip(SKIP_1) | instid1(VALU_DEP_1)
	v_mov_b32_e32 v7, v8
	s_wait_dscnt 0x1
	v_add_nc_u64_e32 v[4:5], v[4:5], v[6:7]
	s_wait_dscnt 0x0
	s_delay_alu instid0(VALU_DEP_1)
	v_add_nc_u64_e32 v[4:5], v[4:5], v[8:9]
.LBB338_25:
	s_or_b32 exec_lo, exec_lo, s0
	ds_store_b64 v13, v[4:5]
.LBB338_26:
	s_or_b32 exec_lo, exec_lo, s7
	v_mov_b64_e32 v[4:5], 0
	s_wait_dscnt 0x0
	s_barrier_signal -1
	s_barrier_wait -1
	s_and_saveexec_b32 s0, s5
; %bb.27:
	v_lshl_add_u32 v4, v12, 3, -8
	ds_load_b64 v[4:5], v4
; %bb.28:
	s_or_b32 exec_lo, exec_lo, s0
	v_add_nc_u32_e32 v6, -1, v1
	s_wait_dscnt 0x0
	v_add_nc_u64_e32 v[2:3], v[4:5], v[2:3]
	s_delay_alu instid0(VALU_DEP_2) | instskip(NEXT) | instid1(VALU_DEP_1)
	v_cmp_gt_i32_e64 s0, 0, v6
	v_cndmask_b32_e64 v6, v6, v1, s0
	s_delay_alu instid0(VALU_DEP_1)
	v_lshlrev_b32_e32 v6, 2, v6
	ds_bpermute_b32 v2, v6, v2
	ds_bpermute_b32 v3, v6, v3
	s_and_saveexec_b32 s0, vcc_lo
	s_cbranch_execz .LBB338_30
; %bb.29:
	v_cmp_eq_u32_e32 vcc_lo, 0, v1
	s_wait_dscnt 0x0
	v_dual_cndmask_b32 v3, v3, v5 :: v_dual_cndmask_b32 v2, v2, v4
	global_store_b64 v0, v[2:3], s[8:9] scale_offset
.LBB338_30:
	s_endpgm
	.section	.rodata,"a",@progbits
	.p2align	6, 0x0
	.amdhsa_kernel _ZN7rocprim17ROCPRIM_400000_NS6detail17trampoline_kernelINS0_14default_configENS1_35radix_sort_onesweep_config_selectorIaNS0_10empty_typeEEEZNS1_34radix_sort_onesweep_global_offsetsIS3_Lb1EPKaPS5_mNS0_19identity_decomposerEEE10hipError_tT1_T2_PT3_SF_jT4_jjP12ihipStream_tbEUlT_E0_NS1_11comp_targetILNS1_3genE0ELNS1_11target_archE4294967295ELNS1_3gpuE0ELNS1_3repE0EEENS1_52radix_sort_onesweep_histogram_config_static_selectorELNS0_4arch9wavefront6targetE0EEEvSD_
		.amdhsa_group_segment_fixed_size 256
		.amdhsa_private_segment_fixed_size 0
		.amdhsa_kernarg_size 8
		.amdhsa_user_sgpr_count 2
		.amdhsa_user_sgpr_dispatch_ptr 0
		.amdhsa_user_sgpr_queue_ptr 0
		.amdhsa_user_sgpr_kernarg_segment_ptr 1
		.amdhsa_user_sgpr_dispatch_id 0
		.amdhsa_user_sgpr_kernarg_preload_length 0
		.amdhsa_user_sgpr_kernarg_preload_offset 0
		.amdhsa_user_sgpr_private_segment_size 0
		.amdhsa_wavefront_size32 1
		.amdhsa_uses_dynamic_stack 0
		.amdhsa_enable_private_segment 0
		.amdhsa_system_sgpr_workgroup_id_x 1
		.amdhsa_system_sgpr_workgroup_id_y 0
		.amdhsa_system_sgpr_workgroup_id_z 0
		.amdhsa_system_sgpr_workgroup_info 0
		.amdhsa_system_vgpr_workitem_id 0
		.amdhsa_next_free_vgpr 14
		.amdhsa_next_free_sgpr 10
		.amdhsa_named_barrier_count 0
		.amdhsa_reserve_vcc 1
		.amdhsa_float_round_mode_32 0
		.amdhsa_float_round_mode_16_64 0
		.amdhsa_float_denorm_mode_32 3
		.amdhsa_float_denorm_mode_16_64 3
		.amdhsa_fp16_overflow 0
		.amdhsa_memory_ordered 1
		.amdhsa_forward_progress 1
		.amdhsa_inst_pref_size 8
		.amdhsa_round_robin_scheduling 0
		.amdhsa_exception_fp_ieee_invalid_op 0
		.amdhsa_exception_fp_denorm_src 0
		.amdhsa_exception_fp_ieee_div_zero 0
		.amdhsa_exception_fp_ieee_overflow 0
		.amdhsa_exception_fp_ieee_underflow 0
		.amdhsa_exception_fp_ieee_inexact 0
		.amdhsa_exception_int_div_zero 0
	.end_amdhsa_kernel
	.section	.text._ZN7rocprim17ROCPRIM_400000_NS6detail17trampoline_kernelINS0_14default_configENS1_35radix_sort_onesweep_config_selectorIaNS0_10empty_typeEEEZNS1_34radix_sort_onesweep_global_offsetsIS3_Lb1EPKaPS5_mNS0_19identity_decomposerEEE10hipError_tT1_T2_PT3_SF_jT4_jjP12ihipStream_tbEUlT_E0_NS1_11comp_targetILNS1_3genE0ELNS1_11target_archE4294967295ELNS1_3gpuE0ELNS1_3repE0EEENS1_52radix_sort_onesweep_histogram_config_static_selectorELNS0_4arch9wavefront6targetE0EEEvSD_,"axG",@progbits,_ZN7rocprim17ROCPRIM_400000_NS6detail17trampoline_kernelINS0_14default_configENS1_35radix_sort_onesweep_config_selectorIaNS0_10empty_typeEEEZNS1_34radix_sort_onesweep_global_offsetsIS3_Lb1EPKaPS5_mNS0_19identity_decomposerEEE10hipError_tT1_T2_PT3_SF_jT4_jjP12ihipStream_tbEUlT_E0_NS1_11comp_targetILNS1_3genE0ELNS1_11target_archE4294967295ELNS1_3gpuE0ELNS1_3repE0EEENS1_52radix_sort_onesweep_histogram_config_static_selectorELNS0_4arch9wavefront6targetE0EEEvSD_,comdat
.Lfunc_end338:
	.size	_ZN7rocprim17ROCPRIM_400000_NS6detail17trampoline_kernelINS0_14default_configENS1_35radix_sort_onesweep_config_selectorIaNS0_10empty_typeEEEZNS1_34radix_sort_onesweep_global_offsetsIS3_Lb1EPKaPS5_mNS0_19identity_decomposerEEE10hipError_tT1_T2_PT3_SF_jT4_jjP12ihipStream_tbEUlT_E0_NS1_11comp_targetILNS1_3genE0ELNS1_11target_archE4294967295ELNS1_3gpuE0ELNS1_3repE0EEENS1_52radix_sort_onesweep_histogram_config_static_selectorELNS0_4arch9wavefront6targetE0EEEvSD_, .Lfunc_end338-_ZN7rocprim17ROCPRIM_400000_NS6detail17trampoline_kernelINS0_14default_configENS1_35radix_sort_onesweep_config_selectorIaNS0_10empty_typeEEEZNS1_34radix_sort_onesweep_global_offsetsIS3_Lb1EPKaPS5_mNS0_19identity_decomposerEEE10hipError_tT1_T2_PT3_SF_jT4_jjP12ihipStream_tbEUlT_E0_NS1_11comp_targetILNS1_3genE0ELNS1_11target_archE4294967295ELNS1_3gpuE0ELNS1_3repE0EEENS1_52radix_sort_onesweep_histogram_config_static_selectorELNS0_4arch9wavefront6targetE0EEEvSD_
                                        ; -- End function
	.set _ZN7rocprim17ROCPRIM_400000_NS6detail17trampoline_kernelINS0_14default_configENS1_35radix_sort_onesweep_config_selectorIaNS0_10empty_typeEEEZNS1_34radix_sort_onesweep_global_offsetsIS3_Lb1EPKaPS5_mNS0_19identity_decomposerEEE10hipError_tT1_T2_PT3_SF_jT4_jjP12ihipStream_tbEUlT_E0_NS1_11comp_targetILNS1_3genE0ELNS1_11target_archE4294967295ELNS1_3gpuE0ELNS1_3repE0EEENS1_52radix_sort_onesweep_histogram_config_static_selectorELNS0_4arch9wavefront6targetE0EEEvSD_.num_vgpr, 14
	.set _ZN7rocprim17ROCPRIM_400000_NS6detail17trampoline_kernelINS0_14default_configENS1_35radix_sort_onesweep_config_selectorIaNS0_10empty_typeEEEZNS1_34radix_sort_onesweep_global_offsetsIS3_Lb1EPKaPS5_mNS0_19identity_decomposerEEE10hipError_tT1_T2_PT3_SF_jT4_jjP12ihipStream_tbEUlT_E0_NS1_11comp_targetILNS1_3genE0ELNS1_11target_archE4294967295ELNS1_3gpuE0ELNS1_3repE0EEENS1_52radix_sort_onesweep_histogram_config_static_selectorELNS0_4arch9wavefront6targetE0EEEvSD_.num_agpr, 0
	.set _ZN7rocprim17ROCPRIM_400000_NS6detail17trampoline_kernelINS0_14default_configENS1_35radix_sort_onesweep_config_selectorIaNS0_10empty_typeEEEZNS1_34radix_sort_onesweep_global_offsetsIS3_Lb1EPKaPS5_mNS0_19identity_decomposerEEE10hipError_tT1_T2_PT3_SF_jT4_jjP12ihipStream_tbEUlT_E0_NS1_11comp_targetILNS1_3genE0ELNS1_11target_archE4294967295ELNS1_3gpuE0ELNS1_3repE0EEENS1_52radix_sort_onesweep_histogram_config_static_selectorELNS0_4arch9wavefront6targetE0EEEvSD_.numbered_sgpr, 10
	.set _ZN7rocprim17ROCPRIM_400000_NS6detail17trampoline_kernelINS0_14default_configENS1_35radix_sort_onesweep_config_selectorIaNS0_10empty_typeEEEZNS1_34radix_sort_onesweep_global_offsetsIS3_Lb1EPKaPS5_mNS0_19identity_decomposerEEE10hipError_tT1_T2_PT3_SF_jT4_jjP12ihipStream_tbEUlT_E0_NS1_11comp_targetILNS1_3genE0ELNS1_11target_archE4294967295ELNS1_3gpuE0ELNS1_3repE0EEENS1_52radix_sort_onesweep_histogram_config_static_selectorELNS0_4arch9wavefront6targetE0EEEvSD_.num_named_barrier, 0
	.set _ZN7rocprim17ROCPRIM_400000_NS6detail17trampoline_kernelINS0_14default_configENS1_35radix_sort_onesweep_config_selectorIaNS0_10empty_typeEEEZNS1_34radix_sort_onesweep_global_offsetsIS3_Lb1EPKaPS5_mNS0_19identity_decomposerEEE10hipError_tT1_T2_PT3_SF_jT4_jjP12ihipStream_tbEUlT_E0_NS1_11comp_targetILNS1_3genE0ELNS1_11target_archE4294967295ELNS1_3gpuE0ELNS1_3repE0EEENS1_52radix_sort_onesweep_histogram_config_static_selectorELNS0_4arch9wavefront6targetE0EEEvSD_.private_seg_size, 0
	.set _ZN7rocprim17ROCPRIM_400000_NS6detail17trampoline_kernelINS0_14default_configENS1_35radix_sort_onesweep_config_selectorIaNS0_10empty_typeEEEZNS1_34radix_sort_onesweep_global_offsetsIS3_Lb1EPKaPS5_mNS0_19identity_decomposerEEE10hipError_tT1_T2_PT3_SF_jT4_jjP12ihipStream_tbEUlT_E0_NS1_11comp_targetILNS1_3genE0ELNS1_11target_archE4294967295ELNS1_3gpuE0ELNS1_3repE0EEENS1_52radix_sort_onesweep_histogram_config_static_selectorELNS0_4arch9wavefront6targetE0EEEvSD_.uses_vcc, 1
	.set _ZN7rocprim17ROCPRIM_400000_NS6detail17trampoline_kernelINS0_14default_configENS1_35radix_sort_onesweep_config_selectorIaNS0_10empty_typeEEEZNS1_34radix_sort_onesweep_global_offsetsIS3_Lb1EPKaPS5_mNS0_19identity_decomposerEEE10hipError_tT1_T2_PT3_SF_jT4_jjP12ihipStream_tbEUlT_E0_NS1_11comp_targetILNS1_3genE0ELNS1_11target_archE4294967295ELNS1_3gpuE0ELNS1_3repE0EEENS1_52radix_sort_onesweep_histogram_config_static_selectorELNS0_4arch9wavefront6targetE0EEEvSD_.uses_flat_scratch, 0
	.set _ZN7rocprim17ROCPRIM_400000_NS6detail17trampoline_kernelINS0_14default_configENS1_35radix_sort_onesweep_config_selectorIaNS0_10empty_typeEEEZNS1_34radix_sort_onesweep_global_offsetsIS3_Lb1EPKaPS5_mNS0_19identity_decomposerEEE10hipError_tT1_T2_PT3_SF_jT4_jjP12ihipStream_tbEUlT_E0_NS1_11comp_targetILNS1_3genE0ELNS1_11target_archE4294967295ELNS1_3gpuE0ELNS1_3repE0EEENS1_52radix_sort_onesweep_histogram_config_static_selectorELNS0_4arch9wavefront6targetE0EEEvSD_.has_dyn_sized_stack, 0
	.set _ZN7rocprim17ROCPRIM_400000_NS6detail17trampoline_kernelINS0_14default_configENS1_35radix_sort_onesweep_config_selectorIaNS0_10empty_typeEEEZNS1_34radix_sort_onesweep_global_offsetsIS3_Lb1EPKaPS5_mNS0_19identity_decomposerEEE10hipError_tT1_T2_PT3_SF_jT4_jjP12ihipStream_tbEUlT_E0_NS1_11comp_targetILNS1_3genE0ELNS1_11target_archE4294967295ELNS1_3gpuE0ELNS1_3repE0EEENS1_52radix_sort_onesweep_histogram_config_static_selectorELNS0_4arch9wavefront6targetE0EEEvSD_.has_recursion, 0
	.set _ZN7rocprim17ROCPRIM_400000_NS6detail17trampoline_kernelINS0_14default_configENS1_35radix_sort_onesweep_config_selectorIaNS0_10empty_typeEEEZNS1_34radix_sort_onesweep_global_offsetsIS3_Lb1EPKaPS5_mNS0_19identity_decomposerEEE10hipError_tT1_T2_PT3_SF_jT4_jjP12ihipStream_tbEUlT_E0_NS1_11comp_targetILNS1_3genE0ELNS1_11target_archE4294967295ELNS1_3gpuE0ELNS1_3repE0EEENS1_52radix_sort_onesweep_histogram_config_static_selectorELNS0_4arch9wavefront6targetE0EEEvSD_.has_indirect_call, 0
	.section	.AMDGPU.csdata,"",@progbits
; Kernel info:
; codeLenInByte = 952
; TotalNumSgprs: 12
; NumVgprs: 14
; ScratchSize: 0
; MemoryBound: 0
; FloatMode: 240
; IeeeMode: 1
; LDSByteSize: 256 bytes/workgroup (compile time only)
; SGPRBlocks: 0
; VGPRBlocks: 0
; NumSGPRsForWavesPerEU: 12
; NumVGPRsForWavesPerEU: 14
; NamedBarCnt: 0
; Occupancy: 16
; WaveLimiterHint : 0
; COMPUTE_PGM_RSRC2:SCRATCH_EN: 0
; COMPUTE_PGM_RSRC2:USER_SGPR: 2
; COMPUTE_PGM_RSRC2:TRAP_HANDLER: 0
; COMPUTE_PGM_RSRC2:TGID_X_EN: 1
; COMPUTE_PGM_RSRC2:TGID_Y_EN: 0
; COMPUTE_PGM_RSRC2:TGID_Z_EN: 0
; COMPUTE_PGM_RSRC2:TIDIG_COMP_CNT: 0
	.section	.text._ZN7rocprim17ROCPRIM_400000_NS6detail17trampoline_kernelINS0_14default_configENS1_35radix_sort_onesweep_config_selectorIaNS0_10empty_typeEEEZNS1_34radix_sort_onesweep_global_offsetsIS3_Lb1EPKaPS5_mNS0_19identity_decomposerEEE10hipError_tT1_T2_PT3_SF_jT4_jjP12ihipStream_tbEUlT_E0_NS1_11comp_targetILNS1_3genE6ELNS1_11target_archE950ELNS1_3gpuE13ELNS1_3repE0EEENS1_52radix_sort_onesweep_histogram_config_static_selectorELNS0_4arch9wavefront6targetE0EEEvSD_,"axG",@progbits,_ZN7rocprim17ROCPRIM_400000_NS6detail17trampoline_kernelINS0_14default_configENS1_35radix_sort_onesweep_config_selectorIaNS0_10empty_typeEEEZNS1_34radix_sort_onesweep_global_offsetsIS3_Lb1EPKaPS5_mNS0_19identity_decomposerEEE10hipError_tT1_T2_PT3_SF_jT4_jjP12ihipStream_tbEUlT_E0_NS1_11comp_targetILNS1_3genE6ELNS1_11target_archE950ELNS1_3gpuE13ELNS1_3repE0EEENS1_52radix_sort_onesweep_histogram_config_static_selectorELNS0_4arch9wavefront6targetE0EEEvSD_,comdat
	.protected	_ZN7rocprim17ROCPRIM_400000_NS6detail17trampoline_kernelINS0_14default_configENS1_35radix_sort_onesweep_config_selectorIaNS0_10empty_typeEEEZNS1_34radix_sort_onesweep_global_offsetsIS3_Lb1EPKaPS5_mNS0_19identity_decomposerEEE10hipError_tT1_T2_PT3_SF_jT4_jjP12ihipStream_tbEUlT_E0_NS1_11comp_targetILNS1_3genE6ELNS1_11target_archE950ELNS1_3gpuE13ELNS1_3repE0EEENS1_52radix_sort_onesweep_histogram_config_static_selectorELNS0_4arch9wavefront6targetE0EEEvSD_ ; -- Begin function _ZN7rocprim17ROCPRIM_400000_NS6detail17trampoline_kernelINS0_14default_configENS1_35radix_sort_onesweep_config_selectorIaNS0_10empty_typeEEEZNS1_34radix_sort_onesweep_global_offsetsIS3_Lb1EPKaPS5_mNS0_19identity_decomposerEEE10hipError_tT1_T2_PT3_SF_jT4_jjP12ihipStream_tbEUlT_E0_NS1_11comp_targetILNS1_3genE6ELNS1_11target_archE950ELNS1_3gpuE13ELNS1_3repE0EEENS1_52radix_sort_onesweep_histogram_config_static_selectorELNS0_4arch9wavefront6targetE0EEEvSD_
	.globl	_ZN7rocprim17ROCPRIM_400000_NS6detail17trampoline_kernelINS0_14default_configENS1_35radix_sort_onesweep_config_selectorIaNS0_10empty_typeEEEZNS1_34radix_sort_onesweep_global_offsetsIS3_Lb1EPKaPS5_mNS0_19identity_decomposerEEE10hipError_tT1_T2_PT3_SF_jT4_jjP12ihipStream_tbEUlT_E0_NS1_11comp_targetILNS1_3genE6ELNS1_11target_archE950ELNS1_3gpuE13ELNS1_3repE0EEENS1_52radix_sort_onesweep_histogram_config_static_selectorELNS0_4arch9wavefront6targetE0EEEvSD_
	.p2align	8
	.type	_ZN7rocprim17ROCPRIM_400000_NS6detail17trampoline_kernelINS0_14default_configENS1_35radix_sort_onesweep_config_selectorIaNS0_10empty_typeEEEZNS1_34radix_sort_onesweep_global_offsetsIS3_Lb1EPKaPS5_mNS0_19identity_decomposerEEE10hipError_tT1_T2_PT3_SF_jT4_jjP12ihipStream_tbEUlT_E0_NS1_11comp_targetILNS1_3genE6ELNS1_11target_archE950ELNS1_3gpuE13ELNS1_3repE0EEENS1_52radix_sort_onesweep_histogram_config_static_selectorELNS0_4arch9wavefront6targetE0EEEvSD_,@function
_ZN7rocprim17ROCPRIM_400000_NS6detail17trampoline_kernelINS0_14default_configENS1_35radix_sort_onesweep_config_selectorIaNS0_10empty_typeEEEZNS1_34radix_sort_onesweep_global_offsetsIS3_Lb1EPKaPS5_mNS0_19identity_decomposerEEE10hipError_tT1_T2_PT3_SF_jT4_jjP12ihipStream_tbEUlT_E0_NS1_11comp_targetILNS1_3genE6ELNS1_11target_archE950ELNS1_3gpuE13ELNS1_3repE0EEENS1_52radix_sort_onesweep_histogram_config_static_selectorELNS0_4arch9wavefront6targetE0EEEvSD_: ; @_ZN7rocprim17ROCPRIM_400000_NS6detail17trampoline_kernelINS0_14default_configENS1_35radix_sort_onesweep_config_selectorIaNS0_10empty_typeEEEZNS1_34radix_sort_onesweep_global_offsetsIS3_Lb1EPKaPS5_mNS0_19identity_decomposerEEE10hipError_tT1_T2_PT3_SF_jT4_jjP12ihipStream_tbEUlT_E0_NS1_11comp_targetILNS1_3genE6ELNS1_11target_archE950ELNS1_3gpuE13ELNS1_3repE0EEENS1_52radix_sort_onesweep_histogram_config_static_selectorELNS0_4arch9wavefront6targetE0EEEvSD_
; %bb.0:
	.section	.rodata,"a",@progbits
	.p2align	6, 0x0
	.amdhsa_kernel _ZN7rocprim17ROCPRIM_400000_NS6detail17trampoline_kernelINS0_14default_configENS1_35radix_sort_onesweep_config_selectorIaNS0_10empty_typeEEEZNS1_34radix_sort_onesweep_global_offsetsIS3_Lb1EPKaPS5_mNS0_19identity_decomposerEEE10hipError_tT1_T2_PT3_SF_jT4_jjP12ihipStream_tbEUlT_E0_NS1_11comp_targetILNS1_3genE6ELNS1_11target_archE950ELNS1_3gpuE13ELNS1_3repE0EEENS1_52radix_sort_onesweep_histogram_config_static_selectorELNS0_4arch9wavefront6targetE0EEEvSD_
		.amdhsa_group_segment_fixed_size 0
		.amdhsa_private_segment_fixed_size 0
		.amdhsa_kernarg_size 8
		.amdhsa_user_sgpr_count 2
		.amdhsa_user_sgpr_dispatch_ptr 0
		.amdhsa_user_sgpr_queue_ptr 0
		.amdhsa_user_sgpr_kernarg_segment_ptr 1
		.amdhsa_user_sgpr_dispatch_id 0
		.amdhsa_user_sgpr_kernarg_preload_length 0
		.amdhsa_user_sgpr_kernarg_preload_offset 0
		.amdhsa_user_sgpr_private_segment_size 0
		.amdhsa_wavefront_size32 1
		.amdhsa_uses_dynamic_stack 0
		.amdhsa_enable_private_segment 0
		.amdhsa_system_sgpr_workgroup_id_x 1
		.amdhsa_system_sgpr_workgroup_id_y 0
		.amdhsa_system_sgpr_workgroup_id_z 0
		.amdhsa_system_sgpr_workgroup_info 0
		.amdhsa_system_vgpr_workitem_id 0
		.amdhsa_next_free_vgpr 1
		.amdhsa_next_free_sgpr 1
		.amdhsa_named_barrier_count 0
		.amdhsa_reserve_vcc 0
		.amdhsa_float_round_mode_32 0
		.amdhsa_float_round_mode_16_64 0
		.amdhsa_float_denorm_mode_32 3
		.amdhsa_float_denorm_mode_16_64 3
		.amdhsa_fp16_overflow 0
		.amdhsa_memory_ordered 1
		.amdhsa_forward_progress 1
		.amdhsa_inst_pref_size 0
		.amdhsa_round_robin_scheduling 0
		.amdhsa_exception_fp_ieee_invalid_op 0
		.amdhsa_exception_fp_denorm_src 0
		.amdhsa_exception_fp_ieee_div_zero 0
		.amdhsa_exception_fp_ieee_overflow 0
		.amdhsa_exception_fp_ieee_underflow 0
		.amdhsa_exception_fp_ieee_inexact 0
		.amdhsa_exception_int_div_zero 0
	.end_amdhsa_kernel
	.section	.text._ZN7rocprim17ROCPRIM_400000_NS6detail17trampoline_kernelINS0_14default_configENS1_35radix_sort_onesweep_config_selectorIaNS0_10empty_typeEEEZNS1_34radix_sort_onesweep_global_offsetsIS3_Lb1EPKaPS5_mNS0_19identity_decomposerEEE10hipError_tT1_T2_PT3_SF_jT4_jjP12ihipStream_tbEUlT_E0_NS1_11comp_targetILNS1_3genE6ELNS1_11target_archE950ELNS1_3gpuE13ELNS1_3repE0EEENS1_52radix_sort_onesweep_histogram_config_static_selectorELNS0_4arch9wavefront6targetE0EEEvSD_,"axG",@progbits,_ZN7rocprim17ROCPRIM_400000_NS6detail17trampoline_kernelINS0_14default_configENS1_35radix_sort_onesweep_config_selectorIaNS0_10empty_typeEEEZNS1_34radix_sort_onesweep_global_offsetsIS3_Lb1EPKaPS5_mNS0_19identity_decomposerEEE10hipError_tT1_T2_PT3_SF_jT4_jjP12ihipStream_tbEUlT_E0_NS1_11comp_targetILNS1_3genE6ELNS1_11target_archE950ELNS1_3gpuE13ELNS1_3repE0EEENS1_52radix_sort_onesweep_histogram_config_static_selectorELNS0_4arch9wavefront6targetE0EEEvSD_,comdat
.Lfunc_end339:
	.size	_ZN7rocprim17ROCPRIM_400000_NS6detail17trampoline_kernelINS0_14default_configENS1_35radix_sort_onesweep_config_selectorIaNS0_10empty_typeEEEZNS1_34radix_sort_onesweep_global_offsetsIS3_Lb1EPKaPS5_mNS0_19identity_decomposerEEE10hipError_tT1_T2_PT3_SF_jT4_jjP12ihipStream_tbEUlT_E0_NS1_11comp_targetILNS1_3genE6ELNS1_11target_archE950ELNS1_3gpuE13ELNS1_3repE0EEENS1_52radix_sort_onesweep_histogram_config_static_selectorELNS0_4arch9wavefront6targetE0EEEvSD_, .Lfunc_end339-_ZN7rocprim17ROCPRIM_400000_NS6detail17trampoline_kernelINS0_14default_configENS1_35radix_sort_onesweep_config_selectorIaNS0_10empty_typeEEEZNS1_34radix_sort_onesweep_global_offsetsIS3_Lb1EPKaPS5_mNS0_19identity_decomposerEEE10hipError_tT1_T2_PT3_SF_jT4_jjP12ihipStream_tbEUlT_E0_NS1_11comp_targetILNS1_3genE6ELNS1_11target_archE950ELNS1_3gpuE13ELNS1_3repE0EEENS1_52radix_sort_onesweep_histogram_config_static_selectorELNS0_4arch9wavefront6targetE0EEEvSD_
                                        ; -- End function
	.set _ZN7rocprim17ROCPRIM_400000_NS6detail17trampoline_kernelINS0_14default_configENS1_35radix_sort_onesweep_config_selectorIaNS0_10empty_typeEEEZNS1_34radix_sort_onesweep_global_offsetsIS3_Lb1EPKaPS5_mNS0_19identity_decomposerEEE10hipError_tT1_T2_PT3_SF_jT4_jjP12ihipStream_tbEUlT_E0_NS1_11comp_targetILNS1_3genE6ELNS1_11target_archE950ELNS1_3gpuE13ELNS1_3repE0EEENS1_52radix_sort_onesweep_histogram_config_static_selectorELNS0_4arch9wavefront6targetE0EEEvSD_.num_vgpr, 0
	.set _ZN7rocprim17ROCPRIM_400000_NS6detail17trampoline_kernelINS0_14default_configENS1_35radix_sort_onesweep_config_selectorIaNS0_10empty_typeEEEZNS1_34radix_sort_onesweep_global_offsetsIS3_Lb1EPKaPS5_mNS0_19identity_decomposerEEE10hipError_tT1_T2_PT3_SF_jT4_jjP12ihipStream_tbEUlT_E0_NS1_11comp_targetILNS1_3genE6ELNS1_11target_archE950ELNS1_3gpuE13ELNS1_3repE0EEENS1_52radix_sort_onesweep_histogram_config_static_selectorELNS0_4arch9wavefront6targetE0EEEvSD_.num_agpr, 0
	.set _ZN7rocprim17ROCPRIM_400000_NS6detail17trampoline_kernelINS0_14default_configENS1_35radix_sort_onesweep_config_selectorIaNS0_10empty_typeEEEZNS1_34radix_sort_onesweep_global_offsetsIS3_Lb1EPKaPS5_mNS0_19identity_decomposerEEE10hipError_tT1_T2_PT3_SF_jT4_jjP12ihipStream_tbEUlT_E0_NS1_11comp_targetILNS1_3genE6ELNS1_11target_archE950ELNS1_3gpuE13ELNS1_3repE0EEENS1_52radix_sort_onesweep_histogram_config_static_selectorELNS0_4arch9wavefront6targetE0EEEvSD_.numbered_sgpr, 0
	.set _ZN7rocprim17ROCPRIM_400000_NS6detail17trampoline_kernelINS0_14default_configENS1_35radix_sort_onesweep_config_selectorIaNS0_10empty_typeEEEZNS1_34radix_sort_onesweep_global_offsetsIS3_Lb1EPKaPS5_mNS0_19identity_decomposerEEE10hipError_tT1_T2_PT3_SF_jT4_jjP12ihipStream_tbEUlT_E0_NS1_11comp_targetILNS1_3genE6ELNS1_11target_archE950ELNS1_3gpuE13ELNS1_3repE0EEENS1_52radix_sort_onesweep_histogram_config_static_selectorELNS0_4arch9wavefront6targetE0EEEvSD_.num_named_barrier, 0
	.set _ZN7rocprim17ROCPRIM_400000_NS6detail17trampoline_kernelINS0_14default_configENS1_35radix_sort_onesweep_config_selectorIaNS0_10empty_typeEEEZNS1_34radix_sort_onesweep_global_offsetsIS3_Lb1EPKaPS5_mNS0_19identity_decomposerEEE10hipError_tT1_T2_PT3_SF_jT4_jjP12ihipStream_tbEUlT_E0_NS1_11comp_targetILNS1_3genE6ELNS1_11target_archE950ELNS1_3gpuE13ELNS1_3repE0EEENS1_52radix_sort_onesweep_histogram_config_static_selectorELNS0_4arch9wavefront6targetE0EEEvSD_.private_seg_size, 0
	.set _ZN7rocprim17ROCPRIM_400000_NS6detail17trampoline_kernelINS0_14default_configENS1_35radix_sort_onesweep_config_selectorIaNS0_10empty_typeEEEZNS1_34radix_sort_onesweep_global_offsetsIS3_Lb1EPKaPS5_mNS0_19identity_decomposerEEE10hipError_tT1_T2_PT3_SF_jT4_jjP12ihipStream_tbEUlT_E0_NS1_11comp_targetILNS1_3genE6ELNS1_11target_archE950ELNS1_3gpuE13ELNS1_3repE0EEENS1_52radix_sort_onesweep_histogram_config_static_selectorELNS0_4arch9wavefront6targetE0EEEvSD_.uses_vcc, 0
	.set _ZN7rocprim17ROCPRIM_400000_NS6detail17trampoline_kernelINS0_14default_configENS1_35radix_sort_onesweep_config_selectorIaNS0_10empty_typeEEEZNS1_34radix_sort_onesweep_global_offsetsIS3_Lb1EPKaPS5_mNS0_19identity_decomposerEEE10hipError_tT1_T2_PT3_SF_jT4_jjP12ihipStream_tbEUlT_E0_NS1_11comp_targetILNS1_3genE6ELNS1_11target_archE950ELNS1_3gpuE13ELNS1_3repE0EEENS1_52radix_sort_onesweep_histogram_config_static_selectorELNS0_4arch9wavefront6targetE0EEEvSD_.uses_flat_scratch, 0
	.set _ZN7rocprim17ROCPRIM_400000_NS6detail17trampoline_kernelINS0_14default_configENS1_35radix_sort_onesweep_config_selectorIaNS0_10empty_typeEEEZNS1_34radix_sort_onesweep_global_offsetsIS3_Lb1EPKaPS5_mNS0_19identity_decomposerEEE10hipError_tT1_T2_PT3_SF_jT4_jjP12ihipStream_tbEUlT_E0_NS1_11comp_targetILNS1_3genE6ELNS1_11target_archE950ELNS1_3gpuE13ELNS1_3repE0EEENS1_52radix_sort_onesweep_histogram_config_static_selectorELNS0_4arch9wavefront6targetE0EEEvSD_.has_dyn_sized_stack, 0
	.set _ZN7rocprim17ROCPRIM_400000_NS6detail17trampoline_kernelINS0_14default_configENS1_35radix_sort_onesweep_config_selectorIaNS0_10empty_typeEEEZNS1_34radix_sort_onesweep_global_offsetsIS3_Lb1EPKaPS5_mNS0_19identity_decomposerEEE10hipError_tT1_T2_PT3_SF_jT4_jjP12ihipStream_tbEUlT_E0_NS1_11comp_targetILNS1_3genE6ELNS1_11target_archE950ELNS1_3gpuE13ELNS1_3repE0EEENS1_52radix_sort_onesweep_histogram_config_static_selectorELNS0_4arch9wavefront6targetE0EEEvSD_.has_recursion, 0
	.set _ZN7rocprim17ROCPRIM_400000_NS6detail17trampoline_kernelINS0_14default_configENS1_35radix_sort_onesweep_config_selectorIaNS0_10empty_typeEEEZNS1_34radix_sort_onesweep_global_offsetsIS3_Lb1EPKaPS5_mNS0_19identity_decomposerEEE10hipError_tT1_T2_PT3_SF_jT4_jjP12ihipStream_tbEUlT_E0_NS1_11comp_targetILNS1_3genE6ELNS1_11target_archE950ELNS1_3gpuE13ELNS1_3repE0EEENS1_52radix_sort_onesweep_histogram_config_static_selectorELNS0_4arch9wavefront6targetE0EEEvSD_.has_indirect_call, 0
	.section	.AMDGPU.csdata,"",@progbits
; Kernel info:
; codeLenInByte = 0
; TotalNumSgprs: 0
; NumVgprs: 0
; ScratchSize: 0
; MemoryBound: 0
; FloatMode: 240
; IeeeMode: 1
; LDSByteSize: 0 bytes/workgroup (compile time only)
; SGPRBlocks: 0
; VGPRBlocks: 0
; NumSGPRsForWavesPerEU: 1
; NumVGPRsForWavesPerEU: 1
; NamedBarCnt: 0
; Occupancy: 16
; WaveLimiterHint : 0
; COMPUTE_PGM_RSRC2:SCRATCH_EN: 0
; COMPUTE_PGM_RSRC2:USER_SGPR: 2
; COMPUTE_PGM_RSRC2:TRAP_HANDLER: 0
; COMPUTE_PGM_RSRC2:TGID_X_EN: 1
; COMPUTE_PGM_RSRC2:TGID_Y_EN: 0
; COMPUTE_PGM_RSRC2:TGID_Z_EN: 0
; COMPUTE_PGM_RSRC2:TIDIG_COMP_CNT: 0
	.section	.text._ZN7rocprim17ROCPRIM_400000_NS6detail17trampoline_kernelINS0_14default_configENS1_35radix_sort_onesweep_config_selectorIaNS0_10empty_typeEEEZNS1_34radix_sort_onesweep_global_offsetsIS3_Lb1EPKaPS5_mNS0_19identity_decomposerEEE10hipError_tT1_T2_PT3_SF_jT4_jjP12ihipStream_tbEUlT_E0_NS1_11comp_targetILNS1_3genE5ELNS1_11target_archE942ELNS1_3gpuE9ELNS1_3repE0EEENS1_52radix_sort_onesweep_histogram_config_static_selectorELNS0_4arch9wavefront6targetE0EEEvSD_,"axG",@progbits,_ZN7rocprim17ROCPRIM_400000_NS6detail17trampoline_kernelINS0_14default_configENS1_35radix_sort_onesweep_config_selectorIaNS0_10empty_typeEEEZNS1_34radix_sort_onesweep_global_offsetsIS3_Lb1EPKaPS5_mNS0_19identity_decomposerEEE10hipError_tT1_T2_PT3_SF_jT4_jjP12ihipStream_tbEUlT_E0_NS1_11comp_targetILNS1_3genE5ELNS1_11target_archE942ELNS1_3gpuE9ELNS1_3repE0EEENS1_52radix_sort_onesweep_histogram_config_static_selectorELNS0_4arch9wavefront6targetE0EEEvSD_,comdat
	.protected	_ZN7rocprim17ROCPRIM_400000_NS6detail17trampoline_kernelINS0_14default_configENS1_35radix_sort_onesweep_config_selectorIaNS0_10empty_typeEEEZNS1_34radix_sort_onesweep_global_offsetsIS3_Lb1EPKaPS5_mNS0_19identity_decomposerEEE10hipError_tT1_T2_PT3_SF_jT4_jjP12ihipStream_tbEUlT_E0_NS1_11comp_targetILNS1_3genE5ELNS1_11target_archE942ELNS1_3gpuE9ELNS1_3repE0EEENS1_52radix_sort_onesweep_histogram_config_static_selectorELNS0_4arch9wavefront6targetE0EEEvSD_ ; -- Begin function _ZN7rocprim17ROCPRIM_400000_NS6detail17trampoline_kernelINS0_14default_configENS1_35radix_sort_onesweep_config_selectorIaNS0_10empty_typeEEEZNS1_34radix_sort_onesweep_global_offsetsIS3_Lb1EPKaPS5_mNS0_19identity_decomposerEEE10hipError_tT1_T2_PT3_SF_jT4_jjP12ihipStream_tbEUlT_E0_NS1_11comp_targetILNS1_3genE5ELNS1_11target_archE942ELNS1_3gpuE9ELNS1_3repE0EEENS1_52radix_sort_onesweep_histogram_config_static_selectorELNS0_4arch9wavefront6targetE0EEEvSD_
	.globl	_ZN7rocprim17ROCPRIM_400000_NS6detail17trampoline_kernelINS0_14default_configENS1_35radix_sort_onesweep_config_selectorIaNS0_10empty_typeEEEZNS1_34radix_sort_onesweep_global_offsetsIS3_Lb1EPKaPS5_mNS0_19identity_decomposerEEE10hipError_tT1_T2_PT3_SF_jT4_jjP12ihipStream_tbEUlT_E0_NS1_11comp_targetILNS1_3genE5ELNS1_11target_archE942ELNS1_3gpuE9ELNS1_3repE0EEENS1_52radix_sort_onesweep_histogram_config_static_selectorELNS0_4arch9wavefront6targetE0EEEvSD_
	.p2align	8
	.type	_ZN7rocprim17ROCPRIM_400000_NS6detail17trampoline_kernelINS0_14default_configENS1_35radix_sort_onesweep_config_selectorIaNS0_10empty_typeEEEZNS1_34radix_sort_onesweep_global_offsetsIS3_Lb1EPKaPS5_mNS0_19identity_decomposerEEE10hipError_tT1_T2_PT3_SF_jT4_jjP12ihipStream_tbEUlT_E0_NS1_11comp_targetILNS1_3genE5ELNS1_11target_archE942ELNS1_3gpuE9ELNS1_3repE0EEENS1_52radix_sort_onesweep_histogram_config_static_selectorELNS0_4arch9wavefront6targetE0EEEvSD_,@function
_ZN7rocprim17ROCPRIM_400000_NS6detail17trampoline_kernelINS0_14default_configENS1_35radix_sort_onesweep_config_selectorIaNS0_10empty_typeEEEZNS1_34radix_sort_onesweep_global_offsetsIS3_Lb1EPKaPS5_mNS0_19identity_decomposerEEE10hipError_tT1_T2_PT3_SF_jT4_jjP12ihipStream_tbEUlT_E0_NS1_11comp_targetILNS1_3genE5ELNS1_11target_archE942ELNS1_3gpuE9ELNS1_3repE0EEENS1_52radix_sort_onesweep_histogram_config_static_selectorELNS0_4arch9wavefront6targetE0EEEvSD_: ; @_ZN7rocprim17ROCPRIM_400000_NS6detail17trampoline_kernelINS0_14default_configENS1_35radix_sort_onesweep_config_selectorIaNS0_10empty_typeEEEZNS1_34radix_sort_onesweep_global_offsetsIS3_Lb1EPKaPS5_mNS0_19identity_decomposerEEE10hipError_tT1_T2_PT3_SF_jT4_jjP12ihipStream_tbEUlT_E0_NS1_11comp_targetILNS1_3genE5ELNS1_11target_archE942ELNS1_3gpuE9ELNS1_3repE0EEENS1_52radix_sort_onesweep_histogram_config_static_selectorELNS0_4arch9wavefront6targetE0EEEvSD_
; %bb.0:
	.section	.rodata,"a",@progbits
	.p2align	6, 0x0
	.amdhsa_kernel _ZN7rocprim17ROCPRIM_400000_NS6detail17trampoline_kernelINS0_14default_configENS1_35radix_sort_onesweep_config_selectorIaNS0_10empty_typeEEEZNS1_34radix_sort_onesweep_global_offsetsIS3_Lb1EPKaPS5_mNS0_19identity_decomposerEEE10hipError_tT1_T2_PT3_SF_jT4_jjP12ihipStream_tbEUlT_E0_NS1_11comp_targetILNS1_3genE5ELNS1_11target_archE942ELNS1_3gpuE9ELNS1_3repE0EEENS1_52radix_sort_onesweep_histogram_config_static_selectorELNS0_4arch9wavefront6targetE0EEEvSD_
		.amdhsa_group_segment_fixed_size 0
		.amdhsa_private_segment_fixed_size 0
		.amdhsa_kernarg_size 8
		.amdhsa_user_sgpr_count 2
		.amdhsa_user_sgpr_dispatch_ptr 0
		.amdhsa_user_sgpr_queue_ptr 0
		.amdhsa_user_sgpr_kernarg_segment_ptr 1
		.amdhsa_user_sgpr_dispatch_id 0
		.amdhsa_user_sgpr_kernarg_preload_length 0
		.amdhsa_user_sgpr_kernarg_preload_offset 0
		.amdhsa_user_sgpr_private_segment_size 0
		.amdhsa_wavefront_size32 1
		.amdhsa_uses_dynamic_stack 0
		.amdhsa_enable_private_segment 0
		.amdhsa_system_sgpr_workgroup_id_x 1
		.amdhsa_system_sgpr_workgroup_id_y 0
		.amdhsa_system_sgpr_workgroup_id_z 0
		.amdhsa_system_sgpr_workgroup_info 0
		.amdhsa_system_vgpr_workitem_id 0
		.amdhsa_next_free_vgpr 1
		.amdhsa_next_free_sgpr 1
		.amdhsa_named_barrier_count 0
		.amdhsa_reserve_vcc 0
		.amdhsa_float_round_mode_32 0
		.amdhsa_float_round_mode_16_64 0
		.amdhsa_float_denorm_mode_32 3
		.amdhsa_float_denorm_mode_16_64 3
		.amdhsa_fp16_overflow 0
		.amdhsa_memory_ordered 1
		.amdhsa_forward_progress 1
		.amdhsa_inst_pref_size 0
		.amdhsa_round_robin_scheduling 0
		.amdhsa_exception_fp_ieee_invalid_op 0
		.amdhsa_exception_fp_denorm_src 0
		.amdhsa_exception_fp_ieee_div_zero 0
		.amdhsa_exception_fp_ieee_overflow 0
		.amdhsa_exception_fp_ieee_underflow 0
		.amdhsa_exception_fp_ieee_inexact 0
		.amdhsa_exception_int_div_zero 0
	.end_amdhsa_kernel
	.section	.text._ZN7rocprim17ROCPRIM_400000_NS6detail17trampoline_kernelINS0_14default_configENS1_35radix_sort_onesweep_config_selectorIaNS0_10empty_typeEEEZNS1_34radix_sort_onesweep_global_offsetsIS3_Lb1EPKaPS5_mNS0_19identity_decomposerEEE10hipError_tT1_T2_PT3_SF_jT4_jjP12ihipStream_tbEUlT_E0_NS1_11comp_targetILNS1_3genE5ELNS1_11target_archE942ELNS1_3gpuE9ELNS1_3repE0EEENS1_52radix_sort_onesweep_histogram_config_static_selectorELNS0_4arch9wavefront6targetE0EEEvSD_,"axG",@progbits,_ZN7rocprim17ROCPRIM_400000_NS6detail17trampoline_kernelINS0_14default_configENS1_35radix_sort_onesweep_config_selectorIaNS0_10empty_typeEEEZNS1_34radix_sort_onesweep_global_offsetsIS3_Lb1EPKaPS5_mNS0_19identity_decomposerEEE10hipError_tT1_T2_PT3_SF_jT4_jjP12ihipStream_tbEUlT_E0_NS1_11comp_targetILNS1_3genE5ELNS1_11target_archE942ELNS1_3gpuE9ELNS1_3repE0EEENS1_52radix_sort_onesweep_histogram_config_static_selectorELNS0_4arch9wavefront6targetE0EEEvSD_,comdat
.Lfunc_end340:
	.size	_ZN7rocprim17ROCPRIM_400000_NS6detail17trampoline_kernelINS0_14default_configENS1_35radix_sort_onesweep_config_selectorIaNS0_10empty_typeEEEZNS1_34radix_sort_onesweep_global_offsetsIS3_Lb1EPKaPS5_mNS0_19identity_decomposerEEE10hipError_tT1_T2_PT3_SF_jT4_jjP12ihipStream_tbEUlT_E0_NS1_11comp_targetILNS1_3genE5ELNS1_11target_archE942ELNS1_3gpuE9ELNS1_3repE0EEENS1_52radix_sort_onesweep_histogram_config_static_selectorELNS0_4arch9wavefront6targetE0EEEvSD_, .Lfunc_end340-_ZN7rocprim17ROCPRIM_400000_NS6detail17trampoline_kernelINS0_14default_configENS1_35radix_sort_onesweep_config_selectorIaNS0_10empty_typeEEEZNS1_34radix_sort_onesweep_global_offsetsIS3_Lb1EPKaPS5_mNS0_19identity_decomposerEEE10hipError_tT1_T2_PT3_SF_jT4_jjP12ihipStream_tbEUlT_E0_NS1_11comp_targetILNS1_3genE5ELNS1_11target_archE942ELNS1_3gpuE9ELNS1_3repE0EEENS1_52radix_sort_onesweep_histogram_config_static_selectorELNS0_4arch9wavefront6targetE0EEEvSD_
                                        ; -- End function
	.set _ZN7rocprim17ROCPRIM_400000_NS6detail17trampoline_kernelINS0_14default_configENS1_35radix_sort_onesweep_config_selectorIaNS0_10empty_typeEEEZNS1_34radix_sort_onesweep_global_offsetsIS3_Lb1EPKaPS5_mNS0_19identity_decomposerEEE10hipError_tT1_T2_PT3_SF_jT4_jjP12ihipStream_tbEUlT_E0_NS1_11comp_targetILNS1_3genE5ELNS1_11target_archE942ELNS1_3gpuE9ELNS1_3repE0EEENS1_52radix_sort_onesweep_histogram_config_static_selectorELNS0_4arch9wavefront6targetE0EEEvSD_.num_vgpr, 0
	.set _ZN7rocprim17ROCPRIM_400000_NS6detail17trampoline_kernelINS0_14default_configENS1_35radix_sort_onesweep_config_selectorIaNS0_10empty_typeEEEZNS1_34radix_sort_onesweep_global_offsetsIS3_Lb1EPKaPS5_mNS0_19identity_decomposerEEE10hipError_tT1_T2_PT3_SF_jT4_jjP12ihipStream_tbEUlT_E0_NS1_11comp_targetILNS1_3genE5ELNS1_11target_archE942ELNS1_3gpuE9ELNS1_3repE0EEENS1_52radix_sort_onesweep_histogram_config_static_selectorELNS0_4arch9wavefront6targetE0EEEvSD_.num_agpr, 0
	.set _ZN7rocprim17ROCPRIM_400000_NS6detail17trampoline_kernelINS0_14default_configENS1_35radix_sort_onesweep_config_selectorIaNS0_10empty_typeEEEZNS1_34radix_sort_onesweep_global_offsetsIS3_Lb1EPKaPS5_mNS0_19identity_decomposerEEE10hipError_tT1_T2_PT3_SF_jT4_jjP12ihipStream_tbEUlT_E0_NS1_11comp_targetILNS1_3genE5ELNS1_11target_archE942ELNS1_3gpuE9ELNS1_3repE0EEENS1_52radix_sort_onesweep_histogram_config_static_selectorELNS0_4arch9wavefront6targetE0EEEvSD_.numbered_sgpr, 0
	.set _ZN7rocprim17ROCPRIM_400000_NS6detail17trampoline_kernelINS0_14default_configENS1_35radix_sort_onesweep_config_selectorIaNS0_10empty_typeEEEZNS1_34radix_sort_onesweep_global_offsetsIS3_Lb1EPKaPS5_mNS0_19identity_decomposerEEE10hipError_tT1_T2_PT3_SF_jT4_jjP12ihipStream_tbEUlT_E0_NS1_11comp_targetILNS1_3genE5ELNS1_11target_archE942ELNS1_3gpuE9ELNS1_3repE0EEENS1_52radix_sort_onesweep_histogram_config_static_selectorELNS0_4arch9wavefront6targetE0EEEvSD_.num_named_barrier, 0
	.set _ZN7rocprim17ROCPRIM_400000_NS6detail17trampoline_kernelINS0_14default_configENS1_35radix_sort_onesweep_config_selectorIaNS0_10empty_typeEEEZNS1_34radix_sort_onesweep_global_offsetsIS3_Lb1EPKaPS5_mNS0_19identity_decomposerEEE10hipError_tT1_T2_PT3_SF_jT4_jjP12ihipStream_tbEUlT_E0_NS1_11comp_targetILNS1_3genE5ELNS1_11target_archE942ELNS1_3gpuE9ELNS1_3repE0EEENS1_52radix_sort_onesweep_histogram_config_static_selectorELNS0_4arch9wavefront6targetE0EEEvSD_.private_seg_size, 0
	.set _ZN7rocprim17ROCPRIM_400000_NS6detail17trampoline_kernelINS0_14default_configENS1_35radix_sort_onesweep_config_selectorIaNS0_10empty_typeEEEZNS1_34radix_sort_onesweep_global_offsetsIS3_Lb1EPKaPS5_mNS0_19identity_decomposerEEE10hipError_tT1_T2_PT3_SF_jT4_jjP12ihipStream_tbEUlT_E0_NS1_11comp_targetILNS1_3genE5ELNS1_11target_archE942ELNS1_3gpuE9ELNS1_3repE0EEENS1_52radix_sort_onesweep_histogram_config_static_selectorELNS0_4arch9wavefront6targetE0EEEvSD_.uses_vcc, 0
	.set _ZN7rocprim17ROCPRIM_400000_NS6detail17trampoline_kernelINS0_14default_configENS1_35radix_sort_onesweep_config_selectorIaNS0_10empty_typeEEEZNS1_34radix_sort_onesweep_global_offsetsIS3_Lb1EPKaPS5_mNS0_19identity_decomposerEEE10hipError_tT1_T2_PT3_SF_jT4_jjP12ihipStream_tbEUlT_E0_NS1_11comp_targetILNS1_3genE5ELNS1_11target_archE942ELNS1_3gpuE9ELNS1_3repE0EEENS1_52radix_sort_onesweep_histogram_config_static_selectorELNS0_4arch9wavefront6targetE0EEEvSD_.uses_flat_scratch, 0
	.set _ZN7rocprim17ROCPRIM_400000_NS6detail17trampoline_kernelINS0_14default_configENS1_35radix_sort_onesweep_config_selectorIaNS0_10empty_typeEEEZNS1_34radix_sort_onesweep_global_offsetsIS3_Lb1EPKaPS5_mNS0_19identity_decomposerEEE10hipError_tT1_T2_PT3_SF_jT4_jjP12ihipStream_tbEUlT_E0_NS1_11comp_targetILNS1_3genE5ELNS1_11target_archE942ELNS1_3gpuE9ELNS1_3repE0EEENS1_52radix_sort_onesweep_histogram_config_static_selectorELNS0_4arch9wavefront6targetE0EEEvSD_.has_dyn_sized_stack, 0
	.set _ZN7rocprim17ROCPRIM_400000_NS6detail17trampoline_kernelINS0_14default_configENS1_35radix_sort_onesweep_config_selectorIaNS0_10empty_typeEEEZNS1_34radix_sort_onesweep_global_offsetsIS3_Lb1EPKaPS5_mNS0_19identity_decomposerEEE10hipError_tT1_T2_PT3_SF_jT4_jjP12ihipStream_tbEUlT_E0_NS1_11comp_targetILNS1_3genE5ELNS1_11target_archE942ELNS1_3gpuE9ELNS1_3repE0EEENS1_52radix_sort_onesweep_histogram_config_static_selectorELNS0_4arch9wavefront6targetE0EEEvSD_.has_recursion, 0
	.set _ZN7rocprim17ROCPRIM_400000_NS6detail17trampoline_kernelINS0_14default_configENS1_35radix_sort_onesweep_config_selectorIaNS0_10empty_typeEEEZNS1_34radix_sort_onesweep_global_offsetsIS3_Lb1EPKaPS5_mNS0_19identity_decomposerEEE10hipError_tT1_T2_PT3_SF_jT4_jjP12ihipStream_tbEUlT_E0_NS1_11comp_targetILNS1_3genE5ELNS1_11target_archE942ELNS1_3gpuE9ELNS1_3repE0EEENS1_52radix_sort_onesweep_histogram_config_static_selectorELNS0_4arch9wavefront6targetE0EEEvSD_.has_indirect_call, 0
	.section	.AMDGPU.csdata,"",@progbits
; Kernel info:
; codeLenInByte = 0
; TotalNumSgprs: 0
; NumVgprs: 0
; ScratchSize: 0
; MemoryBound: 0
; FloatMode: 240
; IeeeMode: 1
; LDSByteSize: 0 bytes/workgroup (compile time only)
; SGPRBlocks: 0
; VGPRBlocks: 0
; NumSGPRsForWavesPerEU: 1
; NumVGPRsForWavesPerEU: 1
; NamedBarCnt: 0
; Occupancy: 16
; WaveLimiterHint : 0
; COMPUTE_PGM_RSRC2:SCRATCH_EN: 0
; COMPUTE_PGM_RSRC2:USER_SGPR: 2
; COMPUTE_PGM_RSRC2:TRAP_HANDLER: 0
; COMPUTE_PGM_RSRC2:TGID_X_EN: 1
; COMPUTE_PGM_RSRC2:TGID_Y_EN: 0
; COMPUTE_PGM_RSRC2:TGID_Z_EN: 0
; COMPUTE_PGM_RSRC2:TIDIG_COMP_CNT: 0
	.section	.text._ZN7rocprim17ROCPRIM_400000_NS6detail17trampoline_kernelINS0_14default_configENS1_35radix_sort_onesweep_config_selectorIaNS0_10empty_typeEEEZNS1_34radix_sort_onesweep_global_offsetsIS3_Lb1EPKaPS5_mNS0_19identity_decomposerEEE10hipError_tT1_T2_PT3_SF_jT4_jjP12ihipStream_tbEUlT_E0_NS1_11comp_targetILNS1_3genE2ELNS1_11target_archE906ELNS1_3gpuE6ELNS1_3repE0EEENS1_52radix_sort_onesweep_histogram_config_static_selectorELNS0_4arch9wavefront6targetE0EEEvSD_,"axG",@progbits,_ZN7rocprim17ROCPRIM_400000_NS6detail17trampoline_kernelINS0_14default_configENS1_35radix_sort_onesweep_config_selectorIaNS0_10empty_typeEEEZNS1_34radix_sort_onesweep_global_offsetsIS3_Lb1EPKaPS5_mNS0_19identity_decomposerEEE10hipError_tT1_T2_PT3_SF_jT4_jjP12ihipStream_tbEUlT_E0_NS1_11comp_targetILNS1_3genE2ELNS1_11target_archE906ELNS1_3gpuE6ELNS1_3repE0EEENS1_52radix_sort_onesweep_histogram_config_static_selectorELNS0_4arch9wavefront6targetE0EEEvSD_,comdat
	.protected	_ZN7rocprim17ROCPRIM_400000_NS6detail17trampoline_kernelINS0_14default_configENS1_35radix_sort_onesweep_config_selectorIaNS0_10empty_typeEEEZNS1_34radix_sort_onesweep_global_offsetsIS3_Lb1EPKaPS5_mNS0_19identity_decomposerEEE10hipError_tT1_T2_PT3_SF_jT4_jjP12ihipStream_tbEUlT_E0_NS1_11comp_targetILNS1_3genE2ELNS1_11target_archE906ELNS1_3gpuE6ELNS1_3repE0EEENS1_52radix_sort_onesweep_histogram_config_static_selectorELNS0_4arch9wavefront6targetE0EEEvSD_ ; -- Begin function _ZN7rocprim17ROCPRIM_400000_NS6detail17trampoline_kernelINS0_14default_configENS1_35radix_sort_onesweep_config_selectorIaNS0_10empty_typeEEEZNS1_34radix_sort_onesweep_global_offsetsIS3_Lb1EPKaPS5_mNS0_19identity_decomposerEEE10hipError_tT1_T2_PT3_SF_jT4_jjP12ihipStream_tbEUlT_E0_NS1_11comp_targetILNS1_3genE2ELNS1_11target_archE906ELNS1_3gpuE6ELNS1_3repE0EEENS1_52radix_sort_onesweep_histogram_config_static_selectorELNS0_4arch9wavefront6targetE0EEEvSD_
	.globl	_ZN7rocprim17ROCPRIM_400000_NS6detail17trampoline_kernelINS0_14default_configENS1_35radix_sort_onesweep_config_selectorIaNS0_10empty_typeEEEZNS1_34radix_sort_onesweep_global_offsetsIS3_Lb1EPKaPS5_mNS0_19identity_decomposerEEE10hipError_tT1_T2_PT3_SF_jT4_jjP12ihipStream_tbEUlT_E0_NS1_11comp_targetILNS1_3genE2ELNS1_11target_archE906ELNS1_3gpuE6ELNS1_3repE0EEENS1_52radix_sort_onesweep_histogram_config_static_selectorELNS0_4arch9wavefront6targetE0EEEvSD_
	.p2align	8
	.type	_ZN7rocprim17ROCPRIM_400000_NS6detail17trampoline_kernelINS0_14default_configENS1_35radix_sort_onesweep_config_selectorIaNS0_10empty_typeEEEZNS1_34radix_sort_onesweep_global_offsetsIS3_Lb1EPKaPS5_mNS0_19identity_decomposerEEE10hipError_tT1_T2_PT3_SF_jT4_jjP12ihipStream_tbEUlT_E0_NS1_11comp_targetILNS1_3genE2ELNS1_11target_archE906ELNS1_3gpuE6ELNS1_3repE0EEENS1_52radix_sort_onesweep_histogram_config_static_selectorELNS0_4arch9wavefront6targetE0EEEvSD_,@function
_ZN7rocprim17ROCPRIM_400000_NS6detail17trampoline_kernelINS0_14default_configENS1_35radix_sort_onesweep_config_selectorIaNS0_10empty_typeEEEZNS1_34radix_sort_onesweep_global_offsetsIS3_Lb1EPKaPS5_mNS0_19identity_decomposerEEE10hipError_tT1_T2_PT3_SF_jT4_jjP12ihipStream_tbEUlT_E0_NS1_11comp_targetILNS1_3genE2ELNS1_11target_archE906ELNS1_3gpuE6ELNS1_3repE0EEENS1_52radix_sort_onesweep_histogram_config_static_selectorELNS0_4arch9wavefront6targetE0EEEvSD_: ; @_ZN7rocprim17ROCPRIM_400000_NS6detail17trampoline_kernelINS0_14default_configENS1_35radix_sort_onesweep_config_selectorIaNS0_10empty_typeEEEZNS1_34radix_sort_onesweep_global_offsetsIS3_Lb1EPKaPS5_mNS0_19identity_decomposerEEE10hipError_tT1_T2_PT3_SF_jT4_jjP12ihipStream_tbEUlT_E0_NS1_11comp_targetILNS1_3genE2ELNS1_11target_archE906ELNS1_3gpuE6ELNS1_3repE0EEENS1_52radix_sort_onesweep_histogram_config_static_selectorELNS0_4arch9wavefront6targetE0EEEvSD_
; %bb.0:
	.section	.rodata,"a",@progbits
	.p2align	6, 0x0
	.amdhsa_kernel _ZN7rocprim17ROCPRIM_400000_NS6detail17trampoline_kernelINS0_14default_configENS1_35radix_sort_onesweep_config_selectorIaNS0_10empty_typeEEEZNS1_34radix_sort_onesweep_global_offsetsIS3_Lb1EPKaPS5_mNS0_19identity_decomposerEEE10hipError_tT1_T2_PT3_SF_jT4_jjP12ihipStream_tbEUlT_E0_NS1_11comp_targetILNS1_3genE2ELNS1_11target_archE906ELNS1_3gpuE6ELNS1_3repE0EEENS1_52radix_sort_onesweep_histogram_config_static_selectorELNS0_4arch9wavefront6targetE0EEEvSD_
		.amdhsa_group_segment_fixed_size 0
		.amdhsa_private_segment_fixed_size 0
		.amdhsa_kernarg_size 8
		.amdhsa_user_sgpr_count 2
		.amdhsa_user_sgpr_dispatch_ptr 0
		.amdhsa_user_sgpr_queue_ptr 0
		.amdhsa_user_sgpr_kernarg_segment_ptr 1
		.amdhsa_user_sgpr_dispatch_id 0
		.amdhsa_user_sgpr_kernarg_preload_length 0
		.amdhsa_user_sgpr_kernarg_preload_offset 0
		.amdhsa_user_sgpr_private_segment_size 0
		.amdhsa_wavefront_size32 1
		.amdhsa_uses_dynamic_stack 0
		.amdhsa_enable_private_segment 0
		.amdhsa_system_sgpr_workgroup_id_x 1
		.amdhsa_system_sgpr_workgroup_id_y 0
		.amdhsa_system_sgpr_workgroup_id_z 0
		.amdhsa_system_sgpr_workgroup_info 0
		.amdhsa_system_vgpr_workitem_id 0
		.amdhsa_next_free_vgpr 1
		.amdhsa_next_free_sgpr 1
		.amdhsa_named_barrier_count 0
		.amdhsa_reserve_vcc 0
		.amdhsa_float_round_mode_32 0
		.amdhsa_float_round_mode_16_64 0
		.amdhsa_float_denorm_mode_32 3
		.amdhsa_float_denorm_mode_16_64 3
		.amdhsa_fp16_overflow 0
		.amdhsa_memory_ordered 1
		.amdhsa_forward_progress 1
		.amdhsa_inst_pref_size 0
		.amdhsa_round_robin_scheduling 0
		.amdhsa_exception_fp_ieee_invalid_op 0
		.amdhsa_exception_fp_denorm_src 0
		.amdhsa_exception_fp_ieee_div_zero 0
		.amdhsa_exception_fp_ieee_overflow 0
		.amdhsa_exception_fp_ieee_underflow 0
		.amdhsa_exception_fp_ieee_inexact 0
		.amdhsa_exception_int_div_zero 0
	.end_amdhsa_kernel
	.section	.text._ZN7rocprim17ROCPRIM_400000_NS6detail17trampoline_kernelINS0_14default_configENS1_35radix_sort_onesweep_config_selectorIaNS0_10empty_typeEEEZNS1_34radix_sort_onesweep_global_offsetsIS3_Lb1EPKaPS5_mNS0_19identity_decomposerEEE10hipError_tT1_T2_PT3_SF_jT4_jjP12ihipStream_tbEUlT_E0_NS1_11comp_targetILNS1_3genE2ELNS1_11target_archE906ELNS1_3gpuE6ELNS1_3repE0EEENS1_52radix_sort_onesweep_histogram_config_static_selectorELNS0_4arch9wavefront6targetE0EEEvSD_,"axG",@progbits,_ZN7rocprim17ROCPRIM_400000_NS6detail17trampoline_kernelINS0_14default_configENS1_35radix_sort_onesweep_config_selectorIaNS0_10empty_typeEEEZNS1_34radix_sort_onesweep_global_offsetsIS3_Lb1EPKaPS5_mNS0_19identity_decomposerEEE10hipError_tT1_T2_PT3_SF_jT4_jjP12ihipStream_tbEUlT_E0_NS1_11comp_targetILNS1_3genE2ELNS1_11target_archE906ELNS1_3gpuE6ELNS1_3repE0EEENS1_52radix_sort_onesweep_histogram_config_static_selectorELNS0_4arch9wavefront6targetE0EEEvSD_,comdat
.Lfunc_end341:
	.size	_ZN7rocprim17ROCPRIM_400000_NS6detail17trampoline_kernelINS0_14default_configENS1_35radix_sort_onesweep_config_selectorIaNS0_10empty_typeEEEZNS1_34radix_sort_onesweep_global_offsetsIS3_Lb1EPKaPS5_mNS0_19identity_decomposerEEE10hipError_tT1_T2_PT3_SF_jT4_jjP12ihipStream_tbEUlT_E0_NS1_11comp_targetILNS1_3genE2ELNS1_11target_archE906ELNS1_3gpuE6ELNS1_3repE0EEENS1_52radix_sort_onesweep_histogram_config_static_selectorELNS0_4arch9wavefront6targetE0EEEvSD_, .Lfunc_end341-_ZN7rocprim17ROCPRIM_400000_NS6detail17trampoline_kernelINS0_14default_configENS1_35radix_sort_onesweep_config_selectorIaNS0_10empty_typeEEEZNS1_34radix_sort_onesweep_global_offsetsIS3_Lb1EPKaPS5_mNS0_19identity_decomposerEEE10hipError_tT1_T2_PT3_SF_jT4_jjP12ihipStream_tbEUlT_E0_NS1_11comp_targetILNS1_3genE2ELNS1_11target_archE906ELNS1_3gpuE6ELNS1_3repE0EEENS1_52radix_sort_onesweep_histogram_config_static_selectorELNS0_4arch9wavefront6targetE0EEEvSD_
                                        ; -- End function
	.set _ZN7rocprim17ROCPRIM_400000_NS6detail17trampoline_kernelINS0_14default_configENS1_35radix_sort_onesweep_config_selectorIaNS0_10empty_typeEEEZNS1_34radix_sort_onesweep_global_offsetsIS3_Lb1EPKaPS5_mNS0_19identity_decomposerEEE10hipError_tT1_T2_PT3_SF_jT4_jjP12ihipStream_tbEUlT_E0_NS1_11comp_targetILNS1_3genE2ELNS1_11target_archE906ELNS1_3gpuE6ELNS1_3repE0EEENS1_52radix_sort_onesweep_histogram_config_static_selectorELNS0_4arch9wavefront6targetE0EEEvSD_.num_vgpr, 0
	.set _ZN7rocprim17ROCPRIM_400000_NS6detail17trampoline_kernelINS0_14default_configENS1_35radix_sort_onesweep_config_selectorIaNS0_10empty_typeEEEZNS1_34radix_sort_onesweep_global_offsetsIS3_Lb1EPKaPS5_mNS0_19identity_decomposerEEE10hipError_tT1_T2_PT3_SF_jT4_jjP12ihipStream_tbEUlT_E0_NS1_11comp_targetILNS1_3genE2ELNS1_11target_archE906ELNS1_3gpuE6ELNS1_3repE0EEENS1_52radix_sort_onesweep_histogram_config_static_selectorELNS0_4arch9wavefront6targetE0EEEvSD_.num_agpr, 0
	.set _ZN7rocprim17ROCPRIM_400000_NS6detail17trampoline_kernelINS0_14default_configENS1_35radix_sort_onesweep_config_selectorIaNS0_10empty_typeEEEZNS1_34radix_sort_onesweep_global_offsetsIS3_Lb1EPKaPS5_mNS0_19identity_decomposerEEE10hipError_tT1_T2_PT3_SF_jT4_jjP12ihipStream_tbEUlT_E0_NS1_11comp_targetILNS1_3genE2ELNS1_11target_archE906ELNS1_3gpuE6ELNS1_3repE0EEENS1_52radix_sort_onesweep_histogram_config_static_selectorELNS0_4arch9wavefront6targetE0EEEvSD_.numbered_sgpr, 0
	.set _ZN7rocprim17ROCPRIM_400000_NS6detail17trampoline_kernelINS0_14default_configENS1_35radix_sort_onesweep_config_selectorIaNS0_10empty_typeEEEZNS1_34radix_sort_onesweep_global_offsetsIS3_Lb1EPKaPS5_mNS0_19identity_decomposerEEE10hipError_tT1_T2_PT3_SF_jT4_jjP12ihipStream_tbEUlT_E0_NS1_11comp_targetILNS1_3genE2ELNS1_11target_archE906ELNS1_3gpuE6ELNS1_3repE0EEENS1_52radix_sort_onesweep_histogram_config_static_selectorELNS0_4arch9wavefront6targetE0EEEvSD_.num_named_barrier, 0
	.set _ZN7rocprim17ROCPRIM_400000_NS6detail17trampoline_kernelINS0_14default_configENS1_35radix_sort_onesweep_config_selectorIaNS0_10empty_typeEEEZNS1_34radix_sort_onesweep_global_offsetsIS3_Lb1EPKaPS5_mNS0_19identity_decomposerEEE10hipError_tT1_T2_PT3_SF_jT4_jjP12ihipStream_tbEUlT_E0_NS1_11comp_targetILNS1_3genE2ELNS1_11target_archE906ELNS1_3gpuE6ELNS1_3repE0EEENS1_52radix_sort_onesweep_histogram_config_static_selectorELNS0_4arch9wavefront6targetE0EEEvSD_.private_seg_size, 0
	.set _ZN7rocprim17ROCPRIM_400000_NS6detail17trampoline_kernelINS0_14default_configENS1_35radix_sort_onesweep_config_selectorIaNS0_10empty_typeEEEZNS1_34radix_sort_onesweep_global_offsetsIS3_Lb1EPKaPS5_mNS0_19identity_decomposerEEE10hipError_tT1_T2_PT3_SF_jT4_jjP12ihipStream_tbEUlT_E0_NS1_11comp_targetILNS1_3genE2ELNS1_11target_archE906ELNS1_3gpuE6ELNS1_3repE0EEENS1_52radix_sort_onesweep_histogram_config_static_selectorELNS0_4arch9wavefront6targetE0EEEvSD_.uses_vcc, 0
	.set _ZN7rocprim17ROCPRIM_400000_NS6detail17trampoline_kernelINS0_14default_configENS1_35radix_sort_onesweep_config_selectorIaNS0_10empty_typeEEEZNS1_34radix_sort_onesweep_global_offsetsIS3_Lb1EPKaPS5_mNS0_19identity_decomposerEEE10hipError_tT1_T2_PT3_SF_jT4_jjP12ihipStream_tbEUlT_E0_NS1_11comp_targetILNS1_3genE2ELNS1_11target_archE906ELNS1_3gpuE6ELNS1_3repE0EEENS1_52radix_sort_onesweep_histogram_config_static_selectorELNS0_4arch9wavefront6targetE0EEEvSD_.uses_flat_scratch, 0
	.set _ZN7rocprim17ROCPRIM_400000_NS6detail17trampoline_kernelINS0_14default_configENS1_35radix_sort_onesweep_config_selectorIaNS0_10empty_typeEEEZNS1_34radix_sort_onesweep_global_offsetsIS3_Lb1EPKaPS5_mNS0_19identity_decomposerEEE10hipError_tT1_T2_PT3_SF_jT4_jjP12ihipStream_tbEUlT_E0_NS1_11comp_targetILNS1_3genE2ELNS1_11target_archE906ELNS1_3gpuE6ELNS1_3repE0EEENS1_52radix_sort_onesweep_histogram_config_static_selectorELNS0_4arch9wavefront6targetE0EEEvSD_.has_dyn_sized_stack, 0
	.set _ZN7rocprim17ROCPRIM_400000_NS6detail17trampoline_kernelINS0_14default_configENS1_35radix_sort_onesweep_config_selectorIaNS0_10empty_typeEEEZNS1_34radix_sort_onesweep_global_offsetsIS3_Lb1EPKaPS5_mNS0_19identity_decomposerEEE10hipError_tT1_T2_PT3_SF_jT4_jjP12ihipStream_tbEUlT_E0_NS1_11comp_targetILNS1_3genE2ELNS1_11target_archE906ELNS1_3gpuE6ELNS1_3repE0EEENS1_52radix_sort_onesweep_histogram_config_static_selectorELNS0_4arch9wavefront6targetE0EEEvSD_.has_recursion, 0
	.set _ZN7rocprim17ROCPRIM_400000_NS6detail17trampoline_kernelINS0_14default_configENS1_35radix_sort_onesweep_config_selectorIaNS0_10empty_typeEEEZNS1_34radix_sort_onesweep_global_offsetsIS3_Lb1EPKaPS5_mNS0_19identity_decomposerEEE10hipError_tT1_T2_PT3_SF_jT4_jjP12ihipStream_tbEUlT_E0_NS1_11comp_targetILNS1_3genE2ELNS1_11target_archE906ELNS1_3gpuE6ELNS1_3repE0EEENS1_52radix_sort_onesweep_histogram_config_static_selectorELNS0_4arch9wavefront6targetE0EEEvSD_.has_indirect_call, 0
	.section	.AMDGPU.csdata,"",@progbits
; Kernel info:
; codeLenInByte = 0
; TotalNumSgprs: 0
; NumVgprs: 0
; ScratchSize: 0
; MemoryBound: 0
; FloatMode: 240
; IeeeMode: 1
; LDSByteSize: 0 bytes/workgroup (compile time only)
; SGPRBlocks: 0
; VGPRBlocks: 0
; NumSGPRsForWavesPerEU: 1
; NumVGPRsForWavesPerEU: 1
; NamedBarCnt: 0
; Occupancy: 16
; WaveLimiterHint : 0
; COMPUTE_PGM_RSRC2:SCRATCH_EN: 0
; COMPUTE_PGM_RSRC2:USER_SGPR: 2
; COMPUTE_PGM_RSRC2:TRAP_HANDLER: 0
; COMPUTE_PGM_RSRC2:TGID_X_EN: 1
; COMPUTE_PGM_RSRC2:TGID_Y_EN: 0
; COMPUTE_PGM_RSRC2:TGID_Z_EN: 0
; COMPUTE_PGM_RSRC2:TIDIG_COMP_CNT: 0
	.section	.text._ZN7rocprim17ROCPRIM_400000_NS6detail17trampoline_kernelINS0_14default_configENS1_35radix_sort_onesweep_config_selectorIaNS0_10empty_typeEEEZNS1_34radix_sort_onesweep_global_offsetsIS3_Lb1EPKaPS5_mNS0_19identity_decomposerEEE10hipError_tT1_T2_PT3_SF_jT4_jjP12ihipStream_tbEUlT_E0_NS1_11comp_targetILNS1_3genE4ELNS1_11target_archE910ELNS1_3gpuE8ELNS1_3repE0EEENS1_52radix_sort_onesweep_histogram_config_static_selectorELNS0_4arch9wavefront6targetE0EEEvSD_,"axG",@progbits,_ZN7rocprim17ROCPRIM_400000_NS6detail17trampoline_kernelINS0_14default_configENS1_35radix_sort_onesweep_config_selectorIaNS0_10empty_typeEEEZNS1_34radix_sort_onesweep_global_offsetsIS3_Lb1EPKaPS5_mNS0_19identity_decomposerEEE10hipError_tT1_T2_PT3_SF_jT4_jjP12ihipStream_tbEUlT_E0_NS1_11comp_targetILNS1_3genE4ELNS1_11target_archE910ELNS1_3gpuE8ELNS1_3repE0EEENS1_52radix_sort_onesweep_histogram_config_static_selectorELNS0_4arch9wavefront6targetE0EEEvSD_,comdat
	.protected	_ZN7rocprim17ROCPRIM_400000_NS6detail17trampoline_kernelINS0_14default_configENS1_35radix_sort_onesweep_config_selectorIaNS0_10empty_typeEEEZNS1_34radix_sort_onesweep_global_offsetsIS3_Lb1EPKaPS5_mNS0_19identity_decomposerEEE10hipError_tT1_T2_PT3_SF_jT4_jjP12ihipStream_tbEUlT_E0_NS1_11comp_targetILNS1_3genE4ELNS1_11target_archE910ELNS1_3gpuE8ELNS1_3repE0EEENS1_52radix_sort_onesweep_histogram_config_static_selectorELNS0_4arch9wavefront6targetE0EEEvSD_ ; -- Begin function _ZN7rocprim17ROCPRIM_400000_NS6detail17trampoline_kernelINS0_14default_configENS1_35radix_sort_onesweep_config_selectorIaNS0_10empty_typeEEEZNS1_34radix_sort_onesweep_global_offsetsIS3_Lb1EPKaPS5_mNS0_19identity_decomposerEEE10hipError_tT1_T2_PT3_SF_jT4_jjP12ihipStream_tbEUlT_E0_NS1_11comp_targetILNS1_3genE4ELNS1_11target_archE910ELNS1_3gpuE8ELNS1_3repE0EEENS1_52radix_sort_onesweep_histogram_config_static_selectorELNS0_4arch9wavefront6targetE0EEEvSD_
	.globl	_ZN7rocprim17ROCPRIM_400000_NS6detail17trampoline_kernelINS0_14default_configENS1_35radix_sort_onesweep_config_selectorIaNS0_10empty_typeEEEZNS1_34radix_sort_onesweep_global_offsetsIS3_Lb1EPKaPS5_mNS0_19identity_decomposerEEE10hipError_tT1_T2_PT3_SF_jT4_jjP12ihipStream_tbEUlT_E0_NS1_11comp_targetILNS1_3genE4ELNS1_11target_archE910ELNS1_3gpuE8ELNS1_3repE0EEENS1_52radix_sort_onesweep_histogram_config_static_selectorELNS0_4arch9wavefront6targetE0EEEvSD_
	.p2align	8
	.type	_ZN7rocprim17ROCPRIM_400000_NS6detail17trampoline_kernelINS0_14default_configENS1_35radix_sort_onesweep_config_selectorIaNS0_10empty_typeEEEZNS1_34radix_sort_onesweep_global_offsetsIS3_Lb1EPKaPS5_mNS0_19identity_decomposerEEE10hipError_tT1_T2_PT3_SF_jT4_jjP12ihipStream_tbEUlT_E0_NS1_11comp_targetILNS1_3genE4ELNS1_11target_archE910ELNS1_3gpuE8ELNS1_3repE0EEENS1_52radix_sort_onesweep_histogram_config_static_selectorELNS0_4arch9wavefront6targetE0EEEvSD_,@function
_ZN7rocprim17ROCPRIM_400000_NS6detail17trampoline_kernelINS0_14default_configENS1_35radix_sort_onesweep_config_selectorIaNS0_10empty_typeEEEZNS1_34radix_sort_onesweep_global_offsetsIS3_Lb1EPKaPS5_mNS0_19identity_decomposerEEE10hipError_tT1_T2_PT3_SF_jT4_jjP12ihipStream_tbEUlT_E0_NS1_11comp_targetILNS1_3genE4ELNS1_11target_archE910ELNS1_3gpuE8ELNS1_3repE0EEENS1_52radix_sort_onesweep_histogram_config_static_selectorELNS0_4arch9wavefront6targetE0EEEvSD_: ; @_ZN7rocprim17ROCPRIM_400000_NS6detail17trampoline_kernelINS0_14default_configENS1_35radix_sort_onesweep_config_selectorIaNS0_10empty_typeEEEZNS1_34radix_sort_onesweep_global_offsetsIS3_Lb1EPKaPS5_mNS0_19identity_decomposerEEE10hipError_tT1_T2_PT3_SF_jT4_jjP12ihipStream_tbEUlT_E0_NS1_11comp_targetILNS1_3genE4ELNS1_11target_archE910ELNS1_3gpuE8ELNS1_3repE0EEENS1_52radix_sort_onesweep_histogram_config_static_selectorELNS0_4arch9wavefront6targetE0EEEvSD_
; %bb.0:
	.section	.rodata,"a",@progbits
	.p2align	6, 0x0
	.amdhsa_kernel _ZN7rocprim17ROCPRIM_400000_NS6detail17trampoline_kernelINS0_14default_configENS1_35radix_sort_onesweep_config_selectorIaNS0_10empty_typeEEEZNS1_34radix_sort_onesweep_global_offsetsIS3_Lb1EPKaPS5_mNS0_19identity_decomposerEEE10hipError_tT1_T2_PT3_SF_jT4_jjP12ihipStream_tbEUlT_E0_NS1_11comp_targetILNS1_3genE4ELNS1_11target_archE910ELNS1_3gpuE8ELNS1_3repE0EEENS1_52radix_sort_onesweep_histogram_config_static_selectorELNS0_4arch9wavefront6targetE0EEEvSD_
		.amdhsa_group_segment_fixed_size 0
		.amdhsa_private_segment_fixed_size 0
		.amdhsa_kernarg_size 8
		.amdhsa_user_sgpr_count 2
		.amdhsa_user_sgpr_dispatch_ptr 0
		.amdhsa_user_sgpr_queue_ptr 0
		.amdhsa_user_sgpr_kernarg_segment_ptr 1
		.amdhsa_user_sgpr_dispatch_id 0
		.amdhsa_user_sgpr_kernarg_preload_length 0
		.amdhsa_user_sgpr_kernarg_preload_offset 0
		.amdhsa_user_sgpr_private_segment_size 0
		.amdhsa_wavefront_size32 1
		.amdhsa_uses_dynamic_stack 0
		.amdhsa_enable_private_segment 0
		.amdhsa_system_sgpr_workgroup_id_x 1
		.amdhsa_system_sgpr_workgroup_id_y 0
		.amdhsa_system_sgpr_workgroup_id_z 0
		.amdhsa_system_sgpr_workgroup_info 0
		.amdhsa_system_vgpr_workitem_id 0
		.amdhsa_next_free_vgpr 1
		.amdhsa_next_free_sgpr 1
		.amdhsa_named_barrier_count 0
		.amdhsa_reserve_vcc 0
		.amdhsa_float_round_mode_32 0
		.amdhsa_float_round_mode_16_64 0
		.amdhsa_float_denorm_mode_32 3
		.amdhsa_float_denorm_mode_16_64 3
		.amdhsa_fp16_overflow 0
		.amdhsa_memory_ordered 1
		.amdhsa_forward_progress 1
		.amdhsa_inst_pref_size 0
		.amdhsa_round_robin_scheduling 0
		.amdhsa_exception_fp_ieee_invalid_op 0
		.amdhsa_exception_fp_denorm_src 0
		.amdhsa_exception_fp_ieee_div_zero 0
		.amdhsa_exception_fp_ieee_overflow 0
		.amdhsa_exception_fp_ieee_underflow 0
		.amdhsa_exception_fp_ieee_inexact 0
		.amdhsa_exception_int_div_zero 0
	.end_amdhsa_kernel
	.section	.text._ZN7rocprim17ROCPRIM_400000_NS6detail17trampoline_kernelINS0_14default_configENS1_35radix_sort_onesweep_config_selectorIaNS0_10empty_typeEEEZNS1_34radix_sort_onesweep_global_offsetsIS3_Lb1EPKaPS5_mNS0_19identity_decomposerEEE10hipError_tT1_T2_PT3_SF_jT4_jjP12ihipStream_tbEUlT_E0_NS1_11comp_targetILNS1_3genE4ELNS1_11target_archE910ELNS1_3gpuE8ELNS1_3repE0EEENS1_52radix_sort_onesweep_histogram_config_static_selectorELNS0_4arch9wavefront6targetE0EEEvSD_,"axG",@progbits,_ZN7rocprim17ROCPRIM_400000_NS6detail17trampoline_kernelINS0_14default_configENS1_35radix_sort_onesweep_config_selectorIaNS0_10empty_typeEEEZNS1_34radix_sort_onesweep_global_offsetsIS3_Lb1EPKaPS5_mNS0_19identity_decomposerEEE10hipError_tT1_T2_PT3_SF_jT4_jjP12ihipStream_tbEUlT_E0_NS1_11comp_targetILNS1_3genE4ELNS1_11target_archE910ELNS1_3gpuE8ELNS1_3repE0EEENS1_52radix_sort_onesweep_histogram_config_static_selectorELNS0_4arch9wavefront6targetE0EEEvSD_,comdat
.Lfunc_end342:
	.size	_ZN7rocprim17ROCPRIM_400000_NS6detail17trampoline_kernelINS0_14default_configENS1_35radix_sort_onesweep_config_selectorIaNS0_10empty_typeEEEZNS1_34radix_sort_onesweep_global_offsetsIS3_Lb1EPKaPS5_mNS0_19identity_decomposerEEE10hipError_tT1_T2_PT3_SF_jT4_jjP12ihipStream_tbEUlT_E0_NS1_11comp_targetILNS1_3genE4ELNS1_11target_archE910ELNS1_3gpuE8ELNS1_3repE0EEENS1_52radix_sort_onesweep_histogram_config_static_selectorELNS0_4arch9wavefront6targetE0EEEvSD_, .Lfunc_end342-_ZN7rocprim17ROCPRIM_400000_NS6detail17trampoline_kernelINS0_14default_configENS1_35radix_sort_onesweep_config_selectorIaNS0_10empty_typeEEEZNS1_34radix_sort_onesweep_global_offsetsIS3_Lb1EPKaPS5_mNS0_19identity_decomposerEEE10hipError_tT1_T2_PT3_SF_jT4_jjP12ihipStream_tbEUlT_E0_NS1_11comp_targetILNS1_3genE4ELNS1_11target_archE910ELNS1_3gpuE8ELNS1_3repE0EEENS1_52radix_sort_onesweep_histogram_config_static_selectorELNS0_4arch9wavefront6targetE0EEEvSD_
                                        ; -- End function
	.set _ZN7rocprim17ROCPRIM_400000_NS6detail17trampoline_kernelINS0_14default_configENS1_35radix_sort_onesweep_config_selectorIaNS0_10empty_typeEEEZNS1_34radix_sort_onesweep_global_offsetsIS3_Lb1EPKaPS5_mNS0_19identity_decomposerEEE10hipError_tT1_T2_PT3_SF_jT4_jjP12ihipStream_tbEUlT_E0_NS1_11comp_targetILNS1_3genE4ELNS1_11target_archE910ELNS1_3gpuE8ELNS1_3repE0EEENS1_52radix_sort_onesweep_histogram_config_static_selectorELNS0_4arch9wavefront6targetE0EEEvSD_.num_vgpr, 0
	.set _ZN7rocprim17ROCPRIM_400000_NS6detail17trampoline_kernelINS0_14default_configENS1_35radix_sort_onesweep_config_selectorIaNS0_10empty_typeEEEZNS1_34radix_sort_onesweep_global_offsetsIS3_Lb1EPKaPS5_mNS0_19identity_decomposerEEE10hipError_tT1_T2_PT3_SF_jT4_jjP12ihipStream_tbEUlT_E0_NS1_11comp_targetILNS1_3genE4ELNS1_11target_archE910ELNS1_3gpuE8ELNS1_3repE0EEENS1_52radix_sort_onesweep_histogram_config_static_selectorELNS0_4arch9wavefront6targetE0EEEvSD_.num_agpr, 0
	.set _ZN7rocprim17ROCPRIM_400000_NS6detail17trampoline_kernelINS0_14default_configENS1_35radix_sort_onesweep_config_selectorIaNS0_10empty_typeEEEZNS1_34radix_sort_onesweep_global_offsetsIS3_Lb1EPKaPS5_mNS0_19identity_decomposerEEE10hipError_tT1_T2_PT3_SF_jT4_jjP12ihipStream_tbEUlT_E0_NS1_11comp_targetILNS1_3genE4ELNS1_11target_archE910ELNS1_3gpuE8ELNS1_3repE0EEENS1_52radix_sort_onesweep_histogram_config_static_selectorELNS0_4arch9wavefront6targetE0EEEvSD_.numbered_sgpr, 0
	.set _ZN7rocprim17ROCPRIM_400000_NS6detail17trampoline_kernelINS0_14default_configENS1_35radix_sort_onesweep_config_selectorIaNS0_10empty_typeEEEZNS1_34radix_sort_onesweep_global_offsetsIS3_Lb1EPKaPS5_mNS0_19identity_decomposerEEE10hipError_tT1_T2_PT3_SF_jT4_jjP12ihipStream_tbEUlT_E0_NS1_11comp_targetILNS1_3genE4ELNS1_11target_archE910ELNS1_3gpuE8ELNS1_3repE0EEENS1_52radix_sort_onesweep_histogram_config_static_selectorELNS0_4arch9wavefront6targetE0EEEvSD_.num_named_barrier, 0
	.set _ZN7rocprim17ROCPRIM_400000_NS6detail17trampoline_kernelINS0_14default_configENS1_35radix_sort_onesweep_config_selectorIaNS0_10empty_typeEEEZNS1_34radix_sort_onesweep_global_offsetsIS3_Lb1EPKaPS5_mNS0_19identity_decomposerEEE10hipError_tT1_T2_PT3_SF_jT4_jjP12ihipStream_tbEUlT_E0_NS1_11comp_targetILNS1_3genE4ELNS1_11target_archE910ELNS1_3gpuE8ELNS1_3repE0EEENS1_52radix_sort_onesweep_histogram_config_static_selectorELNS0_4arch9wavefront6targetE0EEEvSD_.private_seg_size, 0
	.set _ZN7rocprim17ROCPRIM_400000_NS6detail17trampoline_kernelINS0_14default_configENS1_35radix_sort_onesweep_config_selectorIaNS0_10empty_typeEEEZNS1_34radix_sort_onesweep_global_offsetsIS3_Lb1EPKaPS5_mNS0_19identity_decomposerEEE10hipError_tT1_T2_PT3_SF_jT4_jjP12ihipStream_tbEUlT_E0_NS1_11comp_targetILNS1_3genE4ELNS1_11target_archE910ELNS1_3gpuE8ELNS1_3repE0EEENS1_52radix_sort_onesweep_histogram_config_static_selectorELNS0_4arch9wavefront6targetE0EEEvSD_.uses_vcc, 0
	.set _ZN7rocprim17ROCPRIM_400000_NS6detail17trampoline_kernelINS0_14default_configENS1_35radix_sort_onesweep_config_selectorIaNS0_10empty_typeEEEZNS1_34radix_sort_onesweep_global_offsetsIS3_Lb1EPKaPS5_mNS0_19identity_decomposerEEE10hipError_tT1_T2_PT3_SF_jT4_jjP12ihipStream_tbEUlT_E0_NS1_11comp_targetILNS1_3genE4ELNS1_11target_archE910ELNS1_3gpuE8ELNS1_3repE0EEENS1_52radix_sort_onesweep_histogram_config_static_selectorELNS0_4arch9wavefront6targetE0EEEvSD_.uses_flat_scratch, 0
	.set _ZN7rocprim17ROCPRIM_400000_NS6detail17trampoline_kernelINS0_14default_configENS1_35radix_sort_onesweep_config_selectorIaNS0_10empty_typeEEEZNS1_34radix_sort_onesweep_global_offsetsIS3_Lb1EPKaPS5_mNS0_19identity_decomposerEEE10hipError_tT1_T2_PT3_SF_jT4_jjP12ihipStream_tbEUlT_E0_NS1_11comp_targetILNS1_3genE4ELNS1_11target_archE910ELNS1_3gpuE8ELNS1_3repE0EEENS1_52radix_sort_onesweep_histogram_config_static_selectorELNS0_4arch9wavefront6targetE0EEEvSD_.has_dyn_sized_stack, 0
	.set _ZN7rocprim17ROCPRIM_400000_NS6detail17trampoline_kernelINS0_14default_configENS1_35radix_sort_onesweep_config_selectorIaNS0_10empty_typeEEEZNS1_34radix_sort_onesweep_global_offsetsIS3_Lb1EPKaPS5_mNS0_19identity_decomposerEEE10hipError_tT1_T2_PT3_SF_jT4_jjP12ihipStream_tbEUlT_E0_NS1_11comp_targetILNS1_3genE4ELNS1_11target_archE910ELNS1_3gpuE8ELNS1_3repE0EEENS1_52radix_sort_onesweep_histogram_config_static_selectorELNS0_4arch9wavefront6targetE0EEEvSD_.has_recursion, 0
	.set _ZN7rocprim17ROCPRIM_400000_NS6detail17trampoline_kernelINS0_14default_configENS1_35radix_sort_onesweep_config_selectorIaNS0_10empty_typeEEEZNS1_34radix_sort_onesweep_global_offsetsIS3_Lb1EPKaPS5_mNS0_19identity_decomposerEEE10hipError_tT1_T2_PT3_SF_jT4_jjP12ihipStream_tbEUlT_E0_NS1_11comp_targetILNS1_3genE4ELNS1_11target_archE910ELNS1_3gpuE8ELNS1_3repE0EEENS1_52radix_sort_onesweep_histogram_config_static_selectorELNS0_4arch9wavefront6targetE0EEEvSD_.has_indirect_call, 0
	.section	.AMDGPU.csdata,"",@progbits
; Kernel info:
; codeLenInByte = 0
; TotalNumSgprs: 0
; NumVgprs: 0
; ScratchSize: 0
; MemoryBound: 0
; FloatMode: 240
; IeeeMode: 1
; LDSByteSize: 0 bytes/workgroup (compile time only)
; SGPRBlocks: 0
; VGPRBlocks: 0
; NumSGPRsForWavesPerEU: 1
; NumVGPRsForWavesPerEU: 1
; NamedBarCnt: 0
; Occupancy: 16
; WaveLimiterHint : 0
; COMPUTE_PGM_RSRC2:SCRATCH_EN: 0
; COMPUTE_PGM_RSRC2:USER_SGPR: 2
; COMPUTE_PGM_RSRC2:TRAP_HANDLER: 0
; COMPUTE_PGM_RSRC2:TGID_X_EN: 1
; COMPUTE_PGM_RSRC2:TGID_Y_EN: 0
; COMPUTE_PGM_RSRC2:TGID_Z_EN: 0
; COMPUTE_PGM_RSRC2:TIDIG_COMP_CNT: 0
	.section	.text._ZN7rocprim17ROCPRIM_400000_NS6detail17trampoline_kernelINS0_14default_configENS1_35radix_sort_onesweep_config_selectorIaNS0_10empty_typeEEEZNS1_34radix_sort_onesweep_global_offsetsIS3_Lb1EPKaPS5_mNS0_19identity_decomposerEEE10hipError_tT1_T2_PT3_SF_jT4_jjP12ihipStream_tbEUlT_E0_NS1_11comp_targetILNS1_3genE3ELNS1_11target_archE908ELNS1_3gpuE7ELNS1_3repE0EEENS1_52radix_sort_onesweep_histogram_config_static_selectorELNS0_4arch9wavefront6targetE0EEEvSD_,"axG",@progbits,_ZN7rocprim17ROCPRIM_400000_NS6detail17trampoline_kernelINS0_14default_configENS1_35radix_sort_onesweep_config_selectorIaNS0_10empty_typeEEEZNS1_34radix_sort_onesweep_global_offsetsIS3_Lb1EPKaPS5_mNS0_19identity_decomposerEEE10hipError_tT1_T2_PT3_SF_jT4_jjP12ihipStream_tbEUlT_E0_NS1_11comp_targetILNS1_3genE3ELNS1_11target_archE908ELNS1_3gpuE7ELNS1_3repE0EEENS1_52radix_sort_onesweep_histogram_config_static_selectorELNS0_4arch9wavefront6targetE0EEEvSD_,comdat
	.protected	_ZN7rocprim17ROCPRIM_400000_NS6detail17trampoline_kernelINS0_14default_configENS1_35radix_sort_onesweep_config_selectorIaNS0_10empty_typeEEEZNS1_34radix_sort_onesweep_global_offsetsIS3_Lb1EPKaPS5_mNS0_19identity_decomposerEEE10hipError_tT1_T2_PT3_SF_jT4_jjP12ihipStream_tbEUlT_E0_NS1_11comp_targetILNS1_3genE3ELNS1_11target_archE908ELNS1_3gpuE7ELNS1_3repE0EEENS1_52radix_sort_onesweep_histogram_config_static_selectorELNS0_4arch9wavefront6targetE0EEEvSD_ ; -- Begin function _ZN7rocprim17ROCPRIM_400000_NS6detail17trampoline_kernelINS0_14default_configENS1_35radix_sort_onesweep_config_selectorIaNS0_10empty_typeEEEZNS1_34radix_sort_onesweep_global_offsetsIS3_Lb1EPKaPS5_mNS0_19identity_decomposerEEE10hipError_tT1_T2_PT3_SF_jT4_jjP12ihipStream_tbEUlT_E0_NS1_11comp_targetILNS1_3genE3ELNS1_11target_archE908ELNS1_3gpuE7ELNS1_3repE0EEENS1_52radix_sort_onesweep_histogram_config_static_selectorELNS0_4arch9wavefront6targetE0EEEvSD_
	.globl	_ZN7rocprim17ROCPRIM_400000_NS6detail17trampoline_kernelINS0_14default_configENS1_35radix_sort_onesweep_config_selectorIaNS0_10empty_typeEEEZNS1_34radix_sort_onesweep_global_offsetsIS3_Lb1EPKaPS5_mNS0_19identity_decomposerEEE10hipError_tT1_T2_PT3_SF_jT4_jjP12ihipStream_tbEUlT_E0_NS1_11comp_targetILNS1_3genE3ELNS1_11target_archE908ELNS1_3gpuE7ELNS1_3repE0EEENS1_52radix_sort_onesweep_histogram_config_static_selectorELNS0_4arch9wavefront6targetE0EEEvSD_
	.p2align	8
	.type	_ZN7rocprim17ROCPRIM_400000_NS6detail17trampoline_kernelINS0_14default_configENS1_35radix_sort_onesweep_config_selectorIaNS0_10empty_typeEEEZNS1_34radix_sort_onesweep_global_offsetsIS3_Lb1EPKaPS5_mNS0_19identity_decomposerEEE10hipError_tT1_T2_PT3_SF_jT4_jjP12ihipStream_tbEUlT_E0_NS1_11comp_targetILNS1_3genE3ELNS1_11target_archE908ELNS1_3gpuE7ELNS1_3repE0EEENS1_52radix_sort_onesweep_histogram_config_static_selectorELNS0_4arch9wavefront6targetE0EEEvSD_,@function
_ZN7rocprim17ROCPRIM_400000_NS6detail17trampoline_kernelINS0_14default_configENS1_35radix_sort_onesweep_config_selectorIaNS0_10empty_typeEEEZNS1_34radix_sort_onesweep_global_offsetsIS3_Lb1EPKaPS5_mNS0_19identity_decomposerEEE10hipError_tT1_T2_PT3_SF_jT4_jjP12ihipStream_tbEUlT_E0_NS1_11comp_targetILNS1_3genE3ELNS1_11target_archE908ELNS1_3gpuE7ELNS1_3repE0EEENS1_52radix_sort_onesweep_histogram_config_static_selectorELNS0_4arch9wavefront6targetE0EEEvSD_: ; @_ZN7rocprim17ROCPRIM_400000_NS6detail17trampoline_kernelINS0_14default_configENS1_35radix_sort_onesweep_config_selectorIaNS0_10empty_typeEEEZNS1_34radix_sort_onesweep_global_offsetsIS3_Lb1EPKaPS5_mNS0_19identity_decomposerEEE10hipError_tT1_T2_PT3_SF_jT4_jjP12ihipStream_tbEUlT_E0_NS1_11comp_targetILNS1_3genE3ELNS1_11target_archE908ELNS1_3gpuE7ELNS1_3repE0EEENS1_52radix_sort_onesweep_histogram_config_static_selectorELNS0_4arch9wavefront6targetE0EEEvSD_
; %bb.0:
	.section	.rodata,"a",@progbits
	.p2align	6, 0x0
	.amdhsa_kernel _ZN7rocprim17ROCPRIM_400000_NS6detail17trampoline_kernelINS0_14default_configENS1_35radix_sort_onesweep_config_selectorIaNS0_10empty_typeEEEZNS1_34radix_sort_onesweep_global_offsetsIS3_Lb1EPKaPS5_mNS0_19identity_decomposerEEE10hipError_tT1_T2_PT3_SF_jT4_jjP12ihipStream_tbEUlT_E0_NS1_11comp_targetILNS1_3genE3ELNS1_11target_archE908ELNS1_3gpuE7ELNS1_3repE0EEENS1_52radix_sort_onesweep_histogram_config_static_selectorELNS0_4arch9wavefront6targetE0EEEvSD_
		.amdhsa_group_segment_fixed_size 0
		.amdhsa_private_segment_fixed_size 0
		.amdhsa_kernarg_size 8
		.amdhsa_user_sgpr_count 2
		.amdhsa_user_sgpr_dispatch_ptr 0
		.amdhsa_user_sgpr_queue_ptr 0
		.amdhsa_user_sgpr_kernarg_segment_ptr 1
		.amdhsa_user_sgpr_dispatch_id 0
		.amdhsa_user_sgpr_kernarg_preload_length 0
		.amdhsa_user_sgpr_kernarg_preload_offset 0
		.amdhsa_user_sgpr_private_segment_size 0
		.amdhsa_wavefront_size32 1
		.amdhsa_uses_dynamic_stack 0
		.amdhsa_enable_private_segment 0
		.amdhsa_system_sgpr_workgroup_id_x 1
		.amdhsa_system_sgpr_workgroup_id_y 0
		.amdhsa_system_sgpr_workgroup_id_z 0
		.amdhsa_system_sgpr_workgroup_info 0
		.amdhsa_system_vgpr_workitem_id 0
		.amdhsa_next_free_vgpr 1
		.amdhsa_next_free_sgpr 1
		.amdhsa_named_barrier_count 0
		.amdhsa_reserve_vcc 0
		.amdhsa_float_round_mode_32 0
		.amdhsa_float_round_mode_16_64 0
		.amdhsa_float_denorm_mode_32 3
		.amdhsa_float_denorm_mode_16_64 3
		.amdhsa_fp16_overflow 0
		.amdhsa_memory_ordered 1
		.amdhsa_forward_progress 1
		.amdhsa_inst_pref_size 0
		.amdhsa_round_robin_scheduling 0
		.amdhsa_exception_fp_ieee_invalid_op 0
		.amdhsa_exception_fp_denorm_src 0
		.amdhsa_exception_fp_ieee_div_zero 0
		.amdhsa_exception_fp_ieee_overflow 0
		.amdhsa_exception_fp_ieee_underflow 0
		.amdhsa_exception_fp_ieee_inexact 0
		.amdhsa_exception_int_div_zero 0
	.end_amdhsa_kernel
	.section	.text._ZN7rocprim17ROCPRIM_400000_NS6detail17trampoline_kernelINS0_14default_configENS1_35radix_sort_onesweep_config_selectorIaNS0_10empty_typeEEEZNS1_34radix_sort_onesweep_global_offsetsIS3_Lb1EPKaPS5_mNS0_19identity_decomposerEEE10hipError_tT1_T2_PT3_SF_jT4_jjP12ihipStream_tbEUlT_E0_NS1_11comp_targetILNS1_3genE3ELNS1_11target_archE908ELNS1_3gpuE7ELNS1_3repE0EEENS1_52radix_sort_onesweep_histogram_config_static_selectorELNS0_4arch9wavefront6targetE0EEEvSD_,"axG",@progbits,_ZN7rocprim17ROCPRIM_400000_NS6detail17trampoline_kernelINS0_14default_configENS1_35radix_sort_onesweep_config_selectorIaNS0_10empty_typeEEEZNS1_34radix_sort_onesweep_global_offsetsIS3_Lb1EPKaPS5_mNS0_19identity_decomposerEEE10hipError_tT1_T2_PT3_SF_jT4_jjP12ihipStream_tbEUlT_E0_NS1_11comp_targetILNS1_3genE3ELNS1_11target_archE908ELNS1_3gpuE7ELNS1_3repE0EEENS1_52radix_sort_onesweep_histogram_config_static_selectorELNS0_4arch9wavefront6targetE0EEEvSD_,comdat
.Lfunc_end343:
	.size	_ZN7rocprim17ROCPRIM_400000_NS6detail17trampoline_kernelINS0_14default_configENS1_35radix_sort_onesweep_config_selectorIaNS0_10empty_typeEEEZNS1_34radix_sort_onesweep_global_offsetsIS3_Lb1EPKaPS5_mNS0_19identity_decomposerEEE10hipError_tT1_T2_PT3_SF_jT4_jjP12ihipStream_tbEUlT_E0_NS1_11comp_targetILNS1_3genE3ELNS1_11target_archE908ELNS1_3gpuE7ELNS1_3repE0EEENS1_52radix_sort_onesweep_histogram_config_static_selectorELNS0_4arch9wavefront6targetE0EEEvSD_, .Lfunc_end343-_ZN7rocprim17ROCPRIM_400000_NS6detail17trampoline_kernelINS0_14default_configENS1_35radix_sort_onesweep_config_selectorIaNS0_10empty_typeEEEZNS1_34radix_sort_onesweep_global_offsetsIS3_Lb1EPKaPS5_mNS0_19identity_decomposerEEE10hipError_tT1_T2_PT3_SF_jT4_jjP12ihipStream_tbEUlT_E0_NS1_11comp_targetILNS1_3genE3ELNS1_11target_archE908ELNS1_3gpuE7ELNS1_3repE0EEENS1_52radix_sort_onesweep_histogram_config_static_selectorELNS0_4arch9wavefront6targetE0EEEvSD_
                                        ; -- End function
	.set _ZN7rocprim17ROCPRIM_400000_NS6detail17trampoline_kernelINS0_14default_configENS1_35radix_sort_onesweep_config_selectorIaNS0_10empty_typeEEEZNS1_34radix_sort_onesweep_global_offsetsIS3_Lb1EPKaPS5_mNS0_19identity_decomposerEEE10hipError_tT1_T2_PT3_SF_jT4_jjP12ihipStream_tbEUlT_E0_NS1_11comp_targetILNS1_3genE3ELNS1_11target_archE908ELNS1_3gpuE7ELNS1_3repE0EEENS1_52radix_sort_onesweep_histogram_config_static_selectorELNS0_4arch9wavefront6targetE0EEEvSD_.num_vgpr, 0
	.set _ZN7rocprim17ROCPRIM_400000_NS6detail17trampoline_kernelINS0_14default_configENS1_35radix_sort_onesweep_config_selectorIaNS0_10empty_typeEEEZNS1_34radix_sort_onesweep_global_offsetsIS3_Lb1EPKaPS5_mNS0_19identity_decomposerEEE10hipError_tT1_T2_PT3_SF_jT4_jjP12ihipStream_tbEUlT_E0_NS1_11comp_targetILNS1_3genE3ELNS1_11target_archE908ELNS1_3gpuE7ELNS1_3repE0EEENS1_52radix_sort_onesweep_histogram_config_static_selectorELNS0_4arch9wavefront6targetE0EEEvSD_.num_agpr, 0
	.set _ZN7rocprim17ROCPRIM_400000_NS6detail17trampoline_kernelINS0_14default_configENS1_35radix_sort_onesweep_config_selectorIaNS0_10empty_typeEEEZNS1_34radix_sort_onesweep_global_offsetsIS3_Lb1EPKaPS5_mNS0_19identity_decomposerEEE10hipError_tT1_T2_PT3_SF_jT4_jjP12ihipStream_tbEUlT_E0_NS1_11comp_targetILNS1_3genE3ELNS1_11target_archE908ELNS1_3gpuE7ELNS1_3repE0EEENS1_52radix_sort_onesweep_histogram_config_static_selectorELNS0_4arch9wavefront6targetE0EEEvSD_.numbered_sgpr, 0
	.set _ZN7rocprim17ROCPRIM_400000_NS6detail17trampoline_kernelINS0_14default_configENS1_35radix_sort_onesweep_config_selectorIaNS0_10empty_typeEEEZNS1_34radix_sort_onesweep_global_offsetsIS3_Lb1EPKaPS5_mNS0_19identity_decomposerEEE10hipError_tT1_T2_PT3_SF_jT4_jjP12ihipStream_tbEUlT_E0_NS1_11comp_targetILNS1_3genE3ELNS1_11target_archE908ELNS1_3gpuE7ELNS1_3repE0EEENS1_52radix_sort_onesweep_histogram_config_static_selectorELNS0_4arch9wavefront6targetE0EEEvSD_.num_named_barrier, 0
	.set _ZN7rocprim17ROCPRIM_400000_NS6detail17trampoline_kernelINS0_14default_configENS1_35radix_sort_onesweep_config_selectorIaNS0_10empty_typeEEEZNS1_34radix_sort_onesweep_global_offsetsIS3_Lb1EPKaPS5_mNS0_19identity_decomposerEEE10hipError_tT1_T2_PT3_SF_jT4_jjP12ihipStream_tbEUlT_E0_NS1_11comp_targetILNS1_3genE3ELNS1_11target_archE908ELNS1_3gpuE7ELNS1_3repE0EEENS1_52radix_sort_onesweep_histogram_config_static_selectorELNS0_4arch9wavefront6targetE0EEEvSD_.private_seg_size, 0
	.set _ZN7rocprim17ROCPRIM_400000_NS6detail17trampoline_kernelINS0_14default_configENS1_35radix_sort_onesweep_config_selectorIaNS0_10empty_typeEEEZNS1_34radix_sort_onesweep_global_offsetsIS3_Lb1EPKaPS5_mNS0_19identity_decomposerEEE10hipError_tT1_T2_PT3_SF_jT4_jjP12ihipStream_tbEUlT_E0_NS1_11comp_targetILNS1_3genE3ELNS1_11target_archE908ELNS1_3gpuE7ELNS1_3repE0EEENS1_52radix_sort_onesweep_histogram_config_static_selectorELNS0_4arch9wavefront6targetE0EEEvSD_.uses_vcc, 0
	.set _ZN7rocprim17ROCPRIM_400000_NS6detail17trampoline_kernelINS0_14default_configENS1_35radix_sort_onesweep_config_selectorIaNS0_10empty_typeEEEZNS1_34radix_sort_onesweep_global_offsetsIS3_Lb1EPKaPS5_mNS0_19identity_decomposerEEE10hipError_tT1_T2_PT3_SF_jT4_jjP12ihipStream_tbEUlT_E0_NS1_11comp_targetILNS1_3genE3ELNS1_11target_archE908ELNS1_3gpuE7ELNS1_3repE0EEENS1_52radix_sort_onesweep_histogram_config_static_selectorELNS0_4arch9wavefront6targetE0EEEvSD_.uses_flat_scratch, 0
	.set _ZN7rocprim17ROCPRIM_400000_NS6detail17trampoline_kernelINS0_14default_configENS1_35radix_sort_onesweep_config_selectorIaNS0_10empty_typeEEEZNS1_34radix_sort_onesweep_global_offsetsIS3_Lb1EPKaPS5_mNS0_19identity_decomposerEEE10hipError_tT1_T2_PT3_SF_jT4_jjP12ihipStream_tbEUlT_E0_NS1_11comp_targetILNS1_3genE3ELNS1_11target_archE908ELNS1_3gpuE7ELNS1_3repE0EEENS1_52radix_sort_onesweep_histogram_config_static_selectorELNS0_4arch9wavefront6targetE0EEEvSD_.has_dyn_sized_stack, 0
	.set _ZN7rocprim17ROCPRIM_400000_NS6detail17trampoline_kernelINS0_14default_configENS1_35radix_sort_onesweep_config_selectorIaNS0_10empty_typeEEEZNS1_34radix_sort_onesweep_global_offsetsIS3_Lb1EPKaPS5_mNS0_19identity_decomposerEEE10hipError_tT1_T2_PT3_SF_jT4_jjP12ihipStream_tbEUlT_E0_NS1_11comp_targetILNS1_3genE3ELNS1_11target_archE908ELNS1_3gpuE7ELNS1_3repE0EEENS1_52radix_sort_onesweep_histogram_config_static_selectorELNS0_4arch9wavefront6targetE0EEEvSD_.has_recursion, 0
	.set _ZN7rocprim17ROCPRIM_400000_NS6detail17trampoline_kernelINS0_14default_configENS1_35radix_sort_onesweep_config_selectorIaNS0_10empty_typeEEEZNS1_34radix_sort_onesweep_global_offsetsIS3_Lb1EPKaPS5_mNS0_19identity_decomposerEEE10hipError_tT1_T2_PT3_SF_jT4_jjP12ihipStream_tbEUlT_E0_NS1_11comp_targetILNS1_3genE3ELNS1_11target_archE908ELNS1_3gpuE7ELNS1_3repE0EEENS1_52radix_sort_onesweep_histogram_config_static_selectorELNS0_4arch9wavefront6targetE0EEEvSD_.has_indirect_call, 0
	.section	.AMDGPU.csdata,"",@progbits
; Kernel info:
; codeLenInByte = 0
; TotalNumSgprs: 0
; NumVgprs: 0
; ScratchSize: 0
; MemoryBound: 0
; FloatMode: 240
; IeeeMode: 1
; LDSByteSize: 0 bytes/workgroup (compile time only)
; SGPRBlocks: 0
; VGPRBlocks: 0
; NumSGPRsForWavesPerEU: 1
; NumVGPRsForWavesPerEU: 1
; NamedBarCnt: 0
; Occupancy: 16
; WaveLimiterHint : 0
; COMPUTE_PGM_RSRC2:SCRATCH_EN: 0
; COMPUTE_PGM_RSRC2:USER_SGPR: 2
; COMPUTE_PGM_RSRC2:TRAP_HANDLER: 0
; COMPUTE_PGM_RSRC2:TGID_X_EN: 1
; COMPUTE_PGM_RSRC2:TGID_Y_EN: 0
; COMPUTE_PGM_RSRC2:TGID_Z_EN: 0
; COMPUTE_PGM_RSRC2:TIDIG_COMP_CNT: 0
	.section	.text._ZN7rocprim17ROCPRIM_400000_NS6detail17trampoline_kernelINS0_14default_configENS1_35radix_sort_onesweep_config_selectorIaNS0_10empty_typeEEEZNS1_34radix_sort_onesweep_global_offsetsIS3_Lb1EPKaPS5_mNS0_19identity_decomposerEEE10hipError_tT1_T2_PT3_SF_jT4_jjP12ihipStream_tbEUlT_E0_NS1_11comp_targetILNS1_3genE10ELNS1_11target_archE1201ELNS1_3gpuE5ELNS1_3repE0EEENS1_52radix_sort_onesweep_histogram_config_static_selectorELNS0_4arch9wavefront6targetE0EEEvSD_,"axG",@progbits,_ZN7rocprim17ROCPRIM_400000_NS6detail17trampoline_kernelINS0_14default_configENS1_35radix_sort_onesweep_config_selectorIaNS0_10empty_typeEEEZNS1_34radix_sort_onesweep_global_offsetsIS3_Lb1EPKaPS5_mNS0_19identity_decomposerEEE10hipError_tT1_T2_PT3_SF_jT4_jjP12ihipStream_tbEUlT_E0_NS1_11comp_targetILNS1_3genE10ELNS1_11target_archE1201ELNS1_3gpuE5ELNS1_3repE0EEENS1_52radix_sort_onesweep_histogram_config_static_selectorELNS0_4arch9wavefront6targetE0EEEvSD_,comdat
	.protected	_ZN7rocprim17ROCPRIM_400000_NS6detail17trampoline_kernelINS0_14default_configENS1_35radix_sort_onesweep_config_selectorIaNS0_10empty_typeEEEZNS1_34radix_sort_onesweep_global_offsetsIS3_Lb1EPKaPS5_mNS0_19identity_decomposerEEE10hipError_tT1_T2_PT3_SF_jT4_jjP12ihipStream_tbEUlT_E0_NS1_11comp_targetILNS1_3genE10ELNS1_11target_archE1201ELNS1_3gpuE5ELNS1_3repE0EEENS1_52radix_sort_onesweep_histogram_config_static_selectorELNS0_4arch9wavefront6targetE0EEEvSD_ ; -- Begin function _ZN7rocprim17ROCPRIM_400000_NS6detail17trampoline_kernelINS0_14default_configENS1_35radix_sort_onesweep_config_selectorIaNS0_10empty_typeEEEZNS1_34radix_sort_onesweep_global_offsetsIS3_Lb1EPKaPS5_mNS0_19identity_decomposerEEE10hipError_tT1_T2_PT3_SF_jT4_jjP12ihipStream_tbEUlT_E0_NS1_11comp_targetILNS1_3genE10ELNS1_11target_archE1201ELNS1_3gpuE5ELNS1_3repE0EEENS1_52radix_sort_onesweep_histogram_config_static_selectorELNS0_4arch9wavefront6targetE0EEEvSD_
	.globl	_ZN7rocprim17ROCPRIM_400000_NS6detail17trampoline_kernelINS0_14default_configENS1_35radix_sort_onesweep_config_selectorIaNS0_10empty_typeEEEZNS1_34radix_sort_onesweep_global_offsetsIS3_Lb1EPKaPS5_mNS0_19identity_decomposerEEE10hipError_tT1_T2_PT3_SF_jT4_jjP12ihipStream_tbEUlT_E0_NS1_11comp_targetILNS1_3genE10ELNS1_11target_archE1201ELNS1_3gpuE5ELNS1_3repE0EEENS1_52radix_sort_onesweep_histogram_config_static_selectorELNS0_4arch9wavefront6targetE0EEEvSD_
	.p2align	8
	.type	_ZN7rocprim17ROCPRIM_400000_NS6detail17trampoline_kernelINS0_14default_configENS1_35radix_sort_onesweep_config_selectorIaNS0_10empty_typeEEEZNS1_34radix_sort_onesweep_global_offsetsIS3_Lb1EPKaPS5_mNS0_19identity_decomposerEEE10hipError_tT1_T2_PT3_SF_jT4_jjP12ihipStream_tbEUlT_E0_NS1_11comp_targetILNS1_3genE10ELNS1_11target_archE1201ELNS1_3gpuE5ELNS1_3repE0EEENS1_52radix_sort_onesweep_histogram_config_static_selectorELNS0_4arch9wavefront6targetE0EEEvSD_,@function
_ZN7rocprim17ROCPRIM_400000_NS6detail17trampoline_kernelINS0_14default_configENS1_35radix_sort_onesweep_config_selectorIaNS0_10empty_typeEEEZNS1_34radix_sort_onesweep_global_offsetsIS3_Lb1EPKaPS5_mNS0_19identity_decomposerEEE10hipError_tT1_T2_PT3_SF_jT4_jjP12ihipStream_tbEUlT_E0_NS1_11comp_targetILNS1_3genE10ELNS1_11target_archE1201ELNS1_3gpuE5ELNS1_3repE0EEENS1_52radix_sort_onesweep_histogram_config_static_selectorELNS0_4arch9wavefront6targetE0EEEvSD_: ; @_ZN7rocprim17ROCPRIM_400000_NS6detail17trampoline_kernelINS0_14default_configENS1_35radix_sort_onesweep_config_selectorIaNS0_10empty_typeEEEZNS1_34radix_sort_onesweep_global_offsetsIS3_Lb1EPKaPS5_mNS0_19identity_decomposerEEE10hipError_tT1_T2_PT3_SF_jT4_jjP12ihipStream_tbEUlT_E0_NS1_11comp_targetILNS1_3genE10ELNS1_11target_archE1201ELNS1_3gpuE5ELNS1_3repE0EEENS1_52radix_sort_onesweep_histogram_config_static_selectorELNS0_4arch9wavefront6targetE0EEEvSD_
; %bb.0:
	.section	.rodata,"a",@progbits
	.p2align	6, 0x0
	.amdhsa_kernel _ZN7rocprim17ROCPRIM_400000_NS6detail17trampoline_kernelINS0_14default_configENS1_35radix_sort_onesweep_config_selectorIaNS0_10empty_typeEEEZNS1_34radix_sort_onesweep_global_offsetsIS3_Lb1EPKaPS5_mNS0_19identity_decomposerEEE10hipError_tT1_T2_PT3_SF_jT4_jjP12ihipStream_tbEUlT_E0_NS1_11comp_targetILNS1_3genE10ELNS1_11target_archE1201ELNS1_3gpuE5ELNS1_3repE0EEENS1_52radix_sort_onesweep_histogram_config_static_selectorELNS0_4arch9wavefront6targetE0EEEvSD_
		.amdhsa_group_segment_fixed_size 0
		.amdhsa_private_segment_fixed_size 0
		.amdhsa_kernarg_size 8
		.amdhsa_user_sgpr_count 2
		.amdhsa_user_sgpr_dispatch_ptr 0
		.amdhsa_user_sgpr_queue_ptr 0
		.amdhsa_user_sgpr_kernarg_segment_ptr 1
		.amdhsa_user_sgpr_dispatch_id 0
		.amdhsa_user_sgpr_kernarg_preload_length 0
		.amdhsa_user_sgpr_kernarg_preload_offset 0
		.amdhsa_user_sgpr_private_segment_size 0
		.amdhsa_wavefront_size32 1
		.amdhsa_uses_dynamic_stack 0
		.amdhsa_enable_private_segment 0
		.amdhsa_system_sgpr_workgroup_id_x 1
		.amdhsa_system_sgpr_workgroup_id_y 0
		.amdhsa_system_sgpr_workgroup_id_z 0
		.amdhsa_system_sgpr_workgroup_info 0
		.amdhsa_system_vgpr_workitem_id 0
		.amdhsa_next_free_vgpr 1
		.amdhsa_next_free_sgpr 1
		.amdhsa_named_barrier_count 0
		.amdhsa_reserve_vcc 0
		.amdhsa_float_round_mode_32 0
		.amdhsa_float_round_mode_16_64 0
		.amdhsa_float_denorm_mode_32 3
		.amdhsa_float_denorm_mode_16_64 3
		.amdhsa_fp16_overflow 0
		.amdhsa_memory_ordered 1
		.amdhsa_forward_progress 1
		.amdhsa_inst_pref_size 0
		.amdhsa_round_robin_scheduling 0
		.amdhsa_exception_fp_ieee_invalid_op 0
		.amdhsa_exception_fp_denorm_src 0
		.amdhsa_exception_fp_ieee_div_zero 0
		.amdhsa_exception_fp_ieee_overflow 0
		.amdhsa_exception_fp_ieee_underflow 0
		.amdhsa_exception_fp_ieee_inexact 0
		.amdhsa_exception_int_div_zero 0
	.end_amdhsa_kernel
	.section	.text._ZN7rocprim17ROCPRIM_400000_NS6detail17trampoline_kernelINS0_14default_configENS1_35radix_sort_onesweep_config_selectorIaNS0_10empty_typeEEEZNS1_34radix_sort_onesweep_global_offsetsIS3_Lb1EPKaPS5_mNS0_19identity_decomposerEEE10hipError_tT1_T2_PT3_SF_jT4_jjP12ihipStream_tbEUlT_E0_NS1_11comp_targetILNS1_3genE10ELNS1_11target_archE1201ELNS1_3gpuE5ELNS1_3repE0EEENS1_52radix_sort_onesweep_histogram_config_static_selectorELNS0_4arch9wavefront6targetE0EEEvSD_,"axG",@progbits,_ZN7rocprim17ROCPRIM_400000_NS6detail17trampoline_kernelINS0_14default_configENS1_35radix_sort_onesweep_config_selectorIaNS0_10empty_typeEEEZNS1_34radix_sort_onesweep_global_offsetsIS3_Lb1EPKaPS5_mNS0_19identity_decomposerEEE10hipError_tT1_T2_PT3_SF_jT4_jjP12ihipStream_tbEUlT_E0_NS1_11comp_targetILNS1_3genE10ELNS1_11target_archE1201ELNS1_3gpuE5ELNS1_3repE0EEENS1_52radix_sort_onesweep_histogram_config_static_selectorELNS0_4arch9wavefront6targetE0EEEvSD_,comdat
.Lfunc_end344:
	.size	_ZN7rocprim17ROCPRIM_400000_NS6detail17trampoline_kernelINS0_14default_configENS1_35radix_sort_onesweep_config_selectorIaNS0_10empty_typeEEEZNS1_34radix_sort_onesweep_global_offsetsIS3_Lb1EPKaPS5_mNS0_19identity_decomposerEEE10hipError_tT1_T2_PT3_SF_jT4_jjP12ihipStream_tbEUlT_E0_NS1_11comp_targetILNS1_3genE10ELNS1_11target_archE1201ELNS1_3gpuE5ELNS1_3repE0EEENS1_52radix_sort_onesweep_histogram_config_static_selectorELNS0_4arch9wavefront6targetE0EEEvSD_, .Lfunc_end344-_ZN7rocprim17ROCPRIM_400000_NS6detail17trampoline_kernelINS0_14default_configENS1_35radix_sort_onesweep_config_selectorIaNS0_10empty_typeEEEZNS1_34radix_sort_onesweep_global_offsetsIS3_Lb1EPKaPS5_mNS0_19identity_decomposerEEE10hipError_tT1_T2_PT3_SF_jT4_jjP12ihipStream_tbEUlT_E0_NS1_11comp_targetILNS1_3genE10ELNS1_11target_archE1201ELNS1_3gpuE5ELNS1_3repE0EEENS1_52radix_sort_onesweep_histogram_config_static_selectorELNS0_4arch9wavefront6targetE0EEEvSD_
                                        ; -- End function
	.set _ZN7rocprim17ROCPRIM_400000_NS6detail17trampoline_kernelINS0_14default_configENS1_35radix_sort_onesweep_config_selectorIaNS0_10empty_typeEEEZNS1_34radix_sort_onesweep_global_offsetsIS3_Lb1EPKaPS5_mNS0_19identity_decomposerEEE10hipError_tT1_T2_PT3_SF_jT4_jjP12ihipStream_tbEUlT_E0_NS1_11comp_targetILNS1_3genE10ELNS1_11target_archE1201ELNS1_3gpuE5ELNS1_3repE0EEENS1_52radix_sort_onesweep_histogram_config_static_selectorELNS0_4arch9wavefront6targetE0EEEvSD_.num_vgpr, 0
	.set _ZN7rocprim17ROCPRIM_400000_NS6detail17trampoline_kernelINS0_14default_configENS1_35radix_sort_onesweep_config_selectorIaNS0_10empty_typeEEEZNS1_34radix_sort_onesweep_global_offsetsIS3_Lb1EPKaPS5_mNS0_19identity_decomposerEEE10hipError_tT1_T2_PT3_SF_jT4_jjP12ihipStream_tbEUlT_E0_NS1_11comp_targetILNS1_3genE10ELNS1_11target_archE1201ELNS1_3gpuE5ELNS1_3repE0EEENS1_52radix_sort_onesweep_histogram_config_static_selectorELNS0_4arch9wavefront6targetE0EEEvSD_.num_agpr, 0
	.set _ZN7rocprim17ROCPRIM_400000_NS6detail17trampoline_kernelINS0_14default_configENS1_35radix_sort_onesweep_config_selectorIaNS0_10empty_typeEEEZNS1_34radix_sort_onesweep_global_offsetsIS3_Lb1EPKaPS5_mNS0_19identity_decomposerEEE10hipError_tT1_T2_PT3_SF_jT4_jjP12ihipStream_tbEUlT_E0_NS1_11comp_targetILNS1_3genE10ELNS1_11target_archE1201ELNS1_3gpuE5ELNS1_3repE0EEENS1_52radix_sort_onesweep_histogram_config_static_selectorELNS0_4arch9wavefront6targetE0EEEvSD_.numbered_sgpr, 0
	.set _ZN7rocprim17ROCPRIM_400000_NS6detail17trampoline_kernelINS0_14default_configENS1_35radix_sort_onesweep_config_selectorIaNS0_10empty_typeEEEZNS1_34radix_sort_onesweep_global_offsetsIS3_Lb1EPKaPS5_mNS0_19identity_decomposerEEE10hipError_tT1_T2_PT3_SF_jT4_jjP12ihipStream_tbEUlT_E0_NS1_11comp_targetILNS1_3genE10ELNS1_11target_archE1201ELNS1_3gpuE5ELNS1_3repE0EEENS1_52radix_sort_onesweep_histogram_config_static_selectorELNS0_4arch9wavefront6targetE0EEEvSD_.num_named_barrier, 0
	.set _ZN7rocprim17ROCPRIM_400000_NS6detail17trampoline_kernelINS0_14default_configENS1_35radix_sort_onesweep_config_selectorIaNS0_10empty_typeEEEZNS1_34radix_sort_onesweep_global_offsetsIS3_Lb1EPKaPS5_mNS0_19identity_decomposerEEE10hipError_tT1_T2_PT3_SF_jT4_jjP12ihipStream_tbEUlT_E0_NS1_11comp_targetILNS1_3genE10ELNS1_11target_archE1201ELNS1_3gpuE5ELNS1_3repE0EEENS1_52radix_sort_onesweep_histogram_config_static_selectorELNS0_4arch9wavefront6targetE0EEEvSD_.private_seg_size, 0
	.set _ZN7rocprim17ROCPRIM_400000_NS6detail17trampoline_kernelINS0_14default_configENS1_35radix_sort_onesweep_config_selectorIaNS0_10empty_typeEEEZNS1_34radix_sort_onesweep_global_offsetsIS3_Lb1EPKaPS5_mNS0_19identity_decomposerEEE10hipError_tT1_T2_PT3_SF_jT4_jjP12ihipStream_tbEUlT_E0_NS1_11comp_targetILNS1_3genE10ELNS1_11target_archE1201ELNS1_3gpuE5ELNS1_3repE0EEENS1_52radix_sort_onesweep_histogram_config_static_selectorELNS0_4arch9wavefront6targetE0EEEvSD_.uses_vcc, 0
	.set _ZN7rocprim17ROCPRIM_400000_NS6detail17trampoline_kernelINS0_14default_configENS1_35radix_sort_onesweep_config_selectorIaNS0_10empty_typeEEEZNS1_34radix_sort_onesweep_global_offsetsIS3_Lb1EPKaPS5_mNS0_19identity_decomposerEEE10hipError_tT1_T2_PT3_SF_jT4_jjP12ihipStream_tbEUlT_E0_NS1_11comp_targetILNS1_3genE10ELNS1_11target_archE1201ELNS1_3gpuE5ELNS1_3repE0EEENS1_52radix_sort_onesweep_histogram_config_static_selectorELNS0_4arch9wavefront6targetE0EEEvSD_.uses_flat_scratch, 0
	.set _ZN7rocprim17ROCPRIM_400000_NS6detail17trampoline_kernelINS0_14default_configENS1_35radix_sort_onesweep_config_selectorIaNS0_10empty_typeEEEZNS1_34radix_sort_onesweep_global_offsetsIS3_Lb1EPKaPS5_mNS0_19identity_decomposerEEE10hipError_tT1_T2_PT3_SF_jT4_jjP12ihipStream_tbEUlT_E0_NS1_11comp_targetILNS1_3genE10ELNS1_11target_archE1201ELNS1_3gpuE5ELNS1_3repE0EEENS1_52radix_sort_onesweep_histogram_config_static_selectorELNS0_4arch9wavefront6targetE0EEEvSD_.has_dyn_sized_stack, 0
	.set _ZN7rocprim17ROCPRIM_400000_NS6detail17trampoline_kernelINS0_14default_configENS1_35radix_sort_onesweep_config_selectorIaNS0_10empty_typeEEEZNS1_34radix_sort_onesweep_global_offsetsIS3_Lb1EPKaPS5_mNS0_19identity_decomposerEEE10hipError_tT1_T2_PT3_SF_jT4_jjP12ihipStream_tbEUlT_E0_NS1_11comp_targetILNS1_3genE10ELNS1_11target_archE1201ELNS1_3gpuE5ELNS1_3repE0EEENS1_52radix_sort_onesweep_histogram_config_static_selectorELNS0_4arch9wavefront6targetE0EEEvSD_.has_recursion, 0
	.set _ZN7rocprim17ROCPRIM_400000_NS6detail17trampoline_kernelINS0_14default_configENS1_35radix_sort_onesweep_config_selectorIaNS0_10empty_typeEEEZNS1_34radix_sort_onesweep_global_offsetsIS3_Lb1EPKaPS5_mNS0_19identity_decomposerEEE10hipError_tT1_T2_PT3_SF_jT4_jjP12ihipStream_tbEUlT_E0_NS1_11comp_targetILNS1_3genE10ELNS1_11target_archE1201ELNS1_3gpuE5ELNS1_3repE0EEENS1_52radix_sort_onesweep_histogram_config_static_selectorELNS0_4arch9wavefront6targetE0EEEvSD_.has_indirect_call, 0
	.section	.AMDGPU.csdata,"",@progbits
; Kernel info:
; codeLenInByte = 0
; TotalNumSgprs: 0
; NumVgprs: 0
; ScratchSize: 0
; MemoryBound: 0
; FloatMode: 240
; IeeeMode: 1
; LDSByteSize: 0 bytes/workgroup (compile time only)
; SGPRBlocks: 0
; VGPRBlocks: 0
; NumSGPRsForWavesPerEU: 1
; NumVGPRsForWavesPerEU: 1
; NamedBarCnt: 0
; Occupancy: 16
; WaveLimiterHint : 0
; COMPUTE_PGM_RSRC2:SCRATCH_EN: 0
; COMPUTE_PGM_RSRC2:USER_SGPR: 2
; COMPUTE_PGM_RSRC2:TRAP_HANDLER: 0
; COMPUTE_PGM_RSRC2:TGID_X_EN: 1
; COMPUTE_PGM_RSRC2:TGID_Y_EN: 0
; COMPUTE_PGM_RSRC2:TGID_Z_EN: 0
; COMPUTE_PGM_RSRC2:TIDIG_COMP_CNT: 0
	.section	.text._ZN7rocprim17ROCPRIM_400000_NS6detail17trampoline_kernelINS0_14default_configENS1_35radix_sort_onesweep_config_selectorIaNS0_10empty_typeEEEZNS1_34radix_sort_onesweep_global_offsetsIS3_Lb1EPKaPS5_mNS0_19identity_decomposerEEE10hipError_tT1_T2_PT3_SF_jT4_jjP12ihipStream_tbEUlT_E0_NS1_11comp_targetILNS1_3genE9ELNS1_11target_archE1100ELNS1_3gpuE3ELNS1_3repE0EEENS1_52radix_sort_onesweep_histogram_config_static_selectorELNS0_4arch9wavefront6targetE0EEEvSD_,"axG",@progbits,_ZN7rocprim17ROCPRIM_400000_NS6detail17trampoline_kernelINS0_14default_configENS1_35radix_sort_onesweep_config_selectorIaNS0_10empty_typeEEEZNS1_34radix_sort_onesweep_global_offsetsIS3_Lb1EPKaPS5_mNS0_19identity_decomposerEEE10hipError_tT1_T2_PT3_SF_jT4_jjP12ihipStream_tbEUlT_E0_NS1_11comp_targetILNS1_3genE9ELNS1_11target_archE1100ELNS1_3gpuE3ELNS1_3repE0EEENS1_52radix_sort_onesweep_histogram_config_static_selectorELNS0_4arch9wavefront6targetE0EEEvSD_,comdat
	.protected	_ZN7rocprim17ROCPRIM_400000_NS6detail17trampoline_kernelINS0_14default_configENS1_35radix_sort_onesweep_config_selectorIaNS0_10empty_typeEEEZNS1_34radix_sort_onesweep_global_offsetsIS3_Lb1EPKaPS5_mNS0_19identity_decomposerEEE10hipError_tT1_T2_PT3_SF_jT4_jjP12ihipStream_tbEUlT_E0_NS1_11comp_targetILNS1_3genE9ELNS1_11target_archE1100ELNS1_3gpuE3ELNS1_3repE0EEENS1_52radix_sort_onesweep_histogram_config_static_selectorELNS0_4arch9wavefront6targetE0EEEvSD_ ; -- Begin function _ZN7rocprim17ROCPRIM_400000_NS6detail17trampoline_kernelINS0_14default_configENS1_35radix_sort_onesweep_config_selectorIaNS0_10empty_typeEEEZNS1_34radix_sort_onesweep_global_offsetsIS3_Lb1EPKaPS5_mNS0_19identity_decomposerEEE10hipError_tT1_T2_PT3_SF_jT4_jjP12ihipStream_tbEUlT_E0_NS1_11comp_targetILNS1_3genE9ELNS1_11target_archE1100ELNS1_3gpuE3ELNS1_3repE0EEENS1_52radix_sort_onesweep_histogram_config_static_selectorELNS0_4arch9wavefront6targetE0EEEvSD_
	.globl	_ZN7rocprim17ROCPRIM_400000_NS6detail17trampoline_kernelINS0_14default_configENS1_35radix_sort_onesweep_config_selectorIaNS0_10empty_typeEEEZNS1_34radix_sort_onesweep_global_offsetsIS3_Lb1EPKaPS5_mNS0_19identity_decomposerEEE10hipError_tT1_T2_PT3_SF_jT4_jjP12ihipStream_tbEUlT_E0_NS1_11comp_targetILNS1_3genE9ELNS1_11target_archE1100ELNS1_3gpuE3ELNS1_3repE0EEENS1_52radix_sort_onesweep_histogram_config_static_selectorELNS0_4arch9wavefront6targetE0EEEvSD_
	.p2align	8
	.type	_ZN7rocprim17ROCPRIM_400000_NS6detail17trampoline_kernelINS0_14default_configENS1_35radix_sort_onesweep_config_selectorIaNS0_10empty_typeEEEZNS1_34radix_sort_onesweep_global_offsetsIS3_Lb1EPKaPS5_mNS0_19identity_decomposerEEE10hipError_tT1_T2_PT3_SF_jT4_jjP12ihipStream_tbEUlT_E0_NS1_11comp_targetILNS1_3genE9ELNS1_11target_archE1100ELNS1_3gpuE3ELNS1_3repE0EEENS1_52radix_sort_onesweep_histogram_config_static_selectorELNS0_4arch9wavefront6targetE0EEEvSD_,@function
_ZN7rocprim17ROCPRIM_400000_NS6detail17trampoline_kernelINS0_14default_configENS1_35radix_sort_onesweep_config_selectorIaNS0_10empty_typeEEEZNS1_34radix_sort_onesweep_global_offsetsIS3_Lb1EPKaPS5_mNS0_19identity_decomposerEEE10hipError_tT1_T2_PT3_SF_jT4_jjP12ihipStream_tbEUlT_E0_NS1_11comp_targetILNS1_3genE9ELNS1_11target_archE1100ELNS1_3gpuE3ELNS1_3repE0EEENS1_52radix_sort_onesweep_histogram_config_static_selectorELNS0_4arch9wavefront6targetE0EEEvSD_: ; @_ZN7rocprim17ROCPRIM_400000_NS6detail17trampoline_kernelINS0_14default_configENS1_35radix_sort_onesweep_config_selectorIaNS0_10empty_typeEEEZNS1_34radix_sort_onesweep_global_offsetsIS3_Lb1EPKaPS5_mNS0_19identity_decomposerEEE10hipError_tT1_T2_PT3_SF_jT4_jjP12ihipStream_tbEUlT_E0_NS1_11comp_targetILNS1_3genE9ELNS1_11target_archE1100ELNS1_3gpuE3ELNS1_3repE0EEENS1_52radix_sort_onesweep_histogram_config_static_selectorELNS0_4arch9wavefront6targetE0EEEvSD_
; %bb.0:
	.section	.rodata,"a",@progbits
	.p2align	6, 0x0
	.amdhsa_kernel _ZN7rocprim17ROCPRIM_400000_NS6detail17trampoline_kernelINS0_14default_configENS1_35radix_sort_onesweep_config_selectorIaNS0_10empty_typeEEEZNS1_34radix_sort_onesweep_global_offsetsIS3_Lb1EPKaPS5_mNS0_19identity_decomposerEEE10hipError_tT1_T2_PT3_SF_jT4_jjP12ihipStream_tbEUlT_E0_NS1_11comp_targetILNS1_3genE9ELNS1_11target_archE1100ELNS1_3gpuE3ELNS1_3repE0EEENS1_52radix_sort_onesweep_histogram_config_static_selectorELNS0_4arch9wavefront6targetE0EEEvSD_
		.amdhsa_group_segment_fixed_size 0
		.amdhsa_private_segment_fixed_size 0
		.amdhsa_kernarg_size 8
		.amdhsa_user_sgpr_count 2
		.amdhsa_user_sgpr_dispatch_ptr 0
		.amdhsa_user_sgpr_queue_ptr 0
		.amdhsa_user_sgpr_kernarg_segment_ptr 1
		.amdhsa_user_sgpr_dispatch_id 0
		.amdhsa_user_sgpr_kernarg_preload_length 0
		.amdhsa_user_sgpr_kernarg_preload_offset 0
		.amdhsa_user_sgpr_private_segment_size 0
		.amdhsa_wavefront_size32 1
		.amdhsa_uses_dynamic_stack 0
		.amdhsa_enable_private_segment 0
		.amdhsa_system_sgpr_workgroup_id_x 1
		.amdhsa_system_sgpr_workgroup_id_y 0
		.amdhsa_system_sgpr_workgroup_id_z 0
		.amdhsa_system_sgpr_workgroup_info 0
		.amdhsa_system_vgpr_workitem_id 0
		.amdhsa_next_free_vgpr 1
		.amdhsa_next_free_sgpr 1
		.amdhsa_named_barrier_count 0
		.amdhsa_reserve_vcc 0
		.amdhsa_float_round_mode_32 0
		.amdhsa_float_round_mode_16_64 0
		.amdhsa_float_denorm_mode_32 3
		.amdhsa_float_denorm_mode_16_64 3
		.amdhsa_fp16_overflow 0
		.amdhsa_memory_ordered 1
		.amdhsa_forward_progress 1
		.amdhsa_inst_pref_size 0
		.amdhsa_round_robin_scheduling 0
		.amdhsa_exception_fp_ieee_invalid_op 0
		.amdhsa_exception_fp_denorm_src 0
		.amdhsa_exception_fp_ieee_div_zero 0
		.amdhsa_exception_fp_ieee_overflow 0
		.amdhsa_exception_fp_ieee_underflow 0
		.amdhsa_exception_fp_ieee_inexact 0
		.amdhsa_exception_int_div_zero 0
	.end_amdhsa_kernel
	.section	.text._ZN7rocprim17ROCPRIM_400000_NS6detail17trampoline_kernelINS0_14default_configENS1_35radix_sort_onesweep_config_selectorIaNS0_10empty_typeEEEZNS1_34radix_sort_onesweep_global_offsetsIS3_Lb1EPKaPS5_mNS0_19identity_decomposerEEE10hipError_tT1_T2_PT3_SF_jT4_jjP12ihipStream_tbEUlT_E0_NS1_11comp_targetILNS1_3genE9ELNS1_11target_archE1100ELNS1_3gpuE3ELNS1_3repE0EEENS1_52radix_sort_onesweep_histogram_config_static_selectorELNS0_4arch9wavefront6targetE0EEEvSD_,"axG",@progbits,_ZN7rocprim17ROCPRIM_400000_NS6detail17trampoline_kernelINS0_14default_configENS1_35radix_sort_onesweep_config_selectorIaNS0_10empty_typeEEEZNS1_34radix_sort_onesweep_global_offsetsIS3_Lb1EPKaPS5_mNS0_19identity_decomposerEEE10hipError_tT1_T2_PT3_SF_jT4_jjP12ihipStream_tbEUlT_E0_NS1_11comp_targetILNS1_3genE9ELNS1_11target_archE1100ELNS1_3gpuE3ELNS1_3repE0EEENS1_52radix_sort_onesweep_histogram_config_static_selectorELNS0_4arch9wavefront6targetE0EEEvSD_,comdat
.Lfunc_end345:
	.size	_ZN7rocprim17ROCPRIM_400000_NS6detail17trampoline_kernelINS0_14default_configENS1_35radix_sort_onesweep_config_selectorIaNS0_10empty_typeEEEZNS1_34radix_sort_onesweep_global_offsetsIS3_Lb1EPKaPS5_mNS0_19identity_decomposerEEE10hipError_tT1_T2_PT3_SF_jT4_jjP12ihipStream_tbEUlT_E0_NS1_11comp_targetILNS1_3genE9ELNS1_11target_archE1100ELNS1_3gpuE3ELNS1_3repE0EEENS1_52radix_sort_onesweep_histogram_config_static_selectorELNS0_4arch9wavefront6targetE0EEEvSD_, .Lfunc_end345-_ZN7rocprim17ROCPRIM_400000_NS6detail17trampoline_kernelINS0_14default_configENS1_35radix_sort_onesweep_config_selectorIaNS0_10empty_typeEEEZNS1_34radix_sort_onesweep_global_offsetsIS3_Lb1EPKaPS5_mNS0_19identity_decomposerEEE10hipError_tT1_T2_PT3_SF_jT4_jjP12ihipStream_tbEUlT_E0_NS1_11comp_targetILNS1_3genE9ELNS1_11target_archE1100ELNS1_3gpuE3ELNS1_3repE0EEENS1_52radix_sort_onesweep_histogram_config_static_selectorELNS0_4arch9wavefront6targetE0EEEvSD_
                                        ; -- End function
	.set _ZN7rocprim17ROCPRIM_400000_NS6detail17trampoline_kernelINS0_14default_configENS1_35radix_sort_onesweep_config_selectorIaNS0_10empty_typeEEEZNS1_34radix_sort_onesweep_global_offsetsIS3_Lb1EPKaPS5_mNS0_19identity_decomposerEEE10hipError_tT1_T2_PT3_SF_jT4_jjP12ihipStream_tbEUlT_E0_NS1_11comp_targetILNS1_3genE9ELNS1_11target_archE1100ELNS1_3gpuE3ELNS1_3repE0EEENS1_52radix_sort_onesweep_histogram_config_static_selectorELNS0_4arch9wavefront6targetE0EEEvSD_.num_vgpr, 0
	.set _ZN7rocprim17ROCPRIM_400000_NS6detail17trampoline_kernelINS0_14default_configENS1_35radix_sort_onesweep_config_selectorIaNS0_10empty_typeEEEZNS1_34radix_sort_onesweep_global_offsetsIS3_Lb1EPKaPS5_mNS0_19identity_decomposerEEE10hipError_tT1_T2_PT3_SF_jT4_jjP12ihipStream_tbEUlT_E0_NS1_11comp_targetILNS1_3genE9ELNS1_11target_archE1100ELNS1_3gpuE3ELNS1_3repE0EEENS1_52radix_sort_onesweep_histogram_config_static_selectorELNS0_4arch9wavefront6targetE0EEEvSD_.num_agpr, 0
	.set _ZN7rocprim17ROCPRIM_400000_NS6detail17trampoline_kernelINS0_14default_configENS1_35radix_sort_onesweep_config_selectorIaNS0_10empty_typeEEEZNS1_34radix_sort_onesweep_global_offsetsIS3_Lb1EPKaPS5_mNS0_19identity_decomposerEEE10hipError_tT1_T2_PT3_SF_jT4_jjP12ihipStream_tbEUlT_E0_NS1_11comp_targetILNS1_3genE9ELNS1_11target_archE1100ELNS1_3gpuE3ELNS1_3repE0EEENS1_52radix_sort_onesweep_histogram_config_static_selectorELNS0_4arch9wavefront6targetE0EEEvSD_.numbered_sgpr, 0
	.set _ZN7rocprim17ROCPRIM_400000_NS6detail17trampoline_kernelINS0_14default_configENS1_35radix_sort_onesweep_config_selectorIaNS0_10empty_typeEEEZNS1_34radix_sort_onesweep_global_offsetsIS3_Lb1EPKaPS5_mNS0_19identity_decomposerEEE10hipError_tT1_T2_PT3_SF_jT4_jjP12ihipStream_tbEUlT_E0_NS1_11comp_targetILNS1_3genE9ELNS1_11target_archE1100ELNS1_3gpuE3ELNS1_3repE0EEENS1_52radix_sort_onesweep_histogram_config_static_selectorELNS0_4arch9wavefront6targetE0EEEvSD_.num_named_barrier, 0
	.set _ZN7rocprim17ROCPRIM_400000_NS6detail17trampoline_kernelINS0_14default_configENS1_35radix_sort_onesweep_config_selectorIaNS0_10empty_typeEEEZNS1_34radix_sort_onesweep_global_offsetsIS3_Lb1EPKaPS5_mNS0_19identity_decomposerEEE10hipError_tT1_T2_PT3_SF_jT4_jjP12ihipStream_tbEUlT_E0_NS1_11comp_targetILNS1_3genE9ELNS1_11target_archE1100ELNS1_3gpuE3ELNS1_3repE0EEENS1_52radix_sort_onesweep_histogram_config_static_selectorELNS0_4arch9wavefront6targetE0EEEvSD_.private_seg_size, 0
	.set _ZN7rocprim17ROCPRIM_400000_NS6detail17trampoline_kernelINS0_14default_configENS1_35radix_sort_onesweep_config_selectorIaNS0_10empty_typeEEEZNS1_34radix_sort_onesweep_global_offsetsIS3_Lb1EPKaPS5_mNS0_19identity_decomposerEEE10hipError_tT1_T2_PT3_SF_jT4_jjP12ihipStream_tbEUlT_E0_NS1_11comp_targetILNS1_3genE9ELNS1_11target_archE1100ELNS1_3gpuE3ELNS1_3repE0EEENS1_52radix_sort_onesweep_histogram_config_static_selectorELNS0_4arch9wavefront6targetE0EEEvSD_.uses_vcc, 0
	.set _ZN7rocprim17ROCPRIM_400000_NS6detail17trampoline_kernelINS0_14default_configENS1_35radix_sort_onesweep_config_selectorIaNS0_10empty_typeEEEZNS1_34radix_sort_onesweep_global_offsetsIS3_Lb1EPKaPS5_mNS0_19identity_decomposerEEE10hipError_tT1_T2_PT3_SF_jT4_jjP12ihipStream_tbEUlT_E0_NS1_11comp_targetILNS1_3genE9ELNS1_11target_archE1100ELNS1_3gpuE3ELNS1_3repE0EEENS1_52radix_sort_onesweep_histogram_config_static_selectorELNS0_4arch9wavefront6targetE0EEEvSD_.uses_flat_scratch, 0
	.set _ZN7rocprim17ROCPRIM_400000_NS6detail17trampoline_kernelINS0_14default_configENS1_35radix_sort_onesweep_config_selectorIaNS0_10empty_typeEEEZNS1_34radix_sort_onesweep_global_offsetsIS3_Lb1EPKaPS5_mNS0_19identity_decomposerEEE10hipError_tT1_T2_PT3_SF_jT4_jjP12ihipStream_tbEUlT_E0_NS1_11comp_targetILNS1_3genE9ELNS1_11target_archE1100ELNS1_3gpuE3ELNS1_3repE0EEENS1_52radix_sort_onesweep_histogram_config_static_selectorELNS0_4arch9wavefront6targetE0EEEvSD_.has_dyn_sized_stack, 0
	.set _ZN7rocprim17ROCPRIM_400000_NS6detail17trampoline_kernelINS0_14default_configENS1_35radix_sort_onesweep_config_selectorIaNS0_10empty_typeEEEZNS1_34radix_sort_onesweep_global_offsetsIS3_Lb1EPKaPS5_mNS0_19identity_decomposerEEE10hipError_tT1_T2_PT3_SF_jT4_jjP12ihipStream_tbEUlT_E0_NS1_11comp_targetILNS1_3genE9ELNS1_11target_archE1100ELNS1_3gpuE3ELNS1_3repE0EEENS1_52radix_sort_onesweep_histogram_config_static_selectorELNS0_4arch9wavefront6targetE0EEEvSD_.has_recursion, 0
	.set _ZN7rocprim17ROCPRIM_400000_NS6detail17trampoline_kernelINS0_14default_configENS1_35radix_sort_onesweep_config_selectorIaNS0_10empty_typeEEEZNS1_34radix_sort_onesweep_global_offsetsIS3_Lb1EPKaPS5_mNS0_19identity_decomposerEEE10hipError_tT1_T2_PT3_SF_jT4_jjP12ihipStream_tbEUlT_E0_NS1_11comp_targetILNS1_3genE9ELNS1_11target_archE1100ELNS1_3gpuE3ELNS1_3repE0EEENS1_52radix_sort_onesweep_histogram_config_static_selectorELNS0_4arch9wavefront6targetE0EEEvSD_.has_indirect_call, 0
	.section	.AMDGPU.csdata,"",@progbits
; Kernel info:
; codeLenInByte = 0
; TotalNumSgprs: 0
; NumVgprs: 0
; ScratchSize: 0
; MemoryBound: 0
; FloatMode: 240
; IeeeMode: 1
; LDSByteSize: 0 bytes/workgroup (compile time only)
; SGPRBlocks: 0
; VGPRBlocks: 0
; NumSGPRsForWavesPerEU: 1
; NumVGPRsForWavesPerEU: 1
; NamedBarCnt: 0
; Occupancy: 16
; WaveLimiterHint : 0
; COMPUTE_PGM_RSRC2:SCRATCH_EN: 0
; COMPUTE_PGM_RSRC2:USER_SGPR: 2
; COMPUTE_PGM_RSRC2:TRAP_HANDLER: 0
; COMPUTE_PGM_RSRC2:TGID_X_EN: 1
; COMPUTE_PGM_RSRC2:TGID_Y_EN: 0
; COMPUTE_PGM_RSRC2:TGID_Z_EN: 0
; COMPUTE_PGM_RSRC2:TIDIG_COMP_CNT: 0
	.section	.text._ZN7rocprim17ROCPRIM_400000_NS6detail17trampoline_kernelINS0_14default_configENS1_35radix_sort_onesweep_config_selectorIaNS0_10empty_typeEEEZNS1_34radix_sort_onesweep_global_offsetsIS3_Lb1EPKaPS5_mNS0_19identity_decomposerEEE10hipError_tT1_T2_PT3_SF_jT4_jjP12ihipStream_tbEUlT_E0_NS1_11comp_targetILNS1_3genE8ELNS1_11target_archE1030ELNS1_3gpuE2ELNS1_3repE0EEENS1_52radix_sort_onesweep_histogram_config_static_selectorELNS0_4arch9wavefront6targetE0EEEvSD_,"axG",@progbits,_ZN7rocprim17ROCPRIM_400000_NS6detail17trampoline_kernelINS0_14default_configENS1_35radix_sort_onesweep_config_selectorIaNS0_10empty_typeEEEZNS1_34radix_sort_onesweep_global_offsetsIS3_Lb1EPKaPS5_mNS0_19identity_decomposerEEE10hipError_tT1_T2_PT3_SF_jT4_jjP12ihipStream_tbEUlT_E0_NS1_11comp_targetILNS1_3genE8ELNS1_11target_archE1030ELNS1_3gpuE2ELNS1_3repE0EEENS1_52radix_sort_onesweep_histogram_config_static_selectorELNS0_4arch9wavefront6targetE0EEEvSD_,comdat
	.protected	_ZN7rocprim17ROCPRIM_400000_NS6detail17trampoline_kernelINS0_14default_configENS1_35radix_sort_onesweep_config_selectorIaNS0_10empty_typeEEEZNS1_34radix_sort_onesweep_global_offsetsIS3_Lb1EPKaPS5_mNS0_19identity_decomposerEEE10hipError_tT1_T2_PT3_SF_jT4_jjP12ihipStream_tbEUlT_E0_NS1_11comp_targetILNS1_3genE8ELNS1_11target_archE1030ELNS1_3gpuE2ELNS1_3repE0EEENS1_52radix_sort_onesweep_histogram_config_static_selectorELNS0_4arch9wavefront6targetE0EEEvSD_ ; -- Begin function _ZN7rocprim17ROCPRIM_400000_NS6detail17trampoline_kernelINS0_14default_configENS1_35radix_sort_onesweep_config_selectorIaNS0_10empty_typeEEEZNS1_34radix_sort_onesweep_global_offsetsIS3_Lb1EPKaPS5_mNS0_19identity_decomposerEEE10hipError_tT1_T2_PT3_SF_jT4_jjP12ihipStream_tbEUlT_E0_NS1_11comp_targetILNS1_3genE8ELNS1_11target_archE1030ELNS1_3gpuE2ELNS1_3repE0EEENS1_52radix_sort_onesweep_histogram_config_static_selectorELNS0_4arch9wavefront6targetE0EEEvSD_
	.globl	_ZN7rocprim17ROCPRIM_400000_NS6detail17trampoline_kernelINS0_14default_configENS1_35radix_sort_onesweep_config_selectorIaNS0_10empty_typeEEEZNS1_34radix_sort_onesweep_global_offsetsIS3_Lb1EPKaPS5_mNS0_19identity_decomposerEEE10hipError_tT1_T2_PT3_SF_jT4_jjP12ihipStream_tbEUlT_E0_NS1_11comp_targetILNS1_3genE8ELNS1_11target_archE1030ELNS1_3gpuE2ELNS1_3repE0EEENS1_52radix_sort_onesweep_histogram_config_static_selectorELNS0_4arch9wavefront6targetE0EEEvSD_
	.p2align	8
	.type	_ZN7rocprim17ROCPRIM_400000_NS6detail17trampoline_kernelINS0_14default_configENS1_35radix_sort_onesweep_config_selectorIaNS0_10empty_typeEEEZNS1_34radix_sort_onesweep_global_offsetsIS3_Lb1EPKaPS5_mNS0_19identity_decomposerEEE10hipError_tT1_T2_PT3_SF_jT4_jjP12ihipStream_tbEUlT_E0_NS1_11comp_targetILNS1_3genE8ELNS1_11target_archE1030ELNS1_3gpuE2ELNS1_3repE0EEENS1_52radix_sort_onesweep_histogram_config_static_selectorELNS0_4arch9wavefront6targetE0EEEvSD_,@function
_ZN7rocprim17ROCPRIM_400000_NS6detail17trampoline_kernelINS0_14default_configENS1_35radix_sort_onesweep_config_selectorIaNS0_10empty_typeEEEZNS1_34radix_sort_onesweep_global_offsetsIS3_Lb1EPKaPS5_mNS0_19identity_decomposerEEE10hipError_tT1_T2_PT3_SF_jT4_jjP12ihipStream_tbEUlT_E0_NS1_11comp_targetILNS1_3genE8ELNS1_11target_archE1030ELNS1_3gpuE2ELNS1_3repE0EEENS1_52radix_sort_onesweep_histogram_config_static_selectorELNS0_4arch9wavefront6targetE0EEEvSD_: ; @_ZN7rocprim17ROCPRIM_400000_NS6detail17trampoline_kernelINS0_14default_configENS1_35radix_sort_onesweep_config_selectorIaNS0_10empty_typeEEEZNS1_34radix_sort_onesweep_global_offsetsIS3_Lb1EPKaPS5_mNS0_19identity_decomposerEEE10hipError_tT1_T2_PT3_SF_jT4_jjP12ihipStream_tbEUlT_E0_NS1_11comp_targetILNS1_3genE8ELNS1_11target_archE1030ELNS1_3gpuE2ELNS1_3repE0EEENS1_52radix_sort_onesweep_histogram_config_static_selectorELNS0_4arch9wavefront6targetE0EEEvSD_
; %bb.0:
	.section	.rodata,"a",@progbits
	.p2align	6, 0x0
	.amdhsa_kernel _ZN7rocprim17ROCPRIM_400000_NS6detail17trampoline_kernelINS0_14default_configENS1_35radix_sort_onesweep_config_selectorIaNS0_10empty_typeEEEZNS1_34radix_sort_onesweep_global_offsetsIS3_Lb1EPKaPS5_mNS0_19identity_decomposerEEE10hipError_tT1_T2_PT3_SF_jT4_jjP12ihipStream_tbEUlT_E0_NS1_11comp_targetILNS1_3genE8ELNS1_11target_archE1030ELNS1_3gpuE2ELNS1_3repE0EEENS1_52radix_sort_onesweep_histogram_config_static_selectorELNS0_4arch9wavefront6targetE0EEEvSD_
		.amdhsa_group_segment_fixed_size 0
		.amdhsa_private_segment_fixed_size 0
		.amdhsa_kernarg_size 8
		.amdhsa_user_sgpr_count 2
		.amdhsa_user_sgpr_dispatch_ptr 0
		.amdhsa_user_sgpr_queue_ptr 0
		.amdhsa_user_sgpr_kernarg_segment_ptr 1
		.amdhsa_user_sgpr_dispatch_id 0
		.amdhsa_user_sgpr_kernarg_preload_length 0
		.amdhsa_user_sgpr_kernarg_preload_offset 0
		.amdhsa_user_sgpr_private_segment_size 0
		.amdhsa_wavefront_size32 1
		.amdhsa_uses_dynamic_stack 0
		.amdhsa_enable_private_segment 0
		.amdhsa_system_sgpr_workgroup_id_x 1
		.amdhsa_system_sgpr_workgroup_id_y 0
		.amdhsa_system_sgpr_workgroup_id_z 0
		.amdhsa_system_sgpr_workgroup_info 0
		.amdhsa_system_vgpr_workitem_id 0
		.amdhsa_next_free_vgpr 1
		.amdhsa_next_free_sgpr 1
		.amdhsa_named_barrier_count 0
		.amdhsa_reserve_vcc 0
		.amdhsa_float_round_mode_32 0
		.amdhsa_float_round_mode_16_64 0
		.amdhsa_float_denorm_mode_32 3
		.amdhsa_float_denorm_mode_16_64 3
		.amdhsa_fp16_overflow 0
		.amdhsa_memory_ordered 1
		.amdhsa_forward_progress 1
		.amdhsa_inst_pref_size 0
		.amdhsa_round_robin_scheduling 0
		.amdhsa_exception_fp_ieee_invalid_op 0
		.amdhsa_exception_fp_denorm_src 0
		.amdhsa_exception_fp_ieee_div_zero 0
		.amdhsa_exception_fp_ieee_overflow 0
		.amdhsa_exception_fp_ieee_underflow 0
		.amdhsa_exception_fp_ieee_inexact 0
		.amdhsa_exception_int_div_zero 0
	.end_amdhsa_kernel
	.section	.text._ZN7rocprim17ROCPRIM_400000_NS6detail17trampoline_kernelINS0_14default_configENS1_35radix_sort_onesweep_config_selectorIaNS0_10empty_typeEEEZNS1_34radix_sort_onesweep_global_offsetsIS3_Lb1EPKaPS5_mNS0_19identity_decomposerEEE10hipError_tT1_T2_PT3_SF_jT4_jjP12ihipStream_tbEUlT_E0_NS1_11comp_targetILNS1_3genE8ELNS1_11target_archE1030ELNS1_3gpuE2ELNS1_3repE0EEENS1_52radix_sort_onesweep_histogram_config_static_selectorELNS0_4arch9wavefront6targetE0EEEvSD_,"axG",@progbits,_ZN7rocprim17ROCPRIM_400000_NS6detail17trampoline_kernelINS0_14default_configENS1_35radix_sort_onesweep_config_selectorIaNS0_10empty_typeEEEZNS1_34radix_sort_onesweep_global_offsetsIS3_Lb1EPKaPS5_mNS0_19identity_decomposerEEE10hipError_tT1_T2_PT3_SF_jT4_jjP12ihipStream_tbEUlT_E0_NS1_11comp_targetILNS1_3genE8ELNS1_11target_archE1030ELNS1_3gpuE2ELNS1_3repE0EEENS1_52radix_sort_onesweep_histogram_config_static_selectorELNS0_4arch9wavefront6targetE0EEEvSD_,comdat
.Lfunc_end346:
	.size	_ZN7rocprim17ROCPRIM_400000_NS6detail17trampoline_kernelINS0_14default_configENS1_35radix_sort_onesweep_config_selectorIaNS0_10empty_typeEEEZNS1_34radix_sort_onesweep_global_offsetsIS3_Lb1EPKaPS5_mNS0_19identity_decomposerEEE10hipError_tT1_T2_PT3_SF_jT4_jjP12ihipStream_tbEUlT_E0_NS1_11comp_targetILNS1_3genE8ELNS1_11target_archE1030ELNS1_3gpuE2ELNS1_3repE0EEENS1_52radix_sort_onesweep_histogram_config_static_selectorELNS0_4arch9wavefront6targetE0EEEvSD_, .Lfunc_end346-_ZN7rocprim17ROCPRIM_400000_NS6detail17trampoline_kernelINS0_14default_configENS1_35radix_sort_onesweep_config_selectorIaNS0_10empty_typeEEEZNS1_34radix_sort_onesweep_global_offsetsIS3_Lb1EPKaPS5_mNS0_19identity_decomposerEEE10hipError_tT1_T2_PT3_SF_jT4_jjP12ihipStream_tbEUlT_E0_NS1_11comp_targetILNS1_3genE8ELNS1_11target_archE1030ELNS1_3gpuE2ELNS1_3repE0EEENS1_52radix_sort_onesweep_histogram_config_static_selectorELNS0_4arch9wavefront6targetE0EEEvSD_
                                        ; -- End function
	.set _ZN7rocprim17ROCPRIM_400000_NS6detail17trampoline_kernelINS0_14default_configENS1_35radix_sort_onesweep_config_selectorIaNS0_10empty_typeEEEZNS1_34radix_sort_onesweep_global_offsetsIS3_Lb1EPKaPS5_mNS0_19identity_decomposerEEE10hipError_tT1_T2_PT3_SF_jT4_jjP12ihipStream_tbEUlT_E0_NS1_11comp_targetILNS1_3genE8ELNS1_11target_archE1030ELNS1_3gpuE2ELNS1_3repE0EEENS1_52radix_sort_onesweep_histogram_config_static_selectorELNS0_4arch9wavefront6targetE0EEEvSD_.num_vgpr, 0
	.set _ZN7rocprim17ROCPRIM_400000_NS6detail17trampoline_kernelINS0_14default_configENS1_35radix_sort_onesweep_config_selectorIaNS0_10empty_typeEEEZNS1_34radix_sort_onesweep_global_offsetsIS3_Lb1EPKaPS5_mNS0_19identity_decomposerEEE10hipError_tT1_T2_PT3_SF_jT4_jjP12ihipStream_tbEUlT_E0_NS1_11comp_targetILNS1_3genE8ELNS1_11target_archE1030ELNS1_3gpuE2ELNS1_3repE0EEENS1_52radix_sort_onesweep_histogram_config_static_selectorELNS0_4arch9wavefront6targetE0EEEvSD_.num_agpr, 0
	.set _ZN7rocprim17ROCPRIM_400000_NS6detail17trampoline_kernelINS0_14default_configENS1_35radix_sort_onesweep_config_selectorIaNS0_10empty_typeEEEZNS1_34radix_sort_onesweep_global_offsetsIS3_Lb1EPKaPS5_mNS0_19identity_decomposerEEE10hipError_tT1_T2_PT3_SF_jT4_jjP12ihipStream_tbEUlT_E0_NS1_11comp_targetILNS1_3genE8ELNS1_11target_archE1030ELNS1_3gpuE2ELNS1_3repE0EEENS1_52radix_sort_onesweep_histogram_config_static_selectorELNS0_4arch9wavefront6targetE0EEEvSD_.numbered_sgpr, 0
	.set _ZN7rocprim17ROCPRIM_400000_NS6detail17trampoline_kernelINS0_14default_configENS1_35radix_sort_onesweep_config_selectorIaNS0_10empty_typeEEEZNS1_34radix_sort_onesweep_global_offsetsIS3_Lb1EPKaPS5_mNS0_19identity_decomposerEEE10hipError_tT1_T2_PT3_SF_jT4_jjP12ihipStream_tbEUlT_E0_NS1_11comp_targetILNS1_3genE8ELNS1_11target_archE1030ELNS1_3gpuE2ELNS1_3repE0EEENS1_52radix_sort_onesweep_histogram_config_static_selectorELNS0_4arch9wavefront6targetE0EEEvSD_.num_named_barrier, 0
	.set _ZN7rocprim17ROCPRIM_400000_NS6detail17trampoline_kernelINS0_14default_configENS1_35radix_sort_onesweep_config_selectorIaNS0_10empty_typeEEEZNS1_34radix_sort_onesweep_global_offsetsIS3_Lb1EPKaPS5_mNS0_19identity_decomposerEEE10hipError_tT1_T2_PT3_SF_jT4_jjP12ihipStream_tbEUlT_E0_NS1_11comp_targetILNS1_3genE8ELNS1_11target_archE1030ELNS1_3gpuE2ELNS1_3repE0EEENS1_52radix_sort_onesweep_histogram_config_static_selectorELNS0_4arch9wavefront6targetE0EEEvSD_.private_seg_size, 0
	.set _ZN7rocprim17ROCPRIM_400000_NS6detail17trampoline_kernelINS0_14default_configENS1_35radix_sort_onesweep_config_selectorIaNS0_10empty_typeEEEZNS1_34radix_sort_onesweep_global_offsetsIS3_Lb1EPKaPS5_mNS0_19identity_decomposerEEE10hipError_tT1_T2_PT3_SF_jT4_jjP12ihipStream_tbEUlT_E0_NS1_11comp_targetILNS1_3genE8ELNS1_11target_archE1030ELNS1_3gpuE2ELNS1_3repE0EEENS1_52radix_sort_onesweep_histogram_config_static_selectorELNS0_4arch9wavefront6targetE0EEEvSD_.uses_vcc, 0
	.set _ZN7rocprim17ROCPRIM_400000_NS6detail17trampoline_kernelINS0_14default_configENS1_35radix_sort_onesweep_config_selectorIaNS0_10empty_typeEEEZNS1_34radix_sort_onesweep_global_offsetsIS3_Lb1EPKaPS5_mNS0_19identity_decomposerEEE10hipError_tT1_T2_PT3_SF_jT4_jjP12ihipStream_tbEUlT_E0_NS1_11comp_targetILNS1_3genE8ELNS1_11target_archE1030ELNS1_3gpuE2ELNS1_3repE0EEENS1_52radix_sort_onesweep_histogram_config_static_selectorELNS0_4arch9wavefront6targetE0EEEvSD_.uses_flat_scratch, 0
	.set _ZN7rocprim17ROCPRIM_400000_NS6detail17trampoline_kernelINS0_14default_configENS1_35radix_sort_onesweep_config_selectorIaNS0_10empty_typeEEEZNS1_34radix_sort_onesweep_global_offsetsIS3_Lb1EPKaPS5_mNS0_19identity_decomposerEEE10hipError_tT1_T2_PT3_SF_jT4_jjP12ihipStream_tbEUlT_E0_NS1_11comp_targetILNS1_3genE8ELNS1_11target_archE1030ELNS1_3gpuE2ELNS1_3repE0EEENS1_52radix_sort_onesweep_histogram_config_static_selectorELNS0_4arch9wavefront6targetE0EEEvSD_.has_dyn_sized_stack, 0
	.set _ZN7rocprim17ROCPRIM_400000_NS6detail17trampoline_kernelINS0_14default_configENS1_35radix_sort_onesweep_config_selectorIaNS0_10empty_typeEEEZNS1_34radix_sort_onesweep_global_offsetsIS3_Lb1EPKaPS5_mNS0_19identity_decomposerEEE10hipError_tT1_T2_PT3_SF_jT4_jjP12ihipStream_tbEUlT_E0_NS1_11comp_targetILNS1_3genE8ELNS1_11target_archE1030ELNS1_3gpuE2ELNS1_3repE0EEENS1_52radix_sort_onesweep_histogram_config_static_selectorELNS0_4arch9wavefront6targetE0EEEvSD_.has_recursion, 0
	.set _ZN7rocprim17ROCPRIM_400000_NS6detail17trampoline_kernelINS0_14default_configENS1_35radix_sort_onesweep_config_selectorIaNS0_10empty_typeEEEZNS1_34radix_sort_onesweep_global_offsetsIS3_Lb1EPKaPS5_mNS0_19identity_decomposerEEE10hipError_tT1_T2_PT3_SF_jT4_jjP12ihipStream_tbEUlT_E0_NS1_11comp_targetILNS1_3genE8ELNS1_11target_archE1030ELNS1_3gpuE2ELNS1_3repE0EEENS1_52radix_sort_onesweep_histogram_config_static_selectorELNS0_4arch9wavefront6targetE0EEEvSD_.has_indirect_call, 0
	.section	.AMDGPU.csdata,"",@progbits
; Kernel info:
; codeLenInByte = 0
; TotalNumSgprs: 0
; NumVgprs: 0
; ScratchSize: 0
; MemoryBound: 0
; FloatMode: 240
; IeeeMode: 1
; LDSByteSize: 0 bytes/workgroup (compile time only)
; SGPRBlocks: 0
; VGPRBlocks: 0
; NumSGPRsForWavesPerEU: 1
; NumVGPRsForWavesPerEU: 1
; NamedBarCnt: 0
; Occupancy: 16
; WaveLimiterHint : 0
; COMPUTE_PGM_RSRC2:SCRATCH_EN: 0
; COMPUTE_PGM_RSRC2:USER_SGPR: 2
; COMPUTE_PGM_RSRC2:TRAP_HANDLER: 0
; COMPUTE_PGM_RSRC2:TGID_X_EN: 1
; COMPUTE_PGM_RSRC2:TGID_Y_EN: 0
; COMPUTE_PGM_RSRC2:TGID_Z_EN: 0
; COMPUTE_PGM_RSRC2:TIDIG_COMP_CNT: 0
	.section	.text._ZN7rocprim17ROCPRIM_400000_NS6detail17trampoline_kernelINS0_14default_configENS1_25transform_config_selectorIaLb1EEEZNS1_14transform_implILb1ES3_S5_PKaPaNS0_8identityIaEEEE10hipError_tT2_T3_mT4_P12ihipStream_tbEUlT_E_NS1_11comp_targetILNS1_3genE0ELNS1_11target_archE4294967295ELNS1_3gpuE0ELNS1_3repE0EEENS1_30default_config_static_selectorELNS0_4arch9wavefront6targetE0EEEvT1_,"axG",@progbits,_ZN7rocprim17ROCPRIM_400000_NS6detail17trampoline_kernelINS0_14default_configENS1_25transform_config_selectorIaLb1EEEZNS1_14transform_implILb1ES3_S5_PKaPaNS0_8identityIaEEEE10hipError_tT2_T3_mT4_P12ihipStream_tbEUlT_E_NS1_11comp_targetILNS1_3genE0ELNS1_11target_archE4294967295ELNS1_3gpuE0ELNS1_3repE0EEENS1_30default_config_static_selectorELNS0_4arch9wavefront6targetE0EEEvT1_,comdat
	.protected	_ZN7rocprim17ROCPRIM_400000_NS6detail17trampoline_kernelINS0_14default_configENS1_25transform_config_selectorIaLb1EEEZNS1_14transform_implILb1ES3_S5_PKaPaNS0_8identityIaEEEE10hipError_tT2_T3_mT4_P12ihipStream_tbEUlT_E_NS1_11comp_targetILNS1_3genE0ELNS1_11target_archE4294967295ELNS1_3gpuE0ELNS1_3repE0EEENS1_30default_config_static_selectorELNS0_4arch9wavefront6targetE0EEEvT1_ ; -- Begin function _ZN7rocprim17ROCPRIM_400000_NS6detail17trampoline_kernelINS0_14default_configENS1_25transform_config_selectorIaLb1EEEZNS1_14transform_implILb1ES3_S5_PKaPaNS0_8identityIaEEEE10hipError_tT2_T3_mT4_P12ihipStream_tbEUlT_E_NS1_11comp_targetILNS1_3genE0ELNS1_11target_archE4294967295ELNS1_3gpuE0ELNS1_3repE0EEENS1_30default_config_static_selectorELNS0_4arch9wavefront6targetE0EEEvT1_
	.globl	_ZN7rocprim17ROCPRIM_400000_NS6detail17trampoline_kernelINS0_14default_configENS1_25transform_config_selectorIaLb1EEEZNS1_14transform_implILb1ES3_S5_PKaPaNS0_8identityIaEEEE10hipError_tT2_T3_mT4_P12ihipStream_tbEUlT_E_NS1_11comp_targetILNS1_3genE0ELNS1_11target_archE4294967295ELNS1_3gpuE0ELNS1_3repE0EEENS1_30default_config_static_selectorELNS0_4arch9wavefront6targetE0EEEvT1_
	.p2align	8
	.type	_ZN7rocprim17ROCPRIM_400000_NS6detail17trampoline_kernelINS0_14default_configENS1_25transform_config_selectorIaLb1EEEZNS1_14transform_implILb1ES3_S5_PKaPaNS0_8identityIaEEEE10hipError_tT2_T3_mT4_P12ihipStream_tbEUlT_E_NS1_11comp_targetILNS1_3genE0ELNS1_11target_archE4294967295ELNS1_3gpuE0ELNS1_3repE0EEENS1_30default_config_static_selectorELNS0_4arch9wavefront6targetE0EEEvT1_,@function
_ZN7rocprim17ROCPRIM_400000_NS6detail17trampoline_kernelINS0_14default_configENS1_25transform_config_selectorIaLb1EEEZNS1_14transform_implILb1ES3_S5_PKaPaNS0_8identityIaEEEE10hipError_tT2_T3_mT4_P12ihipStream_tbEUlT_E_NS1_11comp_targetILNS1_3genE0ELNS1_11target_archE4294967295ELNS1_3gpuE0ELNS1_3repE0EEENS1_30default_config_static_selectorELNS0_4arch9wavefront6targetE0EEEvT1_: ; @_ZN7rocprim17ROCPRIM_400000_NS6detail17trampoline_kernelINS0_14default_configENS1_25transform_config_selectorIaLb1EEEZNS1_14transform_implILb1ES3_S5_PKaPaNS0_8identityIaEEEE10hipError_tT2_T3_mT4_P12ihipStream_tbEUlT_E_NS1_11comp_targetILNS1_3genE0ELNS1_11target_archE4294967295ELNS1_3gpuE0ELNS1_3repE0EEENS1_30default_config_static_selectorELNS0_4arch9wavefront6targetE0EEEvT1_
; %bb.0:
	s_clause 0x1
	s_load_b256 s[4:11], s[0:1], 0x0
	s_load_b32 s3, s[0:1], 0x28
	s_wait_xcnt 0x0
	s_bfe_u32 s0, ttmp6, 0x4000c
	s_and_b32 s1, ttmp6, 15
	s_add_co_i32 s0, s0, 1
	s_getreg_b32 s2, hwreg(HW_REG_IB_STS2, 6, 4)
	s_mul_i32 s0, ttmp9, s0
	s_delay_alu instid0(SALU_CYCLE_1)
	s_add_co_i32 s0, s1, s0
	s_cmp_eq_u32 s2, 0
	s_mov_b32 s1, 0
	s_wait_kmcnt 0x0
	s_cselect_b32 s9, ttmp9, s0
	s_mov_b32 s2, -1
	s_lshl_b32 s0, s9, 10
	s_add_nc_u64 s[4:5], s[4:5], s[6:7]
	s_add_nc_u64 s[6:7], s[10:11], s[6:7]
	s_add_co_i32 s3, s3, -1
	s_add_nc_u64 s[12:13], s[4:5], s[0:1]
	s_cmp_lg_u32 s9, s3
	s_add_nc_u64 s[10:11], s[6:7], s[0:1]
	s_cbranch_scc0 .LBB347_2
; %bb.1:
	global_load_b64 v[2:3], v0, s[12:13] scale_offset th:TH_LOAD_NT
	s_mov_b32 s2, 0
	s_wait_loadcnt 0x0
	global_store_b64 v0, v[2:3], s[10:11] scale_offset
.LBB347_2:
	s_and_not1_b32 vcc_lo, exec_lo, s2
	s_cbranch_vccnz .LBB347_33
; %bb.3:
	s_sub_co_i32 s7, s8, s0
	v_dual_mov_b32 v4, 0 :: v_dual_mov_b32 v5, 0
	v_cmp_gt_u32_e32 vcc_lo, s7, v0
	v_dual_mov_b32 v10, 0 :: v_dual_mov_b32 v6, 0
	v_dual_mov_b32 v7, 0 :: v_dual_mov_b32 v8, 0
	v_mov_b32_e32 v9, 0
	s_wait_xcnt 0x0
	s_and_saveexec_b32 s0, vcc_lo
	s_cbranch_execz .LBB347_5
; %bb.4:
	global_load_u8 v5, v0, s[12:13]
	v_dual_mov_b32 v10, 0 :: v_dual_mov_b32 v6, 0
	v_dual_mov_b32 v7, 0 :: v_dual_mov_b32 v8, 0
	v_mov_b32_e32 v9, 0
.LBB347_5:
	s_wait_xcnt 0x0
	s_or_b32 exec_lo, exec_lo, s0
	v_or_b32_e32 v1, 0x80, v0
	v_mov_b32_e32 v11, v4
	s_delay_alu instid0(VALU_DEP_2)
	v_cmp_gt_u32_e64 s0, s7, v1
	s_and_saveexec_b32 s1, s0
	s_cbranch_execz .LBB347_7
; %bb.6:
	global_load_u8 v11, v0, s[12:13] offset:128
.LBB347_7:
	s_wait_xcnt 0x0
	s_or_b32 exec_lo, exec_lo, s1
	v_or_b32_e32 v1, 0x100, v0
	s_delay_alu instid0(VALU_DEP_1)
	v_cmp_gt_u32_e64 s1, s7, v1
	s_and_saveexec_b32 s2, s1
	s_cbranch_execz .LBB347_9
; %bb.8:
	global_load_u8 v4, v0, s[12:13] offset:256
.LBB347_9:
	s_wait_xcnt 0x0
	s_or_b32 exec_lo, exec_lo, s2
	v_or_b32_e32 v1, 0x180, v0
	s_delay_alu instid0(VALU_DEP_1)
	;; [unrolled: 10-line block ×5, first 2 shown]
	v_cmp_gt_u32_e64 s5, s7, v1
	s_and_saveexec_b32 s6, s5
	s_cbranch_execz .LBB347_17
; %bb.16:
	global_load_u8 v8, v0, s[12:13] offset:768
.LBB347_17:
	s_wait_xcnt 0x0
	s_or_b32 exec_lo, exec_lo, s6
	v_or_b32_e32 v1, 0x380, v0
	s_delay_alu instid0(VALU_DEP_1) | instskip(SKIP_3) | instid1(SALU_CYCLE_1)
	v_cmp_gt_u32_e64 s6, s7, v1
	v_cmp_le_u32_e64 s7, s7, v1
	v_mov_b32_e32 v1, 0
	s_and_saveexec_b32 s8, s7
	s_xor_b32 s7, exec_lo, s8
	s_delay_alu instid0(SALU_CYCLE_1)
	s_and_not1_saveexec_b32 s7, s7
	s_cbranch_execz .LBB347_19
; %bb.18:
	v_add_nc_u64_e32 v[2:3], s[12:13], v[0:1]
	global_load_u8 v9, v[2:3], off offset:896
.LBB347_19:
	s_wait_xcnt 0x0
	s_or_b32 exec_lo, exec_lo, s7
	s_wait_loadcnt 0x0
	v_and_b32_e32 v2, 0xff, v5
	v_add_nc_u64_e32 v[0:1], s[10:11], v[0:1]
	s_delay_alu instid0(VALU_DEP_2) | instskip(NEXT) | instid1(VALU_DEP_1)
	v_and_b32_e32 v2, 0xffff, v2
	v_dual_mov_b32 v3, 0 :: v_dual_cndmask_b32 v2, 0, v2
	s_and_saveexec_b32 s7, vcc_lo
	s_cbranch_execz .LBB347_21
; %bb.20:
	global_store_b8 v[0:1], v2, off
.LBB347_21:
	s_wait_xcnt 0x0
	s_or_b32 exec_lo, exec_lo, s7
	v_perm_b32 v5, v5, v11, 0xc0c0004
	v_perm_b32 v4, v4, v10, 0xc0c0004
	s_delay_alu instid0(VALU_DEP_1) | instskip(NEXT) | instid1(VALU_DEP_1)
	v_lshl_or_b32 v10, v4, 16, v5
	v_cndmask_b32_e64 v4, v2, v10, s0
	s_delay_alu instid0(VALU_DEP_1)
	v_lshrrev_b32_e32 v11, 8, v4
	s_and_saveexec_b32 s7, s0
	s_cbranch_execz .LBB347_23
; %bb.22:
	global_store_b8 v[0:1], v11, off offset:128
.LBB347_23:
	s_wait_xcnt 0x0
	s_or_b32 exec_lo, exec_lo, s7
	v_bitop3_b16 v4, v2, v4, 0xff00 bitop3:0xf8
	s_delay_alu instid0(VALU_DEP_1) | instskip(SKIP_1) | instid1(VALU_DEP_2)
	v_and_b32_e32 v12, 0xffff, v4
	v_lshrrev_b64 v[4:5], 24, v[2:3]
	v_cndmask_b32_e64 v3, v12, v10, s1
	s_and_saveexec_b32 s0, s1
	s_cbranch_execz .LBB347_25
; %bb.24:
	global_store_d16_hi_b8 v[0:1], v3, off offset:256
.LBB347_25:
	s_wait_xcnt 0x0
	s_or_b32 exec_lo, exec_lo, s0
	v_lshlrev_b16 v5, 8, v11
	v_perm_b32 v3, v3, v4, 0xc0c0006
	v_perm_b32 v4, v6, v7, 0xc0c0004
	s_delay_alu instid0(VALU_DEP_3) | instskip(NEXT) | instid1(VALU_DEP_1)
	v_or_b32_e32 v2, v2, v5
	v_and_b32_e32 v2, 0xffff, v2
	s_delay_alu instid0(VALU_DEP_1) | instskip(SKIP_1) | instid1(VALU_DEP_2)
	v_lshl_or_b32 v2, v3, 16, v2
	v_perm_b32 v3, v8, v9, 0xc0c0004
	v_cndmask_b32_e64 v2, v2, v10, s2
	s_delay_alu instid0(VALU_DEP_2)
	v_lshl_or_b32 v3, v3, 16, v4
	s_and_saveexec_b32 s0, s2
	s_cbranch_execz .LBB347_27
; %bb.26:
	s_delay_alu instid0(VALU_DEP_2)
	v_lshrrev_b32_e32 v2, 24, v2
	global_store_b8 v[0:1], v2, off offset:384
.LBB347_27:
	s_wait_xcnt 0x0
	s_or_b32 exec_lo, exec_lo, s0
	v_cndmask_b32_e64 v2, 0, v3, s3
	s_and_saveexec_b32 s0, s3
	s_cbranch_execz .LBB347_29
; %bb.28:
	global_store_b8 v[0:1], v2, off offset:512
.LBB347_29:
	s_wait_xcnt 0x0
	s_or_b32 exec_lo, exec_lo, s0
	v_and_b32_e32 v4, 0xff, v2
	s_delay_alu instid0(VALU_DEP_1) | instskip(NEXT) | instid1(VALU_DEP_1)
	v_cndmask_b32_e64 v4, v4, v3, s4
	v_lshrrev_b32_e32 v4, 8, v4
	s_and_saveexec_b32 s0, s4
	s_cbranch_execnz .LBB347_34
; %bb.30:
	s_or_b32 exec_lo, exec_lo, s0
	s_delay_alu instid0(VALU_DEP_1)
	v_perm_b32 v2, v2, v4, 0xc0c0004
	s_and_saveexec_b32 s0, s5
	s_cbranch_execnz .LBB347_35
.LBB347_31:
	s_or_b32 exec_lo, exec_lo, s0
	s_and_saveexec_b32 s0, s6
	s_cbranch_execz .LBB347_33
.LBB347_32:
	v_cndmask_b32_e64 v2, v2, v3, s6
	s_delay_alu instid0(VALU_DEP_1)
	v_lshrrev_b32_e32 v2, 24, v2
	global_store_b8 v[0:1], v2, off offset:896
.LBB347_33:
	s_endpgm
.LBB347_34:
	global_store_b8 v[0:1], v4, off offset:640
	s_wait_xcnt 0x0
	s_or_b32 exec_lo, exec_lo, s0
	v_perm_b32 v2, v2, v4, 0xc0c0004
	s_and_saveexec_b32 s0, s5
	s_cbranch_execz .LBB347_31
.LBB347_35:
	s_delay_alu instid0(VALU_DEP_1)
	v_cndmask_b32_e64 v4, v2, v3, s5
	global_store_d16_hi_b8 v[0:1], v4, off offset:768
	s_wait_xcnt 0x0
	s_or_b32 exec_lo, exec_lo, s0
	s_and_saveexec_b32 s0, s6
	s_cbranch_execnz .LBB347_32
	s_branch .LBB347_33
	.section	.rodata,"a",@progbits
	.p2align	6, 0x0
	.amdhsa_kernel _ZN7rocprim17ROCPRIM_400000_NS6detail17trampoline_kernelINS0_14default_configENS1_25transform_config_selectorIaLb1EEEZNS1_14transform_implILb1ES3_S5_PKaPaNS0_8identityIaEEEE10hipError_tT2_T3_mT4_P12ihipStream_tbEUlT_E_NS1_11comp_targetILNS1_3genE0ELNS1_11target_archE4294967295ELNS1_3gpuE0ELNS1_3repE0EEENS1_30default_config_static_selectorELNS0_4arch9wavefront6targetE0EEEvT1_
		.amdhsa_group_segment_fixed_size 0
		.amdhsa_private_segment_fixed_size 0
		.amdhsa_kernarg_size 296
		.amdhsa_user_sgpr_count 2
		.amdhsa_user_sgpr_dispatch_ptr 0
		.amdhsa_user_sgpr_queue_ptr 0
		.amdhsa_user_sgpr_kernarg_segment_ptr 1
		.amdhsa_user_sgpr_dispatch_id 0
		.amdhsa_user_sgpr_kernarg_preload_length 0
		.amdhsa_user_sgpr_kernarg_preload_offset 0
		.amdhsa_user_sgpr_private_segment_size 0
		.amdhsa_wavefront_size32 1
		.amdhsa_uses_dynamic_stack 0
		.amdhsa_enable_private_segment 0
		.amdhsa_system_sgpr_workgroup_id_x 1
		.amdhsa_system_sgpr_workgroup_id_y 0
		.amdhsa_system_sgpr_workgroup_id_z 0
		.amdhsa_system_sgpr_workgroup_info 0
		.amdhsa_system_vgpr_workitem_id 0
		.amdhsa_next_free_vgpr 13
		.amdhsa_next_free_sgpr 14
		.amdhsa_named_barrier_count 0
		.amdhsa_reserve_vcc 1
		.amdhsa_float_round_mode_32 0
		.amdhsa_float_round_mode_16_64 0
		.amdhsa_float_denorm_mode_32 3
		.amdhsa_float_denorm_mode_16_64 3
		.amdhsa_fp16_overflow 0
		.amdhsa_memory_ordered 1
		.amdhsa_forward_progress 1
		.amdhsa_inst_pref_size 10
		.amdhsa_round_robin_scheduling 0
		.amdhsa_exception_fp_ieee_invalid_op 0
		.amdhsa_exception_fp_denorm_src 0
		.amdhsa_exception_fp_ieee_div_zero 0
		.amdhsa_exception_fp_ieee_overflow 0
		.amdhsa_exception_fp_ieee_underflow 0
		.amdhsa_exception_fp_ieee_inexact 0
		.amdhsa_exception_int_div_zero 0
	.end_amdhsa_kernel
	.section	.text._ZN7rocprim17ROCPRIM_400000_NS6detail17trampoline_kernelINS0_14default_configENS1_25transform_config_selectorIaLb1EEEZNS1_14transform_implILb1ES3_S5_PKaPaNS0_8identityIaEEEE10hipError_tT2_T3_mT4_P12ihipStream_tbEUlT_E_NS1_11comp_targetILNS1_3genE0ELNS1_11target_archE4294967295ELNS1_3gpuE0ELNS1_3repE0EEENS1_30default_config_static_selectorELNS0_4arch9wavefront6targetE0EEEvT1_,"axG",@progbits,_ZN7rocprim17ROCPRIM_400000_NS6detail17trampoline_kernelINS0_14default_configENS1_25transform_config_selectorIaLb1EEEZNS1_14transform_implILb1ES3_S5_PKaPaNS0_8identityIaEEEE10hipError_tT2_T3_mT4_P12ihipStream_tbEUlT_E_NS1_11comp_targetILNS1_3genE0ELNS1_11target_archE4294967295ELNS1_3gpuE0ELNS1_3repE0EEENS1_30default_config_static_selectorELNS0_4arch9wavefront6targetE0EEEvT1_,comdat
.Lfunc_end347:
	.size	_ZN7rocprim17ROCPRIM_400000_NS6detail17trampoline_kernelINS0_14default_configENS1_25transform_config_selectorIaLb1EEEZNS1_14transform_implILb1ES3_S5_PKaPaNS0_8identityIaEEEE10hipError_tT2_T3_mT4_P12ihipStream_tbEUlT_E_NS1_11comp_targetILNS1_3genE0ELNS1_11target_archE4294967295ELNS1_3gpuE0ELNS1_3repE0EEENS1_30default_config_static_selectorELNS0_4arch9wavefront6targetE0EEEvT1_, .Lfunc_end347-_ZN7rocprim17ROCPRIM_400000_NS6detail17trampoline_kernelINS0_14default_configENS1_25transform_config_selectorIaLb1EEEZNS1_14transform_implILb1ES3_S5_PKaPaNS0_8identityIaEEEE10hipError_tT2_T3_mT4_P12ihipStream_tbEUlT_E_NS1_11comp_targetILNS1_3genE0ELNS1_11target_archE4294967295ELNS1_3gpuE0ELNS1_3repE0EEENS1_30default_config_static_selectorELNS0_4arch9wavefront6targetE0EEEvT1_
                                        ; -- End function
	.set _ZN7rocprim17ROCPRIM_400000_NS6detail17trampoline_kernelINS0_14default_configENS1_25transform_config_selectorIaLb1EEEZNS1_14transform_implILb1ES3_S5_PKaPaNS0_8identityIaEEEE10hipError_tT2_T3_mT4_P12ihipStream_tbEUlT_E_NS1_11comp_targetILNS1_3genE0ELNS1_11target_archE4294967295ELNS1_3gpuE0ELNS1_3repE0EEENS1_30default_config_static_selectorELNS0_4arch9wavefront6targetE0EEEvT1_.num_vgpr, 13
	.set _ZN7rocprim17ROCPRIM_400000_NS6detail17trampoline_kernelINS0_14default_configENS1_25transform_config_selectorIaLb1EEEZNS1_14transform_implILb1ES3_S5_PKaPaNS0_8identityIaEEEE10hipError_tT2_T3_mT4_P12ihipStream_tbEUlT_E_NS1_11comp_targetILNS1_3genE0ELNS1_11target_archE4294967295ELNS1_3gpuE0ELNS1_3repE0EEENS1_30default_config_static_selectorELNS0_4arch9wavefront6targetE0EEEvT1_.num_agpr, 0
	.set _ZN7rocprim17ROCPRIM_400000_NS6detail17trampoline_kernelINS0_14default_configENS1_25transform_config_selectorIaLb1EEEZNS1_14transform_implILb1ES3_S5_PKaPaNS0_8identityIaEEEE10hipError_tT2_T3_mT4_P12ihipStream_tbEUlT_E_NS1_11comp_targetILNS1_3genE0ELNS1_11target_archE4294967295ELNS1_3gpuE0ELNS1_3repE0EEENS1_30default_config_static_selectorELNS0_4arch9wavefront6targetE0EEEvT1_.numbered_sgpr, 14
	.set _ZN7rocprim17ROCPRIM_400000_NS6detail17trampoline_kernelINS0_14default_configENS1_25transform_config_selectorIaLb1EEEZNS1_14transform_implILb1ES3_S5_PKaPaNS0_8identityIaEEEE10hipError_tT2_T3_mT4_P12ihipStream_tbEUlT_E_NS1_11comp_targetILNS1_3genE0ELNS1_11target_archE4294967295ELNS1_3gpuE0ELNS1_3repE0EEENS1_30default_config_static_selectorELNS0_4arch9wavefront6targetE0EEEvT1_.num_named_barrier, 0
	.set _ZN7rocprim17ROCPRIM_400000_NS6detail17trampoline_kernelINS0_14default_configENS1_25transform_config_selectorIaLb1EEEZNS1_14transform_implILb1ES3_S5_PKaPaNS0_8identityIaEEEE10hipError_tT2_T3_mT4_P12ihipStream_tbEUlT_E_NS1_11comp_targetILNS1_3genE0ELNS1_11target_archE4294967295ELNS1_3gpuE0ELNS1_3repE0EEENS1_30default_config_static_selectorELNS0_4arch9wavefront6targetE0EEEvT1_.private_seg_size, 0
	.set _ZN7rocprim17ROCPRIM_400000_NS6detail17trampoline_kernelINS0_14default_configENS1_25transform_config_selectorIaLb1EEEZNS1_14transform_implILb1ES3_S5_PKaPaNS0_8identityIaEEEE10hipError_tT2_T3_mT4_P12ihipStream_tbEUlT_E_NS1_11comp_targetILNS1_3genE0ELNS1_11target_archE4294967295ELNS1_3gpuE0ELNS1_3repE0EEENS1_30default_config_static_selectorELNS0_4arch9wavefront6targetE0EEEvT1_.uses_vcc, 1
	.set _ZN7rocprim17ROCPRIM_400000_NS6detail17trampoline_kernelINS0_14default_configENS1_25transform_config_selectorIaLb1EEEZNS1_14transform_implILb1ES3_S5_PKaPaNS0_8identityIaEEEE10hipError_tT2_T3_mT4_P12ihipStream_tbEUlT_E_NS1_11comp_targetILNS1_3genE0ELNS1_11target_archE4294967295ELNS1_3gpuE0ELNS1_3repE0EEENS1_30default_config_static_selectorELNS0_4arch9wavefront6targetE0EEEvT1_.uses_flat_scratch, 0
	.set _ZN7rocprim17ROCPRIM_400000_NS6detail17trampoline_kernelINS0_14default_configENS1_25transform_config_selectorIaLb1EEEZNS1_14transform_implILb1ES3_S5_PKaPaNS0_8identityIaEEEE10hipError_tT2_T3_mT4_P12ihipStream_tbEUlT_E_NS1_11comp_targetILNS1_3genE0ELNS1_11target_archE4294967295ELNS1_3gpuE0ELNS1_3repE0EEENS1_30default_config_static_selectorELNS0_4arch9wavefront6targetE0EEEvT1_.has_dyn_sized_stack, 0
	.set _ZN7rocprim17ROCPRIM_400000_NS6detail17trampoline_kernelINS0_14default_configENS1_25transform_config_selectorIaLb1EEEZNS1_14transform_implILb1ES3_S5_PKaPaNS0_8identityIaEEEE10hipError_tT2_T3_mT4_P12ihipStream_tbEUlT_E_NS1_11comp_targetILNS1_3genE0ELNS1_11target_archE4294967295ELNS1_3gpuE0ELNS1_3repE0EEENS1_30default_config_static_selectorELNS0_4arch9wavefront6targetE0EEEvT1_.has_recursion, 0
	.set _ZN7rocprim17ROCPRIM_400000_NS6detail17trampoline_kernelINS0_14default_configENS1_25transform_config_selectorIaLb1EEEZNS1_14transform_implILb1ES3_S5_PKaPaNS0_8identityIaEEEE10hipError_tT2_T3_mT4_P12ihipStream_tbEUlT_E_NS1_11comp_targetILNS1_3genE0ELNS1_11target_archE4294967295ELNS1_3gpuE0ELNS1_3repE0EEENS1_30default_config_static_selectorELNS0_4arch9wavefront6targetE0EEEvT1_.has_indirect_call, 0
	.section	.AMDGPU.csdata,"",@progbits
; Kernel info:
; codeLenInByte = 1176
; TotalNumSgprs: 16
; NumVgprs: 13
; ScratchSize: 0
; MemoryBound: 0
; FloatMode: 240
; IeeeMode: 1
; LDSByteSize: 0 bytes/workgroup (compile time only)
; SGPRBlocks: 0
; VGPRBlocks: 0
; NumSGPRsForWavesPerEU: 16
; NumVGPRsForWavesPerEU: 13
; NamedBarCnt: 0
; Occupancy: 16
; WaveLimiterHint : 0
; COMPUTE_PGM_RSRC2:SCRATCH_EN: 0
; COMPUTE_PGM_RSRC2:USER_SGPR: 2
; COMPUTE_PGM_RSRC2:TRAP_HANDLER: 0
; COMPUTE_PGM_RSRC2:TGID_X_EN: 1
; COMPUTE_PGM_RSRC2:TGID_Y_EN: 0
; COMPUTE_PGM_RSRC2:TGID_Z_EN: 0
; COMPUTE_PGM_RSRC2:TIDIG_COMP_CNT: 0
	.section	.text._ZN7rocprim17ROCPRIM_400000_NS6detail17trampoline_kernelINS0_14default_configENS1_25transform_config_selectorIaLb1EEEZNS1_14transform_implILb1ES3_S5_PKaPaNS0_8identityIaEEEE10hipError_tT2_T3_mT4_P12ihipStream_tbEUlT_E_NS1_11comp_targetILNS1_3genE10ELNS1_11target_archE1201ELNS1_3gpuE5ELNS1_3repE0EEENS1_30default_config_static_selectorELNS0_4arch9wavefront6targetE0EEEvT1_,"axG",@progbits,_ZN7rocprim17ROCPRIM_400000_NS6detail17trampoline_kernelINS0_14default_configENS1_25transform_config_selectorIaLb1EEEZNS1_14transform_implILb1ES3_S5_PKaPaNS0_8identityIaEEEE10hipError_tT2_T3_mT4_P12ihipStream_tbEUlT_E_NS1_11comp_targetILNS1_3genE10ELNS1_11target_archE1201ELNS1_3gpuE5ELNS1_3repE0EEENS1_30default_config_static_selectorELNS0_4arch9wavefront6targetE0EEEvT1_,comdat
	.protected	_ZN7rocprim17ROCPRIM_400000_NS6detail17trampoline_kernelINS0_14default_configENS1_25transform_config_selectorIaLb1EEEZNS1_14transform_implILb1ES3_S5_PKaPaNS0_8identityIaEEEE10hipError_tT2_T3_mT4_P12ihipStream_tbEUlT_E_NS1_11comp_targetILNS1_3genE10ELNS1_11target_archE1201ELNS1_3gpuE5ELNS1_3repE0EEENS1_30default_config_static_selectorELNS0_4arch9wavefront6targetE0EEEvT1_ ; -- Begin function _ZN7rocprim17ROCPRIM_400000_NS6detail17trampoline_kernelINS0_14default_configENS1_25transform_config_selectorIaLb1EEEZNS1_14transform_implILb1ES3_S5_PKaPaNS0_8identityIaEEEE10hipError_tT2_T3_mT4_P12ihipStream_tbEUlT_E_NS1_11comp_targetILNS1_3genE10ELNS1_11target_archE1201ELNS1_3gpuE5ELNS1_3repE0EEENS1_30default_config_static_selectorELNS0_4arch9wavefront6targetE0EEEvT1_
	.globl	_ZN7rocprim17ROCPRIM_400000_NS6detail17trampoline_kernelINS0_14default_configENS1_25transform_config_selectorIaLb1EEEZNS1_14transform_implILb1ES3_S5_PKaPaNS0_8identityIaEEEE10hipError_tT2_T3_mT4_P12ihipStream_tbEUlT_E_NS1_11comp_targetILNS1_3genE10ELNS1_11target_archE1201ELNS1_3gpuE5ELNS1_3repE0EEENS1_30default_config_static_selectorELNS0_4arch9wavefront6targetE0EEEvT1_
	.p2align	8
	.type	_ZN7rocprim17ROCPRIM_400000_NS6detail17trampoline_kernelINS0_14default_configENS1_25transform_config_selectorIaLb1EEEZNS1_14transform_implILb1ES3_S5_PKaPaNS0_8identityIaEEEE10hipError_tT2_T3_mT4_P12ihipStream_tbEUlT_E_NS1_11comp_targetILNS1_3genE10ELNS1_11target_archE1201ELNS1_3gpuE5ELNS1_3repE0EEENS1_30default_config_static_selectorELNS0_4arch9wavefront6targetE0EEEvT1_,@function
_ZN7rocprim17ROCPRIM_400000_NS6detail17trampoline_kernelINS0_14default_configENS1_25transform_config_selectorIaLb1EEEZNS1_14transform_implILb1ES3_S5_PKaPaNS0_8identityIaEEEE10hipError_tT2_T3_mT4_P12ihipStream_tbEUlT_E_NS1_11comp_targetILNS1_3genE10ELNS1_11target_archE1201ELNS1_3gpuE5ELNS1_3repE0EEENS1_30default_config_static_selectorELNS0_4arch9wavefront6targetE0EEEvT1_: ; @_ZN7rocprim17ROCPRIM_400000_NS6detail17trampoline_kernelINS0_14default_configENS1_25transform_config_selectorIaLb1EEEZNS1_14transform_implILb1ES3_S5_PKaPaNS0_8identityIaEEEE10hipError_tT2_T3_mT4_P12ihipStream_tbEUlT_E_NS1_11comp_targetILNS1_3genE10ELNS1_11target_archE1201ELNS1_3gpuE5ELNS1_3repE0EEENS1_30default_config_static_selectorELNS0_4arch9wavefront6targetE0EEEvT1_
; %bb.0:
	.section	.rodata,"a",@progbits
	.p2align	6, 0x0
	.amdhsa_kernel _ZN7rocprim17ROCPRIM_400000_NS6detail17trampoline_kernelINS0_14default_configENS1_25transform_config_selectorIaLb1EEEZNS1_14transform_implILb1ES3_S5_PKaPaNS0_8identityIaEEEE10hipError_tT2_T3_mT4_P12ihipStream_tbEUlT_E_NS1_11comp_targetILNS1_3genE10ELNS1_11target_archE1201ELNS1_3gpuE5ELNS1_3repE0EEENS1_30default_config_static_selectorELNS0_4arch9wavefront6targetE0EEEvT1_
		.amdhsa_group_segment_fixed_size 0
		.amdhsa_private_segment_fixed_size 0
		.amdhsa_kernarg_size 40
		.amdhsa_user_sgpr_count 2
		.amdhsa_user_sgpr_dispatch_ptr 0
		.amdhsa_user_sgpr_queue_ptr 0
		.amdhsa_user_sgpr_kernarg_segment_ptr 1
		.amdhsa_user_sgpr_dispatch_id 0
		.amdhsa_user_sgpr_kernarg_preload_length 0
		.amdhsa_user_sgpr_kernarg_preload_offset 0
		.amdhsa_user_sgpr_private_segment_size 0
		.amdhsa_wavefront_size32 1
		.amdhsa_uses_dynamic_stack 0
		.amdhsa_enable_private_segment 0
		.amdhsa_system_sgpr_workgroup_id_x 1
		.amdhsa_system_sgpr_workgroup_id_y 0
		.amdhsa_system_sgpr_workgroup_id_z 0
		.amdhsa_system_sgpr_workgroup_info 0
		.amdhsa_system_vgpr_workitem_id 0
		.amdhsa_next_free_vgpr 1
		.amdhsa_next_free_sgpr 1
		.amdhsa_named_barrier_count 0
		.amdhsa_reserve_vcc 0
		.amdhsa_float_round_mode_32 0
		.amdhsa_float_round_mode_16_64 0
		.amdhsa_float_denorm_mode_32 3
		.amdhsa_float_denorm_mode_16_64 3
		.amdhsa_fp16_overflow 0
		.amdhsa_memory_ordered 1
		.amdhsa_forward_progress 1
		.amdhsa_inst_pref_size 0
		.amdhsa_round_robin_scheduling 0
		.amdhsa_exception_fp_ieee_invalid_op 0
		.amdhsa_exception_fp_denorm_src 0
		.amdhsa_exception_fp_ieee_div_zero 0
		.amdhsa_exception_fp_ieee_overflow 0
		.amdhsa_exception_fp_ieee_underflow 0
		.amdhsa_exception_fp_ieee_inexact 0
		.amdhsa_exception_int_div_zero 0
	.end_amdhsa_kernel
	.section	.text._ZN7rocprim17ROCPRIM_400000_NS6detail17trampoline_kernelINS0_14default_configENS1_25transform_config_selectorIaLb1EEEZNS1_14transform_implILb1ES3_S5_PKaPaNS0_8identityIaEEEE10hipError_tT2_T3_mT4_P12ihipStream_tbEUlT_E_NS1_11comp_targetILNS1_3genE10ELNS1_11target_archE1201ELNS1_3gpuE5ELNS1_3repE0EEENS1_30default_config_static_selectorELNS0_4arch9wavefront6targetE0EEEvT1_,"axG",@progbits,_ZN7rocprim17ROCPRIM_400000_NS6detail17trampoline_kernelINS0_14default_configENS1_25transform_config_selectorIaLb1EEEZNS1_14transform_implILb1ES3_S5_PKaPaNS0_8identityIaEEEE10hipError_tT2_T3_mT4_P12ihipStream_tbEUlT_E_NS1_11comp_targetILNS1_3genE10ELNS1_11target_archE1201ELNS1_3gpuE5ELNS1_3repE0EEENS1_30default_config_static_selectorELNS0_4arch9wavefront6targetE0EEEvT1_,comdat
.Lfunc_end348:
	.size	_ZN7rocprim17ROCPRIM_400000_NS6detail17trampoline_kernelINS0_14default_configENS1_25transform_config_selectorIaLb1EEEZNS1_14transform_implILb1ES3_S5_PKaPaNS0_8identityIaEEEE10hipError_tT2_T3_mT4_P12ihipStream_tbEUlT_E_NS1_11comp_targetILNS1_3genE10ELNS1_11target_archE1201ELNS1_3gpuE5ELNS1_3repE0EEENS1_30default_config_static_selectorELNS0_4arch9wavefront6targetE0EEEvT1_, .Lfunc_end348-_ZN7rocprim17ROCPRIM_400000_NS6detail17trampoline_kernelINS0_14default_configENS1_25transform_config_selectorIaLb1EEEZNS1_14transform_implILb1ES3_S5_PKaPaNS0_8identityIaEEEE10hipError_tT2_T3_mT4_P12ihipStream_tbEUlT_E_NS1_11comp_targetILNS1_3genE10ELNS1_11target_archE1201ELNS1_3gpuE5ELNS1_3repE0EEENS1_30default_config_static_selectorELNS0_4arch9wavefront6targetE0EEEvT1_
                                        ; -- End function
	.set _ZN7rocprim17ROCPRIM_400000_NS6detail17trampoline_kernelINS0_14default_configENS1_25transform_config_selectorIaLb1EEEZNS1_14transform_implILb1ES3_S5_PKaPaNS0_8identityIaEEEE10hipError_tT2_T3_mT4_P12ihipStream_tbEUlT_E_NS1_11comp_targetILNS1_3genE10ELNS1_11target_archE1201ELNS1_3gpuE5ELNS1_3repE0EEENS1_30default_config_static_selectorELNS0_4arch9wavefront6targetE0EEEvT1_.num_vgpr, 0
	.set _ZN7rocprim17ROCPRIM_400000_NS6detail17trampoline_kernelINS0_14default_configENS1_25transform_config_selectorIaLb1EEEZNS1_14transform_implILb1ES3_S5_PKaPaNS0_8identityIaEEEE10hipError_tT2_T3_mT4_P12ihipStream_tbEUlT_E_NS1_11comp_targetILNS1_3genE10ELNS1_11target_archE1201ELNS1_3gpuE5ELNS1_3repE0EEENS1_30default_config_static_selectorELNS0_4arch9wavefront6targetE0EEEvT1_.num_agpr, 0
	.set _ZN7rocprim17ROCPRIM_400000_NS6detail17trampoline_kernelINS0_14default_configENS1_25transform_config_selectorIaLb1EEEZNS1_14transform_implILb1ES3_S5_PKaPaNS0_8identityIaEEEE10hipError_tT2_T3_mT4_P12ihipStream_tbEUlT_E_NS1_11comp_targetILNS1_3genE10ELNS1_11target_archE1201ELNS1_3gpuE5ELNS1_3repE0EEENS1_30default_config_static_selectorELNS0_4arch9wavefront6targetE0EEEvT1_.numbered_sgpr, 0
	.set _ZN7rocprim17ROCPRIM_400000_NS6detail17trampoline_kernelINS0_14default_configENS1_25transform_config_selectorIaLb1EEEZNS1_14transform_implILb1ES3_S5_PKaPaNS0_8identityIaEEEE10hipError_tT2_T3_mT4_P12ihipStream_tbEUlT_E_NS1_11comp_targetILNS1_3genE10ELNS1_11target_archE1201ELNS1_3gpuE5ELNS1_3repE0EEENS1_30default_config_static_selectorELNS0_4arch9wavefront6targetE0EEEvT1_.num_named_barrier, 0
	.set _ZN7rocprim17ROCPRIM_400000_NS6detail17trampoline_kernelINS0_14default_configENS1_25transform_config_selectorIaLb1EEEZNS1_14transform_implILb1ES3_S5_PKaPaNS0_8identityIaEEEE10hipError_tT2_T3_mT4_P12ihipStream_tbEUlT_E_NS1_11comp_targetILNS1_3genE10ELNS1_11target_archE1201ELNS1_3gpuE5ELNS1_3repE0EEENS1_30default_config_static_selectorELNS0_4arch9wavefront6targetE0EEEvT1_.private_seg_size, 0
	.set _ZN7rocprim17ROCPRIM_400000_NS6detail17trampoline_kernelINS0_14default_configENS1_25transform_config_selectorIaLb1EEEZNS1_14transform_implILb1ES3_S5_PKaPaNS0_8identityIaEEEE10hipError_tT2_T3_mT4_P12ihipStream_tbEUlT_E_NS1_11comp_targetILNS1_3genE10ELNS1_11target_archE1201ELNS1_3gpuE5ELNS1_3repE0EEENS1_30default_config_static_selectorELNS0_4arch9wavefront6targetE0EEEvT1_.uses_vcc, 0
	.set _ZN7rocprim17ROCPRIM_400000_NS6detail17trampoline_kernelINS0_14default_configENS1_25transform_config_selectorIaLb1EEEZNS1_14transform_implILb1ES3_S5_PKaPaNS0_8identityIaEEEE10hipError_tT2_T3_mT4_P12ihipStream_tbEUlT_E_NS1_11comp_targetILNS1_3genE10ELNS1_11target_archE1201ELNS1_3gpuE5ELNS1_3repE0EEENS1_30default_config_static_selectorELNS0_4arch9wavefront6targetE0EEEvT1_.uses_flat_scratch, 0
	.set _ZN7rocprim17ROCPRIM_400000_NS6detail17trampoline_kernelINS0_14default_configENS1_25transform_config_selectorIaLb1EEEZNS1_14transform_implILb1ES3_S5_PKaPaNS0_8identityIaEEEE10hipError_tT2_T3_mT4_P12ihipStream_tbEUlT_E_NS1_11comp_targetILNS1_3genE10ELNS1_11target_archE1201ELNS1_3gpuE5ELNS1_3repE0EEENS1_30default_config_static_selectorELNS0_4arch9wavefront6targetE0EEEvT1_.has_dyn_sized_stack, 0
	.set _ZN7rocprim17ROCPRIM_400000_NS6detail17trampoline_kernelINS0_14default_configENS1_25transform_config_selectorIaLb1EEEZNS1_14transform_implILb1ES3_S5_PKaPaNS0_8identityIaEEEE10hipError_tT2_T3_mT4_P12ihipStream_tbEUlT_E_NS1_11comp_targetILNS1_3genE10ELNS1_11target_archE1201ELNS1_3gpuE5ELNS1_3repE0EEENS1_30default_config_static_selectorELNS0_4arch9wavefront6targetE0EEEvT1_.has_recursion, 0
	.set _ZN7rocprim17ROCPRIM_400000_NS6detail17trampoline_kernelINS0_14default_configENS1_25transform_config_selectorIaLb1EEEZNS1_14transform_implILb1ES3_S5_PKaPaNS0_8identityIaEEEE10hipError_tT2_T3_mT4_P12ihipStream_tbEUlT_E_NS1_11comp_targetILNS1_3genE10ELNS1_11target_archE1201ELNS1_3gpuE5ELNS1_3repE0EEENS1_30default_config_static_selectorELNS0_4arch9wavefront6targetE0EEEvT1_.has_indirect_call, 0
	.section	.AMDGPU.csdata,"",@progbits
; Kernel info:
; codeLenInByte = 0
; TotalNumSgprs: 0
; NumVgprs: 0
; ScratchSize: 0
; MemoryBound: 0
; FloatMode: 240
; IeeeMode: 1
; LDSByteSize: 0 bytes/workgroup (compile time only)
; SGPRBlocks: 0
; VGPRBlocks: 0
; NumSGPRsForWavesPerEU: 1
; NumVGPRsForWavesPerEU: 1
; NamedBarCnt: 0
; Occupancy: 16
; WaveLimiterHint : 0
; COMPUTE_PGM_RSRC2:SCRATCH_EN: 0
; COMPUTE_PGM_RSRC2:USER_SGPR: 2
; COMPUTE_PGM_RSRC2:TRAP_HANDLER: 0
; COMPUTE_PGM_RSRC2:TGID_X_EN: 1
; COMPUTE_PGM_RSRC2:TGID_Y_EN: 0
; COMPUTE_PGM_RSRC2:TGID_Z_EN: 0
; COMPUTE_PGM_RSRC2:TIDIG_COMP_CNT: 0
	.section	.text._ZN7rocprim17ROCPRIM_400000_NS6detail17trampoline_kernelINS0_14default_configENS1_25transform_config_selectorIaLb1EEEZNS1_14transform_implILb1ES3_S5_PKaPaNS0_8identityIaEEEE10hipError_tT2_T3_mT4_P12ihipStream_tbEUlT_E_NS1_11comp_targetILNS1_3genE5ELNS1_11target_archE942ELNS1_3gpuE9ELNS1_3repE0EEENS1_30default_config_static_selectorELNS0_4arch9wavefront6targetE0EEEvT1_,"axG",@progbits,_ZN7rocprim17ROCPRIM_400000_NS6detail17trampoline_kernelINS0_14default_configENS1_25transform_config_selectorIaLb1EEEZNS1_14transform_implILb1ES3_S5_PKaPaNS0_8identityIaEEEE10hipError_tT2_T3_mT4_P12ihipStream_tbEUlT_E_NS1_11comp_targetILNS1_3genE5ELNS1_11target_archE942ELNS1_3gpuE9ELNS1_3repE0EEENS1_30default_config_static_selectorELNS0_4arch9wavefront6targetE0EEEvT1_,comdat
	.protected	_ZN7rocprim17ROCPRIM_400000_NS6detail17trampoline_kernelINS0_14default_configENS1_25transform_config_selectorIaLb1EEEZNS1_14transform_implILb1ES3_S5_PKaPaNS0_8identityIaEEEE10hipError_tT2_T3_mT4_P12ihipStream_tbEUlT_E_NS1_11comp_targetILNS1_3genE5ELNS1_11target_archE942ELNS1_3gpuE9ELNS1_3repE0EEENS1_30default_config_static_selectorELNS0_4arch9wavefront6targetE0EEEvT1_ ; -- Begin function _ZN7rocprim17ROCPRIM_400000_NS6detail17trampoline_kernelINS0_14default_configENS1_25transform_config_selectorIaLb1EEEZNS1_14transform_implILb1ES3_S5_PKaPaNS0_8identityIaEEEE10hipError_tT2_T3_mT4_P12ihipStream_tbEUlT_E_NS1_11comp_targetILNS1_3genE5ELNS1_11target_archE942ELNS1_3gpuE9ELNS1_3repE0EEENS1_30default_config_static_selectorELNS0_4arch9wavefront6targetE0EEEvT1_
	.globl	_ZN7rocprim17ROCPRIM_400000_NS6detail17trampoline_kernelINS0_14default_configENS1_25transform_config_selectorIaLb1EEEZNS1_14transform_implILb1ES3_S5_PKaPaNS0_8identityIaEEEE10hipError_tT2_T3_mT4_P12ihipStream_tbEUlT_E_NS1_11comp_targetILNS1_3genE5ELNS1_11target_archE942ELNS1_3gpuE9ELNS1_3repE0EEENS1_30default_config_static_selectorELNS0_4arch9wavefront6targetE0EEEvT1_
	.p2align	8
	.type	_ZN7rocprim17ROCPRIM_400000_NS6detail17trampoline_kernelINS0_14default_configENS1_25transform_config_selectorIaLb1EEEZNS1_14transform_implILb1ES3_S5_PKaPaNS0_8identityIaEEEE10hipError_tT2_T3_mT4_P12ihipStream_tbEUlT_E_NS1_11comp_targetILNS1_3genE5ELNS1_11target_archE942ELNS1_3gpuE9ELNS1_3repE0EEENS1_30default_config_static_selectorELNS0_4arch9wavefront6targetE0EEEvT1_,@function
_ZN7rocprim17ROCPRIM_400000_NS6detail17trampoline_kernelINS0_14default_configENS1_25transform_config_selectorIaLb1EEEZNS1_14transform_implILb1ES3_S5_PKaPaNS0_8identityIaEEEE10hipError_tT2_T3_mT4_P12ihipStream_tbEUlT_E_NS1_11comp_targetILNS1_3genE5ELNS1_11target_archE942ELNS1_3gpuE9ELNS1_3repE0EEENS1_30default_config_static_selectorELNS0_4arch9wavefront6targetE0EEEvT1_: ; @_ZN7rocprim17ROCPRIM_400000_NS6detail17trampoline_kernelINS0_14default_configENS1_25transform_config_selectorIaLb1EEEZNS1_14transform_implILb1ES3_S5_PKaPaNS0_8identityIaEEEE10hipError_tT2_T3_mT4_P12ihipStream_tbEUlT_E_NS1_11comp_targetILNS1_3genE5ELNS1_11target_archE942ELNS1_3gpuE9ELNS1_3repE0EEENS1_30default_config_static_selectorELNS0_4arch9wavefront6targetE0EEEvT1_
; %bb.0:
	.section	.rodata,"a",@progbits
	.p2align	6, 0x0
	.amdhsa_kernel _ZN7rocprim17ROCPRIM_400000_NS6detail17trampoline_kernelINS0_14default_configENS1_25transform_config_selectorIaLb1EEEZNS1_14transform_implILb1ES3_S5_PKaPaNS0_8identityIaEEEE10hipError_tT2_T3_mT4_P12ihipStream_tbEUlT_E_NS1_11comp_targetILNS1_3genE5ELNS1_11target_archE942ELNS1_3gpuE9ELNS1_3repE0EEENS1_30default_config_static_selectorELNS0_4arch9wavefront6targetE0EEEvT1_
		.amdhsa_group_segment_fixed_size 0
		.amdhsa_private_segment_fixed_size 0
		.amdhsa_kernarg_size 40
		.amdhsa_user_sgpr_count 2
		.amdhsa_user_sgpr_dispatch_ptr 0
		.amdhsa_user_sgpr_queue_ptr 0
		.amdhsa_user_sgpr_kernarg_segment_ptr 1
		.amdhsa_user_sgpr_dispatch_id 0
		.amdhsa_user_sgpr_kernarg_preload_length 0
		.amdhsa_user_sgpr_kernarg_preload_offset 0
		.amdhsa_user_sgpr_private_segment_size 0
		.amdhsa_wavefront_size32 1
		.amdhsa_uses_dynamic_stack 0
		.amdhsa_enable_private_segment 0
		.amdhsa_system_sgpr_workgroup_id_x 1
		.amdhsa_system_sgpr_workgroup_id_y 0
		.amdhsa_system_sgpr_workgroup_id_z 0
		.amdhsa_system_sgpr_workgroup_info 0
		.amdhsa_system_vgpr_workitem_id 0
		.amdhsa_next_free_vgpr 1
		.amdhsa_next_free_sgpr 1
		.amdhsa_named_barrier_count 0
		.amdhsa_reserve_vcc 0
		.amdhsa_float_round_mode_32 0
		.amdhsa_float_round_mode_16_64 0
		.amdhsa_float_denorm_mode_32 3
		.amdhsa_float_denorm_mode_16_64 3
		.amdhsa_fp16_overflow 0
		.amdhsa_memory_ordered 1
		.amdhsa_forward_progress 1
		.amdhsa_inst_pref_size 0
		.amdhsa_round_robin_scheduling 0
		.amdhsa_exception_fp_ieee_invalid_op 0
		.amdhsa_exception_fp_denorm_src 0
		.amdhsa_exception_fp_ieee_div_zero 0
		.amdhsa_exception_fp_ieee_overflow 0
		.amdhsa_exception_fp_ieee_underflow 0
		.amdhsa_exception_fp_ieee_inexact 0
		.amdhsa_exception_int_div_zero 0
	.end_amdhsa_kernel
	.section	.text._ZN7rocprim17ROCPRIM_400000_NS6detail17trampoline_kernelINS0_14default_configENS1_25transform_config_selectorIaLb1EEEZNS1_14transform_implILb1ES3_S5_PKaPaNS0_8identityIaEEEE10hipError_tT2_T3_mT4_P12ihipStream_tbEUlT_E_NS1_11comp_targetILNS1_3genE5ELNS1_11target_archE942ELNS1_3gpuE9ELNS1_3repE0EEENS1_30default_config_static_selectorELNS0_4arch9wavefront6targetE0EEEvT1_,"axG",@progbits,_ZN7rocprim17ROCPRIM_400000_NS6detail17trampoline_kernelINS0_14default_configENS1_25transform_config_selectorIaLb1EEEZNS1_14transform_implILb1ES3_S5_PKaPaNS0_8identityIaEEEE10hipError_tT2_T3_mT4_P12ihipStream_tbEUlT_E_NS1_11comp_targetILNS1_3genE5ELNS1_11target_archE942ELNS1_3gpuE9ELNS1_3repE0EEENS1_30default_config_static_selectorELNS0_4arch9wavefront6targetE0EEEvT1_,comdat
.Lfunc_end349:
	.size	_ZN7rocprim17ROCPRIM_400000_NS6detail17trampoline_kernelINS0_14default_configENS1_25transform_config_selectorIaLb1EEEZNS1_14transform_implILb1ES3_S5_PKaPaNS0_8identityIaEEEE10hipError_tT2_T3_mT4_P12ihipStream_tbEUlT_E_NS1_11comp_targetILNS1_3genE5ELNS1_11target_archE942ELNS1_3gpuE9ELNS1_3repE0EEENS1_30default_config_static_selectorELNS0_4arch9wavefront6targetE0EEEvT1_, .Lfunc_end349-_ZN7rocprim17ROCPRIM_400000_NS6detail17trampoline_kernelINS0_14default_configENS1_25transform_config_selectorIaLb1EEEZNS1_14transform_implILb1ES3_S5_PKaPaNS0_8identityIaEEEE10hipError_tT2_T3_mT4_P12ihipStream_tbEUlT_E_NS1_11comp_targetILNS1_3genE5ELNS1_11target_archE942ELNS1_3gpuE9ELNS1_3repE0EEENS1_30default_config_static_selectorELNS0_4arch9wavefront6targetE0EEEvT1_
                                        ; -- End function
	.set _ZN7rocprim17ROCPRIM_400000_NS6detail17trampoline_kernelINS0_14default_configENS1_25transform_config_selectorIaLb1EEEZNS1_14transform_implILb1ES3_S5_PKaPaNS0_8identityIaEEEE10hipError_tT2_T3_mT4_P12ihipStream_tbEUlT_E_NS1_11comp_targetILNS1_3genE5ELNS1_11target_archE942ELNS1_3gpuE9ELNS1_3repE0EEENS1_30default_config_static_selectorELNS0_4arch9wavefront6targetE0EEEvT1_.num_vgpr, 0
	.set _ZN7rocprim17ROCPRIM_400000_NS6detail17trampoline_kernelINS0_14default_configENS1_25transform_config_selectorIaLb1EEEZNS1_14transform_implILb1ES3_S5_PKaPaNS0_8identityIaEEEE10hipError_tT2_T3_mT4_P12ihipStream_tbEUlT_E_NS1_11comp_targetILNS1_3genE5ELNS1_11target_archE942ELNS1_3gpuE9ELNS1_3repE0EEENS1_30default_config_static_selectorELNS0_4arch9wavefront6targetE0EEEvT1_.num_agpr, 0
	.set _ZN7rocprim17ROCPRIM_400000_NS6detail17trampoline_kernelINS0_14default_configENS1_25transform_config_selectorIaLb1EEEZNS1_14transform_implILb1ES3_S5_PKaPaNS0_8identityIaEEEE10hipError_tT2_T3_mT4_P12ihipStream_tbEUlT_E_NS1_11comp_targetILNS1_3genE5ELNS1_11target_archE942ELNS1_3gpuE9ELNS1_3repE0EEENS1_30default_config_static_selectorELNS0_4arch9wavefront6targetE0EEEvT1_.numbered_sgpr, 0
	.set _ZN7rocprim17ROCPRIM_400000_NS6detail17trampoline_kernelINS0_14default_configENS1_25transform_config_selectorIaLb1EEEZNS1_14transform_implILb1ES3_S5_PKaPaNS0_8identityIaEEEE10hipError_tT2_T3_mT4_P12ihipStream_tbEUlT_E_NS1_11comp_targetILNS1_3genE5ELNS1_11target_archE942ELNS1_3gpuE9ELNS1_3repE0EEENS1_30default_config_static_selectorELNS0_4arch9wavefront6targetE0EEEvT1_.num_named_barrier, 0
	.set _ZN7rocprim17ROCPRIM_400000_NS6detail17trampoline_kernelINS0_14default_configENS1_25transform_config_selectorIaLb1EEEZNS1_14transform_implILb1ES3_S5_PKaPaNS0_8identityIaEEEE10hipError_tT2_T3_mT4_P12ihipStream_tbEUlT_E_NS1_11comp_targetILNS1_3genE5ELNS1_11target_archE942ELNS1_3gpuE9ELNS1_3repE0EEENS1_30default_config_static_selectorELNS0_4arch9wavefront6targetE0EEEvT1_.private_seg_size, 0
	.set _ZN7rocprim17ROCPRIM_400000_NS6detail17trampoline_kernelINS0_14default_configENS1_25transform_config_selectorIaLb1EEEZNS1_14transform_implILb1ES3_S5_PKaPaNS0_8identityIaEEEE10hipError_tT2_T3_mT4_P12ihipStream_tbEUlT_E_NS1_11comp_targetILNS1_3genE5ELNS1_11target_archE942ELNS1_3gpuE9ELNS1_3repE0EEENS1_30default_config_static_selectorELNS0_4arch9wavefront6targetE0EEEvT1_.uses_vcc, 0
	.set _ZN7rocprim17ROCPRIM_400000_NS6detail17trampoline_kernelINS0_14default_configENS1_25transform_config_selectorIaLb1EEEZNS1_14transform_implILb1ES3_S5_PKaPaNS0_8identityIaEEEE10hipError_tT2_T3_mT4_P12ihipStream_tbEUlT_E_NS1_11comp_targetILNS1_3genE5ELNS1_11target_archE942ELNS1_3gpuE9ELNS1_3repE0EEENS1_30default_config_static_selectorELNS0_4arch9wavefront6targetE0EEEvT1_.uses_flat_scratch, 0
	.set _ZN7rocprim17ROCPRIM_400000_NS6detail17trampoline_kernelINS0_14default_configENS1_25transform_config_selectorIaLb1EEEZNS1_14transform_implILb1ES3_S5_PKaPaNS0_8identityIaEEEE10hipError_tT2_T3_mT4_P12ihipStream_tbEUlT_E_NS1_11comp_targetILNS1_3genE5ELNS1_11target_archE942ELNS1_3gpuE9ELNS1_3repE0EEENS1_30default_config_static_selectorELNS0_4arch9wavefront6targetE0EEEvT1_.has_dyn_sized_stack, 0
	.set _ZN7rocprim17ROCPRIM_400000_NS6detail17trampoline_kernelINS0_14default_configENS1_25transform_config_selectorIaLb1EEEZNS1_14transform_implILb1ES3_S5_PKaPaNS0_8identityIaEEEE10hipError_tT2_T3_mT4_P12ihipStream_tbEUlT_E_NS1_11comp_targetILNS1_3genE5ELNS1_11target_archE942ELNS1_3gpuE9ELNS1_3repE0EEENS1_30default_config_static_selectorELNS0_4arch9wavefront6targetE0EEEvT1_.has_recursion, 0
	.set _ZN7rocprim17ROCPRIM_400000_NS6detail17trampoline_kernelINS0_14default_configENS1_25transform_config_selectorIaLb1EEEZNS1_14transform_implILb1ES3_S5_PKaPaNS0_8identityIaEEEE10hipError_tT2_T3_mT4_P12ihipStream_tbEUlT_E_NS1_11comp_targetILNS1_3genE5ELNS1_11target_archE942ELNS1_3gpuE9ELNS1_3repE0EEENS1_30default_config_static_selectorELNS0_4arch9wavefront6targetE0EEEvT1_.has_indirect_call, 0
	.section	.AMDGPU.csdata,"",@progbits
; Kernel info:
; codeLenInByte = 0
; TotalNumSgprs: 0
; NumVgprs: 0
; ScratchSize: 0
; MemoryBound: 0
; FloatMode: 240
; IeeeMode: 1
; LDSByteSize: 0 bytes/workgroup (compile time only)
; SGPRBlocks: 0
; VGPRBlocks: 0
; NumSGPRsForWavesPerEU: 1
; NumVGPRsForWavesPerEU: 1
; NamedBarCnt: 0
; Occupancy: 16
; WaveLimiterHint : 0
; COMPUTE_PGM_RSRC2:SCRATCH_EN: 0
; COMPUTE_PGM_RSRC2:USER_SGPR: 2
; COMPUTE_PGM_RSRC2:TRAP_HANDLER: 0
; COMPUTE_PGM_RSRC2:TGID_X_EN: 1
; COMPUTE_PGM_RSRC2:TGID_Y_EN: 0
; COMPUTE_PGM_RSRC2:TGID_Z_EN: 0
; COMPUTE_PGM_RSRC2:TIDIG_COMP_CNT: 0
	.section	.text._ZN7rocprim17ROCPRIM_400000_NS6detail17trampoline_kernelINS0_14default_configENS1_25transform_config_selectorIaLb1EEEZNS1_14transform_implILb1ES3_S5_PKaPaNS0_8identityIaEEEE10hipError_tT2_T3_mT4_P12ihipStream_tbEUlT_E_NS1_11comp_targetILNS1_3genE4ELNS1_11target_archE910ELNS1_3gpuE8ELNS1_3repE0EEENS1_30default_config_static_selectorELNS0_4arch9wavefront6targetE0EEEvT1_,"axG",@progbits,_ZN7rocprim17ROCPRIM_400000_NS6detail17trampoline_kernelINS0_14default_configENS1_25transform_config_selectorIaLb1EEEZNS1_14transform_implILb1ES3_S5_PKaPaNS0_8identityIaEEEE10hipError_tT2_T3_mT4_P12ihipStream_tbEUlT_E_NS1_11comp_targetILNS1_3genE4ELNS1_11target_archE910ELNS1_3gpuE8ELNS1_3repE0EEENS1_30default_config_static_selectorELNS0_4arch9wavefront6targetE0EEEvT1_,comdat
	.protected	_ZN7rocprim17ROCPRIM_400000_NS6detail17trampoline_kernelINS0_14default_configENS1_25transform_config_selectorIaLb1EEEZNS1_14transform_implILb1ES3_S5_PKaPaNS0_8identityIaEEEE10hipError_tT2_T3_mT4_P12ihipStream_tbEUlT_E_NS1_11comp_targetILNS1_3genE4ELNS1_11target_archE910ELNS1_3gpuE8ELNS1_3repE0EEENS1_30default_config_static_selectorELNS0_4arch9wavefront6targetE0EEEvT1_ ; -- Begin function _ZN7rocprim17ROCPRIM_400000_NS6detail17trampoline_kernelINS0_14default_configENS1_25transform_config_selectorIaLb1EEEZNS1_14transform_implILb1ES3_S5_PKaPaNS0_8identityIaEEEE10hipError_tT2_T3_mT4_P12ihipStream_tbEUlT_E_NS1_11comp_targetILNS1_3genE4ELNS1_11target_archE910ELNS1_3gpuE8ELNS1_3repE0EEENS1_30default_config_static_selectorELNS0_4arch9wavefront6targetE0EEEvT1_
	.globl	_ZN7rocprim17ROCPRIM_400000_NS6detail17trampoline_kernelINS0_14default_configENS1_25transform_config_selectorIaLb1EEEZNS1_14transform_implILb1ES3_S5_PKaPaNS0_8identityIaEEEE10hipError_tT2_T3_mT4_P12ihipStream_tbEUlT_E_NS1_11comp_targetILNS1_3genE4ELNS1_11target_archE910ELNS1_3gpuE8ELNS1_3repE0EEENS1_30default_config_static_selectorELNS0_4arch9wavefront6targetE0EEEvT1_
	.p2align	8
	.type	_ZN7rocprim17ROCPRIM_400000_NS6detail17trampoline_kernelINS0_14default_configENS1_25transform_config_selectorIaLb1EEEZNS1_14transform_implILb1ES3_S5_PKaPaNS0_8identityIaEEEE10hipError_tT2_T3_mT4_P12ihipStream_tbEUlT_E_NS1_11comp_targetILNS1_3genE4ELNS1_11target_archE910ELNS1_3gpuE8ELNS1_3repE0EEENS1_30default_config_static_selectorELNS0_4arch9wavefront6targetE0EEEvT1_,@function
_ZN7rocprim17ROCPRIM_400000_NS6detail17trampoline_kernelINS0_14default_configENS1_25transform_config_selectorIaLb1EEEZNS1_14transform_implILb1ES3_S5_PKaPaNS0_8identityIaEEEE10hipError_tT2_T3_mT4_P12ihipStream_tbEUlT_E_NS1_11comp_targetILNS1_3genE4ELNS1_11target_archE910ELNS1_3gpuE8ELNS1_3repE0EEENS1_30default_config_static_selectorELNS0_4arch9wavefront6targetE0EEEvT1_: ; @_ZN7rocprim17ROCPRIM_400000_NS6detail17trampoline_kernelINS0_14default_configENS1_25transform_config_selectorIaLb1EEEZNS1_14transform_implILb1ES3_S5_PKaPaNS0_8identityIaEEEE10hipError_tT2_T3_mT4_P12ihipStream_tbEUlT_E_NS1_11comp_targetILNS1_3genE4ELNS1_11target_archE910ELNS1_3gpuE8ELNS1_3repE0EEENS1_30default_config_static_selectorELNS0_4arch9wavefront6targetE0EEEvT1_
; %bb.0:
	.section	.rodata,"a",@progbits
	.p2align	6, 0x0
	.amdhsa_kernel _ZN7rocprim17ROCPRIM_400000_NS6detail17trampoline_kernelINS0_14default_configENS1_25transform_config_selectorIaLb1EEEZNS1_14transform_implILb1ES3_S5_PKaPaNS0_8identityIaEEEE10hipError_tT2_T3_mT4_P12ihipStream_tbEUlT_E_NS1_11comp_targetILNS1_3genE4ELNS1_11target_archE910ELNS1_3gpuE8ELNS1_3repE0EEENS1_30default_config_static_selectorELNS0_4arch9wavefront6targetE0EEEvT1_
		.amdhsa_group_segment_fixed_size 0
		.amdhsa_private_segment_fixed_size 0
		.amdhsa_kernarg_size 40
		.amdhsa_user_sgpr_count 2
		.amdhsa_user_sgpr_dispatch_ptr 0
		.amdhsa_user_sgpr_queue_ptr 0
		.amdhsa_user_sgpr_kernarg_segment_ptr 1
		.amdhsa_user_sgpr_dispatch_id 0
		.amdhsa_user_sgpr_kernarg_preload_length 0
		.amdhsa_user_sgpr_kernarg_preload_offset 0
		.amdhsa_user_sgpr_private_segment_size 0
		.amdhsa_wavefront_size32 1
		.amdhsa_uses_dynamic_stack 0
		.amdhsa_enable_private_segment 0
		.amdhsa_system_sgpr_workgroup_id_x 1
		.amdhsa_system_sgpr_workgroup_id_y 0
		.amdhsa_system_sgpr_workgroup_id_z 0
		.amdhsa_system_sgpr_workgroup_info 0
		.amdhsa_system_vgpr_workitem_id 0
		.amdhsa_next_free_vgpr 1
		.amdhsa_next_free_sgpr 1
		.amdhsa_named_barrier_count 0
		.amdhsa_reserve_vcc 0
		.amdhsa_float_round_mode_32 0
		.amdhsa_float_round_mode_16_64 0
		.amdhsa_float_denorm_mode_32 3
		.amdhsa_float_denorm_mode_16_64 3
		.amdhsa_fp16_overflow 0
		.amdhsa_memory_ordered 1
		.amdhsa_forward_progress 1
		.amdhsa_inst_pref_size 0
		.amdhsa_round_robin_scheduling 0
		.amdhsa_exception_fp_ieee_invalid_op 0
		.amdhsa_exception_fp_denorm_src 0
		.amdhsa_exception_fp_ieee_div_zero 0
		.amdhsa_exception_fp_ieee_overflow 0
		.amdhsa_exception_fp_ieee_underflow 0
		.amdhsa_exception_fp_ieee_inexact 0
		.amdhsa_exception_int_div_zero 0
	.end_amdhsa_kernel
	.section	.text._ZN7rocprim17ROCPRIM_400000_NS6detail17trampoline_kernelINS0_14default_configENS1_25transform_config_selectorIaLb1EEEZNS1_14transform_implILb1ES3_S5_PKaPaNS0_8identityIaEEEE10hipError_tT2_T3_mT4_P12ihipStream_tbEUlT_E_NS1_11comp_targetILNS1_3genE4ELNS1_11target_archE910ELNS1_3gpuE8ELNS1_3repE0EEENS1_30default_config_static_selectorELNS0_4arch9wavefront6targetE0EEEvT1_,"axG",@progbits,_ZN7rocprim17ROCPRIM_400000_NS6detail17trampoline_kernelINS0_14default_configENS1_25transform_config_selectorIaLb1EEEZNS1_14transform_implILb1ES3_S5_PKaPaNS0_8identityIaEEEE10hipError_tT2_T3_mT4_P12ihipStream_tbEUlT_E_NS1_11comp_targetILNS1_3genE4ELNS1_11target_archE910ELNS1_3gpuE8ELNS1_3repE0EEENS1_30default_config_static_selectorELNS0_4arch9wavefront6targetE0EEEvT1_,comdat
.Lfunc_end350:
	.size	_ZN7rocprim17ROCPRIM_400000_NS6detail17trampoline_kernelINS0_14default_configENS1_25transform_config_selectorIaLb1EEEZNS1_14transform_implILb1ES3_S5_PKaPaNS0_8identityIaEEEE10hipError_tT2_T3_mT4_P12ihipStream_tbEUlT_E_NS1_11comp_targetILNS1_3genE4ELNS1_11target_archE910ELNS1_3gpuE8ELNS1_3repE0EEENS1_30default_config_static_selectorELNS0_4arch9wavefront6targetE0EEEvT1_, .Lfunc_end350-_ZN7rocprim17ROCPRIM_400000_NS6detail17trampoline_kernelINS0_14default_configENS1_25transform_config_selectorIaLb1EEEZNS1_14transform_implILb1ES3_S5_PKaPaNS0_8identityIaEEEE10hipError_tT2_T3_mT4_P12ihipStream_tbEUlT_E_NS1_11comp_targetILNS1_3genE4ELNS1_11target_archE910ELNS1_3gpuE8ELNS1_3repE0EEENS1_30default_config_static_selectorELNS0_4arch9wavefront6targetE0EEEvT1_
                                        ; -- End function
	.set _ZN7rocprim17ROCPRIM_400000_NS6detail17trampoline_kernelINS0_14default_configENS1_25transform_config_selectorIaLb1EEEZNS1_14transform_implILb1ES3_S5_PKaPaNS0_8identityIaEEEE10hipError_tT2_T3_mT4_P12ihipStream_tbEUlT_E_NS1_11comp_targetILNS1_3genE4ELNS1_11target_archE910ELNS1_3gpuE8ELNS1_3repE0EEENS1_30default_config_static_selectorELNS0_4arch9wavefront6targetE0EEEvT1_.num_vgpr, 0
	.set _ZN7rocprim17ROCPRIM_400000_NS6detail17trampoline_kernelINS0_14default_configENS1_25transform_config_selectorIaLb1EEEZNS1_14transform_implILb1ES3_S5_PKaPaNS0_8identityIaEEEE10hipError_tT2_T3_mT4_P12ihipStream_tbEUlT_E_NS1_11comp_targetILNS1_3genE4ELNS1_11target_archE910ELNS1_3gpuE8ELNS1_3repE0EEENS1_30default_config_static_selectorELNS0_4arch9wavefront6targetE0EEEvT1_.num_agpr, 0
	.set _ZN7rocprim17ROCPRIM_400000_NS6detail17trampoline_kernelINS0_14default_configENS1_25transform_config_selectorIaLb1EEEZNS1_14transform_implILb1ES3_S5_PKaPaNS0_8identityIaEEEE10hipError_tT2_T3_mT4_P12ihipStream_tbEUlT_E_NS1_11comp_targetILNS1_3genE4ELNS1_11target_archE910ELNS1_3gpuE8ELNS1_3repE0EEENS1_30default_config_static_selectorELNS0_4arch9wavefront6targetE0EEEvT1_.numbered_sgpr, 0
	.set _ZN7rocprim17ROCPRIM_400000_NS6detail17trampoline_kernelINS0_14default_configENS1_25transform_config_selectorIaLb1EEEZNS1_14transform_implILb1ES3_S5_PKaPaNS0_8identityIaEEEE10hipError_tT2_T3_mT4_P12ihipStream_tbEUlT_E_NS1_11comp_targetILNS1_3genE4ELNS1_11target_archE910ELNS1_3gpuE8ELNS1_3repE0EEENS1_30default_config_static_selectorELNS0_4arch9wavefront6targetE0EEEvT1_.num_named_barrier, 0
	.set _ZN7rocprim17ROCPRIM_400000_NS6detail17trampoline_kernelINS0_14default_configENS1_25transform_config_selectorIaLb1EEEZNS1_14transform_implILb1ES3_S5_PKaPaNS0_8identityIaEEEE10hipError_tT2_T3_mT4_P12ihipStream_tbEUlT_E_NS1_11comp_targetILNS1_3genE4ELNS1_11target_archE910ELNS1_3gpuE8ELNS1_3repE0EEENS1_30default_config_static_selectorELNS0_4arch9wavefront6targetE0EEEvT1_.private_seg_size, 0
	.set _ZN7rocprim17ROCPRIM_400000_NS6detail17trampoline_kernelINS0_14default_configENS1_25transform_config_selectorIaLb1EEEZNS1_14transform_implILb1ES3_S5_PKaPaNS0_8identityIaEEEE10hipError_tT2_T3_mT4_P12ihipStream_tbEUlT_E_NS1_11comp_targetILNS1_3genE4ELNS1_11target_archE910ELNS1_3gpuE8ELNS1_3repE0EEENS1_30default_config_static_selectorELNS0_4arch9wavefront6targetE0EEEvT1_.uses_vcc, 0
	.set _ZN7rocprim17ROCPRIM_400000_NS6detail17trampoline_kernelINS0_14default_configENS1_25transform_config_selectorIaLb1EEEZNS1_14transform_implILb1ES3_S5_PKaPaNS0_8identityIaEEEE10hipError_tT2_T3_mT4_P12ihipStream_tbEUlT_E_NS1_11comp_targetILNS1_3genE4ELNS1_11target_archE910ELNS1_3gpuE8ELNS1_3repE0EEENS1_30default_config_static_selectorELNS0_4arch9wavefront6targetE0EEEvT1_.uses_flat_scratch, 0
	.set _ZN7rocprim17ROCPRIM_400000_NS6detail17trampoline_kernelINS0_14default_configENS1_25transform_config_selectorIaLb1EEEZNS1_14transform_implILb1ES3_S5_PKaPaNS0_8identityIaEEEE10hipError_tT2_T3_mT4_P12ihipStream_tbEUlT_E_NS1_11comp_targetILNS1_3genE4ELNS1_11target_archE910ELNS1_3gpuE8ELNS1_3repE0EEENS1_30default_config_static_selectorELNS0_4arch9wavefront6targetE0EEEvT1_.has_dyn_sized_stack, 0
	.set _ZN7rocprim17ROCPRIM_400000_NS6detail17trampoline_kernelINS0_14default_configENS1_25transform_config_selectorIaLb1EEEZNS1_14transform_implILb1ES3_S5_PKaPaNS0_8identityIaEEEE10hipError_tT2_T3_mT4_P12ihipStream_tbEUlT_E_NS1_11comp_targetILNS1_3genE4ELNS1_11target_archE910ELNS1_3gpuE8ELNS1_3repE0EEENS1_30default_config_static_selectorELNS0_4arch9wavefront6targetE0EEEvT1_.has_recursion, 0
	.set _ZN7rocprim17ROCPRIM_400000_NS6detail17trampoline_kernelINS0_14default_configENS1_25transform_config_selectorIaLb1EEEZNS1_14transform_implILb1ES3_S5_PKaPaNS0_8identityIaEEEE10hipError_tT2_T3_mT4_P12ihipStream_tbEUlT_E_NS1_11comp_targetILNS1_3genE4ELNS1_11target_archE910ELNS1_3gpuE8ELNS1_3repE0EEENS1_30default_config_static_selectorELNS0_4arch9wavefront6targetE0EEEvT1_.has_indirect_call, 0
	.section	.AMDGPU.csdata,"",@progbits
; Kernel info:
; codeLenInByte = 0
; TotalNumSgprs: 0
; NumVgprs: 0
; ScratchSize: 0
; MemoryBound: 0
; FloatMode: 240
; IeeeMode: 1
; LDSByteSize: 0 bytes/workgroup (compile time only)
; SGPRBlocks: 0
; VGPRBlocks: 0
; NumSGPRsForWavesPerEU: 1
; NumVGPRsForWavesPerEU: 1
; NamedBarCnt: 0
; Occupancy: 16
; WaveLimiterHint : 0
; COMPUTE_PGM_RSRC2:SCRATCH_EN: 0
; COMPUTE_PGM_RSRC2:USER_SGPR: 2
; COMPUTE_PGM_RSRC2:TRAP_HANDLER: 0
; COMPUTE_PGM_RSRC2:TGID_X_EN: 1
; COMPUTE_PGM_RSRC2:TGID_Y_EN: 0
; COMPUTE_PGM_RSRC2:TGID_Z_EN: 0
; COMPUTE_PGM_RSRC2:TIDIG_COMP_CNT: 0
	.section	.text._ZN7rocprim17ROCPRIM_400000_NS6detail17trampoline_kernelINS0_14default_configENS1_25transform_config_selectorIaLb1EEEZNS1_14transform_implILb1ES3_S5_PKaPaNS0_8identityIaEEEE10hipError_tT2_T3_mT4_P12ihipStream_tbEUlT_E_NS1_11comp_targetILNS1_3genE3ELNS1_11target_archE908ELNS1_3gpuE7ELNS1_3repE0EEENS1_30default_config_static_selectorELNS0_4arch9wavefront6targetE0EEEvT1_,"axG",@progbits,_ZN7rocprim17ROCPRIM_400000_NS6detail17trampoline_kernelINS0_14default_configENS1_25transform_config_selectorIaLb1EEEZNS1_14transform_implILb1ES3_S5_PKaPaNS0_8identityIaEEEE10hipError_tT2_T3_mT4_P12ihipStream_tbEUlT_E_NS1_11comp_targetILNS1_3genE3ELNS1_11target_archE908ELNS1_3gpuE7ELNS1_3repE0EEENS1_30default_config_static_selectorELNS0_4arch9wavefront6targetE0EEEvT1_,comdat
	.protected	_ZN7rocprim17ROCPRIM_400000_NS6detail17trampoline_kernelINS0_14default_configENS1_25transform_config_selectorIaLb1EEEZNS1_14transform_implILb1ES3_S5_PKaPaNS0_8identityIaEEEE10hipError_tT2_T3_mT4_P12ihipStream_tbEUlT_E_NS1_11comp_targetILNS1_3genE3ELNS1_11target_archE908ELNS1_3gpuE7ELNS1_3repE0EEENS1_30default_config_static_selectorELNS0_4arch9wavefront6targetE0EEEvT1_ ; -- Begin function _ZN7rocprim17ROCPRIM_400000_NS6detail17trampoline_kernelINS0_14default_configENS1_25transform_config_selectorIaLb1EEEZNS1_14transform_implILb1ES3_S5_PKaPaNS0_8identityIaEEEE10hipError_tT2_T3_mT4_P12ihipStream_tbEUlT_E_NS1_11comp_targetILNS1_3genE3ELNS1_11target_archE908ELNS1_3gpuE7ELNS1_3repE0EEENS1_30default_config_static_selectorELNS0_4arch9wavefront6targetE0EEEvT1_
	.globl	_ZN7rocprim17ROCPRIM_400000_NS6detail17trampoline_kernelINS0_14default_configENS1_25transform_config_selectorIaLb1EEEZNS1_14transform_implILb1ES3_S5_PKaPaNS0_8identityIaEEEE10hipError_tT2_T3_mT4_P12ihipStream_tbEUlT_E_NS1_11comp_targetILNS1_3genE3ELNS1_11target_archE908ELNS1_3gpuE7ELNS1_3repE0EEENS1_30default_config_static_selectorELNS0_4arch9wavefront6targetE0EEEvT1_
	.p2align	8
	.type	_ZN7rocprim17ROCPRIM_400000_NS6detail17trampoline_kernelINS0_14default_configENS1_25transform_config_selectorIaLb1EEEZNS1_14transform_implILb1ES3_S5_PKaPaNS0_8identityIaEEEE10hipError_tT2_T3_mT4_P12ihipStream_tbEUlT_E_NS1_11comp_targetILNS1_3genE3ELNS1_11target_archE908ELNS1_3gpuE7ELNS1_3repE0EEENS1_30default_config_static_selectorELNS0_4arch9wavefront6targetE0EEEvT1_,@function
_ZN7rocprim17ROCPRIM_400000_NS6detail17trampoline_kernelINS0_14default_configENS1_25transform_config_selectorIaLb1EEEZNS1_14transform_implILb1ES3_S5_PKaPaNS0_8identityIaEEEE10hipError_tT2_T3_mT4_P12ihipStream_tbEUlT_E_NS1_11comp_targetILNS1_3genE3ELNS1_11target_archE908ELNS1_3gpuE7ELNS1_3repE0EEENS1_30default_config_static_selectorELNS0_4arch9wavefront6targetE0EEEvT1_: ; @_ZN7rocprim17ROCPRIM_400000_NS6detail17trampoline_kernelINS0_14default_configENS1_25transform_config_selectorIaLb1EEEZNS1_14transform_implILb1ES3_S5_PKaPaNS0_8identityIaEEEE10hipError_tT2_T3_mT4_P12ihipStream_tbEUlT_E_NS1_11comp_targetILNS1_3genE3ELNS1_11target_archE908ELNS1_3gpuE7ELNS1_3repE0EEENS1_30default_config_static_selectorELNS0_4arch9wavefront6targetE0EEEvT1_
; %bb.0:
	.section	.rodata,"a",@progbits
	.p2align	6, 0x0
	.amdhsa_kernel _ZN7rocprim17ROCPRIM_400000_NS6detail17trampoline_kernelINS0_14default_configENS1_25transform_config_selectorIaLb1EEEZNS1_14transform_implILb1ES3_S5_PKaPaNS0_8identityIaEEEE10hipError_tT2_T3_mT4_P12ihipStream_tbEUlT_E_NS1_11comp_targetILNS1_3genE3ELNS1_11target_archE908ELNS1_3gpuE7ELNS1_3repE0EEENS1_30default_config_static_selectorELNS0_4arch9wavefront6targetE0EEEvT1_
		.amdhsa_group_segment_fixed_size 0
		.amdhsa_private_segment_fixed_size 0
		.amdhsa_kernarg_size 40
		.amdhsa_user_sgpr_count 2
		.amdhsa_user_sgpr_dispatch_ptr 0
		.amdhsa_user_sgpr_queue_ptr 0
		.amdhsa_user_sgpr_kernarg_segment_ptr 1
		.amdhsa_user_sgpr_dispatch_id 0
		.amdhsa_user_sgpr_kernarg_preload_length 0
		.amdhsa_user_sgpr_kernarg_preload_offset 0
		.amdhsa_user_sgpr_private_segment_size 0
		.amdhsa_wavefront_size32 1
		.amdhsa_uses_dynamic_stack 0
		.amdhsa_enable_private_segment 0
		.amdhsa_system_sgpr_workgroup_id_x 1
		.amdhsa_system_sgpr_workgroup_id_y 0
		.amdhsa_system_sgpr_workgroup_id_z 0
		.amdhsa_system_sgpr_workgroup_info 0
		.amdhsa_system_vgpr_workitem_id 0
		.amdhsa_next_free_vgpr 1
		.amdhsa_next_free_sgpr 1
		.amdhsa_named_barrier_count 0
		.amdhsa_reserve_vcc 0
		.amdhsa_float_round_mode_32 0
		.amdhsa_float_round_mode_16_64 0
		.amdhsa_float_denorm_mode_32 3
		.amdhsa_float_denorm_mode_16_64 3
		.amdhsa_fp16_overflow 0
		.amdhsa_memory_ordered 1
		.amdhsa_forward_progress 1
		.amdhsa_inst_pref_size 0
		.amdhsa_round_robin_scheduling 0
		.amdhsa_exception_fp_ieee_invalid_op 0
		.amdhsa_exception_fp_denorm_src 0
		.amdhsa_exception_fp_ieee_div_zero 0
		.amdhsa_exception_fp_ieee_overflow 0
		.amdhsa_exception_fp_ieee_underflow 0
		.amdhsa_exception_fp_ieee_inexact 0
		.amdhsa_exception_int_div_zero 0
	.end_amdhsa_kernel
	.section	.text._ZN7rocprim17ROCPRIM_400000_NS6detail17trampoline_kernelINS0_14default_configENS1_25transform_config_selectorIaLb1EEEZNS1_14transform_implILb1ES3_S5_PKaPaNS0_8identityIaEEEE10hipError_tT2_T3_mT4_P12ihipStream_tbEUlT_E_NS1_11comp_targetILNS1_3genE3ELNS1_11target_archE908ELNS1_3gpuE7ELNS1_3repE0EEENS1_30default_config_static_selectorELNS0_4arch9wavefront6targetE0EEEvT1_,"axG",@progbits,_ZN7rocprim17ROCPRIM_400000_NS6detail17trampoline_kernelINS0_14default_configENS1_25transform_config_selectorIaLb1EEEZNS1_14transform_implILb1ES3_S5_PKaPaNS0_8identityIaEEEE10hipError_tT2_T3_mT4_P12ihipStream_tbEUlT_E_NS1_11comp_targetILNS1_3genE3ELNS1_11target_archE908ELNS1_3gpuE7ELNS1_3repE0EEENS1_30default_config_static_selectorELNS0_4arch9wavefront6targetE0EEEvT1_,comdat
.Lfunc_end351:
	.size	_ZN7rocprim17ROCPRIM_400000_NS6detail17trampoline_kernelINS0_14default_configENS1_25transform_config_selectorIaLb1EEEZNS1_14transform_implILb1ES3_S5_PKaPaNS0_8identityIaEEEE10hipError_tT2_T3_mT4_P12ihipStream_tbEUlT_E_NS1_11comp_targetILNS1_3genE3ELNS1_11target_archE908ELNS1_3gpuE7ELNS1_3repE0EEENS1_30default_config_static_selectorELNS0_4arch9wavefront6targetE0EEEvT1_, .Lfunc_end351-_ZN7rocprim17ROCPRIM_400000_NS6detail17trampoline_kernelINS0_14default_configENS1_25transform_config_selectorIaLb1EEEZNS1_14transform_implILb1ES3_S5_PKaPaNS0_8identityIaEEEE10hipError_tT2_T3_mT4_P12ihipStream_tbEUlT_E_NS1_11comp_targetILNS1_3genE3ELNS1_11target_archE908ELNS1_3gpuE7ELNS1_3repE0EEENS1_30default_config_static_selectorELNS0_4arch9wavefront6targetE0EEEvT1_
                                        ; -- End function
	.set _ZN7rocprim17ROCPRIM_400000_NS6detail17trampoline_kernelINS0_14default_configENS1_25transform_config_selectorIaLb1EEEZNS1_14transform_implILb1ES3_S5_PKaPaNS0_8identityIaEEEE10hipError_tT2_T3_mT4_P12ihipStream_tbEUlT_E_NS1_11comp_targetILNS1_3genE3ELNS1_11target_archE908ELNS1_3gpuE7ELNS1_3repE0EEENS1_30default_config_static_selectorELNS0_4arch9wavefront6targetE0EEEvT1_.num_vgpr, 0
	.set _ZN7rocprim17ROCPRIM_400000_NS6detail17trampoline_kernelINS0_14default_configENS1_25transform_config_selectorIaLb1EEEZNS1_14transform_implILb1ES3_S5_PKaPaNS0_8identityIaEEEE10hipError_tT2_T3_mT4_P12ihipStream_tbEUlT_E_NS1_11comp_targetILNS1_3genE3ELNS1_11target_archE908ELNS1_3gpuE7ELNS1_3repE0EEENS1_30default_config_static_selectorELNS0_4arch9wavefront6targetE0EEEvT1_.num_agpr, 0
	.set _ZN7rocprim17ROCPRIM_400000_NS6detail17trampoline_kernelINS0_14default_configENS1_25transform_config_selectorIaLb1EEEZNS1_14transform_implILb1ES3_S5_PKaPaNS0_8identityIaEEEE10hipError_tT2_T3_mT4_P12ihipStream_tbEUlT_E_NS1_11comp_targetILNS1_3genE3ELNS1_11target_archE908ELNS1_3gpuE7ELNS1_3repE0EEENS1_30default_config_static_selectorELNS0_4arch9wavefront6targetE0EEEvT1_.numbered_sgpr, 0
	.set _ZN7rocprim17ROCPRIM_400000_NS6detail17trampoline_kernelINS0_14default_configENS1_25transform_config_selectorIaLb1EEEZNS1_14transform_implILb1ES3_S5_PKaPaNS0_8identityIaEEEE10hipError_tT2_T3_mT4_P12ihipStream_tbEUlT_E_NS1_11comp_targetILNS1_3genE3ELNS1_11target_archE908ELNS1_3gpuE7ELNS1_3repE0EEENS1_30default_config_static_selectorELNS0_4arch9wavefront6targetE0EEEvT1_.num_named_barrier, 0
	.set _ZN7rocprim17ROCPRIM_400000_NS6detail17trampoline_kernelINS0_14default_configENS1_25transform_config_selectorIaLb1EEEZNS1_14transform_implILb1ES3_S5_PKaPaNS0_8identityIaEEEE10hipError_tT2_T3_mT4_P12ihipStream_tbEUlT_E_NS1_11comp_targetILNS1_3genE3ELNS1_11target_archE908ELNS1_3gpuE7ELNS1_3repE0EEENS1_30default_config_static_selectorELNS0_4arch9wavefront6targetE0EEEvT1_.private_seg_size, 0
	.set _ZN7rocprim17ROCPRIM_400000_NS6detail17trampoline_kernelINS0_14default_configENS1_25transform_config_selectorIaLb1EEEZNS1_14transform_implILb1ES3_S5_PKaPaNS0_8identityIaEEEE10hipError_tT2_T3_mT4_P12ihipStream_tbEUlT_E_NS1_11comp_targetILNS1_3genE3ELNS1_11target_archE908ELNS1_3gpuE7ELNS1_3repE0EEENS1_30default_config_static_selectorELNS0_4arch9wavefront6targetE0EEEvT1_.uses_vcc, 0
	.set _ZN7rocprim17ROCPRIM_400000_NS6detail17trampoline_kernelINS0_14default_configENS1_25transform_config_selectorIaLb1EEEZNS1_14transform_implILb1ES3_S5_PKaPaNS0_8identityIaEEEE10hipError_tT2_T3_mT4_P12ihipStream_tbEUlT_E_NS1_11comp_targetILNS1_3genE3ELNS1_11target_archE908ELNS1_3gpuE7ELNS1_3repE0EEENS1_30default_config_static_selectorELNS0_4arch9wavefront6targetE0EEEvT1_.uses_flat_scratch, 0
	.set _ZN7rocprim17ROCPRIM_400000_NS6detail17trampoline_kernelINS0_14default_configENS1_25transform_config_selectorIaLb1EEEZNS1_14transform_implILb1ES3_S5_PKaPaNS0_8identityIaEEEE10hipError_tT2_T3_mT4_P12ihipStream_tbEUlT_E_NS1_11comp_targetILNS1_3genE3ELNS1_11target_archE908ELNS1_3gpuE7ELNS1_3repE0EEENS1_30default_config_static_selectorELNS0_4arch9wavefront6targetE0EEEvT1_.has_dyn_sized_stack, 0
	.set _ZN7rocprim17ROCPRIM_400000_NS6detail17trampoline_kernelINS0_14default_configENS1_25transform_config_selectorIaLb1EEEZNS1_14transform_implILb1ES3_S5_PKaPaNS0_8identityIaEEEE10hipError_tT2_T3_mT4_P12ihipStream_tbEUlT_E_NS1_11comp_targetILNS1_3genE3ELNS1_11target_archE908ELNS1_3gpuE7ELNS1_3repE0EEENS1_30default_config_static_selectorELNS0_4arch9wavefront6targetE0EEEvT1_.has_recursion, 0
	.set _ZN7rocprim17ROCPRIM_400000_NS6detail17trampoline_kernelINS0_14default_configENS1_25transform_config_selectorIaLb1EEEZNS1_14transform_implILb1ES3_S5_PKaPaNS0_8identityIaEEEE10hipError_tT2_T3_mT4_P12ihipStream_tbEUlT_E_NS1_11comp_targetILNS1_3genE3ELNS1_11target_archE908ELNS1_3gpuE7ELNS1_3repE0EEENS1_30default_config_static_selectorELNS0_4arch9wavefront6targetE0EEEvT1_.has_indirect_call, 0
	.section	.AMDGPU.csdata,"",@progbits
; Kernel info:
; codeLenInByte = 0
; TotalNumSgprs: 0
; NumVgprs: 0
; ScratchSize: 0
; MemoryBound: 0
; FloatMode: 240
; IeeeMode: 1
; LDSByteSize: 0 bytes/workgroup (compile time only)
; SGPRBlocks: 0
; VGPRBlocks: 0
; NumSGPRsForWavesPerEU: 1
; NumVGPRsForWavesPerEU: 1
; NamedBarCnt: 0
; Occupancy: 16
; WaveLimiterHint : 0
; COMPUTE_PGM_RSRC2:SCRATCH_EN: 0
; COMPUTE_PGM_RSRC2:USER_SGPR: 2
; COMPUTE_PGM_RSRC2:TRAP_HANDLER: 0
; COMPUTE_PGM_RSRC2:TGID_X_EN: 1
; COMPUTE_PGM_RSRC2:TGID_Y_EN: 0
; COMPUTE_PGM_RSRC2:TGID_Z_EN: 0
; COMPUTE_PGM_RSRC2:TIDIG_COMP_CNT: 0
	.section	.text._ZN7rocprim17ROCPRIM_400000_NS6detail17trampoline_kernelINS0_14default_configENS1_25transform_config_selectorIaLb1EEEZNS1_14transform_implILb1ES3_S5_PKaPaNS0_8identityIaEEEE10hipError_tT2_T3_mT4_P12ihipStream_tbEUlT_E_NS1_11comp_targetILNS1_3genE2ELNS1_11target_archE906ELNS1_3gpuE6ELNS1_3repE0EEENS1_30default_config_static_selectorELNS0_4arch9wavefront6targetE0EEEvT1_,"axG",@progbits,_ZN7rocprim17ROCPRIM_400000_NS6detail17trampoline_kernelINS0_14default_configENS1_25transform_config_selectorIaLb1EEEZNS1_14transform_implILb1ES3_S5_PKaPaNS0_8identityIaEEEE10hipError_tT2_T3_mT4_P12ihipStream_tbEUlT_E_NS1_11comp_targetILNS1_3genE2ELNS1_11target_archE906ELNS1_3gpuE6ELNS1_3repE0EEENS1_30default_config_static_selectorELNS0_4arch9wavefront6targetE0EEEvT1_,comdat
	.protected	_ZN7rocprim17ROCPRIM_400000_NS6detail17trampoline_kernelINS0_14default_configENS1_25transform_config_selectorIaLb1EEEZNS1_14transform_implILb1ES3_S5_PKaPaNS0_8identityIaEEEE10hipError_tT2_T3_mT4_P12ihipStream_tbEUlT_E_NS1_11comp_targetILNS1_3genE2ELNS1_11target_archE906ELNS1_3gpuE6ELNS1_3repE0EEENS1_30default_config_static_selectorELNS0_4arch9wavefront6targetE0EEEvT1_ ; -- Begin function _ZN7rocprim17ROCPRIM_400000_NS6detail17trampoline_kernelINS0_14default_configENS1_25transform_config_selectorIaLb1EEEZNS1_14transform_implILb1ES3_S5_PKaPaNS0_8identityIaEEEE10hipError_tT2_T3_mT4_P12ihipStream_tbEUlT_E_NS1_11comp_targetILNS1_3genE2ELNS1_11target_archE906ELNS1_3gpuE6ELNS1_3repE0EEENS1_30default_config_static_selectorELNS0_4arch9wavefront6targetE0EEEvT1_
	.globl	_ZN7rocprim17ROCPRIM_400000_NS6detail17trampoline_kernelINS0_14default_configENS1_25transform_config_selectorIaLb1EEEZNS1_14transform_implILb1ES3_S5_PKaPaNS0_8identityIaEEEE10hipError_tT2_T3_mT4_P12ihipStream_tbEUlT_E_NS1_11comp_targetILNS1_3genE2ELNS1_11target_archE906ELNS1_3gpuE6ELNS1_3repE0EEENS1_30default_config_static_selectorELNS0_4arch9wavefront6targetE0EEEvT1_
	.p2align	8
	.type	_ZN7rocprim17ROCPRIM_400000_NS6detail17trampoline_kernelINS0_14default_configENS1_25transform_config_selectorIaLb1EEEZNS1_14transform_implILb1ES3_S5_PKaPaNS0_8identityIaEEEE10hipError_tT2_T3_mT4_P12ihipStream_tbEUlT_E_NS1_11comp_targetILNS1_3genE2ELNS1_11target_archE906ELNS1_3gpuE6ELNS1_3repE0EEENS1_30default_config_static_selectorELNS0_4arch9wavefront6targetE0EEEvT1_,@function
_ZN7rocprim17ROCPRIM_400000_NS6detail17trampoline_kernelINS0_14default_configENS1_25transform_config_selectorIaLb1EEEZNS1_14transform_implILb1ES3_S5_PKaPaNS0_8identityIaEEEE10hipError_tT2_T3_mT4_P12ihipStream_tbEUlT_E_NS1_11comp_targetILNS1_3genE2ELNS1_11target_archE906ELNS1_3gpuE6ELNS1_3repE0EEENS1_30default_config_static_selectorELNS0_4arch9wavefront6targetE0EEEvT1_: ; @_ZN7rocprim17ROCPRIM_400000_NS6detail17trampoline_kernelINS0_14default_configENS1_25transform_config_selectorIaLb1EEEZNS1_14transform_implILb1ES3_S5_PKaPaNS0_8identityIaEEEE10hipError_tT2_T3_mT4_P12ihipStream_tbEUlT_E_NS1_11comp_targetILNS1_3genE2ELNS1_11target_archE906ELNS1_3gpuE6ELNS1_3repE0EEENS1_30default_config_static_selectorELNS0_4arch9wavefront6targetE0EEEvT1_
; %bb.0:
	.section	.rodata,"a",@progbits
	.p2align	6, 0x0
	.amdhsa_kernel _ZN7rocprim17ROCPRIM_400000_NS6detail17trampoline_kernelINS0_14default_configENS1_25transform_config_selectorIaLb1EEEZNS1_14transform_implILb1ES3_S5_PKaPaNS0_8identityIaEEEE10hipError_tT2_T3_mT4_P12ihipStream_tbEUlT_E_NS1_11comp_targetILNS1_3genE2ELNS1_11target_archE906ELNS1_3gpuE6ELNS1_3repE0EEENS1_30default_config_static_selectorELNS0_4arch9wavefront6targetE0EEEvT1_
		.amdhsa_group_segment_fixed_size 0
		.amdhsa_private_segment_fixed_size 0
		.amdhsa_kernarg_size 40
		.amdhsa_user_sgpr_count 2
		.amdhsa_user_sgpr_dispatch_ptr 0
		.amdhsa_user_sgpr_queue_ptr 0
		.amdhsa_user_sgpr_kernarg_segment_ptr 1
		.amdhsa_user_sgpr_dispatch_id 0
		.amdhsa_user_sgpr_kernarg_preload_length 0
		.amdhsa_user_sgpr_kernarg_preload_offset 0
		.amdhsa_user_sgpr_private_segment_size 0
		.amdhsa_wavefront_size32 1
		.amdhsa_uses_dynamic_stack 0
		.amdhsa_enable_private_segment 0
		.amdhsa_system_sgpr_workgroup_id_x 1
		.amdhsa_system_sgpr_workgroup_id_y 0
		.amdhsa_system_sgpr_workgroup_id_z 0
		.amdhsa_system_sgpr_workgroup_info 0
		.amdhsa_system_vgpr_workitem_id 0
		.amdhsa_next_free_vgpr 1
		.amdhsa_next_free_sgpr 1
		.amdhsa_named_barrier_count 0
		.amdhsa_reserve_vcc 0
		.amdhsa_float_round_mode_32 0
		.amdhsa_float_round_mode_16_64 0
		.amdhsa_float_denorm_mode_32 3
		.amdhsa_float_denorm_mode_16_64 3
		.amdhsa_fp16_overflow 0
		.amdhsa_memory_ordered 1
		.amdhsa_forward_progress 1
		.amdhsa_inst_pref_size 0
		.amdhsa_round_robin_scheduling 0
		.amdhsa_exception_fp_ieee_invalid_op 0
		.amdhsa_exception_fp_denorm_src 0
		.amdhsa_exception_fp_ieee_div_zero 0
		.amdhsa_exception_fp_ieee_overflow 0
		.amdhsa_exception_fp_ieee_underflow 0
		.amdhsa_exception_fp_ieee_inexact 0
		.amdhsa_exception_int_div_zero 0
	.end_amdhsa_kernel
	.section	.text._ZN7rocprim17ROCPRIM_400000_NS6detail17trampoline_kernelINS0_14default_configENS1_25transform_config_selectorIaLb1EEEZNS1_14transform_implILb1ES3_S5_PKaPaNS0_8identityIaEEEE10hipError_tT2_T3_mT4_P12ihipStream_tbEUlT_E_NS1_11comp_targetILNS1_3genE2ELNS1_11target_archE906ELNS1_3gpuE6ELNS1_3repE0EEENS1_30default_config_static_selectorELNS0_4arch9wavefront6targetE0EEEvT1_,"axG",@progbits,_ZN7rocprim17ROCPRIM_400000_NS6detail17trampoline_kernelINS0_14default_configENS1_25transform_config_selectorIaLb1EEEZNS1_14transform_implILb1ES3_S5_PKaPaNS0_8identityIaEEEE10hipError_tT2_T3_mT4_P12ihipStream_tbEUlT_E_NS1_11comp_targetILNS1_3genE2ELNS1_11target_archE906ELNS1_3gpuE6ELNS1_3repE0EEENS1_30default_config_static_selectorELNS0_4arch9wavefront6targetE0EEEvT1_,comdat
.Lfunc_end352:
	.size	_ZN7rocprim17ROCPRIM_400000_NS6detail17trampoline_kernelINS0_14default_configENS1_25transform_config_selectorIaLb1EEEZNS1_14transform_implILb1ES3_S5_PKaPaNS0_8identityIaEEEE10hipError_tT2_T3_mT4_P12ihipStream_tbEUlT_E_NS1_11comp_targetILNS1_3genE2ELNS1_11target_archE906ELNS1_3gpuE6ELNS1_3repE0EEENS1_30default_config_static_selectorELNS0_4arch9wavefront6targetE0EEEvT1_, .Lfunc_end352-_ZN7rocprim17ROCPRIM_400000_NS6detail17trampoline_kernelINS0_14default_configENS1_25transform_config_selectorIaLb1EEEZNS1_14transform_implILb1ES3_S5_PKaPaNS0_8identityIaEEEE10hipError_tT2_T3_mT4_P12ihipStream_tbEUlT_E_NS1_11comp_targetILNS1_3genE2ELNS1_11target_archE906ELNS1_3gpuE6ELNS1_3repE0EEENS1_30default_config_static_selectorELNS0_4arch9wavefront6targetE0EEEvT1_
                                        ; -- End function
	.set _ZN7rocprim17ROCPRIM_400000_NS6detail17trampoline_kernelINS0_14default_configENS1_25transform_config_selectorIaLb1EEEZNS1_14transform_implILb1ES3_S5_PKaPaNS0_8identityIaEEEE10hipError_tT2_T3_mT4_P12ihipStream_tbEUlT_E_NS1_11comp_targetILNS1_3genE2ELNS1_11target_archE906ELNS1_3gpuE6ELNS1_3repE0EEENS1_30default_config_static_selectorELNS0_4arch9wavefront6targetE0EEEvT1_.num_vgpr, 0
	.set _ZN7rocprim17ROCPRIM_400000_NS6detail17trampoline_kernelINS0_14default_configENS1_25transform_config_selectorIaLb1EEEZNS1_14transform_implILb1ES3_S5_PKaPaNS0_8identityIaEEEE10hipError_tT2_T3_mT4_P12ihipStream_tbEUlT_E_NS1_11comp_targetILNS1_3genE2ELNS1_11target_archE906ELNS1_3gpuE6ELNS1_3repE0EEENS1_30default_config_static_selectorELNS0_4arch9wavefront6targetE0EEEvT1_.num_agpr, 0
	.set _ZN7rocprim17ROCPRIM_400000_NS6detail17trampoline_kernelINS0_14default_configENS1_25transform_config_selectorIaLb1EEEZNS1_14transform_implILb1ES3_S5_PKaPaNS0_8identityIaEEEE10hipError_tT2_T3_mT4_P12ihipStream_tbEUlT_E_NS1_11comp_targetILNS1_3genE2ELNS1_11target_archE906ELNS1_3gpuE6ELNS1_3repE0EEENS1_30default_config_static_selectorELNS0_4arch9wavefront6targetE0EEEvT1_.numbered_sgpr, 0
	.set _ZN7rocprim17ROCPRIM_400000_NS6detail17trampoline_kernelINS0_14default_configENS1_25transform_config_selectorIaLb1EEEZNS1_14transform_implILb1ES3_S5_PKaPaNS0_8identityIaEEEE10hipError_tT2_T3_mT4_P12ihipStream_tbEUlT_E_NS1_11comp_targetILNS1_3genE2ELNS1_11target_archE906ELNS1_3gpuE6ELNS1_3repE0EEENS1_30default_config_static_selectorELNS0_4arch9wavefront6targetE0EEEvT1_.num_named_barrier, 0
	.set _ZN7rocprim17ROCPRIM_400000_NS6detail17trampoline_kernelINS0_14default_configENS1_25transform_config_selectorIaLb1EEEZNS1_14transform_implILb1ES3_S5_PKaPaNS0_8identityIaEEEE10hipError_tT2_T3_mT4_P12ihipStream_tbEUlT_E_NS1_11comp_targetILNS1_3genE2ELNS1_11target_archE906ELNS1_3gpuE6ELNS1_3repE0EEENS1_30default_config_static_selectorELNS0_4arch9wavefront6targetE0EEEvT1_.private_seg_size, 0
	.set _ZN7rocprim17ROCPRIM_400000_NS6detail17trampoline_kernelINS0_14default_configENS1_25transform_config_selectorIaLb1EEEZNS1_14transform_implILb1ES3_S5_PKaPaNS0_8identityIaEEEE10hipError_tT2_T3_mT4_P12ihipStream_tbEUlT_E_NS1_11comp_targetILNS1_3genE2ELNS1_11target_archE906ELNS1_3gpuE6ELNS1_3repE0EEENS1_30default_config_static_selectorELNS0_4arch9wavefront6targetE0EEEvT1_.uses_vcc, 0
	.set _ZN7rocprim17ROCPRIM_400000_NS6detail17trampoline_kernelINS0_14default_configENS1_25transform_config_selectorIaLb1EEEZNS1_14transform_implILb1ES3_S5_PKaPaNS0_8identityIaEEEE10hipError_tT2_T3_mT4_P12ihipStream_tbEUlT_E_NS1_11comp_targetILNS1_3genE2ELNS1_11target_archE906ELNS1_3gpuE6ELNS1_3repE0EEENS1_30default_config_static_selectorELNS0_4arch9wavefront6targetE0EEEvT1_.uses_flat_scratch, 0
	.set _ZN7rocprim17ROCPRIM_400000_NS6detail17trampoline_kernelINS0_14default_configENS1_25transform_config_selectorIaLb1EEEZNS1_14transform_implILb1ES3_S5_PKaPaNS0_8identityIaEEEE10hipError_tT2_T3_mT4_P12ihipStream_tbEUlT_E_NS1_11comp_targetILNS1_3genE2ELNS1_11target_archE906ELNS1_3gpuE6ELNS1_3repE0EEENS1_30default_config_static_selectorELNS0_4arch9wavefront6targetE0EEEvT1_.has_dyn_sized_stack, 0
	.set _ZN7rocprim17ROCPRIM_400000_NS6detail17trampoline_kernelINS0_14default_configENS1_25transform_config_selectorIaLb1EEEZNS1_14transform_implILb1ES3_S5_PKaPaNS0_8identityIaEEEE10hipError_tT2_T3_mT4_P12ihipStream_tbEUlT_E_NS1_11comp_targetILNS1_3genE2ELNS1_11target_archE906ELNS1_3gpuE6ELNS1_3repE0EEENS1_30default_config_static_selectorELNS0_4arch9wavefront6targetE0EEEvT1_.has_recursion, 0
	.set _ZN7rocprim17ROCPRIM_400000_NS6detail17trampoline_kernelINS0_14default_configENS1_25transform_config_selectorIaLb1EEEZNS1_14transform_implILb1ES3_S5_PKaPaNS0_8identityIaEEEE10hipError_tT2_T3_mT4_P12ihipStream_tbEUlT_E_NS1_11comp_targetILNS1_3genE2ELNS1_11target_archE906ELNS1_3gpuE6ELNS1_3repE0EEENS1_30default_config_static_selectorELNS0_4arch9wavefront6targetE0EEEvT1_.has_indirect_call, 0
	.section	.AMDGPU.csdata,"",@progbits
; Kernel info:
; codeLenInByte = 0
; TotalNumSgprs: 0
; NumVgprs: 0
; ScratchSize: 0
; MemoryBound: 0
; FloatMode: 240
; IeeeMode: 1
; LDSByteSize: 0 bytes/workgroup (compile time only)
; SGPRBlocks: 0
; VGPRBlocks: 0
; NumSGPRsForWavesPerEU: 1
; NumVGPRsForWavesPerEU: 1
; NamedBarCnt: 0
; Occupancy: 16
; WaveLimiterHint : 0
; COMPUTE_PGM_RSRC2:SCRATCH_EN: 0
; COMPUTE_PGM_RSRC2:USER_SGPR: 2
; COMPUTE_PGM_RSRC2:TRAP_HANDLER: 0
; COMPUTE_PGM_RSRC2:TGID_X_EN: 1
; COMPUTE_PGM_RSRC2:TGID_Y_EN: 0
; COMPUTE_PGM_RSRC2:TGID_Z_EN: 0
; COMPUTE_PGM_RSRC2:TIDIG_COMP_CNT: 0
	.section	.text._ZN7rocprim17ROCPRIM_400000_NS6detail17trampoline_kernelINS0_14default_configENS1_25transform_config_selectorIaLb1EEEZNS1_14transform_implILb1ES3_S5_PKaPaNS0_8identityIaEEEE10hipError_tT2_T3_mT4_P12ihipStream_tbEUlT_E_NS1_11comp_targetILNS1_3genE9ELNS1_11target_archE1100ELNS1_3gpuE3ELNS1_3repE0EEENS1_30default_config_static_selectorELNS0_4arch9wavefront6targetE0EEEvT1_,"axG",@progbits,_ZN7rocprim17ROCPRIM_400000_NS6detail17trampoline_kernelINS0_14default_configENS1_25transform_config_selectorIaLb1EEEZNS1_14transform_implILb1ES3_S5_PKaPaNS0_8identityIaEEEE10hipError_tT2_T3_mT4_P12ihipStream_tbEUlT_E_NS1_11comp_targetILNS1_3genE9ELNS1_11target_archE1100ELNS1_3gpuE3ELNS1_3repE0EEENS1_30default_config_static_selectorELNS0_4arch9wavefront6targetE0EEEvT1_,comdat
	.protected	_ZN7rocprim17ROCPRIM_400000_NS6detail17trampoline_kernelINS0_14default_configENS1_25transform_config_selectorIaLb1EEEZNS1_14transform_implILb1ES3_S5_PKaPaNS0_8identityIaEEEE10hipError_tT2_T3_mT4_P12ihipStream_tbEUlT_E_NS1_11comp_targetILNS1_3genE9ELNS1_11target_archE1100ELNS1_3gpuE3ELNS1_3repE0EEENS1_30default_config_static_selectorELNS0_4arch9wavefront6targetE0EEEvT1_ ; -- Begin function _ZN7rocprim17ROCPRIM_400000_NS6detail17trampoline_kernelINS0_14default_configENS1_25transform_config_selectorIaLb1EEEZNS1_14transform_implILb1ES3_S5_PKaPaNS0_8identityIaEEEE10hipError_tT2_T3_mT4_P12ihipStream_tbEUlT_E_NS1_11comp_targetILNS1_3genE9ELNS1_11target_archE1100ELNS1_3gpuE3ELNS1_3repE0EEENS1_30default_config_static_selectorELNS0_4arch9wavefront6targetE0EEEvT1_
	.globl	_ZN7rocprim17ROCPRIM_400000_NS6detail17trampoline_kernelINS0_14default_configENS1_25transform_config_selectorIaLb1EEEZNS1_14transform_implILb1ES3_S5_PKaPaNS0_8identityIaEEEE10hipError_tT2_T3_mT4_P12ihipStream_tbEUlT_E_NS1_11comp_targetILNS1_3genE9ELNS1_11target_archE1100ELNS1_3gpuE3ELNS1_3repE0EEENS1_30default_config_static_selectorELNS0_4arch9wavefront6targetE0EEEvT1_
	.p2align	8
	.type	_ZN7rocprim17ROCPRIM_400000_NS6detail17trampoline_kernelINS0_14default_configENS1_25transform_config_selectorIaLb1EEEZNS1_14transform_implILb1ES3_S5_PKaPaNS0_8identityIaEEEE10hipError_tT2_T3_mT4_P12ihipStream_tbEUlT_E_NS1_11comp_targetILNS1_3genE9ELNS1_11target_archE1100ELNS1_3gpuE3ELNS1_3repE0EEENS1_30default_config_static_selectorELNS0_4arch9wavefront6targetE0EEEvT1_,@function
_ZN7rocprim17ROCPRIM_400000_NS6detail17trampoline_kernelINS0_14default_configENS1_25transform_config_selectorIaLb1EEEZNS1_14transform_implILb1ES3_S5_PKaPaNS0_8identityIaEEEE10hipError_tT2_T3_mT4_P12ihipStream_tbEUlT_E_NS1_11comp_targetILNS1_3genE9ELNS1_11target_archE1100ELNS1_3gpuE3ELNS1_3repE0EEENS1_30default_config_static_selectorELNS0_4arch9wavefront6targetE0EEEvT1_: ; @_ZN7rocprim17ROCPRIM_400000_NS6detail17trampoline_kernelINS0_14default_configENS1_25transform_config_selectorIaLb1EEEZNS1_14transform_implILb1ES3_S5_PKaPaNS0_8identityIaEEEE10hipError_tT2_T3_mT4_P12ihipStream_tbEUlT_E_NS1_11comp_targetILNS1_3genE9ELNS1_11target_archE1100ELNS1_3gpuE3ELNS1_3repE0EEENS1_30default_config_static_selectorELNS0_4arch9wavefront6targetE0EEEvT1_
; %bb.0:
	.section	.rodata,"a",@progbits
	.p2align	6, 0x0
	.amdhsa_kernel _ZN7rocprim17ROCPRIM_400000_NS6detail17trampoline_kernelINS0_14default_configENS1_25transform_config_selectorIaLb1EEEZNS1_14transform_implILb1ES3_S5_PKaPaNS0_8identityIaEEEE10hipError_tT2_T3_mT4_P12ihipStream_tbEUlT_E_NS1_11comp_targetILNS1_3genE9ELNS1_11target_archE1100ELNS1_3gpuE3ELNS1_3repE0EEENS1_30default_config_static_selectorELNS0_4arch9wavefront6targetE0EEEvT1_
		.amdhsa_group_segment_fixed_size 0
		.amdhsa_private_segment_fixed_size 0
		.amdhsa_kernarg_size 40
		.amdhsa_user_sgpr_count 2
		.amdhsa_user_sgpr_dispatch_ptr 0
		.amdhsa_user_sgpr_queue_ptr 0
		.amdhsa_user_sgpr_kernarg_segment_ptr 1
		.amdhsa_user_sgpr_dispatch_id 0
		.amdhsa_user_sgpr_kernarg_preload_length 0
		.amdhsa_user_sgpr_kernarg_preload_offset 0
		.amdhsa_user_sgpr_private_segment_size 0
		.amdhsa_wavefront_size32 1
		.amdhsa_uses_dynamic_stack 0
		.amdhsa_enable_private_segment 0
		.amdhsa_system_sgpr_workgroup_id_x 1
		.amdhsa_system_sgpr_workgroup_id_y 0
		.amdhsa_system_sgpr_workgroup_id_z 0
		.amdhsa_system_sgpr_workgroup_info 0
		.amdhsa_system_vgpr_workitem_id 0
		.amdhsa_next_free_vgpr 1
		.amdhsa_next_free_sgpr 1
		.amdhsa_named_barrier_count 0
		.amdhsa_reserve_vcc 0
		.amdhsa_float_round_mode_32 0
		.amdhsa_float_round_mode_16_64 0
		.amdhsa_float_denorm_mode_32 3
		.amdhsa_float_denorm_mode_16_64 3
		.amdhsa_fp16_overflow 0
		.amdhsa_memory_ordered 1
		.amdhsa_forward_progress 1
		.amdhsa_inst_pref_size 0
		.amdhsa_round_robin_scheduling 0
		.amdhsa_exception_fp_ieee_invalid_op 0
		.amdhsa_exception_fp_denorm_src 0
		.amdhsa_exception_fp_ieee_div_zero 0
		.amdhsa_exception_fp_ieee_overflow 0
		.amdhsa_exception_fp_ieee_underflow 0
		.amdhsa_exception_fp_ieee_inexact 0
		.amdhsa_exception_int_div_zero 0
	.end_amdhsa_kernel
	.section	.text._ZN7rocprim17ROCPRIM_400000_NS6detail17trampoline_kernelINS0_14default_configENS1_25transform_config_selectorIaLb1EEEZNS1_14transform_implILb1ES3_S5_PKaPaNS0_8identityIaEEEE10hipError_tT2_T3_mT4_P12ihipStream_tbEUlT_E_NS1_11comp_targetILNS1_3genE9ELNS1_11target_archE1100ELNS1_3gpuE3ELNS1_3repE0EEENS1_30default_config_static_selectorELNS0_4arch9wavefront6targetE0EEEvT1_,"axG",@progbits,_ZN7rocprim17ROCPRIM_400000_NS6detail17trampoline_kernelINS0_14default_configENS1_25transform_config_selectorIaLb1EEEZNS1_14transform_implILb1ES3_S5_PKaPaNS0_8identityIaEEEE10hipError_tT2_T3_mT4_P12ihipStream_tbEUlT_E_NS1_11comp_targetILNS1_3genE9ELNS1_11target_archE1100ELNS1_3gpuE3ELNS1_3repE0EEENS1_30default_config_static_selectorELNS0_4arch9wavefront6targetE0EEEvT1_,comdat
.Lfunc_end353:
	.size	_ZN7rocprim17ROCPRIM_400000_NS6detail17trampoline_kernelINS0_14default_configENS1_25transform_config_selectorIaLb1EEEZNS1_14transform_implILb1ES3_S5_PKaPaNS0_8identityIaEEEE10hipError_tT2_T3_mT4_P12ihipStream_tbEUlT_E_NS1_11comp_targetILNS1_3genE9ELNS1_11target_archE1100ELNS1_3gpuE3ELNS1_3repE0EEENS1_30default_config_static_selectorELNS0_4arch9wavefront6targetE0EEEvT1_, .Lfunc_end353-_ZN7rocprim17ROCPRIM_400000_NS6detail17trampoline_kernelINS0_14default_configENS1_25transform_config_selectorIaLb1EEEZNS1_14transform_implILb1ES3_S5_PKaPaNS0_8identityIaEEEE10hipError_tT2_T3_mT4_P12ihipStream_tbEUlT_E_NS1_11comp_targetILNS1_3genE9ELNS1_11target_archE1100ELNS1_3gpuE3ELNS1_3repE0EEENS1_30default_config_static_selectorELNS0_4arch9wavefront6targetE0EEEvT1_
                                        ; -- End function
	.set _ZN7rocprim17ROCPRIM_400000_NS6detail17trampoline_kernelINS0_14default_configENS1_25transform_config_selectorIaLb1EEEZNS1_14transform_implILb1ES3_S5_PKaPaNS0_8identityIaEEEE10hipError_tT2_T3_mT4_P12ihipStream_tbEUlT_E_NS1_11comp_targetILNS1_3genE9ELNS1_11target_archE1100ELNS1_3gpuE3ELNS1_3repE0EEENS1_30default_config_static_selectorELNS0_4arch9wavefront6targetE0EEEvT1_.num_vgpr, 0
	.set _ZN7rocprim17ROCPRIM_400000_NS6detail17trampoline_kernelINS0_14default_configENS1_25transform_config_selectorIaLb1EEEZNS1_14transform_implILb1ES3_S5_PKaPaNS0_8identityIaEEEE10hipError_tT2_T3_mT4_P12ihipStream_tbEUlT_E_NS1_11comp_targetILNS1_3genE9ELNS1_11target_archE1100ELNS1_3gpuE3ELNS1_3repE0EEENS1_30default_config_static_selectorELNS0_4arch9wavefront6targetE0EEEvT1_.num_agpr, 0
	.set _ZN7rocprim17ROCPRIM_400000_NS6detail17trampoline_kernelINS0_14default_configENS1_25transform_config_selectorIaLb1EEEZNS1_14transform_implILb1ES3_S5_PKaPaNS0_8identityIaEEEE10hipError_tT2_T3_mT4_P12ihipStream_tbEUlT_E_NS1_11comp_targetILNS1_3genE9ELNS1_11target_archE1100ELNS1_3gpuE3ELNS1_3repE0EEENS1_30default_config_static_selectorELNS0_4arch9wavefront6targetE0EEEvT1_.numbered_sgpr, 0
	.set _ZN7rocprim17ROCPRIM_400000_NS6detail17trampoline_kernelINS0_14default_configENS1_25transform_config_selectorIaLb1EEEZNS1_14transform_implILb1ES3_S5_PKaPaNS0_8identityIaEEEE10hipError_tT2_T3_mT4_P12ihipStream_tbEUlT_E_NS1_11comp_targetILNS1_3genE9ELNS1_11target_archE1100ELNS1_3gpuE3ELNS1_3repE0EEENS1_30default_config_static_selectorELNS0_4arch9wavefront6targetE0EEEvT1_.num_named_barrier, 0
	.set _ZN7rocprim17ROCPRIM_400000_NS6detail17trampoline_kernelINS0_14default_configENS1_25transform_config_selectorIaLb1EEEZNS1_14transform_implILb1ES3_S5_PKaPaNS0_8identityIaEEEE10hipError_tT2_T3_mT4_P12ihipStream_tbEUlT_E_NS1_11comp_targetILNS1_3genE9ELNS1_11target_archE1100ELNS1_3gpuE3ELNS1_3repE0EEENS1_30default_config_static_selectorELNS0_4arch9wavefront6targetE0EEEvT1_.private_seg_size, 0
	.set _ZN7rocprim17ROCPRIM_400000_NS6detail17trampoline_kernelINS0_14default_configENS1_25transform_config_selectorIaLb1EEEZNS1_14transform_implILb1ES3_S5_PKaPaNS0_8identityIaEEEE10hipError_tT2_T3_mT4_P12ihipStream_tbEUlT_E_NS1_11comp_targetILNS1_3genE9ELNS1_11target_archE1100ELNS1_3gpuE3ELNS1_3repE0EEENS1_30default_config_static_selectorELNS0_4arch9wavefront6targetE0EEEvT1_.uses_vcc, 0
	.set _ZN7rocprim17ROCPRIM_400000_NS6detail17trampoline_kernelINS0_14default_configENS1_25transform_config_selectorIaLb1EEEZNS1_14transform_implILb1ES3_S5_PKaPaNS0_8identityIaEEEE10hipError_tT2_T3_mT4_P12ihipStream_tbEUlT_E_NS1_11comp_targetILNS1_3genE9ELNS1_11target_archE1100ELNS1_3gpuE3ELNS1_3repE0EEENS1_30default_config_static_selectorELNS0_4arch9wavefront6targetE0EEEvT1_.uses_flat_scratch, 0
	.set _ZN7rocprim17ROCPRIM_400000_NS6detail17trampoline_kernelINS0_14default_configENS1_25transform_config_selectorIaLb1EEEZNS1_14transform_implILb1ES3_S5_PKaPaNS0_8identityIaEEEE10hipError_tT2_T3_mT4_P12ihipStream_tbEUlT_E_NS1_11comp_targetILNS1_3genE9ELNS1_11target_archE1100ELNS1_3gpuE3ELNS1_3repE0EEENS1_30default_config_static_selectorELNS0_4arch9wavefront6targetE0EEEvT1_.has_dyn_sized_stack, 0
	.set _ZN7rocprim17ROCPRIM_400000_NS6detail17trampoline_kernelINS0_14default_configENS1_25transform_config_selectorIaLb1EEEZNS1_14transform_implILb1ES3_S5_PKaPaNS0_8identityIaEEEE10hipError_tT2_T3_mT4_P12ihipStream_tbEUlT_E_NS1_11comp_targetILNS1_3genE9ELNS1_11target_archE1100ELNS1_3gpuE3ELNS1_3repE0EEENS1_30default_config_static_selectorELNS0_4arch9wavefront6targetE0EEEvT1_.has_recursion, 0
	.set _ZN7rocprim17ROCPRIM_400000_NS6detail17trampoline_kernelINS0_14default_configENS1_25transform_config_selectorIaLb1EEEZNS1_14transform_implILb1ES3_S5_PKaPaNS0_8identityIaEEEE10hipError_tT2_T3_mT4_P12ihipStream_tbEUlT_E_NS1_11comp_targetILNS1_3genE9ELNS1_11target_archE1100ELNS1_3gpuE3ELNS1_3repE0EEENS1_30default_config_static_selectorELNS0_4arch9wavefront6targetE0EEEvT1_.has_indirect_call, 0
	.section	.AMDGPU.csdata,"",@progbits
; Kernel info:
; codeLenInByte = 0
; TotalNumSgprs: 0
; NumVgprs: 0
; ScratchSize: 0
; MemoryBound: 0
; FloatMode: 240
; IeeeMode: 1
; LDSByteSize: 0 bytes/workgroup (compile time only)
; SGPRBlocks: 0
; VGPRBlocks: 0
; NumSGPRsForWavesPerEU: 1
; NumVGPRsForWavesPerEU: 1
; NamedBarCnt: 0
; Occupancy: 16
; WaveLimiterHint : 0
; COMPUTE_PGM_RSRC2:SCRATCH_EN: 0
; COMPUTE_PGM_RSRC2:USER_SGPR: 2
; COMPUTE_PGM_RSRC2:TRAP_HANDLER: 0
; COMPUTE_PGM_RSRC2:TGID_X_EN: 1
; COMPUTE_PGM_RSRC2:TGID_Y_EN: 0
; COMPUTE_PGM_RSRC2:TGID_Z_EN: 0
; COMPUTE_PGM_RSRC2:TIDIG_COMP_CNT: 0
	.section	.text._ZN7rocprim17ROCPRIM_400000_NS6detail17trampoline_kernelINS0_14default_configENS1_25transform_config_selectorIaLb1EEEZNS1_14transform_implILb1ES3_S5_PKaPaNS0_8identityIaEEEE10hipError_tT2_T3_mT4_P12ihipStream_tbEUlT_E_NS1_11comp_targetILNS1_3genE8ELNS1_11target_archE1030ELNS1_3gpuE2ELNS1_3repE0EEENS1_30default_config_static_selectorELNS0_4arch9wavefront6targetE0EEEvT1_,"axG",@progbits,_ZN7rocprim17ROCPRIM_400000_NS6detail17trampoline_kernelINS0_14default_configENS1_25transform_config_selectorIaLb1EEEZNS1_14transform_implILb1ES3_S5_PKaPaNS0_8identityIaEEEE10hipError_tT2_T3_mT4_P12ihipStream_tbEUlT_E_NS1_11comp_targetILNS1_3genE8ELNS1_11target_archE1030ELNS1_3gpuE2ELNS1_3repE0EEENS1_30default_config_static_selectorELNS0_4arch9wavefront6targetE0EEEvT1_,comdat
	.protected	_ZN7rocprim17ROCPRIM_400000_NS6detail17trampoline_kernelINS0_14default_configENS1_25transform_config_selectorIaLb1EEEZNS1_14transform_implILb1ES3_S5_PKaPaNS0_8identityIaEEEE10hipError_tT2_T3_mT4_P12ihipStream_tbEUlT_E_NS1_11comp_targetILNS1_3genE8ELNS1_11target_archE1030ELNS1_3gpuE2ELNS1_3repE0EEENS1_30default_config_static_selectorELNS0_4arch9wavefront6targetE0EEEvT1_ ; -- Begin function _ZN7rocprim17ROCPRIM_400000_NS6detail17trampoline_kernelINS0_14default_configENS1_25transform_config_selectorIaLb1EEEZNS1_14transform_implILb1ES3_S5_PKaPaNS0_8identityIaEEEE10hipError_tT2_T3_mT4_P12ihipStream_tbEUlT_E_NS1_11comp_targetILNS1_3genE8ELNS1_11target_archE1030ELNS1_3gpuE2ELNS1_3repE0EEENS1_30default_config_static_selectorELNS0_4arch9wavefront6targetE0EEEvT1_
	.globl	_ZN7rocprim17ROCPRIM_400000_NS6detail17trampoline_kernelINS0_14default_configENS1_25transform_config_selectorIaLb1EEEZNS1_14transform_implILb1ES3_S5_PKaPaNS0_8identityIaEEEE10hipError_tT2_T3_mT4_P12ihipStream_tbEUlT_E_NS1_11comp_targetILNS1_3genE8ELNS1_11target_archE1030ELNS1_3gpuE2ELNS1_3repE0EEENS1_30default_config_static_selectorELNS0_4arch9wavefront6targetE0EEEvT1_
	.p2align	8
	.type	_ZN7rocprim17ROCPRIM_400000_NS6detail17trampoline_kernelINS0_14default_configENS1_25transform_config_selectorIaLb1EEEZNS1_14transform_implILb1ES3_S5_PKaPaNS0_8identityIaEEEE10hipError_tT2_T3_mT4_P12ihipStream_tbEUlT_E_NS1_11comp_targetILNS1_3genE8ELNS1_11target_archE1030ELNS1_3gpuE2ELNS1_3repE0EEENS1_30default_config_static_selectorELNS0_4arch9wavefront6targetE0EEEvT1_,@function
_ZN7rocprim17ROCPRIM_400000_NS6detail17trampoline_kernelINS0_14default_configENS1_25transform_config_selectorIaLb1EEEZNS1_14transform_implILb1ES3_S5_PKaPaNS0_8identityIaEEEE10hipError_tT2_T3_mT4_P12ihipStream_tbEUlT_E_NS1_11comp_targetILNS1_3genE8ELNS1_11target_archE1030ELNS1_3gpuE2ELNS1_3repE0EEENS1_30default_config_static_selectorELNS0_4arch9wavefront6targetE0EEEvT1_: ; @_ZN7rocprim17ROCPRIM_400000_NS6detail17trampoline_kernelINS0_14default_configENS1_25transform_config_selectorIaLb1EEEZNS1_14transform_implILb1ES3_S5_PKaPaNS0_8identityIaEEEE10hipError_tT2_T3_mT4_P12ihipStream_tbEUlT_E_NS1_11comp_targetILNS1_3genE8ELNS1_11target_archE1030ELNS1_3gpuE2ELNS1_3repE0EEENS1_30default_config_static_selectorELNS0_4arch9wavefront6targetE0EEEvT1_
; %bb.0:
	.section	.rodata,"a",@progbits
	.p2align	6, 0x0
	.amdhsa_kernel _ZN7rocprim17ROCPRIM_400000_NS6detail17trampoline_kernelINS0_14default_configENS1_25transform_config_selectorIaLb1EEEZNS1_14transform_implILb1ES3_S5_PKaPaNS0_8identityIaEEEE10hipError_tT2_T3_mT4_P12ihipStream_tbEUlT_E_NS1_11comp_targetILNS1_3genE8ELNS1_11target_archE1030ELNS1_3gpuE2ELNS1_3repE0EEENS1_30default_config_static_selectorELNS0_4arch9wavefront6targetE0EEEvT1_
		.amdhsa_group_segment_fixed_size 0
		.amdhsa_private_segment_fixed_size 0
		.amdhsa_kernarg_size 40
		.amdhsa_user_sgpr_count 2
		.amdhsa_user_sgpr_dispatch_ptr 0
		.amdhsa_user_sgpr_queue_ptr 0
		.amdhsa_user_sgpr_kernarg_segment_ptr 1
		.amdhsa_user_sgpr_dispatch_id 0
		.amdhsa_user_sgpr_kernarg_preload_length 0
		.amdhsa_user_sgpr_kernarg_preload_offset 0
		.amdhsa_user_sgpr_private_segment_size 0
		.amdhsa_wavefront_size32 1
		.amdhsa_uses_dynamic_stack 0
		.amdhsa_enable_private_segment 0
		.amdhsa_system_sgpr_workgroup_id_x 1
		.amdhsa_system_sgpr_workgroup_id_y 0
		.amdhsa_system_sgpr_workgroup_id_z 0
		.amdhsa_system_sgpr_workgroup_info 0
		.amdhsa_system_vgpr_workitem_id 0
		.amdhsa_next_free_vgpr 1
		.amdhsa_next_free_sgpr 1
		.amdhsa_named_barrier_count 0
		.amdhsa_reserve_vcc 0
		.amdhsa_float_round_mode_32 0
		.amdhsa_float_round_mode_16_64 0
		.amdhsa_float_denorm_mode_32 3
		.amdhsa_float_denorm_mode_16_64 3
		.amdhsa_fp16_overflow 0
		.amdhsa_memory_ordered 1
		.amdhsa_forward_progress 1
		.amdhsa_inst_pref_size 0
		.amdhsa_round_robin_scheduling 0
		.amdhsa_exception_fp_ieee_invalid_op 0
		.amdhsa_exception_fp_denorm_src 0
		.amdhsa_exception_fp_ieee_div_zero 0
		.amdhsa_exception_fp_ieee_overflow 0
		.amdhsa_exception_fp_ieee_underflow 0
		.amdhsa_exception_fp_ieee_inexact 0
		.amdhsa_exception_int_div_zero 0
	.end_amdhsa_kernel
	.section	.text._ZN7rocprim17ROCPRIM_400000_NS6detail17trampoline_kernelINS0_14default_configENS1_25transform_config_selectorIaLb1EEEZNS1_14transform_implILb1ES3_S5_PKaPaNS0_8identityIaEEEE10hipError_tT2_T3_mT4_P12ihipStream_tbEUlT_E_NS1_11comp_targetILNS1_3genE8ELNS1_11target_archE1030ELNS1_3gpuE2ELNS1_3repE0EEENS1_30default_config_static_selectorELNS0_4arch9wavefront6targetE0EEEvT1_,"axG",@progbits,_ZN7rocprim17ROCPRIM_400000_NS6detail17trampoline_kernelINS0_14default_configENS1_25transform_config_selectorIaLb1EEEZNS1_14transform_implILb1ES3_S5_PKaPaNS0_8identityIaEEEE10hipError_tT2_T3_mT4_P12ihipStream_tbEUlT_E_NS1_11comp_targetILNS1_3genE8ELNS1_11target_archE1030ELNS1_3gpuE2ELNS1_3repE0EEENS1_30default_config_static_selectorELNS0_4arch9wavefront6targetE0EEEvT1_,comdat
.Lfunc_end354:
	.size	_ZN7rocprim17ROCPRIM_400000_NS6detail17trampoline_kernelINS0_14default_configENS1_25transform_config_selectorIaLb1EEEZNS1_14transform_implILb1ES3_S5_PKaPaNS0_8identityIaEEEE10hipError_tT2_T3_mT4_P12ihipStream_tbEUlT_E_NS1_11comp_targetILNS1_3genE8ELNS1_11target_archE1030ELNS1_3gpuE2ELNS1_3repE0EEENS1_30default_config_static_selectorELNS0_4arch9wavefront6targetE0EEEvT1_, .Lfunc_end354-_ZN7rocprim17ROCPRIM_400000_NS6detail17trampoline_kernelINS0_14default_configENS1_25transform_config_selectorIaLb1EEEZNS1_14transform_implILb1ES3_S5_PKaPaNS0_8identityIaEEEE10hipError_tT2_T3_mT4_P12ihipStream_tbEUlT_E_NS1_11comp_targetILNS1_3genE8ELNS1_11target_archE1030ELNS1_3gpuE2ELNS1_3repE0EEENS1_30default_config_static_selectorELNS0_4arch9wavefront6targetE0EEEvT1_
                                        ; -- End function
	.set _ZN7rocprim17ROCPRIM_400000_NS6detail17trampoline_kernelINS0_14default_configENS1_25transform_config_selectorIaLb1EEEZNS1_14transform_implILb1ES3_S5_PKaPaNS0_8identityIaEEEE10hipError_tT2_T3_mT4_P12ihipStream_tbEUlT_E_NS1_11comp_targetILNS1_3genE8ELNS1_11target_archE1030ELNS1_3gpuE2ELNS1_3repE0EEENS1_30default_config_static_selectorELNS0_4arch9wavefront6targetE0EEEvT1_.num_vgpr, 0
	.set _ZN7rocprim17ROCPRIM_400000_NS6detail17trampoline_kernelINS0_14default_configENS1_25transform_config_selectorIaLb1EEEZNS1_14transform_implILb1ES3_S5_PKaPaNS0_8identityIaEEEE10hipError_tT2_T3_mT4_P12ihipStream_tbEUlT_E_NS1_11comp_targetILNS1_3genE8ELNS1_11target_archE1030ELNS1_3gpuE2ELNS1_3repE0EEENS1_30default_config_static_selectorELNS0_4arch9wavefront6targetE0EEEvT1_.num_agpr, 0
	.set _ZN7rocprim17ROCPRIM_400000_NS6detail17trampoline_kernelINS0_14default_configENS1_25transform_config_selectorIaLb1EEEZNS1_14transform_implILb1ES3_S5_PKaPaNS0_8identityIaEEEE10hipError_tT2_T3_mT4_P12ihipStream_tbEUlT_E_NS1_11comp_targetILNS1_3genE8ELNS1_11target_archE1030ELNS1_3gpuE2ELNS1_3repE0EEENS1_30default_config_static_selectorELNS0_4arch9wavefront6targetE0EEEvT1_.numbered_sgpr, 0
	.set _ZN7rocprim17ROCPRIM_400000_NS6detail17trampoline_kernelINS0_14default_configENS1_25transform_config_selectorIaLb1EEEZNS1_14transform_implILb1ES3_S5_PKaPaNS0_8identityIaEEEE10hipError_tT2_T3_mT4_P12ihipStream_tbEUlT_E_NS1_11comp_targetILNS1_3genE8ELNS1_11target_archE1030ELNS1_3gpuE2ELNS1_3repE0EEENS1_30default_config_static_selectorELNS0_4arch9wavefront6targetE0EEEvT1_.num_named_barrier, 0
	.set _ZN7rocprim17ROCPRIM_400000_NS6detail17trampoline_kernelINS0_14default_configENS1_25transform_config_selectorIaLb1EEEZNS1_14transform_implILb1ES3_S5_PKaPaNS0_8identityIaEEEE10hipError_tT2_T3_mT4_P12ihipStream_tbEUlT_E_NS1_11comp_targetILNS1_3genE8ELNS1_11target_archE1030ELNS1_3gpuE2ELNS1_3repE0EEENS1_30default_config_static_selectorELNS0_4arch9wavefront6targetE0EEEvT1_.private_seg_size, 0
	.set _ZN7rocprim17ROCPRIM_400000_NS6detail17trampoline_kernelINS0_14default_configENS1_25transform_config_selectorIaLb1EEEZNS1_14transform_implILb1ES3_S5_PKaPaNS0_8identityIaEEEE10hipError_tT2_T3_mT4_P12ihipStream_tbEUlT_E_NS1_11comp_targetILNS1_3genE8ELNS1_11target_archE1030ELNS1_3gpuE2ELNS1_3repE0EEENS1_30default_config_static_selectorELNS0_4arch9wavefront6targetE0EEEvT1_.uses_vcc, 0
	.set _ZN7rocprim17ROCPRIM_400000_NS6detail17trampoline_kernelINS0_14default_configENS1_25transform_config_selectorIaLb1EEEZNS1_14transform_implILb1ES3_S5_PKaPaNS0_8identityIaEEEE10hipError_tT2_T3_mT4_P12ihipStream_tbEUlT_E_NS1_11comp_targetILNS1_3genE8ELNS1_11target_archE1030ELNS1_3gpuE2ELNS1_3repE0EEENS1_30default_config_static_selectorELNS0_4arch9wavefront6targetE0EEEvT1_.uses_flat_scratch, 0
	.set _ZN7rocprim17ROCPRIM_400000_NS6detail17trampoline_kernelINS0_14default_configENS1_25transform_config_selectorIaLb1EEEZNS1_14transform_implILb1ES3_S5_PKaPaNS0_8identityIaEEEE10hipError_tT2_T3_mT4_P12ihipStream_tbEUlT_E_NS1_11comp_targetILNS1_3genE8ELNS1_11target_archE1030ELNS1_3gpuE2ELNS1_3repE0EEENS1_30default_config_static_selectorELNS0_4arch9wavefront6targetE0EEEvT1_.has_dyn_sized_stack, 0
	.set _ZN7rocprim17ROCPRIM_400000_NS6detail17trampoline_kernelINS0_14default_configENS1_25transform_config_selectorIaLb1EEEZNS1_14transform_implILb1ES3_S5_PKaPaNS0_8identityIaEEEE10hipError_tT2_T3_mT4_P12ihipStream_tbEUlT_E_NS1_11comp_targetILNS1_3genE8ELNS1_11target_archE1030ELNS1_3gpuE2ELNS1_3repE0EEENS1_30default_config_static_selectorELNS0_4arch9wavefront6targetE0EEEvT1_.has_recursion, 0
	.set _ZN7rocprim17ROCPRIM_400000_NS6detail17trampoline_kernelINS0_14default_configENS1_25transform_config_selectorIaLb1EEEZNS1_14transform_implILb1ES3_S5_PKaPaNS0_8identityIaEEEE10hipError_tT2_T3_mT4_P12ihipStream_tbEUlT_E_NS1_11comp_targetILNS1_3genE8ELNS1_11target_archE1030ELNS1_3gpuE2ELNS1_3repE0EEENS1_30default_config_static_selectorELNS0_4arch9wavefront6targetE0EEEvT1_.has_indirect_call, 0
	.section	.AMDGPU.csdata,"",@progbits
; Kernel info:
; codeLenInByte = 0
; TotalNumSgprs: 0
; NumVgprs: 0
; ScratchSize: 0
; MemoryBound: 0
; FloatMode: 240
; IeeeMode: 1
; LDSByteSize: 0 bytes/workgroup (compile time only)
; SGPRBlocks: 0
; VGPRBlocks: 0
; NumSGPRsForWavesPerEU: 1
; NumVGPRsForWavesPerEU: 1
; NamedBarCnt: 0
; Occupancy: 16
; WaveLimiterHint : 0
; COMPUTE_PGM_RSRC2:SCRATCH_EN: 0
; COMPUTE_PGM_RSRC2:USER_SGPR: 2
; COMPUTE_PGM_RSRC2:TRAP_HANDLER: 0
; COMPUTE_PGM_RSRC2:TGID_X_EN: 1
; COMPUTE_PGM_RSRC2:TGID_Y_EN: 0
; COMPUTE_PGM_RSRC2:TGID_Z_EN: 0
; COMPUTE_PGM_RSRC2:TIDIG_COMP_CNT: 0
	.section	.text._ZN7rocprim17ROCPRIM_400000_NS6detail17trampoline_kernelINS0_14default_configENS1_35radix_sort_onesweep_config_selectorIaNS0_10empty_typeEEEZZNS1_29radix_sort_onesweep_iterationIS3_Lb1EPKaPaPS5_SB_mNS0_19identity_decomposerENS1_16block_id_wrapperIjLb1EEEEE10hipError_tT1_PNSt15iterator_traitsISG_E10value_typeET2_T3_PNSH_ISM_E10value_typeET4_T5_PSR_SS_PNS1_23onesweep_lookback_stateEbbT6_jjT7_P12ihipStream_tbENKUlT_T0_SG_SL_E_clIS9_SA_SB_SB_EEDaSZ_S10_SG_SL_EUlSZ_E_NS1_11comp_targetILNS1_3genE0ELNS1_11target_archE4294967295ELNS1_3gpuE0ELNS1_3repE0EEENS1_47radix_sort_onesweep_sort_config_static_selectorELNS0_4arch9wavefront6targetE0EEEvSG_,"axG",@progbits,_ZN7rocprim17ROCPRIM_400000_NS6detail17trampoline_kernelINS0_14default_configENS1_35radix_sort_onesweep_config_selectorIaNS0_10empty_typeEEEZZNS1_29radix_sort_onesweep_iterationIS3_Lb1EPKaPaPS5_SB_mNS0_19identity_decomposerENS1_16block_id_wrapperIjLb1EEEEE10hipError_tT1_PNSt15iterator_traitsISG_E10value_typeET2_T3_PNSH_ISM_E10value_typeET4_T5_PSR_SS_PNS1_23onesweep_lookback_stateEbbT6_jjT7_P12ihipStream_tbENKUlT_T0_SG_SL_E_clIS9_SA_SB_SB_EEDaSZ_S10_SG_SL_EUlSZ_E_NS1_11comp_targetILNS1_3genE0ELNS1_11target_archE4294967295ELNS1_3gpuE0ELNS1_3repE0EEENS1_47radix_sort_onesweep_sort_config_static_selectorELNS0_4arch9wavefront6targetE0EEEvSG_,comdat
	.protected	_ZN7rocprim17ROCPRIM_400000_NS6detail17trampoline_kernelINS0_14default_configENS1_35radix_sort_onesweep_config_selectorIaNS0_10empty_typeEEEZZNS1_29radix_sort_onesweep_iterationIS3_Lb1EPKaPaPS5_SB_mNS0_19identity_decomposerENS1_16block_id_wrapperIjLb1EEEEE10hipError_tT1_PNSt15iterator_traitsISG_E10value_typeET2_T3_PNSH_ISM_E10value_typeET4_T5_PSR_SS_PNS1_23onesweep_lookback_stateEbbT6_jjT7_P12ihipStream_tbENKUlT_T0_SG_SL_E_clIS9_SA_SB_SB_EEDaSZ_S10_SG_SL_EUlSZ_E_NS1_11comp_targetILNS1_3genE0ELNS1_11target_archE4294967295ELNS1_3gpuE0ELNS1_3repE0EEENS1_47radix_sort_onesweep_sort_config_static_selectorELNS0_4arch9wavefront6targetE0EEEvSG_ ; -- Begin function _ZN7rocprim17ROCPRIM_400000_NS6detail17trampoline_kernelINS0_14default_configENS1_35radix_sort_onesweep_config_selectorIaNS0_10empty_typeEEEZZNS1_29radix_sort_onesweep_iterationIS3_Lb1EPKaPaPS5_SB_mNS0_19identity_decomposerENS1_16block_id_wrapperIjLb1EEEEE10hipError_tT1_PNSt15iterator_traitsISG_E10value_typeET2_T3_PNSH_ISM_E10value_typeET4_T5_PSR_SS_PNS1_23onesweep_lookback_stateEbbT6_jjT7_P12ihipStream_tbENKUlT_T0_SG_SL_E_clIS9_SA_SB_SB_EEDaSZ_S10_SG_SL_EUlSZ_E_NS1_11comp_targetILNS1_3genE0ELNS1_11target_archE4294967295ELNS1_3gpuE0ELNS1_3repE0EEENS1_47radix_sort_onesweep_sort_config_static_selectorELNS0_4arch9wavefront6targetE0EEEvSG_
	.globl	_ZN7rocprim17ROCPRIM_400000_NS6detail17trampoline_kernelINS0_14default_configENS1_35radix_sort_onesweep_config_selectorIaNS0_10empty_typeEEEZZNS1_29radix_sort_onesweep_iterationIS3_Lb1EPKaPaPS5_SB_mNS0_19identity_decomposerENS1_16block_id_wrapperIjLb1EEEEE10hipError_tT1_PNSt15iterator_traitsISG_E10value_typeET2_T3_PNSH_ISM_E10value_typeET4_T5_PSR_SS_PNS1_23onesweep_lookback_stateEbbT6_jjT7_P12ihipStream_tbENKUlT_T0_SG_SL_E_clIS9_SA_SB_SB_EEDaSZ_S10_SG_SL_EUlSZ_E_NS1_11comp_targetILNS1_3genE0ELNS1_11target_archE4294967295ELNS1_3gpuE0ELNS1_3repE0EEENS1_47radix_sort_onesweep_sort_config_static_selectorELNS0_4arch9wavefront6targetE0EEEvSG_
	.p2align	8
	.type	_ZN7rocprim17ROCPRIM_400000_NS6detail17trampoline_kernelINS0_14default_configENS1_35radix_sort_onesweep_config_selectorIaNS0_10empty_typeEEEZZNS1_29radix_sort_onesweep_iterationIS3_Lb1EPKaPaPS5_SB_mNS0_19identity_decomposerENS1_16block_id_wrapperIjLb1EEEEE10hipError_tT1_PNSt15iterator_traitsISG_E10value_typeET2_T3_PNSH_ISM_E10value_typeET4_T5_PSR_SS_PNS1_23onesweep_lookback_stateEbbT6_jjT7_P12ihipStream_tbENKUlT_T0_SG_SL_E_clIS9_SA_SB_SB_EEDaSZ_S10_SG_SL_EUlSZ_E_NS1_11comp_targetILNS1_3genE0ELNS1_11target_archE4294967295ELNS1_3gpuE0ELNS1_3repE0EEENS1_47radix_sort_onesweep_sort_config_static_selectorELNS0_4arch9wavefront6targetE0EEEvSG_,@function
_ZN7rocprim17ROCPRIM_400000_NS6detail17trampoline_kernelINS0_14default_configENS1_35radix_sort_onesweep_config_selectorIaNS0_10empty_typeEEEZZNS1_29radix_sort_onesweep_iterationIS3_Lb1EPKaPaPS5_SB_mNS0_19identity_decomposerENS1_16block_id_wrapperIjLb1EEEEE10hipError_tT1_PNSt15iterator_traitsISG_E10value_typeET2_T3_PNSH_ISM_E10value_typeET4_T5_PSR_SS_PNS1_23onesweep_lookback_stateEbbT6_jjT7_P12ihipStream_tbENKUlT_T0_SG_SL_E_clIS9_SA_SB_SB_EEDaSZ_S10_SG_SL_EUlSZ_E_NS1_11comp_targetILNS1_3genE0ELNS1_11target_archE4294967295ELNS1_3gpuE0ELNS1_3repE0EEENS1_47radix_sort_onesweep_sort_config_static_selectorELNS0_4arch9wavefront6targetE0EEEvSG_: ; @_ZN7rocprim17ROCPRIM_400000_NS6detail17trampoline_kernelINS0_14default_configENS1_35radix_sort_onesweep_config_selectorIaNS0_10empty_typeEEEZZNS1_29radix_sort_onesweep_iterationIS3_Lb1EPKaPaPS5_SB_mNS0_19identity_decomposerENS1_16block_id_wrapperIjLb1EEEEE10hipError_tT1_PNSt15iterator_traitsISG_E10value_typeET2_T3_PNSH_ISM_E10value_typeET4_T5_PSR_SS_PNS1_23onesweep_lookback_stateEbbT6_jjT7_P12ihipStream_tbENKUlT_T0_SG_SL_E_clIS9_SA_SB_SB_EEDaSZ_S10_SG_SL_EUlSZ_E_NS1_11comp_targetILNS1_3genE0ELNS1_11target_archE4294967295ELNS1_3gpuE0ELNS1_3repE0EEENS1_47radix_sort_onesweep_sort_config_static_selectorELNS0_4arch9wavefront6targetE0EEEvSG_
; %bb.0:
	s_clause 0x1
	s_load_b128 s[8:11], s[0:1], 0x28
	s_load_b64 s[20:21], s[0:1], 0x38
	s_mov_b32 s2, exec_lo
	v_cmpx_eq_u32_e32 0, v0
	s_cbranch_execz .LBB355_4
; %bb.1:
	s_mov_b32 s4, exec_lo
	s_mov_b32 s3, exec_lo
	v_mbcnt_lo_u32_b32 v1, s4, 0
                                        ; implicit-def: $vgpr2
	s_delay_alu instid0(VALU_DEP_1)
	v_cmpx_eq_u32_e32 0, v1
	s_cbranch_execz .LBB355_3
; %bb.2:
	s_load_b64 s[6:7], s[0:1], 0x50
	s_bcnt1_i32_b32 s4, s4
	s_delay_alu instid0(SALU_CYCLE_1)
	v_dual_mov_b32 v2, 0 :: v_dual_mov_b32 v3, s4
	s_wait_xcnt 0x0
	s_wait_kmcnt 0x0
	global_atomic_add_u32 v2, v2, v3, s[6:7] th:TH_ATOMIC_RETURN scope:SCOPE_DEV
.LBB355_3:
	s_wait_xcnt 0x0
	s_or_b32 exec_lo, exec_lo, s3
	s_wait_loadcnt 0x0
	v_readfirstlane_b32 s3, v2
	s_delay_alu instid0(VALU_DEP_1)
	v_dual_mov_b32 v2, 0 :: v_dual_add_nc_u32 v1, s3, v1
	ds_store_b32 v2, v1 offset:32896
.LBB355_4:
	s_or_b32 exec_lo, exec_lo, s2
	v_mov_b32_e32 v7, 0
	s_clause 0x2
	s_load_b128 s[12:15], s[0:1], 0x0
	s_load_b32 s2, s[0:1], 0x20
	s_load_b96 s[16:18], s[0:1], 0x44
	s_wait_dscnt 0x0
	s_barrier_signal -1
	s_barrier_wait -1
	ds_load_b32 v1, v7 offset:32896
	v_mul_u32_u24_e32 v6, 22, v0
	s_mov_b32 s3, -1
	s_wait_dscnt 0x0
	s_barrier_signal -1
	s_barrier_wait -1
	v_readfirstlane_b32 s19, v1
	s_wait_kmcnt 0x0
	v_cmp_le_u32_e32 vcc_lo, s18, v1
	s_mul_i32 s22, s19, 0x5800
	s_cbranch_vccz .LBB355_116
; %bb.5:
	s_mov_b32 s23, 0
	s_mulk_i32 s18, 0xa800
	s_add_nc_u64 s[4:5], s[12:13], s[22:23]
	s_add_co_i32 s18, s18, s2
	v_add_nc_u64_e32 v[2:3], s[4:5], v[6:7]
	v_cmp_gt_u32_e32 vcc_lo, s18, v6
	v_dual_mov_b32 v1, 0x80 :: v_dual_mov_b32 v24, 0x80
	v_dual_mov_b32 v25, 0x80 :: v_dual_mov_b32 v22, 0x80
	;; [unrolled: 1-line block ×10, first 2 shown]
	v_mov_b32_e32 v7, 0x80
	v_mov_b32_e32 v5, 0x80
	s_and_saveexec_b32 s2, vcc_lo
	s_cbranch_execz .LBB355_7
; %bb.6:
	global_load_u8 v25, v[2:3], off
	v_dual_mov_b32 v1, 0x80 :: v_dual_mov_b32 v24, 0x80
	v_dual_mov_b32 v23, 0x80 :: v_dual_mov_b32 v22, 0x80
	;; [unrolled: 1-line block ×10, first 2 shown]
	v_mov_b32_e32 v5, 0x80
.LBB355_7:
	s_wait_xcnt 0x0
	s_or_b32 exec_lo, exec_lo, s2
	v_or_b32_e32 v26, 1, v6
	s_mov_b32 s2, exec_lo
	s_delay_alu instid0(VALU_DEP_1)
	v_cmpx_gt_u32_e64 s18, v26
	s_cbranch_execz .LBB355_9
; %bb.8:
	global_load_u8 v24, v[2:3], off offset:1
.LBB355_9:
	s_wait_xcnt 0x0
	s_or_b32 exec_lo, exec_lo, s2
	v_add_nc_u32_e32 v26, 2, v6
	s_mov_b32 s2, exec_lo
	s_delay_alu instid0(VALU_DEP_1)
	v_cmpx_gt_u32_e64 s18, v26
	s_cbranch_execz .LBB355_11
; %bb.10:
	global_load_u8 v23, v[2:3], off offset:2
.LBB355_11:
	s_wait_xcnt 0x0
	s_or_b32 exec_lo, exec_lo, s2
	v_add_nc_u32_e32 v26, 3, v6
	;; [unrolled: 10-line block ×20, first 2 shown]
	s_mov_b32 s2, exec_lo
	s_delay_alu instid0(VALU_DEP_1)
	v_cmpx_gt_u32_e64 s18, v26
	s_cbranch_execz .LBB355_49
; %bb.48:
	global_load_u8 v1, v[2:3], off offset:21
.LBB355_49:
	s_wait_xcnt 0x0
	s_or_b32 exec_lo, exec_lo, s2
	s_wait_loadcnt 0x0
	v_xor_b32_e32 v25, 0x7f, v25
	s_lshl_b32 s23, -1, s17
	v_xor_b32_e32 v24, 0x7f, v24
	v_xor_b32_e32 v23, 0x7f, v23
	;; [unrolled: 1-line block ×3, first 2 shown]
	v_and_b32_e32 v2, 0xff, v25
	v_xor_b32_e32 v21, 0x7f, v21
	v_and_b32_e32 v28, 0xff, v24
	v_xor_b32_e32 v20, 0x7f, v20
	v_and_b32_e32 v30, 0xff, v22
	v_dual_lshrrev_b32 v2, s16, v2 :: v_dual_lshlrev_b32 v26, 2, v0
	v_xor_b32_e32 v19, 0x7f, v19
	v_xor_b32_e32 v18, 0x7f, v18
	v_xor_b32_e32 v17, 0x7f, v17
	s_delay_alu instid0(VALU_DEP_4)
	v_bitop3_b32 v2, v2, s23, v2 bitop3:0x30
	v_xor_b32_e32 v16, 0x7f, v16
	v_xor_b32_e32 v15, 0x7f, v15
	;; [unrolled: 1-line block ×4, first 2 shown]
	v_dual_lshlrev_b32 v3, 10, v2 :: v_dual_lshrrev_b32 v2, 2, v2
	v_mov_b32_e32 v27, 0
	v_xor_b32_e32 v12, 0x7f, v12
	v_xor_b32_e32 v11, 0x7f, v11
	s_delay_alu instid0(VALU_DEP_4)
	v_and_or_b32 v3, 0x1c00, v3, v0
	v_and_b32_e32 v2, 62, v2
	ds_store_2addr_stride64_b32 v26, v27, v27 offset1:16
	ds_store_2addr_stride64_b32 v26, v27, v27 offset0:32 offset1:48
	ds_store_2addr_stride64_b32 v26, v27, v27 offset0:64 offset1:80
	;; [unrolled: 1-line block ×3, first 2 shown]
	v_xor_b32_e32 v10, 0x7f, v10
	v_xor_b32_e32 v9, 0x7f, v9
	v_lshl_add_u32 v2, v3, 2, v2
	v_lshrrev_b32_e32 v3, s16, v28
	v_and_b32_e32 v28, 0xff, v23
	v_xor_b32_e32 v8, 0x7f, v8
	v_xor_b32_e32 v7, 0x7f, v7
	ds_load_u16 v26, v2
	s_mov_b32 s7, exec_lo
	v_lshrrev_b32_e32 v28, s16, v28
	v_bitop3_b32 v3, v3, s23, v3 bitop3:0x30
	s_delay_alu instid0(VALU_DEP_2) | instskip(NEXT) | instid1(VALU_DEP_2)
	v_bitop3_b32 v28, v28, s23, v28 bitop3:0x30
	v_dual_lshlrev_b32 v27, 10, v3 :: v_dual_lshrrev_b32 v3, 2, v3
	s_delay_alu instid0(VALU_DEP_1) | instskip(NEXT) | instid1(VALU_DEP_2)
	v_and_or_b32 v27, 0x1c00, v27, v0
	v_and_b32_e32 v3, 62, v3
	s_wait_dscnt 0x0
	v_add_nc_u16 v29, v26, 1
	ds_store_b16 v2, v29
	v_lshlrev_b32_e32 v29, 10, v28
	v_lshl_add_u32 v3, v27, 2, v3
	v_lshrrev_b32_e32 v28, 2, v28
	s_delay_alu instid0(VALU_DEP_3) | instskip(SKIP_2) | instid1(VALU_DEP_1)
	v_and_or_b32 v29, 0x1c00, v29, v0
	ds_load_u16 v27, v3
	v_and_b32_e32 v28, 62, v28
	v_lshl_add_u32 v34, v29, 2, v28
	v_lshrrev_b32_e32 v29, s16, v30
	s_delay_alu instid0(VALU_DEP_1) | instskip(NEXT) | instid1(VALU_DEP_1)
	v_bitop3_b32 v29, v29, s23, v29 bitop3:0x30
	v_lshlrev_b32_e32 v30, 10, v29
	s_wait_dscnt 0x0
	v_add_nc_u16 v31, v27, 1
	s_delay_alu instid0(VALU_DEP_2) | instskip(SKIP_4) | instid1(VALU_DEP_1)
	v_and_or_b32 v30, 0x1c00, v30, v0
	ds_store_b16 v3, v31
	ds_load_u16 v28, v34
	v_and_b32_e32 v31, 0xff, v21
	v_lshrrev_b32_e32 v29, 2, v29
	v_and_b32_e32 v29, 62, v29
	s_delay_alu instid0(VALU_DEP_1) | instskip(NEXT) | instid1(VALU_DEP_4)
	v_lshl_add_u32 v36, v30, 2, v29
	v_lshrrev_b32_e32 v30, s16, v31
	s_delay_alu instid0(VALU_DEP_1) | instskip(SKIP_2) | instid1(VALU_DEP_2)
	v_bitop3_b32 v30, v30, s23, v30 bitop3:0x30
	s_wait_dscnt 0x0
	v_add_nc_u16 v32, v28, 1
	v_lshlrev_b32_e32 v31, 10, v30
	ds_store_b16 v34, v32
	ds_load_u16 v29, v36
	v_and_b32_e32 v32, 0xff, v20
	v_lshrrev_b32_e32 v30, 2, v30
	v_and_or_b32 v31, 0x1c00, v31, v0
	s_delay_alu instid0(VALU_DEP_2) | instskip(NEXT) | instid1(VALU_DEP_1)
	v_and_b32_e32 v30, 62, v30
	v_lshl_add_u32 v38, v31, 2, v30
	v_lshrrev_b32_e32 v31, s16, v32
	s_delay_alu instid0(VALU_DEP_1) | instskip(SKIP_2) | instid1(VALU_DEP_2)
	v_bitop3_b32 v31, v31, s23, v31 bitop3:0x30
	s_wait_dscnt 0x0
	v_add_nc_u16 v33, v29, 1
	v_lshlrev_b32_e32 v32, 10, v31
	ds_store_b16 v36, v33
	ds_load_u16 v30, v38
	v_and_b32_e32 v33, 0xff, v19
	v_lshrrev_b32_e32 v31, 2, v31
	v_and_or_b32 v32, 0x1c00, v32, v0
	s_delay_alu instid0(VALU_DEP_2) | instskip(NEXT) | instid1(VALU_DEP_1)
	v_and_b32_e32 v31, 62, v31
	v_lshl_add_u32 v40, v32, 2, v31
	v_lshrrev_b32_e32 v32, s16, v33
	s_delay_alu instid0(VALU_DEP_1) | instskip(SKIP_2) | instid1(VALU_DEP_2)
	v_bitop3_b32 v32, v32, s23, v32 bitop3:0x30
	s_wait_dscnt 0x0
	v_add_nc_u16 v35, v30, 1
	v_lshlrev_b32_e32 v33, 10, v32
	ds_store_b16 v38, v35
	ds_load_u16 v31, v40
	v_and_b32_e32 v35, 0xff, v18
	v_lshrrev_b32_e32 v32, 2, v32
	v_and_or_b32 v33, 0x1c00, v33, v0
	s_delay_alu instid0(VALU_DEP_2) | instskip(NEXT) | instid1(VALU_DEP_1)
	v_and_b32_e32 v32, 62, v32
	v_lshl_add_u32 v42, v33, 2, v32
	v_lshrrev_b32_e32 v33, s16, v35
	s_delay_alu instid0(VALU_DEP_1) | instskip(SKIP_2) | instid1(VALU_DEP_2)
	v_bitop3_b32 v33, v33, s23, v33 bitop3:0x30
	s_wait_dscnt 0x0
	v_add_nc_u16 v37, v31, 1
	v_dual_lshlrev_b32 v35, 10, v33 :: v_dual_lshrrev_b32 v33, 2, v33
	ds_store_b16 v40, v37
	ds_load_u16 v32, v42
	v_and_b32_e32 v37, 0xff, v17
	v_and_or_b32 v35, 0x1c00, v35, v0
	v_and_b32_e32 v33, 62, v33
	s_delay_alu instid0(VALU_DEP_1)
	v_lshl_add_u32 v45, v35, 2, v33
	s_wait_dscnt 0x0
	v_add_nc_u16 v39, v32, 1
	ds_store_b16 v42, v39
	ds_load_u16 v33, v45
	v_and_b32_e32 v39, 0xff, v16
	v_lshrrev_b32_e32 v35, s16, v37
	s_delay_alu instid0(VALU_DEP_1) | instskip(NEXT) | instid1(VALU_DEP_1)
	v_bitop3_b32 v35, v35, s23, v35 bitop3:0x30
	v_dual_lshlrev_b32 v37, 10, v35 :: v_dual_lshrrev_b32 v35, 2, v35
	s_delay_alu instid0(VALU_DEP_1) | instskip(NEXT) | instid1(VALU_DEP_2)
	v_and_or_b32 v37, 0x1c00, v37, v0
	v_and_b32_e32 v35, 62, v35
	s_wait_dscnt 0x0
	v_add_nc_u16 v41, v33, 1
	s_delay_alu instid0(VALU_DEP_2)
	v_lshl_add_u32 v48, v37, 2, v35
	v_lshrrev_b32_e32 v37, s16, v39
	ds_store_b16 v45, v41
	v_and_b32_e32 v41, 0xff, v15
	ds_load_u16 v35, v48
	v_bitop3_b32 v37, v37, s23, v37 bitop3:0x30
	s_delay_alu instid0(VALU_DEP_1) | instskip(NEXT) | instid1(VALU_DEP_1)
	v_dual_lshlrev_b32 v39, 10, v37 :: v_dual_lshrrev_b32 v37, 2, v37
	v_and_or_b32 v39, 0x1c00, v39, v0
	s_delay_alu instid0(VALU_DEP_2) | instskip(NEXT) | instid1(VALU_DEP_1)
	v_and_b32_e32 v37, 62, v37
	v_lshl_add_u32 v51, v39, 2, v37
	s_wait_dscnt 0x0
	v_add_nc_u16 v43, v35, 1
	ds_store_b16 v48, v43
	ds_load_u16 v37, v51
	v_and_b32_e32 v43, 0xff, v14
	v_lshrrev_b32_e32 v39, s16, v41
	s_delay_alu instid0(VALU_DEP_1) | instskip(NEXT) | instid1(VALU_DEP_1)
	v_bitop3_b32 v39, v39, s23, v39 bitop3:0x30
	v_dual_lshlrev_b32 v41, 10, v39 :: v_dual_lshrrev_b32 v39, 2, v39
	s_delay_alu instid0(VALU_DEP_1) | instskip(NEXT) | instid1(VALU_DEP_2)
	v_and_or_b32 v41, 0x1c00, v41, v0
	v_and_b32_e32 v39, 62, v39
	s_wait_dscnt 0x0
	v_add_nc_u16 v44, v37, 1
	s_delay_alu instid0(VALU_DEP_2)
	v_lshl_add_u32 v53, v41, 2, v39
	v_lshrrev_b32_e32 v41, s16, v43
	ds_store_b16 v51, v44
	v_and_b32_e32 v44, 0xff, v13
	ds_load_u16 v39, v53
	v_bitop3_b32 v41, v41, s23, v41 bitop3:0x30
	s_delay_alu instid0(VALU_DEP_1) | instskip(NEXT) | instid1(VALU_DEP_1)
	v_dual_lshlrev_b32 v43, 10, v41 :: v_dual_lshrrev_b32 v41, 2, v41
	v_and_or_b32 v43, 0x1c00, v43, v0
	s_delay_alu instid0(VALU_DEP_2) | instskip(NEXT) | instid1(VALU_DEP_1)
	v_and_b32_e32 v41, 62, v41
	v_lshl_add_u32 v55, v43, 2, v41
	v_lshrrev_b32_e32 v43, s16, v44
	s_wait_dscnt 0x0
	v_add_nc_u16 v46, v39, 1
	s_delay_alu instid0(VALU_DEP_2) | instskip(SKIP_4) | instid1(VALU_DEP_1)
	v_bitop3_b32 v43, v43, s23, v43 bitop3:0x30
	ds_store_b16 v53, v46
	ds_load_u16 v41, v55
	v_and_b32_e32 v46, 0xff, v12
	v_dual_lshlrev_b32 v44, 10, v43 :: v_dual_lshrrev_b32 v43, 2, v43
	v_and_or_b32 v44, 0x1c00, v44, v0
	s_delay_alu instid0(VALU_DEP_2) | instskip(NEXT) | instid1(VALU_DEP_1)
	v_and_b32_e32 v43, 62, v43
	v_lshl_add_u32 v57, v44, 2, v43
	v_lshrrev_b32_e32 v44, s16, v46
	s_delay_alu instid0(VALU_DEP_1) | instskip(SKIP_2) | instid1(VALU_DEP_2)
	v_bitop3_b32 v44, v44, s23, v44 bitop3:0x30
	s_wait_dscnt 0x0
	v_add_nc_u16 v47, v41, 1
	v_lshlrev_b32_e32 v46, 10, v44
	ds_store_b16 v55, v47
	ds_load_u16 v43, v57
	v_lshrrev_b32_e32 v44, 2, v44
	v_and_b32_e32 v47, 0xff, v11
	v_and_or_b32 v46, 0x1c00, v46, v0
	s_delay_alu instid0(VALU_DEP_3) | instskip(NEXT) | instid1(VALU_DEP_1)
	v_and_b32_e32 v44, 62, v44
	v_lshl_add_u32 v58, v46, 2, v44
	s_delay_alu instid0(VALU_DEP_4) | instskip(NEXT) | instid1(VALU_DEP_1)
	v_lshrrev_b32_e32 v44, s16, v47
	v_bitop3_b32 v44, v44, s23, v44 bitop3:0x30
	s_wait_dscnt 0x0
	v_add_nc_u16 v49, v43, 1
	s_delay_alu instid0(VALU_DEP_2)
	v_dual_lshlrev_b32 v47, 10, v44 :: v_dual_lshrrev_b32 v44, 2, v44
	ds_store_b16 v57, v49
	ds_load_u16 v46, v58
	v_and_or_b32 v47, 0x1c00, v47, v0
	v_and_b32_e32 v44, 62, v44
	v_and_b32_e32 v49, 0xff, v10
	s_delay_alu instid0(VALU_DEP_2) | instskip(NEXT) | instid1(VALU_DEP_2)
	v_lshl_add_u32 v60, v47, 2, v44
	v_lshrrev_b32_e32 v44, s16, v49
	s_delay_alu instid0(VALU_DEP_1) | instskip(NEXT) | instid1(VALU_DEP_1)
	v_bitop3_b32 v44, v44, s23, v44 bitop3:0x30
	v_dual_lshlrev_b32 v47, 10, v44 :: v_dual_lshrrev_b32 v44, 2, v44
	s_wait_dscnt 0x0
	v_add_nc_u16 v50, v46, 1
	s_delay_alu instid0(VALU_DEP_2) | instskip(NEXT) | instid1(VALU_DEP_3)
	v_and_or_b32 v47, 0x1c00, v47, v0
	v_and_b32_e32 v44, 62, v44
	ds_store_b16 v58, v50
	ds_load_u16 v49, v60
	v_and_b32_e32 v50, 0xff, v9
	v_lshl_add_u32 v62, v47, 2, v44
	s_delay_alu instid0(VALU_DEP_2) | instskip(SKIP_1) | instid1(VALU_DEP_2)
	v_lshrrev_b32_e32 v44, s16, v50
	v_and_b32_e32 v50, 0xff, v8
	v_bitop3_b32 v44, v44, s23, v44 bitop3:0x30
	s_delay_alu instid0(VALU_DEP_1) | instskip(SKIP_2) | instid1(VALU_DEP_2)
	v_dual_lshlrev_b32 v47, 10, v44 :: v_dual_lshrrev_b32 v44, 2, v44
	s_wait_dscnt 0x0
	v_add_nc_u16 v52, v49, 1
	v_and_or_b32 v47, 0x1c00, v47, v0
	s_delay_alu instid0(VALU_DEP_3)
	v_and_b32_e32 v44, 62, v44
	ds_store_b16 v60, v52
	ds_load_u16 v52, v62
	v_lshl_add_u32 v63, v47, 2, v44
	v_lshrrev_b32_e32 v44, s16, v50
	v_and_b32_e32 v50, 0xff, v7
	s_delay_alu instid0(VALU_DEP_2) | instskip(NEXT) | instid1(VALU_DEP_1)
	v_bitop3_b32 v44, v44, s23, v44 bitop3:0x30
	v_dual_lshlrev_b32 v47, 10, v44 :: v_dual_lshrrev_b32 v44, 2, v44
	s_delay_alu instid0(VALU_DEP_1) | instskip(NEXT) | instid1(VALU_DEP_2)
	v_and_or_b32 v47, 0x1c00, v47, v0
	v_and_b32_e32 v44, 62, v44
	s_wait_dscnt 0x0
	v_add_nc_u16 v54, v52, 1
	s_delay_alu instid0(VALU_DEP_2) | instskip(SKIP_4) | instid1(VALU_DEP_1)
	v_lshl_add_u32 v64, v47, 2, v44
	v_lshrrev_b32_e32 v44, s16, v50
	ds_store_b16 v62, v54
	ds_load_u16 v54, v63
	v_bitop3_b32 v44, v44, s23, v44 bitop3:0x30
	v_dual_lshlrev_b32 v47, 10, v44 :: v_dual_lshrrev_b32 v50, 2, v44
	v_xor_b32_e32 v44, 0x7f, v5
	s_delay_alu instid0(VALU_DEP_2) | instskip(NEXT) | instid1(VALU_DEP_3)
	v_and_or_b32 v5, 0x1c00, v47, v0
	v_and_b32_e32 v47, 62, v50
	s_delay_alu instid0(VALU_DEP_3) | instskip(NEXT) | instid1(VALU_DEP_2)
	v_and_b32_e32 v50, 0xff, v44
	v_lshl_add_u32 v65, v5, 2, v47
	s_wait_dscnt 0x0
	v_add_nc_u16 v56, v54, 1
	s_delay_alu instid0(VALU_DEP_3) | instskip(SKIP_3) | instid1(VALU_DEP_1)
	v_lshrrev_b32_e32 v47, s16, v50
	ds_store_b16 v63, v56
	ds_load_u16 v56, v64
	v_bitop3_b32 v47, v47, s23, v47 bitop3:0x30
	v_lshlrev_b32_e32 v50, 10, v47
	s_wait_dscnt 0x0
	v_add_nc_u16 v59, v56, 1
	ds_store_b16 v64, v59
	ds_load_u16 v5, v65
	v_lshrrev_b32_e32 v59, 2, v47
	v_xor_b32_e32 v47, 0x7f, v4
	v_and_or_b32 v4, 0x1c00, v50, v0
	s_delay_alu instid0(VALU_DEP_3) | instskip(NEXT) | instid1(VALU_DEP_3)
	v_and_b32_e32 v50, 62, v59
	v_and_b32_e32 v59, 0xff, v47
	s_delay_alu instid0(VALU_DEP_2) | instskip(NEXT) | instid1(VALU_DEP_2)
	v_lshl_add_u32 v4, v4, 2, v50
	v_lshrrev_b32_e32 v50, s16, v59
	s_delay_alu instid0(VALU_DEP_1) | instskip(SKIP_2) | instid1(VALU_DEP_2)
	v_bitop3_b32 v50, v50, s23, v50 bitop3:0x30
	s_wait_dscnt 0x0
	v_add_nc_u16 v61, v5, 1
	v_lshrrev_b32_e32 v66, 2, v50
	ds_store_b16 v65, v61
	ds_load_u16 v59, v4
	v_lshlrev_b32_e32 v61, 10, v50
	v_xor_b32_e32 v50, 0x7f, v1
	s_delay_alu instid0(VALU_DEP_2) | instskip(SKIP_1) | instid1(VALU_DEP_3)
	v_and_or_b32 v1, 0x1c00, v61, v0
	v_and_b32_e32 v61, 62, v66
	v_and_b32_e32 v67, 0xff, v50
	s_delay_alu instid0(VALU_DEP_2) | instskip(NEXT) | instid1(VALU_DEP_2)
	v_lshl_add_u32 v66, v1, 2, v61
	v_lshrrev_b32_e32 v61, s16, v67
	s_delay_alu instid0(VALU_DEP_1) | instskip(SKIP_2) | instid1(VALU_DEP_2)
	v_bitop3_b32 v61, v61, s23, v61 bitop3:0x30
	s_wait_dscnt 0x0
	v_add_nc_u16 v68, v59, 1
	v_dual_lshlrev_b32 v67, 10, v61 :: v_dual_lshrrev_b32 v61, 2, v61
	ds_store_b16 v4, v68
	ds_load_u16 v1, v66
	v_and_or_b32 v67, 0x1c00, v67, v0
	v_and_b32_e32 v61, 62, v61
	s_delay_alu instid0(VALU_DEP_1)
	v_lshl_add_u32 v67, v67, 2, v61
	s_wait_dscnt 0x0
	v_add_nc_u16 v68, v1, 1
	ds_store_b16 v66, v68
	ds_load_u16 v61, v67
	v_lshlrev_b32_e32 v68, 5, v0
	s_wait_dscnt 0x0
	v_add_nc_u16 v69, v61, 1
	ds_store_b16 v67, v69
	s_wait_dscnt 0x0
	s_barrier_signal -1
	s_barrier_wait -1
	ds_load_2addr_b64 v[70:73], v68 offset1:1
	ds_load_2addr_b64 v[74:77], v68 offset0:2 offset1:3
	s_wait_dscnt 0x1
	v_add_nc_u32_e32 v69, v71, v70
	s_delay_alu instid0(VALU_DEP_1) | instskip(SKIP_2) | instid1(VALU_DEP_2)
	v_add3_u32 v69, v69, v72, v73
	v_and_b32_e32 v73, 31, v0
	s_wait_dscnt 0x0
	v_add3_u32 v70, v69, v74, v75
	v_mbcnt_lo_u32_b32 v69, -1, 0
	s_delay_alu instid0(VALU_DEP_2) | instskip(NEXT) | instid1(VALU_DEP_2)
	v_add3_u32 v70, v70, v76, v77
	v_and_b32_e32 v71, 15, v69
	s_delay_alu instid0(VALU_DEP_2) | instskip(NEXT) | instid1(VALU_DEP_2)
	v_mov_b32_dpp v72, v70 row_shr:1 row_mask:0xf bank_mask:0xf
	v_cmp_eq_u32_e32 vcc_lo, 0, v71
	s_delay_alu instid0(VALU_DEP_2) | instskip(NEXT) | instid1(VALU_DEP_1)
	v_cndmask_b32_e64 v72, v72, 0, vcc_lo
	v_add_nc_u32_e32 v70, v72, v70
	v_cmp_lt_u32_e64 s2, 1, v71
	v_cmp_lt_u32_e64 s3, 3, v71
	;; [unrolled: 1-line block ×3, first 2 shown]
	s_delay_alu instid0(VALU_DEP_4) | instskip(NEXT) | instid1(VALU_DEP_1)
	v_mov_b32_dpp v72, v70 row_shr:2 row_mask:0xf bank_mask:0xf
	v_cndmask_b32_e64 v72, 0, v72, s2
	s_delay_alu instid0(VALU_DEP_1) | instskip(NEXT) | instid1(VALU_DEP_1)
	v_add_nc_u32_e32 v70, v70, v72
	v_mov_b32_dpp v72, v70 row_shr:4 row_mask:0xf bank_mask:0xf
	s_delay_alu instid0(VALU_DEP_1) | instskip(NEXT) | instid1(VALU_DEP_1)
	v_cndmask_b32_e64 v72, 0, v72, s3
	v_add_nc_u32_e32 v70, v70, v72
	s_delay_alu instid0(VALU_DEP_1) | instskip(NEXT) | instid1(VALU_DEP_1)
	v_mov_b32_dpp v72, v70 row_shr:8 row_mask:0xf bank_mask:0xf
	v_cndmask_b32_e64 v71, 0, v72, s4
	v_bfe_i32 v72, v69, 4, 1
	s_delay_alu instid0(VALU_DEP_2) | instskip(SKIP_4) | instid1(VALU_DEP_2)
	v_add_nc_u32_e32 v70, v70, v71
	ds_swizzle_b32 v71, v70 offset:swizzle(BROADCAST,32,15)
	s_wait_dscnt 0x0
	v_and_b32_e32 v71, v72, v71
	v_dual_lshrrev_b32 v72, 5, v0 :: v_dual_bitop2_b32 v74, 16, v69 bitop3:0x40
	v_add_nc_u32_e32 v70, v70, v71
	s_delay_alu instid0(VALU_DEP_2) | instskip(NEXT) | instid1(VALU_DEP_3)
	v_cmp_eq_u32_e64 s5, 0, v74
	v_lshlrev_b32_e32 v71, 2, v72
	v_cmpx_eq_u32_e32 31, v73
; %bb.50:
	ds_store_b32 v71, v70 offset:32768
; %bb.51:
	s_or_b32 exec_lo, exec_lo, s7
	v_cmp_lt_u32_e64 s6, 31, v0
	s_mov_b32 s24, exec_lo
	s_wait_dscnt 0x0
	s_barrier_signal -1
	s_barrier_wait -1
	v_cmpx_gt_u32_e32 32, v0
	s_cbranch_execz .LBB355_53
; %bb.52:
	v_mad_i32_i24 v72, 0xffffffe4, v0, v68
	ds_load_b32 v73, v72 offset:32768
	s_wait_dscnt 0x0
	v_mov_b32_dpp v74, v73 row_shr:1 row_mask:0xf bank_mask:0xf
	s_delay_alu instid0(VALU_DEP_1) | instskip(NEXT) | instid1(VALU_DEP_1)
	v_cndmask_b32_e64 v74, v74, 0, vcc_lo
	v_add_nc_u32_e32 v73, v74, v73
	s_delay_alu instid0(VALU_DEP_1) | instskip(NEXT) | instid1(VALU_DEP_1)
	v_mov_b32_dpp v74, v73 row_shr:2 row_mask:0xf bank_mask:0xf
	v_cndmask_b32_e64 v74, 0, v74, s2
	s_delay_alu instid0(VALU_DEP_1) | instskip(NEXT) | instid1(VALU_DEP_1)
	v_add_nc_u32_e32 v73, v73, v74
	v_mov_b32_dpp v74, v73 row_shr:4 row_mask:0xf bank_mask:0xf
	s_delay_alu instid0(VALU_DEP_1) | instskip(NEXT) | instid1(VALU_DEP_1)
	v_cndmask_b32_e64 v74, 0, v74, s3
	v_add_nc_u32_e32 v73, v73, v74
	s_delay_alu instid0(VALU_DEP_1) | instskip(NEXT) | instid1(VALU_DEP_1)
	v_mov_b32_dpp v74, v73 row_shr:8 row_mask:0xf bank_mask:0xf
	v_cndmask_b32_e64 v74, 0, v74, s4
	s_delay_alu instid0(VALU_DEP_1) | instskip(SKIP_3) | instid1(VALU_DEP_1)
	v_add_nc_u32_e32 v73, v73, v74
	ds_swizzle_b32 v74, v73 offset:swizzle(BROADCAST,32,15)
	s_wait_dscnt 0x0
	v_cndmask_b32_e64 v74, v74, 0, s5
	v_add_nc_u32_e32 v73, v73, v74
	ds_store_b32 v72, v73 offset:32768
.LBB355_53:
	s_or_b32 exec_lo, exec_lo, s24
	v_dual_mov_b32 v73, 0 :: v_dual_mov_b32 v72, 0
	s_wait_dscnt 0x0
	s_barrier_signal -1
	s_barrier_wait -1
	s_and_saveexec_b32 s2, s6
; %bb.54:
	ds_load_b32 v72, v71 offset:32764
; %bb.55:
	s_or_b32 exec_lo, exec_lo, s2
	v_sub_co_u32 v71, vcc_lo, v69, 1
	s_wait_dscnt 0x0
	v_add_nc_u32_e32 v70, v72, v70
	s_delay_alu instid0(VALU_DEP_2) | instskip(NEXT) | instid1(VALU_DEP_1)
	v_cmp_gt_i32_e64 s2, 0, v71
	v_cndmask_b32_e64 v69, v71, v69, s2
	v_cmp_gt_u32_e64 s2, 16, v0
	s_delay_alu instid0(VALU_DEP_2)
	v_lshlrev_b32_e32 v69, 2, v69
	ds_bpermute_b32 v69, v69, v70
	ds_load_b32 v70, v73 offset:32892
	ds_load_2addr_b64 v[74:77], v68 offset1:1
	ds_load_b32 v78, v68 offset:24
	s_wait_dscnt 0x3
	v_cndmask_b32_e32 v69, v69, v72, vcc_lo
	ds_load_b64 v[72:73], v68 offset:16
	v_cmp_lt_u32_e32 vcc_lo, 15, v0
	s_wait_dscnt 0x3
	v_lshl_add_u32 v70, v70, 16, v69
	s_wait_dscnt 0x2
	s_delay_alu instid0(VALU_DEP_1) | instskip(NEXT) | instid1(VALU_DEP_1)
	v_add_nc_u32_e32 v71, v70, v74
	v_add_nc_u32_e32 v74, v75, v71
	s_delay_alu instid0(VALU_DEP_1) | instskip(NEXT) | instid1(VALU_DEP_1)
	v_add_nc_u32_e32 v75, v76, v74
	v_add_nc_u32_e32 v76, v77, v75
	s_wait_dscnt 0x0
	s_delay_alu instid0(VALU_DEP_1) | instskip(NEXT) | instid1(VALU_DEP_1)
	v_add_nc_u32_e32 v77, v72, v76
	v_add_nc_u32_e32 v72, v73, v77
	s_delay_alu instid0(VALU_DEP_1)
	v_add_nc_u32_e32 v73, v78, v72
	ds_store_2addr_b64 v68, v[70:71], v[74:75] offset1:1
	ds_store_2addr_b64 v68, v[76:77], v[72:73] offset0:2 offset1:3
	s_wait_dscnt 0x0
	s_barrier_signal -1
	s_barrier_wait -1
	ds_load_u16 v68, v2
	ds_load_u16 v69, v3
	;; [unrolled: 1-line block ×22, first 2 shown]
	v_mov_b64_e32 v[2:3], 0
                                        ; implicit-def: $vgpr4
	s_and_saveexec_b32 s4, s2
	s_cbranch_execz .LBB355_59
; %bb.56:
	v_dual_lshlrev_b32 v2, 12, v0 :: v_dual_lshrrev_b32 v3, 2, v0
	v_add_nc_u32_e32 v4, 1, v0
	s_mov_b32 s5, exec_lo
	s_delay_alu instid0(VALU_DEP_2)
	v_bitop3_b32 v2, v2, 0x70fe, v3 bitop3:0xc8
	v_mov_b32_e32 v3, 0x5800
	ds_load_u16 v2, v2
	v_cmpx_ne_u32_e32 16, v4
; %bb.57:
	v_dual_lshlrev_b32 v3, 12, v4 :: v_dual_lshrrev_b32 v4, 2, v4
	s_delay_alu instid0(VALU_DEP_1)
	v_bitop3_b32 v3, v3, 0x71fe, v4 bitop3:0xc8
	ds_load_u16 v3, v3
; %bb.58:
	s_or_b32 exec_lo, exec_lo, s5
	s_wait_dscnt 0x0
	v_and_b32_e32 v2, 0xffff, v2
	s_mov_b32 s3, 0
	s_delay_alu instid0(VALU_DEP_1) | instid1(SALU_CYCLE_1)
	v_dual_mov_b32 v3, s3 :: v_dual_sub_nc_u32 v4, v3, v2
.LBB355_59:
	s_or_b32 exec_lo, exec_lo, s4
	s_wait_dscnt 0x15
	v_and_b32_e32 v68, 0xffff, v68
	v_and_b32_e32 v26, 0xffff, v26
	s_wait_dscnt 0x14
	v_and_b32_e32 v69, 0xffff, v69
	v_and_b32_e32 v27, 0xffff, v27
	;; [unrolled: 3-line block ×4, first 2 shown]
	v_dual_add_nc_u32 v26, v68, v26 :: v_dual_add_nc_u32 v27, v69, v27
	s_wait_dscnt 0x11
	v_and_b32_e32 v38, 0xffff, v38
	v_and_b32_e32 v30, 0xffff, v30
	s_wait_dscnt 0x10
	v_and_b32_e32 v40, 0xffff, v40
	v_and_b32_e32 v31, 0xffff, v31
	v_add_nc_u32_e32 v28, v34, v28
	s_wait_dscnt 0xf
	v_and_b32_e32 v42, 0xffff, v42
	v_and_b32_e32 v32, 0xffff, v32
	s_wait_dscnt 0xe
	v_and_b32_e32 v45, 0xffff, v45
	v_and_b32_e32 v33, 0xffff, v33
	s_wait_dscnt 0xd
	v_and_b32_e32 v48, 0xffff, v48
	v_and_b32_e32 v35, 0xffff, v35
	s_wait_dscnt 0x0
	s_barrier_signal -1
	s_barrier_wait -1
	ds_store_b8 v26, v25 offset:128
	ds_store_b8 v27, v24 offset:128
	;; [unrolled: 1-line block ×3, first 2 shown]
	v_add_nc_u32_e32 v23, v36, v29
	v_and_b32_e32 v51, 0xffff, v51
	v_and_b32_e32 v37, 0xffff, v37
	v_dual_add_nc_u32 v24, v38, v30 :: v_dual_add_nc_u32 v25, v40, v31
	v_and_b32_e32 v53, 0xffff, v53
	v_and_b32_e32 v39, 0xffff, v39
	;; [unrolled: 1-line block ×4, first 2 shown]
	v_dual_add_nc_u32 v26, v42, v32 :: v_dual_add_nc_u32 v27, v45, v33
	v_and_b32_e32 v57, 0xffff, v57
	v_and_b32_e32 v43, 0xffff, v43
	;; [unrolled: 1-line block ×4, first 2 shown]
	ds_store_b8 v23, v22 offset:128
	ds_store_b8 v24, v21 offset:128
	;; [unrolled: 1-line block ×5, first 2 shown]
	v_dual_add_nc_u32 v18, v48, v35 :: v_dual_add_nc_u32 v19, v51, v37
	v_and_b32_e32 v60, 0xffff, v60
	v_and_b32_e32 v49, 0xffff, v49
	;; [unrolled: 1-line block ×4, first 2 shown]
	v_dual_add_nc_u32 v20, v53, v39 :: v_dual_add_nc_u32 v21, v55, v41
	v_and_b32_e32 v63, 0xffff, v63
	v_and_b32_e32 v54, 0xffff, v54
	;; [unrolled: 1-line block ×4, first 2 shown]
	v_add_nc_u32_e32 v22, v57, v43
	ds_store_b8 v18, v17 offset:128
	ds_store_b8 v19, v16 offset:128
	;; [unrolled: 1-line block ×5, first 2 shown]
	v_dual_add_nc_u32 v13, v58, v46 :: v_dual_add_nc_u32 v14, v60, v49
	v_dual_add_nc_u32 v15, v62, v52 :: v_dual_add_nc_u32 v16, v63, v54
	v_add_nc_u32_e32 v17, v64, v56
	v_and_b32_e32 v65, 0xffff, v65
	v_and_b32_e32 v66, 0xffff, v66
	;; [unrolled: 1-line block ×4, first 2 shown]
	ds_store_b8 v13, v12 offset:128
	ds_store_b8 v14, v11 offset:128
	ds_store_b8 v15, v10 offset:128
	ds_store_b8 v16, v9 offset:128
	ds_store_b8 v17, v8 offset:128
	v_mov_b32_e32 v9, 0
	v_and_b32_e32 v70, 0xffff, v70
	v_and_b32_e32 v59, 0xffff, v59
	;; [unrolled: 1-line block ×4, first 2 shown]
	v_add_nc_u32_e32 v8, v65, v5
	v_dual_add_nc_u32 v11, v66, v1 :: v_dual_mov_b32 v1, v9
	v_dual_lshlrev_b32 v5, 3, v0 :: v_dual_add_nc_u32 v10, v70, v59
	s_delay_alu instid0(VALU_DEP_4)
	v_add_nc_u32_e32 v12, v67, v61
	s_not_b32 s3, s23
	ds_store_b8 v8, v7 offset:128
	ds_store_b8 v10, v44 offset:128
	;; [unrolled: 1-line block ×4, first 2 shown]
	s_and_saveexec_b32 s4, s2
	s_cbranch_execz .LBB355_69
; %bb.60:
	v_lshl_add_u32 v8, s19, 4, v0
	v_dual_mov_b32 v12, 0 :: v_dual_bitop2_b32 v7, 2.0, v4 bitop3:0x54
	s_mov_b32 s5, 0
	s_mov_b32 s6, s19
	s_delay_alu instid0(VALU_DEP_2)
	v_lshl_add_u64 v[10:11], v[8:9], 2, s[20:21]
	global_store_b32 v8, v7, s[20:21] scale_offset scope:SCOPE_DEV
                                        ; implicit-def: $sgpr2
	s_branch .LBB355_63
.LBB355_61:                             ;   in Loop: Header=BB355_63 Depth=1
	s_or_b32 exec_lo, exec_lo, s23
.LBB355_62:                             ;   in Loop: Header=BB355_63 Depth=1
	s_delay_alu instid0(SALU_CYCLE_1) | instskip(SKIP_2) | instid1(VALU_DEP_2)
	s_or_b32 exec_lo, exec_lo, s7
	v_and_b32_e32 v8, 0x3fffffff, v7
	v_cmp_gt_i32_e64 s2, -2.0, v7
	v_add_nc_u32_e32 v12, v8, v12
	s_and_b32 s7, exec_lo, s2
	s_delay_alu instid0(SALU_CYCLE_1) | instskip(NEXT) | instid1(SALU_CYCLE_1)
	s_or_b32 s5, s7, s5
	s_and_not1_b32 exec_lo, exec_lo, s5
	s_cbranch_execz .LBB355_68
.LBB355_63:                             ; =>This Loop Header: Depth=1
                                        ;     Child Loop BB355_66 Depth 2
	s_or_b32 s2, s2, exec_lo
	s_cmp_eq_u32 s6, 0
	s_cbranch_scc1 .LBB355_67
; %bb.64:                               ;   in Loop: Header=BB355_63 Depth=1
	s_add_co_i32 s6, s6, -1
	s_mov_b32 s7, exec_lo
	s_wait_xcnt 0x0
	v_lshl_or_b32 v8, s6, 4, v0
	global_load_b32 v7, v8, s[20:21] scale_offset scope:SCOPE_DEV
	s_wait_loadcnt 0x0
	v_cmpx_gt_u32_e32 2.0, v7
	s_cbranch_execz .LBB355_62
; %bb.65:                               ;   in Loop: Header=BB355_63 Depth=1
	v_lshl_add_u64 v[14:15], v[8:9], 2, s[20:21]
	s_mov_b32 s23, 0
.LBB355_66:                             ;   Parent Loop BB355_63 Depth=1
                                        ; =>  This Inner Loop Header: Depth=2
	global_load_b32 v7, v[14:15], off scope:SCOPE_DEV
	s_wait_loadcnt 0x0
	v_cmp_lt_u32_e64 s2, 0x3fffffff, v7
	s_or_b32 s23, s2, s23
	s_wait_xcnt 0x0
	s_and_not1_b32 exec_lo, exec_lo, s23
	s_cbranch_execnz .LBB355_66
	s_branch .LBB355_61
.LBB355_67:                             ;   in Loop: Header=BB355_63 Depth=1
                                        ; implicit-def: $sgpr6
	s_and_b32 s7, exec_lo, s2
	s_delay_alu instid0(SALU_CYCLE_1)
	s_or_b32 s5, s7, s5
	s_wait_xcnt 0x0
	s_and_not1_b32 exec_lo, exec_lo, s5
	s_cbranch_execnz .LBB355_63
.LBB355_68:
	s_or_b32 exec_lo, exec_lo, s5
	v_dual_add_nc_u32 v7, v12, v4 :: v_dual_mov_b32 v13, 0
	s_delay_alu instid0(VALU_DEP_1)
	v_or_b32_e32 v7, 0x80000000, v7
	global_store_b32 v[10:11], v7, off scope:SCOPE_DEV
	global_load_b64 v[8:9], v0, s[8:9] scale_offset
	s_wait_xcnt 0x1
	v_sub_nc_u64_e32 v[10:11], v[12:13], v[2:3]
	s_wait_loadcnt 0x0
	s_delay_alu instid0(VALU_DEP_1)
	v_add_nc_u64_e32 v[8:9], v[10:11], v[8:9]
	ds_store_b64 v5, v[8:9]
.LBB355_69:
	s_wait_xcnt 0x0
	s_or_b32 exec_lo, exec_lo, s4
	s_delay_alu instid0(SALU_CYCLE_1)
	s_mov_b32 s4, exec_lo
	s_wait_storecnt_dscnt 0x0
	s_barrier_signal -1
	s_barrier_wait -1
	v_cmpx_gt_u32_e64 s18, v0
	s_cbranch_execz .LBB355_71
; %bb.70:
	ds_load_u8 v7, v0 offset:128
	s_wait_dscnt 0x0
	v_and_b32_e32 v8, 0xff, v7
	v_xor_b32_e32 v7, 0x7f, v7
	s_delay_alu instid0(VALU_DEP_2) | instskip(NEXT) | instid1(VALU_DEP_1)
	v_lshrrev_b32_e32 v8, s16, v8
	v_and_b32_e32 v8, s3, v8
	s_delay_alu instid0(VALU_DEP_1) | instskip(SKIP_3) | instid1(VALU_DEP_1)
	v_lshlrev_b32_e32 v8, 3, v8
	ds_load_b64 v[8:9], v8
	s_wait_dscnt 0x0
	v_add_nc_u64_e32 v[8:9], s[14:15], v[8:9]
	v_add_nc_u64_e32 v[8:9], v[8:9], v[0:1]
	global_store_b8 v[8:9], v7, off
.LBB355_71:
	s_wait_xcnt 0x0
	s_or_b32 exec_lo, exec_lo, s4
	v_or_b32_e32 v7, 0x400, v0
	s_mov_b32 s4, exec_lo
	s_delay_alu instid0(VALU_DEP_1)
	v_cmpx_gt_u32_e64 s18, v7
	s_cbranch_execz .LBB355_73
; %bb.72:
	ds_load_u8 v7, v0 offset:1152
	s_wait_dscnt 0x0
	v_and_b32_e32 v8, 0xff, v7
	v_xor_b32_e32 v7, 0x7f, v7
	s_delay_alu instid0(VALU_DEP_2) | instskip(NEXT) | instid1(VALU_DEP_1)
	v_lshrrev_b32_e32 v8, s16, v8
	v_and_b32_e32 v8, s3, v8
	s_delay_alu instid0(VALU_DEP_1) | instskip(SKIP_3) | instid1(VALU_DEP_1)
	v_lshlrev_b32_e32 v8, 3, v8
	ds_load_b64 v[8:9], v8
	s_wait_dscnt 0x0
	v_add_nc_u64_e32 v[8:9], s[14:15], v[8:9]
	v_add_nc_u64_e32 v[8:9], v[8:9], v[0:1]
	global_store_b8 v[8:9], v7, off offset:1024
.LBB355_73:
	s_wait_xcnt 0x0
	s_or_b32 exec_lo, exec_lo, s4
	v_or_b32_e32 v7, 0x800, v0
	s_mov_b32 s4, exec_lo
	s_delay_alu instid0(VALU_DEP_1)
	v_cmpx_gt_u32_e64 s18, v7
	s_cbranch_execz .LBB355_75
; %bb.74:
	ds_load_u8 v7, v0 offset:2176
	s_wait_dscnt 0x0
	v_and_b32_e32 v8, 0xff, v7
	v_xor_b32_e32 v7, 0x7f, v7
	s_delay_alu instid0(VALU_DEP_2) | instskip(NEXT) | instid1(VALU_DEP_1)
	v_lshrrev_b32_e32 v8, s16, v8
	v_and_b32_e32 v8, s3, v8
	s_delay_alu instid0(VALU_DEP_1) | instskip(SKIP_3) | instid1(VALU_DEP_1)
	v_lshlrev_b32_e32 v8, 3, v8
	ds_load_b64 v[8:9], v8
	s_wait_dscnt 0x0
	v_add_nc_u64_e32 v[8:9], s[14:15], v[8:9]
	v_add_nc_u64_e32 v[8:9], v[8:9], v[0:1]
	global_store_b8 v[8:9], v7, off offset:2048
.LBB355_75:
	;; [unrolled: 23-line block ×20, first 2 shown]
	s_wait_xcnt 0x0
	s_or_b32 exec_lo, exec_lo, s4
	v_or_b32_e32 v7, 0x5400, v0
	s_mov_b32 s4, exec_lo
	s_delay_alu instid0(VALU_DEP_1)
	v_cmpx_gt_u32_e64 s18, v7
	s_cbranch_execz .LBB355_113
; %bb.112:
	ds_load_u8 v7, v0 offset:21632
	s_wait_dscnt 0x0
	v_and_b32_e32 v8, 0xff, v7
	s_delay_alu instid0(VALU_DEP_1) | instskip(NEXT) | instid1(VALU_DEP_1)
	v_lshrrev_b32_e32 v8, s16, v8
	v_and_b32_e32 v8, s3, v8
	s_delay_alu instid0(VALU_DEP_1) | instskip(SKIP_3) | instid1(VALU_DEP_1)
	v_lshlrev_b32_e32 v8, 3, v8
	ds_load_b64 v[8:9], v8
	s_wait_dscnt 0x0
	v_add_nc_u64_e32 v[8:9], s[14:15], v[8:9]
	v_add_nc_u64_e32 v[8:9], v[8:9], v[0:1]
	v_xor_b32_e32 v1, 0x7f, v7
	global_store_b8 v[8:9], v1, off offset:21504
.LBB355_113:
	s_wait_xcnt 0x0
	s_or_b32 exec_lo, exec_lo, s4
	s_load_b32 s2, s[0:1], 0x58
	s_wait_kmcnt 0x0
	s_add_co_i32 s2, s2, -1
	s_delay_alu instid0(SALU_CYCLE_1) | instskip(SKIP_2) | instid1(SALU_CYCLE_1)
	s_cmp_eq_u32 s19, s2
	s_cselect_b32 s2, -1, 0
	s_xor_b32 s3, vcc_lo, -1
	s_and_b32 s3, s3, s2
	s_delay_alu instid0(SALU_CYCLE_1)
	s_and_saveexec_b32 s2, s3
	s_cbranch_execz .LBB355_115
; %bb.114:
	ds_load_b64 v[8:9], v5
	v_mov_b32_e32 v5, 0
	s_delay_alu instid0(VALU_DEP_1) | instskip(SKIP_1) | instid1(VALU_DEP_1)
	v_add_nc_u64_e32 v[2:3], v[2:3], v[4:5]
	s_wait_dscnt 0x0
	v_add_nc_u64_e32 v[2:3], v[2:3], v[8:9]
	global_store_b64 v0, v[2:3], s[10:11] scale_offset
.LBB355_115:
	s_wait_xcnt 0x0
	s_or_b32 exec_lo, exec_lo, s2
	s_mov_b32 s3, 0
.LBB355_116:
	s_delay_alu instid0(SALU_CYCLE_1)
	s_and_b32 vcc_lo, exec_lo, s3
	s_cbranch_vccz .LBB355_139
; %bb.117:
	s_mov_b32 s23, 0
	v_dual_mov_b32 v13, 0 :: v_dual_lshlrev_b32 v12, 2, v0
	s_add_nc_u64 s[2:3], s[12:13], s[22:23]
	s_clause 0x1
	global_load_b128 v[2:5], v6, s[2:3]
	global_load_b32 v8, v6, s[2:3] offset:16
	s_lshl_b32 s12, -1, s17
	ds_store_2addr_stride64_b32 v12, v13, v13 offset1:16
	ds_store_2addr_stride64_b32 v12, v13, v13 offset0:32 offset1:48
	ds_store_2addr_stride64_b32 v12, v13, v13 offset0:64 offset1:80
	;; [unrolled: 1-line block ×3, first 2 shown]
	global_load_u16 v42, v6, s[2:3] offset:20
	s_mov_b32 s7, exec_lo
	s_wait_loadcnt 0x2
	v_xor_b32_e32 v1, 0x7f, v2
	v_lshrrev_b32_e32 v9, 8, v2
	s_delay_alu instid0(VALU_DEP_2) | instskip(NEXT) | instid1(VALU_DEP_1)
	v_and_b32_e32 v7, 0xff, v1
	v_lshrrev_b32_e32 v7, s16, v7
	s_delay_alu instid0(VALU_DEP_1) | instskip(NEXT) | instid1(VALU_DEP_1)
	v_bitop3_b32 v7, v7, s12, v7 bitop3:0x30
	v_dual_lshlrev_b32 v10, 10, v7 :: v_dual_lshrrev_b32 v11, 2, v7
	v_xor_b32_e32 v7, 0x7f, v9
	s_delay_alu instid0(VALU_DEP_2) | instskip(NEXT) | instid1(VALU_DEP_3)
	v_and_or_b32 v9, 0x1c00, v10, v0
	v_and_b32_e32 v10, 62, v11
	s_delay_alu instid0(VALU_DEP_3) | instskip(NEXT) | instid1(VALU_DEP_2)
	v_and_b32_e32 v11, 0xff, v7
	v_lshl_add_u32 v17, v9, 2, v10
	s_delay_alu instid0(VALU_DEP_2) | instskip(SKIP_3) | instid1(VALU_DEP_2)
	v_lshrrev_b32_e32 v9, s16, v11
	ds_load_u16 v11, v17
	v_bitop3_b32 v9, v9, s12, v9 bitop3:0x30
	v_dual_lshrrev_b32 v10, 16, v2 :: v_dual_lshrrev_b32 v2, 24, v2
	v_dual_lshlrev_b32 v12, 10, v9 :: v_dual_lshrrev_b32 v9, 2, v9
	s_delay_alu instid0(VALU_DEP_2) | instskip(NEXT) | instid1(VALU_DEP_2)
	v_xor_b32_e32 v10, 0x7f, v10
	v_and_or_b32 v12, 0x1c00, v12, v0
	s_delay_alu instid0(VALU_DEP_3) | instskip(NEXT) | instid1(VALU_DEP_3)
	v_and_b32_e32 v9, 62, v9
	v_and_b32_e32 v13, 0xff, v10
	s_delay_alu instid0(VALU_DEP_2) | instskip(NEXT) | instid1(VALU_DEP_2)
	v_lshl_add_u32 v20, v12, 2, v9
	v_lshrrev_b32_e32 v9, s16, v13
	v_xor_b32_e32 v12, 0x7f, v2
	s_wait_dscnt 0x0
	v_add_nc_u16 v14, v11, 1
	s_delay_alu instid0(VALU_DEP_3) | instskip(SKIP_3) | instid1(VALU_DEP_1)
	v_bitop3_b32 v9, v9, s12, v9 bitop3:0x30
	ds_store_b16 v17, v14
	ds_load_u16 v14, v20
	v_dual_lshlrev_b32 v13, 10, v9 :: v_dual_lshrrev_b32 v9, 2, v9
	v_and_or_b32 v2, 0x1c00, v13, v0
	s_delay_alu instid0(VALU_DEP_2) | instskip(SKIP_1) | instid1(VALU_DEP_2)
	v_and_b32_e32 v9, 62, v9
	v_and_b32_e32 v13, 0xffff, v12
	v_lshl_add_u32 v2, v2, 2, v9
	s_delay_alu instid0(VALU_DEP_2) | instskip(SKIP_1) | instid1(VALU_DEP_2)
	v_lshrrev_b32_e32 v9, s16, v13
	v_xor_b32_e32 v13, 0x7f, v3
	v_bitop3_b32 v9, v9, s12, v9 bitop3:0x30
	s_wait_dscnt 0x0
	v_add_nc_u16 v15, v14, 1
	s_delay_alu instid0(VALU_DEP_3) | instskip(NEXT) | instid1(VALU_DEP_3)
	v_and_b32_e32 v18, 0xff, v13
	v_dual_lshlrev_b32 v16, 10, v9 :: v_dual_lshrrev_b32 v9, 2, v9
	ds_store_b16 v20, v15
	ds_load_u16 v15, v2
	v_and_or_b32 v16, 0x1c00, v16, v0
	v_and_b32_e32 v9, 62, v9
	s_delay_alu instid0(VALU_DEP_1) | instskip(SKIP_1) | instid1(VALU_DEP_1)
	v_lshl_add_u32 v27, v16, 2, v9
	v_dual_lshrrev_b32 v9, s16, v18 :: v_dual_lshrrev_b32 v16, 8, v3
	v_bitop3_b32 v9, v9, s12, v9 bitop3:0x30
	s_delay_alu instid0(VALU_DEP_2) | instskip(NEXT) | instid1(VALU_DEP_2)
	v_xor_b32_e32 v16, 0x7f, v16
	v_dual_lshlrev_b32 v18, 10, v9 :: v_dual_lshrrev_b32 v9, 2, v9
	s_wait_dscnt 0x0
	v_add_nc_u16 v19, v15, 1
	s_delay_alu instid0(VALU_DEP_3) | instskip(NEXT) | instid1(VALU_DEP_3)
	v_and_b32_e32 v21, 0xff, v16
	v_and_or_b32 v18, 0x1c00, v18, v0
	v_and_b32_e32 v9, 62, v9
	ds_store_b16 v2, v19
	ds_load_u16 v19, v27
	v_lshl_add_u32 v34, v18, 2, v9
	v_dual_lshrrev_b32 v9, s16, v21 :: v_dual_lshrrev_b32 v18, 16, v3
	v_lshrrev_b32_e32 v3, 24, v3
	s_delay_alu instid0(VALU_DEP_2) | instskip(NEXT) | instid1(VALU_DEP_3)
	v_bitop3_b32 v9, v9, s12, v9 bitop3:0x30
	v_xor_b32_e32 v18, 0x7f, v18
	s_wait_xcnt 0x0
	s_delay_alu instid0(VALU_DEP_1) | instskip(SKIP_2) | instid1(VALU_DEP_2)
	v_and_b32_e32 v6, 0xff, v18
	s_wait_dscnt 0x0
	v_add_nc_u16 v22, v19, 1
	v_lshrrev_b32_e32 v6, s16, v6
	ds_store_b16 v27, v22
	ds_load_u16 v21, v34
	v_dual_lshlrev_b32 v22, 10, v9 :: v_dual_lshrrev_b32 v9, 2, v9
	v_bitop3_b32 v6, v6, s12, v6 bitop3:0x30
	s_delay_alu instid0(VALU_DEP_2) | instskip(NEXT) | instid1(VALU_DEP_3)
	v_and_or_b32 v22, 0x1c00, v22, v0
	v_and_b32_e32 v9, 62, v9
	s_delay_alu instid0(VALU_DEP_1) | instskip(NEXT) | instid1(VALU_DEP_4)
	v_lshl_add_u32 v41, v22, 2, v9
	v_dual_lshlrev_b32 v9, 10, v6 :: v_dual_lshrrev_b32 v22, 2, v6
	v_xor_b32_e32 v6, 0x7f, v3
	s_delay_alu instid0(VALU_DEP_2) | instskip(NEXT) | instid1(VALU_DEP_3)
	v_and_or_b32 v3, 0x1c00, v9, v0
	v_and_b32_e32 v9, 62, v22
	s_wait_dscnt 0x0
	v_add_nc_u16 v23, v21, 1
	v_and_b32_e32 v22, 0xffff, v6
	s_delay_alu instid0(VALU_DEP_3) | instskip(SKIP_4) | instid1(VALU_DEP_2)
	v_lshl_add_u32 v3, v3, 2, v9
	ds_store_b16 v34, v23
	ds_load_u16 v25, v41
	v_lshrrev_b32_e32 v9, s16, v22
	v_xor_b32_e32 v22, 0x7f, v4
	v_bitop3_b32 v9, v9, s12, v9 bitop3:0x30
	s_delay_alu instid0(VALU_DEP_2)
	v_and_b32_e32 v24, 0xff, v22
	s_wait_dscnt 0x0
	v_add_nc_u16 v23, v25, 1
	ds_store_b16 v41, v23
	ds_load_u16 v29, v3
	v_dual_lshlrev_b32 v23, 10, v9 :: v_dual_lshrrev_b32 v9, 2, v9
	s_delay_alu instid0(VALU_DEP_1) | instskip(NEXT) | instid1(VALU_DEP_2)
	v_and_or_b32 v23, 0x1c00, v23, v0
	v_and_b32_e32 v9, 62, v9
	s_delay_alu instid0(VALU_DEP_1) | instskip(SKIP_2) | instid1(VALU_DEP_2)
	v_lshl_add_u32 v47, v23, 2, v9
	v_lshrrev_b32_e32 v9, s16, v24
	v_lshrrev_b32_e32 v23, 8, v4
	v_bitop3_b32 v9, v9, s12, v9 bitop3:0x30
	s_delay_alu instid0(VALU_DEP_2) | instskip(SKIP_2) | instid1(VALU_DEP_3)
	v_xor_b32_e32 v23, 0x7f, v23
	s_wait_dscnt 0x0
	v_add_nc_u16 v26, v29, 1
	v_dual_lshlrev_b32 v24, 10, v9 :: v_dual_lshrrev_b32 v9, 2, v9
	ds_store_b16 v3, v26
	ds_load_u16 v31, v47
	v_and_b32_e32 v26, 0xff, v23
	v_and_or_b32 v24, 0x1c00, v24, v0
	v_and_b32_e32 v9, 62, v9
	s_delay_alu instid0(VALU_DEP_1) | instskip(NEXT) | instid1(VALU_DEP_4)
	v_lshl_add_u32 v49, v24, 2, v9
	v_dual_lshrrev_b32 v9, s16, v26 :: v_dual_lshrrev_b32 v24, 16, v4
	v_lshrrev_b32_e32 v4, 24, v4
	s_delay_alu instid0(VALU_DEP_2) | instskip(NEXT) | instid1(VALU_DEP_3)
	v_bitop3_b32 v9, v9, s12, v9 bitop3:0x30
	v_xor_b32_e32 v24, 0x7f, v24
	s_delay_alu instid0(VALU_DEP_2) | instskip(SKIP_2) | instid1(VALU_DEP_2)
	v_dual_lshlrev_b32 v26, 10, v9 :: v_dual_lshrrev_b32 v9, 2, v9
	s_wait_dscnt 0x0
	v_add_nc_u16 v28, v31, 1
	v_and_or_b32 v26, 0x1c00, v26, v0
	s_delay_alu instid0(VALU_DEP_3)
	v_and_b32_e32 v9, 62, v9
	ds_store_b16 v47, v28
	ds_load_u16 v33, v49
	v_and_b32_e32 v28, 0xff, v24
	v_lshl_add_u32 v51, v26, 2, v9
	v_xor_b32_e32 v26, 0x7f, v4
	s_delay_alu instid0(VALU_DEP_3) | instskip(NEXT) | instid1(VALU_DEP_1)
	v_lshrrev_b32_e32 v9, s16, v28
	v_bitop3_b32 v9, v9, s12, v9 bitop3:0x30
	s_delay_alu instid0(VALU_DEP_1) | instskip(SKIP_2) | instid1(VALU_DEP_2)
	v_dual_lshlrev_b32 v28, 10, v9 :: v_dual_lshrrev_b32 v9, 2, v9
	s_wait_dscnt 0x0
	v_add_nc_u16 v30, v33, 1
	v_and_or_b32 v4, 0x1c00, v28, v0
	s_delay_alu instid0(VALU_DEP_3)
	v_and_b32_e32 v9, 62, v9
	v_and_b32_e32 v28, 0xffff, v26
	ds_store_b16 v49, v30
	ds_load_u16 v35, v51
	v_lshl_add_u32 v4, v4, 2, v9
	v_lshrrev_b32_e32 v9, s16, v28
	v_xor_b32_e32 v28, 0x7f, v5
	s_delay_alu instid0(VALU_DEP_2) | instskip(NEXT) | instid1(VALU_DEP_2)
	v_bitop3_b32 v9, v9, s12, v9 bitop3:0x30
	v_and_b32_e32 v32, 0xff, v28
	s_wait_dscnt 0x0
	v_add_nc_u16 v30, v35, 1
	ds_store_b16 v51, v30
	ds_load_u16 v38, v4
	v_dual_lshlrev_b32 v30, 10, v9 :: v_dual_lshrrev_b32 v9, 2, v9
	s_delay_alu instid0(VALU_DEP_1) | instskip(NEXT) | instid1(VALU_DEP_2)
	v_and_or_b32 v30, 0x1c00, v30, v0
	v_and_b32_e32 v9, 62, v9
	s_delay_alu instid0(VALU_DEP_1) | instskip(SKIP_1) | instid1(VALU_DEP_1)
	v_lshl_add_u32 v54, v30, 2, v9
	v_dual_lshrrev_b32 v9, s16, v32 :: v_dual_lshrrev_b32 v30, 8, v5
	v_bitop3_b32 v9, v9, s12, v9 bitop3:0x30
	s_delay_alu instid0(VALU_DEP_2) | instskip(SKIP_2) | instid1(VALU_DEP_3)
	v_xor_b32_e32 v30, 0x7f, v30
	s_wait_dscnt 0x0
	v_add_nc_u16 v36, v38, 1
	v_dual_lshlrev_b32 v32, 10, v9 :: v_dual_lshrrev_b32 v9, 2, v9
	ds_store_b16 v4, v36
	ds_load_u16 v40, v54
	v_and_b32_e32 v36, 0xff, v30
	v_and_or_b32 v32, 0x1c00, v32, v0
	v_and_b32_e32 v9, 62, v9
	s_delay_alu instid0(VALU_DEP_1) | instskip(NEXT) | instid1(VALU_DEP_4)
	v_lshl_add_u32 v56, v32, 2, v9
	v_dual_lshrrev_b32 v9, s16, v36 :: v_dual_lshrrev_b32 v32, 16, v5
	v_lshrrev_b32_e32 v5, 24, v5
	s_delay_alu instid0(VALU_DEP_2) | instskip(NEXT) | instid1(VALU_DEP_3)
	v_bitop3_b32 v9, v9, s12, v9 bitop3:0x30
	v_xor_b32_e32 v32, 0x7f, v32
	s_delay_alu instid0(VALU_DEP_3) | instskip(NEXT) | instid1(VALU_DEP_3)
	v_xor_b32_e32 v5, 0x7f, v5
	v_dual_lshlrev_b32 v36, 10, v9 :: v_dual_lshrrev_b32 v9, 2, v9
	s_wait_dscnt 0x0
	v_add_nc_u16 v37, v40, 1
	s_delay_alu instid0(VALU_DEP_2) | instskip(NEXT) | instid1(VALU_DEP_3)
	v_and_or_b32 v36, 0x1c00, v36, v0
	v_and_b32_e32 v9, 62, v9
	ds_store_b16 v54, v37
	ds_load_u16 v43, v56
	v_and_b32_e32 v37, 0xff, v32
	v_lshl_add_u32 v58, v36, 2, v9
	s_delay_alu instid0(VALU_DEP_2) | instskip(SKIP_1) | instid1(VALU_DEP_2)
	v_lshrrev_b32_e32 v9, s16, v37
	v_and_b32_e32 v37, 0xffff, v5
	v_bitop3_b32 v9, v9, s12, v9 bitop3:0x30
	s_delay_alu instid0(VALU_DEP_1) | instskip(SKIP_2) | instid1(VALU_DEP_2)
	v_dual_lshlrev_b32 v36, 10, v9 :: v_dual_lshrrev_b32 v9, 2, v9
	s_wait_dscnt 0x0
	v_add_nc_u16 v39, v43, 1
	v_and_or_b32 v36, 0x1c00, v36, v0
	s_delay_alu instid0(VALU_DEP_3)
	v_and_b32_e32 v9, 62, v9
	ds_store_b16 v56, v39
	ds_load_u16 v44, v58
	v_lshl_add_u32 v59, v36, 2, v9
	v_lshrrev_b32_e32 v9, s16, v37
	s_wait_loadcnt 0x1
	v_xor_b32_e32 v36, 0x7f, v8
	s_delay_alu instid0(VALU_DEP_2) | instskip(NEXT) | instid1(VALU_DEP_1)
	v_bitop3_b32 v9, v9, s12, v9 bitop3:0x30
	v_dual_lshlrev_b32 v37, 10, v9 :: v_dual_lshrrev_b32 v9, 2, v9
	s_delay_alu instid0(VALU_DEP_1) | instskip(NEXT) | instid1(VALU_DEP_2)
	v_and_or_b32 v37, 0x1c00, v37, v0
	v_and_b32_e32 v9, 62, v9
	s_wait_dscnt 0x0
	v_add_nc_u16 v39, v44, 1
	s_delay_alu instid0(VALU_DEP_2) | instskip(SKIP_4) | instid1(VALU_DEP_1)
	v_lshl_add_u32 v60, v37, 2, v9
	v_lshrrev_b32_e32 v37, 8, v8
	ds_store_b16 v58, v39
	ds_load_u16 v45, v59
	v_and_b32_e32 v39, 0xff, v36
	v_lshrrev_b32_e32 v9, s16, v39
	v_xor_b32_e32 v39, 0x7f, v37
	s_delay_alu instid0(VALU_DEP_2) | instskip(NEXT) | instid1(VALU_DEP_1)
	v_bitop3_b32 v9, v9, s12, v9 bitop3:0x30
	v_dual_lshlrev_b32 v48, 10, v9 :: v_dual_lshrrev_b32 v9, 2, v9
	s_wait_dscnt 0x0
	v_add_nc_u16 v46, v45, 1
	s_delay_alu instid0(VALU_DEP_2) | instskip(NEXT) | instid1(VALU_DEP_3)
	v_and_or_b32 v37, 0x1c00, v48, v0
	v_and_b32_e32 v9, 62, v9
	v_and_b32_e32 v48, 0xff, v39
	ds_store_b16 v59, v46
	ds_load_u16 v46, v60
	v_lshl_add_u32 v61, v37, 2, v9
	v_lshrrev_b32_e32 v9, s16, v48
	v_lshrrev_b32_e32 v37, 16, v8
	s_delay_alu instid0(VALU_DEP_2) | instskip(NEXT) | instid1(VALU_DEP_2)
	v_bitop3_b32 v9, v9, s12, v9 bitop3:0x30
	v_xor_b32_e32 v37, 0x7f, v37
	s_delay_alu instid0(VALU_DEP_1) | instskip(NEXT) | instid1(VALU_DEP_1)
	v_and_b32_e32 v52, 0xff, v37
	v_lshrrev_b32_e32 v52, s16, v52
	s_wait_dscnt 0x0
	v_add_nc_u16 v50, v46, 1
	s_delay_alu instid0(VALU_DEP_2) | instskip(SKIP_3) | instid1(VALU_DEP_1)
	v_bitop3_b32 v55, v52, s12, v52 bitop3:0x30
	ds_store_b16 v60, v50
	ds_load_u16 v48, v61
	v_dual_lshlrev_b32 v50, 10, v9 :: v_dual_lshrrev_b32 v9, 2, v9
	v_and_or_b32 v50, 0x1c00, v50, v0
	s_delay_alu instid0(VALU_DEP_2) | instskip(NEXT) | instid1(VALU_DEP_1)
	v_and_b32_e32 v9, 62, v9
	v_lshl_add_u32 v62, v50, 2, v9
	s_wait_loadcnt 0x0
	v_and_b32_e32 v9, 0xffff, v42
	v_xor_b32_e32 v42, 0x7f, v42
	s_wait_dscnt 0x0
	v_add_nc_u16 v53, v48, 1
	ds_store_b16 v61, v53
	ds_load_u16 v50, v62
	v_lshrrev_b64 v[52:53], 24, v[8:9]
	v_dual_lshlrev_b32 v53, 10, v55 :: v_dual_lshrrev_b32 v55, 2, v55
	v_lshrrev_b32_e32 v9, 8, v9
	s_delay_alu instid0(VALU_DEP_3) | instskip(NEXT) | instid1(VALU_DEP_3)
	v_xor_b32_e32 v8, 0x7f, v52
	v_and_or_b32 v52, 0x1c00, v53, v0
	s_delay_alu instid0(VALU_DEP_4) | instskip(NEXT) | instid1(VALU_DEP_4)
	v_and_b32_e32 v53, 62, v55
	v_xor_b32_e32 v9, 0x7f, v9
	s_delay_alu instid0(VALU_DEP_4) | instskip(NEXT) | instid1(VALU_DEP_3)
	v_and_b32_e32 v55, 0xff, v8
	v_lshl_add_u32 v63, v52, 2, v53
	s_delay_alu instid0(VALU_DEP_3) | instskip(NEXT) | instid1(VALU_DEP_3)
	v_and_b32_e32 v66, 0xff, v9
	v_lshrrev_b32_e32 v53, s16, v55
	s_wait_dscnt 0x0
	v_add_nc_u16 v57, v50, 1
	s_delay_alu instid0(VALU_DEP_2) | instskip(SKIP_4) | instid1(VALU_DEP_1)
	v_bitop3_b32 v53, v53, s12, v53 bitop3:0x30
	ds_store_b16 v62, v57
	ds_load_u16 v52, v63
	v_and_b32_e32 v57, 0xff, v42
	v_dual_lshlrev_b32 v55, 10, v53 :: v_dual_lshrrev_b32 v53, 2, v53
	v_and_or_b32 v55, 0x1c00, v55, v0
	s_delay_alu instid0(VALU_DEP_2) | instskip(NEXT) | instid1(VALU_DEP_1)
	v_and_b32_e32 v53, 62, v53
	v_lshl_add_u32 v64, v55, 2, v53
	v_lshrrev_b32_e32 v55, s16, v57
	s_delay_alu instid0(VALU_DEP_1) | instskip(SKIP_2) | instid1(VALU_DEP_2)
	v_bitop3_b32 v55, v55, s12, v55 bitop3:0x30
	s_wait_dscnt 0x0
	v_add_nc_u16 v65, v52, 1
	v_lshlrev_b32_e32 v57, 10, v55
	ds_store_b16 v63, v65
	ds_load_u16 v53, v64
	v_lshrrev_b32_e32 v55, 2, v55
	v_and_or_b32 v57, 0x1c00, v57, v0
	s_delay_alu instid0(VALU_DEP_2) | instskip(NEXT) | instid1(VALU_DEP_1)
	v_and_b32_e32 v55, 62, v55
	v_lshl_add_u32 v65, v57, 2, v55
	v_lshrrev_b32_e32 v57, s16, v66
	s_delay_alu instid0(VALU_DEP_1) | instskip(SKIP_2) | instid1(VALU_DEP_2)
	v_bitop3_b32 v57, v57, s12, v57 bitop3:0x30
	s_wait_dscnt 0x0
	v_add_nc_u16 v67, v53, 1
	v_dual_lshlrev_b32 v66, 10, v57 :: v_dual_lshrrev_b32 v57, 2, v57
	ds_store_b16 v64, v67
	ds_load_u16 v55, v65
	v_and_or_b32 v66, 0x1c00, v66, v0
	v_and_b32_e32 v57, 62, v57
	s_delay_alu instid0(VALU_DEP_1)
	v_lshl_add_u32 v66, v66, 2, v57
	s_wait_dscnt 0x0
	v_add_nc_u16 v67, v55, 1
	ds_store_b16 v65, v67
	ds_load_u16 v57, v66
	v_lshlrev_b32_e32 v67, 5, v0
	s_wait_dscnt 0x0
	v_add_nc_u16 v68, v57, 1
	ds_store_b16 v66, v68
	s_wait_storecnt_dscnt 0x0
	s_barrier_signal -1
	s_barrier_wait -1
	ds_load_2addr_b64 v[68:71], v67 offset1:1
	ds_load_2addr_b64 v[72:75], v67 offset0:2 offset1:3
	s_wait_dscnt 0x1
	v_add_nc_u32_e32 v68, v69, v68
	s_delay_alu instid0(VALU_DEP_1) | instskip(SKIP_1) | instid1(VALU_DEP_1)
	v_add3_u32 v68, v68, v70, v71
	s_wait_dscnt 0x0
	v_add3_u32 v69, v68, v72, v73
	v_mbcnt_lo_u32_b32 v68, -1, 0
	v_and_b32_e32 v72, 31, v0
	s_delay_alu instid0(VALU_DEP_3) | instskip(NEXT) | instid1(VALU_DEP_3)
	v_add3_u32 v69, v69, v74, v75
	v_and_b32_e32 v70, 15, v68
	s_delay_alu instid0(VALU_DEP_2) | instskip(NEXT) | instid1(VALU_DEP_2)
	v_mov_b32_dpp v71, v69 row_shr:1 row_mask:0xf bank_mask:0xf
	v_cmp_eq_u32_e32 vcc_lo, 0, v70
	v_cmp_lt_u32_e64 s2, 1, v70
	v_cmp_lt_u32_e64 s3, 3, v70
	;; [unrolled: 1-line block ×3, first 2 shown]
	v_cndmask_b32_e64 v71, v71, 0, vcc_lo
	s_delay_alu instid0(VALU_DEP_1) | instskip(NEXT) | instid1(VALU_DEP_1)
	v_add_nc_u32_e32 v69, v71, v69
	v_mov_b32_dpp v71, v69 row_shr:2 row_mask:0xf bank_mask:0xf
	s_delay_alu instid0(VALU_DEP_1) | instskip(NEXT) | instid1(VALU_DEP_1)
	v_cndmask_b32_e64 v71, 0, v71, s2
	v_add_nc_u32_e32 v69, v69, v71
	s_delay_alu instid0(VALU_DEP_1) | instskip(NEXT) | instid1(VALU_DEP_1)
	v_mov_b32_dpp v71, v69 row_shr:4 row_mask:0xf bank_mask:0xf
	v_cndmask_b32_e64 v71, 0, v71, s3
	s_delay_alu instid0(VALU_DEP_1) | instskip(NEXT) | instid1(VALU_DEP_1)
	v_add_nc_u32_e32 v69, v69, v71
	v_mov_b32_dpp v71, v69 row_shr:8 row_mask:0xf bank_mask:0xf
	s_delay_alu instid0(VALU_DEP_1) | instskip(SKIP_1) | instid1(VALU_DEP_2)
	v_cndmask_b32_e64 v70, 0, v71, s4
	v_bfe_i32 v71, v68, 4, 1
	v_add_nc_u32_e32 v69, v69, v70
	ds_swizzle_b32 v70, v69 offset:swizzle(BROADCAST,32,15)
	s_wait_dscnt 0x0
	v_dual_lshrrev_b32 v71, 5, v0 :: v_dual_bitop2_b32 v70, v71, v70 bitop3:0x40
	s_delay_alu instid0(VALU_DEP_1) | instskip(NEXT) | instid1(VALU_DEP_2)
	v_dual_add_nc_u32 v69, v69, v70 :: v_dual_bitop2_b32 v73, 16, v68 bitop3:0x40
	v_lshlrev_b32_e32 v70, 2, v71
	s_delay_alu instid0(VALU_DEP_2)
	v_cmp_eq_u32_e64 s5, 0, v73
	v_cmpx_eq_u32_e32 31, v72
; %bb.118:
	ds_store_b32 v70, v69 offset:32768
; %bb.119:
	s_or_b32 exec_lo, exec_lo, s7
	v_cmp_lt_u32_e64 s6, 31, v0
	s_mov_b32 s13, exec_lo
	s_wait_dscnt 0x0
	s_barrier_signal -1
	s_barrier_wait -1
	v_cmpx_gt_u32_e32 32, v0
	s_cbranch_execz .LBB355_121
; %bb.120:
	v_mad_i32_i24 v71, 0xffffffe4, v0, v67
	ds_load_b32 v72, v71 offset:32768
	s_wait_dscnt 0x0
	v_mov_b32_dpp v73, v72 row_shr:1 row_mask:0xf bank_mask:0xf
	s_delay_alu instid0(VALU_DEP_1) | instskip(NEXT) | instid1(VALU_DEP_1)
	v_cndmask_b32_e64 v73, v73, 0, vcc_lo
	v_add_nc_u32_e32 v72, v73, v72
	s_delay_alu instid0(VALU_DEP_1) | instskip(NEXT) | instid1(VALU_DEP_1)
	v_mov_b32_dpp v73, v72 row_shr:2 row_mask:0xf bank_mask:0xf
	v_cndmask_b32_e64 v73, 0, v73, s2
	s_delay_alu instid0(VALU_DEP_1) | instskip(NEXT) | instid1(VALU_DEP_1)
	v_add_nc_u32_e32 v72, v72, v73
	v_mov_b32_dpp v73, v72 row_shr:4 row_mask:0xf bank_mask:0xf
	s_delay_alu instid0(VALU_DEP_1) | instskip(NEXT) | instid1(VALU_DEP_1)
	v_cndmask_b32_e64 v73, 0, v73, s3
	v_add_nc_u32_e32 v72, v72, v73
	s_delay_alu instid0(VALU_DEP_1) | instskip(NEXT) | instid1(VALU_DEP_1)
	v_mov_b32_dpp v73, v72 row_shr:8 row_mask:0xf bank_mask:0xf
	v_cndmask_b32_e64 v73, 0, v73, s4
	s_delay_alu instid0(VALU_DEP_1) | instskip(SKIP_3) | instid1(VALU_DEP_1)
	v_add_nc_u32_e32 v72, v72, v73
	ds_swizzle_b32 v73, v72 offset:swizzle(BROADCAST,32,15)
	s_wait_dscnt 0x0
	v_cndmask_b32_e64 v73, v73, 0, s5
	v_add_nc_u32_e32 v72, v72, v73
	ds_store_b32 v71, v72 offset:32768
.LBB355_121:
	s_or_b32 exec_lo, exec_lo, s13
	v_dual_mov_b32 v72, 0 :: v_dual_mov_b32 v71, 0
	s_wait_dscnt 0x0
	s_barrier_signal -1
	s_barrier_wait -1
	s_and_saveexec_b32 s2, s6
; %bb.122:
	ds_load_b32 v71, v70 offset:32764
; %bb.123:
	s_or_b32 exec_lo, exec_lo, s2
	v_sub_co_u32 v70, vcc_lo, v68, 1
	s_wait_dscnt 0x0
	v_add_nc_u32_e32 v69, v71, v69
	s_delay_alu instid0(VALU_DEP_2) | instskip(NEXT) | instid1(VALU_DEP_1)
	v_cmp_gt_i32_e64 s2, 0, v70
	v_cndmask_b32_e64 v68, v70, v68, s2
	v_cmp_gt_u32_e64 s2, 16, v0
	s_delay_alu instid0(VALU_DEP_2)
	v_lshlrev_b32_e32 v68, 2, v68
	ds_bpermute_b32 v68, v68, v69
	ds_load_b32 v69, v72 offset:32892
	ds_load_2addr_b64 v[72:75], v67 offset1:1
	ds_load_b32 v76, v67 offset:24
	s_wait_dscnt 0x3
	v_cndmask_b32_e32 v68, v68, v71, vcc_lo
	ds_load_b64 v[70:71], v67 offset:16
	v_cmp_lt_u32_e32 vcc_lo, 15, v0
	s_wait_dscnt 0x3
	v_lshl_add_u32 v68, v69, 16, v68
	s_wait_dscnt 0x2
	s_delay_alu instid0(VALU_DEP_1) | instskip(NEXT) | instid1(VALU_DEP_1)
	v_add_nc_u32_e32 v69, v68, v72
	v_add_nc_u32_e32 v72, v73, v69
	s_delay_alu instid0(VALU_DEP_1) | instskip(NEXT) | instid1(VALU_DEP_1)
	v_add_nc_u32_e32 v73, v74, v72
	v_add_nc_u32_e32 v74, v75, v73
	s_wait_dscnt 0x0
	s_delay_alu instid0(VALU_DEP_1) | instskip(NEXT) | instid1(VALU_DEP_1)
	v_add_nc_u32_e32 v75, v70, v74
	v_add_nc_u32_e32 v70, v71, v75
	s_delay_alu instid0(VALU_DEP_1)
	v_add_nc_u32_e32 v71, v76, v70
	ds_store_2addr_b64 v67, v[68:69], v[72:73] offset1:1
	ds_store_2addr_b64 v67, v[74:75], v[70:71] offset0:2 offset1:3
	s_wait_dscnt 0x0
	s_barrier_signal -1
	s_barrier_wait -1
	ds_load_u16 v17, v17
	ds_load_u16 v20, v20
	;; [unrolled: 1-line block ×22, first 2 shown]
	v_mov_b64_e32 v[2:3], 0
                                        ; implicit-def: $vgpr4
	s_and_saveexec_b32 s4, s2
	s_cbranch_execz .LBB355_127
; %bb.124:
	v_dual_lshlrev_b32 v2, 12, v0 :: v_dual_lshrrev_b32 v3, 2, v0
	v_add_nc_u32_e32 v4, 1, v0
	s_mov_b32 s5, exec_lo
	s_delay_alu instid0(VALU_DEP_2)
	v_bitop3_b32 v2, v2, 0x70fe, v3 bitop3:0xc8
	v_mov_b32_e32 v3, 0x5800
	ds_load_u16 v2, v2
	v_cmpx_ne_u32_e32 16, v4
; %bb.125:
	v_dual_lshlrev_b32 v3, 12, v4 :: v_dual_lshrrev_b32 v4, 2, v4
	s_delay_alu instid0(VALU_DEP_1)
	v_bitop3_b32 v3, v3, 0x71fe, v4 bitop3:0xc8
	ds_load_u16 v3, v3
; %bb.126:
	s_or_b32 exec_lo, exec_lo, s5
	s_wait_dscnt 0x0
	v_and_b32_e32 v2, 0xffff, v2
	s_mov_b32 s3, 0
	s_delay_alu instid0(VALU_DEP_1) | instid1(SALU_CYCLE_1)
	v_dual_mov_b32 v3, s3 :: v_dual_sub_nc_u32 v4, v3, v2
.LBB355_127:
	s_or_b32 exec_lo, exec_lo, s4
	s_wait_dscnt 0x15
	v_and_b32_e32 v17, 0xffff, v17
	v_and_b32_e32 v11, 0xffff, v11
	s_wait_dscnt 0x14
	v_and_b32_e32 v20, 0xffff, v20
	v_and_b32_e32 v14, 0xffff, v14
	;; [unrolled: 3-line block ×4, first 2 shown]
	v_dual_add_nc_u32 v11, v17, v11 :: v_dual_add_nc_u32 v14, v20, v14
	s_wait_dscnt 0x11
	v_and_b32_e32 v34, 0xffff, v34
	v_and_b32_e32 v21, 0xffff, v21
	s_wait_dscnt 0x10
	v_and_b32_e32 v41, 0xffff, v41
	v_and_b32_e32 v25, 0xffff, v25
	v_add_nc_u32_e32 v15, v67, v15
	s_wait_dscnt 0xf
	v_and_b32_e32 v68, 0xffff, v68
	v_and_b32_e32 v29, 0xffff, v29
	s_wait_dscnt 0xe
	v_and_b32_e32 v47, 0xffff, v47
	v_and_b32_e32 v31, 0xffff, v31
	;; [unrolled: 3-line block ×3, first 2 shown]
	s_wait_dscnt 0x0
	s_barrier_signal -1
	s_barrier_wait -1
	ds_store_b8 v11, v1 offset:128
	ds_store_b8 v14, v7 offset:128
	;; [unrolled: 1-line block ×3, first 2 shown]
	v_dual_add_nc_u32 v1, v27, v19 :: v_dual_add_nc_u32 v10, v41, v25
	v_and_b32_e32 v51, 0xffff, v51
	v_and_b32_e32 v35, 0xffff, v35
	v_add_nc_u32_e32 v7, v34, v21
	v_and_b32_e32 v69, 0xffff, v69
	v_and_b32_e32 v38, 0xffff, v38
	;; [unrolled: 1-line block ×4, first 2 shown]
	v_dual_add_nc_u32 v11, v68, v29 :: v_dual_add_nc_u32 v14, v47, v31
	v_and_b32_e32 v56, 0xffff, v56
	v_and_b32_e32 v43, 0xffff, v43
	;; [unrolled: 1-line block ×4, first 2 shown]
	ds_store_b8 v1, v12 offset:128
	ds_store_b8 v7, v13 offset:128
	;; [unrolled: 1-line block ×5, first 2 shown]
	v_dual_add_nc_u32 v1, v49, v33 :: v_dual_add_nc_u32 v6, v51, v35
	v_and_b32_e32 v59, 0xffff, v59
	v_and_b32_e32 v45, 0xffff, v45
	;; [unrolled: 1-line block ×4, first 2 shown]
	v_dual_add_nc_u32 v7, v69, v38 :: v_dual_add_nc_u32 v10, v54, v40
	v_and_b32_e32 v61, 0xffff, v61
	v_and_b32_e32 v48, 0xffff, v48
	v_and_b32_e32 v62, 0xffff, v62
	v_and_b32_e32 v50, 0xffff, v50
	v_add_nc_u32_e32 v11, v56, v43
	ds_store_b8 v1, v22 offset:128
	ds_store_b8 v6, v23 offset:128
	;; [unrolled: 1-line block ×5, first 2 shown]
	v_dual_add_nc_u32 v1, v58, v44 :: v_dual_add_nc_u32 v6, v59, v45
	v_dual_add_nc_u32 v7, v60, v46 :: v_dual_add_nc_u32 v10, v61, v48
	v_add_nc_u32_e32 v11, v62, v50
	v_and_b32_e32 v63, 0xffff, v63
	v_and_b32_e32 v66, 0xffff, v66
	;; [unrolled: 1-line block ×4, first 2 shown]
	ds_store_b8 v1, v30 offset:128
	ds_store_b8 v6, v32 offset:128
	;; [unrolled: 1-line block ×5, first 2 shown]
	v_mov_b32_e32 v7, 0
	v_and_b32_e32 v64, 0xffff, v64
	v_and_b32_e32 v53, 0xffff, v53
	v_and_b32_e32 v65, 0xffff, v65
	v_and_b32_e32 v55, 0xffff, v55
	v_dual_add_nc_u32 v6, v63, v52 :: v_dual_add_nc_u32 v12, v66, v57
	v_dual_mov_b32 v1, v7 :: v_dual_lshlrev_b32 v5, 3, v0
	s_delay_alu instid0(VALU_DEP_3)
	v_dual_add_nc_u32 v10, v64, v53 :: v_dual_add_nc_u32 v11, v65, v55
	s_not_b32 s3, s12
	ds_store_b8 v6, v37 offset:128
	ds_store_b8 v10, v8 offset:128
	;; [unrolled: 1-line block ×4, first 2 shown]
	s_and_saveexec_b32 s4, s2
	s_cbranch_execz .LBB355_137
; %bb.128:
	v_lshl_add_u32 v6, s19, 4, v0
	v_dual_mov_b32 v10, 0 :: v_dual_bitop2_b32 v11, 2.0, v4 bitop3:0x54
	s_mov_b32 s5, 0
	s_mov_b32 s6, s19
	s_delay_alu instid0(VALU_DEP_2)
	v_lshl_add_u64 v[8:9], v[6:7], 2, s[20:21]
	global_store_b32 v6, v11, s[20:21] scale_offset scope:SCOPE_DEV
                                        ; implicit-def: $sgpr2
	s_branch .LBB355_131
.LBB355_129:                            ;   in Loop: Header=BB355_131 Depth=1
	s_or_b32 exec_lo, exec_lo, s12
.LBB355_130:                            ;   in Loop: Header=BB355_131 Depth=1
	s_delay_alu instid0(SALU_CYCLE_1) | instskip(SKIP_2) | instid1(VALU_DEP_2)
	s_or_b32 exec_lo, exec_lo, s7
	v_and_b32_e32 v6, 0x3fffffff, v11
	v_cmp_gt_i32_e64 s2, -2.0, v11
	v_add_nc_u32_e32 v10, v6, v10
	s_and_b32 s7, exec_lo, s2
	s_delay_alu instid0(SALU_CYCLE_1) | instskip(NEXT) | instid1(SALU_CYCLE_1)
	s_or_b32 s5, s7, s5
	s_and_not1_b32 exec_lo, exec_lo, s5
	s_cbranch_execz .LBB355_136
.LBB355_131:                            ; =>This Loop Header: Depth=1
                                        ;     Child Loop BB355_134 Depth 2
	s_or_b32 s2, s2, exec_lo
	s_cmp_eq_u32 s6, 0
	s_cbranch_scc1 .LBB355_135
; %bb.132:                              ;   in Loop: Header=BB355_131 Depth=1
	s_add_co_i32 s6, s6, -1
	s_mov_b32 s7, exec_lo
	s_wait_xcnt 0x0
	v_lshl_or_b32 v6, s6, 4, v0
	global_load_b32 v11, v6, s[20:21] scale_offset scope:SCOPE_DEV
	s_wait_loadcnt 0x0
	v_cmpx_gt_u32_e32 2.0, v11
	s_cbranch_execz .LBB355_130
; %bb.133:                              ;   in Loop: Header=BB355_131 Depth=1
	v_lshl_add_u64 v[12:13], v[6:7], 2, s[20:21]
	s_mov_b32 s12, 0
.LBB355_134:                            ;   Parent Loop BB355_131 Depth=1
                                        ; =>  This Inner Loop Header: Depth=2
	global_load_b32 v11, v[12:13], off scope:SCOPE_DEV
	s_wait_loadcnt 0x0
	v_cmp_lt_u32_e64 s2, 0x3fffffff, v11
	s_or_b32 s12, s2, s12
	s_wait_xcnt 0x0
	s_and_not1_b32 exec_lo, exec_lo, s12
	s_cbranch_execnz .LBB355_134
	s_branch .LBB355_129
.LBB355_135:                            ;   in Loop: Header=BB355_131 Depth=1
                                        ; implicit-def: $sgpr6
	s_and_b32 s7, exec_lo, s2
	s_delay_alu instid0(SALU_CYCLE_1)
	s_or_b32 s5, s7, s5
	s_wait_xcnt 0x0
	s_and_not1_b32 exec_lo, exec_lo, s5
	s_cbranch_execnz .LBB355_131
.LBB355_136:
	s_or_b32 exec_lo, exec_lo, s5
	v_dual_mov_b32 v11, 0 :: v_dual_add_nc_u32 v6, v10, v4
	s_delay_alu instid0(VALU_DEP_1) | instskip(SKIP_4) | instid1(VALU_DEP_1)
	v_or_b32_e32 v6, 0x80000000, v6
	global_store_b32 v[8:9], v6, off scope:SCOPE_DEV
	global_load_b64 v[6:7], v0, s[8:9] scale_offset
	v_sub_nc_u64_e32 v[8:9], v[10:11], v[2:3]
	s_wait_loadcnt 0x0
	v_add_nc_u64_e32 v[6:7], v[8:9], v[6:7]
	ds_store_b64 v5, v[6:7]
.LBB355_137:
	s_wait_xcnt 0x0
	s_or_b32 exec_lo, exec_lo, s4
	s_wait_storecnt_dscnt 0x0
	s_barrier_signal -1
	s_barrier_wait -1
	ds_load_u8 v26, v0 offset:20608
	ds_load_u8 v27, v0 offset:21632
	ds_load_u8 v28, v0 offset:18560
	ds_load_u8 v29, v0 offset:19584
	ds_load_u8 v20, v0 offset:128
	ds_load_u8 v8, v0 offset:1152
	ds_load_u8 v10, v0 offset:2176
	ds_load_u8 v30, v0 offset:3200
	ds_load_u8 v31, v0 offset:4224
	ds_load_u8 v32, v0 offset:5248
	ds_load_u8 v33, v0 offset:6272
	ds_load_u8 v34, v0 offset:7296
	ds_load_u8 v35, v0 offset:8320
	ds_load_u8 v36, v0 offset:9344
	ds_load_u8 v37, v0 offset:10368
	ds_load_u8 v38, v0 offset:11392
	ds_load_u8 v39, v0 offset:12416
	ds_load_u8 v40, v0 offset:13440
	ds_load_u8 v41, v0 offset:14464
	ds_load_u8 v42, v0 offset:15488
	ds_load_u8 v43, v0 offset:16512
	ds_load_u8 v44, v0 offset:17536
	s_wait_dscnt 0xf
	v_and_b32_e32 v12, 0xff, v10
	v_xor_b32_e32 v45, 0x7f, v10
	s_wait_dscnt 0xe
	v_and_b32_e32 v10, 0xff, v30
	s_wait_dscnt 0xd
	v_and_b32_e32 v18, 0xff, v31
	v_and_b32_e32 v6, 0xff, v26
	;; [unrolled: 1-line block ×5, first 2 shown]
	v_dual_lshrrev_b32 v12, s16, v12 :: v_dual_lshrrev_b32 v10, s16, v10
	s_delay_alu instid0(VALU_DEP_4) | instskip(NEXT) | instid1(VALU_DEP_3)
	v_dual_lshrrev_b32 v6, s16, v6 :: v_dual_lshrrev_b32 v7, s16, v7
	v_dual_lshrrev_b32 v13, s16, v13 :: v_dual_lshrrev_b32 v11, s16, v11
	s_delay_alu instid0(VALU_DEP_3) | instskip(NEXT) | instid1(VALU_DEP_4)
	v_and_b32_e32 v10, s3, v10
	v_and_b32_e32 v12, s3, v12
	s_delay_alu instid0(VALU_DEP_4) | instskip(SKIP_4) | instid1(VALU_DEP_4)
	v_and_b32_e32 v7, s3, v7
	v_and_b32_e32 v6, s3, v6
	;; [unrolled: 1-line block ×4, first 2 shown]
	v_xor_b32_e32 v24, 0x7f, v8
	v_dual_lshlrev_b32 v9, 3, v7 :: v_dual_lshlrev_b32 v6, 3, v6
	s_delay_alu instid0(VALU_DEP_3)
	v_dual_lshlrev_b32 v14, 3, v11 :: v_dual_lshlrev_b32 v13, 3, v13
	ds_load_b64 v[6:7], v6
	ds_load_b64 v[8:9], v9
	v_dual_lshlrev_b32 v16, 3, v10 :: v_dual_lshlrev_b32 v15, 3, v12
	ds_load_b64 v[10:11], v13
	ds_load_b64 v[12:13], v14
	s_wait_dscnt 0x10
	v_and_b32_e32 v19, 0xff, v32
	s_wait_dscnt 0xf
	v_and_b32_e32 v21, 0xff, v33
	;; [unrolled: 2-line block ×3, first 2 shown]
	v_lshrrev_b32_e32 v18, s16, v18
	ds_load_b64 v[14:15], v15
	ds_load_b64 v[16:17], v16
	v_lshrrev_b32_e32 v19, s16, v19
	s_wait_dscnt 0xf
	v_and_b32_e32 v23, 0xff, v35
	s_wait_dscnt 0xe
	v_and_b32_e32 v25, 0xff, v36
	v_dual_lshrrev_b32 v21, s16, v21 :: v_dual_lshrrev_b32 v22, s16, v22
	v_and_b32_e32 v19, s3, v19
	v_and_b32_e32 v18, s3, v18
	s_wait_dscnt 0xd
	v_and_b32_e32 v46, 0xff, v37
	v_dual_lshrrev_b32 v23, s16, v23 :: v_dual_lshrrev_b32 v25, s16, v25
	v_and_b32_e32 v48, s3, v22
	v_dual_lshlrev_b32 v22, 3, v19 :: v_dual_bitop2_b32 v21, s3, v21 bitop3:0x40
	v_lshlrev_b32_e32 v18, 3, v18
	s_wait_dscnt 0x3
	v_add_nc_u64_e32 v[10:11], s[14:15], v[10:11]
	s_wait_dscnt 0x2
	v_add_nc_u64_e32 v[12:13], s[14:15], v[12:13]
	v_dual_lshrrev_b32 v46, s16, v46 :: v_dual_bitop2_b32 v25, s3, v25 bitop3:0x40
	v_dual_lshlrev_b32 v23, 3, v21 :: v_dual_bitop2_b32 v49, s3, v23 bitop3:0x40
	ds_load_b64 v[18:19], v18
	v_add_nc_u64_e32 v[10:11], v[10:11], v[0:1]
	v_add_nc_u64_e32 v[12:13], v[12:13], v[0:1]
	v_xor_b32_e32 v50, 0x7f, v20
	ds_load_b64 v[20:21], v22
	ds_load_b64 v[22:23], v23
	v_and_b32_e32 v47, 0xff, v38
	s_wait_dscnt 0x4
	v_add_nc_u64_e32 v[14:15], s[14:15], v[14:15]
	s_wait_dscnt 0x3
	v_add_nc_u64_e32 v[16:17], s[14:15], v[16:17]
	s_clause 0x1
	global_store_b8 v[10:11], v50, off
	global_store_b8 v[12:13], v24, off offset:1024
	s_wait_xcnt 0x0
	v_dual_lshlrev_b32 v10, 3, v48 :: v_dual_lshlrev_b32 v24, 3, v25
	v_dual_lshlrev_b32 v12, 3, v49 :: v_dual_lshrrev_b32 v47, s16, v47
	v_add_nc_u64_e32 v[14:15], v[14:15], v[0:1]
	ds_load_b64 v[10:11], v10
	ds_load_b64 v[12:13], v12
	;; [unrolled: 1-line block ×3, first 2 shown]
	v_and_b32_e32 v46, s3, v46
	v_and_b32_e32 v47, s3, v47
	v_add_nc_u64_e32 v[16:17], v[16:17], v[0:1]
	v_xor_b32_e32 v30, 0x7f, v30
	global_store_b8 v[14:15], v45, off offset:2048
	s_wait_xcnt 0x0
	v_lshlrev_b32_e32 v45, 3, v46
	s_wait_dscnt 0x5
	v_add_nc_u64_e32 v[14:15], s[14:15], v[18:19]
	v_lshlrev_b32_e32 v46, 3, v47
	s_wait_dscnt 0x3
	v_add_nc_u64_e32 v[18:19], s[14:15], v[22:23]
	global_store_b8 v[16:17], v30, off offset:3072
	s_wait_xcnt 0x0
	v_add_nc_u64_e32 v[16:17], s[14:15], v[20:21]
	ds_load_b64 v[20:21], v45
	ds_load_b64 v[22:23], v46
	v_xor_b32_e32 v30, 0x7f, v31
	v_add_nc_u64_e32 v[14:15], v[14:15], v[0:1]
	v_xor_b32_e32 v31, 0x7f, v32
	v_add_nc_u64_e32 v[18:19], v[18:19], v[0:1]
	v_xor_b32_e32 v32, 0x7f, v33
	s_wait_dscnt 0x4
	v_add_nc_u64_e32 v[10:11], s[14:15], v[10:11]
	s_wait_dscnt 0x3
	v_add_nc_u64_e32 v[12:13], s[14:15], v[12:13]
	v_add_nc_u64_e32 v[16:17], v[16:17], v[0:1]
	global_store_b8 v[14:15], v30, off offset:4096
	s_wait_dscnt 0x2
	s_wait_xcnt 0x0
	v_add_nc_u64_e32 v[14:15], s[14:15], v[24:25]
	s_clause 0x1
	global_store_b8 v[16:17], v31, off offset:5120
	global_store_b8 v[18:19], v32, off offset:6144
	v_add_nc_u64_e32 v[10:11], v[10:11], v[0:1]
	v_add_nc_u64_e32 v[14:15], v[14:15], v[0:1]
	;; [unrolled: 1-line block ×3, first 2 shown]
	v_xor_b32_e32 v24, 0x7f, v34
	v_xor_b32_e32 v30, 0x7f, v36
	s_wait_dscnt 0x1
	s_wait_xcnt 0x1
	v_add_nc_u64_e32 v[16:17], s[14:15], v[20:21]
	v_and_b32_e32 v20, 0xff, v39
	v_xor_b32_e32 v25, 0x7f, v35
	s_clause 0x2
	global_store_b8 v[10:11], v24, off offset:7168
	global_store_b8 v[12:13], v25, off offset:8192
	global_store_b8 v[14:15], v30, off offset:9216
	s_wait_xcnt 0x0
	v_lshrrev_b32_e32 v14, s16, v20
	v_and_b32_e32 v15, 0xff, v40
	s_wait_dscnt 0x0
	v_add_nc_u64_e32 v[18:19], s[14:15], v[22:23]
	v_add_nc_u64_e32 v[10:11], v[16:17], v[0:1]
	v_and_b32_e32 v16, 0xff, v41
	v_and_b32_e32 v17, 0xff, v42
	v_dual_lshrrev_b32 v15, s16, v15 :: v_dual_bitop2_b32 v14, s3, v14 bitop3:0x40
	v_and_b32_e32 v23, 0xff, v44
	v_add_nc_u64_e32 v[12:13], v[18:19], v[0:1]
	v_and_b32_e32 v18, 0xff, v43
	v_dual_lshrrev_b32 v16, s16, v16 :: v_dual_lshrrev_b32 v17, s16, v17
	v_dual_lshlrev_b32 v14, 3, v14 :: v_dual_bitop2_b32 v19, s3, v15 bitop3:0x40
	s_delay_alu instid0(VALU_DEP_2)
	v_dual_lshrrev_b32 v18, s16, v18 :: v_dual_bitop2_b32 v16, s3, v16 bitop3:0x40
	v_and_b32_e32 v25, 0xff, v28
	ds_load_b64 v[14:15], v14
	v_dual_lshlrev_b32 v19, 3, v19 :: v_dual_bitop2_b32 v17, s3, v17 bitop3:0x40
	v_dual_lshlrev_b32 v20, 3, v16 :: v_dual_bitop2_b32 v18, s3, v18 bitop3:0x40
	v_and_b32_e32 v30, 0xff, v29
	v_xor_b32_e32 v24, 0x7f, v37
	s_delay_alu instid0(VALU_DEP_4) | instskip(NEXT) | instid1(VALU_DEP_4)
	v_dual_lshlrev_b32 v21, 3, v17 :: v_dual_lshrrev_b32 v31, s16, v23
	v_lshlrev_b32_e32 v22, 3, v18
	ds_load_b64 v[16:17], v19
	ds_load_b64 v[18:19], v20
	;; [unrolled: 1-line block ×3, first 2 shown]
	v_dual_lshrrev_b32 v25, s16, v25 :: v_dual_lshrrev_b32 v30, s16, v30
	v_xor_b32_e32 v32, 0x7f, v38
	global_store_b8 v[10:11], v24, off offset:10240
	ds_load_b64 v[22:23], v22
	s_wait_xcnt 0x0
	v_and_b32_e32 v10, s3, v25
	v_and_b32_e32 v31, s3, v31
	global_store_b8 v[12:13], v32, off offset:11264
	s_wait_xcnt 0x0
	v_and_b32_e32 v12, s3, v30
	v_xor_b32_e32 v30, 0x7f, v39
	v_dual_lshlrev_b32 v24, 3, v10 :: v_dual_lshlrev_b32 v13, 3, v31
	s_wait_dscnt 0x4
	v_add_nc_u64_e32 v[10:11], s[14:15], v[14:15]
	v_lshlrev_b32_e32 v25, 3, v12
	v_xor_b32_e32 v31, 0x7f, v40
	v_xor_b32_e32 v32, 0x7f, v41
	;; [unrolled: 1-line block ×3, first 2 shown]
	s_wait_dscnt 0x3
	v_add_nc_u64_e32 v[14:15], s[14:15], v[16:17]
	ds_load_b64 v[16:17], v24
	ds_load_b64 v[12:13], v13
	;; [unrolled: 1-line block ×3, first 2 shown]
	s_wait_dscnt 0x5
	v_add_nc_u64_e32 v[18:19], s[14:15], v[18:19]
	s_wait_dscnt 0x4
	v_add_nc_u64_e32 v[20:21], s[14:15], v[20:21]
	v_add_nc_u64_e32 v[10:11], v[10:11], v[0:1]
	;; [unrolled: 1-line block ×3, first 2 shown]
	s_wait_dscnt 0x3
	v_add_nc_u64_e32 v[22:23], s[14:15], v[22:23]
	v_add_nc_u64_e32 v[6:7], s[14:15], v[6:7]
	;; [unrolled: 1-line block ×5, first 2 shown]
	s_clause 0x3
	global_store_b8 v[10:11], v30, off offset:12288
	global_store_b8 v[14:15], v31, off offset:13312
	global_store_b8 v[18:19], v32, off offset:14336
	global_store_b8 v[20:21], v33, off offset:15360
	v_add_nc_u64_e32 v[22:23], v[22:23], v[0:1]
	s_wait_xcnt 0x3
	v_xor_b32_e32 v30, 0x7f, v43
	v_add_nc_u64_e32 v[6:7], v[6:7], v[0:1]
	s_wait_xcnt 0x1
	v_xor_b32_e32 v18, 0x7f, v29
	s_wait_dscnt 0x1
	v_add_nc_u64_e32 v[10:11], s[14:15], v[12:13]
	v_add_nc_u64_e32 v[12:13], s[14:15], v[16:17]
	s_wait_dscnt 0x0
	v_add_nc_u64_e32 v[14:15], s[14:15], v[24:25]
	v_xor_b32_e32 v16, 0x7f, v44
	v_xor_b32_e32 v17, 0x7f, v28
	v_add_nc_u64_e32 v[8:9], v[8:9], v[0:1]
	v_xor_b32_e32 v19, 0x7f, v27
	v_add_nc_u64_e32 v[10:11], v[10:11], v[0:1]
	v_add_nc_u64_e32 v[12:13], v[12:13], v[0:1]
	;; [unrolled: 1-line block ×3, first 2 shown]
	v_xor_b32_e32 v1, 0x7f, v26
	s_clause 0x5
	global_store_b8 v[22:23], v30, off offset:16384
	global_store_b8 v[10:11], v16, off offset:17408
	;; [unrolled: 1-line block ×6, first 2 shown]
	s_load_b32 s0, s[0:1], 0x58
	s_wait_kmcnt 0x0
	s_add_co_i32 s0, s0, -1
	s_delay_alu instid0(SALU_CYCLE_1) | instskip(SKIP_2) | instid1(SALU_CYCLE_1)
	s_cmp_eq_u32 s19, s0
	s_cselect_b32 s0, -1, 0
	s_xor_b32 s1, vcc_lo, -1
	s_and_b32 s0, s1, s0
	s_delay_alu instid0(SALU_CYCLE_1)
	s_and_saveexec_b32 s1, s0
	s_cbranch_execz .LBB355_139
; %bb.138:
	ds_load_b64 v[6:7], v5
	v_mov_b32_e32 v5, 0
	s_delay_alu instid0(VALU_DEP_1) | instskip(SKIP_1) | instid1(VALU_DEP_1)
	v_add_nc_u64_e32 v[2:3], v[2:3], v[4:5]
	s_wait_dscnt 0x0
	v_add_nc_u64_e32 v[2:3], v[2:3], v[6:7]
	global_store_b64 v0, v[2:3], s[10:11] scale_offset
.LBB355_139:
	s_sendmsg sendmsg(MSG_DEALLOC_VGPRS)
	s_endpgm
	.section	.rodata,"a",@progbits
	.p2align	6, 0x0
	.amdhsa_kernel _ZN7rocprim17ROCPRIM_400000_NS6detail17trampoline_kernelINS0_14default_configENS1_35radix_sort_onesweep_config_selectorIaNS0_10empty_typeEEEZZNS1_29radix_sort_onesweep_iterationIS3_Lb1EPKaPaPS5_SB_mNS0_19identity_decomposerENS1_16block_id_wrapperIjLb1EEEEE10hipError_tT1_PNSt15iterator_traitsISG_E10value_typeET2_T3_PNSH_ISM_E10value_typeET4_T5_PSR_SS_PNS1_23onesweep_lookback_stateEbbT6_jjT7_P12ihipStream_tbENKUlT_T0_SG_SL_E_clIS9_SA_SB_SB_EEDaSZ_S10_SG_SL_EUlSZ_E_NS1_11comp_targetILNS1_3genE0ELNS1_11target_archE4294967295ELNS1_3gpuE0ELNS1_3repE0EEENS1_47radix_sort_onesweep_sort_config_static_selectorELNS0_4arch9wavefront6targetE0EEEvSG_
		.amdhsa_group_segment_fixed_size 32904
		.amdhsa_private_segment_fixed_size 0
		.amdhsa_kernarg_size 344
		.amdhsa_user_sgpr_count 2
		.amdhsa_user_sgpr_dispatch_ptr 0
		.amdhsa_user_sgpr_queue_ptr 0
		.amdhsa_user_sgpr_kernarg_segment_ptr 1
		.amdhsa_user_sgpr_dispatch_id 0
		.amdhsa_user_sgpr_kernarg_preload_length 0
		.amdhsa_user_sgpr_kernarg_preload_offset 0
		.amdhsa_user_sgpr_private_segment_size 0
		.amdhsa_wavefront_size32 1
		.amdhsa_uses_dynamic_stack 0
		.amdhsa_enable_private_segment 0
		.amdhsa_system_sgpr_workgroup_id_x 1
		.amdhsa_system_sgpr_workgroup_id_y 0
		.amdhsa_system_sgpr_workgroup_id_z 0
		.amdhsa_system_sgpr_workgroup_info 0
		.amdhsa_system_vgpr_workitem_id 0
		.amdhsa_next_free_vgpr 79
		.amdhsa_next_free_sgpr 25
		.amdhsa_named_barrier_count 0
		.amdhsa_reserve_vcc 1
		.amdhsa_float_round_mode_32 0
		.amdhsa_float_round_mode_16_64 0
		.amdhsa_float_denorm_mode_32 3
		.amdhsa_float_denorm_mode_16_64 3
		.amdhsa_fp16_overflow 0
		.amdhsa_memory_ordered 1
		.amdhsa_forward_progress 1
		.amdhsa_inst_pref_size 117
		.amdhsa_round_robin_scheduling 0
		.amdhsa_exception_fp_ieee_invalid_op 0
		.amdhsa_exception_fp_denorm_src 0
		.amdhsa_exception_fp_ieee_div_zero 0
		.amdhsa_exception_fp_ieee_overflow 0
		.amdhsa_exception_fp_ieee_underflow 0
		.amdhsa_exception_fp_ieee_inexact 0
		.amdhsa_exception_int_div_zero 0
	.end_amdhsa_kernel
	.section	.text._ZN7rocprim17ROCPRIM_400000_NS6detail17trampoline_kernelINS0_14default_configENS1_35radix_sort_onesweep_config_selectorIaNS0_10empty_typeEEEZZNS1_29radix_sort_onesweep_iterationIS3_Lb1EPKaPaPS5_SB_mNS0_19identity_decomposerENS1_16block_id_wrapperIjLb1EEEEE10hipError_tT1_PNSt15iterator_traitsISG_E10value_typeET2_T3_PNSH_ISM_E10value_typeET4_T5_PSR_SS_PNS1_23onesweep_lookback_stateEbbT6_jjT7_P12ihipStream_tbENKUlT_T0_SG_SL_E_clIS9_SA_SB_SB_EEDaSZ_S10_SG_SL_EUlSZ_E_NS1_11comp_targetILNS1_3genE0ELNS1_11target_archE4294967295ELNS1_3gpuE0ELNS1_3repE0EEENS1_47radix_sort_onesweep_sort_config_static_selectorELNS0_4arch9wavefront6targetE0EEEvSG_,"axG",@progbits,_ZN7rocprim17ROCPRIM_400000_NS6detail17trampoline_kernelINS0_14default_configENS1_35radix_sort_onesweep_config_selectorIaNS0_10empty_typeEEEZZNS1_29radix_sort_onesweep_iterationIS3_Lb1EPKaPaPS5_SB_mNS0_19identity_decomposerENS1_16block_id_wrapperIjLb1EEEEE10hipError_tT1_PNSt15iterator_traitsISG_E10value_typeET2_T3_PNSH_ISM_E10value_typeET4_T5_PSR_SS_PNS1_23onesweep_lookback_stateEbbT6_jjT7_P12ihipStream_tbENKUlT_T0_SG_SL_E_clIS9_SA_SB_SB_EEDaSZ_S10_SG_SL_EUlSZ_E_NS1_11comp_targetILNS1_3genE0ELNS1_11target_archE4294967295ELNS1_3gpuE0ELNS1_3repE0EEENS1_47radix_sort_onesweep_sort_config_static_selectorELNS0_4arch9wavefront6targetE0EEEvSG_,comdat
.Lfunc_end355:
	.size	_ZN7rocprim17ROCPRIM_400000_NS6detail17trampoline_kernelINS0_14default_configENS1_35radix_sort_onesweep_config_selectorIaNS0_10empty_typeEEEZZNS1_29radix_sort_onesweep_iterationIS3_Lb1EPKaPaPS5_SB_mNS0_19identity_decomposerENS1_16block_id_wrapperIjLb1EEEEE10hipError_tT1_PNSt15iterator_traitsISG_E10value_typeET2_T3_PNSH_ISM_E10value_typeET4_T5_PSR_SS_PNS1_23onesweep_lookback_stateEbbT6_jjT7_P12ihipStream_tbENKUlT_T0_SG_SL_E_clIS9_SA_SB_SB_EEDaSZ_S10_SG_SL_EUlSZ_E_NS1_11comp_targetILNS1_3genE0ELNS1_11target_archE4294967295ELNS1_3gpuE0ELNS1_3repE0EEENS1_47radix_sort_onesweep_sort_config_static_selectorELNS0_4arch9wavefront6targetE0EEEvSG_, .Lfunc_end355-_ZN7rocprim17ROCPRIM_400000_NS6detail17trampoline_kernelINS0_14default_configENS1_35radix_sort_onesweep_config_selectorIaNS0_10empty_typeEEEZZNS1_29radix_sort_onesweep_iterationIS3_Lb1EPKaPaPS5_SB_mNS0_19identity_decomposerENS1_16block_id_wrapperIjLb1EEEEE10hipError_tT1_PNSt15iterator_traitsISG_E10value_typeET2_T3_PNSH_ISM_E10value_typeET4_T5_PSR_SS_PNS1_23onesweep_lookback_stateEbbT6_jjT7_P12ihipStream_tbENKUlT_T0_SG_SL_E_clIS9_SA_SB_SB_EEDaSZ_S10_SG_SL_EUlSZ_E_NS1_11comp_targetILNS1_3genE0ELNS1_11target_archE4294967295ELNS1_3gpuE0ELNS1_3repE0EEENS1_47radix_sort_onesweep_sort_config_static_selectorELNS0_4arch9wavefront6targetE0EEEvSG_
                                        ; -- End function
	.set _ZN7rocprim17ROCPRIM_400000_NS6detail17trampoline_kernelINS0_14default_configENS1_35radix_sort_onesweep_config_selectorIaNS0_10empty_typeEEEZZNS1_29radix_sort_onesweep_iterationIS3_Lb1EPKaPaPS5_SB_mNS0_19identity_decomposerENS1_16block_id_wrapperIjLb1EEEEE10hipError_tT1_PNSt15iterator_traitsISG_E10value_typeET2_T3_PNSH_ISM_E10value_typeET4_T5_PSR_SS_PNS1_23onesweep_lookback_stateEbbT6_jjT7_P12ihipStream_tbENKUlT_T0_SG_SL_E_clIS9_SA_SB_SB_EEDaSZ_S10_SG_SL_EUlSZ_E_NS1_11comp_targetILNS1_3genE0ELNS1_11target_archE4294967295ELNS1_3gpuE0ELNS1_3repE0EEENS1_47radix_sort_onesweep_sort_config_static_selectorELNS0_4arch9wavefront6targetE0EEEvSG_.num_vgpr, 79
	.set _ZN7rocprim17ROCPRIM_400000_NS6detail17trampoline_kernelINS0_14default_configENS1_35radix_sort_onesweep_config_selectorIaNS0_10empty_typeEEEZZNS1_29radix_sort_onesweep_iterationIS3_Lb1EPKaPaPS5_SB_mNS0_19identity_decomposerENS1_16block_id_wrapperIjLb1EEEEE10hipError_tT1_PNSt15iterator_traitsISG_E10value_typeET2_T3_PNSH_ISM_E10value_typeET4_T5_PSR_SS_PNS1_23onesweep_lookback_stateEbbT6_jjT7_P12ihipStream_tbENKUlT_T0_SG_SL_E_clIS9_SA_SB_SB_EEDaSZ_S10_SG_SL_EUlSZ_E_NS1_11comp_targetILNS1_3genE0ELNS1_11target_archE4294967295ELNS1_3gpuE0ELNS1_3repE0EEENS1_47radix_sort_onesweep_sort_config_static_selectorELNS0_4arch9wavefront6targetE0EEEvSG_.num_agpr, 0
	.set _ZN7rocprim17ROCPRIM_400000_NS6detail17trampoline_kernelINS0_14default_configENS1_35radix_sort_onesweep_config_selectorIaNS0_10empty_typeEEEZZNS1_29radix_sort_onesweep_iterationIS3_Lb1EPKaPaPS5_SB_mNS0_19identity_decomposerENS1_16block_id_wrapperIjLb1EEEEE10hipError_tT1_PNSt15iterator_traitsISG_E10value_typeET2_T3_PNSH_ISM_E10value_typeET4_T5_PSR_SS_PNS1_23onesweep_lookback_stateEbbT6_jjT7_P12ihipStream_tbENKUlT_T0_SG_SL_E_clIS9_SA_SB_SB_EEDaSZ_S10_SG_SL_EUlSZ_E_NS1_11comp_targetILNS1_3genE0ELNS1_11target_archE4294967295ELNS1_3gpuE0ELNS1_3repE0EEENS1_47radix_sort_onesweep_sort_config_static_selectorELNS0_4arch9wavefront6targetE0EEEvSG_.numbered_sgpr, 25
	.set _ZN7rocprim17ROCPRIM_400000_NS6detail17trampoline_kernelINS0_14default_configENS1_35radix_sort_onesweep_config_selectorIaNS0_10empty_typeEEEZZNS1_29radix_sort_onesweep_iterationIS3_Lb1EPKaPaPS5_SB_mNS0_19identity_decomposerENS1_16block_id_wrapperIjLb1EEEEE10hipError_tT1_PNSt15iterator_traitsISG_E10value_typeET2_T3_PNSH_ISM_E10value_typeET4_T5_PSR_SS_PNS1_23onesweep_lookback_stateEbbT6_jjT7_P12ihipStream_tbENKUlT_T0_SG_SL_E_clIS9_SA_SB_SB_EEDaSZ_S10_SG_SL_EUlSZ_E_NS1_11comp_targetILNS1_3genE0ELNS1_11target_archE4294967295ELNS1_3gpuE0ELNS1_3repE0EEENS1_47radix_sort_onesweep_sort_config_static_selectorELNS0_4arch9wavefront6targetE0EEEvSG_.num_named_barrier, 0
	.set _ZN7rocprim17ROCPRIM_400000_NS6detail17trampoline_kernelINS0_14default_configENS1_35radix_sort_onesweep_config_selectorIaNS0_10empty_typeEEEZZNS1_29radix_sort_onesweep_iterationIS3_Lb1EPKaPaPS5_SB_mNS0_19identity_decomposerENS1_16block_id_wrapperIjLb1EEEEE10hipError_tT1_PNSt15iterator_traitsISG_E10value_typeET2_T3_PNSH_ISM_E10value_typeET4_T5_PSR_SS_PNS1_23onesweep_lookback_stateEbbT6_jjT7_P12ihipStream_tbENKUlT_T0_SG_SL_E_clIS9_SA_SB_SB_EEDaSZ_S10_SG_SL_EUlSZ_E_NS1_11comp_targetILNS1_3genE0ELNS1_11target_archE4294967295ELNS1_3gpuE0ELNS1_3repE0EEENS1_47radix_sort_onesweep_sort_config_static_selectorELNS0_4arch9wavefront6targetE0EEEvSG_.private_seg_size, 0
	.set _ZN7rocprim17ROCPRIM_400000_NS6detail17trampoline_kernelINS0_14default_configENS1_35radix_sort_onesweep_config_selectorIaNS0_10empty_typeEEEZZNS1_29radix_sort_onesweep_iterationIS3_Lb1EPKaPaPS5_SB_mNS0_19identity_decomposerENS1_16block_id_wrapperIjLb1EEEEE10hipError_tT1_PNSt15iterator_traitsISG_E10value_typeET2_T3_PNSH_ISM_E10value_typeET4_T5_PSR_SS_PNS1_23onesweep_lookback_stateEbbT6_jjT7_P12ihipStream_tbENKUlT_T0_SG_SL_E_clIS9_SA_SB_SB_EEDaSZ_S10_SG_SL_EUlSZ_E_NS1_11comp_targetILNS1_3genE0ELNS1_11target_archE4294967295ELNS1_3gpuE0ELNS1_3repE0EEENS1_47radix_sort_onesweep_sort_config_static_selectorELNS0_4arch9wavefront6targetE0EEEvSG_.uses_vcc, 1
	.set _ZN7rocprim17ROCPRIM_400000_NS6detail17trampoline_kernelINS0_14default_configENS1_35radix_sort_onesweep_config_selectorIaNS0_10empty_typeEEEZZNS1_29radix_sort_onesweep_iterationIS3_Lb1EPKaPaPS5_SB_mNS0_19identity_decomposerENS1_16block_id_wrapperIjLb1EEEEE10hipError_tT1_PNSt15iterator_traitsISG_E10value_typeET2_T3_PNSH_ISM_E10value_typeET4_T5_PSR_SS_PNS1_23onesweep_lookback_stateEbbT6_jjT7_P12ihipStream_tbENKUlT_T0_SG_SL_E_clIS9_SA_SB_SB_EEDaSZ_S10_SG_SL_EUlSZ_E_NS1_11comp_targetILNS1_3genE0ELNS1_11target_archE4294967295ELNS1_3gpuE0ELNS1_3repE0EEENS1_47radix_sort_onesweep_sort_config_static_selectorELNS0_4arch9wavefront6targetE0EEEvSG_.uses_flat_scratch, 0
	.set _ZN7rocprim17ROCPRIM_400000_NS6detail17trampoline_kernelINS0_14default_configENS1_35radix_sort_onesweep_config_selectorIaNS0_10empty_typeEEEZZNS1_29radix_sort_onesweep_iterationIS3_Lb1EPKaPaPS5_SB_mNS0_19identity_decomposerENS1_16block_id_wrapperIjLb1EEEEE10hipError_tT1_PNSt15iterator_traitsISG_E10value_typeET2_T3_PNSH_ISM_E10value_typeET4_T5_PSR_SS_PNS1_23onesweep_lookback_stateEbbT6_jjT7_P12ihipStream_tbENKUlT_T0_SG_SL_E_clIS9_SA_SB_SB_EEDaSZ_S10_SG_SL_EUlSZ_E_NS1_11comp_targetILNS1_3genE0ELNS1_11target_archE4294967295ELNS1_3gpuE0ELNS1_3repE0EEENS1_47radix_sort_onesweep_sort_config_static_selectorELNS0_4arch9wavefront6targetE0EEEvSG_.has_dyn_sized_stack, 0
	.set _ZN7rocprim17ROCPRIM_400000_NS6detail17trampoline_kernelINS0_14default_configENS1_35radix_sort_onesweep_config_selectorIaNS0_10empty_typeEEEZZNS1_29radix_sort_onesweep_iterationIS3_Lb1EPKaPaPS5_SB_mNS0_19identity_decomposerENS1_16block_id_wrapperIjLb1EEEEE10hipError_tT1_PNSt15iterator_traitsISG_E10value_typeET2_T3_PNSH_ISM_E10value_typeET4_T5_PSR_SS_PNS1_23onesweep_lookback_stateEbbT6_jjT7_P12ihipStream_tbENKUlT_T0_SG_SL_E_clIS9_SA_SB_SB_EEDaSZ_S10_SG_SL_EUlSZ_E_NS1_11comp_targetILNS1_3genE0ELNS1_11target_archE4294967295ELNS1_3gpuE0ELNS1_3repE0EEENS1_47radix_sort_onesweep_sort_config_static_selectorELNS0_4arch9wavefront6targetE0EEEvSG_.has_recursion, 0
	.set _ZN7rocprim17ROCPRIM_400000_NS6detail17trampoline_kernelINS0_14default_configENS1_35radix_sort_onesweep_config_selectorIaNS0_10empty_typeEEEZZNS1_29radix_sort_onesweep_iterationIS3_Lb1EPKaPaPS5_SB_mNS0_19identity_decomposerENS1_16block_id_wrapperIjLb1EEEEE10hipError_tT1_PNSt15iterator_traitsISG_E10value_typeET2_T3_PNSH_ISM_E10value_typeET4_T5_PSR_SS_PNS1_23onesweep_lookback_stateEbbT6_jjT7_P12ihipStream_tbENKUlT_T0_SG_SL_E_clIS9_SA_SB_SB_EEDaSZ_S10_SG_SL_EUlSZ_E_NS1_11comp_targetILNS1_3genE0ELNS1_11target_archE4294967295ELNS1_3gpuE0ELNS1_3repE0EEENS1_47radix_sort_onesweep_sort_config_static_selectorELNS0_4arch9wavefront6targetE0EEEvSG_.has_indirect_call, 0
	.section	.AMDGPU.csdata,"",@progbits
; Kernel info:
; codeLenInByte = 14888
; TotalNumSgprs: 27
; NumVgprs: 79
; ScratchSize: 0
; MemoryBound: 0
; FloatMode: 240
; IeeeMode: 1
; LDSByteSize: 32904 bytes/workgroup (compile time only)
; SGPRBlocks: 0
; VGPRBlocks: 4
; NumSGPRsForWavesPerEU: 27
; NumVGPRsForWavesPerEU: 79
; NamedBarCnt: 0
; Occupancy: 12
; WaveLimiterHint : 0
; COMPUTE_PGM_RSRC2:SCRATCH_EN: 0
; COMPUTE_PGM_RSRC2:USER_SGPR: 2
; COMPUTE_PGM_RSRC2:TRAP_HANDLER: 0
; COMPUTE_PGM_RSRC2:TGID_X_EN: 1
; COMPUTE_PGM_RSRC2:TGID_Y_EN: 0
; COMPUTE_PGM_RSRC2:TGID_Z_EN: 0
; COMPUTE_PGM_RSRC2:TIDIG_COMP_CNT: 0
	.section	.text._ZN7rocprim17ROCPRIM_400000_NS6detail17trampoline_kernelINS0_14default_configENS1_35radix_sort_onesweep_config_selectorIaNS0_10empty_typeEEEZZNS1_29radix_sort_onesweep_iterationIS3_Lb1EPKaPaPS5_SB_mNS0_19identity_decomposerENS1_16block_id_wrapperIjLb1EEEEE10hipError_tT1_PNSt15iterator_traitsISG_E10value_typeET2_T3_PNSH_ISM_E10value_typeET4_T5_PSR_SS_PNS1_23onesweep_lookback_stateEbbT6_jjT7_P12ihipStream_tbENKUlT_T0_SG_SL_E_clIS9_SA_SB_SB_EEDaSZ_S10_SG_SL_EUlSZ_E_NS1_11comp_targetILNS1_3genE6ELNS1_11target_archE950ELNS1_3gpuE13ELNS1_3repE0EEENS1_47radix_sort_onesweep_sort_config_static_selectorELNS0_4arch9wavefront6targetE0EEEvSG_,"axG",@progbits,_ZN7rocprim17ROCPRIM_400000_NS6detail17trampoline_kernelINS0_14default_configENS1_35radix_sort_onesweep_config_selectorIaNS0_10empty_typeEEEZZNS1_29radix_sort_onesweep_iterationIS3_Lb1EPKaPaPS5_SB_mNS0_19identity_decomposerENS1_16block_id_wrapperIjLb1EEEEE10hipError_tT1_PNSt15iterator_traitsISG_E10value_typeET2_T3_PNSH_ISM_E10value_typeET4_T5_PSR_SS_PNS1_23onesweep_lookback_stateEbbT6_jjT7_P12ihipStream_tbENKUlT_T0_SG_SL_E_clIS9_SA_SB_SB_EEDaSZ_S10_SG_SL_EUlSZ_E_NS1_11comp_targetILNS1_3genE6ELNS1_11target_archE950ELNS1_3gpuE13ELNS1_3repE0EEENS1_47radix_sort_onesweep_sort_config_static_selectorELNS0_4arch9wavefront6targetE0EEEvSG_,comdat
	.protected	_ZN7rocprim17ROCPRIM_400000_NS6detail17trampoline_kernelINS0_14default_configENS1_35radix_sort_onesweep_config_selectorIaNS0_10empty_typeEEEZZNS1_29radix_sort_onesweep_iterationIS3_Lb1EPKaPaPS5_SB_mNS0_19identity_decomposerENS1_16block_id_wrapperIjLb1EEEEE10hipError_tT1_PNSt15iterator_traitsISG_E10value_typeET2_T3_PNSH_ISM_E10value_typeET4_T5_PSR_SS_PNS1_23onesweep_lookback_stateEbbT6_jjT7_P12ihipStream_tbENKUlT_T0_SG_SL_E_clIS9_SA_SB_SB_EEDaSZ_S10_SG_SL_EUlSZ_E_NS1_11comp_targetILNS1_3genE6ELNS1_11target_archE950ELNS1_3gpuE13ELNS1_3repE0EEENS1_47radix_sort_onesweep_sort_config_static_selectorELNS0_4arch9wavefront6targetE0EEEvSG_ ; -- Begin function _ZN7rocprim17ROCPRIM_400000_NS6detail17trampoline_kernelINS0_14default_configENS1_35radix_sort_onesweep_config_selectorIaNS0_10empty_typeEEEZZNS1_29radix_sort_onesweep_iterationIS3_Lb1EPKaPaPS5_SB_mNS0_19identity_decomposerENS1_16block_id_wrapperIjLb1EEEEE10hipError_tT1_PNSt15iterator_traitsISG_E10value_typeET2_T3_PNSH_ISM_E10value_typeET4_T5_PSR_SS_PNS1_23onesweep_lookback_stateEbbT6_jjT7_P12ihipStream_tbENKUlT_T0_SG_SL_E_clIS9_SA_SB_SB_EEDaSZ_S10_SG_SL_EUlSZ_E_NS1_11comp_targetILNS1_3genE6ELNS1_11target_archE950ELNS1_3gpuE13ELNS1_3repE0EEENS1_47radix_sort_onesweep_sort_config_static_selectorELNS0_4arch9wavefront6targetE0EEEvSG_
	.globl	_ZN7rocprim17ROCPRIM_400000_NS6detail17trampoline_kernelINS0_14default_configENS1_35radix_sort_onesweep_config_selectorIaNS0_10empty_typeEEEZZNS1_29radix_sort_onesweep_iterationIS3_Lb1EPKaPaPS5_SB_mNS0_19identity_decomposerENS1_16block_id_wrapperIjLb1EEEEE10hipError_tT1_PNSt15iterator_traitsISG_E10value_typeET2_T3_PNSH_ISM_E10value_typeET4_T5_PSR_SS_PNS1_23onesweep_lookback_stateEbbT6_jjT7_P12ihipStream_tbENKUlT_T0_SG_SL_E_clIS9_SA_SB_SB_EEDaSZ_S10_SG_SL_EUlSZ_E_NS1_11comp_targetILNS1_3genE6ELNS1_11target_archE950ELNS1_3gpuE13ELNS1_3repE0EEENS1_47radix_sort_onesweep_sort_config_static_selectorELNS0_4arch9wavefront6targetE0EEEvSG_
	.p2align	8
	.type	_ZN7rocprim17ROCPRIM_400000_NS6detail17trampoline_kernelINS0_14default_configENS1_35radix_sort_onesweep_config_selectorIaNS0_10empty_typeEEEZZNS1_29radix_sort_onesweep_iterationIS3_Lb1EPKaPaPS5_SB_mNS0_19identity_decomposerENS1_16block_id_wrapperIjLb1EEEEE10hipError_tT1_PNSt15iterator_traitsISG_E10value_typeET2_T3_PNSH_ISM_E10value_typeET4_T5_PSR_SS_PNS1_23onesweep_lookback_stateEbbT6_jjT7_P12ihipStream_tbENKUlT_T0_SG_SL_E_clIS9_SA_SB_SB_EEDaSZ_S10_SG_SL_EUlSZ_E_NS1_11comp_targetILNS1_3genE6ELNS1_11target_archE950ELNS1_3gpuE13ELNS1_3repE0EEENS1_47radix_sort_onesweep_sort_config_static_selectorELNS0_4arch9wavefront6targetE0EEEvSG_,@function
_ZN7rocprim17ROCPRIM_400000_NS6detail17trampoline_kernelINS0_14default_configENS1_35radix_sort_onesweep_config_selectorIaNS0_10empty_typeEEEZZNS1_29radix_sort_onesweep_iterationIS3_Lb1EPKaPaPS5_SB_mNS0_19identity_decomposerENS1_16block_id_wrapperIjLb1EEEEE10hipError_tT1_PNSt15iterator_traitsISG_E10value_typeET2_T3_PNSH_ISM_E10value_typeET4_T5_PSR_SS_PNS1_23onesweep_lookback_stateEbbT6_jjT7_P12ihipStream_tbENKUlT_T0_SG_SL_E_clIS9_SA_SB_SB_EEDaSZ_S10_SG_SL_EUlSZ_E_NS1_11comp_targetILNS1_3genE6ELNS1_11target_archE950ELNS1_3gpuE13ELNS1_3repE0EEENS1_47radix_sort_onesweep_sort_config_static_selectorELNS0_4arch9wavefront6targetE0EEEvSG_: ; @_ZN7rocprim17ROCPRIM_400000_NS6detail17trampoline_kernelINS0_14default_configENS1_35radix_sort_onesweep_config_selectorIaNS0_10empty_typeEEEZZNS1_29radix_sort_onesweep_iterationIS3_Lb1EPKaPaPS5_SB_mNS0_19identity_decomposerENS1_16block_id_wrapperIjLb1EEEEE10hipError_tT1_PNSt15iterator_traitsISG_E10value_typeET2_T3_PNSH_ISM_E10value_typeET4_T5_PSR_SS_PNS1_23onesweep_lookback_stateEbbT6_jjT7_P12ihipStream_tbENKUlT_T0_SG_SL_E_clIS9_SA_SB_SB_EEDaSZ_S10_SG_SL_EUlSZ_E_NS1_11comp_targetILNS1_3genE6ELNS1_11target_archE950ELNS1_3gpuE13ELNS1_3repE0EEENS1_47radix_sort_onesweep_sort_config_static_selectorELNS0_4arch9wavefront6targetE0EEEvSG_
; %bb.0:
	.section	.rodata,"a",@progbits
	.p2align	6, 0x0
	.amdhsa_kernel _ZN7rocprim17ROCPRIM_400000_NS6detail17trampoline_kernelINS0_14default_configENS1_35radix_sort_onesweep_config_selectorIaNS0_10empty_typeEEEZZNS1_29radix_sort_onesweep_iterationIS3_Lb1EPKaPaPS5_SB_mNS0_19identity_decomposerENS1_16block_id_wrapperIjLb1EEEEE10hipError_tT1_PNSt15iterator_traitsISG_E10value_typeET2_T3_PNSH_ISM_E10value_typeET4_T5_PSR_SS_PNS1_23onesweep_lookback_stateEbbT6_jjT7_P12ihipStream_tbENKUlT_T0_SG_SL_E_clIS9_SA_SB_SB_EEDaSZ_S10_SG_SL_EUlSZ_E_NS1_11comp_targetILNS1_3genE6ELNS1_11target_archE950ELNS1_3gpuE13ELNS1_3repE0EEENS1_47radix_sort_onesweep_sort_config_static_selectorELNS0_4arch9wavefront6targetE0EEEvSG_
		.amdhsa_group_segment_fixed_size 0
		.amdhsa_private_segment_fixed_size 0
		.amdhsa_kernarg_size 88
		.amdhsa_user_sgpr_count 2
		.amdhsa_user_sgpr_dispatch_ptr 0
		.amdhsa_user_sgpr_queue_ptr 0
		.amdhsa_user_sgpr_kernarg_segment_ptr 1
		.amdhsa_user_sgpr_dispatch_id 0
		.amdhsa_user_sgpr_kernarg_preload_length 0
		.amdhsa_user_sgpr_kernarg_preload_offset 0
		.amdhsa_user_sgpr_private_segment_size 0
		.amdhsa_wavefront_size32 1
		.amdhsa_uses_dynamic_stack 0
		.amdhsa_enable_private_segment 0
		.amdhsa_system_sgpr_workgroup_id_x 1
		.amdhsa_system_sgpr_workgroup_id_y 0
		.amdhsa_system_sgpr_workgroup_id_z 0
		.amdhsa_system_sgpr_workgroup_info 0
		.amdhsa_system_vgpr_workitem_id 0
		.amdhsa_next_free_vgpr 1
		.amdhsa_next_free_sgpr 1
		.amdhsa_named_barrier_count 0
		.amdhsa_reserve_vcc 0
		.amdhsa_float_round_mode_32 0
		.amdhsa_float_round_mode_16_64 0
		.amdhsa_float_denorm_mode_32 3
		.amdhsa_float_denorm_mode_16_64 3
		.amdhsa_fp16_overflow 0
		.amdhsa_memory_ordered 1
		.amdhsa_forward_progress 1
		.amdhsa_inst_pref_size 0
		.amdhsa_round_robin_scheduling 0
		.amdhsa_exception_fp_ieee_invalid_op 0
		.amdhsa_exception_fp_denorm_src 0
		.amdhsa_exception_fp_ieee_div_zero 0
		.amdhsa_exception_fp_ieee_overflow 0
		.amdhsa_exception_fp_ieee_underflow 0
		.amdhsa_exception_fp_ieee_inexact 0
		.amdhsa_exception_int_div_zero 0
	.end_amdhsa_kernel
	.section	.text._ZN7rocprim17ROCPRIM_400000_NS6detail17trampoline_kernelINS0_14default_configENS1_35radix_sort_onesweep_config_selectorIaNS0_10empty_typeEEEZZNS1_29radix_sort_onesweep_iterationIS3_Lb1EPKaPaPS5_SB_mNS0_19identity_decomposerENS1_16block_id_wrapperIjLb1EEEEE10hipError_tT1_PNSt15iterator_traitsISG_E10value_typeET2_T3_PNSH_ISM_E10value_typeET4_T5_PSR_SS_PNS1_23onesweep_lookback_stateEbbT6_jjT7_P12ihipStream_tbENKUlT_T0_SG_SL_E_clIS9_SA_SB_SB_EEDaSZ_S10_SG_SL_EUlSZ_E_NS1_11comp_targetILNS1_3genE6ELNS1_11target_archE950ELNS1_3gpuE13ELNS1_3repE0EEENS1_47radix_sort_onesweep_sort_config_static_selectorELNS0_4arch9wavefront6targetE0EEEvSG_,"axG",@progbits,_ZN7rocprim17ROCPRIM_400000_NS6detail17trampoline_kernelINS0_14default_configENS1_35radix_sort_onesweep_config_selectorIaNS0_10empty_typeEEEZZNS1_29radix_sort_onesweep_iterationIS3_Lb1EPKaPaPS5_SB_mNS0_19identity_decomposerENS1_16block_id_wrapperIjLb1EEEEE10hipError_tT1_PNSt15iterator_traitsISG_E10value_typeET2_T3_PNSH_ISM_E10value_typeET4_T5_PSR_SS_PNS1_23onesweep_lookback_stateEbbT6_jjT7_P12ihipStream_tbENKUlT_T0_SG_SL_E_clIS9_SA_SB_SB_EEDaSZ_S10_SG_SL_EUlSZ_E_NS1_11comp_targetILNS1_3genE6ELNS1_11target_archE950ELNS1_3gpuE13ELNS1_3repE0EEENS1_47radix_sort_onesweep_sort_config_static_selectorELNS0_4arch9wavefront6targetE0EEEvSG_,comdat
.Lfunc_end356:
	.size	_ZN7rocprim17ROCPRIM_400000_NS6detail17trampoline_kernelINS0_14default_configENS1_35radix_sort_onesweep_config_selectorIaNS0_10empty_typeEEEZZNS1_29radix_sort_onesweep_iterationIS3_Lb1EPKaPaPS5_SB_mNS0_19identity_decomposerENS1_16block_id_wrapperIjLb1EEEEE10hipError_tT1_PNSt15iterator_traitsISG_E10value_typeET2_T3_PNSH_ISM_E10value_typeET4_T5_PSR_SS_PNS1_23onesweep_lookback_stateEbbT6_jjT7_P12ihipStream_tbENKUlT_T0_SG_SL_E_clIS9_SA_SB_SB_EEDaSZ_S10_SG_SL_EUlSZ_E_NS1_11comp_targetILNS1_3genE6ELNS1_11target_archE950ELNS1_3gpuE13ELNS1_3repE0EEENS1_47radix_sort_onesweep_sort_config_static_selectorELNS0_4arch9wavefront6targetE0EEEvSG_, .Lfunc_end356-_ZN7rocprim17ROCPRIM_400000_NS6detail17trampoline_kernelINS0_14default_configENS1_35radix_sort_onesweep_config_selectorIaNS0_10empty_typeEEEZZNS1_29radix_sort_onesweep_iterationIS3_Lb1EPKaPaPS5_SB_mNS0_19identity_decomposerENS1_16block_id_wrapperIjLb1EEEEE10hipError_tT1_PNSt15iterator_traitsISG_E10value_typeET2_T3_PNSH_ISM_E10value_typeET4_T5_PSR_SS_PNS1_23onesweep_lookback_stateEbbT6_jjT7_P12ihipStream_tbENKUlT_T0_SG_SL_E_clIS9_SA_SB_SB_EEDaSZ_S10_SG_SL_EUlSZ_E_NS1_11comp_targetILNS1_3genE6ELNS1_11target_archE950ELNS1_3gpuE13ELNS1_3repE0EEENS1_47radix_sort_onesweep_sort_config_static_selectorELNS0_4arch9wavefront6targetE0EEEvSG_
                                        ; -- End function
	.set _ZN7rocprim17ROCPRIM_400000_NS6detail17trampoline_kernelINS0_14default_configENS1_35radix_sort_onesweep_config_selectorIaNS0_10empty_typeEEEZZNS1_29radix_sort_onesweep_iterationIS3_Lb1EPKaPaPS5_SB_mNS0_19identity_decomposerENS1_16block_id_wrapperIjLb1EEEEE10hipError_tT1_PNSt15iterator_traitsISG_E10value_typeET2_T3_PNSH_ISM_E10value_typeET4_T5_PSR_SS_PNS1_23onesweep_lookback_stateEbbT6_jjT7_P12ihipStream_tbENKUlT_T0_SG_SL_E_clIS9_SA_SB_SB_EEDaSZ_S10_SG_SL_EUlSZ_E_NS1_11comp_targetILNS1_3genE6ELNS1_11target_archE950ELNS1_3gpuE13ELNS1_3repE0EEENS1_47radix_sort_onesweep_sort_config_static_selectorELNS0_4arch9wavefront6targetE0EEEvSG_.num_vgpr, 0
	.set _ZN7rocprim17ROCPRIM_400000_NS6detail17trampoline_kernelINS0_14default_configENS1_35radix_sort_onesweep_config_selectorIaNS0_10empty_typeEEEZZNS1_29radix_sort_onesweep_iterationIS3_Lb1EPKaPaPS5_SB_mNS0_19identity_decomposerENS1_16block_id_wrapperIjLb1EEEEE10hipError_tT1_PNSt15iterator_traitsISG_E10value_typeET2_T3_PNSH_ISM_E10value_typeET4_T5_PSR_SS_PNS1_23onesweep_lookback_stateEbbT6_jjT7_P12ihipStream_tbENKUlT_T0_SG_SL_E_clIS9_SA_SB_SB_EEDaSZ_S10_SG_SL_EUlSZ_E_NS1_11comp_targetILNS1_3genE6ELNS1_11target_archE950ELNS1_3gpuE13ELNS1_3repE0EEENS1_47radix_sort_onesweep_sort_config_static_selectorELNS0_4arch9wavefront6targetE0EEEvSG_.num_agpr, 0
	.set _ZN7rocprim17ROCPRIM_400000_NS6detail17trampoline_kernelINS0_14default_configENS1_35radix_sort_onesweep_config_selectorIaNS0_10empty_typeEEEZZNS1_29radix_sort_onesweep_iterationIS3_Lb1EPKaPaPS5_SB_mNS0_19identity_decomposerENS1_16block_id_wrapperIjLb1EEEEE10hipError_tT1_PNSt15iterator_traitsISG_E10value_typeET2_T3_PNSH_ISM_E10value_typeET4_T5_PSR_SS_PNS1_23onesweep_lookback_stateEbbT6_jjT7_P12ihipStream_tbENKUlT_T0_SG_SL_E_clIS9_SA_SB_SB_EEDaSZ_S10_SG_SL_EUlSZ_E_NS1_11comp_targetILNS1_3genE6ELNS1_11target_archE950ELNS1_3gpuE13ELNS1_3repE0EEENS1_47radix_sort_onesweep_sort_config_static_selectorELNS0_4arch9wavefront6targetE0EEEvSG_.numbered_sgpr, 0
	.set _ZN7rocprim17ROCPRIM_400000_NS6detail17trampoline_kernelINS0_14default_configENS1_35radix_sort_onesweep_config_selectorIaNS0_10empty_typeEEEZZNS1_29radix_sort_onesweep_iterationIS3_Lb1EPKaPaPS5_SB_mNS0_19identity_decomposerENS1_16block_id_wrapperIjLb1EEEEE10hipError_tT1_PNSt15iterator_traitsISG_E10value_typeET2_T3_PNSH_ISM_E10value_typeET4_T5_PSR_SS_PNS1_23onesweep_lookback_stateEbbT6_jjT7_P12ihipStream_tbENKUlT_T0_SG_SL_E_clIS9_SA_SB_SB_EEDaSZ_S10_SG_SL_EUlSZ_E_NS1_11comp_targetILNS1_3genE6ELNS1_11target_archE950ELNS1_3gpuE13ELNS1_3repE0EEENS1_47radix_sort_onesweep_sort_config_static_selectorELNS0_4arch9wavefront6targetE0EEEvSG_.num_named_barrier, 0
	.set _ZN7rocprim17ROCPRIM_400000_NS6detail17trampoline_kernelINS0_14default_configENS1_35radix_sort_onesweep_config_selectorIaNS0_10empty_typeEEEZZNS1_29radix_sort_onesweep_iterationIS3_Lb1EPKaPaPS5_SB_mNS0_19identity_decomposerENS1_16block_id_wrapperIjLb1EEEEE10hipError_tT1_PNSt15iterator_traitsISG_E10value_typeET2_T3_PNSH_ISM_E10value_typeET4_T5_PSR_SS_PNS1_23onesweep_lookback_stateEbbT6_jjT7_P12ihipStream_tbENKUlT_T0_SG_SL_E_clIS9_SA_SB_SB_EEDaSZ_S10_SG_SL_EUlSZ_E_NS1_11comp_targetILNS1_3genE6ELNS1_11target_archE950ELNS1_3gpuE13ELNS1_3repE0EEENS1_47radix_sort_onesweep_sort_config_static_selectorELNS0_4arch9wavefront6targetE0EEEvSG_.private_seg_size, 0
	.set _ZN7rocprim17ROCPRIM_400000_NS6detail17trampoline_kernelINS0_14default_configENS1_35radix_sort_onesweep_config_selectorIaNS0_10empty_typeEEEZZNS1_29radix_sort_onesweep_iterationIS3_Lb1EPKaPaPS5_SB_mNS0_19identity_decomposerENS1_16block_id_wrapperIjLb1EEEEE10hipError_tT1_PNSt15iterator_traitsISG_E10value_typeET2_T3_PNSH_ISM_E10value_typeET4_T5_PSR_SS_PNS1_23onesweep_lookback_stateEbbT6_jjT7_P12ihipStream_tbENKUlT_T0_SG_SL_E_clIS9_SA_SB_SB_EEDaSZ_S10_SG_SL_EUlSZ_E_NS1_11comp_targetILNS1_3genE6ELNS1_11target_archE950ELNS1_3gpuE13ELNS1_3repE0EEENS1_47radix_sort_onesweep_sort_config_static_selectorELNS0_4arch9wavefront6targetE0EEEvSG_.uses_vcc, 0
	.set _ZN7rocprim17ROCPRIM_400000_NS6detail17trampoline_kernelINS0_14default_configENS1_35radix_sort_onesweep_config_selectorIaNS0_10empty_typeEEEZZNS1_29radix_sort_onesweep_iterationIS3_Lb1EPKaPaPS5_SB_mNS0_19identity_decomposerENS1_16block_id_wrapperIjLb1EEEEE10hipError_tT1_PNSt15iterator_traitsISG_E10value_typeET2_T3_PNSH_ISM_E10value_typeET4_T5_PSR_SS_PNS1_23onesweep_lookback_stateEbbT6_jjT7_P12ihipStream_tbENKUlT_T0_SG_SL_E_clIS9_SA_SB_SB_EEDaSZ_S10_SG_SL_EUlSZ_E_NS1_11comp_targetILNS1_3genE6ELNS1_11target_archE950ELNS1_3gpuE13ELNS1_3repE0EEENS1_47radix_sort_onesweep_sort_config_static_selectorELNS0_4arch9wavefront6targetE0EEEvSG_.uses_flat_scratch, 0
	.set _ZN7rocprim17ROCPRIM_400000_NS6detail17trampoline_kernelINS0_14default_configENS1_35radix_sort_onesweep_config_selectorIaNS0_10empty_typeEEEZZNS1_29radix_sort_onesweep_iterationIS3_Lb1EPKaPaPS5_SB_mNS0_19identity_decomposerENS1_16block_id_wrapperIjLb1EEEEE10hipError_tT1_PNSt15iterator_traitsISG_E10value_typeET2_T3_PNSH_ISM_E10value_typeET4_T5_PSR_SS_PNS1_23onesweep_lookback_stateEbbT6_jjT7_P12ihipStream_tbENKUlT_T0_SG_SL_E_clIS9_SA_SB_SB_EEDaSZ_S10_SG_SL_EUlSZ_E_NS1_11comp_targetILNS1_3genE6ELNS1_11target_archE950ELNS1_3gpuE13ELNS1_3repE0EEENS1_47radix_sort_onesweep_sort_config_static_selectorELNS0_4arch9wavefront6targetE0EEEvSG_.has_dyn_sized_stack, 0
	.set _ZN7rocprim17ROCPRIM_400000_NS6detail17trampoline_kernelINS0_14default_configENS1_35radix_sort_onesweep_config_selectorIaNS0_10empty_typeEEEZZNS1_29radix_sort_onesweep_iterationIS3_Lb1EPKaPaPS5_SB_mNS0_19identity_decomposerENS1_16block_id_wrapperIjLb1EEEEE10hipError_tT1_PNSt15iterator_traitsISG_E10value_typeET2_T3_PNSH_ISM_E10value_typeET4_T5_PSR_SS_PNS1_23onesweep_lookback_stateEbbT6_jjT7_P12ihipStream_tbENKUlT_T0_SG_SL_E_clIS9_SA_SB_SB_EEDaSZ_S10_SG_SL_EUlSZ_E_NS1_11comp_targetILNS1_3genE6ELNS1_11target_archE950ELNS1_3gpuE13ELNS1_3repE0EEENS1_47radix_sort_onesweep_sort_config_static_selectorELNS0_4arch9wavefront6targetE0EEEvSG_.has_recursion, 0
	.set _ZN7rocprim17ROCPRIM_400000_NS6detail17trampoline_kernelINS0_14default_configENS1_35radix_sort_onesweep_config_selectorIaNS0_10empty_typeEEEZZNS1_29radix_sort_onesweep_iterationIS3_Lb1EPKaPaPS5_SB_mNS0_19identity_decomposerENS1_16block_id_wrapperIjLb1EEEEE10hipError_tT1_PNSt15iterator_traitsISG_E10value_typeET2_T3_PNSH_ISM_E10value_typeET4_T5_PSR_SS_PNS1_23onesweep_lookback_stateEbbT6_jjT7_P12ihipStream_tbENKUlT_T0_SG_SL_E_clIS9_SA_SB_SB_EEDaSZ_S10_SG_SL_EUlSZ_E_NS1_11comp_targetILNS1_3genE6ELNS1_11target_archE950ELNS1_3gpuE13ELNS1_3repE0EEENS1_47radix_sort_onesweep_sort_config_static_selectorELNS0_4arch9wavefront6targetE0EEEvSG_.has_indirect_call, 0
	.section	.AMDGPU.csdata,"",@progbits
; Kernel info:
; codeLenInByte = 0
; TotalNumSgprs: 0
; NumVgprs: 0
; ScratchSize: 0
; MemoryBound: 0
; FloatMode: 240
; IeeeMode: 1
; LDSByteSize: 0 bytes/workgroup (compile time only)
; SGPRBlocks: 0
; VGPRBlocks: 0
; NumSGPRsForWavesPerEU: 1
; NumVGPRsForWavesPerEU: 1
; NamedBarCnt: 0
; Occupancy: 16
; WaveLimiterHint : 0
; COMPUTE_PGM_RSRC2:SCRATCH_EN: 0
; COMPUTE_PGM_RSRC2:USER_SGPR: 2
; COMPUTE_PGM_RSRC2:TRAP_HANDLER: 0
; COMPUTE_PGM_RSRC2:TGID_X_EN: 1
; COMPUTE_PGM_RSRC2:TGID_Y_EN: 0
; COMPUTE_PGM_RSRC2:TGID_Z_EN: 0
; COMPUTE_PGM_RSRC2:TIDIG_COMP_CNT: 0
	.section	.text._ZN7rocprim17ROCPRIM_400000_NS6detail17trampoline_kernelINS0_14default_configENS1_35radix_sort_onesweep_config_selectorIaNS0_10empty_typeEEEZZNS1_29radix_sort_onesweep_iterationIS3_Lb1EPKaPaPS5_SB_mNS0_19identity_decomposerENS1_16block_id_wrapperIjLb1EEEEE10hipError_tT1_PNSt15iterator_traitsISG_E10value_typeET2_T3_PNSH_ISM_E10value_typeET4_T5_PSR_SS_PNS1_23onesweep_lookback_stateEbbT6_jjT7_P12ihipStream_tbENKUlT_T0_SG_SL_E_clIS9_SA_SB_SB_EEDaSZ_S10_SG_SL_EUlSZ_E_NS1_11comp_targetILNS1_3genE5ELNS1_11target_archE942ELNS1_3gpuE9ELNS1_3repE0EEENS1_47radix_sort_onesweep_sort_config_static_selectorELNS0_4arch9wavefront6targetE0EEEvSG_,"axG",@progbits,_ZN7rocprim17ROCPRIM_400000_NS6detail17trampoline_kernelINS0_14default_configENS1_35radix_sort_onesweep_config_selectorIaNS0_10empty_typeEEEZZNS1_29radix_sort_onesweep_iterationIS3_Lb1EPKaPaPS5_SB_mNS0_19identity_decomposerENS1_16block_id_wrapperIjLb1EEEEE10hipError_tT1_PNSt15iterator_traitsISG_E10value_typeET2_T3_PNSH_ISM_E10value_typeET4_T5_PSR_SS_PNS1_23onesweep_lookback_stateEbbT6_jjT7_P12ihipStream_tbENKUlT_T0_SG_SL_E_clIS9_SA_SB_SB_EEDaSZ_S10_SG_SL_EUlSZ_E_NS1_11comp_targetILNS1_3genE5ELNS1_11target_archE942ELNS1_3gpuE9ELNS1_3repE0EEENS1_47radix_sort_onesweep_sort_config_static_selectorELNS0_4arch9wavefront6targetE0EEEvSG_,comdat
	.protected	_ZN7rocprim17ROCPRIM_400000_NS6detail17trampoline_kernelINS0_14default_configENS1_35radix_sort_onesweep_config_selectorIaNS0_10empty_typeEEEZZNS1_29radix_sort_onesweep_iterationIS3_Lb1EPKaPaPS5_SB_mNS0_19identity_decomposerENS1_16block_id_wrapperIjLb1EEEEE10hipError_tT1_PNSt15iterator_traitsISG_E10value_typeET2_T3_PNSH_ISM_E10value_typeET4_T5_PSR_SS_PNS1_23onesweep_lookback_stateEbbT6_jjT7_P12ihipStream_tbENKUlT_T0_SG_SL_E_clIS9_SA_SB_SB_EEDaSZ_S10_SG_SL_EUlSZ_E_NS1_11comp_targetILNS1_3genE5ELNS1_11target_archE942ELNS1_3gpuE9ELNS1_3repE0EEENS1_47radix_sort_onesweep_sort_config_static_selectorELNS0_4arch9wavefront6targetE0EEEvSG_ ; -- Begin function _ZN7rocprim17ROCPRIM_400000_NS6detail17trampoline_kernelINS0_14default_configENS1_35radix_sort_onesweep_config_selectorIaNS0_10empty_typeEEEZZNS1_29radix_sort_onesweep_iterationIS3_Lb1EPKaPaPS5_SB_mNS0_19identity_decomposerENS1_16block_id_wrapperIjLb1EEEEE10hipError_tT1_PNSt15iterator_traitsISG_E10value_typeET2_T3_PNSH_ISM_E10value_typeET4_T5_PSR_SS_PNS1_23onesweep_lookback_stateEbbT6_jjT7_P12ihipStream_tbENKUlT_T0_SG_SL_E_clIS9_SA_SB_SB_EEDaSZ_S10_SG_SL_EUlSZ_E_NS1_11comp_targetILNS1_3genE5ELNS1_11target_archE942ELNS1_3gpuE9ELNS1_3repE0EEENS1_47radix_sort_onesweep_sort_config_static_selectorELNS0_4arch9wavefront6targetE0EEEvSG_
	.globl	_ZN7rocprim17ROCPRIM_400000_NS6detail17trampoline_kernelINS0_14default_configENS1_35radix_sort_onesweep_config_selectorIaNS0_10empty_typeEEEZZNS1_29radix_sort_onesweep_iterationIS3_Lb1EPKaPaPS5_SB_mNS0_19identity_decomposerENS1_16block_id_wrapperIjLb1EEEEE10hipError_tT1_PNSt15iterator_traitsISG_E10value_typeET2_T3_PNSH_ISM_E10value_typeET4_T5_PSR_SS_PNS1_23onesweep_lookback_stateEbbT6_jjT7_P12ihipStream_tbENKUlT_T0_SG_SL_E_clIS9_SA_SB_SB_EEDaSZ_S10_SG_SL_EUlSZ_E_NS1_11comp_targetILNS1_3genE5ELNS1_11target_archE942ELNS1_3gpuE9ELNS1_3repE0EEENS1_47radix_sort_onesweep_sort_config_static_selectorELNS0_4arch9wavefront6targetE0EEEvSG_
	.p2align	8
	.type	_ZN7rocprim17ROCPRIM_400000_NS6detail17trampoline_kernelINS0_14default_configENS1_35radix_sort_onesweep_config_selectorIaNS0_10empty_typeEEEZZNS1_29radix_sort_onesweep_iterationIS3_Lb1EPKaPaPS5_SB_mNS0_19identity_decomposerENS1_16block_id_wrapperIjLb1EEEEE10hipError_tT1_PNSt15iterator_traitsISG_E10value_typeET2_T3_PNSH_ISM_E10value_typeET4_T5_PSR_SS_PNS1_23onesweep_lookback_stateEbbT6_jjT7_P12ihipStream_tbENKUlT_T0_SG_SL_E_clIS9_SA_SB_SB_EEDaSZ_S10_SG_SL_EUlSZ_E_NS1_11comp_targetILNS1_3genE5ELNS1_11target_archE942ELNS1_3gpuE9ELNS1_3repE0EEENS1_47radix_sort_onesweep_sort_config_static_selectorELNS0_4arch9wavefront6targetE0EEEvSG_,@function
_ZN7rocprim17ROCPRIM_400000_NS6detail17trampoline_kernelINS0_14default_configENS1_35radix_sort_onesweep_config_selectorIaNS0_10empty_typeEEEZZNS1_29radix_sort_onesweep_iterationIS3_Lb1EPKaPaPS5_SB_mNS0_19identity_decomposerENS1_16block_id_wrapperIjLb1EEEEE10hipError_tT1_PNSt15iterator_traitsISG_E10value_typeET2_T3_PNSH_ISM_E10value_typeET4_T5_PSR_SS_PNS1_23onesweep_lookback_stateEbbT6_jjT7_P12ihipStream_tbENKUlT_T0_SG_SL_E_clIS9_SA_SB_SB_EEDaSZ_S10_SG_SL_EUlSZ_E_NS1_11comp_targetILNS1_3genE5ELNS1_11target_archE942ELNS1_3gpuE9ELNS1_3repE0EEENS1_47radix_sort_onesweep_sort_config_static_selectorELNS0_4arch9wavefront6targetE0EEEvSG_: ; @_ZN7rocprim17ROCPRIM_400000_NS6detail17trampoline_kernelINS0_14default_configENS1_35radix_sort_onesweep_config_selectorIaNS0_10empty_typeEEEZZNS1_29radix_sort_onesweep_iterationIS3_Lb1EPKaPaPS5_SB_mNS0_19identity_decomposerENS1_16block_id_wrapperIjLb1EEEEE10hipError_tT1_PNSt15iterator_traitsISG_E10value_typeET2_T3_PNSH_ISM_E10value_typeET4_T5_PSR_SS_PNS1_23onesweep_lookback_stateEbbT6_jjT7_P12ihipStream_tbENKUlT_T0_SG_SL_E_clIS9_SA_SB_SB_EEDaSZ_S10_SG_SL_EUlSZ_E_NS1_11comp_targetILNS1_3genE5ELNS1_11target_archE942ELNS1_3gpuE9ELNS1_3repE0EEENS1_47radix_sort_onesweep_sort_config_static_selectorELNS0_4arch9wavefront6targetE0EEEvSG_
; %bb.0:
	.section	.rodata,"a",@progbits
	.p2align	6, 0x0
	.amdhsa_kernel _ZN7rocprim17ROCPRIM_400000_NS6detail17trampoline_kernelINS0_14default_configENS1_35radix_sort_onesweep_config_selectorIaNS0_10empty_typeEEEZZNS1_29radix_sort_onesweep_iterationIS3_Lb1EPKaPaPS5_SB_mNS0_19identity_decomposerENS1_16block_id_wrapperIjLb1EEEEE10hipError_tT1_PNSt15iterator_traitsISG_E10value_typeET2_T3_PNSH_ISM_E10value_typeET4_T5_PSR_SS_PNS1_23onesweep_lookback_stateEbbT6_jjT7_P12ihipStream_tbENKUlT_T0_SG_SL_E_clIS9_SA_SB_SB_EEDaSZ_S10_SG_SL_EUlSZ_E_NS1_11comp_targetILNS1_3genE5ELNS1_11target_archE942ELNS1_3gpuE9ELNS1_3repE0EEENS1_47radix_sort_onesweep_sort_config_static_selectorELNS0_4arch9wavefront6targetE0EEEvSG_
		.amdhsa_group_segment_fixed_size 0
		.amdhsa_private_segment_fixed_size 0
		.amdhsa_kernarg_size 88
		.amdhsa_user_sgpr_count 2
		.amdhsa_user_sgpr_dispatch_ptr 0
		.amdhsa_user_sgpr_queue_ptr 0
		.amdhsa_user_sgpr_kernarg_segment_ptr 1
		.amdhsa_user_sgpr_dispatch_id 0
		.amdhsa_user_sgpr_kernarg_preload_length 0
		.amdhsa_user_sgpr_kernarg_preload_offset 0
		.amdhsa_user_sgpr_private_segment_size 0
		.amdhsa_wavefront_size32 1
		.amdhsa_uses_dynamic_stack 0
		.amdhsa_enable_private_segment 0
		.amdhsa_system_sgpr_workgroup_id_x 1
		.amdhsa_system_sgpr_workgroup_id_y 0
		.amdhsa_system_sgpr_workgroup_id_z 0
		.amdhsa_system_sgpr_workgroup_info 0
		.amdhsa_system_vgpr_workitem_id 0
		.amdhsa_next_free_vgpr 1
		.amdhsa_next_free_sgpr 1
		.amdhsa_named_barrier_count 0
		.amdhsa_reserve_vcc 0
		.amdhsa_float_round_mode_32 0
		.amdhsa_float_round_mode_16_64 0
		.amdhsa_float_denorm_mode_32 3
		.amdhsa_float_denorm_mode_16_64 3
		.amdhsa_fp16_overflow 0
		.amdhsa_memory_ordered 1
		.amdhsa_forward_progress 1
		.amdhsa_inst_pref_size 0
		.amdhsa_round_robin_scheduling 0
		.amdhsa_exception_fp_ieee_invalid_op 0
		.amdhsa_exception_fp_denorm_src 0
		.amdhsa_exception_fp_ieee_div_zero 0
		.amdhsa_exception_fp_ieee_overflow 0
		.amdhsa_exception_fp_ieee_underflow 0
		.amdhsa_exception_fp_ieee_inexact 0
		.amdhsa_exception_int_div_zero 0
	.end_amdhsa_kernel
	.section	.text._ZN7rocprim17ROCPRIM_400000_NS6detail17trampoline_kernelINS0_14default_configENS1_35radix_sort_onesweep_config_selectorIaNS0_10empty_typeEEEZZNS1_29radix_sort_onesweep_iterationIS3_Lb1EPKaPaPS5_SB_mNS0_19identity_decomposerENS1_16block_id_wrapperIjLb1EEEEE10hipError_tT1_PNSt15iterator_traitsISG_E10value_typeET2_T3_PNSH_ISM_E10value_typeET4_T5_PSR_SS_PNS1_23onesweep_lookback_stateEbbT6_jjT7_P12ihipStream_tbENKUlT_T0_SG_SL_E_clIS9_SA_SB_SB_EEDaSZ_S10_SG_SL_EUlSZ_E_NS1_11comp_targetILNS1_3genE5ELNS1_11target_archE942ELNS1_3gpuE9ELNS1_3repE0EEENS1_47radix_sort_onesweep_sort_config_static_selectorELNS0_4arch9wavefront6targetE0EEEvSG_,"axG",@progbits,_ZN7rocprim17ROCPRIM_400000_NS6detail17trampoline_kernelINS0_14default_configENS1_35radix_sort_onesweep_config_selectorIaNS0_10empty_typeEEEZZNS1_29radix_sort_onesweep_iterationIS3_Lb1EPKaPaPS5_SB_mNS0_19identity_decomposerENS1_16block_id_wrapperIjLb1EEEEE10hipError_tT1_PNSt15iterator_traitsISG_E10value_typeET2_T3_PNSH_ISM_E10value_typeET4_T5_PSR_SS_PNS1_23onesweep_lookback_stateEbbT6_jjT7_P12ihipStream_tbENKUlT_T0_SG_SL_E_clIS9_SA_SB_SB_EEDaSZ_S10_SG_SL_EUlSZ_E_NS1_11comp_targetILNS1_3genE5ELNS1_11target_archE942ELNS1_3gpuE9ELNS1_3repE0EEENS1_47radix_sort_onesweep_sort_config_static_selectorELNS0_4arch9wavefront6targetE0EEEvSG_,comdat
.Lfunc_end357:
	.size	_ZN7rocprim17ROCPRIM_400000_NS6detail17trampoline_kernelINS0_14default_configENS1_35radix_sort_onesweep_config_selectorIaNS0_10empty_typeEEEZZNS1_29radix_sort_onesweep_iterationIS3_Lb1EPKaPaPS5_SB_mNS0_19identity_decomposerENS1_16block_id_wrapperIjLb1EEEEE10hipError_tT1_PNSt15iterator_traitsISG_E10value_typeET2_T3_PNSH_ISM_E10value_typeET4_T5_PSR_SS_PNS1_23onesweep_lookback_stateEbbT6_jjT7_P12ihipStream_tbENKUlT_T0_SG_SL_E_clIS9_SA_SB_SB_EEDaSZ_S10_SG_SL_EUlSZ_E_NS1_11comp_targetILNS1_3genE5ELNS1_11target_archE942ELNS1_3gpuE9ELNS1_3repE0EEENS1_47radix_sort_onesweep_sort_config_static_selectorELNS0_4arch9wavefront6targetE0EEEvSG_, .Lfunc_end357-_ZN7rocprim17ROCPRIM_400000_NS6detail17trampoline_kernelINS0_14default_configENS1_35radix_sort_onesweep_config_selectorIaNS0_10empty_typeEEEZZNS1_29radix_sort_onesweep_iterationIS3_Lb1EPKaPaPS5_SB_mNS0_19identity_decomposerENS1_16block_id_wrapperIjLb1EEEEE10hipError_tT1_PNSt15iterator_traitsISG_E10value_typeET2_T3_PNSH_ISM_E10value_typeET4_T5_PSR_SS_PNS1_23onesweep_lookback_stateEbbT6_jjT7_P12ihipStream_tbENKUlT_T0_SG_SL_E_clIS9_SA_SB_SB_EEDaSZ_S10_SG_SL_EUlSZ_E_NS1_11comp_targetILNS1_3genE5ELNS1_11target_archE942ELNS1_3gpuE9ELNS1_3repE0EEENS1_47radix_sort_onesweep_sort_config_static_selectorELNS0_4arch9wavefront6targetE0EEEvSG_
                                        ; -- End function
	.set _ZN7rocprim17ROCPRIM_400000_NS6detail17trampoline_kernelINS0_14default_configENS1_35radix_sort_onesweep_config_selectorIaNS0_10empty_typeEEEZZNS1_29radix_sort_onesweep_iterationIS3_Lb1EPKaPaPS5_SB_mNS0_19identity_decomposerENS1_16block_id_wrapperIjLb1EEEEE10hipError_tT1_PNSt15iterator_traitsISG_E10value_typeET2_T3_PNSH_ISM_E10value_typeET4_T5_PSR_SS_PNS1_23onesweep_lookback_stateEbbT6_jjT7_P12ihipStream_tbENKUlT_T0_SG_SL_E_clIS9_SA_SB_SB_EEDaSZ_S10_SG_SL_EUlSZ_E_NS1_11comp_targetILNS1_3genE5ELNS1_11target_archE942ELNS1_3gpuE9ELNS1_3repE0EEENS1_47radix_sort_onesweep_sort_config_static_selectorELNS0_4arch9wavefront6targetE0EEEvSG_.num_vgpr, 0
	.set _ZN7rocprim17ROCPRIM_400000_NS6detail17trampoline_kernelINS0_14default_configENS1_35radix_sort_onesweep_config_selectorIaNS0_10empty_typeEEEZZNS1_29radix_sort_onesweep_iterationIS3_Lb1EPKaPaPS5_SB_mNS0_19identity_decomposerENS1_16block_id_wrapperIjLb1EEEEE10hipError_tT1_PNSt15iterator_traitsISG_E10value_typeET2_T3_PNSH_ISM_E10value_typeET4_T5_PSR_SS_PNS1_23onesweep_lookback_stateEbbT6_jjT7_P12ihipStream_tbENKUlT_T0_SG_SL_E_clIS9_SA_SB_SB_EEDaSZ_S10_SG_SL_EUlSZ_E_NS1_11comp_targetILNS1_3genE5ELNS1_11target_archE942ELNS1_3gpuE9ELNS1_3repE0EEENS1_47radix_sort_onesweep_sort_config_static_selectorELNS0_4arch9wavefront6targetE0EEEvSG_.num_agpr, 0
	.set _ZN7rocprim17ROCPRIM_400000_NS6detail17trampoline_kernelINS0_14default_configENS1_35radix_sort_onesweep_config_selectorIaNS0_10empty_typeEEEZZNS1_29radix_sort_onesweep_iterationIS3_Lb1EPKaPaPS5_SB_mNS0_19identity_decomposerENS1_16block_id_wrapperIjLb1EEEEE10hipError_tT1_PNSt15iterator_traitsISG_E10value_typeET2_T3_PNSH_ISM_E10value_typeET4_T5_PSR_SS_PNS1_23onesweep_lookback_stateEbbT6_jjT7_P12ihipStream_tbENKUlT_T0_SG_SL_E_clIS9_SA_SB_SB_EEDaSZ_S10_SG_SL_EUlSZ_E_NS1_11comp_targetILNS1_3genE5ELNS1_11target_archE942ELNS1_3gpuE9ELNS1_3repE0EEENS1_47radix_sort_onesweep_sort_config_static_selectorELNS0_4arch9wavefront6targetE0EEEvSG_.numbered_sgpr, 0
	.set _ZN7rocprim17ROCPRIM_400000_NS6detail17trampoline_kernelINS0_14default_configENS1_35radix_sort_onesweep_config_selectorIaNS0_10empty_typeEEEZZNS1_29radix_sort_onesweep_iterationIS3_Lb1EPKaPaPS5_SB_mNS0_19identity_decomposerENS1_16block_id_wrapperIjLb1EEEEE10hipError_tT1_PNSt15iterator_traitsISG_E10value_typeET2_T3_PNSH_ISM_E10value_typeET4_T5_PSR_SS_PNS1_23onesweep_lookback_stateEbbT6_jjT7_P12ihipStream_tbENKUlT_T0_SG_SL_E_clIS9_SA_SB_SB_EEDaSZ_S10_SG_SL_EUlSZ_E_NS1_11comp_targetILNS1_3genE5ELNS1_11target_archE942ELNS1_3gpuE9ELNS1_3repE0EEENS1_47radix_sort_onesweep_sort_config_static_selectorELNS0_4arch9wavefront6targetE0EEEvSG_.num_named_barrier, 0
	.set _ZN7rocprim17ROCPRIM_400000_NS6detail17trampoline_kernelINS0_14default_configENS1_35radix_sort_onesweep_config_selectorIaNS0_10empty_typeEEEZZNS1_29radix_sort_onesweep_iterationIS3_Lb1EPKaPaPS5_SB_mNS0_19identity_decomposerENS1_16block_id_wrapperIjLb1EEEEE10hipError_tT1_PNSt15iterator_traitsISG_E10value_typeET2_T3_PNSH_ISM_E10value_typeET4_T5_PSR_SS_PNS1_23onesweep_lookback_stateEbbT6_jjT7_P12ihipStream_tbENKUlT_T0_SG_SL_E_clIS9_SA_SB_SB_EEDaSZ_S10_SG_SL_EUlSZ_E_NS1_11comp_targetILNS1_3genE5ELNS1_11target_archE942ELNS1_3gpuE9ELNS1_3repE0EEENS1_47radix_sort_onesweep_sort_config_static_selectorELNS0_4arch9wavefront6targetE0EEEvSG_.private_seg_size, 0
	.set _ZN7rocprim17ROCPRIM_400000_NS6detail17trampoline_kernelINS0_14default_configENS1_35radix_sort_onesweep_config_selectorIaNS0_10empty_typeEEEZZNS1_29radix_sort_onesweep_iterationIS3_Lb1EPKaPaPS5_SB_mNS0_19identity_decomposerENS1_16block_id_wrapperIjLb1EEEEE10hipError_tT1_PNSt15iterator_traitsISG_E10value_typeET2_T3_PNSH_ISM_E10value_typeET4_T5_PSR_SS_PNS1_23onesweep_lookback_stateEbbT6_jjT7_P12ihipStream_tbENKUlT_T0_SG_SL_E_clIS9_SA_SB_SB_EEDaSZ_S10_SG_SL_EUlSZ_E_NS1_11comp_targetILNS1_3genE5ELNS1_11target_archE942ELNS1_3gpuE9ELNS1_3repE0EEENS1_47radix_sort_onesweep_sort_config_static_selectorELNS0_4arch9wavefront6targetE0EEEvSG_.uses_vcc, 0
	.set _ZN7rocprim17ROCPRIM_400000_NS6detail17trampoline_kernelINS0_14default_configENS1_35radix_sort_onesweep_config_selectorIaNS0_10empty_typeEEEZZNS1_29radix_sort_onesweep_iterationIS3_Lb1EPKaPaPS5_SB_mNS0_19identity_decomposerENS1_16block_id_wrapperIjLb1EEEEE10hipError_tT1_PNSt15iterator_traitsISG_E10value_typeET2_T3_PNSH_ISM_E10value_typeET4_T5_PSR_SS_PNS1_23onesweep_lookback_stateEbbT6_jjT7_P12ihipStream_tbENKUlT_T0_SG_SL_E_clIS9_SA_SB_SB_EEDaSZ_S10_SG_SL_EUlSZ_E_NS1_11comp_targetILNS1_3genE5ELNS1_11target_archE942ELNS1_3gpuE9ELNS1_3repE0EEENS1_47radix_sort_onesweep_sort_config_static_selectorELNS0_4arch9wavefront6targetE0EEEvSG_.uses_flat_scratch, 0
	.set _ZN7rocprim17ROCPRIM_400000_NS6detail17trampoline_kernelINS0_14default_configENS1_35radix_sort_onesweep_config_selectorIaNS0_10empty_typeEEEZZNS1_29radix_sort_onesweep_iterationIS3_Lb1EPKaPaPS5_SB_mNS0_19identity_decomposerENS1_16block_id_wrapperIjLb1EEEEE10hipError_tT1_PNSt15iterator_traitsISG_E10value_typeET2_T3_PNSH_ISM_E10value_typeET4_T5_PSR_SS_PNS1_23onesweep_lookback_stateEbbT6_jjT7_P12ihipStream_tbENKUlT_T0_SG_SL_E_clIS9_SA_SB_SB_EEDaSZ_S10_SG_SL_EUlSZ_E_NS1_11comp_targetILNS1_3genE5ELNS1_11target_archE942ELNS1_3gpuE9ELNS1_3repE0EEENS1_47radix_sort_onesweep_sort_config_static_selectorELNS0_4arch9wavefront6targetE0EEEvSG_.has_dyn_sized_stack, 0
	.set _ZN7rocprim17ROCPRIM_400000_NS6detail17trampoline_kernelINS0_14default_configENS1_35radix_sort_onesweep_config_selectorIaNS0_10empty_typeEEEZZNS1_29radix_sort_onesweep_iterationIS3_Lb1EPKaPaPS5_SB_mNS0_19identity_decomposerENS1_16block_id_wrapperIjLb1EEEEE10hipError_tT1_PNSt15iterator_traitsISG_E10value_typeET2_T3_PNSH_ISM_E10value_typeET4_T5_PSR_SS_PNS1_23onesweep_lookback_stateEbbT6_jjT7_P12ihipStream_tbENKUlT_T0_SG_SL_E_clIS9_SA_SB_SB_EEDaSZ_S10_SG_SL_EUlSZ_E_NS1_11comp_targetILNS1_3genE5ELNS1_11target_archE942ELNS1_3gpuE9ELNS1_3repE0EEENS1_47radix_sort_onesweep_sort_config_static_selectorELNS0_4arch9wavefront6targetE0EEEvSG_.has_recursion, 0
	.set _ZN7rocprim17ROCPRIM_400000_NS6detail17trampoline_kernelINS0_14default_configENS1_35radix_sort_onesweep_config_selectorIaNS0_10empty_typeEEEZZNS1_29radix_sort_onesweep_iterationIS3_Lb1EPKaPaPS5_SB_mNS0_19identity_decomposerENS1_16block_id_wrapperIjLb1EEEEE10hipError_tT1_PNSt15iterator_traitsISG_E10value_typeET2_T3_PNSH_ISM_E10value_typeET4_T5_PSR_SS_PNS1_23onesweep_lookback_stateEbbT6_jjT7_P12ihipStream_tbENKUlT_T0_SG_SL_E_clIS9_SA_SB_SB_EEDaSZ_S10_SG_SL_EUlSZ_E_NS1_11comp_targetILNS1_3genE5ELNS1_11target_archE942ELNS1_3gpuE9ELNS1_3repE0EEENS1_47radix_sort_onesweep_sort_config_static_selectorELNS0_4arch9wavefront6targetE0EEEvSG_.has_indirect_call, 0
	.section	.AMDGPU.csdata,"",@progbits
; Kernel info:
; codeLenInByte = 0
; TotalNumSgprs: 0
; NumVgprs: 0
; ScratchSize: 0
; MemoryBound: 0
; FloatMode: 240
; IeeeMode: 1
; LDSByteSize: 0 bytes/workgroup (compile time only)
; SGPRBlocks: 0
; VGPRBlocks: 0
; NumSGPRsForWavesPerEU: 1
; NumVGPRsForWavesPerEU: 1
; NamedBarCnt: 0
; Occupancy: 16
; WaveLimiterHint : 0
; COMPUTE_PGM_RSRC2:SCRATCH_EN: 0
; COMPUTE_PGM_RSRC2:USER_SGPR: 2
; COMPUTE_PGM_RSRC2:TRAP_HANDLER: 0
; COMPUTE_PGM_RSRC2:TGID_X_EN: 1
; COMPUTE_PGM_RSRC2:TGID_Y_EN: 0
; COMPUTE_PGM_RSRC2:TGID_Z_EN: 0
; COMPUTE_PGM_RSRC2:TIDIG_COMP_CNT: 0
	.section	.text._ZN7rocprim17ROCPRIM_400000_NS6detail17trampoline_kernelINS0_14default_configENS1_35radix_sort_onesweep_config_selectorIaNS0_10empty_typeEEEZZNS1_29radix_sort_onesweep_iterationIS3_Lb1EPKaPaPS5_SB_mNS0_19identity_decomposerENS1_16block_id_wrapperIjLb1EEEEE10hipError_tT1_PNSt15iterator_traitsISG_E10value_typeET2_T3_PNSH_ISM_E10value_typeET4_T5_PSR_SS_PNS1_23onesweep_lookback_stateEbbT6_jjT7_P12ihipStream_tbENKUlT_T0_SG_SL_E_clIS9_SA_SB_SB_EEDaSZ_S10_SG_SL_EUlSZ_E_NS1_11comp_targetILNS1_3genE2ELNS1_11target_archE906ELNS1_3gpuE6ELNS1_3repE0EEENS1_47radix_sort_onesweep_sort_config_static_selectorELNS0_4arch9wavefront6targetE0EEEvSG_,"axG",@progbits,_ZN7rocprim17ROCPRIM_400000_NS6detail17trampoline_kernelINS0_14default_configENS1_35radix_sort_onesweep_config_selectorIaNS0_10empty_typeEEEZZNS1_29radix_sort_onesweep_iterationIS3_Lb1EPKaPaPS5_SB_mNS0_19identity_decomposerENS1_16block_id_wrapperIjLb1EEEEE10hipError_tT1_PNSt15iterator_traitsISG_E10value_typeET2_T3_PNSH_ISM_E10value_typeET4_T5_PSR_SS_PNS1_23onesweep_lookback_stateEbbT6_jjT7_P12ihipStream_tbENKUlT_T0_SG_SL_E_clIS9_SA_SB_SB_EEDaSZ_S10_SG_SL_EUlSZ_E_NS1_11comp_targetILNS1_3genE2ELNS1_11target_archE906ELNS1_3gpuE6ELNS1_3repE0EEENS1_47radix_sort_onesweep_sort_config_static_selectorELNS0_4arch9wavefront6targetE0EEEvSG_,comdat
	.protected	_ZN7rocprim17ROCPRIM_400000_NS6detail17trampoline_kernelINS0_14default_configENS1_35radix_sort_onesweep_config_selectorIaNS0_10empty_typeEEEZZNS1_29radix_sort_onesweep_iterationIS3_Lb1EPKaPaPS5_SB_mNS0_19identity_decomposerENS1_16block_id_wrapperIjLb1EEEEE10hipError_tT1_PNSt15iterator_traitsISG_E10value_typeET2_T3_PNSH_ISM_E10value_typeET4_T5_PSR_SS_PNS1_23onesweep_lookback_stateEbbT6_jjT7_P12ihipStream_tbENKUlT_T0_SG_SL_E_clIS9_SA_SB_SB_EEDaSZ_S10_SG_SL_EUlSZ_E_NS1_11comp_targetILNS1_3genE2ELNS1_11target_archE906ELNS1_3gpuE6ELNS1_3repE0EEENS1_47radix_sort_onesweep_sort_config_static_selectorELNS0_4arch9wavefront6targetE0EEEvSG_ ; -- Begin function _ZN7rocprim17ROCPRIM_400000_NS6detail17trampoline_kernelINS0_14default_configENS1_35radix_sort_onesweep_config_selectorIaNS0_10empty_typeEEEZZNS1_29radix_sort_onesweep_iterationIS3_Lb1EPKaPaPS5_SB_mNS0_19identity_decomposerENS1_16block_id_wrapperIjLb1EEEEE10hipError_tT1_PNSt15iterator_traitsISG_E10value_typeET2_T3_PNSH_ISM_E10value_typeET4_T5_PSR_SS_PNS1_23onesweep_lookback_stateEbbT6_jjT7_P12ihipStream_tbENKUlT_T0_SG_SL_E_clIS9_SA_SB_SB_EEDaSZ_S10_SG_SL_EUlSZ_E_NS1_11comp_targetILNS1_3genE2ELNS1_11target_archE906ELNS1_3gpuE6ELNS1_3repE0EEENS1_47radix_sort_onesweep_sort_config_static_selectorELNS0_4arch9wavefront6targetE0EEEvSG_
	.globl	_ZN7rocprim17ROCPRIM_400000_NS6detail17trampoline_kernelINS0_14default_configENS1_35radix_sort_onesweep_config_selectorIaNS0_10empty_typeEEEZZNS1_29radix_sort_onesweep_iterationIS3_Lb1EPKaPaPS5_SB_mNS0_19identity_decomposerENS1_16block_id_wrapperIjLb1EEEEE10hipError_tT1_PNSt15iterator_traitsISG_E10value_typeET2_T3_PNSH_ISM_E10value_typeET4_T5_PSR_SS_PNS1_23onesweep_lookback_stateEbbT6_jjT7_P12ihipStream_tbENKUlT_T0_SG_SL_E_clIS9_SA_SB_SB_EEDaSZ_S10_SG_SL_EUlSZ_E_NS1_11comp_targetILNS1_3genE2ELNS1_11target_archE906ELNS1_3gpuE6ELNS1_3repE0EEENS1_47radix_sort_onesweep_sort_config_static_selectorELNS0_4arch9wavefront6targetE0EEEvSG_
	.p2align	8
	.type	_ZN7rocprim17ROCPRIM_400000_NS6detail17trampoline_kernelINS0_14default_configENS1_35radix_sort_onesweep_config_selectorIaNS0_10empty_typeEEEZZNS1_29radix_sort_onesweep_iterationIS3_Lb1EPKaPaPS5_SB_mNS0_19identity_decomposerENS1_16block_id_wrapperIjLb1EEEEE10hipError_tT1_PNSt15iterator_traitsISG_E10value_typeET2_T3_PNSH_ISM_E10value_typeET4_T5_PSR_SS_PNS1_23onesweep_lookback_stateEbbT6_jjT7_P12ihipStream_tbENKUlT_T0_SG_SL_E_clIS9_SA_SB_SB_EEDaSZ_S10_SG_SL_EUlSZ_E_NS1_11comp_targetILNS1_3genE2ELNS1_11target_archE906ELNS1_3gpuE6ELNS1_3repE0EEENS1_47radix_sort_onesweep_sort_config_static_selectorELNS0_4arch9wavefront6targetE0EEEvSG_,@function
_ZN7rocprim17ROCPRIM_400000_NS6detail17trampoline_kernelINS0_14default_configENS1_35radix_sort_onesweep_config_selectorIaNS0_10empty_typeEEEZZNS1_29radix_sort_onesweep_iterationIS3_Lb1EPKaPaPS5_SB_mNS0_19identity_decomposerENS1_16block_id_wrapperIjLb1EEEEE10hipError_tT1_PNSt15iterator_traitsISG_E10value_typeET2_T3_PNSH_ISM_E10value_typeET4_T5_PSR_SS_PNS1_23onesweep_lookback_stateEbbT6_jjT7_P12ihipStream_tbENKUlT_T0_SG_SL_E_clIS9_SA_SB_SB_EEDaSZ_S10_SG_SL_EUlSZ_E_NS1_11comp_targetILNS1_3genE2ELNS1_11target_archE906ELNS1_3gpuE6ELNS1_3repE0EEENS1_47radix_sort_onesweep_sort_config_static_selectorELNS0_4arch9wavefront6targetE0EEEvSG_: ; @_ZN7rocprim17ROCPRIM_400000_NS6detail17trampoline_kernelINS0_14default_configENS1_35radix_sort_onesweep_config_selectorIaNS0_10empty_typeEEEZZNS1_29radix_sort_onesweep_iterationIS3_Lb1EPKaPaPS5_SB_mNS0_19identity_decomposerENS1_16block_id_wrapperIjLb1EEEEE10hipError_tT1_PNSt15iterator_traitsISG_E10value_typeET2_T3_PNSH_ISM_E10value_typeET4_T5_PSR_SS_PNS1_23onesweep_lookback_stateEbbT6_jjT7_P12ihipStream_tbENKUlT_T0_SG_SL_E_clIS9_SA_SB_SB_EEDaSZ_S10_SG_SL_EUlSZ_E_NS1_11comp_targetILNS1_3genE2ELNS1_11target_archE906ELNS1_3gpuE6ELNS1_3repE0EEENS1_47radix_sort_onesweep_sort_config_static_selectorELNS0_4arch9wavefront6targetE0EEEvSG_
; %bb.0:
	.section	.rodata,"a",@progbits
	.p2align	6, 0x0
	.amdhsa_kernel _ZN7rocprim17ROCPRIM_400000_NS6detail17trampoline_kernelINS0_14default_configENS1_35radix_sort_onesweep_config_selectorIaNS0_10empty_typeEEEZZNS1_29radix_sort_onesweep_iterationIS3_Lb1EPKaPaPS5_SB_mNS0_19identity_decomposerENS1_16block_id_wrapperIjLb1EEEEE10hipError_tT1_PNSt15iterator_traitsISG_E10value_typeET2_T3_PNSH_ISM_E10value_typeET4_T5_PSR_SS_PNS1_23onesweep_lookback_stateEbbT6_jjT7_P12ihipStream_tbENKUlT_T0_SG_SL_E_clIS9_SA_SB_SB_EEDaSZ_S10_SG_SL_EUlSZ_E_NS1_11comp_targetILNS1_3genE2ELNS1_11target_archE906ELNS1_3gpuE6ELNS1_3repE0EEENS1_47radix_sort_onesweep_sort_config_static_selectorELNS0_4arch9wavefront6targetE0EEEvSG_
		.amdhsa_group_segment_fixed_size 0
		.amdhsa_private_segment_fixed_size 0
		.amdhsa_kernarg_size 88
		.amdhsa_user_sgpr_count 2
		.amdhsa_user_sgpr_dispatch_ptr 0
		.amdhsa_user_sgpr_queue_ptr 0
		.amdhsa_user_sgpr_kernarg_segment_ptr 1
		.amdhsa_user_sgpr_dispatch_id 0
		.amdhsa_user_sgpr_kernarg_preload_length 0
		.amdhsa_user_sgpr_kernarg_preload_offset 0
		.amdhsa_user_sgpr_private_segment_size 0
		.amdhsa_wavefront_size32 1
		.amdhsa_uses_dynamic_stack 0
		.amdhsa_enable_private_segment 0
		.amdhsa_system_sgpr_workgroup_id_x 1
		.amdhsa_system_sgpr_workgroup_id_y 0
		.amdhsa_system_sgpr_workgroup_id_z 0
		.amdhsa_system_sgpr_workgroup_info 0
		.amdhsa_system_vgpr_workitem_id 0
		.amdhsa_next_free_vgpr 1
		.amdhsa_next_free_sgpr 1
		.amdhsa_named_barrier_count 0
		.amdhsa_reserve_vcc 0
		.amdhsa_float_round_mode_32 0
		.amdhsa_float_round_mode_16_64 0
		.amdhsa_float_denorm_mode_32 3
		.amdhsa_float_denorm_mode_16_64 3
		.amdhsa_fp16_overflow 0
		.amdhsa_memory_ordered 1
		.amdhsa_forward_progress 1
		.amdhsa_inst_pref_size 0
		.amdhsa_round_robin_scheduling 0
		.amdhsa_exception_fp_ieee_invalid_op 0
		.amdhsa_exception_fp_denorm_src 0
		.amdhsa_exception_fp_ieee_div_zero 0
		.amdhsa_exception_fp_ieee_overflow 0
		.amdhsa_exception_fp_ieee_underflow 0
		.amdhsa_exception_fp_ieee_inexact 0
		.amdhsa_exception_int_div_zero 0
	.end_amdhsa_kernel
	.section	.text._ZN7rocprim17ROCPRIM_400000_NS6detail17trampoline_kernelINS0_14default_configENS1_35radix_sort_onesweep_config_selectorIaNS0_10empty_typeEEEZZNS1_29radix_sort_onesweep_iterationIS3_Lb1EPKaPaPS5_SB_mNS0_19identity_decomposerENS1_16block_id_wrapperIjLb1EEEEE10hipError_tT1_PNSt15iterator_traitsISG_E10value_typeET2_T3_PNSH_ISM_E10value_typeET4_T5_PSR_SS_PNS1_23onesweep_lookback_stateEbbT6_jjT7_P12ihipStream_tbENKUlT_T0_SG_SL_E_clIS9_SA_SB_SB_EEDaSZ_S10_SG_SL_EUlSZ_E_NS1_11comp_targetILNS1_3genE2ELNS1_11target_archE906ELNS1_3gpuE6ELNS1_3repE0EEENS1_47radix_sort_onesweep_sort_config_static_selectorELNS0_4arch9wavefront6targetE0EEEvSG_,"axG",@progbits,_ZN7rocprim17ROCPRIM_400000_NS6detail17trampoline_kernelINS0_14default_configENS1_35radix_sort_onesweep_config_selectorIaNS0_10empty_typeEEEZZNS1_29radix_sort_onesweep_iterationIS3_Lb1EPKaPaPS5_SB_mNS0_19identity_decomposerENS1_16block_id_wrapperIjLb1EEEEE10hipError_tT1_PNSt15iterator_traitsISG_E10value_typeET2_T3_PNSH_ISM_E10value_typeET4_T5_PSR_SS_PNS1_23onesweep_lookback_stateEbbT6_jjT7_P12ihipStream_tbENKUlT_T0_SG_SL_E_clIS9_SA_SB_SB_EEDaSZ_S10_SG_SL_EUlSZ_E_NS1_11comp_targetILNS1_3genE2ELNS1_11target_archE906ELNS1_3gpuE6ELNS1_3repE0EEENS1_47radix_sort_onesweep_sort_config_static_selectorELNS0_4arch9wavefront6targetE0EEEvSG_,comdat
.Lfunc_end358:
	.size	_ZN7rocprim17ROCPRIM_400000_NS6detail17trampoline_kernelINS0_14default_configENS1_35radix_sort_onesweep_config_selectorIaNS0_10empty_typeEEEZZNS1_29radix_sort_onesweep_iterationIS3_Lb1EPKaPaPS5_SB_mNS0_19identity_decomposerENS1_16block_id_wrapperIjLb1EEEEE10hipError_tT1_PNSt15iterator_traitsISG_E10value_typeET2_T3_PNSH_ISM_E10value_typeET4_T5_PSR_SS_PNS1_23onesweep_lookback_stateEbbT6_jjT7_P12ihipStream_tbENKUlT_T0_SG_SL_E_clIS9_SA_SB_SB_EEDaSZ_S10_SG_SL_EUlSZ_E_NS1_11comp_targetILNS1_3genE2ELNS1_11target_archE906ELNS1_3gpuE6ELNS1_3repE0EEENS1_47radix_sort_onesweep_sort_config_static_selectorELNS0_4arch9wavefront6targetE0EEEvSG_, .Lfunc_end358-_ZN7rocprim17ROCPRIM_400000_NS6detail17trampoline_kernelINS0_14default_configENS1_35radix_sort_onesweep_config_selectorIaNS0_10empty_typeEEEZZNS1_29radix_sort_onesweep_iterationIS3_Lb1EPKaPaPS5_SB_mNS0_19identity_decomposerENS1_16block_id_wrapperIjLb1EEEEE10hipError_tT1_PNSt15iterator_traitsISG_E10value_typeET2_T3_PNSH_ISM_E10value_typeET4_T5_PSR_SS_PNS1_23onesweep_lookback_stateEbbT6_jjT7_P12ihipStream_tbENKUlT_T0_SG_SL_E_clIS9_SA_SB_SB_EEDaSZ_S10_SG_SL_EUlSZ_E_NS1_11comp_targetILNS1_3genE2ELNS1_11target_archE906ELNS1_3gpuE6ELNS1_3repE0EEENS1_47radix_sort_onesweep_sort_config_static_selectorELNS0_4arch9wavefront6targetE0EEEvSG_
                                        ; -- End function
	.set _ZN7rocprim17ROCPRIM_400000_NS6detail17trampoline_kernelINS0_14default_configENS1_35radix_sort_onesweep_config_selectorIaNS0_10empty_typeEEEZZNS1_29radix_sort_onesweep_iterationIS3_Lb1EPKaPaPS5_SB_mNS0_19identity_decomposerENS1_16block_id_wrapperIjLb1EEEEE10hipError_tT1_PNSt15iterator_traitsISG_E10value_typeET2_T3_PNSH_ISM_E10value_typeET4_T5_PSR_SS_PNS1_23onesweep_lookback_stateEbbT6_jjT7_P12ihipStream_tbENKUlT_T0_SG_SL_E_clIS9_SA_SB_SB_EEDaSZ_S10_SG_SL_EUlSZ_E_NS1_11comp_targetILNS1_3genE2ELNS1_11target_archE906ELNS1_3gpuE6ELNS1_3repE0EEENS1_47radix_sort_onesweep_sort_config_static_selectorELNS0_4arch9wavefront6targetE0EEEvSG_.num_vgpr, 0
	.set _ZN7rocprim17ROCPRIM_400000_NS6detail17trampoline_kernelINS0_14default_configENS1_35radix_sort_onesweep_config_selectorIaNS0_10empty_typeEEEZZNS1_29radix_sort_onesweep_iterationIS3_Lb1EPKaPaPS5_SB_mNS0_19identity_decomposerENS1_16block_id_wrapperIjLb1EEEEE10hipError_tT1_PNSt15iterator_traitsISG_E10value_typeET2_T3_PNSH_ISM_E10value_typeET4_T5_PSR_SS_PNS1_23onesweep_lookback_stateEbbT6_jjT7_P12ihipStream_tbENKUlT_T0_SG_SL_E_clIS9_SA_SB_SB_EEDaSZ_S10_SG_SL_EUlSZ_E_NS1_11comp_targetILNS1_3genE2ELNS1_11target_archE906ELNS1_3gpuE6ELNS1_3repE0EEENS1_47radix_sort_onesweep_sort_config_static_selectorELNS0_4arch9wavefront6targetE0EEEvSG_.num_agpr, 0
	.set _ZN7rocprim17ROCPRIM_400000_NS6detail17trampoline_kernelINS0_14default_configENS1_35radix_sort_onesweep_config_selectorIaNS0_10empty_typeEEEZZNS1_29radix_sort_onesweep_iterationIS3_Lb1EPKaPaPS5_SB_mNS0_19identity_decomposerENS1_16block_id_wrapperIjLb1EEEEE10hipError_tT1_PNSt15iterator_traitsISG_E10value_typeET2_T3_PNSH_ISM_E10value_typeET4_T5_PSR_SS_PNS1_23onesweep_lookback_stateEbbT6_jjT7_P12ihipStream_tbENKUlT_T0_SG_SL_E_clIS9_SA_SB_SB_EEDaSZ_S10_SG_SL_EUlSZ_E_NS1_11comp_targetILNS1_3genE2ELNS1_11target_archE906ELNS1_3gpuE6ELNS1_3repE0EEENS1_47radix_sort_onesweep_sort_config_static_selectorELNS0_4arch9wavefront6targetE0EEEvSG_.numbered_sgpr, 0
	.set _ZN7rocprim17ROCPRIM_400000_NS6detail17trampoline_kernelINS0_14default_configENS1_35radix_sort_onesweep_config_selectorIaNS0_10empty_typeEEEZZNS1_29radix_sort_onesweep_iterationIS3_Lb1EPKaPaPS5_SB_mNS0_19identity_decomposerENS1_16block_id_wrapperIjLb1EEEEE10hipError_tT1_PNSt15iterator_traitsISG_E10value_typeET2_T3_PNSH_ISM_E10value_typeET4_T5_PSR_SS_PNS1_23onesweep_lookback_stateEbbT6_jjT7_P12ihipStream_tbENKUlT_T0_SG_SL_E_clIS9_SA_SB_SB_EEDaSZ_S10_SG_SL_EUlSZ_E_NS1_11comp_targetILNS1_3genE2ELNS1_11target_archE906ELNS1_3gpuE6ELNS1_3repE0EEENS1_47radix_sort_onesweep_sort_config_static_selectorELNS0_4arch9wavefront6targetE0EEEvSG_.num_named_barrier, 0
	.set _ZN7rocprim17ROCPRIM_400000_NS6detail17trampoline_kernelINS0_14default_configENS1_35radix_sort_onesweep_config_selectorIaNS0_10empty_typeEEEZZNS1_29radix_sort_onesweep_iterationIS3_Lb1EPKaPaPS5_SB_mNS0_19identity_decomposerENS1_16block_id_wrapperIjLb1EEEEE10hipError_tT1_PNSt15iterator_traitsISG_E10value_typeET2_T3_PNSH_ISM_E10value_typeET4_T5_PSR_SS_PNS1_23onesweep_lookback_stateEbbT6_jjT7_P12ihipStream_tbENKUlT_T0_SG_SL_E_clIS9_SA_SB_SB_EEDaSZ_S10_SG_SL_EUlSZ_E_NS1_11comp_targetILNS1_3genE2ELNS1_11target_archE906ELNS1_3gpuE6ELNS1_3repE0EEENS1_47radix_sort_onesweep_sort_config_static_selectorELNS0_4arch9wavefront6targetE0EEEvSG_.private_seg_size, 0
	.set _ZN7rocprim17ROCPRIM_400000_NS6detail17trampoline_kernelINS0_14default_configENS1_35radix_sort_onesweep_config_selectorIaNS0_10empty_typeEEEZZNS1_29radix_sort_onesweep_iterationIS3_Lb1EPKaPaPS5_SB_mNS0_19identity_decomposerENS1_16block_id_wrapperIjLb1EEEEE10hipError_tT1_PNSt15iterator_traitsISG_E10value_typeET2_T3_PNSH_ISM_E10value_typeET4_T5_PSR_SS_PNS1_23onesweep_lookback_stateEbbT6_jjT7_P12ihipStream_tbENKUlT_T0_SG_SL_E_clIS9_SA_SB_SB_EEDaSZ_S10_SG_SL_EUlSZ_E_NS1_11comp_targetILNS1_3genE2ELNS1_11target_archE906ELNS1_3gpuE6ELNS1_3repE0EEENS1_47radix_sort_onesweep_sort_config_static_selectorELNS0_4arch9wavefront6targetE0EEEvSG_.uses_vcc, 0
	.set _ZN7rocprim17ROCPRIM_400000_NS6detail17trampoline_kernelINS0_14default_configENS1_35radix_sort_onesweep_config_selectorIaNS0_10empty_typeEEEZZNS1_29radix_sort_onesweep_iterationIS3_Lb1EPKaPaPS5_SB_mNS0_19identity_decomposerENS1_16block_id_wrapperIjLb1EEEEE10hipError_tT1_PNSt15iterator_traitsISG_E10value_typeET2_T3_PNSH_ISM_E10value_typeET4_T5_PSR_SS_PNS1_23onesweep_lookback_stateEbbT6_jjT7_P12ihipStream_tbENKUlT_T0_SG_SL_E_clIS9_SA_SB_SB_EEDaSZ_S10_SG_SL_EUlSZ_E_NS1_11comp_targetILNS1_3genE2ELNS1_11target_archE906ELNS1_3gpuE6ELNS1_3repE0EEENS1_47radix_sort_onesweep_sort_config_static_selectorELNS0_4arch9wavefront6targetE0EEEvSG_.uses_flat_scratch, 0
	.set _ZN7rocprim17ROCPRIM_400000_NS6detail17trampoline_kernelINS0_14default_configENS1_35radix_sort_onesweep_config_selectorIaNS0_10empty_typeEEEZZNS1_29radix_sort_onesweep_iterationIS3_Lb1EPKaPaPS5_SB_mNS0_19identity_decomposerENS1_16block_id_wrapperIjLb1EEEEE10hipError_tT1_PNSt15iterator_traitsISG_E10value_typeET2_T3_PNSH_ISM_E10value_typeET4_T5_PSR_SS_PNS1_23onesweep_lookback_stateEbbT6_jjT7_P12ihipStream_tbENKUlT_T0_SG_SL_E_clIS9_SA_SB_SB_EEDaSZ_S10_SG_SL_EUlSZ_E_NS1_11comp_targetILNS1_3genE2ELNS1_11target_archE906ELNS1_3gpuE6ELNS1_3repE0EEENS1_47radix_sort_onesweep_sort_config_static_selectorELNS0_4arch9wavefront6targetE0EEEvSG_.has_dyn_sized_stack, 0
	.set _ZN7rocprim17ROCPRIM_400000_NS6detail17trampoline_kernelINS0_14default_configENS1_35radix_sort_onesweep_config_selectorIaNS0_10empty_typeEEEZZNS1_29radix_sort_onesweep_iterationIS3_Lb1EPKaPaPS5_SB_mNS0_19identity_decomposerENS1_16block_id_wrapperIjLb1EEEEE10hipError_tT1_PNSt15iterator_traitsISG_E10value_typeET2_T3_PNSH_ISM_E10value_typeET4_T5_PSR_SS_PNS1_23onesweep_lookback_stateEbbT6_jjT7_P12ihipStream_tbENKUlT_T0_SG_SL_E_clIS9_SA_SB_SB_EEDaSZ_S10_SG_SL_EUlSZ_E_NS1_11comp_targetILNS1_3genE2ELNS1_11target_archE906ELNS1_3gpuE6ELNS1_3repE0EEENS1_47radix_sort_onesweep_sort_config_static_selectorELNS0_4arch9wavefront6targetE0EEEvSG_.has_recursion, 0
	.set _ZN7rocprim17ROCPRIM_400000_NS6detail17trampoline_kernelINS0_14default_configENS1_35radix_sort_onesweep_config_selectorIaNS0_10empty_typeEEEZZNS1_29radix_sort_onesweep_iterationIS3_Lb1EPKaPaPS5_SB_mNS0_19identity_decomposerENS1_16block_id_wrapperIjLb1EEEEE10hipError_tT1_PNSt15iterator_traitsISG_E10value_typeET2_T3_PNSH_ISM_E10value_typeET4_T5_PSR_SS_PNS1_23onesweep_lookback_stateEbbT6_jjT7_P12ihipStream_tbENKUlT_T0_SG_SL_E_clIS9_SA_SB_SB_EEDaSZ_S10_SG_SL_EUlSZ_E_NS1_11comp_targetILNS1_3genE2ELNS1_11target_archE906ELNS1_3gpuE6ELNS1_3repE0EEENS1_47radix_sort_onesweep_sort_config_static_selectorELNS0_4arch9wavefront6targetE0EEEvSG_.has_indirect_call, 0
	.section	.AMDGPU.csdata,"",@progbits
; Kernel info:
; codeLenInByte = 0
; TotalNumSgprs: 0
; NumVgprs: 0
; ScratchSize: 0
; MemoryBound: 0
; FloatMode: 240
; IeeeMode: 1
; LDSByteSize: 0 bytes/workgroup (compile time only)
; SGPRBlocks: 0
; VGPRBlocks: 0
; NumSGPRsForWavesPerEU: 1
; NumVGPRsForWavesPerEU: 1
; NamedBarCnt: 0
; Occupancy: 16
; WaveLimiterHint : 0
; COMPUTE_PGM_RSRC2:SCRATCH_EN: 0
; COMPUTE_PGM_RSRC2:USER_SGPR: 2
; COMPUTE_PGM_RSRC2:TRAP_HANDLER: 0
; COMPUTE_PGM_RSRC2:TGID_X_EN: 1
; COMPUTE_PGM_RSRC2:TGID_Y_EN: 0
; COMPUTE_PGM_RSRC2:TGID_Z_EN: 0
; COMPUTE_PGM_RSRC2:TIDIG_COMP_CNT: 0
	.section	.text._ZN7rocprim17ROCPRIM_400000_NS6detail17trampoline_kernelINS0_14default_configENS1_35radix_sort_onesweep_config_selectorIaNS0_10empty_typeEEEZZNS1_29radix_sort_onesweep_iterationIS3_Lb1EPKaPaPS5_SB_mNS0_19identity_decomposerENS1_16block_id_wrapperIjLb1EEEEE10hipError_tT1_PNSt15iterator_traitsISG_E10value_typeET2_T3_PNSH_ISM_E10value_typeET4_T5_PSR_SS_PNS1_23onesweep_lookback_stateEbbT6_jjT7_P12ihipStream_tbENKUlT_T0_SG_SL_E_clIS9_SA_SB_SB_EEDaSZ_S10_SG_SL_EUlSZ_E_NS1_11comp_targetILNS1_3genE4ELNS1_11target_archE910ELNS1_3gpuE8ELNS1_3repE0EEENS1_47radix_sort_onesweep_sort_config_static_selectorELNS0_4arch9wavefront6targetE0EEEvSG_,"axG",@progbits,_ZN7rocprim17ROCPRIM_400000_NS6detail17trampoline_kernelINS0_14default_configENS1_35radix_sort_onesweep_config_selectorIaNS0_10empty_typeEEEZZNS1_29radix_sort_onesweep_iterationIS3_Lb1EPKaPaPS5_SB_mNS0_19identity_decomposerENS1_16block_id_wrapperIjLb1EEEEE10hipError_tT1_PNSt15iterator_traitsISG_E10value_typeET2_T3_PNSH_ISM_E10value_typeET4_T5_PSR_SS_PNS1_23onesweep_lookback_stateEbbT6_jjT7_P12ihipStream_tbENKUlT_T0_SG_SL_E_clIS9_SA_SB_SB_EEDaSZ_S10_SG_SL_EUlSZ_E_NS1_11comp_targetILNS1_3genE4ELNS1_11target_archE910ELNS1_3gpuE8ELNS1_3repE0EEENS1_47radix_sort_onesweep_sort_config_static_selectorELNS0_4arch9wavefront6targetE0EEEvSG_,comdat
	.protected	_ZN7rocprim17ROCPRIM_400000_NS6detail17trampoline_kernelINS0_14default_configENS1_35radix_sort_onesweep_config_selectorIaNS0_10empty_typeEEEZZNS1_29radix_sort_onesweep_iterationIS3_Lb1EPKaPaPS5_SB_mNS0_19identity_decomposerENS1_16block_id_wrapperIjLb1EEEEE10hipError_tT1_PNSt15iterator_traitsISG_E10value_typeET2_T3_PNSH_ISM_E10value_typeET4_T5_PSR_SS_PNS1_23onesweep_lookback_stateEbbT6_jjT7_P12ihipStream_tbENKUlT_T0_SG_SL_E_clIS9_SA_SB_SB_EEDaSZ_S10_SG_SL_EUlSZ_E_NS1_11comp_targetILNS1_3genE4ELNS1_11target_archE910ELNS1_3gpuE8ELNS1_3repE0EEENS1_47radix_sort_onesweep_sort_config_static_selectorELNS0_4arch9wavefront6targetE0EEEvSG_ ; -- Begin function _ZN7rocprim17ROCPRIM_400000_NS6detail17trampoline_kernelINS0_14default_configENS1_35radix_sort_onesweep_config_selectorIaNS0_10empty_typeEEEZZNS1_29radix_sort_onesweep_iterationIS3_Lb1EPKaPaPS5_SB_mNS0_19identity_decomposerENS1_16block_id_wrapperIjLb1EEEEE10hipError_tT1_PNSt15iterator_traitsISG_E10value_typeET2_T3_PNSH_ISM_E10value_typeET4_T5_PSR_SS_PNS1_23onesweep_lookback_stateEbbT6_jjT7_P12ihipStream_tbENKUlT_T0_SG_SL_E_clIS9_SA_SB_SB_EEDaSZ_S10_SG_SL_EUlSZ_E_NS1_11comp_targetILNS1_3genE4ELNS1_11target_archE910ELNS1_3gpuE8ELNS1_3repE0EEENS1_47radix_sort_onesweep_sort_config_static_selectorELNS0_4arch9wavefront6targetE0EEEvSG_
	.globl	_ZN7rocprim17ROCPRIM_400000_NS6detail17trampoline_kernelINS0_14default_configENS1_35radix_sort_onesweep_config_selectorIaNS0_10empty_typeEEEZZNS1_29radix_sort_onesweep_iterationIS3_Lb1EPKaPaPS5_SB_mNS0_19identity_decomposerENS1_16block_id_wrapperIjLb1EEEEE10hipError_tT1_PNSt15iterator_traitsISG_E10value_typeET2_T3_PNSH_ISM_E10value_typeET4_T5_PSR_SS_PNS1_23onesweep_lookback_stateEbbT6_jjT7_P12ihipStream_tbENKUlT_T0_SG_SL_E_clIS9_SA_SB_SB_EEDaSZ_S10_SG_SL_EUlSZ_E_NS1_11comp_targetILNS1_3genE4ELNS1_11target_archE910ELNS1_3gpuE8ELNS1_3repE0EEENS1_47radix_sort_onesweep_sort_config_static_selectorELNS0_4arch9wavefront6targetE0EEEvSG_
	.p2align	8
	.type	_ZN7rocprim17ROCPRIM_400000_NS6detail17trampoline_kernelINS0_14default_configENS1_35radix_sort_onesweep_config_selectorIaNS0_10empty_typeEEEZZNS1_29radix_sort_onesweep_iterationIS3_Lb1EPKaPaPS5_SB_mNS0_19identity_decomposerENS1_16block_id_wrapperIjLb1EEEEE10hipError_tT1_PNSt15iterator_traitsISG_E10value_typeET2_T3_PNSH_ISM_E10value_typeET4_T5_PSR_SS_PNS1_23onesweep_lookback_stateEbbT6_jjT7_P12ihipStream_tbENKUlT_T0_SG_SL_E_clIS9_SA_SB_SB_EEDaSZ_S10_SG_SL_EUlSZ_E_NS1_11comp_targetILNS1_3genE4ELNS1_11target_archE910ELNS1_3gpuE8ELNS1_3repE0EEENS1_47radix_sort_onesweep_sort_config_static_selectorELNS0_4arch9wavefront6targetE0EEEvSG_,@function
_ZN7rocprim17ROCPRIM_400000_NS6detail17trampoline_kernelINS0_14default_configENS1_35radix_sort_onesweep_config_selectorIaNS0_10empty_typeEEEZZNS1_29radix_sort_onesweep_iterationIS3_Lb1EPKaPaPS5_SB_mNS0_19identity_decomposerENS1_16block_id_wrapperIjLb1EEEEE10hipError_tT1_PNSt15iterator_traitsISG_E10value_typeET2_T3_PNSH_ISM_E10value_typeET4_T5_PSR_SS_PNS1_23onesweep_lookback_stateEbbT6_jjT7_P12ihipStream_tbENKUlT_T0_SG_SL_E_clIS9_SA_SB_SB_EEDaSZ_S10_SG_SL_EUlSZ_E_NS1_11comp_targetILNS1_3genE4ELNS1_11target_archE910ELNS1_3gpuE8ELNS1_3repE0EEENS1_47radix_sort_onesweep_sort_config_static_selectorELNS0_4arch9wavefront6targetE0EEEvSG_: ; @_ZN7rocprim17ROCPRIM_400000_NS6detail17trampoline_kernelINS0_14default_configENS1_35radix_sort_onesweep_config_selectorIaNS0_10empty_typeEEEZZNS1_29radix_sort_onesweep_iterationIS3_Lb1EPKaPaPS5_SB_mNS0_19identity_decomposerENS1_16block_id_wrapperIjLb1EEEEE10hipError_tT1_PNSt15iterator_traitsISG_E10value_typeET2_T3_PNSH_ISM_E10value_typeET4_T5_PSR_SS_PNS1_23onesweep_lookback_stateEbbT6_jjT7_P12ihipStream_tbENKUlT_T0_SG_SL_E_clIS9_SA_SB_SB_EEDaSZ_S10_SG_SL_EUlSZ_E_NS1_11comp_targetILNS1_3genE4ELNS1_11target_archE910ELNS1_3gpuE8ELNS1_3repE0EEENS1_47radix_sort_onesweep_sort_config_static_selectorELNS0_4arch9wavefront6targetE0EEEvSG_
; %bb.0:
	.section	.rodata,"a",@progbits
	.p2align	6, 0x0
	.amdhsa_kernel _ZN7rocprim17ROCPRIM_400000_NS6detail17trampoline_kernelINS0_14default_configENS1_35radix_sort_onesweep_config_selectorIaNS0_10empty_typeEEEZZNS1_29radix_sort_onesweep_iterationIS3_Lb1EPKaPaPS5_SB_mNS0_19identity_decomposerENS1_16block_id_wrapperIjLb1EEEEE10hipError_tT1_PNSt15iterator_traitsISG_E10value_typeET2_T3_PNSH_ISM_E10value_typeET4_T5_PSR_SS_PNS1_23onesweep_lookback_stateEbbT6_jjT7_P12ihipStream_tbENKUlT_T0_SG_SL_E_clIS9_SA_SB_SB_EEDaSZ_S10_SG_SL_EUlSZ_E_NS1_11comp_targetILNS1_3genE4ELNS1_11target_archE910ELNS1_3gpuE8ELNS1_3repE0EEENS1_47radix_sort_onesweep_sort_config_static_selectorELNS0_4arch9wavefront6targetE0EEEvSG_
		.amdhsa_group_segment_fixed_size 0
		.amdhsa_private_segment_fixed_size 0
		.amdhsa_kernarg_size 88
		.amdhsa_user_sgpr_count 2
		.amdhsa_user_sgpr_dispatch_ptr 0
		.amdhsa_user_sgpr_queue_ptr 0
		.amdhsa_user_sgpr_kernarg_segment_ptr 1
		.amdhsa_user_sgpr_dispatch_id 0
		.amdhsa_user_sgpr_kernarg_preload_length 0
		.amdhsa_user_sgpr_kernarg_preload_offset 0
		.amdhsa_user_sgpr_private_segment_size 0
		.amdhsa_wavefront_size32 1
		.amdhsa_uses_dynamic_stack 0
		.amdhsa_enable_private_segment 0
		.amdhsa_system_sgpr_workgroup_id_x 1
		.amdhsa_system_sgpr_workgroup_id_y 0
		.amdhsa_system_sgpr_workgroup_id_z 0
		.amdhsa_system_sgpr_workgroup_info 0
		.amdhsa_system_vgpr_workitem_id 0
		.amdhsa_next_free_vgpr 1
		.amdhsa_next_free_sgpr 1
		.amdhsa_named_barrier_count 0
		.amdhsa_reserve_vcc 0
		.amdhsa_float_round_mode_32 0
		.amdhsa_float_round_mode_16_64 0
		.amdhsa_float_denorm_mode_32 3
		.amdhsa_float_denorm_mode_16_64 3
		.amdhsa_fp16_overflow 0
		.amdhsa_memory_ordered 1
		.amdhsa_forward_progress 1
		.amdhsa_inst_pref_size 0
		.amdhsa_round_robin_scheduling 0
		.amdhsa_exception_fp_ieee_invalid_op 0
		.amdhsa_exception_fp_denorm_src 0
		.amdhsa_exception_fp_ieee_div_zero 0
		.amdhsa_exception_fp_ieee_overflow 0
		.amdhsa_exception_fp_ieee_underflow 0
		.amdhsa_exception_fp_ieee_inexact 0
		.amdhsa_exception_int_div_zero 0
	.end_amdhsa_kernel
	.section	.text._ZN7rocprim17ROCPRIM_400000_NS6detail17trampoline_kernelINS0_14default_configENS1_35radix_sort_onesweep_config_selectorIaNS0_10empty_typeEEEZZNS1_29radix_sort_onesweep_iterationIS3_Lb1EPKaPaPS5_SB_mNS0_19identity_decomposerENS1_16block_id_wrapperIjLb1EEEEE10hipError_tT1_PNSt15iterator_traitsISG_E10value_typeET2_T3_PNSH_ISM_E10value_typeET4_T5_PSR_SS_PNS1_23onesweep_lookback_stateEbbT6_jjT7_P12ihipStream_tbENKUlT_T0_SG_SL_E_clIS9_SA_SB_SB_EEDaSZ_S10_SG_SL_EUlSZ_E_NS1_11comp_targetILNS1_3genE4ELNS1_11target_archE910ELNS1_3gpuE8ELNS1_3repE0EEENS1_47radix_sort_onesweep_sort_config_static_selectorELNS0_4arch9wavefront6targetE0EEEvSG_,"axG",@progbits,_ZN7rocprim17ROCPRIM_400000_NS6detail17trampoline_kernelINS0_14default_configENS1_35radix_sort_onesweep_config_selectorIaNS0_10empty_typeEEEZZNS1_29radix_sort_onesweep_iterationIS3_Lb1EPKaPaPS5_SB_mNS0_19identity_decomposerENS1_16block_id_wrapperIjLb1EEEEE10hipError_tT1_PNSt15iterator_traitsISG_E10value_typeET2_T3_PNSH_ISM_E10value_typeET4_T5_PSR_SS_PNS1_23onesweep_lookback_stateEbbT6_jjT7_P12ihipStream_tbENKUlT_T0_SG_SL_E_clIS9_SA_SB_SB_EEDaSZ_S10_SG_SL_EUlSZ_E_NS1_11comp_targetILNS1_3genE4ELNS1_11target_archE910ELNS1_3gpuE8ELNS1_3repE0EEENS1_47radix_sort_onesweep_sort_config_static_selectorELNS0_4arch9wavefront6targetE0EEEvSG_,comdat
.Lfunc_end359:
	.size	_ZN7rocprim17ROCPRIM_400000_NS6detail17trampoline_kernelINS0_14default_configENS1_35radix_sort_onesweep_config_selectorIaNS0_10empty_typeEEEZZNS1_29radix_sort_onesweep_iterationIS3_Lb1EPKaPaPS5_SB_mNS0_19identity_decomposerENS1_16block_id_wrapperIjLb1EEEEE10hipError_tT1_PNSt15iterator_traitsISG_E10value_typeET2_T3_PNSH_ISM_E10value_typeET4_T5_PSR_SS_PNS1_23onesweep_lookback_stateEbbT6_jjT7_P12ihipStream_tbENKUlT_T0_SG_SL_E_clIS9_SA_SB_SB_EEDaSZ_S10_SG_SL_EUlSZ_E_NS1_11comp_targetILNS1_3genE4ELNS1_11target_archE910ELNS1_3gpuE8ELNS1_3repE0EEENS1_47radix_sort_onesweep_sort_config_static_selectorELNS0_4arch9wavefront6targetE0EEEvSG_, .Lfunc_end359-_ZN7rocprim17ROCPRIM_400000_NS6detail17trampoline_kernelINS0_14default_configENS1_35radix_sort_onesweep_config_selectorIaNS0_10empty_typeEEEZZNS1_29radix_sort_onesweep_iterationIS3_Lb1EPKaPaPS5_SB_mNS0_19identity_decomposerENS1_16block_id_wrapperIjLb1EEEEE10hipError_tT1_PNSt15iterator_traitsISG_E10value_typeET2_T3_PNSH_ISM_E10value_typeET4_T5_PSR_SS_PNS1_23onesweep_lookback_stateEbbT6_jjT7_P12ihipStream_tbENKUlT_T0_SG_SL_E_clIS9_SA_SB_SB_EEDaSZ_S10_SG_SL_EUlSZ_E_NS1_11comp_targetILNS1_3genE4ELNS1_11target_archE910ELNS1_3gpuE8ELNS1_3repE0EEENS1_47radix_sort_onesweep_sort_config_static_selectorELNS0_4arch9wavefront6targetE0EEEvSG_
                                        ; -- End function
	.set _ZN7rocprim17ROCPRIM_400000_NS6detail17trampoline_kernelINS0_14default_configENS1_35radix_sort_onesweep_config_selectorIaNS0_10empty_typeEEEZZNS1_29radix_sort_onesweep_iterationIS3_Lb1EPKaPaPS5_SB_mNS0_19identity_decomposerENS1_16block_id_wrapperIjLb1EEEEE10hipError_tT1_PNSt15iterator_traitsISG_E10value_typeET2_T3_PNSH_ISM_E10value_typeET4_T5_PSR_SS_PNS1_23onesweep_lookback_stateEbbT6_jjT7_P12ihipStream_tbENKUlT_T0_SG_SL_E_clIS9_SA_SB_SB_EEDaSZ_S10_SG_SL_EUlSZ_E_NS1_11comp_targetILNS1_3genE4ELNS1_11target_archE910ELNS1_3gpuE8ELNS1_3repE0EEENS1_47radix_sort_onesweep_sort_config_static_selectorELNS0_4arch9wavefront6targetE0EEEvSG_.num_vgpr, 0
	.set _ZN7rocprim17ROCPRIM_400000_NS6detail17trampoline_kernelINS0_14default_configENS1_35radix_sort_onesweep_config_selectorIaNS0_10empty_typeEEEZZNS1_29radix_sort_onesweep_iterationIS3_Lb1EPKaPaPS5_SB_mNS0_19identity_decomposerENS1_16block_id_wrapperIjLb1EEEEE10hipError_tT1_PNSt15iterator_traitsISG_E10value_typeET2_T3_PNSH_ISM_E10value_typeET4_T5_PSR_SS_PNS1_23onesweep_lookback_stateEbbT6_jjT7_P12ihipStream_tbENKUlT_T0_SG_SL_E_clIS9_SA_SB_SB_EEDaSZ_S10_SG_SL_EUlSZ_E_NS1_11comp_targetILNS1_3genE4ELNS1_11target_archE910ELNS1_3gpuE8ELNS1_3repE0EEENS1_47radix_sort_onesweep_sort_config_static_selectorELNS0_4arch9wavefront6targetE0EEEvSG_.num_agpr, 0
	.set _ZN7rocprim17ROCPRIM_400000_NS6detail17trampoline_kernelINS0_14default_configENS1_35radix_sort_onesweep_config_selectorIaNS0_10empty_typeEEEZZNS1_29radix_sort_onesweep_iterationIS3_Lb1EPKaPaPS5_SB_mNS0_19identity_decomposerENS1_16block_id_wrapperIjLb1EEEEE10hipError_tT1_PNSt15iterator_traitsISG_E10value_typeET2_T3_PNSH_ISM_E10value_typeET4_T5_PSR_SS_PNS1_23onesweep_lookback_stateEbbT6_jjT7_P12ihipStream_tbENKUlT_T0_SG_SL_E_clIS9_SA_SB_SB_EEDaSZ_S10_SG_SL_EUlSZ_E_NS1_11comp_targetILNS1_3genE4ELNS1_11target_archE910ELNS1_3gpuE8ELNS1_3repE0EEENS1_47radix_sort_onesweep_sort_config_static_selectorELNS0_4arch9wavefront6targetE0EEEvSG_.numbered_sgpr, 0
	.set _ZN7rocprim17ROCPRIM_400000_NS6detail17trampoline_kernelINS0_14default_configENS1_35radix_sort_onesweep_config_selectorIaNS0_10empty_typeEEEZZNS1_29radix_sort_onesweep_iterationIS3_Lb1EPKaPaPS5_SB_mNS0_19identity_decomposerENS1_16block_id_wrapperIjLb1EEEEE10hipError_tT1_PNSt15iterator_traitsISG_E10value_typeET2_T3_PNSH_ISM_E10value_typeET4_T5_PSR_SS_PNS1_23onesweep_lookback_stateEbbT6_jjT7_P12ihipStream_tbENKUlT_T0_SG_SL_E_clIS9_SA_SB_SB_EEDaSZ_S10_SG_SL_EUlSZ_E_NS1_11comp_targetILNS1_3genE4ELNS1_11target_archE910ELNS1_3gpuE8ELNS1_3repE0EEENS1_47radix_sort_onesweep_sort_config_static_selectorELNS0_4arch9wavefront6targetE0EEEvSG_.num_named_barrier, 0
	.set _ZN7rocprim17ROCPRIM_400000_NS6detail17trampoline_kernelINS0_14default_configENS1_35radix_sort_onesweep_config_selectorIaNS0_10empty_typeEEEZZNS1_29radix_sort_onesweep_iterationIS3_Lb1EPKaPaPS5_SB_mNS0_19identity_decomposerENS1_16block_id_wrapperIjLb1EEEEE10hipError_tT1_PNSt15iterator_traitsISG_E10value_typeET2_T3_PNSH_ISM_E10value_typeET4_T5_PSR_SS_PNS1_23onesweep_lookback_stateEbbT6_jjT7_P12ihipStream_tbENKUlT_T0_SG_SL_E_clIS9_SA_SB_SB_EEDaSZ_S10_SG_SL_EUlSZ_E_NS1_11comp_targetILNS1_3genE4ELNS1_11target_archE910ELNS1_3gpuE8ELNS1_3repE0EEENS1_47radix_sort_onesweep_sort_config_static_selectorELNS0_4arch9wavefront6targetE0EEEvSG_.private_seg_size, 0
	.set _ZN7rocprim17ROCPRIM_400000_NS6detail17trampoline_kernelINS0_14default_configENS1_35radix_sort_onesweep_config_selectorIaNS0_10empty_typeEEEZZNS1_29radix_sort_onesweep_iterationIS3_Lb1EPKaPaPS5_SB_mNS0_19identity_decomposerENS1_16block_id_wrapperIjLb1EEEEE10hipError_tT1_PNSt15iterator_traitsISG_E10value_typeET2_T3_PNSH_ISM_E10value_typeET4_T5_PSR_SS_PNS1_23onesweep_lookback_stateEbbT6_jjT7_P12ihipStream_tbENKUlT_T0_SG_SL_E_clIS9_SA_SB_SB_EEDaSZ_S10_SG_SL_EUlSZ_E_NS1_11comp_targetILNS1_3genE4ELNS1_11target_archE910ELNS1_3gpuE8ELNS1_3repE0EEENS1_47radix_sort_onesweep_sort_config_static_selectorELNS0_4arch9wavefront6targetE0EEEvSG_.uses_vcc, 0
	.set _ZN7rocprim17ROCPRIM_400000_NS6detail17trampoline_kernelINS0_14default_configENS1_35radix_sort_onesweep_config_selectorIaNS0_10empty_typeEEEZZNS1_29radix_sort_onesweep_iterationIS3_Lb1EPKaPaPS5_SB_mNS0_19identity_decomposerENS1_16block_id_wrapperIjLb1EEEEE10hipError_tT1_PNSt15iterator_traitsISG_E10value_typeET2_T3_PNSH_ISM_E10value_typeET4_T5_PSR_SS_PNS1_23onesweep_lookback_stateEbbT6_jjT7_P12ihipStream_tbENKUlT_T0_SG_SL_E_clIS9_SA_SB_SB_EEDaSZ_S10_SG_SL_EUlSZ_E_NS1_11comp_targetILNS1_3genE4ELNS1_11target_archE910ELNS1_3gpuE8ELNS1_3repE0EEENS1_47radix_sort_onesweep_sort_config_static_selectorELNS0_4arch9wavefront6targetE0EEEvSG_.uses_flat_scratch, 0
	.set _ZN7rocprim17ROCPRIM_400000_NS6detail17trampoline_kernelINS0_14default_configENS1_35radix_sort_onesweep_config_selectorIaNS0_10empty_typeEEEZZNS1_29radix_sort_onesweep_iterationIS3_Lb1EPKaPaPS5_SB_mNS0_19identity_decomposerENS1_16block_id_wrapperIjLb1EEEEE10hipError_tT1_PNSt15iterator_traitsISG_E10value_typeET2_T3_PNSH_ISM_E10value_typeET4_T5_PSR_SS_PNS1_23onesweep_lookback_stateEbbT6_jjT7_P12ihipStream_tbENKUlT_T0_SG_SL_E_clIS9_SA_SB_SB_EEDaSZ_S10_SG_SL_EUlSZ_E_NS1_11comp_targetILNS1_3genE4ELNS1_11target_archE910ELNS1_3gpuE8ELNS1_3repE0EEENS1_47radix_sort_onesweep_sort_config_static_selectorELNS0_4arch9wavefront6targetE0EEEvSG_.has_dyn_sized_stack, 0
	.set _ZN7rocprim17ROCPRIM_400000_NS6detail17trampoline_kernelINS0_14default_configENS1_35radix_sort_onesweep_config_selectorIaNS0_10empty_typeEEEZZNS1_29radix_sort_onesweep_iterationIS3_Lb1EPKaPaPS5_SB_mNS0_19identity_decomposerENS1_16block_id_wrapperIjLb1EEEEE10hipError_tT1_PNSt15iterator_traitsISG_E10value_typeET2_T3_PNSH_ISM_E10value_typeET4_T5_PSR_SS_PNS1_23onesweep_lookback_stateEbbT6_jjT7_P12ihipStream_tbENKUlT_T0_SG_SL_E_clIS9_SA_SB_SB_EEDaSZ_S10_SG_SL_EUlSZ_E_NS1_11comp_targetILNS1_3genE4ELNS1_11target_archE910ELNS1_3gpuE8ELNS1_3repE0EEENS1_47radix_sort_onesweep_sort_config_static_selectorELNS0_4arch9wavefront6targetE0EEEvSG_.has_recursion, 0
	.set _ZN7rocprim17ROCPRIM_400000_NS6detail17trampoline_kernelINS0_14default_configENS1_35radix_sort_onesweep_config_selectorIaNS0_10empty_typeEEEZZNS1_29radix_sort_onesweep_iterationIS3_Lb1EPKaPaPS5_SB_mNS0_19identity_decomposerENS1_16block_id_wrapperIjLb1EEEEE10hipError_tT1_PNSt15iterator_traitsISG_E10value_typeET2_T3_PNSH_ISM_E10value_typeET4_T5_PSR_SS_PNS1_23onesweep_lookback_stateEbbT6_jjT7_P12ihipStream_tbENKUlT_T0_SG_SL_E_clIS9_SA_SB_SB_EEDaSZ_S10_SG_SL_EUlSZ_E_NS1_11comp_targetILNS1_3genE4ELNS1_11target_archE910ELNS1_3gpuE8ELNS1_3repE0EEENS1_47radix_sort_onesweep_sort_config_static_selectorELNS0_4arch9wavefront6targetE0EEEvSG_.has_indirect_call, 0
	.section	.AMDGPU.csdata,"",@progbits
; Kernel info:
; codeLenInByte = 0
; TotalNumSgprs: 0
; NumVgprs: 0
; ScratchSize: 0
; MemoryBound: 0
; FloatMode: 240
; IeeeMode: 1
; LDSByteSize: 0 bytes/workgroup (compile time only)
; SGPRBlocks: 0
; VGPRBlocks: 0
; NumSGPRsForWavesPerEU: 1
; NumVGPRsForWavesPerEU: 1
; NamedBarCnt: 0
; Occupancy: 16
; WaveLimiterHint : 0
; COMPUTE_PGM_RSRC2:SCRATCH_EN: 0
; COMPUTE_PGM_RSRC2:USER_SGPR: 2
; COMPUTE_PGM_RSRC2:TRAP_HANDLER: 0
; COMPUTE_PGM_RSRC2:TGID_X_EN: 1
; COMPUTE_PGM_RSRC2:TGID_Y_EN: 0
; COMPUTE_PGM_RSRC2:TGID_Z_EN: 0
; COMPUTE_PGM_RSRC2:TIDIG_COMP_CNT: 0
	.section	.text._ZN7rocprim17ROCPRIM_400000_NS6detail17trampoline_kernelINS0_14default_configENS1_35radix_sort_onesweep_config_selectorIaNS0_10empty_typeEEEZZNS1_29radix_sort_onesweep_iterationIS3_Lb1EPKaPaPS5_SB_mNS0_19identity_decomposerENS1_16block_id_wrapperIjLb1EEEEE10hipError_tT1_PNSt15iterator_traitsISG_E10value_typeET2_T3_PNSH_ISM_E10value_typeET4_T5_PSR_SS_PNS1_23onesweep_lookback_stateEbbT6_jjT7_P12ihipStream_tbENKUlT_T0_SG_SL_E_clIS9_SA_SB_SB_EEDaSZ_S10_SG_SL_EUlSZ_E_NS1_11comp_targetILNS1_3genE3ELNS1_11target_archE908ELNS1_3gpuE7ELNS1_3repE0EEENS1_47radix_sort_onesweep_sort_config_static_selectorELNS0_4arch9wavefront6targetE0EEEvSG_,"axG",@progbits,_ZN7rocprim17ROCPRIM_400000_NS6detail17trampoline_kernelINS0_14default_configENS1_35radix_sort_onesweep_config_selectorIaNS0_10empty_typeEEEZZNS1_29radix_sort_onesweep_iterationIS3_Lb1EPKaPaPS5_SB_mNS0_19identity_decomposerENS1_16block_id_wrapperIjLb1EEEEE10hipError_tT1_PNSt15iterator_traitsISG_E10value_typeET2_T3_PNSH_ISM_E10value_typeET4_T5_PSR_SS_PNS1_23onesweep_lookback_stateEbbT6_jjT7_P12ihipStream_tbENKUlT_T0_SG_SL_E_clIS9_SA_SB_SB_EEDaSZ_S10_SG_SL_EUlSZ_E_NS1_11comp_targetILNS1_3genE3ELNS1_11target_archE908ELNS1_3gpuE7ELNS1_3repE0EEENS1_47radix_sort_onesweep_sort_config_static_selectorELNS0_4arch9wavefront6targetE0EEEvSG_,comdat
	.protected	_ZN7rocprim17ROCPRIM_400000_NS6detail17trampoline_kernelINS0_14default_configENS1_35radix_sort_onesweep_config_selectorIaNS0_10empty_typeEEEZZNS1_29radix_sort_onesweep_iterationIS3_Lb1EPKaPaPS5_SB_mNS0_19identity_decomposerENS1_16block_id_wrapperIjLb1EEEEE10hipError_tT1_PNSt15iterator_traitsISG_E10value_typeET2_T3_PNSH_ISM_E10value_typeET4_T5_PSR_SS_PNS1_23onesweep_lookback_stateEbbT6_jjT7_P12ihipStream_tbENKUlT_T0_SG_SL_E_clIS9_SA_SB_SB_EEDaSZ_S10_SG_SL_EUlSZ_E_NS1_11comp_targetILNS1_3genE3ELNS1_11target_archE908ELNS1_3gpuE7ELNS1_3repE0EEENS1_47radix_sort_onesweep_sort_config_static_selectorELNS0_4arch9wavefront6targetE0EEEvSG_ ; -- Begin function _ZN7rocprim17ROCPRIM_400000_NS6detail17trampoline_kernelINS0_14default_configENS1_35radix_sort_onesweep_config_selectorIaNS0_10empty_typeEEEZZNS1_29radix_sort_onesweep_iterationIS3_Lb1EPKaPaPS5_SB_mNS0_19identity_decomposerENS1_16block_id_wrapperIjLb1EEEEE10hipError_tT1_PNSt15iterator_traitsISG_E10value_typeET2_T3_PNSH_ISM_E10value_typeET4_T5_PSR_SS_PNS1_23onesweep_lookback_stateEbbT6_jjT7_P12ihipStream_tbENKUlT_T0_SG_SL_E_clIS9_SA_SB_SB_EEDaSZ_S10_SG_SL_EUlSZ_E_NS1_11comp_targetILNS1_3genE3ELNS1_11target_archE908ELNS1_3gpuE7ELNS1_3repE0EEENS1_47radix_sort_onesweep_sort_config_static_selectorELNS0_4arch9wavefront6targetE0EEEvSG_
	.globl	_ZN7rocprim17ROCPRIM_400000_NS6detail17trampoline_kernelINS0_14default_configENS1_35radix_sort_onesweep_config_selectorIaNS0_10empty_typeEEEZZNS1_29radix_sort_onesweep_iterationIS3_Lb1EPKaPaPS5_SB_mNS0_19identity_decomposerENS1_16block_id_wrapperIjLb1EEEEE10hipError_tT1_PNSt15iterator_traitsISG_E10value_typeET2_T3_PNSH_ISM_E10value_typeET4_T5_PSR_SS_PNS1_23onesweep_lookback_stateEbbT6_jjT7_P12ihipStream_tbENKUlT_T0_SG_SL_E_clIS9_SA_SB_SB_EEDaSZ_S10_SG_SL_EUlSZ_E_NS1_11comp_targetILNS1_3genE3ELNS1_11target_archE908ELNS1_3gpuE7ELNS1_3repE0EEENS1_47radix_sort_onesweep_sort_config_static_selectorELNS0_4arch9wavefront6targetE0EEEvSG_
	.p2align	8
	.type	_ZN7rocprim17ROCPRIM_400000_NS6detail17trampoline_kernelINS0_14default_configENS1_35radix_sort_onesweep_config_selectorIaNS0_10empty_typeEEEZZNS1_29radix_sort_onesweep_iterationIS3_Lb1EPKaPaPS5_SB_mNS0_19identity_decomposerENS1_16block_id_wrapperIjLb1EEEEE10hipError_tT1_PNSt15iterator_traitsISG_E10value_typeET2_T3_PNSH_ISM_E10value_typeET4_T5_PSR_SS_PNS1_23onesweep_lookback_stateEbbT6_jjT7_P12ihipStream_tbENKUlT_T0_SG_SL_E_clIS9_SA_SB_SB_EEDaSZ_S10_SG_SL_EUlSZ_E_NS1_11comp_targetILNS1_3genE3ELNS1_11target_archE908ELNS1_3gpuE7ELNS1_3repE0EEENS1_47radix_sort_onesweep_sort_config_static_selectorELNS0_4arch9wavefront6targetE0EEEvSG_,@function
_ZN7rocprim17ROCPRIM_400000_NS6detail17trampoline_kernelINS0_14default_configENS1_35radix_sort_onesweep_config_selectorIaNS0_10empty_typeEEEZZNS1_29radix_sort_onesweep_iterationIS3_Lb1EPKaPaPS5_SB_mNS0_19identity_decomposerENS1_16block_id_wrapperIjLb1EEEEE10hipError_tT1_PNSt15iterator_traitsISG_E10value_typeET2_T3_PNSH_ISM_E10value_typeET4_T5_PSR_SS_PNS1_23onesweep_lookback_stateEbbT6_jjT7_P12ihipStream_tbENKUlT_T0_SG_SL_E_clIS9_SA_SB_SB_EEDaSZ_S10_SG_SL_EUlSZ_E_NS1_11comp_targetILNS1_3genE3ELNS1_11target_archE908ELNS1_3gpuE7ELNS1_3repE0EEENS1_47radix_sort_onesweep_sort_config_static_selectorELNS0_4arch9wavefront6targetE0EEEvSG_: ; @_ZN7rocprim17ROCPRIM_400000_NS6detail17trampoline_kernelINS0_14default_configENS1_35radix_sort_onesweep_config_selectorIaNS0_10empty_typeEEEZZNS1_29radix_sort_onesweep_iterationIS3_Lb1EPKaPaPS5_SB_mNS0_19identity_decomposerENS1_16block_id_wrapperIjLb1EEEEE10hipError_tT1_PNSt15iterator_traitsISG_E10value_typeET2_T3_PNSH_ISM_E10value_typeET4_T5_PSR_SS_PNS1_23onesweep_lookback_stateEbbT6_jjT7_P12ihipStream_tbENKUlT_T0_SG_SL_E_clIS9_SA_SB_SB_EEDaSZ_S10_SG_SL_EUlSZ_E_NS1_11comp_targetILNS1_3genE3ELNS1_11target_archE908ELNS1_3gpuE7ELNS1_3repE0EEENS1_47radix_sort_onesweep_sort_config_static_selectorELNS0_4arch9wavefront6targetE0EEEvSG_
; %bb.0:
	.section	.rodata,"a",@progbits
	.p2align	6, 0x0
	.amdhsa_kernel _ZN7rocprim17ROCPRIM_400000_NS6detail17trampoline_kernelINS0_14default_configENS1_35radix_sort_onesweep_config_selectorIaNS0_10empty_typeEEEZZNS1_29radix_sort_onesweep_iterationIS3_Lb1EPKaPaPS5_SB_mNS0_19identity_decomposerENS1_16block_id_wrapperIjLb1EEEEE10hipError_tT1_PNSt15iterator_traitsISG_E10value_typeET2_T3_PNSH_ISM_E10value_typeET4_T5_PSR_SS_PNS1_23onesweep_lookback_stateEbbT6_jjT7_P12ihipStream_tbENKUlT_T0_SG_SL_E_clIS9_SA_SB_SB_EEDaSZ_S10_SG_SL_EUlSZ_E_NS1_11comp_targetILNS1_3genE3ELNS1_11target_archE908ELNS1_3gpuE7ELNS1_3repE0EEENS1_47radix_sort_onesweep_sort_config_static_selectorELNS0_4arch9wavefront6targetE0EEEvSG_
		.amdhsa_group_segment_fixed_size 0
		.amdhsa_private_segment_fixed_size 0
		.amdhsa_kernarg_size 88
		.amdhsa_user_sgpr_count 2
		.amdhsa_user_sgpr_dispatch_ptr 0
		.amdhsa_user_sgpr_queue_ptr 0
		.amdhsa_user_sgpr_kernarg_segment_ptr 1
		.amdhsa_user_sgpr_dispatch_id 0
		.amdhsa_user_sgpr_kernarg_preload_length 0
		.amdhsa_user_sgpr_kernarg_preload_offset 0
		.amdhsa_user_sgpr_private_segment_size 0
		.amdhsa_wavefront_size32 1
		.amdhsa_uses_dynamic_stack 0
		.amdhsa_enable_private_segment 0
		.amdhsa_system_sgpr_workgroup_id_x 1
		.amdhsa_system_sgpr_workgroup_id_y 0
		.amdhsa_system_sgpr_workgroup_id_z 0
		.amdhsa_system_sgpr_workgroup_info 0
		.amdhsa_system_vgpr_workitem_id 0
		.amdhsa_next_free_vgpr 1
		.amdhsa_next_free_sgpr 1
		.amdhsa_named_barrier_count 0
		.amdhsa_reserve_vcc 0
		.amdhsa_float_round_mode_32 0
		.amdhsa_float_round_mode_16_64 0
		.amdhsa_float_denorm_mode_32 3
		.amdhsa_float_denorm_mode_16_64 3
		.amdhsa_fp16_overflow 0
		.amdhsa_memory_ordered 1
		.amdhsa_forward_progress 1
		.amdhsa_inst_pref_size 0
		.amdhsa_round_robin_scheduling 0
		.amdhsa_exception_fp_ieee_invalid_op 0
		.amdhsa_exception_fp_denorm_src 0
		.amdhsa_exception_fp_ieee_div_zero 0
		.amdhsa_exception_fp_ieee_overflow 0
		.amdhsa_exception_fp_ieee_underflow 0
		.amdhsa_exception_fp_ieee_inexact 0
		.amdhsa_exception_int_div_zero 0
	.end_amdhsa_kernel
	.section	.text._ZN7rocprim17ROCPRIM_400000_NS6detail17trampoline_kernelINS0_14default_configENS1_35radix_sort_onesweep_config_selectorIaNS0_10empty_typeEEEZZNS1_29radix_sort_onesweep_iterationIS3_Lb1EPKaPaPS5_SB_mNS0_19identity_decomposerENS1_16block_id_wrapperIjLb1EEEEE10hipError_tT1_PNSt15iterator_traitsISG_E10value_typeET2_T3_PNSH_ISM_E10value_typeET4_T5_PSR_SS_PNS1_23onesweep_lookback_stateEbbT6_jjT7_P12ihipStream_tbENKUlT_T0_SG_SL_E_clIS9_SA_SB_SB_EEDaSZ_S10_SG_SL_EUlSZ_E_NS1_11comp_targetILNS1_3genE3ELNS1_11target_archE908ELNS1_3gpuE7ELNS1_3repE0EEENS1_47radix_sort_onesweep_sort_config_static_selectorELNS0_4arch9wavefront6targetE0EEEvSG_,"axG",@progbits,_ZN7rocprim17ROCPRIM_400000_NS6detail17trampoline_kernelINS0_14default_configENS1_35radix_sort_onesweep_config_selectorIaNS0_10empty_typeEEEZZNS1_29radix_sort_onesweep_iterationIS3_Lb1EPKaPaPS5_SB_mNS0_19identity_decomposerENS1_16block_id_wrapperIjLb1EEEEE10hipError_tT1_PNSt15iterator_traitsISG_E10value_typeET2_T3_PNSH_ISM_E10value_typeET4_T5_PSR_SS_PNS1_23onesweep_lookback_stateEbbT6_jjT7_P12ihipStream_tbENKUlT_T0_SG_SL_E_clIS9_SA_SB_SB_EEDaSZ_S10_SG_SL_EUlSZ_E_NS1_11comp_targetILNS1_3genE3ELNS1_11target_archE908ELNS1_3gpuE7ELNS1_3repE0EEENS1_47radix_sort_onesweep_sort_config_static_selectorELNS0_4arch9wavefront6targetE0EEEvSG_,comdat
.Lfunc_end360:
	.size	_ZN7rocprim17ROCPRIM_400000_NS6detail17trampoline_kernelINS0_14default_configENS1_35radix_sort_onesweep_config_selectorIaNS0_10empty_typeEEEZZNS1_29radix_sort_onesweep_iterationIS3_Lb1EPKaPaPS5_SB_mNS0_19identity_decomposerENS1_16block_id_wrapperIjLb1EEEEE10hipError_tT1_PNSt15iterator_traitsISG_E10value_typeET2_T3_PNSH_ISM_E10value_typeET4_T5_PSR_SS_PNS1_23onesweep_lookback_stateEbbT6_jjT7_P12ihipStream_tbENKUlT_T0_SG_SL_E_clIS9_SA_SB_SB_EEDaSZ_S10_SG_SL_EUlSZ_E_NS1_11comp_targetILNS1_3genE3ELNS1_11target_archE908ELNS1_3gpuE7ELNS1_3repE0EEENS1_47radix_sort_onesweep_sort_config_static_selectorELNS0_4arch9wavefront6targetE0EEEvSG_, .Lfunc_end360-_ZN7rocprim17ROCPRIM_400000_NS6detail17trampoline_kernelINS0_14default_configENS1_35radix_sort_onesweep_config_selectorIaNS0_10empty_typeEEEZZNS1_29radix_sort_onesweep_iterationIS3_Lb1EPKaPaPS5_SB_mNS0_19identity_decomposerENS1_16block_id_wrapperIjLb1EEEEE10hipError_tT1_PNSt15iterator_traitsISG_E10value_typeET2_T3_PNSH_ISM_E10value_typeET4_T5_PSR_SS_PNS1_23onesweep_lookback_stateEbbT6_jjT7_P12ihipStream_tbENKUlT_T0_SG_SL_E_clIS9_SA_SB_SB_EEDaSZ_S10_SG_SL_EUlSZ_E_NS1_11comp_targetILNS1_3genE3ELNS1_11target_archE908ELNS1_3gpuE7ELNS1_3repE0EEENS1_47radix_sort_onesweep_sort_config_static_selectorELNS0_4arch9wavefront6targetE0EEEvSG_
                                        ; -- End function
	.set _ZN7rocprim17ROCPRIM_400000_NS6detail17trampoline_kernelINS0_14default_configENS1_35radix_sort_onesweep_config_selectorIaNS0_10empty_typeEEEZZNS1_29radix_sort_onesweep_iterationIS3_Lb1EPKaPaPS5_SB_mNS0_19identity_decomposerENS1_16block_id_wrapperIjLb1EEEEE10hipError_tT1_PNSt15iterator_traitsISG_E10value_typeET2_T3_PNSH_ISM_E10value_typeET4_T5_PSR_SS_PNS1_23onesweep_lookback_stateEbbT6_jjT7_P12ihipStream_tbENKUlT_T0_SG_SL_E_clIS9_SA_SB_SB_EEDaSZ_S10_SG_SL_EUlSZ_E_NS1_11comp_targetILNS1_3genE3ELNS1_11target_archE908ELNS1_3gpuE7ELNS1_3repE0EEENS1_47radix_sort_onesweep_sort_config_static_selectorELNS0_4arch9wavefront6targetE0EEEvSG_.num_vgpr, 0
	.set _ZN7rocprim17ROCPRIM_400000_NS6detail17trampoline_kernelINS0_14default_configENS1_35radix_sort_onesweep_config_selectorIaNS0_10empty_typeEEEZZNS1_29radix_sort_onesweep_iterationIS3_Lb1EPKaPaPS5_SB_mNS0_19identity_decomposerENS1_16block_id_wrapperIjLb1EEEEE10hipError_tT1_PNSt15iterator_traitsISG_E10value_typeET2_T3_PNSH_ISM_E10value_typeET4_T5_PSR_SS_PNS1_23onesweep_lookback_stateEbbT6_jjT7_P12ihipStream_tbENKUlT_T0_SG_SL_E_clIS9_SA_SB_SB_EEDaSZ_S10_SG_SL_EUlSZ_E_NS1_11comp_targetILNS1_3genE3ELNS1_11target_archE908ELNS1_3gpuE7ELNS1_3repE0EEENS1_47radix_sort_onesweep_sort_config_static_selectorELNS0_4arch9wavefront6targetE0EEEvSG_.num_agpr, 0
	.set _ZN7rocprim17ROCPRIM_400000_NS6detail17trampoline_kernelINS0_14default_configENS1_35radix_sort_onesweep_config_selectorIaNS0_10empty_typeEEEZZNS1_29radix_sort_onesweep_iterationIS3_Lb1EPKaPaPS5_SB_mNS0_19identity_decomposerENS1_16block_id_wrapperIjLb1EEEEE10hipError_tT1_PNSt15iterator_traitsISG_E10value_typeET2_T3_PNSH_ISM_E10value_typeET4_T5_PSR_SS_PNS1_23onesweep_lookback_stateEbbT6_jjT7_P12ihipStream_tbENKUlT_T0_SG_SL_E_clIS9_SA_SB_SB_EEDaSZ_S10_SG_SL_EUlSZ_E_NS1_11comp_targetILNS1_3genE3ELNS1_11target_archE908ELNS1_3gpuE7ELNS1_3repE0EEENS1_47radix_sort_onesweep_sort_config_static_selectorELNS0_4arch9wavefront6targetE0EEEvSG_.numbered_sgpr, 0
	.set _ZN7rocprim17ROCPRIM_400000_NS6detail17trampoline_kernelINS0_14default_configENS1_35radix_sort_onesweep_config_selectorIaNS0_10empty_typeEEEZZNS1_29radix_sort_onesweep_iterationIS3_Lb1EPKaPaPS5_SB_mNS0_19identity_decomposerENS1_16block_id_wrapperIjLb1EEEEE10hipError_tT1_PNSt15iterator_traitsISG_E10value_typeET2_T3_PNSH_ISM_E10value_typeET4_T5_PSR_SS_PNS1_23onesweep_lookback_stateEbbT6_jjT7_P12ihipStream_tbENKUlT_T0_SG_SL_E_clIS9_SA_SB_SB_EEDaSZ_S10_SG_SL_EUlSZ_E_NS1_11comp_targetILNS1_3genE3ELNS1_11target_archE908ELNS1_3gpuE7ELNS1_3repE0EEENS1_47radix_sort_onesweep_sort_config_static_selectorELNS0_4arch9wavefront6targetE0EEEvSG_.num_named_barrier, 0
	.set _ZN7rocprim17ROCPRIM_400000_NS6detail17trampoline_kernelINS0_14default_configENS1_35radix_sort_onesweep_config_selectorIaNS0_10empty_typeEEEZZNS1_29radix_sort_onesweep_iterationIS3_Lb1EPKaPaPS5_SB_mNS0_19identity_decomposerENS1_16block_id_wrapperIjLb1EEEEE10hipError_tT1_PNSt15iterator_traitsISG_E10value_typeET2_T3_PNSH_ISM_E10value_typeET4_T5_PSR_SS_PNS1_23onesweep_lookback_stateEbbT6_jjT7_P12ihipStream_tbENKUlT_T0_SG_SL_E_clIS9_SA_SB_SB_EEDaSZ_S10_SG_SL_EUlSZ_E_NS1_11comp_targetILNS1_3genE3ELNS1_11target_archE908ELNS1_3gpuE7ELNS1_3repE0EEENS1_47radix_sort_onesweep_sort_config_static_selectorELNS0_4arch9wavefront6targetE0EEEvSG_.private_seg_size, 0
	.set _ZN7rocprim17ROCPRIM_400000_NS6detail17trampoline_kernelINS0_14default_configENS1_35radix_sort_onesweep_config_selectorIaNS0_10empty_typeEEEZZNS1_29radix_sort_onesweep_iterationIS3_Lb1EPKaPaPS5_SB_mNS0_19identity_decomposerENS1_16block_id_wrapperIjLb1EEEEE10hipError_tT1_PNSt15iterator_traitsISG_E10value_typeET2_T3_PNSH_ISM_E10value_typeET4_T5_PSR_SS_PNS1_23onesweep_lookback_stateEbbT6_jjT7_P12ihipStream_tbENKUlT_T0_SG_SL_E_clIS9_SA_SB_SB_EEDaSZ_S10_SG_SL_EUlSZ_E_NS1_11comp_targetILNS1_3genE3ELNS1_11target_archE908ELNS1_3gpuE7ELNS1_3repE0EEENS1_47radix_sort_onesweep_sort_config_static_selectorELNS0_4arch9wavefront6targetE0EEEvSG_.uses_vcc, 0
	.set _ZN7rocprim17ROCPRIM_400000_NS6detail17trampoline_kernelINS0_14default_configENS1_35radix_sort_onesweep_config_selectorIaNS0_10empty_typeEEEZZNS1_29radix_sort_onesweep_iterationIS3_Lb1EPKaPaPS5_SB_mNS0_19identity_decomposerENS1_16block_id_wrapperIjLb1EEEEE10hipError_tT1_PNSt15iterator_traitsISG_E10value_typeET2_T3_PNSH_ISM_E10value_typeET4_T5_PSR_SS_PNS1_23onesweep_lookback_stateEbbT6_jjT7_P12ihipStream_tbENKUlT_T0_SG_SL_E_clIS9_SA_SB_SB_EEDaSZ_S10_SG_SL_EUlSZ_E_NS1_11comp_targetILNS1_3genE3ELNS1_11target_archE908ELNS1_3gpuE7ELNS1_3repE0EEENS1_47radix_sort_onesweep_sort_config_static_selectorELNS0_4arch9wavefront6targetE0EEEvSG_.uses_flat_scratch, 0
	.set _ZN7rocprim17ROCPRIM_400000_NS6detail17trampoline_kernelINS0_14default_configENS1_35radix_sort_onesweep_config_selectorIaNS0_10empty_typeEEEZZNS1_29radix_sort_onesweep_iterationIS3_Lb1EPKaPaPS5_SB_mNS0_19identity_decomposerENS1_16block_id_wrapperIjLb1EEEEE10hipError_tT1_PNSt15iterator_traitsISG_E10value_typeET2_T3_PNSH_ISM_E10value_typeET4_T5_PSR_SS_PNS1_23onesweep_lookback_stateEbbT6_jjT7_P12ihipStream_tbENKUlT_T0_SG_SL_E_clIS9_SA_SB_SB_EEDaSZ_S10_SG_SL_EUlSZ_E_NS1_11comp_targetILNS1_3genE3ELNS1_11target_archE908ELNS1_3gpuE7ELNS1_3repE0EEENS1_47radix_sort_onesweep_sort_config_static_selectorELNS0_4arch9wavefront6targetE0EEEvSG_.has_dyn_sized_stack, 0
	.set _ZN7rocprim17ROCPRIM_400000_NS6detail17trampoline_kernelINS0_14default_configENS1_35radix_sort_onesweep_config_selectorIaNS0_10empty_typeEEEZZNS1_29radix_sort_onesweep_iterationIS3_Lb1EPKaPaPS5_SB_mNS0_19identity_decomposerENS1_16block_id_wrapperIjLb1EEEEE10hipError_tT1_PNSt15iterator_traitsISG_E10value_typeET2_T3_PNSH_ISM_E10value_typeET4_T5_PSR_SS_PNS1_23onesweep_lookback_stateEbbT6_jjT7_P12ihipStream_tbENKUlT_T0_SG_SL_E_clIS9_SA_SB_SB_EEDaSZ_S10_SG_SL_EUlSZ_E_NS1_11comp_targetILNS1_3genE3ELNS1_11target_archE908ELNS1_3gpuE7ELNS1_3repE0EEENS1_47radix_sort_onesweep_sort_config_static_selectorELNS0_4arch9wavefront6targetE0EEEvSG_.has_recursion, 0
	.set _ZN7rocprim17ROCPRIM_400000_NS6detail17trampoline_kernelINS0_14default_configENS1_35radix_sort_onesweep_config_selectorIaNS0_10empty_typeEEEZZNS1_29radix_sort_onesweep_iterationIS3_Lb1EPKaPaPS5_SB_mNS0_19identity_decomposerENS1_16block_id_wrapperIjLb1EEEEE10hipError_tT1_PNSt15iterator_traitsISG_E10value_typeET2_T3_PNSH_ISM_E10value_typeET4_T5_PSR_SS_PNS1_23onesweep_lookback_stateEbbT6_jjT7_P12ihipStream_tbENKUlT_T0_SG_SL_E_clIS9_SA_SB_SB_EEDaSZ_S10_SG_SL_EUlSZ_E_NS1_11comp_targetILNS1_3genE3ELNS1_11target_archE908ELNS1_3gpuE7ELNS1_3repE0EEENS1_47radix_sort_onesweep_sort_config_static_selectorELNS0_4arch9wavefront6targetE0EEEvSG_.has_indirect_call, 0
	.section	.AMDGPU.csdata,"",@progbits
; Kernel info:
; codeLenInByte = 0
; TotalNumSgprs: 0
; NumVgprs: 0
; ScratchSize: 0
; MemoryBound: 0
; FloatMode: 240
; IeeeMode: 1
; LDSByteSize: 0 bytes/workgroup (compile time only)
; SGPRBlocks: 0
; VGPRBlocks: 0
; NumSGPRsForWavesPerEU: 1
; NumVGPRsForWavesPerEU: 1
; NamedBarCnt: 0
; Occupancy: 16
; WaveLimiterHint : 0
; COMPUTE_PGM_RSRC2:SCRATCH_EN: 0
; COMPUTE_PGM_RSRC2:USER_SGPR: 2
; COMPUTE_PGM_RSRC2:TRAP_HANDLER: 0
; COMPUTE_PGM_RSRC2:TGID_X_EN: 1
; COMPUTE_PGM_RSRC2:TGID_Y_EN: 0
; COMPUTE_PGM_RSRC2:TGID_Z_EN: 0
; COMPUTE_PGM_RSRC2:TIDIG_COMP_CNT: 0
	.section	.text._ZN7rocprim17ROCPRIM_400000_NS6detail17trampoline_kernelINS0_14default_configENS1_35radix_sort_onesweep_config_selectorIaNS0_10empty_typeEEEZZNS1_29radix_sort_onesweep_iterationIS3_Lb1EPKaPaPS5_SB_mNS0_19identity_decomposerENS1_16block_id_wrapperIjLb1EEEEE10hipError_tT1_PNSt15iterator_traitsISG_E10value_typeET2_T3_PNSH_ISM_E10value_typeET4_T5_PSR_SS_PNS1_23onesweep_lookback_stateEbbT6_jjT7_P12ihipStream_tbENKUlT_T0_SG_SL_E_clIS9_SA_SB_SB_EEDaSZ_S10_SG_SL_EUlSZ_E_NS1_11comp_targetILNS1_3genE10ELNS1_11target_archE1201ELNS1_3gpuE5ELNS1_3repE0EEENS1_47radix_sort_onesweep_sort_config_static_selectorELNS0_4arch9wavefront6targetE0EEEvSG_,"axG",@progbits,_ZN7rocprim17ROCPRIM_400000_NS6detail17trampoline_kernelINS0_14default_configENS1_35radix_sort_onesweep_config_selectorIaNS0_10empty_typeEEEZZNS1_29radix_sort_onesweep_iterationIS3_Lb1EPKaPaPS5_SB_mNS0_19identity_decomposerENS1_16block_id_wrapperIjLb1EEEEE10hipError_tT1_PNSt15iterator_traitsISG_E10value_typeET2_T3_PNSH_ISM_E10value_typeET4_T5_PSR_SS_PNS1_23onesweep_lookback_stateEbbT6_jjT7_P12ihipStream_tbENKUlT_T0_SG_SL_E_clIS9_SA_SB_SB_EEDaSZ_S10_SG_SL_EUlSZ_E_NS1_11comp_targetILNS1_3genE10ELNS1_11target_archE1201ELNS1_3gpuE5ELNS1_3repE0EEENS1_47radix_sort_onesweep_sort_config_static_selectorELNS0_4arch9wavefront6targetE0EEEvSG_,comdat
	.protected	_ZN7rocprim17ROCPRIM_400000_NS6detail17trampoline_kernelINS0_14default_configENS1_35radix_sort_onesweep_config_selectorIaNS0_10empty_typeEEEZZNS1_29radix_sort_onesweep_iterationIS3_Lb1EPKaPaPS5_SB_mNS0_19identity_decomposerENS1_16block_id_wrapperIjLb1EEEEE10hipError_tT1_PNSt15iterator_traitsISG_E10value_typeET2_T3_PNSH_ISM_E10value_typeET4_T5_PSR_SS_PNS1_23onesweep_lookback_stateEbbT6_jjT7_P12ihipStream_tbENKUlT_T0_SG_SL_E_clIS9_SA_SB_SB_EEDaSZ_S10_SG_SL_EUlSZ_E_NS1_11comp_targetILNS1_3genE10ELNS1_11target_archE1201ELNS1_3gpuE5ELNS1_3repE0EEENS1_47radix_sort_onesweep_sort_config_static_selectorELNS0_4arch9wavefront6targetE0EEEvSG_ ; -- Begin function _ZN7rocprim17ROCPRIM_400000_NS6detail17trampoline_kernelINS0_14default_configENS1_35radix_sort_onesweep_config_selectorIaNS0_10empty_typeEEEZZNS1_29radix_sort_onesweep_iterationIS3_Lb1EPKaPaPS5_SB_mNS0_19identity_decomposerENS1_16block_id_wrapperIjLb1EEEEE10hipError_tT1_PNSt15iterator_traitsISG_E10value_typeET2_T3_PNSH_ISM_E10value_typeET4_T5_PSR_SS_PNS1_23onesweep_lookback_stateEbbT6_jjT7_P12ihipStream_tbENKUlT_T0_SG_SL_E_clIS9_SA_SB_SB_EEDaSZ_S10_SG_SL_EUlSZ_E_NS1_11comp_targetILNS1_3genE10ELNS1_11target_archE1201ELNS1_3gpuE5ELNS1_3repE0EEENS1_47radix_sort_onesweep_sort_config_static_selectorELNS0_4arch9wavefront6targetE0EEEvSG_
	.globl	_ZN7rocprim17ROCPRIM_400000_NS6detail17trampoline_kernelINS0_14default_configENS1_35radix_sort_onesweep_config_selectorIaNS0_10empty_typeEEEZZNS1_29radix_sort_onesweep_iterationIS3_Lb1EPKaPaPS5_SB_mNS0_19identity_decomposerENS1_16block_id_wrapperIjLb1EEEEE10hipError_tT1_PNSt15iterator_traitsISG_E10value_typeET2_T3_PNSH_ISM_E10value_typeET4_T5_PSR_SS_PNS1_23onesweep_lookback_stateEbbT6_jjT7_P12ihipStream_tbENKUlT_T0_SG_SL_E_clIS9_SA_SB_SB_EEDaSZ_S10_SG_SL_EUlSZ_E_NS1_11comp_targetILNS1_3genE10ELNS1_11target_archE1201ELNS1_3gpuE5ELNS1_3repE0EEENS1_47radix_sort_onesweep_sort_config_static_selectorELNS0_4arch9wavefront6targetE0EEEvSG_
	.p2align	8
	.type	_ZN7rocprim17ROCPRIM_400000_NS6detail17trampoline_kernelINS0_14default_configENS1_35radix_sort_onesweep_config_selectorIaNS0_10empty_typeEEEZZNS1_29radix_sort_onesweep_iterationIS3_Lb1EPKaPaPS5_SB_mNS0_19identity_decomposerENS1_16block_id_wrapperIjLb1EEEEE10hipError_tT1_PNSt15iterator_traitsISG_E10value_typeET2_T3_PNSH_ISM_E10value_typeET4_T5_PSR_SS_PNS1_23onesweep_lookback_stateEbbT6_jjT7_P12ihipStream_tbENKUlT_T0_SG_SL_E_clIS9_SA_SB_SB_EEDaSZ_S10_SG_SL_EUlSZ_E_NS1_11comp_targetILNS1_3genE10ELNS1_11target_archE1201ELNS1_3gpuE5ELNS1_3repE0EEENS1_47radix_sort_onesweep_sort_config_static_selectorELNS0_4arch9wavefront6targetE0EEEvSG_,@function
_ZN7rocprim17ROCPRIM_400000_NS6detail17trampoline_kernelINS0_14default_configENS1_35radix_sort_onesweep_config_selectorIaNS0_10empty_typeEEEZZNS1_29radix_sort_onesweep_iterationIS3_Lb1EPKaPaPS5_SB_mNS0_19identity_decomposerENS1_16block_id_wrapperIjLb1EEEEE10hipError_tT1_PNSt15iterator_traitsISG_E10value_typeET2_T3_PNSH_ISM_E10value_typeET4_T5_PSR_SS_PNS1_23onesweep_lookback_stateEbbT6_jjT7_P12ihipStream_tbENKUlT_T0_SG_SL_E_clIS9_SA_SB_SB_EEDaSZ_S10_SG_SL_EUlSZ_E_NS1_11comp_targetILNS1_3genE10ELNS1_11target_archE1201ELNS1_3gpuE5ELNS1_3repE0EEENS1_47radix_sort_onesweep_sort_config_static_selectorELNS0_4arch9wavefront6targetE0EEEvSG_: ; @_ZN7rocprim17ROCPRIM_400000_NS6detail17trampoline_kernelINS0_14default_configENS1_35radix_sort_onesweep_config_selectorIaNS0_10empty_typeEEEZZNS1_29radix_sort_onesweep_iterationIS3_Lb1EPKaPaPS5_SB_mNS0_19identity_decomposerENS1_16block_id_wrapperIjLb1EEEEE10hipError_tT1_PNSt15iterator_traitsISG_E10value_typeET2_T3_PNSH_ISM_E10value_typeET4_T5_PSR_SS_PNS1_23onesweep_lookback_stateEbbT6_jjT7_P12ihipStream_tbENKUlT_T0_SG_SL_E_clIS9_SA_SB_SB_EEDaSZ_S10_SG_SL_EUlSZ_E_NS1_11comp_targetILNS1_3genE10ELNS1_11target_archE1201ELNS1_3gpuE5ELNS1_3repE0EEENS1_47radix_sort_onesweep_sort_config_static_selectorELNS0_4arch9wavefront6targetE0EEEvSG_
; %bb.0:
	.section	.rodata,"a",@progbits
	.p2align	6, 0x0
	.amdhsa_kernel _ZN7rocprim17ROCPRIM_400000_NS6detail17trampoline_kernelINS0_14default_configENS1_35radix_sort_onesweep_config_selectorIaNS0_10empty_typeEEEZZNS1_29radix_sort_onesweep_iterationIS3_Lb1EPKaPaPS5_SB_mNS0_19identity_decomposerENS1_16block_id_wrapperIjLb1EEEEE10hipError_tT1_PNSt15iterator_traitsISG_E10value_typeET2_T3_PNSH_ISM_E10value_typeET4_T5_PSR_SS_PNS1_23onesweep_lookback_stateEbbT6_jjT7_P12ihipStream_tbENKUlT_T0_SG_SL_E_clIS9_SA_SB_SB_EEDaSZ_S10_SG_SL_EUlSZ_E_NS1_11comp_targetILNS1_3genE10ELNS1_11target_archE1201ELNS1_3gpuE5ELNS1_3repE0EEENS1_47radix_sort_onesweep_sort_config_static_selectorELNS0_4arch9wavefront6targetE0EEEvSG_
		.amdhsa_group_segment_fixed_size 0
		.amdhsa_private_segment_fixed_size 0
		.amdhsa_kernarg_size 88
		.amdhsa_user_sgpr_count 2
		.amdhsa_user_sgpr_dispatch_ptr 0
		.amdhsa_user_sgpr_queue_ptr 0
		.amdhsa_user_sgpr_kernarg_segment_ptr 1
		.amdhsa_user_sgpr_dispatch_id 0
		.amdhsa_user_sgpr_kernarg_preload_length 0
		.amdhsa_user_sgpr_kernarg_preload_offset 0
		.amdhsa_user_sgpr_private_segment_size 0
		.amdhsa_wavefront_size32 1
		.amdhsa_uses_dynamic_stack 0
		.amdhsa_enable_private_segment 0
		.amdhsa_system_sgpr_workgroup_id_x 1
		.amdhsa_system_sgpr_workgroup_id_y 0
		.amdhsa_system_sgpr_workgroup_id_z 0
		.amdhsa_system_sgpr_workgroup_info 0
		.amdhsa_system_vgpr_workitem_id 0
		.amdhsa_next_free_vgpr 1
		.amdhsa_next_free_sgpr 1
		.amdhsa_named_barrier_count 0
		.amdhsa_reserve_vcc 0
		.amdhsa_float_round_mode_32 0
		.amdhsa_float_round_mode_16_64 0
		.amdhsa_float_denorm_mode_32 3
		.amdhsa_float_denorm_mode_16_64 3
		.amdhsa_fp16_overflow 0
		.amdhsa_memory_ordered 1
		.amdhsa_forward_progress 1
		.amdhsa_inst_pref_size 0
		.amdhsa_round_robin_scheduling 0
		.amdhsa_exception_fp_ieee_invalid_op 0
		.amdhsa_exception_fp_denorm_src 0
		.amdhsa_exception_fp_ieee_div_zero 0
		.amdhsa_exception_fp_ieee_overflow 0
		.amdhsa_exception_fp_ieee_underflow 0
		.amdhsa_exception_fp_ieee_inexact 0
		.amdhsa_exception_int_div_zero 0
	.end_amdhsa_kernel
	.section	.text._ZN7rocprim17ROCPRIM_400000_NS6detail17trampoline_kernelINS0_14default_configENS1_35radix_sort_onesweep_config_selectorIaNS0_10empty_typeEEEZZNS1_29radix_sort_onesweep_iterationIS3_Lb1EPKaPaPS5_SB_mNS0_19identity_decomposerENS1_16block_id_wrapperIjLb1EEEEE10hipError_tT1_PNSt15iterator_traitsISG_E10value_typeET2_T3_PNSH_ISM_E10value_typeET4_T5_PSR_SS_PNS1_23onesweep_lookback_stateEbbT6_jjT7_P12ihipStream_tbENKUlT_T0_SG_SL_E_clIS9_SA_SB_SB_EEDaSZ_S10_SG_SL_EUlSZ_E_NS1_11comp_targetILNS1_3genE10ELNS1_11target_archE1201ELNS1_3gpuE5ELNS1_3repE0EEENS1_47radix_sort_onesweep_sort_config_static_selectorELNS0_4arch9wavefront6targetE0EEEvSG_,"axG",@progbits,_ZN7rocprim17ROCPRIM_400000_NS6detail17trampoline_kernelINS0_14default_configENS1_35radix_sort_onesweep_config_selectorIaNS0_10empty_typeEEEZZNS1_29radix_sort_onesweep_iterationIS3_Lb1EPKaPaPS5_SB_mNS0_19identity_decomposerENS1_16block_id_wrapperIjLb1EEEEE10hipError_tT1_PNSt15iterator_traitsISG_E10value_typeET2_T3_PNSH_ISM_E10value_typeET4_T5_PSR_SS_PNS1_23onesweep_lookback_stateEbbT6_jjT7_P12ihipStream_tbENKUlT_T0_SG_SL_E_clIS9_SA_SB_SB_EEDaSZ_S10_SG_SL_EUlSZ_E_NS1_11comp_targetILNS1_3genE10ELNS1_11target_archE1201ELNS1_3gpuE5ELNS1_3repE0EEENS1_47radix_sort_onesweep_sort_config_static_selectorELNS0_4arch9wavefront6targetE0EEEvSG_,comdat
.Lfunc_end361:
	.size	_ZN7rocprim17ROCPRIM_400000_NS6detail17trampoline_kernelINS0_14default_configENS1_35radix_sort_onesweep_config_selectorIaNS0_10empty_typeEEEZZNS1_29radix_sort_onesweep_iterationIS3_Lb1EPKaPaPS5_SB_mNS0_19identity_decomposerENS1_16block_id_wrapperIjLb1EEEEE10hipError_tT1_PNSt15iterator_traitsISG_E10value_typeET2_T3_PNSH_ISM_E10value_typeET4_T5_PSR_SS_PNS1_23onesweep_lookback_stateEbbT6_jjT7_P12ihipStream_tbENKUlT_T0_SG_SL_E_clIS9_SA_SB_SB_EEDaSZ_S10_SG_SL_EUlSZ_E_NS1_11comp_targetILNS1_3genE10ELNS1_11target_archE1201ELNS1_3gpuE5ELNS1_3repE0EEENS1_47radix_sort_onesweep_sort_config_static_selectorELNS0_4arch9wavefront6targetE0EEEvSG_, .Lfunc_end361-_ZN7rocprim17ROCPRIM_400000_NS6detail17trampoline_kernelINS0_14default_configENS1_35radix_sort_onesweep_config_selectorIaNS0_10empty_typeEEEZZNS1_29radix_sort_onesweep_iterationIS3_Lb1EPKaPaPS5_SB_mNS0_19identity_decomposerENS1_16block_id_wrapperIjLb1EEEEE10hipError_tT1_PNSt15iterator_traitsISG_E10value_typeET2_T3_PNSH_ISM_E10value_typeET4_T5_PSR_SS_PNS1_23onesweep_lookback_stateEbbT6_jjT7_P12ihipStream_tbENKUlT_T0_SG_SL_E_clIS9_SA_SB_SB_EEDaSZ_S10_SG_SL_EUlSZ_E_NS1_11comp_targetILNS1_3genE10ELNS1_11target_archE1201ELNS1_3gpuE5ELNS1_3repE0EEENS1_47radix_sort_onesweep_sort_config_static_selectorELNS0_4arch9wavefront6targetE0EEEvSG_
                                        ; -- End function
	.set _ZN7rocprim17ROCPRIM_400000_NS6detail17trampoline_kernelINS0_14default_configENS1_35radix_sort_onesweep_config_selectorIaNS0_10empty_typeEEEZZNS1_29radix_sort_onesweep_iterationIS3_Lb1EPKaPaPS5_SB_mNS0_19identity_decomposerENS1_16block_id_wrapperIjLb1EEEEE10hipError_tT1_PNSt15iterator_traitsISG_E10value_typeET2_T3_PNSH_ISM_E10value_typeET4_T5_PSR_SS_PNS1_23onesweep_lookback_stateEbbT6_jjT7_P12ihipStream_tbENKUlT_T0_SG_SL_E_clIS9_SA_SB_SB_EEDaSZ_S10_SG_SL_EUlSZ_E_NS1_11comp_targetILNS1_3genE10ELNS1_11target_archE1201ELNS1_3gpuE5ELNS1_3repE0EEENS1_47radix_sort_onesweep_sort_config_static_selectorELNS0_4arch9wavefront6targetE0EEEvSG_.num_vgpr, 0
	.set _ZN7rocprim17ROCPRIM_400000_NS6detail17trampoline_kernelINS0_14default_configENS1_35radix_sort_onesweep_config_selectorIaNS0_10empty_typeEEEZZNS1_29radix_sort_onesweep_iterationIS3_Lb1EPKaPaPS5_SB_mNS0_19identity_decomposerENS1_16block_id_wrapperIjLb1EEEEE10hipError_tT1_PNSt15iterator_traitsISG_E10value_typeET2_T3_PNSH_ISM_E10value_typeET4_T5_PSR_SS_PNS1_23onesweep_lookback_stateEbbT6_jjT7_P12ihipStream_tbENKUlT_T0_SG_SL_E_clIS9_SA_SB_SB_EEDaSZ_S10_SG_SL_EUlSZ_E_NS1_11comp_targetILNS1_3genE10ELNS1_11target_archE1201ELNS1_3gpuE5ELNS1_3repE0EEENS1_47radix_sort_onesweep_sort_config_static_selectorELNS0_4arch9wavefront6targetE0EEEvSG_.num_agpr, 0
	.set _ZN7rocprim17ROCPRIM_400000_NS6detail17trampoline_kernelINS0_14default_configENS1_35radix_sort_onesweep_config_selectorIaNS0_10empty_typeEEEZZNS1_29radix_sort_onesweep_iterationIS3_Lb1EPKaPaPS5_SB_mNS0_19identity_decomposerENS1_16block_id_wrapperIjLb1EEEEE10hipError_tT1_PNSt15iterator_traitsISG_E10value_typeET2_T3_PNSH_ISM_E10value_typeET4_T5_PSR_SS_PNS1_23onesweep_lookback_stateEbbT6_jjT7_P12ihipStream_tbENKUlT_T0_SG_SL_E_clIS9_SA_SB_SB_EEDaSZ_S10_SG_SL_EUlSZ_E_NS1_11comp_targetILNS1_3genE10ELNS1_11target_archE1201ELNS1_3gpuE5ELNS1_3repE0EEENS1_47radix_sort_onesweep_sort_config_static_selectorELNS0_4arch9wavefront6targetE0EEEvSG_.numbered_sgpr, 0
	.set _ZN7rocprim17ROCPRIM_400000_NS6detail17trampoline_kernelINS0_14default_configENS1_35radix_sort_onesweep_config_selectorIaNS0_10empty_typeEEEZZNS1_29radix_sort_onesweep_iterationIS3_Lb1EPKaPaPS5_SB_mNS0_19identity_decomposerENS1_16block_id_wrapperIjLb1EEEEE10hipError_tT1_PNSt15iterator_traitsISG_E10value_typeET2_T3_PNSH_ISM_E10value_typeET4_T5_PSR_SS_PNS1_23onesweep_lookback_stateEbbT6_jjT7_P12ihipStream_tbENKUlT_T0_SG_SL_E_clIS9_SA_SB_SB_EEDaSZ_S10_SG_SL_EUlSZ_E_NS1_11comp_targetILNS1_3genE10ELNS1_11target_archE1201ELNS1_3gpuE5ELNS1_3repE0EEENS1_47radix_sort_onesweep_sort_config_static_selectorELNS0_4arch9wavefront6targetE0EEEvSG_.num_named_barrier, 0
	.set _ZN7rocprim17ROCPRIM_400000_NS6detail17trampoline_kernelINS0_14default_configENS1_35radix_sort_onesweep_config_selectorIaNS0_10empty_typeEEEZZNS1_29radix_sort_onesweep_iterationIS3_Lb1EPKaPaPS5_SB_mNS0_19identity_decomposerENS1_16block_id_wrapperIjLb1EEEEE10hipError_tT1_PNSt15iterator_traitsISG_E10value_typeET2_T3_PNSH_ISM_E10value_typeET4_T5_PSR_SS_PNS1_23onesweep_lookback_stateEbbT6_jjT7_P12ihipStream_tbENKUlT_T0_SG_SL_E_clIS9_SA_SB_SB_EEDaSZ_S10_SG_SL_EUlSZ_E_NS1_11comp_targetILNS1_3genE10ELNS1_11target_archE1201ELNS1_3gpuE5ELNS1_3repE0EEENS1_47radix_sort_onesweep_sort_config_static_selectorELNS0_4arch9wavefront6targetE0EEEvSG_.private_seg_size, 0
	.set _ZN7rocprim17ROCPRIM_400000_NS6detail17trampoline_kernelINS0_14default_configENS1_35radix_sort_onesweep_config_selectorIaNS0_10empty_typeEEEZZNS1_29radix_sort_onesweep_iterationIS3_Lb1EPKaPaPS5_SB_mNS0_19identity_decomposerENS1_16block_id_wrapperIjLb1EEEEE10hipError_tT1_PNSt15iterator_traitsISG_E10value_typeET2_T3_PNSH_ISM_E10value_typeET4_T5_PSR_SS_PNS1_23onesweep_lookback_stateEbbT6_jjT7_P12ihipStream_tbENKUlT_T0_SG_SL_E_clIS9_SA_SB_SB_EEDaSZ_S10_SG_SL_EUlSZ_E_NS1_11comp_targetILNS1_3genE10ELNS1_11target_archE1201ELNS1_3gpuE5ELNS1_3repE0EEENS1_47radix_sort_onesweep_sort_config_static_selectorELNS0_4arch9wavefront6targetE0EEEvSG_.uses_vcc, 0
	.set _ZN7rocprim17ROCPRIM_400000_NS6detail17trampoline_kernelINS0_14default_configENS1_35radix_sort_onesweep_config_selectorIaNS0_10empty_typeEEEZZNS1_29radix_sort_onesweep_iterationIS3_Lb1EPKaPaPS5_SB_mNS0_19identity_decomposerENS1_16block_id_wrapperIjLb1EEEEE10hipError_tT1_PNSt15iterator_traitsISG_E10value_typeET2_T3_PNSH_ISM_E10value_typeET4_T5_PSR_SS_PNS1_23onesweep_lookback_stateEbbT6_jjT7_P12ihipStream_tbENKUlT_T0_SG_SL_E_clIS9_SA_SB_SB_EEDaSZ_S10_SG_SL_EUlSZ_E_NS1_11comp_targetILNS1_3genE10ELNS1_11target_archE1201ELNS1_3gpuE5ELNS1_3repE0EEENS1_47radix_sort_onesweep_sort_config_static_selectorELNS0_4arch9wavefront6targetE0EEEvSG_.uses_flat_scratch, 0
	.set _ZN7rocprim17ROCPRIM_400000_NS6detail17trampoline_kernelINS0_14default_configENS1_35radix_sort_onesweep_config_selectorIaNS0_10empty_typeEEEZZNS1_29radix_sort_onesweep_iterationIS3_Lb1EPKaPaPS5_SB_mNS0_19identity_decomposerENS1_16block_id_wrapperIjLb1EEEEE10hipError_tT1_PNSt15iterator_traitsISG_E10value_typeET2_T3_PNSH_ISM_E10value_typeET4_T5_PSR_SS_PNS1_23onesweep_lookback_stateEbbT6_jjT7_P12ihipStream_tbENKUlT_T0_SG_SL_E_clIS9_SA_SB_SB_EEDaSZ_S10_SG_SL_EUlSZ_E_NS1_11comp_targetILNS1_3genE10ELNS1_11target_archE1201ELNS1_3gpuE5ELNS1_3repE0EEENS1_47radix_sort_onesweep_sort_config_static_selectorELNS0_4arch9wavefront6targetE0EEEvSG_.has_dyn_sized_stack, 0
	.set _ZN7rocprim17ROCPRIM_400000_NS6detail17trampoline_kernelINS0_14default_configENS1_35radix_sort_onesweep_config_selectorIaNS0_10empty_typeEEEZZNS1_29radix_sort_onesweep_iterationIS3_Lb1EPKaPaPS5_SB_mNS0_19identity_decomposerENS1_16block_id_wrapperIjLb1EEEEE10hipError_tT1_PNSt15iterator_traitsISG_E10value_typeET2_T3_PNSH_ISM_E10value_typeET4_T5_PSR_SS_PNS1_23onesweep_lookback_stateEbbT6_jjT7_P12ihipStream_tbENKUlT_T0_SG_SL_E_clIS9_SA_SB_SB_EEDaSZ_S10_SG_SL_EUlSZ_E_NS1_11comp_targetILNS1_3genE10ELNS1_11target_archE1201ELNS1_3gpuE5ELNS1_3repE0EEENS1_47radix_sort_onesweep_sort_config_static_selectorELNS0_4arch9wavefront6targetE0EEEvSG_.has_recursion, 0
	.set _ZN7rocprim17ROCPRIM_400000_NS6detail17trampoline_kernelINS0_14default_configENS1_35radix_sort_onesweep_config_selectorIaNS0_10empty_typeEEEZZNS1_29radix_sort_onesweep_iterationIS3_Lb1EPKaPaPS5_SB_mNS0_19identity_decomposerENS1_16block_id_wrapperIjLb1EEEEE10hipError_tT1_PNSt15iterator_traitsISG_E10value_typeET2_T3_PNSH_ISM_E10value_typeET4_T5_PSR_SS_PNS1_23onesweep_lookback_stateEbbT6_jjT7_P12ihipStream_tbENKUlT_T0_SG_SL_E_clIS9_SA_SB_SB_EEDaSZ_S10_SG_SL_EUlSZ_E_NS1_11comp_targetILNS1_3genE10ELNS1_11target_archE1201ELNS1_3gpuE5ELNS1_3repE0EEENS1_47radix_sort_onesweep_sort_config_static_selectorELNS0_4arch9wavefront6targetE0EEEvSG_.has_indirect_call, 0
	.section	.AMDGPU.csdata,"",@progbits
; Kernel info:
; codeLenInByte = 0
; TotalNumSgprs: 0
; NumVgprs: 0
; ScratchSize: 0
; MemoryBound: 0
; FloatMode: 240
; IeeeMode: 1
; LDSByteSize: 0 bytes/workgroup (compile time only)
; SGPRBlocks: 0
; VGPRBlocks: 0
; NumSGPRsForWavesPerEU: 1
; NumVGPRsForWavesPerEU: 1
; NamedBarCnt: 0
; Occupancy: 16
; WaveLimiterHint : 0
; COMPUTE_PGM_RSRC2:SCRATCH_EN: 0
; COMPUTE_PGM_RSRC2:USER_SGPR: 2
; COMPUTE_PGM_RSRC2:TRAP_HANDLER: 0
; COMPUTE_PGM_RSRC2:TGID_X_EN: 1
; COMPUTE_PGM_RSRC2:TGID_Y_EN: 0
; COMPUTE_PGM_RSRC2:TGID_Z_EN: 0
; COMPUTE_PGM_RSRC2:TIDIG_COMP_CNT: 0
	.section	.text._ZN7rocprim17ROCPRIM_400000_NS6detail17trampoline_kernelINS0_14default_configENS1_35radix_sort_onesweep_config_selectorIaNS0_10empty_typeEEEZZNS1_29radix_sort_onesweep_iterationIS3_Lb1EPKaPaPS5_SB_mNS0_19identity_decomposerENS1_16block_id_wrapperIjLb1EEEEE10hipError_tT1_PNSt15iterator_traitsISG_E10value_typeET2_T3_PNSH_ISM_E10value_typeET4_T5_PSR_SS_PNS1_23onesweep_lookback_stateEbbT6_jjT7_P12ihipStream_tbENKUlT_T0_SG_SL_E_clIS9_SA_SB_SB_EEDaSZ_S10_SG_SL_EUlSZ_E_NS1_11comp_targetILNS1_3genE9ELNS1_11target_archE1100ELNS1_3gpuE3ELNS1_3repE0EEENS1_47radix_sort_onesweep_sort_config_static_selectorELNS0_4arch9wavefront6targetE0EEEvSG_,"axG",@progbits,_ZN7rocprim17ROCPRIM_400000_NS6detail17trampoline_kernelINS0_14default_configENS1_35radix_sort_onesweep_config_selectorIaNS0_10empty_typeEEEZZNS1_29radix_sort_onesweep_iterationIS3_Lb1EPKaPaPS5_SB_mNS0_19identity_decomposerENS1_16block_id_wrapperIjLb1EEEEE10hipError_tT1_PNSt15iterator_traitsISG_E10value_typeET2_T3_PNSH_ISM_E10value_typeET4_T5_PSR_SS_PNS1_23onesweep_lookback_stateEbbT6_jjT7_P12ihipStream_tbENKUlT_T0_SG_SL_E_clIS9_SA_SB_SB_EEDaSZ_S10_SG_SL_EUlSZ_E_NS1_11comp_targetILNS1_3genE9ELNS1_11target_archE1100ELNS1_3gpuE3ELNS1_3repE0EEENS1_47radix_sort_onesweep_sort_config_static_selectorELNS0_4arch9wavefront6targetE0EEEvSG_,comdat
	.protected	_ZN7rocprim17ROCPRIM_400000_NS6detail17trampoline_kernelINS0_14default_configENS1_35radix_sort_onesweep_config_selectorIaNS0_10empty_typeEEEZZNS1_29radix_sort_onesweep_iterationIS3_Lb1EPKaPaPS5_SB_mNS0_19identity_decomposerENS1_16block_id_wrapperIjLb1EEEEE10hipError_tT1_PNSt15iterator_traitsISG_E10value_typeET2_T3_PNSH_ISM_E10value_typeET4_T5_PSR_SS_PNS1_23onesweep_lookback_stateEbbT6_jjT7_P12ihipStream_tbENKUlT_T0_SG_SL_E_clIS9_SA_SB_SB_EEDaSZ_S10_SG_SL_EUlSZ_E_NS1_11comp_targetILNS1_3genE9ELNS1_11target_archE1100ELNS1_3gpuE3ELNS1_3repE0EEENS1_47radix_sort_onesweep_sort_config_static_selectorELNS0_4arch9wavefront6targetE0EEEvSG_ ; -- Begin function _ZN7rocprim17ROCPRIM_400000_NS6detail17trampoline_kernelINS0_14default_configENS1_35radix_sort_onesweep_config_selectorIaNS0_10empty_typeEEEZZNS1_29radix_sort_onesweep_iterationIS3_Lb1EPKaPaPS5_SB_mNS0_19identity_decomposerENS1_16block_id_wrapperIjLb1EEEEE10hipError_tT1_PNSt15iterator_traitsISG_E10value_typeET2_T3_PNSH_ISM_E10value_typeET4_T5_PSR_SS_PNS1_23onesweep_lookback_stateEbbT6_jjT7_P12ihipStream_tbENKUlT_T0_SG_SL_E_clIS9_SA_SB_SB_EEDaSZ_S10_SG_SL_EUlSZ_E_NS1_11comp_targetILNS1_3genE9ELNS1_11target_archE1100ELNS1_3gpuE3ELNS1_3repE0EEENS1_47radix_sort_onesweep_sort_config_static_selectorELNS0_4arch9wavefront6targetE0EEEvSG_
	.globl	_ZN7rocprim17ROCPRIM_400000_NS6detail17trampoline_kernelINS0_14default_configENS1_35radix_sort_onesweep_config_selectorIaNS0_10empty_typeEEEZZNS1_29radix_sort_onesweep_iterationIS3_Lb1EPKaPaPS5_SB_mNS0_19identity_decomposerENS1_16block_id_wrapperIjLb1EEEEE10hipError_tT1_PNSt15iterator_traitsISG_E10value_typeET2_T3_PNSH_ISM_E10value_typeET4_T5_PSR_SS_PNS1_23onesweep_lookback_stateEbbT6_jjT7_P12ihipStream_tbENKUlT_T0_SG_SL_E_clIS9_SA_SB_SB_EEDaSZ_S10_SG_SL_EUlSZ_E_NS1_11comp_targetILNS1_3genE9ELNS1_11target_archE1100ELNS1_3gpuE3ELNS1_3repE0EEENS1_47radix_sort_onesweep_sort_config_static_selectorELNS0_4arch9wavefront6targetE0EEEvSG_
	.p2align	8
	.type	_ZN7rocprim17ROCPRIM_400000_NS6detail17trampoline_kernelINS0_14default_configENS1_35radix_sort_onesweep_config_selectorIaNS0_10empty_typeEEEZZNS1_29radix_sort_onesweep_iterationIS3_Lb1EPKaPaPS5_SB_mNS0_19identity_decomposerENS1_16block_id_wrapperIjLb1EEEEE10hipError_tT1_PNSt15iterator_traitsISG_E10value_typeET2_T3_PNSH_ISM_E10value_typeET4_T5_PSR_SS_PNS1_23onesweep_lookback_stateEbbT6_jjT7_P12ihipStream_tbENKUlT_T0_SG_SL_E_clIS9_SA_SB_SB_EEDaSZ_S10_SG_SL_EUlSZ_E_NS1_11comp_targetILNS1_3genE9ELNS1_11target_archE1100ELNS1_3gpuE3ELNS1_3repE0EEENS1_47radix_sort_onesweep_sort_config_static_selectorELNS0_4arch9wavefront6targetE0EEEvSG_,@function
_ZN7rocprim17ROCPRIM_400000_NS6detail17trampoline_kernelINS0_14default_configENS1_35radix_sort_onesweep_config_selectorIaNS0_10empty_typeEEEZZNS1_29radix_sort_onesweep_iterationIS3_Lb1EPKaPaPS5_SB_mNS0_19identity_decomposerENS1_16block_id_wrapperIjLb1EEEEE10hipError_tT1_PNSt15iterator_traitsISG_E10value_typeET2_T3_PNSH_ISM_E10value_typeET4_T5_PSR_SS_PNS1_23onesweep_lookback_stateEbbT6_jjT7_P12ihipStream_tbENKUlT_T0_SG_SL_E_clIS9_SA_SB_SB_EEDaSZ_S10_SG_SL_EUlSZ_E_NS1_11comp_targetILNS1_3genE9ELNS1_11target_archE1100ELNS1_3gpuE3ELNS1_3repE0EEENS1_47radix_sort_onesweep_sort_config_static_selectorELNS0_4arch9wavefront6targetE0EEEvSG_: ; @_ZN7rocprim17ROCPRIM_400000_NS6detail17trampoline_kernelINS0_14default_configENS1_35radix_sort_onesweep_config_selectorIaNS0_10empty_typeEEEZZNS1_29radix_sort_onesweep_iterationIS3_Lb1EPKaPaPS5_SB_mNS0_19identity_decomposerENS1_16block_id_wrapperIjLb1EEEEE10hipError_tT1_PNSt15iterator_traitsISG_E10value_typeET2_T3_PNSH_ISM_E10value_typeET4_T5_PSR_SS_PNS1_23onesweep_lookback_stateEbbT6_jjT7_P12ihipStream_tbENKUlT_T0_SG_SL_E_clIS9_SA_SB_SB_EEDaSZ_S10_SG_SL_EUlSZ_E_NS1_11comp_targetILNS1_3genE9ELNS1_11target_archE1100ELNS1_3gpuE3ELNS1_3repE0EEENS1_47radix_sort_onesweep_sort_config_static_selectorELNS0_4arch9wavefront6targetE0EEEvSG_
; %bb.0:
	.section	.rodata,"a",@progbits
	.p2align	6, 0x0
	.amdhsa_kernel _ZN7rocprim17ROCPRIM_400000_NS6detail17trampoline_kernelINS0_14default_configENS1_35radix_sort_onesweep_config_selectorIaNS0_10empty_typeEEEZZNS1_29radix_sort_onesweep_iterationIS3_Lb1EPKaPaPS5_SB_mNS0_19identity_decomposerENS1_16block_id_wrapperIjLb1EEEEE10hipError_tT1_PNSt15iterator_traitsISG_E10value_typeET2_T3_PNSH_ISM_E10value_typeET4_T5_PSR_SS_PNS1_23onesweep_lookback_stateEbbT6_jjT7_P12ihipStream_tbENKUlT_T0_SG_SL_E_clIS9_SA_SB_SB_EEDaSZ_S10_SG_SL_EUlSZ_E_NS1_11comp_targetILNS1_3genE9ELNS1_11target_archE1100ELNS1_3gpuE3ELNS1_3repE0EEENS1_47radix_sort_onesweep_sort_config_static_selectorELNS0_4arch9wavefront6targetE0EEEvSG_
		.amdhsa_group_segment_fixed_size 0
		.amdhsa_private_segment_fixed_size 0
		.amdhsa_kernarg_size 88
		.amdhsa_user_sgpr_count 2
		.amdhsa_user_sgpr_dispatch_ptr 0
		.amdhsa_user_sgpr_queue_ptr 0
		.amdhsa_user_sgpr_kernarg_segment_ptr 1
		.amdhsa_user_sgpr_dispatch_id 0
		.amdhsa_user_sgpr_kernarg_preload_length 0
		.amdhsa_user_sgpr_kernarg_preload_offset 0
		.amdhsa_user_sgpr_private_segment_size 0
		.amdhsa_wavefront_size32 1
		.amdhsa_uses_dynamic_stack 0
		.amdhsa_enable_private_segment 0
		.amdhsa_system_sgpr_workgroup_id_x 1
		.amdhsa_system_sgpr_workgroup_id_y 0
		.amdhsa_system_sgpr_workgroup_id_z 0
		.amdhsa_system_sgpr_workgroup_info 0
		.amdhsa_system_vgpr_workitem_id 0
		.amdhsa_next_free_vgpr 1
		.amdhsa_next_free_sgpr 1
		.amdhsa_named_barrier_count 0
		.amdhsa_reserve_vcc 0
		.amdhsa_float_round_mode_32 0
		.amdhsa_float_round_mode_16_64 0
		.amdhsa_float_denorm_mode_32 3
		.amdhsa_float_denorm_mode_16_64 3
		.amdhsa_fp16_overflow 0
		.amdhsa_memory_ordered 1
		.amdhsa_forward_progress 1
		.amdhsa_inst_pref_size 0
		.amdhsa_round_robin_scheduling 0
		.amdhsa_exception_fp_ieee_invalid_op 0
		.amdhsa_exception_fp_denorm_src 0
		.amdhsa_exception_fp_ieee_div_zero 0
		.amdhsa_exception_fp_ieee_overflow 0
		.amdhsa_exception_fp_ieee_underflow 0
		.amdhsa_exception_fp_ieee_inexact 0
		.amdhsa_exception_int_div_zero 0
	.end_amdhsa_kernel
	.section	.text._ZN7rocprim17ROCPRIM_400000_NS6detail17trampoline_kernelINS0_14default_configENS1_35radix_sort_onesweep_config_selectorIaNS0_10empty_typeEEEZZNS1_29radix_sort_onesweep_iterationIS3_Lb1EPKaPaPS5_SB_mNS0_19identity_decomposerENS1_16block_id_wrapperIjLb1EEEEE10hipError_tT1_PNSt15iterator_traitsISG_E10value_typeET2_T3_PNSH_ISM_E10value_typeET4_T5_PSR_SS_PNS1_23onesweep_lookback_stateEbbT6_jjT7_P12ihipStream_tbENKUlT_T0_SG_SL_E_clIS9_SA_SB_SB_EEDaSZ_S10_SG_SL_EUlSZ_E_NS1_11comp_targetILNS1_3genE9ELNS1_11target_archE1100ELNS1_3gpuE3ELNS1_3repE0EEENS1_47radix_sort_onesweep_sort_config_static_selectorELNS0_4arch9wavefront6targetE0EEEvSG_,"axG",@progbits,_ZN7rocprim17ROCPRIM_400000_NS6detail17trampoline_kernelINS0_14default_configENS1_35radix_sort_onesweep_config_selectorIaNS0_10empty_typeEEEZZNS1_29radix_sort_onesweep_iterationIS3_Lb1EPKaPaPS5_SB_mNS0_19identity_decomposerENS1_16block_id_wrapperIjLb1EEEEE10hipError_tT1_PNSt15iterator_traitsISG_E10value_typeET2_T3_PNSH_ISM_E10value_typeET4_T5_PSR_SS_PNS1_23onesweep_lookback_stateEbbT6_jjT7_P12ihipStream_tbENKUlT_T0_SG_SL_E_clIS9_SA_SB_SB_EEDaSZ_S10_SG_SL_EUlSZ_E_NS1_11comp_targetILNS1_3genE9ELNS1_11target_archE1100ELNS1_3gpuE3ELNS1_3repE0EEENS1_47radix_sort_onesweep_sort_config_static_selectorELNS0_4arch9wavefront6targetE0EEEvSG_,comdat
.Lfunc_end362:
	.size	_ZN7rocprim17ROCPRIM_400000_NS6detail17trampoline_kernelINS0_14default_configENS1_35radix_sort_onesweep_config_selectorIaNS0_10empty_typeEEEZZNS1_29radix_sort_onesweep_iterationIS3_Lb1EPKaPaPS5_SB_mNS0_19identity_decomposerENS1_16block_id_wrapperIjLb1EEEEE10hipError_tT1_PNSt15iterator_traitsISG_E10value_typeET2_T3_PNSH_ISM_E10value_typeET4_T5_PSR_SS_PNS1_23onesweep_lookback_stateEbbT6_jjT7_P12ihipStream_tbENKUlT_T0_SG_SL_E_clIS9_SA_SB_SB_EEDaSZ_S10_SG_SL_EUlSZ_E_NS1_11comp_targetILNS1_3genE9ELNS1_11target_archE1100ELNS1_3gpuE3ELNS1_3repE0EEENS1_47radix_sort_onesweep_sort_config_static_selectorELNS0_4arch9wavefront6targetE0EEEvSG_, .Lfunc_end362-_ZN7rocprim17ROCPRIM_400000_NS6detail17trampoline_kernelINS0_14default_configENS1_35radix_sort_onesweep_config_selectorIaNS0_10empty_typeEEEZZNS1_29radix_sort_onesweep_iterationIS3_Lb1EPKaPaPS5_SB_mNS0_19identity_decomposerENS1_16block_id_wrapperIjLb1EEEEE10hipError_tT1_PNSt15iterator_traitsISG_E10value_typeET2_T3_PNSH_ISM_E10value_typeET4_T5_PSR_SS_PNS1_23onesweep_lookback_stateEbbT6_jjT7_P12ihipStream_tbENKUlT_T0_SG_SL_E_clIS9_SA_SB_SB_EEDaSZ_S10_SG_SL_EUlSZ_E_NS1_11comp_targetILNS1_3genE9ELNS1_11target_archE1100ELNS1_3gpuE3ELNS1_3repE0EEENS1_47radix_sort_onesweep_sort_config_static_selectorELNS0_4arch9wavefront6targetE0EEEvSG_
                                        ; -- End function
	.set _ZN7rocprim17ROCPRIM_400000_NS6detail17trampoline_kernelINS0_14default_configENS1_35radix_sort_onesweep_config_selectorIaNS0_10empty_typeEEEZZNS1_29radix_sort_onesweep_iterationIS3_Lb1EPKaPaPS5_SB_mNS0_19identity_decomposerENS1_16block_id_wrapperIjLb1EEEEE10hipError_tT1_PNSt15iterator_traitsISG_E10value_typeET2_T3_PNSH_ISM_E10value_typeET4_T5_PSR_SS_PNS1_23onesweep_lookback_stateEbbT6_jjT7_P12ihipStream_tbENKUlT_T0_SG_SL_E_clIS9_SA_SB_SB_EEDaSZ_S10_SG_SL_EUlSZ_E_NS1_11comp_targetILNS1_3genE9ELNS1_11target_archE1100ELNS1_3gpuE3ELNS1_3repE0EEENS1_47radix_sort_onesweep_sort_config_static_selectorELNS0_4arch9wavefront6targetE0EEEvSG_.num_vgpr, 0
	.set _ZN7rocprim17ROCPRIM_400000_NS6detail17trampoline_kernelINS0_14default_configENS1_35radix_sort_onesweep_config_selectorIaNS0_10empty_typeEEEZZNS1_29radix_sort_onesweep_iterationIS3_Lb1EPKaPaPS5_SB_mNS0_19identity_decomposerENS1_16block_id_wrapperIjLb1EEEEE10hipError_tT1_PNSt15iterator_traitsISG_E10value_typeET2_T3_PNSH_ISM_E10value_typeET4_T5_PSR_SS_PNS1_23onesweep_lookback_stateEbbT6_jjT7_P12ihipStream_tbENKUlT_T0_SG_SL_E_clIS9_SA_SB_SB_EEDaSZ_S10_SG_SL_EUlSZ_E_NS1_11comp_targetILNS1_3genE9ELNS1_11target_archE1100ELNS1_3gpuE3ELNS1_3repE0EEENS1_47radix_sort_onesweep_sort_config_static_selectorELNS0_4arch9wavefront6targetE0EEEvSG_.num_agpr, 0
	.set _ZN7rocprim17ROCPRIM_400000_NS6detail17trampoline_kernelINS0_14default_configENS1_35radix_sort_onesweep_config_selectorIaNS0_10empty_typeEEEZZNS1_29radix_sort_onesweep_iterationIS3_Lb1EPKaPaPS5_SB_mNS0_19identity_decomposerENS1_16block_id_wrapperIjLb1EEEEE10hipError_tT1_PNSt15iterator_traitsISG_E10value_typeET2_T3_PNSH_ISM_E10value_typeET4_T5_PSR_SS_PNS1_23onesweep_lookback_stateEbbT6_jjT7_P12ihipStream_tbENKUlT_T0_SG_SL_E_clIS9_SA_SB_SB_EEDaSZ_S10_SG_SL_EUlSZ_E_NS1_11comp_targetILNS1_3genE9ELNS1_11target_archE1100ELNS1_3gpuE3ELNS1_3repE0EEENS1_47radix_sort_onesweep_sort_config_static_selectorELNS0_4arch9wavefront6targetE0EEEvSG_.numbered_sgpr, 0
	.set _ZN7rocprim17ROCPRIM_400000_NS6detail17trampoline_kernelINS0_14default_configENS1_35radix_sort_onesweep_config_selectorIaNS0_10empty_typeEEEZZNS1_29radix_sort_onesweep_iterationIS3_Lb1EPKaPaPS5_SB_mNS0_19identity_decomposerENS1_16block_id_wrapperIjLb1EEEEE10hipError_tT1_PNSt15iterator_traitsISG_E10value_typeET2_T3_PNSH_ISM_E10value_typeET4_T5_PSR_SS_PNS1_23onesweep_lookback_stateEbbT6_jjT7_P12ihipStream_tbENKUlT_T0_SG_SL_E_clIS9_SA_SB_SB_EEDaSZ_S10_SG_SL_EUlSZ_E_NS1_11comp_targetILNS1_3genE9ELNS1_11target_archE1100ELNS1_3gpuE3ELNS1_3repE0EEENS1_47radix_sort_onesweep_sort_config_static_selectorELNS0_4arch9wavefront6targetE0EEEvSG_.num_named_barrier, 0
	.set _ZN7rocprim17ROCPRIM_400000_NS6detail17trampoline_kernelINS0_14default_configENS1_35radix_sort_onesweep_config_selectorIaNS0_10empty_typeEEEZZNS1_29radix_sort_onesweep_iterationIS3_Lb1EPKaPaPS5_SB_mNS0_19identity_decomposerENS1_16block_id_wrapperIjLb1EEEEE10hipError_tT1_PNSt15iterator_traitsISG_E10value_typeET2_T3_PNSH_ISM_E10value_typeET4_T5_PSR_SS_PNS1_23onesweep_lookback_stateEbbT6_jjT7_P12ihipStream_tbENKUlT_T0_SG_SL_E_clIS9_SA_SB_SB_EEDaSZ_S10_SG_SL_EUlSZ_E_NS1_11comp_targetILNS1_3genE9ELNS1_11target_archE1100ELNS1_3gpuE3ELNS1_3repE0EEENS1_47radix_sort_onesweep_sort_config_static_selectorELNS0_4arch9wavefront6targetE0EEEvSG_.private_seg_size, 0
	.set _ZN7rocprim17ROCPRIM_400000_NS6detail17trampoline_kernelINS0_14default_configENS1_35radix_sort_onesweep_config_selectorIaNS0_10empty_typeEEEZZNS1_29radix_sort_onesweep_iterationIS3_Lb1EPKaPaPS5_SB_mNS0_19identity_decomposerENS1_16block_id_wrapperIjLb1EEEEE10hipError_tT1_PNSt15iterator_traitsISG_E10value_typeET2_T3_PNSH_ISM_E10value_typeET4_T5_PSR_SS_PNS1_23onesweep_lookback_stateEbbT6_jjT7_P12ihipStream_tbENKUlT_T0_SG_SL_E_clIS9_SA_SB_SB_EEDaSZ_S10_SG_SL_EUlSZ_E_NS1_11comp_targetILNS1_3genE9ELNS1_11target_archE1100ELNS1_3gpuE3ELNS1_3repE0EEENS1_47radix_sort_onesweep_sort_config_static_selectorELNS0_4arch9wavefront6targetE0EEEvSG_.uses_vcc, 0
	.set _ZN7rocprim17ROCPRIM_400000_NS6detail17trampoline_kernelINS0_14default_configENS1_35radix_sort_onesweep_config_selectorIaNS0_10empty_typeEEEZZNS1_29radix_sort_onesweep_iterationIS3_Lb1EPKaPaPS5_SB_mNS0_19identity_decomposerENS1_16block_id_wrapperIjLb1EEEEE10hipError_tT1_PNSt15iterator_traitsISG_E10value_typeET2_T3_PNSH_ISM_E10value_typeET4_T5_PSR_SS_PNS1_23onesweep_lookback_stateEbbT6_jjT7_P12ihipStream_tbENKUlT_T0_SG_SL_E_clIS9_SA_SB_SB_EEDaSZ_S10_SG_SL_EUlSZ_E_NS1_11comp_targetILNS1_3genE9ELNS1_11target_archE1100ELNS1_3gpuE3ELNS1_3repE0EEENS1_47radix_sort_onesweep_sort_config_static_selectorELNS0_4arch9wavefront6targetE0EEEvSG_.uses_flat_scratch, 0
	.set _ZN7rocprim17ROCPRIM_400000_NS6detail17trampoline_kernelINS0_14default_configENS1_35radix_sort_onesweep_config_selectorIaNS0_10empty_typeEEEZZNS1_29radix_sort_onesweep_iterationIS3_Lb1EPKaPaPS5_SB_mNS0_19identity_decomposerENS1_16block_id_wrapperIjLb1EEEEE10hipError_tT1_PNSt15iterator_traitsISG_E10value_typeET2_T3_PNSH_ISM_E10value_typeET4_T5_PSR_SS_PNS1_23onesweep_lookback_stateEbbT6_jjT7_P12ihipStream_tbENKUlT_T0_SG_SL_E_clIS9_SA_SB_SB_EEDaSZ_S10_SG_SL_EUlSZ_E_NS1_11comp_targetILNS1_3genE9ELNS1_11target_archE1100ELNS1_3gpuE3ELNS1_3repE0EEENS1_47radix_sort_onesweep_sort_config_static_selectorELNS0_4arch9wavefront6targetE0EEEvSG_.has_dyn_sized_stack, 0
	.set _ZN7rocprim17ROCPRIM_400000_NS6detail17trampoline_kernelINS0_14default_configENS1_35radix_sort_onesweep_config_selectorIaNS0_10empty_typeEEEZZNS1_29radix_sort_onesweep_iterationIS3_Lb1EPKaPaPS5_SB_mNS0_19identity_decomposerENS1_16block_id_wrapperIjLb1EEEEE10hipError_tT1_PNSt15iterator_traitsISG_E10value_typeET2_T3_PNSH_ISM_E10value_typeET4_T5_PSR_SS_PNS1_23onesweep_lookback_stateEbbT6_jjT7_P12ihipStream_tbENKUlT_T0_SG_SL_E_clIS9_SA_SB_SB_EEDaSZ_S10_SG_SL_EUlSZ_E_NS1_11comp_targetILNS1_3genE9ELNS1_11target_archE1100ELNS1_3gpuE3ELNS1_3repE0EEENS1_47radix_sort_onesweep_sort_config_static_selectorELNS0_4arch9wavefront6targetE0EEEvSG_.has_recursion, 0
	.set _ZN7rocprim17ROCPRIM_400000_NS6detail17trampoline_kernelINS0_14default_configENS1_35radix_sort_onesweep_config_selectorIaNS0_10empty_typeEEEZZNS1_29radix_sort_onesweep_iterationIS3_Lb1EPKaPaPS5_SB_mNS0_19identity_decomposerENS1_16block_id_wrapperIjLb1EEEEE10hipError_tT1_PNSt15iterator_traitsISG_E10value_typeET2_T3_PNSH_ISM_E10value_typeET4_T5_PSR_SS_PNS1_23onesweep_lookback_stateEbbT6_jjT7_P12ihipStream_tbENKUlT_T0_SG_SL_E_clIS9_SA_SB_SB_EEDaSZ_S10_SG_SL_EUlSZ_E_NS1_11comp_targetILNS1_3genE9ELNS1_11target_archE1100ELNS1_3gpuE3ELNS1_3repE0EEENS1_47radix_sort_onesweep_sort_config_static_selectorELNS0_4arch9wavefront6targetE0EEEvSG_.has_indirect_call, 0
	.section	.AMDGPU.csdata,"",@progbits
; Kernel info:
; codeLenInByte = 0
; TotalNumSgprs: 0
; NumVgprs: 0
; ScratchSize: 0
; MemoryBound: 0
; FloatMode: 240
; IeeeMode: 1
; LDSByteSize: 0 bytes/workgroup (compile time only)
; SGPRBlocks: 0
; VGPRBlocks: 0
; NumSGPRsForWavesPerEU: 1
; NumVGPRsForWavesPerEU: 1
; NamedBarCnt: 0
; Occupancy: 16
; WaveLimiterHint : 0
; COMPUTE_PGM_RSRC2:SCRATCH_EN: 0
; COMPUTE_PGM_RSRC2:USER_SGPR: 2
; COMPUTE_PGM_RSRC2:TRAP_HANDLER: 0
; COMPUTE_PGM_RSRC2:TGID_X_EN: 1
; COMPUTE_PGM_RSRC2:TGID_Y_EN: 0
; COMPUTE_PGM_RSRC2:TGID_Z_EN: 0
; COMPUTE_PGM_RSRC2:TIDIG_COMP_CNT: 0
	.section	.text._ZN7rocprim17ROCPRIM_400000_NS6detail17trampoline_kernelINS0_14default_configENS1_35radix_sort_onesweep_config_selectorIaNS0_10empty_typeEEEZZNS1_29radix_sort_onesweep_iterationIS3_Lb1EPKaPaPS5_SB_mNS0_19identity_decomposerENS1_16block_id_wrapperIjLb1EEEEE10hipError_tT1_PNSt15iterator_traitsISG_E10value_typeET2_T3_PNSH_ISM_E10value_typeET4_T5_PSR_SS_PNS1_23onesweep_lookback_stateEbbT6_jjT7_P12ihipStream_tbENKUlT_T0_SG_SL_E_clIS9_SA_SB_SB_EEDaSZ_S10_SG_SL_EUlSZ_E_NS1_11comp_targetILNS1_3genE8ELNS1_11target_archE1030ELNS1_3gpuE2ELNS1_3repE0EEENS1_47radix_sort_onesweep_sort_config_static_selectorELNS0_4arch9wavefront6targetE0EEEvSG_,"axG",@progbits,_ZN7rocprim17ROCPRIM_400000_NS6detail17trampoline_kernelINS0_14default_configENS1_35radix_sort_onesweep_config_selectorIaNS0_10empty_typeEEEZZNS1_29radix_sort_onesweep_iterationIS3_Lb1EPKaPaPS5_SB_mNS0_19identity_decomposerENS1_16block_id_wrapperIjLb1EEEEE10hipError_tT1_PNSt15iterator_traitsISG_E10value_typeET2_T3_PNSH_ISM_E10value_typeET4_T5_PSR_SS_PNS1_23onesweep_lookback_stateEbbT6_jjT7_P12ihipStream_tbENKUlT_T0_SG_SL_E_clIS9_SA_SB_SB_EEDaSZ_S10_SG_SL_EUlSZ_E_NS1_11comp_targetILNS1_3genE8ELNS1_11target_archE1030ELNS1_3gpuE2ELNS1_3repE0EEENS1_47radix_sort_onesweep_sort_config_static_selectorELNS0_4arch9wavefront6targetE0EEEvSG_,comdat
	.protected	_ZN7rocprim17ROCPRIM_400000_NS6detail17trampoline_kernelINS0_14default_configENS1_35radix_sort_onesweep_config_selectorIaNS0_10empty_typeEEEZZNS1_29radix_sort_onesweep_iterationIS3_Lb1EPKaPaPS5_SB_mNS0_19identity_decomposerENS1_16block_id_wrapperIjLb1EEEEE10hipError_tT1_PNSt15iterator_traitsISG_E10value_typeET2_T3_PNSH_ISM_E10value_typeET4_T5_PSR_SS_PNS1_23onesweep_lookback_stateEbbT6_jjT7_P12ihipStream_tbENKUlT_T0_SG_SL_E_clIS9_SA_SB_SB_EEDaSZ_S10_SG_SL_EUlSZ_E_NS1_11comp_targetILNS1_3genE8ELNS1_11target_archE1030ELNS1_3gpuE2ELNS1_3repE0EEENS1_47radix_sort_onesweep_sort_config_static_selectorELNS0_4arch9wavefront6targetE0EEEvSG_ ; -- Begin function _ZN7rocprim17ROCPRIM_400000_NS6detail17trampoline_kernelINS0_14default_configENS1_35radix_sort_onesweep_config_selectorIaNS0_10empty_typeEEEZZNS1_29radix_sort_onesweep_iterationIS3_Lb1EPKaPaPS5_SB_mNS0_19identity_decomposerENS1_16block_id_wrapperIjLb1EEEEE10hipError_tT1_PNSt15iterator_traitsISG_E10value_typeET2_T3_PNSH_ISM_E10value_typeET4_T5_PSR_SS_PNS1_23onesweep_lookback_stateEbbT6_jjT7_P12ihipStream_tbENKUlT_T0_SG_SL_E_clIS9_SA_SB_SB_EEDaSZ_S10_SG_SL_EUlSZ_E_NS1_11comp_targetILNS1_3genE8ELNS1_11target_archE1030ELNS1_3gpuE2ELNS1_3repE0EEENS1_47radix_sort_onesweep_sort_config_static_selectorELNS0_4arch9wavefront6targetE0EEEvSG_
	.globl	_ZN7rocprim17ROCPRIM_400000_NS6detail17trampoline_kernelINS0_14default_configENS1_35radix_sort_onesweep_config_selectorIaNS0_10empty_typeEEEZZNS1_29radix_sort_onesweep_iterationIS3_Lb1EPKaPaPS5_SB_mNS0_19identity_decomposerENS1_16block_id_wrapperIjLb1EEEEE10hipError_tT1_PNSt15iterator_traitsISG_E10value_typeET2_T3_PNSH_ISM_E10value_typeET4_T5_PSR_SS_PNS1_23onesweep_lookback_stateEbbT6_jjT7_P12ihipStream_tbENKUlT_T0_SG_SL_E_clIS9_SA_SB_SB_EEDaSZ_S10_SG_SL_EUlSZ_E_NS1_11comp_targetILNS1_3genE8ELNS1_11target_archE1030ELNS1_3gpuE2ELNS1_3repE0EEENS1_47radix_sort_onesweep_sort_config_static_selectorELNS0_4arch9wavefront6targetE0EEEvSG_
	.p2align	8
	.type	_ZN7rocprim17ROCPRIM_400000_NS6detail17trampoline_kernelINS0_14default_configENS1_35radix_sort_onesweep_config_selectorIaNS0_10empty_typeEEEZZNS1_29radix_sort_onesweep_iterationIS3_Lb1EPKaPaPS5_SB_mNS0_19identity_decomposerENS1_16block_id_wrapperIjLb1EEEEE10hipError_tT1_PNSt15iterator_traitsISG_E10value_typeET2_T3_PNSH_ISM_E10value_typeET4_T5_PSR_SS_PNS1_23onesweep_lookback_stateEbbT6_jjT7_P12ihipStream_tbENKUlT_T0_SG_SL_E_clIS9_SA_SB_SB_EEDaSZ_S10_SG_SL_EUlSZ_E_NS1_11comp_targetILNS1_3genE8ELNS1_11target_archE1030ELNS1_3gpuE2ELNS1_3repE0EEENS1_47radix_sort_onesweep_sort_config_static_selectorELNS0_4arch9wavefront6targetE0EEEvSG_,@function
_ZN7rocprim17ROCPRIM_400000_NS6detail17trampoline_kernelINS0_14default_configENS1_35radix_sort_onesweep_config_selectorIaNS0_10empty_typeEEEZZNS1_29radix_sort_onesweep_iterationIS3_Lb1EPKaPaPS5_SB_mNS0_19identity_decomposerENS1_16block_id_wrapperIjLb1EEEEE10hipError_tT1_PNSt15iterator_traitsISG_E10value_typeET2_T3_PNSH_ISM_E10value_typeET4_T5_PSR_SS_PNS1_23onesweep_lookback_stateEbbT6_jjT7_P12ihipStream_tbENKUlT_T0_SG_SL_E_clIS9_SA_SB_SB_EEDaSZ_S10_SG_SL_EUlSZ_E_NS1_11comp_targetILNS1_3genE8ELNS1_11target_archE1030ELNS1_3gpuE2ELNS1_3repE0EEENS1_47radix_sort_onesweep_sort_config_static_selectorELNS0_4arch9wavefront6targetE0EEEvSG_: ; @_ZN7rocprim17ROCPRIM_400000_NS6detail17trampoline_kernelINS0_14default_configENS1_35radix_sort_onesweep_config_selectorIaNS0_10empty_typeEEEZZNS1_29radix_sort_onesweep_iterationIS3_Lb1EPKaPaPS5_SB_mNS0_19identity_decomposerENS1_16block_id_wrapperIjLb1EEEEE10hipError_tT1_PNSt15iterator_traitsISG_E10value_typeET2_T3_PNSH_ISM_E10value_typeET4_T5_PSR_SS_PNS1_23onesweep_lookback_stateEbbT6_jjT7_P12ihipStream_tbENKUlT_T0_SG_SL_E_clIS9_SA_SB_SB_EEDaSZ_S10_SG_SL_EUlSZ_E_NS1_11comp_targetILNS1_3genE8ELNS1_11target_archE1030ELNS1_3gpuE2ELNS1_3repE0EEENS1_47radix_sort_onesweep_sort_config_static_selectorELNS0_4arch9wavefront6targetE0EEEvSG_
; %bb.0:
	.section	.rodata,"a",@progbits
	.p2align	6, 0x0
	.amdhsa_kernel _ZN7rocprim17ROCPRIM_400000_NS6detail17trampoline_kernelINS0_14default_configENS1_35radix_sort_onesweep_config_selectorIaNS0_10empty_typeEEEZZNS1_29radix_sort_onesweep_iterationIS3_Lb1EPKaPaPS5_SB_mNS0_19identity_decomposerENS1_16block_id_wrapperIjLb1EEEEE10hipError_tT1_PNSt15iterator_traitsISG_E10value_typeET2_T3_PNSH_ISM_E10value_typeET4_T5_PSR_SS_PNS1_23onesweep_lookback_stateEbbT6_jjT7_P12ihipStream_tbENKUlT_T0_SG_SL_E_clIS9_SA_SB_SB_EEDaSZ_S10_SG_SL_EUlSZ_E_NS1_11comp_targetILNS1_3genE8ELNS1_11target_archE1030ELNS1_3gpuE2ELNS1_3repE0EEENS1_47radix_sort_onesweep_sort_config_static_selectorELNS0_4arch9wavefront6targetE0EEEvSG_
		.amdhsa_group_segment_fixed_size 0
		.amdhsa_private_segment_fixed_size 0
		.amdhsa_kernarg_size 88
		.amdhsa_user_sgpr_count 2
		.amdhsa_user_sgpr_dispatch_ptr 0
		.amdhsa_user_sgpr_queue_ptr 0
		.amdhsa_user_sgpr_kernarg_segment_ptr 1
		.amdhsa_user_sgpr_dispatch_id 0
		.amdhsa_user_sgpr_kernarg_preload_length 0
		.amdhsa_user_sgpr_kernarg_preload_offset 0
		.amdhsa_user_sgpr_private_segment_size 0
		.amdhsa_wavefront_size32 1
		.amdhsa_uses_dynamic_stack 0
		.amdhsa_enable_private_segment 0
		.amdhsa_system_sgpr_workgroup_id_x 1
		.amdhsa_system_sgpr_workgroup_id_y 0
		.amdhsa_system_sgpr_workgroup_id_z 0
		.amdhsa_system_sgpr_workgroup_info 0
		.amdhsa_system_vgpr_workitem_id 0
		.amdhsa_next_free_vgpr 1
		.amdhsa_next_free_sgpr 1
		.amdhsa_named_barrier_count 0
		.amdhsa_reserve_vcc 0
		.amdhsa_float_round_mode_32 0
		.amdhsa_float_round_mode_16_64 0
		.amdhsa_float_denorm_mode_32 3
		.amdhsa_float_denorm_mode_16_64 3
		.amdhsa_fp16_overflow 0
		.amdhsa_memory_ordered 1
		.amdhsa_forward_progress 1
		.amdhsa_inst_pref_size 0
		.amdhsa_round_robin_scheduling 0
		.amdhsa_exception_fp_ieee_invalid_op 0
		.amdhsa_exception_fp_denorm_src 0
		.amdhsa_exception_fp_ieee_div_zero 0
		.amdhsa_exception_fp_ieee_overflow 0
		.amdhsa_exception_fp_ieee_underflow 0
		.amdhsa_exception_fp_ieee_inexact 0
		.amdhsa_exception_int_div_zero 0
	.end_amdhsa_kernel
	.section	.text._ZN7rocprim17ROCPRIM_400000_NS6detail17trampoline_kernelINS0_14default_configENS1_35radix_sort_onesweep_config_selectorIaNS0_10empty_typeEEEZZNS1_29radix_sort_onesweep_iterationIS3_Lb1EPKaPaPS5_SB_mNS0_19identity_decomposerENS1_16block_id_wrapperIjLb1EEEEE10hipError_tT1_PNSt15iterator_traitsISG_E10value_typeET2_T3_PNSH_ISM_E10value_typeET4_T5_PSR_SS_PNS1_23onesweep_lookback_stateEbbT6_jjT7_P12ihipStream_tbENKUlT_T0_SG_SL_E_clIS9_SA_SB_SB_EEDaSZ_S10_SG_SL_EUlSZ_E_NS1_11comp_targetILNS1_3genE8ELNS1_11target_archE1030ELNS1_3gpuE2ELNS1_3repE0EEENS1_47radix_sort_onesweep_sort_config_static_selectorELNS0_4arch9wavefront6targetE0EEEvSG_,"axG",@progbits,_ZN7rocprim17ROCPRIM_400000_NS6detail17trampoline_kernelINS0_14default_configENS1_35radix_sort_onesweep_config_selectorIaNS0_10empty_typeEEEZZNS1_29radix_sort_onesweep_iterationIS3_Lb1EPKaPaPS5_SB_mNS0_19identity_decomposerENS1_16block_id_wrapperIjLb1EEEEE10hipError_tT1_PNSt15iterator_traitsISG_E10value_typeET2_T3_PNSH_ISM_E10value_typeET4_T5_PSR_SS_PNS1_23onesweep_lookback_stateEbbT6_jjT7_P12ihipStream_tbENKUlT_T0_SG_SL_E_clIS9_SA_SB_SB_EEDaSZ_S10_SG_SL_EUlSZ_E_NS1_11comp_targetILNS1_3genE8ELNS1_11target_archE1030ELNS1_3gpuE2ELNS1_3repE0EEENS1_47radix_sort_onesweep_sort_config_static_selectorELNS0_4arch9wavefront6targetE0EEEvSG_,comdat
.Lfunc_end363:
	.size	_ZN7rocprim17ROCPRIM_400000_NS6detail17trampoline_kernelINS0_14default_configENS1_35radix_sort_onesweep_config_selectorIaNS0_10empty_typeEEEZZNS1_29radix_sort_onesweep_iterationIS3_Lb1EPKaPaPS5_SB_mNS0_19identity_decomposerENS1_16block_id_wrapperIjLb1EEEEE10hipError_tT1_PNSt15iterator_traitsISG_E10value_typeET2_T3_PNSH_ISM_E10value_typeET4_T5_PSR_SS_PNS1_23onesweep_lookback_stateEbbT6_jjT7_P12ihipStream_tbENKUlT_T0_SG_SL_E_clIS9_SA_SB_SB_EEDaSZ_S10_SG_SL_EUlSZ_E_NS1_11comp_targetILNS1_3genE8ELNS1_11target_archE1030ELNS1_3gpuE2ELNS1_3repE0EEENS1_47radix_sort_onesweep_sort_config_static_selectorELNS0_4arch9wavefront6targetE0EEEvSG_, .Lfunc_end363-_ZN7rocprim17ROCPRIM_400000_NS6detail17trampoline_kernelINS0_14default_configENS1_35radix_sort_onesweep_config_selectorIaNS0_10empty_typeEEEZZNS1_29radix_sort_onesweep_iterationIS3_Lb1EPKaPaPS5_SB_mNS0_19identity_decomposerENS1_16block_id_wrapperIjLb1EEEEE10hipError_tT1_PNSt15iterator_traitsISG_E10value_typeET2_T3_PNSH_ISM_E10value_typeET4_T5_PSR_SS_PNS1_23onesweep_lookback_stateEbbT6_jjT7_P12ihipStream_tbENKUlT_T0_SG_SL_E_clIS9_SA_SB_SB_EEDaSZ_S10_SG_SL_EUlSZ_E_NS1_11comp_targetILNS1_3genE8ELNS1_11target_archE1030ELNS1_3gpuE2ELNS1_3repE0EEENS1_47radix_sort_onesweep_sort_config_static_selectorELNS0_4arch9wavefront6targetE0EEEvSG_
                                        ; -- End function
	.set _ZN7rocprim17ROCPRIM_400000_NS6detail17trampoline_kernelINS0_14default_configENS1_35radix_sort_onesweep_config_selectorIaNS0_10empty_typeEEEZZNS1_29radix_sort_onesweep_iterationIS3_Lb1EPKaPaPS5_SB_mNS0_19identity_decomposerENS1_16block_id_wrapperIjLb1EEEEE10hipError_tT1_PNSt15iterator_traitsISG_E10value_typeET2_T3_PNSH_ISM_E10value_typeET4_T5_PSR_SS_PNS1_23onesweep_lookback_stateEbbT6_jjT7_P12ihipStream_tbENKUlT_T0_SG_SL_E_clIS9_SA_SB_SB_EEDaSZ_S10_SG_SL_EUlSZ_E_NS1_11comp_targetILNS1_3genE8ELNS1_11target_archE1030ELNS1_3gpuE2ELNS1_3repE0EEENS1_47radix_sort_onesweep_sort_config_static_selectorELNS0_4arch9wavefront6targetE0EEEvSG_.num_vgpr, 0
	.set _ZN7rocprim17ROCPRIM_400000_NS6detail17trampoline_kernelINS0_14default_configENS1_35radix_sort_onesweep_config_selectorIaNS0_10empty_typeEEEZZNS1_29radix_sort_onesweep_iterationIS3_Lb1EPKaPaPS5_SB_mNS0_19identity_decomposerENS1_16block_id_wrapperIjLb1EEEEE10hipError_tT1_PNSt15iterator_traitsISG_E10value_typeET2_T3_PNSH_ISM_E10value_typeET4_T5_PSR_SS_PNS1_23onesweep_lookback_stateEbbT6_jjT7_P12ihipStream_tbENKUlT_T0_SG_SL_E_clIS9_SA_SB_SB_EEDaSZ_S10_SG_SL_EUlSZ_E_NS1_11comp_targetILNS1_3genE8ELNS1_11target_archE1030ELNS1_3gpuE2ELNS1_3repE0EEENS1_47radix_sort_onesweep_sort_config_static_selectorELNS0_4arch9wavefront6targetE0EEEvSG_.num_agpr, 0
	.set _ZN7rocprim17ROCPRIM_400000_NS6detail17trampoline_kernelINS0_14default_configENS1_35radix_sort_onesweep_config_selectorIaNS0_10empty_typeEEEZZNS1_29radix_sort_onesweep_iterationIS3_Lb1EPKaPaPS5_SB_mNS0_19identity_decomposerENS1_16block_id_wrapperIjLb1EEEEE10hipError_tT1_PNSt15iterator_traitsISG_E10value_typeET2_T3_PNSH_ISM_E10value_typeET4_T5_PSR_SS_PNS1_23onesweep_lookback_stateEbbT6_jjT7_P12ihipStream_tbENKUlT_T0_SG_SL_E_clIS9_SA_SB_SB_EEDaSZ_S10_SG_SL_EUlSZ_E_NS1_11comp_targetILNS1_3genE8ELNS1_11target_archE1030ELNS1_3gpuE2ELNS1_3repE0EEENS1_47radix_sort_onesweep_sort_config_static_selectorELNS0_4arch9wavefront6targetE0EEEvSG_.numbered_sgpr, 0
	.set _ZN7rocprim17ROCPRIM_400000_NS6detail17trampoline_kernelINS0_14default_configENS1_35radix_sort_onesweep_config_selectorIaNS0_10empty_typeEEEZZNS1_29radix_sort_onesweep_iterationIS3_Lb1EPKaPaPS5_SB_mNS0_19identity_decomposerENS1_16block_id_wrapperIjLb1EEEEE10hipError_tT1_PNSt15iterator_traitsISG_E10value_typeET2_T3_PNSH_ISM_E10value_typeET4_T5_PSR_SS_PNS1_23onesweep_lookback_stateEbbT6_jjT7_P12ihipStream_tbENKUlT_T0_SG_SL_E_clIS9_SA_SB_SB_EEDaSZ_S10_SG_SL_EUlSZ_E_NS1_11comp_targetILNS1_3genE8ELNS1_11target_archE1030ELNS1_3gpuE2ELNS1_3repE0EEENS1_47radix_sort_onesweep_sort_config_static_selectorELNS0_4arch9wavefront6targetE0EEEvSG_.num_named_barrier, 0
	.set _ZN7rocprim17ROCPRIM_400000_NS6detail17trampoline_kernelINS0_14default_configENS1_35radix_sort_onesweep_config_selectorIaNS0_10empty_typeEEEZZNS1_29radix_sort_onesweep_iterationIS3_Lb1EPKaPaPS5_SB_mNS0_19identity_decomposerENS1_16block_id_wrapperIjLb1EEEEE10hipError_tT1_PNSt15iterator_traitsISG_E10value_typeET2_T3_PNSH_ISM_E10value_typeET4_T5_PSR_SS_PNS1_23onesweep_lookback_stateEbbT6_jjT7_P12ihipStream_tbENKUlT_T0_SG_SL_E_clIS9_SA_SB_SB_EEDaSZ_S10_SG_SL_EUlSZ_E_NS1_11comp_targetILNS1_3genE8ELNS1_11target_archE1030ELNS1_3gpuE2ELNS1_3repE0EEENS1_47radix_sort_onesweep_sort_config_static_selectorELNS0_4arch9wavefront6targetE0EEEvSG_.private_seg_size, 0
	.set _ZN7rocprim17ROCPRIM_400000_NS6detail17trampoline_kernelINS0_14default_configENS1_35radix_sort_onesweep_config_selectorIaNS0_10empty_typeEEEZZNS1_29radix_sort_onesweep_iterationIS3_Lb1EPKaPaPS5_SB_mNS0_19identity_decomposerENS1_16block_id_wrapperIjLb1EEEEE10hipError_tT1_PNSt15iterator_traitsISG_E10value_typeET2_T3_PNSH_ISM_E10value_typeET4_T5_PSR_SS_PNS1_23onesweep_lookback_stateEbbT6_jjT7_P12ihipStream_tbENKUlT_T0_SG_SL_E_clIS9_SA_SB_SB_EEDaSZ_S10_SG_SL_EUlSZ_E_NS1_11comp_targetILNS1_3genE8ELNS1_11target_archE1030ELNS1_3gpuE2ELNS1_3repE0EEENS1_47radix_sort_onesweep_sort_config_static_selectorELNS0_4arch9wavefront6targetE0EEEvSG_.uses_vcc, 0
	.set _ZN7rocprim17ROCPRIM_400000_NS6detail17trampoline_kernelINS0_14default_configENS1_35radix_sort_onesweep_config_selectorIaNS0_10empty_typeEEEZZNS1_29radix_sort_onesweep_iterationIS3_Lb1EPKaPaPS5_SB_mNS0_19identity_decomposerENS1_16block_id_wrapperIjLb1EEEEE10hipError_tT1_PNSt15iterator_traitsISG_E10value_typeET2_T3_PNSH_ISM_E10value_typeET4_T5_PSR_SS_PNS1_23onesweep_lookback_stateEbbT6_jjT7_P12ihipStream_tbENKUlT_T0_SG_SL_E_clIS9_SA_SB_SB_EEDaSZ_S10_SG_SL_EUlSZ_E_NS1_11comp_targetILNS1_3genE8ELNS1_11target_archE1030ELNS1_3gpuE2ELNS1_3repE0EEENS1_47radix_sort_onesweep_sort_config_static_selectorELNS0_4arch9wavefront6targetE0EEEvSG_.uses_flat_scratch, 0
	.set _ZN7rocprim17ROCPRIM_400000_NS6detail17trampoline_kernelINS0_14default_configENS1_35radix_sort_onesweep_config_selectorIaNS0_10empty_typeEEEZZNS1_29radix_sort_onesweep_iterationIS3_Lb1EPKaPaPS5_SB_mNS0_19identity_decomposerENS1_16block_id_wrapperIjLb1EEEEE10hipError_tT1_PNSt15iterator_traitsISG_E10value_typeET2_T3_PNSH_ISM_E10value_typeET4_T5_PSR_SS_PNS1_23onesweep_lookback_stateEbbT6_jjT7_P12ihipStream_tbENKUlT_T0_SG_SL_E_clIS9_SA_SB_SB_EEDaSZ_S10_SG_SL_EUlSZ_E_NS1_11comp_targetILNS1_3genE8ELNS1_11target_archE1030ELNS1_3gpuE2ELNS1_3repE0EEENS1_47radix_sort_onesweep_sort_config_static_selectorELNS0_4arch9wavefront6targetE0EEEvSG_.has_dyn_sized_stack, 0
	.set _ZN7rocprim17ROCPRIM_400000_NS6detail17trampoline_kernelINS0_14default_configENS1_35radix_sort_onesweep_config_selectorIaNS0_10empty_typeEEEZZNS1_29radix_sort_onesweep_iterationIS3_Lb1EPKaPaPS5_SB_mNS0_19identity_decomposerENS1_16block_id_wrapperIjLb1EEEEE10hipError_tT1_PNSt15iterator_traitsISG_E10value_typeET2_T3_PNSH_ISM_E10value_typeET4_T5_PSR_SS_PNS1_23onesweep_lookback_stateEbbT6_jjT7_P12ihipStream_tbENKUlT_T0_SG_SL_E_clIS9_SA_SB_SB_EEDaSZ_S10_SG_SL_EUlSZ_E_NS1_11comp_targetILNS1_3genE8ELNS1_11target_archE1030ELNS1_3gpuE2ELNS1_3repE0EEENS1_47radix_sort_onesweep_sort_config_static_selectorELNS0_4arch9wavefront6targetE0EEEvSG_.has_recursion, 0
	.set _ZN7rocprim17ROCPRIM_400000_NS6detail17trampoline_kernelINS0_14default_configENS1_35radix_sort_onesweep_config_selectorIaNS0_10empty_typeEEEZZNS1_29radix_sort_onesweep_iterationIS3_Lb1EPKaPaPS5_SB_mNS0_19identity_decomposerENS1_16block_id_wrapperIjLb1EEEEE10hipError_tT1_PNSt15iterator_traitsISG_E10value_typeET2_T3_PNSH_ISM_E10value_typeET4_T5_PSR_SS_PNS1_23onesweep_lookback_stateEbbT6_jjT7_P12ihipStream_tbENKUlT_T0_SG_SL_E_clIS9_SA_SB_SB_EEDaSZ_S10_SG_SL_EUlSZ_E_NS1_11comp_targetILNS1_3genE8ELNS1_11target_archE1030ELNS1_3gpuE2ELNS1_3repE0EEENS1_47radix_sort_onesweep_sort_config_static_selectorELNS0_4arch9wavefront6targetE0EEEvSG_.has_indirect_call, 0
	.section	.AMDGPU.csdata,"",@progbits
; Kernel info:
; codeLenInByte = 0
; TotalNumSgprs: 0
; NumVgprs: 0
; ScratchSize: 0
; MemoryBound: 0
; FloatMode: 240
; IeeeMode: 1
; LDSByteSize: 0 bytes/workgroup (compile time only)
; SGPRBlocks: 0
; VGPRBlocks: 0
; NumSGPRsForWavesPerEU: 1
; NumVGPRsForWavesPerEU: 1
; NamedBarCnt: 0
; Occupancy: 16
; WaveLimiterHint : 0
; COMPUTE_PGM_RSRC2:SCRATCH_EN: 0
; COMPUTE_PGM_RSRC2:USER_SGPR: 2
; COMPUTE_PGM_RSRC2:TRAP_HANDLER: 0
; COMPUTE_PGM_RSRC2:TGID_X_EN: 1
; COMPUTE_PGM_RSRC2:TGID_Y_EN: 0
; COMPUTE_PGM_RSRC2:TGID_Z_EN: 0
; COMPUTE_PGM_RSRC2:TIDIG_COMP_CNT: 0
	.section	.text._ZN7rocprim17ROCPRIM_400000_NS6detail17trampoline_kernelINS0_14default_configENS1_35radix_sort_onesweep_config_selectorIaNS0_10empty_typeEEEZZNS1_29radix_sort_onesweep_iterationIS3_Lb1EPKaPaPS5_SB_mNS0_19identity_decomposerENS1_16block_id_wrapperIjLb1EEEEE10hipError_tT1_PNSt15iterator_traitsISG_E10value_typeET2_T3_PNSH_ISM_E10value_typeET4_T5_PSR_SS_PNS1_23onesweep_lookback_stateEbbT6_jjT7_P12ihipStream_tbENKUlT_T0_SG_SL_E_clISA_SA_SB_SB_EEDaSZ_S10_SG_SL_EUlSZ_E_NS1_11comp_targetILNS1_3genE0ELNS1_11target_archE4294967295ELNS1_3gpuE0ELNS1_3repE0EEENS1_47radix_sort_onesweep_sort_config_static_selectorELNS0_4arch9wavefront6targetE0EEEvSG_,"axG",@progbits,_ZN7rocprim17ROCPRIM_400000_NS6detail17trampoline_kernelINS0_14default_configENS1_35radix_sort_onesweep_config_selectorIaNS0_10empty_typeEEEZZNS1_29radix_sort_onesweep_iterationIS3_Lb1EPKaPaPS5_SB_mNS0_19identity_decomposerENS1_16block_id_wrapperIjLb1EEEEE10hipError_tT1_PNSt15iterator_traitsISG_E10value_typeET2_T3_PNSH_ISM_E10value_typeET4_T5_PSR_SS_PNS1_23onesweep_lookback_stateEbbT6_jjT7_P12ihipStream_tbENKUlT_T0_SG_SL_E_clISA_SA_SB_SB_EEDaSZ_S10_SG_SL_EUlSZ_E_NS1_11comp_targetILNS1_3genE0ELNS1_11target_archE4294967295ELNS1_3gpuE0ELNS1_3repE0EEENS1_47radix_sort_onesweep_sort_config_static_selectorELNS0_4arch9wavefront6targetE0EEEvSG_,comdat
	.protected	_ZN7rocprim17ROCPRIM_400000_NS6detail17trampoline_kernelINS0_14default_configENS1_35radix_sort_onesweep_config_selectorIaNS0_10empty_typeEEEZZNS1_29radix_sort_onesweep_iterationIS3_Lb1EPKaPaPS5_SB_mNS0_19identity_decomposerENS1_16block_id_wrapperIjLb1EEEEE10hipError_tT1_PNSt15iterator_traitsISG_E10value_typeET2_T3_PNSH_ISM_E10value_typeET4_T5_PSR_SS_PNS1_23onesweep_lookback_stateEbbT6_jjT7_P12ihipStream_tbENKUlT_T0_SG_SL_E_clISA_SA_SB_SB_EEDaSZ_S10_SG_SL_EUlSZ_E_NS1_11comp_targetILNS1_3genE0ELNS1_11target_archE4294967295ELNS1_3gpuE0ELNS1_3repE0EEENS1_47radix_sort_onesweep_sort_config_static_selectorELNS0_4arch9wavefront6targetE0EEEvSG_ ; -- Begin function _ZN7rocprim17ROCPRIM_400000_NS6detail17trampoline_kernelINS0_14default_configENS1_35radix_sort_onesweep_config_selectorIaNS0_10empty_typeEEEZZNS1_29radix_sort_onesweep_iterationIS3_Lb1EPKaPaPS5_SB_mNS0_19identity_decomposerENS1_16block_id_wrapperIjLb1EEEEE10hipError_tT1_PNSt15iterator_traitsISG_E10value_typeET2_T3_PNSH_ISM_E10value_typeET4_T5_PSR_SS_PNS1_23onesweep_lookback_stateEbbT6_jjT7_P12ihipStream_tbENKUlT_T0_SG_SL_E_clISA_SA_SB_SB_EEDaSZ_S10_SG_SL_EUlSZ_E_NS1_11comp_targetILNS1_3genE0ELNS1_11target_archE4294967295ELNS1_3gpuE0ELNS1_3repE0EEENS1_47radix_sort_onesweep_sort_config_static_selectorELNS0_4arch9wavefront6targetE0EEEvSG_
	.globl	_ZN7rocprim17ROCPRIM_400000_NS6detail17trampoline_kernelINS0_14default_configENS1_35radix_sort_onesweep_config_selectorIaNS0_10empty_typeEEEZZNS1_29radix_sort_onesweep_iterationIS3_Lb1EPKaPaPS5_SB_mNS0_19identity_decomposerENS1_16block_id_wrapperIjLb1EEEEE10hipError_tT1_PNSt15iterator_traitsISG_E10value_typeET2_T3_PNSH_ISM_E10value_typeET4_T5_PSR_SS_PNS1_23onesweep_lookback_stateEbbT6_jjT7_P12ihipStream_tbENKUlT_T0_SG_SL_E_clISA_SA_SB_SB_EEDaSZ_S10_SG_SL_EUlSZ_E_NS1_11comp_targetILNS1_3genE0ELNS1_11target_archE4294967295ELNS1_3gpuE0ELNS1_3repE0EEENS1_47radix_sort_onesweep_sort_config_static_selectorELNS0_4arch9wavefront6targetE0EEEvSG_
	.p2align	8
	.type	_ZN7rocprim17ROCPRIM_400000_NS6detail17trampoline_kernelINS0_14default_configENS1_35radix_sort_onesweep_config_selectorIaNS0_10empty_typeEEEZZNS1_29radix_sort_onesweep_iterationIS3_Lb1EPKaPaPS5_SB_mNS0_19identity_decomposerENS1_16block_id_wrapperIjLb1EEEEE10hipError_tT1_PNSt15iterator_traitsISG_E10value_typeET2_T3_PNSH_ISM_E10value_typeET4_T5_PSR_SS_PNS1_23onesweep_lookback_stateEbbT6_jjT7_P12ihipStream_tbENKUlT_T0_SG_SL_E_clISA_SA_SB_SB_EEDaSZ_S10_SG_SL_EUlSZ_E_NS1_11comp_targetILNS1_3genE0ELNS1_11target_archE4294967295ELNS1_3gpuE0ELNS1_3repE0EEENS1_47radix_sort_onesweep_sort_config_static_selectorELNS0_4arch9wavefront6targetE0EEEvSG_,@function
_ZN7rocprim17ROCPRIM_400000_NS6detail17trampoline_kernelINS0_14default_configENS1_35radix_sort_onesweep_config_selectorIaNS0_10empty_typeEEEZZNS1_29radix_sort_onesweep_iterationIS3_Lb1EPKaPaPS5_SB_mNS0_19identity_decomposerENS1_16block_id_wrapperIjLb1EEEEE10hipError_tT1_PNSt15iterator_traitsISG_E10value_typeET2_T3_PNSH_ISM_E10value_typeET4_T5_PSR_SS_PNS1_23onesweep_lookback_stateEbbT6_jjT7_P12ihipStream_tbENKUlT_T0_SG_SL_E_clISA_SA_SB_SB_EEDaSZ_S10_SG_SL_EUlSZ_E_NS1_11comp_targetILNS1_3genE0ELNS1_11target_archE4294967295ELNS1_3gpuE0ELNS1_3repE0EEENS1_47radix_sort_onesweep_sort_config_static_selectorELNS0_4arch9wavefront6targetE0EEEvSG_: ; @_ZN7rocprim17ROCPRIM_400000_NS6detail17trampoline_kernelINS0_14default_configENS1_35radix_sort_onesweep_config_selectorIaNS0_10empty_typeEEEZZNS1_29radix_sort_onesweep_iterationIS3_Lb1EPKaPaPS5_SB_mNS0_19identity_decomposerENS1_16block_id_wrapperIjLb1EEEEE10hipError_tT1_PNSt15iterator_traitsISG_E10value_typeET2_T3_PNSH_ISM_E10value_typeET4_T5_PSR_SS_PNS1_23onesweep_lookback_stateEbbT6_jjT7_P12ihipStream_tbENKUlT_T0_SG_SL_E_clISA_SA_SB_SB_EEDaSZ_S10_SG_SL_EUlSZ_E_NS1_11comp_targetILNS1_3genE0ELNS1_11target_archE4294967295ELNS1_3gpuE0ELNS1_3repE0EEENS1_47radix_sort_onesweep_sort_config_static_selectorELNS0_4arch9wavefront6targetE0EEEvSG_
; %bb.0:
	s_clause 0x1
	s_load_b128 s[8:11], s[0:1], 0x28
	s_load_b64 s[20:21], s[0:1], 0x38
	s_mov_b32 s2, exec_lo
	v_cmpx_eq_u32_e32 0, v0
	s_cbranch_execz .LBB364_4
; %bb.1:
	s_mov_b32 s4, exec_lo
	s_mov_b32 s3, exec_lo
	v_mbcnt_lo_u32_b32 v1, s4, 0
                                        ; implicit-def: $vgpr2
	s_delay_alu instid0(VALU_DEP_1)
	v_cmpx_eq_u32_e32 0, v1
	s_cbranch_execz .LBB364_3
; %bb.2:
	s_load_b64 s[6:7], s[0:1], 0x50
	s_bcnt1_i32_b32 s4, s4
	s_delay_alu instid0(SALU_CYCLE_1)
	v_dual_mov_b32 v2, 0 :: v_dual_mov_b32 v3, s4
	s_wait_xcnt 0x0
	s_wait_kmcnt 0x0
	global_atomic_add_u32 v2, v2, v3, s[6:7] th:TH_ATOMIC_RETURN scope:SCOPE_DEV
.LBB364_3:
	s_wait_xcnt 0x0
	s_or_b32 exec_lo, exec_lo, s3
	s_wait_loadcnt 0x0
	v_readfirstlane_b32 s3, v2
	s_delay_alu instid0(VALU_DEP_1)
	v_dual_mov_b32 v2, 0 :: v_dual_add_nc_u32 v1, s3, v1
	ds_store_b32 v2, v1 offset:32896
.LBB364_4:
	s_or_b32 exec_lo, exec_lo, s2
	v_mov_b32_e32 v7, 0
	s_clause 0x2
	s_load_b128 s[12:15], s[0:1], 0x0
	s_load_b32 s2, s[0:1], 0x20
	s_load_b96 s[16:18], s[0:1], 0x44
	s_wait_dscnt 0x0
	s_barrier_signal -1
	s_barrier_wait -1
	ds_load_b32 v1, v7 offset:32896
	v_mul_u32_u24_e32 v6, 22, v0
	s_mov_b32 s3, -1
	s_wait_dscnt 0x0
	s_barrier_signal -1
	s_barrier_wait -1
	v_readfirstlane_b32 s19, v1
	s_wait_kmcnt 0x0
	v_cmp_le_u32_e32 vcc_lo, s18, v1
	s_mul_i32 s22, s19, 0x5800
	s_cbranch_vccz .LBB364_116
; %bb.5:
	s_mov_b32 s23, 0
	s_mulk_i32 s18, 0xa800
	s_add_nc_u64 s[4:5], s[12:13], s[22:23]
	s_add_co_i32 s18, s18, s2
	v_add_nc_u64_e32 v[2:3], s[4:5], v[6:7]
	v_cmp_gt_u32_e32 vcc_lo, s18, v6
	v_dual_mov_b32 v1, 0x80 :: v_dual_mov_b32 v24, 0x80
	v_dual_mov_b32 v25, 0x80 :: v_dual_mov_b32 v22, 0x80
	;; [unrolled: 1-line block ×10, first 2 shown]
	v_mov_b32_e32 v7, 0x80
	v_mov_b32_e32 v5, 0x80
	s_and_saveexec_b32 s2, vcc_lo
	s_cbranch_execz .LBB364_7
; %bb.6:
	global_load_u8 v25, v[2:3], off
	v_dual_mov_b32 v1, 0x80 :: v_dual_mov_b32 v24, 0x80
	v_dual_mov_b32 v23, 0x80 :: v_dual_mov_b32 v22, 0x80
	;; [unrolled: 1-line block ×10, first 2 shown]
	v_mov_b32_e32 v5, 0x80
.LBB364_7:
	s_wait_xcnt 0x0
	s_or_b32 exec_lo, exec_lo, s2
	v_or_b32_e32 v26, 1, v6
	s_mov_b32 s2, exec_lo
	s_delay_alu instid0(VALU_DEP_1)
	v_cmpx_gt_u32_e64 s18, v26
	s_cbranch_execz .LBB364_9
; %bb.8:
	global_load_u8 v24, v[2:3], off offset:1
.LBB364_9:
	s_wait_xcnt 0x0
	s_or_b32 exec_lo, exec_lo, s2
	v_add_nc_u32_e32 v26, 2, v6
	s_mov_b32 s2, exec_lo
	s_delay_alu instid0(VALU_DEP_1)
	v_cmpx_gt_u32_e64 s18, v26
	s_cbranch_execz .LBB364_11
; %bb.10:
	global_load_u8 v23, v[2:3], off offset:2
.LBB364_11:
	s_wait_xcnt 0x0
	s_or_b32 exec_lo, exec_lo, s2
	v_add_nc_u32_e32 v26, 3, v6
	s_mov_b32 s2, exec_lo
	s_delay_alu instid0(VALU_DEP_1)
	v_cmpx_gt_u32_e64 s18, v26
	s_cbranch_execz .LBB364_13
; %bb.12:
	global_load_u8 v22, v[2:3], off offset:3
.LBB364_13:
	s_wait_xcnt 0x0
	s_or_b32 exec_lo, exec_lo, s2
	v_add_nc_u32_e32 v26, 4, v6
	s_mov_b32 s2, exec_lo
	s_delay_alu instid0(VALU_DEP_1)
	v_cmpx_gt_u32_e64 s18, v26
	s_cbranch_execz .LBB364_15
; %bb.14:
	global_load_u8 v21, v[2:3], off offset:4
.LBB364_15:
	s_wait_xcnt 0x0
	s_or_b32 exec_lo, exec_lo, s2
	v_add_nc_u32_e32 v26, 5, v6
	s_mov_b32 s2, exec_lo
	s_delay_alu instid0(VALU_DEP_1)
	v_cmpx_gt_u32_e64 s18, v26
	s_cbranch_execz .LBB364_17
; %bb.16:
	global_load_u8 v20, v[2:3], off offset:5
.LBB364_17:
	s_wait_xcnt 0x0
	s_or_b32 exec_lo, exec_lo, s2
	v_add_nc_u32_e32 v26, 6, v6
	s_mov_b32 s2, exec_lo
	s_delay_alu instid0(VALU_DEP_1)
	v_cmpx_gt_u32_e64 s18, v26
	s_cbranch_execz .LBB364_19
; %bb.18:
	global_load_u8 v19, v[2:3], off offset:6
.LBB364_19:
	s_wait_xcnt 0x0
	s_or_b32 exec_lo, exec_lo, s2
	v_add_nc_u32_e32 v26, 7, v6
	s_mov_b32 s2, exec_lo
	s_delay_alu instid0(VALU_DEP_1)
	v_cmpx_gt_u32_e64 s18, v26
	s_cbranch_execz .LBB364_21
; %bb.20:
	global_load_u8 v18, v[2:3], off offset:7
.LBB364_21:
	s_wait_xcnt 0x0
	s_or_b32 exec_lo, exec_lo, s2
	v_add_nc_u32_e32 v26, 8, v6
	s_mov_b32 s2, exec_lo
	s_delay_alu instid0(VALU_DEP_1)
	v_cmpx_gt_u32_e64 s18, v26
	s_cbranch_execz .LBB364_23
; %bb.22:
	global_load_u8 v17, v[2:3], off offset:8
.LBB364_23:
	s_wait_xcnt 0x0
	s_or_b32 exec_lo, exec_lo, s2
	v_add_nc_u32_e32 v26, 9, v6
	s_mov_b32 s2, exec_lo
	s_delay_alu instid0(VALU_DEP_1)
	v_cmpx_gt_u32_e64 s18, v26
	s_cbranch_execz .LBB364_25
; %bb.24:
	global_load_u8 v16, v[2:3], off offset:9
.LBB364_25:
	s_wait_xcnt 0x0
	s_or_b32 exec_lo, exec_lo, s2
	v_add_nc_u32_e32 v26, 10, v6
	s_mov_b32 s2, exec_lo
	s_delay_alu instid0(VALU_DEP_1)
	v_cmpx_gt_u32_e64 s18, v26
	s_cbranch_execz .LBB364_27
; %bb.26:
	global_load_u8 v15, v[2:3], off offset:10
.LBB364_27:
	s_wait_xcnt 0x0
	s_or_b32 exec_lo, exec_lo, s2
	v_add_nc_u32_e32 v26, 11, v6
	s_mov_b32 s2, exec_lo
	s_delay_alu instid0(VALU_DEP_1)
	v_cmpx_gt_u32_e64 s18, v26
	s_cbranch_execz .LBB364_29
; %bb.28:
	global_load_u8 v14, v[2:3], off offset:11
.LBB364_29:
	s_wait_xcnt 0x0
	s_or_b32 exec_lo, exec_lo, s2
	v_add_nc_u32_e32 v26, 12, v6
	s_mov_b32 s2, exec_lo
	s_delay_alu instid0(VALU_DEP_1)
	v_cmpx_gt_u32_e64 s18, v26
	s_cbranch_execz .LBB364_31
; %bb.30:
	global_load_u8 v13, v[2:3], off offset:12
.LBB364_31:
	s_wait_xcnt 0x0
	s_or_b32 exec_lo, exec_lo, s2
	v_add_nc_u32_e32 v26, 13, v6
	s_mov_b32 s2, exec_lo
	s_delay_alu instid0(VALU_DEP_1)
	v_cmpx_gt_u32_e64 s18, v26
	s_cbranch_execz .LBB364_33
; %bb.32:
	global_load_u8 v12, v[2:3], off offset:13
.LBB364_33:
	s_wait_xcnt 0x0
	s_or_b32 exec_lo, exec_lo, s2
	v_add_nc_u32_e32 v26, 14, v6
	s_mov_b32 s2, exec_lo
	s_delay_alu instid0(VALU_DEP_1)
	v_cmpx_gt_u32_e64 s18, v26
	s_cbranch_execz .LBB364_35
; %bb.34:
	global_load_u8 v11, v[2:3], off offset:14
.LBB364_35:
	s_wait_xcnt 0x0
	s_or_b32 exec_lo, exec_lo, s2
	v_add_nc_u32_e32 v26, 15, v6
	s_mov_b32 s2, exec_lo
	s_delay_alu instid0(VALU_DEP_1)
	v_cmpx_gt_u32_e64 s18, v26
	s_cbranch_execz .LBB364_37
; %bb.36:
	global_load_u8 v10, v[2:3], off offset:15
.LBB364_37:
	s_wait_xcnt 0x0
	s_or_b32 exec_lo, exec_lo, s2
	v_add_nc_u32_e32 v26, 16, v6
	s_mov_b32 s2, exec_lo
	s_delay_alu instid0(VALU_DEP_1)
	v_cmpx_gt_u32_e64 s18, v26
	s_cbranch_execz .LBB364_39
; %bb.38:
	global_load_u8 v9, v[2:3], off offset:16
.LBB364_39:
	s_wait_xcnt 0x0
	s_or_b32 exec_lo, exec_lo, s2
	v_add_nc_u32_e32 v26, 17, v6
	s_mov_b32 s2, exec_lo
	s_delay_alu instid0(VALU_DEP_1)
	v_cmpx_gt_u32_e64 s18, v26
	s_cbranch_execz .LBB364_41
; %bb.40:
	global_load_u8 v8, v[2:3], off offset:17
.LBB364_41:
	s_wait_xcnt 0x0
	s_or_b32 exec_lo, exec_lo, s2
	v_add_nc_u32_e32 v26, 18, v6
	s_mov_b32 s2, exec_lo
	s_delay_alu instid0(VALU_DEP_1)
	v_cmpx_gt_u32_e64 s18, v26
	s_cbranch_execz .LBB364_43
; %bb.42:
	global_load_u8 v7, v[2:3], off offset:18
.LBB364_43:
	s_wait_xcnt 0x0
	s_or_b32 exec_lo, exec_lo, s2
	v_add_nc_u32_e32 v26, 19, v6
	s_mov_b32 s2, exec_lo
	s_delay_alu instid0(VALU_DEP_1)
	v_cmpx_gt_u32_e64 s18, v26
	s_cbranch_execz .LBB364_45
; %bb.44:
	global_load_u8 v5, v[2:3], off offset:19
.LBB364_45:
	s_wait_xcnt 0x0
	s_or_b32 exec_lo, exec_lo, s2
	v_add_nc_u32_e32 v26, 20, v6
	s_mov_b32 s2, exec_lo
	s_delay_alu instid0(VALU_DEP_1)
	v_cmpx_gt_u32_e64 s18, v26
	s_cbranch_execz .LBB364_47
; %bb.46:
	global_load_u8 v4, v[2:3], off offset:20
.LBB364_47:
	s_wait_xcnt 0x0
	s_or_b32 exec_lo, exec_lo, s2
	v_add_nc_u32_e32 v26, 21, v6
	s_mov_b32 s2, exec_lo
	s_delay_alu instid0(VALU_DEP_1)
	v_cmpx_gt_u32_e64 s18, v26
	s_cbranch_execz .LBB364_49
; %bb.48:
	global_load_u8 v1, v[2:3], off offset:21
.LBB364_49:
	s_wait_xcnt 0x0
	s_or_b32 exec_lo, exec_lo, s2
	s_wait_loadcnt 0x0
	v_xor_b32_e32 v25, 0x7f, v25
	s_lshl_b32 s23, -1, s17
	v_xor_b32_e32 v24, 0x7f, v24
	v_xor_b32_e32 v23, 0x7f, v23
	;; [unrolled: 1-line block ×3, first 2 shown]
	v_and_b32_e32 v2, 0xff, v25
	v_xor_b32_e32 v21, 0x7f, v21
	v_and_b32_e32 v28, 0xff, v24
	v_xor_b32_e32 v20, 0x7f, v20
	v_and_b32_e32 v30, 0xff, v22
	v_dual_lshrrev_b32 v2, s16, v2 :: v_dual_lshlrev_b32 v26, 2, v0
	v_xor_b32_e32 v19, 0x7f, v19
	v_xor_b32_e32 v18, 0x7f, v18
	;; [unrolled: 1-line block ×3, first 2 shown]
	s_delay_alu instid0(VALU_DEP_4)
	v_bitop3_b32 v2, v2, s23, v2 bitop3:0x30
	v_xor_b32_e32 v16, 0x7f, v16
	v_xor_b32_e32 v15, 0x7f, v15
	;; [unrolled: 1-line block ×4, first 2 shown]
	v_dual_lshlrev_b32 v3, 10, v2 :: v_dual_lshrrev_b32 v2, 2, v2
	v_mov_b32_e32 v27, 0
	v_xor_b32_e32 v12, 0x7f, v12
	v_xor_b32_e32 v11, 0x7f, v11
	s_delay_alu instid0(VALU_DEP_4)
	v_and_or_b32 v3, 0x1c00, v3, v0
	v_and_b32_e32 v2, 62, v2
	ds_store_2addr_stride64_b32 v26, v27, v27 offset1:16
	ds_store_2addr_stride64_b32 v26, v27, v27 offset0:32 offset1:48
	ds_store_2addr_stride64_b32 v26, v27, v27 offset0:64 offset1:80
	;; [unrolled: 1-line block ×3, first 2 shown]
	v_xor_b32_e32 v10, 0x7f, v10
	v_xor_b32_e32 v9, 0x7f, v9
	v_lshl_add_u32 v2, v3, 2, v2
	v_lshrrev_b32_e32 v3, s16, v28
	v_and_b32_e32 v28, 0xff, v23
	v_xor_b32_e32 v8, 0x7f, v8
	v_xor_b32_e32 v7, 0x7f, v7
	ds_load_u16 v26, v2
	s_mov_b32 s7, exec_lo
	v_lshrrev_b32_e32 v28, s16, v28
	v_bitop3_b32 v3, v3, s23, v3 bitop3:0x30
	s_delay_alu instid0(VALU_DEP_2) | instskip(NEXT) | instid1(VALU_DEP_2)
	v_bitop3_b32 v28, v28, s23, v28 bitop3:0x30
	v_dual_lshlrev_b32 v27, 10, v3 :: v_dual_lshrrev_b32 v3, 2, v3
	s_delay_alu instid0(VALU_DEP_1) | instskip(NEXT) | instid1(VALU_DEP_2)
	v_and_or_b32 v27, 0x1c00, v27, v0
	v_and_b32_e32 v3, 62, v3
	s_wait_dscnt 0x0
	v_add_nc_u16 v29, v26, 1
	ds_store_b16 v2, v29
	v_lshlrev_b32_e32 v29, 10, v28
	v_lshl_add_u32 v3, v27, 2, v3
	v_lshrrev_b32_e32 v28, 2, v28
	s_delay_alu instid0(VALU_DEP_3) | instskip(SKIP_2) | instid1(VALU_DEP_1)
	v_and_or_b32 v29, 0x1c00, v29, v0
	ds_load_u16 v27, v3
	v_and_b32_e32 v28, 62, v28
	v_lshl_add_u32 v34, v29, 2, v28
	v_lshrrev_b32_e32 v29, s16, v30
	s_delay_alu instid0(VALU_DEP_1) | instskip(NEXT) | instid1(VALU_DEP_1)
	v_bitop3_b32 v29, v29, s23, v29 bitop3:0x30
	v_lshlrev_b32_e32 v30, 10, v29
	s_wait_dscnt 0x0
	v_add_nc_u16 v31, v27, 1
	s_delay_alu instid0(VALU_DEP_2) | instskip(SKIP_4) | instid1(VALU_DEP_1)
	v_and_or_b32 v30, 0x1c00, v30, v0
	ds_store_b16 v3, v31
	ds_load_u16 v28, v34
	v_and_b32_e32 v31, 0xff, v21
	v_lshrrev_b32_e32 v29, 2, v29
	v_and_b32_e32 v29, 62, v29
	s_delay_alu instid0(VALU_DEP_1) | instskip(NEXT) | instid1(VALU_DEP_4)
	v_lshl_add_u32 v36, v30, 2, v29
	v_lshrrev_b32_e32 v30, s16, v31
	s_delay_alu instid0(VALU_DEP_1) | instskip(SKIP_2) | instid1(VALU_DEP_2)
	v_bitop3_b32 v30, v30, s23, v30 bitop3:0x30
	s_wait_dscnt 0x0
	v_add_nc_u16 v32, v28, 1
	v_lshlrev_b32_e32 v31, 10, v30
	ds_store_b16 v34, v32
	ds_load_u16 v29, v36
	v_and_b32_e32 v32, 0xff, v20
	v_lshrrev_b32_e32 v30, 2, v30
	v_and_or_b32 v31, 0x1c00, v31, v0
	s_delay_alu instid0(VALU_DEP_2) | instskip(NEXT) | instid1(VALU_DEP_1)
	v_and_b32_e32 v30, 62, v30
	v_lshl_add_u32 v38, v31, 2, v30
	v_lshrrev_b32_e32 v31, s16, v32
	s_delay_alu instid0(VALU_DEP_1) | instskip(SKIP_2) | instid1(VALU_DEP_2)
	v_bitop3_b32 v31, v31, s23, v31 bitop3:0x30
	s_wait_dscnt 0x0
	v_add_nc_u16 v33, v29, 1
	v_lshlrev_b32_e32 v32, 10, v31
	ds_store_b16 v36, v33
	ds_load_u16 v30, v38
	v_and_b32_e32 v33, 0xff, v19
	v_lshrrev_b32_e32 v31, 2, v31
	v_and_or_b32 v32, 0x1c00, v32, v0
	s_delay_alu instid0(VALU_DEP_2) | instskip(NEXT) | instid1(VALU_DEP_1)
	v_and_b32_e32 v31, 62, v31
	;; [unrolled: 14-line block ×3, first 2 shown]
	v_lshl_add_u32 v42, v33, 2, v32
	v_lshrrev_b32_e32 v33, s16, v35
	s_delay_alu instid0(VALU_DEP_1) | instskip(SKIP_2) | instid1(VALU_DEP_2)
	v_bitop3_b32 v33, v33, s23, v33 bitop3:0x30
	s_wait_dscnt 0x0
	v_add_nc_u16 v37, v31, 1
	v_dual_lshlrev_b32 v35, 10, v33 :: v_dual_lshrrev_b32 v33, 2, v33
	ds_store_b16 v40, v37
	ds_load_u16 v32, v42
	v_and_b32_e32 v37, 0xff, v17
	v_and_or_b32 v35, 0x1c00, v35, v0
	v_and_b32_e32 v33, 62, v33
	s_delay_alu instid0(VALU_DEP_1)
	v_lshl_add_u32 v45, v35, 2, v33
	s_wait_dscnt 0x0
	v_add_nc_u16 v39, v32, 1
	ds_store_b16 v42, v39
	ds_load_u16 v33, v45
	v_and_b32_e32 v39, 0xff, v16
	v_lshrrev_b32_e32 v35, s16, v37
	s_delay_alu instid0(VALU_DEP_1) | instskip(NEXT) | instid1(VALU_DEP_1)
	v_bitop3_b32 v35, v35, s23, v35 bitop3:0x30
	v_dual_lshlrev_b32 v37, 10, v35 :: v_dual_lshrrev_b32 v35, 2, v35
	s_delay_alu instid0(VALU_DEP_1) | instskip(NEXT) | instid1(VALU_DEP_2)
	v_and_or_b32 v37, 0x1c00, v37, v0
	v_and_b32_e32 v35, 62, v35
	s_wait_dscnt 0x0
	v_add_nc_u16 v41, v33, 1
	s_delay_alu instid0(VALU_DEP_2)
	v_lshl_add_u32 v48, v37, 2, v35
	v_lshrrev_b32_e32 v37, s16, v39
	ds_store_b16 v45, v41
	v_and_b32_e32 v41, 0xff, v15
	ds_load_u16 v35, v48
	v_bitop3_b32 v37, v37, s23, v37 bitop3:0x30
	s_delay_alu instid0(VALU_DEP_1) | instskip(NEXT) | instid1(VALU_DEP_1)
	v_dual_lshlrev_b32 v39, 10, v37 :: v_dual_lshrrev_b32 v37, 2, v37
	v_and_or_b32 v39, 0x1c00, v39, v0
	s_delay_alu instid0(VALU_DEP_2) | instskip(NEXT) | instid1(VALU_DEP_1)
	v_and_b32_e32 v37, 62, v37
	v_lshl_add_u32 v51, v39, 2, v37
	s_wait_dscnt 0x0
	v_add_nc_u16 v43, v35, 1
	ds_store_b16 v48, v43
	ds_load_u16 v37, v51
	v_and_b32_e32 v43, 0xff, v14
	v_lshrrev_b32_e32 v39, s16, v41
	s_delay_alu instid0(VALU_DEP_1) | instskip(NEXT) | instid1(VALU_DEP_1)
	v_bitop3_b32 v39, v39, s23, v39 bitop3:0x30
	v_dual_lshlrev_b32 v41, 10, v39 :: v_dual_lshrrev_b32 v39, 2, v39
	s_delay_alu instid0(VALU_DEP_1) | instskip(NEXT) | instid1(VALU_DEP_2)
	v_and_or_b32 v41, 0x1c00, v41, v0
	v_and_b32_e32 v39, 62, v39
	s_wait_dscnt 0x0
	v_add_nc_u16 v44, v37, 1
	s_delay_alu instid0(VALU_DEP_2)
	v_lshl_add_u32 v53, v41, 2, v39
	v_lshrrev_b32_e32 v41, s16, v43
	ds_store_b16 v51, v44
	v_and_b32_e32 v44, 0xff, v13
	ds_load_u16 v39, v53
	v_bitop3_b32 v41, v41, s23, v41 bitop3:0x30
	s_delay_alu instid0(VALU_DEP_1) | instskip(NEXT) | instid1(VALU_DEP_1)
	v_dual_lshlrev_b32 v43, 10, v41 :: v_dual_lshrrev_b32 v41, 2, v41
	v_and_or_b32 v43, 0x1c00, v43, v0
	s_delay_alu instid0(VALU_DEP_2) | instskip(NEXT) | instid1(VALU_DEP_1)
	v_and_b32_e32 v41, 62, v41
	v_lshl_add_u32 v55, v43, 2, v41
	v_lshrrev_b32_e32 v43, s16, v44
	s_wait_dscnt 0x0
	v_add_nc_u16 v46, v39, 1
	s_delay_alu instid0(VALU_DEP_2) | instskip(SKIP_4) | instid1(VALU_DEP_1)
	v_bitop3_b32 v43, v43, s23, v43 bitop3:0x30
	ds_store_b16 v53, v46
	ds_load_u16 v41, v55
	v_and_b32_e32 v46, 0xff, v12
	v_dual_lshlrev_b32 v44, 10, v43 :: v_dual_lshrrev_b32 v43, 2, v43
	v_and_or_b32 v44, 0x1c00, v44, v0
	s_delay_alu instid0(VALU_DEP_2) | instskip(NEXT) | instid1(VALU_DEP_1)
	v_and_b32_e32 v43, 62, v43
	v_lshl_add_u32 v57, v44, 2, v43
	v_lshrrev_b32_e32 v44, s16, v46
	s_delay_alu instid0(VALU_DEP_1) | instskip(SKIP_2) | instid1(VALU_DEP_2)
	v_bitop3_b32 v44, v44, s23, v44 bitop3:0x30
	s_wait_dscnt 0x0
	v_add_nc_u16 v47, v41, 1
	v_lshlrev_b32_e32 v46, 10, v44
	ds_store_b16 v55, v47
	ds_load_u16 v43, v57
	v_lshrrev_b32_e32 v44, 2, v44
	v_and_b32_e32 v47, 0xff, v11
	v_and_or_b32 v46, 0x1c00, v46, v0
	s_delay_alu instid0(VALU_DEP_3) | instskip(NEXT) | instid1(VALU_DEP_1)
	v_and_b32_e32 v44, 62, v44
	v_lshl_add_u32 v58, v46, 2, v44
	s_delay_alu instid0(VALU_DEP_4) | instskip(NEXT) | instid1(VALU_DEP_1)
	v_lshrrev_b32_e32 v44, s16, v47
	v_bitop3_b32 v44, v44, s23, v44 bitop3:0x30
	s_wait_dscnt 0x0
	v_add_nc_u16 v49, v43, 1
	s_delay_alu instid0(VALU_DEP_2)
	v_dual_lshlrev_b32 v47, 10, v44 :: v_dual_lshrrev_b32 v44, 2, v44
	ds_store_b16 v57, v49
	ds_load_u16 v46, v58
	v_and_or_b32 v47, 0x1c00, v47, v0
	v_and_b32_e32 v44, 62, v44
	v_and_b32_e32 v49, 0xff, v10
	s_delay_alu instid0(VALU_DEP_2) | instskip(NEXT) | instid1(VALU_DEP_2)
	v_lshl_add_u32 v60, v47, 2, v44
	v_lshrrev_b32_e32 v44, s16, v49
	s_delay_alu instid0(VALU_DEP_1) | instskip(NEXT) | instid1(VALU_DEP_1)
	v_bitop3_b32 v44, v44, s23, v44 bitop3:0x30
	v_dual_lshlrev_b32 v47, 10, v44 :: v_dual_lshrrev_b32 v44, 2, v44
	s_wait_dscnt 0x0
	v_add_nc_u16 v50, v46, 1
	s_delay_alu instid0(VALU_DEP_2) | instskip(NEXT) | instid1(VALU_DEP_3)
	v_and_or_b32 v47, 0x1c00, v47, v0
	v_and_b32_e32 v44, 62, v44
	ds_store_b16 v58, v50
	ds_load_u16 v49, v60
	v_and_b32_e32 v50, 0xff, v9
	v_lshl_add_u32 v62, v47, 2, v44
	s_delay_alu instid0(VALU_DEP_2) | instskip(SKIP_1) | instid1(VALU_DEP_2)
	v_lshrrev_b32_e32 v44, s16, v50
	v_and_b32_e32 v50, 0xff, v8
	v_bitop3_b32 v44, v44, s23, v44 bitop3:0x30
	s_delay_alu instid0(VALU_DEP_1) | instskip(SKIP_2) | instid1(VALU_DEP_2)
	v_dual_lshlrev_b32 v47, 10, v44 :: v_dual_lshrrev_b32 v44, 2, v44
	s_wait_dscnt 0x0
	v_add_nc_u16 v52, v49, 1
	v_and_or_b32 v47, 0x1c00, v47, v0
	s_delay_alu instid0(VALU_DEP_3)
	v_and_b32_e32 v44, 62, v44
	ds_store_b16 v60, v52
	ds_load_u16 v52, v62
	v_lshl_add_u32 v63, v47, 2, v44
	v_lshrrev_b32_e32 v44, s16, v50
	v_and_b32_e32 v50, 0xff, v7
	s_delay_alu instid0(VALU_DEP_2) | instskip(NEXT) | instid1(VALU_DEP_1)
	v_bitop3_b32 v44, v44, s23, v44 bitop3:0x30
	v_dual_lshlrev_b32 v47, 10, v44 :: v_dual_lshrrev_b32 v44, 2, v44
	s_delay_alu instid0(VALU_DEP_1) | instskip(NEXT) | instid1(VALU_DEP_2)
	v_and_or_b32 v47, 0x1c00, v47, v0
	v_and_b32_e32 v44, 62, v44
	s_wait_dscnt 0x0
	v_add_nc_u16 v54, v52, 1
	s_delay_alu instid0(VALU_DEP_2) | instskip(SKIP_4) | instid1(VALU_DEP_1)
	v_lshl_add_u32 v64, v47, 2, v44
	v_lshrrev_b32_e32 v44, s16, v50
	ds_store_b16 v62, v54
	ds_load_u16 v54, v63
	v_bitop3_b32 v44, v44, s23, v44 bitop3:0x30
	v_dual_lshlrev_b32 v47, 10, v44 :: v_dual_lshrrev_b32 v50, 2, v44
	v_xor_b32_e32 v44, 0x7f, v5
	s_delay_alu instid0(VALU_DEP_2) | instskip(NEXT) | instid1(VALU_DEP_3)
	v_and_or_b32 v5, 0x1c00, v47, v0
	v_and_b32_e32 v47, 62, v50
	s_delay_alu instid0(VALU_DEP_3) | instskip(NEXT) | instid1(VALU_DEP_2)
	v_and_b32_e32 v50, 0xff, v44
	v_lshl_add_u32 v65, v5, 2, v47
	s_wait_dscnt 0x0
	v_add_nc_u16 v56, v54, 1
	s_delay_alu instid0(VALU_DEP_3) | instskip(SKIP_3) | instid1(VALU_DEP_1)
	v_lshrrev_b32_e32 v47, s16, v50
	ds_store_b16 v63, v56
	ds_load_u16 v56, v64
	v_bitop3_b32 v47, v47, s23, v47 bitop3:0x30
	v_lshlrev_b32_e32 v50, 10, v47
	s_wait_dscnt 0x0
	v_add_nc_u16 v59, v56, 1
	ds_store_b16 v64, v59
	ds_load_u16 v5, v65
	v_lshrrev_b32_e32 v59, 2, v47
	v_xor_b32_e32 v47, 0x7f, v4
	v_and_or_b32 v4, 0x1c00, v50, v0
	s_delay_alu instid0(VALU_DEP_3) | instskip(NEXT) | instid1(VALU_DEP_3)
	v_and_b32_e32 v50, 62, v59
	v_and_b32_e32 v59, 0xff, v47
	s_delay_alu instid0(VALU_DEP_2) | instskip(NEXT) | instid1(VALU_DEP_2)
	v_lshl_add_u32 v4, v4, 2, v50
	v_lshrrev_b32_e32 v50, s16, v59
	s_delay_alu instid0(VALU_DEP_1) | instskip(SKIP_2) | instid1(VALU_DEP_2)
	v_bitop3_b32 v50, v50, s23, v50 bitop3:0x30
	s_wait_dscnt 0x0
	v_add_nc_u16 v61, v5, 1
	v_lshrrev_b32_e32 v66, 2, v50
	ds_store_b16 v65, v61
	ds_load_u16 v59, v4
	v_lshlrev_b32_e32 v61, 10, v50
	v_xor_b32_e32 v50, 0x7f, v1
	s_delay_alu instid0(VALU_DEP_2) | instskip(SKIP_1) | instid1(VALU_DEP_3)
	v_and_or_b32 v1, 0x1c00, v61, v0
	v_and_b32_e32 v61, 62, v66
	v_and_b32_e32 v67, 0xff, v50
	s_delay_alu instid0(VALU_DEP_2) | instskip(NEXT) | instid1(VALU_DEP_2)
	v_lshl_add_u32 v66, v1, 2, v61
	v_lshrrev_b32_e32 v61, s16, v67
	s_delay_alu instid0(VALU_DEP_1) | instskip(SKIP_2) | instid1(VALU_DEP_2)
	v_bitop3_b32 v61, v61, s23, v61 bitop3:0x30
	s_wait_dscnt 0x0
	v_add_nc_u16 v68, v59, 1
	v_dual_lshlrev_b32 v67, 10, v61 :: v_dual_lshrrev_b32 v61, 2, v61
	ds_store_b16 v4, v68
	ds_load_u16 v1, v66
	v_and_or_b32 v67, 0x1c00, v67, v0
	v_and_b32_e32 v61, 62, v61
	s_delay_alu instid0(VALU_DEP_1)
	v_lshl_add_u32 v67, v67, 2, v61
	s_wait_dscnt 0x0
	v_add_nc_u16 v68, v1, 1
	ds_store_b16 v66, v68
	ds_load_u16 v61, v67
	v_lshlrev_b32_e32 v68, 5, v0
	s_wait_dscnt 0x0
	v_add_nc_u16 v69, v61, 1
	ds_store_b16 v67, v69
	s_wait_dscnt 0x0
	s_barrier_signal -1
	s_barrier_wait -1
	ds_load_2addr_b64 v[70:73], v68 offset1:1
	ds_load_2addr_b64 v[74:77], v68 offset0:2 offset1:3
	s_wait_dscnt 0x1
	v_add_nc_u32_e32 v69, v71, v70
	s_delay_alu instid0(VALU_DEP_1) | instskip(SKIP_2) | instid1(VALU_DEP_2)
	v_add3_u32 v69, v69, v72, v73
	v_and_b32_e32 v73, 31, v0
	s_wait_dscnt 0x0
	v_add3_u32 v70, v69, v74, v75
	v_mbcnt_lo_u32_b32 v69, -1, 0
	s_delay_alu instid0(VALU_DEP_2) | instskip(NEXT) | instid1(VALU_DEP_2)
	v_add3_u32 v70, v70, v76, v77
	v_and_b32_e32 v71, 15, v69
	s_delay_alu instid0(VALU_DEP_2) | instskip(NEXT) | instid1(VALU_DEP_2)
	v_mov_b32_dpp v72, v70 row_shr:1 row_mask:0xf bank_mask:0xf
	v_cmp_eq_u32_e32 vcc_lo, 0, v71
	s_delay_alu instid0(VALU_DEP_2) | instskip(NEXT) | instid1(VALU_DEP_1)
	v_cndmask_b32_e64 v72, v72, 0, vcc_lo
	v_add_nc_u32_e32 v70, v72, v70
	v_cmp_lt_u32_e64 s2, 1, v71
	v_cmp_lt_u32_e64 s3, 3, v71
	;; [unrolled: 1-line block ×3, first 2 shown]
	s_delay_alu instid0(VALU_DEP_4) | instskip(NEXT) | instid1(VALU_DEP_1)
	v_mov_b32_dpp v72, v70 row_shr:2 row_mask:0xf bank_mask:0xf
	v_cndmask_b32_e64 v72, 0, v72, s2
	s_delay_alu instid0(VALU_DEP_1) | instskip(NEXT) | instid1(VALU_DEP_1)
	v_add_nc_u32_e32 v70, v70, v72
	v_mov_b32_dpp v72, v70 row_shr:4 row_mask:0xf bank_mask:0xf
	s_delay_alu instid0(VALU_DEP_1) | instskip(NEXT) | instid1(VALU_DEP_1)
	v_cndmask_b32_e64 v72, 0, v72, s3
	v_add_nc_u32_e32 v70, v70, v72
	s_delay_alu instid0(VALU_DEP_1) | instskip(NEXT) | instid1(VALU_DEP_1)
	v_mov_b32_dpp v72, v70 row_shr:8 row_mask:0xf bank_mask:0xf
	v_cndmask_b32_e64 v71, 0, v72, s4
	v_bfe_i32 v72, v69, 4, 1
	s_delay_alu instid0(VALU_DEP_2) | instskip(SKIP_4) | instid1(VALU_DEP_2)
	v_add_nc_u32_e32 v70, v70, v71
	ds_swizzle_b32 v71, v70 offset:swizzle(BROADCAST,32,15)
	s_wait_dscnt 0x0
	v_and_b32_e32 v71, v72, v71
	v_dual_lshrrev_b32 v72, 5, v0 :: v_dual_bitop2_b32 v74, 16, v69 bitop3:0x40
	v_add_nc_u32_e32 v70, v70, v71
	s_delay_alu instid0(VALU_DEP_2) | instskip(NEXT) | instid1(VALU_DEP_3)
	v_cmp_eq_u32_e64 s5, 0, v74
	v_lshlrev_b32_e32 v71, 2, v72
	v_cmpx_eq_u32_e32 31, v73
; %bb.50:
	ds_store_b32 v71, v70 offset:32768
; %bb.51:
	s_or_b32 exec_lo, exec_lo, s7
	v_cmp_lt_u32_e64 s6, 31, v0
	s_mov_b32 s24, exec_lo
	s_wait_dscnt 0x0
	s_barrier_signal -1
	s_barrier_wait -1
	v_cmpx_gt_u32_e32 32, v0
	s_cbranch_execz .LBB364_53
; %bb.52:
	v_mad_i32_i24 v72, 0xffffffe4, v0, v68
	ds_load_b32 v73, v72 offset:32768
	s_wait_dscnt 0x0
	v_mov_b32_dpp v74, v73 row_shr:1 row_mask:0xf bank_mask:0xf
	s_delay_alu instid0(VALU_DEP_1) | instskip(NEXT) | instid1(VALU_DEP_1)
	v_cndmask_b32_e64 v74, v74, 0, vcc_lo
	v_add_nc_u32_e32 v73, v74, v73
	s_delay_alu instid0(VALU_DEP_1) | instskip(NEXT) | instid1(VALU_DEP_1)
	v_mov_b32_dpp v74, v73 row_shr:2 row_mask:0xf bank_mask:0xf
	v_cndmask_b32_e64 v74, 0, v74, s2
	s_delay_alu instid0(VALU_DEP_1) | instskip(NEXT) | instid1(VALU_DEP_1)
	v_add_nc_u32_e32 v73, v73, v74
	v_mov_b32_dpp v74, v73 row_shr:4 row_mask:0xf bank_mask:0xf
	s_delay_alu instid0(VALU_DEP_1) | instskip(NEXT) | instid1(VALU_DEP_1)
	v_cndmask_b32_e64 v74, 0, v74, s3
	v_add_nc_u32_e32 v73, v73, v74
	s_delay_alu instid0(VALU_DEP_1) | instskip(NEXT) | instid1(VALU_DEP_1)
	v_mov_b32_dpp v74, v73 row_shr:8 row_mask:0xf bank_mask:0xf
	v_cndmask_b32_e64 v74, 0, v74, s4
	s_delay_alu instid0(VALU_DEP_1) | instskip(SKIP_3) | instid1(VALU_DEP_1)
	v_add_nc_u32_e32 v73, v73, v74
	ds_swizzle_b32 v74, v73 offset:swizzle(BROADCAST,32,15)
	s_wait_dscnt 0x0
	v_cndmask_b32_e64 v74, v74, 0, s5
	v_add_nc_u32_e32 v73, v73, v74
	ds_store_b32 v72, v73 offset:32768
.LBB364_53:
	s_or_b32 exec_lo, exec_lo, s24
	v_dual_mov_b32 v73, 0 :: v_dual_mov_b32 v72, 0
	s_wait_dscnt 0x0
	s_barrier_signal -1
	s_barrier_wait -1
	s_and_saveexec_b32 s2, s6
; %bb.54:
	ds_load_b32 v72, v71 offset:32764
; %bb.55:
	s_or_b32 exec_lo, exec_lo, s2
	v_sub_co_u32 v71, vcc_lo, v69, 1
	s_wait_dscnt 0x0
	v_add_nc_u32_e32 v70, v72, v70
	s_delay_alu instid0(VALU_DEP_2) | instskip(NEXT) | instid1(VALU_DEP_1)
	v_cmp_gt_i32_e64 s2, 0, v71
	v_cndmask_b32_e64 v69, v71, v69, s2
	v_cmp_gt_u32_e64 s2, 16, v0
	s_delay_alu instid0(VALU_DEP_2)
	v_lshlrev_b32_e32 v69, 2, v69
	ds_bpermute_b32 v69, v69, v70
	ds_load_b32 v70, v73 offset:32892
	ds_load_2addr_b64 v[74:77], v68 offset1:1
	ds_load_b32 v78, v68 offset:24
	s_wait_dscnt 0x3
	v_cndmask_b32_e32 v69, v69, v72, vcc_lo
	ds_load_b64 v[72:73], v68 offset:16
	v_cmp_lt_u32_e32 vcc_lo, 15, v0
	s_wait_dscnt 0x3
	v_lshl_add_u32 v70, v70, 16, v69
	s_wait_dscnt 0x2
	s_delay_alu instid0(VALU_DEP_1) | instskip(NEXT) | instid1(VALU_DEP_1)
	v_add_nc_u32_e32 v71, v70, v74
	v_add_nc_u32_e32 v74, v75, v71
	s_delay_alu instid0(VALU_DEP_1) | instskip(NEXT) | instid1(VALU_DEP_1)
	v_add_nc_u32_e32 v75, v76, v74
	v_add_nc_u32_e32 v76, v77, v75
	s_wait_dscnt 0x0
	s_delay_alu instid0(VALU_DEP_1) | instskip(NEXT) | instid1(VALU_DEP_1)
	v_add_nc_u32_e32 v77, v72, v76
	v_add_nc_u32_e32 v72, v73, v77
	s_delay_alu instid0(VALU_DEP_1)
	v_add_nc_u32_e32 v73, v78, v72
	ds_store_2addr_b64 v68, v[70:71], v[74:75] offset1:1
	ds_store_2addr_b64 v68, v[76:77], v[72:73] offset0:2 offset1:3
	s_wait_dscnt 0x0
	s_barrier_signal -1
	s_barrier_wait -1
	ds_load_u16 v68, v2
	ds_load_u16 v69, v3
	;; [unrolled: 1-line block ×22, first 2 shown]
	v_mov_b64_e32 v[2:3], 0
                                        ; implicit-def: $vgpr4
	s_and_saveexec_b32 s4, s2
	s_cbranch_execz .LBB364_59
; %bb.56:
	v_dual_lshlrev_b32 v2, 12, v0 :: v_dual_lshrrev_b32 v3, 2, v0
	v_add_nc_u32_e32 v4, 1, v0
	s_mov_b32 s5, exec_lo
	s_delay_alu instid0(VALU_DEP_2)
	v_bitop3_b32 v2, v2, 0x70fe, v3 bitop3:0xc8
	v_mov_b32_e32 v3, 0x5800
	ds_load_u16 v2, v2
	v_cmpx_ne_u32_e32 16, v4
; %bb.57:
	v_dual_lshlrev_b32 v3, 12, v4 :: v_dual_lshrrev_b32 v4, 2, v4
	s_delay_alu instid0(VALU_DEP_1)
	v_bitop3_b32 v3, v3, 0x71fe, v4 bitop3:0xc8
	ds_load_u16 v3, v3
; %bb.58:
	s_or_b32 exec_lo, exec_lo, s5
	s_wait_dscnt 0x0
	v_and_b32_e32 v2, 0xffff, v2
	s_mov_b32 s3, 0
	s_delay_alu instid0(VALU_DEP_1) | instid1(SALU_CYCLE_1)
	v_dual_mov_b32 v3, s3 :: v_dual_sub_nc_u32 v4, v3, v2
.LBB364_59:
	s_or_b32 exec_lo, exec_lo, s4
	s_wait_dscnt 0x15
	v_and_b32_e32 v68, 0xffff, v68
	v_and_b32_e32 v26, 0xffff, v26
	s_wait_dscnt 0x14
	v_and_b32_e32 v69, 0xffff, v69
	v_and_b32_e32 v27, 0xffff, v27
	;; [unrolled: 3-line block ×4, first 2 shown]
	v_dual_add_nc_u32 v26, v68, v26 :: v_dual_add_nc_u32 v27, v69, v27
	s_wait_dscnt 0x11
	v_and_b32_e32 v38, 0xffff, v38
	v_and_b32_e32 v30, 0xffff, v30
	s_wait_dscnt 0x10
	v_and_b32_e32 v40, 0xffff, v40
	v_and_b32_e32 v31, 0xffff, v31
	v_add_nc_u32_e32 v28, v34, v28
	s_wait_dscnt 0xf
	v_and_b32_e32 v42, 0xffff, v42
	v_and_b32_e32 v32, 0xffff, v32
	s_wait_dscnt 0xe
	v_and_b32_e32 v45, 0xffff, v45
	v_and_b32_e32 v33, 0xffff, v33
	s_wait_dscnt 0xd
	v_and_b32_e32 v48, 0xffff, v48
	v_and_b32_e32 v35, 0xffff, v35
	s_wait_dscnt 0x0
	s_barrier_signal -1
	s_barrier_wait -1
	ds_store_b8 v26, v25 offset:128
	ds_store_b8 v27, v24 offset:128
	;; [unrolled: 1-line block ×3, first 2 shown]
	v_add_nc_u32_e32 v23, v36, v29
	v_and_b32_e32 v51, 0xffff, v51
	v_and_b32_e32 v37, 0xffff, v37
	v_dual_add_nc_u32 v24, v38, v30 :: v_dual_add_nc_u32 v25, v40, v31
	v_and_b32_e32 v53, 0xffff, v53
	v_and_b32_e32 v39, 0xffff, v39
	;; [unrolled: 1-line block ×4, first 2 shown]
	v_dual_add_nc_u32 v26, v42, v32 :: v_dual_add_nc_u32 v27, v45, v33
	v_and_b32_e32 v57, 0xffff, v57
	v_and_b32_e32 v43, 0xffff, v43
	;; [unrolled: 1-line block ×4, first 2 shown]
	ds_store_b8 v23, v22 offset:128
	ds_store_b8 v24, v21 offset:128
	;; [unrolled: 1-line block ×5, first 2 shown]
	v_dual_add_nc_u32 v18, v48, v35 :: v_dual_add_nc_u32 v19, v51, v37
	v_and_b32_e32 v60, 0xffff, v60
	v_and_b32_e32 v49, 0xffff, v49
	;; [unrolled: 1-line block ×4, first 2 shown]
	v_dual_add_nc_u32 v20, v53, v39 :: v_dual_add_nc_u32 v21, v55, v41
	v_and_b32_e32 v63, 0xffff, v63
	v_and_b32_e32 v54, 0xffff, v54
	;; [unrolled: 1-line block ×4, first 2 shown]
	v_add_nc_u32_e32 v22, v57, v43
	ds_store_b8 v18, v17 offset:128
	ds_store_b8 v19, v16 offset:128
	;; [unrolled: 1-line block ×5, first 2 shown]
	v_dual_add_nc_u32 v13, v58, v46 :: v_dual_add_nc_u32 v14, v60, v49
	v_dual_add_nc_u32 v15, v62, v52 :: v_dual_add_nc_u32 v16, v63, v54
	v_add_nc_u32_e32 v17, v64, v56
	v_and_b32_e32 v65, 0xffff, v65
	v_and_b32_e32 v66, 0xffff, v66
	;; [unrolled: 1-line block ×4, first 2 shown]
	ds_store_b8 v13, v12 offset:128
	ds_store_b8 v14, v11 offset:128
	ds_store_b8 v15, v10 offset:128
	ds_store_b8 v16, v9 offset:128
	ds_store_b8 v17, v8 offset:128
	v_mov_b32_e32 v9, 0
	v_and_b32_e32 v70, 0xffff, v70
	v_and_b32_e32 v59, 0xffff, v59
	;; [unrolled: 1-line block ×4, first 2 shown]
	v_add_nc_u32_e32 v8, v65, v5
	v_dual_add_nc_u32 v11, v66, v1 :: v_dual_mov_b32 v1, v9
	v_dual_lshlrev_b32 v5, 3, v0 :: v_dual_add_nc_u32 v10, v70, v59
	s_delay_alu instid0(VALU_DEP_4)
	v_add_nc_u32_e32 v12, v67, v61
	s_not_b32 s3, s23
	ds_store_b8 v8, v7 offset:128
	ds_store_b8 v10, v44 offset:128
	;; [unrolled: 1-line block ×4, first 2 shown]
	s_and_saveexec_b32 s4, s2
	s_cbranch_execz .LBB364_69
; %bb.60:
	v_lshl_add_u32 v8, s19, 4, v0
	v_dual_mov_b32 v12, 0 :: v_dual_bitop2_b32 v7, 2.0, v4 bitop3:0x54
	s_mov_b32 s5, 0
	s_mov_b32 s6, s19
	s_delay_alu instid0(VALU_DEP_2)
	v_lshl_add_u64 v[10:11], v[8:9], 2, s[20:21]
	global_store_b32 v8, v7, s[20:21] scale_offset scope:SCOPE_DEV
                                        ; implicit-def: $sgpr2
	s_branch .LBB364_63
.LBB364_61:                             ;   in Loop: Header=BB364_63 Depth=1
	s_or_b32 exec_lo, exec_lo, s23
.LBB364_62:                             ;   in Loop: Header=BB364_63 Depth=1
	s_delay_alu instid0(SALU_CYCLE_1) | instskip(SKIP_2) | instid1(VALU_DEP_2)
	s_or_b32 exec_lo, exec_lo, s7
	v_and_b32_e32 v8, 0x3fffffff, v7
	v_cmp_gt_i32_e64 s2, -2.0, v7
	v_add_nc_u32_e32 v12, v8, v12
	s_and_b32 s7, exec_lo, s2
	s_delay_alu instid0(SALU_CYCLE_1) | instskip(NEXT) | instid1(SALU_CYCLE_1)
	s_or_b32 s5, s7, s5
	s_and_not1_b32 exec_lo, exec_lo, s5
	s_cbranch_execz .LBB364_68
.LBB364_63:                             ; =>This Loop Header: Depth=1
                                        ;     Child Loop BB364_66 Depth 2
	s_or_b32 s2, s2, exec_lo
	s_cmp_eq_u32 s6, 0
	s_cbranch_scc1 .LBB364_67
; %bb.64:                               ;   in Loop: Header=BB364_63 Depth=1
	s_add_co_i32 s6, s6, -1
	s_mov_b32 s7, exec_lo
	s_wait_xcnt 0x0
	v_lshl_or_b32 v8, s6, 4, v0
	global_load_b32 v7, v8, s[20:21] scale_offset scope:SCOPE_DEV
	s_wait_loadcnt 0x0
	v_cmpx_gt_u32_e32 2.0, v7
	s_cbranch_execz .LBB364_62
; %bb.65:                               ;   in Loop: Header=BB364_63 Depth=1
	v_lshl_add_u64 v[14:15], v[8:9], 2, s[20:21]
	s_mov_b32 s23, 0
.LBB364_66:                             ;   Parent Loop BB364_63 Depth=1
                                        ; =>  This Inner Loop Header: Depth=2
	global_load_b32 v7, v[14:15], off scope:SCOPE_DEV
	s_wait_loadcnt 0x0
	v_cmp_lt_u32_e64 s2, 0x3fffffff, v7
	s_or_b32 s23, s2, s23
	s_wait_xcnt 0x0
	s_and_not1_b32 exec_lo, exec_lo, s23
	s_cbranch_execnz .LBB364_66
	s_branch .LBB364_61
.LBB364_67:                             ;   in Loop: Header=BB364_63 Depth=1
                                        ; implicit-def: $sgpr6
	s_and_b32 s7, exec_lo, s2
	s_delay_alu instid0(SALU_CYCLE_1)
	s_or_b32 s5, s7, s5
	s_wait_xcnt 0x0
	s_and_not1_b32 exec_lo, exec_lo, s5
	s_cbranch_execnz .LBB364_63
.LBB364_68:
	s_or_b32 exec_lo, exec_lo, s5
	v_dual_add_nc_u32 v7, v12, v4 :: v_dual_mov_b32 v13, 0
	s_delay_alu instid0(VALU_DEP_1)
	v_or_b32_e32 v7, 0x80000000, v7
	global_store_b32 v[10:11], v7, off scope:SCOPE_DEV
	global_load_b64 v[8:9], v0, s[8:9] scale_offset
	s_wait_xcnt 0x1
	v_sub_nc_u64_e32 v[10:11], v[12:13], v[2:3]
	s_wait_loadcnt 0x0
	s_delay_alu instid0(VALU_DEP_1)
	v_add_nc_u64_e32 v[8:9], v[10:11], v[8:9]
	ds_store_b64 v5, v[8:9]
.LBB364_69:
	s_wait_xcnt 0x0
	s_or_b32 exec_lo, exec_lo, s4
	s_delay_alu instid0(SALU_CYCLE_1)
	s_mov_b32 s4, exec_lo
	s_wait_storecnt_dscnt 0x0
	s_barrier_signal -1
	s_barrier_wait -1
	v_cmpx_gt_u32_e64 s18, v0
	s_cbranch_execz .LBB364_71
; %bb.70:
	ds_load_u8 v7, v0 offset:128
	s_wait_dscnt 0x0
	v_and_b32_e32 v8, 0xff, v7
	v_xor_b32_e32 v7, 0x7f, v7
	s_delay_alu instid0(VALU_DEP_2) | instskip(NEXT) | instid1(VALU_DEP_1)
	v_lshrrev_b32_e32 v8, s16, v8
	v_and_b32_e32 v8, s3, v8
	s_delay_alu instid0(VALU_DEP_1) | instskip(SKIP_3) | instid1(VALU_DEP_1)
	v_lshlrev_b32_e32 v8, 3, v8
	ds_load_b64 v[8:9], v8
	s_wait_dscnt 0x0
	v_add_nc_u64_e32 v[8:9], s[14:15], v[8:9]
	v_add_nc_u64_e32 v[8:9], v[8:9], v[0:1]
	global_store_b8 v[8:9], v7, off
.LBB364_71:
	s_wait_xcnt 0x0
	s_or_b32 exec_lo, exec_lo, s4
	v_or_b32_e32 v7, 0x400, v0
	s_mov_b32 s4, exec_lo
	s_delay_alu instid0(VALU_DEP_1)
	v_cmpx_gt_u32_e64 s18, v7
	s_cbranch_execz .LBB364_73
; %bb.72:
	ds_load_u8 v7, v0 offset:1152
	s_wait_dscnt 0x0
	v_and_b32_e32 v8, 0xff, v7
	v_xor_b32_e32 v7, 0x7f, v7
	s_delay_alu instid0(VALU_DEP_2) | instskip(NEXT) | instid1(VALU_DEP_1)
	v_lshrrev_b32_e32 v8, s16, v8
	v_and_b32_e32 v8, s3, v8
	s_delay_alu instid0(VALU_DEP_1) | instskip(SKIP_3) | instid1(VALU_DEP_1)
	v_lshlrev_b32_e32 v8, 3, v8
	ds_load_b64 v[8:9], v8
	s_wait_dscnt 0x0
	v_add_nc_u64_e32 v[8:9], s[14:15], v[8:9]
	v_add_nc_u64_e32 v[8:9], v[8:9], v[0:1]
	global_store_b8 v[8:9], v7, off offset:1024
.LBB364_73:
	s_wait_xcnt 0x0
	s_or_b32 exec_lo, exec_lo, s4
	v_or_b32_e32 v7, 0x800, v0
	s_mov_b32 s4, exec_lo
	s_delay_alu instid0(VALU_DEP_1)
	v_cmpx_gt_u32_e64 s18, v7
	s_cbranch_execz .LBB364_75
; %bb.74:
	ds_load_u8 v7, v0 offset:2176
	s_wait_dscnt 0x0
	v_and_b32_e32 v8, 0xff, v7
	v_xor_b32_e32 v7, 0x7f, v7
	s_delay_alu instid0(VALU_DEP_2) | instskip(NEXT) | instid1(VALU_DEP_1)
	v_lshrrev_b32_e32 v8, s16, v8
	v_and_b32_e32 v8, s3, v8
	s_delay_alu instid0(VALU_DEP_1) | instskip(SKIP_3) | instid1(VALU_DEP_1)
	v_lshlrev_b32_e32 v8, 3, v8
	ds_load_b64 v[8:9], v8
	s_wait_dscnt 0x0
	v_add_nc_u64_e32 v[8:9], s[14:15], v[8:9]
	v_add_nc_u64_e32 v[8:9], v[8:9], v[0:1]
	global_store_b8 v[8:9], v7, off offset:2048
.LBB364_75:
	;; [unrolled: 23-line block ×20, first 2 shown]
	s_wait_xcnt 0x0
	s_or_b32 exec_lo, exec_lo, s4
	v_or_b32_e32 v7, 0x5400, v0
	s_mov_b32 s4, exec_lo
	s_delay_alu instid0(VALU_DEP_1)
	v_cmpx_gt_u32_e64 s18, v7
	s_cbranch_execz .LBB364_113
; %bb.112:
	ds_load_u8 v7, v0 offset:21632
	s_wait_dscnt 0x0
	v_and_b32_e32 v8, 0xff, v7
	s_delay_alu instid0(VALU_DEP_1) | instskip(NEXT) | instid1(VALU_DEP_1)
	v_lshrrev_b32_e32 v8, s16, v8
	v_and_b32_e32 v8, s3, v8
	s_delay_alu instid0(VALU_DEP_1) | instskip(SKIP_3) | instid1(VALU_DEP_1)
	v_lshlrev_b32_e32 v8, 3, v8
	ds_load_b64 v[8:9], v8
	s_wait_dscnt 0x0
	v_add_nc_u64_e32 v[8:9], s[14:15], v[8:9]
	v_add_nc_u64_e32 v[8:9], v[8:9], v[0:1]
	v_xor_b32_e32 v1, 0x7f, v7
	global_store_b8 v[8:9], v1, off offset:21504
.LBB364_113:
	s_wait_xcnt 0x0
	s_or_b32 exec_lo, exec_lo, s4
	s_load_b32 s2, s[0:1], 0x58
	s_wait_kmcnt 0x0
	s_add_co_i32 s2, s2, -1
	s_delay_alu instid0(SALU_CYCLE_1) | instskip(SKIP_2) | instid1(SALU_CYCLE_1)
	s_cmp_eq_u32 s19, s2
	s_cselect_b32 s2, -1, 0
	s_xor_b32 s3, vcc_lo, -1
	s_and_b32 s3, s3, s2
	s_delay_alu instid0(SALU_CYCLE_1)
	s_and_saveexec_b32 s2, s3
	s_cbranch_execz .LBB364_115
; %bb.114:
	ds_load_b64 v[8:9], v5
	v_mov_b32_e32 v5, 0
	s_delay_alu instid0(VALU_DEP_1) | instskip(SKIP_1) | instid1(VALU_DEP_1)
	v_add_nc_u64_e32 v[2:3], v[2:3], v[4:5]
	s_wait_dscnt 0x0
	v_add_nc_u64_e32 v[2:3], v[2:3], v[8:9]
	global_store_b64 v0, v[2:3], s[10:11] scale_offset
.LBB364_115:
	s_wait_xcnt 0x0
	s_or_b32 exec_lo, exec_lo, s2
	s_mov_b32 s3, 0
.LBB364_116:
	s_delay_alu instid0(SALU_CYCLE_1)
	s_and_b32 vcc_lo, exec_lo, s3
	s_cbranch_vccz .LBB364_139
; %bb.117:
	s_mov_b32 s23, 0
	v_dual_mov_b32 v13, 0 :: v_dual_lshlrev_b32 v12, 2, v0
	s_add_nc_u64 s[2:3], s[12:13], s[22:23]
	s_clause 0x1
	global_load_b128 v[2:5], v6, s[2:3]
	global_load_b32 v8, v6, s[2:3] offset:16
	s_lshl_b32 s12, -1, s17
	ds_store_2addr_stride64_b32 v12, v13, v13 offset1:16
	ds_store_2addr_stride64_b32 v12, v13, v13 offset0:32 offset1:48
	ds_store_2addr_stride64_b32 v12, v13, v13 offset0:64 offset1:80
	;; [unrolled: 1-line block ×3, first 2 shown]
	global_load_u16 v42, v6, s[2:3] offset:20
	s_mov_b32 s7, exec_lo
	s_wait_loadcnt 0x2
	v_xor_b32_e32 v1, 0x7f, v2
	v_lshrrev_b32_e32 v9, 8, v2
	s_delay_alu instid0(VALU_DEP_2) | instskip(NEXT) | instid1(VALU_DEP_1)
	v_and_b32_e32 v7, 0xff, v1
	v_lshrrev_b32_e32 v7, s16, v7
	s_delay_alu instid0(VALU_DEP_1) | instskip(NEXT) | instid1(VALU_DEP_1)
	v_bitop3_b32 v7, v7, s12, v7 bitop3:0x30
	v_dual_lshlrev_b32 v10, 10, v7 :: v_dual_lshrrev_b32 v11, 2, v7
	v_xor_b32_e32 v7, 0x7f, v9
	s_delay_alu instid0(VALU_DEP_2) | instskip(NEXT) | instid1(VALU_DEP_3)
	v_and_or_b32 v9, 0x1c00, v10, v0
	v_and_b32_e32 v10, 62, v11
	s_delay_alu instid0(VALU_DEP_3) | instskip(NEXT) | instid1(VALU_DEP_2)
	v_and_b32_e32 v11, 0xff, v7
	v_lshl_add_u32 v17, v9, 2, v10
	s_delay_alu instid0(VALU_DEP_2) | instskip(SKIP_3) | instid1(VALU_DEP_2)
	v_lshrrev_b32_e32 v9, s16, v11
	ds_load_u16 v11, v17
	v_bitop3_b32 v9, v9, s12, v9 bitop3:0x30
	v_dual_lshrrev_b32 v10, 16, v2 :: v_dual_lshrrev_b32 v2, 24, v2
	v_dual_lshlrev_b32 v12, 10, v9 :: v_dual_lshrrev_b32 v9, 2, v9
	s_delay_alu instid0(VALU_DEP_2) | instskip(NEXT) | instid1(VALU_DEP_2)
	v_xor_b32_e32 v10, 0x7f, v10
	v_and_or_b32 v12, 0x1c00, v12, v0
	s_delay_alu instid0(VALU_DEP_3) | instskip(NEXT) | instid1(VALU_DEP_3)
	v_and_b32_e32 v9, 62, v9
	v_and_b32_e32 v13, 0xff, v10
	s_delay_alu instid0(VALU_DEP_2) | instskip(NEXT) | instid1(VALU_DEP_2)
	v_lshl_add_u32 v20, v12, 2, v9
	v_lshrrev_b32_e32 v9, s16, v13
	v_xor_b32_e32 v12, 0x7f, v2
	s_wait_dscnt 0x0
	v_add_nc_u16 v14, v11, 1
	s_delay_alu instid0(VALU_DEP_3) | instskip(SKIP_3) | instid1(VALU_DEP_1)
	v_bitop3_b32 v9, v9, s12, v9 bitop3:0x30
	ds_store_b16 v17, v14
	ds_load_u16 v14, v20
	v_dual_lshlrev_b32 v13, 10, v9 :: v_dual_lshrrev_b32 v9, 2, v9
	v_and_or_b32 v2, 0x1c00, v13, v0
	s_delay_alu instid0(VALU_DEP_2) | instskip(SKIP_1) | instid1(VALU_DEP_2)
	v_and_b32_e32 v9, 62, v9
	v_and_b32_e32 v13, 0xffff, v12
	v_lshl_add_u32 v2, v2, 2, v9
	s_delay_alu instid0(VALU_DEP_2) | instskip(SKIP_1) | instid1(VALU_DEP_2)
	v_lshrrev_b32_e32 v9, s16, v13
	v_xor_b32_e32 v13, 0x7f, v3
	v_bitop3_b32 v9, v9, s12, v9 bitop3:0x30
	s_wait_dscnt 0x0
	v_add_nc_u16 v15, v14, 1
	s_delay_alu instid0(VALU_DEP_3) | instskip(NEXT) | instid1(VALU_DEP_3)
	v_and_b32_e32 v18, 0xff, v13
	v_dual_lshlrev_b32 v16, 10, v9 :: v_dual_lshrrev_b32 v9, 2, v9
	ds_store_b16 v20, v15
	ds_load_u16 v15, v2
	v_and_or_b32 v16, 0x1c00, v16, v0
	v_and_b32_e32 v9, 62, v9
	s_delay_alu instid0(VALU_DEP_1) | instskip(SKIP_1) | instid1(VALU_DEP_1)
	v_lshl_add_u32 v27, v16, 2, v9
	v_dual_lshrrev_b32 v9, s16, v18 :: v_dual_lshrrev_b32 v16, 8, v3
	v_bitop3_b32 v9, v9, s12, v9 bitop3:0x30
	s_delay_alu instid0(VALU_DEP_2) | instskip(NEXT) | instid1(VALU_DEP_2)
	v_xor_b32_e32 v16, 0x7f, v16
	v_dual_lshlrev_b32 v18, 10, v9 :: v_dual_lshrrev_b32 v9, 2, v9
	s_wait_dscnt 0x0
	v_add_nc_u16 v19, v15, 1
	s_delay_alu instid0(VALU_DEP_3) | instskip(NEXT) | instid1(VALU_DEP_3)
	v_and_b32_e32 v21, 0xff, v16
	v_and_or_b32 v18, 0x1c00, v18, v0
	v_and_b32_e32 v9, 62, v9
	ds_store_b16 v2, v19
	ds_load_u16 v19, v27
	v_lshl_add_u32 v34, v18, 2, v9
	v_dual_lshrrev_b32 v9, s16, v21 :: v_dual_lshrrev_b32 v18, 16, v3
	v_lshrrev_b32_e32 v3, 24, v3
	s_delay_alu instid0(VALU_DEP_2) | instskip(NEXT) | instid1(VALU_DEP_3)
	v_bitop3_b32 v9, v9, s12, v9 bitop3:0x30
	v_xor_b32_e32 v18, 0x7f, v18
	s_wait_xcnt 0x0
	s_delay_alu instid0(VALU_DEP_1) | instskip(SKIP_2) | instid1(VALU_DEP_2)
	v_and_b32_e32 v6, 0xff, v18
	s_wait_dscnt 0x0
	v_add_nc_u16 v22, v19, 1
	v_lshrrev_b32_e32 v6, s16, v6
	ds_store_b16 v27, v22
	ds_load_u16 v21, v34
	v_dual_lshlrev_b32 v22, 10, v9 :: v_dual_lshrrev_b32 v9, 2, v9
	v_bitop3_b32 v6, v6, s12, v6 bitop3:0x30
	s_delay_alu instid0(VALU_DEP_2) | instskip(NEXT) | instid1(VALU_DEP_3)
	v_and_or_b32 v22, 0x1c00, v22, v0
	v_and_b32_e32 v9, 62, v9
	s_delay_alu instid0(VALU_DEP_1) | instskip(NEXT) | instid1(VALU_DEP_4)
	v_lshl_add_u32 v41, v22, 2, v9
	v_dual_lshlrev_b32 v9, 10, v6 :: v_dual_lshrrev_b32 v22, 2, v6
	v_xor_b32_e32 v6, 0x7f, v3
	s_delay_alu instid0(VALU_DEP_2) | instskip(NEXT) | instid1(VALU_DEP_3)
	v_and_or_b32 v3, 0x1c00, v9, v0
	v_and_b32_e32 v9, 62, v22
	s_wait_dscnt 0x0
	v_add_nc_u16 v23, v21, 1
	v_and_b32_e32 v22, 0xffff, v6
	s_delay_alu instid0(VALU_DEP_3) | instskip(SKIP_4) | instid1(VALU_DEP_2)
	v_lshl_add_u32 v3, v3, 2, v9
	ds_store_b16 v34, v23
	ds_load_u16 v25, v41
	v_lshrrev_b32_e32 v9, s16, v22
	v_xor_b32_e32 v22, 0x7f, v4
	v_bitop3_b32 v9, v9, s12, v9 bitop3:0x30
	s_delay_alu instid0(VALU_DEP_2)
	v_and_b32_e32 v24, 0xff, v22
	s_wait_dscnt 0x0
	v_add_nc_u16 v23, v25, 1
	ds_store_b16 v41, v23
	ds_load_u16 v29, v3
	v_dual_lshlrev_b32 v23, 10, v9 :: v_dual_lshrrev_b32 v9, 2, v9
	s_delay_alu instid0(VALU_DEP_1) | instskip(NEXT) | instid1(VALU_DEP_2)
	v_and_or_b32 v23, 0x1c00, v23, v0
	v_and_b32_e32 v9, 62, v9
	s_delay_alu instid0(VALU_DEP_1) | instskip(SKIP_2) | instid1(VALU_DEP_2)
	v_lshl_add_u32 v47, v23, 2, v9
	v_lshrrev_b32_e32 v9, s16, v24
	v_lshrrev_b32_e32 v23, 8, v4
	v_bitop3_b32 v9, v9, s12, v9 bitop3:0x30
	s_delay_alu instid0(VALU_DEP_2) | instskip(SKIP_2) | instid1(VALU_DEP_3)
	v_xor_b32_e32 v23, 0x7f, v23
	s_wait_dscnt 0x0
	v_add_nc_u16 v26, v29, 1
	v_dual_lshlrev_b32 v24, 10, v9 :: v_dual_lshrrev_b32 v9, 2, v9
	ds_store_b16 v3, v26
	ds_load_u16 v31, v47
	v_and_b32_e32 v26, 0xff, v23
	v_and_or_b32 v24, 0x1c00, v24, v0
	v_and_b32_e32 v9, 62, v9
	s_delay_alu instid0(VALU_DEP_1) | instskip(NEXT) | instid1(VALU_DEP_4)
	v_lshl_add_u32 v49, v24, 2, v9
	v_dual_lshrrev_b32 v9, s16, v26 :: v_dual_lshrrev_b32 v24, 16, v4
	v_lshrrev_b32_e32 v4, 24, v4
	s_delay_alu instid0(VALU_DEP_2) | instskip(NEXT) | instid1(VALU_DEP_3)
	v_bitop3_b32 v9, v9, s12, v9 bitop3:0x30
	v_xor_b32_e32 v24, 0x7f, v24
	s_delay_alu instid0(VALU_DEP_2) | instskip(SKIP_2) | instid1(VALU_DEP_2)
	v_dual_lshlrev_b32 v26, 10, v9 :: v_dual_lshrrev_b32 v9, 2, v9
	s_wait_dscnt 0x0
	v_add_nc_u16 v28, v31, 1
	v_and_or_b32 v26, 0x1c00, v26, v0
	s_delay_alu instid0(VALU_DEP_3)
	v_and_b32_e32 v9, 62, v9
	ds_store_b16 v47, v28
	ds_load_u16 v33, v49
	v_and_b32_e32 v28, 0xff, v24
	v_lshl_add_u32 v51, v26, 2, v9
	v_xor_b32_e32 v26, 0x7f, v4
	s_delay_alu instid0(VALU_DEP_3) | instskip(NEXT) | instid1(VALU_DEP_1)
	v_lshrrev_b32_e32 v9, s16, v28
	v_bitop3_b32 v9, v9, s12, v9 bitop3:0x30
	s_delay_alu instid0(VALU_DEP_1) | instskip(SKIP_2) | instid1(VALU_DEP_2)
	v_dual_lshlrev_b32 v28, 10, v9 :: v_dual_lshrrev_b32 v9, 2, v9
	s_wait_dscnt 0x0
	v_add_nc_u16 v30, v33, 1
	v_and_or_b32 v4, 0x1c00, v28, v0
	s_delay_alu instid0(VALU_DEP_3)
	v_and_b32_e32 v9, 62, v9
	v_and_b32_e32 v28, 0xffff, v26
	ds_store_b16 v49, v30
	ds_load_u16 v35, v51
	v_lshl_add_u32 v4, v4, 2, v9
	v_lshrrev_b32_e32 v9, s16, v28
	v_xor_b32_e32 v28, 0x7f, v5
	s_delay_alu instid0(VALU_DEP_2) | instskip(NEXT) | instid1(VALU_DEP_2)
	v_bitop3_b32 v9, v9, s12, v9 bitop3:0x30
	v_and_b32_e32 v32, 0xff, v28
	s_wait_dscnt 0x0
	v_add_nc_u16 v30, v35, 1
	ds_store_b16 v51, v30
	ds_load_u16 v38, v4
	v_dual_lshlrev_b32 v30, 10, v9 :: v_dual_lshrrev_b32 v9, 2, v9
	s_delay_alu instid0(VALU_DEP_1) | instskip(NEXT) | instid1(VALU_DEP_2)
	v_and_or_b32 v30, 0x1c00, v30, v0
	v_and_b32_e32 v9, 62, v9
	s_delay_alu instid0(VALU_DEP_1) | instskip(SKIP_1) | instid1(VALU_DEP_1)
	v_lshl_add_u32 v54, v30, 2, v9
	v_dual_lshrrev_b32 v9, s16, v32 :: v_dual_lshrrev_b32 v30, 8, v5
	v_bitop3_b32 v9, v9, s12, v9 bitop3:0x30
	s_delay_alu instid0(VALU_DEP_2) | instskip(SKIP_2) | instid1(VALU_DEP_3)
	v_xor_b32_e32 v30, 0x7f, v30
	s_wait_dscnt 0x0
	v_add_nc_u16 v36, v38, 1
	v_dual_lshlrev_b32 v32, 10, v9 :: v_dual_lshrrev_b32 v9, 2, v9
	ds_store_b16 v4, v36
	ds_load_u16 v40, v54
	v_and_b32_e32 v36, 0xff, v30
	v_and_or_b32 v32, 0x1c00, v32, v0
	v_and_b32_e32 v9, 62, v9
	s_delay_alu instid0(VALU_DEP_1) | instskip(NEXT) | instid1(VALU_DEP_4)
	v_lshl_add_u32 v56, v32, 2, v9
	v_dual_lshrrev_b32 v9, s16, v36 :: v_dual_lshrrev_b32 v32, 16, v5
	v_lshrrev_b32_e32 v5, 24, v5
	s_delay_alu instid0(VALU_DEP_2) | instskip(NEXT) | instid1(VALU_DEP_3)
	v_bitop3_b32 v9, v9, s12, v9 bitop3:0x30
	v_xor_b32_e32 v32, 0x7f, v32
	s_delay_alu instid0(VALU_DEP_3) | instskip(NEXT) | instid1(VALU_DEP_3)
	v_xor_b32_e32 v5, 0x7f, v5
	v_dual_lshlrev_b32 v36, 10, v9 :: v_dual_lshrrev_b32 v9, 2, v9
	s_wait_dscnt 0x0
	v_add_nc_u16 v37, v40, 1
	s_delay_alu instid0(VALU_DEP_2) | instskip(NEXT) | instid1(VALU_DEP_3)
	v_and_or_b32 v36, 0x1c00, v36, v0
	v_and_b32_e32 v9, 62, v9
	ds_store_b16 v54, v37
	ds_load_u16 v43, v56
	v_and_b32_e32 v37, 0xff, v32
	v_lshl_add_u32 v58, v36, 2, v9
	s_delay_alu instid0(VALU_DEP_2) | instskip(SKIP_1) | instid1(VALU_DEP_2)
	v_lshrrev_b32_e32 v9, s16, v37
	v_and_b32_e32 v37, 0xffff, v5
	v_bitop3_b32 v9, v9, s12, v9 bitop3:0x30
	s_delay_alu instid0(VALU_DEP_1) | instskip(SKIP_2) | instid1(VALU_DEP_2)
	v_dual_lshlrev_b32 v36, 10, v9 :: v_dual_lshrrev_b32 v9, 2, v9
	s_wait_dscnt 0x0
	v_add_nc_u16 v39, v43, 1
	v_and_or_b32 v36, 0x1c00, v36, v0
	s_delay_alu instid0(VALU_DEP_3)
	v_and_b32_e32 v9, 62, v9
	ds_store_b16 v56, v39
	ds_load_u16 v44, v58
	v_lshl_add_u32 v59, v36, 2, v9
	v_lshrrev_b32_e32 v9, s16, v37
	s_wait_loadcnt 0x1
	v_xor_b32_e32 v36, 0x7f, v8
	s_delay_alu instid0(VALU_DEP_2) | instskip(NEXT) | instid1(VALU_DEP_1)
	v_bitop3_b32 v9, v9, s12, v9 bitop3:0x30
	v_dual_lshlrev_b32 v37, 10, v9 :: v_dual_lshrrev_b32 v9, 2, v9
	s_delay_alu instid0(VALU_DEP_1) | instskip(NEXT) | instid1(VALU_DEP_2)
	v_and_or_b32 v37, 0x1c00, v37, v0
	v_and_b32_e32 v9, 62, v9
	s_wait_dscnt 0x0
	v_add_nc_u16 v39, v44, 1
	s_delay_alu instid0(VALU_DEP_2) | instskip(SKIP_4) | instid1(VALU_DEP_1)
	v_lshl_add_u32 v60, v37, 2, v9
	v_lshrrev_b32_e32 v37, 8, v8
	ds_store_b16 v58, v39
	ds_load_u16 v45, v59
	v_and_b32_e32 v39, 0xff, v36
	v_lshrrev_b32_e32 v9, s16, v39
	v_xor_b32_e32 v39, 0x7f, v37
	s_delay_alu instid0(VALU_DEP_2) | instskip(NEXT) | instid1(VALU_DEP_1)
	v_bitop3_b32 v9, v9, s12, v9 bitop3:0x30
	v_dual_lshlrev_b32 v48, 10, v9 :: v_dual_lshrrev_b32 v9, 2, v9
	s_wait_dscnt 0x0
	v_add_nc_u16 v46, v45, 1
	s_delay_alu instid0(VALU_DEP_2) | instskip(NEXT) | instid1(VALU_DEP_3)
	v_and_or_b32 v37, 0x1c00, v48, v0
	v_and_b32_e32 v9, 62, v9
	v_and_b32_e32 v48, 0xff, v39
	ds_store_b16 v59, v46
	ds_load_u16 v46, v60
	v_lshl_add_u32 v61, v37, 2, v9
	v_lshrrev_b32_e32 v9, s16, v48
	v_lshrrev_b32_e32 v37, 16, v8
	s_delay_alu instid0(VALU_DEP_2) | instskip(NEXT) | instid1(VALU_DEP_2)
	v_bitop3_b32 v9, v9, s12, v9 bitop3:0x30
	v_xor_b32_e32 v37, 0x7f, v37
	s_delay_alu instid0(VALU_DEP_1) | instskip(NEXT) | instid1(VALU_DEP_1)
	v_and_b32_e32 v52, 0xff, v37
	v_lshrrev_b32_e32 v52, s16, v52
	s_wait_dscnt 0x0
	v_add_nc_u16 v50, v46, 1
	s_delay_alu instid0(VALU_DEP_2) | instskip(SKIP_3) | instid1(VALU_DEP_1)
	v_bitop3_b32 v55, v52, s12, v52 bitop3:0x30
	ds_store_b16 v60, v50
	ds_load_u16 v48, v61
	v_dual_lshlrev_b32 v50, 10, v9 :: v_dual_lshrrev_b32 v9, 2, v9
	v_and_or_b32 v50, 0x1c00, v50, v0
	s_delay_alu instid0(VALU_DEP_2) | instskip(NEXT) | instid1(VALU_DEP_1)
	v_and_b32_e32 v9, 62, v9
	v_lshl_add_u32 v62, v50, 2, v9
	s_wait_loadcnt 0x0
	v_and_b32_e32 v9, 0xffff, v42
	v_xor_b32_e32 v42, 0x7f, v42
	s_wait_dscnt 0x0
	v_add_nc_u16 v53, v48, 1
	ds_store_b16 v61, v53
	ds_load_u16 v50, v62
	v_lshrrev_b64 v[52:53], 24, v[8:9]
	v_dual_lshlrev_b32 v53, 10, v55 :: v_dual_lshrrev_b32 v55, 2, v55
	v_lshrrev_b32_e32 v9, 8, v9
	s_delay_alu instid0(VALU_DEP_3) | instskip(NEXT) | instid1(VALU_DEP_3)
	v_xor_b32_e32 v8, 0x7f, v52
	v_and_or_b32 v52, 0x1c00, v53, v0
	s_delay_alu instid0(VALU_DEP_4) | instskip(NEXT) | instid1(VALU_DEP_4)
	v_and_b32_e32 v53, 62, v55
	v_xor_b32_e32 v9, 0x7f, v9
	s_delay_alu instid0(VALU_DEP_4) | instskip(NEXT) | instid1(VALU_DEP_3)
	v_and_b32_e32 v55, 0xff, v8
	v_lshl_add_u32 v63, v52, 2, v53
	s_delay_alu instid0(VALU_DEP_3) | instskip(NEXT) | instid1(VALU_DEP_3)
	v_and_b32_e32 v66, 0xff, v9
	v_lshrrev_b32_e32 v53, s16, v55
	s_wait_dscnt 0x0
	v_add_nc_u16 v57, v50, 1
	s_delay_alu instid0(VALU_DEP_2) | instskip(SKIP_4) | instid1(VALU_DEP_1)
	v_bitop3_b32 v53, v53, s12, v53 bitop3:0x30
	ds_store_b16 v62, v57
	ds_load_u16 v52, v63
	v_and_b32_e32 v57, 0xff, v42
	v_dual_lshlrev_b32 v55, 10, v53 :: v_dual_lshrrev_b32 v53, 2, v53
	v_and_or_b32 v55, 0x1c00, v55, v0
	s_delay_alu instid0(VALU_DEP_2) | instskip(NEXT) | instid1(VALU_DEP_1)
	v_and_b32_e32 v53, 62, v53
	v_lshl_add_u32 v64, v55, 2, v53
	v_lshrrev_b32_e32 v55, s16, v57
	s_delay_alu instid0(VALU_DEP_1) | instskip(SKIP_2) | instid1(VALU_DEP_2)
	v_bitop3_b32 v55, v55, s12, v55 bitop3:0x30
	s_wait_dscnt 0x0
	v_add_nc_u16 v65, v52, 1
	v_lshlrev_b32_e32 v57, 10, v55
	ds_store_b16 v63, v65
	ds_load_u16 v53, v64
	v_lshrrev_b32_e32 v55, 2, v55
	v_and_or_b32 v57, 0x1c00, v57, v0
	s_delay_alu instid0(VALU_DEP_2) | instskip(NEXT) | instid1(VALU_DEP_1)
	v_and_b32_e32 v55, 62, v55
	v_lshl_add_u32 v65, v57, 2, v55
	v_lshrrev_b32_e32 v57, s16, v66
	s_delay_alu instid0(VALU_DEP_1) | instskip(SKIP_2) | instid1(VALU_DEP_2)
	v_bitop3_b32 v57, v57, s12, v57 bitop3:0x30
	s_wait_dscnt 0x0
	v_add_nc_u16 v67, v53, 1
	v_dual_lshlrev_b32 v66, 10, v57 :: v_dual_lshrrev_b32 v57, 2, v57
	ds_store_b16 v64, v67
	ds_load_u16 v55, v65
	v_and_or_b32 v66, 0x1c00, v66, v0
	v_and_b32_e32 v57, 62, v57
	s_delay_alu instid0(VALU_DEP_1)
	v_lshl_add_u32 v66, v66, 2, v57
	s_wait_dscnt 0x0
	v_add_nc_u16 v67, v55, 1
	ds_store_b16 v65, v67
	ds_load_u16 v57, v66
	v_lshlrev_b32_e32 v67, 5, v0
	s_wait_dscnt 0x0
	v_add_nc_u16 v68, v57, 1
	ds_store_b16 v66, v68
	s_wait_storecnt_dscnt 0x0
	s_barrier_signal -1
	s_barrier_wait -1
	ds_load_2addr_b64 v[68:71], v67 offset1:1
	ds_load_2addr_b64 v[72:75], v67 offset0:2 offset1:3
	s_wait_dscnt 0x1
	v_add_nc_u32_e32 v68, v69, v68
	s_delay_alu instid0(VALU_DEP_1) | instskip(SKIP_1) | instid1(VALU_DEP_1)
	v_add3_u32 v68, v68, v70, v71
	s_wait_dscnt 0x0
	v_add3_u32 v69, v68, v72, v73
	v_mbcnt_lo_u32_b32 v68, -1, 0
	v_and_b32_e32 v72, 31, v0
	s_delay_alu instid0(VALU_DEP_3) | instskip(NEXT) | instid1(VALU_DEP_3)
	v_add3_u32 v69, v69, v74, v75
	v_and_b32_e32 v70, 15, v68
	s_delay_alu instid0(VALU_DEP_2) | instskip(NEXT) | instid1(VALU_DEP_2)
	v_mov_b32_dpp v71, v69 row_shr:1 row_mask:0xf bank_mask:0xf
	v_cmp_eq_u32_e32 vcc_lo, 0, v70
	v_cmp_lt_u32_e64 s2, 1, v70
	v_cmp_lt_u32_e64 s3, 3, v70
	;; [unrolled: 1-line block ×3, first 2 shown]
	v_cndmask_b32_e64 v71, v71, 0, vcc_lo
	s_delay_alu instid0(VALU_DEP_1) | instskip(NEXT) | instid1(VALU_DEP_1)
	v_add_nc_u32_e32 v69, v71, v69
	v_mov_b32_dpp v71, v69 row_shr:2 row_mask:0xf bank_mask:0xf
	s_delay_alu instid0(VALU_DEP_1) | instskip(NEXT) | instid1(VALU_DEP_1)
	v_cndmask_b32_e64 v71, 0, v71, s2
	v_add_nc_u32_e32 v69, v69, v71
	s_delay_alu instid0(VALU_DEP_1) | instskip(NEXT) | instid1(VALU_DEP_1)
	v_mov_b32_dpp v71, v69 row_shr:4 row_mask:0xf bank_mask:0xf
	v_cndmask_b32_e64 v71, 0, v71, s3
	s_delay_alu instid0(VALU_DEP_1) | instskip(NEXT) | instid1(VALU_DEP_1)
	v_add_nc_u32_e32 v69, v69, v71
	v_mov_b32_dpp v71, v69 row_shr:8 row_mask:0xf bank_mask:0xf
	s_delay_alu instid0(VALU_DEP_1) | instskip(SKIP_1) | instid1(VALU_DEP_2)
	v_cndmask_b32_e64 v70, 0, v71, s4
	v_bfe_i32 v71, v68, 4, 1
	v_add_nc_u32_e32 v69, v69, v70
	ds_swizzle_b32 v70, v69 offset:swizzle(BROADCAST,32,15)
	s_wait_dscnt 0x0
	v_dual_lshrrev_b32 v71, 5, v0 :: v_dual_bitop2_b32 v70, v71, v70 bitop3:0x40
	s_delay_alu instid0(VALU_DEP_1) | instskip(NEXT) | instid1(VALU_DEP_2)
	v_dual_add_nc_u32 v69, v69, v70 :: v_dual_bitop2_b32 v73, 16, v68 bitop3:0x40
	v_lshlrev_b32_e32 v70, 2, v71
	s_delay_alu instid0(VALU_DEP_2)
	v_cmp_eq_u32_e64 s5, 0, v73
	v_cmpx_eq_u32_e32 31, v72
; %bb.118:
	ds_store_b32 v70, v69 offset:32768
; %bb.119:
	s_or_b32 exec_lo, exec_lo, s7
	v_cmp_lt_u32_e64 s6, 31, v0
	s_mov_b32 s13, exec_lo
	s_wait_dscnt 0x0
	s_barrier_signal -1
	s_barrier_wait -1
	v_cmpx_gt_u32_e32 32, v0
	s_cbranch_execz .LBB364_121
; %bb.120:
	v_mad_i32_i24 v71, 0xffffffe4, v0, v67
	ds_load_b32 v72, v71 offset:32768
	s_wait_dscnt 0x0
	v_mov_b32_dpp v73, v72 row_shr:1 row_mask:0xf bank_mask:0xf
	s_delay_alu instid0(VALU_DEP_1) | instskip(NEXT) | instid1(VALU_DEP_1)
	v_cndmask_b32_e64 v73, v73, 0, vcc_lo
	v_add_nc_u32_e32 v72, v73, v72
	s_delay_alu instid0(VALU_DEP_1) | instskip(NEXT) | instid1(VALU_DEP_1)
	v_mov_b32_dpp v73, v72 row_shr:2 row_mask:0xf bank_mask:0xf
	v_cndmask_b32_e64 v73, 0, v73, s2
	s_delay_alu instid0(VALU_DEP_1) | instskip(NEXT) | instid1(VALU_DEP_1)
	v_add_nc_u32_e32 v72, v72, v73
	v_mov_b32_dpp v73, v72 row_shr:4 row_mask:0xf bank_mask:0xf
	s_delay_alu instid0(VALU_DEP_1) | instskip(NEXT) | instid1(VALU_DEP_1)
	v_cndmask_b32_e64 v73, 0, v73, s3
	v_add_nc_u32_e32 v72, v72, v73
	s_delay_alu instid0(VALU_DEP_1) | instskip(NEXT) | instid1(VALU_DEP_1)
	v_mov_b32_dpp v73, v72 row_shr:8 row_mask:0xf bank_mask:0xf
	v_cndmask_b32_e64 v73, 0, v73, s4
	s_delay_alu instid0(VALU_DEP_1) | instskip(SKIP_3) | instid1(VALU_DEP_1)
	v_add_nc_u32_e32 v72, v72, v73
	ds_swizzle_b32 v73, v72 offset:swizzle(BROADCAST,32,15)
	s_wait_dscnt 0x0
	v_cndmask_b32_e64 v73, v73, 0, s5
	v_add_nc_u32_e32 v72, v72, v73
	ds_store_b32 v71, v72 offset:32768
.LBB364_121:
	s_or_b32 exec_lo, exec_lo, s13
	v_dual_mov_b32 v72, 0 :: v_dual_mov_b32 v71, 0
	s_wait_dscnt 0x0
	s_barrier_signal -1
	s_barrier_wait -1
	s_and_saveexec_b32 s2, s6
; %bb.122:
	ds_load_b32 v71, v70 offset:32764
; %bb.123:
	s_or_b32 exec_lo, exec_lo, s2
	v_sub_co_u32 v70, vcc_lo, v68, 1
	s_wait_dscnt 0x0
	v_add_nc_u32_e32 v69, v71, v69
	s_delay_alu instid0(VALU_DEP_2) | instskip(NEXT) | instid1(VALU_DEP_1)
	v_cmp_gt_i32_e64 s2, 0, v70
	v_cndmask_b32_e64 v68, v70, v68, s2
	v_cmp_gt_u32_e64 s2, 16, v0
	s_delay_alu instid0(VALU_DEP_2)
	v_lshlrev_b32_e32 v68, 2, v68
	ds_bpermute_b32 v68, v68, v69
	ds_load_b32 v69, v72 offset:32892
	ds_load_2addr_b64 v[72:75], v67 offset1:1
	ds_load_b32 v76, v67 offset:24
	s_wait_dscnt 0x3
	v_cndmask_b32_e32 v68, v68, v71, vcc_lo
	ds_load_b64 v[70:71], v67 offset:16
	v_cmp_lt_u32_e32 vcc_lo, 15, v0
	s_wait_dscnt 0x3
	v_lshl_add_u32 v68, v69, 16, v68
	s_wait_dscnt 0x2
	s_delay_alu instid0(VALU_DEP_1) | instskip(NEXT) | instid1(VALU_DEP_1)
	v_add_nc_u32_e32 v69, v68, v72
	v_add_nc_u32_e32 v72, v73, v69
	s_delay_alu instid0(VALU_DEP_1) | instskip(NEXT) | instid1(VALU_DEP_1)
	v_add_nc_u32_e32 v73, v74, v72
	v_add_nc_u32_e32 v74, v75, v73
	s_wait_dscnt 0x0
	s_delay_alu instid0(VALU_DEP_1) | instskip(NEXT) | instid1(VALU_DEP_1)
	v_add_nc_u32_e32 v75, v70, v74
	v_add_nc_u32_e32 v70, v71, v75
	s_delay_alu instid0(VALU_DEP_1)
	v_add_nc_u32_e32 v71, v76, v70
	ds_store_2addr_b64 v67, v[68:69], v[72:73] offset1:1
	ds_store_2addr_b64 v67, v[74:75], v[70:71] offset0:2 offset1:3
	s_wait_dscnt 0x0
	s_barrier_signal -1
	s_barrier_wait -1
	ds_load_u16 v17, v17
	ds_load_u16 v20, v20
	;; [unrolled: 1-line block ×22, first 2 shown]
	v_mov_b64_e32 v[2:3], 0
                                        ; implicit-def: $vgpr4
	s_and_saveexec_b32 s4, s2
	s_cbranch_execz .LBB364_127
; %bb.124:
	v_dual_lshlrev_b32 v2, 12, v0 :: v_dual_lshrrev_b32 v3, 2, v0
	v_add_nc_u32_e32 v4, 1, v0
	s_mov_b32 s5, exec_lo
	s_delay_alu instid0(VALU_DEP_2)
	v_bitop3_b32 v2, v2, 0x70fe, v3 bitop3:0xc8
	v_mov_b32_e32 v3, 0x5800
	ds_load_u16 v2, v2
	v_cmpx_ne_u32_e32 16, v4
; %bb.125:
	v_dual_lshlrev_b32 v3, 12, v4 :: v_dual_lshrrev_b32 v4, 2, v4
	s_delay_alu instid0(VALU_DEP_1)
	v_bitop3_b32 v3, v3, 0x71fe, v4 bitop3:0xc8
	ds_load_u16 v3, v3
; %bb.126:
	s_or_b32 exec_lo, exec_lo, s5
	s_wait_dscnt 0x0
	v_and_b32_e32 v2, 0xffff, v2
	s_mov_b32 s3, 0
	s_delay_alu instid0(VALU_DEP_1) | instid1(SALU_CYCLE_1)
	v_dual_mov_b32 v3, s3 :: v_dual_sub_nc_u32 v4, v3, v2
.LBB364_127:
	s_or_b32 exec_lo, exec_lo, s4
	s_wait_dscnt 0x15
	v_and_b32_e32 v17, 0xffff, v17
	v_and_b32_e32 v11, 0xffff, v11
	s_wait_dscnt 0x14
	v_and_b32_e32 v20, 0xffff, v20
	v_and_b32_e32 v14, 0xffff, v14
	;; [unrolled: 3-line block ×4, first 2 shown]
	v_dual_add_nc_u32 v11, v17, v11 :: v_dual_add_nc_u32 v14, v20, v14
	s_wait_dscnt 0x11
	v_and_b32_e32 v34, 0xffff, v34
	v_and_b32_e32 v21, 0xffff, v21
	s_wait_dscnt 0x10
	v_and_b32_e32 v41, 0xffff, v41
	v_and_b32_e32 v25, 0xffff, v25
	v_add_nc_u32_e32 v15, v67, v15
	s_wait_dscnt 0xf
	v_and_b32_e32 v68, 0xffff, v68
	v_and_b32_e32 v29, 0xffff, v29
	s_wait_dscnt 0xe
	v_and_b32_e32 v47, 0xffff, v47
	v_and_b32_e32 v31, 0xffff, v31
	;; [unrolled: 3-line block ×3, first 2 shown]
	s_wait_dscnt 0x0
	s_barrier_signal -1
	s_barrier_wait -1
	ds_store_b8 v11, v1 offset:128
	ds_store_b8 v14, v7 offset:128
	;; [unrolled: 1-line block ×3, first 2 shown]
	v_dual_add_nc_u32 v1, v27, v19 :: v_dual_add_nc_u32 v10, v41, v25
	v_and_b32_e32 v51, 0xffff, v51
	v_and_b32_e32 v35, 0xffff, v35
	v_add_nc_u32_e32 v7, v34, v21
	v_and_b32_e32 v69, 0xffff, v69
	v_and_b32_e32 v38, 0xffff, v38
	;; [unrolled: 1-line block ×4, first 2 shown]
	v_dual_add_nc_u32 v11, v68, v29 :: v_dual_add_nc_u32 v14, v47, v31
	v_and_b32_e32 v56, 0xffff, v56
	v_and_b32_e32 v43, 0xffff, v43
	;; [unrolled: 1-line block ×4, first 2 shown]
	ds_store_b8 v1, v12 offset:128
	ds_store_b8 v7, v13 offset:128
	;; [unrolled: 1-line block ×5, first 2 shown]
	v_dual_add_nc_u32 v1, v49, v33 :: v_dual_add_nc_u32 v6, v51, v35
	v_and_b32_e32 v59, 0xffff, v59
	v_and_b32_e32 v45, 0xffff, v45
	;; [unrolled: 1-line block ×4, first 2 shown]
	v_dual_add_nc_u32 v7, v69, v38 :: v_dual_add_nc_u32 v10, v54, v40
	v_and_b32_e32 v61, 0xffff, v61
	v_and_b32_e32 v48, 0xffff, v48
	v_and_b32_e32 v62, 0xffff, v62
	v_and_b32_e32 v50, 0xffff, v50
	v_add_nc_u32_e32 v11, v56, v43
	ds_store_b8 v1, v22 offset:128
	ds_store_b8 v6, v23 offset:128
	;; [unrolled: 1-line block ×5, first 2 shown]
	v_dual_add_nc_u32 v1, v58, v44 :: v_dual_add_nc_u32 v6, v59, v45
	v_dual_add_nc_u32 v7, v60, v46 :: v_dual_add_nc_u32 v10, v61, v48
	v_add_nc_u32_e32 v11, v62, v50
	v_and_b32_e32 v63, 0xffff, v63
	v_and_b32_e32 v66, 0xffff, v66
	;; [unrolled: 1-line block ×4, first 2 shown]
	ds_store_b8 v1, v30 offset:128
	ds_store_b8 v6, v32 offset:128
	;; [unrolled: 1-line block ×5, first 2 shown]
	v_mov_b32_e32 v7, 0
	v_and_b32_e32 v64, 0xffff, v64
	v_and_b32_e32 v53, 0xffff, v53
	;; [unrolled: 1-line block ×4, first 2 shown]
	v_dual_add_nc_u32 v6, v63, v52 :: v_dual_add_nc_u32 v12, v66, v57
	v_dual_mov_b32 v1, v7 :: v_dual_lshlrev_b32 v5, 3, v0
	s_delay_alu instid0(VALU_DEP_3)
	v_dual_add_nc_u32 v10, v64, v53 :: v_dual_add_nc_u32 v11, v65, v55
	s_not_b32 s3, s12
	ds_store_b8 v6, v37 offset:128
	ds_store_b8 v10, v8 offset:128
	;; [unrolled: 1-line block ×4, first 2 shown]
	s_and_saveexec_b32 s4, s2
	s_cbranch_execz .LBB364_137
; %bb.128:
	v_lshl_add_u32 v6, s19, 4, v0
	v_dual_mov_b32 v10, 0 :: v_dual_bitop2_b32 v11, 2.0, v4 bitop3:0x54
	s_mov_b32 s5, 0
	s_mov_b32 s6, s19
	s_delay_alu instid0(VALU_DEP_2)
	v_lshl_add_u64 v[8:9], v[6:7], 2, s[20:21]
	global_store_b32 v6, v11, s[20:21] scale_offset scope:SCOPE_DEV
                                        ; implicit-def: $sgpr2
	s_branch .LBB364_131
.LBB364_129:                            ;   in Loop: Header=BB364_131 Depth=1
	s_or_b32 exec_lo, exec_lo, s12
.LBB364_130:                            ;   in Loop: Header=BB364_131 Depth=1
	s_delay_alu instid0(SALU_CYCLE_1) | instskip(SKIP_2) | instid1(VALU_DEP_2)
	s_or_b32 exec_lo, exec_lo, s7
	v_and_b32_e32 v6, 0x3fffffff, v11
	v_cmp_gt_i32_e64 s2, -2.0, v11
	v_add_nc_u32_e32 v10, v6, v10
	s_and_b32 s7, exec_lo, s2
	s_delay_alu instid0(SALU_CYCLE_1) | instskip(NEXT) | instid1(SALU_CYCLE_1)
	s_or_b32 s5, s7, s5
	s_and_not1_b32 exec_lo, exec_lo, s5
	s_cbranch_execz .LBB364_136
.LBB364_131:                            ; =>This Loop Header: Depth=1
                                        ;     Child Loop BB364_134 Depth 2
	s_or_b32 s2, s2, exec_lo
	s_cmp_eq_u32 s6, 0
	s_cbranch_scc1 .LBB364_135
; %bb.132:                              ;   in Loop: Header=BB364_131 Depth=1
	s_add_co_i32 s6, s6, -1
	s_mov_b32 s7, exec_lo
	s_wait_xcnt 0x0
	v_lshl_or_b32 v6, s6, 4, v0
	global_load_b32 v11, v6, s[20:21] scale_offset scope:SCOPE_DEV
	s_wait_loadcnt 0x0
	v_cmpx_gt_u32_e32 2.0, v11
	s_cbranch_execz .LBB364_130
; %bb.133:                              ;   in Loop: Header=BB364_131 Depth=1
	v_lshl_add_u64 v[12:13], v[6:7], 2, s[20:21]
	s_mov_b32 s12, 0
.LBB364_134:                            ;   Parent Loop BB364_131 Depth=1
                                        ; =>  This Inner Loop Header: Depth=2
	global_load_b32 v11, v[12:13], off scope:SCOPE_DEV
	s_wait_loadcnt 0x0
	v_cmp_lt_u32_e64 s2, 0x3fffffff, v11
	s_or_b32 s12, s2, s12
	s_wait_xcnt 0x0
	s_and_not1_b32 exec_lo, exec_lo, s12
	s_cbranch_execnz .LBB364_134
	s_branch .LBB364_129
.LBB364_135:                            ;   in Loop: Header=BB364_131 Depth=1
                                        ; implicit-def: $sgpr6
	s_and_b32 s7, exec_lo, s2
	s_delay_alu instid0(SALU_CYCLE_1)
	s_or_b32 s5, s7, s5
	s_wait_xcnt 0x0
	s_and_not1_b32 exec_lo, exec_lo, s5
	s_cbranch_execnz .LBB364_131
.LBB364_136:
	s_or_b32 exec_lo, exec_lo, s5
	v_dual_mov_b32 v11, 0 :: v_dual_add_nc_u32 v6, v10, v4
	s_delay_alu instid0(VALU_DEP_1) | instskip(SKIP_4) | instid1(VALU_DEP_1)
	v_or_b32_e32 v6, 0x80000000, v6
	global_store_b32 v[8:9], v6, off scope:SCOPE_DEV
	global_load_b64 v[6:7], v0, s[8:9] scale_offset
	v_sub_nc_u64_e32 v[8:9], v[10:11], v[2:3]
	s_wait_loadcnt 0x0
	v_add_nc_u64_e32 v[6:7], v[8:9], v[6:7]
	ds_store_b64 v5, v[6:7]
.LBB364_137:
	s_wait_xcnt 0x0
	s_or_b32 exec_lo, exec_lo, s4
	s_wait_storecnt_dscnt 0x0
	s_barrier_signal -1
	s_barrier_wait -1
	ds_load_u8 v26, v0 offset:20608
	ds_load_u8 v27, v0 offset:21632
	;; [unrolled: 1-line block ×22, first 2 shown]
	s_wait_dscnt 0xf
	v_and_b32_e32 v12, 0xff, v10
	v_xor_b32_e32 v45, 0x7f, v10
	s_wait_dscnt 0xe
	v_and_b32_e32 v10, 0xff, v30
	s_wait_dscnt 0xd
	v_and_b32_e32 v18, 0xff, v31
	v_and_b32_e32 v6, 0xff, v26
	;; [unrolled: 1-line block ×5, first 2 shown]
	v_dual_lshrrev_b32 v12, s16, v12 :: v_dual_lshrrev_b32 v10, s16, v10
	s_delay_alu instid0(VALU_DEP_4) | instskip(NEXT) | instid1(VALU_DEP_3)
	v_dual_lshrrev_b32 v6, s16, v6 :: v_dual_lshrrev_b32 v7, s16, v7
	v_dual_lshrrev_b32 v13, s16, v13 :: v_dual_lshrrev_b32 v11, s16, v11
	s_delay_alu instid0(VALU_DEP_3) | instskip(NEXT) | instid1(VALU_DEP_4)
	v_and_b32_e32 v10, s3, v10
	v_and_b32_e32 v12, s3, v12
	s_delay_alu instid0(VALU_DEP_4) | instskip(SKIP_4) | instid1(VALU_DEP_4)
	v_and_b32_e32 v7, s3, v7
	v_and_b32_e32 v6, s3, v6
	;; [unrolled: 1-line block ×4, first 2 shown]
	v_xor_b32_e32 v24, 0x7f, v8
	v_dual_lshlrev_b32 v9, 3, v7 :: v_dual_lshlrev_b32 v6, 3, v6
	s_delay_alu instid0(VALU_DEP_3)
	v_dual_lshlrev_b32 v14, 3, v11 :: v_dual_lshlrev_b32 v13, 3, v13
	ds_load_b64 v[6:7], v6
	ds_load_b64 v[8:9], v9
	v_dual_lshlrev_b32 v16, 3, v10 :: v_dual_lshlrev_b32 v15, 3, v12
	ds_load_b64 v[10:11], v13
	ds_load_b64 v[12:13], v14
	s_wait_dscnt 0x10
	v_and_b32_e32 v19, 0xff, v32
	s_wait_dscnt 0xf
	v_and_b32_e32 v21, 0xff, v33
	;; [unrolled: 2-line block ×3, first 2 shown]
	v_lshrrev_b32_e32 v18, s16, v18
	ds_load_b64 v[14:15], v15
	ds_load_b64 v[16:17], v16
	v_lshrrev_b32_e32 v19, s16, v19
	s_wait_dscnt 0xf
	v_and_b32_e32 v23, 0xff, v35
	s_wait_dscnt 0xe
	v_and_b32_e32 v25, 0xff, v36
	v_dual_lshrrev_b32 v21, s16, v21 :: v_dual_lshrrev_b32 v22, s16, v22
	v_and_b32_e32 v19, s3, v19
	v_and_b32_e32 v18, s3, v18
	s_wait_dscnt 0xd
	v_and_b32_e32 v46, 0xff, v37
	v_dual_lshrrev_b32 v23, s16, v23 :: v_dual_lshrrev_b32 v25, s16, v25
	v_and_b32_e32 v48, s3, v22
	v_dual_lshlrev_b32 v22, 3, v19 :: v_dual_bitop2_b32 v21, s3, v21 bitop3:0x40
	v_lshlrev_b32_e32 v18, 3, v18
	s_wait_dscnt 0x3
	v_add_nc_u64_e32 v[10:11], s[14:15], v[10:11]
	s_wait_dscnt 0x2
	v_add_nc_u64_e32 v[12:13], s[14:15], v[12:13]
	v_dual_lshrrev_b32 v46, s16, v46 :: v_dual_bitop2_b32 v25, s3, v25 bitop3:0x40
	v_dual_lshlrev_b32 v23, 3, v21 :: v_dual_bitop2_b32 v49, s3, v23 bitop3:0x40
	ds_load_b64 v[18:19], v18
	v_add_nc_u64_e32 v[10:11], v[10:11], v[0:1]
	v_add_nc_u64_e32 v[12:13], v[12:13], v[0:1]
	v_xor_b32_e32 v50, 0x7f, v20
	ds_load_b64 v[20:21], v22
	ds_load_b64 v[22:23], v23
	v_and_b32_e32 v47, 0xff, v38
	s_wait_dscnt 0x4
	v_add_nc_u64_e32 v[14:15], s[14:15], v[14:15]
	s_wait_dscnt 0x3
	v_add_nc_u64_e32 v[16:17], s[14:15], v[16:17]
	s_clause 0x1
	global_store_b8 v[10:11], v50, off
	global_store_b8 v[12:13], v24, off offset:1024
	s_wait_xcnt 0x0
	v_dual_lshlrev_b32 v10, 3, v48 :: v_dual_lshlrev_b32 v24, 3, v25
	v_dual_lshlrev_b32 v12, 3, v49 :: v_dual_lshrrev_b32 v47, s16, v47
	v_add_nc_u64_e32 v[14:15], v[14:15], v[0:1]
	ds_load_b64 v[10:11], v10
	ds_load_b64 v[12:13], v12
	;; [unrolled: 1-line block ×3, first 2 shown]
	v_and_b32_e32 v46, s3, v46
	v_and_b32_e32 v47, s3, v47
	v_add_nc_u64_e32 v[16:17], v[16:17], v[0:1]
	v_xor_b32_e32 v30, 0x7f, v30
	global_store_b8 v[14:15], v45, off offset:2048
	s_wait_xcnt 0x0
	v_lshlrev_b32_e32 v45, 3, v46
	s_wait_dscnt 0x5
	v_add_nc_u64_e32 v[14:15], s[14:15], v[18:19]
	v_lshlrev_b32_e32 v46, 3, v47
	s_wait_dscnt 0x3
	v_add_nc_u64_e32 v[18:19], s[14:15], v[22:23]
	global_store_b8 v[16:17], v30, off offset:3072
	s_wait_xcnt 0x0
	v_add_nc_u64_e32 v[16:17], s[14:15], v[20:21]
	ds_load_b64 v[20:21], v45
	ds_load_b64 v[22:23], v46
	v_xor_b32_e32 v30, 0x7f, v31
	v_add_nc_u64_e32 v[14:15], v[14:15], v[0:1]
	v_xor_b32_e32 v31, 0x7f, v32
	v_add_nc_u64_e32 v[18:19], v[18:19], v[0:1]
	v_xor_b32_e32 v32, 0x7f, v33
	s_wait_dscnt 0x4
	v_add_nc_u64_e32 v[10:11], s[14:15], v[10:11]
	s_wait_dscnt 0x3
	v_add_nc_u64_e32 v[12:13], s[14:15], v[12:13]
	v_add_nc_u64_e32 v[16:17], v[16:17], v[0:1]
	global_store_b8 v[14:15], v30, off offset:4096
	s_wait_dscnt 0x2
	s_wait_xcnt 0x0
	v_add_nc_u64_e32 v[14:15], s[14:15], v[24:25]
	s_clause 0x1
	global_store_b8 v[16:17], v31, off offset:5120
	global_store_b8 v[18:19], v32, off offset:6144
	v_add_nc_u64_e32 v[10:11], v[10:11], v[0:1]
	v_add_nc_u64_e32 v[14:15], v[14:15], v[0:1]
	;; [unrolled: 1-line block ×3, first 2 shown]
	v_xor_b32_e32 v24, 0x7f, v34
	v_xor_b32_e32 v30, 0x7f, v36
	s_wait_dscnt 0x1
	s_wait_xcnt 0x1
	v_add_nc_u64_e32 v[16:17], s[14:15], v[20:21]
	v_and_b32_e32 v20, 0xff, v39
	v_xor_b32_e32 v25, 0x7f, v35
	s_clause 0x2
	global_store_b8 v[10:11], v24, off offset:7168
	global_store_b8 v[12:13], v25, off offset:8192
	;; [unrolled: 1-line block ×3, first 2 shown]
	s_wait_xcnt 0x0
	v_lshrrev_b32_e32 v14, s16, v20
	v_and_b32_e32 v15, 0xff, v40
	s_wait_dscnt 0x0
	v_add_nc_u64_e32 v[18:19], s[14:15], v[22:23]
	v_add_nc_u64_e32 v[10:11], v[16:17], v[0:1]
	v_and_b32_e32 v16, 0xff, v41
	v_and_b32_e32 v17, 0xff, v42
	v_dual_lshrrev_b32 v15, s16, v15 :: v_dual_bitop2_b32 v14, s3, v14 bitop3:0x40
	v_and_b32_e32 v23, 0xff, v44
	v_add_nc_u64_e32 v[12:13], v[18:19], v[0:1]
	v_and_b32_e32 v18, 0xff, v43
	v_dual_lshrrev_b32 v16, s16, v16 :: v_dual_lshrrev_b32 v17, s16, v17
	v_dual_lshlrev_b32 v14, 3, v14 :: v_dual_bitop2_b32 v19, s3, v15 bitop3:0x40
	s_delay_alu instid0(VALU_DEP_2)
	v_dual_lshrrev_b32 v18, s16, v18 :: v_dual_bitop2_b32 v16, s3, v16 bitop3:0x40
	v_and_b32_e32 v25, 0xff, v28
	ds_load_b64 v[14:15], v14
	v_dual_lshlrev_b32 v19, 3, v19 :: v_dual_bitop2_b32 v17, s3, v17 bitop3:0x40
	v_dual_lshlrev_b32 v20, 3, v16 :: v_dual_bitop2_b32 v18, s3, v18 bitop3:0x40
	v_and_b32_e32 v30, 0xff, v29
	v_xor_b32_e32 v24, 0x7f, v37
	s_delay_alu instid0(VALU_DEP_4) | instskip(NEXT) | instid1(VALU_DEP_4)
	v_dual_lshlrev_b32 v21, 3, v17 :: v_dual_lshrrev_b32 v31, s16, v23
	v_lshlrev_b32_e32 v22, 3, v18
	ds_load_b64 v[16:17], v19
	ds_load_b64 v[18:19], v20
	ds_load_b64 v[20:21], v21
	v_dual_lshrrev_b32 v25, s16, v25 :: v_dual_lshrrev_b32 v30, s16, v30
	v_xor_b32_e32 v32, 0x7f, v38
	global_store_b8 v[10:11], v24, off offset:10240
	ds_load_b64 v[22:23], v22
	s_wait_xcnt 0x0
	v_and_b32_e32 v10, s3, v25
	v_and_b32_e32 v31, s3, v31
	global_store_b8 v[12:13], v32, off offset:11264
	s_wait_xcnt 0x0
	v_and_b32_e32 v12, s3, v30
	v_xor_b32_e32 v30, 0x7f, v39
	v_dual_lshlrev_b32 v24, 3, v10 :: v_dual_lshlrev_b32 v13, 3, v31
	s_wait_dscnt 0x4
	v_add_nc_u64_e32 v[10:11], s[14:15], v[14:15]
	v_lshlrev_b32_e32 v25, 3, v12
	v_xor_b32_e32 v31, 0x7f, v40
	v_xor_b32_e32 v32, 0x7f, v41
	;; [unrolled: 1-line block ×3, first 2 shown]
	s_wait_dscnt 0x3
	v_add_nc_u64_e32 v[14:15], s[14:15], v[16:17]
	ds_load_b64 v[16:17], v24
	ds_load_b64 v[12:13], v13
	;; [unrolled: 1-line block ×3, first 2 shown]
	s_wait_dscnt 0x5
	v_add_nc_u64_e32 v[18:19], s[14:15], v[18:19]
	s_wait_dscnt 0x4
	v_add_nc_u64_e32 v[20:21], s[14:15], v[20:21]
	v_add_nc_u64_e32 v[10:11], v[10:11], v[0:1]
	v_add_nc_u64_e32 v[14:15], v[14:15], v[0:1]
	s_wait_dscnt 0x3
	v_add_nc_u64_e32 v[22:23], s[14:15], v[22:23]
	v_add_nc_u64_e32 v[6:7], s[14:15], v[6:7]
	;; [unrolled: 1-line block ×5, first 2 shown]
	s_clause 0x3
	global_store_b8 v[10:11], v30, off offset:12288
	global_store_b8 v[14:15], v31, off offset:13312
	;; [unrolled: 1-line block ×4, first 2 shown]
	v_add_nc_u64_e32 v[22:23], v[22:23], v[0:1]
	s_wait_xcnt 0x3
	v_xor_b32_e32 v30, 0x7f, v43
	v_add_nc_u64_e32 v[6:7], v[6:7], v[0:1]
	s_wait_xcnt 0x1
	v_xor_b32_e32 v18, 0x7f, v29
	s_wait_dscnt 0x1
	v_add_nc_u64_e32 v[10:11], s[14:15], v[12:13]
	v_add_nc_u64_e32 v[12:13], s[14:15], v[16:17]
	s_wait_dscnt 0x0
	v_add_nc_u64_e32 v[14:15], s[14:15], v[24:25]
	v_xor_b32_e32 v16, 0x7f, v44
	v_xor_b32_e32 v17, 0x7f, v28
	v_add_nc_u64_e32 v[8:9], v[8:9], v[0:1]
	v_xor_b32_e32 v19, 0x7f, v27
	v_add_nc_u64_e32 v[10:11], v[10:11], v[0:1]
	v_add_nc_u64_e32 v[12:13], v[12:13], v[0:1]
	;; [unrolled: 1-line block ×3, first 2 shown]
	v_xor_b32_e32 v1, 0x7f, v26
	s_clause 0x5
	global_store_b8 v[22:23], v30, off offset:16384
	global_store_b8 v[10:11], v16, off offset:17408
	;; [unrolled: 1-line block ×6, first 2 shown]
	s_load_b32 s0, s[0:1], 0x58
	s_wait_kmcnt 0x0
	s_add_co_i32 s0, s0, -1
	s_delay_alu instid0(SALU_CYCLE_1) | instskip(SKIP_2) | instid1(SALU_CYCLE_1)
	s_cmp_eq_u32 s19, s0
	s_cselect_b32 s0, -1, 0
	s_xor_b32 s1, vcc_lo, -1
	s_and_b32 s0, s1, s0
	s_delay_alu instid0(SALU_CYCLE_1)
	s_and_saveexec_b32 s1, s0
	s_cbranch_execz .LBB364_139
; %bb.138:
	ds_load_b64 v[6:7], v5
	v_mov_b32_e32 v5, 0
	s_delay_alu instid0(VALU_DEP_1) | instskip(SKIP_1) | instid1(VALU_DEP_1)
	v_add_nc_u64_e32 v[2:3], v[2:3], v[4:5]
	s_wait_dscnt 0x0
	v_add_nc_u64_e32 v[2:3], v[2:3], v[6:7]
	global_store_b64 v0, v[2:3], s[10:11] scale_offset
.LBB364_139:
	s_sendmsg sendmsg(MSG_DEALLOC_VGPRS)
	s_endpgm
	.section	.rodata,"a",@progbits
	.p2align	6, 0x0
	.amdhsa_kernel _ZN7rocprim17ROCPRIM_400000_NS6detail17trampoline_kernelINS0_14default_configENS1_35radix_sort_onesweep_config_selectorIaNS0_10empty_typeEEEZZNS1_29radix_sort_onesweep_iterationIS3_Lb1EPKaPaPS5_SB_mNS0_19identity_decomposerENS1_16block_id_wrapperIjLb1EEEEE10hipError_tT1_PNSt15iterator_traitsISG_E10value_typeET2_T3_PNSH_ISM_E10value_typeET4_T5_PSR_SS_PNS1_23onesweep_lookback_stateEbbT6_jjT7_P12ihipStream_tbENKUlT_T0_SG_SL_E_clISA_SA_SB_SB_EEDaSZ_S10_SG_SL_EUlSZ_E_NS1_11comp_targetILNS1_3genE0ELNS1_11target_archE4294967295ELNS1_3gpuE0ELNS1_3repE0EEENS1_47radix_sort_onesweep_sort_config_static_selectorELNS0_4arch9wavefront6targetE0EEEvSG_
		.amdhsa_group_segment_fixed_size 32904
		.amdhsa_private_segment_fixed_size 0
		.amdhsa_kernarg_size 344
		.amdhsa_user_sgpr_count 2
		.amdhsa_user_sgpr_dispatch_ptr 0
		.amdhsa_user_sgpr_queue_ptr 0
		.amdhsa_user_sgpr_kernarg_segment_ptr 1
		.amdhsa_user_sgpr_dispatch_id 0
		.amdhsa_user_sgpr_kernarg_preload_length 0
		.amdhsa_user_sgpr_kernarg_preload_offset 0
		.amdhsa_user_sgpr_private_segment_size 0
		.amdhsa_wavefront_size32 1
		.amdhsa_uses_dynamic_stack 0
		.amdhsa_enable_private_segment 0
		.amdhsa_system_sgpr_workgroup_id_x 1
		.amdhsa_system_sgpr_workgroup_id_y 0
		.amdhsa_system_sgpr_workgroup_id_z 0
		.amdhsa_system_sgpr_workgroup_info 0
		.amdhsa_system_vgpr_workitem_id 0
		.amdhsa_next_free_vgpr 79
		.amdhsa_next_free_sgpr 25
		.amdhsa_named_barrier_count 0
		.amdhsa_reserve_vcc 1
		.amdhsa_float_round_mode_32 0
		.amdhsa_float_round_mode_16_64 0
		.amdhsa_float_denorm_mode_32 3
		.amdhsa_float_denorm_mode_16_64 3
		.amdhsa_fp16_overflow 0
		.amdhsa_memory_ordered 1
		.amdhsa_forward_progress 1
		.amdhsa_inst_pref_size 117
		.amdhsa_round_robin_scheduling 0
		.amdhsa_exception_fp_ieee_invalid_op 0
		.amdhsa_exception_fp_denorm_src 0
		.amdhsa_exception_fp_ieee_div_zero 0
		.amdhsa_exception_fp_ieee_overflow 0
		.amdhsa_exception_fp_ieee_underflow 0
		.amdhsa_exception_fp_ieee_inexact 0
		.amdhsa_exception_int_div_zero 0
	.end_amdhsa_kernel
	.section	.text._ZN7rocprim17ROCPRIM_400000_NS6detail17trampoline_kernelINS0_14default_configENS1_35radix_sort_onesweep_config_selectorIaNS0_10empty_typeEEEZZNS1_29radix_sort_onesweep_iterationIS3_Lb1EPKaPaPS5_SB_mNS0_19identity_decomposerENS1_16block_id_wrapperIjLb1EEEEE10hipError_tT1_PNSt15iterator_traitsISG_E10value_typeET2_T3_PNSH_ISM_E10value_typeET4_T5_PSR_SS_PNS1_23onesweep_lookback_stateEbbT6_jjT7_P12ihipStream_tbENKUlT_T0_SG_SL_E_clISA_SA_SB_SB_EEDaSZ_S10_SG_SL_EUlSZ_E_NS1_11comp_targetILNS1_3genE0ELNS1_11target_archE4294967295ELNS1_3gpuE0ELNS1_3repE0EEENS1_47radix_sort_onesweep_sort_config_static_selectorELNS0_4arch9wavefront6targetE0EEEvSG_,"axG",@progbits,_ZN7rocprim17ROCPRIM_400000_NS6detail17trampoline_kernelINS0_14default_configENS1_35radix_sort_onesweep_config_selectorIaNS0_10empty_typeEEEZZNS1_29radix_sort_onesweep_iterationIS3_Lb1EPKaPaPS5_SB_mNS0_19identity_decomposerENS1_16block_id_wrapperIjLb1EEEEE10hipError_tT1_PNSt15iterator_traitsISG_E10value_typeET2_T3_PNSH_ISM_E10value_typeET4_T5_PSR_SS_PNS1_23onesweep_lookback_stateEbbT6_jjT7_P12ihipStream_tbENKUlT_T0_SG_SL_E_clISA_SA_SB_SB_EEDaSZ_S10_SG_SL_EUlSZ_E_NS1_11comp_targetILNS1_3genE0ELNS1_11target_archE4294967295ELNS1_3gpuE0ELNS1_3repE0EEENS1_47radix_sort_onesweep_sort_config_static_selectorELNS0_4arch9wavefront6targetE0EEEvSG_,comdat
.Lfunc_end364:
	.size	_ZN7rocprim17ROCPRIM_400000_NS6detail17trampoline_kernelINS0_14default_configENS1_35radix_sort_onesweep_config_selectorIaNS0_10empty_typeEEEZZNS1_29radix_sort_onesweep_iterationIS3_Lb1EPKaPaPS5_SB_mNS0_19identity_decomposerENS1_16block_id_wrapperIjLb1EEEEE10hipError_tT1_PNSt15iterator_traitsISG_E10value_typeET2_T3_PNSH_ISM_E10value_typeET4_T5_PSR_SS_PNS1_23onesweep_lookback_stateEbbT6_jjT7_P12ihipStream_tbENKUlT_T0_SG_SL_E_clISA_SA_SB_SB_EEDaSZ_S10_SG_SL_EUlSZ_E_NS1_11comp_targetILNS1_3genE0ELNS1_11target_archE4294967295ELNS1_3gpuE0ELNS1_3repE0EEENS1_47radix_sort_onesweep_sort_config_static_selectorELNS0_4arch9wavefront6targetE0EEEvSG_, .Lfunc_end364-_ZN7rocprim17ROCPRIM_400000_NS6detail17trampoline_kernelINS0_14default_configENS1_35radix_sort_onesweep_config_selectorIaNS0_10empty_typeEEEZZNS1_29radix_sort_onesweep_iterationIS3_Lb1EPKaPaPS5_SB_mNS0_19identity_decomposerENS1_16block_id_wrapperIjLb1EEEEE10hipError_tT1_PNSt15iterator_traitsISG_E10value_typeET2_T3_PNSH_ISM_E10value_typeET4_T5_PSR_SS_PNS1_23onesweep_lookback_stateEbbT6_jjT7_P12ihipStream_tbENKUlT_T0_SG_SL_E_clISA_SA_SB_SB_EEDaSZ_S10_SG_SL_EUlSZ_E_NS1_11comp_targetILNS1_3genE0ELNS1_11target_archE4294967295ELNS1_3gpuE0ELNS1_3repE0EEENS1_47radix_sort_onesweep_sort_config_static_selectorELNS0_4arch9wavefront6targetE0EEEvSG_
                                        ; -- End function
	.set _ZN7rocprim17ROCPRIM_400000_NS6detail17trampoline_kernelINS0_14default_configENS1_35radix_sort_onesweep_config_selectorIaNS0_10empty_typeEEEZZNS1_29radix_sort_onesweep_iterationIS3_Lb1EPKaPaPS5_SB_mNS0_19identity_decomposerENS1_16block_id_wrapperIjLb1EEEEE10hipError_tT1_PNSt15iterator_traitsISG_E10value_typeET2_T3_PNSH_ISM_E10value_typeET4_T5_PSR_SS_PNS1_23onesweep_lookback_stateEbbT6_jjT7_P12ihipStream_tbENKUlT_T0_SG_SL_E_clISA_SA_SB_SB_EEDaSZ_S10_SG_SL_EUlSZ_E_NS1_11comp_targetILNS1_3genE0ELNS1_11target_archE4294967295ELNS1_3gpuE0ELNS1_3repE0EEENS1_47radix_sort_onesweep_sort_config_static_selectorELNS0_4arch9wavefront6targetE0EEEvSG_.num_vgpr, 79
	.set _ZN7rocprim17ROCPRIM_400000_NS6detail17trampoline_kernelINS0_14default_configENS1_35radix_sort_onesweep_config_selectorIaNS0_10empty_typeEEEZZNS1_29radix_sort_onesweep_iterationIS3_Lb1EPKaPaPS5_SB_mNS0_19identity_decomposerENS1_16block_id_wrapperIjLb1EEEEE10hipError_tT1_PNSt15iterator_traitsISG_E10value_typeET2_T3_PNSH_ISM_E10value_typeET4_T5_PSR_SS_PNS1_23onesweep_lookback_stateEbbT6_jjT7_P12ihipStream_tbENKUlT_T0_SG_SL_E_clISA_SA_SB_SB_EEDaSZ_S10_SG_SL_EUlSZ_E_NS1_11comp_targetILNS1_3genE0ELNS1_11target_archE4294967295ELNS1_3gpuE0ELNS1_3repE0EEENS1_47radix_sort_onesweep_sort_config_static_selectorELNS0_4arch9wavefront6targetE0EEEvSG_.num_agpr, 0
	.set _ZN7rocprim17ROCPRIM_400000_NS6detail17trampoline_kernelINS0_14default_configENS1_35radix_sort_onesweep_config_selectorIaNS0_10empty_typeEEEZZNS1_29radix_sort_onesweep_iterationIS3_Lb1EPKaPaPS5_SB_mNS0_19identity_decomposerENS1_16block_id_wrapperIjLb1EEEEE10hipError_tT1_PNSt15iterator_traitsISG_E10value_typeET2_T3_PNSH_ISM_E10value_typeET4_T5_PSR_SS_PNS1_23onesweep_lookback_stateEbbT6_jjT7_P12ihipStream_tbENKUlT_T0_SG_SL_E_clISA_SA_SB_SB_EEDaSZ_S10_SG_SL_EUlSZ_E_NS1_11comp_targetILNS1_3genE0ELNS1_11target_archE4294967295ELNS1_3gpuE0ELNS1_3repE0EEENS1_47radix_sort_onesweep_sort_config_static_selectorELNS0_4arch9wavefront6targetE0EEEvSG_.numbered_sgpr, 25
	.set _ZN7rocprim17ROCPRIM_400000_NS6detail17trampoline_kernelINS0_14default_configENS1_35radix_sort_onesweep_config_selectorIaNS0_10empty_typeEEEZZNS1_29radix_sort_onesweep_iterationIS3_Lb1EPKaPaPS5_SB_mNS0_19identity_decomposerENS1_16block_id_wrapperIjLb1EEEEE10hipError_tT1_PNSt15iterator_traitsISG_E10value_typeET2_T3_PNSH_ISM_E10value_typeET4_T5_PSR_SS_PNS1_23onesweep_lookback_stateEbbT6_jjT7_P12ihipStream_tbENKUlT_T0_SG_SL_E_clISA_SA_SB_SB_EEDaSZ_S10_SG_SL_EUlSZ_E_NS1_11comp_targetILNS1_3genE0ELNS1_11target_archE4294967295ELNS1_3gpuE0ELNS1_3repE0EEENS1_47radix_sort_onesweep_sort_config_static_selectorELNS0_4arch9wavefront6targetE0EEEvSG_.num_named_barrier, 0
	.set _ZN7rocprim17ROCPRIM_400000_NS6detail17trampoline_kernelINS0_14default_configENS1_35radix_sort_onesweep_config_selectorIaNS0_10empty_typeEEEZZNS1_29radix_sort_onesweep_iterationIS3_Lb1EPKaPaPS5_SB_mNS0_19identity_decomposerENS1_16block_id_wrapperIjLb1EEEEE10hipError_tT1_PNSt15iterator_traitsISG_E10value_typeET2_T3_PNSH_ISM_E10value_typeET4_T5_PSR_SS_PNS1_23onesweep_lookback_stateEbbT6_jjT7_P12ihipStream_tbENKUlT_T0_SG_SL_E_clISA_SA_SB_SB_EEDaSZ_S10_SG_SL_EUlSZ_E_NS1_11comp_targetILNS1_3genE0ELNS1_11target_archE4294967295ELNS1_3gpuE0ELNS1_3repE0EEENS1_47radix_sort_onesweep_sort_config_static_selectorELNS0_4arch9wavefront6targetE0EEEvSG_.private_seg_size, 0
	.set _ZN7rocprim17ROCPRIM_400000_NS6detail17trampoline_kernelINS0_14default_configENS1_35radix_sort_onesweep_config_selectorIaNS0_10empty_typeEEEZZNS1_29radix_sort_onesweep_iterationIS3_Lb1EPKaPaPS5_SB_mNS0_19identity_decomposerENS1_16block_id_wrapperIjLb1EEEEE10hipError_tT1_PNSt15iterator_traitsISG_E10value_typeET2_T3_PNSH_ISM_E10value_typeET4_T5_PSR_SS_PNS1_23onesweep_lookback_stateEbbT6_jjT7_P12ihipStream_tbENKUlT_T0_SG_SL_E_clISA_SA_SB_SB_EEDaSZ_S10_SG_SL_EUlSZ_E_NS1_11comp_targetILNS1_3genE0ELNS1_11target_archE4294967295ELNS1_3gpuE0ELNS1_3repE0EEENS1_47radix_sort_onesweep_sort_config_static_selectorELNS0_4arch9wavefront6targetE0EEEvSG_.uses_vcc, 1
	.set _ZN7rocprim17ROCPRIM_400000_NS6detail17trampoline_kernelINS0_14default_configENS1_35radix_sort_onesweep_config_selectorIaNS0_10empty_typeEEEZZNS1_29radix_sort_onesweep_iterationIS3_Lb1EPKaPaPS5_SB_mNS0_19identity_decomposerENS1_16block_id_wrapperIjLb1EEEEE10hipError_tT1_PNSt15iterator_traitsISG_E10value_typeET2_T3_PNSH_ISM_E10value_typeET4_T5_PSR_SS_PNS1_23onesweep_lookback_stateEbbT6_jjT7_P12ihipStream_tbENKUlT_T0_SG_SL_E_clISA_SA_SB_SB_EEDaSZ_S10_SG_SL_EUlSZ_E_NS1_11comp_targetILNS1_3genE0ELNS1_11target_archE4294967295ELNS1_3gpuE0ELNS1_3repE0EEENS1_47radix_sort_onesweep_sort_config_static_selectorELNS0_4arch9wavefront6targetE0EEEvSG_.uses_flat_scratch, 0
	.set _ZN7rocprim17ROCPRIM_400000_NS6detail17trampoline_kernelINS0_14default_configENS1_35radix_sort_onesweep_config_selectorIaNS0_10empty_typeEEEZZNS1_29radix_sort_onesweep_iterationIS3_Lb1EPKaPaPS5_SB_mNS0_19identity_decomposerENS1_16block_id_wrapperIjLb1EEEEE10hipError_tT1_PNSt15iterator_traitsISG_E10value_typeET2_T3_PNSH_ISM_E10value_typeET4_T5_PSR_SS_PNS1_23onesweep_lookback_stateEbbT6_jjT7_P12ihipStream_tbENKUlT_T0_SG_SL_E_clISA_SA_SB_SB_EEDaSZ_S10_SG_SL_EUlSZ_E_NS1_11comp_targetILNS1_3genE0ELNS1_11target_archE4294967295ELNS1_3gpuE0ELNS1_3repE0EEENS1_47radix_sort_onesweep_sort_config_static_selectorELNS0_4arch9wavefront6targetE0EEEvSG_.has_dyn_sized_stack, 0
	.set _ZN7rocprim17ROCPRIM_400000_NS6detail17trampoline_kernelINS0_14default_configENS1_35radix_sort_onesweep_config_selectorIaNS0_10empty_typeEEEZZNS1_29radix_sort_onesweep_iterationIS3_Lb1EPKaPaPS5_SB_mNS0_19identity_decomposerENS1_16block_id_wrapperIjLb1EEEEE10hipError_tT1_PNSt15iterator_traitsISG_E10value_typeET2_T3_PNSH_ISM_E10value_typeET4_T5_PSR_SS_PNS1_23onesweep_lookback_stateEbbT6_jjT7_P12ihipStream_tbENKUlT_T0_SG_SL_E_clISA_SA_SB_SB_EEDaSZ_S10_SG_SL_EUlSZ_E_NS1_11comp_targetILNS1_3genE0ELNS1_11target_archE4294967295ELNS1_3gpuE0ELNS1_3repE0EEENS1_47radix_sort_onesweep_sort_config_static_selectorELNS0_4arch9wavefront6targetE0EEEvSG_.has_recursion, 0
	.set _ZN7rocprim17ROCPRIM_400000_NS6detail17trampoline_kernelINS0_14default_configENS1_35radix_sort_onesweep_config_selectorIaNS0_10empty_typeEEEZZNS1_29radix_sort_onesweep_iterationIS3_Lb1EPKaPaPS5_SB_mNS0_19identity_decomposerENS1_16block_id_wrapperIjLb1EEEEE10hipError_tT1_PNSt15iterator_traitsISG_E10value_typeET2_T3_PNSH_ISM_E10value_typeET4_T5_PSR_SS_PNS1_23onesweep_lookback_stateEbbT6_jjT7_P12ihipStream_tbENKUlT_T0_SG_SL_E_clISA_SA_SB_SB_EEDaSZ_S10_SG_SL_EUlSZ_E_NS1_11comp_targetILNS1_3genE0ELNS1_11target_archE4294967295ELNS1_3gpuE0ELNS1_3repE0EEENS1_47radix_sort_onesweep_sort_config_static_selectorELNS0_4arch9wavefront6targetE0EEEvSG_.has_indirect_call, 0
	.section	.AMDGPU.csdata,"",@progbits
; Kernel info:
; codeLenInByte = 14888
; TotalNumSgprs: 27
; NumVgprs: 79
; ScratchSize: 0
; MemoryBound: 0
; FloatMode: 240
; IeeeMode: 1
; LDSByteSize: 32904 bytes/workgroup (compile time only)
; SGPRBlocks: 0
; VGPRBlocks: 4
; NumSGPRsForWavesPerEU: 27
; NumVGPRsForWavesPerEU: 79
; NamedBarCnt: 0
; Occupancy: 12
; WaveLimiterHint : 0
; COMPUTE_PGM_RSRC2:SCRATCH_EN: 0
; COMPUTE_PGM_RSRC2:USER_SGPR: 2
; COMPUTE_PGM_RSRC2:TRAP_HANDLER: 0
; COMPUTE_PGM_RSRC2:TGID_X_EN: 1
; COMPUTE_PGM_RSRC2:TGID_Y_EN: 0
; COMPUTE_PGM_RSRC2:TGID_Z_EN: 0
; COMPUTE_PGM_RSRC2:TIDIG_COMP_CNT: 0
	.section	.text._ZN7rocprim17ROCPRIM_400000_NS6detail17trampoline_kernelINS0_14default_configENS1_35radix_sort_onesweep_config_selectorIaNS0_10empty_typeEEEZZNS1_29radix_sort_onesweep_iterationIS3_Lb1EPKaPaPS5_SB_mNS0_19identity_decomposerENS1_16block_id_wrapperIjLb1EEEEE10hipError_tT1_PNSt15iterator_traitsISG_E10value_typeET2_T3_PNSH_ISM_E10value_typeET4_T5_PSR_SS_PNS1_23onesweep_lookback_stateEbbT6_jjT7_P12ihipStream_tbENKUlT_T0_SG_SL_E_clISA_SA_SB_SB_EEDaSZ_S10_SG_SL_EUlSZ_E_NS1_11comp_targetILNS1_3genE6ELNS1_11target_archE950ELNS1_3gpuE13ELNS1_3repE0EEENS1_47radix_sort_onesweep_sort_config_static_selectorELNS0_4arch9wavefront6targetE0EEEvSG_,"axG",@progbits,_ZN7rocprim17ROCPRIM_400000_NS6detail17trampoline_kernelINS0_14default_configENS1_35radix_sort_onesweep_config_selectorIaNS0_10empty_typeEEEZZNS1_29radix_sort_onesweep_iterationIS3_Lb1EPKaPaPS5_SB_mNS0_19identity_decomposerENS1_16block_id_wrapperIjLb1EEEEE10hipError_tT1_PNSt15iterator_traitsISG_E10value_typeET2_T3_PNSH_ISM_E10value_typeET4_T5_PSR_SS_PNS1_23onesweep_lookback_stateEbbT6_jjT7_P12ihipStream_tbENKUlT_T0_SG_SL_E_clISA_SA_SB_SB_EEDaSZ_S10_SG_SL_EUlSZ_E_NS1_11comp_targetILNS1_3genE6ELNS1_11target_archE950ELNS1_3gpuE13ELNS1_3repE0EEENS1_47radix_sort_onesweep_sort_config_static_selectorELNS0_4arch9wavefront6targetE0EEEvSG_,comdat
	.protected	_ZN7rocprim17ROCPRIM_400000_NS6detail17trampoline_kernelINS0_14default_configENS1_35radix_sort_onesweep_config_selectorIaNS0_10empty_typeEEEZZNS1_29radix_sort_onesweep_iterationIS3_Lb1EPKaPaPS5_SB_mNS0_19identity_decomposerENS1_16block_id_wrapperIjLb1EEEEE10hipError_tT1_PNSt15iterator_traitsISG_E10value_typeET2_T3_PNSH_ISM_E10value_typeET4_T5_PSR_SS_PNS1_23onesweep_lookback_stateEbbT6_jjT7_P12ihipStream_tbENKUlT_T0_SG_SL_E_clISA_SA_SB_SB_EEDaSZ_S10_SG_SL_EUlSZ_E_NS1_11comp_targetILNS1_3genE6ELNS1_11target_archE950ELNS1_3gpuE13ELNS1_3repE0EEENS1_47radix_sort_onesweep_sort_config_static_selectorELNS0_4arch9wavefront6targetE0EEEvSG_ ; -- Begin function _ZN7rocprim17ROCPRIM_400000_NS6detail17trampoline_kernelINS0_14default_configENS1_35radix_sort_onesweep_config_selectorIaNS0_10empty_typeEEEZZNS1_29radix_sort_onesweep_iterationIS3_Lb1EPKaPaPS5_SB_mNS0_19identity_decomposerENS1_16block_id_wrapperIjLb1EEEEE10hipError_tT1_PNSt15iterator_traitsISG_E10value_typeET2_T3_PNSH_ISM_E10value_typeET4_T5_PSR_SS_PNS1_23onesweep_lookback_stateEbbT6_jjT7_P12ihipStream_tbENKUlT_T0_SG_SL_E_clISA_SA_SB_SB_EEDaSZ_S10_SG_SL_EUlSZ_E_NS1_11comp_targetILNS1_3genE6ELNS1_11target_archE950ELNS1_3gpuE13ELNS1_3repE0EEENS1_47radix_sort_onesweep_sort_config_static_selectorELNS0_4arch9wavefront6targetE0EEEvSG_
	.globl	_ZN7rocprim17ROCPRIM_400000_NS6detail17trampoline_kernelINS0_14default_configENS1_35radix_sort_onesweep_config_selectorIaNS0_10empty_typeEEEZZNS1_29radix_sort_onesweep_iterationIS3_Lb1EPKaPaPS5_SB_mNS0_19identity_decomposerENS1_16block_id_wrapperIjLb1EEEEE10hipError_tT1_PNSt15iterator_traitsISG_E10value_typeET2_T3_PNSH_ISM_E10value_typeET4_T5_PSR_SS_PNS1_23onesweep_lookback_stateEbbT6_jjT7_P12ihipStream_tbENKUlT_T0_SG_SL_E_clISA_SA_SB_SB_EEDaSZ_S10_SG_SL_EUlSZ_E_NS1_11comp_targetILNS1_3genE6ELNS1_11target_archE950ELNS1_3gpuE13ELNS1_3repE0EEENS1_47radix_sort_onesweep_sort_config_static_selectorELNS0_4arch9wavefront6targetE0EEEvSG_
	.p2align	8
	.type	_ZN7rocprim17ROCPRIM_400000_NS6detail17trampoline_kernelINS0_14default_configENS1_35radix_sort_onesweep_config_selectorIaNS0_10empty_typeEEEZZNS1_29radix_sort_onesweep_iterationIS3_Lb1EPKaPaPS5_SB_mNS0_19identity_decomposerENS1_16block_id_wrapperIjLb1EEEEE10hipError_tT1_PNSt15iterator_traitsISG_E10value_typeET2_T3_PNSH_ISM_E10value_typeET4_T5_PSR_SS_PNS1_23onesweep_lookback_stateEbbT6_jjT7_P12ihipStream_tbENKUlT_T0_SG_SL_E_clISA_SA_SB_SB_EEDaSZ_S10_SG_SL_EUlSZ_E_NS1_11comp_targetILNS1_3genE6ELNS1_11target_archE950ELNS1_3gpuE13ELNS1_3repE0EEENS1_47radix_sort_onesweep_sort_config_static_selectorELNS0_4arch9wavefront6targetE0EEEvSG_,@function
_ZN7rocprim17ROCPRIM_400000_NS6detail17trampoline_kernelINS0_14default_configENS1_35radix_sort_onesweep_config_selectorIaNS0_10empty_typeEEEZZNS1_29radix_sort_onesweep_iterationIS3_Lb1EPKaPaPS5_SB_mNS0_19identity_decomposerENS1_16block_id_wrapperIjLb1EEEEE10hipError_tT1_PNSt15iterator_traitsISG_E10value_typeET2_T3_PNSH_ISM_E10value_typeET4_T5_PSR_SS_PNS1_23onesweep_lookback_stateEbbT6_jjT7_P12ihipStream_tbENKUlT_T0_SG_SL_E_clISA_SA_SB_SB_EEDaSZ_S10_SG_SL_EUlSZ_E_NS1_11comp_targetILNS1_3genE6ELNS1_11target_archE950ELNS1_3gpuE13ELNS1_3repE0EEENS1_47radix_sort_onesweep_sort_config_static_selectorELNS0_4arch9wavefront6targetE0EEEvSG_: ; @_ZN7rocprim17ROCPRIM_400000_NS6detail17trampoline_kernelINS0_14default_configENS1_35radix_sort_onesweep_config_selectorIaNS0_10empty_typeEEEZZNS1_29radix_sort_onesweep_iterationIS3_Lb1EPKaPaPS5_SB_mNS0_19identity_decomposerENS1_16block_id_wrapperIjLb1EEEEE10hipError_tT1_PNSt15iterator_traitsISG_E10value_typeET2_T3_PNSH_ISM_E10value_typeET4_T5_PSR_SS_PNS1_23onesweep_lookback_stateEbbT6_jjT7_P12ihipStream_tbENKUlT_T0_SG_SL_E_clISA_SA_SB_SB_EEDaSZ_S10_SG_SL_EUlSZ_E_NS1_11comp_targetILNS1_3genE6ELNS1_11target_archE950ELNS1_3gpuE13ELNS1_3repE0EEENS1_47radix_sort_onesweep_sort_config_static_selectorELNS0_4arch9wavefront6targetE0EEEvSG_
; %bb.0:
	.section	.rodata,"a",@progbits
	.p2align	6, 0x0
	.amdhsa_kernel _ZN7rocprim17ROCPRIM_400000_NS6detail17trampoline_kernelINS0_14default_configENS1_35radix_sort_onesweep_config_selectorIaNS0_10empty_typeEEEZZNS1_29radix_sort_onesweep_iterationIS3_Lb1EPKaPaPS5_SB_mNS0_19identity_decomposerENS1_16block_id_wrapperIjLb1EEEEE10hipError_tT1_PNSt15iterator_traitsISG_E10value_typeET2_T3_PNSH_ISM_E10value_typeET4_T5_PSR_SS_PNS1_23onesweep_lookback_stateEbbT6_jjT7_P12ihipStream_tbENKUlT_T0_SG_SL_E_clISA_SA_SB_SB_EEDaSZ_S10_SG_SL_EUlSZ_E_NS1_11comp_targetILNS1_3genE6ELNS1_11target_archE950ELNS1_3gpuE13ELNS1_3repE0EEENS1_47radix_sort_onesweep_sort_config_static_selectorELNS0_4arch9wavefront6targetE0EEEvSG_
		.amdhsa_group_segment_fixed_size 0
		.amdhsa_private_segment_fixed_size 0
		.amdhsa_kernarg_size 88
		.amdhsa_user_sgpr_count 2
		.amdhsa_user_sgpr_dispatch_ptr 0
		.amdhsa_user_sgpr_queue_ptr 0
		.amdhsa_user_sgpr_kernarg_segment_ptr 1
		.amdhsa_user_sgpr_dispatch_id 0
		.amdhsa_user_sgpr_kernarg_preload_length 0
		.amdhsa_user_sgpr_kernarg_preload_offset 0
		.amdhsa_user_sgpr_private_segment_size 0
		.amdhsa_wavefront_size32 1
		.amdhsa_uses_dynamic_stack 0
		.amdhsa_enable_private_segment 0
		.amdhsa_system_sgpr_workgroup_id_x 1
		.amdhsa_system_sgpr_workgroup_id_y 0
		.amdhsa_system_sgpr_workgroup_id_z 0
		.amdhsa_system_sgpr_workgroup_info 0
		.amdhsa_system_vgpr_workitem_id 0
		.amdhsa_next_free_vgpr 1
		.amdhsa_next_free_sgpr 1
		.amdhsa_named_barrier_count 0
		.amdhsa_reserve_vcc 0
		.amdhsa_float_round_mode_32 0
		.amdhsa_float_round_mode_16_64 0
		.amdhsa_float_denorm_mode_32 3
		.amdhsa_float_denorm_mode_16_64 3
		.amdhsa_fp16_overflow 0
		.amdhsa_memory_ordered 1
		.amdhsa_forward_progress 1
		.amdhsa_inst_pref_size 0
		.amdhsa_round_robin_scheduling 0
		.amdhsa_exception_fp_ieee_invalid_op 0
		.amdhsa_exception_fp_denorm_src 0
		.amdhsa_exception_fp_ieee_div_zero 0
		.amdhsa_exception_fp_ieee_overflow 0
		.amdhsa_exception_fp_ieee_underflow 0
		.amdhsa_exception_fp_ieee_inexact 0
		.amdhsa_exception_int_div_zero 0
	.end_amdhsa_kernel
	.section	.text._ZN7rocprim17ROCPRIM_400000_NS6detail17trampoline_kernelINS0_14default_configENS1_35radix_sort_onesweep_config_selectorIaNS0_10empty_typeEEEZZNS1_29radix_sort_onesweep_iterationIS3_Lb1EPKaPaPS5_SB_mNS0_19identity_decomposerENS1_16block_id_wrapperIjLb1EEEEE10hipError_tT1_PNSt15iterator_traitsISG_E10value_typeET2_T3_PNSH_ISM_E10value_typeET4_T5_PSR_SS_PNS1_23onesweep_lookback_stateEbbT6_jjT7_P12ihipStream_tbENKUlT_T0_SG_SL_E_clISA_SA_SB_SB_EEDaSZ_S10_SG_SL_EUlSZ_E_NS1_11comp_targetILNS1_3genE6ELNS1_11target_archE950ELNS1_3gpuE13ELNS1_3repE0EEENS1_47radix_sort_onesweep_sort_config_static_selectorELNS0_4arch9wavefront6targetE0EEEvSG_,"axG",@progbits,_ZN7rocprim17ROCPRIM_400000_NS6detail17trampoline_kernelINS0_14default_configENS1_35radix_sort_onesweep_config_selectorIaNS0_10empty_typeEEEZZNS1_29radix_sort_onesweep_iterationIS3_Lb1EPKaPaPS5_SB_mNS0_19identity_decomposerENS1_16block_id_wrapperIjLb1EEEEE10hipError_tT1_PNSt15iterator_traitsISG_E10value_typeET2_T3_PNSH_ISM_E10value_typeET4_T5_PSR_SS_PNS1_23onesweep_lookback_stateEbbT6_jjT7_P12ihipStream_tbENKUlT_T0_SG_SL_E_clISA_SA_SB_SB_EEDaSZ_S10_SG_SL_EUlSZ_E_NS1_11comp_targetILNS1_3genE6ELNS1_11target_archE950ELNS1_3gpuE13ELNS1_3repE0EEENS1_47radix_sort_onesweep_sort_config_static_selectorELNS0_4arch9wavefront6targetE0EEEvSG_,comdat
.Lfunc_end365:
	.size	_ZN7rocprim17ROCPRIM_400000_NS6detail17trampoline_kernelINS0_14default_configENS1_35radix_sort_onesweep_config_selectorIaNS0_10empty_typeEEEZZNS1_29radix_sort_onesweep_iterationIS3_Lb1EPKaPaPS5_SB_mNS0_19identity_decomposerENS1_16block_id_wrapperIjLb1EEEEE10hipError_tT1_PNSt15iterator_traitsISG_E10value_typeET2_T3_PNSH_ISM_E10value_typeET4_T5_PSR_SS_PNS1_23onesweep_lookback_stateEbbT6_jjT7_P12ihipStream_tbENKUlT_T0_SG_SL_E_clISA_SA_SB_SB_EEDaSZ_S10_SG_SL_EUlSZ_E_NS1_11comp_targetILNS1_3genE6ELNS1_11target_archE950ELNS1_3gpuE13ELNS1_3repE0EEENS1_47radix_sort_onesweep_sort_config_static_selectorELNS0_4arch9wavefront6targetE0EEEvSG_, .Lfunc_end365-_ZN7rocprim17ROCPRIM_400000_NS6detail17trampoline_kernelINS0_14default_configENS1_35radix_sort_onesweep_config_selectorIaNS0_10empty_typeEEEZZNS1_29radix_sort_onesweep_iterationIS3_Lb1EPKaPaPS5_SB_mNS0_19identity_decomposerENS1_16block_id_wrapperIjLb1EEEEE10hipError_tT1_PNSt15iterator_traitsISG_E10value_typeET2_T3_PNSH_ISM_E10value_typeET4_T5_PSR_SS_PNS1_23onesweep_lookback_stateEbbT6_jjT7_P12ihipStream_tbENKUlT_T0_SG_SL_E_clISA_SA_SB_SB_EEDaSZ_S10_SG_SL_EUlSZ_E_NS1_11comp_targetILNS1_3genE6ELNS1_11target_archE950ELNS1_3gpuE13ELNS1_3repE0EEENS1_47radix_sort_onesweep_sort_config_static_selectorELNS0_4arch9wavefront6targetE0EEEvSG_
                                        ; -- End function
	.set _ZN7rocprim17ROCPRIM_400000_NS6detail17trampoline_kernelINS0_14default_configENS1_35radix_sort_onesweep_config_selectorIaNS0_10empty_typeEEEZZNS1_29radix_sort_onesweep_iterationIS3_Lb1EPKaPaPS5_SB_mNS0_19identity_decomposerENS1_16block_id_wrapperIjLb1EEEEE10hipError_tT1_PNSt15iterator_traitsISG_E10value_typeET2_T3_PNSH_ISM_E10value_typeET4_T5_PSR_SS_PNS1_23onesweep_lookback_stateEbbT6_jjT7_P12ihipStream_tbENKUlT_T0_SG_SL_E_clISA_SA_SB_SB_EEDaSZ_S10_SG_SL_EUlSZ_E_NS1_11comp_targetILNS1_3genE6ELNS1_11target_archE950ELNS1_3gpuE13ELNS1_3repE0EEENS1_47radix_sort_onesweep_sort_config_static_selectorELNS0_4arch9wavefront6targetE0EEEvSG_.num_vgpr, 0
	.set _ZN7rocprim17ROCPRIM_400000_NS6detail17trampoline_kernelINS0_14default_configENS1_35radix_sort_onesweep_config_selectorIaNS0_10empty_typeEEEZZNS1_29radix_sort_onesweep_iterationIS3_Lb1EPKaPaPS5_SB_mNS0_19identity_decomposerENS1_16block_id_wrapperIjLb1EEEEE10hipError_tT1_PNSt15iterator_traitsISG_E10value_typeET2_T3_PNSH_ISM_E10value_typeET4_T5_PSR_SS_PNS1_23onesweep_lookback_stateEbbT6_jjT7_P12ihipStream_tbENKUlT_T0_SG_SL_E_clISA_SA_SB_SB_EEDaSZ_S10_SG_SL_EUlSZ_E_NS1_11comp_targetILNS1_3genE6ELNS1_11target_archE950ELNS1_3gpuE13ELNS1_3repE0EEENS1_47radix_sort_onesweep_sort_config_static_selectorELNS0_4arch9wavefront6targetE0EEEvSG_.num_agpr, 0
	.set _ZN7rocprim17ROCPRIM_400000_NS6detail17trampoline_kernelINS0_14default_configENS1_35radix_sort_onesweep_config_selectorIaNS0_10empty_typeEEEZZNS1_29radix_sort_onesweep_iterationIS3_Lb1EPKaPaPS5_SB_mNS0_19identity_decomposerENS1_16block_id_wrapperIjLb1EEEEE10hipError_tT1_PNSt15iterator_traitsISG_E10value_typeET2_T3_PNSH_ISM_E10value_typeET4_T5_PSR_SS_PNS1_23onesweep_lookback_stateEbbT6_jjT7_P12ihipStream_tbENKUlT_T0_SG_SL_E_clISA_SA_SB_SB_EEDaSZ_S10_SG_SL_EUlSZ_E_NS1_11comp_targetILNS1_3genE6ELNS1_11target_archE950ELNS1_3gpuE13ELNS1_3repE0EEENS1_47radix_sort_onesweep_sort_config_static_selectorELNS0_4arch9wavefront6targetE0EEEvSG_.numbered_sgpr, 0
	.set _ZN7rocprim17ROCPRIM_400000_NS6detail17trampoline_kernelINS0_14default_configENS1_35radix_sort_onesweep_config_selectorIaNS0_10empty_typeEEEZZNS1_29radix_sort_onesweep_iterationIS3_Lb1EPKaPaPS5_SB_mNS0_19identity_decomposerENS1_16block_id_wrapperIjLb1EEEEE10hipError_tT1_PNSt15iterator_traitsISG_E10value_typeET2_T3_PNSH_ISM_E10value_typeET4_T5_PSR_SS_PNS1_23onesweep_lookback_stateEbbT6_jjT7_P12ihipStream_tbENKUlT_T0_SG_SL_E_clISA_SA_SB_SB_EEDaSZ_S10_SG_SL_EUlSZ_E_NS1_11comp_targetILNS1_3genE6ELNS1_11target_archE950ELNS1_3gpuE13ELNS1_3repE0EEENS1_47radix_sort_onesweep_sort_config_static_selectorELNS0_4arch9wavefront6targetE0EEEvSG_.num_named_barrier, 0
	.set _ZN7rocprim17ROCPRIM_400000_NS6detail17trampoline_kernelINS0_14default_configENS1_35radix_sort_onesweep_config_selectorIaNS0_10empty_typeEEEZZNS1_29radix_sort_onesweep_iterationIS3_Lb1EPKaPaPS5_SB_mNS0_19identity_decomposerENS1_16block_id_wrapperIjLb1EEEEE10hipError_tT1_PNSt15iterator_traitsISG_E10value_typeET2_T3_PNSH_ISM_E10value_typeET4_T5_PSR_SS_PNS1_23onesweep_lookback_stateEbbT6_jjT7_P12ihipStream_tbENKUlT_T0_SG_SL_E_clISA_SA_SB_SB_EEDaSZ_S10_SG_SL_EUlSZ_E_NS1_11comp_targetILNS1_3genE6ELNS1_11target_archE950ELNS1_3gpuE13ELNS1_3repE0EEENS1_47radix_sort_onesweep_sort_config_static_selectorELNS0_4arch9wavefront6targetE0EEEvSG_.private_seg_size, 0
	.set _ZN7rocprim17ROCPRIM_400000_NS6detail17trampoline_kernelINS0_14default_configENS1_35radix_sort_onesweep_config_selectorIaNS0_10empty_typeEEEZZNS1_29radix_sort_onesweep_iterationIS3_Lb1EPKaPaPS5_SB_mNS0_19identity_decomposerENS1_16block_id_wrapperIjLb1EEEEE10hipError_tT1_PNSt15iterator_traitsISG_E10value_typeET2_T3_PNSH_ISM_E10value_typeET4_T5_PSR_SS_PNS1_23onesweep_lookback_stateEbbT6_jjT7_P12ihipStream_tbENKUlT_T0_SG_SL_E_clISA_SA_SB_SB_EEDaSZ_S10_SG_SL_EUlSZ_E_NS1_11comp_targetILNS1_3genE6ELNS1_11target_archE950ELNS1_3gpuE13ELNS1_3repE0EEENS1_47radix_sort_onesweep_sort_config_static_selectorELNS0_4arch9wavefront6targetE0EEEvSG_.uses_vcc, 0
	.set _ZN7rocprim17ROCPRIM_400000_NS6detail17trampoline_kernelINS0_14default_configENS1_35radix_sort_onesweep_config_selectorIaNS0_10empty_typeEEEZZNS1_29radix_sort_onesweep_iterationIS3_Lb1EPKaPaPS5_SB_mNS0_19identity_decomposerENS1_16block_id_wrapperIjLb1EEEEE10hipError_tT1_PNSt15iterator_traitsISG_E10value_typeET2_T3_PNSH_ISM_E10value_typeET4_T5_PSR_SS_PNS1_23onesweep_lookback_stateEbbT6_jjT7_P12ihipStream_tbENKUlT_T0_SG_SL_E_clISA_SA_SB_SB_EEDaSZ_S10_SG_SL_EUlSZ_E_NS1_11comp_targetILNS1_3genE6ELNS1_11target_archE950ELNS1_3gpuE13ELNS1_3repE0EEENS1_47radix_sort_onesweep_sort_config_static_selectorELNS0_4arch9wavefront6targetE0EEEvSG_.uses_flat_scratch, 0
	.set _ZN7rocprim17ROCPRIM_400000_NS6detail17trampoline_kernelINS0_14default_configENS1_35radix_sort_onesweep_config_selectorIaNS0_10empty_typeEEEZZNS1_29radix_sort_onesweep_iterationIS3_Lb1EPKaPaPS5_SB_mNS0_19identity_decomposerENS1_16block_id_wrapperIjLb1EEEEE10hipError_tT1_PNSt15iterator_traitsISG_E10value_typeET2_T3_PNSH_ISM_E10value_typeET4_T5_PSR_SS_PNS1_23onesweep_lookback_stateEbbT6_jjT7_P12ihipStream_tbENKUlT_T0_SG_SL_E_clISA_SA_SB_SB_EEDaSZ_S10_SG_SL_EUlSZ_E_NS1_11comp_targetILNS1_3genE6ELNS1_11target_archE950ELNS1_3gpuE13ELNS1_3repE0EEENS1_47radix_sort_onesweep_sort_config_static_selectorELNS0_4arch9wavefront6targetE0EEEvSG_.has_dyn_sized_stack, 0
	.set _ZN7rocprim17ROCPRIM_400000_NS6detail17trampoline_kernelINS0_14default_configENS1_35radix_sort_onesweep_config_selectorIaNS0_10empty_typeEEEZZNS1_29radix_sort_onesweep_iterationIS3_Lb1EPKaPaPS5_SB_mNS0_19identity_decomposerENS1_16block_id_wrapperIjLb1EEEEE10hipError_tT1_PNSt15iterator_traitsISG_E10value_typeET2_T3_PNSH_ISM_E10value_typeET4_T5_PSR_SS_PNS1_23onesweep_lookback_stateEbbT6_jjT7_P12ihipStream_tbENKUlT_T0_SG_SL_E_clISA_SA_SB_SB_EEDaSZ_S10_SG_SL_EUlSZ_E_NS1_11comp_targetILNS1_3genE6ELNS1_11target_archE950ELNS1_3gpuE13ELNS1_3repE0EEENS1_47radix_sort_onesweep_sort_config_static_selectorELNS0_4arch9wavefront6targetE0EEEvSG_.has_recursion, 0
	.set _ZN7rocprim17ROCPRIM_400000_NS6detail17trampoline_kernelINS0_14default_configENS1_35radix_sort_onesweep_config_selectorIaNS0_10empty_typeEEEZZNS1_29radix_sort_onesweep_iterationIS3_Lb1EPKaPaPS5_SB_mNS0_19identity_decomposerENS1_16block_id_wrapperIjLb1EEEEE10hipError_tT1_PNSt15iterator_traitsISG_E10value_typeET2_T3_PNSH_ISM_E10value_typeET4_T5_PSR_SS_PNS1_23onesweep_lookback_stateEbbT6_jjT7_P12ihipStream_tbENKUlT_T0_SG_SL_E_clISA_SA_SB_SB_EEDaSZ_S10_SG_SL_EUlSZ_E_NS1_11comp_targetILNS1_3genE6ELNS1_11target_archE950ELNS1_3gpuE13ELNS1_3repE0EEENS1_47radix_sort_onesweep_sort_config_static_selectorELNS0_4arch9wavefront6targetE0EEEvSG_.has_indirect_call, 0
	.section	.AMDGPU.csdata,"",@progbits
; Kernel info:
; codeLenInByte = 0
; TotalNumSgprs: 0
; NumVgprs: 0
; ScratchSize: 0
; MemoryBound: 0
; FloatMode: 240
; IeeeMode: 1
; LDSByteSize: 0 bytes/workgroup (compile time only)
; SGPRBlocks: 0
; VGPRBlocks: 0
; NumSGPRsForWavesPerEU: 1
; NumVGPRsForWavesPerEU: 1
; NamedBarCnt: 0
; Occupancy: 16
; WaveLimiterHint : 0
; COMPUTE_PGM_RSRC2:SCRATCH_EN: 0
; COMPUTE_PGM_RSRC2:USER_SGPR: 2
; COMPUTE_PGM_RSRC2:TRAP_HANDLER: 0
; COMPUTE_PGM_RSRC2:TGID_X_EN: 1
; COMPUTE_PGM_RSRC2:TGID_Y_EN: 0
; COMPUTE_PGM_RSRC2:TGID_Z_EN: 0
; COMPUTE_PGM_RSRC2:TIDIG_COMP_CNT: 0
	.section	.text._ZN7rocprim17ROCPRIM_400000_NS6detail17trampoline_kernelINS0_14default_configENS1_35radix_sort_onesweep_config_selectorIaNS0_10empty_typeEEEZZNS1_29radix_sort_onesweep_iterationIS3_Lb1EPKaPaPS5_SB_mNS0_19identity_decomposerENS1_16block_id_wrapperIjLb1EEEEE10hipError_tT1_PNSt15iterator_traitsISG_E10value_typeET2_T3_PNSH_ISM_E10value_typeET4_T5_PSR_SS_PNS1_23onesweep_lookback_stateEbbT6_jjT7_P12ihipStream_tbENKUlT_T0_SG_SL_E_clISA_SA_SB_SB_EEDaSZ_S10_SG_SL_EUlSZ_E_NS1_11comp_targetILNS1_3genE5ELNS1_11target_archE942ELNS1_3gpuE9ELNS1_3repE0EEENS1_47radix_sort_onesweep_sort_config_static_selectorELNS0_4arch9wavefront6targetE0EEEvSG_,"axG",@progbits,_ZN7rocprim17ROCPRIM_400000_NS6detail17trampoline_kernelINS0_14default_configENS1_35radix_sort_onesweep_config_selectorIaNS0_10empty_typeEEEZZNS1_29radix_sort_onesweep_iterationIS3_Lb1EPKaPaPS5_SB_mNS0_19identity_decomposerENS1_16block_id_wrapperIjLb1EEEEE10hipError_tT1_PNSt15iterator_traitsISG_E10value_typeET2_T3_PNSH_ISM_E10value_typeET4_T5_PSR_SS_PNS1_23onesweep_lookback_stateEbbT6_jjT7_P12ihipStream_tbENKUlT_T0_SG_SL_E_clISA_SA_SB_SB_EEDaSZ_S10_SG_SL_EUlSZ_E_NS1_11comp_targetILNS1_3genE5ELNS1_11target_archE942ELNS1_3gpuE9ELNS1_3repE0EEENS1_47radix_sort_onesweep_sort_config_static_selectorELNS0_4arch9wavefront6targetE0EEEvSG_,comdat
	.protected	_ZN7rocprim17ROCPRIM_400000_NS6detail17trampoline_kernelINS0_14default_configENS1_35radix_sort_onesweep_config_selectorIaNS0_10empty_typeEEEZZNS1_29radix_sort_onesweep_iterationIS3_Lb1EPKaPaPS5_SB_mNS0_19identity_decomposerENS1_16block_id_wrapperIjLb1EEEEE10hipError_tT1_PNSt15iterator_traitsISG_E10value_typeET2_T3_PNSH_ISM_E10value_typeET4_T5_PSR_SS_PNS1_23onesweep_lookback_stateEbbT6_jjT7_P12ihipStream_tbENKUlT_T0_SG_SL_E_clISA_SA_SB_SB_EEDaSZ_S10_SG_SL_EUlSZ_E_NS1_11comp_targetILNS1_3genE5ELNS1_11target_archE942ELNS1_3gpuE9ELNS1_3repE0EEENS1_47radix_sort_onesweep_sort_config_static_selectorELNS0_4arch9wavefront6targetE0EEEvSG_ ; -- Begin function _ZN7rocprim17ROCPRIM_400000_NS6detail17trampoline_kernelINS0_14default_configENS1_35radix_sort_onesweep_config_selectorIaNS0_10empty_typeEEEZZNS1_29radix_sort_onesweep_iterationIS3_Lb1EPKaPaPS5_SB_mNS0_19identity_decomposerENS1_16block_id_wrapperIjLb1EEEEE10hipError_tT1_PNSt15iterator_traitsISG_E10value_typeET2_T3_PNSH_ISM_E10value_typeET4_T5_PSR_SS_PNS1_23onesweep_lookback_stateEbbT6_jjT7_P12ihipStream_tbENKUlT_T0_SG_SL_E_clISA_SA_SB_SB_EEDaSZ_S10_SG_SL_EUlSZ_E_NS1_11comp_targetILNS1_3genE5ELNS1_11target_archE942ELNS1_3gpuE9ELNS1_3repE0EEENS1_47radix_sort_onesweep_sort_config_static_selectorELNS0_4arch9wavefront6targetE0EEEvSG_
	.globl	_ZN7rocprim17ROCPRIM_400000_NS6detail17trampoline_kernelINS0_14default_configENS1_35radix_sort_onesweep_config_selectorIaNS0_10empty_typeEEEZZNS1_29radix_sort_onesweep_iterationIS3_Lb1EPKaPaPS5_SB_mNS0_19identity_decomposerENS1_16block_id_wrapperIjLb1EEEEE10hipError_tT1_PNSt15iterator_traitsISG_E10value_typeET2_T3_PNSH_ISM_E10value_typeET4_T5_PSR_SS_PNS1_23onesweep_lookback_stateEbbT6_jjT7_P12ihipStream_tbENKUlT_T0_SG_SL_E_clISA_SA_SB_SB_EEDaSZ_S10_SG_SL_EUlSZ_E_NS1_11comp_targetILNS1_3genE5ELNS1_11target_archE942ELNS1_3gpuE9ELNS1_3repE0EEENS1_47radix_sort_onesweep_sort_config_static_selectorELNS0_4arch9wavefront6targetE0EEEvSG_
	.p2align	8
	.type	_ZN7rocprim17ROCPRIM_400000_NS6detail17trampoline_kernelINS0_14default_configENS1_35radix_sort_onesweep_config_selectorIaNS0_10empty_typeEEEZZNS1_29radix_sort_onesweep_iterationIS3_Lb1EPKaPaPS5_SB_mNS0_19identity_decomposerENS1_16block_id_wrapperIjLb1EEEEE10hipError_tT1_PNSt15iterator_traitsISG_E10value_typeET2_T3_PNSH_ISM_E10value_typeET4_T5_PSR_SS_PNS1_23onesweep_lookback_stateEbbT6_jjT7_P12ihipStream_tbENKUlT_T0_SG_SL_E_clISA_SA_SB_SB_EEDaSZ_S10_SG_SL_EUlSZ_E_NS1_11comp_targetILNS1_3genE5ELNS1_11target_archE942ELNS1_3gpuE9ELNS1_3repE0EEENS1_47radix_sort_onesweep_sort_config_static_selectorELNS0_4arch9wavefront6targetE0EEEvSG_,@function
_ZN7rocprim17ROCPRIM_400000_NS6detail17trampoline_kernelINS0_14default_configENS1_35radix_sort_onesweep_config_selectorIaNS0_10empty_typeEEEZZNS1_29radix_sort_onesweep_iterationIS3_Lb1EPKaPaPS5_SB_mNS0_19identity_decomposerENS1_16block_id_wrapperIjLb1EEEEE10hipError_tT1_PNSt15iterator_traitsISG_E10value_typeET2_T3_PNSH_ISM_E10value_typeET4_T5_PSR_SS_PNS1_23onesweep_lookback_stateEbbT6_jjT7_P12ihipStream_tbENKUlT_T0_SG_SL_E_clISA_SA_SB_SB_EEDaSZ_S10_SG_SL_EUlSZ_E_NS1_11comp_targetILNS1_3genE5ELNS1_11target_archE942ELNS1_3gpuE9ELNS1_3repE0EEENS1_47radix_sort_onesweep_sort_config_static_selectorELNS0_4arch9wavefront6targetE0EEEvSG_: ; @_ZN7rocprim17ROCPRIM_400000_NS6detail17trampoline_kernelINS0_14default_configENS1_35radix_sort_onesweep_config_selectorIaNS0_10empty_typeEEEZZNS1_29radix_sort_onesweep_iterationIS3_Lb1EPKaPaPS5_SB_mNS0_19identity_decomposerENS1_16block_id_wrapperIjLb1EEEEE10hipError_tT1_PNSt15iterator_traitsISG_E10value_typeET2_T3_PNSH_ISM_E10value_typeET4_T5_PSR_SS_PNS1_23onesweep_lookback_stateEbbT6_jjT7_P12ihipStream_tbENKUlT_T0_SG_SL_E_clISA_SA_SB_SB_EEDaSZ_S10_SG_SL_EUlSZ_E_NS1_11comp_targetILNS1_3genE5ELNS1_11target_archE942ELNS1_3gpuE9ELNS1_3repE0EEENS1_47radix_sort_onesweep_sort_config_static_selectorELNS0_4arch9wavefront6targetE0EEEvSG_
; %bb.0:
	.section	.rodata,"a",@progbits
	.p2align	6, 0x0
	.amdhsa_kernel _ZN7rocprim17ROCPRIM_400000_NS6detail17trampoline_kernelINS0_14default_configENS1_35radix_sort_onesweep_config_selectorIaNS0_10empty_typeEEEZZNS1_29radix_sort_onesweep_iterationIS3_Lb1EPKaPaPS5_SB_mNS0_19identity_decomposerENS1_16block_id_wrapperIjLb1EEEEE10hipError_tT1_PNSt15iterator_traitsISG_E10value_typeET2_T3_PNSH_ISM_E10value_typeET4_T5_PSR_SS_PNS1_23onesweep_lookback_stateEbbT6_jjT7_P12ihipStream_tbENKUlT_T0_SG_SL_E_clISA_SA_SB_SB_EEDaSZ_S10_SG_SL_EUlSZ_E_NS1_11comp_targetILNS1_3genE5ELNS1_11target_archE942ELNS1_3gpuE9ELNS1_3repE0EEENS1_47radix_sort_onesweep_sort_config_static_selectorELNS0_4arch9wavefront6targetE0EEEvSG_
		.amdhsa_group_segment_fixed_size 0
		.amdhsa_private_segment_fixed_size 0
		.amdhsa_kernarg_size 88
		.amdhsa_user_sgpr_count 2
		.amdhsa_user_sgpr_dispatch_ptr 0
		.amdhsa_user_sgpr_queue_ptr 0
		.amdhsa_user_sgpr_kernarg_segment_ptr 1
		.amdhsa_user_sgpr_dispatch_id 0
		.amdhsa_user_sgpr_kernarg_preload_length 0
		.amdhsa_user_sgpr_kernarg_preload_offset 0
		.amdhsa_user_sgpr_private_segment_size 0
		.amdhsa_wavefront_size32 1
		.amdhsa_uses_dynamic_stack 0
		.amdhsa_enable_private_segment 0
		.amdhsa_system_sgpr_workgroup_id_x 1
		.amdhsa_system_sgpr_workgroup_id_y 0
		.amdhsa_system_sgpr_workgroup_id_z 0
		.amdhsa_system_sgpr_workgroup_info 0
		.amdhsa_system_vgpr_workitem_id 0
		.amdhsa_next_free_vgpr 1
		.amdhsa_next_free_sgpr 1
		.amdhsa_named_barrier_count 0
		.amdhsa_reserve_vcc 0
		.amdhsa_float_round_mode_32 0
		.amdhsa_float_round_mode_16_64 0
		.amdhsa_float_denorm_mode_32 3
		.amdhsa_float_denorm_mode_16_64 3
		.amdhsa_fp16_overflow 0
		.amdhsa_memory_ordered 1
		.amdhsa_forward_progress 1
		.amdhsa_inst_pref_size 0
		.amdhsa_round_robin_scheduling 0
		.amdhsa_exception_fp_ieee_invalid_op 0
		.amdhsa_exception_fp_denorm_src 0
		.amdhsa_exception_fp_ieee_div_zero 0
		.amdhsa_exception_fp_ieee_overflow 0
		.amdhsa_exception_fp_ieee_underflow 0
		.amdhsa_exception_fp_ieee_inexact 0
		.amdhsa_exception_int_div_zero 0
	.end_amdhsa_kernel
	.section	.text._ZN7rocprim17ROCPRIM_400000_NS6detail17trampoline_kernelINS0_14default_configENS1_35radix_sort_onesweep_config_selectorIaNS0_10empty_typeEEEZZNS1_29radix_sort_onesweep_iterationIS3_Lb1EPKaPaPS5_SB_mNS0_19identity_decomposerENS1_16block_id_wrapperIjLb1EEEEE10hipError_tT1_PNSt15iterator_traitsISG_E10value_typeET2_T3_PNSH_ISM_E10value_typeET4_T5_PSR_SS_PNS1_23onesweep_lookback_stateEbbT6_jjT7_P12ihipStream_tbENKUlT_T0_SG_SL_E_clISA_SA_SB_SB_EEDaSZ_S10_SG_SL_EUlSZ_E_NS1_11comp_targetILNS1_3genE5ELNS1_11target_archE942ELNS1_3gpuE9ELNS1_3repE0EEENS1_47radix_sort_onesweep_sort_config_static_selectorELNS0_4arch9wavefront6targetE0EEEvSG_,"axG",@progbits,_ZN7rocprim17ROCPRIM_400000_NS6detail17trampoline_kernelINS0_14default_configENS1_35radix_sort_onesweep_config_selectorIaNS0_10empty_typeEEEZZNS1_29radix_sort_onesweep_iterationIS3_Lb1EPKaPaPS5_SB_mNS0_19identity_decomposerENS1_16block_id_wrapperIjLb1EEEEE10hipError_tT1_PNSt15iterator_traitsISG_E10value_typeET2_T3_PNSH_ISM_E10value_typeET4_T5_PSR_SS_PNS1_23onesweep_lookback_stateEbbT6_jjT7_P12ihipStream_tbENKUlT_T0_SG_SL_E_clISA_SA_SB_SB_EEDaSZ_S10_SG_SL_EUlSZ_E_NS1_11comp_targetILNS1_3genE5ELNS1_11target_archE942ELNS1_3gpuE9ELNS1_3repE0EEENS1_47radix_sort_onesweep_sort_config_static_selectorELNS0_4arch9wavefront6targetE0EEEvSG_,comdat
.Lfunc_end366:
	.size	_ZN7rocprim17ROCPRIM_400000_NS6detail17trampoline_kernelINS0_14default_configENS1_35radix_sort_onesweep_config_selectorIaNS0_10empty_typeEEEZZNS1_29radix_sort_onesweep_iterationIS3_Lb1EPKaPaPS5_SB_mNS0_19identity_decomposerENS1_16block_id_wrapperIjLb1EEEEE10hipError_tT1_PNSt15iterator_traitsISG_E10value_typeET2_T3_PNSH_ISM_E10value_typeET4_T5_PSR_SS_PNS1_23onesweep_lookback_stateEbbT6_jjT7_P12ihipStream_tbENKUlT_T0_SG_SL_E_clISA_SA_SB_SB_EEDaSZ_S10_SG_SL_EUlSZ_E_NS1_11comp_targetILNS1_3genE5ELNS1_11target_archE942ELNS1_3gpuE9ELNS1_3repE0EEENS1_47radix_sort_onesweep_sort_config_static_selectorELNS0_4arch9wavefront6targetE0EEEvSG_, .Lfunc_end366-_ZN7rocprim17ROCPRIM_400000_NS6detail17trampoline_kernelINS0_14default_configENS1_35radix_sort_onesweep_config_selectorIaNS0_10empty_typeEEEZZNS1_29radix_sort_onesweep_iterationIS3_Lb1EPKaPaPS5_SB_mNS0_19identity_decomposerENS1_16block_id_wrapperIjLb1EEEEE10hipError_tT1_PNSt15iterator_traitsISG_E10value_typeET2_T3_PNSH_ISM_E10value_typeET4_T5_PSR_SS_PNS1_23onesweep_lookback_stateEbbT6_jjT7_P12ihipStream_tbENKUlT_T0_SG_SL_E_clISA_SA_SB_SB_EEDaSZ_S10_SG_SL_EUlSZ_E_NS1_11comp_targetILNS1_3genE5ELNS1_11target_archE942ELNS1_3gpuE9ELNS1_3repE0EEENS1_47radix_sort_onesweep_sort_config_static_selectorELNS0_4arch9wavefront6targetE0EEEvSG_
                                        ; -- End function
	.set _ZN7rocprim17ROCPRIM_400000_NS6detail17trampoline_kernelINS0_14default_configENS1_35radix_sort_onesweep_config_selectorIaNS0_10empty_typeEEEZZNS1_29radix_sort_onesweep_iterationIS3_Lb1EPKaPaPS5_SB_mNS0_19identity_decomposerENS1_16block_id_wrapperIjLb1EEEEE10hipError_tT1_PNSt15iterator_traitsISG_E10value_typeET2_T3_PNSH_ISM_E10value_typeET4_T5_PSR_SS_PNS1_23onesweep_lookback_stateEbbT6_jjT7_P12ihipStream_tbENKUlT_T0_SG_SL_E_clISA_SA_SB_SB_EEDaSZ_S10_SG_SL_EUlSZ_E_NS1_11comp_targetILNS1_3genE5ELNS1_11target_archE942ELNS1_3gpuE9ELNS1_3repE0EEENS1_47radix_sort_onesweep_sort_config_static_selectorELNS0_4arch9wavefront6targetE0EEEvSG_.num_vgpr, 0
	.set _ZN7rocprim17ROCPRIM_400000_NS6detail17trampoline_kernelINS0_14default_configENS1_35radix_sort_onesweep_config_selectorIaNS0_10empty_typeEEEZZNS1_29radix_sort_onesweep_iterationIS3_Lb1EPKaPaPS5_SB_mNS0_19identity_decomposerENS1_16block_id_wrapperIjLb1EEEEE10hipError_tT1_PNSt15iterator_traitsISG_E10value_typeET2_T3_PNSH_ISM_E10value_typeET4_T5_PSR_SS_PNS1_23onesweep_lookback_stateEbbT6_jjT7_P12ihipStream_tbENKUlT_T0_SG_SL_E_clISA_SA_SB_SB_EEDaSZ_S10_SG_SL_EUlSZ_E_NS1_11comp_targetILNS1_3genE5ELNS1_11target_archE942ELNS1_3gpuE9ELNS1_3repE0EEENS1_47radix_sort_onesweep_sort_config_static_selectorELNS0_4arch9wavefront6targetE0EEEvSG_.num_agpr, 0
	.set _ZN7rocprim17ROCPRIM_400000_NS6detail17trampoline_kernelINS0_14default_configENS1_35radix_sort_onesweep_config_selectorIaNS0_10empty_typeEEEZZNS1_29radix_sort_onesweep_iterationIS3_Lb1EPKaPaPS5_SB_mNS0_19identity_decomposerENS1_16block_id_wrapperIjLb1EEEEE10hipError_tT1_PNSt15iterator_traitsISG_E10value_typeET2_T3_PNSH_ISM_E10value_typeET4_T5_PSR_SS_PNS1_23onesweep_lookback_stateEbbT6_jjT7_P12ihipStream_tbENKUlT_T0_SG_SL_E_clISA_SA_SB_SB_EEDaSZ_S10_SG_SL_EUlSZ_E_NS1_11comp_targetILNS1_3genE5ELNS1_11target_archE942ELNS1_3gpuE9ELNS1_3repE0EEENS1_47radix_sort_onesweep_sort_config_static_selectorELNS0_4arch9wavefront6targetE0EEEvSG_.numbered_sgpr, 0
	.set _ZN7rocprim17ROCPRIM_400000_NS6detail17trampoline_kernelINS0_14default_configENS1_35radix_sort_onesweep_config_selectorIaNS0_10empty_typeEEEZZNS1_29radix_sort_onesweep_iterationIS3_Lb1EPKaPaPS5_SB_mNS0_19identity_decomposerENS1_16block_id_wrapperIjLb1EEEEE10hipError_tT1_PNSt15iterator_traitsISG_E10value_typeET2_T3_PNSH_ISM_E10value_typeET4_T5_PSR_SS_PNS1_23onesweep_lookback_stateEbbT6_jjT7_P12ihipStream_tbENKUlT_T0_SG_SL_E_clISA_SA_SB_SB_EEDaSZ_S10_SG_SL_EUlSZ_E_NS1_11comp_targetILNS1_3genE5ELNS1_11target_archE942ELNS1_3gpuE9ELNS1_3repE0EEENS1_47radix_sort_onesweep_sort_config_static_selectorELNS0_4arch9wavefront6targetE0EEEvSG_.num_named_barrier, 0
	.set _ZN7rocprim17ROCPRIM_400000_NS6detail17trampoline_kernelINS0_14default_configENS1_35radix_sort_onesweep_config_selectorIaNS0_10empty_typeEEEZZNS1_29radix_sort_onesweep_iterationIS3_Lb1EPKaPaPS5_SB_mNS0_19identity_decomposerENS1_16block_id_wrapperIjLb1EEEEE10hipError_tT1_PNSt15iterator_traitsISG_E10value_typeET2_T3_PNSH_ISM_E10value_typeET4_T5_PSR_SS_PNS1_23onesweep_lookback_stateEbbT6_jjT7_P12ihipStream_tbENKUlT_T0_SG_SL_E_clISA_SA_SB_SB_EEDaSZ_S10_SG_SL_EUlSZ_E_NS1_11comp_targetILNS1_3genE5ELNS1_11target_archE942ELNS1_3gpuE9ELNS1_3repE0EEENS1_47radix_sort_onesweep_sort_config_static_selectorELNS0_4arch9wavefront6targetE0EEEvSG_.private_seg_size, 0
	.set _ZN7rocprim17ROCPRIM_400000_NS6detail17trampoline_kernelINS0_14default_configENS1_35radix_sort_onesweep_config_selectorIaNS0_10empty_typeEEEZZNS1_29radix_sort_onesweep_iterationIS3_Lb1EPKaPaPS5_SB_mNS0_19identity_decomposerENS1_16block_id_wrapperIjLb1EEEEE10hipError_tT1_PNSt15iterator_traitsISG_E10value_typeET2_T3_PNSH_ISM_E10value_typeET4_T5_PSR_SS_PNS1_23onesweep_lookback_stateEbbT6_jjT7_P12ihipStream_tbENKUlT_T0_SG_SL_E_clISA_SA_SB_SB_EEDaSZ_S10_SG_SL_EUlSZ_E_NS1_11comp_targetILNS1_3genE5ELNS1_11target_archE942ELNS1_3gpuE9ELNS1_3repE0EEENS1_47radix_sort_onesweep_sort_config_static_selectorELNS0_4arch9wavefront6targetE0EEEvSG_.uses_vcc, 0
	.set _ZN7rocprim17ROCPRIM_400000_NS6detail17trampoline_kernelINS0_14default_configENS1_35radix_sort_onesweep_config_selectorIaNS0_10empty_typeEEEZZNS1_29radix_sort_onesweep_iterationIS3_Lb1EPKaPaPS5_SB_mNS0_19identity_decomposerENS1_16block_id_wrapperIjLb1EEEEE10hipError_tT1_PNSt15iterator_traitsISG_E10value_typeET2_T3_PNSH_ISM_E10value_typeET4_T5_PSR_SS_PNS1_23onesweep_lookback_stateEbbT6_jjT7_P12ihipStream_tbENKUlT_T0_SG_SL_E_clISA_SA_SB_SB_EEDaSZ_S10_SG_SL_EUlSZ_E_NS1_11comp_targetILNS1_3genE5ELNS1_11target_archE942ELNS1_3gpuE9ELNS1_3repE0EEENS1_47radix_sort_onesweep_sort_config_static_selectorELNS0_4arch9wavefront6targetE0EEEvSG_.uses_flat_scratch, 0
	.set _ZN7rocprim17ROCPRIM_400000_NS6detail17trampoline_kernelINS0_14default_configENS1_35radix_sort_onesweep_config_selectorIaNS0_10empty_typeEEEZZNS1_29radix_sort_onesweep_iterationIS3_Lb1EPKaPaPS5_SB_mNS0_19identity_decomposerENS1_16block_id_wrapperIjLb1EEEEE10hipError_tT1_PNSt15iterator_traitsISG_E10value_typeET2_T3_PNSH_ISM_E10value_typeET4_T5_PSR_SS_PNS1_23onesweep_lookback_stateEbbT6_jjT7_P12ihipStream_tbENKUlT_T0_SG_SL_E_clISA_SA_SB_SB_EEDaSZ_S10_SG_SL_EUlSZ_E_NS1_11comp_targetILNS1_3genE5ELNS1_11target_archE942ELNS1_3gpuE9ELNS1_3repE0EEENS1_47radix_sort_onesweep_sort_config_static_selectorELNS0_4arch9wavefront6targetE0EEEvSG_.has_dyn_sized_stack, 0
	.set _ZN7rocprim17ROCPRIM_400000_NS6detail17trampoline_kernelINS0_14default_configENS1_35radix_sort_onesweep_config_selectorIaNS0_10empty_typeEEEZZNS1_29radix_sort_onesweep_iterationIS3_Lb1EPKaPaPS5_SB_mNS0_19identity_decomposerENS1_16block_id_wrapperIjLb1EEEEE10hipError_tT1_PNSt15iterator_traitsISG_E10value_typeET2_T3_PNSH_ISM_E10value_typeET4_T5_PSR_SS_PNS1_23onesweep_lookback_stateEbbT6_jjT7_P12ihipStream_tbENKUlT_T0_SG_SL_E_clISA_SA_SB_SB_EEDaSZ_S10_SG_SL_EUlSZ_E_NS1_11comp_targetILNS1_3genE5ELNS1_11target_archE942ELNS1_3gpuE9ELNS1_3repE0EEENS1_47radix_sort_onesweep_sort_config_static_selectorELNS0_4arch9wavefront6targetE0EEEvSG_.has_recursion, 0
	.set _ZN7rocprim17ROCPRIM_400000_NS6detail17trampoline_kernelINS0_14default_configENS1_35radix_sort_onesweep_config_selectorIaNS0_10empty_typeEEEZZNS1_29radix_sort_onesweep_iterationIS3_Lb1EPKaPaPS5_SB_mNS0_19identity_decomposerENS1_16block_id_wrapperIjLb1EEEEE10hipError_tT1_PNSt15iterator_traitsISG_E10value_typeET2_T3_PNSH_ISM_E10value_typeET4_T5_PSR_SS_PNS1_23onesweep_lookback_stateEbbT6_jjT7_P12ihipStream_tbENKUlT_T0_SG_SL_E_clISA_SA_SB_SB_EEDaSZ_S10_SG_SL_EUlSZ_E_NS1_11comp_targetILNS1_3genE5ELNS1_11target_archE942ELNS1_3gpuE9ELNS1_3repE0EEENS1_47radix_sort_onesweep_sort_config_static_selectorELNS0_4arch9wavefront6targetE0EEEvSG_.has_indirect_call, 0
	.section	.AMDGPU.csdata,"",@progbits
; Kernel info:
; codeLenInByte = 0
; TotalNumSgprs: 0
; NumVgprs: 0
; ScratchSize: 0
; MemoryBound: 0
; FloatMode: 240
; IeeeMode: 1
; LDSByteSize: 0 bytes/workgroup (compile time only)
; SGPRBlocks: 0
; VGPRBlocks: 0
; NumSGPRsForWavesPerEU: 1
; NumVGPRsForWavesPerEU: 1
; NamedBarCnt: 0
; Occupancy: 16
; WaveLimiterHint : 0
; COMPUTE_PGM_RSRC2:SCRATCH_EN: 0
; COMPUTE_PGM_RSRC2:USER_SGPR: 2
; COMPUTE_PGM_RSRC2:TRAP_HANDLER: 0
; COMPUTE_PGM_RSRC2:TGID_X_EN: 1
; COMPUTE_PGM_RSRC2:TGID_Y_EN: 0
; COMPUTE_PGM_RSRC2:TGID_Z_EN: 0
; COMPUTE_PGM_RSRC2:TIDIG_COMP_CNT: 0
	.section	.text._ZN7rocprim17ROCPRIM_400000_NS6detail17trampoline_kernelINS0_14default_configENS1_35radix_sort_onesweep_config_selectorIaNS0_10empty_typeEEEZZNS1_29radix_sort_onesweep_iterationIS3_Lb1EPKaPaPS5_SB_mNS0_19identity_decomposerENS1_16block_id_wrapperIjLb1EEEEE10hipError_tT1_PNSt15iterator_traitsISG_E10value_typeET2_T3_PNSH_ISM_E10value_typeET4_T5_PSR_SS_PNS1_23onesweep_lookback_stateEbbT6_jjT7_P12ihipStream_tbENKUlT_T0_SG_SL_E_clISA_SA_SB_SB_EEDaSZ_S10_SG_SL_EUlSZ_E_NS1_11comp_targetILNS1_3genE2ELNS1_11target_archE906ELNS1_3gpuE6ELNS1_3repE0EEENS1_47radix_sort_onesweep_sort_config_static_selectorELNS0_4arch9wavefront6targetE0EEEvSG_,"axG",@progbits,_ZN7rocprim17ROCPRIM_400000_NS6detail17trampoline_kernelINS0_14default_configENS1_35radix_sort_onesweep_config_selectorIaNS0_10empty_typeEEEZZNS1_29radix_sort_onesweep_iterationIS3_Lb1EPKaPaPS5_SB_mNS0_19identity_decomposerENS1_16block_id_wrapperIjLb1EEEEE10hipError_tT1_PNSt15iterator_traitsISG_E10value_typeET2_T3_PNSH_ISM_E10value_typeET4_T5_PSR_SS_PNS1_23onesweep_lookback_stateEbbT6_jjT7_P12ihipStream_tbENKUlT_T0_SG_SL_E_clISA_SA_SB_SB_EEDaSZ_S10_SG_SL_EUlSZ_E_NS1_11comp_targetILNS1_3genE2ELNS1_11target_archE906ELNS1_3gpuE6ELNS1_3repE0EEENS1_47radix_sort_onesweep_sort_config_static_selectorELNS0_4arch9wavefront6targetE0EEEvSG_,comdat
	.protected	_ZN7rocprim17ROCPRIM_400000_NS6detail17trampoline_kernelINS0_14default_configENS1_35radix_sort_onesweep_config_selectorIaNS0_10empty_typeEEEZZNS1_29radix_sort_onesweep_iterationIS3_Lb1EPKaPaPS5_SB_mNS0_19identity_decomposerENS1_16block_id_wrapperIjLb1EEEEE10hipError_tT1_PNSt15iterator_traitsISG_E10value_typeET2_T3_PNSH_ISM_E10value_typeET4_T5_PSR_SS_PNS1_23onesweep_lookback_stateEbbT6_jjT7_P12ihipStream_tbENKUlT_T0_SG_SL_E_clISA_SA_SB_SB_EEDaSZ_S10_SG_SL_EUlSZ_E_NS1_11comp_targetILNS1_3genE2ELNS1_11target_archE906ELNS1_3gpuE6ELNS1_3repE0EEENS1_47radix_sort_onesweep_sort_config_static_selectorELNS0_4arch9wavefront6targetE0EEEvSG_ ; -- Begin function _ZN7rocprim17ROCPRIM_400000_NS6detail17trampoline_kernelINS0_14default_configENS1_35radix_sort_onesweep_config_selectorIaNS0_10empty_typeEEEZZNS1_29radix_sort_onesweep_iterationIS3_Lb1EPKaPaPS5_SB_mNS0_19identity_decomposerENS1_16block_id_wrapperIjLb1EEEEE10hipError_tT1_PNSt15iterator_traitsISG_E10value_typeET2_T3_PNSH_ISM_E10value_typeET4_T5_PSR_SS_PNS1_23onesweep_lookback_stateEbbT6_jjT7_P12ihipStream_tbENKUlT_T0_SG_SL_E_clISA_SA_SB_SB_EEDaSZ_S10_SG_SL_EUlSZ_E_NS1_11comp_targetILNS1_3genE2ELNS1_11target_archE906ELNS1_3gpuE6ELNS1_3repE0EEENS1_47radix_sort_onesweep_sort_config_static_selectorELNS0_4arch9wavefront6targetE0EEEvSG_
	.globl	_ZN7rocprim17ROCPRIM_400000_NS6detail17trampoline_kernelINS0_14default_configENS1_35radix_sort_onesweep_config_selectorIaNS0_10empty_typeEEEZZNS1_29radix_sort_onesweep_iterationIS3_Lb1EPKaPaPS5_SB_mNS0_19identity_decomposerENS1_16block_id_wrapperIjLb1EEEEE10hipError_tT1_PNSt15iterator_traitsISG_E10value_typeET2_T3_PNSH_ISM_E10value_typeET4_T5_PSR_SS_PNS1_23onesweep_lookback_stateEbbT6_jjT7_P12ihipStream_tbENKUlT_T0_SG_SL_E_clISA_SA_SB_SB_EEDaSZ_S10_SG_SL_EUlSZ_E_NS1_11comp_targetILNS1_3genE2ELNS1_11target_archE906ELNS1_3gpuE6ELNS1_3repE0EEENS1_47radix_sort_onesweep_sort_config_static_selectorELNS0_4arch9wavefront6targetE0EEEvSG_
	.p2align	8
	.type	_ZN7rocprim17ROCPRIM_400000_NS6detail17trampoline_kernelINS0_14default_configENS1_35radix_sort_onesweep_config_selectorIaNS0_10empty_typeEEEZZNS1_29radix_sort_onesweep_iterationIS3_Lb1EPKaPaPS5_SB_mNS0_19identity_decomposerENS1_16block_id_wrapperIjLb1EEEEE10hipError_tT1_PNSt15iterator_traitsISG_E10value_typeET2_T3_PNSH_ISM_E10value_typeET4_T5_PSR_SS_PNS1_23onesweep_lookback_stateEbbT6_jjT7_P12ihipStream_tbENKUlT_T0_SG_SL_E_clISA_SA_SB_SB_EEDaSZ_S10_SG_SL_EUlSZ_E_NS1_11comp_targetILNS1_3genE2ELNS1_11target_archE906ELNS1_3gpuE6ELNS1_3repE0EEENS1_47radix_sort_onesweep_sort_config_static_selectorELNS0_4arch9wavefront6targetE0EEEvSG_,@function
_ZN7rocprim17ROCPRIM_400000_NS6detail17trampoline_kernelINS0_14default_configENS1_35radix_sort_onesweep_config_selectorIaNS0_10empty_typeEEEZZNS1_29radix_sort_onesweep_iterationIS3_Lb1EPKaPaPS5_SB_mNS0_19identity_decomposerENS1_16block_id_wrapperIjLb1EEEEE10hipError_tT1_PNSt15iterator_traitsISG_E10value_typeET2_T3_PNSH_ISM_E10value_typeET4_T5_PSR_SS_PNS1_23onesweep_lookback_stateEbbT6_jjT7_P12ihipStream_tbENKUlT_T0_SG_SL_E_clISA_SA_SB_SB_EEDaSZ_S10_SG_SL_EUlSZ_E_NS1_11comp_targetILNS1_3genE2ELNS1_11target_archE906ELNS1_3gpuE6ELNS1_3repE0EEENS1_47radix_sort_onesweep_sort_config_static_selectorELNS0_4arch9wavefront6targetE0EEEvSG_: ; @_ZN7rocprim17ROCPRIM_400000_NS6detail17trampoline_kernelINS0_14default_configENS1_35radix_sort_onesweep_config_selectorIaNS0_10empty_typeEEEZZNS1_29radix_sort_onesweep_iterationIS3_Lb1EPKaPaPS5_SB_mNS0_19identity_decomposerENS1_16block_id_wrapperIjLb1EEEEE10hipError_tT1_PNSt15iterator_traitsISG_E10value_typeET2_T3_PNSH_ISM_E10value_typeET4_T5_PSR_SS_PNS1_23onesweep_lookback_stateEbbT6_jjT7_P12ihipStream_tbENKUlT_T0_SG_SL_E_clISA_SA_SB_SB_EEDaSZ_S10_SG_SL_EUlSZ_E_NS1_11comp_targetILNS1_3genE2ELNS1_11target_archE906ELNS1_3gpuE6ELNS1_3repE0EEENS1_47radix_sort_onesweep_sort_config_static_selectorELNS0_4arch9wavefront6targetE0EEEvSG_
; %bb.0:
	.section	.rodata,"a",@progbits
	.p2align	6, 0x0
	.amdhsa_kernel _ZN7rocprim17ROCPRIM_400000_NS6detail17trampoline_kernelINS0_14default_configENS1_35radix_sort_onesweep_config_selectorIaNS0_10empty_typeEEEZZNS1_29radix_sort_onesweep_iterationIS3_Lb1EPKaPaPS5_SB_mNS0_19identity_decomposerENS1_16block_id_wrapperIjLb1EEEEE10hipError_tT1_PNSt15iterator_traitsISG_E10value_typeET2_T3_PNSH_ISM_E10value_typeET4_T5_PSR_SS_PNS1_23onesweep_lookback_stateEbbT6_jjT7_P12ihipStream_tbENKUlT_T0_SG_SL_E_clISA_SA_SB_SB_EEDaSZ_S10_SG_SL_EUlSZ_E_NS1_11comp_targetILNS1_3genE2ELNS1_11target_archE906ELNS1_3gpuE6ELNS1_3repE0EEENS1_47radix_sort_onesweep_sort_config_static_selectorELNS0_4arch9wavefront6targetE0EEEvSG_
		.amdhsa_group_segment_fixed_size 0
		.amdhsa_private_segment_fixed_size 0
		.amdhsa_kernarg_size 88
		.amdhsa_user_sgpr_count 2
		.amdhsa_user_sgpr_dispatch_ptr 0
		.amdhsa_user_sgpr_queue_ptr 0
		.amdhsa_user_sgpr_kernarg_segment_ptr 1
		.amdhsa_user_sgpr_dispatch_id 0
		.amdhsa_user_sgpr_kernarg_preload_length 0
		.amdhsa_user_sgpr_kernarg_preload_offset 0
		.amdhsa_user_sgpr_private_segment_size 0
		.amdhsa_wavefront_size32 1
		.amdhsa_uses_dynamic_stack 0
		.amdhsa_enable_private_segment 0
		.amdhsa_system_sgpr_workgroup_id_x 1
		.amdhsa_system_sgpr_workgroup_id_y 0
		.amdhsa_system_sgpr_workgroup_id_z 0
		.amdhsa_system_sgpr_workgroup_info 0
		.amdhsa_system_vgpr_workitem_id 0
		.amdhsa_next_free_vgpr 1
		.amdhsa_next_free_sgpr 1
		.amdhsa_named_barrier_count 0
		.amdhsa_reserve_vcc 0
		.amdhsa_float_round_mode_32 0
		.amdhsa_float_round_mode_16_64 0
		.amdhsa_float_denorm_mode_32 3
		.amdhsa_float_denorm_mode_16_64 3
		.amdhsa_fp16_overflow 0
		.amdhsa_memory_ordered 1
		.amdhsa_forward_progress 1
		.amdhsa_inst_pref_size 0
		.amdhsa_round_robin_scheduling 0
		.amdhsa_exception_fp_ieee_invalid_op 0
		.amdhsa_exception_fp_denorm_src 0
		.amdhsa_exception_fp_ieee_div_zero 0
		.amdhsa_exception_fp_ieee_overflow 0
		.amdhsa_exception_fp_ieee_underflow 0
		.amdhsa_exception_fp_ieee_inexact 0
		.amdhsa_exception_int_div_zero 0
	.end_amdhsa_kernel
	.section	.text._ZN7rocprim17ROCPRIM_400000_NS6detail17trampoline_kernelINS0_14default_configENS1_35radix_sort_onesweep_config_selectorIaNS0_10empty_typeEEEZZNS1_29radix_sort_onesweep_iterationIS3_Lb1EPKaPaPS5_SB_mNS0_19identity_decomposerENS1_16block_id_wrapperIjLb1EEEEE10hipError_tT1_PNSt15iterator_traitsISG_E10value_typeET2_T3_PNSH_ISM_E10value_typeET4_T5_PSR_SS_PNS1_23onesweep_lookback_stateEbbT6_jjT7_P12ihipStream_tbENKUlT_T0_SG_SL_E_clISA_SA_SB_SB_EEDaSZ_S10_SG_SL_EUlSZ_E_NS1_11comp_targetILNS1_3genE2ELNS1_11target_archE906ELNS1_3gpuE6ELNS1_3repE0EEENS1_47radix_sort_onesweep_sort_config_static_selectorELNS0_4arch9wavefront6targetE0EEEvSG_,"axG",@progbits,_ZN7rocprim17ROCPRIM_400000_NS6detail17trampoline_kernelINS0_14default_configENS1_35radix_sort_onesweep_config_selectorIaNS0_10empty_typeEEEZZNS1_29radix_sort_onesweep_iterationIS3_Lb1EPKaPaPS5_SB_mNS0_19identity_decomposerENS1_16block_id_wrapperIjLb1EEEEE10hipError_tT1_PNSt15iterator_traitsISG_E10value_typeET2_T3_PNSH_ISM_E10value_typeET4_T5_PSR_SS_PNS1_23onesweep_lookback_stateEbbT6_jjT7_P12ihipStream_tbENKUlT_T0_SG_SL_E_clISA_SA_SB_SB_EEDaSZ_S10_SG_SL_EUlSZ_E_NS1_11comp_targetILNS1_3genE2ELNS1_11target_archE906ELNS1_3gpuE6ELNS1_3repE0EEENS1_47radix_sort_onesweep_sort_config_static_selectorELNS0_4arch9wavefront6targetE0EEEvSG_,comdat
.Lfunc_end367:
	.size	_ZN7rocprim17ROCPRIM_400000_NS6detail17trampoline_kernelINS0_14default_configENS1_35radix_sort_onesweep_config_selectorIaNS0_10empty_typeEEEZZNS1_29radix_sort_onesweep_iterationIS3_Lb1EPKaPaPS5_SB_mNS0_19identity_decomposerENS1_16block_id_wrapperIjLb1EEEEE10hipError_tT1_PNSt15iterator_traitsISG_E10value_typeET2_T3_PNSH_ISM_E10value_typeET4_T5_PSR_SS_PNS1_23onesweep_lookback_stateEbbT6_jjT7_P12ihipStream_tbENKUlT_T0_SG_SL_E_clISA_SA_SB_SB_EEDaSZ_S10_SG_SL_EUlSZ_E_NS1_11comp_targetILNS1_3genE2ELNS1_11target_archE906ELNS1_3gpuE6ELNS1_3repE0EEENS1_47radix_sort_onesweep_sort_config_static_selectorELNS0_4arch9wavefront6targetE0EEEvSG_, .Lfunc_end367-_ZN7rocprim17ROCPRIM_400000_NS6detail17trampoline_kernelINS0_14default_configENS1_35radix_sort_onesweep_config_selectorIaNS0_10empty_typeEEEZZNS1_29radix_sort_onesweep_iterationIS3_Lb1EPKaPaPS5_SB_mNS0_19identity_decomposerENS1_16block_id_wrapperIjLb1EEEEE10hipError_tT1_PNSt15iterator_traitsISG_E10value_typeET2_T3_PNSH_ISM_E10value_typeET4_T5_PSR_SS_PNS1_23onesweep_lookback_stateEbbT6_jjT7_P12ihipStream_tbENKUlT_T0_SG_SL_E_clISA_SA_SB_SB_EEDaSZ_S10_SG_SL_EUlSZ_E_NS1_11comp_targetILNS1_3genE2ELNS1_11target_archE906ELNS1_3gpuE6ELNS1_3repE0EEENS1_47radix_sort_onesweep_sort_config_static_selectorELNS0_4arch9wavefront6targetE0EEEvSG_
                                        ; -- End function
	.set _ZN7rocprim17ROCPRIM_400000_NS6detail17trampoline_kernelINS0_14default_configENS1_35radix_sort_onesweep_config_selectorIaNS0_10empty_typeEEEZZNS1_29radix_sort_onesweep_iterationIS3_Lb1EPKaPaPS5_SB_mNS0_19identity_decomposerENS1_16block_id_wrapperIjLb1EEEEE10hipError_tT1_PNSt15iterator_traitsISG_E10value_typeET2_T3_PNSH_ISM_E10value_typeET4_T5_PSR_SS_PNS1_23onesweep_lookback_stateEbbT6_jjT7_P12ihipStream_tbENKUlT_T0_SG_SL_E_clISA_SA_SB_SB_EEDaSZ_S10_SG_SL_EUlSZ_E_NS1_11comp_targetILNS1_3genE2ELNS1_11target_archE906ELNS1_3gpuE6ELNS1_3repE0EEENS1_47radix_sort_onesweep_sort_config_static_selectorELNS0_4arch9wavefront6targetE0EEEvSG_.num_vgpr, 0
	.set _ZN7rocprim17ROCPRIM_400000_NS6detail17trampoline_kernelINS0_14default_configENS1_35radix_sort_onesweep_config_selectorIaNS0_10empty_typeEEEZZNS1_29radix_sort_onesweep_iterationIS3_Lb1EPKaPaPS5_SB_mNS0_19identity_decomposerENS1_16block_id_wrapperIjLb1EEEEE10hipError_tT1_PNSt15iterator_traitsISG_E10value_typeET2_T3_PNSH_ISM_E10value_typeET4_T5_PSR_SS_PNS1_23onesweep_lookback_stateEbbT6_jjT7_P12ihipStream_tbENKUlT_T0_SG_SL_E_clISA_SA_SB_SB_EEDaSZ_S10_SG_SL_EUlSZ_E_NS1_11comp_targetILNS1_3genE2ELNS1_11target_archE906ELNS1_3gpuE6ELNS1_3repE0EEENS1_47radix_sort_onesweep_sort_config_static_selectorELNS0_4arch9wavefront6targetE0EEEvSG_.num_agpr, 0
	.set _ZN7rocprim17ROCPRIM_400000_NS6detail17trampoline_kernelINS0_14default_configENS1_35radix_sort_onesweep_config_selectorIaNS0_10empty_typeEEEZZNS1_29radix_sort_onesweep_iterationIS3_Lb1EPKaPaPS5_SB_mNS0_19identity_decomposerENS1_16block_id_wrapperIjLb1EEEEE10hipError_tT1_PNSt15iterator_traitsISG_E10value_typeET2_T3_PNSH_ISM_E10value_typeET4_T5_PSR_SS_PNS1_23onesweep_lookback_stateEbbT6_jjT7_P12ihipStream_tbENKUlT_T0_SG_SL_E_clISA_SA_SB_SB_EEDaSZ_S10_SG_SL_EUlSZ_E_NS1_11comp_targetILNS1_3genE2ELNS1_11target_archE906ELNS1_3gpuE6ELNS1_3repE0EEENS1_47radix_sort_onesweep_sort_config_static_selectorELNS0_4arch9wavefront6targetE0EEEvSG_.numbered_sgpr, 0
	.set _ZN7rocprim17ROCPRIM_400000_NS6detail17trampoline_kernelINS0_14default_configENS1_35radix_sort_onesweep_config_selectorIaNS0_10empty_typeEEEZZNS1_29radix_sort_onesweep_iterationIS3_Lb1EPKaPaPS5_SB_mNS0_19identity_decomposerENS1_16block_id_wrapperIjLb1EEEEE10hipError_tT1_PNSt15iterator_traitsISG_E10value_typeET2_T3_PNSH_ISM_E10value_typeET4_T5_PSR_SS_PNS1_23onesweep_lookback_stateEbbT6_jjT7_P12ihipStream_tbENKUlT_T0_SG_SL_E_clISA_SA_SB_SB_EEDaSZ_S10_SG_SL_EUlSZ_E_NS1_11comp_targetILNS1_3genE2ELNS1_11target_archE906ELNS1_3gpuE6ELNS1_3repE0EEENS1_47radix_sort_onesweep_sort_config_static_selectorELNS0_4arch9wavefront6targetE0EEEvSG_.num_named_barrier, 0
	.set _ZN7rocprim17ROCPRIM_400000_NS6detail17trampoline_kernelINS0_14default_configENS1_35radix_sort_onesweep_config_selectorIaNS0_10empty_typeEEEZZNS1_29radix_sort_onesweep_iterationIS3_Lb1EPKaPaPS5_SB_mNS0_19identity_decomposerENS1_16block_id_wrapperIjLb1EEEEE10hipError_tT1_PNSt15iterator_traitsISG_E10value_typeET2_T3_PNSH_ISM_E10value_typeET4_T5_PSR_SS_PNS1_23onesweep_lookback_stateEbbT6_jjT7_P12ihipStream_tbENKUlT_T0_SG_SL_E_clISA_SA_SB_SB_EEDaSZ_S10_SG_SL_EUlSZ_E_NS1_11comp_targetILNS1_3genE2ELNS1_11target_archE906ELNS1_3gpuE6ELNS1_3repE0EEENS1_47radix_sort_onesweep_sort_config_static_selectorELNS0_4arch9wavefront6targetE0EEEvSG_.private_seg_size, 0
	.set _ZN7rocprim17ROCPRIM_400000_NS6detail17trampoline_kernelINS0_14default_configENS1_35radix_sort_onesweep_config_selectorIaNS0_10empty_typeEEEZZNS1_29radix_sort_onesweep_iterationIS3_Lb1EPKaPaPS5_SB_mNS0_19identity_decomposerENS1_16block_id_wrapperIjLb1EEEEE10hipError_tT1_PNSt15iterator_traitsISG_E10value_typeET2_T3_PNSH_ISM_E10value_typeET4_T5_PSR_SS_PNS1_23onesweep_lookback_stateEbbT6_jjT7_P12ihipStream_tbENKUlT_T0_SG_SL_E_clISA_SA_SB_SB_EEDaSZ_S10_SG_SL_EUlSZ_E_NS1_11comp_targetILNS1_3genE2ELNS1_11target_archE906ELNS1_3gpuE6ELNS1_3repE0EEENS1_47radix_sort_onesweep_sort_config_static_selectorELNS0_4arch9wavefront6targetE0EEEvSG_.uses_vcc, 0
	.set _ZN7rocprim17ROCPRIM_400000_NS6detail17trampoline_kernelINS0_14default_configENS1_35radix_sort_onesweep_config_selectorIaNS0_10empty_typeEEEZZNS1_29radix_sort_onesweep_iterationIS3_Lb1EPKaPaPS5_SB_mNS0_19identity_decomposerENS1_16block_id_wrapperIjLb1EEEEE10hipError_tT1_PNSt15iterator_traitsISG_E10value_typeET2_T3_PNSH_ISM_E10value_typeET4_T5_PSR_SS_PNS1_23onesweep_lookback_stateEbbT6_jjT7_P12ihipStream_tbENKUlT_T0_SG_SL_E_clISA_SA_SB_SB_EEDaSZ_S10_SG_SL_EUlSZ_E_NS1_11comp_targetILNS1_3genE2ELNS1_11target_archE906ELNS1_3gpuE6ELNS1_3repE0EEENS1_47radix_sort_onesweep_sort_config_static_selectorELNS0_4arch9wavefront6targetE0EEEvSG_.uses_flat_scratch, 0
	.set _ZN7rocprim17ROCPRIM_400000_NS6detail17trampoline_kernelINS0_14default_configENS1_35radix_sort_onesweep_config_selectorIaNS0_10empty_typeEEEZZNS1_29radix_sort_onesweep_iterationIS3_Lb1EPKaPaPS5_SB_mNS0_19identity_decomposerENS1_16block_id_wrapperIjLb1EEEEE10hipError_tT1_PNSt15iterator_traitsISG_E10value_typeET2_T3_PNSH_ISM_E10value_typeET4_T5_PSR_SS_PNS1_23onesweep_lookback_stateEbbT6_jjT7_P12ihipStream_tbENKUlT_T0_SG_SL_E_clISA_SA_SB_SB_EEDaSZ_S10_SG_SL_EUlSZ_E_NS1_11comp_targetILNS1_3genE2ELNS1_11target_archE906ELNS1_3gpuE6ELNS1_3repE0EEENS1_47radix_sort_onesweep_sort_config_static_selectorELNS0_4arch9wavefront6targetE0EEEvSG_.has_dyn_sized_stack, 0
	.set _ZN7rocprim17ROCPRIM_400000_NS6detail17trampoline_kernelINS0_14default_configENS1_35radix_sort_onesweep_config_selectorIaNS0_10empty_typeEEEZZNS1_29radix_sort_onesweep_iterationIS3_Lb1EPKaPaPS5_SB_mNS0_19identity_decomposerENS1_16block_id_wrapperIjLb1EEEEE10hipError_tT1_PNSt15iterator_traitsISG_E10value_typeET2_T3_PNSH_ISM_E10value_typeET4_T5_PSR_SS_PNS1_23onesweep_lookback_stateEbbT6_jjT7_P12ihipStream_tbENKUlT_T0_SG_SL_E_clISA_SA_SB_SB_EEDaSZ_S10_SG_SL_EUlSZ_E_NS1_11comp_targetILNS1_3genE2ELNS1_11target_archE906ELNS1_3gpuE6ELNS1_3repE0EEENS1_47radix_sort_onesweep_sort_config_static_selectorELNS0_4arch9wavefront6targetE0EEEvSG_.has_recursion, 0
	.set _ZN7rocprim17ROCPRIM_400000_NS6detail17trampoline_kernelINS0_14default_configENS1_35radix_sort_onesweep_config_selectorIaNS0_10empty_typeEEEZZNS1_29radix_sort_onesweep_iterationIS3_Lb1EPKaPaPS5_SB_mNS0_19identity_decomposerENS1_16block_id_wrapperIjLb1EEEEE10hipError_tT1_PNSt15iterator_traitsISG_E10value_typeET2_T3_PNSH_ISM_E10value_typeET4_T5_PSR_SS_PNS1_23onesweep_lookback_stateEbbT6_jjT7_P12ihipStream_tbENKUlT_T0_SG_SL_E_clISA_SA_SB_SB_EEDaSZ_S10_SG_SL_EUlSZ_E_NS1_11comp_targetILNS1_3genE2ELNS1_11target_archE906ELNS1_3gpuE6ELNS1_3repE0EEENS1_47radix_sort_onesweep_sort_config_static_selectorELNS0_4arch9wavefront6targetE0EEEvSG_.has_indirect_call, 0
	.section	.AMDGPU.csdata,"",@progbits
; Kernel info:
; codeLenInByte = 0
; TotalNumSgprs: 0
; NumVgprs: 0
; ScratchSize: 0
; MemoryBound: 0
; FloatMode: 240
; IeeeMode: 1
; LDSByteSize: 0 bytes/workgroup (compile time only)
; SGPRBlocks: 0
; VGPRBlocks: 0
; NumSGPRsForWavesPerEU: 1
; NumVGPRsForWavesPerEU: 1
; NamedBarCnt: 0
; Occupancy: 16
; WaveLimiterHint : 0
; COMPUTE_PGM_RSRC2:SCRATCH_EN: 0
; COMPUTE_PGM_RSRC2:USER_SGPR: 2
; COMPUTE_PGM_RSRC2:TRAP_HANDLER: 0
; COMPUTE_PGM_RSRC2:TGID_X_EN: 1
; COMPUTE_PGM_RSRC2:TGID_Y_EN: 0
; COMPUTE_PGM_RSRC2:TGID_Z_EN: 0
; COMPUTE_PGM_RSRC2:TIDIG_COMP_CNT: 0
	.section	.text._ZN7rocprim17ROCPRIM_400000_NS6detail17trampoline_kernelINS0_14default_configENS1_35radix_sort_onesweep_config_selectorIaNS0_10empty_typeEEEZZNS1_29radix_sort_onesweep_iterationIS3_Lb1EPKaPaPS5_SB_mNS0_19identity_decomposerENS1_16block_id_wrapperIjLb1EEEEE10hipError_tT1_PNSt15iterator_traitsISG_E10value_typeET2_T3_PNSH_ISM_E10value_typeET4_T5_PSR_SS_PNS1_23onesweep_lookback_stateEbbT6_jjT7_P12ihipStream_tbENKUlT_T0_SG_SL_E_clISA_SA_SB_SB_EEDaSZ_S10_SG_SL_EUlSZ_E_NS1_11comp_targetILNS1_3genE4ELNS1_11target_archE910ELNS1_3gpuE8ELNS1_3repE0EEENS1_47radix_sort_onesweep_sort_config_static_selectorELNS0_4arch9wavefront6targetE0EEEvSG_,"axG",@progbits,_ZN7rocprim17ROCPRIM_400000_NS6detail17trampoline_kernelINS0_14default_configENS1_35radix_sort_onesweep_config_selectorIaNS0_10empty_typeEEEZZNS1_29radix_sort_onesweep_iterationIS3_Lb1EPKaPaPS5_SB_mNS0_19identity_decomposerENS1_16block_id_wrapperIjLb1EEEEE10hipError_tT1_PNSt15iterator_traitsISG_E10value_typeET2_T3_PNSH_ISM_E10value_typeET4_T5_PSR_SS_PNS1_23onesweep_lookback_stateEbbT6_jjT7_P12ihipStream_tbENKUlT_T0_SG_SL_E_clISA_SA_SB_SB_EEDaSZ_S10_SG_SL_EUlSZ_E_NS1_11comp_targetILNS1_3genE4ELNS1_11target_archE910ELNS1_3gpuE8ELNS1_3repE0EEENS1_47radix_sort_onesweep_sort_config_static_selectorELNS0_4arch9wavefront6targetE0EEEvSG_,comdat
	.protected	_ZN7rocprim17ROCPRIM_400000_NS6detail17trampoline_kernelINS0_14default_configENS1_35radix_sort_onesweep_config_selectorIaNS0_10empty_typeEEEZZNS1_29radix_sort_onesweep_iterationIS3_Lb1EPKaPaPS5_SB_mNS0_19identity_decomposerENS1_16block_id_wrapperIjLb1EEEEE10hipError_tT1_PNSt15iterator_traitsISG_E10value_typeET2_T3_PNSH_ISM_E10value_typeET4_T5_PSR_SS_PNS1_23onesweep_lookback_stateEbbT6_jjT7_P12ihipStream_tbENKUlT_T0_SG_SL_E_clISA_SA_SB_SB_EEDaSZ_S10_SG_SL_EUlSZ_E_NS1_11comp_targetILNS1_3genE4ELNS1_11target_archE910ELNS1_3gpuE8ELNS1_3repE0EEENS1_47radix_sort_onesweep_sort_config_static_selectorELNS0_4arch9wavefront6targetE0EEEvSG_ ; -- Begin function _ZN7rocprim17ROCPRIM_400000_NS6detail17trampoline_kernelINS0_14default_configENS1_35radix_sort_onesweep_config_selectorIaNS0_10empty_typeEEEZZNS1_29radix_sort_onesweep_iterationIS3_Lb1EPKaPaPS5_SB_mNS0_19identity_decomposerENS1_16block_id_wrapperIjLb1EEEEE10hipError_tT1_PNSt15iterator_traitsISG_E10value_typeET2_T3_PNSH_ISM_E10value_typeET4_T5_PSR_SS_PNS1_23onesweep_lookback_stateEbbT6_jjT7_P12ihipStream_tbENKUlT_T0_SG_SL_E_clISA_SA_SB_SB_EEDaSZ_S10_SG_SL_EUlSZ_E_NS1_11comp_targetILNS1_3genE4ELNS1_11target_archE910ELNS1_3gpuE8ELNS1_3repE0EEENS1_47radix_sort_onesweep_sort_config_static_selectorELNS0_4arch9wavefront6targetE0EEEvSG_
	.globl	_ZN7rocprim17ROCPRIM_400000_NS6detail17trampoline_kernelINS0_14default_configENS1_35radix_sort_onesweep_config_selectorIaNS0_10empty_typeEEEZZNS1_29radix_sort_onesweep_iterationIS3_Lb1EPKaPaPS5_SB_mNS0_19identity_decomposerENS1_16block_id_wrapperIjLb1EEEEE10hipError_tT1_PNSt15iterator_traitsISG_E10value_typeET2_T3_PNSH_ISM_E10value_typeET4_T5_PSR_SS_PNS1_23onesweep_lookback_stateEbbT6_jjT7_P12ihipStream_tbENKUlT_T0_SG_SL_E_clISA_SA_SB_SB_EEDaSZ_S10_SG_SL_EUlSZ_E_NS1_11comp_targetILNS1_3genE4ELNS1_11target_archE910ELNS1_3gpuE8ELNS1_3repE0EEENS1_47radix_sort_onesweep_sort_config_static_selectorELNS0_4arch9wavefront6targetE0EEEvSG_
	.p2align	8
	.type	_ZN7rocprim17ROCPRIM_400000_NS6detail17trampoline_kernelINS0_14default_configENS1_35radix_sort_onesweep_config_selectorIaNS0_10empty_typeEEEZZNS1_29radix_sort_onesweep_iterationIS3_Lb1EPKaPaPS5_SB_mNS0_19identity_decomposerENS1_16block_id_wrapperIjLb1EEEEE10hipError_tT1_PNSt15iterator_traitsISG_E10value_typeET2_T3_PNSH_ISM_E10value_typeET4_T5_PSR_SS_PNS1_23onesweep_lookback_stateEbbT6_jjT7_P12ihipStream_tbENKUlT_T0_SG_SL_E_clISA_SA_SB_SB_EEDaSZ_S10_SG_SL_EUlSZ_E_NS1_11comp_targetILNS1_3genE4ELNS1_11target_archE910ELNS1_3gpuE8ELNS1_3repE0EEENS1_47radix_sort_onesweep_sort_config_static_selectorELNS0_4arch9wavefront6targetE0EEEvSG_,@function
_ZN7rocprim17ROCPRIM_400000_NS6detail17trampoline_kernelINS0_14default_configENS1_35radix_sort_onesweep_config_selectorIaNS0_10empty_typeEEEZZNS1_29radix_sort_onesweep_iterationIS3_Lb1EPKaPaPS5_SB_mNS0_19identity_decomposerENS1_16block_id_wrapperIjLb1EEEEE10hipError_tT1_PNSt15iterator_traitsISG_E10value_typeET2_T3_PNSH_ISM_E10value_typeET4_T5_PSR_SS_PNS1_23onesweep_lookback_stateEbbT6_jjT7_P12ihipStream_tbENKUlT_T0_SG_SL_E_clISA_SA_SB_SB_EEDaSZ_S10_SG_SL_EUlSZ_E_NS1_11comp_targetILNS1_3genE4ELNS1_11target_archE910ELNS1_3gpuE8ELNS1_3repE0EEENS1_47radix_sort_onesweep_sort_config_static_selectorELNS0_4arch9wavefront6targetE0EEEvSG_: ; @_ZN7rocprim17ROCPRIM_400000_NS6detail17trampoline_kernelINS0_14default_configENS1_35radix_sort_onesweep_config_selectorIaNS0_10empty_typeEEEZZNS1_29radix_sort_onesweep_iterationIS3_Lb1EPKaPaPS5_SB_mNS0_19identity_decomposerENS1_16block_id_wrapperIjLb1EEEEE10hipError_tT1_PNSt15iterator_traitsISG_E10value_typeET2_T3_PNSH_ISM_E10value_typeET4_T5_PSR_SS_PNS1_23onesweep_lookback_stateEbbT6_jjT7_P12ihipStream_tbENKUlT_T0_SG_SL_E_clISA_SA_SB_SB_EEDaSZ_S10_SG_SL_EUlSZ_E_NS1_11comp_targetILNS1_3genE4ELNS1_11target_archE910ELNS1_3gpuE8ELNS1_3repE0EEENS1_47radix_sort_onesweep_sort_config_static_selectorELNS0_4arch9wavefront6targetE0EEEvSG_
; %bb.0:
	.section	.rodata,"a",@progbits
	.p2align	6, 0x0
	.amdhsa_kernel _ZN7rocprim17ROCPRIM_400000_NS6detail17trampoline_kernelINS0_14default_configENS1_35radix_sort_onesweep_config_selectorIaNS0_10empty_typeEEEZZNS1_29radix_sort_onesweep_iterationIS3_Lb1EPKaPaPS5_SB_mNS0_19identity_decomposerENS1_16block_id_wrapperIjLb1EEEEE10hipError_tT1_PNSt15iterator_traitsISG_E10value_typeET2_T3_PNSH_ISM_E10value_typeET4_T5_PSR_SS_PNS1_23onesweep_lookback_stateEbbT6_jjT7_P12ihipStream_tbENKUlT_T0_SG_SL_E_clISA_SA_SB_SB_EEDaSZ_S10_SG_SL_EUlSZ_E_NS1_11comp_targetILNS1_3genE4ELNS1_11target_archE910ELNS1_3gpuE8ELNS1_3repE0EEENS1_47radix_sort_onesweep_sort_config_static_selectorELNS0_4arch9wavefront6targetE0EEEvSG_
		.amdhsa_group_segment_fixed_size 0
		.amdhsa_private_segment_fixed_size 0
		.amdhsa_kernarg_size 88
		.amdhsa_user_sgpr_count 2
		.amdhsa_user_sgpr_dispatch_ptr 0
		.amdhsa_user_sgpr_queue_ptr 0
		.amdhsa_user_sgpr_kernarg_segment_ptr 1
		.amdhsa_user_sgpr_dispatch_id 0
		.amdhsa_user_sgpr_kernarg_preload_length 0
		.amdhsa_user_sgpr_kernarg_preload_offset 0
		.amdhsa_user_sgpr_private_segment_size 0
		.amdhsa_wavefront_size32 1
		.amdhsa_uses_dynamic_stack 0
		.amdhsa_enable_private_segment 0
		.amdhsa_system_sgpr_workgroup_id_x 1
		.amdhsa_system_sgpr_workgroup_id_y 0
		.amdhsa_system_sgpr_workgroup_id_z 0
		.amdhsa_system_sgpr_workgroup_info 0
		.amdhsa_system_vgpr_workitem_id 0
		.amdhsa_next_free_vgpr 1
		.amdhsa_next_free_sgpr 1
		.amdhsa_named_barrier_count 0
		.amdhsa_reserve_vcc 0
		.amdhsa_float_round_mode_32 0
		.amdhsa_float_round_mode_16_64 0
		.amdhsa_float_denorm_mode_32 3
		.amdhsa_float_denorm_mode_16_64 3
		.amdhsa_fp16_overflow 0
		.amdhsa_memory_ordered 1
		.amdhsa_forward_progress 1
		.amdhsa_inst_pref_size 0
		.amdhsa_round_robin_scheduling 0
		.amdhsa_exception_fp_ieee_invalid_op 0
		.amdhsa_exception_fp_denorm_src 0
		.amdhsa_exception_fp_ieee_div_zero 0
		.amdhsa_exception_fp_ieee_overflow 0
		.amdhsa_exception_fp_ieee_underflow 0
		.amdhsa_exception_fp_ieee_inexact 0
		.amdhsa_exception_int_div_zero 0
	.end_amdhsa_kernel
	.section	.text._ZN7rocprim17ROCPRIM_400000_NS6detail17trampoline_kernelINS0_14default_configENS1_35radix_sort_onesweep_config_selectorIaNS0_10empty_typeEEEZZNS1_29radix_sort_onesweep_iterationIS3_Lb1EPKaPaPS5_SB_mNS0_19identity_decomposerENS1_16block_id_wrapperIjLb1EEEEE10hipError_tT1_PNSt15iterator_traitsISG_E10value_typeET2_T3_PNSH_ISM_E10value_typeET4_T5_PSR_SS_PNS1_23onesweep_lookback_stateEbbT6_jjT7_P12ihipStream_tbENKUlT_T0_SG_SL_E_clISA_SA_SB_SB_EEDaSZ_S10_SG_SL_EUlSZ_E_NS1_11comp_targetILNS1_3genE4ELNS1_11target_archE910ELNS1_3gpuE8ELNS1_3repE0EEENS1_47radix_sort_onesweep_sort_config_static_selectorELNS0_4arch9wavefront6targetE0EEEvSG_,"axG",@progbits,_ZN7rocprim17ROCPRIM_400000_NS6detail17trampoline_kernelINS0_14default_configENS1_35radix_sort_onesweep_config_selectorIaNS0_10empty_typeEEEZZNS1_29radix_sort_onesweep_iterationIS3_Lb1EPKaPaPS5_SB_mNS0_19identity_decomposerENS1_16block_id_wrapperIjLb1EEEEE10hipError_tT1_PNSt15iterator_traitsISG_E10value_typeET2_T3_PNSH_ISM_E10value_typeET4_T5_PSR_SS_PNS1_23onesweep_lookback_stateEbbT6_jjT7_P12ihipStream_tbENKUlT_T0_SG_SL_E_clISA_SA_SB_SB_EEDaSZ_S10_SG_SL_EUlSZ_E_NS1_11comp_targetILNS1_3genE4ELNS1_11target_archE910ELNS1_3gpuE8ELNS1_3repE0EEENS1_47radix_sort_onesweep_sort_config_static_selectorELNS0_4arch9wavefront6targetE0EEEvSG_,comdat
.Lfunc_end368:
	.size	_ZN7rocprim17ROCPRIM_400000_NS6detail17trampoline_kernelINS0_14default_configENS1_35radix_sort_onesweep_config_selectorIaNS0_10empty_typeEEEZZNS1_29radix_sort_onesweep_iterationIS3_Lb1EPKaPaPS5_SB_mNS0_19identity_decomposerENS1_16block_id_wrapperIjLb1EEEEE10hipError_tT1_PNSt15iterator_traitsISG_E10value_typeET2_T3_PNSH_ISM_E10value_typeET4_T5_PSR_SS_PNS1_23onesweep_lookback_stateEbbT6_jjT7_P12ihipStream_tbENKUlT_T0_SG_SL_E_clISA_SA_SB_SB_EEDaSZ_S10_SG_SL_EUlSZ_E_NS1_11comp_targetILNS1_3genE4ELNS1_11target_archE910ELNS1_3gpuE8ELNS1_3repE0EEENS1_47radix_sort_onesweep_sort_config_static_selectorELNS0_4arch9wavefront6targetE0EEEvSG_, .Lfunc_end368-_ZN7rocprim17ROCPRIM_400000_NS6detail17trampoline_kernelINS0_14default_configENS1_35radix_sort_onesweep_config_selectorIaNS0_10empty_typeEEEZZNS1_29radix_sort_onesweep_iterationIS3_Lb1EPKaPaPS5_SB_mNS0_19identity_decomposerENS1_16block_id_wrapperIjLb1EEEEE10hipError_tT1_PNSt15iterator_traitsISG_E10value_typeET2_T3_PNSH_ISM_E10value_typeET4_T5_PSR_SS_PNS1_23onesweep_lookback_stateEbbT6_jjT7_P12ihipStream_tbENKUlT_T0_SG_SL_E_clISA_SA_SB_SB_EEDaSZ_S10_SG_SL_EUlSZ_E_NS1_11comp_targetILNS1_3genE4ELNS1_11target_archE910ELNS1_3gpuE8ELNS1_3repE0EEENS1_47radix_sort_onesweep_sort_config_static_selectorELNS0_4arch9wavefront6targetE0EEEvSG_
                                        ; -- End function
	.set _ZN7rocprim17ROCPRIM_400000_NS6detail17trampoline_kernelINS0_14default_configENS1_35radix_sort_onesweep_config_selectorIaNS0_10empty_typeEEEZZNS1_29radix_sort_onesweep_iterationIS3_Lb1EPKaPaPS5_SB_mNS0_19identity_decomposerENS1_16block_id_wrapperIjLb1EEEEE10hipError_tT1_PNSt15iterator_traitsISG_E10value_typeET2_T3_PNSH_ISM_E10value_typeET4_T5_PSR_SS_PNS1_23onesweep_lookback_stateEbbT6_jjT7_P12ihipStream_tbENKUlT_T0_SG_SL_E_clISA_SA_SB_SB_EEDaSZ_S10_SG_SL_EUlSZ_E_NS1_11comp_targetILNS1_3genE4ELNS1_11target_archE910ELNS1_3gpuE8ELNS1_3repE0EEENS1_47radix_sort_onesweep_sort_config_static_selectorELNS0_4arch9wavefront6targetE0EEEvSG_.num_vgpr, 0
	.set _ZN7rocprim17ROCPRIM_400000_NS6detail17trampoline_kernelINS0_14default_configENS1_35radix_sort_onesweep_config_selectorIaNS0_10empty_typeEEEZZNS1_29radix_sort_onesweep_iterationIS3_Lb1EPKaPaPS5_SB_mNS0_19identity_decomposerENS1_16block_id_wrapperIjLb1EEEEE10hipError_tT1_PNSt15iterator_traitsISG_E10value_typeET2_T3_PNSH_ISM_E10value_typeET4_T5_PSR_SS_PNS1_23onesweep_lookback_stateEbbT6_jjT7_P12ihipStream_tbENKUlT_T0_SG_SL_E_clISA_SA_SB_SB_EEDaSZ_S10_SG_SL_EUlSZ_E_NS1_11comp_targetILNS1_3genE4ELNS1_11target_archE910ELNS1_3gpuE8ELNS1_3repE0EEENS1_47radix_sort_onesweep_sort_config_static_selectorELNS0_4arch9wavefront6targetE0EEEvSG_.num_agpr, 0
	.set _ZN7rocprim17ROCPRIM_400000_NS6detail17trampoline_kernelINS0_14default_configENS1_35radix_sort_onesweep_config_selectorIaNS0_10empty_typeEEEZZNS1_29radix_sort_onesweep_iterationIS3_Lb1EPKaPaPS5_SB_mNS0_19identity_decomposerENS1_16block_id_wrapperIjLb1EEEEE10hipError_tT1_PNSt15iterator_traitsISG_E10value_typeET2_T3_PNSH_ISM_E10value_typeET4_T5_PSR_SS_PNS1_23onesweep_lookback_stateEbbT6_jjT7_P12ihipStream_tbENKUlT_T0_SG_SL_E_clISA_SA_SB_SB_EEDaSZ_S10_SG_SL_EUlSZ_E_NS1_11comp_targetILNS1_3genE4ELNS1_11target_archE910ELNS1_3gpuE8ELNS1_3repE0EEENS1_47radix_sort_onesweep_sort_config_static_selectorELNS0_4arch9wavefront6targetE0EEEvSG_.numbered_sgpr, 0
	.set _ZN7rocprim17ROCPRIM_400000_NS6detail17trampoline_kernelINS0_14default_configENS1_35radix_sort_onesweep_config_selectorIaNS0_10empty_typeEEEZZNS1_29radix_sort_onesweep_iterationIS3_Lb1EPKaPaPS5_SB_mNS0_19identity_decomposerENS1_16block_id_wrapperIjLb1EEEEE10hipError_tT1_PNSt15iterator_traitsISG_E10value_typeET2_T3_PNSH_ISM_E10value_typeET4_T5_PSR_SS_PNS1_23onesweep_lookback_stateEbbT6_jjT7_P12ihipStream_tbENKUlT_T0_SG_SL_E_clISA_SA_SB_SB_EEDaSZ_S10_SG_SL_EUlSZ_E_NS1_11comp_targetILNS1_3genE4ELNS1_11target_archE910ELNS1_3gpuE8ELNS1_3repE0EEENS1_47radix_sort_onesweep_sort_config_static_selectorELNS0_4arch9wavefront6targetE0EEEvSG_.num_named_barrier, 0
	.set _ZN7rocprim17ROCPRIM_400000_NS6detail17trampoline_kernelINS0_14default_configENS1_35radix_sort_onesweep_config_selectorIaNS0_10empty_typeEEEZZNS1_29radix_sort_onesweep_iterationIS3_Lb1EPKaPaPS5_SB_mNS0_19identity_decomposerENS1_16block_id_wrapperIjLb1EEEEE10hipError_tT1_PNSt15iterator_traitsISG_E10value_typeET2_T3_PNSH_ISM_E10value_typeET4_T5_PSR_SS_PNS1_23onesweep_lookback_stateEbbT6_jjT7_P12ihipStream_tbENKUlT_T0_SG_SL_E_clISA_SA_SB_SB_EEDaSZ_S10_SG_SL_EUlSZ_E_NS1_11comp_targetILNS1_3genE4ELNS1_11target_archE910ELNS1_3gpuE8ELNS1_3repE0EEENS1_47radix_sort_onesweep_sort_config_static_selectorELNS0_4arch9wavefront6targetE0EEEvSG_.private_seg_size, 0
	.set _ZN7rocprim17ROCPRIM_400000_NS6detail17trampoline_kernelINS0_14default_configENS1_35radix_sort_onesweep_config_selectorIaNS0_10empty_typeEEEZZNS1_29radix_sort_onesweep_iterationIS3_Lb1EPKaPaPS5_SB_mNS0_19identity_decomposerENS1_16block_id_wrapperIjLb1EEEEE10hipError_tT1_PNSt15iterator_traitsISG_E10value_typeET2_T3_PNSH_ISM_E10value_typeET4_T5_PSR_SS_PNS1_23onesweep_lookback_stateEbbT6_jjT7_P12ihipStream_tbENKUlT_T0_SG_SL_E_clISA_SA_SB_SB_EEDaSZ_S10_SG_SL_EUlSZ_E_NS1_11comp_targetILNS1_3genE4ELNS1_11target_archE910ELNS1_3gpuE8ELNS1_3repE0EEENS1_47radix_sort_onesweep_sort_config_static_selectorELNS0_4arch9wavefront6targetE0EEEvSG_.uses_vcc, 0
	.set _ZN7rocprim17ROCPRIM_400000_NS6detail17trampoline_kernelINS0_14default_configENS1_35radix_sort_onesweep_config_selectorIaNS0_10empty_typeEEEZZNS1_29radix_sort_onesweep_iterationIS3_Lb1EPKaPaPS5_SB_mNS0_19identity_decomposerENS1_16block_id_wrapperIjLb1EEEEE10hipError_tT1_PNSt15iterator_traitsISG_E10value_typeET2_T3_PNSH_ISM_E10value_typeET4_T5_PSR_SS_PNS1_23onesweep_lookback_stateEbbT6_jjT7_P12ihipStream_tbENKUlT_T0_SG_SL_E_clISA_SA_SB_SB_EEDaSZ_S10_SG_SL_EUlSZ_E_NS1_11comp_targetILNS1_3genE4ELNS1_11target_archE910ELNS1_3gpuE8ELNS1_3repE0EEENS1_47radix_sort_onesweep_sort_config_static_selectorELNS0_4arch9wavefront6targetE0EEEvSG_.uses_flat_scratch, 0
	.set _ZN7rocprim17ROCPRIM_400000_NS6detail17trampoline_kernelINS0_14default_configENS1_35radix_sort_onesweep_config_selectorIaNS0_10empty_typeEEEZZNS1_29radix_sort_onesweep_iterationIS3_Lb1EPKaPaPS5_SB_mNS0_19identity_decomposerENS1_16block_id_wrapperIjLb1EEEEE10hipError_tT1_PNSt15iterator_traitsISG_E10value_typeET2_T3_PNSH_ISM_E10value_typeET4_T5_PSR_SS_PNS1_23onesweep_lookback_stateEbbT6_jjT7_P12ihipStream_tbENKUlT_T0_SG_SL_E_clISA_SA_SB_SB_EEDaSZ_S10_SG_SL_EUlSZ_E_NS1_11comp_targetILNS1_3genE4ELNS1_11target_archE910ELNS1_3gpuE8ELNS1_3repE0EEENS1_47radix_sort_onesweep_sort_config_static_selectorELNS0_4arch9wavefront6targetE0EEEvSG_.has_dyn_sized_stack, 0
	.set _ZN7rocprim17ROCPRIM_400000_NS6detail17trampoline_kernelINS0_14default_configENS1_35radix_sort_onesweep_config_selectorIaNS0_10empty_typeEEEZZNS1_29radix_sort_onesweep_iterationIS3_Lb1EPKaPaPS5_SB_mNS0_19identity_decomposerENS1_16block_id_wrapperIjLb1EEEEE10hipError_tT1_PNSt15iterator_traitsISG_E10value_typeET2_T3_PNSH_ISM_E10value_typeET4_T5_PSR_SS_PNS1_23onesweep_lookback_stateEbbT6_jjT7_P12ihipStream_tbENKUlT_T0_SG_SL_E_clISA_SA_SB_SB_EEDaSZ_S10_SG_SL_EUlSZ_E_NS1_11comp_targetILNS1_3genE4ELNS1_11target_archE910ELNS1_3gpuE8ELNS1_3repE0EEENS1_47radix_sort_onesweep_sort_config_static_selectorELNS0_4arch9wavefront6targetE0EEEvSG_.has_recursion, 0
	.set _ZN7rocprim17ROCPRIM_400000_NS6detail17trampoline_kernelINS0_14default_configENS1_35radix_sort_onesweep_config_selectorIaNS0_10empty_typeEEEZZNS1_29radix_sort_onesweep_iterationIS3_Lb1EPKaPaPS5_SB_mNS0_19identity_decomposerENS1_16block_id_wrapperIjLb1EEEEE10hipError_tT1_PNSt15iterator_traitsISG_E10value_typeET2_T3_PNSH_ISM_E10value_typeET4_T5_PSR_SS_PNS1_23onesweep_lookback_stateEbbT6_jjT7_P12ihipStream_tbENKUlT_T0_SG_SL_E_clISA_SA_SB_SB_EEDaSZ_S10_SG_SL_EUlSZ_E_NS1_11comp_targetILNS1_3genE4ELNS1_11target_archE910ELNS1_3gpuE8ELNS1_3repE0EEENS1_47radix_sort_onesweep_sort_config_static_selectorELNS0_4arch9wavefront6targetE0EEEvSG_.has_indirect_call, 0
	.section	.AMDGPU.csdata,"",@progbits
; Kernel info:
; codeLenInByte = 0
; TotalNumSgprs: 0
; NumVgprs: 0
; ScratchSize: 0
; MemoryBound: 0
; FloatMode: 240
; IeeeMode: 1
; LDSByteSize: 0 bytes/workgroup (compile time only)
; SGPRBlocks: 0
; VGPRBlocks: 0
; NumSGPRsForWavesPerEU: 1
; NumVGPRsForWavesPerEU: 1
; NamedBarCnt: 0
; Occupancy: 16
; WaveLimiterHint : 0
; COMPUTE_PGM_RSRC2:SCRATCH_EN: 0
; COMPUTE_PGM_RSRC2:USER_SGPR: 2
; COMPUTE_PGM_RSRC2:TRAP_HANDLER: 0
; COMPUTE_PGM_RSRC2:TGID_X_EN: 1
; COMPUTE_PGM_RSRC2:TGID_Y_EN: 0
; COMPUTE_PGM_RSRC2:TGID_Z_EN: 0
; COMPUTE_PGM_RSRC2:TIDIG_COMP_CNT: 0
	.section	.text._ZN7rocprim17ROCPRIM_400000_NS6detail17trampoline_kernelINS0_14default_configENS1_35radix_sort_onesweep_config_selectorIaNS0_10empty_typeEEEZZNS1_29radix_sort_onesweep_iterationIS3_Lb1EPKaPaPS5_SB_mNS0_19identity_decomposerENS1_16block_id_wrapperIjLb1EEEEE10hipError_tT1_PNSt15iterator_traitsISG_E10value_typeET2_T3_PNSH_ISM_E10value_typeET4_T5_PSR_SS_PNS1_23onesweep_lookback_stateEbbT6_jjT7_P12ihipStream_tbENKUlT_T0_SG_SL_E_clISA_SA_SB_SB_EEDaSZ_S10_SG_SL_EUlSZ_E_NS1_11comp_targetILNS1_3genE3ELNS1_11target_archE908ELNS1_3gpuE7ELNS1_3repE0EEENS1_47radix_sort_onesweep_sort_config_static_selectorELNS0_4arch9wavefront6targetE0EEEvSG_,"axG",@progbits,_ZN7rocprim17ROCPRIM_400000_NS6detail17trampoline_kernelINS0_14default_configENS1_35radix_sort_onesweep_config_selectorIaNS0_10empty_typeEEEZZNS1_29radix_sort_onesweep_iterationIS3_Lb1EPKaPaPS5_SB_mNS0_19identity_decomposerENS1_16block_id_wrapperIjLb1EEEEE10hipError_tT1_PNSt15iterator_traitsISG_E10value_typeET2_T3_PNSH_ISM_E10value_typeET4_T5_PSR_SS_PNS1_23onesweep_lookback_stateEbbT6_jjT7_P12ihipStream_tbENKUlT_T0_SG_SL_E_clISA_SA_SB_SB_EEDaSZ_S10_SG_SL_EUlSZ_E_NS1_11comp_targetILNS1_3genE3ELNS1_11target_archE908ELNS1_3gpuE7ELNS1_3repE0EEENS1_47radix_sort_onesweep_sort_config_static_selectorELNS0_4arch9wavefront6targetE0EEEvSG_,comdat
	.protected	_ZN7rocprim17ROCPRIM_400000_NS6detail17trampoline_kernelINS0_14default_configENS1_35radix_sort_onesweep_config_selectorIaNS0_10empty_typeEEEZZNS1_29radix_sort_onesweep_iterationIS3_Lb1EPKaPaPS5_SB_mNS0_19identity_decomposerENS1_16block_id_wrapperIjLb1EEEEE10hipError_tT1_PNSt15iterator_traitsISG_E10value_typeET2_T3_PNSH_ISM_E10value_typeET4_T5_PSR_SS_PNS1_23onesweep_lookback_stateEbbT6_jjT7_P12ihipStream_tbENKUlT_T0_SG_SL_E_clISA_SA_SB_SB_EEDaSZ_S10_SG_SL_EUlSZ_E_NS1_11comp_targetILNS1_3genE3ELNS1_11target_archE908ELNS1_3gpuE7ELNS1_3repE0EEENS1_47radix_sort_onesweep_sort_config_static_selectorELNS0_4arch9wavefront6targetE0EEEvSG_ ; -- Begin function _ZN7rocprim17ROCPRIM_400000_NS6detail17trampoline_kernelINS0_14default_configENS1_35radix_sort_onesweep_config_selectorIaNS0_10empty_typeEEEZZNS1_29radix_sort_onesweep_iterationIS3_Lb1EPKaPaPS5_SB_mNS0_19identity_decomposerENS1_16block_id_wrapperIjLb1EEEEE10hipError_tT1_PNSt15iterator_traitsISG_E10value_typeET2_T3_PNSH_ISM_E10value_typeET4_T5_PSR_SS_PNS1_23onesweep_lookback_stateEbbT6_jjT7_P12ihipStream_tbENKUlT_T0_SG_SL_E_clISA_SA_SB_SB_EEDaSZ_S10_SG_SL_EUlSZ_E_NS1_11comp_targetILNS1_3genE3ELNS1_11target_archE908ELNS1_3gpuE7ELNS1_3repE0EEENS1_47radix_sort_onesweep_sort_config_static_selectorELNS0_4arch9wavefront6targetE0EEEvSG_
	.globl	_ZN7rocprim17ROCPRIM_400000_NS6detail17trampoline_kernelINS0_14default_configENS1_35radix_sort_onesweep_config_selectorIaNS0_10empty_typeEEEZZNS1_29radix_sort_onesweep_iterationIS3_Lb1EPKaPaPS5_SB_mNS0_19identity_decomposerENS1_16block_id_wrapperIjLb1EEEEE10hipError_tT1_PNSt15iterator_traitsISG_E10value_typeET2_T3_PNSH_ISM_E10value_typeET4_T5_PSR_SS_PNS1_23onesweep_lookback_stateEbbT6_jjT7_P12ihipStream_tbENKUlT_T0_SG_SL_E_clISA_SA_SB_SB_EEDaSZ_S10_SG_SL_EUlSZ_E_NS1_11comp_targetILNS1_3genE3ELNS1_11target_archE908ELNS1_3gpuE7ELNS1_3repE0EEENS1_47radix_sort_onesweep_sort_config_static_selectorELNS0_4arch9wavefront6targetE0EEEvSG_
	.p2align	8
	.type	_ZN7rocprim17ROCPRIM_400000_NS6detail17trampoline_kernelINS0_14default_configENS1_35radix_sort_onesweep_config_selectorIaNS0_10empty_typeEEEZZNS1_29radix_sort_onesweep_iterationIS3_Lb1EPKaPaPS5_SB_mNS0_19identity_decomposerENS1_16block_id_wrapperIjLb1EEEEE10hipError_tT1_PNSt15iterator_traitsISG_E10value_typeET2_T3_PNSH_ISM_E10value_typeET4_T5_PSR_SS_PNS1_23onesweep_lookback_stateEbbT6_jjT7_P12ihipStream_tbENKUlT_T0_SG_SL_E_clISA_SA_SB_SB_EEDaSZ_S10_SG_SL_EUlSZ_E_NS1_11comp_targetILNS1_3genE3ELNS1_11target_archE908ELNS1_3gpuE7ELNS1_3repE0EEENS1_47radix_sort_onesweep_sort_config_static_selectorELNS0_4arch9wavefront6targetE0EEEvSG_,@function
_ZN7rocprim17ROCPRIM_400000_NS6detail17trampoline_kernelINS0_14default_configENS1_35radix_sort_onesweep_config_selectorIaNS0_10empty_typeEEEZZNS1_29radix_sort_onesweep_iterationIS3_Lb1EPKaPaPS5_SB_mNS0_19identity_decomposerENS1_16block_id_wrapperIjLb1EEEEE10hipError_tT1_PNSt15iterator_traitsISG_E10value_typeET2_T3_PNSH_ISM_E10value_typeET4_T5_PSR_SS_PNS1_23onesweep_lookback_stateEbbT6_jjT7_P12ihipStream_tbENKUlT_T0_SG_SL_E_clISA_SA_SB_SB_EEDaSZ_S10_SG_SL_EUlSZ_E_NS1_11comp_targetILNS1_3genE3ELNS1_11target_archE908ELNS1_3gpuE7ELNS1_3repE0EEENS1_47radix_sort_onesweep_sort_config_static_selectorELNS0_4arch9wavefront6targetE0EEEvSG_: ; @_ZN7rocprim17ROCPRIM_400000_NS6detail17trampoline_kernelINS0_14default_configENS1_35radix_sort_onesweep_config_selectorIaNS0_10empty_typeEEEZZNS1_29radix_sort_onesweep_iterationIS3_Lb1EPKaPaPS5_SB_mNS0_19identity_decomposerENS1_16block_id_wrapperIjLb1EEEEE10hipError_tT1_PNSt15iterator_traitsISG_E10value_typeET2_T3_PNSH_ISM_E10value_typeET4_T5_PSR_SS_PNS1_23onesweep_lookback_stateEbbT6_jjT7_P12ihipStream_tbENKUlT_T0_SG_SL_E_clISA_SA_SB_SB_EEDaSZ_S10_SG_SL_EUlSZ_E_NS1_11comp_targetILNS1_3genE3ELNS1_11target_archE908ELNS1_3gpuE7ELNS1_3repE0EEENS1_47radix_sort_onesweep_sort_config_static_selectorELNS0_4arch9wavefront6targetE0EEEvSG_
; %bb.0:
	.section	.rodata,"a",@progbits
	.p2align	6, 0x0
	.amdhsa_kernel _ZN7rocprim17ROCPRIM_400000_NS6detail17trampoline_kernelINS0_14default_configENS1_35radix_sort_onesweep_config_selectorIaNS0_10empty_typeEEEZZNS1_29radix_sort_onesweep_iterationIS3_Lb1EPKaPaPS5_SB_mNS0_19identity_decomposerENS1_16block_id_wrapperIjLb1EEEEE10hipError_tT1_PNSt15iterator_traitsISG_E10value_typeET2_T3_PNSH_ISM_E10value_typeET4_T5_PSR_SS_PNS1_23onesweep_lookback_stateEbbT6_jjT7_P12ihipStream_tbENKUlT_T0_SG_SL_E_clISA_SA_SB_SB_EEDaSZ_S10_SG_SL_EUlSZ_E_NS1_11comp_targetILNS1_3genE3ELNS1_11target_archE908ELNS1_3gpuE7ELNS1_3repE0EEENS1_47radix_sort_onesweep_sort_config_static_selectorELNS0_4arch9wavefront6targetE0EEEvSG_
		.amdhsa_group_segment_fixed_size 0
		.amdhsa_private_segment_fixed_size 0
		.amdhsa_kernarg_size 88
		.amdhsa_user_sgpr_count 2
		.amdhsa_user_sgpr_dispatch_ptr 0
		.amdhsa_user_sgpr_queue_ptr 0
		.amdhsa_user_sgpr_kernarg_segment_ptr 1
		.amdhsa_user_sgpr_dispatch_id 0
		.amdhsa_user_sgpr_kernarg_preload_length 0
		.amdhsa_user_sgpr_kernarg_preload_offset 0
		.amdhsa_user_sgpr_private_segment_size 0
		.amdhsa_wavefront_size32 1
		.amdhsa_uses_dynamic_stack 0
		.amdhsa_enable_private_segment 0
		.amdhsa_system_sgpr_workgroup_id_x 1
		.amdhsa_system_sgpr_workgroup_id_y 0
		.amdhsa_system_sgpr_workgroup_id_z 0
		.amdhsa_system_sgpr_workgroup_info 0
		.amdhsa_system_vgpr_workitem_id 0
		.amdhsa_next_free_vgpr 1
		.amdhsa_next_free_sgpr 1
		.amdhsa_named_barrier_count 0
		.amdhsa_reserve_vcc 0
		.amdhsa_float_round_mode_32 0
		.amdhsa_float_round_mode_16_64 0
		.amdhsa_float_denorm_mode_32 3
		.amdhsa_float_denorm_mode_16_64 3
		.amdhsa_fp16_overflow 0
		.amdhsa_memory_ordered 1
		.amdhsa_forward_progress 1
		.amdhsa_inst_pref_size 0
		.amdhsa_round_robin_scheduling 0
		.amdhsa_exception_fp_ieee_invalid_op 0
		.amdhsa_exception_fp_denorm_src 0
		.amdhsa_exception_fp_ieee_div_zero 0
		.amdhsa_exception_fp_ieee_overflow 0
		.amdhsa_exception_fp_ieee_underflow 0
		.amdhsa_exception_fp_ieee_inexact 0
		.amdhsa_exception_int_div_zero 0
	.end_amdhsa_kernel
	.section	.text._ZN7rocprim17ROCPRIM_400000_NS6detail17trampoline_kernelINS0_14default_configENS1_35radix_sort_onesweep_config_selectorIaNS0_10empty_typeEEEZZNS1_29radix_sort_onesweep_iterationIS3_Lb1EPKaPaPS5_SB_mNS0_19identity_decomposerENS1_16block_id_wrapperIjLb1EEEEE10hipError_tT1_PNSt15iterator_traitsISG_E10value_typeET2_T3_PNSH_ISM_E10value_typeET4_T5_PSR_SS_PNS1_23onesweep_lookback_stateEbbT6_jjT7_P12ihipStream_tbENKUlT_T0_SG_SL_E_clISA_SA_SB_SB_EEDaSZ_S10_SG_SL_EUlSZ_E_NS1_11comp_targetILNS1_3genE3ELNS1_11target_archE908ELNS1_3gpuE7ELNS1_3repE0EEENS1_47radix_sort_onesweep_sort_config_static_selectorELNS0_4arch9wavefront6targetE0EEEvSG_,"axG",@progbits,_ZN7rocprim17ROCPRIM_400000_NS6detail17trampoline_kernelINS0_14default_configENS1_35radix_sort_onesweep_config_selectorIaNS0_10empty_typeEEEZZNS1_29radix_sort_onesweep_iterationIS3_Lb1EPKaPaPS5_SB_mNS0_19identity_decomposerENS1_16block_id_wrapperIjLb1EEEEE10hipError_tT1_PNSt15iterator_traitsISG_E10value_typeET2_T3_PNSH_ISM_E10value_typeET4_T5_PSR_SS_PNS1_23onesweep_lookback_stateEbbT6_jjT7_P12ihipStream_tbENKUlT_T0_SG_SL_E_clISA_SA_SB_SB_EEDaSZ_S10_SG_SL_EUlSZ_E_NS1_11comp_targetILNS1_3genE3ELNS1_11target_archE908ELNS1_3gpuE7ELNS1_3repE0EEENS1_47radix_sort_onesweep_sort_config_static_selectorELNS0_4arch9wavefront6targetE0EEEvSG_,comdat
.Lfunc_end369:
	.size	_ZN7rocprim17ROCPRIM_400000_NS6detail17trampoline_kernelINS0_14default_configENS1_35radix_sort_onesweep_config_selectorIaNS0_10empty_typeEEEZZNS1_29radix_sort_onesweep_iterationIS3_Lb1EPKaPaPS5_SB_mNS0_19identity_decomposerENS1_16block_id_wrapperIjLb1EEEEE10hipError_tT1_PNSt15iterator_traitsISG_E10value_typeET2_T3_PNSH_ISM_E10value_typeET4_T5_PSR_SS_PNS1_23onesweep_lookback_stateEbbT6_jjT7_P12ihipStream_tbENKUlT_T0_SG_SL_E_clISA_SA_SB_SB_EEDaSZ_S10_SG_SL_EUlSZ_E_NS1_11comp_targetILNS1_3genE3ELNS1_11target_archE908ELNS1_3gpuE7ELNS1_3repE0EEENS1_47radix_sort_onesweep_sort_config_static_selectorELNS0_4arch9wavefront6targetE0EEEvSG_, .Lfunc_end369-_ZN7rocprim17ROCPRIM_400000_NS6detail17trampoline_kernelINS0_14default_configENS1_35radix_sort_onesweep_config_selectorIaNS0_10empty_typeEEEZZNS1_29radix_sort_onesweep_iterationIS3_Lb1EPKaPaPS5_SB_mNS0_19identity_decomposerENS1_16block_id_wrapperIjLb1EEEEE10hipError_tT1_PNSt15iterator_traitsISG_E10value_typeET2_T3_PNSH_ISM_E10value_typeET4_T5_PSR_SS_PNS1_23onesweep_lookback_stateEbbT6_jjT7_P12ihipStream_tbENKUlT_T0_SG_SL_E_clISA_SA_SB_SB_EEDaSZ_S10_SG_SL_EUlSZ_E_NS1_11comp_targetILNS1_3genE3ELNS1_11target_archE908ELNS1_3gpuE7ELNS1_3repE0EEENS1_47radix_sort_onesweep_sort_config_static_selectorELNS0_4arch9wavefront6targetE0EEEvSG_
                                        ; -- End function
	.set _ZN7rocprim17ROCPRIM_400000_NS6detail17trampoline_kernelINS0_14default_configENS1_35radix_sort_onesweep_config_selectorIaNS0_10empty_typeEEEZZNS1_29radix_sort_onesweep_iterationIS3_Lb1EPKaPaPS5_SB_mNS0_19identity_decomposerENS1_16block_id_wrapperIjLb1EEEEE10hipError_tT1_PNSt15iterator_traitsISG_E10value_typeET2_T3_PNSH_ISM_E10value_typeET4_T5_PSR_SS_PNS1_23onesweep_lookback_stateEbbT6_jjT7_P12ihipStream_tbENKUlT_T0_SG_SL_E_clISA_SA_SB_SB_EEDaSZ_S10_SG_SL_EUlSZ_E_NS1_11comp_targetILNS1_3genE3ELNS1_11target_archE908ELNS1_3gpuE7ELNS1_3repE0EEENS1_47radix_sort_onesweep_sort_config_static_selectorELNS0_4arch9wavefront6targetE0EEEvSG_.num_vgpr, 0
	.set _ZN7rocprim17ROCPRIM_400000_NS6detail17trampoline_kernelINS0_14default_configENS1_35radix_sort_onesweep_config_selectorIaNS0_10empty_typeEEEZZNS1_29radix_sort_onesweep_iterationIS3_Lb1EPKaPaPS5_SB_mNS0_19identity_decomposerENS1_16block_id_wrapperIjLb1EEEEE10hipError_tT1_PNSt15iterator_traitsISG_E10value_typeET2_T3_PNSH_ISM_E10value_typeET4_T5_PSR_SS_PNS1_23onesweep_lookback_stateEbbT6_jjT7_P12ihipStream_tbENKUlT_T0_SG_SL_E_clISA_SA_SB_SB_EEDaSZ_S10_SG_SL_EUlSZ_E_NS1_11comp_targetILNS1_3genE3ELNS1_11target_archE908ELNS1_3gpuE7ELNS1_3repE0EEENS1_47radix_sort_onesweep_sort_config_static_selectorELNS0_4arch9wavefront6targetE0EEEvSG_.num_agpr, 0
	.set _ZN7rocprim17ROCPRIM_400000_NS6detail17trampoline_kernelINS0_14default_configENS1_35radix_sort_onesweep_config_selectorIaNS0_10empty_typeEEEZZNS1_29radix_sort_onesweep_iterationIS3_Lb1EPKaPaPS5_SB_mNS0_19identity_decomposerENS1_16block_id_wrapperIjLb1EEEEE10hipError_tT1_PNSt15iterator_traitsISG_E10value_typeET2_T3_PNSH_ISM_E10value_typeET4_T5_PSR_SS_PNS1_23onesweep_lookback_stateEbbT6_jjT7_P12ihipStream_tbENKUlT_T0_SG_SL_E_clISA_SA_SB_SB_EEDaSZ_S10_SG_SL_EUlSZ_E_NS1_11comp_targetILNS1_3genE3ELNS1_11target_archE908ELNS1_3gpuE7ELNS1_3repE0EEENS1_47radix_sort_onesweep_sort_config_static_selectorELNS0_4arch9wavefront6targetE0EEEvSG_.numbered_sgpr, 0
	.set _ZN7rocprim17ROCPRIM_400000_NS6detail17trampoline_kernelINS0_14default_configENS1_35radix_sort_onesweep_config_selectorIaNS0_10empty_typeEEEZZNS1_29radix_sort_onesweep_iterationIS3_Lb1EPKaPaPS5_SB_mNS0_19identity_decomposerENS1_16block_id_wrapperIjLb1EEEEE10hipError_tT1_PNSt15iterator_traitsISG_E10value_typeET2_T3_PNSH_ISM_E10value_typeET4_T5_PSR_SS_PNS1_23onesweep_lookback_stateEbbT6_jjT7_P12ihipStream_tbENKUlT_T0_SG_SL_E_clISA_SA_SB_SB_EEDaSZ_S10_SG_SL_EUlSZ_E_NS1_11comp_targetILNS1_3genE3ELNS1_11target_archE908ELNS1_3gpuE7ELNS1_3repE0EEENS1_47radix_sort_onesweep_sort_config_static_selectorELNS0_4arch9wavefront6targetE0EEEvSG_.num_named_barrier, 0
	.set _ZN7rocprim17ROCPRIM_400000_NS6detail17trampoline_kernelINS0_14default_configENS1_35radix_sort_onesweep_config_selectorIaNS0_10empty_typeEEEZZNS1_29radix_sort_onesweep_iterationIS3_Lb1EPKaPaPS5_SB_mNS0_19identity_decomposerENS1_16block_id_wrapperIjLb1EEEEE10hipError_tT1_PNSt15iterator_traitsISG_E10value_typeET2_T3_PNSH_ISM_E10value_typeET4_T5_PSR_SS_PNS1_23onesweep_lookback_stateEbbT6_jjT7_P12ihipStream_tbENKUlT_T0_SG_SL_E_clISA_SA_SB_SB_EEDaSZ_S10_SG_SL_EUlSZ_E_NS1_11comp_targetILNS1_3genE3ELNS1_11target_archE908ELNS1_3gpuE7ELNS1_3repE0EEENS1_47radix_sort_onesweep_sort_config_static_selectorELNS0_4arch9wavefront6targetE0EEEvSG_.private_seg_size, 0
	.set _ZN7rocprim17ROCPRIM_400000_NS6detail17trampoline_kernelINS0_14default_configENS1_35radix_sort_onesweep_config_selectorIaNS0_10empty_typeEEEZZNS1_29radix_sort_onesweep_iterationIS3_Lb1EPKaPaPS5_SB_mNS0_19identity_decomposerENS1_16block_id_wrapperIjLb1EEEEE10hipError_tT1_PNSt15iterator_traitsISG_E10value_typeET2_T3_PNSH_ISM_E10value_typeET4_T5_PSR_SS_PNS1_23onesweep_lookback_stateEbbT6_jjT7_P12ihipStream_tbENKUlT_T0_SG_SL_E_clISA_SA_SB_SB_EEDaSZ_S10_SG_SL_EUlSZ_E_NS1_11comp_targetILNS1_3genE3ELNS1_11target_archE908ELNS1_3gpuE7ELNS1_3repE0EEENS1_47radix_sort_onesweep_sort_config_static_selectorELNS0_4arch9wavefront6targetE0EEEvSG_.uses_vcc, 0
	.set _ZN7rocprim17ROCPRIM_400000_NS6detail17trampoline_kernelINS0_14default_configENS1_35radix_sort_onesweep_config_selectorIaNS0_10empty_typeEEEZZNS1_29radix_sort_onesweep_iterationIS3_Lb1EPKaPaPS5_SB_mNS0_19identity_decomposerENS1_16block_id_wrapperIjLb1EEEEE10hipError_tT1_PNSt15iterator_traitsISG_E10value_typeET2_T3_PNSH_ISM_E10value_typeET4_T5_PSR_SS_PNS1_23onesweep_lookback_stateEbbT6_jjT7_P12ihipStream_tbENKUlT_T0_SG_SL_E_clISA_SA_SB_SB_EEDaSZ_S10_SG_SL_EUlSZ_E_NS1_11comp_targetILNS1_3genE3ELNS1_11target_archE908ELNS1_3gpuE7ELNS1_3repE0EEENS1_47radix_sort_onesweep_sort_config_static_selectorELNS0_4arch9wavefront6targetE0EEEvSG_.uses_flat_scratch, 0
	.set _ZN7rocprim17ROCPRIM_400000_NS6detail17trampoline_kernelINS0_14default_configENS1_35radix_sort_onesweep_config_selectorIaNS0_10empty_typeEEEZZNS1_29radix_sort_onesweep_iterationIS3_Lb1EPKaPaPS5_SB_mNS0_19identity_decomposerENS1_16block_id_wrapperIjLb1EEEEE10hipError_tT1_PNSt15iterator_traitsISG_E10value_typeET2_T3_PNSH_ISM_E10value_typeET4_T5_PSR_SS_PNS1_23onesweep_lookback_stateEbbT6_jjT7_P12ihipStream_tbENKUlT_T0_SG_SL_E_clISA_SA_SB_SB_EEDaSZ_S10_SG_SL_EUlSZ_E_NS1_11comp_targetILNS1_3genE3ELNS1_11target_archE908ELNS1_3gpuE7ELNS1_3repE0EEENS1_47radix_sort_onesweep_sort_config_static_selectorELNS0_4arch9wavefront6targetE0EEEvSG_.has_dyn_sized_stack, 0
	.set _ZN7rocprim17ROCPRIM_400000_NS6detail17trampoline_kernelINS0_14default_configENS1_35radix_sort_onesweep_config_selectorIaNS0_10empty_typeEEEZZNS1_29radix_sort_onesweep_iterationIS3_Lb1EPKaPaPS5_SB_mNS0_19identity_decomposerENS1_16block_id_wrapperIjLb1EEEEE10hipError_tT1_PNSt15iterator_traitsISG_E10value_typeET2_T3_PNSH_ISM_E10value_typeET4_T5_PSR_SS_PNS1_23onesweep_lookback_stateEbbT6_jjT7_P12ihipStream_tbENKUlT_T0_SG_SL_E_clISA_SA_SB_SB_EEDaSZ_S10_SG_SL_EUlSZ_E_NS1_11comp_targetILNS1_3genE3ELNS1_11target_archE908ELNS1_3gpuE7ELNS1_3repE0EEENS1_47radix_sort_onesweep_sort_config_static_selectorELNS0_4arch9wavefront6targetE0EEEvSG_.has_recursion, 0
	.set _ZN7rocprim17ROCPRIM_400000_NS6detail17trampoline_kernelINS0_14default_configENS1_35radix_sort_onesweep_config_selectorIaNS0_10empty_typeEEEZZNS1_29radix_sort_onesweep_iterationIS3_Lb1EPKaPaPS5_SB_mNS0_19identity_decomposerENS1_16block_id_wrapperIjLb1EEEEE10hipError_tT1_PNSt15iterator_traitsISG_E10value_typeET2_T3_PNSH_ISM_E10value_typeET4_T5_PSR_SS_PNS1_23onesweep_lookback_stateEbbT6_jjT7_P12ihipStream_tbENKUlT_T0_SG_SL_E_clISA_SA_SB_SB_EEDaSZ_S10_SG_SL_EUlSZ_E_NS1_11comp_targetILNS1_3genE3ELNS1_11target_archE908ELNS1_3gpuE7ELNS1_3repE0EEENS1_47radix_sort_onesweep_sort_config_static_selectorELNS0_4arch9wavefront6targetE0EEEvSG_.has_indirect_call, 0
	.section	.AMDGPU.csdata,"",@progbits
; Kernel info:
; codeLenInByte = 0
; TotalNumSgprs: 0
; NumVgprs: 0
; ScratchSize: 0
; MemoryBound: 0
; FloatMode: 240
; IeeeMode: 1
; LDSByteSize: 0 bytes/workgroup (compile time only)
; SGPRBlocks: 0
; VGPRBlocks: 0
; NumSGPRsForWavesPerEU: 1
; NumVGPRsForWavesPerEU: 1
; NamedBarCnt: 0
; Occupancy: 16
; WaveLimiterHint : 0
; COMPUTE_PGM_RSRC2:SCRATCH_EN: 0
; COMPUTE_PGM_RSRC2:USER_SGPR: 2
; COMPUTE_PGM_RSRC2:TRAP_HANDLER: 0
; COMPUTE_PGM_RSRC2:TGID_X_EN: 1
; COMPUTE_PGM_RSRC2:TGID_Y_EN: 0
; COMPUTE_PGM_RSRC2:TGID_Z_EN: 0
; COMPUTE_PGM_RSRC2:TIDIG_COMP_CNT: 0
	.section	.text._ZN7rocprim17ROCPRIM_400000_NS6detail17trampoline_kernelINS0_14default_configENS1_35radix_sort_onesweep_config_selectorIaNS0_10empty_typeEEEZZNS1_29radix_sort_onesweep_iterationIS3_Lb1EPKaPaPS5_SB_mNS0_19identity_decomposerENS1_16block_id_wrapperIjLb1EEEEE10hipError_tT1_PNSt15iterator_traitsISG_E10value_typeET2_T3_PNSH_ISM_E10value_typeET4_T5_PSR_SS_PNS1_23onesweep_lookback_stateEbbT6_jjT7_P12ihipStream_tbENKUlT_T0_SG_SL_E_clISA_SA_SB_SB_EEDaSZ_S10_SG_SL_EUlSZ_E_NS1_11comp_targetILNS1_3genE10ELNS1_11target_archE1201ELNS1_3gpuE5ELNS1_3repE0EEENS1_47radix_sort_onesweep_sort_config_static_selectorELNS0_4arch9wavefront6targetE0EEEvSG_,"axG",@progbits,_ZN7rocprim17ROCPRIM_400000_NS6detail17trampoline_kernelINS0_14default_configENS1_35radix_sort_onesweep_config_selectorIaNS0_10empty_typeEEEZZNS1_29radix_sort_onesweep_iterationIS3_Lb1EPKaPaPS5_SB_mNS0_19identity_decomposerENS1_16block_id_wrapperIjLb1EEEEE10hipError_tT1_PNSt15iterator_traitsISG_E10value_typeET2_T3_PNSH_ISM_E10value_typeET4_T5_PSR_SS_PNS1_23onesweep_lookback_stateEbbT6_jjT7_P12ihipStream_tbENKUlT_T0_SG_SL_E_clISA_SA_SB_SB_EEDaSZ_S10_SG_SL_EUlSZ_E_NS1_11comp_targetILNS1_3genE10ELNS1_11target_archE1201ELNS1_3gpuE5ELNS1_3repE0EEENS1_47radix_sort_onesweep_sort_config_static_selectorELNS0_4arch9wavefront6targetE0EEEvSG_,comdat
	.protected	_ZN7rocprim17ROCPRIM_400000_NS6detail17trampoline_kernelINS0_14default_configENS1_35radix_sort_onesweep_config_selectorIaNS0_10empty_typeEEEZZNS1_29radix_sort_onesweep_iterationIS3_Lb1EPKaPaPS5_SB_mNS0_19identity_decomposerENS1_16block_id_wrapperIjLb1EEEEE10hipError_tT1_PNSt15iterator_traitsISG_E10value_typeET2_T3_PNSH_ISM_E10value_typeET4_T5_PSR_SS_PNS1_23onesweep_lookback_stateEbbT6_jjT7_P12ihipStream_tbENKUlT_T0_SG_SL_E_clISA_SA_SB_SB_EEDaSZ_S10_SG_SL_EUlSZ_E_NS1_11comp_targetILNS1_3genE10ELNS1_11target_archE1201ELNS1_3gpuE5ELNS1_3repE0EEENS1_47radix_sort_onesweep_sort_config_static_selectorELNS0_4arch9wavefront6targetE0EEEvSG_ ; -- Begin function _ZN7rocprim17ROCPRIM_400000_NS6detail17trampoline_kernelINS0_14default_configENS1_35radix_sort_onesweep_config_selectorIaNS0_10empty_typeEEEZZNS1_29radix_sort_onesweep_iterationIS3_Lb1EPKaPaPS5_SB_mNS0_19identity_decomposerENS1_16block_id_wrapperIjLb1EEEEE10hipError_tT1_PNSt15iterator_traitsISG_E10value_typeET2_T3_PNSH_ISM_E10value_typeET4_T5_PSR_SS_PNS1_23onesweep_lookback_stateEbbT6_jjT7_P12ihipStream_tbENKUlT_T0_SG_SL_E_clISA_SA_SB_SB_EEDaSZ_S10_SG_SL_EUlSZ_E_NS1_11comp_targetILNS1_3genE10ELNS1_11target_archE1201ELNS1_3gpuE5ELNS1_3repE0EEENS1_47radix_sort_onesweep_sort_config_static_selectorELNS0_4arch9wavefront6targetE0EEEvSG_
	.globl	_ZN7rocprim17ROCPRIM_400000_NS6detail17trampoline_kernelINS0_14default_configENS1_35radix_sort_onesweep_config_selectorIaNS0_10empty_typeEEEZZNS1_29radix_sort_onesweep_iterationIS3_Lb1EPKaPaPS5_SB_mNS0_19identity_decomposerENS1_16block_id_wrapperIjLb1EEEEE10hipError_tT1_PNSt15iterator_traitsISG_E10value_typeET2_T3_PNSH_ISM_E10value_typeET4_T5_PSR_SS_PNS1_23onesweep_lookback_stateEbbT6_jjT7_P12ihipStream_tbENKUlT_T0_SG_SL_E_clISA_SA_SB_SB_EEDaSZ_S10_SG_SL_EUlSZ_E_NS1_11comp_targetILNS1_3genE10ELNS1_11target_archE1201ELNS1_3gpuE5ELNS1_3repE0EEENS1_47radix_sort_onesweep_sort_config_static_selectorELNS0_4arch9wavefront6targetE0EEEvSG_
	.p2align	8
	.type	_ZN7rocprim17ROCPRIM_400000_NS6detail17trampoline_kernelINS0_14default_configENS1_35radix_sort_onesweep_config_selectorIaNS0_10empty_typeEEEZZNS1_29radix_sort_onesweep_iterationIS3_Lb1EPKaPaPS5_SB_mNS0_19identity_decomposerENS1_16block_id_wrapperIjLb1EEEEE10hipError_tT1_PNSt15iterator_traitsISG_E10value_typeET2_T3_PNSH_ISM_E10value_typeET4_T5_PSR_SS_PNS1_23onesweep_lookback_stateEbbT6_jjT7_P12ihipStream_tbENKUlT_T0_SG_SL_E_clISA_SA_SB_SB_EEDaSZ_S10_SG_SL_EUlSZ_E_NS1_11comp_targetILNS1_3genE10ELNS1_11target_archE1201ELNS1_3gpuE5ELNS1_3repE0EEENS1_47radix_sort_onesweep_sort_config_static_selectorELNS0_4arch9wavefront6targetE0EEEvSG_,@function
_ZN7rocprim17ROCPRIM_400000_NS6detail17trampoline_kernelINS0_14default_configENS1_35radix_sort_onesweep_config_selectorIaNS0_10empty_typeEEEZZNS1_29radix_sort_onesweep_iterationIS3_Lb1EPKaPaPS5_SB_mNS0_19identity_decomposerENS1_16block_id_wrapperIjLb1EEEEE10hipError_tT1_PNSt15iterator_traitsISG_E10value_typeET2_T3_PNSH_ISM_E10value_typeET4_T5_PSR_SS_PNS1_23onesweep_lookback_stateEbbT6_jjT7_P12ihipStream_tbENKUlT_T0_SG_SL_E_clISA_SA_SB_SB_EEDaSZ_S10_SG_SL_EUlSZ_E_NS1_11comp_targetILNS1_3genE10ELNS1_11target_archE1201ELNS1_3gpuE5ELNS1_3repE0EEENS1_47radix_sort_onesweep_sort_config_static_selectorELNS0_4arch9wavefront6targetE0EEEvSG_: ; @_ZN7rocprim17ROCPRIM_400000_NS6detail17trampoline_kernelINS0_14default_configENS1_35radix_sort_onesweep_config_selectorIaNS0_10empty_typeEEEZZNS1_29radix_sort_onesweep_iterationIS3_Lb1EPKaPaPS5_SB_mNS0_19identity_decomposerENS1_16block_id_wrapperIjLb1EEEEE10hipError_tT1_PNSt15iterator_traitsISG_E10value_typeET2_T3_PNSH_ISM_E10value_typeET4_T5_PSR_SS_PNS1_23onesweep_lookback_stateEbbT6_jjT7_P12ihipStream_tbENKUlT_T0_SG_SL_E_clISA_SA_SB_SB_EEDaSZ_S10_SG_SL_EUlSZ_E_NS1_11comp_targetILNS1_3genE10ELNS1_11target_archE1201ELNS1_3gpuE5ELNS1_3repE0EEENS1_47radix_sort_onesweep_sort_config_static_selectorELNS0_4arch9wavefront6targetE0EEEvSG_
; %bb.0:
	.section	.rodata,"a",@progbits
	.p2align	6, 0x0
	.amdhsa_kernel _ZN7rocprim17ROCPRIM_400000_NS6detail17trampoline_kernelINS0_14default_configENS1_35radix_sort_onesweep_config_selectorIaNS0_10empty_typeEEEZZNS1_29radix_sort_onesweep_iterationIS3_Lb1EPKaPaPS5_SB_mNS0_19identity_decomposerENS1_16block_id_wrapperIjLb1EEEEE10hipError_tT1_PNSt15iterator_traitsISG_E10value_typeET2_T3_PNSH_ISM_E10value_typeET4_T5_PSR_SS_PNS1_23onesweep_lookback_stateEbbT6_jjT7_P12ihipStream_tbENKUlT_T0_SG_SL_E_clISA_SA_SB_SB_EEDaSZ_S10_SG_SL_EUlSZ_E_NS1_11comp_targetILNS1_3genE10ELNS1_11target_archE1201ELNS1_3gpuE5ELNS1_3repE0EEENS1_47radix_sort_onesweep_sort_config_static_selectorELNS0_4arch9wavefront6targetE0EEEvSG_
		.amdhsa_group_segment_fixed_size 0
		.amdhsa_private_segment_fixed_size 0
		.amdhsa_kernarg_size 88
		.amdhsa_user_sgpr_count 2
		.amdhsa_user_sgpr_dispatch_ptr 0
		.amdhsa_user_sgpr_queue_ptr 0
		.amdhsa_user_sgpr_kernarg_segment_ptr 1
		.amdhsa_user_sgpr_dispatch_id 0
		.amdhsa_user_sgpr_kernarg_preload_length 0
		.amdhsa_user_sgpr_kernarg_preload_offset 0
		.amdhsa_user_sgpr_private_segment_size 0
		.amdhsa_wavefront_size32 1
		.amdhsa_uses_dynamic_stack 0
		.amdhsa_enable_private_segment 0
		.amdhsa_system_sgpr_workgroup_id_x 1
		.amdhsa_system_sgpr_workgroup_id_y 0
		.amdhsa_system_sgpr_workgroup_id_z 0
		.amdhsa_system_sgpr_workgroup_info 0
		.amdhsa_system_vgpr_workitem_id 0
		.amdhsa_next_free_vgpr 1
		.amdhsa_next_free_sgpr 1
		.amdhsa_named_barrier_count 0
		.amdhsa_reserve_vcc 0
		.amdhsa_float_round_mode_32 0
		.amdhsa_float_round_mode_16_64 0
		.amdhsa_float_denorm_mode_32 3
		.amdhsa_float_denorm_mode_16_64 3
		.amdhsa_fp16_overflow 0
		.amdhsa_memory_ordered 1
		.amdhsa_forward_progress 1
		.amdhsa_inst_pref_size 0
		.amdhsa_round_robin_scheduling 0
		.amdhsa_exception_fp_ieee_invalid_op 0
		.amdhsa_exception_fp_denorm_src 0
		.amdhsa_exception_fp_ieee_div_zero 0
		.amdhsa_exception_fp_ieee_overflow 0
		.amdhsa_exception_fp_ieee_underflow 0
		.amdhsa_exception_fp_ieee_inexact 0
		.amdhsa_exception_int_div_zero 0
	.end_amdhsa_kernel
	.section	.text._ZN7rocprim17ROCPRIM_400000_NS6detail17trampoline_kernelINS0_14default_configENS1_35radix_sort_onesweep_config_selectorIaNS0_10empty_typeEEEZZNS1_29radix_sort_onesweep_iterationIS3_Lb1EPKaPaPS5_SB_mNS0_19identity_decomposerENS1_16block_id_wrapperIjLb1EEEEE10hipError_tT1_PNSt15iterator_traitsISG_E10value_typeET2_T3_PNSH_ISM_E10value_typeET4_T5_PSR_SS_PNS1_23onesweep_lookback_stateEbbT6_jjT7_P12ihipStream_tbENKUlT_T0_SG_SL_E_clISA_SA_SB_SB_EEDaSZ_S10_SG_SL_EUlSZ_E_NS1_11comp_targetILNS1_3genE10ELNS1_11target_archE1201ELNS1_3gpuE5ELNS1_3repE0EEENS1_47radix_sort_onesweep_sort_config_static_selectorELNS0_4arch9wavefront6targetE0EEEvSG_,"axG",@progbits,_ZN7rocprim17ROCPRIM_400000_NS6detail17trampoline_kernelINS0_14default_configENS1_35radix_sort_onesweep_config_selectorIaNS0_10empty_typeEEEZZNS1_29radix_sort_onesweep_iterationIS3_Lb1EPKaPaPS5_SB_mNS0_19identity_decomposerENS1_16block_id_wrapperIjLb1EEEEE10hipError_tT1_PNSt15iterator_traitsISG_E10value_typeET2_T3_PNSH_ISM_E10value_typeET4_T5_PSR_SS_PNS1_23onesweep_lookback_stateEbbT6_jjT7_P12ihipStream_tbENKUlT_T0_SG_SL_E_clISA_SA_SB_SB_EEDaSZ_S10_SG_SL_EUlSZ_E_NS1_11comp_targetILNS1_3genE10ELNS1_11target_archE1201ELNS1_3gpuE5ELNS1_3repE0EEENS1_47radix_sort_onesweep_sort_config_static_selectorELNS0_4arch9wavefront6targetE0EEEvSG_,comdat
.Lfunc_end370:
	.size	_ZN7rocprim17ROCPRIM_400000_NS6detail17trampoline_kernelINS0_14default_configENS1_35radix_sort_onesweep_config_selectorIaNS0_10empty_typeEEEZZNS1_29radix_sort_onesweep_iterationIS3_Lb1EPKaPaPS5_SB_mNS0_19identity_decomposerENS1_16block_id_wrapperIjLb1EEEEE10hipError_tT1_PNSt15iterator_traitsISG_E10value_typeET2_T3_PNSH_ISM_E10value_typeET4_T5_PSR_SS_PNS1_23onesweep_lookback_stateEbbT6_jjT7_P12ihipStream_tbENKUlT_T0_SG_SL_E_clISA_SA_SB_SB_EEDaSZ_S10_SG_SL_EUlSZ_E_NS1_11comp_targetILNS1_3genE10ELNS1_11target_archE1201ELNS1_3gpuE5ELNS1_3repE0EEENS1_47radix_sort_onesweep_sort_config_static_selectorELNS0_4arch9wavefront6targetE0EEEvSG_, .Lfunc_end370-_ZN7rocprim17ROCPRIM_400000_NS6detail17trampoline_kernelINS0_14default_configENS1_35radix_sort_onesweep_config_selectorIaNS0_10empty_typeEEEZZNS1_29radix_sort_onesweep_iterationIS3_Lb1EPKaPaPS5_SB_mNS0_19identity_decomposerENS1_16block_id_wrapperIjLb1EEEEE10hipError_tT1_PNSt15iterator_traitsISG_E10value_typeET2_T3_PNSH_ISM_E10value_typeET4_T5_PSR_SS_PNS1_23onesweep_lookback_stateEbbT6_jjT7_P12ihipStream_tbENKUlT_T0_SG_SL_E_clISA_SA_SB_SB_EEDaSZ_S10_SG_SL_EUlSZ_E_NS1_11comp_targetILNS1_3genE10ELNS1_11target_archE1201ELNS1_3gpuE5ELNS1_3repE0EEENS1_47radix_sort_onesweep_sort_config_static_selectorELNS0_4arch9wavefront6targetE0EEEvSG_
                                        ; -- End function
	.set _ZN7rocprim17ROCPRIM_400000_NS6detail17trampoline_kernelINS0_14default_configENS1_35radix_sort_onesweep_config_selectorIaNS0_10empty_typeEEEZZNS1_29radix_sort_onesweep_iterationIS3_Lb1EPKaPaPS5_SB_mNS0_19identity_decomposerENS1_16block_id_wrapperIjLb1EEEEE10hipError_tT1_PNSt15iterator_traitsISG_E10value_typeET2_T3_PNSH_ISM_E10value_typeET4_T5_PSR_SS_PNS1_23onesweep_lookback_stateEbbT6_jjT7_P12ihipStream_tbENKUlT_T0_SG_SL_E_clISA_SA_SB_SB_EEDaSZ_S10_SG_SL_EUlSZ_E_NS1_11comp_targetILNS1_3genE10ELNS1_11target_archE1201ELNS1_3gpuE5ELNS1_3repE0EEENS1_47radix_sort_onesweep_sort_config_static_selectorELNS0_4arch9wavefront6targetE0EEEvSG_.num_vgpr, 0
	.set _ZN7rocprim17ROCPRIM_400000_NS6detail17trampoline_kernelINS0_14default_configENS1_35radix_sort_onesweep_config_selectorIaNS0_10empty_typeEEEZZNS1_29radix_sort_onesweep_iterationIS3_Lb1EPKaPaPS5_SB_mNS0_19identity_decomposerENS1_16block_id_wrapperIjLb1EEEEE10hipError_tT1_PNSt15iterator_traitsISG_E10value_typeET2_T3_PNSH_ISM_E10value_typeET4_T5_PSR_SS_PNS1_23onesweep_lookback_stateEbbT6_jjT7_P12ihipStream_tbENKUlT_T0_SG_SL_E_clISA_SA_SB_SB_EEDaSZ_S10_SG_SL_EUlSZ_E_NS1_11comp_targetILNS1_3genE10ELNS1_11target_archE1201ELNS1_3gpuE5ELNS1_3repE0EEENS1_47radix_sort_onesweep_sort_config_static_selectorELNS0_4arch9wavefront6targetE0EEEvSG_.num_agpr, 0
	.set _ZN7rocprim17ROCPRIM_400000_NS6detail17trampoline_kernelINS0_14default_configENS1_35radix_sort_onesweep_config_selectorIaNS0_10empty_typeEEEZZNS1_29radix_sort_onesweep_iterationIS3_Lb1EPKaPaPS5_SB_mNS0_19identity_decomposerENS1_16block_id_wrapperIjLb1EEEEE10hipError_tT1_PNSt15iterator_traitsISG_E10value_typeET2_T3_PNSH_ISM_E10value_typeET4_T5_PSR_SS_PNS1_23onesweep_lookback_stateEbbT6_jjT7_P12ihipStream_tbENKUlT_T0_SG_SL_E_clISA_SA_SB_SB_EEDaSZ_S10_SG_SL_EUlSZ_E_NS1_11comp_targetILNS1_3genE10ELNS1_11target_archE1201ELNS1_3gpuE5ELNS1_3repE0EEENS1_47radix_sort_onesweep_sort_config_static_selectorELNS0_4arch9wavefront6targetE0EEEvSG_.numbered_sgpr, 0
	.set _ZN7rocprim17ROCPRIM_400000_NS6detail17trampoline_kernelINS0_14default_configENS1_35radix_sort_onesweep_config_selectorIaNS0_10empty_typeEEEZZNS1_29radix_sort_onesweep_iterationIS3_Lb1EPKaPaPS5_SB_mNS0_19identity_decomposerENS1_16block_id_wrapperIjLb1EEEEE10hipError_tT1_PNSt15iterator_traitsISG_E10value_typeET2_T3_PNSH_ISM_E10value_typeET4_T5_PSR_SS_PNS1_23onesweep_lookback_stateEbbT6_jjT7_P12ihipStream_tbENKUlT_T0_SG_SL_E_clISA_SA_SB_SB_EEDaSZ_S10_SG_SL_EUlSZ_E_NS1_11comp_targetILNS1_3genE10ELNS1_11target_archE1201ELNS1_3gpuE5ELNS1_3repE0EEENS1_47radix_sort_onesweep_sort_config_static_selectorELNS0_4arch9wavefront6targetE0EEEvSG_.num_named_barrier, 0
	.set _ZN7rocprim17ROCPRIM_400000_NS6detail17trampoline_kernelINS0_14default_configENS1_35radix_sort_onesweep_config_selectorIaNS0_10empty_typeEEEZZNS1_29radix_sort_onesweep_iterationIS3_Lb1EPKaPaPS5_SB_mNS0_19identity_decomposerENS1_16block_id_wrapperIjLb1EEEEE10hipError_tT1_PNSt15iterator_traitsISG_E10value_typeET2_T3_PNSH_ISM_E10value_typeET4_T5_PSR_SS_PNS1_23onesweep_lookback_stateEbbT6_jjT7_P12ihipStream_tbENKUlT_T0_SG_SL_E_clISA_SA_SB_SB_EEDaSZ_S10_SG_SL_EUlSZ_E_NS1_11comp_targetILNS1_3genE10ELNS1_11target_archE1201ELNS1_3gpuE5ELNS1_3repE0EEENS1_47radix_sort_onesweep_sort_config_static_selectorELNS0_4arch9wavefront6targetE0EEEvSG_.private_seg_size, 0
	.set _ZN7rocprim17ROCPRIM_400000_NS6detail17trampoline_kernelINS0_14default_configENS1_35radix_sort_onesweep_config_selectorIaNS0_10empty_typeEEEZZNS1_29radix_sort_onesweep_iterationIS3_Lb1EPKaPaPS5_SB_mNS0_19identity_decomposerENS1_16block_id_wrapperIjLb1EEEEE10hipError_tT1_PNSt15iterator_traitsISG_E10value_typeET2_T3_PNSH_ISM_E10value_typeET4_T5_PSR_SS_PNS1_23onesweep_lookback_stateEbbT6_jjT7_P12ihipStream_tbENKUlT_T0_SG_SL_E_clISA_SA_SB_SB_EEDaSZ_S10_SG_SL_EUlSZ_E_NS1_11comp_targetILNS1_3genE10ELNS1_11target_archE1201ELNS1_3gpuE5ELNS1_3repE0EEENS1_47radix_sort_onesweep_sort_config_static_selectorELNS0_4arch9wavefront6targetE0EEEvSG_.uses_vcc, 0
	.set _ZN7rocprim17ROCPRIM_400000_NS6detail17trampoline_kernelINS0_14default_configENS1_35radix_sort_onesweep_config_selectorIaNS0_10empty_typeEEEZZNS1_29radix_sort_onesweep_iterationIS3_Lb1EPKaPaPS5_SB_mNS0_19identity_decomposerENS1_16block_id_wrapperIjLb1EEEEE10hipError_tT1_PNSt15iterator_traitsISG_E10value_typeET2_T3_PNSH_ISM_E10value_typeET4_T5_PSR_SS_PNS1_23onesweep_lookback_stateEbbT6_jjT7_P12ihipStream_tbENKUlT_T0_SG_SL_E_clISA_SA_SB_SB_EEDaSZ_S10_SG_SL_EUlSZ_E_NS1_11comp_targetILNS1_3genE10ELNS1_11target_archE1201ELNS1_3gpuE5ELNS1_3repE0EEENS1_47radix_sort_onesweep_sort_config_static_selectorELNS0_4arch9wavefront6targetE0EEEvSG_.uses_flat_scratch, 0
	.set _ZN7rocprim17ROCPRIM_400000_NS6detail17trampoline_kernelINS0_14default_configENS1_35radix_sort_onesweep_config_selectorIaNS0_10empty_typeEEEZZNS1_29radix_sort_onesweep_iterationIS3_Lb1EPKaPaPS5_SB_mNS0_19identity_decomposerENS1_16block_id_wrapperIjLb1EEEEE10hipError_tT1_PNSt15iterator_traitsISG_E10value_typeET2_T3_PNSH_ISM_E10value_typeET4_T5_PSR_SS_PNS1_23onesweep_lookback_stateEbbT6_jjT7_P12ihipStream_tbENKUlT_T0_SG_SL_E_clISA_SA_SB_SB_EEDaSZ_S10_SG_SL_EUlSZ_E_NS1_11comp_targetILNS1_3genE10ELNS1_11target_archE1201ELNS1_3gpuE5ELNS1_3repE0EEENS1_47radix_sort_onesweep_sort_config_static_selectorELNS0_4arch9wavefront6targetE0EEEvSG_.has_dyn_sized_stack, 0
	.set _ZN7rocprim17ROCPRIM_400000_NS6detail17trampoline_kernelINS0_14default_configENS1_35radix_sort_onesweep_config_selectorIaNS0_10empty_typeEEEZZNS1_29radix_sort_onesweep_iterationIS3_Lb1EPKaPaPS5_SB_mNS0_19identity_decomposerENS1_16block_id_wrapperIjLb1EEEEE10hipError_tT1_PNSt15iterator_traitsISG_E10value_typeET2_T3_PNSH_ISM_E10value_typeET4_T5_PSR_SS_PNS1_23onesweep_lookback_stateEbbT6_jjT7_P12ihipStream_tbENKUlT_T0_SG_SL_E_clISA_SA_SB_SB_EEDaSZ_S10_SG_SL_EUlSZ_E_NS1_11comp_targetILNS1_3genE10ELNS1_11target_archE1201ELNS1_3gpuE5ELNS1_3repE0EEENS1_47radix_sort_onesweep_sort_config_static_selectorELNS0_4arch9wavefront6targetE0EEEvSG_.has_recursion, 0
	.set _ZN7rocprim17ROCPRIM_400000_NS6detail17trampoline_kernelINS0_14default_configENS1_35radix_sort_onesweep_config_selectorIaNS0_10empty_typeEEEZZNS1_29radix_sort_onesweep_iterationIS3_Lb1EPKaPaPS5_SB_mNS0_19identity_decomposerENS1_16block_id_wrapperIjLb1EEEEE10hipError_tT1_PNSt15iterator_traitsISG_E10value_typeET2_T3_PNSH_ISM_E10value_typeET4_T5_PSR_SS_PNS1_23onesweep_lookback_stateEbbT6_jjT7_P12ihipStream_tbENKUlT_T0_SG_SL_E_clISA_SA_SB_SB_EEDaSZ_S10_SG_SL_EUlSZ_E_NS1_11comp_targetILNS1_3genE10ELNS1_11target_archE1201ELNS1_3gpuE5ELNS1_3repE0EEENS1_47radix_sort_onesweep_sort_config_static_selectorELNS0_4arch9wavefront6targetE0EEEvSG_.has_indirect_call, 0
	.section	.AMDGPU.csdata,"",@progbits
; Kernel info:
; codeLenInByte = 0
; TotalNumSgprs: 0
; NumVgprs: 0
; ScratchSize: 0
; MemoryBound: 0
; FloatMode: 240
; IeeeMode: 1
; LDSByteSize: 0 bytes/workgroup (compile time only)
; SGPRBlocks: 0
; VGPRBlocks: 0
; NumSGPRsForWavesPerEU: 1
; NumVGPRsForWavesPerEU: 1
; NamedBarCnt: 0
; Occupancy: 16
; WaveLimiterHint : 0
; COMPUTE_PGM_RSRC2:SCRATCH_EN: 0
; COMPUTE_PGM_RSRC2:USER_SGPR: 2
; COMPUTE_PGM_RSRC2:TRAP_HANDLER: 0
; COMPUTE_PGM_RSRC2:TGID_X_EN: 1
; COMPUTE_PGM_RSRC2:TGID_Y_EN: 0
; COMPUTE_PGM_RSRC2:TGID_Z_EN: 0
; COMPUTE_PGM_RSRC2:TIDIG_COMP_CNT: 0
	.section	.text._ZN7rocprim17ROCPRIM_400000_NS6detail17trampoline_kernelINS0_14default_configENS1_35radix_sort_onesweep_config_selectorIaNS0_10empty_typeEEEZZNS1_29radix_sort_onesweep_iterationIS3_Lb1EPKaPaPS5_SB_mNS0_19identity_decomposerENS1_16block_id_wrapperIjLb1EEEEE10hipError_tT1_PNSt15iterator_traitsISG_E10value_typeET2_T3_PNSH_ISM_E10value_typeET4_T5_PSR_SS_PNS1_23onesweep_lookback_stateEbbT6_jjT7_P12ihipStream_tbENKUlT_T0_SG_SL_E_clISA_SA_SB_SB_EEDaSZ_S10_SG_SL_EUlSZ_E_NS1_11comp_targetILNS1_3genE9ELNS1_11target_archE1100ELNS1_3gpuE3ELNS1_3repE0EEENS1_47radix_sort_onesweep_sort_config_static_selectorELNS0_4arch9wavefront6targetE0EEEvSG_,"axG",@progbits,_ZN7rocprim17ROCPRIM_400000_NS6detail17trampoline_kernelINS0_14default_configENS1_35radix_sort_onesweep_config_selectorIaNS0_10empty_typeEEEZZNS1_29radix_sort_onesweep_iterationIS3_Lb1EPKaPaPS5_SB_mNS0_19identity_decomposerENS1_16block_id_wrapperIjLb1EEEEE10hipError_tT1_PNSt15iterator_traitsISG_E10value_typeET2_T3_PNSH_ISM_E10value_typeET4_T5_PSR_SS_PNS1_23onesweep_lookback_stateEbbT6_jjT7_P12ihipStream_tbENKUlT_T0_SG_SL_E_clISA_SA_SB_SB_EEDaSZ_S10_SG_SL_EUlSZ_E_NS1_11comp_targetILNS1_3genE9ELNS1_11target_archE1100ELNS1_3gpuE3ELNS1_3repE0EEENS1_47radix_sort_onesweep_sort_config_static_selectorELNS0_4arch9wavefront6targetE0EEEvSG_,comdat
	.protected	_ZN7rocprim17ROCPRIM_400000_NS6detail17trampoline_kernelINS0_14default_configENS1_35radix_sort_onesweep_config_selectorIaNS0_10empty_typeEEEZZNS1_29radix_sort_onesweep_iterationIS3_Lb1EPKaPaPS5_SB_mNS0_19identity_decomposerENS1_16block_id_wrapperIjLb1EEEEE10hipError_tT1_PNSt15iterator_traitsISG_E10value_typeET2_T3_PNSH_ISM_E10value_typeET4_T5_PSR_SS_PNS1_23onesweep_lookback_stateEbbT6_jjT7_P12ihipStream_tbENKUlT_T0_SG_SL_E_clISA_SA_SB_SB_EEDaSZ_S10_SG_SL_EUlSZ_E_NS1_11comp_targetILNS1_3genE9ELNS1_11target_archE1100ELNS1_3gpuE3ELNS1_3repE0EEENS1_47radix_sort_onesweep_sort_config_static_selectorELNS0_4arch9wavefront6targetE0EEEvSG_ ; -- Begin function _ZN7rocprim17ROCPRIM_400000_NS6detail17trampoline_kernelINS0_14default_configENS1_35radix_sort_onesweep_config_selectorIaNS0_10empty_typeEEEZZNS1_29radix_sort_onesweep_iterationIS3_Lb1EPKaPaPS5_SB_mNS0_19identity_decomposerENS1_16block_id_wrapperIjLb1EEEEE10hipError_tT1_PNSt15iterator_traitsISG_E10value_typeET2_T3_PNSH_ISM_E10value_typeET4_T5_PSR_SS_PNS1_23onesweep_lookback_stateEbbT6_jjT7_P12ihipStream_tbENKUlT_T0_SG_SL_E_clISA_SA_SB_SB_EEDaSZ_S10_SG_SL_EUlSZ_E_NS1_11comp_targetILNS1_3genE9ELNS1_11target_archE1100ELNS1_3gpuE3ELNS1_3repE0EEENS1_47radix_sort_onesweep_sort_config_static_selectorELNS0_4arch9wavefront6targetE0EEEvSG_
	.globl	_ZN7rocprim17ROCPRIM_400000_NS6detail17trampoline_kernelINS0_14default_configENS1_35radix_sort_onesweep_config_selectorIaNS0_10empty_typeEEEZZNS1_29radix_sort_onesweep_iterationIS3_Lb1EPKaPaPS5_SB_mNS0_19identity_decomposerENS1_16block_id_wrapperIjLb1EEEEE10hipError_tT1_PNSt15iterator_traitsISG_E10value_typeET2_T3_PNSH_ISM_E10value_typeET4_T5_PSR_SS_PNS1_23onesweep_lookback_stateEbbT6_jjT7_P12ihipStream_tbENKUlT_T0_SG_SL_E_clISA_SA_SB_SB_EEDaSZ_S10_SG_SL_EUlSZ_E_NS1_11comp_targetILNS1_3genE9ELNS1_11target_archE1100ELNS1_3gpuE3ELNS1_3repE0EEENS1_47radix_sort_onesweep_sort_config_static_selectorELNS0_4arch9wavefront6targetE0EEEvSG_
	.p2align	8
	.type	_ZN7rocprim17ROCPRIM_400000_NS6detail17trampoline_kernelINS0_14default_configENS1_35radix_sort_onesweep_config_selectorIaNS0_10empty_typeEEEZZNS1_29radix_sort_onesweep_iterationIS3_Lb1EPKaPaPS5_SB_mNS0_19identity_decomposerENS1_16block_id_wrapperIjLb1EEEEE10hipError_tT1_PNSt15iterator_traitsISG_E10value_typeET2_T3_PNSH_ISM_E10value_typeET4_T5_PSR_SS_PNS1_23onesweep_lookback_stateEbbT6_jjT7_P12ihipStream_tbENKUlT_T0_SG_SL_E_clISA_SA_SB_SB_EEDaSZ_S10_SG_SL_EUlSZ_E_NS1_11comp_targetILNS1_3genE9ELNS1_11target_archE1100ELNS1_3gpuE3ELNS1_3repE0EEENS1_47radix_sort_onesweep_sort_config_static_selectorELNS0_4arch9wavefront6targetE0EEEvSG_,@function
_ZN7rocprim17ROCPRIM_400000_NS6detail17trampoline_kernelINS0_14default_configENS1_35radix_sort_onesweep_config_selectorIaNS0_10empty_typeEEEZZNS1_29radix_sort_onesweep_iterationIS3_Lb1EPKaPaPS5_SB_mNS0_19identity_decomposerENS1_16block_id_wrapperIjLb1EEEEE10hipError_tT1_PNSt15iterator_traitsISG_E10value_typeET2_T3_PNSH_ISM_E10value_typeET4_T5_PSR_SS_PNS1_23onesweep_lookback_stateEbbT6_jjT7_P12ihipStream_tbENKUlT_T0_SG_SL_E_clISA_SA_SB_SB_EEDaSZ_S10_SG_SL_EUlSZ_E_NS1_11comp_targetILNS1_3genE9ELNS1_11target_archE1100ELNS1_3gpuE3ELNS1_3repE0EEENS1_47radix_sort_onesweep_sort_config_static_selectorELNS0_4arch9wavefront6targetE0EEEvSG_: ; @_ZN7rocprim17ROCPRIM_400000_NS6detail17trampoline_kernelINS0_14default_configENS1_35radix_sort_onesweep_config_selectorIaNS0_10empty_typeEEEZZNS1_29radix_sort_onesweep_iterationIS3_Lb1EPKaPaPS5_SB_mNS0_19identity_decomposerENS1_16block_id_wrapperIjLb1EEEEE10hipError_tT1_PNSt15iterator_traitsISG_E10value_typeET2_T3_PNSH_ISM_E10value_typeET4_T5_PSR_SS_PNS1_23onesweep_lookback_stateEbbT6_jjT7_P12ihipStream_tbENKUlT_T0_SG_SL_E_clISA_SA_SB_SB_EEDaSZ_S10_SG_SL_EUlSZ_E_NS1_11comp_targetILNS1_3genE9ELNS1_11target_archE1100ELNS1_3gpuE3ELNS1_3repE0EEENS1_47radix_sort_onesweep_sort_config_static_selectorELNS0_4arch9wavefront6targetE0EEEvSG_
; %bb.0:
	.section	.rodata,"a",@progbits
	.p2align	6, 0x0
	.amdhsa_kernel _ZN7rocprim17ROCPRIM_400000_NS6detail17trampoline_kernelINS0_14default_configENS1_35radix_sort_onesweep_config_selectorIaNS0_10empty_typeEEEZZNS1_29radix_sort_onesweep_iterationIS3_Lb1EPKaPaPS5_SB_mNS0_19identity_decomposerENS1_16block_id_wrapperIjLb1EEEEE10hipError_tT1_PNSt15iterator_traitsISG_E10value_typeET2_T3_PNSH_ISM_E10value_typeET4_T5_PSR_SS_PNS1_23onesweep_lookback_stateEbbT6_jjT7_P12ihipStream_tbENKUlT_T0_SG_SL_E_clISA_SA_SB_SB_EEDaSZ_S10_SG_SL_EUlSZ_E_NS1_11comp_targetILNS1_3genE9ELNS1_11target_archE1100ELNS1_3gpuE3ELNS1_3repE0EEENS1_47radix_sort_onesweep_sort_config_static_selectorELNS0_4arch9wavefront6targetE0EEEvSG_
		.amdhsa_group_segment_fixed_size 0
		.amdhsa_private_segment_fixed_size 0
		.amdhsa_kernarg_size 88
		.amdhsa_user_sgpr_count 2
		.amdhsa_user_sgpr_dispatch_ptr 0
		.amdhsa_user_sgpr_queue_ptr 0
		.amdhsa_user_sgpr_kernarg_segment_ptr 1
		.amdhsa_user_sgpr_dispatch_id 0
		.amdhsa_user_sgpr_kernarg_preload_length 0
		.amdhsa_user_sgpr_kernarg_preload_offset 0
		.amdhsa_user_sgpr_private_segment_size 0
		.amdhsa_wavefront_size32 1
		.amdhsa_uses_dynamic_stack 0
		.amdhsa_enable_private_segment 0
		.amdhsa_system_sgpr_workgroup_id_x 1
		.amdhsa_system_sgpr_workgroup_id_y 0
		.amdhsa_system_sgpr_workgroup_id_z 0
		.amdhsa_system_sgpr_workgroup_info 0
		.amdhsa_system_vgpr_workitem_id 0
		.amdhsa_next_free_vgpr 1
		.amdhsa_next_free_sgpr 1
		.amdhsa_named_barrier_count 0
		.amdhsa_reserve_vcc 0
		.amdhsa_float_round_mode_32 0
		.amdhsa_float_round_mode_16_64 0
		.amdhsa_float_denorm_mode_32 3
		.amdhsa_float_denorm_mode_16_64 3
		.amdhsa_fp16_overflow 0
		.amdhsa_memory_ordered 1
		.amdhsa_forward_progress 1
		.amdhsa_inst_pref_size 0
		.amdhsa_round_robin_scheduling 0
		.amdhsa_exception_fp_ieee_invalid_op 0
		.amdhsa_exception_fp_denorm_src 0
		.amdhsa_exception_fp_ieee_div_zero 0
		.amdhsa_exception_fp_ieee_overflow 0
		.amdhsa_exception_fp_ieee_underflow 0
		.amdhsa_exception_fp_ieee_inexact 0
		.amdhsa_exception_int_div_zero 0
	.end_amdhsa_kernel
	.section	.text._ZN7rocprim17ROCPRIM_400000_NS6detail17trampoline_kernelINS0_14default_configENS1_35radix_sort_onesweep_config_selectorIaNS0_10empty_typeEEEZZNS1_29radix_sort_onesweep_iterationIS3_Lb1EPKaPaPS5_SB_mNS0_19identity_decomposerENS1_16block_id_wrapperIjLb1EEEEE10hipError_tT1_PNSt15iterator_traitsISG_E10value_typeET2_T3_PNSH_ISM_E10value_typeET4_T5_PSR_SS_PNS1_23onesweep_lookback_stateEbbT6_jjT7_P12ihipStream_tbENKUlT_T0_SG_SL_E_clISA_SA_SB_SB_EEDaSZ_S10_SG_SL_EUlSZ_E_NS1_11comp_targetILNS1_3genE9ELNS1_11target_archE1100ELNS1_3gpuE3ELNS1_3repE0EEENS1_47radix_sort_onesweep_sort_config_static_selectorELNS0_4arch9wavefront6targetE0EEEvSG_,"axG",@progbits,_ZN7rocprim17ROCPRIM_400000_NS6detail17trampoline_kernelINS0_14default_configENS1_35radix_sort_onesweep_config_selectorIaNS0_10empty_typeEEEZZNS1_29radix_sort_onesweep_iterationIS3_Lb1EPKaPaPS5_SB_mNS0_19identity_decomposerENS1_16block_id_wrapperIjLb1EEEEE10hipError_tT1_PNSt15iterator_traitsISG_E10value_typeET2_T3_PNSH_ISM_E10value_typeET4_T5_PSR_SS_PNS1_23onesweep_lookback_stateEbbT6_jjT7_P12ihipStream_tbENKUlT_T0_SG_SL_E_clISA_SA_SB_SB_EEDaSZ_S10_SG_SL_EUlSZ_E_NS1_11comp_targetILNS1_3genE9ELNS1_11target_archE1100ELNS1_3gpuE3ELNS1_3repE0EEENS1_47radix_sort_onesweep_sort_config_static_selectorELNS0_4arch9wavefront6targetE0EEEvSG_,comdat
.Lfunc_end371:
	.size	_ZN7rocprim17ROCPRIM_400000_NS6detail17trampoline_kernelINS0_14default_configENS1_35radix_sort_onesweep_config_selectorIaNS0_10empty_typeEEEZZNS1_29radix_sort_onesweep_iterationIS3_Lb1EPKaPaPS5_SB_mNS0_19identity_decomposerENS1_16block_id_wrapperIjLb1EEEEE10hipError_tT1_PNSt15iterator_traitsISG_E10value_typeET2_T3_PNSH_ISM_E10value_typeET4_T5_PSR_SS_PNS1_23onesweep_lookback_stateEbbT6_jjT7_P12ihipStream_tbENKUlT_T0_SG_SL_E_clISA_SA_SB_SB_EEDaSZ_S10_SG_SL_EUlSZ_E_NS1_11comp_targetILNS1_3genE9ELNS1_11target_archE1100ELNS1_3gpuE3ELNS1_3repE0EEENS1_47radix_sort_onesweep_sort_config_static_selectorELNS0_4arch9wavefront6targetE0EEEvSG_, .Lfunc_end371-_ZN7rocprim17ROCPRIM_400000_NS6detail17trampoline_kernelINS0_14default_configENS1_35radix_sort_onesweep_config_selectorIaNS0_10empty_typeEEEZZNS1_29radix_sort_onesweep_iterationIS3_Lb1EPKaPaPS5_SB_mNS0_19identity_decomposerENS1_16block_id_wrapperIjLb1EEEEE10hipError_tT1_PNSt15iterator_traitsISG_E10value_typeET2_T3_PNSH_ISM_E10value_typeET4_T5_PSR_SS_PNS1_23onesweep_lookback_stateEbbT6_jjT7_P12ihipStream_tbENKUlT_T0_SG_SL_E_clISA_SA_SB_SB_EEDaSZ_S10_SG_SL_EUlSZ_E_NS1_11comp_targetILNS1_3genE9ELNS1_11target_archE1100ELNS1_3gpuE3ELNS1_3repE0EEENS1_47radix_sort_onesweep_sort_config_static_selectorELNS0_4arch9wavefront6targetE0EEEvSG_
                                        ; -- End function
	.set _ZN7rocprim17ROCPRIM_400000_NS6detail17trampoline_kernelINS0_14default_configENS1_35radix_sort_onesweep_config_selectorIaNS0_10empty_typeEEEZZNS1_29radix_sort_onesweep_iterationIS3_Lb1EPKaPaPS5_SB_mNS0_19identity_decomposerENS1_16block_id_wrapperIjLb1EEEEE10hipError_tT1_PNSt15iterator_traitsISG_E10value_typeET2_T3_PNSH_ISM_E10value_typeET4_T5_PSR_SS_PNS1_23onesweep_lookback_stateEbbT6_jjT7_P12ihipStream_tbENKUlT_T0_SG_SL_E_clISA_SA_SB_SB_EEDaSZ_S10_SG_SL_EUlSZ_E_NS1_11comp_targetILNS1_3genE9ELNS1_11target_archE1100ELNS1_3gpuE3ELNS1_3repE0EEENS1_47radix_sort_onesweep_sort_config_static_selectorELNS0_4arch9wavefront6targetE0EEEvSG_.num_vgpr, 0
	.set _ZN7rocprim17ROCPRIM_400000_NS6detail17trampoline_kernelINS0_14default_configENS1_35radix_sort_onesweep_config_selectorIaNS0_10empty_typeEEEZZNS1_29radix_sort_onesweep_iterationIS3_Lb1EPKaPaPS5_SB_mNS0_19identity_decomposerENS1_16block_id_wrapperIjLb1EEEEE10hipError_tT1_PNSt15iterator_traitsISG_E10value_typeET2_T3_PNSH_ISM_E10value_typeET4_T5_PSR_SS_PNS1_23onesweep_lookback_stateEbbT6_jjT7_P12ihipStream_tbENKUlT_T0_SG_SL_E_clISA_SA_SB_SB_EEDaSZ_S10_SG_SL_EUlSZ_E_NS1_11comp_targetILNS1_3genE9ELNS1_11target_archE1100ELNS1_3gpuE3ELNS1_3repE0EEENS1_47radix_sort_onesweep_sort_config_static_selectorELNS0_4arch9wavefront6targetE0EEEvSG_.num_agpr, 0
	.set _ZN7rocprim17ROCPRIM_400000_NS6detail17trampoline_kernelINS0_14default_configENS1_35radix_sort_onesweep_config_selectorIaNS0_10empty_typeEEEZZNS1_29radix_sort_onesweep_iterationIS3_Lb1EPKaPaPS5_SB_mNS0_19identity_decomposerENS1_16block_id_wrapperIjLb1EEEEE10hipError_tT1_PNSt15iterator_traitsISG_E10value_typeET2_T3_PNSH_ISM_E10value_typeET4_T5_PSR_SS_PNS1_23onesweep_lookback_stateEbbT6_jjT7_P12ihipStream_tbENKUlT_T0_SG_SL_E_clISA_SA_SB_SB_EEDaSZ_S10_SG_SL_EUlSZ_E_NS1_11comp_targetILNS1_3genE9ELNS1_11target_archE1100ELNS1_3gpuE3ELNS1_3repE0EEENS1_47radix_sort_onesweep_sort_config_static_selectorELNS0_4arch9wavefront6targetE0EEEvSG_.numbered_sgpr, 0
	.set _ZN7rocprim17ROCPRIM_400000_NS6detail17trampoline_kernelINS0_14default_configENS1_35radix_sort_onesweep_config_selectorIaNS0_10empty_typeEEEZZNS1_29radix_sort_onesweep_iterationIS3_Lb1EPKaPaPS5_SB_mNS0_19identity_decomposerENS1_16block_id_wrapperIjLb1EEEEE10hipError_tT1_PNSt15iterator_traitsISG_E10value_typeET2_T3_PNSH_ISM_E10value_typeET4_T5_PSR_SS_PNS1_23onesweep_lookback_stateEbbT6_jjT7_P12ihipStream_tbENKUlT_T0_SG_SL_E_clISA_SA_SB_SB_EEDaSZ_S10_SG_SL_EUlSZ_E_NS1_11comp_targetILNS1_3genE9ELNS1_11target_archE1100ELNS1_3gpuE3ELNS1_3repE0EEENS1_47radix_sort_onesweep_sort_config_static_selectorELNS0_4arch9wavefront6targetE0EEEvSG_.num_named_barrier, 0
	.set _ZN7rocprim17ROCPRIM_400000_NS6detail17trampoline_kernelINS0_14default_configENS1_35radix_sort_onesweep_config_selectorIaNS0_10empty_typeEEEZZNS1_29radix_sort_onesweep_iterationIS3_Lb1EPKaPaPS5_SB_mNS0_19identity_decomposerENS1_16block_id_wrapperIjLb1EEEEE10hipError_tT1_PNSt15iterator_traitsISG_E10value_typeET2_T3_PNSH_ISM_E10value_typeET4_T5_PSR_SS_PNS1_23onesweep_lookback_stateEbbT6_jjT7_P12ihipStream_tbENKUlT_T0_SG_SL_E_clISA_SA_SB_SB_EEDaSZ_S10_SG_SL_EUlSZ_E_NS1_11comp_targetILNS1_3genE9ELNS1_11target_archE1100ELNS1_3gpuE3ELNS1_3repE0EEENS1_47radix_sort_onesweep_sort_config_static_selectorELNS0_4arch9wavefront6targetE0EEEvSG_.private_seg_size, 0
	.set _ZN7rocprim17ROCPRIM_400000_NS6detail17trampoline_kernelINS0_14default_configENS1_35radix_sort_onesweep_config_selectorIaNS0_10empty_typeEEEZZNS1_29radix_sort_onesweep_iterationIS3_Lb1EPKaPaPS5_SB_mNS0_19identity_decomposerENS1_16block_id_wrapperIjLb1EEEEE10hipError_tT1_PNSt15iterator_traitsISG_E10value_typeET2_T3_PNSH_ISM_E10value_typeET4_T5_PSR_SS_PNS1_23onesweep_lookback_stateEbbT6_jjT7_P12ihipStream_tbENKUlT_T0_SG_SL_E_clISA_SA_SB_SB_EEDaSZ_S10_SG_SL_EUlSZ_E_NS1_11comp_targetILNS1_3genE9ELNS1_11target_archE1100ELNS1_3gpuE3ELNS1_3repE0EEENS1_47radix_sort_onesweep_sort_config_static_selectorELNS0_4arch9wavefront6targetE0EEEvSG_.uses_vcc, 0
	.set _ZN7rocprim17ROCPRIM_400000_NS6detail17trampoline_kernelINS0_14default_configENS1_35radix_sort_onesweep_config_selectorIaNS0_10empty_typeEEEZZNS1_29radix_sort_onesweep_iterationIS3_Lb1EPKaPaPS5_SB_mNS0_19identity_decomposerENS1_16block_id_wrapperIjLb1EEEEE10hipError_tT1_PNSt15iterator_traitsISG_E10value_typeET2_T3_PNSH_ISM_E10value_typeET4_T5_PSR_SS_PNS1_23onesweep_lookback_stateEbbT6_jjT7_P12ihipStream_tbENKUlT_T0_SG_SL_E_clISA_SA_SB_SB_EEDaSZ_S10_SG_SL_EUlSZ_E_NS1_11comp_targetILNS1_3genE9ELNS1_11target_archE1100ELNS1_3gpuE3ELNS1_3repE0EEENS1_47radix_sort_onesweep_sort_config_static_selectorELNS0_4arch9wavefront6targetE0EEEvSG_.uses_flat_scratch, 0
	.set _ZN7rocprim17ROCPRIM_400000_NS6detail17trampoline_kernelINS0_14default_configENS1_35radix_sort_onesweep_config_selectorIaNS0_10empty_typeEEEZZNS1_29radix_sort_onesweep_iterationIS3_Lb1EPKaPaPS5_SB_mNS0_19identity_decomposerENS1_16block_id_wrapperIjLb1EEEEE10hipError_tT1_PNSt15iterator_traitsISG_E10value_typeET2_T3_PNSH_ISM_E10value_typeET4_T5_PSR_SS_PNS1_23onesweep_lookback_stateEbbT6_jjT7_P12ihipStream_tbENKUlT_T0_SG_SL_E_clISA_SA_SB_SB_EEDaSZ_S10_SG_SL_EUlSZ_E_NS1_11comp_targetILNS1_3genE9ELNS1_11target_archE1100ELNS1_3gpuE3ELNS1_3repE0EEENS1_47radix_sort_onesweep_sort_config_static_selectorELNS0_4arch9wavefront6targetE0EEEvSG_.has_dyn_sized_stack, 0
	.set _ZN7rocprim17ROCPRIM_400000_NS6detail17trampoline_kernelINS0_14default_configENS1_35radix_sort_onesweep_config_selectorIaNS0_10empty_typeEEEZZNS1_29radix_sort_onesweep_iterationIS3_Lb1EPKaPaPS5_SB_mNS0_19identity_decomposerENS1_16block_id_wrapperIjLb1EEEEE10hipError_tT1_PNSt15iterator_traitsISG_E10value_typeET2_T3_PNSH_ISM_E10value_typeET4_T5_PSR_SS_PNS1_23onesweep_lookback_stateEbbT6_jjT7_P12ihipStream_tbENKUlT_T0_SG_SL_E_clISA_SA_SB_SB_EEDaSZ_S10_SG_SL_EUlSZ_E_NS1_11comp_targetILNS1_3genE9ELNS1_11target_archE1100ELNS1_3gpuE3ELNS1_3repE0EEENS1_47radix_sort_onesweep_sort_config_static_selectorELNS0_4arch9wavefront6targetE0EEEvSG_.has_recursion, 0
	.set _ZN7rocprim17ROCPRIM_400000_NS6detail17trampoline_kernelINS0_14default_configENS1_35radix_sort_onesweep_config_selectorIaNS0_10empty_typeEEEZZNS1_29radix_sort_onesweep_iterationIS3_Lb1EPKaPaPS5_SB_mNS0_19identity_decomposerENS1_16block_id_wrapperIjLb1EEEEE10hipError_tT1_PNSt15iterator_traitsISG_E10value_typeET2_T3_PNSH_ISM_E10value_typeET4_T5_PSR_SS_PNS1_23onesweep_lookback_stateEbbT6_jjT7_P12ihipStream_tbENKUlT_T0_SG_SL_E_clISA_SA_SB_SB_EEDaSZ_S10_SG_SL_EUlSZ_E_NS1_11comp_targetILNS1_3genE9ELNS1_11target_archE1100ELNS1_3gpuE3ELNS1_3repE0EEENS1_47radix_sort_onesweep_sort_config_static_selectorELNS0_4arch9wavefront6targetE0EEEvSG_.has_indirect_call, 0
	.section	.AMDGPU.csdata,"",@progbits
; Kernel info:
; codeLenInByte = 0
; TotalNumSgprs: 0
; NumVgprs: 0
; ScratchSize: 0
; MemoryBound: 0
; FloatMode: 240
; IeeeMode: 1
; LDSByteSize: 0 bytes/workgroup (compile time only)
; SGPRBlocks: 0
; VGPRBlocks: 0
; NumSGPRsForWavesPerEU: 1
; NumVGPRsForWavesPerEU: 1
; NamedBarCnt: 0
; Occupancy: 16
; WaveLimiterHint : 0
; COMPUTE_PGM_RSRC2:SCRATCH_EN: 0
; COMPUTE_PGM_RSRC2:USER_SGPR: 2
; COMPUTE_PGM_RSRC2:TRAP_HANDLER: 0
; COMPUTE_PGM_RSRC2:TGID_X_EN: 1
; COMPUTE_PGM_RSRC2:TGID_Y_EN: 0
; COMPUTE_PGM_RSRC2:TGID_Z_EN: 0
; COMPUTE_PGM_RSRC2:TIDIG_COMP_CNT: 0
	.section	.text._ZN7rocprim17ROCPRIM_400000_NS6detail17trampoline_kernelINS0_14default_configENS1_35radix_sort_onesweep_config_selectorIaNS0_10empty_typeEEEZZNS1_29radix_sort_onesweep_iterationIS3_Lb1EPKaPaPS5_SB_mNS0_19identity_decomposerENS1_16block_id_wrapperIjLb1EEEEE10hipError_tT1_PNSt15iterator_traitsISG_E10value_typeET2_T3_PNSH_ISM_E10value_typeET4_T5_PSR_SS_PNS1_23onesweep_lookback_stateEbbT6_jjT7_P12ihipStream_tbENKUlT_T0_SG_SL_E_clISA_SA_SB_SB_EEDaSZ_S10_SG_SL_EUlSZ_E_NS1_11comp_targetILNS1_3genE8ELNS1_11target_archE1030ELNS1_3gpuE2ELNS1_3repE0EEENS1_47radix_sort_onesweep_sort_config_static_selectorELNS0_4arch9wavefront6targetE0EEEvSG_,"axG",@progbits,_ZN7rocprim17ROCPRIM_400000_NS6detail17trampoline_kernelINS0_14default_configENS1_35radix_sort_onesweep_config_selectorIaNS0_10empty_typeEEEZZNS1_29radix_sort_onesweep_iterationIS3_Lb1EPKaPaPS5_SB_mNS0_19identity_decomposerENS1_16block_id_wrapperIjLb1EEEEE10hipError_tT1_PNSt15iterator_traitsISG_E10value_typeET2_T3_PNSH_ISM_E10value_typeET4_T5_PSR_SS_PNS1_23onesweep_lookback_stateEbbT6_jjT7_P12ihipStream_tbENKUlT_T0_SG_SL_E_clISA_SA_SB_SB_EEDaSZ_S10_SG_SL_EUlSZ_E_NS1_11comp_targetILNS1_3genE8ELNS1_11target_archE1030ELNS1_3gpuE2ELNS1_3repE0EEENS1_47radix_sort_onesweep_sort_config_static_selectorELNS0_4arch9wavefront6targetE0EEEvSG_,comdat
	.protected	_ZN7rocprim17ROCPRIM_400000_NS6detail17trampoline_kernelINS0_14default_configENS1_35radix_sort_onesweep_config_selectorIaNS0_10empty_typeEEEZZNS1_29radix_sort_onesweep_iterationIS3_Lb1EPKaPaPS5_SB_mNS0_19identity_decomposerENS1_16block_id_wrapperIjLb1EEEEE10hipError_tT1_PNSt15iterator_traitsISG_E10value_typeET2_T3_PNSH_ISM_E10value_typeET4_T5_PSR_SS_PNS1_23onesweep_lookback_stateEbbT6_jjT7_P12ihipStream_tbENKUlT_T0_SG_SL_E_clISA_SA_SB_SB_EEDaSZ_S10_SG_SL_EUlSZ_E_NS1_11comp_targetILNS1_3genE8ELNS1_11target_archE1030ELNS1_3gpuE2ELNS1_3repE0EEENS1_47radix_sort_onesweep_sort_config_static_selectorELNS0_4arch9wavefront6targetE0EEEvSG_ ; -- Begin function _ZN7rocprim17ROCPRIM_400000_NS6detail17trampoline_kernelINS0_14default_configENS1_35radix_sort_onesweep_config_selectorIaNS0_10empty_typeEEEZZNS1_29radix_sort_onesweep_iterationIS3_Lb1EPKaPaPS5_SB_mNS0_19identity_decomposerENS1_16block_id_wrapperIjLb1EEEEE10hipError_tT1_PNSt15iterator_traitsISG_E10value_typeET2_T3_PNSH_ISM_E10value_typeET4_T5_PSR_SS_PNS1_23onesweep_lookback_stateEbbT6_jjT7_P12ihipStream_tbENKUlT_T0_SG_SL_E_clISA_SA_SB_SB_EEDaSZ_S10_SG_SL_EUlSZ_E_NS1_11comp_targetILNS1_3genE8ELNS1_11target_archE1030ELNS1_3gpuE2ELNS1_3repE0EEENS1_47radix_sort_onesweep_sort_config_static_selectorELNS0_4arch9wavefront6targetE0EEEvSG_
	.globl	_ZN7rocprim17ROCPRIM_400000_NS6detail17trampoline_kernelINS0_14default_configENS1_35radix_sort_onesweep_config_selectorIaNS0_10empty_typeEEEZZNS1_29radix_sort_onesweep_iterationIS3_Lb1EPKaPaPS5_SB_mNS0_19identity_decomposerENS1_16block_id_wrapperIjLb1EEEEE10hipError_tT1_PNSt15iterator_traitsISG_E10value_typeET2_T3_PNSH_ISM_E10value_typeET4_T5_PSR_SS_PNS1_23onesweep_lookback_stateEbbT6_jjT7_P12ihipStream_tbENKUlT_T0_SG_SL_E_clISA_SA_SB_SB_EEDaSZ_S10_SG_SL_EUlSZ_E_NS1_11comp_targetILNS1_3genE8ELNS1_11target_archE1030ELNS1_3gpuE2ELNS1_3repE0EEENS1_47radix_sort_onesweep_sort_config_static_selectorELNS0_4arch9wavefront6targetE0EEEvSG_
	.p2align	8
	.type	_ZN7rocprim17ROCPRIM_400000_NS6detail17trampoline_kernelINS0_14default_configENS1_35radix_sort_onesweep_config_selectorIaNS0_10empty_typeEEEZZNS1_29radix_sort_onesweep_iterationIS3_Lb1EPKaPaPS5_SB_mNS0_19identity_decomposerENS1_16block_id_wrapperIjLb1EEEEE10hipError_tT1_PNSt15iterator_traitsISG_E10value_typeET2_T3_PNSH_ISM_E10value_typeET4_T5_PSR_SS_PNS1_23onesweep_lookback_stateEbbT6_jjT7_P12ihipStream_tbENKUlT_T0_SG_SL_E_clISA_SA_SB_SB_EEDaSZ_S10_SG_SL_EUlSZ_E_NS1_11comp_targetILNS1_3genE8ELNS1_11target_archE1030ELNS1_3gpuE2ELNS1_3repE0EEENS1_47radix_sort_onesweep_sort_config_static_selectorELNS0_4arch9wavefront6targetE0EEEvSG_,@function
_ZN7rocprim17ROCPRIM_400000_NS6detail17trampoline_kernelINS0_14default_configENS1_35radix_sort_onesweep_config_selectorIaNS0_10empty_typeEEEZZNS1_29radix_sort_onesweep_iterationIS3_Lb1EPKaPaPS5_SB_mNS0_19identity_decomposerENS1_16block_id_wrapperIjLb1EEEEE10hipError_tT1_PNSt15iterator_traitsISG_E10value_typeET2_T3_PNSH_ISM_E10value_typeET4_T5_PSR_SS_PNS1_23onesweep_lookback_stateEbbT6_jjT7_P12ihipStream_tbENKUlT_T0_SG_SL_E_clISA_SA_SB_SB_EEDaSZ_S10_SG_SL_EUlSZ_E_NS1_11comp_targetILNS1_3genE8ELNS1_11target_archE1030ELNS1_3gpuE2ELNS1_3repE0EEENS1_47radix_sort_onesweep_sort_config_static_selectorELNS0_4arch9wavefront6targetE0EEEvSG_: ; @_ZN7rocprim17ROCPRIM_400000_NS6detail17trampoline_kernelINS0_14default_configENS1_35radix_sort_onesweep_config_selectorIaNS0_10empty_typeEEEZZNS1_29radix_sort_onesweep_iterationIS3_Lb1EPKaPaPS5_SB_mNS0_19identity_decomposerENS1_16block_id_wrapperIjLb1EEEEE10hipError_tT1_PNSt15iterator_traitsISG_E10value_typeET2_T3_PNSH_ISM_E10value_typeET4_T5_PSR_SS_PNS1_23onesweep_lookback_stateEbbT6_jjT7_P12ihipStream_tbENKUlT_T0_SG_SL_E_clISA_SA_SB_SB_EEDaSZ_S10_SG_SL_EUlSZ_E_NS1_11comp_targetILNS1_3genE8ELNS1_11target_archE1030ELNS1_3gpuE2ELNS1_3repE0EEENS1_47radix_sort_onesweep_sort_config_static_selectorELNS0_4arch9wavefront6targetE0EEEvSG_
; %bb.0:
	.section	.rodata,"a",@progbits
	.p2align	6, 0x0
	.amdhsa_kernel _ZN7rocprim17ROCPRIM_400000_NS6detail17trampoline_kernelINS0_14default_configENS1_35radix_sort_onesweep_config_selectorIaNS0_10empty_typeEEEZZNS1_29radix_sort_onesweep_iterationIS3_Lb1EPKaPaPS5_SB_mNS0_19identity_decomposerENS1_16block_id_wrapperIjLb1EEEEE10hipError_tT1_PNSt15iterator_traitsISG_E10value_typeET2_T3_PNSH_ISM_E10value_typeET4_T5_PSR_SS_PNS1_23onesweep_lookback_stateEbbT6_jjT7_P12ihipStream_tbENKUlT_T0_SG_SL_E_clISA_SA_SB_SB_EEDaSZ_S10_SG_SL_EUlSZ_E_NS1_11comp_targetILNS1_3genE8ELNS1_11target_archE1030ELNS1_3gpuE2ELNS1_3repE0EEENS1_47radix_sort_onesweep_sort_config_static_selectorELNS0_4arch9wavefront6targetE0EEEvSG_
		.amdhsa_group_segment_fixed_size 0
		.amdhsa_private_segment_fixed_size 0
		.amdhsa_kernarg_size 88
		.amdhsa_user_sgpr_count 2
		.amdhsa_user_sgpr_dispatch_ptr 0
		.amdhsa_user_sgpr_queue_ptr 0
		.amdhsa_user_sgpr_kernarg_segment_ptr 1
		.amdhsa_user_sgpr_dispatch_id 0
		.amdhsa_user_sgpr_kernarg_preload_length 0
		.amdhsa_user_sgpr_kernarg_preload_offset 0
		.amdhsa_user_sgpr_private_segment_size 0
		.amdhsa_wavefront_size32 1
		.amdhsa_uses_dynamic_stack 0
		.amdhsa_enable_private_segment 0
		.amdhsa_system_sgpr_workgroup_id_x 1
		.amdhsa_system_sgpr_workgroup_id_y 0
		.amdhsa_system_sgpr_workgroup_id_z 0
		.amdhsa_system_sgpr_workgroup_info 0
		.amdhsa_system_vgpr_workitem_id 0
		.amdhsa_next_free_vgpr 1
		.amdhsa_next_free_sgpr 1
		.amdhsa_named_barrier_count 0
		.amdhsa_reserve_vcc 0
		.amdhsa_float_round_mode_32 0
		.amdhsa_float_round_mode_16_64 0
		.amdhsa_float_denorm_mode_32 3
		.amdhsa_float_denorm_mode_16_64 3
		.amdhsa_fp16_overflow 0
		.amdhsa_memory_ordered 1
		.amdhsa_forward_progress 1
		.amdhsa_inst_pref_size 0
		.amdhsa_round_robin_scheduling 0
		.amdhsa_exception_fp_ieee_invalid_op 0
		.amdhsa_exception_fp_denorm_src 0
		.amdhsa_exception_fp_ieee_div_zero 0
		.amdhsa_exception_fp_ieee_overflow 0
		.amdhsa_exception_fp_ieee_underflow 0
		.amdhsa_exception_fp_ieee_inexact 0
		.amdhsa_exception_int_div_zero 0
	.end_amdhsa_kernel
	.section	.text._ZN7rocprim17ROCPRIM_400000_NS6detail17trampoline_kernelINS0_14default_configENS1_35radix_sort_onesweep_config_selectorIaNS0_10empty_typeEEEZZNS1_29radix_sort_onesweep_iterationIS3_Lb1EPKaPaPS5_SB_mNS0_19identity_decomposerENS1_16block_id_wrapperIjLb1EEEEE10hipError_tT1_PNSt15iterator_traitsISG_E10value_typeET2_T3_PNSH_ISM_E10value_typeET4_T5_PSR_SS_PNS1_23onesweep_lookback_stateEbbT6_jjT7_P12ihipStream_tbENKUlT_T0_SG_SL_E_clISA_SA_SB_SB_EEDaSZ_S10_SG_SL_EUlSZ_E_NS1_11comp_targetILNS1_3genE8ELNS1_11target_archE1030ELNS1_3gpuE2ELNS1_3repE0EEENS1_47radix_sort_onesweep_sort_config_static_selectorELNS0_4arch9wavefront6targetE0EEEvSG_,"axG",@progbits,_ZN7rocprim17ROCPRIM_400000_NS6detail17trampoline_kernelINS0_14default_configENS1_35radix_sort_onesweep_config_selectorIaNS0_10empty_typeEEEZZNS1_29radix_sort_onesweep_iterationIS3_Lb1EPKaPaPS5_SB_mNS0_19identity_decomposerENS1_16block_id_wrapperIjLb1EEEEE10hipError_tT1_PNSt15iterator_traitsISG_E10value_typeET2_T3_PNSH_ISM_E10value_typeET4_T5_PSR_SS_PNS1_23onesweep_lookback_stateEbbT6_jjT7_P12ihipStream_tbENKUlT_T0_SG_SL_E_clISA_SA_SB_SB_EEDaSZ_S10_SG_SL_EUlSZ_E_NS1_11comp_targetILNS1_3genE8ELNS1_11target_archE1030ELNS1_3gpuE2ELNS1_3repE0EEENS1_47radix_sort_onesweep_sort_config_static_selectorELNS0_4arch9wavefront6targetE0EEEvSG_,comdat
.Lfunc_end372:
	.size	_ZN7rocprim17ROCPRIM_400000_NS6detail17trampoline_kernelINS0_14default_configENS1_35radix_sort_onesweep_config_selectorIaNS0_10empty_typeEEEZZNS1_29radix_sort_onesweep_iterationIS3_Lb1EPKaPaPS5_SB_mNS0_19identity_decomposerENS1_16block_id_wrapperIjLb1EEEEE10hipError_tT1_PNSt15iterator_traitsISG_E10value_typeET2_T3_PNSH_ISM_E10value_typeET4_T5_PSR_SS_PNS1_23onesweep_lookback_stateEbbT6_jjT7_P12ihipStream_tbENKUlT_T0_SG_SL_E_clISA_SA_SB_SB_EEDaSZ_S10_SG_SL_EUlSZ_E_NS1_11comp_targetILNS1_3genE8ELNS1_11target_archE1030ELNS1_3gpuE2ELNS1_3repE0EEENS1_47radix_sort_onesweep_sort_config_static_selectorELNS0_4arch9wavefront6targetE0EEEvSG_, .Lfunc_end372-_ZN7rocprim17ROCPRIM_400000_NS6detail17trampoline_kernelINS0_14default_configENS1_35radix_sort_onesweep_config_selectorIaNS0_10empty_typeEEEZZNS1_29radix_sort_onesweep_iterationIS3_Lb1EPKaPaPS5_SB_mNS0_19identity_decomposerENS1_16block_id_wrapperIjLb1EEEEE10hipError_tT1_PNSt15iterator_traitsISG_E10value_typeET2_T3_PNSH_ISM_E10value_typeET4_T5_PSR_SS_PNS1_23onesweep_lookback_stateEbbT6_jjT7_P12ihipStream_tbENKUlT_T0_SG_SL_E_clISA_SA_SB_SB_EEDaSZ_S10_SG_SL_EUlSZ_E_NS1_11comp_targetILNS1_3genE8ELNS1_11target_archE1030ELNS1_3gpuE2ELNS1_3repE0EEENS1_47radix_sort_onesweep_sort_config_static_selectorELNS0_4arch9wavefront6targetE0EEEvSG_
                                        ; -- End function
	.set _ZN7rocprim17ROCPRIM_400000_NS6detail17trampoline_kernelINS0_14default_configENS1_35radix_sort_onesweep_config_selectorIaNS0_10empty_typeEEEZZNS1_29radix_sort_onesweep_iterationIS3_Lb1EPKaPaPS5_SB_mNS0_19identity_decomposerENS1_16block_id_wrapperIjLb1EEEEE10hipError_tT1_PNSt15iterator_traitsISG_E10value_typeET2_T3_PNSH_ISM_E10value_typeET4_T5_PSR_SS_PNS1_23onesweep_lookback_stateEbbT6_jjT7_P12ihipStream_tbENKUlT_T0_SG_SL_E_clISA_SA_SB_SB_EEDaSZ_S10_SG_SL_EUlSZ_E_NS1_11comp_targetILNS1_3genE8ELNS1_11target_archE1030ELNS1_3gpuE2ELNS1_3repE0EEENS1_47radix_sort_onesweep_sort_config_static_selectorELNS0_4arch9wavefront6targetE0EEEvSG_.num_vgpr, 0
	.set _ZN7rocprim17ROCPRIM_400000_NS6detail17trampoline_kernelINS0_14default_configENS1_35radix_sort_onesweep_config_selectorIaNS0_10empty_typeEEEZZNS1_29radix_sort_onesweep_iterationIS3_Lb1EPKaPaPS5_SB_mNS0_19identity_decomposerENS1_16block_id_wrapperIjLb1EEEEE10hipError_tT1_PNSt15iterator_traitsISG_E10value_typeET2_T3_PNSH_ISM_E10value_typeET4_T5_PSR_SS_PNS1_23onesweep_lookback_stateEbbT6_jjT7_P12ihipStream_tbENKUlT_T0_SG_SL_E_clISA_SA_SB_SB_EEDaSZ_S10_SG_SL_EUlSZ_E_NS1_11comp_targetILNS1_3genE8ELNS1_11target_archE1030ELNS1_3gpuE2ELNS1_3repE0EEENS1_47radix_sort_onesweep_sort_config_static_selectorELNS0_4arch9wavefront6targetE0EEEvSG_.num_agpr, 0
	.set _ZN7rocprim17ROCPRIM_400000_NS6detail17trampoline_kernelINS0_14default_configENS1_35radix_sort_onesweep_config_selectorIaNS0_10empty_typeEEEZZNS1_29radix_sort_onesweep_iterationIS3_Lb1EPKaPaPS5_SB_mNS0_19identity_decomposerENS1_16block_id_wrapperIjLb1EEEEE10hipError_tT1_PNSt15iterator_traitsISG_E10value_typeET2_T3_PNSH_ISM_E10value_typeET4_T5_PSR_SS_PNS1_23onesweep_lookback_stateEbbT6_jjT7_P12ihipStream_tbENKUlT_T0_SG_SL_E_clISA_SA_SB_SB_EEDaSZ_S10_SG_SL_EUlSZ_E_NS1_11comp_targetILNS1_3genE8ELNS1_11target_archE1030ELNS1_3gpuE2ELNS1_3repE0EEENS1_47radix_sort_onesweep_sort_config_static_selectorELNS0_4arch9wavefront6targetE0EEEvSG_.numbered_sgpr, 0
	.set _ZN7rocprim17ROCPRIM_400000_NS6detail17trampoline_kernelINS0_14default_configENS1_35radix_sort_onesweep_config_selectorIaNS0_10empty_typeEEEZZNS1_29radix_sort_onesweep_iterationIS3_Lb1EPKaPaPS5_SB_mNS0_19identity_decomposerENS1_16block_id_wrapperIjLb1EEEEE10hipError_tT1_PNSt15iterator_traitsISG_E10value_typeET2_T3_PNSH_ISM_E10value_typeET4_T5_PSR_SS_PNS1_23onesweep_lookback_stateEbbT6_jjT7_P12ihipStream_tbENKUlT_T0_SG_SL_E_clISA_SA_SB_SB_EEDaSZ_S10_SG_SL_EUlSZ_E_NS1_11comp_targetILNS1_3genE8ELNS1_11target_archE1030ELNS1_3gpuE2ELNS1_3repE0EEENS1_47radix_sort_onesweep_sort_config_static_selectorELNS0_4arch9wavefront6targetE0EEEvSG_.num_named_barrier, 0
	.set _ZN7rocprim17ROCPRIM_400000_NS6detail17trampoline_kernelINS0_14default_configENS1_35radix_sort_onesweep_config_selectorIaNS0_10empty_typeEEEZZNS1_29radix_sort_onesweep_iterationIS3_Lb1EPKaPaPS5_SB_mNS0_19identity_decomposerENS1_16block_id_wrapperIjLb1EEEEE10hipError_tT1_PNSt15iterator_traitsISG_E10value_typeET2_T3_PNSH_ISM_E10value_typeET4_T5_PSR_SS_PNS1_23onesweep_lookback_stateEbbT6_jjT7_P12ihipStream_tbENKUlT_T0_SG_SL_E_clISA_SA_SB_SB_EEDaSZ_S10_SG_SL_EUlSZ_E_NS1_11comp_targetILNS1_3genE8ELNS1_11target_archE1030ELNS1_3gpuE2ELNS1_3repE0EEENS1_47radix_sort_onesweep_sort_config_static_selectorELNS0_4arch9wavefront6targetE0EEEvSG_.private_seg_size, 0
	.set _ZN7rocprim17ROCPRIM_400000_NS6detail17trampoline_kernelINS0_14default_configENS1_35radix_sort_onesweep_config_selectorIaNS0_10empty_typeEEEZZNS1_29radix_sort_onesweep_iterationIS3_Lb1EPKaPaPS5_SB_mNS0_19identity_decomposerENS1_16block_id_wrapperIjLb1EEEEE10hipError_tT1_PNSt15iterator_traitsISG_E10value_typeET2_T3_PNSH_ISM_E10value_typeET4_T5_PSR_SS_PNS1_23onesweep_lookback_stateEbbT6_jjT7_P12ihipStream_tbENKUlT_T0_SG_SL_E_clISA_SA_SB_SB_EEDaSZ_S10_SG_SL_EUlSZ_E_NS1_11comp_targetILNS1_3genE8ELNS1_11target_archE1030ELNS1_3gpuE2ELNS1_3repE0EEENS1_47radix_sort_onesweep_sort_config_static_selectorELNS0_4arch9wavefront6targetE0EEEvSG_.uses_vcc, 0
	.set _ZN7rocprim17ROCPRIM_400000_NS6detail17trampoline_kernelINS0_14default_configENS1_35radix_sort_onesweep_config_selectorIaNS0_10empty_typeEEEZZNS1_29radix_sort_onesweep_iterationIS3_Lb1EPKaPaPS5_SB_mNS0_19identity_decomposerENS1_16block_id_wrapperIjLb1EEEEE10hipError_tT1_PNSt15iterator_traitsISG_E10value_typeET2_T3_PNSH_ISM_E10value_typeET4_T5_PSR_SS_PNS1_23onesweep_lookback_stateEbbT6_jjT7_P12ihipStream_tbENKUlT_T0_SG_SL_E_clISA_SA_SB_SB_EEDaSZ_S10_SG_SL_EUlSZ_E_NS1_11comp_targetILNS1_3genE8ELNS1_11target_archE1030ELNS1_3gpuE2ELNS1_3repE0EEENS1_47radix_sort_onesweep_sort_config_static_selectorELNS0_4arch9wavefront6targetE0EEEvSG_.uses_flat_scratch, 0
	.set _ZN7rocprim17ROCPRIM_400000_NS6detail17trampoline_kernelINS0_14default_configENS1_35radix_sort_onesweep_config_selectorIaNS0_10empty_typeEEEZZNS1_29radix_sort_onesweep_iterationIS3_Lb1EPKaPaPS5_SB_mNS0_19identity_decomposerENS1_16block_id_wrapperIjLb1EEEEE10hipError_tT1_PNSt15iterator_traitsISG_E10value_typeET2_T3_PNSH_ISM_E10value_typeET4_T5_PSR_SS_PNS1_23onesweep_lookback_stateEbbT6_jjT7_P12ihipStream_tbENKUlT_T0_SG_SL_E_clISA_SA_SB_SB_EEDaSZ_S10_SG_SL_EUlSZ_E_NS1_11comp_targetILNS1_3genE8ELNS1_11target_archE1030ELNS1_3gpuE2ELNS1_3repE0EEENS1_47radix_sort_onesweep_sort_config_static_selectorELNS0_4arch9wavefront6targetE0EEEvSG_.has_dyn_sized_stack, 0
	.set _ZN7rocprim17ROCPRIM_400000_NS6detail17trampoline_kernelINS0_14default_configENS1_35radix_sort_onesweep_config_selectorIaNS0_10empty_typeEEEZZNS1_29radix_sort_onesweep_iterationIS3_Lb1EPKaPaPS5_SB_mNS0_19identity_decomposerENS1_16block_id_wrapperIjLb1EEEEE10hipError_tT1_PNSt15iterator_traitsISG_E10value_typeET2_T3_PNSH_ISM_E10value_typeET4_T5_PSR_SS_PNS1_23onesweep_lookback_stateEbbT6_jjT7_P12ihipStream_tbENKUlT_T0_SG_SL_E_clISA_SA_SB_SB_EEDaSZ_S10_SG_SL_EUlSZ_E_NS1_11comp_targetILNS1_3genE8ELNS1_11target_archE1030ELNS1_3gpuE2ELNS1_3repE0EEENS1_47radix_sort_onesweep_sort_config_static_selectorELNS0_4arch9wavefront6targetE0EEEvSG_.has_recursion, 0
	.set _ZN7rocprim17ROCPRIM_400000_NS6detail17trampoline_kernelINS0_14default_configENS1_35radix_sort_onesweep_config_selectorIaNS0_10empty_typeEEEZZNS1_29radix_sort_onesweep_iterationIS3_Lb1EPKaPaPS5_SB_mNS0_19identity_decomposerENS1_16block_id_wrapperIjLb1EEEEE10hipError_tT1_PNSt15iterator_traitsISG_E10value_typeET2_T3_PNSH_ISM_E10value_typeET4_T5_PSR_SS_PNS1_23onesweep_lookback_stateEbbT6_jjT7_P12ihipStream_tbENKUlT_T0_SG_SL_E_clISA_SA_SB_SB_EEDaSZ_S10_SG_SL_EUlSZ_E_NS1_11comp_targetILNS1_3genE8ELNS1_11target_archE1030ELNS1_3gpuE2ELNS1_3repE0EEENS1_47radix_sort_onesweep_sort_config_static_selectorELNS0_4arch9wavefront6targetE0EEEvSG_.has_indirect_call, 0
	.section	.AMDGPU.csdata,"",@progbits
; Kernel info:
; codeLenInByte = 0
; TotalNumSgprs: 0
; NumVgprs: 0
; ScratchSize: 0
; MemoryBound: 0
; FloatMode: 240
; IeeeMode: 1
; LDSByteSize: 0 bytes/workgroup (compile time only)
; SGPRBlocks: 0
; VGPRBlocks: 0
; NumSGPRsForWavesPerEU: 1
; NumVGPRsForWavesPerEU: 1
; NamedBarCnt: 0
; Occupancy: 16
; WaveLimiterHint : 0
; COMPUTE_PGM_RSRC2:SCRATCH_EN: 0
; COMPUTE_PGM_RSRC2:USER_SGPR: 2
; COMPUTE_PGM_RSRC2:TRAP_HANDLER: 0
; COMPUTE_PGM_RSRC2:TGID_X_EN: 1
; COMPUTE_PGM_RSRC2:TGID_Y_EN: 0
; COMPUTE_PGM_RSRC2:TGID_Z_EN: 0
; COMPUTE_PGM_RSRC2:TIDIG_COMP_CNT: 0
	.section	.text._ZN7rocprim17ROCPRIM_400000_NS6detail17trampoline_kernelINS0_14default_configENS1_35radix_sort_onesweep_config_selectorIaNS0_10empty_typeEEEZZNS1_29radix_sort_onesweep_iterationIS3_Lb1EPKaPaPS5_SB_mNS0_19identity_decomposerENS1_16block_id_wrapperIjLb0EEEEE10hipError_tT1_PNSt15iterator_traitsISG_E10value_typeET2_T3_PNSH_ISM_E10value_typeET4_T5_PSR_SS_PNS1_23onesweep_lookback_stateEbbT6_jjT7_P12ihipStream_tbENKUlT_T0_SG_SL_E_clIS9_SA_SB_SB_EEDaSZ_S10_SG_SL_EUlSZ_E_NS1_11comp_targetILNS1_3genE0ELNS1_11target_archE4294967295ELNS1_3gpuE0ELNS1_3repE0EEENS1_47radix_sort_onesweep_sort_config_static_selectorELNS0_4arch9wavefront6targetE0EEEvSG_,"axG",@progbits,_ZN7rocprim17ROCPRIM_400000_NS6detail17trampoline_kernelINS0_14default_configENS1_35radix_sort_onesweep_config_selectorIaNS0_10empty_typeEEEZZNS1_29radix_sort_onesweep_iterationIS3_Lb1EPKaPaPS5_SB_mNS0_19identity_decomposerENS1_16block_id_wrapperIjLb0EEEEE10hipError_tT1_PNSt15iterator_traitsISG_E10value_typeET2_T3_PNSH_ISM_E10value_typeET4_T5_PSR_SS_PNS1_23onesweep_lookback_stateEbbT6_jjT7_P12ihipStream_tbENKUlT_T0_SG_SL_E_clIS9_SA_SB_SB_EEDaSZ_S10_SG_SL_EUlSZ_E_NS1_11comp_targetILNS1_3genE0ELNS1_11target_archE4294967295ELNS1_3gpuE0ELNS1_3repE0EEENS1_47radix_sort_onesweep_sort_config_static_selectorELNS0_4arch9wavefront6targetE0EEEvSG_,comdat
	.protected	_ZN7rocprim17ROCPRIM_400000_NS6detail17trampoline_kernelINS0_14default_configENS1_35radix_sort_onesweep_config_selectorIaNS0_10empty_typeEEEZZNS1_29radix_sort_onesweep_iterationIS3_Lb1EPKaPaPS5_SB_mNS0_19identity_decomposerENS1_16block_id_wrapperIjLb0EEEEE10hipError_tT1_PNSt15iterator_traitsISG_E10value_typeET2_T3_PNSH_ISM_E10value_typeET4_T5_PSR_SS_PNS1_23onesweep_lookback_stateEbbT6_jjT7_P12ihipStream_tbENKUlT_T0_SG_SL_E_clIS9_SA_SB_SB_EEDaSZ_S10_SG_SL_EUlSZ_E_NS1_11comp_targetILNS1_3genE0ELNS1_11target_archE4294967295ELNS1_3gpuE0ELNS1_3repE0EEENS1_47radix_sort_onesweep_sort_config_static_selectorELNS0_4arch9wavefront6targetE0EEEvSG_ ; -- Begin function _ZN7rocprim17ROCPRIM_400000_NS6detail17trampoline_kernelINS0_14default_configENS1_35radix_sort_onesweep_config_selectorIaNS0_10empty_typeEEEZZNS1_29radix_sort_onesweep_iterationIS3_Lb1EPKaPaPS5_SB_mNS0_19identity_decomposerENS1_16block_id_wrapperIjLb0EEEEE10hipError_tT1_PNSt15iterator_traitsISG_E10value_typeET2_T3_PNSH_ISM_E10value_typeET4_T5_PSR_SS_PNS1_23onesweep_lookback_stateEbbT6_jjT7_P12ihipStream_tbENKUlT_T0_SG_SL_E_clIS9_SA_SB_SB_EEDaSZ_S10_SG_SL_EUlSZ_E_NS1_11comp_targetILNS1_3genE0ELNS1_11target_archE4294967295ELNS1_3gpuE0ELNS1_3repE0EEENS1_47radix_sort_onesweep_sort_config_static_selectorELNS0_4arch9wavefront6targetE0EEEvSG_
	.globl	_ZN7rocprim17ROCPRIM_400000_NS6detail17trampoline_kernelINS0_14default_configENS1_35radix_sort_onesweep_config_selectorIaNS0_10empty_typeEEEZZNS1_29radix_sort_onesweep_iterationIS3_Lb1EPKaPaPS5_SB_mNS0_19identity_decomposerENS1_16block_id_wrapperIjLb0EEEEE10hipError_tT1_PNSt15iterator_traitsISG_E10value_typeET2_T3_PNSH_ISM_E10value_typeET4_T5_PSR_SS_PNS1_23onesweep_lookback_stateEbbT6_jjT7_P12ihipStream_tbENKUlT_T0_SG_SL_E_clIS9_SA_SB_SB_EEDaSZ_S10_SG_SL_EUlSZ_E_NS1_11comp_targetILNS1_3genE0ELNS1_11target_archE4294967295ELNS1_3gpuE0ELNS1_3repE0EEENS1_47radix_sort_onesweep_sort_config_static_selectorELNS0_4arch9wavefront6targetE0EEEvSG_
	.p2align	8
	.type	_ZN7rocprim17ROCPRIM_400000_NS6detail17trampoline_kernelINS0_14default_configENS1_35radix_sort_onesweep_config_selectorIaNS0_10empty_typeEEEZZNS1_29radix_sort_onesweep_iterationIS3_Lb1EPKaPaPS5_SB_mNS0_19identity_decomposerENS1_16block_id_wrapperIjLb0EEEEE10hipError_tT1_PNSt15iterator_traitsISG_E10value_typeET2_T3_PNSH_ISM_E10value_typeET4_T5_PSR_SS_PNS1_23onesweep_lookback_stateEbbT6_jjT7_P12ihipStream_tbENKUlT_T0_SG_SL_E_clIS9_SA_SB_SB_EEDaSZ_S10_SG_SL_EUlSZ_E_NS1_11comp_targetILNS1_3genE0ELNS1_11target_archE4294967295ELNS1_3gpuE0ELNS1_3repE0EEENS1_47radix_sort_onesweep_sort_config_static_selectorELNS0_4arch9wavefront6targetE0EEEvSG_,@function
_ZN7rocprim17ROCPRIM_400000_NS6detail17trampoline_kernelINS0_14default_configENS1_35radix_sort_onesweep_config_selectorIaNS0_10empty_typeEEEZZNS1_29radix_sort_onesweep_iterationIS3_Lb1EPKaPaPS5_SB_mNS0_19identity_decomposerENS1_16block_id_wrapperIjLb0EEEEE10hipError_tT1_PNSt15iterator_traitsISG_E10value_typeET2_T3_PNSH_ISM_E10value_typeET4_T5_PSR_SS_PNS1_23onesweep_lookback_stateEbbT6_jjT7_P12ihipStream_tbENKUlT_T0_SG_SL_E_clIS9_SA_SB_SB_EEDaSZ_S10_SG_SL_EUlSZ_E_NS1_11comp_targetILNS1_3genE0ELNS1_11target_archE4294967295ELNS1_3gpuE0ELNS1_3repE0EEENS1_47radix_sort_onesweep_sort_config_static_selectorELNS0_4arch9wavefront6targetE0EEEvSG_: ; @_ZN7rocprim17ROCPRIM_400000_NS6detail17trampoline_kernelINS0_14default_configENS1_35radix_sort_onesweep_config_selectorIaNS0_10empty_typeEEEZZNS1_29radix_sort_onesweep_iterationIS3_Lb1EPKaPaPS5_SB_mNS0_19identity_decomposerENS1_16block_id_wrapperIjLb0EEEEE10hipError_tT1_PNSt15iterator_traitsISG_E10value_typeET2_T3_PNSH_ISM_E10value_typeET4_T5_PSR_SS_PNS1_23onesweep_lookback_stateEbbT6_jjT7_P12ihipStream_tbENKUlT_T0_SG_SL_E_clIS9_SA_SB_SB_EEDaSZ_S10_SG_SL_EUlSZ_E_NS1_11comp_targetILNS1_3genE0ELNS1_11target_archE4294967295ELNS1_3gpuE0ELNS1_3repE0EEENS1_47radix_sort_onesweep_sort_config_static_selectorELNS0_4arch9wavefront6targetE0EEEvSG_
; %bb.0:
	s_clause 0x3
	s_load_b96 s[16:18], s[0:1], 0x44
	s_load_b64 s[20:21], s[0:1], 0x38
	s_load_b128 s[12:15], s[0:1], 0x0
	s_load_b128 s[8:11], s[0:1], 0x28
	s_bfe_u32 s2, ttmp6, 0x4000c
	s_and_b32 s3, ttmp6, 15
	s_add_co_i32 s2, s2, 1
	s_getreg_b32 s4, hwreg(HW_REG_IB_STS2, 6, 4)
	s_mul_i32 s2, ttmp9, s2
	v_mul_u32_u24_e32 v6, 22, v0
	s_add_co_i32 s3, s3, s2
	s_cmp_eq_u32 s4, 0
	s_mov_b32 s23, 0
	s_cselect_b32 s19, ttmp9, s3
	s_mov_b32 s2, -1
	s_mul_i32 s22, s19, 0x5800
	s_wait_kmcnt 0x0
	s_cmp_ge_u32 s19, s18
	s_cbranch_scc0 .LBB373_112
; %bb.1:
	s_load_b32 s4, s[0:1], 0x20
	v_dual_mov_b32 v7, 0 :: v_dual_mov_b32 v24, 0x80
	s_add_nc_u64 s[2:3], s[12:13], s[22:23]
	v_dual_mov_b32 v1, 0x80 :: v_dual_mov_b32 v22, 0x80
	s_delay_alu instid0(VALU_DEP_2)
	v_add_nc_u64_e32 v[2:3], s[2:3], v[6:7]
	v_dual_mov_b32 v25, 0x80 :: v_dual_mov_b32 v20, 0x80
	v_dual_mov_b32 v23, 0x80 :: v_dual_mov_b32 v18, 0x80
	;; [unrolled: 1-line block ×8, first 2 shown]
	v_mov_b32_e32 v9, 0x80
	v_mov_b32_e32 v7, 0x80
	;; [unrolled: 1-line block ×3, first 2 shown]
	s_mul_i32 s5, s18, 0xffffa800
	s_mov_b32 s2, exec_lo
	s_wait_kmcnt 0x0
	s_add_co_i32 s18, s4, s5
	s_delay_alu instid0(SALU_CYCLE_1)
	v_cmpx_gt_u32_e64 s18, v6
	s_cbranch_execz .LBB373_3
; %bb.2:
	global_load_u8 v25, v[2:3], off
	v_dual_mov_b32 v1, 0x80 :: v_dual_mov_b32 v24, 0x80
	v_dual_mov_b32 v23, 0x80 :: v_dual_mov_b32 v22, 0x80
	;; [unrolled: 1-line block ×10, first 2 shown]
	v_mov_b32_e32 v5, 0x80
.LBB373_3:
	s_wait_xcnt 0x0
	s_or_b32 exec_lo, exec_lo, s2
	v_or_b32_e32 v26, 1, v6
	s_mov_b32 s2, exec_lo
	s_delay_alu instid0(VALU_DEP_1)
	v_cmpx_gt_u32_e64 s18, v26
	s_cbranch_execz .LBB373_5
; %bb.4:
	global_load_u8 v24, v[2:3], off offset:1
.LBB373_5:
	s_wait_xcnt 0x0
	s_or_b32 exec_lo, exec_lo, s2
	v_add_nc_u32_e32 v26, 2, v6
	s_mov_b32 s2, exec_lo
	s_delay_alu instid0(VALU_DEP_1)
	v_cmpx_gt_u32_e64 s18, v26
	s_cbranch_execz .LBB373_7
; %bb.6:
	global_load_u8 v23, v[2:3], off offset:2
.LBB373_7:
	s_wait_xcnt 0x0
	s_or_b32 exec_lo, exec_lo, s2
	v_add_nc_u32_e32 v26, 3, v6
	;; [unrolled: 10-line block ×20, first 2 shown]
	s_mov_b32 s2, exec_lo
	s_delay_alu instid0(VALU_DEP_1)
	v_cmpx_gt_u32_e64 s18, v26
	s_cbranch_execz .LBB373_45
; %bb.44:
	global_load_u8 v1, v[2:3], off offset:21
.LBB373_45:
	s_wait_xcnt 0x0
	s_or_b32 exec_lo, exec_lo, s2
	s_wait_loadcnt 0x0
	v_xor_b32_e32 v25, 0x7f, v25
	s_lshl_b32 s23, -1, s17
	v_xor_b32_e32 v24, 0x7f, v24
	v_xor_b32_e32 v23, 0x7f, v23
	v_xor_b32_e32 v22, 0x7f, v22
	v_and_b32_e32 v2, 0xff, v25
	v_xor_b32_e32 v21, 0x7f, v21
	v_and_b32_e32 v28, 0xff, v24
	v_xor_b32_e32 v20, 0x7f, v20
	v_and_b32_e32 v30, 0xff, v22
	v_dual_lshrrev_b32 v2, s16, v2 :: v_dual_lshlrev_b32 v26, 2, v0
	v_xor_b32_e32 v19, 0x7f, v19
	v_xor_b32_e32 v18, 0x7f, v18
	;; [unrolled: 1-line block ×3, first 2 shown]
	s_delay_alu instid0(VALU_DEP_4)
	v_bitop3_b32 v2, v2, s23, v2 bitop3:0x30
	v_xor_b32_e32 v16, 0x7f, v16
	v_xor_b32_e32 v15, 0x7f, v15
	;; [unrolled: 1-line block ×4, first 2 shown]
	v_dual_lshlrev_b32 v3, 10, v2 :: v_dual_lshrrev_b32 v2, 2, v2
	v_mov_b32_e32 v27, 0
	v_xor_b32_e32 v12, 0x7f, v12
	v_xor_b32_e32 v11, 0x7f, v11
	s_delay_alu instid0(VALU_DEP_4)
	v_and_or_b32 v3, 0x1c00, v3, v0
	v_and_b32_e32 v2, 62, v2
	ds_store_2addr_stride64_b32 v26, v27, v27 offset1:16
	ds_store_2addr_stride64_b32 v26, v27, v27 offset0:32 offset1:48
	ds_store_2addr_stride64_b32 v26, v27, v27 offset0:64 offset1:80
	;; [unrolled: 1-line block ×3, first 2 shown]
	v_xor_b32_e32 v10, 0x7f, v10
	v_xor_b32_e32 v9, 0x7f, v9
	v_lshl_add_u32 v2, v3, 2, v2
	v_lshrrev_b32_e32 v3, s16, v28
	v_and_b32_e32 v28, 0xff, v23
	v_xor_b32_e32 v8, 0x7f, v8
	v_xor_b32_e32 v7, 0x7f, v7
	ds_load_u16 v26, v2
	s_mov_b32 s7, exec_lo
	v_lshrrev_b32_e32 v28, s16, v28
	v_bitop3_b32 v3, v3, s23, v3 bitop3:0x30
	s_delay_alu instid0(VALU_DEP_2) | instskip(NEXT) | instid1(VALU_DEP_2)
	v_bitop3_b32 v28, v28, s23, v28 bitop3:0x30
	v_dual_lshlrev_b32 v27, 10, v3 :: v_dual_lshrrev_b32 v3, 2, v3
	s_delay_alu instid0(VALU_DEP_1) | instskip(NEXT) | instid1(VALU_DEP_2)
	v_and_or_b32 v27, 0x1c00, v27, v0
	v_and_b32_e32 v3, 62, v3
	s_wait_dscnt 0x0
	v_add_nc_u16 v29, v26, 1
	ds_store_b16 v2, v29
	v_lshlrev_b32_e32 v29, 10, v28
	v_lshl_add_u32 v3, v27, 2, v3
	v_lshrrev_b32_e32 v28, 2, v28
	s_delay_alu instid0(VALU_DEP_3) | instskip(SKIP_2) | instid1(VALU_DEP_1)
	v_and_or_b32 v29, 0x1c00, v29, v0
	ds_load_u16 v27, v3
	v_and_b32_e32 v28, 62, v28
	v_lshl_add_u32 v34, v29, 2, v28
	v_lshrrev_b32_e32 v29, s16, v30
	s_delay_alu instid0(VALU_DEP_1) | instskip(NEXT) | instid1(VALU_DEP_1)
	v_bitop3_b32 v29, v29, s23, v29 bitop3:0x30
	v_lshlrev_b32_e32 v30, 10, v29
	s_wait_dscnt 0x0
	v_add_nc_u16 v31, v27, 1
	s_delay_alu instid0(VALU_DEP_2) | instskip(SKIP_4) | instid1(VALU_DEP_1)
	v_and_or_b32 v30, 0x1c00, v30, v0
	ds_store_b16 v3, v31
	ds_load_u16 v28, v34
	v_and_b32_e32 v31, 0xff, v21
	v_lshrrev_b32_e32 v29, 2, v29
	v_and_b32_e32 v29, 62, v29
	s_delay_alu instid0(VALU_DEP_1) | instskip(NEXT) | instid1(VALU_DEP_4)
	v_lshl_add_u32 v36, v30, 2, v29
	v_lshrrev_b32_e32 v30, s16, v31
	s_delay_alu instid0(VALU_DEP_1) | instskip(SKIP_2) | instid1(VALU_DEP_2)
	v_bitop3_b32 v30, v30, s23, v30 bitop3:0x30
	s_wait_dscnt 0x0
	v_add_nc_u16 v32, v28, 1
	v_lshlrev_b32_e32 v31, 10, v30
	ds_store_b16 v34, v32
	ds_load_u16 v29, v36
	v_and_b32_e32 v32, 0xff, v20
	v_lshrrev_b32_e32 v30, 2, v30
	v_and_or_b32 v31, 0x1c00, v31, v0
	s_delay_alu instid0(VALU_DEP_2) | instskip(NEXT) | instid1(VALU_DEP_1)
	v_and_b32_e32 v30, 62, v30
	v_lshl_add_u32 v38, v31, 2, v30
	v_lshrrev_b32_e32 v31, s16, v32
	s_delay_alu instid0(VALU_DEP_1) | instskip(SKIP_2) | instid1(VALU_DEP_2)
	v_bitop3_b32 v31, v31, s23, v31 bitop3:0x30
	s_wait_dscnt 0x0
	v_add_nc_u16 v33, v29, 1
	v_lshlrev_b32_e32 v32, 10, v31
	ds_store_b16 v36, v33
	ds_load_u16 v30, v38
	v_and_b32_e32 v33, 0xff, v19
	v_lshrrev_b32_e32 v31, 2, v31
	v_and_or_b32 v32, 0x1c00, v32, v0
	s_delay_alu instid0(VALU_DEP_2) | instskip(NEXT) | instid1(VALU_DEP_1)
	v_and_b32_e32 v31, 62, v31
	;; [unrolled: 14-line block ×3, first 2 shown]
	v_lshl_add_u32 v42, v33, 2, v32
	v_lshrrev_b32_e32 v33, s16, v35
	s_delay_alu instid0(VALU_DEP_1) | instskip(SKIP_2) | instid1(VALU_DEP_2)
	v_bitop3_b32 v33, v33, s23, v33 bitop3:0x30
	s_wait_dscnt 0x0
	v_add_nc_u16 v37, v31, 1
	v_dual_lshlrev_b32 v35, 10, v33 :: v_dual_lshrrev_b32 v33, 2, v33
	ds_store_b16 v40, v37
	ds_load_u16 v32, v42
	v_and_b32_e32 v37, 0xff, v17
	v_and_or_b32 v35, 0x1c00, v35, v0
	v_and_b32_e32 v33, 62, v33
	s_delay_alu instid0(VALU_DEP_1)
	v_lshl_add_u32 v45, v35, 2, v33
	s_wait_dscnt 0x0
	v_add_nc_u16 v39, v32, 1
	ds_store_b16 v42, v39
	ds_load_u16 v33, v45
	v_and_b32_e32 v39, 0xff, v16
	v_lshrrev_b32_e32 v35, s16, v37
	s_delay_alu instid0(VALU_DEP_1) | instskip(NEXT) | instid1(VALU_DEP_1)
	v_bitop3_b32 v35, v35, s23, v35 bitop3:0x30
	v_dual_lshlrev_b32 v37, 10, v35 :: v_dual_lshrrev_b32 v35, 2, v35
	s_delay_alu instid0(VALU_DEP_1) | instskip(NEXT) | instid1(VALU_DEP_2)
	v_and_or_b32 v37, 0x1c00, v37, v0
	v_and_b32_e32 v35, 62, v35
	s_wait_dscnt 0x0
	v_add_nc_u16 v41, v33, 1
	s_delay_alu instid0(VALU_DEP_2)
	v_lshl_add_u32 v48, v37, 2, v35
	v_lshrrev_b32_e32 v37, s16, v39
	ds_store_b16 v45, v41
	v_and_b32_e32 v41, 0xff, v15
	ds_load_u16 v35, v48
	v_bitop3_b32 v37, v37, s23, v37 bitop3:0x30
	s_delay_alu instid0(VALU_DEP_1) | instskip(NEXT) | instid1(VALU_DEP_1)
	v_dual_lshlrev_b32 v39, 10, v37 :: v_dual_lshrrev_b32 v37, 2, v37
	v_and_or_b32 v39, 0x1c00, v39, v0
	s_delay_alu instid0(VALU_DEP_2) | instskip(NEXT) | instid1(VALU_DEP_1)
	v_and_b32_e32 v37, 62, v37
	v_lshl_add_u32 v51, v39, 2, v37
	s_wait_dscnt 0x0
	v_add_nc_u16 v43, v35, 1
	ds_store_b16 v48, v43
	ds_load_u16 v37, v51
	v_and_b32_e32 v43, 0xff, v14
	v_lshrrev_b32_e32 v39, s16, v41
	s_delay_alu instid0(VALU_DEP_1) | instskip(NEXT) | instid1(VALU_DEP_1)
	v_bitop3_b32 v39, v39, s23, v39 bitop3:0x30
	v_dual_lshlrev_b32 v41, 10, v39 :: v_dual_lshrrev_b32 v39, 2, v39
	s_delay_alu instid0(VALU_DEP_1) | instskip(NEXT) | instid1(VALU_DEP_2)
	v_and_or_b32 v41, 0x1c00, v41, v0
	v_and_b32_e32 v39, 62, v39
	s_wait_dscnt 0x0
	v_add_nc_u16 v44, v37, 1
	s_delay_alu instid0(VALU_DEP_2)
	v_lshl_add_u32 v53, v41, 2, v39
	v_lshrrev_b32_e32 v41, s16, v43
	ds_store_b16 v51, v44
	v_and_b32_e32 v44, 0xff, v13
	ds_load_u16 v39, v53
	v_bitop3_b32 v41, v41, s23, v41 bitop3:0x30
	s_delay_alu instid0(VALU_DEP_1) | instskip(NEXT) | instid1(VALU_DEP_1)
	v_dual_lshlrev_b32 v43, 10, v41 :: v_dual_lshrrev_b32 v41, 2, v41
	v_and_or_b32 v43, 0x1c00, v43, v0
	s_delay_alu instid0(VALU_DEP_2) | instskip(NEXT) | instid1(VALU_DEP_1)
	v_and_b32_e32 v41, 62, v41
	v_lshl_add_u32 v55, v43, 2, v41
	v_lshrrev_b32_e32 v43, s16, v44
	s_wait_dscnt 0x0
	v_add_nc_u16 v46, v39, 1
	s_delay_alu instid0(VALU_DEP_2) | instskip(SKIP_4) | instid1(VALU_DEP_1)
	v_bitop3_b32 v43, v43, s23, v43 bitop3:0x30
	ds_store_b16 v53, v46
	ds_load_u16 v41, v55
	v_and_b32_e32 v46, 0xff, v12
	v_dual_lshlrev_b32 v44, 10, v43 :: v_dual_lshrrev_b32 v43, 2, v43
	v_and_or_b32 v44, 0x1c00, v44, v0
	s_delay_alu instid0(VALU_DEP_2) | instskip(NEXT) | instid1(VALU_DEP_1)
	v_and_b32_e32 v43, 62, v43
	v_lshl_add_u32 v57, v44, 2, v43
	v_lshrrev_b32_e32 v44, s16, v46
	s_delay_alu instid0(VALU_DEP_1) | instskip(SKIP_2) | instid1(VALU_DEP_2)
	v_bitop3_b32 v44, v44, s23, v44 bitop3:0x30
	s_wait_dscnt 0x0
	v_add_nc_u16 v47, v41, 1
	v_lshlrev_b32_e32 v46, 10, v44
	ds_store_b16 v55, v47
	ds_load_u16 v43, v57
	v_lshrrev_b32_e32 v44, 2, v44
	v_and_b32_e32 v47, 0xff, v11
	v_and_or_b32 v46, 0x1c00, v46, v0
	s_delay_alu instid0(VALU_DEP_3) | instskip(NEXT) | instid1(VALU_DEP_1)
	v_and_b32_e32 v44, 62, v44
	v_lshl_add_u32 v58, v46, 2, v44
	s_delay_alu instid0(VALU_DEP_4) | instskip(NEXT) | instid1(VALU_DEP_1)
	v_lshrrev_b32_e32 v44, s16, v47
	v_bitop3_b32 v44, v44, s23, v44 bitop3:0x30
	s_wait_dscnt 0x0
	v_add_nc_u16 v49, v43, 1
	s_delay_alu instid0(VALU_DEP_2)
	v_dual_lshlrev_b32 v47, 10, v44 :: v_dual_lshrrev_b32 v44, 2, v44
	ds_store_b16 v57, v49
	ds_load_u16 v46, v58
	v_and_or_b32 v47, 0x1c00, v47, v0
	v_and_b32_e32 v44, 62, v44
	v_and_b32_e32 v49, 0xff, v10
	s_delay_alu instid0(VALU_DEP_2) | instskip(NEXT) | instid1(VALU_DEP_2)
	v_lshl_add_u32 v60, v47, 2, v44
	v_lshrrev_b32_e32 v44, s16, v49
	s_delay_alu instid0(VALU_DEP_1) | instskip(NEXT) | instid1(VALU_DEP_1)
	v_bitop3_b32 v44, v44, s23, v44 bitop3:0x30
	v_dual_lshlrev_b32 v47, 10, v44 :: v_dual_lshrrev_b32 v44, 2, v44
	s_wait_dscnt 0x0
	v_add_nc_u16 v50, v46, 1
	s_delay_alu instid0(VALU_DEP_2) | instskip(NEXT) | instid1(VALU_DEP_3)
	v_and_or_b32 v47, 0x1c00, v47, v0
	v_and_b32_e32 v44, 62, v44
	ds_store_b16 v58, v50
	ds_load_u16 v49, v60
	v_and_b32_e32 v50, 0xff, v9
	v_lshl_add_u32 v62, v47, 2, v44
	s_delay_alu instid0(VALU_DEP_2) | instskip(SKIP_1) | instid1(VALU_DEP_2)
	v_lshrrev_b32_e32 v44, s16, v50
	v_and_b32_e32 v50, 0xff, v8
	v_bitop3_b32 v44, v44, s23, v44 bitop3:0x30
	s_delay_alu instid0(VALU_DEP_1) | instskip(SKIP_2) | instid1(VALU_DEP_2)
	v_dual_lshlrev_b32 v47, 10, v44 :: v_dual_lshrrev_b32 v44, 2, v44
	s_wait_dscnt 0x0
	v_add_nc_u16 v52, v49, 1
	v_and_or_b32 v47, 0x1c00, v47, v0
	s_delay_alu instid0(VALU_DEP_3)
	v_and_b32_e32 v44, 62, v44
	ds_store_b16 v60, v52
	ds_load_u16 v52, v62
	v_lshl_add_u32 v63, v47, 2, v44
	v_lshrrev_b32_e32 v44, s16, v50
	v_and_b32_e32 v50, 0xff, v7
	s_delay_alu instid0(VALU_DEP_2) | instskip(NEXT) | instid1(VALU_DEP_1)
	v_bitop3_b32 v44, v44, s23, v44 bitop3:0x30
	v_dual_lshlrev_b32 v47, 10, v44 :: v_dual_lshrrev_b32 v44, 2, v44
	s_delay_alu instid0(VALU_DEP_1) | instskip(NEXT) | instid1(VALU_DEP_2)
	v_and_or_b32 v47, 0x1c00, v47, v0
	v_and_b32_e32 v44, 62, v44
	s_wait_dscnt 0x0
	v_add_nc_u16 v54, v52, 1
	s_delay_alu instid0(VALU_DEP_2) | instskip(SKIP_4) | instid1(VALU_DEP_1)
	v_lshl_add_u32 v64, v47, 2, v44
	v_lshrrev_b32_e32 v44, s16, v50
	ds_store_b16 v62, v54
	ds_load_u16 v54, v63
	v_bitop3_b32 v44, v44, s23, v44 bitop3:0x30
	v_dual_lshlrev_b32 v47, 10, v44 :: v_dual_lshrrev_b32 v50, 2, v44
	v_xor_b32_e32 v44, 0x7f, v5
	s_delay_alu instid0(VALU_DEP_2) | instskip(NEXT) | instid1(VALU_DEP_3)
	v_and_or_b32 v5, 0x1c00, v47, v0
	v_and_b32_e32 v47, 62, v50
	s_delay_alu instid0(VALU_DEP_3) | instskip(NEXT) | instid1(VALU_DEP_2)
	v_and_b32_e32 v50, 0xff, v44
	v_lshl_add_u32 v65, v5, 2, v47
	s_wait_dscnt 0x0
	v_add_nc_u16 v56, v54, 1
	s_delay_alu instid0(VALU_DEP_3) | instskip(SKIP_3) | instid1(VALU_DEP_1)
	v_lshrrev_b32_e32 v47, s16, v50
	ds_store_b16 v63, v56
	ds_load_u16 v56, v64
	v_bitop3_b32 v47, v47, s23, v47 bitop3:0x30
	v_lshlrev_b32_e32 v50, 10, v47
	s_wait_dscnt 0x0
	v_add_nc_u16 v59, v56, 1
	ds_store_b16 v64, v59
	ds_load_u16 v5, v65
	v_lshrrev_b32_e32 v59, 2, v47
	v_xor_b32_e32 v47, 0x7f, v4
	v_and_or_b32 v4, 0x1c00, v50, v0
	s_delay_alu instid0(VALU_DEP_3) | instskip(NEXT) | instid1(VALU_DEP_3)
	v_and_b32_e32 v50, 62, v59
	v_and_b32_e32 v59, 0xff, v47
	s_delay_alu instid0(VALU_DEP_2) | instskip(NEXT) | instid1(VALU_DEP_2)
	v_lshl_add_u32 v4, v4, 2, v50
	v_lshrrev_b32_e32 v50, s16, v59
	s_delay_alu instid0(VALU_DEP_1) | instskip(SKIP_2) | instid1(VALU_DEP_2)
	v_bitop3_b32 v50, v50, s23, v50 bitop3:0x30
	s_wait_dscnt 0x0
	v_add_nc_u16 v61, v5, 1
	v_lshrrev_b32_e32 v66, 2, v50
	ds_store_b16 v65, v61
	ds_load_u16 v59, v4
	v_lshlrev_b32_e32 v61, 10, v50
	v_xor_b32_e32 v50, 0x7f, v1
	s_delay_alu instid0(VALU_DEP_2) | instskip(SKIP_1) | instid1(VALU_DEP_3)
	v_and_or_b32 v1, 0x1c00, v61, v0
	v_and_b32_e32 v61, 62, v66
	v_and_b32_e32 v67, 0xff, v50
	s_delay_alu instid0(VALU_DEP_2) | instskip(NEXT) | instid1(VALU_DEP_2)
	v_lshl_add_u32 v66, v1, 2, v61
	v_lshrrev_b32_e32 v61, s16, v67
	s_delay_alu instid0(VALU_DEP_1) | instskip(SKIP_2) | instid1(VALU_DEP_2)
	v_bitop3_b32 v61, v61, s23, v61 bitop3:0x30
	s_wait_dscnt 0x0
	v_add_nc_u16 v68, v59, 1
	v_dual_lshlrev_b32 v67, 10, v61 :: v_dual_lshrrev_b32 v61, 2, v61
	ds_store_b16 v4, v68
	ds_load_u16 v1, v66
	v_and_or_b32 v67, 0x1c00, v67, v0
	v_and_b32_e32 v61, 62, v61
	s_delay_alu instid0(VALU_DEP_1)
	v_lshl_add_u32 v67, v67, 2, v61
	s_wait_dscnt 0x0
	v_add_nc_u16 v68, v1, 1
	ds_store_b16 v66, v68
	ds_load_u16 v61, v67
	v_lshlrev_b32_e32 v68, 5, v0
	s_wait_dscnt 0x0
	v_add_nc_u16 v69, v61, 1
	ds_store_b16 v67, v69
	s_wait_dscnt 0x0
	s_barrier_signal -1
	s_barrier_wait -1
	ds_load_2addr_b64 v[70:73], v68 offset1:1
	ds_load_2addr_b64 v[74:77], v68 offset0:2 offset1:3
	s_wait_dscnt 0x1
	v_add_nc_u32_e32 v69, v71, v70
	s_delay_alu instid0(VALU_DEP_1) | instskip(SKIP_2) | instid1(VALU_DEP_2)
	v_add3_u32 v69, v69, v72, v73
	v_and_b32_e32 v73, 31, v0
	s_wait_dscnt 0x0
	v_add3_u32 v70, v69, v74, v75
	v_mbcnt_lo_u32_b32 v69, -1, 0
	s_delay_alu instid0(VALU_DEP_2) | instskip(NEXT) | instid1(VALU_DEP_2)
	v_add3_u32 v70, v70, v76, v77
	v_and_b32_e32 v71, 15, v69
	s_delay_alu instid0(VALU_DEP_2) | instskip(NEXT) | instid1(VALU_DEP_2)
	v_mov_b32_dpp v72, v70 row_shr:1 row_mask:0xf bank_mask:0xf
	v_cmp_eq_u32_e32 vcc_lo, 0, v71
	s_delay_alu instid0(VALU_DEP_2) | instskip(NEXT) | instid1(VALU_DEP_1)
	v_cndmask_b32_e64 v72, v72, 0, vcc_lo
	v_add_nc_u32_e32 v70, v72, v70
	v_cmp_lt_u32_e64 s2, 1, v71
	v_cmp_lt_u32_e64 s3, 3, v71
	;; [unrolled: 1-line block ×3, first 2 shown]
	s_delay_alu instid0(VALU_DEP_4) | instskip(NEXT) | instid1(VALU_DEP_1)
	v_mov_b32_dpp v72, v70 row_shr:2 row_mask:0xf bank_mask:0xf
	v_cndmask_b32_e64 v72, 0, v72, s2
	s_delay_alu instid0(VALU_DEP_1) | instskip(NEXT) | instid1(VALU_DEP_1)
	v_add_nc_u32_e32 v70, v70, v72
	v_mov_b32_dpp v72, v70 row_shr:4 row_mask:0xf bank_mask:0xf
	s_delay_alu instid0(VALU_DEP_1) | instskip(NEXT) | instid1(VALU_DEP_1)
	v_cndmask_b32_e64 v72, 0, v72, s3
	v_add_nc_u32_e32 v70, v70, v72
	s_delay_alu instid0(VALU_DEP_1) | instskip(NEXT) | instid1(VALU_DEP_1)
	v_mov_b32_dpp v72, v70 row_shr:8 row_mask:0xf bank_mask:0xf
	v_cndmask_b32_e64 v71, 0, v72, s4
	v_bfe_i32 v72, v69, 4, 1
	s_delay_alu instid0(VALU_DEP_2) | instskip(SKIP_4) | instid1(VALU_DEP_2)
	v_add_nc_u32_e32 v70, v70, v71
	ds_swizzle_b32 v71, v70 offset:swizzle(BROADCAST,32,15)
	s_wait_dscnt 0x0
	v_and_b32_e32 v71, v72, v71
	v_dual_lshrrev_b32 v72, 5, v0 :: v_dual_bitop2_b32 v74, 16, v69 bitop3:0x40
	v_add_nc_u32_e32 v70, v70, v71
	s_delay_alu instid0(VALU_DEP_2) | instskip(NEXT) | instid1(VALU_DEP_3)
	v_cmp_eq_u32_e64 s5, 0, v74
	v_lshlrev_b32_e32 v71, 2, v72
	v_cmpx_eq_u32_e32 31, v73
; %bb.46:
	ds_store_b32 v71, v70 offset:32768
; %bb.47:
	s_or_b32 exec_lo, exec_lo, s7
	v_cmp_lt_u32_e64 s6, 31, v0
	s_mov_b32 s24, exec_lo
	s_wait_dscnt 0x0
	s_barrier_signal -1
	s_barrier_wait -1
	v_cmpx_gt_u32_e32 32, v0
	s_cbranch_execz .LBB373_49
; %bb.48:
	v_mad_i32_i24 v72, 0xffffffe4, v0, v68
	ds_load_b32 v73, v72 offset:32768
	s_wait_dscnt 0x0
	v_mov_b32_dpp v74, v73 row_shr:1 row_mask:0xf bank_mask:0xf
	s_delay_alu instid0(VALU_DEP_1) | instskip(NEXT) | instid1(VALU_DEP_1)
	v_cndmask_b32_e64 v74, v74, 0, vcc_lo
	v_add_nc_u32_e32 v73, v74, v73
	s_delay_alu instid0(VALU_DEP_1) | instskip(NEXT) | instid1(VALU_DEP_1)
	v_mov_b32_dpp v74, v73 row_shr:2 row_mask:0xf bank_mask:0xf
	v_cndmask_b32_e64 v74, 0, v74, s2
	s_delay_alu instid0(VALU_DEP_1) | instskip(NEXT) | instid1(VALU_DEP_1)
	v_add_nc_u32_e32 v73, v73, v74
	v_mov_b32_dpp v74, v73 row_shr:4 row_mask:0xf bank_mask:0xf
	s_delay_alu instid0(VALU_DEP_1) | instskip(NEXT) | instid1(VALU_DEP_1)
	v_cndmask_b32_e64 v74, 0, v74, s3
	v_add_nc_u32_e32 v73, v73, v74
	s_delay_alu instid0(VALU_DEP_1) | instskip(NEXT) | instid1(VALU_DEP_1)
	v_mov_b32_dpp v74, v73 row_shr:8 row_mask:0xf bank_mask:0xf
	v_cndmask_b32_e64 v74, 0, v74, s4
	s_delay_alu instid0(VALU_DEP_1) | instskip(SKIP_3) | instid1(VALU_DEP_1)
	v_add_nc_u32_e32 v73, v73, v74
	ds_swizzle_b32 v74, v73 offset:swizzle(BROADCAST,32,15)
	s_wait_dscnt 0x0
	v_cndmask_b32_e64 v74, v74, 0, s5
	v_add_nc_u32_e32 v73, v73, v74
	ds_store_b32 v72, v73 offset:32768
.LBB373_49:
	s_or_b32 exec_lo, exec_lo, s24
	v_dual_mov_b32 v73, 0 :: v_dual_mov_b32 v72, 0
	s_wait_dscnt 0x0
	s_barrier_signal -1
	s_barrier_wait -1
	s_and_saveexec_b32 s2, s6
; %bb.50:
	ds_load_b32 v72, v71 offset:32764
; %bb.51:
	s_or_b32 exec_lo, exec_lo, s2
	v_sub_co_u32 v71, vcc_lo, v69, 1
	s_wait_dscnt 0x0
	v_add_nc_u32_e32 v70, v72, v70
	s_delay_alu instid0(VALU_DEP_2) | instskip(NEXT) | instid1(VALU_DEP_1)
	v_cmp_gt_i32_e64 s2, 0, v71
	v_cndmask_b32_e64 v69, v71, v69, s2
	v_cmp_gt_u32_e64 s2, 16, v0
	s_delay_alu instid0(VALU_DEP_2)
	v_lshlrev_b32_e32 v69, 2, v69
	ds_bpermute_b32 v69, v69, v70
	ds_load_b32 v70, v73 offset:32892
	ds_load_2addr_b64 v[74:77], v68 offset1:1
	ds_load_b32 v78, v68 offset:24
	s_wait_dscnt 0x3
	v_cndmask_b32_e32 v69, v69, v72, vcc_lo
	ds_load_b64 v[72:73], v68 offset:16
	v_cmp_lt_u32_e32 vcc_lo, 15, v0
	s_wait_dscnt 0x3
	v_lshl_add_u32 v70, v70, 16, v69
	s_wait_dscnt 0x2
	s_delay_alu instid0(VALU_DEP_1) | instskip(NEXT) | instid1(VALU_DEP_1)
	v_add_nc_u32_e32 v71, v70, v74
	v_add_nc_u32_e32 v74, v75, v71
	s_delay_alu instid0(VALU_DEP_1) | instskip(NEXT) | instid1(VALU_DEP_1)
	v_add_nc_u32_e32 v75, v76, v74
	v_add_nc_u32_e32 v76, v77, v75
	s_wait_dscnt 0x0
	s_delay_alu instid0(VALU_DEP_1) | instskip(NEXT) | instid1(VALU_DEP_1)
	v_add_nc_u32_e32 v77, v72, v76
	v_add_nc_u32_e32 v72, v73, v77
	s_delay_alu instid0(VALU_DEP_1)
	v_add_nc_u32_e32 v73, v78, v72
	ds_store_2addr_b64 v68, v[70:71], v[74:75] offset1:1
	ds_store_2addr_b64 v68, v[76:77], v[72:73] offset0:2 offset1:3
	s_wait_dscnt 0x0
	s_barrier_signal -1
	s_barrier_wait -1
	ds_load_u16 v68, v2
	ds_load_u16 v69, v3
	ds_load_u16 v34, v34
	ds_load_u16 v36, v36
	ds_load_u16 v38, v38
	ds_load_u16 v40, v40
	ds_load_u16 v42, v42
	ds_load_u16 v45, v45
	ds_load_u16 v48, v48
	ds_load_u16 v51, v51
	ds_load_u16 v53, v53
	ds_load_u16 v55, v55
	ds_load_u16 v57, v57
	ds_load_u16 v58, v58
	ds_load_u16 v60, v60
	ds_load_u16 v62, v62
	ds_load_u16 v63, v63
	ds_load_u16 v64, v64
	ds_load_u16 v65, v65
	ds_load_u16 v70, v4
	ds_load_u16 v66, v66
	ds_load_u16 v67, v67
	v_mov_b64_e32 v[2:3], 0
                                        ; implicit-def: $vgpr4
	s_and_saveexec_b32 s4, s2
	s_cbranch_execz .LBB373_55
; %bb.52:
	v_dual_lshlrev_b32 v2, 12, v0 :: v_dual_lshrrev_b32 v3, 2, v0
	v_add_nc_u32_e32 v4, 1, v0
	s_mov_b32 s5, exec_lo
	s_delay_alu instid0(VALU_DEP_2)
	v_bitop3_b32 v2, v2, 0x70fe, v3 bitop3:0xc8
	v_mov_b32_e32 v3, 0x5800
	ds_load_u16 v2, v2
	v_cmpx_ne_u32_e32 16, v4
; %bb.53:
	v_dual_lshlrev_b32 v3, 12, v4 :: v_dual_lshrrev_b32 v4, 2, v4
	s_delay_alu instid0(VALU_DEP_1)
	v_bitop3_b32 v3, v3, 0x71fe, v4 bitop3:0xc8
	ds_load_u16 v3, v3
; %bb.54:
	s_or_b32 exec_lo, exec_lo, s5
	s_wait_dscnt 0x0
	v_and_b32_e32 v2, 0xffff, v2
	s_mov_b32 s3, 0
	s_delay_alu instid0(VALU_DEP_1) | instid1(SALU_CYCLE_1)
	v_dual_mov_b32 v3, s3 :: v_dual_sub_nc_u32 v4, v3, v2
.LBB373_55:
	s_or_b32 exec_lo, exec_lo, s4
	s_wait_dscnt 0x15
	v_and_b32_e32 v68, 0xffff, v68
	v_and_b32_e32 v26, 0xffff, v26
	s_wait_dscnt 0x14
	v_and_b32_e32 v69, 0xffff, v69
	v_and_b32_e32 v27, 0xffff, v27
	;; [unrolled: 3-line block ×4, first 2 shown]
	v_dual_add_nc_u32 v26, v68, v26 :: v_dual_add_nc_u32 v27, v69, v27
	s_wait_dscnt 0x11
	v_and_b32_e32 v38, 0xffff, v38
	v_and_b32_e32 v30, 0xffff, v30
	s_wait_dscnt 0x10
	v_and_b32_e32 v40, 0xffff, v40
	v_and_b32_e32 v31, 0xffff, v31
	v_add_nc_u32_e32 v28, v34, v28
	s_wait_dscnt 0xf
	v_and_b32_e32 v42, 0xffff, v42
	v_and_b32_e32 v32, 0xffff, v32
	s_wait_dscnt 0xe
	v_and_b32_e32 v45, 0xffff, v45
	v_and_b32_e32 v33, 0xffff, v33
	;; [unrolled: 3-line block ×3, first 2 shown]
	s_wait_dscnt 0x0
	s_barrier_signal -1
	s_barrier_wait -1
	ds_store_b8 v26, v25 offset:128
	ds_store_b8 v27, v24 offset:128
	;; [unrolled: 1-line block ×3, first 2 shown]
	v_add_nc_u32_e32 v23, v36, v29
	v_and_b32_e32 v51, 0xffff, v51
	v_and_b32_e32 v37, 0xffff, v37
	v_dual_add_nc_u32 v24, v38, v30 :: v_dual_add_nc_u32 v25, v40, v31
	v_and_b32_e32 v53, 0xffff, v53
	v_and_b32_e32 v39, 0xffff, v39
	;; [unrolled: 1-line block ×4, first 2 shown]
	v_dual_add_nc_u32 v26, v42, v32 :: v_dual_add_nc_u32 v27, v45, v33
	v_and_b32_e32 v57, 0xffff, v57
	v_and_b32_e32 v43, 0xffff, v43
	;; [unrolled: 1-line block ×4, first 2 shown]
	ds_store_b8 v23, v22 offset:128
	ds_store_b8 v24, v21 offset:128
	;; [unrolled: 1-line block ×5, first 2 shown]
	v_dual_add_nc_u32 v18, v48, v35 :: v_dual_add_nc_u32 v19, v51, v37
	v_and_b32_e32 v60, 0xffff, v60
	v_and_b32_e32 v49, 0xffff, v49
	;; [unrolled: 1-line block ×4, first 2 shown]
	v_dual_add_nc_u32 v20, v53, v39 :: v_dual_add_nc_u32 v21, v55, v41
	v_and_b32_e32 v63, 0xffff, v63
	v_and_b32_e32 v54, 0xffff, v54
	;; [unrolled: 1-line block ×4, first 2 shown]
	v_add_nc_u32_e32 v22, v57, v43
	ds_store_b8 v18, v17 offset:128
	ds_store_b8 v19, v16 offset:128
	;; [unrolled: 1-line block ×5, first 2 shown]
	v_dual_add_nc_u32 v13, v58, v46 :: v_dual_add_nc_u32 v14, v60, v49
	v_dual_add_nc_u32 v15, v62, v52 :: v_dual_add_nc_u32 v16, v63, v54
	v_add_nc_u32_e32 v17, v64, v56
	v_and_b32_e32 v65, 0xffff, v65
	v_and_b32_e32 v66, 0xffff, v66
	;; [unrolled: 1-line block ×4, first 2 shown]
	ds_store_b8 v13, v12 offset:128
	ds_store_b8 v14, v11 offset:128
	;; [unrolled: 1-line block ×5, first 2 shown]
	v_mov_b32_e32 v9, 0
	v_and_b32_e32 v70, 0xffff, v70
	v_and_b32_e32 v59, 0xffff, v59
	;; [unrolled: 1-line block ×4, first 2 shown]
	v_add_nc_u32_e32 v8, v65, v5
	v_dual_add_nc_u32 v11, v66, v1 :: v_dual_mov_b32 v1, v9
	v_dual_lshlrev_b32 v5, 3, v0 :: v_dual_add_nc_u32 v10, v70, v59
	s_delay_alu instid0(VALU_DEP_4)
	v_add_nc_u32_e32 v12, v67, v61
	s_not_b32 s3, s23
	ds_store_b8 v8, v7 offset:128
	ds_store_b8 v10, v44 offset:128
	;; [unrolled: 1-line block ×4, first 2 shown]
	s_and_saveexec_b32 s4, s2
	s_cbranch_execz .LBB373_65
; %bb.56:
	v_lshl_add_u32 v8, s19, 4, v0
	v_dual_mov_b32 v12, 0 :: v_dual_bitop2_b32 v7, 2.0, v4 bitop3:0x54
	s_mov_b32 s5, 0
	s_mov_b32 s6, s19
	s_delay_alu instid0(VALU_DEP_2)
	v_lshl_add_u64 v[10:11], v[8:9], 2, s[20:21]
	global_store_b32 v8, v7, s[20:21] scale_offset scope:SCOPE_DEV
                                        ; implicit-def: $sgpr2
	s_branch .LBB373_59
.LBB373_57:                             ;   in Loop: Header=BB373_59 Depth=1
	s_or_b32 exec_lo, exec_lo, s23
.LBB373_58:                             ;   in Loop: Header=BB373_59 Depth=1
	s_delay_alu instid0(SALU_CYCLE_1) | instskip(SKIP_2) | instid1(VALU_DEP_2)
	s_or_b32 exec_lo, exec_lo, s7
	v_and_b32_e32 v8, 0x3fffffff, v7
	v_cmp_gt_i32_e64 s2, -2.0, v7
	v_add_nc_u32_e32 v12, v8, v12
	s_and_b32 s7, exec_lo, s2
	s_delay_alu instid0(SALU_CYCLE_1) | instskip(NEXT) | instid1(SALU_CYCLE_1)
	s_or_b32 s5, s7, s5
	s_and_not1_b32 exec_lo, exec_lo, s5
	s_cbranch_execz .LBB373_64
.LBB373_59:                             ; =>This Loop Header: Depth=1
                                        ;     Child Loop BB373_62 Depth 2
	s_or_b32 s2, s2, exec_lo
	s_cmp_eq_u32 s6, 0
	s_cbranch_scc1 .LBB373_63
; %bb.60:                               ;   in Loop: Header=BB373_59 Depth=1
	s_add_co_i32 s6, s6, -1
	s_mov_b32 s7, exec_lo
	s_wait_xcnt 0x0
	v_lshl_or_b32 v8, s6, 4, v0
	global_load_b32 v7, v8, s[20:21] scale_offset scope:SCOPE_DEV
	s_wait_loadcnt 0x0
	v_cmpx_gt_u32_e32 2.0, v7
	s_cbranch_execz .LBB373_58
; %bb.61:                               ;   in Loop: Header=BB373_59 Depth=1
	v_lshl_add_u64 v[14:15], v[8:9], 2, s[20:21]
	s_mov_b32 s23, 0
.LBB373_62:                             ;   Parent Loop BB373_59 Depth=1
                                        ; =>  This Inner Loop Header: Depth=2
	global_load_b32 v7, v[14:15], off scope:SCOPE_DEV
	s_wait_loadcnt 0x0
	v_cmp_lt_u32_e64 s2, 0x3fffffff, v7
	s_or_b32 s23, s2, s23
	s_wait_xcnt 0x0
	s_and_not1_b32 exec_lo, exec_lo, s23
	s_cbranch_execnz .LBB373_62
	s_branch .LBB373_57
.LBB373_63:                             ;   in Loop: Header=BB373_59 Depth=1
                                        ; implicit-def: $sgpr6
	s_and_b32 s7, exec_lo, s2
	s_delay_alu instid0(SALU_CYCLE_1)
	s_or_b32 s5, s7, s5
	s_wait_xcnt 0x0
	s_and_not1_b32 exec_lo, exec_lo, s5
	s_cbranch_execnz .LBB373_59
.LBB373_64:
	s_or_b32 exec_lo, exec_lo, s5
	v_dual_add_nc_u32 v7, v12, v4 :: v_dual_mov_b32 v13, 0
	s_delay_alu instid0(VALU_DEP_1)
	v_or_b32_e32 v7, 0x80000000, v7
	global_store_b32 v[10:11], v7, off scope:SCOPE_DEV
	global_load_b64 v[8:9], v0, s[8:9] scale_offset
	s_wait_xcnt 0x1
	v_sub_nc_u64_e32 v[10:11], v[12:13], v[2:3]
	s_wait_loadcnt 0x0
	s_delay_alu instid0(VALU_DEP_1)
	v_add_nc_u64_e32 v[8:9], v[10:11], v[8:9]
	ds_store_b64 v5, v[8:9]
.LBB373_65:
	s_wait_xcnt 0x0
	s_or_b32 exec_lo, exec_lo, s4
	s_delay_alu instid0(SALU_CYCLE_1)
	s_mov_b32 s4, exec_lo
	s_wait_storecnt_dscnt 0x0
	s_barrier_signal -1
	s_barrier_wait -1
	v_cmpx_gt_u32_e64 s18, v0
	s_cbranch_execz .LBB373_67
; %bb.66:
	ds_load_u8 v7, v0 offset:128
	s_wait_dscnt 0x0
	v_and_b32_e32 v8, 0xff, v7
	v_xor_b32_e32 v7, 0x7f, v7
	s_delay_alu instid0(VALU_DEP_2) | instskip(NEXT) | instid1(VALU_DEP_1)
	v_lshrrev_b32_e32 v8, s16, v8
	v_and_b32_e32 v8, s3, v8
	s_delay_alu instid0(VALU_DEP_1) | instskip(SKIP_3) | instid1(VALU_DEP_1)
	v_lshlrev_b32_e32 v8, 3, v8
	ds_load_b64 v[8:9], v8
	s_wait_dscnt 0x0
	v_add_nc_u64_e32 v[8:9], s[14:15], v[8:9]
	v_add_nc_u64_e32 v[8:9], v[8:9], v[0:1]
	global_store_b8 v[8:9], v7, off
.LBB373_67:
	s_wait_xcnt 0x0
	s_or_b32 exec_lo, exec_lo, s4
	v_or_b32_e32 v7, 0x400, v0
	s_mov_b32 s4, exec_lo
	s_delay_alu instid0(VALU_DEP_1)
	v_cmpx_gt_u32_e64 s18, v7
	s_cbranch_execz .LBB373_69
; %bb.68:
	ds_load_u8 v7, v0 offset:1152
	s_wait_dscnt 0x0
	v_and_b32_e32 v8, 0xff, v7
	v_xor_b32_e32 v7, 0x7f, v7
	s_delay_alu instid0(VALU_DEP_2) | instskip(NEXT) | instid1(VALU_DEP_1)
	v_lshrrev_b32_e32 v8, s16, v8
	v_and_b32_e32 v8, s3, v8
	s_delay_alu instid0(VALU_DEP_1) | instskip(SKIP_3) | instid1(VALU_DEP_1)
	v_lshlrev_b32_e32 v8, 3, v8
	ds_load_b64 v[8:9], v8
	s_wait_dscnt 0x0
	v_add_nc_u64_e32 v[8:9], s[14:15], v[8:9]
	v_add_nc_u64_e32 v[8:9], v[8:9], v[0:1]
	global_store_b8 v[8:9], v7, off offset:1024
.LBB373_69:
	s_wait_xcnt 0x0
	s_or_b32 exec_lo, exec_lo, s4
	v_or_b32_e32 v7, 0x800, v0
	s_mov_b32 s4, exec_lo
	s_delay_alu instid0(VALU_DEP_1)
	v_cmpx_gt_u32_e64 s18, v7
	s_cbranch_execz .LBB373_71
; %bb.70:
	ds_load_u8 v7, v0 offset:2176
	s_wait_dscnt 0x0
	v_and_b32_e32 v8, 0xff, v7
	v_xor_b32_e32 v7, 0x7f, v7
	s_delay_alu instid0(VALU_DEP_2) | instskip(NEXT) | instid1(VALU_DEP_1)
	v_lshrrev_b32_e32 v8, s16, v8
	v_and_b32_e32 v8, s3, v8
	s_delay_alu instid0(VALU_DEP_1) | instskip(SKIP_3) | instid1(VALU_DEP_1)
	v_lshlrev_b32_e32 v8, 3, v8
	ds_load_b64 v[8:9], v8
	s_wait_dscnt 0x0
	v_add_nc_u64_e32 v[8:9], s[14:15], v[8:9]
	v_add_nc_u64_e32 v[8:9], v[8:9], v[0:1]
	global_store_b8 v[8:9], v7, off offset:2048
.LBB373_71:
	;; [unrolled: 23-line block ×20, first 2 shown]
	s_wait_xcnt 0x0
	s_or_b32 exec_lo, exec_lo, s4
	v_or_b32_e32 v7, 0x5400, v0
	s_mov_b32 s4, exec_lo
	s_delay_alu instid0(VALU_DEP_1)
	v_cmpx_gt_u32_e64 s18, v7
	s_cbranch_execz .LBB373_109
; %bb.108:
	ds_load_u8 v7, v0 offset:21632
	s_wait_dscnt 0x0
	v_and_b32_e32 v8, 0xff, v7
	s_delay_alu instid0(VALU_DEP_1) | instskip(NEXT) | instid1(VALU_DEP_1)
	v_lshrrev_b32_e32 v8, s16, v8
	v_and_b32_e32 v8, s3, v8
	s_delay_alu instid0(VALU_DEP_1) | instskip(SKIP_3) | instid1(VALU_DEP_1)
	v_lshlrev_b32_e32 v8, 3, v8
	ds_load_b64 v[8:9], v8
	s_wait_dscnt 0x0
	v_add_nc_u64_e32 v[8:9], s[14:15], v[8:9]
	v_add_nc_u64_e32 v[8:9], v[8:9], v[0:1]
	v_xor_b32_e32 v1, 0x7f, v7
	global_store_b8 v[8:9], v1, off offset:21504
.LBB373_109:
	s_wait_xcnt 0x0
	s_or_b32 exec_lo, exec_lo, s4
	s_load_b32 s2, s[0:1], 0x58
	s_wait_kmcnt 0x0
	s_add_co_i32 s2, s2, -1
	s_delay_alu instid0(SALU_CYCLE_1) | instskip(SKIP_2) | instid1(SALU_CYCLE_1)
	s_cmp_eq_u32 s19, s2
	s_cselect_b32 s2, -1, 0
	s_xor_b32 s3, vcc_lo, -1
	s_and_b32 s3, s3, s2
	s_delay_alu instid0(SALU_CYCLE_1)
	s_and_saveexec_b32 s2, s3
	s_cbranch_execz .LBB373_111
; %bb.110:
	ds_load_b64 v[8:9], v5
	v_mov_b32_e32 v5, 0
	s_delay_alu instid0(VALU_DEP_1) | instskip(SKIP_1) | instid1(VALU_DEP_1)
	v_add_nc_u64_e32 v[2:3], v[2:3], v[4:5]
	s_wait_dscnt 0x0
	v_add_nc_u64_e32 v[2:3], v[2:3], v[8:9]
	global_store_b64 v0, v[2:3], s[10:11] scale_offset
.LBB373_111:
	s_wait_xcnt 0x0
	s_or_b32 exec_lo, exec_lo, s2
	s_mov_b32 s2, 0
.LBB373_112:
	s_delay_alu instid0(SALU_CYCLE_1)
	s_and_b32 vcc_lo, exec_lo, s2
	s_cbranch_vccz .LBB373_135
; %bb.113:
	s_mov_b32 s23, 0
	v_dual_mov_b32 v13, 0 :: v_dual_lshlrev_b32 v12, 2, v0
	s_add_nc_u64 s[2:3], s[12:13], s[22:23]
	s_clause 0x1
	global_load_b128 v[2:5], v6, s[2:3]
	global_load_b32 v8, v6, s[2:3] offset:16
	s_lshl_b32 s12, -1, s17
	ds_store_2addr_stride64_b32 v12, v13, v13 offset1:16
	ds_store_2addr_stride64_b32 v12, v13, v13 offset0:32 offset1:48
	ds_store_2addr_stride64_b32 v12, v13, v13 offset0:64 offset1:80
	;; [unrolled: 1-line block ×3, first 2 shown]
	global_load_u16 v42, v6, s[2:3] offset:20
	s_mov_b32 s7, exec_lo
	s_wait_loadcnt 0x2
	v_xor_b32_e32 v1, 0x7f, v2
	v_lshrrev_b32_e32 v9, 8, v2
	s_delay_alu instid0(VALU_DEP_2) | instskip(NEXT) | instid1(VALU_DEP_1)
	v_and_b32_e32 v7, 0xff, v1
	v_lshrrev_b32_e32 v7, s16, v7
	s_delay_alu instid0(VALU_DEP_1) | instskip(NEXT) | instid1(VALU_DEP_1)
	v_bitop3_b32 v7, v7, s12, v7 bitop3:0x30
	v_dual_lshlrev_b32 v10, 10, v7 :: v_dual_lshrrev_b32 v11, 2, v7
	v_xor_b32_e32 v7, 0x7f, v9
	s_delay_alu instid0(VALU_DEP_2) | instskip(NEXT) | instid1(VALU_DEP_3)
	v_and_or_b32 v9, 0x1c00, v10, v0
	v_and_b32_e32 v10, 62, v11
	s_delay_alu instid0(VALU_DEP_3) | instskip(NEXT) | instid1(VALU_DEP_2)
	v_and_b32_e32 v11, 0xff, v7
	v_lshl_add_u32 v17, v9, 2, v10
	s_delay_alu instid0(VALU_DEP_2) | instskip(SKIP_3) | instid1(VALU_DEP_2)
	v_lshrrev_b32_e32 v9, s16, v11
	ds_load_u16 v11, v17
	v_bitop3_b32 v9, v9, s12, v9 bitop3:0x30
	v_dual_lshrrev_b32 v10, 16, v2 :: v_dual_lshrrev_b32 v2, 24, v2
	v_dual_lshlrev_b32 v12, 10, v9 :: v_dual_lshrrev_b32 v9, 2, v9
	s_delay_alu instid0(VALU_DEP_2) | instskip(NEXT) | instid1(VALU_DEP_2)
	v_xor_b32_e32 v10, 0x7f, v10
	v_and_or_b32 v12, 0x1c00, v12, v0
	s_delay_alu instid0(VALU_DEP_3) | instskip(NEXT) | instid1(VALU_DEP_3)
	v_and_b32_e32 v9, 62, v9
	v_and_b32_e32 v13, 0xff, v10
	s_delay_alu instid0(VALU_DEP_2) | instskip(NEXT) | instid1(VALU_DEP_2)
	v_lshl_add_u32 v20, v12, 2, v9
	v_lshrrev_b32_e32 v9, s16, v13
	v_xor_b32_e32 v12, 0x7f, v2
	s_wait_dscnt 0x0
	v_add_nc_u16 v14, v11, 1
	s_delay_alu instid0(VALU_DEP_3) | instskip(SKIP_3) | instid1(VALU_DEP_1)
	v_bitop3_b32 v9, v9, s12, v9 bitop3:0x30
	ds_store_b16 v17, v14
	ds_load_u16 v14, v20
	v_dual_lshlrev_b32 v13, 10, v9 :: v_dual_lshrrev_b32 v9, 2, v9
	v_and_or_b32 v2, 0x1c00, v13, v0
	s_delay_alu instid0(VALU_DEP_2) | instskip(SKIP_1) | instid1(VALU_DEP_2)
	v_and_b32_e32 v9, 62, v9
	v_and_b32_e32 v13, 0xffff, v12
	v_lshl_add_u32 v2, v2, 2, v9
	s_delay_alu instid0(VALU_DEP_2) | instskip(SKIP_1) | instid1(VALU_DEP_2)
	v_lshrrev_b32_e32 v9, s16, v13
	v_xor_b32_e32 v13, 0x7f, v3
	v_bitop3_b32 v9, v9, s12, v9 bitop3:0x30
	s_wait_dscnt 0x0
	v_add_nc_u16 v15, v14, 1
	s_delay_alu instid0(VALU_DEP_3) | instskip(NEXT) | instid1(VALU_DEP_3)
	v_and_b32_e32 v18, 0xff, v13
	v_dual_lshlrev_b32 v16, 10, v9 :: v_dual_lshrrev_b32 v9, 2, v9
	ds_store_b16 v20, v15
	ds_load_u16 v15, v2
	v_and_or_b32 v16, 0x1c00, v16, v0
	v_and_b32_e32 v9, 62, v9
	s_delay_alu instid0(VALU_DEP_1) | instskip(SKIP_1) | instid1(VALU_DEP_1)
	v_lshl_add_u32 v27, v16, 2, v9
	v_dual_lshrrev_b32 v9, s16, v18 :: v_dual_lshrrev_b32 v16, 8, v3
	v_bitop3_b32 v9, v9, s12, v9 bitop3:0x30
	s_delay_alu instid0(VALU_DEP_2) | instskip(NEXT) | instid1(VALU_DEP_2)
	v_xor_b32_e32 v16, 0x7f, v16
	v_dual_lshlrev_b32 v18, 10, v9 :: v_dual_lshrrev_b32 v9, 2, v9
	s_wait_dscnt 0x0
	v_add_nc_u16 v19, v15, 1
	s_delay_alu instid0(VALU_DEP_3) | instskip(NEXT) | instid1(VALU_DEP_3)
	v_and_b32_e32 v21, 0xff, v16
	v_and_or_b32 v18, 0x1c00, v18, v0
	v_and_b32_e32 v9, 62, v9
	ds_store_b16 v2, v19
	ds_load_u16 v19, v27
	v_lshl_add_u32 v34, v18, 2, v9
	v_dual_lshrrev_b32 v9, s16, v21 :: v_dual_lshrrev_b32 v18, 16, v3
	v_lshrrev_b32_e32 v3, 24, v3
	s_delay_alu instid0(VALU_DEP_2) | instskip(NEXT) | instid1(VALU_DEP_3)
	v_bitop3_b32 v9, v9, s12, v9 bitop3:0x30
	v_xor_b32_e32 v18, 0x7f, v18
	s_wait_xcnt 0x0
	s_delay_alu instid0(VALU_DEP_1) | instskip(SKIP_2) | instid1(VALU_DEP_2)
	v_and_b32_e32 v6, 0xff, v18
	s_wait_dscnt 0x0
	v_add_nc_u16 v22, v19, 1
	v_lshrrev_b32_e32 v6, s16, v6
	ds_store_b16 v27, v22
	ds_load_u16 v21, v34
	v_dual_lshlrev_b32 v22, 10, v9 :: v_dual_lshrrev_b32 v9, 2, v9
	v_bitop3_b32 v6, v6, s12, v6 bitop3:0x30
	s_delay_alu instid0(VALU_DEP_2) | instskip(NEXT) | instid1(VALU_DEP_3)
	v_and_or_b32 v22, 0x1c00, v22, v0
	v_and_b32_e32 v9, 62, v9
	s_delay_alu instid0(VALU_DEP_1) | instskip(NEXT) | instid1(VALU_DEP_4)
	v_lshl_add_u32 v41, v22, 2, v9
	v_dual_lshlrev_b32 v9, 10, v6 :: v_dual_lshrrev_b32 v22, 2, v6
	v_xor_b32_e32 v6, 0x7f, v3
	s_delay_alu instid0(VALU_DEP_2) | instskip(NEXT) | instid1(VALU_DEP_3)
	v_and_or_b32 v3, 0x1c00, v9, v0
	v_and_b32_e32 v9, 62, v22
	s_wait_dscnt 0x0
	v_add_nc_u16 v23, v21, 1
	v_and_b32_e32 v22, 0xffff, v6
	s_delay_alu instid0(VALU_DEP_3) | instskip(SKIP_4) | instid1(VALU_DEP_2)
	v_lshl_add_u32 v3, v3, 2, v9
	ds_store_b16 v34, v23
	ds_load_u16 v25, v41
	v_lshrrev_b32_e32 v9, s16, v22
	v_xor_b32_e32 v22, 0x7f, v4
	v_bitop3_b32 v9, v9, s12, v9 bitop3:0x30
	s_delay_alu instid0(VALU_DEP_2)
	v_and_b32_e32 v24, 0xff, v22
	s_wait_dscnt 0x0
	v_add_nc_u16 v23, v25, 1
	ds_store_b16 v41, v23
	ds_load_u16 v29, v3
	v_dual_lshlrev_b32 v23, 10, v9 :: v_dual_lshrrev_b32 v9, 2, v9
	s_delay_alu instid0(VALU_DEP_1) | instskip(NEXT) | instid1(VALU_DEP_2)
	v_and_or_b32 v23, 0x1c00, v23, v0
	v_and_b32_e32 v9, 62, v9
	s_delay_alu instid0(VALU_DEP_1) | instskip(SKIP_2) | instid1(VALU_DEP_2)
	v_lshl_add_u32 v47, v23, 2, v9
	v_lshrrev_b32_e32 v9, s16, v24
	v_lshrrev_b32_e32 v23, 8, v4
	v_bitop3_b32 v9, v9, s12, v9 bitop3:0x30
	s_delay_alu instid0(VALU_DEP_2) | instskip(SKIP_2) | instid1(VALU_DEP_3)
	v_xor_b32_e32 v23, 0x7f, v23
	s_wait_dscnt 0x0
	v_add_nc_u16 v26, v29, 1
	v_dual_lshlrev_b32 v24, 10, v9 :: v_dual_lshrrev_b32 v9, 2, v9
	ds_store_b16 v3, v26
	ds_load_u16 v31, v47
	v_and_b32_e32 v26, 0xff, v23
	v_and_or_b32 v24, 0x1c00, v24, v0
	v_and_b32_e32 v9, 62, v9
	s_delay_alu instid0(VALU_DEP_1) | instskip(NEXT) | instid1(VALU_DEP_4)
	v_lshl_add_u32 v49, v24, 2, v9
	v_dual_lshrrev_b32 v9, s16, v26 :: v_dual_lshrrev_b32 v24, 16, v4
	v_lshrrev_b32_e32 v4, 24, v4
	s_delay_alu instid0(VALU_DEP_2) | instskip(NEXT) | instid1(VALU_DEP_3)
	v_bitop3_b32 v9, v9, s12, v9 bitop3:0x30
	v_xor_b32_e32 v24, 0x7f, v24
	s_delay_alu instid0(VALU_DEP_2) | instskip(SKIP_2) | instid1(VALU_DEP_2)
	v_dual_lshlrev_b32 v26, 10, v9 :: v_dual_lshrrev_b32 v9, 2, v9
	s_wait_dscnt 0x0
	v_add_nc_u16 v28, v31, 1
	v_and_or_b32 v26, 0x1c00, v26, v0
	s_delay_alu instid0(VALU_DEP_3)
	v_and_b32_e32 v9, 62, v9
	ds_store_b16 v47, v28
	ds_load_u16 v33, v49
	v_and_b32_e32 v28, 0xff, v24
	v_lshl_add_u32 v51, v26, 2, v9
	v_xor_b32_e32 v26, 0x7f, v4
	s_delay_alu instid0(VALU_DEP_3) | instskip(NEXT) | instid1(VALU_DEP_1)
	v_lshrrev_b32_e32 v9, s16, v28
	v_bitop3_b32 v9, v9, s12, v9 bitop3:0x30
	s_delay_alu instid0(VALU_DEP_1) | instskip(SKIP_2) | instid1(VALU_DEP_2)
	v_dual_lshlrev_b32 v28, 10, v9 :: v_dual_lshrrev_b32 v9, 2, v9
	s_wait_dscnt 0x0
	v_add_nc_u16 v30, v33, 1
	v_and_or_b32 v4, 0x1c00, v28, v0
	s_delay_alu instid0(VALU_DEP_3)
	v_and_b32_e32 v9, 62, v9
	v_and_b32_e32 v28, 0xffff, v26
	ds_store_b16 v49, v30
	ds_load_u16 v35, v51
	v_lshl_add_u32 v4, v4, 2, v9
	v_lshrrev_b32_e32 v9, s16, v28
	v_xor_b32_e32 v28, 0x7f, v5
	s_delay_alu instid0(VALU_DEP_2) | instskip(NEXT) | instid1(VALU_DEP_2)
	v_bitop3_b32 v9, v9, s12, v9 bitop3:0x30
	v_and_b32_e32 v32, 0xff, v28
	s_wait_dscnt 0x0
	v_add_nc_u16 v30, v35, 1
	ds_store_b16 v51, v30
	ds_load_u16 v38, v4
	v_dual_lshlrev_b32 v30, 10, v9 :: v_dual_lshrrev_b32 v9, 2, v9
	s_delay_alu instid0(VALU_DEP_1) | instskip(NEXT) | instid1(VALU_DEP_2)
	v_and_or_b32 v30, 0x1c00, v30, v0
	v_and_b32_e32 v9, 62, v9
	s_delay_alu instid0(VALU_DEP_1) | instskip(SKIP_1) | instid1(VALU_DEP_1)
	v_lshl_add_u32 v54, v30, 2, v9
	v_dual_lshrrev_b32 v9, s16, v32 :: v_dual_lshrrev_b32 v30, 8, v5
	v_bitop3_b32 v9, v9, s12, v9 bitop3:0x30
	s_delay_alu instid0(VALU_DEP_2) | instskip(SKIP_2) | instid1(VALU_DEP_3)
	v_xor_b32_e32 v30, 0x7f, v30
	s_wait_dscnt 0x0
	v_add_nc_u16 v36, v38, 1
	v_dual_lshlrev_b32 v32, 10, v9 :: v_dual_lshrrev_b32 v9, 2, v9
	ds_store_b16 v4, v36
	ds_load_u16 v40, v54
	v_and_b32_e32 v36, 0xff, v30
	v_and_or_b32 v32, 0x1c00, v32, v0
	v_and_b32_e32 v9, 62, v9
	s_delay_alu instid0(VALU_DEP_1) | instskip(NEXT) | instid1(VALU_DEP_4)
	v_lshl_add_u32 v56, v32, 2, v9
	v_dual_lshrrev_b32 v9, s16, v36 :: v_dual_lshrrev_b32 v32, 16, v5
	v_lshrrev_b32_e32 v5, 24, v5
	s_delay_alu instid0(VALU_DEP_2) | instskip(NEXT) | instid1(VALU_DEP_3)
	v_bitop3_b32 v9, v9, s12, v9 bitop3:0x30
	v_xor_b32_e32 v32, 0x7f, v32
	s_delay_alu instid0(VALU_DEP_3) | instskip(NEXT) | instid1(VALU_DEP_3)
	v_xor_b32_e32 v5, 0x7f, v5
	v_dual_lshlrev_b32 v36, 10, v9 :: v_dual_lshrrev_b32 v9, 2, v9
	s_wait_dscnt 0x0
	v_add_nc_u16 v37, v40, 1
	s_delay_alu instid0(VALU_DEP_2) | instskip(NEXT) | instid1(VALU_DEP_3)
	v_and_or_b32 v36, 0x1c00, v36, v0
	v_and_b32_e32 v9, 62, v9
	ds_store_b16 v54, v37
	ds_load_u16 v43, v56
	v_and_b32_e32 v37, 0xff, v32
	v_lshl_add_u32 v58, v36, 2, v9
	s_delay_alu instid0(VALU_DEP_2) | instskip(SKIP_1) | instid1(VALU_DEP_2)
	v_lshrrev_b32_e32 v9, s16, v37
	v_and_b32_e32 v37, 0xffff, v5
	v_bitop3_b32 v9, v9, s12, v9 bitop3:0x30
	s_delay_alu instid0(VALU_DEP_1) | instskip(SKIP_2) | instid1(VALU_DEP_2)
	v_dual_lshlrev_b32 v36, 10, v9 :: v_dual_lshrrev_b32 v9, 2, v9
	s_wait_dscnt 0x0
	v_add_nc_u16 v39, v43, 1
	v_and_or_b32 v36, 0x1c00, v36, v0
	s_delay_alu instid0(VALU_DEP_3)
	v_and_b32_e32 v9, 62, v9
	ds_store_b16 v56, v39
	ds_load_u16 v44, v58
	v_lshl_add_u32 v59, v36, 2, v9
	v_lshrrev_b32_e32 v9, s16, v37
	s_wait_loadcnt 0x1
	v_xor_b32_e32 v36, 0x7f, v8
	s_delay_alu instid0(VALU_DEP_2) | instskip(NEXT) | instid1(VALU_DEP_1)
	v_bitop3_b32 v9, v9, s12, v9 bitop3:0x30
	v_dual_lshlrev_b32 v37, 10, v9 :: v_dual_lshrrev_b32 v9, 2, v9
	s_delay_alu instid0(VALU_DEP_1) | instskip(NEXT) | instid1(VALU_DEP_2)
	v_and_or_b32 v37, 0x1c00, v37, v0
	v_and_b32_e32 v9, 62, v9
	s_wait_dscnt 0x0
	v_add_nc_u16 v39, v44, 1
	s_delay_alu instid0(VALU_DEP_2) | instskip(SKIP_4) | instid1(VALU_DEP_1)
	v_lshl_add_u32 v60, v37, 2, v9
	v_lshrrev_b32_e32 v37, 8, v8
	ds_store_b16 v58, v39
	ds_load_u16 v45, v59
	v_and_b32_e32 v39, 0xff, v36
	v_lshrrev_b32_e32 v9, s16, v39
	v_xor_b32_e32 v39, 0x7f, v37
	s_delay_alu instid0(VALU_DEP_2) | instskip(NEXT) | instid1(VALU_DEP_1)
	v_bitop3_b32 v9, v9, s12, v9 bitop3:0x30
	v_dual_lshlrev_b32 v48, 10, v9 :: v_dual_lshrrev_b32 v9, 2, v9
	s_wait_dscnt 0x0
	v_add_nc_u16 v46, v45, 1
	s_delay_alu instid0(VALU_DEP_2) | instskip(NEXT) | instid1(VALU_DEP_3)
	v_and_or_b32 v37, 0x1c00, v48, v0
	v_and_b32_e32 v9, 62, v9
	v_and_b32_e32 v48, 0xff, v39
	ds_store_b16 v59, v46
	ds_load_u16 v46, v60
	v_lshl_add_u32 v61, v37, 2, v9
	v_lshrrev_b32_e32 v9, s16, v48
	v_lshrrev_b32_e32 v37, 16, v8
	s_delay_alu instid0(VALU_DEP_2) | instskip(NEXT) | instid1(VALU_DEP_2)
	v_bitop3_b32 v9, v9, s12, v9 bitop3:0x30
	v_xor_b32_e32 v37, 0x7f, v37
	s_delay_alu instid0(VALU_DEP_1) | instskip(NEXT) | instid1(VALU_DEP_1)
	v_and_b32_e32 v52, 0xff, v37
	v_lshrrev_b32_e32 v52, s16, v52
	s_wait_dscnt 0x0
	v_add_nc_u16 v50, v46, 1
	s_delay_alu instid0(VALU_DEP_2) | instskip(SKIP_3) | instid1(VALU_DEP_1)
	v_bitop3_b32 v55, v52, s12, v52 bitop3:0x30
	ds_store_b16 v60, v50
	ds_load_u16 v48, v61
	v_dual_lshlrev_b32 v50, 10, v9 :: v_dual_lshrrev_b32 v9, 2, v9
	v_and_or_b32 v50, 0x1c00, v50, v0
	s_delay_alu instid0(VALU_DEP_2) | instskip(NEXT) | instid1(VALU_DEP_1)
	v_and_b32_e32 v9, 62, v9
	v_lshl_add_u32 v62, v50, 2, v9
	s_wait_loadcnt 0x0
	v_and_b32_e32 v9, 0xffff, v42
	v_xor_b32_e32 v42, 0x7f, v42
	s_wait_dscnt 0x0
	v_add_nc_u16 v53, v48, 1
	ds_store_b16 v61, v53
	ds_load_u16 v50, v62
	v_lshrrev_b64 v[52:53], 24, v[8:9]
	v_dual_lshlrev_b32 v53, 10, v55 :: v_dual_lshrrev_b32 v55, 2, v55
	v_lshrrev_b32_e32 v9, 8, v9
	s_delay_alu instid0(VALU_DEP_3) | instskip(NEXT) | instid1(VALU_DEP_3)
	v_xor_b32_e32 v8, 0x7f, v52
	v_and_or_b32 v52, 0x1c00, v53, v0
	s_delay_alu instid0(VALU_DEP_4) | instskip(NEXT) | instid1(VALU_DEP_4)
	v_and_b32_e32 v53, 62, v55
	v_xor_b32_e32 v9, 0x7f, v9
	s_delay_alu instid0(VALU_DEP_4) | instskip(NEXT) | instid1(VALU_DEP_3)
	v_and_b32_e32 v55, 0xff, v8
	v_lshl_add_u32 v63, v52, 2, v53
	s_delay_alu instid0(VALU_DEP_3) | instskip(NEXT) | instid1(VALU_DEP_3)
	v_and_b32_e32 v66, 0xff, v9
	v_lshrrev_b32_e32 v53, s16, v55
	s_wait_dscnt 0x0
	v_add_nc_u16 v57, v50, 1
	s_delay_alu instid0(VALU_DEP_2) | instskip(SKIP_4) | instid1(VALU_DEP_1)
	v_bitop3_b32 v53, v53, s12, v53 bitop3:0x30
	ds_store_b16 v62, v57
	ds_load_u16 v52, v63
	v_and_b32_e32 v57, 0xff, v42
	v_dual_lshlrev_b32 v55, 10, v53 :: v_dual_lshrrev_b32 v53, 2, v53
	v_and_or_b32 v55, 0x1c00, v55, v0
	s_delay_alu instid0(VALU_DEP_2) | instskip(NEXT) | instid1(VALU_DEP_1)
	v_and_b32_e32 v53, 62, v53
	v_lshl_add_u32 v64, v55, 2, v53
	v_lshrrev_b32_e32 v55, s16, v57
	s_delay_alu instid0(VALU_DEP_1) | instskip(SKIP_2) | instid1(VALU_DEP_2)
	v_bitop3_b32 v55, v55, s12, v55 bitop3:0x30
	s_wait_dscnt 0x0
	v_add_nc_u16 v65, v52, 1
	v_lshlrev_b32_e32 v57, 10, v55
	ds_store_b16 v63, v65
	ds_load_u16 v53, v64
	v_lshrrev_b32_e32 v55, 2, v55
	v_and_or_b32 v57, 0x1c00, v57, v0
	s_delay_alu instid0(VALU_DEP_2) | instskip(NEXT) | instid1(VALU_DEP_1)
	v_and_b32_e32 v55, 62, v55
	v_lshl_add_u32 v65, v57, 2, v55
	v_lshrrev_b32_e32 v57, s16, v66
	s_delay_alu instid0(VALU_DEP_1) | instskip(SKIP_2) | instid1(VALU_DEP_2)
	v_bitop3_b32 v57, v57, s12, v57 bitop3:0x30
	s_wait_dscnt 0x0
	v_add_nc_u16 v67, v53, 1
	v_dual_lshlrev_b32 v66, 10, v57 :: v_dual_lshrrev_b32 v57, 2, v57
	ds_store_b16 v64, v67
	ds_load_u16 v55, v65
	v_and_or_b32 v66, 0x1c00, v66, v0
	v_and_b32_e32 v57, 62, v57
	s_delay_alu instid0(VALU_DEP_1)
	v_lshl_add_u32 v66, v66, 2, v57
	s_wait_dscnt 0x0
	v_add_nc_u16 v67, v55, 1
	ds_store_b16 v65, v67
	ds_load_u16 v57, v66
	v_lshlrev_b32_e32 v67, 5, v0
	s_wait_dscnt 0x0
	v_add_nc_u16 v68, v57, 1
	ds_store_b16 v66, v68
	s_wait_storecnt_dscnt 0x0
	s_barrier_signal -1
	s_barrier_wait -1
	ds_load_2addr_b64 v[68:71], v67 offset1:1
	ds_load_2addr_b64 v[72:75], v67 offset0:2 offset1:3
	s_wait_dscnt 0x1
	v_add_nc_u32_e32 v68, v69, v68
	s_delay_alu instid0(VALU_DEP_1) | instskip(SKIP_1) | instid1(VALU_DEP_1)
	v_add3_u32 v68, v68, v70, v71
	s_wait_dscnt 0x0
	v_add3_u32 v69, v68, v72, v73
	v_mbcnt_lo_u32_b32 v68, -1, 0
	v_and_b32_e32 v72, 31, v0
	s_delay_alu instid0(VALU_DEP_3) | instskip(NEXT) | instid1(VALU_DEP_3)
	v_add3_u32 v69, v69, v74, v75
	v_and_b32_e32 v70, 15, v68
	s_delay_alu instid0(VALU_DEP_2) | instskip(NEXT) | instid1(VALU_DEP_2)
	v_mov_b32_dpp v71, v69 row_shr:1 row_mask:0xf bank_mask:0xf
	v_cmp_eq_u32_e32 vcc_lo, 0, v70
	v_cmp_lt_u32_e64 s2, 1, v70
	v_cmp_lt_u32_e64 s3, 3, v70
	;; [unrolled: 1-line block ×3, first 2 shown]
	v_cndmask_b32_e64 v71, v71, 0, vcc_lo
	s_delay_alu instid0(VALU_DEP_1) | instskip(NEXT) | instid1(VALU_DEP_1)
	v_add_nc_u32_e32 v69, v71, v69
	v_mov_b32_dpp v71, v69 row_shr:2 row_mask:0xf bank_mask:0xf
	s_delay_alu instid0(VALU_DEP_1) | instskip(NEXT) | instid1(VALU_DEP_1)
	v_cndmask_b32_e64 v71, 0, v71, s2
	v_add_nc_u32_e32 v69, v69, v71
	s_delay_alu instid0(VALU_DEP_1) | instskip(NEXT) | instid1(VALU_DEP_1)
	v_mov_b32_dpp v71, v69 row_shr:4 row_mask:0xf bank_mask:0xf
	v_cndmask_b32_e64 v71, 0, v71, s3
	s_delay_alu instid0(VALU_DEP_1) | instskip(NEXT) | instid1(VALU_DEP_1)
	v_add_nc_u32_e32 v69, v69, v71
	v_mov_b32_dpp v71, v69 row_shr:8 row_mask:0xf bank_mask:0xf
	s_delay_alu instid0(VALU_DEP_1) | instskip(SKIP_1) | instid1(VALU_DEP_2)
	v_cndmask_b32_e64 v70, 0, v71, s4
	v_bfe_i32 v71, v68, 4, 1
	v_add_nc_u32_e32 v69, v69, v70
	ds_swizzle_b32 v70, v69 offset:swizzle(BROADCAST,32,15)
	s_wait_dscnt 0x0
	v_dual_lshrrev_b32 v71, 5, v0 :: v_dual_bitop2_b32 v70, v71, v70 bitop3:0x40
	s_delay_alu instid0(VALU_DEP_1) | instskip(NEXT) | instid1(VALU_DEP_2)
	v_dual_add_nc_u32 v69, v69, v70 :: v_dual_bitop2_b32 v73, 16, v68 bitop3:0x40
	v_lshlrev_b32_e32 v70, 2, v71
	s_delay_alu instid0(VALU_DEP_2)
	v_cmp_eq_u32_e64 s5, 0, v73
	v_cmpx_eq_u32_e32 31, v72
; %bb.114:
	ds_store_b32 v70, v69 offset:32768
; %bb.115:
	s_or_b32 exec_lo, exec_lo, s7
	v_cmp_lt_u32_e64 s6, 31, v0
	s_mov_b32 s13, exec_lo
	s_wait_dscnt 0x0
	s_barrier_signal -1
	s_barrier_wait -1
	v_cmpx_gt_u32_e32 32, v0
	s_cbranch_execz .LBB373_117
; %bb.116:
	v_mad_i32_i24 v71, 0xffffffe4, v0, v67
	ds_load_b32 v72, v71 offset:32768
	s_wait_dscnt 0x0
	v_mov_b32_dpp v73, v72 row_shr:1 row_mask:0xf bank_mask:0xf
	s_delay_alu instid0(VALU_DEP_1) | instskip(NEXT) | instid1(VALU_DEP_1)
	v_cndmask_b32_e64 v73, v73, 0, vcc_lo
	v_add_nc_u32_e32 v72, v73, v72
	s_delay_alu instid0(VALU_DEP_1) | instskip(NEXT) | instid1(VALU_DEP_1)
	v_mov_b32_dpp v73, v72 row_shr:2 row_mask:0xf bank_mask:0xf
	v_cndmask_b32_e64 v73, 0, v73, s2
	s_delay_alu instid0(VALU_DEP_1) | instskip(NEXT) | instid1(VALU_DEP_1)
	v_add_nc_u32_e32 v72, v72, v73
	v_mov_b32_dpp v73, v72 row_shr:4 row_mask:0xf bank_mask:0xf
	s_delay_alu instid0(VALU_DEP_1) | instskip(NEXT) | instid1(VALU_DEP_1)
	v_cndmask_b32_e64 v73, 0, v73, s3
	v_add_nc_u32_e32 v72, v72, v73
	s_delay_alu instid0(VALU_DEP_1) | instskip(NEXT) | instid1(VALU_DEP_1)
	v_mov_b32_dpp v73, v72 row_shr:8 row_mask:0xf bank_mask:0xf
	v_cndmask_b32_e64 v73, 0, v73, s4
	s_delay_alu instid0(VALU_DEP_1) | instskip(SKIP_3) | instid1(VALU_DEP_1)
	v_add_nc_u32_e32 v72, v72, v73
	ds_swizzle_b32 v73, v72 offset:swizzle(BROADCAST,32,15)
	s_wait_dscnt 0x0
	v_cndmask_b32_e64 v73, v73, 0, s5
	v_add_nc_u32_e32 v72, v72, v73
	ds_store_b32 v71, v72 offset:32768
.LBB373_117:
	s_or_b32 exec_lo, exec_lo, s13
	v_dual_mov_b32 v72, 0 :: v_dual_mov_b32 v71, 0
	s_wait_dscnt 0x0
	s_barrier_signal -1
	s_barrier_wait -1
	s_and_saveexec_b32 s2, s6
; %bb.118:
	ds_load_b32 v71, v70 offset:32764
; %bb.119:
	s_or_b32 exec_lo, exec_lo, s2
	v_sub_co_u32 v70, vcc_lo, v68, 1
	s_wait_dscnt 0x0
	v_add_nc_u32_e32 v69, v71, v69
	s_delay_alu instid0(VALU_DEP_2) | instskip(NEXT) | instid1(VALU_DEP_1)
	v_cmp_gt_i32_e64 s2, 0, v70
	v_cndmask_b32_e64 v68, v70, v68, s2
	v_cmp_gt_u32_e64 s2, 16, v0
	s_delay_alu instid0(VALU_DEP_2)
	v_lshlrev_b32_e32 v68, 2, v68
	ds_bpermute_b32 v68, v68, v69
	ds_load_b32 v69, v72 offset:32892
	ds_load_2addr_b64 v[72:75], v67 offset1:1
	ds_load_b32 v76, v67 offset:24
	s_wait_dscnt 0x3
	v_cndmask_b32_e32 v68, v68, v71, vcc_lo
	ds_load_b64 v[70:71], v67 offset:16
	v_cmp_lt_u32_e32 vcc_lo, 15, v0
	s_wait_dscnt 0x3
	v_lshl_add_u32 v68, v69, 16, v68
	s_wait_dscnt 0x2
	s_delay_alu instid0(VALU_DEP_1) | instskip(NEXT) | instid1(VALU_DEP_1)
	v_add_nc_u32_e32 v69, v68, v72
	v_add_nc_u32_e32 v72, v73, v69
	s_delay_alu instid0(VALU_DEP_1) | instskip(NEXT) | instid1(VALU_DEP_1)
	v_add_nc_u32_e32 v73, v74, v72
	v_add_nc_u32_e32 v74, v75, v73
	s_wait_dscnt 0x0
	s_delay_alu instid0(VALU_DEP_1) | instskip(NEXT) | instid1(VALU_DEP_1)
	v_add_nc_u32_e32 v75, v70, v74
	v_add_nc_u32_e32 v70, v71, v75
	s_delay_alu instid0(VALU_DEP_1)
	v_add_nc_u32_e32 v71, v76, v70
	ds_store_2addr_b64 v67, v[68:69], v[72:73] offset1:1
	ds_store_2addr_b64 v67, v[74:75], v[70:71] offset0:2 offset1:3
	s_wait_dscnt 0x0
	s_barrier_signal -1
	s_barrier_wait -1
	ds_load_u16 v17, v17
	ds_load_u16 v20, v20
	;; [unrolled: 1-line block ×22, first 2 shown]
	v_mov_b64_e32 v[2:3], 0
                                        ; implicit-def: $vgpr4
	s_and_saveexec_b32 s4, s2
	s_cbranch_execz .LBB373_123
; %bb.120:
	v_dual_lshlrev_b32 v2, 12, v0 :: v_dual_lshrrev_b32 v3, 2, v0
	v_add_nc_u32_e32 v4, 1, v0
	s_mov_b32 s5, exec_lo
	s_delay_alu instid0(VALU_DEP_2)
	v_bitop3_b32 v2, v2, 0x70fe, v3 bitop3:0xc8
	v_mov_b32_e32 v3, 0x5800
	ds_load_u16 v2, v2
	v_cmpx_ne_u32_e32 16, v4
; %bb.121:
	v_dual_lshlrev_b32 v3, 12, v4 :: v_dual_lshrrev_b32 v4, 2, v4
	s_delay_alu instid0(VALU_DEP_1)
	v_bitop3_b32 v3, v3, 0x71fe, v4 bitop3:0xc8
	ds_load_u16 v3, v3
; %bb.122:
	s_or_b32 exec_lo, exec_lo, s5
	s_wait_dscnt 0x0
	v_and_b32_e32 v2, 0xffff, v2
	s_mov_b32 s3, 0
	s_delay_alu instid0(VALU_DEP_1) | instid1(SALU_CYCLE_1)
	v_dual_mov_b32 v3, s3 :: v_dual_sub_nc_u32 v4, v3, v2
.LBB373_123:
	s_or_b32 exec_lo, exec_lo, s4
	s_wait_dscnt 0x15
	v_and_b32_e32 v17, 0xffff, v17
	v_and_b32_e32 v11, 0xffff, v11
	s_wait_dscnt 0x14
	v_and_b32_e32 v20, 0xffff, v20
	v_and_b32_e32 v14, 0xffff, v14
	;; [unrolled: 3-line block ×4, first 2 shown]
	v_dual_add_nc_u32 v11, v17, v11 :: v_dual_add_nc_u32 v14, v20, v14
	s_wait_dscnt 0x11
	v_and_b32_e32 v34, 0xffff, v34
	v_and_b32_e32 v21, 0xffff, v21
	s_wait_dscnt 0x10
	v_and_b32_e32 v41, 0xffff, v41
	v_and_b32_e32 v25, 0xffff, v25
	v_add_nc_u32_e32 v15, v67, v15
	s_wait_dscnt 0xf
	v_and_b32_e32 v68, 0xffff, v68
	v_and_b32_e32 v29, 0xffff, v29
	s_wait_dscnt 0xe
	v_and_b32_e32 v47, 0xffff, v47
	v_and_b32_e32 v31, 0xffff, v31
	;; [unrolled: 3-line block ×3, first 2 shown]
	s_wait_dscnt 0x0
	s_barrier_signal -1
	s_barrier_wait -1
	ds_store_b8 v11, v1 offset:128
	ds_store_b8 v14, v7 offset:128
	;; [unrolled: 1-line block ×3, first 2 shown]
	v_dual_add_nc_u32 v1, v27, v19 :: v_dual_add_nc_u32 v10, v41, v25
	v_and_b32_e32 v51, 0xffff, v51
	v_and_b32_e32 v35, 0xffff, v35
	v_add_nc_u32_e32 v7, v34, v21
	v_and_b32_e32 v69, 0xffff, v69
	v_and_b32_e32 v38, 0xffff, v38
	;; [unrolled: 1-line block ×4, first 2 shown]
	v_dual_add_nc_u32 v11, v68, v29 :: v_dual_add_nc_u32 v14, v47, v31
	v_and_b32_e32 v56, 0xffff, v56
	v_and_b32_e32 v43, 0xffff, v43
	;; [unrolled: 1-line block ×4, first 2 shown]
	ds_store_b8 v1, v12 offset:128
	ds_store_b8 v7, v13 offset:128
	;; [unrolled: 1-line block ×5, first 2 shown]
	v_dual_add_nc_u32 v1, v49, v33 :: v_dual_add_nc_u32 v6, v51, v35
	v_and_b32_e32 v59, 0xffff, v59
	v_and_b32_e32 v45, 0xffff, v45
	v_and_b32_e32 v60, 0xffff, v60
	v_and_b32_e32 v46, 0xffff, v46
	v_dual_add_nc_u32 v7, v69, v38 :: v_dual_add_nc_u32 v10, v54, v40
	v_and_b32_e32 v61, 0xffff, v61
	v_and_b32_e32 v48, 0xffff, v48
	;; [unrolled: 1-line block ×4, first 2 shown]
	v_add_nc_u32_e32 v11, v56, v43
	ds_store_b8 v1, v22 offset:128
	ds_store_b8 v6, v23 offset:128
	;; [unrolled: 1-line block ×5, first 2 shown]
	v_dual_add_nc_u32 v1, v58, v44 :: v_dual_add_nc_u32 v6, v59, v45
	v_dual_add_nc_u32 v7, v60, v46 :: v_dual_add_nc_u32 v10, v61, v48
	v_add_nc_u32_e32 v11, v62, v50
	v_and_b32_e32 v63, 0xffff, v63
	v_and_b32_e32 v66, 0xffff, v66
	;; [unrolled: 1-line block ×4, first 2 shown]
	ds_store_b8 v1, v30 offset:128
	ds_store_b8 v6, v32 offset:128
	;; [unrolled: 1-line block ×5, first 2 shown]
	v_mov_b32_e32 v7, 0
	v_and_b32_e32 v64, 0xffff, v64
	v_and_b32_e32 v53, 0xffff, v53
	;; [unrolled: 1-line block ×4, first 2 shown]
	v_dual_add_nc_u32 v6, v63, v52 :: v_dual_add_nc_u32 v12, v66, v57
	v_dual_mov_b32 v1, v7 :: v_dual_lshlrev_b32 v5, 3, v0
	s_delay_alu instid0(VALU_DEP_3)
	v_dual_add_nc_u32 v10, v64, v53 :: v_dual_add_nc_u32 v11, v65, v55
	s_not_b32 s3, s12
	ds_store_b8 v6, v37 offset:128
	ds_store_b8 v10, v8 offset:128
	;; [unrolled: 1-line block ×4, first 2 shown]
	s_and_saveexec_b32 s4, s2
	s_cbranch_execz .LBB373_133
; %bb.124:
	v_lshl_add_u32 v6, s19, 4, v0
	v_dual_mov_b32 v10, 0 :: v_dual_bitop2_b32 v11, 2.0, v4 bitop3:0x54
	s_mov_b32 s5, 0
	s_mov_b32 s6, s19
	s_delay_alu instid0(VALU_DEP_2)
	v_lshl_add_u64 v[8:9], v[6:7], 2, s[20:21]
	global_store_b32 v6, v11, s[20:21] scale_offset scope:SCOPE_DEV
                                        ; implicit-def: $sgpr2
	s_branch .LBB373_127
.LBB373_125:                            ;   in Loop: Header=BB373_127 Depth=1
	s_or_b32 exec_lo, exec_lo, s12
.LBB373_126:                            ;   in Loop: Header=BB373_127 Depth=1
	s_delay_alu instid0(SALU_CYCLE_1) | instskip(SKIP_2) | instid1(VALU_DEP_2)
	s_or_b32 exec_lo, exec_lo, s7
	v_and_b32_e32 v6, 0x3fffffff, v11
	v_cmp_gt_i32_e64 s2, -2.0, v11
	v_add_nc_u32_e32 v10, v6, v10
	s_and_b32 s7, exec_lo, s2
	s_delay_alu instid0(SALU_CYCLE_1) | instskip(NEXT) | instid1(SALU_CYCLE_1)
	s_or_b32 s5, s7, s5
	s_and_not1_b32 exec_lo, exec_lo, s5
	s_cbranch_execz .LBB373_132
.LBB373_127:                            ; =>This Loop Header: Depth=1
                                        ;     Child Loop BB373_130 Depth 2
	s_or_b32 s2, s2, exec_lo
	s_cmp_eq_u32 s6, 0
	s_cbranch_scc1 .LBB373_131
; %bb.128:                              ;   in Loop: Header=BB373_127 Depth=1
	s_add_co_i32 s6, s6, -1
	s_mov_b32 s7, exec_lo
	s_wait_xcnt 0x0
	v_lshl_or_b32 v6, s6, 4, v0
	global_load_b32 v11, v6, s[20:21] scale_offset scope:SCOPE_DEV
	s_wait_loadcnt 0x0
	v_cmpx_gt_u32_e32 2.0, v11
	s_cbranch_execz .LBB373_126
; %bb.129:                              ;   in Loop: Header=BB373_127 Depth=1
	v_lshl_add_u64 v[12:13], v[6:7], 2, s[20:21]
	s_mov_b32 s12, 0
.LBB373_130:                            ;   Parent Loop BB373_127 Depth=1
                                        ; =>  This Inner Loop Header: Depth=2
	global_load_b32 v11, v[12:13], off scope:SCOPE_DEV
	s_wait_loadcnt 0x0
	v_cmp_lt_u32_e64 s2, 0x3fffffff, v11
	s_or_b32 s12, s2, s12
	s_wait_xcnt 0x0
	s_and_not1_b32 exec_lo, exec_lo, s12
	s_cbranch_execnz .LBB373_130
	s_branch .LBB373_125
.LBB373_131:                            ;   in Loop: Header=BB373_127 Depth=1
                                        ; implicit-def: $sgpr6
	s_and_b32 s7, exec_lo, s2
	s_delay_alu instid0(SALU_CYCLE_1)
	s_or_b32 s5, s7, s5
	s_wait_xcnt 0x0
	s_and_not1_b32 exec_lo, exec_lo, s5
	s_cbranch_execnz .LBB373_127
.LBB373_132:
	s_or_b32 exec_lo, exec_lo, s5
	v_dual_mov_b32 v11, 0 :: v_dual_add_nc_u32 v6, v10, v4
	s_delay_alu instid0(VALU_DEP_1) | instskip(SKIP_4) | instid1(VALU_DEP_1)
	v_or_b32_e32 v6, 0x80000000, v6
	global_store_b32 v[8:9], v6, off scope:SCOPE_DEV
	global_load_b64 v[6:7], v0, s[8:9] scale_offset
	v_sub_nc_u64_e32 v[8:9], v[10:11], v[2:3]
	s_wait_loadcnt 0x0
	v_add_nc_u64_e32 v[6:7], v[8:9], v[6:7]
	ds_store_b64 v5, v[6:7]
.LBB373_133:
	s_wait_xcnt 0x0
	s_or_b32 exec_lo, exec_lo, s4
	s_wait_storecnt_dscnt 0x0
	s_barrier_signal -1
	s_barrier_wait -1
	ds_load_u8 v26, v0 offset:20608
	ds_load_u8 v27, v0 offset:21632
	ds_load_u8 v28, v0 offset:18560
	ds_load_u8 v29, v0 offset:19584
	ds_load_u8 v20, v0 offset:128
	ds_load_u8 v8, v0 offset:1152
	ds_load_u8 v10, v0 offset:2176
	ds_load_u8 v30, v0 offset:3200
	ds_load_u8 v31, v0 offset:4224
	ds_load_u8 v32, v0 offset:5248
	ds_load_u8 v33, v0 offset:6272
	ds_load_u8 v34, v0 offset:7296
	ds_load_u8 v35, v0 offset:8320
	ds_load_u8 v36, v0 offset:9344
	ds_load_u8 v37, v0 offset:10368
	ds_load_u8 v38, v0 offset:11392
	ds_load_u8 v39, v0 offset:12416
	ds_load_u8 v40, v0 offset:13440
	ds_load_u8 v41, v0 offset:14464
	ds_load_u8 v42, v0 offset:15488
	ds_load_u8 v43, v0 offset:16512
	ds_load_u8 v44, v0 offset:17536
	s_wait_dscnt 0xf
	v_and_b32_e32 v12, 0xff, v10
	v_xor_b32_e32 v45, 0x7f, v10
	s_wait_dscnt 0xe
	v_and_b32_e32 v10, 0xff, v30
	s_wait_dscnt 0xd
	v_and_b32_e32 v18, 0xff, v31
	v_and_b32_e32 v6, 0xff, v26
	;; [unrolled: 1-line block ×5, first 2 shown]
	v_dual_lshrrev_b32 v12, s16, v12 :: v_dual_lshrrev_b32 v10, s16, v10
	s_delay_alu instid0(VALU_DEP_4) | instskip(NEXT) | instid1(VALU_DEP_3)
	v_dual_lshrrev_b32 v6, s16, v6 :: v_dual_lshrrev_b32 v7, s16, v7
	v_dual_lshrrev_b32 v13, s16, v13 :: v_dual_lshrrev_b32 v11, s16, v11
	s_delay_alu instid0(VALU_DEP_3) | instskip(NEXT) | instid1(VALU_DEP_4)
	v_and_b32_e32 v10, s3, v10
	v_and_b32_e32 v12, s3, v12
	s_delay_alu instid0(VALU_DEP_4) | instskip(SKIP_4) | instid1(VALU_DEP_4)
	v_and_b32_e32 v7, s3, v7
	v_and_b32_e32 v6, s3, v6
	;; [unrolled: 1-line block ×4, first 2 shown]
	v_xor_b32_e32 v24, 0x7f, v8
	v_dual_lshlrev_b32 v9, 3, v7 :: v_dual_lshlrev_b32 v6, 3, v6
	s_delay_alu instid0(VALU_DEP_3)
	v_dual_lshlrev_b32 v14, 3, v11 :: v_dual_lshlrev_b32 v13, 3, v13
	ds_load_b64 v[6:7], v6
	ds_load_b64 v[8:9], v9
	v_dual_lshlrev_b32 v16, 3, v10 :: v_dual_lshlrev_b32 v15, 3, v12
	ds_load_b64 v[10:11], v13
	ds_load_b64 v[12:13], v14
	s_wait_dscnt 0x10
	v_and_b32_e32 v19, 0xff, v32
	s_wait_dscnt 0xf
	v_and_b32_e32 v21, 0xff, v33
	;; [unrolled: 2-line block ×3, first 2 shown]
	v_lshrrev_b32_e32 v18, s16, v18
	ds_load_b64 v[14:15], v15
	ds_load_b64 v[16:17], v16
	v_lshrrev_b32_e32 v19, s16, v19
	s_wait_dscnt 0xf
	v_and_b32_e32 v23, 0xff, v35
	s_wait_dscnt 0xe
	v_and_b32_e32 v25, 0xff, v36
	v_dual_lshrrev_b32 v21, s16, v21 :: v_dual_lshrrev_b32 v22, s16, v22
	v_and_b32_e32 v19, s3, v19
	v_and_b32_e32 v18, s3, v18
	s_wait_dscnt 0xd
	v_and_b32_e32 v46, 0xff, v37
	v_dual_lshrrev_b32 v23, s16, v23 :: v_dual_lshrrev_b32 v25, s16, v25
	v_and_b32_e32 v48, s3, v22
	v_dual_lshlrev_b32 v22, 3, v19 :: v_dual_bitop2_b32 v21, s3, v21 bitop3:0x40
	v_lshlrev_b32_e32 v18, 3, v18
	s_wait_dscnt 0x3
	v_add_nc_u64_e32 v[10:11], s[14:15], v[10:11]
	s_wait_dscnt 0x2
	v_add_nc_u64_e32 v[12:13], s[14:15], v[12:13]
	v_dual_lshrrev_b32 v46, s16, v46 :: v_dual_bitop2_b32 v25, s3, v25 bitop3:0x40
	v_dual_lshlrev_b32 v23, 3, v21 :: v_dual_bitop2_b32 v49, s3, v23 bitop3:0x40
	ds_load_b64 v[18:19], v18
	v_add_nc_u64_e32 v[10:11], v[10:11], v[0:1]
	v_add_nc_u64_e32 v[12:13], v[12:13], v[0:1]
	v_xor_b32_e32 v50, 0x7f, v20
	ds_load_b64 v[20:21], v22
	ds_load_b64 v[22:23], v23
	v_and_b32_e32 v47, 0xff, v38
	s_wait_dscnt 0x4
	v_add_nc_u64_e32 v[14:15], s[14:15], v[14:15]
	s_wait_dscnt 0x3
	v_add_nc_u64_e32 v[16:17], s[14:15], v[16:17]
	s_clause 0x1
	global_store_b8 v[10:11], v50, off
	global_store_b8 v[12:13], v24, off offset:1024
	s_wait_xcnt 0x0
	v_dual_lshlrev_b32 v10, 3, v48 :: v_dual_lshlrev_b32 v24, 3, v25
	v_dual_lshlrev_b32 v12, 3, v49 :: v_dual_lshrrev_b32 v47, s16, v47
	v_add_nc_u64_e32 v[14:15], v[14:15], v[0:1]
	ds_load_b64 v[10:11], v10
	ds_load_b64 v[12:13], v12
	;; [unrolled: 1-line block ×3, first 2 shown]
	v_and_b32_e32 v46, s3, v46
	v_and_b32_e32 v47, s3, v47
	v_add_nc_u64_e32 v[16:17], v[16:17], v[0:1]
	v_xor_b32_e32 v30, 0x7f, v30
	global_store_b8 v[14:15], v45, off offset:2048
	s_wait_xcnt 0x0
	v_lshlrev_b32_e32 v45, 3, v46
	s_wait_dscnt 0x5
	v_add_nc_u64_e32 v[14:15], s[14:15], v[18:19]
	v_lshlrev_b32_e32 v46, 3, v47
	s_wait_dscnt 0x3
	v_add_nc_u64_e32 v[18:19], s[14:15], v[22:23]
	global_store_b8 v[16:17], v30, off offset:3072
	s_wait_xcnt 0x0
	v_add_nc_u64_e32 v[16:17], s[14:15], v[20:21]
	ds_load_b64 v[20:21], v45
	ds_load_b64 v[22:23], v46
	v_xor_b32_e32 v30, 0x7f, v31
	v_add_nc_u64_e32 v[14:15], v[14:15], v[0:1]
	v_xor_b32_e32 v31, 0x7f, v32
	v_add_nc_u64_e32 v[18:19], v[18:19], v[0:1]
	v_xor_b32_e32 v32, 0x7f, v33
	s_wait_dscnt 0x4
	v_add_nc_u64_e32 v[10:11], s[14:15], v[10:11]
	s_wait_dscnt 0x3
	v_add_nc_u64_e32 v[12:13], s[14:15], v[12:13]
	v_add_nc_u64_e32 v[16:17], v[16:17], v[0:1]
	global_store_b8 v[14:15], v30, off offset:4096
	s_wait_dscnt 0x2
	s_wait_xcnt 0x0
	v_add_nc_u64_e32 v[14:15], s[14:15], v[24:25]
	s_clause 0x1
	global_store_b8 v[16:17], v31, off offset:5120
	global_store_b8 v[18:19], v32, off offset:6144
	v_add_nc_u64_e32 v[10:11], v[10:11], v[0:1]
	v_add_nc_u64_e32 v[14:15], v[14:15], v[0:1]
	;; [unrolled: 1-line block ×3, first 2 shown]
	v_xor_b32_e32 v24, 0x7f, v34
	v_xor_b32_e32 v30, 0x7f, v36
	s_wait_dscnt 0x1
	s_wait_xcnt 0x1
	v_add_nc_u64_e32 v[16:17], s[14:15], v[20:21]
	v_and_b32_e32 v20, 0xff, v39
	v_xor_b32_e32 v25, 0x7f, v35
	s_clause 0x2
	global_store_b8 v[10:11], v24, off offset:7168
	global_store_b8 v[12:13], v25, off offset:8192
	;; [unrolled: 1-line block ×3, first 2 shown]
	s_wait_xcnt 0x0
	v_lshrrev_b32_e32 v14, s16, v20
	v_and_b32_e32 v15, 0xff, v40
	s_wait_dscnt 0x0
	v_add_nc_u64_e32 v[18:19], s[14:15], v[22:23]
	v_add_nc_u64_e32 v[10:11], v[16:17], v[0:1]
	v_and_b32_e32 v16, 0xff, v41
	v_and_b32_e32 v17, 0xff, v42
	v_dual_lshrrev_b32 v15, s16, v15 :: v_dual_bitop2_b32 v14, s3, v14 bitop3:0x40
	v_and_b32_e32 v23, 0xff, v44
	v_add_nc_u64_e32 v[12:13], v[18:19], v[0:1]
	v_and_b32_e32 v18, 0xff, v43
	v_dual_lshrrev_b32 v16, s16, v16 :: v_dual_lshrrev_b32 v17, s16, v17
	v_dual_lshlrev_b32 v14, 3, v14 :: v_dual_bitop2_b32 v19, s3, v15 bitop3:0x40
	s_delay_alu instid0(VALU_DEP_2)
	v_dual_lshrrev_b32 v18, s16, v18 :: v_dual_bitop2_b32 v16, s3, v16 bitop3:0x40
	v_and_b32_e32 v25, 0xff, v28
	ds_load_b64 v[14:15], v14
	v_dual_lshlrev_b32 v19, 3, v19 :: v_dual_bitop2_b32 v17, s3, v17 bitop3:0x40
	v_dual_lshlrev_b32 v20, 3, v16 :: v_dual_bitop2_b32 v18, s3, v18 bitop3:0x40
	v_and_b32_e32 v30, 0xff, v29
	v_xor_b32_e32 v24, 0x7f, v37
	s_delay_alu instid0(VALU_DEP_4) | instskip(NEXT) | instid1(VALU_DEP_4)
	v_dual_lshlrev_b32 v21, 3, v17 :: v_dual_lshrrev_b32 v31, s16, v23
	v_lshlrev_b32_e32 v22, 3, v18
	ds_load_b64 v[16:17], v19
	ds_load_b64 v[18:19], v20
	;; [unrolled: 1-line block ×3, first 2 shown]
	v_dual_lshrrev_b32 v25, s16, v25 :: v_dual_lshrrev_b32 v30, s16, v30
	v_xor_b32_e32 v32, 0x7f, v38
	global_store_b8 v[10:11], v24, off offset:10240
	ds_load_b64 v[22:23], v22
	s_wait_xcnt 0x0
	v_and_b32_e32 v10, s3, v25
	v_and_b32_e32 v31, s3, v31
	global_store_b8 v[12:13], v32, off offset:11264
	s_wait_xcnt 0x0
	v_and_b32_e32 v12, s3, v30
	v_xor_b32_e32 v30, 0x7f, v39
	v_dual_lshlrev_b32 v24, 3, v10 :: v_dual_lshlrev_b32 v13, 3, v31
	s_wait_dscnt 0x4
	v_add_nc_u64_e32 v[10:11], s[14:15], v[14:15]
	v_lshlrev_b32_e32 v25, 3, v12
	v_xor_b32_e32 v31, 0x7f, v40
	v_xor_b32_e32 v32, 0x7f, v41
	;; [unrolled: 1-line block ×3, first 2 shown]
	s_wait_dscnt 0x3
	v_add_nc_u64_e32 v[14:15], s[14:15], v[16:17]
	ds_load_b64 v[16:17], v24
	ds_load_b64 v[12:13], v13
	;; [unrolled: 1-line block ×3, first 2 shown]
	s_wait_dscnt 0x5
	v_add_nc_u64_e32 v[18:19], s[14:15], v[18:19]
	s_wait_dscnt 0x4
	v_add_nc_u64_e32 v[20:21], s[14:15], v[20:21]
	v_add_nc_u64_e32 v[10:11], v[10:11], v[0:1]
	;; [unrolled: 1-line block ×3, first 2 shown]
	s_wait_dscnt 0x3
	v_add_nc_u64_e32 v[22:23], s[14:15], v[22:23]
	v_add_nc_u64_e32 v[6:7], s[14:15], v[6:7]
	;; [unrolled: 1-line block ×5, first 2 shown]
	s_clause 0x3
	global_store_b8 v[10:11], v30, off offset:12288
	global_store_b8 v[14:15], v31, off offset:13312
	;; [unrolled: 1-line block ×4, first 2 shown]
	v_add_nc_u64_e32 v[22:23], v[22:23], v[0:1]
	s_wait_xcnt 0x3
	v_xor_b32_e32 v30, 0x7f, v43
	v_add_nc_u64_e32 v[6:7], v[6:7], v[0:1]
	s_wait_xcnt 0x1
	v_xor_b32_e32 v18, 0x7f, v29
	s_wait_dscnt 0x1
	v_add_nc_u64_e32 v[10:11], s[14:15], v[12:13]
	v_add_nc_u64_e32 v[12:13], s[14:15], v[16:17]
	s_wait_dscnt 0x0
	v_add_nc_u64_e32 v[14:15], s[14:15], v[24:25]
	v_xor_b32_e32 v16, 0x7f, v44
	v_xor_b32_e32 v17, 0x7f, v28
	v_add_nc_u64_e32 v[8:9], v[8:9], v[0:1]
	v_xor_b32_e32 v19, 0x7f, v27
	v_add_nc_u64_e32 v[10:11], v[10:11], v[0:1]
	v_add_nc_u64_e32 v[12:13], v[12:13], v[0:1]
	;; [unrolled: 1-line block ×3, first 2 shown]
	v_xor_b32_e32 v1, 0x7f, v26
	s_clause 0x5
	global_store_b8 v[22:23], v30, off offset:16384
	global_store_b8 v[10:11], v16, off offset:17408
	;; [unrolled: 1-line block ×6, first 2 shown]
	s_load_b32 s0, s[0:1], 0x58
	s_wait_kmcnt 0x0
	s_add_co_i32 s0, s0, -1
	s_delay_alu instid0(SALU_CYCLE_1) | instskip(SKIP_2) | instid1(SALU_CYCLE_1)
	s_cmp_eq_u32 s19, s0
	s_cselect_b32 s0, -1, 0
	s_xor_b32 s1, vcc_lo, -1
	s_and_b32 s0, s1, s0
	s_delay_alu instid0(SALU_CYCLE_1)
	s_and_saveexec_b32 s1, s0
	s_cbranch_execz .LBB373_135
; %bb.134:
	ds_load_b64 v[6:7], v5
	v_mov_b32_e32 v5, 0
	s_delay_alu instid0(VALU_DEP_1) | instskip(SKIP_1) | instid1(VALU_DEP_1)
	v_add_nc_u64_e32 v[2:3], v[2:3], v[4:5]
	s_wait_dscnt 0x0
	v_add_nc_u64_e32 v[2:3], v[2:3], v[6:7]
	global_store_b64 v0, v[2:3], s[10:11] scale_offset
.LBB373_135:
	s_sendmsg sendmsg(MSG_DEALLOC_VGPRS)
	s_endpgm
	.section	.rodata,"a",@progbits
	.p2align	6, 0x0
	.amdhsa_kernel _ZN7rocprim17ROCPRIM_400000_NS6detail17trampoline_kernelINS0_14default_configENS1_35radix_sort_onesweep_config_selectorIaNS0_10empty_typeEEEZZNS1_29radix_sort_onesweep_iterationIS3_Lb1EPKaPaPS5_SB_mNS0_19identity_decomposerENS1_16block_id_wrapperIjLb0EEEEE10hipError_tT1_PNSt15iterator_traitsISG_E10value_typeET2_T3_PNSH_ISM_E10value_typeET4_T5_PSR_SS_PNS1_23onesweep_lookback_stateEbbT6_jjT7_P12ihipStream_tbENKUlT_T0_SG_SL_E_clIS9_SA_SB_SB_EEDaSZ_S10_SG_SL_EUlSZ_E_NS1_11comp_targetILNS1_3genE0ELNS1_11target_archE4294967295ELNS1_3gpuE0ELNS1_3repE0EEENS1_47radix_sort_onesweep_sort_config_static_selectorELNS0_4arch9wavefront6targetE0EEEvSG_
		.amdhsa_group_segment_fixed_size 32904
		.amdhsa_private_segment_fixed_size 0
		.amdhsa_kernarg_size 344
		.amdhsa_user_sgpr_count 2
		.amdhsa_user_sgpr_dispatch_ptr 0
		.amdhsa_user_sgpr_queue_ptr 0
		.amdhsa_user_sgpr_kernarg_segment_ptr 1
		.amdhsa_user_sgpr_dispatch_id 0
		.amdhsa_user_sgpr_kernarg_preload_length 0
		.amdhsa_user_sgpr_kernarg_preload_offset 0
		.amdhsa_user_sgpr_private_segment_size 0
		.amdhsa_wavefront_size32 1
		.amdhsa_uses_dynamic_stack 0
		.amdhsa_enable_private_segment 0
		.amdhsa_system_sgpr_workgroup_id_x 1
		.amdhsa_system_sgpr_workgroup_id_y 0
		.amdhsa_system_sgpr_workgroup_id_z 0
		.amdhsa_system_sgpr_workgroup_info 0
		.amdhsa_system_vgpr_workitem_id 0
		.amdhsa_next_free_vgpr 79
		.amdhsa_next_free_sgpr 25
		.amdhsa_named_barrier_count 0
		.amdhsa_reserve_vcc 1
		.amdhsa_float_round_mode_32 0
		.amdhsa_float_round_mode_16_64 0
		.amdhsa_float_denorm_mode_32 3
		.amdhsa_float_denorm_mode_16_64 3
		.amdhsa_fp16_overflow 0
		.amdhsa_memory_ordered 1
		.amdhsa_forward_progress 1
		.amdhsa_inst_pref_size 116
		.amdhsa_round_robin_scheduling 0
		.amdhsa_exception_fp_ieee_invalid_op 0
		.amdhsa_exception_fp_denorm_src 0
		.amdhsa_exception_fp_ieee_div_zero 0
		.amdhsa_exception_fp_ieee_overflow 0
		.amdhsa_exception_fp_ieee_underflow 0
		.amdhsa_exception_fp_ieee_inexact 0
		.amdhsa_exception_int_div_zero 0
	.end_amdhsa_kernel
	.section	.text._ZN7rocprim17ROCPRIM_400000_NS6detail17trampoline_kernelINS0_14default_configENS1_35radix_sort_onesweep_config_selectorIaNS0_10empty_typeEEEZZNS1_29radix_sort_onesweep_iterationIS3_Lb1EPKaPaPS5_SB_mNS0_19identity_decomposerENS1_16block_id_wrapperIjLb0EEEEE10hipError_tT1_PNSt15iterator_traitsISG_E10value_typeET2_T3_PNSH_ISM_E10value_typeET4_T5_PSR_SS_PNS1_23onesweep_lookback_stateEbbT6_jjT7_P12ihipStream_tbENKUlT_T0_SG_SL_E_clIS9_SA_SB_SB_EEDaSZ_S10_SG_SL_EUlSZ_E_NS1_11comp_targetILNS1_3genE0ELNS1_11target_archE4294967295ELNS1_3gpuE0ELNS1_3repE0EEENS1_47radix_sort_onesweep_sort_config_static_selectorELNS0_4arch9wavefront6targetE0EEEvSG_,"axG",@progbits,_ZN7rocprim17ROCPRIM_400000_NS6detail17trampoline_kernelINS0_14default_configENS1_35radix_sort_onesweep_config_selectorIaNS0_10empty_typeEEEZZNS1_29radix_sort_onesweep_iterationIS3_Lb1EPKaPaPS5_SB_mNS0_19identity_decomposerENS1_16block_id_wrapperIjLb0EEEEE10hipError_tT1_PNSt15iterator_traitsISG_E10value_typeET2_T3_PNSH_ISM_E10value_typeET4_T5_PSR_SS_PNS1_23onesweep_lookback_stateEbbT6_jjT7_P12ihipStream_tbENKUlT_T0_SG_SL_E_clIS9_SA_SB_SB_EEDaSZ_S10_SG_SL_EUlSZ_E_NS1_11comp_targetILNS1_3genE0ELNS1_11target_archE4294967295ELNS1_3gpuE0ELNS1_3repE0EEENS1_47radix_sort_onesweep_sort_config_static_selectorELNS0_4arch9wavefront6targetE0EEEvSG_,comdat
.Lfunc_end373:
	.size	_ZN7rocprim17ROCPRIM_400000_NS6detail17trampoline_kernelINS0_14default_configENS1_35radix_sort_onesweep_config_selectorIaNS0_10empty_typeEEEZZNS1_29radix_sort_onesweep_iterationIS3_Lb1EPKaPaPS5_SB_mNS0_19identity_decomposerENS1_16block_id_wrapperIjLb0EEEEE10hipError_tT1_PNSt15iterator_traitsISG_E10value_typeET2_T3_PNSH_ISM_E10value_typeET4_T5_PSR_SS_PNS1_23onesweep_lookback_stateEbbT6_jjT7_P12ihipStream_tbENKUlT_T0_SG_SL_E_clIS9_SA_SB_SB_EEDaSZ_S10_SG_SL_EUlSZ_E_NS1_11comp_targetILNS1_3genE0ELNS1_11target_archE4294967295ELNS1_3gpuE0ELNS1_3repE0EEENS1_47radix_sort_onesweep_sort_config_static_selectorELNS0_4arch9wavefront6targetE0EEEvSG_, .Lfunc_end373-_ZN7rocprim17ROCPRIM_400000_NS6detail17trampoline_kernelINS0_14default_configENS1_35radix_sort_onesweep_config_selectorIaNS0_10empty_typeEEEZZNS1_29radix_sort_onesweep_iterationIS3_Lb1EPKaPaPS5_SB_mNS0_19identity_decomposerENS1_16block_id_wrapperIjLb0EEEEE10hipError_tT1_PNSt15iterator_traitsISG_E10value_typeET2_T3_PNSH_ISM_E10value_typeET4_T5_PSR_SS_PNS1_23onesweep_lookback_stateEbbT6_jjT7_P12ihipStream_tbENKUlT_T0_SG_SL_E_clIS9_SA_SB_SB_EEDaSZ_S10_SG_SL_EUlSZ_E_NS1_11comp_targetILNS1_3genE0ELNS1_11target_archE4294967295ELNS1_3gpuE0ELNS1_3repE0EEENS1_47radix_sort_onesweep_sort_config_static_selectorELNS0_4arch9wavefront6targetE0EEEvSG_
                                        ; -- End function
	.set _ZN7rocprim17ROCPRIM_400000_NS6detail17trampoline_kernelINS0_14default_configENS1_35radix_sort_onesweep_config_selectorIaNS0_10empty_typeEEEZZNS1_29radix_sort_onesweep_iterationIS3_Lb1EPKaPaPS5_SB_mNS0_19identity_decomposerENS1_16block_id_wrapperIjLb0EEEEE10hipError_tT1_PNSt15iterator_traitsISG_E10value_typeET2_T3_PNSH_ISM_E10value_typeET4_T5_PSR_SS_PNS1_23onesweep_lookback_stateEbbT6_jjT7_P12ihipStream_tbENKUlT_T0_SG_SL_E_clIS9_SA_SB_SB_EEDaSZ_S10_SG_SL_EUlSZ_E_NS1_11comp_targetILNS1_3genE0ELNS1_11target_archE4294967295ELNS1_3gpuE0ELNS1_3repE0EEENS1_47radix_sort_onesweep_sort_config_static_selectorELNS0_4arch9wavefront6targetE0EEEvSG_.num_vgpr, 79
	.set _ZN7rocprim17ROCPRIM_400000_NS6detail17trampoline_kernelINS0_14default_configENS1_35radix_sort_onesweep_config_selectorIaNS0_10empty_typeEEEZZNS1_29radix_sort_onesweep_iterationIS3_Lb1EPKaPaPS5_SB_mNS0_19identity_decomposerENS1_16block_id_wrapperIjLb0EEEEE10hipError_tT1_PNSt15iterator_traitsISG_E10value_typeET2_T3_PNSH_ISM_E10value_typeET4_T5_PSR_SS_PNS1_23onesweep_lookback_stateEbbT6_jjT7_P12ihipStream_tbENKUlT_T0_SG_SL_E_clIS9_SA_SB_SB_EEDaSZ_S10_SG_SL_EUlSZ_E_NS1_11comp_targetILNS1_3genE0ELNS1_11target_archE4294967295ELNS1_3gpuE0ELNS1_3repE0EEENS1_47radix_sort_onesweep_sort_config_static_selectorELNS0_4arch9wavefront6targetE0EEEvSG_.num_agpr, 0
	.set _ZN7rocprim17ROCPRIM_400000_NS6detail17trampoline_kernelINS0_14default_configENS1_35radix_sort_onesweep_config_selectorIaNS0_10empty_typeEEEZZNS1_29radix_sort_onesweep_iterationIS3_Lb1EPKaPaPS5_SB_mNS0_19identity_decomposerENS1_16block_id_wrapperIjLb0EEEEE10hipError_tT1_PNSt15iterator_traitsISG_E10value_typeET2_T3_PNSH_ISM_E10value_typeET4_T5_PSR_SS_PNS1_23onesweep_lookback_stateEbbT6_jjT7_P12ihipStream_tbENKUlT_T0_SG_SL_E_clIS9_SA_SB_SB_EEDaSZ_S10_SG_SL_EUlSZ_E_NS1_11comp_targetILNS1_3genE0ELNS1_11target_archE4294967295ELNS1_3gpuE0ELNS1_3repE0EEENS1_47radix_sort_onesweep_sort_config_static_selectorELNS0_4arch9wavefront6targetE0EEEvSG_.numbered_sgpr, 25
	.set _ZN7rocprim17ROCPRIM_400000_NS6detail17trampoline_kernelINS0_14default_configENS1_35radix_sort_onesweep_config_selectorIaNS0_10empty_typeEEEZZNS1_29radix_sort_onesweep_iterationIS3_Lb1EPKaPaPS5_SB_mNS0_19identity_decomposerENS1_16block_id_wrapperIjLb0EEEEE10hipError_tT1_PNSt15iterator_traitsISG_E10value_typeET2_T3_PNSH_ISM_E10value_typeET4_T5_PSR_SS_PNS1_23onesweep_lookback_stateEbbT6_jjT7_P12ihipStream_tbENKUlT_T0_SG_SL_E_clIS9_SA_SB_SB_EEDaSZ_S10_SG_SL_EUlSZ_E_NS1_11comp_targetILNS1_3genE0ELNS1_11target_archE4294967295ELNS1_3gpuE0ELNS1_3repE0EEENS1_47radix_sort_onesweep_sort_config_static_selectorELNS0_4arch9wavefront6targetE0EEEvSG_.num_named_barrier, 0
	.set _ZN7rocprim17ROCPRIM_400000_NS6detail17trampoline_kernelINS0_14default_configENS1_35radix_sort_onesweep_config_selectorIaNS0_10empty_typeEEEZZNS1_29radix_sort_onesweep_iterationIS3_Lb1EPKaPaPS5_SB_mNS0_19identity_decomposerENS1_16block_id_wrapperIjLb0EEEEE10hipError_tT1_PNSt15iterator_traitsISG_E10value_typeET2_T3_PNSH_ISM_E10value_typeET4_T5_PSR_SS_PNS1_23onesweep_lookback_stateEbbT6_jjT7_P12ihipStream_tbENKUlT_T0_SG_SL_E_clIS9_SA_SB_SB_EEDaSZ_S10_SG_SL_EUlSZ_E_NS1_11comp_targetILNS1_3genE0ELNS1_11target_archE4294967295ELNS1_3gpuE0ELNS1_3repE0EEENS1_47radix_sort_onesweep_sort_config_static_selectorELNS0_4arch9wavefront6targetE0EEEvSG_.private_seg_size, 0
	.set _ZN7rocprim17ROCPRIM_400000_NS6detail17trampoline_kernelINS0_14default_configENS1_35radix_sort_onesweep_config_selectorIaNS0_10empty_typeEEEZZNS1_29radix_sort_onesweep_iterationIS3_Lb1EPKaPaPS5_SB_mNS0_19identity_decomposerENS1_16block_id_wrapperIjLb0EEEEE10hipError_tT1_PNSt15iterator_traitsISG_E10value_typeET2_T3_PNSH_ISM_E10value_typeET4_T5_PSR_SS_PNS1_23onesweep_lookback_stateEbbT6_jjT7_P12ihipStream_tbENKUlT_T0_SG_SL_E_clIS9_SA_SB_SB_EEDaSZ_S10_SG_SL_EUlSZ_E_NS1_11comp_targetILNS1_3genE0ELNS1_11target_archE4294967295ELNS1_3gpuE0ELNS1_3repE0EEENS1_47radix_sort_onesweep_sort_config_static_selectorELNS0_4arch9wavefront6targetE0EEEvSG_.uses_vcc, 1
	.set _ZN7rocprim17ROCPRIM_400000_NS6detail17trampoline_kernelINS0_14default_configENS1_35radix_sort_onesweep_config_selectorIaNS0_10empty_typeEEEZZNS1_29radix_sort_onesweep_iterationIS3_Lb1EPKaPaPS5_SB_mNS0_19identity_decomposerENS1_16block_id_wrapperIjLb0EEEEE10hipError_tT1_PNSt15iterator_traitsISG_E10value_typeET2_T3_PNSH_ISM_E10value_typeET4_T5_PSR_SS_PNS1_23onesweep_lookback_stateEbbT6_jjT7_P12ihipStream_tbENKUlT_T0_SG_SL_E_clIS9_SA_SB_SB_EEDaSZ_S10_SG_SL_EUlSZ_E_NS1_11comp_targetILNS1_3genE0ELNS1_11target_archE4294967295ELNS1_3gpuE0ELNS1_3repE0EEENS1_47radix_sort_onesweep_sort_config_static_selectorELNS0_4arch9wavefront6targetE0EEEvSG_.uses_flat_scratch, 0
	.set _ZN7rocprim17ROCPRIM_400000_NS6detail17trampoline_kernelINS0_14default_configENS1_35radix_sort_onesweep_config_selectorIaNS0_10empty_typeEEEZZNS1_29radix_sort_onesweep_iterationIS3_Lb1EPKaPaPS5_SB_mNS0_19identity_decomposerENS1_16block_id_wrapperIjLb0EEEEE10hipError_tT1_PNSt15iterator_traitsISG_E10value_typeET2_T3_PNSH_ISM_E10value_typeET4_T5_PSR_SS_PNS1_23onesweep_lookback_stateEbbT6_jjT7_P12ihipStream_tbENKUlT_T0_SG_SL_E_clIS9_SA_SB_SB_EEDaSZ_S10_SG_SL_EUlSZ_E_NS1_11comp_targetILNS1_3genE0ELNS1_11target_archE4294967295ELNS1_3gpuE0ELNS1_3repE0EEENS1_47radix_sort_onesweep_sort_config_static_selectorELNS0_4arch9wavefront6targetE0EEEvSG_.has_dyn_sized_stack, 0
	.set _ZN7rocprim17ROCPRIM_400000_NS6detail17trampoline_kernelINS0_14default_configENS1_35radix_sort_onesweep_config_selectorIaNS0_10empty_typeEEEZZNS1_29radix_sort_onesweep_iterationIS3_Lb1EPKaPaPS5_SB_mNS0_19identity_decomposerENS1_16block_id_wrapperIjLb0EEEEE10hipError_tT1_PNSt15iterator_traitsISG_E10value_typeET2_T3_PNSH_ISM_E10value_typeET4_T5_PSR_SS_PNS1_23onesweep_lookback_stateEbbT6_jjT7_P12ihipStream_tbENKUlT_T0_SG_SL_E_clIS9_SA_SB_SB_EEDaSZ_S10_SG_SL_EUlSZ_E_NS1_11comp_targetILNS1_3genE0ELNS1_11target_archE4294967295ELNS1_3gpuE0ELNS1_3repE0EEENS1_47radix_sort_onesweep_sort_config_static_selectorELNS0_4arch9wavefront6targetE0EEEvSG_.has_recursion, 0
	.set _ZN7rocprim17ROCPRIM_400000_NS6detail17trampoline_kernelINS0_14default_configENS1_35radix_sort_onesweep_config_selectorIaNS0_10empty_typeEEEZZNS1_29radix_sort_onesweep_iterationIS3_Lb1EPKaPaPS5_SB_mNS0_19identity_decomposerENS1_16block_id_wrapperIjLb0EEEEE10hipError_tT1_PNSt15iterator_traitsISG_E10value_typeET2_T3_PNSH_ISM_E10value_typeET4_T5_PSR_SS_PNS1_23onesweep_lookback_stateEbbT6_jjT7_P12ihipStream_tbENKUlT_T0_SG_SL_E_clIS9_SA_SB_SB_EEDaSZ_S10_SG_SL_EUlSZ_E_NS1_11comp_targetILNS1_3genE0ELNS1_11target_archE4294967295ELNS1_3gpuE0ELNS1_3repE0EEENS1_47radix_sort_onesweep_sort_config_static_selectorELNS0_4arch9wavefront6targetE0EEEvSG_.has_indirect_call, 0
	.section	.AMDGPU.csdata,"",@progbits
; Kernel info:
; codeLenInByte = 14784
; TotalNumSgprs: 27
; NumVgprs: 79
; ScratchSize: 0
; MemoryBound: 0
; FloatMode: 240
; IeeeMode: 1
; LDSByteSize: 32904 bytes/workgroup (compile time only)
; SGPRBlocks: 0
; VGPRBlocks: 4
; NumSGPRsForWavesPerEU: 27
; NumVGPRsForWavesPerEU: 79
; NamedBarCnt: 0
; Occupancy: 12
; WaveLimiterHint : 0
; COMPUTE_PGM_RSRC2:SCRATCH_EN: 0
; COMPUTE_PGM_RSRC2:USER_SGPR: 2
; COMPUTE_PGM_RSRC2:TRAP_HANDLER: 0
; COMPUTE_PGM_RSRC2:TGID_X_EN: 1
; COMPUTE_PGM_RSRC2:TGID_Y_EN: 0
; COMPUTE_PGM_RSRC2:TGID_Z_EN: 0
; COMPUTE_PGM_RSRC2:TIDIG_COMP_CNT: 0
	.section	.text._ZN7rocprim17ROCPRIM_400000_NS6detail17trampoline_kernelINS0_14default_configENS1_35radix_sort_onesweep_config_selectorIaNS0_10empty_typeEEEZZNS1_29radix_sort_onesweep_iterationIS3_Lb1EPKaPaPS5_SB_mNS0_19identity_decomposerENS1_16block_id_wrapperIjLb0EEEEE10hipError_tT1_PNSt15iterator_traitsISG_E10value_typeET2_T3_PNSH_ISM_E10value_typeET4_T5_PSR_SS_PNS1_23onesweep_lookback_stateEbbT6_jjT7_P12ihipStream_tbENKUlT_T0_SG_SL_E_clIS9_SA_SB_SB_EEDaSZ_S10_SG_SL_EUlSZ_E_NS1_11comp_targetILNS1_3genE6ELNS1_11target_archE950ELNS1_3gpuE13ELNS1_3repE0EEENS1_47radix_sort_onesweep_sort_config_static_selectorELNS0_4arch9wavefront6targetE0EEEvSG_,"axG",@progbits,_ZN7rocprim17ROCPRIM_400000_NS6detail17trampoline_kernelINS0_14default_configENS1_35radix_sort_onesweep_config_selectorIaNS0_10empty_typeEEEZZNS1_29radix_sort_onesweep_iterationIS3_Lb1EPKaPaPS5_SB_mNS0_19identity_decomposerENS1_16block_id_wrapperIjLb0EEEEE10hipError_tT1_PNSt15iterator_traitsISG_E10value_typeET2_T3_PNSH_ISM_E10value_typeET4_T5_PSR_SS_PNS1_23onesweep_lookback_stateEbbT6_jjT7_P12ihipStream_tbENKUlT_T0_SG_SL_E_clIS9_SA_SB_SB_EEDaSZ_S10_SG_SL_EUlSZ_E_NS1_11comp_targetILNS1_3genE6ELNS1_11target_archE950ELNS1_3gpuE13ELNS1_3repE0EEENS1_47radix_sort_onesweep_sort_config_static_selectorELNS0_4arch9wavefront6targetE0EEEvSG_,comdat
	.protected	_ZN7rocprim17ROCPRIM_400000_NS6detail17trampoline_kernelINS0_14default_configENS1_35radix_sort_onesweep_config_selectorIaNS0_10empty_typeEEEZZNS1_29radix_sort_onesweep_iterationIS3_Lb1EPKaPaPS5_SB_mNS0_19identity_decomposerENS1_16block_id_wrapperIjLb0EEEEE10hipError_tT1_PNSt15iterator_traitsISG_E10value_typeET2_T3_PNSH_ISM_E10value_typeET4_T5_PSR_SS_PNS1_23onesweep_lookback_stateEbbT6_jjT7_P12ihipStream_tbENKUlT_T0_SG_SL_E_clIS9_SA_SB_SB_EEDaSZ_S10_SG_SL_EUlSZ_E_NS1_11comp_targetILNS1_3genE6ELNS1_11target_archE950ELNS1_3gpuE13ELNS1_3repE0EEENS1_47radix_sort_onesweep_sort_config_static_selectorELNS0_4arch9wavefront6targetE0EEEvSG_ ; -- Begin function _ZN7rocprim17ROCPRIM_400000_NS6detail17trampoline_kernelINS0_14default_configENS1_35radix_sort_onesweep_config_selectorIaNS0_10empty_typeEEEZZNS1_29radix_sort_onesweep_iterationIS3_Lb1EPKaPaPS5_SB_mNS0_19identity_decomposerENS1_16block_id_wrapperIjLb0EEEEE10hipError_tT1_PNSt15iterator_traitsISG_E10value_typeET2_T3_PNSH_ISM_E10value_typeET4_T5_PSR_SS_PNS1_23onesweep_lookback_stateEbbT6_jjT7_P12ihipStream_tbENKUlT_T0_SG_SL_E_clIS9_SA_SB_SB_EEDaSZ_S10_SG_SL_EUlSZ_E_NS1_11comp_targetILNS1_3genE6ELNS1_11target_archE950ELNS1_3gpuE13ELNS1_3repE0EEENS1_47radix_sort_onesweep_sort_config_static_selectorELNS0_4arch9wavefront6targetE0EEEvSG_
	.globl	_ZN7rocprim17ROCPRIM_400000_NS6detail17trampoline_kernelINS0_14default_configENS1_35radix_sort_onesweep_config_selectorIaNS0_10empty_typeEEEZZNS1_29radix_sort_onesweep_iterationIS3_Lb1EPKaPaPS5_SB_mNS0_19identity_decomposerENS1_16block_id_wrapperIjLb0EEEEE10hipError_tT1_PNSt15iterator_traitsISG_E10value_typeET2_T3_PNSH_ISM_E10value_typeET4_T5_PSR_SS_PNS1_23onesweep_lookback_stateEbbT6_jjT7_P12ihipStream_tbENKUlT_T0_SG_SL_E_clIS9_SA_SB_SB_EEDaSZ_S10_SG_SL_EUlSZ_E_NS1_11comp_targetILNS1_3genE6ELNS1_11target_archE950ELNS1_3gpuE13ELNS1_3repE0EEENS1_47radix_sort_onesweep_sort_config_static_selectorELNS0_4arch9wavefront6targetE0EEEvSG_
	.p2align	8
	.type	_ZN7rocprim17ROCPRIM_400000_NS6detail17trampoline_kernelINS0_14default_configENS1_35radix_sort_onesweep_config_selectorIaNS0_10empty_typeEEEZZNS1_29radix_sort_onesweep_iterationIS3_Lb1EPKaPaPS5_SB_mNS0_19identity_decomposerENS1_16block_id_wrapperIjLb0EEEEE10hipError_tT1_PNSt15iterator_traitsISG_E10value_typeET2_T3_PNSH_ISM_E10value_typeET4_T5_PSR_SS_PNS1_23onesweep_lookback_stateEbbT6_jjT7_P12ihipStream_tbENKUlT_T0_SG_SL_E_clIS9_SA_SB_SB_EEDaSZ_S10_SG_SL_EUlSZ_E_NS1_11comp_targetILNS1_3genE6ELNS1_11target_archE950ELNS1_3gpuE13ELNS1_3repE0EEENS1_47radix_sort_onesweep_sort_config_static_selectorELNS0_4arch9wavefront6targetE0EEEvSG_,@function
_ZN7rocprim17ROCPRIM_400000_NS6detail17trampoline_kernelINS0_14default_configENS1_35radix_sort_onesweep_config_selectorIaNS0_10empty_typeEEEZZNS1_29radix_sort_onesweep_iterationIS3_Lb1EPKaPaPS5_SB_mNS0_19identity_decomposerENS1_16block_id_wrapperIjLb0EEEEE10hipError_tT1_PNSt15iterator_traitsISG_E10value_typeET2_T3_PNSH_ISM_E10value_typeET4_T5_PSR_SS_PNS1_23onesweep_lookback_stateEbbT6_jjT7_P12ihipStream_tbENKUlT_T0_SG_SL_E_clIS9_SA_SB_SB_EEDaSZ_S10_SG_SL_EUlSZ_E_NS1_11comp_targetILNS1_3genE6ELNS1_11target_archE950ELNS1_3gpuE13ELNS1_3repE0EEENS1_47radix_sort_onesweep_sort_config_static_selectorELNS0_4arch9wavefront6targetE0EEEvSG_: ; @_ZN7rocprim17ROCPRIM_400000_NS6detail17trampoline_kernelINS0_14default_configENS1_35radix_sort_onesweep_config_selectorIaNS0_10empty_typeEEEZZNS1_29radix_sort_onesweep_iterationIS3_Lb1EPKaPaPS5_SB_mNS0_19identity_decomposerENS1_16block_id_wrapperIjLb0EEEEE10hipError_tT1_PNSt15iterator_traitsISG_E10value_typeET2_T3_PNSH_ISM_E10value_typeET4_T5_PSR_SS_PNS1_23onesweep_lookback_stateEbbT6_jjT7_P12ihipStream_tbENKUlT_T0_SG_SL_E_clIS9_SA_SB_SB_EEDaSZ_S10_SG_SL_EUlSZ_E_NS1_11comp_targetILNS1_3genE6ELNS1_11target_archE950ELNS1_3gpuE13ELNS1_3repE0EEENS1_47radix_sort_onesweep_sort_config_static_selectorELNS0_4arch9wavefront6targetE0EEEvSG_
; %bb.0:
	.section	.rodata,"a",@progbits
	.p2align	6, 0x0
	.amdhsa_kernel _ZN7rocprim17ROCPRIM_400000_NS6detail17trampoline_kernelINS0_14default_configENS1_35radix_sort_onesweep_config_selectorIaNS0_10empty_typeEEEZZNS1_29radix_sort_onesweep_iterationIS3_Lb1EPKaPaPS5_SB_mNS0_19identity_decomposerENS1_16block_id_wrapperIjLb0EEEEE10hipError_tT1_PNSt15iterator_traitsISG_E10value_typeET2_T3_PNSH_ISM_E10value_typeET4_T5_PSR_SS_PNS1_23onesweep_lookback_stateEbbT6_jjT7_P12ihipStream_tbENKUlT_T0_SG_SL_E_clIS9_SA_SB_SB_EEDaSZ_S10_SG_SL_EUlSZ_E_NS1_11comp_targetILNS1_3genE6ELNS1_11target_archE950ELNS1_3gpuE13ELNS1_3repE0EEENS1_47radix_sort_onesweep_sort_config_static_selectorELNS0_4arch9wavefront6targetE0EEEvSG_
		.amdhsa_group_segment_fixed_size 0
		.amdhsa_private_segment_fixed_size 0
		.amdhsa_kernarg_size 88
		.amdhsa_user_sgpr_count 2
		.amdhsa_user_sgpr_dispatch_ptr 0
		.amdhsa_user_sgpr_queue_ptr 0
		.amdhsa_user_sgpr_kernarg_segment_ptr 1
		.amdhsa_user_sgpr_dispatch_id 0
		.amdhsa_user_sgpr_kernarg_preload_length 0
		.amdhsa_user_sgpr_kernarg_preload_offset 0
		.amdhsa_user_sgpr_private_segment_size 0
		.amdhsa_wavefront_size32 1
		.amdhsa_uses_dynamic_stack 0
		.amdhsa_enable_private_segment 0
		.amdhsa_system_sgpr_workgroup_id_x 1
		.amdhsa_system_sgpr_workgroup_id_y 0
		.amdhsa_system_sgpr_workgroup_id_z 0
		.amdhsa_system_sgpr_workgroup_info 0
		.amdhsa_system_vgpr_workitem_id 0
		.amdhsa_next_free_vgpr 1
		.amdhsa_next_free_sgpr 1
		.amdhsa_named_barrier_count 0
		.amdhsa_reserve_vcc 0
		.amdhsa_float_round_mode_32 0
		.amdhsa_float_round_mode_16_64 0
		.amdhsa_float_denorm_mode_32 3
		.amdhsa_float_denorm_mode_16_64 3
		.amdhsa_fp16_overflow 0
		.amdhsa_memory_ordered 1
		.amdhsa_forward_progress 1
		.amdhsa_inst_pref_size 0
		.amdhsa_round_robin_scheduling 0
		.amdhsa_exception_fp_ieee_invalid_op 0
		.amdhsa_exception_fp_denorm_src 0
		.amdhsa_exception_fp_ieee_div_zero 0
		.amdhsa_exception_fp_ieee_overflow 0
		.amdhsa_exception_fp_ieee_underflow 0
		.amdhsa_exception_fp_ieee_inexact 0
		.amdhsa_exception_int_div_zero 0
	.end_amdhsa_kernel
	.section	.text._ZN7rocprim17ROCPRIM_400000_NS6detail17trampoline_kernelINS0_14default_configENS1_35radix_sort_onesweep_config_selectorIaNS0_10empty_typeEEEZZNS1_29radix_sort_onesweep_iterationIS3_Lb1EPKaPaPS5_SB_mNS0_19identity_decomposerENS1_16block_id_wrapperIjLb0EEEEE10hipError_tT1_PNSt15iterator_traitsISG_E10value_typeET2_T3_PNSH_ISM_E10value_typeET4_T5_PSR_SS_PNS1_23onesweep_lookback_stateEbbT6_jjT7_P12ihipStream_tbENKUlT_T0_SG_SL_E_clIS9_SA_SB_SB_EEDaSZ_S10_SG_SL_EUlSZ_E_NS1_11comp_targetILNS1_3genE6ELNS1_11target_archE950ELNS1_3gpuE13ELNS1_3repE0EEENS1_47radix_sort_onesweep_sort_config_static_selectorELNS0_4arch9wavefront6targetE0EEEvSG_,"axG",@progbits,_ZN7rocprim17ROCPRIM_400000_NS6detail17trampoline_kernelINS0_14default_configENS1_35radix_sort_onesweep_config_selectorIaNS0_10empty_typeEEEZZNS1_29radix_sort_onesweep_iterationIS3_Lb1EPKaPaPS5_SB_mNS0_19identity_decomposerENS1_16block_id_wrapperIjLb0EEEEE10hipError_tT1_PNSt15iterator_traitsISG_E10value_typeET2_T3_PNSH_ISM_E10value_typeET4_T5_PSR_SS_PNS1_23onesweep_lookback_stateEbbT6_jjT7_P12ihipStream_tbENKUlT_T0_SG_SL_E_clIS9_SA_SB_SB_EEDaSZ_S10_SG_SL_EUlSZ_E_NS1_11comp_targetILNS1_3genE6ELNS1_11target_archE950ELNS1_3gpuE13ELNS1_3repE0EEENS1_47radix_sort_onesweep_sort_config_static_selectorELNS0_4arch9wavefront6targetE0EEEvSG_,comdat
.Lfunc_end374:
	.size	_ZN7rocprim17ROCPRIM_400000_NS6detail17trampoline_kernelINS0_14default_configENS1_35radix_sort_onesweep_config_selectorIaNS0_10empty_typeEEEZZNS1_29radix_sort_onesweep_iterationIS3_Lb1EPKaPaPS5_SB_mNS0_19identity_decomposerENS1_16block_id_wrapperIjLb0EEEEE10hipError_tT1_PNSt15iterator_traitsISG_E10value_typeET2_T3_PNSH_ISM_E10value_typeET4_T5_PSR_SS_PNS1_23onesweep_lookback_stateEbbT6_jjT7_P12ihipStream_tbENKUlT_T0_SG_SL_E_clIS9_SA_SB_SB_EEDaSZ_S10_SG_SL_EUlSZ_E_NS1_11comp_targetILNS1_3genE6ELNS1_11target_archE950ELNS1_3gpuE13ELNS1_3repE0EEENS1_47radix_sort_onesweep_sort_config_static_selectorELNS0_4arch9wavefront6targetE0EEEvSG_, .Lfunc_end374-_ZN7rocprim17ROCPRIM_400000_NS6detail17trampoline_kernelINS0_14default_configENS1_35radix_sort_onesweep_config_selectorIaNS0_10empty_typeEEEZZNS1_29radix_sort_onesweep_iterationIS3_Lb1EPKaPaPS5_SB_mNS0_19identity_decomposerENS1_16block_id_wrapperIjLb0EEEEE10hipError_tT1_PNSt15iterator_traitsISG_E10value_typeET2_T3_PNSH_ISM_E10value_typeET4_T5_PSR_SS_PNS1_23onesweep_lookback_stateEbbT6_jjT7_P12ihipStream_tbENKUlT_T0_SG_SL_E_clIS9_SA_SB_SB_EEDaSZ_S10_SG_SL_EUlSZ_E_NS1_11comp_targetILNS1_3genE6ELNS1_11target_archE950ELNS1_3gpuE13ELNS1_3repE0EEENS1_47radix_sort_onesweep_sort_config_static_selectorELNS0_4arch9wavefront6targetE0EEEvSG_
                                        ; -- End function
	.set _ZN7rocprim17ROCPRIM_400000_NS6detail17trampoline_kernelINS0_14default_configENS1_35radix_sort_onesweep_config_selectorIaNS0_10empty_typeEEEZZNS1_29radix_sort_onesweep_iterationIS3_Lb1EPKaPaPS5_SB_mNS0_19identity_decomposerENS1_16block_id_wrapperIjLb0EEEEE10hipError_tT1_PNSt15iterator_traitsISG_E10value_typeET2_T3_PNSH_ISM_E10value_typeET4_T5_PSR_SS_PNS1_23onesweep_lookback_stateEbbT6_jjT7_P12ihipStream_tbENKUlT_T0_SG_SL_E_clIS9_SA_SB_SB_EEDaSZ_S10_SG_SL_EUlSZ_E_NS1_11comp_targetILNS1_3genE6ELNS1_11target_archE950ELNS1_3gpuE13ELNS1_3repE0EEENS1_47radix_sort_onesweep_sort_config_static_selectorELNS0_4arch9wavefront6targetE0EEEvSG_.num_vgpr, 0
	.set _ZN7rocprim17ROCPRIM_400000_NS6detail17trampoline_kernelINS0_14default_configENS1_35radix_sort_onesweep_config_selectorIaNS0_10empty_typeEEEZZNS1_29radix_sort_onesweep_iterationIS3_Lb1EPKaPaPS5_SB_mNS0_19identity_decomposerENS1_16block_id_wrapperIjLb0EEEEE10hipError_tT1_PNSt15iterator_traitsISG_E10value_typeET2_T3_PNSH_ISM_E10value_typeET4_T5_PSR_SS_PNS1_23onesweep_lookback_stateEbbT6_jjT7_P12ihipStream_tbENKUlT_T0_SG_SL_E_clIS9_SA_SB_SB_EEDaSZ_S10_SG_SL_EUlSZ_E_NS1_11comp_targetILNS1_3genE6ELNS1_11target_archE950ELNS1_3gpuE13ELNS1_3repE0EEENS1_47radix_sort_onesweep_sort_config_static_selectorELNS0_4arch9wavefront6targetE0EEEvSG_.num_agpr, 0
	.set _ZN7rocprim17ROCPRIM_400000_NS6detail17trampoline_kernelINS0_14default_configENS1_35radix_sort_onesweep_config_selectorIaNS0_10empty_typeEEEZZNS1_29radix_sort_onesweep_iterationIS3_Lb1EPKaPaPS5_SB_mNS0_19identity_decomposerENS1_16block_id_wrapperIjLb0EEEEE10hipError_tT1_PNSt15iterator_traitsISG_E10value_typeET2_T3_PNSH_ISM_E10value_typeET4_T5_PSR_SS_PNS1_23onesweep_lookback_stateEbbT6_jjT7_P12ihipStream_tbENKUlT_T0_SG_SL_E_clIS9_SA_SB_SB_EEDaSZ_S10_SG_SL_EUlSZ_E_NS1_11comp_targetILNS1_3genE6ELNS1_11target_archE950ELNS1_3gpuE13ELNS1_3repE0EEENS1_47radix_sort_onesweep_sort_config_static_selectorELNS0_4arch9wavefront6targetE0EEEvSG_.numbered_sgpr, 0
	.set _ZN7rocprim17ROCPRIM_400000_NS6detail17trampoline_kernelINS0_14default_configENS1_35radix_sort_onesweep_config_selectorIaNS0_10empty_typeEEEZZNS1_29radix_sort_onesweep_iterationIS3_Lb1EPKaPaPS5_SB_mNS0_19identity_decomposerENS1_16block_id_wrapperIjLb0EEEEE10hipError_tT1_PNSt15iterator_traitsISG_E10value_typeET2_T3_PNSH_ISM_E10value_typeET4_T5_PSR_SS_PNS1_23onesweep_lookback_stateEbbT6_jjT7_P12ihipStream_tbENKUlT_T0_SG_SL_E_clIS9_SA_SB_SB_EEDaSZ_S10_SG_SL_EUlSZ_E_NS1_11comp_targetILNS1_3genE6ELNS1_11target_archE950ELNS1_3gpuE13ELNS1_3repE0EEENS1_47radix_sort_onesweep_sort_config_static_selectorELNS0_4arch9wavefront6targetE0EEEvSG_.num_named_barrier, 0
	.set _ZN7rocprim17ROCPRIM_400000_NS6detail17trampoline_kernelINS0_14default_configENS1_35radix_sort_onesweep_config_selectorIaNS0_10empty_typeEEEZZNS1_29radix_sort_onesweep_iterationIS3_Lb1EPKaPaPS5_SB_mNS0_19identity_decomposerENS1_16block_id_wrapperIjLb0EEEEE10hipError_tT1_PNSt15iterator_traitsISG_E10value_typeET2_T3_PNSH_ISM_E10value_typeET4_T5_PSR_SS_PNS1_23onesweep_lookback_stateEbbT6_jjT7_P12ihipStream_tbENKUlT_T0_SG_SL_E_clIS9_SA_SB_SB_EEDaSZ_S10_SG_SL_EUlSZ_E_NS1_11comp_targetILNS1_3genE6ELNS1_11target_archE950ELNS1_3gpuE13ELNS1_3repE0EEENS1_47radix_sort_onesweep_sort_config_static_selectorELNS0_4arch9wavefront6targetE0EEEvSG_.private_seg_size, 0
	.set _ZN7rocprim17ROCPRIM_400000_NS6detail17trampoline_kernelINS0_14default_configENS1_35radix_sort_onesweep_config_selectorIaNS0_10empty_typeEEEZZNS1_29radix_sort_onesweep_iterationIS3_Lb1EPKaPaPS5_SB_mNS0_19identity_decomposerENS1_16block_id_wrapperIjLb0EEEEE10hipError_tT1_PNSt15iterator_traitsISG_E10value_typeET2_T3_PNSH_ISM_E10value_typeET4_T5_PSR_SS_PNS1_23onesweep_lookback_stateEbbT6_jjT7_P12ihipStream_tbENKUlT_T0_SG_SL_E_clIS9_SA_SB_SB_EEDaSZ_S10_SG_SL_EUlSZ_E_NS1_11comp_targetILNS1_3genE6ELNS1_11target_archE950ELNS1_3gpuE13ELNS1_3repE0EEENS1_47radix_sort_onesweep_sort_config_static_selectorELNS0_4arch9wavefront6targetE0EEEvSG_.uses_vcc, 0
	.set _ZN7rocprim17ROCPRIM_400000_NS6detail17trampoline_kernelINS0_14default_configENS1_35radix_sort_onesweep_config_selectorIaNS0_10empty_typeEEEZZNS1_29radix_sort_onesweep_iterationIS3_Lb1EPKaPaPS5_SB_mNS0_19identity_decomposerENS1_16block_id_wrapperIjLb0EEEEE10hipError_tT1_PNSt15iterator_traitsISG_E10value_typeET2_T3_PNSH_ISM_E10value_typeET4_T5_PSR_SS_PNS1_23onesweep_lookback_stateEbbT6_jjT7_P12ihipStream_tbENKUlT_T0_SG_SL_E_clIS9_SA_SB_SB_EEDaSZ_S10_SG_SL_EUlSZ_E_NS1_11comp_targetILNS1_3genE6ELNS1_11target_archE950ELNS1_3gpuE13ELNS1_3repE0EEENS1_47radix_sort_onesweep_sort_config_static_selectorELNS0_4arch9wavefront6targetE0EEEvSG_.uses_flat_scratch, 0
	.set _ZN7rocprim17ROCPRIM_400000_NS6detail17trampoline_kernelINS0_14default_configENS1_35radix_sort_onesweep_config_selectorIaNS0_10empty_typeEEEZZNS1_29radix_sort_onesweep_iterationIS3_Lb1EPKaPaPS5_SB_mNS0_19identity_decomposerENS1_16block_id_wrapperIjLb0EEEEE10hipError_tT1_PNSt15iterator_traitsISG_E10value_typeET2_T3_PNSH_ISM_E10value_typeET4_T5_PSR_SS_PNS1_23onesweep_lookback_stateEbbT6_jjT7_P12ihipStream_tbENKUlT_T0_SG_SL_E_clIS9_SA_SB_SB_EEDaSZ_S10_SG_SL_EUlSZ_E_NS1_11comp_targetILNS1_3genE6ELNS1_11target_archE950ELNS1_3gpuE13ELNS1_3repE0EEENS1_47radix_sort_onesweep_sort_config_static_selectorELNS0_4arch9wavefront6targetE0EEEvSG_.has_dyn_sized_stack, 0
	.set _ZN7rocprim17ROCPRIM_400000_NS6detail17trampoline_kernelINS0_14default_configENS1_35radix_sort_onesweep_config_selectorIaNS0_10empty_typeEEEZZNS1_29radix_sort_onesweep_iterationIS3_Lb1EPKaPaPS5_SB_mNS0_19identity_decomposerENS1_16block_id_wrapperIjLb0EEEEE10hipError_tT1_PNSt15iterator_traitsISG_E10value_typeET2_T3_PNSH_ISM_E10value_typeET4_T5_PSR_SS_PNS1_23onesweep_lookback_stateEbbT6_jjT7_P12ihipStream_tbENKUlT_T0_SG_SL_E_clIS9_SA_SB_SB_EEDaSZ_S10_SG_SL_EUlSZ_E_NS1_11comp_targetILNS1_3genE6ELNS1_11target_archE950ELNS1_3gpuE13ELNS1_3repE0EEENS1_47radix_sort_onesweep_sort_config_static_selectorELNS0_4arch9wavefront6targetE0EEEvSG_.has_recursion, 0
	.set _ZN7rocprim17ROCPRIM_400000_NS6detail17trampoline_kernelINS0_14default_configENS1_35radix_sort_onesweep_config_selectorIaNS0_10empty_typeEEEZZNS1_29radix_sort_onesweep_iterationIS3_Lb1EPKaPaPS5_SB_mNS0_19identity_decomposerENS1_16block_id_wrapperIjLb0EEEEE10hipError_tT1_PNSt15iterator_traitsISG_E10value_typeET2_T3_PNSH_ISM_E10value_typeET4_T5_PSR_SS_PNS1_23onesweep_lookback_stateEbbT6_jjT7_P12ihipStream_tbENKUlT_T0_SG_SL_E_clIS9_SA_SB_SB_EEDaSZ_S10_SG_SL_EUlSZ_E_NS1_11comp_targetILNS1_3genE6ELNS1_11target_archE950ELNS1_3gpuE13ELNS1_3repE0EEENS1_47radix_sort_onesweep_sort_config_static_selectorELNS0_4arch9wavefront6targetE0EEEvSG_.has_indirect_call, 0
	.section	.AMDGPU.csdata,"",@progbits
; Kernel info:
; codeLenInByte = 0
; TotalNumSgprs: 0
; NumVgprs: 0
; ScratchSize: 0
; MemoryBound: 0
; FloatMode: 240
; IeeeMode: 1
; LDSByteSize: 0 bytes/workgroup (compile time only)
; SGPRBlocks: 0
; VGPRBlocks: 0
; NumSGPRsForWavesPerEU: 1
; NumVGPRsForWavesPerEU: 1
; NamedBarCnt: 0
; Occupancy: 16
; WaveLimiterHint : 0
; COMPUTE_PGM_RSRC2:SCRATCH_EN: 0
; COMPUTE_PGM_RSRC2:USER_SGPR: 2
; COMPUTE_PGM_RSRC2:TRAP_HANDLER: 0
; COMPUTE_PGM_RSRC2:TGID_X_EN: 1
; COMPUTE_PGM_RSRC2:TGID_Y_EN: 0
; COMPUTE_PGM_RSRC2:TGID_Z_EN: 0
; COMPUTE_PGM_RSRC2:TIDIG_COMP_CNT: 0
	.section	.text._ZN7rocprim17ROCPRIM_400000_NS6detail17trampoline_kernelINS0_14default_configENS1_35radix_sort_onesweep_config_selectorIaNS0_10empty_typeEEEZZNS1_29radix_sort_onesweep_iterationIS3_Lb1EPKaPaPS5_SB_mNS0_19identity_decomposerENS1_16block_id_wrapperIjLb0EEEEE10hipError_tT1_PNSt15iterator_traitsISG_E10value_typeET2_T3_PNSH_ISM_E10value_typeET4_T5_PSR_SS_PNS1_23onesweep_lookback_stateEbbT6_jjT7_P12ihipStream_tbENKUlT_T0_SG_SL_E_clIS9_SA_SB_SB_EEDaSZ_S10_SG_SL_EUlSZ_E_NS1_11comp_targetILNS1_3genE5ELNS1_11target_archE942ELNS1_3gpuE9ELNS1_3repE0EEENS1_47radix_sort_onesweep_sort_config_static_selectorELNS0_4arch9wavefront6targetE0EEEvSG_,"axG",@progbits,_ZN7rocprim17ROCPRIM_400000_NS6detail17trampoline_kernelINS0_14default_configENS1_35radix_sort_onesweep_config_selectorIaNS0_10empty_typeEEEZZNS1_29radix_sort_onesweep_iterationIS3_Lb1EPKaPaPS5_SB_mNS0_19identity_decomposerENS1_16block_id_wrapperIjLb0EEEEE10hipError_tT1_PNSt15iterator_traitsISG_E10value_typeET2_T3_PNSH_ISM_E10value_typeET4_T5_PSR_SS_PNS1_23onesweep_lookback_stateEbbT6_jjT7_P12ihipStream_tbENKUlT_T0_SG_SL_E_clIS9_SA_SB_SB_EEDaSZ_S10_SG_SL_EUlSZ_E_NS1_11comp_targetILNS1_3genE5ELNS1_11target_archE942ELNS1_3gpuE9ELNS1_3repE0EEENS1_47radix_sort_onesweep_sort_config_static_selectorELNS0_4arch9wavefront6targetE0EEEvSG_,comdat
	.protected	_ZN7rocprim17ROCPRIM_400000_NS6detail17trampoline_kernelINS0_14default_configENS1_35radix_sort_onesweep_config_selectorIaNS0_10empty_typeEEEZZNS1_29radix_sort_onesweep_iterationIS3_Lb1EPKaPaPS5_SB_mNS0_19identity_decomposerENS1_16block_id_wrapperIjLb0EEEEE10hipError_tT1_PNSt15iterator_traitsISG_E10value_typeET2_T3_PNSH_ISM_E10value_typeET4_T5_PSR_SS_PNS1_23onesweep_lookback_stateEbbT6_jjT7_P12ihipStream_tbENKUlT_T0_SG_SL_E_clIS9_SA_SB_SB_EEDaSZ_S10_SG_SL_EUlSZ_E_NS1_11comp_targetILNS1_3genE5ELNS1_11target_archE942ELNS1_3gpuE9ELNS1_3repE0EEENS1_47radix_sort_onesweep_sort_config_static_selectorELNS0_4arch9wavefront6targetE0EEEvSG_ ; -- Begin function _ZN7rocprim17ROCPRIM_400000_NS6detail17trampoline_kernelINS0_14default_configENS1_35radix_sort_onesweep_config_selectorIaNS0_10empty_typeEEEZZNS1_29radix_sort_onesweep_iterationIS3_Lb1EPKaPaPS5_SB_mNS0_19identity_decomposerENS1_16block_id_wrapperIjLb0EEEEE10hipError_tT1_PNSt15iterator_traitsISG_E10value_typeET2_T3_PNSH_ISM_E10value_typeET4_T5_PSR_SS_PNS1_23onesweep_lookback_stateEbbT6_jjT7_P12ihipStream_tbENKUlT_T0_SG_SL_E_clIS9_SA_SB_SB_EEDaSZ_S10_SG_SL_EUlSZ_E_NS1_11comp_targetILNS1_3genE5ELNS1_11target_archE942ELNS1_3gpuE9ELNS1_3repE0EEENS1_47radix_sort_onesweep_sort_config_static_selectorELNS0_4arch9wavefront6targetE0EEEvSG_
	.globl	_ZN7rocprim17ROCPRIM_400000_NS6detail17trampoline_kernelINS0_14default_configENS1_35radix_sort_onesweep_config_selectorIaNS0_10empty_typeEEEZZNS1_29radix_sort_onesweep_iterationIS3_Lb1EPKaPaPS5_SB_mNS0_19identity_decomposerENS1_16block_id_wrapperIjLb0EEEEE10hipError_tT1_PNSt15iterator_traitsISG_E10value_typeET2_T3_PNSH_ISM_E10value_typeET4_T5_PSR_SS_PNS1_23onesweep_lookback_stateEbbT6_jjT7_P12ihipStream_tbENKUlT_T0_SG_SL_E_clIS9_SA_SB_SB_EEDaSZ_S10_SG_SL_EUlSZ_E_NS1_11comp_targetILNS1_3genE5ELNS1_11target_archE942ELNS1_3gpuE9ELNS1_3repE0EEENS1_47radix_sort_onesweep_sort_config_static_selectorELNS0_4arch9wavefront6targetE0EEEvSG_
	.p2align	8
	.type	_ZN7rocprim17ROCPRIM_400000_NS6detail17trampoline_kernelINS0_14default_configENS1_35radix_sort_onesweep_config_selectorIaNS0_10empty_typeEEEZZNS1_29radix_sort_onesweep_iterationIS3_Lb1EPKaPaPS5_SB_mNS0_19identity_decomposerENS1_16block_id_wrapperIjLb0EEEEE10hipError_tT1_PNSt15iterator_traitsISG_E10value_typeET2_T3_PNSH_ISM_E10value_typeET4_T5_PSR_SS_PNS1_23onesweep_lookback_stateEbbT6_jjT7_P12ihipStream_tbENKUlT_T0_SG_SL_E_clIS9_SA_SB_SB_EEDaSZ_S10_SG_SL_EUlSZ_E_NS1_11comp_targetILNS1_3genE5ELNS1_11target_archE942ELNS1_3gpuE9ELNS1_3repE0EEENS1_47radix_sort_onesweep_sort_config_static_selectorELNS0_4arch9wavefront6targetE0EEEvSG_,@function
_ZN7rocprim17ROCPRIM_400000_NS6detail17trampoline_kernelINS0_14default_configENS1_35radix_sort_onesweep_config_selectorIaNS0_10empty_typeEEEZZNS1_29radix_sort_onesweep_iterationIS3_Lb1EPKaPaPS5_SB_mNS0_19identity_decomposerENS1_16block_id_wrapperIjLb0EEEEE10hipError_tT1_PNSt15iterator_traitsISG_E10value_typeET2_T3_PNSH_ISM_E10value_typeET4_T5_PSR_SS_PNS1_23onesweep_lookback_stateEbbT6_jjT7_P12ihipStream_tbENKUlT_T0_SG_SL_E_clIS9_SA_SB_SB_EEDaSZ_S10_SG_SL_EUlSZ_E_NS1_11comp_targetILNS1_3genE5ELNS1_11target_archE942ELNS1_3gpuE9ELNS1_3repE0EEENS1_47radix_sort_onesweep_sort_config_static_selectorELNS0_4arch9wavefront6targetE0EEEvSG_: ; @_ZN7rocprim17ROCPRIM_400000_NS6detail17trampoline_kernelINS0_14default_configENS1_35radix_sort_onesweep_config_selectorIaNS0_10empty_typeEEEZZNS1_29radix_sort_onesweep_iterationIS3_Lb1EPKaPaPS5_SB_mNS0_19identity_decomposerENS1_16block_id_wrapperIjLb0EEEEE10hipError_tT1_PNSt15iterator_traitsISG_E10value_typeET2_T3_PNSH_ISM_E10value_typeET4_T5_PSR_SS_PNS1_23onesweep_lookback_stateEbbT6_jjT7_P12ihipStream_tbENKUlT_T0_SG_SL_E_clIS9_SA_SB_SB_EEDaSZ_S10_SG_SL_EUlSZ_E_NS1_11comp_targetILNS1_3genE5ELNS1_11target_archE942ELNS1_3gpuE9ELNS1_3repE0EEENS1_47radix_sort_onesweep_sort_config_static_selectorELNS0_4arch9wavefront6targetE0EEEvSG_
; %bb.0:
	.section	.rodata,"a",@progbits
	.p2align	6, 0x0
	.amdhsa_kernel _ZN7rocprim17ROCPRIM_400000_NS6detail17trampoline_kernelINS0_14default_configENS1_35radix_sort_onesweep_config_selectorIaNS0_10empty_typeEEEZZNS1_29radix_sort_onesweep_iterationIS3_Lb1EPKaPaPS5_SB_mNS0_19identity_decomposerENS1_16block_id_wrapperIjLb0EEEEE10hipError_tT1_PNSt15iterator_traitsISG_E10value_typeET2_T3_PNSH_ISM_E10value_typeET4_T5_PSR_SS_PNS1_23onesweep_lookback_stateEbbT6_jjT7_P12ihipStream_tbENKUlT_T0_SG_SL_E_clIS9_SA_SB_SB_EEDaSZ_S10_SG_SL_EUlSZ_E_NS1_11comp_targetILNS1_3genE5ELNS1_11target_archE942ELNS1_3gpuE9ELNS1_3repE0EEENS1_47radix_sort_onesweep_sort_config_static_selectorELNS0_4arch9wavefront6targetE0EEEvSG_
		.amdhsa_group_segment_fixed_size 0
		.amdhsa_private_segment_fixed_size 0
		.amdhsa_kernarg_size 88
		.amdhsa_user_sgpr_count 2
		.amdhsa_user_sgpr_dispatch_ptr 0
		.amdhsa_user_sgpr_queue_ptr 0
		.amdhsa_user_sgpr_kernarg_segment_ptr 1
		.amdhsa_user_sgpr_dispatch_id 0
		.amdhsa_user_sgpr_kernarg_preload_length 0
		.amdhsa_user_sgpr_kernarg_preload_offset 0
		.amdhsa_user_sgpr_private_segment_size 0
		.amdhsa_wavefront_size32 1
		.amdhsa_uses_dynamic_stack 0
		.amdhsa_enable_private_segment 0
		.amdhsa_system_sgpr_workgroup_id_x 1
		.amdhsa_system_sgpr_workgroup_id_y 0
		.amdhsa_system_sgpr_workgroup_id_z 0
		.amdhsa_system_sgpr_workgroup_info 0
		.amdhsa_system_vgpr_workitem_id 0
		.amdhsa_next_free_vgpr 1
		.amdhsa_next_free_sgpr 1
		.amdhsa_named_barrier_count 0
		.amdhsa_reserve_vcc 0
		.amdhsa_float_round_mode_32 0
		.amdhsa_float_round_mode_16_64 0
		.amdhsa_float_denorm_mode_32 3
		.amdhsa_float_denorm_mode_16_64 3
		.amdhsa_fp16_overflow 0
		.amdhsa_memory_ordered 1
		.amdhsa_forward_progress 1
		.amdhsa_inst_pref_size 0
		.amdhsa_round_robin_scheduling 0
		.amdhsa_exception_fp_ieee_invalid_op 0
		.amdhsa_exception_fp_denorm_src 0
		.amdhsa_exception_fp_ieee_div_zero 0
		.amdhsa_exception_fp_ieee_overflow 0
		.amdhsa_exception_fp_ieee_underflow 0
		.amdhsa_exception_fp_ieee_inexact 0
		.amdhsa_exception_int_div_zero 0
	.end_amdhsa_kernel
	.section	.text._ZN7rocprim17ROCPRIM_400000_NS6detail17trampoline_kernelINS0_14default_configENS1_35radix_sort_onesweep_config_selectorIaNS0_10empty_typeEEEZZNS1_29radix_sort_onesweep_iterationIS3_Lb1EPKaPaPS5_SB_mNS0_19identity_decomposerENS1_16block_id_wrapperIjLb0EEEEE10hipError_tT1_PNSt15iterator_traitsISG_E10value_typeET2_T3_PNSH_ISM_E10value_typeET4_T5_PSR_SS_PNS1_23onesweep_lookback_stateEbbT6_jjT7_P12ihipStream_tbENKUlT_T0_SG_SL_E_clIS9_SA_SB_SB_EEDaSZ_S10_SG_SL_EUlSZ_E_NS1_11comp_targetILNS1_3genE5ELNS1_11target_archE942ELNS1_3gpuE9ELNS1_3repE0EEENS1_47radix_sort_onesweep_sort_config_static_selectorELNS0_4arch9wavefront6targetE0EEEvSG_,"axG",@progbits,_ZN7rocprim17ROCPRIM_400000_NS6detail17trampoline_kernelINS0_14default_configENS1_35radix_sort_onesweep_config_selectorIaNS0_10empty_typeEEEZZNS1_29radix_sort_onesweep_iterationIS3_Lb1EPKaPaPS5_SB_mNS0_19identity_decomposerENS1_16block_id_wrapperIjLb0EEEEE10hipError_tT1_PNSt15iterator_traitsISG_E10value_typeET2_T3_PNSH_ISM_E10value_typeET4_T5_PSR_SS_PNS1_23onesweep_lookback_stateEbbT6_jjT7_P12ihipStream_tbENKUlT_T0_SG_SL_E_clIS9_SA_SB_SB_EEDaSZ_S10_SG_SL_EUlSZ_E_NS1_11comp_targetILNS1_3genE5ELNS1_11target_archE942ELNS1_3gpuE9ELNS1_3repE0EEENS1_47radix_sort_onesweep_sort_config_static_selectorELNS0_4arch9wavefront6targetE0EEEvSG_,comdat
.Lfunc_end375:
	.size	_ZN7rocprim17ROCPRIM_400000_NS6detail17trampoline_kernelINS0_14default_configENS1_35radix_sort_onesweep_config_selectorIaNS0_10empty_typeEEEZZNS1_29radix_sort_onesweep_iterationIS3_Lb1EPKaPaPS5_SB_mNS0_19identity_decomposerENS1_16block_id_wrapperIjLb0EEEEE10hipError_tT1_PNSt15iterator_traitsISG_E10value_typeET2_T3_PNSH_ISM_E10value_typeET4_T5_PSR_SS_PNS1_23onesweep_lookback_stateEbbT6_jjT7_P12ihipStream_tbENKUlT_T0_SG_SL_E_clIS9_SA_SB_SB_EEDaSZ_S10_SG_SL_EUlSZ_E_NS1_11comp_targetILNS1_3genE5ELNS1_11target_archE942ELNS1_3gpuE9ELNS1_3repE0EEENS1_47radix_sort_onesweep_sort_config_static_selectorELNS0_4arch9wavefront6targetE0EEEvSG_, .Lfunc_end375-_ZN7rocprim17ROCPRIM_400000_NS6detail17trampoline_kernelINS0_14default_configENS1_35radix_sort_onesweep_config_selectorIaNS0_10empty_typeEEEZZNS1_29radix_sort_onesweep_iterationIS3_Lb1EPKaPaPS5_SB_mNS0_19identity_decomposerENS1_16block_id_wrapperIjLb0EEEEE10hipError_tT1_PNSt15iterator_traitsISG_E10value_typeET2_T3_PNSH_ISM_E10value_typeET4_T5_PSR_SS_PNS1_23onesweep_lookback_stateEbbT6_jjT7_P12ihipStream_tbENKUlT_T0_SG_SL_E_clIS9_SA_SB_SB_EEDaSZ_S10_SG_SL_EUlSZ_E_NS1_11comp_targetILNS1_3genE5ELNS1_11target_archE942ELNS1_3gpuE9ELNS1_3repE0EEENS1_47radix_sort_onesweep_sort_config_static_selectorELNS0_4arch9wavefront6targetE0EEEvSG_
                                        ; -- End function
	.set _ZN7rocprim17ROCPRIM_400000_NS6detail17trampoline_kernelINS0_14default_configENS1_35radix_sort_onesweep_config_selectorIaNS0_10empty_typeEEEZZNS1_29radix_sort_onesweep_iterationIS3_Lb1EPKaPaPS5_SB_mNS0_19identity_decomposerENS1_16block_id_wrapperIjLb0EEEEE10hipError_tT1_PNSt15iterator_traitsISG_E10value_typeET2_T3_PNSH_ISM_E10value_typeET4_T5_PSR_SS_PNS1_23onesweep_lookback_stateEbbT6_jjT7_P12ihipStream_tbENKUlT_T0_SG_SL_E_clIS9_SA_SB_SB_EEDaSZ_S10_SG_SL_EUlSZ_E_NS1_11comp_targetILNS1_3genE5ELNS1_11target_archE942ELNS1_3gpuE9ELNS1_3repE0EEENS1_47radix_sort_onesweep_sort_config_static_selectorELNS0_4arch9wavefront6targetE0EEEvSG_.num_vgpr, 0
	.set _ZN7rocprim17ROCPRIM_400000_NS6detail17trampoline_kernelINS0_14default_configENS1_35radix_sort_onesweep_config_selectorIaNS0_10empty_typeEEEZZNS1_29radix_sort_onesweep_iterationIS3_Lb1EPKaPaPS5_SB_mNS0_19identity_decomposerENS1_16block_id_wrapperIjLb0EEEEE10hipError_tT1_PNSt15iterator_traitsISG_E10value_typeET2_T3_PNSH_ISM_E10value_typeET4_T5_PSR_SS_PNS1_23onesweep_lookback_stateEbbT6_jjT7_P12ihipStream_tbENKUlT_T0_SG_SL_E_clIS9_SA_SB_SB_EEDaSZ_S10_SG_SL_EUlSZ_E_NS1_11comp_targetILNS1_3genE5ELNS1_11target_archE942ELNS1_3gpuE9ELNS1_3repE0EEENS1_47radix_sort_onesweep_sort_config_static_selectorELNS0_4arch9wavefront6targetE0EEEvSG_.num_agpr, 0
	.set _ZN7rocprim17ROCPRIM_400000_NS6detail17trampoline_kernelINS0_14default_configENS1_35radix_sort_onesweep_config_selectorIaNS0_10empty_typeEEEZZNS1_29radix_sort_onesweep_iterationIS3_Lb1EPKaPaPS5_SB_mNS0_19identity_decomposerENS1_16block_id_wrapperIjLb0EEEEE10hipError_tT1_PNSt15iterator_traitsISG_E10value_typeET2_T3_PNSH_ISM_E10value_typeET4_T5_PSR_SS_PNS1_23onesweep_lookback_stateEbbT6_jjT7_P12ihipStream_tbENKUlT_T0_SG_SL_E_clIS9_SA_SB_SB_EEDaSZ_S10_SG_SL_EUlSZ_E_NS1_11comp_targetILNS1_3genE5ELNS1_11target_archE942ELNS1_3gpuE9ELNS1_3repE0EEENS1_47radix_sort_onesweep_sort_config_static_selectorELNS0_4arch9wavefront6targetE0EEEvSG_.numbered_sgpr, 0
	.set _ZN7rocprim17ROCPRIM_400000_NS6detail17trampoline_kernelINS0_14default_configENS1_35radix_sort_onesweep_config_selectorIaNS0_10empty_typeEEEZZNS1_29radix_sort_onesweep_iterationIS3_Lb1EPKaPaPS5_SB_mNS0_19identity_decomposerENS1_16block_id_wrapperIjLb0EEEEE10hipError_tT1_PNSt15iterator_traitsISG_E10value_typeET2_T3_PNSH_ISM_E10value_typeET4_T5_PSR_SS_PNS1_23onesweep_lookback_stateEbbT6_jjT7_P12ihipStream_tbENKUlT_T0_SG_SL_E_clIS9_SA_SB_SB_EEDaSZ_S10_SG_SL_EUlSZ_E_NS1_11comp_targetILNS1_3genE5ELNS1_11target_archE942ELNS1_3gpuE9ELNS1_3repE0EEENS1_47radix_sort_onesweep_sort_config_static_selectorELNS0_4arch9wavefront6targetE0EEEvSG_.num_named_barrier, 0
	.set _ZN7rocprim17ROCPRIM_400000_NS6detail17trampoline_kernelINS0_14default_configENS1_35radix_sort_onesweep_config_selectorIaNS0_10empty_typeEEEZZNS1_29radix_sort_onesweep_iterationIS3_Lb1EPKaPaPS5_SB_mNS0_19identity_decomposerENS1_16block_id_wrapperIjLb0EEEEE10hipError_tT1_PNSt15iterator_traitsISG_E10value_typeET2_T3_PNSH_ISM_E10value_typeET4_T5_PSR_SS_PNS1_23onesweep_lookback_stateEbbT6_jjT7_P12ihipStream_tbENKUlT_T0_SG_SL_E_clIS9_SA_SB_SB_EEDaSZ_S10_SG_SL_EUlSZ_E_NS1_11comp_targetILNS1_3genE5ELNS1_11target_archE942ELNS1_3gpuE9ELNS1_3repE0EEENS1_47radix_sort_onesweep_sort_config_static_selectorELNS0_4arch9wavefront6targetE0EEEvSG_.private_seg_size, 0
	.set _ZN7rocprim17ROCPRIM_400000_NS6detail17trampoline_kernelINS0_14default_configENS1_35radix_sort_onesweep_config_selectorIaNS0_10empty_typeEEEZZNS1_29radix_sort_onesweep_iterationIS3_Lb1EPKaPaPS5_SB_mNS0_19identity_decomposerENS1_16block_id_wrapperIjLb0EEEEE10hipError_tT1_PNSt15iterator_traitsISG_E10value_typeET2_T3_PNSH_ISM_E10value_typeET4_T5_PSR_SS_PNS1_23onesweep_lookback_stateEbbT6_jjT7_P12ihipStream_tbENKUlT_T0_SG_SL_E_clIS9_SA_SB_SB_EEDaSZ_S10_SG_SL_EUlSZ_E_NS1_11comp_targetILNS1_3genE5ELNS1_11target_archE942ELNS1_3gpuE9ELNS1_3repE0EEENS1_47radix_sort_onesweep_sort_config_static_selectorELNS0_4arch9wavefront6targetE0EEEvSG_.uses_vcc, 0
	.set _ZN7rocprim17ROCPRIM_400000_NS6detail17trampoline_kernelINS0_14default_configENS1_35radix_sort_onesweep_config_selectorIaNS0_10empty_typeEEEZZNS1_29radix_sort_onesweep_iterationIS3_Lb1EPKaPaPS5_SB_mNS0_19identity_decomposerENS1_16block_id_wrapperIjLb0EEEEE10hipError_tT1_PNSt15iterator_traitsISG_E10value_typeET2_T3_PNSH_ISM_E10value_typeET4_T5_PSR_SS_PNS1_23onesweep_lookback_stateEbbT6_jjT7_P12ihipStream_tbENKUlT_T0_SG_SL_E_clIS9_SA_SB_SB_EEDaSZ_S10_SG_SL_EUlSZ_E_NS1_11comp_targetILNS1_3genE5ELNS1_11target_archE942ELNS1_3gpuE9ELNS1_3repE0EEENS1_47radix_sort_onesweep_sort_config_static_selectorELNS0_4arch9wavefront6targetE0EEEvSG_.uses_flat_scratch, 0
	.set _ZN7rocprim17ROCPRIM_400000_NS6detail17trampoline_kernelINS0_14default_configENS1_35radix_sort_onesweep_config_selectorIaNS0_10empty_typeEEEZZNS1_29radix_sort_onesweep_iterationIS3_Lb1EPKaPaPS5_SB_mNS0_19identity_decomposerENS1_16block_id_wrapperIjLb0EEEEE10hipError_tT1_PNSt15iterator_traitsISG_E10value_typeET2_T3_PNSH_ISM_E10value_typeET4_T5_PSR_SS_PNS1_23onesweep_lookback_stateEbbT6_jjT7_P12ihipStream_tbENKUlT_T0_SG_SL_E_clIS9_SA_SB_SB_EEDaSZ_S10_SG_SL_EUlSZ_E_NS1_11comp_targetILNS1_3genE5ELNS1_11target_archE942ELNS1_3gpuE9ELNS1_3repE0EEENS1_47radix_sort_onesweep_sort_config_static_selectorELNS0_4arch9wavefront6targetE0EEEvSG_.has_dyn_sized_stack, 0
	.set _ZN7rocprim17ROCPRIM_400000_NS6detail17trampoline_kernelINS0_14default_configENS1_35radix_sort_onesweep_config_selectorIaNS0_10empty_typeEEEZZNS1_29radix_sort_onesweep_iterationIS3_Lb1EPKaPaPS5_SB_mNS0_19identity_decomposerENS1_16block_id_wrapperIjLb0EEEEE10hipError_tT1_PNSt15iterator_traitsISG_E10value_typeET2_T3_PNSH_ISM_E10value_typeET4_T5_PSR_SS_PNS1_23onesweep_lookback_stateEbbT6_jjT7_P12ihipStream_tbENKUlT_T0_SG_SL_E_clIS9_SA_SB_SB_EEDaSZ_S10_SG_SL_EUlSZ_E_NS1_11comp_targetILNS1_3genE5ELNS1_11target_archE942ELNS1_3gpuE9ELNS1_3repE0EEENS1_47radix_sort_onesweep_sort_config_static_selectorELNS0_4arch9wavefront6targetE0EEEvSG_.has_recursion, 0
	.set _ZN7rocprim17ROCPRIM_400000_NS6detail17trampoline_kernelINS0_14default_configENS1_35radix_sort_onesweep_config_selectorIaNS0_10empty_typeEEEZZNS1_29radix_sort_onesweep_iterationIS3_Lb1EPKaPaPS5_SB_mNS0_19identity_decomposerENS1_16block_id_wrapperIjLb0EEEEE10hipError_tT1_PNSt15iterator_traitsISG_E10value_typeET2_T3_PNSH_ISM_E10value_typeET4_T5_PSR_SS_PNS1_23onesweep_lookback_stateEbbT6_jjT7_P12ihipStream_tbENKUlT_T0_SG_SL_E_clIS9_SA_SB_SB_EEDaSZ_S10_SG_SL_EUlSZ_E_NS1_11comp_targetILNS1_3genE5ELNS1_11target_archE942ELNS1_3gpuE9ELNS1_3repE0EEENS1_47radix_sort_onesweep_sort_config_static_selectorELNS0_4arch9wavefront6targetE0EEEvSG_.has_indirect_call, 0
	.section	.AMDGPU.csdata,"",@progbits
; Kernel info:
; codeLenInByte = 0
; TotalNumSgprs: 0
; NumVgprs: 0
; ScratchSize: 0
; MemoryBound: 0
; FloatMode: 240
; IeeeMode: 1
; LDSByteSize: 0 bytes/workgroup (compile time only)
; SGPRBlocks: 0
; VGPRBlocks: 0
; NumSGPRsForWavesPerEU: 1
; NumVGPRsForWavesPerEU: 1
; NamedBarCnt: 0
; Occupancy: 16
; WaveLimiterHint : 0
; COMPUTE_PGM_RSRC2:SCRATCH_EN: 0
; COMPUTE_PGM_RSRC2:USER_SGPR: 2
; COMPUTE_PGM_RSRC2:TRAP_HANDLER: 0
; COMPUTE_PGM_RSRC2:TGID_X_EN: 1
; COMPUTE_PGM_RSRC2:TGID_Y_EN: 0
; COMPUTE_PGM_RSRC2:TGID_Z_EN: 0
; COMPUTE_PGM_RSRC2:TIDIG_COMP_CNT: 0
	.section	.text._ZN7rocprim17ROCPRIM_400000_NS6detail17trampoline_kernelINS0_14default_configENS1_35radix_sort_onesweep_config_selectorIaNS0_10empty_typeEEEZZNS1_29radix_sort_onesweep_iterationIS3_Lb1EPKaPaPS5_SB_mNS0_19identity_decomposerENS1_16block_id_wrapperIjLb0EEEEE10hipError_tT1_PNSt15iterator_traitsISG_E10value_typeET2_T3_PNSH_ISM_E10value_typeET4_T5_PSR_SS_PNS1_23onesweep_lookback_stateEbbT6_jjT7_P12ihipStream_tbENKUlT_T0_SG_SL_E_clIS9_SA_SB_SB_EEDaSZ_S10_SG_SL_EUlSZ_E_NS1_11comp_targetILNS1_3genE2ELNS1_11target_archE906ELNS1_3gpuE6ELNS1_3repE0EEENS1_47radix_sort_onesweep_sort_config_static_selectorELNS0_4arch9wavefront6targetE0EEEvSG_,"axG",@progbits,_ZN7rocprim17ROCPRIM_400000_NS6detail17trampoline_kernelINS0_14default_configENS1_35radix_sort_onesweep_config_selectorIaNS0_10empty_typeEEEZZNS1_29radix_sort_onesweep_iterationIS3_Lb1EPKaPaPS5_SB_mNS0_19identity_decomposerENS1_16block_id_wrapperIjLb0EEEEE10hipError_tT1_PNSt15iterator_traitsISG_E10value_typeET2_T3_PNSH_ISM_E10value_typeET4_T5_PSR_SS_PNS1_23onesweep_lookback_stateEbbT6_jjT7_P12ihipStream_tbENKUlT_T0_SG_SL_E_clIS9_SA_SB_SB_EEDaSZ_S10_SG_SL_EUlSZ_E_NS1_11comp_targetILNS1_3genE2ELNS1_11target_archE906ELNS1_3gpuE6ELNS1_3repE0EEENS1_47radix_sort_onesweep_sort_config_static_selectorELNS0_4arch9wavefront6targetE0EEEvSG_,comdat
	.protected	_ZN7rocprim17ROCPRIM_400000_NS6detail17trampoline_kernelINS0_14default_configENS1_35radix_sort_onesweep_config_selectorIaNS0_10empty_typeEEEZZNS1_29radix_sort_onesweep_iterationIS3_Lb1EPKaPaPS5_SB_mNS0_19identity_decomposerENS1_16block_id_wrapperIjLb0EEEEE10hipError_tT1_PNSt15iterator_traitsISG_E10value_typeET2_T3_PNSH_ISM_E10value_typeET4_T5_PSR_SS_PNS1_23onesweep_lookback_stateEbbT6_jjT7_P12ihipStream_tbENKUlT_T0_SG_SL_E_clIS9_SA_SB_SB_EEDaSZ_S10_SG_SL_EUlSZ_E_NS1_11comp_targetILNS1_3genE2ELNS1_11target_archE906ELNS1_3gpuE6ELNS1_3repE0EEENS1_47radix_sort_onesweep_sort_config_static_selectorELNS0_4arch9wavefront6targetE0EEEvSG_ ; -- Begin function _ZN7rocprim17ROCPRIM_400000_NS6detail17trampoline_kernelINS0_14default_configENS1_35radix_sort_onesweep_config_selectorIaNS0_10empty_typeEEEZZNS1_29radix_sort_onesweep_iterationIS3_Lb1EPKaPaPS5_SB_mNS0_19identity_decomposerENS1_16block_id_wrapperIjLb0EEEEE10hipError_tT1_PNSt15iterator_traitsISG_E10value_typeET2_T3_PNSH_ISM_E10value_typeET4_T5_PSR_SS_PNS1_23onesweep_lookback_stateEbbT6_jjT7_P12ihipStream_tbENKUlT_T0_SG_SL_E_clIS9_SA_SB_SB_EEDaSZ_S10_SG_SL_EUlSZ_E_NS1_11comp_targetILNS1_3genE2ELNS1_11target_archE906ELNS1_3gpuE6ELNS1_3repE0EEENS1_47radix_sort_onesweep_sort_config_static_selectorELNS0_4arch9wavefront6targetE0EEEvSG_
	.globl	_ZN7rocprim17ROCPRIM_400000_NS6detail17trampoline_kernelINS0_14default_configENS1_35radix_sort_onesweep_config_selectorIaNS0_10empty_typeEEEZZNS1_29radix_sort_onesweep_iterationIS3_Lb1EPKaPaPS5_SB_mNS0_19identity_decomposerENS1_16block_id_wrapperIjLb0EEEEE10hipError_tT1_PNSt15iterator_traitsISG_E10value_typeET2_T3_PNSH_ISM_E10value_typeET4_T5_PSR_SS_PNS1_23onesweep_lookback_stateEbbT6_jjT7_P12ihipStream_tbENKUlT_T0_SG_SL_E_clIS9_SA_SB_SB_EEDaSZ_S10_SG_SL_EUlSZ_E_NS1_11comp_targetILNS1_3genE2ELNS1_11target_archE906ELNS1_3gpuE6ELNS1_3repE0EEENS1_47radix_sort_onesweep_sort_config_static_selectorELNS0_4arch9wavefront6targetE0EEEvSG_
	.p2align	8
	.type	_ZN7rocprim17ROCPRIM_400000_NS6detail17trampoline_kernelINS0_14default_configENS1_35radix_sort_onesweep_config_selectorIaNS0_10empty_typeEEEZZNS1_29radix_sort_onesweep_iterationIS3_Lb1EPKaPaPS5_SB_mNS0_19identity_decomposerENS1_16block_id_wrapperIjLb0EEEEE10hipError_tT1_PNSt15iterator_traitsISG_E10value_typeET2_T3_PNSH_ISM_E10value_typeET4_T5_PSR_SS_PNS1_23onesweep_lookback_stateEbbT6_jjT7_P12ihipStream_tbENKUlT_T0_SG_SL_E_clIS9_SA_SB_SB_EEDaSZ_S10_SG_SL_EUlSZ_E_NS1_11comp_targetILNS1_3genE2ELNS1_11target_archE906ELNS1_3gpuE6ELNS1_3repE0EEENS1_47radix_sort_onesweep_sort_config_static_selectorELNS0_4arch9wavefront6targetE0EEEvSG_,@function
_ZN7rocprim17ROCPRIM_400000_NS6detail17trampoline_kernelINS0_14default_configENS1_35radix_sort_onesweep_config_selectorIaNS0_10empty_typeEEEZZNS1_29radix_sort_onesweep_iterationIS3_Lb1EPKaPaPS5_SB_mNS0_19identity_decomposerENS1_16block_id_wrapperIjLb0EEEEE10hipError_tT1_PNSt15iterator_traitsISG_E10value_typeET2_T3_PNSH_ISM_E10value_typeET4_T5_PSR_SS_PNS1_23onesweep_lookback_stateEbbT6_jjT7_P12ihipStream_tbENKUlT_T0_SG_SL_E_clIS9_SA_SB_SB_EEDaSZ_S10_SG_SL_EUlSZ_E_NS1_11comp_targetILNS1_3genE2ELNS1_11target_archE906ELNS1_3gpuE6ELNS1_3repE0EEENS1_47radix_sort_onesweep_sort_config_static_selectorELNS0_4arch9wavefront6targetE0EEEvSG_: ; @_ZN7rocprim17ROCPRIM_400000_NS6detail17trampoline_kernelINS0_14default_configENS1_35radix_sort_onesweep_config_selectorIaNS0_10empty_typeEEEZZNS1_29radix_sort_onesweep_iterationIS3_Lb1EPKaPaPS5_SB_mNS0_19identity_decomposerENS1_16block_id_wrapperIjLb0EEEEE10hipError_tT1_PNSt15iterator_traitsISG_E10value_typeET2_T3_PNSH_ISM_E10value_typeET4_T5_PSR_SS_PNS1_23onesweep_lookback_stateEbbT6_jjT7_P12ihipStream_tbENKUlT_T0_SG_SL_E_clIS9_SA_SB_SB_EEDaSZ_S10_SG_SL_EUlSZ_E_NS1_11comp_targetILNS1_3genE2ELNS1_11target_archE906ELNS1_3gpuE6ELNS1_3repE0EEENS1_47radix_sort_onesweep_sort_config_static_selectorELNS0_4arch9wavefront6targetE0EEEvSG_
; %bb.0:
	.section	.rodata,"a",@progbits
	.p2align	6, 0x0
	.amdhsa_kernel _ZN7rocprim17ROCPRIM_400000_NS6detail17trampoline_kernelINS0_14default_configENS1_35radix_sort_onesweep_config_selectorIaNS0_10empty_typeEEEZZNS1_29radix_sort_onesweep_iterationIS3_Lb1EPKaPaPS5_SB_mNS0_19identity_decomposerENS1_16block_id_wrapperIjLb0EEEEE10hipError_tT1_PNSt15iterator_traitsISG_E10value_typeET2_T3_PNSH_ISM_E10value_typeET4_T5_PSR_SS_PNS1_23onesweep_lookback_stateEbbT6_jjT7_P12ihipStream_tbENKUlT_T0_SG_SL_E_clIS9_SA_SB_SB_EEDaSZ_S10_SG_SL_EUlSZ_E_NS1_11comp_targetILNS1_3genE2ELNS1_11target_archE906ELNS1_3gpuE6ELNS1_3repE0EEENS1_47radix_sort_onesweep_sort_config_static_selectorELNS0_4arch9wavefront6targetE0EEEvSG_
		.amdhsa_group_segment_fixed_size 0
		.amdhsa_private_segment_fixed_size 0
		.amdhsa_kernarg_size 88
		.amdhsa_user_sgpr_count 2
		.amdhsa_user_sgpr_dispatch_ptr 0
		.amdhsa_user_sgpr_queue_ptr 0
		.amdhsa_user_sgpr_kernarg_segment_ptr 1
		.amdhsa_user_sgpr_dispatch_id 0
		.amdhsa_user_sgpr_kernarg_preload_length 0
		.amdhsa_user_sgpr_kernarg_preload_offset 0
		.amdhsa_user_sgpr_private_segment_size 0
		.amdhsa_wavefront_size32 1
		.amdhsa_uses_dynamic_stack 0
		.amdhsa_enable_private_segment 0
		.amdhsa_system_sgpr_workgroup_id_x 1
		.amdhsa_system_sgpr_workgroup_id_y 0
		.amdhsa_system_sgpr_workgroup_id_z 0
		.amdhsa_system_sgpr_workgroup_info 0
		.amdhsa_system_vgpr_workitem_id 0
		.amdhsa_next_free_vgpr 1
		.amdhsa_next_free_sgpr 1
		.amdhsa_named_barrier_count 0
		.amdhsa_reserve_vcc 0
		.amdhsa_float_round_mode_32 0
		.amdhsa_float_round_mode_16_64 0
		.amdhsa_float_denorm_mode_32 3
		.amdhsa_float_denorm_mode_16_64 3
		.amdhsa_fp16_overflow 0
		.amdhsa_memory_ordered 1
		.amdhsa_forward_progress 1
		.amdhsa_inst_pref_size 0
		.amdhsa_round_robin_scheduling 0
		.amdhsa_exception_fp_ieee_invalid_op 0
		.amdhsa_exception_fp_denorm_src 0
		.amdhsa_exception_fp_ieee_div_zero 0
		.amdhsa_exception_fp_ieee_overflow 0
		.amdhsa_exception_fp_ieee_underflow 0
		.amdhsa_exception_fp_ieee_inexact 0
		.amdhsa_exception_int_div_zero 0
	.end_amdhsa_kernel
	.section	.text._ZN7rocprim17ROCPRIM_400000_NS6detail17trampoline_kernelINS0_14default_configENS1_35radix_sort_onesweep_config_selectorIaNS0_10empty_typeEEEZZNS1_29radix_sort_onesweep_iterationIS3_Lb1EPKaPaPS5_SB_mNS0_19identity_decomposerENS1_16block_id_wrapperIjLb0EEEEE10hipError_tT1_PNSt15iterator_traitsISG_E10value_typeET2_T3_PNSH_ISM_E10value_typeET4_T5_PSR_SS_PNS1_23onesweep_lookback_stateEbbT6_jjT7_P12ihipStream_tbENKUlT_T0_SG_SL_E_clIS9_SA_SB_SB_EEDaSZ_S10_SG_SL_EUlSZ_E_NS1_11comp_targetILNS1_3genE2ELNS1_11target_archE906ELNS1_3gpuE6ELNS1_3repE0EEENS1_47radix_sort_onesweep_sort_config_static_selectorELNS0_4arch9wavefront6targetE0EEEvSG_,"axG",@progbits,_ZN7rocprim17ROCPRIM_400000_NS6detail17trampoline_kernelINS0_14default_configENS1_35radix_sort_onesweep_config_selectorIaNS0_10empty_typeEEEZZNS1_29radix_sort_onesweep_iterationIS3_Lb1EPKaPaPS5_SB_mNS0_19identity_decomposerENS1_16block_id_wrapperIjLb0EEEEE10hipError_tT1_PNSt15iterator_traitsISG_E10value_typeET2_T3_PNSH_ISM_E10value_typeET4_T5_PSR_SS_PNS1_23onesweep_lookback_stateEbbT6_jjT7_P12ihipStream_tbENKUlT_T0_SG_SL_E_clIS9_SA_SB_SB_EEDaSZ_S10_SG_SL_EUlSZ_E_NS1_11comp_targetILNS1_3genE2ELNS1_11target_archE906ELNS1_3gpuE6ELNS1_3repE0EEENS1_47radix_sort_onesweep_sort_config_static_selectorELNS0_4arch9wavefront6targetE0EEEvSG_,comdat
.Lfunc_end376:
	.size	_ZN7rocprim17ROCPRIM_400000_NS6detail17trampoline_kernelINS0_14default_configENS1_35radix_sort_onesweep_config_selectorIaNS0_10empty_typeEEEZZNS1_29radix_sort_onesweep_iterationIS3_Lb1EPKaPaPS5_SB_mNS0_19identity_decomposerENS1_16block_id_wrapperIjLb0EEEEE10hipError_tT1_PNSt15iterator_traitsISG_E10value_typeET2_T3_PNSH_ISM_E10value_typeET4_T5_PSR_SS_PNS1_23onesweep_lookback_stateEbbT6_jjT7_P12ihipStream_tbENKUlT_T0_SG_SL_E_clIS9_SA_SB_SB_EEDaSZ_S10_SG_SL_EUlSZ_E_NS1_11comp_targetILNS1_3genE2ELNS1_11target_archE906ELNS1_3gpuE6ELNS1_3repE0EEENS1_47radix_sort_onesweep_sort_config_static_selectorELNS0_4arch9wavefront6targetE0EEEvSG_, .Lfunc_end376-_ZN7rocprim17ROCPRIM_400000_NS6detail17trampoline_kernelINS0_14default_configENS1_35radix_sort_onesweep_config_selectorIaNS0_10empty_typeEEEZZNS1_29radix_sort_onesweep_iterationIS3_Lb1EPKaPaPS5_SB_mNS0_19identity_decomposerENS1_16block_id_wrapperIjLb0EEEEE10hipError_tT1_PNSt15iterator_traitsISG_E10value_typeET2_T3_PNSH_ISM_E10value_typeET4_T5_PSR_SS_PNS1_23onesweep_lookback_stateEbbT6_jjT7_P12ihipStream_tbENKUlT_T0_SG_SL_E_clIS9_SA_SB_SB_EEDaSZ_S10_SG_SL_EUlSZ_E_NS1_11comp_targetILNS1_3genE2ELNS1_11target_archE906ELNS1_3gpuE6ELNS1_3repE0EEENS1_47radix_sort_onesweep_sort_config_static_selectorELNS0_4arch9wavefront6targetE0EEEvSG_
                                        ; -- End function
	.set _ZN7rocprim17ROCPRIM_400000_NS6detail17trampoline_kernelINS0_14default_configENS1_35radix_sort_onesweep_config_selectorIaNS0_10empty_typeEEEZZNS1_29radix_sort_onesweep_iterationIS3_Lb1EPKaPaPS5_SB_mNS0_19identity_decomposerENS1_16block_id_wrapperIjLb0EEEEE10hipError_tT1_PNSt15iterator_traitsISG_E10value_typeET2_T3_PNSH_ISM_E10value_typeET4_T5_PSR_SS_PNS1_23onesweep_lookback_stateEbbT6_jjT7_P12ihipStream_tbENKUlT_T0_SG_SL_E_clIS9_SA_SB_SB_EEDaSZ_S10_SG_SL_EUlSZ_E_NS1_11comp_targetILNS1_3genE2ELNS1_11target_archE906ELNS1_3gpuE6ELNS1_3repE0EEENS1_47radix_sort_onesweep_sort_config_static_selectorELNS0_4arch9wavefront6targetE0EEEvSG_.num_vgpr, 0
	.set _ZN7rocprim17ROCPRIM_400000_NS6detail17trampoline_kernelINS0_14default_configENS1_35radix_sort_onesweep_config_selectorIaNS0_10empty_typeEEEZZNS1_29radix_sort_onesweep_iterationIS3_Lb1EPKaPaPS5_SB_mNS0_19identity_decomposerENS1_16block_id_wrapperIjLb0EEEEE10hipError_tT1_PNSt15iterator_traitsISG_E10value_typeET2_T3_PNSH_ISM_E10value_typeET4_T5_PSR_SS_PNS1_23onesweep_lookback_stateEbbT6_jjT7_P12ihipStream_tbENKUlT_T0_SG_SL_E_clIS9_SA_SB_SB_EEDaSZ_S10_SG_SL_EUlSZ_E_NS1_11comp_targetILNS1_3genE2ELNS1_11target_archE906ELNS1_3gpuE6ELNS1_3repE0EEENS1_47radix_sort_onesweep_sort_config_static_selectorELNS0_4arch9wavefront6targetE0EEEvSG_.num_agpr, 0
	.set _ZN7rocprim17ROCPRIM_400000_NS6detail17trampoline_kernelINS0_14default_configENS1_35radix_sort_onesweep_config_selectorIaNS0_10empty_typeEEEZZNS1_29radix_sort_onesweep_iterationIS3_Lb1EPKaPaPS5_SB_mNS0_19identity_decomposerENS1_16block_id_wrapperIjLb0EEEEE10hipError_tT1_PNSt15iterator_traitsISG_E10value_typeET2_T3_PNSH_ISM_E10value_typeET4_T5_PSR_SS_PNS1_23onesweep_lookback_stateEbbT6_jjT7_P12ihipStream_tbENKUlT_T0_SG_SL_E_clIS9_SA_SB_SB_EEDaSZ_S10_SG_SL_EUlSZ_E_NS1_11comp_targetILNS1_3genE2ELNS1_11target_archE906ELNS1_3gpuE6ELNS1_3repE0EEENS1_47radix_sort_onesweep_sort_config_static_selectorELNS0_4arch9wavefront6targetE0EEEvSG_.numbered_sgpr, 0
	.set _ZN7rocprim17ROCPRIM_400000_NS6detail17trampoline_kernelINS0_14default_configENS1_35radix_sort_onesweep_config_selectorIaNS0_10empty_typeEEEZZNS1_29radix_sort_onesweep_iterationIS3_Lb1EPKaPaPS5_SB_mNS0_19identity_decomposerENS1_16block_id_wrapperIjLb0EEEEE10hipError_tT1_PNSt15iterator_traitsISG_E10value_typeET2_T3_PNSH_ISM_E10value_typeET4_T5_PSR_SS_PNS1_23onesweep_lookback_stateEbbT6_jjT7_P12ihipStream_tbENKUlT_T0_SG_SL_E_clIS9_SA_SB_SB_EEDaSZ_S10_SG_SL_EUlSZ_E_NS1_11comp_targetILNS1_3genE2ELNS1_11target_archE906ELNS1_3gpuE6ELNS1_3repE0EEENS1_47radix_sort_onesweep_sort_config_static_selectorELNS0_4arch9wavefront6targetE0EEEvSG_.num_named_barrier, 0
	.set _ZN7rocprim17ROCPRIM_400000_NS6detail17trampoline_kernelINS0_14default_configENS1_35radix_sort_onesweep_config_selectorIaNS0_10empty_typeEEEZZNS1_29radix_sort_onesweep_iterationIS3_Lb1EPKaPaPS5_SB_mNS0_19identity_decomposerENS1_16block_id_wrapperIjLb0EEEEE10hipError_tT1_PNSt15iterator_traitsISG_E10value_typeET2_T3_PNSH_ISM_E10value_typeET4_T5_PSR_SS_PNS1_23onesweep_lookback_stateEbbT6_jjT7_P12ihipStream_tbENKUlT_T0_SG_SL_E_clIS9_SA_SB_SB_EEDaSZ_S10_SG_SL_EUlSZ_E_NS1_11comp_targetILNS1_3genE2ELNS1_11target_archE906ELNS1_3gpuE6ELNS1_3repE0EEENS1_47radix_sort_onesweep_sort_config_static_selectorELNS0_4arch9wavefront6targetE0EEEvSG_.private_seg_size, 0
	.set _ZN7rocprim17ROCPRIM_400000_NS6detail17trampoline_kernelINS0_14default_configENS1_35radix_sort_onesweep_config_selectorIaNS0_10empty_typeEEEZZNS1_29radix_sort_onesweep_iterationIS3_Lb1EPKaPaPS5_SB_mNS0_19identity_decomposerENS1_16block_id_wrapperIjLb0EEEEE10hipError_tT1_PNSt15iterator_traitsISG_E10value_typeET2_T3_PNSH_ISM_E10value_typeET4_T5_PSR_SS_PNS1_23onesweep_lookback_stateEbbT6_jjT7_P12ihipStream_tbENKUlT_T0_SG_SL_E_clIS9_SA_SB_SB_EEDaSZ_S10_SG_SL_EUlSZ_E_NS1_11comp_targetILNS1_3genE2ELNS1_11target_archE906ELNS1_3gpuE6ELNS1_3repE0EEENS1_47radix_sort_onesweep_sort_config_static_selectorELNS0_4arch9wavefront6targetE0EEEvSG_.uses_vcc, 0
	.set _ZN7rocprim17ROCPRIM_400000_NS6detail17trampoline_kernelINS0_14default_configENS1_35radix_sort_onesweep_config_selectorIaNS0_10empty_typeEEEZZNS1_29radix_sort_onesweep_iterationIS3_Lb1EPKaPaPS5_SB_mNS0_19identity_decomposerENS1_16block_id_wrapperIjLb0EEEEE10hipError_tT1_PNSt15iterator_traitsISG_E10value_typeET2_T3_PNSH_ISM_E10value_typeET4_T5_PSR_SS_PNS1_23onesweep_lookback_stateEbbT6_jjT7_P12ihipStream_tbENKUlT_T0_SG_SL_E_clIS9_SA_SB_SB_EEDaSZ_S10_SG_SL_EUlSZ_E_NS1_11comp_targetILNS1_3genE2ELNS1_11target_archE906ELNS1_3gpuE6ELNS1_3repE0EEENS1_47radix_sort_onesweep_sort_config_static_selectorELNS0_4arch9wavefront6targetE0EEEvSG_.uses_flat_scratch, 0
	.set _ZN7rocprim17ROCPRIM_400000_NS6detail17trampoline_kernelINS0_14default_configENS1_35radix_sort_onesweep_config_selectorIaNS0_10empty_typeEEEZZNS1_29radix_sort_onesweep_iterationIS3_Lb1EPKaPaPS5_SB_mNS0_19identity_decomposerENS1_16block_id_wrapperIjLb0EEEEE10hipError_tT1_PNSt15iterator_traitsISG_E10value_typeET2_T3_PNSH_ISM_E10value_typeET4_T5_PSR_SS_PNS1_23onesweep_lookback_stateEbbT6_jjT7_P12ihipStream_tbENKUlT_T0_SG_SL_E_clIS9_SA_SB_SB_EEDaSZ_S10_SG_SL_EUlSZ_E_NS1_11comp_targetILNS1_3genE2ELNS1_11target_archE906ELNS1_3gpuE6ELNS1_3repE0EEENS1_47radix_sort_onesweep_sort_config_static_selectorELNS0_4arch9wavefront6targetE0EEEvSG_.has_dyn_sized_stack, 0
	.set _ZN7rocprim17ROCPRIM_400000_NS6detail17trampoline_kernelINS0_14default_configENS1_35radix_sort_onesweep_config_selectorIaNS0_10empty_typeEEEZZNS1_29radix_sort_onesweep_iterationIS3_Lb1EPKaPaPS5_SB_mNS0_19identity_decomposerENS1_16block_id_wrapperIjLb0EEEEE10hipError_tT1_PNSt15iterator_traitsISG_E10value_typeET2_T3_PNSH_ISM_E10value_typeET4_T5_PSR_SS_PNS1_23onesweep_lookback_stateEbbT6_jjT7_P12ihipStream_tbENKUlT_T0_SG_SL_E_clIS9_SA_SB_SB_EEDaSZ_S10_SG_SL_EUlSZ_E_NS1_11comp_targetILNS1_3genE2ELNS1_11target_archE906ELNS1_3gpuE6ELNS1_3repE0EEENS1_47radix_sort_onesweep_sort_config_static_selectorELNS0_4arch9wavefront6targetE0EEEvSG_.has_recursion, 0
	.set _ZN7rocprim17ROCPRIM_400000_NS6detail17trampoline_kernelINS0_14default_configENS1_35radix_sort_onesweep_config_selectorIaNS0_10empty_typeEEEZZNS1_29radix_sort_onesweep_iterationIS3_Lb1EPKaPaPS5_SB_mNS0_19identity_decomposerENS1_16block_id_wrapperIjLb0EEEEE10hipError_tT1_PNSt15iterator_traitsISG_E10value_typeET2_T3_PNSH_ISM_E10value_typeET4_T5_PSR_SS_PNS1_23onesweep_lookback_stateEbbT6_jjT7_P12ihipStream_tbENKUlT_T0_SG_SL_E_clIS9_SA_SB_SB_EEDaSZ_S10_SG_SL_EUlSZ_E_NS1_11comp_targetILNS1_3genE2ELNS1_11target_archE906ELNS1_3gpuE6ELNS1_3repE0EEENS1_47radix_sort_onesweep_sort_config_static_selectorELNS0_4arch9wavefront6targetE0EEEvSG_.has_indirect_call, 0
	.section	.AMDGPU.csdata,"",@progbits
; Kernel info:
; codeLenInByte = 0
; TotalNumSgprs: 0
; NumVgprs: 0
; ScratchSize: 0
; MemoryBound: 0
; FloatMode: 240
; IeeeMode: 1
; LDSByteSize: 0 bytes/workgroup (compile time only)
; SGPRBlocks: 0
; VGPRBlocks: 0
; NumSGPRsForWavesPerEU: 1
; NumVGPRsForWavesPerEU: 1
; NamedBarCnt: 0
; Occupancy: 16
; WaveLimiterHint : 0
; COMPUTE_PGM_RSRC2:SCRATCH_EN: 0
; COMPUTE_PGM_RSRC2:USER_SGPR: 2
; COMPUTE_PGM_RSRC2:TRAP_HANDLER: 0
; COMPUTE_PGM_RSRC2:TGID_X_EN: 1
; COMPUTE_PGM_RSRC2:TGID_Y_EN: 0
; COMPUTE_PGM_RSRC2:TGID_Z_EN: 0
; COMPUTE_PGM_RSRC2:TIDIG_COMP_CNT: 0
	.section	.text._ZN7rocprim17ROCPRIM_400000_NS6detail17trampoline_kernelINS0_14default_configENS1_35radix_sort_onesweep_config_selectorIaNS0_10empty_typeEEEZZNS1_29radix_sort_onesweep_iterationIS3_Lb1EPKaPaPS5_SB_mNS0_19identity_decomposerENS1_16block_id_wrapperIjLb0EEEEE10hipError_tT1_PNSt15iterator_traitsISG_E10value_typeET2_T3_PNSH_ISM_E10value_typeET4_T5_PSR_SS_PNS1_23onesweep_lookback_stateEbbT6_jjT7_P12ihipStream_tbENKUlT_T0_SG_SL_E_clIS9_SA_SB_SB_EEDaSZ_S10_SG_SL_EUlSZ_E_NS1_11comp_targetILNS1_3genE4ELNS1_11target_archE910ELNS1_3gpuE8ELNS1_3repE0EEENS1_47radix_sort_onesweep_sort_config_static_selectorELNS0_4arch9wavefront6targetE0EEEvSG_,"axG",@progbits,_ZN7rocprim17ROCPRIM_400000_NS6detail17trampoline_kernelINS0_14default_configENS1_35radix_sort_onesweep_config_selectorIaNS0_10empty_typeEEEZZNS1_29radix_sort_onesweep_iterationIS3_Lb1EPKaPaPS5_SB_mNS0_19identity_decomposerENS1_16block_id_wrapperIjLb0EEEEE10hipError_tT1_PNSt15iterator_traitsISG_E10value_typeET2_T3_PNSH_ISM_E10value_typeET4_T5_PSR_SS_PNS1_23onesweep_lookback_stateEbbT6_jjT7_P12ihipStream_tbENKUlT_T0_SG_SL_E_clIS9_SA_SB_SB_EEDaSZ_S10_SG_SL_EUlSZ_E_NS1_11comp_targetILNS1_3genE4ELNS1_11target_archE910ELNS1_3gpuE8ELNS1_3repE0EEENS1_47radix_sort_onesweep_sort_config_static_selectorELNS0_4arch9wavefront6targetE0EEEvSG_,comdat
	.protected	_ZN7rocprim17ROCPRIM_400000_NS6detail17trampoline_kernelINS0_14default_configENS1_35radix_sort_onesweep_config_selectorIaNS0_10empty_typeEEEZZNS1_29radix_sort_onesweep_iterationIS3_Lb1EPKaPaPS5_SB_mNS0_19identity_decomposerENS1_16block_id_wrapperIjLb0EEEEE10hipError_tT1_PNSt15iterator_traitsISG_E10value_typeET2_T3_PNSH_ISM_E10value_typeET4_T5_PSR_SS_PNS1_23onesweep_lookback_stateEbbT6_jjT7_P12ihipStream_tbENKUlT_T0_SG_SL_E_clIS9_SA_SB_SB_EEDaSZ_S10_SG_SL_EUlSZ_E_NS1_11comp_targetILNS1_3genE4ELNS1_11target_archE910ELNS1_3gpuE8ELNS1_3repE0EEENS1_47radix_sort_onesweep_sort_config_static_selectorELNS0_4arch9wavefront6targetE0EEEvSG_ ; -- Begin function _ZN7rocprim17ROCPRIM_400000_NS6detail17trampoline_kernelINS0_14default_configENS1_35radix_sort_onesweep_config_selectorIaNS0_10empty_typeEEEZZNS1_29radix_sort_onesweep_iterationIS3_Lb1EPKaPaPS5_SB_mNS0_19identity_decomposerENS1_16block_id_wrapperIjLb0EEEEE10hipError_tT1_PNSt15iterator_traitsISG_E10value_typeET2_T3_PNSH_ISM_E10value_typeET4_T5_PSR_SS_PNS1_23onesweep_lookback_stateEbbT6_jjT7_P12ihipStream_tbENKUlT_T0_SG_SL_E_clIS9_SA_SB_SB_EEDaSZ_S10_SG_SL_EUlSZ_E_NS1_11comp_targetILNS1_3genE4ELNS1_11target_archE910ELNS1_3gpuE8ELNS1_3repE0EEENS1_47radix_sort_onesweep_sort_config_static_selectorELNS0_4arch9wavefront6targetE0EEEvSG_
	.globl	_ZN7rocprim17ROCPRIM_400000_NS6detail17trampoline_kernelINS0_14default_configENS1_35radix_sort_onesweep_config_selectorIaNS0_10empty_typeEEEZZNS1_29radix_sort_onesweep_iterationIS3_Lb1EPKaPaPS5_SB_mNS0_19identity_decomposerENS1_16block_id_wrapperIjLb0EEEEE10hipError_tT1_PNSt15iterator_traitsISG_E10value_typeET2_T3_PNSH_ISM_E10value_typeET4_T5_PSR_SS_PNS1_23onesweep_lookback_stateEbbT6_jjT7_P12ihipStream_tbENKUlT_T0_SG_SL_E_clIS9_SA_SB_SB_EEDaSZ_S10_SG_SL_EUlSZ_E_NS1_11comp_targetILNS1_3genE4ELNS1_11target_archE910ELNS1_3gpuE8ELNS1_3repE0EEENS1_47radix_sort_onesweep_sort_config_static_selectorELNS0_4arch9wavefront6targetE0EEEvSG_
	.p2align	8
	.type	_ZN7rocprim17ROCPRIM_400000_NS6detail17trampoline_kernelINS0_14default_configENS1_35radix_sort_onesweep_config_selectorIaNS0_10empty_typeEEEZZNS1_29radix_sort_onesweep_iterationIS3_Lb1EPKaPaPS5_SB_mNS0_19identity_decomposerENS1_16block_id_wrapperIjLb0EEEEE10hipError_tT1_PNSt15iterator_traitsISG_E10value_typeET2_T3_PNSH_ISM_E10value_typeET4_T5_PSR_SS_PNS1_23onesweep_lookback_stateEbbT6_jjT7_P12ihipStream_tbENKUlT_T0_SG_SL_E_clIS9_SA_SB_SB_EEDaSZ_S10_SG_SL_EUlSZ_E_NS1_11comp_targetILNS1_3genE4ELNS1_11target_archE910ELNS1_3gpuE8ELNS1_3repE0EEENS1_47radix_sort_onesweep_sort_config_static_selectorELNS0_4arch9wavefront6targetE0EEEvSG_,@function
_ZN7rocprim17ROCPRIM_400000_NS6detail17trampoline_kernelINS0_14default_configENS1_35radix_sort_onesweep_config_selectorIaNS0_10empty_typeEEEZZNS1_29radix_sort_onesweep_iterationIS3_Lb1EPKaPaPS5_SB_mNS0_19identity_decomposerENS1_16block_id_wrapperIjLb0EEEEE10hipError_tT1_PNSt15iterator_traitsISG_E10value_typeET2_T3_PNSH_ISM_E10value_typeET4_T5_PSR_SS_PNS1_23onesweep_lookback_stateEbbT6_jjT7_P12ihipStream_tbENKUlT_T0_SG_SL_E_clIS9_SA_SB_SB_EEDaSZ_S10_SG_SL_EUlSZ_E_NS1_11comp_targetILNS1_3genE4ELNS1_11target_archE910ELNS1_3gpuE8ELNS1_3repE0EEENS1_47radix_sort_onesweep_sort_config_static_selectorELNS0_4arch9wavefront6targetE0EEEvSG_: ; @_ZN7rocprim17ROCPRIM_400000_NS6detail17trampoline_kernelINS0_14default_configENS1_35radix_sort_onesweep_config_selectorIaNS0_10empty_typeEEEZZNS1_29radix_sort_onesweep_iterationIS3_Lb1EPKaPaPS5_SB_mNS0_19identity_decomposerENS1_16block_id_wrapperIjLb0EEEEE10hipError_tT1_PNSt15iterator_traitsISG_E10value_typeET2_T3_PNSH_ISM_E10value_typeET4_T5_PSR_SS_PNS1_23onesweep_lookback_stateEbbT6_jjT7_P12ihipStream_tbENKUlT_T0_SG_SL_E_clIS9_SA_SB_SB_EEDaSZ_S10_SG_SL_EUlSZ_E_NS1_11comp_targetILNS1_3genE4ELNS1_11target_archE910ELNS1_3gpuE8ELNS1_3repE0EEENS1_47radix_sort_onesweep_sort_config_static_selectorELNS0_4arch9wavefront6targetE0EEEvSG_
; %bb.0:
	.section	.rodata,"a",@progbits
	.p2align	6, 0x0
	.amdhsa_kernel _ZN7rocprim17ROCPRIM_400000_NS6detail17trampoline_kernelINS0_14default_configENS1_35radix_sort_onesweep_config_selectorIaNS0_10empty_typeEEEZZNS1_29radix_sort_onesweep_iterationIS3_Lb1EPKaPaPS5_SB_mNS0_19identity_decomposerENS1_16block_id_wrapperIjLb0EEEEE10hipError_tT1_PNSt15iterator_traitsISG_E10value_typeET2_T3_PNSH_ISM_E10value_typeET4_T5_PSR_SS_PNS1_23onesweep_lookback_stateEbbT6_jjT7_P12ihipStream_tbENKUlT_T0_SG_SL_E_clIS9_SA_SB_SB_EEDaSZ_S10_SG_SL_EUlSZ_E_NS1_11comp_targetILNS1_3genE4ELNS1_11target_archE910ELNS1_3gpuE8ELNS1_3repE0EEENS1_47radix_sort_onesweep_sort_config_static_selectorELNS0_4arch9wavefront6targetE0EEEvSG_
		.amdhsa_group_segment_fixed_size 0
		.amdhsa_private_segment_fixed_size 0
		.amdhsa_kernarg_size 88
		.amdhsa_user_sgpr_count 2
		.amdhsa_user_sgpr_dispatch_ptr 0
		.amdhsa_user_sgpr_queue_ptr 0
		.amdhsa_user_sgpr_kernarg_segment_ptr 1
		.amdhsa_user_sgpr_dispatch_id 0
		.amdhsa_user_sgpr_kernarg_preload_length 0
		.amdhsa_user_sgpr_kernarg_preload_offset 0
		.amdhsa_user_sgpr_private_segment_size 0
		.amdhsa_wavefront_size32 1
		.amdhsa_uses_dynamic_stack 0
		.amdhsa_enable_private_segment 0
		.amdhsa_system_sgpr_workgroup_id_x 1
		.amdhsa_system_sgpr_workgroup_id_y 0
		.amdhsa_system_sgpr_workgroup_id_z 0
		.amdhsa_system_sgpr_workgroup_info 0
		.amdhsa_system_vgpr_workitem_id 0
		.amdhsa_next_free_vgpr 1
		.amdhsa_next_free_sgpr 1
		.amdhsa_named_barrier_count 0
		.amdhsa_reserve_vcc 0
		.amdhsa_float_round_mode_32 0
		.amdhsa_float_round_mode_16_64 0
		.amdhsa_float_denorm_mode_32 3
		.amdhsa_float_denorm_mode_16_64 3
		.amdhsa_fp16_overflow 0
		.amdhsa_memory_ordered 1
		.amdhsa_forward_progress 1
		.amdhsa_inst_pref_size 0
		.amdhsa_round_robin_scheduling 0
		.amdhsa_exception_fp_ieee_invalid_op 0
		.amdhsa_exception_fp_denorm_src 0
		.amdhsa_exception_fp_ieee_div_zero 0
		.amdhsa_exception_fp_ieee_overflow 0
		.amdhsa_exception_fp_ieee_underflow 0
		.amdhsa_exception_fp_ieee_inexact 0
		.amdhsa_exception_int_div_zero 0
	.end_amdhsa_kernel
	.section	.text._ZN7rocprim17ROCPRIM_400000_NS6detail17trampoline_kernelINS0_14default_configENS1_35radix_sort_onesweep_config_selectorIaNS0_10empty_typeEEEZZNS1_29radix_sort_onesweep_iterationIS3_Lb1EPKaPaPS5_SB_mNS0_19identity_decomposerENS1_16block_id_wrapperIjLb0EEEEE10hipError_tT1_PNSt15iterator_traitsISG_E10value_typeET2_T3_PNSH_ISM_E10value_typeET4_T5_PSR_SS_PNS1_23onesweep_lookback_stateEbbT6_jjT7_P12ihipStream_tbENKUlT_T0_SG_SL_E_clIS9_SA_SB_SB_EEDaSZ_S10_SG_SL_EUlSZ_E_NS1_11comp_targetILNS1_3genE4ELNS1_11target_archE910ELNS1_3gpuE8ELNS1_3repE0EEENS1_47radix_sort_onesweep_sort_config_static_selectorELNS0_4arch9wavefront6targetE0EEEvSG_,"axG",@progbits,_ZN7rocprim17ROCPRIM_400000_NS6detail17trampoline_kernelINS0_14default_configENS1_35radix_sort_onesweep_config_selectorIaNS0_10empty_typeEEEZZNS1_29radix_sort_onesweep_iterationIS3_Lb1EPKaPaPS5_SB_mNS0_19identity_decomposerENS1_16block_id_wrapperIjLb0EEEEE10hipError_tT1_PNSt15iterator_traitsISG_E10value_typeET2_T3_PNSH_ISM_E10value_typeET4_T5_PSR_SS_PNS1_23onesweep_lookback_stateEbbT6_jjT7_P12ihipStream_tbENKUlT_T0_SG_SL_E_clIS9_SA_SB_SB_EEDaSZ_S10_SG_SL_EUlSZ_E_NS1_11comp_targetILNS1_3genE4ELNS1_11target_archE910ELNS1_3gpuE8ELNS1_3repE0EEENS1_47radix_sort_onesweep_sort_config_static_selectorELNS0_4arch9wavefront6targetE0EEEvSG_,comdat
.Lfunc_end377:
	.size	_ZN7rocprim17ROCPRIM_400000_NS6detail17trampoline_kernelINS0_14default_configENS1_35radix_sort_onesweep_config_selectorIaNS0_10empty_typeEEEZZNS1_29radix_sort_onesweep_iterationIS3_Lb1EPKaPaPS5_SB_mNS0_19identity_decomposerENS1_16block_id_wrapperIjLb0EEEEE10hipError_tT1_PNSt15iterator_traitsISG_E10value_typeET2_T3_PNSH_ISM_E10value_typeET4_T5_PSR_SS_PNS1_23onesweep_lookback_stateEbbT6_jjT7_P12ihipStream_tbENKUlT_T0_SG_SL_E_clIS9_SA_SB_SB_EEDaSZ_S10_SG_SL_EUlSZ_E_NS1_11comp_targetILNS1_3genE4ELNS1_11target_archE910ELNS1_3gpuE8ELNS1_3repE0EEENS1_47radix_sort_onesweep_sort_config_static_selectorELNS0_4arch9wavefront6targetE0EEEvSG_, .Lfunc_end377-_ZN7rocprim17ROCPRIM_400000_NS6detail17trampoline_kernelINS0_14default_configENS1_35radix_sort_onesweep_config_selectorIaNS0_10empty_typeEEEZZNS1_29radix_sort_onesweep_iterationIS3_Lb1EPKaPaPS5_SB_mNS0_19identity_decomposerENS1_16block_id_wrapperIjLb0EEEEE10hipError_tT1_PNSt15iterator_traitsISG_E10value_typeET2_T3_PNSH_ISM_E10value_typeET4_T5_PSR_SS_PNS1_23onesweep_lookback_stateEbbT6_jjT7_P12ihipStream_tbENKUlT_T0_SG_SL_E_clIS9_SA_SB_SB_EEDaSZ_S10_SG_SL_EUlSZ_E_NS1_11comp_targetILNS1_3genE4ELNS1_11target_archE910ELNS1_3gpuE8ELNS1_3repE0EEENS1_47radix_sort_onesweep_sort_config_static_selectorELNS0_4arch9wavefront6targetE0EEEvSG_
                                        ; -- End function
	.set _ZN7rocprim17ROCPRIM_400000_NS6detail17trampoline_kernelINS0_14default_configENS1_35radix_sort_onesweep_config_selectorIaNS0_10empty_typeEEEZZNS1_29radix_sort_onesweep_iterationIS3_Lb1EPKaPaPS5_SB_mNS0_19identity_decomposerENS1_16block_id_wrapperIjLb0EEEEE10hipError_tT1_PNSt15iterator_traitsISG_E10value_typeET2_T3_PNSH_ISM_E10value_typeET4_T5_PSR_SS_PNS1_23onesweep_lookback_stateEbbT6_jjT7_P12ihipStream_tbENKUlT_T0_SG_SL_E_clIS9_SA_SB_SB_EEDaSZ_S10_SG_SL_EUlSZ_E_NS1_11comp_targetILNS1_3genE4ELNS1_11target_archE910ELNS1_3gpuE8ELNS1_3repE0EEENS1_47radix_sort_onesweep_sort_config_static_selectorELNS0_4arch9wavefront6targetE0EEEvSG_.num_vgpr, 0
	.set _ZN7rocprim17ROCPRIM_400000_NS6detail17trampoline_kernelINS0_14default_configENS1_35radix_sort_onesweep_config_selectorIaNS0_10empty_typeEEEZZNS1_29radix_sort_onesweep_iterationIS3_Lb1EPKaPaPS5_SB_mNS0_19identity_decomposerENS1_16block_id_wrapperIjLb0EEEEE10hipError_tT1_PNSt15iterator_traitsISG_E10value_typeET2_T3_PNSH_ISM_E10value_typeET4_T5_PSR_SS_PNS1_23onesweep_lookback_stateEbbT6_jjT7_P12ihipStream_tbENKUlT_T0_SG_SL_E_clIS9_SA_SB_SB_EEDaSZ_S10_SG_SL_EUlSZ_E_NS1_11comp_targetILNS1_3genE4ELNS1_11target_archE910ELNS1_3gpuE8ELNS1_3repE0EEENS1_47radix_sort_onesweep_sort_config_static_selectorELNS0_4arch9wavefront6targetE0EEEvSG_.num_agpr, 0
	.set _ZN7rocprim17ROCPRIM_400000_NS6detail17trampoline_kernelINS0_14default_configENS1_35radix_sort_onesweep_config_selectorIaNS0_10empty_typeEEEZZNS1_29radix_sort_onesweep_iterationIS3_Lb1EPKaPaPS5_SB_mNS0_19identity_decomposerENS1_16block_id_wrapperIjLb0EEEEE10hipError_tT1_PNSt15iterator_traitsISG_E10value_typeET2_T3_PNSH_ISM_E10value_typeET4_T5_PSR_SS_PNS1_23onesweep_lookback_stateEbbT6_jjT7_P12ihipStream_tbENKUlT_T0_SG_SL_E_clIS9_SA_SB_SB_EEDaSZ_S10_SG_SL_EUlSZ_E_NS1_11comp_targetILNS1_3genE4ELNS1_11target_archE910ELNS1_3gpuE8ELNS1_3repE0EEENS1_47radix_sort_onesweep_sort_config_static_selectorELNS0_4arch9wavefront6targetE0EEEvSG_.numbered_sgpr, 0
	.set _ZN7rocprim17ROCPRIM_400000_NS6detail17trampoline_kernelINS0_14default_configENS1_35radix_sort_onesweep_config_selectorIaNS0_10empty_typeEEEZZNS1_29radix_sort_onesweep_iterationIS3_Lb1EPKaPaPS5_SB_mNS0_19identity_decomposerENS1_16block_id_wrapperIjLb0EEEEE10hipError_tT1_PNSt15iterator_traitsISG_E10value_typeET2_T3_PNSH_ISM_E10value_typeET4_T5_PSR_SS_PNS1_23onesweep_lookback_stateEbbT6_jjT7_P12ihipStream_tbENKUlT_T0_SG_SL_E_clIS9_SA_SB_SB_EEDaSZ_S10_SG_SL_EUlSZ_E_NS1_11comp_targetILNS1_3genE4ELNS1_11target_archE910ELNS1_3gpuE8ELNS1_3repE0EEENS1_47radix_sort_onesweep_sort_config_static_selectorELNS0_4arch9wavefront6targetE0EEEvSG_.num_named_barrier, 0
	.set _ZN7rocprim17ROCPRIM_400000_NS6detail17trampoline_kernelINS0_14default_configENS1_35radix_sort_onesweep_config_selectorIaNS0_10empty_typeEEEZZNS1_29radix_sort_onesweep_iterationIS3_Lb1EPKaPaPS5_SB_mNS0_19identity_decomposerENS1_16block_id_wrapperIjLb0EEEEE10hipError_tT1_PNSt15iterator_traitsISG_E10value_typeET2_T3_PNSH_ISM_E10value_typeET4_T5_PSR_SS_PNS1_23onesweep_lookback_stateEbbT6_jjT7_P12ihipStream_tbENKUlT_T0_SG_SL_E_clIS9_SA_SB_SB_EEDaSZ_S10_SG_SL_EUlSZ_E_NS1_11comp_targetILNS1_3genE4ELNS1_11target_archE910ELNS1_3gpuE8ELNS1_3repE0EEENS1_47radix_sort_onesweep_sort_config_static_selectorELNS0_4arch9wavefront6targetE0EEEvSG_.private_seg_size, 0
	.set _ZN7rocprim17ROCPRIM_400000_NS6detail17trampoline_kernelINS0_14default_configENS1_35radix_sort_onesweep_config_selectorIaNS0_10empty_typeEEEZZNS1_29radix_sort_onesweep_iterationIS3_Lb1EPKaPaPS5_SB_mNS0_19identity_decomposerENS1_16block_id_wrapperIjLb0EEEEE10hipError_tT1_PNSt15iterator_traitsISG_E10value_typeET2_T3_PNSH_ISM_E10value_typeET4_T5_PSR_SS_PNS1_23onesweep_lookback_stateEbbT6_jjT7_P12ihipStream_tbENKUlT_T0_SG_SL_E_clIS9_SA_SB_SB_EEDaSZ_S10_SG_SL_EUlSZ_E_NS1_11comp_targetILNS1_3genE4ELNS1_11target_archE910ELNS1_3gpuE8ELNS1_3repE0EEENS1_47radix_sort_onesweep_sort_config_static_selectorELNS0_4arch9wavefront6targetE0EEEvSG_.uses_vcc, 0
	.set _ZN7rocprim17ROCPRIM_400000_NS6detail17trampoline_kernelINS0_14default_configENS1_35radix_sort_onesweep_config_selectorIaNS0_10empty_typeEEEZZNS1_29radix_sort_onesweep_iterationIS3_Lb1EPKaPaPS5_SB_mNS0_19identity_decomposerENS1_16block_id_wrapperIjLb0EEEEE10hipError_tT1_PNSt15iterator_traitsISG_E10value_typeET2_T3_PNSH_ISM_E10value_typeET4_T5_PSR_SS_PNS1_23onesweep_lookback_stateEbbT6_jjT7_P12ihipStream_tbENKUlT_T0_SG_SL_E_clIS9_SA_SB_SB_EEDaSZ_S10_SG_SL_EUlSZ_E_NS1_11comp_targetILNS1_3genE4ELNS1_11target_archE910ELNS1_3gpuE8ELNS1_3repE0EEENS1_47radix_sort_onesweep_sort_config_static_selectorELNS0_4arch9wavefront6targetE0EEEvSG_.uses_flat_scratch, 0
	.set _ZN7rocprim17ROCPRIM_400000_NS6detail17trampoline_kernelINS0_14default_configENS1_35radix_sort_onesweep_config_selectorIaNS0_10empty_typeEEEZZNS1_29radix_sort_onesweep_iterationIS3_Lb1EPKaPaPS5_SB_mNS0_19identity_decomposerENS1_16block_id_wrapperIjLb0EEEEE10hipError_tT1_PNSt15iterator_traitsISG_E10value_typeET2_T3_PNSH_ISM_E10value_typeET4_T5_PSR_SS_PNS1_23onesweep_lookback_stateEbbT6_jjT7_P12ihipStream_tbENKUlT_T0_SG_SL_E_clIS9_SA_SB_SB_EEDaSZ_S10_SG_SL_EUlSZ_E_NS1_11comp_targetILNS1_3genE4ELNS1_11target_archE910ELNS1_3gpuE8ELNS1_3repE0EEENS1_47radix_sort_onesweep_sort_config_static_selectorELNS0_4arch9wavefront6targetE0EEEvSG_.has_dyn_sized_stack, 0
	.set _ZN7rocprim17ROCPRIM_400000_NS6detail17trampoline_kernelINS0_14default_configENS1_35radix_sort_onesweep_config_selectorIaNS0_10empty_typeEEEZZNS1_29radix_sort_onesweep_iterationIS3_Lb1EPKaPaPS5_SB_mNS0_19identity_decomposerENS1_16block_id_wrapperIjLb0EEEEE10hipError_tT1_PNSt15iterator_traitsISG_E10value_typeET2_T3_PNSH_ISM_E10value_typeET4_T5_PSR_SS_PNS1_23onesweep_lookback_stateEbbT6_jjT7_P12ihipStream_tbENKUlT_T0_SG_SL_E_clIS9_SA_SB_SB_EEDaSZ_S10_SG_SL_EUlSZ_E_NS1_11comp_targetILNS1_3genE4ELNS1_11target_archE910ELNS1_3gpuE8ELNS1_3repE0EEENS1_47radix_sort_onesweep_sort_config_static_selectorELNS0_4arch9wavefront6targetE0EEEvSG_.has_recursion, 0
	.set _ZN7rocprim17ROCPRIM_400000_NS6detail17trampoline_kernelINS0_14default_configENS1_35radix_sort_onesweep_config_selectorIaNS0_10empty_typeEEEZZNS1_29radix_sort_onesweep_iterationIS3_Lb1EPKaPaPS5_SB_mNS0_19identity_decomposerENS1_16block_id_wrapperIjLb0EEEEE10hipError_tT1_PNSt15iterator_traitsISG_E10value_typeET2_T3_PNSH_ISM_E10value_typeET4_T5_PSR_SS_PNS1_23onesweep_lookback_stateEbbT6_jjT7_P12ihipStream_tbENKUlT_T0_SG_SL_E_clIS9_SA_SB_SB_EEDaSZ_S10_SG_SL_EUlSZ_E_NS1_11comp_targetILNS1_3genE4ELNS1_11target_archE910ELNS1_3gpuE8ELNS1_3repE0EEENS1_47radix_sort_onesweep_sort_config_static_selectorELNS0_4arch9wavefront6targetE0EEEvSG_.has_indirect_call, 0
	.section	.AMDGPU.csdata,"",@progbits
; Kernel info:
; codeLenInByte = 0
; TotalNumSgprs: 0
; NumVgprs: 0
; ScratchSize: 0
; MemoryBound: 0
; FloatMode: 240
; IeeeMode: 1
; LDSByteSize: 0 bytes/workgroup (compile time only)
; SGPRBlocks: 0
; VGPRBlocks: 0
; NumSGPRsForWavesPerEU: 1
; NumVGPRsForWavesPerEU: 1
; NamedBarCnt: 0
; Occupancy: 16
; WaveLimiterHint : 0
; COMPUTE_PGM_RSRC2:SCRATCH_EN: 0
; COMPUTE_PGM_RSRC2:USER_SGPR: 2
; COMPUTE_PGM_RSRC2:TRAP_HANDLER: 0
; COMPUTE_PGM_RSRC2:TGID_X_EN: 1
; COMPUTE_PGM_RSRC2:TGID_Y_EN: 0
; COMPUTE_PGM_RSRC2:TGID_Z_EN: 0
; COMPUTE_PGM_RSRC2:TIDIG_COMP_CNT: 0
	.section	.text._ZN7rocprim17ROCPRIM_400000_NS6detail17trampoline_kernelINS0_14default_configENS1_35radix_sort_onesweep_config_selectorIaNS0_10empty_typeEEEZZNS1_29radix_sort_onesweep_iterationIS3_Lb1EPKaPaPS5_SB_mNS0_19identity_decomposerENS1_16block_id_wrapperIjLb0EEEEE10hipError_tT1_PNSt15iterator_traitsISG_E10value_typeET2_T3_PNSH_ISM_E10value_typeET4_T5_PSR_SS_PNS1_23onesweep_lookback_stateEbbT6_jjT7_P12ihipStream_tbENKUlT_T0_SG_SL_E_clIS9_SA_SB_SB_EEDaSZ_S10_SG_SL_EUlSZ_E_NS1_11comp_targetILNS1_3genE3ELNS1_11target_archE908ELNS1_3gpuE7ELNS1_3repE0EEENS1_47radix_sort_onesweep_sort_config_static_selectorELNS0_4arch9wavefront6targetE0EEEvSG_,"axG",@progbits,_ZN7rocprim17ROCPRIM_400000_NS6detail17trampoline_kernelINS0_14default_configENS1_35radix_sort_onesweep_config_selectorIaNS0_10empty_typeEEEZZNS1_29radix_sort_onesweep_iterationIS3_Lb1EPKaPaPS5_SB_mNS0_19identity_decomposerENS1_16block_id_wrapperIjLb0EEEEE10hipError_tT1_PNSt15iterator_traitsISG_E10value_typeET2_T3_PNSH_ISM_E10value_typeET4_T5_PSR_SS_PNS1_23onesweep_lookback_stateEbbT6_jjT7_P12ihipStream_tbENKUlT_T0_SG_SL_E_clIS9_SA_SB_SB_EEDaSZ_S10_SG_SL_EUlSZ_E_NS1_11comp_targetILNS1_3genE3ELNS1_11target_archE908ELNS1_3gpuE7ELNS1_3repE0EEENS1_47radix_sort_onesweep_sort_config_static_selectorELNS0_4arch9wavefront6targetE0EEEvSG_,comdat
	.protected	_ZN7rocprim17ROCPRIM_400000_NS6detail17trampoline_kernelINS0_14default_configENS1_35radix_sort_onesweep_config_selectorIaNS0_10empty_typeEEEZZNS1_29radix_sort_onesweep_iterationIS3_Lb1EPKaPaPS5_SB_mNS0_19identity_decomposerENS1_16block_id_wrapperIjLb0EEEEE10hipError_tT1_PNSt15iterator_traitsISG_E10value_typeET2_T3_PNSH_ISM_E10value_typeET4_T5_PSR_SS_PNS1_23onesweep_lookback_stateEbbT6_jjT7_P12ihipStream_tbENKUlT_T0_SG_SL_E_clIS9_SA_SB_SB_EEDaSZ_S10_SG_SL_EUlSZ_E_NS1_11comp_targetILNS1_3genE3ELNS1_11target_archE908ELNS1_3gpuE7ELNS1_3repE0EEENS1_47radix_sort_onesweep_sort_config_static_selectorELNS0_4arch9wavefront6targetE0EEEvSG_ ; -- Begin function _ZN7rocprim17ROCPRIM_400000_NS6detail17trampoline_kernelINS0_14default_configENS1_35radix_sort_onesweep_config_selectorIaNS0_10empty_typeEEEZZNS1_29radix_sort_onesweep_iterationIS3_Lb1EPKaPaPS5_SB_mNS0_19identity_decomposerENS1_16block_id_wrapperIjLb0EEEEE10hipError_tT1_PNSt15iterator_traitsISG_E10value_typeET2_T3_PNSH_ISM_E10value_typeET4_T5_PSR_SS_PNS1_23onesweep_lookback_stateEbbT6_jjT7_P12ihipStream_tbENKUlT_T0_SG_SL_E_clIS9_SA_SB_SB_EEDaSZ_S10_SG_SL_EUlSZ_E_NS1_11comp_targetILNS1_3genE3ELNS1_11target_archE908ELNS1_3gpuE7ELNS1_3repE0EEENS1_47radix_sort_onesweep_sort_config_static_selectorELNS0_4arch9wavefront6targetE0EEEvSG_
	.globl	_ZN7rocprim17ROCPRIM_400000_NS6detail17trampoline_kernelINS0_14default_configENS1_35radix_sort_onesweep_config_selectorIaNS0_10empty_typeEEEZZNS1_29radix_sort_onesweep_iterationIS3_Lb1EPKaPaPS5_SB_mNS0_19identity_decomposerENS1_16block_id_wrapperIjLb0EEEEE10hipError_tT1_PNSt15iterator_traitsISG_E10value_typeET2_T3_PNSH_ISM_E10value_typeET4_T5_PSR_SS_PNS1_23onesweep_lookback_stateEbbT6_jjT7_P12ihipStream_tbENKUlT_T0_SG_SL_E_clIS9_SA_SB_SB_EEDaSZ_S10_SG_SL_EUlSZ_E_NS1_11comp_targetILNS1_3genE3ELNS1_11target_archE908ELNS1_3gpuE7ELNS1_3repE0EEENS1_47radix_sort_onesweep_sort_config_static_selectorELNS0_4arch9wavefront6targetE0EEEvSG_
	.p2align	8
	.type	_ZN7rocprim17ROCPRIM_400000_NS6detail17trampoline_kernelINS0_14default_configENS1_35radix_sort_onesweep_config_selectorIaNS0_10empty_typeEEEZZNS1_29radix_sort_onesweep_iterationIS3_Lb1EPKaPaPS5_SB_mNS0_19identity_decomposerENS1_16block_id_wrapperIjLb0EEEEE10hipError_tT1_PNSt15iterator_traitsISG_E10value_typeET2_T3_PNSH_ISM_E10value_typeET4_T5_PSR_SS_PNS1_23onesweep_lookback_stateEbbT6_jjT7_P12ihipStream_tbENKUlT_T0_SG_SL_E_clIS9_SA_SB_SB_EEDaSZ_S10_SG_SL_EUlSZ_E_NS1_11comp_targetILNS1_3genE3ELNS1_11target_archE908ELNS1_3gpuE7ELNS1_3repE0EEENS1_47radix_sort_onesweep_sort_config_static_selectorELNS0_4arch9wavefront6targetE0EEEvSG_,@function
_ZN7rocprim17ROCPRIM_400000_NS6detail17trampoline_kernelINS0_14default_configENS1_35radix_sort_onesweep_config_selectorIaNS0_10empty_typeEEEZZNS1_29radix_sort_onesweep_iterationIS3_Lb1EPKaPaPS5_SB_mNS0_19identity_decomposerENS1_16block_id_wrapperIjLb0EEEEE10hipError_tT1_PNSt15iterator_traitsISG_E10value_typeET2_T3_PNSH_ISM_E10value_typeET4_T5_PSR_SS_PNS1_23onesweep_lookback_stateEbbT6_jjT7_P12ihipStream_tbENKUlT_T0_SG_SL_E_clIS9_SA_SB_SB_EEDaSZ_S10_SG_SL_EUlSZ_E_NS1_11comp_targetILNS1_3genE3ELNS1_11target_archE908ELNS1_3gpuE7ELNS1_3repE0EEENS1_47radix_sort_onesweep_sort_config_static_selectorELNS0_4arch9wavefront6targetE0EEEvSG_: ; @_ZN7rocprim17ROCPRIM_400000_NS6detail17trampoline_kernelINS0_14default_configENS1_35radix_sort_onesweep_config_selectorIaNS0_10empty_typeEEEZZNS1_29radix_sort_onesweep_iterationIS3_Lb1EPKaPaPS5_SB_mNS0_19identity_decomposerENS1_16block_id_wrapperIjLb0EEEEE10hipError_tT1_PNSt15iterator_traitsISG_E10value_typeET2_T3_PNSH_ISM_E10value_typeET4_T5_PSR_SS_PNS1_23onesweep_lookback_stateEbbT6_jjT7_P12ihipStream_tbENKUlT_T0_SG_SL_E_clIS9_SA_SB_SB_EEDaSZ_S10_SG_SL_EUlSZ_E_NS1_11comp_targetILNS1_3genE3ELNS1_11target_archE908ELNS1_3gpuE7ELNS1_3repE0EEENS1_47radix_sort_onesweep_sort_config_static_selectorELNS0_4arch9wavefront6targetE0EEEvSG_
; %bb.0:
	.section	.rodata,"a",@progbits
	.p2align	6, 0x0
	.amdhsa_kernel _ZN7rocprim17ROCPRIM_400000_NS6detail17trampoline_kernelINS0_14default_configENS1_35radix_sort_onesweep_config_selectorIaNS0_10empty_typeEEEZZNS1_29radix_sort_onesweep_iterationIS3_Lb1EPKaPaPS5_SB_mNS0_19identity_decomposerENS1_16block_id_wrapperIjLb0EEEEE10hipError_tT1_PNSt15iterator_traitsISG_E10value_typeET2_T3_PNSH_ISM_E10value_typeET4_T5_PSR_SS_PNS1_23onesweep_lookback_stateEbbT6_jjT7_P12ihipStream_tbENKUlT_T0_SG_SL_E_clIS9_SA_SB_SB_EEDaSZ_S10_SG_SL_EUlSZ_E_NS1_11comp_targetILNS1_3genE3ELNS1_11target_archE908ELNS1_3gpuE7ELNS1_3repE0EEENS1_47radix_sort_onesweep_sort_config_static_selectorELNS0_4arch9wavefront6targetE0EEEvSG_
		.amdhsa_group_segment_fixed_size 0
		.amdhsa_private_segment_fixed_size 0
		.amdhsa_kernarg_size 88
		.amdhsa_user_sgpr_count 2
		.amdhsa_user_sgpr_dispatch_ptr 0
		.amdhsa_user_sgpr_queue_ptr 0
		.amdhsa_user_sgpr_kernarg_segment_ptr 1
		.amdhsa_user_sgpr_dispatch_id 0
		.amdhsa_user_sgpr_kernarg_preload_length 0
		.amdhsa_user_sgpr_kernarg_preload_offset 0
		.amdhsa_user_sgpr_private_segment_size 0
		.amdhsa_wavefront_size32 1
		.amdhsa_uses_dynamic_stack 0
		.amdhsa_enable_private_segment 0
		.amdhsa_system_sgpr_workgroup_id_x 1
		.amdhsa_system_sgpr_workgroup_id_y 0
		.amdhsa_system_sgpr_workgroup_id_z 0
		.amdhsa_system_sgpr_workgroup_info 0
		.amdhsa_system_vgpr_workitem_id 0
		.amdhsa_next_free_vgpr 1
		.amdhsa_next_free_sgpr 1
		.amdhsa_named_barrier_count 0
		.amdhsa_reserve_vcc 0
		.amdhsa_float_round_mode_32 0
		.amdhsa_float_round_mode_16_64 0
		.amdhsa_float_denorm_mode_32 3
		.amdhsa_float_denorm_mode_16_64 3
		.amdhsa_fp16_overflow 0
		.amdhsa_memory_ordered 1
		.amdhsa_forward_progress 1
		.amdhsa_inst_pref_size 0
		.amdhsa_round_robin_scheduling 0
		.amdhsa_exception_fp_ieee_invalid_op 0
		.amdhsa_exception_fp_denorm_src 0
		.amdhsa_exception_fp_ieee_div_zero 0
		.amdhsa_exception_fp_ieee_overflow 0
		.amdhsa_exception_fp_ieee_underflow 0
		.amdhsa_exception_fp_ieee_inexact 0
		.amdhsa_exception_int_div_zero 0
	.end_amdhsa_kernel
	.section	.text._ZN7rocprim17ROCPRIM_400000_NS6detail17trampoline_kernelINS0_14default_configENS1_35radix_sort_onesweep_config_selectorIaNS0_10empty_typeEEEZZNS1_29radix_sort_onesweep_iterationIS3_Lb1EPKaPaPS5_SB_mNS0_19identity_decomposerENS1_16block_id_wrapperIjLb0EEEEE10hipError_tT1_PNSt15iterator_traitsISG_E10value_typeET2_T3_PNSH_ISM_E10value_typeET4_T5_PSR_SS_PNS1_23onesweep_lookback_stateEbbT6_jjT7_P12ihipStream_tbENKUlT_T0_SG_SL_E_clIS9_SA_SB_SB_EEDaSZ_S10_SG_SL_EUlSZ_E_NS1_11comp_targetILNS1_3genE3ELNS1_11target_archE908ELNS1_3gpuE7ELNS1_3repE0EEENS1_47radix_sort_onesweep_sort_config_static_selectorELNS0_4arch9wavefront6targetE0EEEvSG_,"axG",@progbits,_ZN7rocprim17ROCPRIM_400000_NS6detail17trampoline_kernelINS0_14default_configENS1_35radix_sort_onesweep_config_selectorIaNS0_10empty_typeEEEZZNS1_29radix_sort_onesweep_iterationIS3_Lb1EPKaPaPS5_SB_mNS0_19identity_decomposerENS1_16block_id_wrapperIjLb0EEEEE10hipError_tT1_PNSt15iterator_traitsISG_E10value_typeET2_T3_PNSH_ISM_E10value_typeET4_T5_PSR_SS_PNS1_23onesweep_lookback_stateEbbT6_jjT7_P12ihipStream_tbENKUlT_T0_SG_SL_E_clIS9_SA_SB_SB_EEDaSZ_S10_SG_SL_EUlSZ_E_NS1_11comp_targetILNS1_3genE3ELNS1_11target_archE908ELNS1_3gpuE7ELNS1_3repE0EEENS1_47radix_sort_onesweep_sort_config_static_selectorELNS0_4arch9wavefront6targetE0EEEvSG_,comdat
.Lfunc_end378:
	.size	_ZN7rocprim17ROCPRIM_400000_NS6detail17trampoline_kernelINS0_14default_configENS1_35radix_sort_onesweep_config_selectorIaNS0_10empty_typeEEEZZNS1_29radix_sort_onesweep_iterationIS3_Lb1EPKaPaPS5_SB_mNS0_19identity_decomposerENS1_16block_id_wrapperIjLb0EEEEE10hipError_tT1_PNSt15iterator_traitsISG_E10value_typeET2_T3_PNSH_ISM_E10value_typeET4_T5_PSR_SS_PNS1_23onesweep_lookback_stateEbbT6_jjT7_P12ihipStream_tbENKUlT_T0_SG_SL_E_clIS9_SA_SB_SB_EEDaSZ_S10_SG_SL_EUlSZ_E_NS1_11comp_targetILNS1_3genE3ELNS1_11target_archE908ELNS1_3gpuE7ELNS1_3repE0EEENS1_47radix_sort_onesweep_sort_config_static_selectorELNS0_4arch9wavefront6targetE0EEEvSG_, .Lfunc_end378-_ZN7rocprim17ROCPRIM_400000_NS6detail17trampoline_kernelINS0_14default_configENS1_35radix_sort_onesweep_config_selectorIaNS0_10empty_typeEEEZZNS1_29radix_sort_onesweep_iterationIS3_Lb1EPKaPaPS5_SB_mNS0_19identity_decomposerENS1_16block_id_wrapperIjLb0EEEEE10hipError_tT1_PNSt15iterator_traitsISG_E10value_typeET2_T3_PNSH_ISM_E10value_typeET4_T5_PSR_SS_PNS1_23onesweep_lookback_stateEbbT6_jjT7_P12ihipStream_tbENKUlT_T0_SG_SL_E_clIS9_SA_SB_SB_EEDaSZ_S10_SG_SL_EUlSZ_E_NS1_11comp_targetILNS1_3genE3ELNS1_11target_archE908ELNS1_3gpuE7ELNS1_3repE0EEENS1_47radix_sort_onesweep_sort_config_static_selectorELNS0_4arch9wavefront6targetE0EEEvSG_
                                        ; -- End function
	.set _ZN7rocprim17ROCPRIM_400000_NS6detail17trampoline_kernelINS0_14default_configENS1_35radix_sort_onesweep_config_selectorIaNS0_10empty_typeEEEZZNS1_29radix_sort_onesweep_iterationIS3_Lb1EPKaPaPS5_SB_mNS0_19identity_decomposerENS1_16block_id_wrapperIjLb0EEEEE10hipError_tT1_PNSt15iterator_traitsISG_E10value_typeET2_T3_PNSH_ISM_E10value_typeET4_T5_PSR_SS_PNS1_23onesweep_lookback_stateEbbT6_jjT7_P12ihipStream_tbENKUlT_T0_SG_SL_E_clIS9_SA_SB_SB_EEDaSZ_S10_SG_SL_EUlSZ_E_NS1_11comp_targetILNS1_3genE3ELNS1_11target_archE908ELNS1_3gpuE7ELNS1_3repE0EEENS1_47radix_sort_onesweep_sort_config_static_selectorELNS0_4arch9wavefront6targetE0EEEvSG_.num_vgpr, 0
	.set _ZN7rocprim17ROCPRIM_400000_NS6detail17trampoline_kernelINS0_14default_configENS1_35radix_sort_onesweep_config_selectorIaNS0_10empty_typeEEEZZNS1_29radix_sort_onesweep_iterationIS3_Lb1EPKaPaPS5_SB_mNS0_19identity_decomposerENS1_16block_id_wrapperIjLb0EEEEE10hipError_tT1_PNSt15iterator_traitsISG_E10value_typeET2_T3_PNSH_ISM_E10value_typeET4_T5_PSR_SS_PNS1_23onesweep_lookback_stateEbbT6_jjT7_P12ihipStream_tbENKUlT_T0_SG_SL_E_clIS9_SA_SB_SB_EEDaSZ_S10_SG_SL_EUlSZ_E_NS1_11comp_targetILNS1_3genE3ELNS1_11target_archE908ELNS1_3gpuE7ELNS1_3repE0EEENS1_47radix_sort_onesweep_sort_config_static_selectorELNS0_4arch9wavefront6targetE0EEEvSG_.num_agpr, 0
	.set _ZN7rocprim17ROCPRIM_400000_NS6detail17trampoline_kernelINS0_14default_configENS1_35radix_sort_onesweep_config_selectorIaNS0_10empty_typeEEEZZNS1_29radix_sort_onesweep_iterationIS3_Lb1EPKaPaPS5_SB_mNS0_19identity_decomposerENS1_16block_id_wrapperIjLb0EEEEE10hipError_tT1_PNSt15iterator_traitsISG_E10value_typeET2_T3_PNSH_ISM_E10value_typeET4_T5_PSR_SS_PNS1_23onesweep_lookback_stateEbbT6_jjT7_P12ihipStream_tbENKUlT_T0_SG_SL_E_clIS9_SA_SB_SB_EEDaSZ_S10_SG_SL_EUlSZ_E_NS1_11comp_targetILNS1_3genE3ELNS1_11target_archE908ELNS1_3gpuE7ELNS1_3repE0EEENS1_47radix_sort_onesweep_sort_config_static_selectorELNS0_4arch9wavefront6targetE0EEEvSG_.numbered_sgpr, 0
	.set _ZN7rocprim17ROCPRIM_400000_NS6detail17trampoline_kernelINS0_14default_configENS1_35radix_sort_onesweep_config_selectorIaNS0_10empty_typeEEEZZNS1_29radix_sort_onesweep_iterationIS3_Lb1EPKaPaPS5_SB_mNS0_19identity_decomposerENS1_16block_id_wrapperIjLb0EEEEE10hipError_tT1_PNSt15iterator_traitsISG_E10value_typeET2_T3_PNSH_ISM_E10value_typeET4_T5_PSR_SS_PNS1_23onesweep_lookback_stateEbbT6_jjT7_P12ihipStream_tbENKUlT_T0_SG_SL_E_clIS9_SA_SB_SB_EEDaSZ_S10_SG_SL_EUlSZ_E_NS1_11comp_targetILNS1_3genE3ELNS1_11target_archE908ELNS1_3gpuE7ELNS1_3repE0EEENS1_47radix_sort_onesweep_sort_config_static_selectorELNS0_4arch9wavefront6targetE0EEEvSG_.num_named_barrier, 0
	.set _ZN7rocprim17ROCPRIM_400000_NS6detail17trampoline_kernelINS0_14default_configENS1_35radix_sort_onesweep_config_selectorIaNS0_10empty_typeEEEZZNS1_29radix_sort_onesweep_iterationIS3_Lb1EPKaPaPS5_SB_mNS0_19identity_decomposerENS1_16block_id_wrapperIjLb0EEEEE10hipError_tT1_PNSt15iterator_traitsISG_E10value_typeET2_T3_PNSH_ISM_E10value_typeET4_T5_PSR_SS_PNS1_23onesweep_lookback_stateEbbT6_jjT7_P12ihipStream_tbENKUlT_T0_SG_SL_E_clIS9_SA_SB_SB_EEDaSZ_S10_SG_SL_EUlSZ_E_NS1_11comp_targetILNS1_3genE3ELNS1_11target_archE908ELNS1_3gpuE7ELNS1_3repE0EEENS1_47radix_sort_onesweep_sort_config_static_selectorELNS0_4arch9wavefront6targetE0EEEvSG_.private_seg_size, 0
	.set _ZN7rocprim17ROCPRIM_400000_NS6detail17trampoline_kernelINS0_14default_configENS1_35radix_sort_onesweep_config_selectorIaNS0_10empty_typeEEEZZNS1_29radix_sort_onesweep_iterationIS3_Lb1EPKaPaPS5_SB_mNS0_19identity_decomposerENS1_16block_id_wrapperIjLb0EEEEE10hipError_tT1_PNSt15iterator_traitsISG_E10value_typeET2_T3_PNSH_ISM_E10value_typeET4_T5_PSR_SS_PNS1_23onesweep_lookback_stateEbbT6_jjT7_P12ihipStream_tbENKUlT_T0_SG_SL_E_clIS9_SA_SB_SB_EEDaSZ_S10_SG_SL_EUlSZ_E_NS1_11comp_targetILNS1_3genE3ELNS1_11target_archE908ELNS1_3gpuE7ELNS1_3repE0EEENS1_47radix_sort_onesweep_sort_config_static_selectorELNS0_4arch9wavefront6targetE0EEEvSG_.uses_vcc, 0
	.set _ZN7rocprim17ROCPRIM_400000_NS6detail17trampoline_kernelINS0_14default_configENS1_35radix_sort_onesweep_config_selectorIaNS0_10empty_typeEEEZZNS1_29radix_sort_onesweep_iterationIS3_Lb1EPKaPaPS5_SB_mNS0_19identity_decomposerENS1_16block_id_wrapperIjLb0EEEEE10hipError_tT1_PNSt15iterator_traitsISG_E10value_typeET2_T3_PNSH_ISM_E10value_typeET4_T5_PSR_SS_PNS1_23onesweep_lookback_stateEbbT6_jjT7_P12ihipStream_tbENKUlT_T0_SG_SL_E_clIS9_SA_SB_SB_EEDaSZ_S10_SG_SL_EUlSZ_E_NS1_11comp_targetILNS1_3genE3ELNS1_11target_archE908ELNS1_3gpuE7ELNS1_3repE0EEENS1_47radix_sort_onesweep_sort_config_static_selectorELNS0_4arch9wavefront6targetE0EEEvSG_.uses_flat_scratch, 0
	.set _ZN7rocprim17ROCPRIM_400000_NS6detail17trampoline_kernelINS0_14default_configENS1_35radix_sort_onesweep_config_selectorIaNS0_10empty_typeEEEZZNS1_29radix_sort_onesweep_iterationIS3_Lb1EPKaPaPS5_SB_mNS0_19identity_decomposerENS1_16block_id_wrapperIjLb0EEEEE10hipError_tT1_PNSt15iterator_traitsISG_E10value_typeET2_T3_PNSH_ISM_E10value_typeET4_T5_PSR_SS_PNS1_23onesweep_lookback_stateEbbT6_jjT7_P12ihipStream_tbENKUlT_T0_SG_SL_E_clIS9_SA_SB_SB_EEDaSZ_S10_SG_SL_EUlSZ_E_NS1_11comp_targetILNS1_3genE3ELNS1_11target_archE908ELNS1_3gpuE7ELNS1_3repE0EEENS1_47radix_sort_onesweep_sort_config_static_selectorELNS0_4arch9wavefront6targetE0EEEvSG_.has_dyn_sized_stack, 0
	.set _ZN7rocprim17ROCPRIM_400000_NS6detail17trampoline_kernelINS0_14default_configENS1_35radix_sort_onesweep_config_selectorIaNS0_10empty_typeEEEZZNS1_29radix_sort_onesweep_iterationIS3_Lb1EPKaPaPS5_SB_mNS0_19identity_decomposerENS1_16block_id_wrapperIjLb0EEEEE10hipError_tT1_PNSt15iterator_traitsISG_E10value_typeET2_T3_PNSH_ISM_E10value_typeET4_T5_PSR_SS_PNS1_23onesweep_lookback_stateEbbT6_jjT7_P12ihipStream_tbENKUlT_T0_SG_SL_E_clIS9_SA_SB_SB_EEDaSZ_S10_SG_SL_EUlSZ_E_NS1_11comp_targetILNS1_3genE3ELNS1_11target_archE908ELNS1_3gpuE7ELNS1_3repE0EEENS1_47radix_sort_onesweep_sort_config_static_selectorELNS0_4arch9wavefront6targetE0EEEvSG_.has_recursion, 0
	.set _ZN7rocprim17ROCPRIM_400000_NS6detail17trampoline_kernelINS0_14default_configENS1_35radix_sort_onesweep_config_selectorIaNS0_10empty_typeEEEZZNS1_29radix_sort_onesweep_iterationIS3_Lb1EPKaPaPS5_SB_mNS0_19identity_decomposerENS1_16block_id_wrapperIjLb0EEEEE10hipError_tT1_PNSt15iterator_traitsISG_E10value_typeET2_T3_PNSH_ISM_E10value_typeET4_T5_PSR_SS_PNS1_23onesweep_lookback_stateEbbT6_jjT7_P12ihipStream_tbENKUlT_T0_SG_SL_E_clIS9_SA_SB_SB_EEDaSZ_S10_SG_SL_EUlSZ_E_NS1_11comp_targetILNS1_3genE3ELNS1_11target_archE908ELNS1_3gpuE7ELNS1_3repE0EEENS1_47radix_sort_onesweep_sort_config_static_selectorELNS0_4arch9wavefront6targetE0EEEvSG_.has_indirect_call, 0
	.section	.AMDGPU.csdata,"",@progbits
; Kernel info:
; codeLenInByte = 0
; TotalNumSgprs: 0
; NumVgprs: 0
; ScratchSize: 0
; MemoryBound: 0
; FloatMode: 240
; IeeeMode: 1
; LDSByteSize: 0 bytes/workgroup (compile time only)
; SGPRBlocks: 0
; VGPRBlocks: 0
; NumSGPRsForWavesPerEU: 1
; NumVGPRsForWavesPerEU: 1
; NamedBarCnt: 0
; Occupancy: 16
; WaveLimiterHint : 0
; COMPUTE_PGM_RSRC2:SCRATCH_EN: 0
; COMPUTE_PGM_RSRC2:USER_SGPR: 2
; COMPUTE_PGM_RSRC2:TRAP_HANDLER: 0
; COMPUTE_PGM_RSRC2:TGID_X_EN: 1
; COMPUTE_PGM_RSRC2:TGID_Y_EN: 0
; COMPUTE_PGM_RSRC2:TGID_Z_EN: 0
; COMPUTE_PGM_RSRC2:TIDIG_COMP_CNT: 0
	.section	.text._ZN7rocprim17ROCPRIM_400000_NS6detail17trampoline_kernelINS0_14default_configENS1_35radix_sort_onesweep_config_selectorIaNS0_10empty_typeEEEZZNS1_29radix_sort_onesweep_iterationIS3_Lb1EPKaPaPS5_SB_mNS0_19identity_decomposerENS1_16block_id_wrapperIjLb0EEEEE10hipError_tT1_PNSt15iterator_traitsISG_E10value_typeET2_T3_PNSH_ISM_E10value_typeET4_T5_PSR_SS_PNS1_23onesweep_lookback_stateEbbT6_jjT7_P12ihipStream_tbENKUlT_T0_SG_SL_E_clIS9_SA_SB_SB_EEDaSZ_S10_SG_SL_EUlSZ_E_NS1_11comp_targetILNS1_3genE10ELNS1_11target_archE1201ELNS1_3gpuE5ELNS1_3repE0EEENS1_47radix_sort_onesweep_sort_config_static_selectorELNS0_4arch9wavefront6targetE0EEEvSG_,"axG",@progbits,_ZN7rocprim17ROCPRIM_400000_NS6detail17trampoline_kernelINS0_14default_configENS1_35radix_sort_onesweep_config_selectorIaNS0_10empty_typeEEEZZNS1_29radix_sort_onesweep_iterationIS3_Lb1EPKaPaPS5_SB_mNS0_19identity_decomposerENS1_16block_id_wrapperIjLb0EEEEE10hipError_tT1_PNSt15iterator_traitsISG_E10value_typeET2_T3_PNSH_ISM_E10value_typeET4_T5_PSR_SS_PNS1_23onesweep_lookback_stateEbbT6_jjT7_P12ihipStream_tbENKUlT_T0_SG_SL_E_clIS9_SA_SB_SB_EEDaSZ_S10_SG_SL_EUlSZ_E_NS1_11comp_targetILNS1_3genE10ELNS1_11target_archE1201ELNS1_3gpuE5ELNS1_3repE0EEENS1_47radix_sort_onesweep_sort_config_static_selectorELNS0_4arch9wavefront6targetE0EEEvSG_,comdat
	.protected	_ZN7rocprim17ROCPRIM_400000_NS6detail17trampoline_kernelINS0_14default_configENS1_35radix_sort_onesweep_config_selectorIaNS0_10empty_typeEEEZZNS1_29radix_sort_onesweep_iterationIS3_Lb1EPKaPaPS5_SB_mNS0_19identity_decomposerENS1_16block_id_wrapperIjLb0EEEEE10hipError_tT1_PNSt15iterator_traitsISG_E10value_typeET2_T3_PNSH_ISM_E10value_typeET4_T5_PSR_SS_PNS1_23onesweep_lookback_stateEbbT6_jjT7_P12ihipStream_tbENKUlT_T0_SG_SL_E_clIS9_SA_SB_SB_EEDaSZ_S10_SG_SL_EUlSZ_E_NS1_11comp_targetILNS1_3genE10ELNS1_11target_archE1201ELNS1_3gpuE5ELNS1_3repE0EEENS1_47radix_sort_onesweep_sort_config_static_selectorELNS0_4arch9wavefront6targetE0EEEvSG_ ; -- Begin function _ZN7rocprim17ROCPRIM_400000_NS6detail17trampoline_kernelINS0_14default_configENS1_35radix_sort_onesweep_config_selectorIaNS0_10empty_typeEEEZZNS1_29radix_sort_onesweep_iterationIS3_Lb1EPKaPaPS5_SB_mNS0_19identity_decomposerENS1_16block_id_wrapperIjLb0EEEEE10hipError_tT1_PNSt15iterator_traitsISG_E10value_typeET2_T3_PNSH_ISM_E10value_typeET4_T5_PSR_SS_PNS1_23onesweep_lookback_stateEbbT6_jjT7_P12ihipStream_tbENKUlT_T0_SG_SL_E_clIS9_SA_SB_SB_EEDaSZ_S10_SG_SL_EUlSZ_E_NS1_11comp_targetILNS1_3genE10ELNS1_11target_archE1201ELNS1_3gpuE5ELNS1_3repE0EEENS1_47radix_sort_onesweep_sort_config_static_selectorELNS0_4arch9wavefront6targetE0EEEvSG_
	.globl	_ZN7rocprim17ROCPRIM_400000_NS6detail17trampoline_kernelINS0_14default_configENS1_35radix_sort_onesweep_config_selectorIaNS0_10empty_typeEEEZZNS1_29radix_sort_onesweep_iterationIS3_Lb1EPKaPaPS5_SB_mNS0_19identity_decomposerENS1_16block_id_wrapperIjLb0EEEEE10hipError_tT1_PNSt15iterator_traitsISG_E10value_typeET2_T3_PNSH_ISM_E10value_typeET4_T5_PSR_SS_PNS1_23onesweep_lookback_stateEbbT6_jjT7_P12ihipStream_tbENKUlT_T0_SG_SL_E_clIS9_SA_SB_SB_EEDaSZ_S10_SG_SL_EUlSZ_E_NS1_11comp_targetILNS1_3genE10ELNS1_11target_archE1201ELNS1_3gpuE5ELNS1_3repE0EEENS1_47radix_sort_onesweep_sort_config_static_selectorELNS0_4arch9wavefront6targetE0EEEvSG_
	.p2align	8
	.type	_ZN7rocprim17ROCPRIM_400000_NS6detail17trampoline_kernelINS0_14default_configENS1_35radix_sort_onesweep_config_selectorIaNS0_10empty_typeEEEZZNS1_29radix_sort_onesweep_iterationIS3_Lb1EPKaPaPS5_SB_mNS0_19identity_decomposerENS1_16block_id_wrapperIjLb0EEEEE10hipError_tT1_PNSt15iterator_traitsISG_E10value_typeET2_T3_PNSH_ISM_E10value_typeET4_T5_PSR_SS_PNS1_23onesweep_lookback_stateEbbT6_jjT7_P12ihipStream_tbENKUlT_T0_SG_SL_E_clIS9_SA_SB_SB_EEDaSZ_S10_SG_SL_EUlSZ_E_NS1_11comp_targetILNS1_3genE10ELNS1_11target_archE1201ELNS1_3gpuE5ELNS1_3repE0EEENS1_47radix_sort_onesweep_sort_config_static_selectorELNS0_4arch9wavefront6targetE0EEEvSG_,@function
_ZN7rocprim17ROCPRIM_400000_NS6detail17trampoline_kernelINS0_14default_configENS1_35radix_sort_onesweep_config_selectorIaNS0_10empty_typeEEEZZNS1_29radix_sort_onesweep_iterationIS3_Lb1EPKaPaPS5_SB_mNS0_19identity_decomposerENS1_16block_id_wrapperIjLb0EEEEE10hipError_tT1_PNSt15iterator_traitsISG_E10value_typeET2_T3_PNSH_ISM_E10value_typeET4_T5_PSR_SS_PNS1_23onesweep_lookback_stateEbbT6_jjT7_P12ihipStream_tbENKUlT_T0_SG_SL_E_clIS9_SA_SB_SB_EEDaSZ_S10_SG_SL_EUlSZ_E_NS1_11comp_targetILNS1_3genE10ELNS1_11target_archE1201ELNS1_3gpuE5ELNS1_3repE0EEENS1_47radix_sort_onesweep_sort_config_static_selectorELNS0_4arch9wavefront6targetE0EEEvSG_: ; @_ZN7rocprim17ROCPRIM_400000_NS6detail17trampoline_kernelINS0_14default_configENS1_35radix_sort_onesweep_config_selectorIaNS0_10empty_typeEEEZZNS1_29radix_sort_onesweep_iterationIS3_Lb1EPKaPaPS5_SB_mNS0_19identity_decomposerENS1_16block_id_wrapperIjLb0EEEEE10hipError_tT1_PNSt15iterator_traitsISG_E10value_typeET2_T3_PNSH_ISM_E10value_typeET4_T5_PSR_SS_PNS1_23onesweep_lookback_stateEbbT6_jjT7_P12ihipStream_tbENKUlT_T0_SG_SL_E_clIS9_SA_SB_SB_EEDaSZ_S10_SG_SL_EUlSZ_E_NS1_11comp_targetILNS1_3genE10ELNS1_11target_archE1201ELNS1_3gpuE5ELNS1_3repE0EEENS1_47radix_sort_onesweep_sort_config_static_selectorELNS0_4arch9wavefront6targetE0EEEvSG_
; %bb.0:
	.section	.rodata,"a",@progbits
	.p2align	6, 0x0
	.amdhsa_kernel _ZN7rocprim17ROCPRIM_400000_NS6detail17trampoline_kernelINS0_14default_configENS1_35radix_sort_onesweep_config_selectorIaNS0_10empty_typeEEEZZNS1_29radix_sort_onesweep_iterationIS3_Lb1EPKaPaPS5_SB_mNS0_19identity_decomposerENS1_16block_id_wrapperIjLb0EEEEE10hipError_tT1_PNSt15iterator_traitsISG_E10value_typeET2_T3_PNSH_ISM_E10value_typeET4_T5_PSR_SS_PNS1_23onesweep_lookback_stateEbbT6_jjT7_P12ihipStream_tbENKUlT_T0_SG_SL_E_clIS9_SA_SB_SB_EEDaSZ_S10_SG_SL_EUlSZ_E_NS1_11comp_targetILNS1_3genE10ELNS1_11target_archE1201ELNS1_3gpuE5ELNS1_3repE0EEENS1_47radix_sort_onesweep_sort_config_static_selectorELNS0_4arch9wavefront6targetE0EEEvSG_
		.amdhsa_group_segment_fixed_size 0
		.amdhsa_private_segment_fixed_size 0
		.amdhsa_kernarg_size 88
		.amdhsa_user_sgpr_count 2
		.amdhsa_user_sgpr_dispatch_ptr 0
		.amdhsa_user_sgpr_queue_ptr 0
		.amdhsa_user_sgpr_kernarg_segment_ptr 1
		.amdhsa_user_sgpr_dispatch_id 0
		.amdhsa_user_sgpr_kernarg_preload_length 0
		.amdhsa_user_sgpr_kernarg_preload_offset 0
		.amdhsa_user_sgpr_private_segment_size 0
		.amdhsa_wavefront_size32 1
		.amdhsa_uses_dynamic_stack 0
		.amdhsa_enable_private_segment 0
		.amdhsa_system_sgpr_workgroup_id_x 1
		.amdhsa_system_sgpr_workgroup_id_y 0
		.amdhsa_system_sgpr_workgroup_id_z 0
		.amdhsa_system_sgpr_workgroup_info 0
		.amdhsa_system_vgpr_workitem_id 0
		.amdhsa_next_free_vgpr 1
		.amdhsa_next_free_sgpr 1
		.amdhsa_named_barrier_count 0
		.amdhsa_reserve_vcc 0
		.amdhsa_float_round_mode_32 0
		.amdhsa_float_round_mode_16_64 0
		.amdhsa_float_denorm_mode_32 3
		.amdhsa_float_denorm_mode_16_64 3
		.amdhsa_fp16_overflow 0
		.amdhsa_memory_ordered 1
		.amdhsa_forward_progress 1
		.amdhsa_inst_pref_size 0
		.amdhsa_round_robin_scheduling 0
		.amdhsa_exception_fp_ieee_invalid_op 0
		.amdhsa_exception_fp_denorm_src 0
		.amdhsa_exception_fp_ieee_div_zero 0
		.amdhsa_exception_fp_ieee_overflow 0
		.amdhsa_exception_fp_ieee_underflow 0
		.amdhsa_exception_fp_ieee_inexact 0
		.amdhsa_exception_int_div_zero 0
	.end_amdhsa_kernel
	.section	.text._ZN7rocprim17ROCPRIM_400000_NS6detail17trampoline_kernelINS0_14default_configENS1_35radix_sort_onesweep_config_selectorIaNS0_10empty_typeEEEZZNS1_29radix_sort_onesweep_iterationIS3_Lb1EPKaPaPS5_SB_mNS0_19identity_decomposerENS1_16block_id_wrapperIjLb0EEEEE10hipError_tT1_PNSt15iterator_traitsISG_E10value_typeET2_T3_PNSH_ISM_E10value_typeET4_T5_PSR_SS_PNS1_23onesweep_lookback_stateEbbT6_jjT7_P12ihipStream_tbENKUlT_T0_SG_SL_E_clIS9_SA_SB_SB_EEDaSZ_S10_SG_SL_EUlSZ_E_NS1_11comp_targetILNS1_3genE10ELNS1_11target_archE1201ELNS1_3gpuE5ELNS1_3repE0EEENS1_47radix_sort_onesweep_sort_config_static_selectorELNS0_4arch9wavefront6targetE0EEEvSG_,"axG",@progbits,_ZN7rocprim17ROCPRIM_400000_NS6detail17trampoline_kernelINS0_14default_configENS1_35radix_sort_onesweep_config_selectorIaNS0_10empty_typeEEEZZNS1_29radix_sort_onesweep_iterationIS3_Lb1EPKaPaPS5_SB_mNS0_19identity_decomposerENS1_16block_id_wrapperIjLb0EEEEE10hipError_tT1_PNSt15iterator_traitsISG_E10value_typeET2_T3_PNSH_ISM_E10value_typeET4_T5_PSR_SS_PNS1_23onesweep_lookback_stateEbbT6_jjT7_P12ihipStream_tbENKUlT_T0_SG_SL_E_clIS9_SA_SB_SB_EEDaSZ_S10_SG_SL_EUlSZ_E_NS1_11comp_targetILNS1_3genE10ELNS1_11target_archE1201ELNS1_3gpuE5ELNS1_3repE0EEENS1_47radix_sort_onesweep_sort_config_static_selectorELNS0_4arch9wavefront6targetE0EEEvSG_,comdat
.Lfunc_end379:
	.size	_ZN7rocprim17ROCPRIM_400000_NS6detail17trampoline_kernelINS0_14default_configENS1_35radix_sort_onesweep_config_selectorIaNS0_10empty_typeEEEZZNS1_29radix_sort_onesweep_iterationIS3_Lb1EPKaPaPS5_SB_mNS0_19identity_decomposerENS1_16block_id_wrapperIjLb0EEEEE10hipError_tT1_PNSt15iterator_traitsISG_E10value_typeET2_T3_PNSH_ISM_E10value_typeET4_T5_PSR_SS_PNS1_23onesweep_lookback_stateEbbT6_jjT7_P12ihipStream_tbENKUlT_T0_SG_SL_E_clIS9_SA_SB_SB_EEDaSZ_S10_SG_SL_EUlSZ_E_NS1_11comp_targetILNS1_3genE10ELNS1_11target_archE1201ELNS1_3gpuE5ELNS1_3repE0EEENS1_47radix_sort_onesweep_sort_config_static_selectorELNS0_4arch9wavefront6targetE0EEEvSG_, .Lfunc_end379-_ZN7rocprim17ROCPRIM_400000_NS6detail17trampoline_kernelINS0_14default_configENS1_35radix_sort_onesweep_config_selectorIaNS0_10empty_typeEEEZZNS1_29radix_sort_onesweep_iterationIS3_Lb1EPKaPaPS5_SB_mNS0_19identity_decomposerENS1_16block_id_wrapperIjLb0EEEEE10hipError_tT1_PNSt15iterator_traitsISG_E10value_typeET2_T3_PNSH_ISM_E10value_typeET4_T5_PSR_SS_PNS1_23onesweep_lookback_stateEbbT6_jjT7_P12ihipStream_tbENKUlT_T0_SG_SL_E_clIS9_SA_SB_SB_EEDaSZ_S10_SG_SL_EUlSZ_E_NS1_11comp_targetILNS1_3genE10ELNS1_11target_archE1201ELNS1_3gpuE5ELNS1_3repE0EEENS1_47radix_sort_onesweep_sort_config_static_selectorELNS0_4arch9wavefront6targetE0EEEvSG_
                                        ; -- End function
	.set _ZN7rocprim17ROCPRIM_400000_NS6detail17trampoline_kernelINS0_14default_configENS1_35radix_sort_onesweep_config_selectorIaNS0_10empty_typeEEEZZNS1_29radix_sort_onesweep_iterationIS3_Lb1EPKaPaPS5_SB_mNS0_19identity_decomposerENS1_16block_id_wrapperIjLb0EEEEE10hipError_tT1_PNSt15iterator_traitsISG_E10value_typeET2_T3_PNSH_ISM_E10value_typeET4_T5_PSR_SS_PNS1_23onesweep_lookback_stateEbbT6_jjT7_P12ihipStream_tbENKUlT_T0_SG_SL_E_clIS9_SA_SB_SB_EEDaSZ_S10_SG_SL_EUlSZ_E_NS1_11comp_targetILNS1_3genE10ELNS1_11target_archE1201ELNS1_3gpuE5ELNS1_3repE0EEENS1_47radix_sort_onesweep_sort_config_static_selectorELNS0_4arch9wavefront6targetE0EEEvSG_.num_vgpr, 0
	.set _ZN7rocprim17ROCPRIM_400000_NS6detail17trampoline_kernelINS0_14default_configENS1_35radix_sort_onesweep_config_selectorIaNS0_10empty_typeEEEZZNS1_29radix_sort_onesweep_iterationIS3_Lb1EPKaPaPS5_SB_mNS0_19identity_decomposerENS1_16block_id_wrapperIjLb0EEEEE10hipError_tT1_PNSt15iterator_traitsISG_E10value_typeET2_T3_PNSH_ISM_E10value_typeET4_T5_PSR_SS_PNS1_23onesweep_lookback_stateEbbT6_jjT7_P12ihipStream_tbENKUlT_T0_SG_SL_E_clIS9_SA_SB_SB_EEDaSZ_S10_SG_SL_EUlSZ_E_NS1_11comp_targetILNS1_3genE10ELNS1_11target_archE1201ELNS1_3gpuE5ELNS1_3repE0EEENS1_47radix_sort_onesweep_sort_config_static_selectorELNS0_4arch9wavefront6targetE0EEEvSG_.num_agpr, 0
	.set _ZN7rocprim17ROCPRIM_400000_NS6detail17trampoline_kernelINS0_14default_configENS1_35radix_sort_onesweep_config_selectorIaNS0_10empty_typeEEEZZNS1_29radix_sort_onesweep_iterationIS3_Lb1EPKaPaPS5_SB_mNS0_19identity_decomposerENS1_16block_id_wrapperIjLb0EEEEE10hipError_tT1_PNSt15iterator_traitsISG_E10value_typeET2_T3_PNSH_ISM_E10value_typeET4_T5_PSR_SS_PNS1_23onesweep_lookback_stateEbbT6_jjT7_P12ihipStream_tbENKUlT_T0_SG_SL_E_clIS9_SA_SB_SB_EEDaSZ_S10_SG_SL_EUlSZ_E_NS1_11comp_targetILNS1_3genE10ELNS1_11target_archE1201ELNS1_3gpuE5ELNS1_3repE0EEENS1_47radix_sort_onesweep_sort_config_static_selectorELNS0_4arch9wavefront6targetE0EEEvSG_.numbered_sgpr, 0
	.set _ZN7rocprim17ROCPRIM_400000_NS6detail17trampoline_kernelINS0_14default_configENS1_35radix_sort_onesweep_config_selectorIaNS0_10empty_typeEEEZZNS1_29radix_sort_onesweep_iterationIS3_Lb1EPKaPaPS5_SB_mNS0_19identity_decomposerENS1_16block_id_wrapperIjLb0EEEEE10hipError_tT1_PNSt15iterator_traitsISG_E10value_typeET2_T3_PNSH_ISM_E10value_typeET4_T5_PSR_SS_PNS1_23onesweep_lookback_stateEbbT6_jjT7_P12ihipStream_tbENKUlT_T0_SG_SL_E_clIS9_SA_SB_SB_EEDaSZ_S10_SG_SL_EUlSZ_E_NS1_11comp_targetILNS1_3genE10ELNS1_11target_archE1201ELNS1_3gpuE5ELNS1_3repE0EEENS1_47radix_sort_onesweep_sort_config_static_selectorELNS0_4arch9wavefront6targetE0EEEvSG_.num_named_barrier, 0
	.set _ZN7rocprim17ROCPRIM_400000_NS6detail17trampoline_kernelINS0_14default_configENS1_35radix_sort_onesweep_config_selectorIaNS0_10empty_typeEEEZZNS1_29radix_sort_onesweep_iterationIS3_Lb1EPKaPaPS5_SB_mNS0_19identity_decomposerENS1_16block_id_wrapperIjLb0EEEEE10hipError_tT1_PNSt15iterator_traitsISG_E10value_typeET2_T3_PNSH_ISM_E10value_typeET4_T5_PSR_SS_PNS1_23onesweep_lookback_stateEbbT6_jjT7_P12ihipStream_tbENKUlT_T0_SG_SL_E_clIS9_SA_SB_SB_EEDaSZ_S10_SG_SL_EUlSZ_E_NS1_11comp_targetILNS1_3genE10ELNS1_11target_archE1201ELNS1_3gpuE5ELNS1_3repE0EEENS1_47radix_sort_onesweep_sort_config_static_selectorELNS0_4arch9wavefront6targetE0EEEvSG_.private_seg_size, 0
	.set _ZN7rocprim17ROCPRIM_400000_NS6detail17trampoline_kernelINS0_14default_configENS1_35radix_sort_onesweep_config_selectorIaNS0_10empty_typeEEEZZNS1_29radix_sort_onesweep_iterationIS3_Lb1EPKaPaPS5_SB_mNS0_19identity_decomposerENS1_16block_id_wrapperIjLb0EEEEE10hipError_tT1_PNSt15iterator_traitsISG_E10value_typeET2_T3_PNSH_ISM_E10value_typeET4_T5_PSR_SS_PNS1_23onesweep_lookback_stateEbbT6_jjT7_P12ihipStream_tbENKUlT_T0_SG_SL_E_clIS9_SA_SB_SB_EEDaSZ_S10_SG_SL_EUlSZ_E_NS1_11comp_targetILNS1_3genE10ELNS1_11target_archE1201ELNS1_3gpuE5ELNS1_3repE0EEENS1_47radix_sort_onesweep_sort_config_static_selectorELNS0_4arch9wavefront6targetE0EEEvSG_.uses_vcc, 0
	.set _ZN7rocprim17ROCPRIM_400000_NS6detail17trampoline_kernelINS0_14default_configENS1_35radix_sort_onesweep_config_selectorIaNS0_10empty_typeEEEZZNS1_29radix_sort_onesweep_iterationIS3_Lb1EPKaPaPS5_SB_mNS0_19identity_decomposerENS1_16block_id_wrapperIjLb0EEEEE10hipError_tT1_PNSt15iterator_traitsISG_E10value_typeET2_T3_PNSH_ISM_E10value_typeET4_T5_PSR_SS_PNS1_23onesweep_lookback_stateEbbT6_jjT7_P12ihipStream_tbENKUlT_T0_SG_SL_E_clIS9_SA_SB_SB_EEDaSZ_S10_SG_SL_EUlSZ_E_NS1_11comp_targetILNS1_3genE10ELNS1_11target_archE1201ELNS1_3gpuE5ELNS1_3repE0EEENS1_47radix_sort_onesweep_sort_config_static_selectorELNS0_4arch9wavefront6targetE0EEEvSG_.uses_flat_scratch, 0
	.set _ZN7rocprim17ROCPRIM_400000_NS6detail17trampoline_kernelINS0_14default_configENS1_35radix_sort_onesweep_config_selectorIaNS0_10empty_typeEEEZZNS1_29radix_sort_onesweep_iterationIS3_Lb1EPKaPaPS5_SB_mNS0_19identity_decomposerENS1_16block_id_wrapperIjLb0EEEEE10hipError_tT1_PNSt15iterator_traitsISG_E10value_typeET2_T3_PNSH_ISM_E10value_typeET4_T5_PSR_SS_PNS1_23onesweep_lookback_stateEbbT6_jjT7_P12ihipStream_tbENKUlT_T0_SG_SL_E_clIS9_SA_SB_SB_EEDaSZ_S10_SG_SL_EUlSZ_E_NS1_11comp_targetILNS1_3genE10ELNS1_11target_archE1201ELNS1_3gpuE5ELNS1_3repE0EEENS1_47radix_sort_onesweep_sort_config_static_selectorELNS0_4arch9wavefront6targetE0EEEvSG_.has_dyn_sized_stack, 0
	.set _ZN7rocprim17ROCPRIM_400000_NS6detail17trampoline_kernelINS0_14default_configENS1_35radix_sort_onesweep_config_selectorIaNS0_10empty_typeEEEZZNS1_29radix_sort_onesweep_iterationIS3_Lb1EPKaPaPS5_SB_mNS0_19identity_decomposerENS1_16block_id_wrapperIjLb0EEEEE10hipError_tT1_PNSt15iterator_traitsISG_E10value_typeET2_T3_PNSH_ISM_E10value_typeET4_T5_PSR_SS_PNS1_23onesweep_lookback_stateEbbT6_jjT7_P12ihipStream_tbENKUlT_T0_SG_SL_E_clIS9_SA_SB_SB_EEDaSZ_S10_SG_SL_EUlSZ_E_NS1_11comp_targetILNS1_3genE10ELNS1_11target_archE1201ELNS1_3gpuE5ELNS1_3repE0EEENS1_47radix_sort_onesweep_sort_config_static_selectorELNS0_4arch9wavefront6targetE0EEEvSG_.has_recursion, 0
	.set _ZN7rocprim17ROCPRIM_400000_NS6detail17trampoline_kernelINS0_14default_configENS1_35radix_sort_onesweep_config_selectorIaNS0_10empty_typeEEEZZNS1_29radix_sort_onesweep_iterationIS3_Lb1EPKaPaPS5_SB_mNS0_19identity_decomposerENS1_16block_id_wrapperIjLb0EEEEE10hipError_tT1_PNSt15iterator_traitsISG_E10value_typeET2_T3_PNSH_ISM_E10value_typeET4_T5_PSR_SS_PNS1_23onesweep_lookback_stateEbbT6_jjT7_P12ihipStream_tbENKUlT_T0_SG_SL_E_clIS9_SA_SB_SB_EEDaSZ_S10_SG_SL_EUlSZ_E_NS1_11comp_targetILNS1_3genE10ELNS1_11target_archE1201ELNS1_3gpuE5ELNS1_3repE0EEENS1_47radix_sort_onesweep_sort_config_static_selectorELNS0_4arch9wavefront6targetE0EEEvSG_.has_indirect_call, 0
	.section	.AMDGPU.csdata,"",@progbits
; Kernel info:
; codeLenInByte = 0
; TotalNumSgprs: 0
; NumVgprs: 0
; ScratchSize: 0
; MemoryBound: 0
; FloatMode: 240
; IeeeMode: 1
; LDSByteSize: 0 bytes/workgroup (compile time only)
; SGPRBlocks: 0
; VGPRBlocks: 0
; NumSGPRsForWavesPerEU: 1
; NumVGPRsForWavesPerEU: 1
; NamedBarCnt: 0
; Occupancy: 16
; WaveLimiterHint : 0
; COMPUTE_PGM_RSRC2:SCRATCH_EN: 0
; COMPUTE_PGM_RSRC2:USER_SGPR: 2
; COMPUTE_PGM_RSRC2:TRAP_HANDLER: 0
; COMPUTE_PGM_RSRC2:TGID_X_EN: 1
; COMPUTE_PGM_RSRC2:TGID_Y_EN: 0
; COMPUTE_PGM_RSRC2:TGID_Z_EN: 0
; COMPUTE_PGM_RSRC2:TIDIG_COMP_CNT: 0
	.section	.text._ZN7rocprim17ROCPRIM_400000_NS6detail17trampoline_kernelINS0_14default_configENS1_35radix_sort_onesweep_config_selectorIaNS0_10empty_typeEEEZZNS1_29radix_sort_onesweep_iterationIS3_Lb1EPKaPaPS5_SB_mNS0_19identity_decomposerENS1_16block_id_wrapperIjLb0EEEEE10hipError_tT1_PNSt15iterator_traitsISG_E10value_typeET2_T3_PNSH_ISM_E10value_typeET4_T5_PSR_SS_PNS1_23onesweep_lookback_stateEbbT6_jjT7_P12ihipStream_tbENKUlT_T0_SG_SL_E_clIS9_SA_SB_SB_EEDaSZ_S10_SG_SL_EUlSZ_E_NS1_11comp_targetILNS1_3genE9ELNS1_11target_archE1100ELNS1_3gpuE3ELNS1_3repE0EEENS1_47radix_sort_onesweep_sort_config_static_selectorELNS0_4arch9wavefront6targetE0EEEvSG_,"axG",@progbits,_ZN7rocprim17ROCPRIM_400000_NS6detail17trampoline_kernelINS0_14default_configENS1_35radix_sort_onesweep_config_selectorIaNS0_10empty_typeEEEZZNS1_29radix_sort_onesweep_iterationIS3_Lb1EPKaPaPS5_SB_mNS0_19identity_decomposerENS1_16block_id_wrapperIjLb0EEEEE10hipError_tT1_PNSt15iterator_traitsISG_E10value_typeET2_T3_PNSH_ISM_E10value_typeET4_T5_PSR_SS_PNS1_23onesweep_lookback_stateEbbT6_jjT7_P12ihipStream_tbENKUlT_T0_SG_SL_E_clIS9_SA_SB_SB_EEDaSZ_S10_SG_SL_EUlSZ_E_NS1_11comp_targetILNS1_3genE9ELNS1_11target_archE1100ELNS1_3gpuE3ELNS1_3repE0EEENS1_47radix_sort_onesweep_sort_config_static_selectorELNS0_4arch9wavefront6targetE0EEEvSG_,comdat
	.protected	_ZN7rocprim17ROCPRIM_400000_NS6detail17trampoline_kernelINS0_14default_configENS1_35radix_sort_onesweep_config_selectorIaNS0_10empty_typeEEEZZNS1_29radix_sort_onesweep_iterationIS3_Lb1EPKaPaPS5_SB_mNS0_19identity_decomposerENS1_16block_id_wrapperIjLb0EEEEE10hipError_tT1_PNSt15iterator_traitsISG_E10value_typeET2_T3_PNSH_ISM_E10value_typeET4_T5_PSR_SS_PNS1_23onesweep_lookback_stateEbbT6_jjT7_P12ihipStream_tbENKUlT_T0_SG_SL_E_clIS9_SA_SB_SB_EEDaSZ_S10_SG_SL_EUlSZ_E_NS1_11comp_targetILNS1_3genE9ELNS1_11target_archE1100ELNS1_3gpuE3ELNS1_3repE0EEENS1_47radix_sort_onesweep_sort_config_static_selectorELNS0_4arch9wavefront6targetE0EEEvSG_ ; -- Begin function _ZN7rocprim17ROCPRIM_400000_NS6detail17trampoline_kernelINS0_14default_configENS1_35radix_sort_onesweep_config_selectorIaNS0_10empty_typeEEEZZNS1_29radix_sort_onesweep_iterationIS3_Lb1EPKaPaPS5_SB_mNS0_19identity_decomposerENS1_16block_id_wrapperIjLb0EEEEE10hipError_tT1_PNSt15iterator_traitsISG_E10value_typeET2_T3_PNSH_ISM_E10value_typeET4_T5_PSR_SS_PNS1_23onesweep_lookback_stateEbbT6_jjT7_P12ihipStream_tbENKUlT_T0_SG_SL_E_clIS9_SA_SB_SB_EEDaSZ_S10_SG_SL_EUlSZ_E_NS1_11comp_targetILNS1_3genE9ELNS1_11target_archE1100ELNS1_3gpuE3ELNS1_3repE0EEENS1_47radix_sort_onesweep_sort_config_static_selectorELNS0_4arch9wavefront6targetE0EEEvSG_
	.globl	_ZN7rocprim17ROCPRIM_400000_NS6detail17trampoline_kernelINS0_14default_configENS1_35radix_sort_onesweep_config_selectorIaNS0_10empty_typeEEEZZNS1_29radix_sort_onesweep_iterationIS3_Lb1EPKaPaPS5_SB_mNS0_19identity_decomposerENS1_16block_id_wrapperIjLb0EEEEE10hipError_tT1_PNSt15iterator_traitsISG_E10value_typeET2_T3_PNSH_ISM_E10value_typeET4_T5_PSR_SS_PNS1_23onesweep_lookback_stateEbbT6_jjT7_P12ihipStream_tbENKUlT_T0_SG_SL_E_clIS9_SA_SB_SB_EEDaSZ_S10_SG_SL_EUlSZ_E_NS1_11comp_targetILNS1_3genE9ELNS1_11target_archE1100ELNS1_3gpuE3ELNS1_3repE0EEENS1_47radix_sort_onesweep_sort_config_static_selectorELNS0_4arch9wavefront6targetE0EEEvSG_
	.p2align	8
	.type	_ZN7rocprim17ROCPRIM_400000_NS6detail17trampoline_kernelINS0_14default_configENS1_35radix_sort_onesweep_config_selectorIaNS0_10empty_typeEEEZZNS1_29radix_sort_onesweep_iterationIS3_Lb1EPKaPaPS5_SB_mNS0_19identity_decomposerENS1_16block_id_wrapperIjLb0EEEEE10hipError_tT1_PNSt15iterator_traitsISG_E10value_typeET2_T3_PNSH_ISM_E10value_typeET4_T5_PSR_SS_PNS1_23onesweep_lookback_stateEbbT6_jjT7_P12ihipStream_tbENKUlT_T0_SG_SL_E_clIS9_SA_SB_SB_EEDaSZ_S10_SG_SL_EUlSZ_E_NS1_11comp_targetILNS1_3genE9ELNS1_11target_archE1100ELNS1_3gpuE3ELNS1_3repE0EEENS1_47radix_sort_onesweep_sort_config_static_selectorELNS0_4arch9wavefront6targetE0EEEvSG_,@function
_ZN7rocprim17ROCPRIM_400000_NS6detail17trampoline_kernelINS0_14default_configENS1_35radix_sort_onesweep_config_selectorIaNS0_10empty_typeEEEZZNS1_29radix_sort_onesweep_iterationIS3_Lb1EPKaPaPS5_SB_mNS0_19identity_decomposerENS1_16block_id_wrapperIjLb0EEEEE10hipError_tT1_PNSt15iterator_traitsISG_E10value_typeET2_T3_PNSH_ISM_E10value_typeET4_T5_PSR_SS_PNS1_23onesweep_lookback_stateEbbT6_jjT7_P12ihipStream_tbENKUlT_T0_SG_SL_E_clIS9_SA_SB_SB_EEDaSZ_S10_SG_SL_EUlSZ_E_NS1_11comp_targetILNS1_3genE9ELNS1_11target_archE1100ELNS1_3gpuE3ELNS1_3repE0EEENS1_47radix_sort_onesweep_sort_config_static_selectorELNS0_4arch9wavefront6targetE0EEEvSG_: ; @_ZN7rocprim17ROCPRIM_400000_NS6detail17trampoline_kernelINS0_14default_configENS1_35radix_sort_onesweep_config_selectorIaNS0_10empty_typeEEEZZNS1_29radix_sort_onesweep_iterationIS3_Lb1EPKaPaPS5_SB_mNS0_19identity_decomposerENS1_16block_id_wrapperIjLb0EEEEE10hipError_tT1_PNSt15iterator_traitsISG_E10value_typeET2_T3_PNSH_ISM_E10value_typeET4_T5_PSR_SS_PNS1_23onesweep_lookback_stateEbbT6_jjT7_P12ihipStream_tbENKUlT_T0_SG_SL_E_clIS9_SA_SB_SB_EEDaSZ_S10_SG_SL_EUlSZ_E_NS1_11comp_targetILNS1_3genE9ELNS1_11target_archE1100ELNS1_3gpuE3ELNS1_3repE0EEENS1_47radix_sort_onesweep_sort_config_static_selectorELNS0_4arch9wavefront6targetE0EEEvSG_
; %bb.0:
	.section	.rodata,"a",@progbits
	.p2align	6, 0x0
	.amdhsa_kernel _ZN7rocprim17ROCPRIM_400000_NS6detail17trampoline_kernelINS0_14default_configENS1_35radix_sort_onesweep_config_selectorIaNS0_10empty_typeEEEZZNS1_29radix_sort_onesweep_iterationIS3_Lb1EPKaPaPS5_SB_mNS0_19identity_decomposerENS1_16block_id_wrapperIjLb0EEEEE10hipError_tT1_PNSt15iterator_traitsISG_E10value_typeET2_T3_PNSH_ISM_E10value_typeET4_T5_PSR_SS_PNS1_23onesweep_lookback_stateEbbT6_jjT7_P12ihipStream_tbENKUlT_T0_SG_SL_E_clIS9_SA_SB_SB_EEDaSZ_S10_SG_SL_EUlSZ_E_NS1_11comp_targetILNS1_3genE9ELNS1_11target_archE1100ELNS1_3gpuE3ELNS1_3repE0EEENS1_47radix_sort_onesweep_sort_config_static_selectorELNS0_4arch9wavefront6targetE0EEEvSG_
		.amdhsa_group_segment_fixed_size 0
		.amdhsa_private_segment_fixed_size 0
		.amdhsa_kernarg_size 88
		.amdhsa_user_sgpr_count 2
		.amdhsa_user_sgpr_dispatch_ptr 0
		.amdhsa_user_sgpr_queue_ptr 0
		.amdhsa_user_sgpr_kernarg_segment_ptr 1
		.amdhsa_user_sgpr_dispatch_id 0
		.amdhsa_user_sgpr_kernarg_preload_length 0
		.amdhsa_user_sgpr_kernarg_preload_offset 0
		.amdhsa_user_sgpr_private_segment_size 0
		.amdhsa_wavefront_size32 1
		.amdhsa_uses_dynamic_stack 0
		.amdhsa_enable_private_segment 0
		.amdhsa_system_sgpr_workgroup_id_x 1
		.amdhsa_system_sgpr_workgroup_id_y 0
		.amdhsa_system_sgpr_workgroup_id_z 0
		.amdhsa_system_sgpr_workgroup_info 0
		.amdhsa_system_vgpr_workitem_id 0
		.amdhsa_next_free_vgpr 1
		.amdhsa_next_free_sgpr 1
		.amdhsa_named_barrier_count 0
		.amdhsa_reserve_vcc 0
		.amdhsa_float_round_mode_32 0
		.amdhsa_float_round_mode_16_64 0
		.amdhsa_float_denorm_mode_32 3
		.amdhsa_float_denorm_mode_16_64 3
		.amdhsa_fp16_overflow 0
		.amdhsa_memory_ordered 1
		.amdhsa_forward_progress 1
		.amdhsa_inst_pref_size 0
		.amdhsa_round_robin_scheduling 0
		.amdhsa_exception_fp_ieee_invalid_op 0
		.amdhsa_exception_fp_denorm_src 0
		.amdhsa_exception_fp_ieee_div_zero 0
		.amdhsa_exception_fp_ieee_overflow 0
		.amdhsa_exception_fp_ieee_underflow 0
		.amdhsa_exception_fp_ieee_inexact 0
		.amdhsa_exception_int_div_zero 0
	.end_amdhsa_kernel
	.section	.text._ZN7rocprim17ROCPRIM_400000_NS6detail17trampoline_kernelINS0_14default_configENS1_35radix_sort_onesweep_config_selectorIaNS0_10empty_typeEEEZZNS1_29radix_sort_onesweep_iterationIS3_Lb1EPKaPaPS5_SB_mNS0_19identity_decomposerENS1_16block_id_wrapperIjLb0EEEEE10hipError_tT1_PNSt15iterator_traitsISG_E10value_typeET2_T3_PNSH_ISM_E10value_typeET4_T5_PSR_SS_PNS1_23onesweep_lookback_stateEbbT6_jjT7_P12ihipStream_tbENKUlT_T0_SG_SL_E_clIS9_SA_SB_SB_EEDaSZ_S10_SG_SL_EUlSZ_E_NS1_11comp_targetILNS1_3genE9ELNS1_11target_archE1100ELNS1_3gpuE3ELNS1_3repE0EEENS1_47radix_sort_onesweep_sort_config_static_selectorELNS0_4arch9wavefront6targetE0EEEvSG_,"axG",@progbits,_ZN7rocprim17ROCPRIM_400000_NS6detail17trampoline_kernelINS0_14default_configENS1_35radix_sort_onesweep_config_selectorIaNS0_10empty_typeEEEZZNS1_29radix_sort_onesweep_iterationIS3_Lb1EPKaPaPS5_SB_mNS0_19identity_decomposerENS1_16block_id_wrapperIjLb0EEEEE10hipError_tT1_PNSt15iterator_traitsISG_E10value_typeET2_T3_PNSH_ISM_E10value_typeET4_T5_PSR_SS_PNS1_23onesweep_lookback_stateEbbT6_jjT7_P12ihipStream_tbENKUlT_T0_SG_SL_E_clIS9_SA_SB_SB_EEDaSZ_S10_SG_SL_EUlSZ_E_NS1_11comp_targetILNS1_3genE9ELNS1_11target_archE1100ELNS1_3gpuE3ELNS1_3repE0EEENS1_47radix_sort_onesweep_sort_config_static_selectorELNS0_4arch9wavefront6targetE0EEEvSG_,comdat
.Lfunc_end380:
	.size	_ZN7rocprim17ROCPRIM_400000_NS6detail17trampoline_kernelINS0_14default_configENS1_35radix_sort_onesweep_config_selectorIaNS0_10empty_typeEEEZZNS1_29radix_sort_onesweep_iterationIS3_Lb1EPKaPaPS5_SB_mNS0_19identity_decomposerENS1_16block_id_wrapperIjLb0EEEEE10hipError_tT1_PNSt15iterator_traitsISG_E10value_typeET2_T3_PNSH_ISM_E10value_typeET4_T5_PSR_SS_PNS1_23onesweep_lookback_stateEbbT6_jjT7_P12ihipStream_tbENKUlT_T0_SG_SL_E_clIS9_SA_SB_SB_EEDaSZ_S10_SG_SL_EUlSZ_E_NS1_11comp_targetILNS1_3genE9ELNS1_11target_archE1100ELNS1_3gpuE3ELNS1_3repE0EEENS1_47radix_sort_onesweep_sort_config_static_selectorELNS0_4arch9wavefront6targetE0EEEvSG_, .Lfunc_end380-_ZN7rocprim17ROCPRIM_400000_NS6detail17trampoline_kernelINS0_14default_configENS1_35radix_sort_onesweep_config_selectorIaNS0_10empty_typeEEEZZNS1_29radix_sort_onesweep_iterationIS3_Lb1EPKaPaPS5_SB_mNS0_19identity_decomposerENS1_16block_id_wrapperIjLb0EEEEE10hipError_tT1_PNSt15iterator_traitsISG_E10value_typeET2_T3_PNSH_ISM_E10value_typeET4_T5_PSR_SS_PNS1_23onesweep_lookback_stateEbbT6_jjT7_P12ihipStream_tbENKUlT_T0_SG_SL_E_clIS9_SA_SB_SB_EEDaSZ_S10_SG_SL_EUlSZ_E_NS1_11comp_targetILNS1_3genE9ELNS1_11target_archE1100ELNS1_3gpuE3ELNS1_3repE0EEENS1_47radix_sort_onesweep_sort_config_static_selectorELNS0_4arch9wavefront6targetE0EEEvSG_
                                        ; -- End function
	.set _ZN7rocprim17ROCPRIM_400000_NS6detail17trampoline_kernelINS0_14default_configENS1_35radix_sort_onesweep_config_selectorIaNS0_10empty_typeEEEZZNS1_29radix_sort_onesweep_iterationIS3_Lb1EPKaPaPS5_SB_mNS0_19identity_decomposerENS1_16block_id_wrapperIjLb0EEEEE10hipError_tT1_PNSt15iterator_traitsISG_E10value_typeET2_T3_PNSH_ISM_E10value_typeET4_T5_PSR_SS_PNS1_23onesweep_lookback_stateEbbT6_jjT7_P12ihipStream_tbENKUlT_T0_SG_SL_E_clIS9_SA_SB_SB_EEDaSZ_S10_SG_SL_EUlSZ_E_NS1_11comp_targetILNS1_3genE9ELNS1_11target_archE1100ELNS1_3gpuE3ELNS1_3repE0EEENS1_47radix_sort_onesweep_sort_config_static_selectorELNS0_4arch9wavefront6targetE0EEEvSG_.num_vgpr, 0
	.set _ZN7rocprim17ROCPRIM_400000_NS6detail17trampoline_kernelINS0_14default_configENS1_35radix_sort_onesweep_config_selectorIaNS0_10empty_typeEEEZZNS1_29radix_sort_onesweep_iterationIS3_Lb1EPKaPaPS5_SB_mNS0_19identity_decomposerENS1_16block_id_wrapperIjLb0EEEEE10hipError_tT1_PNSt15iterator_traitsISG_E10value_typeET2_T3_PNSH_ISM_E10value_typeET4_T5_PSR_SS_PNS1_23onesweep_lookback_stateEbbT6_jjT7_P12ihipStream_tbENKUlT_T0_SG_SL_E_clIS9_SA_SB_SB_EEDaSZ_S10_SG_SL_EUlSZ_E_NS1_11comp_targetILNS1_3genE9ELNS1_11target_archE1100ELNS1_3gpuE3ELNS1_3repE0EEENS1_47radix_sort_onesweep_sort_config_static_selectorELNS0_4arch9wavefront6targetE0EEEvSG_.num_agpr, 0
	.set _ZN7rocprim17ROCPRIM_400000_NS6detail17trampoline_kernelINS0_14default_configENS1_35radix_sort_onesweep_config_selectorIaNS0_10empty_typeEEEZZNS1_29radix_sort_onesweep_iterationIS3_Lb1EPKaPaPS5_SB_mNS0_19identity_decomposerENS1_16block_id_wrapperIjLb0EEEEE10hipError_tT1_PNSt15iterator_traitsISG_E10value_typeET2_T3_PNSH_ISM_E10value_typeET4_T5_PSR_SS_PNS1_23onesweep_lookback_stateEbbT6_jjT7_P12ihipStream_tbENKUlT_T0_SG_SL_E_clIS9_SA_SB_SB_EEDaSZ_S10_SG_SL_EUlSZ_E_NS1_11comp_targetILNS1_3genE9ELNS1_11target_archE1100ELNS1_3gpuE3ELNS1_3repE0EEENS1_47radix_sort_onesweep_sort_config_static_selectorELNS0_4arch9wavefront6targetE0EEEvSG_.numbered_sgpr, 0
	.set _ZN7rocprim17ROCPRIM_400000_NS6detail17trampoline_kernelINS0_14default_configENS1_35radix_sort_onesweep_config_selectorIaNS0_10empty_typeEEEZZNS1_29radix_sort_onesweep_iterationIS3_Lb1EPKaPaPS5_SB_mNS0_19identity_decomposerENS1_16block_id_wrapperIjLb0EEEEE10hipError_tT1_PNSt15iterator_traitsISG_E10value_typeET2_T3_PNSH_ISM_E10value_typeET4_T5_PSR_SS_PNS1_23onesweep_lookback_stateEbbT6_jjT7_P12ihipStream_tbENKUlT_T0_SG_SL_E_clIS9_SA_SB_SB_EEDaSZ_S10_SG_SL_EUlSZ_E_NS1_11comp_targetILNS1_3genE9ELNS1_11target_archE1100ELNS1_3gpuE3ELNS1_3repE0EEENS1_47radix_sort_onesweep_sort_config_static_selectorELNS0_4arch9wavefront6targetE0EEEvSG_.num_named_barrier, 0
	.set _ZN7rocprim17ROCPRIM_400000_NS6detail17trampoline_kernelINS0_14default_configENS1_35radix_sort_onesweep_config_selectorIaNS0_10empty_typeEEEZZNS1_29radix_sort_onesweep_iterationIS3_Lb1EPKaPaPS5_SB_mNS0_19identity_decomposerENS1_16block_id_wrapperIjLb0EEEEE10hipError_tT1_PNSt15iterator_traitsISG_E10value_typeET2_T3_PNSH_ISM_E10value_typeET4_T5_PSR_SS_PNS1_23onesweep_lookback_stateEbbT6_jjT7_P12ihipStream_tbENKUlT_T0_SG_SL_E_clIS9_SA_SB_SB_EEDaSZ_S10_SG_SL_EUlSZ_E_NS1_11comp_targetILNS1_3genE9ELNS1_11target_archE1100ELNS1_3gpuE3ELNS1_3repE0EEENS1_47radix_sort_onesweep_sort_config_static_selectorELNS0_4arch9wavefront6targetE0EEEvSG_.private_seg_size, 0
	.set _ZN7rocprim17ROCPRIM_400000_NS6detail17trampoline_kernelINS0_14default_configENS1_35radix_sort_onesweep_config_selectorIaNS0_10empty_typeEEEZZNS1_29radix_sort_onesweep_iterationIS3_Lb1EPKaPaPS5_SB_mNS0_19identity_decomposerENS1_16block_id_wrapperIjLb0EEEEE10hipError_tT1_PNSt15iterator_traitsISG_E10value_typeET2_T3_PNSH_ISM_E10value_typeET4_T5_PSR_SS_PNS1_23onesweep_lookback_stateEbbT6_jjT7_P12ihipStream_tbENKUlT_T0_SG_SL_E_clIS9_SA_SB_SB_EEDaSZ_S10_SG_SL_EUlSZ_E_NS1_11comp_targetILNS1_3genE9ELNS1_11target_archE1100ELNS1_3gpuE3ELNS1_3repE0EEENS1_47radix_sort_onesweep_sort_config_static_selectorELNS0_4arch9wavefront6targetE0EEEvSG_.uses_vcc, 0
	.set _ZN7rocprim17ROCPRIM_400000_NS6detail17trampoline_kernelINS0_14default_configENS1_35radix_sort_onesweep_config_selectorIaNS0_10empty_typeEEEZZNS1_29radix_sort_onesweep_iterationIS3_Lb1EPKaPaPS5_SB_mNS0_19identity_decomposerENS1_16block_id_wrapperIjLb0EEEEE10hipError_tT1_PNSt15iterator_traitsISG_E10value_typeET2_T3_PNSH_ISM_E10value_typeET4_T5_PSR_SS_PNS1_23onesweep_lookback_stateEbbT6_jjT7_P12ihipStream_tbENKUlT_T0_SG_SL_E_clIS9_SA_SB_SB_EEDaSZ_S10_SG_SL_EUlSZ_E_NS1_11comp_targetILNS1_3genE9ELNS1_11target_archE1100ELNS1_3gpuE3ELNS1_3repE0EEENS1_47radix_sort_onesweep_sort_config_static_selectorELNS0_4arch9wavefront6targetE0EEEvSG_.uses_flat_scratch, 0
	.set _ZN7rocprim17ROCPRIM_400000_NS6detail17trampoline_kernelINS0_14default_configENS1_35radix_sort_onesweep_config_selectorIaNS0_10empty_typeEEEZZNS1_29radix_sort_onesweep_iterationIS3_Lb1EPKaPaPS5_SB_mNS0_19identity_decomposerENS1_16block_id_wrapperIjLb0EEEEE10hipError_tT1_PNSt15iterator_traitsISG_E10value_typeET2_T3_PNSH_ISM_E10value_typeET4_T5_PSR_SS_PNS1_23onesweep_lookback_stateEbbT6_jjT7_P12ihipStream_tbENKUlT_T0_SG_SL_E_clIS9_SA_SB_SB_EEDaSZ_S10_SG_SL_EUlSZ_E_NS1_11comp_targetILNS1_3genE9ELNS1_11target_archE1100ELNS1_3gpuE3ELNS1_3repE0EEENS1_47radix_sort_onesweep_sort_config_static_selectorELNS0_4arch9wavefront6targetE0EEEvSG_.has_dyn_sized_stack, 0
	.set _ZN7rocprim17ROCPRIM_400000_NS6detail17trampoline_kernelINS0_14default_configENS1_35radix_sort_onesweep_config_selectorIaNS0_10empty_typeEEEZZNS1_29radix_sort_onesweep_iterationIS3_Lb1EPKaPaPS5_SB_mNS0_19identity_decomposerENS1_16block_id_wrapperIjLb0EEEEE10hipError_tT1_PNSt15iterator_traitsISG_E10value_typeET2_T3_PNSH_ISM_E10value_typeET4_T5_PSR_SS_PNS1_23onesweep_lookback_stateEbbT6_jjT7_P12ihipStream_tbENKUlT_T0_SG_SL_E_clIS9_SA_SB_SB_EEDaSZ_S10_SG_SL_EUlSZ_E_NS1_11comp_targetILNS1_3genE9ELNS1_11target_archE1100ELNS1_3gpuE3ELNS1_3repE0EEENS1_47radix_sort_onesweep_sort_config_static_selectorELNS0_4arch9wavefront6targetE0EEEvSG_.has_recursion, 0
	.set _ZN7rocprim17ROCPRIM_400000_NS6detail17trampoline_kernelINS0_14default_configENS1_35radix_sort_onesweep_config_selectorIaNS0_10empty_typeEEEZZNS1_29radix_sort_onesweep_iterationIS3_Lb1EPKaPaPS5_SB_mNS0_19identity_decomposerENS1_16block_id_wrapperIjLb0EEEEE10hipError_tT1_PNSt15iterator_traitsISG_E10value_typeET2_T3_PNSH_ISM_E10value_typeET4_T5_PSR_SS_PNS1_23onesweep_lookback_stateEbbT6_jjT7_P12ihipStream_tbENKUlT_T0_SG_SL_E_clIS9_SA_SB_SB_EEDaSZ_S10_SG_SL_EUlSZ_E_NS1_11comp_targetILNS1_3genE9ELNS1_11target_archE1100ELNS1_3gpuE3ELNS1_3repE0EEENS1_47radix_sort_onesweep_sort_config_static_selectorELNS0_4arch9wavefront6targetE0EEEvSG_.has_indirect_call, 0
	.section	.AMDGPU.csdata,"",@progbits
; Kernel info:
; codeLenInByte = 0
; TotalNumSgprs: 0
; NumVgprs: 0
; ScratchSize: 0
; MemoryBound: 0
; FloatMode: 240
; IeeeMode: 1
; LDSByteSize: 0 bytes/workgroup (compile time only)
; SGPRBlocks: 0
; VGPRBlocks: 0
; NumSGPRsForWavesPerEU: 1
; NumVGPRsForWavesPerEU: 1
; NamedBarCnt: 0
; Occupancy: 16
; WaveLimiterHint : 0
; COMPUTE_PGM_RSRC2:SCRATCH_EN: 0
; COMPUTE_PGM_RSRC2:USER_SGPR: 2
; COMPUTE_PGM_RSRC2:TRAP_HANDLER: 0
; COMPUTE_PGM_RSRC2:TGID_X_EN: 1
; COMPUTE_PGM_RSRC2:TGID_Y_EN: 0
; COMPUTE_PGM_RSRC2:TGID_Z_EN: 0
; COMPUTE_PGM_RSRC2:TIDIG_COMP_CNT: 0
	.section	.text._ZN7rocprim17ROCPRIM_400000_NS6detail17trampoline_kernelINS0_14default_configENS1_35radix_sort_onesweep_config_selectorIaNS0_10empty_typeEEEZZNS1_29radix_sort_onesweep_iterationIS3_Lb1EPKaPaPS5_SB_mNS0_19identity_decomposerENS1_16block_id_wrapperIjLb0EEEEE10hipError_tT1_PNSt15iterator_traitsISG_E10value_typeET2_T3_PNSH_ISM_E10value_typeET4_T5_PSR_SS_PNS1_23onesweep_lookback_stateEbbT6_jjT7_P12ihipStream_tbENKUlT_T0_SG_SL_E_clIS9_SA_SB_SB_EEDaSZ_S10_SG_SL_EUlSZ_E_NS1_11comp_targetILNS1_3genE8ELNS1_11target_archE1030ELNS1_3gpuE2ELNS1_3repE0EEENS1_47radix_sort_onesweep_sort_config_static_selectorELNS0_4arch9wavefront6targetE0EEEvSG_,"axG",@progbits,_ZN7rocprim17ROCPRIM_400000_NS6detail17trampoline_kernelINS0_14default_configENS1_35radix_sort_onesweep_config_selectorIaNS0_10empty_typeEEEZZNS1_29radix_sort_onesweep_iterationIS3_Lb1EPKaPaPS5_SB_mNS0_19identity_decomposerENS1_16block_id_wrapperIjLb0EEEEE10hipError_tT1_PNSt15iterator_traitsISG_E10value_typeET2_T3_PNSH_ISM_E10value_typeET4_T5_PSR_SS_PNS1_23onesweep_lookback_stateEbbT6_jjT7_P12ihipStream_tbENKUlT_T0_SG_SL_E_clIS9_SA_SB_SB_EEDaSZ_S10_SG_SL_EUlSZ_E_NS1_11comp_targetILNS1_3genE8ELNS1_11target_archE1030ELNS1_3gpuE2ELNS1_3repE0EEENS1_47radix_sort_onesweep_sort_config_static_selectorELNS0_4arch9wavefront6targetE0EEEvSG_,comdat
	.protected	_ZN7rocprim17ROCPRIM_400000_NS6detail17trampoline_kernelINS0_14default_configENS1_35radix_sort_onesweep_config_selectorIaNS0_10empty_typeEEEZZNS1_29radix_sort_onesweep_iterationIS3_Lb1EPKaPaPS5_SB_mNS0_19identity_decomposerENS1_16block_id_wrapperIjLb0EEEEE10hipError_tT1_PNSt15iterator_traitsISG_E10value_typeET2_T3_PNSH_ISM_E10value_typeET4_T5_PSR_SS_PNS1_23onesweep_lookback_stateEbbT6_jjT7_P12ihipStream_tbENKUlT_T0_SG_SL_E_clIS9_SA_SB_SB_EEDaSZ_S10_SG_SL_EUlSZ_E_NS1_11comp_targetILNS1_3genE8ELNS1_11target_archE1030ELNS1_3gpuE2ELNS1_3repE0EEENS1_47radix_sort_onesweep_sort_config_static_selectorELNS0_4arch9wavefront6targetE0EEEvSG_ ; -- Begin function _ZN7rocprim17ROCPRIM_400000_NS6detail17trampoline_kernelINS0_14default_configENS1_35radix_sort_onesweep_config_selectorIaNS0_10empty_typeEEEZZNS1_29radix_sort_onesweep_iterationIS3_Lb1EPKaPaPS5_SB_mNS0_19identity_decomposerENS1_16block_id_wrapperIjLb0EEEEE10hipError_tT1_PNSt15iterator_traitsISG_E10value_typeET2_T3_PNSH_ISM_E10value_typeET4_T5_PSR_SS_PNS1_23onesweep_lookback_stateEbbT6_jjT7_P12ihipStream_tbENKUlT_T0_SG_SL_E_clIS9_SA_SB_SB_EEDaSZ_S10_SG_SL_EUlSZ_E_NS1_11comp_targetILNS1_3genE8ELNS1_11target_archE1030ELNS1_3gpuE2ELNS1_3repE0EEENS1_47radix_sort_onesweep_sort_config_static_selectorELNS0_4arch9wavefront6targetE0EEEvSG_
	.globl	_ZN7rocprim17ROCPRIM_400000_NS6detail17trampoline_kernelINS0_14default_configENS1_35radix_sort_onesweep_config_selectorIaNS0_10empty_typeEEEZZNS1_29radix_sort_onesweep_iterationIS3_Lb1EPKaPaPS5_SB_mNS0_19identity_decomposerENS1_16block_id_wrapperIjLb0EEEEE10hipError_tT1_PNSt15iterator_traitsISG_E10value_typeET2_T3_PNSH_ISM_E10value_typeET4_T5_PSR_SS_PNS1_23onesweep_lookback_stateEbbT6_jjT7_P12ihipStream_tbENKUlT_T0_SG_SL_E_clIS9_SA_SB_SB_EEDaSZ_S10_SG_SL_EUlSZ_E_NS1_11comp_targetILNS1_3genE8ELNS1_11target_archE1030ELNS1_3gpuE2ELNS1_3repE0EEENS1_47radix_sort_onesweep_sort_config_static_selectorELNS0_4arch9wavefront6targetE0EEEvSG_
	.p2align	8
	.type	_ZN7rocprim17ROCPRIM_400000_NS6detail17trampoline_kernelINS0_14default_configENS1_35radix_sort_onesweep_config_selectorIaNS0_10empty_typeEEEZZNS1_29radix_sort_onesweep_iterationIS3_Lb1EPKaPaPS5_SB_mNS0_19identity_decomposerENS1_16block_id_wrapperIjLb0EEEEE10hipError_tT1_PNSt15iterator_traitsISG_E10value_typeET2_T3_PNSH_ISM_E10value_typeET4_T5_PSR_SS_PNS1_23onesweep_lookback_stateEbbT6_jjT7_P12ihipStream_tbENKUlT_T0_SG_SL_E_clIS9_SA_SB_SB_EEDaSZ_S10_SG_SL_EUlSZ_E_NS1_11comp_targetILNS1_3genE8ELNS1_11target_archE1030ELNS1_3gpuE2ELNS1_3repE0EEENS1_47radix_sort_onesweep_sort_config_static_selectorELNS0_4arch9wavefront6targetE0EEEvSG_,@function
_ZN7rocprim17ROCPRIM_400000_NS6detail17trampoline_kernelINS0_14default_configENS1_35radix_sort_onesweep_config_selectorIaNS0_10empty_typeEEEZZNS1_29radix_sort_onesweep_iterationIS3_Lb1EPKaPaPS5_SB_mNS0_19identity_decomposerENS1_16block_id_wrapperIjLb0EEEEE10hipError_tT1_PNSt15iterator_traitsISG_E10value_typeET2_T3_PNSH_ISM_E10value_typeET4_T5_PSR_SS_PNS1_23onesweep_lookback_stateEbbT6_jjT7_P12ihipStream_tbENKUlT_T0_SG_SL_E_clIS9_SA_SB_SB_EEDaSZ_S10_SG_SL_EUlSZ_E_NS1_11comp_targetILNS1_3genE8ELNS1_11target_archE1030ELNS1_3gpuE2ELNS1_3repE0EEENS1_47radix_sort_onesweep_sort_config_static_selectorELNS0_4arch9wavefront6targetE0EEEvSG_: ; @_ZN7rocprim17ROCPRIM_400000_NS6detail17trampoline_kernelINS0_14default_configENS1_35radix_sort_onesweep_config_selectorIaNS0_10empty_typeEEEZZNS1_29radix_sort_onesweep_iterationIS3_Lb1EPKaPaPS5_SB_mNS0_19identity_decomposerENS1_16block_id_wrapperIjLb0EEEEE10hipError_tT1_PNSt15iterator_traitsISG_E10value_typeET2_T3_PNSH_ISM_E10value_typeET4_T5_PSR_SS_PNS1_23onesweep_lookback_stateEbbT6_jjT7_P12ihipStream_tbENKUlT_T0_SG_SL_E_clIS9_SA_SB_SB_EEDaSZ_S10_SG_SL_EUlSZ_E_NS1_11comp_targetILNS1_3genE8ELNS1_11target_archE1030ELNS1_3gpuE2ELNS1_3repE0EEENS1_47radix_sort_onesweep_sort_config_static_selectorELNS0_4arch9wavefront6targetE0EEEvSG_
; %bb.0:
	.section	.rodata,"a",@progbits
	.p2align	6, 0x0
	.amdhsa_kernel _ZN7rocprim17ROCPRIM_400000_NS6detail17trampoline_kernelINS0_14default_configENS1_35radix_sort_onesweep_config_selectorIaNS0_10empty_typeEEEZZNS1_29radix_sort_onesweep_iterationIS3_Lb1EPKaPaPS5_SB_mNS0_19identity_decomposerENS1_16block_id_wrapperIjLb0EEEEE10hipError_tT1_PNSt15iterator_traitsISG_E10value_typeET2_T3_PNSH_ISM_E10value_typeET4_T5_PSR_SS_PNS1_23onesweep_lookback_stateEbbT6_jjT7_P12ihipStream_tbENKUlT_T0_SG_SL_E_clIS9_SA_SB_SB_EEDaSZ_S10_SG_SL_EUlSZ_E_NS1_11comp_targetILNS1_3genE8ELNS1_11target_archE1030ELNS1_3gpuE2ELNS1_3repE0EEENS1_47radix_sort_onesweep_sort_config_static_selectorELNS0_4arch9wavefront6targetE0EEEvSG_
		.amdhsa_group_segment_fixed_size 0
		.amdhsa_private_segment_fixed_size 0
		.amdhsa_kernarg_size 88
		.amdhsa_user_sgpr_count 2
		.amdhsa_user_sgpr_dispatch_ptr 0
		.amdhsa_user_sgpr_queue_ptr 0
		.amdhsa_user_sgpr_kernarg_segment_ptr 1
		.amdhsa_user_sgpr_dispatch_id 0
		.amdhsa_user_sgpr_kernarg_preload_length 0
		.amdhsa_user_sgpr_kernarg_preload_offset 0
		.amdhsa_user_sgpr_private_segment_size 0
		.amdhsa_wavefront_size32 1
		.amdhsa_uses_dynamic_stack 0
		.amdhsa_enable_private_segment 0
		.amdhsa_system_sgpr_workgroup_id_x 1
		.amdhsa_system_sgpr_workgroup_id_y 0
		.amdhsa_system_sgpr_workgroup_id_z 0
		.amdhsa_system_sgpr_workgroup_info 0
		.amdhsa_system_vgpr_workitem_id 0
		.amdhsa_next_free_vgpr 1
		.amdhsa_next_free_sgpr 1
		.amdhsa_named_barrier_count 0
		.amdhsa_reserve_vcc 0
		.amdhsa_float_round_mode_32 0
		.amdhsa_float_round_mode_16_64 0
		.amdhsa_float_denorm_mode_32 3
		.amdhsa_float_denorm_mode_16_64 3
		.amdhsa_fp16_overflow 0
		.amdhsa_memory_ordered 1
		.amdhsa_forward_progress 1
		.amdhsa_inst_pref_size 0
		.amdhsa_round_robin_scheduling 0
		.amdhsa_exception_fp_ieee_invalid_op 0
		.amdhsa_exception_fp_denorm_src 0
		.amdhsa_exception_fp_ieee_div_zero 0
		.amdhsa_exception_fp_ieee_overflow 0
		.amdhsa_exception_fp_ieee_underflow 0
		.amdhsa_exception_fp_ieee_inexact 0
		.amdhsa_exception_int_div_zero 0
	.end_amdhsa_kernel
	.section	.text._ZN7rocprim17ROCPRIM_400000_NS6detail17trampoline_kernelINS0_14default_configENS1_35radix_sort_onesweep_config_selectorIaNS0_10empty_typeEEEZZNS1_29radix_sort_onesweep_iterationIS3_Lb1EPKaPaPS5_SB_mNS0_19identity_decomposerENS1_16block_id_wrapperIjLb0EEEEE10hipError_tT1_PNSt15iterator_traitsISG_E10value_typeET2_T3_PNSH_ISM_E10value_typeET4_T5_PSR_SS_PNS1_23onesweep_lookback_stateEbbT6_jjT7_P12ihipStream_tbENKUlT_T0_SG_SL_E_clIS9_SA_SB_SB_EEDaSZ_S10_SG_SL_EUlSZ_E_NS1_11comp_targetILNS1_3genE8ELNS1_11target_archE1030ELNS1_3gpuE2ELNS1_3repE0EEENS1_47radix_sort_onesweep_sort_config_static_selectorELNS0_4arch9wavefront6targetE0EEEvSG_,"axG",@progbits,_ZN7rocprim17ROCPRIM_400000_NS6detail17trampoline_kernelINS0_14default_configENS1_35radix_sort_onesweep_config_selectorIaNS0_10empty_typeEEEZZNS1_29radix_sort_onesweep_iterationIS3_Lb1EPKaPaPS5_SB_mNS0_19identity_decomposerENS1_16block_id_wrapperIjLb0EEEEE10hipError_tT1_PNSt15iterator_traitsISG_E10value_typeET2_T3_PNSH_ISM_E10value_typeET4_T5_PSR_SS_PNS1_23onesweep_lookback_stateEbbT6_jjT7_P12ihipStream_tbENKUlT_T0_SG_SL_E_clIS9_SA_SB_SB_EEDaSZ_S10_SG_SL_EUlSZ_E_NS1_11comp_targetILNS1_3genE8ELNS1_11target_archE1030ELNS1_3gpuE2ELNS1_3repE0EEENS1_47radix_sort_onesweep_sort_config_static_selectorELNS0_4arch9wavefront6targetE0EEEvSG_,comdat
.Lfunc_end381:
	.size	_ZN7rocprim17ROCPRIM_400000_NS6detail17trampoline_kernelINS0_14default_configENS1_35radix_sort_onesweep_config_selectorIaNS0_10empty_typeEEEZZNS1_29radix_sort_onesweep_iterationIS3_Lb1EPKaPaPS5_SB_mNS0_19identity_decomposerENS1_16block_id_wrapperIjLb0EEEEE10hipError_tT1_PNSt15iterator_traitsISG_E10value_typeET2_T3_PNSH_ISM_E10value_typeET4_T5_PSR_SS_PNS1_23onesweep_lookback_stateEbbT6_jjT7_P12ihipStream_tbENKUlT_T0_SG_SL_E_clIS9_SA_SB_SB_EEDaSZ_S10_SG_SL_EUlSZ_E_NS1_11comp_targetILNS1_3genE8ELNS1_11target_archE1030ELNS1_3gpuE2ELNS1_3repE0EEENS1_47radix_sort_onesweep_sort_config_static_selectorELNS0_4arch9wavefront6targetE0EEEvSG_, .Lfunc_end381-_ZN7rocprim17ROCPRIM_400000_NS6detail17trampoline_kernelINS0_14default_configENS1_35radix_sort_onesweep_config_selectorIaNS0_10empty_typeEEEZZNS1_29radix_sort_onesweep_iterationIS3_Lb1EPKaPaPS5_SB_mNS0_19identity_decomposerENS1_16block_id_wrapperIjLb0EEEEE10hipError_tT1_PNSt15iterator_traitsISG_E10value_typeET2_T3_PNSH_ISM_E10value_typeET4_T5_PSR_SS_PNS1_23onesweep_lookback_stateEbbT6_jjT7_P12ihipStream_tbENKUlT_T0_SG_SL_E_clIS9_SA_SB_SB_EEDaSZ_S10_SG_SL_EUlSZ_E_NS1_11comp_targetILNS1_3genE8ELNS1_11target_archE1030ELNS1_3gpuE2ELNS1_3repE0EEENS1_47radix_sort_onesweep_sort_config_static_selectorELNS0_4arch9wavefront6targetE0EEEvSG_
                                        ; -- End function
	.set _ZN7rocprim17ROCPRIM_400000_NS6detail17trampoline_kernelINS0_14default_configENS1_35radix_sort_onesweep_config_selectorIaNS0_10empty_typeEEEZZNS1_29radix_sort_onesweep_iterationIS3_Lb1EPKaPaPS5_SB_mNS0_19identity_decomposerENS1_16block_id_wrapperIjLb0EEEEE10hipError_tT1_PNSt15iterator_traitsISG_E10value_typeET2_T3_PNSH_ISM_E10value_typeET4_T5_PSR_SS_PNS1_23onesweep_lookback_stateEbbT6_jjT7_P12ihipStream_tbENKUlT_T0_SG_SL_E_clIS9_SA_SB_SB_EEDaSZ_S10_SG_SL_EUlSZ_E_NS1_11comp_targetILNS1_3genE8ELNS1_11target_archE1030ELNS1_3gpuE2ELNS1_3repE0EEENS1_47radix_sort_onesweep_sort_config_static_selectorELNS0_4arch9wavefront6targetE0EEEvSG_.num_vgpr, 0
	.set _ZN7rocprim17ROCPRIM_400000_NS6detail17trampoline_kernelINS0_14default_configENS1_35radix_sort_onesweep_config_selectorIaNS0_10empty_typeEEEZZNS1_29radix_sort_onesweep_iterationIS3_Lb1EPKaPaPS5_SB_mNS0_19identity_decomposerENS1_16block_id_wrapperIjLb0EEEEE10hipError_tT1_PNSt15iterator_traitsISG_E10value_typeET2_T3_PNSH_ISM_E10value_typeET4_T5_PSR_SS_PNS1_23onesweep_lookback_stateEbbT6_jjT7_P12ihipStream_tbENKUlT_T0_SG_SL_E_clIS9_SA_SB_SB_EEDaSZ_S10_SG_SL_EUlSZ_E_NS1_11comp_targetILNS1_3genE8ELNS1_11target_archE1030ELNS1_3gpuE2ELNS1_3repE0EEENS1_47radix_sort_onesweep_sort_config_static_selectorELNS0_4arch9wavefront6targetE0EEEvSG_.num_agpr, 0
	.set _ZN7rocprim17ROCPRIM_400000_NS6detail17trampoline_kernelINS0_14default_configENS1_35radix_sort_onesweep_config_selectorIaNS0_10empty_typeEEEZZNS1_29radix_sort_onesweep_iterationIS3_Lb1EPKaPaPS5_SB_mNS0_19identity_decomposerENS1_16block_id_wrapperIjLb0EEEEE10hipError_tT1_PNSt15iterator_traitsISG_E10value_typeET2_T3_PNSH_ISM_E10value_typeET4_T5_PSR_SS_PNS1_23onesweep_lookback_stateEbbT6_jjT7_P12ihipStream_tbENKUlT_T0_SG_SL_E_clIS9_SA_SB_SB_EEDaSZ_S10_SG_SL_EUlSZ_E_NS1_11comp_targetILNS1_3genE8ELNS1_11target_archE1030ELNS1_3gpuE2ELNS1_3repE0EEENS1_47radix_sort_onesweep_sort_config_static_selectorELNS0_4arch9wavefront6targetE0EEEvSG_.numbered_sgpr, 0
	.set _ZN7rocprim17ROCPRIM_400000_NS6detail17trampoline_kernelINS0_14default_configENS1_35radix_sort_onesweep_config_selectorIaNS0_10empty_typeEEEZZNS1_29radix_sort_onesweep_iterationIS3_Lb1EPKaPaPS5_SB_mNS0_19identity_decomposerENS1_16block_id_wrapperIjLb0EEEEE10hipError_tT1_PNSt15iterator_traitsISG_E10value_typeET2_T3_PNSH_ISM_E10value_typeET4_T5_PSR_SS_PNS1_23onesweep_lookback_stateEbbT6_jjT7_P12ihipStream_tbENKUlT_T0_SG_SL_E_clIS9_SA_SB_SB_EEDaSZ_S10_SG_SL_EUlSZ_E_NS1_11comp_targetILNS1_3genE8ELNS1_11target_archE1030ELNS1_3gpuE2ELNS1_3repE0EEENS1_47radix_sort_onesweep_sort_config_static_selectorELNS0_4arch9wavefront6targetE0EEEvSG_.num_named_barrier, 0
	.set _ZN7rocprim17ROCPRIM_400000_NS6detail17trampoline_kernelINS0_14default_configENS1_35radix_sort_onesweep_config_selectorIaNS0_10empty_typeEEEZZNS1_29radix_sort_onesweep_iterationIS3_Lb1EPKaPaPS5_SB_mNS0_19identity_decomposerENS1_16block_id_wrapperIjLb0EEEEE10hipError_tT1_PNSt15iterator_traitsISG_E10value_typeET2_T3_PNSH_ISM_E10value_typeET4_T5_PSR_SS_PNS1_23onesweep_lookback_stateEbbT6_jjT7_P12ihipStream_tbENKUlT_T0_SG_SL_E_clIS9_SA_SB_SB_EEDaSZ_S10_SG_SL_EUlSZ_E_NS1_11comp_targetILNS1_3genE8ELNS1_11target_archE1030ELNS1_3gpuE2ELNS1_3repE0EEENS1_47radix_sort_onesweep_sort_config_static_selectorELNS0_4arch9wavefront6targetE0EEEvSG_.private_seg_size, 0
	.set _ZN7rocprim17ROCPRIM_400000_NS6detail17trampoline_kernelINS0_14default_configENS1_35radix_sort_onesweep_config_selectorIaNS0_10empty_typeEEEZZNS1_29radix_sort_onesweep_iterationIS3_Lb1EPKaPaPS5_SB_mNS0_19identity_decomposerENS1_16block_id_wrapperIjLb0EEEEE10hipError_tT1_PNSt15iterator_traitsISG_E10value_typeET2_T3_PNSH_ISM_E10value_typeET4_T5_PSR_SS_PNS1_23onesweep_lookback_stateEbbT6_jjT7_P12ihipStream_tbENKUlT_T0_SG_SL_E_clIS9_SA_SB_SB_EEDaSZ_S10_SG_SL_EUlSZ_E_NS1_11comp_targetILNS1_3genE8ELNS1_11target_archE1030ELNS1_3gpuE2ELNS1_3repE0EEENS1_47radix_sort_onesweep_sort_config_static_selectorELNS0_4arch9wavefront6targetE0EEEvSG_.uses_vcc, 0
	.set _ZN7rocprim17ROCPRIM_400000_NS6detail17trampoline_kernelINS0_14default_configENS1_35radix_sort_onesweep_config_selectorIaNS0_10empty_typeEEEZZNS1_29radix_sort_onesweep_iterationIS3_Lb1EPKaPaPS5_SB_mNS0_19identity_decomposerENS1_16block_id_wrapperIjLb0EEEEE10hipError_tT1_PNSt15iterator_traitsISG_E10value_typeET2_T3_PNSH_ISM_E10value_typeET4_T5_PSR_SS_PNS1_23onesweep_lookback_stateEbbT6_jjT7_P12ihipStream_tbENKUlT_T0_SG_SL_E_clIS9_SA_SB_SB_EEDaSZ_S10_SG_SL_EUlSZ_E_NS1_11comp_targetILNS1_3genE8ELNS1_11target_archE1030ELNS1_3gpuE2ELNS1_3repE0EEENS1_47radix_sort_onesweep_sort_config_static_selectorELNS0_4arch9wavefront6targetE0EEEvSG_.uses_flat_scratch, 0
	.set _ZN7rocprim17ROCPRIM_400000_NS6detail17trampoline_kernelINS0_14default_configENS1_35radix_sort_onesweep_config_selectorIaNS0_10empty_typeEEEZZNS1_29radix_sort_onesweep_iterationIS3_Lb1EPKaPaPS5_SB_mNS0_19identity_decomposerENS1_16block_id_wrapperIjLb0EEEEE10hipError_tT1_PNSt15iterator_traitsISG_E10value_typeET2_T3_PNSH_ISM_E10value_typeET4_T5_PSR_SS_PNS1_23onesweep_lookback_stateEbbT6_jjT7_P12ihipStream_tbENKUlT_T0_SG_SL_E_clIS9_SA_SB_SB_EEDaSZ_S10_SG_SL_EUlSZ_E_NS1_11comp_targetILNS1_3genE8ELNS1_11target_archE1030ELNS1_3gpuE2ELNS1_3repE0EEENS1_47radix_sort_onesweep_sort_config_static_selectorELNS0_4arch9wavefront6targetE0EEEvSG_.has_dyn_sized_stack, 0
	.set _ZN7rocprim17ROCPRIM_400000_NS6detail17trampoline_kernelINS0_14default_configENS1_35radix_sort_onesweep_config_selectorIaNS0_10empty_typeEEEZZNS1_29radix_sort_onesweep_iterationIS3_Lb1EPKaPaPS5_SB_mNS0_19identity_decomposerENS1_16block_id_wrapperIjLb0EEEEE10hipError_tT1_PNSt15iterator_traitsISG_E10value_typeET2_T3_PNSH_ISM_E10value_typeET4_T5_PSR_SS_PNS1_23onesweep_lookback_stateEbbT6_jjT7_P12ihipStream_tbENKUlT_T0_SG_SL_E_clIS9_SA_SB_SB_EEDaSZ_S10_SG_SL_EUlSZ_E_NS1_11comp_targetILNS1_3genE8ELNS1_11target_archE1030ELNS1_3gpuE2ELNS1_3repE0EEENS1_47radix_sort_onesweep_sort_config_static_selectorELNS0_4arch9wavefront6targetE0EEEvSG_.has_recursion, 0
	.set _ZN7rocprim17ROCPRIM_400000_NS6detail17trampoline_kernelINS0_14default_configENS1_35radix_sort_onesweep_config_selectorIaNS0_10empty_typeEEEZZNS1_29radix_sort_onesweep_iterationIS3_Lb1EPKaPaPS5_SB_mNS0_19identity_decomposerENS1_16block_id_wrapperIjLb0EEEEE10hipError_tT1_PNSt15iterator_traitsISG_E10value_typeET2_T3_PNSH_ISM_E10value_typeET4_T5_PSR_SS_PNS1_23onesweep_lookback_stateEbbT6_jjT7_P12ihipStream_tbENKUlT_T0_SG_SL_E_clIS9_SA_SB_SB_EEDaSZ_S10_SG_SL_EUlSZ_E_NS1_11comp_targetILNS1_3genE8ELNS1_11target_archE1030ELNS1_3gpuE2ELNS1_3repE0EEENS1_47radix_sort_onesweep_sort_config_static_selectorELNS0_4arch9wavefront6targetE0EEEvSG_.has_indirect_call, 0
	.section	.AMDGPU.csdata,"",@progbits
; Kernel info:
; codeLenInByte = 0
; TotalNumSgprs: 0
; NumVgprs: 0
; ScratchSize: 0
; MemoryBound: 0
; FloatMode: 240
; IeeeMode: 1
; LDSByteSize: 0 bytes/workgroup (compile time only)
; SGPRBlocks: 0
; VGPRBlocks: 0
; NumSGPRsForWavesPerEU: 1
; NumVGPRsForWavesPerEU: 1
; NamedBarCnt: 0
; Occupancy: 16
; WaveLimiterHint : 0
; COMPUTE_PGM_RSRC2:SCRATCH_EN: 0
; COMPUTE_PGM_RSRC2:USER_SGPR: 2
; COMPUTE_PGM_RSRC2:TRAP_HANDLER: 0
; COMPUTE_PGM_RSRC2:TGID_X_EN: 1
; COMPUTE_PGM_RSRC2:TGID_Y_EN: 0
; COMPUTE_PGM_RSRC2:TGID_Z_EN: 0
; COMPUTE_PGM_RSRC2:TIDIG_COMP_CNT: 0
	.section	.text._ZN7rocprim17ROCPRIM_400000_NS6detail17trampoline_kernelINS0_14default_configENS1_35radix_sort_onesweep_config_selectorIaNS0_10empty_typeEEEZZNS1_29radix_sort_onesweep_iterationIS3_Lb1EPKaPaPS5_SB_mNS0_19identity_decomposerENS1_16block_id_wrapperIjLb0EEEEE10hipError_tT1_PNSt15iterator_traitsISG_E10value_typeET2_T3_PNSH_ISM_E10value_typeET4_T5_PSR_SS_PNS1_23onesweep_lookback_stateEbbT6_jjT7_P12ihipStream_tbENKUlT_T0_SG_SL_E_clISA_SA_SB_SB_EEDaSZ_S10_SG_SL_EUlSZ_E_NS1_11comp_targetILNS1_3genE0ELNS1_11target_archE4294967295ELNS1_3gpuE0ELNS1_3repE0EEENS1_47radix_sort_onesweep_sort_config_static_selectorELNS0_4arch9wavefront6targetE0EEEvSG_,"axG",@progbits,_ZN7rocprim17ROCPRIM_400000_NS6detail17trampoline_kernelINS0_14default_configENS1_35radix_sort_onesweep_config_selectorIaNS0_10empty_typeEEEZZNS1_29radix_sort_onesweep_iterationIS3_Lb1EPKaPaPS5_SB_mNS0_19identity_decomposerENS1_16block_id_wrapperIjLb0EEEEE10hipError_tT1_PNSt15iterator_traitsISG_E10value_typeET2_T3_PNSH_ISM_E10value_typeET4_T5_PSR_SS_PNS1_23onesweep_lookback_stateEbbT6_jjT7_P12ihipStream_tbENKUlT_T0_SG_SL_E_clISA_SA_SB_SB_EEDaSZ_S10_SG_SL_EUlSZ_E_NS1_11comp_targetILNS1_3genE0ELNS1_11target_archE4294967295ELNS1_3gpuE0ELNS1_3repE0EEENS1_47radix_sort_onesweep_sort_config_static_selectorELNS0_4arch9wavefront6targetE0EEEvSG_,comdat
	.protected	_ZN7rocprim17ROCPRIM_400000_NS6detail17trampoline_kernelINS0_14default_configENS1_35radix_sort_onesweep_config_selectorIaNS0_10empty_typeEEEZZNS1_29radix_sort_onesweep_iterationIS3_Lb1EPKaPaPS5_SB_mNS0_19identity_decomposerENS1_16block_id_wrapperIjLb0EEEEE10hipError_tT1_PNSt15iterator_traitsISG_E10value_typeET2_T3_PNSH_ISM_E10value_typeET4_T5_PSR_SS_PNS1_23onesweep_lookback_stateEbbT6_jjT7_P12ihipStream_tbENKUlT_T0_SG_SL_E_clISA_SA_SB_SB_EEDaSZ_S10_SG_SL_EUlSZ_E_NS1_11comp_targetILNS1_3genE0ELNS1_11target_archE4294967295ELNS1_3gpuE0ELNS1_3repE0EEENS1_47radix_sort_onesweep_sort_config_static_selectorELNS0_4arch9wavefront6targetE0EEEvSG_ ; -- Begin function _ZN7rocprim17ROCPRIM_400000_NS6detail17trampoline_kernelINS0_14default_configENS1_35radix_sort_onesweep_config_selectorIaNS0_10empty_typeEEEZZNS1_29radix_sort_onesweep_iterationIS3_Lb1EPKaPaPS5_SB_mNS0_19identity_decomposerENS1_16block_id_wrapperIjLb0EEEEE10hipError_tT1_PNSt15iterator_traitsISG_E10value_typeET2_T3_PNSH_ISM_E10value_typeET4_T5_PSR_SS_PNS1_23onesweep_lookback_stateEbbT6_jjT7_P12ihipStream_tbENKUlT_T0_SG_SL_E_clISA_SA_SB_SB_EEDaSZ_S10_SG_SL_EUlSZ_E_NS1_11comp_targetILNS1_3genE0ELNS1_11target_archE4294967295ELNS1_3gpuE0ELNS1_3repE0EEENS1_47radix_sort_onesweep_sort_config_static_selectorELNS0_4arch9wavefront6targetE0EEEvSG_
	.globl	_ZN7rocprim17ROCPRIM_400000_NS6detail17trampoline_kernelINS0_14default_configENS1_35radix_sort_onesweep_config_selectorIaNS0_10empty_typeEEEZZNS1_29radix_sort_onesweep_iterationIS3_Lb1EPKaPaPS5_SB_mNS0_19identity_decomposerENS1_16block_id_wrapperIjLb0EEEEE10hipError_tT1_PNSt15iterator_traitsISG_E10value_typeET2_T3_PNSH_ISM_E10value_typeET4_T5_PSR_SS_PNS1_23onesweep_lookback_stateEbbT6_jjT7_P12ihipStream_tbENKUlT_T0_SG_SL_E_clISA_SA_SB_SB_EEDaSZ_S10_SG_SL_EUlSZ_E_NS1_11comp_targetILNS1_3genE0ELNS1_11target_archE4294967295ELNS1_3gpuE0ELNS1_3repE0EEENS1_47radix_sort_onesweep_sort_config_static_selectorELNS0_4arch9wavefront6targetE0EEEvSG_
	.p2align	8
	.type	_ZN7rocprim17ROCPRIM_400000_NS6detail17trampoline_kernelINS0_14default_configENS1_35radix_sort_onesweep_config_selectorIaNS0_10empty_typeEEEZZNS1_29radix_sort_onesweep_iterationIS3_Lb1EPKaPaPS5_SB_mNS0_19identity_decomposerENS1_16block_id_wrapperIjLb0EEEEE10hipError_tT1_PNSt15iterator_traitsISG_E10value_typeET2_T3_PNSH_ISM_E10value_typeET4_T5_PSR_SS_PNS1_23onesweep_lookback_stateEbbT6_jjT7_P12ihipStream_tbENKUlT_T0_SG_SL_E_clISA_SA_SB_SB_EEDaSZ_S10_SG_SL_EUlSZ_E_NS1_11comp_targetILNS1_3genE0ELNS1_11target_archE4294967295ELNS1_3gpuE0ELNS1_3repE0EEENS1_47radix_sort_onesweep_sort_config_static_selectorELNS0_4arch9wavefront6targetE0EEEvSG_,@function
_ZN7rocprim17ROCPRIM_400000_NS6detail17trampoline_kernelINS0_14default_configENS1_35radix_sort_onesweep_config_selectorIaNS0_10empty_typeEEEZZNS1_29radix_sort_onesweep_iterationIS3_Lb1EPKaPaPS5_SB_mNS0_19identity_decomposerENS1_16block_id_wrapperIjLb0EEEEE10hipError_tT1_PNSt15iterator_traitsISG_E10value_typeET2_T3_PNSH_ISM_E10value_typeET4_T5_PSR_SS_PNS1_23onesweep_lookback_stateEbbT6_jjT7_P12ihipStream_tbENKUlT_T0_SG_SL_E_clISA_SA_SB_SB_EEDaSZ_S10_SG_SL_EUlSZ_E_NS1_11comp_targetILNS1_3genE0ELNS1_11target_archE4294967295ELNS1_3gpuE0ELNS1_3repE0EEENS1_47radix_sort_onesweep_sort_config_static_selectorELNS0_4arch9wavefront6targetE0EEEvSG_: ; @_ZN7rocprim17ROCPRIM_400000_NS6detail17trampoline_kernelINS0_14default_configENS1_35radix_sort_onesweep_config_selectorIaNS0_10empty_typeEEEZZNS1_29radix_sort_onesweep_iterationIS3_Lb1EPKaPaPS5_SB_mNS0_19identity_decomposerENS1_16block_id_wrapperIjLb0EEEEE10hipError_tT1_PNSt15iterator_traitsISG_E10value_typeET2_T3_PNSH_ISM_E10value_typeET4_T5_PSR_SS_PNS1_23onesweep_lookback_stateEbbT6_jjT7_P12ihipStream_tbENKUlT_T0_SG_SL_E_clISA_SA_SB_SB_EEDaSZ_S10_SG_SL_EUlSZ_E_NS1_11comp_targetILNS1_3genE0ELNS1_11target_archE4294967295ELNS1_3gpuE0ELNS1_3repE0EEENS1_47radix_sort_onesweep_sort_config_static_selectorELNS0_4arch9wavefront6targetE0EEEvSG_
; %bb.0:
	s_clause 0x3
	s_load_b96 s[16:18], s[0:1], 0x44
	s_load_b64 s[20:21], s[0:1], 0x38
	s_load_b128 s[12:15], s[0:1], 0x0
	s_load_b128 s[8:11], s[0:1], 0x28
	s_bfe_u32 s2, ttmp6, 0x4000c
	s_and_b32 s3, ttmp6, 15
	s_add_co_i32 s2, s2, 1
	s_getreg_b32 s4, hwreg(HW_REG_IB_STS2, 6, 4)
	s_mul_i32 s2, ttmp9, s2
	v_mul_u32_u24_e32 v6, 22, v0
	s_add_co_i32 s3, s3, s2
	s_cmp_eq_u32 s4, 0
	s_mov_b32 s23, 0
	s_cselect_b32 s19, ttmp9, s3
	s_mov_b32 s2, -1
	s_mul_i32 s22, s19, 0x5800
	s_wait_kmcnt 0x0
	s_cmp_ge_u32 s19, s18
	s_cbranch_scc0 .LBB382_112
; %bb.1:
	s_load_b32 s4, s[0:1], 0x20
	v_dual_mov_b32 v7, 0 :: v_dual_mov_b32 v24, 0x80
	s_add_nc_u64 s[2:3], s[12:13], s[22:23]
	v_dual_mov_b32 v1, 0x80 :: v_dual_mov_b32 v22, 0x80
	s_delay_alu instid0(VALU_DEP_2)
	v_add_nc_u64_e32 v[2:3], s[2:3], v[6:7]
	v_dual_mov_b32 v25, 0x80 :: v_dual_mov_b32 v20, 0x80
	v_dual_mov_b32 v23, 0x80 :: v_dual_mov_b32 v18, 0x80
	;; [unrolled: 1-line block ×8, first 2 shown]
	v_mov_b32_e32 v9, 0x80
	v_mov_b32_e32 v7, 0x80
	v_mov_b32_e32 v5, 0x80
	s_mul_i32 s5, s18, 0xffffa800
	s_mov_b32 s2, exec_lo
	s_wait_kmcnt 0x0
	s_add_co_i32 s18, s4, s5
	s_delay_alu instid0(SALU_CYCLE_1)
	v_cmpx_gt_u32_e64 s18, v6
	s_cbranch_execz .LBB382_3
; %bb.2:
	global_load_u8 v25, v[2:3], off
	v_dual_mov_b32 v1, 0x80 :: v_dual_mov_b32 v24, 0x80
	v_dual_mov_b32 v23, 0x80 :: v_dual_mov_b32 v22, 0x80
	;; [unrolled: 1-line block ×10, first 2 shown]
	v_mov_b32_e32 v5, 0x80
.LBB382_3:
	s_wait_xcnt 0x0
	s_or_b32 exec_lo, exec_lo, s2
	v_or_b32_e32 v26, 1, v6
	s_mov_b32 s2, exec_lo
	s_delay_alu instid0(VALU_DEP_1)
	v_cmpx_gt_u32_e64 s18, v26
	s_cbranch_execz .LBB382_5
; %bb.4:
	global_load_u8 v24, v[2:3], off offset:1
.LBB382_5:
	s_wait_xcnt 0x0
	s_or_b32 exec_lo, exec_lo, s2
	v_add_nc_u32_e32 v26, 2, v6
	s_mov_b32 s2, exec_lo
	s_delay_alu instid0(VALU_DEP_1)
	v_cmpx_gt_u32_e64 s18, v26
	s_cbranch_execz .LBB382_7
; %bb.6:
	global_load_u8 v23, v[2:3], off offset:2
.LBB382_7:
	s_wait_xcnt 0x0
	s_or_b32 exec_lo, exec_lo, s2
	v_add_nc_u32_e32 v26, 3, v6
	;; [unrolled: 10-line block ×20, first 2 shown]
	s_mov_b32 s2, exec_lo
	s_delay_alu instid0(VALU_DEP_1)
	v_cmpx_gt_u32_e64 s18, v26
	s_cbranch_execz .LBB382_45
; %bb.44:
	global_load_u8 v1, v[2:3], off offset:21
.LBB382_45:
	s_wait_xcnt 0x0
	s_or_b32 exec_lo, exec_lo, s2
	s_wait_loadcnt 0x0
	v_xor_b32_e32 v25, 0x7f, v25
	s_lshl_b32 s23, -1, s17
	v_xor_b32_e32 v24, 0x7f, v24
	v_xor_b32_e32 v23, 0x7f, v23
	;; [unrolled: 1-line block ×3, first 2 shown]
	v_and_b32_e32 v2, 0xff, v25
	v_xor_b32_e32 v21, 0x7f, v21
	v_and_b32_e32 v28, 0xff, v24
	v_xor_b32_e32 v20, 0x7f, v20
	v_and_b32_e32 v30, 0xff, v22
	v_dual_lshrrev_b32 v2, s16, v2 :: v_dual_lshlrev_b32 v26, 2, v0
	v_xor_b32_e32 v19, 0x7f, v19
	v_xor_b32_e32 v18, 0x7f, v18
	;; [unrolled: 1-line block ×3, first 2 shown]
	s_delay_alu instid0(VALU_DEP_4)
	v_bitop3_b32 v2, v2, s23, v2 bitop3:0x30
	v_xor_b32_e32 v16, 0x7f, v16
	v_xor_b32_e32 v15, 0x7f, v15
	;; [unrolled: 1-line block ×4, first 2 shown]
	v_dual_lshlrev_b32 v3, 10, v2 :: v_dual_lshrrev_b32 v2, 2, v2
	v_mov_b32_e32 v27, 0
	v_xor_b32_e32 v12, 0x7f, v12
	v_xor_b32_e32 v11, 0x7f, v11
	s_delay_alu instid0(VALU_DEP_4)
	v_and_or_b32 v3, 0x1c00, v3, v0
	v_and_b32_e32 v2, 62, v2
	ds_store_2addr_stride64_b32 v26, v27, v27 offset1:16
	ds_store_2addr_stride64_b32 v26, v27, v27 offset0:32 offset1:48
	ds_store_2addr_stride64_b32 v26, v27, v27 offset0:64 offset1:80
	;; [unrolled: 1-line block ×3, first 2 shown]
	v_xor_b32_e32 v10, 0x7f, v10
	v_xor_b32_e32 v9, 0x7f, v9
	v_lshl_add_u32 v2, v3, 2, v2
	v_lshrrev_b32_e32 v3, s16, v28
	v_and_b32_e32 v28, 0xff, v23
	v_xor_b32_e32 v8, 0x7f, v8
	v_xor_b32_e32 v7, 0x7f, v7
	ds_load_u16 v26, v2
	s_mov_b32 s7, exec_lo
	v_lshrrev_b32_e32 v28, s16, v28
	v_bitop3_b32 v3, v3, s23, v3 bitop3:0x30
	s_delay_alu instid0(VALU_DEP_2) | instskip(NEXT) | instid1(VALU_DEP_2)
	v_bitop3_b32 v28, v28, s23, v28 bitop3:0x30
	v_dual_lshlrev_b32 v27, 10, v3 :: v_dual_lshrrev_b32 v3, 2, v3
	s_delay_alu instid0(VALU_DEP_1) | instskip(NEXT) | instid1(VALU_DEP_2)
	v_and_or_b32 v27, 0x1c00, v27, v0
	v_and_b32_e32 v3, 62, v3
	s_wait_dscnt 0x0
	v_add_nc_u16 v29, v26, 1
	ds_store_b16 v2, v29
	v_lshlrev_b32_e32 v29, 10, v28
	v_lshl_add_u32 v3, v27, 2, v3
	v_lshrrev_b32_e32 v28, 2, v28
	s_delay_alu instid0(VALU_DEP_3) | instskip(SKIP_2) | instid1(VALU_DEP_1)
	v_and_or_b32 v29, 0x1c00, v29, v0
	ds_load_u16 v27, v3
	v_and_b32_e32 v28, 62, v28
	v_lshl_add_u32 v34, v29, 2, v28
	v_lshrrev_b32_e32 v29, s16, v30
	s_delay_alu instid0(VALU_DEP_1) | instskip(NEXT) | instid1(VALU_DEP_1)
	v_bitop3_b32 v29, v29, s23, v29 bitop3:0x30
	v_lshlrev_b32_e32 v30, 10, v29
	s_wait_dscnt 0x0
	v_add_nc_u16 v31, v27, 1
	s_delay_alu instid0(VALU_DEP_2) | instskip(SKIP_4) | instid1(VALU_DEP_1)
	v_and_or_b32 v30, 0x1c00, v30, v0
	ds_store_b16 v3, v31
	ds_load_u16 v28, v34
	v_and_b32_e32 v31, 0xff, v21
	v_lshrrev_b32_e32 v29, 2, v29
	v_and_b32_e32 v29, 62, v29
	s_delay_alu instid0(VALU_DEP_1) | instskip(NEXT) | instid1(VALU_DEP_4)
	v_lshl_add_u32 v36, v30, 2, v29
	v_lshrrev_b32_e32 v30, s16, v31
	s_delay_alu instid0(VALU_DEP_1) | instskip(SKIP_2) | instid1(VALU_DEP_2)
	v_bitop3_b32 v30, v30, s23, v30 bitop3:0x30
	s_wait_dscnt 0x0
	v_add_nc_u16 v32, v28, 1
	v_lshlrev_b32_e32 v31, 10, v30
	ds_store_b16 v34, v32
	ds_load_u16 v29, v36
	v_and_b32_e32 v32, 0xff, v20
	v_lshrrev_b32_e32 v30, 2, v30
	v_and_or_b32 v31, 0x1c00, v31, v0
	s_delay_alu instid0(VALU_DEP_2) | instskip(NEXT) | instid1(VALU_DEP_1)
	v_and_b32_e32 v30, 62, v30
	v_lshl_add_u32 v38, v31, 2, v30
	v_lshrrev_b32_e32 v31, s16, v32
	s_delay_alu instid0(VALU_DEP_1) | instskip(SKIP_2) | instid1(VALU_DEP_2)
	v_bitop3_b32 v31, v31, s23, v31 bitop3:0x30
	s_wait_dscnt 0x0
	v_add_nc_u16 v33, v29, 1
	v_lshlrev_b32_e32 v32, 10, v31
	ds_store_b16 v36, v33
	ds_load_u16 v30, v38
	v_and_b32_e32 v33, 0xff, v19
	v_lshrrev_b32_e32 v31, 2, v31
	v_and_or_b32 v32, 0x1c00, v32, v0
	s_delay_alu instid0(VALU_DEP_2) | instskip(NEXT) | instid1(VALU_DEP_1)
	v_and_b32_e32 v31, 62, v31
	v_lshl_add_u32 v40, v32, 2, v31
	v_lshrrev_b32_e32 v32, s16, v33
	s_delay_alu instid0(VALU_DEP_1) | instskip(SKIP_2) | instid1(VALU_DEP_2)
	v_bitop3_b32 v32, v32, s23, v32 bitop3:0x30
	s_wait_dscnt 0x0
	v_add_nc_u16 v35, v30, 1
	v_lshlrev_b32_e32 v33, 10, v32
	ds_store_b16 v38, v35
	ds_load_u16 v31, v40
	v_and_b32_e32 v35, 0xff, v18
	v_lshrrev_b32_e32 v32, 2, v32
	v_and_or_b32 v33, 0x1c00, v33, v0
	s_delay_alu instid0(VALU_DEP_2) | instskip(NEXT) | instid1(VALU_DEP_1)
	v_and_b32_e32 v32, 62, v32
	v_lshl_add_u32 v42, v33, 2, v32
	v_lshrrev_b32_e32 v33, s16, v35
	s_delay_alu instid0(VALU_DEP_1) | instskip(SKIP_2) | instid1(VALU_DEP_2)
	v_bitop3_b32 v33, v33, s23, v33 bitop3:0x30
	s_wait_dscnt 0x0
	v_add_nc_u16 v37, v31, 1
	v_dual_lshlrev_b32 v35, 10, v33 :: v_dual_lshrrev_b32 v33, 2, v33
	ds_store_b16 v40, v37
	ds_load_u16 v32, v42
	v_and_b32_e32 v37, 0xff, v17
	v_and_or_b32 v35, 0x1c00, v35, v0
	v_and_b32_e32 v33, 62, v33
	s_delay_alu instid0(VALU_DEP_1)
	v_lshl_add_u32 v45, v35, 2, v33
	s_wait_dscnt 0x0
	v_add_nc_u16 v39, v32, 1
	ds_store_b16 v42, v39
	ds_load_u16 v33, v45
	v_and_b32_e32 v39, 0xff, v16
	v_lshrrev_b32_e32 v35, s16, v37
	s_delay_alu instid0(VALU_DEP_1) | instskip(NEXT) | instid1(VALU_DEP_1)
	v_bitop3_b32 v35, v35, s23, v35 bitop3:0x30
	v_dual_lshlrev_b32 v37, 10, v35 :: v_dual_lshrrev_b32 v35, 2, v35
	s_delay_alu instid0(VALU_DEP_1) | instskip(NEXT) | instid1(VALU_DEP_2)
	v_and_or_b32 v37, 0x1c00, v37, v0
	v_and_b32_e32 v35, 62, v35
	s_wait_dscnt 0x0
	v_add_nc_u16 v41, v33, 1
	s_delay_alu instid0(VALU_DEP_2)
	v_lshl_add_u32 v48, v37, 2, v35
	v_lshrrev_b32_e32 v37, s16, v39
	ds_store_b16 v45, v41
	v_and_b32_e32 v41, 0xff, v15
	ds_load_u16 v35, v48
	v_bitop3_b32 v37, v37, s23, v37 bitop3:0x30
	s_delay_alu instid0(VALU_DEP_1) | instskip(NEXT) | instid1(VALU_DEP_1)
	v_dual_lshlrev_b32 v39, 10, v37 :: v_dual_lshrrev_b32 v37, 2, v37
	v_and_or_b32 v39, 0x1c00, v39, v0
	s_delay_alu instid0(VALU_DEP_2) | instskip(NEXT) | instid1(VALU_DEP_1)
	v_and_b32_e32 v37, 62, v37
	v_lshl_add_u32 v51, v39, 2, v37
	s_wait_dscnt 0x0
	v_add_nc_u16 v43, v35, 1
	ds_store_b16 v48, v43
	ds_load_u16 v37, v51
	v_and_b32_e32 v43, 0xff, v14
	v_lshrrev_b32_e32 v39, s16, v41
	s_delay_alu instid0(VALU_DEP_1) | instskip(NEXT) | instid1(VALU_DEP_1)
	v_bitop3_b32 v39, v39, s23, v39 bitop3:0x30
	v_dual_lshlrev_b32 v41, 10, v39 :: v_dual_lshrrev_b32 v39, 2, v39
	s_delay_alu instid0(VALU_DEP_1) | instskip(NEXT) | instid1(VALU_DEP_2)
	v_and_or_b32 v41, 0x1c00, v41, v0
	v_and_b32_e32 v39, 62, v39
	s_wait_dscnt 0x0
	v_add_nc_u16 v44, v37, 1
	s_delay_alu instid0(VALU_DEP_2)
	v_lshl_add_u32 v53, v41, 2, v39
	v_lshrrev_b32_e32 v41, s16, v43
	ds_store_b16 v51, v44
	v_and_b32_e32 v44, 0xff, v13
	ds_load_u16 v39, v53
	v_bitop3_b32 v41, v41, s23, v41 bitop3:0x30
	s_delay_alu instid0(VALU_DEP_1) | instskip(NEXT) | instid1(VALU_DEP_1)
	v_dual_lshlrev_b32 v43, 10, v41 :: v_dual_lshrrev_b32 v41, 2, v41
	v_and_or_b32 v43, 0x1c00, v43, v0
	s_delay_alu instid0(VALU_DEP_2) | instskip(NEXT) | instid1(VALU_DEP_1)
	v_and_b32_e32 v41, 62, v41
	v_lshl_add_u32 v55, v43, 2, v41
	v_lshrrev_b32_e32 v43, s16, v44
	s_wait_dscnt 0x0
	v_add_nc_u16 v46, v39, 1
	s_delay_alu instid0(VALU_DEP_2) | instskip(SKIP_4) | instid1(VALU_DEP_1)
	v_bitop3_b32 v43, v43, s23, v43 bitop3:0x30
	ds_store_b16 v53, v46
	ds_load_u16 v41, v55
	v_and_b32_e32 v46, 0xff, v12
	v_dual_lshlrev_b32 v44, 10, v43 :: v_dual_lshrrev_b32 v43, 2, v43
	v_and_or_b32 v44, 0x1c00, v44, v0
	s_delay_alu instid0(VALU_DEP_2) | instskip(NEXT) | instid1(VALU_DEP_1)
	v_and_b32_e32 v43, 62, v43
	v_lshl_add_u32 v57, v44, 2, v43
	v_lshrrev_b32_e32 v44, s16, v46
	s_delay_alu instid0(VALU_DEP_1) | instskip(SKIP_2) | instid1(VALU_DEP_2)
	v_bitop3_b32 v44, v44, s23, v44 bitop3:0x30
	s_wait_dscnt 0x0
	v_add_nc_u16 v47, v41, 1
	v_lshlrev_b32_e32 v46, 10, v44
	ds_store_b16 v55, v47
	ds_load_u16 v43, v57
	v_lshrrev_b32_e32 v44, 2, v44
	v_and_b32_e32 v47, 0xff, v11
	v_and_or_b32 v46, 0x1c00, v46, v0
	s_delay_alu instid0(VALU_DEP_3) | instskip(NEXT) | instid1(VALU_DEP_1)
	v_and_b32_e32 v44, 62, v44
	v_lshl_add_u32 v58, v46, 2, v44
	s_delay_alu instid0(VALU_DEP_4) | instskip(NEXT) | instid1(VALU_DEP_1)
	v_lshrrev_b32_e32 v44, s16, v47
	v_bitop3_b32 v44, v44, s23, v44 bitop3:0x30
	s_wait_dscnt 0x0
	v_add_nc_u16 v49, v43, 1
	s_delay_alu instid0(VALU_DEP_2)
	v_dual_lshlrev_b32 v47, 10, v44 :: v_dual_lshrrev_b32 v44, 2, v44
	ds_store_b16 v57, v49
	ds_load_u16 v46, v58
	v_and_or_b32 v47, 0x1c00, v47, v0
	v_and_b32_e32 v44, 62, v44
	v_and_b32_e32 v49, 0xff, v10
	s_delay_alu instid0(VALU_DEP_2) | instskip(NEXT) | instid1(VALU_DEP_2)
	v_lshl_add_u32 v60, v47, 2, v44
	v_lshrrev_b32_e32 v44, s16, v49
	s_delay_alu instid0(VALU_DEP_1) | instskip(NEXT) | instid1(VALU_DEP_1)
	v_bitop3_b32 v44, v44, s23, v44 bitop3:0x30
	v_dual_lshlrev_b32 v47, 10, v44 :: v_dual_lshrrev_b32 v44, 2, v44
	s_wait_dscnt 0x0
	v_add_nc_u16 v50, v46, 1
	s_delay_alu instid0(VALU_DEP_2) | instskip(NEXT) | instid1(VALU_DEP_3)
	v_and_or_b32 v47, 0x1c00, v47, v0
	v_and_b32_e32 v44, 62, v44
	ds_store_b16 v58, v50
	ds_load_u16 v49, v60
	v_and_b32_e32 v50, 0xff, v9
	v_lshl_add_u32 v62, v47, 2, v44
	s_delay_alu instid0(VALU_DEP_2) | instskip(SKIP_1) | instid1(VALU_DEP_2)
	v_lshrrev_b32_e32 v44, s16, v50
	v_and_b32_e32 v50, 0xff, v8
	v_bitop3_b32 v44, v44, s23, v44 bitop3:0x30
	s_delay_alu instid0(VALU_DEP_1) | instskip(SKIP_2) | instid1(VALU_DEP_2)
	v_dual_lshlrev_b32 v47, 10, v44 :: v_dual_lshrrev_b32 v44, 2, v44
	s_wait_dscnt 0x0
	v_add_nc_u16 v52, v49, 1
	v_and_or_b32 v47, 0x1c00, v47, v0
	s_delay_alu instid0(VALU_DEP_3)
	v_and_b32_e32 v44, 62, v44
	ds_store_b16 v60, v52
	ds_load_u16 v52, v62
	v_lshl_add_u32 v63, v47, 2, v44
	v_lshrrev_b32_e32 v44, s16, v50
	v_and_b32_e32 v50, 0xff, v7
	s_delay_alu instid0(VALU_DEP_2) | instskip(NEXT) | instid1(VALU_DEP_1)
	v_bitop3_b32 v44, v44, s23, v44 bitop3:0x30
	v_dual_lshlrev_b32 v47, 10, v44 :: v_dual_lshrrev_b32 v44, 2, v44
	s_delay_alu instid0(VALU_DEP_1) | instskip(NEXT) | instid1(VALU_DEP_2)
	v_and_or_b32 v47, 0x1c00, v47, v0
	v_and_b32_e32 v44, 62, v44
	s_wait_dscnt 0x0
	v_add_nc_u16 v54, v52, 1
	s_delay_alu instid0(VALU_DEP_2) | instskip(SKIP_4) | instid1(VALU_DEP_1)
	v_lshl_add_u32 v64, v47, 2, v44
	v_lshrrev_b32_e32 v44, s16, v50
	ds_store_b16 v62, v54
	ds_load_u16 v54, v63
	v_bitop3_b32 v44, v44, s23, v44 bitop3:0x30
	v_dual_lshlrev_b32 v47, 10, v44 :: v_dual_lshrrev_b32 v50, 2, v44
	v_xor_b32_e32 v44, 0x7f, v5
	s_delay_alu instid0(VALU_DEP_2) | instskip(NEXT) | instid1(VALU_DEP_3)
	v_and_or_b32 v5, 0x1c00, v47, v0
	v_and_b32_e32 v47, 62, v50
	s_delay_alu instid0(VALU_DEP_3) | instskip(NEXT) | instid1(VALU_DEP_2)
	v_and_b32_e32 v50, 0xff, v44
	v_lshl_add_u32 v65, v5, 2, v47
	s_wait_dscnt 0x0
	v_add_nc_u16 v56, v54, 1
	s_delay_alu instid0(VALU_DEP_3) | instskip(SKIP_3) | instid1(VALU_DEP_1)
	v_lshrrev_b32_e32 v47, s16, v50
	ds_store_b16 v63, v56
	ds_load_u16 v56, v64
	v_bitop3_b32 v47, v47, s23, v47 bitop3:0x30
	v_lshlrev_b32_e32 v50, 10, v47
	s_wait_dscnt 0x0
	v_add_nc_u16 v59, v56, 1
	ds_store_b16 v64, v59
	ds_load_u16 v5, v65
	v_lshrrev_b32_e32 v59, 2, v47
	v_xor_b32_e32 v47, 0x7f, v4
	v_and_or_b32 v4, 0x1c00, v50, v0
	s_delay_alu instid0(VALU_DEP_3) | instskip(NEXT) | instid1(VALU_DEP_3)
	v_and_b32_e32 v50, 62, v59
	v_and_b32_e32 v59, 0xff, v47
	s_delay_alu instid0(VALU_DEP_2) | instskip(NEXT) | instid1(VALU_DEP_2)
	v_lshl_add_u32 v4, v4, 2, v50
	v_lshrrev_b32_e32 v50, s16, v59
	s_delay_alu instid0(VALU_DEP_1) | instskip(SKIP_2) | instid1(VALU_DEP_2)
	v_bitop3_b32 v50, v50, s23, v50 bitop3:0x30
	s_wait_dscnt 0x0
	v_add_nc_u16 v61, v5, 1
	v_lshrrev_b32_e32 v66, 2, v50
	ds_store_b16 v65, v61
	ds_load_u16 v59, v4
	v_lshlrev_b32_e32 v61, 10, v50
	v_xor_b32_e32 v50, 0x7f, v1
	s_delay_alu instid0(VALU_DEP_2) | instskip(SKIP_1) | instid1(VALU_DEP_3)
	v_and_or_b32 v1, 0x1c00, v61, v0
	v_and_b32_e32 v61, 62, v66
	v_and_b32_e32 v67, 0xff, v50
	s_delay_alu instid0(VALU_DEP_2) | instskip(NEXT) | instid1(VALU_DEP_2)
	v_lshl_add_u32 v66, v1, 2, v61
	v_lshrrev_b32_e32 v61, s16, v67
	s_delay_alu instid0(VALU_DEP_1) | instskip(SKIP_2) | instid1(VALU_DEP_2)
	v_bitop3_b32 v61, v61, s23, v61 bitop3:0x30
	s_wait_dscnt 0x0
	v_add_nc_u16 v68, v59, 1
	v_dual_lshlrev_b32 v67, 10, v61 :: v_dual_lshrrev_b32 v61, 2, v61
	ds_store_b16 v4, v68
	ds_load_u16 v1, v66
	v_and_or_b32 v67, 0x1c00, v67, v0
	v_and_b32_e32 v61, 62, v61
	s_delay_alu instid0(VALU_DEP_1)
	v_lshl_add_u32 v67, v67, 2, v61
	s_wait_dscnt 0x0
	v_add_nc_u16 v68, v1, 1
	ds_store_b16 v66, v68
	ds_load_u16 v61, v67
	v_lshlrev_b32_e32 v68, 5, v0
	s_wait_dscnt 0x0
	v_add_nc_u16 v69, v61, 1
	ds_store_b16 v67, v69
	s_wait_dscnt 0x0
	s_barrier_signal -1
	s_barrier_wait -1
	ds_load_2addr_b64 v[70:73], v68 offset1:1
	ds_load_2addr_b64 v[74:77], v68 offset0:2 offset1:3
	s_wait_dscnt 0x1
	v_add_nc_u32_e32 v69, v71, v70
	s_delay_alu instid0(VALU_DEP_1) | instskip(SKIP_2) | instid1(VALU_DEP_2)
	v_add3_u32 v69, v69, v72, v73
	v_and_b32_e32 v73, 31, v0
	s_wait_dscnt 0x0
	v_add3_u32 v70, v69, v74, v75
	v_mbcnt_lo_u32_b32 v69, -1, 0
	s_delay_alu instid0(VALU_DEP_2) | instskip(NEXT) | instid1(VALU_DEP_2)
	v_add3_u32 v70, v70, v76, v77
	v_and_b32_e32 v71, 15, v69
	s_delay_alu instid0(VALU_DEP_2) | instskip(NEXT) | instid1(VALU_DEP_2)
	v_mov_b32_dpp v72, v70 row_shr:1 row_mask:0xf bank_mask:0xf
	v_cmp_eq_u32_e32 vcc_lo, 0, v71
	s_delay_alu instid0(VALU_DEP_2) | instskip(NEXT) | instid1(VALU_DEP_1)
	v_cndmask_b32_e64 v72, v72, 0, vcc_lo
	v_add_nc_u32_e32 v70, v72, v70
	v_cmp_lt_u32_e64 s2, 1, v71
	v_cmp_lt_u32_e64 s3, 3, v71
	v_cmp_lt_u32_e64 s4, 7, v71
	s_delay_alu instid0(VALU_DEP_4) | instskip(NEXT) | instid1(VALU_DEP_1)
	v_mov_b32_dpp v72, v70 row_shr:2 row_mask:0xf bank_mask:0xf
	v_cndmask_b32_e64 v72, 0, v72, s2
	s_delay_alu instid0(VALU_DEP_1) | instskip(NEXT) | instid1(VALU_DEP_1)
	v_add_nc_u32_e32 v70, v70, v72
	v_mov_b32_dpp v72, v70 row_shr:4 row_mask:0xf bank_mask:0xf
	s_delay_alu instid0(VALU_DEP_1) | instskip(NEXT) | instid1(VALU_DEP_1)
	v_cndmask_b32_e64 v72, 0, v72, s3
	v_add_nc_u32_e32 v70, v70, v72
	s_delay_alu instid0(VALU_DEP_1) | instskip(NEXT) | instid1(VALU_DEP_1)
	v_mov_b32_dpp v72, v70 row_shr:8 row_mask:0xf bank_mask:0xf
	v_cndmask_b32_e64 v71, 0, v72, s4
	v_bfe_i32 v72, v69, 4, 1
	s_delay_alu instid0(VALU_DEP_2) | instskip(SKIP_4) | instid1(VALU_DEP_2)
	v_add_nc_u32_e32 v70, v70, v71
	ds_swizzle_b32 v71, v70 offset:swizzle(BROADCAST,32,15)
	s_wait_dscnt 0x0
	v_and_b32_e32 v71, v72, v71
	v_dual_lshrrev_b32 v72, 5, v0 :: v_dual_bitop2_b32 v74, 16, v69 bitop3:0x40
	v_add_nc_u32_e32 v70, v70, v71
	s_delay_alu instid0(VALU_DEP_2) | instskip(NEXT) | instid1(VALU_DEP_3)
	v_cmp_eq_u32_e64 s5, 0, v74
	v_lshlrev_b32_e32 v71, 2, v72
	v_cmpx_eq_u32_e32 31, v73
; %bb.46:
	ds_store_b32 v71, v70 offset:32768
; %bb.47:
	s_or_b32 exec_lo, exec_lo, s7
	v_cmp_lt_u32_e64 s6, 31, v0
	s_mov_b32 s24, exec_lo
	s_wait_dscnt 0x0
	s_barrier_signal -1
	s_barrier_wait -1
	v_cmpx_gt_u32_e32 32, v0
	s_cbranch_execz .LBB382_49
; %bb.48:
	v_mad_i32_i24 v72, 0xffffffe4, v0, v68
	ds_load_b32 v73, v72 offset:32768
	s_wait_dscnt 0x0
	v_mov_b32_dpp v74, v73 row_shr:1 row_mask:0xf bank_mask:0xf
	s_delay_alu instid0(VALU_DEP_1) | instskip(NEXT) | instid1(VALU_DEP_1)
	v_cndmask_b32_e64 v74, v74, 0, vcc_lo
	v_add_nc_u32_e32 v73, v74, v73
	s_delay_alu instid0(VALU_DEP_1) | instskip(NEXT) | instid1(VALU_DEP_1)
	v_mov_b32_dpp v74, v73 row_shr:2 row_mask:0xf bank_mask:0xf
	v_cndmask_b32_e64 v74, 0, v74, s2
	s_delay_alu instid0(VALU_DEP_1) | instskip(NEXT) | instid1(VALU_DEP_1)
	v_add_nc_u32_e32 v73, v73, v74
	v_mov_b32_dpp v74, v73 row_shr:4 row_mask:0xf bank_mask:0xf
	s_delay_alu instid0(VALU_DEP_1) | instskip(NEXT) | instid1(VALU_DEP_1)
	v_cndmask_b32_e64 v74, 0, v74, s3
	v_add_nc_u32_e32 v73, v73, v74
	s_delay_alu instid0(VALU_DEP_1) | instskip(NEXT) | instid1(VALU_DEP_1)
	v_mov_b32_dpp v74, v73 row_shr:8 row_mask:0xf bank_mask:0xf
	v_cndmask_b32_e64 v74, 0, v74, s4
	s_delay_alu instid0(VALU_DEP_1) | instskip(SKIP_3) | instid1(VALU_DEP_1)
	v_add_nc_u32_e32 v73, v73, v74
	ds_swizzle_b32 v74, v73 offset:swizzle(BROADCAST,32,15)
	s_wait_dscnt 0x0
	v_cndmask_b32_e64 v74, v74, 0, s5
	v_add_nc_u32_e32 v73, v73, v74
	ds_store_b32 v72, v73 offset:32768
.LBB382_49:
	s_or_b32 exec_lo, exec_lo, s24
	v_dual_mov_b32 v73, 0 :: v_dual_mov_b32 v72, 0
	s_wait_dscnt 0x0
	s_barrier_signal -1
	s_barrier_wait -1
	s_and_saveexec_b32 s2, s6
; %bb.50:
	ds_load_b32 v72, v71 offset:32764
; %bb.51:
	s_or_b32 exec_lo, exec_lo, s2
	v_sub_co_u32 v71, vcc_lo, v69, 1
	s_wait_dscnt 0x0
	v_add_nc_u32_e32 v70, v72, v70
	s_delay_alu instid0(VALU_DEP_2) | instskip(NEXT) | instid1(VALU_DEP_1)
	v_cmp_gt_i32_e64 s2, 0, v71
	v_cndmask_b32_e64 v69, v71, v69, s2
	v_cmp_gt_u32_e64 s2, 16, v0
	s_delay_alu instid0(VALU_DEP_2)
	v_lshlrev_b32_e32 v69, 2, v69
	ds_bpermute_b32 v69, v69, v70
	ds_load_b32 v70, v73 offset:32892
	ds_load_2addr_b64 v[74:77], v68 offset1:1
	ds_load_b32 v78, v68 offset:24
	s_wait_dscnt 0x3
	v_cndmask_b32_e32 v69, v69, v72, vcc_lo
	ds_load_b64 v[72:73], v68 offset:16
	v_cmp_lt_u32_e32 vcc_lo, 15, v0
	s_wait_dscnt 0x3
	v_lshl_add_u32 v70, v70, 16, v69
	s_wait_dscnt 0x2
	s_delay_alu instid0(VALU_DEP_1) | instskip(NEXT) | instid1(VALU_DEP_1)
	v_add_nc_u32_e32 v71, v70, v74
	v_add_nc_u32_e32 v74, v75, v71
	s_delay_alu instid0(VALU_DEP_1) | instskip(NEXT) | instid1(VALU_DEP_1)
	v_add_nc_u32_e32 v75, v76, v74
	v_add_nc_u32_e32 v76, v77, v75
	s_wait_dscnt 0x0
	s_delay_alu instid0(VALU_DEP_1) | instskip(NEXT) | instid1(VALU_DEP_1)
	v_add_nc_u32_e32 v77, v72, v76
	v_add_nc_u32_e32 v72, v73, v77
	s_delay_alu instid0(VALU_DEP_1)
	v_add_nc_u32_e32 v73, v78, v72
	ds_store_2addr_b64 v68, v[70:71], v[74:75] offset1:1
	ds_store_2addr_b64 v68, v[76:77], v[72:73] offset0:2 offset1:3
	s_wait_dscnt 0x0
	s_barrier_signal -1
	s_barrier_wait -1
	ds_load_u16 v68, v2
	ds_load_u16 v69, v3
	ds_load_u16 v34, v34
	ds_load_u16 v36, v36
	ds_load_u16 v38, v38
	ds_load_u16 v40, v40
	ds_load_u16 v42, v42
	ds_load_u16 v45, v45
	ds_load_u16 v48, v48
	ds_load_u16 v51, v51
	ds_load_u16 v53, v53
	ds_load_u16 v55, v55
	ds_load_u16 v57, v57
	ds_load_u16 v58, v58
	ds_load_u16 v60, v60
	ds_load_u16 v62, v62
	ds_load_u16 v63, v63
	ds_load_u16 v64, v64
	ds_load_u16 v65, v65
	ds_load_u16 v70, v4
	ds_load_u16 v66, v66
	ds_load_u16 v67, v67
	v_mov_b64_e32 v[2:3], 0
                                        ; implicit-def: $vgpr4
	s_and_saveexec_b32 s4, s2
	s_cbranch_execz .LBB382_55
; %bb.52:
	v_dual_lshlrev_b32 v2, 12, v0 :: v_dual_lshrrev_b32 v3, 2, v0
	v_add_nc_u32_e32 v4, 1, v0
	s_mov_b32 s5, exec_lo
	s_delay_alu instid0(VALU_DEP_2)
	v_bitop3_b32 v2, v2, 0x70fe, v3 bitop3:0xc8
	v_mov_b32_e32 v3, 0x5800
	ds_load_u16 v2, v2
	v_cmpx_ne_u32_e32 16, v4
; %bb.53:
	v_dual_lshlrev_b32 v3, 12, v4 :: v_dual_lshrrev_b32 v4, 2, v4
	s_delay_alu instid0(VALU_DEP_1)
	v_bitop3_b32 v3, v3, 0x71fe, v4 bitop3:0xc8
	ds_load_u16 v3, v3
; %bb.54:
	s_or_b32 exec_lo, exec_lo, s5
	s_wait_dscnt 0x0
	v_and_b32_e32 v2, 0xffff, v2
	s_mov_b32 s3, 0
	s_delay_alu instid0(VALU_DEP_1) | instid1(SALU_CYCLE_1)
	v_dual_mov_b32 v3, s3 :: v_dual_sub_nc_u32 v4, v3, v2
.LBB382_55:
	s_or_b32 exec_lo, exec_lo, s4
	s_wait_dscnt 0x15
	v_and_b32_e32 v68, 0xffff, v68
	v_and_b32_e32 v26, 0xffff, v26
	s_wait_dscnt 0x14
	v_and_b32_e32 v69, 0xffff, v69
	v_and_b32_e32 v27, 0xffff, v27
	;; [unrolled: 3-line block ×4, first 2 shown]
	v_dual_add_nc_u32 v26, v68, v26 :: v_dual_add_nc_u32 v27, v69, v27
	s_wait_dscnt 0x11
	v_and_b32_e32 v38, 0xffff, v38
	v_and_b32_e32 v30, 0xffff, v30
	s_wait_dscnt 0x10
	v_and_b32_e32 v40, 0xffff, v40
	v_and_b32_e32 v31, 0xffff, v31
	v_add_nc_u32_e32 v28, v34, v28
	s_wait_dscnt 0xf
	v_and_b32_e32 v42, 0xffff, v42
	v_and_b32_e32 v32, 0xffff, v32
	s_wait_dscnt 0xe
	v_and_b32_e32 v45, 0xffff, v45
	v_and_b32_e32 v33, 0xffff, v33
	;; [unrolled: 3-line block ×3, first 2 shown]
	s_wait_dscnt 0x0
	s_barrier_signal -1
	s_barrier_wait -1
	ds_store_b8 v26, v25 offset:128
	ds_store_b8 v27, v24 offset:128
	;; [unrolled: 1-line block ×3, first 2 shown]
	v_add_nc_u32_e32 v23, v36, v29
	v_and_b32_e32 v51, 0xffff, v51
	v_and_b32_e32 v37, 0xffff, v37
	v_dual_add_nc_u32 v24, v38, v30 :: v_dual_add_nc_u32 v25, v40, v31
	v_and_b32_e32 v53, 0xffff, v53
	v_and_b32_e32 v39, 0xffff, v39
	;; [unrolled: 1-line block ×4, first 2 shown]
	v_dual_add_nc_u32 v26, v42, v32 :: v_dual_add_nc_u32 v27, v45, v33
	v_and_b32_e32 v57, 0xffff, v57
	v_and_b32_e32 v43, 0xffff, v43
	;; [unrolled: 1-line block ×4, first 2 shown]
	ds_store_b8 v23, v22 offset:128
	ds_store_b8 v24, v21 offset:128
	;; [unrolled: 1-line block ×5, first 2 shown]
	v_dual_add_nc_u32 v18, v48, v35 :: v_dual_add_nc_u32 v19, v51, v37
	v_and_b32_e32 v60, 0xffff, v60
	v_and_b32_e32 v49, 0xffff, v49
	;; [unrolled: 1-line block ×4, first 2 shown]
	v_dual_add_nc_u32 v20, v53, v39 :: v_dual_add_nc_u32 v21, v55, v41
	v_and_b32_e32 v63, 0xffff, v63
	v_and_b32_e32 v54, 0xffff, v54
	;; [unrolled: 1-line block ×4, first 2 shown]
	v_add_nc_u32_e32 v22, v57, v43
	ds_store_b8 v18, v17 offset:128
	ds_store_b8 v19, v16 offset:128
	;; [unrolled: 1-line block ×5, first 2 shown]
	v_dual_add_nc_u32 v13, v58, v46 :: v_dual_add_nc_u32 v14, v60, v49
	v_dual_add_nc_u32 v15, v62, v52 :: v_dual_add_nc_u32 v16, v63, v54
	v_add_nc_u32_e32 v17, v64, v56
	v_and_b32_e32 v65, 0xffff, v65
	v_and_b32_e32 v66, 0xffff, v66
	;; [unrolled: 1-line block ×4, first 2 shown]
	ds_store_b8 v13, v12 offset:128
	ds_store_b8 v14, v11 offset:128
	ds_store_b8 v15, v10 offset:128
	ds_store_b8 v16, v9 offset:128
	ds_store_b8 v17, v8 offset:128
	v_mov_b32_e32 v9, 0
	v_and_b32_e32 v70, 0xffff, v70
	v_and_b32_e32 v59, 0xffff, v59
	;; [unrolled: 1-line block ×4, first 2 shown]
	v_add_nc_u32_e32 v8, v65, v5
	v_dual_add_nc_u32 v11, v66, v1 :: v_dual_mov_b32 v1, v9
	v_dual_lshlrev_b32 v5, 3, v0 :: v_dual_add_nc_u32 v10, v70, v59
	s_delay_alu instid0(VALU_DEP_4)
	v_add_nc_u32_e32 v12, v67, v61
	s_not_b32 s3, s23
	ds_store_b8 v8, v7 offset:128
	ds_store_b8 v10, v44 offset:128
	;; [unrolled: 1-line block ×4, first 2 shown]
	s_and_saveexec_b32 s4, s2
	s_cbranch_execz .LBB382_65
; %bb.56:
	v_lshl_add_u32 v8, s19, 4, v0
	v_dual_mov_b32 v12, 0 :: v_dual_bitop2_b32 v7, 2.0, v4 bitop3:0x54
	s_mov_b32 s5, 0
	s_mov_b32 s6, s19
	s_delay_alu instid0(VALU_DEP_2)
	v_lshl_add_u64 v[10:11], v[8:9], 2, s[20:21]
	global_store_b32 v8, v7, s[20:21] scale_offset scope:SCOPE_DEV
                                        ; implicit-def: $sgpr2
	s_branch .LBB382_59
.LBB382_57:                             ;   in Loop: Header=BB382_59 Depth=1
	s_or_b32 exec_lo, exec_lo, s23
.LBB382_58:                             ;   in Loop: Header=BB382_59 Depth=1
	s_delay_alu instid0(SALU_CYCLE_1) | instskip(SKIP_2) | instid1(VALU_DEP_2)
	s_or_b32 exec_lo, exec_lo, s7
	v_and_b32_e32 v8, 0x3fffffff, v7
	v_cmp_gt_i32_e64 s2, -2.0, v7
	v_add_nc_u32_e32 v12, v8, v12
	s_and_b32 s7, exec_lo, s2
	s_delay_alu instid0(SALU_CYCLE_1) | instskip(NEXT) | instid1(SALU_CYCLE_1)
	s_or_b32 s5, s7, s5
	s_and_not1_b32 exec_lo, exec_lo, s5
	s_cbranch_execz .LBB382_64
.LBB382_59:                             ; =>This Loop Header: Depth=1
                                        ;     Child Loop BB382_62 Depth 2
	s_or_b32 s2, s2, exec_lo
	s_cmp_eq_u32 s6, 0
	s_cbranch_scc1 .LBB382_63
; %bb.60:                               ;   in Loop: Header=BB382_59 Depth=1
	s_add_co_i32 s6, s6, -1
	s_mov_b32 s7, exec_lo
	s_wait_xcnt 0x0
	v_lshl_or_b32 v8, s6, 4, v0
	global_load_b32 v7, v8, s[20:21] scale_offset scope:SCOPE_DEV
	s_wait_loadcnt 0x0
	v_cmpx_gt_u32_e32 2.0, v7
	s_cbranch_execz .LBB382_58
; %bb.61:                               ;   in Loop: Header=BB382_59 Depth=1
	v_lshl_add_u64 v[14:15], v[8:9], 2, s[20:21]
	s_mov_b32 s23, 0
.LBB382_62:                             ;   Parent Loop BB382_59 Depth=1
                                        ; =>  This Inner Loop Header: Depth=2
	global_load_b32 v7, v[14:15], off scope:SCOPE_DEV
	s_wait_loadcnt 0x0
	v_cmp_lt_u32_e64 s2, 0x3fffffff, v7
	s_or_b32 s23, s2, s23
	s_wait_xcnt 0x0
	s_and_not1_b32 exec_lo, exec_lo, s23
	s_cbranch_execnz .LBB382_62
	s_branch .LBB382_57
.LBB382_63:                             ;   in Loop: Header=BB382_59 Depth=1
                                        ; implicit-def: $sgpr6
	s_and_b32 s7, exec_lo, s2
	s_delay_alu instid0(SALU_CYCLE_1)
	s_or_b32 s5, s7, s5
	s_wait_xcnt 0x0
	s_and_not1_b32 exec_lo, exec_lo, s5
	s_cbranch_execnz .LBB382_59
.LBB382_64:
	s_or_b32 exec_lo, exec_lo, s5
	v_dual_add_nc_u32 v7, v12, v4 :: v_dual_mov_b32 v13, 0
	s_delay_alu instid0(VALU_DEP_1)
	v_or_b32_e32 v7, 0x80000000, v7
	global_store_b32 v[10:11], v7, off scope:SCOPE_DEV
	global_load_b64 v[8:9], v0, s[8:9] scale_offset
	s_wait_xcnt 0x1
	v_sub_nc_u64_e32 v[10:11], v[12:13], v[2:3]
	s_wait_loadcnt 0x0
	s_delay_alu instid0(VALU_DEP_1)
	v_add_nc_u64_e32 v[8:9], v[10:11], v[8:9]
	ds_store_b64 v5, v[8:9]
.LBB382_65:
	s_wait_xcnt 0x0
	s_or_b32 exec_lo, exec_lo, s4
	s_delay_alu instid0(SALU_CYCLE_1)
	s_mov_b32 s4, exec_lo
	s_wait_storecnt_dscnt 0x0
	s_barrier_signal -1
	s_barrier_wait -1
	v_cmpx_gt_u32_e64 s18, v0
	s_cbranch_execz .LBB382_67
; %bb.66:
	ds_load_u8 v7, v0 offset:128
	s_wait_dscnt 0x0
	v_and_b32_e32 v8, 0xff, v7
	v_xor_b32_e32 v7, 0x7f, v7
	s_delay_alu instid0(VALU_DEP_2) | instskip(NEXT) | instid1(VALU_DEP_1)
	v_lshrrev_b32_e32 v8, s16, v8
	v_and_b32_e32 v8, s3, v8
	s_delay_alu instid0(VALU_DEP_1) | instskip(SKIP_3) | instid1(VALU_DEP_1)
	v_lshlrev_b32_e32 v8, 3, v8
	ds_load_b64 v[8:9], v8
	s_wait_dscnt 0x0
	v_add_nc_u64_e32 v[8:9], s[14:15], v[8:9]
	v_add_nc_u64_e32 v[8:9], v[8:9], v[0:1]
	global_store_b8 v[8:9], v7, off
.LBB382_67:
	s_wait_xcnt 0x0
	s_or_b32 exec_lo, exec_lo, s4
	v_or_b32_e32 v7, 0x400, v0
	s_mov_b32 s4, exec_lo
	s_delay_alu instid0(VALU_DEP_1)
	v_cmpx_gt_u32_e64 s18, v7
	s_cbranch_execz .LBB382_69
; %bb.68:
	ds_load_u8 v7, v0 offset:1152
	s_wait_dscnt 0x0
	v_and_b32_e32 v8, 0xff, v7
	v_xor_b32_e32 v7, 0x7f, v7
	s_delay_alu instid0(VALU_DEP_2) | instskip(NEXT) | instid1(VALU_DEP_1)
	v_lshrrev_b32_e32 v8, s16, v8
	v_and_b32_e32 v8, s3, v8
	s_delay_alu instid0(VALU_DEP_1) | instskip(SKIP_3) | instid1(VALU_DEP_1)
	v_lshlrev_b32_e32 v8, 3, v8
	ds_load_b64 v[8:9], v8
	s_wait_dscnt 0x0
	v_add_nc_u64_e32 v[8:9], s[14:15], v[8:9]
	v_add_nc_u64_e32 v[8:9], v[8:9], v[0:1]
	global_store_b8 v[8:9], v7, off offset:1024
.LBB382_69:
	s_wait_xcnt 0x0
	s_or_b32 exec_lo, exec_lo, s4
	v_or_b32_e32 v7, 0x800, v0
	s_mov_b32 s4, exec_lo
	s_delay_alu instid0(VALU_DEP_1)
	v_cmpx_gt_u32_e64 s18, v7
	s_cbranch_execz .LBB382_71
; %bb.70:
	ds_load_u8 v7, v0 offset:2176
	s_wait_dscnt 0x0
	v_and_b32_e32 v8, 0xff, v7
	v_xor_b32_e32 v7, 0x7f, v7
	s_delay_alu instid0(VALU_DEP_2) | instskip(NEXT) | instid1(VALU_DEP_1)
	v_lshrrev_b32_e32 v8, s16, v8
	v_and_b32_e32 v8, s3, v8
	s_delay_alu instid0(VALU_DEP_1) | instskip(SKIP_3) | instid1(VALU_DEP_1)
	v_lshlrev_b32_e32 v8, 3, v8
	ds_load_b64 v[8:9], v8
	s_wait_dscnt 0x0
	v_add_nc_u64_e32 v[8:9], s[14:15], v[8:9]
	v_add_nc_u64_e32 v[8:9], v[8:9], v[0:1]
	global_store_b8 v[8:9], v7, off offset:2048
.LBB382_71:
	;; [unrolled: 23-line block ×20, first 2 shown]
	s_wait_xcnt 0x0
	s_or_b32 exec_lo, exec_lo, s4
	v_or_b32_e32 v7, 0x5400, v0
	s_mov_b32 s4, exec_lo
	s_delay_alu instid0(VALU_DEP_1)
	v_cmpx_gt_u32_e64 s18, v7
	s_cbranch_execz .LBB382_109
; %bb.108:
	ds_load_u8 v7, v0 offset:21632
	s_wait_dscnt 0x0
	v_and_b32_e32 v8, 0xff, v7
	s_delay_alu instid0(VALU_DEP_1) | instskip(NEXT) | instid1(VALU_DEP_1)
	v_lshrrev_b32_e32 v8, s16, v8
	v_and_b32_e32 v8, s3, v8
	s_delay_alu instid0(VALU_DEP_1) | instskip(SKIP_3) | instid1(VALU_DEP_1)
	v_lshlrev_b32_e32 v8, 3, v8
	ds_load_b64 v[8:9], v8
	s_wait_dscnt 0x0
	v_add_nc_u64_e32 v[8:9], s[14:15], v[8:9]
	v_add_nc_u64_e32 v[8:9], v[8:9], v[0:1]
	v_xor_b32_e32 v1, 0x7f, v7
	global_store_b8 v[8:9], v1, off offset:21504
.LBB382_109:
	s_wait_xcnt 0x0
	s_or_b32 exec_lo, exec_lo, s4
	s_load_b32 s2, s[0:1], 0x58
	s_wait_kmcnt 0x0
	s_add_co_i32 s2, s2, -1
	s_delay_alu instid0(SALU_CYCLE_1) | instskip(SKIP_2) | instid1(SALU_CYCLE_1)
	s_cmp_eq_u32 s19, s2
	s_cselect_b32 s2, -1, 0
	s_xor_b32 s3, vcc_lo, -1
	s_and_b32 s3, s3, s2
	s_delay_alu instid0(SALU_CYCLE_1)
	s_and_saveexec_b32 s2, s3
	s_cbranch_execz .LBB382_111
; %bb.110:
	ds_load_b64 v[8:9], v5
	v_mov_b32_e32 v5, 0
	s_delay_alu instid0(VALU_DEP_1) | instskip(SKIP_1) | instid1(VALU_DEP_1)
	v_add_nc_u64_e32 v[2:3], v[2:3], v[4:5]
	s_wait_dscnt 0x0
	v_add_nc_u64_e32 v[2:3], v[2:3], v[8:9]
	global_store_b64 v0, v[2:3], s[10:11] scale_offset
.LBB382_111:
	s_wait_xcnt 0x0
	s_or_b32 exec_lo, exec_lo, s2
	s_mov_b32 s2, 0
.LBB382_112:
	s_delay_alu instid0(SALU_CYCLE_1)
	s_and_b32 vcc_lo, exec_lo, s2
	s_cbranch_vccz .LBB382_135
; %bb.113:
	s_mov_b32 s23, 0
	v_dual_mov_b32 v13, 0 :: v_dual_lshlrev_b32 v12, 2, v0
	s_add_nc_u64 s[2:3], s[12:13], s[22:23]
	s_clause 0x1
	global_load_b128 v[2:5], v6, s[2:3]
	global_load_b32 v8, v6, s[2:3] offset:16
	s_lshl_b32 s12, -1, s17
	ds_store_2addr_stride64_b32 v12, v13, v13 offset1:16
	ds_store_2addr_stride64_b32 v12, v13, v13 offset0:32 offset1:48
	ds_store_2addr_stride64_b32 v12, v13, v13 offset0:64 offset1:80
	;; [unrolled: 1-line block ×3, first 2 shown]
	global_load_u16 v42, v6, s[2:3] offset:20
	s_mov_b32 s7, exec_lo
	s_wait_loadcnt 0x2
	v_xor_b32_e32 v1, 0x7f, v2
	v_lshrrev_b32_e32 v9, 8, v2
	s_delay_alu instid0(VALU_DEP_2) | instskip(NEXT) | instid1(VALU_DEP_1)
	v_and_b32_e32 v7, 0xff, v1
	v_lshrrev_b32_e32 v7, s16, v7
	s_delay_alu instid0(VALU_DEP_1) | instskip(NEXT) | instid1(VALU_DEP_1)
	v_bitop3_b32 v7, v7, s12, v7 bitop3:0x30
	v_dual_lshlrev_b32 v10, 10, v7 :: v_dual_lshrrev_b32 v11, 2, v7
	v_xor_b32_e32 v7, 0x7f, v9
	s_delay_alu instid0(VALU_DEP_2) | instskip(NEXT) | instid1(VALU_DEP_3)
	v_and_or_b32 v9, 0x1c00, v10, v0
	v_and_b32_e32 v10, 62, v11
	s_delay_alu instid0(VALU_DEP_3) | instskip(NEXT) | instid1(VALU_DEP_2)
	v_and_b32_e32 v11, 0xff, v7
	v_lshl_add_u32 v17, v9, 2, v10
	s_delay_alu instid0(VALU_DEP_2) | instskip(SKIP_3) | instid1(VALU_DEP_2)
	v_lshrrev_b32_e32 v9, s16, v11
	ds_load_u16 v11, v17
	v_bitop3_b32 v9, v9, s12, v9 bitop3:0x30
	v_dual_lshrrev_b32 v10, 16, v2 :: v_dual_lshrrev_b32 v2, 24, v2
	v_dual_lshlrev_b32 v12, 10, v9 :: v_dual_lshrrev_b32 v9, 2, v9
	s_delay_alu instid0(VALU_DEP_2) | instskip(NEXT) | instid1(VALU_DEP_2)
	v_xor_b32_e32 v10, 0x7f, v10
	v_and_or_b32 v12, 0x1c00, v12, v0
	s_delay_alu instid0(VALU_DEP_3) | instskip(NEXT) | instid1(VALU_DEP_3)
	v_and_b32_e32 v9, 62, v9
	v_and_b32_e32 v13, 0xff, v10
	s_delay_alu instid0(VALU_DEP_2) | instskip(NEXT) | instid1(VALU_DEP_2)
	v_lshl_add_u32 v20, v12, 2, v9
	v_lshrrev_b32_e32 v9, s16, v13
	v_xor_b32_e32 v12, 0x7f, v2
	s_wait_dscnt 0x0
	v_add_nc_u16 v14, v11, 1
	s_delay_alu instid0(VALU_DEP_3) | instskip(SKIP_3) | instid1(VALU_DEP_1)
	v_bitop3_b32 v9, v9, s12, v9 bitop3:0x30
	ds_store_b16 v17, v14
	ds_load_u16 v14, v20
	v_dual_lshlrev_b32 v13, 10, v9 :: v_dual_lshrrev_b32 v9, 2, v9
	v_and_or_b32 v2, 0x1c00, v13, v0
	s_delay_alu instid0(VALU_DEP_2) | instskip(SKIP_1) | instid1(VALU_DEP_2)
	v_and_b32_e32 v9, 62, v9
	v_and_b32_e32 v13, 0xffff, v12
	v_lshl_add_u32 v2, v2, 2, v9
	s_delay_alu instid0(VALU_DEP_2) | instskip(SKIP_1) | instid1(VALU_DEP_2)
	v_lshrrev_b32_e32 v9, s16, v13
	v_xor_b32_e32 v13, 0x7f, v3
	v_bitop3_b32 v9, v9, s12, v9 bitop3:0x30
	s_wait_dscnt 0x0
	v_add_nc_u16 v15, v14, 1
	s_delay_alu instid0(VALU_DEP_3) | instskip(NEXT) | instid1(VALU_DEP_3)
	v_and_b32_e32 v18, 0xff, v13
	v_dual_lshlrev_b32 v16, 10, v9 :: v_dual_lshrrev_b32 v9, 2, v9
	ds_store_b16 v20, v15
	ds_load_u16 v15, v2
	v_and_or_b32 v16, 0x1c00, v16, v0
	v_and_b32_e32 v9, 62, v9
	s_delay_alu instid0(VALU_DEP_1) | instskip(SKIP_1) | instid1(VALU_DEP_1)
	v_lshl_add_u32 v27, v16, 2, v9
	v_dual_lshrrev_b32 v9, s16, v18 :: v_dual_lshrrev_b32 v16, 8, v3
	v_bitop3_b32 v9, v9, s12, v9 bitop3:0x30
	s_delay_alu instid0(VALU_DEP_2) | instskip(NEXT) | instid1(VALU_DEP_2)
	v_xor_b32_e32 v16, 0x7f, v16
	v_dual_lshlrev_b32 v18, 10, v9 :: v_dual_lshrrev_b32 v9, 2, v9
	s_wait_dscnt 0x0
	v_add_nc_u16 v19, v15, 1
	s_delay_alu instid0(VALU_DEP_3) | instskip(NEXT) | instid1(VALU_DEP_3)
	v_and_b32_e32 v21, 0xff, v16
	v_and_or_b32 v18, 0x1c00, v18, v0
	v_and_b32_e32 v9, 62, v9
	ds_store_b16 v2, v19
	ds_load_u16 v19, v27
	v_lshl_add_u32 v34, v18, 2, v9
	v_dual_lshrrev_b32 v9, s16, v21 :: v_dual_lshrrev_b32 v18, 16, v3
	v_lshrrev_b32_e32 v3, 24, v3
	s_delay_alu instid0(VALU_DEP_2) | instskip(NEXT) | instid1(VALU_DEP_3)
	v_bitop3_b32 v9, v9, s12, v9 bitop3:0x30
	v_xor_b32_e32 v18, 0x7f, v18
	s_wait_xcnt 0x0
	s_delay_alu instid0(VALU_DEP_1) | instskip(SKIP_2) | instid1(VALU_DEP_2)
	v_and_b32_e32 v6, 0xff, v18
	s_wait_dscnt 0x0
	v_add_nc_u16 v22, v19, 1
	v_lshrrev_b32_e32 v6, s16, v6
	ds_store_b16 v27, v22
	ds_load_u16 v21, v34
	v_dual_lshlrev_b32 v22, 10, v9 :: v_dual_lshrrev_b32 v9, 2, v9
	v_bitop3_b32 v6, v6, s12, v6 bitop3:0x30
	s_delay_alu instid0(VALU_DEP_2) | instskip(NEXT) | instid1(VALU_DEP_3)
	v_and_or_b32 v22, 0x1c00, v22, v0
	v_and_b32_e32 v9, 62, v9
	s_delay_alu instid0(VALU_DEP_1) | instskip(NEXT) | instid1(VALU_DEP_4)
	v_lshl_add_u32 v41, v22, 2, v9
	v_dual_lshlrev_b32 v9, 10, v6 :: v_dual_lshrrev_b32 v22, 2, v6
	v_xor_b32_e32 v6, 0x7f, v3
	s_delay_alu instid0(VALU_DEP_2) | instskip(NEXT) | instid1(VALU_DEP_3)
	v_and_or_b32 v3, 0x1c00, v9, v0
	v_and_b32_e32 v9, 62, v22
	s_wait_dscnt 0x0
	v_add_nc_u16 v23, v21, 1
	v_and_b32_e32 v22, 0xffff, v6
	s_delay_alu instid0(VALU_DEP_3) | instskip(SKIP_4) | instid1(VALU_DEP_2)
	v_lshl_add_u32 v3, v3, 2, v9
	ds_store_b16 v34, v23
	ds_load_u16 v25, v41
	v_lshrrev_b32_e32 v9, s16, v22
	v_xor_b32_e32 v22, 0x7f, v4
	v_bitop3_b32 v9, v9, s12, v9 bitop3:0x30
	s_delay_alu instid0(VALU_DEP_2)
	v_and_b32_e32 v24, 0xff, v22
	s_wait_dscnt 0x0
	v_add_nc_u16 v23, v25, 1
	ds_store_b16 v41, v23
	ds_load_u16 v29, v3
	v_dual_lshlrev_b32 v23, 10, v9 :: v_dual_lshrrev_b32 v9, 2, v9
	s_delay_alu instid0(VALU_DEP_1) | instskip(NEXT) | instid1(VALU_DEP_2)
	v_and_or_b32 v23, 0x1c00, v23, v0
	v_and_b32_e32 v9, 62, v9
	s_delay_alu instid0(VALU_DEP_1) | instskip(SKIP_2) | instid1(VALU_DEP_2)
	v_lshl_add_u32 v47, v23, 2, v9
	v_lshrrev_b32_e32 v9, s16, v24
	v_lshrrev_b32_e32 v23, 8, v4
	v_bitop3_b32 v9, v9, s12, v9 bitop3:0x30
	s_delay_alu instid0(VALU_DEP_2) | instskip(SKIP_2) | instid1(VALU_DEP_3)
	v_xor_b32_e32 v23, 0x7f, v23
	s_wait_dscnt 0x0
	v_add_nc_u16 v26, v29, 1
	v_dual_lshlrev_b32 v24, 10, v9 :: v_dual_lshrrev_b32 v9, 2, v9
	ds_store_b16 v3, v26
	ds_load_u16 v31, v47
	v_and_b32_e32 v26, 0xff, v23
	v_and_or_b32 v24, 0x1c00, v24, v0
	v_and_b32_e32 v9, 62, v9
	s_delay_alu instid0(VALU_DEP_1) | instskip(NEXT) | instid1(VALU_DEP_4)
	v_lshl_add_u32 v49, v24, 2, v9
	v_dual_lshrrev_b32 v9, s16, v26 :: v_dual_lshrrev_b32 v24, 16, v4
	v_lshrrev_b32_e32 v4, 24, v4
	s_delay_alu instid0(VALU_DEP_2) | instskip(NEXT) | instid1(VALU_DEP_3)
	v_bitop3_b32 v9, v9, s12, v9 bitop3:0x30
	v_xor_b32_e32 v24, 0x7f, v24
	s_delay_alu instid0(VALU_DEP_2) | instskip(SKIP_2) | instid1(VALU_DEP_2)
	v_dual_lshlrev_b32 v26, 10, v9 :: v_dual_lshrrev_b32 v9, 2, v9
	s_wait_dscnt 0x0
	v_add_nc_u16 v28, v31, 1
	v_and_or_b32 v26, 0x1c00, v26, v0
	s_delay_alu instid0(VALU_DEP_3)
	v_and_b32_e32 v9, 62, v9
	ds_store_b16 v47, v28
	ds_load_u16 v33, v49
	v_and_b32_e32 v28, 0xff, v24
	v_lshl_add_u32 v51, v26, 2, v9
	v_xor_b32_e32 v26, 0x7f, v4
	s_delay_alu instid0(VALU_DEP_3) | instskip(NEXT) | instid1(VALU_DEP_1)
	v_lshrrev_b32_e32 v9, s16, v28
	v_bitop3_b32 v9, v9, s12, v9 bitop3:0x30
	s_delay_alu instid0(VALU_DEP_1) | instskip(SKIP_2) | instid1(VALU_DEP_2)
	v_dual_lshlrev_b32 v28, 10, v9 :: v_dual_lshrrev_b32 v9, 2, v9
	s_wait_dscnt 0x0
	v_add_nc_u16 v30, v33, 1
	v_and_or_b32 v4, 0x1c00, v28, v0
	s_delay_alu instid0(VALU_DEP_3)
	v_and_b32_e32 v9, 62, v9
	v_and_b32_e32 v28, 0xffff, v26
	ds_store_b16 v49, v30
	ds_load_u16 v35, v51
	v_lshl_add_u32 v4, v4, 2, v9
	v_lshrrev_b32_e32 v9, s16, v28
	v_xor_b32_e32 v28, 0x7f, v5
	s_delay_alu instid0(VALU_DEP_2) | instskip(NEXT) | instid1(VALU_DEP_2)
	v_bitop3_b32 v9, v9, s12, v9 bitop3:0x30
	v_and_b32_e32 v32, 0xff, v28
	s_wait_dscnt 0x0
	v_add_nc_u16 v30, v35, 1
	ds_store_b16 v51, v30
	ds_load_u16 v38, v4
	v_dual_lshlrev_b32 v30, 10, v9 :: v_dual_lshrrev_b32 v9, 2, v9
	s_delay_alu instid0(VALU_DEP_1) | instskip(NEXT) | instid1(VALU_DEP_2)
	v_and_or_b32 v30, 0x1c00, v30, v0
	v_and_b32_e32 v9, 62, v9
	s_delay_alu instid0(VALU_DEP_1) | instskip(SKIP_1) | instid1(VALU_DEP_1)
	v_lshl_add_u32 v54, v30, 2, v9
	v_dual_lshrrev_b32 v9, s16, v32 :: v_dual_lshrrev_b32 v30, 8, v5
	v_bitop3_b32 v9, v9, s12, v9 bitop3:0x30
	s_delay_alu instid0(VALU_DEP_2) | instskip(SKIP_2) | instid1(VALU_DEP_3)
	v_xor_b32_e32 v30, 0x7f, v30
	s_wait_dscnt 0x0
	v_add_nc_u16 v36, v38, 1
	v_dual_lshlrev_b32 v32, 10, v9 :: v_dual_lshrrev_b32 v9, 2, v9
	ds_store_b16 v4, v36
	ds_load_u16 v40, v54
	v_and_b32_e32 v36, 0xff, v30
	v_and_or_b32 v32, 0x1c00, v32, v0
	v_and_b32_e32 v9, 62, v9
	s_delay_alu instid0(VALU_DEP_1) | instskip(NEXT) | instid1(VALU_DEP_4)
	v_lshl_add_u32 v56, v32, 2, v9
	v_dual_lshrrev_b32 v9, s16, v36 :: v_dual_lshrrev_b32 v32, 16, v5
	v_lshrrev_b32_e32 v5, 24, v5
	s_delay_alu instid0(VALU_DEP_2) | instskip(NEXT) | instid1(VALU_DEP_3)
	v_bitop3_b32 v9, v9, s12, v9 bitop3:0x30
	v_xor_b32_e32 v32, 0x7f, v32
	s_delay_alu instid0(VALU_DEP_3) | instskip(NEXT) | instid1(VALU_DEP_3)
	v_xor_b32_e32 v5, 0x7f, v5
	v_dual_lshlrev_b32 v36, 10, v9 :: v_dual_lshrrev_b32 v9, 2, v9
	s_wait_dscnt 0x0
	v_add_nc_u16 v37, v40, 1
	s_delay_alu instid0(VALU_DEP_2) | instskip(NEXT) | instid1(VALU_DEP_3)
	v_and_or_b32 v36, 0x1c00, v36, v0
	v_and_b32_e32 v9, 62, v9
	ds_store_b16 v54, v37
	ds_load_u16 v43, v56
	v_and_b32_e32 v37, 0xff, v32
	v_lshl_add_u32 v58, v36, 2, v9
	s_delay_alu instid0(VALU_DEP_2) | instskip(SKIP_1) | instid1(VALU_DEP_2)
	v_lshrrev_b32_e32 v9, s16, v37
	v_and_b32_e32 v37, 0xffff, v5
	v_bitop3_b32 v9, v9, s12, v9 bitop3:0x30
	s_delay_alu instid0(VALU_DEP_1) | instskip(SKIP_2) | instid1(VALU_DEP_2)
	v_dual_lshlrev_b32 v36, 10, v9 :: v_dual_lshrrev_b32 v9, 2, v9
	s_wait_dscnt 0x0
	v_add_nc_u16 v39, v43, 1
	v_and_or_b32 v36, 0x1c00, v36, v0
	s_delay_alu instid0(VALU_DEP_3)
	v_and_b32_e32 v9, 62, v9
	ds_store_b16 v56, v39
	ds_load_u16 v44, v58
	v_lshl_add_u32 v59, v36, 2, v9
	v_lshrrev_b32_e32 v9, s16, v37
	s_wait_loadcnt 0x1
	v_xor_b32_e32 v36, 0x7f, v8
	s_delay_alu instid0(VALU_DEP_2) | instskip(NEXT) | instid1(VALU_DEP_1)
	v_bitop3_b32 v9, v9, s12, v9 bitop3:0x30
	v_dual_lshlrev_b32 v37, 10, v9 :: v_dual_lshrrev_b32 v9, 2, v9
	s_delay_alu instid0(VALU_DEP_1) | instskip(NEXT) | instid1(VALU_DEP_2)
	v_and_or_b32 v37, 0x1c00, v37, v0
	v_and_b32_e32 v9, 62, v9
	s_wait_dscnt 0x0
	v_add_nc_u16 v39, v44, 1
	s_delay_alu instid0(VALU_DEP_2) | instskip(SKIP_4) | instid1(VALU_DEP_1)
	v_lshl_add_u32 v60, v37, 2, v9
	v_lshrrev_b32_e32 v37, 8, v8
	ds_store_b16 v58, v39
	ds_load_u16 v45, v59
	v_and_b32_e32 v39, 0xff, v36
	v_lshrrev_b32_e32 v9, s16, v39
	v_xor_b32_e32 v39, 0x7f, v37
	s_delay_alu instid0(VALU_DEP_2) | instskip(NEXT) | instid1(VALU_DEP_1)
	v_bitop3_b32 v9, v9, s12, v9 bitop3:0x30
	v_dual_lshlrev_b32 v48, 10, v9 :: v_dual_lshrrev_b32 v9, 2, v9
	s_wait_dscnt 0x0
	v_add_nc_u16 v46, v45, 1
	s_delay_alu instid0(VALU_DEP_2) | instskip(NEXT) | instid1(VALU_DEP_3)
	v_and_or_b32 v37, 0x1c00, v48, v0
	v_and_b32_e32 v9, 62, v9
	v_and_b32_e32 v48, 0xff, v39
	ds_store_b16 v59, v46
	ds_load_u16 v46, v60
	v_lshl_add_u32 v61, v37, 2, v9
	v_lshrrev_b32_e32 v9, s16, v48
	v_lshrrev_b32_e32 v37, 16, v8
	s_delay_alu instid0(VALU_DEP_2) | instskip(NEXT) | instid1(VALU_DEP_2)
	v_bitop3_b32 v9, v9, s12, v9 bitop3:0x30
	v_xor_b32_e32 v37, 0x7f, v37
	s_delay_alu instid0(VALU_DEP_1) | instskip(NEXT) | instid1(VALU_DEP_1)
	v_and_b32_e32 v52, 0xff, v37
	v_lshrrev_b32_e32 v52, s16, v52
	s_wait_dscnt 0x0
	v_add_nc_u16 v50, v46, 1
	s_delay_alu instid0(VALU_DEP_2) | instskip(SKIP_3) | instid1(VALU_DEP_1)
	v_bitop3_b32 v55, v52, s12, v52 bitop3:0x30
	ds_store_b16 v60, v50
	ds_load_u16 v48, v61
	v_dual_lshlrev_b32 v50, 10, v9 :: v_dual_lshrrev_b32 v9, 2, v9
	v_and_or_b32 v50, 0x1c00, v50, v0
	s_delay_alu instid0(VALU_DEP_2) | instskip(NEXT) | instid1(VALU_DEP_1)
	v_and_b32_e32 v9, 62, v9
	v_lshl_add_u32 v62, v50, 2, v9
	s_wait_loadcnt 0x0
	v_and_b32_e32 v9, 0xffff, v42
	v_xor_b32_e32 v42, 0x7f, v42
	s_wait_dscnt 0x0
	v_add_nc_u16 v53, v48, 1
	ds_store_b16 v61, v53
	ds_load_u16 v50, v62
	v_lshrrev_b64 v[52:53], 24, v[8:9]
	v_dual_lshlrev_b32 v53, 10, v55 :: v_dual_lshrrev_b32 v55, 2, v55
	v_lshrrev_b32_e32 v9, 8, v9
	s_delay_alu instid0(VALU_DEP_3) | instskip(NEXT) | instid1(VALU_DEP_3)
	v_xor_b32_e32 v8, 0x7f, v52
	v_and_or_b32 v52, 0x1c00, v53, v0
	s_delay_alu instid0(VALU_DEP_4) | instskip(NEXT) | instid1(VALU_DEP_4)
	v_and_b32_e32 v53, 62, v55
	v_xor_b32_e32 v9, 0x7f, v9
	s_delay_alu instid0(VALU_DEP_4) | instskip(NEXT) | instid1(VALU_DEP_3)
	v_and_b32_e32 v55, 0xff, v8
	v_lshl_add_u32 v63, v52, 2, v53
	s_delay_alu instid0(VALU_DEP_3) | instskip(NEXT) | instid1(VALU_DEP_3)
	v_and_b32_e32 v66, 0xff, v9
	v_lshrrev_b32_e32 v53, s16, v55
	s_wait_dscnt 0x0
	v_add_nc_u16 v57, v50, 1
	s_delay_alu instid0(VALU_DEP_2) | instskip(SKIP_4) | instid1(VALU_DEP_1)
	v_bitop3_b32 v53, v53, s12, v53 bitop3:0x30
	ds_store_b16 v62, v57
	ds_load_u16 v52, v63
	v_and_b32_e32 v57, 0xff, v42
	v_dual_lshlrev_b32 v55, 10, v53 :: v_dual_lshrrev_b32 v53, 2, v53
	v_and_or_b32 v55, 0x1c00, v55, v0
	s_delay_alu instid0(VALU_DEP_2) | instskip(NEXT) | instid1(VALU_DEP_1)
	v_and_b32_e32 v53, 62, v53
	v_lshl_add_u32 v64, v55, 2, v53
	v_lshrrev_b32_e32 v55, s16, v57
	s_delay_alu instid0(VALU_DEP_1) | instskip(SKIP_2) | instid1(VALU_DEP_2)
	v_bitop3_b32 v55, v55, s12, v55 bitop3:0x30
	s_wait_dscnt 0x0
	v_add_nc_u16 v65, v52, 1
	v_lshlrev_b32_e32 v57, 10, v55
	ds_store_b16 v63, v65
	ds_load_u16 v53, v64
	v_lshrrev_b32_e32 v55, 2, v55
	v_and_or_b32 v57, 0x1c00, v57, v0
	s_delay_alu instid0(VALU_DEP_2) | instskip(NEXT) | instid1(VALU_DEP_1)
	v_and_b32_e32 v55, 62, v55
	v_lshl_add_u32 v65, v57, 2, v55
	v_lshrrev_b32_e32 v57, s16, v66
	s_delay_alu instid0(VALU_DEP_1) | instskip(SKIP_2) | instid1(VALU_DEP_2)
	v_bitop3_b32 v57, v57, s12, v57 bitop3:0x30
	s_wait_dscnt 0x0
	v_add_nc_u16 v67, v53, 1
	v_dual_lshlrev_b32 v66, 10, v57 :: v_dual_lshrrev_b32 v57, 2, v57
	ds_store_b16 v64, v67
	ds_load_u16 v55, v65
	v_and_or_b32 v66, 0x1c00, v66, v0
	v_and_b32_e32 v57, 62, v57
	s_delay_alu instid0(VALU_DEP_1)
	v_lshl_add_u32 v66, v66, 2, v57
	s_wait_dscnt 0x0
	v_add_nc_u16 v67, v55, 1
	ds_store_b16 v65, v67
	ds_load_u16 v57, v66
	v_lshlrev_b32_e32 v67, 5, v0
	s_wait_dscnt 0x0
	v_add_nc_u16 v68, v57, 1
	ds_store_b16 v66, v68
	s_wait_storecnt_dscnt 0x0
	s_barrier_signal -1
	s_barrier_wait -1
	ds_load_2addr_b64 v[68:71], v67 offset1:1
	ds_load_2addr_b64 v[72:75], v67 offset0:2 offset1:3
	s_wait_dscnt 0x1
	v_add_nc_u32_e32 v68, v69, v68
	s_delay_alu instid0(VALU_DEP_1) | instskip(SKIP_1) | instid1(VALU_DEP_1)
	v_add3_u32 v68, v68, v70, v71
	s_wait_dscnt 0x0
	v_add3_u32 v69, v68, v72, v73
	v_mbcnt_lo_u32_b32 v68, -1, 0
	v_and_b32_e32 v72, 31, v0
	s_delay_alu instid0(VALU_DEP_3) | instskip(NEXT) | instid1(VALU_DEP_3)
	v_add3_u32 v69, v69, v74, v75
	v_and_b32_e32 v70, 15, v68
	s_delay_alu instid0(VALU_DEP_2) | instskip(NEXT) | instid1(VALU_DEP_2)
	v_mov_b32_dpp v71, v69 row_shr:1 row_mask:0xf bank_mask:0xf
	v_cmp_eq_u32_e32 vcc_lo, 0, v70
	v_cmp_lt_u32_e64 s2, 1, v70
	v_cmp_lt_u32_e64 s3, 3, v70
	;; [unrolled: 1-line block ×3, first 2 shown]
	v_cndmask_b32_e64 v71, v71, 0, vcc_lo
	s_delay_alu instid0(VALU_DEP_1) | instskip(NEXT) | instid1(VALU_DEP_1)
	v_add_nc_u32_e32 v69, v71, v69
	v_mov_b32_dpp v71, v69 row_shr:2 row_mask:0xf bank_mask:0xf
	s_delay_alu instid0(VALU_DEP_1) | instskip(NEXT) | instid1(VALU_DEP_1)
	v_cndmask_b32_e64 v71, 0, v71, s2
	v_add_nc_u32_e32 v69, v69, v71
	s_delay_alu instid0(VALU_DEP_1) | instskip(NEXT) | instid1(VALU_DEP_1)
	v_mov_b32_dpp v71, v69 row_shr:4 row_mask:0xf bank_mask:0xf
	v_cndmask_b32_e64 v71, 0, v71, s3
	s_delay_alu instid0(VALU_DEP_1) | instskip(NEXT) | instid1(VALU_DEP_1)
	v_add_nc_u32_e32 v69, v69, v71
	v_mov_b32_dpp v71, v69 row_shr:8 row_mask:0xf bank_mask:0xf
	s_delay_alu instid0(VALU_DEP_1) | instskip(SKIP_1) | instid1(VALU_DEP_2)
	v_cndmask_b32_e64 v70, 0, v71, s4
	v_bfe_i32 v71, v68, 4, 1
	v_add_nc_u32_e32 v69, v69, v70
	ds_swizzle_b32 v70, v69 offset:swizzle(BROADCAST,32,15)
	s_wait_dscnt 0x0
	v_dual_lshrrev_b32 v71, 5, v0 :: v_dual_bitop2_b32 v70, v71, v70 bitop3:0x40
	s_delay_alu instid0(VALU_DEP_1) | instskip(NEXT) | instid1(VALU_DEP_2)
	v_dual_add_nc_u32 v69, v69, v70 :: v_dual_bitop2_b32 v73, 16, v68 bitop3:0x40
	v_lshlrev_b32_e32 v70, 2, v71
	s_delay_alu instid0(VALU_DEP_2)
	v_cmp_eq_u32_e64 s5, 0, v73
	v_cmpx_eq_u32_e32 31, v72
; %bb.114:
	ds_store_b32 v70, v69 offset:32768
; %bb.115:
	s_or_b32 exec_lo, exec_lo, s7
	v_cmp_lt_u32_e64 s6, 31, v0
	s_mov_b32 s13, exec_lo
	s_wait_dscnt 0x0
	s_barrier_signal -1
	s_barrier_wait -1
	v_cmpx_gt_u32_e32 32, v0
	s_cbranch_execz .LBB382_117
; %bb.116:
	v_mad_i32_i24 v71, 0xffffffe4, v0, v67
	ds_load_b32 v72, v71 offset:32768
	s_wait_dscnt 0x0
	v_mov_b32_dpp v73, v72 row_shr:1 row_mask:0xf bank_mask:0xf
	s_delay_alu instid0(VALU_DEP_1) | instskip(NEXT) | instid1(VALU_DEP_1)
	v_cndmask_b32_e64 v73, v73, 0, vcc_lo
	v_add_nc_u32_e32 v72, v73, v72
	s_delay_alu instid0(VALU_DEP_1) | instskip(NEXT) | instid1(VALU_DEP_1)
	v_mov_b32_dpp v73, v72 row_shr:2 row_mask:0xf bank_mask:0xf
	v_cndmask_b32_e64 v73, 0, v73, s2
	s_delay_alu instid0(VALU_DEP_1) | instskip(NEXT) | instid1(VALU_DEP_1)
	v_add_nc_u32_e32 v72, v72, v73
	v_mov_b32_dpp v73, v72 row_shr:4 row_mask:0xf bank_mask:0xf
	s_delay_alu instid0(VALU_DEP_1) | instskip(NEXT) | instid1(VALU_DEP_1)
	v_cndmask_b32_e64 v73, 0, v73, s3
	v_add_nc_u32_e32 v72, v72, v73
	s_delay_alu instid0(VALU_DEP_1) | instskip(NEXT) | instid1(VALU_DEP_1)
	v_mov_b32_dpp v73, v72 row_shr:8 row_mask:0xf bank_mask:0xf
	v_cndmask_b32_e64 v73, 0, v73, s4
	s_delay_alu instid0(VALU_DEP_1) | instskip(SKIP_3) | instid1(VALU_DEP_1)
	v_add_nc_u32_e32 v72, v72, v73
	ds_swizzle_b32 v73, v72 offset:swizzle(BROADCAST,32,15)
	s_wait_dscnt 0x0
	v_cndmask_b32_e64 v73, v73, 0, s5
	v_add_nc_u32_e32 v72, v72, v73
	ds_store_b32 v71, v72 offset:32768
.LBB382_117:
	s_or_b32 exec_lo, exec_lo, s13
	v_dual_mov_b32 v72, 0 :: v_dual_mov_b32 v71, 0
	s_wait_dscnt 0x0
	s_barrier_signal -1
	s_barrier_wait -1
	s_and_saveexec_b32 s2, s6
; %bb.118:
	ds_load_b32 v71, v70 offset:32764
; %bb.119:
	s_or_b32 exec_lo, exec_lo, s2
	v_sub_co_u32 v70, vcc_lo, v68, 1
	s_wait_dscnt 0x0
	v_add_nc_u32_e32 v69, v71, v69
	s_delay_alu instid0(VALU_DEP_2) | instskip(NEXT) | instid1(VALU_DEP_1)
	v_cmp_gt_i32_e64 s2, 0, v70
	v_cndmask_b32_e64 v68, v70, v68, s2
	v_cmp_gt_u32_e64 s2, 16, v0
	s_delay_alu instid0(VALU_DEP_2)
	v_lshlrev_b32_e32 v68, 2, v68
	ds_bpermute_b32 v68, v68, v69
	ds_load_b32 v69, v72 offset:32892
	ds_load_2addr_b64 v[72:75], v67 offset1:1
	ds_load_b32 v76, v67 offset:24
	s_wait_dscnt 0x3
	v_cndmask_b32_e32 v68, v68, v71, vcc_lo
	ds_load_b64 v[70:71], v67 offset:16
	v_cmp_lt_u32_e32 vcc_lo, 15, v0
	s_wait_dscnt 0x3
	v_lshl_add_u32 v68, v69, 16, v68
	s_wait_dscnt 0x2
	s_delay_alu instid0(VALU_DEP_1) | instskip(NEXT) | instid1(VALU_DEP_1)
	v_add_nc_u32_e32 v69, v68, v72
	v_add_nc_u32_e32 v72, v73, v69
	s_delay_alu instid0(VALU_DEP_1) | instskip(NEXT) | instid1(VALU_DEP_1)
	v_add_nc_u32_e32 v73, v74, v72
	v_add_nc_u32_e32 v74, v75, v73
	s_wait_dscnt 0x0
	s_delay_alu instid0(VALU_DEP_1) | instskip(NEXT) | instid1(VALU_DEP_1)
	v_add_nc_u32_e32 v75, v70, v74
	v_add_nc_u32_e32 v70, v71, v75
	s_delay_alu instid0(VALU_DEP_1)
	v_add_nc_u32_e32 v71, v76, v70
	ds_store_2addr_b64 v67, v[68:69], v[72:73] offset1:1
	ds_store_2addr_b64 v67, v[74:75], v[70:71] offset0:2 offset1:3
	s_wait_dscnt 0x0
	s_barrier_signal -1
	s_barrier_wait -1
	ds_load_u16 v17, v17
	ds_load_u16 v20, v20
	;; [unrolled: 1-line block ×22, first 2 shown]
	v_mov_b64_e32 v[2:3], 0
                                        ; implicit-def: $vgpr4
	s_and_saveexec_b32 s4, s2
	s_cbranch_execz .LBB382_123
; %bb.120:
	v_dual_lshlrev_b32 v2, 12, v0 :: v_dual_lshrrev_b32 v3, 2, v0
	v_add_nc_u32_e32 v4, 1, v0
	s_mov_b32 s5, exec_lo
	s_delay_alu instid0(VALU_DEP_2)
	v_bitop3_b32 v2, v2, 0x70fe, v3 bitop3:0xc8
	v_mov_b32_e32 v3, 0x5800
	ds_load_u16 v2, v2
	v_cmpx_ne_u32_e32 16, v4
; %bb.121:
	v_dual_lshlrev_b32 v3, 12, v4 :: v_dual_lshrrev_b32 v4, 2, v4
	s_delay_alu instid0(VALU_DEP_1)
	v_bitop3_b32 v3, v3, 0x71fe, v4 bitop3:0xc8
	ds_load_u16 v3, v3
; %bb.122:
	s_or_b32 exec_lo, exec_lo, s5
	s_wait_dscnt 0x0
	v_and_b32_e32 v2, 0xffff, v2
	s_mov_b32 s3, 0
	s_delay_alu instid0(VALU_DEP_1) | instid1(SALU_CYCLE_1)
	v_dual_mov_b32 v3, s3 :: v_dual_sub_nc_u32 v4, v3, v2
.LBB382_123:
	s_or_b32 exec_lo, exec_lo, s4
	s_wait_dscnt 0x15
	v_and_b32_e32 v17, 0xffff, v17
	v_and_b32_e32 v11, 0xffff, v11
	s_wait_dscnt 0x14
	v_and_b32_e32 v20, 0xffff, v20
	v_and_b32_e32 v14, 0xffff, v14
	;; [unrolled: 3-line block ×4, first 2 shown]
	v_dual_add_nc_u32 v11, v17, v11 :: v_dual_add_nc_u32 v14, v20, v14
	s_wait_dscnt 0x11
	v_and_b32_e32 v34, 0xffff, v34
	v_and_b32_e32 v21, 0xffff, v21
	s_wait_dscnt 0x10
	v_and_b32_e32 v41, 0xffff, v41
	v_and_b32_e32 v25, 0xffff, v25
	v_add_nc_u32_e32 v15, v67, v15
	s_wait_dscnt 0xf
	v_and_b32_e32 v68, 0xffff, v68
	v_and_b32_e32 v29, 0xffff, v29
	s_wait_dscnt 0xe
	v_and_b32_e32 v47, 0xffff, v47
	v_and_b32_e32 v31, 0xffff, v31
	;; [unrolled: 3-line block ×3, first 2 shown]
	s_wait_dscnt 0x0
	s_barrier_signal -1
	s_barrier_wait -1
	ds_store_b8 v11, v1 offset:128
	ds_store_b8 v14, v7 offset:128
	;; [unrolled: 1-line block ×3, first 2 shown]
	v_dual_add_nc_u32 v1, v27, v19 :: v_dual_add_nc_u32 v10, v41, v25
	v_and_b32_e32 v51, 0xffff, v51
	v_and_b32_e32 v35, 0xffff, v35
	v_add_nc_u32_e32 v7, v34, v21
	v_and_b32_e32 v69, 0xffff, v69
	v_and_b32_e32 v38, 0xffff, v38
	;; [unrolled: 1-line block ×4, first 2 shown]
	v_dual_add_nc_u32 v11, v68, v29 :: v_dual_add_nc_u32 v14, v47, v31
	v_and_b32_e32 v56, 0xffff, v56
	v_and_b32_e32 v43, 0xffff, v43
	;; [unrolled: 1-line block ×4, first 2 shown]
	ds_store_b8 v1, v12 offset:128
	ds_store_b8 v7, v13 offset:128
	;; [unrolled: 1-line block ×5, first 2 shown]
	v_dual_add_nc_u32 v1, v49, v33 :: v_dual_add_nc_u32 v6, v51, v35
	v_and_b32_e32 v59, 0xffff, v59
	v_and_b32_e32 v45, 0xffff, v45
	;; [unrolled: 1-line block ×4, first 2 shown]
	v_dual_add_nc_u32 v7, v69, v38 :: v_dual_add_nc_u32 v10, v54, v40
	v_and_b32_e32 v61, 0xffff, v61
	v_and_b32_e32 v48, 0xffff, v48
	;; [unrolled: 1-line block ×4, first 2 shown]
	v_add_nc_u32_e32 v11, v56, v43
	ds_store_b8 v1, v22 offset:128
	ds_store_b8 v6, v23 offset:128
	;; [unrolled: 1-line block ×5, first 2 shown]
	v_dual_add_nc_u32 v1, v58, v44 :: v_dual_add_nc_u32 v6, v59, v45
	v_dual_add_nc_u32 v7, v60, v46 :: v_dual_add_nc_u32 v10, v61, v48
	v_add_nc_u32_e32 v11, v62, v50
	v_and_b32_e32 v63, 0xffff, v63
	v_and_b32_e32 v66, 0xffff, v66
	;; [unrolled: 1-line block ×4, first 2 shown]
	ds_store_b8 v1, v30 offset:128
	ds_store_b8 v6, v32 offset:128
	;; [unrolled: 1-line block ×5, first 2 shown]
	v_mov_b32_e32 v7, 0
	v_and_b32_e32 v64, 0xffff, v64
	v_and_b32_e32 v53, 0xffff, v53
	;; [unrolled: 1-line block ×4, first 2 shown]
	v_dual_add_nc_u32 v6, v63, v52 :: v_dual_add_nc_u32 v12, v66, v57
	v_dual_mov_b32 v1, v7 :: v_dual_lshlrev_b32 v5, 3, v0
	s_delay_alu instid0(VALU_DEP_3)
	v_dual_add_nc_u32 v10, v64, v53 :: v_dual_add_nc_u32 v11, v65, v55
	s_not_b32 s3, s12
	ds_store_b8 v6, v37 offset:128
	ds_store_b8 v10, v8 offset:128
	ds_store_b8 v11, v42 offset:128
	ds_store_b8 v12, v9 offset:128
	s_and_saveexec_b32 s4, s2
	s_cbranch_execz .LBB382_133
; %bb.124:
	v_lshl_add_u32 v6, s19, 4, v0
	v_dual_mov_b32 v10, 0 :: v_dual_bitop2_b32 v11, 2.0, v4 bitop3:0x54
	s_mov_b32 s5, 0
	s_mov_b32 s6, s19
	s_delay_alu instid0(VALU_DEP_2)
	v_lshl_add_u64 v[8:9], v[6:7], 2, s[20:21]
	global_store_b32 v6, v11, s[20:21] scale_offset scope:SCOPE_DEV
                                        ; implicit-def: $sgpr2
	s_branch .LBB382_127
.LBB382_125:                            ;   in Loop: Header=BB382_127 Depth=1
	s_or_b32 exec_lo, exec_lo, s12
.LBB382_126:                            ;   in Loop: Header=BB382_127 Depth=1
	s_delay_alu instid0(SALU_CYCLE_1) | instskip(SKIP_2) | instid1(VALU_DEP_2)
	s_or_b32 exec_lo, exec_lo, s7
	v_and_b32_e32 v6, 0x3fffffff, v11
	v_cmp_gt_i32_e64 s2, -2.0, v11
	v_add_nc_u32_e32 v10, v6, v10
	s_and_b32 s7, exec_lo, s2
	s_delay_alu instid0(SALU_CYCLE_1) | instskip(NEXT) | instid1(SALU_CYCLE_1)
	s_or_b32 s5, s7, s5
	s_and_not1_b32 exec_lo, exec_lo, s5
	s_cbranch_execz .LBB382_132
.LBB382_127:                            ; =>This Loop Header: Depth=1
                                        ;     Child Loop BB382_130 Depth 2
	s_or_b32 s2, s2, exec_lo
	s_cmp_eq_u32 s6, 0
	s_cbranch_scc1 .LBB382_131
; %bb.128:                              ;   in Loop: Header=BB382_127 Depth=1
	s_add_co_i32 s6, s6, -1
	s_mov_b32 s7, exec_lo
	s_wait_xcnt 0x0
	v_lshl_or_b32 v6, s6, 4, v0
	global_load_b32 v11, v6, s[20:21] scale_offset scope:SCOPE_DEV
	s_wait_loadcnt 0x0
	v_cmpx_gt_u32_e32 2.0, v11
	s_cbranch_execz .LBB382_126
; %bb.129:                              ;   in Loop: Header=BB382_127 Depth=1
	v_lshl_add_u64 v[12:13], v[6:7], 2, s[20:21]
	s_mov_b32 s12, 0
.LBB382_130:                            ;   Parent Loop BB382_127 Depth=1
                                        ; =>  This Inner Loop Header: Depth=2
	global_load_b32 v11, v[12:13], off scope:SCOPE_DEV
	s_wait_loadcnt 0x0
	v_cmp_lt_u32_e64 s2, 0x3fffffff, v11
	s_or_b32 s12, s2, s12
	s_wait_xcnt 0x0
	s_and_not1_b32 exec_lo, exec_lo, s12
	s_cbranch_execnz .LBB382_130
	s_branch .LBB382_125
.LBB382_131:                            ;   in Loop: Header=BB382_127 Depth=1
                                        ; implicit-def: $sgpr6
	s_and_b32 s7, exec_lo, s2
	s_delay_alu instid0(SALU_CYCLE_1)
	s_or_b32 s5, s7, s5
	s_wait_xcnt 0x0
	s_and_not1_b32 exec_lo, exec_lo, s5
	s_cbranch_execnz .LBB382_127
.LBB382_132:
	s_or_b32 exec_lo, exec_lo, s5
	v_dual_mov_b32 v11, 0 :: v_dual_add_nc_u32 v6, v10, v4
	s_delay_alu instid0(VALU_DEP_1) | instskip(SKIP_4) | instid1(VALU_DEP_1)
	v_or_b32_e32 v6, 0x80000000, v6
	global_store_b32 v[8:9], v6, off scope:SCOPE_DEV
	global_load_b64 v[6:7], v0, s[8:9] scale_offset
	v_sub_nc_u64_e32 v[8:9], v[10:11], v[2:3]
	s_wait_loadcnt 0x0
	v_add_nc_u64_e32 v[6:7], v[8:9], v[6:7]
	ds_store_b64 v5, v[6:7]
.LBB382_133:
	s_wait_xcnt 0x0
	s_or_b32 exec_lo, exec_lo, s4
	s_wait_storecnt_dscnt 0x0
	s_barrier_signal -1
	s_barrier_wait -1
	ds_load_u8 v26, v0 offset:20608
	ds_load_u8 v27, v0 offset:21632
	;; [unrolled: 1-line block ×22, first 2 shown]
	s_wait_dscnt 0xf
	v_and_b32_e32 v12, 0xff, v10
	v_xor_b32_e32 v45, 0x7f, v10
	s_wait_dscnt 0xe
	v_and_b32_e32 v10, 0xff, v30
	s_wait_dscnt 0xd
	v_and_b32_e32 v18, 0xff, v31
	v_and_b32_e32 v6, 0xff, v26
	;; [unrolled: 1-line block ×5, first 2 shown]
	v_dual_lshrrev_b32 v12, s16, v12 :: v_dual_lshrrev_b32 v10, s16, v10
	s_delay_alu instid0(VALU_DEP_4) | instskip(NEXT) | instid1(VALU_DEP_3)
	v_dual_lshrrev_b32 v6, s16, v6 :: v_dual_lshrrev_b32 v7, s16, v7
	v_dual_lshrrev_b32 v13, s16, v13 :: v_dual_lshrrev_b32 v11, s16, v11
	s_delay_alu instid0(VALU_DEP_3) | instskip(NEXT) | instid1(VALU_DEP_4)
	v_and_b32_e32 v10, s3, v10
	v_and_b32_e32 v12, s3, v12
	s_delay_alu instid0(VALU_DEP_4) | instskip(SKIP_4) | instid1(VALU_DEP_4)
	v_and_b32_e32 v7, s3, v7
	v_and_b32_e32 v6, s3, v6
	;; [unrolled: 1-line block ×4, first 2 shown]
	v_xor_b32_e32 v24, 0x7f, v8
	v_dual_lshlrev_b32 v9, 3, v7 :: v_dual_lshlrev_b32 v6, 3, v6
	s_delay_alu instid0(VALU_DEP_3)
	v_dual_lshlrev_b32 v14, 3, v11 :: v_dual_lshlrev_b32 v13, 3, v13
	ds_load_b64 v[6:7], v6
	ds_load_b64 v[8:9], v9
	v_dual_lshlrev_b32 v16, 3, v10 :: v_dual_lshlrev_b32 v15, 3, v12
	ds_load_b64 v[10:11], v13
	ds_load_b64 v[12:13], v14
	s_wait_dscnt 0x10
	v_and_b32_e32 v19, 0xff, v32
	s_wait_dscnt 0xf
	v_and_b32_e32 v21, 0xff, v33
	;; [unrolled: 2-line block ×3, first 2 shown]
	v_lshrrev_b32_e32 v18, s16, v18
	ds_load_b64 v[14:15], v15
	ds_load_b64 v[16:17], v16
	v_lshrrev_b32_e32 v19, s16, v19
	s_wait_dscnt 0xf
	v_and_b32_e32 v23, 0xff, v35
	s_wait_dscnt 0xe
	v_and_b32_e32 v25, 0xff, v36
	v_dual_lshrrev_b32 v21, s16, v21 :: v_dual_lshrrev_b32 v22, s16, v22
	v_and_b32_e32 v19, s3, v19
	v_and_b32_e32 v18, s3, v18
	s_wait_dscnt 0xd
	v_and_b32_e32 v46, 0xff, v37
	v_dual_lshrrev_b32 v23, s16, v23 :: v_dual_lshrrev_b32 v25, s16, v25
	v_and_b32_e32 v48, s3, v22
	v_dual_lshlrev_b32 v22, 3, v19 :: v_dual_bitop2_b32 v21, s3, v21 bitop3:0x40
	v_lshlrev_b32_e32 v18, 3, v18
	s_wait_dscnt 0x3
	v_add_nc_u64_e32 v[10:11], s[14:15], v[10:11]
	s_wait_dscnt 0x2
	v_add_nc_u64_e32 v[12:13], s[14:15], v[12:13]
	v_dual_lshrrev_b32 v46, s16, v46 :: v_dual_bitop2_b32 v25, s3, v25 bitop3:0x40
	v_dual_lshlrev_b32 v23, 3, v21 :: v_dual_bitop2_b32 v49, s3, v23 bitop3:0x40
	ds_load_b64 v[18:19], v18
	v_add_nc_u64_e32 v[10:11], v[10:11], v[0:1]
	v_add_nc_u64_e32 v[12:13], v[12:13], v[0:1]
	v_xor_b32_e32 v50, 0x7f, v20
	ds_load_b64 v[20:21], v22
	ds_load_b64 v[22:23], v23
	v_and_b32_e32 v47, 0xff, v38
	s_wait_dscnt 0x4
	v_add_nc_u64_e32 v[14:15], s[14:15], v[14:15]
	s_wait_dscnt 0x3
	v_add_nc_u64_e32 v[16:17], s[14:15], v[16:17]
	s_clause 0x1
	global_store_b8 v[10:11], v50, off
	global_store_b8 v[12:13], v24, off offset:1024
	s_wait_xcnt 0x0
	v_dual_lshlrev_b32 v10, 3, v48 :: v_dual_lshlrev_b32 v24, 3, v25
	v_dual_lshlrev_b32 v12, 3, v49 :: v_dual_lshrrev_b32 v47, s16, v47
	v_add_nc_u64_e32 v[14:15], v[14:15], v[0:1]
	ds_load_b64 v[10:11], v10
	ds_load_b64 v[12:13], v12
	ds_load_b64 v[24:25], v24
	v_and_b32_e32 v46, s3, v46
	v_and_b32_e32 v47, s3, v47
	v_add_nc_u64_e32 v[16:17], v[16:17], v[0:1]
	v_xor_b32_e32 v30, 0x7f, v30
	global_store_b8 v[14:15], v45, off offset:2048
	s_wait_xcnt 0x0
	v_lshlrev_b32_e32 v45, 3, v46
	s_wait_dscnt 0x5
	v_add_nc_u64_e32 v[14:15], s[14:15], v[18:19]
	v_lshlrev_b32_e32 v46, 3, v47
	s_wait_dscnt 0x3
	v_add_nc_u64_e32 v[18:19], s[14:15], v[22:23]
	global_store_b8 v[16:17], v30, off offset:3072
	s_wait_xcnt 0x0
	v_add_nc_u64_e32 v[16:17], s[14:15], v[20:21]
	ds_load_b64 v[20:21], v45
	ds_load_b64 v[22:23], v46
	v_xor_b32_e32 v30, 0x7f, v31
	v_add_nc_u64_e32 v[14:15], v[14:15], v[0:1]
	v_xor_b32_e32 v31, 0x7f, v32
	v_add_nc_u64_e32 v[18:19], v[18:19], v[0:1]
	v_xor_b32_e32 v32, 0x7f, v33
	s_wait_dscnt 0x4
	v_add_nc_u64_e32 v[10:11], s[14:15], v[10:11]
	s_wait_dscnt 0x3
	v_add_nc_u64_e32 v[12:13], s[14:15], v[12:13]
	v_add_nc_u64_e32 v[16:17], v[16:17], v[0:1]
	global_store_b8 v[14:15], v30, off offset:4096
	s_wait_dscnt 0x2
	s_wait_xcnt 0x0
	v_add_nc_u64_e32 v[14:15], s[14:15], v[24:25]
	s_clause 0x1
	global_store_b8 v[16:17], v31, off offset:5120
	global_store_b8 v[18:19], v32, off offset:6144
	v_add_nc_u64_e32 v[10:11], v[10:11], v[0:1]
	v_add_nc_u64_e32 v[14:15], v[14:15], v[0:1]
	;; [unrolled: 1-line block ×3, first 2 shown]
	v_xor_b32_e32 v24, 0x7f, v34
	v_xor_b32_e32 v30, 0x7f, v36
	s_wait_dscnt 0x1
	s_wait_xcnt 0x1
	v_add_nc_u64_e32 v[16:17], s[14:15], v[20:21]
	v_and_b32_e32 v20, 0xff, v39
	v_xor_b32_e32 v25, 0x7f, v35
	s_clause 0x2
	global_store_b8 v[10:11], v24, off offset:7168
	global_store_b8 v[12:13], v25, off offset:8192
	global_store_b8 v[14:15], v30, off offset:9216
	s_wait_xcnt 0x0
	v_lshrrev_b32_e32 v14, s16, v20
	v_and_b32_e32 v15, 0xff, v40
	s_wait_dscnt 0x0
	v_add_nc_u64_e32 v[18:19], s[14:15], v[22:23]
	v_add_nc_u64_e32 v[10:11], v[16:17], v[0:1]
	v_and_b32_e32 v16, 0xff, v41
	v_and_b32_e32 v17, 0xff, v42
	v_dual_lshrrev_b32 v15, s16, v15 :: v_dual_bitop2_b32 v14, s3, v14 bitop3:0x40
	v_and_b32_e32 v23, 0xff, v44
	v_add_nc_u64_e32 v[12:13], v[18:19], v[0:1]
	v_and_b32_e32 v18, 0xff, v43
	v_dual_lshrrev_b32 v16, s16, v16 :: v_dual_lshrrev_b32 v17, s16, v17
	v_dual_lshlrev_b32 v14, 3, v14 :: v_dual_bitop2_b32 v19, s3, v15 bitop3:0x40
	s_delay_alu instid0(VALU_DEP_2)
	v_dual_lshrrev_b32 v18, s16, v18 :: v_dual_bitop2_b32 v16, s3, v16 bitop3:0x40
	v_and_b32_e32 v25, 0xff, v28
	ds_load_b64 v[14:15], v14
	v_dual_lshlrev_b32 v19, 3, v19 :: v_dual_bitop2_b32 v17, s3, v17 bitop3:0x40
	v_dual_lshlrev_b32 v20, 3, v16 :: v_dual_bitop2_b32 v18, s3, v18 bitop3:0x40
	v_and_b32_e32 v30, 0xff, v29
	v_xor_b32_e32 v24, 0x7f, v37
	s_delay_alu instid0(VALU_DEP_4) | instskip(NEXT) | instid1(VALU_DEP_4)
	v_dual_lshlrev_b32 v21, 3, v17 :: v_dual_lshrrev_b32 v31, s16, v23
	v_lshlrev_b32_e32 v22, 3, v18
	ds_load_b64 v[16:17], v19
	ds_load_b64 v[18:19], v20
	;; [unrolled: 1-line block ×3, first 2 shown]
	v_dual_lshrrev_b32 v25, s16, v25 :: v_dual_lshrrev_b32 v30, s16, v30
	v_xor_b32_e32 v32, 0x7f, v38
	global_store_b8 v[10:11], v24, off offset:10240
	ds_load_b64 v[22:23], v22
	s_wait_xcnt 0x0
	v_and_b32_e32 v10, s3, v25
	v_and_b32_e32 v31, s3, v31
	global_store_b8 v[12:13], v32, off offset:11264
	s_wait_xcnt 0x0
	v_and_b32_e32 v12, s3, v30
	v_xor_b32_e32 v30, 0x7f, v39
	v_dual_lshlrev_b32 v24, 3, v10 :: v_dual_lshlrev_b32 v13, 3, v31
	s_wait_dscnt 0x4
	v_add_nc_u64_e32 v[10:11], s[14:15], v[14:15]
	v_lshlrev_b32_e32 v25, 3, v12
	v_xor_b32_e32 v31, 0x7f, v40
	v_xor_b32_e32 v32, 0x7f, v41
	;; [unrolled: 1-line block ×3, first 2 shown]
	s_wait_dscnt 0x3
	v_add_nc_u64_e32 v[14:15], s[14:15], v[16:17]
	ds_load_b64 v[16:17], v24
	ds_load_b64 v[12:13], v13
	;; [unrolled: 1-line block ×3, first 2 shown]
	s_wait_dscnt 0x5
	v_add_nc_u64_e32 v[18:19], s[14:15], v[18:19]
	s_wait_dscnt 0x4
	v_add_nc_u64_e32 v[20:21], s[14:15], v[20:21]
	v_add_nc_u64_e32 v[10:11], v[10:11], v[0:1]
	;; [unrolled: 1-line block ×3, first 2 shown]
	s_wait_dscnt 0x3
	v_add_nc_u64_e32 v[22:23], s[14:15], v[22:23]
	v_add_nc_u64_e32 v[6:7], s[14:15], v[6:7]
	;; [unrolled: 1-line block ×5, first 2 shown]
	s_clause 0x3
	global_store_b8 v[10:11], v30, off offset:12288
	global_store_b8 v[14:15], v31, off offset:13312
	;; [unrolled: 1-line block ×4, first 2 shown]
	v_add_nc_u64_e32 v[22:23], v[22:23], v[0:1]
	s_wait_xcnt 0x3
	v_xor_b32_e32 v30, 0x7f, v43
	v_add_nc_u64_e32 v[6:7], v[6:7], v[0:1]
	s_wait_xcnt 0x1
	v_xor_b32_e32 v18, 0x7f, v29
	s_wait_dscnt 0x1
	v_add_nc_u64_e32 v[10:11], s[14:15], v[12:13]
	v_add_nc_u64_e32 v[12:13], s[14:15], v[16:17]
	s_wait_dscnt 0x0
	v_add_nc_u64_e32 v[14:15], s[14:15], v[24:25]
	v_xor_b32_e32 v16, 0x7f, v44
	v_xor_b32_e32 v17, 0x7f, v28
	v_add_nc_u64_e32 v[8:9], v[8:9], v[0:1]
	v_xor_b32_e32 v19, 0x7f, v27
	v_add_nc_u64_e32 v[10:11], v[10:11], v[0:1]
	v_add_nc_u64_e32 v[12:13], v[12:13], v[0:1]
	v_add_nc_u64_e32 v[14:15], v[14:15], v[0:1]
	v_xor_b32_e32 v1, 0x7f, v26
	s_clause 0x5
	global_store_b8 v[22:23], v30, off offset:16384
	global_store_b8 v[10:11], v16, off offset:17408
	;; [unrolled: 1-line block ×6, first 2 shown]
	s_load_b32 s0, s[0:1], 0x58
	s_wait_kmcnt 0x0
	s_add_co_i32 s0, s0, -1
	s_delay_alu instid0(SALU_CYCLE_1) | instskip(SKIP_2) | instid1(SALU_CYCLE_1)
	s_cmp_eq_u32 s19, s0
	s_cselect_b32 s0, -1, 0
	s_xor_b32 s1, vcc_lo, -1
	s_and_b32 s0, s1, s0
	s_delay_alu instid0(SALU_CYCLE_1)
	s_and_saveexec_b32 s1, s0
	s_cbranch_execz .LBB382_135
; %bb.134:
	ds_load_b64 v[6:7], v5
	v_mov_b32_e32 v5, 0
	s_delay_alu instid0(VALU_DEP_1) | instskip(SKIP_1) | instid1(VALU_DEP_1)
	v_add_nc_u64_e32 v[2:3], v[2:3], v[4:5]
	s_wait_dscnt 0x0
	v_add_nc_u64_e32 v[2:3], v[2:3], v[6:7]
	global_store_b64 v0, v[2:3], s[10:11] scale_offset
.LBB382_135:
	s_sendmsg sendmsg(MSG_DEALLOC_VGPRS)
	s_endpgm
	.section	.rodata,"a",@progbits
	.p2align	6, 0x0
	.amdhsa_kernel _ZN7rocprim17ROCPRIM_400000_NS6detail17trampoline_kernelINS0_14default_configENS1_35radix_sort_onesweep_config_selectorIaNS0_10empty_typeEEEZZNS1_29radix_sort_onesweep_iterationIS3_Lb1EPKaPaPS5_SB_mNS0_19identity_decomposerENS1_16block_id_wrapperIjLb0EEEEE10hipError_tT1_PNSt15iterator_traitsISG_E10value_typeET2_T3_PNSH_ISM_E10value_typeET4_T5_PSR_SS_PNS1_23onesweep_lookback_stateEbbT6_jjT7_P12ihipStream_tbENKUlT_T0_SG_SL_E_clISA_SA_SB_SB_EEDaSZ_S10_SG_SL_EUlSZ_E_NS1_11comp_targetILNS1_3genE0ELNS1_11target_archE4294967295ELNS1_3gpuE0ELNS1_3repE0EEENS1_47radix_sort_onesweep_sort_config_static_selectorELNS0_4arch9wavefront6targetE0EEEvSG_
		.amdhsa_group_segment_fixed_size 32904
		.amdhsa_private_segment_fixed_size 0
		.amdhsa_kernarg_size 344
		.amdhsa_user_sgpr_count 2
		.amdhsa_user_sgpr_dispatch_ptr 0
		.amdhsa_user_sgpr_queue_ptr 0
		.amdhsa_user_sgpr_kernarg_segment_ptr 1
		.amdhsa_user_sgpr_dispatch_id 0
		.amdhsa_user_sgpr_kernarg_preload_length 0
		.amdhsa_user_sgpr_kernarg_preload_offset 0
		.amdhsa_user_sgpr_private_segment_size 0
		.amdhsa_wavefront_size32 1
		.amdhsa_uses_dynamic_stack 0
		.amdhsa_enable_private_segment 0
		.amdhsa_system_sgpr_workgroup_id_x 1
		.amdhsa_system_sgpr_workgroup_id_y 0
		.amdhsa_system_sgpr_workgroup_id_z 0
		.amdhsa_system_sgpr_workgroup_info 0
		.amdhsa_system_vgpr_workitem_id 0
		.amdhsa_next_free_vgpr 79
		.amdhsa_next_free_sgpr 25
		.amdhsa_named_barrier_count 0
		.amdhsa_reserve_vcc 1
		.amdhsa_float_round_mode_32 0
		.amdhsa_float_round_mode_16_64 0
		.amdhsa_float_denorm_mode_32 3
		.amdhsa_float_denorm_mode_16_64 3
		.amdhsa_fp16_overflow 0
		.amdhsa_memory_ordered 1
		.amdhsa_forward_progress 1
		.amdhsa_inst_pref_size 116
		.amdhsa_round_robin_scheduling 0
		.amdhsa_exception_fp_ieee_invalid_op 0
		.amdhsa_exception_fp_denorm_src 0
		.amdhsa_exception_fp_ieee_div_zero 0
		.amdhsa_exception_fp_ieee_overflow 0
		.amdhsa_exception_fp_ieee_underflow 0
		.amdhsa_exception_fp_ieee_inexact 0
		.amdhsa_exception_int_div_zero 0
	.end_amdhsa_kernel
	.section	.text._ZN7rocprim17ROCPRIM_400000_NS6detail17trampoline_kernelINS0_14default_configENS1_35radix_sort_onesweep_config_selectorIaNS0_10empty_typeEEEZZNS1_29radix_sort_onesweep_iterationIS3_Lb1EPKaPaPS5_SB_mNS0_19identity_decomposerENS1_16block_id_wrapperIjLb0EEEEE10hipError_tT1_PNSt15iterator_traitsISG_E10value_typeET2_T3_PNSH_ISM_E10value_typeET4_T5_PSR_SS_PNS1_23onesweep_lookback_stateEbbT6_jjT7_P12ihipStream_tbENKUlT_T0_SG_SL_E_clISA_SA_SB_SB_EEDaSZ_S10_SG_SL_EUlSZ_E_NS1_11comp_targetILNS1_3genE0ELNS1_11target_archE4294967295ELNS1_3gpuE0ELNS1_3repE0EEENS1_47radix_sort_onesweep_sort_config_static_selectorELNS0_4arch9wavefront6targetE0EEEvSG_,"axG",@progbits,_ZN7rocprim17ROCPRIM_400000_NS6detail17trampoline_kernelINS0_14default_configENS1_35radix_sort_onesweep_config_selectorIaNS0_10empty_typeEEEZZNS1_29radix_sort_onesweep_iterationIS3_Lb1EPKaPaPS5_SB_mNS0_19identity_decomposerENS1_16block_id_wrapperIjLb0EEEEE10hipError_tT1_PNSt15iterator_traitsISG_E10value_typeET2_T3_PNSH_ISM_E10value_typeET4_T5_PSR_SS_PNS1_23onesweep_lookback_stateEbbT6_jjT7_P12ihipStream_tbENKUlT_T0_SG_SL_E_clISA_SA_SB_SB_EEDaSZ_S10_SG_SL_EUlSZ_E_NS1_11comp_targetILNS1_3genE0ELNS1_11target_archE4294967295ELNS1_3gpuE0ELNS1_3repE0EEENS1_47radix_sort_onesweep_sort_config_static_selectorELNS0_4arch9wavefront6targetE0EEEvSG_,comdat
.Lfunc_end382:
	.size	_ZN7rocprim17ROCPRIM_400000_NS6detail17trampoline_kernelINS0_14default_configENS1_35radix_sort_onesweep_config_selectorIaNS0_10empty_typeEEEZZNS1_29radix_sort_onesweep_iterationIS3_Lb1EPKaPaPS5_SB_mNS0_19identity_decomposerENS1_16block_id_wrapperIjLb0EEEEE10hipError_tT1_PNSt15iterator_traitsISG_E10value_typeET2_T3_PNSH_ISM_E10value_typeET4_T5_PSR_SS_PNS1_23onesweep_lookback_stateEbbT6_jjT7_P12ihipStream_tbENKUlT_T0_SG_SL_E_clISA_SA_SB_SB_EEDaSZ_S10_SG_SL_EUlSZ_E_NS1_11comp_targetILNS1_3genE0ELNS1_11target_archE4294967295ELNS1_3gpuE0ELNS1_3repE0EEENS1_47radix_sort_onesweep_sort_config_static_selectorELNS0_4arch9wavefront6targetE0EEEvSG_, .Lfunc_end382-_ZN7rocprim17ROCPRIM_400000_NS6detail17trampoline_kernelINS0_14default_configENS1_35radix_sort_onesweep_config_selectorIaNS0_10empty_typeEEEZZNS1_29radix_sort_onesweep_iterationIS3_Lb1EPKaPaPS5_SB_mNS0_19identity_decomposerENS1_16block_id_wrapperIjLb0EEEEE10hipError_tT1_PNSt15iterator_traitsISG_E10value_typeET2_T3_PNSH_ISM_E10value_typeET4_T5_PSR_SS_PNS1_23onesweep_lookback_stateEbbT6_jjT7_P12ihipStream_tbENKUlT_T0_SG_SL_E_clISA_SA_SB_SB_EEDaSZ_S10_SG_SL_EUlSZ_E_NS1_11comp_targetILNS1_3genE0ELNS1_11target_archE4294967295ELNS1_3gpuE0ELNS1_3repE0EEENS1_47radix_sort_onesweep_sort_config_static_selectorELNS0_4arch9wavefront6targetE0EEEvSG_
                                        ; -- End function
	.set _ZN7rocprim17ROCPRIM_400000_NS6detail17trampoline_kernelINS0_14default_configENS1_35radix_sort_onesweep_config_selectorIaNS0_10empty_typeEEEZZNS1_29radix_sort_onesweep_iterationIS3_Lb1EPKaPaPS5_SB_mNS0_19identity_decomposerENS1_16block_id_wrapperIjLb0EEEEE10hipError_tT1_PNSt15iterator_traitsISG_E10value_typeET2_T3_PNSH_ISM_E10value_typeET4_T5_PSR_SS_PNS1_23onesweep_lookback_stateEbbT6_jjT7_P12ihipStream_tbENKUlT_T0_SG_SL_E_clISA_SA_SB_SB_EEDaSZ_S10_SG_SL_EUlSZ_E_NS1_11comp_targetILNS1_3genE0ELNS1_11target_archE4294967295ELNS1_3gpuE0ELNS1_3repE0EEENS1_47radix_sort_onesweep_sort_config_static_selectorELNS0_4arch9wavefront6targetE0EEEvSG_.num_vgpr, 79
	.set _ZN7rocprim17ROCPRIM_400000_NS6detail17trampoline_kernelINS0_14default_configENS1_35radix_sort_onesweep_config_selectorIaNS0_10empty_typeEEEZZNS1_29radix_sort_onesweep_iterationIS3_Lb1EPKaPaPS5_SB_mNS0_19identity_decomposerENS1_16block_id_wrapperIjLb0EEEEE10hipError_tT1_PNSt15iterator_traitsISG_E10value_typeET2_T3_PNSH_ISM_E10value_typeET4_T5_PSR_SS_PNS1_23onesweep_lookback_stateEbbT6_jjT7_P12ihipStream_tbENKUlT_T0_SG_SL_E_clISA_SA_SB_SB_EEDaSZ_S10_SG_SL_EUlSZ_E_NS1_11comp_targetILNS1_3genE0ELNS1_11target_archE4294967295ELNS1_3gpuE0ELNS1_3repE0EEENS1_47radix_sort_onesweep_sort_config_static_selectorELNS0_4arch9wavefront6targetE0EEEvSG_.num_agpr, 0
	.set _ZN7rocprim17ROCPRIM_400000_NS6detail17trampoline_kernelINS0_14default_configENS1_35radix_sort_onesweep_config_selectorIaNS0_10empty_typeEEEZZNS1_29radix_sort_onesweep_iterationIS3_Lb1EPKaPaPS5_SB_mNS0_19identity_decomposerENS1_16block_id_wrapperIjLb0EEEEE10hipError_tT1_PNSt15iterator_traitsISG_E10value_typeET2_T3_PNSH_ISM_E10value_typeET4_T5_PSR_SS_PNS1_23onesweep_lookback_stateEbbT6_jjT7_P12ihipStream_tbENKUlT_T0_SG_SL_E_clISA_SA_SB_SB_EEDaSZ_S10_SG_SL_EUlSZ_E_NS1_11comp_targetILNS1_3genE0ELNS1_11target_archE4294967295ELNS1_3gpuE0ELNS1_3repE0EEENS1_47radix_sort_onesweep_sort_config_static_selectorELNS0_4arch9wavefront6targetE0EEEvSG_.numbered_sgpr, 25
	.set _ZN7rocprim17ROCPRIM_400000_NS6detail17trampoline_kernelINS0_14default_configENS1_35radix_sort_onesweep_config_selectorIaNS0_10empty_typeEEEZZNS1_29radix_sort_onesweep_iterationIS3_Lb1EPKaPaPS5_SB_mNS0_19identity_decomposerENS1_16block_id_wrapperIjLb0EEEEE10hipError_tT1_PNSt15iterator_traitsISG_E10value_typeET2_T3_PNSH_ISM_E10value_typeET4_T5_PSR_SS_PNS1_23onesweep_lookback_stateEbbT6_jjT7_P12ihipStream_tbENKUlT_T0_SG_SL_E_clISA_SA_SB_SB_EEDaSZ_S10_SG_SL_EUlSZ_E_NS1_11comp_targetILNS1_3genE0ELNS1_11target_archE4294967295ELNS1_3gpuE0ELNS1_3repE0EEENS1_47radix_sort_onesweep_sort_config_static_selectorELNS0_4arch9wavefront6targetE0EEEvSG_.num_named_barrier, 0
	.set _ZN7rocprim17ROCPRIM_400000_NS6detail17trampoline_kernelINS0_14default_configENS1_35radix_sort_onesweep_config_selectorIaNS0_10empty_typeEEEZZNS1_29radix_sort_onesweep_iterationIS3_Lb1EPKaPaPS5_SB_mNS0_19identity_decomposerENS1_16block_id_wrapperIjLb0EEEEE10hipError_tT1_PNSt15iterator_traitsISG_E10value_typeET2_T3_PNSH_ISM_E10value_typeET4_T5_PSR_SS_PNS1_23onesweep_lookback_stateEbbT6_jjT7_P12ihipStream_tbENKUlT_T0_SG_SL_E_clISA_SA_SB_SB_EEDaSZ_S10_SG_SL_EUlSZ_E_NS1_11comp_targetILNS1_3genE0ELNS1_11target_archE4294967295ELNS1_3gpuE0ELNS1_3repE0EEENS1_47radix_sort_onesweep_sort_config_static_selectorELNS0_4arch9wavefront6targetE0EEEvSG_.private_seg_size, 0
	.set _ZN7rocprim17ROCPRIM_400000_NS6detail17trampoline_kernelINS0_14default_configENS1_35radix_sort_onesweep_config_selectorIaNS0_10empty_typeEEEZZNS1_29radix_sort_onesweep_iterationIS3_Lb1EPKaPaPS5_SB_mNS0_19identity_decomposerENS1_16block_id_wrapperIjLb0EEEEE10hipError_tT1_PNSt15iterator_traitsISG_E10value_typeET2_T3_PNSH_ISM_E10value_typeET4_T5_PSR_SS_PNS1_23onesweep_lookback_stateEbbT6_jjT7_P12ihipStream_tbENKUlT_T0_SG_SL_E_clISA_SA_SB_SB_EEDaSZ_S10_SG_SL_EUlSZ_E_NS1_11comp_targetILNS1_3genE0ELNS1_11target_archE4294967295ELNS1_3gpuE0ELNS1_3repE0EEENS1_47radix_sort_onesweep_sort_config_static_selectorELNS0_4arch9wavefront6targetE0EEEvSG_.uses_vcc, 1
	.set _ZN7rocprim17ROCPRIM_400000_NS6detail17trampoline_kernelINS0_14default_configENS1_35radix_sort_onesweep_config_selectorIaNS0_10empty_typeEEEZZNS1_29radix_sort_onesweep_iterationIS3_Lb1EPKaPaPS5_SB_mNS0_19identity_decomposerENS1_16block_id_wrapperIjLb0EEEEE10hipError_tT1_PNSt15iterator_traitsISG_E10value_typeET2_T3_PNSH_ISM_E10value_typeET4_T5_PSR_SS_PNS1_23onesweep_lookback_stateEbbT6_jjT7_P12ihipStream_tbENKUlT_T0_SG_SL_E_clISA_SA_SB_SB_EEDaSZ_S10_SG_SL_EUlSZ_E_NS1_11comp_targetILNS1_3genE0ELNS1_11target_archE4294967295ELNS1_3gpuE0ELNS1_3repE0EEENS1_47radix_sort_onesweep_sort_config_static_selectorELNS0_4arch9wavefront6targetE0EEEvSG_.uses_flat_scratch, 0
	.set _ZN7rocprim17ROCPRIM_400000_NS6detail17trampoline_kernelINS0_14default_configENS1_35radix_sort_onesweep_config_selectorIaNS0_10empty_typeEEEZZNS1_29radix_sort_onesweep_iterationIS3_Lb1EPKaPaPS5_SB_mNS0_19identity_decomposerENS1_16block_id_wrapperIjLb0EEEEE10hipError_tT1_PNSt15iterator_traitsISG_E10value_typeET2_T3_PNSH_ISM_E10value_typeET4_T5_PSR_SS_PNS1_23onesweep_lookback_stateEbbT6_jjT7_P12ihipStream_tbENKUlT_T0_SG_SL_E_clISA_SA_SB_SB_EEDaSZ_S10_SG_SL_EUlSZ_E_NS1_11comp_targetILNS1_3genE0ELNS1_11target_archE4294967295ELNS1_3gpuE0ELNS1_3repE0EEENS1_47radix_sort_onesweep_sort_config_static_selectorELNS0_4arch9wavefront6targetE0EEEvSG_.has_dyn_sized_stack, 0
	.set _ZN7rocprim17ROCPRIM_400000_NS6detail17trampoline_kernelINS0_14default_configENS1_35radix_sort_onesweep_config_selectorIaNS0_10empty_typeEEEZZNS1_29radix_sort_onesweep_iterationIS3_Lb1EPKaPaPS5_SB_mNS0_19identity_decomposerENS1_16block_id_wrapperIjLb0EEEEE10hipError_tT1_PNSt15iterator_traitsISG_E10value_typeET2_T3_PNSH_ISM_E10value_typeET4_T5_PSR_SS_PNS1_23onesweep_lookback_stateEbbT6_jjT7_P12ihipStream_tbENKUlT_T0_SG_SL_E_clISA_SA_SB_SB_EEDaSZ_S10_SG_SL_EUlSZ_E_NS1_11comp_targetILNS1_3genE0ELNS1_11target_archE4294967295ELNS1_3gpuE0ELNS1_3repE0EEENS1_47radix_sort_onesweep_sort_config_static_selectorELNS0_4arch9wavefront6targetE0EEEvSG_.has_recursion, 0
	.set _ZN7rocprim17ROCPRIM_400000_NS6detail17trampoline_kernelINS0_14default_configENS1_35radix_sort_onesweep_config_selectorIaNS0_10empty_typeEEEZZNS1_29radix_sort_onesweep_iterationIS3_Lb1EPKaPaPS5_SB_mNS0_19identity_decomposerENS1_16block_id_wrapperIjLb0EEEEE10hipError_tT1_PNSt15iterator_traitsISG_E10value_typeET2_T3_PNSH_ISM_E10value_typeET4_T5_PSR_SS_PNS1_23onesweep_lookback_stateEbbT6_jjT7_P12ihipStream_tbENKUlT_T0_SG_SL_E_clISA_SA_SB_SB_EEDaSZ_S10_SG_SL_EUlSZ_E_NS1_11comp_targetILNS1_3genE0ELNS1_11target_archE4294967295ELNS1_3gpuE0ELNS1_3repE0EEENS1_47radix_sort_onesweep_sort_config_static_selectorELNS0_4arch9wavefront6targetE0EEEvSG_.has_indirect_call, 0
	.section	.AMDGPU.csdata,"",@progbits
; Kernel info:
; codeLenInByte = 14784
; TotalNumSgprs: 27
; NumVgprs: 79
; ScratchSize: 0
; MemoryBound: 0
; FloatMode: 240
; IeeeMode: 1
; LDSByteSize: 32904 bytes/workgroup (compile time only)
; SGPRBlocks: 0
; VGPRBlocks: 4
; NumSGPRsForWavesPerEU: 27
; NumVGPRsForWavesPerEU: 79
; NamedBarCnt: 0
; Occupancy: 12
; WaveLimiterHint : 0
; COMPUTE_PGM_RSRC2:SCRATCH_EN: 0
; COMPUTE_PGM_RSRC2:USER_SGPR: 2
; COMPUTE_PGM_RSRC2:TRAP_HANDLER: 0
; COMPUTE_PGM_RSRC2:TGID_X_EN: 1
; COMPUTE_PGM_RSRC2:TGID_Y_EN: 0
; COMPUTE_PGM_RSRC2:TGID_Z_EN: 0
; COMPUTE_PGM_RSRC2:TIDIG_COMP_CNT: 0
	.section	.text._ZN7rocprim17ROCPRIM_400000_NS6detail17trampoline_kernelINS0_14default_configENS1_35radix_sort_onesweep_config_selectorIaNS0_10empty_typeEEEZZNS1_29radix_sort_onesweep_iterationIS3_Lb1EPKaPaPS5_SB_mNS0_19identity_decomposerENS1_16block_id_wrapperIjLb0EEEEE10hipError_tT1_PNSt15iterator_traitsISG_E10value_typeET2_T3_PNSH_ISM_E10value_typeET4_T5_PSR_SS_PNS1_23onesweep_lookback_stateEbbT6_jjT7_P12ihipStream_tbENKUlT_T0_SG_SL_E_clISA_SA_SB_SB_EEDaSZ_S10_SG_SL_EUlSZ_E_NS1_11comp_targetILNS1_3genE6ELNS1_11target_archE950ELNS1_3gpuE13ELNS1_3repE0EEENS1_47radix_sort_onesweep_sort_config_static_selectorELNS0_4arch9wavefront6targetE0EEEvSG_,"axG",@progbits,_ZN7rocprim17ROCPRIM_400000_NS6detail17trampoline_kernelINS0_14default_configENS1_35radix_sort_onesweep_config_selectorIaNS0_10empty_typeEEEZZNS1_29radix_sort_onesweep_iterationIS3_Lb1EPKaPaPS5_SB_mNS0_19identity_decomposerENS1_16block_id_wrapperIjLb0EEEEE10hipError_tT1_PNSt15iterator_traitsISG_E10value_typeET2_T3_PNSH_ISM_E10value_typeET4_T5_PSR_SS_PNS1_23onesweep_lookback_stateEbbT6_jjT7_P12ihipStream_tbENKUlT_T0_SG_SL_E_clISA_SA_SB_SB_EEDaSZ_S10_SG_SL_EUlSZ_E_NS1_11comp_targetILNS1_3genE6ELNS1_11target_archE950ELNS1_3gpuE13ELNS1_3repE0EEENS1_47radix_sort_onesweep_sort_config_static_selectorELNS0_4arch9wavefront6targetE0EEEvSG_,comdat
	.protected	_ZN7rocprim17ROCPRIM_400000_NS6detail17trampoline_kernelINS0_14default_configENS1_35radix_sort_onesweep_config_selectorIaNS0_10empty_typeEEEZZNS1_29radix_sort_onesweep_iterationIS3_Lb1EPKaPaPS5_SB_mNS0_19identity_decomposerENS1_16block_id_wrapperIjLb0EEEEE10hipError_tT1_PNSt15iterator_traitsISG_E10value_typeET2_T3_PNSH_ISM_E10value_typeET4_T5_PSR_SS_PNS1_23onesweep_lookback_stateEbbT6_jjT7_P12ihipStream_tbENKUlT_T0_SG_SL_E_clISA_SA_SB_SB_EEDaSZ_S10_SG_SL_EUlSZ_E_NS1_11comp_targetILNS1_3genE6ELNS1_11target_archE950ELNS1_3gpuE13ELNS1_3repE0EEENS1_47radix_sort_onesweep_sort_config_static_selectorELNS0_4arch9wavefront6targetE0EEEvSG_ ; -- Begin function _ZN7rocprim17ROCPRIM_400000_NS6detail17trampoline_kernelINS0_14default_configENS1_35radix_sort_onesweep_config_selectorIaNS0_10empty_typeEEEZZNS1_29radix_sort_onesweep_iterationIS3_Lb1EPKaPaPS5_SB_mNS0_19identity_decomposerENS1_16block_id_wrapperIjLb0EEEEE10hipError_tT1_PNSt15iterator_traitsISG_E10value_typeET2_T3_PNSH_ISM_E10value_typeET4_T5_PSR_SS_PNS1_23onesweep_lookback_stateEbbT6_jjT7_P12ihipStream_tbENKUlT_T0_SG_SL_E_clISA_SA_SB_SB_EEDaSZ_S10_SG_SL_EUlSZ_E_NS1_11comp_targetILNS1_3genE6ELNS1_11target_archE950ELNS1_3gpuE13ELNS1_3repE0EEENS1_47radix_sort_onesweep_sort_config_static_selectorELNS0_4arch9wavefront6targetE0EEEvSG_
	.globl	_ZN7rocprim17ROCPRIM_400000_NS6detail17trampoline_kernelINS0_14default_configENS1_35radix_sort_onesweep_config_selectorIaNS0_10empty_typeEEEZZNS1_29radix_sort_onesweep_iterationIS3_Lb1EPKaPaPS5_SB_mNS0_19identity_decomposerENS1_16block_id_wrapperIjLb0EEEEE10hipError_tT1_PNSt15iterator_traitsISG_E10value_typeET2_T3_PNSH_ISM_E10value_typeET4_T5_PSR_SS_PNS1_23onesweep_lookback_stateEbbT6_jjT7_P12ihipStream_tbENKUlT_T0_SG_SL_E_clISA_SA_SB_SB_EEDaSZ_S10_SG_SL_EUlSZ_E_NS1_11comp_targetILNS1_3genE6ELNS1_11target_archE950ELNS1_3gpuE13ELNS1_3repE0EEENS1_47radix_sort_onesweep_sort_config_static_selectorELNS0_4arch9wavefront6targetE0EEEvSG_
	.p2align	8
	.type	_ZN7rocprim17ROCPRIM_400000_NS6detail17trampoline_kernelINS0_14default_configENS1_35radix_sort_onesweep_config_selectorIaNS0_10empty_typeEEEZZNS1_29radix_sort_onesweep_iterationIS3_Lb1EPKaPaPS5_SB_mNS0_19identity_decomposerENS1_16block_id_wrapperIjLb0EEEEE10hipError_tT1_PNSt15iterator_traitsISG_E10value_typeET2_T3_PNSH_ISM_E10value_typeET4_T5_PSR_SS_PNS1_23onesweep_lookback_stateEbbT6_jjT7_P12ihipStream_tbENKUlT_T0_SG_SL_E_clISA_SA_SB_SB_EEDaSZ_S10_SG_SL_EUlSZ_E_NS1_11comp_targetILNS1_3genE6ELNS1_11target_archE950ELNS1_3gpuE13ELNS1_3repE0EEENS1_47radix_sort_onesweep_sort_config_static_selectorELNS0_4arch9wavefront6targetE0EEEvSG_,@function
_ZN7rocprim17ROCPRIM_400000_NS6detail17trampoline_kernelINS0_14default_configENS1_35radix_sort_onesweep_config_selectorIaNS0_10empty_typeEEEZZNS1_29radix_sort_onesweep_iterationIS3_Lb1EPKaPaPS5_SB_mNS0_19identity_decomposerENS1_16block_id_wrapperIjLb0EEEEE10hipError_tT1_PNSt15iterator_traitsISG_E10value_typeET2_T3_PNSH_ISM_E10value_typeET4_T5_PSR_SS_PNS1_23onesweep_lookback_stateEbbT6_jjT7_P12ihipStream_tbENKUlT_T0_SG_SL_E_clISA_SA_SB_SB_EEDaSZ_S10_SG_SL_EUlSZ_E_NS1_11comp_targetILNS1_3genE6ELNS1_11target_archE950ELNS1_3gpuE13ELNS1_3repE0EEENS1_47radix_sort_onesweep_sort_config_static_selectorELNS0_4arch9wavefront6targetE0EEEvSG_: ; @_ZN7rocprim17ROCPRIM_400000_NS6detail17trampoline_kernelINS0_14default_configENS1_35radix_sort_onesweep_config_selectorIaNS0_10empty_typeEEEZZNS1_29radix_sort_onesweep_iterationIS3_Lb1EPKaPaPS5_SB_mNS0_19identity_decomposerENS1_16block_id_wrapperIjLb0EEEEE10hipError_tT1_PNSt15iterator_traitsISG_E10value_typeET2_T3_PNSH_ISM_E10value_typeET4_T5_PSR_SS_PNS1_23onesweep_lookback_stateEbbT6_jjT7_P12ihipStream_tbENKUlT_T0_SG_SL_E_clISA_SA_SB_SB_EEDaSZ_S10_SG_SL_EUlSZ_E_NS1_11comp_targetILNS1_3genE6ELNS1_11target_archE950ELNS1_3gpuE13ELNS1_3repE0EEENS1_47radix_sort_onesweep_sort_config_static_selectorELNS0_4arch9wavefront6targetE0EEEvSG_
; %bb.0:
	.section	.rodata,"a",@progbits
	.p2align	6, 0x0
	.amdhsa_kernel _ZN7rocprim17ROCPRIM_400000_NS6detail17trampoline_kernelINS0_14default_configENS1_35radix_sort_onesweep_config_selectorIaNS0_10empty_typeEEEZZNS1_29radix_sort_onesweep_iterationIS3_Lb1EPKaPaPS5_SB_mNS0_19identity_decomposerENS1_16block_id_wrapperIjLb0EEEEE10hipError_tT1_PNSt15iterator_traitsISG_E10value_typeET2_T3_PNSH_ISM_E10value_typeET4_T5_PSR_SS_PNS1_23onesweep_lookback_stateEbbT6_jjT7_P12ihipStream_tbENKUlT_T0_SG_SL_E_clISA_SA_SB_SB_EEDaSZ_S10_SG_SL_EUlSZ_E_NS1_11comp_targetILNS1_3genE6ELNS1_11target_archE950ELNS1_3gpuE13ELNS1_3repE0EEENS1_47radix_sort_onesweep_sort_config_static_selectorELNS0_4arch9wavefront6targetE0EEEvSG_
		.amdhsa_group_segment_fixed_size 0
		.amdhsa_private_segment_fixed_size 0
		.amdhsa_kernarg_size 88
		.amdhsa_user_sgpr_count 2
		.amdhsa_user_sgpr_dispatch_ptr 0
		.amdhsa_user_sgpr_queue_ptr 0
		.amdhsa_user_sgpr_kernarg_segment_ptr 1
		.amdhsa_user_sgpr_dispatch_id 0
		.amdhsa_user_sgpr_kernarg_preload_length 0
		.amdhsa_user_sgpr_kernarg_preload_offset 0
		.amdhsa_user_sgpr_private_segment_size 0
		.amdhsa_wavefront_size32 1
		.amdhsa_uses_dynamic_stack 0
		.amdhsa_enable_private_segment 0
		.amdhsa_system_sgpr_workgroup_id_x 1
		.amdhsa_system_sgpr_workgroup_id_y 0
		.amdhsa_system_sgpr_workgroup_id_z 0
		.amdhsa_system_sgpr_workgroup_info 0
		.amdhsa_system_vgpr_workitem_id 0
		.amdhsa_next_free_vgpr 1
		.amdhsa_next_free_sgpr 1
		.amdhsa_named_barrier_count 0
		.amdhsa_reserve_vcc 0
		.amdhsa_float_round_mode_32 0
		.amdhsa_float_round_mode_16_64 0
		.amdhsa_float_denorm_mode_32 3
		.amdhsa_float_denorm_mode_16_64 3
		.amdhsa_fp16_overflow 0
		.amdhsa_memory_ordered 1
		.amdhsa_forward_progress 1
		.amdhsa_inst_pref_size 0
		.amdhsa_round_robin_scheduling 0
		.amdhsa_exception_fp_ieee_invalid_op 0
		.amdhsa_exception_fp_denorm_src 0
		.amdhsa_exception_fp_ieee_div_zero 0
		.amdhsa_exception_fp_ieee_overflow 0
		.amdhsa_exception_fp_ieee_underflow 0
		.amdhsa_exception_fp_ieee_inexact 0
		.amdhsa_exception_int_div_zero 0
	.end_amdhsa_kernel
	.section	.text._ZN7rocprim17ROCPRIM_400000_NS6detail17trampoline_kernelINS0_14default_configENS1_35radix_sort_onesweep_config_selectorIaNS0_10empty_typeEEEZZNS1_29radix_sort_onesweep_iterationIS3_Lb1EPKaPaPS5_SB_mNS0_19identity_decomposerENS1_16block_id_wrapperIjLb0EEEEE10hipError_tT1_PNSt15iterator_traitsISG_E10value_typeET2_T3_PNSH_ISM_E10value_typeET4_T5_PSR_SS_PNS1_23onesweep_lookback_stateEbbT6_jjT7_P12ihipStream_tbENKUlT_T0_SG_SL_E_clISA_SA_SB_SB_EEDaSZ_S10_SG_SL_EUlSZ_E_NS1_11comp_targetILNS1_3genE6ELNS1_11target_archE950ELNS1_3gpuE13ELNS1_3repE0EEENS1_47radix_sort_onesweep_sort_config_static_selectorELNS0_4arch9wavefront6targetE0EEEvSG_,"axG",@progbits,_ZN7rocprim17ROCPRIM_400000_NS6detail17trampoline_kernelINS0_14default_configENS1_35radix_sort_onesweep_config_selectorIaNS0_10empty_typeEEEZZNS1_29radix_sort_onesweep_iterationIS3_Lb1EPKaPaPS5_SB_mNS0_19identity_decomposerENS1_16block_id_wrapperIjLb0EEEEE10hipError_tT1_PNSt15iterator_traitsISG_E10value_typeET2_T3_PNSH_ISM_E10value_typeET4_T5_PSR_SS_PNS1_23onesweep_lookback_stateEbbT6_jjT7_P12ihipStream_tbENKUlT_T0_SG_SL_E_clISA_SA_SB_SB_EEDaSZ_S10_SG_SL_EUlSZ_E_NS1_11comp_targetILNS1_3genE6ELNS1_11target_archE950ELNS1_3gpuE13ELNS1_3repE0EEENS1_47radix_sort_onesweep_sort_config_static_selectorELNS0_4arch9wavefront6targetE0EEEvSG_,comdat
.Lfunc_end383:
	.size	_ZN7rocprim17ROCPRIM_400000_NS6detail17trampoline_kernelINS0_14default_configENS1_35radix_sort_onesweep_config_selectorIaNS0_10empty_typeEEEZZNS1_29radix_sort_onesweep_iterationIS3_Lb1EPKaPaPS5_SB_mNS0_19identity_decomposerENS1_16block_id_wrapperIjLb0EEEEE10hipError_tT1_PNSt15iterator_traitsISG_E10value_typeET2_T3_PNSH_ISM_E10value_typeET4_T5_PSR_SS_PNS1_23onesweep_lookback_stateEbbT6_jjT7_P12ihipStream_tbENKUlT_T0_SG_SL_E_clISA_SA_SB_SB_EEDaSZ_S10_SG_SL_EUlSZ_E_NS1_11comp_targetILNS1_3genE6ELNS1_11target_archE950ELNS1_3gpuE13ELNS1_3repE0EEENS1_47radix_sort_onesweep_sort_config_static_selectorELNS0_4arch9wavefront6targetE0EEEvSG_, .Lfunc_end383-_ZN7rocprim17ROCPRIM_400000_NS6detail17trampoline_kernelINS0_14default_configENS1_35radix_sort_onesweep_config_selectorIaNS0_10empty_typeEEEZZNS1_29radix_sort_onesweep_iterationIS3_Lb1EPKaPaPS5_SB_mNS0_19identity_decomposerENS1_16block_id_wrapperIjLb0EEEEE10hipError_tT1_PNSt15iterator_traitsISG_E10value_typeET2_T3_PNSH_ISM_E10value_typeET4_T5_PSR_SS_PNS1_23onesweep_lookback_stateEbbT6_jjT7_P12ihipStream_tbENKUlT_T0_SG_SL_E_clISA_SA_SB_SB_EEDaSZ_S10_SG_SL_EUlSZ_E_NS1_11comp_targetILNS1_3genE6ELNS1_11target_archE950ELNS1_3gpuE13ELNS1_3repE0EEENS1_47radix_sort_onesweep_sort_config_static_selectorELNS0_4arch9wavefront6targetE0EEEvSG_
                                        ; -- End function
	.set _ZN7rocprim17ROCPRIM_400000_NS6detail17trampoline_kernelINS0_14default_configENS1_35radix_sort_onesweep_config_selectorIaNS0_10empty_typeEEEZZNS1_29radix_sort_onesweep_iterationIS3_Lb1EPKaPaPS5_SB_mNS0_19identity_decomposerENS1_16block_id_wrapperIjLb0EEEEE10hipError_tT1_PNSt15iterator_traitsISG_E10value_typeET2_T3_PNSH_ISM_E10value_typeET4_T5_PSR_SS_PNS1_23onesweep_lookback_stateEbbT6_jjT7_P12ihipStream_tbENKUlT_T0_SG_SL_E_clISA_SA_SB_SB_EEDaSZ_S10_SG_SL_EUlSZ_E_NS1_11comp_targetILNS1_3genE6ELNS1_11target_archE950ELNS1_3gpuE13ELNS1_3repE0EEENS1_47radix_sort_onesweep_sort_config_static_selectorELNS0_4arch9wavefront6targetE0EEEvSG_.num_vgpr, 0
	.set _ZN7rocprim17ROCPRIM_400000_NS6detail17trampoline_kernelINS0_14default_configENS1_35radix_sort_onesweep_config_selectorIaNS0_10empty_typeEEEZZNS1_29radix_sort_onesweep_iterationIS3_Lb1EPKaPaPS5_SB_mNS0_19identity_decomposerENS1_16block_id_wrapperIjLb0EEEEE10hipError_tT1_PNSt15iterator_traitsISG_E10value_typeET2_T3_PNSH_ISM_E10value_typeET4_T5_PSR_SS_PNS1_23onesweep_lookback_stateEbbT6_jjT7_P12ihipStream_tbENKUlT_T0_SG_SL_E_clISA_SA_SB_SB_EEDaSZ_S10_SG_SL_EUlSZ_E_NS1_11comp_targetILNS1_3genE6ELNS1_11target_archE950ELNS1_3gpuE13ELNS1_3repE0EEENS1_47radix_sort_onesweep_sort_config_static_selectorELNS0_4arch9wavefront6targetE0EEEvSG_.num_agpr, 0
	.set _ZN7rocprim17ROCPRIM_400000_NS6detail17trampoline_kernelINS0_14default_configENS1_35radix_sort_onesweep_config_selectorIaNS0_10empty_typeEEEZZNS1_29radix_sort_onesweep_iterationIS3_Lb1EPKaPaPS5_SB_mNS0_19identity_decomposerENS1_16block_id_wrapperIjLb0EEEEE10hipError_tT1_PNSt15iterator_traitsISG_E10value_typeET2_T3_PNSH_ISM_E10value_typeET4_T5_PSR_SS_PNS1_23onesweep_lookback_stateEbbT6_jjT7_P12ihipStream_tbENKUlT_T0_SG_SL_E_clISA_SA_SB_SB_EEDaSZ_S10_SG_SL_EUlSZ_E_NS1_11comp_targetILNS1_3genE6ELNS1_11target_archE950ELNS1_3gpuE13ELNS1_3repE0EEENS1_47radix_sort_onesweep_sort_config_static_selectorELNS0_4arch9wavefront6targetE0EEEvSG_.numbered_sgpr, 0
	.set _ZN7rocprim17ROCPRIM_400000_NS6detail17trampoline_kernelINS0_14default_configENS1_35radix_sort_onesweep_config_selectorIaNS0_10empty_typeEEEZZNS1_29radix_sort_onesweep_iterationIS3_Lb1EPKaPaPS5_SB_mNS0_19identity_decomposerENS1_16block_id_wrapperIjLb0EEEEE10hipError_tT1_PNSt15iterator_traitsISG_E10value_typeET2_T3_PNSH_ISM_E10value_typeET4_T5_PSR_SS_PNS1_23onesweep_lookback_stateEbbT6_jjT7_P12ihipStream_tbENKUlT_T0_SG_SL_E_clISA_SA_SB_SB_EEDaSZ_S10_SG_SL_EUlSZ_E_NS1_11comp_targetILNS1_3genE6ELNS1_11target_archE950ELNS1_3gpuE13ELNS1_3repE0EEENS1_47radix_sort_onesweep_sort_config_static_selectorELNS0_4arch9wavefront6targetE0EEEvSG_.num_named_barrier, 0
	.set _ZN7rocprim17ROCPRIM_400000_NS6detail17trampoline_kernelINS0_14default_configENS1_35radix_sort_onesweep_config_selectorIaNS0_10empty_typeEEEZZNS1_29radix_sort_onesweep_iterationIS3_Lb1EPKaPaPS5_SB_mNS0_19identity_decomposerENS1_16block_id_wrapperIjLb0EEEEE10hipError_tT1_PNSt15iterator_traitsISG_E10value_typeET2_T3_PNSH_ISM_E10value_typeET4_T5_PSR_SS_PNS1_23onesweep_lookback_stateEbbT6_jjT7_P12ihipStream_tbENKUlT_T0_SG_SL_E_clISA_SA_SB_SB_EEDaSZ_S10_SG_SL_EUlSZ_E_NS1_11comp_targetILNS1_3genE6ELNS1_11target_archE950ELNS1_3gpuE13ELNS1_3repE0EEENS1_47radix_sort_onesweep_sort_config_static_selectorELNS0_4arch9wavefront6targetE0EEEvSG_.private_seg_size, 0
	.set _ZN7rocprim17ROCPRIM_400000_NS6detail17trampoline_kernelINS0_14default_configENS1_35radix_sort_onesweep_config_selectorIaNS0_10empty_typeEEEZZNS1_29radix_sort_onesweep_iterationIS3_Lb1EPKaPaPS5_SB_mNS0_19identity_decomposerENS1_16block_id_wrapperIjLb0EEEEE10hipError_tT1_PNSt15iterator_traitsISG_E10value_typeET2_T3_PNSH_ISM_E10value_typeET4_T5_PSR_SS_PNS1_23onesweep_lookback_stateEbbT6_jjT7_P12ihipStream_tbENKUlT_T0_SG_SL_E_clISA_SA_SB_SB_EEDaSZ_S10_SG_SL_EUlSZ_E_NS1_11comp_targetILNS1_3genE6ELNS1_11target_archE950ELNS1_3gpuE13ELNS1_3repE0EEENS1_47radix_sort_onesweep_sort_config_static_selectorELNS0_4arch9wavefront6targetE0EEEvSG_.uses_vcc, 0
	.set _ZN7rocprim17ROCPRIM_400000_NS6detail17trampoline_kernelINS0_14default_configENS1_35radix_sort_onesweep_config_selectorIaNS0_10empty_typeEEEZZNS1_29radix_sort_onesweep_iterationIS3_Lb1EPKaPaPS5_SB_mNS0_19identity_decomposerENS1_16block_id_wrapperIjLb0EEEEE10hipError_tT1_PNSt15iterator_traitsISG_E10value_typeET2_T3_PNSH_ISM_E10value_typeET4_T5_PSR_SS_PNS1_23onesweep_lookback_stateEbbT6_jjT7_P12ihipStream_tbENKUlT_T0_SG_SL_E_clISA_SA_SB_SB_EEDaSZ_S10_SG_SL_EUlSZ_E_NS1_11comp_targetILNS1_3genE6ELNS1_11target_archE950ELNS1_3gpuE13ELNS1_3repE0EEENS1_47radix_sort_onesweep_sort_config_static_selectorELNS0_4arch9wavefront6targetE0EEEvSG_.uses_flat_scratch, 0
	.set _ZN7rocprim17ROCPRIM_400000_NS6detail17trampoline_kernelINS0_14default_configENS1_35radix_sort_onesweep_config_selectorIaNS0_10empty_typeEEEZZNS1_29radix_sort_onesweep_iterationIS3_Lb1EPKaPaPS5_SB_mNS0_19identity_decomposerENS1_16block_id_wrapperIjLb0EEEEE10hipError_tT1_PNSt15iterator_traitsISG_E10value_typeET2_T3_PNSH_ISM_E10value_typeET4_T5_PSR_SS_PNS1_23onesweep_lookback_stateEbbT6_jjT7_P12ihipStream_tbENKUlT_T0_SG_SL_E_clISA_SA_SB_SB_EEDaSZ_S10_SG_SL_EUlSZ_E_NS1_11comp_targetILNS1_3genE6ELNS1_11target_archE950ELNS1_3gpuE13ELNS1_3repE0EEENS1_47radix_sort_onesweep_sort_config_static_selectorELNS0_4arch9wavefront6targetE0EEEvSG_.has_dyn_sized_stack, 0
	.set _ZN7rocprim17ROCPRIM_400000_NS6detail17trampoline_kernelINS0_14default_configENS1_35radix_sort_onesweep_config_selectorIaNS0_10empty_typeEEEZZNS1_29radix_sort_onesweep_iterationIS3_Lb1EPKaPaPS5_SB_mNS0_19identity_decomposerENS1_16block_id_wrapperIjLb0EEEEE10hipError_tT1_PNSt15iterator_traitsISG_E10value_typeET2_T3_PNSH_ISM_E10value_typeET4_T5_PSR_SS_PNS1_23onesweep_lookback_stateEbbT6_jjT7_P12ihipStream_tbENKUlT_T0_SG_SL_E_clISA_SA_SB_SB_EEDaSZ_S10_SG_SL_EUlSZ_E_NS1_11comp_targetILNS1_3genE6ELNS1_11target_archE950ELNS1_3gpuE13ELNS1_3repE0EEENS1_47radix_sort_onesweep_sort_config_static_selectorELNS0_4arch9wavefront6targetE0EEEvSG_.has_recursion, 0
	.set _ZN7rocprim17ROCPRIM_400000_NS6detail17trampoline_kernelINS0_14default_configENS1_35radix_sort_onesweep_config_selectorIaNS0_10empty_typeEEEZZNS1_29radix_sort_onesweep_iterationIS3_Lb1EPKaPaPS5_SB_mNS0_19identity_decomposerENS1_16block_id_wrapperIjLb0EEEEE10hipError_tT1_PNSt15iterator_traitsISG_E10value_typeET2_T3_PNSH_ISM_E10value_typeET4_T5_PSR_SS_PNS1_23onesweep_lookback_stateEbbT6_jjT7_P12ihipStream_tbENKUlT_T0_SG_SL_E_clISA_SA_SB_SB_EEDaSZ_S10_SG_SL_EUlSZ_E_NS1_11comp_targetILNS1_3genE6ELNS1_11target_archE950ELNS1_3gpuE13ELNS1_3repE0EEENS1_47radix_sort_onesweep_sort_config_static_selectorELNS0_4arch9wavefront6targetE0EEEvSG_.has_indirect_call, 0
	.section	.AMDGPU.csdata,"",@progbits
; Kernel info:
; codeLenInByte = 0
; TotalNumSgprs: 0
; NumVgprs: 0
; ScratchSize: 0
; MemoryBound: 0
; FloatMode: 240
; IeeeMode: 1
; LDSByteSize: 0 bytes/workgroup (compile time only)
; SGPRBlocks: 0
; VGPRBlocks: 0
; NumSGPRsForWavesPerEU: 1
; NumVGPRsForWavesPerEU: 1
; NamedBarCnt: 0
; Occupancy: 16
; WaveLimiterHint : 0
; COMPUTE_PGM_RSRC2:SCRATCH_EN: 0
; COMPUTE_PGM_RSRC2:USER_SGPR: 2
; COMPUTE_PGM_RSRC2:TRAP_HANDLER: 0
; COMPUTE_PGM_RSRC2:TGID_X_EN: 1
; COMPUTE_PGM_RSRC2:TGID_Y_EN: 0
; COMPUTE_PGM_RSRC2:TGID_Z_EN: 0
; COMPUTE_PGM_RSRC2:TIDIG_COMP_CNT: 0
	.section	.text._ZN7rocprim17ROCPRIM_400000_NS6detail17trampoline_kernelINS0_14default_configENS1_35radix_sort_onesweep_config_selectorIaNS0_10empty_typeEEEZZNS1_29radix_sort_onesweep_iterationIS3_Lb1EPKaPaPS5_SB_mNS0_19identity_decomposerENS1_16block_id_wrapperIjLb0EEEEE10hipError_tT1_PNSt15iterator_traitsISG_E10value_typeET2_T3_PNSH_ISM_E10value_typeET4_T5_PSR_SS_PNS1_23onesweep_lookback_stateEbbT6_jjT7_P12ihipStream_tbENKUlT_T0_SG_SL_E_clISA_SA_SB_SB_EEDaSZ_S10_SG_SL_EUlSZ_E_NS1_11comp_targetILNS1_3genE5ELNS1_11target_archE942ELNS1_3gpuE9ELNS1_3repE0EEENS1_47radix_sort_onesweep_sort_config_static_selectorELNS0_4arch9wavefront6targetE0EEEvSG_,"axG",@progbits,_ZN7rocprim17ROCPRIM_400000_NS6detail17trampoline_kernelINS0_14default_configENS1_35radix_sort_onesweep_config_selectorIaNS0_10empty_typeEEEZZNS1_29radix_sort_onesweep_iterationIS3_Lb1EPKaPaPS5_SB_mNS0_19identity_decomposerENS1_16block_id_wrapperIjLb0EEEEE10hipError_tT1_PNSt15iterator_traitsISG_E10value_typeET2_T3_PNSH_ISM_E10value_typeET4_T5_PSR_SS_PNS1_23onesweep_lookback_stateEbbT6_jjT7_P12ihipStream_tbENKUlT_T0_SG_SL_E_clISA_SA_SB_SB_EEDaSZ_S10_SG_SL_EUlSZ_E_NS1_11comp_targetILNS1_3genE5ELNS1_11target_archE942ELNS1_3gpuE9ELNS1_3repE0EEENS1_47radix_sort_onesweep_sort_config_static_selectorELNS0_4arch9wavefront6targetE0EEEvSG_,comdat
	.protected	_ZN7rocprim17ROCPRIM_400000_NS6detail17trampoline_kernelINS0_14default_configENS1_35radix_sort_onesweep_config_selectorIaNS0_10empty_typeEEEZZNS1_29radix_sort_onesweep_iterationIS3_Lb1EPKaPaPS5_SB_mNS0_19identity_decomposerENS1_16block_id_wrapperIjLb0EEEEE10hipError_tT1_PNSt15iterator_traitsISG_E10value_typeET2_T3_PNSH_ISM_E10value_typeET4_T5_PSR_SS_PNS1_23onesweep_lookback_stateEbbT6_jjT7_P12ihipStream_tbENKUlT_T0_SG_SL_E_clISA_SA_SB_SB_EEDaSZ_S10_SG_SL_EUlSZ_E_NS1_11comp_targetILNS1_3genE5ELNS1_11target_archE942ELNS1_3gpuE9ELNS1_3repE0EEENS1_47radix_sort_onesweep_sort_config_static_selectorELNS0_4arch9wavefront6targetE0EEEvSG_ ; -- Begin function _ZN7rocprim17ROCPRIM_400000_NS6detail17trampoline_kernelINS0_14default_configENS1_35radix_sort_onesweep_config_selectorIaNS0_10empty_typeEEEZZNS1_29radix_sort_onesweep_iterationIS3_Lb1EPKaPaPS5_SB_mNS0_19identity_decomposerENS1_16block_id_wrapperIjLb0EEEEE10hipError_tT1_PNSt15iterator_traitsISG_E10value_typeET2_T3_PNSH_ISM_E10value_typeET4_T5_PSR_SS_PNS1_23onesweep_lookback_stateEbbT6_jjT7_P12ihipStream_tbENKUlT_T0_SG_SL_E_clISA_SA_SB_SB_EEDaSZ_S10_SG_SL_EUlSZ_E_NS1_11comp_targetILNS1_3genE5ELNS1_11target_archE942ELNS1_3gpuE9ELNS1_3repE0EEENS1_47radix_sort_onesweep_sort_config_static_selectorELNS0_4arch9wavefront6targetE0EEEvSG_
	.globl	_ZN7rocprim17ROCPRIM_400000_NS6detail17trampoline_kernelINS0_14default_configENS1_35radix_sort_onesweep_config_selectorIaNS0_10empty_typeEEEZZNS1_29radix_sort_onesweep_iterationIS3_Lb1EPKaPaPS5_SB_mNS0_19identity_decomposerENS1_16block_id_wrapperIjLb0EEEEE10hipError_tT1_PNSt15iterator_traitsISG_E10value_typeET2_T3_PNSH_ISM_E10value_typeET4_T5_PSR_SS_PNS1_23onesweep_lookback_stateEbbT6_jjT7_P12ihipStream_tbENKUlT_T0_SG_SL_E_clISA_SA_SB_SB_EEDaSZ_S10_SG_SL_EUlSZ_E_NS1_11comp_targetILNS1_3genE5ELNS1_11target_archE942ELNS1_3gpuE9ELNS1_3repE0EEENS1_47radix_sort_onesweep_sort_config_static_selectorELNS0_4arch9wavefront6targetE0EEEvSG_
	.p2align	8
	.type	_ZN7rocprim17ROCPRIM_400000_NS6detail17trampoline_kernelINS0_14default_configENS1_35radix_sort_onesweep_config_selectorIaNS0_10empty_typeEEEZZNS1_29radix_sort_onesweep_iterationIS3_Lb1EPKaPaPS5_SB_mNS0_19identity_decomposerENS1_16block_id_wrapperIjLb0EEEEE10hipError_tT1_PNSt15iterator_traitsISG_E10value_typeET2_T3_PNSH_ISM_E10value_typeET4_T5_PSR_SS_PNS1_23onesweep_lookback_stateEbbT6_jjT7_P12ihipStream_tbENKUlT_T0_SG_SL_E_clISA_SA_SB_SB_EEDaSZ_S10_SG_SL_EUlSZ_E_NS1_11comp_targetILNS1_3genE5ELNS1_11target_archE942ELNS1_3gpuE9ELNS1_3repE0EEENS1_47radix_sort_onesweep_sort_config_static_selectorELNS0_4arch9wavefront6targetE0EEEvSG_,@function
_ZN7rocprim17ROCPRIM_400000_NS6detail17trampoline_kernelINS0_14default_configENS1_35radix_sort_onesweep_config_selectorIaNS0_10empty_typeEEEZZNS1_29radix_sort_onesweep_iterationIS3_Lb1EPKaPaPS5_SB_mNS0_19identity_decomposerENS1_16block_id_wrapperIjLb0EEEEE10hipError_tT1_PNSt15iterator_traitsISG_E10value_typeET2_T3_PNSH_ISM_E10value_typeET4_T5_PSR_SS_PNS1_23onesweep_lookback_stateEbbT6_jjT7_P12ihipStream_tbENKUlT_T0_SG_SL_E_clISA_SA_SB_SB_EEDaSZ_S10_SG_SL_EUlSZ_E_NS1_11comp_targetILNS1_3genE5ELNS1_11target_archE942ELNS1_3gpuE9ELNS1_3repE0EEENS1_47radix_sort_onesweep_sort_config_static_selectorELNS0_4arch9wavefront6targetE0EEEvSG_: ; @_ZN7rocprim17ROCPRIM_400000_NS6detail17trampoline_kernelINS0_14default_configENS1_35radix_sort_onesweep_config_selectorIaNS0_10empty_typeEEEZZNS1_29radix_sort_onesweep_iterationIS3_Lb1EPKaPaPS5_SB_mNS0_19identity_decomposerENS1_16block_id_wrapperIjLb0EEEEE10hipError_tT1_PNSt15iterator_traitsISG_E10value_typeET2_T3_PNSH_ISM_E10value_typeET4_T5_PSR_SS_PNS1_23onesweep_lookback_stateEbbT6_jjT7_P12ihipStream_tbENKUlT_T0_SG_SL_E_clISA_SA_SB_SB_EEDaSZ_S10_SG_SL_EUlSZ_E_NS1_11comp_targetILNS1_3genE5ELNS1_11target_archE942ELNS1_3gpuE9ELNS1_3repE0EEENS1_47radix_sort_onesweep_sort_config_static_selectorELNS0_4arch9wavefront6targetE0EEEvSG_
; %bb.0:
	.section	.rodata,"a",@progbits
	.p2align	6, 0x0
	.amdhsa_kernel _ZN7rocprim17ROCPRIM_400000_NS6detail17trampoline_kernelINS0_14default_configENS1_35radix_sort_onesweep_config_selectorIaNS0_10empty_typeEEEZZNS1_29radix_sort_onesweep_iterationIS3_Lb1EPKaPaPS5_SB_mNS0_19identity_decomposerENS1_16block_id_wrapperIjLb0EEEEE10hipError_tT1_PNSt15iterator_traitsISG_E10value_typeET2_T3_PNSH_ISM_E10value_typeET4_T5_PSR_SS_PNS1_23onesweep_lookback_stateEbbT6_jjT7_P12ihipStream_tbENKUlT_T0_SG_SL_E_clISA_SA_SB_SB_EEDaSZ_S10_SG_SL_EUlSZ_E_NS1_11comp_targetILNS1_3genE5ELNS1_11target_archE942ELNS1_3gpuE9ELNS1_3repE0EEENS1_47radix_sort_onesweep_sort_config_static_selectorELNS0_4arch9wavefront6targetE0EEEvSG_
		.amdhsa_group_segment_fixed_size 0
		.amdhsa_private_segment_fixed_size 0
		.amdhsa_kernarg_size 88
		.amdhsa_user_sgpr_count 2
		.amdhsa_user_sgpr_dispatch_ptr 0
		.amdhsa_user_sgpr_queue_ptr 0
		.amdhsa_user_sgpr_kernarg_segment_ptr 1
		.amdhsa_user_sgpr_dispatch_id 0
		.amdhsa_user_sgpr_kernarg_preload_length 0
		.amdhsa_user_sgpr_kernarg_preload_offset 0
		.amdhsa_user_sgpr_private_segment_size 0
		.amdhsa_wavefront_size32 1
		.amdhsa_uses_dynamic_stack 0
		.amdhsa_enable_private_segment 0
		.amdhsa_system_sgpr_workgroup_id_x 1
		.amdhsa_system_sgpr_workgroup_id_y 0
		.amdhsa_system_sgpr_workgroup_id_z 0
		.amdhsa_system_sgpr_workgroup_info 0
		.amdhsa_system_vgpr_workitem_id 0
		.amdhsa_next_free_vgpr 1
		.amdhsa_next_free_sgpr 1
		.amdhsa_named_barrier_count 0
		.amdhsa_reserve_vcc 0
		.amdhsa_float_round_mode_32 0
		.amdhsa_float_round_mode_16_64 0
		.amdhsa_float_denorm_mode_32 3
		.amdhsa_float_denorm_mode_16_64 3
		.amdhsa_fp16_overflow 0
		.amdhsa_memory_ordered 1
		.amdhsa_forward_progress 1
		.amdhsa_inst_pref_size 0
		.amdhsa_round_robin_scheduling 0
		.amdhsa_exception_fp_ieee_invalid_op 0
		.amdhsa_exception_fp_denorm_src 0
		.amdhsa_exception_fp_ieee_div_zero 0
		.amdhsa_exception_fp_ieee_overflow 0
		.amdhsa_exception_fp_ieee_underflow 0
		.amdhsa_exception_fp_ieee_inexact 0
		.amdhsa_exception_int_div_zero 0
	.end_amdhsa_kernel
	.section	.text._ZN7rocprim17ROCPRIM_400000_NS6detail17trampoline_kernelINS0_14default_configENS1_35radix_sort_onesweep_config_selectorIaNS0_10empty_typeEEEZZNS1_29radix_sort_onesweep_iterationIS3_Lb1EPKaPaPS5_SB_mNS0_19identity_decomposerENS1_16block_id_wrapperIjLb0EEEEE10hipError_tT1_PNSt15iterator_traitsISG_E10value_typeET2_T3_PNSH_ISM_E10value_typeET4_T5_PSR_SS_PNS1_23onesweep_lookback_stateEbbT6_jjT7_P12ihipStream_tbENKUlT_T0_SG_SL_E_clISA_SA_SB_SB_EEDaSZ_S10_SG_SL_EUlSZ_E_NS1_11comp_targetILNS1_3genE5ELNS1_11target_archE942ELNS1_3gpuE9ELNS1_3repE0EEENS1_47radix_sort_onesweep_sort_config_static_selectorELNS0_4arch9wavefront6targetE0EEEvSG_,"axG",@progbits,_ZN7rocprim17ROCPRIM_400000_NS6detail17trampoline_kernelINS0_14default_configENS1_35radix_sort_onesweep_config_selectorIaNS0_10empty_typeEEEZZNS1_29radix_sort_onesweep_iterationIS3_Lb1EPKaPaPS5_SB_mNS0_19identity_decomposerENS1_16block_id_wrapperIjLb0EEEEE10hipError_tT1_PNSt15iterator_traitsISG_E10value_typeET2_T3_PNSH_ISM_E10value_typeET4_T5_PSR_SS_PNS1_23onesweep_lookback_stateEbbT6_jjT7_P12ihipStream_tbENKUlT_T0_SG_SL_E_clISA_SA_SB_SB_EEDaSZ_S10_SG_SL_EUlSZ_E_NS1_11comp_targetILNS1_3genE5ELNS1_11target_archE942ELNS1_3gpuE9ELNS1_3repE0EEENS1_47radix_sort_onesweep_sort_config_static_selectorELNS0_4arch9wavefront6targetE0EEEvSG_,comdat
.Lfunc_end384:
	.size	_ZN7rocprim17ROCPRIM_400000_NS6detail17trampoline_kernelINS0_14default_configENS1_35radix_sort_onesweep_config_selectorIaNS0_10empty_typeEEEZZNS1_29radix_sort_onesweep_iterationIS3_Lb1EPKaPaPS5_SB_mNS0_19identity_decomposerENS1_16block_id_wrapperIjLb0EEEEE10hipError_tT1_PNSt15iterator_traitsISG_E10value_typeET2_T3_PNSH_ISM_E10value_typeET4_T5_PSR_SS_PNS1_23onesweep_lookback_stateEbbT6_jjT7_P12ihipStream_tbENKUlT_T0_SG_SL_E_clISA_SA_SB_SB_EEDaSZ_S10_SG_SL_EUlSZ_E_NS1_11comp_targetILNS1_3genE5ELNS1_11target_archE942ELNS1_3gpuE9ELNS1_3repE0EEENS1_47radix_sort_onesweep_sort_config_static_selectorELNS0_4arch9wavefront6targetE0EEEvSG_, .Lfunc_end384-_ZN7rocprim17ROCPRIM_400000_NS6detail17trampoline_kernelINS0_14default_configENS1_35radix_sort_onesweep_config_selectorIaNS0_10empty_typeEEEZZNS1_29radix_sort_onesweep_iterationIS3_Lb1EPKaPaPS5_SB_mNS0_19identity_decomposerENS1_16block_id_wrapperIjLb0EEEEE10hipError_tT1_PNSt15iterator_traitsISG_E10value_typeET2_T3_PNSH_ISM_E10value_typeET4_T5_PSR_SS_PNS1_23onesweep_lookback_stateEbbT6_jjT7_P12ihipStream_tbENKUlT_T0_SG_SL_E_clISA_SA_SB_SB_EEDaSZ_S10_SG_SL_EUlSZ_E_NS1_11comp_targetILNS1_3genE5ELNS1_11target_archE942ELNS1_3gpuE9ELNS1_3repE0EEENS1_47radix_sort_onesweep_sort_config_static_selectorELNS0_4arch9wavefront6targetE0EEEvSG_
                                        ; -- End function
	.set _ZN7rocprim17ROCPRIM_400000_NS6detail17trampoline_kernelINS0_14default_configENS1_35radix_sort_onesweep_config_selectorIaNS0_10empty_typeEEEZZNS1_29radix_sort_onesweep_iterationIS3_Lb1EPKaPaPS5_SB_mNS0_19identity_decomposerENS1_16block_id_wrapperIjLb0EEEEE10hipError_tT1_PNSt15iterator_traitsISG_E10value_typeET2_T3_PNSH_ISM_E10value_typeET4_T5_PSR_SS_PNS1_23onesweep_lookback_stateEbbT6_jjT7_P12ihipStream_tbENKUlT_T0_SG_SL_E_clISA_SA_SB_SB_EEDaSZ_S10_SG_SL_EUlSZ_E_NS1_11comp_targetILNS1_3genE5ELNS1_11target_archE942ELNS1_3gpuE9ELNS1_3repE0EEENS1_47radix_sort_onesweep_sort_config_static_selectorELNS0_4arch9wavefront6targetE0EEEvSG_.num_vgpr, 0
	.set _ZN7rocprim17ROCPRIM_400000_NS6detail17trampoline_kernelINS0_14default_configENS1_35radix_sort_onesweep_config_selectorIaNS0_10empty_typeEEEZZNS1_29radix_sort_onesweep_iterationIS3_Lb1EPKaPaPS5_SB_mNS0_19identity_decomposerENS1_16block_id_wrapperIjLb0EEEEE10hipError_tT1_PNSt15iterator_traitsISG_E10value_typeET2_T3_PNSH_ISM_E10value_typeET4_T5_PSR_SS_PNS1_23onesweep_lookback_stateEbbT6_jjT7_P12ihipStream_tbENKUlT_T0_SG_SL_E_clISA_SA_SB_SB_EEDaSZ_S10_SG_SL_EUlSZ_E_NS1_11comp_targetILNS1_3genE5ELNS1_11target_archE942ELNS1_3gpuE9ELNS1_3repE0EEENS1_47radix_sort_onesweep_sort_config_static_selectorELNS0_4arch9wavefront6targetE0EEEvSG_.num_agpr, 0
	.set _ZN7rocprim17ROCPRIM_400000_NS6detail17trampoline_kernelINS0_14default_configENS1_35radix_sort_onesweep_config_selectorIaNS0_10empty_typeEEEZZNS1_29radix_sort_onesweep_iterationIS3_Lb1EPKaPaPS5_SB_mNS0_19identity_decomposerENS1_16block_id_wrapperIjLb0EEEEE10hipError_tT1_PNSt15iterator_traitsISG_E10value_typeET2_T3_PNSH_ISM_E10value_typeET4_T5_PSR_SS_PNS1_23onesweep_lookback_stateEbbT6_jjT7_P12ihipStream_tbENKUlT_T0_SG_SL_E_clISA_SA_SB_SB_EEDaSZ_S10_SG_SL_EUlSZ_E_NS1_11comp_targetILNS1_3genE5ELNS1_11target_archE942ELNS1_3gpuE9ELNS1_3repE0EEENS1_47radix_sort_onesweep_sort_config_static_selectorELNS0_4arch9wavefront6targetE0EEEvSG_.numbered_sgpr, 0
	.set _ZN7rocprim17ROCPRIM_400000_NS6detail17trampoline_kernelINS0_14default_configENS1_35radix_sort_onesweep_config_selectorIaNS0_10empty_typeEEEZZNS1_29radix_sort_onesweep_iterationIS3_Lb1EPKaPaPS5_SB_mNS0_19identity_decomposerENS1_16block_id_wrapperIjLb0EEEEE10hipError_tT1_PNSt15iterator_traitsISG_E10value_typeET2_T3_PNSH_ISM_E10value_typeET4_T5_PSR_SS_PNS1_23onesweep_lookback_stateEbbT6_jjT7_P12ihipStream_tbENKUlT_T0_SG_SL_E_clISA_SA_SB_SB_EEDaSZ_S10_SG_SL_EUlSZ_E_NS1_11comp_targetILNS1_3genE5ELNS1_11target_archE942ELNS1_3gpuE9ELNS1_3repE0EEENS1_47radix_sort_onesweep_sort_config_static_selectorELNS0_4arch9wavefront6targetE0EEEvSG_.num_named_barrier, 0
	.set _ZN7rocprim17ROCPRIM_400000_NS6detail17trampoline_kernelINS0_14default_configENS1_35radix_sort_onesweep_config_selectorIaNS0_10empty_typeEEEZZNS1_29radix_sort_onesweep_iterationIS3_Lb1EPKaPaPS5_SB_mNS0_19identity_decomposerENS1_16block_id_wrapperIjLb0EEEEE10hipError_tT1_PNSt15iterator_traitsISG_E10value_typeET2_T3_PNSH_ISM_E10value_typeET4_T5_PSR_SS_PNS1_23onesweep_lookback_stateEbbT6_jjT7_P12ihipStream_tbENKUlT_T0_SG_SL_E_clISA_SA_SB_SB_EEDaSZ_S10_SG_SL_EUlSZ_E_NS1_11comp_targetILNS1_3genE5ELNS1_11target_archE942ELNS1_3gpuE9ELNS1_3repE0EEENS1_47radix_sort_onesweep_sort_config_static_selectorELNS0_4arch9wavefront6targetE0EEEvSG_.private_seg_size, 0
	.set _ZN7rocprim17ROCPRIM_400000_NS6detail17trampoline_kernelINS0_14default_configENS1_35radix_sort_onesweep_config_selectorIaNS0_10empty_typeEEEZZNS1_29radix_sort_onesweep_iterationIS3_Lb1EPKaPaPS5_SB_mNS0_19identity_decomposerENS1_16block_id_wrapperIjLb0EEEEE10hipError_tT1_PNSt15iterator_traitsISG_E10value_typeET2_T3_PNSH_ISM_E10value_typeET4_T5_PSR_SS_PNS1_23onesweep_lookback_stateEbbT6_jjT7_P12ihipStream_tbENKUlT_T0_SG_SL_E_clISA_SA_SB_SB_EEDaSZ_S10_SG_SL_EUlSZ_E_NS1_11comp_targetILNS1_3genE5ELNS1_11target_archE942ELNS1_3gpuE9ELNS1_3repE0EEENS1_47radix_sort_onesweep_sort_config_static_selectorELNS0_4arch9wavefront6targetE0EEEvSG_.uses_vcc, 0
	.set _ZN7rocprim17ROCPRIM_400000_NS6detail17trampoline_kernelINS0_14default_configENS1_35radix_sort_onesweep_config_selectorIaNS0_10empty_typeEEEZZNS1_29radix_sort_onesweep_iterationIS3_Lb1EPKaPaPS5_SB_mNS0_19identity_decomposerENS1_16block_id_wrapperIjLb0EEEEE10hipError_tT1_PNSt15iterator_traitsISG_E10value_typeET2_T3_PNSH_ISM_E10value_typeET4_T5_PSR_SS_PNS1_23onesweep_lookback_stateEbbT6_jjT7_P12ihipStream_tbENKUlT_T0_SG_SL_E_clISA_SA_SB_SB_EEDaSZ_S10_SG_SL_EUlSZ_E_NS1_11comp_targetILNS1_3genE5ELNS1_11target_archE942ELNS1_3gpuE9ELNS1_3repE0EEENS1_47radix_sort_onesweep_sort_config_static_selectorELNS0_4arch9wavefront6targetE0EEEvSG_.uses_flat_scratch, 0
	.set _ZN7rocprim17ROCPRIM_400000_NS6detail17trampoline_kernelINS0_14default_configENS1_35radix_sort_onesweep_config_selectorIaNS0_10empty_typeEEEZZNS1_29radix_sort_onesweep_iterationIS3_Lb1EPKaPaPS5_SB_mNS0_19identity_decomposerENS1_16block_id_wrapperIjLb0EEEEE10hipError_tT1_PNSt15iterator_traitsISG_E10value_typeET2_T3_PNSH_ISM_E10value_typeET4_T5_PSR_SS_PNS1_23onesweep_lookback_stateEbbT6_jjT7_P12ihipStream_tbENKUlT_T0_SG_SL_E_clISA_SA_SB_SB_EEDaSZ_S10_SG_SL_EUlSZ_E_NS1_11comp_targetILNS1_3genE5ELNS1_11target_archE942ELNS1_3gpuE9ELNS1_3repE0EEENS1_47radix_sort_onesweep_sort_config_static_selectorELNS0_4arch9wavefront6targetE0EEEvSG_.has_dyn_sized_stack, 0
	.set _ZN7rocprim17ROCPRIM_400000_NS6detail17trampoline_kernelINS0_14default_configENS1_35radix_sort_onesweep_config_selectorIaNS0_10empty_typeEEEZZNS1_29radix_sort_onesweep_iterationIS3_Lb1EPKaPaPS5_SB_mNS0_19identity_decomposerENS1_16block_id_wrapperIjLb0EEEEE10hipError_tT1_PNSt15iterator_traitsISG_E10value_typeET2_T3_PNSH_ISM_E10value_typeET4_T5_PSR_SS_PNS1_23onesweep_lookback_stateEbbT6_jjT7_P12ihipStream_tbENKUlT_T0_SG_SL_E_clISA_SA_SB_SB_EEDaSZ_S10_SG_SL_EUlSZ_E_NS1_11comp_targetILNS1_3genE5ELNS1_11target_archE942ELNS1_3gpuE9ELNS1_3repE0EEENS1_47radix_sort_onesweep_sort_config_static_selectorELNS0_4arch9wavefront6targetE0EEEvSG_.has_recursion, 0
	.set _ZN7rocprim17ROCPRIM_400000_NS6detail17trampoline_kernelINS0_14default_configENS1_35radix_sort_onesweep_config_selectorIaNS0_10empty_typeEEEZZNS1_29radix_sort_onesweep_iterationIS3_Lb1EPKaPaPS5_SB_mNS0_19identity_decomposerENS1_16block_id_wrapperIjLb0EEEEE10hipError_tT1_PNSt15iterator_traitsISG_E10value_typeET2_T3_PNSH_ISM_E10value_typeET4_T5_PSR_SS_PNS1_23onesweep_lookback_stateEbbT6_jjT7_P12ihipStream_tbENKUlT_T0_SG_SL_E_clISA_SA_SB_SB_EEDaSZ_S10_SG_SL_EUlSZ_E_NS1_11comp_targetILNS1_3genE5ELNS1_11target_archE942ELNS1_3gpuE9ELNS1_3repE0EEENS1_47radix_sort_onesweep_sort_config_static_selectorELNS0_4arch9wavefront6targetE0EEEvSG_.has_indirect_call, 0
	.section	.AMDGPU.csdata,"",@progbits
; Kernel info:
; codeLenInByte = 0
; TotalNumSgprs: 0
; NumVgprs: 0
; ScratchSize: 0
; MemoryBound: 0
; FloatMode: 240
; IeeeMode: 1
; LDSByteSize: 0 bytes/workgroup (compile time only)
; SGPRBlocks: 0
; VGPRBlocks: 0
; NumSGPRsForWavesPerEU: 1
; NumVGPRsForWavesPerEU: 1
; NamedBarCnt: 0
; Occupancy: 16
; WaveLimiterHint : 0
; COMPUTE_PGM_RSRC2:SCRATCH_EN: 0
; COMPUTE_PGM_RSRC2:USER_SGPR: 2
; COMPUTE_PGM_RSRC2:TRAP_HANDLER: 0
; COMPUTE_PGM_RSRC2:TGID_X_EN: 1
; COMPUTE_PGM_RSRC2:TGID_Y_EN: 0
; COMPUTE_PGM_RSRC2:TGID_Z_EN: 0
; COMPUTE_PGM_RSRC2:TIDIG_COMP_CNT: 0
	.section	.text._ZN7rocprim17ROCPRIM_400000_NS6detail17trampoline_kernelINS0_14default_configENS1_35radix_sort_onesweep_config_selectorIaNS0_10empty_typeEEEZZNS1_29radix_sort_onesweep_iterationIS3_Lb1EPKaPaPS5_SB_mNS0_19identity_decomposerENS1_16block_id_wrapperIjLb0EEEEE10hipError_tT1_PNSt15iterator_traitsISG_E10value_typeET2_T3_PNSH_ISM_E10value_typeET4_T5_PSR_SS_PNS1_23onesweep_lookback_stateEbbT6_jjT7_P12ihipStream_tbENKUlT_T0_SG_SL_E_clISA_SA_SB_SB_EEDaSZ_S10_SG_SL_EUlSZ_E_NS1_11comp_targetILNS1_3genE2ELNS1_11target_archE906ELNS1_3gpuE6ELNS1_3repE0EEENS1_47radix_sort_onesweep_sort_config_static_selectorELNS0_4arch9wavefront6targetE0EEEvSG_,"axG",@progbits,_ZN7rocprim17ROCPRIM_400000_NS6detail17trampoline_kernelINS0_14default_configENS1_35radix_sort_onesweep_config_selectorIaNS0_10empty_typeEEEZZNS1_29radix_sort_onesweep_iterationIS3_Lb1EPKaPaPS5_SB_mNS0_19identity_decomposerENS1_16block_id_wrapperIjLb0EEEEE10hipError_tT1_PNSt15iterator_traitsISG_E10value_typeET2_T3_PNSH_ISM_E10value_typeET4_T5_PSR_SS_PNS1_23onesweep_lookback_stateEbbT6_jjT7_P12ihipStream_tbENKUlT_T0_SG_SL_E_clISA_SA_SB_SB_EEDaSZ_S10_SG_SL_EUlSZ_E_NS1_11comp_targetILNS1_3genE2ELNS1_11target_archE906ELNS1_3gpuE6ELNS1_3repE0EEENS1_47radix_sort_onesweep_sort_config_static_selectorELNS0_4arch9wavefront6targetE0EEEvSG_,comdat
	.protected	_ZN7rocprim17ROCPRIM_400000_NS6detail17trampoline_kernelINS0_14default_configENS1_35radix_sort_onesweep_config_selectorIaNS0_10empty_typeEEEZZNS1_29radix_sort_onesweep_iterationIS3_Lb1EPKaPaPS5_SB_mNS0_19identity_decomposerENS1_16block_id_wrapperIjLb0EEEEE10hipError_tT1_PNSt15iterator_traitsISG_E10value_typeET2_T3_PNSH_ISM_E10value_typeET4_T5_PSR_SS_PNS1_23onesweep_lookback_stateEbbT6_jjT7_P12ihipStream_tbENKUlT_T0_SG_SL_E_clISA_SA_SB_SB_EEDaSZ_S10_SG_SL_EUlSZ_E_NS1_11comp_targetILNS1_3genE2ELNS1_11target_archE906ELNS1_3gpuE6ELNS1_3repE0EEENS1_47radix_sort_onesweep_sort_config_static_selectorELNS0_4arch9wavefront6targetE0EEEvSG_ ; -- Begin function _ZN7rocprim17ROCPRIM_400000_NS6detail17trampoline_kernelINS0_14default_configENS1_35radix_sort_onesweep_config_selectorIaNS0_10empty_typeEEEZZNS1_29radix_sort_onesweep_iterationIS3_Lb1EPKaPaPS5_SB_mNS0_19identity_decomposerENS1_16block_id_wrapperIjLb0EEEEE10hipError_tT1_PNSt15iterator_traitsISG_E10value_typeET2_T3_PNSH_ISM_E10value_typeET4_T5_PSR_SS_PNS1_23onesweep_lookback_stateEbbT6_jjT7_P12ihipStream_tbENKUlT_T0_SG_SL_E_clISA_SA_SB_SB_EEDaSZ_S10_SG_SL_EUlSZ_E_NS1_11comp_targetILNS1_3genE2ELNS1_11target_archE906ELNS1_3gpuE6ELNS1_3repE0EEENS1_47radix_sort_onesweep_sort_config_static_selectorELNS0_4arch9wavefront6targetE0EEEvSG_
	.globl	_ZN7rocprim17ROCPRIM_400000_NS6detail17trampoline_kernelINS0_14default_configENS1_35radix_sort_onesweep_config_selectorIaNS0_10empty_typeEEEZZNS1_29radix_sort_onesweep_iterationIS3_Lb1EPKaPaPS5_SB_mNS0_19identity_decomposerENS1_16block_id_wrapperIjLb0EEEEE10hipError_tT1_PNSt15iterator_traitsISG_E10value_typeET2_T3_PNSH_ISM_E10value_typeET4_T5_PSR_SS_PNS1_23onesweep_lookback_stateEbbT6_jjT7_P12ihipStream_tbENKUlT_T0_SG_SL_E_clISA_SA_SB_SB_EEDaSZ_S10_SG_SL_EUlSZ_E_NS1_11comp_targetILNS1_3genE2ELNS1_11target_archE906ELNS1_3gpuE6ELNS1_3repE0EEENS1_47radix_sort_onesweep_sort_config_static_selectorELNS0_4arch9wavefront6targetE0EEEvSG_
	.p2align	8
	.type	_ZN7rocprim17ROCPRIM_400000_NS6detail17trampoline_kernelINS0_14default_configENS1_35radix_sort_onesweep_config_selectorIaNS0_10empty_typeEEEZZNS1_29radix_sort_onesweep_iterationIS3_Lb1EPKaPaPS5_SB_mNS0_19identity_decomposerENS1_16block_id_wrapperIjLb0EEEEE10hipError_tT1_PNSt15iterator_traitsISG_E10value_typeET2_T3_PNSH_ISM_E10value_typeET4_T5_PSR_SS_PNS1_23onesweep_lookback_stateEbbT6_jjT7_P12ihipStream_tbENKUlT_T0_SG_SL_E_clISA_SA_SB_SB_EEDaSZ_S10_SG_SL_EUlSZ_E_NS1_11comp_targetILNS1_3genE2ELNS1_11target_archE906ELNS1_3gpuE6ELNS1_3repE0EEENS1_47radix_sort_onesweep_sort_config_static_selectorELNS0_4arch9wavefront6targetE0EEEvSG_,@function
_ZN7rocprim17ROCPRIM_400000_NS6detail17trampoline_kernelINS0_14default_configENS1_35radix_sort_onesweep_config_selectorIaNS0_10empty_typeEEEZZNS1_29radix_sort_onesweep_iterationIS3_Lb1EPKaPaPS5_SB_mNS0_19identity_decomposerENS1_16block_id_wrapperIjLb0EEEEE10hipError_tT1_PNSt15iterator_traitsISG_E10value_typeET2_T3_PNSH_ISM_E10value_typeET4_T5_PSR_SS_PNS1_23onesweep_lookback_stateEbbT6_jjT7_P12ihipStream_tbENKUlT_T0_SG_SL_E_clISA_SA_SB_SB_EEDaSZ_S10_SG_SL_EUlSZ_E_NS1_11comp_targetILNS1_3genE2ELNS1_11target_archE906ELNS1_3gpuE6ELNS1_3repE0EEENS1_47radix_sort_onesweep_sort_config_static_selectorELNS0_4arch9wavefront6targetE0EEEvSG_: ; @_ZN7rocprim17ROCPRIM_400000_NS6detail17trampoline_kernelINS0_14default_configENS1_35radix_sort_onesweep_config_selectorIaNS0_10empty_typeEEEZZNS1_29radix_sort_onesweep_iterationIS3_Lb1EPKaPaPS5_SB_mNS0_19identity_decomposerENS1_16block_id_wrapperIjLb0EEEEE10hipError_tT1_PNSt15iterator_traitsISG_E10value_typeET2_T3_PNSH_ISM_E10value_typeET4_T5_PSR_SS_PNS1_23onesweep_lookback_stateEbbT6_jjT7_P12ihipStream_tbENKUlT_T0_SG_SL_E_clISA_SA_SB_SB_EEDaSZ_S10_SG_SL_EUlSZ_E_NS1_11comp_targetILNS1_3genE2ELNS1_11target_archE906ELNS1_3gpuE6ELNS1_3repE0EEENS1_47radix_sort_onesweep_sort_config_static_selectorELNS0_4arch9wavefront6targetE0EEEvSG_
; %bb.0:
	.section	.rodata,"a",@progbits
	.p2align	6, 0x0
	.amdhsa_kernel _ZN7rocprim17ROCPRIM_400000_NS6detail17trampoline_kernelINS0_14default_configENS1_35radix_sort_onesweep_config_selectorIaNS0_10empty_typeEEEZZNS1_29radix_sort_onesweep_iterationIS3_Lb1EPKaPaPS5_SB_mNS0_19identity_decomposerENS1_16block_id_wrapperIjLb0EEEEE10hipError_tT1_PNSt15iterator_traitsISG_E10value_typeET2_T3_PNSH_ISM_E10value_typeET4_T5_PSR_SS_PNS1_23onesweep_lookback_stateEbbT6_jjT7_P12ihipStream_tbENKUlT_T0_SG_SL_E_clISA_SA_SB_SB_EEDaSZ_S10_SG_SL_EUlSZ_E_NS1_11comp_targetILNS1_3genE2ELNS1_11target_archE906ELNS1_3gpuE6ELNS1_3repE0EEENS1_47radix_sort_onesweep_sort_config_static_selectorELNS0_4arch9wavefront6targetE0EEEvSG_
		.amdhsa_group_segment_fixed_size 0
		.amdhsa_private_segment_fixed_size 0
		.amdhsa_kernarg_size 88
		.amdhsa_user_sgpr_count 2
		.amdhsa_user_sgpr_dispatch_ptr 0
		.amdhsa_user_sgpr_queue_ptr 0
		.amdhsa_user_sgpr_kernarg_segment_ptr 1
		.amdhsa_user_sgpr_dispatch_id 0
		.amdhsa_user_sgpr_kernarg_preload_length 0
		.amdhsa_user_sgpr_kernarg_preload_offset 0
		.amdhsa_user_sgpr_private_segment_size 0
		.amdhsa_wavefront_size32 1
		.amdhsa_uses_dynamic_stack 0
		.amdhsa_enable_private_segment 0
		.amdhsa_system_sgpr_workgroup_id_x 1
		.amdhsa_system_sgpr_workgroup_id_y 0
		.amdhsa_system_sgpr_workgroup_id_z 0
		.amdhsa_system_sgpr_workgroup_info 0
		.amdhsa_system_vgpr_workitem_id 0
		.amdhsa_next_free_vgpr 1
		.amdhsa_next_free_sgpr 1
		.amdhsa_named_barrier_count 0
		.amdhsa_reserve_vcc 0
		.amdhsa_float_round_mode_32 0
		.amdhsa_float_round_mode_16_64 0
		.amdhsa_float_denorm_mode_32 3
		.amdhsa_float_denorm_mode_16_64 3
		.amdhsa_fp16_overflow 0
		.amdhsa_memory_ordered 1
		.amdhsa_forward_progress 1
		.amdhsa_inst_pref_size 0
		.amdhsa_round_robin_scheduling 0
		.amdhsa_exception_fp_ieee_invalid_op 0
		.amdhsa_exception_fp_denorm_src 0
		.amdhsa_exception_fp_ieee_div_zero 0
		.amdhsa_exception_fp_ieee_overflow 0
		.amdhsa_exception_fp_ieee_underflow 0
		.amdhsa_exception_fp_ieee_inexact 0
		.amdhsa_exception_int_div_zero 0
	.end_amdhsa_kernel
	.section	.text._ZN7rocprim17ROCPRIM_400000_NS6detail17trampoline_kernelINS0_14default_configENS1_35radix_sort_onesweep_config_selectorIaNS0_10empty_typeEEEZZNS1_29radix_sort_onesweep_iterationIS3_Lb1EPKaPaPS5_SB_mNS0_19identity_decomposerENS1_16block_id_wrapperIjLb0EEEEE10hipError_tT1_PNSt15iterator_traitsISG_E10value_typeET2_T3_PNSH_ISM_E10value_typeET4_T5_PSR_SS_PNS1_23onesweep_lookback_stateEbbT6_jjT7_P12ihipStream_tbENKUlT_T0_SG_SL_E_clISA_SA_SB_SB_EEDaSZ_S10_SG_SL_EUlSZ_E_NS1_11comp_targetILNS1_3genE2ELNS1_11target_archE906ELNS1_3gpuE6ELNS1_3repE0EEENS1_47radix_sort_onesweep_sort_config_static_selectorELNS0_4arch9wavefront6targetE0EEEvSG_,"axG",@progbits,_ZN7rocprim17ROCPRIM_400000_NS6detail17trampoline_kernelINS0_14default_configENS1_35radix_sort_onesweep_config_selectorIaNS0_10empty_typeEEEZZNS1_29radix_sort_onesweep_iterationIS3_Lb1EPKaPaPS5_SB_mNS0_19identity_decomposerENS1_16block_id_wrapperIjLb0EEEEE10hipError_tT1_PNSt15iterator_traitsISG_E10value_typeET2_T3_PNSH_ISM_E10value_typeET4_T5_PSR_SS_PNS1_23onesweep_lookback_stateEbbT6_jjT7_P12ihipStream_tbENKUlT_T0_SG_SL_E_clISA_SA_SB_SB_EEDaSZ_S10_SG_SL_EUlSZ_E_NS1_11comp_targetILNS1_3genE2ELNS1_11target_archE906ELNS1_3gpuE6ELNS1_3repE0EEENS1_47radix_sort_onesweep_sort_config_static_selectorELNS0_4arch9wavefront6targetE0EEEvSG_,comdat
.Lfunc_end385:
	.size	_ZN7rocprim17ROCPRIM_400000_NS6detail17trampoline_kernelINS0_14default_configENS1_35radix_sort_onesweep_config_selectorIaNS0_10empty_typeEEEZZNS1_29radix_sort_onesweep_iterationIS3_Lb1EPKaPaPS5_SB_mNS0_19identity_decomposerENS1_16block_id_wrapperIjLb0EEEEE10hipError_tT1_PNSt15iterator_traitsISG_E10value_typeET2_T3_PNSH_ISM_E10value_typeET4_T5_PSR_SS_PNS1_23onesweep_lookback_stateEbbT6_jjT7_P12ihipStream_tbENKUlT_T0_SG_SL_E_clISA_SA_SB_SB_EEDaSZ_S10_SG_SL_EUlSZ_E_NS1_11comp_targetILNS1_3genE2ELNS1_11target_archE906ELNS1_3gpuE6ELNS1_3repE0EEENS1_47radix_sort_onesweep_sort_config_static_selectorELNS0_4arch9wavefront6targetE0EEEvSG_, .Lfunc_end385-_ZN7rocprim17ROCPRIM_400000_NS6detail17trampoline_kernelINS0_14default_configENS1_35radix_sort_onesweep_config_selectorIaNS0_10empty_typeEEEZZNS1_29radix_sort_onesweep_iterationIS3_Lb1EPKaPaPS5_SB_mNS0_19identity_decomposerENS1_16block_id_wrapperIjLb0EEEEE10hipError_tT1_PNSt15iterator_traitsISG_E10value_typeET2_T3_PNSH_ISM_E10value_typeET4_T5_PSR_SS_PNS1_23onesweep_lookback_stateEbbT6_jjT7_P12ihipStream_tbENKUlT_T0_SG_SL_E_clISA_SA_SB_SB_EEDaSZ_S10_SG_SL_EUlSZ_E_NS1_11comp_targetILNS1_3genE2ELNS1_11target_archE906ELNS1_3gpuE6ELNS1_3repE0EEENS1_47radix_sort_onesweep_sort_config_static_selectorELNS0_4arch9wavefront6targetE0EEEvSG_
                                        ; -- End function
	.set _ZN7rocprim17ROCPRIM_400000_NS6detail17trampoline_kernelINS0_14default_configENS1_35radix_sort_onesweep_config_selectorIaNS0_10empty_typeEEEZZNS1_29radix_sort_onesweep_iterationIS3_Lb1EPKaPaPS5_SB_mNS0_19identity_decomposerENS1_16block_id_wrapperIjLb0EEEEE10hipError_tT1_PNSt15iterator_traitsISG_E10value_typeET2_T3_PNSH_ISM_E10value_typeET4_T5_PSR_SS_PNS1_23onesweep_lookback_stateEbbT6_jjT7_P12ihipStream_tbENKUlT_T0_SG_SL_E_clISA_SA_SB_SB_EEDaSZ_S10_SG_SL_EUlSZ_E_NS1_11comp_targetILNS1_3genE2ELNS1_11target_archE906ELNS1_3gpuE6ELNS1_3repE0EEENS1_47radix_sort_onesweep_sort_config_static_selectorELNS0_4arch9wavefront6targetE0EEEvSG_.num_vgpr, 0
	.set _ZN7rocprim17ROCPRIM_400000_NS6detail17trampoline_kernelINS0_14default_configENS1_35radix_sort_onesweep_config_selectorIaNS0_10empty_typeEEEZZNS1_29radix_sort_onesweep_iterationIS3_Lb1EPKaPaPS5_SB_mNS0_19identity_decomposerENS1_16block_id_wrapperIjLb0EEEEE10hipError_tT1_PNSt15iterator_traitsISG_E10value_typeET2_T3_PNSH_ISM_E10value_typeET4_T5_PSR_SS_PNS1_23onesweep_lookback_stateEbbT6_jjT7_P12ihipStream_tbENKUlT_T0_SG_SL_E_clISA_SA_SB_SB_EEDaSZ_S10_SG_SL_EUlSZ_E_NS1_11comp_targetILNS1_3genE2ELNS1_11target_archE906ELNS1_3gpuE6ELNS1_3repE0EEENS1_47radix_sort_onesweep_sort_config_static_selectorELNS0_4arch9wavefront6targetE0EEEvSG_.num_agpr, 0
	.set _ZN7rocprim17ROCPRIM_400000_NS6detail17trampoline_kernelINS0_14default_configENS1_35radix_sort_onesweep_config_selectorIaNS0_10empty_typeEEEZZNS1_29radix_sort_onesweep_iterationIS3_Lb1EPKaPaPS5_SB_mNS0_19identity_decomposerENS1_16block_id_wrapperIjLb0EEEEE10hipError_tT1_PNSt15iterator_traitsISG_E10value_typeET2_T3_PNSH_ISM_E10value_typeET4_T5_PSR_SS_PNS1_23onesweep_lookback_stateEbbT6_jjT7_P12ihipStream_tbENKUlT_T0_SG_SL_E_clISA_SA_SB_SB_EEDaSZ_S10_SG_SL_EUlSZ_E_NS1_11comp_targetILNS1_3genE2ELNS1_11target_archE906ELNS1_3gpuE6ELNS1_3repE0EEENS1_47radix_sort_onesweep_sort_config_static_selectorELNS0_4arch9wavefront6targetE0EEEvSG_.numbered_sgpr, 0
	.set _ZN7rocprim17ROCPRIM_400000_NS6detail17trampoline_kernelINS0_14default_configENS1_35radix_sort_onesweep_config_selectorIaNS0_10empty_typeEEEZZNS1_29radix_sort_onesweep_iterationIS3_Lb1EPKaPaPS5_SB_mNS0_19identity_decomposerENS1_16block_id_wrapperIjLb0EEEEE10hipError_tT1_PNSt15iterator_traitsISG_E10value_typeET2_T3_PNSH_ISM_E10value_typeET4_T5_PSR_SS_PNS1_23onesweep_lookback_stateEbbT6_jjT7_P12ihipStream_tbENKUlT_T0_SG_SL_E_clISA_SA_SB_SB_EEDaSZ_S10_SG_SL_EUlSZ_E_NS1_11comp_targetILNS1_3genE2ELNS1_11target_archE906ELNS1_3gpuE6ELNS1_3repE0EEENS1_47radix_sort_onesweep_sort_config_static_selectorELNS0_4arch9wavefront6targetE0EEEvSG_.num_named_barrier, 0
	.set _ZN7rocprim17ROCPRIM_400000_NS6detail17trampoline_kernelINS0_14default_configENS1_35radix_sort_onesweep_config_selectorIaNS0_10empty_typeEEEZZNS1_29radix_sort_onesweep_iterationIS3_Lb1EPKaPaPS5_SB_mNS0_19identity_decomposerENS1_16block_id_wrapperIjLb0EEEEE10hipError_tT1_PNSt15iterator_traitsISG_E10value_typeET2_T3_PNSH_ISM_E10value_typeET4_T5_PSR_SS_PNS1_23onesweep_lookback_stateEbbT6_jjT7_P12ihipStream_tbENKUlT_T0_SG_SL_E_clISA_SA_SB_SB_EEDaSZ_S10_SG_SL_EUlSZ_E_NS1_11comp_targetILNS1_3genE2ELNS1_11target_archE906ELNS1_3gpuE6ELNS1_3repE0EEENS1_47radix_sort_onesweep_sort_config_static_selectorELNS0_4arch9wavefront6targetE0EEEvSG_.private_seg_size, 0
	.set _ZN7rocprim17ROCPRIM_400000_NS6detail17trampoline_kernelINS0_14default_configENS1_35radix_sort_onesweep_config_selectorIaNS0_10empty_typeEEEZZNS1_29radix_sort_onesweep_iterationIS3_Lb1EPKaPaPS5_SB_mNS0_19identity_decomposerENS1_16block_id_wrapperIjLb0EEEEE10hipError_tT1_PNSt15iterator_traitsISG_E10value_typeET2_T3_PNSH_ISM_E10value_typeET4_T5_PSR_SS_PNS1_23onesweep_lookback_stateEbbT6_jjT7_P12ihipStream_tbENKUlT_T0_SG_SL_E_clISA_SA_SB_SB_EEDaSZ_S10_SG_SL_EUlSZ_E_NS1_11comp_targetILNS1_3genE2ELNS1_11target_archE906ELNS1_3gpuE6ELNS1_3repE0EEENS1_47radix_sort_onesweep_sort_config_static_selectorELNS0_4arch9wavefront6targetE0EEEvSG_.uses_vcc, 0
	.set _ZN7rocprim17ROCPRIM_400000_NS6detail17trampoline_kernelINS0_14default_configENS1_35radix_sort_onesweep_config_selectorIaNS0_10empty_typeEEEZZNS1_29radix_sort_onesweep_iterationIS3_Lb1EPKaPaPS5_SB_mNS0_19identity_decomposerENS1_16block_id_wrapperIjLb0EEEEE10hipError_tT1_PNSt15iterator_traitsISG_E10value_typeET2_T3_PNSH_ISM_E10value_typeET4_T5_PSR_SS_PNS1_23onesweep_lookback_stateEbbT6_jjT7_P12ihipStream_tbENKUlT_T0_SG_SL_E_clISA_SA_SB_SB_EEDaSZ_S10_SG_SL_EUlSZ_E_NS1_11comp_targetILNS1_3genE2ELNS1_11target_archE906ELNS1_3gpuE6ELNS1_3repE0EEENS1_47radix_sort_onesweep_sort_config_static_selectorELNS0_4arch9wavefront6targetE0EEEvSG_.uses_flat_scratch, 0
	.set _ZN7rocprim17ROCPRIM_400000_NS6detail17trampoline_kernelINS0_14default_configENS1_35radix_sort_onesweep_config_selectorIaNS0_10empty_typeEEEZZNS1_29radix_sort_onesweep_iterationIS3_Lb1EPKaPaPS5_SB_mNS0_19identity_decomposerENS1_16block_id_wrapperIjLb0EEEEE10hipError_tT1_PNSt15iterator_traitsISG_E10value_typeET2_T3_PNSH_ISM_E10value_typeET4_T5_PSR_SS_PNS1_23onesweep_lookback_stateEbbT6_jjT7_P12ihipStream_tbENKUlT_T0_SG_SL_E_clISA_SA_SB_SB_EEDaSZ_S10_SG_SL_EUlSZ_E_NS1_11comp_targetILNS1_3genE2ELNS1_11target_archE906ELNS1_3gpuE6ELNS1_3repE0EEENS1_47radix_sort_onesweep_sort_config_static_selectorELNS0_4arch9wavefront6targetE0EEEvSG_.has_dyn_sized_stack, 0
	.set _ZN7rocprim17ROCPRIM_400000_NS6detail17trampoline_kernelINS0_14default_configENS1_35radix_sort_onesweep_config_selectorIaNS0_10empty_typeEEEZZNS1_29radix_sort_onesweep_iterationIS3_Lb1EPKaPaPS5_SB_mNS0_19identity_decomposerENS1_16block_id_wrapperIjLb0EEEEE10hipError_tT1_PNSt15iterator_traitsISG_E10value_typeET2_T3_PNSH_ISM_E10value_typeET4_T5_PSR_SS_PNS1_23onesweep_lookback_stateEbbT6_jjT7_P12ihipStream_tbENKUlT_T0_SG_SL_E_clISA_SA_SB_SB_EEDaSZ_S10_SG_SL_EUlSZ_E_NS1_11comp_targetILNS1_3genE2ELNS1_11target_archE906ELNS1_3gpuE6ELNS1_3repE0EEENS1_47radix_sort_onesweep_sort_config_static_selectorELNS0_4arch9wavefront6targetE0EEEvSG_.has_recursion, 0
	.set _ZN7rocprim17ROCPRIM_400000_NS6detail17trampoline_kernelINS0_14default_configENS1_35radix_sort_onesweep_config_selectorIaNS0_10empty_typeEEEZZNS1_29radix_sort_onesweep_iterationIS3_Lb1EPKaPaPS5_SB_mNS0_19identity_decomposerENS1_16block_id_wrapperIjLb0EEEEE10hipError_tT1_PNSt15iterator_traitsISG_E10value_typeET2_T3_PNSH_ISM_E10value_typeET4_T5_PSR_SS_PNS1_23onesweep_lookback_stateEbbT6_jjT7_P12ihipStream_tbENKUlT_T0_SG_SL_E_clISA_SA_SB_SB_EEDaSZ_S10_SG_SL_EUlSZ_E_NS1_11comp_targetILNS1_3genE2ELNS1_11target_archE906ELNS1_3gpuE6ELNS1_3repE0EEENS1_47radix_sort_onesweep_sort_config_static_selectorELNS0_4arch9wavefront6targetE0EEEvSG_.has_indirect_call, 0
	.section	.AMDGPU.csdata,"",@progbits
; Kernel info:
; codeLenInByte = 0
; TotalNumSgprs: 0
; NumVgprs: 0
; ScratchSize: 0
; MemoryBound: 0
; FloatMode: 240
; IeeeMode: 1
; LDSByteSize: 0 bytes/workgroup (compile time only)
; SGPRBlocks: 0
; VGPRBlocks: 0
; NumSGPRsForWavesPerEU: 1
; NumVGPRsForWavesPerEU: 1
; NamedBarCnt: 0
; Occupancy: 16
; WaveLimiterHint : 0
; COMPUTE_PGM_RSRC2:SCRATCH_EN: 0
; COMPUTE_PGM_RSRC2:USER_SGPR: 2
; COMPUTE_PGM_RSRC2:TRAP_HANDLER: 0
; COMPUTE_PGM_RSRC2:TGID_X_EN: 1
; COMPUTE_PGM_RSRC2:TGID_Y_EN: 0
; COMPUTE_PGM_RSRC2:TGID_Z_EN: 0
; COMPUTE_PGM_RSRC2:TIDIG_COMP_CNT: 0
	.section	.text._ZN7rocprim17ROCPRIM_400000_NS6detail17trampoline_kernelINS0_14default_configENS1_35radix_sort_onesweep_config_selectorIaNS0_10empty_typeEEEZZNS1_29radix_sort_onesweep_iterationIS3_Lb1EPKaPaPS5_SB_mNS0_19identity_decomposerENS1_16block_id_wrapperIjLb0EEEEE10hipError_tT1_PNSt15iterator_traitsISG_E10value_typeET2_T3_PNSH_ISM_E10value_typeET4_T5_PSR_SS_PNS1_23onesweep_lookback_stateEbbT6_jjT7_P12ihipStream_tbENKUlT_T0_SG_SL_E_clISA_SA_SB_SB_EEDaSZ_S10_SG_SL_EUlSZ_E_NS1_11comp_targetILNS1_3genE4ELNS1_11target_archE910ELNS1_3gpuE8ELNS1_3repE0EEENS1_47radix_sort_onesweep_sort_config_static_selectorELNS0_4arch9wavefront6targetE0EEEvSG_,"axG",@progbits,_ZN7rocprim17ROCPRIM_400000_NS6detail17trampoline_kernelINS0_14default_configENS1_35radix_sort_onesweep_config_selectorIaNS0_10empty_typeEEEZZNS1_29radix_sort_onesweep_iterationIS3_Lb1EPKaPaPS5_SB_mNS0_19identity_decomposerENS1_16block_id_wrapperIjLb0EEEEE10hipError_tT1_PNSt15iterator_traitsISG_E10value_typeET2_T3_PNSH_ISM_E10value_typeET4_T5_PSR_SS_PNS1_23onesweep_lookback_stateEbbT6_jjT7_P12ihipStream_tbENKUlT_T0_SG_SL_E_clISA_SA_SB_SB_EEDaSZ_S10_SG_SL_EUlSZ_E_NS1_11comp_targetILNS1_3genE4ELNS1_11target_archE910ELNS1_3gpuE8ELNS1_3repE0EEENS1_47radix_sort_onesweep_sort_config_static_selectorELNS0_4arch9wavefront6targetE0EEEvSG_,comdat
	.protected	_ZN7rocprim17ROCPRIM_400000_NS6detail17trampoline_kernelINS0_14default_configENS1_35radix_sort_onesweep_config_selectorIaNS0_10empty_typeEEEZZNS1_29radix_sort_onesweep_iterationIS3_Lb1EPKaPaPS5_SB_mNS0_19identity_decomposerENS1_16block_id_wrapperIjLb0EEEEE10hipError_tT1_PNSt15iterator_traitsISG_E10value_typeET2_T3_PNSH_ISM_E10value_typeET4_T5_PSR_SS_PNS1_23onesweep_lookback_stateEbbT6_jjT7_P12ihipStream_tbENKUlT_T0_SG_SL_E_clISA_SA_SB_SB_EEDaSZ_S10_SG_SL_EUlSZ_E_NS1_11comp_targetILNS1_3genE4ELNS1_11target_archE910ELNS1_3gpuE8ELNS1_3repE0EEENS1_47radix_sort_onesweep_sort_config_static_selectorELNS0_4arch9wavefront6targetE0EEEvSG_ ; -- Begin function _ZN7rocprim17ROCPRIM_400000_NS6detail17trampoline_kernelINS0_14default_configENS1_35radix_sort_onesweep_config_selectorIaNS0_10empty_typeEEEZZNS1_29radix_sort_onesweep_iterationIS3_Lb1EPKaPaPS5_SB_mNS0_19identity_decomposerENS1_16block_id_wrapperIjLb0EEEEE10hipError_tT1_PNSt15iterator_traitsISG_E10value_typeET2_T3_PNSH_ISM_E10value_typeET4_T5_PSR_SS_PNS1_23onesweep_lookback_stateEbbT6_jjT7_P12ihipStream_tbENKUlT_T0_SG_SL_E_clISA_SA_SB_SB_EEDaSZ_S10_SG_SL_EUlSZ_E_NS1_11comp_targetILNS1_3genE4ELNS1_11target_archE910ELNS1_3gpuE8ELNS1_3repE0EEENS1_47radix_sort_onesweep_sort_config_static_selectorELNS0_4arch9wavefront6targetE0EEEvSG_
	.globl	_ZN7rocprim17ROCPRIM_400000_NS6detail17trampoline_kernelINS0_14default_configENS1_35radix_sort_onesweep_config_selectorIaNS0_10empty_typeEEEZZNS1_29radix_sort_onesweep_iterationIS3_Lb1EPKaPaPS5_SB_mNS0_19identity_decomposerENS1_16block_id_wrapperIjLb0EEEEE10hipError_tT1_PNSt15iterator_traitsISG_E10value_typeET2_T3_PNSH_ISM_E10value_typeET4_T5_PSR_SS_PNS1_23onesweep_lookback_stateEbbT6_jjT7_P12ihipStream_tbENKUlT_T0_SG_SL_E_clISA_SA_SB_SB_EEDaSZ_S10_SG_SL_EUlSZ_E_NS1_11comp_targetILNS1_3genE4ELNS1_11target_archE910ELNS1_3gpuE8ELNS1_3repE0EEENS1_47radix_sort_onesweep_sort_config_static_selectorELNS0_4arch9wavefront6targetE0EEEvSG_
	.p2align	8
	.type	_ZN7rocprim17ROCPRIM_400000_NS6detail17trampoline_kernelINS0_14default_configENS1_35radix_sort_onesweep_config_selectorIaNS0_10empty_typeEEEZZNS1_29radix_sort_onesweep_iterationIS3_Lb1EPKaPaPS5_SB_mNS0_19identity_decomposerENS1_16block_id_wrapperIjLb0EEEEE10hipError_tT1_PNSt15iterator_traitsISG_E10value_typeET2_T3_PNSH_ISM_E10value_typeET4_T5_PSR_SS_PNS1_23onesweep_lookback_stateEbbT6_jjT7_P12ihipStream_tbENKUlT_T0_SG_SL_E_clISA_SA_SB_SB_EEDaSZ_S10_SG_SL_EUlSZ_E_NS1_11comp_targetILNS1_3genE4ELNS1_11target_archE910ELNS1_3gpuE8ELNS1_3repE0EEENS1_47radix_sort_onesweep_sort_config_static_selectorELNS0_4arch9wavefront6targetE0EEEvSG_,@function
_ZN7rocprim17ROCPRIM_400000_NS6detail17trampoline_kernelINS0_14default_configENS1_35radix_sort_onesweep_config_selectorIaNS0_10empty_typeEEEZZNS1_29radix_sort_onesweep_iterationIS3_Lb1EPKaPaPS5_SB_mNS0_19identity_decomposerENS1_16block_id_wrapperIjLb0EEEEE10hipError_tT1_PNSt15iterator_traitsISG_E10value_typeET2_T3_PNSH_ISM_E10value_typeET4_T5_PSR_SS_PNS1_23onesweep_lookback_stateEbbT6_jjT7_P12ihipStream_tbENKUlT_T0_SG_SL_E_clISA_SA_SB_SB_EEDaSZ_S10_SG_SL_EUlSZ_E_NS1_11comp_targetILNS1_3genE4ELNS1_11target_archE910ELNS1_3gpuE8ELNS1_3repE0EEENS1_47radix_sort_onesweep_sort_config_static_selectorELNS0_4arch9wavefront6targetE0EEEvSG_: ; @_ZN7rocprim17ROCPRIM_400000_NS6detail17trampoline_kernelINS0_14default_configENS1_35radix_sort_onesweep_config_selectorIaNS0_10empty_typeEEEZZNS1_29radix_sort_onesweep_iterationIS3_Lb1EPKaPaPS5_SB_mNS0_19identity_decomposerENS1_16block_id_wrapperIjLb0EEEEE10hipError_tT1_PNSt15iterator_traitsISG_E10value_typeET2_T3_PNSH_ISM_E10value_typeET4_T5_PSR_SS_PNS1_23onesweep_lookback_stateEbbT6_jjT7_P12ihipStream_tbENKUlT_T0_SG_SL_E_clISA_SA_SB_SB_EEDaSZ_S10_SG_SL_EUlSZ_E_NS1_11comp_targetILNS1_3genE4ELNS1_11target_archE910ELNS1_3gpuE8ELNS1_3repE0EEENS1_47radix_sort_onesweep_sort_config_static_selectorELNS0_4arch9wavefront6targetE0EEEvSG_
; %bb.0:
	.section	.rodata,"a",@progbits
	.p2align	6, 0x0
	.amdhsa_kernel _ZN7rocprim17ROCPRIM_400000_NS6detail17trampoline_kernelINS0_14default_configENS1_35radix_sort_onesweep_config_selectorIaNS0_10empty_typeEEEZZNS1_29radix_sort_onesweep_iterationIS3_Lb1EPKaPaPS5_SB_mNS0_19identity_decomposerENS1_16block_id_wrapperIjLb0EEEEE10hipError_tT1_PNSt15iterator_traitsISG_E10value_typeET2_T3_PNSH_ISM_E10value_typeET4_T5_PSR_SS_PNS1_23onesweep_lookback_stateEbbT6_jjT7_P12ihipStream_tbENKUlT_T0_SG_SL_E_clISA_SA_SB_SB_EEDaSZ_S10_SG_SL_EUlSZ_E_NS1_11comp_targetILNS1_3genE4ELNS1_11target_archE910ELNS1_3gpuE8ELNS1_3repE0EEENS1_47radix_sort_onesweep_sort_config_static_selectorELNS0_4arch9wavefront6targetE0EEEvSG_
		.amdhsa_group_segment_fixed_size 0
		.amdhsa_private_segment_fixed_size 0
		.amdhsa_kernarg_size 88
		.amdhsa_user_sgpr_count 2
		.amdhsa_user_sgpr_dispatch_ptr 0
		.amdhsa_user_sgpr_queue_ptr 0
		.amdhsa_user_sgpr_kernarg_segment_ptr 1
		.amdhsa_user_sgpr_dispatch_id 0
		.amdhsa_user_sgpr_kernarg_preload_length 0
		.amdhsa_user_sgpr_kernarg_preload_offset 0
		.amdhsa_user_sgpr_private_segment_size 0
		.amdhsa_wavefront_size32 1
		.amdhsa_uses_dynamic_stack 0
		.amdhsa_enable_private_segment 0
		.amdhsa_system_sgpr_workgroup_id_x 1
		.amdhsa_system_sgpr_workgroup_id_y 0
		.amdhsa_system_sgpr_workgroup_id_z 0
		.amdhsa_system_sgpr_workgroup_info 0
		.amdhsa_system_vgpr_workitem_id 0
		.amdhsa_next_free_vgpr 1
		.amdhsa_next_free_sgpr 1
		.amdhsa_named_barrier_count 0
		.amdhsa_reserve_vcc 0
		.amdhsa_float_round_mode_32 0
		.amdhsa_float_round_mode_16_64 0
		.amdhsa_float_denorm_mode_32 3
		.amdhsa_float_denorm_mode_16_64 3
		.amdhsa_fp16_overflow 0
		.amdhsa_memory_ordered 1
		.amdhsa_forward_progress 1
		.amdhsa_inst_pref_size 0
		.amdhsa_round_robin_scheduling 0
		.amdhsa_exception_fp_ieee_invalid_op 0
		.amdhsa_exception_fp_denorm_src 0
		.amdhsa_exception_fp_ieee_div_zero 0
		.amdhsa_exception_fp_ieee_overflow 0
		.amdhsa_exception_fp_ieee_underflow 0
		.amdhsa_exception_fp_ieee_inexact 0
		.amdhsa_exception_int_div_zero 0
	.end_amdhsa_kernel
	.section	.text._ZN7rocprim17ROCPRIM_400000_NS6detail17trampoline_kernelINS0_14default_configENS1_35radix_sort_onesweep_config_selectorIaNS0_10empty_typeEEEZZNS1_29radix_sort_onesweep_iterationIS3_Lb1EPKaPaPS5_SB_mNS0_19identity_decomposerENS1_16block_id_wrapperIjLb0EEEEE10hipError_tT1_PNSt15iterator_traitsISG_E10value_typeET2_T3_PNSH_ISM_E10value_typeET4_T5_PSR_SS_PNS1_23onesweep_lookback_stateEbbT6_jjT7_P12ihipStream_tbENKUlT_T0_SG_SL_E_clISA_SA_SB_SB_EEDaSZ_S10_SG_SL_EUlSZ_E_NS1_11comp_targetILNS1_3genE4ELNS1_11target_archE910ELNS1_3gpuE8ELNS1_3repE0EEENS1_47radix_sort_onesweep_sort_config_static_selectorELNS0_4arch9wavefront6targetE0EEEvSG_,"axG",@progbits,_ZN7rocprim17ROCPRIM_400000_NS6detail17trampoline_kernelINS0_14default_configENS1_35radix_sort_onesweep_config_selectorIaNS0_10empty_typeEEEZZNS1_29radix_sort_onesweep_iterationIS3_Lb1EPKaPaPS5_SB_mNS0_19identity_decomposerENS1_16block_id_wrapperIjLb0EEEEE10hipError_tT1_PNSt15iterator_traitsISG_E10value_typeET2_T3_PNSH_ISM_E10value_typeET4_T5_PSR_SS_PNS1_23onesweep_lookback_stateEbbT6_jjT7_P12ihipStream_tbENKUlT_T0_SG_SL_E_clISA_SA_SB_SB_EEDaSZ_S10_SG_SL_EUlSZ_E_NS1_11comp_targetILNS1_3genE4ELNS1_11target_archE910ELNS1_3gpuE8ELNS1_3repE0EEENS1_47radix_sort_onesweep_sort_config_static_selectorELNS0_4arch9wavefront6targetE0EEEvSG_,comdat
.Lfunc_end386:
	.size	_ZN7rocprim17ROCPRIM_400000_NS6detail17trampoline_kernelINS0_14default_configENS1_35radix_sort_onesweep_config_selectorIaNS0_10empty_typeEEEZZNS1_29radix_sort_onesweep_iterationIS3_Lb1EPKaPaPS5_SB_mNS0_19identity_decomposerENS1_16block_id_wrapperIjLb0EEEEE10hipError_tT1_PNSt15iterator_traitsISG_E10value_typeET2_T3_PNSH_ISM_E10value_typeET4_T5_PSR_SS_PNS1_23onesweep_lookback_stateEbbT6_jjT7_P12ihipStream_tbENKUlT_T0_SG_SL_E_clISA_SA_SB_SB_EEDaSZ_S10_SG_SL_EUlSZ_E_NS1_11comp_targetILNS1_3genE4ELNS1_11target_archE910ELNS1_3gpuE8ELNS1_3repE0EEENS1_47radix_sort_onesweep_sort_config_static_selectorELNS0_4arch9wavefront6targetE0EEEvSG_, .Lfunc_end386-_ZN7rocprim17ROCPRIM_400000_NS6detail17trampoline_kernelINS0_14default_configENS1_35radix_sort_onesweep_config_selectorIaNS0_10empty_typeEEEZZNS1_29radix_sort_onesweep_iterationIS3_Lb1EPKaPaPS5_SB_mNS0_19identity_decomposerENS1_16block_id_wrapperIjLb0EEEEE10hipError_tT1_PNSt15iterator_traitsISG_E10value_typeET2_T3_PNSH_ISM_E10value_typeET4_T5_PSR_SS_PNS1_23onesweep_lookback_stateEbbT6_jjT7_P12ihipStream_tbENKUlT_T0_SG_SL_E_clISA_SA_SB_SB_EEDaSZ_S10_SG_SL_EUlSZ_E_NS1_11comp_targetILNS1_3genE4ELNS1_11target_archE910ELNS1_3gpuE8ELNS1_3repE0EEENS1_47radix_sort_onesweep_sort_config_static_selectorELNS0_4arch9wavefront6targetE0EEEvSG_
                                        ; -- End function
	.set _ZN7rocprim17ROCPRIM_400000_NS6detail17trampoline_kernelINS0_14default_configENS1_35radix_sort_onesweep_config_selectorIaNS0_10empty_typeEEEZZNS1_29radix_sort_onesweep_iterationIS3_Lb1EPKaPaPS5_SB_mNS0_19identity_decomposerENS1_16block_id_wrapperIjLb0EEEEE10hipError_tT1_PNSt15iterator_traitsISG_E10value_typeET2_T3_PNSH_ISM_E10value_typeET4_T5_PSR_SS_PNS1_23onesweep_lookback_stateEbbT6_jjT7_P12ihipStream_tbENKUlT_T0_SG_SL_E_clISA_SA_SB_SB_EEDaSZ_S10_SG_SL_EUlSZ_E_NS1_11comp_targetILNS1_3genE4ELNS1_11target_archE910ELNS1_3gpuE8ELNS1_3repE0EEENS1_47radix_sort_onesweep_sort_config_static_selectorELNS0_4arch9wavefront6targetE0EEEvSG_.num_vgpr, 0
	.set _ZN7rocprim17ROCPRIM_400000_NS6detail17trampoline_kernelINS0_14default_configENS1_35radix_sort_onesweep_config_selectorIaNS0_10empty_typeEEEZZNS1_29radix_sort_onesweep_iterationIS3_Lb1EPKaPaPS5_SB_mNS0_19identity_decomposerENS1_16block_id_wrapperIjLb0EEEEE10hipError_tT1_PNSt15iterator_traitsISG_E10value_typeET2_T3_PNSH_ISM_E10value_typeET4_T5_PSR_SS_PNS1_23onesweep_lookback_stateEbbT6_jjT7_P12ihipStream_tbENKUlT_T0_SG_SL_E_clISA_SA_SB_SB_EEDaSZ_S10_SG_SL_EUlSZ_E_NS1_11comp_targetILNS1_3genE4ELNS1_11target_archE910ELNS1_3gpuE8ELNS1_3repE0EEENS1_47radix_sort_onesweep_sort_config_static_selectorELNS0_4arch9wavefront6targetE0EEEvSG_.num_agpr, 0
	.set _ZN7rocprim17ROCPRIM_400000_NS6detail17trampoline_kernelINS0_14default_configENS1_35radix_sort_onesweep_config_selectorIaNS0_10empty_typeEEEZZNS1_29radix_sort_onesweep_iterationIS3_Lb1EPKaPaPS5_SB_mNS0_19identity_decomposerENS1_16block_id_wrapperIjLb0EEEEE10hipError_tT1_PNSt15iterator_traitsISG_E10value_typeET2_T3_PNSH_ISM_E10value_typeET4_T5_PSR_SS_PNS1_23onesweep_lookback_stateEbbT6_jjT7_P12ihipStream_tbENKUlT_T0_SG_SL_E_clISA_SA_SB_SB_EEDaSZ_S10_SG_SL_EUlSZ_E_NS1_11comp_targetILNS1_3genE4ELNS1_11target_archE910ELNS1_3gpuE8ELNS1_3repE0EEENS1_47radix_sort_onesweep_sort_config_static_selectorELNS0_4arch9wavefront6targetE0EEEvSG_.numbered_sgpr, 0
	.set _ZN7rocprim17ROCPRIM_400000_NS6detail17trampoline_kernelINS0_14default_configENS1_35radix_sort_onesweep_config_selectorIaNS0_10empty_typeEEEZZNS1_29radix_sort_onesweep_iterationIS3_Lb1EPKaPaPS5_SB_mNS0_19identity_decomposerENS1_16block_id_wrapperIjLb0EEEEE10hipError_tT1_PNSt15iterator_traitsISG_E10value_typeET2_T3_PNSH_ISM_E10value_typeET4_T5_PSR_SS_PNS1_23onesweep_lookback_stateEbbT6_jjT7_P12ihipStream_tbENKUlT_T0_SG_SL_E_clISA_SA_SB_SB_EEDaSZ_S10_SG_SL_EUlSZ_E_NS1_11comp_targetILNS1_3genE4ELNS1_11target_archE910ELNS1_3gpuE8ELNS1_3repE0EEENS1_47radix_sort_onesweep_sort_config_static_selectorELNS0_4arch9wavefront6targetE0EEEvSG_.num_named_barrier, 0
	.set _ZN7rocprim17ROCPRIM_400000_NS6detail17trampoline_kernelINS0_14default_configENS1_35radix_sort_onesweep_config_selectorIaNS0_10empty_typeEEEZZNS1_29radix_sort_onesweep_iterationIS3_Lb1EPKaPaPS5_SB_mNS0_19identity_decomposerENS1_16block_id_wrapperIjLb0EEEEE10hipError_tT1_PNSt15iterator_traitsISG_E10value_typeET2_T3_PNSH_ISM_E10value_typeET4_T5_PSR_SS_PNS1_23onesweep_lookback_stateEbbT6_jjT7_P12ihipStream_tbENKUlT_T0_SG_SL_E_clISA_SA_SB_SB_EEDaSZ_S10_SG_SL_EUlSZ_E_NS1_11comp_targetILNS1_3genE4ELNS1_11target_archE910ELNS1_3gpuE8ELNS1_3repE0EEENS1_47radix_sort_onesweep_sort_config_static_selectorELNS0_4arch9wavefront6targetE0EEEvSG_.private_seg_size, 0
	.set _ZN7rocprim17ROCPRIM_400000_NS6detail17trampoline_kernelINS0_14default_configENS1_35radix_sort_onesweep_config_selectorIaNS0_10empty_typeEEEZZNS1_29radix_sort_onesweep_iterationIS3_Lb1EPKaPaPS5_SB_mNS0_19identity_decomposerENS1_16block_id_wrapperIjLb0EEEEE10hipError_tT1_PNSt15iterator_traitsISG_E10value_typeET2_T3_PNSH_ISM_E10value_typeET4_T5_PSR_SS_PNS1_23onesweep_lookback_stateEbbT6_jjT7_P12ihipStream_tbENKUlT_T0_SG_SL_E_clISA_SA_SB_SB_EEDaSZ_S10_SG_SL_EUlSZ_E_NS1_11comp_targetILNS1_3genE4ELNS1_11target_archE910ELNS1_3gpuE8ELNS1_3repE0EEENS1_47radix_sort_onesweep_sort_config_static_selectorELNS0_4arch9wavefront6targetE0EEEvSG_.uses_vcc, 0
	.set _ZN7rocprim17ROCPRIM_400000_NS6detail17trampoline_kernelINS0_14default_configENS1_35radix_sort_onesweep_config_selectorIaNS0_10empty_typeEEEZZNS1_29radix_sort_onesweep_iterationIS3_Lb1EPKaPaPS5_SB_mNS0_19identity_decomposerENS1_16block_id_wrapperIjLb0EEEEE10hipError_tT1_PNSt15iterator_traitsISG_E10value_typeET2_T3_PNSH_ISM_E10value_typeET4_T5_PSR_SS_PNS1_23onesweep_lookback_stateEbbT6_jjT7_P12ihipStream_tbENKUlT_T0_SG_SL_E_clISA_SA_SB_SB_EEDaSZ_S10_SG_SL_EUlSZ_E_NS1_11comp_targetILNS1_3genE4ELNS1_11target_archE910ELNS1_3gpuE8ELNS1_3repE0EEENS1_47radix_sort_onesweep_sort_config_static_selectorELNS0_4arch9wavefront6targetE0EEEvSG_.uses_flat_scratch, 0
	.set _ZN7rocprim17ROCPRIM_400000_NS6detail17trampoline_kernelINS0_14default_configENS1_35radix_sort_onesweep_config_selectorIaNS0_10empty_typeEEEZZNS1_29radix_sort_onesweep_iterationIS3_Lb1EPKaPaPS5_SB_mNS0_19identity_decomposerENS1_16block_id_wrapperIjLb0EEEEE10hipError_tT1_PNSt15iterator_traitsISG_E10value_typeET2_T3_PNSH_ISM_E10value_typeET4_T5_PSR_SS_PNS1_23onesweep_lookback_stateEbbT6_jjT7_P12ihipStream_tbENKUlT_T0_SG_SL_E_clISA_SA_SB_SB_EEDaSZ_S10_SG_SL_EUlSZ_E_NS1_11comp_targetILNS1_3genE4ELNS1_11target_archE910ELNS1_3gpuE8ELNS1_3repE0EEENS1_47radix_sort_onesweep_sort_config_static_selectorELNS0_4arch9wavefront6targetE0EEEvSG_.has_dyn_sized_stack, 0
	.set _ZN7rocprim17ROCPRIM_400000_NS6detail17trampoline_kernelINS0_14default_configENS1_35radix_sort_onesweep_config_selectorIaNS0_10empty_typeEEEZZNS1_29radix_sort_onesweep_iterationIS3_Lb1EPKaPaPS5_SB_mNS0_19identity_decomposerENS1_16block_id_wrapperIjLb0EEEEE10hipError_tT1_PNSt15iterator_traitsISG_E10value_typeET2_T3_PNSH_ISM_E10value_typeET4_T5_PSR_SS_PNS1_23onesweep_lookback_stateEbbT6_jjT7_P12ihipStream_tbENKUlT_T0_SG_SL_E_clISA_SA_SB_SB_EEDaSZ_S10_SG_SL_EUlSZ_E_NS1_11comp_targetILNS1_3genE4ELNS1_11target_archE910ELNS1_3gpuE8ELNS1_3repE0EEENS1_47radix_sort_onesweep_sort_config_static_selectorELNS0_4arch9wavefront6targetE0EEEvSG_.has_recursion, 0
	.set _ZN7rocprim17ROCPRIM_400000_NS6detail17trampoline_kernelINS0_14default_configENS1_35radix_sort_onesweep_config_selectorIaNS0_10empty_typeEEEZZNS1_29radix_sort_onesweep_iterationIS3_Lb1EPKaPaPS5_SB_mNS0_19identity_decomposerENS1_16block_id_wrapperIjLb0EEEEE10hipError_tT1_PNSt15iterator_traitsISG_E10value_typeET2_T3_PNSH_ISM_E10value_typeET4_T5_PSR_SS_PNS1_23onesweep_lookback_stateEbbT6_jjT7_P12ihipStream_tbENKUlT_T0_SG_SL_E_clISA_SA_SB_SB_EEDaSZ_S10_SG_SL_EUlSZ_E_NS1_11comp_targetILNS1_3genE4ELNS1_11target_archE910ELNS1_3gpuE8ELNS1_3repE0EEENS1_47radix_sort_onesweep_sort_config_static_selectorELNS0_4arch9wavefront6targetE0EEEvSG_.has_indirect_call, 0
	.section	.AMDGPU.csdata,"",@progbits
; Kernel info:
; codeLenInByte = 0
; TotalNumSgprs: 0
; NumVgprs: 0
; ScratchSize: 0
; MemoryBound: 0
; FloatMode: 240
; IeeeMode: 1
; LDSByteSize: 0 bytes/workgroup (compile time only)
; SGPRBlocks: 0
; VGPRBlocks: 0
; NumSGPRsForWavesPerEU: 1
; NumVGPRsForWavesPerEU: 1
; NamedBarCnt: 0
; Occupancy: 16
; WaveLimiterHint : 0
; COMPUTE_PGM_RSRC2:SCRATCH_EN: 0
; COMPUTE_PGM_RSRC2:USER_SGPR: 2
; COMPUTE_PGM_RSRC2:TRAP_HANDLER: 0
; COMPUTE_PGM_RSRC2:TGID_X_EN: 1
; COMPUTE_PGM_RSRC2:TGID_Y_EN: 0
; COMPUTE_PGM_RSRC2:TGID_Z_EN: 0
; COMPUTE_PGM_RSRC2:TIDIG_COMP_CNT: 0
	.section	.text._ZN7rocprim17ROCPRIM_400000_NS6detail17trampoline_kernelINS0_14default_configENS1_35radix_sort_onesweep_config_selectorIaNS0_10empty_typeEEEZZNS1_29radix_sort_onesweep_iterationIS3_Lb1EPKaPaPS5_SB_mNS0_19identity_decomposerENS1_16block_id_wrapperIjLb0EEEEE10hipError_tT1_PNSt15iterator_traitsISG_E10value_typeET2_T3_PNSH_ISM_E10value_typeET4_T5_PSR_SS_PNS1_23onesweep_lookback_stateEbbT6_jjT7_P12ihipStream_tbENKUlT_T0_SG_SL_E_clISA_SA_SB_SB_EEDaSZ_S10_SG_SL_EUlSZ_E_NS1_11comp_targetILNS1_3genE3ELNS1_11target_archE908ELNS1_3gpuE7ELNS1_3repE0EEENS1_47radix_sort_onesweep_sort_config_static_selectorELNS0_4arch9wavefront6targetE0EEEvSG_,"axG",@progbits,_ZN7rocprim17ROCPRIM_400000_NS6detail17trampoline_kernelINS0_14default_configENS1_35radix_sort_onesweep_config_selectorIaNS0_10empty_typeEEEZZNS1_29radix_sort_onesweep_iterationIS3_Lb1EPKaPaPS5_SB_mNS0_19identity_decomposerENS1_16block_id_wrapperIjLb0EEEEE10hipError_tT1_PNSt15iterator_traitsISG_E10value_typeET2_T3_PNSH_ISM_E10value_typeET4_T5_PSR_SS_PNS1_23onesweep_lookback_stateEbbT6_jjT7_P12ihipStream_tbENKUlT_T0_SG_SL_E_clISA_SA_SB_SB_EEDaSZ_S10_SG_SL_EUlSZ_E_NS1_11comp_targetILNS1_3genE3ELNS1_11target_archE908ELNS1_3gpuE7ELNS1_3repE0EEENS1_47radix_sort_onesweep_sort_config_static_selectorELNS0_4arch9wavefront6targetE0EEEvSG_,comdat
	.protected	_ZN7rocprim17ROCPRIM_400000_NS6detail17trampoline_kernelINS0_14default_configENS1_35radix_sort_onesweep_config_selectorIaNS0_10empty_typeEEEZZNS1_29radix_sort_onesweep_iterationIS3_Lb1EPKaPaPS5_SB_mNS0_19identity_decomposerENS1_16block_id_wrapperIjLb0EEEEE10hipError_tT1_PNSt15iterator_traitsISG_E10value_typeET2_T3_PNSH_ISM_E10value_typeET4_T5_PSR_SS_PNS1_23onesweep_lookback_stateEbbT6_jjT7_P12ihipStream_tbENKUlT_T0_SG_SL_E_clISA_SA_SB_SB_EEDaSZ_S10_SG_SL_EUlSZ_E_NS1_11comp_targetILNS1_3genE3ELNS1_11target_archE908ELNS1_3gpuE7ELNS1_3repE0EEENS1_47radix_sort_onesweep_sort_config_static_selectorELNS0_4arch9wavefront6targetE0EEEvSG_ ; -- Begin function _ZN7rocprim17ROCPRIM_400000_NS6detail17trampoline_kernelINS0_14default_configENS1_35radix_sort_onesweep_config_selectorIaNS0_10empty_typeEEEZZNS1_29radix_sort_onesweep_iterationIS3_Lb1EPKaPaPS5_SB_mNS0_19identity_decomposerENS1_16block_id_wrapperIjLb0EEEEE10hipError_tT1_PNSt15iterator_traitsISG_E10value_typeET2_T3_PNSH_ISM_E10value_typeET4_T5_PSR_SS_PNS1_23onesweep_lookback_stateEbbT6_jjT7_P12ihipStream_tbENKUlT_T0_SG_SL_E_clISA_SA_SB_SB_EEDaSZ_S10_SG_SL_EUlSZ_E_NS1_11comp_targetILNS1_3genE3ELNS1_11target_archE908ELNS1_3gpuE7ELNS1_3repE0EEENS1_47radix_sort_onesweep_sort_config_static_selectorELNS0_4arch9wavefront6targetE0EEEvSG_
	.globl	_ZN7rocprim17ROCPRIM_400000_NS6detail17trampoline_kernelINS0_14default_configENS1_35radix_sort_onesweep_config_selectorIaNS0_10empty_typeEEEZZNS1_29radix_sort_onesweep_iterationIS3_Lb1EPKaPaPS5_SB_mNS0_19identity_decomposerENS1_16block_id_wrapperIjLb0EEEEE10hipError_tT1_PNSt15iterator_traitsISG_E10value_typeET2_T3_PNSH_ISM_E10value_typeET4_T5_PSR_SS_PNS1_23onesweep_lookback_stateEbbT6_jjT7_P12ihipStream_tbENKUlT_T0_SG_SL_E_clISA_SA_SB_SB_EEDaSZ_S10_SG_SL_EUlSZ_E_NS1_11comp_targetILNS1_3genE3ELNS1_11target_archE908ELNS1_3gpuE7ELNS1_3repE0EEENS1_47radix_sort_onesweep_sort_config_static_selectorELNS0_4arch9wavefront6targetE0EEEvSG_
	.p2align	8
	.type	_ZN7rocprim17ROCPRIM_400000_NS6detail17trampoline_kernelINS0_14default_configENS1_35radix_sort_onesweep_config_selectorIaNS0_10empty_typeEEEZZNS1_29radix_sort_onesweep_iterationIS3_Lb1EPKaPaPS5_SB_mNS0_19identity_decomposerENS1_16block_id_wrapperIjLb0EEEEE10hipError_tT1_PNSt15iterator_traitsISG_E10value_typeET2_T3_PNSH_ISM_E10value_typeET4_T5_PSR_SS_PNS1_23onesweep_lookback_stateEbbT6_jjT7_P12ihipStream_tbENKUlT_T0_SG_SL_E_clISA_SA_SB_SB_EEDaSZ_S10_SG_SL_EUlSZ_E_NS1_11comp_targetILNS1_3genE3ELNS1_11target_archE908ELNS1_3gpuE7ELNS1_3repE0EEENS1_47radix_sort_onesweep_sort_config_static_selectorELNS0_4arch9wavefront6targetE0EEEvSG_,@function
_ZN7rocprim17ROCPRIM_400000_NS6detail17trampoline_kernelINS0_14default_configENS1_35radix_sort_onesweep_config_selectorIaNS0_10empty_typeEEEZZNS1_29radix_sort_onesweep_iterationIS3_Lb1EPKaPaPS5_SB_mNS0_19identity_decomposerENS1_16block_id_wrapperIjLb0EEEEE10hipError_tT1_PNSt15iterator_traitsISG_E10value_typeET2_T3_PNSH_ISM_E10value_typeET4_T5_PSR_SS_PNS1_23onesweep_lookback_stateEbbT6_jjT7_P12ihipStream_tbENKUlT_T0_SG_SL_E_clISA_SA_SB_SB_EEDaSZ_S10_SG_SL_EUlSZ_E_NS1_11comp_targetILNS1_3genE3ELNS1_11target_archE908ELNS1_3gpuE7ELNS1_3repE0EEENS1_47radix_sort_onesweep_sort_config_static_selectorELNS0_4arch9wavefront6targetE0EEEvSG_: ; @_ZN7rocprim17ROCPRIM_400000_NS6detail17trampoline_kernelINS0_14default_configENS1_35radix_sort_onesweep_config_selectorIaNS0_10empty_typeEEEZZNS1_29radix_sort_onesweep_iterationIS3_Lb1EPKaPaPS5_SB_mNS0_19identity_decomposerENS1_16block_id_wrapperIjLb0EEEEE10hipError_tT1_PNSt15iterator_traitsISG_E10value_typeET2_T3_PNSH_ISM_E10value_typeET4_T5_PSR_SS_PNS1_23onesweep_lookback_stateEbbT6_jjT7_P12ihipStream_tbENKUlT_T0_SG_SL_E_clISA_SA_SB_SB_EEDaSZ_S10_SG_SL_EUlSZ_E_NS1_11comp_targetILNS1_3genE3ELNS1_11target_archE908ELNS1_3gpuE7ELNS1_3repE0EEENS1_47radix_sort_onesweep_sort_config_static_selectorELNS0_4arch9wavefront6targetE0EEEvSG_
; %bb.0:
	.section	.rodata,"a",@progbits
	.p2align	6, 0x0
	.amdhsa_kernel _ZN7rocprim17ROCPRIM_400000_NS6detail17trampoline_kernelINS0_14default_configENS1_35radix_sort_onesweep_config_selectorIaNS0_10empty_typeEEEZZNS1_29radix_sort_onesweep_iterationIS3_Lb1EPKaPaPS5_SB_mNS0_19identity_decomposerENS1_16block_id_wrapperIjLb0EEEEE10hipError_tT1_PNSt15iterator_traitsISG_E10value_typeET2_T3_PNSH_ISM_E10value_typeET4_T5_PSR_SS_PNS1_23onesweep_lookback_stateEbbT6_jjT7_P12ihipStream_tbENKUlT_T0_SG_SL_E_clISA_SA_SB_SB_EEDaSZ_S10_SG_SL_EUlSZ_E_NS1_11comp_targetILNS1_3genE3ELNS1_11target_archE908ELNS1_3gpuE7ELNS1_3repE0EEENS1_47radix_sort_onesweep_sort_config_static_selectorELNS0_4arch9wavefront6targetE0EEEvSG_
		.amdhsa_group_segment_fixed_size 0
		.amdhsa_private_segment_fixed_size 0
		.amdhsa_kernarg_size 88
		.amdhsa_user_sgpr_count 2
		.amdhsa_user_sgpr_dispatch_ptr 0
		.amdhsa_user_sgpr_queue_ptr 0
		.amdhsa_user_sgpr_kernarg_segment_ptr 1
		.amdhsa_user_sgpr_dispatch_id 0
		.amdhsa_user_sgpr_kernarg_preload_length 0
		.amdhsa_user_sgpr_kernarg_preload_offset 0
		.amdhsa_user_sgpr_private_segment_size 0
		.amdhsa_wavefront_size32 1
		.amdhsa_uses_dynamic_stack 0
		.amdhsa_enable_private_segment 0
		.amdhsa_system_sgpr_workgroup_id_x 1
		.amdhsa_system_sgpr_workgroup_id_y 0
		.amdhsa_system_sgpr_workgroup_id_z 0
		.amdhsa_system_sgpr_workgroup_info 0
		.amdhsa_system_vgpr_workitem_id 0
		.amdhsa_next_free_vgpr 1
		.amdhsa_next_free_sgpr 1
		.amdhsa_named_barrier_count 0
		.amdhsa_reserve_vcc 0
		.amdhsa_float_round_mode_32 0
		.amdhsa_float_round_mode_16_64 0
		.amdhsa_float_denorm_mode_32 3
		.amdhsa_float_denorm_mode_16_64 3
		.amdhsa_fp16_overflow 0
		.amdhsa_memory_ordered 1
		.amdhsa_forward_progress 1
		.amdhsa_inst_pref_size 0
		.amdhsa_round_robin_scheduling 0
		.amdhsa_exception_fp_ieee_invalid_op 0
		.amdhsa_exception_fp_denorm_src 0
		.amdhsa_exception_fp_ieee_div_zero 0
		.amdhsa_exception_fp_ieee_overflow 0
		.amdhsa_exception_fp_ieee_underflow 0
		.amdhsa_exception_fp_ieee_inexact 0
		.amdhsa_exception_int_div_zero 0
	.end_amdhsa_kernel
	.section	.text._ZN7rocprim17ROCPRIM_400000_NS6detail17trampoline_kernelINS0_14default_configENS1_35radix_sort_onesweep_config_selectorIaNS0_10empty_typeEEEZZNS1_29radix_sort_onesweep_iterationIS3_Lb1EPKaPaPS5_SB_mNS0_19identity_decomposerENS1_16block_id_wrapperIjLb0EEEEE10hipError_tT1_PNSt15iterator_traitsISG_E10value_typeET2_T3_PNSH_ISM_E10value_typeET4_T5_PSR_SS_PNS1_23onesweep_lookback_stateEbbT6_jjT7_P12ihipStream_tbENKUlT_T0_SG_SL_E_clISA_SA_SB_SB_EEDaSZ_S10_SG_SL_EUlSZ_E_NS1_11comp_targetILNS1_3genE3ELNS1_11target_archE908ELNS1_3gpuE7ELNS1_3repE0EEENS1_47radix_sort_onesweep_sort_config_static_selectorELNS0_4arch9wavefront6targetE0EEEvSG_,"axG",@progbits,_ZN7rocprim17ROCPRIM_400000_NS6detail17trampoline_kernelINS0_14default_configENS1_35radix_sort_onesweep_config_selectorIaNS0_10empty_typeEEEZZNS1_29radix_sort_onesweep_iterationIS3_Lb1EPKaPaPS5_SB_mNS0_19identity_decomposerENS1_16block_id_wrapperIjLb0EEEEE10hipError_tT1_PNSt15iterator_traitsISG_E10value_typeET2_T3_PNSH_ISM_E10value_typeET4_T5_PSR_SS_PNS1_23onesweep_lookback_stateEbbT6_jjT7_P12ihipStream_tbENKUlT_T0_SG_SL_E_clISA_SA_SB_SB_EEDaSZ_S10_SG_SL_EUlSZ_E_NS1_11comp_targetILNS1_3genE3ELNS1_11target_archE908ELNS1_3gpuE7ELNS1_3repE0EEENS1_47radix_sort_onesweep_sort_config_static_selectorELNS0_4arch9wavefront6targetE0EEEvSG_,comdat
.Lfunc_end387:
	.size	_ZN7rocprim17ROCPRIM_400000_NS6detail17trampoline_kernelINS0_14default_configENS1_35radix_sort_onesweep_config_selectorIaNS0_10empty_typeEEEZZNS1_29radix_sort_onesweep_iterationIS3_Lb1EPKaPaPS5_SB_mNS0_19identity_decomposerENS1_16block_id_wrapperIjLb0EEEEE10hipError_tT1_PNSt15iterator_traitsISG_E10value_typeET2_T3_PNSH_ISM_E10value_typeET4_T5_PSR_SS_PNS1_23onesweep_lookback_stateEbbT6_jjT7_P12ihipStream_tbENKUlT_T0_SG_SL_E_clISA_SA_SB_SB_EEDaSZ_S10_SG_SL_EUlSZ_E_NS1_11comp_targetILNS1_3genE3ELNS1_11target_archE908ELNS1_3gpuE7ELNS1_3repE0EEENS1_47radix_sort_onesweep_sort_config_static_selectorELNS0_4arch9wavefront6targetE0EEEvSG_, .Lfunc_end387-_ZN7rocprim17ROCPRIM_400000_NS6detail17trampoline_kernelINS0_14default_configENS1_35radix_sort_onesweep_config_selectorIaNS0_10empty_typeEEEZZNS1_29radix_sort_onesweep_iterationIS3_Lb1EPKaPaPS5_SB_mNS0_19identity_decomposerENS1_16block_id_wrapperIjLb0EEEEE10hipError_tT1_PNSt15iterator_traitsISG_E10value_typeET2_T3_PNSH_ISM_E10value_typeET4_T5_PSR_SS_PNS1_23onesweep_lookback_stateEbbT6_jjT7_P12ihipStream_tbENKUlT_T0_SG_SL_E_clISA_SA_SB_SB_EEDaSZ_S10_SG_SL_EUlSZ_E_NS1_11comp_targetILNS1_3genE3ELNS1_11target_archE908ELNS1_3gpuE7ELNS1_3repE0EEENS1_47radix_sort_onesweep_sort_config_static_selectorELNS0_4arch9wavefront6targetE0EEEvSG_
                                        ; -- End function
	.set _ZN7rocprim17ROCPRIM_400000_NS6detail17trampoline_kernelINS0_14default_configENS1_35radix_sort_onesweep_config_selectorIaNS0_10empty_typeEEEZZNS1_29radix_sort_onesweep_iterationIS3_Lb1EPKaPaPS5_SB_mNS0_19identity_decomposerENS1_16block_id_wrapperIjLb0EEEEE10hipError_tT1_PNSt15iterator_traitsISG_E10value_typeET2_T3_PNSH_ISM_E10value_typeET4_T5_PSR_SS_PNS1_23onesweep_lookback_stateEbbT6_jjT7_P12ihipStream_tbENKUlT_T0_SG_SL_E_clISA_SA_SB_SB_EEDaSZ_S10_SG_SL_EUlSZ_E_NS1_11comp_targetILNS1_3genE3ELNS1_11target_archE908ELNS1_3gpuE7ELNS1_3repE0EEENS1_47radix_sort_onesweep_sort_config_static_selectorELNS0_4arch9wavefront6targetE0EEEvSG_.num_vgpr, 0
	.set _ZN7rocprim17ROCPRIM_400000_NS6detail17trampoline_kernelINS0_14default_configENS1_35radix_sort_onesweep_config_selectorIaNS0_10empty_typeEEEZZNS1_29radix_sort_onesweep_iterationIS3_Lb1EPKaPaPS5_SB_mNS0_19identity_decomposerENS1_16block_id_wrapperIjLb0EEEEE10hipError_tT1_PNSt15iterator_traitsISG_E10value_typeET2_T3_PNSH_ISM_E10value_typeET4_T5_PSR_SS_PNS1_23onesweep_lookback_stateEbbT6_jjT7_P12ihipStream_tbENKUlT_T0_SG_SL_E_clISA_SA_SB_SB_EEDaSZ_S10_SG_SL_EUlSZ_E_NS1_11comp_targetILNS1_3genE3ELNS1_11target_archE908ELNS1_3gpuE7ELNS1_3repE0EEENS1_47radix_sort_onesweep_sort_config_static_selectorELNS0_4arch9wavefront6targetE0EEEvSG_.num_agpr, 0
	.set _ZN7rocprim17ROCPRIM_400000_NS6detail17trampoline_kernelINS0_14default_configENS1_35radix_sort_onesweep_config_selectorIaNS0_10empty_typeEEEZZNS1_29radix_sort_onesweep_iterationIS3_Lb1EPKaPaPS5_SB_mNS0_19identity_decomposerENS1_16block_id_wrapperIjLb0EEEEE10hipError_tT1_PNSt15iterator_traitsISG_E10value_typeET2_T3_PNSH_ISM_E10value_typeET4_T5_PSR_SS_PNS1_23onesweep_lookback_stateEbbT6_jjT7_P12ihipStream_tbENKUlT_T0_SG_SL_E_clISA_SA_SB_SB_EEDaSZ_S10_SG_SL_EUlSZ_E_NS1_11comp_targetILNS1_3genE3ELNS1_11target_archE908ELNS1_3gpuE7ELNS1_3repE0EEENS1_47radix_sort_onesweep_sort_config_static_selectorELNS0_4arch9wavefront6targetE0EEEvSG_.numbered_sgpr, 0
	.set _ZN7rocprim17ROCPRIM_400000_NS6detail17trampoline_kernelINS0_14default_configENS1_35radix_sort_onesweep_config_selectorIaNS0_10empty_typeEEEZZNS1_29radix_sort_onesweep_iterationIS3_Lb1EPKaPaPS5_SB_mNS0_19identity_decomposerENS1_16block_id_wrapperIjLb0EEEEE10hipError_tT1_PNSt15iterator_traitsISG_E10value_typeET2_T3_PNSH_ISM_E10value_typeET4_T5_PSR_SS_PNS1_23onesweep_lookback_stateEbbT6_jjT7_P12ihipStream_tbENKUlT_T0_SG_SL_E_clISA_SA_SB_SB_EEDaSZ_S10_SG_SL_EUlSZ_E_NS1_11comp_targetILNS1_3genE3ELNS1_11target_archE908ELNS1_3gpuE7ELNS1_3repE0EEENS1_47radix_sort_onesweep_sort_config_static_selectorELNS0_4arch9wavefront6targetE0EEEvSG_.num_named_barrier, 0
	.set _ZN7rocprim17ROCPRIM_400000_NS6detail17trampoline_kernelINS0_14default_configENS1_35radix_sort_onesweep_config_selectorIaNS0_10empty_typeEEEZZNS1_29radix_sort_onesweep_iterationIS3_Lb1EPKaPaPS5_SB_mNS0_19identity_decomposerENS1_16block_id_wrapperIjLb0EEEEE10hipError_tT1_PNSt15iterator_traitsISG_E10value_typeET2_T3_PNSH_ISM_E10value_typeET4_T5_PSR_SS_PNS1_23onesweep_lookback_stateEbbT6_jjT7_P12ihipStream_tbENKUlT_T0_SG_SL_E_clISA_SA_SB_SB_EEDaSZ_S10_SG_SL_EUlSZ_E_NS1_11comp_targetILNS1_3genE3ELNS1_11target_archE908ELNS1_3gpuE7ELNS1_3repE0EEENS1_47radix_sort_onesweep_sort_config_static_selectorELNS0_4arch9wavefront6targetE0EEEvSG_.private_seg_size, 0
	.set _ZN7rocprim17ROCPRIM_400000_NS6detail17trampoline_kernelINS0_14default_configENS1_35radix_sort_onesweep_config_selectorIaNS0_10empty_typeEEEZZNS1_29radix_sort_onesweep_iterationIS3_Lb1EPKaPaPS5_SB_mNS0_19identity_decomposerENS1_16block_id_wrapperIjLb0EEEEE10hipError_tT1_PNSt15iterator_traitsISG_E10value_typeET2_T3_PNSH_ISM_E10value_typeET4_T5_PSR_SS_PNS1_23onesweep_lookback_stateEbbT6_jjT7_P12ihipStream_tbENKUlT_T0_SG_SL_E_clISA_SA_SB_SB_EEDaSZ_S10_SG_SL_EUlSZ_E_NS1_11comp_targetILNS1_3genE3ELNS1_11target_archE908ELNS1_3gpuE7ELNS1_3repE0EEENS1_47radix_sort_onesweep_sort_config_static_selectorELNS0_4arch9wavefront6targetE0EEEvSG_.uses_vcc, 0
	.set _ZN7rocprim17ROCPRIM_400000_NS6detail17trampoline_kernelINS0_14default_configENS1_35radix_sort_onesweep_config_selectorIaNS0_10empty_typeEEEZZNS1_29radix_sort_onesweep_iterationIS3_Lb1EPKaPaPS5_SB_mNS0_19identity_decomposerENS1_16block_id_wrapperIjLb0EEEEE10hipError_tT1_PNSt15iterator_traitsISG_E10value_typeET2_T3_PNSH_ISM_E10value_typeET4_T5_PSR_SS_PNS1_23onesweep_lookback_stateEbbT6_jjT7_P12ihipStream_tbENKUlT_T0_SG_SL_E_clISA_SA_SB_SB_EEDaSZ_S10_SG_SL_EUlSZ_E_NS1_11comp_targetILNS1_3genE3ELNS1_11target_archE908ELNS1_3gpuE7ELNS1_3repE0EEENS1_47radix_sort_onesweep_sort_config_static_selectorELNS0_4arch9wavefront6targetE0EEEvSG_.uses_flat_scratch, 0
	.set _ZN7rocprim17ROCPRIM_400000_NS6detail17trampoline_kernelINS0_14default_configENS1_35radix_sort_onesweep_config_selectorIaNS0_10empty_typeEEEZZNS1_29radix_sort_onesweep_iterationIS3_Lb1EPKaPaPS5_SB_mNS0_19identity_decomposerENS1_16block_id_wrapperIjLb0EEEEE10hipError_tT1_PNSt15iterator_traitsISG_E10value_typeET2_T3_PNSH_ISM_E10value_typeET4_T5_PSR_SS_PNS1_23onesweep_lookback_stateEbbT6_jjT7_P12ihipStream_tbENKUlT_T0_SG_SL_E_clISA_SA_SB_SB_EEDaSZ_S10_SG_SL_EUlSZ_E_NS1_11comp_targetILNS1_3genE3ELNS1_11target_archE908ELNS1_3gpuE7ELNS1_3repE0EEENS1_47radix_sort_onesweep_sort_config_static_selectorELNS0_4arch9wavefront6targetE0EEEvSG_.has_dyn_sized_stack, 0
	.set _ZN7rocprim17ROCPRIM_400000_NS6detail17trampoline_kernelINS0_14default_configENS1_35radix_sort_onesweep_config_selectorIaNS0_10empty_typeEEEZZNS1_29radix_sort_onesweep_iterationIS3_Lb1EPKaPaPS5_SB_mNS0_19identity_decomposerENS1_16block_id_wrapperIjLb0EEEEE10hipError_tT1_PNSt15iterator_traitsISG_E10value_typeET2_T3_PNSH_ISM_E10value_typeET4_T5_PSR_SS_PNS1_23onesweep_lookback_stateEbbT6_jjT7_P12ihipStream_tbENKUlT_T0_SG_SL_E_clISA_SA_SB_SB_EEDaSZ_S10_SG_SL_EUlSZ_E_NS1_11comp_targetILNS1_3genE3ELNS1_11target_archE908ELNS1_3gpuE7ELNS1_3repE0EEENS1_47radix_sort_onesweep_sort_config_static_selectorELNS0_4arch9wavefront6targetE0EEEvSG_.has_recursion, 0
	.set _ZN7rocprim17ROCPRIM_400000_NS6detail17trampoline_kernelINS0_14default_configENS1_35radix_sort_onesweep_config_selectorIaNS0_10empty_typeEEEZZNS1_29radix_sort_onesweep_iterationIS3_Lb1EPKaPaPS5_SB_mNS0_19identity_decomposerENS1_16block_id_wrapperIjLb0EEEEE10hipError_tT1_PNSt15iterator_traitsISG_E10value_typeET2_T3_PNSH_ISM_E10value_typeET4_T5_PSR_SS_PNS1_23onesweep_lookback_stateEbbT6_jjT7_P12ihipStream_tbENKUlT_T0_SG_SL_E_clISA_SA_SB_SB_EEDaSZ_S10_SG_SL_EUlSZ_E_NS1_11comp_targetILNS1_3genE3ELNS1_11target_archE908ELNS1_3gpuE7ELNS1_3repE0EEENS1_47radix_sort_onesweep_sort_config_static_selectorELNS0_4arch9wavefront6targetE0EEEvSG_.has_indirect_call, 0
	.section	.AMDGPU.csdata,"",@progbits
; Kernel info:
; codeLenInByte = 0
; TotalNumSgprs: 0
; NumVgprs: 0
; ScratchSize: 0
; MemoryBound: 0
; FloatMode: 240
; IeeeMode: 1
; LDSByteSize: 0 bytes/workgroup (compile time only)
; SGPRBlocks: 0
; VGPRBlocks: 0
; NumSGPRsForWavesPerEU: 1
; NumVGPRsForWavesPerEU: 1
; NamedBarCnt: 0
; Occupancy: 16
; WaveLimiterHint : 0
; COMPUTE_PGM_RSRC2:SCRATCH_EN: 0
; COMPUTE_PGM_RSRC2:USER_SGPR: 2
; COMPUTE_PGM_RSRC2:TRAP_HANDLER: 0
; COMPUTE_PGM_RSRC2:TGID_X_EN: 1
; COMPUTE_PGM_RSRC2:TGID_Y_EN: 0
; COMPUTE_PGM_RSRC2:TGID_Z_EN: 0
; COMPUTE_PGM_RSRC2:TIDIG_COMP_CNT: 0
	.section	.text._ZN7rocprim17ROCPRIM_400000_NS6detail17trampoline_kernelINS0_14default_configENS1_35radix_sort_onesweep_config_selectorIaNS0_10empty_typeEEEZZNS1_29radix_sort_onesweep_iterationIS3_Lb1EPKaPaPS5_SB_mNS0_19identity_decomposerENS1_16block_id_wrapperIjLb0EEEEE10hipError_tT1_PNSt15iterator_traitsISG_E10value_typeET2_T3_PNSH_ISM_E10value_typeET4_T5_PSR_SS_PNS1_23onesweep_lookback_stateEbbT6_jjT7_P12ihipStream_tbENKUlT_T0_SG_SL_E_clISA_SA_SB_SB_EEDaSZ_S10_SG_SL_EUlSZ_E_NS1_11comp_targetILNS1_3genE10ELNS1_11target_archE1201ELNS1_3gpuE5ELNS1_3repE0EEENS1_47radix_sort_onesweep_sort_config_static_selectorELNS0_4arch9wavefront6targetE0EEEvSG_,"axG",@progbits,_ZN7rocprim17ROCPRIM_400000_NS6detail17trampoline_kernelINS0_14default_configENS1_35radix_sort_onesweep_config_selectorIaNS0_10empty_typeEEEZZNS1_29radix_sort_onesweep_iterationIS3_Lb1EPKaPaPS5_SB_mNS0_19identity_decomposerENS1_16block_id_wrapperIjLb0EEEEE10hipError_tT1_PNSt15iterator_traitsISG_E10value_typeET2_T3_PNSH_ISM_E10value_typeET4_T5_PSR_SS_PNS1_23onesweep_lookback_stateEbbT6_jjT7_P12ihipStream_tbENKUlT_T0_SG_SL_E_clISA_SA_SB_SB_EEDaSZ_S10_SG_SL_EUlSZ_E_NS1_11comp_targetILNS1_3genE10ELNS1_11target_archE1201ELNS1_3gpuE5ELNS1_3repE0EEENS1_47radix_sort_onesweep_sort_config_static_selectorELNS0_4arch9wavefront6targetE0EEEvSG_,comdat
	.protected	_ZN7rocprim17ROCPRIM_400000_NS6detail17trampoline_kernelINS0_14default_configENS1_35radix_sort_onesweep_config_selectorIaNS0_10empty_typeEEEZZNS1_29radix_sort_onesweep_iterationIS3_Lb1EPKaPaPS5_SB_mNS0_19identity_decomposerENS1_16block_id_wrapperIjLb0EEEEE10hipError_tT1_PNSt15iterator_traitsISG_E10value_typeET2_T3_PNSH_ISM_E10value_typeET4_T5_PSR_SS_PNS1_23onesweep_lookback_stateEbbT6_jjT7_P12ihipStream_tbENKUlT_T0_SG_SL_E_clISA_SA_SB_SB_EEDaSZ_S10_SG_SL_EUlSZ_E_NS1_11comp_targetILNS1_3genE10ELNS1_11target_archE1201ELNS1_3gpuE5ELNS1_3repE0EEENS1_47radix_sort_onesweep_sort_config_static_selectorELNS0_4arch9wavefront6targetE0EEEvSG_ ; -- Begin function _ZN7rocprim17ROCPRIM_400000_NS6detail17trampoline_kernelINS0_14default_configENS1_35radix_sort_onesweep_config_selectorIaNS0_10empty_typeEEEZZNS1_29radix_sort_onesweep_iterationIS3_Lb1EPKaPaPS5_SB_mNS0_19identity_decomposerENS1_16block_id_wrapperIjLb0EEEEE10hipError_tT1_PNSt15iterator_traitsISG_E10value_typeET2_T3_PNSH_ISM_E10value_typeET4_T5_PSR_SS_PNS1_23onesweep_lookback_stateEbbT6_jjT7_P12ihipStream_tbENKUlT_T0_SG_SL_E_clISA_SA_SB_SB_EEDaSZ_S10_SG_SL_EUlSZ_E_NS1_11comp_targetILNS1_3genE10ELNS1_11target_archE1201ELNS1_3gpuE5ELNS1_3repE0EEENS1_47radix_sort_onesweep_sort_config_static_selectorELNS0_4arch9wavefront6targetE0EEEvSG_
	.globl	_ZN7rocprim17ROCPRIM_400000_NS6detail17trampoline_kernelINS0_14default_configENS1_35radix_sort_onesweep_config_selectorIaNS0_10empty_typeEEEZZNS1_29radix_sort_onesweep_iterationIS3_Lb1EPKaPaPS5_SB_mNS0_19identity_decomposerENS1_16block_id_wrapperIjLb0EEEEE10hipError_tT1_PNSt15iterator_traitsISG_E10value_typeET2_T3_PNSH_ISM_E10value_typeET4_T5_PSR_SS_PNS1_23onesweep_lookback_stateEbbT6_jjT7_P12ihipStream_tbENKUlT_T0_SG_SL_E_clISA_SA_SB_SB_EEDaSZ_S10_SG_SL_EUlSZ_E_NS1_11comp_targetILNS1_3genE10ELNS1_11target_archE1201ELNS1_3gpuE5ELNS1_3repE0EEENS1_47radix_sort_onesweep_sort_config_static_selectorELNS0_4arch9wavefront6targetE0EEEvSG_
	.p2align	8
	.type	_ZN7rocprim17ROCPRIM_400000_NS6detail17trampoline_kernelINS0_14default_configENS1_35radix_sort_onesweep_config_selectorIaNS0_10empty_typeEEEZZNS1_29radix_sort_onesweep_iterationIS3_Lb1EPKaPaPS5_SB_mNS0_19identity_decomposerENS1_16block_id_wrapperIjLb0EEEEE10hipError_tT1_PNSt15iterator_traitsISG_E10value_typeET2_T3_PNSH_ISM_E10value_typeET4_T5_PSR_SS_PNS1_23onesweep_lookback_stateEbbT6_jjT7_P12ihipStream_tbENKUlT_T0_SG_SL_E_clISA_SA_SB_SB_EEDaSZ_S10_SG_SL_EUlSZ_E_NS1_11comp_targetILNS1_3genE10ELNS1_11target_archE1201ELNS1_3gpuE5ELNS1_3repE0EEENS1_47radix_sort_onesweep_sort_config_static_selectorELNS0_4arch9wavefront6targetE0EEEvSG_,@function
_ZN7rocprim17ROCPRIM_400000_NS6detail17trampoline_kernelINS0_14default_configENS1_35radix_sort_onesweep_config_selectorIaNS0_10empty_typeEEEZZNS1_29radix_sort_onesweep_iterationIS3_Lb1EPKaPaPS5_SB_mNS0_19identity_decomposerENS1_16block_id_wrapperIjLb0EEEEE10hipError_tT1_PNSt15iterator_traitsISG_E10value_typeET2_T3_PNSH_ISM_E10value_typeET4_T5_PSR_SS_PNS1_23onesweep_lookback_stateEbbT6_jjT7_P12ihipStream_tbENKUlT_T0_SG_SL_E_clISA_SA_SB_SB_EEDaSZ_S10_SG_SL_EUlSZ_E_NS1_11comp_targetILNS1_3genE10ELNS1_11target_archE1201ELNS1_3gpuE5ELNS1_3repE0EEENS1_47radix_sort_onesweep_sort_config_static_selectorELNS0_4arch9wavefront6targetE0EEEvSG_: ; @_ZN7rocprim17ROCPRIM_400000_NS6detail17trampoline_kernelINS0_14default_configENS1_35radix_sort_onesweep_config_selectorIaNS0_10empty_typeEEEZZNS1_29radix_sort_onesweep_iterationIS3_Lb1EPKaPaPS5_SB_mNS0_19identity_decomposerENS1_16block_id_wrapperIjLb0EEEEE10hipError_tT1_PNSt15iterator_traitsISG_E10value_typeET2_T3_PNSH_ISM_E10value_typeET4_T5_PSR_SS_PNS1_23onesweep_lookback_stateEbbT6_jjT7_P12ihipStream_tbENKUlT_T0_SG_SL_E_clISA_SA_SB_SB_EEDaSZ_S10_SG_SL_EUlSZ_E_NS1_11comp_targetILNS1_3genE10ELNS1_11target_archE1201ELNS1_3gpuE5ELNS1_3repE0EEENS1_47radix_sort_onesweep_sort_config_static_selectorELNS0_4arch9wavefront6targetE0EEEvSG_
; %bb.0:
	.section	.rodata,"a",@progbits
	.p2align	6, 0x0
	.amdhsa_kernel _ZN7rocprim17ROCPRIM_400000_NS6detail17trampoline_kernelINS0_14default_configENS1_35radix_sort_onesweep_config_selectorIaNS0_10empty_typeEEEZZNS1_29radix_sort_onesweep_iterationIS3_Lb1EPKaPaPS5_SB_mNS0_19identity_decomposerENS1_16block_id_wrapperIjLb0EEEEE10hipError_tT1_PNSt15iterator_traitsISG_E10value_typeET2_T3_PNSH_ISM_E10value_typeET4_T5_PSR_SS_PNS1_23onesweep_lookback_stateEbbT6_jjT7_P12ihipStream_tbENKUlT_T0_SG_SL_E_clISA_SA_SB_SB_EEDaSZ_S10_SG_SL_EUlSZ_E_NS1_11comp_targetILNS1_3genE10ELNS1_11target_archE1201ELNS1_3gpuE5ELNS1_3repE0EEENS1_47radix_sort_onesweep_sort_config_static_selectorELNS0_4arch9wavefront6targetE0EEEvSG_
		.amdhsa_group_segment_fixed_size 0
		.amdhsa_private_segment_fixed_size 0
		.amdhsa_kernarg_size 88
		.amdhsa_user_sgpr_count 2
		.amdhsa_user_sgpr_dispatch_ptr 0
		.amdhsa_user_sgpr_queue_ptr 0
		.amdhsa_user_sgpr_kernarg_segment_ptr 1
		.amdhsa_user_sgpr_dispatch_id 0
		.amdhsa_user_sgpr_kernarg_preload_length 0
		.amdhsa_user_sgpr_kernarg_preload_offset 0
		.amdhsa_user_sgpr_private_segment_size 0
		.amdhsa_wavefront_size32 1
		.amdhsa_uses_dynamic_stack 0
		.amdhsa_enable_private_segment 0
		.amdhsa_system_sgpr_workgroup_id_x 1
		.amdhsa_system_sgpr_workgroup_id_y 0
		.amdhsa_system_sgpr_workgroup_id_z 0
		.amdhsa_system_sgpr_workgroup_info 0
		.amdhsa_system_vgpr_workitem_id 0
		.amdhsa_next_free_vgpr 1
		.amdhsa_next_free_sgpr 1
		.amdhsa_named_barrier_count 0
		.amdhsa_reserve_vcc 0
		.amdhsa_float_round_mode_32 0
		.amdhsa_float_round_mode_16_64 0
		.amdhsa_float_denorm_mode_32 3
		.amdhsa_float_denorm_mode_16_64 3
		.amdhsa_fp16_overflow 0
		.amdhsa_memory_ordered 1
		.amdhsa_forward_progress 1
		.amdhsa_inst_pref_size 0
		.amdhsa_round_robin_scheduling 0
		.amdhsa_exception_fp_ieee_invalid_op 0
		.amdhsa_exception_fp_denorm_src 0
		.amdhsa_exception_fp_ieee_div_zero 0
		.amdhsa_exception_fp_ieee_overflow 0
		.amdhsa_exception_fp_ieee_underflow 0
		.amdhsa_exception_fp_ieee_inexact 0
		.amdhsa_exception_int_div_zero 0
	.end_amdhsa_kernel
	.section	.text._ZN7rocprim17ROCPRIM_400000_NS6detail17trampoline_kernelINS0_14default_configENS1_35radix_sort_onesweep_config_selectorIaNS0_10empty_typeEEEZZNS1_29radix_sort_onesweep_iterationIS3_Lb1EPKaPaPS5_SB_mNS0_19identity_decomposerENS1_16block_id_wrapperIjLb0EEEEE10hipError_tT1_PNSt15iterator_traitsISG_E10value_typeET2_T3_PNSH_ISM_E10value_typeET4_T5_PSR_SS_PNS1_23onesweep_lookback_stateEbbT6_jjT7_P12ihipStream_tbENKUlT_T0_SG_SL_E_clISA_SA_SB_SB_EEDaSZ_S10_SG_SL_EUlSZ_E_NS1_11comp_targetILNS1_3genE10ELNS1_11target_archE1201ELNS1_3gpuE5ELNS1_3repE0EEENS1_47radix_sort_onesweep_sort_config_static_selectorELNS0_4arch9wavefront6targetE0EEEvSG_,"axG",@progbits,_ZN7rocprim17ROCPRIM_400000_NS6detail17trampoline_kernelINS0_14default_configENS1_35radix_sort_onesweep_config_selectorIaNS0_10empty_typeEEEZZNS1_29radix_sort_onesweep_iterationIS3_Lb1EPKaPaPS5_SB_mNS0_19identity_decomposerENS1_16block_id_wrapperIjLb0EEEEE10hipError_tT1_PNSt15iterator_traitsISG_E10value_typeET2_T3_PNSH_ISM_E10value_typeET4_T5_PSR_SS_PNS1_23onesweep_lookback_stateEbbT6_jjT7_P12ihipStream_tbENKUlT_T0_SG_SL_E_clISA_SA_SB_SB_EEDaSZ_S10_SG_SL_EUlSZ_E_NS1_11comp_targetILNS1_3genE10ELNS1_11target_archE1201ELNS1_3gpuE5ELNS1_3repE0EEENS1_47radix_sort_onesweep_sort_config_static_selectorELNS0_4arch9wavefront6targetE0EEEvSG_,comdat
.Lfunc_end388:
	.size	_ZN7rocprim17ROCPRIM_400000_NS6detail17trampoline_kernelINS0_14default_configENS1_35radix_sort_onesweep_config_selectorIaNS0_10empty_typeEEEZZNS1_29radix_sort_onesweep_iterationIS3_Lb1EPKaPaPS5_SB_mNS0_19identity_decomposerENS1_16block_id_wrapperIjLb0EEEEE10hipError_tT1_PNSt15iterator_traitsISG_E10value_typeET2_T3_PNSH_ISM_E10value_typeET4_T5_PSR_SS_PNS1_23onesweep_lookback_stateEbbT6_jjT7_P12ihipStream_tbENKUlT_T0_SG_SL_E_clISA_SA_SB_SB_EEDaSZ_S10_SG_SL_EUlSZ_E_NS1_11comp_targetILNS1_3genE10ELNS1_11target_archE1201ELNS1_3gpuE5ELNS1_3repE0EEENS1_47radix_sort_onesweep_sort_config_static_selectorELNS0_4arch9wavefront6targetE0EEEvSG_, .Lfunc_end388-_ZN7rocprim17ROCPRIM_400000_NS6detail17trampoline_kernelINS0_14default_configENS1_35radix_sort_onesweep_config_selectorIaNS0_10empty_typeEEEZZNS1_29radix_sort_onesweep_iterationIS3_Lb1EPKaPaPS5_SB_mNS0_19identity_decomposerENS1_16block_id_wrapperIjLb0EEEEE10hipError_tT1_PNSt15iterator_traitsISG_E10value_typeET2_T3_PNSH_ISM_E10value_typeET4_T5_PSR_SS_PNS1_23onesweep_lookback_stateEbbT6_jjT7_P12ihipStream_tbENKUlT_T0_SG_SL_E_clISA_SA_SB_SB_EEDaSZ_S10_SG_SL_EUlSZ_E_NS1_11comp_targetILNS1_3genE10ELNS1_11target_archE1201ELNS1_3gpuE5ELNS1_3repE0EEENS1_47radix_sort_onesweep_sort_config_static_selectorELNS0_4arch9wavefront6targetE0EEEvSG_
                                        ; -- End function
	.set _ZN7rocprim17ROCPRIM_400000_NS6detail17trampoline_kernelINS0_14default_configENS1_35radix_sort_onesweep_config_selectorIaNS0_10empty_typeEEEZZNS1_29radix_sort_onesweep_iterationIS3_Lb1EPKaPaPS5_SB_mNS0_19identity_decomposerENS1_16block_id_wrapperIjLb0EEEEE10hipError_tT1_PNSt15iterator_traitsISG_E10value_typeET2_T3_PNSH_ISM_E10value_typeET4_T5_PSR_SS_PNS1_23onesweep_lookback_stateEbbT6_jjT7_P12ihipStream_tbENKUlT_T0_SG_SL_E_clISA_SA_SB_SB_EEDaSZ_S10_SG_SL_EUlSZ_E_NS1_11comp_targetILNS1_3genE10ELNS1_11target_archE1201ELNS1_3gpuE5ELNS1_3repE0EEENS1_47radix_sort_onesweep_sort_config_static_selectorELNS0_4arch9wavefront6targetE0EEEvSG_.num_vgpr, 0
	.set _ZN7rocprim17ROCPRIM_400000_NS6detail17trampoline_kernelINS0_14default_configENS1_35radix_sort_onesweep_config_selectorIaNS0_10empty_typeEEEZZNS1_29radix_sort_onesweep_iterationIS3_Lb1EPKaPaPS5_SB_mNS0_19identity_decomposerENS1_16block_id_wrapperIjLb0EEEEE10hipError_tT1_PNSt15iterator_traitsISG_E10value_typeET2_T3_PNSH_ISM_E10value_typeET4_T5_PSR_SS_PNS1_23onesweep_lookback_stateEbbT6_jjT7_P12ihipStream_tbENKUlT_T0_SG_SL_E_clISA_SA_SB_SB_EEDaSZ_S10_SG_SL_EUlSZ_E_NS1_11comp_targetILNS1_3genE10ELNS1_11target_archE1201ELNS1_3gpuE5ELNS1_3repE0EEENS1_47radix_sort_onesweep_sort_config_static_selectorELNS0_4arch9wavefront6targetE0EEEvSG_.num_agpr, 0
	.set _ZN7rocprim17ROCPRIM_400000_NS6detail17trampoline_kernelINS0_14default_configENS1_35radix_sort_onesweep_config_selectorIaNS0_10empty_typeEEEZZNS1_29radix_sort_onesweep_iterationIS3_Lb1EPKaPaPS5_SB_mNS0_19identity_decomposerENS1_16block_id_wrapperIjLb0EEEEE10hipError_tT1_PNSt15iterator_traitsISG_E10value_typeET2_T3_PNSH_ISM_E10value_typeET4_T5_PSR_SS_PNS1_23onesweep_lookback_stateEbbT6_jjT7_P12ihipStream_tbENKUlT_T0_SG_SL_E_clISA_SA_SB_SB_EEDaSZ_S10_SG_SL_EUlSZ_E_NS1_11comp_targetILNS1_3genE10ELNS1_11target_archE1201ELNS1_3gpuE5ELNS1_3repE0EEENS1_47radix_sort_onesweep_sort_config_static_selectorELNS0_4arch9wavefront6targetE0EEEvSG_.numbered_sgpr, 0
	.set _ZN7rocprim17ROCPRIM_400000_NS6detail17trampoline_kernelINS0_14default_configENS1_35radix_sort_onesweep_config_selectorIaNS0_10empty_typeEEEZZNS1_29radix_sort_onesweep_iterationIS3_Lb1EPKaPaPS5_SB_mNS0_19identity_decomposerENS1_16block_id_wrapperIjLb0EEEEE10hipError_tT1_PNSt15iterator_traitsISG_E10value_typeET2_T3_PNSH_ISM_E10value_typeET4_T5_PSR_SS_PNS1_23onesweep_lookback_stateEbbT6_jjT7_P12ihipStream_tbENKUlT_T0_SG_SL_E_clISA_SA_SB_SB_EEDaSZ_S10_SG_SL_EUlSZ_E_NS1_11comp_targetILNS1_3genE10ELNS1_11target_archE1201ELNS1_3gpuE5ELNS1_3repE0EEENS1_47radix_sort_onesweep_sort_config_static_selectorELNS0_4arch9wavefront6targetE0EEEvSG_.num_named_barrier, 0
	.set _ZN7rocprim17ROCPRIM_400000_NS6detail17trampoline_kernelINS0_14default_configENS1_35radix_sort_onesweep_config_selectorIaNS0_10empty_typeEEEZZNS1_29radix_sort_onesweep_iterationIS3_Lb1EPKaPaPS5_SB_mNS0_19identity_decomposerENS1_16block_id_wrapperIjLb0EEEEE10hipError_tT1_PNSt15iterator_traitsISG_E10value_typeET2_T3_PNSH_ISM_E10value_typeET4_T5_PSR_SS_PNS1_23onesweep_lookback_stateEbbT6_jjT7_P12ihipStream_tbENKUlT_T0_SG_SL_E_clISA_SA_SB_SB_EEDaSZ_S10_SG_SL_EUlSZ_E_NS1_11comp_targetILNS1_3genE10ELNS1_11target_archE1201ELNS1_3gpuE5ELNS1_3repE0EEENS1_47radix_sort_onesweep_sort_config_static_selectorELNS0_4arch9wavefront6targetE0EEEvSG_.private_seg_size, 0
	.set _ZN7rocprim17ROCPRIM_400000_NS6detail17trampoline_kernelINS0_14default_configENS1_35radix_sort_onesweep_config_selectorIaNS0_10empty_typeEEEZZNS1_29radix_sort_onesweep_iterationIS3_Lb1EPKaPaPS5_SB_mNS0_19identity_decomposerENS1_16block_id_wrapperIjLb0EEEEE10hipError_tT1_PNSt15iterator_traitsISG_E10value_typeET2_T3_PNSH_ISM_E10value_typeET4_T5_PSR_SS_PNS1_23onesweep_lookback_stateEbbT6_jjT7_P12ihipStream_tbENKUlT_T0_SG_SL_E_clISA_SA_SB_SB_EEDaSZ_S10_SG_SL_EUlSZ_E_NS1_11comp_targetILNS1_3genE10ELNS1_11target_archE1201ELNS1_3gpuE5ELNS1_3repE0EEENS1_47radix_sort_onesweep_sort_config_static_selectorELNS0_4arch9wavefront6targetE0EEEvSG_.uses_vcc, 0
	.set _ZN7rocprim17ROCPRIM_400000_NS6detail17trampoline_kernelINS0_14default_configENS1_35radix_sort_onesweep_config_selectorIaNS0_10empty_typeEEEZZNS1_29radix_sort_onesweep_iterationIS3_Lb1EPKaPaPS5_SB_mNS0_19identity_decomposerENS1_16block_id_wrapperIjLb0EEEEE10hipError_tT1_PNSt15iterator_traitsISG_E10value_typeET2_T3_PNSH_ISM_E10value_typeET4_T5_PSR_SS_PNS1_23onesweep_lookback_stateEbbT6_jjT7_P12ihipStream_tbENKUlT_T0_SG_SL_E_clISA_SA_SB_SB_EEDaSZ_S10_SG_SL_EUlSZ_E_NS1_11comp_targetILNS1_3genE10ELNS1_11target_archE1201ELNS1_3gpuE5ELNS1_3repE0EEENS1_47radix_sort_onesweep_sort_config_static_selectorELNS0_4arch9wavefront6targetE0EEEvSG_.uses_flat_scratch, 0
	.set _ZN7rocprim17ROCPRIM_400000_NS6detail17trampoline_kernelINS0_14default_configENS1_35radix_sort_onesweep_config_selectorIaNS0_10empty_typeEEEZZNS1_29radix_sort_onesweep_iterationIS3_Lb1EPKaPaPS5_SB_mNS0_19identity_decomposerENS1_16block_id_wrapperIjLb0EEEEE10hipError_tT1_PNSt15iterator_traitsISG_E10value_typeET2_T3_PNSH_ISM_E10value_typeET4_T5_PSR_SS_PNS1_23onesweep_lookback_stateEbbT6_jjT7_P12ihipStream_tbENKUlT_T0_SG_SL_E_clISA_SA_SB_SB_EEDaSZ_S10_SG_SL_EUlSZ_E_NS1_11comp_targetILNS1_3genE10ELNS1_11target_archE1201ELNS1_3gpuE5ELNS1_3repE0EEENS1_47radix_sort_onesweep_sort_config_static_selectorELNS0_4arch9wavefront6targetE0EEEvSG_.has_dyn_sized_stack, 0
	.set _ZN7rocprim17ROCPRIM_400000_NS6detail17trampoline_kernelINS0_14default_configENS1_35radix_sort_onesweep_config_selectorIaNS0_10empty_typeEEEZZNS1_29radix_sort_onesweep_iterationIS3_Lb1EPKaPaPS5_SB_mNS0_19identity_decomposerENS1_16block_id_wrapperIjLb0EEEEE10hipError_tT1_PNSt15iterator_traitsISG_E10value_typeET2_T3_PNSH_ISM_E10value_typeET4_T5_PSR_SS_PNS1_23onesweep_lookback_stateEbbT6_jjT7_P12ihipStream_tbENKUlT_T0_SG_SL_E_clISA_SA_SB_SB_EEDaSZ_S10_SG_SL_EUlSZ_E_NS1_11comp_targetILNS1_3genE10ELNS1_11target_archE1201ELNS1_3gpuE5ELNS1_3repE0EEENS1_47radix_sort_onesweep_sort_config_static_selectorELNS0_4arch9wavefront6targetE0EEEvSG_.has_recursion, 0
	.set _ZN7rocprim17ROCPRIM_400000_NS6detail17trampoline_kernelINS0_14default_configENS1_35radix_sort_onesweep_config_selectorIaNS0_10empty_typeEEEZZNS1_29radix_sort_onesweep_iterationIS3_Lb1EPKaPaPS5_SB_mNS0_19identity_decomposerENS1_16block_id_wrapperIjLb0EEEEE10hipError_tT1_PNSt15iterator_traitsISG_E10value_typeET2_T3_PNSH_ISM_E10value_typeET4_T5_PSR_SS_PNS1_23onesweep_lookback_stateEbbT6_jjT7_P12ihipStream_tbENKUlT_T0_SG_SL_E_clISA_SA_SB_SB_EEDaSZ_S10_SG_SL_EUlSZ_E_NS1_11comp_targetILNS1_3genE10ELNS1_11target_archE1201ELNS1_3gpuE5ELNS1_3repE0EEENS1_47radix_sort_onesweep_sort_config_static_selectorELNS0_4arch9wavefront6targetE0EEEvSG_.has_indirect_call, 0
	.section	.AMDGPU.csdata,"",@progbits
; Kernel info:
; codeLenInByte = 0
; TotalNumSgprs: 0
; NumVgprs: 0
; ScratchSize: 0
; MemoryBound: 0
; FloatMode: 240
; IeeeMode: 1
; LDSByteSize: 0 bytes/workgroup (compile time only)
; SGPRBlocks: 0
; VGPRBlocks: 0
; NumSGPRsForWavesPerEU: 1
; NumVGPRsForWavesPerEU: 1
; NamedBarCnt: 0
; Occupancy: 16
; WaveLimiterHint : 0
; COMPUTE_PGM_RSRC2:SCRATCH_EN: 0
; COMPUTE_PGM_RSRC2:USER_SGPR: 2
; COMPUTE_PGM_RSRC2:TRAP_HANDLER: 0
; COMPUTE_PGM_RSRC2:TGID_X_EN: 1
; COMPUTE_PGM_RSRC2:TGID_Y_EN: 0
; COMPUTE_PGM_RSRC2:TGID_Z_EN: 0
; COMPUTE_PGM_RSRC2:TIDIG_COMP_CNT: 0
	.section	.text._ZN7rocprim17ROCPRIM_400000_NS6detail17trampoline_kernelINS0_14default_configENS1_35radix_sort_onesweep_config_selectorIaNS0_10empty_typeEEEZZNS1_29radix_sort_onesweep_iterationIS3_Lb1EPKaPaPS5_SB_mNS0_19identity_decomposerENS1_16block_id_wrapperIjLb0EEEEE10hipError_tT1_PNSt15iterator_traitsISG_E10value_typeET2_T3_PNSH_ISM_E10value_typeET4_T5_PSR_SS_PNS1_23onesweep_lookback_stateEbbT6_jjT7_P12ihipStream_tbENKUlT_T0_SG_SL_E_clISA_SA_SB_SB_EEDaSZ_S10_SG_SL_EUlSZ_E_NS1_11comp_targetILNS1_3genE9ELNS1_11target_archE1100ELNS1_3gpuE3ELNS1_3repE0EEENS1_47radix_sort_onesweep_sort_config_static_selectorELNS0_4arch9wavefront6targetE0EEEvSG_,"axG",@progbits,_ZN7rocprim17ROCPRIM_400000_NS6detail17trampoline_kernelINS0_14default_configENS1_35radix_sort_onesweep_config_selectorIaNS0_10empty_typeEEEZZNS1_29radix_sort_onesweep_iterationIS3_Lb1EPKaPaPS5_SB_mNS0_19identity_decomposerENS1_16block_id_wrapperIjLb0EEEEE10hipError_tT1_PNSt15iterator_traitsISG_E10value_typeET2_T3_PNSH_ISM_E10value_typeET4_T5_PSR_SS_PNS1_23onesweep_lookback_stateEbbT6_jjT7_P12ihipStream_tbENKUlT_T0_SG_SL_E_clISA_SA_SB_SB_EEDaSZ_S10_SG_SL_EUlSZ_E_NS1_11comp_targetILNS1_3genE9ELNS1_11target_archE1100ELNS1_3gpuE3ELNS1_3repE0EEENS1_47radix_sort_onesweep_sort_config_static_selectorELNS0_4arch9wavefront6targetE0EEEvSG_,comdat
	.protected	_ZN7rocprim17ROCPRIM_400000_NS6detail17trampoline_kernelINS0_14default_configENS1_35radix_sort_onesweep_config_selectorIaNS0_10empty_typeEEEZZNS1_29radix_sort_onesweep_iterationIS3_Lb1EPKaPaPS5_SB_mNS0_19identity_decomposerENS1_16block_id_wrapperIjLb0EEEEE10hipError_tT1_PNSt15iterator_traitsISG_E10value_typeET2_T3_PNSH_ISM_E10value_typeET4_T5_PSR_SS_PNS1_23onesweep_lookback_stateEbbT6_jjT7_P12ihipStream_tbENKUlT_T0_SG_SL_E_clISA_SA_SB_SB_EEDaSZ_S10_SG_SL_EUlSZ_E_NS1_11comp_targetILNS1_3genE9ELNS1_11target_archE1100ELNS1_3gpuE3ELNS1_3repE0EEENS1_47radix_sort_onesweep_sort_config_static_selectorELNS0_4arch9wavefront6targetE0EEEvSG_ ; -- Begin function _ZN7rocprim17ROCPRIM_400000_NS6detail17trampoline_kernelINS0_14default_configENS1_35radix_sort_onesweep_config_selectorIaNS0_10empty_typeEEEZZNS1_29radix_sort_onesweep_iterationIS3_Lb1EPKaPaPS5_SB_mNS0_19identity_decomposerENS1_16block_id_wrapperIjLb0EEEEE10hipError_tT1_PNSt15iterator_traitsISG_E10value_typeET2_T3_PNSH_ISM_E10value_typeET4_T5_PSR_SS_PNS1_23onesweep_lookback_stateEbbT6_jjT7_P12ihipStream_tbENKUlT_T0_SG_SL_E_clISA_SA_SB_SB_EEDaSZ_S10_SG_SL_EUlSZ_E_NS1_11comp_targetILNS1_3genE9ELNS1_11target_archE1100ELNS1_3gpuE3ELNS1_3repE0EEENS1_47radix_sort_onesweep_sort_config_static_selectorELNS0_4arch9wavefront6targetE0EEEvSG_
	.globl	_ZN7rocprim17ROCPRIM_400000_NS6detail17trampoline_kernelINS0_14default_configENS1_35radix_sort_onesweep_config_selectorIaNS0_10empty_typeEEEZZNS1_29radix_sort_onesweep_iterationIS3_Lb1EPKaPaPS5_SB_mNS0_19identity_decomposerENS1_16block_id_wrapperIjLb0EEEEE10hipError_tT1_PNSt15iterator_traitsISG_E10value_typeET2_T3_PNSH_ISM_E10value_typeET4_T5_PSR_SS_PNS1_23onesweep_lookback_stateEbbT6_jjT7_P12ihipStream_tbENKUlT_T0_SG_SL_E_clISA_SA_SB_SB_EEDaSZ_S10_SG_SL_EUlSZ_E_NS1_11comp_targetILNS1_3genE9ELNS1_11target_archE1100ELNS1_3gpuE3ELNS1_3repE0EEENS1_47radix_sort_onesweep_sort_config_static_selectorELNS0_4arch9wavefront6targetE0EEEvSG_
	.p2align	8
	.type	_ZN7rocprim17ROCPRIM_400000_NS6detail17trampoline_kernelINS0_14default_configENS1_35radix_sort_onesweep_config_selectorIaNS0_10empty_typeEEEZZNS1_29radix_sort_onesweep_iterationIS3_Lb1EPKaPaPS5_SB_mNS0_19identity_decomposerENS1_16block_id_wrapperIjLb0EEEEE10hipError_tT1_PNSt15iterator_traitsISG_E10value_typeET2_T3_PNSH_ISM_E10value_typeET4_T5_PSR_SS_PNS1_23onesweep_lookback_stateEbbT6_jjT7_P12ihipStream_tbENKUlT_T0_SG_SL_E_clISA_SA_SB_SB_EEDaSZ_S10_SG_SL_EUlSZ_E_NS1_11comp_targetILNS1_3genE9ELNS1_11target_archE1100ELNS1_3gpuE3ELNS1_3repE0EEENS1_47radix_sort_onesweep_sort_config_static_selectorELNS0_4arch9wavefront6targetE0EEEvSG_,@function
_ZN7rocprim17ROCPRIM_400000_NS6detail17trampoline_kernelINS0_14default_configENS1_35radix_sort_onesweep_config_selectorIaNS0_10empty_typeEEEZZNS1_29radix_sort_onesweep_iterationIS3_Lb1EPKaPaPS5_SB_mNS0_19identity_decomposerENS1_16block_id_wrapperIjLb0EEEEE10hipError_tT1_PNSt15iterator_traitsISG_E10value_typeET2_T3_PNSH_ISM_E10value_typeET4_T5_PSR_SS_PNS1_23onesweep_lookback_stateEbbT6_jjT7_P12ihipStream_tbENKUlT_T0_SG_SL_E_clISA_SA_SB_SB_EEDaSZ_S10_SG_SL_EUlSZ_E_NS1_11comp_targetILNS1_3genE9ELNS1_11target_archE1100ELNS1_3gpuE3ELNS1_3repE0EEENS1_47radix_sort_onesweep_sort_config_static_selectorELNS0_4arch9wavefront6targetE0EEEvSG_: ; @_ZN7rocprim17ROCPRIM_400000_NS6detail17trampoline_kernelINS0_14default_configENS1_35radix_sort_onesweep_config_selectorIaNS0_10empty_typeEEEZZNS1_29radix_sort_onesweep_iterationIS3_Lb1EPKaPaPS5_SB_mNS0_19identity_decomposerENS1_16block_id_wrapperIjLb0EEEEE10hipError_tT1_PNSt15iterator_traitsISG_E10value_typeET2_T3_PNSH_ISM_E10value_typeET4_T5_PSR_SS_PNS1_23onesweep_lookback_stateEbbT6_jjT7_P12ihipStream_tbENKUlT_T0_SG_SL_E_clISA_SA_SB_SB_EEDaSZ_S10_SG_SL_EUlSZ_E_NS1_11comp_targetILNS1_3genE9ELNS1_11target_archE1100ELNS1_3gpuE3ELNS1_3repE0EEENS1_47radix_sort_onesweep_sort_config_static_selectorELNS0_4arch9wavefront6targetE0EEEvSG_
; %bb.0:
	.section	.rodata,"a",@progbits
	.p2align	6, 0x0
	.amdhsa_kernel _ZN7rocprim17ROCPRIM_400000_NS6detail17trampoline_kernelINS0_14default_configENS1_35radix_sort_onesweep_config_selectorIaNS0_10empty_typeEEEZZNS1_29radix_sort_onesweep_iterationIS3_Lb1EPKaPaPS5_SB_mNS0_19identity_decomposerENS1_16block_id_wrapperIjLb0EEEEE10hipError_tT1_PNSt15iterator_traitsISG_E10value_typeET2_T3_PNSH_ISM_E10value_typeET4_T5_PSR_SS_PNS1_23onesweep_lookback_stateEbbT6_jjT7_P12ihipStream_tbENKUlT_T0_SG_SL_E_clISA_SA_SB_SB_EEDaSZ_S10_SG_SL_EUlSZ_E_NS1_11comp_targetILNS1_3genE9ELNS1_11target_archE1100ELNS1_3gpuE3ELNS1_3repE0EEENS1_47radix_sort_onesweep_sort_config_static_selectorELNS0_4arch9wavefront6targetE0EEEvSG_
		.amdhsa_group_segment_fixed_size 0
		.amdhsa_private_segment_fixed_size 0
		.amdhsa_kernarg_size 88
		.amdhsa_user_sgpr_count 2
		.amdhsa_user_sgpr_dispatch_ptr 0
		.amdhsa_user_sgpr_queue_ptr 0
		.amdhsa_user_sgpr_kernarg_segment_ptr 1
		.amdhsa_user_sgpr_dispatch_id 0
		.amdhsa_user_sgpr_kernarg_preload_length 0
		.amdhsa_user_sgpr_kernarg_preload_offset 0
		.amdhsa_user_sgpr_private_segment_size 0
		.amdhsa_wavefront_size32 1
		.amdhsa_uses_dynamic_stack 0
		.amdhsa_enable_private_segment 0
		.amdhsa_system_sgpr_workgroup_id_x 1
		.amdhsa_system_sgpr_workgroup_id_y 0
		.amdhsa_system_sgpr_workgroup_id_z 0
		.amdhsa_system_sgpr_workgroup_info 0
		.amdhsa_system_vgpr_workitem_id 0
		.amdhsa_next_free_vgpr 1
		.amdhsa_next_free_sgpr 1
		.amdhsa_named_barrier_count 0
		.amdhsa_reserve_vcc 0
		.amdhsa_float_round_mode_32 0
		.amdhsa_float_round_mode_16_64 0
		.amdhsa_float_denorm_mode_32 3
		.amdhsa_float_denorm_mode_16_64 3
		.amdhsa_fp16_overflow 0
		.amdhsa_memory_ordered 1
		.amdhsa_forward_progress 1
		.amdhsa_inst_pref_size 0
		.amdhsa_round_robin_scheduling 0
		.amdhsa_exception_fp_ieee_invalid_op 0
		.amdhsa_exception_fp_denorm_src 0
		.amdhsa_exception_fp_ieee_div_zero 0
		.amdhsa_exception_fp_ieee_overflow 0
		.amdhsa_exception_fp_ieee_underflow 0
		.amdhsa_exception_fp_ieee_inexact 0
		.amdhsa_exception_int_div_zero 0
	.end_amdhsa_kernel
	.section	.text._ZN7rocprim17ROCPRIM_400000_NS6detail17trampoline_kernelINS0_14default_configENS1_35radix_sort_onesweep_config_selectorIaNS0_10empty_typeEEEZZNS1_29radix_sort_onesweep_iterationIS3_Lb1EPKaPaPS5_SB_mNS0_19identity_decomposerENS1_16block_id_wrapperIjLb0EEEEE10hipError_tT1_PNSt15iterator_traitsISG_E10value_typeET2_T3_PNSH_ISM_E10value_typeET4_T5_PSR_SS_PNS1_23onesweep_lookback_stateEbbT6_jjT7_P12ihipStream_tbENKUlT_T0_SG_SL_E_clISA_SA_SB_SB_EEDaSZ_S10_SG_SL_EUlSZ_E_NS1_11comp_targetILNS1_3genE9ELNS1_11target_archE1100ELNS1_3gpuE3ELNS1_3repE0EEENS1_47radix_sort_onesweep_sort_config_static_selectorELNS0_4arch9wavefront6targetE0EEEvSG_,"axG",@progbits,_ZN7rocprim17ROCPRIM_400000_NS6detail17trampoline_kernelINS0_14default_configENS1_35radix_sort_onesweep_config_selectorIaNS0_10empty_typeEEEZZNS1_29radix_sort_onesweep_iterationIS3_Lb1EPKaPaPS5_SB_mNS0_19identity_decomposerENS1_16block_id_wrapperIjLb0EEEEE10hipError_tT1_PNSt15iterator_traitsISG_E10value_typeET2_T3_PNSH_ISM_E10value_typeET4_T5_PSR_SS_PNS1_23onesweep_lookback_stateEbbT6_jjT7_P12ihipStream_tbENKUlT_T0_SG_SL_E_clISA_SA_SB_SB_EEDaSZ_S10_SG_SL_EUlSZ_E_NS1_11comp_targetILNS1_3genE9ELNS1_11target_archE1100ELNS1_3gpuE3ELNS1_3repE0EEENS1_47radix_sort_onesweep_sort_config_static_selectorELNS0_4arch9wavefront6targetE0EEEvSG_,comdat
.Lfunc_end389:
	.size	_ZN7rocprim17ROCPRIM_400000_NS6detail17trampoline_kernelINS0_14default_configENS1_35radix_sort_onesweep_config_selectorIaNS0_10empty_typeEEEZZNS1_29radix_sort_onesweep_iterationIS3_Lb1EPKaPaPS5_SB_mNS0_19identity_decomposerENS1_16block_id_wrapperIjLb0EEEEE10hipError_tT1_PNSt15iterator_traitsISG_E10value_typeET2_T3_PNSH_ISM_E10value_typeET4_T5_PSR_SS_PNS1_23onesweep_lookback_stateEbbT6_jjT7_P12ihipStream_tbENKUlT_T0_SG_SL_E_clISA_SA_SB_SB_EEDaSZ_S10_SG_SL_EUlSZ_E_NS1_11comp_targetILNS1_3genE9ELNS1_11target_archE1100ELNS1_3gpuE3ELNS1_3repE0EEENS1_47radix_sort_onesweep_sort_config_static_selectorELNS0_4arch9wavefront6targetE0EEEvSG_, .Lfunc_end389-_ZN7rocprim17ROCPRIM_400000_NS6detail17trampoline_kernelINS0_14default_configENS1_35radix_sort_onesweep_config_selectorIaNS0_10empty_typeEEEZZNS1_29radix_sort_onesweep_iterationIS3_Lb1EPKaPaPS5_SB_mNS0_19identity_decomposerENS1_16block_id_wrapperIjLb0EEEEE10hipError_tT1_PNSt15iterator_traitsISG_E10value_typeET2_T3_PNSH_ISM_E10value_typeET4_T5_PSR_SS_PNS1_23onesweep_lookback_stateEbbT6_jjT7_P12ihipStream_tbENKUlT_T0_SG_SL_E_clISA_SA_SB_SB_EEDaSZ_S10_SG_SL_EUlSZ_E_NS1_11comp_targetILNS1_3genE9ELNS1_11target_archE1100ELNS1_3gpuE3ELNS1_3repE0EEENS1_47radix_sort_onesweep_sort_config_static_selectorELNS0_4arch9wavefront6targetE0EEEvSG_
                                        ; -- End function
	.set _ZN7rocprim17ROCPRIM_400000_NS6detail17trampoline_kernelINS0_14default_configENS1_35radix_sort_onesweep_config_selectorIaNS0_10empty_typeEEEZZNS1_29radix_sort_onesweep_iterationIS3_Lb1EPKaPaPS5_SB_mNS0_19identity_decomposerENS1_16block_id_wrapperIjLb0EEEEE10hipError_tT1_PNSt15iterator_traitsISG_E10value_typeET2_T3_PNSH_ISM_E10value_typeET4_T5_PSR_SS_PNS1_23onesweep_lookback_stateEbbT6_jjT7_P12ihipStream_tbENKUlT_T0_SG_SL_E_clISA_SA_SB_SB_EEDaSZ_S10_SG_SL_EUlSZ_E_NS1_11comp_targetILNS1_3genE9ELNS1_11target_archE1100ELNS1_3gpuE3ELNS1_3repE0EEENS1_47radix_sort_onesweep_sort_config_static_selectorELNS0_4arch9wavefront6targetE0EEEvSG_.num_vgpr, 0
	.set _ZN7rocprim17ROCPRIM_400000_NS6detail17trampoline_kernelINS0_14default_configENS1_35radix_sort_onesweep_config_selectorIaNS0_10empty_typeEEEZZNS1_29radix_sort_onesweep_iterationIS3_Lb1EPKaPaPS5_SB_mNS0_19identity_decomposerENS1_16block_id_wrapperIjLb0EEEEE10hipError_tT1_PNSt15iterator_traitsISG_E10value_typeET2_T3_PNSH_ISM_E10value_typeET4_T5_PSR_SS_PNS1_23onesweep_lookback_stateEbbT6_jjT7_P12ihipStream_tbENKUlT_T0_SG_SL_E_clISA_SA_SB_SB_EEDaSZ_S10_SG_SL_EUlSZ_E_NS1_11comp_targetILNS1_3genE9ELNS1_11target_archE1100ELNS1_3gpuE3ELNS1_3repE0EEENS1_47radix_sort_onesweep_sort_config_static_selectorELNS0_4arch9wavefront6targetE0EEEvSG_.num_agpr, 0
	.set _ZN7rocprim17ROCPRIM_400000_NS6detail17trampoline_kernelINS0_14default_configENS1_35radix_sort_onesweep_config_selectorIaNS0_10empty_typeEEEZZNS1_29radix_sort_onesweep_iterationIS3_Lb1EPKaPaPS5_SB_mNS0_19identity_decomposerENS1_16block_id_wrapperIjLb0EEEEE10hipError_tT1_PNSt15iterator_traitsISG_E10value_typeET2_T3_PNSH_ISM_E10value_typeET4_T5_PSR_SS_PNS1_23onesweep_lookback_stateEbbT6_jjT7_P12ihipStream_tbENKUlT_T0_SG_SL_E_clISA_SA_SB_SB_EEDaSZ_S10_SG_SL_EUlSZ_E_NS1_11comp_targetILNS1_3genE9ELNS1_11target_archE1100ELNS1_3gpuE3ELNS1_3repE0EEENS1_47radix_sort_onesweep_sort_config_static_selectorELNS0_4arch9wavefront6targetE0EEEvSG_.numbered_sgpr, 0
	.set _ZN7rocprim17ROCPRIM_400000_NS6detail17trampoline_kernelINS0_14default_configENS1_35radix_sort_onesweep_config_selectorIaNS0_10empty_typeEEEZZNS1_29radix_sort_onesweep_iterationIS3_Lb1EPKaPaPS5_SB_mNS0_19identity_decomposerENS1_16block_id_wrapperIjLb0EEEEE10hipError_tT1_PNSt15iterator_traitsISG_E10value_typeET2_T3_PNSH_ISM_E10value_typeET4_T5_PSR_SS_PNS1_23onesweep_lookback_stateEbbT6_jjT7_P12ihipStream_tbENKUlT_T0_SG_SL_E_clISA_SA_SB_SB_EEDaSZ_S10_SG_SL_EUlSZ_E_NS1_11comp_targetILNS1_3genE9ELNS1_11target_archE1100ELNS1_3gpuE3ELNS1_3repE0EEENS1_47radix_sort_onesweep_sort_config_static_selectorELNS0_4arch9wavefront6targetE0EEEvSG_.num_named_barrier, 0
	.set _ZN7rocprim17ROCPRIM_400000_NS6detail17trampoline_kernelINS0_14default_configENS1_35radix_sort_onesweep_config_selectorIaNS0_10empty_typeEEEZZNS1_29radix_sort_onesweep_iterationIS3_Lb1EPKaPaPS5_SB_mNS0_19identity_decomposerENS1_16block_id_wrapperIjLb0EEEEE10hipError_tT1_PNSt15iterator_traitsISG_E10value_typeET2_T3_PNSH_ISM_E10value_typeET4_T5_PSR_SS_PNS1_23onesweep_lookback_stateEbbT6_jjT7_P12ihipStream_tbENKUlT_T0_SG_SL_E_clISA_SA_SB_SB_EEDaSZ_S10_SG_SL_EUlSZ_E_NS1_11comp_targetILNS1_3genE9ELNS1_11target_archE1100ELNS1_3gpuE3ELNS1_3repE0EEENS1_47radix_sort_onesweep_sort_config_static_selectorELNS0_4arch9wavefront6targetE0EEEvSG_.private_seg_size, 0
	.set _ZN7rocprim17ROCPRIM_400000_NS6detail17trampoline_kernelINS0_14default_configENS1_35radix_sort_onesweep_config_selectorIaNS0_10empty_typeEEEZZNS1_29radix_sort_onesweep_iterationIS3_Lb1EPKaPaPS5_SB_mNS0_19identity_decomposerENS1_16block_id_wrapperIjLb0EEEEE10hipError_tT1_PNSt15iterator_traitsISG_E10value_typeET2_T3_PNSH_ISM_E10value_typeET4_T5_PSR_SS_PNS1_23onesweep_lookback_stateEbbT6_jjT7_P12ihipStream_tbENKUlT_T0_SG_SL_E_clISA_SA_SB_SB_EEDaSZ_S10_SG_SL_EUlSZ_E_NS1_11comp_targetILNS1_3genE9ELNS1_11target_archE1100ELNS1_3gpuE3ELNS1_3repE0EEENS1_47radix_sort_onesweep_sort_config_static_selectorELNS0_4arch9wavefront6targetE0EEEvSG_.uses_vcc, 0
	.set _ZN7rocprim17ROCPRIM_400000_NS6detail17trampoline_kernelINS0_14default_configENS1_35radix_sort_onesweep_config_selectorIaNS0_10empty_typeEEEZZNS1_29radix_sort_onesweep_iterationIS3_Lb1EPKaPaPS5_SB_mNS0_19identity_decomposerENS1_16block_id_wrapperIjLb0EEEEE10hipError_tT1_PNSt15iterator_traitsISG_E10value_typeET2_T3_PNSH_ISM_E10value_typeET4_T5_PSR_SS_PNS1_23onesweep_lookback_stateEbbT6_jjT7_P12ihipStream_tbENKUlT_T0_SG_SL_E_clISA_SA_SB_SB_EEDaSZ_S10_SG_SL_EUlSZ_E_NS1_11comp_targetILNS1_3genE9ELNS1_11target_archE1100ELNS1_3gpuE3ELNS1_3repE0EEENS1_47radix_sort_onesweep_sort_config_static_selectorELNS0_4arch9wavefront6targetE0EEEvSG_.uses_flat_scratch, 0
	.set _ZN7rocprim17ROCPRIM_400000_NS6detail17trampoline_kernelINS0_14default_configENS1_35radix_sort_onesweep_config_selectorIaNS0_10empty_typeEEEZZNS1_29radix_sort_onesweep_iterationIS3_Lb1EPKaPaPS5_SB_mNS0_19identity_decomposerENS1_16block_id_wrapperIjLb0EEEEE10hipError_tT1_PNSt15iterator_traitsISG_E10value_typeET2_T3_PNSH_ISM_E10value_typeET4_T5_PSR_SS_PNS1_23onesweep_lookback_stateEbbT6_jjT7_P12ihipStream_tbENKUlT_T0_SG_SL_E_clISA_SA_SB_SB_EEDaSZ_S10_SG_SL_EUlSZ_E_NS1_11comp_targetILNS1_3genE9ELNS1_11target_archE1100ELNS1_3gpuE3ELNS1_3repE0EEENS1_47radix_sort_onesweep_sort_config_static_selectorELNS0_4arch9wavefront6targetE0EEEvSG_.has_dyn_sized_stack, 0
	.set _ZN7rocprim17ROCPRIM_400000_NS6detail17trampoline_kernelINS0_14default_configENS1_35radix_sort_onesweep_config_selectorIaNS0_10empty_typeEEEZZNS1_29radix_sort_onesweep_iterationIS3_Lb1EPKaPaPS5_SB_mNS0_19identity_decomposerENS1_16block_id_wrapperIjLb0EEEEE10hipError_tT1_PNSt15iterator_traitsISG_E10value_typeET2_T3_PNSH_ISM_E10value_typeET4_T5_PSR_SS_PNS1_23onesweep_lookback_stateEbbT6_jjT7_P12ihipStream_tbENKUlT_T0_SG_SL_E_clISA_SA_SB_SB_EEDaSZ_S10_SG_SL_EUlSZ_E_NS1_11comp_targetILNS1_3genE9ELNS1_11target_archE1100ELNS1_3gpuE3ELNS1_3repE0EEENS1_47radix_sort_onesweep_sort_config_static_selectorELNS0_4arch9wavefront6targetE0EEEvSG_.has_recursion, 0
	.set _ZN7rocprim17ROCPRIM_400000_NS6detail17trampoline_kernelINS0_14default_configENS1_35radix_sort_onesweep_config_selectorIaNS0_10empty_typeEEEZZNS1_29radix_sort_onesweep_iterationIS3_Lb1EPKaPaPS5_SB_mNS0_19identity_decomposerENS1_16block_id_wrapperIjLb0EEEEE10hipError_tT1_PNSt15iterator_traitsISG_E10value_typeET2_T3_PNSH_ISM_E10value_typeET4_T5_PSR_SS_PNS1_23onesweep_lookback_stateEbbT6_jjT7_P12ihipStream_tbENKUlT_T0_SG_SL_E_clISA_SA_SB_SB_EEDaSZ_S10_SG_SL_EUlSZ_E_NS1_11comp_targetILNS1_3genE9ELNS1_11target_archE1100ELNS1_3gpuE3ELNS1_3repE0EEENS1_47radix_sort_onesweep_sort_config_static_selectorELNS0_4arch9wavefront6targetE0EEEvSG_.has_indirect_call, 0
	.section	.AMDGPU.csdata,"",@progbits
; Kernel info:
; codeLenInByte = 0
; TotalNumSgprs: 0
; NumVgprs: 0
; ScratchSize: 0
; MemoryBound: 0
; FloatMode: 240
; IeeeMode: 1
; LDSByteSize: 0 bytes/workgroup (compile time only)
; SGPRBlocks: 0
; VGPRBlocks: 0
; NumSGPRsForWavesPerEU: 1
; NumVGPRsForWavesPerEU: 1
; NamedBarCnt: 0
; Occupancy: 16
; WaveLimiterHint : 0
; COMPUTE_PGM_RSRC2:SCRATCH_EN: 0
; COMPUTE_PGM_RSRC2:USER_SGPR: 2
; COMPUTE_PGM_RSRC2:TRAP_HANDLER: 0
; COMPUTE_PGM_RSRC2:TGID_X_EN: 1
; COMPUTE_PGM_RSRC2:TGID_Y_EN: 0
; COMPUTE_PGM_RSRC2:TGID_Z_EN: 0
; COMPUTE_PGM_RSRC2:TIDIG_COMP_CNT: 0
	.section	.text._ZN7rocprim17ROCPRIM_400000_NS6detail17trampoline_kernelINS0_14default_configENS1_35radix_sort_onesweep_config_selectorIaNS0_10empty_typeEEEZZNS1_29radix_sort_onesweep_iterationIS3_Lb1EPKaPaPS5_SB_mNS0_19identity_decomposerENS1_16block_id_wrapperIjLb0EEEEE10hipError_tT1_PNSt15iterator_traitsISG_E10value_typeET2_T3_PNSH_ISM_E10value_typeET4_T5_PSR_SS_PNS1_23onesweep_lookback_stateEbbT6_jjT7_P12ihipStream_tbENKUlT_T0_SG_SL_E_clISA_SA_SB_SB_EEDaSZ_S10_SG_SL_EUlSZ_E_NS1_11comp_targetILNS1_3genE8ELNS1_11target_archE1030ELNS1_3gpuE2ELNS1_3repE0EEENS1_47radix_sort_onesweep_sort_config_static_selectorELNS0_4arch9wavefront6targetE0EEEvSG_,"axG",@progbits,_ZN7rocprim17ROCPRIM_400000_NS6detail17trampoline_kernelINS0_14default_configENS1_35radix_sort_onesweep_config_selectorIaNS0_10empty_typeEEEZZNS1_29radix_sort_onesweep_iterationIS3_Lb1EPKaPaPS5_SB_mNS0_19identity_decomposerENS1_16block_id_wrapperIjLb0EEEEE10hipError_tT1_PNSt15iterator_traitsISG_E10value_typeET2_T3_PNSH_ISM_E10value_typeET4_T5_PSR_SS_PNS1_23onesweep_lookback_stateEbbT6_jjT7_P12ihipStream_tbENKUlT_T0_SG_SL_E_clISA_SA_SB_SB_EEDaSZ_S10_SG_SL_EUlSZ_E_NS1_11comp_targetILNS1_3genE8ELNS1_11target_archE1030ELNS1_3gpuE2ELNS1_3repE0EEENS1_47radix_sort_onesweep_sort_config_static_selectorELNS0_4arch9wavefront6targetE0EEEvSG_,comdat
	.protected	_ZN7rocprim17ROCPRIM_400000_NS6detail17trampoline_kernelINS0_14default_configENS1_35radix_sort_onesweep_config_selectorIaNS0_10empty_typeEEEZZNS1_29radix_sort_onesweep_iterationIS3_Lb1EPKaPaPS5_SB_mNS0_19identity_decomposerENS1_16block_id_wrapperIjLb0EEEEE10hipError_tT1_PNSt15iterator_traitsISG_E10value_typeET2_T3_PNSH_ISM_E10value_typeET4_T5_PSR_SS_PNS1_23onesweep_lookback_stateEbbT6_jjT7_P12ihipStream_tbENKUlT_T0_SG_SL_E_clISA_SA_SB_SB_EEDaSZ_S10_SG_SL_EUlSZ_E_NS1_11comp_targetILNS1_3genE8ELNS1_11target_archE1030ELNS1_3gpuE2ELNS1_3repE0EEENS1_47radix_sort_onesweep_sort_config_static_selectorELNS0_4arch9wavefront6targetE0EEEvSG_ ; -- Begin function _ZN7rocprim17ROCPRIM_400000_NS6detail17trampoline_kernelINS0_14default_configENS1_35radix_sort_onesweep_config_selectorIaNS0_10empty_typeEEEZZNS1_29radix_sort_onesweep_iterationIS3_Lb1EPKaPaPS5_SB_mNS0_19identity_decomposerENS1_16block_id_wrapperIjLb0EEEEE10hipError_tT1_PNSt15iterator_traitsISG_E10value_typeET2_T3_PNSH_ISM_E10value_typeET4_T5_PSR_SS_PNS1_23onesweep_lookback_stateEbbT6_jjT7_P12ihipStream_tbENKUlT_T0_SG_SL_E_clISA_SA_SB_SB_EEDaSZ_S10_SG_SL_EUlSZ_E_NS1_11comp_targetILNS1_3genE8ELNS1_11target_archE1030ELNS1_3gpuE2ELNS1_3repE0EEENS1_47radix_sort_onesweep_sort_config_static_selectorELNS0_4arch9wavefront6targetE0EEEvSG_
	.globl	_ZN7rocprim17ROCPRIM_400000_NS6detail17trampoline_kernelINS0_14default_configENS1_35radix_sort_onesweep_config_selectorIaNS0_10empty_typeEEEZZNS1_29radix_sort_onesweep_iterationIS3_Lb1EPKaPaPS5_SB_mNS0_19identity_decomposerENS1_16block_id_wrapperIjLb0EEEEE10hipError_tT1_PNSt15iterator_traitsISG_E10value_typeET2_T3_PNSH_ISM_E10value_typeET4_T5_PSR_SS_PNS1_23onesweep_lookback_stateEbbT6_jjT7_P12ihipStream_tbENKUlT_T0_SG_SL_E_clISA_SA_SB_SB_EEDaSZ_S10_SG_SL_EUlSZ_E_NS1_11comp_targetILNS1_3genE8ELNS1_11target_archE1030ELNS1_3gpuE2ELNS1_3repE0EEENS1_47radix_sort_onesweep_sort_config_static_selectorELNS0_4arch9wavefront6targetE0EEEvSG_
	.p2align	8
	.type	_ZN7rocprim17ROCPRIM_400000_NS6detail17trampoline_kernelINS0_14default_configENS1_35radix_sort_onesweep_config_selectorIaNS0_10empty_typeEEEZZNS1_29radix_sort_onesweep_iterationIS3_Lb1EPKaPaPS5_SB_mNS0_19identity_decomposerENS1_16block_id_wrapperIjLb0EEEEE10hipError_tT1_PNSt15iterator_traitsISG_E10value_typeET2_T3_PNSH_ISM_E10value_typeET4_T5_PSR_SS_PNS1_23onesweep_lookback_stateEbbT6_jjT7_P12ihipStream_tbENKUlT_T0_SG_SL_E_clISA_SA_SB_SB_EEDaSZ_S10_SG_SL_EUlSZ_E_NS1_11comp_targetILNS1_3genE8ELNS1_11target_archE1030ELNS1_3gpuE2ELNS1_3repE0EEENS1_47radix_sort_onesweep_sort_config_static_selectorELNS0_4arch9wavefront6targetE0EEEvSG_,@function
_ZN7rocprim17ROCPRIM_400000_NS6detail17trampoline_kernelINS0_14default_configENS1_35radix_sort_onesweep_config_selectorIaNS0_10empty_typeEEEZZNS1_29radix_sort_onesweep_iterationIS3_Lb1EPKaPaPS5_SB_mNS0_19identity_decomposerENS1_16block_id_wrapperIjLb0EEEEE10hipError_tT1_PNSt15iterator_traitsISG_E10value_typeET2_T3_PNSH_ISM_E10value_typeET4_T5_PSR_SS_PNS1_23onesweep_lookback_stateEbbT6_jjT7_P12ihipStream_tbENKUlT_T0_SG_SL_E_clISA_SA_SB_SB_EEDaSZ_S10_SG_SL_EUlSZ_E_NS1_11comp_targetILNS1_3genE8ELNS1_11target_archE1030ELNS1_3gpuE2ELNS1_3repE0EEENS1_47radix_sort_onesweep_sort_config_static_selectorELNS0_4arch9wavefront6targetE0EEEvSG_: ; @_ZN7rocprim17ROCPRIM_400000_NS6detail17trampoline_kernelINS0_14default_configENS1_35radix_sort_onesweep_config_selectorIaNS0_10empty_typeEEEZZNS1_29radix_sort_onesweep_iterationIS3_Lb1EPKaPaPS5_SB_mNS0_19identity_decomposerENS1_16block_id_wrapperIjLb0EEEEE10hipError_tT1_PNSt15iterator_traitsISG_E10value_typeET2_T3_PNSH_ISM_E10value_typeET4_T5_PSR_SS_PNS1_23onesweep_lookback_stateEbbT6_jjT7_P12ihipStream_tbENKUlT_T0_SG_SL_E_clISA_SA_SB_SB_EEDaSZ_S10_SG_SL_EUlSZ_E_NS1_11comp_targetILNS1_3genE8ELNS1_11target_archE1030ELNS1_3gpuE2ELNS1_3repE0EEENS1_47radix_sort_onesweep_sort_config_static_selectorELNS0_4arch9wavefront6targetE0EEEvSG_
; %bb.0:
	.section	.rodata,"a",@progbits
	.p2align	6, 0x0
	.amdhsa_kernel _ZN7rocprim17ROCPRIM_400000_NS6detail17trampoline_kernelINS0_14default_configENS1_35radix_sort_onesweep_config_selectorIaNS0_10empty_typeEEEZZNS1_29radix_sort_onesweep_iterationIS3_Lb1EPKaPaPS5_SB_mNS0_19identity_decomposerENS1_16block_id_wrapperIjLb0EEEEE10hipError_tT1_PNSt15iterator_traitsISG_E10value_typeET2_T3_PNSH_ISM_E10value_typeET4_T5_PSR_SS_PNS1_23onesweep_lookback_stateEbbT6_jjT7_P12ihipStream_tbENKUlT_T0_SG_SL_E_clISA_SA_SB_SB_EEDaSZ_S10_SG_SL_EUlSZ_E_NS1_11comp_targetILNS1_3genE8ELNS1_11target_archE1030ELNS1_3gpuE2ELNS1_3repE0EEENS1_47radix_sort_onesweep_sort_config_static_selectorELNS0_4arch9wavefront6targetE0EEEvSG_
		.amdhsa_group_segment_fixed_size 0
		.amdhsa_private_segment_fixed_size 0
		.amdhsa_kernarg_size 88
		.amdhsa_user_sgpr_count 2
		.amdhsa_user_sgpr_dispatch_ptr 0
		.amdhsa_user_sgpr_queue_ptr 0
		.amdhsa_user_sgpr_kernarg_segment_ptr 1
		.amdhsa_user_sgpr_dispatch_id 0
		.amdhsa_user_sgpr_kernarg_preload_length 0
		.amdhsa_user_sgpr_kernarg_preload_offset 0
		.amdhsa_user_sgpr_private_segment_size 0
		.amdhsa_wavefront_size32 1
		.amdhsa_uses_dynamic_stack 0
		.amdhsa_enable_private_segment 0
		.amdhsa_system_sgpr_workgroup_id_x 1
		.amdhsa_system_sgpr_workgroup_id_y 0
		.amdhsa_system_sgpr_workgroup_id_z 0
		.amdhsa_system_sgpr_workgroup_info 0
		.amdhsa_system_vgpr_workitem_id 0
		.amdhsa_next_free_vgpr 1
		.amdhsa_next_free_sgpr 1
		.amdhsa_named_barrier_count 0
		.amdhsa_reserve_vcc 0
		.amdhsa_float_round_mode_32 0
		.amdhsa_float_round_mode_16_64 0
		.amdhsa_float_denorm_mode_32 3
		.amdhsa_float_denorm_mode_16_64 3
		.amdhsa_fp16_overflow 0
		.amdhsa_memory_ordered 1
		.amdhsa_forward_progress 1
		.amdhsa_inst_pref_size 0
		.amdhsa_round_robin_scheduling 0
		.amdhsa_exception_fp_ieee_invalid_op 0
		.amdhsa_exception_fp_denorm_src 0
		.amdhsa_exception_fp_ieee_div_zero 0
		.amdhsa_exception_fp_ieee_overflow 0
		.amdhsa_exception_fp_ieee_underflow 0
		.amdhsa_exception_fp_ieee_inexact 0
		.amdhsa_exception_int_div_zero 0
	.end_amdhsa_kernel
	.section	.text._ZN7rocprim17ROCPRIM_400000_NS6detail17trampoline_kernelINS0_14default_configENS1_35radix_sort_onesweep_config_selectorIaNS0_10empty_typeEEEZZNS1_29radix_sort_onesweep_iterationIS3_Lb1EPKaPaPS5_SB_mNS0_19identity_decomposerENS1_16block_id_wrapperIjLb0EEEEE10hipError_tT1_PNSt15iterator_traitsISG_E10value_typeET2_T3_PNSH_ISM_E10value_typeET4_T5_PSR_SS_PNS1_23onesweep_lookback_stateEbbT6_jjT7_P12ihipStream_tbENKUlT_T0_SG_SL_E_clISA_SA_SB_SB_EEDaSZ_S10_SG_SL_EUlSZ_E_NS1_11comp_targetILNS1_3genE8ELNS1_11target_archE1030ELNS1_3gpuE2ELNS1_3repE0EEENS1_47radix_sort_onesweep_sort_config_static_selectorELNS0_4arch9wavefront6targetE0EEEvSG_,"axG",@progbits,_ZN7rocprim17ROCPRIM_400000_NS6detail17trampoline_kernelINS0_14default_configENS1_35radix_sort_onesweep_config_selectorIaNS0_10empty_typeEEEZZNS1_29radix_sort_onesweep_iterationIS3_Lb1EPKaPaPS5_SB_mNS0_19identity_decomposerENS1_16block_id_wrapperIjLb0EEEEE10hipError_tT1_PNSt15iterator_traitsISG_E10value_typeET2_T3_PNSH_ISM_E10value_typeET4_T5_PSR_SS_PNS1_23onesweep_lookback_stateEbbT6_jjT7_P12ihipStream_tbENKUlT_T0_SG_SL_E_clISA_SA_SB_SB_EEDaSZ_S10_SG_SL_EUlSZ_E_NS1_11comp_targetILNS1_3genE8ELNS1_11target_archE1030ELNS1_3gpuE2ELNS1_3repE0EEENS1_47radix_sort_onesweep_sort_config_static_selectorELNS0_4arch9wavefront6targetE0EEEvSG_,comdat
.Lfunc_end390:
	.size	_ZN7rocprim17ROCPRIM_400000_NS6detail17trampoline_kernelINS0_14default_configENS1_35radix_sort_onesweep_config_selectorIaNS0_10empty_typeEEEZZNS1_29radix_sort_onesweep_iterationIS3_Lb1EPKaPaPS5_SB_mNS0_19identity_decomposerENS1_16block_id_wrapperIjLb0EEEEE10hipError_tT1_PNSt15iterator_traitsISG_E10value_typeET2_T3_PNSH_ISM_E10value_typeET4_T5_PSR_SS_PNS1_23onesweep_lookback_stateEbbT6_jjT7_P12ihipStream_tbENKUlT_T0_SG_SL_E_clISA_SA_SB_SB_EEDaSZ_S10_SG_SL_EUlSZ_E_NS1_11comp_targetILNS1_3genE8ELNS1_11target_archE1030ELNS1_3gpuE2ELNS1_3repE0EEENS1_47radix_sort_onesweep_sort_config_static_selectorELNS0_4arch9wavefront6targetE0EEEvSG_, .Lfunc_end390-_ZN7rocprim17ROCPRIM_400000_NS6detail17trampoline_kernelINS0_14default_configENS1_35radix_sort_onesweep_config_selectorIaNS0_10empty_typeEEEZZNS1_29radix_sort_onesweep_iterationIS3_Lb1EPKaPaPS5_SB_mNS0_19identity_decomposerENS1_16block_id_wrapperIjLb0EEEEE10hipError_tT1_PNSt15iterator_traitsISG_E10value_typeET2_T3_PNSH_ISM_E10value_typeET4_T5_PSR_SS_PNS1_23onesweep_lookback_stateEbbT6_jjT7_P12ihipStream_tbENKUlT_T0_SG_SL_E_clISA_SA_SB_SB_EEDaSZ_S10_SG_SL_EUlSZ_E_NS1_11comp_targetILNS1_3genE8ELNS1_11target_archE1030ELNS1_3gpuE2ELNS1_3repE0EEENS1_47radix_sort_onesweep_sort_config_static_selectorELNS0_4arch9wavefront6targetE0EEEvSG_
                                        ; -- End function
	.set _ZN7rocprim17ROCPRIM_400000_NS6detail17trampoline_kernelINS0_14default_configENS1_35radix_sort_onesweep_config_selectorIaNS0_10empty_typeEEEZZNS1_29radix_sort_onesweep_iterationIS3_Lb1EPKaPaPS5_SB_mNS0_19identity_decomposerENS1_16block_id_wrapperIjLb0EEEEE10hipError_tT1_PNSt15iterator_traitsISG_E10value_typeET2_T3_PNSH_ISM_E10value_typeET4_T5_PSR_SS_PNS1_23onesweep_lookback_stateEbbT6_jjT7_P12ihipStream_tbENKUlT_T0_SG_SL_E_clISA_SA_SB_SB_EEDaSZ_S10_SG_SL_EUlSZ_E_NS1_11comp_targetILNS1_3genE8ELNS1_11target_archE1030ELNS1_3gpuE2ELNS1_3repE0EEENS1_47radix_sort_onesweep_sort_config_static_selectorELNS0_4arch9wavefront6targetE0EEEvSG_.num_vgpr, 0
	.set _ZN7rocprim17ROCPRIM_400000_NS6detail17trampoline_kernelINS0_14default_configENS1_35radix_sort_onesweep_config_selectorIaNS0_10empty_typeEEEZZNS1_29radix_sort_onesweep_iterationIS3_Lb1EPKaPaPS5_SB_mNS0_19identity_decomposerENS1_16block_id_wrapperIjLb0EEEEE10hipError_tT1_PNSt15iterator_traitsISG_E10value_typeET2_T3_PNSH_ISM_E10value_typeET4_T5_PSR_SS_PNS1_23onesweep_lookback_stateEbbT6_jjT7_P12ihipStream_tbENKUlT_T0_SG_SL_E_clISA_SA_SB_SB_EEDaSZ_S10_SG_SL_EUlSZ_E_NS1_11comp_targetILNS1_3genE8ELNS1_11target_archE1030ELNS1_3gpuE2ELNS1_3repE0EEENS1_47radix_sort_onesweep_sort_config_static_selectorELNS0_4arch9wavefront6targetE0EEEvSG_.num_agpr, 0
	.set _ZN7rocprim17ROCPRIM_400000_NS6detail17trampoline_kernelINS0_14default_configENS1_35radix_sort_onesweep_config_selectorIaNS0_10empty_typeEEEZZNS1_29radix_sort_onesweep_iterationIS3_Lb1EPKaPaPS5_SB_mNS0_19identity_decomposerENS1_16block_id_wrapperIjLb0EEEEE10hipError_tT1_PNSt15iterator_traitsISG_E10value_typeET2_T3_PNSH_ISM_E10value_typeET4_T5_PSR_SS_PNS1_23onesweep_lookback_stateEbbT6_jjT7_P12ihipStream_tbENKUlT_T0_SG_SL_E_clISA_SA_SB_SB_EEDaSZ_S10_SG_SL_EUlSZ_E_NS1_11comp_targetILNS1_3genE8ELNS1_11target_archE1030ELNS1_3gpuE2ELNS1_3repE0EEENS1_47radix_sort_onesweep_sort_config_static_selectorELNS0_4arch9wavefront6targetE0EEEvSG_.numbered_sgpr, 0
	.set _ZN7rocprim17ROCPRIM_400000_NS6detail17trampoline_kernelINS0_14default_configENS1_35radix_sort_onesweep_config_selectorIaNS0_10empty_typeEEEZZNS1_29radix_sort_onesweep_iterationIS3_Lb1EPKaPaPS5_SB_mNS0_19identity_decomposerENS1_16block_id_wrapperIjLb0EEEEE10hipError_tT1_PNSt15iterator_traitsISG_E10value_typeET2_T3_PNSH_ISM_E10value_typeET4_T5_PSR_SS_PNS1_23onesweep_lookback_stateEbbT6_jjT7_P12ihipStream_tbENKUlT_T0_SG_SL_E_clISA_SA_SB_SB_EEDaSZ_S10_SG_SL_EUlSZ_E_NS1_11comp_targetILNS1_3genE8ELNS1_11target_archE1030ELNS1_3gpuE2ELNS1_3repE0EEENS1_47radix_sort_onesweep_sort_config_static_selectorELNS0_4arch9wavefront6targetE0EEEvSG_.num_named_barrier, 0
	.set _ZN7rocprim17ROCPRIM_400000_NS6detail17trampoline_kernelINS0_14default_configENS1_35radix_sort_onesweep_config_selectorIaNS0_10empty_typeEEEZZNS1_29radix_sort_onesweep_iterationIS3_Lb1EPKaPaPS5_SB_mNS0_19identity_decomposerENS1_16block_id_wrapperIjLb0EEEEE10hipError_tT1_PNSt15iterator_traitsISG_E10value_typeET2_T3_PNSH_ISM_E10value_typeET4_T5_PSR_SS_PNS1_23onesweep_lookback_stateEbbT6_jjT7_P12ihipStream_tbENKUlT_T0_SG_SL_E_clISA_SA_SB_SB_EEDaSZ_S10_SG_SL_EUlSZ_E_NS1_11comp_targetILNS1_3genE8ELNS1_11target_archE1030ELNS1_3gpuE2ELNS1_3repE0EEENS1_47radix_sort_onesweep_sort_config_static_selectorELNS0_4arch9wavefront6targetE0EEEvSG_.private_seg_size, 0
	.set _ZN7rocprim17ROCPRIM_400000_NS6detail17trampoline_kernelINS0_14default_configENS1_35radix_sort_onesweep_config_selectorIaNS0_10empty_typeEEEZZNS1_29radix_sort_onesweep_iterationIS3_Lb1EPKaPaPS5_SB_mNS0_19identity_decomposerENS1_16block_id_wrapperIjLb0EEEEE10hipError_tT1_PNSt15iterator_traitsISG_E10value_typeET2_T3_PNSH_ISM_E10value_typeET4_T5_PSR_SS_PNS1_23onesweep_lookback_stateEbbT6_jjT7_P12ihipStream_tbENKUlT_T0_SG_SL_E_clISA_SA_SB_SB_EEDaSZ_S10_SG_SL_EUlSZ_E_NS1_11comp_targetILNS1_3genE8ELNS1_11target_archE1030ELNS1_3gpuE2ELNS1_3repE0EEENS1_47radix_sort_onesweep_sort_config_static_selectorELNS0_4arch9wavefront6targetE0EEEvSG_.uses_vcc, 0
	.set _ZN7rocprim17ROCPRIM_400000_NS6detail17trampoline_kernelINS0_14default_configENS1_35radix_sort_onesweep_config_selectorIaNS0_10empty_typeEEEZZNS1_29radix_sort_onesweep_iterationIS3_Lb1EPKaPaPS5_SB_mNS0_19identity_decomposerENS1_16block_id_wrapperIjLb0EEEEE10hipError_tT1_PNSt15iterator_traitsISG_E10value_typeET2_T3_PNSH_ISM_E10value_typeET4_T5_PSR_SS_PNS1_23onesweep_lookback_stateEbbT6_jjT7_P12ihipStream_tbENKUlT_T0_SG_SL_E_clISA_SA_SB_SB_EEDaSZ_S10_SG_SL_EUlSZ_E_NS1_11comp_targetILNS1_3genE8ELNS1_11target_archE1030ELNS1_3gpuE2ELNS1_3repE0EEENS1_47radix_sort_onesweep_sort_config_static_selectorELNS0_4arch9wavefront6targetE0EEEvSG_.uses_flat_scratch, 0
	.set _ZN7rocprim17ROCPRIM_400000_NS6detail17trampoline_kernelINS0_14default_configENS1_35radix_sort_onesweep_config_selectorIaNS0_10empty_typeEEEZZNS1_29radix_sort_onesweep_iterationIS3_Lb1EPKaPaPS5_SB_mNS0_19identity_decomposerENS1_16block_id_wrapperIjLb0EEEEE10hipError_tT1_PNSt15iterator_traitsISG_E10value_typeET2_T3_PNSH_ISM_E10value_typeET4_T5_PSR_SS_PNS1_23onesweep_lookback_stateEbbT6_jjT7_P12ihipStream_tbENKUlT_T0_SG_SL_E_clISA_SA_SB_SB_EEDaSZ_S10_SG_SL_EUlSZ_E_NS1_11comp_targetILNS1_3genE8ELNS1_11target_archE1030ELNS1_3gpuE2ELNS1_3repE0EEENS1_47radix_sort_onesweep_sort_config_static_selectorELNS0_4arch9wavefront6targetE0EEEvSG_.has_dyn_sized_stack, 0
	.set _ZN7rocprim17ROCPRIM_400000_NS6detail17trampoline_kernelINS0_14default_configENS1_35radix_sort_onesweep_config_selectorIaNS0_10empty_typeEEEZZNS1_29radix_sort_onesweep_iterationIS3_Lb1EPKaPaPS5_SB_mNS0_19identity_decomposerENS1_16block_id_wrapperIjLb0EEEEE10hipError_tT1_PNSt15iterator_traitsISG_E10value_typeET2_T3_PNSH_ISM_E10value_typeET4_T5_PSR_SS_PNS1_23onesweep_lookback_stateEbbT6_jjT7_P12ihipStream_tbENKUlT_T0_SG_SL_E_clISA_SA_SB_SB_EEDaSZ_S10_SG_SL_EUlSZ_E_NS1_11comp_targetILNS1_3genE8ELNS1_11target_archE1030ELNS1_3gpuE2ELNS1_3repE0EEENS1_47radix_sort_onesweep_sort_config_static_selectorELNS0_4arch9wavefront6targetE0EEEvSG_.has_recursion, 0
	.set _ZN7rocprim17ROCPRIM_400000_NS6detail17trampoline_kernelINS0_14default_configENS1_35radix_sort_onesweep_config_selectorIaNS0_10empty_typeEEEZZNS1_29radix_sort_onesweep_iterationIS3_Lb1EPKaPaPS5_SB_mNS0_19identity_decomposerENS1_16block_id_wrapperIjLb0EEEEE10hipError_tT1_PNSt15iterator_traitsISG_E10value_typeET2_T3_PNSH_ISM_E10value_typeET4_T5_PSR_SS_PNS1_23onesweep_lookback_stateEbbT6_jjT7_P12ihipStream_tbENKUlT_T0_SG_SL_E_clISA_SA_SB_SB_EEDaSZ_S10_SG_SL_EUlSZ_E_NS1_11comp_targetILNS1_3genE8ELNS1_11target_archE1030ELNS1_3gpuE2ELNS1_3repE0EEENS1_47radix_sort_onesweep_sort_config_static_selectorELNS0_4arch9wavefront6targetE0EEEvSG_.has_indirect_call, 0
	.section	.AMDGPU.csdata,"",@progbits
; Kernel info:
; codeLenInByte = 0
; TotalNumSgprs: 0
; NumVgprs: 0
; ScratchSize: 0
; MemoryBound: 0
; FloatMode: 240
; IeeeMode: 1
; LDSByteSize: 0 bytes/workgroup (compile time only)
; SGPRBlocks: 0
; VGPRBlocks: 0
; NumSGPRsForWavesPerEU: 1
; NumVGPRsForWavesPerEU: 1
; NamedBarCnt: 0
; Occupancy: 16
; WaveLimiterHint : 0
; COMPUTE_PGM_RSRC2:SCRATCH_EN: 0
; COMPUTE_PGM_RSRC2:USER_SGPR: 2
; COMPUTE_PGM_RSRC2:TRAP_HANDLER: 0
; COMPUTE_PGM_RSRC2:TGID_X_EN: 1
; COMPUTE_PGM_RSRC2:TGID_Y_EN: 0
; COMPUTE_PGM_RSRC2:TGID_Z_EN: 0
; COMPUTE_PGM_RSRC2:TIDIG_COMP_CNT: 0
	.section	.text._ZN7rocprim17ROCPRIM_400000_NS6detail17trampoline_kernelINS0_13kernel_configILj256ELj4ELj4294967295EEENS1_37radix_sort_block_sort_config_selectorIaNS0_10empty_typeEEEZNS1_21radix_sort_block_sortIS4_Lb0EPKaPaPS6_SC_NS0_19identity_decomposerEEE10hipError_tT1_T2_T3_T4_jRjT5_jjP12ihipStream_tbEUlT_E_NS1_11comp_targetILNS1_3genE0ELNS1_11target_archE4294967295ELNS1_3gpuE0ELNS1_3repE0EEENS1_44radix_sort_block_sort_config_static_selectorELNS0_4arch9wavefront6targetE0EEEvSF_,"axG",@progbits,_ZN7rocprim17ROCPRIM_400000_NS6detail17trampoline_kernelINS0_13kernel_configILj256ELj4ELj4294967295EEENS1_37radix_sort_block_sort_config_selectorIaNS0_10empty_typeEEEZNS1_21radix_sort_block_sortIS4_Lb0EPKaPaPS6_SC_NS0_19identity_decomposerEEE10hipError_tT1_T2_T3_T4_jRjT5_jjP12ihipStream_tbEUlT_E_NS1_11comp_targetILNS1_3genE0ELNS1_11target_archE4294967295ELNS1_3gpuE0ELNS1_3repE0EEENS1_44radix_sort_block_sort_config_static_selectorELNS0_4arch9wavefront6targetE0EEEvSF_,comdat
	.protected	_ZN7rocprim17ROCPRIM_400000_NS6detail17trampoline_kernelINS0_13kernel_configILj256ELj4ELj4294967295EEENS1_37radix_sort_block_sort_config_selectorIaNS0_10empty_typeEEEZNS1_21radix_sort_block_sortIS4_Lb0EPKaPaPS6_SC_NS0_19identity_decomposerEEE10hipError_tT1_T2_T3_T4_jRjT5_jjP12ihipStream_tbEUlT_E_NS1_11comp_targetILNS1_3genE0ELNS1_11target_archE4294967295ELNS1_3gpuE0ELNS1_3repE0EEENS1_44radix_sort_block_sort_config_static_selectorELNS0_4arch9wavefront6targetE0EEEvSF_ ; -- Begin function _ZN7rocprim17ROCPRIM_400000_NS6detail17trampoline_kernelINS0_13kernel_configILj256ELj4ELj4294967295EEENS1_37radix_sort_block_sort_config_selectorIaNS0_10empty_typeEEEZNS1_21radix_sort_block_sortIS4_Lb0EPKaPaPS6_SC_NS0_19identity_decomposerEEE10hipError_tT1_T2_T3_T4_jRjT5_jjP12ihipStream_tbEUlT_E_NS1_11comp_targetILNS1_3genE0ELNS1_11target_archE4294967295ELNS1_3gpuE0ELNS1_3repE0EEENS1_44radix_sort_block_sort_config_static_selectorELNS0_4arch9wavefront6targetE0EEEvSF_
	.globl	_ZN7rocprim17ROCPRIM_400000_NS6detail17trampoline_kernelINS0_13kernel_configILj256ELj4ELj4294967295EEENS1_37radix_sort_block_sort_config_selectorIaNS0_10empty_typeEEEZNS1_21radix_sort_block_sortIS4_Lb0EPKaPaPS6_SC_NS0_19identity_decomposerEEE10hipError_tT1_T2_T3_T4_jRjT5_jjP12ihipStream_tbEUlT_E_NS1_11comp_targetILNS1_3genE0ELNS1_11target_archE4294967295ELNS1_3gpuE0ELNS1_3repE0EEENS1_44radix_sort_block_sort_config_static_selectorELNS0_4arch9wavefront6targetE0EEEvSF_
	.p2align	8
	.type	_ZN7rocprim17ROCPRIM_400000_NS6detail17trampoline_kernelINS0_13kernel_configILj256ELj4ELj4294967295EEENS1_37radix_sort_block_sort_config_selectorIaNS0_10empty_typeEEEZNS1_21radix_sort_block_sortIS4_Lb0EPKaPaPS6_SC_NS0_19identity_decomposerEEE10hipError_tT1_T2_T3_T4_jRjT5_jjP12ihipStream_tbEUlT_E_NS1_11comp_targetILNS1_3genE0ELNS1_11target_archE4294967295ELNS1_3gpuE0ELNS1_3repE0EEENS1_44radix_sort_block_sort_config_static_selectorELNS0_4arch9wavefront6targetE0EEEvSF_,@function
_ZN7rocprim17ROCPRIM_400000_NS6detail17trampoline_kernelINS0_13kernel_configILj256ELj4ELj4294967295EEENS1_37radix_sort_block_sort_config_selectorIaNS0_10empty_typeEEEZNS1_21radix_sort_block_sortIS4_Lb0EPKaPaPS6_SC_NS0_19identity_decomposerEEE10hipError_tT1_T2_T3_T4_jRjT5_jjP12ihipStream_tbEUlT_E_NS1_11comp_targetILNS1_3genE0ELNS1_11target_archE4294967295ELNS1_3gpuE0ELNS1_3repE0EEENS1_44radix_sort_block_sort_config_static_selectorELNS0_4arch9wavefront6targetE0EEEvSF_: ; @_ZN7rocprim17ROCPRIM_400000_NS6detail17trampoline_kernelINS0_13kernel_configILj256ELj4ELj4294967295EEENS1_37radix_sort_block_sort_config_selectorIaNS0_10empty_typeEEEZNS1_21radix_sort_block_sortIS4_Lb0EPKaPaPS6_SC_NS0_19identity_decomposerEEE10hipError_tT1_T2_T3_T4_jRjT5_jjP12ihipStream_tbEUlT_E_NS1_11comp_targetILNS1_3genE0ELNS1_11target_archE4294967295ELNS1_3gpuE0ELNS1_3repE0EEENS1_44radix_sort_block_sort_config_static_selectorELNS0_4arch9wavefront6targetE0EEEvSF_
; %bb.0:
	s_clause 0x1
	s_load_b128 s[16:19], s[0:1], 0x0
	s_load_b32 s2, s[0:1], 0x20
	s_bfe_u32 s3, ttmp6, 0x4000c
	s_and_b32 s4, ttmp6, 15
	s_add_co_i32 s3, s3, 1
	s_getreg_b32 s5, hwreg(HW_REG_IB_STS2, 6, 4)
	s_mul_i32 s3, ttmp9, s3
	v_and_b32_e32 v8, 0x3ff, v0
	s_add_co_i32 s4, s4, s3
	s_cmp_eq_u32 s5, 0
	v_mbcnt_lo_u32_b32 v2, -1, 0
	s_cselect_b32 s3, ttmp9, s4
	v_dual_mov_b32 v3, 0 :: v_dual_lshlrev_b32 v1, 2, v8
	s_mov_b32 s21, 0
	s_lshl_b32 s20, s3, 10
	s_delay_alu instid0(VALU_DEP_1) | instskip(NEXT) | instid1(VALU_DEP_2)
	v_mov_b32_e32 v5, v3
	v_and_b32_e32 v4, 0x380, v1
	s_wait_kmcnt 0x0
	s_add_nc_u64 s[4:5], s[16:17], s[20:21]
	s_delay_alu instid0(SALU_CYCLE_1) | instskip(SKIP_1) | instid1(SALU_CYCLE_1)
	v_add_nc_u64_e32 v[6:7], s[4:5], v[2:3]
	s_lshr_b32 s4, s2, 10
	s_cmp_lg_u32 s3, s4
	s_cselect_b32 s25, -1, 0
	s_cmp_eq_u32 s3, s4
	s_delay_alu instid0(VALU_DEP_1)
	v_add_nc_u64_e32 v[6:7], v[6:7], v[4:5]
	s_mov_b32 s4, -1
	s_cbranch_scc1 .LBB391_2
; %bb.1:
	s_clause 0x2
	global_load_u8 v5, v[6:7], off offset:64
	global_load_u8 v3, v[6:7], off offset:32
	global_load_u8 v1, v[6:7], off
	s_mov_b32 s3, -1
	s_load_b64 s[22:23], s[0:1], 0x28
	s_sub_co_i32 s24, s2, s20
                                        ; implicit-def: $vgpr9
	s_cbranch_execnz .LBB391_10
	s_branch .LBB391_3
.LBB391_2:
	s_mov_b32 s3, s21
                                        ; implicit-def: $vgpr1
                                        ; implicit-def: $vgpr3
                                        ; implicit-def: $vgpr5
	s_load_b64 s[22:23], s[0:1], 0x28
	s_and_not1_b32 vcc_lo, exec_lo, s4
	s_sub_co_i32 s24, s2, s20
                                        ; implicit-def: $vgpr9
	s_cbranch_vccnz .LBB391_10
.LBB391_3:
	v_or_b32_e32 v10, v2, v4
	v_mov_b32_e32 v9, 0x7f
	s_wait_loadcnt 0x0
	v_mov_b32_e32 v1, 0x7f
	v_mov_b32_e32 v3, 0x7f
	;; [unrolled: 1-line block ×3, first 2 shown]
	s_mov_b32 s2, exec_lo
	v_cmpx_gt_u32_e64 s24, v10
	s_cbranch_execz .LBB391_5
; %bb.4:
	global_load_u8 v1, v[6:7], off
	v_mov_b32_e32 v9, 0x7f
	v_mov_b32_e32 v3, 0x7f
	;; [unrolled: 1-line block ×3, first 2 shown]
.LBB391_5:
	s_wait_xcnt 0x0
	s_or_b32 exec_lo, exec_lo, s2
	v_or_b32_e32 v11, 32, v10
	s_mov_b32 s2, exec_lo
	s_delay_alu instid0(VALU_DEP_1)
	v_cmpx_gt_u32_e64 s24, v11
	s_cbranch_execz .LBB391_7
; %bb.6:
	global_load_u8 v3, v[6:7], off offset:32
.LBB391_7:
	s_wait_xcnt 0x0
	s_or_b32 exec_lo, exec_lo, s2
	v_or_b32_e32 v11, 64, v10
	s_mov_b32 s2, exec_lo
	s_delay_alu instid0(VALU_DEP_1)
	v_cmpx_gt_u32_e64 s24, v11
	s_cbranch_execz .LBB391_9
; %bb.8:
	global_load_u8 v5, v[6:7], off offset:64
.LBB391_9:
	s_wait_xcnt 0x0
	s_or_b32 exec_lo, exec_lo, s2
	v_or_b32_e32 v10, 0x60, v10
	s_delay_alu instid0(VALU_DEP_1)
	v_cmp_gt_u32_e64 s3, s24, v10
.LBB391_10:
	s_delay_alu instid0(VALU_DEP_1)
	s_and_saveexec_b32 s2, s3
	s_cbranch_execz .LBB391_12
; %bb.11:
	global_load_u8 v9, v[6:7], off offset:96
.LBB391_12:
	s_wait_xcnt 0x0
	s_or_b32 exec_lo, exec_lo, s2
	s_load_b32 s6, s[0:1], 0x3c
	v_bfe_u32 v7, v0, 10, 10
	v_bfe_u32 v0, v0, 20, 10
	s_get_pc_i64 s[4:5]
	s_add_nc_u64 s[4:5], s[4:5], _ZN7rocprim17ROCPRIM_400000_NS16block_radix_sortIaLj256ELj4ENS0_10empty_typeELj1ELj1ELj0ELNS0_26block_radix_rank_algorithmE1ELNS0_18block_padding_hintE2ELNS0_4arch9wavefront6targetE0EE19radix_bits_per_passE@rel64+4
	s_wait_loadcnt 0x0
	v_xor_b32_e32 v3, 0x80, v3
	s_load_b32 s26, s[4:5], 0x0
	v_xor_b32_e32 v6, 0x80, v9
	v_and_b32_e32 v12, 0x3e0, v8
	v_xor_b32_e32 v1, 0x80, v1
	v_xor_b32_e32 v5, 0x80, v5
	v_sub_co_u32 v13, s2, v2, 1
	v_lshlrev_b16 v3, 8, v3
	v_lshlrev_b16 v6, 8, v6
	v_dual_lshrrev_b32 v16, 3, v8 :: v_dual_bitop2_b32 v11, 16, v2 bitop3:0x40
	s_delay_alu instid0(VALU_DEP_4) | instskip(NEXT) | instid1(VALU_DEP_4)
	v_cmp_gt_i32_e32 vcc_lo, 0, v13
	v_bitop3_b16 v1, v1, v3, 0xff bitop3:0xec
	s_delay_alu instid0(VALU_DEP_4)
	v_bitop3_b16 v3, v5, v6, 0xff bitop3:0xec
	v_dual_lshlrev_b32 v9, 5, v8 :: v_dual_bitop2_b32 v10, 15, v2 bitop3:0x40
	s_wait_kmcnt 0x0
	s_lshr_b32 s3, s6, 16
	s_and_b32 s5, s6, 0xffff
	v_mad_u32_u24 v0, v0, s3, v7
	v_min_u32_e32 v7, 0xe0, v12
	s_mov_b32 s14, 0
	v_dual_cndmask_b32 v5, v13, v2, vcc_lo :: v_dual_bitop2_b32 v17, 7, v2 bitop3:0x40
	s_delay_alu instid0(VALU_DEP_3) | instskip(NEXT) | instid1(VALU_DEP_3)
	v_mad_u32 v0, v0, s5, v8
	v_or_b32_e32 v6, 31, v7
	v_and_b32_e32 v1, 0xffff, v1
	s_delay_alu instid0(VALU_DEP_4)
	v_dual_lshlrev_b32 v3, 16, v3 :: v_dual_lshlrev_b32 v14, 2, v5
	v_and_b32_e32 v16, 0x7c, v16
	s_mov_b32 s15, s14
	s_mov_b32 s16, s14
	;; [unrolled: 1-line block ×3, first 2 shown]
	v_cmp_eq_u32_e64 s3, 0, v10
	v_cmp_lt_u32_e64 s4, 1, v10
	v_lshrrev_b32_e32 v0, 3, v0
	v_cmp_lt_u32_e64 s5, 3, v10
	v_cmp_lt_u32_e64 s6, 7, v10
	v_cmp_eq_u32_e64 s7, 0, v11
	v_mov_b64_e32 v[10:11], s[14:15]
	v_and_b32_e32 v15, 0x1ffffffc, v0
	v_mul_i32_i24_e32 v0, 0xffffffe4, v8
	v_mov_b64_e32 v[12:13], s[16:17]
	v_cmp_gt_u32_e64 s0, 8, v8
	v_cmp_lt_u32_e64 s1, 31, v8
	v_cmp_eq_u32_e64 s8, v8, v6
	v_or_b32_e32 v20, v1, v3
	v_cmp_eq_u32_e64 s9, 0, v8
	v_cmp_eq_u32_e64 s10, 0, v17
	v_cmp_lt_u32_e64 s11, 1, v17
	v_cmp_lt_u32_e64 s12, 3, v17
	v_add_nc_u32_e32 v17, -4, v16
	v_add_nc_u32_e32 v18, v9, v0
	v_add_nc_u32_e32 v19, v2, v4
	s_add_co_i32 s27, s23, s22
	s_branch .LBB391_14
.LBB391_13:                             ;   in Loop: Header=BB391_14 Depth=1
	s_and_not1_b32 vcc_lo, exec_lo, s14
	s_mov_b32 s23, s13
	s_cbranch_vccz .LBB391_30
.LBB391_14:                             ; =>This Inner Loop Header: Depth=1
	v_and_b32_e32 v0, 0xff, v20
	s_min_u32 s13, s26, s23
	ds_store_2addr_b64 v9, v[10:11], v[12:13] offset0:4 offset1:5
	ds_store_2addr_b64 v9, v[10:11], v[12:13] offset0:6 offset1:7
	s_lshl_b32 s28, -1, s13
	s_wait_dscnt 0x0
	v_lshrrev_b32_e32 v0, s22, v0
	s_barrier_signal -1
	s_barrier_wait -1
	s_delay_alu instid0(VALU_DEP_1) | instskip(NEXT) | instid1(VALU_DEP_1)
	v_bitop3_b32 v2, v0, s28, v0 bitop3:0x30
	; wave barrier
	v_lshlrev_b32_e32 v3, 30, v2
	v_bitop3_b32 v1, v0, 1, s28 bitop3:0x40
	v_dual_lshlrev_b32 v4, 29, v2 :: v_dual_lshlrev_b32 v5, 28, v2
	v_dual_lshlrev_b32 v6, 27, v2 :: v_dual_lshlrev_b32 v7, 26, v2
	s_delay_alu instid0(VALU_DEP_3) | instskip(NEXT) | instid1(VALU_DEP_1)
	v_add_co_u32 v0, s13, v1, -1
	v_cndmask_b32_e64 v1, 0, 1, s13
	v_cmp_gt_i32_e64 s13, 0, v3
	v_cmp_gt_i32_e64 s14, 0, v4
	v_dual_lshlrev_b32 v21, 25, v2 :: v_dual_lshlrev_b32 v22, 24, v2
	s_delay_alu instid0(VALU_DEP_4)
	v_cmp_ne_u32_e32 vcc_lo, 0, v1
	v_not_b32_e32 v1, v3
	v_not_b32_e32 v3, v4
	;; [unrolled: 1-line block ×3, first 2 shown]
	v_cmp_gt_i32_e64 s15, 0, v5
	v_cmp_gt_i32_e64 s16, 0, v6
	v_dual_ashrrev_i32 v1, 31, v1 :: v_dual_bitop2_b32 v0, vcc_lo, v0 bitop3:0x14
	v_not_b32_e32 v5, v6
	v_dual_ashrrev_i32 v3, 31, v3 :: v_dual_ashrrev_i32 v4, 31, v4
	v_not_b32_e32 v6, v7
	s_delay_alu instid0(VALU_DEP_4) | instskip(SKIP_1) | instid1(VALU_DEP_4)
	v_xor_b32_e32 v1, s13, v1
	v_cmp_gt_i32_e64 s17, 0, v7
	v_dual_ashrrev_i32 v5, 31, v5 :: v_dual_bitop2_b32 v3, s14, v3 bitop3:0x14
	v_not_b32_e32 v7, v22
	v_ashrrev_i32_e32 v6, 31, v6
	v_bitop3_b32 v0, v0, v1, exec_lo bitop3:0x80
	v_not_b32_e32 v1, v21
	v_xor_b32_e32 v4, s15, v4
	v_xor_b32_e32 v5, s16, v5
	v_cmp_gt_i32_e32 vcc_lo, 0, v21
	v_cmp_gt_i32_e64 s13, 0, v22
	v_ashrrev_i32_e32 v1, 31, v1
	v_bitop3_b32 v0, v0, v4, v3 bitop3:0x80
	v_dual_ashrrev_i32 v3, 31, v7 :: v_dual_bitop2_b32 v4, s17, v6 bitop3:0x14
	s_delay_alu instid0(VALU_DEP_3) | instskip(NEXT) | instid1(VALU_DEP_2)
	v_xor_b32_e32 v1, vcc_lo, v1
	v_xor_b32_e32 v3, s13, v3
	s_delay_alu instid0(VALU_DEP_3) | instskip(NEXT) | instid1(VALU_DEP_1)
	v_bitop3_b32 v0, v0, v4, v5 bitop3:0x80
	v_bitop3_b32 v0, v0, v3, v1 bitop3:0x80
	v_lshlrev_b32_e32 v1, 5, v2
	s_delay_alu instid0(VALU_DEP_2) | instskip(SKIP_1) | instid1(VALU_DEP_3)
	v_mbcnt_lo_u32_b32 v21, v0, 0
	v_cmp_ne_u32_e64 s13, 0, v0
	v_add_nc_u32_e32 v22, v15, v1
	s_delay_alu instid0(VALU_DEP_3) | instskip(SKIP_1) | instid1(SALU_CYCLE_1)
	v_cmp_eq_u32_e32 vcc_lo, 0, v21
	s_and_b32 s14, s13, vcc_lo
	s_and_saveexec_b32 s13, s14
; %bb.15:                               ;   in Loop: Header=BB391_14 Depth=1
	v_bcnt_u32_b32 v0, v0, 0
	ds_store_b32 v22, v0 offset:32
; %bb.16:                               ;   in Loop: Header=BB391_14 Depth=1
	s_or_b32 exec_lo, exec_lo, s13
	v_bfe_u32 v0, v20, 8, 8
	s_not_b32 s28, s28
	; wave barrier
	s_delay_alu instid0(VALU_DEP_1) | instskip(NEXT) | instid1(VALU_DEP_1)
	v_lshrrev_b32_e32 v0, s22, v0
	v_and_b32_e32 v1, s28, v0
	s_delay_alu instid0(VALU_DEP_1) | instskip(SKIP_2) | instid1(VALU_DEP_2)
	v_lshlrev_b32_e32 v2, 5, v1
	v_bitop3_b32 v0, v0, 1, s28 bitop3:0x80
	v_lshlrev_b32_e32 v4, 30, v1
	v_add_co_u32 v0, s13, v0, -1
	s_delay_alu instid0(VALU_DEP_1) | instskip(NEXT) | instid1(VALU_DEP_1)
	v_cndmask_b32_e64 v3, 0, 1, s13
	v_cmp_ne_u32_e32 vcc_lo, 0, v3
	s_delay_alu instid0(VALU_DEP_4) | instskip(NEXT) | instid1(VALU_DEP_1)
	v_not_b32_e32 v3, v4
	v_dual_ashrrev_i32 v3, 31, v3 :: v_dual_bitop2_b32 v0, vcc_lo, v0 bitop3:0x14
	v_dual_lshlrev_b32 v5, 29, v1 :: v_dual_lshlrev_b32 v6, 28, v1
	v_dual_lshlrev_b32 v7, 27, v1 :: v_dual_lshlrev_b32 v23, 26, v1
	v_lshlrev_b32_e32 v24, 25, v1
	v_cmp_gt_i32_e64 s13, 0, v4
	s_delay_alu instid0(VALU_DEP_4)
	v_cmp_gt_i32_e64 s14, 0, v5
	v_not_b32_e32 v4, v5
	v_not_b32_e32 v5, v6
	v_lshlrev_b32_e32 v1, 24, v1
	v_cmp_gt_i32_e64 s15, 0, v6
	v_cmp_gt_i32_e64 s16, 0, v7
	v_not_b32_e32 v6, v7
	v_dual_ashrrev_i32 v4, 31, v4 :: v_dual_ashrrev_i32 v5, 31, v5
	v_xor_b32_e32 v3, s13, v3
	v_not_b32_e32 v7, v23
	v_cmp_gt_i32_e64 s17, 0, v23
	s_delay_alu instid0(VALU_DEP_4) | instskip(NEXT) | instid1(VALU_DEP_4)
	v_dual_ashrrev_i32 v6, 31, v6 :: v_dual_bitop2_b32 v4, s14, v4 bitop3:0x14
	v_bitop3_b32 v0, v0, v3, exec_lo bitop3:0x80
	s_delay_alu instid0(VALU_DEP_4)
	v_ashrrev_i32_e32 v3, 31, v7
	v_not_b32_e32 v7, v24
	v_xor_b32_e32 v5, s15, v5
	v_not_b32_e32 v23, v1
	v_xor_b32_e32 v6, s16, v6
	v_xor_b32_e32 v3, s17, v3
	v_cmp_gt_i32_e32 vcc_lo, 0, v24
	v_bitop3_b32 v0, v0, v5, v4 bitop3:0x80
	v_ashrrev_i32_e32 v4, 31, v7
	v_cmp_gt_i32_e64 s13, 0, v1
	v_dual_ashrrev_i32 v1, 31, v23 :: v_dual_add_nc_u32 v24, v15, v2
	s_delay_alu instid0(VALU_DEP_4) | instskip(NEXT) | instid1(VALU_DEP_4)
	v_bitop3_b32 v0, v0, v3, v6 bitop3:0x80
	v_xor_b32_e32 v2, vcc_lo, v4
	s_delay_alu instid0(VALU_DEP_3) | instskip(SKIP_2) | instid1(VALU_DEP_1)
	v_xor_b32_e32 v1, s13, v1
	ds_load_b32 v23, v24 offset:32
	; wave barrier
	v_bitop3_b32 v0, v0, v1, v2 bitop3:0x80
	v_mbcnt_lo_u32_b32 v25, v0, 0
	v_cmp_ne_u32_e64 s13, 0, v0
	s_delay_alu instid0(VALU_DEP_2) | instskip(SKIP_1) | instid1(SALU_CYCLE_1)
	v_cmp_eq_u32_e32 vcc_lo, 0, v25
	s_and_b32 s14, s13, vcc_lo
	s_and_saveexec_b32 s13, s14
	s_cbranch_execz .LBB391_18
; %bb.17:                               ;   in Loop: Header=BB391_14 Depth=1
	s_wait_dscnt 0x0
	v_bcnt_u32_b32 v0, v0, v23
	ds_store_b32 v24, v0 offset:32
.LBB391_18:                             ;   in Loop: Header=BB391_14 Depth=1
	s_or_b32 exec_lo, exec_lo, s13
	v_bfe_u32 v0, v20, 16, 8
	; wave barrier
	s_delay_alu instid0(VALU_DEP_1) | instskip(NEXT) | instid1(VALU_DEP_1)
	v_lshrrev_b32_e32 v0, s22, v0
	v_and_b32_e32 v1, s28, v0
	s_delay_alu instid0(VALU_DEP_1) | instskip(SKIP_2) | instid1(VALU_DEP_2)
	v_lshlrev_b32_e32 v2, 5, v1
	v_bitop3_b32 v0, v0, 1, s28 bitop3:0x80
	v_lshlrev_b32_e32 v4, 30, v1
	v_add_co_u32 v0, s13, v0, -1
	s_delay_alu instid0(VALU_DEP_1) | instskip(NEXT) | instid1(VALU_DEP_1)
	v_cndmask_b32_e64 v3, 0, 1, s13
	v_cmp_ne_u32_e32 vcc_lo, 0, v3
	s_delay_alu instid0(VALU_DEP_4) | instskip(NEXT) | instid1(VALU_DEP_1)
	v_not_b32_e32 v3, v4
	v_dual_ashrrev_i32 v3, 31, v3 :: v_dual_bitop2_b32 v0, vcc_lo, v0 bitop3:0x14
	v_dual_lshlrev_b32 v5, 29, v1 :: v_dual_lshlrev_b32 v6, 28, v1
	v_dual_lshlrev_b32 v7, 27, v1 :: v_dual_lshlrev_b32 v26, 26, v1
	v_lshlrev_b32_e32 v27, 25, v1
	v_cmp_gt_i32_e64 s13, 0, v4
	s_delay_alu instid0(VALU_DEP_4)
	v_cmp_gt_i32_e64 s14, 0, v5
	v_not_b32_e32 v4, v5
	v_not_b32_e32 v5, v6
	v_lshlrev_b32_e32 v1, 24, v1
	v_cmp_gt_i32_e64 s15, 0, v6
	v_cmp_gt_i32_e64 s16, 0, v7
	v_not_b32_e32 v6, v7
	v_not_b32_e32 v7, v26
	v_dual_ashrrev_i32 v4, 31, v4 :: v_dual_ashrrev_i32 v5, 31, v5
	s_delay_alu instid0(VALU_DEP_3) | instskip(SKIP_1) | instid1(VALU_DEP_3)
	v_dual_ashrrev_i32 v6, 31, v6 :: v_dual_bitop2_b32 v3, s13, v3 bitop3:0x14
	v_cmp_gt_i32_e64 s17, 0, v26
	v_dual_ashrrev_i32 v7, 31, v7 :: v_dual_bitop2_b32 v4, s14, v4 bitop3:0x14
	s_delay_alu instid0(VALU_DEP_3)
	v_bitop3_b32 v0, v0, v3, exec_lo bitop3:0x80
	v_not_b32_e32 v3, v27
	v_xor_b32_e32 v5, s15, v5
	v_not_b32_e32 v26, v1
	v_xor_b32_e32 v6, s16, v6
	v_xor_b32_e32 v7, s17, v7
	v_cmp_gt_i32_e32 vcc_lo, 0, v27
	v_ashrrev_i32_e32 v3, 31, v3
	v_bitop3_b32 v0, v0, v5, v4 bitop3:0x80
	v_cmp_gt_i32_e64 s13, 0, v1
	v_ashrrev_i32_e32 v1, 31, v26
	s_delay_alu instid0(VALU_DEP_4) | instskip(NEXT) | instid1(VALU_DEP_4)
	v_dual_add_nc_u32 v28, v15, v2 :: v_dual_bitop2_b32 v2, vcc_lo, v3 bitop3:0x14
	v_bitop3_b32 v0, v0, v7, v6 bitop3:0x80
	s_delay_alu instid0(VALU_DEP_3) | instskip(SKIP_2) | instid1(VALU_DEP_1)
	v_xor_b32_e32 v1, s13, v1
	ds_load_b32 v27, v28 offset:32
	; wave barrier
	v_bitop3_b32 v0, v0, v1, v2 bitop3:0x80
	v_mbcnt_lo_u32_b32 v29, v0, 0
	v_cmp_ne_u32_e64 s13, 0, v0
	s_delay_alu instid0(VALU_DEP_2) | instskip(SKIP_1) | instid1(SALU_CYCLE_1)
	v_cmp_eq_u32_e32 vcc_lo, 0, v29
	s_and_b32 s14, s13, vcc_lo
	s_and_saveexec_b32 s13, s14
	s_cbranch_execz .LBB391_20
; %bb.19:                               ;   in Loop: Header=BB391_14 Depth=1
	s_wait_dscnt 0x0
	v_bcnt_u32_b32 v0, v0, v27
	ds_store_b32 v28, v0 offset:32
.LBB391_20:                             ;   in Loop: Header=BB391_14 Depth=1
	s_or_b32 exec_lo, exec_lo, s13
	v_lshrrev_b32_e32 v26, 24, v20
	; wave barrier
	s_delay_alu instid0(VALU_DEP_1) | instskip(NEXT) | instid1(VALU_DEP_1)
	v_lshrrev_b32_e32 v0, s22, v26
	v_and_b32_e32 v1, s28, v0
	s_delay_alu instid0(VALU_DEP_1) | instskip(SKIP_1) | instid1(VALU_DEP_1)
	v_lshlrev_b32_e32 v4, 30, v1
	v_bitop3_b32 v0, v0, 1, s28 bitop3:0x80
	v_add_co_u32 v0, s13, v0, -1
	s_delay_alu instid0(VALU_DEP_1) | instskip(NEXT) | instid1(VALU_DEP_4)
	v_cndmask_b32_e64 v3, 0, 1, s13
	v_cmp_gt_i32_e64 s13, 0, v4
	s_delay_alu instid0(VALU_DEP_2) | instskip(SKIP_1) | instid1(VALU_DEP_1)
	v_cmp_ne_u32_e32 vcc_lo, 0, v3
	v_not_b32_e32 v3, v4
	v_dual_ashrrev_i32 v3, 31, v3 :: v_dual_lshlrev_b32 v5, 29, v1
	v_dual_lshlrev_b32 v6, 28, v1 :: v_dual_lshlrev_b32 v7, 27, v1
	v_dual_lshlrev_b32 v30, 26, v1 :: v_dual_lshlrev_b32 v2, 5, v1
	s_delay_alu instid0(VALU_DEP_3) | instskip(SKIP_1) | instid1(VALU_DEP_4)
	v_cmp_gt_i32_e64 s14, 0, v5
	v_not_b32_e32 v4, v5
	v_not_b32_e32 v5, v6
	v_dual_lshlrev_b32 v31, 25, v1 :: v_dual_lshlrev_b32 v1, 24, v1
	v_cmp_gt_i32_e64 s15, 0, v6
	v_cmp_gt_i32_e64 s16, 0, v7
	v_not_b32_e32 v6, v7
	v_not_b32_e32 v7, v30
	v_dual_ashrrev_i32 v5, 31, v5 :: v_dual_bitop2_b32 v0, vcc_lo, v0 bitop3:0x14
	v_dual_ashrrev_i32 v4, 31, v4 :: v_dual_bitop2_b32 v3, s13, v3 bitop3:0x14
	v_cmp_gt_i32_e64 s17, 0, v30
	s_delay_alu instid0(VALU_DEP_4)
	v_dual_ashrrev_i32 v6, 31, v6 :: v_dual_ashrrev_i32 v7, 31, v7
	v_not_b32_e32 v30, v1
	v_xor_b32_e32 v5, s15, v5
	v_bitop3_b32 v0, v0, v3, exec_lo bitop3:0x80
	v_not_b32_e32 v3, v31
	v_xor_b32_e32 v4, s14, v4
	v_xor_b32_e32 v6, s16, v6
	v_xor_b32_e32 v7, s17, v7
	v_cmp_gt_i32_e32 vcc_lo, 0, v31
	v_ashrrev_i32_e32 v3, 31, v3
	v_cmp_gt_i32_e64 s13, 0, v1
	v_ashrrev_i32_e32 v1, 31, v30
	v_bitop3_b32 v0, v0, v5, v4 bitop3:0x80
	s_delay_alu instid0(VALU_DEP_4) | instskip(NEXT) | instid1(VALU_DEP_3)
	v_dual_add_nc_u32 v31, v15, v2 :: v_dual_bitop2_b32 v2, vcc_lo, v3 bitop3:0x14
	v_xor_b32_e32 v1, s13, v1
	s_delay_alu instid0(VALU_DEP_3) | instskip(SKIP_2) | instid1(VALU_DEP_1)
	v_bitop3_b32 v0, v0, v7, v6 bitop3:0x80
	ds_load_b32 v30, v31 offset:32
	; wave barrier
	v_bitop3_b32 v0, v0, v1, v2 bitop3:0x80
	v_mbcnt_lo_u32_b32 v32, v0, 0
	v_cmp_ne_u32_e64 s13, 0, v0
	s_delay_alu instid0(VALU_DEP_2) | instskip(SKIP_1) | instid1(SALU_CYCLE_1)
	v_cmp_eq_u32_e32 vcc_lo, 0, v32
	s_and_b32 s14, s13, vcc_lo
	s_and_saveexec_b32 s13, s14
	s_cbranch_execz .LBB391_22
; %bb.21:                               ;   in Loop: Header=BB391_14 Depth=1
	s_wait_dscnt 0x0
	v_bcnt_u32_b32 v0, v0, v30
	ds_store_b32 v31, v0 offset:32
.LBB391_22:                             ;   in Loop: Header=BB391_14 Depth=1
	s_or_b32 exec_lo, exec_lo, s13
	; wave barrier
	s_wait_dscnt 0x0
	s_barrier_signal -1
	s_barrier_wait -1
	ds_load_2addr_b64 v[4:7], v9 offset0:4 offset1:5
	ds_load_2addr_b64 v[0:3], v9 offset0:6 offset1:7
	s_wait_dscnt 0x1
	v_add_nc_u32_e32 v33, v5, v4
	s_delay_alu instid0(VALU_DEP_1) | instskip(SKIP_1) | instid1(VALU_DEP_1)
	v_add3_u32 v33, v33, v6, v7
	s_wait_dscnt 0x0
	v_add3_u32 v33, v33, v0, v1
	s_delay_alu instid0(VALU_DEP_1) | instskip(NEXT) | instid1(VALU_DEP_1)
	v_add3_u32 v3, v33, v2, v3
	v_mov_b32_dpp v33, v3 row_shr:1 row_mask:0xf bank_mask:0xf
	s_delay_alu instid0(VALU_DEP_1) | instskip(NEXT) | instid1(VALU_DEP_1)
	v_cndmask_b32_e64 v33, v33, 0, s3
	v_add_nc_u32_e32 v3, v33, v3
	s_delay_alu instid0(VALU_DEP_1) | instskip(NEXT) | instid1(VALU_DEP_1)
	v_mov_b32_dpp v33, v3 row_shr:2 row_mask:0xf bank_mask:0xf
	v_cndmask_b32_e64 v33, 0, v33, s4
	s_delay_alu instid0(VALU_DEP_1) | instskip(NEXT) | instid1(VALU_DEP_1)
	v_add_nc_u32_e32 v3, v3, v33
	v_mov_b32_dpp v33, v3 row_shr:4 row_mask:0xf bank_mask:0xf
	s_delay_alu instid0(VALU_DEP_1) | instskip(NEXT) | instid1(VALU_DEP_1)
	v_cndmask_b32_e64 v33, 0, v33, s5
	v_add_nc_u32_e32 v3, v3, v33
	s_delay_alu instid0(VALU_DEP_1) | instskip(NEXT) | instid1(VALU_DEP_1)
	v_mov_b32_dpp v33, v3 row_shr:8 row_mask:0xf bank_mask:0xf
	v_cndmask_b32_e64 v33, 0, v33, s6
	s_delay_alu instid0(VALU_DEP_1) | instskip(SKIP_3) | instid1(VALU_DEP_1)
	v_add_nc_u32_e32 v3, v3, v33
	ds_swizzle_b32 v33, v3 offset:swizzle(BROADCAST,32,15)
	s_wait_dscnt 0x0
	v_cndmask_b32_e64 v33, v33, 0, s7
	v_add_nc_u32_e32 v3, v3, v33
	s_and_saveexec_b32 s13, s8
; %bb.23:                               ;   in Loop: Header=BB391_14 Depth=1
	ds_store_b32 v16, v3
; %bb.24:                               ;   in Loop: Header=BB391_14 Depth=1
	s_or_b32 exec_lo, exec_lo, s13
	s_wait_dscnt 0x0
	s_barrier_signal -1
	s_barrier_wait -1
	s_and_saveexec_b32 s13, s0
	s_cbranch_execz .LBB391_26
; %bb.25:                               ;   in Loop: Header=BB391_14 Depth=1
	ds_load_b32 v33, v18
	s_wait_dscnt 0x0
	v_mov_b32_dpp v34, v33 row_shr:1 row_mask:0xf bank_mask:0xf
	s_delay_alu instid0(VALU_DEP_1) | instskip(NEXT) | instid1(VALU_DEP_1)
	v_cndmask_b32_e64 v34, v34, 0, s10
	v_add_nc_u32_e32 v33, v34, v33
	s_delay_alu instid0(VALU_DEP_1) | instskip(NEXT) | instid1(VALU_DEP_1)
	v_mov_b32_dpp v34, v33 row_shr:2 row_mask:0xf bank_mask:0xf
	v_cndmask_b32_e64 v34, 0, v34, s11
	s_delay_alu instid0(VALU_DEP_1) | instskip(NEXT) | instid1(VALU_DEP_1)
	v_add_nc_u32_e32 v33, v33, v34
	v_mov_b32_dpp v34, v33 row_shr:4 row_mask:0xf bank_mask:0xf
	s_delay_alu instid0(VALU_DEP_1) | instskip(NEXT) | instid1(VALU_DEP_1)
	v_cndmask_b32_e64 v34, 0, v34, s12
	v_add_nc_u32_e32 v33, v33, v34
	ds_store_b32 v18, v33
.LBB391_26:                             ;   in Loop: Header=BB391_14 Depth=1
	s_or_b32 exec_lo, exec_lo, s13
	v_mov_b32_e32 v33, 0
	s_wait_dscnt 0x0
	s_barrier_signal -1
	s_barrier_wait -1
	s_and_saveexec_b32 s13, s1
; %bb.27:                               ;   in Loop: Header=BB391_14 Depth=1
	ds_load_b32 v33, v17
; %bb.28:                               ;   in Loop: Header=BB391_14 Depth=1
	s_or_b32 exec_lo, exec_lo, s13
	s_wait_dscnt 0x0
	v_add_nc_u32_e32 v3, v33, v3
	v_add_nc_u32_e32 v23, v25, v23
	s_add_co_i32 s22, s22, 8
	s_mov_b32 s14, -1
	s_cmp_ge_u32 s22, s27
	ds_bpermute_b32 v3, v14, v3
	s_wait_dscnt 0x0
	v_cndmask_b32_e64 v3, v3, v33, s2
	s_delay_alu instid0(VALU_DEP_1) | instskip(NEXT) | instid1(VALU_DEP_1)
	v_cndmask_b32_e64 v34, v3, 0, s9
	v_add_nc_u32_e32 v35, v34, v4
	s_delay_alu instid0(VALU_DEP_1) | instskip(NEXT) | instid1(VALU_DEP_1)
	v_add_nc_u32_e32 v4, v35, v5
	v_add_nc_u32_e32 v5, v4, v6
	s_delay_alu instid0(VALU_DEP_1) | instskip(NEXT) | instid1(VALU_DEP_1)
	v_add_nc_u32_e32 v6, v5, v7
	;; [unrolled: 3-line block ×3, first 2 shown]
	v_add_nc_u32_e32 v1, v0, v2
	ds_store_2addr_b64 v9, v[34:35], v[4:5] offset0:4 offset1:5
	ds_store_2addr_b64 v9, v[6:7], v[0:1] offset0:6 offset1:7
	s_wait_dscnt 0x0
	s_barrier_signal -1
	s_barrier_wait -1
	ds_load_b32 v6, v22 offset:32
	ds_load_b32 v5, v24 offset:32
	;; [unrolled: 1-line block ×4, first 2 shown]
	v_dual_mov_b32 v0, v20 :: v_dual_lshrrev_b32 v2, 16, v20
	v_dual_lshrrev_b32 v1, 8, v20 :: v_dual_add_nc_u32 v22, v29, v27
	v_add_nc_u32_e32 v7, v32, v30
	s_delay_alu instid0(VALU_DEP_3)
	v_readfirstlane_b32 s13, v0
	s_wait_dscnt 0x0
	s_cbranch_scc1 .LBB391_13
; %bb.29:                               ;   in Loop: Header=BB391_14 Depth=1
	v_dual_add_nc_u32 v24, v6, v21 :: v_dual_add_nc_u32 v28, v7, v3
	v_dual_add_nc_u32 v25, v23, v5 :: v_dual_add_nc_u32 v27, v22, v4
	s_barrier_signal -1
	s_barrier_wait -1
	ds_store_b8 v24, v20
	ds_store_b8 v25, v1
	ds_store_b8 v27, v2
	ds_store_b8 v28, v26
	s_wait_dscnt 0x0
	s_barrier_signal -1
	s_barrier_wait -1
	ds_load_u8 v20, v19 offset:96
	ds_load_u8 v24, v19 offset:64
	ds_load_u8 v25, v19
	ds_load_u8 v27, v19 offset:32
	s_add_co_i32 s13, s23, -8
	s_mov_b32 s14, 0
	s_wait_dscnt 0x0
	s_barrier_signal -1
	s_barrier_wait -1
	v_perm_b32 v20, v24, v20, 0xc0c0004
	v_perm_b32 v24, v25, v27, 0xc0c0004
	s_delay_alu instid0(VALU_DEP_1)
	v_lshl_or_b32 v20, v20, 16, v24
	s_branch .LBB391_13
.LBB391_30:
	v_dual_add_nc_u32 v6, v6, v21 :: v_dual_add_nc_u32 v3, v7, v3
	v_dual_add_nc_u32 v5, v23, v5 :: v_dual_add_nc_u32 v4, v22, v4
	s_barrier_signal -1
	s_barrier_wait -1
	ds_store_b8 v6, v0
	ds_store_b8 v5, v1
	;; [unrolled: 1-line block ×4, first 2 shown]
	s_wait_dscnt 0x0
	s_barrier_signal -1
	s_barrier_wait -1
	ds_load_u8 v3, v8
	ds_load_u8 v4, v8 offset:256
	ds_load_u8 v6, v8 offset:512
	;; [unrolled: 1-line block ×3, first 2 shown]
	v_mov_b32_e32 v9, 0
	s_add_nc_u64 s[0:1], s[18:19], s[20:21]
	s_and_not1_b32 vcc_lo, exec_lo, s25
	s_delay_alu instid0(VALU_DEP_1)
	v_add_nc_u64_e32 v[0:1], s[0:1], v[8:9]
	s_wait_dscnt 0x3
	v_xor_b32_e32 v5, 0xffffff80, v3
	s_wait_dscnt 0x2
	v_xor_b32_e32 v4, 0xffffff80, v4
	;; [unrolled: 2-line block ×3, first 2 shown]
	s_cbranch_vccnz .LBB391_34
; %bb.31:
	s_mov_b32 s0, -1
	s_clause 0x2
	global_store_b8 v[0:1], v5, off
	global_store_b8 v[0:1], v4, off offset:256
	global_store_b8 v[0:1], v3, off offset:512
	s_cbranch_execz .LBB391_35
; %bb.32:
	s_wait_xcnt 0x0
	s_and_saveexec_b32 s1, s0
	s_cbranch_execz .LBB391_42
.LBB391_33:
	s_wait_dscnt 0x0
	v_xor_b32_e32 v2, 0x80, v2
	global_store_b8 v[0:1], v2, off offset:768
	s_endpgm
.LBB391_34:
	s_mov_b32 s0, 0
.LBB391_35:
	s_mov_b32 s0, exec_lo
	s_wait_xcnt 0x0
	v_cmpx_gt_u32_e64 s24, v8
	s_cbranch_execz .LBB391_37
; %bb.36:
	global_store_b8 v[0:1], v5, off
.LBB391_37:
	s_wait_xcnt 0x0
	s_or_b32 exec_lo, exec_lo, s0
	v_add_nc_u32_e32 v5, 0x100, v8
	s_mov_b32 s0, exec_lo
	s_delay_alu instid0(VALU_DEP_1)
	v_cmpx_gt_u32_e64 s24, v5
	s_cbranch_execz .LBB391_39
; %bb.38:
	global_store_b8 v[0:1], v4, off offset:256
.LBB391_39:
	s_wait_xcnt 0x0
	s_or_b32 exec_lo, exec_lo, s0
	v_add_nc_u32_e32 v4, 0x200, v8
	s_mov_b32 s0, exec_lo
	s_delay_alu instid0(VALU_DEP_1)
	v_cmpx_gt_u32_e64 s24, v4
	s_cbranch_execz .LBB391_41
; %bb.40:
	global_store_b8 v[0:1], v3, off offset:512
.LBB391_41:
	s_wait_xcnt 0x0
	s_or_b32 exec_lo, exec_lo, s0
	v_add_nc_u32_e32 v3, 0x300, v8
	s_delay_alu instid0(VALU_DEP_1)
	v_cmp_gt_u32_e64 s0, s24, v3
	s_and_saveexec_b32 s1, s0
	s_cbranch_execnz .LBB391_33
.LBB391_42:
	s_endpgm
	.section	.rodata,"a",@progbits
	.p2align	6, 0x0
	.amdhsa_kernel _ZN7rocprim17ROCPRIM_400000_NS6detail17trampoline_kernelINS0_13kernel_configILj256ELj4ELj4294967295EEENS1_37radix_sort_block_sort_config_selectorIaNS0_10empty_typeEEEZNS1_21radix_sort_block_sortIS4_Lb0EPKaPaPS6_SC_NS0_19identity_decomposerEEE10hipError_tT1_T2_T3_T4_jRjT5_jjP12ihipStream_tbEUlT_E_NS1_11comp_targetILNS1_3genE0ELNS1_11target_archE4294967295ELNS1_3gpuE0ELNS1_3repE0EEENS1_44radix_sort_block_sort_config_static_selectorELNS0_4arch9wavefront6targetE0EEEvSF_
		.amdhsa_group_segment_fixed_size 8224
		.amdhsa_private_segment_fixed_size 0
		.amdhsa_kernarg_size 304
		.amdhsa_user_sgpr_count 2
		.amdhsa_user_sgpr_dispatch_ptr 0
		.amdhsa_user_sgpr_queue_ptr 0
		.amdhsa_user_sgpr_kernarg_segment_ptr 1
		.amdhsa_user_sgpr_dispatch_id 0
		.amdhsa_user_sgpr_kernarg_preload_length 0
		.amdhsa_user_sgpr_kernarg_preload_offset 0
		.amdhsa_user_sgpr_private_segment_size 0
		.amdhsa_wavefront_size32 1
		.amdhsa_uses_dynamic_stack 0
		.amdhsa_enable_private_segment 0
		.amdhsa_system_sgpr_workgroup_id_x 1
		.amdhsa_system_sgpr_workgroup_id_y 0
		.amdhsa_system_sgpr_workgroup_id_z 0
		.amdhsa_system_sgpr_workgroup_info 0
		.amdhsa_system_vgpr_workitem_id 2
		.amdhsa_next_free_vgpr 36
		.amdhsa_next_free_sgpr 29
		.amdhsa_named_barrier_count 0
		.amdhsa_reserve_vcc 1
		.amdhsa_float_round_mode_32 0
		.amdhsa_float_round_mode_16_64 0
		.amdhsa_float_denorm_mode_32 3
		.amdhsa_float_denorm_mode_16_64 3
		.amdhsa_fp16_overflow 0
		.amdhsa_memory_ordered 1
		.amdhsa_forward_progress 1
		.amdhsa_inst_pref_size 29
		.amdhsa_round_robin_scheduling 0
		.amdhsa_exception_fp_ieee_invalid_op 0
		.amdhsa_exception_fp_denorm_src 0
		.amdhsa_exception_fp_ieee_div_zero 0
		.amdhsa_exception_fp_ieee_overflow 0
		.amdhsa_exception_fp_ieee_underflow 0
		.amdhsa_exception_fp_ieee_inexact 0
		.amdhsa_exception_int_div_zero 0
	.end_amdhsa_kernel
	.section	.text._ZN7rocprim17ROCPRIM_400000_NS6detail17trampoline_kernelINS0_13kernel_configILj256ELj4ELj4294967295EEENS1_37radix_sort_block_sort_config_selectorIaNS0_10empty_typeEEEZNS1_21radix_sort_block_sortIS4_Lb0EPKaPaPS6_SC_NS0_19identity_decomposerEEE10hipError_tT1_T2_T3_T4_jRjT5_jjP12ihipStream_tbEUlT_E_NS1_11comp_targetILNS1_3genE0ELNS1_11target_archE4294967295ELNS1_3gpuE0ELNS1_3repE0EEENS1_44radix_sort_block_sort_config_static_selectorELNS0_4arch9wavefront6targetE0EEEvSF_,"axG",@progbits,_ZN7rocprim17ROCPRIM_400000_NS6detail17trampoline_kernelINS0_13kernel_configILj256ELj4ELj4294967295EEENS1_37radix_sort_block_sort_config_selectorIaNS0_10empty_typeEEEZNS1_21radix_sort_block_sortIS4_Lb0EPKaPaPS6_SC_NS0_19identity_decomposerEEE10hipError_tT1_T2_T3_T4_jRjT5_jjP12ihipStream_tbEUlT_E_NS1_11comp_targetILNS1_3genE0ELNS1_11target_archE4294967295ELNS1_3gpuE0ELNS1_3repE0EEENS1_44radix_sort_block_sort_config_static_selectorELNS0_4arch9wavefront6targetE0EEEvSF_,comdat
.Lfunc_end391:
	.size	_ZN7rocprim17ROCPRIM_400000_NS6detail17trampoline_kernelINS0_13kernel_configILj256ELj4ELj4294967295EEENS1_37radix_sort_block_sort_config_selectorIaNS0_10empty_typeEEEZNS1_21radix_sort_block_sortIS4_Lb0EPKaPaPS6_SC_NS0_19identity_decomposerEEE10hipError_tT1_T2_T3_T4_jRjT5_jjP12ihipStream_tbEUlT_E_NS1_11comp_targetILNS1_3genE0ELNS1_11target_archE4294967295ELNS1_3gpuE0ELNS1_3repE0EEENS1_44radix_sort_block_sort_config_static_selectorELNS0_4arch9wavefront6targetE0EEEvSF_, .Lfunc_end391-_ZN7rocprim17ROCPRIM_400000_NS6detail17trampoline_kernelINS0_13kernel_configILj256ELj4ELj4294967295EEENS1_37radix_sort_block_sort_config_selectorIaNS0_10empty_typeEEEZNS1_21radix_sort_block_sortIS4_Lb0EPKaPaPS6_SC_NS0_19identity_decomposerEEE10hipError_tT1_T2_T3_T4_jRjT5_jjP12ihipStream_tbEUlT_E_NS1_11comp_targetILNS1_3genE0ELNS1_11target_archE4294967295ELNS1_3gpuE0ELNS1_3repE0EEENS1_44radix_sort_block_sort_config_static_selectorELNS0_4arch9wavefront6targetE0EEEvSF_
                                        ; -- End function
	.set _ZN7rocprim17ROCPRIM_400000_NS6detail17trampoline_kernelINS0_13kernel_configILj256ELj4ELj4294967295EEENS1_37radix_sort_block_sort_config_selectorIaNS0_10empty_typeEEEZNS1_21radix_sort_block_sortIS4_Lb0EPKaPaPS6_SC_NS0_19identity_decomposerEEE10hipError_tT1_T2_T3_T4_jRjT5_jjP12ihipStream_tbEUlT_E_NS1_11comp_targetILNS1_3genE0ELNS1_11target_archE4294967295ELNS1_3gpuE0ELNS1_3repE0EEENS1_44radix_sort_block_sort_config_static_selectorELNS0_4arch9wavefront6targetE0EEEvSF_.num_vgpr, 36
	.set _ZN7rocprim17ROCPRIM_400000_NS6detail17trampoline_kernelINS0_13kernel_configILj256ELj4ELj4294967295EEENS1_37radix_sort_block_sort_config_selectorIaNS0_10empty_typeEEEZNS1_21radix_sort_block_sortIS4_Lb0EPKaPaPS6_SC_NS0_19identity_decomposerEEE10hipError_tT1_T2_T3_T4_jRjT5_jjP12ihipStream_tbEUlT_E_NS1_11comp_targetILNS1_3genE0ELNS1_11target_archE4294967295ELNS1_3gpuE0ELNS1_3repE0EEENS1_44radix_sort_block_sort_config_static_selectorELNS0_4arch9wavefront6targetE0EEEvSF_.num_agpr, 0
	.set _ZN7rocprim17ROCPRIM_400000_NS6detail17trampoline_kernelINS0_13kernel_configILj256ELj4ELj4294967295EEENS1_37radix_sort_block_sort_config_selectorIaNS0_10empty_typeEEEZNS1_21radix_sort_block_sortIS4_Lb0EPKaPaPS6_SC_NS0_19identity_decomposerEEE10hipError_tT1_T2_T3_T4_jRjT5_jjP12ihipStream_tbEUlT_E_NS1_11comp_targetILNS1_3genE0ELNS1_11target_archE4294967295ELNS1_3gpuE0ELNS1_3repE0EEENS1_44radix_sort_block_sort_config_static_selectorELNS0_4arch9wavefront6targetE0EEEvSF_.numbered_sgpr, 29
	.set _ZN7rocprim17ROCPRIM_400000_NS6detail17trampoline_kernelINS0_13kernel_configILj256ELj4ELj4294967295EEENS1_37radix_sort_block_sort_config_selectorIaNS0_10empty_typeEEEZNS1_21radix_sort_block_sortIS4_Lb0EPKaPaPS6_SC_NS0_19identity_decomposerEEE10hipError_tT1_T2_T3_T4_jRjT5_jjP12ihipStream_tbEUlT_E_NS1_11comp_targetILNS1_3genE0ELNS1_11target_archE4294967295ELNS1_3gpuE0ELNS1_3repE0EEENS1_44radix_sort_block_sort_config_static_selectorELNS0_4arch9wavefront6targetE0EEEvSF_.num_named_barrier, 0
	.set _ZN7rocprim17ROCPRIM_400000_NS6detail17trampoline_kernelINS0_13kernel_configILj256ELj4ELj4294967295EEENS1_37radix_sort_block_sort_config_selectorIaNS0_10empty_typeEEEZNS1_21radix_sort_block_sortIS4_Lb0EPKaPaPS6_SC_NS0_19identity_decomposerEEE10hipError_tT1_T2_T3_T4_jRjT5_jjP12ihipStream_tbEUlT_E_NS1_11comp_targetILNS1_3genE0ELNS1_11target_archE4294967295ELNS1_3gpuE0ELNS1_3repE0EEENS1_44radix_sort_block_sort_config_static_selectorELNS0_4arch9wavefront6targetE0EEEvSF_.private_seg_size, 0
	.set _ZN7rocprim17ROCPRIM_400000_NS6detail17trampoline_kernelINS0_13kernel_configILj256ELj4ELj4294967295EEENS1_37radix_sort_block_sort_config_selectorIaNS0_10empty_typeEEEZNS1_21radix_sort_block_sortIS4_Lb0EPKaPaPS6_SC_NS0_19identity_decomposerEEE10hipError_tT1_T2_T3_T4_jRjT5_jjP12ihipStream_tbEUlT_E_NS1_11comp_targetILNS1_3genE0ELNS1_11target_archE4294967295ELNS1_3gpuE0ELNS1_3repE0EEENS1_44radix_sort_block_sort_config_static_selectorELNS0_4arch9wavefront6targetE0EEEvSF_.uses_vcc, 1
	.set _ZN7rocprim17ROCPRIM_400000_NS6detail17trampoline_kernelINS0_13kernel_configILj256ELj4ELj4294967295EEENS1_37radix_sort_block_sort_config_selectorIaNS0_10empty_typeEEEZNS1_21radix_sort_block_sortIS4_Lb0EPKaPaPS6_SC_NS0_19identity_decomposerEEE10hipError_tT1_T2_T3_T4_jRjT5_jjP12ihipStream_tbEUlT_E_NS1_11comp_targetILNS1_3genE0ELNS1_11target_archE4294967295ELNS1_3gpuE0ELNS1_3repE0EEENS1_44radix_sort_block_sort_config_static_selectorELNS0_4arch9wavefront6targetE0EEEvSF_.uses_flat_scratch, 0
	.set _ZN7rocprim17ROCPRIM_400000_NS6detail17trampoline_kernelINS0_13kernel_configILj256ELj4ELj4294967295EEENS1_37radix_sort_block_sort_config_selectorIaNS0_10empty_typeEEEZNS1_21radix_sort_block_sortIS4_Lb0EPKaPaPS6_SC_NS0_19identity_decomposerEEE10hipError_tT1_T2_T3_T4_jRjT5_jjP12ihipStream_tbEUlT_E_NS1_11comp_targetILNS1_3genE0ELNS1_11target_archE4294967295ELNS1_3gpuE0ELNS1_3repE0EEENS1_44radix_sort_block_sort_config_static_selectorELNS0_4arch9wavefront6targetE0EEEvSF_.has_dyn_sized_stack, 0
	.set _ZN7rocprim17ROCPRIM_400000_NS6detail17trampoline_kernelINS0_13kernel_configILj256ELj4ELj4294967295EEENS1_37radix_sort_block_sort_config_selectorIaNS0_10empty_typeEEEZNS1_21radix_sort_block_sortIS4_Lb0EPKaPaPS6_SC_NS0_19identity_decomposerEEE10hipError_tT1_T2_T3_T4_jRjT5_jjP12ihipStream_tbEUlT_E_NS1_11comp_targetILNS1_3genE0ELNS1_11target_archE4294967295ELNS1_3gpuE0ELNS1_3repE0EEENS1_44radix_sort_block_sort_config_static_selectorELNS0_4arch9wavefront6targetE0EEEvSF_.has_recursion, 0
	.set _ZN7rocprim17ROCPRIM_400000_NS6detail17trampoline_kernelINS0_13kernel_configILj256ELj4ELj4294967295EEENS1_37radix_sort_block_sort_config_selectorIaNS0_10empty_typeEEEZNS1_21radix_sort_block_sortIS4_Lb0EPKaPaPS6_SC_NS0_19identity_decomposerEEE10hipError_tT1_T2_T3_T4_jRjT5_jjP12ihipStream_tbEUlT_E_NS1_11comp_targetILNS1_3genE0ELNS1_11target_archE4294967295ELNS1_3gpuE0ELNS1_3repE0EEENS1_44radix_sort_block_sort_config_static_selectorELNS0_4arch9wavefront6targetE0EEEvSF_.has_indirect_call, 0
	.section	.AMDGPU.csdata,"",@progbits
; Kernel info:
; codeLenInByte = 3640
; TotalNumSgprs: 31
; NumVgprs: 36
; ScratchSize: 0
; MemoryBound: 0
; FloatMode: 240
; IeeeMode: 1
; LDSByteSize: 8224 bytes/workgroup (compile time only)
; SGPRBlocks: 0
; VGPRBlocks: 2
; NumSGPRsForWavesPerEU: 31
; NumVGPRsForWavesPerEU: 36
; NamedBarCnt: 0
; Occupancy: 16
; WaveLimiterHint : 1
; COMPUTE_PGM_RSRC2:SCRATCH_EN: 0
; COMPUTE_PGM_RSRC2:USER_SGPR: 2
; COMPUTE_PGM_RSRC2:TRAP_HANDLER: 0
; COMPUTE_PGM_RSRC2:TGID_X_EN: 1
; COMPUTE_PGM_RSRC2:TGID_Y_EN: 0
; COMPUTE_PGM_RSRC2:TGID_Z_EN: 0
; COMPUTE_PGM_RSRC2:TIDIG_COMP_CNT: 2
	.section	.text._ZN7rocprim17ROCPRIM_400000_NS6detail17trampoline_kernelINS0_13kernel_configILj256ELj4ELj4294967295EEENS1_37radix_sort_block_sort_config_selectorIaNS0_10empty_typeEEEZNS1_21radix_sort_block_sortIS4_Lb0EPKaPaPS6_SC_NS0_19identity_decomposerEEE10hipError_tT1_T2_T3_T4_jRjT5_jjP12ihipStream_tbEUlT_E_NS1_11comp_targetILNS1_3genE5ELNS1_11target_archE942ELNS1_3gpuE9ELNS1_3repE0EEENS1_44radix_sort_block_sort_config_static_selectorELNS0_4arch9wavefront6targetE0EEEvSF_,"axG",@progbits,_ZN7rocprim17ROCPRIM_400000_NS6detail17trampoline_kernelINS0_13kernel_configILj256ELj4ELj4294967295EEENS1_37radix_sort_block_sort_config_selectorIaNS0_10empty_typeEEEZNS1_21radix_sort_block_sortIS4_Lb0EPKaPaPS6_SC_NS0_19identity_decomposerEEE10hipError_tT1_T2_T3_T4_jRjT5_jjP12ihipStream_tbEUlT_E_NS1_11comp_targetILNS1_3genE5ELNS1_11target_archE942ELNS1_3gpuE9ELNS1_3repE0EEENS1_44radix_sort_block_sort_config_static_selectorELNS0_4arch9wavefront6targetE0EEEvSF_,comdat
	.protected	_ZN7rocprim17ROCPRIM_400000_NS6detail17trampoline_kernelINS0_13kernel_configILj256ELj4ELj4294967295EEENS1_37radix_sort_block_sort_config_selectorIaNS0_10empty_typeEEEZNS1_21radix_sort_block_sortIS4_Lb0EPKaPaPS6_SC_NS0_19identity_decomposerEEE10hipError_tT1_T2_T3_T4_jRjT5_jjP12ihipStream_tbEUlT_E_NS1_11comp_targetILNS1_3genE5ELNS1_11target_archE942ELNS1_3gpuE9ELNS1_3repE0EEENS1_44radix_sort_block_sort_config_static_selectorELNS0_4arch9wavefront6targetE0EEEvSF_ ; -- Begin function _ZN7rocprim17ROCPRIM_400000_NS6detail17trampoline_kernelINS0_13kernel_configILj256ELj4ELj4294967295EEENS1_37radix_sort_block_sort_config_selectorIaNS0_10empty_typeEEEZNS1_21radix_sort_block_sortIS4_Lb0EPKaPaPS6_SC_NS0_19identity_decomposerEEE10hipError_tT1_T2_T3_T4_jRjT5_jjP12ihipStream_tbEUlT_E_NS1_11comp_targetILNS1_3genE5ELNS1_11target_archE942ELNS1_3gpuE9ELNS1_3repE0EEENS1_44radix_sort_block_sort_config_static_selectorELNS0_4arch9wavefront6targetE0EEEvSF_
	.globl	_ZN7rocprim17ROCPRIM_400000_NS6detail17trampoline_kernelINS0_13kernel_configILj256ELj4ELj4294967295EEENS1_37radix_sort_block_sort_config_selectorIaNS0_10empty_typeEEEZNS1_21radix_sort_block_sortIS4_Lb0EPKaPaPS6_SC_NS0_19identity_decomposerEEE10hipError_tT1_T2_T3_T4_jRjT5_jjP12ihipStream_tbEUlT_E_NS1_11comp_targetILNS1_3genE5ELNS1_11target_archE942ELNS1_3gpuE9ELNS1_3repE0EEENS1_44radix_sort_block_sort_config_static_selectorELNS0_4arch9wavefront6targetE0EEEvSF_
	.p2align	8
	.type	_ZN7rocprim17ROCPRIM_400000_NS6detail17trampoline_kernelINS0_13kernel_configILj256ELj4ELj4294967295EEENS1_37radix_sort_block_sort_config_selectorIaNS0_10empty_typeEEEZNS1_21radix_sort_block_sortIS4_Lb0EPKaPaPS6_SC_NS0_19identity_decomposerEEE10hipError_tT1_T2_T3_T4_jRjT5_jjP12ihipStream_tbEUlT_E_NS1_11comp_targetILNS1_3genE5ELNS1_11target_archE942ELNS1_3gpuE9ELNS1_3repE0EEENS1_44radix_sort_block_sort_config_static_selectorELNS0_4arch9wavefront6targetE0EEEvSF_,@function
_ZN7rocprim17ROCPRIM_400000_NS6detail17trampoline_kernelINS0_13kernel_configILj256ELj4ELj4294967295EEENS1_37radix_sort_block_sort_config_selectorIaNS0_10empty_typeEEEZNS1_21radix_sort_block_sortIS4_Lb0EPKaPaPS6_SC_NS0_19identity_decomposerEEE10hipError_tT1_T2_T3_T4_jRjT5_jjP12ihipStream_tbEUlT_E_NS1_11comp_targetILNS1_3genE5ELNS1_11target_archE942ELNS1_3gpuE9ELNS1_3repE0EEENS1_44radix_sort_block_sort_config_static_selectorELNS0_4arch9wavefront6targetE0EEEvSF_: ; @_ZN7rocprim17ROCPRIM_400000_NS6detail17trampoline_kernelINS0_13kernel_configILj256ELj4ELj4294967295EEENS1_37radix_sort_block_sort_config_selectorIaNS0_10empty_typeEEEZNS1_21radix_sort_block_sortIS4_Lb0EPKaPaPS6_SC_NS0_19identity_decomposerEEE10hipError_tT1_T2_T3_T4_jRjT5_jjP12ihipStream_tbEUlT_E_NS1_11comp_targetILNS1_3genE5ELNS1_11target_archE942ELNS1_3gpuE9ELNS1_3repE0EEENS1_44radix_sort_block_sort_config_static_selectorELNS0_4arch9wavefront6targetE0EEEvSF_
; %bb.0:
	.section	.rodata,"a",@progbits
	.p2align	6, 0x0
	.amdhsa_kernel _ZN7rocprim17ROCPRIM_400000_NS6detail17trampoline_kernelINS0_13kernel_configILj256ELj4ELj4294967295EEENS1_37radix_sort_block_sort_config_selectorIaNS0_10empty_typeEEEZNS1_21radix_sort_block_sortIS4_Lb0EPKaPaPS6_SC_NS0_19identity_decomposerEEE10hipError_tT1_T2_T3_T4_jRjT5_jjP12ihipStream_tbEUlT_E_NS1_11comp_targetILNS1_3genE5ELNS1_11target_archE942ELNS1_3gpuE9ELNS1_3repE0EEENS1_44radix_sort_block_sort_config_static_selectorELNS0_4arch9wavefront6targetE0EEEvSF_
		.amdhsa_group_segment_fixed_size 0
		.amdhsa_private_segment_fixed_size 0
		.amdhsa_kernarg_size 48
		.amdhsa_user_sgpr_count 2
		.amdhsa_user_sgpr_dispatch_ptr 0
		.amdhsa_user_sgpr_queue_ptr 0
		.amdhsa_user_sgpr_kernarg_segment_ptr 1
		.amdhsa_user_sgpr_dispatch_id 0
		.amdhsa_user_sgpr_kernarg_preload_length 0
		.amdhsa_user_sgpr_kernarg_preload_offset 0
		.amdhsa_user_sgpr_private_segment_size 0
		.amdhsa_wavefront_size32 1
		.amdhsa_uses_dynamic_stack 0
		.amdhsa_enable_private_segment 0
		.amdhsa_system_sgpr_workgroup_id_x 1
		.amdhsa_system_sgpr_workgroup_id_y 0
		.amdhsa_system_sgpr_workgroup_id_z 0
		.amdhsa_system_sgpr_workgroup_info 0
		.amdhsa_system_vgpr_workitem_id 0
		.amdhsa_next_free_vgpr 1
		.amdhsa_next_free_sgpr 1
		.amdhsa_named_barrier_count 0
		.amdhsa_reserve_vcc 0
		.amdhsa_float_round_mode_32 0
		.amdhsa_float_round_mode_16_64 0
		.amdhsa_float_denorm_mode_32 3
		.amdhsa_float_denorm_mode_16_64 3
		.amdhsa_fp16_overflow 0
		.amdhsa_memory_ordered 1
		.amdhsa_forward_progress 1
		.amdhsa_inst_pref_size 0
		.amdhsa_round_robin_scheduling 0
		.amdhsa_exception_fp_ieee_invalid_op 0
		.amdhsa_exception_fp_denorm_src 0
		.amdhsa_exception_fp_ieee_div_zero 0
		.amdhsa_exception_fp_ieee_overflow 0
		.amdhsa_exception_fp_ieee_underflow 0
		.amdhsa_exception_fp_ieee_inexact 0
		.amdhsa_exception_int_div_zero 0
	.end_amdhsa_kernel
	.section	.text._ZN7rocprim17ROCPRIM_400000_NS6detail17trampoline_kernelINS0_13kernel_configILj256ELj4ELj4294967295EEENS1_37radix_sort_block_sort_config_selectorIaNS0_10empty_typeEEEZNS1_21radix_sort_block_sortIS4_Lb0EPKaPaPS6_SC_NS0_19identity_decomposerEEE10hipError_tT1_T2_T3_T4_jRjT5_jjP12ihipStream_tbEUlT_E_NS1_11comp_targetILNS1_3genE5ELNS1_11target_archE942ELNS1_3gpuE9ELNS1_3repE0EEENS1_44radix_sort_block_sort_config_static_selectorELNS0_4arch9wavefront6targetE0EEEvSF_,"axG",@progbits,_ZN7rocprim17ROCPRIM_400000_NS6detail17trampoline_kernelINS0_13kernel_configILj256ELj4ELj4294967295EEENS1_37radix_sort_block_sort_config_selectorIaNS0_10empty_typeEEEZNS1_21radix_sort_block_sortIS4_Lb0EPKaPaPS6_SC_NS0_19identity_decomposerEEE10hipError_tT1_T2_T3_T4_jRjT5_jjP12ihipStream_tbEUlT_E_NS1_11comp_targetILNS1_3genE5ELNS1_11target_archE942ELNS1_3gpuE9ELNS1_3repE0EEENS1_44radix_sort_block_sort_config_static_selectorELNS0_4arch9wavefront6targetE0EEEvSF_,comdat
.Lfunc_end392:
	.size	_ZN7rocprim17ROCPRIM_400000_NS6detail17trampoline_kernelINS0_13kernel_configILj256ELj4ELj4294967295EEENS1_37radix_sort_block_sort_config_selectorIaNS0_10empty_typeEEEZNS1_21radix_sort_block_sortIS4_Lb0EPKaPaPS6_SC_NS0_19identity_decomposerEEE10hipError_tT1_T2_T3_T4_jRjT5_jjP12ihipStream_tbEUlT_E_NS1_11comp_targetILNS1_3genE5ELNS1_11target_archE942ELNS1_3gpuE9ELNS1_3repE0EEENS1_44radix_sort_block_sort_config_static_selectorELNS0_4arch9wavefront6targetE0EEEvSF_, .Lfunc_end392-_ZN7rocprim17ROCPRIM_400000_NS6detail17trampoline_kernelINS0_13kernel_configILj256ELj4ELj4294967295EEENS1_37radix_sort_block_sort_config_selectorIaNS0_10empty_typeEEEZNS1_21radix_sort_block_sortIS4_Lb0EPKaPaPS6_SC_NS0_19identity_decomposerEEE10hipError_tT1_T2_T3_T4_jRjT5_jjP12ihipStream_tbEUlT_E_NS1_11comp_targetILNS1_3genE5ELNS1_11target_archE942ELNS1_3gpuE9ELNS1_3repE0EEENS1_44radix_sort_block_sort_config_static_selectorELNS0_4arch9wavefront6targetE0EEEvSF_
                                        ; -- End function
	.set _ZN7rocprim17ROCPRIM_400000_NS6detail17trampoline_kernelINS0_13kernel_configILj256ELj4ELj4294967295EEENS1_37radix_sort_block_sort_config_selectorIaNS0_10empty_typeEEEZNS1_21radix_sort_block_sortIS4_Lb0EPKaPaPS6_SC_NS0_19identity_decomposerEEE10hipError_tT1_T2_T3_T4_jRjT5_jjP12ihipStream_tbEUlT_E_NS1_11comp_targetILNS1_3genE5ELNS1_11target_archE942ELNS1_3gpuE9ELNS1_3repE0EEENS1_44radix_sort_block_sort_config_static_selectorELNS0_4arch9wavefront6targetE0EEEvSF_.num_vgpr, 0
	.set _ZN7rocprim17ROCPRIM_400000_NS6detail17trampoline_kernelINS0_13kernel_configILj256ELj4ELj4294967295EEENS1_37radix_sort_block_sort_config_selectorIaNS0_10empty_typeEEEZNS1_21radix_sort_block_sortIS4_Lb0EPKaPaPS6_SC_NS0_19identity_decomposerEEE10hipError_tT1_T2_T3_T4_jRjT5_jjP12ihipStream_tbEUlT_E_NS1_11comp_targetILNS1_3genE5ELNS1_11target_archE942ELNS1_3gpuE9ELNS1_3repE0EEENS1_44radix_sort_block_sort_config_static_selectorELNS0_4arch9wavefront6targetE0EEEvSF_.num_agpr, 0
	.set _ZN7rocprim17ROCPRIM_400000_NS6detail17trampoline_kernelINS0_13kernel_configILj256ELj4ELj4294967295EEENS1_37radix_sort_block_sort_config_selectorIaNS0_10empty_typeEEEZNS1_21radix_sort_block_sortIS4_Lb0EPKaPaPS6_SC_NS0_19identity_decomposerEEE10hipError_tT1_T2_T3_T4_jRjT5_jjP12ihipStream_tbEUlT_E_NS1_11comp_targetILNS1_3genE5ELNS1_11target_archE942ELNS1_3gpuE9ELNS1_3repE0EEENS1_44radix_sort_block_sort_config_static_selectorELNS0_4arch9wavefront6targetE0EEEvSF_.numbered_sgpr, 0
	.set _ZN7rocprim17ROCPRIM_400000_NS6detail17trampoline_kernelINS0_13kernel_configILj256ELj4ELj4294967295EEENS1_37radix_sort_block_sort_config_selectorIaNS0_10empty_typeEEEZNS1_21radix_sort_block_sortIS4_Lb0EPKaPaPS6_SC_NS0_19identity_decomposerEEE10hipError_tT1_T2_T3_T4_jRjT5_jjP12ihipStream_tbEUlT_E_NS1_11comp_targetILNS1_3genE5ELNS1_11target_archE942ELNS1_3gpuE9ELNS1_3repE0EEENS1_44radix_sort_block_sort_config_static_selectorELNS0_4arch9wavefront6targetE0EEEvSF_.num_named_barrier, 0
	.set _ZN7rocprim17ROCPRIM_400000_NS6detail17trampoline_kernelINS0_13kernel_configILj256ELj4ELj4294967295EEENS1_37radix_sort_block_sort_config_selectorIaNS0_10empty_typeEEEZNS1_21radix_sort_block_sortIS4_Lb0EPKaPaPS6_SC_NS0_19identity_decomposerEEE10hipError_tT1_T2_T3_T4_jRjT5_jjP12ihipStream_tbEUlT_E_NS1_11comp_targetILNS1_3genE5ELNS1_11target_archE942ELNS1_3gpuE9ELNS1_3repE0EEENS1_44radix_sort_block_sort_config_static_selectorELNS0_4arch9wavefront6targetE0EEEvSF_.private_seg_size, 0
	.set _ZN7rocprim17ROCPRIM_400000_NS6detail17trampoline_kernelINS0_13kernel_configILj256ELj4ELj4294967295EEENS1_37radix_sort_block_sort_config_selectorIaNS0_10empty_typeEEEZNS1_21radix_sort_block_sortIS4_Lb0EPKaPaPS6_SC_NS0_19identity_decomposerEEE10hipError_tT1_T2_T3_T4_jRjT5_jjP12ihipStream_tbEUlT_E_NS1_11comp_targetILNS1_3genE5ELNS1_11target_archE942ELNS1_3gpuE9ELNS1_3repE0EEENS1_44radix_sort_block_sort_config_static_selectorELNS0_4arch9wavefront6targetE0EEEvSF_.uses_vcc, 0
	.set _ZN7rocprim17ROCPRIM_400000_NS6detail17trampoline_kernelINS0_13kernel_configILj256ELj4ELj4294967295EEENS1_37radix_sort_block_sort_config_selectorIaNS0_10empty_typeEEEZNS1_21radix_sort_block_sortIS4_Lb0EPKaPaPS6_SC_NS0_19identity_decomposerEEE10hipError_tT1_T2_T3_T4_jRjT5_jjP12ihipStream_tbEUlT_E_NS1_11comp_targetILNS1_3genE5ELNS1_11target_archE942ELNS1_3gpuE9ELNS1_3repE0EEENS1_44radix_sort_block_sort_config_static_selectorELNS0_4arch9wavefront6targetE0EEEvSF_.uses_flat_scratch, 0
	.set _ZN7rocprim17ROCPRIM_400000_NS6detail17trampoline_kernelINS0_13kernel_configILj256ELj4ELj4294967295EEENS1_37radix_sort_block_sort_config_selectorIaNS0_10empty_typeEEEZNS1_21radix_sort_block_sortIS4_Lb0EPKaPaPS6_SC_NS0_19identity_decomposerEEE10hipError_tT1_T2_T3_T4_jRjT5_jjP12ihipStream_tbEUlT_E_NS1_11comp_targetILNS1_3genE5ELNS1_11target_archE942ELNS1_3gpuE9ELNS1_3repE0EEENS1_44radix_sort_block_sort_config_static_selectorELNS0_4arch9wavefront6targetE0EEEvSF_.has_dyn_sized_stack, 0
	.set _ZN7rocprim17ROCPRIM_400000_NS6detail17trampoline_kernelINS0_13kernel_configILj256ELj4ELj4294967295EEENS1_37radix_sort_block_sort_config_selectorIaNS0_10empty_typeEEEZNS1_21radix_sort_block_sortIS4_Lb0EPKaPaPS6_SC_NS0_19identity_decomposerEEE10hipError_tT1_T2_T3_T4_jRjT5_jjP12ihipStream_tbEUlT_E_NS1_11comp_targetILNS1_3genE5ELNS1_11target_archE942ELNS1_3gpuE9ELNS1_3repE0EEENS1_44radix_sort_block_sort_config_static_selectorELNS0_4arch9wavefront6targetE0EEEvSF_.has_recursion, 0
	.set _ZN7rocprim17ROCPRIM_400000_NS6detail17trampoline_kernelINS0_13kernel_configILj256ELj4ELj4294967295EEENS1_37radix_sort_block_sort_config_selectorIaNS0_10empty_typeEEEZNS1_21radix_sort_block_sortIS4_Lb0EPKaPaPS6_SC_NS0_19identity_decomposerEEE10hipError_tT1_T2_T3_T4_jRjT5_jjP12ihipStream_tbEUlT_E_NS1_11comp_targetILNS1_3genE5ELNS1_11target_archE942ELNS1_3gpuE9ELNS1_3repE0EEENS1_44radix_sort_block_sort_config_static_selectorELNS0_4arch9wavefront6targetE0EEEvSF_.has_indirect_call, 0
	.section	.AMDGPU.csdata,"",@progbits
; Kernel info:
; codeLenInByte = 0
; TotalNumSgprs: 0
; NumVgprs: 0
; ScratchSize: 0
; MemoryBound: 0
; FloatMode: 240
; IeeeMode: 1
; LDSByteSize: 0 bytes/workgroup (compile time only)
; SGPRBlocks: 0
; VGPRBlocks: 0
; NumSGPRsForWavesPerEU: 1
; NumVGPRsForWavesPerEU: 1
; NamedBarCnt: 0
; Occupancy: 16
; WaveLimiterHint : 0
; COMPUTE_PGM_RSRC2:SCRATCH_EN: 0
; COMPUTE_PGM_RSRC2:USER_SGPR: 2
; COMPUTE_PGM_RSRC2:TRAP_HANDLER: 0
; COMPUTE_PGM_RSRC2:TGID_X_EN: 1
; COMPUTE_PGM_RSRC2:TGID_Y_EN: 0
; COMPUTE_PGM_RSRC2:TGID_Z_EN: 0
; COMPUTE_PGM_RSRC2:TIDIG_COMP_CNT: 0
	.section	.text._ZN7rocprim17ROCPRIM_400000_NS6detail17trampoline_kernelINS0_13kernel_configILj256ELj4ELj4294967295EEENS1_37radix_sort_block_sort_config_selectorIaNS0_10empty_typeEEEZNS1_21radix_sort_block_sortIS4_Lb0EPKaPaPS6_SC_NS0_19identity_decomposerEEE10hipError_tT1_T2_T3_T4_jRjT5_jjP12ihipStream_tbEUlT_E_NS1_11comp_targetILNS1_3genE4ELNS1_11target_archE910ELNS1_3gpuE8ELNS1_3repE0EEENS1_44radix_sort_block_sort_config_static_selectorELNS0_4arch9wavefront6targetE0EEEvSF_,"axG",@progbits,_ZN7rocprim17ROCPRIM_400000_NS6detail17trampoline_kernelINS0_13kernel_configILj256ELj4ELj4294967295EEENS1_37radix_sort_block_sort_config_selectorIaNS0_10empty_typeEEEZNS1_21radix_sort_block_sortIS4_Lb0EPKaPaPS6_SC_NS0_19identity_decomposerEEE10hipError_tT1_T2_T3_T4_jRjT5_jjP12ihipStream_tbEUlT_E_NS1_11comp_targetILNS1_3genE4ELNS1_11target_archE910ELNS1_3gpuE8ELNS1_3repE0EEENS1_44radix_sort_block_sort_config_static_selectorELNS0_4arch9wavefront6targetE0EEEvSF_,comdat
	.protected	_ZN7rocprim17ROCPRIM_400000_NS6detail17trampoline_kernelINS0_13kernel_configILj256ELj4ELj4294967295EEENS1_37radix_sort_block_sort_config_selectorIaNS0_10empty_typeEEEZNS1_21radix_sort_block_sortIS4_Lb0EPKaPaPS6_SC_NS0_19identity_decomposerEEE10hipError_tT1_T2_T3_T4_jRjT5_jjP12ihipStream_tbEUlT_E_NS1_11comp_targetILNS1_3genE4ELNS1_11target_archE910ELNS1_3gpuE8ELNS1_3repE0EEENS1_44radix_sort_block_sort_config_static_selectorELNS0_4arch9wavefront6targetE0EEEvSF_ ; -- Begin function _ZN7rocprim17ROCPRIM_400000_NS6detail17trampoline_kernelINS0_13kernel_configILj256ELj4ELj4294967295EEENS1_37radix_sort_block_sort_config_selectorIaNS0_10empty_typeEEEZNS1_21radix_sort_block_sortIS4_Lb0EPKaPaPS6_SC_NS0_19identity_decomposerEEE10hipError_tT1_T2_T3_T4_jRjT5_jjP12ihipStream_tbEUlT_E_NS1_11comp_targetILNS1_3genE4ELNS1_11target_archE910ELNS1_3gpuE8ELNS1_3repE0EEENS1_44radix_sort_block_sort_config_static_selectorELNS0_4arch9wavefront6targetE0EEEvSF_
	.globl	_ZN7rocprim17ROCPRIM_400000_NS6detail17trampoline_kernelINS0_13kernel_configILj256ELj4ELj4294967295EEENS1_37radix_sort_block_sort_config_selectorIaNS0_10empty_typeEEEZNS1_21radix_sort_block_sortIS4_Lb0EPKaPaPS6_SC_NS0_19identity_decomposerEEE10hipError_tT1_T2_T3_T4_jRjT5_jjP12ihipStream_tbEUlT_E_NS1_11comp_targetILNS1_3genE4ELNS1_11target_archE910ELNS1_3gpuE8ELNS1_3repE0EEENS1_44radix_sort_block_sort_config_static_selectorELNS0_4arch9wavefront6targetE0EEEvSF_
	.p2align	8
	.type	_ZN7rocprim17ROCPRIM_400000_NS6detail17trampoline_kernelINS0_13kernel_configILj256ELj4ELj4294967295EEENS1_37radix_sort_block_sort_config_selectorIaNS0_10empty_typeEEEZNS1_21radix_sort_block_sortIS4_Lb0EPKaPaPS6_SC_NS0_19identity_decomposerEEE10hipError_tT1_T2_T3_T4_jRjT5_jjP12ihipStream_tbEUlT_E_NS1_11comp_targetILNS1_3genE4ELNS1_11target_archE910ELNS1_3gpuE8ELNS1_3repE0EEENS1_44radix_sort_block_sort_config_static_selectorELNS0_4arch9wavefront6targetE0EEEvSF_,@function
_ZN7rocprim17ROCPRIM_400000_NS6detail17trampoline_kernelINS0_13kernel_configILj256ELj4ELj4294967295EEENS1_37radix_sort_block_sort_config_selectorIaNS0_10empty_typeEEEZNS1_21radix_sort_block_sortIS4_Lb0EPKaPaPS6_SC_NS0_19identity_decomposerEEE10hipError_tT1_T2_T3_T4_jRjT5_jjP12ihipStream_tbEUlT_E_NS1_11comp_targetILNS1_3genE4ELNS1_11target_archE910ELNS1_3gpuE8ELNS1_3repE0EEENS1_44radix_sort_block_sort_config_static_selectorELNS0_4arch9wavefront6targetE0EEEvSF_: ; @_ZN7rocprim17ROCPRIM_400000_NS6detail17trampoline_kernelINS0_13kernel_configILj256ELj4ELj4294967295EEENS1_37radix_sort_block_sort_config_selectorIaNS0_10empty_typeEEEZNS1_21radix_sort_block_sortIS4_Lb0EPKaPaPS6_SC_NS0_19identity_decomposerEEE10hipError_tT1_T2_T3_T4_jRjT5_jjP12ihipStream_tbEUlT_E_NS1_11comp_targetILNS1_3genE4ELNS1_11target_archE910ELNS1_3gpuE8ELNS1_3repE0EEENS1_44radix_sort_block_sort_config_static_selectorELNS0_4arch9wavefront6targetE0EEEvSF_
; %bb.0:
	.section	.rodata,"a",@progbits
	.p2align	6, 0x0
	.amdhsa_kernel _ZN7rocprim17ROCPRIM_400000_NS6detail17trampoline_kernelINS0_13kernel_configILj256ELj4ELj4294967295EEENS1_37radix_sort_block_sort_config_selectorIaNS0_10empty_typeEEEZNS1_21radix_sort_block_sortIS4_Lb0EPKaPaPS6_SC_NS0_19identity_decomposerEEE10hipError_tT1_T2_T3_T4_jRjT5_jjP12ihipStream_tbEUlT_E_NS1_11comp_targetILNS1_3genE4ELNS1_11target_archE910ELNS1_3gpuE8ELNS1_3repE0EEENS1_44radix_sort_block_sort_config_static_selectorELNS0_4arch9wavefront6targetE0EEEvSF_
		.amdhsa_group_segment_fixed_size 0
		.amdhsa_private_segment_fixed_size 0
		.amdhsa_kernarg_size 48
		.amdhsa_user_sgpr_count 2
		.amdhsa_user_sgpr_dispatch_ptr 0
		.amdhsa_user_sgpr_queue_ptr 0
		.amdhsa_user_sgpr_kernarg_segment_ptr 1
		.amdhsa_user_sgpr_dispatch_id 0
		.amdhsa_user_sgpr_kernarg_preload_length 0
		.amdhsa_user_sgpr_kernarg_preload_offset 0
		.amdhsa_user_sgpr_private_segment_size 0
		.amdhsa_wavefront_size32 1
		.amdhsa_uses_dynamic_stack 0
		.amdhsa_enable_private_segment 0
		.amdhsa_system_sgpr_workgroup_id_x 1
		.amdhsa_system_sgpr_workgroup_id_y 0
		.amdhsa_system_sgpr_workgroup_id_z 0
		.amdhsa_system_sgpr_workgroup_info 0
		.amdhsa_system_vgpr_workitem_id 0
		.amdhsa_next_free_vgpr 1
		.amdhsa_next_free_sgpr 1
		.amdhsa_named_barrier_count 0
		.amdhsa_reserve_vcc 0
		.amdhsa_float_round_mode_32 0
		.amdhsa_float_round_mode_16_64 0
		.amdhsa_float_denorm_mode_32 3
		.amdhsa_float_denorm_mode_16_64 3
		.amdhsa_fp16_overflow 0
		.amdhsa_memory_ordered 1
		.amdhsa_forward_progress 1
		.amdhsa_inst_pref_size 0
		.amdhsa_round_robin_scheduling 0
		.amdhsa_exception_fp_ieee_invalid_op 0
		.amdhsa_exception_fp_denorm_src 0
		.amdhsa_exception_fp_ieee_div_zero 0
		.amdhsa_exception_fp_ieee_overflow 0
		.amdhsa_exception_fp_ieee_underflow 0
		.amdhsa_exception_fp_ieee_inexact 0
		.amdhsa_exception_int_div_zero 0
	.end_amdhsa_kernel
	.section	.text._ZN7rocprim17ROCPRIM_400000_NS6detail17trampoline_kernelINS0_13kernel_configILj256ELj4ELj4294967295EEENS1_37radix_sort_block_sort_config_selectorIaNS0_10empty_typeEEEZNS1_21radix_sort_block_sortIS4_Lb0EPKaPaPS6_SC_NS0_19identity_decomposerEEE10hipError_tT1_T2_T3_T4_jRjT5_jjP12ihipStream_tbEUlT_E_NS1_11comp_targetILNS1_3genE4ELNS1_11target_archE910ELNS1_3gpuE8ELNS1_3repE0EEENS1_44radix_sort_block_sort_config_static_selectorELNS0_4arch9wavefront6targetE0EEEvSF_,"axG",@progbits,_ZN7rocprim17ROCPRIM_400000_NS6detail17trampoline_kernelINS0_13kernel_configILj256ELj4ELj4294967295EEENS1_37radix_sort_block_sort_config_selectorIaNS0_10empty_typeEEEZNS1_21radix_sort_block_sortIS4_Lb0EPKaPaPS6_SC_NS0_19identity_decomposerEEE10hipError_tT1_T2_T3_T4_jRjT5_jjP12ihipStream_tbEUlT_E_NS1_11comp_targetILNS1_3genE4ELNS1_11target_archE910ELNS1_3gpuE8ELNS1_3repE0EEENS1_44radix_sort_block_sort_config_static_selectorELNS0_4arch9wavefront6targetE0EEEvSF_,comdat
.Lfunc_end393:
	.size	_ZN7rocprim17ROCPRIM_400000_NS6detail17trampoline_kernelINS0_13kernel_configILj256ELj4ELj4294967295EEENS1_37radix_sort_block_sort_config_selectorIaNS0_10empty_typeEEEZNS1_21radix_sort_block_sortIS4_Lb0EPKaPaPS6_SC_NS0_19identity_decomposerEEE10hipError_tT1_T2_T3_T4_jRjT5_jjP12ihipStream_tbEUlT_E_NS1_11comp_targetILNS1_3genE4ELNS1_11target_archE910ELNS1_3gpuE8ELNS1_3repE0EEENS1_44radix_sort_block_sort_config_static_selectorELNS0_4arch9wavefront6targetE0EEEvSF_, .Lfunc_end393-_ZN7rocprim17ROCPRIM_400000_NS6detail17trampoline_kernelINS0_13kernel_configILj256ELj4ELj4294967295EEENS1_37radix_sort_block_sort_config_selectorIaNS0_10empty_typeEEEZNS1_21radix_sort_block_sortIS4_Lb0EPKaPaPS6_SC_NS0_19identity_decomposerEEE10hipError_tT1_T2_T3_T4_jRjT5_jjP12ihipStream_tbEUlT_E_NS1_11comp_targetILNS1_3genE4ELNS1_11target_archE910ELNS1_3gpuE8ELNS1_3repE0EEENS1_44radix_sort_block_sort_config_static_selectorELNS0_4arch9wavefront6targetE0EEEvSF_
                                        ; -- End function
	.set _ZN7rocprim17ROCPRIM_400000_NS6detail17trampoline_kernelINS0_13kernel_configILj256ELj4ELj4294967295EEENS1_37radix_sort_block_sort_config_selectorIaNS0_10empty_typeEEEZNS1_21radix_sort_block_sortIS4_Lb0EPKaPaPS6_SC_NS0_19identity_decomposerEEE10hipError_tT1_T2_T3_T4_jRjT5_jjP12ihipStream_tbEUlT_E_NS1_11comp_targetILNS1_3genE4ELNS1_11target_archE910ELNS1_3gpuE8ELNS1_3repE0EEENS1_44radix_sort_block_sort_config_static_selectorELNS0_4arch9wavefront6targetE0EEEvSF_.num_vgpr, 0
	.set _ZN7rocprim17ROCPRIM_400000_NS6detail17trampoline_kernelINS0_13kernel_configILj256ELj4ELj4294967295EEENS1_37radix_sort_block_sort_config_selectorIaNS0_10empty_typeEEEZNS1_21radix_sort_block_sortIS4_Lb0EPKaPaPS6_SC_NS0_19identity_decomposerEEE10hipError_tT1_T2_T3_T4_jRjT5_jjP12ihipStream_tbEUlT_E_NS1_11comp_targetILNS1_3genE4ELNS1_11target_archE910ELNS1_3gpuE8ELNS1_3repE0EEENS1_44radix_sort_block_sort_config_static_selectorELNS0_4arch9wavefront6targetE0EEEvSF_.num_agpr, 0
	.set _ZN7rocprim17ROCPRIM_400000_NS6detail17trampoline_kernelINS0_13kernel_configILj256ELj4ELj4294967295EEENS1_37radix_sort_block_sort_config_selectorIaNS0_10empty_typeEEEZNS1_21radix_sort_block_sortIS4_Lb0EPKaPaPS6_SC_NS0_19identity_decomposerEEE10hipError_tT1_T2_T3_T4_jRjT5_jjP12ihipStream_tbEUlT_E_NS1_11comp_targetILNS1_3genE4ELNS1_11target_archE910ELNS1_3gpuE8ELNS1_3repE0EEENS1_44radix_sort_block_sort_config_static_selectorELNS0_4arch9wavefront6targetE0EEEvSF_.numbered_sgpr, 0
	.set _ZN7rocprim17ROCPRIM_400000_NS6detail17trampoline_kernelINS0_13kernel_configILj256ELj4ELj4294967295EEENS1_37radix_sort_block_sort_config_selectorIaNS0_10empty_typeEEEZNS1_21radix_sort_block_sortIS4_Lb0EPKaPaPS6_SC_NS0_19identity_decomposerEEE10hipError_tT1_T2_T3_T4_jRjT5_jjP12ihipStream_tbEUlT_E_NS1_11comp_targetILNS1_3genE4ELNS1_11target_archE910ELNS1_3gpuE8ELNS1_3repE0EEENS1_44radix_sort_block_sort_config_static_selectorELNS0_4arch9wavefront6targetE0EEEvSF_.num_named_barrier, 0
	.set _ZN7rocprim17ROCPRIM_400000_NS6detail17trampoline_kernelINS0_13kernel_configILj256ELj4ELj4294967295EEENS1_37radix_sort_block_sort_config_selectorIaNS0_10empty_typeEEEZNS1_21radix_sort_block_sortIS4_Lb0EPKaPaPS6_SC_NS0_19identity_decomposerEEE10hipError_tT1_T2_T3_T4_jRjT5_jjP12ihipStream_tbEUlT_E_NS1_11comp_targetILNS1_3genE4ELNS1_11target_archE910ELNS1_3gpuE8ELNS1_3repE0EEENS1_44radix_sort_block_sort_config_static_selectorELNS0_4arch9wavefront6targetE0EEEvSF_.private_seg_size, 0
	.set _ZN7rocprim17ROCPRIM_400000_NS6detail17trampoline_kernelINS0_13kernel_configILj256ELj4ELj4294967295EEENS1_37radix_sort_block_sort_config_selectorIaNS0_10empty_typeEEEZNS1_21radix_sort_block_sortIS4_Lb0EPKaPaPS6_SC_NS0_19identity_decomposerEEE10hipError_tT1_T2_T3_T4_jRjT5_jjP12ihipStream_tbEUlT_E_NS1_11comp_targetILNS1_3genE4ELNS1_11target_archE910ELNS1_3gpuE8ELNS1_3repE0EEENS1_44radix_sort_block_sort_config_static_selectorELNS0_4arch9wavefront6targetE0EEEvSF_.uses_vcc, 0
	.set _ZN7rocprim17ROCPRIM_400000_NS6detail17trampoline_kernelINS0_13kernel_configILj256ELj4ELj4294967295EEENS1_37radix_sort_block_sort_config_selectorIaNS0_10empty_typeEEEZNS1_21radix_sort_block_sortIS4_Lb0EPKaPaPS6_SC_NS0_19identity_decomposerEEE10hipError_tT1_T2_T3_T4_jRjT5_jjP12ihipStream_tbEUlT_E_NS1_11comp_targetILNS1_3genE4ELNS1_11target_archE910ELNS1_3gpuE8ELNS1_3repE0EEENS1_44radix_sort_block_sort_config_static_selectorELNS0_4arch9wavefront6targetE0EEEvSF_.uses_flat_scratch, 0
	.set _ZN7rocprim17ROCPRIM_400000_NS6detail17trampoline_kernelINS0_13kernel_configILj256ELj4ELj4294967295EEENS1_37radix_sort_block_sort_config_selectorIaNS0_10empty_typeEEEZNS1_21radix_sort_block_sortIS4_Lb0EPKaPaPS6_SC_NS0_19identity_decomposerEEE10hipError_tT1_T2_T3_T4_jRjT5_jjP12ihipStream_tbEUlT_E_NS1_11comp_targetILNS1_3genE4ELNS1_11target_archE910ELNS1_3gpuE8ELNS1_3repE0EEENS1_44radix_sort_block_sort_config_static_selectorELNS0_4arch9wavefront6targetE0EEEvSF_.has_dyn_sized_stack, 0
	.set _ZN7rocprim17ROCPRIM_400000_NS6detail17trampoline_kernelINS0_13kernel_configILj256ELj4ELj4294967295EEENS1_37radix_sort_block_sort_config_selectorIaNS0_10empty_typeEEEZNS1_21radix_sort_block_sortIS4_Lb0EPKaPaPS6_SC_NS0_19identity_decomposerEEE10hipError_tT1_T2_T3_T4_jRjT5_jjP12ihipStream_tbEUlT_E_NS1_11comp_targetILNS1_3genE4ELNS1_11target_archE910ELNS1_3gpuE8ELNS1_3repE0EEENS1_44radix_sort_block_sort_config_static_selectorELNS0_4arch9wavefront6targetE0EEEvSF_.has_recursion, 0
	.set _ZN7rocprim17ROCPRIM_400000_NS6detail17trampoline_kernelINS0_13kernel_configILj256ELj4ELj4294967295EEENS1_37radix_sort_block_sort_config_selectorIaNS0_10empty_typeEEEZNS1_21radix_sort_block_sortIS4_Lb0EPKaPaPS6_SC_NS0_19identity_decomposerEEE10hipError_tT1_T2_T3_T4_jRjT5_jjP12ihipStream_tbEUlT_E_NS1_11comp_targetILNS1_3genE4ELNS1_11target_archE910ELNS1_3gpuE8ELNS1_3repE0EEENS1_44radix_sort_block_sort_config_static_selectorELNS0_4arch9wavefront6targetE0EEEvSF_.has_indirect_call, 0
	.section	.AMDGPU.csdata,"",@progbits
; Kernel info:
; codeLenInByte = 0
; TotalNumSgprs: 0
; NumVgprs: 0
; ScratchSize: 0
; MemoryBound: 0
; FloatMode: 240
; IeeeMode: 1
; LDSByteSize: 0 bytes/workgroup (compile time only)
; SGPRBlocks: 0
; VGPRBlocks: 0
; NumSGPRsForWavesPerEU: 1
; NumVGPRsForWavesPerEU: 1
; NamedBarCnt: 0
; Occupancy: 16
; WaveLimiterHint : 0
; COMPUTE_PGM_RSRC2:SCRATCH_EN: 0
; COMPUTE_PGM_RSRC2:USER_SGPR: 2
; COMPUTE_PGM_RSRC2:TRAP_HANDLER: 0
; COMPUTE_PGM_RSRC2:TGID_X_EN: 1
; COMPUTE_PGM_RSRC2:TGID_Y_EN: 0
; COMPUTE_PGM_RSRC2:TGID_Z_EN: 0
; COMPUTE_PGM_RSRC2:TIDIG_COMP_CNT: 0
	.section	.text._ZN7rocprim17ROCPRIM_400000_NS6detail17trampoline_kernelINS0_13kernel_configILj256ELj4ELj4294967295EEENS1_37radix_sort_block_sort_config_selectorIaNS0_10empty_typeEEEZNS1_21radix_sort_block_sortIS4_Lb0EPKaPaPS6_SC_NS0_19identity_decomposerEEE10hipError_tT1_T2_T3_T4_jRjT5_jjP12ihipStream_tbEUlT_E_NS1_11comp_targetILNS1_3genE3ELNS1_11target_archE908ELNS1_3gpuE7ELNS1_3repE0EEENS1_44radix_sort_block_sort_config_static_selectorELNS0_4arch9wavefront6targetE0EEEvSF_,"axG",@progbits,_ZN7rocprim17ROCPRIM_400000_NS6detail17trampoline_kernelINS0_13kernel_configILj256ELj4ELj4294967295EEENS1_37radix_sort_block_sort_config_selectorIaNS0_10empty_typeEEEZNS1_21radix_sort_block_sortIS4_Lb0EPKaPaPS6_SC_NS0_19identity_decomposerEEE10hipError_tT1_T2_T3_T4_jRjT5_jjP12ihipStream_tbEUlT_E_NS1_11comp_targetILNS1_3genE3ELNS1_11target_archE908ELNS1_3gpuE7ELNS1_3repE0EEENS1_44radix_sort_block_sort_config_static_selectorELNS0_4arch9wavefront6targetE0EEEvSF_,comdat
	.protected	_ZN7rocprim17ROCPRIM_400000_NS6detail17trampoline_kernelINS0_13kernel_configILj256ELj4ELj4294967295EEENS1_37radix_sort_block_sort_config_selectorIaNS0_10empty_typeEEEZNS1_21radix_sort_block_sortIS4_Lb0EPKaPaPS6_SC_NS0_19identity_decomposerEEE10hipError_tT1_T2_T3_T4_jRjT5_jjP12ihipStream_tbEUlT_E_NS1_11comp_targetILNS1_3genE3ELNS1_11target_archE908ELNS1_3gpuE7ELNS1_3repE0EEENS1_44radix_sort_block_sort_config_static_selectorELNS0_4arch9wavefront6targetE0EEEvSF_ ; -- Begin function _ZN7rocprim17ROCPRIM_400000_NS6detail17trampoline_kernelINS0_13kernel_configILj256ELj4ELj4294967295EEENS1_37radix_sort_block_sort_config_selectorIaNS0_10empty_typeEEEZNS1_21radix_sort_block_sortIS4_Lb0EPKaPaPS6_SC_NS0_19identity_decomposerEEE10hipError_tT1_T2_T3_T4_jRjT5_jjP12ihipStream_tbEUlT_E_NS1_11comp_targetILNS1_3genE3ELNS1_11target_archE908ELNS1_3gpuE7ELNS1_3repE0EEENS1_44radix_sort_block_sort_config_static_selectorELNS0_4arch9wavefront6targetE0EEEvSF_
	.globl	_ZN7rocprim17ROCPRIM_400000_NS6detail17trampoline_kernelINS0_13kernel_configILj256ELj4ELj4294967295EEENS1_37radix_sort_block_sort_config_selectorIaNS0_10empty_typeEEEZNS1_21radix_sort_block_sortIS4_Lb0EPKaPaPS6_SC_NS0_19identity_decomposerEEE10hipError_tT1_T2_T3_T4_jRjT5_jjP12ihipStream_tbEUlT_E_NS1_11comp_targetILNS1_3genE3ELNS1_11target_archE908ELNS1_3gpuE7ELNS1_3repE0EEENS1_44radix_sort_block_sort_config_static_selectorELNS0_4arch9wavefront6targetE0EEEvSF_
	.p2align	8
	.type	_ZN7rocprim17ROCPRIM_400000_NS6detail17trampoline_kernelINS0_13kernel_configILj256ELj4ELj4294967295EEENS1_37radix_sort_block_sort_config_selectorIaNS0_10empty_typeEEEZNS1_21radix_sort_block_sortIS4_Lb0EPKaPaPS6_SC_NS0_19identity_decomposerEEE10hipError_tT1_T2_T3_T4_jRjT5_jjP12ihipStream_tbEUlT_E_NS1_11comp_targetILNS1_3genE3ELNS1_11target_archE908ELNS1_3gpuE7ELNS1_3repE0EEENS1_44radix_sort_block_sort_config_static_selectorELNS0_4arch9wavefront6targetE0EEEvSF_,@function
_ZN7rocprim17ROCPRIM_400000_NS6detail17trampoline_kernelINS0_13kernel_configILj256ELj4ELj4294967295EEENS1_37radix_sort_block_sort_config_selectorIaNS0_10empty_typeEEEZNS1_21radix_sort_block_sortIS4_Lb0EPKaPaPS6_SC_NS0_19identity_decomposerEEE10hipError_tT1_T2_T3_T4_jRjT5_jjP12ihipStream_tbEUlT_E_NS1_11comp_targetILNS1_3genE3ELNS1_11target_archE908ELNS1_3gpuE7ELNS1_3repE0EEENS1_44radix_sort_block_sort_config_static_selectorELNS0_4arch9wavefront6targetE0EEEvSF_: ; @_ZN7rocprim17ROCPRIM_400000_NS6detail17trampoline_kernelINS0_13kernel_configILj256ELj4ELj4294967295EEENS1_37radix_sort_block_sort_config_selectorIaNS0_10empty_typeEEEZNS1_21radix_sort_block_sortIS4_Lb0EPKaPaPS6_SC_NS0_19identity_decomposerEEE10hipError_tT1_T2_T3_T4_jRjT5_jjP12ihipStream_tbEUlT_E_NS1_11comp_targetILNS1_3genE3ELNS1_11target_archE908ELNS1_3gpuE7ELNS1_3repE0EEENS1_44radix_sort_block_sort_config_static_selectorELNS0_4arch9wavefront6targetE0EEEvSF_
; %bb.0:
	.section	.rodata,"a",@progbits
	.p2align	6, 0x0
	.amdhsa_kernel _ZN7rocprim17ROCPRIM_400000_NS6detail17trampoline_kernelINS0_13kernel_configILj256ELj4ELj4294967295EEENS1_37radix_sort_block_sort_config_selectorIaNS0_10empty_typeEEEZNS1_21radix_sort_block_sortIS4_Lb0EPKaPaPS6_SC_NS0_19identity_decomposerEEE10hipError_tT1_T2_T3_T4_jRjT5_jjP12ihipStream_tbEUlT_E_NS1_11comp_targetILNS1_3genE3ELNS1_11target_archE908ELNS1_3gpuE7ELNS1_3repE0EEENS1_44radix_sort_block_sort_config_static_selectorELNS0_4arch9wavefront6targetE0EEEvSF_
		.amdhsa_group_segment_fixed_size 0
		.amdhsa_private_segment_fixed_size 0
		.amdhsa_kernarg_size 48
		.amdhsa_user_sgpr_count 2
		.amdhsa_user_sgpr_dispatch_ptr 0
		.amdhsa_user_sgpr_queue_ptr 0
		.amdhsa_user_sgpr_kernarg_segment_ptr 1
		.amdhsa_user_sgpr_dispatch_id 0
		.amdhsa_user_sgpr_kernarg_preload_length 0
		.amdhsa_user_sgpr_kernarg_preload_offset 0
		.amdhsa_user_sgpr_private_segment_size 0
		.amdhsa_wavefront_size32 1
		.amdhsa_uses_dynamic_stack 0
		.amdhsa_enable_private_segment 0
		.amdhsa_system_sgpr_workgroup_id_x 1
		.amdhsa_system_sgpr_workgroup_id_y 0
		.amdhsa_system_sgpr_workgroup_id_z 0
		.amdhsa_system_sgpr_workgroup_info 0
		.amdhsa_system_vgpr_workitem_id 0
		.amdhsa_next_free_vgpr 1
		.amdhsa_next_free_sgpr 1
		.amdhsa_named_barrier_count 0
		.amdhsa_reserve_vcc 0
		.amdhsa_float_round_mode_32 0
		.amdhsa_float_round_mode_16_64 0
		.amdhsa_float_denorm_mode_32 3
		.amdhsa_float_denorm_mode_16_64 3
		.amdhsa_fp16_overflow 0
		.amdhsa_memory_ordered 1
		.amdhsa_forward_progress 1
		.amdhsa_inst_pref_size 0
		.amdhsa_round_robin_scheduling 0
		.amdhsa_exception_fp_ieee_invalid_op 0
		.amdhsa_exception_fp_denorm_src 0
		.amdhsa_exception_fp_ieee_div_zero 0
		.amdhsa_exception_fp_ieee_overflow 0
		.amdhsa_exception_fp_ieee_underflow 0
		.amdhsa_exception_fp_ieee_inexact 0
		.amdhsa_exception_int_div_zero 0
	.end_amdhsa_kernel
	.section	.text._ZN7rocprim17ROCPRIM_400000_NS6detail17trampoline_kernelINS0_13kernel_configILj256ELj4ELj4294967295EEENS1_37radix_sort_block_sort_config_selectorIaNS0_10empty_typeEEEZNS1_21radix_sort_block_sortIS4_Lb0EPKaPaPS6_SC_NS0_19identity_decomposerEEE10hipError_tT1_T2_T3_T4_jRjT5_jjP12ihipStream_tbEUlT_E_NS1_11comp_targetILNS1_3genE3ELNS1_11target_archE908ELNS1_3gpuE7ELNS1_3repE0EEENS1_44radix_sort_block_sort_config_static_selectorELNS0_4arch9wavefront6targetE0EEEvSF_,"axG",@progbits,_ZN7rocprim17ROCPRIM_400000_NS6detail17trampoline_kernelINS0_13kernel_configILj256ELj4ELj4294967295EEENS1_37radix_sort_block_sort_config_selectorIaNS0_10empty_typeEEEZNS1_21radix_sort_block_sortIS4_Lb0EPKaPaPS6_SC_NS0_19identity_decomposerEEE10hipError_tT1_T2_T3_T4_jRjT5_jjP12ihipStream_tbEUlT_E_NS1_11comp_targetILNS1_3genE3ELNS1_11target_archE908ELNS1_3gpuE7ELNS1_3repE0EEENS1_44radix_sort_block_sort_config_static_selectorELNS0_4arch9wavefront6targetE0EEEvSF_,comdat
.Lfunc_end394:
	.size	_ZN7rocprim17ROCPRIM_400000_NS6detail17trampoline_kernelINS0_13kernel_configILj256ELj4ELj4294967295EEENS1_37radix_sort_block_sort_config_selectorIaNS0_10empty_typeEEEZNS1_21radix_sort_block_sortIS4_Lb0EPKaPaPS6_SC_NS0_19identity_decomposerEEE10hipError_tT1_T2_T3_T4_jRjT5_jjP12ihipStream_tbEUlT_E_NS1_11comp_targetILNS1_3genE3ELNS1_11target_archE908ELNS1_3gpuE7ELNS1_3repE0EEENS1_44radix_sort_block_sort_config_static_selectorELNS0_4arch9wavefront6targetE0EEEvSF_, .Lfunc_end394-_ZN7rocprim17ROCPRIM_400000_NS6detail17trampoline_kernelINS0_13kernel_configILj256ELj4ELj4294967295EEENS1_37radix_sort_block_sort_config_selectorIaNS0_10empty_typeEEEZNS1_21radix_sort_block_sortIS4_Lb0EPKaPaPS6_SC_NS0_19identity_decomposerEEE10hipError_tT1_T2_T3_T4_jRjT5_jjP12ihipStream_tbEUlT_E_NS1_11comp_targetILNS1_3genE3ELNS1_11target_archE908ELNS1_3gpuE7ELNS1_3repE0EEENS1_44radix_sort_block_sort_config_static_selectorELNS0_4arch9wavefront6targetE0EEEvSF_
                                        ; -- End function
	.set _ZN7rocprim17ROCPRIM_400000_NS6detail17trampoline_kernelINS0_13kernel_configILj256ELj4ELj4294967295EEENS1_37radix_sort_block_sort_config_selectorIaNS0_10empty_typeEEEZNS1_21radix_sort_block_sortIS4_Lb0EPKaPaPS6_SC_NS0_19identity_decomposerEEE10hipError_tT1_T2_T3_T4_jRjT5_jjP12ihipStream_tbEUlT_E_NS1_11comp_targetILNS1_3genE3ELNS1_11target_archE908ELNS1_3gpuE7ELNS1_3repE0EEENS1_44radix_sort_block_sort_config_static_selectorELNS0_4arch9wavefront6targetE0EEEvSF_.num_vgpr, 0
	.set _ZN7rocprim17ROCPRIM_400000_NS6detail17trampoline_kernelINS0_13kernel_configILj256ELj4ELj4294967295EEENS1_37radix_sort_block_sort_config_selectorIaNS0_10empty_typeEEEZNS1_21radix_sort_block_sortIS4_Lb0EPKaPaPS6_SC_NS0_19identity_decomposerEEE10hipError_tT1_T2_T3_T4_jRjT5_jjP12ihipStream_tbEUlT_E_NS1_11comp_targetILNS1_3genE3ELNS1_11target_archE908ELNS1_3gpuE7ELNS1_3repE0EEENS1_44radix_sort_block_sort_config_static_selectorELNS0_4arch9wavefront6targetE0EEEvSF_.num_agpr, 0
	.set _ZN7rocprim17ROCPRIM_400000_NS6detail17trampoline_kernelINS0_13kernel_configILj256ELj4ELj4294967295EEENS1_37radix_sort_block_sort_config_selectorIaNS0_10empty_typeEEEZNS1_21radix_sort_block_sortIS4_Lb0EPKaPaPS6_SC_NS0_19identity_decomposerEEE10hipError_tT1_T2_T3_T4_jRjT5_jjP12ihipStream_tbEUlT_E_NS1_11comp_targetILNS1_3genE3ELNS1_11target_archE908ELNS1_3gpuE7ELNS1_3repE0EEENS1_44radix_sort_block_sort_config_static_selectorELNS0_4arch9wavefront6targetE0EEEvSF_.numbered_sgpr, 0
	.set _ZN7rocprim17ROCPRIM_400000_NS6detail17trampoline_kernelINS0_13kernel_configILj256ELj4ELj4294967295EEENS1_37radix_sort_block_sort_config_selectorIaNS0_10empty_typeEEEZNS1_21radix_sort_block_sortIS4_Lb0EPKaPaPS6_SC_NS0_19identity_decomposerEEE10hipError_tT1_T2_T3_T4_jRjT5_jjP12ihipStream_tbEUlT_E_NS1_11comp_targetILNS1_3genE3ELNS1_11target_archE908ELNS1_3gpuE7ELNS1_3repE0EEENS1_44radix_sort_block_sort_config_static_selectorELNS0_4arch9wavefront6targetE0EEEvSF_.num_named_barrier, 0
	.set _ZN7rocprim17ROCPRIM_400000_NS6detail17trampoline_kernelINS0_13kernel_configILj256ELj4ELj4294967295EEENS1_37radix_sort_block_sort_config_selectorIaNS0_10empty_typeEEEZNS1_21radix_sort_block_sortIS4_Lb0EPKaPaPS6_SC_NS0_19identity_decomposerEEE10hipError_tT1_T2_T3_T4_jRjT5_jjP12ihipStream_tbEUlT_E_NS1_11comp_targetILNS1_3genE3ELNS1_11target_archE908ELNS1_3gpuE7ELNS1_3repE0EEENS1_44radix_sort_block_sort_config_static_selectorELNS0_4arch9wavefront6targetE0EEEvSF_.private_seg_size, 0
	.set _ZN7rocprim17ROCPRIM_400000_NS6detail17trampoline_kernelINS0_13kernel_configILj256ELj4ELj4294967295EEENS1_37radix_sort_block_sort_config_selectorIaNS0_10empty_typeEEEZNS1_21radix_sort_block_sortIS4_Lb0EPKaPaPS6_SC_NS0_19identity_decomposerEEE10hipError_tT1_T2_T3_T4_jRjT5_jjP12ihipStream_tbEUlT_E_NS1_11comp_targetILNS1_3genE3ELNS1_11target_archE908ELNS1_3gpuE7ELNS1_3repE0EEENS1_44radix_sort_block_sort_config_static_selectorELNS0_4arch9wavefront6targetE0EEEvSF_.uses_vcc, 0
	.set _ZN7rocprim17ROCPRIM_400000_NS6detail17trampoline_kernelINS0_13kernel_configILj256ELj4ELj4294967295EEENS1_37radix_sort_block_sort_config_selectorIaNS0_10empty_typeEEEZNS1_21radix_sort_block_sortIS4_Lb0EPKaPaPS6_SC_NS0_19identity_decomposerEEE10hipError_tT1_T2_T3_T4_jRjT5_jjP12ihipStream_tbEUlT_E_NS1_11comp_targetILNS1_3genE3ELNS1_11target_archE908ELNS1_3gpuE7ELNS1_3repE0EEENS1_44radix_sort_block_sort_config_static_selectorELNS0_4arch9wavefront6targetE0EEEvSF_.uses_flat_scratch, 0
	.set _ZN7rocprim17ROCPRIM_400000_NS6detail17trampoline_kernelINS0_13kernel_configILj256ELj4ELj4294967295EEENS1_37radix_sort_block_sort_config_selectorIaNS0_10empty_typeEEEZNS1_21radix_sort_block_sortIS4_Lb0EPKaPaPS6_SC_NS0_19identity_decomposerEEE10hipError_tT1_T2_T3_T4_jRjT5_jjP12ihipStream_tbEUlT_E_NS1_11comp_targetILNS1_3genE3ELNS1_11target_archE908ELNS1_3gpuE7ELNS1_3repE0EEENS1_44radix_sort_block_sort_config_static_selectorELNS0_4arch9wavefront6targetE0EEEvSF_.has_dyn_sized_stack, 0
	.set _ZN7rocprim17ROCPRIM_400000_NS6detail17trampoline_kernelINS0_13kernel_configILj256ELj4ELj4294967295EEENS1_37radix_sort_block_sort_config_selectorIaNS0_10empty_typeEEEZNS1_21radix_sort_block_sortIS4_Lb0EPKaPaPS6_SC_NS0_19identity_decomposerEEE10hipError_tT1_T2_T3_T4_jRjT5_jjP12ihipStream_tbEUlT_E_NS1_11comp_targetILNS1_3genE3ELNS1_11target_archE908ELNS1_3gpuE7ELNS1_3repE0EEENS1_44radix_sort_block_sort_config_static_selectorELNS0_4arch9wavefront6targetE0EEEvSF_.has_recursion, 0
	.set _ZN7rocprim17ROCPRIM_400000_NS6detail17trampoline_kernelINS0_13kernel_configILj256ELj4ELj4294967295EEENS1_37radix_sort_block_sort_config_selectorIaNS0_10empty_typeEEEZNS1_21radix_sort_block_sortIS4_Lb0EPKaPaPS6_SC_NS0_19identity_decomposerEEE10hipError_tT1_T2_T3_T4_jRjT5_jjP12ihipStream_tbEUlT_E_NS1_11comp_targetILNS1_3genE3ELNS1_11target_archE908ELNS1_3gpuE7ELNS1_3repE0EEENS1_44radix_sort_block_sort_config_static_selectorELNS0_4arch9wavefront6targetE0EEEvSF_.has_indirect_call, 0
	.section	.AMDGPU.csdata,"",@progbits
; Kernel info:
; codeLenInByte = 0
; TotalNumSgprs: 0
; NumVgprs: 0
; ScratchSize: 0
; MemoryBound: 0
; FloatMode: 240
; IeeeMode: 1
; LDSByteSize: 0 bytes/workgroup (compile time only)
; SGPRBlocks: 0
; VGPRBlocks: 0
; NumSGPRsForWavesPerEU: 1
; NumVGPRsForWavesPerEU: 1
; NamedBarCnt: 0
; Occupancy: 16
; WaveLimiterHint : 0
; COMPUTE_PGM_RSRC2:SCRATCH_EN: 0
; COMPUTE_PGM_RSRC2:USER_SGPR: 2
; COMPUTE_PGM_RSRC2:TRAP_HANDLER: 0
; COMPUTE_PGM_RSRC2:TGID_X_EN: 1
; COMPUTE_PGM_RSRC2:TGID_Y_EN: 0
; COMPUTE_PGM_RSRC2:TGID_Z_EN: 0
; COMPUTE_PGM_RSRC2:TIDIG_COMP_CNT: 0
	.section	.text._ZN7rocprim17ROCPRIM_400000_NS6detail17trampoline_kernelINS0_13kernel_configILj256ELj4ELj4294967295EEENS1_37radix_sort_block_sort_config_selectorIaNS0_10empty_typeEEEZNS1_21radix_sort_block_sortIS4_Lb0EPKaPaPS6_SC_NS0_19identity_decomposerEEE10hipError_tT1_T2_T3_T4_jRjT5_jjP12ihipStream_tbEUlT_E_NS1_11comp_targetILNS1_3genE2ELNS1_11target_archE906ELNS1_3gpuE6ELNS1_3repE0EEENS1_44radix_sort_block_sort_config_static_selectorELNS0_4arch9wavefront6targetE0EEEvSF_,"axG",@progbits,_ZN7rocprim17ROCPRIM_400000_NS6detail17trampoline_kernelINS0_13kernel_configILj256ELj4ELj4294967295EEENS1_37radix_sort_block_sort_config_selectorIaNS0_10empty_typeEEEZNS1_21radix_sort_block_sortIS4_Lb0EPKaPaPS6_SC_NS0_19identity_decomposerEEE10hipError_tT1_T2_T3_T4_jRjT5_jjP12ihipStream_tbEUlT_E_NS1_11comp_targetILNS1_3genE2ELNS1_11target_archE906ELNS1_3gpuE6ELNS1_3repE0EEENS1_44radix_sort_block_sort_config_static_selectorELNS0_4arch9wavefront6targetE0EEEvSF_,comdat
	.protected	_ZN7rocprim17ROCPRIM_400000_NS6detail17trampoline_kernelINS0_13kernel_configILj256ELj4ELj4294967295EEENS1_37radix_sort_block_sort_config_selectorIaNS0_10empty_typeEEEZNS1_21radix_sort_block_sortIS4_Lb0EPKaPaPS6_SC_NS0_19identity_decomposerEEE10hipError_tT1_T2_T3_T4_jRjT5_jjP12ihipStream_tbEUlT_E_NS1_11comp_targetILNS1_3genE2ELNS1_11target_archE906ELNS1_3gpuE6ELNS1_3repE0EEENS1_44radix_sort_block_sort_config_static_selectorELNS0_4arch9wavefront6targetE0EEEvSF_ ; -- Begin function _ZN7rocprim17ROCPRIM_400000_NS6detail17trampoline_kernelINS0_13kernel_configILj256ELj4ELj4294967295EEENS1_37radix_sort_block_sort_config_selectorIaNS0_10empty_typeEEEZNS1_21radix_sort_block_sortIS4_Lb0EPKaPaPS6_SC_NS0_19identity_decomposerEEE10hipError_tT1_T2_T3_T4_jRjT5_jjP12ihipStream_tbEUlT_E_NS1_11comp_targetILNS1_3genE2ELNS1_11target_archE906ELNS1_3gpuE6ELNS1_3repE0EEENS1_44radix_sort_block_sort_config_static_selectorELNS0_4arch9wavefront6targetE0EEEvSF_
	.globl	_ZN7rocprim17ROCPRIM_400000_NS6detail17trampoline_kernelINS0_13kernel_configILj256ELj4ELj4294967295EEENS1_37radix_sort_block_sort_config_selectorIaNS0_10empty_typeEEEZNS1_21radix_sort_block_sortIS4_Lb0EPKaPaPS6_SC_NS0_19identity_decomposerEEE10hipError_tT1_T2_T3_T4_jRjT5_jjP12ihipStream_tbEUlT_E_NS1_11comp_targetILNS1_3genE2ELNS1_11target_archE906ELNS1_3gpuE6ELNS1_3repE0EEENS1_44radix_sort_block_sort_config_static_selectorELNS0_4arch9wavefront6targetE0EEEvSF_
	.p2align	8
	.type	_ZN7rocprim17ROCPRIM_400000_NS6detail17trampoline_kernelINS0_13kernel_configILj256ELj4ELj4294967295EEENS1_37radix_sort_block_sort_config_selectorIaNS0_10empty_typeEEEZNS1_21radix_sort_block_sortIS4_Lb0EPKaPaPS6_SC_NS0_19identity_decomposerEEE10hipError_tT1_T2_T3_T4_jRjT5_jjP12ihipStream_tbEUlT_E_NS1_11comp_targetILNS1_3genE2ELNS1_11target_archE906ELNS1_3gpuE6ELNS1_3repE0EEENS1_44radix_sort_block_sort_config_static_selectorELNS0_4arch9wavefront6targetE0EEEvSF_,@function
_ZN7rocprim17ROCPRIM_400000_NS6detail17trampoline_kernelINS0_13kernel_configILj256ELj4ELj4294967295EEENS1_37radix_sort_block_sort_config_selectorIaNS0_10empty_typeEEEZNS1_21radix_sort_block_sortIS4_Lb0EPKaPaPS6_SC_NS0_19identity_decomposerEEE10hipError_tT1_T2_T3_T4_jRjT5_jjP12ihipStream_tbEUlT_E_NS1_11comp_targetILNS1_3genE2ELNS1_11target_archE906ELNS1_3gpuE6ELNS1_3repE0EEENS1_44radix_sort_block_sort_config_static_selectorELNS0_4arch9wavefront6targetE0EEEvSF_: ; @_ZN7rocprim17ROCPRIM_400000_NS6detail17trampoline_kernelINS0_13kernel_configILj256ELj4ELj4294967295EEENS1_37radix_sort_block_sort_config_selectorIaNS0_10empty_typeEEEZNS1_21radix_sort_block_sortIS4_Lb0EPKaPaPS6_SC_NS0_19identity_decomposerEEE10hipError_tT1_T2_T3_T4_jRjT5_jjP12ihipStream_tbEUlT_E_NS1_11comp_targetILNS1_3genE2ELNS1_11target_archE906ELNS1_3gpuE6ELNS1_3repE0EEENS1_44radix_sort_block_sort_config_static_selectorELNS0_4arch9wavefront6targetE0EEEvSF_
; %bb.0:
	.section	.rodata,"a",@progbits
	.p2align	6, 0x0
	.amdhsa_kernel _ZN7rocprim17ROCPRIM_400000_NS6detail17trampoline_kernelINS0_13kernel_configILj256ELj4ELj4294967295EEENS1_37radix_sort_block_sort_config_selectorIaNS0_10empty_typeEEEZNS1_21radix_sort_block_sortIS4_Lb0EPKaPaPS6_SC_NS0_19identity_decomposerEEE10hipError_tT1_T2_T3_T4_jRjT5_jjP12ihipStream_tbEUlT_E_NS1_11comp_targetILNS1_3genE2ELNS1_11target_archE906ELNS1_3gpuE6ELNS1_3repE0EEENS1_44radix_sort_block_sort_config_static_selectorELNS0_4arch9wavefront6targetE0EEEvSF_
		.amdhsa_group_segment_fixed_size 0
		.amdhsa_private_segment_fixed_size 0
		.amdhsa_kernarg_size 48
		.amdhsa_user_sgpr_count 2
		.amdhsa_user_sgpr_dispatch_ptr 0
		.amdhsa_user_sgpr_queue_ptr 0
		.amdhsa_user_sgpr_kernarg_segment_ptr 1
		.amdhsa_user_sgpr_dispatch_id 0
		.amdhsa_user_sgpr_kernarg_preload_length 0
		.amdhsa_user_sgpr_kernarg_preload_offset 0
		.amdhsa_user_sgpr_private_segment_size 0
		.amdhsa_wavefront_size32 1
		.amdhsa_uses_dynamic_stack 0
		.amdhsa_enable_private_segment 0
		.amdhsa_system_sgpr_workgroup_id_x 1
		.amdhsa_system_sgpr_workgroup_id_y 0
		.amdhsa_system_sgpr_workgroup_id_z 0
		.amdhsa_system_sgpr_workgroup_info 0
		.amdhsa_system_vgpr_workitem_id 0
		.amdhsa_next_free_vgpr 1
		.amdhsa_next_free_sgpr 1
		.amdhsa_named_barrier_count 0
		.amdhsa_reserve_vcc 0
		.amdhsa_float_round_mode_32 0
		.amdhsa_float_round_mode_16_64 0
		.amdhsa_float_denorm_mode_32 3
		.amdhsa_float_denorm_mode_16_64 3
		.amdhsa_fp16_overflow 0
		.amdhsa_memory_ordered 1
		.amdhsa_forward_progress 1
		.amdhsa_inst_pref_size 0
		.amdhsa_round_robin_scheduling 0
		.amdhsa_exception_fp_ieee_invalid_op 0
		.amdhsa_exception_fp_denorm_src 0
		.amdhsa_exception_fp_ieee_div_zero 0
		.amdhsa_exception_fp_ieee_overflow 0
		.amdhsa_exception_fp_ieee_underflow 0
		.amdhsa_exception_fp_ieee_inexact 0
		.amdhsa_exception_int_div_zero 0
	.end_amdhsa_kernel
	.section	.text._ZN7rocprim17ROCPRIM_400000_NS6detail17trampoline_kernelINS0_13kernel_configILj256ELj4ELj4294967295EEENS1_37radix_sort_block_sort_config_selectorIaNS0_10empty_typeEEEZNS1_21radix_sort_block_sortIS4_Lb0EPKaPaPS6_SC_NS0_19identity_decomposerEEE10hipError_tT1_T2_T3_T4_jRjT5_jjP12ihipStream_tbEUlT_E_NS1_11comp_targetILNS1_3genE2ELNS1_11target_archE906ELNS1_3gpuE6ELNS1_3repE0EEENS1_44radix_sort_block_sort_config_static_selectorELNS0_4arch9wavefront6targetE0EEEvSF_,"axG",@progbits,_ZN7rocprim17ROCPRIM_400000_NS6detail17trampoline_kernelINS0_13kernel_configILj256ELj4ELj4294967295EEENS1_37radix_sort_block_sort_config_selectorIaNS0_10empty_typeEEEZNS1_21radix_sort_block_sortIS4_Lb0EPKaPaPS6_SC_NS0_19identity_decomposerEEE10hipError_tT1_T2_T3_T4_jRjT5_jjP12ihipStream_tbEUlT_E_NS1_11comp_targetILNS1_3genE2ELNS1_11target_archE906ELNS1_3gpuE6ELNS1_3repE0EEENS1_44radix_sort_block_sort_config_static_selectorELNS0_4arch9wavefront6targetE0EEEvSF_,comdat
.Lfunc_end395:
	.size	_ZN7rocprim17ROCPRIM_400000_NS6detail17trampoline_kernelINS0_13kernel_configILj256ELj4ELj4294967295EEENS1_37radix_sort_block_sort_config_selectorIaNS0_10empty_typeEEEZNS1_21radix_sort_block_sortIS4_Lb0EPKaPaPS6_SC_NS0_19identity_decomposerEEE10hipError_tT1_T2_T3_T4_jRjT5_jjP12ihipStream_tbEUlT_E_NS1_11comp_targetILNS1_3genE2ELNS1_11target_archE906ELNS1_3gpuE6ELNS1_3repE0EEENS1_44radix_sort_block_sort_config_static_selectorELNS0_4arch9wavefront6targetE0EEEvSF_, .Lfunc_end395-_ZN7rocprim17ROCPRIM_400000_NS6detail17trampoline_kernelINS0_13kernel_configILj256ELj4ELj4294967295EEENS1_37radix_sort_block_sort_config_selectorIaNS0_10empty_typeEEEZNS1_21radix_sort_block_sortIS4_Lb0EPKaPaPS6_SC_NS0_19identity_decomposerEEE10hipError_tT1_T2_T3_T4_jRjT5_jjP12ihipStream_tbEUlT_E_NS1_11comp_targetILNS1_3genE2ELNS1_11target_archE906ELNS1_3gpuE6ELNS1_3repE0EEENS1_44radix_sort_block_sort_config_static_selectorELNS0_4arch9wavefront6targetE0EEEvSF_
                                        ; -- End function
	.set _ZN7rocprim17ROCPRIM_400000_NS6detail17trampoline_kernelINS0_13kernel_configILj256ELj4ELj4294967295EEENS1_37radix_sort_block_sort_config_selectorIaNS0_10empty_typeEEEZNS1_21radix_sort_block_sortIS4_Lb0EPKaPaPS6_SC_NS0_19identity_decomposerEEE10hipError_tT1_T2_T3_T4_jRjT5_jjP12ihipStream_tbEUlT_E_NS1_11comp_targetILNS1_3genE2ELNS1_11target_archE906ELNS1_3gpuE6ELNS1_3repE0EEENS1_44radix_sort_block_sort_config_static_selectorELNS0_4arch9wavefront6targetE0EEEvSF_.num_vgpr, 0
	.set _ZN7rocprim17ROCPRIM_400000_NS6detail17trampoline_kernelINS0_13kernel_configILj256ELj4ELj4294967295EEENS1_37radix_sort_block_sort_config_selectorIaNS0_10empty_typeEEEZNS1_21radix_sort_block_sortIS4_Lb0EPKaPaPS6_SC_NS0_19identity_decomposerEEE10hipError_tT1_T2_T3_T4_jRjT5_jjP12ihipStream_tbEUlT_E_NS1_11comp_targetILNS1_3genE2ELNS1_11target_archE906ELNS1_3gpuE6ELNS1_3repE0EEENS1_44radix_sort_block_sort_config_static_selectorELNS0_4arch9wavefront6targetE0EEEvSF_.num_agpr, 0
	.set _ZN7rocprim17ROCPRIM_400000_NS6detail17trampoline_kernelINS0_13kernel_configILj256ELj4ELj4294967295EEENS1_37radix_sort_block_sort_config_selectorIaNS0_10empty_typeEEEZNS1_21radix_sort_block_sortIS4_Lb0EPKaPaPS6_SC_NS0_19identity_decomposerEEE10hipError_tT1_T2_T3_T4_jRjT5_jjP12ihipStream_tbEUlT_E_NS1_11comp_targetILNS1_3genE2ELNS1_11target_archE906ELNS1_3gpuE6ELNS1_3repE0EEENS1_44radix_sort_block_sort_config_static_selectorELNS0_4arch9wavefront6targetE0EEEvSF_.numbered_sgpr, 0
	.set _ZN7rocprim17ROCPRIM_400000_NS6detail17trampoline_kernelINS0_13kernel_configILj256ELj4ELj4294967295EEENS1_37radix_sort_block_sort_config_selectorIaNS0_10empty_typeEEEZNS1_21radix_sort_block_sortIS4_Lb0EPKaPaPS6_SC_NS0_19identity_decomposerEEE10hipError_tT1_T2_T3_T4_jRjT5_jjP12ihipStream_tbEUlT_E_NS1_11comp_targetILNS1_3genE2ELNS1_11target_archE906ELNS1_3gpuE6ELNS1_3repE0EEENS1_44radix_sort_block_sort_config_static_selectorELNS0_4arch9wavefront6targetE0EEEvSF_.num_named_barrier, 0
	.set _ZN7rocprim17ROCPRIM_400000_NS6detail17trampoline_kernelINS0_13kernel_configILj256ELj4ELj4294967295EEENS1_37radix_sort_block_sort_config_selectorIaNS0_10empty_typeEEEZNS1_21radix_sort_block_sortIS4_Lb0EPKaPaPS6_SC_NS0_19identity_decomposerEEE10hipError_tT1_T2_T3_T4_jRjT5_jjP12ihipStream_tbEUlT_E_NS1_11comp_targetILNS1_3genE2ELNS1_11target_archE906ELNS1_3gpuE6ELNS1_3repE0EEENS1_44radix_sort_block_sort_config_static_selectorELNS0_4arch9wavefront6targetE0EEEvSF_.private_seg_size, 0
	.set _ZN7rocprim17ROCPRIM_400000_NS6detail17trampoline_kernelINS0_13kernel_configILj256ELj4ELj4294967295EEENS1_37radix_sort_block_sort_config_selectorIaNS0_10empty_typeEEEZNS1_21radix_sort_block_sortIS4_Lb0EPKaPaPS6_SC_NS0_19identity_decomposerEEE10hipError_tT1_T2_T3_T4_jRjT5_jjP12ihipStream_tbEUlT_E_NS1_11comp_targetILNS1_3genE2ELNS1_11target_archE906ELNS1_3gpuE6ELNS1_3repE0EEENS1_44radix_sort_block_sort_config_static_selectorELNS0_4arch9wavefront6targetE0EEEvSF_.uses_vcc, 0
	.set _ZN7rocprim17ROCPRIM_400000_NS6detail17trampoline_kernelINS0_13kernel_configILj256ELj4ELj4294967295EEENS1_37radix_sort_block_sort_config_selectorIaNS0_10empty_typeEEEZNS1_21radix_sort_block_sortIS4_Lb0EPKaPaPS6_SC_NS0_19identity_decomposerEEE10hipError_tT1_T2_T3_T4_jRjT5_jjP12ihipStream_tbEUlT_E_NS1_11comp_targetILNS1_3genE2ELNS1_11target_archE906ELNS1_3gpuE6ELNS1_3repE0EEENS1_44radix_sort_block_sort_config_static_selectorELNS0_4arch9wavefront6targetE0EEEvSF_.uses_flat_scratch, 0
	.set _ZN7rocprim17ROCPRIM_400000_NS6detail17trampoline_kernelINS0_13kernel_configILj256ELj4ELj4294967295EEENS1_37radix_sort_block_sort_config_selectorIaNS0_10empty_typeEEEZNS1_21radix_sort_block_sortIS4_Lb0EPKaPaPS6_SC_NS0_19identity_decomposerEEE10hipError_tT1_T2_T3_T4_jRjT5_jjP12ihipStream_tbEUlT_E_NS1_11comp_targetILNS1_3genE2ELNS1_11target_archE906ELNS1_3gpuE6ELNS1_3repE0EEENS1_44radix_sort_block_sort_config_static_selectorELNS0_4arch9wavefront6targetE0EEEvSF_.has_dyn_sized_stack, 0
	.set _ZN7rocprim17ROCPRIM_400000_NS6detail17trampoline_kernelINS0_13kernel_configILj256ELj4ELj4294967295EEENS1_37radix_sort_block_sort_config_selectorIaNS0_10empty_typeEEEZNS1_21radix_sort_block_sortIS4_Lb0EPKaPaPS6_SC_NS0_19identity_decomposerEEE10hipError_tT1_T2_T3_T4_jRjT5_jjP12ihipStream_tbEUlT_E_NS1_11comp_targetILNS1_3genE2ELNS1_11target_archE906ELNS1_3gpuE6ELNS1_3repE0EEENS1_44radix_sort_block_sort_config_static_selectorELNS0_4arch9wavefront6targetE0EEEvSF_.has_recursion, 0
	.set _ZN7rocprim17ROCPRIM_400000_NS6detail17trampoline_kernelINS0_13kernel_configILj256ELj4ELj4294967295EEENS1_37radix_sort_block_sort_config_selectorIaNS0_10empty_typeEEEZNS1_21radix_sort_block_sortIS4_Lb0EPKaPaPS6_SC_NS0_19identity_decomposerEEE10hipError_tT1_T2_T3_T4_jRjT5_jjP12ihipStream_tbEUlT_E_NS1_11comp_targetILNS1_3genE2ELNS1_11target_archE906ELNS1_3gpuE6ELNS1_3repE0EEENS1_44radix_sort_block_sort_config_static_selectorELNS0_4arch9wavefront6targetE0EEEvSF_.has_indirect_call, 0
	.section	.AMDGPU.csdata,"",@progbits
; Kernel info:
; codeLenInByte = 0
; TotalNumSgprs: 0
; NumVgprs: 0
; ScratchSize: 0
; MemoryBound: 0
; FloatMode: 240
; IeeeMode: 1
; LDSByteSize: 0 bytes/workgroup (compile time only)
; SGPRBlocks: 0
; VGPRBlocks: 0
; NumSGPRsForWavesPerEU: 1
; NumVGPRsForWavesPerEU: 1
; NamedBarCnt: 0
; Occupancy: 16
; WaveLimiterHint : 0
; COMPUTE_PGM_RSRC2:SCRATCH_EN: 0
; COMPUTE_PGM_RSRC2:USER_SGPR: 2
; COMPUTE_PGM_RSRC2:TRAP_HANDLER: 0
; COMPUTE_PGM_RSRC2:TGID_X_EN: 1
; COMPUTE_PGM_RSRC2:TGID_Y_EN: 0
; COMPUTE_PGM_RSRC2:TGID_Z_EN: 0
; COMPUTE_PGM_RSRC2:TIDIG_COMP_CNT: 0
	.section	.text._ZN7rocprim17ROCPRIM_400000_NS6detail17trampoline_kernelINS0_13kernel_configILj256ELj4ELj4294967295EEENS1_37radix_sort_block_sort_config_selectorIaNS0_10empty_typeEEEZNS1_21radix_sort_block_sortIS4_Lb0EPKaPaPS6_SC_NS0_19identity_decomposerEEE10hipError_tT1_T2_T3_T4_jRjT5_jjP12ihipStream_tbEUlT_E_NS1_11comp_targetILNS1_3genE10ELNS1_11target_archE1201ELNS1_3gpuE5ELNS1_3repE0EEENS1_44radix_sort_block_sort_config_static_selectorELNS0_4arch9wavefront6targetE0EEEvSF_,"axG",@progbits,_ZN7rocprim17ROCPRIM_400000_NS6detail17trampoline_kernelINS0_13kernel_configILj256ELj4ELj4294967295EEENS1_37radix_sort_block_sort_config_selectorIaNS0_10empty_typeEEEZNS1_21radix_sort_block_sortIS4_Lb0EPKaPaPS6_SC_NS0_19identity_decomposerEEE10hipError_tT1_T2_T3_T4_jRjT5_jjP12ihipStream_tbEUlT_E_NS1_11comp_targetILNS1_3genE10ELNS1_11target_archE1201ELNS1_3gpuE5ELNS1_3repE0EEENS1_44radix_sort_block_sort_config_static_selectorELNS0_4arch9wavefront6targetE0EEEvSF_,comdat
	.protected	_ZN7rocprim17ROCPRIM_400000_NS6detail17trampoline_kernelINS0_13kernel_configILj256ELj4ELj4294967295EEENS1_37radix_sort_block_sort_config_selectorIaNS0_10empty_typeEEEZNS1_21radix_sort_block_sortIS4_Lb0EPKaPaPS6_SC_NS0_19identity_decomposerEEE10hipError_tT1_T2_T3_T4_jRjT5_jjP12ihipStream_tbEUlT_E_NS1_11comp_targetILNS1_3genE10ELNS1_11target_archE1201ELNS1_3gpuE5ELNS1_3repE0EEENS1_44radix_sort_block_sort_config_static_selectorELNS0_4arch9wavefront6targetE0EEEvSF_ ; -- Begin function _ZN7rocprim17ROCPRIM_400000_NS6detail17trampoline_kernelINS0_13kernel_configILj256ELj4ELj4294967295EEENS1_37radix_sort_block_sort_config_selectorIaNS0_10empty_typeEEEZNS1_21radix_sort_block_sortIS4_Lb0EPKaPaPS6_SC_NS0_19identity_decomposerEEE10hipError_tT1_T2_T3_T4_jRjT5_jjP12ihipStream_tbEUlT_E_NS1_11comp_targetILNS1_3genE10ELNS1_11target_archE1201ELNS1_3gpuE5ELNS1_3repE0EEENS1_44radix_sort_block_sort_config_static_selectorELNS0_4arch9wavefront6targetE0EEEvSF_
	.globl	_ZN7rocprim17ROCPRIM_400000_NS6detail17trampoline_kernelINS0_13kernel_configILj256ELj4ELj4294967295EEENS1_37radix_sort_block_sort_config_selectorIaNS0_10empty_typeEEEZNS1_21radix_sort_block_sortIS4_Lb0EPKaPaPS6_SC_NS0_19identity_decomposerEEE10hipError_tT1_T2_T3_T4_jRjT5_jjP12ihipStream_tbEUlT_E_NS1_11comp_targetILNS1_3genE10ELNS1_11target_archE1201ELNS1_3gpuE5ELNS1_3repE0EEENS1_44radix_sort_block_sort_config_static_selectorELNS0_4arch9wavefront6targetE0EEEvSF_
	.p2align	8
	.type	_ZN7rocprim17ROCPRIM_400000_NS6detail17trampoline_kernelINS0_13kernel_configILj256ELj4ELj4294967295EEENS1_37radix_sort_block_sort_config_selectorIaNS0_10empty_typeEEEZNS1_21radix_sort_block_sortIS4_Lb0EPKaPaPS6_SC_NS0_19identity_decomposerEEE10hipError_tT1_T2_T3_T4_jRjT5_jjP12ihipStream_tbEUlT_E_NS1_11comp_targetILNS1_3genE10ELNS1_11target_archE1201ELNS1_3gpuE5ELNS1_3repE0EEENS1_44radix_sort_block_sort_config_static_selectorELNS0_4arch9wavefront6targetE0EEEvSF_,@function
_ZN7rocprim17ROCPRIM_400000_NS6detail17trampoline_kernelINS0_13kernel_configILj256ELj4ELj4294967295EEENS1_37radix_sort_block_sort_config_selectorIaNS0_10empty_typeEEEZNS1_21radix_sort_block_sortIS4_Lb0EPKaPaPS6_SC_NS0_19identity_decomposerEEE10hipError_tT1_T2_T3_T4_jRjT5_jjP12ihipStream_tbEUlT_E_NS1_11comp_targetILNS1_3genE10ELNS1_11target_archE1201ELNS1_3gpuE5ELNS1_3repE0EEENS1_44radix_sort_block_sort_config_static_selectorELNS0_4arch9wavefront6targetE0EEEvSF_: ; @_ZN7rocprim17ROCPRIM_400000_NS6detail17trampoline_kernelINS0_13kernel_configILj256ELj4ELj4294967295EEENS1_37radix_sort_block_sort_config_selectorIaNS0_10empty_typeEEEZNS1_21radix_sort_block_sortIS4_Lb0EPKaPaPS6_SC_NS0_19identity_decomposerEEE10hipError_tT1_T2_T3_T4_jRjT5_jjP12ihipStream_tbEUlT_E_NS1_11comp_targetILNS1_3genE10ELNS1_11target_archE1201ELNS1_3gpuE5ELNS1_3repE0EEENS1_44radix_sort_block_sort_config_static_selectorELNS0_4arch9wavefront6targetE0EEEvSF_
; %bb.0:
	.section	.rodata,"a",@progbits
	.p2align	6, 0x0
	.amdhsa_kernel _ZN7rocprim17ROCPRIM_400000_NS6detail17trampoline_kernelINS0_13kernel_configILj256ELj4ELj4294967295EEENS1_37radix_sort_block_sort_config_selectorIaNS0_10empty_typeEEEZNS1_21radix_sort_block_sortIS4_Lb0EPKaPaPS6_SC_NS0_19identity_decomposerEEE10hipError_tT1_T2_T3_T4_jRjT5_jjP12ihipStream_tbEUlT_E_NS1_11comp_targetILNS1_3genE10ELNS1_11target_archE1201ELNS1_3gpuE5ELNS1_3repE0EEENS1_44radix_sort_block_sort_config_static_selectorELNS0_4arch9wavefront6targetE0EEEvSF_
		.amdhsa_group_segment_fixed_size 0
		.amdhsa_private_segment_fixed_size 0
		.amdhsa_kernarg_size 48
		.amdhsa_user_sgpr_count 2
		.amdhsa_user_sgpr_dispatch_ptr 0
		.amdhsa_user_sgpr_queue_ptr 0
		.amdhsa_user_sgpr_kernarg_segment_ptr 1
		.amdhsa_user_sgpr_dispatch_id 0
		.amdhsa_user_sgpr_kernarg_preload_length 0
		.amdhsa_user_sgpr_kernarg_preload_offset 0
		.amdhsa_user_sgpr_private_segment_size 0
		.amdhsa_wavefront_size32 1
		.amdhsa_uses_dynamic_stack 0
		.amdhsa_enable_private_segment 0
		.amdhsa_system_sgpr_workgroup_id_x 1
		.amdhsa_system_sgpr_workgroup_id_y 0
		.amdhsa_system_sgpr_workgroup_id_z 0
		.amdhsa_system_sgpr_workgroup_info 0
		.amdhsa_system_vgpr_workitem_id 0
		.amdhsa_next_free_vgpr 1
		.amdhsa_next_free_sgpr 1
		.amdhsa_named_barrier_count 0
		.amdhsa_reserve_vcc 0
		.amdhsa_float_round_mode_32 0
		.amdhsa_float_round_mode_16_64 0
		.amdhsa_float_denorm_mode_32 3
		.amdhsa_float_denorm_mode_16_64 3
		.amdhsa_fp16_overflow 0
		.amdhsa_memory_ordered 1
		.amdhsa_forward_progress 1
		.amdhsa_inst_pref_size 0
		.amdhsa_round_robin_scheduling 0
		.amdhsa_exception_fp_ieee_invalid_op 0
		.amdhsa_exception_fp_denorm_src 0
		.amdhsa_exception_fp_ieee_div_zero 0
		.amdhsa_exception_fp_ieee_overflow 0
		.amdhsa_exception_fp_ieee_underflow 0
		.amdhsa_exception_fp_ieee_inexact 0
		.amdhsa_exception_int_div_zero 0
	.end_amdhsa_kernel
	.section	.text._ZN7rocprim17ROCPRIM_400000_NS6detail17trampoline_kernelINS0_13kernel_configILj256ELj4ELj4294967295EEENS1_37radix_sort_block_sort_config_selectorIaNS0_10empty_typeEEEZNS1_21radix_sort_block_sortIS4_Lb0EPKaPaPS6_SC_NS0_19identity_decomposerEEE10hipError_tT1_T2_T3_T4_jRjT5_jjP12ihipStream_tbEUlT_E_NS1_11comp_targetILNS1_3genE10ELNS1_11target_archE1201ELNS1_3gpuE5ELNS1_3repE0EEENS1_44radix_sort_block_sort_config_static_selectorELNS0_4arch9wavefront6targetE0EEEvSF_,"axG",@progbits,_ZN7rocprim17ROCPRIM_400000_NS6detail17trampoline_kernelINS0_13kernel_configILj256ELj4ELj4294967295EEENS1_37radix_sort_block_sort_config_selectorIaNS0_10empty_typeEEEZNS1_21radix_sort_block_sortIS4_Lb0EPKaPaPS6_SC_NS0_19identity_decomposerEEE10hipError_tT1_T2_T3_T4_jRjT5_jjP12ihipStream_tbEUlT_E_NS1_11comp_targetILNS1_3genE10ELNS1_11target_archE1201ELNS1_3gpuE5ELNS1_3repE0EEENS1_44radix_sort_block_sort_config_static_selectorELNS0_4arch9wavefront6targetE0EEEvSF_,comdat
.Lfunc_end396:
	.size	_ZN7rocprim17ROCPRIM_400000_NS6detail17trampoline_kernelINS0_13kernel_configILj256ELj4ELj4294967295EEENS1_37radix_sort_block_sort_config_selectorIaNS0_10empty_typeEEEZNS1_21radix_sort_block_sortIS4_Lb0EPKaPaPS6_SC_NS0_19identity_decomposerEEE10hipError_tT1_T2_T3_T4_jRjT5_jjP12ihipStream_tbEUlT_E_NS1_11comp_targetILNS1_3genE10ELNS1_11target_archE1201ELNS1_3gpuE5ELNS1_3repE0EEENS1_44radix_sort_block_sort_config_static_selectorELNS0_4arch9wavefront6targetE0EEEvSF_, .Lfunc_end396-_ZN7rocprim17ROCPRIM_400000_NS6detail17trampoline_kernelINS0_13kernel_configILj256ELj4ELj4294967295EEENS1_37radix_sort_block_sort_config_selectorIaNS0_10empty_typeEEEZNS1_21radix_sort_block_sortIS4_Lb0EPKaPaPS6_SC_NS0_19identity_decomposerEEE10hipError_tT1_T2_T3_T4_jRjT5_jjP12ihipStream_tbEUlT_E_NS1_11comp_targetILNS1_3genE10ELNS1_11target_archE1201ELNS1_3gpuE5ELNS1_3repE0EEENS1_44radix_sort_block_sort_config_static_selectorELNS0_4arch9wavefront6targetE0EEEvSF_
                                        ; -- End function
	.set _ZN7rocprim17ROCPRIM_400000_NS6detail17trampoline_kernelINS0_13kernel_configILj256ELj4ELj4294967295EEENS1_37radix_sort_block_sort_config_selectorIaNS0_10empty_typeEEEZNS1_21radix_sort_block_sortIS4_Lb0EPKaPaPS6_SC_NS0_19identity_decomposerEEE10hipError_tT1_T2_T3_T4_jRjT5_jjP12ihipStream_tbEUlT_E_NS1_11comp_targetILNS1_3genE10ELNS1_11target_archE1201ELNS1_3gpuE5ELNS1_3repE0EEENS1_44radix_sort_block_sort_config_static_selectorELNS0_4arch9wavefront6targetE0EEEvSF_.num_vgpr, 0
	.set _ZN7rocprim17ROCPRIM_400000_NS6detail17trampoline_kernelINS0_13kernel_configILj256ELj4ELj4294967295EEENS1_37radix_sort_block_sort_config_selectorIaNS0_10empty_typeEEEZNS1_21radix_sort_block_sortIS4_Lb0EPKaPaPS6_SC_NS0_19identity_decomposerEEE10hipError_tT1_T2_T3_T4_jRjT5_jjP12ihipStream_tbEUlT_E_NS1_11comp_targetILNS1_3genE10ELNS1_11target_archE1201ELNS1_3gpuE5ELNS1_3repE0EEENS1_44radix_sort_block_sort_config_static_selectorELNS0_4arch9wavefront6targetE0EEEvSF_.num_agpr, 0
	.set _ZN7rocprim17ROCPRIM_400000_NS6detail17trampoline_kernelINS0_13kernel_configILj256ELj4ELj4294967295EEENS1_37radix_sort_block_sort_config_selectorIaNS0_10empty_typeEEEZNS1_21radix_sort_block_sortIS4_Lb0EPKaPaPS6_SC_NS0_19identity_decomposerEEE10hipError_tT1_T2_T3_T4_jRjT5_jjP12ihipStream_tbEUlT_E_NS1_11comp_targetILNS1_3genE10ELNS1_11target_archE1201ELNS1_3gpuE5ELNS1_3repE0EEENS1_44radix_sort_block_sort_config_static_selectorELNS0_4arch9wavefront6targetE0EEEvSF_.numbered_sgpr, 0
	.set _ZN7rocprim17ROCPRIM_400000_NS6detail17trampoline_kernelINS0_13kernel_configILj256ELj4ELj4294967295EEENS1_37radix_sort_block_sort_config_selectorIaNS0_10empty_typeEEEZNS1_21radix_sort_block_sortIS4_Lb0EPKaPaPS6_SC_NS0_19identity_decomposerEEE10hipError_tT1_T2_T3_T4_jRjT5_jjP12ihipStream_tbEUlT_E_NS1_11comp_targetILNS1_3genE10ELNS1_11target_archE1201ELNS1_3gpuE5ELNS1_3repE0EEENS1_44radix_sort_block_sort_config_static_selectorELNS0_4arch9wavefront6targetE0EEEvSF_.num_named_barrier, 0
	.set _ZN7rocprim17ROCPRIM_400000_NS6detail17trampoline_kernelINS0_13kernel_configILj256ELj4ELj4294967295EEENS1_37radix_sort_block_sort_config_selectorIaNS0_10empty_typeEEEZNS1_21radix_sort_block_sortIS4_Lb0EPKaPaPS6_SC_NS0_19identity_decomposerEEE10hipError_tT1_T2_T3_T4_jRjT5_jjP12ihipStream_tbEUlT_E_NS1_11comp_targetILNS1_3genE10ELNS1_11target_archE1201ELNS1_3gpuE5ELNS1_3repE0EEENS1_44radix_sort_block_sort_config_static_selectorELNS0_4arch9wavefront6targetE0EEEvSF_.private_seg_size, 0
	.set _ZN7rocprim17ROCPRIM_400000_NS6detail17trampoline_kernelINS0_13kernel_configILj256ELj4ELj4294967295EEENS1_37radix_sort_block_sort_config_selectorIaNS0_10empty_typeEEEZNS1_21radix_sort_block_sortIS4_Lb0EPKaPaPS6_SC_NS0_19identity_decomposerEEE10hipError_tT1_T2_T3_T4_jRjT5_jjP12ihipStream_tbEUlT_E_NS1_11comp_targetILNS1_3genE10ELNS1_11target_archE1201ELNS1_3gpuE5ELNS1_3repE0EEENS1_44radix_sort_block_sort_config_static_selectorELNS0_4arch9wavefront6targetE0EEEvSF_.uses_vcc, 0
	.set _ZN7rocprim17ROCPRIM_400000_NS6detail17trampoline_kernelINS0_13kernel_configILj256ELj4ELj4294967295EEENS1_37radix_sort_block_sort_config_selectorIaNS0_10empty_typeEEEZNS1_21radix_sort_block_sortIS4_Lb0EPKaPaPS6_SC_NS0_19identity_decomposerEEE10hipError_tT1_T2_T3_T4_jRjT5_jjP12ihipStream_tbEUlT_E_NS1_11comp_targetILNS1_3genE10ELNS1_11target_archE1201ELNS1_3gpuE5ELNS1_3repE0EEENS1_44radix_sort_block_sort_config_static_selectorELNS0_4arch9wavefront6targetE0EEEvSF_.uses_flat_scratch, 0
	.set _ZN7rocprim17ROCPRIM_400000_NS6detail17trampoline_kernelINS0_13kernel_configILj256ELj4ELj4294967295EEENS1_37radix_sort_block_sort_config_selectorIaNS0_10empty_typeEEEZNS1_21radix_sort_block_sortIS4_Lb0EPKaPaPS6_SC_NS0_19identity_decomposerEEE10hipError_tT1_T2_T3_T4_jRjT5_jjP12ihipStream_tbEUlT_E_NS1_11comp_targetILNS1_3genE10ELNS1_11target_archE1201ELNS1_3gpuE5ELNS1_3repE0EEENS1_44radix_sort_block_sort_config_static_selectorELNS0_4arch9wavefront6targetE0EEEvSF_.has_dyn_sized_stack, 0
	.set _ZN7rocprim17ROCPRIM_400000_NS6detail17trampoline_kernelINS0_13kernel_configILj256ELj4ELj4294967295EEENS1_37radix_sort_block_sort_config_selectorIaNS0_10empty_typeEEEZNS1_21radix_sort_block_sortIS4_Lb0EPKaPaPS6_SC_NS0_19identity_decomposerEEE10hipError_tT1_T2_T3_T4_jRjT5_jjP12ihipStream_tbEUlT_E_NS1_11comp_targetILNS1_3genE10ELNS1_11target_archE1201ELNS1_3gpuE5ELNS1_3repE0EEENS1_44radix_sort_block_sort_config_static_selectorELNS0_4arch9wavefront6targetE0EEEvSF_.has_recursion, 0
	.set _ZN7rocprim17ROCPRIM_400000_NS6detail17trampoline_kernelINS0_13kernel_configILj256ELj4ELj4294967295EEENS1_37radix_sort_block_sort_config_selectorIaNS0_10empty_typeEEEZNS1_21radix_sort_block_sortIS4_Lb0EPKaPaPS6_SC_NS0_19identity_decomposerEEE10hipError_tT1_T2_T3_T4_jRjT5_jjP12ihipStream_tbEUlT_E_NS1_11comp_targetILNS1_3genE10ELNS1_11target_archE1201ELNS1_3gpuE5ELNS1_3repE0EEENS1_44radix_sort_block_sort_config_static_selectorELNS0_4arch9wavefront6targetE0EEEvSF_.has_indirect_call, 0
	.section	.AMDGPU.csdata,"",@progbits
; Kernel info:
; codeLenInByte = 0
; TotalNumSgprs: 0
; NumVgprs: 0
; ScratchSize: 0
; MemoryBound: 0
; FloatMode: 240
; IeeeMode: 1
; LDSByteSize: 0 bytes/workgroup (compile time only)
; SGPRBlocks: 0
; VGPRBlocks: 0
; NumSGPRsForWavesPerEU: 1
; NumVGPRsForWavesPerEU: 1
; NamedBarCnt: 0
; Occupancy: 16
; WaveLimiterHint : 0
; COMPUTE_PGM_RSRC2:SCRATCH_EN: 0
; COMPUTE_PGM_RSRC2:USER_SGPR: 2
; COMPUTE_PGM_RSRC2:TRAP_HANDLER: 0
; COMPUTE_PGM_RSRC2:TGID_X_EN: 1
; COMPUTE_PGM_RSRC2:TGID_Y_EN: 0
; COMPUTE_PGM_RSRC2:TGID_Z_EN: 0
; COMPUTE_PGM_RSRC2:TIDIG_COMP_CNT: 0
	.section	.text._ZN7rocprim17ROCPRIM_400000_NS6detail17trampoline_kernelINS0_13kernel_configILj256ELj4ELj4294967295EEENS1_37radix_sort_block_sort_config_selectorIaNS0_10empty_typeEEEZNS1_21radix_sort_block_sortIS4_Lb0EPKaPaPS6_SC_NS0_19identity_decomposerEEE10hipError_tT1_T2_T3_T4_jRjT5_jjP12ihipStream_tbEUlT_E_NS1_11comp_targetILNS1_3genE10ELNS1_11target_archE1200ELNS1_3gpuE4ELNS1_3repE0EEENS1_44radix_sort_block_sort_config_static_selectorELNS0_4arch9wavefront6targetE0EEEvSF_,"axG",@progbits,_ZN7rocprim17ROCPRIM_400000_NS6detail17trampoline_kernelINS0_13kernel_configILj256ELj4ELj4294967295EEENS1_37radix_sort_block_sort_config_selectorIaNS0_10empty_typeEEEZNS1_21radix_sort_block_sortIS4_Lb0EPKaPaPS6_SC_NS0_19identity_decomposerEEE10hipError_tT1_T2_T3_T4_jRjT5_jjP12ihipStream_tbEUlT_E_NS1_11comp_targetILNS1_3genE10ELNS1_11target_archE1200ELNS1_3gpuE4ELNS1_3repE0EEENS1_44radix_sort_block_sort_config_static_selectorELNS0_4arch9wavefront6targetE0EEEvSF_,comdat
	.protected	_ZN7rocprim17ROCPRIM_400000_NS6detail17trampoline_kernelINS0_13kernel_configILj256ELj4ELj4294967295EEENS1_37radix_sort_block_sort_config_selectorIaNS0_10empty_typeEEEZNS1_21radix_sort_block_sortIS4_Lb0EPKaPaPS6_SC_NS0_19identity_decomposerEEE10hipError_tT1_T2_T3_T4_jRjT5_jjP12ihipStream_tbEUlT_E_NS1_11comp_targetILNS1_3genE10ELNS1_11target_archE1200ELNS1_3gpuE4ELNS1_3repE0EEENS1_44radix_sort_block_sort_config_static_selectorELNS0_4arch9wavefront6targetE0EEEvSF_ ; -- Begin function _ZN7rocprim17ROCPRIM_400000_NS6detail17trampoline_kernelINS0_13kernel_configILj256ELj4ELj4294967295EEENS1_37radix_sort_block_sort_config_selectorIaNS0_10empty_typeEEEZNS1_21radix_sort_block_sortIS4_Lb0EPKaPaPS6_SC_NS0_19identity_decomposerEEE10hipError_tT1_T2_T3_T4_jRjT5_jjP12ihipStream_tbEUlT_E_NS1_11comp_targetILNS1_3genE10ELNS1_11target_archE1200ELNS1_3gpuE4ELNS1_3repE0EEENS1_44radix_sort_block_sort_config_static_selectorELNS0_4arch9wavefront6targetE0EEEvSF_
	.globl	_ZN7rocprim17ROCPRIM_400000_NS6detail17trampoline_kernelINS0_13kernel_configILj256ELj4ELj4294967295EEENS1_37radix_sort_block_sort_config_selectorIaNS0_10empty_typeEEEZNS1_21radix_sort_block_sortIS4_Lb0EPKaPaPS6_SC_NS0_19identity_decomposerEEE10hipError_tT1_T2_T3_T4_jRjT5_jjP12ihipStream_tbEUlT_E_NS1_11comp_targetILNS1_3genE10ELNS1_11target_archE1200ELNS1_3gpuE4ELNS1_3repE0EEENS1_44radix_sort_block_sort_config_static_selectorELNS0_4arch9wavefront6targetE0EEEvSF_
	.p2align	8
	.type	_ZN7rocprim17ROCPRIM_400000_NS6detail17trampoline_kernelINS0_13kernel_configILj256ELj4ELj4294967295EEENS1_37radix_sort_block_sort_config_selectorIaNS0_10empty_typeEEEZNS1_21radix_sort_block_sortIS4_Lb0EPKaPaPS6_SC_NS0_19identity_decomposerEEE10hipError_tT1_T2_T3_T4_jRjT5_jjP12ihipStream_tbEUlT_E_NS1_11comp_targetILNS1_3genE10ELNS1_11target_archE1200ELNS1_3gpuE4ELNS1_3repE0EEENS1_44radix_sort_block_sort_config_static_selectorELNS0_4arch9wavefront6targetE0EEEvSF_,@function
_ZN7rocprim17ROCPRIM_400000_NS6detail17trampoline_kernelINS0_13kernel_configILj256ELj4ELj4294967295EEENS1_37radix_sort_block_sort_config_selectorIaNS0_10empty_typeEEEZNS1_21radix_sort_block_sortIS4_Lb0EPKaPaPS6_SC_NS0_19identity_decomposerEEE10hipError_tT1_T2_T3_T4_jRjT5_jjP12ihipStream_tbEUlT_E_NS1_11comp_targetILNS1_3genE10ELNS1_11target_archE1200ELNS1_3gpuE4ELNS1_3repE0EEENS1_44radix_sort_block_sort_config_static_selectorELNS0_4arch9wavefront6targetE0EEEvSF_: ; @_ZN7rocprim17ROCPRIM_400000_NS6detail17trampoline_kernelINS0_13kernel_configILj256ELj4ELj4294967295EEENS1_37radix_sort_block_sort_config_selectorIaNS0_10empty_typeEEEZNS1_21radix_sort_block_sortIS4_Lb0EPKaPaPS6_SC_NS0_19identity_decomposerEEE10hipError_tT1_T2_T3_T4_jRjT5_jjP12ihipStream_tbEUlT_E_NS1_11comp_targetILNS1_3genE10ELNS1_11target_archE1200ELNS1_3gpuE4ELNS1_3repE0EEENS1_44radix_sort_block_sort_config_static_selectorELNS0_4arch9wavefront6targetE0EEEvSF_
; %bb.0:
	.section	.rodata,"a",@progbits
	.p2align	6, 0x0
	.amdhsa_kernel _ZN7rocprim17ROCPRIM_400000_NS6detail17trampoline_kernelINS0_13kernel_configILj256ELj4ELj4294967295EEENS1_37radix_sort_block_sort_config_selectorIaNS0_10empty_typeEEEZNS1_21radix_sort_block_sortIS4_Lb0EPKaPaPS6_SC_NS0_19identity_decomposerEEE10hipError_tT1_T2_T3_T4_jRjT5_jjP12ihipStream_tbEUlT_E_NS1_11comp_targetILNS1_3genE10ELNS1_11target_archE1200ELNS1_3gpuE4ELNS1_3repE0EEENS1_44radix_sort_block_sort_config_static_selectorELNS0_4arch9wavefront6targetE0EEEvSF_
		.amdhsa_group_segment_fixed_size 0
		.amdhsa_private_segment_fixed_size 0
		.amdhsa_kernarg_size 48
		.amdhsa_user_sgpr_count 2
		.amdhsa_user_sgpr_dispatch_ptr 0
		.amdhsa_user_sgpr_queue_ptr 0
		.amdhsa_user_sgpr_kernarg_segment_ptr 1
		.amdhsa_user_sgpr_dispatch_id 0
		.amdhsa_user_sgpr_kernarg_preload_length 0
		.amdhsa_user_sgpr_kernarg_preload_offset 0
		.amdhsa_user_sgpr_private_segment_size 0
		.amdhsa_wavefront_size32 1
		.amdhsa_uses_dynamic_stack 0
		.amdhsa_enable_private_segment 0
		.amdhsa_system_sgpr_workgroup_id_x 1
		.amdhsa_system_sgpr_workgroup_id_y 0
		.amdhsa_system_sgpr_workgroup_id_z 0
		.amdhsa_system_sgpr_workgroup_info 0
		.amdhsa_system_vgpr_workitem_id 0
		.amdhsa_next_free_vgpr 1
		.amdhsa_next_free_sgpr 1
		.amdhsa_named_barrier_count 0
		.amdhsa_reserve_vcc 0
		.amdhsa_float_round_mode_32 0
		.amdhsa_float_round_mode_16_64 0
		.amdhsa_float_denorm_mode_32 3
		.amdhsa_float_denorm_mode_16_64 3
		.amdhsa_fp16_overflow 0
		.amdhsa_memory_ordered 1
		.amdhsa_forward_progress 1
		.amdhsa_inst_pref_size 0
		.amdhsa_round_robin_scheduling 0
		.amdhsa_exception_fp_ieee_invalid_op 0
		.amdhsa_exception_fp_denorm_src 0
		.amdhsa_exception_fp_ieee_div_zero 0
		.amdhsa_exception_fp_ieee_overflow 0
		.amdhsa_exception_fp_ieee_underflow 0
		.amdhsa_exception_fp_ieee_inexact 0
		.amdhsa_exception_int_div_zero 0
	.end_amdhsa_kernel
	.section	.text._ZN7rocprim17ROCPRIM_400000_NS6detail17trampoline_kernelINS0_13kernel_configILj256ELj4ELj4294967295EEENS1_37radix_sort_block_sort_config_selectorIaNS0_10empty_typeEEEZNS1_21radix_sort_block_sortIS4_Lb0EPKaPaPS6_SC_NS0_19identity_decomposerEEE10hipError_tT1_T2_T3_T4_jRjT5_jjP12ihipStream_tbEUlT_E_NS1_11comp_targetILNS1_3genE10ELNS1_11target_archE1200ELNS1_3gpuE4ELNS1_3repE0EEENS1_44radix_sort_block_sort_config_static_selectorELNS0_4arch9wavefront6targetE0EEEvSF_,"axG",@progbits,_ZN7rocprim17ROCPRIM_400000_NS6detail17trampoline_kernelINS0_13kernel_configILj256ELj4ELj4294967295EEENS1_37radix_sort_block_sort_config_selectorIaNS0_10empty_typeEEEZNS1_21radix_sort_block_sortIS4_Lb0EPKaPaPS6_SC_NS0_19identity_decomposerEEE10hipError_tT1_T2_T3_T4_jRjT5_jjP12ihipStream_tbEUlT_E_NS1_11comp_targetILNS1_3genE10ELNS1_11target_archE1200ELNS1_3gpuE4ELNS1_3repE0EEENS1_44radix_sort_block_sort_config_static_selectorELNS0_4arch9wavefront6targetE0EEEvSF_,comdat
.Lfunc_end397:
	.size	_ZN7rocprim17ROCPRIM_400000_NS6detail17trampoline_kernelINS0_13kernel_configILj256ELj4ELj4294967295EEENS1_37radix_sort_block_sort_config_selectorIaNS0_10empty_typeEEEZNS1_21radix_sort_block_sortIS4_Lb0EPKaPaPS6_SC_NS0_19identity_decomposerEEE10hipError_tT1_T2_T3_T4_jRjT5_jjP12ihipStream_tbEUlT_E_NS1_11comp_targetILNS1_3genE10ELNS1_11target_archE1200ELNS1_3gpuE4ELNS1_3repE0EEENS1_44radix_sort_block_sort_config_static_selectorELNS0_4arch9wavefront6targetE0EEEvSF_, .Lfunc_end397-_ZN7rocprim17ROCPRIM_400000_NS6detail17trampoline_kernelINS0_13kernel_configILj256ELj4ELj4294967295EEENS1_37radix_sort_block_sort_config_selectorIaNS0_10empty_typeEEEZNS1_21radix_sort_block_sortIS4_Lb0EPKaPaPS6_SC_NS0_19identity_decomposerEEE10hipError_tT1_T2_T3_T4_jRjT5_jjP12ihipStream_tbEUlT_E_NS1_11comp_targetILNS1_3genE10ELNS1_11target_archE1200ELNS1_3gpuE4ELNS1_3repE0EEENS1_44radix_sort_block_sort_config_static_selectorELNS0_4arch9wavefront6targetE0EEEvSF_
                                        ; -- End function
	.set _ZN7rocprim17ROCPRIM_400000_NS6detail17trampoline_kernelINS0_13kernel_configILj256ELj4ELj4294967295EEENS1_37radix_sort_block_sort_config_selectorIaNS0_10empty_typeEEEZNS1_21radix_sort_block_sortIS4_Lb0EPKaPaPS6_SC_NS0_19identity_decomposerEEE10hipError_tT1_T2_T3_T4_jRjT5_jjP12ihipStream_tbEUlT_E_NS1_11comp_targetILNS1_3genE10ELNS1_11target_archE1200ELNS1_3gpuE4ELNS1_3repE0EEENS1_44radix_sort_block_sort_config_static_selectorELNS0_4arch9wavefront6targetE0EEEvSF_.num_vgpr, 0
	.set _ZN7rocprim17ROCPRIM_400000_NS6detail17trampoline_kernelINS0_13kernel_configILj256ELj4ELj4294967295EEENS1_37radix_sort_block_sort_config_selectorIaNS0_10empty_typeEEEZNS1_21radix_sort_block_sortIS4_Lb0EPKaPaPS6_SC_NS0_19identity_decomposerEEE10hipError_tT1_T2_T3_T4_jRjT5_jjP12ihipStream_tbEUlT_E_NS1_11comp_targetILNS1_3genE10ELNS1_11target_archE1200ELNS1_3gpuE4ELNS1_3repE0EEENS1_44radix_sort_block_sort_config_static_selectorELNS0_4arch9wavefront6targetE0EEEvSF_.num_agpr, 0
	.set _ZN7rocprim17ROCPRIM_400000_NS6detail17trampoline_kernelINS0_13kernel_configILj256ELj4ELj4294967295EEENS1_37radix_sort_block_sort_config_selectorIaNS0_10empty_typeEEEZNS1_21radix_sort_block_sortIS4_Lb0EPKaPaPS6_SC_NS0_19identity_decomposerEEE10hipError_tT1_T2_T3_T4_jRjT5_jjP12ihipStream_tbEUlT_E_NS1_11comp_targetILNS1_3genE10ELNS1_11target_archE1200ELNS1_3gpuE4ELNS1_3repE0EEENS1_44radix_sort_block_sort_config_static_selectorELNS0_4arch9wavefront6targetE0EEEvSF_.numbered_sgpr, 0
	.set _ZN7rocprim17ROCPRIM_400000_NS6detail17trampoline_kernelINS0_13kernel_configILj256ELj4ELj4294967295EEENS1_37radix_sort_block_sort_config_selectorIaNS0_10empty_typeEEEZNS1_21radix_sort_block_sortIS4_Lb0EPKaPaPS6_SC_NS0_19identity_decomposerEEE10hipError_tT1_T2_T3_T4_jRjT5_jjP12ihipStream_tbEUlT_E_NS1_11comp_targetILNS1_3genE10ELNS1_11target_archE1200ELNS1_3gpuE4ELNS1_3repE0EEENS1_44radix_sort_block_sort_config_static_selectorELNS0_4arch9wavefront6targetE0EEEvSF_.num_named_barrier, 0
	.set _ZN7rocprim17ROCPRIM_400000_NS6detail17trampoline_kernelINS0_13kernel_configILj256ELj4ELj4294967295EEENS1_37radix_sort_block_sort_config_selectorIaNS0_10empty_typeEEEZNS1_21radix_sort_block_sortIS4_Lb0EPKaPaPS6_SC_NS0_19identity_decomposerEEE10hipError_tT1_T2_T3_T4_jRjT5_jjP12ihipStream_tbEUlT_E_NS1_11comp_targetILNS1_3genE10ELNS1_11target_archE1200ELNS1_3gpuE4ELNS1_3repE0EEENS1_44radix_sort_block_sort_config_static_selectorELNS0_4arch9wavefront6targetE0EEEvSF_.private_seg_size, 0
	.set _ZN7rocprim17ROCPRIM_400000_NS6detail17trampoline_kernelINS0_13kernel_configILj256ELj4ELj4294967295EEENS1_37radix_sort_block_sort_config_selectorIaNS0_10empty_typeEEEZNS1_21radix_sort_block_sortIS4_Lb0EPKaPaPS6_SC_NS0_19identity_decomposerEEE10hipError_tT1_T2_T3_T4_jRjT5_jjP12ihipStream_tbEUlT_E_NS1_11comp_targetILNS1_3genE10ELNS1_11target_archE1200ELNS1_3gpuE4ELNS1_3repE0EEENS1_44radix_sort_block_sort_config_static_selectorELNS0_4arch9wavefront6targetE0EEEvSF_.uses_vcc, 0
	.set _ZN7rocprim17ROCPRIM_400000_NS6detail17trampoline_kernelINS0_13kernel_configILj256ELj4ELj4294967295EEENS1_37radix_sort_block_sort_config_selectorIaNS0_10empty_typeEEEZNS1_21radix_sort_block_sortIS4_Lb0EPKaPaPS6_SC_NS0_19identity_decomposerEEE10hipError_tT1_T2_T3_T4_jRjT5_jjP12ihipStream_tbEUlT_E_NS1_11comp_targetILNS1_3genE10ELNS1_11target_archE1200ELNS1_3gpuE4ELNS1_3repE0EEENS1_44radix_sort_block_sort_config_static_selectorELNS0_4arch9wavefront6targetE0EEEvSF_.uses_flat_scratch, 0
	.set _ZN7rocprim17ROCPRIM_400000_NS6detail17trampoline_kernelINS0_13kernel_configILj256ELj4ELj4294967295EEENS1_37radix_sort_block_sort_config_selectorIaNS0_10empty_typeEEEZNS1_21radix_sort_block_sortIS4_Lb0EPKaPaPS6_SC_NS0_19identity_decomposerEEE10hipError_tT1_T2_T3_T4_jRjT5_jjP12ihipStream_tbEUlT_E_NS1_11comp_targetILNS1_3genE10ELNS1_11target_archE1200ELNS1_3gpuE4ELNS1_3repE0EEENS1_44radix_sort_block_sort_config_static_selectorELNS0_4arch9wavefront6targetE0EEEvSF_.has_dyn_sized_stack, 0
	.set _ZN7rocprim17ROCPRIM_400000_NS6detail17trampoline_kernelINS0_13kernel_configILj256ELj4ELj4294967295EEENS1_37radix_sort_block_sort_config_selectorIaNS0_10empty_typeEEEZNS1_21radix_sort_block_sortIS4_Lb0EPKaPaPS6_SC_NS0_19identity_decomposerEEE10hipError_tT1_T2_T3_T4_jRjT5_jjP12ihipStream_tbEUlT_E_NS1_11comp_targetILNS1_3genE10ELNS1_11target_archE1200ELNS1_3gpuE4ELNS1_3repE0EEENS1_44radix_sort_block_sort_config_static_selectorELNS0_4arch9wavefront6targetE0EEEvSF_.has_recursion, 0
	.set _ZN7rocprim17ROCPRIM_400000_NS6detail17trampoline_kernelINS0_13kernel_configILj256ELj4ELj4294967295EEENS1_37radix_sort_block_sort_config_selectorIaNS0_10empty_typeEEEZNS1_21radix_sort_block_sortIS4_Lb0EPKaPaPS6_SC_NS0_19identity_decomposerEEE10hipError_tT1_T2_T3_T4_jRjT5_jjP12ihipStream_tbEUlT_E_NS1_11comp_targetILNS1_3genE10ELNS1_11target_archE1200ELNS1_3gpuE4ELNS1_3repE0EEENS1_44radix_sort_block_sort_config_static_selectorELNS0_4arch9wavefront6targetE0EEEvSF_.has_indirect_call, 0
	.section	.AMDGPU.csdata,"",@progbits
; Kernel info:
; codeLenInByte = 0
; TotalNumSgprs: 0
; NumVgprs: 0
; ScratchSize: 0
; MemoryBound: 0
; FloatMode: 240
; IeeeMode: 1
; LDSByteSize: 0 bytes/workgroup (compile time only)
; SGPRBlocks: 0
; VGPRBlocks: 0
; NumSGPRsForWavesPerEU: 1
; NumVGPRsForWavesPerEU: 1
; NamedBarCnt: 0
; Occupancy: 16
; WaveLimiterHint : 0
; COMPUTE_PGM_RSRC2:SCRATCH_EN: 0
; COMPUTE_PGM_RSRC2:USER_SGPR: 2
; COMPUTE_PGM_RSRC2:TRAP_HANDLER: 0
; COMPUTE_PGM_RSRC2:TGID_X_EN: 1
; COMPUTE_PGM_RSRC2:TGID_Y_EN: 0
; COMPUTE_PGM_RSRC2:TGID_Z_EN: 0
; COMPUTE_PGM_RSRC2:TIDIG_COMP_CNT: 0
	.section	.text._ZN7rocprim17ROCPRIM_400000_NS6detail17trampoline_kernelINS0_13kernel_configILj256ELj4ELj4294967295EEENS1_37radix_sort_block_sort_config_selectorIaNS0_10empty_typeEEEZNS1_21radix_sort_block_sortIS4_Lb0EPKaPaPS6_SC_NS0_19identity_decomposerEEE10hipError_tT1_T2_T3_T4_jRjT5_jjP12ihipStream_tbEUlT_E_NS1_11comp_targetILNS1_3genE9ELNS1_11target_archE1100ELNS1_3gpuE3ELNS1_3repE0EEENS1_44radix_sort_block_sort_config_static_selectorELNS0_4arch9wavefront6targetE0EEEvSF_,"axG",@progbits,_ZN7rocprim17ROCPRIM_400000_NS6detail17trampoline_kernelINS0_13kernel_configILj256ELj4ELj4294967295EEENS1_37radix_sort_block_sort_config_selectorIaNS0_10empty_typeEEEZNS1_21radix_sort_block_sortIS4_Lb0EPKaPaPS6_SC_NS0_19identity_decomposerEEE10hipError_tT1_T2_T3_T4_jRjT5_jjP12ihipStream_tbEUlT_E_NS1_11comp_targetILNS1_3genE9ELNS1_11target_archE1100ELNS1_3gpuE3ELNS1_3repE0EEENS1_44radix_sort_block_sort_config_static_selectorELNS0_4arch9wavefront6targetE0EEEvSF_,comdat
	.protected	_ZN7rocprim17ROCPRIM_400000_NS6detail17trampoline_kernelINS0_13kernel_configILj256ELj4ELj4294967295EEENS1_37radix_sort_block_sort_config_selectorIaNS0_10empty_typeEEEZNS1_21radix_sort_block_sortIS4_Lb0EPKaPaPS6_SC_NS0_19identity_decomposerEEE10hipError_tT1_T2_T3_T4_jRjT5_jjP12ihipStream_tbEUlT_E_NS1_11comp_targetILNS1_3genE9ELNS1_11target_archE1100ELNS1_3gpuE3ELNS1_3repE0EEENS1_44radix_sort_block_sort_config_static_selectorELNS0_4arch9wavefront6targetE0EEEvSF_ ; -- Begin function _ZN7rocprim17ROCPRIM_400000_NS6detail17trampoline_kernelINS0_13kernel_configILj256ELj4ELj4294967295EEENS1_37radix_sort_block_sort_config_selectorIaNS0_10empty_typeEEEZNS1_21radix_sort_block_sortIS4_Lb0EPKaPaPS6_SC_NS0_19identity_decomposerEEE10hipError_tT1_T2_T3_T4_jRjT5_jjP12ihipStream_tbEUlT_E_NS1_11comp_targetILNS1_3genE9ELNS1_11target_archE1100ELNS1_3gpuE3ELNS1_3repE0EEENS1_44radix_sort_block_sort_config_static_selectorELNS0_4arch9wavefront6targetE0EEEvSF_
	.globl	_ZN7rocprim17ROCPRIM_400000_NS6detail17trampoline_kernelINS0_13kernel_configILj256ELj4ELj4294967295EEENS1_37radix_sort_block_sort_config_selectorIaNS0_10empty_typeEEEZNS1_21radix_sort_block_sortIS4_Lb0EPKaPaPS6_SC_NS0_19identity_decomposerEEE10hipError_tT1_T2_T3_T4_jRjT5_jjP12ihipStream_tbEUlT_E_NS1_11comp_targetILNS1_3genE9ELNS1_11target_archE1100ELNS1_3gpuE3ELNS1_3repE0EEENS1_44radix_sort_block_sort_config_static_selectorELNS0_4arch9wavefront6targetE0EEEvSF_
	.p2align	8
	.type	_ZN7rocprim17ROCPRIM_400000_NS6detail17trampoline_kernelINS0_13kernel_configILj256ELj4ELj4294967295EEENS1_37radix_sort_block_sort_config_selectorIaNS0_10empty_typeEEEZNS1_21radix_sort_block_sortIS4_Lb0EPKaPaPS6_SC_NS0_19identity_decomposerEEE10hipError_tT1_T2_T3_T4_jRjT5_jjP12ihipStream_tbEUlT_E_NS1_11comp_targetILNS1_3genE9ELNS1_11target_archE1100ELNS1_3gpuE3ELNS1_3repE0EEENS1_44radix_sort_block_sort_config_static_selectorELNS0_4arch9wavefront6targetE0EEEvSF_,@function
_ZN7rocprim17ROCPRIM_400000_NS6detail17trampoline_kernelINS0_13kernel_configILj256ELj4ELj4294967295EEENS1_37radix_sort_block_sort_config_selectorIaNS0_10empty_typeEEEZNS1_21radix_sort_block_sortIS4_Lb0EPKaPaPS6_SC_NS0_19identity_decomposerEEE10hipError_tT1_T2_T3_T4_jRjT5_jjP12ihipStream_tbEUlT_E_NS1_11comp_targetILNS1_3genE9ELNS1_11target_archE1100ELNS1_3gpuE3ELNS1_3repE0EEENS1_44radix_sort_block_sort_config_static_selectorELNS0_4arch9wavefront6targetE0EEEvSF_: ; @_ZN7rocprim17ROCPRIM_400000_NS6detail17trampoline_kernelINS0_13kernel_configILj256ELj4ELj4294967295EEENS1_37radix_sort_block_sort_config_selectorIaNS0_10empty_typeEEEZNS1_21radix_sort_block_sortIS4_Lb0EPKaPaPS6_SC_NS0_19identity_decomposerEEE10hipError_tT1_T2_T3_T4_jRjT5_jjP12ihipStream_tbEUlT_E_NS1_11comp_targetILNS1_3genE9ELNS1_11target_archE1100ELNS1_3gpuE3ELNS1_3repE0EEENS1_44radix_sort_block_sort_config_static_selectorELNS0_4arch9wavefront6targetE0EEEvSF_
; %bb.0:
	.section	.rodata,"a",@progbits
	.p2align	6, 0x0
	.amdhsa_kernel _ZN7rocprim17ROCPRIM_400000_NS6detail17trampoline_kernelINS0_13kernel_configILj256ELj4ELj4294967295EEENS1_37radix_sort_block_sort_config_selectorIaNS0_10empty_typeEEEZNS1_21radix_sort_block_sortIS4_Lb0EPKaPaPS6_SC_NS0_19identity_decomposerEEE10hipError_tT1_T2_T3_T4_jRjT5_jjP12ihipStream_tbEUlT_E_NS1_11comp_targetILNS1_3genE9ELNS1_11target_archE1100ELNS1_3gpuE3ELNS1_3repE0EEENS1_44radix_sort_block_sort_config_static_selectorELNS0_4arch9wavefront6targetE0EEEvSF_
		.amdhsa_group_segment_fixed_size 0
		.amdhsa_private_segment_fixed_size 0
		.amdhsa_kernarg_size 48
		.amdhsa_user_sgpr_count 2
		.amdhsa_user_sgpr_dispatch_ptr 0
		.amdhsa_user_sgpr_queue_ptr 0
		.amdhsa_user_sgpr_kernarg_segment_ptr 1
		.amdhsa_user_sgpr_dispatch_id 0
		.amdhsa_user_sgpr_kernarg_preload_length 0
		.amdhsa_user_sgpr_kernarg_preload_offset 0
		.amdhsa_user_sgpr_private_segment_size 0
		.amdhsa_wavefront_size32 1
		.amdhsa_uses_dynamic_stack 0
		.amdhsa_enable_private_segment 0
		.amdhsa_system_sgpr_workgroup_id_x 1
		.amdhsa_system_sgpr_workgroup_id_y 0
		.amdhsa_system_sgpr_workgroup_id_z 0
		.amdhsa_system_sgpr_workgroup_info 0
		.amdhsa_system_vgpr_workitem_id 0
		.amdhsa_next_free_vgpr 1
		.amdhsa_next_free_sgpr 1
		.amdhsa_named_barrier_count 0
		.amdhsa_reserve_vcc 0
		.amdhsa_float_round_mode_32 0
		.amdhsa_float_round_mode_16_64 0
		.amdhsa_float_denorm_mode_32 3
		.amdhsa_float_denorm_mode_16_64 3
		.amdhsa_fp16_overflow 0
		.amdhsa_memory_ordered 1
		.amdhsa_forward_progress 1
		.amdhsa_inst_pref_size 0
		.amdhsa_round_robin_scheduling 0
		.amdhsa_exception_fp_ieee_invalid_op 0
		.amdhsa_exception_fp_denorm_src 0
		.amdhsa_exception_fp_ieee_div_zero 0
		.amdhsa_exception_fp_ieee_overflow 0
		.amdhsa_exception_fp_ieee_underflow 0
		.amdhsa_exception_fp_ieee_inexact 0
		.amdhsa_exception_int_div_zero 0
	.end_amdhsa_kernel
	.section	.text._ZN7rocprim17ROCPRIM_400000_NS6detail17trampoline_kernelINS0_13kernel_configILj256ELj4ELj4294967295EEENS1_37radix_sort_block_sort_config_selectorIaNS0_10empty_typeEEEZNS1_21radix_sort_block_sortIS4_Lb0EPKaPaPS6_SC_NS0_19identity_decomposerEEE10hipError_tT1_T2_T3_T4_jRjT5_jjP12ihipStream_tbEUlT_E_NS1_11comp_targetILNS1_3genE9ELNS1_11target_archE1100ELNS1_3gpuE3ELNS1_3repE0EEENS1_44radix_sort_block_sort_config_static_selectorELNS0_4arch9wavefront6targetE0EEEvSF_,"axG",@progbits,_ZN7rocprim17ROCPRIM_400000_NS6detail17trampoline_kernelINS0_13kernel_configILj256ELj4ELj4294967295EEENS1_37radix_sort_block_sort_config_selectorIaNS0_10empty_typeEEEZNS1_21radix_sort_block_sortIS4_Lb0EPKaPaPS6_SC_NS0_19identity_decomposerEEE10hipError_tT1_T2_T3_T4_jRjT5_jjP12ihipStream_tbEUlT_E_NS1_11comp_targetILNS1_3genE9ELNS1_11target_archE1100ELNS1_3gpuE3ELNS1_3repE0EEENS1_44radix_sort_block_sort_config_static_selectorELNS0_4arch9wavefront6targetE0EEEvSF_,comdat
.Lfunc_end398:
	.size	_ZN7rocprim17ROCPRIM_400000_NS6detail17trampoline_kernelINS0_13kernel_configILj256ELj4ELj4294967295EEENS1_37radix_sort_block_sort_config_selectorIaNS0_10empty_typeEEEZNS1_21radix_sort_block_sortIS4_Lb0EPKaPaPS6_SC_NS0_19identity_decomposerEEE10hipError_tT1_T2_T3_T4_jRjT5_jjP12ihipStream_tbEUlT_E_NS1_11comp_targetILNS1_3genE9ELNS1_11target_archE1100ELNS1_3gpuE3ELNS1_3repE0EEENS1_44radix_sort_block_sort_config_static_selectorELNS0_4arch9wavefront6targetE0EEEvSF_, .Lfunc_end398-_ZN7rocprim17ROCPRIM_400000_NS6detail17trampoline_kernelINS0_13kernel_configILj256ELj4ELj4294967295EEENS1_37radix_sort_block_sort_config_selectorIaNS0_10empty_typeEEEZNS1_21radix_sort_block_sortIS4_Lb0EPKaPaPS6_SC_NS0_19identity_decomposerEEE10hipError_tT1_T2_T3_T4_jRjT5_jjP12ihipStream_tbEUlT_E_NS1_11comp_targetILNS1_3genE9ELNS1_11target_archE1100ELNS1_3gpuE3ELNS1_3repE0EEENS1_44radix_sort_block_sort_config_static_selectorELNS0_4arch9wavefront6targetE0EEEvSF_
                                        ; -- End function
	.set _ZN7rocprim17ROCPRIM_400000_NS6detail17trampoline_kernelINS0_13kernel_configILj256ELj4ELj4294967295EEENS1_37radix_sort_block_sort_config_selectorIaNS0_10empty_typeEEEZNS1_21radix_sort_block_sortIS4_Lb0EPKaPaPS6_SC_NS0_19identity_decomposerEEE10hipError_tT1_T2_T3_T4_jRjT5_jjP12ihipStream_tbEUlT_E_NS1_11comp_targetILNS1_3genE9ELNS1_11target_archE1100ELNS1_3gpuE3ELNS1_3repE0EEENS1_44radix_sort_block_sort_config_static_selectorELNS0_4arch9wavefront6targetE0EEEvSF_.num_vgpr, 0
	.set _ZN7rocprim17ROCPRIM_400000_NS6detail17trampoline_kernelINS0_13kernel_configILj256ELj4ELj4294967295EEENS1_37radix_sort_block_sort_config_selectorIaNS0_10empty_typeEEEZNS1_21radix_sort_block_sortIS4_Lb0EPKaPaPS6_SC_NS0_19identity_decomposerEEE10hipError_tT1_T2_T3_T4_jRjT5_jjP12ihipStream_tbEUlT_E_NS1_11comp_targetILNS1_3genE9ELNS1_11target_archE1100ELNS1_3gpuE3ELNS1_3repE0EEENS1_44radix_sort_block_sort_config_static_selectorELNS0_4arch9wavefront6targetE0EEEvSF_.num_agpr, 0
	.set _ZN7rocprim17ROCPRIM_400000_NS6detail17trampoline_kernelINS0_13kernel_configILj256ELj4ELj4294967295EEENS1_37radix_sort_block_sort_config_selectorIaNS0_10empty_typeEEEZNS1_21radix_sort_block_sortIS4_Lb0EPKaPaPS6_SC_NS0_19identity_decomposerEEE10hipError_tT1_T2_T3_T4_jRjT5_jjP12ihipStream_tbEUlT_E_NS1_11comp_targetILNS1_3genE9ELNS1_11target_archE1100ELNS1_3gpuE3ELNS1_3repE0EEENS1_44radix_sort_block_sort_config_static_selectorELNS0_4arch9wavefront6targetE0EEEvSF_.numbered_sgpr, 0
	.set _ZN7rocprim17ROCPRIM_400000_NS6detail17trampoline_kernelINS0_13kernel_configILj256ELj4ELj4294967295EEENS1_37radix_sort_block_sort_config_selectorIaNS0_10empty_typeEEEZNS1_21radix_sort_block_sortIS4_Lb0EPKaPaPS6_SC_NS0_19identity_decomposerEEE10hipError_tT1_T2_T3_T4_jRjT5_jjP12ihipStream_tbEUlT_E_NS1_11comp_targetILNS1_3genE9ELNS1_11target_archE1100ELNS1_3gpuE3ELNS1_3repE0EEENS1_44radix_sort_block_sort_config_static_selectorELNS0_4arch9wavefront6targetE0EEEvSF_.num_named_barrier, 0
	.set _ZN7rocprim17ROCPRIM_400000_NS6detail17trampoline_kernelINS0_13kernel_configILj256ELj4ELj4294967295EEENS1_37radix_sort_block_sort_config_selectorIaNS0_10empty_typeEEEZNS1_21radix_sort_block_sortIS4_Lb0EPKaPaPS6_SC_NS0_19identity_decomposerEEE10hipError_tT1_T2_T3_T4_jRjT5_jjP12ihipStream_tbEUlT_E_NS1_11comp_targetILNS1_3genE9ELNS1_11target_archE1100ELNS1_3gpuE3ELNS1_3repE0EEENS1_44radix_sort_block_sort_config_static_selectorELNS0_4arch9wavefront6targetE0EEEvSF_.private_seg_size, 0
	.set _ZN7rocprim17ROCPRIM_400000_NS6detail17trampoline_kernelINS0_13kernel_configILj256ELj4ELj4294967295EEENS1_37radix_sort_block_sort_config_selectorIaNS0_10empty_typeEEEZNS1_21radix_sort_block_sortIS4_Lb0EPKaPaPS6_SC_NS0_19identity_decomposerEEE10hipError_tT1_T2_T3_T4_jRjT5_jjP12ihipStream_tbEUlT_E_NS1_11comp_targetILNS1_3genE9ELNS1_11target_archE1100ELNS1_3gpuE3ELNS1_3repE0EEENS1_44radix_sort_block_sort_config_static_selectorELNS0_4arch9wavefront6targetE0EEEvSF_.uses_vcc, 0
	.set _ZN7rocprim17ROCPRIM_400000_NS6detail17trampoline_kernelINS0_13kernel_configILj256ELj4ELj4294967295EEENS1_37radix_sort_block_sort_config_selectorIaNS0_10empty_typeEEEZNS1_21radix_sort_block_sortIS4_Lb0EPKaPaPS6_SC_NS0_19identity_decomposerEEE10hipError_tT1_T2_T3_T4_jRjT5_jjP12ihipStream_tbEUlT_E_NS1_11comp_targetILNS1_3genE9ELNS1_11target_archE1100ELNS1_3gpuE3ELNS1_3repE0EEENS1_44radix_sort_block_sort_config_static_selectorELNS0_4arch9wavefront6targetE0EEEvSF_.uses_flat_scratch, 0
	.set _ZN7rocprim17ROCPRIM_400000_NS6detail17trampoline_kernelINS0_13kernel_configILj256ELj4ELj4294967295EEENS1_37radix_sort_block_sort_config_selectorIaNS0_10empty_typeEEEZNS1_21radix_sort_block_sortIS4_Lb0EPKaPaPS6_SC_NS0_19identity_decomposerEEE10hipError_tT1_T2_T3_T4_jRjT5_jjP12ihipStream_tbEUlT_E_NS1_11comp_targetILNS1_3genE9ELNS1_11target_archE1100ELNS1_3gpuE3ELNS1_3repE0EEENS1_44radix_sort_block_sort_config_static_selectorELNS0_4arch9wavefront6targetE0EEEvSF_.has_dyn_sized_stack, 0
	.set _ZN7rocprim17ROCPRIM_400000_NS6detail17trampoline_kernelINS0_13kernel_configILj256ELj4ELj4294967295EEENS1_37radix_sort_block_sort_config_selectorIaNS0_10empty_typeEEEZNS1_21radix_sort_block_sortIS4_Lb0EPKaPaPS6_SC_NS0_19identity_decomposerEEE10hipError_tT1_T2_T3_T4_jRjT5_jjP12ihipStream_tbEUlT_E_NS1_11comp_targetILNS1_3genE9ELNS1_11target_archE1100ELNS1_3gpuE3ELNS1_3repE0EEENS1_44radix_sort_block_sort_config_static_selectorELNS0_4arch9wavefront6targetE0EEEvSF_.has_recursion, 0
	.set _ZN7rocprim17ROCPRIM_400000_NS6detail17trampoline_kernelINS0_13kernel_configILj256ELj4ELj4294967295EEENS1_37radix_sort_block_sort_config_selectorIaNS0_10empty_typeEEEZNS1_21radix_sort_block_sortIS4_Lb0EPKaPaPS6_SC_NS0_19identity_decomposerEEE10hipError_tT1_T2_T3_T4_jRjT5_jjP12ihipStream_tbEUlT_E_NS1_11comp_targetILNS1_3genE9ELNS1_11target_archE1100ELNS1_3gpuE3ELNS1_3repE0EEENS1_44radix_sort_block_sort_config_static_selectorELNS0_4arch9wavefront6targetE0EEEvSF_.has_indirect_call, 0
	.section	.AMDGPU.csdata,"",@progbits
; Kernel info:
; codeLenInByte = 0
; TotalNumSgprs: 0
; NumVgprs: 0
; ScratchSize: 0
; MemoryBound: 0
; FloatMode: 240
; IeeeMode: 1
; LDSByteSize: 0 bytes/workgroup (compile time only)
; SGPRBlocks: 0
; VGPRBlocks: 0
; NumSGPRsForWavesPerEU: 1
; NumVGPRsForWavesPerEU: 1
; NamedBarCnt: 0
; Occupancy: 16
; WaveLimiterHint : 0
; COMPUTE_PGM_RSRC2:SCRATCH_EN: 0
; COMPUTE_PGM_RSRC2:USER_SGPR: 2
; COMPUTE_PGM_RSRC2:TRAP_HANDLER: 0
; COMPUTE_PGM_RSRC2:TGID_X_EN: 1
; COMPUTE_PGM_RSRC2:TGID_Y_EN: 0
; COMPUTE_PGM_RSRC2:TGID_Z_EN: 0
; COMPUTE_PGM_RSRC2:TIDIG_COMP_CNT: 0
	.section	.text._ZN7rocprim17ROCPRIM_400000_NS6detail17trampoline_kernelINS0_13kernel_configILj256ELj4ELj4294967295EEENS1_37radix_sort_block_sort_config_selectorIaNS0_10empty_typeEEEZNS1_21radix_sort_block_sortIS4_Lb0EPKaPaPS6_SC_NS0_19identity_decomposerEEE10hipError_tT1_T2_T3_T4_jRjT5_jjP12ihipStream_tbEUlT_E_NS1_11comp_targetILNS1_3genE8ELNS1_11target_archE1030ELNS1_3gpuE2ELNS1_3repE0EEENS1_44radix_sort_block_sort_config_static_selectorELNS0_4arch9wavefront6targetE0EEEvSF_,"axG",@progbits,_ZN7rocprim17ROCPRIM_400000_NS6detail17trampoline_kernelINS0_13kernel_configILj256ELj4ELj4294967295EEENS1_37radix_sort_block_sort_config_selectorIaNS0_10empty_typeEEEZNS1_21radix_sort_block_sortIS4_Lb0EPKaPaPS6_SC_NS0_19identity_decomposerEEE10hipError_tT1_T2_T3_T4_jRjT5_jjP12ihipStream_tbEUlT_E_NS1_11comp_targetILNS1_3genE8ELNS1_11target_archE1030ELNS1_3gpuE2ELNS1_3repE0EEENS1_44radix_sort_block_sort_config_static_selectorELNS0_4arch9wavefront6targetE0EEEvSF_,comdat
	.protected	_ZN7rocprim17ROCPRIM_400000_NS6detail17trampoline_kernelINS0_13kernel_configILj256ELj4ELj4294967295EEENS1_37radix_sort_block_sort_config_selectorIaNS0_10empty_typeEEEZNS1_21radix_sort_block_sortIS4_Lb0EPKaPaPS6_SC_NS0_19identity_decomposerEEE10hipError_tT1_T2_T3_T4_jRjT5_jjP12ihipStream_tbEUlT_E_NS1_11comp_targetILNS1_3genE8ELNS1_11target_archE1030ELNS1_3gpuE2ELNS1_3repE0EEENS1_44radix_sort_block_sort_config_static_selectorELNS0_4arch9wavefront6targetE0EEEvSF_ ; -- Begin function _ZN7rocprim17ROCPRIM_400000_NS6detail17trampoline_kernelINS0_13kernel_configILj256ELj4ELj4294967295EEENS1_37radix_sort_block_sort_config_selectorIaNS0_10empty_typeEEEZNS1_21radix_sort_block_sortIS4_Lb0EPKaPaPS6_SC_NS0_19identity_decomposerEEE10hipError_tT1_T2_T3_T4_jRjT5_jjP12ihipStream_tbEUlT_E_NS1_11comp_targetILNS1_3genE8ELNS1_11target_archE1030ELNS1_3gpuE2ELNS1_3repE0EEENS1_44radix_sort_block_sort_config_static_selectorELNS0_4arch9wavefront6targetE0EEEvSF_
	.globl	_ZN7rocprim17ROCPRIM_400000_NS6detail17trampoline_kernelINS0_13kernel_configILj256ELj4ELj4294967295EEENS1_37radix_sort_block_sort_config_selectorIaNS0_10empty_typeEEEZNS1_21radix_sort_block_sortIS4_Lb0EPKaPaPS6_SC_NS0_19identity_decomposerEEE10hipError_tT1_T2_T3_T4_jRjT5_jjP12ihipStream_tbEUlT_E_NS1_11comp_targetILNS1_3genE8ELNS1_11target_archE1030ELNS1_3gpuE2ELNS1_3repE0EEENS1_44radix_sort_block_sort_config_static_selectorELNS0_4arch9wavefront6targetE0EEEvSF_
	.p2align	8
	.type	_ZN7rocprim17ROCPRIM_400000_NS6detail17trampoline_kernelINS0_13kernel_configILj256ELj4ELj4294967295EEENS1_37radix_sort_block_sort_config_selectorIaNS0_10empty_typeEEEZNS1_21radix_sort_block_sortIS4_Lb0EPKaPaPS6_SC_NS0_19identity_decomposerEEE10hipError_tT1_T2_T3_T4_jRjT5_jjP12ihipStream_tbEUlT_E_NS1_11comp_targetILNS1_3genE8ELNS1_11target_archE1030ELNS1_3gpuE2ELNS1_3repE0EEENS1_44radix_sort_block_sort_config_static_selectorELNS0_4arch9wavefront6targetE0EEEvSF_,@function
_ZN7rocprim17ROCPRIM_400000_NS6detail17trampoline_kernelINS0_13kernel_configILj256ELj4ELj4294967295EEENS1_37radix_sort_block_sort_config_selectorIaNS0_10empty_typeEEEZNS1_21radix_sort_block_sortIS4_Lb0EPKaPaPS6_SC_NS0_19identity_decomposerEEE10hipError_tT1_T2_T3_T4_jRjT5_jjP12ihipStream_tbEUlT_E_NS1_11comp_targetILNS1_3genE8ELNS1_11target_archE1030ELNS1_3gpuE2ELNS1_3repE0EEENS1_44radix_sort_block_sort_config_static_selectorELNS0_4arch9wavefront6targetE0EEEvSF_: ; @_ZN7rocprim17ROCPRIM_400000_NS6detail17trampoline_kernelINS0_13kernel_configILj256ELj4ELj4294967295EEENS1_37radix_sort_block_sort_config_selectorIaNS0_10empty_typeEEEZNS1_21radix_sort_block_sortIS4_Lb0EPKaPaPS6_SC_NS0_19identity_decomposerEEE10hipError_tT1_T2_T3_T4_jRjT5_jjP12ihipStream_tbEUlT_E_NS1_11comp_targetILNS1_3genE8ELNS1_11target_archE1030ELNS1_3gpuE2ELNS1_3repE0EEENS1_44radix_sort_block_sort_config_static_selectorELNS0_4arch9wavefront6targetE0EEEvSF_
; %bb.0:
	.section	.rodata,"a",@progbits
	.p2align	6, 0x0
	.amdhsa_kernel _ZN7rocprim17ROCPRIM_400000_NS6detail17trampoline_kernelINS0_13kernel_configILj256ELj4ELj4294967295EEENS1_37radix_sort_block_sort_config_selectorIaNS0_10empty_typeEEEZNS1_21radix_sort_block_sortIS4_Lb0EPKaPaPS6_SC_NS0_19identity_decomposerEEE10hipError_tT1_T2_T3_T4_jRjT5_jjP12ihipStream_tbEUlT_E_NS1_11comp_targetILNS1_3genE8ELNS1_11target_archE1030ELNS1_3gpuE2ELNS1_3repE0EEENS1_44radix_sort_block_sort_config_static_selectorELNS0_4arch9wavefront6targetE0EEEvSF_
		.amdhsa_group_segment_fixed_size 0
		.amdhsa_private_segment_fixed_size 0
		.amdhsa_kernarg_size 48
		.amdhsa_user_sgpr_count 2
		.amdhsa_user_sgpr_dispatch_ptr 0
		.amdhsa_user_sgpr_queue_ptr 0
		.amdhsa_user_sgpr_kernarg_segment_ptr 1
		.amdhsa_user_sgpr_dispatch_id 0
		.amdhsa_user_sgpr_kernarg_preload_length 0
		.amdhsa_user_sgpr_kernarg_preload_offset 0
		.amdhsa_user_sgpr_private_segment_size 0
		.amdhsa_wavefront_size32 1
		.amdhsa_uses_dynamic_stack 0
		.amdhsa_enable_private_segment 0
		.amdhsa_system_sgpr_workgroup_id_x 1
		.amdhsa_system_sgpr_workgroup_id_y 0
		.amdhsa_system_sgpr_workgroup_id_z 0
		.amdhsa_system_sgpr_workgroup_info 0
		.amdhsa_system_vgpr_workitem_id 0
		.amdhsa_next_free_vgpr 1
		.amdhsa_next_free_sgpr 1
		.amdhsa_named_barrier_count 0
		.amdhsa_reserve_vcc 0
		.amdhsa_float_round_mode_32 0
		.amdhsa_float_round_mode_16_64 0
		.amdhsa_float_denorm_mode_32 3
		.amdhsa_float_denorm_mode_16_64 3
		.amdhsa_fp16_overflow 0
		.amdhsa_memory_ordered 1
		.amdhsa_forward_progress 1
		.amdhsa_inst_pref_size 0
		.amdhsa_round_robin_scheduling 0
		.amdhsa_exception_fp_ieee_invalid_op 0
		.amdhsa_exception_fp_denorm_src 0
		.amdhsa_exception_fp_ieee_div_zero 0
		.amdhsa_exception_fp_ieee_overflow 0
		.amdhsa_exception_fp_ieee_underflow 0
		.amdhsa_exception_fp_ieee_inexact 0
		.amdhsa_exception_int_div_zero 0
	.end_amdhsa_kernel
	.section	.text._ZN7rocprim17ROCPRIM_400000_NS6detail17trampoline_kernelINS0_13kernel_configILj256ELj4ELj4294967295EEENS1_37radix_sort_block_sort_config_selectorIaNS0_10empty_typeEEEZNS1_21radix_sort_block_sortIS4_Lb0EPKaPaPS6_SC_NS0_19identity_decomposerEEE10hipError_tT1_T2_T3_T4_jRjT5_jjP12ihipStream_tbEUlT_E_NS1_11comp_targetILNS1_3genE8ELNS1_11target_archE1030ELNS1_3gpuE2ELNS1_3repE0EEENS1_44radix_sort_block_sort_config_static_selectorELNS0_4arch9wavefront6targetE0EEEvSF_,"axG",@progbits,_ZN7rocprim17ROCPRIM_400000_NS6detail17trampoline_kernelINS0_13kernel_configILj256ELj4ELj4294967295EEENS1_37radix_sort_block_sort_config_selectorIaNS0_10empty_typeEEEZNS1_21radix_sort_block_sortIS4_Lb0EPKaPaPS6_SC_NS0_19identity_decomposerEEE10hipError_tT1_T2_T3_T4_jRjT5_jjP12ihipStream_tbEUlT_E_NS1_11comp_targetILNS1_3genE8ELNS1_11target_archE1030ELNS1_3gpuE2ELNS1_3repE0EEENS1_44radix_sort_block_sort_config_static_selectorELNS0_4arch9wavefront6targetE0EEEvSF_,comdat
.Lfunc_end399:
	.size	_ZN7rocprim17ROCPRIM_400000_NS6detail17trampoline_kernelINS0_13kernel_configILj256ELj4ELj4294967295EEENS1_37radix_sort_block_sort_config_selectorIaNS0_10empty_typeEEEZNS1_21radix_sort_block_sortIS4_Lb0EPKaPaPS6_SC_NS0_19identity_decomposerEEE10hipError_tT1_T2_T3_T4_jRjT5_jjP12ihipStream_tbEUlT_E_NS1_11comp_targetILNS1_3genE8ELNS1_11target_archE1030ELNS1_3gpuE2ELNS1_3repE0EEENS1_44radix_sort_block_sort_config_static_selectorELNS0_4arch9wavefront6targetE0EEEvSF_, .Lfunc_end399-_ZN7rocprim17ROCPRIM_400000_NS6detail17trampoline_kernelINS0_13kernel_configILj256ELj4ELj4294967295EEENS1_37radix_sort_block_sort_config_selectorIaNS0_10empty_typeEEEZNS1_21radix_sort_block_sortIS4_Lb0EPKaPaPS6_SC_NS0_19identity_decomposerEEE10hipError_tT1_T2_T3_T4_jRjT5_jjP12ihipStream_tbEUlT_E_NS1_11comp_targetILNS1_3genE8ELNS1_11target_archE1030ELNS1_3gpuE2ELNS1_3repE0EEENS1_44radix_sort_block_sort_config_static_selectorELNS0_4arch9wavefront6targetE0EEEvSF_
                                        ; -- End function
	.set _ZN7rocprim17ROCPRIM_400000_NS6detail17trampoline_kernelINS0_13kernel_configILj256ELj4ELj4294967295EEENS1_37radix_sort_block_sort_config_selectorIaNS0_10empty_typeEEEZNS1_21radix_sort_block_sortIS4_Lb0EPKaPaPS6_SC_NS0_19identity_decomposerEEE10hipError_tT1_T2_T3_T4_jRjT5_jjP12ihipStream_tbEUlT_E_NS1_11comp_targetILNS1_3genE8ELNS1_11target_archE1030ELNS1_3gpuE2ELNS1_3repE0EEENS1_44radix_sort_block_sort_config_static_selectorELNS0_4arch9wavefront6targetE0EEEvSF_.num_vgpr, 0
	.set _ZN7rocprim17ROCPRIM_400000_NS6detail17trampoline_kernelINS0_13kernel_configILj256ELj4ELj4294967295EEENS1_37radix_sort_block_sort_config_selectorIaNS0_10empty_typeEEEZNS1_21radix_sort_block_sortIS4_Lb0EPKaPaPS6_SC_NS0_19identity_decomposerEEE10hipError_tT1_T2_T3_T4_jRjT5_jjP12ihipStream_tbEUlT_E_NS1_11comp_targetILNS1_3genE8ELNS1_11target_archE1030ELNS1_3gpuE2ELNS1_3repE0EEENS1_44radix_sort_block_sort_config_static_selectorELNS0_4arch9wavefront6targetE0EEEvSF_.num_agpr, 0
	.set _ZN7rocprim17ROCPRIM_400000_NS6detail17trampoline_kernelINS0_13kernel_configILj256ELj4ELj4294967295EEENS1_37radix_sort_block_sort_config_selectorIaNS0_10empty_typeEEEZNS1_21radix_sort_block_sortIS4_Lb0EPKaPaPS6_SC_NS0_19identity_decomposerEEE10hipError_tT1_T2_T3_T4_jRjT5_jjP12ihipStream_tbEUlT_E_NS1_11comp_targetILNS1_3genE8ELNS1_11target_archE1030ELNS1_3gpuE2ELNS1_3repE0EEENS1_44radix_sort_block_sort_config_static_selectorELNS0_4arch9wavefront6targetE0EEEvSF_.numbered_sgpr, 0
	.set _ZN7rocprim17ROCPRIM_400000_NS6detail17trampoline_kernelINS0_13kernel_configILj256ELj4ELj4294967295EEENS1_37radix_sort_block_sort_config_selectorIaNS0_10empty_typeEEEZNS1_21radix_sort_block_sortIS4_Lb0EPKaPaPS6_SC_NS0_19identity_decomposerEEE10hipError_tT1_T2_T3_T4_jRjT5_jjP12ihipStream_tbEUlT_E_NS1_11comp_targetILNS1_3genE8ELNS1_11target_archE1030ELNS1_3gpuE2ELNS1_3repE0EEENS1_44radix_sort_block_sort_config_static_selectorELNS0_4arch9wavefront6targetE0EEEvSF_.num_named_barrier, 0
	.set _ZN7rocprim17ROCPRIM_400000_NS6detail17trampoline_kernelINS0_13kernel_configILj256ELj4ELj4294967295EEENS1_37radix_sort_block_sort_config_selectorIaNS0_10empty_typeEEEZNS1_21radix_sort_block_sortIS4_Lb0EPKaPaPS6_SC_NS0_19identity_decomposerEEE10hipError_tT1_T2_T3_T4_jRjT5_jjP12ihipStream_tbEUlT_E_NS1_11comp_targetILNS1_3genE8ELNS1_11target_archE1030ELNS1_3gpuE2ELNS1_3repE0EEENS1_44radix_sort_block_sort_config_static_selectorELNS0_4arch9wavefront6targetE0EEEvSF_.private_seg_size, 0
	.set _ZN7rocprim17ROCPRIM_400000_NS6detail17trampoline_kernelINS0_13kernel_configILj256ELj4ELj4294967295EEENS1_37radix_sort_block_sort_config_selectorIaNS0_10empty_typeEEEZNS1_21radix_sort_block_sortIS4_Lb0EPKaPaPS6_SC_NS0_19identity_decomposerEEE10hipError_tT1_T2_T3_T4_jRjT5_jjP12ihipStream_tbEUlT_E_NS1_11comp_targetILNS1_3genE8ELNS1_11target_archE1030ELNS1_3gpuE2ELNS1_3repE0EEENS1_44radix_sort_block_sort_config_static_selectorELNS0_4arch9wavefront6targetE0EEEvSF_.uses_vcc, 0
	.set _ZN7rocprim17ROCPRIM_400000_NS6detail17trampoline_kernelINS0_13kernel_configILj256ELj4ELj4294967295EEENS1_37radix_sort_block_sort_config_selectorIaNS0_10empty_typeEEEZNS1_21radix_sort_block_sortIS4_Lb0EPKaPaPS6_SC_NS0_19identity_decomposerEEE10hipError_tT1_T2_T3_T4_jRjT5_jjP12ihipStream_tbEUlT_E_NS1_11comp_targetILNS1_3genE8ELNS1_11target_archE1030ELNS1_3gpuE2ELNS1_3repE0EEENS1_44radix_sort_block_sort_config_static_selectorELNS0_4arch9wavefront6targetE0EEEvSF_.uses_flat_scratch, 0
	.set _ZN7rocprim17ROCPRIM_400000_NS6detail17trampoline_kernelINS0_13kernel_configILj256ELj4ELj4294967295EEENS1_37radix_sort_block_sort_config_selectorIaNS0_10empty_typeEEEZNS1_21radix_sort_block_sortIS4_Lb0EPKaPaPS6_SC_NS0_19identity_decomposerEEE10hipError_tT1_T2_T3_T4_jRjT5_jjP12ihipStream_tbEUlT_E_NS1_11comp_targetILNS1_3genE8ELNS1_11target_archE1030ELNS1_3gpuE2ELNS1_3repE0EEENS1_44radix_sort_block_sort_config_static_selectorELNS0_4arch9wavefront6targetE0EEEvSF_.has_dyn_sized_stack, 0
	.set _ZN7rocprim17ROCPRIM_400000_NS6detail17trampoline_kernelINS0_13kernel_configILj256ELj4ELj4294967295EEENS1_37radix_sort_block_sort_config_selectorIaNS0_10empty_typeEEEZNS1_21radix_sort_block_sortIS4_Lb0EPKaPaPS6_SC_NS0_19identity_decomposerEEE10hipError_tT1_T2_T3_T4_jRjT5_jjP12ihipStream_tbEUlT_E_NS1_11comp_targetILNS1_3genE8ELNS1_11target_archE1030ELNS1_3gpuE2ELNS1_3repE0EEENS1_44radix_sort_block_sort_config_static_selectorELNS0_4arch9wavefront6targetE0EEEvSF_.has_recursion, 0
	.set _ZN7rocprim17ROCPRIM_400000_NS6detail17trampoline_kernelINS0_13kernel_configILj256ELj4ELj4294967295EEENS1_37radix_sort_block_sort_config_selectorIaNS0_10empty_typeEEEZNS1_21radix_sort_block_sortIS4_Lb0EPKaPaPS6_SC_NS0_19identity_decomposerEEE10hipError_tT1_T2_T3_T4_jRjT5_jjP12ihipStream_tbEUlT_E_NS1_11comp_targetILNS1_3genE8ELNS1_11target_archE1030ELNS1_3gpuE2ELNS1_3repE0EEENS1_44radix_sort_block_sort_config_static_selectorELNS0_4arch9wavefront6targetE0EEEvSF_.has_indirect_call, 0
	.section	.AMDGPU.csdata,"",@progbits
; Kernel info:
; codeLenInByte = 0
; TotalNumSgprs: 0
; NumVgprs: 0
; ScratchSize: 0
; MemoryBound: 0
; FloatMode: 240
; IeeeMode: 1
; LDSByteSize: 0 bytes/workgroup (compile time only)
; SGPRBlocks: 0
; VGPRBlocks: 0
; NumSGPRsForWavesPerEU: 1
; NumVGPRsForWavesPerEU: 1
; NamedBarCnt: 0
; Occupancy: 16
; WaveLimiterHint : 0
; COMPUTE_PGM_RSRC2:SCRATCH_EN: 0
; COMPUTE_PGM_RSRC2:USER_SGPR: 2
; COMPUTE_PGM_RSRC2:TRAP_HANDLER: 0
; COMPUTE_PGM_RSRC2:TGID_X_EN: 1
; COMPUTE_PGM_RSRC2:TGID_Y_EN: 0
; COMPUTE_PGM_RSRC2:TGID_Z_EN: 0
; COMPUTE_PGM_RSRC2:TIDIG_COMP_CNT: 0
	.section	.text._ZN7rocprim17ROCPRIM_400000_NS6detail17trampoline_kernelINS0_14default_configENS1_38merge_sort_block_merge_config_selectorIaNS0_10empty_typeEEEZZNS1_27merge_sort_block_merge_implIS3_PaPS5_jNS1_19radix_merge_compareILb0ELb0EaNS0_19identity_decomposerEEEEE10hipError_tT0_T1_T2_jT3_P12ihipStream_tbPNSt15iterator_traitsISE_E10value_typeEPNSK_ISF_E10value_typeEPSG_NS1_7vsmem_tEENKUlT_SE_SF_SG_E_clIS8_S8_S9_S9_EESD_ST_SE_SF_SG_EUlST_E_NS1_11comp_targetILNS1_3genE0ELNS1_11target_archE4294967295ELNS1_3gpuE0ELNS1_3repE0EEENS1_48merge_mergepath_partition_config_static_selectorELNS0_4arch9wavefront6targetE0EEEvSF_,"axG",@progbits,_ZN7rocprim17ROCPRIM_400000_NS6detail17trampoline_kernelINS0_14default_configENS1_38merge_sort_block_merge_config_selectorIaNS0_10empty_typeEEEZZNS1_27merge_sort_block_merge_implIS3_PaPS5_jNS1_19radix_merge_compareILb0ELb0EaNS0_19identity_decomposerEEEEE10hipError_tT0_T1_T2_jT3_P12ihipStream_tbPNSt15iterator_traitsISE_E10value_typeEPNSK_ISF_E10value_typeEPSG_NS1_7vsmem_tEENKUlT_SE_SF_SG_E_clIS8_S8_S9_S9_EESD_ST_SE_SF_SG_EUlST_E_NS1_11comp_targetILNS1_3genE0ELNS1_11target_archE4294967295ELNS1_3gpuE0ELNS1_3repE0EEENS1_48merge_mergepath_partition_config_static_selectorELNS0_4arch9wavefront6targetE0EEEvSF_,comdat
	.protected	_ZN7rocprim17ROCPRIM_400000_NS6detail17trampoline_kernelINS0_14default_configENS1_38merge_sort_block_merge_config_selectorIaNS0_10empty_typeEEEZZNS1_27merge_sort_block_merge_implIS3_PaPS5_jNS1_19radix_merge_compareILb0ELb0EaNS0_19identity_decomposerEEEEE10hipError_tT0_T1_T2_jT3_P12ihipStream_tbPNSt15iterator_traitsISE_E10value_typeEPNSK_ISF_E10value_typeEPSG_NS1_7vsmem_tEENKUlT_SE_SF_SG_E_clIS8_S8_S9_S9_EESD_ST_SE_SF_SG_EUlST_E_NS1_11comp_targetILNS1_3genE0ELNS1_11target_archE4294967295ELNS1_3gpuE0ELNS1_3repE0EEENS1_48merge_mergepath_partition_config_static_selectorELNS0_4arch9wavefront6targetE0EEEvSF_ ; -- Begin function _ZN7rocprim17ROCPRIM_400000_NS6detail17trampoline_kernelINS0_14default_configENS1_38merge_sort_block_merge_config_selectorIaNS0_10empty_typeEEEZZNS1_27merge_sort_block_merge_implIS3_PaPS5_jNS1_19radix_merge_compareILb0ELb0EaNS0_19identity_decomposerEEEEE10hipError_tT0_T1_T2_jT3_P12ihipStream_tbPNSt15iterator_traitsISE_E10value_typeEPNSK_ISF_E10value_typeEPSG_NS1_7vsmem_tEENKUlT_SE_SF_SG_E_clIS8_S8_S9_S9_EESD_ST_SE_SF_SG_EUlST_E_NS1_11comp_targetILNS1_3genE0ELNS1_11target_archE4294967295ELNS1_3gpuE0ELNS1_3repE0EEENS1_48merge_mergepath_partition_config_static_selectorELNS0_4arch9wavefront6targetE0EEEvSF_
	.globl	_ZN7rocprim17ROCPRIM_400000_NS6detail17trampoline_kernelINS0_14default_configENS1_38merge_sort_block_merge_config_selectorIaNS0_10empty_typeEEEZZNS1_27merge_sort_block_merge_implIS3_PaPS5_jNS1_19radix_merge_compareILb0ELb0EaNS0_19identity_decomposerEEEEE10hipError_tT0_T1_T2_jT3_P12ihipStream_tbPNSt15iterator_traitsISE_E10value_typeEPNSK_ISF_E10value_typeEPSG_NS1_7vsmem_tEENKUlT_SE_SF_SG_E_clIS8_S8_S9_S9_EESD_ST_SE_SF_SG_EUlST_E_NS1_11comp_targetILNS1_3genE0ELNS1_11target_archE4294967295ELNS1_3gpuE0ELNS1_3repE0EEENS1_48merge_mergepath_partition_config_static_selectorELNS0_4arch9wavefront6targetE0EEEvSF_
	.p2align	8
	.type	_ZN7rocprim17ROCPRIM_400000_NS6detail17trampoline_kernelINS0_14default_configENS1_38merge_sort_block_merge_config_selectorIaNS0_10empty_typeEEEZZNS1_27merge_sort_block_merge_implIS3_PaPS5_jNS1_19radix_merge_compareILb0ELb0EaNS0_19identity_decomposerEEEEE10hipError_tT0_T1_T2_jT3_P12ihipStream_tbPNSt15iterator_traitsISE_E10value_typeEPNSK_ISF_E10value_typeEPSG_NS1_7vsmem_tEENKUlT_SE_SF_SG_E_clIS8_S8_S9_S9_EESD_ST_SE_SF_SG_EUlST_E_NS1_11comp_targetILNS1_3genE0ELNS1_11target_archE4294967295ELNS1_3gpuE0ELNS1_3repE0EEENS1_48merge_mergepath_partition_config_static_selectorELNS0_4arch9wavefront6targetE0EEEvSF_,@function
_ZN7rocprim17ROCPRIM_400000_NS6detail17trampoline_kernelINS0_14default_configENS1_38merge_sort_block_merge_config_selectorIaNS0_10empty_typeEEEZZNS1_27merge_sort_block_merge_implIS3_PaPS5_jNS1_19radix_merge_compareILb0ELb0EaNS0_19identity_decomposerEEEEE10hipError_tT0_T1_T2_jT3_P12ihipStream_tbPNSt15iterator_traitsISE_E10value_typeEPNSK_ISF_E10value_typeEPSG_NS1_7vsmem_tEENKUlT_SE_SF_SG_E_clIS8_S8_S9_S9_EESD_ST_SE_SF_SG_EUlST_E_NS1_11comp_targetILNS1_3genE0ELNS1_11target_archE4294967295ELNS1_3gpuE0ELNS1_3repE0EEENS1_48merge_mergepath_partition_config_static_selectorELNS0_4arch9wavefront6targetE0EEEvSF_: ; @_ZN7rocprim17ROCPRIM_400000_NS6detail17trampoline_kernelINS0_14default_configENS1_38merge_sort_block_merge_config_selectorIaNS0_10empty_typeEEEZZNS1_27merge_sort_block_merge_implIS3_PaPS5_jNS1_19radix_merge_compareILb0ELb0EaNS0_19identity_decomposerEEEEE10hipError_tT0_T1_T2_jT3_P12ihipStream_tbPNSt15iterator_traitsISE_E10value_typeEPNSK_ISF_E10value_typeEPSG_NS1_7vsmem_tEENKUlT_SE_SF_SG_E_clIS8_S8_S9_S9_EESD_ST_SE_SF_SG_EUlST_E_NS1_11comp_targetILNS1_3genE0ELNS1_11target_archE4294967295ELNS1_3gpuE0ELNS1_3repE0EEENS1_48merge_mergepath_partition_config_static_selectorELNS0_4arch9wavefront6targetE0EEEvSF_
; %bb.0:
	s_load_b32 s2, s[0:1], 0x0
	s_bfe_u32 s3, ttmp6, 0x4000c
	s_and_b32 s4, ttmp6, 15
	s_add_co_i32 s3, s3, 1
	s_getreg_b32 s5, hwreg(HW_REG_IB_STS2, 6, 4)
	s_mul_i32 s3, ttmp9, s3
	s_delay_alu instid0(SALU_CYCLE_1) | instskip(SKIP_2) | instid1(SALU_CYCLE_1)
	s_add_co_i32 s4, s4, s3
	s_cmp_eq_u32 s5, 0
	s_cselect_b32 s3, ttmp9, s4
	v_lshl_or_b32 v8, s3, 7, v0
	s_wait_kmcnt 0x0
	s_delay_alu instid0(VALU_DEP_1)
	v_cmp_gt_u32_e32 vcc_lo, s2, v8
	s_and_saveexec_b32 s2, vcc_lo
	s_cbranch_execz .LBB400_6
; %bb.1:
	s_load_b64 s[2:3], s[0:1], 0x4
	s_wait_kmcnt 0x0
	s_lshr_b32 s4, s2, 9
	s_delay_alu instid0(SALU_CYCLE_1) | instskip(NEXT) | instid1(SALU_CYCLE_1)
	s_and_b32 s4, s4, 0x7ffffe
	s_sub_co_i32 s5, 0, s4
	s_add_co_i32 s4, s4, -1
	s_delay_alu instid0(SALU_CYCLE_1) | instskip(SKIP_2) | instid1(VALU_DEP_1)
	v_and_b32_e32 v1, s4, v8
	v_and_b32_e32 v0, s5, v8
	s_mov_b32 s4, exec_lo
	v_dual_lshlrev_b32 v1, 10, v1 :: v_dual_lshlrev_b32 v0, 10, v0
	s_delay_alu instid0(VALU_DEP_1) | instskip(SKIP_1) | instid1(VALU_DEP_2)
	v_add_min_u32_e64 v2, v0, s2, s3
	v_min_u32_e32 v0, s3, v0
	v_add_min_u32_e64 v3, v2, s2, s3
	s_load_b64 s[2:3], s[0:1], 0x20
	s_delay_alu instid0(VALU_DEP_1) | instskip(NEXT) | instid1(VALU_DEP_1)
	v_dual_sub_nc_u32 v4, v3, v0 :: v_dual_sub_nc_u32 v3, v3, v2
	v_min_u32_e32 v10, v4, v1
	v_sub_nc_u32_e32 v1, v2, v0
	s_delay_alu instid0(VALU_DEP_2) | instskip(NEXT) | instid1(VALU_DEP_2)
	v_sub_nc_u32_e64 v9, v10, v3 clamp
	v_min_u32_e32 v11, v10, v1
	s_delay_alu instid0(VALU_DEP_1)
	v_cmpx_lt_u32_e64 v9, v11
	s_cbranch_execz .LBB400_5
; %bb.2:
	s_wait_xcnt 0x0
	s_load_b64 s[0:1], s[0:1], 0x10
	v_mov_b32_e32 v3, 0
	s_delay_alu instid0(VALU_DEP_1) | instskip(SKIP_1) | instid1(VALU_DEP_1)
	v_mov_b32_e32 v1, v3
	s_wait_kmcnt 0x0
	v_add_nc_u64_e32 v[4:5], s[0:1], v[0:1]
	v_add_nc_u64_e32 v[6:7], s[0:1], v[2:3]
	s_mov_b32 s0, 0
.LBB400_3:                              ; =>This Inner Loop Header: Depth=1
	v_add_nc_u32_e32 v1, v11, v9
	s_delay_alu instid0(VALU_DEP_1) | instskip(NEXT) | instid1(VALU_DEP_1)
	v_dual_mov_b32 v13, v3 :: v_dual_lshrrev_b32 v2, 1, v1
	v_xad_u32 v12, v2, -1, v10
	v_add_nc_u64_e32 v[14:15], v[4:5], v[2:3]
	s_delay_alu instid0(VALU_DEP_2)
	v_add_nc_u64_e32 v[12:13], v[6:7], v[12:13]
	s_clause 0x1
	global_load_i8 v1, v[14:15], off
	global_load_i8 v16, v[12:13], off
	s_wait_xcnt 0x0
	v_add_nc_u32_e32 v12, 1, v2
	s_wait_loadcnt 0x0
	v_cmp_gt_i16_e32 vcc_lo, v1, v16
	s_delay_alu instid0(VALU_DEP_2) | instskip(NEXT) | instid1(VALU_DEP_1)
	v_dual_cndmask_b32 v11, v11, v2, vcc_lo :: v_dual_cndmask_b32 v9, v12, v9, vcc_lo
	v_cmp_ge_u32_e32 vcc_lo, v9, v11
	s_or_b32 s0, vcc_lo, s0
	s_delay_alu instid0(SALU_CYCLE_1)
	s_and_not1_b32 exec_lo, exec_lo, s0
	s_cbranch_execnz .LBB400_3
; %bb.4:
	s_or_b32 exec_lo, exec_lo, s0
.LBB400_5:
	s_delay_alu instid0(SALU_CYCLE_1)
	s_or_b32 exec_lo, exec_lo, s4
	v_add_nc_u32_e32 v0, v9, v0
	s_wait_kmcnt 0x0
	global_store_b32 v8, v0, s[2:3] scale_offset
.LBB400_6:
	s_endpgm
	.section	.rodata,"a",@progbits
	.p2align	6, 0x0
	.amdhsa_kernel _ZN7rocprim17ROCPRIM_400000_NS6detail17trampoline_kernelINS0_14default_configENS1_38merge_sort_block_merge_config_selectorIaNS0_10empty_typeEEEZZNS1_27merge_sort_block_merge_implIS3_PaPS5_jNS1_19radix_merge_compareILb0ELb0EaNS0_19identity_decomposerEEEEE10hipError_tT0_T1_T2_jT3_P12ihipStream_tbPNSt15iterator_traitsISE_E10value_typeEPNSK_ISF_E10value_typeEPSG_NS1_7vsmem_tEENKUlT_SE_SF_SG_E_clIS8_S8_S9_S9_EESD_ST_SE_SF_SG_EUlST_E_NS1_11comp_targetILNS1_3genE0ELNS1_11target_archE4294967295ELNS1_3gpuE0ELNS1_3repE0EEENS1_48merge_mergepath_partition_config_static_selectorELNS0_4arch9wavefront6targetE0EEEvSF_
		.amdhsa_group_segment_fixed_size 0
		.amdhsa_private_segment_fixed_size 0
		.amdhsa_kernarg_size 40
		.amdhsa_user_sgpr_count 2
		.amdhsa_user_sgpr_dispatch_ptr 0
		.amdhsa_user_sgpr_queue_ptr 0
		.amdhsa_user_sgpr_kernarg_segment_ptr 1
		.amdhsa_user_sgpr_dispatch_id 0
		.amdhsa_user_sgpr_kernarg_preload_length 0
		.amdhsa_user_sgpr_kernarg_preload_offset 0
		.amdhsa_user_sgpr_private_segment_size 0
		.amdhsa_wavefront_size32 1
		.amdhsa_uses_dynamic_stack 0
		.amdhsa_enable_private_segment 0
		.amdhsa_system_sgpr_workgroup_id_x 1
		.amdhsa_system_sgpr_workgroup_id_y 0
		.amdhsa_system_sgpr_workgroup_id_z 0
		.amdhsa_system_sgpr_workgroup_info 0
		.amdhsa_system_vgpr_workitem_id 0
		.amdhsa_next_free_vgpr 17
		.amdhsa_next_free_sgpr 6
		.amdhsa_named_barrier_count 0
		.amdhsa_reserve_vcc 1
		.amdhsa_float_round_mode_32 0
		.amdhsa_float_round_mode_16_64 0
		.amdhsa_float_denorm_mode_32 3
		.amdhsa_float_denorm_mode_16_64 3
		.amdhsa_fp16_overflow 0
		.amdhsa_memory_ordered 1
		.amdhsa_forward_progress 1
		.amdhsa_inst_pref_size 4
		.amdhsa_round_robin_scheduling 0
		.amdhsa_exception_fp_ieee_invalid_op 0
		.amdhsa_exception_fp_denorm_src 0
		.amdhsa_exception_fp_ieee_div_zero 0
		.amdhsa_exception_fp_ieee_overflow 0
		.amdhsa_exception_fp_ieee_underflow 0
		.amdhsa_exception_fp_ieee_inexact 0
		.amdhsa_exception_int_div_zero 0
	.end_amdhsa_kernel
	.section	.text._ZN7rocprim17ROCPRIM_400000_NS6detail17trampoline_kernelINS0_14default_configENS1_38merge_sort_block_merge_config_selectorIaNS0_10empty_typeEEEZZNS1_27merge_sort_block_merge_implIS3_PaPS5_jNS1_19radix_merge_compareILb0ELb0EaNS0_19identity_decomposerEEEEE10hipError_tT0_T1_T2_jT3_P12ihipStream_tbPNSt15iterator_traitsISE_E10value_typeEPNSK_ISF_E10value_typeEPSG_NS1_7vsmem_tEENKUlT_SE_SF_SG_E_clIS8_S8_S9_S9_EESD_ST_SE_SF_SG_EUlST_E_NS1_11comp_targetILNS1_3genE0ELNS1_11target_archE4294967295ELNS1_3gpuE0ELNS1_3repE0EEENS1_48merge_mergepath_partition_config_static_selectorELNS0_4arch9wavefront6targetE0EEEvSF_,"axG",@progbits,_ZN7rocprim17ROCPRIM_400000_NS6detail17trampoline_kernelINS0_14default_configENS1_38merge_sort_block_merge_config_selectorIaNS0_10empty_typeEEEZZNS1_27merge_sort_block_merge_implIS3_PaPS5_jNS1_19radix_merge_compareILb0ELb0EaNS0_19identity_decomposerEEEEE10hipError_tT0_T1_T2_jT3_P12ihipStream_tbPNSt15iterator_traitsISE_E10value_typeEPNSK_ISF_E10value_typeEPSG_NS1_7vsmem_tEENKUlT_SE_SF_SG_E_clIS8_S8_S9_S9_EESD_ST_SE_SF_SG_EUlST_E_NS1_11comp_targetILNS1_3genE0ELNS1_11target_archE4294967295ELNS1_3gpuE0ELNS1_3repE0EEENS1_48merge_mergepath_partition_config_static_selectorELNS0_4arch9wavefront6targetE0EEEvSF_,comdat
.Lfunc_end400:
	.size	_ZN7rocprim17ROCPRIM_400000_NS6detail17trampoline_kernelINS0_14default_configENS1_38merge_sort_block_merge_config_selectorIaNS0_10empty_typeEEEZZNS1_27merge_sort_block_merge_implIS3_PaPS5_jNS1_19radix_merge_compareILb0ELb0EaNS0_19identity_decomposerEEEEE10hipError_tT0_T1_T2_jT3_P12ihipStream_tbPNSt15iterator_traitsISE_E10value_typeEPNSK_ISF_E10value_typeEPSG_NS1_7vsmem_tEENKUlT_SE_SF_SG_E_clIS8_S8_S9_S9_EESD_ST_SE_SF_SG_EUlST_E_NS1_11comp_targetILNS1_3genE0ELNS1_11target_archE4294967295ELNS1_3gpuE0ELNS1_3repE0EEENS1_48merge_mergepath_partition_config_static_selectorELNS0_4arch9wavefront6targetE0EEEvSF_, .Lfunc_end400-_ZN7rocprim17ROCPRIM_400000_NS6detail17trampoline_kernelINS0_14default_configENS1_38merge_sort_block_merge_config_selectorIaNS0_10empty_typeEEEZZNS1_27merge_sort_block_merge_implIS3_PaPS5_jNS1_19radix_merge_compareILb0ELb0EaNS0_19identity_decomposerEEEEE10hipError_tT0_T1_T2_jT3_P12ihipStream_tbPNSt15iterator_traitsISE_E10value_typeEPNSK_ISF_E10value_typeEPSG_NS1_7vsmem_tEENKUlT_SE_SF_SG_E_clIS8_S8_S9_S9_EESD_ST_SE_SF_SG_EUlST_E_NS1_11comp_targetILNS1_3genE0ELNS1_11target_archE4294967295ELNS1_3gpuE0ELNS1_3repE0EEENS1_48merge_mergepath_partition_config_static_selectorELNS0_4arch9wavefront6targetE0EEEvSF_
                                        ; -- End function
	.set _ZN7rocprim17ROCPRIM_400000_NS6detail17trampoline_kernelINS0_14default_configENS1_38merge_sort_block_merge_config_selectorIaNS0_10empty_typeEEEZZNS1_27merge_sort_block_merge_implIS3_PaPS5_jNS1_19radix_merge_compareILb0ELb0EaNS0_19identity_decomposerEEEEE10hipError_tT0_T1_T2_jT3_P12ihipStream_tbPNSt15iterator_traitsISE_E10value_typeEPNSK_ISF_E10value_typeEPSG_NS1_7vsmem_tEENKUlT_SE_SF_SG_E_clIS8_S8_S9_S9_EESD_ST_SE_SF_SG_EUlST_E_NS1_11comp_targetILNS1_3genE0ELNS1_11target_archE4294967295ELNS1_3gpuE0ELNS1_3repE0EEENS1_48merge_mergepath_partition_config_static_selectorELNS0_4arch9wavefront6targetE0EEEvSF_.num_vgpr, 17
	.set _ZN7rocprim17ROCPRIM_400000_NS6detail17trampoline_kernelINS0_14default_configENS1_38merge_sort_block_merge_config_selectorIaNS0_10empty_typeEEEZZNS1_27merge_sort_block_merge_implIS3_PaPS5_jNS1_19radix_merge_compareILb0ELb0EaNS0_19identity_decomposerEEEEE10hipError_tT0_T1_T2_jT3_P12ihipStream_tbPNSt15iterator_traitsISE_E10value_typeEPNSK_ISF_E10value_typeEPSG_NS1_7vsmem_tEENKUlT_SE_SF_SG_E_clIS8_S8_S9_S9_EESD_ST_SE_SF_SG_EUlST_E_NS1_11comp_targetILNS1_3genE0ELNS1_11target_archE4294967295ELNS1_3gpuE0ELNS1_3repE0EEENS1_48merge_mergepath_partition_config_static_selectorELNS0_4arch9wavefront6targetE0EEEvSF_.num_agpr, 0
	.set _ZN7rocprim17ROCPRIM_400000_NS6detail17trampoline_kernelINS0_14default_configENS1_38merge_sort_block_merge_config_selectorIaNS0_10empty_typeEEEZZNS1_27merge_sort_block_merge_implIS3_PaPS5_jNS1_19radix_merge_compareILb0ELb0EaNS0_19identity_decomposerEEEEE10hipError_tT0_T1_T2_jT3_P12ihipStream_tbPNSt15iterator_traitsISE_E10value_typeEPNSK_ISF_E10value_typeEPSG_NS1_7vsmem_tEENKUlT_SE_SF_SG_E_clIS8_S8_S9_S9_EESD_ST_SE_SF_SG_EUlST_E_NS1_11comp_targetILNS1_3genE0ELNS1_11target_archE4294967295ELNS1_3gpuE0ELNS1_3repE0EEENS1_48merge_mergepath_partition_config_static_selectorELNS0_4arch9wavefront6targetE0EEEvSF_.numbered_sgpr, 6
	.set _ZN7rocprim17ROCPRIM_400000_NS6detail17trampoline_kernelINS0_14default_configENS1_38merge_sort_block_merge_config_selectorIaNS0_10empty_typeEEEZZNS1_27merge_sort_block_merge_implIS3_PaPS5_jNS1_19radix_merge_compareILb0ELb0EaNS0_19identity_decomposerEEEEE10hipError_tT0_T1_T2_jT3_P12ihipStream_tbPNSt15iterator_traitsISE_E10value_typeEPNSK_ISF_E10value_typeEPSG_NS1_7vsmem_tEENKUlT_SE_SF_SG_E_clIS8_S8_S9_S9_EESD_ST_SE_SF_SG_EUlST_E_NS1_11comp_targetILNS1_3genE0ELNS1_11target_archE4294967295ELNS1_3gpuE0ELNS1_3repE0EEENS1_48merge_mergepath_partition_config_static_selectorELNS0_4arch9wavefront6targetE0EEEvSF_.num_named_barrier, 0
	.set _ZN7rocprim17ROCPRIM_400000_NS6detail17trampoline_kernelINS0_14default_configENS1_38merge_sort_block_merge_config_selectorIaNS0_10empty_typeEEEZZNS1_27merge_sort_block_merge_implIS3_PaPS5_jNS1_19radix_merge_compareILb0ELb0EaNS0_19identity_decomposerEEEEE10hipError_tT0_T1_T2_jT3_P12ihipStream_tbPNSt15iterator_traitsISE_E10value_typeEPNSK_ISF_E10value_typeEPSG_NS1_7vsmem_tEENKUlT_SE_SF_SG_E_clIS8_S8_S9_S9_EESD_ST_SE_SF_SG_EUlST_E_NS1_11comp_targetILNS1_3genE0ELNS1_11target_archE4294967295ELNS1_3gpuE0ELNS1_3repE0EEENS1_48merge_mergepath_partition_config_static_selectorELNS0_4arch9wavefront6targetE0EEEvSF_.private_seg_size, 0
	.set _ZN7rocprim17ROCPRIM_400000_NS6detail17trampoline_kernelINS0_14default_configENS1_38merge_sort_block_merge_config_selectorIaNS0_10empty_typeEEEZZNS1_27merge_sort_block_merge_implIS3_PaPS5_jNS1_19radix_merge_compareILb0ELb0EaNS0_19identity_decomposerEEEEE10hipError_tT0_T1_T2_jT3_P12ihipStream_tbPNSt15iterator_traitsISE_E10value_typeEPNSK_ISF_E10value_typeEPSG_NS1_7vsmem_tEENKUlT_SE_SF_SG_E_clIS8_S8_S9_S9_EESD_ST_SE_SF_SG_EUlST_E_NS1_11comp_targetILNS1_3genE0ELNS1_11target_archE4294967295ELNS1_3gpuE0ELNS1_3repE0EEENS1_48merge_mergepath_partition_config_static_selectorELNS0_4arch9wavefront6targetE0EEEvSF_.uses_vcc, 1
	.set _ZN7rocprim17ROCPRIM_400000_NS6detail17trampoline_kernelINS0_14default_configENS1_38merge_sort_block_merge_config_selectorIaNS0_10empty_typeEEEZZNS1_27merge_sort_block_merge_implIS3_PaPS5_jNS1_19radix_merge_compareILb0ELb0EaNS0_19identity_decomposerEEEEE10hipError_tT0_T1_T2_jT3_P12ihipStream_tbPNSt15iterator_traitsISE_E10value_typeEPNSK_ISF_E10value_typeEPSG_NS1_7vsmem_tEENKUlT_SE_SF_SG_E_clIS8_S8_S9_S9_EESD_ST_SE_SF_SG_EUlST_E_NS1_11comp_targetILNS1_3genE0ELNS1_11target_archE4294967295ELNS1_3gpuE0ELNS1_3repE0EEENS1_48merge_mergepath_partition_config_static_selectorELNS0_4arch9wavefront6targetE0EEEvSF_.uses_flat_scratch, 0
	.set _ZN7rocprim17ROCPRIM_400000_NS6detail17trampoline_kernelINS0_14default_configENS1_38merge_sort_block_merge_config_selectorIaNS0_10empty_typeEEEZZNS1_27merge_sort_block_merge_implIS3_PaPS5_jNS1_19radix_merge_compareILb0ELb0EaNS0_19identity_decomposerEEEEE10hipError_tT0_T1_T2_jT3_P12ihipStream_tbPNSt15iterator_traitsISE_E10value_typeEPNSK_ISF_E10value_typeEPSG_NS1_7vsmem_tEENKUlT_SE_SF_SG_E_clIS8_S8_S9_S9_EESD_ST_SE_SF_SG_EUlST_E_NS1_11comp_targetILNS1_3genE0ELNS1_11target_archE4294967295ELNS1_3gpuE0ELNS1_3repE0EEENS1_48merge_mergepath_partition_config_static_selectorELNS0_4arch9wavefront6targetE0EEEvSF_.has_dyn_sized_stack, 0
	.set _ZN7rocprim17ROCPRIM_400000_NS6detail17trampoline_kernelINS0_14default_configENS1_38merge_sort_block_merge_config_selectorIaNS0_10empty_typeEEEZZNS1_27merge_sort_block_merge_implIS3_PaPS5_jNS1_19radix_merge_compareILb0ELb0EaNS0_19identity_decomposerEEEEE10hipError_tT0_T1_T2_jT3_P12ihipStream_tbPNSt15iterator_traitsISE_E10value_typeEPNSK_ISF_E10value_typeEPSG_NS1_7vsmem_tEENKUlT_SE_SF_SG_E_clIS8_S8_S9_S9_EESD_ST_SE_SF_SG_EUlST_E_NS1_11comp_targetILNS1_3genE0ELNS1_11target_archE4294967295ELNS1_3gpuE0ELNS1_3repE0EEENS1_48merge_mergepath_partition_config_static_selectorELNS0_4arch9wavefront6targetE0EEEvSF_.has_recursion, 0
	.set _ZN7rocprim17ROCPRIM_400000_NS6detail17trampoline_kernelINS0_14default_configENS1_38merge_sort_block_merge_config_selectorIaNS0_10empty_typeEEEZZNS1_27merge_sort_block_merge_implIS3_PaPS5_jNS1_19radix_merge_compareILb0ELb0EaNS0_19identity_decomposerEEEEE10hipError_tT0_T1_T2_jT3_P12ihipStream_tbPNSt15iterator_traitsISE_E10value_typeEPNSK_ISF_E10value_typeEPSG_NS1_7vsmem_tEENKUlT_SE_SF_SG_E_clIS8_S8_S9_S9_EESD_ST_SE_SF_SG_EUlST_E_NS1_11comp_targetILNS1_3genE0ELNS1_11target_archE4294967295ELNS1_3gpuE0ELNS1_3repE0EEENS1_48merge_mergepath_partition_config_static_selectorELNS0_4arch9wavefront6targetE0EEEvSF_.has_indirect_call, 0
	.section	.AMDGPU.csdata,"",@progbits
; Kernel info:
; codeLenInByte = 420
; TotalNumSgprs: 8
; NumVgprs: 17
; ScratchSize: 0
; MemoryBound: 0
; FloatMode: 240
; IeeeMode: 1
; LDSByteSize: 0 bytes/workgroup (compile time only)
; SGPRBlocks: 0
; VGPRBlocks: 1
; NumSGPRsForWavesPerEU: 8
; NumVGPRsForWavesPerEU: 17
; NamedBarCnt: 0
; Occupancy: 16
; WaveLimiterHint : 0
; COMPUTE_PGM_RSRC2:SCRATCH_EN: 0
; COMPUTE_PGM_RSRC2:USER_SGPR: 2
; COMPUTE_PGM_RSRC2:TRAP_HANDLER: 0
; COMPUTE_PGM_RSRC2:TGID_X_EN: 1
; COMPUTE_PGM_RSRC2:TGID_Y_EN: 0
; COMPUTE_PGM_RSRC2:TGID_Z_EN: 0
; COMPUTE_PGM_RSRC2:TIDIG_COMP_CNT: 0
	.section	.text._ZN7rocprim17ROCPRIM_400000_NS6detail17trampoline_kernelINS0_14default_configENS1_38merge_sort_block_merge_config_selectorIaNS0_10empty_typeEEEZZNS1_27merge_sort_block_merge_implIS3_PaPS5_jNS1_19radix_merge_compareILb0ELb0EaNS0_19identity_decomposerEEEEE10hipError_tT0_T1_T2_jT3_P12ihipStream_tbPNSt15iterator_traitsISE_E10value_typeEPNSK_ISF_E10value_typeEPSG_NS1_7vsmem_tEENKUlT_SE_SF_SG_E_clIS8_S8_S9_S9_EESD_ST_SE_SF_SG_EUlST_E_NS1_11comp_targetILNS1_3genE10ELNS1_11target_archE1201ELNS1_3gpuE5ELNS1_3repE0EEENS1_48merge_mergepath_partition_config_static_selectorELNS0_4arch9wavefront6targetE0EEEvSF_,"axG",@progbits,_ZN7rocprim17ROCPRIM_400000_NS6detail17trampoline_kernelINS0_14default_configENS1_38merge_sort_block_merge_config_selectorIaNS0_10empty_typeEEEZZNS1_27merge_sort_block_merge_implIS3_PaPS5_jNS1_19radix_merge_compareILb0ELb0EaNS0_19identity_decomposerEEEEE10hipError_tT0_T1_T2_jT3_P12ihipStream_tbPNSt15iterator_traitsISE_E10value_typeEPNSK_ISF_E10value_typeEPSG_NS1_7vsmem_tEENKUlT_SE_SF_SG_E_clIS8_S8_S9_S9_EESD_ST_SE_SF_SG_EUlST_E_NS1_11comp_targetILNS1_3genE10ELNS1_11target_archE1201ELNS1_3gpuE5ELNS1_3repE0EEENS1_48merge_mergepath_partition_config_static_selectorELNS0_4arch9wavefront6targetE0EEEvSF_,comdat
	.protected	_ZN7rocprim17ROCPRIM_400000_NS6detail17trampoline_kernelINS0_14default_configENS1_38merge_sort_block_merge_config_selectorIaNS0_10empty_typeEEEZZNS1_27merge_sort_block_merge_implIS3_PaPS5_jNS1_19radix_merge_compareILb0ELb0EaNS0_19identity_decomposerEEEEE10hipError_tT0_T1_T2_jT3_P12ihipStream_tbPNSt15iterator_traitsISE_E10value_typeEPNSK_ISF_E10value_typeEPSG_NS1_7vsmem_tEENKUlT_SE_SF_SG_E_clIS8_S8_S9_S9_EESD_ST_SE_SF_SG_EUlST_E_NS1_11comp_targetILNS1_3genE10ELNS1_11target_archE1201ELNS1_3gpuE5ELNS1_3repE0EEENS1_48merge_mergepath_partition_config_static_selectorELNS0_4arch9wavefront6targetE0EEEvSF_ ; -- Begin function _ZN7rocprim17ROCPRIM_400000_NS6detail17trampoline_kernelINS0_14default_configENS1_38merge_sort_block_merge_config_selectorIaNS0_10empty_typeEEEZZNS1_27merge_sort_block_merge_implIS3_PaPS5_jNS1_19radix_merge_compareILb0ELb0EaNS0_19identity_decomposerEEEEE10hipError_tT0_T1_T2_jT3_P12ihipStream_tbPNSt15iterator_traitsISE_E10value_typeEPNSK_ISF_E10value_typeEPSG_NS1_7vsmem_tEENKUlT_SE_SF_SG_E_clIS8_S8_S9_S9_EESD_ST_SE_SF_SG_EUlST_E_NS1_11comp_targetILNS1_3genE10ELNS1_11target_archE1201ELNS1_3gpuE5ELNS1_3repE0EEENS1_48merge_mergepath_partition_config_static_selectorELNS0_4arch9wavefront6targetE0EEEvSF_
	.globl	_ZN7rocprim17ROCPRIM_400000_NS6detail17trampoline_kernelINS0_14default_configENS1_38merge_sort_block_merge_config_selectorIaNS0_10empty_typeEEEZZNS1_27merge_sort_block_merge_implIS3_PaPS5_jNS1_19radix_merge_compareILb0ELb0EaNS0_19identity_decomposerEEEEE10hipError_tT0_T1_T2_jT3_P12ihipStream_tbPNSt15iterator_traitsISE_E10value_typeEPNSK_ISF_E10value_typeEPSG_NS1_7vsmem_tEENKUlT_SE_SF_SG_E_clIS8_S8_S9_S9_EESD_ST_SE_SF_SG_EUlST_E_NS1_11comp_targetILNS1_3genE10ELNS1_11target_archE1201ELNS1_3gpuE5ELNS1_3repE0EEENS1_48merge_mergepath_partition_config_static_selectorELNS0_4arch9wavefront6targetE0EEEvSF_
	.p2align	8
	.type	_ZN7rocprim17ROCPRIM_400000_NS6detail17trampoline_kernelINS0_14default_configENS1_38merge_sort_block_merge_config_selectorIaNS0_10empty_typeEEEZZNS1_27merge_sort_block_merge_implIS3_PaPS5_jNS1_19radix_merge_compareILb0ELb0EaNS0_19identity_decomposerEEEEE10hipError_tT0_T1_T2_jT3_P12ihipStream_tbPNSt15iterator_traitsISE_E10value_typeEPNSK_ISF_E10value_typeEPSG_NS1_7vsmem_tEENKUlT_SE_SF_SG_E_clIS8_S8_S9_S9_EESD_ST_SE_SF_SG_EUlST_E_NS1_11comp_targetILNS1_3genE10ELNS1_11target_archE1201ELNS1_3gpuE5ELNS1_3repE0EEENS1_48merge_mergepath_partition_config_static_selectorELNS0_4arch9wavefront6targetE0EEEvSF_,@function
_ZN7rocprim17ROCPRIM_400000_NS6detail17trampoline_kernelINS0_14default_configENS1_38merge_sort_block_merge_config_selectorIaNS0_10empty_typeEEEZZNS1_27merge_sort_block_merge_implIS3_PaPS5_jNS1_19radix_merge_compareILb0ELb0EaNS0_19identity_decomposerEEEEE10hipError_tT0_T1_T2_jT3_P12ihipStream_tbPNSt15iterator_traitsISE_E10value_typeEPNSK_ISF_E10value_typeEPSG_NS1_7vsmem_tEENKUlT_SE_SF_SG_E_clIS8_S8_S9_S9_EESD_ST_SE_SF_SG_EUlST_E_NS1_11comp_targetILNS1_3genE10ELNS1_11target_archE1201ELNS1_3gpuE5ELNS1_3repE0EEENS1_48merge_mergepath_partition_config_static_selectorELNS0_4arch9wavefront6targetE0EEEvSF_: ; @_ZN7rocprim17ROCPRIM_400000_NS6detail17trampoline_kernelINS0_14default_configENS1_38merge_sort_block_merge_config_selectorIaNS0_10empty_typeEEEZZNS1_27merge_sort_block_merge_implIS3_PaPS5_jNS1_19radix_merge_compareILb0ELb0EaNS0_19identity_decomposerEEEEE10hipError_tT0_T1_T2_jT3_P12ihipStream_tbPNSt15iterator_traitsISE_E10value_typeEPNSK_ISF_E10value_typeEPSG_NS1_7vsmem_tEENKUlT_SE_SF_SG_E_clIS8_S8_S9_S9_EESD_ST_SE_SF_SG_EUlST_E_NS1_11comp_targetILNS1_3genE10ELNS1_11target_archE1201ELNS1_3gpuE5ELNS1_3repE0EEENS1_48merge_mergepath_partition_config_static_selectorELNS0_4arch9wavefront6targetE0EEEvSF_
; %bb.0:
	.section	.rodata,"a",@progbits
	.p2align	6, 0x0
	.amdhsa_kernel _ZN7rocprim17ROCPRIM_400000_NS6detail17trampoline_kernelINS0_14default_configENS1_38merge_sort_block_merge_config_selectorIaNS0_10empty_typeEEEZZNS1_27merge_sort_block_merge_implIS3_PaPS5_jNS1_19radix_merge_compareILb0ELb0EaNS0_19identity_decomposerEEEEE10hipError_tT0_T1_T2_jT3_P12ihipStream_tbPNSt15iterator_traitsISE_E10value_typeEPNSK_ISF_E10value_typeEPSG_NS1_7vsmem_tEENKUlT_SE_SF_SG_E_clIS8_S8_S9_S9_EESD_ST_SE_SF_SG_EUlST_E_NS1_11comp_targetILNS1_3genE10ELNS1_11target_archE1201ELNS1_3gpuE5ELNS1_3repE0EEENS1_48merge_mergepath_partition_config_static_selectorELNS0_4arch9wavefront6targetE0EEEvSF_
		.amdhsa_group_segment_fixed_size 0
		.amdhsa_private_segment_fixed_size 0
		.amdhsa_kernarg_size 40
		.amdhsa_user_sgpr_count 2
		.amdhsa_user_sgpr_dispatch_ptr 0
		.amdhsa_user_sgpr_queue_ptr 0
		.amdhsa_user_sgpr_kernarg_segment_ptr 1
		.amdhsa_user_sgpr_dispatch_id 0
		.amdhsa_user_sgpr_kernarg_preload_length 0
		.amdhsa_user_sgpr_kernarg_preload_offset 0
		.amdhsa_user_sgpr_private_segment_size 0
		.amdhsa_wavefront_size32 1
		.amdhsa_uses_dynamic_stack 0
		.amdhsa_enable_private_segment 0
		.amdhsa_system_sgpr_workgroup_id_x 1
		.amdhsa_system_sgpr_workgroup_id_y 0
		.amdhsa_system_sgpr_workgroup_id_z 0
		.amdhsa_system_sgpr_workgroup_info 0
		.amdhsa_system_vgpr_workitem_id 0
		.amdhsa_next_free_vgpr 1
		.amdhsa_next_free_sgpr 1
		.amdhsa_named_barrier_count 0
		.amdhsa_reserve_vcc 0
		.amdhsa_float_round_mode_32 0
		.amdhsa_float_round_mode_16_64 0
		.amdhsa_float_denorm_mode_32 3
		.amdhsa_float_denorm_mode_16_64 3
		.amdhsa_fp16_overflow 0
		.amdhsa_memory_ordered 1
		.amdhsa_forward_progress 1
		.amdhsa_inst_pref_size 0
		.amdhsa_round_robin_scheduling 0
		.amdhsa_exception_fp_ieee_invalid_op 0
		.amdhsa_exception_fp_denorm_src 0
		.amdhsa_exception_fp_ieee_div_zero 0
		.amdhsa_exception_fp_ieee_overflow 0
		.amdhsa_exception_fp_ieee_underflow 0
		.amdhsa_exception_fp_ieee_inexact 0
		.amdhsa_exception_int_div_zero 0
	.end_amdhsa_kernel
	.section	.text._ZN7rocprim17ROCPRIM_400000_NS6detail17trampoline_kernelINS0_14default_configENS1_38merge_sort_block_merge_config_selectorIaNS0_10empty_typeEEEZZNS1_27merge_sort_block_merge_implIS3_PaPS5_jNS1_19radix_merge_compareILb0ELb0EaNS0_19identity_decomposerEEEEE10hipError_tT0_T1_T2_jT3_P12ihipStream_tbPNSt15iterator_traitsISE_E10value_typeEPNSK_ISF_E10value_typeEPSG_NS1_7vsmem_tEENKUlT_SE_SF_SG_E_clIS8_S8_S9_S9_EESD_ST_SE_SF_SG_EUlST_E_NS1_11comp_targetILNS1_3genE10ELNS1_11target_archE1201ELNS1_3gpuE5ELNS1_3repE0EEENS1_48merge_mergepath_partition_config_static_selectorELNS0_4arch9wavefront6targetE0EEEvSF_,"axG",@progbits,_ZN7rocprim17ROCPRIM_400000_NS6detail17trampoline_kernelINS0_14default_configENS1_38merge_sort_block_merge_config_selectorIaNS0_10empty_typeEEEZZNS1_27merge_sort_block_merge_implIS3_PaPS5_jNS1_19radix_merge_compareILb0ELb0EaNS0_19identity_decomposerEEEEE10hipError_tT0_T1_T2_jT3_P12ihipStream_tbPNSt15iterator_traitsISE_E10value_typeEPNSK_ISF_E10value_typeEPSG_NS1_7vsmem_tEENKUlT_SE_SF_SG_E_clIS8_S8_S9_S9_EESD_ST_SE_SF_SG_EUlST_E_NS1_11comp_targetILNS1_3genE10ELNS1_11target_archE1201ELNS1_3gpuE5ELNS1_3repE0EEENS1_48merge_mergepath_partition_config_static_selectorELNS0_4arch9wavefront6targetE0EEEvSF_,comdat
.Lfunc_end401:
	.size	_ZN7rocprim17ROCPRIM_400000_NS6detail17trampoline_kernelINS0_14default_configENS1_38merge_sort_block_merge_config_selectorIaNS0_10empty_typeEEEZZNS1_27merge_sort_block_merge_implIS3_PaPS5_jNS1_19radix_merge_compareILb0ELb0EaNS0_19identity_decomposerEEEEE10hipError_tT0_T1_T2_jT3_P12ihipStream_tbPNSt15iterator_traitsISE_E10value_typeEPNSK_ISF_E10value_typeEPSG_NS1_7vsmem_tEENKUlT_SE_SF_SG_E_clIS8_S8_S9_S9_EESD_ST_SE_SF_SG_EUlST_E_NS1_11comp_targetILNS1_3genE10ELNS1_11target_archE1201ELNS1_3gpuE5ELNS1_3repE0EEENS1_48merge_mergepath_partition_config_static_selectorELNS0_4arch9wavefront6targetE0EEEvSF_, .Lfunc_end401-_ZN7rocprim17ROCPRIM_400000_NS6detail17trampoline_kernelINS0_14default_configENS1_38merge_sort_block_merge_config_selectorIaNS0_10empty_typeEEEZZNS1_27merge_sort_block_merge_implIS3_PaPS5_jNS1_19radix_merge_compareILb0ELb0EaNS0_19identity_decomposerEEEEE10hipError_tT0_T1_T2_jT3_P12ihipStream_tbPNSt15iterator_traitsISE_E10value_typeEPNSK_ISF_E10value_typeEPSG_NS1_7vsmem_tEENKUlT_SE_SF_SG_E_clIS8_S8_S9_S9_EESD_ST_SE_SF_SG_EUlST_E_NS1_11comp_targetILNS1_3genE10ELNS1_11target_archE1201ELNS1_3gpuE5ELNS1_3repE0EEENS1_48merge_mergepath_partition_config_static_selectorELNS0_4arch9wavefront6targetE0EEEvSF_
                                        ; -- End function
	.set _ZN7rocprim17ROCPRIM_400000_NS6detail17trampoline_kernelINS0_14default_configENS1_38merge_sort_block_merge_config_selectorIaNS0_10empty_typeEEEZZNS1_27merge_sort_block_merge_implIS3_PaPS5_jNS1_19radix_merge_compareILb0ELb0EaNS0_19identity_decomposerEEEEE10hipError_tT0_T1_T2_jT3_P12ihipStream_tbPNSt15iterator_traitsISE_E10value_typeEPNSK_ISF_E10value_typeEPSG_NS1_7vsmem_tEENKUlT_SE_SF_SG_E_clIS8_S8_S9_S9_EESD_ST_SE_SF_SG_EUlST_E_NS1_11comp_targetILNS1_3genE10ELNS1_11target_archE1201ELNS1_3gpuE5ELNS1_3repE0EEENS1_48merge_mergepath_partition_config_static_selectorELNS0_4arch9wavefront6targetE0EEEvSF_.num_vgpr, 0
	.set _ZN7rocprim17ROCPRIM_400000_NS6detail17trampoline_kernelINS0_14default_configENS1_38merge_sort_block_merge_config_selectorIaNS0_10empty_typeEEEZZNS1_27merge_sort_block_merge_implIS3_PaPS5_jNS1_19radix_merge_compareILb0ELb0EaNS0_19identity_decomposerEEEEE10hipError_tT0_T1_T2_jT3_P12ihipStream_tbPNSt15iterator_traitsISE_E10value_typeEPNSK_ISF_E10value_typeEPSG_NS1_7vsmem_tEENKUlT_SE_SF_SG_E_clIS8_S8_S9_S9_EESD_ST_SE_SF_SG_EUlST_E_NS1_11comp_targetILNS1_3genE10ELNS1_11target_archE1201ELNS1_3gpuE5ELNS1_3repE0EEENS1_48merge_mergepath_partition_config_static_selectorELNS0_4arch9wavefront6targetE0EEEvSF_.num_agpr, 0
	.set _ZN7rocprim17ROCPRIM_400000_NS6detail17trampoline_kernelINS0_14default_configENS1_38merge_sort_block_merge_config_selectorIaNS0_10empty_typeEEEZZNS1_27merge_sort_block_merge_implIS3_PaPS5_jNS1_19radix_merge_compareILb0ELb0EaNS0_19identity_decomposerEEEEE10hipError_tT0_T1_T2_jT3_P12ihipStream_tbPNSt15iterator_traitsISE_E10value_typeEPNSK_ISF_E10value_typeEPSG_NS1_7vsmem_tEENKUlT_SE_SF_SG_E_clIS8_S8_S9_S9_EESD_ST_SE_SF_SG_EUlST_E_NS1_11comp_targetILNS1_3genE10ELNS1_11target_archE1201ELNS1_3gpuE5ELNS1_3repE0EEENS1_48merge_mergepath_partition_config_static_selectorELNS0_4arch9wavefront6targetE0EEEvSF_.numbered_sgpr, 0
	.set _ZN7rocprim17ROCPRIM_400000_NS6detail17trampoline_kernelINS0_14default_configENS1_38merge_sort_block_merge_config_selectorIaNS0_10empty_typeEEEZZNS1_27merge_sort_block_merge_implIS3_PaPS5_jNS1_19radix_merge_compareILb0ELb0EaNS0_19identity_decomposerEEEEE10hipError_tT0_T1_T2_jT3_P12ihipStream_tbPNSt15iterator_traitsISE_E10value_typeEPNSK_ISF_E10value_typeEPSG_NS1_7vsmem_tEENKUlT_SE_SF_SG_E_clIS8_S8_S9_S9_EESD_ST_SE_SF_SG_EUlST_E_NS1_11comp_targetILNS1_3genE10ELNS1_11target_archE1201ELNS1_3gpuE5ELNS1_3repE0EEENS1_48merge_mergepath_partition_config_static_selectorELNS0_4arch9wavefront6targetE0EEEvSF_.num_named_barrier, 0
	.set _ZN7rocprim17ROCPRIM_400000_NS6detail17trampoline_kernelINS0_14default_configENS1_38merge_sort_block_merge_config_selectorIaNS0_10empty_typeEEEZZNS1_27merge_sort_block_merge_implIS3_PaPS5_jNS1_19radix_merge_compareILb0ELb0EaNS0_19identity_decomposerEEEEE10hipError_tT0_T1_T2_jT3_P12ihipStream_tbPNSt15iterator_traitsISE_E10value_typeEPNSK_ISF_E10value_typeEPSG_NS1_7vsmem_tEENKUlT_SE_SF_SG_E_clIS8_S8_S9_S9_EESD_ST_SE_SF_SG_EUlST_E_NS1_11comp_targetILNS1_3genE10ELNS1_11target_archE1201ELNS1_3gpuE5ELNS1_3repE0EEENS1_48merge_mergepath_partition_config_static_selectorELNS0_4arch9wavefront6targetE0EEEvSF_.private_seg_size, 0
	.set _ZN7rocprim17ROCPRIM_400000_NS6detail17trampoline_kernelINS0_14default_configENS1_38merge_sort_block_merge_config_selectorIaNS0_10empty_typeEEEZZNS1_27merge_sort_block_merge_implIS3_PaPS5_jNS1_19radix_merge_compareILb0ELb0EaNS0_19identity_decomposerEEEEE10hipError_tT0_T1_T2_jT3_P12ihipStream_tbPNSt15iterator_traitsISE_E10value_typeEPNSK_ISF_E10value_typeEPSG_NS1_7vsmem_tEENKUlT_SE_SF_SG_E_clIS8_S8_S9_S9_EESD_ST_SE_SF_SG_EUlST_E_NS1_11comp_targetILNS1_3genE10ELNS1_11target_archE1201ELNS1_3gpuE5ELNS1_3repE0EEENS1_48merge_mergepath_partition_config_static_selectorELNS0_4arch9wavefront6targetE0EEEvSF_.uses_vcc, 0
	.set _ZN7rocprim17ROCPRIM_400000_NS6detail17trampoline_kernelINS0_14default_configENS1_38merge_sort_block_merge_config_selectorIaNS0_10empty_typeEEEZZNS1_27merge_sort_block_merge_implIS3_PaPS5_jNS1_19radix_merge_compareILb0ELb0EaNS0_19identity_decomposerEEEEE10hipError_tT0_T1_T2_jT3_P12ihipStream_tbPNSt15iterator_traitsISE_E10value_typeEPNSK_ISF_E10value_typeEPSG_NS1_7vsmem_tEENKUlT_SE_SF_SG_E_clIS8_S8_S9_S9_EESD_ST_SE_SF_SG_EUlST_E_NS1_11comp_targetILNS1_3genE10ELNS1_11target_archE1201ELNS1_3gpuE5ELNS1_3repE0EEENS1_48merge_mergepath_partition_config_static_selectorELNS0_4arch9wavefront6targetE0EEEvSF_.uses_flat_scratch, 0
	.set _ZN7rocprim17ROCPRIM_400000_NS6detail17trampoline_kernelINS0_14default_configENS1_38merge_sort_block_merge_config_selectorIaNS0_10empty_typeEEEZZNS1_27merge_sort_block_merge_implIS3_PaPS5_jNS1_19radix_merge_compareILb0ELb0EaNS0_19identity_decomposerEEEEE10hipError_tT0_T1_T2_jT3_P12ihipStream_tbPNSt15iterator_traitsISE_E10value_typeEPNSK_ISF_E10value_typeEPSG_NS1_7vsmem_tEENKUlT_SE_SF_SG_E_clIS8_S8_S9_S9_EESD_ST_SE_SF_SG_EUlST_E_NS1_11comp_targetILNS1_3genE10ELNS1_11target_archE1201ELNS1_3gpuE5ELNS1_3repE0EEENS1_48merge_mergepath_partition_config_static_selectorELNS0_4arch9wavefront6targetE0EEEvSF_.has_dyn_sized_stack, 0
	.set _ZN7rocprim17ROCPRIM_400000_NS6detail17trampoline_kernelINS0_14default_configENS1_38merge_sort_block_merge_config_selectorIaNS0_10empty_typeEEEZZNS1_27merge_sort_block_merge_implIS3_PaPS5_jNS1_19radix_merge_compareILb0ELb0EaNS0_19identity_decomposerEEEEE10hipError_tT0_T1_T2_jT3_P12ihipStream_tbPNSt15iterator_traitsISE_E10value_typeEPNSK_ISF_E10value_typeEPSG_NS1_7vsmem_tEENKUlT_SE_SF_SG_E_clIS8_S8_S9_S9_EESD_ST_SE_SF_SG_EUlST_E_NS1_11comp_targetILNS1_3genE10ELNS1_11target_archE1201ELNS1_3gpuE5ELNS1_3repE0EEENS1_48merge_mergepath_partition_config_static_selectorELNS0_4arch9wavefront6targetE0EEEvSF_.has_recursion, 0
	.set _ZN7rocprim17ROCPRIM_400000_NS6detail17trampoline_kernelINS0_14default_configENS1_38merge_sort_block_merge_config_selectorIaNS0_10empty_typeEEEZZNS1_27merge_sort_block_merge_implIS3_PaPS5_jNS1_19radix_merge_compareILb0ELb0EaNS0_19identity_decomposerEEEEE10hipError_tT0_T1_T2_jT3_P12ihipStream_tbPNSt15iterator_traitsISE_E10value_typeEPNSK_ISF_E10value_typeEPSG_NS1_7vsmem_tEENKUlT_SE_SF_SG_E_clIS8_S8_S9_S9_EESD_ST_SE_SF_SG_EUlST_E_NS1_11comp_targetILNS1_3genE10ELNS1_11target_archE1201ELNS1_3gpuE5ELNS1_3repE0EEENS1_48merge_mergepath_partition_config_static_selectorELNS0_4arch9wavefront6targetE0EEEvSF_.has_indirect_call, 0
	.section	.AMDGPU.csdata,"",@progbits
; Kernel info:
; codeLenInByte = 0
; TotalNumSgprs: 0
; NumVgprs: 0
; ScratchSize: 0
; MemoryBound: 0
; FloatMode: 240
; IeeeMode: 1
; LDSByteSize: 0 bytes/workgroup (compile time only)
; SGPRBlocks: 0
; VGPRBlocks: 0
; NumSGPRsForWavesPerEU: 1
; NumVGPRsForWavesPerEU: 1
; NamedBarCnt: 0
; Occupancy: 16
; WaveLimiterHint : 0
; COMPUTE_PGM_RSRC2:SCRATCH_EN: 0
; COMPUTE_PGM_RSRC2:USER_SGPR: 2
; COMPUTE_PGM_RSRC2:TRAP_HANDLER: 0
; COMPUTE_PGM_RSRC2:TGID_X_EN: 1
; COMPUTE_PGM_RSRC2:TGID_Y_EN: 0
; COMPUTE_PGM_RSRC2:TGID_Z_EN: 0
; COMPUTE_PGM_RSRC2:TIDIG_COMP_CNT: 0
	.section	.text._ZN7rocprim17ROCPRIM_400000_NS6detail17trampoline_kernelINS0_14default_configENS1_38merge_sort_block_merge_config_selectorIaNS0_10empty_typeEEEZZNS1_27merge_sort_block_merge_implIS3_PaPS5_jNS1_19radix_merge_compareILb0ELb0EaNS0_19identity_decomposerEEEEE10hipError_tT0_T1_T2_jT3_P12ihipStream_tbPNSt15iterator_traitsISE_E10value_typeEPNSK_ISF_E10value_typeEPSG_NS1_7vsmem_tEENKUlT_SE_SF_SG_E_clIS8_S8_S9_S9_EESD_ST_SE_SF_SG_EUlST_E_NS1_11comp_targetILNS1_3genE5ELNS1_11target_archE942ELNS1_3gpuE9ELNS1_3repE0EEENS1_48merge_mergepath_partition_config_static_selectorELNS0_4arch9wavefront6targetE0EEEvSF_,"axG",@progbits,_ZN7rocprim17ROCPRIM_400000_NS6detail17trampoline_kernelINS0_14default_configENS1_38merge_sort_block_merge_config_selectorIaNS0_10empty_typeEEEZZNS1_27merge_sort_block_merge_implIS3_PaPS5_jNS1_19radix_merge_compareILb0ELb0EaNS0_19identity_decomposerEEEEE10hipError_tT0_T1_T2_jT3_P12ihipStream_tbPNSt15iterator_traitsISE_E10value_typeEPNSK_ISF_E10value_typeEPSG_NS1_7vsmem_tEENKUlT_SE_SF_SG_E_clIS8_S8_S9_S9_EESD_ST_SE_SF_SG_EUlST_E_NS1_11comp_targetILNS1_3genE5ELNS1_11target_archE942ELNS1_3gpuE9ELNS1_3repE0EEENS1_48merge_mergepath_partition_config_static_selectorELNS0_4arch9wavefront6targetE0EEEvSF_,comdat
	.protected	_ZN7rocprim17ROCPRIM_400000_NS6detail17trampoline_kernelINS0_14default_configENS1_38merge_sort_block_merge_config_selectorIaNS0_10empty_typeEEEZZNS1_27merge_sort_block_merge_implIS3_PaPS5_jNS1_19radix_merge_compareILb0ELb0EaNS0_19identity_decomposerEEEEE10hipError_tT0_T1_T2_jT3_P12ihipStream_tbPNSt15iterator_traitsISE_E10value_typeEPNSK_ISF_E10value_typeEPSG_NS1_7vsmem_tEENKUlT_SE_SF_SG_E_clIS8_S8_S9_S9_EESD_ST_SE_SF_SG_EUlST_E_NS1_11comp_targetILNS1_3genE5ELNS1_11target_archE942ELNS1_3gpuE9ELNS1_3repE0EEENS1_48merge_mergepath_partition_config_static_selectorELNS0_4arch9wavefront6targetE0EEEvSF_ ; -- Begin function _ZN7rocprim17ROCPRIM_400000_NS6detail17trampoline_kernelINS0_14default_configENS1_38merge_sort_block_merge_config_selectorIaNS0_10empty_typeEEEZZNS1_27merge_sort_block_merge_implIS3_PaPS5_jNS1_19radix_merge_compareILb0ELb0EaNS0_19identity_decomposerEEEEE10hipError_tT0_T1_T2_jT3_P12ihipStream_tbPNSt15iterator_traitsISE_E10value_typeEPNSK_ISF_E10value_typeEPSG_NS1_7vsmem_tEENKUlT_SE_SF_SG_E_clIS8_S8_S9_S9_EESD_ST_SE_SF_SG_EUlST_E_NS1_11comp_targetILNS1_3genE5ELNS1_11target_archE942ELNS1_3gpuE9ELNS1_3repE0EEENS1_48merge_mergepath_partition_config_static_selectorELNS0_4arch9wavefront6targetE0EEEvSF_
	.globl	_ZN7rocprim17ROCPRIM_400000_NS6detail17trampoline_kernelINS0_14default_configENS1_38merge_sort_block_merge_config_selectorIaNS0_10empty_typeEEEZZNS1_27merge_sort_block_merge_implIS3_PaPS5_jNS1_19radix_merge_compareILb0ELb0EaNS0_19identity_decomposerEEEEE10hipError_tT0_T1_T2_jT3_P12ihipStream_tbPNSt15iterator_traitsISE_E10value_typeEPNSK_ISF_E10value_typeEPSG_NS1_7vsmem_tEENKUlT_SE_SF_SG_E_clIS8_S8_S9_S9_EESD_ST_SE_SF_SG_EUlST_E_NS1_11comp_targetILNS1_3genE5ELNS1_11target_archE942ELNS1_3gpuE9ELNS1_3repE0EEENS1_48merge_mergepath_partition_config_static_selectorELNS0_4arch9wavefront6targetE0EEEvSF_
	.p2align	8
	.type	_ZN7rocprim17ROCPRIM_400000_NS6detail17trampoline_kernelINS0_14default_configENS1_38merge_sort_block_merge_config_selectorIaNS0_10empty_typeEEEZZNS1_27merge_sort_block_merge_implIS3_PaPS5_jNS1_19radix_merge_compareILb0ELb0EaNS0_19identity_decomposerEEEEE10hipError_tT0_T1_T2_jT3_P12ihipStream_tbPNSt15iterator_traitsISE_E10value_typeEPNSK_ISF_E10value_typeEPSG_NS1_7vsmem_tEENKUlT_SE_SF_SG_E_clIS8_S8_S9_S9_EESD_ST_SE_SF_SG_EUlST_E_NS1_11comp_targetILNS1_3genE5ELNS1_11target_archE942ELNS1_3gpuE9ELNS1_3repE0EEENS1_48merge_mergepath_partition_config_static_selectorELNS0_4arch9wavefront6targetE0EEEvSF_,@function
_ZN7rocprim17ROCPRIM_400000_NS6detail17trampoline_kernelINS0_14default_configENS1_38merge_sort_block_merge_config_selectorIaNS0_10empty_typeEEEZZNS1_27merge_sort_block_merge_implIS3_PaPS5_jNS1_19radix_merge_compareILb0ELb0EaNS0_19identity_decomposerEEEEE10hipError_tT0_T1_T2_jT3_P12ihipStream_tbPNSt15iterator_traitsISE_E10value_typeEPNSK_ISF_E10value_typeEPSG_NS1_7vsmem_tEENKUlT_SE_SF_SG_E_clIS8_S8_S9_S9_EESD_ST_SE_SF_SG_EUlST_E_NS1_11comp_targetILNS1_3genE5ELNS1_11target_archE942ELNS1_3gpuE9ELNS1_3repE0EEENS1_48merge_mergepath_partition_config_static_selectorELNS0_4arch9wavefront6targetE0EEEvSF_: ; @_ZN7rocprim17ROCPRIM_400000_NS6detail17trampoline_kernelINS0_14default_configENS1_38merge_sort_block_merge_config_selectorIaNS0_10empty_typeEEEZZNS1_27merge_sort_block_merge_implIS3_PaPS5_jNS1_19radix_merge_compareILb0ELb0EaNS0_19identity_decomposerEEEEE10hipError_tT0_T1_T2_jT3_P12ihipStream_tbPNSt15iterator_traitsISE_E10value_typeEPNSK_ISF_E10value_typeEPSG_NS1_7vsmem_tEENKUlT_SE_SF_SG_E_clIS8_S8_S9_S9_EESD_ST_SE_SF_SG_EUlST_E_NS1_11comp_targetILNS1_3genE5ELNS1_11target_archE942ELNS1_3gpuE9ELNS1_3repE0EEENS1_48merge_mergepath_partition_config_static_selectorELNS0_4arch9wavefront6targetE0EEEvSF_
; %bb.0:
	.section	.rodata,"a",@progbits
	.p2align	6, 0x0
	.amdhsa_kernel _ZN7rocprim17ROCPRIM_400000_NS6detail17trampoline_kernelINS0_14default_configENS1_38merge_sort_block_merge_config_selectorIaNS0_10empty_typeEEEZZNS1_27merge_sort_block_merge_implIS3_PaPS5_jNS1_19radix_merge_compareILb0ELb0EaNS0_19identity_decomposerEEEEE10hipError_tT0_T1_T2_jT3_P12ihipStream_tbPNSt15iterator_traitsISE_E10value_typeEPNSK_ISF_E10value_typeEPSG_NS1_7vsmem_tEENKUlT_SE_SF_SG_E_clIS8_S8_S9_S9_EESD_ST_SE_SF_SG_EUlST_E_NS1_11comp_targetILNS1_3genE5ELNS1_11target_archE942ELNS1_3gpuE9ELNS1_3repE0EEENS1_48merge_mergepath_partition_config_static_selectorELNS0_4arch9wavefront6targetE0EEEvSF_
		.amdhsa_group_segment_fixed_size 0
		.amdhsa_private_segment_fixed_size 0
		.amdhsa_kernarg_size 40
		.amdhsa_user_sgpr_count 2
		.amdhsa_user_sgpr_dispatch_ptr 0
		.amdhsa_user_sgpr_queue_ptr 0
		.amdhsa_user_sgpr_kernarg_segment_ptr 1
		.amdhsa_user_sgpr_dispatch_id 0
		.amdhsa_user_sgpr_kernarg_preload_length 0
		.amdhsa_user_sgpr_kernarg_preload_offset 0
		.amdhsa_user_sgpr_private_segment_size 0
		.amdhsa_wavefront_size32 1
		.amdhsa_uses_dynamic_stack 0
		.amdhsa_enable_private_segment 0
		.amdhsa_system_sgpr_workgroup_id_x 1
		.amdhsa_system_sgpr_workgroup_id_y 0
		.amdhsa_system_sgpr_workgroup_id_z 0
		.amdhsa_system_sgpr_workgroup_info 0
		.amdhsa_system_vgpr_workitem_id 0
		.amdhsa_next_free_vgpr 1
		.amdhsa_next_free_sgpr 1
		.amdhsa_named_barrier_count 0
		.amdhsa_reserve_vcc 0
		.amdhsa_float_round_mode_32 0
		.amdhsa_float_round_mode_16_64 0
		.amdhsa_float_denorm_mode_32 3
		.amdhsa_float_denorm_mode_16_64 3
		.amdhsa_fp16_overflow 0
		.amdhsa_memory_ordered 1
		.amdhsa_forward_progress 1
		.amdhsa_inst_pref_size 0
		.amdhsa_round_robin_scheduling 0
		.amdhsa_exception_fp_ieee_invalid_op 0
		.amdhsa_exception_fp_denorm_src 0
		.amdhsa_exception_fp_ieee_div_zero 0
		.amdhsa_exception_fp_ieee_overflow 0
		.amdhsa_exception_fp_ieee_underflow 0
		.amdhsa_exception_fp_ieee_inexact 0
		.amdhsa_exception_int_div_zero 0
	.end_amdhsa_kernel
	.section	.text._ZN7rocprim17ROCPRIM_400000_NS6detail17trampoline_kernelINS0_14default_configENS1_38merge_sort_block_merge_config_selectorIaNS0_10empty_typeEEEZZNS1_27merge_sort_block_merge_implIS3_PaPS5_jNS1_19radix_merge_compareILb0ELb0EaNS0_19identity_decomposerEEEEE10hipError_tT0_T1_T2_jT3_P12ihipStream_tbPNSt15iterator_traitsISE_E10value_typeEPNSK_ISF_E10value_typeEPSG_NS1_7vsmem_tEENKUlT_SE_SF_SG_E_clIS8_S8_S9_S9_EESD_ST_SE_SF_SG_EUlST_E_NS1_11comp_targetILNS1_3genE5ELNS1_11target_archE942ELNS1_3gpuE9ELNS1_3repE0EEENS1_48merge_mergepath_partition_config_static_selectorELNS0_4arch9wavefront6targetE0EEEvSF_,"axG",@progbits,_ZN7rocprim17ROCPRIM_400000_NS6detail17trampoline_kernelINS0_14default_configENS1_38merge_sort_block_merge_config_selectorIaNS0_10empty_typeEEEZZNS1_27merge_sort_block_merge_implIS3_PaPS5_jNS1_19radix_merge_compareILb0ELb0EaNS0_19identity_decomposerEEEEE10hipError_tT0_T1_T2_jT3_P12ihipStream_tbPNSt15iterator_traitsISE_E10value_typeEPNSK_ISF_E10value_typeEPSG_NS1_7vsmem_tEENKUlT_SE_SF_SG_E_clIS8_S8_S9_S9_EESD_ST_SE_SF_SG_EUlST_E_NS1_11comp_targetILNS1_3genE5ELNS1_11target_archE942ELNS1_3gpuE9ELNS1_3repE0EEENS1_48merge_mergepath_partition_config_static_selectorELNS0_4arch9wavefront6targetE0EEEvSF_,comdat
.Lfunc_end402:
	.size	_ZN7rocprim17ROCPRIM_400000_NS6detail17trampoline_kernelINS0_14default_configENS1_38merge_sort_block_merge_config_selectorIaNS0_10empty_typeEEEZZNS1_27merge_sort_block_merge_implIS3_PaPS5_jNS1_19radix_merge_compareILb0ELb0EaNS0_19identity_decomposerEEEEE10hipError_tT0_T1_T2_jT3_P12ihipStream_tbPNSt15iterator_traitsISE_E10value_typeEPNSK_ISF_E10value_typeEPSG_NS1_7vsmem_tEENKUlT_SE_SF_SG_E_clIS8_S8_S9_S9_EESD_ST_SE_SF_SG_EUlST_E_NS1_11comp_targetILNS1_3genE5ELNS1_11target_archE942ELNS1_3gpuE9ELNS1_3repE0EEENS1_48merge_mergepath_partition_config_static_selectorELNS0_4arch9wavefront6targetE0EEEvSF_, .Lfunc_end402-_ZN7rocprim17ROCPRIM_400000_NS6detail17trampoline_kernelINS0_14default_configENS1_38merge_sort_block_merge_config_selectorIaNS0_10empty_typeEEEZZNS1_27merge_sort_block_merge_implIS3_PaPS5_jNS1_19radix_merge_compareILb0ELb0EaNS0_19identity_decomposerEEEEE10hipError_tT0_T1_T2_jT3_P12ihipStream_tbPNSt15iterator_traitsISE_E10value_typeEPNSK_ISF_E10value_typeEPSG_NS1_7vsmem_tEENKUlT_SE_SF_SG_E_clIS8_S8_S9_S9_EESD_ST_SE_SF_SG_EUlST_E_NS1_11comp_targetILNS1_3genE5ELNS1_11target_archE942ELNS1_3gpuE9ELNS1_3repE0EEENS1_48merge_mergepath_partition_config_static_selectorELNS0_4arch9wavefront6targetE0EEEvSF_
                                        ; -- End function
	.set _ZN7rocprim17ROCPRIM_400000_NS6detail17trampoline_kernelINS0_14default_configENS1_38merge_sort_block_merge_config_selectorIaNS0_10empty_typeEEEZZNS1_27merge_sort_block_merge_implIS3_PaPS5_jNS1_19radix_merge_compareILb0ELb0EaNS0_19identity_decomposerEEEEE10hipError_tT0_T1_T2_jT3_P12ihipStream_tbPNSt15iterator_traitsISE_E10value_typeEPNSK_ISF_E10value_typeEPSG_NS1_7vsmem_tEENKUlT_SE_SF_SG_E_clIS8_S8_S9_S9_EESD_ST_SE_SF_SG_EUlST_E_NS1_11comp_targetILNS1_3genE5ELNS1_11target_archE942ELNS1_3gpuE9ELNS1_3repE0EEENS1_48merge_mergepath_partition_config_static_selectorELNS0_4arch9wavefront6targetE0EEEvSF_.num_vgpr, 0
	.set _ZN7rocprim17ROCPRIM_400000_NS6detail17trampoline_kernelINS0_14default_configENS1_38merge_sort_block_merge_config_selectorIaNS0_10empty_typeEEEZZNS1_27merge_sort_block_merge_implIS3_PaPS5_jNS1_19radix_merge_compareILb0ELb0EaNS0_19identity_decomposerEEEEE10hipError_tT0_T1_T2_jT3_P12ihipStream_tbPNSt15iterator_traitsISE_E10value_typeEPNSK_ISF_E10value_typeEPSG_NS1_7vsmem_tEENKUlT_SE_SF_SG_E_clIS8_S8_S9_S9_EESD_ST_SE_SF_SG_EUlST_E_NS1_11comp_targetILNS1_3genE5ELNS1_11target_archE942ELNS1_3gpuE9ELNS1_3repE0EEENS1_48merge_mergepath_partition_config_static_selectorELNS0_4arch9wavefront6targetE0EEEvSF_.num_agpr, 0
	.set _ZN7rocprim17ROCPRIM_400000_NS6detail17trampoline_kernelINS0_14default_configENS1_38merge_sort_block_merge_config_selectorIaNS0_10empty_typeEEEZZNS1_27merge_sort_block_merge_implIS3_PaPS5_jNS1_19radix_merge_compareILb0ELb0EaNS0_19identity_decomposerEEEEE10hipError_tT0_T1_T2_jT3_P12ihipStream_tbPNSt15iterator_traitsISE_E10value_typeEPNSK_ISF_E10value_typeEPSG_NS1_7vsmem_tEENKUlT_SE_SF_SG_E_clIS8_S8_S9_S9_EESD_ST_SE_SF_SG_EUlST_E_NS1_11comp_targetILNS1_3genE5ELNS1_11target_archE942ELNS1_3gpuE9ELNS1_3repE0EEENS1_48merge_mergepath_partition_config_static_selectorELNS0_4arch9wavefront6targetE0EEEvSF_.numbered_sgpr, 0
	.set _ZN7rocprim17ROCPRIM_400000_NS6detail17trampoline_kernelINS0_14default_configENS1_38merge_sort_block_merge_config_selectorIaNS0_10empty_typeEEEZZNS1_27merge_sort_block_merge_implIS3_PaPS5_jNS1_19radix_merge_compareILb0ELb0EaNS0_19identity_decomposerEEEEE10hipError_tT0_T1_T2_jT3_P12ihipStream_tbPNSt15iterator_traitsISE_E10value_typeEPNSK_ISF_E10value_typeEPSG_NS1_7vsmem_tEENKUlT_SE_SF_SG_E_clIS8_S8_S9_S9_EESD_ST_SE_SF_SG_EUlST_E_NS1_11comp_targetILNS1_3genE5ELNS1_11target_archE942ELNS1_3gpuE9ELNS1_3repE0EEENS1_48merge_mergepath_partition_config_static_selectorELNS0_4arch9wavefront6targetE0EEEvSF_.num_named_barrier, 0
	.set _ZN7rocprim17ROCPRIM_400000_NS6detail17trampoline_kernelINS0_14default_configENS1_38merge_sort_block_merge_config_selectorIaNS0_10empty_typeEEEZZNS1_27merge_sort_block_merge_implIS3_PaPS5_jNS1_19radix_merge_compareILb0ELb0EaNS0_19identity_decomposerEEEEE10hipError_tT0_T1_T2_jT3_P12ihipStream_tbPNSt15iterator_traitsISE_E10value_typeEPNSK_ISF_E10value_typeEPSG_NS1_7vsmem_tEENKUlT_SE_SF_SG_E_clIS8_S8_S9_S9_EESD_ST_SE_SF_SG_EUlST_E_NS1_11comp_targetILNS1_3genE5ELNS1_11target_archE942ELNS1_3gpuE9ELNS1_3repE0EEENS1_48merge_mergepath_partition_config_static_selectorELNS0_4arch9wavefront6targetE0EEEvSF_.private_seg_size, 0
	.set _ZN7rocprim17ROCPRIM_400000_NS6detail17trampoline_kernelINS0_14default_configENS1_38merge_sort_block_merge_config_selectorIaNS0_10empty_typeEEEZZNS1_27merge_sort_block_merge_implIS3_PaPS5_jNS1_19radix_merge_compareILb0ELb0EaNS0_19identity_decomposerEEEEE10hipError_tT0_T1_T2_jT3_P12ihipStream_tbPNSt15iterator_traitsISE_E10value_typeEPNSK_ISF_E10value_typeEPSG_NS1_7vsmem_tEENKUlT_SE_SF_SG_E_clIS8_S8_S9_S9_EESD_ST_SE_SF_SG_EUlST_E_NS1_11comp_targetILNS1_3genE5ELNS1_11target_archE942ELNS1_3gpuE9ELNS1_3repE0EEENS1_48merge_mergepath_partition_config_static_selectorELNS0_4arch9wavefront6targetE0EEEvSF_.uses_vcc, 0
	.set _ZN7rocprim17ROCPRIM_400000_NS6detail17trampoline_kernelINS0_14default_configENS1_38merge_sort_block_merge_config_selectorIaNS0_10empty_typeEEEZZNS1_27merge_sort_block_merge_implIS3_PaPS5_jNS1_19radix_merge_compareILb0ELb0EaNS0_19identity_decomposerEEEEE10hipError_tT0_T1_T2_jT3_P12ihipStream_tbPNSt15iterator_traitsISE_E10value_typeEPNSK_ISF_E10value_typeEPSG_NS1_7vsmem_tEENKUlT_SE_SF_SG_E_clIS8_S8_S9_S9_EESD_ST_SE_SF_SG_EUlST_E_NS1_11comp_targetILNS1_3genE5ELNS1_11target_archE942ELNS1_3gpuE9ELNS1_3repE0EEENS1_48merge_mergepath_partition_config_static_selectorELNS0_4arch9wavefront6targetE0EEEvSF_.uses_flat_scratch, 0
	.set _ZN7rocprim17ROCPRIM_400000_NS6detail17trampoline_kernelINS0_14default_configENS1_38merge_sort_block_merge_config_selectorIaNS0_10empty_typeEEEZZNS1_27merge_sort_block_merge_implIS3_PaPS5_jNS1_19radix_merge_compareILb0ELb0EaNS0_19identity_decomposerEEEEE10hipError_tT0_T1_T2_jT3_P12ihipStream_tbPNSt15iterator_traitsISE_E10value_typeEPNSK_ISF_E10value_typeEPSG_NS1_7vsmem_tEENKUlT_SE_SF_SG_E_clIS8_S8_S9_S9_EESD_ST_SE_SF_SG_EUlST_E_NS1_11comp_targetILNS1_3genE5ELNS1_11target_archE942ELNS1_3gpuE9ELNS1_3repE0EEENS1_48merge_mergepath_partition_config_static_selectorELNS0_4arch9wavefront6targetE0EEEvSF_.has_dyn_sized_stack, 0
	.set _ZN7rocprim17ROCPRIM_400000_NS6detail17trampoline_kernelINS0_14default_configENS1_38merge_sort_block_merge_config_selectorIaNS0_10empty_typeEEEZZNS1_27merge_sort_block_merge_implIS3_PaPS5_jNS1_19radix_merge_compareILb0ELb0EaNS0_19identity_decomposerEEEEE10hipError_tT0_T1_T2_jT3_P12ihipStream_tbPNSt15iterator_traitsISE_E10value_typeEPNSK_ISF_E10value_typeEPSG_NS1_7vsmem_tEENKUlT_SE_SF_SG_E_clIS8_S8_S9_S9_EESD_ST_SE_SF_SG_EUlST_E_NS1_11comp_targetILNS1_3genE5ELNS1_11target_archE942ELNS1_3gpuE9ELNS1_3repE0EEENS1_48merge_mergepath_partition_config_static_selectorELNS0_4arch9wavefront6targetE0EEEvSF_.has_recursion, 0
	.set _ZN7rocprim17ROCPRIM_400000_NS6detail17trampoline_kernelINS0_14default_configENS1_38merge_sort_block_merge_config_selectorIaNS0_10empty_typeEEEZZNS1_27merge_sort_block_merge_implIS3_PaPS5_jNS1_19radix_merge_compareILb0ELb0EaNS0_19identity_decomposerEEEEE10hipError_tT0_T1_T2_jT3_P12ihipStream_tbPNSt15iterator_traitsISE_E10value_typeEPNSK_ISF_E10value_typeEPSG_NS1_7vsmem_tEENKUlT_SE_SF_SG_E_clIS8_S8_S9_S9_EESD_ST_SE_SF_SG_EUlST_E_NS1_11comp_targetILNS1_3genE5ELNS1_11target_archE942ELNS1_3gpuE9ELNS1_3repE0EEENS1_48merge_mergepath_partition_config_static_selectorELNS0_4arch9wavefront6targetE0EEEvSF_.has_indirect_call, 0
	.section	.AMDGPU.csdata,"",@progbits
; Kernel info:
; codeLenInByte = 0
; TotalNumSgprs: 0
; NumVgprs: 0
; ScratchSize: 0
; MemoryBound: 0
; FloatMode: 240
; IeeeMode: 1
; LDSByteSize: 0 bytes/workgroup (compile time only)
; SGPRBlocks: 0
; VGPRBlocks: 0
; NumSGPRsForWavesPerEU: 1
; NumVGPRsForWavesPerEU: 1
; NamedBarCnt: 0
; Occupancy: 16
; WaveLimiterHint : 0
; COMPUTE_PGM_RSRC2:SCRATCH_EN: 0
; COMPUTE_PGM_RSRC2:USER_SGPR: 2
; COMPUTE_PGM_RSRC2:TRAP_HANDLER: 0
; COMPUTE_PGM_RSRC2:TGID_X_EN: 1
; COMPUTE_PGM_RSRC2:TGID_Y_EN: 0
; COMPUTE_PGM_RSRC2:TGID_Z_EN: 0
; COMPUTE_PGM_RSRC2:TIDIG_COMP_CNT: 0
	.section	.text._ZN7rocprim17ROCPRIM_400000_NS6detail17trampoline_kernelINS0_14default_configENS1_38merge_sort_block_merge_config_selectorIaNS0_10empty_typeEEEZZNS1_27merge_sort_block_merge_implIS3_PaPS5_jNS1_19radix_merge_compareILb0ELb0EaNS0_19identity_decomposerEEEEE10hipError_tT0_T1_T2_jT3_P12ihipStream_tbPNSt15iterator_traitsISE_E10value_typeEPNSK_ISF_E10value_typeEPSG_NS1_7vsmem_tEENKUlT_SE_SF_SG_E_clIS8_S8_S9_S9_EESD_ST_SE_SF_SG_EUlST_E_NS1_11comp_targetILNS1_3genE4ELNS1_11target_archE910ELNS1_3gpuE8ELNS1_3repE0EEENS1_48merge_mergepath_partition_config_static_selectorELNS0_4arch9wavefront6targetE0EEEvSF_,"axG",@progbits,_ZN7rocprim17ROCPRIM_400000_NS6detail17trampoline_kernelINS0_14default_configENS1_38merge_sort_block_merge_config_selectorIaNS0_10empty_typeEEEZZNS1_27merge_sort_block_merge_implIS3_PaPS5_jNS1_19radix_merge_compareILb0ELb0EaNS0_19identity_decomposerEEEEE10hipError_tT0_T1_T2_jT3_P12ihipStream_tbPNSt15iterator_traitsISE_E10value_typeEPNSK_ISF_E10value_typeEPSG_NS1_7vsmem_tEENKUlT_SE_SF_SG_E_clIS8_S8_S9_S9_EESD_ST_SE_SF_SG_EUlST_E_NS1_11comp_targetILNS1_3genE4ELNS1_11target_archE910ELNS1_3gpuE8ELNS1_3repE0EEENS1_48merge_mergepath_partition_config_static_selectorELNS0_4arch9wavefront6targetE0EEEvSF_,comdat
	.protected	_ZN7rocprim17ROCPRIM_400000_NS6detail17trampoline_kernelINS0_14default_configENS1_38merge_sort_block_merge_config_selectorIaNS0_10empty_typeEEEZZNS1_27merge_sort_block_merge_implIS3_PaPS5_jNS1_19radix_merge_compareILb0ELb0EaNS0_19identity_decomposerEEEEE10hipError_tT0_T1_T2_jT3_P12ihipStream_tbPNSt15iterator_traitsISE_E10value_typeEPNSK_ISF_E10value_typeEPSG_NS1_7vsmem_tEENKUlT_SE_SF_SG_E_clIS8_S8_S9_S9_EESD_ST_SE_SF_SG_EUlST_E_NS1_11comp_targetILNS1_3genE4ELNS1_11target_archE910ELNS1_3gpuE8ELNS1_3repE0EEENS1_48merge_mergepath_partition_config_static_selectorELNS0_4arch9wavefront6targetE0EEEvSF_ ; -- Begin function _ZN7rocprim17ROCPRIM_400000_NS6detail17trampoline_kernelINS0_14default_configENS1_38merge_sort_block_merge_config_selectorIaNS0_10empty_typeEEEZZNS1_27merge_sort_block_merge_implIS3_PaPS5_jNS1_19radix_merge_compareILb0ELb0EaNS0_19identity_decomposerEEEEE10hipError_tT0_T1_T2_jT3_P12ihipStream_tbPNSt15iterator_traitsISE_E10value_typeEPNSK_ISF_E10value_typeEPSG_NS1_7vsmem_tEENKUlT_SE_SF_SG_E_clIS8_S8_S9_S9_EESD_ST_SE_SF_SG_EUlST_E_NS1_11comp_targetILNS1_3genE4ELNS1_11target_archE910ELNS1_3gpuE8ELNS1_3repE0EEENS1_48merge_mergepath_partition_config_static_selectorELNS0_4arch9wavefront6targetE0EEEvSF_
	.globl	_ZN7rocprim17ROCPRIM_400000_NS6detail17trampoline_kernelINS0_14default_configENS1_38merge_sort_block_merge_config_selectorIaNS0_10empty_typeEEEZZNS1_27merge_sort_block_merge_implIS3_PaPS5_jNS1_19radix_merge_compareILb0ELb0EaNS0_19identity_decomposerEEEEE10hipError_tT0_T1_T2_jT3_P12ihipStream_tbPNSt15iterator_traitsISE_E10value_typeEPNSK_ISF_E10value_typeEPSG_NS1_7vsmem_tEENKUlT_SE_SF_SG_E_clIS8_S8_S9_S9_EESD_ST_SE_SF_SG_EUlST_E_NS1_11comp_targetILNS1_3genE4ELNS1_11target_archE910ELNS1_3gpuE8ELNS1_3repE0EEENS1_48merge_mergepath_partition_config_static_selectorELNS0_4arch9wavefront6targetE0EEEvSF_
	.p2align	8
	.type	_ZN7rocprim17ROCPRIM_400000_NS6detail17trampoline_kernelINS0_14default_configENS1_38merge_sort_block_merge_config_selectorIaNS0_10empty_typeEEEZZNS1_27merge_sort_block_merge_implIS3_PaPS5_jNS1_19radix_merge_compareILb0ELb0EaNS0_19identity_decomposerEEEEE10hipError_tT0_T1_T2_jT3_P12ihipStream_tbPNSt15iterator_traitsISE_E10value_typeEPNSK_ISF_E10value_typeEPSG_NS1_7vsmem_tEENKUlT_SE_SF_SG_E_clIS8_S8_S9_S9_EESD_ST_SE_SF_SG_EUlST_E_NS1_11comp_targetILNS1_3genE4ELNS1_11target_archE910ELNS1_3gpuE8ELNS1_3repE0EEENS1_48merge_mergepath_partition_config_static_selectorELNS0_4arch9wavefront6targetE0EEEvSF_,@function
_ZN7rocprim17ROCPRIM_400000_NS6detail17trampoline_kernelINS0_14default_configENS1_38merge_sort_block_merge_config_selectorIaNS0_10empty_typeEEEZZNS1_27merge_sort_block_merge_implIS3_PaPS5_jNS1_19radix_merge_compareILb0ELb0EaNS0_19identity_decomposerEEEEE10hipError_tT0_T1_T2_jT3_P12ihipStream_tbPNSt15iterator_traitsISE_E10value_typeEPNSK_ISF_E10value_typeEPSG_NS1_7vsmem_tEENKUlT_SE_SF_SG_E_clIS8_S8_S9_S9_EESD_ST_SE_SF_SG_EUlST_E_NS1_11comp_targetILNS1_3genE4ELNS1_11target_archE910ELNS1_3gpuE8ELNS1_3repE0EEENS1_48merge_mergepath_partition_config_static_selectorELNS0_4arch9wavefront6targetE0EEEvSF_: ; @_ZN7rocprim17ROCPRIM_400000_NS6detail17trampoline_kernelINS0_14default_configENS1_38merge_sort_block_merge_config_selectorIaNS0_10empty_typeEEEZZNS1_27merge_sort_block_merge_implIS3_PaPS5_jNS1_19radix_merge_compareILb0ELb0EaNS0_19identity_decomposerEEEEE10hipError_tT0_T1_T2_jT3_P12ihipStream_tbPNSt15iterator_traitsISE_E10value_typeEPNSK_ISF_E10value_typeEPSG_NS1_7vsmem_tEENKUlT_SE_SF_SG_E_clIS8_S8_S9_S9_EESD_ST_SE_SF_SG_EUlST_E_NS1_11comp_targetILNS1_3genE4ELNS1_11target_archE910ELNS1_3gpuE8ELNS1_3repE0EEENS1_48merge_mergepath_partition_config_static_selectorELNS0_4arch9wavefront6targetE0EEEvSF_
; %bb.0:
	.section	.rodata,"a",@progbits
	.p2align	6, 0x0
	.amdhsa_kernel _ZN7rocprim17ROCPRIM_400000_NS6detail17trampoline_kernelINS0_14default_configENS1_38merge_sort_block_merge_config_selectorIaNS0_10empty_typeEEEZZNS1_27merge_sort_block_merge_implIS3_PaPS5_jNS1_19radix_merge_compareILb0ELb0EaNS0_19identity_decomposerEEEEE10hipError_tT0_T1_T2_jT3_P12ihipStream_tbPNSt15iterator_traitsISE_E10value_typeEPNSK_ISF_E10value_typeEPSG_NS1_7vsmem_tEENKUlT_SE_SF_SG_E_clIS8_S8_S9_S9_EESD_ST_SE_SF_SG_EUlST_E_NS1_11comp_targetILNS1_3genE4ELNS1_11target_archE910ELNS1_3gpuE8ELNS1_3repE0EEENS1_48merge_mergepath_partition_config_static_selectorELNS0_4arch9wavefront6targetE0EEEvSF_
		.amdhsa_group_segment_fixed_size 0
		.amdhsa_private_segment_fixed_size 0
		.amdhsa_kernarg_size 40
		.amdhsa_user_sgpr_count 2
		.amdhsa_user_sgpr_dispatch_ptr 0
		.amdhsa_user_sgpr_queue_ptr 0
		.amdhsa_user_sgpr_kernarg_segment_ptr 1
		.amdhsa_user_sgpr_dispatch_id 0
		.amdhsa_user_sgpr_kernarg_preload_length 0
		.amdhsa_user_sgpr_kernarg_preload_offset 0
		.amdhsa_user_sgpr_private_segment_size 0
		.amdhsa_wavefront_size32 1
		.amdhsa_uses_dynamic_stack 0
		.amdhsa_enable_private_segment 0
		.amdhsa_system_sgpr_workgroup_id_x 1
		.amdhsa_system_sgpr_workgroup_id_y 0
		.amdhsa_system_sgpr_workgroup_id_z 0
		.amdhsa_system_sgpr_workgroup_info 0
		.amdhsa_system_vgpr_workitem_id 0
		.amdhsa_next_free_vgpr 1
		.amdhsa_next_free_sgpr 1
		.amdhsa_named_barrier_count 0
		.amdhsa_reserve_vcc 0
		.amdhsa_float_round_mode_32 0
		.amdhsa_float_round_mode_16_64 0
		.amdhsa_float_denorm_mode_32 3
		.amdhsa_float_denorm_mode_16_64 3
		.amdhsa_fp16_overflow 0
		.amdhsa_memory_ordered 1
		.amdhsa_forward_progress 1
		.amdhsa_inst_pref_size 0
		.amdhsa_round_robin_scheduling 0
		.amdhsa_exception_fp_ieee_invalid_op 0
		.amdhsa_exception_fp_denorm_src 0
		.amdhsa_exception_fp_ieee_div_zero 0
		.amdhsa_exception_fp_ieee_overflow 0
		.amdhsa_exception_fp_ieee_underflow 0
		.amdhsa_exception_fp_ieee_inexact 0
		.amdhsa_exception_int_div_zero 0
	.end_amdhsa_kernel
	.section	.text._ZN7rocprim17ROCPRIM_400000_NS6detail17trampoline_kernelINS0_14default_configENS1_38merge_sort_block_merge_config_selectorIaNS0_10empty_typeEEEZZNS1_27merge_sort_block_merge_implIS3_PaPS5_jNS1_19radix_merge_compareILb0ELb0EaNS0_19identity_decomposerEEEEE10hipError_tT0_T1_T2_jT3_P12ihipStream_tbPNSt15iterator_traitsISE_E10value_typeEPNSK_ISF_E10value_typeEPSG_NS1_7vsmem_tEENKUlT_SE_SF_SG_E_clIS8_S8_S9_S9_EESD_ST_SE_SF_SG_EUlST_E_NS1_11comp_targetILNS1_3genE4ELNS1_11target_archE910ELNS1_3gpuE8ELNS1_3repE0EEENS1_48merge_mergepath_partition_config_static_selectorELNS0_4arch9wavefront6targetE0EEEvSF_,"axG",@progbits,_ZN7rocprim17ROCPRIM_400000_NS6detail17trampoline_kernelINS0_14default_configENS1_38merge_sort_block_merge_config_selectorIaNS0_10empty_typeEEEZZNS1_27merge_sort_block_merge_implIS3_PaPS5_jNS1_19radix_merge_compareILb0ELb0EaNS0_19identity_decomposerEEEEE10hipError_tT0_T1_T2_jT3_P12ihipStream_tbPNSt15iterator_traitsISE_E10value_typeEPNSK_ISF_E10value_typeEPSG_NS1_7vsmem_tEENKUlT_SE_SF_SG_E_clIS8_S8_S9_S9_EESD_ST_SE_SF_SG_EUlST_E_NS1_11comp_targetILNS1_3genE4ELNS1_11target_archE910ELNS1_3gpuE8ELNS1_3repE0EEENS1_48merge_mergepath_partition_config_static_selectorELNS0_4arch9wavefront6targetE0EEEvSF_,comdat
.Lfunc_end403:
	.size	_ZN7rocprim17ROCPRIM_400000_NS6detail17trampoline_kernelINS0_14default_configENS1_38merge_sort_block_merge_config_selectorIaNS0_10empty_typeEEEZZNS1_27merge_sort_block_merge_implIS3_PaPS5_jNS1_19radix_merge_compareILb0ELb0EaNS0_19identity_decomposerEEEEE10hipError_tT0_T1_T2_jT3_P12ihipStream_tbPNSt15iterator_traitsISE_E10value_typeEPNSK_ISF_E10value_typeEPSG_NS1_7vsmem_tEENKUlT_SE_SF_SG_E_clIS8_S8_S9_S9_EESD_ST_SE_SF_SG_EUlST_E_NS1_11comp_targetILNS1_3genE4ELNS1_11target_archE910ELNS1_3gpuE8ELNS1_3repE0EEENS1_48merge_mergepath_partition_config_static_selectorELNS0_4arch9wavefront6targetE0EEEvSF_, .Lfunc_end403-_ZN7rocprim17ROCPRIM_400000_NS6detail17trampoline_kernelINS0_14default_configENS1_38merge_sort_block_merge_config_selectorIaNS0_10empty_typeEEEZZNS1_27merge_sort_block_merge_implIS3_PaPS5_jNS1_19radix_merge_compareILb0ELb0EaNS0_19identity_decomposerEEEEE10hipError_tT0_T1_T2_jT3_P12ihipStream_tbPNSt15iterator_traitsISE_E10value_typeEPNSK_ISF_E10value_typeEPSG_NS1_7vsmem_tEENKUlT_SE_SF_SG_E_clIS8_S8_S9_S9_EESD_ST_SE_SF_SG_EUlST_E_NS1_11comp_targetILNS1_3genE4ELNS1_11target_archE910ELNS1_3gpuE8ELNS1_3repE0EEENS1_48merge_mergepath_partition_config_static_selectorELNS0_4arch9wavefront6targetE0EEEvSF_
                                        ; -- End function
	.set _ZN7rocprim17ROCPRIM_400000_NS6detail17trampoline_kernelINS0_14default_configENS1_38merge_sort_block_merge_config_selectorIaNS0_10empty_typeEEEZZNS1_27merge_sort_block_merge_implIS3_PaPS5_jNS1_19radix_merge_compareILb0ELb0EaNS0_19identity_decomposerEEEEE10hipError_tT0_T1_T2_jT3_P12ihipStream_tbPNSt15iterator_traitsISE_E10value_typeEPNSK_ISF_E10value_typeEPSG_NS1_7vsmem_tEENKUlT_SE_SF_SG_E_clIS8_S8_S9_S9_EESD_ST_SE_SF_SG_EUlST_E_NS1_11comp_targetILNS1_3genE4ELNS1_11target_archE910ELNS1_3gpuE8ELNS1_3repE0EEENS1_48merge_mergepath_partition_config_static_selectorELNS0_4arch9wavefront6targetE0EEEvSF_.num_vgpr, 0
	.set _ZN7rocprim17ROCPRIM_400000_NS6detail17trampoline_kernelINS0_14default_configENS1_38merge_sort_block_merge_config_selectorIaNS0_10empty_typeEEEZZNS1_27merge_sort_block_merge_implIS3_PaPS5_jNS1_19radix_merge_compareILb0ELb0EaNS0_19identity_decomposerEEEEE10hipError_tT0_T1_T2_jT3_P12ihipStream_tbPNSt15iterator_traitsISE_E10value_typeEPNSK_ISF_E10value_typeEPSG_NS1_7vsmem_tEENKUlT_SE_SF_SG_E_clIS8_S8_S9_S9_EESD_ST_SE_SF_SG_EUlST_E_NS1_11comp_targetILNS1_3genE4ELNS1_11target_archE910ELNS1_3gpuE8ELNS1_3repE0EEENS1_48merge_mergepath_partition_config_static_selectorELNS0_4arch9wavefront6targetE0EEEvSF_.num_agpr, 0
	.set _ZN7rocprim17ROCPRIM_400000_NS6detail17trampoline_kernelINS0_14default_configENS1_38merge_sort_block_merge_config_selectorIaNS0_10empty_typeEEEZZNS1_27merge_sort_block_merge_implIS3_PaPS5_jNS1_19radix_merge_compareILb0ELb0EaNS0_19identity_decomposerEEEEE10hipError_tT0_T1_T2_jT3_P12ihipStream_tbPNSt15iterator_traitsISE_E10value_typeEPNSK_ISF_E10value_typeEPSG_NS1_7vsmem_tEENKUlT_SE_SF_SG_E_clIS8_S8_S9_S9_EESD_ST_SE_SF_SG_EUlST_E_NS1_11comp_targetILNS1_3genE4ELNS1_11target_archE910ELNS1_3gpuE8ELNS1_3repE0EEENS1_48merge_mergepath_partition_config_static_selectorELNS0_4arch9wavefront6targetE0EEEvSF_.numbered_sgpr, 0
	.set _ZN7rocprim17ROCPRIM_400000_NS6detail17trampoline_kernelINS0_14default_configENS1_38merge_sort_block_merge_config_selectorIaNS0_10empty_typeEEEZZNS1_27merge_sort_block_merge_implIS3_PaPS5_jNS1_19radix_merge_compareILb0ELb0EaNS0_19identity_decomposerEEEEE10hipError_tT0_T1_T2_jT3_P12ihipStream_tbPNSt15iterator_traitsISE_E10value_typeEPNSK_ISF_E10value_typeEPSG_NS1_7vsmem_tEENKUlT_SE_SF_SG_E_clIS8_S8_S9_S9_EESD_ST_SE_SF_SG_EUlST_E_NS1_11comp_targetILNS1_3genE4ELNS1_11target_archE910ELNS1_3gpuE8ELNS1_3repE0EEENS1_48merge_mergepath_partition_config_static_selectorELNS0_4arch9wavefront6targetE0EEEvSF_.num_named_barrier, 0
	.set _ZN7rocprim17ROCPRIM_400000_NS6detail17trampoline_kernelINS0_14default_configENS1_38merge_sort_block_merge_config_selectorIaNS0_10empty_typeEEEZZNS1_27merge_sort_block_merge_implIS3_PaPS5_jNS1_19radix_merge_compareILb0ELb0EaNS0_19identity_decomposerEEEEE10hipError_tT0_T1_T2_jT3_P12ihipStream_tbPNSt15iterator_traitsISE_E10value_typeEPNSK_ISF_E10value_typeEPSG_NS1_7vsmem_tEENKUlT_SE_SF_SG_E_clIS8_S8_S9_S9_EESD_ST_SE_SF_SG_EUlST_E_NS1_11comp_targetILNS1_3genE4ELNS1_11target_archE910ELNS1_3gpuE8ELNS1_3repE0EEENS1_48merge_mergepath_partition_config_static_selectorELNS0_4arch9wavefront6targetE0EEEvSF_.private_seg_size, 0
	.set _ZN7rocprim17ROCPRIM_400000_NS6detail17trampoline_kernelINS0_14default_configENS1_38merge_sort_block_merge_config_selectorIaNS0_10empty_typeEEEZZNS1_27merge_sort_block_merge_implIS3_PaPS5_jNS1_19radix_merge_compareILb0ELb0EaNS0_19identity_decomposerEEEEE10hipError_tT0_T1_T2_jT3_P12ihipStream_tbPNSt15iterator_traitsISE_E10value_typeEPNSK_ISF_E10value_typeEPSG_NS1_7vsmem_tEENKUlT_SE_SF_SG_E_clIS8_S8_S9_S9_EESD_ST_SE_SF_SG_EUlST_E_NS1_11comp_targetILNS1_3genE4ELNS1_11target_archE910ELNS1_3gpuE8ELNS1_3repE0EEENS1_48merge_mergepath_partition_config_static_selectorELNS0_4arch9wavefront6targetE0EEEvSF_.uses_vcc, 0
	.set _ZN7rocprim17ROCPRIM_400000_NS6detail17trampoline_kernelINS0_14default_configENS1_38merge_sort_block_merge_config_selectorIaNS0_10empty_typeEEEZZNS1_27merge_sort_block_merge_implIS3_PaPS5_jNS1_19radix_merge_compareILb0ELb0EaNS0_19identity_decomposerEEEEE10hipError_tT0_T1_T2_jT3_P12ihipStream_tbPNSt15iterator_traitsISE_E10value_typeEPNSK_ISF_E10value_typeEPSG_NS1_7vsmem_tEENKUlT_SE_SF_SG_E_clIS8_S8_S9_S9_EESD_ST_SE_SF_SG_EUlST_E_NS1_11comp_targetILNS1_3genE4ELNS1_11target_archE910ELNS1_3gpuE8ELNS1_3repE0EEENS1_48merge_mergepath_partition_config_static_selectorELNS0_4arch9wavefront6targetE0EEEvSF_.uses_flat_scratch, 0
	.set _ZN7rocprim17ROCPRIM_400000_NS6detail17trampoline_kernelINS0_14default_configENS1_38merge_sort_block_merge_config_selectorIaNS0_10empty_typeEEEZZNS1_27merge_sort_block_merge_implIS3_PaPS5_jNS1_19radix_merge_compareILb0ELb0EaNS0_19identity_decomposerEEEEE10hipError_tT0_T1_T2_jT3_P12ihipStream_tbPNSt15iterator_traitsISE_E10value_typeEPNSK_ISF_E10value_typeEPSG_NS1_7vsmem_tEENKUlT_SE_SF_SG_E_clIS8_S8_S9_S9_EESD_ST_SE_SF_SG_EUlST_E_NS1_11comp_targetILNS1_3genE4ELNS1_11target_archE910ELNS1_3gpuE8ELNS1_3repE0EEENS1_48merge_mergepath_partition_config_static_selectorELNS0_4arch9wavefront6targetE0EEEvSF_.has_dyn_sized_stack, 0
	.set _ZN7rocprim17ROCPRIM_400000_NS6detail17trampoline_kernelINS0_14default_configENS1_38merge_sort_block_merge_config_selectorIaNS0_10empty_typeEEEZZNS1_27merge_sort_block_merge_implIS3_PaPS5_jNS1_19radix_merge_compareILb0ELb0EaNS0_19identity_decomposerEEEEE10hipError_tT0_T1_T2_jT3_P12ihipStream_tbPNSt15iterator_traitsISE_E10value_typeEPNSK_ISF_E10value_typeEPSG_NS1_7vsmem_tEENKUlT_SE_SF_SG_E_clIS8_S8_S9_S9_EESD_ST_SE_SF_SG_EUlST_E_NS1_11comp_targetILNS1_3genE4ELNS1_11target_archE910ELNS1_3gpuE8ELNS1_3repE0EEENS1_48merge_mergepath_partition_config_static_selectorELNS0_4arch9wavefront6targetE0EEEvSF_.has_recursion, 0
	.set _ZN7rocprim17ROCPRIM_400000_NS6detail17trampoline_kernelINS0_14default_configENS1_38merge_sort_block_merge_config_selectorIaNS0_10empty_typeEEEZZNS1_27merge_sort_block_merge_implIS3_PaPS5_jNS1_19radix_merge_compareILb0ELb0EaNS0_19identity_decomposerEEEEE10hipError_tT0_T1_T2_jT3_P12ihipStream_tbPNSt15iterator_traitsISE_E10value_typeEPNSK_ISF_E10value_typeEPSG_NS1_7vsmem_tEENKUlT_SE_SF_SG_E_clIS8_S8_S9_S9_EESD_ST_SE_SF_SG_EUlST_E_NS1_11comp_targetILNS1_3genE4ELNS1_11target_archE910ELNS1_3gpuE8ELNS1_3repE0EEENS1_48merge_mergepath_partition_config_static_selectorELNS0_4arch9wavefront6targetE0EEEvSF_.has_indirect_call, 0
	.section	.AMDGPU.csdata,"",@progbits
; Kernel info:
; codeLenInByte = 0
; TotalNumSgprs: 0
; NumVgprs: 0
; ScratchSize: 0
; MemoryBound: 0
; FloatMode: 240
; IeeeMode: 1
; LDSByteSize: 0 bytes/workgroup (compile time only)
; SGPRBlocks: 0
; VGPRBlocks: 0
; NumSGPRsForWavesPerEU: 1
; NumVGPRsForWavesPerEU: 1
; NamedBarCnt: 0
; Occupancy: 16
; WaveLimiterHint : 0
; COMPUTE_PGM_RSRC2:SCRATCH_EN: 0
; COMPUTE_PGM_RSRC2:USER_SGPR: 2
; COMPUTE_PGM_RSRC2:TRAP_HANDLER: 0
; COMPUTE_PGM_RSRC2:TGID_X_EN: 1
; COMPUTE_PGM_RSRC2:TGID_Y_EN: 0
; COMPUTE_PGM_RSRC2:TGID_Z_EN: 0
; COMPUTE_PGM_RSRC2:TIDIG_COMP_CNT: 0
	.section	.text._ZN7rocprim17ROCPRIM_400000_NS6detail17trampoline_kernelINS0_14default_configENS1_38merge_sort_block_merge_config_selectorIaNS0_10empty_typeEEEZZNS1_27merge_sort_block_merge_implIS3_PaPS5_jNS1_19radix_merge_compareILb0ELb0EaNS0_19identity_decomposerEEEEE10hipError_tT0_T1_T2_jT3_P12ihipStream_tbPNSt15iterator_traitsISE_E10value_typeEPNSK_ISF_E10value_typeEPSG_NS1_7vsmem_tEENKUlT_SE_SF_SG_E_clIS8_S8_S9_S9_EESD_ST_SE_SF_SG_EUlST_E_NS1_11comp_targetILNS1_3genE3ELNS1_11target_archE908ELNS1_3gpuE7ELNS1_3repE0EEENS1_48merge_mergepath_partition_config_static_selectorELNS0_4arch9wavefront6targetE0EEEvSF_,"axG",@progbits,_ZN7rocprim17ROCPRIM_400000_NS6detail17trampoline_kernelINS0_14default_configENS1_38merge_sort_block_merge_config_selectorIaNS0_10empty_typeEEEZZNS1_27merge_sort_block_merge_implIS3_PaPS5_jNS1_19radix_merge_compareILb0ELb0EaNS0_19identity_decomposerEEEEE10hipError_tT0_T1_T2_jT3_P12ihipStream_tbPNSt15iterator_traitsISE_E10value_typeEPNSK_ISF_E10value_typeEPSG_NS1_7vsmem_tEENKUlT_SE_SF_SG_E_clIS8_S8_S9_S9_EESD_ST_SE_SF_SG_EUlST_E_NS1_11comp_targetILNS1_3genE3ELNS1_11target_archE908ELNS1_3gpuE7ELNS1_3repE0EEENS1_48merge_mergepath_partition_config_static_selectorELNS0_4arch9wavefront6targetE0EEEvSF_,comdat
	.protected	_ZN7rocprim17ROCPRIM_400000_NS6detail17trampoline_kernelINS0_14default_configENS1_38merge_sort_block_merge_config_selectorIaNS0_10empty_typeEEEZZNS1_27merge_sort_block_merge_implIS3_PaPS5_jNS1_19radix_merge_compareILb0ELb0EaNS0_19identity_decomposerEEEEE10hipError_tT0_T1_T2_jT3_P12ihipStream_tbPNSt15iterator_traitsISE_E10value_typeEPNSK_ISF_E10value_typeEPSG_NS1_7vsmem_tEENKUlT_SE_SF_SG_E_clIS8_S8_S9_S9_EESD_ST_SE_SF_SG_EUlST_E_NS1_11comp_targetILNS1_3genE3ELNS1_11target_archE908ELNS1_3gpuE7ELNS1_3repE0EEENS1_48merge_mergepath_partition_config_static_selectorELNS0_4arch9wavefront6targetE0EEEvSF_ ; -- Begin function _ZN7rocprim17ROCPRIM_400000_NS6detail17trampoline_kernelINS0_14default_configENS1_38merge_sort_block_merge_config_selectorIaNS0_10empty_typeEEEZZNS1_27merge_sort_block_merge_implIS3_PaPS5_jNS1_19radix_merge_compareILb0ELb0EaNS0_19identity_decomposerEEEEE10hipError_tT0_T1_T2_jT3_P12ihipStream_tbPNSt15iterator_traitsISE_E10value_typeEPNSK_ISF_E10value_typeEPSG_NS1_7vsmem_tEENKUlT_SE_SF_SG_E_clIS8_S8_S9_S9_EESD_ST_SE_SF_SG_EUlST_E_NS1_11comp_targetILNS1_3genE3ELNS1_11target_archE908ELNS1_3gpuE7ELNS1_3repE0EEENS1_48merge_mergepath_partition_config_static_selectorELNS0_4arch9wavefront6targetE0EEEvSF_
	.globl	_ZN7rocprim17ROCPRIM_400000_NS6detail17trampoline_kernelINS0_14default_configENS1_38merge_sort_block_merge_config_selectorIaNS0_10empty_typeEEEZZNS1_27merge_sort_block_merge_implIS3_PaPS5_jNS1_19radix_merge_compareILb0ELb0EaNS0_19identity_decomposerEEEEE10hipError_tT0_T1_T2_jT3_P12ihipStream_tbPNSt15iterator_traitsISE_E10value_typeEPNSK_ISF_E10value_typeEPSG_NS1_7vsmem_tEENKUlT_SE_SF_SG_E_clIS8_S8_S9_S9_EESD_ST_SE_SF_SG_EUlST_E_NS1_11comp_targetILNS1_3genE3ELNS1_11target_archE908ELNS1_3gpuE7ELNS1_3repE0EEENS1_48merge_mergepath_partition_config_static_selectorELNS0_4arch9wavefront6targetE0EEEvSF_
	.p2align	8
	.type	_ZN7rocprim17ROCPRIM_400000_NS6detail17trampoline_kernelINS0_14default_configENS1_38merge_sort_block_merge_config_selectorIaNS0_10empty_typeEEEZZNS1_27merge_sort_block_merge_implIS3_PaPS5_jNS1_19radix_merge_compareILb0ELb0EaNS0_19identity_decomposerEEEEE10hipError_tT0_T1_T2_jT3_P12ihipStream_tbPNSt15iterator_traitsISE_E10value_typeEPNSK_ISF_E10value_typeEPSG_NS1_7vsmem_tEENKUlT_SE_SF_SG_E_clIS8_S8_S9_S9_EESD_ST_SE_SF_SG_EUlST_E_NS1_11comp_targetILNS1_3genE3ELNS1_11target_archE908ELNS1_3gpuE7ELNS1_3repE0EEENS1_48merge_mergepath_partition_config_static_selectorELNS0_4arch9wavefront6targetE0EEEvSF_,@function
_ZN7rocprim17ROCPRIM_400000_NS6detail17trampoline_kernelINS0_14default_configENS1_38merge_sort_block_merge_config_selectorIaNS0_10empty_typeEEEZZNS1_27merge_sort_block_merge_implIS3_PaPS5_jNS1_19radix_merge_compareILb0ELb0EaNS0_19identity_decomposerEEEEE10hipError_tT0_T1_T2_jT3_P12ihipStream_tbPNSt15iterator_traitsISE_E10value_typeEPNSK_ISF_E10value_typeEPSG_NS1_7vsmem_tEENKUlT_SE_SF_SG_E_clIS8_S8_S9_S9_EESD_ST_SE_SF_SG_EUlST_E_NS1_11comp_targetILNS1_3genE3ELNS1_11target_archE908ELNS1_3gpuE7ELNS1_3repE0EEENS1_48merge_mergepath_partition_config_static_selectorELNS0_4arch9wavefront6targetE0EEEvSF_: ; @_ZN7rocprim17ROCPRIM_400000_NS6detail17trampoline_kernelINS0_14default_configENS1_38merge_sort_block_merge_config_selectorIaNS0_10empty_typeEEEZZNS1_27merge_sort_block_merge_implIS3_PaPS5_jNS1_19radix_merge_compareILb0ELb0EaNS0_19identity_decomposerEEEEE10hipError_tT0_T1_T2_jT3_P12ihipStream_tbPNSt15iterator_traitsISE_E10value_typeEPNSK_ISF_E10value_typeEPSG_NS1_7vsmem_tEENKUlT_SE_SF_SG_E_clIS8_S8_S9_S9_EESD_ST_SE_SF_SG_EUlST_E_NS1_11comp_targetILNS1_3genE3ELNS1_11target_archE908ELNS1_3gpuE7ELNS1_3repE0EEENS1_48merge_mergepath_partition_config_static_selectorELNS0_4arch9wavefront6targetE0EEEvSF_
; %bb.0:
	.section	.rodata,"a",@progbits
	.p2align	6, 0x0
	.amdhsa_kernel _ZN7rocprim17ROCPRIM_400000_NS6detail17trampoline_kernelINS0_14default_configENS1_38merge_sort_block_merge_config_selectorIaNS0_10empty_typeEEEZZNS1_27merge_sort_block_merge_implIS3_PaPS5_jNS1_19radix_merge_compareILb0ELb0EaNS0_19identity_decomposerEEEEE10hipError_tT0_T1_T2_jT3_P12ihipStream_tbPNSt15iterator_traitsISE_E10value_typeEPNSK_ISF_E10value_typeEPSG_NS1_7vsmem_tEENKUlT_SE_SF_SG_E_clIS8_S8_S9_S9_EESD_ST_SE_SF_SG_EUlST_E_NS1_11comp_targetILNS1_3genE3ELNS1_11target_archE908ELNS1_3gpuE7ELNS1_3repE0EEENS1_48merge_mergepath_partition_config_static_selectorELNS0_4arch9wavefront6targetE0EEEvSF_
		.amdhsa_group_segment_fixed_size 0
		.amdhsa_private_segment_fixed_size 0
		.amdhsa_kernarg_size 40
		.amdhsa_user_sgpr_count 2
		.amdhsa_user_sgpr_dispatch_ptr 0
		.amdhsa_user_sgpr_queue_ptr 0
		.amdhsa_user_sgpr_kernarg_segment_ptr 1
		.amdhsa_user_sgpr_dispatch_id 0
		.amdhsa_user_sgpr_kernarg_preload_length 0
		.amdhsa_user_sgpr_kernarg_preload_offset 0
		.amdhsa_user_sgpr_private_segment_size 0
		.amdhsa_wavefront_size32 1
		.amdhsa_uses_dynamic_stack 0
		.amdhsa_enable_private_segment 0
		.amdhsa_system_sgpr_workgroup_id_x 1
		.amdhsa_system_sgpr_workgroup_id_y 0
		.amdhsa_system_sgpr_workgroup_id_z 0
		.amdhsa_system_sgpr_workgroup_info 0
		.amdhsa_system_vgpr_workitem_id 0
		.amdhsa_next_free_vgpr 1
		.amdhsa_next_free_sgpr 1
		.amdhsa_named_barrier_count 0
		.amdhsa_reserve_vcc 0
		.amdhsa_float_round_mode_32 0
		.amdhsa_float_round_mode_16_64 0
		.amdhsa_float_denorm_mode_32 3
		.amdhsa_float_denorm_mode_16_64 3
		.amdhsa_fp16_overflow 0
		.amdhsa_memory_ordered 1
		.amdhsa_forward_progress 1
		.amdhsa_inst_pref_size 0
		.amdhsa_round_robin_scheduling 0
		.amdhsa_exception_fp_ieee_invalid_op 0
		.amdhsa_exception_fp_denorm_src 0
		.amdhsa_exception_fp_ieee_div_zero 0
		.amdhsa_exception_fp_ieee_overflow 0
		.amdhsa_exception_fp_ieee_underflow 0
		.amdhsa_exception_fp_ieee_inexact 0
		.amdhsa_exception_int_div_zero 0
	.end_amdhsa_kernel
	.section	.text._ZN7rocprim17ROCPRIM_400000_NS6detail17trampoline_kernelINS0_14default_configENS1_38merge_sort_block_merge_config_selectorIaNS0_10empty_typeEEEZZNS1_27merge_sort_block_merge_implIS3_PaPS5_jNS1_19radix_merge_compareILb0ELb0EaNS0_19identity_decomposerEEEEE10hipError_tT0_T1_T2_jT3_P12ihipStream_tbPNSt15iterator_traitsISE_E10value_typeEPNSK_ISF_E10value_typeEPSG_NS1_7vsmem_tEENKUlT_SE_SF_SG_E_clIS8_S8_S9_S9_EESD_ST_SE_SF_SG_EUlST_E_NS1_11comp_targetILNS1_3genE3ELNS1_11target_archE908ELNS1_3gpuE7ELNS1_3repE0EEENS1_48merge_mergepath_partition_config_static_selectorELNS0_4arch9wavefront6targetE0EEEvSF_,"axG",@progbits,_ZN7rocprim17ROCPRIM_400000_NS6detail17trampoline_kernelINS0_14default_configENS1_38merge_sort_block_merge_config_selectorIaNS0_10empty_typeEEEZZNS1_27merge_sort_block_merge_implIS3_PaPS5_jNS1_19radix_merge_compareILb0ELb0EaNS0_19identity_decomposerEEEEE10hipError_tT0_T1_T2_jT3_P12ihipStream_tbPNSt15iterator_traitsISE_E10value_typeEPNSK_ISF_E10value_typeEPSG_NS1_7vsmem_tEENKUlT_SE_SF_SG_E_clIS8_S8_S9_S9_EESD_ST_SE_SF_SG_EUlST_E_NS1_11comp_targetILNS1_3genE3ELNS1_11target_archE908ELNS1_3gpuE7ELNS1_3repE0EEENS1_48merge_mergepath_partition_config_static_selectorELNS0_4arch9wavefront6targetE0EEEvSF_,comdat
.Lfunc_end404:
	.size	_ZN7rocprim17ROCPRIM_400000_NS6detail17trampoline_kernelINS0_14default_configENS1_38merge_sort_block_merge_config_selectorIaNS0_10empty_typeEEEZZNS1_27merge_sort_block_merge_implIS3_PaPS5_jNS1_19radix_merge_compareILb0ELb0EaNS0_19identity_decomposerEEEEE10hipError_tT0_T1_T2_jT3_P12ihipStream_tbPNSt15iterator_traitsISE_E10value_typeEPNSK_ISF_E10value_typeEPSG_NS1_7vsmem_tEENKUlT_SE_SF_SG_E_clIS8_S8_S9_S9_EESD_ST_SE_SF_SG_EUlST_E_NS1_11comp_targetILNS1_3genE3ELNS1_11target_archE908ELNS1_3gpuE7ELNS1_3repE0EEENS1_48merge_mergepath_partition_config_static_selectorELNS0_4arch9wavefront6targetE0EEEvSF_, .Lfunc_end404-_ZN7rocprim17ROCPRIM_400000_NS6detail17trampoline_kernelINS0_14default_configENS1_38merge_sort_block_merge_config_selectorIaNS0_10empty_typeEEEZZNS1_27merge_sort_block_merge_implIS3_PaPS5_jNS1_19radix_merge_compareILb0ELb0EaNS0_19identity_decomposerEEEEE10hipError_tT0_T1_T2_jT3_P12ihipStream_tbPNSt15iterator_traitsISE_E10value_typeEPNSK_ISF_E10value_typeEPSG_NS1_7vsmem_tEENKUlT_SE_SF_SG_E_clIS8_S8_S9_S9_EESD_ST_SE_SF_SG_EUlST_E_NS1_11comp_targetILNS1_3genE3ELNS1_11target_archE908ELNS1_3gpuE7ELNS1_3repE0EEENS1_48merge_mergepath_partition_config_static_selectorELNS0_4arch9wavefront6targetE0EEEvSF_
                                        ; -- End function
	.set _ZN7rocprim17ROCPRIM_400000_NS6detail17trampoline_kernelINS0_14default_configENS1_38merge_sort_block_merge_config_selectorIaNS0_10empty_typeEEEZZNS1_27merge_sort_block_merge_implIS3_PaPS5_jNS1_19radix_merge_compareILb0ELb0EaNS0_19identity_decomposerEEEEE10hipError_tT0_T1_T2_jT3_P12ihipStream_tbPNSt15iterator_traitsISE_E10value_typeEPNSK_ISF_E10value_typeEPSG_NS1_7vsmem_tEENKUlT_SE_SF_SG_E_clIS8_S8_S9_S9_EESD_ST_SE_SF_SG_EUlST_E_NS1_11comp_targetILNS1_3genE3ELNS1_11target_archE908ELNS1_3gpuE7ELNS1_3repE0EEENS1_48merge_mergepath_partition_config_static_selectorELNS0_4arch9wavefront6targetE0EEEvSF_.num_vgpr, 0
	.set _ZN7rocprim17ROCPRIM_400000_NS6detail17trampoline_kernelINS0_14default_configENS1_38merge_sort_block_merge_config_selectorIaNS0_10empty_typeEEEZZNS1_27merge_sort_block_merge_implIS3_PaPS5_jNS1_19radix_merge_compareILb0ELb0EaNS0_19identity_decomposerEEEEE10hipError_tT0_T1_T2_jT3_P12ihipStream_tbPNSt15iterator_traitsISE_E10value_typeEPNSK_ISF_E10value_typeEPSG_NS1_7vsmem_tEENKUlT_SE_SF_SG_E_clIS8_S8_S9_S9_EESD_ST_SE_SF_SG_EUlST_E_NS1_11comp_targetILNS1_3genE3ELNS1_11target_archE908ELNS1_3gpuE7ELNS1_3repE0EEENS1_48merge_mergepath_partition_config_static_selectorELNS0_4arch9wavefront6targetE0EEEvSF_.num_agpr, 0
	.set _ZN7rocprim17ROCPRIM_400000_NS6detail17trampoline_kernelINS0_14default_configENS1_38merge_sort_block_merge_config_selectorIaNS0_10empty_typeEEEZZNS1_27merge_sort_block_merge_implIS3_PaPS5_jNS1_19radix_merge_compareILb0ELb0EaNS0_19identity_decomposerEEEEE10hipError_tT0_T1_T2_jT3_P12ihipStream_tbPNSt15iterator_traitsISE_E10value_typeEPNSK_ISF_E10value_typeEPSG_NS1_7vsmem_tEENKUlT_SE_SF_SG_E_clIS8_S8_S9_S9_EESD_ST_SE_SF_SG_EUlST_E_NS1_11comp_targetILNS1_3genE3ELNS1_11target_archE908ELNS1_3gpuE7ELNS1_3repE0EEENS1_48merge_mergepath_partition_config_static_selectorELNS0_4arch9wavefront6targetE0EEEvSF_.numbered_sgpr, 0
	.set _ZN7rocprim17ROCPRIM_400000_NS6detail17trampoline_kernelINS0_14default_configENS1_38merge_sort_block_merge_config_selectorIaNS0_10empty_typeEEEZZNS1_27merge_sort_block_merge_implIS3_PaPS5_jNS1_19radix_merge_compareILb0ELb0EaNS0_19identity_decomposerEEEEE10hipError_tT0_T1_T2_jT3_P12ihipStream_tbPNSt15iterator_traitsISE_E10value_typeEPNSK_ISF_E10value_typeEPSG_NS1_7vsmem_tEENKUlT_SE_SF_SG_E_clIS8_S8_S9_S9_EESD_ST_SE_SF_SG_EUlST_E_NS1_11comp_targetILNS1_3genE3ELNS1_11target_archE908ELNS1_3gpuE7ELNS1_3repE0EEENS1_48merge_mergepath_partition_config_static_selectorELNS0_4arch9wavefront6targetE0EEEvSF_.num_named_barrier, 0
	.set _ZN7rocprim17ROCPRIM_400000_NS6detail17trampoline_kernelINS0_14default_configENS1_38merge_sort_block_merge_config_selectorIaNS0_10empty_typeEEEZZNS1_27merge_sort_block_merge_implIS3_PaPS5_jNS1_19radix_merge_compareILb0ELb0EaNS0_19identity_decomposerEEEEE10hipError_tT0_T1_T2_jT3_P12ihipStream_tbPNSt15iterator_traitsISE_E10value_typeEPNSK_ISF_E10value_typeEPSG_NS1_7vsmem_tEENKUlT_SE_SF_SG_E_clIS8_S8_S9_S9_EESD_ST_SE_SF_SG_EUlST_E_NS1_11comp_targetILNS1_3genE3ELNS1_11target_archE908ELNS1_3gpuE7ELNS1_3repE0EEENS1_48merge_mergepath_partition_config_static_selectorELNS0_4arch9wavefront6targetE0EEEvSF_.private_seg_size, 0
	.set _ZN7rocprim17ROCPRIM_400000_NS6detail17trampoline_kernelINS0_14default_configENS1_38merge_sort_block_merge_config_selectorIaNS0_10empty_typeEEEZZNS1_27merge_sort_block_merge_implIS3_PaPS5_jNS1_19radix_merge_compareILb0ELb0EaNS0_19identity_decomposerEEEEE10hipError_tT0_T1_T2_jT3_P12ihipStream_tbPNSt15iterator_traitsISE_E10value_typeEPNSK_ISF_E10value_typeEPSG_NS1_7vsmem_tEENKUlT_SE_SF_SG_E_clIS8_S8_S9_S9_EESD_ST_SE_SF_SG_EUlST_E_NS1_11comp_targetILNS1_3genE3ELNS1_11target_archE908ELNS1_3gpuE7ELNS1_3repE0EEENS1_48merge_mergepath_partition_config_static_selectorELNS0_4arch9wavefront6targetE0EEEvSF_.uses_vcc, 0
	.set _ZN7rocprim17ROCPRIM_400000_NS6detail17trampoline_kernelINS0_14default_configENS1_38merge_sort_block_merge_config_selectorIaNS0_10empty_typeEEEZZNS1_27merge_sort_block_merge_implIS3_PaPS5_jNS1_19radix_merge_compareILb0ELb0EaNS0_19identity_decomposerEEEEE10hipError_tT0_T1_T2_jT3_P12ihipStream_tbPNSt15iterator_traitsISE_E10value_typeEPNSK_ISF_E10value_typeEPSG_NS1_7vsmem_tEENKUlT_SE_SF_SG_E_clIS8_S8_S9_S9_EESD_ST_SE_SF_SG_EUlST_E_NS1_11comp_targetILNS1_3genE3ELNS1_11target_archE908ELNS1_3gpuE7ELNS1_3repE0EEENS1_48merge_mergepath_partition_config_static_selectorELNS0_4arch9wavefront6targetE0EEEvSF_.uses_flat_scratch, 0
	.set _ZN7rocprim17ROCPRIM_400000_NS6detail17trampoline_kernelINS0_14default_configENS1_38merge_sort_block_merge_config_selectorIaNS0_10empty_typeEEEZZNS1_27merge_sort_block_merge_implIS3_PaPS5_jNS1_19radix_merge_compareILb0ELb0EaNS0_19identity_decomposerEEEEE10hipError_tT0_T1_T2_jT3_P12ihipStream_tbPNSt15iterator_traitsISE_E10value_typeEPNSK_ISF_E10value_typeEPSG_NS1_7vsmem_tEENKUlT_SE_SF_SG_E_clIS8_S8_S9_S9_EESD_ST_SE_SF_SG_EUlST_E_NS1_11comp_targetILNS1_3genE3ELNS1_11target_archE908ELNS1_3gpuE7ELNS1_3repE0EEENS1_48merge_mergepath_partition_config_static_selectorELNS0_4arch9wavefront6targetE0EEEvSF_.has_dyn_sized_stack, 0
	.set _ZN7rocprim17ROCPRIM_400000_NS6detail17trampoline_kernelINS0_14default_configENS1_38merge_sort_block_merge_config_selectorIaNS0_10empty_typeEEEZZNS1_27merge_sort_block_merge_implIS3_PaPS5_jNS1_19radix_merge_compareILb0ELb0EaNS0_19identity_decomposerEEEEE10hipError_tT0_T1_T2_jT3_P12ihipStream_tbPNSt15iterator_traitsISE_E10value_typeEPNSK_ISF_E10value_typeEPSG_NS1_7vsmem_tEENKUlT_SE_SF_SG_E_clIS8_S8_S9_S9_EESD_ST_SE_SF_SG_EUlST_E_NS1_11comp_targetILNS1_3genE3ELNS1_11target_archE908ELNS1_3gpuE7ELNS1_3repE0EEENS1_48merge_mergepath_partition_config_static_selectorELNS0_4arch9wavefront6targetE0EEEvSF_.has_recursion, 0
	.set _ZN7rocprim17ROCPRIM_400000_NS6detail17trampoline_kernelINS0_14default_configENS1_38merge_sort_block_merge_config_selectorIaNS0_10empty_typeEEEZZNS1_27merge_sort_block_merge_implIS3_PaPS5_jNS1_19radix_merge_compareILb0ELb0EaNS0_19identity_decomposerEEEEE10hipError_tT0_T1_T2_jT3_P12ihipStream_tbPNSt15iterator_traitsISE_E10value_typeEPNSK_ISF_E10value_typeEPSG_NS1_7vsmem_tEENKUlT_SE_SF_SG_E_clIS8_S8_S9_S9_EESD_ST_SE_SF_SG_EUlST_E_NS1_11comp_targetILNS1_3genE3ELNS1_11target_archE908ELNS1_3gpuE7ELNS1_3repE0EEENS1_48merge_mergepath_partition_config_static_selectorELNS0_4arch9wavefront6targetE0EEEvSF_.has_indirect_call, 0
	.section	.AMDGPU.csdata,"",@progbits
; Kernel info:
; codeLenInByte = 0
; TotalNumSgprs: 0
; NumVgprs: 0
; ScratchSize: 0
; MemoryBound: 0
; FloatMode: 240
; IeeeMode: 1
; LDSByteSize: 0 bytes/workgroup (compile time only)
; SGPRBlocks: 0
; VGPRBlocks: 0
; NumSGPRsForWavesPerEU: 1
; NumVGPRsForWavesPerEU: 1
; NamedBarCnt: 0
; Occupancy: 16
; WaveLimiterHint : 0
; COMPUTE_PGM_RSRC2:SCRATCH_EN: 0
; COMPUTE_PGM_RSRC2:USER_SGPR: 2
; COMPUTE_PGM_RSRC2:TRAP_HANDLER: 0
; COMPUTE_PGM_RSRC2:TGID_X_EN: 1
; COMPUTE_PGM_RSRC2:TGID_Y_EN: 0
; COMPUTE_PGM_RSRC2:TGID_Z_EN: 0
; COMPUTE_PGM_RSRC2:TIDIG_COMP_CNT: 0
	.section	.text._ZN7rocprim17ROCPRIM_400000_NS6detail17trampoline_kernelINS0_14default_configENS1_38merge_sort_block_merge_config_selectorIaNS0_10empty_typeEEEZZNS1_27merge_sort_block_merge_implIS3_PaPS5_jNS1_19radix_merge_compareILb0ELb0EaNS0_19identity_decomposerEEEEE10hipError_tT0_T1_T2_jT3_P12ihipStream_tbPNSt15iterator_traitsISE_E10value_typeEPNSK_ISF_E10value_typeEPSG_NS1_7vsmem_tEENKUlT_SE_SF_SG_E_clIS8_S8_S9_S9_EESD_ST_SE_SF_SG_EUlST_E_NS1_11comp_targetILNS1_3genE2ELNS1_11target_archE906ELNS1_3gpuE6ELNS1_3repE0EEENS1_48merge_mergepath_partition_config_static_selectorELNS0_4arch9wavefront6targetE0EEEvSF_,"axG",@progbits,_ZN7rocprim17ROCPRIM_400000_NS6detail17trampoline_kernelINS0_14default_configENS1_38merge_sort_block_merge_config_selectorIaNS0_10empty_typeEEEZZNS1_27merge_sort_block_merge_implIS3_PaPS5_jNS1_19radix_merge_compareILb0ELb0EaNS0_19identity_decomposerEEEEE10hipError_tT0_T1_T2_jT3_P12ihipStream_tbPNSt15iterator_traitsISE_E10value_typeEPNSK_ISF_E10value_typeEPSG_NS1_7vsmem_tEENKUlT_SE_SF_SG_E_clIS8_S8_S9_S9_EESD_ST_SE_SF_SG_EUlST_E_NS1_11comp_targetILNS1_3genE2ELNS1_11target_archE906ELNS1_3gpuE6ELNS1_3repE0EEENS1_48merge_mergepath_partition_config_static_selectorELNS0_4arch9wavefront6targetE0EEEvSF_,comdat
	.protected	_ZN7rocprim17ROCPRIM_400000_NS6detail17trampoline_kernelINS0_14default_configENS1_38merge_sort_block_merge_config_selectorIaNS0_10empty_typeEEEZZNS1_27merge_sort_block_merge_implIS3_PaPS5_jNS1_19radix_merge_compareILb0ELb0EaNS0_19identity_decomposerEEEEE10hipError_tT0_T1_T2_jT3_P12ihipStream_tbPNSt15iterator_traitsISE_E10value_typeEPNSK_ISF_E10value_typeEPSG_NS1_7vsmem_tEENKUlT_SE_SF_SG_E_clIS8_S8_S9_S9_EESD_ST_SE_SF_SG_EUlST_E_NS1_11comp_targetILNS1_3genE2ELNS1_11target_archE906ELNS1_3gpuE6ELNS1_3repE0EEENS1_48merge_mergepath_partition_config_static_selectorELNS0_4arch9wavefront6targetE0EEEvSF_ ; -- Begin function _ZN7rocprim17ROCPRIM_400000_NS6detail17trampoline_kernelINS0_14default_configENS1_38merge_sort_block_merge_config_selectorIaNS0_10empty_typeEEEZZNS1_27merge_sort_block_merge_implIS3_PaPS5_jNS1_19radix_merge_compareILb0ELb0EaNS0_19identity_decomposerEEEEE10hipError_tT0_T1_T2_jT3_P12ihipStream_tbPNSt15iterator_traitsISE_E10value_typeEPNSK_ISF_E10value_typeEPSG_NS1_7vsmem_tEENKUlT_SE_SF_SG_E_clIS8_S8_S9_S9_EESD_ST_SE_SF_SG_EUlST_E_NS1_11comp_targetILNS1_3genE2ELNS1_11target_archE906ELNS1_3gpuE6ELNS1_3repE0EEENS1_48merge_mergepath_partition_config_static_selectorELNS0_4arch9wavefront6targetE0EEEvSF_
	.globl	_ZN7rocprim17ROCPRIM_400000_NS6detail17trampoline_kernelINS0_14default_configENS1_38merge_sort_block_merge_config_selectorIaNS0_10empty_typeEEEZZNS1_27merge_sort_block_merge_implIS3_PaPS5_jNS1_19radix_merge_compareILb0ELb0EaNS0_19identity_decomposerEEEEE10hipError_tT0_T1_T2_jT3_P12ihipStream_tbPNSt15iterator_traitsISE_E10value_typeEPNSK_ISF_E10value_typeEPSG_NS1_7vsmem_tEENKUlT_SE_SF_SG_E_clIS8_S8_S9_S9_EESD_ST_SE_SF_SG_EUlST_E_NS1_11comp_targetILNS1_3genE2ELNS1_11target_archE906ELNS1_3gpuE6ELNS1_3repE0EEENS1_48merge_mergepath_partition_config_static_selectorELNS0_4arch9wavefront6targetE0EEEvSF_
	.p2align	8
	.type	_ZN7rocprim17ROCPRIM_400000_NS6detail17trampoline_kernelINS0_14default_configENS1_38merge_sort_block_merge_config_selectorIaNS0_10empty_typeEEEZZNS1_27merge_sort_block_merge_implIS3_PaPS5_jNS1_19radix_merge_compareILb0ELb0EaNS0_19identity_decomposerEEEEE10hipError_tT0_T1_T2_jT3_P12ihipStream_tbPNSt15iterator_traitsISE_E10value_typeEPNSK_ISF_E10value_typeEPSG_NS1_7vsmem_tEENKUlT_SE_SF_SG_E_clIS8_S8_S9_S9_EESD_ST_SE_SF_SG_EUlST_E_NS1_11comp_targetILNS1_3genE2ELNS1_11target_archE906ELNS1_3gpuE6ELNS1_3repE0EEENS1_48merge_mergepath_partition_config_static_selectorELNS0_4arch9wavefront6targetE0EEEvSF_,@function
_ZN7rocprim17ROCPRIM_400000_NS6detail17trampoline_kernelINS0_14default_configENS1_38merge_sort_block_merge_config_selectorIaNS0_10empty_typeEEEZZNS1_27merge_sort_block_merge_implIS3_PaPS5_jNS1_19radix_merge_compareILb0ELb0EaNS0_19identity_decomposerEEEEE10hipError_tT0_T1_T2_jT3_P12ihipStream_tbPNSt15iterator_traitsISE_E10value_typeEPNSK_ISF_E10value_typeEPSG_NS1_7vsmem_tEENKUlT_SE_SF_SG_E_clIS8_S8_S9_S9_EESD_ST_SE_SF_SG_EUlST_E_NS1_11comp_targetILNS1_3genE2ELNS1_11target_archE906ELNS1_3gpuE6ELNS1_3repE0EEENS1_48merge_mergepath_partition_config_static_selectorELNS0_4arch9wavefront6targetE0EEEvSF_: ; @_ZN7rocprim17ROCPRIM_400000_NS6detail17trampoline_kernelINS0_14default_configENS1_38merge_sort_block_merge_config_selectorIaNS0_10empty_typeEEEZZNS1_27merge_sort_block_merge_implIS3_PaPS5_jNS1_19radix_merge_compareILb0ELb0EaNS0_19identity_decomposerEEEEE10hipError_tT0_T1_T2_jT3_P12ihipStream_tbPNSt15iterator_traitsISE_E10value_typeEPNSK_ISF_E10value_typeEPSG_NS1_7vsmem_tEENKUlT_SE_SF_SG_E_clIS8_S8_S9_S9_EESD_ST_SE_SF_SG_EUlST_E_NS1_11comp_targetILNS1_3genE2ELNS1_11target_archE906ELNS1_3gpuE6ELNS1_3repE0EEENS1_48merge_mergepath_partition_config_static_selectorELNS0_4arch9wavefront6targetE0EEEvSF_
; %bb.0:
	.section	.rodata,"a",@progbits
	.p2align	6, 0x0
	.amdhsa_kernel _ZN7rocprim17ROCPRIM_400000_NS6detail17trampoline_kernelINS0_14default_configENS1_38merge_sort_block_merge_config_selectorIaNS0_10empty_typeEEEZZNS1_27merge_sort_block_merge_implIS3_PaPS5_jNS1_19radix_merge_compareILb0ELb0EaNS0_19identity_decomposerEEEEE10hipError_tT0_T1_T2_jT3_P12ihipStream_tbPNSt15iterator_traitsISE_E10value_typeEPNSK_ISF_E10value_typeEPSG_NS1_7vsmem_tEENKUlT_SE_SF_SG_E_clIS8_S8_S9_S9_EESD_ST_SE_SF_SG_EUlST_E_NS1_11comp_targetILNS1_3genE2ELNS1_11target_archE906ELNS1_3gpuE6ELNS1_3repE0EEENS1_48merge_mergepath_partition_config_static_selectorELNS0_4arch9wavefront6targetE0EEEvSF_
		.amdhsa_group_segment_fixed_size 0
		.amdhsa_private_segment_fixed_size 0
		.amdhsa_kernarg_size 40
		.amdhsa_user_sgpr_count 2
		.amdhsa_user_sgpr_dispatch_ptr 0
		.amdhsa_user_sgpr_queue_ptr 0
		.amdhsa_user_sgpr_kernarg_segment_ptr 1
		.amdhsa_user_sgpr_dispatch_id 0
		.amdhsa_user_sgpr_kernarg_preload_length 0
		.amdhsa_user_sgpr_kernarg_preload_offset 0
		.amdhsa_user_sgpr_private_segment_size 0
		.amdhsa_wavefront_size32 1
		.amdhsa_uses_dynamic_stack 0
		.amdhsa_enable_private_segment 0
		.amdhsa_system_sgpr_workgroup_id_x 1
		.amdhsa_system_sgpr_workgroup_id_y 0
		.amdhsa_system_sgpr_workgroup_id_z 0
		.amdhsa_system_sgpr_workgroup_info 0
		.amdhsa_system_vgpr_workitem_id 0
		.amdhsa_next_free_vgpr 1
		.amdhsa_next_free_sgpr 1
		.amdhsa_named_barrier_count 0
		.amdhsa_reserve_vcc 0
		.amdhsa_float_round_mode_32 0
		.amdhsa_float_round_mode_16_64 0
		.amdhsa_float_denorm_mode_32 3
		.amdhsa_float_denorm_mode_16_64 3
		.amdhsa_fp16_overflow 0
		.amdhsa_memory_ordered 1
		.amdhsa_forward_progress 1
		.amdhsa_inst_pref_size 0
		.amdhsa_round_robin_scheduling 0
		.amdhsa_exception_fp_ieee_invalid_op 0
		.amdhsa_exception_fp_denorm_src 0
		.amdhsa_exception_fp_ieee_div_zero 0
		.amdhsa_exception_fp_ieee_overflow 0
		.amdhsa_exception_fp_ieee_underflow 0
		.amdhsa_exception_fp_ieee_inexact 0
		.amdhsa_exception_int_div_zero 0
	.end_amdhsa_kernel
	.section	.text._ZN7rocprim17ROCPRIM_400000_NS6detail17trampoline_kernelINS0_14default_configENS1_38merge_sort_block_merge_config_selectorIaNS0_10empty_typeEEEZZNS1_27merge_sort_block_merge_implIS3_PaPS5_jNS1_19radix_merge_compareILb0ELb0EaNS0_19identity_decomposerEEEEE10hipError_tT0_T1_T2_jT3_P12ihipStream_tbPNSt15iterator_traitsISE_E10value_typeEPNSK_ISF_E10value_typeEPSG_NS1_7vsmem_tEENKUlT_SE_SF_SG_E_clIS8_S8_S9_S9_EESD_ST_SE_SF_SG_EUlST_E_NS1_11comp_targetILNS1_3genE2ELNS1_11target_archE906ELNS1_3gpuE6ELNS1_3repE0EEENS1_48merge_mergepath_partition_config_static_selectorELNS0_4arch9wavefront6targetE0EEEvSF_,"axG",@progbits,_ZN7rocprim17ROCPRIM_400000_NS6detail17trampoline_kernelINS0_14default_configENS1_38merge_sort_block_merge_config_selectorIaNS0_10empty_typeEEEZZNS1_27merge_sort_block_merge_implIS3_PaPS5_jNS1_19radix_merge_compareILb0ELb0EaNS0_19identity_decomposerEEEEE10hipError_tT0_T1_T2_jT3_P12ihipStream_tbPNSt15iterator_traitsISE_E10value_typeEPNSK_ISF_E10value_typeEPSG_NS1_7vsmem_tEENKUlT_SE_SF_SG_E_clIS8_S8_S9_S9_EESD_ST_SE_SF_SG_EUlST_E_NS1_11comp_targetILNS1_3genE2ELNS1_11target_archE906ELNS1_3gpuE6ELNS1_3repE0EEENS1_48merge_mergepath_partition_config_static_selectorELNS0_4arch9wavefront6targetE0EEEvSF_,comdat
.Lfunc_end405:
	.size	_ZN7rocprim17ROCPRIM_400000_NS6detail17trampoline_kernelINS0_14default_configENS1_38merge_sort_block_merge_config_selectorIaNS0_10empty_typeEEEZZNS1_27merge_sort_block_merge_implIS3_PaPS5_jNS1_19radix_merge_compareILb0ELb0EaNS0_19identity_decomposerEEEEE10hipError_tT0_T1_T2_jT3_P12ihipStream_tbPNSt15iterator_traitsISE_E10value_typeEPNSK_ISF_E10value_typeEPSG_NS1_7vsmem_tEENKUlT_SE_SF_SG_E_clIS8_S8_S9_S9_EESD_ST_SE_SF_SG_EUlST_E_NS1_11comp_targetILNS1_3genE2ELNS1_11target_archE906ELNS1_3gpuE6ELNS1_3repE0EEENS1_48merge_mergepath_partition_config_static_selectorELNS0_4arch9wavefront6targetE0EEEvSF_, .Lfunc_end405-_ZN7rocprim17ROCPRIM_400000_NS6detail17trampoline_kernelINS0_14default_configENS1_38merge_sort_block_merge_config_selectorIaNS0_10empty_typeEEEZZNS1_27merge_sort_block_merge_implIS3_PaPS5_jNS1_19radix_merge_compareILb0ELb0EaNS0_19identity_decomposerEEEEE10hipError_tT0_T1_T2_jT3_P12ihipStream_tbPNSt15iterator_traitsISE_E10value_typeEPNSK_ISF_E10value_typeEPSG_NS1_7vsmem_tEENKUlT_SE_SF_SG_E_clIS8_S8_S9_S9_EESD_ST_SE_SF_SG_EUlST_E_NS1_11comp_targetILNS1_3genE2ELNS1_11target_archE906ELNS1_3gpuE6ELNS1_3repE0EEENS1_48merge_mergepath_partition_config_static_selectorELNS0_4arch9wavefront6targetE0EEEvSF_
                                        ; -- End function
	.set _ZN7rocprim17ROCPRIM_400000_NS6detail17trampoline_kernelINS0_14default_configENS1_38merge_sort_block_merge_config_selectorIaNS0_10empty_typeEEEZZNS1_27merge_sort_block_merge_implIS3_PaPS5_jNS1_19radix_merge_compareILb0ELb0EaNS0_19identity_decomposerEEEEE10hipError_tT0_T1_T2_jT3_P12ihipStream_tbPNSt15iterator_traitsISE_E10value_typeEPNSK_ISF_E10value_typeEPSG_NS1_7vsmem_tEENKUlT_SE_SF_SG_E_clIS8_S8_S9_S9_EESD_ST_SE_SF_SG_EUlST_E_NS1_11comp_targetILNS1_3genE2ELNS1_11target_archE906ELNS1_3gpuE6ELNS1_3repE0EEENS1_48merge_mergepath_partition_config_static_selectorELNS0_4arch9wavefront6targetE0EEEvSF_.num_vgpr, 0
	.set _ZN7rocprim17ROCPRIM_400000_NS6detail17trampoline_kernelINS0_14default_configENS1_38merge_sort_block_merge_config_selectorIaNS0_10empty_typeEEEZZNS1_27merge_sort_block_merge_implIS3_PaPS5_jNS1_19radix_merge_compareILb0ELb0EaNS0_19identity_decomposerEEEEE10hipError_tT0_T1_T2_jT3_P12ihipStream_tbPNSt15iterator_traitsISE_E10value_typeEPNSK_ISF_E10value_typeEPSG_NS1_7vsmem_tEENKUlT_SE_SF_SG_E_clIS8_S8_S9_S9_EESD_ST_SE_SF_SG_EUlST_E_NS1_11comp_targetILNS1_3genE2ELNS1_11target_archE906ELNS1_3gpuE6ELNS1_3repE0EEENS1_48merge_mergepath_partition_config_static_selectorELNS0_4arch9wavefront6targetE0EEEvSF_.num_agpr, 0
	.set _ZN7rocprim17ROCPRIM_400000_NS6detail17trampoline_kernelINS0_14default_configENS1_38merge_sort_block_merge_config_selectorIaNS0_10empty_typeEEEZZNS1_27merge_sort_block_merge_implIS3_PaPS5_jNS1_19radix_merge_compareILb0ELb0EaNS0_19identity_decomposerEEEEE10hipError_tT0_T1_T2_jT3_P12ihipStream_tbPNSt15iterator_traitsISE_E10value_typeEPNSK_ISF_E10value_typeEPSG_NS1_7vsmem_tEENKUlT_SE_SF_SG_E_clIS8_S8_S9_S9_EESD_ST_SE_SF_SG_EUlST_E_NS1_11comp_targetILNS1_3genE2ELNS1_11target_archE906ELNS1_3gpuE6ELNS1_3repE0EEENS1_48merge_mergepath_partition_config_static_selectorELNS0_4arch9wavefront6targetE0EEEvSF_.numbered_sgpr, 0
	.set _ZN7rocprim17ROCPRIM_400000_NS6detail17trampoline_kernelINS0_14default_configENS1_38merge_sort_block_merge_config_selectorIaNS0_10empty_typeEEEZZNS1_27merge_sort_block_merge_implIS3_PaPS5_jNS1_19radix_merge_compareILb0ELb0EaNS0_19identity_decomposerEEEEE10hipError_tT0_T1_T2_jT3_P12ihipStream_tbPNSt15iterator_traitsISE_E10value_typeEPNSK_ISF_E10value_typeEPSG_NS1_7vsmem_tEENKUlT_SE_SF_SG_E_clIS8_S8_S9_S9_EESD_ST_SE_SF_SG_EUlST_E_NS1_11comp_targetILNS1_3genE2ELNS1_11target_archE906ELNS1_3gpuE6ELNS1_3repE0EEENS1_48merge_mergepath_partition_config_static_selectorELNS0_4arch9wavefront6targetE0EEEvSF_.num_named_barrier, 0
	.set _ZN7rocprim17ROCPRIM_400000_NS6detail17trampoline_kernelINS0_14default_configENS1_38merge_sort_block_merge_config_selectorIaNS0_10empty_typeEEEZZNS1_27merge_sort_block_merge_implIS3_PaPS5_jNS1_19radix_merge_compareILb0ELb0EaNS0_19identity_decomposerEEEEE10hipError_tT0_T1_T2_jT3_P12ihipStream_tbPNSt15iterator_traitsISE_E10value_typeEPNSK_ISF_E10value_typeEPSG_NS1_7vsmem_tEENKUlT_SE_SF_SG_E_clIS8_S8_S9_S9_EESD_ST_SE_SF_SG_EUlST_E_NS1_11comp_targetILNS1_3genE2ELNS1_11target_archE906ELNS1_3gpuE6ELNS1_3repE0EEENS1_48merge_mergepath_partition_config_static_selectorELNS0_4arch9wavefront6targetE0EEEvSF_.private_seg_size, 0
	.set _ZN7rocprim17ROCPRIM_400000_NS6detail17trampoline_kernelINS0_14default_configENS1_38merge_sort_block_merge_config_selectorIaNS0_10empty_typeEEEZZNS1_27merge_sort_block_merge_implIS3_PaPS5_jNS1_19radix_merge_compareILb0ELb0EaNS0_19identity_decomposerEEEEE10hipError_tT0_T1_T2_jT3_P12ihipStream_tbPNSt15iterator_traitsISE_E10value_typeEPNSK_ISF_E10value_typeEPSG_NS1_7vsmem_tEENKUlT_SE_SF_SG_E_clIS8_S8_S9_S9_EESD_ST_SE_SF_SG_EUlST_E_NS1_11comp_targetILNS1_3genE2ELNS1_11target_archE906ELNS1_3gpuE6ELNS1_3repE0EEENS1_48merge_mergepath_partition_config_static_selectorELNS0_4arch9wavefront6targetE0EEEvSF_.uses_vcc, 0
	.set _ZN7rocprim17ROCPRIM_400000_NS6detail17trampoline_kernelINS0_14default_configENS1_38merge_sort_block_merge_config_selectorIaNS0_10empty_typeEEEZZNS1_27merge_sort_block_merge_implIS3_PaPS5_jNS1_19radix_merge_compareILb0ELb0EaNS0_19identity_decomposerEEEEE10hipError_tT0_T1_T2_jT3_P12ihipStream_tbPNSt15iterator_traitsISE_E10value_typeEPNSK_ISF_E10value_typeEPSG_NS1_7vsmem_tEENKUlT_SE_SF_SG_E_clIS8_S8_S9_S9_EESD_ST_SE_SF_SG_EUlST_E_NS1_11comp_targetILNS1_3genE2ELNS1_11target_archE906ELNS1_3gpuE6ELNS1_3repE0EEENS1_48merge_mergepath_partition_config_static_selectorELNS0_4arch9wavefront6targetE0EEEvSF_.uses_flat_scratch, 0
	.set _ZN7rocprim17ROCPRIM_400000_NS6detail17trampoline_kernelINS0_14default_configENS1_38merge_sort_block_merge_config_selectorIaNS0_10empty_typeEEEZZNS1_27merge_sort_block_merge_implIS3_PaPS5_jNS1_19radix_merge_compareILb0ELb0EaNS0_19identity_decomposerEEEEE10hipError_tT0_T1_T2_jT3_P12ihipStream_tbPNSt15iterator_traitsISE_E10value_typeEPNSK_ISF_E10value_typeEPSG_NS1_7vsmem_tEENKUlT_SE_SF_SG_E_clIS8_S8_S9_S9_EESD_ST_SE_SF_SG_EUlST_E_NS1_11comp_targetILNS1_3genE2ELNS1_11target_archE906ELNS1_3gpuE6ELNS1_3repE0EEENS1_48merge_mergepath_partition_config_static_selectorELNS0_4arch9wavefront6targetE0EEEvSF_.has_dyn_sized_stack, 0
	.set _ZN7rocprim17ROCPRIM_400000_NS6detail17trampoline_kernelINS0_14default_configENS1_38merge_sort_block_merge_config_selectorIaNS0_10empty_typeEEEZZNS1_27merge_sort_block_merge_implIS3_PaPS5_jNS1_19radix_merge_compareILb0ELb0EaNS0_19identity_decomposerEEEEE10hipError_tT0_T1_T2_jT3_P12ihipStream_tbPNSt15iterator_traitsISE_E10value_typeEPNSK_ISF_E10value_typeEPSG_NS1_7vsmem_tEENKUlT_SE_SF_SG_E_clIS8_S8_S9_S9_EESD_ST_SE_SF_SG_EUlST_E_NS1_11comp_targetILNS1_3genE2ELNS1_11target_archE906ELNS1_3gpuE6ELNS1_3repE0EEENS1_48merge_mergepath_partition_config_static_selectorELNS0_4arch9wavefront6targetE0EEEvSF_.has_recursion, 0
	.set _ZN7rocprim17ROCPRIM_400000_NS6detail17trampoline_kernelINS0_14default_configENS1_38merge_sort_block_merge_config_selectorIaNS0_10empty_typeEEEZZNS1_27merge_sort_block_merge_implIS3_PaPS5_jNS1_19radix_merge_compareILb0ELb0EaNS0_19identity_decomposerEEEEE10hipError_tT0_T1_T2_jT3_P12ihipStream_tbPNSt15iterator_traitsISE_E10value_typeEPNSK_ISF_E10value_typeEPSG_NS1_7vsmem_tEENKUlT_SE_SF_SG_E_clIS8_S8_S9_S9_EESD_ST_SE_SF_SG_EUlST_E_NS1_11comp_targetILNS1_3genE2ELNS1_11target_archE906ELNS1_3gpuE6ELNS1_3repE0EEENS1_48merge_mergepath_partition_config_static_selectorELNS0_4arch9wavefront6targetE0EEEvSF_.has_indirect_call, 0
	.section	.AMDGPU.csdata,"",@progbits
; Kernel info:
; codeLenInByte = 0
; TotalNumSgprs: 0
; NumVgprs: 0
; ScratchSize: 0
; MemoryBound: 0
; FloatMode: 240
; IeeeMode: 1
; LDSByteSize: 0 bytes/workgroup (compile time only)
; SGPRBlocks: 0
; VGPRBlocks: 0
; NumSGPRsForWavesPerEU: 1
; NumVGPRsForWavesPerEU: 1
; NamedBarCnt: 0
; Occupancy: 16
; WaveLimiterHint : 0
; COMPUTE_PGM_RSRC2:SCRATCH_EN: 0
; COMPUTE_PGM_RSRC2:USER_SGPR: 2
; COMPUTE_PGM_RSRC2:TRAP_HANDLER: 0
; COMPUTE_PGM_RSRC2:TGID_X_EN: 1
; COMPUTE_PGM_RSRC2:TGID_Y_EN: 0
; COMPUTE_PGM_RSRC2:TGID_Z_EN: 0
; COMPUTE_PGM_RSRC2:TIDIG_COMP_CNT: 0
	.section	.text._ZN7rocprim17ROCPRIM_400000_NS6detail17trampoline_kernelINS0_14default_configENS1_38merge_sort_block_merge_config_selectorIaNS0_10empty_typeEEEZZNS1_27merge_sort_block_merge_implIS3_PaPS5_jNS1_19radix_merge_compareILb0ELb0EaNS0_19identity_decomposerEEEEE10hipError_tT0_T1_T2_jT3_P12ihipStream_tbPNSt15iterator_traitsISE_E10value_typeEPNSK_ISF_E10value_typeEPSG_NS1_7vsmem_tEENKUlT_SE_SF_SG_E_clIS8_S8_S9_S9_EESD_ST_SE_SF_SG_EUlST_E_NS1_11comp_targetILNS1_3genE9ELNS1_11target_archE1100ELNS1_3gpuE3ELNS1_3repE0EEENS1_48merge_mergepath_partition_config_static_selectorELNS0_4arch9wavefront6targetE0EEEvSF_,"axG",@progbits,_ZN7rocprim17ROCPRIM_400000_NS6detail17trampoline_kernelINS0_14default_configENS1_38merge_sort_block_merge_config_selectorIaNS0_10empty_typeEEEZZNS1_27merge_sort_block_merge_implIS3_PaPS5_jNS1_19radix_merge_compareILb0ELb0EaNS0_19identity_decomposerEEEEE10hipError_tT0_T1_T2_jT3_P12ihipStream_tbPNSt15iterator_traitsISE_E10value_typeEPNSK_ISF_E10value_typeEPSG_NS1_7vsmem_tEENKUlT_SE_SF_SG_E_clIS8_S8_S9_S9_EESD_ST_SE_SF_SG_EUlST_E_NS1_11comp_targetILNS1_3genE9ELNS1_11target_archE1100ELNS1_3gpuE3ELNS1_3repE0EEENS1_48merge_mergepath_partition_config_static_selectorELNS0_4arch9wavefront6targetE0EEEvSF_,comdat
	.protected	_ZN7rocprim17ROCPRIM_400000_NS6detail17trampoline_kernelINS0_14default_configENS1_38merge_sort_block_merge_config_selectorIaNS0_10empty_typeEEEZZNS1_27merge_sort_block_merge_implIS3_PaPS5_jNS1_19radix_merge_compareILb0ELb0EaNS0_19identity_decomposerEEEEE10hipError_tT0_T1_T2_jT3_P12ihipStream_tbPNSt15iterator_traitsISE_E10value_typeEPNSK_ISF_E10value_typeEPSG_NS1_7vsmem_tEENKUlT_SE_SF_SG_E_clIS8_S8_S9_S9_EESD_ST_SE_SF_SG_EUlST_E_NS1_11comp_targetILNS1_3genE9ELNS1_11target_archE1100ELNS1_3gpuE3ELNS1_3repE0EEENS1_48merge_mergepath_partition_config_static_selectorELNS0_4arch9wavefront6targetE0EEEvSF_ ; -- Begin function _ZN7rocprim17ROCPRIM_400000_NS6detail17trampoline_kernelINS0_14default_configENS1_38merge_sort_block_merge_config_selectorIaNS0_10empty_typeEEEZZNS1_27merge_sort_block_merge_implIS3_PaPS5_jNS1_19radix_merge_compareILb0ELb0EaNS0_19identity_decomposerEEEEE10hipError_tT0_T1_T2_jT3_P12ihipStream_tbPNSt15iterator_traitsISE_E10value_typeEPNSK_ISF_E10value_typeEPSG_NS1_7vsmem_tEENKUlT_SE_SF_SG_E_clIS8_S8_S9_S9_EESD_ST_SE_SF_SG_EUlST_E_NS1_11comp_targetILNS1_3genE9ELNS1_11target_archE1100ELNS1_3gpuE3ELNS1_3repE0EEENS1_48merge_mergepath_partition_config_static_selectorELNS0_4arch9wavefront6targetE0EEEvSF_
	.globl	_ZN7rocprim17ROCPRIM_400000_NS6detail17trampoline_kernelINS0_14default_configENS1_38merge_sort_block_merge_config_selectorIaNS0_10empty_typeEEEZZNS1_27merge_sort_block_merge_implIS3_PaPS5_jNS1_19radix_merge_compareILb0ELb0EaNS0_19identity_decomposerEEEEE10hipError_tT0_T1_T2_jT3_P12ihipStream_tbPNSt15iterator_traitsISE_E10value_typeEPNSK_ISF_E10value_typeEPSG_NS1_7vsmem_tEENKUlT_SE_SF_SG_E_clIS8_S8_S9_S9_EESD_ST_SE_SF_SG_EUlST_E_NS1_11comp_targetILNS1_3genE9ELNS1_11target_archE1100ELNS1_3gpuE3ELNS1_3repE0EEENS1_48merge_mergepath_partition_config_static_selectorELNS0_4arch9wavefront6targetE0EEEvSF_
	.p2align	8
	.type	_ZN7rocprim17ROCPRIM_400000_NS6detail17trampoline_kernelINS0_14default_configENS1_38merge_sort_block_merge_config_selectorIaNS0_10empty_typeEEEZZNS1_27merge_sort_block_merge_implIS3_PaPS5_jNS1_19radix_merge_compareILb0ELb0EaNS0_19identity_decomposerEEEEE10hipError_tT0_T1_T2_jT3_P12ihipStream_tbPNSt15iterator_traitsISE_E10value_typeEPNSK_ISF_E10value_typeEPSG_NS1_7vsmem_tEENKUlT_SE_SF_SG_E_clIS8_S8_S9_S9_EESD_ST_SE_SF_SG_EUlST_E_NS1_11comp_targetILNS1_3genE9ELNS1_11target_archE1100ELNS1_3gpuE3ELNS1_3repE0EEENS1_48merge_mergepath_partition_config_static_selectorELNS0_4arch9wavefront6targetE0EEEvSF_,@function
_ZN7rocprim17ROCPRIM_400000_NS6detail17trampoline_kernelINS0_14default_configENS1_38merge_sort_block_merge_config_selectorIaNS0_10empty_typeEEEZZNS1_27merge_sort_block_merge_implIS3_PaPS5_jNS1_19radix_merge_compareILb0ELb0EaNS0_19identity_decomposerEEEEE10hipError_tT0_T1_T2_jT3_P12ihipStream_tbPNSt15iterator_traitsISE_E10value_typeEPNSK_ISF_E10value_typeEPSG_NS1_7vsmem_tEENKUlT_SE_SF_SG_E_clIS8_S8_S9_S9_EESD_ST_SE_SF_SG_EUlST_E_NS1_11comp_targetILNS1_3genE9ELNS1_11target_archE1100ELNS1_3gpuE3ELNS1_3repE0EEENS1_48merge_mergepath_partition_config_static_selectorELNS0_4arch9wavefront6targetE0EEEvSF_: ; @_ZN7rocprim17ROCPRIM_400000_NS6detail17trampoline_kernelINS0_14default_configENS1_38merge_sort_block_merge_config_selectorIaNS0_10empty_typeEEEZZNS1_27merge_sort_block_merge_implIS3_PaPS5_jNS1_19radix_merge_compareILb0ELb0EaNS0_19identity_decomposerEEEEE10hipError_tT0_T1_T2_jT3_P12ihipStream_tbPNSt15iterator_traitsISE_E10value_typeEPNSK_ISF_E10value_typeEPSG_NS1_7vsmem_tEENKUlT_SE_SF_SG_E_clIS8_S8_S9_S9_EESD_ST_SE_SF_SG_EUlST_E_NS1_11comp_targetILNS1_3genE9ELNS1_11target_archE1100ELNS1_3gpuE3ELNS1_3repE0EEENS1_48merge_mergepath_partition_config_static_selectorELNS0_4arch9wavefront6targetE0EEEvSF_
; %bb.0:
	.section	.rodata,"a",@progbits
	.p2align	6, 0x0
	.amdhsa_kernel _ZN7rocprim17ROCPRIM_400000_NS6detail17trampoline_kernelINS0_14default_configENS1_38merge_sort_block_merge_config_selectorIaNS0_10empty_typeEEEZZNS1_27merge_sort_block_merge_implIS3_PaPS5_jNS1_19radix_merge_compareILb0ELb0EaNS0_19identity_decomposerEEEEE10hipError_tT0_T1_T2_jT3_P12ihipStream_tbPNSt15iterator_traitsISE_E10value_typeEPNSK_ISF_E10value_typeEPSG_NS1_7vsmem_tEENKUlT_SE_SF_SG_E_clIS8_S8_S9_S9_EESD_ST_SE_SF_SG_EUlST_E_NS1_11comp_targetILNS1_3genE9ELNS1_11target_archE1100ELNS1_3gpuE3ELNS1_3repE0EEENS1_48merge_mergepath_partition_config_static_selectorELNS0_4arch9wavefront6targetE0EEEvSF_
		.amdhsa_group_segment_fixed_size 0
		.amdhsa_private_segment_fixed_size 0
		.amdhsa_kernarg_size 40
		.amdhsa_user_sgpr_count 2
		.amdhsa_user_sgpr_dispatch_ptr 0
		.amdhsa_user_sgpr_queue_ptr 0
		.amdhsa_user_sgpr_kernarg_segment_ptr 1
		.amdhsa_user_sgpr_dispatch_id 0
		.amdhsa_user_sgpr_kernarg_preload_length 0
		.amdhsa_user_sgpr_kernarg_preload_offset 0
		.amdhsa_user_sgpr_private_segment_size 0
		.amdhsa_wavefront_size32 1
		.amdhsa_uses_dynamic_stack 0
		.amdhsa_enable_private_segment 0
		.amdhsa_system_sgpr_workgroup_id_x 1
		.amdhsa_system_sgpr_workgroup_id_y 0
		.amdhsa_system_sgpr_workgroup_id_z 0
		.amdhsa_system_sgpr_workgroup_info 0
		.amdhsa_system_vgpr_workitem_id 0
		.amdhsa_next_free_vgpr 1
		.amdhsa_next_free_sgpr 1
		.amdhsa_named_barrier_count 0
		.amdhsa_reserve_vcc 0
		.amdhsa_float_round_mode_32 0
		.amdhsa_float_round_mode_16_64 0
		.amdhsa_float_denorm_mode_32 3
		.amdhsa_float_denorm_mode_16_64 3
		.amdhsa_fp16_overflow 0
		.amdhsa_memory_ordered 1
		.amdhsa_forward_progress 1
		.amdhsa_inst_pref_size 0
		.amdhsa_round_robin_scheduling 0
		.amdhsa_exception_fp_ieee_invalid_op 0
		.amdhsa_exception_fp_denorm_src 0
		.amdhsa_exception_fp_ieee_div_zero 0
		.amdhsa_exception_fp_ieee_overflow 0
		.amdhsa_exception_fp_ieee_underflow 0
		.amdhsa_exception_fp_ieee_inexact 0
		.amdhsa_exception_int_div_zero 0
	.end_amdhsa_kernel
	.section	.text._ZN7rocprim17ROCPRIM_400000_NS6detail17trampoline_kernelINS0_14default_configENS1_38merge_sort_block_merge_config_selectorIaNS0_10empty_typeEEEZZNS1_27merge_sort_block_merge_implIS3_PaPS5_jNS1_19radix_merge_compareILb0ELb0EaNS0_19identity_decomposerEEEEE10hipError_tT0_T1_T2_jT3_P12ihipStream_tbPNSt15iterator_traitsISE_E10value_typeEPNSK_ISF_E10value_typeEPSG_NS1_7vsmem_tEENKUlT_SE_SF_SG_E_clIS8_S8_S9_S9_EESD_ST_SE_SF_SG_EUlST_E_NS1_11comp_targetILNS1_3genE9ELNS1_11target_archE1100ELNS1_3gpuE3ELNS1_3repE0EEENS1_48merge_mergepath_partition_config_static_selectorELNS0_4arch9wavefront6targetE0EEEvSF_,"axG",@progbits,_ZN7rocprim17ROCPRIM_400000_NS6detail17trampoline_kernelINS0_14default_configENS1_38merge_sort_block_merge_config_selectorIaNS0_10empty_typeEEEZZNS1_27merge_sort_block_merge_implIS3_PaPS5_jNS1_19radix_merge_compareILb0ELb0EaNS0_19identity_decomposerEEEEE10hipError_tT0_T1_T2_jT3_P12ihipStream_tbPNSt15iterator_traitsISE_E10value_typeEPNSK_ISF_E10value_typeEPSG_NS1_7vsmem_tEENKUlT_SE_SF_SG_E_clIS8_S8_S9_S9_EESD_ST_SE_SF_SG_EUlST_E_NS1_11comp_targetILNS1_3genE9ELNS1_11target_archE1100ELNS1_3gpuE3ELNS1_3repE0EEENS1_48merge_mergepath_partition_config_static_selectorELNS0_4arch9wavefront6targetE0EEEvSF_,comdat
.Lfunc_end406:
	.size	_ZN7rocprim17ROCPRIM_400000_NS6detail17trampoline_kernelINS0_14default_configENS1_38merge_sort_block_merge_config_selectorIaNS0_10empty_typeEEEZZNS1_27merge_sort_block_merge_implIS3_PaPS5_jNS1_19radix_merge_compareILb0ELb0EaNS0_19identity_decomposerEEEEE10hipError_tT0_T1_T2_jT3_P12ihipStream_tbPNSt15iterator_traitsISE_E10value_typeEPNSK_ISF_E10value_typeEPSG_NS1_7vsmem_tEENKUlT_SE_SF_SG_E_clIS8_S8_S9_S9_EESD_ST_SE_SF_SG_EUlST_E_NS1_11comp_targetILNS1_3genE9ELNS1_11target_archE1100ELNS1_3gpuE3ELNS1_3repE0EEENS1_48merge_mergepath_partition_config_static_selectorELNS0_4arch9wavefront6targetE0EEEvSF_, .Lfunc_end406-_ZN7rocprim17ROCPRIM_400000_NS6detail17trampoline_kernelINS0_14default_configENS1_38merge_sort_block_merge_config_selectorIaNS0_10empty_typeEEEZZNS1_27merge_sort_block_merge_implIS3_PaPS5_jNS1_19radix_merge_compareILb0ELb0EaNS0_19identity_decomposerEEEEE10hipError_tT0_T1_T2_jT3_P12ihipStream_tbPNSt15iterator_traitsISE_E10value_typeEPNSK_ISF_E10value_typeEPSG_NS1_7vsmem_tEENKUlT_SE_SF_SG_E_clIS8_S8_S9_S9_EESD_ST_SE_SF_SG_EUlST_E_NS1_11comp_targetILNS1_3genE9ELNS1_11target_archE1100ELNS1_3gpuE3ELNS1_3repE0EEENS1_48merge_mergepath_partition_config_static_selectorELNS0_4arch9wavefront6targetE0EEEvSF_
                                        ; -- End function
	.set _ZN7rocprim17ROCPRIM_400000_NS6detail17trampoline_kernelINS0_14default_configENS1_38merge_sort_block_merge_config_selectorIaNS0_10empty_typeEEEZZNS1_27merge_sort_block_merge_implIS3_PaPS5_jNS1_19radix_merge_compareILb0ELb0EaNS0_19identity_decomposerEEEEE10hipError_tT0_T1_T2_jT3_P12ihipStream_tbPNSt15iterator_traitsISE_E10value_typeEPNSK_ISF_E10value_typeEPSG_NS1_7vsmem_tEENKUlT_SE_SF_SG_E_clIS8_S8_S9_S9_EESD_ST_SE_SF_SG_EUlST_E_NS1_11comp_targetILNS1_3genE9ELNS1_11target_archE1100ELNS1_3gpuE3ELNS1_3repE0EEENS1_48merge_mergepath_partition_config_static_selectorELNS0_4arch9wavefront6targetE0EEEvSF_.num_vgpr, 0
	.set _ZN7rocprim17ROCPRIM_400000_NS6detail17trampoline_kernelINS0_14default_configENS1_38merge_sort_block_merge_config_selectorIaNS0_10empty_typeEEEZZNS1_27merge_sort_block_merge_implIS3_PaPS5_jNS1_19radix_merge_compareILb0ELb0EaNS0_19identity_decomposerEEEEE10hipError_tT0_T1_T2_jT3_P12ihipStream_tbPNSt15iterator_traitsISE_E10value_typeEPNSK_ISF_E10value_typeEPSG_NS1_7vsmem_tEENKUlT_SE_SF_SG_E_clIS8_S8_S9_S9_EESD_ST_SE_SF_SG_EUlST_E_NS1_11comp_targetILNS1_3genE9ELNS1_11target_archE1100ELNS1_3gpuE3ELNS1_3repE0EEENS1_48merge_mergepath_partition_config_static_selectorELNS0_4arch9wavefront6targetE0EEEvSF_.num_agpr, 0
	.set _ZN7rocprim17ROCPRIM_400000_NS6detail17trampoline_kernelINS0_14default_configENS1_38merge_sort_block_merge_config_selectorIaNS0_10empty_typeEEEZZNS1_27merge_sort_block_merge_implIS3_PaPS5_jNS1_19radix_merge_compareILb0ELb0EaNS0_19identity_decomposerEEEEE10hipError_tT0_T1_T2_jT3_P12ihipStream_tbPNSt15iterator_traitsISE_E10value_typeEPNSK_ISF_E10value_typeEPSG_NS1_7vsmem_tEENKUlT_SE_SF_SG_E_clIS8_S8_S9_S9_EESD_ST_SE_SF_SG_EUlST_E_NS1_11comp_targetILNS1_3genE9ELNS1_11target_archE1100ELNS1_3gpuE3ELNS1_3repE0EEENS1_48merge_mergepath_partition_config_static_selectorELNS0_4arch9wavefront6targetE0EEEvSF_.numbered_sgpr, 0
	.set _ZN7rocprim17ROCPRIM_400000_NS6detail17trampoline_kernelINS0_14default_configENS1_38merge_sort_block_merge_config_selectorIaNS0_10empty_typeEEEZZNS1_27merge_sort_block_merge_implIS3_PaPS5_jNS1_19radix_merge_compareILb0ELb0EaNS0_19identity_decomposerEEEEE10hipError_tT0_T1_T2_jT3_P12ihipStream_tbPNSt15iterator_traitsISE_E10value_typeEPNSK_ISF_E10value_typeEPSG_NS1_7vsmem_tEENKUlT_SE_SF_SG_E_clIS8_S8_S9_S9_EESD_ST_SE_SF_SG_EUlST_E_NS1_11comp_targetILNS1_3genE9ELNS1_11target_archE1100ELNS1_3gpuE3ELNS1_3repE0EEENS1_48merge_mergepath_partition_config_static_selectorELNS0_4arch9wavefront6targetE0EEEvSF_.num_named_barrier, 0
	.set _ZN7rocprim17ROCPRIM_400000_NS6detail17trampoline_kernelINS0_14default_configENS1_38merge_sort_block_merge_config_selectorIaNS0_10empty_typeEEEZZNS1_27merge_sort_block_merge_implIS3_PaPS5_jNS1_19radix_merge_compareILb0ELb0EaNS0_19identity_decomposerEEEEE10hipError_tT0_T1_T2_jT3_P12ihipStream_tbPNSt15iterator_traitsISE_E10value_typeEPNSK_ISF_E10value_typeEPSG_NS1_7vsmem_tEENKUlT_SE_SF_SG_E_clIS8_S8_S9_S9_EESD_ST_SE_SF_SG_EUlST_E_NS1_11comp_targetILNS1_3genE9ELNS1_11target_archE1100ELNS1_3gpuE3ELNS1_3repE0EEENS1_48merge_mergepath_partition_config_static_selectorELNS0_4arch9wavefront6targetE0EEEvSF_.private_seg_size, 0
	.set _ZN7rocprim17ROCPRIM_400000_NS6detail17trampoline_kernelINS0_14default_configENS1_38merge_sort_block_merge_config_selectorIaNS0_10empty_typeEEEZZNS1_27merge_sort_block_merge_implIS3_PaPS5_jNS1_19radix_merge_compareILb0ELb0EaNS0_19identity_decomposerEEEEE10hipError_tT0_T1_T2_jT3_P12ihipStream_tbPNSt15iterator_traitsISE_E10value_typeEPNSK_ISF_E10value_typeEPSG_NS1_7vsmem_tEENKUlT_SE_SF_SG_E_clIS8_S8_S9_S9_EESD_ST_SE_SF_SG_EUlST_E_NS1_11comp_targetILNS1_3genE9ELNS1_11target_archE1100ELNS1_3gpuE3ELNS1_3repE0EEENS1_48merge_mergepath_partition_config_static_selectorELNS0_4arch9wavefront6targetE0EEEvSF_.uses_vcc, 0
	.set _ZN7rocprim17ROCPRIM_400000_NS6detail17trampoline_kernelINS0_14default_configENS1_38merge_sort_block_merge_config_selectorIaNS0_10empty_typeEEEZZNS1_27merge_sort_block_merge_implIS3_PaPS5_jNS1_19radix_merge_compareILb0ELb0EaNS0_19identity_decomposerEEEEE10hipError_tT0_T1_T2_jT3_P12ihipStream_tbPNSt15iterator_traitsISE_E10value_typeEPNSK_ISF_E10value_typeEPSG_NS1_7vsmem_tEENKUlT_SE_SF_SG_E_clIS8_S8_S9_S9_EESD_ST_SE_SF_SG_EUlST_E_NS1_11comp_targetILNS1_3genE9ELNS1_11target_archE1100ELNS1_3gpuE3ELNS1_3repE0EEENS1_48merge_mergepath_partition_config_static_selectorELNS0_4arch9wavefront6targetE0EEEvSF_.uses_flat_scratch, 0
	.set _ZN7rocprim17ROCPRIM_400000_NS6detail17trampoline_kernelINS0_14default_configENS1_38merge_sort_block_merge_config_selectorIaNS0_10empty_typeEEEZZNS1_27merge_sort_block_merge_implIS3_PaPS5_jNS1_19radix_merge_compareILb0ELb0EaNS0_19identity_decomposerEEEEE10hipError_tT0_T1_T2_jT3_P12ihipStream_tbPNSt15iterator_traitsISE_E10value_typeEPNSK_ISF_E10value_typeEPSG_NS1_7vsmem_tEENKUlT_SE_SF_SG_E_clIS8_S8_S9_S9_EESD_ST_SE_SF_SG_EUlST_E_NS1_11comp_targetILNS1_3genE9ELNS1_11target_archE1100ELNS1_3gpuE3ELNS1_3repE0EEENS1_48merge_mergepath_partition_config_static_selectorELNS0_4arch9wavefront6targetE0EEEvSF_.has_dyn_sized_stack, 0
	.set _ZN7rocprim17ROCPRIM_400000_NS6detail17trampoline_kernelINS0_14default_configENS1_38merge_sort_block_merge_config_selectorIaNS0_10empty_typeEEEZZNS1_27merge_sort_block_merge_implIS3_PaPS5_jNS1_19radix_merge_compareILb0ELb0EaNS0_19identity_decomposerEEEEE10hipError_tT0_T1_T2_jT3_P12ihipStream_tbPNSt15iterator_traitsISE_E10value_typeEPNSK_ISF_E10value_typeEPSG_NS1_7vsmem_tEENKUlT_SE_SF_SG_E_clIS8_S8_S9_S9_EESD_ST_SE_SF_SG_EUlST_E_NS1_11comp_targetILNS1_3genE9ELNS1_11target_archE1100ELNS1_3gpuE3ELNS1_3repE0EEENS1_48merge_mergepath_partition_config_static_selectorELNS0_4arch9wavefront6targetE0EEEvSF_.has_recursion, 0
	.set _ZN7rocprim17ROCPRIM_400000_NS6detail17trampoline_kernelINS0_14default_configENS1_38merge_sort_block_merge_config_selectorIaNS0_10empty_typeEEEZZNS1_27merge_sort_block_merge_implIS3_PaPS5_jNS1_19radix_merge_compareILb0ELb0EaNS0_19identity_decomposerEEEEE10hipError_tT0_T1_T2_jT3_P12ihipStream_tbPNSt15iterator_traitsISE_E10value_typeEPNSK_ISF_E10value_typeEPSG_NS1_7vsmem_tEENKUlT_SE_SF_SG_E_clIS8_S8_S9_S9_EESD_ST_SE_SF_SG_EUlST_E_NS1_11comp_targetILNS1_3genE9ELNS1_11target_archE1100ELNS1_3gpuE3ELNS1_3repE0EEENS1_48merge_mergepath_partition_config_static_selectorELNS0_4arch9wavefront6targetE0EEEvSF_.has_indirect_call, 0
	.section	.AMDGPU.csdata,"",@progbits
; Kernel info:
; codeLenInByte = 0
; TotalNumSgprs: 0
; NumVgprs: 0
; ScratchSize: 0
; MemoryBound: 0
; FloatMode: 240
; IeeeMode: 1
; LDSByteSize: 0 bytes/workgroup (compile time only)
; SGPRBlocks: 0
; VGPRBlocks: 0
; NumSGPRsForWavesPerEU: 1
; NumVGPRsForWavesPerEU: 1
; NamedBarCnt: 0
; Occupancy: 16
; WaveLimiterHint : 0
; COMPUTE_PGM_RSRC2:SCRATCH_EN: 0
; COMPUTE_PGM_RSRC2:USER_SGPR: 2
; COMPUTE_PGM_RSRC2:TRAP_HANDLER: 0
; COMPUTE_PGM_RSRC2:TGID_X_EN: 1
; COMPUTE_PGM_RSRC2:TGID_Y_EN: 0
; COMPUTE_PGM_RSRC2:TGID_Z_EN: 0
; COMPUTE_PGM_RSRC2:TIDIG_COMP_CNT: 0
	.section	.text._ZN7rocprim17ROCPRIM_400000_NS6detail17trampoline_kernelINS0_14default_configENS1_38merge_sort_block_merge_config_selectorIaNS0_10empty_typeEEEZZNS1_27merge_sort_block_merge_implIS3_PaPS5_jNS1_19radix_merge_compareILb0ELb0EaNS0_19identity_decomposerEEEEE10hipError_tT0_T1_T2_jT3_P12ihipStream_tbPNSt15iterator_traitsISE_E10value_typeEPNSK_ISF_E10value_typeEPSG_NS1_7vsmem_tEENKUlT_SE_SF_SG_E_clIS8_S8_S9_S9_EESD_ST_SE_SF_SG_EUlST_E_NS1_11comp_targetILNS1_3genE8ELNS1_11target_archE1030ELNS1_3gpuE2ELNS1_3repE0EEENS1_48merge_mergepath_partition_config_static_selectorELNS0_4arch9wavefront6targetE0EEEvSF_,"axG",@progbits,_ZN7rocprim17ROCPRIM_400000_NS6detail17trampoline_kernelINS0_14default_configENS1_38merge_sort_block_merge_config_selectorIaNS0_10empty_typeEEEZZNS1_27merge_sort_block_merge_implIS3_PaPS5_jNS1_19radix_merge_compareILb0ELb0EaNS0_19identity_decomposerEEEEE10hipError_tT0_T1_T2_jT3_P12ihipStream_tbPNSt15iterator_traitsISE_E10value_typeEPNSK_ISF_E10value_typeEPSG_NS1_7vsmem_tEENKUlT_SE_SF_SG_E_clIS8_S8_S9_S9_EESD_ST_SE_SF_SG_EUlST_E_NS1_11comp_targetILNS1_3genE8ELNS1_11target_archE1030ELNS1_3gpuE2ELNS1_3repE0EEENS1_48merge_mergepath_partition_config_static_selectorELNS0_4arch9wavefront6targetE0EEEvSF_,comdat
	.protected	_ZN7rocprim17ROCPRIM_400000_NS6detail17trampoline_kernelINS0_14default_configENS1_38merge_sort_block_merge_config_selectorIaNS0_10empty_typeEEEZZNS1_27merge_sort_block_merge_implIS3_PaPS5_jNS1_19radix_merge_compareILb0ELb0EaNS0_19identity_decomposerEEEEE10hipError_tT0_T1_T2_jT3_P12ihipStream_tbPNSt15iterator_traitsISE_E10value_typeEPNSK_ISF_E10value_typeEPSG_NS1_7vsmem_tEENKUlT_SE_SF_SG_E_clIS8_S8_S9_S9_EESD_ST_SE_SF_SG_EUlST_E_NS1_11comp_targetILNS1_3genE8ELNS1_11target_archE1030ELNS1_3gpuE2ELNS1_3repE0EEENS1_48merge_mergepath_partition_config_static_selectorELNS0_4arch9wavefront6targetE0EEEvSF_ ; -- Begin function _ZN7rocprim17ROCPRIM_400000_NS6detail17trampoline_kernelINS0_14default_configENS1_38merge_sort_block_merge_config_selectorIaNS0_10empty_typeEEEZZNS1_27merge_sort_block_merge_implIS3_PaPS5_jNS1_19radix_merge_compareILb0ELb0EaNS0_19identity_decomposerEEEEE10hipError_tT0_T1_T2_jT3_P12ihipStream_tbPNSt15iterator_traitsISE_E10value_typeEPNSK_ISF_E10value_typeEPSG_NS1_7vsmem_tEENKUlT_SE_SF_SG_E_clIS8_S8_S9_S9_EESD_ST_SE_SF_SG_EUlST_E_NS1_11comp_targetILNS1_3genE8ELNS1_11target_archE1030ELNS1_3gpuE2ELNS1_3repE0EEENS1_48merge_mergepath_partition_config_static_selectorELNS0_4arch9wavefront6targetE0EEEvSF_
	.globl	_ZN7rocprim17ROCPRIM_400000_NS6detail17trampoline_kernelINS0_14default_configENS1_38merge_sort_block_merge_config_selectorIaNS0_10empty_typeEEEZZNS1_27merge_sort_block_merge_implIS3_PaPS5_jNS1_19radix_merge_compareILb0ELb0EaNS0_19identity_decomposerEEEEE10hipError_tT0_T1_T2_jT3_P12ihipStream_tbPNSt15iterator_traitsISE_E10value_typeEPNSK_ISF_E10value_typeEPSG_NS1_7vsmem_tEENKUlT_SE_SF_SG_E_clIS8_S8_S9_S9_EESD_ST_SE_SF_SG_EUlST_E_NS1_11comp_targetILNS1_3genE8ELNS1_11target_archE1030ELNS1_3gpuE2ELNS1_3repE0EEENS1_48merge_mergepath_partition_config_static_selectorELNS0_4arch9wavefront6targetE0EEEvSF_
	.p2align	8
	.type	_ZN7rocprim17ROCPRIM_400000_NS6detail17trampoline_kernelINS0_14default_configENS1_38merge_sort_block_merge_config_selectorIaNS0_10empty_typeEEEZZNS1_27merge_sort_block_merge_implIS3_PaPS5_jNS1_19radix_merge_compareILb0ELb0EaNS0_19identity_decomposerEEEEE10hipError_tT0_T1_T2_jT3_P12ihipStream_tbPNSt15iterator_traitsISE_E10value_typeEPNSK_ISF_E10value_typeEPSG_NS1_7vsmem_tEENKUlT_SE_SF_SG_E_clIS8_S8_S9_S9_EESD_ST_SE_SF_SG_EUlST_E_NS1_11comp_targetILNS1_3genE8ELNS1_11target_archE1030ELNS1_3gpuE2ELNS1_3repE0EEENS1_48merge_mergepath_partition_config_static_selectorELNS0_4arch9wavefront6targetE0EEEvSF_,@function
_ZN7rocprim17ROCPRIM_400000_NS6detail17trampoline_kernelINS0_14default_configENS1_38merge_sort_block_merge_config_selectorIaNS0_10empty_typeEEEZZNS1_27merge_sort_block_merge_implIS3_PaPS5_jNS1_19radix_merge_compareILb0ELb0EaNS0_19identity_decomposerEEEEE10hipError_tT0_T1_T2_jT3_P12ihipStream_tbPNSt15iterator_traitsISE_E10value_typeEPNSK_ISF_E10value_typeEPSG_NS1_7vsmem_tEENKUlT_SE_SF_SG_E_clIS8_S8_S9_S9_EESD_ST_SE_SF_SG_EUlST_E_NS1_11comp_targetILNS1_3genE8ELNS1_11target_archE1030ELNS1_3gpuE2ELNS1_3repE0EEENS1_48merge_mergepath_partition_config_static_selectorELNS0_4arch9wavefront6targetE0EEEvSF_: ; @_ZN7rocprim17ROCPRIM_400000_NS6detail17trampoline_kernelINS0_14default_configENS1_38merge_sort_block_merge_config_selectorIaNS0_10empty_typeEEEZZNS1_27merge_sort_block_merge_implIS3_PaPS5_jNS1_19radix_merge_compareILb0ELb0EaNS0_19identity_decomposerEEEEE10hipError_tT0_T1_T2_jT3_P12ihipStream_tbPNSt15iterator_traitsISE_E10value_typeEPNSK_ISF_E10value_typeEPSG_NS1_7vsmem_tEENKUlT_SE_SF_SG_E_clIS8_S8_S9_S9_EESD_ST_SE_SF_SG_EUlST_E_NS1_11comp_targetILNS1_3genE8ELNS1_11target_archE1030ELNS1_3gpuE2ELNS1_3repE0EEENS1_48merge_mergepath_partition_config_static_selectorELNS0_4arch9wavefront6targetE0EEEvSF_
; %bb.0:
	.section	.rodata,"a",@progbits
	.p2align	6, 0x0
	.amdhsa_kernel _ZN7rocprim17ROCPRIM_400000_NS6detail17trampoline_kernelINS0_14default_configENS1_38merge_sort_block_merge_config_selectorIaNS0_10empty_typeEEEZZNS1_27merge_sort_block_merge_implIS3_PaPS5_jNS1_19radix_merge_compareILb0ELb0EaNS0_19identity_decomposerEEEEE10hipError_tT0_T1_T2_jT3_P12ihipStream_tbPNSt15iterator_traitsISE_E10value_typeEPNSK_ISF_E10value_typeEPSG_NS1_7vsmem_tEENKUlT_SE_SF_SG_E_clIS8_S8_S9_S9_EESD_ST_SE_SF_SG_EUlST_E_NS1_11comp_targetILNS1_3genE8ELNS1_11target_archE1030ELNS1_3gpuE2ELNS1_3repE0EEENS1_48merge_mergepath_partition_config_static_selectorELNS0_4arch9wavefront6targetE0EEEvSF_
		.amdhsa_group_segment_fixed_size 0
		.amdhsa_private_segment_fixed_size 0
		.amdhsa_kernarg_size 40
		.amdhsa_user_sgpr_count 2
		.amdhsa_user_sgpr_dispatch_ptr 0
		.amdhsa_user_sgpr_queue_ptr 0
		.amdhsa_user_sgpr_kernarg_segment_ptr 1
		.amdhsa_user_sgpr_dispatch_id 0
		.amdhsa_user_sgpr_kernarg_preload_length 0
		.amdhsa_user_sgpr_kernarg_preload_offset 0
		.amdhsa_user_sgpr_private_segment_size 0
		.amdhsa_wavefront_size32 1
		.amdhsa_uses_dynamic_stack 0
		.amdhsa_enable_private_segment 0
		.amdhsa_system_sgpr_workgroup_id_x 1
		.amdhsa_system_sgpr_workgroup_id_y 0
		.amdhsa_system_sgpr_workgroup_id_z 0
		.amdhsa_system_sgpr_workgroup_info 0
		.amdhsa_system_vgpr_workitem_id 0
		.amdhsa_next_free_vgpr 1
		.amdhsa_next_free_sgpr 1
		.amdhsa_named_barrier_count 0
		.amdhsa_reserve_vcc 0
		.amdhsa_float_round_mode_32 0
		.amdhsa_float_round_mode_16_64 0
		.amdhsa_float_denorm_mode_32 3
		.amdhsa_float_denorm_mode_16_64 3
		.amdhsa_fp16_overflow 0
		.amdhsa_memory_ordered 1
		.amdhsa_forward_progress 1
		.amdhsa_inst_pref_size 0
		.amdhsa_round_robin_scheduling 0
		.amdhsa_exception_fp_ieee_invalid_op 0
		.amdhsa_exception_fp_denorm_src 0
		.amdhsa_exception_fp_ieee_div_zero 0
		.amdhsa_exception_fp_ieee_overflow 0
		.amdhsa_exception_fp_ieee_underflow 0
		.amdhsa_exception_fp_ieee_inexact 0
		.amdhsa_exception_int_div_zero 0
	.end_amdhsa_kernel
	.section	.text._ZN7rocprim17ROCPRIM_400000_NS6detail17trampoline_kernelINS0_14default_configENS1_38merge_sort_block_merge_config_selectorIaNS0_10empty_typeEEEZZNS1_27merge_sort_block_merge_implIS3_PaPS5_jNS1_19radix_merge_compareILb0ELb0EaNS0_19identity_decomposerEEEEE10hipError_tT0_T1_T2_jT3_P12ihipStream_tbPNSt15iterator_traitsISE_E10value_typeEPNSK_ISF_E10value_typeEPSG_NS1_7vsmem_tEENKUlT_SE_SF_SG_E_clIS8_S8_S9_S9_EESD_ST_SE_SF_SG_EUlST_E_NS1_11comp_targetILNS1_3genE8ELNS1_11target_archE1030ELNS1_3gpuE2ELNS1_3repE0EEENS1_48merge_mergepath_partition_config_static_selectorELNS0_4arch9wavefront6targetE0EEEvSF_,"axG",@progbits,_ZN7rocprim17ROCPRIM_400000_NS6detail17trampoline_kernelINS0_14default_configENS1_38merge_sort_block_merge_config_selectorIaNS0_10empty_typeEEEZZNS1_27merge_sort_block_merge_implIS3_PaPS5_jNS1_19radix_merge_compareILb0ELb0EaNS0_19identity_decomposerEEEEE10hipError_tT0_T1_T2_jT3_P12ihipStream_tbPNSt15iterator_traitsISE_E10value_typeEPNSK_ISF_E10value_typeEPSG_NS1_7vsmem_tEENKUlT_SE_SF_SG_E_clIS8_S8_S9_S9_EESD_ST_SE_SF_SG_EUlST_E_NS1_11comp_targetILNS1_3genE8ELNS1_11target_archE1030ELNS1_3gpuE2ELNS1_3repE0EEENS1_48merge_mergepath_partition_config_static_selectorELNS0_4arch9wavefront6targetE0EEEvSF_,comdat
.Lfunc_end407:
	.size	_ZN7rocprim17ROCPRIM_400000_NS6detail17trampoline_kernelINS0_14default_configENS1_38merge_sort_block_merge_config_selectorIaNS0_10empty_typeEEEZZNS1_27merge_sort_block_merge_implIS3_PaPS5_jNS1_19radix_merge_compareILb0ELb0EaNS0_19identity_decomposerEEEEE10hipError_tT0_T1_T2_jT3_P12ihipStream_tbPNSt15iterator_traitsISE_E10value_typeEPNSK_ISF_E10value_typeEPSG_NS1_7vsmem_tEENKUlT_SE_SF_SG_E_clIS8_S8_S9_S9_EESD_ST_SE_SF_SG_EUlST_E_NS1_11comp_targetILNS1_3genE8ELNS1_11target_archE1030ELNS1_3gpuE2ELNS1_3repE0EEENS1_48merge_mergepath_partition_config_static_selectorELNS0_4arch9wavefront6targetE0EEEvSF_, .Lfunc_end407-_ZN7rocprim17ROCPRIM_400000_NS6detail17trampoline_kernelINS0_14default_configENS1_38merge_sort_block_merge_config_selectorIaNS0_10empty_typeEEEZZNS1_27merge_sort_block_merge_implIS3_PaPS5_jNS1_19radix_merge_compareILb0ELb0EaNS0_19identity_decomposerEEEEE10hipError_tT0_T1_T2_jT3_P12ihipStream_tbPNSt15iterator_traitsISE_E10value_typeEPNSK_ISF_E10value_typeEPSG_NS1_7vsmem_tEENKUlT_SE_SF_SG_E_clIS8_S8_S9_S9_EESD_ST_SE_SF_SG_EUlST_E_NS1_11comp_targetILNS1_3genE8ELNS1_11target_archE1030ELNS1_3gpuE2ELNS1_3repE0EEENS1_48merge_mergepath_partition_config_static_selectorELNS0_4arch9wavefront6targetE0EEEvSF_
                                        ; -- End function
	.set _ZN7rocprim17ROCPRIM_400000_NS6detail17trampoline_kernelINS0_14default_configENS1_38merge_sort_block_merge_config_selectorIaNS0_10empty_typeEEEZZNS1_27merge_sort_block_merge_implIS3_PaPS5_jNS1_19radix_merge_compareILb0ELb0EaNS0_19identity_decomposerEEEEE10hipError_tT0_T1_T2_jT3_P12ihipStream_tbPNSt15iterator_traitsISE_E10value_typeEPNSK_ISF_E10value_typeEPSG_NS1_7vsmem_tEENKUlT_SE_SF_SG_E_clIS8_S8_S9_S9_EESD_ST_SE_SF_SG_EUlST_E_NS1_11comp_targetILNS1_3genE8ELNS1_11target_archE1030ELNS1_3gpuE2ELNS1_3repE0EEENS1_48merge_mergepath_partition_config_static_selectorELNS0_4arch9wavefront6targetE0EEEvSF_.num_vgpr, 0
	.set _ZN7rocprim17ROCPRIM_400000_NS6detail17trampoline_kernelINS0_14default_configENS1_38merge_sort_block_merge_config_selectorIaNS0_10empty_typeEEEZZNS1_27merge_sort_block_merge_implIS3_PaPS5_jNS1_19radix_merge_compareILb0ELb0EaNS0_19identity_decomposerEEEEE10hipError_tT0_T1_T2_jT3_P12ihipStream_tbPNSt15iterator_traitsISE_E10value_typeEPNSK_ISF_E10value_typeEPSG_NS1_7vsmem_tEENKUlT_SE_SF_SG_E_clIS8_S8_S9_S9_EESD_ST_SE_SF_SG_EUlST_E_NS1_11comp_targetILNS1_3genE8ELNS1_11target_archE1030ELNS1_3gpuE2ELNS1_3repE0EEENS1_48merge_mergepath_partition_config_static_selectorELNS0_4arch9wavefront6targetE0EEEvSF_.num_agpr, 0
	.set _ZN7rocprim17ROCPRIM_400000_NS6detail17trampoline_kernelINS0_14default_configENS1_38merge_sort_block_merge_config_selectorIaNS0_10empty_typeEEEZZNS1_27merge_sort_block_merge_implIS3_PaPS5_jNS1_19radix_merge_compareILb0ELb0EaNS0_19identity_decomposerEEEEE10hipError_tT0_T1_T2_jT3_P12ihipStream_tbPNSt15iterator_traitsISE_E10value_typeEPNSK_ISF_E10value_typeEPSG_NS1_7vsmem_tEENKUlT_SE_SF_SG_E_clIS8_S8_S9_S9_EESD_ST_SE_SF_SG_EUlST_E_NS1_11comp_targetILNS1_3genE8ELNS1_11target_archE1030ELNS1_3gpuE2ELNS1_3repE0EEENS1_48merge_mergepath_partition_config_static_selectorELNS0_4arch9wavefront6targetE0EEEvSF_.numbered_sgpr, 0
	.set _ZN7rocprim17ROCPRIM_400000_NS6detail17trampoline_kernelINS0_14default_configENS1_38merge_sort_block_merge_config_selectorIaNS0_10empty_typeEEEZZNS1_27merge_sort_block_merge_implIS3_PaPS5_jNS1_19radix_merge_compareILb0ELb0EaNS0_19identity_decomposerEEEEE10hipError_tT0_T1_T2_jT3_P12ihipStream_tbPNSt15iterator_traitsISE_E10value_typeEPNSK_ISF_E10value_typeEPSG_NS1_7vsmem_tEENKUlT_SE_SF_SG_E_clIS8_S8_S9_S9_EESD_ST_SE_SF_SG_EUlST_E_NS1_11comp_targetILNS1_3genE8ELNS1_11target_archE1030ELNS1_3gpuE2ELNS1_3repE0EEENS1_48merge_mergepath_partition_config_static_selectorELNS0_4arch9wavefront6targetE0EEEvSF_.num_named_barrier, 0
	.set _ZN7rocprim17ROCPRIM_400000_NS6detail17trampoline_kernelINS0_14default_configENS1_38merge_sort_block_merge_config_selectorIaNS0_10empty_typeEEEZZNS1_27merge_sort_block_merge_implIS3_PaPS5_jNS1_19radix_merge_compareILb0ELb0EaNS0_19identity_decomposerEEEEE10hipError_tT0_T1_T2_jT3_P12ihipStream_tbPNSt15iterator_traitsISE_E10value_typeEPNSK_ISF_E10value_typeEPSG_NS1_7vsmem_tEENKUlT_SE_SF_SG_E_clIS8_S8_S9_S9_EESD_ST_SE_SF_SG_EUlST_E_NS1_11comp_targetILNS1_3genE8ELNS1_11target_archE1030ELNS1_3gpuE2ELNS1_3repE0EEENS1_48merge_mergepath_partition_config_static_selectorELNS0_4arch9wavefront6targetE0EEEvSF_.private_seg_size, 0
	.set _ZN7rocprim17ROCPRIM_400000_NS6detail17trampoline_kernelINS0_14default_configENS1_38merge_sort_block_merge_config_selectorIaNS0_10empty_typeEEEZZNS1_27merge_sort_block_merge_implIS3_PaPS5_jNS1_19radix_merge_compareILb0ELb0EaNS0_19identity_decomposerEEEEE10hipError_tT0_T1_T2_jT3_P12ihipStream_tbPNSt15iterator_traitsISE_E10value_typeEPNSK_ISF_E10value_typeEPSG_NS1_7vsmem_tEENKUlT_SE_SF_SG_E_clIS8_S8_S9_S9_EESD_ST_SE_SF_SG_EUlST_E_NS1_11comp_targetILNS1_3genE8ELNS1_11target_archE1030ELNS1_3gpuE2ELNS1_3repE0EEENS1_48merge_mergepath_partition_config_static_selectorELNS0_4arch9wavefront6targetE0EEEvSF_.uses_vcc, 0
	.set _ZN7rocprim17ROCPRIM_400000_NS6detail17trampoline_kernelINS0_14default_configENS1_38merge_sort_block_merge_config_selectorIaNS0_10empty_typeEEEZZNS1_27merge_sort_block_merge_implIS3_PaPS5_jNS1_19radix_merge_compareILb0ELb0EaNS0_19identity_decomposerEEEEE10hipError_tT0_T1_T2_jT3_P12ihipStream_tbPNSt15iterator_traitsISE_E10value_typeEPNSK_ISF_E10value_typeEPSG_NS1_7vsmem_tEENKUlT_SE_SF_SG_E_clIS8_S8_S9_S9_EESD_ST_SE_SF_SG_EUlST_E_NS1_11comp_targetILNS1_3genE8ELNS1_11target_archE1030ELNS1_3gpuE2ELNS1_3repE0EEENS1_48merge_mergepath_partition_config_static_selectorELNS0_4arch9wavefront6targetE0EEEvSF_.uses_flat_scratch, 0
	.set _ZN7rocprim17ROCPRIM_400000_NS6detail17trampoline_kernelINS0_14default_configENS1_38merge_sort_block_merge_config_selectorIaNS0_10empty_typeEEEZZNS1_27merge_sort_block_merge_implIS3_PaPS5_jNS1_19radix_merge_compareILb0ELb0EaNS0_19identity_decomposerEEEEE10hipError_tT0_T1_T2_jT3_P12ihipStream_tbPNSt15iterator_traitsISE_E10value_typeEPNSK_ISF_E10value_typeEPSG_NS1_7vsmem_tEENKUlT_SE_SF_SG_E_clIS8_S8_S9_S9_EESD_ST_SE_SF_SG_EUlST_E_NS1_11comp_targetILNS1_3genE8ELNS1_11target_archE1030ELNS1_3gpuE2ELNS1_3repE0EEENS1_48merge_mergepath_partition_config_static_selectorELNS0_4arch9wavefront6targetE0EEEvSF_.has_dyn_sized_stack, 0
	.set _ZN7rocprim17ROCPRIM_400000_NS6detail17trampoline_kernelINS0_14default_configENS1_38merge_sort_block_merge_config_selectorIaNS0_10empty_typeEEEZZNS1_27merge_sort_block_merge_implIS3_PaPS5_jNS1_19radix_merge_compareILb0ELb0EaNS0_19identity_decomposerEEEEE10hipError_tT0_T1_T2_jT3_P12ihipStream_tbPNSt15iterator_traitsISE_E10value_typeEPNSK_ISF_E10value_typeEPSG_NS1_7vsmem_tEENKUlT_SE_SF_SG_E_clIS8_S8_S9_S9_EESD_ST_SE_SF_SG_EUlST_E_NS1_11comp_targetILNS1_3genE8ELNS1_11target_archE1030ELNS1_3gpuE2ELNS1_3repE0EEENS1_48merge_mergepath_partition_config_static_selectorELNS0_4arch9wavefront6targetE0EEEvSF_.has_recursion, 0
	.set _ZN7rocprim17ROCPRIM_400000_NS6detail17trampoline_kernelINS0_14default_configENS1_38merge_sort_block_merge_config_selectorIaNS0_10empty_typeEEEZZNS1_27merge_sort_block_merge_implIS3_PaPS5_jNS1_19radix_merge_compareILb0ELb0EaNS0_19identity_decomposerEEEEE10hipError_tT0_T1_T2_jT3_P12ihipStream_tbPNSt15iterator_traitsISE_E10value_typeEPNSK_ISF_E10value_typeEPSG_NS1_7vsmem_tEENKUlT_SE_SF_SG_E_clIS8_S8_S9_S9_EESD_ST_SE_SF_SG_EUlST_E_NS1_11comp_targetILNS1_3genE8ELNS1_11target_archE1030ELNS1_3gpuE2ELNS1_3repE0EEENS1_48merge_mergepath_partition_config_static_selectorELNS0_4arch9wavefront6targetE0EEEvSF_.has_indirect_call, 0
	.section	.AMDGPU.csdata,"",@progbits
; Kernel info:
; codeLenInByte = 0
; TotalNumSgprs: 0
; NumVgprs: 0
; ScratchSize: 0
; MemoryBound: 0
; FloatMode: 240
; IeeeMode: 1
; LDSByteSize: 0 bytes/workgroup (compile time only)
; SGPRBlocks: 0
; VGPRBlocks: 0
; NumSGPRsForWavesPerEU: 1
; NumVGPRsForWavesPerEU: 1
; NamedBarCnt: 0
; Occupancy: 16
; WaveLimiterHint : 0
; COMPUTE_PGM_RSRC2:SCRATCH_EN: 0
; COMPUTE_PGM_RSRC2:USER_SGPR: 2
; COMPUTE_PGM_RSRC2:TRAP_HANDLER: 0
; COMPUTE_PGM_RSRC2:TGID_X_EN: 1
; COMPUTE_PGM_RSRC2:TGID_Y_EN: 0
; COMPUTE_PGM_RSRC2:TGID_Z_EN: 0
; COMPUTE_PGM_RSRC2:TIDIG_COMP_CNT: 0
	.section	.text._ZN7rocprim17ROCPRIM_400000_NS6detail17trampoline_kernelINS0_14default_configENS1_38merge_sort_block_merge_config_selectorIaNS0_10empty_typeEEEZZNS1_27merge_sort_block_merge_implIS3_PaPS5_jNS1_19radix_merge_compareILb0ELb0EaNS0_19identity_decomposerEEEEE10hipError_tT0_T1_T2_jT3_P12ihipStream_tbPNSt15iterator_traitsISE_E10value_typeEPNSK_ISF_E10value_typeEPSG_NS1_7vsmem_tEENKUlT_SE_SF_SG_E_clIS8_S8_S9_S9_EESD_ST_SE_SF_SG_EUlST_E0_NS1_11comp_targetILNS1_3genE0ELNS1_11target_archE4294967295ELNS1_3gpuE0ELNS1_3repE0EEENS1_38merge_mergepath_config_static_selectorELNS0_4arch9wavefront6targetE0EEEvSF_,"axG",@progbits,_ZN7rocprim17ROCPRIM_400000_NS6detail17trampoline_kernelINS0_14default_configENS1_38merge_sort_block_merge_config_selectorIaNS0_10empty_typeEEEZZNS1_27merge_sort_block_merge_implIS3_PaPS5_jNS1_19radix_merge_compareILb0ELb0EaNS0_19identity_decomposerEEEEE10hipError_tT0_T1_T2_jT3_P12ihipStream_tbPNSt15iterator_traitsISE_E10value_typeEPNSK_ISF_E10value_typeEPSG_NS1_7vsmem_tEENKUlT_SE_SF_SG_E_clIS8_S8_S9_S9_EESD_ST_SE_SF_SG_EUlST_E0_NS1_11comp_targetILNS1_3genE0ELNS1_11target_archE4294967295ELNS1_3gpuE0ELNS1_3repE0EEENS1_38merge_mergepath_config_static_selectorELNS0_4arch9wavefront6targetE0EEEvSF_,comdat
	.protected	_ZN7rocprim17ROCPRIM_400000_NS6detail17trampoline_kernelINS0_14default_configENS1_38merge_sort_block_merge_config_selectorIaNS0_10empty_typeEEEZZNS1_27merge_sort_block_merge_implIS3_PaPS5_jNS1_19radix_merge_compareILb0ELb0EaNS0_19identity_decomposerEEEEE10hipError_tT0_T1_T2_jT3_P12ihipStream_tbPNSt15iterator_traitsISE_E10value_typeEPNSK_ISF_E10value_typeEPSG_NS1_7vsmem_tEENKUlT_SE_SF_SG_E_clIS8_S8_S9_S9_EESD_ST_SE_SF_SG_EUlST_E0_NS1_11comp_targetILNS1_3genE0ELNS1_11target_archE4294967295ELNS1_3gpuE0ELNS1_3repE0EEENS1_38merge_mergepath_config_static_selectorELNS0_4arch9wavefront6targetE0EEEvSF_ ; -- Begin function _ZN7rocprim17ROCPRIM_400000_NS6detail17trampoline_kernelINS0_14default_configENS1_38merge_sort_block_merge_config_selectorIaNS0_10empty_typeEEEZZNS1_27merge_sort_block_merge_implIS3_PaPS5_jNS1_19radix_merge_compareILb0ELb0EaNS0_19identity_decomposerEEEEE10hipError_tT0_T1_T2_jT3_P12ihipStream_tbPNSt15iterator_traitsISE_E10value_typeEPNSK_ISF_E10value_typeEPSG_NS1_7vsmem_tEENKUlT_SE_SF_SG_E_clIS8_S8_S9_S9_EESD_ST_SE_SF_SG_EUlST_E0_NS1_11comp_targetILNS1_3genE0ELNS1_11target_archE4294967295ELNS1_3gpuE0ELNS1_3repE0EEENS1_38merge_mergepath_config_static_selectorELNS0_4arch9wavefront6targetE0EEEvSF_
	.globl	_ZN7rocprim17ROCPRIM_400000_NS6detail17trampoline_kernelINS0_14default_configENS1_38merge_sort_block_merge_config_selectorIaNS0_10empty_typeEEEZZNS1_27merge_sort_block_merge_implIS3_PaPS5_jNS1_19radix_merge_compareILb0ELb0EaNS0_19identity_decomposerEEEEE10hipError_tT0_T1_T2_jT3_P12ihipStream_tbPNSt15iterator_traitsISE_E10value_typeEPNSK_ISF_E10value_typeEPSG_NS1_7vsmem_tEENKUlT_SE_SF_SG_E_clIS8_S8_S9_S9_EESD_ST_SE_SF_SG_EUlST_E0_NS1_11comp_targetILNS1_3genE0ELNS1_11target_archE4294967295ELNS1_3gpuE0ELNS1_3repE0EEENS1_38merge_mergepath_config_static_selectorELNS0_4arch9wavefront6targetE0EEEvSF_
	.p2align	8
	.type	_ZN7rocprim17ROCPRIM_400000_NS6detail17trampoline_kernelINS0_14default_configENS1_38merge_sort_block_merge_config_selectorIaNS0_10empty_typeEEEZZNS1_27merge_sort_block_merge_implIS3_PaPS5_jNS1_19radix_merge_compareILb0ELb0EaNS0_19identity_decomposerEEEEE10hipError_tT0_T1_T2_jT3_P12ihipStream_tbPNSt15iterator_traitsISE_E10value_typeEPNSK_ISF_E10value_typeEPSG_NS1_7vsmem_tEENKUlT_SE_SF_SG_E_clIS8_S8_S9_S9_EESD_ST_SE_SF_SG_EUlST_E0_NS1_11comp_targetILNS1_3genE0ELNS1_11target_archE4294967295ELNS1_3gpuE0ELNS1_3repE0EEENS1_38merge_mergepath_config_static_selectorELNS0_4arch9wavefront6targetE0EEEvSF_,@function
_ZN7rocprim17ROCPRIM_400000_NS6detail17trampoline_kernelINS0_14default_configENS1_38merge_sort_block_merge_config_selectorIaNS0_10empty_typeEEEZZNS1_27merge_sort_block_merge_implIS3_PaPS5_jNS1_19radix_merge_compareILb0ELb0EaNS0_19identity_decomposerEEEEE10hipError_tT0_T1_T2_jT3_P12ihipStream_tbPNSt15iterator_traitsISE_E10value_typeEPNSK_ISF_E10value_typeEPSG_NS1_7vsmem_tEENKUlT_SE_SF_SG_E_clIS8_S8_S9_S9_EESD_ST_SE_SF_SG_EUlST_E0_NS1_11comp_targetILNS1_3genE0ELNS1_11target_archE4294967295ELNS1_3gpuE0ELNS1_3repE0EEENS1_38merge_mergepath_config_static_selectorELNS0_4arch9wavefront6targetE0EEEvSF_: ; @_ZN7rocprim17ROCPRIM_400000_NS6detail17trampoline_kernelINS0_14default_configENS1_38merge_sort_block_merge_config_selectorIaNS0_10empty_typeEEEZZNS1_27merge_sort_block_merge_implIS3_PaPS5_jNS1_19radix_merge_compareILb0ELb0EaNS0_19identity_decomposerEEEEE10hipError_tT0_T1_T2_jT3_P12ihipStream_tbPNSt15iterator_traitsISE_E10value_typeEPNSK_ISF_E10value_typeEPSG_NS1_7vsmem_tEENKUlT_SE_SF_SG_E_clIS8_S8_S9_S9_EESD_ST_SE_SF_SG_EUlST_E0_NS1_11comp_targetILNS1_3genE0ELNS1_11target_archE4294967295ELNS1_3gpuE0ELNS1_3repE0EEENS1_38merge_mergepath_config_static_selectorELNS0_4arch9wavefront6targetE0EEEvSF_
; %bb.0:
	s_bfe_u32 s2, ttmp6, 0x40010
	s_and_b32 s4, ttmp7, 0xffff
	s_add_co_i32 s5, s2, 1
	s_clause 0x1
	s_load_b32 s6, s[0:1], 0x30
	s_load_b64 s[2:3], s[0:1], 0x40
	s_bfe_u32 s8, ttmp6, 0x4000c
	s_mul_i32 s5, s4, s5
	s_bfe_u32 s7, ttmp6, 0x40004
	s_add_co_i32 s8, s8, 1
	s_bfe_u32 s9, ttmp6, 0x40014
	s_add_co_i32 s7, s7, s5
	s_and_b32 s5, ttmp6, 15
	s_mul_i32 s8, ttmp9, s8
	s_lshr_b32 s10, ttmp7, 16
	s_add_co_i32 s9, s9, 1
	s_add_co_i32 s5, s5, s8
	s_mul_i32 s8, s10, s9
	s_bfe_u32 s9, ttmp6, 0x40008
	s_getreg_b32 s11, hwreg(HW_REG_IB_STS2, 6, 4)
	s_add_co_i32 s9, s9, s8
	s_cmp_eq_u32 s11, 0
	s_cselect_b32 s8, s10, s9
	s_cselect_b32 s4, s4, s7
	s_wait_kmcnt 0x0
	s_mul_i32 s8, s3, s8
	s_cselect_b32 s3, ttmp9, s5
	s_add_co_i32 s4, s8, s4
	s_mov_b32 s5, 0
	s_mul_i32 s4, s4, s2
	s_delay_alu instid0(SALU_CYCLE_1) | instskip(NEXT) | instid1(SALU_CYCLE_1)
	s_add_co_i32 s4, s4, s3
	s_cmp_ge_u32 s4, s6
	s_cbranch_scc1 .LBB408_49
; %bb.1:
	v_mov_b32_e32 v1, 0
	s_add_nc_u64 s[6:7], s[0:1], 64
	global_load_b32 v2, v1, s[6:7] offset:14
	s_clause 0x2
	s_load_b64 s[8:9], s[0:1], 0x28
	s_load_b64 s[10:11], s[0:1], 0x38
	;; [unrolled: 1-line block ×3, first 2 shown]
	s_wait_kmcnt 0x0
	s_lshr_b32 s20, s8, 10
	s_delay_alu instid0(SALU_CYCLE_1) | instskip(SKIP_2) | instid1(SALU_CYCLE_1)
	s_cmp_lg_u32 s4, s20
	s_cselect_b32 s14, -1, 0
	s_lshl_b64 s[16:17], s[4:5], 2
	s_add_nc_u64 s[10:11], s[10:11], s[16:17]
	s_load_b64 s[16:17], s[10:11], 0x0
	s_wait_xcnt 0x0
	s_lshr_b32 s10, s9, 9
	s_delay_alu instid0(SALU_CYCLE_1) | instskip(NEXT) | instid1(SALU_CYCLE_1)
	s_and_b32 s10, s10, 0x7ffffe
	s_sub_co_i32 s11, 0, s10
	s_lshl_b32 s10, s4, 10
	s_and_b32 s15, s4, s11
	s_or_b32 s11, s4, s11
	s_lshl_b32 s18, s15, 11
	s_lshl_b32 s15, s15, 10
	s_add_co_i32 s18, s18, s9
	s_sub_co_i32 s19, s10, s15
	s_sub_co_i32 s15, s18, s15
	s_add_co_i32 s18, s18, s19
	s_min_u32 s19, s8, s15
	s_add_co_i32 s15, s15, s9
	s_wait_kmcnt 0x0
	s_sub_co_i32 s9, s18, s16
	s_sub_co_i32 s21, s18, s17
	s_min_u32 s18, s8, s9
	s_addk_co_i32 s21, 0x400
	s_cmp_eq_u32 s11, -1
	s_cselect_b32 s9, s15, s21
	s_cselect_b32 s11, s19, s17
	s_min_u32 s15, s9, s8
	s_sub_co_i32 s9, s11, s16
	s_sub_co_i32 s15, s15, s18
	s_cmp_lt_u32 s3, s2
	s_mov_b32 s3, s5
	s_cselect_b32 s2, 12, 18
	s_mov_b32 s17, s5
	s_add_nc_u64 s[2:3], s[6:7], s[2:3]
	s_mov_b32 s19, s5
	s_load_u16 s2, s[2:3], 0x0
	s_add_nc_u64 s[6:7], s[12:13], s[16:17]
	s_cmp_eq_u32 s4, s20
	s_add_nc_u64 s[12:13], s[12:13], s[18:19]
	s_wait_loadcnt 0x0
	v_lshrrev_b32_e32 v3, 16, v2
	v_and_b32_e32 v2, 0xffff, v2
	s_delay_alu instid0(VALU_DEP_1) | instskip(SKIP_1) | instid1(VALU_DEP_1)
	v_mul_lo_u32 v2, v2, v3
	s_wait_kmcnt 0x0
	v_mul_lo_u32 v8, v2, s2
	s_mov_b32 s2, -1
	s_delay_alu instid0(VALU_DEP_1) | instskip(NEXT) | instid1(VALU_DEP_1)
	v_add_nc_u32_e32 v6, v8, v0
	v_add_nc_u32_e32 v4, v6, v8
	s_cbranch_scc1 .LBB408_3
; %bb.2:
	v_sub_co_u32 v10, vcc_lo, v0, s9
	v_dual_mov_b32 v11, v1 :: v_dual_mov_b32 v7, v1
	v_add_nc_u64_e32 v[2:3], s[6:7], v[0:1]
	v_sub_co_u32 v14, s2, v6, s9
	s_delay_alu instid0(VALU_DEP_3) | instskip(SKIP_3) | instid1(VALU_DEP_3)
	v_add_nc_u64_e32 v[10:11], s[12:13], v[10:11]
	v_dual_mov_b32 v15, v1 :: v_dual_mov_b32 v5, v1
	v_add_nc_u64_e32 v[12:13], s[6:7], v[6:7]
	v_dual_mov_b32 v17, v1 :: v_dual_add_nc_u32 v18, v4, v8
	v_add_nc_u64_e32 v[14:15], s[12:13], v[14:15]
	v_dual_cndmask_b32 v3, v11, v3 :: v_dual_cndmask_b32 v2, v10, v2
	v_sub_co_u32 v16, vcc_lo, v4, s9
	v_add_nc_u64_e32 v[10:11], s[6:7], v[4:5]
	s_delay_alu instid0(VALU_DEP_4) | instskip(SKIP_1) | instid1(VALU_DEP_4)
	v_dual_mov_b32 v19, v1 :: v_dual_cndmask_b32 v13, v15, v13, s2
	v_dual_cndmask_b32 v12, v14, v12, s2 :: v_dual_mov_b32 v25, v1
	v_add_nc_u64_e32 v[14:15], s[12:13], v[16:17]
	v_add_nc_u32_e32 v16, v18, v8
	s_delay_alu instid0(VALU_DEP_4)
	v_add_nc_u64_e32 v[20:21], s[6:7], v[18:19]
	v_sub_co_u32 v18, s2, v18, s9
	s_add_co_i32 s11, s15, s9
	v_dual_mov_b32 v27, v1 :: v_dual_cndmask_b32 v11, v15, v11, vcc_lo
	v_add_nc_u64_e32 v[22:23], s[6:7], v[16:17]
	v_sub_co_u32 v24, s3, v16, s9
	v_dual_add_nc_u32 v16, v16, v8 :: v_dual_cndmask_b32 v10, v14, v10, vcc_lo
	v_mov_b32_e32 v29, v1
	v_add_nc_u64_e32 v[14:15], s[12:13], v[18:19]
	s_delay_alu instid0(VALU_DEP_4) | instskip(NEXT) | instid1(VALU_DEP_4)
	v_add_nc_u64_e32 v[18:19], s[12:13], v[24:25]
	v_add_nc_u32_e32 v26, v16, v8
	v_add_nc_u64_e32 v[24:25], s[6:7], v[16:17]
	v_sub_co_u32 v16, vcc_lo, v16, s9
	s_delay_alu instid0(VALU_DEP_3) | instskip(SKIP_2) | instid1(VALU_DEP_4)
	v_add_nc_u32_e32 v28, v26, v8
	v_add_nc_u64_e32 v[30:31], s[6:7], v[26:27]
	v_sub_co_u32 v26, s4, v26, s9
	v_add_nc_u64_e32 v[16:17], s[12:13], v[16:17]
	s_delay_alu instid0(VALU_DEP_4) | instskip(SKIP_3) | instid1(VALU_DEP_3)
	v_add_nc_u64_e32 v[32:33], s[6:7], v[28:29]
	v_sub_co_u32 v28, s5, v28, s9
	v_dual_cndmask_b32 v15, v15, v21, s2 :: v_dual_cndmask_b32 v14, v14, v20, s2
	v_add_nc_u64_e32 v[26:27], s[12:13], v[26:27]
	v_add_nc_u64_e32 v[20:21], s[12:13], v[28:29]
	v_dual_cndmask_b32 v19, v19, v23, s3 :: v_dual_cndmask_b32 v18, v18, v22, s3
	v_dual_cndmask_b32 v17, v17, v25 :: v_dual_cndmask_b32 v16, v16, v24
	s_delay_alu instid0(VALU_DEP_4) | instskip(NEXT) | instid1(VALU_DEP_4)
	v_dual_cndmask_b32 v23, v27, v31, s4 :: v_dual_cndmask_b32 v22, v26, v30, s4
	v_dual_cndmask_b32 v21, v21, v33, s5 :: v_dual_cndmask_b32 v20, v20, v32, s5
	global_load_u8 v1, v[2:3], off
	global_load_u8 v5, v[12:13], off
	;; [unrolled: 1-line block ×8, first 2 shown]
	s_wait_loadcnt 0x6
	v_perm_b32 v1, v1, v5, 0xc0c0004
	s_wait_loadcnt 0x4
	v_perm_b32 v2, v7, v9, 0xc0c0004
	;; [unrolled: 2-line block ×4, first 2 shown]
	v_lshl_or_b32 v2, v2, 16, v1
	s_delay_alu instid0(VALU_DEP_2)
	v_lshl_or_b32 v3, v5, 16, v3
	s_cbranch_execz .LBB408_4
	s_branch .LBB408_19
.LBB408_3:
                                        ; implicit-def: $vgpr2_vgpr3
                                        ; implicit-def: $sgpr11
	s_and_not1_b32 vcc_lo, exec_lo, s2
	s_cbranch_vccnz .LBB408_19
.LBB408_4:
	v_mov_b64_e32 v[2:3], 0
	s_add_co_i32 s11, s15, s9
	s_mov_b32 s2, exec_lo
	v_cmpx_gt_u32_e64 s11, v0
	s_cbranch_execnz .LBB408_50
; %bb.5:
	s_or_b32 exec_lo, exec_lo, s2
	s_delay_alu instid0(SALU_CYCLE_1)
	s_mov_b32 s2, exec_lo
	v_cmpx_gt_u32_e64 s11, v6
	s_cbranch_execnz .LBB408_51
.LBB408_6:
	s_or_b32 exec_lo, exec_lo, s2
	s_delay_alu instid0(SALU_CYCLE_1)
	s_mov_b32 s2, exec_lo
	v_cmpx_gt_u32_e64 s11, v4
	s_cbranch_execz .LBB408_8
.LBB408_7:
	v_sub_co_u32 v10, vcc_lo, v4, s9
	v_mov_b32_e32 v5, 0
	s_delay_alu instid0(VALU_DEP_1) | instskip(SKIP_1) | instid1(VALU_DEP_1)
	v_add_nc_u64_e32 v[6:7], s[6:7], v[4:5]
	v_mov_b32_e32 v11, v5
	v_add_nc_u64_e32 v[10:11], s[12:13], v[10:11]
	s_delay_alu instid0(VALU_DEP_1) | instskip(SKIP_3) | instid1(VALU_DEP_1)
	v_dual_cndmask_b32 v7, v11, v7 :: v_dual_cndmask_b32 v6, v10, v6
	global_load_u8 v1, v[6:7], off
	s_wait_loadcnt 0x0
	v_perm_b32 v1, v1, v2, 0xc0c0304
	v_lshlrev_b32_e32 v1, 16, v1
	s_delay_alu instid0(VALU_DEP_1)
	v_and_or_b32 v2, 0xffff, v2, v1
.LBB408_8:
	s_or_b32 exec_lo, exec_lo, s2
	v_add_nc_u32_e32 v4, v4, v8
	s_mov_b32 s2, exec_lo
	s_delay_alu instid0(VALU_DEP_1)
	v_cmpx_gt_u32_e64 s11, v4
	s_cbranch_execz .LBB408_10
; %bb.9:
	v_sub_co_u32 v10, vcc_lo, v4, s9
	v_mov_b32_e32 v5, 0
	s_delay_alu instid0(VALU_DEP_1) | instskip(SKIP_1) | instid1(VALU_DEP_1)
	v_add_nc_u64_e32 v[6:7], s[6:7], v[4:5]
	v_mov_b32_e32 v11, v5
	v_add_nc_u64_e32 v[10:11], s[12:13], v[10:11]
	s_delay_alu instid0(VALU_DEP_1) | instskip(SKIP_3) | instid1(VALU_DEP_1)
	v_dual_cndmask_b32 v7, v11, v7 :: v_dual_cndmask_b32 v6, v10, v6
	global_load_u8 v1, v[6:7], off
	s_wait_loadcnt 0x0
	v_perm_b32 v1, v2, v1, 0xc0c0006
	v_lshlrev_b32_e32 v1, 16, v1
	s_delay_alu instid0(VALU_DEP_1)
	v_and_or_b32 v2, 0xffff, v2, v1
.LBB408_10:
	s_or_b32 exec_lo, exec_lo, s2
	v_add_nc_u32_e32 v4, v4, v8
	s_mov_b32 s2, exec_lo
	s_delay_alu instid0(VALU_DEP_1)
	v_cmpx_gt_u32_e64 s11, v4
	s_cbranch_execz .LBB408_12
; %bb.11:
	v_sub_co_u32 v10, vcc_lo, v4, s9
	v_mov_b32_e32 v5, 0
	s_delay_alu instid0(VALU_DEP_1) | instskip(SKIP_1) | instid1(VALU_DEP_1)
	v_add_nc_u64_e32 v[6:7], s[6:7], v[4:5]
	v_mov_b32_e32 v11, v5
	v_add_nc_u64_e32 v[10:11], s[12:13], v[10:11]
	s_delay_alu instid0(VALU_DEP_1)
	v_dual_cndmask_b32 v7, v11, v7 :: v_dual_cndmask_b32 v6, v10, v6
	global_load_u8 v1, v[6:7], off
	s_wait_loadcnt 0x0
	v_perm_b32 v3, v1, v3, 0x3020104
.LBB408_12:
	s_or_b32 exec_lo, exec_lo, s2
	v_add_nc_u32_e32 v4, v4, v8
	s_mov_b32 s2, exec_lo
	s_delay_alu instid0(VALU_DEP_1)
	v_cmpx_gt_u32_e64 s11, v4
	s_cbranch_execz .LBB408_14
; %bb.13:
	v_sub_co_u32 v10, vcc_lo, v4, s9
	v_mov_b32_e32 v5, 0
	s_delay_alu instid0(VALU_DEP_1) | instskip(SKIP_1) | instid1(VALU_DEP_1)
	v_add_nc_u64_e32 v[6:7], s[6:7], v[4:5]
	v_mov_b32_e32 v11, v5
	v_add_nc_u64_e32 v[10:11], s[12:13], v[10:11]
	s_delay_alu instid0(VALU_DEP_1)
	v_dual_cndmask_b32 v7, v11, v7 :: v_dual_cndmask_b32 v6, v10, v6
	global_load_u8 v1, v[6:7], off
	s_wait_loadcnt 0x0
	v_perm_b32 v3, v3, v1, 0x7060004
.LBB408_14:
	;; [unrolled: 19-line block ×3, first 2 shown]
	s_or_b32 exec_lo, exec_lo, s2
	v_add_nc_u32_e32 v4, v4, v8
	s_mov_b32 s2, exec_lo
	s_delay_alu instid0(VALU_DEP_1)
	v_cmpx_gt_u32_e64 s11, v4
	s_cbranch_execz .LBB408_18
; %bb.17:
	v_mov_b32_e32 v5, 0
	s_delay_alu instid0(VALU_DEP_1) | instskip(SKIP_1) | instid1(VALU_DEP_1)
	v_add_nc_u64_e32 v[6:7], s[6:7], v[4:5]
	v_sub_co_u32 v4, vcc_lo, v4, s9
	v_add_nc_u64_e32 v[4:5], s[12:13], v[4:5]
	s_delay_alu instid0(VALU_DEP_1)
	v_dual_cndmask_b32 v5, v5, v7 :: v_dual_cndmask_b32 v4, v4, v6
	global_load_u8 v1, v[4:5], off
	s_wait_loadcnt 0x0
	v_perm_b32 v3, v3, v1, 0x60504
.LBB408_18:
	s_or_b32 exec_lo, exec_lo, s2
.LBB408_19:
	s_load_b64 s[12:13], s[0:1], 0x10
	v_dual_lshlrev_b32 v6, 3, v0 :: v_dual_lshrrev_b32 v7, 8, v2
	s_delay_alu instid0(VALU_DEP_2) | instskip(SKIP_1) | instid1(VALU_DEP_3)
	v_lshrrev_b64 v[4:5], 24, v[2:3]
	v_dual_lshrrev_b32 v8, 16, v2 :: v_dual_lshrrev_b32 v5, 8, v3
	v_min_u32_e32 v1, s11, v6
	v_dual_lshrrev_b32 v9, 16, v3 :: v_dual_lshrrev_b32 v11, 24, v3
	s_wait_xcnt 0x0
	s_mov_b32 s0, exec_lo
	ds_store_b8 v0, v2
	ds_store_b8 v0, v7 offset:128
	ds_store_b8 v0, v8 offset:256
	;; [unrolled: 1-line block ×7, first 2 shown]
	v_sub_nc_u32_e64 v10, v1, s15 clamp
	v_min_u32_e32 v12, s9, v1
	s_wait_dscnt 0x0
	s_barrier_signal -1
	s_barrier_wait -1
	s_delay_alu instid0(VALU_DEP_1)
	v_cmpx_lt_u32_e64 v10, v12
	s_cbranch_execz .LBB408_23
; %bb.20:
	v_add_nc_u32_e32 v13, s9, v1
	s_mov_b32 s1, 0
.LBB408_21:                             ; =>This Inner Loop Header: Depth=1
	v_add_nc_u32_e32 v14, v12, v10
	s_delay_alu instid0(VALU_DEP_1) | instskip(NEXT) | instid1(VALU_DEP_1)
	v_lshrrev_b32_e32 v14, 1, v14
	v_xad_u32 v15, v14, -1, v13
	ds_load_i8 v16, v14
	ds_load_i8 v15, v15
	s_wait_dscnt 0x0
	v_cmp_gt_i16_e32 vcc_lo, v16, v15
	v_dual_cndmask_b32 v12, v12, v14 :: v_dual_add_nc_u32 v17, 1, v14
	s_delay_alu instid0(VALU_DEP_1) | instskip(NEXT) | instid1(VALU_DEP_1)
	v_cndmask_b32_e32 v10, v17, v10, vcc_lo
	v_cmp_ge_u32_e32 vcc_lo, v10, v12
	s_or_b32 s1, vcc_lo, s1
	s_delay_alu instid0(SALU_CYCLE_1)
	s_and_not1_b32 exec_lo, exec_lo, s1
	s_cbranch_execnz .LBB408_21
; %bb.22:
	s_or_b32 exec_lo, exec_lo, s1
.LBB408_23:
	s_delay_alu instid0(SALU_CYCLE_1) | instskip(SKIP_2) | instid1(VALU_DEP_2)
	s_or_b32 exec_lo, exec_lo, s0
	v_sub_nc_u32_e32 v1, v1, v10
	v_cmp_ge_u32_e32 vcc_lo, s9, v10
	v_add_nc_u32_e32 v12, s9, v1
	s_delay_alu instid0(VALU_DEP_1) | instskip(SKIP_1) | instid1(SALU_CYCLE_1)
	v_cmp_ge_u32_e64 s0, s11, v12
	s_or_b32 s0, vcc_lo, s0
	s_and_saveexec_b32 s15, s0
	s_cbranch_execz .LBB408_29
; %bb.24:
	v_cmp_gt_u32_e32 vcc_lo, s9, v10
                                        ; implicit-def: $vgpr1
	s_and_saveexec_b32 s0, vcc_lo
; %bb.25:
	ds_load_u8 v1, v10
; %bb.26:
	s_or_b32 exec_lo, exec_lo, s0
	v_cmp_le_u32_e64 s0, s11, v12
	s_mov_b32 s2, exec_lo
                                        ; implicit-def: $vgpr2
	v_cmpx_gt_u32_e64 s11, v12
; %bb.27:
	ds_load_u8 v2, v12
; %bb.28:
	s_or_b32 exec_lo, exec_lo, s2
	s_wait_dscnt 0x0
	v_bfe_i32 v3, v2, 0, 8
	v_bfe_i32 v4, v1, 0, 8
	s_delay_alu instid0(VALU_DEP_1) | instskip(SKIP_1) | instid1(SALU_CYCLE_1)
	v_cmp_le_i16_e64 s1, v4, v3
	s_and_b32 s1, vcc_lo, s1
	s_or_b32 vcc_lo, s0, s1
	v_dual_mov_b32 v3, s9 :: v_dual_cndmask_b32 v4, v12, v10
	s_delay_alu instid0(VALU_DEP_1) | instskip(NEXT) | instid1(VALU_DEP_1)
	v_dual_cndmask_b32 v5, s11, v3 :: v_dual_add_nc_u32 v4, 1, v4
	v_add_min_u32_e64 v5, v5, -1, v4
	v_cndmask_b32_e32 v8, v10, v4, vcc_lo
	v_cndmask_b32_e32 v4, v4, v12, vcc_lo
	ds_load_u8 v5, v5
	v_cmp_gt_u32_e64 s0, s9, v8
	v_cmp_le_u32_e64 s2, s11, v4
	s_wait_dscnt 0x0
	v_cndmask_b32_e32 v7, v5, v2, vcc_lo
	v_cndmask_b32_e32 v5, v1, v5, vcc_lo
	;; [unrolled: 1-line block ×3, first 2 shown]
	s_delay_alu instid0(VALU_DEP_3) | instskip(NEXT) | instid1(VALU_DEP_3)
	v_bfe_i32 v9, v7, 0, 8
	v_bfe_i32 v10, v5, 0, 8
	s_delay_alu instid0(VALU_DEP_1) | instskip(SKIP_1) | instid1(SALU_CYCLE_1)
	v_cmp_le_i16_e64 s1, v10, v9
	s_and_b32 s0, s0, s1
	s_or_b32 s0, s2, s0
	s_delay_alu instid0(SALU_CYCLE_1) | instskip(NEXT) | instid1(VALU_DEP_1)
	v_cndmask_b32_e64 v9, v4, v8, s0
	v_dual_cndmask_b32 v10, s11, v3, s0 :: v_dual_add_nc_u32 v9, 1, v9
	s_delay_alu instid0(VALU_DEP_1)
	v_add_min_u32_e64 v10, v10, -1, v9
	v_dual_cndmask_b32 v8, v8, v9, s0 :: v_dual_cndmask_b32 v4, v9, v4, s0
	ds_load_u8 v10, v10
	v_cmp_gt_u32_e64 s1, s9, v8
	v_cmp_le_u32_e64 s3, s11, v4
	s_wait_dscnt 0x0
	v_dual_cndmask_b32 v11, v10, v7, s0 :: v_dual_cndmask_b32 v10, v5, v10, s0
	v_cndmask_b32_e64 v7, v7, v5, s0
	s_delay_alu instid0(VALU_DEP_2) | instskip(NEXT) | instid1(VALU_DEP_3)
	v_bfe_i32 v12, v11, 0, 8
	v_bfe_i32 v13, v10, 0, 8
	s_delay_alu instid0(VALU_DEP_1) | instskip(SKIP_1) | instid1(SALU_CYCLE_1)
	v_cmp_le_i16_e64 s2, v13, v12
	s_and_b32 s1, s1, s2
	s_or_b32 s1, s3, s1
	s_delay_alu instid0(SALU_CYCLE_1) | instskip(NEXT) | instid1(VALU_DEP_1)
	v_cndmask_b32_e64 v9, v4, v8, s1
	v_dual_cndmask_b32 v12, s11, v3, s1 :: v_dual_add_nc_u32 v9, 1, v9
	s_delay_alu instid0(VALU_DEP_1)
	v_add_min_u32_e64 v12, v12, -1, v9
	v_dual_cndmask_b32 v8, v8, v9, s1 :: v_dual_cndmask_b32 v4, v9, v4, s1
	ds_load_u8 v12, v12
	v_cmp_gt_u32_e64 s2, s9, v8
	v_cmp_le_u32_e64 s4, s11, v4
	s_wait_dscnt 0x0
	v_dual_cndmask_b32 v13, v12, v11, s1 :: v_dual_cndmask_b32 v12, v10, v12, s1
	s_delay_alu instid0(VALU_DEP_1) | instskip(NEXT) | instid1(VALU_DEP_2)
	v_bfe_i32 v14, v13, 0, 8
	v_bfe_i32 v15, v12, 0, 8
	s_delay_alu instid0(VALU_DEP_1) | instskip(SKIP_1) | instid1(SALU_CYCLE_1)
	v_cmp_le_i16_e64 s3, v15, v14
	s_and_b32 s2, s2, s3
	s_or_b32 s2, s4, s2
	s_delay_alu instid0(SALU_CYCLE_1) | instskip(NEXT) | instid1(VALU_DEP_1)
	v_cndmask_b32_e64 v9, v4, v8, s2
	v_dual_cndmask_b32 v14, s11, v3, s2 :: v_dual_add_nc_u32 v9, 1, v9
	s_delay_alu instid0(VALU_DEP_1)
	v_add_min_u32_e64 v14, v14, -1, v9
	v_cndmask_b32_e64 v4, v9, v4, s2
	ds_load_u8 v14, v14
	v_cmp_le_u32_e64 s5, s11, v4
	s_wait_dscnt 0x0
	v_dual_cndmask_b32 v15, v14, v13, s2 :: v_dual_cndmask_b32 v14, v12, v14, s2
	v_cndmask_b32_e64 v8, v8, v9, s2
	s_delay_alu instid0(VALU_DEP_2) | instskip(NEXT) | instid1(VALU_DEP_3)
	v_bfe_i32 v16, v15, 0, 8
	v_bfe_i32 v17, v14, 0, 8
	s_delay_alu instid0(VALU_DEP_3) | instskip(NEXT) | instid1(VALU_DEP_2)
	v_cmp_gt_u32_e64 s3, s9, v8
	v_cmp_le_i16_e64 s4, v17, v16
	s_and_b32 s3, s3, s4
	s_delay_alu instid0(SALU_CYCLE_1) | instskip(NEXT) | instid1(SALU_CYCLE_1)
	s_or_b32 s3, s5, s3
	v_cndmask_b32_e64 v9, v4, v8, s3
	s_delay_alu instid0(VALU_DEP_1) | instskip(NEXT) | instid1(VALU_DEP_1)
	v_dual_cndmask_b32 v16, s11, v3, s3 :: v_dual_add_nc_u32 v9, 1, v9
	v_add_min_u32_e64 v16, v16, -1, v9
	v_cndmask_b32_e64 v4, v9, v4, s3
	ds_load_u8 v16, v16
	v_cmp_le_u32_e64 s6, s11, v4
	s_wait_dscnt 0x0
	v_dual_cndmask_b32 v17, v16, v15, s3 :: v_dual_cndmask_b32 v16, v14, v16, s3
	v_cndmask_b32_e64 v8, v8, v9, s3
	s_delay_alu instid0(VALU_DEP_2) | instskip(NEXT) | instid1(VALU_DEP_3)
	v_bfe_i32 v18, v17, 0, 8
	v_bfe_i32 v19, v16, 0, 8
	s_delay_alu instid0(VALU_DEP_3) | instskip(NEXT) | instid1(VALU_DEP_2)
	v_cmp_gt_u32_e64 s4, s9, v8
	v_cmp_le_i16_e64 s5, v19, v18
	s_and_b32 s4, s4, s5
	s_delay_alu instid0(SALU_CYCLE_1) | instskip(NEXT) | instid1(SALU_CYCLE_1)
	s_or_b32 s4, s6, s4
	v_cndmask_b32_e64 v9, v4, v8, s4
	s_delay_alu instid0(VALU_DEP_1) | instskip(NEXT) | instid1(VALU_DEP_1)
	v_dual_cndmask_b32 v18, s11, v3, s4 :: v_dual_add_nc_u32 v9, 1, v9
	v_add_min_u32_e64 v18, v18, -1, v9
	v_dual_cndmask_b32 v4, v9, v4, s4 :: v_dual_cndmask_b32 v8, v8, v9, s4
	ds_load_u8 v18, v18
	v_cmp_le_u32_e64 s7, s11, v4
	v_cmp_gt_u32_e64 s5, s9, v8
	s_wait_dscnt 0x0
	v_dual_cndmask_b32 v19, v18, v17, s4 :: v_dual_cndmask_b32 v18, v16, v18, s4
	s_delay_alu instid0(VALU_DEP_1) | instskip(NEXT) | instid1(VALU_DEP_2)
	v_bfe_i32 v20, v19, 0, 8
	v_bfe_i32 v21, v18, 0, 8
	s_delay_alu instid0(VALU_DEP_1) | instskip(SKIP_1) | instid1(SALU_CYCLE_1)
	v_cmp_le_i16_e64 s6, v21, v20
	s_and_b32 s5, s5, s6
	s_or_b32 s5, s7, s5
	s_delay_alu instid0(SALU_CYCLE_1) | instskip(NEXT) | instid1(VALU_DEP_1)
	v_cndmask_b32_e64 v9, v4, v8, s5
	v_dual_cndmask_b32 v3, s11, v3, s5 :: v_dual_add_nc_u32 v9, 1, v9
	s_delay_alu instid0(VALU_DEP_1)
	v_add_min_u32_e64 v3, v3, -1, v9
	v_dual_cndmask_b32 v5, v9, v4, s5 :: v_dual_cndmask_b32 v1, v8, v9, s5
	v_dual_cndmask_b32 v8, v11, v10, s1 :: v_dual_cndmask_b32 v4, v13, v12, s2
	ds_load_u8 v3, v3
	v_cmp_le_u32_e64 s1, s11, v5
	v_cmp_gt_u32_e32 vcc_lo, s9, v1
	v_dual_cndmask_b32 v5, v17, v16, s4 :: v_dual_cndmask_b32 v9, v19, v18, s5
	s_wait_dscnt 0x0
	v_cndmask_b32_e64 v20, v3, v19, s5
	v_cndmask_b32_e64 v21, v18, v3, s5
	s_delay_alu instid0(VALU_DEP_2) | instskip(NEXT) | instid1(VALU_DEP_2)
	v_bfe_i32 v3, v20, 0, 8
	v_bfe_i32 v22, v21, 0, 8
	s_delay_alu instid0(VALU_DEP_1) | instskip(SKIP_2) | instid1(SALU_CYCLE_1)
	v_cmp_le_i16_e64 s0, v22, v3
	v_cndmask_b32_e64 v3, v15, v14, s3
	s_and_b32 s0, vcc_lo, s0
	s_or_b32 vcc_lo, s1, s0
	v_cndmask_b32_e32 v11, v20, v21, vcc_lo
.LBB408_29:
	s_or_b32 exec_lo, exec_lo, s15
	v_dual_mov_b32 v1, 0 :: v_dual_lshrrev_b32 v10, 2, v0
	v_perm_b32 v3, v3, v5, 0xc0c0004
	s_delay_alu instid0(VALU_DEP_3) | instskip(SKIP_1) | instid1(VALU_DEP_4)
	v_perm_b32 v5, v9, v11, 0xc0c0004
	v_perm_b32 v2, v2, v7, 0xc0c0004
	v_and_b32_e32 v10, 28, v10
	v_perm_b32 v4, v8, v4, 0xc0c0004
	s_mov_b32 s11, 0
	v_lshl_or_b32 v3, v5, 16, v3
	s_wait_kmcnt 0x0
	s_add_nc_u64 s[0:1], s[12:13], s[10:11]
	v_lshl_or_b32 v2, v4, 16, v2
	v_dual_add_nc_u32 v4, 4, v0 :: v_dual_add_nc_u32 v6, v10, v6
	v_add_nc_u32_e32 v5, 8, v0
	s_barrier_signal -1
	s_barrier_wait -1
	s_barrier_signal -1
	s_barrier_wait -1
	ds_store_2addr_b32 v6, v2, v3 offset1:1
	v_add_nc_u64_e32 v[2:3], s[0:1], v[0:1]
	v_dual_add_nc_u32 v6, 12, v0 :: v_dual_add_nc_u32 v7, 16, v0
	v_dual_add_nc_u32 v8, 20, v0 :: v_dual_add_nc_u32 v9, 24, v0
	v_add_nc_u32_e32 v10, 28, v0
	s_and_b32 vcc_lo, exec_lo, s14
	s_wait_dscnt 0x0
	s_cbranch_vccz .LBB408_31
; %bb.30:
	s_barrier_signal -1
	s_barrier_wait -1
	ds_load_u8 v11, v0
	ds_load_u8 v12, v4 offset:128
	ds_load_u8 v13, v5 offset:256
	;; [unrolled: 1-line block ×7, first 2 shown]
	s_mov_b32 s11, -1
	s_wait_dscnt 0x7
	global_store_b8 v[2:3], v11, off
	s_wait_dscnt 0x6
	global_store_b8 v[2:3], v12, off offset:128
	s_wait_dscnt 0x5
	global_store_b8 v[2:3], v13, off offset:256
	;; [unrolled: 2-line block ×6, first 2 shown]
	s_cbranch_execz .LBB408_32
	s_branch .LBB408_47
.LBB408_31:
                                        ; implicit-def: $vgpr1
.LBB408_32:
	s_barrier_signal -1
	s_barrier_wait -1
	s_wait_storecnt_dscnt 0x0
	s_wait_xcnt 0x4
	ds_load_u8 v13, v4 offset:128
	ds_load_u8 v12, v5 offset:256
	;; [unrolled: 1-line block ×7, first 2 shown]
	v_or_b32_e32 v7, 0x80, v0
	s_sub_co_i32 s0, s8, s10
	s_mov_b32 s1, exec_lo
	s_wait_xcnt 0x0
	v_cmpx_gt_u32_e64 s0, v0
	s_cbranch_execz .LBB408_34
; %bb.33:
	ds_load_u8 v8, v0
	s_wait_dscnt 0x0
	global_store_b8 v[2:3], v8, off
.LBB408_34:
	s_wait_xcnt 0x0
	s_or_b32 exec_lo, exec_lo, s1
	v_or_b32_e32 v8, 0x100, v0
	s_mov_b32 s1, exec_lo
	v_cmpx_gt_u32_e64 s0, v7
	s_cbranch_execz .LBB408_36
; %bb.35:
	s_wait_dscnt 0x6
	global_store_b8 v[2:3], v13, off offset:128
.LBB408_36:
	s_wait_xcnt 0x0
	s_or_b32 exec_lo, exec_lo, s1
	v_or_b32_e32 v7, 0x180, v0
	s_mov_b32 s1, exec_lo
	v_cmpx_gt_u32_e64 s0, v8
	s_cbranch_execz .LBB408_38
; %bb.37:
	s_wait_dscnt 0x5
	global_store_b8 v[2:3], v12, off offset:256
.LBB408_38:
	;; [unrolled: 10-line block ×4, first 2 shown]
	s_wait_xcnt 0x0
	s_or_b32 exec_lo, exec_lo, s1
	s_wait_dscnt 0x3
	v_or_b32_e32 v6, 0x300, v0
	s_mov_b32 s1, exec_lo
	v_cmpx_gt_u32_e64 s0, v7
	s_cbranch_execz .LBB408_44
; %bb.43:
	s_wait_dscnt 0x2
	global_store_b8 v[2:3], v5, off offset:640
.LBB408_44:
	s_wait_xcnt 0x0
	s_or_b32 exec_lo, exec_lo, s1
	v_or_b32_e32 v0, 0x380, v0
	s_mov_b32 s1, exec_lo
	v_cmpx_gt_u32_e64 s0, v6
	s_cbranch_execz .LBB408_46
; %bb.45:
	s_wait_dscnt 0x1
	global_store_b8 v[2:3], v4, off offset:768
.LBB408_46:
	s_wait_xcnt 0x0
	s_or_b32 exec_lo, exec_lo, s1
	v_cmp_gt_u32_e64 s11, s0, v0
.LBB408_47:
	s_wait_xcnt 0x0
	s_delay_alu instid0(VALU_DEP_1)
	s_and_saveexec_b32 s0, s11
	s_cbranch_execz .LBB408_49
; %bb.48:
	s_wait_dscnt 0x0
	global_store_b8 v[2:3], v1, off offset:896
.LBB408_49:
	s_endpgm
.LBB408_50:
	v_sub_co_u32 v10, vcc_lo, v0, s9
	v_mov_b32_e32 v1, 0
	s_mov_b32 s3, 0
	s_delay_alu instid0(VALU_DEP_1) | instskip(SKIP_1) | instid1(VALU_DEP_1)
	v_add_nc_u64_e32 v[2:3], s[6:7], v[0:1]
	v_mov_b32_e32 v11, v1
	v_add_nc_u64_e32 v[10:11], s[12:13], v[10:11]
	s_delay_alu instid0(VALU_DEP_1)
	v_dual_cndmask_b32 v3, v11, v3 :: v_dual_cndmask_b32 v2, v10, v2
	global_load_u8 v1, v[2:3], off
	s_wait_xcnt 0x0
	v_mov_b32_e32 v3, s3
	s_wait_loadcnt 0x0
	v_and_b32_e32 v2, 0xffff, v1
	s_or_b32 exec_lo, exec_lo, s2
	s_delay_alu instid0(SALU_CYCLE_1)
	s_mov_b32 s2, exec_lo
	v_cmpx_gt_u32_e64 s11, v6
	s_cbranch_execz .LBB408_6
.LBB408_51:
	v_mov_b32_e32 v7, 0
	s_delay_alu instid0(VALU_DEP_1) | instskip(SKIP_1) | instid1(VALU_DEP_1)
	v_add_nc_u64_e32 v[10:11], s[6:7], v[6:7]
	v_sub_co_u32 v6, vcc_lo, v6, s9
	v_add_nc_u64_e32 v[6:7], s[12:13], v[6:7]
	s_delay_alu instid0(VALU_DEP_1) | instskip(SKIP_4) | instid1(SALU_CYCLE_1)
	v_dual_cndmask_b32 v7, v7, v11 :: v_dual_cndmask_b32 v6, v6, v10
	global_load_u8 v1, v[6:7], off
	s_wait_loadcnt 0x0
	v_perm_b32 v2, v2, v1, 0x7060004
	s_or_b32 exec_lo, exec_lo, s2
	s_mov_b32 s2, exec_lo
	v_cmpx_gt_u32_e64 s11, v4
	s_cbranch_execnz .LBB408_7
	s_branch .LBB408_8
	.section	.rodata,"a",@progbits
	.p2align	6, 0x0
	.amdhsa_kernel _ZN7rocprim17ROCPRIM_400000_NS6detail17trampoline_kernelINS0_14default_configENS1_38merge_sort_block_merge_config_selectorIaNS0_10empty_typeEEEZZNS1_27merge_sort_block_merge_implIS3_PaPS5_jNS1_19radix_merge_compareILb0ELb0EaNS0_19identity_decomposerEEEEE10hipError_tT0_T1_T2_jT3_P12ihipStream_tbPNSt15iterator_traitsISE_E10value_typeEPNSK_ISF_E10value_typeEPSG_NS1_7vsmem_tEENKUlT_SE_SF_SG_E_clIS8_S8_S9_S9_EESD_ST_SE_SF_SG_EUlST_E0_NS1_11comp_targetILNS1_3genE0ELNS1_11target_archE4294967295ELNS1_3gpuE0ELNS1_3repE0EEENS1_38merge_mergepath_config_static_selectorELNS0_4arch9wavefront6targetE0EEEvSF_
		.amdhsa_group_segment_fixed_size 1056
		.amdhsa_private_segment_fixed_size 0
		.amdhsa_kernarg_size 320
		.amdhsa_user_sgpr_count 2
		.amdhsa_user_sgpr_dispatch_ptr 0
		.amdhsa_user_sgpr_queue_ptr 0
		.amdhsa_user_sgpr_kernarg_segment_ptr 1
		.amdhsa_user_sgpr_dispatch_id 0
		.amdhsa_user_sgpr_kernarg_preload_length 0
		.amdhsa_user_sgpr_kernarg_preload_offset 0
		.amdhsa_user_sgpr_private_segment_size 0
		.amdhsa_wavefront_size32 1
		.amdhsa_uses_dynamic_stack 0
		.amdhsa_enable_private_segment 0
		.amdhsa_system_sgpr_workgroup_id_x 1
		.amdhsa_system_sgpr_workgroup_id_y 1
		.amdhsa_system_sgpr_workgroup_id_z 1
		.amdhsa_system_sgpr_workgroup_info 0
		.amdhsa_system_vgpr_workitem_id 0
		.amdhsa_next_free_vgpr 34
		.amdhsa_next_free_sgpr 22
		.amdhsa_named_barrier_count 0
		.amdhsa_reserve_vcc 1
		.amdhsa_float_round_mode_32 0
		.amdhsa_float_round_mode_16_64 0
		.amdhsa_float_denorm_mode_32 3
		.amdhsa_float_denorm_mode_16_64 3
		.amdhsa_fp16_overflow 0
		.amdhsa_memory_ordered 1
		.amdhsa_forward_progress 1
		.amdhsa_inst_pref_size 32
		.amdhsa_round_robin_scheduling 0
		.amdhsa_exception_fp_ieee_invalid_op 0
		.amdhsa_exception_fp_denorm_src 0
		.amdhsa_exception_fp_ieee_div_zero 0
		.amdhsa_exception_fp_ieee_overflow 0
		.amdhsa_exception_fp_ieee_underflow 0
		.amdhsa_exception_fp_ieee_inexact 0
		.amdhsa_exception_int_div_zero 0
	.end_amdhsa_kernel
	.section	.text._ZN7rocprim17ROCPRIM_400000_NS6detail17trampoline_kernelINS0_14default_configENS1_38merge_sort_block_merge_config_selectorIaNS0_10empty_typeEEEZZNS1_27merge_sort_block_merge_implIS3_PaPS5_jNS1_19radix_merge_compareILb0ELb0EaNS0_19identity_decomposerEEEEE10hipError_tT0_T1_T2_jT3_P12ihipStream_tbPNSt15iterator_traitsISE_E10value_typeEPNSK_ISF_E10value_typeEPSG_NS1_7vsmem_tEENKUlT_SE_SF_SG_E_clIS8_S8_S9_S9_EESD_ST_SE_SF_SG_EUlST_E0_NS1_11comp_targetILNS1_3genE0ELNS1_11target_archE4294967295ELNS1_3gpuE0ELNS1_3repE0EEENS1_38merge_mergepath_config_static_selectorELNS0_4arch9wavefront6targetE0EEEvSF_,"axG",@progbits,_ZN7rocprim17ROCPRIM_400000_NS6detail17trampoline_kernelINS0_14default_configENS1_38merge_sort_block_merge_config_selectorIaNS0_10empty_typeEEEZZNS1_27merge_sort_block_merge_implIS3_PaPS5_jNS1_19radix_merge_compareILb0ELb0EaNS0_19identity_decomposerEEEEE10hipError_tT0_T1_T2_jT3_P12ihipStream_tbPNSt15iterator_traitsISE_E10value_typeEPNSK_ISF_E10value_typeEPSG_NS1_7vsmem_tEENKUlT_SE_SF_SG_E_clIS8_S8_S9_S9_EESD_ST_SE_SF_SG_EUlST_E0_NS1_11comp_targetILNS1_3genE0ELNS1_11target_archE4294967295ELNS1_3gpuE0ELNS1_3repE0EEENS1_38merge_mergepath_config_static_selectorELNS0_4arch9wavefront6targetE0EEEvSF_,comdat
.Lfunc_end408:
	.size	_ZN7rocprim17ROCPRIM_400000_NS6detail17trampoline_kernelINS0_14default_configENS1_38merge_sort_block_merge_config_selectorIaNS0_10empty_typeEEEZZNS1_27merge_sort_block_merge_implIS3_PaPS5_jNS1_19radix_merge_compareILb0ELb0EaNS0_19identity_decomposerEEEEE10hipError_tT0_T1_T2_jT3_P12ihipStream_tbPNSt15iterator_traitsISE_E10value_typeEPNSK_ISF_E10value_typeEPSG_NS1_7vsmem_tEENKUlT_SE_SF_SG_E_clIS8_S8_S9_S9_EESD_ST_SE_SF_SG_EUlST_E0_NS1_11comp_targetILNS1_3genE0ELNS1_11target_archE4294967295ELNS1_3gpuE0ELNS1_3repE0EEENS1_38merge_mergepath_config_static_selectorELNS0_4arch9wavefront6targetE0EEEvSF_, .Lfunc_end408-_ZN7rocprim17ROCPRIM_400000_NS6detail17trampoline_kernelINS0_14default_configENS1_38merge_sort_block_merge_config_selectorIaNS0_10empty_typeEEEZZNS1_27merge_sort_block_merge_implIS3_PaPS5_jNS1_19radix_merge_compareILb0ELb0EaNS0_19identity_decomposerEEEEE10hipError_tT0_T1_T2_jT3_P12ihipStream_tbPNSt15iterator_traitsISE_E10value_typeEPNSK_ISF_E10value_typeEPSG_NS1_7vsmem_tEENKUlT_SE_SF_SG_E_clIS8_S8_S9_S9_EESD_ST_SE_SF_SG_EUlST_E0_NS1_11comp_targetILNS1_3genE0ELNS1_11target_archE4294967295ELNS1_3gpuE0ELNS1_3repE0EEENS1_38merge_mergepath_config_static_selectorELNS0_4arch9wavefront6targetE0EEEvSF_
                                        ; -- End function
	.set _ZN7rocprim17ROCPRIM_400000_NS6detail17trampoline_kernelINS0_14default_configENS1_38merge_sort_block_merge_config_selectorIaNS0_10empty_typeEEEZZNS1_27merge_sort_block_merge_implIS3_PaPS5_jNS1_19radix_merge_compareILb0ELb0EaNS0_19identity_decomposerEEEEE10hipError_tT0_T1_T2_jT3_P12ihipStream_tbPNSt15iterator_traitsISE_E10value_typeEPNSK_ISF_E10value_typeEPSG_NS1_7vsmem_tEENKUlT_SE_SF_SG_E_clIS8_S8_S9_S9_EESD_ST_SE_SF_SG_EUlST_E0_NS1_11comp_targetILNS1_3genE0ELNS1_11target_archE4294967295ELNS1_3gpuE0ELNS1_3repE0EEENS1_38merge_mergepath_config_static_selectorELNS0_4arch9wavefront6targetE0EEEvSF_.num_vgpr, 34
	.set _ZN7rocprim17ROCPRIM_400000_NS6detail17trampoline_kernelINS0_14default_configENS1_38merge_sort_block_merge_config_selectorIaNS0_10empty_typeEEEZZNS1_27merge_sort_block_merge_implIS3_PaPS5_jNS1_19radix_merge_compareILb0ELb0EaNS0_19identity_decomposerEEEEE10hipError_tT0_T1_T2_jT3_P12ihipStream_tbPNSt15iterator_traitsISE_E10value_typeEPNSK_ISF_E10value_typeEPSG_NS1_7vsmem_tEENKUlT_SE_SF_SG_E_clIS8_S8_S9_S9_EESD_ST_SE_SF_SG_EUlST_E0_NS1_11comp_targetILNS1_3genE0ELNS1_11target_archE4294967295ELNS1_3gpuE0ELNS1_3repE0EEENS1_38merge_mergepath_config_static_selectorELNS0_4arch9wavefront6targetE0EEEvSF_.num_agpr, 0
	.set _ZN7rocprim17ROCPRIM_400000_NS6detail17trampoline_kernelINS0_14default_configENS1_38merge_sort_block_merge_config_selectorIaNS0_10empty_typeEEEZZNS1_27merge_sort_block_merge_implIS3_PaPS5_jNS1_19radix_merge_compareILb0ELb0EaNS0_19identity_decomposerEEEEE10hipError_tT0_T1_T2_jT3_P12ihipStream_tbPNSt15iterator_traitsISE_E10value_typeEPNSK_ISF_E10value_typeEPSG_NS1_7vsmem_tEENKUlT_SE_SF_SG_E_clIS8_S8_S9_S9_EESD_ST_SE_SF_SG_EUlST_E0_NS1_11comp_targetILNS1_3genE0ELNS1_11target_archE4294967295ELNS1_3gpuE0ELNS1_3repE0EEENS1_38merge_mergepath_config_static_selectorELNS0_4arch9wavefront6targetE0EEEvSF_.numbered_sgpr, 22
	.set _ZN7rocprim17ROCPRIM_400000_NS6detail17trampoline_kernelINS0_14default_configENS1_38merge_sort_block_merge_config_selectorIaNS0_10empty_typeEEEZZNS1_27merge_sort_block_merge_implIS3_PaPS5_jNS1_19radix_merge_compareILb0ELb0EaNS0_19identity_decomposerEEEEE10hipError_tT0_T1_T2_jT3_P12ihipStream_tbPNSt15iterator_traitsISE_E10value_typeEPNSK_ISF_E10value_typeEPSG_NS1_7vsmem_tEENKUlT_SE_SF_SG_E_clIS8_S8_S9_S9_EESD_ST_SE_SF_SG_EUlST_E0_NS1_11comp_targetILNS1_3genE0ELNS1_11target_archE4294967295ELNS1_3gpuE0ELNS1_3repE0EEENS1_38merge_mergepath_config_static_selectorELNS0_4arch9wavefront6targetE0EEEvSF_.num_named_barrier, 0
	.set _ZN7rocprim17ROCPRIM_400000_NS6detail17trampoline_kernelINS0_14default_configENS1_38merge_sort_block_merge_config_selectorIaNS0_10empty_typeEEEZZNS1_27merge_sort_block_merge_implIS3_PaPS5_jNS1_19radix_merge_compareILb0ELb0EaNS0_19identity_decomposerEEEEE10hipError_tT0_T1_T2_jT3_P12ihipStream_tbPNSt15iterator_traitsISE_E10value_typeEPNSK_ISF_E10value_typeEPSG_NS1_7vsmem_tEENKUlT_SE_SF_SG_E_clIS8_S8_S9_S9_EESD_ST_SE_SF_SG_EUlST_E0_NS1_11comp_targetILNS1_3genE0ELNS1_11target_archE4294967295ELNS1_3gpuE0ELNS1_3repE0EEENS1_38merge_mergepath_config_static_selectorELNS0_4arch9wavefront6targetE0EEEvSF_.private_seg_size, 0
	.set _ZN7rocprim17ROCPRIM_400000_NS6detail17trampoline_kernelINS0_14default_configENS1_38merge_sort_block_merge_config_selectorIaNS0_10empty_typeEEEZZNS1_27merge_sort_block_merge_implIS3_PaPS5_jNS1_19radix_merge_compareILb0ELb0EaNS0_19identity_decomposerEEEEE10hipError_tT0_T1_T2_jT3_P12ihipStream_tbPNSt15iterator_traitsISE_E10value_typeEPNSK_ISF_E10value_typeEPSG_NS1_7vsmem_tEENKUlT_SE_SF_SG_E_clIS8_S8_S9_S9_EESD_ST_SE_SF_SG_EUlST_E0_NS1_11comp_targetILNS1_3genE0ELNS1_11target_archE4294967295ELNS1_3gpuE0ELNS1_3repE0EEENS1_38merge_mergepath_config_static_selectorELNS0_4arch9wavefront6targetE0EEEvSF_.uses_vcc, 1
	.set _ZN7rocprim17ROCPRIM_400000_NS6detail17trampoline_kernelINS0_14default_configENS1_38merge_sort_block_merge_config_selectorIaNS0_10empty_typeEEEZZNS1_27merge_sort_block_merge_implIS3_PaPS5_jNS1_19radix_merge_compareILb0ELb0EaNS0_19identity_decomposerEEEEE10hipError_tT0_T1_T2_jT3_P12ihipStream_tbPNSt15iterator_traitsISE_E10value_typeEPNSK_ISF_E10value_typeEPSG_NS1_7vsmem_tEENKUlT_SE_SF_SG_E_clIS8_S8_S9_S9_EESD_ST_SE_SF_SG_EUlST_E0_NS1_11comp_targetILNS1_3genE0ELNS1_11target_archE4294967295ELNS1_3gpuE0ELNS1_3repE0EEENS1_38merge_mergepath_config_static_selectorELNS0_4arch9wavefront6targetE0EEEvSF_.uses_flat_scratch, 0
	.set _ZN7rocprim17ROCPRIM_400000_NS6detail17trampoline_kernelINS0_14default_configENS1_38merge_sort_block_merge_config_selectorIaNS0_10empty_typeEEEZZNS1_27merge_sort_block_merge_implIS3_PaPS5_jNS1_19radix_merge_compareILb0ELb0EaNS0_19identity_decomposerEEEEE10hipError_tT0_T1_T2_jT3_P12ihipStream_tbPNSt15iterator_traitsISE_E10value_typeEPNSK_ISF_E10value_typeEPSG_NS1_7vsmem_tEENKUlT_SE_SF_SG_E_clIS8_S8_S9_S9_EESD_ST_SE_SF_SG_EUlST_E0_NS1_11comp_targetILNS1_3genE0ELNS1_11target_archE4294967295ELNS1_3gpuE0ELNS1_3repE0EEENS1_38merge_mergepath_config_static_selectorELNS0_4arch9wavefront6targetE0EEEvSF_.has_dyn_sized_stack, 0
	.set _ZN7rocprim17ROCPRIM_400000_NS6detail17trampoline_kernelINS0_14default_configENS1_38merge_sort_block_merge_config_selectorIaNS0_10empty_typeEEEZZNS1_27merge_sort_block_merge_implIS3_PaPS5_jNS1_19radix_merge_compareILb0ELb0EaNS0_19identity_decomposerEEEEE10hipError_tT0_T1_T2_jT3_P12ihipStream_tbPNSt15iterator_traitsISE_E10value_typeEPNSK_ISF_E10value_typeEPSG_NS1_7vsmem_tEENKUlT_SE_SF_SG_E_clIS8_S8_S9_S9_EESD_ST_SE_SF_SG_EUlST_E0_NS1_11comp_targetILNS1_3genE0ELNS1_11target_archE4294967295ELNS1_3gpuE0ELNS1_3repE0EEENS1_38merge_mergepath_config_static_selectorELNS0_4arch9wavefront6targetE0EEEvSF_.has_recursion, 0
	.set _ZN7rocprim17ROCPRIM_400000_NS6detail17trampoline_kernelINS0_14default_configENS1_38merge_sort_block_merge_config_selectorIaNS0_10empty_typeEEEZZNS1_27merge_sort_block_merge_implIS3_PaPS5_jNS1_19radix_merge_compareILb0ELb0EaNS0_19identity_decomposerEEEEE10hipError_tT0_T1_T2_jT3_P12ihipStream_tbPNSt15iterator_traitsISE_E10value_typeEPNSK_ISF_E10value_typeEPSG_NS1_7vsmem_tEENKUlT_SE_SF_SG_E_clIS8_S8_S9_S9_EESD_ST_SE_SF_SG_EUlST_E0_NS1_11comp_targetILNS1_3genE0ELNS1_11target_archE4294967295ELNS1_3gpuE0ELNS1_3repE0EEENS1_38merge_mergepath_config_static_selectorELNS0_4arch9wavefront6targetE0EEEvSF_.has_indirect_call, 0
	.section	.AMDGPU.csdata,"",@progbits
; Kernel info:
; codeLenInByte = 4016
; TotalNumSgprs: 24
; NumVgprs: 34
; ScratchSize: 0
; MemoryBound: 0
; FloatMode: 240
; IeeeMode: 1
; LDSByteSize: 1056 bytes/workgroup (compile time only)
; SGPRBlocks: 0
; VGPRBlocks: 2
; NumSGPRsForWavesPerEU: 24
; NumVGPRsForWavesPerEU: 34
; NamedBarCnt: 0
; Occupancy: 16
; WaveLimiterHint : 1
; COMPUTE_PGM_RSRC2:SCRATCH_EN: 0
; COMPUTE_PGM_RSRC2:USER_SGPR: 2
; COMPUTE_PGM_RSRC2:TRAP_HANDLER: 0
; COMPUTE_PGM_RSRC2:TGID_X_EN: 1
; COMPUTE_PGM_RSRC2:TGID_Y_EN: 1
; COMPUTE_PGM_RSRC2:TGID_Z_EN: 1
; COMPUTE_PGM_RSRC2:TIDIG_COMP_CNT: 0
	.section	.text._ZN7rocprim17ROCPRIM_400000_NS6detail17trampoline_kernelINS0_14default_configENS1_38merge_sort_block_merge_config_selectorIaNS0_10empty_typeEEEZZNS1_27merge_sort_block_merge_implIS3_PaPS5_jNS1_19radix_merge_compareILb0ELb0EaNS0_19identity_decomposerEEEEE10hipError_tT0_T1_T2_jT3_P12ihipStream_tbPNSt15iterator_traitsISE_E10value_typeEPNSK_ISF_E10value_typeEPSG_NS1_7vsmem_tEENKUlT_SE_SF_SG_E_clIS8_S8_S9_S9_EESD_ST_SE_SF_SG_EUlST_E0_NS1_11comp_targetILNS1_3genE10ELNS1_11target_archE1201ELNS1_3gpuE5ELNS1_3repE0EEENS1_38merge_mergepath_config_static_selectorELNS0_4arch9wavefront6targetE0EEEvSF_,"axG",@progbits,_ZN7rocprim17ROCPRIM_400000_NS6detail17trampoline_kernelINS0_14default_configENS1_38merge_sort_block_merge_config_selectorIaNS0_10empty_typeEEEZZNS1_27merge_sort_block_merge_implIS3_PaPS5_jNS1_19radix_merge_compareILb0ELb0EaNS0_19identity_decomposerEEEEE10hipError_tT0_T1_T2_jT3_P12ihipStream_tbPNSt15iterator_traitsISE_E10value_typeEPNSK_ISF_E10value_typeEPSG_NS1_7vsmem_tEENKUlT_SE_SF_SG_E_clIS8_S8_S9_S9_EESD_ST_SE_SF_SG_EUlST_E0_NS1_11comp_targetILNS1_3genE10ELNS1_11target_archE1201ELNS1_3gpuE5ELNS1_3repE0EEENS1_38merge_mergepath_config_static_selectorELNS0_4arch9wavefront6targetE0EEEvSF_,comdat
	.protected	_ZN7rocprim17ROCPRIM_400000_NS6detail17trampoline_kernelINS0_14default_configENS1_38merge_sort_block_merge_config_selectorIaNS0_10empty_typeEEEZZNS1_27merge_sort_block_merge_implIS3_PaPS5_jNS1_19radix_merge_compareILb0ELb0EaNS0_19identity_decomposerEEEEE10hipError_tT0_T1_T2_jT3_P12ihipStream_tbPNSt15iterator_traitsISE_E10value_typeEPNSK_ISF_E10value_typeEPSG_NS1_7vsmem_tEENKUlT_SE_SF_SG_E_clIS8_S8_S9_S9_EESD_ST_SE_SF_SG_EUlST_E0_NS1_11comp_targetILNS1_3genE10ELNS1_11target_archE1201ELNS1_3gpuE5ELNS1_3repE0EEENS1_38merge_mergepath_config_static_selectorELNS0_4arch9wavefront6targetE0EEEvSF_ ; -- Begin function _ZN7rocprim17ROCPRIM_400000_NS6detail17trampoline_kernelINS0_14default_configENS1_38merge_sort_block_merge_config_selectorIaNS0_10empty_typeEEEZZNS1_27merge_sort_block_merge_implIS3_PaPS5_jNS1_19radix_merge_compareILb0ELb0EaNS0_19identity_decomposerEEEEE10hipError_tT0_T1_T2_jT3_P12ihipStream_tbPNSt15iterator_traitsISE_E10value_typeEPNSK_ISF_E10value_typeEPSG_NS1_7vsmem_tEENKUlT_SE_SF_SG_E_clIS8_S8_S9_S9_EESD_ST_SE_SF_SG_EUlST_E0_NS1_11comp_targetILNS1_3genE10ELNS1_11target_archE1201ELNS1_3gpuE5ELNS1_3repE0EEENS1_38merge_mergepath_config_static_selectorELNS0_4arch9wavefront6targetE0EEEvSF_
	.globl	_ZN7rocprim17ROCPRIM_400000_NS6detail17trampoline_kernelINS0_14default_configENS1_38merge_sort_block_merge_config_selectorIaNS0_10empty_typeEEEZZNS1_27merge_sort_block_merge_implIS3_PaPS5_jNS1_19radix_merge_compareILb0ELb0EaNS0_19identity_decomposerEEEEE10hipError_tT0_T1_T2_jT3_P12ihipStream_tbPNSt15iterator_traitsISE_E10value_typeEPNSK_ISF_E10value_typeEPSG_NS1_7vsmem_tEENKUlT_SE_SF_SG_E_clIS8_S8_S9_S9_EESD_ST_SE_SF_SG_EUlST_E0_NS1_11comp_targetILNS1_3genE10ELNS1_11target_archE1201ELNS1_3gpuE5ELNS1_3repE0EEENS1_38merge_mergepath_config_static_selectorELNS0_4arch9wavefront6targetE0EEEvSF_
	.p2align	8
	.type	_ZN7rocprim17ROCPRIM_400000_NS6detail17trampoline_kernelINS0_14default_configENS1_38merge_sort_block_merge_config_selectorIaNS0_10empty_typeEEEZZNS1_27merge_sort_block_merge_implIS3_PaPS5_jNS1_19radix_merge_compareILb0ELb0EaNS0_19identity_decomposerEEEEE10hipError_tT0_T1_T2_jT3_P12ihipStream_tbPNSt15iterator_traitsISE_E10value_typeEPNSK_ISF_E10value_typeEPSG_NS1_7vsmem_tEENKUlT_SE_SF_SG_E_clIS8_S8_S9_S9_EESD_ST_SE_SF_SG_EUlST_E0_NS1_11comp_targetILNS1_3genE10ELNS1_11target_archE1201ELNS1_3gpuE5ELNS1_3repE0EEENS1_38merge_mergepath_config_static_selectorELNS0_4arch9wavefront6targetE0EEEvSF_,@function
_ZN7rocprim17ROCPRIM_400000_NS6detail17trampoline_kernelINS0_14default_configENS1_38merge_sort_block_merge_config_selectorIaNS0_10empty_typeEEEZZNS1_27merge_sort_block_merge_implIS3_PaPS5_jNS1_19radix_merge_compareILb0ELb0EaNS0_19identity_decomposerEEEEE10hipError_tT0_T1_T2_jT3_P12ihipStream_tbPNSt15iterator_traitsISE_E10value_typeEPNSK_ISF_E10value_typeEPSG_NS1_7vsmem_tEENKUlT_SE_SF_SG_E_clIS8_S8_S9_S9_EESD_ST_SE_SF_SG_EUlST_E0_NS1_11comp_targetILNS1_3genE10ELNS1_11target_archE1201ELNS1_3gpuE5ELNS1_3repE0EEENS1_38merge_mergepath_config_static_selectorELNS0_4arch9wavefront6targetE0EEEvSF_: ; @_ZN7rocprim17ROCPRIM_400000_NS6detail17trampoline_kernelINS0_14default_configENS1_38merge_sort_block_merge_config_selectorIaNS0_10empty_typeEEEZZNS1_27merge_sort_block_merge_implIS3_PaPS5_jNS1_19radix_merge_compareILb0ELb0EaNS0_19identity_decomposerEEEEE10hipError_tT0_T1_T2_jT3_P12ihipStream_tbPNSt15iterator_traitsISE_E10value_typeEPNSK_ISF_E10value_typeEPSG_NS1_7vsmem_tEENKUlT_SE_SF_SG_E_clIS8_S8_S9_S9_EESD_ST_SE_SF_SG_EUlST_E0_NS1_11comp_targetILNS1_3genE10ELNS1_11target_archE1201ELNS1_3gpuE5ELNS1_3repE0EEENS1_38merge_mergepath_config_static_selectorELNS0_4arch9wavefront6targetE0EEEvSF_
; %bb.0:
	.section	.rodata,"a",@progbits
	.p2align	6, 0x0
	.amdhsa_kernel _ZN7rocprim17ROCPRIM_400000_NS6detail17trampoline_kernelINS0_14default_configENS1_38merge_sort_block_merge_config_selectorIaNS0_10empty_typeEEEZZNS1_27merge_sort_block_merge_implIS3_PaPS5_jNS1_19radix_merge_compareILb0ELb0EaNS0_19identity_decomposerEEEEE10hipError_tT0_T1_T2_jT3_P12ihipStream_tbPNSt15iterator_traitsISE_E10value_typeEPNSK_ISF_E10value_typeEPSG_NS1_7vsmem_tEENKUlT_SE_SF_SG_E_clIS8_S8_S9_S9_EESD_ST_SE_SF_SG_EUlST_E0_NS1_11comp_targetILNS1_3genE10ELNS1_11target_archE1201ELNS1_3gpuE5ELNS1_3repE0EEENS1_38merge_mergepath_config_static_selectorELNS0_4arch9wavefront6targetE0EEEvSF_
		.amdhsa_group_segment_fixed_size 0
		.amdhsa_private_segment_fixed_size 0
		.amdhsa_kernarg_size 64
		.amdhsa_user_sgpr_count 2
		.amdhsa_user_sgpr_dispatch_ptr 0
		.amdhsa_user_sgpr_queue_ptr 0
		.amdhsa_user_sgpr_kernarg_segment_ptr 1
		.amdhsa_user_sgpr_dispatch_id 0
		.amdhsa_user_sgpr_kernarg_preload_length 0
		.amdhsa_user_sgpr_kernarg_preload_offset 0
		.amdhsa_user_sgpr_private_segment_size 0
		.amdhsa_wavefront_size32 1
		.amdhsa_uses_dynamic_stack 0
		.amdhsa_enable_private_segment 0
		.amdhsa_system_sgpr_workgroup_id_x 1
		.amdhsa_system_sgpr_workgroup_id_y 0
		.amdhsa_system_sgpr_workgroup_id_z 0
		.amdhsa_system_sgpr_workgroup_info 0
		.amdhsa_system_vgpr_workitem_id 0
		.amdhsa_next_free_vgpr 1
		.amdhsa_next_free_sgpr 1
		.amdhsa_named_barrier_count 0
		.amdhsa_reserve_vcc 0
		.amdhsa_float_round_mode_32 0
		.amdhsa_float_round_mode_16_64 0
		.amdhsa_float_denorm_mode_32 3
		.amdhsa_float_denorm_mode_16_64 3
		.amdhsa_fp16_overflow 0
		.amdhsa_memory_ordered 1
		.amdhsa_forward_progress 1
		.amdhsa_inst_pref_size 0
		.amdhsa_round_robin_scheduling 0
		.amdhsa_exception_fp_ieee_invalid_op 0
		.amdhsa_exception_fp_denorm_src 0
		.amdhsa_exception_fp_ieee_div_zero 0
		.amdhsa_exception_fp_ieee_overflow 0
		.amdhsa_exception_fp_ieee_underflow 0
		.amdhsa_exception_fp_ieee_inexact 0
		.amdhsa_exception_int_div_zero 0
	.end_amdhsa_kernel
	.section	.text._ZN7rocprim17ROCPRIM_400000_NS6detail17trampoline_kernelINS0_14default_configENS1_38merge_sort_block_merge_config_selectorIaNS0_10empty_typeEEEZZNS1_27merge_sort_block_merge_implIS3_PaPS5_jNS1_19radix_merge_compareILb0ELb0EaNS0_19identity_decomposerEEEEE10hipError_tT0_T1_T2_jT3_P12ihipStream_tbPNSt15iterator_traitsISE_E10value_typeEPNSK_ISF_E10value_typeEPSG_NS1_7vsmem_tEENKUlT_SE_SF_SG_E_clIS8_S8_S9_S9_EESD_ST_SE_SF_SG_EUlST_E0_NS1_11comp_targetILNS1_3genE10ELNS1_11target_archE1201ELNS1_3gpuE5ELNS1_3repE0EEENS1_38merge_mergepath_config_static_selectorELNS0_4arch9wavefront6targetE0EEEvSF_,"axG",@progbits,_ZN7rocprim17ROCPRIM_400000_NS6detail17trampoline_kernelINS0_14default_configENS1_38merge_sort_block_merge_config_selectorIaNS0_10empty_typeEEEZZNS1_27merge_sort_block_merge_implIS3_PaPS5_jNS1_19radix_merge_compareILb0ELb0EaNS0_19identity_decomposerEEEEE10hipError_tT0_T1_T2_jT3_P12ihipStream_tbPNSt15iterator_traitsISE_E10value_typeEPNSK_ISF_E10value_typeEPSG_NS1_7vsmem_tEENKUlT_SE_SF_SG_E_clIS8_S8_S9_S9_EESD_ST_SE_SF_SG_EUlST_E0_NS1_11comp_targetILNS1_3genE10ELNS1_11target_archE1201ELNS1_3gpuE5ELNS1_3repE0EEENS1_38merge_mergepath_config_static_selectorELNS0_4arch9wavefront6targetE0EEEvSF_,comdat
.Lfunc_end409:
	.size	_ZN7rocprim17ROCPRIM_400000_NS6detail17trampoline_kernelINS0_14default_configENS1_38merge_sort_block_merge_config_selectorIaNS0_10empty_typeEEEZZNS1_27merge_sort_block_merge_implIS3_PaPS5_jNS1_19radix_merge_compareILb0ELb0EaNS0_19identity_decomposerEEEEE10hipError_tT0_T1_T2_jT3_P12ihipStream_tbPNSt15iterator_traitsISE_E10value_typeEPNSK_ISF_E10value_typeEPSG_NS1_7vsmem_tEENKUlT_SE_SF_SG_E_clIS8_S8_S9_S9_EESD_ST_SE_SF_SG_EUlST_E0_NS1_11comp_targetILNS1_3genE10ELNS1_11target_archE1201ELNS1_3gpuE5ELNS1_3repE0EEENS1_38merge_mergepath_config_static_selectorELNS0_4arch9wavefront6targetE0EEEvSF_, .Lfunc_end409-_ZN7rocprim17ROCPRIM_400000_NS6detail17trampoline_kernelINS0_14default_configENS1_38merge_sort_block_merge_config_selectorIaNS0_10empty_typeEEEZZNS1_27merge_sort_block_merge_implIS3_PaPS5_jNS1_19radix_merge_compareILb0ELb0EaNS0_19identity_decomposerEEEEE10hipError_tT0_T1_T2_jT3_P12ihipStream_tbPNSt15iterator_traitsISE_E10value_typeEPNSK_ISF_E10value_typeEPSG_NS1_7vsmem_tEENKUlT_SE_SF_SG_E_clIS8_S8_S9_S9_EESD_ST_SE_SF_SG_EUlST_E0_NS1_11comp_targetILNS1_3genE10ELNS1_11target_archE1201ELNS1_3gpuE5ELNS1_3repE0EEENS1_38merge_mergepath_config_static_selectorELNS0_4arch9wavefront6targetE0EEEvSF_
                                        ; -- End function
	.set _ZN7rocprim17ROCPRIM_400000_NS6detail17trampoline_kernelINS0_14default_configENS1_38merge_sort_block_merge_config_selectorIaNS0_10empty_typeEEEZZNS1_27merge_sort_block_merge_implIS3_PaPS5_jNS1_19radix_merge_compareILb0ELb0EaNS0_19identity_decomposerEEEEE10hipError_tT0_T1_T2_jT3_P12ihipStream_tbPNSt15iterator_traitsISE_E10value_typeEPNSK_ISF_E10value_typeEPSG_NS1_7vsmem_tEENKUlT_SE_SF_SG_E_clIS8_S8_S9_S9_EESD_ST_SE_SF_SG_EUlST_E0_NS1_11comp_targetILNS1_3genE10ELNS1_11target_archE1201ELNS1_3gpuE5ELNS1_3repE0EEENS1_38merge_mergepath_config_static_selectorELNS0_4arch9wavefront6targetE0EEEvSF_.num_vgpr, 0
	.set _ZN7rocprim17ROCPRIM_400000_NS6detail17trampoline_kernelINS0_14default_configENS1_38merge_sort_block_merge_config_selectorIaNS0_10empty_typeEEEZZNS1_27merge_sort_block_merge_implIS3_PaPS5_jNS1_19radix_merge_compareILb0ELb0EaNS0_19identity_decomposerEEEEE10hipError_tT0_T1_T2_jT3_P12ihipStream_tbPNSt15iterator_traitsISE_E10value_typeEPNSK_ISF_E10value_typeEPSG_NS1_7vsmem_tEENKUlT_SE_SF_SG_E_clIS8_S8_S9_S9_EESD_ST_SE_SF_SG_EUlST_E0_NS1_11comp_targetILNS1_3genE10ELNS1_11target_archE1201ELNS1_3gpuE5ELNS1_3repE0EEENS1_38merge_mergepath_config_static_selectorELNS0_4arch9wavefront6targetE0EEEvSF_.num_agpr, 0
	.set _ZN7rocprim17ROCPRIM_400000_NS6detail17trampoline_kernelINS0_14default_configENS1_38merge_sort_block_merge_config_selectorIaNS0_10empty_typeEEEZZNS1_27merge_sort_block_merge_implIS3_PaPS5_jNS1_19radix_merge_compareILb0ELb0EaNS0_19identity_decomposerEEEEE10hipError_tT0_T1_T2_jT3_P12ihipStream_tbPNSt15iterator_traitsISE_E10value_typeEPNSK_ISF_E10value_typeEPSG_NS1_7vsmem_tEENKUlT_SE_SF_SG_E_clIS8_S8_S9_S9_EESD_ST_SE_SF_SG_EUlST_E0_NS1_11comp_targetILNS1_3genE10ELNS1_11target_archE1201ELNS1_3gpuE5ELNS1_3repE0EEENS1_38merge_mergepath_config_static_selectorELNS0_4arch9wavefront6targetE0EEEvSF_.numbered_sgpr, 0
	.set _ZN7rocprim17ROCPRIM_400000_NS6detail17trampoline_kernelINS0_14default_configENS1_38merge_sort_block_merge_config_selectorIaNS0_10empty_typeEEEZZNS1_27merge_sort_block_merge_implIS3_PaPS5_jNS1_19radix_merge_compareILb0ELb0EaNS0_19identity_decomposerEEEEE10hipError_tT0_T1_T2_jT3_P12ihipStream_tbPNSt15iterator_traitsISE_E10value_typeEPNSK_ISF_E10value_typeEPSG_NS1_7vsmem_tEENKUlT_SE_SF_SG_E_clIS8_S8_S9_S9_EESD_ST_SE_SF_SG_EUlST_E0_NS1_11comp_targetILNS1_3genE10ELNS1_11target_archE1201ELNS1_3gpuE5ELNS1_3repE0EEENS1_38merge_mergepath_config_static_selectorELNS0_4arch9wavefront6targetE0EEEvSF_.num_named_barrier, 0
	.set _ZN7rocprim17ROCPRIM_400000_NS6detail17trampoline_kernelINS0_14default_configENS1_38merge_sort_block_merge_config_selectorIaNS0_10empty_typeEEEZZNS1_27merge_sort_block_merge_implIS3_PaPS5_jNS1_19radix_merge_compareILb0ELb0EaNS0_19identity_decomposerEEEEE10hipError_tT0_T1_T2_jT3_P12ihipStream_tbPNSt15iterator_traitsISE_E10value_typeEPNSK_ISF_E10value_typeEPSG_NS1_7vsmem_tEENKUlT_SE_SF_SG_E_clIS8_S8_S9_S9_EESD_ST_SE_SF_SG_EUlST_E0_NS1_11comp_targetILNS1_3genE10ELNS1_11target_archE1201ELNS1_3gpuE5ELNS1_3repE0EEENS1_38merge_mergepath_config_static_selectorELNS0_4arch9wavefront6targetE0EEEvSF_.private_seg_size, 0
	.set _ZN7rocprim17ROCPRIM_400000_NS6detail17trampoline_kernelINS0_14default_configENS1_38merge_sort_block_merge_config_selectorIaNS0_10empty_typeEEEZZNS1_27merge_sort_block_merge_implIS3_PaPS5_jNS1_19radix_merge_compareILb0ELb0EaNS0_19identity_decomposerEEEEE10hipError_tT0_T1_T2_jT3_P12ihipStream_tbPNSt15iterator_traitsISE_E10value_typeEPNSK_ISF_E10value_typeEPSG_NS1_7vsmem_tEENKUlT_SE_SF_SG_E_clIS8_S8_S9_S9_EESD_ST_SE_SF_SG_EUlST_E0_NS1_11comp_targetILNS1_3genE10ELNS1_11target_archE1201ELNS1_3gpuE5ELNS1_3repE0EEENS1_38merge_mergepath_config_static_selectorELNS0_4arch9wavefront6targetE0EEEvSF_.uses_vcc, 0
	.set _ZN7rocprim17ROCPRIM_400000_NS6detail17trampoline_kernelINS0_14default_configENS1_38merge_sort_block_merge_config_selectorIaNS0_10empty_typeEEEZZNS1_27merge_sort_block_merge_implIS3_PaPS5_jNS1_19radix_merge_compareILb0ELb0EaNS0_19identity_decomposerEEEEE10hipError_tT0_T1_T2_jT3_P12ihipStream_tbPNSt15iterator_traitsISE_E10value_typeEPNSK_ISF_E10value_typeEPSG_NS1_7vsmem_tEENKUlT_SE_SF_SG_E_clIS8_S8_S9_S9_EESD_ST_SE_SF_SG_EUlST_E0_NS1_11comp_targetILNS1_3genE10ELNS1_11target_archE1201ELNS1_3gpuE5ELNS1_3repE0EEENS1_38merge_mergepath_config_static_selectorELNS0_4arch9wavefront6targetE0EEEvSF_.uses_flat_scratch, 0
	.set _ZN7rocprim17ROCPRIM_400000_NS6detail17trampoline_kernelINS0_14default_configENS1_38merge_sort_block_merge_config_selectorIaNS0_10empty_typeEEEZZNS1_27merge_sort_block_merge_implIS3_PaPS5_jNS1_19radix_merge_compareILb0ELb0EaNS0_19identity_decomposerEEEEE10hipError_tT0_T1_T2_jT3_P12ihipStream_tbPNSt15iterator_traitsISE_E10value_typeEPNSK_ISF_E10value_typeEPSG_NS1_7vsmem_tEENKUlT_SE_SF_SG_E_clIS8_S8_S9_S9_EESD_ST_SE_SF_SG_EUlST_E0_NS1_11comp_targetILNS1_3genE10ELNS1_11target_archE1201ELNS1_3gpuE5ELNS1_3repE0EEENS1_38merge_mergepath_config_static_selectorELNS0_4arch9wavefront6targetE0EEEvSF_.has_dyn_sized_stack, 0
	.set _ZN7rocprim17ROCPRIM_400000_NS6detail17trampoline_kernelINS0_14default_configENS1_38merge_sort_block_merge_config_selectorIaNS0_10empty_typeEEEZZNS1_27merge_sort_block_merge_implIS3_PaPS5_jNS1_19radix_merge_compareILb0ELb0EaNS0_19identity_decomposerEEEEE10hipError_tT0_T1_T2_jT3_P12ihipStream_tbPNSt15iterator_traitsISE_E10value_typeEPNSK_ISF_E10value_typeEPSG_NS1_7vsmem_tEENKUlT_SE_SF_SG_E_clIS8_S8_S9_S9_EESD_ST_SE_SF_SG_EUlST_E0_NS1_11comp_targetILNS1_3genE10ELNS1_11target_archE1201ELNS1_3gpuE5ELNS1_3repE0EEENS1_38merge_mergepath_config_static_selectorELNS0_4arch9wavefront6targetE0EEEvSF_.has_recursion, 0
	.set _ZN7rocprim17ROCPRIM_400000_NS6detail17trampoline_kernelINS0_14default_configENS1_38merge_sort_block_merge_config_selectorIaNS0_10empty_typeEEEZZNS1_27merge_sort_block_merge_implIS3_PaPS5_jNS1_19radix_merge_compareILb0ELb0EaNS0_19identity_decomposerEEEEE10hipError_tT0_T1_T2_jT3_P12ihipStream_tbPNSt15iterator_traitsISE_E10value_typeEPNSK_ISF_E10value_typeEPSG_NS1_7vsmem_tEENKUlT_SE_SF_SG_E_clIS8_S8_S9_S9_EESD_ST_SE_SF_SG_EUlST_E0_NS1_11comp_targetILNS1_3genE10ELNS1_11target_archE1201ELNS1_3gpuE5ELNS1_3repE0EEENS1_38merge_mergepath_config_static_selectorELNS0_4arch9wavefront6targetE0EEEvSF_.has_indirect_call, 0
	.section	.AMDGPU.csdata,"",@progbits
; Kernel info:
; codeLenInByte = 0
; TotalNumSgprs: 0
; NumVgprs: 0
; ScratchSize: 0
; MemoryBound: 0
; FloatMode: 240
; IeeeMode: 1
; LDSByteSize: 0 bytes/workgroup (compile time only)
; SGPRBlocks: 0
; VGPRBlocks: 0
; NumSGPRsForWavesPerEU: 1
; NumVGPRsForWavesPerEU: 1
; NamedBarCnt: 0
; Occupancy: 16
; WaveLimiterHint : 0
; COMPUTE_PGM_RSRC2:SCRATCH_EN: 0
; COMPUTE_PGM_RSRC2:USER_SGPR: 2
; COMPUTE_PGM_RSRC2:TRAP_HANDLER: 0
; COMPUTE_PGM_RSRC2:TGID_X_EN: 1
; COMPUTE_PGM_RSRC2:TGID_Y_EN: 0
; COMPUTE_PGM_RSRC2:TGID_Z_EN: 0
; COMPUTE_PGM_RSRC2:TIDIG_COMP_CNT: 0
	.section	.text._ZN7rocprim17ROCPRIM_400000_NS6detail17trampoline_kernelINS0_14default_configENS1_38merge_sort_block_merge_config_selectorIaNS0_10empty_typeEEEZZNS1_27merge_sort_block_merge_implIS3_PaPS5_jNS1_19radix_merge_compareILb0ELb0EaNS0_19identity_decomposerEEEEE10hipError_tT0_T1_T2_jT3_P12ihipStream_tbPNSt15iterator_traitsISE_E10value_typeEPNSK_ISF_E10value_typeEPSG_NS1_7vsmem_tEENKUlT_SE_SF_SG_E_clIS8_S8_S9_S9_EESD_ST_SE_SF_SG_EUlST_E0_NS1_11comp_targetILNS1_3genE5ELNS1_11target_archE942ELNS1_3gpuE9ELNS1_3repE0EEENS1_38merge_mergepath_config_static_selectorELNS0_4arch9wavefront6targetE0EEEvSF_,"axG",@progbits,_ZN7rocprim17ROCPRIM_400000_NS6detail17trampoline_kernelINS0_14default_configENS1_38merge_sort_block_merge_config_selectorIaNS0_10empty_typeEEEZZNS1_27merge_sort_block_merge_implIS3_PaPS5_jNS1_19radix_merge_compareILb0ELb0EaNS0_19identity_decomposerEEEEE10hipError_tT0_T1_T2_jT3_P12ihipStream_tbPNSt15iterator_traitsISE_E10value_typeEPNSK_ISF_E10value_typeEPSG_NS1_7vsmem_tEENKUlT_SE_SF_SG_E_clIS8_S8_S9_S9_EESD_ST_SE_SF_SG_EUlST_E0_NS1_11comp_targetILNS1_3genE5ELNS1_11target_archE942ELNS1_3gpuE9ELNS1_3repE0EEENS1_38merge_mergepath_config_static_selectorELNS0_4arch9wavefront6targetE0EEEvSF_,comdat
	.protected	_ZN7rocprim17ROCPRIM_400000_NS6detail17trampoline_kernelINS0_14default_configENS1_38merge_sort_block_merge_config_selectorIaNS0_10empty_typeEEEZZNS1_27merge_sort_block_merge_implIS3_PaPS5_jNS1_19radix_merge_compareILb0ELb0EaNS0_19identity_decomposerEEEEE10hipError_tT0_T1_T2_jT3_P12ihipStream_tbPNSt15iterator_traitsISE_E10value_typeEPNSK_ISF_E10value_typeEPSG_NS1_7vsmem_tEENKUlT_SE_SF_SG_E_clIS8_S8_S9_S9_EESD_ST_SE_SF_SG_EUlST_E0_NS1_11comp_targetILNS1_3genE5ELNS1_11target_archE942ELNS1_3gpuE9ELNS1_3repE0EEENS1_38merge_mergepath_config_static_selectorELNS0_4arch9wavefront6targetE0EEEvSF_ ; -- Begin function _ZN7rocprim17ROCPRIM_400000_NS6detail17trampoline_kernelINS0_14default_configENS1_38merge_sort_block_merge_config_selectorIaNS0_10empty_typeEEEZZNS1_27merge_sort_block_merge_implIS3_PaPS5_jNS1_19radix_merge_compareILb0ELb0EaNS0_19identity_decomposerEEEEE10hipError_tT0_T1_T2_jT3_P12ihipStream_tbPNSt15iterator_traitsISE_E10value_typeEPNSK_ISF_E10value_typeEPSG_NS1_7vsmem_tEENKUlT_SE_SF_SG_E_clIS8_S8_S9_S9_EESD_ST_SE_SF_SG_EUlST_E0_NS1_11comp_targetILNS1_3genE5ELNS1_11target_archE942ELNS1_3gpuE9ELNS1_3repE0EEENS1_38merge_mergepath_config_static_selectorELNS0_4arch9wavefront6targetE0EEEvSF_
	.globl	_ZN7rocprim17ROCPRIM_400000_NS6detail17trampoline_kernelINS0_14default_configENS1_38merge_sort_block_merge_config_selectorIaNS0_10empty_typeEEEZZNS1_27merge_sort_block_merge_implIS3_PaPS5_jNS1_19radix_merge_compareILb0ELb0EaNS0_19identity_decomposerEEEEE10hipError_tT0_T1_T2_jT3_P12ihipStream_tbPNSt15iterator_traitsISE_E10value_typeEPNSK_ISF_E10value_typeEPSG_NS1_7vsmem_tEENKUlT_SE_SF_SG_E_clIS8_S8_S9_S9_EESD_ST_SE_SF_SG_EUlST_E0_NS1_11comp_targetILNS1_3genE5ELNS1_11target_archE942ELNS1_3gpuE9ELNS1_3repE0EEENS1_38merge_mergepath_config_static_selectorELNS0_4arch9wavefront6targetE0EEEvSF_
	.p2align	8
	.type	_ZN7rocprim17ROCPRIM_400000_NS6detail17trampoline_kernelINS0_14default_configENS1_38merge_sort_block_merge_config_selectorIaNS0_10empty_typeEEEZZNS1_27merge_sort_block_merge_implIS3_PaPS5_jNS1_19radix_merge_compareILb0ELb0EaNS0_19identity_decomposerEEEEE10hipError_tT0_T1_T2_jT3_P12ihipStream_tbPNSt15iterator_traitsISE_E10value_typeEPNSK_ISF_E10value_typeEPSG_NS1_7vsmem_tEENKUlT_SE_SF_SG_E_clIS8_S8_S9_S9_EESD_ST_SE_SF_SG_EUlST_E0_NS1_11comp_targetILNS1_3genE5ELNS1_11target_archE942ELNS1_3gpuE9ELNS1_3repE0EEENS1_38merge_mergepath_config_static_selectorELNS0_4arch9wavefront6targetE0EEEvSF_,@function
_ZN7rocprim17ROCPRIM_400000_NS6detail17trampoline_kernelINS0_14default_configENS1_38merge_sort_block_merge_config_selectorIaNS0_10empty_typeEEEZZNS1_27merge_sort_block_merge_implIS3_PaPS5_jNS1_19radix_merge_compareILb0ELb0EaNS0_19identity_decomposerEEEEE10hipError_tT0_T1_T2_jT3_P12ihipStream_tbPNSt15iterator_traitsISE_E10value_typeEPNSK_ISF_E10value_typeEPSG_NS1_7vsmem_tEENKUlT_SE_SF_SG_E_clIS8_S8_S9_S9_EESD_ST_SE_SF_SG_EUlST_E0_NS1_11comp_targetILNS1_3genE5ELNS1_11target_archE942ELNS1_3gpuE9ELNS1_3repE0EEENS1_38merge_mergepath_config_static_selectorELNS0_4arch9wavefront6targetE0EEEvSF_: ; @_ZN7rocprim17ROCPRIM_400000_NS6detail17trampoline_kernelINS0_14default_configENS1_38merge_sort_block_merge_config_selectorIaNS0_10empty_typeEEEZZNS1_27merge_sort_block_merge_implIS3_PaPS5_jNS1_19radix_merge_compareILb0ELb0EaNS0_19identity_decomposerEEEEE10hipError_tT0_T1_T2_jT3_P12ihipStream_tbPNSt15iterator_traitsISE_E10value_typeEPNSK_ISF_E10value_typeEPSG_NS1_7vsmem_tEENKUlT_SE_SF_SG_E_clIS8_S8_S9_S9_EESD_ST_SE_SF_SG_EUlST_E0_NS1_11comp_targetILNS1_3genE5ELNS1_11target_archE942ELNS1_3gpuE9ELNS1_3repE0EEENS1_38merge_mergepath_config_static_selectorELNS0_4arch9wavefront6targetE0EEEvSF_
; %bb.0:
	.section	.rodata,"a",@progbits
	.p2align	6, 0x0
	.amdhsa_kernel _ZN7rocprim17ROCPRIM_400000_NS6detail17trampoline_kernelINS0_14default_configENS1_38merge_sort_block_merge_config_selectorIaNS0_10empty_typeEEEZZNS1_27merge_sort_block_merge_implIS3_PaPS5_jNS1_19radix_merge_compareILb0ELb0EaNS0_19identity_decomposerEEEEE10hipError_tT0_T1_T2_jT3_P12ihipStream_tbPNSt15iterator_traitsISE_E10value_typeEPNSK_ISF_E10value_typeEPSG_NS1_7vsmem_tEENKUlT_SE_SF_SG_E_clIS8_S8_S9_S9_EESD_ST_SE_SF_SG_EUlST_E0_NS1_11comp_targetILNS1_3genE5ELNS1_11target_archE942ELNS1_3gpuE9ELNS1_3repE0EEENS1_38merge_mergepath_config_static_selectorELNS0_4arch9wavefront6targetE0EEEvSF_
		.amdhsa_group_segment_fixed_size 0
		.amdhsa_private_segment_fixed_size 0
		.amdhsa_kernarg_size 64
		.amdhsa_user_sgpr_count 2
		.amdhsa_user_sgpr_dispatch_ptr 0
		.amdhsa_user_sgpr_queue_ptr 0
		.amdhsa_user_sgpr_kernarg_segment_ptr 1
		.amdhsa_user_sgpr_dispatch_id 0
		.amdhsa_user_sgpr_kernarg_preload_length 0
		.amdhsa_user_sgpr_kernarg_preload_offset 0
		.amdhsa_user_sgpr_private_segment_size 0
		.amdhsa_wavefront_size32 1
		.amdhsa_uses_dynamic_stack 0
		.amdhsa_enable_private_segment 0
		.amdhsa_system_sgpr_workgroup_id_x 1
		.amdhsa_system_sgpr_workgroup_id_y 0
		.amdhsa_system_sgpr_workgroup_id_z 0
		.amdhsa_system_sgpr_workgroup_info 0
		.amdhsa_system_vgpr_workitem_id 0
		.amdhsa_next_free_vgpr 1
		.amdhsa_next_free_sgpr 1
		.amdhsa_named_barrier_count 0
		.amdhsa_reserve_vcc 0
		.amdhsa_float_round_mode_32 0
		.amdhsa_float_round_mode_16_64 0
		.amdhsa_float_denorm_mode_32 3
		.amdhsa_float_denorm_mode_16_64 3
		.amdhsa_fp16_overflow 0
		.amdhsa_memory_ordered 1
		.amdhsa_forward_progress 1
		.amdhsa_inst_pref_size 0
		.amdhsa_round_robin_scheduling 0
		.amdhsa_exception_fp_ieee_invalid_op 0
		.amdhsa_exception_fp_denorm_src 0
		.amdhsa_exception_fp_ieee_div_zero 0
		.amdhsa_exception_fp_ieee_overflow 0
		.amdhsa_exception_fp_ieee_underflow 0
		.amdhsa_exception_fp_ieee_inexact 0
		.amdhsa_exception_int_div_zero 0
	.end_amdhsa_kernel
	.section	.text._ZN7rocprim17ROCPRIM_400000_NS6detail17trampoline_kernelINS0_14default_configENS1_38merge_sort_block_merge_config_selectorIaNS0_10empty_typeEEEZZNS1_27merge_sort_block_merge_implIS3_PaPS5_jNS1_19radix_merge_compareILb0ELb0EaNS0_19identity_decomposerEEEEE10hipError_tT0_T1_T2_jT3_P12ihipStream_tbPNSt15iterator_traitsISE_E10value_typeEPNSK_ISF_E10value_typeEPSG_NS1_7vsmem_tEENKUlT_SE_SF_SG_E_clIS8_S8_S9_S9_EESD_ST_SE_SF_SG_EUlST_E0_NS1_11comp_targetILNS1_3genE5ELNS1_11target_archE942ELNS1_3gpuE9ELNS1_3repE0EEENS1_38merge_mergepath_config_static_selectorELNS0_4arch9wavefront6targetE0EEEvSF_,"axG",@progbits,_ZN7rocprim17ROCPRIM_400000_NS6detail17trampoline_kernelINS0_14default_configENS1_38merge_sort_block_merge_config_selectorIaNS0_10empty_typeEEEZZNS1_27merge_sort_block_merge_implIS3_PaPS5_jNS1_19radix_merge_compareILb0ELb0EaNS0_19identity_decomposerEEEEE10hipError_tT0_T1_T2_jT3_P12ihipStream_tbPNSt15iterator_traitsISE_E10value_typeEPNSK_ISF_E10value_typeEPSG_NS1_7vsmem_tEENKUlT_SE_SF_SG_E_clIS8_S8_S9_S9_EESD_ST_SE_SF_SG_EUlST_E0_NS1_11comp_targetILNS1_3genE5ELNS1_11target_archE942ELNS1_3gpuE9ELNS1_3repE0EEENS1_38merge_mergepath_config_static_selectorELNS0_4arch9wavefront6targetE0EEEvSF_,comdat
.Lfunc_end410:
	.size	_ZN7rocprim17ROCPRIM_400000_NS6detail17trampoline_kernelINS0_14default_configENS1_38merge_sort_block_merge_config_selectorIaNS0_10empty_typeEEEZZNS1_27merge_sort_block_merge_implIS3_PaPS5_jNS1_19radix_merge_compareILb0ELb0EaNS0_19identity_decomposerEEEEE10hipError_tT0_T1_T2_jT3_P12ihipStream_tbPNSt15iterator_traitsISE_E10value_typeEPNSK_ISF_E10value_typeEPSG_NS1_7vsmem_tEENKUlT_SE_SF_SG_E_clIS8_S8_S9_S9_EESD_ST_SE_SF_SG_EUlST_E0_NS1_11comp_targetILNS1_3genE5ELNS1_11target_archE942ELNS1_3gpuE9ELNS1_3repE0EEENS1_38merge_mergepath_config_static_selectorELNS0_4arch9wavefront6targetE0EEEvSF_, .Lfunc_end410-_ZN7rocprim17ROCPRIM_400000_NS6detail17trampoline_kernelINS0_14default_configENS1_38merge_sort_block_merge_config_selectorIaNS0_10empty_typeEEEZZNS1_27merge_sort_block_merge_implIS3_PaPS5_jNS1_19radix_merge_compareILb0ELb0EaNS0_19identity_decomposerEEEEE10hipError_tT0_T1_T2_jT3_P12ihipStream_tbPNSt15iterator_traitsISE_E10value_typeEPNSK_ISF_E10value_typeEPSG_NS1_7vsmem_tEENKUlT_SE_SF_SG_E_clIS8_S8_S9_S9_EESD_ST_SE_SF_SG_EUlST_E0_NS1_11comp_targetILNS1_3genE5ELNS1_11target_archE942ELNS1_3gpuE9ELNS1_3repE0EEENS1_38merge_mergepath_config_static_selectorELNS0_4arch9wavefront6targetE0EEEvSF_
                                        ; -- End function
	.set _ZN7rocprim17ROCPRIM_400000_NS6detail17trampoline_kernelINS0_14default_configENS1_38merge_sort_block_merge_config_selectorIaNS0_10empty_typeEEEZZNS1_27merge_sort_block_merge_implIS3_PaPS5_jNS1_19radix_merge_compareILb0ELb0EaNS0_19identity_decomposerEEEEE10hipError_tT0_T1_T2_jT3_P12ihipStream_tbPNSt15iterator_traitsISE_E10value_typeEPNSK_ISF_E10value_typeEPSG_NS1_7vsmem_tEENKUlT_SE_SF_SG_E_clIS8_S8_S9_S9_EESD_ST_SE_SF_SG_EUlST_E0_NS1_11comp_targetILNS1_3genE5ELNS1_11target_archE942ELNS1_3gpuE9ELNS1_3repE0EEENS1_38merge_mergepath_config_static_selectorELNS0_4arch9wavefront6targetE0EEEvSF_.num_vgpr, 0
	.set _ZN7rocprim17ROCPRIM_400000_NS6detail17trampoline_kernelINS0_14default_configENS1_38merge_sort_block_merge_config_selectorIaNS0_10empty_typeEEEZZNS1_27merge_sort_block_merge_implIS3_PaPS5_jNS1_19radix_merge_compareILb0ELb0EaNS0_19identity_decomposerEEEEE10hipError_tT0_T1_T2_jT3_P12ihipStream_tbPNSt15iterator_traitsISE_E10value_typeEPNSK_ISF_E10value_typeEPSG_NS1_7vsmem_tEENKUlT_SE_SF_SG_E_clIS8_S8_S9_S9_EESD_ST_SE_SF_SG_EUlST_E0_NS1_11comp_targetILNS1_3genE5ELNS1_11target_archE942ELNS1_3gpuE9ELNS1_3repE0EEENS1_38merge_mergepath_config_static_selectorELNS0_4arch9wavefront6targetE0EEEvSF_.num_agpr, 0
	.set _ZN7rocprim17ROCPRIM_400000_NS6detail17trampoline_kernelINS0_14default_configENS1_38merge_sort_block_merge_config_selectorIaNS0_10empty_typeEEEZZNS1_27merge_sort_block_merge_implIS3_PaPS5_jNS1_19radix_merge_compareILb0ELb0EaNS0_19identity_decomposerEEEEE10hipError_tT0_T1_T2_jT3_P12ihipStream_tbPNSt15iterator_traitsISE_E10value_typeEPNSK_ISF_E10value_typeEPSG_NS1_7vsmem_tEENKUlT_SE_SF_SG_E_clIS8_S8_S9_S9_EESD_ST_SE_SF_SG_EUlST_E0_NS1_11comp_targetILNS1_3genE5ELNS1_11target_archE942ELNS1_3gpuE9ELNS1_3repE0EEENS1_38merge_mergepath_config_static_selectorELNS0_4arch9wavefront6targetE0EEEvSF_.numbered_sgpr, 0
	.set _ZN7rocprim17ROCPRIM_400000_NS6detail17trampoline_kernelINS0_14default_configENS1_38merge_sort_block_merge_config_selectorIaNS0_10empty_typeEEEZZNS1_27merge_sort_block_merge_implIS3_PaPS5_jNS1_19radix_merge_compareILb0ELb0EaNS0_19identity_decomposerEEEEE10hipError_tT0_T1_T2_jT3_P12ihipStream_tbPNSt15iterator_traitsISE_E10value_typeEPNSK_ISF_E10value_typeEPSG_NS1_7vsmem_tEENKUlT_SE_SF_SG_E_clIS8_S8_S9_S9_EESD_ST_SE_SF_SG_EUlST_E0_NS1_11comp_targetILNS1_3genE5ELNS1_11target_archE942ELNS1_3gpuE9ELNS1_3repE0EEENS1_38merge_mergepath_config_static_selectorELNS0_4arch9wavefront6targetE0EEEvSF_.num_named_barrier, 0
	.set _ZN7rocprim17ROCPRIM_400000_NS6detail17trampoline_kernelINS0_14default_configENS1_38merge_sort_block_merge_config_selectorIaNS0_10empty_typeEEEZZNS1_27merge_sort_block_merge_implIS3_PaPS5_jNS1_19radix_merge_compareILb0ELb0EaNS0_19identity_decomposerEEEEE10hipError_tT0_T1_T2_jT3_P12ihipStream_tbPNSt15iterator_traitsISE_E10value_typeEPNSK_ISF_E10value_typeEPSG_NS1_7vsmem_tEENKUlT_SE_SF_SG_E_clIS8_S8_S9_S9_EESD_ST_SE_SF_SG_EUlST_E0_NS1_11comp_targetILNS1_3genE5ELNS1_11target_archE942ELNS1_3gpuE9ELNS1_3repE0EEENS1_38merge_mergepath_config_static_selectorELNS0_4arch9wavefront6targetE0EEEvSF_.private_seg_size, 0
	.set _ZN7rocprim17ROCPRIM_400000_NS6detail17trampoline_kernelINS0_14default_configENS1_38merge_sort_block_merge_config_selectorIaNS0_10empty_typeEEEZZNS1_27merge_sort_block_merge_implIS3_PaPS5_jNS1_19radix_merge_compareILb0ELb0EaNS0_19identity_decomposerEEEEE10hipError_tT0_T1_T2_jT3_P12ihipStream_tbPNSt15iterator_traitsISE_E10value_typeEPNSK_ISF_E10value_typeEPSG_NS1_7vsmem_tEENKUlT_SE_SF_SG_E_clIS8_S8_S9_S9_EESD_ST_SE_SF_SG_EUlST_E0_NS1_11comp_targetILNS1_3genE5ELNS1_11target_archE942ELNS1_3gpuE9ELNS1_3repE0EEENS1_38merge_mergepath_config_static_selectorELNS0_4arch9wavefront6targetE0EEEvSF_.uses_vcc, 0
	.set _ZN7rocprim17ROCPRIM_400000_NS6detail17trampoline_kernelINS0_14default_configENS1_38merge_sort_block_merge_config_selectorIaNS0_10empty_typeEEEZZNS1_27merge_sort_block_merge_implIS3_PaPS5_jNS1_19radix_merge_compareILb0ELb0EaNS0_19identity_decomposerEEEEE10hipError_tT0_T1_T2_jT3_P12ihipStream_tbPNSt15iterator_traitsISE_E10value_typeEPNSK_ISF_E10value_typeEPSG_NS1_7vsmem_tEENKUlT_SE_SF_SG_E_clIS8_S8_S9_S9_EESD_ST_SE_SF_SG_EUlST_E0_NS1_11comp_targetILNS1_3genE5ELNS1_11target_archE942ELNS1_3gpuE9ELNS1_3repE0EEENS1_38merge_mergepath_config_static_selectorELNS0_4arch9wavefront6targetE0EEEvSF_.uses_flat_scratch, 0
	.set _ZN7rocprim17ROCPRIM_400000_NS6detail17trampoline_kernelINS0_14default_configENS1_38merge_sort_block_merge_config_selectorIaNS0_10empty_typeEEEZZNS1_27merge_sort_block_merge_implIS3_PaPS5_jNS1_19radix_merge_compareILb0ELb0EaNS0_19identity_decomposerEEEEE10hipError_tT0_T1_T2_jT3_P12ihipStream_tbPNSt15iterator_traitsISE_E10value_typeEPNSK_ISF_E10value_typeEPSG_NS1_7vsmem_tEENKUlT_SE_SF_SG_E_clIS8_S8_S9_S9_EESD_ST_SE_SF_SG_EUlST_E0_NS1_11comp_targetILNS1_3genE5ELNS1_11target_archE942ELNS1_3gpuE9ELNS1_3repE0EEENS1_38merge_mergepath_config_static_selectorELNS0_4arch9wavefront6targetE0EEEvSF_.has_dyn_sized_stack, 0
	.set _ZN7rocprim17ROCPRIM_400000_NS6detail17trampoline_kernelINS0_14default_configENS1_38merge_sort_block_merge_config_selectorIaNS0_10empty_typeEEEZZNS1_27merge_sort_block_merge_implIS3_PaPS5_jNS1_19radix_merge_compareILb0ELb0EaNS0_19identity_decomposerEEEEE10hipError_tT0_T1_T2_jT3_P12ihipStream_tbPNSt15iterator_traitsISE_E10value_typeEPNSK_ISF_E10value_typeEPSG_NS1_7vsmem_tEENKUlT_SE_SF_SG_E_clIS8_S8_S9_S9_EESD_ST_SE_SF_SG_EUlST_E0_NS1_11comp_targetILNS1_3genE5ELNS1_11target_archE942ELNS1_3gpuE9ELNS1_3repE0EEENS1_38merge_mergepath_config_static_selectorELNS0_4arch9wavefront6targetE0EEEvSF_.has_recursion, 0
	.set _ZN7rocprim17ROCPRIM_400000_NS6detail17trampoline_kernelINS0_14default_configENS1_38merge_sort_block_merge_config_selectorIaNS0_10empty_typeEEEZZNS1_27merge_sort_block_merge_implIS3_PaPS5_jNS1_19radix_merge_compareILb0ELb0EaNS0_19identity_decomposerEEEEE10hipError_tT0_T1_T2_jT3_P12ihipStream_tbPNSt15iterator_traitsISE_E10value_typeEPNSK_ISF_E10value_typeEPSG_NS1_7vsmem_tEENKUlT_SE_SF_SG_E_clIS8_S8_S9_S9_EESD_ST_SE_SF_SG_EUlST_E0_NS1_11comp_targetILNS1_3genE5ELNS1_11target_archE942ELNS1_3gpuE9ELNS1_3repE0EEENS1_38merge_mergepath_config_static_selectorELNS0_4arch9wavefront6targetE0EEEvSF_.has_indirect_call, 0
	.section	.AMDGPU.csdata,"",@progbits
; Kernel info:
; codeLenInByte = 0
; TotalNumSgprs: 0
; NumVgprs: 0
; ScratchSize: 0
; MemoryBound: 0
; FloatMode: 240
; IeeeMode: 1
; LDSByteSize: 0 bytes/workgroup (compile time only)
; SGPRBlocks: 0
; VGPRBlocks: 0
; NumSGPRsForWavesPerEU: 1
; NumVGPRsForWavesPerEU: 1
; NamedBarCnt: 0
; Occupancy: 16
; WaveLimiterHint : 0
; COMPUTE_PGM_RSRC2:SCRATCH_EN: 0
; COMPUTE_PGM_RSRC2:USER_SGPR: 2
; COMPUTE_PGM_RSRC2:TRAP_HANDLER: 0
; COMPUTE_PGM_RSRC2:TGID_X_EN: 1
; COMPUTE_PGM_RSRC2:TGID_Y_EN: 0
; COMPUTE_PGM_RSRC2:TGID_Z_EN: 0
; COMPUTE_PGM_RSRC2:TIDIG_COMP_CNT: 0
	.section	.text._ZN7rocprim17ROCPRIM_400000_NS6detail17trampoline_kernelINS0_14default_configENS1_38merge_sort_block_merge_config_selectorIaNS0_10empty_typeEEEZZNS1_27merge_sort_block_merge_implIS3_PaPS5_jNS1_19radix_merge_compareILb0ELb0EaNS0_19identity_decomposerEEEEE10hipError_tT0_T1_T2_jT3_P12ihipStream_tbPNSt15iterator_traitsISE_E10value_typeEPNSK_ISF_E10value_typeEPSG_NS1_7vsmem_tEENKUlT_SE_SF_SG_E_clIS8_S8_S9_S9_EESD_ST_SE_SF_SG_EUlST_E0_NS1_11comp_targetILNS1_3genE4ELNS1_11target_archE910ELNS1_3gpuE8ELNS1_3repE0EEENS1_38merge_mergepath_config_static_selectorELNS0_4arch9wavefront6targetE0EEEvSF_,"axG",@progbits,_ZN7rocprim17ROCPRIM_400000_NS6detail17trampoline_kernelINS0_14default_configENS1_38merge_sort_block_merge_config_selectorIaNS0_10empty_typeEEEZZNS1_27merge_sort_block_merge_implIS3_PaPS5_jNS1_19radix_merge_compareILb0ELb0EaNS0_19identity_decomposerEEEEE10hipError_tT0_T1_T2_jT3_P12ihipStream_tbPNSt15iterator_traitsISE_E10value_typeEPNSK_ISF_E10value_typeEPSG_NS1_7vsmem_tEENKUlT_SE_SF_SG_E_clIS8_S8_S9_S9_EESD_ST_SE_SF_SG_EUlST_E0_NS1_11comp_targetILNS1_3genE4ELNS1_11target_archE910ELNS1_3gpuE8ELNS1_3repE0EEENS1_38merge_mergepath_config_static_selectorELNS0_4arch9wavefront6targetE0EEEvSF_,comdat
	.protected	_ZN7rocprim17ROCPRIM_400000_NS6detail17trampoline_kernelINS0_14default_configENS1_38merge_sort_block_merge_config_selectorIaNS0_10empty_typeEEEZZNS1_27merge_sort_block_merge_implIS3_PaPS5_jNS1_19radix_merge_compareILb0ELb0EaNS0_19identity_decomposerEEEEE10hipError_tT0_T1_T2_jT3_P12ihipStream_tbPNSt15iterator_traitsISE_E10value_typeEPNSK_ISF_E10value_typeEPSG_NS1_7vsmem_tEENKUlT_SE_SF_SG_E_clIS8_S8_S9_S9_EESD_ST_SE_SF_SG_EUlST_E0_NS1_11comp_targetILNS1_3genE4ELNS1_11target_archE910ELNS1_3gpuE8ELNS1_3repE0EEENS1_38merge_mergepath_config_static_selectorELNS0_4arch9wavefront6targetE0EEEvSF_ ; -- Begin function _ZN7rocprim17ROCPRIM_400000_NS6detail17trampoline_kernelINS0_14default_configENS1_38merge_sort_block_merge_config_selectorIaNS0_10empty_typeEEEZZNS1_27merge_sort_block_merge_implIS3_PaPS5_jNS1_19radix_merge_compareILb0ELb0EaNS0_19identity_decomposerEEEEE10hipError_tT0_T1_T2_jT3_P12ihipStream_tbPNSt15iterator_traitsISE_E10value_typeEPNSK_ISF_E10value_typeEPSG_NS1_7vsmem_tEENKUlT_SE_SF_SG_E_clIS8_S8_S9_S9_EESD_ST_SE_SF_SG_EUlST_E0_NS1_11comp_targetILNS1_3genE4ELNS1_11target_archE910ELNS1_3gpuE8ELNS1_3repE0EEENS1_38merge_mergepath_config_static_selectorELNS0_4arch9wavefront6targetE0EEEvSF_
	.globl	_ZN7rocprim17ROCPRIM_400000_NS6detail17trampoline_kernelINS0_14default_configENS1_38merge_sort_block_merge_config_selectorIaNS0_10empty_typeEEEZZNS1_27merge_sort_block_merge_implIS3_PaPS5_jNS1_19radix_merge_compareILb0ELb0EaNS0_19identity_decomposerEEEEE10hipError_tT0_T1_T2_jT3_P12ihipStream_tbPNSt15iterator_traitsISE_E10value_typeEPNSK_ISF_E10value_typeEPSG_NS1_7vsmem_tEENKUlT_SE_SF_SG_E_clIS8_S8_S9_S9_EESD_ST_SE_SF_SG_EUlST_E0_NS1_11comp_targetILNS1_3genE4ELNS1_11target_archE910ELNS1_3gpuE8ELNS1_3repE0EEENS1_38merge_mergepath_config_static_selectorELNS0_4arch9wavefront6targetE0EEEvSF_
	.p2align	8
	.type	_ZN7rocprim17ROCPRIM_400000_NS6detail17trampoline_kernelINS0_14default_configENS1_38merge_sort_block_merge_config_selectorIaNS0_10empty_typeEEEZZNS1_27merge_sort_block_merge_implIS3_PaPS5_jNS1_19radix_merge_compareILb0ELb0EaNS0_19identity_decomposerEEEEE10hipError_tT0_T1_T2_jT3_P12ihipStream_tbPNSt15iterator_traitsISE_E10value_typeEPNSK_ISF_E10value_typeEPSG_NS1_7vsmem_tEENKUlT_SE_SF_SG_E_clIS8_S8_S9_S9_EESD_ST_SE_SF_SG_EUlST_E0_NS1_11comp_targetILNS1_3genE4ELNS1_11target_archE910ELNS1_3gpuE8ELNS1_3repE0EEENS1_38merge_mergepath_config_static_selectorELNS0_4arch9wavefront6targetE0EEEvSF_,@function
_ZN7rocprim17ROCPRIM_400000_NS6detail17trampoline_kernelINS0_14default_configENS1_38merge_sort_block_merge_config_selectorIaNS0_10empty_typeEEEZZNS1_27merge_sort_block_merge_implIS3_PaPS5_jNS1_19radix_merge_compareILb0ELb0EaNS0_19identity_decomposerEEEEE10hipError_tT0_T1_T2_jT3_P12ihipStream_tbPNSt15iterator_traitsISE_E10value_typeEPNSK_ISF_E10value_typeEPSG_NS1_7vsmem_tEENKUlT_SE_SF_SG_E_clIS8_S8_S9_S9_EESD_ST_SE_SF_SG_EUlST_E0_NS1_11comp_targetILNS1_3genE4ELNS1_11target_archE910ELNS1_3gpuE8ELNS1_3repE0EEENS1_38merge_mergepath_config_static_selectorELNS0_4arch9wavefront6targetE0EEEvSF_: ; @_ZN7rocprim17ROCPRIM_400000_NS6detail17trampoline_kernelINS0_14default_configENS1_38merge_sort_block_merge_config_selectorIaNS0_10empty_typeEEEZZNS1_27merge_sort_block_merge_implIS3_PaPS5_jNS1_19radix_merge_compareILb0ELb0EaNS0_19identity_decomposerEEEEE10hipError_tT0_T1_T2_jT3_P12ihipStream_tbPNSt15iterator_traitsISE_E10value_typeEPNSK_ISF_E10value_typeEPSG_NS1_7vsmem_tEENKUlT_SE_SF_SG_E_clIS8_S8_S9_S9_EESD_ST_SE_SF_SG_EUlST_E0_NS1_11comp_targetILNS1_3genE4ELNS1_11target_archE910ELNS1_3gpuE8ELNS1_3repE0EEENS1_38merge_mergepath_config_static_selectorELNS0_4arch9wavefront6targetE0EEEvSF_
; %bb.0:
	.section	.rodata,"a",@progbits
	.p2align	6, 0x0
	.amdhsa_kernel _ZN7rocprim17ROCPRIM_400000_NS6detail17trampoline_kernelINS0_14default_configENS1_38merge_sort_block_merge_config_selectorIaNS0_10empty_typeEEEZZNS1_27merge_sort_block_merge_implIS3_PaPS5_jNS1_19radix_merge_compareILb0ELb0EaNS0_19identity_decomposerEEEEE10hipError_tT0_T1_T2_jT3_P12ihipStream_tbPNSt15iterator_traitsISE_E10value_typeEPNSK_ISF_E10value_typeEPSG_NS1_7vsmem_tEENKUlT_SE_SF_SG_E_clIS8_S8_S9_S9_EESD_ST_SE_SF_SG_EUlST_E0_NS1_11comp_targetILNS1_3genE4ELNS1_11target_archE910ELNS1_3gpuE8ELNS1_3repE0EEENS1_38merge_mergepath_config_static_selectorELNS0_4arch9wavefront6targetE0EEEvSF_
		.amdhsa_group_segment_fixed_size 0
		.amdhsa_private_segment_fixed_size 0
		.amdhsa_kernarg_size 64
		.amdhsa_user_sgpr_count 2
		.amdhsa_user_sgpr_dispatch_ptr 0
		.amdhsa_user_sgpr_queue_ptr 0
		.amdhsa_user_sgpr_kernarg_segment_ptr 1
		.amdhsa_user_sgpr_dispatch_id 0
		.amdhsa_user_sgpr_kernarg_preload_length 0
		.amdhsa_user_sgpr_kernarg_preload_offset 0
		.amdhsa_user_sgpr_private_segment_size 0
		.amdhsa_wavefront_size32 1
		.amdhsa_uses_dynamic_stack 0
		.amdhsa_enable_private_segment 0
		.amdhsa_system_sgpr_workgroup_id_x 1
		.amdhsa_system_sgpr_workgroup_id_y 0
		.amdhsa_system_sgpr_workgroup_id_z 0
		.amdhsa_system_sgpr_workgroup_info 0
		.amdhsa_system_vgpr_workitem_id 0
		.amdhsa_next_free_vgpr 1
		.amdhsa_next_free_sgpr 1
		.amdhsa_named_barrier_count 0
		.amdhsa_reserve_vcc 0
		.amdhsa_float_round_mode_32 0
		.amdhsa_float_round_mode_16_64 0
		.amdhsa_float_denorm_mode_32 3
		.amdhsa_float_denorm_mode_16_64 3
		.amdhsa_fp16_overflow 0
		.amdhsa_memory_ordered 1
		.amdhsa_forward_progress 1
		.amdhsa_inst_pref_size 0
		.amdhsa_round_robin_scheduling 0
		.amdhsa_exception_fp_ieee_invalid_op 0
		.amdhsa_exception_fp_denorm_src 0
		.amdhsa_exception_fp_ieee_div_zero 0
		.amdhsa_exception_fp_ieee_overflow 0
		.amdhsa_exception_fp_ieee_underflow 0
		.amdhsa_exception_fp_ieee_inexact 0
		.amdhsa_exception_int_div_zero 0
	.end_amdhsa_kernel
	.section	.text._ZN7rocprim17ROCPRIM_400000_NS6detail17trampoline_kernelINS0_14default_configENS1_38merge_sort_block_merge_config_selectorIaNS0_10empty_typeEEEZZNS1_27merge_sort_block_merge_implIS3_PaPS5_jNS1_19radix_merge_compareILb0ELb0EaNS0_19identity_decomposerEEEEE10hipError_tT0_T1_T2_jT3_P12ihipStream_tbPNSt15iterator_traitsISE_E10value_typeEPNSK_ISF_E10value_typeEPSG_NS1_7vsmem_tEENKUlT_SE_SF_SG_E_clIS8_S8_S9_S9_EESD_ST_SE_SF_SG_EUlST_E0_NS1_11comp_targetILNS1_3genE4ELNS1_11target_archE910ELNS1_3gpuE8ELNS1_3repE0EEENS1_38merge_mergepath_config_static_selectorELNS0_4arch9wavefront6targetE0EEEvSF_,"axG",@progbits,_ZN7rocprim17ROCPRIM_400000_NS6detail17trampoline_kernelINS0_14default_configENS1_38merge_sort_block_merge_config_selectorIaNS0_10empty_typeEEEZZNS1_27merge_sort_block_merge_implIS3_PaPS5_jNS1_19radix_merge_compareILb0ELb0EaNS0_19identity_decomposerEEEEE10hipError_tT0_T1_T2_jT3_P12ihipStream_tbPNSt15iterator_traitsISE_E10value_typeEPNSK_ISF_E10value_typeEPSG_NS1_7vsmem_tEENKUlT_SE_SF_SG_E_clIS8_S8_S9_S9_EESD_ST_SE_SF_SG_EUlST_E0_NS1_11comp_targetILNS1_3genE4ELNS1_11target_archE910ELNS1_3gpuE8ELNS1_3repE0EEENS1_38merge_mergepath_config_static_selectorELNS0_4arch9wavefront6targetE0EEEvSF_,comdat
.Lfunc_end411:
	.size	_ZN7rocprim17ROCPRIM_400000_NS6detail17trampoline_kernelINS0_14default_configENS1_38merge_sort_block_merge_config_selectorIaNS0_10empty_typeEEEZZNS1_27merge_sort_block_merge_implIS3_PaPS5_jNS1_19radix_merge_compareILb0ELb0EaNS0_19identity_decomposerEEEEE10hipError_tT0_T1_T2_jT3_P12ihipStream_tbPNSt15iterator_traitsISE_E10value_typeEPNSK_ISF_E10value_typeEPSG_NS1_7vsmem_tEENKUlT_SE_SF_SG_E_clIS8_S8_S9_S9_EESD_ST_SE_SF_SG_EUlST_E0_NS1_11comp_targetILNS1_3genE4ELNS1_11target_archE910ELNS1_3gpuE8ELNS1_3repE0EEENS1_38merge_mergepath_config_static_selectorELNS0_4arch9wavefront6targetE0EEEvSF_, .Lfunc_end411-_ZN7rocprim17ROCPRIM_400000_NS6detail17trampoline_kernelINS0_14default_configENS1_38merge_sort_block_merge_config_selectorIaNS0_10empty_typeEEEZZNS1_27merge_sort_block_merge_implIS3_PaPS5_jNS1_19radix_merge_compareILb0ELb0EaNS0_19identity_decomposerEEEEE10hipError_tT0_T1_T2_jT3_P12ihipStream_tbPNSt15iterator_traitsISE_E10value_typeEPNSK_ISF_E10value_typeEPSG_NS1_7vsmem_tEENKUlT_SE_SF_SG_E_clIS8_S8_S9_S9_EESD_ST_SE_SF_SG_EUlST_E0_NS1_11comp_targetILNS1_3genE4ELNS1_11target_archE910ELNS1_3gpuE8ELNS1_3repE0EEENS1_38merge_mergepath_config_static_selectorELNS0_4arch9wavefront6targetE0EEEvSF_
                                        ; -- End function
	.set _ZN7rocprim17ROCPRIM_400000_NS6detail17trampoline_kernelINS0_14default_configENS1_38merge_sort_block_merge_config_selectorIaNS0_10empty_typeEEEZZNS1_27merge_sort_block_merge_implIS3_PaPS5_jNS1_19radix_merge_compareILb0ELb0EaNS0_19identity_decomposerEEEEE10hipError_tT0_T1_T2_jT3_P12ihipStream_tbPNSt15iterator_traitsISE_E10value_typeEPNSK_ISF_E10value_typeEPSG_NS1_7vsmem_tEENKUlT_SE_SF_SG_E_clIS8_S8_S9_S9_EESD_ST_SE_SF_SG_EUlST_E0_NS1_11comp_targetILNS1_3genE4ELNS1_11target_archE910ELNS1_3gpuE8ELNS1_3repE0EEENS1_38merge_mergepath_config_static_selectorELNS0_4arch9wavefront6targetE0EEEvSF_.num_vgpr, 0
	.set _ZN7rocprim17ROCPRIM_400000_NS6detail17trampoline_kernelINS0_14default_configENS1_38merge_sort_block_merge_config_selectorIaNS0_10empty_typeEEEZZNS1_27merge_sort_block_merge_implIS3_PaPS5_jNS1_19radix_merge_compareILb0ELb0EaNS0_19identity_decomposerEEEEE10hipError_tT0_T1_T2_jT3_P12ihipStream_tbPNSt15iterator_traitsISE_E10value_typeEPNSK_ISF_E10value_typeEPSG_NS1_7vsmem_tEENKUlT_SE_SF_SG_E_clIS8_S8_S9_S9_EESD_ST_SE_SF_SG_EUlST_E0_NS1_11comp_targetILNS1_3genE4ELNS1_11target_archE910ELNS1_3gpuE8ELNS1_3repE0EEENS1_38merge_mergepath_config_static_selectorELNS0_4arch9wavefront6targetE0EEEvSF_.num_agpr, 0
	.set _ZN7rocprim17ROCPRIM_400000_NS6detail17trampoline_kernelINS0_14default_configENS1_38merge_sort_block_merge_config_selectorIaNS0_10empty_typeEEEZZNS1_27merge_sort_block_merge_implIS3_PaPS5_jNS1_19radix_merge_compareILb0ELb0EaNS0_19identity_decomposerEEEEE10hipError_tT0_T1_T2_jT3_P12ihipStream_tbPNSt15iterator_traitsISE_E10value_typeEPNSK_ISF_E10value_typeEPSG_NS1_7vsmem_tEENKUlT_SE_SF_SG_E_clIS8_S8_S9_S9_EESD_ST_SE_SF_SG_EUlST_E0_NS1_11comp_targetILNS1_3genE4ELNS1_11target_archE910ELNS1_3gpuE8ELNS1_3repE0EEENS1_38merge_mergepath_config_static_selectorELNS0_4arch9wavefront6targetE0EEEvSF_.numbered_sgpr, 0
	.set _ZN7rocprim17ROCPRIM_400000_NS6detail17trampoline_kernelINS0_14default_configENS1_38merge_sort_block_merge_config_selectorIaNS0_10empty_typeEEEZZNS1_27merge_sort_block_merge_implIS3_PaPS5_jNS1_19radix_merge_compareILb0ELb0EaNS0_19identity_decomposerEEEEE10hipError_tT0_T1_T2_jT3_P12ihipStream_tbPNSt15iterator_traitsISE_E10value_typeEPNSK_ISF_E10value_typeEPSG_NS1_7vsmem_tEENKUlT_SE_SF_SG_E_clIS8_S8_S9_S9_EESD_ST_SE_SF_SG_EUlST_E0_NS1_11comp_targetILNS1_3genE4ELNS1_11target_archE910ELNS1_3gpuE8ELNS1_3repE0EEENS1_38merge_mergepath_config_static_selectorELNS0_4arch9wavefront6targetE0EEEvSF_.num_named_barrier, 0
	.set _ZN7rocprim17ROCPRIM_400000_NS6detail17trampoline_kernelINS0_14default_configENS1_38merge_sort_block_merge_config_selectorIaNS0_10empty_typeEEEZZNS1_27merge_sort_block_merge_implIS3_PaPS5_jNS1_19radix_merge_compareILb0ELb0EaNS0_19identity_decomposerEEEEE10hipError_tT0_T1_T2_jT3_P12ihipStream_tbPNSt15iterator_traitsISE_E10value_typeEPNSK_ISF_E10value_typeEPSG_NS1_7vsmem_tEENKUlT_SE_SF_SG_E_clIS8_S8_S9_S9_EESD_ST_SE_SF_SG_EUlST_E0_NS1_11comp_targetILNS1_3genE4ELNS1_11target_archE910ELNS1_3gpuE8ELNS1_3repE0EEENS1_38merge_mergepath_config_static_selectorELNS0_4arch9wavefront6targetE0EEEvSF_.private_seg_size, 0
	.set _ZN7rocprim17ROCPRIM_400000_NS6detail17trampoline_kernelINS0_14default_configENS1_38merge_sort_block_merge_config_selectorIaNS0_10empty_typeEEEZZNS1_27merge_sort_block_merge_implIS3_PaPS5_jNS1_19radix_merge_compareILb0ELb0EaNS0_19identity_decomposerEEEEE10hipError_tT0_T1_T2_jT3_P12ihipStream_tbPNSt15iterator_traitsISE_E10value_typeEPNSK_ISF_E10value_typeEPSG_NS1_7vsmem_tEENKUlT_SE_SF_SG_E_clIS8_S8_S9_S9_EESD_ST_SE_SF_SG_EUlST_E0_NS1_11comp_targetILNS1_3genE4ELNS1_11target_archE910ELNS1_3gpuE8ELNS1_3repE0EEENS1_38merge_mergepath_config_static_selectorELNS0_4arch9wavefront6targetE0EEEvSF_.uses_vcc, 0
	.set _ZN7rocprim17ROCPRIM_400000_NS6detail17trampoline_kernelINS0_14default_configENS1_38merge_sort_block_merge_config_selectorIaNS0_10empty_typeEEEZZNS1_27merge_sort_block_merge_implIS3_PaPS5_jNS1_19radix_merge_compareILb0ELb0EaNS0_19identity_decomposerEEEEE10hipError_tT0_T1_T2_jT3_P12ihipStream_tbPNSt15iterator_traitsISE_E10value_typeEPNSK_ISF_E10value_typeEPSG_NS1_7vsmem_tEENKUlT_SE_SF_SG_E_clIS8_S8_S9_S9_EESD_ST_SE_SF_SG_EUlST_E0_NS1_11comp_targetILNS1_3genE4ELNS1_11target_archE910ELNS1_3gpuE8ELNS1_3repE0EEENS1_38merge_mergepath_config_static_selectorELNS0_4arch9wavefront6targetE0EEEvSF_.uses_flat_scratch, 0
	.set _ZN7rocprim17ROCPRIM_400000_NS6detail17trampoline_kernelINS0_14default_configENS1_38merge_sort_block_merge_config_selectorIaNS0_10empty_typeEEEZZNS1_27merge_sort_block_merge_implIS3_PaPS5_jNS1_19radix_merge_compareILb0ELb0EaNS0_19identity_decomposerEEEEE10hipError_tT0_T1_T2_jT3_P12ihipStream_tbPNSt15iterator_traitsISE_E10value_typeEPNSK_ISF_E10value_typeEPSG_NS1_7vsmem_tEENKUlT_SE_SF_SG_E_clIS8_S8_S9_S9_EESD_ST_SE_SF_SG_EUlST_E0_NS1_11comp_targetILNS1_3genE4ELNS1_11target_archE910ELNS1_3gpuE8ELNS1_3repE0EEENS1_38merge_mergepath_config_static_selectorELNS0_4arch9wavefront6targetE0EEEvSF_.has_dyn_sized_stack, 0
	.set _ZN7rocprim17ROCPRIM_400000_NS6detail17trampoline_kernelINS0_14default_configENS1_38merge_sort_block_merge_config_selectorIaNS0_10empty_typeEEEZZNS1_27merge_sort_block_merge_implIS3_PaPS5_jNS1_19radix_merge_compareILb0ELb0EaNS0_19identity_decomposerEEEEE10hipError_tT0_T1_T2_jT3_P12ihipStream_tbPNSt15iterator_traitsISE_E10value_typeEPNSK_ISF_E10value_typeEPSG_NS1_7vsmem_tEENKUlT_SE_SF_SG_E_clIS8_S8_S9_S9_EESD_ST_SE_SF_SG_EUlST_E0_NS1_11comp_targetILNS1_3genE4ELNS1_11target_archE910ELNS1_3gpuE8ELNS1_3repE0EEENS1_38merge_mergepath_config_static_selectorELNS0_4arch9wavefront6targetE0EEEvSF_.has_recursion, 0
	.set _ZN7rocprim17ROCPRIM_400000_NS6detail17trampoline_kernelINS0_14default_configENS1_38merge_sort_block_merge_config_selectorIaNS0_10empty_typeEEEZZNS1_27merge_sort_block_merge_implIS3_PaPS5_jNS1_19radix_merge_compareILb0ELb0EaNS0_19identity_decomposerEEEEE10hipError_tT0_T1_T2_jT3_P12ihipStream_tbPNSt15iterator_traitsISE_E10value_typeEPNSK_ISF_E10value_typeEPSG_NS1_7vsmem_tEENKUlT_SE_SF_SG_E_clIS8_S8_S9_S9_EESD_ST_SE_SF_SG_EUlST_E0_NS1_11comp_targetILNS1_3genE4ELNS1_11target_archE910ELNS1_3gpuE8ELNS1_3repE0EEENS1_38merge_mergepath_config_static_selectorELNS0_4arch9wavefront6targetE0EEEvSF_.has_indirect_call, 0
	.section	.AMDGPU.csdata,"",@progbits
; Kernel info:
; codeLenInByte = 0
; TotalNumSgprs: 0
; NumVgprs: 0
; ScratchSize: 0
; MemoryBound: 0
; FloatMode: 240
; IeeeMode: 1
; LDSByteSize: 0 bytes/workgroup (compile time only)
; SGPRBlocks: 0
; VGPRBlocks: 0
; NumSGPRsForWavesPerEU: 1
; NumVGPRsForWavesPerEU: 1
; NamedBarCnt: 0
; Occupancy: 16
; WaveLimiterHint : 0
; COMPUTE_PGM_RSRC2:SCRATCH_EN: 0
; COMPUTE_PGM_RSRC2:USER_SGPR: 2
; COMPUTE_PGM_RSRC2:TRAP_HANDLER: 0
; COMPUTE_PGM_RSRC2:TGID_X_EN: 1
; COMPUTE_PGM_RSRC2:TGID_Y_EN: 0
; COMPUTE_PGM_RSRC2:TGID_Z_EN: 0
; COMPUTE_PGM_RSRC2:TIDIG_COMP_CNT: 0
	.section	.text._ZN7rocprim17ROCPRIM_400000_NS6detail17trampoline_kernelINS0_14default_configENS1_38merge_sort_block_merge_config_selectorIaNS0_10empty_typeEEEZZNS1_27merge_sort_block_merge_implIS3_PaPS5_jNS1_19radix_merge_compareILb0ELb0EaNS0_19identity_decomposerEEEEE10hipError_tT0_T1_T2_jT3_P12ihipStream_tbPNSt15iterator_traitsISE_E10value_typeEPNSK_ISF_E10value_typeEPSG_NS1_7vsmem_tEENKUlT_SE_SF_SG_E_clIS8_S8_S9_S9_EESD_ST_SE_SF_SG_EUlST_E0_NS1_11comp_targetILNS1_3genE3ELNS1_11target_archE908ELNS1_3gpuE7ELNS1_3repE0EEENS1_38merge_mergepath_config_static_selectorELNS0_4arch9wavefront6targetE0EEEvSF_,"axG",@progbits,_ZN7rocprim17ROCPRIM_400000_NS6detail17trampoline_kernelINS0_14default_configENS1_38merge_sort_block_merge_config_selectorIaNS0_10empty_typeEEEZZNS1_27merge_sort_block_merge_implIS3_PaPS5_jNS1_19radix_merge_compareILb0ELb0EaNS0_19identity_decomposerEEEEE10hipError_tT0_T1_T2_jT3_P12ihipStream_tbPNSt15iterator_traitsISE_E10value_typeEPNSK_ISF_E10value_typeEPSG_NS1_7vsmem_tEENKUlT_SE_SF_SG_E_clIS8_S8_S9_S9_EESD_ST_SE_SF_SG_EUlST_E0_NS1_11comp_targetILNS1_3genE3ELNS1_11target_archE908ELNS1_3gpuE7ELNS1_3repE0EEENS1_38merge_mergepath_config_static_selectorELNS0_4arch9wavefront6targetE0EEEvSF_,comdat
	.protected	_ZN7rocprim17ROCPRIM_400000_NS6detail17trampoline_kernelINS0_14default_configENS1_38merge_sort_block_merge_config_selectorIaNS0_10empty_typeEEEZZNS1_27merge_sort_block_merge_implIS3_PaPS5_jNS1_19radix_merge_compareILb0ELb0EaNS0_19identity_decomposerEEEEE10hipError_tT0_T1_T2_jT3_P12ihipStream_tbPNSt15iterator_traitsISE_E10value_typeEPNSK_ISF_E10value_typeEPSG_NS1_7vsmem_tEENKUlT_SE_SF_SG_E_clIS8_S8_S9_S9_EESD_ST_SE_SF_SG_EUlST_E0_NS1_11comp_targetILNS1_3genE3ELNS1_11target_archE908ELNS1_3gpuE7ELNS1_3repE0EEENS1_38merge_mergepath_config_static_selectorELNS0_4arch9wavefront6targetE0EEEvSF_ ; -- Begin function _ZN7rocprim17ROCPRIM_400000_NS6detail17trampoline_kernelINS0_14default_configENS1_38merge_sort_block_merge_config_selectorIaNS0_10empty_typeEEEZZNS1_27merge_sort_block_merge_implIS3_PaPS5_jNS1_19radix_merge_compareILb0ELb0EaNS0_19identity_decomposerEEEEE10hipError_tT0_T1_T2_jT3_P12ihipStream_tbPNSt15iterator_traitsISE_E10value_typeEPNSK_ISF_E10value_typeEPSG_NS1_7vsmem_tEENKUlT_SE_SF_SG_E_clIS8_S8_S9_S9_EESD_ST_SE_SF_SG_EUlST_E0_NS1_11comp_targetILNS1_3genE3ELNS1_11target_archE908ELNS1_3gpuE7ELNS1_3repE0EEENS1_38merge_mergepath_config_static_selectorELNS0_4arch9wavefront6targetE0EEEvSF_
	.globl	_ZN7rocprim17ROCPRIM_400000_NS6detail17trampoline_kernelINS0_14default_configENS1_38merge_sort_block_merge_config_selectorIaNS0_10empty_typeEEEZZNS1_27merge_sort_block_merge_implIS3_PaPS5_jNS1_19radix_merge_compareILb0ELb0EaNS0_19identity_decomposerEEEEE10hipError_tT0_T1_T2_jT3_P12ihipStream_tbPNSt15iterator_traitsISE_E10value_typeEPNSK_ISF_E10value_typeEPSG_NS1_7vsmem_tEENKUlT_SE_SF_SG_E_clIS8_S8_S9_S9_EESD_ST_SE_SF_SG_EUlST_E0_NS1_11comp_targetILNS1_3genE3ELNS1_11target_archE908ELNS1_3gpuE7ELNS1_3repE0EEENS1_38merge_mergepath_config_static_selectorELNS0_4arch9wavefront6targetE0EEEvSF_
	.p2align	8
	.type	_ZN7rocprim17ROCPRIM_400000_NS6detail17trampoline_kernelINS0_14default_configENS1_38merge_sort_block_merge_config_selectorIaNS0_10empty_typeEEEZZNS1_27merge_sort_block_merge_implIS3_PaPS5_jNS1_19radix_merge_compareILb0ELb0EaNS0_19identity_decomposerEEEEE10hipError_tT0_T1_T2_jT3_P12ihipStream_tbPNSt15iterator_traitsISE_E10value_typeEPNSK_ISF_E10value_typeEPSG_NS1_7vsmem_tEENKUlT_SE_SF_SG_E_clIS8_S8_S9_S9_EESD_ST_SE_SF_SG_EUlST_E0_NS1_11comp_targetILNS1_3genE3ELNS1_11target_archE908ELNS1_3gpuE7ELNS1_3repE0EEENS1_38merge_mergepath_config_static_selectorELNS0_4arch9wavefront6targetE0EEEvSF_,@function
_ZN7rocprim17ROCPRIM_400000_NS6detail17trampoline_kernelINS0_14default_configENS1_38merge_sort_block_merge_config_selectorIaNS0_10empty_typeEEEZZNS1_27merge_sort_block_merge_implIS3_PaPS5_jNS1_19radix_merge_compareILb0ELb0EaNS0_19identity_decomposerEEEEE10hipError_tT0_T1_T2_jT3_P12ihipStream_tbPNSt15iterator_traitsISE_E10value_typeEPNSK_ISF_E10value_typeEPSG_NS1_7vsmem_tEENKUlT_SE_SF_SG_E_clIS8_S8_S9_S9_EESD_ST_SE_SF_SG_EUlST_E0_NS1_11comp_targetILNS1_3genE3ELNS1_11target_archE908ELNS1_3gpuE7ELNS1_3repE0EEENS1_38merge_mergepath_config_static_selectorELNS0_4arch9wavefront6targetE0EEEvSF_: ; @_ZN7rocprim17ROCPRIM_400000_NS6detail17trampoline_kernelINS0_14default_configENS1_38merge_sort_block_merge_config_selectorIaNS0_10empty_typeEEEZZNS1_27merge_sort_block_merge_implIS3_PaPS5_jNS1_19radix_merge_compareILb0ELb0EaNS0_19identity_decomposerEEEEE10hipError_tT0_T1_T2_jT3_P12ihipStream_tbPNSt15iterator_traitsISE_E10value_typeEPNSK_ISF_E10value_typeEPSG_NS1_7vsmem_tEENKUlT_SE_SF_SG_E_clIS8_S8_S9_S9_EESD_ST_SE_SF_SG_EUlST_E0_NS1_11comp_targetILNS1_3genE3ELNS1_11target_archE908ELNS1_3gpuE7ELNS1_3repE0EEENS1_38merge_mergepath_config_static_selectorELNS0_4arch9wavefront6targetE0EEEvSF_
; %bb.0:
	.section	.rodata,"a",@progbits
	.p2align	6, 0x0
	.amdhsa_kernel _ZN7rocprim17ROCPRIM_400000_NS6detail17trampoline_kernelINS0_14default_configENS1_38merge_sort_block_merge_config_selectorIaNS0_10empty_typeEEEZZNS1_27merge_sort_block_merge_implIS3_PaPS5_jNS1_19radix_merge_compareILb0ELb0EaNS0_19identity_decomposerEEEEE10hipError_tT0_T1_T2_jT3_P12ihipStream_tbPNSt15iterator_traitsISE_E10value_typeEPNSK_ISF_E10value_typeEPSG_NS1_7vsmem_tEENKUlT_SE_SF_SG_E_clIS8_S8_S9_S9_EESD_ST_SE_SF_SG_EUlST_E0_NS1_11comp_targetILNS1_3genE3ELNS1_11target_archE908ELNS1_3gpuE7ELNS1_3repE0EEENS1_38merge_mergepath_config_static_selectorELNS0_4arch9wavefront6targetE0EEEvSF_
		.amdhsa_group_segment_fixed_size 0
		.amdhsa_private_segment_fixed_size 0
		.amdhsa_kernarg_size 64
		.amdhsa_user_sgpr_count 2
		.amdhsa_user_sgpr_dispatch_ptr 0
		.amdhsa_user_sgpr_queue_ptr 0
		.amdhsa_user_sgpr_kernarg_segment_ptr 1
		.amdhsa_user_sgpr_dispatch_id 0
		.amdhsa_user_sgpr_kernarg_preload_length 0
		.amdhsa_user_sgpr_kernarg_preload_offset 0
		.amdhsa_user_sgpr_private_segment_size 0
		.amdhsa_wavefront_size32 1
		.amdhsa_uses_dynamic_stack 0
		.amdhsa_enable_private_segment 0
		.amdhsa_system_sgpr_workgroup_id_x 1
		.amdhsa_system_sgpr_workgroup_id_y 0
		.amdhsa_system_sgpr_workgroup_id_z 0
		.amdhsa_system_sgpr_workgroup_info 0
		.amdhsa_system_vgpr_workitem_id 0
		.amdhsa_next_free_vgpr 1
		.amdhsa_next_free_sgpr 1
		.amdhsa_named_barrier_count 0
		.amdhsa_reserve_vcc 0
		.amdhsa_float_round_mode_32 0
		.amdhsa_float_round_mode_16_64 0
		.amdhsa_float_denorm_mode_32 3
		.amdhsa_float_denorm_mode_16_64 3
		.amdhsa_fp16_overflow 0
		.amdhsa_memory_ordered 1
		.amdhsa_forward_progress 1
		.amdhsa_inst_pref_size 0
		.amdhsa_round_robin_scheduling 0
		.amdhsa_exception_fp_ieee_invalid_op 0
		.amdhsa_exception_fp_denorm_src 0
		.amdhsa_exception_fp_ieee_div_zero 0
		.amdhsa_exception_fp_ieee_overflow 0
		.amdhsa_exception_fp_ieee_underflow 0
		.amdhsa_exception_fp_ieee_inexact 0
		.amdhsa_exception_int_div_zero 0
	.end_amdhsa_kernel
	.section	.text._ZN7rocprim17ROCPRIM_400000_NS6detail17trampoline_kernelINS0_14default_configENS1_38merge_sort_block_merge_config_selectorIaNS0_10empty_typeEEEZZNS1_27merge_sort_block_merge_implIS3_PaPS5_jNS1_19radix_merge_compareILb0ELb0EaNS0_19identity_decomposerEEEEE10hipError_tT0_T1_T2_jT3_P12ihipStream_tbPNSt15iterator_traitsISE_E10value_typeEPNSK_ISF_E10value_typeEPSG_NS1_7vsmem_tEENKUlT_SE_SF_SG_E_clIS8_S8_S9_S9_EESD_ST_SE_SF_SG_EUlST_E0_NS1_11comp_targetILNS1_3genE3ELNS1_11target_archE908ELNS1_3gpuE7ELNS1_3repE0EEENS1_38merge_mergepath_config_static_selectorELNS0_4arch9wavefront6targetE0EEEvSF_,"axG",@progbits,_ZN7rocprim17ROCPRIM_400000_NS6detail17trampoline_kernelINS0_14default_configENS1_38merge_sort_block_merge_config_selectorIaNS0_10empty_typeEEEZZNS1_27merge_sort_block_merge_implIS3_PaPS5_jNS1_19radix_merge_compareILb0ELb0EaNS0_19identity_decomposerEEEEE10hipError_tT0_T1_T2_jT3_P12ihipStream_tbPNSt15iterator_traitsISE_E10value_typeEPNSK_ISF_E10value_typeEPSG_NS1_7vsmem_tEENKUlT_SE_SF_SG_E_clIS8_S8_S9_S9_EESD_ST_SE_SF_SG_EUlST_E0_NS1_11comp_targetILNS1_3genE3ELNS1_11target_archE908ELNS1_3gpuE7ELNS1_3repE0EEENS1_38merge_mergepath_config_static_selectorELNS0_4arch9wavefront6targetE0EEEvSF_,comdat
.Lfunc_end412:
	.size	_ZN7rocprim17ROCPRIM_400000_NS6detail17trampoline_kernelINS0_14default_configENS1_38merge_sort_block_merge_config_selectorIaNS0_10empty_typeEEEZZNS1_27merge_sort_block_merge_implIS3_PaPS5_jNS1_19radix_merge_compareILb0ELb0EaNS0_19identity_decomposerEEEEE10hipError_tT0_T1_T2_jT3_P12ihipStream_tbPNSt15iterator_traitsISE_E10value_typeEPNSK_ISF_E10value_typeEPSG_NS1_7vsmem_tEENKUlT_SE_SF_SG_E_clIS8_S8_S9_S9_EESD_ST_SE_SF_SG_EUlST_E0_NS1_11comp_targetILNS1_3genE3ELNS1_11target_archE908ELNS1_3gpuE7ELNS1_3repE0EEENS1_38merge_mergepath_config_static_selectorELNS0_4arch9wavefront6targetE0EEEvSF_, .Lfunc_end412-_ZN7rocprim17ROCPRIM_400000_NS6detail17trampoline_kernelINS0_14default_configENS1_38merge_sort_block_merge_config_selectorIaNS0_10empty_typeEEEZZNS1_27merge_sort_block_merge_implIS3_PaPS5_jNS1_19radix_merge_compareILb0ELb0EaNS0_19identity_decomposerEEEEE10hipError_tT0_T1_T2_jT3_P12ihipStream_tbPNSt15iterator_traitsISE_E10value_typeEPNSK_ISF_E10value_typeEPSG_NS1_7vsmem_tEENKUlT_SE_SF_SG_E_clIS8_S8_S9_S9_EESD_ST_SE_SF_SG_EUlST_E0_NS1_11comp_targetILNS1_3genE3ELNS1_11target_archE908ELNS1_3gpuE7ELNS1_3repE0EEENS1_38merge_mergepath_config_static_selectorELNS0_4arch9wavefront6targetE0EEEvSF_
                                        ; -- End function
	.set _ZN7rocprim17ROCPRIM_400000_NS6detail17trampoline_kernelINS0_14default_configENS1_38merge_sort_block_merge_config_selectorIaNS0_10empty_typeEEEZZNS1_27merge_sort_block_merge_implIS3_PaPS5_jNS1_19radix_merge_compareILb0ELb0EaNS0_19identity_decomposerEEEEE10hipError_tT0_T1_T2_jT3_P12ihipStream_tbPNSt15iterator_traitsISE_E10value_typeEPNSK_ISF_E10value_typeEPSG_NS1_7vsmem_tEENKUlT_SE_SF_SG_E_clIS8_S8_S9_S9_EESD_ST_SE_SF_SG_EUlST_E0_NS1_11comp_targetILNS1_3genE3ELNS1_11target_archE908ELNS1_3gpuE7ELNS1_3repE0EEENS1_38merge_mergepath_config_static_selectorELNS0_4arch9wavefront6targetE0EEEvSF_.num_vgpr, 0
	.set _ZN7rocprim17ROCPRIM_400000_NS6detail17trampoline_kernelINS0_14default_configENS1_38merge_sort_block_merge_config_selectorIaNS0_10empty_typeEEEZZNS1_27merge_sort_block_merge_implIS3_PaPS5_jNS1_19radix_merge_compareILb0ELb0EaNS0_19identity_decomposerEEEEE10hipError_tT0_T1_T2_jT3_P12ihipStream_tbPNSt15iterator_traitsISE_E10value_typeEPNSK_ISF_E10value_typeEPSG_NS1_7vsmem_tEENKUlT_SE_SF_SG_E_clIS8_S8_S9_S9_EESD_ST_SE_SF_SG_EUlST_E0_NS1_11comp_targetILNS1_3genE3ELNS1_11target_archE908ELNS1_3gpuE7ELNS1_3repE0EEENS1_38merge_mergepath_config_static_selectorELNS0_4arch9wavefront6targetE0EEEvSF_.num_agpr, 0
	.set _ZN7rocprim17ROCPRIM_400000_NS6detail17trampoline_kernelINS0_14default_configENS1_38merge_sort_block_merge_config_selectorIaNS0_10empty_typeEEEZZNS1_27merge_sort_block_merge_implIS3_PaPS5_jNS1_19radix_merge_compareILb0ELb0EaNS0_19identity_decomposerEEEEE10hipError_tT0_T1_T2_jT3_P12ihipStream_tbPNSt15iterator_traitsISE_E10value_typeEPNSK_ISF_E10value_typeEPSG_NS1_7vsmem_tEENKUlT_SE_SF_SG_E_clIS8_S8_S9_S9_EESD_ST_SE_SF_SG_EUlST_E0_NS1_11comp_targetILNS1_3genE3ELNS1_11target_archE908ELNS1_3gpuE7ELNS1_3repE0EEENS1_38merge_mergepath_config_static_selectorELNS0_4arch9wavefront6targetE0EEEvSF_.numbered_sgpr, 0
	.set _ZN7rocprim17ROCPRIM_400000_NS6detail17trampoline_kernelINS0_14default_configENS1_38merge_sort_block_merge_config_selectorIaNS0_10empty_typeEEEZZNS1_27merge_sort_block_merge_implIS3_PaPS5_jNS1_19radix_merge_compareILb0ELb0EaNS0_19identity_decomposerEEEEE10hipError_tT0_T1_T2_jT3_P12ihipStream_tbPNSt15iterator_traitsISE_E10value_typeEPNSK_ISF_E10value_typeEPSG_NS1_7vsmem_tEENKUlT_SE_SF_SG_E_clIS8_S8_S9_S9_EESD_ST_SE_SF_SG_EUlST_E0_NS1_11comp_targetILNS1_3genE3ELNS1_11target_archE908ELNS1_3gpuE7ELNS1_3repE0EEENS1_38merge_mergepath_config_static_selectorELNS0_4arch9wavefront6targetE0EEEvSF_.num_named_barrier, 0
	.set _ZN7rocprim17ROCPRIM_400000_NS6detail17trampoline_kernelINS0_14default_configENS1_38merge_sort_block_merge_config_selectorIaNS0_10empty_typeEEEZZNS1_27merge_sort_block_merge_implIS3_PaPS5_jNS1_19radix_merge_compareILb0ELb0EaNS0_19identity_decomposerEEEEE10hipError_tT0_T1_T2_jT3_P12ihipStream_tbPNSt15iterator_traitsISE_E10value_typeEPNSK_ISF_E10value_typeEPSG_NS1_7vsmem_tEENKUlT_SE_SF_SG_E_clIS8_S8_S9_S9_EESD_ST_SE_SF_SG_EUlST_E0_NS1_11comp_targetILNS1_3genE3ELNS1_11target_archE908ELNS1_3gpuE7ELNS1_3repE0EEENS1_38merge_mergepath_config_static_selectorELNS0_4arch9wavefront6targetE0EEEvSF_.private_seg_size, 0
	.set _ZN7rocprim17ROCPRIM_400000_NS6detail17trampoline_kernelINS0_14default_configENS1_38merge_sort_block_merge_config_selectorIaNS0_10empty_typeEEEZZNS1_27merge_sort_block_merge_implIS3_PaPS5_jNS1_19radix_merge_compareILb0ELb0EaNS0_19identity_decomposerEEEEE10hipError_tT0_T1_T2_jT3_P12ihipStream_tbPNSt15iterator_traitsISE_E10value_typeEPNSK_ISF_E10value_typeEPSG_NS1_7vsmem_tEENKUlT_SE_SF_SG_E_clIS8_S8_S9_S9_EESD_ST_SE_SF_SG_EUlST_E0_NS1_11comp_targetILNS1_3genE3ELNS1_11target_archE908ELNS1_3gpuE7ELNS1_3repE0EEENS1_38merge_mergepath_config_static_selectorELNS0_4arch9wavefront6targetE0EEEvSF_.uses_vcc, 0
	.set _ZN7rocprim17ROCPRIM_400000_NS6detail17trampoline_kernelINS0_14default_configENS1_38merge_sort_block_merge_config_selectorIaNS0_10empty_typeEEEZZNS1_27merge_sort_block_merge_implIS3_PaPS5_jNS1_19radix_merge_compareILb0ELb0EaNS0_19identity_decomposerEEEEE10hipError_tT0_T1_T2_jT3_P12ihipStream_tbPNSt15iterator_traitsISE_E10value_typeEPNSK_ISF_E10value_typeEPSG_NS1_7vsmem_tEENKUlT_SE_SF_SG_E_clIS8_S8_S9_S9_EESD_ST_SE_SF_SG_EUlST_E0_NS1_11comp_targetILNS1_3genE3ELNS1_11target_archE908ELNS1_3gpuE7ELNS1_3repE0EEENS1_38merge_mergepath_config_static_selectorELNS0_4arch9wavefront6targetE0EEEvSF_.uses_flat_scratch, 0
	.set _ZN7rocprim17ROCPRIM_400000_NS6detail17trampoline_kernelINS0_14default_configENS1_38merge_sort_block_merge_config_selectorIaNS0_10empty_typeEEEZZNS1_27merge_sort_block_merge_implIS3_PaPS5_jNS1_19radix_merge_compareILb0ELb0EaNS0_19identity_decomposerEEEEE10hipError_tT0_T1_T2_jT3_P12ihipStream_tbPNSt15iterator_traitsISE_E10value_typeEPNSK_ISF_E10value_typeEPSG_NS1_7vsmem_tEENKUlT_SE_SF_SG_E_clIS8_S8_S9_S9_EESD_ST_SE_SF_SG_EUlST_E0_NS1_11comp_targetILNS1_3genE3ELNS1_11target_archE908ELNS1_3gpuE7ELNS1_3repE0EEENS1_38merge_mergepath_config_static_selectorELNS0_4arch9wavefront6targetE0EEEvSF_.has_dyn_sized_stack, 0
	.set _ZN7rocprim17ROCPRIM_400000_NS6detail17trampoline_kernelINS0_14default_configENS1_38merge_sort_block_merge_config_selectorIaNS0_10empty_typeEEEZZNS1_27merge_sort_block_merge_implIS3_PaPS5_jNS1_19radix_merge_compareILb0ELb0EaNS0_19identity_decomposerEEEEE10hipError_tT0_T1_T2_jT3_P12ihipStream_tbPNSt15iterator_traitsISE_E10value_typeEPNSK_ISF_E10value_typeEPSG_NS1_7vsmem_tEENKUlT_SE_SF_SG_E_clIS8_S8_S9_S9_EESD_ST_SE_SF_SG_EUlST_E0_NS1_11comp_targetILNS1_3genE3ELNS1_11target_archE908ELNS1_3gpuE7ELNS1_3repE0EEENS1_38merge_mergepath_config_static_selectorELNS0_4arch9wavefront6targetE0EEEvSF_.has_recursion, 0
	.set _ZN7rocprim17ROCPRIM_400000_NS6detail17trampoline_kernelINS0_14default_configENS1_38merge_sort_block_merge_config_selectorIaNS0_10empty_typeEEEZZNS1_27merge_sort_block_merge_implIS3_PaPS5_jNS1_19radix_merge_compareILb0ELb0EaNS0_19identity_decomposerEEEEE10hipError_tT0_T1_T2_jT3_P12ihipStream_tbPNSt15iterator_traitsISE_E10value_typeEPNSK_ISF_E10value_typeEPSG_NS1_7vsmem_tEENKUlT_SE_SF_SG_E_clIS8_S8_S9_S9_EESD_ST_SE_SF_SG_EUlST_E0_NS1_11comp_targetILNS1_3genE3ELNS1_11target_archE908ELNS1_3gpuE7ELNS1_3repE0EEENS1_38merge_mergepath_config_static_selectorELNS0_4arch9wavefront6targetE0EEEvSF_.has_indirect_call, 0
	.section	.AMDGPU.csdata,"",@progbits
; Kernel info:
; codeLenInByte = 0
; TotalNumSgprs: 0
; NumVgprs: 0
; ScratchSize: 0
; MemoryBound: 0
; FloatMode: 240
; IeeeMode: 1
; LDSByteSize: 0 bytes/workgroup (compile time only)
; SGPRBlocks: 0
; VGPRBlocks: 0
; NumSGPRsForWavesPerEU: 1
; NumVGPRsForWavesPerEU: 1
; NamedBarCnt: 0
; Occupancy: 16
; WaveLimiterHint : 0
; COMPUTE_PGM_RSRC2:SCRATCH_EN: 0
; COMPUTE_PGM_RSRC2:USER_SGPR: 2
; COMPUTE_PGM_RSRC2:TRAP_HANDLER: 0
; COMPUTE_PGM_RSRC2:TGID_X_EN: 1
; COMPUTE_PGM_RSRC2:TGID_Y_EN: 0
; COMPUTE_PGM_RSRC2:TGID_Z_EN: 0
; COMPUTE_PGM_RSRC2:TIDIG_COMP_CNT: 0
	.section	.text._ZN7rocprim17ROCPRIM_400000_NS6detail17trampoline_kernelINS0_14default_configENS1_38merge_sort_block_merge_config_selectorIaNS0_10empty_typeEEEZZNS1_27merge_sort_block_merge_implIS3_PaPS5_jNS1_19radix_merge_compareILb0ELb0EaNS0_19identity_decomposerEEEEE10hipError_tT0_T1_T2_jT3_P12ihipStream_tbPNSt15iterator_traitsISE_E10value_typeEPNSK_ISF_E10value_typeEPSG_NS1_7vsmem_tEENKUlT_SE_SF_SG_E_clIS8_S8_S9_S9_EESD_ST_SE_SF_SG_EUlST_E0_NS1_11comp_targetILNS1_3genE2ELNS1_11target_archE906ELNS1_3gpuE6ELNS1_3repE0EEENS1_38merge_mergepath_config_static_selectorELNS0_4arch9wavefront6targetE0EEEvSF_,"axG",@progbits,_ZN7rocprim17ROCPRIM_400000_NS6detail17trampoline_kernelINS0_14default_configENS1_38merge_sort_block_merge_config_selectorIaNS0_10empty_typeEEEZZNS1_27merge_sort_block_merge_implIS3_PaPS5_jNS1_19radix_merge_compareILb0ELb0EaNS0_19identity_decomposerEEEEE10hipError_tT0_T1_T2_jT3_P12ihipStream_tbPNSt15iterator_traitsISE_E10value_typeEPNSK_ISF_E10value_typeEPSG_NS1_7vsmem_tEENKUlT_SE_SF_SG_E_clIS8_S8_S9_S9_EESD_ST_SE_SF_SG_EUlST_E0_NS1_11comp_targetILNS1_3genE2ELNS1_11target_archE906ELNS1_3gpuE6ELNS1_3repE0EEENS1_38merge_mergepath_config_static_selectorELNS0_4arch9wavefront6targetE0EEEvSF_,comdat
	.protected	_ZN7rocprim17ROCPRIM_400000_NS6detail17trampoline_kernelINS0_14default_configENS1_38merge_sort_block_merge_config_selectorIaNS0_10empty_typeEEEZZNS1_27merge_sort_block_merge_implIS3_PaPS5_jNS1_19radix_merge_compareILb0ELb0EaNS0_19identity_decomposerEEEEE10hipError_tT0_T1_T2_jT3_P12ihipStream_tbPNSt15iterator_traitsISE_E10value_typeEPNSK_ISF_E10value_typeEPSG_NS1_7vsmem_tEENKUlT_SE_SF_SG_E_clIS8_S8_S9_S9_EESD_ST_SE_SF_SG_EUlST_E0_NS1_11comp_targetILNS1_3genE2ELNS1_11target_archE906ELNS1_3gpuE6ELNS1_3repE0EEENS1_38merge_mergepath_config_static_selectorELNS0_4arch9wavefront6targetE0EEEvSF_ ; -- Begin function _ZN7rocprim17ROCPRIM_400000_NS6detail17trampoline_kernelINS0_14default_configENS1_38merge_sort_block_merge_config_selectorIaNS0_10empty_typeEEEZZNS1_27merge_sort_block_merge_implIS3_PaPS5_jNS1_19radix_merge_compareILb0ELb0EaNS0_19identity_decomposerEEEEE10hipError_tT0_T1_T2_jT3_P12ihipStream_tbPNSt15iterator_traitsISE_E10value_typeEPNSK_ISF_E10value_typeEPSG_NS1_7vsmem_tEENKUlT_SE_SF_SG_E_clIS8_S8_S9_S9_EESD_ST_SE_SF_SG_EUlST_E0_NS1_11comp_targetILNS1_3genE2ELNS1_11target_archE906ELNS1_3gpuE6ELNS1_3repE0EEENS1_38merge_mergepath_config_static_selectorELNS0_4arch9wavefront6targetE0EEEvSF_
	.globl	_ZN7rocprim17ROCPRIM_400000_NS6detail17trampoline_kernelINS0_14default_configENS1_38merge_sort_block_merge_config_selectorIaNS0_10empty_typeEEEZZNS1_27merge_sort_block_merge_implIS3_PaPS5_jNS1_19radix_merge_compareILb0ELb0EaNS0_19identity_decomposerEEEEE10hipError_tT0_T1_T2_jT3_P12ihipStream_tbPNSt15iterator_traitsISE_E10value_typeEPNSK_ISF_E10value_typeEPSG_NS1_7vsmem_tEENKUlT_SE_SF_SG_E_clIS8_S8_S9_S9_EESD_ST_SE_SF_SG_EUlST_E0_NS1_11comp_targetILNS1_3genE2ELNS1_11target_archE906ELNS1_3gpuE6ELNS1_3repE0EEENS1_38merge_mergepath_config_static_selectorELNS0_4arch9wavefront6targetE0EEEvSF_
	.p2align	8
	.type	_ZN7rocprim17ROCPRIM_400000_NS6detail17trampoline_kernelINS0_14default_configENS1_38merge_sort_block_merge_config_selectorIaNS0_10empty_typeEEEZZNS1_27merge_sort_block_merge_implIS3_PaPS5_jNS1_19radix_merge_compareILb0ELb0EaNS0_19identity_decomposerEEEEE10hipError_tT0_T1_T2_jT3_P12ihipStream_tbPNSt15iterator_traitsISE_E10value_typeEPNSK_ISF_E10value_typeEPSG_NS1_7vsmem_tEENKUlT_SE_SF_SG_E_clIS8_S8_S9_S9_EESD_ST_SE_SF_SG_EUlST_E0_NS1_11comp_targetILNS1_3genE2ELNS1_11target_archE906ELNS1_3gpuE6ELNS1_3repE0EEENS1_38merge_mergepath_config_static_selectorELNS0_4arch9wavefront6targetE0EEEvSF_,@function
_ZN7rocprim17ROCPRIM_400000_NS6detail17trampoline_kernelINS0_14default_configENS1_38merge_sort_block_merge_config_selectorIaNS0_10empty_typeEEEZZNS1_27merge_sort_block_merge_implIS3_PaPS5_jNS1_19radix_merge_compareILb0ELb0EaNS0_19identity_decomposerEEEEE10hipError_tT0_T1_T2_jT3_P12ihipStream_tbPNSt15iterator_traitsISE_E10value_typeEPNSK_ISF_E10value_typeEPSG_NS1_7vsmem_tEENKUlT_SE_SF_SG_E_clIS8_S8_S9_S9_EESD_ST_SE_SF_SG_EUlST_E0_NS1_11comp_targetILNS1_3genE2ELNS1_11target_archE906ELNS1_3gpuE6ELNS1_3repE0EEENS1_38merge_mergepath_config_static_selectorELNS0_4arch9wavefront6targetE0EEEvSF_: ; @_ZN7rocprim17ROCPRIM_400000_NS6detail17trampoline_kernelINS0_14default_configENS1_38merge_sort_block_merge_config_selectorIaNS0_10empty_typeEEEZZNS1_27merge_sort_block_merge_implIS3_PaPS5_jNS1_19radix_merge_compareILb0ELb0EaNS0_19identity_decomposerEEEEE10hipError_tT0_T1_T2_jT3_P12ihipStream_tbPNSt15iterator_traitsISE_E10value_typeEPNSK_ISF_E10value_typeEPSG_NS1_7vsmem_tEENKUlT_SE_SF_SG_E_clIS8_S8_S9_S9_EESD_ST_SE_SF_SG_EUlST_E0_NS1_11comp_targetILNS1_3genE2ELNS1_11target_archE906ELNS1_3gpuE6ELNS1_3repE0EEENS1_38merge_mergepath_config_static_selectorELNS0_4arch9wavefront6targetE0EEEvSF_
; %bb.0:
	.section	.rodata,"a",@progbits
	.p2align	6, 0x0
	.amdhsa_kernel _ZN7rocprim17ROCPRIM_400000_NS6detail17trampoline_kernelINS0_14default_configENS1_38merge_sort_block_merge_config_selectorIaNS0_10empty_typeEEEZZNS1_27merge_sort_block_merge_implIS3_PaPS5_jNS1_19radix_merge_compareILb0ELb0EaNS0_19identity_decomposerEEEEE10hipError_tT0_T1_T2_jT3_P12ihipStream_tbPNSt15iterator_traitsISE_E10value_typeEPNSK_ISF_E10value_typeEPSG_NS1_7vsmem_tEENKUlT_SE_SF_SG_E_clIS8_S8_S9_S9_EESD_ST_SE_SF_SG_EUlST_E0_NS1_11comp_targetILNS1_3genE2ELNS1_11target_archE906ELNS1_3gpuE6ELNS1_3repE0EEENS1_38merge_mergepath_config_static_selectorELNS0_4arch9wavefront6targetE0EEEvSF_
		.amdhsa_group_segment_fixed_size 0
		.amdhsa_private_segment_fixed_size 0
		.amdhsa_kernarg_size 64
		.amdhsa_user_sgpr_count 2
		.amdhsa_user_sgpr_dispatch_ptr 0
		.amdhsa_user_sgpr_queue_ptr 0
		.amdhsa_user_sgpr_kernarg_segment_ptr 1
		.amdhsa_user_sgpr_dispatch_id 0
		.amdhsa_user_sgpr_kernarg_preload_length 0
		.amdhsa_user_sgpr_kernarg_preload_offset 0
		.amdhsa_user_sgpr_private_segment_size 0
		.amdhsa_wavefront_size32 1
		.amdhsa_uses_dynamic_stack 0
		.amdhsa_enable_private_segment 0
		.amdhsa_system_sgpr_workgroup_id_x 1
		.amdhsa_system_sgpr_workgroup_id_y 0
		.amdhsa_system_sgpr_workgroup_id_z 0
		.amdhsa_system_sgpr_workgroup_info 0
		.amdhsa_system_vgpr_workitem_id 0
		.amdhsa_next_free_vgpr 1
		.amdhsa_next_free_sgpr 1
		.amdhsa_named_barrier_count 0
		.amdhsa_reserve_vcc 0
		.amdhsa_float_round_mode_32 0
		.amdhsa_float_round_mode_16_64 0
		.amdhsa_float_denorm_mode_32 3
		.amdhsa_float_denorm_mode_16_64 3
		.amdhsa_fp16_overflow 0
		.amdhsa_memory_ordered 1
		.amdhsa_forward_progress 1
		.amdhsa_inst_pref_size 0
		.amdhsa_round_robin_scheduling 0
		.amdhsa_exception_fp_ieee_invalid_op 0
		.amdhsa_exception_fp_denorm_src 0
		.amdhsa_exception_fp_ieee_div_zero 0
		.amdhsa_exception_fp_ieee_overflow 0
		.amdhsa_exception_fp_ieee_underflow 0
		.amdhsa_exception_fp_ieee_inexact 0
		.amdhsa_exception_int_div_zero 0
	.end_amdhsa_kernel
	.section	.text._ZN7rocprim17ROCPRIM_400000_NS6detail17trampoline_kernelINS0_14default_configENS1_38merge_sort_block_merge_config_selectorIaNS0_10empty_typeEEEZZNS1_27merge_sort_block_merge_implIS3_PaPS5_jNS1_19radix_merge_compareILb0ELb0EaNS0_19identity_decomposerEEEEE10hipError_tT0_T1_T2_jT3_P12ihipStream_tbPNSt15iterator_traitsISE_E10value_typeEPNSK_ISF_E10value_typeEPSG_NS1_7vsmem_tEENKUlT_SE_SF_SG_E_clIS8_S8_S9_S9_EESD_ST_SE_SF_SG_EUlST_E0_NS1_11comp_targetILNS1_3genE2ELNS1_11target_archE906ELNS1_3gpuE6ELNS1_3repE0EEENS1_38merge_mergepath_config_static_selectorELNS0_4arch9wavefront6targetE0EEEvSF_,"axG",@progbits,_ZN7rocprim17ROCPRIM_400000_NS6detail17trampoline_kernelINS0_14default_configENS1_38merge_sort_block_merge_config_selectorIaNS0_10empty_typeEEEZZNS1_27merge_sort_block_merge_implIS3_PaPS5_jNS1_19radix_merge_compareILb0ELb0EaNS0_19identity_decomposerEEEEE10hipError_tT0_T1_T2_jT3_P12ihipStream_tbPNSt15iterator_traitsISE_E10value_typeEPNSK_ISF_E10value_typeEPSG_NS1_7vsmem_tEENKUlT_SE_SF_SG_E_clIS8_S8_S9_S9_EESD_ST_SE_SF_SG_EUlST_E0_NS1_11comp_targetILNS1_3genE2ELNS1_11target_archE906ELNS1_3gpuE6ELNS1_3repE0EEENS1_38merge_mergepath_config_static_selectorELNS0_4arch9wavefront6targetE0EEEvSF_,comdat
.Lfunc_end413:
	.size	_ZN7rocprim17ROCPRIM_400000_NS6detail17trampoline_kernelINS0_14default_configENS1_38merge_sort_block_merge_config_selectorIaNS0_10empty_typeEEEZZNS1_27merge_sort_block_merge_implIS3_PaPS5_jNS1_19radix_merge_compareILb0ELb0EaNS0_19identity_decomposerEEEEE10hipError_tT0_T1_T2_jT3_P12ihipStream_tbPNSt15iterator_traitsISE_E10value_typeEPNSK_ISF_E10value_typeEPSG_NS1_7vsmem_tEENKUlT_SE_SF_SG_E_clIS8_S8_S9_S9_EESD_ST_SE_SF_SG_EUlST_E0_NS1_11comp_targetILNS1_3genE2ELNS1_11target_archE906ELNS1_3gpuE6ELNS1_3repE0EEENS1_38merge_mergepath_config_static_selectorELNS0_4arch9wavefront6targetE0EEEvSF_, .Lfunc_end413-_ZN7rocprim17ROCPRIM_400000_NS6detail17trampoline_kernelINS0_14default_configENS1_38merge_sort_block_merge_config_selectorIaNS0_10empty_typeEEEZZNS1_27merge_sort_block_merge_implIS3_PaPS5_jNS1_19radix_merge_compareILb0ELb0EaNS0_19identity_decomposerEEEEE10hipError_tT0_T1_T2_jT3_P12ihipStream_tbPNSt15iterator_traitsISE_E10value_typeEPNSK_ISF_E10value_typeEPSG_NS1_7vsmem_tEENKUlT_SE_SF_SG_E_clIS8_S8_S9_S9_EESD_ST_SE_SF_SG_EUlST_E0_NS1_11comp_targetILNS1_3genE2ELNS1_11target_archE906ELNS1_3gpuE6ELNS1_3repE0EEENS1_38merge_mergepath_config_static_selectorELNS0_4arch9wavefront6targetE0EEEvSF_
                                        ; -- End function
	.set _ZN7rocprim17ROCPRIM_400000_NS6detail17trampoline_kernelINS0_14default_configENS1_38merge_sort_block_merge_config_selectorIaNS0_10empty_typeEEEZZNS1_27merge_sort_block_merge_implIS3_PaPS5_jNS1_19radix_merge_compareILb0ELb0EaNS0_19identity_decomposerEEEEE10hipError_tT0_T1_T2_jT3_P12ihipStream_tbPNSt15iterator_traitsISE_E10value_typeEPNSK_ISF_E10value_typeEPSG_NS1_7vsmem_tEENKUlT_SE_SF_SG_E_clIS8_S8_S9_S9_EESD_ST_SE_SF_SG_EUlST_E0_NS1_11comp_targetILNS1_3genE2ELNS1_11target_archE906ELNS1_3gpuE6ELNS1_3repE0EEENS1_38merge_mergepath_config_static_selectorELNS0_4arch9wavefront6targetE0EEEvSF_.num_vgpr, 0
	.set _ZN7rocprim17ROCPRIM_400000_NS6detail17trampoline_kernelINS0_14default_configENS1_38merge_sort_block_merge_config_selectorIaNS0_10empty_typeEEEZZNS1_27merge_sort_block_merge_implIS3_PaPS5_jNS1_19radix_merge_compareILb0ELb0EaNS0_19identity_decomposerEEEEE10hipError_tT0_T1_T2_jT3_P12ihipStream_tbPNSt15iterator_traitsISE_E10value_typeEPNSK_ISF_E10value_typeEPSG_NS1_7vsmem_tEENKUlT_SE_SF_SG_E_clIS8_S8_S9_S9_EESD_ST_SE_SF_SG_EUlST_E0_NS1_11comp_targetILNS1_3genE2ELNS1_11target_archE906ELNS1_3gpuE6ELNS1_3repE0EEENS1_38merge_mergepath_config_static_selectorELNS0_4arch9wavefront6targetE0EEEvSF_.num_agpr, 0
	.set _ZN7rocprim17ROCPRIM_400000_NS6detail17trampoline_kernelINS0_14default_configENS1_38merge_sort_block_merge_config_selectorIaNS0_10empty_typeEEEZZNS1_27merge_sort_block_merge_implIS3_PaPS5_jNS1_19radix_merge_compareILb0ELb0EaNS0_19identity_decomposerEEEEE10hipError_tT0_T1_T2_jT3_P12ihipStream_tbPNSt15iterator_traitsISE_E10value_typeEPNSK_ISF_E10value_typeEPSG_NS1_7vsmem_tEENKUlT_SE_SF_SG_E_clIS8_S8_S9_S9_EESD_ST_SE_SF_SG_EUlST_E0_NS1_11comp_targetILNS1_3genE2ELNS1_11target_archE906ELNS1_3gpuE6ELNS1_3repE0EEENS1_38merge_mergepath_config_static_selectorELNS0_4arch9wavefront6targetE0EEEvSF_.numbered_sgpr, 0
	.set _ZN7rocprim17ROCPRIM_400000_NS6detail17trampoline_kernelINS0_14default_configENS1_38merge_sort_block_merge_config_selectorIaNS0_10empty_typeEEEZZNS1_27merge_sort_block_merge_implIS3_PaPS5_jNS1_19radix_merge_compareILb0ELb0EaNS0_19identity_decomposerEEEEE10hipError_tT0_T1_T2_jT3_P12ihipStream_tbPNSt15iterator_traitsISE_E10value_typeEPNSK_ISF_E10value_typeEPSG_NS1_7vsmem_tEENKUlT_SE_SF_SG_E_clIS8_S8_S9_S9_EESD_ST_SE_SF_SG_EUlST_E0_NS1_11comp_targetILNS1_3genE2ELNS1_11target_archE906ELNS1_3gpuE6ELNS1_3repE0EEENS1_38merge_mergepath_config_static_selectorELNS0_4arch9wavefront6targetE0EEEvSF_.num_named_barrier, 0
	.set _ZN7rocprim17ROCPRIM_400000_NS6detail17trampoline_kernelINS0_14default_configENS1_38merge_sort_block_merge_config_selectorIaNS0_10empty_typeEEEZZNS1_27merge_sort_block_merge_implIS3_PaPS5_jNS1_19radix_merge_compareILb0ELb0EaNS0_19identity_decomposerEEEEE10hipError_tT0_T1_T2_jT3_P12ihipStream_tbPNSt15iterator_traitsISE_E10value_typeEPNSK_ISF_E10value_typeEPSG_NS1_7vsmem_tEENKUlT_SE_SF_SG_E_clIS8_S8_S9_S9_EESD_ST_SE_SF_SG_EUlST_E0_NS1_11comp_targetILNS1_3genE2ELNS1_11target_archE906ELNS1_3gpuE6ELNS1_3repE0EEENS1_38merge_mergepath_config_static_selectorELNS0_4arch9wavefront6targetE0EEEvSF_.private_seg_size, 0
	.set _ZN7rocprim17ROCPRIM_400000_NS6detail17trampoline_kernelINS0_14default_configENS1_38merge_sort_block_merge_config_selectorIaNS0_10empty_typeEEEZZNS1_27merge_sort_block_merge_implIS3_PaPS5_jNS1_19radix_merge_compareILb0ELb0EaNS0_19identity_decomposerEEEEE10hipError_tT0_T1_T2_jT3_P12ihipStream_tbPNSt15iterator_traitsISE_E10value_typeEPNSK_ISF_E10value_typeEPSG_NS1_7vsmem_tEENKUlT_SE_SF_SG_E_clIS8_S8_S9_S9_EESD_ST_SE_SF_SG_EUlST_E0_NS1_11comp_targetILNS1_3genE2ELNS1_11target_archE906ELNS1_3gpuE6ELNS1_3repE0EEENS1_38merge_mergepath_config_static_selectorELNS0_4arch9wavefront6targetE0EEEvSF_.uses_vcc, 0
	.set _ZN7rocprim17ROCPRIM_400000_NS6detail17trampoline_kernelINS0_14default_configENS1_38merge_sort_block_merge_config_selectorIaNS0_10empty_typeEEEZZNS1_27merge_sort_block_merge_implIS3_PaPS5_jNS1_19radix_merge_compareILb0ELb0EaNS0_19identity_decomposerEEEEE10hipError_tT0_T1_T2_jT3_P12ihipStream_tbPNSt15iterator_traitsISE_E10value_typeEPNSK_ISF_E10value_typeEPSG_NS1_7vsmem_tEENKUlT_SE_SF_SG_E_clIS8_S8_S9_S9_EESD_ST_SE_SF_SG_EUlST_E0_NS1_11comp_targetILNS1_3genE2ELNS1_11target_archE906ELNS1_3gpuE6ELNS1_3repE0EEENS1_38merge_mergepath_config_static_selectorELNS0_4arch9wavefront6targetE0EEEvSF_.uses_flat_scratch, 0
	.set _ZN7rocprim17ROCPRIM_400000_NS6detail17trampoline_kernelINS0_14default_configENS1_38merge_sort_block_merge_config_selectorIaNS0_10empty_typeEEEZZNS1_27merge_sort_block_merge_implIS3_PaPS5_jNS1_19radix_merge_compareILb0ELb0EaNS0_19identity_decomposerEEEEE10hipError_tT0_T1_T2_jT3_P12ihipStream_tbPNSt15iterator_traitsISE_E10value_typeEPNSK_ISF_E10value_typeEPSG_NS1_7vsmem_tEENKUlT_SE_SF_SG_E_clIS8_S8_S9_S9_EESD_ST_SE_SF_SG_EUlST_E0_NS1_11comp_targetILNS1_3genE2ELNS1_11target_archE906ELNS1_3gpuE6ELNS1_3repE0EEENS1_38merge_mergepath_config_static_selectorELNS0_4arch9wavefront6targetE0EEEvSF_.has_dyn_sized_stack, 0
	.set _ZN7rocprim17ROCPRIM_400000_NS6detail17trampoline_kernelINS0_14default_configENS1_38merge_sort_block_merge_config_selectorIaNS0_10empty_typeEEEZZNS1_27merge_sort_block_merge_implIS3_PaPS5_jNS1_19radix_merge_compareILb0ELb0EaNS0_19identity_decomposerEEEEE10hipError_tT0_T1_T2_jT3_P12ihipStream_tbPNSt15iterator_traitsISE_E10value_typeEPNSK_ISF_E10value_typeEPSG_NS1_7vsmem_tEENKUlT_SE_SF_SG_E_clIS8_S8_S9_S9_EESD_ST_SE_SF_SG_EUlST_E0_NS1_11comp_targetILNS1_3genE2ELNS1_11target_archE906ELNS1_3gpuE6ELNS1_3repE0EEENS1_38merge_mergepath_config_static_selectorELNS0_4arch9wavefront6targetE0EEEvSF_.has_recursion, 0
	.set _ZN7rocprim17ROCPRIM_400000_NS6detail17trampoline_kernelINS0_14default_configENS1_38merge_sort_block_merge_config_selectorIaNS0_10empty_typeEEEZZNS1_27merge_sort_block_merge_implIS3_PaPS5_jNS1_19radix_merge_compareILb0ELb0EaNS0_19identity_decomposerEEEEE10hipError_tT0_T1_T2_jT3_P12ihipStream_tbPNSt15iterator_traitsISE_E10value_typeEPNSK_ISF_E10value_typeEPSG_NS1_7vsmem_tEENKUlT_SE_SF_SG_E_clIS8_S8_S9_S9_EESD_ST_SE_SF_SG_EUlST_E0_NS1_11comp_targetILNS1_3genE2ELNS1_11target_archE906ELNS1_3gpuE6ELNS1_3repE0EEENS1_38merge_mergepath_config_static_selectorELNS0_4arch9wavefront6targetE0EEEvSF_.has_indirect_call, 0
	.section	.AMDGPU.csdata,"",@progbits
; Kernel info:
; codeLenInByte = 0
; TotalNumSgprs: 0
; NumVgprs: 0
; ScratchSize: 0
; MemoryBound: 0
; FloatMode: 240
; IeeeMode: 1
; LDSByteSize: 0 bytes/workgroup (compile time only)
; SGPRBlocks: 0
; VGPRBlocks: 0
; NumSGPRsForWavesPerEU: 1
; NumVGPRsForWavesPerEU: 1
; NamedBarCnt: 0
; Occupancy: 16
; WaveLimiterHint : 0
; COMPUTE_PGM_RSRC2:SCRATCH_EN: 0
; COMPUTE_PGM_RSRC2:USER_SGPR: 2
; COMPUTE_PGM_RSRC2:TRAP_HANDLER: 0
; COMPUTE_PGM_RSRC2:TGID_X_EN: 1
; COMPUTE_PGM_RSRC2:TGID_Y_EN: 0
; COMPUTE_PGM_RSRC2:TGID_Z_EN: 0
; COMPUTE_PGM_RSRC2:TIDIG_COMP_CNT: 0
	.section	.text._ZN7rocprim17ROCPRIM_400000_NS6detail17trampoline_kernelINS0_14default_configENS1_38merge_sort_block_merge_config_selectorIaNS0_10empty_typeEEEZZNS1_27merge_sort_block_merge_implIS3_PaPS5_jNS1_19radix_merge_compareILb0ELb0EaNS0_19identity_decomposerEEEEE10hipError_tT0_T1_T2_jT3_P12ihipStream_tbPNSt15iterator_traitsISE_E10value_typeEPNSK_ISF_E10value_typeEPSG_NS1_7vsmem_tEENKUlT_SE_SF_SG_E_clIS8_S8_S9_S9_EESD_ST_SE_SF_SG_EUlST_E0_NS1_11comp_targetILNS1_3genE9ELNS1_11target_archE1100ELNS1_3gpuE3ELNS1_3repE0EEENS1_38merge_mergepath_config_static_selectorELNS0_4arch9wavefront6targetE0EEEvSF_,"axG",@progbits,_ZN7rocprim17ROCPRIM_400000_NS6detail17trampoline_kernelINS0_14default_configENS1_38merge_sort_block_merge_config_selectorIaNS0_10empty_typeEEEZZNS1_27merge_sort_block_merge_implIS3_PaPS5_jNS1_19radix_merge_compareILb0ELb0EaNS0_19identity_decomposerEEEEE10hipError_tT0_T1_T2_jT3_P12ihipStream_tbPNSt15iterator_traitsISE_E10value_typeEPNSK_ISF_E10value_typeEPSG_NS1_7vsmem_tEENKUlT_SE_SF_SG_E_clIS8_S8_S9_S9_EESD_ST_SE_SF_SG_EUlST_E0_NS1_11comp_targetILNS1_3genE9ELNS1_11target_archE1100ELNS1_3gpuE3ELNS1_3repE0EEENS1_38merge_mergepath_config_static_selectorELNS0_4arch9wavefront6targetE0EEEvSF_,comdat
	.protected	_ZN7rocprim17ROCPRIM_400000_NS6detail17trampoline_kernelINS0_14default_configENS1_38merge_sort_block_merge_config_selectorIaNS0_10empty_typeEEEZZNS1_27merge_sort_block_merge_implIS3_PaPS5_jNS1_19radix_merge_compareILb0ELb0EaNS0_19identity_decomposerEEEEE10hipError_tT0_T1_T2_jT3_P12ihipStream_tbPNSt15iterator_traitsISE_E10value_typeEPNSK_ISF_E10value_typeEPSG_NS1_7vsmem_tEENKUlT_SE_SF_SG_E_clIS8_S8_S9_S9_EESD_ST_SE_SF_SG_EUlST_E0_NS1_11comp_targetILNS1_3genE9ELNS1_11target_archE1100ELNS1_3gpuE3ELNS1_3repE0EEENS1_38merge_mergepath_config_static_selectorELNS0_4arch9wavefront6targetE0EEEvSF_ ; -- Begin function _ZN7rocprim17ROCPRIM_400000_NS6detail17trampoline_kernelINS0_14default_configENS1_38merge_sort_block_merge_config_selectorIaNS0_10empty_typeEEEZZNS1_27merge_sort_block_merge_implIS3_PaPS5_jNS1_19radix_merge_compareILb0ELb0EaNS0_19identity_decomposerEEEEE10hipError_tT0_T1_T2_jT3_P12ihipStream_tbPNSt15iterator_traitsISE_E10value_typeEPNSK_ISF_E10value_typeEPSG_NS1_7vsmem_tEENKUlT_SE_SF_SG_E_clIS8_S8_S9_S9_EESD_ST_SE_SF_SG_EUlST_E0_NS1_11comp_targetILNS1_3genE9ELNS1_11target_archE1100ELNS1_3gpuE3ELNS1_3repE0EEENS1_38merge_mergepath_config_static_selectorELNS0_4arch9wavefront6targetE0EEEvSF_
	.globl	_ZN7rocprim17ROCPRIM_400000_NS6detail17trampoline_kernelINS0_14default_configENS1_38merge_sort_block_merge_config_selectorIaNS0_10empty_typeEEEZZNS1_27merge_sort_block_merge_implIS3_PaPS5_jNS1_19radix_merge_compareILb0ELb0EaNS0_19identity_decomposerEEEEE10hipError_tT0_T1_T2_jT3_P12ihipStream_tbPNSt15iterator_traitsISE_E10value_typeEPNSK_ISF_E10value_typeEPSG_NS1_7vsmem_tEENKUlT_SE_SF_SG_E_clIS8_S8_S9_S9_EESD_ST_SE_SF_SG_EUlST_E0_NS1_11comp_targetILNS1_3genE9ELNS1_11target_archE1100ELNS1_3gpuE3ELNS1_3repE0EEENS1_38merge_mergepath_config_static_selectorELNS0_4arch9wavefront6targetE0EEEvSF_
	.p2align	8
	.type	_ZN7rocprim17ROCPRIM_400000_NS6detail17trampoline_kernelINS0_14default_configENS1_38merge_sort_block_merge_config_selectorIaNS0_10empty_typeEEEZZNS1_27merge_sort_block_merge_implIS3_PaPS5_jNS1_19radix_merge_compareILb0ELb0EaNS0_19identity_decomposerEEEEE10hipError_tT0_T1_T2_jT3_P12ihipStream_tbPNSt15iterator_traitsISE_E10value_typeEPNSK_ISF_E10value_typeEPSG_NS1_7vsmem_tEENKUlT_SE_SF_SG_E_clIS8_S8_S9_S9_EESD_ST_SE_SF_SG_EUlST_E0_NS1_11comp_targetILNS1_3genE9ELNS1_11target_archE1100ELNS1_3gpuE3ELNS1_3repE0EEENS1_38merge_mergepath_config_static_selectorELNS0_4arch9wavefront6targetE0EEEvSF_,@function
_ZN7rocprim17ROCPRIM_400000_NS6detail17trampoline_kernelINS0_14default_configENS1_38merge_sort_block_merge_config_selectorIaNS0_10empty_typeEEEZZNS1_27merge_sort_block_merge_implIS3_PaPS5_jNS1_19radix_merge_compareILb0ELb0EaNS0_19identity_decomposerEEEEE10hipError_tT0_T1_T2_jT3_P12ihipStream_tbPNSt15iterator_traitsISE_E10value_typeEPNSK_ISF_E10value_typeEPSG_NS1_7vsmem_tEENKUlT_SE_SF_SG_E_clIS8_S8_S9_S9_EESD_ST_SE_SF_SG_EUlST_E0_NS1_11comp_targetILNS1_3genE9ELNS1_11target_archE1100ELNS1_3gpuE3ELNS1_3repE0EEENS1_38merge_mergepath_config_static_selectorELNS0_4arch9wavefront6targetE0EEEvSF_: ; @_ZN7rocprim17ROCPRIM_400000_NS6detail17trampoline_kernelINS0_14default_configENS1_38merge_sort_block_merge_config_selectorIaNS0_10empty_typeEEEZZNS1_27merge_sort_block_merge_implIS3_PaPS5_jNS1_19radix_merge_compareILb0ELb0EaNS0_19identity_decomposerEEEEE10hipError_tT0_T1_T2_jT3_P12ihipStream_tbPNSt15iterator_traitsISE_E10value_typeEPNSK_ISF_E10value_typeEPSG_NS1_7vsmem_tEENKUlT_SE_SF_SG_E_clIS8_S8_S9_S9_EESD_ST_SE_SF_SG_EUlST_E0_NS1_11comp_targetILNS1_3genE9ELNS1_11target_archE1100ELNS1_3gpuE3ELNS1_3repE0EEENS1_38merge_mergepath_config_static_selectorELNS0_4arch9wavefront6targetE0EEEvSF_
; %bb.0:
	.section	.rodata,"a",@progbits
	.p2align	6, 0x0
	.amdhsa_kernel _ZN7rocprim17ROCPRIM_400000_NS6detail17trampoline_kernelINS0_14default_configENS1_38merge_sort_block_merge_config_selectorIaNS0_10empty_typeEEEZZNS1_27merge_sort_block_merge_implIS3_PaPS5_jNS1_19radix_merge_compareILb0ELb0EaNS0_19identity_decomposerEEEEE10hipError_tT0_T1_T2_jT3_P12ihipStream_tbPNSt15iterator_traitsISE_E10value_typeEPNSK_ISF_E10value_typeEPSG_NS1_7vsmem_tEENKUlT_SE_SF_SG_E_clIS8_S8_S9_S9_EESD_ST_SE_SF_SG_EUlST_E0_NS1_11comp_targetILNS1_3genE9ELNS1_11target_archE1100ELNS1_3gpuE3ELNS1_3repE0EEENS1_38merge_mergepath_config_static_selectorELNS0_4arch9wavefront6targetE0EEEvSF_
		.amdhsa_group_segment_fixed_size 0
		.amdhsa_private_segment_fixed_size 0
		.amdhsa_kernarg_size 64
		.amdhsa_user_sgpr_count 2
		.amdhsa_user_sgpr_dispatch_ptr 0
		.amdhsa_user_sgpr_queue_ptr 0
		.amdhsa_user_sgpr_kernarg_segment_ptr 1
		.amdhsa_user_sgpr_dispatch_id 0
		.amdhsa_user_sgpr_kernarg_preload_length 0
		.amdhsa_user_sgpr_kernarg_preload_offset 0
		.amdhsa_user_sgpr_private_segment_size 0
		.amdhsa_wavefront_size32 1
		.amdhsa_uses_dynamic_stack 0
		.amdhsa_enable_private_segment 0
		.amdhsa_system_sgpr_workgroup_id_x 1
		.amdhsa_system_sgpr_workgroup_id_y 0
		.amdhsa_system_sgpr_workgroup_id_z 0
		.amdhsa_system_sgpr_workgroup_info 0
		.amdhsa_system_vgpr_workitem_id 0
		.amdhsa_next_free_vgpr 1
		.amdhsa_next_free_sgpr 1
		.amdhsa_named_barrier_count 0
		.amdhsa_reserve_vcc 0
		.amdhsa_float_round_mode_32 0
		.amdhsa_float_round_mode_16_64 0
		.amdhsa_float_denorm_mode_32 3
		.amdhsa_float_denorm_mode_16_64 3
		.amdhsa_fp16_overflow 0
		.amdhsa_memory_ordered 1
		.amdhsa_forward_progress 1
		.amdhsa_inst_pref_size 0
		.amdhsa_round_robin_scheduling 0
		.amdhsa_exception_fp_ieee_invalid_op 0
		.amdhsa_exception_fp_denorm_src 0
		.amdhsa_exception_fp_ieee_div_zero 0
		.amdhsa_exception_fp_ieee_overflow 0
		.amdhsa_exception_fp_ieee_underflow 0
		.amdhsa_exception_fp_ieee_inexact 0
		.amdhsa_exception_int_div_zero 0
	.end_amdhsa_kernel
	.section	.text._ZN7rocprim17ROCPRIM_400000_NS6detail17trampoline_kernelINS0_14default_configENS1_38merge_sort_block_merge_config_selectorIaNS0_10empty_typeEEEZZNS1_27merge_sort_block_merge_implIS3_PaPS5_jNS1_19radix_merge_compareILb0ELb0EaNS0_19identity_decomposerEEEEE10hipError_tT0_T1_T2_jT3_P12ihipStream_tbPNSt15iterator_traitsISE_E10value_typeEPNSK_ISF_E10value_typeEPSG_NS1_7vsmem_tEENKUlT_SE_SF_SG_E_clIS8_S8_S9_S9_EESD_ST_SE_SF_SG_EUlST_E0_NS1_11comp_targetILNS1_3genE9ELNS1_11target_archE1100ELNS1_3gpuE3ELNS1_3repE0EEENS1_38merge_mergepath_config_static_selectorELNS0_4arch9wavefront6targetE0EEEvSF_,"axG",@progbits,_ZN7rocprim17ROCPRIM_400000_NS6detail17trampoline_kernelINS0_14default_configENS1_38merge_sort_block_merge_config_selectorIaNS0_10empty_typeEEEZZNS1_27merge_sort_block_merge_implIS3_PaPS5_jNS1_19radix_merge_compareILb0ELb0EaNS0_19identity_decomposerEEEEE10hipError_tT0_T1_T2_jT3_P12ihipStream_tbPNSt15iterator_traitsISE_E10value_typeEPNSK_ISF_E10value_typeEPSG_NS1_7vsmem_tEENKUlT_SE_SF_SG_E_clIS8_S8_S9_S9_EESD_ST_SE_SF_SG_EUlST_E0_NS1_11comp_targetILNS1_3genE9ELNS1_11target_archE1100ELNS1_3gpuE3ELNS1_3repE0EEENS1_38merge_mergepath_config_static_selectorELNS0_4arch9wavefront6targetE0EEEvSF_,comdat
.Lfunc_end414:
	.size	_ZN7rocprim17ROCPRIM_400000_NS6detail17trampoline_kernelINS0_14default_configENS1_38merge_sort_block_merge_config_selectorIaNS0_10empty_typeEEEZZNS1_27merge_sort_block_merge_implIS3_PaPS5_jNS1_19radix_merge_compareILb0ELb0EaNS0_19identity_decomposerEEEEE10hipError_tT0_T1_T2_jT3_P12ihipStream_tbPNSt15iterator_traitsISE_E10value_typeEPNSK_ISF_E10value_typeEPSG_NS1_7vsmem_tEENKUlT_SE_SF_SG_E_clIS8_S8_S9_S9_EESD_ST_SE_SF_SG_EUlST_E0_NS1_11comp_targetILNS1_3genE9ELNS1_11target_archE1100ELNS1_3gpuE3ELNS1_3repE0EEENS1_38merge_mergepath_config_static_selectorELNS0_4arch9wavefront6targetE0EEEvSF_, .Lfunc_end414-_ZN7rocprim17ROCPRIM_400000_NS6detail17trampoline_kernelINS0_14default_configENS1_38merge_sort_block_merge_config_selectorIaNS0_10empty_typeEEEZZNS1_27merge_sort_block_merge_implIS3_PaPS5_jNS1_19radix_merge_compareILb0ELb0EaNS0_19identity_decomposerEEEEE10hipError_tT0_T1_T2_jT3_P12ihipStream_tbPNSt15iterator_traitsISE_E10value_typeEPNSK_ISF_E10value_typeEPSG_NS1_7vsmem_tEENKUlT_SE_SF_SG_E_clIS8_S8_S9_S9_EESD_ST_SE_SF_SG_EUlST_E0_NS1_11comp_targetILNS1_3genE9ELNS1_11target_archE1100ELNS1_3gpuE3ELNS1_3repE0EEENS1_38merge_mergepath_config_static_selectorELNS0_4arch9wavefront6targetE0EEEvSF_
                                        ; -- End function
	.set _ZN7rocprim17ROCPRIM_400000_NS6detail17trampoline_kernelINS0_14default_configENS1_38merge_sort_block_merge_config_selectorIaNS0_10empty_typeEEEZZNS1_27merge_sort_block_merge_implIS3_PaPS5_jNS1_19radix_merge_compareILb0ELb0EaNS0_19identity_decomposerEEEEE10hipError_tT0_T1_T2_jT3_P12ihipStream_tbPNSt15iterator_traitsISE_E10value_typeEPNSK_ISF_E10value_typeEPSG_NS1_7vsmem_tEENKUlT_SE_SF_SG_E_clIS8_S8_S9_S9_EESD_ST_SE_SF_SG_EUlST_E0_NS1_11comp_targetILNS1_3genE9ELNS1_11target_archE1100ELNS1_3gpuE3ELNS1_3repE0EEENS1_38merge_mergepath_config_static_selectorELNS0_4arch9wavefront6targetE0EEEvSF_.num_vgpr, 0
	.set _ZN7rocprim17ROCPRIM_400000_NS6detail17trampoline_kernelINS0_14default_configENS1_38merge_sort_block_merge_config_selectorIaNS0_10empty_typeEEEZZNS1_27merge_sort_block_merge_implIS3_PaPS5_jNS1_19radix_merge_compareILb0ELb0EaNS0_19identity_decomposerEEEEE10hipError_tT0_T1_T2_jT3_P12ihipStream_tbPNSt15iterator_traitsISE_E10value_typeEPNSK_ISF_E10value_typeEPSG_NS1_7vsmem_tEENKUlT_SE_SF_SG_E_clIS8_S8_S9_S9_EESD_ST_SE_SF_SG_EUlST_E0_NS1_11comp_targetILNS1_3genE9ELNS1_11target_archE1100ELNS1_3gpuE3ELNS1_3repE0EEENS1_38merge_mergepath_config_static_selectorELNS0_4arch9wavefront6targetE0EEEvSF_.num_agpr, 0
	.set _ZN7rocprim17ROCPRIM_400000_NS6detail17trampoline_kernelINS0_14default_configENS1_38merge_sort_block_merge_config_selectorIaNS0_10empty_typeEEEZZNS1_27merge_sort_block_merge_implIS3_PaPS5_jNS1_19radix_merge_compareILb0ELb0EaNS0_19identity_decomposerEEEEE10hipError_tT0_T1_T2_jT3_P12ihipStream_tbPNSt15iterator_traitsISE_E10value_typeEPNSK_ISF_E10value_typeEPSG_NS1_7vsmem_tEENKUlT_SE_SF_SG_E_clIS8_S8_S9_S9_EESD_ST_SE_SF_SG_EUlST_E0_NS1_11comp_targetILNS1_3genE9ELNS1_11target_archE1100ELNS1_3gpuE3ELNS1_3repE0EEENS1_38merge_mergepath_config_static_selectorELNS0_4arch9wavefront6targetE0EEEvSF_.numbered_sgpr, 0
	.set _ZN7rocprim17ROCPRIM_400000_NS6detail17trampoline_kernelINS0_14default_configENS1_38merge_sort_block_merge_config_selectorIaNS0_10empty_typeEEEZZNS1_27merge_sort_block_merge_implIS3_PaPS5_jNS1_19radix_merge_compareILb0ELb0EaNS0_19identity_decomposerEEEEE10hipError_tT0_T1_T2_jT3_P12ihipStream_tbPNSt15iterator_traitsISE_E10value_typeEPNSK_ISF_E10value_typeEPSG_NS1_7vsmem_tEENKUlT_SE_SF_SG_E_clIS8_S8_S9_S9_EESD_ST_SE_SF_SG_EUlST_E0_NS1_11comp_targetILNS1_3genE9ELNS1_11target_archE1100ELNS1_3gpuE3ELNS1_3repE0EEENS1_38merge_mergepath_config_static_selectorELNS0_4arch9wavefront6targetE0EEEvSF_.num_named_barrier, 0
	.set _ZN7rocprim17ROCPRIM_400000_NS6detail17trampoline_kernelINS0_14default_configENS1_38merge_sort_block_merge_config_selectorIaNS0_10empty_typeEEEZZNS1_27merge_sort_block_merge_implIS3_PaPS5_jNS1_19radix_merge_compareILb0ELb0EaNS0_19identity_decomposerEEEEE10hipError_tT0_T1_T2_jT3_P12ihipStream_tbPNSt15iterator_traitsISE_E10value_typeEPNSK_ISF_E10value_typeEPSG_NS1_7vsmem_tEENKUlT_SE_SF_SG_E_clIS8_S8_S9_S9_EESD_ST_SE_SF_SG_EUlST_E0_NS1_11comp_targetILNS1_3genE9ELNS1_11target_archE1100ELNS1_3gpuE3ELNS1_3repE0EEENS1_38merge_mergepath_config_static_selectorELNS0_4arch9wavefront6targetE0EEEvSF_.private_seg_size, 0
	.set _ZN7rocprim17ROCPRIM_400000_NS6detail17trampoline_kernelINS0_14default_configENS1_38merge_sort_block_merge_config_selectorIaNS0_10empty_typeEEEZZNS1_27merge_sort_block_merge_implIS3_PaPS5_jNS1_19radix_merge_compareILb0ELb0EaNS0_19identity_decomposerEEEEE10hipError_tT0_T1_T2_jT3_P12ihipStream_tbPNSt15iterator_traitsISE_E10value_typeEPNSK_ISF_E10value_typeEPSG_NS1_7vsmem_tEENKUlT_SE_SF_SG_E_clIS8_S8_S9_S9_EESD_ST_SE_SF_SG_EUlST_E0_NS1_11comp_targetILNS1_3genE9ELNS1_11target_archE1100ELNS1_3gpuE3ELNS1_3repE0EEENS1_38merge_mergepath_config_static_selectorELNS0_4arch9wavefront6targetE0EEEvSF_.uses_vcc, 0
	.set _ZN7rocprim17ROCPRIM_400000_NS6detail17trampoline_kernelINS0_14default_configENS1_38merge_sort_block_merge_config_selectorIaNS0_10empty_typeEEEZZNS1_27merge_sort_block_merge_implIS3_PaPS5_jNS1_19radix_merge_compareILb0ELb0EaNS0_19identity_decomposerEEEEE10hipError_tT0_T1_T2_jT3_P12ihipStream_tbPNSt15iterator_traitsISE_E10value_typeEPNSK_ISF_E10value_typeEPSG_NS1_7vsmem_tEENKUlT_SE_SF_SG_E_clIS8_S8_S9_S9_EESD_ST_SE_SF_SG_EUlST_E0_NS1_11comp_targetILNS1_3genE9ELNS1_11target_archE1100ELNS1_3gpuE3ELNS1_3repE0EEENS1_38merge_mergepath_config_static_selectorELNS0_4arch9wavefront6targetE0EEEvSF_.uses_flat_scratch, 0
	.set _ZN7rocprim17ROCPRIM_400000_NS6detail17trampoline_kernelINS0_14default_configENS1_38merge_sort_block_merge_config_selectorIaNS0_10empty_typeEEEZZNS1_27merge_sort_block_merge_implIS3_PaPS5_jNS1_19radix_merge_compareILb0ELb0EaNS0_19identity_decomposerEEEEE10hipError_tT0_T1_T2_jT3_P12ihipStream_tbPNSt15iterator_traitsISE_E10value_typeEPNSK_ISF_E10value_typeEPSG_NS1_7vsmem_tEENKUlT_SE_SF_SG_E_clIS8_S8_S9_S9_EESD_ST_SE_SF_SG_EUlST_E0_NS1_11comp_targetILNS1_3genE9ELNS1_11target_archE1100ELNS1_3gpuE3ELNS1_3repE0EEENS1_38merge_mergepath_config_static_selectorELNS0_4arch9wavefront6targetE0EEEvSF_.has_dyn_sized_stack, 0
	.set _ZN7rocprim17ROCPRIM_400000_NS6detail17trampoline_kernelINS0_14default_configENS1_38merge_sort_block_merge_config_selectorIaNS0_10empty_typeEEEZZNS1_27merge_sort_block_merge_implIS3_PaPS5_jNS1_19radix_merge_compareILb0ELb0EaNS0_19identity_decomposerEEEEE10hipError_tT0_T1_T2_jT3_P12ihipStream_tbPNSt15iterator_traitsISE_E10value_typeEPNSK_ISF_E10value_typeEPSG_NS1_7vsmem_tEENKUlT_SE_SF_SG_E_clIS8_S8_S9_S9_EESD_ST_SE_SF_SG_EUlST_E0_NS1_11comp_targetILNS1_3genE9ELNS1_11target_archE1100ELNS1_3gpuE3ELNS1_3repE0EEENS1_38merge_mergepath_config_static_selectorELNS0_4arch9wavefront6targetE0EEEvSF_.has_recursion, 0
	.set _ZN7rocprim17ROCPRIM_400000_NS6detail17trampoline_kernelINS0_14default_configENS1_38merge_sort_block_merge_config_selectorIaNS0_10empty_typeEEEZZNS1_27merge_sort_block_merge_implIS3_PaPS5_jNS1_19radix_merge_compareILb0ELb0EaNS0_19identity_decomposerEEEEE10hipError_tT0_T1_T2_jT3_P12ihipStream_tbPNSt15iterator_traitsISE_E10value_typeEPNSK_ISF_E10value_typeEPSG_NS1_7vsmem_tEENKUlT_SE_SF_SG_E_clIS8_S8_S9_S9_EESD_ST_SE_SF_SG_EUlST_E0_NS1_11comp_targetILNS1_3genE9ELNS1_11target_archE1100ELNS1_3gpuE3ELNS1_3repE0EEENS1_38merge_mergepath_config_static_selectorELNS0_4arch9wavefront6targetE0EEEvSF_.has_indirect_call, 0
	.section	.AMDGPU.csdata,"",@progbits
; Kernel info:
; codeLenInByte = 0
; TotalNumSgprs: 0
; NumVgprs: 0
; ScratchSize: 0
; MemoryBound: 0
; FloatMode: 240
; IeeeMode: 1
; LDSByteSize: 0 bytes/workgroup (compile time only)
; SGPRBlocks: 0
; VGPRBlocks: 0
; NumSGPRsForWavesPerEU: 1
; NumVGPRsForWavesPerEU: 1
; NamedBarCnt: 0
; Occupancy: 16
; WaveLimiterHint : 0
; COMPUTE_PGM_RSRC2:SCRATCH_EN: 0
; COMPUTE_PGM_RSRC2:USER_SGPR: 2
; COMPUTE_PGM_RSRC2:TRAP_HANDLER: 0
; COMPUTE_PGM_RSRC2:TGID_X_EN: 1
; COMPUTE_PGM_RSRC2:TGID_Y_EN: 0
; COMPUTE_PGM_RSRC2:TGID_Z_EN: 0
; COMPUTE_PGM_RSRC2:TIDIG_COMP_CNT: 0
	.section	.text._ZN7rocprim17ROCPRIM_400000_NS6detail17trampoline_kernelINS0_14default_configENS1_38merge_sort_block_merge_config_selectorIaNS0_10empty_typeEEEZZNS1_27merge_sort_block_merge_implIS3_PaPS5_jNS1_19radix_merge_compareILb0ELb0EaNS0_19identity_decomposerEEEEE10hipError_tT0_T1_T2_jT3_P12ihipStream_tbPNSt15iterator_traitsISE_E10value_typeEPNSK_ISF_E10value_typeEPSG_NS1_7vsmem_tEENKUlT_SE_SF_SG_E_clIS8_S8_S9_S9_EESD_ST_SE_SF_SG_EUlST_E0_NS1_11comp_targetILNS1_3genE8ELNS1_11target_archE1030ELNS1_3gpuE2ELNS1_3repE0EEENS1_38merge_mergepath_config_static_selectorELNS0_4arch9wavefront6targetE0EEEvSF_,"axG",@progbits,_ZN7rocprim17ROCPRIM_400000_NS6detail17trampoline_kernelINS0_14default_configENS1_38merge_sort_block_merge_config_selectorIaNS0_10empty_typeEEEZZNS1_27merge_sort_block_merge_implIS3_PaPS5_jNS1_19radix_merge_compareILb0ELb0EaNS0_19identity_decomposerEEEEE10hipError_tT0_T1_T2_jT3_P12ihipStream_tbPNSt15iterator_traitsISE_E10value_typeEPNSK_ISF_E10value_typeEPSG_NS1_7vsmem_tEENKUlT_SE_SF_SG_E_clIS8_S8_S9_S9_EESD_ST_SE_SF_SG_EUlST_E0_NS1_11comp_targetILNS1_3genE8ELNS1_11target_archE1030ELNS1_3gpuE2ELNS1_3repE0EEENS1_38merge_mergepath_config_static_selectorELNS0_4arch9wavefront6targetE0EEEvSF_,comdat
	.protected	_ZN7rocprim17ROCPRIM_400000_NS6detail17trampoline_kernelINS0_14default_configENS1_38merge_sort_block_merge_config_selectorIaNS0_10empty_typeEEEZZNS1_27merge_sort_block_merge_implIS3_PaPS5_jNS1_19radix_merge_compareILb0ELb0EaNS0_19identity_decomposerEEEEE10hipError_tT0_T1_T2_jT3_P12ihipStream_tbPNSt15iterator_traitsISE_E10value_typeEPNSK_ISF_E10value_typeEPSG_NS1_7vsmem_tEENKUlT_SE_SF_SG_E_clIS8_S8_S9_S9_EESD_ST_SE_SF_SG_EUlST_E0_NS1_11comp_targetILNS1_3genE8ELNS1_11target_archE1030ELNS1_3gpuE2ELNS1_3repE0EEENS1_38merge_mergepath_config_static_selectorELNS0_4arch9wavefront6targetE0EEEvSF_ ; -- Begin function _ZN7rocprim17ROCPRIM_400000_NS6detail17trampoline_kernelINS0_14default_configENS1_38merge_sort_block_merge_config_selectorIaNS0_10empty_typeEEEZZNS1_27merge_sort_block_merge_implIS3_PaPS5_jNS1_19radix_merge_compareILb0ELb0EaNS0_19identity_decomposerEEEEE10hipError_tT0_T1_T2_jT3_P12ihipStream_tbPNSt15iterator_traitsISE_E10value_typeEPNSK_ISF_E10value_typeEPSG_NS1_7vsmem_tEENKUlT_SE_SF_SG_E_clIS8_S8_S9_S9_EESD_ST_SE_SF_SG_EUlST_E0_NS1_11comp_targetILNS1_3genE8ELNS1_11target_archE1030ELNS1_3gpuE2ELNS1_3repE0EEENS1_38merge_mergepath_config_static_selectorELNS0_4arch9wavefront6targetE0EEEvSF_
	.globl	_ZN7rocprim17ROCPRIM_400000_NS6detail17trampoline_kernelINS0_14default_configENS1_38merge_sort_block_merge_config_selectorIaNS0_10empty_typeEEEZZNS1_27merge_sort_block_merge_implIS3_PaPS5_jNS1_19radix_merge_compareILb0ELb0EaNS0_19identity_decomposerEEEEE10hipError_tT0_T1_T2_jT3_P12ihipStream_tbPNSt15iterator_traitsISE_E10value_typeEPNSK_ISF_E10value_typeEPSG_NS1_7vsmem_tEENKUlT_SE_SF_SG_E_clIS8_S8_S9_S9_EESD_ST_SE_SF_SG_EUlST_E0_NS1_11comp_targetILNS1_3genE8ELNS1_11target_archE1030ELNS1_3gpuE2ELNS1_3repE0EEENS1_38merge_mergepath_config_static_selectorELNS0_4arch9wavefront6targetE0EEEvSF_
	.p2align	8
	.type	_ZN7rocprim17ROCPRIM_400000_NS6detail17trampoline_kernelINS0_14default_configENS1_38merge_sort_block_merge_config_selectorIaNS0_10empty_typeEEEZZNS1_27merge_sort_block_merge_implIS3_PaPS5_jNS1_19radix_merge_compareILb0ELb0EaNS0_19identity_decomposerEEEEE10hipError_tT0_T1_T2_jT3_P12ihipStream_tbPNSt15iterator_traitsISE_E10value_typeEPNSK_ISF_E10value_typeEPSG_NS1_7vsmem_tEENKUlT_SE_SF_SG_E_clIS8_S8_S9_S9_EESD_ST_SE_SF_SG_EUlST_E0_NS1_11comp_targetILNS1_3genE8ELNS1_11target_archE1030ELNS1_3gpuE2ELNS1_3repE0EEENS1_38merge_mergepath_config_static_selectorELNS0_4arch9wavefront6targetE0EEEvSF_,@function
_ZN7rocprim17ROCPRIM_400000_NS6detail17trampoline_kernelINS0_14default_configENS1_38merge_sort_block_merge_config_selectorIaNS0_10empty_typeEEEZZNS1_27merge_sort_block_merge_implIS3_PaPS5_jNS1_19radix_merge_compareILb0ELb0EaNS0_19identity_decomposerEEEEE10hipError_tT0_T1_T2_jT3_P12ihipStream_tbPNSt15iterator_traitsISE_E10value_typeEPNSK_ISF_E10value_typeEPSG_NS1_7vsmem_tEENKUlT_SE_SF_SG_E_clIS8_S8_S9_S9_EESD_ST_SE_SF_SG_EUlST_E0_NS1_11comp_targetILNS1_3genE8ELNS1_11target_archE1030ELNS1_3gpuE2ELNS1_3repE0EEENS1_38merge_mergepath_config_static_selectorELNS0_4arch9wavefront6targetE0EEEvSF_: ; @_ZN7rocprim17ROCPRIM_400000_NS6detail17trampoline_kernelINS0_14default_configENS1_38merge_sort_block_merge_config_selectorIaNS0_10empty_typeEEEZZNS1_27merge_sort_block_merge_implIS3_PaPS5_jNS1_19radix_merge_compareILb0ELb0EaNS0_19identity_decomposerEEEEE10hipError_tT0_T1_T2_jT3_P12ihipStream_tbPNSt15iterator_traitsISE_E10value_typeEPNSK_ISF_E10value_typeEPSG_NS1_7vsmem_tEENKUlT_SE_SF_SG_E_clIS8_S8_S9_S9_EESD_ST_SE_SF_SG_EUlST_E0_NS1_11comp_targetILNS1_3genE8ELNS1_11target_archE1030ELNS1_3gpuE2ELNS1_3repE0EEENS1_38merge_mergepath_config_static_selectorELNS0_4arch9wavefront6targetE0EEEvSF_
; %bb.0:
	.section	.rodata,"a",@progbits
	.p2align	6, 0x0
	.amdhsa_kernel _ZN7rocprim17ROCPRIM_400000_NS6detail17trampoline_kernelINS0_14default_configENS1_38merge_sort_block_merge_config_selectorIaNS0_10empty_typeEEEZZNS1_27merge_sort_block_merge_implIS3_PaPS5_jNS1_19radix_merge_compareILb0ELb0EaNS0_19identity_decomposerEEEEE10hipError_tT0_T1_T2_jT3_P12ihipStream_tbPNSt15iterator_traitsISE_E10value_typeEPNSK_ISF_E10value_typeEPSG_NS1_7vsmem_tEENKUlT_SE_SF_SG_E_clIS8_S8_S9_S9_EESD_ST_SE_SF_SG_EUlST_E0_NS1_11comp_targetILNS1_3genE8ELNS1_11target_archE1030ELNS1_3gpuE2ELNS1_3repE0EEENS1_38merge_mergepath_config_static_selectorELNS0_4arch9wavefront6targetE0EEEvSF_
		.amdhsa_group_segment_fixed_size 0
		.amdhsa_private_segment_fixed_size 0
		.amdhsa_kernarg_size 64
		.amdhsa_user_sgpr_count 2
		.amdhsa_user_sgpr_dispatch_ptr 0
		.amdhsa_user_sgpr_queue_ptr 0
		.amdhsa_user_sgpr_kernarg_segment_ptr 1
		.amdhsa_user_sgpr_dispatch_id 0
		.amdhsa_user_sgpr_kernarg_preload_length 0
		.amdhsa_user_sgpr_kernarg_preload_offset 0
		.amdhsa_user_sgpr_private_segment_size 0
		.amdhsa_wavefront_size32 1
		.amdhsa_uses_dynamic_stack 0
		.amdhsa_enable_private_segment 0
		.amdhsa_system_sgpr_workgroup_id_x 1
		.amdhsa_system_sgpr_workgroup_id_y 0
		.amdhsa_system_sgpr_workgroup_id_z 0
		.amdhsa_system_sgpr_workgroup_info 0
		.amdhsa_system_vgpr_workitem_id 0
		.amdhsa_next_free_vgpr 1
		.amdhsa_next_free_sgpr 1
		.amdhsa_named_barrier_count 0
		.amdhsa_reserve_vcc 0
		.amdhsa_float_round_mode_32 0
		.amdhsa_float_round_mode_16_64 0
		.amdhsa_float_denorm_mode_32 3
		.amdhsa_float_denorm_mode_16_64 3
		.amdhsa_fp16_overflow 0
		.amdhsa_memory_ordered 1
		.amdhsa_forward_progress 1
		.amdhsa_inst_pref_size 0
		.amdhsa_round_robin_scheduling 0
		.amdhsa_exception_fp_ieee_invalid_op 0
		.amdhsa_exception_fp_denorm_src 0
		.amdhsa_exception_fp_ieee_div_zero 0
		.amdhsa_exception_fp_ieee_overflow 0
		.amdhsa_exception_fp_ieee_underflow 0
		.amdhsa_exception_fp_ieee_inexact 0
		.amdhsa_exception_int_div_zero 0
	.end_amdhsa_kernel
	.section	.text._ZN7rocprim17ROCPRIM_400000_NS6detail17trampoline_kernelINS0_14default_configENS1_38merge_sort_block_merge_config_selectorIaNS0_10empty_typeEEEZZNS1_27merge_sort_block_merge_implIS3_PaPS5_jNS1_19radix_merge_compareILb0ELb0EaNS0_19identity_decomposerEEEEE10hipError_tT0_T1_T2_jT3_P12ihipStream_tbPNSt15iterator_traitsISE_E10value_typeEPNSK_ISF_E10value_typeEPSG_NS1_7vsmem_tEENKUlT_SE_SF_SG_E_clIS8_S8_S9_S9_EESD_ST_SE_SF_SG_EUlST_E0_NS1_11comp_targetILNS1_3genE8ELNS1_11target_archE1030ELNS1_3gpuE2ELNS1_3repE0EEENS1_38merge_mergepath_config_static_selectorELNS0_4arch9wavefront6targetE0EEEvSF_,"axG",@progbits,_ZN7rocprim17ROCPRIM_400000_NS6detail17trampoline_kernelINS0_14default_configENS1_38merge_sort_block_merge_config_selectorIaNS0_10empty_typeEEEZZNS1_27merge_sort_block_merge_implIS3_PaPS5_jNS1_19radix_merge_compareILb0ELb0EaNS0_19identity_decomposerEEEEE10hipError_tT0_T1_T2_jT3_P12ihipStream_tbPNSt15iterator_traitsISE_E10value_typeEPNSK_ISF_E10value_typeEPSG_NS1_7vsmem_tEENKUlT_SE_SF_SG_E_clIS8_S8_S9_S9_EESD_ST_SE_SF_SG_EUlST_E0_NS1_11comp_targetILNS1_3genE8ELNS1_11target_archE1030ELNS1_3gpuE2ELNS1_3repE0EEENS1_38merge_mergepath_config_static_selectorELNS0_4arch9wavefront6targetE0EEEvSF_,comdat
.Lfunc_end415:
	.size	_ZN7rocprim17ROCPRIM_400000_NS6detail17trampoline_kernelINS0_14default_configENS1_38merge_sort_block_merge_config_selectorIaNS0_10empty_typeEEEZZNS1_27merge_sort_block_merge_implIS3_PaPS5_jNS1_19radix_merge_compareILb0ELb0EaNS0_19identity_decomposerEEEEE10hipError_tT0_T1_T2_jT3_P12ihipStream_tbPNSt15iterator_traitsISE_E10value_typeEPNSK_ISF_E10value_typeEPSG_NS1_7vsmem_tEENKUlT_SE_SF_SG_E_clIS8_S8_S9_S9_EESD_ST_SE_SF_SG_EUlST_E0_NS1_11comp_targetILNS1_3genE8ELNS1_11target_archE1030ELNS1_3gpuE2ELNS1_3repE0EEENS1_38merge_mergepath_config_static_selectorELNS0_4arch9wavefront6targetE0EEEvSF_, .Lfunc_end415-_ZN7rocprim17ROCPRIM_400000_NS6detail17trampoline_kernelINS0_14default_configENS1_38merge_sort_block_merge_config_selectorIaNS0_10empty_typeEEEZZNS1_27merge_sort_block_merge_implIS3_PaPS5_jNS1_19radix_merge_compareILb0ELb0EaNS0_19identity_decomposerEEEEE10hipError_tT0_T1_T2_jT3_P12ihipStream_tbPNSt15iterator_traitsISE_E10value_typeEPNSK_ISF_E10value_typeEPSG_NS1_7vsmem_tEENKUlT_SE_SF_SG_E_clIS8_S8_S9_S9_EESD_ST_SE_SF_SG_EUlST_E0_NS1_11comp_targetILNS1_3genE8ELNS1_11target_archE1030ELNS1_3gpuE2ELNS1_3repE0EEENS1_38merge_mergepath_config_static_selectorELNS0_4arch9wavefront6targetE0EEEvSF_
                                        ; -- End function
	.set _ZN7rocprim17ROCPRIM_400000_NS6detail17trampoline_kernelINS0_14default_configENS1_38merge_sort_block_merge_config_selectorIaNS0_10empty_typeEEEZZNS1_27merge_sort_block_merge_implIS3_PaPS5_jNS1_19radix_merge_compareILb0ELb0EaNS0_19identity_decomposerEEEEE10hipError_tT0_T1_T2_jT3_P12ihipStream_tbPNSt15iterator_traitsISE_E10value_typeEPNSK_ISF_E10value_typeEPSG_NS1_7vsmem_tEENKUlT_SE_SF_SG_E_clIS8_S8_S9_S9_EESD_ST_SE_SF_SG_EUlST_E0_NS1_11comp_targetILNS1_3genE8ELNS1_11target_archE1030ELNS1_3gpuE2ELNS1_3repE0EEENS1_38merge_mergepath_config_static_selectorELNS0_4arch9wavefront6targetE0EEEvSF_.num_vgpr, 0
	.set _ZN7rocprim17ROCPRIM_400000_NS6detail17trampoline_kernelINS0_14default_configENS1_38merge_sort_block_merge_config_selectorIaNS0_10empty_typeEEEZZNS1_27merge_sort_block_merge_implIS3_PaPS5_jNS1_19radix_merge_compareILb0ELb0EaNS0_19identity_decomposerEEEEE10hipError_tT0_T1_T2_jT3_P12ihipStream_tbPNSt15iterator_traitsISE_E10value_typeEPNSK_ISF_E10value_typeEPSG_NS1_7vsmem_tEENKUlT_SE_SF_SG_E_clIS8_S8_S9_S9_EESD_ST_SE_SF_SG_EUlST_E0_NS1_11comp_targetILNS1_3genE8ELNS1_11target_archE1030ELNS1_3gpuE2ELNS1_3repE0EEENS1_38merge_mergepath_config_static_selectorELNS0_4arch9wavefront6targetE0EEEvSF_.num_agpr, 0
	.set _ZN7rocprim17ROCPRIM_400000_NS6detail17trampoline_kernelINS0_14default_configENS1_38merge_sort_block_merge_config_selectorIaNS0_10empty_typeEEEZZNS1_27merge_sort_block_merge_implIS3_PaPS5_jNS1_19radix_merge_compareILb0ELb0EaNS0_19identity_decomposerEEEEE10hipError_tT0_T1_T2_jT3_P12ihipStream_tbPNSt15iterator_traitsISE_E10value_typeEPNSK_ISF_E10value_typeEPSG_NS1_7vsmem_tEENKUlT_SE_SF_SG_E_clIS8_S8_S9_S9_EESD_ST_SE_SF_SG_EUlST_E0_NS1_11comp_targetILNS1_3genE8ELNS1_11target_archE1030ELNS1_3gpuE2ELNS1_3repE0EEENS1_38merge_mergepath_config_static_selectorELNS0_4arch9wavefront6targetE0EEEvSF_.numbered_sgpr, 0
	.set _ZN7rocprim17ROCPRIM_400000_NS6detail17trampoline_kernelINS0_14default_configENS1_38merge_sort_block_merge_config_selectorIaNS0_10empty_typeEEEZZNS1_27merge_sort_block_merge_implIS3_PaPS5_jNS1_19radix_merge_compareILb0ELb0EaNS0_19identity_decomposerEEEEE10hipError_tT0_T1_T2_jT3_P12ihipStream_tbPNSt15iterator_traitsISE_E10value_typeEPNSK_ISF_E10value_typeEPSG_NS1_7vsmem_tEENKUlT_SE_SF_SG_E_clIS8_S8_S9_S9_EESD_ST_SE_SF_SG_EUlST_E0_NS1_11comp_targetILNS1_3genE8ELNS1_11target_archE1030ELNS1_3gpuE2ELNS1_3repE0EEENS1_38merge_mergepath_config_static_selectorELNS0_4arch9wavefront6targetE0EEEvSF_.num_named_barrier, 0
	.set _ZN7rocprim17ROCPRIM_400000_NS6detail17trampoline_kernelINS0_14default_configENS1_38merge_sort_block_merge_config_selectorIaNS0_10empty_typeEEEZZNS1_27merge_sort_block_merge_implIS3_PaPS5_jNS1_19radix_merge_compareILb0ELb0EaNS0_19identity_decomposerEEEEE10hipError_tT0_T1_T2_jT3_P12ihipStream_tbPNSt15iterator_traitsISE_E10value_typeEPNSK_ISF_E10value_typeEPSG_NS1_7vsmem_tEENKUlT_SE_SF_SG_E_clIS8_S8_S9_S9_EESD_ST_SE_SF_SG_EUlST_E0_NS1_11comp_targetILNS1_3genE8ELNS1_11target_archE1030ELNS1_3gpuE2ELNS1_3repE0EEENS1_38merge_mergepath_config_static_selectorELNS0_4arch9wavefront6targetE0EEEvSF_.private_seg_size, 0
	.set _ZN7rocprim17ROCPRIM_400000_NS6detail17trampoline_kernelINS0_14default_configENS1_38merge_sort_block_merge_config_selectorIaNS0_10empty_typeEEEZZNS1_27merge_sort_block_merge_implIS3_PaPS5_jNS1_19radix_merge_compareILb0ELb0EaNS0_19identity_decomposerEEEEE10hipError_tT0_T1_T2_jT3_P12ihipStream_tbPNSt15iterator_traitsISE_E10value_typeEPNSK_ISF_E10value_typeEPSG_NS1_7vsmem_tEENKUlT_SE_SF_SG_E_clIS8_S8_S9_S9_EESD_ST_SE_SF_SG_EUlST_E0_NS1_11comp_targetILNS1_3genE8ELNS1_11target_archE1030ELNS1_3gpuE2ELNS1_3repE0EEENS1_38merge_mergepath_config_static_selectorELNS0_4arch9wavefront6targetE0EEEvSF_.uses_vcc, 0
	.set _ZN7rocprim17ROCPRIM_400000_NS6detail17trampoline_kernelINS0_14default_configENS1_38merge_sort_block_merge_config_selectorIaNS0_10empty_typeEEEZZNS1_27merge_sort_block_merge_implIS3_PaPS5_jNS1_19radix_merge_compareILb0ELb0EaNS0_19identity_decomposerEEEEE10hipError_tT0_T1_T2_jT3_P12ihipStream_tbPNSt15iterator_traitsISE_E10value_typeEPNSK_ISF_E10value_typeEPSG_NS1_7vsmem_tEENKUlT_SE_SF_SG_E_clIS8_S8_S9_S9_EESD_ST_SE_SF_SG_EUlST_E0_NS1_11comp_targetILNS1_3genE8ELNS1_11target_archE1030ELNS1_3gpuE2ELNS1_3repE0EEENS1_38merge_mergepath_config_static_selectorELNS0_4arch9wavefront6targetE0EEEvSF_.uses_flat_scratch, 0
	.set _ZN7rocprim17ROCPRIM_400000_NS6detail17trampoline_kernelINS0_14default_configENS1_38merge_sort_block_merge_config_selectorIaNS0_10empty_typeEEEZZNS1_27merge_sort_block_merge_implIS3_PaPS5_jNS1_19radix_merge_compareILb0ELb0EaNS0_19identity_decomposerEEEEE10hipError_tT0_T1_T2_jT3_P12ihipStream_tbPNSt15iterator_traitsISE_E10value_typeEPNSK_ISF_E10value_typeEPSG_NS1_7vsmem_tEENKUlT_SE_SF_SG_E_clIS8_S8_S9_S9_EESD_ST_SE_SF_SG_EUlST_E0_NS1_11comp_targetILNS1_3genE8ELNS1_11target_archE1030ELNS1_3gpuE2ELNS1_3repE0EEENS1_38merge_mergepath_config_static_selectorELNS0_4arch9wavefront6targetE0EEEvSF_.has_dyn_sized_stack, 0
	.set _ZN7rocprim17ROCPRIM_400000_NS6detail17trampoline_kernelINS0_14default_configENS1_38merge_sort_block_merge_config_selectorIaNS0_10empty_typeEEEZZNS1_27merge_sort_block_merge_implIS3_PaPS5_jNS1_19radix_merge_compareILb0ELb0EaNS0_19identity_decomposerEEEEE10hipError_tT0_T1_T2_jT3_P12ihipStream_tbPNSt15iterator_traitsISE_E10value_typeEPNSK_ISF_E10value_typeEPSG_NS1_7vsmem_tEENKUlT_SE_SF_SG_E_clIS8_S8_S9_S9_EESD_ST_SE_SF_SG_EUlST_E0_NS1_11comp_targetILNS1_3genE8ELNS1_11target_archE1030ELNS1_3gpuE2ELNS1_3repE0EEENS1_38merge_mergepath_config_static_selectorELNS0_4arch9wavefront6targetE0EEEvSF_.has_recursion, 0
	.set _ZN7rocprim17ROCPRIM_400000_NS6detail17trampoline_kernelINS0_14default_configENS1_38merge_sort_block_merge_config_selectorIaNS0_10empty_typeEEEZZNS1_27merge_sort_block_merge_implIS3_PaPS5_jNS1_19radix_merge_compareILb0ELb0EaNS0_19identity_decomposerEEEEE10hipError_tT0_T1_T2_jT3_P12ihipStream_tbPNSt15iterator_traitsISE_E10value_typeEPNSK_ISF_E10value_typeEPSG_NS1_7vsmem_tEENKUlT_SE_SF_SG_E_clIS8_S8_S9_S9_EESD_ST_SE_SF_SG_EUlST_E0_NS1_11comp_targetILNS1_3genE8ELNS1_11target_archE1030ELNS1_3gpuE2ELNS1_3repE0EEENS1_38merge_mergepath_config_static_selectorELNS0_4arch9wavefront6targetE0EEEvSF_.has_indirect_call, 0
	.section	.AMDGPU.csdata,"",@progbits
; Kernel info:
; codeLenInByte = 0
; TotalNumSgprs: 0
; NumVgprs: 0
; ScratchSize: 0
; MemoryBound: 0
; FloatMode: 240
; IeeeMode: 1
; LDSByteSize: 0 bytes/workgroup (compile time only)
; SGPRBlocks: 0
; VGPRBlocks: 0
; NumSGPRsForWavesPerEU: 1
; NumVGPRsForWavesPerEU: 1
; NamedBarCnt: 0
; Occupancy: 16
; WaveLimiterHint : 0
; COMPUTE_PGM_RSRC2:SCRATCH_EN: 0
; COMPUTE_PGM_RSRC2:USER_SGPR: 2
; COMPUTE_PGM_RSRC2:TRAP_HANDLER: 0
; COMPUTE_PGM_RSRC2:TGID_X_EN: 1
; COMPUTE_PGM_RSRC2:TGID_Y_EN: 0
; COMPUTE_PGM_RSRC2:TGID_Z_EN: 0
; COMPUTE_PGM_RSRC2:TIDIG_COMP_CNT: 0
	.section	.text._ZN7rocprim17ROCPRIM_400000_NS6detail17trampoline_kernelINS0_14default_configENS1_38merge_sort_block_merge_config_selectorIaNS0_10empty_typeEEEZZNS1_27merge_sort_block_merge_implIS3_PaPS5_jNS1_19radix_merge_compareILb0ELb0EaNS0_19identity_decomposerEEEEE10hipError_tT0_T1_T2_jT3_P12ihipStream_tbPNSt15iterator_traitsISE_E10value_typeEPNSK_ISF_E10value_typeEPSG_NS1_7vsmem_tEENKUlT_SE_SF_SG_E_clIS8_S8_S9_S9_EESD_ST_SE_SF_SG_EUlST_E1_NS1_11comp_targetILNS1_3genE0ELNS1_11target_archE4294967295ELNS1_3gpuE0ELNS1_3repE0EEENS1_36merge_oddeven_config_static_selectorELNS0_4arch9wavefront6targetE0EEEvSF_,"axG",@progbits,_ZN7rocprim17ROCPRIM_400000_NS6detail17trampoline_kernelINS0_14default_configENS1_38merge_sort_block_merge_config_selectorIaNS0_10empty_typeEEEZZNS1_27merge_sort_block_merge_implIS3_PaPS5_jNS1_19radix_merge_compareILb0ELb0EaNS0_19identity_decomposerEEEEE10hipError_tT0_T1_T2_jT3_P12ihipStream_tbPNSt15iterator_traitsISE_E10value_typeEPNSK_ISF_E10value_typeEPSG_NS1_7vsmem_tEENKUlT_SE_SF_SG_E_clIS8_S8_S9_S9_EESD_ST_SE_SF_SG_EUlST_E1_NS1_11comp_targetILNS1_3genE0ELNS1_11target_archE4294967295ELNS1_3gpuE0ELNS1_3repE0EEENS1_36merge_oddeven_config_static_selectorELNS0_4arch9wavefront6targetE0EEEvSF_,comdat
	.protected	_ZN7rocprim17ROCPRIM_400000_NS6detail17trampoline_kernelINS0_14default_configENS1_38merge_sort_block_merge_config_selectorIaNS0_10empty_typeEEEZZNS1_27merge_sort_block_merge_implIS3_PaPS5_jNS1_19radix_merge_compareILb0ELb0EaNS0_19identity_decomposerEEEEE10hipError_tT0_T1_T2_jT3_P12ihipStream_tbPNSt15iterator_traitsISE_E10value_typeEPNSK_ISF_E10value_typeEPSG_NS1_7vsmem_tEENKUlT_SE_SF_SG_E_clIS8_S8_S9_S9_EESD_ST_SE_SF_SG_EUlST_E1_NS1_11comp_targetILNS1_3genE0ELNS1_11target_archE4294967295ELNS1_3gpuE0ELNS1_3repE0EEENS1_36merge_oddeven_config_static_selectorELNS0_4arch9wavefront6targetE0EEEvSF_ ; -- Begin function _ZN7rocprim17ROCPRIM_400000_NS6detail17trampoline_kernelINS0_14default_configENS1_38merge_sort_block_merge_config_selectorIaNS0_10empty_typeEEEZZNS1_27merge_sort_block_merge_implIS3_PaPS5_jNS1_19radix_merge_compareILb0ELb0EaNS0_19identity_decomposerEEEEE10hipError_tT0_T1_T2_jT3_P12ihipStream_tbPNSt15iterator_traitsISE_E10value_typeEPNSK_ISF_E10value_typeEPSG_NS1_7vsmem_tEENKUlT_SE_SF_SG_E_clIS8_S8_S9_S9_EESD_ST_SE_SF_SG_EUlST_E1_NS1_11comp_targetILNS1_3genE0ELNS1_11target_archE4294967295ELNS1_3gpuE0ELNS1_3repE0EEENS1_36merge_oddeven_config_static_selectorELNS0_4arch9wavefront6targetE0EEEvSF_
	.globl	_ZN7rocprim17ROCPRIM_400000_NS6detail17trampoline_kernelINS0_14default_configENS1_38merge_sort_block_merge_config_selectorIaNS0_10empty_typeEEEZZNS1_27merge_sort_block_merge_implIS3_PaPS5_jNS1_19radix_merge_compareILb0ELb0EaNS0_19identity_decomposerEEEEE10hipError_tT0_T1_T2_jT3_P12ihipStream_tbPNSt15iterator_traitsISE_E10value_typeEPNSK_ISF_E10value_typeEPSG_NS1_7vsmem_tEENKUlT_SE_SF_SG_E_clIS8_S8_S9_S9_EESD_ST_SE_SF_SG_EUlST_E1_NS1_11comp_targetILNS1_3genE0ELNS1_11target_archE4294967295ELNS1_3gpuE0ELNS1_3repE0EEENS1_36merge_oddeven_config_static_selectorELNS0_4arch9wavefront6targetE0EEEvSF_
	.p2align	8
	.type	_ZN7rocprim17ROCPRIM_400000_NS6detail17trampoline_kernelINS0_14default_configENS1_38merge_sort_block_merge_config_selectorIaNS0_10empty_typeEEEZZNS1_27merge_sort_block_merge_implIS3_PaPS5_jNS1_19radix_merge_compareILb0ELb0EaNS0_19identity_decomposerEEEEE10hipError_tT0_T1_T2_jT3_P12ihipStream_tbPNSt15iterator_traitsISE_E10value_typeEPNSK_ISF_E10value_typeEPSG_NS1_7vsmem_tEENKUlT_SE_SF_SG_E_clIS8_S8_S9_S9_EESD_ST_SE_SF_SG_EUlST_E1_NS1_11comp_targetILNS1_3genE0ELNS1_11target_archE4294967295ELNS1_3gpuE0ELNS1_3repE0EEENS1_36merge_oddeven_config_static_selectorELNS0_4arch9wavefront6targetE0EEEvSF_,@function
_ZN7rocprim17ROCPRIM_400000_NS6detail17trampoline_kernelINS0_14default_configENS1_38merge_sort_block_merge_config_selectorIaNS0_10empty_typeEEEZZNS1_27merge_sort_block_merge_implIS3_PaPS5_jNS1_19radix_merge_compareILb0ELb0EaNS0_19identity_decomposerEEEEE10hipError_tT0_T1_T2_jT3_P12ihipStream_tbPNSt15iterator_traitsISE_E10value_typeEPNSK_ISF_E10value_typeEPSG_NS1_7vsmem_tEENKUlT_SE_SF_SG_E_clIS8_S8_S9_S9_EESD_ST_SE_SF_SG_EUlST_E1_NS1_11comp_targetILNS1_3genE0ELNS1_11target_archE4294967295ELNS1_3gpuE0ELNS1_3repE0EEENS1_36merge_oddeven_config_static_selectorELNS0_4arch9wavefront6targetE0EEEvSF_: ; @_ZN7rocprim17ROCPRIM_400000_NS6detail17trampoline_kernelINS0_14default_configENS1_38merge_sort_block_merge_config_selectorIaNS0_10empty_typeEEEZZNS1_27merge_sort_block_merge_implIS3_PaPS5_jNS1_19radix_merge_compareILb0ELb0EaNS0_19identity_decomposerEEEEE10hipError_tT0_T1_T2_jT3_P12ihipStream_tbPNSt15iterator_traitsISE_E10value_typeEPNSK_ISF_E10value_typeEPSG_NS1_7vsmem_tEENKUlT_SE_SF_SG_E_clIS8_S8_S9_S9_EESD_ST_SE_SF_SG_EUlST_E1_NS1_11comp_targetILNS1_3genE0ELNS1_11target_archE4294967295ELNS1_3gpuE0ELNS1_3repE0EEENS1_36merge_oddeven_config_static_selectorELNS0_4arch9wavefront6targetE0EEEvSF_
; %bb.0:
	s_load_b32 s10, s[0:1], 0x20
	s_bfe_u32 s2, ttmp6, 0x4000c
	s_and_b32 s3, ttmp6, 15
	s_add_co_i32 s2, s2, 1
	s_getreg_b32 s4, hwreg(HW_REG_IB_STS2, 6, 4)
	s_mul_i32 s2, ttmp9, s2
	s_mov_b32 s9, 0
	s_add_co_i32 s3, s3, s2
	s_cmp_eq_u32 s4, 0
	s_cselect_b32 s13, ttmp9, s3
	s_wait_kmcnt 0x0
	s_lshr_b32 s2, s10, 8
	s_delay_alu instid0(SALU_CYCLE_1) | instskip(SKIP_4) | instid1(SALU_CYCLE_1)
	s_cmp_lg_u32 s13, s2
	s_cselect_b32 s3, -1, 0
	s_cmp_eq_u32 s13, s2
	s_cselect_b32 s11, -1, 0
	s_lshl_b32 s8, s13, 8
	s_sub_co_i32 s2, s10, s8
	s_delay_alu instid0(SALU_CYCLE_1) | instskip(SKIP_1) | instid1(SALU_CYCLE_1)
	v_cmp_gt_u32_e64 s2, s2, v0
	s_or_b32 s4, s3, s2
	s_and_saveexec_b32 s5, s4
	s_cbranch_execz .LBB416_20
; %bb.1:
	s_clause 0x1
	s_load_b128 s[4:7], s[0:1], 0x0
	s_load_b32 s12, s[0:1], 0x24
	v_add_nc_u32_e32 v2, s8, v0
	s_wait_kmcnt 0x0
	s_add_nc_u64 s[0:1], s[4:5], s[8:9]
	global_load_i8 v1, v0, s[0:1]
	s_wait_xcnt 0x0
	s_lshr_b32 s0, s12, 8
	s_delay_alu instid0(SALU_CYCLE_1) | instskip(NEXT) | instid1(SALU_CYCLE_1)
	s_sub_co_i32 s1, 0, s0
	s_and_b32 s1, s13, s1
	s_delay_alu instid0(SALU_CYCLE_1) | instskip(SKIP_4) | instid1(SALU_CYCLE_1)
	s_and_b32 s0, s1, s0
	s_lshl_b32 s13, s1, 8
	s_sub_co_i32 s1, 0, s12
	s_cmp_eq_u32 s0, 0
	s_cselect_b32 s0, -1, 0
	s_and_b32 s14, s0, exec_lo
	s_cselect_b32 s1, s12, s1
	s_delay_alu instid0(SALU_CYCLE_1) | instskip(NEXT) | instid1(SALU_CYCLE_1)
	s_add_co_i32 s1, s1, s13
	s_cmp_gt_u32 s10, s1
	s_cbranch_scc1 .LBB416_3
; %bb.2:
	v_cmp_gt_u32_e32 vcc_lo, s10, v2
	s_or_b32 s8, vcc_lo, s3
	s_delay_alu instid0(SALU_CYCLE_1)
	s_and_b32 s9, s8, exec_lo
	s_cbranch_execz .LBB416_4
	s_branch .LBB416_18
.LBB416_3:
.LBB416_4:
	s_min_u32 s3, s1, s10
	s_and_b32 vcc_lo, exec_lo, s11
	s_add_co_i32 s8, s13, s3
	s_add_co_i32 s12, s3, s12
	v_subrev_nc_u32_e32 v0, s8, v2
	s_min_u32 s8, s13, s3
	s_delay_alu instid0(VALU_DEP_1) | instid1(SALU_CYCLE_1)
	v_add_nc_u32_e32 v0, s8, v0
	s_min_u32 s8, s12, s10
	s_cbranch_vccz .LBB416_12
; %bb.5:
                                        ; implicit-def: $vgpr2
	s_and_saveexec_b32 s10, s2
	s_cbranch_execz .LBB416_11
; %bb.6:
	v_mov_b32_e32 v2, s3
	s_cmp_ge_u32 s1, s8
	s_cbranch_scc1 .LBB416_10
; %bb.7:
	v_dual_mov_b32 v3, s8 :: v_dual_mov_b32 v2, s3
	s_mov_b32 s2, 0
.LBB416_8:                              ; =>This Inner Loop Header: Depth=1
	s_delay_alu instid0(VALU_DEP_1) | instskip(NEXT) | instid1(VALU_DEP_1)
	v_add_nc_u32_e32 v4, v2, v3
	v_lshrrev_b32_e32 v4, 1, v4
	global_load_i8 v5, v4, s[4:5]
	s_wait_loadcnt 0x0
	v_cmp_gt_i16_e32 vcc_lo, v1, v5
	v_cndmask_b32_e64 v6, 0, 1, vcc_lo
	v_cmp_le_i16_e32 vcc_lo, v5, v1
	v_cndmask_b32_e64 v5, 0, 1, vcc_lo
	s_delay_alu instid0(VALU_DEP_1) | instskip(NEXT) | instid1(VALU_DEP_1)
	v_cndmask_b32_e64 v5, v5, v6, s0
	v_and_b32_e32 v5, 1, v5
	s_delay_alu instid0(VALU_DEP_1) | instskip(SKIP_1) | instid1(VALU_DEP_1)
	v_cmp_eq_u32_e32 vcc_lo, 1, v5
	v_dual_cndmask_b32 v3, v4, v3 :: v_dual_add_nc_u32 v6, 1, v4
	v_cndmask_b32_e32 v2, v2, v6, vcc_lo
	s_delay_alu instid0(VALU_DEP_1) | instskip(SKIP_1) | instid1(SALU_CYCLE_1)
	v_cmp_ge_u32_e32 vcc_lo, v2, v3
	s_or_b32 s2, vcc_lo, s2
	s_and_not1_b32 exec_lo, exec_lo, s2
	s_cbranch_execnz .LBB416_8
; %bb.9:
	s_or_b32 exec_lo, exec_lo, s2
.LBB416_10:
	s_delay_alu instid0(VALU_DEP_1)
	v_add_nc_u32_e32 v2, v2, v0
	s_or_b32 s9, s9, exec_lo
.LBB416_11:
	s_or_b32 exec_lo, exec_lo, s10
	s_branch .LBB416_18
.LBB416_12:
                                        ; implicit-def: $vgpr2
	s_cbranch_execz .LBB416_18
; %bb.13:
	v_mov_b32_e32 v2, s3
	s_cmp_ge_u32 s1, s8
	s_cbranch_scc1 .LBB416_17
; %bb.14:
	v_dual_mov_b32 v3, s8 :: v_dual_mov_b32 v2, s3
	s_mov_b32 s1, 0
.LBB416_15:                             ; =>This Inner Loop Header: Depth=1
	s_delay_alu instid0(VALU_DEP_1) | instskip(NEXT) | instid1(VALU_DEP_1)
	v_add_nc_u32_e32 v4, v2, v3
	v_lshrrev_b32_e32 v4, 1, v4
	global_load_i8 v5, v4, s[4:5]
	s_wait_loadcnt 0x0
	v_cmp_gt_i16_e32 vcc_lo, v1, v5
	v_cndmask_b32_e64 v6, 0, 1, vcc_lo
	v_cmp_le_i16_e32 vcc_lo, v5, v1
	v_cndmask_b32_e64 v5, 0, 1, vcc_lo
	s_delay_alu instid0(VALU_DEP_1) | instskip(NEXT) | instid1(VALU_DEP_1)
	v_cndmask_b32_e64 v5, v5, v6, s0
	v_and_b32_e32 v5, 1, v5
	s_delay_alu instid0(VALU_DEP_1) | instskip(SKIP_1) | instid1(VALU_DEP_1)
	v_cmp_eq_u32_e32 vcc_lo, 1, v5
	v_dual_cndmask_b32 v3, v4, v3 :: v_dual_add_nc_u32 v6, 1, v4
	v_cndmask_b32_e32 v2, v2, v6, vcc_lo
	s_delay_alu instid0(VALU_DEP_1) | instskip(SKIP_1) | instid1(SALU_CYCLE_1)
	v_cmp_ge_u32_e32 vcc_lo, v2, v3
	s_or_b32 s1, vcc_lo, s1
	s_and_not1_b32 exec_lo, exec_lo, s1
	s_cbranch_execnz .LBB416_15
; %bb.16:
	s_or_b32 exec_lo, exec_lo, s1
.LBB416_17:
	s_delay_alu instid0(VALU_DEP_1)
	v_add_nc_u32_e32 v2, v2, v0
	s_mov_b32 s9, -1
.LBB416_18:
	s_delay_alu instid0(SALU_CYCLE_1)
	s_and_b32 exec_lo, exec_lo, s9
	s_cbranch_execz .LBB416_20
; %bb.19:
	s_wait_loadcnt 0x0
	global_store_b8 v2, v1, s[6:7]
.LBB416_20:
	s_endpgm
	.section	.rodata,"a",@progbits
	.p2align	6, 0x0
	.amdhsa_kernel _ZN7rocprim17ROCPRIM_400000_NS6detail17trampoline_kernelINS0_14default_configENS1_38merge_sort_block_merge_config_selectorIaNS0_10empty_typeEEEZZNS1_27merge_sort_block_merge_implIS3_PaPS5_jNS1_19radix_merge_compareILb0ELb0EaNS0_19identity_decomposerEEEEE10hipError_tT0_T1_T2_jT3_P12ihipStream_tbPNSt15iterator_traitsISE_E10value_typeEPNSK_ISF_E10value_typeEPSG_NS1_7vsmem_tEENKUlT_SE_SF_SG_E_clIS8_S8_S9_S9_EESD_ST_SE_SF_SG_EUlST_E1_NS1_11comp_targetILNS1_3genE0ELNS1_11target_archE4294967295ELNS1_3gpuE0ELNS1_3repE0EEENS1_36merge_oddeven_config_static_selectorELNS0_4arch9wavefront6targetE0EEEvSF_
		.amdhsa_group_segment_fixed_size 0
		.amdhsa_private_segment_fixed_size 0
		.amdhsa_kernarg_size 48
		.amdhsa_user_sgpr_count 2
		.amdhsa_user_sgpr_dispatch_ptr 0
		.amdhsa_user_sgpr_queue_ptr 0
		.amdhsa_user_sgpr_kernarg_segment_ptr 1
		.amdhsa_user_sgpr_dispatch_id 0
		.amdhsa_user_sgpr_kernarg_preload_length 0
		.amdhsa_user_sgpr_kernarg_preload_offset 0
		.amdhsa_user_sgpr_private_segment_size 0
		.amdhsa_wavefront_size32 1
		.amdhsa_uses_dynamic_stack 0
		.amdhsa_enable_private_segment 0
		.amdhsa_system_sgpr_workgroup_id_x 1
		.amdhsa_system_sgpr_workgroup_id_y 0
		.amdhsa_system_sgpr_workgroup_id_z 0
		.amdhsa_system_sgpr_workgroup_info 0
		.amdhsa_system_vgpr_workitem_id 0
		.amdhsa_next_free_vgpr 7
		.amdhsa_next_free_sgpr 15
		.amdhsa_named_barrier_count 0
		.amdhsa_reserve_vcc 1
		.amdhsa_float_round_mode_32 0
		.amdhsa_float_round_mode_16_64 0
		.amdhsa_float_denorm_mode_32 3
		.amdhsa_float_denorm_mode_16_64 3
		.amdhsa_fp16_overflow 0
		.amdhsa_memory_ordered 1
		.amdhsa_forward_progress 1
		.amdhsa_inst_pref_size 5
		.amdhsa_round_robin_scheduling 0
		.amdhsa_exception_fp_ieee_invalid_op 0
		.amdhsa_exception_fp_denorm_src 0
		.amdhsa_exception_fp_ieee_div_zero 0
		.amdhsa_exception_fp_ieee_overflow 0
		.amdhsa_exception_fp_ieee_underflow 0
		.amdhsa_exception_fp_ieee_inexact 0
		.amdhsa_exception_int_div_zero 0
	.end_amdhsa_kernel
	.section	.text._ZN7rocprim17ROCPRIM_400000_NS6detail17trampoline_kernelINS0_14default_configENS1_38merge_sort_block_merge_config_selectorIaNS0_10empty_typeEEEZZNS1_27merge_sort_block_merge_implIS3_PaPS5_jNS1_19radix_merge_compareILb0ELb0EaNS0_19identity_decomposerEEEEE10hipError_tT0_T1_T2_jT3_P12ihipStream_tbPNSt15iterator_traitsISE_E10value_typeEPNSK_ISF_E10value_typeEPSG_NS1_7vsmem_tEENKUlT_SE_SF_SG_E_clIS8_S8_S9_S9_EESD_ST_SE_SF_SG_EUlST_E1_NS1_11comp_targetILNS1_3genE0ELNS1_11target_archE4294967295ELNS1_3gpuE0ELNS1_3repE0EEENS1_36merge_oddeven_config_static_selectorELNS0_4arch9wavefront6targetE0EEEvSF_,"axG",@progbits,_ZN7rocprim17ROCPRIM_400000_NS6detail17trampoline_kernelINS0_14default_configENS1_38merge_sort_block_merge_config_selectorIaNS0_10empty_typeEEEZZNS1_27merge_sort_block_merge_implIS3_PaPS5_jNS1_19radix_merge_compareILb0ELb0EaNS0_19identity_decomposerEEEEE10hipError_tT0_T1_T2_jT3_P12ihipStream_tbPNSt15iterator_traitsISE_E10value_typeEPNSK_ISF_E10value_typeEPSG_NS1_7vsmem_tEENKUlT_SE_SF_SG_E_clIS8_S8_S9_S9_EESD_ST_SE_SF_SG_EUlST_E1_NS1_11comp_targetILNS1_3genE0ELNS1_11target_archE4294967295ELNS1_3gpuE0ELNS1_3repE0EEENS1_36merge_oddeven_config_static_selectorELNS0_4arch9wavefront6targetE0EEEvSF_,comdat
.Lfunc_end416:
	.size	_ZN7rocprim17ROCPRIM_400000_NS6detail17trampoline_kernelINS0_14default_configENS1_38merge_sort_block_merge_config_selectorIaNS0_10empty_typeEEEZZNS1_27merge_sort_block_merge_implIS3_PaPS5_jNS1_19radix_merge_compareILb0ELb0EaNS0_19identity_decomposerEEEEE10hipError_tT0_T1_T2_jT3_P12ihipStream_tbPNSt15iterator_traitsISE_E10value_typeEPNSK_ISF_E10value_typeEPSG_NS1_7vsmem_tEENKUlT_SE_SF_SG_E_clIS8_S8_S9_S9_EESD_ST_SE_SF_SG_EUlST_E1_NS1_11comp_targetILNS1_3genE0ELNS1_11target_archE4294967295ELNS1_3gpuE0ELNS1_3repE0EEENS1_36merge_oddeven_config_static_selectorELNS0_4arch9wavefront6targetE0EEEvSF_, .Lfunc_end416-_ZN7rocprim17ROCPRIM_400000_NS6detail17trampoline_kernelINS0_14default_configENS1_38merge_sort_block_merge_config_selectorIaNS0_10empty_typeEEEZZNS1_27merge_sort_block_merge_implIS3_PaPS5_jNS1_19radix_merge_compareILb0ELb0EaNS0_19identity_decomposerEEEEE10hipError_tT0_T1_T2_jT3_P12ihipStream_tbPNSt15iterator_traitsISE_E10value_typeEPNSK_ISF_E10value_typeEPSG_NS1_7vsmem_tEENKUlT_SE_SF_SG_E_clIS8_S8_S9_S9_EESD_ST_SE_SF_SG_EUlST_E1_NS1_11comp_targetILNS1_3genE0ELNS1_11target_archE4294967295ELNS1_3gpuE0ELNS1_3repE0EEENS1_36merge_oddeven_config_static_selectorELNS0_4arch9wavefront6targetE0EEEvSF_
                                        ; -- End function
	.set _ZN7rocprim17ROCPRIM_400000_NS6detail17trampoline_kernelINS0_14default_configENS1_38merge_sort_block_merge_config_selectorIaNS0_10empty_typeEEEZZNS1_27merge_sort_block_merge_implIS3_PaPS5_jNS1_19radix_merge_compareILb0ELb0EaNS0_19identity_decomposerEEEEE10hipError_tT0_T1_T2_jT3_P12ihipStream_tbPNSt15iterator_traitsISE_E10value_typeEPNSK_ISF_E10value_typeEPSG_NS1_7vsmem_tEENKUlT_SE_SF_SG_E_clIS8_S8_S9_S9_EESD_ST_SE_SF_SG_EUlST_E1_NS1_11comp_targetILNS1_3genE0ELNS1_11target_archE4294967295ELNS1_3gpuE0ELNS1_3repE0EEENS1_36merge_oddeven_config_static_selectorELNS0_4arch9wavefront6targetE0EEEvSF_.num_vgpr, 7
	.set _ZN7rocprim17ROCPRIM_400000_NS6detail17trampoline_kernelINS0_14default_configENS1_38merge_sort_block_merge_config_selectorIaNS0_10empty_typeEEEZZNS1_27merge_sort_block_merge_implIS3_PaPS5_jNS1_19radix_merge_compareILb0ELb0EaNS0_19identity_decomposerEEEEE10hipError_tT0_T1_T2_jT3_P12ihipStream_tbPNSt15iterator_traitsISE_E10value_typeEPNSK_ISF_E10value_typeEPSG_NS1_7vsmem_tEENKUlT_SE_SF_SG_E_clIS8_S8_S9_S9_EESD_ST_SE_SF_SG_EUlST_E1_NS1_11comp_targetILNS1_3genE0ELNS1_11target_archE4294967295ELNS1_3gpuE0ELNS1_3repE0EEENS1_36merge_oddeven_config_static_selectorELNS0_4arch9wavefront6targetE0EEEvSF_.num_agpr, 0
	.set _ZN7rocprim17ROCPRIM_400000_NS6detail17trampoline_kernelINS0_14default_configENS1_38merge_sort_block_merge_config_selectorIaNS0_10empty_typeEEEZZNS1_27merge_sort_block_merge_implIS3_PaPS5_jNS1_19radix_merge_compareILb0ELb0EaNS0_19identity_decomposerEEEEE10hipError_tT0_T1_T2_jT3_P12ihipStream_tbPNSt15iterator_traitsISE_E10value_typeEPNSK_ISF_E10value_typeEPSG_NS1_7vsmem_tEENKUlT_SE_SF_SG_E_clIS8_S8_S9_S9_EESD_ST_SE_SF_SG_EUlST_E1_NS1_11comp_targetILNS1_3genE0ELNS1_11target_archE4294967295ELNS1_3gpuE0ELNS1_3repE0EEENS1_36merge_oddeven_config_static_selectorELNS0_4arch9wavefront6targetE0EEEvSF_.numbered_sgpr, 15
	.set _ZN7rocprim17ROCPRIM_400000_NS6detail17trampoline_kernelINS0_14default_configENS1_38merge_sort_block_merge_config_selectorIaNS0_10empty_typeEEEZZNS1_27merge_sort_block_merge_implIS3_PaPS5_jNS1_19radix_merge_compareILb0ELb0EaNS0_19identity_decomposerEEEEE10hipError_tT0_T1_T2_jT3_P12ihipStream_tbPNSt15iterator_traitsISE_E10value_typeEPNSK_ISF_E10value_typeEPSG_NS1_7vsmem_tEENKUlT_SE_SF_SG_E_clIS8_S8_S9_S9_EESD_ST_SE_SF_SG_EUlST_E1_NS1_11comp_targetILNS1_3genE0ELNS1_11target_archE4294967295ELNS1_3gpuE0ELNS1_3repE0EEENS1_36merge_oddeven_config_static_selectorELNS0_4arch9wavefront6targetE0EEEvSF_.num_named_barrier, 0
	.set _ZN7rocprim17ROCPRIM_400000_NS6detail17trampoline_kernelINS0_14default_configENS1_38merge_sort_block_merge_config_selectorIaNS0_10empty_typeEEEZZNS1_27merge_sort_block_merge_implIS3_PaPS5_jNS1_19radix_merge_compareILb0ELb0EaNS0_19identity_decomposerEEEEE10hipError_tT0_T1_T2_jT3_P12ihipStream_tbPNSt15iterator_traitsISE_E10value_typeEPNSK_ISF_E10value_typeEPSG_NS1_7vsmem_tEENKUlT_SE_SF_SG_E_clIS8_S8_S9_S9_EESD_ST_SE_SF_SG_EUlST_E1_NS1_11comp_targetILNS1_3genE0ELNS1_11target_archE4294967295ELNS1_3gpuE0ELNS1_3repE0EEENS1_36merge_oddeven_config_static_selectorELNS0_4arch9wavefront6targetE0EEEvSF_.private_seg_size, 0
	.set _ZN7rocprim17ROCPRIM_400000_NS6detail17trampoline_kernelINS0_14default_configENS1_38merge_sort_block_merge_config_selectorIaNS0_10empty_typeEEEZZNS1_27merge_sort_block_merge_implIS3_PaPS5_jNS1_19radix_merge_compareILb0ELb0EaNS0_19identity_decomposerEEEEE10hipError_tT0_T1_T2_jT3_P12ihipStream_tbPNSt15iterator_traitsISE_E10value_typeEPNSK_ISF_E10value_typeEPSG_NS1_7vsmem_tEENKUlT_SE_SF_SG_E_clIS8_S8_S9_S9_EESD_ST_SE_SF_SG_EUlST_E1_NS1_11comp_targetILNS1_3genE0ELNS1_11target_archE4294967295ELNS1_3gpuE0ELNS1_3repE0EEENS1_36merge_oddeven_config_static_selectorELNS0_4arch9wavefront6targetE0EEEvSF_.uses_vcc, 1
	.set _ZN7rocprim17ROCPRIM_400000_NS6detail17trampoline_kernelINS0_14default_configENS1_38merge_sort_block_merge_config_selectorIaNS0_10empty_typeEEEZZNS1_27merge_sort_block_merge_implIS3_PaPS5_jNS1_19radix_merge_compareILb0ELb0EaNS0_19identity_decomposerEEEEE10hipError_tT0_T1_T2_jT3_P12ihipStream_tbPNSt15iterator_traitsISE_E10value_typeEPNSK_ISF_E10value_typeEPSG_NS1_7vsmem_tEENKUlT_SE_SF_SG_E_clIS8_S8_S9_S9_EESD_ST_SE_SF_SG_EUlST_E1_NS1_11comp_targetILNS1_3genE0ELNS1_11target_archE4294967295ELNS1_3gpuE0ELNS1_3repE0EEENS1_36merge_oddeven_config_static_selectorELNS0_4arch9wavefront6targetE0EEEvSF_.uses_flat_scratch, 0
	.set _ZN7rocprim17ROCPRIM_400000_NS6detail17trampoline_kernelINS0_14default_configENS1_38merge_sort_block_merge_config_selectorIaNS0_10empty_typeEEEZZNS1_27merge_sort_block_merge_implIS3_PaPS5_jNS1_19radix_merge_compareILb0ELb0EaNS0_19identity_decomposerEEEEE10hipError_tT0_T1_T2_jT3_P12ihipStream_tbPNSt15iterator_traitsISE_E10value_typeEPNSK_ISF_E10value_typeEPSG_NS1_7vsmem_tEENKUlT_SE_SF_SG_E_clIS8_S8_S9_S9_EESD_ST_SE_SF_SG_EUlST_E1_NS1_11comp_targetILNS1_3genE0ELNS1_11target_archE4294967295ELNS1_3gpuE0ELNS1_3repE0EEENS1_36merge_oddeven_config_static_selectorELNS0_4arch9wavefront6targetE0EEEvSF_.has_dyn_sized_stack, 0
	.set _ZN7rocprim17ROCPRIM_400000_NS6detail17trampoline_kernelINS0_14default_configENS1_38merge_sort_block_merge_config_selectorIaNS0_10empty_typeEEEZZNS1_27merge_sort_block_merge_implIS3_PaPS5_jNS1_19radix_merge_compareILb0ELb0EaNS0_19identity_decomposerEEEEE10hipError_tT0_T1_T2_jT3_P12ihipStream_tbPNSt15iterator_traitsISE_E10value_typeEPNSK_ISF_E10value_typeEPSG_NS1_7vsmem_tEENKUlT_SE_SF_SG_E_clIS8_S8_S9_S9_EESD_ST_SE_SF_SG_EUlST_E1_NS1_11comp_targetILNS1_3genE0ELNS1_11target_archE4294967295ELNS1_3gpuE0ELNS1_3repE0EEENS1_36merge_oddeven_config_static_selectorELNS0_4arch9wavefront6targetE0EEEvSF_.has_recursion, 0
	.set _ZN7rocprim17ROCPRIM_400000_NS6detail17trampoline_kernelINS0_14default_configENS1_38merge_sort_block_merge_config_selectorIaNS0_10empty_typeEEEZZNS1_27merge_sort_block_merge_implIS3_PaPS5_jNS1_19radix_merge_compareILb0ELb0EaNS0_19identity_decomposerEEEEE10hipError_tT0_T1_T2_jT3_P12ihipStream_tbPNSt15iterator_traitsISE_E10value_typeEPNSK_ISF_E10value_typeEPSG_NS1_7vsmem_tEENKUlT_SE_SF_SG_E_clIS8_S8_S9_S9_EESD_ST_SE_SF_SG_EUlST_E1_NS1_11comp_targetILNS1_3genE0ELNS1_11target_archE4294967295ELNS1_3gpuE0ELNS1_3repE0EEENS1_36merge_oddeven_config_static_selectorELNS0_4arch9wavefront6targetE0EEEvSF_.has_indirect_call, 0
	.section	.AMDGPU.csdata,"",@progbits
; Kernel info:
; codeLenInByte = 632
; TotalNumSgprs: 17
; NumVgprs: 7
; ScratchSize: 0
; MemoryBound: 0
; FloatMode: 240
; IeeeMode: 1
; LDSByteSize: 0 bytes/workgroup (compile time only)
; SGPRBlocks: 0
; VGPRBlocks: 0
; NumSGPRsForWavesPerEU: 17
; NumVGPRsForWavesPerEU: 7
; NamedBarCnt: 0
; Occupancy: 16
; WaveLimiterHint : 0
; COMPUTE_PGM_RSRC2:SCRATCH_EN: 0
; COMPUTE_PGM_RSRC2:USER_SGPR: 2
; COMPUTE_PGM_RSRC2:TRAP_HANDLER: 0
; COMPUTE_PGM_RSRC2:TGID_X_EN: 1
; COMPUTE_PGM_RSRC2:TGID_Y_EN: 0
; COMPUTE_PGM_RSRC2:TGID_Z_EN: 0
; COMPUTE_PGM_RSRC2:TIDIG_COMP_CNT: 0
	.section	.text._ZN7rocprim17ROCPRIM_400000_NS6detail17trampoline_kernelINS0_14default_configENS1_38merge_sort_block_merge_config_selectorIaNS0_10empty_typeEEEZZNS1_27merge_sort_block_merge_implIS3_PaPS5_jNS1_19radix_merge_compareILb0ELb0EaNS0_19identity_decomposerEEEEE10hipError_tT0_T1_T2_jT3_P12ihipStream_tbPNSt15iterator_traitsISE_E10value_typeEPNSK_ISF_E10value_typeEPSG_NS1_7vsmem_tEENKUlT_SE_SF_SG_E_clIS8_S8_S9_S9_EESD_ST_SE_SF_SG_EUlST_E1_NS1_11comp_targetILNS1_3genE10ELNS1_11target_archE1201ELNS1_3gpuE5ELNS1_3repE0EEENS1_36merge_oddeven_config_static_selectorELNS0_4arch9wavefront6targetE0EEEvSF_,"axG",@progbits,_ZN7rocprim17ROCPRIM_400000_NS6detail17trampoline_kernelINS0_14default_configENS1_38merge_sort_block_merge_config_selectorIaNS0_10empty_typeEEEZZNS1_27merge_sort_block_merge_implIS3_PaPS5_jNS1_19radix_merge_compareILb0ELb0EaNS0_19identity_decomposerEEEEE10hipError_tT0_T1_T2_jT3_P12ihipStream_tbPNSt15iterator_traitsISE_E10value_typeEPNSK_ISF_E10value_typeEPSG_NS1_7vsmem_tEENKUlT_SE_SF_SG_E_clIS8_S8_S9_S9_EESD_ST_SE_SF_SG_EUlST_E1_NS1_11comp_targetILNS1_3genE10ELNS1_11target_archE1201ELNS1_3gpuE5ELNS1_3repE0EEENS1_36merge_oddeven_config_static_selectorELNS0_4arch9wavefront6targetE0EEEvSF_,comdat
	.protected	_ZN7rocprim17ROCPRIM_400000_NS6detail17trampoline_kernelINS0_14default_configENS1_38merge_sort_block_merge_config_selectorIaNS0_10empty_typeEEEZZNS1_27merge_sort_block_merge_implIS3_PaPS5_jNS1_19radix_merge_compareILb0ELb0EaNS0_19identity_decomposerEEEEE10hipError_tT0_T1_T2_jT3_P12ihipStream_tbPNSt15iterator_traitsISE_E10value_typeEPNSK_ISF_E10value_typeEPSG_NS1_7vsmem_tEENKUlT_SE_SF_SG_E_clIS8_S8_S9_S9_EESD_ST_SE_SF_SG_EUlST_E1_NS1_11comp_targetILNS1_3genE10ELNS1_11target_archE1201ELNS1_3gpuE5ELNS1_3repE0EEENS1_36merge_oddeven_config_static_selectorELNS0_4arch9wavefront6targetE0EEEvSF_ ; -- Begin function _ZN7rocprim17ROCPRIM_400000_NS6detail17trampoline_kernelINS0_14default_configENS1_38merge_sort_block_merge_config_selectorIaNS0_10empty_typeEEEZZNS1_27merge_sort_block_merge_implIS3_PaPS5_jNS1_19radix_merge_compareILb0ELb0EaNS0_19identity_decomposerEEEEE10hipError_tT0_T1_T2_jT3_P12ihipStream_tbPNSt15iterator_traitsISE_E10value_typeEPNSK_ISF_E10value_typeEPSG_NS1_7vsmem_tEENKUlT_SE_SF_SG_E_clIS8_S8_S9_S9_EESD_ST_SE_SF_SG_EUlST_E1_NS1_11comp_targetILNS1_3genE10ELNS1_11target_archE1201ELNS1_3gpuE5ELNS1_3repE0EEENS1_36merge_oddeven_config_static_selectorELNS0_4arch9wavefront6targetE0EEEvSF_
	.globl	_ZN7rocprim17ROCPRIM_400000_NS6detail17trampoline_kernelINS0_14default_configENS1_38merge_sort_block_merge_config_selectorIaNS0_10empty_typeEEEZZNS1_27merge_sort_block_merge_implIS3_PaPS5_jNS1_19radix_merge_compareILb0ELb0EaNS0_19identity_decomposerEEEEE10hipError_tT0_T1_T2_jT3_P12ihipStream_tbPNSt15iterator_traitsISE_E10value_typeEPNSK_ISF_E10value_typeEPSG_NS1_7vsmem_tEENKUlT_SE_SF_SG_E_clIS8_S8_S9_S9_EESD_ST_SE_SF_SG_EUlST_E1_NS1_11comp_targetILNS1_3genE10ELNS1_11target_archE1201ELNS1_3gpuE5ELNS1_3repE0EEENS1_36merge_oddeven_config_static_selectorELNS0_4arch9wavefront6targetE0EEEvSF_
	.p2align	8
	.type	_ZN7rocprim17ROCPRIM_400000_NS6detail17trampoline_kernelINS0_14default_configENS1_38merge_sort_block_merge_config_selectorIaNS0_10empty_typeEEEZZNS1_27merge_sort_block_merge_implIS3_PaPS5_jNS1_19radix_merge_compareILb0ELb0EaNS0_19identity_decomposerEEEEE10hipError_tT0_T1_T2_jT3_P12ihipStream_tbPNSt15iterator_traitsISE_E10value_typeEPNSK_ISF_E10value_typeEPSG_NS1_7vsmem_tEENKUlT_SE_SF_SG_E_clIS8_S8_S9_S9_EESD_ST_SE_SF_SG_EUlST_E1_NS1_11comp_targetILNS1_3genE10ELNS1_11target_archE1201ELNS1_3gpuE5ELNS1_3repE0EEENS1_36merge_oddeven_config_static_selectorELNS0_4arch9wavefront6targetE0EEEvSF_,@function
_ZN7rocprim17ROCPRIM_400000_NS6detail17trampoline_kernelINS0_14default_configENS1_38merge_sort_block_merge_config_selectorIaNS0_10empty_typeEEEZZNS1_27merge_sort_block_merge_implIS3_PaPS5_jNS1_19radix_merge_compareILb0ELb0EaNS0_19identity_decomposerEEEEE10hipError_tT0_T1_T2_jT3_P12ihipStream_tbPNSt15iterator_traitsISE_E10value_typeEPNSK_ISF_E10value_typeEPSG_NS1_7vsmem_tEENKUlT_SE_SF_SG_E_clIS8_S8_S9_S9_EESD_ST_SE_SF_SG_EUlST_E1_NS1_11comp_targetILNS1_3genE10ELNS1_11target_archE1201ELNS1_3gpuE5ELNS1_3repE0EEENS1_36merge_oddeven_config_static_selectorELNS0_4arch9wavefront6targetE0EEEvSF_: ; @_ZN7rocprim17ROCPRIM_400000_NS6detail17trampoline_kernelINS0_14default_configENS1_38merge_sort_block_merge_config_selectorIaNS0_10empty_typeEEEZZNS1_27merge_sort_block_merge_implIS3_PaPS5_jNS1_19radix_merge_compareILb0ELb0EaNS0_19identity_decomposerEEEEE10hipError_tT0_T1_T2_jT3_P12ihipStream_tbPNSt15iterator_traitsISE_E10value_typeEPNSK_ISF_E10value_typeEPSG_NS1_7vsmem_tEENKUlT_SE_SF_SG_E_clIS8_S8_S9_S9_EESD_ST_SE_SF_SG_EUlST_E1_NS1_11comp_targetILNS1_3genE10ELNS1_11target_archE1201ELNS1_3gpuE5ELNS1_3repE0EEENS1_36merge_oddeven_config_static_selectorELNS0_4arch9wavefront6targetE0EEEvSF_
; %bb.0:
	.section	.rodata,"a",@progbits
	.p2align	6, 0x0
	.amdhsa_kernel _ZN7rocprim17ROCPRIM_400000_NS6detail17trampoline_kernelINS0_14default_configENS1_38merge_sort_block_merge_config_selectorIaNS0_10empty_typeEEEZZNS1_27merge_sort_block_merge_implIS3_PaPS5_jNS1_19radix_merge_compareILb0ELb0EaNS0_19identity_decomposerEEEEE10hipError_tT0_T1_T2_jT3_P12ihipStream_tbPNSt15iterator_traitsISE_E10value_typeEPNSK_ISF_E10value_typeEPSG_NS1_7vsmem_tEENKUlT_SE_SF_SG_E_clIS8_S8_S9_S9_EESD_ST_SE_SF_SG_EUlST_E1_NS1_11comp_targetILNS1_3genE10ELNS1_11target_archE1201ELNS1_3gpuE5ELNS1_3repE0EEENS1_36merge_oddeven_config_static_selectorELNS0_4arch9wavefront6targetE0EEEvSF_
		.amdhsa_group_segment_fixed_size 0
		.amdhsa_private_segment_fixed_size 0
		.amdhsa_kernarg_size 48
		.amdhsa_user_sgpr_count 2
		.amdhsa_user_sgpr_dispatch_ptr 0
		.amdhsa_user_sgpr_queue_ptr 0
		.amdhsa_user_sgpr_kernarg_segment_ptr 1
		.amdhsa_user_sgpr_dispatch_id 0
		.amdhsa_user_sgpr_kernarg_preload_length 0
		.amdhsa_user_sgpr_kernarg_preload_offset 0
		.amdhsa_user_sgpr_private_segment_size 0
		.amdhsa_wavefront_size32 1
		.amdhsa_uses_dynamic_stack 0
		.amdhsa_enable_private_segment 0
		.amdhsa_system_sgpr_workgroup_id_x 1
		.amdhsa_system_sgpr_workgroup_id_y 0
		.amdhsa_system_sgpr_workgroup_id_z 0
		.amdhsa_system_sgpr_workgroup_info 0
		.amdhsa_system_vgpr_workitem_id 0
		.amdhsa_next_free_vgpr 1
		.amdhsa_next_free_sgpr 1
		.amdhsa_named_barrier_count 0
		.amdhsa_reserve_vcc 0
		.amdhsa_float_round_mode_32 0
		.amdhsa_float_round_mode_16_64 0
		.amdhsa_float_denorm_mode_32 3
		.amdhsa_float_denorm_mode_16_64 3
		.amdhsa_fp16_overflow 0
		.amdhsa_memory_ordered 1
		.amdhsa_forward_progress 1
		.amdhsa_inst_pref_size 0
		.amdhsa_round_robin_scheduling 0
		.amdhsa_exception_fp_ieee_invalid_op 0
		.amdhsa_exception_fp_denorm_src 0
		.amdhsa_exception_fp_ieee_div_zero 0
		.amdhsa_exception_fp_ieee_overflow 0
		.amdhsa_exception_fp_ieee_underflow 0
		.amdhsa_exception_fp_ieee_inexact 0
		.amdhsa_exception_int_div_zero 0
	.end_amdhsa_kernel
	.section	.text._ZN7rocprim17ROCPRIM_400000_NS6detail17trampoline_kernelINS0_14default_configENS1_38merge_sort_block_merge_config_selectorIaNS0_10empty_typeEEEZZNS1_27merge_sort_block_merge_implIS3_PaPS5_jNS1_19radix_merge_compareILb0ELb0EaNS0_19identity_decomposerEEEEE10hipError_tT0_T1_T2_jT3_P12ihipStream_tbPNSt15iterator_traitsISE_E10value_typeEPNSK_ISF_E10value_typeEPSG_NS1_7vsmem_tEENKUlT_SE_SF_SG_E_clIS8_S8_S9_S9_EESD_ST_SE_SF_SG_EUlST_E1_NS1_11comp_targetILNS1_3genE10ELNS1_11target_archE1201ELNS1_3gpuE5ELNS1_3repE0EEENS1_36merge_oddeven_config_static_selectorELNS0_4arch9wavefront6targetE0EEEvSF_,"axG",@progbits,_ZN7rocprim17ROCPRIM_400000_NS6detail17trampoline_kernelINS0_14default_configENS1_38merge_sort_block_merge_config_selectorIaNS0_10empty_typeEEEZZNS1_27merge_sort_block_merge_implIS3_PaPS5_jNS1_19radix_merge_compareILb0ELb0EaNS0_19identity_decomposerEEEEE10hipError_tT0_T1_T2_jT3_P12ihipStream_tbPNSt15iterator_traitsISE_E10value_typeEPNSK_ISF_E10value_typeEPSG_NS1_7vsmem_tEENKUlT_SE_SF_SG_E_clIS8_S8_S9_S9_EESD_ST_SE_SF_SG_EUlST_E1_NS1_11comp_targetILNS1_3genE10ELNS1_11target_archE1201ELNS1_3gpuE5ELNS1_3repE0EEENS1_36merge_oddeven_config_static_selectorELNS0_4arch9wavefront6targetE0EEEvSF_,comdat
.Lfunc_end417:
	.size	_ZN7rocprim17ROCPRIM_400000_NS6detail17trampoline_kernelINS0_14default_configENS1_38merge_sort_block_merge_config_selectorIaNS0_10empty_typeEEEZZNS1_27merge_sort_block_merge_implIS3_PaPS5_jNS1_19radix_merge_compareILb0ELb0EaNS0_19identity_decomposerEEEEE10hipError_tT0_T1_T2_jT3_P12ihipStream_tbPNSt15iterator_traitsISE_E10value_typeEPNSK_ISF_E10value_typeEPSG_NS1_7vsmem_tEENKUlT_SE_SF_SG_E_clIS8_S8_S9_S9_EESD_ST_SE_SF_SG_EUlST_E1_NS1_11comp_targetILNS1_3genE10ELNS1_11target_archE1201ELNS1_3gpuE5ELNS1_3repE0EEENS1_36merge_oddeven_config_static_selectorELNS0_4arch9wavefront6targetE0EEEvSF_, .Lfunc_end417-_ZN7rocprim17ROCPRIM_400000_NS6detail17trampoline_kernelINS0_14default_configENS1_38merge_sort_block_merge_config_selectorIaNS0_10empty_typeEEEZZNS1_27merge_sort_block_merge_implIS3_PaPS5_jNS1_19radix_merge_compareILb0ELb0EaNS0_19identity_decomposerEEEEE10hipError_tT0_T1_T2_jT3_P12ihipStream_tbPNSt15iterator_traitsISE_E10value_typeEPNSK_ISF_E10value_typeEPSG_NS1_7vsmem_tEENKUlT_SE_SF_SG_E_clIS8_S8_S9_S9_EESD_ST_SE_SF_SG_EUlST_E1_NS1_11comp_targetILNS1_3genE10ELNS1_11target_archE1201ELNS1_3gpuE5ELNS1_3repE0EEENS1_36merge_oddeven_config_static_selectorELNS0_4arch9wavefront6targetE0EEEvSF_
                                        ; -- End function
	.set _ZN7rocprim17ROCPRIM_400000_NS6detail17trampoline_kernelINS0_14default_configENS1_38merge_sort_block_merge_config_selectorIaNS0_10empty_typeEEEZZNS1_27merge_sort_block_merge_implIS3_PaPS5_jNS1_19radix_merge_compareILb0ELb0EaNS0_19identity_decomposerEEEEE10hipError_tT0_T1_T2_jT3_P12ihipStream_tbPNSt15iterator_traitsISE_E10value_typeEPNSK_ISF_E10value_typeEPSG_NS1_7vsmem_tEENKUlT_SE_SF_SG_E_clIS8_S8_S9_S9_EESD_ST_SE_SF_SG_EUlST_E1_NS1_11comp_targetILNS1_3genE10ELNS1_11target_archE1201ELNS1_3gpuE5ELNS1_3repE0EEENS1_36merge_oddeven_config_static_selectorELNS0_4arch9wavefront6targetE0EEEvSF_.num_vgpr, 0
	.set _ZN7rocprim17ROCPRIM_400000_NS6detail17trampoline_kernelINS0_14default_configENS1_38merge_sort_block_merge_config_selectorIaNS0_10empty_typeEEEZZNS1_27merge_sort_block_merge_implIS3_PaPS5_jNS1_19radix_merge_compareILb0ELb0EaNS0_19identity_decomposerEEEEE10hipError_tT0_T1_T2_jT3_P12ihipStream_tbPNSt15iterator_traitsISE_E10value_typeEPNSK_ISF_E10value_typeEPSG_NS1_7vsmem_tEENKUlT_SE_SF_SG_E_clIS8_S8_S9_S9_EESD_ST_SE_SF_SG_EUlST_E1_NS1_11comp_targetILNS1_3genE10ELNS1_11target_archE1201ELNS1_3gpuE5ELNS1_3repE0EEENS1_36merge_oddeven_config_static_selectorELNS0_4arch9wavefront6targetE0EEEvSF_.num_agpr, 0
	.set _ZN7rocprim17ROCPRIM_400000_NS6detail17trampoline_kernelINS0_14default_configENS1_38merge_sort_block_merge_config_selectorIaNS0_10empty_typeEEEZZNS1_27merge_sort_block_merge_implIS3_PaPS5_jNS1_19radix_merge_compareILb0ELb0EaNS0_19identity_decomposerEEEEE10hipError_tT0_T1_T2_jT3_P12ihipStream_tbPNSt15iterator_traitsISE_E10value_typeEPNSK_ISF_E10value_typeEPSG_NS1_7vsmem_tEENKUlT_SE_SF_SG_E_clIS8_S8_S9_S9_EESD_ST_SE_SF_SG_EUlST_E1_NS1_11comp_targetILNS1_3genE10ELNS1_11target_archE1201ELNS1_3gpuE5ELNS1_3repE0EEENS1_36merge_oddeven_config_static_selectorELNS0_4arch9wavefront6targetE0EEEvSF_.numbered_sgpr, 0
	.set _ZN7rocprim17ROCPRIM_400000_NS6detail17trampoline_kernelINS0_14default_configENS1_38merge_sort_block_merge_config_selectorIaNS0_10empty_typeEEEZZNS1_27merge_sort_block_merge_implIS3_PaPS5_jNS1_19radix_merge_compareILb0ELb0EaNS0_19identity_decomposerEEEEE10hipError_tT0_T1_T2_jT3_P12ihipStream_tbPNSt15iterator_traitsISE_E10value_typeEPNSK_ISF_E10value_typeEPSG_NS1_7vsmem_tEENKUlT_SE_SF_SG_E_clIS8_S8_S9_S9_EESD_ST_SE_SF_SG_EUlST_E1_NS1_11comp_targetILNS1_3genE10ELNS1_11target_archE1201ELNS1_3gpuE5ELNS1_3repE0EEENS1_36merge_oddeven_config_static_selectorELNS0_4arch9wavefront6targetE0EEEvSF_.num_named_barrier, 0
	.set _ZN7rocprim17ROCPRIM_400000_NS6detail17trampoline_kernelINS0_14default_configENS1_38merge_sort_block_merge_config_selectorIaNS0_10empty_typeEEEZZNS1_27merge_sort_block_merge_implIS3_PaPS5_jNS1_19radix_merge_compareILb0ELb0EaNS0_19identity_decomposerEEEEE10hipError_tT0_T1_T2_jT3_P12ihipStream_tbPNSt15iterator_traitsISE_E10value_typeEPNSK_ISF_E10value_typeEPSG_NS1_7vsmem_tEENKUlT_SE_SF_SG_E_clIS8_S8_S9_S9_EESD_ST_SE_SF_SG_EUlST_E1_NS1_11comp_targetILNS1_3genE10ELNS1_11target_archE1201ELNS1_3gpuE5ELNS1_3repE0EEENS1_36merge_oddeven_config_static_selectorELNS0_4arch9wavefront6targetE0EEEvSF_.private_seg_size, 0
	.set _ZN7rocprim17ROCPRIM_400000_NS6detail17trampoline_kernelINS0_14default_configENS1_38merge_sort_block_merge_config_selectorIaNS0_10empty_typeEEEZZNS1_27merge_sort_block_merge_implIS3_PaPS5_jNS1_19radix_merge_compareILb0ELb0EaNS0_19identity_decomposerEEEEE10hipError_tT0_T1_T2_jT3_P12ihipStream_tbPNSt15iterator_traitsISE_E10value_typeEPNSK_ISF_E10value_typeEPSG_NS1_7vsmem_tEENKUlT_SE_SF_SG_E_clIS8_S8_S9_S9_EESD_ST_SE_SF_SG_EUlST_E1_NS1_11comp_targetILNS1_3genE10ELNS1_11target_archE1201ELNS1_3gpuE5ELNS1_3repE0EEENS1_36merge_oddeven_config_static_selectorELNS0_4arch9wavefront6targetE0EEEvSF_.uses_vcc, 0
	.set _ZN7rocprim17ROCPRIM_400000_NS6detail17trampoline_kernelINS0_14default_configENS1_38merge_sort_block_merge_config_selectorIaNS0_10empty_typeEEEZZNS1_27merge_sort_block_merge_implIS3_PaPS5_jNS1_19radix_merge_compareILb0ELb0EaNS0_19identity_decomposerEEEEE10hipError_tT0_T1_T2_jT3_P12ihipStream_tbPNSt15iterator_traitsISE_E10value_typeEPNSK_ISF_E10value_typeEPSG_NS1_7vsmem_tEENKUlT_SE_SF_SG_E_clIS8_S8_S9_S9_EESD_ST_SE_SF_SG_EUlST_E1_NS1_11comp_targetILNS1_3genE10ELNS1_11target_archE1201ELNS1_3gpuE5ELNS1_3repE0EEENS1_36merge_oddeven_config_static_selectorELNS0_4arch9wavefront6targetE0EEEvSF_.uses_flat_scratch, 0
	.set _ZN7rocprim17ROCPRIM_400000_NS6detail17trampoline_kernelINS0_14default_configENS1_38merge_sort_block_merge_config_selectorIaNS0_10empty_typeEEEZZNS1_27merge_sort_block_merge_implIS3_PaPS5_jNS1_19radix_merge_compareILb0ELb0EaNS0_19identity_decomposerEEEEE10hipError_tT0_T1_T2_jT3_P12ihipStream_tbPNSt15iterator_traitsISE_E10value_typeEPNSK_ISF_E10value_typeEPSG_NS1_7vsmem_tEENKUlT_SE_SF_SG_E_clIS8_S8_S9_S9_EESD_ST_SE_SF_SG_EUlST_E1_NS1_11comp_targetILNS1_3genE10ELNS1_11target_archE1201ELNS1_3gpuE5ELNS1_3repE0EEENS1_36merge_oddeven_config_static_selectorELNS0_4arch9wavefront6targetE0EEEvSF_.has_dyn_sized_stack, 0
	.set _ZN7rocprim17ROCPRIM_400000_NS6detail17trampoline_kernelINS0_14default_configENS1_38merge_sort_block_merge_config_selectorIaNS0_10empty_typeEEEZZNS1_27merge_sort_block_merge_implIS3_PaPS5_jNS1_19radix_merge_compareILb0ELb0EaNS0_19identity_decomposerEEEEE10hipError_tT0_T1_T2_jT3_P12ihipStream_tbPNSt15iterator_traitsISE_E10value_typeEPNSK_ISF_E10value_typeEPSG_NS1_7vsmem_tEENKUlT_SE_SF_SG_E_clIS8_S8_S9_S9_EESD_ST_SE_SF_SG_EUlST_E1_NS1_11comp_targetILNS1_3genE10ELNS1_11target_archE1201ELNS1_3gpuE5ELNS1_3repE0EEENS1_36merge_oddeven_config_static_selectorELNS0_4arch9wavefront6targetE0EEEvSF_.has_recursion, 0
	.set _ZN7rocprim17ROCPRIM_400000_NS6detail17trampoline_kernelINS0_14default_configENS1_38merge_sort_block_merge_config_selectorIaNS0_10empty_typeEEEZZNS1_27merge_sort_block_merge_implIS3_PaPS5_jNS1_19radix_merge_compareILb0ELb0EaNS0_19identity_decomposerEEEEE10hipError_tT0_T1_T2_jT3_P12ihipStream_tbPNSt15iterator_traitsISE_E10value_typeEPNSK_ISF_E10value_typeEPSG_NS1_7vsmem_tEENKUlT_SE_SF_SG_E_clIS8_S8_S9_S9_EESD_ST_SE_SF_SG_EUlST_E1_NS1_11comp_targetILNS1_3genE10ELNS1_11target_archE1201ELNS1_3gpuE5ELNS1_3repE0EEENS1_36merge_oddeven_config_static_selectorELNS0_4arch9wavefront6targetE0EEEvSF_.has_indirect_call, 0
	.section	.AMDGPU.csdata,"",@progbits
; Kernel info:
; codeLenInByte = 0
; TotalNumSgprs: 0
; NumVgprs: 0
; ScratchSize: 0
; MemoryBound: 0
; FloatMode: 240
; IeeeMode: 1
; LDSByteSize: 0 bytes/workgroup (compile time only)
; SGPRBlocks: 0
; VGPRBlocks: 0
; NumSGPRsForWavesPerEU: 1
; NumVGPRsForWavesPerEU: 1
; NamedBarCnt: 0
; Occupancy: 16
; WaveLimiterHint : 0
; COMPUTE_PGM_RSRC2:SCRATCH_EN: 0
; COMPUTE_PGM_RSRC2:USER_SGPR: 2
; COMPUTE_PGM_RSRC2:TRAP_HANDLER: 0
; COMPUTE_PGM_RSRC2:TGID_X_EN: 1
; COMPUTE_PGM_RSRC2:TGID_Y_EN: 0
; COMPUTE_PGM_RSRC2:TGID_Z_EN: 0
; COMPUTE_PGM_RSRC2:TIDIG_COMP_CNT: 0
	.section	.text._ZN7rocprim17ROCPRIM_400000_NS6detail17trampoline_kernelINS0_14default_configENS1_38merge_sort_block_merge_config_selectorIaNS0_10empty_typeEEEZZNS1_27merge_sort_block_merge_implIS3_PaPS5_jNS1_19radix_merge_compareILb0ELb0EaNS0_19identity_decomposerEEEEE10hipError_tT0_T1_T2_jT3_P12ihipStream_tbPNSt15iterator_traitsISE_E10value_typeEPNSK_ISF_E10value_typeEPSG_NS1_7vsmem_tEENKUlT_SE_SF_SG_E_clIS8_S8_S9_S9_EESD_ST_SE_SF_SG_EUlST_E1_NS1_11comp_targetILNS1_3genE5ELNS1_11target_archE942ELNS1_3gpuE9ELNS1_3repE0EEENS1_36merge_oddeven_config_static_selectorELNS0_4arch9wavefront6targetE0EEEvSF_,"axG",@progbits,_ZN7rocprim17ROCPRIM_400000_NS6detail17trampoline_kernelINS0_14default_configENS1_38merge_sort_block_merge_config_selectorIaNS0_10empty_typeEEEZZNS1_27merge_sort_block_merge_implIS3_PaPS5_jNS1_19radix_merge_compareILb0ELb0EaNS0_19identity_decomposerEEEEE10hipError_tT0_T1_T2_jT3_P12ihipStream_tbPNSt15iterator_traitsISE_E10value_typeEPNSK_ISF_E10value_typeEPSG_NS1_7vsmem_tEENKUlT_SE_SF_SG_E_clIS8_S8_S9_S9_EESD_ST_SE_SF_SG_EUlST_E1_NS1_11comp_targetILNS1_3genE5ELNS1_11target_archE942ELNS1_3gpuE9ELNS1_3repE0EEENS1_36merge_oddeven_config_static_selectorELNS0_4arch9wavefront6targetE0EEEvSF_,comdat
	.protected	_ZN7rocprim17ROCPRIM_400000_NS6detail17trampoline_kernelINS0_14default_configENS1_38merge_sort_block_merge_config_selectorIaNS0_10empty_typeEEEZZNS1_27merge_sort_block_merge_implIS3_PaPS5_jNS1_19radix_merge_compareILb0ELb0EaNS0_19identity_decomposerEEEEE10hipError_tT0_T1_T2_jT3_P12ihipStream_tbPNSt15iterator_traitsISE_E10value_typeEPNSK_ISF_E10value_typeEPSG_NS1_7vsmem_tEENKUlT_SE_SF_SG_E_clIS8_S8_S9_S9_EESD_ST_SE_SF_SG_EUlST_E1_NS1_11comp_targetILNS1_3genE5ELNS1_11target_archE942ELNS1_3gpuE9ELNS1_3repE0EEENS1_36merge_oddeven_config_static_selectorELNS0_4arch9wavefront6targetE0EEEvSF_ ; -- Begin function _ZN7rocprim17ROCPRIM_400000_NS6detail17trampoline_kernelINS0_14default_configENS1_38merge_sort_block_merge_config_selectorIaNS0_10empty_typeEEEZZNS1_27merge_sort_block_merge_implIS3_PaPS5_jNS1_19radix_merge_compareILb0ELb0EaNS0_19identity_decomposerEEEEE10hipError_tT0_T1_T2_jT3_P12ihipStream_tbPNSt15iterator_traitsISE_E10value_typeEPNSK_ISF_E10value_typeEPSG_NS1_7vsmem_tEENKUlT_SE_SF_SG_E_clIS8_S8_S9_S9_EESD_ST_SE_SF_SG_EUlST_E1_NS1_11comp_targetILNS1_3genE5ELNS1_11target_archE942ELNS1_3gpuE9ELNS1_3repE0EEENS1_36merge_oddeven_config_static_selectorELNS0_4arch9wavefront6targetE0EEEvSF_
	.globl	_ZN7rocprim17ROCPRIM_400000_NS6detail17trampoline_kernelINS0_14default_configENS1_38merge_sort_block_merge_config_selectorIaNS0_10empty_typeEEEZZNS1_27merge_sort_block_merge_implIS3_PaPS5_jNS1_19radix_merge_compareILb0ELb0EaNS0_19identity_decomposerEEEEE10hipError_tT0_T1_T2_jT3_P12ihipStream_tbPNSt15iterator_traitsISE_E10value_typeEPNSK_ISF_E10value_typeEPSG_NS1_7vsmem_tEENKUlT_SE_SF_SG_E_clIS8_S8_S9_S9_EESD_ST_SE_SF_SG_EUlST_E1_NS1_11comp_targetILNS1_3genE5ELNS1_11target_archE942ELNS1_3gpuE9ELNS1_3repE0EEENS1_36merge_oddeven_config_static_selectorELNS0_4arch9wavefront6targetE0EEEvSF_
	.p2align	8
	.type	_ZN7rocprim17ROCPRIM_400000_NS6detail17trampoline_kernelINS0_14default_configENS1_38merge_sort_block_merge_config_selectorIaNS0_10empty_typeEEEZZNS1_27merge_sort_block_merge_implIS3_PaPS5_jNS1_19radix_merge_compareILb0ELb0EaNS0_19identity_decomposerEEEEE10hipError_tT0_T1_T2_jT3_P12ihipStream_tbPNSt15iterator_traitsISE_E10value_typeEPNSK_ISF_E10value_typeEPSG_NS1_7vsmem_tEENKUlT_SE_SF_SG_E_clIS8_S8_S9_S9_EESD_ST_SE_SF_SG_EUlST_E1_NS1_11comp_targetILNS1_3genE5ELNS1_11target_archE942ELNS1_3gpuE9ELNS1_3repE0EEENS1_36merge_oddeven_config_static_selectorELNS0_4arch9wavefront6targetE0EEEvSF_,@function
_ZN7rocprim17ROCPRIM_400000_NS6detail17trampoline_kernelINS0_14default_configENS1_38merge_sort_block_merge_config_selectorIaNS0_10empty_typeEEEZZNS1_27merge_sort_block_merge_implIS3_PaPS5_jNS1_19radix_merge_compareILb0ELb0EaNS0_19identity_decomposerEEEEE10hipError_tT0_T1_T2_jT3_P12ihipStream_tbPNSt15iterator_traitsISE_E10value_typeEPNSK_ISF_E10value_typeEPSG_NS1_7vsmem_tEENKUlT_SE_SF_SG_E_clIS8_S8_S9_S9_EESD_ST_SE_SF_SG_EUlST_E1_NS1_11comp_targetILNS1_3genE5ELNS1_11target_archE942ELNS1_3gpuE9ELNS1_3repE0EEENS1_36merge_oddeven_config_static_selectorELNS0_4arch9wavefront6targetE0EEEvSF_: ; @_ZN7rocprim17ROCPRIM_400000_NS6detail17trampoline_kernelINS0_14default_configENS1_38merge_sort_block_merge_config_selectorIaNS0_10empty_typeEEEZZNS1_27merge_sort_block_merge_implIS3_PaPS5_jNS1_19radix_merge_compareILb0ELb0EaNS0_19identity_decomposerEEEEE10hipError_tT0_T1_T2_jT3_P12ihipStream_tbPNSt15iterator_traitsISE_E10value_typeEPNSK_ISF_E10value_typeEPSG_NS1_7vsmem_tEENKUlT_SE_SF_SG_E_clIS8_S8_S9_S9_EESD_ST_SE_SF_SG_EUlST_E1_NS1_11comp_targetILNS1_3genE5ELNS1_11target_archE942ELNS1_3gpuE9ELNS1_3repE0EEENS1_36merge_oddeven_config_static_selectorELNS0_4arch9wavefront6targetE0EEEvSF_
; %bb.0:
	.section	.rodata,"a",@progbits
	.p2align	6, 0x0
	.amdhsa_kernel _ZN7rocprim17ROCPRIM_400000_NS6detail17trampoline_kernelINS0_14default_configENS1_38merge_sort_block_merge_config_selectorIaNS0_10empty_typeEEEZZNS1_27merge_sort_block_merge_implIS3_PaPS5_jNS1_19radix_merge_compareILb0ELb0EaNS0_19identity_decomposerEEEEE10hipError_tT0_T1_T2_jT3_P12ihipStream_tbPNSt15iterator_traitsISE_E10value_typeEPNSK_ISF_E10value_typeEPSG_NS1_7vsmem_tEENKUlT_SE_SF_SG_E_clIS8_S8_S9_S9_EESD_ST_SE_SF_SG_EUlST_E1_NS1_11comp_targetILNS1_3genE5ELNS1_11target_archE942ELNS1_3gpuE9ELNS1_3repE0EEENS1_36merge_oddeven_config_static_selectorELNS0_4arch9wavefront6targetE0EEEvSF_
		.amdhsa_group_segment_fixed_size 0
		.amdhsa_private_segment_fixed_size 0
		.amdhsa_kernarg_size 48
		.amdhsa_user_sgpr_count 2
		.amdhsa_user_sgpr_dispatch_ptr 0
		.amdhsa_user_sgpr_queue_ptr 0
		.amdhsa_user_sgpr_kernarg_segment_ptr 1
		.amdhsa_user_sgpr_dispatch_id 0
		.amdhsa_user_sgpr_kernarg_preload_length 0
		.amdhsa_user_sgpr_kernarg_preload_offset 0
		.amdhsa_user_sgpr_private_segment_size 0
		.amdhsa_wavefront_size32 1
		.amdhsa_uses_dynamic_stack 0
		.amdhsa_enable_private_segment 0
		.amdhsa_system_sgpr_workgroup_id_x 1
		.amdhsa_system_sgpr_workgroup_id_y 0
		.amdhsa_system_sgpr_workgroup_id_z 0
		.amdhsa_system_sgpr_workgroup_info 0
		.amdhsa_system_vgpr_workitem_id 0
		.amdhsa_next_free_vgpr 1
		.amdhsa_next_free_sgpr 1
		.amdhsa_named_barrier_count 0
		.amdhsa_reserve_vcc 0
		.amdhsa_float_round_mode_32 0
		.amdhsa_float_round_mode_16_64 0
		.amdhsa_float_denorm_mode_32 3
		.amdhsa_float_denorm_mode_16_64 3
		.amdhsa_fp16_overflow 0
		.amdhsa_memory_ordered 1
		.amdhsa_forward_progress 1
		.amdhsa_inst_pref_size 0
		.amdhsa_round_robin_scheduling 0
		.amdhsa_exception_fp_ieee_invalid_op 0
		.amdhsa_exception_fp_denorm_src 0
		.amdhsa_exception_fp_ieee_div_zero 0
		.amdhsa_exception_fp_ieee_overflow 0
		.amdhsa_exception_fp_ieee_underflow 0
		.amdhsa_exception_fp_ieee_inexact 0
		.amdhsa_exception_int_div_zero 0
	.end_amdhsa_kernel
	.section	.text._ZN7rocprim17ROCPRIM_400000_NS6detail17trampoline_kernelINS0_14default_configENS1_38merge_sort_block_merge_config_selectorIaNS0_10empty_typeEEEZZNS1_27merge_sort_block_merge_implIS3_PaPS5_jNS1_19radix_merge_compareILb0ELb0EaNS0_19identity_decomposerEEEEE10hipError_tT0_T1_T2_jT3_P12ihipStream_tbPNSt15iterator_traitsISE_E10value_typeEPNSK_ISF_E10value_typeEPSG_NS1_7vsmem_tEENKUlT_SE_SF_SG_E_clIS8_S8_S9_S9_EESD_ST_SE_SF_SG_EUlST_E1_NS1_11comp_targetILNS1_3genE5ELNS1_11target_archE942ELNS1_3gpuE9ELNS1_3repE0EEENS1_36merge_oddeven_config_static_selectorELNS0_4arch9wavefront6targetE0EEEvSF_,"axG",@progbits,_ZN7rocprim17ROCPRIM_400000_NS6detail17trampoline_kernelINS0_14default_configENS1_38merge_sort_block_merge_config_selectorIaNS0_10empty_typeEEEZZNS1_27merge_sort_block_merge_implIS3_PaPS5_jNS1_19radix_merge_compareILb0ELb0EaNS0_19identity_decomposerEEEEE10hipError_tT0_T1_T2_jT3_P12ihipStream_tbPNSt15iterator_traitsISE_E10value_typeEPNSK_ISF_E10value_typeEPSG_NS1_7vsmem_tEENKUlT_SE_SF_SG_E_clIS8_S8_S9_S9_EESD_ST_SE_SF_SG_EUlST_E1_NS1_11comp_targetILNS1_3genE5ELNS1_11target_archE942ELNS1_3gpuE9ELNS1_3repE0EEENS1_36merge_oddeven_config_static_selectorELNS0_4arch9wavefront6targetE0EEEvSF_,comdat
.Lfunc_end418:
	.size	_ZN7rocprim17ROCPRIM_400000_NS6detail17trampoline_kernelINS0_14default_configENS1_38merge_sort_block_merge_config_selectorIaNS0_10empty_typeEEEZZNS1_27merge_sort_block_merge_implIS3_PaPS5_jNS1_19radix_merge_compareILb0ELb0EaNS0_19identity_decomposerEEEEE10hipError_tT0_T1_T2_jT3_P12ihipStream_tbPNSt15iterator_traitsISE_E10value_typeEPNSK_ISF_E10value_typeEPSG_NS1_7vsmem_tEENKUlT_SE_SF_SG_E_clIS8_S8_S9_S9_EESD_ST_SE_SF_SG_EUlST_E1_NS1_11comp_targetILNS1_3genE5ELNS1_11target_archE942ELNS1_3gpuE9ELNS1_3repE0EEENS1_36merge_oddeven_config_static_selectorELNS0_4arch9wavefront6targetE0EEEvSF_, .Lfunc_end418-_ZN7rocprim17ROCPRIM_400000_NS6detail17trampoline_kernelINS0_14default_configENS1_38merge_sort_block_merge_config_selectorIaNS0_10empty_typeEEEZZNS1_27merge_sort_block_merge_implIS3_PaPS5_jNS1_19radix_merge_compareILb0ELb0EaNS0_19identity_decomposerEEEEE10hipError_tT0_T1_T2_jT3_P12ihipStream_tbPNSt15iterator_traitsISE_E10value_typeEPNSK_ISF_E10value_typeEPSG_NS1_7vsmem_tEENKUlT_SE_SF_SG_E_clIS8_S8_S9_S9_EESD_ST_SE_SF_SG_EUlST_E1_NS1_11comp_targetILNS1_3genE5ELNS1_11target_archE942ELNS1_3gpuE9ELNS1_3repE0EEENS1_36merge_oddeven_config_static_selectorELNS0_4arch9wavefront6targetE0EEEvSF_
                                        ; -- End function
	.set _ZN7rocprim17ROCPRIM_400000_NS6detail17trampoline_kernelINS0_14default_configENS1_38merge_sort_block_merge_config_selectorIaNS0_10empty_typeEEEZZNS1_27merge_sort_block_merge_implIS3_PaPS5_jNS1_19radix_merge_compareILb0ELb0EaNS0_19identity_decomposerEEEEE10hipError_tT0_T1_T2_jT3_P12ihipStream_tbPNSt15iterator_traitsISE_E10value_typeEPNSK_ISF_E10value_typeEPSG_NS1_7vsmem_tEENKUlT_SE_SF_SG_E_clIS8_S8_S9_S9_EESD_ST_SE_SF_SG_EUlST_E1_NS1_11comp_targetILNS1_3genE5ELNS1_11target_archE942ELNS1_3gpuE9ELNS1_3repE0EEENS1_36merge_oddeven_config_static_selectorELNS0_4arch9wavefront6targetE0EEEvSF_.num_vgpr, 0
	.set _ZN7rocprim17ROCPRIM_400000_NS6detail17trampoline_kernelINS0_14default_configENS1_38merge_sort_block_merge_config_selectorIaNS0_10empty_typeEEEZZNS1_27merge_sort_block_merge_implIS3_PaPS5_jNS1_19radix_merge_compareILb0ELb0EaNS0_19identity_decomposerEEEEE10hipError_tT0_T1_T2_jT3_P12ihipStream_tbPNSt15iterator_traitsISE_E10value_typeEPNSK_ISF_E10value_typeEPSG_NS1_7vsmem_tEENKUlT_SE_SF_SG_E_clIS8_S8_S9_S9_EESD_ST_SE_SF_SG_EUlST_E1_NS1_11comp_targetILNS1_3genE5ELNS1_11target_archE942ELNS1_3gpuE9ELNS1_3repE0EEENS1_36merge_oddeven_config_static_selectorELNS0_4arch9wavefront6targetE0EEEvSF_.num_agpr, 0
	.set _ZN7rocprim17ROCPRIM_400000_NS6detail17trampoline_kernelINS0_14default_configENS1_38merge_sort_block_merge_config_selectorIaNS0_10empty_typeEEEZZNS1_27merge_sort_block_merge_implIS3_PaPS5_jNS1_19radix_merge_compareILb0ELb0EaNS0_19identity_decomposerEEEEE10hipError_tT0_T1_T2_jT3_P12ihipStream_tbPNSt15iterator_traitsISE_E10value_typeEPNSK_ISF_E10value_typeEPSG_NS1_7vsmem_tEENKUlT_SE_SF_SG_E_clIS8_S8_S9_S9_EESD_ST_SE_SF_SG_EUlST_E1_NS1_11comp_targetILNS1_3genE5ELNS1_11target_archE942ELNS1_3gpuE9ELNS1_3repE0EEENS1_36merge_oddeven_config_static_selectorELNS0_4arch9wavefront6targetE0EEEvSF_.numbered_sgpr, 0
	.set _ZN7rocprim17ROCPRIM_400000_NS6detail17trampoline_kernelINS0_14default_configENS1_38merge_sort_block_merge_config_selectorIaNS0_10empty_typeEEEZZNS1_27merge_sort_block_merge_implIS3_PaPS5_jNS1_19radix_merge_compareILb0ELb0EaNS0_19identity_decomposerEEEEE10hipError_tT0_T1_T2_jT3_P12ihipStream_tbPNSt15iterator_traitsISE_E10value_typeEPNSK_ISF_E10value_typeEPSG_NS1_7vsmem_tEENKUlT_SE_SF_SG_E_clIS8_S8_S9_S9_EESD_ST_SE_SF_SG_EUlST_E1_NS1_11comp_targetILNS1_3genE5ELNS1_11target_archE942ELNS1_3gpuE9ELNS1_3repE0EEENS1_36merge_oddeven_config_static_selectorELNS0_4arch9wavefront6targetE0EEEvSF_.num_named_barrier, 0
	.set _ZN7rocprim17ROCPRIM_400000_NS6detail17trampoline_kernelINS0_14default_configENS1_38merge_sort_block_merge_config_selectorIaNS0_10empty_typeEEEZZNS1_27merge_sort_block_merge_implIS3_PaPS5_jNS1_19radix_merge_compareILb0ELb0EaNS0_19identity_decomposerEEEEE10hipError_tT0_T1_T2_jT3_P12ihipStream_tbPNSt15iterator_traitsISE_E10value_typeEPNSK_ISF_E10value_typeEPSG_NS1_7vsmem_tEENKUlT_SE_SF_SG_E_clIS8_S8_S9_S9_EESD_ST_SE_SF_SG_EUlST_E1_NS1_11comp_targetILNS1_3genE5ELNS1_11target_archE942ELNS1_3gpuE9ELNS1_3repE0EEENS1_36merge_oddeven_config_static_selectorELNS0_4arch9wavefront6targetE0EEEvSF_.private_seg_size, 0
	.set _ZN7rocprim17ROCPRIM_400000_NS6detail17trampoline_kernelINS0_14default_configENS1_38merge_sort_block_merge_config_selectorIaNS0_10empty_typeEEEZZNS1_27merge_sort_block_merge_implIS3_PaPS5_jNS1_19radix_merge_compareILb0ELb0EaNS0_19identity_decomposerEEEEE10hipError_tT0_T1_T2_jT3_P12ihipStream_tbPNSt15iterator_traitsISE_E10value_typeEPNSK_ISF_E10value_typeEPSG_NS1_7vsmem_tEENKUlT_SE_SF_SG_E_clIS8_S8_S9_S9_EESD_ST_SE_SF_SG_EUlST_E1_NS1_11comp_targetILNS1_3genE5ELNS1_11target_archE942ELNS1_3gpuE9ELNS1_3repE0EEENS1_36merge_oddeven_config_static_selectorELNS0_4arch9wavefront6targetE0EEEvSF_.uses_vcc, 0
	.set _ZN7rocprim17ROCPRIM_400000_NS6detail17trampoline_kernelINS0_14default_configENS1_38merge_sort_block_merge_config_selectorIaNS0_10empty_typeEEEZZNS1_27merge_sort_block_merge_implIS3_PaPS5_jNS1_19radix_merge_compareILb0ELb0EaNS0_19identity_decomposerEEEEE10hipError_tT0_T1_T2_jT3_P12ihipStream_tbPNSt15iterator_traitsISE_E10value_typeEPNSK_ISF_E10value_typeEPSG_NS1_7vsmem_tEENKUlT_SE_SF_SG_E_clIS8_S8_S9_S9_EESD_ST_SE_SF_SG_EUlST_E1_NS1_11comp_targetILNS1_3genE5ELNS1_11target_archE942ELNS1_3gpuE9ELNS1_3repE0EEENS1_36merge_oddeven_config_static_selectorELNS0_4arch9wavefront6targetE0EEEvSF_.uses_flat_scratch, 0
	.set _ZN7rocprim17ROCPRIM_400000_NS6detail17trampoline_kernelINS0_14default_configENS1_38merge_sort_block_merge_config_selectorIaNS0_10empty_typeEEEZZNS1_27merge_sort_block_merge_implIS3_PaPS5_jNS1_19radix_merge_compareILb0ELb0EaNS0_19identity_decomposerEEEEE10hipError_tT0_T1_T2_jT3_P12ihipStream_tbPNSt15iterator_traitsISE_E10value_typeEPNSK_ISF_E10value_typeEPSG_NS1_7vsmem_tEENKUlT_SE_SF_SG_E_clIS8_S8_S9_S9_EESD_ST_SE_SF_SG_EUlST_E1_NS1_11comp_targetILNS1_3genE5ELNS1_11target_archE942ELNS1_3gpuE9ELNS1_3repE0EEENS1_36merge_oddeven_config_static_selectorELNS0_4arch9wavefront6targetE0EEEvSF_.has_dyn_sized_stack, 0
	.set _ZN7rocprim17ROCPRIM_400000_NS6detail17trampoline_kernelINS0_14default_configENS1_38merge_sort_block_merge_config_selectorIaNS0_10empty_typeEEEZZNS1_27merge_sort_block_merge_implIS3_PaPS5_jNS1_19radix_merge_compareILb0ELb0EaNS0_19identity_decomposerEEEEE10hipError_tT0_T1_T2_jT3_P12ihipStream_tbPNSt15iterator_traitsISE_E10value_typeEPNSK_ISF_E10value_typeEPSG_NS1_7vsmem_tEENKUlT_SE_SF_SG_E_clIS8_S8_S9_S9_EESD_ST_SE_SF_SG_EUlST_E1_NS1_11comp_targetILNS1_3genE5ELNS1_11target_archE942ELNS1_3gpuE9ELNS1_3repE0EEENS1_36merge_oddeven_config_static_selectorELNS0_4arch9wavefront6targetE0EEEvSF_.has_recursion, 0
	.set _ZN7rocprim17ROCPRIM_400000_NS6detail17trampoline_kernelINS0_14default_configENS1_38merge_sort_block_merge_config_selectorIaNS0_10empty_typeEEEZZNS1_27merge_sort_block_merge_implIS3_PaPS5_jNS1_19radix_merge_compareILb0ELb0EaNS0_19identity_decomposerEEEEE10hipError_tT0_T1_T2_jT3_P12ihipStream_tbPNSt15iterator_traitsISE_E10value_typeEPNSK_ISF_E10value_typeEPSG_NS1_7vsmem_tEENKUlT_SE_SF_SG_E_clIS8_S8_S9_S9_EESD_ST_SE_SF_SG_EUlST_E1_NS1_11comp_targetILNS1_3genE5ELNS1_11target_archE942ELNS1_3gpuE9ELNS1_3repE0EEENS1_36merge_oddeven_config_static_selectorELNS0_4arch9wavefront6targetE0EEEvSF_.has_indirect_call, 0
	.section	.AMDGPU.csdata,"",@progbits
; Kernel info:
; codeLenInByte = 0
; TotalNumSgprs: 0
; NumVgprs: 0
; ScratchSize: 0
; MemoryBound: 0
; FloatMode: 240
; IeeeMode: 1
; LDSByteSize: 0 bytes/workgroup (compile time only)
; SGPRBlocks: 0
; VGPRBlocks: 0
; NumSGPRsForWavesPerEU: 1
; NumVGPRsForWavesPerEU: 1
; NamedBarCnt: 0
; Occupancy: 16
; WaveLimiterHint : 0
; COMPUTE_PGM_RSRC2:SCRATCH_EN: 0
; COMPUTE_PGM_RSRC2:USER_SGPR: 2
; COMPUTE_PGM_RSRC2:TRAP_HANDLER: 0
; COMPUTE_PGM_RSRC2:TGID_X_EN: 1
; COMPUTE_PGM_RSRC2:TGID_Y_EN: 0
; COMPUTE_PGM_RSRC2:TGID_Z_EN: 0
; COMPUTE_PGM_RSRC2:TIDIG_COMP_CNT: 0
	.section	.text._ZN7rocprim17ROCPRIM_400000_NS6detail17trampoline_kernelINS0_14default_configENS1_38merge_sort_block_merge_config_selectorIaNS0_10empty_typeEEEZZNS1_27merge_sort_block_merge_implIS3_PaPS5_jNS1_19radix_merge_compareILb0ELb0EaNS0_19identity_decomposerEEEEE10hipError_tT0_T1_T2_jT3_P12ihipStream_tbPNSt15iterator_traitsISE_E10value_typeEPNSK_ISF_E10value_typeEPSG_NS1_7vsmem_tEENKUlT_SE_SF_SG_E_clIS8_S8_S9_S9_EESD_ST_SE_SF_SG_EUlST_E1_NS1_11comp_targetILNS1_3genE4ELNS1_11target_archE910ELNS1_3gpuE8ELNS1_3repE0EEENS1_36merge_oddeven_config_static_selectorELNS0_4arch9wavefront6targetE0EEEvSF_,"axG",@progbits,_ZN7rocprim17ROCPRIM_400000_NS6detail17trampoline_kernelINS0_14default_configENS1_38merge_sort_block_merge_config_selectorIaNS0_10empty_typeEEEZZNS1_27merge_sort_block_merge_implIS3_PaPS5_jNS1_19radix_merge_compareILb0ELb0EaNS0_19identity_decomposerEEEEE10hipError_tT0_T1_T2_jT3_P12ihipStream_tbPNSt15iterator_traitsISE_E10value_typeEPNSK_ISF_E10value_typeEPSG_NS1_7vsmem_tEENKUlT_SE_SF_SG_E_clIS8_S8_S9_S9_EESD_ST_SE_SF_SG_EUlST_E1_NS1_11comp_targetILNS1_3genE4ELNS1_11target_archE910ELNS1_3gpuE8ELNS1_3repE0EEENS1_36merge_oddeven_config_static_selectorELNS0_4arch9wavefront6targetE0EEEvSF_,comdat
	.protected	_ZN7rocprim17ROCPRIM_400000_NS6detail17trampoline_kernelINS0_14default_configENS1_38merge_sort_block_merge_config_selectorIaNS0_10empty_typeEEEZZNS1_27merge_sort_block_merge_implIS3_PaPS5_jNS1_19radix_merge_compareILb0ELb0EaNS0_19identity_decomposerEEEEE10hipError_tT0_T1_T2_jT3_P12ihipStream_tbPNSt15iterator_traitsISE_E10value_typeEPNSK_ISF_E10value_typeEPSG_NS1_7vsmem_tEENKUlT_SE_SF_SG_E_clIS8_S8_S9_S9_EESD_ST_SE_SF_SG_EUlST_E1_NS1_11comp_targetILNS1_3genE4ELNS1_11target_archE910ELNS1_3gpuE8ELNS1_3repE0EEENS1_36merge_oddeven_config_static_selectorELNS0_4arch9wavefront6targetE0EEEvSF_ ; -- Begin function _ZN7rocprim17ROCPRIM_400000_NS6detail17trampoline_kernelINS0_14default_configENS1_38merge_sort_block_merge_config_selectorIaNS0_10empty_typeEEEZZNS1_27merge_sort_block_merge_implIS3_PaPS5_jNS1_19radix_merge_compareILb0ELb0EaNS0_19identity_decomposerEEEEE10hipError_tT0_T1_T2_jT3_P12ihipStream_tbPNSt15iterator_traitsISE_E10value_typeEPNSK_ISF_E10value_typeEPSG_NS1_7vsmem_tEENKUlT_SE_SF_SG_E_clIS8_S8_S9_S9_EESD_ST_SE_SF_SG_EUlST_E1_NS1_11comp_targetILNS1_3genE4ELNS1_11target_archE910ELNS1_3gpuE8ELNS1_3repE0EEENS1_36merge_oddeven_config_static_selectorELNS0_4arch9wavefront6targetE0EEEvSF_
	.globl	_ZN7rocprim17ROCPRIM_400000_NS6detail17trampoline_kernelINS0_14default_configENS1_38merge_sort_block_merge_config_selectorIaNS0_10empty_typeEEEZZNS1_27merge_sort_block_merge_implIS3_PaPS5_jNS1_19radix_merge_compareILb0ELb0EaNS0_19identity_decomposerEEEEE10hipError_tT0_T1_T2_jT3_P12ihipStream_tbPNSt15iterator_traitsISE_E10value_typeEPNSK_ISF_E10value_typeEPSG_NS1_7vsmem_tEENKUlT_SE_SF_SG_E_clIS8_S8_S9_S9_EESD_ST_SE_SF_SG_EUlST_E1_NS1_11comp_targetILNS1_3genE4ELNS1_11target_archE910ELNS1_3gpuE8ELNS1_3repE0EEENS1_36merge_oddeven_config_static_selectorELNS0_4arch9wavefront6targetE0EEEvSF_
	.p2align	8
	.type	_ZN7rocprim17ROCPRIM_400000_NS6detail17trampoline_kernelINS0_14default_configENS1_38merge_sort_block_merge_config_selectorIaNS0_10empty_typeEEEZZNS1_27merge_sort_block_merge_implIS3_PaPS5_jNS1_19radix_merge_compareILb0ELb0EaNS0_19identity_decomposerEEEEE10hipError_tT0_T1_T2_jT3_P12ihipStream_tbPNSt15iterator_traitsISE_E10value_typeEPNSK_ISF_E10value_typeEPSG_NS1_7vsmem_tEENKUlT_SE_SF_SG_E_clIS8_S8_S9_S9_EESD_ST_SE_SF_SG_EUlST_E1_NS1_11comp_targetILNS1_3genE4ELNS1_11target_archE910ELNS1_3gpuE8ELNS1_3repE0EEENS1_36merge_oddeven_config_static_selectorELNS0_4arch9wavefront6targetE0EEEvSF_,@function
_ZN7rocprim17ROCPRIM_400000_NS6detail17trampoline_kernelINS0_14default_configENS1_38merge_sort_block_merge_config_selectorIaNS0_10empty_typeEEEZZNS1_27merge_sort_block_merge_implIS3_PaPS5_jNS1_19radix_merge_compareILb0ELb0EaNS0_19identity_decomposerEEEEE10hipError_tT0_T1_T2_jT3_P12ihipStream_tbPNSt15iterator_traitsISE_E10value_typeEPNSK_ISF_E10value_typeEPSG_NS1_7vsmem_tEENKUlT_SE_SF_SG_E_clIS8_S8_S9_S9_EESD_ST_SE_SF_SG_EUlST_E1_NS1_11comp_targetILNS1_3genE4ELNS1_11target_archE910ELNS1_3gpuE8ELNS1_3repE0EEENS1_36merge_oddeven_config_static_selectorELNS0_4arch9wavefront6targetE0EEEvSF_: ; @_ZN7rocprim17ROCPRIM_400000_NS6detail17trampoline_kernelINS0_14default_configENS1_38merge_sort_block_merge_config_selectorIaNS0_10empty_typeEEEZZNS1_27merge_sort_block_merge_implIS3_PaPS5_jNS1_19radix_merge_compareILb0ELb0EaNS0_19identity_decomposerEEEEE10hipError_tT0_T1_T2_jT3_P12ihipStream_tbPNSt15iterator_traitsISE_E10value_typeEPNSK_ISF_E10value_typeEPSG_NS1_7vsmem_tEENKUlT_SE_SF_SG_E_clIS8_S8_S9_S9_EESD_ST_SE_SF_SG_EUlST_E1_NS1_11comp_targetILNS1_3genE4ELNS1_11target_archE910ELNS1_3gpuE8ELNS1_3repE0EEENS1_36merge_oddeven_config_static_selectorELNS0_4arch9wavefront6targetE0EEEvSF_
; %bb.0:
	.section	.rodata,"a",@progbits
	.p2align	6, 0x0
	.amdhsa_kernel _ZN7rocprim17ROCPRIM_400000_NS6detail17trampoline_kernelINS0_14default_configENS1_38merge_sort_block_merge_config_selectorIaNS0_10empty_typeEEEZZNS1_27merge_sort_block_merge_implIS3_PaPS5_jNS1_19radix_merge_compareILb0ELb0EaNS0_19identity_decomposerEEEEE10hipError_tT0_T1_T2_jT3_P12ihipStream_tbPNSt15iterator_traitsISE_E10value_typeEPNSK_ISF_E10value_typeEPSG_NS1_7vsmem_tEENKUlT_SE_SF_SG_E_clIS8_S8_S9_S9_EESD_ST_SE_SF_SG_EUlST_E1_NS1_11comp_targetILNS1_3genE4ELNS1_11target_archE910ELNS1_3gpuE8ELNS1_3repE0EEENS1_36merge_oddeven_config_static_selectorELNS0_4arch9wavefront6targetE0EEEvSF_
		.amdhsa_group_segment_fixed_size 0
		.amdhsa_private_segment_fixed_size 0
		.amdhsa_kernarg_size 48
		.amdhsa_user_sgpr_count 2
		.amdhsa_user_sgpr_dispatch_ptr 0
		.amdhsa_user_sgpr_queue_ptr 0
		.amdhsa_user_sgpr_kernarg_segment_ptr 1
		.amdhsa_user_sgpr_dispatch_id 0
		.amdhsa_user_sgpr_kernarg_preload_length 0
		.amdhsa_user_sgpr_kernarg_preload_offset 0
		.amdhsa_user_sgpr_private_segment_size 0
		.amdhsa_wavefront_size32 1
		.amdhsa_uses_dynamic_stack 0
		.amdhsa_enable_private_segment 0
		.amdhsa_system_sgpr_workgroup_id_x 1
		.amdhsa_system_sgpr_workgroup_id_y 0
		.amdhsa_system_sgpr_workgroup_id_z 0
		.amdhsa_system_sgpr_workgroup_info 0
		.amdhsa_system_vgpr_workitem_id 0
		.amdhsa_next_free_vgpr 1
		.amdhsa_next_free_sgpr 1
		.amdhsa_named_barrier_count 0
		.amdhsa_reserve_vcc 0
		.amdhsa_float_round_mode_32 0
		.amdhsa_float_round_mode_16_64 0
		.amdhsa_float_denorm_mode_32 3
		.amdhsa_float_denorm_mode_16_64 3
		.amdhsa_fp16_overflow 0
		.amdhsa_memory_ordered 1
		.amdhsa_forward_progress 1
		.amdhsa_inst_pref_size 0
		.amdhsa_round_robin_scheduling 0
		.amdhsa_exception_fp_ieee_invalid_op 0
		.amdhsa_exception_fp_denorm_src 0
		.amdhsa_exception_fp_ieee_div_zero 0
		.amdhsa_exception_fp_ieee_overflow 0
		.amdhsa_exception_fp_ieee_underflow 0
		.amdhsa_exception_fp_ieee_inexact 0
		.amdhsa_exception_int_div_zero 0
	.end_amdhsa_kernel
	.section	.text._ZN7rocprim17ROCPRIM_400000_NS6detail17trampoline_kernelINS0_14default_configENS1_38merge_sort_block_merge_config_selectorIaNS0_10empty_typeEEEZZNS1_27merge_sort_block_merge_implIS3_PaPS5_jNS1_19radix_merge_compareILb0ELb0EaNS0_19identity_decomposerEEEEE10hipError_tT0_T1_T2_jT3_P12ihipStream_tbPNSt15iterator_traitsISE_E10value_typeEPNSK_ISF_E10value_typeEPSG_NS1_7vsmem_tEENKUlT_SE_SF_SG_E_clIS8_S8_S9_S9_EESD_ST_SE_SF_SG_EUlST_E1_NS1_11comp_targetILNS1_3genE4ELNS1_11target_archE910ELNS1_3gpuE8ELNS1_3repE0EEENS1_36merge_oddeven_config_static_selectorELNS0_4arch9wavefront6targetE0EEEvSF_,"axG",@progbits,_ZN7rocprim17ROCPRIM_400000_NS6detail17trampoline_kernelINS0_14default_configENS1_38merge_sort_block_merge_config_selectorIaNS0_10empty_typeEEEZZNS1_27merge_sort_block_merge_implIS3_PaPS5_jNS1_19radix_merge_compareILb0ELb0EaNS0_19identity_decomposerEEEEE10hipError_tT0_T1_T2_jT3_P12ihipStream_tbPNSt15iterator_traitsISE_E10value_typeEPNSK_ISF_E10value_typeEPSG_NS1_7vsmem_tEENKUlT_SE_SF_SG_E_clIS8_S8_S9_S9_EESD_ST_SE_SF_SG_EUlST_E1_NS1_11comp_targetILNS1_3genE4ELNS1_11target_archE910ELNS1_3gpuE8ELNS1_3repE0EEENS1_36merge_oddeven_config_static_selectorELNS0_4arch9wavefront6targetE0EEEvSF_,comdat
.Lfunc_end419:
	.size	_ZN7rocprim17ROCPRIM_400000_NS6detail17trampoline_kernelINS0_14default_configENS1_38merge_sort_block_merge_config_selectorIaNS0_10empty_typeEEEZZNS1_27merge_sort_block_merge_implIS3_PaPS5_jNS1_19radix_merge_compareILb0ELb0EaNS0_19identity_decomposerEEEEE10hipError_tT0_T1_T2_jT3_P12ihipStream_tbPNSt15iterator_traitsISE_E10value_typeEPNSK_ISF_E10value_typeEPSG_NS1_7vsmem_tEENKUlT_SE_SF_SG_E_clIS8_S8_S9_S9_EESD_ST_SE_SF_SG_EUlST_E1_NS1_11comp_targetILNS1_3genE4ELNS1_11target_archE910ELNS1_3gpuE8ELNS1_3repE0EEENS1_36merge_oddeven_config_static_selectorELNS0_4arch9wavefront6targetE0EEEvSF_, .Lfunc_end419-_ZN7rocprim17ROCPRIM_400000_NS6detail17trampoline_kernelINS0_14default_configENS1_38merge_sort_block_merge_config_selectorIaNS0_10empty_typeEEEZZNS1_27merge_sort_block_merge_implIS3_PaPS5_jNS1_19radix_merge_compareILb0ELb0EaNS0_19identity_decomposerEEEEE10hipError_tT0_T1_T2_jT3_P12ihipStream_tbPNSt15iterator_traitsISE_E10value_typeEPNSK_ISF_E10value_typeEPSG_NS1_7vsmem_tEENKUlT_SE_SF_SG_E_clIS8_S8_S9_S9_EESD_ST_SE_SF_SG_EUlST_E1_NS1_11comp_targetILNS1_3genE4ELNS1_11target_archE910ELNS1_3gpuE8ELNS1_3repE0EEENS1_36merge_oddeven_config_static_selectorELNS0_4arch9wavefront6targetE0EEEvSF_
                                        ; -- End function
	.set _ZN7rocprim17ROCPRIM_400000_NS6detail17trampoline_kernelINS0_14default_configENS1_38merge_sort_block_merge_config_selectorIaNS0_10empty_typeEEEZZNS1_27merge_sort_block_merge_implIS3_PaPS5_jNS1_19radix_merge_compareILb0ELb0EaNS0_19identity_decomposerEEEEE10hipError_tT0_T1_T2_jT3_P12ihipStream_tbPNSt15iterator_traitsISE_E10value_typeEPNSK_ISF_E10value_typeEPSG_NS1_7vsmem_tEENKUlT_SE_SF_SG_E_clIS8_S8_S9_S9_EESD_ST_SE_SF_SG_EUlST_E1_NS1_11comp_targetILNS1_3genE4ELNS1_11target_archE910ELNS1_3gpuE8ELNS1_3repE0EEENS1_36merge_oddeven_config_static_selectorELNS0_4arch9wavefront6targetE0EEEvSF_.num_vgpr, 0
	.set _ZN7rocprim17ROCPRIM_400000_NS6detail17trampoline_kernelINS0_14default_configENS1_38merge_sort_block_merge_config_selectorIaNS0_10empty_typeEEEZZNS1_27merge_sort_block_merge_implIS3_PaPS5_jNS1_19radix_merge_compareILb0ELb0EaNS0_19identity_decomposerEEEEE10hipError_tT0_T1_T2_jT3_P12ihipStream_tbPNSt15iterator_traitsISE_E10value_typeEPNSK_ISF_E10value_typeEPSG_NS1_7vsmem_tEENKUlT_SE_SF_SG_E_clIS8_S8_S9_S9_EESD_ST_SE_SF_SG_EUlST_E1_NS1_11comp_targetILNS1_3genE4ELNS1_11target_archE910ELNS1_3gpuE8ELNS1_3repE0EEENS1_36merge_oddeven_config_static_selectorELNS0_4arch9wavefront6targetE0EEEvSF_.num_agpr, 0
	.set _ZN7rocprim17ROCPRIM_400000_NS6detail17trampoline_kernelINS0_14default_configENS1_38merge_sort_block_merge_config_selectorIaNS0_10empty_typeEEEZZNS1_27merge_sort_block_merge_implIS3_PaPS5_jNS1_19radix_merge_compareILb0ELb0EaNS0_19identity_decomposerEEEEE10hipError_tT0_T1_T2_jT3_P12ihipStream_tbPNSt15iterator_traitsISE_E10value_typeEPNSK_ISF_E10value_typeEPSG_NS1_7vsmem_tEENKUlT_SE_SF_SG_E_clIS8_S8_S9_S9_EESD_ST_SE_SF_SG_EUlST_E1_NS1_11comp_targetILNS1_3genE4ELNS1_11target_archE910ELNS1_3gpuE8ELNS1_3repE0EEENS1_36merge_oddeven_config_static_selectorELNS0_4arch9wavefront6targetE0EEEvSF_.numbered_sgpr, 0
	.set _ZN7rocprim17ROCPRIM_400000_NS6detail17trampoline_kernelINS0_14default_configENS1_38merge_sort_block_merge_config_selectorIaNS0_10empty_typeEEEZZNS1_27merge_sort_block_merge_implIS3_PaPS5_jNS1_19radix_merge_compareILb0ELb0EaNS0_19identity_decomposerEEEEE10hipError_tT0_T1_T2_jT3_P12ihipStream_tbPNSt15iterator_traitsISE_E10value_typeEPNSK_ISF_E10value_typeEPSG_NS1_7vsmem_tEENKUlT_SE_SF_SG_E_clIS8_S8_S9_S9_EESD_ST_SE_SF_SG_EUlST_E1_NS1_11comp_targetILNS1_3genE4ELNS1_11target_archE910ELNS1_3gpuE8ELNS1_3repE0EEENS1_36merge_oddeven_config_static_selectorELNS0_4arch9wavefront6targetE0EEEvSF_.num_named_barrier, 0
	.set _ZN7rocprim17ROCPRIM_400000_NS6detail17trampoline_kernelINS0_14default_configENS1_38merge_sort_block_merge_config_selectorIaNS0_10empty_typeEEEZZNS1_27merge_sort_block_merge_implIS3_PaPS5_jNS1_19radix_merge_compareILb0ELb0EaNS0_19identity_decomposerEEEEE10hipError_tT0_T1_T2_jT3_P12ihipStream_tbPNSt15iterator_traitsISE_E10value_typeEPNSK_ISF_E10value_typeEPSG_NS1_7vsmem_tEENKUlT_SE_SF_SG_E_clIS8_S8_S9_S9_EESD_ST_SE_SF_SG_EUlST_E1_NS1_11comp_targetILNS1_3genE4ELNS1_11target_archE910ELNS1_3gpuE8ELNS1_3repE0EEENS1_36merge_oddeven_config_static_selectorELNS0_4arch9wavefront6targetE0EEEvSF_.private_seg_size, 0
	.set _ZN7rocprim17ROCPRIM_400000_NS6detail17trampoline_kernelINS0_14default_configENS1_38merge_sort_block_merge_config_selectorIaNS0_10empty_typeEEEZZNS1_27merge_sort_block_merge_implIS3_PaPS5_jNS1_19radix_merge_compareILb0ELb0EaNS0_19identity_decomposerEEEEE10hipError_tT0_T1_T2_jT3_P12ihipStream_tbPNSt15iterator_traitsISE_E10value_typeEPNSK_ISF_E10value_typeEPSG_NS1_7vsmem_tEENKUlT_SE_SF_SG_E_clIS8_S8_S9_S9_EESD_ST_SE_SF_SG_EUlST_E1_NS1_11comp_targetILNS1_3genE4ELNS1_11target_archE910ELNS1_3gpuE8ELNS1_3repE0EEENS1_36merge_oddeven_config_static_selectorELNS0_4arch9wavefront6targetE0EEEvSF_.uses_vcc, 0
	.set _ZN7rocprim17ROCPRIM_400000_NS6detail17trampoline_kernelINS0_14default_configENS1_38merge_sort_block_merge_config_selectorIaNS0_10empty_typeEEEZZNS1_27merge_sort_block_merge_implIS3_PaPS5_jNS1_19radix_merge_compareILb0ELb0EaNS0_19identity_decomposerEEEEE10hipError_tT0_T1_T2_jT3_P12ihipStream_tbPNSt15iterator_traitsISE_E10value_typeEPNSK_ISF_E10value_typeEPSG_NS1_7vsmem_tEENKUlT_SE_SF_SG_E_clIS8_S8_S9_S9_EESD_ST_SE_SF_SG_EUlST_E1_NS1_11comp_targetILNS1_3genE4ELNS1_11target_archE910ELNS1_3gpuE8ELNS1_3repE0EEENS1_36merge_oddeven_config_static_selectorELNS0_4arch9wavefront6targetE0EEEvSF_.uses_flat_scratch, 0
	.set _ZN7rocprim17ROCPRIM_400000_NS6detail17trampoline_kernelINS0_14default_configENS1_38merge_sort_block_merge_config_selectorIaNS0_10empty_typeEEEZZNS1_27merge_sort_block_merge_implIS3_PaPS5_jNS1_19radix_merge_compareILb0ELb0EaNS0_19identity_decomposerEEEEE10hipError_tT0_T1_T2_jT3_P12ihipStream_tbPNSt15iterator_traitsISE_E10value_typeEPNSK_ISF_E10value_typeEPSG_NS1_7vsmem_tEENKUlT_SE_SF_SG_E_clIS8_S8_S9_S9_EESD_ST_SE_SF_SG_EUlST_E1_NS1_11comp_targetILNS1_3genE4ELNS1_11target_archE910ELNS1_3gpuE8ELNS1_3repE0EEENS1_36merge_oddeven_config_static_selectorELNS0_4arch9wavefront6targetE0EEEvSF_.has_dyn_sized_stack, 0
	.set _ZN7rocprim17ROCPRIM_400000_NS6detail17trampoline_kernelINS0_14default_configENS1_38merge_sort_block_merge_config_selectorIaNS0_10empty_typeEEEZZNS1_27merge_sort_block_merge_implIS3_PaPS5_jNS1_19radix_merge_compareILb0ELb0EaNS0_19identity_decomposerEEEEE10hipError_tT0_T1_T2_jT3_P12ihipStream_tbPNSt15iterator_traitsISE_E10value_typeEPNSK_ISF_E10value_typeEPSG_NS1_7vsmem_tEENKUlT_SE_SF_SG_E_clIS8_S8_S9_S9_EESD_ST_SE_SF_SG_EUlST_E1_NS1_11comp_targetILNS1_3genE4ELNS1_11target_archE910ELNS1_3gpuE8ELNS1_3repE0EEENS1_36merge_oddeven_config_static_selectorELNS0_4arch9wavefront6targetE0EEEvSF_.has_recursion, 0
	.set _ZN7rocprim17ROCPRIM_400000_NS6detail17trampoline_kernelINS0_14default_configENS1_38merge_sort_block_merge_config_selectorIaNS0_10empty_typeEEEZZNS1_27merge_sort_block_merge_implIS3_PaPS5_jNS1_19radix_merge_compareILb0ELb0EaNS0_19identity_decomposerEEEEE10hipError_tT0_T1_T2_jT3_P12ihipStream_tbPNSt15iterator_traitsISE_E10value_typeEPNSK_ISF_E10value_typeEPSG_NS1_7vsmem_tEENKUlT_SE_SF_SG_E_clIS8_S8_S9_S9_EESD_ST_SE_SF_SG_EUlST_E1_NS1_11comp_targetILNS1_3genE4ELNS1_11target_archE910ELNS1_3gpuE8ELNS1_3repE0EEENS1_36merge_oddeven_config_static_selectorELNS0_4arch9wavefront6targetE0EEEvSF_.has_indirect_call, 0
	.section	.AMDGPU.csdata,"",@progbits
; Kernel info:
; codeLenInByte = 0
; TotalNumSgprs: 0
; NumVgprs: 0
; ScratchSize: 0
; MemoryBound: 0
; FloatMode: 240
; IeeeMode: 1
; LDSByteSize: 0 bytes/workgroup (compile time only)
; SGPRBlocks: 0
; VGPRBlocks: 0
; NumSGPRsForWavesPerEU: 1
; NumVGPRsForWavesPerEU: 1
; NamedBarCnt: 0
; Occupancy: 16
; WaveLimiterHint : 0
; COMPUTE_PGM_RSRC2:SCRATCH_EN: 0
; COMPUTE_PGM_RSRC2:USER_SGPR: 2
; COMPUTE_PGM_RSRC2:TRAP_HANDLER: 0
; COMPUTE_PGM_RSRC2:TGID_X_EN: 1
; COMPUTE_PGM_RSRC2:TGID_Y_EN: 0
; COMPUTE_PGM_RSRC2:TGID_Z_EN: 0
; COMPUTE_PGM_RSRC2:TIDIG_COMP_CNT: 0
	.section	.text._ZN7rocprim17ROCPRIM_400000_NS6detail17trampoline_kernelINS0_14default_configENS1_38merge_sort_block_merge_config_selectorIaNS0_10empty_typeEEEZZNS1_27merge_sort_block_merge_implIS3_PaPS5_jNS1_19radix_merge_compareILb0ELb0EaNS0_19identity_decomposerEEEEE10hipError_tT0_T1_T2_jT3_P12ihipStream_tbPNSt15iterator_traitsISE_E10value_typeEPNSK_ISF_E10value_typeEPSG_NS1_7vsmem_tEENKUlT_SE_SF_SG_E_clIS8_S8_S9_S9_EESD_ST_SE_SF_SG_EUlST_E1_NS1_11comp_targetILNS1_3genE3ELNS1_11target_archE908ELNS1_3gpuE7ELNS1_3repE0EEENS1_36merge_oddeven_config_static_selectorELNS0_4arch9wavefront6targetE0EEEvSF_,"axG",@progbits,_ZN7rocprim17ROCPRIM_400000_NS6detail17trampoline_kernelINS0_14default_configENS1_38merge_sort_block_merge_config_selectorIaNS0_10empty_typeEEEZZNS1_27merge_sort_block_merge_implIS3_PaPS5_jNS1_19radix_merge_compareILb0ELb0EaNS0_19identity_decomposerEEEEE10hipError_tT0_T1_T2_jT3_P12ihipStream_tbPNSt15iterator_traitsISE_E10value_typeEPNSK_ISF_E10value_typeEPSG_NS1_7vsmem_tEENKUlT_SE_SF_SG_E_clIS8_S8_S9_S9_EESD_ST_SE_SF_SG_EUlST_E1_NS1_11comp_targetILNS1_3genE3ELNS1_11target_archE908ELNS1_3gpuE7ELNS1_3repE0EEENS1_36merge_oddeven_config_static_selectorELNS0_4arch9wavefront6targetE0EEEvSF_,comdat
	.protected	_ZN7rocprim17ROCPRIM_400000_NS6detail17trampoline_kernelINS0_14default_configENS1_38merge_sort_block_merge_config_selectorIaNS0_10empty_typeEEEZZNS1_27merge_sort_block_merge_implIS3_PaPS5_jNS1_19radix_merge_compareILb0ELb0EaNS0_19identity_decomposerEEEEE10hipError_tT0_T1_T2_jT3_P12ihipStream_tbPNSt15iterator_traitsISE_E10value_typeEPNSK_ISF_E10value_typeEPSG_NS1_7vsmem_tEENKUlT_SE_SF_SG_E_clIS8_S8_S9_S9_EESD_ST_SE_SF_SG_EUlST_E1_NS1_11comp_targetILNS1_3genE3ELNS1_11target_archE908ELNS1_3gpuE7ELNS1_3repE0EEENS1_36merge_oddeven_config_static_selectorELNS0_4arch9wavefront6targetE0EEEvSF_ ; -- Begin function _ZN7rocprim17ROCPRIM_400000_NS6detail17trampoline_kernelINS0_14default_configENS1_38merge_sort_block_merge_config_selectorIaNS0_10empty_typeEEEZZNS1_27merge_sort_block_merge_implIS3_PaPS5_jNS1_19radix_merge_compareILb0ELb0EaNS0_19identity_decomposerEEEEE10hipError_tT0_T1_T2_jT3_P12ihipStream_tbPNSt15iterator_traitsISE_E10value_typeEPNSK_ISF_E10value_typeEPSG_NS1_7vsmem_tEENKUlT_SE_SF_SG_E_clIS8_S8_S9_S9_EESD_ST_SE_SF_SG_EUlST_E1_NS1_11comp_targetILNS1_3genE3ELNS1_11target_archE908ELNS1_3gpuE7ELNS1_3repE0EEENS1_36merge_oddeven_config_static_selectorELNS0_4arch9wavefront6targetE0EEEvSF_
	.globl	_ZN7rocprim17ROCPRIM_400000_NS6detail17trampoline_kernelINS0_14default_configENS1_38merge_sort_block_merge_config_selectorIaNS0_10empty_typeEEEZZNS1_27merge_sort_block_merge_implIS3_PaPS5_jNS1_19radix_merge_compareILb0ELb0EaNS0_19identity_decomposerEEEEE10hipError_tT0_T1_T2_jT3_P12ihipStream_tbPNSt15iterator_traitsISE_E10value_typeEPNSK_ISF_E10value_typeEPSG_NS1_7vsmem_tEENKUlT_SE_SF_SG_E_clIS8_S8_S9_S9_EESD_ST_SE_SF_SG_EUlST_E1_NS1_11comp_targetILNS1_3genE3ELNS1_11target_archE908ELNS1_3gpuE7ELNS1_3repE0EEENS1_36merge_oddeven_config_static_selectorELNS0_4arch9wavefront6targetE0EEEvSF_
	.p2align	8
	.type	_ZN7rocprim17ROCPRIM_400000_NS6detail17trampoline_kernelINS0_14default_configENS1_38merge_sort_block_merge_config_selectorIaNS0_10empty_typeEEEZZNS1_27merge_sort_block_merge_implIS3_PaPS5_jNS1_19radix_merge_compareILb0ELb0EaNS0_19identity_decomposerEEEEE10hipError_tT0_T1_T2_jT3_P12ihipStream_tbPNSt15iterator_traitsISE_E10value_typeEPNSK_ISF_E10value_typeEPSG_NS1_7vsmem_tEENKUlT_SE_SF_SG_E_clIS8_S8_S9_S9_EESD_ST_SE_SF_SG_EUlST_E1_NS1_11comp_targetILNS1_3genE3ELNS1_11target_archE908ELNS1_3gpuE7ELNS1_3repE0EEENS1_36merge_oddeven_config_static_selectorELNS0_4arch9wavefront6targetE0EEEvSF_,@function
_ZN7rocprim17ROCPRIM_400000_NS6detail17trampoline_kernelINS0_14default_configENS1_38merge_sort_block_merge_config_selectorIaNS0_10empty_typeEEEZZNS1_27merge_sort_block_merge_implIS3_PaPS5_jNS1_19radix_merge_compareILb0ELb0EaNS0_19identity_decomposerEEEEE10hipError_tT0_T1_T2_jT3_P12ihipStream_tbPNSt15iterator_traitsISE_E10value_typeEPNSK_ISF_E10value_typeEPSG_NS1_7vsmem_tEENKUlT_SE_SF_SG_E_clIS8_S8_S9_S9_EESD_ST_SE_SF_SG_EUlST_E1_NS1_11comp_targetILNS1_3genE3ELNS1_11target_archE908ELNS1_3gpuE7ELNS1_3repE0EEENS1_36merge_oddeven_config_static_selectorELNS0_4arch9wavefront6targetE0EEEvSF_: ; @_ZN7rocprim17ROCPRIM_400000_NS6detail17trampoline_kernelINS0_14default_configENS1_38merge_sort_block_merge_config_selectorIaNS0_10empty_typeEEEZZNS1_27merge_sort_block_merge_implIS3_PaPS5_jNS1_19radix_merge_compareILb0ELb0EaNS0_19identity_decomposerEEEEE10hipError_tT0_T1_T2_jT3_P12ihipStream_tbPNSt15iterator_traitsISE_E10value_typeEPNSK_ISF_E10value_typeEPSG_NS1_7vsmem_tEENKUlT_SE_SF_SG_E_clIS8_S8_S9_S9_EESD_ST_SE_SF_SG_EUlST_E1_NS1_11comp_targetILNS1_3genE3ELNS1_11target_archE908ELNS1_3gpuE7ELNS1_3repE0EEENS1_36merge_oddeven_config_static_selectorELNS0_4arch9wavefront6targetE0EEEvSF_
; %bb.0:
	.section	.rodata,"a",@progbits
	.p2align	6, 0x0
	.amdhsa_kernel _ZN7rocprim17ROCPRIM_400000_NS6detail17trampoline_kernelINS0_14default_configENS1_38merge_sort_block_merge_config_selectorIaNS0_10empty_typeEEEZZNS1_27merge_sort_block_merge_implIS3_PaPS5_jNS1_19radix_merge_compareILb0ELb0EaNS0_19identity_decomposerEEEEE10hipError_tT0_T1_T2_jT3_P12ihipStream_tbPNSt15iterator_traitsISE_E10value_typeEPNSK_ISF_E10value_typeEPSG_NS1_7vsmem_tEENKUlT_SE_SF_SG_E_clIS8_S8_S9_S9_EESD_ST_SE_SF_SG_EUlST_E1_NS1_11comp_targetILNS1_3genE3ELNS1_11target_archE908ELNS1_3gpuE7ELNS1_3repE0EEENS1_36merge_oddeven_config_static_selectorELNS0_4arch9wavefront6targetE0EEEvSF_
		.amdhsa_group_segment_fixed_size 0
		.amdhsa_private_segment_fixed_size 0
		.amdhsa_kernarg_size 48
		.amdhsa_user_sgpr_count 2
		.amdhsa_user_sgpr_dispatch_ptr 0
		.amdhsa_user_sgpr_queue_ptr 0
		.amdhsa_user_sgpr_kernarg_segment_ptr 1
		.amdhsa_user_sgpr_dispatch_id 0
		.amdhsa_user_sgpr_kernarg_preload_length 0
		.amdhsa_user_sgpr_kernarg_preload_offset 0
		.amdhsa_user_sgpr_private_segment_size 0
		.amdhsa_wavefront_size32 1
		.amdhsa_uses_dynamic_stack 0
		.amdhsa_enable_private_segment 0
		.amdhsa_system_sgpr_workgroup_id_x 1
		.amdhsa_system_sgpr_workgroup_id_y 0
		.amdhsa_system_sgpr_workgroup_id_z 0
		.amdhsa_system_sgpr_workgroup_info 0
		.amdhsa_system_vgpr_workitem_id 0
		.amdhsa_next_free_vgpr 1
		.amdhsa_next_free_sgpr 1
		.amdhsa_named_barrier_count 0
		.amdhsa_reserve_vcc 0
		.amdhsa_float_round_mode_32 0
		.amdhsa_float_round_mode_16_64 0
		.amdhsa_float_denorm_mode_32 3
		.amdhsa_float_denorm_mode_16_64 3
		.amdhsa_fp16_overflow 0
		.amdhsa_memory_ordered 1
		.amdhsa_forward_progress 1
		.amdhsa_inst_pref_size 0
		.amdhsa_round_robin_scheduling 0
		.amdhsa_exception_fp_ieee_invalid_op 0
		.amdhsa_exception_fp_denorm_src 0
		.amdhsa_exception_fp_ieee_div_zero 0
		.amdhsa_exception_fp_ieee_overflow 0
		.amdhsa_exception_fp_ieee_underflow 0
		.amdhsa_exception_fp_ieee_inexact 0
		.amdhsa_exception_int_div_zero 0
	.end_amdhsa_kernel
	.section	.text._ZN7rocprim17ROCPRIM_400000_NS6detail17trampoline_kernelINS0_14default_configENS1_38merge_sort_block_merge_config_selectorIaNS0_10empty_typeEEEZZNS1_27merge_sort_block_merge_implIS3_PaPS5_jNS1_19radix_merge_compareILb0ELb0EaNS0_19identity_decomposerEEEEE10hipError_tT0_T1_T2_jT3_P12ihipStream_tbPNSt15iterator_traitsISE_E10value_typeEPNSK_ISF_E10value_typeEPSG_NS1_7vsmem_tEENKUlT_SE_SF_SG_E_clIS8_S8_S9_S9_EESD_ST_SE_SF_SG_EUlST_E1_NS1_11comp_targetILNS1_3genE3ELNS1_11target_archE908ELNS1_3gpuE7ELNS1_3repE0EEENS1_36merge_oddeven_config_static_selectorELNS0_4arch9wavefront6targetE0EEEvSF_,"axG",@progbits,_ZN7rocprim17ROCPRIM_400000_NS6detail17trampoline_kernelINS0_14default_configENS1_38merge_sort_block_merge_config_selectorIaNS0_10empty_typeEEEZZNS1_27merge_sort_block_merge_implIS3_PaPS5_jNS1_19radix_merge_compareILb0ELb0EaNS0_19identity_decomposerEEEEE10hipError_tT0_T1_T2_jT3_P12ihipStream_tbPNSt15iterator_traitsISE_E10value_typeEPNSK_ISF_E10value_typeEPSG_NS1_7vsmem_tEENKUlT_SE_SF_SG_E_clIS8_S8_S9_S9_EESD_ST_SE_SF_SG_EUlST_E1_NS1_11comp_targetILNS1_3genE3ELNS1_11target_archE908ELNS1_3gpuE7ELNS1_3repE0EEENS1_36merge_oddeven_config_static_selectorELNS0_4arch9wavefront6targetE0EEEvSF_,comdat
.Lfunc_end420:
	.size	_ZN7rocprim17ROCPRIM_400000_NS6detail17trampoline_kernelINS0_14default_configENS1_38merge_sort_block_merge_config_selectorIaNS0_10empty_typeEEEZZNS1_27merge_sort_block_merge_implIS3_PaPS5_jNS1_19radix_merge_compareILb0ELb0EaNS0_19identity_decomposerEEEEE10hipError_tT0_T1_T2_jT3_P12ihipStream_tbPNSt15iterator_traitsISE_E10value_typeEPNSK_ISF_E10value_typeEPSG_NS1_7vsmem_tEENKUlT_SE_SF_SG_E_clIS8_S8_S9_S9_EESD_ST_SE_SF_SG_EUlST_E1_NS1_11comp_targetILNS1_3genE3ELNS1_11target_archE908ELNS1_3gpuE7ELNS1_3repE0EEENS1_36merge_oddeven_config_static_selectorELNS0_4arch9wavefront6targetE0EEEvSF_, .Lfunc_end420-_ZN7rocprim17ROCPRIM_400000_NS6detail17trampoline_kernelINS0_14default_configENS1_38merge_sort_block_merge_config_selectorIaNS0_10empty_typeEEEZZNS1_27merge_sort_block_merge_implIS3_PaPS5_jNS1_19radix_merge_compareILb0ELb0EaNS0_19identity_decomposerEEEEE10hipError_tT0_T1_T2_jT3_P12ihipStream_tbPNSt15iterator_traitsISE_E10value_typeEPNSK_ISF_E10value_typeEPSG_NS1_7vsmem_tEENKUlT_SE_SF_SG_E_clIS8_S8_S9_S9_EESD_ST_SE_SF_SG_EUlST_E1_NS1_11comp_targetILNS1_3genE3ELNS1_11target_archE908ELNS1_3gpuE7ELNS1_3repE0EEENS1_36merge_oddeven_config_static_selectorELNS0_4arch9wavefront6targetE0EEEvSF_
                                        ; -- End function
	.set _ZN7rocprim17ROCPRIM_400000_NS6detail17trampoline_kernelINS0_14default_configENS1_38merge_sort_block_merge_config_selectorIaNS0_10empty_typeEEEZZNS1_27merge_sort_block_merge_implIS3_PaPS5_jNS1_19radix_merge_compareILb0ELb0EaNS0_19identity_decomposerEEEEE10hipError_tT0_T1_T2_jT3_P12ihipStream_tbPNSt15iterator_traitsISE_E10value_typeEPNSK_ISF_E10value_typeEPSG_NS1_7vsmem_tEENKUlT_SE_SF_SG_E_clIS8_S8_S9_S9_EESD_ST_SE_SF_SG_EUlST_E1_NS1_11comp_targetILNS1_3genE3ELNS1_11target_archE908ELNS1_3gpuE7ELNS1_3repE0EEENS1_36merge_oddeven_config_static_selectorELNS0_4arch9wavefront6targetE0EEEvSF_.num_vgpr, 0
	.set _ZN7rocprim17ROCPRIM_400000_NS6detail17trampoline_kernelINS0_14default_configENS1_38merge_sort_block_merge_config_selectorIaNS0_10empty_typeEEEZZNS1_27merge_sort_block_merge_implIS3_PaPS5_jNS1_19radix_merge_compareILb0ELb0EaNS0_19identity_decomposerEEEEE10hipError_tT0_T1_T2_jT3_P12ihipStream_tbPNSt15iterator_traitsISE_E10value_typeEPNSK_ISF_E10value_typeEPSG_NS1_7vsmem_tEENKUlT_SE_SF_SG_E_clIS8_S8_S9_S9_EESD_ST_SE_SF_SG_EUlST_E1_NS1_11comp_targetILNS1_3genE3ELNS1_11target_archE908ELNS1_3gpuE7ELNS1_3repE0EEENS1_36merge_oddeven_config_static_selectorELNS0_4arch9wavefront6targetE0EEEvSF_.num_agpr, 0
	.set _ZN7rocprim17ROCPRIM_400000_NS6detail17trampoline_kernelINS0_14default_configENS1_38merge_sort_block_merge_config_selectorIaNS0_10empty_typeEEEZZNS1_27merge_sort_block_merge_implIS3_PaPS5_jNS1_19radix_merge_compareILb0ELb0EaNS0_19identity_decomposerEEEEE10hipError_tT0_T1_T2_jT3_P12ihipStream_tbPNSt15iterator_traitsISE_E10value_typeEPNSK_ISF_E10value_typeEPSG_NS1_7vsmem_tEENKUlT_SE_SF_SG_E_clIS8_S8_S9_S9_EESD_ST_SE_SF_SG_EUlST_E1_NS1_11comp_targetILNS1_3genE3ELNS1_11target_archE908ELNS1_3gpuE7ELNS1_3repE0EEENS1_36merge_oddeven_config_static_selectorELNS0_4arch9wavefront6targetE0EEEvSF_.numbered_sgpr, 0
	.set _ZN7rocprim17ROCPRIM_400000_NS6detail17trampoline_kernelINS0_14default_configENS1_38merge_sort_block_merge_config_selectorIaNS0_10empty_typeEEEZZNS1_27merge_sort_block_merge_implIS3_PaPS5_jNS1_19radix_merge_compareILb0ELb0EaNS0_19identity_decomposerEEEEE10hipError_tT0_T1_T2_jT3_P12ihipStream_tbPNSt15iterator_traitsISE_E10value_typeEPNSK_ISF_E10value_typeEPSG_NS1_7vsmem_tEENKUlT_SE_SF_SG_E_clIS8_S8_S9_S9_EESD_ST_SE_SF_SG_EUlST_E1_NS1_11comp_targetILNS1_3genE3ELNS1_11target_archE908ELNS1_3gpuE7ELNS1_3repE0EEENS1_36merge_oddeven_config_static_selectorELNS0_4arch9wavefront6targetE0EEEvSF_.num_named_barrier, 0
	.set _ZN7rocprim17ROCPRIM_400000_NS6detail17trampoline_kernelINS0_14default_configENS1_38merge_sort_block_merge_config_selectorIaNS0_10empty_typeEEEZZNS1_27merge_sort_block_merge_implIS3_PaPS5_jNS1_19radix_merge_compareILb0ELb0EaNS0_19identity_decomposerEEEEE10hipError_tT0_T1_T2_jT3_P12ihipStream_tbPNSt15iterator_traitsISE_E10value_typeEPNSK_ISF_E10value_typeEPSG_NS1_7vsmem_tEENKUlT_SE_SF_SG_E_clIS8_S8_S9_S9_EESD_ST_SE_SF_SG_EUlST_E1_NS1_11comp_targetILNS1_3genE3ELNS1_11target_archE908ELNS1_3gpuE7ELNS1_3repE0EEENS1_36merge_oddeven_config_static_selectorELNS0_4arch9wavefront6targetE0EEEvSF_.private_seg_size, 0
	.set _ZN7rocprim17ROCPRIM_400000_NS6detail17trampoline_kernelINS0_14default_configENS1_38merge_sort_block_merge_config_selectorIaNS0_10empty_typeEEEZZNS1_27merge_sort_block_merge_implIS3_PaPS5_jNS1_19radix_merge_compareILb0ELb0EaNS0_19identity_decomposerEEEEE10hipError_tT0_T1_T2_jT3_P12ihipStream_tbPNSt15iterator_traitsISE_E10value_typeEPNSK_ISF_E10value_typeEPSG_NS1_7vsmem_tEENKUlT_SE_SF_SG_E_clIS8_S8_S9_S9_EESD_ST_SE_SF_SG_EUlST_E1_NS1_11comp_targetILNS1_3genE3ELNS1_11target_archE908ELNS1_3gpuE7ELNS1_3repE0EEENS1_36merge_oddeven_config_static_selectorELNS0_4arch9wavefront6targetE0EEEvSF_.uses_vcc, 0
	.set _ZN7rocprim17ROCPRIM_400000_NS6detail17trampoline_kernelINS0_14default_configENS1_38merge_sort_block_merge_config_selectorIaNS0_10empty_typeEEEZZNS1_27merge_sort_block_merge_implIS3_PaPS5_jNS1_19radix_merge_compareILb0ELb0EaNS0_19identity_decomposerEEEEE10hipError_tT0_T1_T2_jT3_P12ihipStream_tbPNSt15iterator_traitsISE_E10value_typeEPNSK_ISF_E10value_typeEPSG_NS1_7vsmem_tEENKUlT_SE_SF_SG_E_clIS8_S8_S9_S9_EESD_ST_SE_SF_SG_EUlST_E1_NS1_11comp_targetILNS1_3genE3ELNS1_11target_archE908ELNS1_3gpuE7ELNS1_3repE0EEENS1_36merge_oddeven_config_static_selectorELNS0_4arch9wavefront6targetE0EEEvSF_.uses_flat_scratch, 0
	.set _ZN7rocprim17ROCPRIM_400000_NS6detail17trampoline_kernelINS0_14default_configENS1_38merge_sort_block_merge_config_selectorIaNS0_10empty_typeEEEZZNS1_27merge_sort_block_merge_implIS3_PaPS5_jNS1_19radix_merge_compareILb0ELb0EaNS0_19identity_decomposerEEEEE10hipError_tT0_T1_T2_jT3_P12ihipStream_tbPNSt15iterator_traitsISE_E10value_typeEPNSK_ISF_E10value_typeEPSG_NS1_7vsmem_tEENKUlT_SE_SF_SG_E_clIS8_S8_S9_S9_EESD_ST_SE_SF_SG_EUlST_E1_NS1_11comp_targetILNS1_3genE3ELNS1_11target_archE908ELNS1_3gpuE7ELNS1_3repE0EEENS1_36merge_oddeven_config_static_selectorELNS0_4arch9wavefront6targetE0EEEvSF_.has_dyn_sized_stack, 0
	.set _ZN7rocprim17ROCPRIM_400000_NS6detail17trampoline_kernelINS0_14default_configENS1_38merge_sort_block_merge_config_selectorIaNS0_10empty_typeEEEZZNS1_27merge_sort_block_merge_implIS3_PaPS5_jNS1_19radix_merge_compareILb0ELb0EaNS0_19identity_decomposerEEEEE10hipError_tT0_T1_T2_jT3_P12ihipStream_tbPNSt15iterator_traitsISE_E10value_typeEPNSK_ISF_E10value_typeEPSG_NS1_7vsmem_tEENKUlT_SE_SF_SG_E_clIS8_S8_S9_S9_EESD_ST_SE_SF_SG_EUlST_E1_NS1_11comp_targetILNS1_3genE3ELNS1_11target_archE908ELNS1_3gpuE7ELNS1_3repE0EEENS1_36merge_oddeven_config_static_selectorELNS0_4arch9wavefront6targetE0EEEvSF_.has_recursion, 0
	.set _ZN7rocprim17ROCPRIM_400000_NS6detail17trampoline_kernelINS0_14default_configENS1_38merge_sort_block_merge_config_selectorIaNS0_10empty_typeEEEZZNS1_27merge_sort_block_merge_implIS3_PaPS5_jNS1_19radix_merge_compareILb0ELb0EaNS0_19identity_decomposerEEEEE10hipError_tT0_T1_T2_jT3_P12ihipStream_tbPNSt15iterator_traitsISE_E10value_typeEPNSK_ISF_E10value_typeEPSG_NS1_7vsmem_tEENKUlT_SE_SF_SG_E_clIS8_S8_S9_S9_EESD_ST_SE_SF_SG_EUlST_E1_NS1_11comp_targetILNS1_3genE3ELNS1_11target_archE908ELNS1_3gpuE7ELNS1_3repE0EEENS1_36merge_oddeven_config_static_selectorELNS0_4arch9wavefront6targetE0EEEvSF_.has_indirect_call, 0
	.section	.AMDGPU.csdata,"",@progbits
; Kernel info:
; codeLenInByte = 0
; TotalNumSgprs: 0
; NumVgprs: 0
; ScratchSize: 0
; MemoryBound: 0
; FloatMode: 240
; IeeeMode: 1
; LDSByteSize: 0 bytes/workgroup (compile time only)
; SGPRBlocks: 0
; VGPRBlocks: 0
; NumSGPRsForWavesPerEU: 1
; NumVGPRsForWavesPerEU: 1
; NamedBarCnt: 0
; Occupancy: 16
; WaveLimiterHint : 0
; COMPUTE_PGM_RSRC2:SCRATCH_EN: 0
; COMPUTE_PGM_RSRC2:USER_SGPR: 2
; COMPUTE_PGM_RSRC2:TRAP_HANDLER: 0
; COMPUTE_PGM_RSRC2:TGID_X_EN: 1
; COMPUTE_PGM_RSRC2:TGID_Y_EN: 0
; COMPUTE_PGM_RSRC2:TGID_Z_EN: 0
; COMPUTE_PGM_RSRC2:TIDIG_COMP_CNT: 0
	.section	.text._ZN7rocprim17ROCPRIM_400000_NS6detail17trampoline_kernelINS0_14default_configENS1_38merge_sort_block_merge_config_selectorIaNS0_10empty_typeEEEZZNS1_27merge_sort_block_merge_implIS3_PaPS5_jNS1_19radix_merge_compareILb0ELb0EaNS0_19identity_decomposerEEEEE10hipError_tT0_T1_T2_jT3_P12ihipStream_tbPNSt15iterator_traitsISE_E10value_typeEPNSK_ISF_E10value_typeEPSG_NS1_7vsmem_tEENKUlT_SE_SF_SG_E_clIS8_S8_S9_S9_EESD_ST_SE_SF_SG_EUlST_E1_NS1_11comp_targetILNS1_3genE2ELNS1_11target_archE906ELNS1_3gpuE6ELNS1_3repE0EEENS1_36merge_oddeven_config_static_selectorELNS0_4arch9wavefront6targetE0EEEvSF_,"axG",@progbits,_ZN7rocprim17ROCPRIM_400000_NS6detail17trampoline_kernelINS0_14default_configENS1_38merge_sort_block_merge_config_selectorIaNS0_10empty_typeEEEZZNS1_27merge_sort_block_merge_implIS3_PaPS5_jNS1_19radix_merge_compareILb0ELb0EaNS0_19identity_decomposerEEEEE10hipError_tT0_T1_T2_jT3_P12ihipStream_tbPNSt15iterator_traitsISE_E10value_typeEPNSK_ISF_E10value_typeEPSG_NS1_7vsmem_tEENKUlT_SE_SF_SG_E_clIS8_S8_S9_S9_EESD_ST_SE_SF_SG_EUlST_E1_NS1_11comp_targetILNS1_3genE2ELNS1_11target_archE906ELNS1_3gpuE6ELNS1_3repE0EEENS1_36merge_oddeven_config_static_selectorELNS0_4arch9wavefront6targetE0EEEvSF_,comdat
	.protected	_ZN7rocprim17ROCPRIM_400000_NS6detail17trampoline_kernelINS0_14default_configENS1_38merge_sort_block_merge_config_selectorIaNS0_10empty_typeEEEZZNS1_27merge_sort_block_merge_implIS3_PaPS5_jNS1_19radix_merge_compareILb0ELb0EaNS0_19identity_decomposerEEEEE10hipError_tT0_T1_T2_jT3_P12ihipStream_tbPNSt15iterator_traitsISE_E10value_typeEPNSK_ISF_E10value_typeEPSG_NS1_7vsmem_tEENKUlT_SE_SF_SG_E_clIS8_S8_S9_S9_EESD_ST_SE_SF_SG_EUlST_E1_NS1_11comp_targetILNS1_3genE2ELNS1_11target_archE906ELNS1_3gpuE6ELNS1_3repE0EEENS1_36merge_oddeven_config_static_selectorELNS0_4arch9wavefront6targetE0EEEvSF_ ; -- Begin function _ZN7rocprim17ROCPRIM_400000_NS6detail17trampoline_kernelINS0_14default_configENS1_38merge_sort_block_merge_config_selectorIaNS0_10empty_typeEEEZZNS1_27merge_sort_block_merge_implIS3_PaPS5_jNS1_19radix_merge_compareILb0ELb0EaNS0_19identity_decomposerEEEEE10hipError_tT0_T1_T2_jT3_P12ihipStream_tbPNSt15iterator_traitsISE_E10value_typeEPNSK_ISF_E10value_typeEPSG_NS1_7vsmem_tEENKUlT_SE_SF_SG_E_clIS8_S8_S9_S9_EESD_ST_SE_SF_SG_EUlST_E1_NS1_11comp_targetILNS1_3genE2ELNS1_11target_archE906ELNS1_3gpuE6ELNS1_3repE0EEENS1_36merge_oddeven_config_static_selectorELNS0_4arch9wavefront6targetE0EEEvSF_
	.globl	_ZN7rocprim17ROCPRIM_400000_NS6detail17trampoline_kernelINS0_14default_configENS1_38merge_sort_block_merge_config_selectorIaNS0_10empty_typeEEEZZNS1_27merge_sort_block_merge_implIS3_PaPS5_jNS1_19radix_merge_compareILb0ELb0EaNS0_19identity_decomposerEEEEE10hipError_tT0_T1_T2_jT3_P12ihipStream_tbPNSt15iterator_traitsISE_E10value_typeEPNSK_ISF_E10value_typeEPSG_NS1_7vsmem_tEENKUlT_SE_SF_SG_E_clIS8_S8_S9_S9_EESD_ST_SE_SF_SG_EUlST_E1_NS1_11comp_targetILNS1_3genE2ELNS1_11target_archE906ELNS1_3gpuE6ELNS1_3repE0EEENS1_36merge_oddeven_config_static_selectorELNS0_4arch9wavefront6targetE0EEEvSF_
	.p2align	8
	.type	_ZN7rocprim17ROCPRIM_400000_NS6detail17trampoline_kernelINS0_14default_configENS1_38merge_sort_block_merge_config_selectorIaNS0_10empty_typeEEEZZNS1_27merge_sort_block_merge_implIS3_PaPS5_jNS1_19radix_merge_compareILb0ELb0EaNS0_19identity_decomposerEEEEE10hipError_tT0_T1_T2_jT3_P12ihipStream_tbPNSt15iterator_traitsISE_E10value_typeEPNSK_ISF_E10value_typeEPSG_NS1_7vsmem_tEENKUlT_SE_SF_SG_E_clIS8_S8_S9_S9_EESD_ST_SE_SF_SG_EUlST_E1_NS1_11comp_targetILNS1_3genE2ELNS1_11target_archE906ELNS1_3gpuE6ELNS1_3repE0EEENS1_36merge_oddeven_config_static_selectorELNS0_4arch9wavefront6targetE0EEEvSF_,@function
_ZN7rocprim17ROCPRIM_400000_NS6detail17trampoline_kernelINS0_14default_configENS1_38merge_sort_block_merge_config_selectorIaNS0_10empty_typeEEEZZNS1_27merge_sort_block_merge_implIS3_PaPS5_jNS1_19radix_merge_compareILb0ELb0EaNS0_19identity_decomposerEEEEE10hipError_tT0_T1_T2_jT3_P12ihipStream_tbPNSt15iterator_traitsISE_E10value_typeEPNSK_ISF_E10value_typeEPSG_NS1_7vsmem_tEENKUlT_SE_SF_SG_E_clIS8_S8_S9_S9_EESD_ST_SE_SF_SG_EUlST_E1_NS1_11comp_targetILNS1_3genE2ELNS1_11target_archE906ELNS1_3gpuE6ELNS1_3repE0EEENS1_36merge_oddeven_config_static_selectorELNS0_4arch9wavefront6targetE0EEEvSF_: ; @_ZN7rocprim17ROCPRIM_400000_NS6detail17trampoline_kernelINS0_14default_configENS1_38merge_sort_block_merge_config_selectorIaNS0_10empty_typeEEEZZNS1_27merge_sort_block_merge_implIS3_PaPS5_jNS1_19radix_merge_compareILb0ELb0EaNS0_19identity_decomposerEEEEE10hipError_tT0_T1_T2_jT3_P12ihipStream_tbPNSt15iterator_traitsISE_E10value_typeEPNSK_ISF_E10value_typeEPSG_NS1_7vsmem_tEENKUlT_SE_SF_SG_E_clIS8_S8_S9_S9_EESD_ST_SE_SF_SG_EUlST_E1_NS1_11comp_targetILNS1_3genE2ELNS1_11target_archE906ELNS1_3gpuE6ELNS1_3repE0EEENS1_36merge_oddeven_config_static_selectorELNS0_4arch9wavefront6targetE0EEEvSF_
; %bb.0:
	.section	.rodata,"a",@progbits
	.p2align	6, 0x0
	.amdhsa_kernel _ZN7rocprim17ROCPRIM_400000_NS6detail17trampoline_kernelINS0_14default_configENS1_38merge_sort_block_merge_config_selectorIaNS0_10empty_typeEEEZZNS1_27merge_sort_block_merge_implIS3_PaPS5_jNS1_19radix_merge_compareILb0ELb0EaNS0_19identity_decomposerEEEEE10hipError_tT0_T1_T2_jT3_P12ihipStream_tbPNSt15iterator_traitsISE_E10value_typeEPNSK_ISF_E10value_typeEPSG_NS1_7vsmem_tEENKUlT_SE_SF_SG_E_clIS8_S8_S9_S9_EESD_ST_SE_SF_SG_EUlST_E1_NS1_11comp_targetILNS1_3genE2ELNS1_11target_archE906ELNS1_3gpuE6ELNS1_3repE0EEENS1_36merge_oddeven_config_static_selectorELNS0_4arch9wavefront6targetE0EEEvSF_
		.amdhsa_group_segment_fixed_size 0
		.amdhsa_private_segment_fixed_size 0
		.amdhsa_kernarg_size 48
		.amdhsa_user_sgpr_count 2
		.amdhsa_user_sgpr_dispatch_ptr 0
		.amdhsa_user_sgpr_queue_ptr 0
		.amdhsa_user_sgpr_kernarg_segment_ptr 1
		.amdhsa_user_sgpr_dispatch_id 0
		.amdhsa_user_sgpr_kernarg_preload_length 0
		.amdhsa_user_sgpr_kernarg_preload_offset 0
		.amdhsa_user_sgpr_private_segment_size 0
		.amdhsa_wavefront_size32 1
		.amdhsa_uses_dynamic_stack 0
		.amdhsa_enable_private_segment 0
		.amdhsa_system_sgpr_workgroup_id_x 1
		.amdhsa_system_sgpr_workgroup_id_y 0
		.amdhsa_system_sgpr_workgroup_id_z 0
		.amdhsa_system_sgpr_workgroup_info 0
		.amdhsa_system_vgpr_workitem_id 0
		.amdhsa_next_free_vgpr 1
		.amdhsa_next_free_sgpr 1
		.amdhsa_named_barrier_count 0
		.amdhsa_reserve_vcc 0
		.amdhsa_float_round_mode_32 0
		.amdhsa_float_round_mode_16_64 0
		.amdhsa_float_denorm_mode_32 3
		.amdhsa_float_denorm_mode_16_64 3
		.amdhsa_fp16_overflow 0
		.amdhsa_memory_ordered 1
		.amdhsa_forward_progress 1
		.amdhsa_inst_pref_size 0
		.amdhsa_round_robin_scheduling 0
		.amdhsa_exception_fp_ieee_invalid_op 0
		.amdhsa_exception_fp_denorm_src 0
		.amdhsa_exception_fp_ieee_div_zero 0
		.amdhsa_exception_fp_ieee_overflow 0
		.amdhsa_exception_fp_ieee_underflow 0
		.amdhsa_exception_fp_ieee_inexact 0
		.amdhsa_exception_int_div_zero 0
	.end_amdhsa_kernel
	.section	.text._ZN7rocprim17ROCPRIM_400000_NS6detail17trampoline_kernelINS0_14default_configENS1_38merge_sort_block_merge_config_selectorIaNS0_10empty_typeEEEZZNS1_27merge_sort_block_merge_implIS3_PaPS5_jNS1_19radix_merge_compareILb0ELb0EaNS0_19identity_decomposerEEEEE10hipError_tT0_T1_T2_jT3_P12ihipStream_tbPNSt15iterator_traitsISE_E10value_typeEPNSK_ISF_E10value_typeEPSG_NS1_7vsmem_tEENKUlT_SE_SF_SG_E_clIS8_S8_S9_S9_EESD_ST_SE_SF_SG_EUlST_E1_NS1_11comp_targetILNS1_3genE2ELNS1_11target_archE906ELNS1_3gpuE6ELNS1_3repE0EEENS1_36merge_oddeven_config_static_selectorELNS0_4arch9wavefront6targetE0EEEvSF_,"axG",@progbits,_ZN7rocprim17ROCPRIM_400000_NS6detail17trampoline_kernelINS0_14default_configENS1_38merge_sort_block_merge_config_selectorIaNS0_10empty_typeEEEZZNS1_27merge_sort_block_merge_implIS3_PaPS5_jNS1_19radix_merge_compareILb0ELb0EaNS0_19identity_decomposerEEEEE10hipError_tT0_T1_T2_jT3_P12ihipStream_tbPNSt15iterator_traitsISE_E10value_typeEPNSK_ISF_E10value_typeEPSG_NS1_7vsmem_tEENKUlT_SE_SF_SG_E_clIS8_S8_S9_S9_EESD_ST_SE_SF_SG_EUlST_E1_NS1_11comp_targetILNS1_3genE2ELNS1_11target_archE906ELNS1_3gpuE6ELNS1_3repE0EEENS1_36merge_oddeven_config_static_selectorELNS0_4arch9wavefront6targetE0EEEvSF_,comdat
.Lfunc_end421:
	.size	_ZN7rocprim17ROCPRIM_400000_NS6detail17trampoline_kernelINS0_14default_configENS1_38merge_sort_block_merge_config_selectorIaNS0_10empty_typeEEEZZNS1_27merge_sort_block_merge_implIS3_PaPS5_jNS1_19radix_merge_compareILb0ELb0EaNS0_19identity_decomposerEEEEE10hipError_tT0_T1_T2_jT3_P12ihipStream_tbPNSt15iterator_traitsISE_E10value_typeEPNSK_ISF_E10value_typeEPSG_NS1_7vsmem_tEENKUlT_SE_SF_SG_E_clIS8_S8_S9_S9_EESD_ST_SE_SF_SG_EUlST_E1_NS1_11comp_targetILNS1_3genE2ELNS1_11target_archE906ELNS1_3gpuE6ELNS1_3repE0EEENS1_36merge_oddeven_config_static_selectorELNS0_4arch9wavefront6targetE0EEEvSF_, .Lfunc_end421-_ZN7rocprim17ROCPRIM_400000_NS6detail17trampoline_kernelINS0_14default_configENS1_38merge_sort_block_merge_config_selectorIaNS0_10empty_typeEEEZZNS1_27merge_sort_block_merge_implIS3_PaPS5_jNS1_19radix_merge_compareILb0ELb0EaNS0_19identity_decomposerEEEEE10hipError_tT0_T1_T2_jT3_P12ihipStream_tbPNSt15iterator_traitsISE_E10value_typeEPNSK_ISF_E10value_typeEPSG_NS1_7vsmem_tEENKUlT_SE_SF_SG_E_clIS8_S8_S9_S9_EESD_ST_SE_SF_SG_EUlST_E1_NS1_11comp_targetILNS1_3genE2ELNS1_11target_archE906ELNS1_3gpuE6ELNS1_3repE0EEENS1_36merge_oddeven_config_static_selectorELNS0_4arch9wavefront6targetE0EEEvSF_
                                        ; -- End function
	.set _ZN7rocprim17ROCPRIM_400000_NS6detail17trampoline_kernelINS0_14default_configENS1_38merge_sort_block_merge_config_selectorIaNS0_10empty_typeEEEZZNS1_27merge_sort_block_merge_implIS3_PaPS5_jNS1_19radix_merge_compareILb0ELb0EaNS0_19identity_decomposerEEEEE10hipError_tT0_T1_T2_jT3_P12ihipStream_tbPNSt15iterator_traitsISE_E10value_typeEPNSK_ISF_E10value_typeEPSG_NS1_7vsmem_tEENKUlT_SE_SF_SG_E_clIS8_S8_S9_S9_EESD_ST_SE_SF_SG_EUlST_E1_NS1_11comp_targetILNS1_3genE2ELNS1_11target_archE906ELNS1_3gpuE6ELNS1_3repE0EEENS1_36merge_oddeven_config_static_selectorELNS0_4arch9wavefront6targetE0EEEvSF_.num_vgpr, 0
	.set _ZN7rocprim17ROCPRIM_400000_NS6detail17trampoline_kernelINS0_14default_configENS1_38merge_sort_block_merge_config_selectorIaNS0_10empty_typeEEEZZNS1_27merge_sort_block_merge_implIS3_PaPS5_jNS1_19radix_merge_compareILb0ELb0EaNS0_19identity_decomposerEEEEE10hipError_tT0_T1_T2_jT3_P12ihipStream_tbPNSt15iterator_traitsISE_E10value_typeEPNSK_ISF_E10value_typeEPSG_NS1_7vsmem_tEENKUlT_SE_SF_SG_E_clIS8_S8_S9_S9_EESD_ST_SE_SF_SG_EUlST_E1_NS1_11comp_targetILNS1_3genE2ELNS1_11target_archE906ELNS1_3gpuE6ELNS1_3repE0EEENS1_36merge_oddeven_config_static_selectorELNS0_4arch9wavefront6targetE0EEEvSF_.num_agpr, 0
	.set _ZN7rocprim17ROCPRIM_400000_NS6detail17trampoline_kernelINS0_14default_configENS1_38merge_sort_block_merge_config_selectorIaNS0_10empty_typeEEEZZNS1_27merge_sort_block_merge_implIS3_PaPS5_jNS1_19radix_merge_compareILb0ELb0EaNS0_19identity_decomposerEEEEE10hipError_tT0_T1_T2_jT3_P12ihipStream_tbPNSt15iterator_traitsISE_E10value_typeEPNSK_ISF_E10value_typeEPSG_NS1_7vsmem_tEENKUlT_SE_SF_SG_E_clIS8_S8_S9_S9_EESD_ST_SE_SF_SG_EUlST_E1_NS1_11comp_targetILNS1_3genE2ELNS1_11target_archE906ELNS1_3gpuE6ELNS1_3repE0EEENS1_36merge_oddeven_config_static_selectorELNS0_4arch9wavefront6targetE0EEEvSF_.numbered_sgpr, 0
	.set _ZN7rocprim17ROCPRIM_400000_NS6detail17trampoline_kernelINS0_14default_configENS1_38merge_sort_block_merge_config_selectorIaNS0_10empty_typeEEEZZNS1_27merge_sort_block_merge_implIS3_PaPS5_jNS1_19radix_merge_compareILb0ELb0EaNS0_19identity_decomposerEEEEE10hipError_tT0_T1_T2_jT3_P12ihipStream_tbPNSt15iterator_traitsISE_E10value_typeEPNSK_ISF_E10value_typeEPSG_NS1_7vsmem_tEENKUlT_SE_SF_SG_E_clIS8_S8_S9_S9_EESD_ST_SE_SF_SG_EUlST_E1_NS1_11comp_targetILNS1_3genE2ELNS1_11target_archE906ELNS1_3gpuE6ELNS1_3repE0EEENS1_36merge_oddeven_config_static_selectorELNS0_4arch9wavefront6targetE0EEEvSF_.num_named_barrier, 0
	.set _ZN7rocprim17ROCPRIM_400000_NS6detail17trampoline_kernelINS0_14default_configENS1_38merge_sort_block_merge_config_selectorIaNS0_10empty_typeEEEZZNS1_27merge_sort_block_merge_implIS3_PaPS5_jNS1_19radix_merge_compareILb0ELb0EaNS0_19identity_decomposerEEEEE10hipError_tT0_T1_T2_jT3_P12ihipStream_tbPNSt15iterator_traitsISE_E10value_typeEPNSK_ISF_E10value_typeEPSG_NS1_7vsmem_tEENKUlT_SE_SF_SG_E_clIS8_S8_S9_S9_EESD_ST_SE_SF_SG_EUlST_E1_NS1_11comp_targetILNS1_3genE2ELNS1_11target_archE906ELNS1_3gpuE6ELNS1_3repE0EEENS1_36merge_oddeven_config_static_selectorELNS0_4arch9wavefront6targetE0EEEvSF_.private_seg_size, 0
	.set _ZN7rocprim17ROCPRIM_400000_NS6detail17trampoline_kernelINS0_14default_configENS1_38merge_sort_block_merge_config_selectorIaNS0_10empty_typeEEEZZNS1_27merge_sort_block_merge_implIS3_PaPS5_jNS1_19radix_merge_compareILb0ELb0EaNS0_19identity_decomposerEEEEE10hipError_tT0_T1_T2_jT3_P12ihipStream_tbPNSt15iterator_traitsISE_E10value_typeEPNSK_ISF_E10value_typeEPSG_NS1_7vsmem_tEENKUlT_SE_SF_SG_E_clIS8_S8_S9_S9_EESD_ST_SE_SF_SG_EUlST_E1_NS1_11comp_targetILNS1_3genE2ELNS1_11target_archE906ELNS1_3gpuE6ELNS1_3repE0EEENS1_36merge_oddeven_config_static_selectorELNS0_4arch9wavefront6targetE0EEEvSF_.uses_vcc, 0
	.set _ZN7rocprim17ROCPRIM_400000_NS6detail17trampoline_kernelINS0_14default_configENS1_38merge_sort_block_merge_config_selectorIaNS0_10empty_typeEEEZZNS1_27merge_sort_block_merge_implIS3_PaPS5_jNS1_19radix_merge_compareILb0ELb0EaNS0_19identity_decomposerEEEEE10hipError_tT0_T1_T2_jT3_P12ihipStream_tbPNSt15iterator_traitsISE_E10value_typeEPNSK_ISF_E10value_typeEPSG_NS1_7vsmem_tEENKUlT_SE_SF_SG_E_clIS8_S8_S9_S9_EESD_ST_SE_SF_SG_EUlST_E1_NS1_11comp_targetILNS1_3genE2ELNS1_11target_archE906ELNS1_3gpuE6ELNS1_3repE0EEENS1_36merge_oddeven_config_static_selectorELNS0_4arch9wavefront6targetE0EEEvSF_.uses_flat_scratch, 0
	.set _ZN7rocprim17ROCPRIM_400000_NS6detail17trampoline_kernelINS0_14default_configENS1_38merge_sort_block_merge_config_selectorIaNS0_10empty_typeEEEZZNS1_27merge_sort_block_merge_implIS3_PaPS5_jNS1_19radix_merge_compareILb0ELb0EaNS0_19identity_decomposerEEEEE10hipError_tT0_T1_T2_jT3_P12ihipStream_tbPNSt15iterator_traitsISE_E10value_typeEPNSK_ISF_E10value_typeEPSG_NS1_7vsmem_tEENKUlT_SE_SF_SG_E_clIS8_S8_S9_S9_EESD_ST_SE_SF_SG_EUlST_E1_NS1_11comp_targetILNS1_3genE2ELNS1_11target_archE906ELNS1_3gpuE6ELNS1_3repE0EEENS1_36merge_oddeven_config_static_selectorELNS0_4arch9wavefront6targetE0EEEvSF_.has_dyn_sized_stack, 0
	.set _ZN7rocprim17ROCPRIM_400000_NS6detail17trampoline_kernelINS0_14default_configENS1_38merge_sort_block_merge_config_selectorIaNS0_10empty_typeEEEZZNS1_27merge_sort_block_merge_implIS3_PaPS5_jNS1_19radix_merge_compareILb0ELb0EaNS0_19identity_decomposerEEEEE10hipError_tT0_T1_T2_jT3_P12ihipStream_tbPNSt15iterator_traitsISE_E10value_typeEPNSK_ISF_E10value_typeEPSG_NS1_7vsmem_tEENKUlT_SE_SF_SG_E_clIS8_S8_S9_S9_EESD_ST_SE_SF_SG_EUlST_E1_NS1_11comp_targetILNS1_3genE2ELNS1_11target_archE906ELNS1_3gpuE6ELNS1_3repE0EEENS1_36merge_oddeven_config_static_selectorELNS0_4arch9wavefront6targetE0EEEvSF_.has_recursion, 0
	.set _ZN7rocprim17ROCPRIM_400000_NS6detail17trampoline_kernelINS0_14default_configENS1_38merge_sort_block_merge_config_selectorIaNS0_10empty_typeEEEZZNS1_27merge_sort_block_merge_implIS3_PaPS5_jNS1_19radix_merge_compareILb0ELb0EaNS0_19identity_decomposerEEEEE10hipError_tT0_T1_T2_jT3_P12ihipStream_tbPNSt15iterator_traitsISE_E10value_typeEPNSK_ISF_E10value_typeEPSG_NS1_7vsmem_tEENKUlT_SE_SF_SG_E_clIS8_S8_S9_S9_EESD_ST_SE_SF_SG_EUlST_E1_NS1_11comp_targetILNS1_3genE2ELNS1_11target_archE906ELNS1_3gpuE6ELNS1_3repE0EEENS1_36merge_oddeven_config_static_selectorELNS0_4arch9wavefront6targetE0EEEvSF_.has_indirect_call, 0
	.section	.AMDGPU.csdata,"",@progbits
; Kernel info:
; codeLenInByte = 0
; TotalNumSgprs: 0
; NumVgprs: 0
; ScratchSize: 0
; MemoryBound: 0
; FloatMode: 240
; IeeeMode: 1
; LDSByteSize: 0 bytes/workgroup (compile time only)
; SGPRBlocks: 0
; VGPRBlocks: 0
; NumSGPRsForWavesPerEU: 1
; NumVGPRsForWavesPerEU: 1
; NamedBarCnt: 0
; Occupancy: 16
; WaveLimiterHint : 0
; COMPUTE_PGM_RSRC2:SCRATCH_EN: 0
; COMPUTE_PGM_RSRC2:USER_SGPR: 2
; COMPUTE_PGM_RSRC2:TRAP_HANDLER: 0
; COMPUTE_PGM_RSRC2:TGID_X_EN: 1
; COMPUTE_PGM_RSRC2:TGID_Y_EN: 0
; COMPUTE_PGM_RSRC2:TGID_Z_EN: 0
; COMPUTE_PGM_RSRC2:TIDIG_COMP_CNT: 0
	.section	.text._ZN7rocprim17ROCPRIM_400000_NS6detail17trampoline_kernelINS0_14default_configENS1_38merge_sort_block_merge_config_selectorIaNS0_10empty_typeEEEZZNS1_27merge_sort_block_merge_implIS3_PaPS5_jNS1_19radix_merge_compareILb0ELb0EaNS0_19identity_decomposerEEEEE10hipError_tT0_T1_T2_jT3_P12ihipStream_tbPNSt15iterator_traitsISE_E10value_typeEPNSK_ISF_E10value_typeEPSG_NS1_7vsmem_tEENKUlT_SE_SF_SG_E_clIS8_S8_S9_S9_EESD_ST_SE_SF_SG_EUlST_E1_NS1_11comp_targetILNS1_3genE9ELNS1_11target_archE1100ELNS1_3gpuE3ELNS1_3repE0EEENS1_36merge_oddeven_config_static_selectorELNS0_4arch9wavefront6targetE0EEEvSF_,"axG",@progbits,_ZN7rocprim17ROCPRIM_400000_NS6detail17trampoline_kernelINS0_14default_configENS1_38merge_sort_block_merge_config_selectorIaNS0_10empty_typeEEEZZNS1_27merge_sort_block_merge_implIS3_PaPS5_jNS1_19radix_merge_compareILb0ELb0EaNS0_19identity_decomposerEEEEE10hipError_tT0_T1_T2_jT3_P12ihipStream_tbPNSt15iterator_traitsISE_E10value_typeEPNSK_ISF_E10value_typeEPSG_NS1_7vsmem_tEENKUlT_SE_SF_SG_E_clIS8_S8_S9_S9_EESD_ST_SE_SF_SG_EUlST_E1_NS1_11comp_targetILNS1_3genE9ELNS1_11target_archE1100ELNS1_3gpuE3ELNS1_3repE0EEENS1_36merge_oddeven_config_static_selectorELNS0_4arch9wavefront6targetE0EEEvSF_,comdat
	.protected	_ZN7rocprim17ROCPRIM_400000_NS6detail17trampoline_kernelINS0_14default_configENS1_38merge_sort_block_merge_config_selectorIaNS0_10empty_typeEEEZZNS1_27merge_sort_block_merge_implIS3_PaPS5_jNS1_19radix_merge_compareILb0ELb0EaNS0_19identity_decomposerEEEEE10hipError_tT0_T1_T2_jT3_P12ihipStream_tbPNSt15iterator_traitsISE_E10value_typeEPNSK_ISF_E10value_typeEPSG_NS1_7vsmem_tEENKUlT_SE_SF_SG_E_clIS8_S8_S9_S9_EESD_ST_SE_SF_SG_EUlST_E1_NS1_11comp_targetILNS1_3genE9ELNS1_11target_archE1100ELNS1_3gpuE3ELNS1_3repE0EEENS1_36merge_oddeven_config_static_selectorELNS0_4arch9wavefront6targetE0EEEvSF_ ; -- Begin function _ZN7rocprim17ROCPRIM_400000_NS6detail17trampoline_kernelINS0_14default_configENS1_38merge_sort_block_merge_config_selectorIaNS0_10empty_typeEEEZZNS1_27merge_sort_block_merge_implIS3_PaPS5_jNS1_19radix_merge_compareILb0ELb0EaNS0_19identity_decomposerEEEEE10hipError_tT0_T1_T2_jT3_P12ihipStream_tbPNSt15iterator_traitsISE_E10value_typeEPNSK_ISF_E10value_typeEPSG_NS1_7vsmem_tEENKUlT_SE_SF_SG_E_clIS8_S8_S9_S9_EESD_ST_SE_SF_SG_EUlST_E1_NS1_11comp_targetILNS1_3genE9ELNS1_11target_archE1100ELNS1_3gpuE3ELNS1_3repE0EEENS1_36merge_oddeven_config_static_selectorELNS0_4arch9wavefront6targetE0EEEvSF_
	.globl	_ZN7rocprim17ROCPRIM_400000_NS6detail17trampoline_kernelINS0_14default_configENS1_38merge_sort_block_merge_config_selectorIaNS0_10empty_typeEEEZZNS1_27merge_sort_block_merge_implIS3_PaPS5_jNS1_19radix_merge_compareILb0ELb0EaNS0_19identity_decomposerEEEEE10hipError_tT0_T1_T2_jT3_P12ihipStream_tbPNSt15iterator_traitsISE_E10value_typeEPNSK_ISF_E10value_typeEPSG_NS1_7vsmem_tEENKUlT_SE_SF_SG_E_clIS8_S8_S9_S9_EESD_ST_SE_SF_SG_EUlST_E1_NS1_11comp_targetILNS1_3genE9ELNS1_11target_archE1100ELNS1_3gpuE3ELNS1_3repE0EEENS1_36merge_oddeven_config_static_selectorELNS0_4arch9wavefront6targetE0EEEvSF_
	.p2align	8
	.type	_ZN7rocprim17ROCPRIM_400000_NS6detail17trampoline_kernelINS0_14default_configENS1_38merge_sort_block_merge_config_selectorIaNS0_10empty_typeEEEZZNS1_27merge_sort_block_merge_implIS3_PaPS5_jNS1_19radix_merge_compareILb0ELb0EaNS0_19identity_decomposerEEEEE10hipError_tT0_T1_T2_jT3_P12ihipStream_tbPNSt15iterator_traitsISE_E10value_typeEPNSK_ISF_E10value_typeEPSG_NS1_7vsmem_tEENKUlT_SE_SF_SG_E_clIS8_S8_S9_S9_EESD_ST_SE_SF_SG_EUlST_E1_NS1_11comp_targetILNS1_3genE9ELNS1_11target_archE1100ELNS1_3gpuE3ELNS1_3repE0EEENS1_36merge_oddeven_config_static_selectorELNS0_4arch9wavefront6targetE0EEEvSF_,@function
_ZN7rocprim17ROCPRIM_400000_NS6detail17trampoline_kernelINS0_14default_configENS1_38merge_sort_block_merge_config_selectorIaNS0_10empty_typeEEEZZNS1_27merge_sort_block_merge_implIS3_PaPS5_jNS1_19radix_merge_compareILb0ELb0EaNS0_19identity_decomposerEEEEE10hipError_tT0_T1_T2_jT3_P12ihipStream_tbPNSt15iterator_traitsISE_E10value_typeEPNSK_ISF_E10value_typeEPSG_NS1_7vsmem_tEENKUlT_SE_SF_SG_E_clIS8_S8_S9_S9_EESD_ST_SE_SF_SG_EUlST_E1_NS1_11comp_targetILNS1_3genE9ELNS1_11target_archE1100ELNS1_3gpuE3ELNS1_3repE0EEENS1_36merge_oddeven_config_static_selectorELNS0_4arch9wavefront6targetE0EEEvSF_: ; @_ZN7rocprim17ROCPRIM_400000_NS6detail17trampoline_kernelINS0_14default_configENS1_38merge_sort_block_merge_config_selectorIaNS0_10empty_typeEEEZZNS1_27merge_sort_block_merge_implIS3_PaPS5_jNS1_19radix_merge_compareILb0ELb0EaNS0_19identity_decomposerEEEEE10hipError_tT0_T1_T2_jT3_P12ihipStream_tbPNSt15iterator_traitsISE_E10value_typeEPNSK_ISF_E10value_typeEPSG_NS1_7vsmem_tEENKUlT_SE_SF_SG_E_clIS8_S8_S9_S9_EESD_ST_SE_SF_SG_EUlST_E1_NS1_11comp_targetILNS1_3genE9ELNS1_11target_archE1100ELNS1_3gpuE3ELNS1_3repE0EEENS1_36merge_oddeven_config_static_selectorELNS0_4arch9wavefront6targetE0EEEvSF_
; %bb.0:
	.section	.rodata,"a",@progbits
	.p2align	6, 0x0
	.amdhsa_kernel _ZN7rocprim17ROCPRIM_400000_NS6detail17trampoline_kernelINS0_14default_configENS1_38merge_sort_block_merge_config_selectorIaNS0_10empty_typeEEEZZNS1_27merge_sort_block_merge_implIS3_PaPS5_jNS1_19radix_merge_compareILb0ELb0EaNS0_19identity_decomposerEEEEE10hipError_tT0_T1_T2_jT3_P12ihipStream_tbPNSt15iterator_traitsISE_E10value_typeEPNSK_ISF_E10value_typeEPSG_NS1_7vsmem_tEENKUlT_SE_SF_SG_E_clIS8_S8_S9_S9_EESD_ST_SE_SF_SG_EUlST_E1_NS1_11comp_targetILNS1_3genE9ELNS1_11target_archE1100ELNS1_3gpuE3ELNS1_3repE0EEENS1_36merge_oddeven_config_static_selectorELNS0_4arch9wavefront6targetE0EEEvSF_
		.amdhsa_group_segment_fixed_size 0
		.amdhsa_private_segment_fixed_size 0
		.amdhsa_kernarg_size 48
		.amdhsa_user_sgpr_count 2
		.amdhsa_user_sgpr_dispatch_ptr 0
		.amdhsa_user_sgpr_queue_ptr 0
		.amdhsa_user_sgpr_kernarg_segment_ptr 1
		.amdhsa_user_sgpr_dispatch_id 0
		.amdhsa_user_sgpr_kernarg_preload_length 0
		.amdhsa_user_sgpr_kernarg_preload_offset 0
		.amdhsa_user_sgpr_private_segment_size 0
		.amdhsa_wavefront_size32 1
		.amdhsa_uses_dynamic_stack 0
		.amdhsa_enable_private_segment 0
		.amdhsa_system_sgpr_workgroup_id_x 1
		.amdhsa_system_sgpr_workgroup_id_y 0
		.amdhsa_system_sgpr_workgroup_id_z 0
		.amdhsa_system_sgpr_workgroup_info 0
		.amdhsa_system_vgpr_workitem_id 0
		.amdhsa_next_free_vgpr 1
		.amdhsa_next_free_sgpr 1
		.amdhsa_named_barrier_count 0
		.amdhsa_reserve_vcc 0
		.amdhsa_float_round_mode_32 0
		.amdhsa_float_round_mode_16_64 0
		.amdhsa_float_denorm_mode_32 3
		.amdhsa_float_denorm_mode_16_64 3
		.amdhsa_fp16_overflow 0
		.amdhsa_memory_ordered 1
		.amdhsa_forward_progress 1
		.amdhsa_inst_pref_size 0
		.amdhsa_round_robin_scheduling 0
		.amdhsa_exception_fp_ieee_invalid_op 0
		.amdhsa_exception_fp_denorm_src 0
		.amdhsa_exception_fp_ieee_div_zero 0
		.amdhsa_exception_fp_ieee_overflow 0
		.amdhsa_exception_fp_ieee_underflow 0
		.amdhsa_exception_fp_ieee_inexact 0
		.amdhsa_exception_int_div_zero 0
	.end_amdhsa_kernel
	.section	.text._ZN7rocprim17ROCPRIM_400000_NS6detail17trampoline_kernelINS0_14default_configENS1_38merge_sort_block_merge_config_selectorIaNS0_10empty_typeEEEZZNS1_27merge_sort_block_merge_implIS3_PaPS5_jNS1_19radix_merge_compareILb0ELb0EaNS0_19identity_decomposerEEEEE10hipError_tT0_T1_T2_jT3_P12ihipStream_tbPNSt15iterator_traitsISE_E10value_typeEPNSK_ISF_E10value_typeEPSG_NS1_7vsmem_tEENKUlT_SE_SF_SG_E_clIS8_S8_S9_S9_EESD_ST_SE_SF_SG_EUlST_E1_NS1_11comp_targetILNS1_3genE9ELNS1_11target_archE1100ELNS1_3gpuE3ELNS1_3repE0EEENS1_36merge_oddeven_config_static_selectorELNS0_4arch9wavefront6targetE0EEEvSF_,"axG",@progbits,_ZN7rocprim17ROCPRIM_400000_NS6detail17trampoline_kernelINS0_14default_configENS1_38merge_sort_block_merge_config_selectorIaNS0_10empty_typeEEEZZNS1_27merge_sort_block_merge_implIS3_PaPS5_jNS1_19radix_merge_compareILb0ELb0EaNS0_19identity_decomposerEEEEE10hipError_tT0_T1_T2_jT3_P12ihipStream_tbPNSt15iterator_traitsISE_E10value_typeEPNSK_ISF_E10value_typeEPSG_NS1_7vsmem_tEENKUlT_SE_SF_SG_E_clIS8_S8_S9_S9_EESD_ST_SE_SF_SG_EUlST_E1_NS1_11comp_targetILNS1_3genE9ELNS1_11target_archE1100ELNS1_3gpuE3ELNS1_3repE0EEENS1_36merge_oddeven_config_static_selectorELNS0_4arch9wavefront6targetE0EEEvSF_,comdat
.Lfunc_end422:
	.size	_ZN7rocprim17ROCPRIM_400000_NS6detail17trampoline_kernelINS0_14default_configENS1_38merge_sort_block_merge_config_selectorIaNS0_10empty_typeEEEZZNS1_27merge_sort_block_merge_implIS3_PaPS5_jNS1_19radix_merge_compareILb0ELb0EaNS0_19identity_decomposerEEEEE10hipError_tT0_T1_T2_jT3_P12ihipStream_tbPNSt15iterator_traitsISE_E10value_typeEPNSK_ISF_E10value_typeEPSG_NS1_7vsmem_tEENKUlT_SE_SF_SG_E_clIS8_S8_S9_S9_EESD_ST_SE_SF_SG_EUlST_E1_NS1_11comp_targetILNS1_3genE9ELNS1_11target_archE1100ELNS1_3gpuE3ELNS1_3repE0EEENS1_36merge_oddeven_config_static_selectorELNS0_4arch9wavefront6targetE0EEEvSF_, .Lfunc_end422-_ZN7rocprim17ROCPRIM_400000_NS6detail17trampoline_kernelINS0_14default_configENS1_38merge_sort_block_merge_config_selectorIaNS0_10empty_typeEEEZZNS1_27merge_sort_block_merge_implIS3_PaPS5_jNS1_19radix_merge_compareILb0ELb0EaNS0_19identity_decomposerEEEEE10hipError_tT0_T1_T2_jT3_P12ihipStream_tbPNSt15iterator_traitsISE_E10value_typeEPNSK_ISF_E10value_typeEPSG_NS1_7vsmem_tEENKUlT_SE_SF_SG_E_clIS8_S8_S9_S9_EESD_ST_SE_SF_SG_EUlST_E1_NS1_11comp_targetILNS1_3genE9ELNS1_11target_archE1100ELNS1_3gpuE3ELNS1_3repE0EEENS1_36merge_oddeven_config_static_selectorELNS0_4arch9wavefront6targetE0EEEvSF_
                                        ; -- End function
	.set _ZN7rocprim17ROCPRIM_400000_NS6detail17trampoline_kernelINS0_14default_configENS1_38merge_sort_block_merge_config_selectorIaNS0_10empty_typeEEEZZNS1_27merge_sort_block_merge_implIS3_PaPS5_jNS1_19radix_merge_compareILb0ELb0EaNS0_19identity_decomposerEEEEE10hipError_tT0_T1_T2_jT3_P12ihipStream_tbPNSt15iterator_traitsISE_E10value_typeEPNSK_ISF_E10value_typeEPSG_NS1_7vsmem_tEENKUlT_SE_SF_SG_E_clIS8_S8_S9_S9_EESD_ST_SE_SF_SG_EUlST_E1_NS1_11comp_targetILNS1_3genE9ELNS1_11target_archE1100ELNS1_3gpuE3ELNS1_3repE0EEENS1_36merge_oddeven_config_static_selectorELNS0_4arch9wavefront6targetE0EEEvSF_.num_vgpr, 0
	.set _ZN7rocprim17ROCPRIM_400000_NS6detail17trampoline_kernelINS0_14default_configENS1_38merge_sort_block_merge_config_selectorIaNS0_10empty_typeEEEZZNS1_27merge_sort_block_merge_implIS3_PaPS5_jNS1_19radix_merge_compareILb0ELb0EaNS0_19identity_decomposerEEEEE10hipError_tT0_T1_T2_jT3_P12ihipStream_tbPNSt15iterator_traitsISE_E10value_typeEPNSK_ISF_E10value_typeEPSG_NS1_7vsmem_tEENKUlT_SE_SF_SG_E_clIS8_S8_S9_S9_EESD_ST_SE_SF_SG_EUlST_E1_NS1_11comp_targetILNS1_3genE9ELNS1_11target_archE1100ELNS1_3gpuE3ELNS1_3repE0EEENS1_36merge_oddeven_config_static_selectorELNS0_4arch9wavefront6targetE0EEEvSF_.num_agpr, 0
	.set _ZN7rocprim17ROCPRIM_400000_NS6detail17trampoline_kernelINS0_14default_configENS1_38merge_sort_block_merge_config_selectorIaNS0_10empty_typeEEEZZNS1_27merge_sort_block_merge_implIS3_PaPS5_jNS1_19radix_merge_compareILb0ELb0EaNS0_19identity_decomposerEEEEE10hipError_tT0_T1_T2_jT3_P12ihipStream_tbPNSt15iterator_traitsISE_E10value_typeEPNSK_ISF_E10value_typeEPSG_NS1_7vsmem_tEENKUlT_SE_SF_SG_E_clIS8_S8_S9_S9_EESD_ST_SE_SF_SG_EUlST_E1_NS1_11comp_targetILNS1_3genE9ELNS1_11target_archE1100ELNS1_3gpuE3ELNS1_3repE0EEENS1_36merge_oddeven_config_static_selectorELNS0_4arch9wavefront6targetE0EEEvSF_.numbered_sgpr, 0
	.set _ZN7rocprim17ROCPRIM_400000_NS6detail17trampoline_kernelINS0_14default_configENS1_38merge_sort_block_merge_config_selectorIaNS0_10empty_typeEEEZZNS1_27merge_sort_block_merge_implIS3_PaPS5_jNS1_19radix_merge_compareILb0ELb0EaNS0_19identity_decomposerEEEEE10hipError_tT0_T1_T2_jT3_P12ihipStream_tbPNSt15iterator_traitsISE_E10value_typeEPNSK_ISF_E10value_typeEPSG_NS1_7vsmem_tEENKUlT_SE_SF_SG_E_clIS8_S8_S9_S9_EESD_ST_SE_SF_SG_EUlST_E1_NS1_11comp_targetILNS1_3genE9ELNS1_11target_archE1100ELNS1_3gpuE3ELNS1_3repE0EEENS1_36merge_oddeven_config_static_selectorELNS0_4arch9wavefront6targetE0EEEvSF_.num_named_barrier, 0
	.set _ZN7rocprim17ROCPRIM_400000_NS6detail17trampoline_kernelINS0_14default_configENS1_38merge_sort_block_merge_config_selectorIaNS0_10empty_typeEEEZZNS1_27merge_sort_block_merge_implIS3_PaPS5_jNS1_19radix_merge_compareILb0ELb0EaNS0_19identity_decomposerEEEEE10hipError_tT0_T1_T2_jT3_P12ihipStream_tbPNSt15iterator_traitsISE_E10value_typeEPNSK_ISF_E10value_typeEPSG_NS1_7vsmem_tEENKUlT_SE_SF_SG_E_clIS8_S8_S9_S9_EESD_ST_SE_SF_SG_EUlST_E1_NS1_11comp_targetILNS1_3genE9ELNS1_11target_archE1100ELNS1_3gpuE3ELNS1_3repE0EEENS1_36merge_oddeven_config_static_selectorELNS0_4arch9wavefront6targetE0EEEvSF_.private_seg_size, 0
	.set _ZN7rocprim17ROCPRIM_400000_NS6detail17trampoline_kernelINS0_14default_configENS1_38merge_sort_block_merge_config_selectorIaNS0_10empty_typeEEEZZNS1_27merge_sort_block_merge_implIS3_PaPS5_jNS1_19radix_merge_compareILb0ELb0EaNS0_19identity_decomposerEEEEE10hipError_tT0_T1_T2_jT3_P12ihipStream_tbPNSt15iterator_traitsISE_E10value_typeEPNSK_ISF_E10value_typeEPSG_NS1_7vsmem_tEENKUlT_SE_SF_SG_E_clIS8_S8_S9_S9_EESD_ST_SE_SF_SG_EUlST_E1_NS1_11comp_targetILNS1_3genE9ELNS1_11target_archE1100ELNS1_3gpuE3ELNS1_3repE0EEENS1_36merge_oddeven_config_static_selectorELNS0_4arch9wavefront6targetE0EEEvSF_.uses_vcc, 0
	.set _ZN7rocprim17ROCPRIM_400000_NS6detail17trampoline_kernelINS0_14default_configENS1_38merge_sort_block_merge_config_selectorIaNS0_10empty_typeEEEZZNS1_27merge_sort_block_merge_implIS3_PaPS5_jNS1_19radix_merge_compareILb0ELb0EaNS0_19identity_decomposerEEEEE10hipError_tT0_T1_T2_jT3_P12ihipStream_tbPNSt15iterator_traitsISE_E10value_typeEPNSK_ISF_E10value_typeEPSG_NS1_7vsmem_tEENKUlT_SE_SF_SG_E_clIS8_S8_S9_S9_EESD_ST_SE_SF_SG_EUlST_E1_NS1_11comp_targetILNS1_3genE9ELNS1_11target_archE1100ELNS1_3gpuE3ELNS1_3repE0EEENS1_36merge_oddeven_config_static_selectorELNS0_4arch9wavefront6targetE0EEEvSF_.uses_flat_scratch, 0
	.set _ZN7rocprim17ROCPRIM_400000_NS6detail17trampoline_kernelINS0_14default_configENS1_38merge_sort_block_merge_config_selectorIaNS0_10empty_typeEEEZZNS1_27merge_sort_block_merge_implIS3_PaPS5_jNS1_19radix_merge_compareILb0ELb0EaNS0_19identity_decomposerEEEEE10hipError_tT0_T1_T2_jT3_P12ihipStream_tbPNSt15iterator_traitsISE_E10value_typeEPNSK_ISF_E10value_typeEPSG_NS1_7vsmem_tEENKUlT_SE_SF_SG_E_clIS8_S8_S9_S9_EESD_ST_SE_SF_SG_EUlST_E1_NS1_11comp_targetILNS1_3genE9ELNS1_11target_archE1100ELNS1_3gpuE3ELNS1_3repE0EEENS1_36merge_oddeven_config_static_selectorELNS0_4arch9wavefront6targetE0EEEvSF_.has_dyn_sized_stack, 0
	.set _ZN7rocprim17ROCPRIM_400000_NS6detail17trampoline_kernelINS0_14default_configENS1_38merge_sort_block_merge_config_selectorIaNS0_10empty_typeEEEZZNS1_27merge_sort_block_merge_implIS3_PaPS5_jNS1_19radix_merge_compareILb0ELb0EaNS0_19identity_decomposerEEEEE10hipError_tT0_T1_T2_jT3_P12ihipStream_tbPNSt15iterator_traitsISE_E10value_typeEPNSK_ISF_E10value_typeEPSG_NS1_7vsmem_tEENKUlT_SE_SF_SG_E_clIS8_S8_S9_S9_EESD_ST_SE_SF_SG_EUlST_E1_NS1_11comp_targetILNS1_3genE9ELNS1_11target_archE1100ELNS1_3gpuE3ELNS1_3repE0EEENS1_36merge_oddeven_config_static_selectorELNS0_4arch9wavefront6targetE0EEEvSF_.has_recursion, 0
	.set _ZN7rocprim17ROCPRIM_400000_NS6detail17trampoline_kernelINS0_14default_configENS1_38merge_sort_block_merge_config_selectorIaNS0_10empty_typeEEEZZNS1_27merge_sort_block_merge_implIS3_PaPS5_jNS1_19radix_merge_compareILb0ELb0EaNS0_19identity_decomposerEEEEE10hipError_tT0_T1_T2_jT3_P12ihipStream_tbPNSt15iterator_traitsISE_E10value_typeEPNSK_ISF_E10value_typeEPSG_NS1_7vsmem_tEENKUlT_SE_SF_SG_E_clIS8_S8_S9_S9_EESD_ST_SE_SF_SG_EUlST_E1_NS1_11comp_targetILNS1_3genE9ELNS1_11target_archE1100ELNS1_3gpuE3ELNS1_3repE0EEENS1_36merge_oddeven_config_static_selectorELNS0_4arch9wavefront6targetE0EEEvSF_.has_indirect_call, 0
	.section	.AMDGPU.csdata,"",@progbits
; Kernel info:
; codeLenInByte = 0
; TotalNumSgprs: 0
; NumVgprs: 0
; ScratchSize: 0
; MemoryBound: 0
; FloatMode: 240
; IeeeMode: 1
; LDSByteSize: 0 bytes/workgroup (compile time only)
; SGPRBlocks: 0
; VGPRBlocks: 0
; NumSGPRsForWavesPerEU: 1
; NumVGPRsForWavesPerEU: 1
; NamedBarCnt: 0
; Occupancy: 16
; WaveLimiterHint : 0
; COMPUTE_PGM_RSRC2:SCRATCH_EN: 0
; COMPUTE_PGM_RSRC2:USER_SGPR: 2
; COMPUTE_PGM_RSRC2:TRAP_HANDLER: 0
; COMPUTE_PGM_RSRC2:TGID_X_EN: 1
; COMPUTE_PGM_RSRC2:TGID_Y_EN: 0
; COMPUTE_PGM_RSRC2:TGID_Z_EN: 0
; COMPUTE_PGM_RSRC2:TIDIG_COMP_CNT: 0
	.section	.text._ZN7rocprim17ROCPRIM_400000_NS6detail17trampoline_kernelINS0_14default_configENS1_38merge_sort_block_merge_config_selectorIaNS0_10empty_typeEEEZZNS1_27merge_sort_block_merge_implIS3_PaPS5_jNS1_19radix_merge_compareILb0ELb0EaNS0_19identity_decomposerEEEEE10hipError_tT0_T1_T2_jT3_P12ihipStream_tbPNSt15iterator_traitsISE_E10value_typeEPNSK_ISF_E10value_typeEPSG_NS1_7vsmem_tEENKUlT_SE_SF_SG_E_clIS8_S8_S9_S9_EESD_ST_SE_SF_SG_EUlST_E1_NS1_11comp_targetILNS1_3genE8ELNS1_11target_archE1030ELNS1_3gpuE2ELNS1_3repE0EEENS1_36merge_oddeven_config_static_selectorELNS0_4arch9wavefront6targetE0EEEvSF_,"axG",@progbits,_ZN7rocprim17ROCPRIM_400000_NS6detail17trampoline_kernelINS0_14default_configENS1_38merge_sort_block_merge_config_selectorIaNS0_10empty_typeEEEZZNS1_27merge_sort_block_merge_implIS3_PaPS5_jNS1_19radix_merge_compareILb0ELb0EaNS0_19identity_decomposerEEEEE10hipError_tT0_T1_T2_jT3_P12ihipStream_tbPNSt15iterator_traitsISE_E10value_typeEPNSK_ISF_E10value_typeEPSG_NS1_7vsmem_tEENKUlT_SE_SF_SG_E_clIS8_S8_S9_S9_EESD_ST_SE_SF_SG_EUlST_E1_NS1_11comp_targetILNS1_3genE8ELNS1_11target_archE1030ELNS1_3gpuE2ELNS1_3repE0EEENS1_36merge_oddeven_config_static_selectorELNS0_4arch9wavefront6targetE0EEEvSF_,comdat
	.protected	_ZN7rocprim17ROCPRIM_400000_NS6detail17trampoline_kernelINS0_14default_configENS1_38merge_sort_block_merge_config_selectorIaNS0_10empty_typeEEEZZNS1_27merge_sort_block_merge_implIS3_PaPS5_jNS1_19radix_merge_compareILb0ELb0EaNS0_19identity_decomposerEEEEE10hipError_tT0_T1_T2_jT3_P12ihipStream_tbPNSt15iterator_traitsISE_E10value_typeEPNSK_ISF_E10value_typeEPSG_NS1_7vsmem_tEENKUlT_SE_SF_SG_E_clIS8_S8_S9_S9_EESD_ST_SE_SF_SG_EUlST_E1_NS1_11comp_targetILNS1_3genE8ELNS1_11target_archE1030ELNS1_3gpuE2ELNS1_3repE0EEENS1_36merge_oddeven_config_static_selectorELNS0_4arch9wavefront6targetE0EEEvSF_ ; -- Begin function _ZN7rocprim17ROCPRIM_400000_NS6detail17trampoline_kernelINS0_14default_configENS1_38merge_sort_block_merge_config_selectorIaNS0_10empty_typeEEEZZNS1_27merge_sort_block_merge_implIS3_PaPS5_jNS1_19radix_merge_compareILb0ELb0EaNS0_19identity_decomposerEEEEE10hipError_tT0_T1_T2_jT3_P12ihipStream_tbPNSt15iterator_traitsISE_E10value_typeEPNSK_ISF_E10value_typeEPSG_NS1_7vsmem_tEENKUlT_SE_SF_SG_E_clIS8_S8_S9_S9_EESD_ST_SE_SF_SG_EUlST_E1_NS1_11comp_targetILNS1_3genE8ELNS1_11target_archE1030ELNS1_3gpuE2ELNS1_3repE0EEENS1_36merge_oddeven_config_static_selectorELNS0_4arch9wavefront6targetE0EEEvSF_
	.globl	_ZN7rocprim17ROCPRIM_400000_NS6detail17trampoline_kernelINS0_14default_configENS1_38merge_sort_block_merge_config_selectorIaNS0_10empty_typeEEEZZNS1_27merge_sort_block_merge_implIS3_PaPS5_jNS1_19radix_merge_compareILb0ELb0EaNS0_19identity_decomposerEEEEE10hipError_tT0_T1_T2_jT3_P12ihipStream_tbPNSt15iterator_traitsISE_E10value_typeEPNSK_ISF_E10value_typeEPSG_NS1_7vsmem_tEENKUlT_SE_SF_SG_E_clIS8_S8_S9_S9_EESD_ST_SE_SF_SG_EUlST_E1_NS1_11comp_targetILNS1_3genE8ELNS1_11target_archE1030ELNS1_3gpuE2ELNS1_3repE0EEENS1_36merge_oddeven_config_static_selectorELNS0_4arch9wavefront6targetE0EEEvSF_
	.p2align	8
	.type	_ZN7rocprim17ROCPRIM_400000_NS6detail17trampoline_kernelINS0_14default_configENS1_38merge_sort_block_merge_config_selectorIaNS0_10empty_typeEEEZZNS1_27merge_sort_block_merge_implIS3_PaPS5_jNS1_19radix_merge_compareILb0ELb0EaNS0_19identity_decomposerEEEEE10hipError_tT0_T1_T2_jT3_P12ihipStream_tbPNSt15iterator_traitsISE_E10value_typeEPNSK_ISF_E10value_typeEPSG_NS1_7vsmem_tEENKUlT_SE_SF_SG_E_clIS8_S8_S9_S9_EESD_ST_SE_SF_SG_EUlST_E1_NS1_11comp_targetILNS1_3genE8ELNS1_11target_archE1030ELNS1_3gpuE2ELNS1_3repE0EEENS1_36merge_oddeven_config_static_selectorELNS0_4arch9wavefront6targetE0EEEvSF_,@function
_ZN7rocprim17ROCPRIM_400000_NS6detail17trampoline_kernelINS0_14default_configENS1_38merge_sort_block_merge_config_selectorIaNS0_10empty_typeEEEZZNS1_27merge_sort_block_merge_implIS3_PaPS5_jNS1_19radix_merge_compareILb0ELb0EaNS0_19identity_decomposerEEEEE10hipError_tT0_T1_T2_jT3_P12ihipStream_tbPNSt15iterator_traitsISE_E10value_typeEPNSK_ISF_E10value_typeEPSG_NS1_7vsmem_tEENKUlT_SE_SF_SG_E_clIS8_S8_S9_S9_EESD_ST_SE_SF_SG_EUlST_E1_NS1_11comp_targetILNS1_3genE8ELNS1_11target_archE1030ELNS1_3gpuE2ELNS1_3repE0EEENS1_36merge_oddeven_config_static_selectorELNS0_4arch9wavefront6targetE0EEEvSF_: ; @_ZN7rocprim17ROCPRIM_400000_NS6detail17trampoline_kernelINS0_14default_configENS1_38merge_sort_block_merge_config_selectorIaNS0_10empty_typeEEEZZNS1_27merge_sort_block_merge_implIS3_PaPS5_jNS1_19radix_merge_compareILb0ELb0EaNS0_19identity_decomposerEEEEE10hipError_tT0_T1_T2_jT3_P12ihipStream_tbPNSt15iterator_traitsISE_E10value_typeEPNSK_ISF_E10value_typeEPSG_NS1_7vsmem_tEENKUlT_SE_SF_SG_E_clIS8_S8_S9_S9_EESD_ST_SE_SF_SG_EUlST_E1_NS1_11comp_targetILNS1_3genE8ELNS1_11target_archE1030ELNS1_3gpuE2ELNS1_3repE0EEENS1_36merge_oddeven_config_static_selectorELNS0_4arch9wavefront6targetE0EEEvSF_
; %bb.0:
	.section	.rodata,"a",@progbits
	.p2align	6, 0x0
	.amdhsa_kernel _ZN7rocprim17ROCPRIM_400000_NS6detail17trampoline_kernelINS0_14default_configENS1_38merge_sort_block_merge_config_selectorIaNS0_10empty_typeEEEZZNS1_27merge_sort_block_merge_implIS3_PaPS5_jNS1_19radix_merge_compareILb0ELb0EaNS0_19identity_decomposerEEEEE10hipError_tT0_T1_T2_jT3_P12ihipStream_tbPNSt15iterator_traitsISE_E10value_typeEPNSK_ISF_E10value_typeEPSG_NS1_7vsmem_tEENKUlT_SE_SF_SG_E_clIS8_S8_S9_S9_EESD_ST_SE_SF_SG_EUlST_E1_NS1_11comp_targetILNS1_3genE8ELNS1_11target_archE1030ELNS1_3gpuE2ELNS1_3repE0EEENS1_36merge_oddeven_config_static_selectorELNS0_4arch9wavefront6targetE0EEEvSF_
		.amdhsa_group_segment_fixed_size 0
		.amdhsa_private_segment_fixed_size 0
		.amdhsa_kernarg_size 48
		.amdhsa_user_sgpr_count 2
		.amdhsa_user_sgpr_dispatch_ptr 0
		.amdhsa_user_sgpr_queue_ptr 0
		.amdhsa_user_sgpr_kernarg_segment_ptr 1
		.amdhsa_user_sgpr_dispatch_id 0
		.amdhsa_user_sgpr_kernarg_preload_length 0
		.amdhsa_user_sgpr_kernarg_preload_offset 0
		.amdhsa_user_sgpr_private_segment_size 0
		.amdhsa_wavefront_size32 1
		.amdhsa_uses_dynamic_stack 0
		.amdhsa_enable_private_segment 0
		.amdhsa_system_sgpr_workgroup_id_x 1
		.amdhsa_system_sgpr_workgroup_id_y 0
		.amdhsa_system_sgpr_workgroup_id_z 0
		.amdhsa_system_sgpr_workgroup_info 0
		.amdhsa_system_vgpr_workitem_id 0
		.amdhsa_next_free_vgpr 1
		.amdhsa_next_free_sgpr 1
		.amdhsa_named_barrier_count 0
		.amdhsa_reserve_vcc 0
		.amdhsa_float_round_mode_32 0
		.amdhsa_float_round_mode_16_64 0
		.amdhsa_float_denorm_mode_32 3
		.amdhsa_float_denorm_mode_16_64 3
		.amdhsa_fp16_overflow 0
		.amdhsa_memory_ordered 1
		.amdhsa_forward_progress 1
		.amdhsa_inst_pref_size 0
		.amdhsa_round_robin_scheduling 0
		.amdhsa_exception_fp_ieee_invalid_op 0
		.amdhsa_exception_fp_denorm_src 0
		.amdhsa_exception_fp_ieee_div_zero 0
		.amdhsa_exception_fp_ieee_overflow 0
		.amdhsa_exception_fp_ieee_underflow 0
		.amdhsa_exception_fp_ieee_inexact 0
		.amdhsa_exception_int_div_zero 0
	.end_amdhsa_kernel
	.section	.text._ZN7rocprim17ROCPRIM_400000_NS6detail17trampoline_kernelINS0_14default_configENS1_38merge_sort_block_merge_config_selectorIaNS0_10empty_typeEEEZZNS1_27merge_sort_block_merge_implIS3_PaPS5_jNS1_19radix_merge_compareILb0ELb0EaNS0_19identity_decomposerEEEEE10hipError_tT0_T1_T2_jT3_P12ihipStream_tbPNSt15iterator_traitsISE_E10value_typeEPNSK_ISF_E10value_typeEPSG_NS1_7vsmem_tEENKUlT_SE_SF_SG_E_clIS8_S8_S9_S9_EESD_ST_SE_SF_SG_EUlST_E1_NS1_11comp_targetILNS1_3genE8ELNS1_11target_archE1030ELNS1_3gpuE2ELNS1_3repE0EEENS1_36merge_oddeven_config_static_selectorELNS0_4arch9wavefront6targetE0EEEvSF_,"axG",@progbits,_ZN7rocprim17ROCPRIM_400000_NS6detail17trampoline_kernelINS0_14default_configENS1_38merge_sort_block_merge_config_selectorIaNS0_10empty_typeEEEZZNS1_27merge_sort_block_merge_implIS3_PaPS5_jNS1_19radix_merge_compareILb0ELb0EaNS0_19identity_decomposerEEEEE10hipError_tT0_T1_T2_jT3_P12ihipStream_tbPNSt15iterator_traitsISE_E10value_typeEPNSK_ISF_E10value_typeEPSG_NS1_7vsmem_tEENKUlT_SE_SF_SG_E_clIS8_S8_S9_S9_EESD_ST_SE_SF_SG_EUlST_E1_NS1_11comp_targetILNS1_3genE8ELNS1_11target_archE1030ELNS1_3gpuE2ELNS1_3repE0EEENS1_36merge_oddeven_config_static_selectorELNS0_4arch9wavefront6targetE0EEEvSF_,comdat
.Lfunc_end423:
	.size	_ZN7rocprim17ROCPRIM_400000_NS6detail17trampoline_kernelINS0_14default_configENS1_38merge_sort_block_merge_config_selectorIaNS0_10empty_typeEEEZZNS1_27merge_sort_block_merge_implIS3_PaPS5_jNS1_19radix_merge_compareILb0ELb0EaNS0_19identity_decomposerEEEEE10hipError_tT0_T1_T2_jT3_P12ihipStream_tbPNSt15iterator_traitsISE_E10value_typeEPNSK_ISF_E10value_typeEPSG_NS1_7vsmem_tEENKUlT_SE_SF_SG_E_clIS8_S8_S9_S9_EESD_ST_SE_SF_SG_EUlST_E1_NS1_11comp_targetILNS1_3genE8ELNS1_11target_archE1030ELNS1_3gpuE2ELNS1_3repE0EEENS1_36merge_oddeven_config_static_selectorELNS0_4arch9wavefront6targetE0EEEvSF_, .Lfunc_end423-_ZN7rocprim17ROCPRIM_400000_NS6detail17trampoline_kernelINS0_14default_configENS1_38merge_sort_block_merge_config_selectorIaNS0_10empty_typeEEEZZNS1_27merge_sort_block_merge_implIS3_PaPS5_jNS1_19radix_merge_compareILb0ELb0EaNS0_19identity_decomposerEEEEE10hipError_tT0_T1_T2_jT3_P12ihipStream_tbPNSt15iterator_traitsISE_E10value_typeEPNSK_ISF_E10value_typeEPSG_NS1_7vsmem_tEENKUlT_SE_SF_SG_E_clIS8_S8_S9_S9_EESD_ST_SE_SF_SG_EUlST_E1_NS1_11comp_targetILNS1_3genE8ELNS1_11target_archE1030ELNS1_3gpuE2ELNS1_3repE0EEENS1_36merge_oddeven_config_static_selectorELNS0_4arch9wavefront6targetE0EEEvSF_
                                        ; -- End function
	.set _ZN7rocprim17ROCPRIM_400000_NS6detail17trampoline_kernelINS0_14default_configENS1_38merge_sort_block_merge_config_selectorIaNS0_10empty_typeEEEZZNS1_27merge_sort_block_merge_implIS3_PaPS5_jNS1_19radix_merge_compareILb0ELb0EaNS0_19identity_decomposerEEEEE10hipError_tT0_T1_T2_jT3_P12ihipStream_tbPNSt15iterator_traitsISE_E10value_typeEPNSK_ISF_E10value_typeEPSG_NS1_7vsmem_tEENKUlT_SE_SF_SG_E_clIS8_S8_S9_S9_EESD_ST_SE_SF_SG_EUlST_E1_NS1_11comp_targetILNS1_3genE8ELNS1_11target_archE1030ELNS1_3gpuE2ELNS1_3repE0EEENS1_36merge_oddeven_config_static_selectorELNS0_4arch9wavefront6targetE0EEEvSF_.num_vgpr, 0
	.set _ZN7rocprim17ROCPRIM_400000_NS6detail17trampoline_kernelINS0_14default_configENS1_38merge_sort_block_merge_config_selectorIaNS0_10empty_typeEEEZZNS1_27merge_sort_block_merge_implIS3_PaPS5_jNS1_19radix_merge_compareILb0ELb0EaNS0_19identity_decomposerEEEEE10hipError_tT0_T1_T2_jT3_P12ihipStream_tbPNSt15iterator_traitsISE_E10value_typeEPNSK_ISF_E10value_typeEPSG_NS1_7vsmem_tEENKUlT_SE_SF_SG_E_clIS8_S8_S9_S9_EESD_ST_SE_SF_SG_EUlST_E1_NS1_11comp_targetILNS1_3genE8ELNS1_11target_archE1030ELNS1_3gpuE2ELNS1_3repE0EEENS1_36merge_oddeven_config_static_selectorELNS0_4arch9wavefront6targetE0EEEvSF_.num_agpr, 0
	.set _ZN7rocprim17ROCPRIM_400000_NS6detail17trampoline_kernelINS0_14default_configENS1_38merge_sort_block_merge_config_selectorIaNS0_10empty_typeEEEZZNS1_27merge_sort_block_merge_implIS3_PaPS5_jNS1_19radix_merge_compareILb0ELb0EaNS0_19identity_decomposerEEEEE10hipError_tT0_T1_T2_jT3_P12ihipStream_tbPNSt15iterator_traitsISE_E10value_typeEPNSK_ISF_E10value_typeEPSG_NS1_7vsmem_tEENKUlT_SE_SF_SG_E_clIS8_S8_S9_S9_EESD_ST_SE_SF_SG_EUlST_E1_NS1_11comp_targetILNS1_3genE8ELNS1_11target_archE1030ELNS1_3gpuE2ELNS1_3repE0EEENS1_36merge_oddeven_config_static_selectorELNS0_4arch9wavefront6targetE0EEEvSF_.numbered_sgpr, 0
	.set _ZN7rocprim17ROCPRIM_400000_NS6detail17trampoline_kernelINS0_14default_configENS1_38merge_sort_block_merge_config_selectorIaNS0_10empty_typeEEEZZNS1_27merge_sort_block_merge_implIS3_PaPS5_jNS1_19radix_merge_compareILb0ELb0EaNS0_19identity_decomposerEEEEE10hipError_tT0_T1_T2_jT3_P12ihipStream_tbPNSt15iterator_traitsISE_E10value_typeEPNSK_ISF_E10value_typeEPSG_NS1_7vsmem_tEENKUlT_SE_SF_SG_E_clIS8_S8_S9_S9_EESD_ST_SE_SF_SG_EUlST_E1_NS1_11comp_targetILNS1_3genE8ELNS1_11target_archE1030ELNS1_3gpuE2ELNS1_3repE0EEENS1_36merge_oddeven_config_static_selectorELNS0_4arch9wavefront6targetE0EEEvSF_.num_named_barrier, 0
	.set _ZN7rocprim17ROCPRIM_400000_NS6detail17trampoline_kernelINS0_14default_configENS1_38merge_sort_block_merge_config_selectorIaNS0_10empty_typeEEEZZNS1_27merge_sort_block_merge_implIS3_PaPS5_jNS1_19radix_merge_compareILb0ELb0EaNS0_19identity_decomposerEEEEE10hipError_tT0_T1_T2_jT3_P12ihipStream_tbPNSt15iterator_traitsISE_E10value_typeEPNSK_ISF_E10value_typeEPSG_NS1_7vsmem_tEENKUlT_SE_SF_SG_E_clIS8_S8_S9_S9_EESD_ST_SE_SF_SG_EUlST_E1_NS1_11comp_targetILNS1_3genE8ELNS1_11target_archE1030ELNS1_3gpuE2ELNS1_3repE0EEENS1_36merge_oddeven_config_static_selectorELNS0_4arch9wavefront6targetE0EEEvSF_.private_seg_size, 0
	.set _ZN7rocprim17ROCPRIM_400000_NS6detail17trampoline_kernelINS0_14default_configENS1_38merge_sort_block_merge_config_selectorIaNS0_10empty_typeEEEZZNS1_27merge_sort_block_merge_implIS3_PaPS5_jNS1_19radix_merge_compareILb0ELb0EaNS0_19identity_decomposerEEEEE10hipError_tT0_T1_T2_jT3_P12ihipStream_tbPNSt15iterator_traitsISE_E10value_typeEPNSK_ISF_E10value_typeEPSG_NS1_7vsmem_tEENKUlT_SE_SF_SG_E_clIS8_S8_S9_S9_EESD_ST_SE_SF_SG_EUlST_E1_NS1_11comp_targetILNS1_3genE8ELNS1_11target_archE1030ELNS1_3gpuE2ELNS1_3repE0EEENS1_36merge_oddeven_config_static_selectorELNS0_4arch9wavefront6targetE0EEEvSF_.uses_vcc, 0
	.set _ZN7rocprim17ROCPRIM_400000_NS6detail17trampoline_kernelINS0_14default_configENS1_38merge_sort_block_merge_config_selectorIaNS0_10empty_typeEEEZZNS1_27merge_sort_block_merge_implIS3_PaPS5_jNS1_19radix_merge_compareILb0ELb0EaNS0_19identity_decomposerEEEEE10hipError_tT0_T1_T2_jT3_P12ihipStream_tbPNSt15iterator_traitsISE_E10value_typeEPNSK_ISF_E10value_typeEPSG_NS1_7vsmem_tEENKUlT_SE_SF_SG_E_clIS8_S8_S9_S9_EESD_ST_SE_SF_SG_EUlST_E1_NS1_11comp_targetILNS1_3genE8ELNS1_11target_archE1030ELNS1_3gpuE2ELNS1_3repE0EEENS1_36merge_oddeven_config_static_selectorELNS0_4arch9wavefront6targetE0EEEvSF_.uses_flat_scratch, 0
	.set _ZN7rocprim17ROCPRIM_400000_NS6detail17trampoline_kernelINS0_14default_configENS1_38merge_sort_block_merge_config_selectorIaNS0_10empty_typeEEEZZNS1_27merge_sort_block_merge_implIS3_PaPS5_jNS1_19radix_merge_compareILb0ELb0EaNS0_19identity_decomposerEEEEE10hipError_tT0_T1_T2_jT3_P12ihipStream_tbPNSt15iterator_traitsISE_E10value_typeEPNSK_ISF_E10value_typeEPSG_NS1_7vsmem_tEENKUlT_SE_SF_SG_E_clIS8_S8_S9_S9_EESD_ST_SE_SF_SG_EUlST_E1_NS1_11comp_targetILNS1_3genE8ELNS1_11target_archE1030ELNS1_3gpuE2ELNS1_3repE0EEENS1_36merge_oddeven_config_static_selectorELNS0_4arch9wavefront6targetE0EEEvSF_.has_dyn_sized_stack, 0
	.set _ZN7rocprim17ROCPRIM_400000_NS6detail17trampoline_kernelINS0_14default_configENS1_38merge_sort_block_merge_config_selectorIaNS0_10empty_typeEEEZZNS1_27merge_sort_block_merge_implIS3_PaPS5_jNS1_19radix_merge_compareILb0ELb0EaNS0_19identity_decomposerEEEEE10hipError_tT0_T1_T2_jT3_P12ihipStream_tbPNSt15iterator_traitsISE_E10value_typeEPNSK_ISF_E10value_typeEPSG_NS1_7vsmem_tEENKUlT_SE_SF_SG_E_clIS8_S8_S9_S9_EESD_ST_SE_SF_SG_EUlST_E1_NS1_11comp_targetILNS1_3genE8ELNS1_11target_archE1030ELNS1_3gpuE2ELNS1_3repE0EEENS1_36merge_oddeven_config_static_selectorELNS0_4arch9wavefront6targetE0EEEvSF_.has_recursion, 0
	.set _ZN7rocprim17ROCPRIM_400000_NS6detail17trampoline_kernelINS0_14default_configENS1_38merge_sort_block_merge_config_selectorIaNS0_10empty_typeEEEZZNS1_27merge_sort_block_merge_implIS3_PaPS5_jNS1_19radix_merge_compareILb0ELb0EaNS0_19identity_decomposerEEEEE10hipError_tT0_T1_T2_jT3_P12ihipStream_tbPNSt15iterator_traitsISE_E10value_typeEPNSK_ISF_E10value_typeEPSG_NS1_7vsmem_tEENKUlT_SE_SF_SG_E_clIS8_S8_S9_S9_EESD_ST_SE_SF_SG_EUlST_E1_NS1_11comp_targetILNS1_3genE8ELNS1_11target_archE1030ELNS1_3gpuE2ELNS1_3repE0EEENS1_36merge_oddeven_config_static_selectorELNS0_4arch9wavefront6targetE0EEEvSF_.has_indirect_call, 0
	.section	.AMDGPU.csdata,"",@progbits
; Kernel info:
; codeLenInByte = 0
; TotalNumSgprs: 0
; NumVgprs: 0
; ScratchSize: 0
; MemoryBound: 0
; FloatMode: 240
; IeeeMode: 1
; LDSByteSize: 0 bytes/workgroup (compile time only)
; SGPRBlocks: 0
; VGPRBlocks: 0
; NumSGPRsForWavesPerEU: 1
; NumVGPRsForWavesPerEU: 1
; NamedBarCnt: 0
; Occupancy: 16
; WaveLimiterHint : 0
; COMPUTE_PGM_RSRC2:SCRATCH_EN: 0
; COMPUTE_PGM_RSRC2:USER_SGPR: 2
; COMPUTE_PGM_RSRC2:TRAP_HANDLER: 0
; COMPUTE_PGM_RSRC2:TGID_X_EN: 1
; COMPUTE_PGM_RSRC2:TGID_Y_EN: 0
; COMPUTE_PGM_RSRC2:TGID_Z_EN: 0
; COMPUTE_PGM_RSRC2:TIDIG_COMP_CNT: 0
	.section	.text._ZN7rocprim17ROCPRIM_400000_NS6detail17trampoline_kernelINS0_14default_configENS1_38merge_sort_block_merge_config_selectorIaNS0_10empty_typeEEEZZNS1_27merge_sort_block_merge_implIS3_PaPS5_jNS1_19radix_merge_compareILb0ELb1EaNS0_19identity_decomposerEEEEE10hipError_tT0_T1_T2_jT3_P12ihipStream_tbPNSt15iterator_traitsISE_E10value_typeEPNSK_ISF_E10value_typeEPSG_NS1_7vsmem_tEENKUlT_SE_SF_SG_E_clIS8_S8_S9_S9_EESD_ST_SE_SF_SG_EUlST_E_NS1_11comp_targetILNS1_3genE0ELNS1_11target_archE4294967295ELNS1_3gpuE0ELNS1_3repE0EEENS1_48merge_mergepath_partition_config_static_selectorELNS0_4arch9wavefront6targetE0EEEvSF_,"axG",@progbits,_ZN7rocprim17ROCPRIM_400000_NS6detail17trampoline_kernelINS0_14default_configENS1_38merge_sort_block_merge_config_selectorIaNS0_10empty_typeEEEZZNS1_27merge_sort_block_merge_implIS3_PaPS5_jNS1_19radix_merge_compareILb0ELb1EaNS0_19identity_decomposerEEEEE10hipError_tT0_T1_T2_jT3_P12ihipStream_tbPNSt15iterator_traitsISE_E10value_typeEPNSK_ISF_E10value_typeEPSG_NS1_7vsmem_tEENKUlT_SE_SF_SG_E_clIS8_S8_S9_S9_EESD_ST_SE_SF_SG_EUlST_E_NS1_11comp_targetILNS1_3genE0ELNS1_11target_archE4294967295ELNS1_3gpuE0ELNS1_3repE0EEENS1_48merge_mergepath_partition_config_static_selectorELNS0_4arch9wavefront6targetE0EEEvSF_,comdat
	.protected	_ZN7rocprim17ROCPRIM_400000_NS6detail17trampoline_kernelINS0_14default_configENS1_38merge_sort_block_merge_config_selectorIaNS0_10empty_typeEEEZZNS1_27merge_sort_block_merge_implIS3_PaPS5_jNS1_19radix_merge_compareILb0ELb1EaNS0_19identity_decomposerEEEEE10hipError_tT0_T1_T2_jT3_P12ihipStream_tbPNSt15iterator_traitsISE_E10value_typeEPNSK_ISF_E10value_typeEPSG_NS1_7vsmem_tEENKUlT_SE_SF_SG_E_clIS8_S8_S9_S9_EESD_ST_SE_SF_SG_EUlST_E_NS1_11comp_targetILNS1_3genE0ELNS1_11target_archE4294967295ELNS1_3gpuE0ELNS1_3repE0EEENS1_48merge_mergepath_partition_config_static_selectorELNS0_4arch9wavefront6targetE0EEEvSF_ ; -- Begin function _ZN7rocprim17ROCPRIM_400000_NS6detail17trampoline_kernelINS0_14default_configENS1_38merge_sort_block_merge_config_selectorIaNS0_10empty_typeEEEZZNS1_27merge_sort_block_merge_implIS3_PaPS5_jNS1_19radix_merge_compareILb0ELb1EaNS0_19identity_decomposerEEEEE10hipError_tT0_T1_T2_jT3_P12ihipStream_tbPNSt15iterator_traitsISE_E10value_typeEPNSK_ISF_E10value_typeEPSG_NS1_7vsmem_tEENKUlT_SE_SF_SG_E_clIS8_S8_S9_S9_EESD_ST_SE_SF_SG_EUlST_E_NS1_11comp_targetILNS1_3genE0ELNS1_11target_archE4294967295ELNS1_3gpuE0ELNS1_3repE0EEENS1_48merge_mergepath_partition_config_static_selectorELNS0_4arch9wavefront6targetE0EEEvSF_
	.globl	_ZN7rocprim17ROCPRIM_400000_NS6detail17trampoline_kernelINS0_14default_configENS1_38merge_sort_block_merge_config_selectorIaNS0_10empty_typeEEEZZNS1_27merge_sort_block_merge_implIS3_PaPS5_jNS1_19radix_merge_compareILb0ELb1EaNS0_19identity_decomposerEEEEE10hipError_tT0_T1_T2_jT3_P12ihipStream_tbPNSt15iterator_traitsISE_E10value_typeEPNSK_ISF_E10value_typeEPSG_NS1_7vsmem_tEENKUlT_SE_SF_SG_E_clIS8_S8_S9_S9_EESD_ST_SE_SF_SG_EUlST_E_NS1_11comp_targetILNS1_3genE0ELNS1_11target_archE4294967295ELNS1_3gpuE0ELNS1_3repE0EEENS1_48merge_mergepath_partition_config_static_selectorELNS0_4arch9wavefront6targetE0EEEvSF_
	.p2align	8
	.type	_ZN7rocprim17ROCPRIM_400000_NS6detail17trampoline_kernelINS0_14default_configENS1_38merge_sort_block_merge_config_selectorIaNS0_10empty_typeEEEZZNS1_27merge_sort_block_merge_implIS3_PaPS5_jNS1_19radix_merge_compareILb0ELb1EaNS0_19identity_decomposerEEEEE10hipError_tT0_T1_T2_jT3_P12ihipStream_tbPNSt15iterator_traitsISE_E10value_typeEPNSK_ISF_E10value_typeEPSG_NS1_7vsmem_tEENKUlT_SE_SF_SG_E_clIS8_S8_S9_S9_EESD_ST_SE_SF_SG_EUlST_E_NS1_11comp_targetILNS1_3genE0ELNS1_11target_archE4294967295ELNS1_3gpuE0ELNS1_3repE0EEENS1_48merge_mergepath_partition_config_static_selectorELNS0_4arch9wavefront6targetE0EEEvSF_,@function
_ZN7rocprim17ROCPRIM_400000_NS6detail17trampoline_kernelINS0_14default_configENS1_38merge_sort_block_merge_config_selectorIaNS0_10empty_typeEEEZZNS1_27merge_sort_block_merge_implIS3_PaPS5_jNS1_19radix_merge_compareILb0ELb1EaNS0_19identity_decomposerEEEEE10hipError_tT0_T1_T2_jT3_P12ihipStream_tbPNSt15iterator_traitsISE_E10value_typeEPNSK_ISF_E10value_typeEPSG_NS1_7vsmem_tEENKUlT_SE_SF_SG_E_clIS8_S8_S9_S9_EESD_ST_SE_SF_SG_EUlST_E_NS1_11comp_targetILNS1_3genE0ELNS1_11target_archE4294967295ELNS1_3gpuE0ELNS1_3repE0EEENS1_48merge_mergepath_partition_config_static_selectorELNS0_4arch9wavefront6targetE0EEEvSF_: ; @_ZN7rocprim17ROCPRIM_400000_NS6detail17trampoline_kernelINS0_14default_configENS1_38merge_sort_block_merge_config_selectorIaNS0_10empty_typeEEEZZNS1_27merge_sort_block_merge_implIS3_PaPS5_jNS1_19radix_merge_compareILb0ELb1EaNS0_19identity_decomposerEEEEE10hipError_tT0_T1_T2_jT3_P12ihipStream_tbPNSt15iterator_traitsISE_E10value_typeEPNSK_ISF_E10value_typeEPSG_NS1_7vsmem_tEENKUlT_SE_SF_SG_E_clIS8_S8_S9_S9_EESD_ST_SE_SF_SG_EUlST_E_NS1_11comp_targetILNS1_3genE0ELNS1_11target_archE4294967295ELNS1_3gpuE0ELNS1_3repE0EEENS1_48merge_mergepath_partition_config_static_selectorELNS0_4arch9wavefront6targetE0EEEvSF_
; %bb.0:
	s_load_b32 s2, s[0:1], 0x0
	s_bfe_u32 s3, ttmp6, 0x4000c
	s_and_b32 s4, ttmp6, 15
	s_add_co_i32 s3, s3, 1
	s_getreg_b32 s5, hwreg(HW_REG_IB_STS2, 6, 4)
	s_mul_i32 s3, ttmp9, s3
	s_delay_alu instid0(SALU_CYCLE_1) | instskip(SKIP_2) | instid1(SALU_CYCLE_1)
	s_add_co_i32 s4, s4, s3
	s_cmp_eq_u32 s5, 0
	s_cselect_b32 s3, ttmp9, s4
	v_lshl_or_b32 v8, s3, 7, v0
	s_wait_kmcnt 0x0
	s_delay_alu instid0(VALU_DEP_1)
	v_cmp_gt_u32_e32 vcc_lo, s2, v8
	s_and_saveexec_b32 s2, vcc_lo
	s_cbranch_execz .LBB424_6
; %bb.1:
	s_load_b64 s[2:3], s[0:1], 0x4
	s_mov_b32 s7, exec_lo
	s_wait_kmcnt 0x0
	s_lshr_b32 s4, s2, 9
	s_delay_alu instid0(SALU_CYCLE_1) | instskip(NEXT) | instid1(SALU_CYCLE_1)
	s_and_b32 s4, s4, 0x7ffffe
	s_sub_co_i32 s5, 0, s4
	s_add_co_i32 s4, s4, -1
	s_delay_alu instid0(SALU_CYCLE_1) | instskip(NEXT) | instid1(VALU_DEP_1)
	v_and_b32_e32 v1, s4, v8
	v_dual_lshlrev_b32 v1, 10, v1 :: v_dual_bitop2_b32 v0, s5, v8 bitop3:0x40
	s_delay_alu instid0(VALU_DEP_1) | instskip(NEXT) | instid1(VALU_DEP_1)
	v_lshlrev_b32_e32 v0, 10, v0
	v_add_min_u32_e64 v2, v0, s2, s3
	v_min_u32_e32 v0, s3, v0
	s_delay_alu instid0(VALU_DEP_2) | instskip(SKIP_1) | instid1(VALU_DEP_1)
	v_add_min_u32_e64 v3, v2, s2, s3
	s_load_b64 s[2:3], s[0:1], 0x20
	v_dual_sub_nc_u32 v4, v3, v0 :: v_dual_sub_nc_u32 v3, v3, v2
	s_delay_alu instid0(VALU_DEP_1) | instskip(SKIP_1) | instid1(VALU_DEP_2)
	v_min_u32_e32 v10, v4, v1
	v_sub_nc_u32_e32 v1, v2, v0
	v_sub_nc_u32_e64 v9, v10, v3 clamp
	s_delay_alu instid0(VALU_DEP_2) | instskip(NEXT) | instid1(VALU_DEP_1)
	v_min_u32_e32 v11, v10, v1
	v_cmpx_lt_u32_e64 v9, v11
	s_cbranch_execz .LBB424_5
; %bb.2:
	s_load_b96 s[4:6], s[0:1], 0x10
	v_mov_b32_e32 v3, 0
	s_wait_xcnt 0x0
	s_mov_b32 s0, 0
	s_delay_alu instid0(VALU_DEP_1) | instskip(SKIP_1) | instid1(VALU_DEP_1)
	v_mov_b32_e32 v1, v3
	s_wait_kmcnt 0x0
	v_add_nc_u64_e32 v[4:5], s[4:5], v[0:1]
	v_add_nc_u64_e32 v[6:7], s[4:5], v[2:3]
.LBB424_3:                              ; =>This Inner Loop Header: Depth=1
	v_add_nc_u32_e32 v1, v11, v9
	s_delay_alu instid0(VALU_DEP_1) | instskip(NEXT) | instid1(VALU_DEP_1)
	v_dual_mov_b32 v13, v3 :: v_dual_lshrrev_b32 v2, 1, v1
	v_xad_u32 v12, v2, -1, v10
	v_add_nc_u64_e32 v[14:15], v[4:5], v[2:3]
	s_delay_alu instid0(VALU_DEP_2)
	v_add_nc_u64_e32 v[12:13], v[6:7], v[12:13]
	s_clause 0x1
	global_load_u8 v1, v[14:15], off
	global_load_u8 v16, v[12:13], off
	s_wait_loadcnt 0x1
	s_wait_xcnt 0x0
	v_dual_add_nc_u32 v13, 1, v2 :: v_dual_bitop2_b32 v1, s6, v1 bitop3:0x40
	s_wait_loadcnt 0x0
	v_and_b32_e32 v12, s6, v16
	s_delay_alu instid0(VALU_DEP_2) | instskip(NEXT) | instid1(VALU_DEP_2)
	v_bfe_i32 v1, v1, 0, 8
	v_bfe_i32 v12, v12, 0, 8
	s_delay_alu instid0(VALU_DEP_1) | instskip(SKIP_1) | instid1(VALU_DEP_1)
	v_cmp_gt_i16_e32 vcc_lo, v1, v12
	v_dual_cndmask_b32 v11, v11, v2, vcc_lo :: v_dual_cndmask_b32 v9, v13, v9, vcc_lo
	v_cmp_ge_u32_e32 vcc_lo, v9, v11
	s_or_b32 s0, vcc_lo, s0
	s_delay_alu instid0(SALU_CYCLE_1)
	s_and_not1_b32 exec_lo, exec_lo, s0
	s_cbranch_execnz .LBB424_3
; %bb.4:
	s_or_b32 exec_lo, exec_lo, s0
.LBB424_5:
	s_delay_alu instid0(SALU_CYCLE_1)
	s_or_b32 exec_lo, exec_lo, s7
	v_add_nc_u32_e32 v0, v9, v0
	s_wait_kmcnt 0x0
	global_store_b32 v8, v0, s[2:3] scale_offset
.LBB424_6:
	s_endpgm
	.section	.rodata,"a",@progbits
	.p2align	6, 0x0
	.amdhsa_kernel _ZN7rocprim17ROCPRIM_400000_NS6detail17trampoline_kernelINS0_14default_configENS1_38merge_sort_block_merge_config_selectorIaNS0_10empty_typeEEEZZNS1_27merge_sort_block_merge_implIS3_PaPS5_jNS1_19radix_merge_compareILb0ELb1EaNS0_19identity_decomposerEEEEE10hipError_tT0_T1_T2_jT3_P12ihipStream_tbPNSt15iterator_traitsISE_E10value_typeEPNSK_ISF_E10value_typeEPSG_NS1_7vsmem_tEENKUlT_SE_SF_SG_E_clIS8_S8_S9_S9_EESD_ST_SE_SF_SG_EUlST_E_NS1_11comp_targetILNS1_3genE0ELNS1_11target_archE4294967295ELNS1_3gpuE0ELNS1_3repE0EEENS1_48merge_mergepath_partition_config_static_selectorELNS0_4arch9wavefront6targetE0EEEvSF_
		.amdhsa_group_segment_fixed_size 0
		.amdhsa_private_segment_fixed_size 0
		.amdhsa_kernarg_size 40
		.amdhsa_user_sgpr_count 2
		.amdhsa_user_sgpr_dispatch_ptr 0
		.amdhsa_user_sgpr_queue_ptr 0
		.amdhsa_user_sgpr_kernarg_segment_ptr 1
		.amdhsa_user_sgpr_dispatch_id 0
		.amdhsa_user_sgpr_kernarg_preload_length 0
		.amdhsa_user_sgpr_kernarg_preload_offset 0
		.amdhsa_user_sgpr_private_segment_size 0
		.amdhsa_wavefront_size32 1
		.amdhsa_uses_dynamic_stack 0
		.amdhsa_enable_private_segment 0
		.amdhsa_system_sgpr_workgroup_id_x 1
		.amdhsa_system_sgpr_workgroup_id_y 0
		.amdhsa_system_sgpr_workgroup_id_z 0
		.amdhsa_system_sgpr_workgroup_info 0
		.amdhsa_system_vgpr_workitem_id 0
		.amdhsa_next_free_vgpr 17
		.amdhsa_next_free_sgpr 8
		.amdhsa_named_barrier_count 0
		.amdhsa_reserve_vcc 1
		.amdhsa_float_round_mode_32 0
		.amdhsa_float_round_mode_16_64 0
		.amdhsa_float_denorm_mode_32 3
		.amdhsa_float_denorm_mode_16_64 3
		.amdhsa_fp16_overflow 0
		.amdhsa_memory_ordered 1
		.amdhsa_forward_progress 1
		.amdhsa_inst_pref_size 4
		.amdhsa_round_robin_scheduling 0
		.amdhsa_exception_fp_ieee_invalid_op 0
		.amdhsa_exception_fp_denorm_src 0
		.amdhsa_exception_fp_ieee_div_zero 0
		.amdhsa_exception_fp_ieee_overflow 0
		.amdhsa_exception_fp_ieee_underflow 0
		.amdhsa_exception_fp_ieee_inexact 0
		.amdhsa_exception_int_div_zero 0
	.end_amdhsa_kernel
	.section	.text._ZN7rocprim17ROCPRIM_400000_NS6detail17trampoline_kernelINS0_14default_configENS1_38merge_sort_block_merge_config_selectorIaNS0_10empty_typeEEEZZNS1_27merge_sort_block_merge_implIS3_PaPS5_jNS1_19radix_merge_compareILb0ELb1EaNS0_19identity_decomposerEEEEE10hipError_tT0_T1_T2_jT3_P12ihipStream_tbPNSt15iterator_traitsISE_E10value_typeEPNSK_ISF_E10value_typeEPSG_NS1_7vsmem_tEENKUlT_SE_SF_SG_E_clIS8_S8_S9_S9_EESD_ST_SE_SF_SG_EUlST_E_NS1_11comp_targetILNS1_3genE0ELNS1_11target_archE4294967295ELNS1_3gpuE0ELNS1_3repE0EEENS1_48merge_mergepath_partition_config_static_selectorELNS0_4arch9wavefront6targetE0EEEvSF_,"axG",@progbits,_ZN7rocprim17ROCPRIM_400000_NS6detail17trampoline_kernelINS0_14default_configENS1_38merge_sort_block_merge_config_selectorIaNS0_10empty_typeEEEZZNS1_27merge_sort_block_merge_implIS3_PaPS5_jNS1_19radix_merge_compareILb0ELb1EaNS0_19identity_decomposerEEEEE10hipError_tT0_T1_T2_jT3_P12ihipStream_tbPNSt15iterator_traitsISE_E10value_typeEPNSK_ISF_E10value_typeEPSG_NS1_7vsmem_tEENKUlT_SE_SF_SG_E_clIS8_S8_S9_S9_EESD_ST_SE_SF_SG_EUlST_E_NS1_11comp_targetILNS1_3genE0ELNS1_11target_archE4294967295ELNS1_3gpuE0ELNS1_3repE0EEENS1_48merge_mergepath_partition_config_static_selectorELNS0_4arch9wavefront6targetE0EEEvSF_,comdat
.Lfunc_end424:
	.size	_ZN7rocprim17ROCPRIM_400000_NS6detail17trampoline_kernelINS0_14default_configENS1_38merge_sort_block_merge_config_selectorIaNS0_10empty_typeEEEZZNS1_27merge_sort_block_merge_implIS3_PaPS5_jNS1_19radix_merge_compareILb0ELb1EaNS0_19identity_decomposerEEEEE10hipError_tT0_T1_T2_jT3_P12ihipStream_tbPNSt15iterator_traitsISE_E10value_typeEPNSK_ISF_E10value_typeEPSG_NS1_7vsmem_tEENKUlT_SE_SF_SG_E_clIS8_S8_S9_S9_EESD_ST_SE_SF_SG_EUlST_E_NS1_11comp_targetILNS1_3genE0ELNS1_11target_archE4294967295ELNS1_3gpuE0ELNS1_3repE0EEENS1_48merge_mergepath_partition_config_static_selectorELNS0_4arch9wavefront6targetE0EEEvSF_, .Lfunc_end424-_ZN7rocprim17ROCPRIM_400000_NS6detail17trampoline_kernelINS0_14default_configENS1_38merge_sort_block_merge_config_selectorIaNS0_10empty_typeEEEZZNS1_27merge_sort_block_merge_implIS3_PaPS5_jNS1_19radix_merge_compareILb0ELb1EaNS0_19identity_decomposerEEEEE10hipError_tT0_T1_T2_jT3_P12ihipStream_tbPNSt15iterator_traitsISE_E10value_typeEPNSK_ISF_E10value_typeEPSG_NS1_7vsmem_tEENKUlT_SE_SF_SG_E_clIS8_S8_S9_S9_EESD_ST_SE_SF_SG_EUlST_E_NS1_11comp_targetILNS1_3genE0ELNS1_11target_archE4294967295ELNS1_3gpuE0ELNS1_3repE0EEENS1_48merge_mergepath_partition_config_static_selectorELNS0_4arch9wavefront6targetE0EEEvSF_
                                        ; -- End function
	.set _ZN7rocprim17ROCPRIM_400000_NS6detail17trampoline_kernelINS0_14default_configENS1_38merge_sort_block_merge_config_selectorIaNS0_10empty_typeEEEZZNS1_27merge_sort_block_merge_implIS3_PaPS5_jNS1_19radix_merge_compareILb0ELb1EaNS0_19identity_decomposerEEEEE10hipError_tT0_T1_T2_jT3_P12ihipStream_tbPNSt15iterator_traitsISE_E10value_typeEPNSK_ISF_E10value_typeEPSG_NS1_7vsmem_tEENKUlT_SE_SF_SG_E_clIS8_S8_S9_S9_EESD_ST_SE_SF_SG_EUlST_E_NS1_11comp_targetILNS1_3genE0ELNS1_11target_archE4294967295ELNS1_3gpuE0ELNS1_3repE0EEENS1_48merge_mergepath_partition_config_static_selectorELNS0_4arch9wavefront6targetE0EEEvSF_.num_vgpr, 17
	.set _ZN7rocprim17ROCPRIM_400000_NS6detail17trampoline_kernelINS0_14default_configENS1_38merge_sort_block_merge_config_selectorIaNS0_10empty_typeEEEZZNS1_27merge_sort_block_merge_implIS3_PaPS5_jNS1_19radix_merge_compareILb0ELb1EaNS0_19identity_decomposerEEEEE10hipError_tT0_T1_T2_jT3_P12ihipStream_tbPNSt15iterator_traitsISE_E10value_typeEPNSK_ISF_E10value_typeEPSG_NS1_7vsmem_tEENKUlT_SE_SF_SG_E_clIS8_S8_S9_S9_EESD_ST_SE_SF_SG_EUlST_E_NS1_11comp_targetILNS1_3genE0ELNS1_11target_archE4294967295ELNS1_3gpuE0ELNS1_3repE0EEENS1_48merge_mergepath_partition_config_static_selectorELNS0_4arch9wavefront6targetE0EEEvSF_.num_agpr, 0
	.set _ZN7rocprim17ROCPRIM_400000_NS6detail17trampoline_kernelINS0_14default_configENS1_38merge_sort_block_merge_config_selectorIaNS0_10empty_typeEEEZZNS1_27merge_sort_block_merge_implIS3_PaPS5_jNS1_19radix_merge_compareILb0ELb1EaNS0_19identity_decomposerEEEEE10hipError_tT0_T1_T2_jT3_P12ihipStream_tbPNSt15iterator_traitsISE_E10value_typeEPNSK_ISF_E10value_typeEPSG_NS1_7vsmem_tEENKUlT_SE_SF_SG_E_clIS8_S8_S9_S9_EESD_ST_SE_SF_SG_EUlST_E_NS1_11comp_targetILNS1_3genE0ELNS1_11target_archE4294967295ELNS1_3gpuE0ELNS1_3repE0EEENS1_48merge_mergepath_partition_config_static_selectorELNS0_4arch9wavefront6targetE0EEEvSF_.numbered_sgpr, 8
	.set _ZN7rocprim17ROCPRIM_400000_NS6detail17trampoline_kernelINS0_14default_configENS1_38merge_sort_block_merge_config_selectorIaNS0_10empty_typeEEEZZNS1_27merge_sort_block_merge_implIS3_PaPS5_jNS1_19radix_merge_compareILb0ELb1EaNS0_19identity_decomposerEEEEE10hipError_tT0_T1_T2_jT3_P12ihipStream_tbPNSt15iterator_traitsISE_E10value_typeEPNSK_ISF_E10value_typeEPSG_NS1_7vsmem_tEENKUlT_SE_SF_SG_E_clIS8_S8_S9_S9_EESD_ST_SE_SF_SG_EUlST_E_NS1_11comp_targetILNS1_3genE0ELNS1_11target_archE4294967295ELNS1_3gpuE0ELNS1_3repE0EEENS1_48merge_mergepath_partition_config_static_selectorELNS0_4arch9wavefront6targetE0EEEvSF_.num_named_barrier, 0
	.set _ZN7rocprim17ROCPRIM_400000_NS6detail17trampoline_kernelINS0_14default_configENS1_38merge_sort_block_merge_config_selectorIaNS0_10empty_typeEEEZZNS1_27merge_sort_block_merge_implIS3_PaPS5_jNS1_19radix_merge_compareILb0ELb1EaNS0_19identity_decomposerEEEEE10hipError_tT0_T1_T2_jT3_P12ihipStream_tbPNSt15iterator_traitsISE_E10value_typeEPNSK_ISF_E10value_typeEPSG_NS1_7vsmem_tEENKUlT_SE_SF_SG_E_clIS8_S8_S9_S9_EESD_ST_SE_SF_SG_EUlST_E_NS1_11comp_targetILNS1_3genE0ELNS1_11target_archE4294967295ELNS1_3gpuE0ELNS1_3repE0EEENS1_48merge_mergepath_partition_config_static_selectorELNS0_4arch9wavefront6targetE0EEEvSF_.private_seg_size, 0
	.set _ZN7rocprim17ROCPRIM_400000_NS6detail17trampoline_kernelINS0_14default_configENS1_38merge_sort_block_merge_config_selectorIaNS0_10empty_typeEEEZZNS1_27merge_sort_block_merge_implIS3_PaPS5_jNS1_19radix_merge_compareILb0ELb1EaNS0_19identity_decomposerEEEEE10hipError_tT0_T1_T2_jT3_P12ihipStream_tbPNSt15iterator_traitsISE_E10value_typeEPNSK_ISF_E10value_typeEPSG_NS1_7vsmem_tEENKUlT_SE_SF_SG_E_clIS8_S8_S9_S9_EESD_ST_SE_SF_SG_EUlST_E_NS1_11comp_targetILNS1_3genE0ELNS1_11target_archE4294967295ELNS1_3gpuE0ELNS1_3repE0EEENS1_48merge_mergepath_partition_config_static_selectorELNS0_4arch9wavefront6targetE0EEEvSF_.uses_vcc, 1
	.set _ZN7rocprim17ROCPRIM_400000_NS6detail17trampoline_kernelINS0_14default_configENS1_38merge_sort_block_merge_config_selectorIaNS0_10empty_typeEEEZZNS1_27merge_sort_block_merge_implIS3_PaPS5_jNS1_19radix_merge_compareILb0ELb1EaNS0_19identity_decomposerEEEEE10hipError_tT0_T1_T2_jT3_P12ihipStream_tbPNSt15iterator_traitsISE_E10value_typeEPNSK_ISF_E10value_typeEPSG_NS1_7vsmem_tEENKUlT_SE_SF_SG_E_clIS8_S8_S9_S9_EESD_ST_SE_SF_SG_EUlST_E_NS1_11comp_targetILNS1_3genE0ELNS1_11target_archE4294967295ELNS1_3gpuE0ELNS1_3repE0EEENS1_48merge_mergepath_partition_config_static_selectorELNS0_4arch9wavefront6targetE0EEEvSF_.uses_flat_scratch, 0
	.set _ZN7rocprim17ROCPRIM_400000_NS6detail17trampoline_kernelINS0_14default_configENS1_38merge_sort_block_merge_config_selectorIaNS0_10empty_typeEEEZZNS1_27merge_sort_block_merge_implIS3_PaPS5_jNS1_19radix_merge_compareILb0ELb1EaNS0_19identity_decomposerEEEEE10hipError_tT0_T1_T2_jT3_P12ihipStream_tbPNSt15iterator_traitsISE_E10value_typeEPNSK_ISF_E10value_typeEPSG_NS1_7vsmem_tEENKUlT_SE_SF_SG_E_clIS8_S8_S9_S9_EESD_ST_SE_SF_SG_EUlST_E_NS1_11comp_targetILNS1_3genE0ELNS1_11target_archE4294967295ELNS1_3gpuE0ELNS1_3repE0EEENS1_48merge_mergepath_partition_config_static_selectorELNS0_4arch9wavefront6targetE0EEEvSF_.has_dyn_sized_stack, 0
	.set _ZN7rocprim17ROCPRIM_400000_NS6detail17trampoline_kernelINS0_14default_configENS1_38merge_sort_block_merge_config_selectorIaNS0_10empty_typeEEEZZNS1_27merge_sort_block_merge_implIS3_PaPS5_jNS1_19radix_merge_compareILb0ELb1EaNS0_19identity_decomposerEEEEE10hipError_tT0_T1_T2_jT3_P12ihipStream_tbPNSt15iterator_traitsISE_E10value_typeEPNSK_ISF_E10value_typeEPSG_NS1_7vsmem_tEENKUlT_SE_SF_SG_E_clIS8_S8_S9_S9_EESD_ST_SE_SF_SG_EUlST_E_NS1_11comp_targetILNS1_3genE0ELNS1_11target_archE4294967295ELNS1_3gpuE0ELNS1_3repE0EEENS1_48merge_mergepath_partition_config_static_selectorELNS0_4arch9wavefront6targetE0EEEvSF_.has_recursion, 0
	.set _ZN7rocprim17ROCPRIM_400000_NS6detail17trampoline_kernelINS0_14default_configENS1_38merge_sort_block_merge_config_selectorIaNS0_10empty_typeEEEZZNS1_27merge_sort_block_merge_implIS3_PaPS5_jNS1_19radix_merge_compareILb0ELb1EaNS0_19identity_decomposerEEEEE10hipError_tT0_T1_T2_jT3_P12ihipStream_tbPNSt15iterator_traitsISE_E10value_typeEPNSK_ISF_E10value_typeEPSG_NS1_7vsmem_tEENKUlT_SE_SF_SG_E_clIS8_S8_S9_S9_EESD_ST_SE_SF_SG_EUlST_E_NS1_11comp_targetILNS1_3genE0ELNS1_11target_archE4294967295ELNS1_3gpuE0ELNS1_3repE0EEENS1_48merge_mergepath_partition_config_static_selectorELNS0_4arch9wavefront6targetE0EEEvSF_.has_indirect_call, 0
	.section	.AMDGPU.csdata,"",@progbits
; Kernel info:
; codeLenInByte = 456
; TotalNumSgprs: 10
; NumVgprs: 17
; ScratchSize: 0
; MemoryBound: 0
; FloatMode: 240
; IeeeMode: 1
; LDSByteSize: 0 bytes/workgroup (compile time only)
; SGPRBlocks: 0
; VGPRBlocks: 1
; NumSGPRsForWavesPerEU: 10
; NumVGPRsForWavesPerEU: 17
; NamedBarCnt: 0
; Occupancy: 16
; WaveLimiterHint : 0
; COMPUTE_PGM_RSRC2:SCRATCH_EN: 0
; COMPUTE_PGM_RSRC2:USER_SGPR: 2
; COMPUTE_PGM_RSRC2:TRAP_HANDLER: 0
; COMPUTE_PGM_RSRC2:TGID_X_EN: 1
; COMPUTE_PGM_RSRC2:TGID_Y_EN: 0
; COMPUTE_PGM_RSRC2:TGID_Z_EN: 0
; COMPUTE_PGM_RSRC2:TIDIG_COMP_CNT: 0
	.section	.text._ZN7rocprim17ROCPRIM_400000_NS6detail17trampoline_kernelINS0_14default_configENS1_38merge_sort_block_merge_config_selectorIaNS0_10empty_typeEEEZZNS1_27merge_sort_block_merge_implIS3_PaPS5_jNS1_19radix_merge_compareILb0ELb1EaNS0_19identity_decomposerEEEEE10hipError_tT0_T1_T2_jT3_P12ihipStream_tbPNSt15iterator_traitsISE_E10value_typeEPNSK_ISF_E10value_typeEPSG_NS1_7vsmem_tEENKUlT_SE_SF_SG_E_clIS8_S8_S9_S9_EESD_ST_SE_SF_SG_EUlST_E_NS1_11comp_targetILNS1_3genE10ELNS1_11target_archE1201ELNS1_3gpuE5ELNS1_3repE0EEENS1_48merge_mergepath_partition_config_static_selectorELNS0_4arch9wavefront6targetE0EEEvSF_,"axG",@progbits,_ZN7rocprim17ROCPRIM_400000_NS6detail17trampoline_kernelINS0_14default_configENS1_38merge_sort_block_merge_config_selectorIaNS0_10empty_typeEEEZZNS1_27merge_sort_block_merge_implIS3_PaPS5_jNS1_19radix_merge_compareILb0ELb1EaNS0_19identity_decomposerEEEEE10hipError_tT0_T1_T2_jT3_P12ihipStream_tbPNSt15iterator_traitsISE_E10value_typeEPNSK_ISF_E10value_typeEPSG_NS1_7vsmem_tEENKUlT_SE_SF_SG_E_clIS8_S8_S9_S9_EESD_ST_SE_SF_SG_EUlST_E_NS1_11comp_targetILNS1_3genE10ELNS1_11target_archE1201ELNS1_3gpuE5ELNS1_3repE0EEENS1_48merge_mergepath_partition_config_static_selectorELNS0_4arch9wavefront6targetE0EEEvSF_,comdat
	.protected	_ZN7rocprim17ROCPRIM_400000_NS6detail17trampoline_kernelINS0_14default_configENS1_38merge_sort_block_merge_config_selectorIaNS0_10empty_typeEEEZZNS1_27merge_sort_block_merge_implIS3_PaPS5_jNS1_19radix_merge_compareILb0ELb1EaNS0_19identity_decomposerEEEEE10hipError_tT0_T1_T2_jT3_P12ihipStream_tbPNSt15iterator_traitsISE_E10value_typeEPNSK_ISF_E10value_typeEPSG_NS1_7vsmem_tEENKUlT_SE_SF_SG_E_clIS8_S8_S9_S9_EESD_ST_SE_SF_SG_EUlST_E_NS1_11comp_targetILNS1_3genE10ELNS1_11target_archE1201ELNS1_3gpuE5ELNS1_3repE0EEENS1_48merge_mergepath_partition_config_static_selectorELNS0_4arch9wavefront6targetE0EEEvSF_ ; -- Begin function _ZN7rocprim17ROCPRIM_400000_NS6detail17trampoline_kernelINS0_14default_configENS1_38merge_sort_block_merge_config_selectorIaNS0_10empty_typeEEEZZNS1_27merge_sort_block_merge_implIS3_PaPS5_jNS1_19radix_merge_compareILb0ELb1EaNS0_19identity_decomposerEEEEE10hipError_tT0_T1_T2_jT3_P12ihipStream_tbPNSt15iterator_traitsISE_E10value_typeEPNSK_ISF_E10value_typeEPSG_NS1_7vsmem_tEENKUlT_SE_SF_SG_E_clIS8_S8_S9_S9_EESD_ST_SE_SF_SG_EUlST_E_NS1_11comp_targetILNS1_3genE10ELNS1_11target_archE1201ELNS1_3gpuE5ELNS1_3repE0EEENS1_48merge_mergepath_partition_config_static_selectorELNS0_4arch9wavefront6targetE0EEEvSF_
	.globl	_ZN7rocprim17ROCPRIM_400000_NS6detail17trampoline_kernelINS0_14default_configENS1_38merge_sort_block_merge_config_selectorIaNS0_10empty_typeEEEZZNS1_27merge_sort_block_merge_implIS3_PaPS5_jNS1_19radix_merge_compareILb0ELb1EaNS0_19identity_decomposerEEEEE10hipError_tT0_T1_T2_jT3_P12ihipStream_tbPNSt15iterator_traitsISE_E10value_typeEPNSK_ISF_E10value_typeEPSG_NS1_7vsmem_tEENKUlT_SE_SF_SG_E_clIS8_S8_S9_S9_EESD_ST_SE_SF_SG_EUlST_E_NS1_11comp_targetILNS1_3genE10ELNS1_11target_archE1201ELNS1_3gpuE5ELNS1_3repE0EEENS1_48merge_mergepath_partition_config_static_selectorELNS0_4arch9wavefront6targetE0EEEvSF_
	.p2align	8
	.type	_ZN7rocprim17ROCPRIM_400000_NS6detail17trampoline_kernelINS0_14default_configENS1_38merge_sort_block_merge_config_selectorIaNS0_10empty_typeEEEZZNS1_27merge_sort_block_merge_implIS3_PaPS5_jNS1_19radix_merge_compareILb0ELb1EaNS0_19identity_decomposerEEEEE10hipError_tT0_T1_T2_jT3_P12ihipStream_tbPNSt15iterator_traitsISE_E10value_typeEPNSK_ISF_E10value_typeEPSG_NS1_7vsmem_tEENKUlT_SE_SF_SG_E_clIS8_S8_S9_S9_EESD_ST_SE_SF_SG_EUlST_E_NS1_11comp_targetILNS1_3genE10ELNS1_11target_archE1201ELNS1_3gpuE5ELNS1_3repE0EEENS1_48merge_mergepath_partition_config_static_selectorELNS0_4arch9wavefront6targetE0EEEvSF_,@function
_ZN7rocprim17ROCPRIM_400000_NS6detail17trampoline_kernelINS0_14default_configENS1_38merge_sort_block_merge_config_selectorIaNS0_10empty_typeEEEZZNS1_27merge_sort_block_merge_implIS3_PaPS5_jNS1_19radix_merge_compareILb0ELb1EaNS0_19identity_decomposerEEEEE10hipError_tT0_T1_T2_jT3_P12ihipStream_tbPNSt15iterator_traitsISE_E10value_typeEPNSK_ISF_E10value_typeEPSG_NS1_7vsmem_tEENKUlT_SE_SF_SG_E_clIS8_S8_S9_S9_EESD_ST_SE_SF_SG_EUlST_E_NS1_11comp_targetILNS1_3genE10ELNS1_11target_archE1201ELNS1_3gpuE5ELNS1_3repE0EEENS1_48merge_mergepath_partition_config_static_selectorELNS0_4arch9wavefront6targetE0EEEvSF_: ; @_ZN7rocprim17ROCPRIM_400000_NS6detail17trampoline_kernelINS0_14default_configENS1_38merge_sort_block_merge_config_selectorIaNS0_10empty_typeEEEZZNS1_27merge_sort_block_merge_implIS3_PaPS5_jNS1_19radix_merge_compareILb0ELb1EaNS0_19identity_decomposerEEEEE10hipError_tT0_T1_T2_jT3_P12ihipStream_tbPNSt15iterator_traitsISE_E10value_typeEPNSK_ISF_E10value_typeEPSG_NS1_7vsmem_tEENKUlT_SE_SF_SG_E_clIS8_S8_S9_S9_EESD_ST_SE_SF_SG_EUlST_E_NS1_11comp_targetILNS1_3genE10ELNS1_11target_archE1201ELNS1_3gpuE5ELNS1_3repE0EEENS1_48merge_mergepath_partition_config_static_selectorELNS0_4arch9wavefront6targetE0EEEvSF_
; %bb.0:
	.section	.rodata,"a",@progbits
	.p2align	6, 0x0
	.amdhsa_kernel _ZN7rocprim17ROCPRIM_400000_NS6detail17trampoline_kernelINS0_14default_configENS1_38merge_sort_block_merge_config_selectorIaNS0_10empty_typeEEEZZNS1_27merge_sort_block_merge_implIS3_PaPS5_jNS1_19radix_merge_compareILb0ELb1EaNS0_19identity_decomposerEEEEE10hipError_tT0_T1_T2_jT3_P12ihipStream_tbPNSt15iterator_traitsISE_E10value_typeEPNSK_ISF_E10value_typeEPSG_NS1_7vsmem_tEENKUlT_SE_SF_SG_E_clIS8_S8_S9_S9_EESD_ST_SE_SF_SG_EUlST_E_NS1_11comp_targetILNS1_3genE10ELNS1_11target_archE1201ELNS1_3gpuE5ELNS1_3repE0EEENS1_48merge_mergepath_partition_config_static_selectorELNS0_4arch9wavefront6targetE0EEEvSF_
		.amdhsa_group_segment_fixed_size 0
		.amdhsa_private_segment_fixed_size 0
		.amdhsa_kernarg_size 40
		.amdhsa_user_sgpr_count 2
		.amdhsa_user_sgpr_dispatch_ptr 0
		.amdhsa_user_sgpr_queue_ptr 0
		.amdhsa_user_sgpr_kernarg_segment_ptr 1
		.amdhsa_user_sgpr_dispatch_id 0
		.amdhsa_user_sgpr_kernarg_preload_length 0
		.amdhsa_user_sgpr_kernarg_preload_offset 0
		.amdhsa_user_sgpr_private_segment_size 0
		.amdhsa_wavefront_size32 1
		.amdhsa_uses_dynamic_stack 0
		.amdhsa_enable_private_segment 0
		.amdhsa_system_sgpr_workgroup_id_x 1
		.amdhsa_system_sgpr_workgroup_id_y 0
		.amdhsa_system_sgpr_workgroup_id_z 0
		.amdhsa_system_sgpr_workgroup_info 0
		.amdhsa_system_vgpr_workitem_id 0
		.amdhsa_next_free_vgpr 1
		.amdhsa_next_free_sgpr 1
		.amdhsa_named_barrier_count 0
		.amdhsa_reserve_vcc 0
		.amdhsa_float_round_mode_32 0
		.amdhsa_float_round_mode_16_64 0
		.amdhsa_float_denorm_mode_32 3
		.amdhsa_float_denorm_mode_16_64 3
		.amdhsa_fp16_overflow 0
		.amdhsa_memory_ordered 1
		.amdhsa_forward_progress 1
		.amdhsa_inst_pref_size 0
		.amdhsa_round_robin_scheduling 0
		.amdhsa_exception_fp_ieee_invalid_op 0
		.amdhsa_exception_fp_denorm_src 0
		.amdhsa_exception_fp_ieee_div_zero 0
		.amdhsa_exception_fp_ieee_overflow 0
		.amdhsa_exception_fp_ieee_underflow 0
		.amdhsa_exception_fp_ieee_inexact 0
		.amdhsa_exception_int_div_zero 0
	.end_amdhsa_kernel
	.section	.text._ZN7rocprim17ROCPRIM_400000_NS6detail17trampoline_kernelINS0_14default_configENS1_38merge_sort_block_merge_config_selectorIaNS0_10empty_typeEEEZZNS1_27merge_sort_block_merge_implIS3_PaPS5_jNS1_19radix_merge_compareILb0ELb1EaNS0_19identity_decomposerEEEEE10hipError_tT0_T1_T2_jT3_P12ihipStream_tbPNSt15iterator_traitsISE_E10value_typeEPNSK_ISF_E10value_typeEPSG_NS1_7vsmem_tEENKUlT_SE_SF_SG_E_clIS8_S8_S9_S9_EESD_ST_SE_SF_SG_EUlST_E_NS1_11comp_targetILNS1_3genE10ELNS1_11target_archE1201ELNS1_3gpuE5ELNS1_3repE0EEENS1_48merge_mergepath_partition_config_static_selectorELNS0_4arch9wavefront6targetE0EEEvSF_,"axG",@progbits,_ZN7rocprim17ROCPRIM_400000_NS6detail17trampoline_kernelINS0_14default_configENS1_38merge_sort_block_merge_config_selectorIaNS0_10empty_typeEEEZZNS1_27merge_sort_block_merge_implIS3_PaPS5_jNS1_19radix_merge_compareILb0ELb1EaNS0_19identity_decomposerEEEEE10hipError_tT0_T1_T2_jT3_P12ihipStream_tbPNSt15iterator_traitsISE_E10value_typeEPNSK_ISF_E10value_typeEPSG_NS1_7vsmem_tEENKUlT_SE_SF_SG_E_clIS8_S8_S9_S9_EESD_ST_SE_SF_SG_EUlST_E_NS1_11comp_targetILNS1_3genE10ELNS1_11target_archE1201ELNS1_3gpuE5ELNS1_3repE0EEENS1_48merge_mergepath_partition_config_static_selectorELNS0_4arch9wavefront6targetE0EEEvSF_,comdat
.Lfunc_end425:
	.size	_ZN7rocprim17ROCPRIM_400000_NS6detail17trampoline_kernelINS0_14default_configENS1_38merge_sort_block_merge_config_selectorIaNS0_10empty_typeEEEZZNS1_27merge_sort_block_merge_implIS3_PaPS5_jNS1_19radix_merge_compareILb0ELb1EaNS0_19identity_decomposerEEEEE10hipError_tT0_T1_T2_jT3_P12ihipStream_tbPNSt15iterator_traitsISE_E10value_typeEPNSK_ISF_E10value_typeEPSG_NS1_7vsmem_tEENKUlT_SE_SF_SG_E_clIS8_S8_S9_S9_EESD_ST_SE_SF_SG_EUlST_E_NS1_11comp_targetILNS1_3genE10ELNS1_11target_archE1201ELNS1_3gpuE5ELNS1_3repE0EEENS1_48merge_mergepath_partition_config_static_selectorELNS0_4arch9wavefront6targetE0EEEvSF_, .Lfunc_end425-_ZN7rocprim17ROCPRIM_400000_NS6detail17trampoline_kernelINS0_14default_configENS1_38merge_sort_block_merge_config_selectorIaNS0_10empty_typeEEEZZNS1_27merge_sort_block_merge_implIS3_PaPS5_jNS1_19radix_merge_compareILb0ELb1EaNS0_19identity_decomposerEEEEE10hipError_tT0_T1_T2_jT3_P12ihipStream_tbPNSt15iterator_traitsISE_E10value_typeEPNSK_ISF_E10value_typeEPSG_NS1_7vsmem_tEENKUlT_SE_SF_SG_E_clIS8_S8_S9_S9_EESD_ST_SE_SF_SG_EUlST_E_NS1_11comp_targetILNS1_3genE10ELNS1_11target_archE1201ELNS1_3gpuE5ELNS1_3repE0EEENS1_48merge_mergepath_partition_config_static_selectorELNS0_4arch9wavefront6targetE0EEEvSF_
                                        ; -- End function
	.set _ZN7rocprim17ROCPRIM_400000_NS6detail17trampoline_kernelINS0_14default_configENS1_38merge_sort_block_merge_config_selectorIaNS0_10empty_typeEEEZZNS1_27merge_sort_block_merge_implIS3_PaPS5_jNS1_19radix_merge_compareILb0ELb1EaNS0_19identity_decomposerEEEEE10hipError_tT0_T1_T2_jT3_P12ihipStream_tbPNSt15iterator_traitsISE_E10value_typeEPNSK_ISF_E10value_typeEPSG_NS1_7vsmem_tEENKUlT_SE_SF_SG_E_clIS8_S8_S9_S9_EESD_ST_SE_SF_SG_EUlST_E_NS1_11comp_targetILNS1_3genE10ELNS1_11target_archE1201ELNS1_3gpuE5ELNS1_3repE0EEENS1_48merge_mergepath_partition_config_static_selectorELNS0_4arch9wavefront6targetE0EEEvSF_.num_vgpr, 0
	.set _ZN7rocprim17ROCPRIM_400000_NS6detail17trampoline_kernelINS0_14default_configENS1_38merge_sort_block_merge_config_selectorIaNS0_10empty_typeEEEZZNS1_27merge_sort_block_merge_implIS3_PaPS5_jNS1_19radix_merge_compareILb0ELb1EaNS0_19identity_decomposerEEEEE10hipError_tT0_T1_T2_jT3_P12ihipStream_tbPNSt15iterator_traitsISE_E10value_typeEPNSK_ISF_E10value_typeEPSG_NS1_7vsmem_tEENKUlT_SE_SF_SG_E_clIS8_S8_S9_S9_EESD_ST_SE_SF_SG_EUlST_E_NS1_11comp_targetILNS1_3genE10ELNS1_11target_archE1201ELNS1_3gpuE5ELNS1_3repE0EEENS1_48merge_mergepath_partition_config_static_selectorELNS0_4arch9wavefront6targetE0EEEvSF_.num_agpr, 0
	.set _ZN7rocprim17ROCPRIM_400000_NS6detail17trampoline_kernelINS0_14default_configENS1_38merge_sort_block_merge_config_selectorIaNS0_10empty_typeEEEZZNS1_27merge_sort_block_merge_implIS3_PaPS5_jNS1_19radix_merge_compareILb0ELb1EaNS0_19identity_decomposerEEEEE10hipError_tT0_T1_T2_jT3_P12ihipStream_tbPNSt15iterator_traitsISE_E10value_typeEPNSK_ISF_E10value_typeEPSG_NS1_7vsmem_tEENKUlT_SE_SF_SG_E_clIS8_S8_S9_S9_EESD_ST_SE_SF_SG_EUlST_E_NS1_11comp_targetILNS1_3genE10ELNS1_11target_archE1201ELNS1_3gpuE5ELNS1_3repE0EEENS1_48merge_mergepath_partition_config_static_selectorELNS0_4arch9wavefront6targetE0EEEvSF_.numbered_sgpr, 0
	.set _ZN7rocprim17ROCPRIM_400000_NS6detail17trampoline_kernelINS0_14default_configENS1_38merge_sort_block_merge_config_selectorIaNS0_10empty_typeEEEZZNS1_27merge_sort_block_merge_implIS3_PaPS5_jNS1_19radix_merge_compareILb0ELb1EaNS0_19identity_decomposerEEEEE10hipError_tT0_T1_T2_jT3_P12ihipStream_tbPNSt15iterator_traitsISE_E10value_typeEPNSK_ISF_E10value_typeEPSG_NS1_7vsmem_tEENKUlT_SE_SF_SG_E_clIS8_S8_S9_S9_EESD_ST_SE_SF_SG_EUlST_E_NS1_11comp_targetILNS1_3genE10ELNS1_11target_archE1201ELNS1_3gpuE5ELNS1_3repE0EEENS1_48merge_mergepath_partition_config_static_selectorELNS0_4arch9wavefront6targetE0EEEvSF_.num_named_barrier, 0
	.set _ZN7rocprim17ROCPRIM_400000_NS6detail17trampoline_kernelINS0_14default_configENS1_38merge_sort_block_merge_config_selectorIaNS0_10empty_typeEEEZZNS1_27merge_sort_block_merge_implIS3_PaPS5_jNS1_19radix_merge_compareILb0ELb1EaNS0_19identity_decomposerEEEEE10hipError_tT0_T1_T2_jT3_P12ihipStream_tbPNSt15iterator_traitsISE_E10value_typeEPNSK_ISF_E10value_typeEPSG_NS1_7vsmem_tEENKUlT_SE_SF_SG_E_clIS8_S8_S9_S9_EESD_ST_SE_SF_SG_EUlST_E_NS1_11comp_targetILNS1_3genE10ELNS1_11target_archE1201ELNS1_3gpuE5ELNS1_3repE0EEENS1_48merge_mergepath_partition_config_static_selectorELNS0_4arch9wavefront6targetE0EEEvSF_.private_seg_size, 0
	.set _ZN7rocprim17ROCPRIM_400000_NS6detail17trampoline_kernelINS0_14default_configENS1_38merge_sort_block_merge_config_selectorIaNS0_10empty_typeEEEZZNS1_27merge_sort_block_merge_implIS3_PaPS5_jNS1_19radix_merge_compareILb0ELb1EaNS0_19identity_decomposerEEEEE10hipError_tT0_T1_T2_jT3_P12ihipStream_tbPNSt15iterator_traitsISE_E10value_typeEPNSK_ISF_E10value_typeEPSG_NS1_7vsmem_tEENKUlT_SE_SF_SG_E_clIS8_S8_S9_S9_EESD_ST_SE_SF_SG_EUlST_E_NS1_11comp_targetILNS1_3genE10ELNS1_11target_archE1201ELNS1_3gpuE5ELNS1_3repE0EEENS1_48merge_mergepath_partition_config_static_selectorELNS0_4arch9wavefront6targetE0EEEvSF_.uses_vcc, 0
	.set _ZN7rocprim17ROCPRIM_400000_NS6detail17trampoline_kernelINS0_14default_configENS1_38merge_sort_block_merge_config_selectorIaNS0_10empty_typeEEEZZNS1_27merge_sort_block_merge_implIS3_PaPS5_jNS1_19radix_merge_compareILb0ELb1EaNS0_19identity_decomposerEEEEE10hipError_tT0_T1_T2_jT3_P12ihipStream_tbPNSt15iterator_traitsISE_E10value_typeEPNSK_ISF_E10value_typeEPSG_NS1_7vsmem_tEENKUlT_SE_SF_SG_E_clIS8_S8_S9_S9_EESD_ST_SE_SF_SG_EUlST_E_NS1_11comp_targetILNS1_3genE10ELNS1_11target_archE1201ELNS1_3gpuE5ELNS1_3repE0EEENS1_48merge_mergepath_partition_config_static_selectorELNS0_4arch9wavefront6targetE0EEEvSF_.uses_flat_scratch, 0
	.set _ZN7rocprim17ROCPRIM_400000_NS6detail17trampoline_kernelINS0_14default_configENS1_38merge_sort_block_merge_config_selectorIaNS0_10empty_typeEEEZZNS1_27merge_sort_block_merge_implIS3_PaPS5_jNS1_19radix_merge_compareILb0ELb1EaNS0_19identity_decomposerEEEEE10hipError_tT0_T1_T2_jT3_P12ihipStream_tbPNSt15iterator_traitsISE_E10value_typeEPNSK_ISF_E10value_typeEPSG_NS1_7vsmem_tEENKUlT_SE_SF_SG_E_clIS8_S8_S9_S9_EESD_ST_SE_SF_SG_EUlST_E_NS1_11comp_targetILNS1_3genE10ELNS1_11target_archE1201ELNS1_3gpuE5ELNS1_3repE0EEENS1_48merge_mergepath_partition_config_static_selectorELNS0_4arch9wavefront6targetE0EEEvSF_.has_dyn_sized_stack, 0
	.set _ZN7rocprim17ROCPRIM_400000_NS6detail17trampoline_kernelINS0_14default_configENS1_38merge_sort_block_merge_config_selectorIaNS0_10empty_typeEEEZZNS1_27merge_sort_block_merge_implIS3_PaPS5_jNS1_19radix_merge_compareILb0ELb1EaNS0_19identity_decomposerEEEEE10hipError_tT0_T1_T2_jT3_P12ihipStream_tbPNSt15iterator_traitsISE_E10value_typeEPNSK_ISF_E10value_typeEPSG_NS1_7vsmem_tEENKUlT_SE_SF_SG_E_clIS8_S8_S9_S9_EESD_ST_SE_SF_SG_EUlST_E_NS1_11comp_targetILNS1_3genE10ELNS1_11target_archE1201ELNS1_3gpuE5ELNS1_3repE0EEENS1_48merge_mergepath_partition_config_static_selectorELNS0_4arch9wavefront6targetE0EEEvSF_.has_recursion, 0
	.set _ZN7rocprim17ROCPRIM_400000_NS6detail17trampoline_kernelINS0_14default_configENS1_38merge_sort_block_merge_config_selectorIaNS0_10empty_typeEEEZZNS1_27merge_sort_block_merge_implIS3_PaPS5_jNS1_19radix_merge_compareILb0ELb1EaNS0_19identity_decomposerEEEEE10hipError_tT0_T1_T2_jT3_P12ihipStream_tbPNSt15iterator_traitsISE_E10value_typeEPNSK_ISF_E10value_typeEPSG_NS1_7vsmem_tEENKUlT_SE_SF_SG_E_clIS8_S8_S9_S9_EESD_ST_SE_SF_SG_EUlST_E_NS1_11comp_targetILNS1_3genE10ELNS1_11target_archE1201ELNS1_3gpuE5ELNS1_3repE0EEENS1_48merge_mergepath_partition_config_static_selectorELNS0_4arch9wavefront6targetE0EEEvSF_.has_indirect_call, 0
	.section	.AMDGPU.csdata,"",@progbits
; Kernel info:
; codeLenInByte = 0
; TotalNumSgprs: 0
; NumVgprs: 0
; ScratchSize: 0
; MemoryBound: 0
; FloatMode: 240
; IeeeMode: 1
; LDSByteSize: 0 bytes/workgroup (compile time only)
; SGPRBlocks: 0
; VGPRBlocks: 0
; NumSGPRsForWavesPerEU: 1
; NumVGPRsForWavesPerEU: 1
; NamedBarCnt: 0
; Occupancy: 16
; WaveLimiterHint : 0
; COMPUTE_PGM_RSRC2:SCRATCH_EN: 0
; COMPUTE_PGM_RSRC2:USER_SGPR: 2
; COMPUTE_PGM_RSRC2:TRAP_HANDLER: 0
; COMPUTE_PGM_RSRC2:TGID_X_EN: 1
; COMPUTE_PGM_RSRC2:TGID_Y_EN: 0
; COMPUTE_PGM_RSRC2:TGID_Z_EN: 0
; COMPUTE_PGM_RSRC2:TIDIG_COMP_CNT: 0
	.section	.text._ZN7rocprim17ROCPRIM_400000_NS6detail17trampoline_kernelINS0_14default_configENS1_38merge_sort_block_merge_config_selectorIaNS0_10empty_typeEEEZZNS1_27merge_sort_block_merge_implIS3_PaPS5_jNS1_19radix_merge_compareILb0ELb1EaNS0_19identity_decomposerEEEEE10hipError_tT0_T1_T2_jT3_P12ihipStream_tbPNSt15iterator_traitsISE_E10value_typeEPNSK_ISF_E10value_typeEPSG_NS1_7vsmem_tEENKUlT_SE_SF_SG_E_clIS8_S8_S9_S9_EESD_ST_SE_SF_SG_EUlST_E_NS1_11comp_targetILNS1_3genE5ELNS1_11target_archE942ELNS1_3gpuE9ELNS1_3repE0EEENS1_48merge_mergepath_partition_config_static_selectorELNS0_4arch9wavefront6targetE0EEEvSF_,"axG",@progbits,_ZN7rocprim17ROCPRIM_400000_NS6detail17trampoline_kernelINS0_14default_configENS1_38merge_sort_block_merge_config_selectorIaNS0_10empty_typeEEEZZNS1_27merge_sort_block_merge_implIS3_PaPS5_jNS1_19radix_merge_compareILb0ELb1EaNS0_19identity_decomposerEEEEE10hipError_tT0_T1_T2_jT3_P12ihipStream_tbPNSt15iterator_traitsISE_E10value_typeEPNSK_ISF_E10value_typeEPSG_NS1_7vsmem_tEENKUlT_SE_SF_SG_E_clIS8_S8_S9_S9_EESD_ST_SE_SF_SG_EUlST_E_NS1_11comp_targetILNS1_3genE5ELNS1_11target_archE942ELNS1_3gpuE9ELNS1_3repE0EEENS1_48merge_mergepath_partition_config_static_selectorELNS0_4arch9wavefront6targetE0EEEvSF_,comdat
	.protected	_ZN7rocprim17ROCPRIM_400000_NS6detail17trampoline_kernelINS0_14default_configENS1_38merge_sort_block_merge_config_selectorIaNS0_10empty_typeEEEZZNS1_27merge_sort_block_merge_implIS3_PaPS5_jNS1_19radix_merge_compareILb0ELb1EaNS0_19identity_decomposerEEEEE10hipError_tT0_T1_T2_jT3_P12ihipStream_tbPNSt15iterator_traitsISE_E10value_typeEPNSK_ISF_E10value_typeEPSG_NS1_7vsmem_tEENKUlT_SE_SF_SG_E_clIS8_S8_S9_S9_EESD_ST_SE_SF_SG_EUlST_E_NS1_11comp_targetILNS1_3genE5ELNS1_11target_archE942ELNS1_3gpuE9ELNS1_3repE0EEENS1_48merge_mergepath_partition_config_static_selectorELNS0_4arch9wavefront6targetE0EEEvSF_ ; -- Begin function _ZN7rocprim17ROCPRIM_400000_NS6detail17trampoline_kernelINS0_14default_configENS1_38merge_sort_block_merge_config_selectorIaNS0_10empty_typeEEEZZNS1_27merge_sort_block_merge_implIS3_PaPS5_jNS1_19radix_merge_compareILb0ELb1EaNS0_19identity_decomposerEEEEE10hipError_tT0_T1_T2_jT3_P12ihipStream_tbPNSt15iterator_traitsISE_E10value_typeEPNSK_ISF_E10value_typeEPSG_NS1_7vsmem_tEENKUlT_SE_SF_SG_E_clIS8_S8_S9_S9_EESD_ST_SE_SF_SG_EUlST_E_NS1_11comp_targetILNS1_3genE5ELNS1_11target_archE942ELNS1_3gpuE9ELNS1_3repE0EEENS1_48merge_mergepath_partition_config_static_selectorELNS0_4arch9wavefront6targetE0EEEvSF_
	.globl	_ZN7rocprim17ROCPRIM_400000_NS6detail17trampoline_kernelINS0_14default_configENS1_38merge_sort_block_merge_config_selectorIaNS0_10empty_typeEEEZZNS1_27merge_sort_block_merge_implIS3_PaPS5_jNS1_19radix_merge_compareILb0ELb1EaNS0_19identity_decomposerEEEEE10hipError_tT0_T1_T2_jT3_P12ihipStream_tbPNSt15iterator_traitsISE_E10value_typeEPNSK_ISF_E10value_typeEPSG_NS1_7vsmem_tEENKUlT_SE_SF_SG_E_clIS8_S8_S9_S9_EESD_ST_SE_SF_SG_EUlST_E_NS1_11comp_targetILNS1_3genE5ELNS1_11target_archE942ELNS1_3gpuE9ELNS1_3repE0EEENS1_48merge_mergepath_partition_config_static_selectorELNS0_4arch9wavefront6targetE0EEEvSF_
	.p2align	8
	.type	_ZN7rocprim17ROCPRIM_400000_NS6detail17trampoline_kernelINS0_14default_configENS1_38merge_sort_block_merge_config_selectorIaNS0_10empty_typeEEEZZNS1_27merge_sort_block_merge_implIS3_PaPS5_jNS1_19radix_merge_compareILb0ELb1EaNS0_19identity_decomposerEEEEE10hipError_tT0_T1_T2_jT3_P12ihipStream_tbPNSt15iterator_traitsISE_E10value_typeEPNSK_ISF_E10value_typeEPSG_NS1_7vsmem_tEENKUlT_SE_SF_SG_E_clIS8_S8_S9_S9_EESD_ST_SE_SF_SG_EUlST_E_NS1_11comp_targetILNS1_3genE5ELNS1_11target_archE942ELNS1_3gpuE9ELNS1_3repE0EEENS1_48merge_mergepath_partition_config_static_selectorELNS0_4arch9wavefront6targetE0EEEvSF_,@function
_ZN7rocprim17ROCPRIM_400000_NS6detail17trampoline_kernelINS0_14default_configENS1_38merge_sort_block_merge_config_selectorIaNS0_10empty_typeEEEZZNS1_27merge_sort_block_merge_implIS3_PaPS5_jNS1_19radix_merge_compareILb0ELb1EaNS0_19identity_decomposerEEEEE10hipError_tT0_T1_T2_jT3_P12ihipStream_tbPNSt15iterator_traitsISE_E10value_typeEPNSK_ISF_E10value_typeEPSG_NS1_7vsmem_tEENKUlT_SE_SF_SG_E_clIS8_S8_S9_S9_EESD_ST_SE_SF_SG_EUlST_E_NS1_11comp_targetILNS1_3genE5ELNS1_11target_archE942ELNS1_3gpuE9ELNS1_3repE0EEENS1_48merge_mergepath_partition_config_static_selectorELNS0_4arch9wavefront6targetE0EEEvSF_: ; @_ZN7rocprim17ROCPRIM_400000_NS6detail17trampoline_kernelINS0_14default_configENS1_38merge_sort_block_merge_config_selectorIaNS0_10empty_typeEEEZZNS1_27merge_sort_block_merge_implIS3_PaPS5_jNS1_19radix_merge_compareILb0ELb1EaNS0_19identity_decomposerEEEEE10hipError_tT0_T1_T2_jT3_P12ihipStream_tbPNSt15iterator_traitsISE_E10value_typeEPNSK_ISF_E10value_typeEPSG_NS1_7vsmem_tEENKUlT_SE_SF_SG_E_clIS8_S8_S9_S9_EESD_ST_SE_SF_SG_EUlST_E_NS1_11comp_targetILNS1_3genE5ELNS1_11target_archE942ELNS1_3gpuE9ELNS1_3repE0EEENS1_48merge_mergepath_partition_config_static_selectorELNS0_4arch9wavefront6targetE0EEEvSF_
; %bb.0:
	.section	.rodata,"a",@progbits
	.p2align	6, 0x0
	.amdhsa_kernel _ZN7rocprim17ROCPRIM_400000_NS6detail17trampoline_kernelINS0_14default_configENS1_38merge_sort_block_merge_config_selectorIaNS0_10empty_typeEEEZZNS1_27merge_sort_block_merge_implIS3_PaPS5_jNS1_19radix_merge_compareILb0ELb1EaNS0_19identity_decomposerEEEEE10hipError_tT0_T1_T2_jT3_P12ihipStream_tbPNSt15iterator_traitsISE_E10value_typeEPNSK_ISF_E10value_typeEPSG_NS1_7vsmem_tEENKUlT_SE_SF_SG_E_clIS8_S8_S9_S9_EESD_ST_SE_SF_SG_EUlST_E_NS1_11comp_targetILNS1_3genE5ELNS1_11target_archE942ELNS1_3gpuE9ELNS1_3repE0EEENS1_48merge_mergepath_partition_config_static_selectorELNS0_4arch9wavefront6targetE0EEEvSF_
		.amdhsa_group_segment_fixed_size 0
		.amdhsa_private_segment_fixed_size 0
		.amdhsa_kernarg_size 40
		.amdhsa_user_sgpr_count 2
		.amdhsa_user_sgpr_dispatch_ptr 0
		.amdhsa_user_sgpr_queue_ptr 0
		.amdhsa_user_sgpr_kernarg_segment_ptr 1
		.amdhsa_user_sgpr_dispatch_id 0
		.amdhsa_user_sgpr_kernarg_preload_length 0
		.amdhsa_user_sgpr_kernarg_preload_offset 0
		.amdhsa_user_sgpr_private_segment_size 0
		.amdhsa_wavefront_size32 1
		.amdhsa_uses_dynamic_stack 0
		.amdhsa_enable_private_segment 0
		.amdhsa_system_sgpr_workgroup_id_x 1
		.amdhsa_system_sgpr_workgroup_id_y 0
		.amdhsa_system_sgpr_workgroup_id_z 0
		.amdhsa_system_sgpr_workgroup_info 0
		.amdhsa_system_vgpr_workitem_id 0
		.amdhsa_next_free_vgpr 1
		.amdhsa_next_free_sgpr 1
		.amdhsa_named_barrier_count 0
		.amdhsa_reserve_vcc 0
		.amdhsa_float_round_mode_32 0
		.amdhsa_float_round_mode_16_64 0
		.amdhsa_float_denorm_mode_32 3
		.amdhsa_float_denorm_mode_16_64 3
		.amdhsa_fp16_overflow 0
		.amdhsa_memory_ordered 1
		.amdhsa_forward_progress 1
		.amdhsa_inst_pref_size 0
		.amdhsa_round_robin_scheduling 0
		.amdhsa_exception_fp_ieee_invalid_op 0
		.amdhsa_exception_fp_denorm_src 0
		.amdhsa_exception_fp_ieee_div_zero 0
		.amdhsa_exception_fp_ieee_overflow 0
		.amdhsa_exception_fp_ieee_underflow 0
		.amdhsa_exception_fp_ieee_inexact 0
		.amdhsa_exception_int_div_zero 0
	.end_amdhsa_kernel
	.section	.text._ZN7rocprim17ROCPRIM_400000_NS6detail17trampoline_kernelINS0_14default_configENS1_38merge_sort_block_merge_config_selectorIaNS0_10empty_typeEEEZZNS1_27merge_sort_block_merge_implIS3_PaPS5_jNS1_19radix_merge_compareILb0ELb1EaNS0_19identity_decomposerEEEEE10hipError_tT0_T1_T2_jT3_P12ihipStream_tbPNSt15iterator_traitsISE_E10value_typeEPNSK_ISF_E10value_typeEPSG_NS1_7vsmem_tEENKUlT_SE_SF_SG_E_clIS8_S8_S9_S9_EESD_ST_SE_SF_SG_EUlST_E_NS1_11comp_targetILNS1_3genE5ELNS1_11target_archE942ELNS1_3gpuE9ELNS1_3repE0EEENS1_48merge_mergepath_partition_config_static_selectorELNS0_4arch9wavefront6targetE0EEEvSF_,"axG",@progbits,_ZN7rocprim17ROCPRIM_400000_NS6detail17trampoline_kernelINS0_14default_configENS1_38merge_sort_block_merge_config_selectorIaNS0_10empty_typeEEEZZNS1_27merge_sort_block_merge_implIS3_PaPS5_jNS1_19radix_merge_compareILb0ELb1EaNS0_19identity_decomposerEEEEE10hipError_tT0_T1_T2_jT3_P12ihipStream_tbPNSt15iterator_traitsISE_E10value_typeEPNSK_ISF_E10value_typeEPSG_NS1_7vsmem_tEENKUlT_SE_SF_SG_E_clIS8_S8_S9_S9_EESD_ST_SE_SF_SG_EUlST_E_NS1_11comp_targetILNS1_3genE5ELNS1_11target_archE942ELNS1_3gpuE9ELNS1_3repE0EEENS1_48merge_mergepath_partition_config_static_selectorELNS0_4arch9wavefront6targetE0EEEvSF_,comdat
.Lfunc_end426:
	.size	_ZN7rocprim17ROCPRIM_400000_NS6detail17trampoline_kernelINS0_14default_configENS1_38merge_sort_block_merge_config_selectorIaNS0_10empty_typeEEEZZNS1_27merge_sort_block_merge_implIS3_PaPS5_jNS1_19radix_merge_compareILb0ELb1EaNS0_19identity_decomposerEEEEE10hipError_tT0_T1_T2_jT3_P12ihipStream_tbPNSt15iterator_traitsISE_E10value_typeEPNSK_ISF_E10value_typeEPSG_NS1_7vsmem_tEENKUlT_SE_SF_SG_E_clIS8_S8_S9_S9_EESD_ST_SE_SF_SG_EUlST_E_NS1_11comp_targetILNS1_3genE5ELNS1_11target_archE942ELNS1_3gpuE9ELNS1_3repE0EEENS1_48merge_mergepath_partition_config_static_selectorELNS0_4arch9wavefront6targetE0EEEvSF_, .Lfunc_end426-_ZN7rocprim17ROCPRIM_400000_NS6detail17trampoline_kernelINS0_14default_configENS1_38merge_sort_block_merge_config_selectorIaNS0_10empty_typeEEEZZNS1_27merge_sort_block_merge_implIS3_PaPS5_jNS1_19radix_merge_compareILb0ELb1EaNS0_19identity_decomposerEEEEE10hipError_tT0_T1_T2_jT3_P12ihipStream_tbPNSt15iterator_traitsISE_E10value_typeEPNSK_ISF_E10value_typeEPSG_NS1_7vsmem_tEENKUlT_SE_SF_SG_E_clIS8_S8_S9_S9_EESD_ST_SE_SF_SG_EUlST_E_NS1_11comp_targetILNS1_3genE5ELNS1_11target_archE942ELNS1_3gpuE9ELNS1_3repE0EEENS1_48merge_mergepath_partition_config_static_selectorELNS0_4arch9wavefront6targetE0EEEvSF_
                                        ; -- End function
	.set _ZN7rocprim17ROCPRIM_400000_NS6detail17trampoline_kernelINS0_14default_configENS1_38merge_sort_block_merge_config_selectorIaNS0_10empty_typeEEEZZNS1_27merge_sort_block_merge_implIS3_PaPS5_jNS1_19radix_merge_compareILb0ELb1EaNS0_19identity_decomposerEEEEE10hipError_tT0_T1_T2_jT3_P12ihipStream_tbPNSt15iterator_traitsISE_E10value_typeEPNSK_ISF_E10value_typeEPSG_NS1_7vsmem_tEENKUlT_SE_SF_SG_E_clIS8_S8_S9_S9_EESD_ST_SE_SF_SG_EUlST_E_NS1_11comp_targetILNS1_3genE5ELNS1_11target_archE942ELNS1_3gpuE9ELNS1_3repE0EEENS1_48merge_mergepath_partition_config_static_selectorELNS0_4arch9wavefront6targetE0EEEvSF_.num_vgpr, 0
	.set _ZN7rocprim17ROCPRIM_400000_NS6detail17trampoline_kernelINS0_14default_configENS1_38merge_sort_block_merge_config_selectorIaNS0_10empty_typeEEEZZNS1_27merge_sort_block_merge_implIS3_PaPS5_jNS1_19radix_merge_compareILb0ELb1EaNS0_19identity_decomposerEEEEE10hipError_tT0_T1_T2_jT3_P12ihipStream_tbPNSt15iterator_traitsISE_E10value_typeEPNSK_ISF_E10value_typeEPSG_NS1_7vsmem_tEENKUlT_SE_SF_SG_E_clIS8_S8_S9_S9_EESD_ST_SE_SF_SG_EUlST_E_NS1_11comp_targetILNS1_3genE5ELNS1_11target_archE942ELNS1_3gpuE9ELNS1_3repE0EEENS1_48merge_mergepath_partition_config_static_selectorELNS0_4arch9wavefront6targetE0EEEvSF_.num_agpr, 0
	.set _ZN7rocprim17ROCPRIM_400000_NS6detail17trampoline_kernelINS0_14default_configENS1_38merge_sort_block_merge_config_selectorIaNS0_10empty_typeEEEZZNS1_27merge_sort_block_merge_implIS3_PaPS5_jNS1_19radix_merge_compareILb0ELb1EaNS0_19identity_decomposerEEEEE10hipError_tT0_T1_T2_jT3_P12ihipStream_tbPNSt15iterator_traitsISE_E10value_typeEPNSK_ISF_E10value_typeEPSG_NS1_7vsmem_tEENKUlT_SE_SF_SG_E_clIS8_S8_S9_S9_EESD_ST_SE_SF_SG_EUlST_E_NS1_11comp_targetILNS1_3genE5ELNS1_11target_archE942ELNS1_3gpuE9ELNS1_3repE0EEENS1_48merge_mergepath_partition_config_static_selectorELNS0_4arch9wavefront6targetE0EEEvSF_.numbered_sgpr, 0
	.set _ZN7rocprim17ROCPRIM_400000_NS6detail17trampoline_kernelINS0_14default_configENS1_38merge_sort_block_merge_config_selectorIaNS0_10empty_typeEEEZZNS1_27merge_sort_block_merge_implIS3_PaPS5_jNS1_19radix_merge_compareILb0ELb1EaNS0_19identity_decomposerEEEEE10hipError_tT0_T1_T2_jT3_P12ihipStream_tbPNSt15iterator_traitsISE_E10value_typeEPNSK_ISF_E10value_typeEPSG_NS1_7vsmem_tEENKUlT_SE_SF_SG_E_clIS8_S8_S9_S9_EESD_ST_SE_SF_SG_EUlST_E_NS1_11comp_targetILNS1_3genE5ELNS1_11target_archE942ELNS1_3gpuE9ELNS1_3repE0EEENS1_48merge_mergepath_partition_config_static_selectorELNS0_4arch9wavefront6targetE0EEEvSF_.num_named_barrier, 0
	.set _ZN7rocprim17ROCPRIM_400000_NS6detail17trampoline_kernelINS0_14default_configENS1_38merge_sort_block_merge_config_selectorIaNS0_10empty_typeEEEZZNS1_27merge_sort_block_merge_implIS3_PaPS5_jNS1_19radix_merge_compareILb0ELb1EaNS0_19identity_decomposerEEEEE10hipError_tT0_T1_T2_jT3_P12ihipStream_tbPNSt15iterator_traitsISE_E10value_typeEPNSK_ISF_E10value_typeEPSG_NS1_7vsmem_tEENKUlT_SE_SF_SG_E_clIS8_S8_S9_S9_EESD_ST_SE_SF_SG_EUlST_E_NS1_11comp_targetILNS1_3genE5ELNS1_11target_archE942ELNS1_3gpuE9ELNS1_3repE0EEENS1_48merge_mergepath_partition_config_static_selectorELNS0_4arch9wavefront6targetE0EEEvSF_.private_seg_size, 0
	.set _ZN7rocprim17ROCPRIM_400000_NS6detail17trampoline_kernelINS0_14default_configENS1_38merge_sort_block_merge_config_selectorIaNS0_10empty_typeEEEZZNS1_27merge_sort_block_merge_implIS3_PaPS5_jNS1_19radix_merge_compareILb0ELb1EaNS0_19identity_decomposerEEEEE10hipError_tT0_T1_T2_jT3_P12ihipStream_tbPNSt15iterator_traitsISE_E10value_typeEPNSK_ISF_E10value_typeEPSG_NS1_7vsmem_tEENKUlT_SE_SF_SG_E_clIS8_S8_S9_S9_EESD_ST_SE_SF_SG_EUlST_E_NS1_11comp_targetILNS1_3genE5ELNS1_11target_archE942ELNS1_3gpuE9ELNS1_3repE0EEENS1_48merge_mergepath_partition_config_static_selectorELNS0_4arch9wavefront6targetE0EEEvSF_.uses_vcc, 0
	.set _ZN7rocprim17ROCPRIM_400000_NS6detail17trampoline_kernelINS0_14default_configENS1_38merge_sort_block_merge_config_selectorIaNS0_10empty_typeEEEZZNS1_27merge_sort_block_merge_implIS3_PaPS5_jNS1_19radix_merge_compareILb0ELb1EaNS0_19identity_decomposerEEEEE10hipError_tT0_T1_T2_jT3_P12ihipStream_tbPNSt15iterator_traitsISE_E10value_typeEPNSK_ISF_E10value_typeEPSG_NS1_7vsmem_tEENKUlT_SE_SF_SG_E_clIS8_S8_S9_S9_EESD_ST_SE_SF_SG_EUlST_E_NS1_11comp_targetILNS1_3genE5ELNS1_11target_archE942ELNS1_3gpuE9ELNS1_3repE0EEENS1_48merge_mergepath_partition_config_static_selectorELNS0_4arch9wavefront6targetE0EEEvSF_.uses_flat_scratch, 0
	.set _ZN7rocprim17ROCPRIM_400000_NS6detail17trampoline_kernelINS0_14default_configENS1_38merge_sort_block_merge_config_selectorIaNS0_10empty_typeEEEZZNS1_27merge_sort_block_merge_implIS3_PaPS5_jNS1_19radix_merge_compareILb0ELb1EaNS0_19identity_decomposerEEEEE10hipError_tT0_T1_T2_jT3_P12ihipStream_tbPNSt15iterator_traitsISE_E10value_typeEPNSK_ISF_E10value_typeEPSG_NS1_7vsmem_tEENKUlT_SE_SF_SG_E_clIS8_S8_S9_S9_EESD_ST_SE_SF_SG_EUlST_E_NS1_11comp_targetILNS1_3genE5ELNS1_11target_archE942ELNS1_3gpuE9ELNS1_3repE0EEENS1_48merge_mergepath_partition_config_static_selectorELNS0_4arch9wavefront6targetE0EEEvSF_.has_dyn_sized_stack, 0
	.set _ZN7rocprim17ROCPRIM_400000_NS6detail17trampoline_kernelINS0_14default_configENS1_38merge_sort_block_merge_config_selectorIaNS0_10empty_typeEEEZZNS1_27merge_sort_block_merge_implIS3_PaPS5_jNS1_19radix_merge_compareILb0ELb1EaNS0_19identity_decomposerEEEEE10hipError_tT0_T1_T2_jT3_P12ihipStream_tbPNSt15iterator_traitsISE_E10value_typeEPNSK_ISF_E10value_typeEPSG_NS1_7vsmem_tEENKUlT_SE_SF_SG_E_clIS8_S8_S9_S9_EESD_ST_SE_SF_SG_EUlST_E_NS1_11comp_targetILNS1_3genE5ELNS1_11target_archE942ELNS1_3gpuE9ELNS1_3repE0EEENS1_48merge_mergepath_partition_config_static_selectorELNS0_4arch9wavefront6targetE0EEEvSF_.has_recursion, 0
	.set _ZN7rocprim17ROCPRIM_400000_NS6detail17trampoline_kernelINS0_14default_configENS1_38merge_sort_block_merge_config_selectorIaNS0_10empty_typeEEEZZNS1_27merge_sort_block_merge_implIS3_PaPS5_jNS1_19radix_merge_compareILb0ELb1EaNS0_19identity_decomposerEEEEE10hipError_tT0_T1_T2_jT3_P12ihipStream_tbPNSt15iterator_traitsISE_E10value_typeEPNSK_ISF_E10value_typeEPSG_NS1_7vsmem_tEENKUlT_SE_SF_SG_E_clIS8_S8_S9_S9_EESD_ST_SE_SF_SG_EUlST_E_NS1_11comp_targetILNS1_3genE5ELNS1_11target_archE942ELNS1_3gpuE9ELNS1_3repE0EEENS1_48merge_mergepath_partition_config_static_selectorELNS0_4arch9wavefront6targetE0EEEvSF_.has_indirect_call, 0
	.section	.AMDGPU.csdata,"",@progbits
; Kernel info:
; codeLenInByte = 0
; TotalNumSgprs: 0
; NumVgprs: 0
; ScratchSize: 0
; MemoryBound: 0
; FloatMode: 240
; IeeeMode: 1
; LDSByteSize: 0 bytes/workgroup (compile time only)
; SGPRBlocks: 0
; VGPRBlocks: 0
; NumSGPRsForWavesPerEU: 1
; NumVGPRsForWavesPerEU: 1
; NamedBarCnt: 0
; Occupancy: 16
; WaveLimiterHint : 0
; COMPUTE_PGM_RSRC2:SCRATCH_EN: 0
; COMPUTE_PGM_RSRC2:USER_SGPR: 2
; COMPUTE_PGM_RSRC2:TRAP_HANDLER: 0
; COMPUTE_PGM_RSRC2:TGID_X_EN: 1
; COMPUTE_PGM_RSRC2:TGID_Y_EN: 0
; COMPUTE_PGM_RSRC2:TGID_Z_EN: 0
; COMPUTE_PGM_RSRC2:TIDIG_COMP_CNT: 0
	.section	.text._ZN7rocprim17ROCPRIM_400000_NS6detail17trampoline_kernelINS0_14default_configENS1_38merge_sort_block_merge_config_selectorIaNS0_10empty_typeEEEZZNS1_27merge_sort_block_merge_implIS3_PaPS5_jNS1_19radix_merge_compareILb0ELb1EaNS0_19identity_decomposerEEEEE10hipError_tT0_T1_T2_jT3_P12ihipStream_tbPNSt15iterator_traitsISE_E10value_typeEPNSK_ISF_E10value_typeEPSG_NS1_7vsmem_tEENKUlT_SE_SF_SG_E_clIS8_S8_S9_S9_EESD_ST_SE_SF_SG_EUlST_E_NS1_11comp_targetILNS1_3genE4ELNS1_11target_archE910ELNS1_3gpuE8ELNS1_3repE0EEENS1_48merge_mergepath_partition_config_static_selectorELNS0_4arch9wavefront6targetE0EEEvSF_,"axG",@progbits,_ZN7rocprim17ROCPRIM_400000_NS6detail17trampoline_kernelINS0_14default_configENS1_38merge_sort_block_merge_config_selectorIaNS0_10empty_typeEEEZZNS1_27merge_sort_block_merge_implIS3_PaPS5_jNS1_19radix_merge_compareILb0ELb1EaNS0_19identity_decomposerEEEEE10hipError_tT0_T1_T2_jT3_P12ihipStream_tbPNSt15iterator_traitsISE_E10value_typeEPNSK_ISF_E10value_typeEPSG_NS1_7vsmem_tEENKUlT_SE_SF_SG_E_clIS8_S8_S9_S9_EESD_ST_SE_SF_SG_EUlST_E_NS1_11comp_targetILNS1_3genE4ELNS1_11target_archE910ELNS1_3gpuE8ELNS1_3repE0EEENS1_48merge_mergepath_partition_config_static_selectorELNS0_4arch9wavefront6targetE0EEEvSF_,comdat
	.protected	_ZN7rocprim17ROCPRIM_400000_NS6detail17trampoline_kernelINS0_14default_configENS1_38merge_sort_block_merge_config_selectorIaNS0_10empty_typeEEEZZNS1_27merge_sort_block_merge_implIS3_PaPS5_jNS1_19radix_merge_compareILb0ELb1EaNS0_19identity_decomposerEEEEE10hipError_tT0_T1_T2_jT3_P12ihipStream_tbPNSt15iterator_traitsISE_E10value_typeEPNSK_ISF_E10value_typeEPSG_NS1_7vsmem_tEENKUlT_SE_SF_SG_E_clIS8_S8_S9_S9_EESD_ST_SE_SF_SG_EUlST_E_NS1_11comp_targetILNS1_3genE4ELNS1_11target_archE910ELNS1_3gpuE8ELNS1_3repE0EEENS1_48merge_mergepath_partition_config_static_selectorELNS0_4arch9wavefront6targetE0EEEvSF_ ; -- Begin function _ZN7rocprim17ROCPRIM_400000_NS6detail17trampoline_kernelINS0_14default_configENS1_38merge_sort_block_merge_config_selectorIaNS0_10empty_typeEEEZZNS1_27merge_sort_block_merge_implIS3_PaPS5_jNS1_19radix_merge_compareILb0ELb1EaNS0_19identity_decomposerEEEEE10hipError_tT0_T1_T2_jT3_P12ihipStream_tbPNSt15iterator_traitsISE_E10value_typeEPNSK_ISF_E10value_typeEPSG_NS1_7vsmem_tEENKUlT_SE_SF_SG_E_clIS8_S8_S9_S9_EESD_ST_SE_SF_SG_EUlST_E_NS1_11comp_targetILNS1_3genE4ELNS1_11target_archE910ELNS1_3gpuE8ELNS1_3repE0EEENS1_48merge_mergepath_partition_config_static_selectorELNS0_4arch9wavefront6targetE0EEEvSF_
	.globl	_ZN7rocprim17ROCPRIM_400000_NS6detail17trampoline_kernelINS0_14default_configENS1_38merge_sort_block_merge_config_selectorIaNS0_10empty_typeEEEZZNS1_27merge_sort_block_merge_implIS3_PaPS5_jNS1_19radix_merge_compareILb0ELb1EaNS0_19identity_decomposerEEEEE10hipError_tT0_T1_T2_jT3_P12ihipStream_tbPNSt15iterator_traitsISE_E10value_typeEPNSK_ISF_E10value_typeEPSG_NS1_7vsmem_tEENKUlT_SE_SF_SG_E_clIS8_S8_S9_S9_EESD_ST_SE_SF_SG_EUlST_E_NS1_11comp_targetILNS1_3genE4ELNS1_11target_archE910ELNS1_3gpuE8ELNS1_3repE0EEENS1_48merge_mergepath_partition_config_static_selectorELNS0_4arch9wavefront6targetE0EEEvSF_
	.p2align	8
	.type	_ZN7rocprim17ROCPRIM_400000_NS6detail17trampoline_kernelINS0_14default_configENS1_38merge_sort_block_merge_config_selectorIaNS0_10empty_typeEEEZZNS1_27merge_sort_block_merge_implIS3_PaPS5_jNS1_19radix_merge_compareILb0ELb1EaNS0_19identity_decomposerEEEEE10hipError_tT0_T1_T2_jT3_P12ihipStream_tbPNSt15iterator_traitsISE_E10value_typeEPNSK_ISF_E10value_typeEPSG_NS1_7vsmem_tEENKUlT_SE_SF_SG_E_clIS8_S8_S9_S9_EESD_ST_SE_SF_SG_EUlST_E_NS1_11comp_targetILNS1_3genE4ELNS1_11target_archE910ELNS1_3gpuE8ELNS1_3repE0EEENS1_48merge_mergepath_partition_config_static_selectorELNS0_4arch9wavefront6targetE0EEEvSF_,@function
_ZN7rocprim17ROCPRIM_400000_NS6detail17trampoline_kernelINS0_14default_configENS1_38merge_sort_block_merge_config_selectorIaNS0_10empty_typeEEEZZNS1_27merge_sort_block_merge_implIS3_PaPS5_jNS1_19radix_merge_compareILb0ELb1EaNS0_19identity_decomposerEEEEE10hipError_tT0_T1_T2_jT3_P12ihipStream_tbPNSt15iterator_traitsISE_E10value_typeEPNSK_ISF_E10value_typeEPSG_NS1_7vsmem_tEENKUlT_SE_SF_SG_E_clIS8_S8_S9_S9_EESD_ST_SE_SF_SG_EUlST_E_NS1_11comp_targetILNS1_3genE4ELNS1_11target_archE910ELNS1_3gpuE8ELNS1_3repE0EEENS1_48merge_mergepath_partition_config_static_selectorELNS0_4arch9wavefront6targetE0EEEvSF_: ; @_ZN7rocprim17ROCPRIM_400000_NS6detail17trampoline_kernelINS0_14default_configENS1_38merge_sort_block_merge_config_selectorIaNS0_10empty_typeEEEZZNS1_27merge_sort_block_merge_implIS3_PaPS5_jNS1_19radix_merge_compareILb0ELb1EaNS0_19identity_decomposerEEEEE10hipError_tT0_T1_T2_jT3_P12ihipStream_tbPNSt15iterator_traitsISE_E10value_typeEPNSK_ISF_E10value_typeEPSG_NS1_7vsmem_tEENKUlT_SE_SF_SG_E_clIS8_S8_S9_S9_EESD_ST_SE_SF_SG_EUlST_E_NS1_11comp_targetILNS1_3genE4ELNS1_11target_archE910ELNS1_3gpuE8ELNS1_3repE0EEENS1_48merge_mergepath_partition_config_static_selectorELNS0_4arch9wavefront6targetE0EEEvSF_
; %bb.0:
	.section	.rodata,"a",@progbits
	.p2align	6, 0x0
	.amdhsa_kernel _ZN7rocprim17ROCPRIM_400000_NS6detail17trampoline_kernelINS0_14default_configENS1_38merge_sort_block_merge_config_selectorIaNS0_10empty_typeEEEZZNS1_27merge_sort_block_merge_implIS3_PaPS5_jNS1_19radix_merge_compareILb0ELb1EaNS0_19identity_decomposerEEEEE10hipError_tT0_T1_T2_jT3_P12ihipStream_tbPNSt15iterator_traitsISE_E10value_typeEPNSK_ISF_E10value_typeEPSG_NS1_7vsmem_tEENKUlT_SE_SF_SG_E_clIS8_S8_S9_S9_EESD_ST_SE_SF_SG_EUlST_E_NS1_11comp_targetILNS1_3genE4ELNS1_11target_archE910ELNS1_3gpuE8ELNS1_3repE0EEENS1_48merge_mergepath_partition_config_static_selectorELNS0_4arch9wavefront6targetE0EEEvSF_
		.amdhsa_group_segment_fixed_size 0
		.amdhsa_private_segment_fixed_size 0
		.amdhsa_kernarg_size 40
		.amdhsa_user_sgpr_count 2
		.amdhsa_user_sgpr_dispatch_ptr 0
		.amdhsa_user_sgpr_queue_ptr 0
		.amdhsa_user_sgpr_kernarg_segment_ptr 1
		.amdhsa_user_sgpr_dispatch_id 0
		.amdhsa_user_sgpr_kernarg_preload_length 0
		.amdhsa_user_sgpr_kernarg_preload_offset 0
		.amdhsa_user_sgpr_private_segment_size 0
		.amdhsa_wavefront_size32 1
		.amdhsa_uses_dynamic_stack 0
		.amdhsa_enable_private_segment 0
		.amdhsa_system_sgpr_workgroup_id_x 1
		.amdhsa_system_sgpr_workgroup_id_y 0
		.amdhsa_system_sgpr_workgroup_id_z 0
		.amdhsa_system_sgpr_workgroup_info 0
		.amdhsa_system_vgpr_workitem_id 0
		.amdhsa_next_free_vgpr 1
		.amdhsa_next_free_sgpr 1
		.amdhsa_named_barrier_count 0
		.amdhsa_reserve_vcc 0
		.amdhsa_float_round_mode_32 0
		.amdhsa_float_round_mode_16_64 0
		.amdhsa_float_denorm_mode_32 3
		.amdhsa_float_denorm_mode_16_64 3
		.amdhsa_fp16_overflow 0
		.amdhsa_memory_ordered 1
		.amdhsa_forward_progress 1
		.amdhsa_inst_pref_size 0
		.amdhsa_round_robin_scheduling 0
		.amdhsa_exception_fp_ieee_invalid_op 0
		.amdhsa_exception_fp_denorm_src 0
		.amdhsa_exception_fp_ieee_div_zero 0
		.amdhsa_exception_fp_ieee_overflow 0
		.amdhsa_exception_fp_ieee_underflow 0
		.amdhsa_exception_fp_ieee_inexact 0
		.amdhsa_exception_int_div_zero 0
	.end_amdhsa_kernel
	.section	.text._ZN7rocprim17ROCPRIM_400000_NS6detail17trampoline_kernelINS0_14default_configENS1_38merge_sort_block_merge_config_selectorIaNS0_10empty_typeEEEZZNS1_27merge_sort_block_merge_implIS3_PaPS5_jNS1_19radix_merge_compareILb0ELb1EaNS0_19identity_decomposerEEEEE10hipError_tT0_T1_T2_jT3_P12ihipStream_tbPNSt15iterator_traitsISE_E10value_typeEPNSK_ISF_E10value_typeEPSG_NS1_7vsmem_tEENKUlT_SE_SF_SG_E_clIS8_S8_S9_S9_EESD_ST_SE_SF_SG_EUlST_E_NS1_11comp_targetILNS1_3genE4ELNS1_11target_archE910ELNS1_3gpuE8ELNS1_3repE0EEENS1_48merge_mergepath_partition_config_static_selectorELNS0_4arch9wavefront6targetE0EEEvSF_,"axG",@progbits,_ZN7rocprim17ROCPRIM_400000_NS6detail17trampoline_kernelINS0_14default_configENS1_38merge_sort_block_merge_config_selectorIaNS0_10empty_typeEEEZZNS1_27merge_sort_block_merge_implIS3_PaPS5_jNS1_19radix_merge_compareILb0ELb1EaNS0_19identity_decomposerEEEEE10hipError_tT0_T1_T2_jT3_P12ihipStream_tbPNSt15iterator_traitsISE_E10value_typeEPNSK_ISF_E10value_typeEPSG_NS1_7vsmem_tEENKUlT_SE_SF_SG_E_clIS8_S8_S9_S9_EESD_ST_SE_SF_SG_EUlST_E_NS1_11comp_targetILNS1_3genE4ELNS1_11target_archE910ELNS1_3gpuE8ELNS1_3repE0EEENS1_48merge_mergepath_partition_config_static_selectorELNS0_4arch9wavefront6targetE0EEEvSF_,comdat
.Lfunc_end427:
	.size	_ZN7rocprim17ROCPRIM_400000_NS6detail17trampoline_kernelINS0_14default_configENS1_38merge_sort_block_merge_config_selectorIaNS0_10empty_typeEEEZZNS1_27merge_sort_block_merge_implIS3_PaPS5_jNS1_19radix_merge_compareILb0ELb1EaNS0_19identity_decomposerEEEEE10hipError_tT0_T1_T2_jT3_P12ihipStream_tbPNSt15iterator_traitsISE_E10value_typeEPNSK_ISF_E10value_typeEPSG_NS1_7vsmem_tEENKUlT_SE_SF_SG_E_clIS8_S8_S9_S9_EESD_ST_SE_SF_SG_EUlST_E_NS1_11comp_targetILNS1_3genE4ELNS1_11target_archE910ELNS1_3gpuE8ELNS1_3repE0EEENS1_48merge_mergepath_partition_config_static_selectorELNS0_4arch9wavefront6targetE0EEEvSF_, .Lfunc_end427-_ZN7rocprim17ROCPRIM_400000_NS6detail17trampoline_kernelINS0_14default_configENS1_38merge_sort_block_merge_config_selectorIaNS0_10empty_typeEEEZZNS1_27merge_sort_block_merge_implIS3_PaPS5_jNS1_19radix_merge_compareILb0ELb1EaNS0_19identity_decomposerEEEEE10hipError_tT0_T1_T2_jT3_P12ihipStream_tbPNSt15iterator_traitsISE_E10value_typeEPNSK_ISF_E10value_typeEPSG_NS1_7vsmem_tEENKUlT_SE_SF_SG_E_clIS8_S8_S9_S9_EESD_ST_SE_SF_SG_EUlST_E_NS1_11comp_targetILNS1_3genE4ELNS1_11target_archE910ELNS1_3gpuE8ELNS1_3repE0EEENS1_48merge_mergepath_partition_config_static_selectorELNS0_4arch9wavefront6targetE0EEEvSF_
                                        ; -- End function
	.set _ZN7rocprim17ROCPRIM_400000_NS6detail17trampoline_kernelINS0_14default_configENS1_38merge_sort_block_merge_config_selectorIaNS0_10empty_typeEEEZZNS1_27merge_sort_block_merge_implIS3_PaPS5_jNS1_19radix_merge_compareILb0ELb1EaNS0_19identity_decomposerEEEEE10hipError_tT0_T1_T2_jT3_P12ihipStream_tbPNSt15iterator_traitsISE_E10value_typeEPNSK_ISF_E10value_typeEPSG_NS1_7vsmem_tEENKUlT_SE_SF_SG_E_clIS8_S8_S9_S9_EESD_ST_SE_SF_SG_EUlST_E_NS1_11comp_targetILNS1_3genE4ELNS1_11target_archE910ELNS1_3gpuE8ELNS1_3repE0EEENS1_48merge_mergepath_partition_config_static_selectorELNS0_4arch9wavefront6targetE0EEEvSF_.num_vgpr, 0
	.set _ZN7rocprim17ROCPRIM_400000_NS6detail17trampoline_kernelINS0_14default_configENS1_38merge_sort_block_merge_config_selectorIaNS0_10empty_typeEEEZZNS1_27merge_sort_block_merge_implIS3_PaPS5_jNS1_19radix_merge_compareILb0ELb1EaNS0_19identity_decomposerEEEEE10hipError_tT0_T1_T2_jT3_P12ihipStream_tbPNSt15iterator_traitsISE_E10value_typeEPNSK_ISF_E10value_typeEPSG_NS1_7vsmem_tEENKUlT_SE_SF_SG_E_clIS8_S8_S9_S9_EESD_ST_SE_SF_SG_EUlST_E_NS1_11comp_targetILNS1_3genE4ELNS1_11target_archE910ELNS1_3gpuE8ELNS1_3repE0EEENS1_48merge_mergepath_partition_config_static_selectorELNS0_4arch9wavefront6targetE0EEEvSF_.num_agpr, 0
	.set _ZN7rocprim17ROCPRIM_400000_NS6detail17trampoline_kernelINS0_14default_configENS1_38merge_sort_block_merge_config_selectorIaNS0_10empty_typeEEEZZNS1_27merge_sort_block_merge_implIS3_PaPS5_jNS1_19radix_merge_compareILb0ELb1EaNS0_19identity_decomposerEEEEE10hipError_tT0_T1_T2_jT3_P12ihipStream_tbPNSt15iterator_traitsISE_E10value_typeEPNSK_ISF_E10value_typeEPSG_NS1_7vsmem_tEENKUlT_SE_SF_SG_E_clIS8_S8_S9_S9_EESD_ST_SE_SF_SG_EUlST_E_NS1_11comp_targetILNS1_3genE4ELNS1_11target_archE910ELNS1_3gpuE8ELNS1_3repE0EEENS1_48merge_mergepath_partition_config_static_selectorELNS0_4arch9wavefront6targetE0EEEvSF_.numbered_sgpr, 0
	.set _ZN7rocprim17ROCPRIM_400000_NS6detail17trampoline_kernelINS0_14default_configENS1_38merge_sort_block_merge_config_selectorIaNS0_10empty_typeEEEZZNS1_27merge_sort_block_merge_implIS3_PaPS5_jNS1_19radix_merge_compareILb0ELb1EaNS0_19identity_decomposerEEEEE10hipError_tT0_T1_T2_jT3_P12ihipStream_tbPNSt15iterator_traitsISE_E10value_typeEPNSK_ISF_E10value_typeEPSG_NS1_7vsmem_tEENKUlT_SE_SF_SG_E_clIS8_S8_S9_S9_EESD_ST_SE_SF_SG_EUlST_E_NS1_11comp_targetILNS1_3genE4ELNS1_11target_archE910ELNS1_3gpuE8ELNS1_3repE0EEENS1_48merge_mergepath_partition_config_static_selectorELNS0_4arch9wavefront6targetE0EEEvSF_.num_named_barrier, 0
	.set _ZN7rocprim17ROCPRIM_400000_NS6detail17trampoline_kernelINS0_14default_configENS1_38merge_sort_block_merge_config_selectorIaNS0_10empty_typeEEEZZNS1_27merge_sort_block_merge_implIS3_PaPS5_jNS1_19radix_merge_compareILb0ELb1EaNS0_19identity_decomposerEEEEE10hipError_tT0_T1_T2_jT3_P12ihipStream_tbPNSt15iterator_traitsISE_E10value_typeEPNSK_ISF_E10value_typeEPSG_NS1_7vsmem_tEENKUlT_SE_SF_SG_E_clIS8_S8_S9_S9_EESD_ST_SE_SF_SG_EUlST_E_NS1_11comp_targetILNS1_3genE4ELNS1_11target_archE910ELNS1_3gpuE8ELNS1_3repE0EEENS1_48merge_mergepath_partition_config_static_selectorELNS0_4arch9wavefront6targetE0EEEvSF_.private_seg_size, 0
	.set _ZN7rocprim17ROCPRIM_400000_NS6detail17trampoline_kernelINS0_14default_configENS1_38merge_sort_block_merge_config_selectorIaNS0_10empty_typeEEEZZNS1_27merge_sort_block_merge_implIS3_PaPS5_jNS1_19radix_merge_compareILb0ELb1EaNS0_19identity_decomposerEEEEE10hipError_tT0_T1_T2_jT3_P12ihipStream_tbPNSt15iterator_traitsISE_E10value_typeEPNSK_ISF_E10value_typeEPSG_NS1_7vsmem_tEENKUlT_SE_SF_SG_E_clIS8_S8_S9_S9_EESD_ST_SE_SF_SG_EUlST_E_NS1_11comp_targetILNS1_3genE4ELNS1_11target_archE910ELNS1_3gpuE8ELNS1_3repE0EEENS1_48merge_mergepath_partition_config_static_selectorELNS0_4arch9wavefront6targetE0EEEvSF_.uses_vcc, 0
	.set _ZN7rocprim17ROCPRIM_400000_NS6detail17trampoline_kernelINS0_14default_configENS1_38merge_sort_block_merge_config_selectorIaNS0_10empty_typeEEEZZNS1_27merge_sort_block_merge_implIS3_PaPS5_jNS1_19radix_merge_compareILb0ELb1EaNS0_19identity_decomposerEEEEE10hipError_tT0_T1_T2_jT3_P12ihipStream_tbPNSt15iterator_traitsISE_E10value_typeEPNSK_ISF_E10value_typeEPSG_NS1_7vsmem_tEENKUlT_SE_SF_SG_E_clIS8_S8_S9_S9_EESD_ST_SE_SF_SG_EUlST_E_NS1_11comp_targetILNS1_3genE4ELNS1_11target_archE910ELNS1_3gpuE8ELNS1_3repE0EEENS1_48merge_mergepath_partition_config_static_selectorELNS0_4arch9wavefront6targetE0EEEvSF_.uses_flat_scratch, 0
	.set _ZN7rocprim17ROCPRIM_400000_NS6detail17trampoline_kernelINS0_14default_configENS1_38merge_sort_block_merge_config_selectorIaNS0_10empty_typeEEEZZNS1_27merge_sort_block_merge_implIS3_PaPS5_jNS1_19radix_merge_compareILb0ELb1EaNS0_19identity_decomposerEEEEE10hipError_tT0_T1_T2_jT3_P12ihipStream_tbPNSt15iterator_traitsISE_E10value_typeEPNSK_ISF_E10value_typeEPSG_NS1_7vsmem_tEENKUlT_SE_SF_SG_E_clIS8_S8_S9_S9_EESD_ST_SE_SF_SG_EUlST_E_NS1_11comp_targetILNS1_3genE4ELNS1_11target_archE910ELNS1_3gpuE8ELNS1_3repE0EEENS1_48merge_mergepath_partition_config_static_selectorELNS0_4arch9wavefront6targetE0EEEvSF_.has_dyn_sized_stack, 0
	.set _ZN7rocprim17ROCPRIM_400000_NS6detail17trampoline_kernelINS0_14default_configENS1_38merge_sort_block_merge_config_selectorIaNS0_10empty_typeEEEZZNS1_27merge_sort_block_merge_implIS3_PaPS5_jNS1_19radix_merge_compareILb0ELb1EaNS0_19identity_decomposerEEEEE10hipError_tT0_T1_T2_jT3_P12ihipStream_tbPNSt15iterator_traitsISE_E10value_typeEPNSK_ISF_E10value_typeEPSG_NS1_7vsmem_tEENKUlT_SE_SF_SG_E_clIS8_S8_S9_S9_EESD_ST_SE_SF_SG_EUlST_E_NS1_11comp_targetILNS1_3genE4ELNS1_11target_archE910ELNS1_3gpuE8ELNS1_3repE0EEENS1_48merge_mergepath_partition_config_static_selectorELNS0_4arch9wavefront6targetE0EEEvSF_.has_recursion, 0
	.set _ZN7rocprim17ROCPRIM_400000_NS6detail17trampoline_kernelINS0_14default_configENS1_38merge_sort_block_merge_config_selectorIaNS0_10empty_typeEEEZZNS1_27merge_sort_block_merge_implIS3_PaPS5_jNS1_19radix_merge_compareILb0ELb1EaNS0_19identity_decomposerEEEEE10hipError_tT0_T1_T2_jT3_P12ihipStream_tbPNSt15iterator_traitsISE_E10value_typeEPNSK_ISF_E10value_typeEPSG_NS1_7vsmem_tEENKUlT_SE_SF_SG_E_clIS8_S8_S9_S9_EESD_ST_SE_SF_SG_EUlST_E_NS1_11comp_targetILNS1_3genE4ELNS1_11target_archE910ELNS1_3gpuE8ELNS1_3repE0EEENS1_48merge_mergepath_partition_config_static_selectorELNS0_4arch9wavefront6targetE0EEEvSF_.has_indirect_call, 0
	.section	.AMDGPU.csdata,"",@progbits
; Kernel info:
; codeLenInByte = 0
; TotalNumSgprs: 0
; NumVgprs: 0
; ScratchSize: 0
; MemoryBound: 0
; FloatMode: 240
; IeeeMode: 1
; LDSByteSize: 0 bytes/workgroup (compile time only)
; SGPRBlocks: 0
; VGPRBlocks: 0
; NumSGPRsForWavesPerEU: 1
; NumVGPRsForWavesPerEU: 1
; NamedBarCnt: 0
; Occupancy: 16
; WaveLimiterHint : 0
; COMPUTE_PGM_RSRC2:SCRATCH_EN: 0
; COMPUTE_PGM_RSRC2:USER_SGPR: 2
; COMPUTE_PGM_RSRC2:TRAP_HANDLER: 0
; COMPUTE_PGM_RSRC2:TGID_X_EN: 1
; COMPUTE_PGM_RSRC2:TGID_Y_EN: 0
; COMPUTE_PGM_RSRC2:TGID_Z_EN: 0
; COMPUTE_PGM_RSRC2:TIDIG_COMP_CNT: 0
	.section	.text._ZN7rocprim17ROCPRIM_400000_NS6detail17trampoline_kernelINS0_14default_configENS1_38merge_sort_block_merge_config_selectorIaNS0_10empty_typeEEEZZNS1_27merge_sort_block_merge_implIS3_PaPS5_jNS1_19radix_merge_compareILb0ELb1EaNS0_19identity_decomposerEEEEE10hipError_tT0_T1_T2_jT3_P12ihipStream_tbPNSt15iterator_traitsISE_E10value_typeEPNSK_ISF_E10value_typeEPSG_NS1_7vsmem_tEENKUlT_SE_SF_SG_E_clIS8_S8_S9_S9_EESD_ST_SE_SF_SG_EUlST_E_NS1_11comp_targetILNS1_3genE3ELNS1_11target_archE908ELNS1_3gpuE7ELNS1_3repE0EEENS1_48merge_mergepath_partition_config_static_selectorELNS0_4arch9wavefront6targetE0EEEvSF_,"axG",@progbits,_ZN7rocprim17ROCPRIM_400000_NS6detail17trampoline_kernelINS0_14default_configENS1_38merge_sort_block_merge_config_selectorIaNS0_10empty_typeEEEZZNS1_27merge_sort_block_merge_implIS3_PaPS5_jNS1_19radix_merge_compareILb0ELb1EaNS0_19identity_decomposerEEEEE10hipError_tT0_T1_T2_jT3_P12ihipStream_tbPNSt15iterator_traitsISE_E10value_typeEPNSK_ISF_E10value_typeEPSG_NS1_7vsmem_tEENKUlT_SE_SF_SG_E_clIS8_S8_S9_S9_EESD_ST_SE_SF_SG_EUlST_E_NS1_11comp_targetILNS1_3genE3ELNS1_11target_archE908ELNS1_3gpuE7ELNS1_3repE0EEENS1_48merge_mergepath_partition_config_static_selectorELNS0_4arch9wavefront6targetE0EEEvSF_,comdat
	.protected	_ZN7rocprim17ROCPRIM_400000_NS6detail17trampoline_kernelINS0_14default_configENS1_38merge_sort_block_merge_config_selectorIaNS0_10empty_typeEEEZZNS1_27merge_sort_block_merge_implIS3_PaPS5_jNS1_19radix_merge_compareILb0ELb1EaNS0_19identity_decomposerEEEEE10hipError_tT0_T1_T2_jT3_P12ihipStream_tbPNSt15iterator_traitsISE_E10value_typeEPNSK_ISF_E10value_typeEPSG_NS1_7vsmem_tEENKUlT_SE_SF_SG_E_clIS8_S8_S9_S9_EESD_ST_SE_SF_SG_EUlST_E_NS1_11comp_targetILNS1_3genE3ELNS1_11target_archE908ELNS1_3gpuE7ELNS1_3repE0EEENS1_48merge_mergepath_partition_config_static_selectorELNS0_4arch9wavefront6targetE0EEEvSF_ ; -- Begin function _ZN7rocprim17ROCPRIM_400000_NS6detail17trampoline_kernelINS0_14default_configENS1_38merge_sort_block_merge_config_selectorIaNS0_10empty_typeEEEZZNS1_27merge_sort_block_merge_implIS3_PaPS5_jNS1_19radix_merge_compareILb0ELb1EaNS0_19identity_decomposerEEEEE10hipError_tT0_T1_T2_jT3_P12ihipStream_tbPNSt15iterator_traitsISE_E10value_typeEPNSK_ISF_E10value_typeEPSG_NS1_7vsmem_tEENKUlT_SE_SF_SG_E_clIS8_S8_S9_S9_EESD_ST_SE_SF_SG_EUlST_E_NS1_11comp_targetILNS1_3genE3ELNS1_11target_archE908ELNS1_3gpuE7ELNS1_3repE0EEENS1_48merge_mergepath_partition_config_static_selectorELNS0_4arch9wavefront6targetE0EEEvSF_
	.globl	_ZN7rocprim17ROCPRIM_400000_NS6detail17trampoline_kernelINS0_14default_configENS1_38merge_sort_block_merge_config_selectorIaNS0_10empty_typeEEEZZNS1_27merge_sort_block_merge_implIS3_PaPS5_jNS1_19radix_merge_compareILb0ELb1EaNS0_19identity_decomposerEEEEE10hipError_tT0_T1_T2_jT3_P12ihipStream_tbPNSt15iterator_traitsISE_E10value_typeEPNSK_ISF_E10value_typeEPSG_NS1_7vsmem_tEENKUlT_SE_SF_SG_E_clIS8_S8_S9_S9_EESD_ST_SE_SF_SG_EUlST_E_NS1_11comp_targetILNS1_3genE3ELNS1_11target_archE908ELNS1_3gpuE7ELNS1_3repE0EEENS1_48merge_mergepath_partition_config_static_selectorELNS0_4arch9wavefront6targetE0EEEvSF_
	.p2align	8
	.type	_ZN7rocprim17ROCPRIM_400000_NS6detail17trampoline_kernelINS0_14default_configENS1_38merge_sort_block_merge_config_selectorIaNS0_10empty_typeEEEZZNS1_27merge_sort_block_merge_implIS3_PaPS5_jNS1_19radix_merge_compareILb0ELb1EaNS0_19identity_decomposerEEEEE10hipError_tT0_T1_T2_jT3_P12ihipStream_tbPNSt15iterator_traitsISE_E10value_typeEPNSK_ISF_E10value_typeEPSG_NS1_7vsmem_tEENKUlT_SE_SF_SG_E_clIS8_S8_S9_S9_EESD_ST_SE_SF_SG_EUlST_E_NS1_11comp_targetILNS1_3genE3ELNS1_11target_archE908ELNS1_3gpuE7ELNS1_3repE0EEENS1_48merge_mergepath_partition_config_static_selectorELNS0_4arch9wavefront6targetE0EEEvSF_,@function
_ZN7rocprim17ROCPRIM_400000_NS6detail17trampoline_kernelINS0_14default_configENS1_38merge_sort_block_merge_config_selectorIaNS0_10empty_typeEEEZZNS1_27merge_sort_block_merge_implIS3_PaPS5_jNS1_19radix_merge_compareILb0ELb1EaNS0_19identity_decomposerEEEEE10hipError_tT0_T1_T2_jT3_P12ihipStream_tbPNSt15iterator_traitsISE_E10value_typeEPNSK_ISF_E10value_typeEPSG_NS1_7vsmem_tEENKUlT_SE_SF_SG_E_clIS8_S8_S9_S9_EESD_ST_SE_SF_SG_EUlST_E_NS1_11comp_targetILNS1_3genE3ELNS1_11target_archE908ELNS1_3gpuE7ELNS1_3repE0EEENS1_48merge_mergepath_partition_config_static_selectorELNS0_4arch9wavefront6targetE0EEEvSF_: ; @_ZN7rocprim17ROCPRIM_400000_NS6detail17trampoline_kernelINS0_14default_configENS1_38merge_sort_block_merge_config_selectorIaNS0_10empty_typeEEEZZNS1_27merge_sort_block_merge_implIS3_PaPS5_jNS1_19radix_merge_compareILb0ELb1EaNS0_19identity_decomposerEEEEE10hipError_tT0_T1_T2_jT3_P12ihipStream_tbPNSt15iterator_traitsISE_E10value_typeEPNSK_ISF_E10value_typeEPSG_NS1_7vsmem_tEENKUlT_SE_SF_SG_E_clIS8_S8_S9_S9_EESD_ST_SE_SF_SG_EUlST_E_NS1_11comp_targetILNS1_3genE3ELNS1_11target_archE908ELNS1_3gpuE7ELNS1_3repE0EEENS1_48merge_mergepath_partition_config_static_selectorELNS0_4arch9wavefront6targetE0EEEvSF_
; %bb.0:
	.section	.rodata,"a",@progbits
	.p2align	6, 0x0
	.amdhsa_kernel _ZN7rocprim17ROCPRIM_400000_NS6detail17trampoline_kernelINS0_14default_configENS1_38merge_sort_block_merge_config_selectorIaNS0_10empty_typeEEEZZNS1_27merge_sort_block_merge_implIS3_PaPS5_jNS1_19radix_merge_compareILb0ELb1EaNS0_19identity_decomposerEEEEE10hipError_tT0_T1_T2_jT3_P12ihipStream_tbPNSt15iterator_traitsISE_E10value_typeEPNSK_ISF_E10value_typeEPSG_NS1_7vsmem_tEENKUlT_SE_SF_SG_E_clIS8_S8_S9_S9_EESD_ST_SE_SF_SG_EUlST_E_NS1_11comp_targetILNS1_3genE3ELNS1_11target_archE908ELNS1_3gpuE7ELNS1_3repE0EEENS1_48merge_mergepath_partition_config_static_selectorELNS0_4arch9wavefront6targetE0EEEvSF_
		.amdhsa_group_segment_fixed_size 0
		.amdhsa_private_segment_fixed_size 0
		.amdhsa_kernarg_size 40
		.amdhsa_user_sgpr_count 2
		.amdhsa_user_sgpr_dispatch_ptr 0
		.amdhsa_user_sgpr_queue_ptr 0
		.amdhsa_user_sgpr_kernarg_segment_ptr 1
		.amdhsa_user_sgpr_dispatch_id 0
		.amdhsa_user_sgpr_kernarg_preload_length 0
		.amdhsa_user_sgpr_kernarg_preload_offset 0
		.amdhsa_user_sgpr_private_segment_size 0
		.amdhsa_wavefront_size32 1
		.amdhsa_uses_dynamic_stack 0
		.amdhsa_enable_private_segment 0
		.amdhsa_system_sgpr_workgroup_id_x 1
		.amdhsa_system_sgpr_workgroup_id_y 0
		.amdhsa_system_sgpr_workgroup_id_z 0
		.amdhsa_system_sgpr_workgroup_info 0
		.amdhsa_system_vgpr_workitem_id 0
		.amdhsa_next_free_vgpr 1
		.amdhsa_next_free_sgpr 1
		.amdhsa_named_barrier_count 0
		.amdhsa_reserve_vcc 0
		.amdhsa_float_round_mode_32 0
		.amdhsa_float_round_mode_16_64 0
		.amdhsa_float_denorm_mode_32 3
		.amdhsa_float_denorm_mode_16_64 3
		.amdhsa_fp16_overflow 0
		.amdhsa_memory_ordered 1
		.amdhsa_forward_progress 1
		.amdhsa_inst_pref_size 0
		.amdhsa_round_robin_scheduling 0
		.amdhsa_exception_fp_ieee_invalid_op 0
		.amdhsa_exception_fp_denorm_src 0
		.amdhsa_exception_fp_ieee_div_zero 0
		.amdhsa_exception_fp_ieee_overflow 0
		.amdhsa_exception_fp_ieee_underflow 0
		.amdhsa_exception_fp_ieee_inexact 0
		.amdhsa_exception_int_div_zero 0
	.end_amdhsa_kernel
	.section	.text._ZN7rocprim17ROCPRIM_400000_NS6detail17trampoline_kernelINS0_14default_configENS1_38merge_sort_block_merge_config_selectorIaNS0_10empty_typeEEEZZNS1_27merge_sort_block_merge_implIS3_PaPS5_jNS1_19radix_merge_compareILb0ELb1EaNS0_19identity_decomposerEEEEE10hipError_tT0_T1_T2_jT3_P12ihipStream_tbPNSt15iterator_traitsISE_E10value_typeEPNSK_ISF_E10value_typeEPSG_NS1_7vsmem_tEENKUlT_SE_SF_SG_E_clIS8_S8_S9_S9_EESD_ST_SE_SF_SG_EUlST_E_NS1_11comp_targetILNS1_3genE3ELNS1_11target_archE908ELNS1_3gpuE7ELNS1_3repE0EEENS1_48merge_mergepath_partition_config_static_selectorELNS0_4arch9wavefront6targetE0EEEvSF_,"axG",@progbits,_ZN7rocprim17ROCPRIM_400000_NS6detail17trampoline_kernelINS0_14default_configENS1_38merge_sort_block_merge_config_selectorIaNS0_10empty_typeEEEZZNS1_27merge_sort_block_merge_implIS3_PaPS5_jNS1_19radix_merge_compareILb0ELb1EaNS0_19identity_decomposerEEEEE10hipError_tT0_T1_T2_jT3_P12ihipStream_tbPNSt15iterator_traitsISE_E10value_typeEPNSK_ISF_E10value_typeEPSG_NS1_7vsmem_tEENKUlT_SE_SF_SG_E_clIS8_S8_S9_S9_EESD_ST_SE_SF_SG_EUlST_E_NS1_11comp_targetILNS1_3genE3ELNS1_11target_archE908ELNS1_3gpuE7ELNS1_3repE0EEENS1_48merge_mergepath_partition_config_static_selectorELNS0_4arch9wavefront6targetE0EEEvSF_,comdat
.Lfunc_end428:
	.size	_ZN7rocprim17ROCPRIM_400000_NS6detail17trampoline_kernelINS0_14default_configENS1_38merge_sort_block_merge_config_selectorIaNS0_10empty_typeEEEZZNS1_27merge_sort_block_merge_implIS3_PaPS5_jNS1_19radix_merge_compareILb0ELb1EaNS0_19identity_decomposerEEEEE10hipError_tT0_T1_T2_jT3_P12ihipStream_tbPNSt15iterator_traitsISE_E10value_typeEPNSK_ISF_E10value_typeEPSG_NS1_7vsmem_tEENKUlT_SE_SF_SG_E_clIS8_S8_S9_S9_EESD_ST_SE_SF_SG_EUlST_E_NS1_11comp_targetILNS1_3genE3ELNS1_11target_archE908ELNS1_3gpuE7ELNS1_3repE0EEENS1_48merge_mergepath_partition_config_static_selectorELNS0_4arch9wavefront6targetE0EEEvSF_, .Lfunc_end428-_ZN7rocprim17ROCPRIM_400000_NS6detail17trampoline_kernelINS0_14default_configENS1_38merge_sort_block_merge_config_selectorIaNS0_10empty_typeEEEZZNS1_27merge_sort_block_merge_implIS3_PaPS5_jNS1_19radix_merge_compareILb0ELb1EaNS0_19identity_decomposerEEEEE10hipError_tT0_T1_T2_jT3_P12ihipStream_tbPNSt15iterator_traitsISE_E10value_typeEPNSK_ISF_E10value_typeEPSG_NS1_7vsmem_tEENKUlT_SE_SF_SG_E_clIS8_S8_S9_S9_EESD_ST_SE_SF_SG_EUlST_E_NS1_11comp_targetILNS1_3genE3ELNS1_11target_archE908ELNS1_3gpuE7ELNS1_3repE0EEENS1_48merge_mergepath_partition_config_static_selectorELNS0_4arch9wavefront6targetE0EEEvSF_
                                        ; -- End function
	.set _ZN7rocprim17ROCPRIM_400000_NS6detail17trampoline_kernelINS0_14default_configENS1_38merge_sort_block_merge_config_selectorIaNS0_10empty_typeEEEZZNS1_27merge_sort_block_merge_implIS3_PaPS5_jNS1_19radix_merge_compareILb0ELb1EaNS0_19identity_decomposerEEEEE10hipError_tT0_T1_T2_jT3_P12ihipStream_tbPNSt15iterator_traitsISE_E10value_typeEPNSK_ISF_E10value_typeEPSG_NS1_7vsmem_tEENKUlT_SE_SF_SG_E_clIS8_S8_S9_S9_EESD_ST_SE_SF_SG_EUlST_E_NS1_11comp_targetILNS1_3genE3ELNS1_11target_archE908ELNS1_3gpuE7ELNS1_3repE0EEENS1_48merge_mergepath_partition_config_static_selectorELNS0_4arch9wavefront6targetE0EEEvSF_.num_vgpr, 0
	.set _ZN7rocprim17ROCPRIM_400000_NS6detail17trampoline_kernelINS0_14default_configENS1_38merge_sort_block_merge_config_selectorIaNS0_10empty_typeEEEZZNS1_27merge_sort_block_merge_implIS3_PaPS5_jNS1_19radix_merge_compareILb0ELb1EaNS0_19identity_decomposerEEEEE10hipError_tT0_T1_T2_jT3_P12ihipStream_tbPNSt15iterator_traitsISE_E10value_typeEPNSK_ISF_E10value_typeEPSG_NS1_7vsmem_tEENKUlT_SE_SF_SG_E_clIS8_S8_S9_S9_EESD_ST_SE_SF_SG_EUlST_E_NS1_11comp_targetILNS1_3genE3ELNS1_11target_archE908ELNS1_3gpuE7ELNS1_3repE0EEENS1_48merge_mergepath_partition_config_static_selectorELNS0_4arch9wavefront6targetE0EEEvSF_.num_agpr, 0
	.set _ZN7rocprim17ROCPRIM_400000_NS6detail17trampoline_kernelINS0_14default_configENS1_38merge_sort_block_merge_config_selectorIaNS0_10empty_typeEEEZZNS1_27merge_sort_block_merge_implIS3_PaPS5_jNS1_19radix_merge_compareILb0ELb1EaNS0_19identity_decomposerEEEEE10hipError_tT0_T1_T2_jT3_P12ihipStream_tbPNSt15iterator_traitsISE_E10value_typeEPNSK_ISF_E10value_typeEPSG_NS1_7vsmem_tEENKUlT_SE_SF_SG_E_clIS8_S8_S9_S9_EESD_ST_SE_SF_SG_EUlST_E_NS1_11comp_targetILNS1_3genE3ELNS1_11target_archE908ELNS1_3gpuE7ELNS1_3repE0EEENS1_48merge_mergepath_partition_config_static_selectorELNS0_4arch9wavefront6targetE0EEEvSF_.numbered_sgpr, 0
	.set _ZN7rocprim17ROCPRIM_400000_NS6detail17trampoline_kernelINS0_14default_configENS1_38merge_sort_block_merge_config_selectorIaNS0_10empty_typeEEEZZNS1_27merge_sort_block_merge_implIS3_PaPS5_jNS1_19radix_merge_compareILb0ELb1EaNS0_19identity_decomposerEEEEE10hipError_tT0_T1_T2_jT3_P12ihipStream_tbPNSt15iterator_traitsISE_E10value_typeEPNSK_ISF_E10value_typeEPSG_NS1_7vsmem_tEENKUlT_SE_SF_SG_E_clIS8_S8_S9_S9_EESD_ST_SE_SF_SG_EUlST_E_NS1_11comp_targetILNS1_3genE3ELNS1_11target_archE908ELNS1_3gpuE7ELNS1_3repE0EEENS1_48merge_mergepath_partition_config_static_selectorELNS0_4arch9wavefront6targetE0EEEvSF_.num_named_barrier, 0
	.set _ZN7rocprim17ROCPRIM_400000_NS6detail17trampoline_kernelINS0_14default_configENS1_38merge_sort_block_merge_config_selectorIaNS0_10empty_typeEEEZZNS1_27merge_sort_block_merge_implIS3_PaPS5_jNS1_19radix_merge_compareILb0ELb1EaNS0_19identity_decomposerEEEEE10hipError_tT0_T1_T2_jT3_P12ihipStream_tbPNSt15iterator_traitsISE_E10value_typeEPNSK_ISF_E10value_typeEPSG_NS1_7vsmem_tEENKUlT_SE_SF_SG_E_clIS8_S8_S9_S9_EESD_ST_SE_SF_SG_EUlST_E_NS1_11comp_targetILNS1_3genE3ELNS1_11target_archE908ELNS1_3gpuE7ELNS1_3repE0EEENS1_48merge_mergepath_partition_config_static_selectorELNS0_4arch9wavefront6targetE0EEEvSF_.private_seg_size, 0
	.set _ZN7rocprim17ROCPRIM_400000_NS6detail17trampoline_kernelINS0_14default_configENS1_38merge_sort_block_merge_config_selectorIaNS0_10empty_typeEEEZZNS1_27merge_sort_block_merge_implIS3_PaPS5_jNS1_19radix_merge_compareILb0ELb1EaNS0_19identity_decomposerEEEEE10hipError_tT0_T1_T2_jT3_P12ihipStream_tbPNSt15iterator_traitsISE_E10value_typeEPNSK_ISF_E10value_typeEPSG_NS1_7vsmem_tEENKUlT_SE_SF_SG_E_clIS8_S8_S9_S9_EESD_ST_SE_SF_SG_EUlST_E_NS1_11comp_targetILNS1_3genE3ELNS1_11target_archE908ELNS1_3gpuE7ELNS1_3repE0EEENS1_48merge_mergepath_partition_config_static_selectorELNS0_4arch9wavefront6targetE0EEEvSF_.uses_vcc, 0
	.set _ZN7rocprim17ROCPRIM_400000_NS6detail17trampoline_kernelINS0_14default_configENS1_38merge_sort_block_merge_config_selectorIaNS0_10empty_typeEEEZZNS1_27merge_sort_block_merge_implIS3_PaPS5_jNS1_19radix_merge_compareILb0ELb1EaNS0_19identity_decomposerEEEEE10hipError_tT0_T1_T2_jT3_P12ihipStream_tbPNSt15iterator_traitsISE_E10value_typeEPNSK_ISF_E10value_typeEPSG_NS1_7vsmem_tEENKUlT_SE_SF_SG_E_clIS8_S8_S9_S9_EESD_ST_SE_SF_SG_EUlST_E_NS1_11comp_targetILNS1_3genE3ELNS1_11target_archE908ELNS1_3gpuE7ELNS1_3repE0EEENS1_48merge_mergepath_partition_config_static_selectorELNS0_4arch9wavefront6targetE0EEEvSF_.uses_flat_scratch, 0
	.set _ZN7rocprim17ROCPRIM_400000_NS6detail17trampoline_kernelINS0_14default_configENS1_38merge_sort_block_merge_config_selectorIaNS0_10empty_typeEEEZZNS1_27merge_sort_block_merge_implIS3_PaPS5_jNS1_19radix_merge_compareILb0ELb1EaNS0_19identity_decomposerEEEEE10hipError_tT0_T1_T2_jT3_P12ihipStream_tbPNSt15iterator_traitsISE_E10value_typeEPNSK_ISF_E10value_typeEPSG_NS1_7vsmem_tEENKUlT_SE_SF_SG_E_clIS8_S8_S9_S9_EESD_ST_SE_SF_SG_EUlST_E_NS1_11comp_targetILNS1_3genE3ELNS1_11target_archE908ELNS1_3gpuE7ELNS1_3repE0EEENS1_48merge_mergepath_partition_config_static_selectorELNS0_4arch9wavefront6targetE0EEEvSF_.has_dyn_sized_stack, 0
	.set _ZN7rocprim17ROCPRIM_400000_NS6detail17trampoline_kernelINS0_14default_configENS1_38merge_sort_block_merge_config_selectorIaNS0_10empty_typeEEEZZNS1_27merge_sort_block_merge_implIS3_PaPS5_jNS1_19radix_merge_compareILb0ELb1EaNS0_19identity_decomposerEEEEE10hipError_tT0_T1_T2_jT3_P12ihipStream_tbPNSt15iterator_traitsISE_E10value_typeEPNSK_ISF_E10value_typeEPSG_NS1_7vsmem_tEENKUlT_SE_SF_SG_E_clIS8_S8_S9_S9_EESD_ST_SE_SF_SG_EUlST_E_NS1_11comp_targetILNS1_3genE3ELNS1_11target_archE908ELNS1_3gpuE7ELNS1_3repE0EEENS1_48merge_mergepath_partition_config_static_selectorELNS0_4arch9wavefront6targetE0EEEvSF_.has_recursion, 0
	.set _ZN7rocprim17ROCPRIM_400000_NS6detail17trampoline_kernelINS0_14default_configENS1_38merge_sort_block_merge_config_selectorIaNS0_10empty_typeEEEZZNS1_27merge_sort_block_merge_implIS3_PaPS5_jNS1_19radix_merge_compareILb0ELb1EaNS0_19identity_decomposerEEEEE10hipError_tT0_T1_T2_jT3_P12ihipStream_tbPNSt15iterator_traitsISE_E10value_typeEPNSK_ISF_E10value_typeEPSG_NS1_7vsmem_tEENKUlT_SE_SF_SG_E_clIS8_S8_S9_S9_EESD_ST_SE_SF_SG_EUlST_E_NS1_11comp_targetILNS1_3genE3ELNS1_11target_archE908ELNS1_3gpuE7ELNS1_3repE0EEENS1_48merge_mergepath_partition_config_static_selectorELNS0_4arch9wavefront6targetE0EEEvSF_.has_indirect_call, 0
	.section	.AMDGPU.csdata,"",@progbits
; Kernel info:
; codeLenInByte = 0
; TotalNumSgprs: 0
; NumVgprs: 0
; ScratchSize: 0
; MemoryBound: 0
; FloatMode: 240
; IeeeMode: 1
; LDSByteSize: 0 bytes/workgroup (compile time only)
; SGPRBlocks: 0
; VGPRBlocks: 0
; NumSGPRsForWavesPerEU: 1
; NumVGPRsForWavesPerEU: 1
; NamedBarCnt: 0
; Occupancy: 16
; WaveLimiterHint : 0
; COMPUTE_PGM_RSRC2:SCRATCH_EN: 0
; COMPUTE_PGM_RSRC2:USER_SGPR: 2
; COMPUTE_PGM_RSRC2:TRAP_HANDLER: 0
; COMPUTE_PGM_RSRC2:TGID_X_EN: 1
; COMPUTE_PGM_RSRC2:TGID_Y_EN: 0
; COMPUTE_PGM_RSRC2:TGID_Z_EN: 0
; COMPUTE_PGM_RSRC2:TIDIG_COMP_CNT: 0
	.section	.text._ZN7rocprim17ROCPRIM_400000_NS6detail17trampoline_kernelINS0_14default_configENS1_38merge_sort_block_merge_config_selectorIaNS0_10empty_typeEEEZZNS1_27merge_sort_block_merge_implIS3_PaPS5_jNS1_19radix_merge_compareILb0ELb1EaNS0_19identity_decomposerEEEEE10hipError_tT0_T1_T2_jT3_P12ihipStream_tbPNSt15iterator_traitsISE_E10value_typeEPNSK_ISF_E10value_typeEPSG_NS1_7vsmem_tEENKUlT_SE_SF_SG_E_clIS8_S8_S9_S9_EESD_ST_SE_SF_SG_EUlST_E_NS1_11comp_targetILNS1_3genE2ELNS1_11target_archE906ELNS1_3gpuE6ELNS1_3repE0EEENS1_48merge_mergepath_partition_config_static_selectorELNS0_4arch9wavefront6targetE0EEEvSF_,"axG",@progbits,_ZN7rocprim17ROCPRIM_400000_NS6detail17trampoline_kernelINS0_14default_configENS1_38merge_sort_block_merge_config_selectorIaNS0_10empty_typeEEEZZNS1_27merge_sort_block_merge_implIS3_PaPS5_jNS1_19radix_merge_compareILb0ELb1EaNS0_19identity_decomposerEEEEE10hipError_tT0_T1_T2_jT3_P12ihipStream_tbPNSt15iterator_traitsISE_E10value_typeEPNSK_ISF_E10value_typeEPSG_NS1_7vsmem_tEENKUlT_SE_SF_SG_E_clIS8_S8_S9_S9_EESD_ST_SE_SF_SG_EUlST_E_NS1_11comp_targetILNS1_3genE2ELNS1_11target_archE906ELNS1_3gpuE6ELNS1_3repE0EEENS1_48merge_mergepath_partition_config_static_selectorELNS0_4arch9wavefront6targetE0EEEvSF_,comdat
	.protected	_ZN7rocprim17ROCPRIM_400000_NS6detail17trampoline_kernelINS0_14default_configENS1_38merge_sort_block_merge_config_selectorIaNS0_10empty_typeEEEZZNS1_27merge_sort_block_merge_implIS3_PaPS5_jNS1_19radix_merge_compareILb0ELb1EaNS0_19identity_decomposerEEEEE10hipError_tT0_T1_T2_jT3_P12ihipStream_tbPNSt15iterator_traitsISE_E10value_typeEPNSK_ISF_E10value_typeEPSG_NS1_7vsmem_tEENKUlT_SE_SF_SG_E_clIS8_S8_S9_S9_EESD_ST_SE_SF_SG_EUlST_E_NS1_11comp_targetILNS1_3genE2ELNS1_11target_archE906ELNS1_3gpuE6ELNS1_3repE0EEENS1_48merge_mergepath_partition_config_static_selectorELNS0_4arch9wavefront6targetE0EEEvSF_ ; -- Begin function _ZN7rocprim17ROCPRIM_400000_NS6detail17trampoline_kernelINS0_14default_configENS1_38merge_sort_block_merge_config_selectorIaNS0_10empty_typeEEEZZNS1_27merge_sort_block_merge_implIS3_PaPS5_jNS1_19radix_merge_compareILb0ELb1EaNS0_19identity_decomposerEEEEE10hipError_tT0_T1_T2_jT3_P12ihipStream_tbPNSt15iterator_traitsISE_E10value_typeEPNSK_ISF_E10value_typeEPSG_NS1_7vsmem_tEENKUlT_SE_SF_SG_E_clIS8_S8_S9_S9_EESD_ST_SE_SF_SG_EUlST_E_NS1_11comp_targetILNS1_3genE2ELNS1_11target_archE906ELNS1_3gpuE6ELNS1_3repE0EEENS1_48merge_mergepath_partition_config_static_selectorELNS0_4arch9wavefront6targetE0EEEvSF_
	.globl	_ZN7rocprim17ROCPRIM_400000_NS6detail17trampoline_kernelINS0_14default_configENS1_38merge_sort_block_merge_config_selectorIaNS0_10empty_typeEEEZZNS1_27merge_sort_block_merge_implIS3_PaPS5_jNS1_19radix_merge_compareILb0ELb1EaNS0_19identity_decomposerEEEEE10hipError_tT0_T1_T2_jT3_P12ihipStream_tbPNSt15iterator_traitsISE_E10value_typeEPNSK_ISF_E10value_typeEPSG_NS1_7vsmem_tEENKUlT_SE_SF_SG_E_clIS8_S8_S9_S9_EESD_ST_SE_SF_SG_EUlST_E_NS1_11comp_targetILNS1_3genE2ELNS1_11target_archE906ELNS1_3gpuE6ELNS1_3repE0EEENS1_48merge_mergepath_partition_config_static_selectorELNS0_4arch9wavefront6targetE0EEEvSF_
	.p2align	8
	.type	_ZN7rocprim17ROCPRIM_400000_NS6detail17trampoline_kernelINS0_14default_configENS1_38merge_sort_block_merge_config_selectorIaNS0_10empty_typeEEEZZNS1_27merge_sort_block_merge_implIS3_PaPS5_jNS1_19radix_merge_compareILb0ELb1EaNS0_19identity_decomposerEEEEE10hipError_tT0_T1_T2_jT3_P12ihipStream_tbPNSt15iterator_traitsISE_E10value_typeEPNSK_ISF_E10value_typeEPSG_NS1_7vsmem_tEENKUlT_SE_SF_SG_E_clIS8_S8_S9_S9_EESD_ST_SE_SF_SG_EUlST_E_NS1_11comp_targetILNS1_3genE2ELNS1_11target_archE906ELNS1_3gpuE6ELNS1_3repE0EEENS1_48merge_mergepath_partition_config_static_selectorELNS0_4arch9wavefront6targetE0EEEvSF_,@function
_ZN7rocprim17ROCPRIM_400000_NS6detail17trampoline_kernelINS0_14default_configENS1_38merge_sort_block_merge_config_selectorIaNS0_10empty_typeEEEZZNS1_27merge_sort_block_merge_implIS3_PaPS5_jNS1_19radix_merge_compareILb0ELb1EaNS0_19identity_decomposerEEEEE10hipError_tT0_T1_T2_jT3_P12ihipStream_tbPNSt15iterator_traitsISE_E10value_typeEPNSK_ISF_E10value_typeEPSG_NS1_7vsmem_tEENKUlT_SE_SF_SG_E_clIS8_S8_S9_S9_EESD_ST_SE_SF_SG_EUlST_E_NS1_11comp_targetILNS1_3genE2ELNS1_11target_archE906ELNS1_3gpuE6ELNS1_3repE0EEENS1_48merge_mergepath_partition_config_static_selectorELNS0_4arch9wavefront6targetE0EEEvSF_: ; @_ZN7rocprim17ROCPRIM_400000_NS6detail17trampoline_kernelINS0_14default_configENS1_38merge_sort_block_merge_config_selectorIaNS0_10empty_typeEEEZZNS1_27merge_sort_block_merge_implIS3_PaPS5_jNS1_19radix_merge_compareILb0ELb1EaNS0_19identity_decomposerEEEEE10hipError_tT0_T1_T2_jT3_P12ihipStream_tbPNSt15iterator_traitsISE_E10value_typeEPNSK_ISF_E10value_typeEPSG_NS1_7vsmem_tEENKUlT_SE_SF_SG_E_clIS8_S8_S9_S9_EESD_ST_SE_SF_SG_EUlST_E_NS1_11comp_targetILNS1_3genE2ELNS1_11target_archE906ELNS1_3gpuE6ELNS1_3repE0EEENS1_48merge_mergepath_partition_config_static_selectorELNS0_4arch9wavefront6targetE0EEEvSF_
; %bb.0:
	.section	.rodata,"a",@progbits
	.p2align	6, 0x0
	.amdhsa_kernel _ZN7rocprim17ROCPRIM_400000_NS6detail17trampoline_kernelINS0_14default_configENS1_38merge_sort_block_merge_config_selectorIaNS0_10empty_typeEEEZZNS1_27merge_sort_block_merge_implIS3_PaPS5_jNS1_19radix_merge_compareILb0ELb1EaNS0_19identity_decomposerEEEEE10hipError_tT0_T1_T2_jT3_P12ihipStream_tbPNSt15iterator_traitsISE_E10value_typeEPNSK_ISF_E10value_typeEPSG_NS1_7vsmem_tEENKUlT_SE_SF_SG_E_clIS8_S8_S9_S9_EESD_ST_SE_SF_SG_EUlST_E_NS1_11comp_targetILNS1_3genE2ELNS1_11target_archE906ELNS1_3gpuE6ELNS1_3repE0EEENS1_48merge_mergepath_partition_config_static_selectorELNS0_4arch9wavefront6targetE0EEEvSF_
		.amdhsa_group_segment_fixed_size 0
		.amdhsa_private_segment_fixed_size 0
		.amdhsa_kernarg_size 40
		.amdhsa_user_sgpr_count 2
		.amdhsa_user_sgpr_dispatch_ptr 0
		.amdhsa_user_sgpr_queue_ptr 0
		.amdhsa_user_sgpr_kernarg_segment_ptr 1
		.amdhsa_user_sgpr_dispatch_id 0
		.amdhsa_user_sgpr_kernarg_preload_length 0
		.amdhsa_user_sgpr_kernarg_preload_offset 0
		.amdhsa_user_sgpr_private_segment_size 0
		.amdhsa_wavefront_size32 1
		.amdhsa_uses_dynamic_stack 0
		.amdhsa_enable_private_segment 0
		.amdhsa_system_sgpr_workgroup_id_x 1
		.amdhsa_system_sgpr_workgroup_id_y 0
		.amdhsa_system_sgpr_workgroup_id_z 0
		.amdhsa_system_sgpr_workgroup_info 0
		.amdhsa_system_vgpr_workitem_id 0
		.amdhsa_next_free_vgpr 1
		.amdhsa_next_free_sgpr 1
		.amdhsa_named_barrier_count 0
		.amdhsa_reserve_vcc 0
		.amdhsa_float_round_mode_32 0
		.amdhsa_float_round_mode_16_64 0
		.amdhsa_float_denorm_mode_32 3
		.amdhsa_float_denorm_mode_16_64 3
		.amdhsa_fp16_overflow 0
		.amdhsa_memory_ordered 1
		.amdhsa_forward_progress 1
		.amdhsa_inst_pref_size 0
		.amdhsa_round_robin_scheduling 0
		.amdhsa_exception_fp_ieee_invalid_op 0
		.amdhsa_exception_fp_denorm_src 0
		.amdhsa_exception_fp_ieee_div_zero 0
		.amdhsa_exception_fp_ieee_overflow 0
		.amdhsa_exception_fp_ieee_underflow 0
		.amdhsa_exception_fp_ieee_inexact 0
		.amdhsa_exception_int_div_zero 0
	.end_amdhsa_kernel
	.section	.text._ZN7rocprim17ROCPRIM_400000_NS6detail17trampoline_kernelINS0_14default_configENS1_38merge_sort_block_merge_config_selectorIaNS0_10empty_typeEEEZZNS1_27merge_sort_block_merge_implIS3_PaPS5_jNS1_19radix_merge_compareILb0ELb1EaNS0_19identity_decomposerEEEEE10hipError_tT0_T1_T2_jT3_P12ihipStream_tbPNSt15iterator_traitsISE_E10value_typeEPNSK_ISF_E10value_typeEPSG_NS1_7vsmem_tEENKUlT_SE_SF_SG_E_clIS8_S8_S9_S9_EESD_ST_SE_SF_SG_EUlST_E_NS1_11comp_targetILNS1_3genE2ELNS1_11target_archE906ELNS1_3gpuE6ELNS1_3repE0EEENS1_48merge_mergepath_partition_config_static_selectorELNS0_4arch9wavefront6targetE0EEEvSF_,"axG",@progbits,_ZN7rocprim17ROCPRIM_400000_NS6detail17trampoline_kernelINS0_14default_configENS1_38merge_sort_block_merge_config_selectorIaNS0_10empty_typeEEEZZNS1_27merge_sort_block_merge_implIS3_PaPS5_jNS1_19radix_merge_compareILb0ELb1EaNS0_19identity_decomposerEEEEE10hipError_tT0_T1_T2_jT3_P12ihipStream_tbPNSt15iterator_traitsISE_E10value_typeEPNSK_ISF_E10value_typeEPSG_NS1_7vsmem_tEENKUlT_SE_SF_SG_E_clIS8_S8_S9_S9_EESD_ST_SE_SF_SG_EUlST_E_NS1_11comp_targetILNS1_3genE2ELNS1_11target_archE906ELNS1_3gpuE6ELNS1_3repE0EEENS1_48merge_mergepath_partition_config_static_selectorELNS0_4arch9wavefront6targetE0EEEvSF_,comdat
.Lfunc_end429:
	.size	_ZN7rocprim17ROCPRIM_400000_NS6detail17trampoline_kernelINS0_14default_configENS1_38merge_sort_block_merge_config_selectorIaNS0_10empty_typeEEEZZNS1_27merge_sort_block_merge_implIS3_PaPS5_jNS1_19radix_merge_compareILb0ELb1EaNS0_19identity_decomposerEEEEE10hipError_tT0_T1_T2_jT3_P12ihipStream_tbPNSt15iterator_traitsISE_E10value_typeEPNSK_ISF_E10value_typeEPSG_NS1_7vsmem_tEENKUlT_SE_SF_SG_E_clIS8_S8_S9_S9_EESD_ST_SE_SF_SG_EUlST_E_NS1_11comp_targetILNS1_3genE2ELNS1_11target_archE906ELNS1_3gpuE6ELNS1_3repE0EEENS1_48merge_mergepath_partition_config_static_selectorELNS0_4arch9wavefront6targetE0EEEvSF_, .Lfunc_end429-_ZN7rocprim17ROCPRIM_400000_NS6detail17trampoline_kernelINS0_14default_configENS1_38merge_sort_block_merge_config_selectorIaNS0_10empty_typeEEEZZNS1_27merge_sort_block_merge_implIS3_PaPS5_jNS1_19radix_merge_compareILb0ELb1EaNS0_19identity_decomposerEEEEE10hipError_tT0_T1_T2_jT3_P12ihipStream_tbPNSt15iterator_traitsISE_E10value_typeEPNSK_ISF_E10value_typeEPSG_NS1_7vsmem_tEENKUlT_SE_SF_SG_E_clIS8_S8_S9_S9_EESD_ST_SE_SF_SG_EUlST_E_NS1_11comp_targetILNS1_3genE2ELNS1_11target_archE906ELNS1_3gpuE6ELNS1_3repE0EEENS1_48merge_mergepath_partition_config_static_selectorELNS0_4arch9wavefront6targetE0EEEvSF_
                                        ; -- End function
	.set _ZN7rocprim17ROCPRIM_400000_NS6detail17trampoline_kernelINS0_14default_configENS1_38merge_sort_block_merge_config_selectorIaNS0_10empty_typeEEEZZNS1_27merge_sort_block_merge_implIS3_PaPS5_jNS1_19radix_merge_compareILb0ELb1EaNS0_19identity_decomposerEEEEE10hipError_tT0_T1_T2_jT3_P12ihipStream_tbPNSt15iterator_traitsISE_E10value_typeEPNSK_ISF_E10value_typeEPSG_NS1_7vsmem_tEENKUlT_SE_SF_SG_E_clIS8_S8_S9_S9_EESD_ST_SE_SF_SG_EUlST_E_NS1_11comp_targetILNS1_3genE2ELNS1_11target_archE906ELNS1_3gpuE6ELNS1_3repE0EEENS1_48merge_mergepath_partition_config_static_selectorELNS0_4arch9wavefront6targetE0EEEvSF_.num_vgpr, 0
	.set _ZN7rocprim17ROCPRIM_400000_NS6detail17trampoline_kernelINS0_14default_configENS1_38merge_sort_block_merge_config_selectorIaNS0_10empty_typeEEEZZNS1_27merge_sort_block_merge_implIS3_PaPS5_jNS1_19radix_merge_compareILb0ELb1EaNS0_19identity_decomposerEEEEE10hipError_tT0_T1_T2_jT3_P12ihipStream_tbPNSt15iterator_traitsISE_E10value_typeEPNSK_ISF_E10value_typeEPSG_NS1_7vsmem_tEENKUlT_SE_SF_SG_E_clIS8_S8_S9_S9_EESD_ST_SE_SF_SG_EUlST_E_NS1_11comp_targetILNS1_3genE2ELNS1_11target_archE906ELNS1_3gpuE6ELNS1_3repE0EEENS1_48merge_mergepath_partition_config_static_selectorELNS0_4arch9wavefront6targetE0EEEvSF_.num_agpr, 0
	.set _ZN7rocprim17ROCPRIM_400000_NS6detail17trampoline_kernelINS0_14default_configENS1_38merge_sort_block_merge_config_selectorIaNS0_10empty_typeEEEZZNS1_27merge_sort_block_merge_implIS3_PaPS5_jNS1_19radix_merge_compareILb0ELb1EaNS0_19identity_decomposerEEEEE10hipError_tT0_T1_T2_jT3_P12ihipStream_tbPNSt15iterator_traitsISE_E10value_typeEPNSK_ISF_E10value_typeEPSG_NS1_7vsmem_tEENKUlT_SE_SF_SG_E_clIS8_S8_S9_S9_EESD_ST_SE_SF_SG_EUlST_E_NS1_11comp_targetILNS1_3genE2ELNS1_11target_archE906ELNS1_3gpuE6ELNS1_3repE0EEENS1_48merge_mergepath_partition_config_static_selectorELNS0_4arch9wavefront6targetE0EEEvSF_.numbered_sgpr, 0
	.set _ZN7rocprim17ROCPRIM_400000_NS6detail17trampoline_kernelINS0_14default_configENS1_38merge_sort_block_merge_config_selectorIaNS0_10empty_typeEEEZZNS1_27merge_sort_block_merge_implIS3_PaPS5_jNS1_19radix_merge_compareILb0ELb1EaNS0_19identity_decomposerEEEEE10hipError_tT0_T1_T2_jT3_P12ihipStream_tbPNSt15iterator_traitsISE_E10value_typeEPNSK_ISF_E10value_typeEPSG_NS1_7vsmem_tEENKUlT_SE_SF_SG_E_clIS8_S8_S9_S9_EESD_ST_SE_SF_SG_EUlST_E_NS1_11comp_targetILNS1_3genE2ELNS1_11target_archE906ELNS1_3gpuE6ELNS1_3repE0EEENS1_48merge_mergepath_partition_config_static_selectorELNS0_4arch9wavefront6targetE0EEEvSF_.num_named_barrier, 0
	.set _ZN7rocprim17ROCPRIM_400000_NS6detail17trampoline_kernelINS0_14default_configENS1_38merge_sort_block_merge_config_selectorIaNS0_10empty_typeEEEZZNS1_27merge_sort_block_merge_implIS3_PaPS5_jNS1_19radix_merge_compareILb0ELb1EaNS0_19identity_decomposerEEEEE10hipError_tT0_T1_T2_jT3_P12ihipStream_tbPNSt15iterator_traitsISE_E10value_typeEPNSK_ISF_E10value_typeEPSG_NS1_7vsmem_tEENKUlT_SE_SF_SG_E_clIS8_S8_S9_S9_EESD_ST_SE_SF_SG_EUlST_E_NS1_11comp_targetILNS1_3genE2ELNS1_11target_archE906ELNS1_3gpuE6ELNS1_3repE0EEENS1_48merge_mergepath_partition_config_static_selectorELNS0_4arch9wavefront6targetE0EEEvSF_.private_seg_size, 0
	.set _ZN7rocprim17ROCPRIM_400000_NS6detail17trampoline_kernelINS0_14default_configENS1_38merge_sort_block_merge_config_selectorIaNS0_10empty_typeEEEZZNS1_27merge_sort_block_merge_implIS3_PaPS5_jNS1_19radix_merge_compareILb0ELb1EaNS0_19identity_decomposerEEEEE10hipError_tT0_T1_T2_jT3_P12ihipStream_tbPNSt15iterator_traitsISE_E10value_typeEPNSK_ISF_E10value_typeEPSG_NS1_7vsmem_tEENKUlT_SE_SF_SG_E_clIS8_S8_S9_S9_EESD_ST_SE_SF_SG_EUlST_E_NS1_11comp_targetILNS1_3genE2ELNS1_11target_archE906ELNS1_3gpuE6ELNS1_3repE0EEENS1_48merge_mergepath_partition_config_static_selectorELNS0_4arch9wavefront6targetE0EEEvSF_.uses_vcc, 0
	.set _ZN7rocprim17ROCPRIM_400000_NS6detail17trampoline_kernelINS0_14default_configENS1_38merge_sort_block_merge_config_selectorIaNS0_10empty_typeEEEZZNS1_27merge_sort_block_merge_implIS3_PaPS5_jNS1_19radix_merge_compareILb0ELb1EaNS0_19identity_decomposerEEEEE10hipError_tT0_T1_T2_jT3_P12ihipStream_tbPNSt15iterator_traitsISE_E10value_typeEPNSK_ISF_E10value_typeEPSG_NS1_7vsmem_tEENKUlT_SE_SF_SG_E_clIS8_S8_S9_S9_EESD_ST_SE_SF_SG_EUlST_E_NS1_11comp_targetILNS1_3genE2ELNS1_11target_archE906ELNS1_3gpuE6ELNS1_3repE0EEENS1_48merge_mergepath_partition_config_static_selectorELNS0_4arch9wavefront6targetE0EEEvSF_.uses_flat_scratch, 0
	.set _ZN7rocprim17ROCPRIM_400000_NS6detail17trampoline_kernelINS0_14default_configENS1_38merge_sort_block_merge_config_selectorIaNS0_10empty_typeEEEZZNS1_27merge_sort_block_merge_implIS3_PaPS5_jNS1_19radix_merge_compareILb0ELb1EaNS0_19identity_decomposerEEEEE10hipError_tT0_T1_T2_jT3_P12ihipStream_tbPNSt15iterator_traitsISE_E10value_typeEPNSK_ISF_E10value_typeEPSG_NS1_7vsmem_tEENKUlT_SE_SF_SG_E_clIS8_S8_S9_S9_EESD_ST_SE_SF_SG_EUlST_E_NS1_11comp_targetILNS1_3genE2ELNS1_11target_archE906ELNS1_3gpuE6ELNS1_3repE0EEENS1_48merge_mergepath_partition_config_static_selectorELNS0_4arch9wavefront6targetE0EEEvSF_.has_dyn_sized_stack, 0
	.set _ZN7rocprim17ROCPRIM_400000_NS6detail17trampoline_kernelINS0_14default_configENS1_38merge_sort_block_merge_config_selectorIaNS0_10empty_typeEEEZZNS1_27merge_sort_block_merge_implIS3_PaPS5_jNS1_19radix_merge_compareILb0ELb1EaNS0_19identity_decomposerEEEEE10hipError_tT0_T1_T2_jT3_P12ihipStream_tbPNSt15iterator_traitsISE_E10value_typeEPNSK_ISF_E10value_typeEPSG_NS1_7vsmem_tEENKUlT_SE_SF_SG_E_clIS8_S8_S9_S9_EESD_ST_SE_SF_SG_EUlST_E_NS1_11comp_targetILNS1_3genE2ELNS1_11target_archE906ELNS1_3gpuE6ELNS1_3repE0EEENS1_48merge_mergepath_partition_config_static_selectorELNS0_4arch9wavefront6targetE0EEEvSF_.has_recursion, 0
	.set _ZN7rocprim17ROCPRIM_400000_NS6detail17trampoline_kernelINS0_14default_configENS1_38merge_sort_block_merge_config_selectorIaNS0_10empty_typeEEEZZNS1_27merge_sort_block_merge_implIS3_PaPS5_jNS1_19radix_merge_compareILb0ELb1EaNS0_19identity_decomposerEEEEE10hipError_tT0_T1_T2_jT3_P12ihipStream_tbPNSt15iterator_traitsISE_E10value_typeEPNSK_ISF_E10value_typeEPSG_NS1_7vsmem_tEENKUlT_SE_SF_SG_E_clIS8_S8_S9_S9_EESD_ST_SE_SF_SG_EUlST_E_NS1_11comp_targetILNS1_3genE2ELNS1_11target_archE906ELNS1_3gpuE6ELNS1_3repE0EEENS1_48merge_mergepath_partition_config_static_selectorELNS0_4arch9wavefront6targetE0EEEvSF_.has_indirect_call, 0
	.section	.AMDGPU.csdata,"",@progbits
; Kernel info:
; codeLenInByte = 0
; TotalNumSgprs: 0
; NumVgprs: 0
; ScratchSize: 0
; MemoryBound: 0
; FloatMode: 240
; IeeeMode: 1
; LDSByteSize: 0 bytes/workgroup (compile time only)
; SGPRBlocks: 0
; VGPRBlocks: 0
; NumSGPRsForWavesPerEU: 1
; NumVGPRsForWavesPerEU: 1
; NamedBarCnt: 0
; Occupancy: 16
; WaveLimiterHint : 0
; COMPUTE_PGM_RSRC2:SCRATCH_EN: 0
; COMPUTE_PGM_RSRC2:USER_SGPR: 2
; COMPUTE_PGM_RSRC2:TRAP_HANDLER: 0
; COMPUTE_PGM_RSRC2:TGID_X_EN: 1
; COMPUTE_PGM_RSRC2:TGID_Y_EN: 0
; COMPUTE_PGM_RSRC2:TGID_Z_EN: 0
; COMPUTE_PGM_RSRC2:TIDIG_COMP_CNT: 0
	.section	.text._ZN7rocprim17ROCPRIM_400000_NS6detail17trampoline_kernelINS0_14default_configENS1_38merge_sort_block_merge_config_selectorIaNS0_10empty_typeEEEZZNS1_27merge_sort_block_merge_implIS3_PaPS5_jNS1_19radix_merge_compareILb0ELb1EaNS0_19identity_decomposerEEEEE10hipError_tT0_T1_T2_jT3_P12ihipStream_tbPNSt15iterator_traitsISE_E10value_typeEPNSK_ISF_E10value_typeEPSG_NS1_7vsmem_tEENKUlT_SE_SF_SG_E_clIS8_S8_S9_S9_EESD_ST_SE_SF_SG_EUlST_E_NS1_11comp_targetILNS1_3genE9ELNS1_11target_archE1100ELNS1_3gpuE3ELNS1_3repE0EEENS1_48merge_mergepath_partition_config_static_selectorELNS0_4arch9wavefront6targetE0EEEvSF_,"axG",@progbits,_ZN7rocprim17ROCPRIM_400000_NS6detail17trampoline_kernelINS0_14default_configENS1_38merge_sort_block_merge_config_selectorIaNS0_10empty_typeEEEZZNS1_27merge_sort_block_merge_implIS3_PaPS5_jNS1_19radix_merge_compareILb0ELb1EaNS0_19identity_decomposerEEEEE10hipError_tT0_T1_T2_jT3_P12ihipStream_tbPNSt15iterator_traitsISE_E10value_typeEPNSK_ISF_E10value_typeEPSG_NS1_7vsmem_tEENKUlT_SE_SF_SG_E_clIS8_S8_S9_S9_EESD_ST_SE_SF_SG_EUlST_E_NS1_11comp_targetILNS1_3genE9ELNS1_11target_archE1100ELNS1_3gpuE3ELNS1_3repE0EEENS1_48merge_mergepath_partition_config_static_selectorELNS0_4arch9wavefront6targetE0EEEvSF_,comdat
	.protected	_ZN7rocprim17ROCPRIM_400000_NS6detail17trampoline_kernelINS0_14default_configENS1_38merge_sort_block_merge_config_selectorIaNS0_10empty_typeEEEZZNS1_27merge_sort_block_merge_implIS3_PaPS5_jNS1_19radix_merge_compareILb0ELb1EaNS0_19identity_decomposerEEEEE10hipError_tT0_T1_T2_jT3_P12ihipStream_tbPNSt15iterator_traitsISE_E10value_typeEPNSK_ISF_E10value_typeEPSG_NS1_7vsmem_tEENKUlT_SE_SF_SG_E_clIS8_S8_S9_S9_EESD_ST_SE_SF_SG_EUlST_E_NS1_11comp_targetILNS1_3genE9ELNS1_11target_archE1100ELNS1_3gpuE3ELNS1_3repE0EEENS1_48merge_mergepath_partition_config_static_selectorELNS0_4arch9wavefront6targetE0EEEvSF_ ; -- Begin function _ZN7rocprim17ROCPRIM_400000_NS6detail17trampoline_kernelINS0_14default_configENS1_38merge_sort_block_merge_config_selectorIaNS0_10empty_typeEEEZZNS1_27merge_sort_block_merge_implIS3_PaPS5_jNS1_19radix_merge_compareILb0ELb1EaNS0_19identity_decomposerEEEEE10hipError_tT0_T1_T2_jT3_P12ihipStream_tbPNSt15iterator_traitsISE_E10value_typeEPNSK_ISF_E10value_typeEPSG_NS1_7vsmem_tEENKUlT_SE_SF_SG_E_clIS8_S8_S9_S9_EESD_ST_SE_SF_SG_EUlST_E_NS1_11comp_targetILNS1_3genE9ELNS1_11target_archE1100ELNS1_3gpuE3ELNS1_3repE0EEENS1_48merge_mergepath_partition_config_static_selectorELNS0_4arch9wavefront6targetE0EEEvSF_
	.globl	_ZN7rocprim17ROCPRIM_400000_NS6detail17trampoline_kernelINS0_14default_configENS1_38merge_sort_block_merge_config_selectorIaNS0_10empty_typeEEEZZNS1_27merge_sort_block_merge_implIS3_PaPS5_jNS1_19radix_merge_compareILb0ELb1EaNS0_19identity_decomposerEEEEE10hipError_tT0_T1_T2_jT3_P12ihipStream_tbPNSt15iterator_traitsISE_E10value_typeEPNSK_ISF_E10value_typeEPSG_NS1_7vsmem_tEENKUlT_SE_SF_SG_E_clIS8_S8_S9_S9_EESD_ST_SE_SF_SG_EUlST_E_NS1_11comp_targetILNS1_3genE9ELNS1_11target_archE1100ELNS1_3gpuE3ELNS1_3repE0EEENS1_48merge_mergepath_partition_config_static_selectorELNS0_4arch9wavefront6targetE0EEEvSF_
	.p2align	8
	.type	_ZN7rocprim17ROCPRIM_400000_NS6detail17trampoline_kernelINS0_14default_configENS1_38merge_sort_block_merge_config_selectorIaNS0_10empty_typeEEEZZNS1_27merge_sort_block_merge_implIS3_PaPS5_jNS1_19radix_merge_compareILb0ELb1EaNS0_19identity_decomposerEEEEE10hipError_tT0_T1_T2_jT3_P12ihipStream_tbPNSt15iterator_traitsISE_E10value_typeEPNSK_ISF_E10value_typeEPSG_NS1_7vsmem_tEENKUlT_SE_SF_SG_E_clIS8_S8_S9_S9_EESD_ST_SE_SF_SG_EUlST_E_NS1_11comp_targetILNS1_3genE9ELNS1_11target_archE1100ELNS1_3gpuE3ELNS1_3repE0EEENS1_48merge_mergepath_partition_config_static_selectorELNS0_4arch9wavefront6targetE0EEEvSF_,@function
_ZN7rocprim17ROCPRIM_400000_NS6detail17trampoline_kernelINS0_14default_configENS1_38merge_sort_block_merge_config_selectorIaNS0_10empty_typeEEEZZNS1_27merge_sort_block_merge_implIS3_PaPS5_jNS1_19radix_merge_compareILb0ELb1EaNS0_19identity_decomposerEEEEE10hipError_tT0_T1_T2_jT3_P12ihipStream_tbPNSt15iterator_traitsISE_E10value_typeEPNSK_ISF_E10value_typeEPSG_NS1_7vsmem_tEENKUlT_SE_SF_SG_E_clIS8_S8_S9_S9_EESD_ST_SE_SF_SG_EUlST_E_NS1_11comp_targetILNS1_3genE9ELNS1_11target_archE1100ELNS1_3gpuE3ELNS1_3repE0EEENS1_48merge_mergepath_partition_config_static_selectorELNS0_4arch9wavefront6targetE0EEEvSF_: ; @_ZN7rocprim17ROCPRIM_400000_NS6detail17trampoline_kernelINS0_14default_configENS1_38merge_sort_block_merge_config_selectorIaNS0_10empty_typeEEEZZNS1_27merge_sort_block_merge_implIS3_PaPS5_jNS1_19radix_merge_compareILb0ELb1EaNS0_19identity_decomposerEEEEE10hipError_tT0_T1_T2_jT3_P12ihipStream_tbPNSt15iterator_traitsISE_E10value_typeEPNSK_ISF_E10value_typeEPSG_NS1_7vsmem_tEENKUlT_SE_SF_SG_E_clIS8_S8_S9_S9_EESD_ST_SE_SF_SG_EUlST_E_NS1_11comp_targetILNS1_3genE9ELNS1_11target_archE1100ELNS1_3gpuE3ELNS1_3repE0EEENS1_48merge_mergepath_partition_config_static_selectorELNS0_4arch9wavefront6targetE0EEEvSF_
; %bb.0:
	.section	.rodata,"a",@progbits
	.p2align	6, 0x0
	.amdhsa_kernel _ZN7rocprim17ROCPRIM_400000_NS6detail17trampoline_kernelINS0_14default_configENS1_38merge_sort_block_merge_config_selectorIaNS0_10empty_typeEEEZZNS1_27merge_sort_block_merge_implIS3_PaPS5_jNS1_19radix_merge_compareILb0ELb1EaNS0_19identity_decomposerEEEEE10hipError_tT0_T1_T2_jT3_P12ihipStream_tbPNSt15iterator_traitsISE_E10value_typeEPNSK_ISF_E10value_typeEPSG_NS1_7vsmem_tEENKUlT_SE_SF_SG_E_clIS8_S8_S9_S9_EESD_ST_SE_SF_SG_EUlST_E_NS1_11comp_targetILNS1_3genE9ELNS1_11target_archE1100ELNS1_3gpuE3ELNS1_3repE0EEENS1_48merge_mergepath_partition_config_static_selectorELNS0_4arch9wavefront6targetE0EEEvSF_
		.amdhsa_group_segment_fixed_size 0
		.amdhsa_private_segment_fixed_size 0
		.amdhsa_kernarg_size 40
		.amdhsa_user_sgpr_count 2
		.amdhsa_user_sgpr_dispatch_ptr 0
		.amdhsa_user_sgpr_queue_ptr 0
		.amdhsa_user_sgpr_kernarg_segment_ptr 1
		.amdhsa_user_sgpr_dispatch_id 0
		.amdhsa_user_sgpr_kernarg_preload_length 0
		.amdhsa_user_sgpr_kernarg_preload_offset 0
		.amdhsa_user_sgpr_private_segment_size 0
		.amdhsa_wavefront_size32 1
		.amdhsa_uses_dynamic_stack 0
		.amdhsa_enable_private_segment 0
		.amdhsa_system_sgpr_workgroup_id_x 1
		.amdhsa_system_sgpr_workgroup_id_y 0
		.amdhsa_system_sgpr_workgroup_id_z 0
		.amdhsa_system_sgpr_workgroup_info 0
		.amdhsa_system_vgpr_workitem_id 0
		.amdhsa_next_free_vgpr 1
		.amdhsa_next_free_sgpr 1
		.amdhsa_named_barrier_count 0
		.amdhsa_reserve_vcc 0
		.amdhsa_float_round_mode_32 0
		.amdhsa_float_round_mode_16_64 0
		.amdhsa_float_denorm_mode_32 3
		.amdhsa_float_denorm_mode_16_64 3
		.amdhsa_fp16_overflow 0
		.amdhsa_memory_ordered 1
		.amdhsa_forward_progress 1
		.amdhsa_inst_pref_size 0
		.amdhsa_round_robin_scheduling 0
		.amdhsa_exception_fp_ieee_invalid_op 0
		.amdhsa_exception_fp_denorm_src 0
		.amdhsa_exception_fp_ieee_div_zero 0
		.amdhsa_exception_fp_ieee_overflow 0
		.amdhsa_exception_fp_ieee_underflow 0
		.amdhsa_exception_fp_ieee_inexact 0
		.amdhsa_exception_int_div_zero 0
	.end_amdhsa_kernel
	.section	.text._ZN7rocprim17ROCPRIM_400000_NS6detail17trampoline_kernelINS0_14default_configENS1_38merge_sort_block_merge_config_selectorIaNS0_10empty_typeEEEZZNS1_27merge_sort_block_merge_implIS3_PaPS5_jNS1_19radix_merge_compareILb0ELb1EaNS0_19identity_decomposerEEEEE10hipError_tT0_T1_T2_jT3_P12ihipStream_tbPNSt15iterator_traitsISE_E10value_typeEPNSK_ISF_E10value_typeEPSG_NS1_7vsmem_tEENKUlT_SE_SF_SG_E_clIS8_S8_S9_S9_EESD_ST_SE_SF_SG_EUlST_E_NS1_11comp_targetILNS1_3genE9ELNS1_11target_archE1100ELNS1_3gpuE3ELNS1_3repE0EEENS1_48merge_mergepath_partition_config_static_selectorELNS0_4arch9wavefront6targetE0EEEvSF_,"axG",@progbits,_ZN7rocprim17ROCPRIM_400000_NS6detail17trampoline_kernelINS0_14default_configENS1_38merge_sort_block_merge_config_selectorIaNS0_10empty_typeEEEZZNS1_27merge_sort_block_merge_implIS3_PaPS5_jNS1_19radix_merge_compareILb0ELb1EaNS0_19identity_decomposerEEEEE10hipError_tT0_T1_T2_jT3_P12ihipStream_tbPNSt15iterator_traitsISE_E10value_typeEPNSK_ISF_E10value_typeEPSG_NS1_7vsmem_tEENKUlT_SE_SF_SG_E_clIS8_S8_S9_S9_EESD_ST_SE_SF_SG_EUlST_E_NS1_11comp_targetILNS1_3genE9ELNS1_11target_archE1100ELNS1_3gpuE3ELNS1_3repE0EEENS1_48merge_mergepath_partition_config_static_selectorELNS0_4arch9wavefront6targetE0EEEvSF_,comdat
.Lfunc_end430:
	.size	_ZN7rocprim17ROCPRIM_400000_NS6detail17trampoline_kernelINS0_14default_configENS1_38merge_sort_block_merge_config_selectorIaNS0_10empty_typeEEEZZNS1_27merge_sort_block_merge_implIS3_PaPS5_jNS1_19radix_merge_compareILb0ELb1EaNS0_19identity_decomposerEEEEE10hipError_tT0_T1_T2_jT3_P12ihipStream_tbPNSt15iterator_traitsISE_E10value_typeEPNSK_ISF_E10value_typeEPSG_NS1_7vsmem_tEENKUlT_SE_SF_SG_E_clIS8_S8_S9_S9_EESD_ST_SE_SF_SG_EUlST_E_NS1_11comp_targetILNS1_3genE9ELNS1_11target_archE1100ELNS1_3gpuE3ELNS1_3repE0EEENS1_48merge_mergepath_partition_config_static_selectorELNS0_4arch9wavefront6targetE0EEEvSF_, .Lfunc_end430-_ZN7rocprim17ROCPRIM_400000_NS6detail17trampoline_kernelINS0_14default_configENS1_38merge_sort_block_merge_config_selectorIaNS0_10empty_typeEEEZZNS1_27merge_sort_block_merge_implIS3_PaPS5_jNS1_19radix_merge_compareILb0ELb1EaNS0_19identity_decomposerEEEEE10hipError_tT0_T1_T2_jT3_P12ihipStream_tbPNSt15iterator_traitsISE_E10value_typeEPNSK_ISF_E10value_typeEPSG_NS1_7vsmem_tEENKUlT_SE_SF_SG_E_clIS8_S8_S9_S9_EESD_ST_SE_SF_SG_EUlST_E_NS1_11comp_targetILNS1_3genE9ELNS1_11target_archE1100ELNS1_3gpuE3ELNS1_3repE0EEENS1_48merge_mergepath_partition_config_static_selectorELNS0_4arch9wavefront6targetE0EEEvSF_
                                        ; -- End function
	.set _ZN7rocprim17ROCPRIM_400000_NS6detail17trampoline_kernelINS0_14default_configENS1_38merge_sort_block_merge_config_selectorIaNS0_10empty_typeEEEZZNS1_27merge_sort_block_merge_implIS3_PaPS5_jNS1_19radix_merge_compareILb0ELb1EaNS0_19identity_decomposerEEEEE10hipError_tT0_T1_T2_jT3_P12ihipStream_tbPNSt15iterator_traitsISE_E10value_typeEPNSK_ISF_E10value_typeEPSG_NS1_7vsmem_tEENKUlT_SE_SF_SG_E_clIS8_S8_S9_S9_EESD_ST_SE_SF_SG_EUlST_E_NS1_11comp_targetILNS1_3genE9ELNS1_11target_archE1100ELNS1_3gpuE3ELNS1_3repE0EEENS1_48merge_mergepath_partition_config_static_selectorELNS0_4arch9wavefront6targetE0EEEvSF_.num_vgpr, 0
	.set _ZN7rocprim17ROCPRIM_400000_NS6detail17trampoline_kernelINS0_14default_configENS1_38merge_sort_block_merge_config_selectorIaNS0_10empty_typeEEEZZNS1_27merge_sort_block_merge_implIS3_PaPS5_jNS1_19radix_merge_compareILb0ELb1EaNS0_19identity_decomposerEEEEE10hipError_tT0_T1_T2_jT3_P12ihipStream_tbPNSt15iterator_traitsISE_E10value_typeEPNSK_ISF_E10value_typeEPSG_NS1_7vsmem_tEENKUlT_SE_SF_SG_E_clIS8_S8_S9_S9_EESD_ST_SE_SF_SG_EUlST_E_NS1_11comp_targetILNS1_3genE9ELNS1_11target_archE1100ELNS1_3gpuE3ELNS1_3repE0EEENS1_48merge_mergepath_partition_config_static_selectorELNS0_4arch9wavefront6targetE0EEEvSF_.num_agpr, 0
	.set _ZN7rocprim17ROCPRIM_400000_NS6detail17trampoline_kernelINS0_14default_configENS1_38merge_sort_block_merge_config_selectorIaNS0_10empty_typeEEEZZNS1_27merge_sort_block_merge_implIS3_PaPS5_jNS1_19radix_merge_compareILb0ELb1EaNS0_19identity_decomposerEEEEE10hipError_tT0_T1_T2_jT3_P12ihipStream_tbPNSt15iterator_traitsISE_E10value_typeEPNSK_ISF_E10value_typeEPSG_NS1_7vsmem_tEENKUlT_SE_SF_SG_E_clIS8_S8_S9_S9_EESD_ST_SE_SF_SG_EUlST_E_NS1_11comp_targetILNS1_3genE9ELNS1_11target_archE1100ELNS1_3gpuE3ELNS1_3repE0EEENS1_48merge_mergepath_partition_config_static_selectorELNS0_4arch9wavefront6targetE0EEEvSF_.numbered_sgpr, 0
	.set _ZN7rocprim17ROCPRIM_400000_NS6detail17trampoline_kernelINS0_14default_configENS1_38merge_sort_block_merge_config_selectorIaNS0_10empty_typeEEEZZNS1_27merge_sort_block_merge_implIS3_PaPS5_jNS1_19radix_merge_compareILb0ELb1EaNS0_19identity_decomposerEEEEE10hipError_tT0_T1_T2_jT3_P12ihipStream_tbPNSt15iterator_traitsISE_E10value_typeEPNSK_ISF_E10value_typeEPSG_NS1_7vsmem_tEENKUlT_SE_SF_SG_E_clIS8_S8_S9_S9_EESD_ST_SE_SF_SG_EUlST_E_NS1_11comp_targetILNS1_3genE9ELNS1_11target_archE1100ELNS1_3gpuE3ELNS1_3repE0EEENS1_48merge_mergepath_partition_config_static_selectorELNS0_4arch9wavefront6targetE0EEEvSF_.num_named_barrier, 0
	.set _ZN7rocprim17ROCPRIM_400000_NS6detail17trampoline_kernelINS0_14default_configENS1_38merge_sort_block_merge_config_selectorIaNS0_10empty_typeEEEZZNS1_27merge_sort_block_merge_implIS3_PaPS5_jNS1_19radix_merge_compareILb0ELb1EaNS0_19identity_decomposerEEEEE10hipError_tT0_T1_T2_jT3_P12ihipStream_tbPNSt15iterator_traitsISE_E10value_typeEPNSK_ISF_E10value_typeEPSG_NS1_7vsmem_tEENKUlT_SE_SF_SG_E_clIS8_S8_S9_S9_EESD_ST_SE_SF_SG_EUlST_E_NS1_11comp_targetILNS1_3genE9ELNS1_11target_archE1100ELNS1_3gpuE3ELNS1_3repE0EEENS1_48merge_mergepath_partition_config_static_selectorELNS0_4arch9wavefront6targetE0EEEvSF_.private_seg_size, 0
	.set _ZN7rocprim17ROCPRIM_400000_NS6detail17trampoline_kernelINS0_14default_configENS1_38merge_sort_block_merge_config_selectorIaNS0_10empty_typeEEEZZNS1_27merge_sort_block_merge_implIS3_PaPS5_jNS1_19radix_merge_compareILb0ELb1EaNS0_19identity_decomposerEEEEE10hipError_tT0_T1_T2_jT3_P12ihipStream_tbPNSt15iterator_traitsISE_E10value_typeEPNSK_ISF_E10value_typeEPSG_NS1_7vsmem_tEENKUlT_SE_SF_SG_E_clIS8_S8_S9_S9_EESD_ST_SE_SF_SG_EUlST_E_NS1_11comp_targetILNS1_3genE9ELNS1_11target_archE1100ELNS1_3gpuE3ELNS1_3repE0EEENS1_48merge_mergepath_partition_config_static_selectorELNS0_4arch9wavefront6targetE0EEEvSF_.uses_vcc, 0
	.set _ZN7rocprim17ROCPRIM_400000_NS6detail17trampoline_kernelINS0_14default_configENS1_38merge_sort_block_merge_config_selectorIaNS0_10empty_typeEEEZZNS1_27merge_sort_block_merge_implIS3_PaPS5_jNS1_19radix_merge_compareILb0ELb1EaNS0_19identity_decomposerEEEEE10hipError_tT0_T1_T2_jT3_P12ihipStream_tbPNSt15iterator_traitsISE_E10value_typeEPNSK_ISF_E10value_typeEPSG_NS1_7vsmem_tEENKUlT_SE_SF_SG_E_clIS8_S8_S9_S9_EESD_ST_SE_SF_SG_EUlST_E_NS1_11comp_targetILNS1_3genE9ELNS1_11target_archE1100ELNS1_3gpuE3ELNS1_3repE0EEENS1_48merge_mergepath_partition_config_static_selectorELNS0_4arch9wavefront6targetE0EEEvSF_.uses_flat_scratch, 0
	.set _ZN7rocprim17ROCPRIM_400000_NS6detail17trampoline_kernelINS0_14default_configENS1_38merge_sort_block_merge_config_selectorIaNS0_10empty_typeEEEZZNS1_27merge_sort_block_merge_implIS3_PaPS5_jNS1_19radix_merge_compareILb0ELb1EaNS0_19identity_decomposerEEEEE10hipError_tT0_T1_T2_jT3_P12ihipStream_tbPNSt15iterator_traitsISE_E10value_typeEPNSK_ISF_E10value_typeEPSG_NS1_7vsmem_tEENKUlT_SE_SF_SG_E_clIS8_S8_S9_S9_EESD_ST_SE_SF_SG_EUlST_E_NS1_11comp_targetILNS1_3genE9ELNS1_11target_archE1100ELNS1_3gpuE3ELNS1_3repE0EEENS1_48merge_mergepath_partition_config_static_selectorELNS0_4arch9wavefront6targetE0EEEvSF_.has_dyn_sized_stack, 0
	.set _ZN7rocprim17ROCPRIM_400000_NS6detail17trampoline_kernelINS0_14default_configENS1_38merge_sort_block_merge_config_selectorIaNS0_10empty_typeEEEZZNS1_27merge_sort_block_merge_implIS3_PaPS5_jNS1_19radix_merge_compareILb0ELb1EaNS0_19identity_decomposerEEEEE10hipError_tT0_T1_T2_jT3_P12ihipStream_tbPNSt15iterator_traitsISE_E10value_typeEPNSK_ISF_E10value_typeEPSG_NS1_7vsmem_tEENKUlT_SE_SF_SG_E_clIS8_S8_S9_S9_EESD_ST_SE_SF_SG_EUlST_E_NS1_11comp_targetILNS1_3genE9ELNS1_11target_archE1100ELNS1_3gpuE3ELNS1_3repE0EEENS1_48merge_mergepath_partition_config_static_selectorELNS0_4arch9wavefront6targetE0EEEvSF_.has_recursion, 0
	.set _ZN7rocprim17ROCPRIM_400000_NS6detail17trampoline_kernelINS0_14default_configENS1_38merge_sort_block_merge_config_selectorIaNS0_10empty_typeEEEZZNS1_27merge_sort_block_merge_implIS3_PaPS5_jNS1_19radix_merge_compareILb0ELb1EaNS0_19identity_decomposerEEEEE10hipError_tT0_T1_T2_jT3_P12ihipStream_tbPNSt15iterator_traitsISE_E10value_typeEPNSK_ISF_E10value_typeEPSG_NS1_7vsmem_tEENKUlT_SE_SF_SG_E_clIS8_S8_S9_S9_EESD_ST_SE_SF_SG_EUlST_E_NS1_11comp_targetILNS1_3genE9ELNS1_11target_archE1100ELNS1_3gpuE3ELNS1_3repE0EEENS1_48merge_mergepath_partition_config_static_selectorELNS0_4arch9wavefront6targetE0EEEvSF_.has_indirect_call, 0
	.section	.AMDGPU.csdata,"",@progbits
; Kernel info:
; codeLenInByte = 0
; TotalNumSgprs: 0
; NumVgprs: 0
; ScratchSize: 0
; MemoryBound: 0
; FloatMode: 240
; IeeeMode: 1
; LDSByteSize: 0 bytes/workgroup (compile time only)
; SGPRBlocks: 0
; VGPRBlocks: 0
; NumSGPRsForWavesPerEU: 1
; NumVGPRsForWavesPerEU: 1
; NamedBarCnt: 0
; Occupancy: 16
; WaveLimiterHint : 0
; COMPUTE_PGM_RSRC2:SCRATCH_EN: 0
; COMPUTE_PGM_RSRC2:USER_SGPR: 2
; COMPUTE_PGM_RSRC2:TRAP_HANDLER: 0
; COMPUTE_PGM_RSRC2:TGID_X_EN: 1
; COMPUTE_PGM_RSRC2:TGID_Y_EN: 0
; COMPUTE_PGM_RSRC2:TGID_Z_EN: 0
; COMPUTE_PGM_RSRC2:TIDIG_COMP_CNT: 0
	.section	.text._ZN7rocprim17ROCPRIM_400000_NS6detail17trampoline_kernelINS0_14default_configENS1_38merge_sort_block_merge_config_selectorIaNS0_10empty_typeEEEZZNS1_27merge_sort_block_merge_implIS3_PaPS5_jNS1_19radix_merge_compareILb0ELb1EaNS0_19identity_decomposerEEEEE10hipError_tT0_T1_T2_jT3_P12ihipStream_tbPNSt15iterator_traitsISE_E10value_typeEPNSK_ISF_E10value_typeEPSG_NS1_7vsmem_tEENKUlT_SE_SF_SG_E_clIS8_S8_S9_S9_EESD_ST_SE_SF_SG_EUlST_E_NS1_11comp_targetILNS1_3genE8ELNS1_11target_archE1030ELNS1_3gpuE2ELNS1_3repE0EEENS1_48merge_mergepath_partition_config_static_selectorELNS0_4arch9wavefront6targetE0EEEvSF_,"axG",@progbits,_ZN7rocprim17ROCPRIM_400000_NS6detail17trampoline_kernelINS0_14default_configENS1_38merge_sort_block_merge_config_selectorIaNS0_10empty_typeEEEZZNS1_27merge_sort_block_merge_implIS3_PaPS5_jNS1_19radix_merge_compareILb0ELb1EaNS0_19identity_decomposerEEEEE10hipError_tT0_T1_T2_jT3_P12ihipStream_tbPNSt15iterator_traitsISE_E10value_typeEPNSK_ISF_E10value_typeEPSG_NS1_7vsmem_tEENKUlT_SE_SF_SG_E_clIS8_S8_S9_S9_EESD_ST_SE_SF_SG_EUlST_E_NS1_11comp_targetILNS1_3genE8ELNS1_11target_archE1030ELNS1_3gpuE2ELNS1_3repE0EEENS1_48merge_mergepath_partition_config_static_selectorELNS0_4arch9wavefront6targetE0EEEvSF_,comdat
	.protected	_ZN7rocprim17ROCPRIM_400000_NS6detail17trampoline_kernelINS0_14default_configENS1_38merge_sort_block_merge_config_selectorIaNS0_10empty_typeEEEZZNS1_27merge_sort_block_merge_implIS3_PaPS5_jNS1_19radix_merge_compareILb0ELb1EaNS0_19identity_decomposerEEEEE10hipError_tT0_T1_T2_jT3_P12ihipStream_tbPNSt15iterator_traitsISE_E10value_typeEPNSK_ISF_E10value_typeEPSG_NS1_7vsmem_tEENKUlT_SE_SF_SG_E_clIS8_S8_S9_S9_EESD_ST_SE_SF_SG_EUlST_E_NS1_11comp_targetILNS1_3genE8ELNS1_11target_archE1030ELNS1_3gpuE2ELNS1_3repE0EEENS1_48merge_mergepath_partition_config_static_selectorELNS0_4arch9wavefront6targetE0EEEvSF_ ; -- Begin function _ZN7rocprim17ROCPRIM_400000_NS6detail17trampoline_kernelINS0_14default_configENS1_38merge_sort_block_merge_config_selectorIaNS0_10empty_typeEEEZZNS1_27merge_sort_block_merge_implIS3_PaPS5_jNS1_19radix_merge_compareILb0ELb1EaNS0_19identity_decomposerEEEEE10hipError_tT0_T1_T2_jT3_P12ihipStream_tbPNSt15iterator_traitsISE_E10value_typeEPNSK_ISF_E10value_typeEPSG_NS1_7vsmem_tEENKUlT_SE_SF_SG_E_clIS8_S8_S9_S9_EESD_ST_SE_SF_SG_EUlST_E_NS1_11comp_targetILNS1_3genE8ELNS1_11target_archE1030ELNS1_3gpuE2ELNS1_3repE0EEENS1_48merge_mergepath_partition_config_static_selectorELNS0_4arch9wavefront6targetE0EEEvSF_
	.globl	_ZN7rocprim17ROCPRIM_400000_NS6detail17trampoline_kernelINS0_14default_configENS1_38merge_sort_block_merge_config_selectorIaNS0_10empty_typeEEEZZNS1_27merge_sort_block_merge_implIS3_PaPS5_jNS1_19radix_merge_compareILb0ELb1EaNS0_19identity_decomposerEEEEE10hipError_tT0_T1_T2_jT3_P12ihipStream_tbPNSt15iterator_traitsISE_E10value_typeEPNSK_ISF_E10value_typeEPSG_NS1_7vsmem_tEENKUlT_SE_SF_SG_E_clIS8_S8_S9_S9_EESD_ST_SE_SF_SG_EUlST_E_NS1_11comp_targetILNS1_3genE8ELNS1_11target_archE1030ELNS1_3gpuE2ELNS1_3repE0EEENS1_48merge_mergepath_partition_config_static_selectorELNS0_4arch9wavefront6targetE0EEEvSF_
	.p2align	8
	.type	_ZN7rocprim17ROCPRIM_400000_NS6detail17trampoline_kernelINS0_14default_configENS1_38merge_sort_block_merge_config_selectorIaNS0_10empty_typeEEEZZNS1_27merge_sort_block_merge_implIS3_PaPS5_jNS1_19radix_merge_compareILb0ELb1EaNS0_19identity_decomposerEEEEE10hipError_tT0_T1_T2_jT3_P12ihipStream_tbPNSt15iterator_traitsISE_E10value_typeEPNSK_ISF_E10value_typeEPSG_NS1_7vsmem_tEENKUlT_SE_SF_SG_E_clIS8_S8_S9_S9_EESD_ST_SE_SF_SG_EUlST_E_NS1_11comp_targetILNS1_3genE8ELNS1_11target_archE1030ELNS1_3gpuE2ELNS1_3repE0EEENS1_48merge_mergepath_partition_config_static_selectorELNS0_4arch9wavefront6targetE0EEEvSF_,@function
_ZN7rocprim17ROCPRIM_400000_NS6detail17trampoline_kernelINS0_14default_configENS1_38merge_sort_block_merge_config_selectorIaNS0_10empty_typeEEEZZNS1_27merge_sort_block_merge_implIS3_PaPS5_jNS1_19radix_merge_compareILb0ELb1EaNS0_19identity_decomposerEEEEE10hipError_tT0_T1_T2_jT3_P12ihipStream_tbPNSt15iterator_traitsISE_E10value_typeEPNSK_ISF_E10value_typeEPSG_NS1_7vsmem_tEENKUlT_SE_SF_SG_E_clIS8_S8_S9_S9_EESD_ST_SE_SF_SG_EUlST_E_NS1_11comp_targetILNS1_3genE8ELNS1_11target_archE1030ELNS1_3gpuE2ELNS1_3repE0EEENS1_48merge_mergepath_partition_config_static_selectorELNS0_4arch9wavefront6targetE0EEEvSF_: ; @_ZN7rocprim17ROCPRIM_400000_NS6detail17trampoline_kernelINS0_14default_configENS1_38merge_sort_block_merge_config_selectorIaNS0_10empty_typeEEEZZNS1_27merge_sort_block_merge_implIS3_PaPS5_jNS1_19radix_merge_compareILb0ELb1EaNS0_19identity_decomposerEEEEE10hipError_tT0_T1_T2_jT3_P12ihipStream_tbPNSt15iterator_traitsISE_E10value_typeEPNSK_ISF_E10value_typeEPSG_NS1_7vsmem_tEENKUlT_SE_SF_SG_E_clIS8_S8_S9_S9_EESD_ST_SE_SF_SG_EUlST_E_NS1_11comp_targetILNS1_3genE8ELNS1_11target_archE1030ELNS1_3gpuE2ELNS1_3repE0EEENS1_48merge_mergepath_partition_config_static_selectorELNS0_4arch9wavefront6targetE0EEEvSF_
; %bb.0:
	.section	.rodata,"a",@progbits
	.p2align	6, 0x0
	.amdhsa_kernel _ZN7rocprim17ROCPRIM_400000_NS6detail17trampoline_kernelINS0_14default_configENS1_38merge_sort_block_merge_config_selectorIaNS0_10empty_typeEEEZZNS1_27merge_sort_block_merge_implIS3_PaPS5_jNS1_19radix_merge_compareILb0ELb1EaNS0_19identity_decomposerEEEEE10hipError_tT0_T1_T2_jT3_P12ihipStream_tbPNSt15iterator_traitsISE_E10value_typeEPNSK_ISF_E10value_typeEPSG_NS1_7vsmem_tEENKUlT_SE_SF_SG_E_clIS8_S8_S9_S9_EESD_ST_SE_SF_SG_EUlST_E_NS1_11comp_targetILNS1_3genE8ELNS1_11target_archE1030ELNS1_3gpuE2ELNS1_3repE0EEENS1_48merge_mergepath_partition_config_static_selectorELNS0_4arch9wavefront6targetE0EEEvSF_
		.amdhsa_group_segment_fixed_size 0
		.amdhsa_private_segment_fixed_size 0
		.amdhsa_kernarg_size 40
		.amdhsa_user_sgpr_count 2
		.amdhsa_user_sgpr_dispatch_ptr 0
		.amdhsa_user_sgpr_queue_ptr 0
		.amdhsa_user_sgpr_kernarg_segment_ptr 1
		.amdhsa_user_sgpr_dispatch_id 0
		.amdhsa_user_sgpr_kernarg_preload_length 0
		.amdhsa_user_sgpr_kernarg_preload_offset 0
		.amdhsa_user_sgpr_private_segment_size 0
		.amdhsa_wavefront_size32 1
		.amdhsa_uses_dynamic_stack 0
		.amdhsa_enable_private_segment 0
		.amdhsa_system_sgpr_workgroup_id_x 1
		.amdhsa_system_sgpr_workgroup_id_y 0
		.amdhsa_system_sgpr_workgroup_id_z 0
		.amdhsa_system_sgpr_workgroup_info 0
		.amdhsa_system_vgpr_workitem_id 0
		.amdhsa_next_free_vgpr 1
		.amdhsa_next_free_sgpr 1
		.amdhsa_named_barrier_count 0
		.amdhsa_reserve_vcc 0
		.amdhsa_float_round_mode_32 0
		.amdhsa_float_round_mode_16_64 0
		.amdhsa_float_denorm_mode_32 3
		.amdhsa_float_denorm_mode_16_64 3
		.amdhsa_fp16_overflow 0
		.amdhsa_memory_ordered 1
		.amdhsa_forward_progress 1
		.amdhsa_inst_pref_size 0
		.amdhsa_round_robin_scheduling 0
		.amdhsa_exception_fp_ieee_invalid_op 0
		.amdhsa_exception_fp_denorm_src 0
		.amdhsa_exception_fp_ieee_div_zero 0
		.amdhsa_exception_fp_ieee_overflow 0
		.amdhsa_exception_fp_ieee_underflow 0
		.amdhsa_exception_fp_ieee_inexact 0
		.amdhsa_exception_int_div_zero 0
	.end_amdhsa_kernel
	.section	.text._ZN7rocprim17ROCPRIM_400000_NS6detail17trampoline_kernelINS0_14default_configENS1_38merge_sort_block_merge_config_selectorIaNS0_10empty_typeEEEZZNS1_27merge_sort_block_merge_implIS3_PaPS5_jNS1_19radix_merge_compareILb0ELb1EaNS0_19identity_decomposerEEEEE10hipError_tT0_T1_T2_jT3_P12ihipStream_tbPNSt15iterator_traitsISE_E10value_typeEPNSK_ISF_E10value_typeEPSG_NS1_7vsmem_tEENKUlT_SE_SF_SG_E_clIS8_S8_S9_S9_EESD_ST_SE_SF_SG_EUlST_E_NS1_11comp_targetILNS1_3genE8ELNS1_11target_archE1030ELNS1_3gpuE2ELNS1_3repE0EEENS1_48merge_mergepath_partition_config_static_selectorELNS0_4arch9wavefront6targetE0EEEvSF_,"axG",@progbits,_ZN7rocprim17ROCPRIM_400000_NS6detail17trampoline_kernelINS0_14default_configENS1_38merge_sort_block_merge_config_selectorIaNS0_10empty_typeEEEZZNS1_27merge_sort_block_merge_implIS3_PaPS5_jNS1_19radix_merge_compareILb0ELb1EaNS0_19identity_decomposerEEEEE10hipError_tT0_T1_T2_jT3_P12ihipStream_tbPNSt15iterator_traitsISE_E10value_typeEPNSK_ISF_E10value_typeEPSG_NS1_7vsmem_tEENKUlT_SE_SF_SG_E_clIS8_S8_S9_S9_EESD_ST_SE_SF_SG_EUlST_E_NS1_11comp_targetILNS1_3genE8ELNS1_11target_archE1030ELNS1_3gpuE2ELNS1_3repE0EEENS1_48merge_mergepath_partition_config_static_selectorELNS0_4arch9wavefront6targetE0EEEvSF_,comdat
.Lfunc_end431:
	.size	_ZN7rocprim17ROCPRIM_400000_NS6detail17trampoline_kernelINS0_14default_configENS1_38merge_sort_block_merge_config_selectorIaNS0_10empty_typeEEEZZNS1_27merge_sort_block_merge_implIS3_PaPS5_jNS1_19radix_merge_compareILb0ELb1EaNS0_19identity_decomposerEEEEE10hipError_tT0_T1_T2_jT3_P12ihipStream_tbPNSt15iterator_traitsISE_E10value_typeEPNSK_ISF_E10value_typeEPSG_NS1_7vsmem_tEENKUlT_SE_SF_SG_E_clIS8_S8_S9_S9_EESD_ST_SE_SF_SG_EUlST_E_NS1_11comp_targetILNS1_3genE8ELNS1_11target_archE1030ELNS1_3gpuE2ELNS1_3repE0EEENS1_48merge_mergepath_partition_config_static_selectorELNS0_4arch9wavefront6targetE0EEEvSF_, .Lfunc_end431-_ZN7rocprim17ROCPRIM_400000_NS6detail17trampoline_kernelINS0_14default_configENS1_38merge_sort_block_merge_config_selectorIaNS0_10empty_typeEEEZZNS1_27merge_sort_block_merge_implIS3_PaPS5_jNS1_19radix_merge_compareILb0ELb1EaNS0_19identity_decomposerEEEEE10hipError_tT0_T1_T2_jT3_P12ihipStream_tbPNSt15iterator_traitsISE_E10value_typeEPNSK_ISF_E10value_typeEPSG_NS1_7vsmem_tEENKUlT_SE_SF_SG_E_clIS8_S8_S9_S9_EESD_ST_SE_SF_SG_EUlST_E_NS1_11comp_targetILNS1_3genE8ELNS1_11target_archE1030ELNS1_3gpuE2ELNS1_3repE0EEENS1_48merge_mergepath_partition_config_static_selectorELNS0_4arch9wavefront6targetE0EEEvSF_
                                        ; -- End function
	.set _ZN7rocprim17ROCPRIM_400000_NS6detail17trampoline_kernelINS0_14default_configENS1_38merge_sort_block_merge_config_selectorIaNS0_10empty_typeEEEZZNS1_27merge_sort_block_merge_implIS3_PaPS5_jNS1_19radix_merge_compareILb0ELb1EaNS0_19identity_decomposerEEEEE10hipError_tT0_T1_T2_jT3_P12ihipStream_tbPNSt15iterator_traitsISE_E10value_typeEPNSK_ISF_E10value_typeEPSG_NS1_7vsmem_tEENKUlT_SE_SF_SG_E_clIS8_S8_S9_S9_EESD_ST_SE_SF_SG_EUlST_E_NS1_11comp_targetILNS1_3genE8ELNS1_11target_archE1030ELNS1_3gpuE2ELNS1_3repE0EEENS1_48merge_mergepath_partition_config_static_selectorELNS0_4arch9wavefront6targetE0EEEvSF_.num_vgpr, 0
	.set _ZN7rocprim17ROCPRIM_400000_NS6detail17trampoline_kernelINS0_14default_configENS1_38merge_sort_block_merge_config_selectorIaNS0_10empty_typeEEEZZNS1_27merge_sort_block_merge_implIS3_PaPS5_jNS1_19radix_merge_compareILb0ELb1EaNS0_19identity_decomposerEEEEE10hipError_tT0_T1_T2_jT3_P12ihipStream_tbPNSt15iterator_traitsISE_E10value_typeEPNSK_ISF_E10value_typeEPSG_NS1_7vsmem_tEENKUlT_SE_SF_SG_E_clIS8_S8_S9_S9_EESD_ST_SE_SF_SG_EUlST_E_NS1_11comp_targetILNS1_3genE8ELNS1_11target_archE1030ELNS1_3gpuE2ELNS1_3repE0EEENS1_48merge_mergepath_partition_config_static_selectorELNS0_4arch9wavefront6targetE0EEEvSF_.num_agpr, 0
	.set _ZN7rocprim17ROCPRIM_400000_NS6detail17trampoline_kernelINS0_14default_configENS1_38merge_sort_block_merge_config_selectorIaNS0_10empty_typeEEEZZNS1_27merge_sort_block_merge_implIS3_PaPS5_jNS1_19radix_merge_compareILb0ELb1EaNS0_19identity_decomposerEEEEE10hipError_tT0_T1_T2_jT3_P12ihipStream_tbPNSt15iterator_traitsISE_E10value_typeEPNSK_ISF_E10value_typeEPSG_NS1_7vsmem_tEENKUlT_SE_SF_SG_E_clIS8_S8_S9_S9_EESD_ST_SE_SF_SG_EUlST_E_NS1_11comp_targetILNS1_3genE8ELNS1_11target_archE1030ELNS1_3gpuE2ELNS1_3repE0EEENS1_48merge_mergepath_partition_config_static_selectorELNS0_4arch9wavefront6targetE0EEEvSF_.numbered_sgpr, 0
	.set _ZN7rocprim17ROCPRIM_400000_NS6detail17trampoline_kernelINS0_14default_configENS1_38merge_sort_block_merge_config_selectorIaNS0_10empty_typeEEEZZNS1_27merge_sort_block_merge_implIS3_PaPS5_jNS1_19radix_merge_compareILb0ELb1EaNS0_19identity_decomposerEEEEE10hipError_tT0_T1_T2_jT3_P12ihipStream_tbPNSt15iterator_traitsISE_E10value_typeEPNSK_ISF_E10value_typeEPSG_NS1_7vsmem_tEENKUlT_SE_SF_SG_E_clIS8_S8_S9_S9_EESD_ST_SE_SF_SG_EUlST_E_NS1_11comp_targetILNS1_3genE8ELNS1_11target_archE1030ELNS1_3gpuE2ELNS1_3repE0EEENS1_48merge_mergepath_partition_config_static_selectorELNS0_4arch9wavefront6targetE0EEEvSF_.num_named_barrier, 0
	.set _ZN7rocprim17ROCPRIM_400000_NS6detail17trampoline_kernelINS0_14default_configENS1_38merge_sort_block_merge_config_selectorIaNS0_10empty_typeEEEZZNS1_27merge_sort_block_merge_implIS3_PaPS5_jNS1_19radix_merge_compareILb0ELb1EaNS0_19identity_decomposerEEEEE10hipError_tT0_T1_T2_jT3_P12ihipStream_tbPNSt15iterator_traitsISE_E10value_typeEPNSK_ISF_E10value_typeEPSG_NS1_7vsmem_tEENKUlT_SE_SF_SG_E_clIS8_S8_S9_S9_EESD_ST_SE_SF_SG_EUlST_E_NS1_11comp_targetILNS1_3genE8ELNS1_11target_archE1030ELNS1_3gpuE2ELNS1_3repE0EEENS1_48merge_mergepath_partition_config_static_selectorELNS0_4arch9wavefront6targetE0EEEvSF_.private_seg_size, 0
	.set _ZN7rocprim17ROCPRIM_400000_NS6detail17trampoline_kernelINS0_14default_configENS1_38merge_sort_block_merge_config_selectorIaNS0_10empty_typeEEEZZNS1_27merge_sort_block_merge_implIS3_PaPS5_jNS1_19radix_merge_compareILb0ELb1EaNS0_19identity_decomposerEEEEE10hipError_tT0_T1_T2_jT3_P12ihipStream_tbPNSt15iterator_traitsISE_E10value_typeEPNSK_ISF_E10value_typeEPSG_NS1_7vsmem_tEENKUlT_SE_SF_SG_E_clIS8_S8_S9_S9_EESD_ST_SE_SF_SG_EUlST_E_NS1_11comp_targetILNS1_3genE8ELNS1_11target_archE1030ELNS1_3gpuE2ELNS1_3repE0EEENS1_48merge_mergepath_partition_config_static_selectorELNS0_4arch9wavefront6targetE0EEEvSF_.uses_vcc, 0
	.set _ZN7rocprim17ROCPRIM_400000_NS6detail17trampoline_kernelINS0_14default_configENS1_38merge_sort_block_merge_config_selectorIaNS0_10empty_typeEEEZZNS1_27merge_sort_block_merge_implIS3_PaPS5_jNS1_19radix_merge_compareILb0ELb1EaNS0_19identity_decomposerEEEEE10hipError_tT0_T1_T2_jT3_P12ihipStream_tbPNSt15iterator_traitsISE_E10value_typeEPNSK_ISF_E10value_typeEPSG_NS1_7vsmem_tEENKUlT_SE_SF_SG_E_clIS8_S8_S9_S9_EESD_ST_SE_SF_SG_EUlST_E_NS1_11comp_targetILNS1_3genE8ELNS1_11target_archE1030ELNS1_3gpuE2ELNS1_3repE0EEENS1_48merge_mergepath_partition_config_static_selectorELNS0_4arch9wavefront6targetE0EEEvSF_.uses_flat_scratch, 0
	.set _ZN7rocprim17ROCPRIM_400000_NS6detail17trampoline_kernelINS0_14default_configENS1_38merge_sort_block_merge_config_selectorIaNS0_10empty_typeEEEZZNS1_27merge_sort_block_merge_implIS3_PaPS5_jNS1_19radix_merge_compareILb0ELb1EaNS0_19identity_decomposerEEEEE10hipError_tT0_T1_T2_jT3_P12ihipStream_tbPNSt15iterator_traitsISE_E10value_typeEPNSK_ISF_E10value_typeEPSG_NS1_7vsmem_tEENKUlT_SE_SF_SG_E_clIS8_S8_S9_S9_EESD_ST_SE_SF_SG_EUlST_E_NS1_11comp_targetILNS1_3genE8ELNS1_11target_archE1030ELNS1_3gpuE2ELNS1_3repE0EEENS1_48merge_mergepath_partition_config_static_selectorELNS0_4arch9wavefront6targetE0EEEvSF_.has_dyn_sized_stack, 0
	.set _ZN7rocprim17ROCPRIM_400000_NS6detail17trampoline_kernelINS0_14default_configENS1_38merge_sort_block_merge_config_selectorIaNS0_10empty_typeEEEZZNS1_27merge_sort_block_merge_implIS3_PaPS5_jNS1_19radix_merge_compareILb0ELb1EaNS0_19identity_decomposerEEEEE10hipError_tT0_T1_T2_jT3_P12ihipStream_tbPNSt15iterator_traitsISE_E10value_typeEPNSK_ISF_E10value_typeEPSG_NS1_7vsmem_tEENKUlT_SE_SF_SG_E_clIS8_S8_S9_S9_EESD_ST_SE_SF_SG_EUlST_E_NS1_11comp_targetILNS1_3genE8ELNS1_11target_archE1030ELNS1_3gpuE2ELNS1_3repE0EEENS1_48merge_mergepath_partition_config_static_selectorELNS0_4arch9wavefront6targetE0EEEvSF_.has_recursion, 0
	.set _ZN7rocprim17ROCPRIM_400000_NS6detail17trampoline_kernelINS0_14default_configENS1_38merge_sort_block_merge_config_selectorIaNS0_10empty_typeEEEZZNS1_27merge_sort_block_merge_implIS3_PaPS5_jNS1_19radix_merge_compareILb0ELb1EaNS0_19identity_decomposerEEEEE10hipError_tT0_T1_T2_jT3_P12ihipStream_tbPNSt15iterator_traitsISE_E10value_typeEPNSK_ISF_E10value_typeEPSG_NS1_7vsmem_tEENKUlT_SE_SF_SG_E_clIS8_S8_S9_S9_EESD_ST_SE_SF_SG_EUlST_E_NS1_11comp_targetILNS1_3genE8ELNS1_11target_archE1030ELNS1_3gpuE2ELNS1_3repE0EEENS1_48merge_mergepath_partition_config_static_selectorELNS0_4arch9wavefront6targetE0EEEvSF_.has_indirect_call, 0
	.section	.AMDGPU.csdata,"",@progbits
; Kernel info:
; codeLenInByte = 0
; TotalNumSgprs: 0
; NumVgprs: 0
; ScratchSize: 0
; MemoryBound: 0
; FloatMode: 240
; IeeeMode: 1
; LDSByteSize: 0 bytes/workgroup (compile time only)
; SGPRBlocks: 0
; VGPRBlocks: 0
; NumSGPRsForWavesPerEU: 1
; NumVGPRsForWavesPerEU: 1
; NamedBarCnt: 0
; Occupancy: 16
; WaveLimiterHint : 0
; COMPUTE_PGM_RSRC2:SCRATCH_EN: 0
; COMPUTE_PGM_RSRC2:USER_SGPR: 2
; COMPUTE_PGM_RSRC2:TRAP_HANDLER: 0
; COMPUTE_PGM_RSRC2:TGID_X_EN: 1
; COMPUTE_PGM_RSRC2:TGID_Y_EN: 0
; COMPUTE_PGM_RSRC2:TGID_Z_EN: 0
; COMPUTE_PGM_RSRC2:TIDIG_COMP_CNT: 0
	.section	.text._ZN7rocprim17ROCPRIM_400000_NS6detail17trampoline_kernelINS0_14default_configENS1_38merge_sort_block_merge_config_selectorIaNS0_10empty_typeEEEZZNS1_27merge_sort_block_merge_implIS3_PaPS5_jNS1_19radix_merge_compareILb0ELb1EaNS0_19identity_decomposerEEEEE10hipError_tT0_T1_T2_jT3_P12ihipStream_tbPNSt15iterator_traitsISE_E10value_typeEPNSK_ISF_E10value_typeEPSG_NS1_7vsmem_tEENKUlT_SE_SF_SG_E_clIS8_S8_S9_S9_EESD_ST_SE_SF_SG_EUlST_E0_NS1_11comp_targetILNS1_3genE0ELNS1_11target_archE4294967295ELNS1_3gpuE0ELNS1_3repE0EEENS1_38merge_mergepath_config_static_selectorELNS0_4arch9wavefront6targetE0EEEvSF_,"axG",@progbits,_ZN7rocprim17ROCPRIM_400000_NS6detail17trampoline_kernelINS0_14default_configENS1_38merge_sort_block_merge_config_selectorIaNS0_10empty_typeEEEZZNS1_27merge_sort_block_merge_implIS3_PaPS5_jNS1_19radix_merge_compareILb0ELb1EaNS0_19identity_decomposerEEEEE10hipError_tT0_T1_T2_jT3_P12ihipStream_tbPNSt15iterator_traitsISE_E10value_typeEPNSK_ISF_E10value_typeEPSG_NS1_7vsmem_tEENKUlT_SE_SF_SG_E_clIS8_S8_S9_S9_EESD_ST_SE_SF_SG_EUlST_E0_NS1_11comp_targetILNS1_3genE0ELNS1_11target_archE4294967295ELNS1_3gpuE0ELNS1_3repE0EEENS1_38merge_mergepath_config_static_selectorELNS0_4arch9wavefront6targetE0EEEvSF_,comdat
	.protected	_ZN7rocprim17ROCPRIM_400000_NS6detail17trampoline_kernelINS0_14default_configENS1_38merge_sort_block_merge_config_selectorIaNS0_10empty_typeEEEZZNS1_27merge_sort_block_merge_implIS3_PaPS5_jNS1_19radix_merge_compareILb0ELb1EaNS0_19identity_decomposerEEEEE10hipError_tT0_T1_T2_jT3_P12ihipStream_tbPNSt15iterator_traitsISE_E10value_typeEPNSK_ISF_E10value_typeEPSG_NS1_7vsmem_tEENKUlT_SE_SF_SG_E_clIS8_S8_S9_S9_EESD_ST_SE_SF_SG_EUlST_E0_NS1_11comp_targetILNS1_3genE0ELNS1_11target_archE4294967295ELNS1_3gpuE0ELNS1_3repE0EEENS1_38merge_mergepath_config_static_selectorELNS0_4arch9wavefront6targetE0EEEvSF_ ; -- Begin function _ZN7rocprim17ROCPRIM_400000_NS6detail17trampoline_kernelINS0_14default_configENS1_38merge_sort_block_merge_config_selectorIaNS0_10empty_typeEEEZZNS1_27merge_sort_block_merge_implIS3_PaPS5_jNS1_19radix_merge_compareILb0ELb1EaNS0_19identity_decomposerEEEEE10hipError_tT0_T1_T2_jT3_P12ihipStream_tbPNSt15iterator_traitsISE_E10value_typeEPNSK_ISF_E10value_typeEPSG_NS1_7vsmem_tEENKUlT_SE_SF_SG_E_clIS8_S8_S9_S9_EESD_ST_SE_SF_SG_EUlST_E0_NS1_11comp_targetILNS1_3genE0ELNS1_11target_archE4294967295ELNS1_3gpuE0ELNS1_3repE0EEENS1_38merge_mergepath_config_static_selectorELNS0_4arch9wavefront6targetE0EEEvSF_
	.globl	_ZN7rocprim17ROCPRIM_400000_NS6detail17trampoline_kernelINS0_14default_configENS1_38merge_sort_block_merge_config_selectorIaNS0_10empty_typeEEEZZNS1_27merge_sort_block_merge_implIS3_PaPS5_jNS1_19radix_merge_compareILb0ELb1EaNS0_19identity_decomposerEEEEE10hipError_tT0_T1_T2_jT3_P12ihipStream_tbPNSt15iterator_traitsISE_E10value_typeEPNSK_ISF_E10value_typeEPSG_NS1_7vsmem_tEENKUlT_SE_SF_SG_E_clIS8_S8_S9_S9_EESD_ST_SE_SF_SG_EUlST_E0_NS1_11comp_targetILNS1_3genE0ELNS1_11target_archE4294967295ELNS1_3gpuE0ELNS1_3repE0EEENS1_38merge_mergepath_config_static_selectorELNS0_4arch9wavefront6targetE0EEEvSF_
	.p2align	8
	.type	_ZN7rocprim17ROCPRIM_400000_NS6detail17trampoline_kernelINS0_14default_configENS1_38merge_sort_block_merge_config_selectorIaNS0_10empty_typeEEEZZNS1_27merge_sort_block_merge_implIS3_PaPS5_jNS1_19radix_merge_compareILb0ELb1EaNS0_19identity_decomposerEEEEE10hipError_tT0_T1_T2_jT3_P12ihipStream_tbPNSt15iterator_traitsISE_E10value_typeEPNSK_ISF_E10value_typeEPSG_NS1_7vsmem_tEENKUlT_SE_SF_SG_E_clIS8_S8_S9_S9_EESD_ST_SE_SF_SG_EUlST_E0_NS1_11comp_targetILNS1_3genE0ELNS1_11target_archE4294967295ELNS1_3gpuE0ELNS1_3repE0EEENS1_38merge_mergepath_config_static_selectorELNS0_4arch9wavefront6targetE0EEEvSF_,@function
_ZN7rocprim17ROCPRIM_400000_NS6detail17trampoline_kernelINS0_14default_configENS1_38merge_sort_block_merge_config_selectorIaNS0_10empty_typeEEEZZNS1_27merge_sort_block_merge_implIS3_PaPS5_jNS1_19radix_merge_compareILb0ELb1EaNS0_19identity_decomposerEEEEE10hipError_tT0_T1_T2_jT3_P12ihipStream_tbPNSt15iterator_traitsISE_E10value_typeEPNSK_ISF_E10value_typeEPSG_NS1_7vsmem_tEENKUlT_SE_SF_SG_E_clIS8_S8_S9_S9_EESD_ST_SE_SF_SG_EUlST_E0_NS1_11comp_targetILNS1_3genE0ELNS1_11target_archE4294967295ELNS1_3gpuE0ELNS1_3repE0EEENS1_38merge_mergepath_config_static_selectorELNS0_4arch9wavefront6targetE0EEEvSF_: ; @_ZN7rocprim17ROCPRIM_400000_NS6detail17trampoline_kernelINS0_14default_configENS1_38merge_sort_block_merge_config_selectorIaNS0_10empty_typeEEEZZNS1_27merge_sort_block_merge_implIS3_PaPS5_jNS1_19radix_merge_compareILb0ELb1EaNS0_19identity_decomposerEEEEE10hipError_tT0_T1_T2_jT3_P12ihipStream_tbPNSt15iterator_traitsISE_E10value_typeEPNSK_ISF_E10value_typeEPSG_NS1_7vsmem_tEENKUlT_SE_SF_SG_E_clIS8_S8_S9_S9_EESD_ST_SE_SF_SG_EUlST_E0_NS1_11comp_targetILNS1_3genE0ELNS1_11target_archE4294967295ELNS1_3gpuE0ELNS1_3repE0EEENS1_38merge_mergepath_config_static_selectorELNS0_4arch9wavefront6targetE0EEEvSF_
; %bb.0:
	s_bfe_u32 s2, ttmp6, 0x40010
	s_and_b32 s4, ttmp7, 0xffff
	s_add_co_i32 s5, s2, 1
	s_clause 0x1
	s_load_b32 s6, s[0:1], 0x30
	s_load_b64 s[2:3], s[0:1], 0x40
	s_bfe_u32 s8, ttmp6, 0x4000c
	s_mul_i32 s5, s4, s5
	s_bfe_u32 s7, ttmp6, 0x40004
	s_add_co_i32 s8, s8, 1
	s_bfe_u32 s9, ttmp6, 0x40014
	s_add_co_i32 s7, s7, s5
	s_and_b32 s5, ttmp6, 15
	s_mul_i32 s8, ttmp9, s8
	s_lshr_b32 s10, ttmp7, 16
	s_add_co_i32 s9, s9, 1
	s_add_co_i32 s5, s5, s8
	s_mul_i32 s8, s10, s9
	s_bfe_u32 s9, ttmp6, 0x40008
	s_getreg_b32 s11, hwreg(HW_REG_IB_STS2, 6, 4)
	s_add_co_i32 s9, s9, s8
	s_cmp_eq_u32 s11, 0
	s_cselect_b32 s8, s10, s9
	s_cselect_b32 s4, s4, s7
	s_wait_kmcnt 0x0
	s_mul_i32 s8, s3, s8
	s_cselect_b32 s3, ttmp9, s5
	s_add_co_i32 s4, s8, s4
	s_mov_b32 s5, 0
	s_mul_i32 s4, s4, s2
	s_delay_alu instid0(SALU_CYCLE_1) | instskip(NEXT) | instid1(SALU_CYCLE_1)
	s_add_co_i32 s4, s4, s3
	s_cmp_ge_u32 s4, s6
	s_cbranch_scc1 .LBB432_49
; %bb.1:
	v_mov_b32_e32 v1, 0
	s_add_nc_u64 s[6:7], s[0:1], 64
	global_load_b32 v2, v1, s[6:7] offset:14
	s_clause 0x2
	s_load_b64 s[8:9], s[0:1], 0x28
	s_load_b64 s[10:11], s[0:1], 0x38
	;; [unrolled: 1-line block ×3, first 2 shown]
	s_wait_kmcnt 0x0
	s_lshr_b32 s20, s8, 10
	s_delay_alu instid0(SALU_CYCLE_1) | instskip(SKIP_2) | instid1(SALU_CYCLE_1)
	s_cmp_lg_u32 s4, s20
	s_cselect_b32 s14, -1, 0
	s_lshl_b64 s[16:17], s[4:5], 2
	s_add_nc_u64 s[10:11], s[10:11], s[16:17]
	s_load_b64 s[16:17], s[10:11], 0x0
	s_wait_xcnt 0x0
	s_lshr_b32 s10, s9, 9
	s_delay_alu instid0(SALU_CYCLE_1) | instskip(NEXT) | instid1(SALU_CYCLE_1)
	s_and_b32 s10, s10, 0x7ffffe
	s_sub_co_i32 s11, 0, s10
	s_lshl_b32 s10, s4, 10
	s_and_b32 s15, s4, s11
	s_or_b32 s11, s4, s11
	s_lshl_b32 s18, s15, 11
	s_lshl_b32 s15, s15, 10
	s_add_co_i32 s18, s18, s9
	s_sub_co_i32 s19, s10, s15
	s_sub_co_i32 s15, s18, s15
	s_add_co_i32 s18, s18, s19
	s_min_u32 s19, s8, s15
	s_add_co_i32 s15, s15, s9
	s_wait_kmcnt 0x0
	s_sub_co_i32 s9, s18, s16
	s_sub_co_i32 s21, s18, s17
	s_min_u32 s18, s8, s9
	s_addk_co_i32 s21, 0x400
	s_cmp_eq_u32 s11, -1
	s_cselect_b32 s9, s15, s21
	s_cselect_b32 s11, s19, s17
	s_min_u32 s15, s9, s8
	s_sub_co_i32 s9, s11, s16
	s_sub_co_i32 s15, s15, s18
	s_cmp_lt_u32 s3, s2
	s_mov_b32 s3, s5
	s_cselect_b32 s2, 12, 18
	s_mov_b32 s17, s5
	s_add_nc_u64 s[2:3], s[6:7], s[2:3]
	s_mov_b32 s19, s5
	s_load_u16 s2, s[2:3], 0x0
	s_add_nc_u64 s[6:7], s[12:13], s[16:17]
	s_cmp_eq_u32 s4, s20
	s_add_nc_u64 s[12:13], s[12:13], s[18:19]
	s_wait_loadcnt 0x0
	v_lshrrev_b32_e32 v3, 16, v2
	v_and_b32_e32 v2, 0xffff, v2
	s_delay_alu instid0(VALU_DEP_1) | instskip(SKIP_1) | instid1(VALU_DEP_1)
	v_mul_lo_u32 v2, v2, v3
	s_wait_kmcnt 0x0
	v_mul_lo_u32 v8, v2, s2
	s_mov_b32 s2, -1
	s_delay_alu instid0(VALU_DEP_1) | instskip(NEXT) | instid1(VALU_DEP_1)
	v_add_nc_u32_e32 v6, v8, v0
	v_add_nc_u32_e32 v4, v6, v8
	s_cbranch_scc1 .LBB432_3
; %bb.2:
	v_sub_co_u32 v10, vcc_lo, v0, s9
	v_dual_mov_b32 v11, v1 :: v_dual_mov_b32 v7, v1
	v_add_nc_u64_e32 v[2:3], s[6:7], v[0:1]
	v_sub_co_u32 v14, s2, v6, s9
	s_delay_alu instid0(VALU_DEP_3) | instskip(SKIP_3) | instid1(VALU_DEP_3)
	v_add_nc_u64_e32 v[10:11], s[12:13], v[10:11]
	v_dual_mov_b32 v15, v1 :: v_dual_mov_b32 v5, v1
	v_add_nc_u64_e32 v[12:13], s[6:7], v[6:7]
	v_dual_mov_b32 v17, v1 :: v_dual_add_nc_u32 v18, v4, v8
	v_add_nc_u64_e32 v[14:15], s[12:13], v[14:15]
	v_dual_cndmask_b32 v3, v11, v3 :: v_dual_cndmask_b32 v2, v10, v2
	v_sub_co_u32 v16, vcc_lo, v4, s9
	v_add_nc_u64_e32 v[10:11], s[6:7], v[4:5]
	s_delay_alu instid0(VALU_DEP_4) | instskip(SKIP_1) | instid1(VALU_DEP_4)
	v_dual_mov_b32 v19, v1 :: v_dual_cndmask_b32 v13, v15, v13, s2
	v_dual_cndmask_b32 v12, v14, v12, s2 :: v_dual_mov_b32 v25, v1
	v_add_nc_u64_e32 v[14:15], s[12:13], v[16:17]
	v_add_nc_u32_e32 v16, v18, v8
	s_delay_alu instid0(VALU_DEP_4)
	v_add_nc_u64_e32 v[20:21], s[6:7], v[18:19]
	v_sub_co_u32 v18, s2, v18, s9
	s_add_co_i32 s11, s15, s9
	v_dual_mov_b32 v27, v1 :: v_dual_cndmask_b32 v11, v15, v11, vcc_lo
	v_add_nc_u64_e32 v[22:23], s[6:7], v[16:17]
	v_sub_co_u32 v24, s3, v16, s9
	v_dual_add_nc_u32 v16, v16, v8 :: v_dual_cndmask_b32 v10, v14, v10, vcc_lo
	v_mov_b32_e32 v29, v1
	v_add_nc_u64_e32 v[14:15], s[12:13], v[18:19]
	s_delay_alu instid0(VALU_DEP_4) | instskip(NEXT) | instid1(VALU_DEP_4)
	v_add_nc_u64_e32 v[18:19], s[12:13], v[24:25]
	v_add_nc_u32_e32 v26, v16, v8
	v_add_nc_u64_e32 v[24:25], s[6:7], v[16:17]
	v_sub_co_u32 v16, vcc_lo, v16, s9
	s_delay_alu instid0(VALU_DEP_3) | instskip(SKIP_2) | instid1(VALU_DEP_4)
	v_add_nc_u32_e32 v28, v26, v8
	v_add_nc_u64_e32 v[30:31], s[6:7], v[26:27]
	v_sub_co_u32 v26, s4, v26, s9
	v_add_nc_u64_e32 v[16:17], s[12:13], v[16:17]
	s_delay_alu instid0(VALU_DEP_4) | instskip(SKIP_3) | instid1(VALU_DEP_3)
	v_add_nc_u64_e32 v[32:33], s[6:7], v[28:29]
	v_sub_co_u32 v28, s5, v28, s9
	v_dual_cndmask_b32 v15, v15, v21, s2 :: v_dual_cndmask_b32 v14, v14, v20, s2
	v_add_nc_u64_e32 v[26:27], s[12:13], v[26:27]
	v_add_nc_u64_e32 v[20:21], s[12:13], v[28:29]
	v_dual_cndmask_b32 v19, v19, v23, s3 :: v_dual_cndmask_b32 v18, v18, v22, s3
	v_dual_cndmask_b32 v17, v17, v25 :: v_dual_cndmask_b32 v16, v16, v24
	s_delay_alu instid0(VALU_DEP_4) | instskip(NEXT) | instid1(VALU_DEP_4)
	v_dual_cndmask_b32 v23, v27, v31, s4 :: v_dual_cndmask_b32 v22, v26, v30, s4
	v_dual_cndmask_b32 v21, v21, v33, s5 :: v_dual_cndmask_b32 v20, v20, v32, s5
	global_load_u8 v1, v[2:3], off
	global_load_u8 v5, v[12:13], off
	;; [unrolled: 1-line block ×8, first 2 shown]
	s_wait_loadcnt 0x6
	v_perm_b32 v1, v1, v5, 0xc0c0004
	s_wait_loadcnt 0x4
	v_perm_b32 v2, v7, v9, 0xc0c0004
	;; [unrolled: 2-line block ×4, first 2 shown]
	v_lshl_or_b32 v2, v2, 16, v1
	s_delay_alu instid0(VALU_DEP_2)
	v_lshl_or_b32 v3, v5, 16, v3
	s_cbranch_execz .LBB432_4
	s_branch .LBB432_19
.LBB432_3:
                                        ; implicit-def: $vgpr2_vgpr3
                                        ; implicit-def: $sgpr11
	s_and_not1_b32 vcc_lo, exec_lo, s2
	s_cbranch_vccnz .LBB432_19
.LBB432_4:
	v_mov_b64_e32 v[2:3], 0
	s_add_co_i32 s11, s15, s9
	s_mov_b32 s2, exec_lo
	v_cmpx_gt_u32_e64 s11, v0
	s_cbranch_execnz .LBB432_50
; %bb.5:
	s_or_b32 exec_lo, exec_lo, s2
	s_delay_alu instid0(SALU_CYCLE_1)
	s_mov_b32 s2, exec_lo
	v_cmpx_gt_u32_e64 s11, v6
	s_cbranch_execnz .LBB432_51
.LBB432_6:
	s_or_b32 exec_lo, exec_lo, s2
	s_delay_alu instid0(SALU_CYCLE_1)
	s_mov_b32 s2, exec_lo
	v_cmpx_gt_u32_e64 s11, v4
	s_cbranch_execz .LBB432_8
.LBB432_7:
	v_sub_co_u32 v10, vcc_lo, v4, s9
	v_mov_b32_e32 v5, 0
	s_delay_alu instid0(VALU_DEP_1) | instskip(SKIP_1) | instid1(VALU_DEP_1)
	v_add_nc_u64_e32 v[6:7], s[6:7], v[4:5]
	v_mov_b32_e32 v11, v5
	v_add_nc_u64_e32 v[10:11], s[12:13], v[10:11]
	s_delay_alu instid0(VALU_DEP_1) | instskip(SKIP_3) | instid1(VALU_DEP_1)
	v_dual_cndmask_b32 v7, v11, v7 :: v_dual_cndmask_b32 v6, v10, v6
	global_load_u8 v1, v[6:7], off
	s_wait_loadcnt 0x0
	v_perm_b32 v1, v1, v2, 0xc0c0304
	v_lshlrev_b32_e32 v1, 16, v1
	s_delay_alu instid0(VALU_DEP_1)
	v_and_or_b32 v2, 0xffff, v2, v1
.LBB432_8:
	s_or_b32 exec_lo, exec_lo, s2
	v_add_nc_u32_e32 v4, v4, v8
	s_mov_b32 s2, exec_lo
	s_delay_alu instid0(VALU_DEP_1)
	v_cmpx_gt_u32_e64 s11, v4
	s_cbranch_execz .LBB432_10
; %bb.9:
	v_sub_co_u32 v10, vcc_lo, v4, s9
	v_mov_b32_e32 v5, 0
	s_delay_alu instid0(VALU_DEP_1) | instskip(SKIP_1) | instid1(VALU_DEP_1)
	v_add_nc_u64_e32 v[6:7], s[6:7], v[4:5]
	v_mov_b32_e32 v11, v5
	v_add_nc_u64_e32 v[10:11], s[12:13], v[10:11]
	s_delay_alu instid0(VALU_DEP_1) | instskip(SKIP_3) | instid1(VALU_DEP_1)
	v_dual_cndmask_b32 v7, v11, v7 :: v_dual_cndmask_b32 v6, v10, v6
	global_load_u8 v1, v[6:7], off
	s_wait_loadcnt 0x0
	v_perm_b32 v1, v2, v1, 0xc0c0006
	v_lshlrev_b32_e32 v1, 16, v1
	s_delay_alu instid0(VALU_DEP_1)
	v_and_or_b32 v2, 0xffff, v2, v1
.LBB432_10:
	s_or_b32 exec_lo, exec_lo, s2
	v_add_nc_u32_e32 v4, v4, v8
	s_mov_b32 s2, exec_lo
	s_delay_alu instid0(VALU_DEP_1)
	v_cmpx_gt_u32_e64 s11, v4
	s_cbranch_execz .LBB432_12
; %bb.11:
	v_sub_co_u32 v10, vcc_lo, v4, s9
	v_mov_b32_e32 v5, 0
	s_delay_alu instid0(VALU_DEP_1) | instskip(SKIP_1) | instid1(VALU_DEP_1)
	v_add_nc_u64_e32 v[6:7], s[6:7], v[4:5]
	v_mov_b32_e32 v11, v5
	v_add_nc_u64_e32 v[10:11], s[12:13], v[10:11]
	s_delay_alu instid0(VALU_DEP_1)
	v_dual_cndmask_b32 v7, v11, v7 :: v_dual_cndmask_b32 v6, v10, v6
	global_load_u8 v1, v[6:7], off
	s_wait_loadcnt 0x0
	v_perm_b32 v3, v1, v3, 0x3020104
.LBB432_12:
	s_or_b32 exec_lo, exec_lo, s2
	v_add_nc_u32_e32 v4, v4, v8
	s_mov_b32 s2, exec_lo
	s_delay_alu instid0(VALU_DEP_1)
	v_cmpx_gt_u32_e64 s11, v4
	s_cbranch_execz .LBB432_14
; %bb.13:
	v_sub_co_u32 v10, vcc_lo, v4, s9
	v_mov_b32_e32 v5, 0
	s_delay_alu instid0(VALU_DEP_1) | instskip(SKIP_1) | instid1(VALU_DEP_1)
	v_add_nc_u64_e32 v[6:7], s[6:7], v[4:5]
	v_mov_b32_e32 v11, v5
	v_add_nc_u64_e32 v[10:11], s[12:13], v[10:11]
	s_delay_alu instid0(VALU_DEP_1)
	v_dual_cndmask_b32 v7, v11, v7 :: v_dual_cndmask_b32 v6, v10, v6
	global_load_u8 v1, v[6:7], off
	s_wait_loadcnt 0x0
	v_perm_b32 v3, v3, v1, 0x7060004
.LBB432_14:
	;; [unrolled: 19-line block ×3, first 2 shown]
	s_or_b32 exec_lo, exec_lo, s2
	v_add_nc_u32_e32 v4, v4, v8
	s_mov_b32 s2, exec_lo
	s_delay_alu instid0(VALU_DEP_1)
	v_cmpx_gt_u32_e64 s11, v4
	s_cbranch_execz .LBB432_18
; %bb.17:
	v_mov_b32_e32 v5, 0
	s_delay_alu instid0(VALU_DEP_1) | instskip(SKIP_1) | instid1(VALU_DEP_1)
	v_add_nc_u64_e32 v[6:7], s[6:7], v[4:5]
	v_sub_co_u32 v4, vcc_lo, v4, s9
	v_add_nc_u64_e32 v[4:5], s[12:13], v[4:5]
	s_delay_alu instid0(VALU_DEP_1)
	v_dual_cndmask_b32 v5, v5, v7 :: v_dual_cndmask_b32 v4, v4, v6
	global_load_u8 v1, v[4:5], off
	s_wait_loadcnt 0x0
	v_perm_b32 v3, v3, v1, 0x60504
.LBB432_18:
	s_or_b32 exec_lo, exec_lo, s2
.LBB432_19:
	s_clause 0x1
	s_load_b64 s[12:13], s[0:1], 0x10
	s_load_b32 s16, s[0:1], 0x34
	v_dual_lshlrev_b32 v6, 3, v0 :: v_dual_lshrrev_b32 v7, 8, v2
	v_lshrrev_b64 v[4:5], 24, v[2:3]
	v_dual_lshrrev_b32 v8, 16, v2 :: v_dual_lshrrev_b32 v9, 8, v3
	s_delay_alu instid0(VALU_DEP_3)
	v_min_u32_e32 v1, s11, v6
	v_dual_lshrrev_b32 v10, 16, v3 :: v_dual_lshrrev_b32 v11, 24, v3
	s_wait_xcnt 0x0
	s_mov_b32 s0, exec_lo
	ds_store_b8 v0, v2
	ds_store_b8 v0, v7 offset:128
	ds_store_b8 v0, v8 offset:256
	;; [unrolled: 1-line block ×7, first 2 shown]
	v_sub_nc_u32_e64 v5, v1, s15 clamp
	v_min_u32_e32 v12, s9, v1
	s_wait_dscnt 0x0
	s_barrier_signal -1
	s_barrier_wait -1
	s_delay_alu instid0(VALU_DEP_1)
	v_cmpx_lt_u32_e64 v5, v12
	s_cbranch_execz .LBB432_23
; %bb.20:
	v_add_nc_u32_e32 v13, s9, v1
	s_mov_b32 s1, 0
.LBB432_21:                             ; =>This Inner Loop Header: Depth=1
	v_add_nc_u32_e32 v14, v12, v5
	s_delay_alu instid0(VALU_DEP_1) | instskip(NEXT) | instid1(VALU_DEP_1)
	v_lshrrev_b32_e32 v14, 1, v14
	v_xad_u32 v15, v14, -1, v13
	ds_load_u8 v16, v14
	ds_load_u8 v15, v15
	s_wait_dscnt 0x1
	s_wait_kmcnt 0x0
	v_and_b32_e32 v16, s16, v16
	s_wait_dscnt 0x0
	v_and_b32_e32 v15, s16, v15
	s_delay_alu instid0(VALU_DEP_2) | instskip(NEXT) | instid1(VALU_DEP_2)
	v_bfe_i32 v16, v16, 0, 8
	v_bfe_i32 v15, v15, 0, 8
	s_delay_alu instid0(VALU_DEP_1) | instskip(SKIP_1) | instid1(VALU_DEP_1)
	v_cmp_gt_i16_e32 vcc_lo, v16, v15
	v_dual_cndmask_b32 v12, v12, v14 :: v_dual_add_nc_u32 v17, 1, v14
	v_cndmask_b32_e32 v5, v17, v5, vcc_lo
	s_delay_alu instid0(VALU_DEP_1) | instskip(SKIP_1) | instid1(SALU_CYCLE_1)
	v_cmp_ge_u32_e32 vcc_lo, v5, v12
	s_or_b32 s1, vcc_lo, s1
	s_and_not1_b32 exec_lo, exec_lo, s1
	s_cbranch_execnz .LBB432_21
; %bb.22:
	s_or_b32 exec_lo, exec_lo, s1
.LBB432_23:
	s_delay_alu instid0(SALU_CYCLE_1) | instskip(SKIP_2) | instid1(VALU_DEP_2)
	s_or_b32 exec_lo, exec_lo, s0
	v_sub_nc_u32_e32 v1, v1, v5
	v_cmp_ge_u32_e32 vcc_lo, s9, v5
	v_add_nc_u32_e32 v12, s9, v1
	s_delay_alu instid0(VALU_DEP_1) | instskip(SKIP_1) | instid1(SALU_CYCLE_1)
	v_cmp_ge_u32_e64 s0, s11, v12
	s_or_b32 s0, vcc_lo, s0
	s_and_saveexec_b32 s15, s0
	s_cbranch_execz .LBB432_29
; %bb.24:
	v_cmp_gt_u32_e32 vcc_lo, s9, v5
                                        ; implicit-def: $vgpr1
	s_and_saveexec_b32 s0, vcc_lo
; %bb.25:
	ds_load_u8 v1, v5
; %bb.26:
	s_or_b32 exec_lo, exec_lo, s0
	v_cmp_le_u32_e64 s0, s11, v12
	s_mov_b32 s2, exec_lo
                                        ; implicit-def: $vgpr2
	v_cmpx_gt_u32_e64 s11, v12
; %bb.27:
	ds_load_u8 v2, v12
; %bb.28:
	s_or_b32 exec_lo, exec_lo, s2
	s_wait_dscnt 0x0
	s_wait_kmcnt 0x0
	v_and_b32_e32 v3, s16, v2
	v_and_b32_e32 v4, s16, v1
	s_delay_alu instid0(VALU_DEP_2) | instskip(NEXT) | instid1(VALU_DEP_2)
	v_bfe_i32 v3, v3, 0, 8
	v_bfe_i32 v4, v4, 0, 8
	s_delay_alu instid0(VALU_DEP_1) | instskip(SKIP_2) | instid1(SALU_CYCLE_1)
	v_cmp_le_i16_e64 s1, v4, v3
	v_mov_b32_e32 v3, s9
	s_and_b32 s1, vcc_lo, s1
	s_or_b32 vcc_lo, s0, s1
	v_cndmask_b32_e32 v4, v12, v5, vcc_lo
	s_delay_alu instid0(VALU_DEP_1) | instskip(NEXT) | instid1(VALU_DEP_1)
	v_dual_cndmask_b32 v7, s11, v3 :: v_dual_add_nc_u32 v4, 1, v4
	v_add_min_u32_e64 v7, v7, -1, v4
	v_cndmask_b32_e32 v5, v5, v4, vcc_lo
	v_cndmask_b32_e32 v4, v4, v12, vcc_lo
	ds_load_u8 v7, v7
	v_cmp_gt_u32_e64 s0, s9, v5
	v_cmp_le_u32_e64 s2, s11, v4
	s_wait_dscnt 0x0
	v_dual_cndmask_b32 v8, v7, v2 :: v_dual_cndmask_b32 v7, v1, v7
	s_delay_alu instid0(VALU_DEP_1) | instskip(NEXT) | instid1(VALU_DEP_2)
	v_and_b32_e32 v9, s16, v8
	v_and_b32_e32 v10, s16, v7
	s_delay_alu instid0(VALU_DEP_2) | instskip(NEXT) | instid1(VALU_DEP_2)
	v_bfe_i32 v9, v9, 0, 8
	v_bfe_i32 v10, v10, 0, 8
	s_delay_alu instid0(VALU_DEP_1) | instskip(SKIP_1) | instid1(SALU_CYCLE_1)
	v_cmp_le_i16_e64 s1, v10, v9
	s_and_b32 s0, s0, s1
	s_or_b32 s0, s2, s0
	s_delay_alu instid0(SALU_CYCLE_1) | instskip(NEXT) | instid1(VALU_DEP_1)
	v_cndmask_b32_e64 v9, v4, v5, s0
	v_dual_cndmask_b32 v10, s11, v3, s0 :: v_dual_add_nc_u32 v9, 1, v9
	s_delay_alu instid0(VALU_DEP_1)
	v_add_min_u32_e64 v10, v10, -1, v9
	v_cndmask_b32_e64 v5, v5, v9, s0
	v_cndmask_b32_e64 v4, v9, v4, s0
	ds_load_u8 v10, v10
	v_cmp_gt_u32_e64 s1, s9, v5
	v_cmp_le_u32_e64 s3, s11, v4
	s_wait_dscnt 0x0
	v_dual_cndmask_b32 v11, v10, v8, s0 :: v_dual_cndmask_b32 v10, v7, v10, s0
	v_cndmask_b32_e64 v7, v8, v7, s0
	s_delay_alu instid0(VALU_DEP_2) | instskip(NEXT) | instid1(VALU_DEP_3)
	v_and_b32_e32 v12, s16, v11
	v_and_b32_e32 v13, s16, v10
	s_delay_alu instid0(VALU_DEP_2) | instskip(NEXT) | instid1(VALU_DEP_2)
	v_bfe_i32 v12, v12, 0, 8
	v_bfe_i32 v13, v13, 0, 8
	s_delay_alu instid0(VALU_DEP_1) | instskip(SKIP_1) | instid1(SALU_CYCLE_1)
	v_cmp_le_i16_e64 s2, v13, v12
	s_and_b32 s1, s1, s2
	s_or_b32 s1, s3, s1
	s_delay_alu instid0(SALU_CYCLE_1) | instskip(SKIP_1) | instid1(VALU_DEP_2)
	v_cndmask_b32_e64 v9, v4, v5, s1
	v_cndmask_b32_e64 v12, s11, v3, s1
	v_dual_cndmask_b32 v8, v11, v10, s1 :: v_dual_add_nc_u32 v9, 1, v9
	s_delay_alu instid0(VALU_DEP_1)
	v_add_min_u32_e64 v12, v12, -1, v9
	v_cndmask_b32_e64 v4, v9, v4, s1
	ds_load_u8 v12, v12
	v_cmp_le_u32_e64 s4, s11, v4
	s_wait_dscnt 0x0
	v_dual_cndmask_b32 v13, v12, v11, s1 :: v_dual_cndmask_b32 v12, v10, v12, s1
	s_delay_alu instid0(VALU_DEP_1) | instskip(NEXT) | instid1(VALU_DEP_2)
	v_dual_cndmask_b32 v5, v5, v9, s1 :: v_dual_bitop2_b32 v15, s16, v12 bitop3:0x40
	v_and_b32_e32 v14, s16, v13
	s_delay_alu instid0(VALU_DEP_2) | instskip(NEXT) | instid1(VALU_DEP_3)
	v_cmp_gt_u32_e64 s2, s9, v5
	v_bfe_i32 v15, v15, 0, 8
	s_delay_alu instid0(VALU_DEP_3) | instskip(NEXT) | instid1(VALU_DEP_1)
	v_bfe_i32 v14, v14, 0, 8
	v_cmp_le_i16_e64 s3, v15, v14
	s_and_b32 s2, s2, s3
	s_delay_alu instid0(SALU_CYCLE_1) | instskip(NEXT) | instid1(SALU_CYCLE_1)
	s_or_b32 s2, s4, s2
	v_cndmask_b32_e64 v9, v4, v5, s2
	s_delay_alu instid0(VALU_DEP_1) | instskip(NEXT) | instid1(VALU_DEP_1)
	v_dual_cndmask_b32 v14, s11, v3, s2 :: v_dual_add_nc_u32 v9, 1, v9
	v_add_min_u32_e64 v14, v14, -1, v9
	v_cndmask_b32_e64 v4, v9, v4, s2
	ds_load_u8 v14, v14
	v_cmp_le_u32_e64 s5, s11, v4
	s_wait_dscnt 0x0
	v_dual_cndmask_b32 v15, v14, v13, s2 :: v_dual_cndmask_b32 v14, v12, v14, s2
	s_delay_alu instid0(VALU_DEP_1) | instskip(NEXT) | instid1(VALU_DEP_2)
	v_and_b32_e32 v17, s16, v14
	v_dual_cndmask_b32 v5, v5, v9, s2 :: v_dual_bitop2_b32 v16, s16, v15 bitop3:0x40
	s_delay_alu instid0(VALU_DEP_2) | instskip(NEXT) | instid1(VALU_DEP_2)
	v_bfe_i32 v17, v17, 0, 8
	v_bfe_i32 v16, v16, 0, 8
	s_delay_alu instid0(VALU_DEP_3) | instskip(NEXT) | instid1(VALU_DEP_2)
	v_cmp_gt_u32_e64 s3, s9, v5
	v_cmp_le_i16_e64 s4, v17, v16
	s_and_b32 s3, s3, s4
	s_delay_alu instid0(SALU_CYCLE_1) | instskip(NEXT) | instid1(SALU_CYCLE_1)
	s_or_b32 s3, s5, s3
	v_cndmask_b32_e64 v9, v4, v5, s3
	s_delay_alu instid0(VALU_DEP_1) | instskip(NEXT) | instid1(VALU_DEP_1)
	v_dual_cndmask_b32 v16, s11, v3, s3 :: v_dual_add_nc_u32 v9, 1, v9
	v_add_min_u32_e64 v16, v16, -1, v9
	ds_load_u8 v16, v16
	s_wait_dscnt 0x0
	v_dual_cndmask_b32 v17, v16, v15, s3 :: v_dual_cndmask_b32 v16, v14, v16, s3
	v_cndmask_b32_e64 v5, v5, v9, s3
	s_delay_alu instid0(VALU_DEP_2) | instskip(NEXT) | instid1(VALU_DEP_3)
	v_and_b32_e32 v18, s16, v17
	v_and_b32_e32 v19, s16, v16
	v_cndmask_b32_e64 v4, v9, v4, s3
	s_delay_alu instid0(VALU_DEP_4) | instskip(NEXT) | instid1(VALU_DEP_4)
	v_cmp_gt_u32_e64 s4, s9, v5
	v_bfe_i32 v18, v18, 0, 8
	s_delay_alu instid0(VALU_DEP_4) | instskip(NEXT) | instid1(VALU_DEP_4)
	v_bfe_i32 v19, v19, 0, 8
	v_cmp_le_u32_e64 s6, s11, v4
	s_delay_alu instid0(VALU_DEP_2) | instskip(SKIP_1) | instid1(SALU_CYCLE_1)
	v_cmp_le_i16_e64 s5, v19, v18
	s_and_b32 s4, s4, s5
	s_or_b32 s4, s6, s4
	s_delay_alu instid0(SALU_CYCLE_1) | instskip(NEXT) | instid1(VALU_DEP_1)
	v_cndmask_b32_e64 v9, v4, v5, s4
	v_dual_cndmask_b32 v18, s11, v3, s4 :: v_dual_add_nc_u32 v9, 1, v9
	s_delay_alu instid0(VALU_DEP_1)
	v_add_min_u32_e64 v18, v18, -1, v9
	v_cndmask_b32_e64 v5, v5, v9, s4
	ds_load_u8 v18, v18
	v_cmp_gt_u32_e64 s5, s9, v5
	s_wait_dscnt 0x0
	v_dual_cndmask_b32 v19, v18, v17, s4 :: v_dual_cndmask_b32 v18, v16, v18, s4
	s_delay_alu instid0(VALU_DEP_1) | instskip(NEXT) | instid1(VALU_DEP_2)
	v_dual_cndmask_b32 v4, v9, v4, s4 :: v_dual_bitop2_b32 v20, s16, v19 bitop3:0x40
	v_and_b32_e32 v21, s16, v18
	s_delay_alu instid0(VALU_DEP_2) | instskip(NEXT) | instid1(VALU_DEP_3)
	v_cmp_le_u32_e64 s7, s11, v4
	v_bfe_i32 v20, v20, 0, 8
	s_delay_alu instid0(VALU_DEP_3) | instskip(NEXT) | instid1(VALU_DEP_1)
	v_bfe_i32 v21, v21, 0, 8
	v_cmp_le_i16_e64 s6, v21, v20
	s_and_b32 s5, s5, s6
	s_delay_alu instid0(SALU_CYCLE_1) | instskip(NEXT) | instid1(SALU_CYCLE_1)
	s_or_b32 s5, s7, s5
	v_cndmask_b32_e64 v9, v4, v5, s5
	v_cndmask_b32_e64 v3, s11, v3, s5
	s_delay_alu instid0(VALU_DEP_2) | instskip(SKIP_1) | instid1(VALU_DEP_2)
	v_dual_cndmask_b32 v10, v19, v18, s5 :: v_dual_add_nc_u32 v9, 1, v9
	v_cndmask_b32_e32 v2, v2, v1, vcc_lo
	v_add_min_u32_e64 v3, v3, -1, v9
	v_cndmask_b32_e64 v1, v5, v9, s5
	v_cndmask_b32_e64 v9, v9, v4, s5
	;; [unrolled: 1-line block ×3, first 2 shown]
	ds_load_u8 v3, v3
	v_cmp_gt_u32_e32 vcc_lo, s9, v1
	v_cmp_le_u32_e64 s1, s11, v9
	s_wait_dscnt 0x0
	v_dual_cndmask_b32 v9, v17, v16, s4 :: v_dual_cndmask_b32 v20, v3, v19, s5
	s_delay_alu instid0(VALU_DEP_1) | instskip(NEXT) | instid1(VALU_DEP_1)
	v_dual_cndmask_b32 v21, v18, v3, s5 :: v_dual_bitop2_b32 v3, s16, v20 bitop3:0x40
	v_and_b32_e32 v22, s16, v21
	s_delay_alu instid0(VALU_DEP_2) | instskip(NEXT) | instid1(VALU_DEP_2)
	v_bfe_i32 v3, v3, 0, 8
	v_bfe_i32 v5, v22, 0, 8
	s_delay_alu instid0(VALU_DEP_1) | instskip(SKIP_2) | instid1(SALU_CYCLE_1)
	v_cmp_le_i16_e64 s0, v5, v3
	v_cndmask_b32_e64 v3, v15, v14, s3
	s_and_b32 s0, vcc_lo, s0
	s_or_b32 vcc_lo, s1, s0
	v_cndmask_b32_e32 v11, v20, v21, vcc_lo
.LBB432_29:
	s_or_b32 exec_lo, exec_lo, s15
	v_dual_lshrrev_b32 v5, 2, v0 :: v_dual_mov_b32 v1, 0
	v_perm_b32 v3, v3, v9, 0xc0c0004
	s_delay_alu instid0(VALU_DEP_3) | instskip(SKIP_1) | instid1(VALU_DEP_4)
	v_perm_b32 v9, v10, v11, 0xc0c0004
	v_perm_b32 v2, v2, v7, 0xc0c0004
	v_and_b32_e32 v5, 28, v5
	v_perm_b32 v4, v8, v4, 0xc0c0004
	s_mov_b32 s11, 0
	v_lshl_or_b32 v3, v9, 16, v3
	s_wait_kmcnt 0x0
	s_add_nc_u64 s[0:1], s[12:13], s[10:11]
	v_lshl_or_b32 v2, v4, 16, v2
	v_dual_add_nc_u32 v4, 4, v0 :: v_dual_add_nc_u32 v5, v5, v6
	v_add_nc_u32_e32 v6, 12, v0
	s_barrier_signal -1
	s_barrier_wait -1
	s_barrier_signal -1
	s_barrier_wait -1
	ds_store_2addr_b32 v5, v2, v3 offset1:1
	v_add_nc_u64_e32 v[2:3], s[0:1], v[0:1]
	v_dual_add_nc_u32 v5, 8, v0 :: v_dual_add_nc_u32 v7, 16, v0
	v_dual_add_nc_u32 v8, 20, v0 :: v_dual_add_nc_u32 v9, 24, v0
	v_add_nc_u32_e32 v10, 28, v0
	s_and_b32 vcc_lo, exec_lo, s14
	s_wait_dscnt 0x0
	s_cbranch_vccz .LBB432_31
; %bb.30:
	s_barrier_signal -1
	s_barrier_wait -1
	ds_load_u8 v11, v0
	ds_load_u8 v12, v4 offset:128
	ds_load_u8 v13, v5 offset:256
	;; [unrolled: 1-line block ×7, first 2 shown]
	s_mov_b32 s11, -1
	s_wait_dscnt 0x7
	global_store_b8 v[2:3], v11, off
	s_wait_dscnt 0x6
	global_store_b8 v[2:3], v12, off offset:128
	s_wait_dscnt 0x5
	global_store_b8 v[2:3], v13, off offset:256
	;; [unrolled: 2-line block ×6, first 2 shown]
	s_cbranch_execz .LBB432_32
	s_branch .LBB432_47
.LBB432_31:
                                        ; implicit-def: $vgpr1
.LBB432_32:
	s_barrier_signal -1
	s_barrier_wait -1
	s_wait_storecnt_dscnt 0x0
	s_wait_xcnt 0x4
	ds_load_u8 v13, v4 offset:128
	ds_load_u8 v12, v5 offset:256
	;; [unrolled: 1-line block ×7, first 2 shown]
	v_or_b32_e32 v7, 0x80, v0
	s_sub_co_i32 s0, s8, s10
	s_mov_b32 s1, exec_lo
	s_wait_xcnt 0x0
	v_cmpx_gt_u32_e64 s0, v0
	s_cbranch_execz .LBB432_34
; %bb.33:
	ds_load_u8 v8, v0
	s_wait_dscnt 0x0
	global_store_b8 v[2:3], v8, off
.LBB432_34:
	s_wait_xcnt 0x0
	s_or_b32 exec_lo, exec_lo, s1
	v_or_b32_e32 v8, 0x100, v0
	s_mov_b32 s1, exec_lo
	v_cmpx_gt_u32_e64 s0, v7
	s_cbranch_execz .LBB432_36
; %bb.35:
	s_wait_dscnt 0x6
	global_store_b8 v[2:3], v13, off offset:128
.LBB432_36:
	s_wait_xcnt 0x0
	s_or_b32 exec_lo, exec_lo, s1
	v_or_b32_e32 v7, 0x180, v0
	s_mov_b32 s1, exec_lo
	v_cmpx_gt_u32_e64 s0, v8
	s_cbranch_execz .LBB432_38
; %bb.37:
	s_wait_dscnt 0x5
	global_store_b8 v[2:3], v12, off offset:256
.LBB432_38:
	;; [unrolled: 10-line block ×4, first 2 shown]
	s_wait_xcnt 0x0
	s_or_b32 exec_lo, exec_lo, s1
	s_wait_dscnt 0x3
	v_or_b32_e32 v6, 0x300, v0
	s_mov_b32 s1, exec_lo
	v_cmpx_gt_u32_e64 s0, v7
	s_cbranch_execz .LBB432_44
; %bb.43:
	s_wait_dscnt 0x2
	global_store_b8 v[2:3], v5, off offset:640
.LBB432_44:
	s_wait_xcnt 0x0
	s_or_b32 exec_lo, exec_lo, s1
	v_or_b32_e32 v0, 0x380, v0
	s_mov_b32 s1, exec_lo
	v_cmpx_gt_u32_e64 s0, v6
	s_cbranch_execz .LBB432_46
; %bb.45:
	s_wait_dscnt 0x1
	global_store_b8 v[2:3], v4, off offset:768
.LBB432_46:
	s_wait_xcnt 0x0
	s_or_b32 exec_lo, exec_lo, s1
	v_cmp_gt_u32_e64 s11, s0, v0
.LBB432_47:
	s_wait_xcnt 0x0
	s_delay_alu instid0(VALU_DEP_1)
	s_and_saveexec_b32 s0, s11
	s_cbranch_execz .LBB432_49
; %bb.48:
	s_wait_dscnt 0x0
	global_store_b8 v[2:3], v1, off offset:896
.LBB432_49:
	s_endpgm
.LBB432_50:
	v_sub_co_u32 v10, vcc_lo, v0, s9
	v_mov_b32_e32 v1, 0
	s_mov_b32 s3, 0
	s_delay_alu instid0(VALU_DEP_1) | instskip(SKIP_1) | instid1(VALU_DEP_1)
	v_add_nc_u64_e32 v[2:3], s[6:7], v[0:1]
	v_mov_b32_e32 v11, v1
	v_add_nc_u64_e32 v[10:11], s[12:13], v[10:11]
	s_delay_alu instid0(VALU_DEP_1)
	v_dual_cndmask_b32 v3, v11, v3 :: v_dual_cndmask_b32 v2, v10, v2
	global_load_u8 v1, v[2:3], off
	s_wait_xcnt 0x0
	v_mov_b32_e32 v3, s3
	s_wait_loadcnt 0x0
	v_and_b32_e32 v2, 0xffff, v1
	s_or_b32 exec_lo, exec_lo, s2
	s_delay_alu instid0(SALU_CYCLE_1)
	s_mov_b32 s2, exec_lo
	v_cmpx_gt_u32_e64 s11, v6
	s_cbranch_execz .LBB432_6
.LBB432_51:
	v_mov_b32_e32 v7, 0
	s_delay_alu instid0(VALU_DEP_1) | instskip(SKIP_1) | instid1(VALU_DEP_1)
	v_add_nc_u64_e32 v[10:11], s[6:7], v[6:7]
	v_sub_co_u32 v6, vcc_lo, v6, s9
	v_add_nc_u64_e32 v[6:7], s[12:13], v[6:7]
	s_delay_alu instid0(VALU_DEP_1) | instskip(SKIP_4) | instid1(SALU_CYCLE_1)
	v_dual_cndmask_b32 v7, v7, v11 :: v_dual_cndmask_b32 v6, v6, v10
	global_load_u8 v1, v[6:7], off
	s_wait_loadcnt 0x0
	v_perm_b32 v2, v2, v1, 0x7060004
	s_or_b32 exec_lo, exec_lo, s2
	s_mov_b32 s2, exec_lo
	v_cmpx_gt_u32_e64 s11, v4
	s_cbranch_execnz .LBB432_7
	s_branch .LBB432_8
	.section	.rodata,"a",@progbits
	.p2align	6, 0x0
	.amdhsa_kernel _ZN7rocprim17ROCPRIM_400000_NS6detail17trampoline_kernelINS0_14default_configENS1_38merge_sort_block_merge_config_selectorIaNS0_10empty_typeEEEZZNS1_27merge_sort_block_merge_implIS3_PaPS5_jNS1_19radix_merge_compareILb0ELb1EaNS0_19identity_decomposerEEEEE10hipError_tT0_T1_T2_jT3_P12ihipStream_tbPNSt15iterator_traitsISE_E10value_typeEPNSK_ISF_E10value_typeEPSG_NS1_7vsmem_tEENKUlT_SE_SF_SG_E_clIS8_S8_S9_S9_EESD_ST_SE_SF_SG_EUlST_E0_NS1_11comp_targetILNS1_3genE0ELNS1_11target_archE4294967295ELNS1_3gpuE0ELNS1_3repE0EEENS1_38merge_mergepath_config_static_selectorELNS0_4arch9wavefront6targetE0EEEvSF_
		.amdhsa_group_segment_fixed_size 1056
		.amdhsa_private_segment_fixed_size 0
		.amdhsa_kernarg_size 320
		.amdhsa_user_sgpr_count 2
		.amdhsa_user_sgpr_dispatch_ptr 0
		.amdhsa_user_sgpr_queue_ptr 0
		.amdhsa_user_sgpr_kernarg_segment_ptr 1
		.amdhsa_user_sgpr_dispatch_id 0
		.amdhsa_user_sgpr_kernarg_preload_length 0
		.amdhsa_user_sgpr_kernarg_preload_offset 0
		.amdhsa_user_sgpr_private_segment_size 0
		.amdhsa_wavefront_size32 1
		.amdhsa_uses_dynamic_stack 0
		.amdhsa_enable_private_segment 0
		.amdhsa_system_sgpr_workgroup_id_x 1
		.amdhsa_system_sgpr_workgroup_id_y 1
		.amdhsa_system_sgpr_workgroup_id_z 1
		.amdhsa_system_sgpr_workgroup_info 0
		.amdhsa_system_vgpr_workitem_id 0
		.amdhsa_next_free_vgpr 34
		.amdhsa_next_free_sgpr 22
		.amdhsa_named_barrier_count 0
		.amdhsa_reserve_vcc 1
		.amdhsa_float_round_mode_32 0
		.amdhsa_float_round_mode_16_64 0
		.amdhsa_float_denorm_mode_32 3
		.amdhsa_float_denorm_mode_16_64 3
		.amdhsa_fp16_overflow 0
		.amdhsa_memory_ordered 1
		.amdhsa_forward_progress 1
		.amdhsa_inst_pref_size 33
		.amdhsa_round_robin_scheduling 0
		.amdhsa_exception_fp_ieee_invalid_op 0
		.amdhsa_exception_fp_denorm_src 0
		.amdhsa_exception_fp_ieee_div_zero 0
		.amdhsa_exception_fp_ieee_overflow 0
		.amdhsa_exception_fp_ieee_underflow 0
		.amdhsa_exception_fp_ieee_inexact 0
		.amdhsa_exception_int_div_zero 0
	.end_amdhsa_kernel
	.section	.text._ZN7rocprim17ROCPRIM_400000_NS6detail17trampoline_kernelINS0_14default_configENS1_38merge_sort_block_merge_config_selectorIaNS0_10empty_typeEEEZZNS1_27merge_sort_block_merge_implIS3_PaPS5_jNS1_19radix_merge_compareILb0ELb1EaNS0_19identity_decomposerEEEEE10hipError_tT0_T1_T2_jT3_P12ihipStream_tbPNSt15iterator_traitsISE_E10value_typeEPNSK_ISF_E10value_typeEPSG_NS1_7vsmem_tEENKUlT_SE_SF_SG_E_clIS8_S8_S9_S9_EESD_ST_SE_SF_SG_EUlST_E0_NS1_11comp_targetILNS1_3genE0ELNS1_11target_archE4294967295ELNS1_3gpuE0ELNS1_3repE0EEENS1_38merge_mergepath_config_static_selectorELNS0_4arch9wavefront6targetE0EEEvSF_,"axG",@progbits,_ZN7rocprim17ROCPRIM_400000_NS6detail17trampoline_kernelINS0_14default_configENS1_38merge_sort_block_merge_config_selectorIaNS0_10empty_typeEEEZZNS1_27merge_sort_block_merge_implIS3_PaPS5_jNS1_19radix_merge_compareILb0ELb1EaNS0_19identity_decomposerEEEEE10hipError_tT0_T1_T2_jT3_P12ihipStream_tbPNSt15iterator_traitsISE_E10value_typeEPNSK_ISF_E10value_typeEPSG_NS1_7vsmem_tEENKUlT_SE_SF_SG_E_clIS8_S8_S9_S9_EESD_ST_SE_SF_SG_EUlST_E0_NS1_11comp_targetILNS1_3genE0ELNS1_11target_archE4294967295ELNS1_3gpuE0ELNS1_3repE0EEENS1_38merge_mergepath_config_static_selectorELNS0_4arch9wavefront6targetE0EEEvSF_,comdat
.Lfunc_end432:
	.size	_ZN7rocprim17ROCPRIM_400000_NS6detail17trampoline_kernelINS0_14default_configENS1_38merge_sort_block_merge_config_selectorIaNS0_10empty_typeEEEZZNS1_27merge_sort_block_merge_implIS3_PaPS5_jNS1_19radix_merge_compareILb0ELb1EaNS0_19identity_decomposerEEEEE10hipError_tT0_T1_T2_jT3_P12ihipStream_tbPNSt15iterator_traitsISE_E10value_typeEPNSK_ISF_E10value_typeEPSG_NS1_7vsmem_tEENKUlT_SE_SF_SG_E_clIS8_S8_S9_S9_EESD_ST_SE_SF_SG_EUlST_E0_NS1_11comp_targetILNS1_3genE0ELNS1_11target_archE4294967295ELNS1_3gpuE0ELNS1_3repE0EEENS1_38merge_mergepath_config_static_selectorELNS0_4arch9wavefront6targetE0EEEvSF_, .Lfunc_end432-_ZN7rocprim17ROCPRIM_400000_NS6detail17trampoline_kernelINS0_14default_configENS1_38merge_sort_block_merge_config_selectorIaNS0_10empty_typeEEEZZNS1_27merge_sort_block_merge_implIS3_PaPS5_jNS1_19radix_merge_compareILb0ELb1EaNS0_19identity_decomposerEEEEE10hipError_tT0_T1_T2_jT3_P12ihipStream_tbPNSt15iterator_traitsISE_E10value_typeEPNSK_ISF_E10value_typeEPSG_NS1_7vsmem_tEENKUlT_SE_SF_SG_E_clIS8_S8_S9_S9_EESD_ST_SE_SF_SG_EUlST_E0_NS1_11comp_targetILNS1_3genE0ELNS1_11target_archE4294967295ELNS1_3gpuE0ELNS1_3repE0EEENS1_38merge_mergepath_config_static_selectorELNS0_4arch9wavefront6targetE0EEEvSF_
                                        ; -- End function
	.set _ZN7rocprim17ROCPRIM_400000_NS6detail17trampoline_kernelINS0_14default_configENS1_38merge_sort_block_merge_config_selectorIaNS0_10empty_typeEEEZZNS1_27merge_sort_block_merge_implIS3_PaPS5_jNS1_19radix_merge_compareILb0ELb1EaNS0_19identity_decomposerEEEEE10hipError_tT0_T1_T2_jT3_P12ihipStream_tbPNSt15iterator_traitsISE_E10value_typeEPNSK_ISF_E10value_typeEPSG_NS1_7vsmem_tEENKUlT_SE_SF_SG_E_clIS8_S8_S9_S9_EESD_ST_SE_SF_SG_EUlST_E0_NS1_11comp_targetILNS1_3genE0ELNS1_11target_archE4294967295ELNS1_3gpuE0ELNS1_3repE0EEENS1_38merge_mergepath_config_static_selectorELNS0_4arch9wavefront6targetE0EEEvSF_.num_vgpr, 34
	.set _ZN7rocprim17ROCPRIM_400000_NS6detail17trampoline_kernelINS0_14default_configENS1_38merge_sort_block_merge_config_selectorIaNS0_10empty_typeEEEZZNS1_27merge_sort_block_merge_implIS3_PaPS5_jNS1_19radix_merge_compareILb0ELb1EaNS0_19identity_decomposerEEEEE10hipError_tT0_T1_T2_jT3_P12ihipStream_tbPNSt15iterator_traitsISE_E10value_typeEPNSK_ISF_E10value_typeEPSG_NS1_7vsmem_tEENKUlT_SE_SF_SG_E_clIS8_S8_S9_S9_EESD_ST_SE_SF_SG_EUlST_E0_NS1_11comp_targetILNS1_3genE0ELNS1_11target_archE4294967295ELNS1_3gpuE0ELNS1_3repE0EEENS1_38merge_mergepath_config_static_selectorELNS0_4arch9wavefront6targetE0EEEvSF_.num_agpr, 0
	.set _ZN7rocprim17ROCPRIM_400000_NS6detail17trampoline_kernelINS0_14default_configENS1_38merge_sort_block_merge_config_selectorIaNS0_10empty_typeEEEZZNS1_27merge_sort_block_merge_implIS3_PaPS5_jNS1_19radix_merge_compareILb0ELb1EaNS0_19identity_decomposerEEEEE10hipError_tT0_T1_T2_jT3_P12ihipStream_tbPNSt15iterator_traitsISE_E10value_typeEPNSK_ISF_E10value_typeEPSG_NS1_7vsmem_tEENKUlT_SE_SF_SG_E_clIS8_S8_S9_S9_EESD_ST_SE_SF_SG_EUlST_E0_NS1_11comp_targetILNS1_3genE0ELNS1_11target_archE4294967295ELNS1_3gpuE0ELNS1_3repE0EEENS1_38merge_mergepath_config_static_selectorELNS0_4arch9wavefront6targetE0EEEvSF_.numbered_sgpr, 22
	.set _ZN7rocprim17ROCPRIM_400000_NS6detail17trampoline_kernelINS0_14default_configENS1_38merge_sort_block_merge_config_selectorIaNS0_10empty_typeEEEZZNS1_27merge_sort_block_merge_implIS3_PaPS5_jNS1_19radix_merge_compareILb0ELb1EaNS0_19identity_decomposerEEEEE10hipError_tT0_T1_T2_jT3_P12ihipStream_tbPNSt15iterator_traitsISE_E10value_typeEPNSK_ISF_E10value_typeEPSG_NS1_7vsmem_tEENKUlT_SE_SF_SG_E_clIS8_S8_S9_S9_EESD_ST_SE_SF_SG_EUlST_E0_NS1_11comp_targetILNS1_3genE0ELNS1_11target_archE4294967295ELNS1_3gpuE0ELNS1_3repE0EEENS1_38merge_mergepath_config_static_selectorELNS0_4arch9wavefront6targetE0EEEvSF_.num_named_barrier, 0
	.set _ZN7rocprim17ROCPRIM_400000_NS6detail17trampoline_kernelINS0_14default_configENS1_38merge_sort_block_merge_config_selectorIaNS0_10empty_typeEEEZZNS1_27merge_sort_block_merge_implIS3_PaPS5_jNS1_19radix_merge_compareILb0ELb1EaNS0_19identity_decomposerEEEEE10hipError_tT0_T1_T2_jT3_P12ihipStream_tbPNSt15iterator_traitsISE_E10value_typeEPNSK_ISF_E10value_typeEPSG_NS1_7vsmem_tEENKUlT_SE_SF_SG_E_clIS8_S8_S9_S9_EESD_ST_SE_SF_SG_EUlST_E0_NS1_11comp_targetILNS1_3genE0ELNS1_11target_archE4294967295ELNS1_3gpuE0ELNS1_3repE0EEENS1_38merge_mergepath_config_static_selectorELNS0_4arch9wavefront6targetE0EEEvSF_.private_seg_size, 0
	.set _ZN7rocprim17ROCPRIM_400000_NS6detail17trampoline_kernelINS0_14default_configENS1_38merge_sort_block_merge_config_selectorIaNS0_10empty_typeEEEZZNS1_27merge_sort_block_merge_implIS3_PaPS5_jNS1_19radix_merge_compareILb0ELb1EaNS0_19identity_decomposerEEEEE10hipError_tT0_T1_T2_jT3_P12ihipStream_tbPNSt15iterator_traitsISE_E10value_typeEPNSK_ISF_E10value_typeEPSG_NS1_7vsmem_tEENKUlT_SE_SF_SG_E_clIS8_S8_S9_S9_EESD_ST_SE_SF_SG_EUlST_E0_NS1_11comp_targetILNS1_3genE0ELNS1_11target_archE4294967295ELNS1_3gpuE0ELNS1_3repE0EEENS1_38merge_mergepath_config_static_selectorELNS0_4arch9wavefront6targetE0EEEvSF_.uses_vcc, 1
	.set _ZN7rocprim17ROCPRIM_400000_NS6detail17trampoline_kernelINS0_14default_configENS1_38merge_sort_block_merge_config_selectorIaNS0_10empty_typeEEEZZNS1_27merge_sort_block_merge_implIS3_PaPS5_jNS1_19radix_merge_compareILb0ELb1EaNS0_19identity_decomposerEEEEE10hipError_tT0_T1_T2_jT3_P12ihipStream_tbPNSt15iterator_traitsISE_E10value_typeEPNSK_ISF_E10value_typeEPSG_NS1_7vsmem_tEENKUlT_SE_SF_SG_E_clIS8_S8_S9_S9_EESD_ST_SE_SF_SG_EUlST_E0_NS1_11comp_targetILNS1_3genE0ELNS1_11target_archE4294967295ELNS1_3gpuE0ELNS1_3repE0EEENS1_38merge_mergepath_config_static_selectorELNS0_4arch9wavefront6targetE0EEEvSF_.uses_flat_scratch, 0
	.set _ZN7rocprim17ROCPRIM_400000_NS6detail17trampoline_kernelINS0_14default_configENS1_38merge_sort_block_merge_config_selectorIaNS0_10empty_typeEEEZZNS1_27merge_sort_block_merge_implIS3_PaPS5_jNS1_19radix_merge_compareILb0ELb1EaNS0_19identity_decomposerEEEEE10hipError_tT0_T1_T2_jT3_P12ihipStream_tbPNSt15iterator_traitsISE_E10value_typeEPNSK_ISF_E10value_typeEPSG_NS1_7vsmem_tEENKUlT_SE_SF_SG_E_clIS8_S8_S9_S9_EESD_ST_SE_SF_SG_EUlST_E0_NS1_11comp_targetILNS1_3genE0ELNS1_11target_archE4294967295ELNS1_3gpuE0ELNS1_3repE0EEENS1_38merge_mergepath_config_static_selectorELNS0_4arch9wavefront6targetE0EEEvSF_.has_dyn_sized_stack, 0
	.set _ZN7rocprim17ROCPRIM_400000_NS6detail17trampoline_kernelINS0_14default_configENS1_38merge_sort_block_merge_config_selectorIaNS0_10empty_typeEEEZZNS1_27merge_sort_block_merge_implIS3_PaPS5_jNS1_19radix_merge_compareILb0ELb1EaNS0_19identity_decomposerEEEEE10hipError_tT0_T1_T2_jT3_P12ihipStream_tbPNSt15iterator_traitsISE_E10value_typeEPNSK_ISF_E10value_typeEPSG_NS1_7vsmem_tEENKUlT_SE_SF_SG_E_clIS8_S8_S9_S9_EESD_ST_SE_SF_SG_EUlST_E0_NS1_11comp_targetILNS1_3genE0ELNS1_11target_archE4294967295ELNS1_3gpuE0ELNS1_3repE0EEENS1_38merge_mergepath_config_static_selectorELNS0_4arch9wavefront6targetE0EEEvSF_.has_recursion, 0
	.set _ZN7rocprim17ROCPRIM_400000_NS6detail17trampoline_kernelINS0_14default_configENS1_38merge_sort_block_merge_config_selectorIaNS0_10empty_typeEEEZZNS1_27merge_sort_block_merge_implIS3_PaPS5_jNS1_19radix_merge_compareILb0ELb1EaNS0_19identity_decomposerEEEEE10hipError_tT0_T1_T2_jT3_P12ihipStream_tbPNSt15iterator_traitsISE_E10value_typeEPNSK_ISF_E10value_typeEPSG_NS1_7vsmem_tEENKUlT_SE_SF_SG_E_clIS8_S8_S9_S9_EESD_ST_SE_SF_SG_EUlST_E0_NS1_11comp_targetILNS1_3genE0ELNS1_11target_archE4294967295ELNS1_3gpuE0ELNS1_3repE0EEENS1_38merge_mergepath_config_static_selectorELNS0_4arch9wavefront6targetE0EEEvSF_.has_indirect_call, 0
	.section	.AMDGPU.csdata,"",@progbits
; Kernel info:
; codeLenInByte = 4192
; TotalNumSgprs: 24
; NumVgprs: 34
; ScratchSize: 0
; MemoryBound: 0
; FloatMode: 240
; IeeeMode: 1
; LDSByteSize: 1056 bytes/workgroup (compile time only)
; SGPRBlocks: 0
; VGPRBlocks: 2
; NumSGPRsForWavesPerEU: 24
; NumVGPRsForWavesPerEU: 34
; NamedBarCnt: 0
; Occupancy: 16
; WaveLimiterHint : 1
; COMPUTE_PGM_RSRC2:SCRATCH_EN: 0
; COMPUTE_PGM_RSRC2:USER_SGPR: 2
; COMPUTE_PGM_RSRC2:TRAP_HANDLER: 0
; COMPUTE_PGM_RSRC2:TGID_X_EN: 1
; COMPUTE_PGM_RSRC2:TGID_Y_EN: 1
; COMPUTE_PGM_RSRC2:TGID_Z_EN: 1
; COMPUTE_PGM_RSRC2:TIDIG_COMP_CNT: 0
	.section	.text._ZN7rocprim17ROCPRIM_400000_NS6detail17trampoline_kernelINS0_14default_configENS1_38merge_sort_block_merge_config_selectorIaNS0_10empty_typeEEEZZNS1_27merge_sort_block_merge_implIS3_PaPS5_jNS1_19radix_merge_compareILb0ELb1EaNS0_19identity_decomposerEEEEE10hipError_tT0_T1_T2_jT3_P12ihipStream_tbPNSt15iterator_traitsISE_E10value_typeEPNSK_ISF_E10value_typeEPSG_NS1_7vsmem_tEENKUlT_SE_SF_SG_E_clIS8_S8_S9_S9_EESD_ST_SE_SF_SG_EUlST_E0_NS1_11comp_targetILNS1_3genE10ELNS1_11target_archE1201ELNS1_3gpuE5ELNS1_3repE0EEENS1_38merge_mergepath_config_static_selectorELNS0_4arch9wavefront6targetE0EEEvSF_,"axG",@progbits,_ZN7rocprim17ROCPRIM_400000_NS6detail17trampoline_kernelINS0_14default_configENS1_38merge_sort_block_merge_config_selectorIaNS0_10empty_typeEEEZZNS1_27merge_sort_block_merge_implIS3_PaPS5_jNS1_19radix_merge_compareILb0ELb1EaNS0_19identity_decomposerEEEEE10hipError_tT0_T1_T2_jT3_P12ihipStream_tbPNSt15iterator_traitsISE_E10value_typeEPNSK_ISF_E10value_typeEPSG_NS1_7vsmem_tEENKUlT_SE_SF_SG_E_clIS8_S8_S9_S9_EESD_ST_SE_SF_SG_EUlST_E0_NS1_11comp_targetILNS1_3genE10ELNS1_11target_archE1201ELNS1_3gpuE5ELNS1_3repE0EEENS1_38merge_mergepath_config_static_selectorELNS0_4arch9wavefront6targetE0EEEvSF_,comdat
	.protected	_ZN7rocprim17ROCPRIM_400000_NS6detail17trampoline_kernelINS0_14default_configENS1_38merge_sort_block_merge_config_selectorIaNS0_10empty_typeEEEZZNS1_27merge_sort_block_merge_implIS3_PaPS5_jNS1_19radix_merge_compareILb0ELb1EaNS0_19identity_decomposerEEEEE10hipError_tT0_T1_T2_jT3_P12ihipStream_tbPNSt15iterator_traitsISE_E10value_typeEPNSK_ISF_E10value_typeEPSG_NS1_7vsmem_tEENKUlT_SE_SF_SG_E_clIS8_S8_S9_S9_EESD_ST_SE_SF_SG_EUlST_E0_NS1_11comp_targetILNS1_3genE10ELNS1_11target_archE1201ELNS1_3gpuE5ELNS1_3repE0EEENS1_38merge_mergepath_config_static_selectorELNS0_4arch9wavefront6targetE0EEEvSF_ ; -- Begin function _ZN7rocprim17ROCPRIM_400000_NS6detail17trampoline_kernelINS0_14default_configENS1_38merge_sort_block_merge_config_selectorIaNS0_10empty_typeEEEZZNS1_27merge_sort_block_merge_implIS3_PaPS5_jNS1_19radix_merge_compareILb0ELb1EaNS0_19identity_decomposerEEEEE10hipError_tT0_T1_T2_jT3_P12ihipStream_tbPNSt15iterator_traitsISE_E10value_typeEPNSK_ISF_E10value_typeEPSG_NS1_7vsmem_tEENKUlT_SE_SF_SG_E_clIS8_S8_S9_S9_EESD_ST_SE_SF_SG_EUlST_E0_NS1_11comp_targetILNS1_3genE10ELNS1_11target_archE1201ELNS1_3gpuE5ELNS1_3repE0EEENS1_38merge_mergepath_config_static_selectorELNS0_4arch9wavefront6targetE0EEEvSF_
	.globl	_ZN7rocprim17ROCPRIM_400000_NS6detail17trampoline_kernelINS0_14default_configENS1_38merge_sort_block_merge_config_selectorIaNS0_10empty_typeEEEZZNS1_27merge_sort_block_merge_implIS3_PaPS5_jNS1_19radix_merge_compareILb0ELb1EaNS0_19identity_decomposerEEEEE10hipError_tT0_T1_T2_jT3_P12ihipStream_tbPNSt15iterator_traitsISE_E10value_typeEPNSK_ISF_E10value_typeEPSG_NS1_7vsmem_tEENKUlT_SE_SF_SG_E_clIS8_S8_S9_S9_EESD_ST_SE_SF_SG_EUlST_E0_NS1_11comp_targetILNS1_3genE10ELNS1_11target_archE1201ELNS1_3gpuE5ELNS1_3repE0EEENS1_38merge_mergepath_config_static_selectorELNS0_4arch9wavefront6targetE0EEEvSF_
	.p2align	8
	.type	_ZN7rocprim17ROCPRIM_400000_NS6detail17trampoline_kernelINS0_14default_configENS1_38merge_sort_block_merge_config_selectorIaNS0_10empty_typeEEEZZNS1_27merge_sort_block_merge_implIS3_PaPS5_jNS1_19radix_merge_compareILb0ELb1EaNS0_19identity_decomposerEEEEE10hipError_tT0_T1_T2_jT3_P12ihipStream_tbPNSt15iterator_traitsISE_E10value_typeEPNSK_ISF_E10value_typeEPSG_NS1_7vsmem_tEENKUlT_SE_SF_SG_E_clIS8_S8_S9_S9_EESD_ST_SE_SF_SG_EUlST_E0_NS1_11comp_targetILNS1_3genE10ELNS1_11target_archE1201ELNS1_3gpuE5ELNS1_3repE0EEENS1_38merge_mergepath_config_static_selectorELNS0_4arch9wavefront6targetE0EEEvSF_,@function
_ZN7rocprim17ROCPRIM_400000_NS6detail17trampoline_kernelINS0_14default_configENS1_38merge_sort_block_merge_config_selectorIaNS0_10empty_typeEEEZZNS1_27merge_sort_block_merge_implIS3_PaPS5_jNS1_19radix_merge_compareILb0ELb1EaNS0_19identity_decomposerEEEEE10hipError_tT0_T1_T2_jT3_P12ihipStream_tbPNSt15iterator_traitsISE_E10value_typeEPNSK_ISF_E10value_typeEPSG_NS1_7vsmem_tEENKUlT_SE_SF_SG_E_clIS8_S8_S9_S9_EESD_ST_SE_SF_SG_EUlST_E0_NS1_11comp_targetILNS1_3genE10ELNS1_11target_archE1201ELNS1_3gpuE5ELNS1_3repE0EEENS1_38merge_mergepath_config_static_selectorELNS0_4arch9wavefront6targetE0EEEvSF_: ; @_ZN7rocprim17ROCPRIM_400000_NS6detail17trampoline_kernelINS0_14default_configENS1_38merge_sort_block_merge_config_selectorIaNS0_10empty_typeEEEZZNS1_27merge_sort_block_merge_implIS3_PaPS5_jNS1_19radix_merge_compareILb0ELb1EaNS0_19identity_decomposerEEEEE10hipError_tT0_T1_T2_jT3_P12ihipStream_tbPNSt15iterator_traitsISE_E10value_typeEPNSK_ISF_E10value_typeEPSG_NS1_7vsmem_tEENKUlT_SE_SF_SG_E_clIS8_S8_S9_S9_EESD_ST_SE_SF_SG_EUlST_E0_NS1_11comp_targetILNS1_3genE10ELNS1_11target_archE1201ELNS1_3gpuE5ELNS1_3repE0EEENS1_38merge_mergepath_config_static_selectorELNS0_4arch9wavefront6targetE0EEEvSF_
; %bb.0:
	.section	.rodata,"a",@progbits
	.p2align	6, 0x0
	.amdhsa_kernel _ZN7rocprim17ROCPRIM_400000_NS6detail17trampoline_kernelINS0_14default_configENS1_38merge_sort_block_merge_config_selectorIaNS0_10empty_typeEEEZZNS1_27merge_sort_block_merge_implIS3_PaPS5_jNS1_19radix_merge_compareILb0ELb1EaNS0_19identity_decomposerEEEEE10hipError_tT0_T1_T2_jT3_P12ihipStream_tbPNSt15iterator_traitsISE_E10value_typeEPNSK_ISF_E10value_typeEPSG_NS1_7vsmem_tEENKUlT_SE_SF_SG_E_clIS8_S8_S9_S9_EESD_ST_SE_SF_SG_EUlST_E0_NS1_11comp_targetILNS1_3genE10ELNS1_11target_archE1201ELNS1_3gpuE5ELNS1_3repE0EEENS1_38merge_mergepath_config_static_selectorELNS0_4arch9wavefront6targetE0EEEvSF_
		.amdhsa_group_segment_fixed_size 0
		.amdhsa_private_segment_fixed_size 0
		.amdhsa_kernarg_size 64
		.amdhsa_user_sgpr_count 2
		.amdhsa_user_sgpr_dispatch_ptr 0
		.amdhsa_user_sgpr_queue_ptr 0
		.amdhsa_user_sgpr_kernarg_segment_ptr 1
		.amdhsa_user_sgpr_dispatch_id 0
		.amdhsa_user_sgpr_kernarg_preload_length 0
		.amdhsa_user_sgpr_kernarg_preload_offset 0
		.amdhsa_user_sgpr_private_segment_size 0
		.amdhsa_wavefront_size32 1
		.amdhsa_uses_dynamic_stack 0
		.amdhsa_enable_private_segment 0
		.amdhsa_system_sgpr_workgroup_id_x 1
		.amdhsa_system_sgpr_workgroup_id_y 0
		.amdhsa_system_sgpr_workgroup_id_z 0
		.amdhsa_system_sgpr_workgroup_info 0
		.amdhsa_system_vgpr_workitem_id 0
		.amdhsa_next_free_vgpr 1
		.amdhsa_next_free_sgpr 1
		.amdhsa_named_barrier_count 0
		.amdhsa_reserve_vcc 0
		.amdhsa_float_round_mode_32 0
		.amdhsa_float_round_mode_16_64 0
		.amdhsa_float_denorm_mode_32 3
		.amdhsa_float_denorm_mode_16_64 3
		.amdhsa_fp16_overflow 0
		.amdhsa_memory_ordered 1
		.amdhsa_forward_progress 1
		.amdhsa_inst_pref_size 0
		.amdhsa_round_robin_scheduling 0
		.amdhsa_exception_fp_ieee_invalid_op 0
		.amdhsa_exception_fp_denorm_src 0
		.amdhsa_exception_fp_ieee_div_zero 0
		.amdhsa_exception_fp_ieee_overflow 0
		.amdhsa_exception_fp_ieee_underflow 0
		.amdhsa_exception_fp_ieee_inexact 0
		.amdhsa_exception_int_div_zero 0
	.end_amdhsa_kernel
	.section	.text._ZN7rocprim17ROCPRIM_400000_NS6detail17trampoline_kernelINS0_14default_configENS1_38merge_sort_block_merge_config_selectorIaNS0_10empty_typeEEEZZNS1_27merge_sort_block_merge_implIS3_PaPS5_jNS1_19radix_merge_compareILb0ELb1EaNS0_19identity_decomposerEEEEE10hipError_tT0_T1_T2_jT3_P12ihipStream_tbPNSt15iterator_traitsISE_E10value_typeEPNSK_ISF_E10value_typeEPSG_NS1_7vsmem_tEENKUlT_SE_SF_SG_E_clIS8_S8_S9_S9_EESD_ST_SE_SF_SG_EUlST_E0_NS1_11comp_targetILNS1_3genE10ELNS1_11target_archE1201ELNS1_3gpuE5ELNS1_3repE0EEENS1_38merge_mergepath_config_static_selectorELNS0_4arch9wavefront6targetE0EEEvSF_,"axG",@progbits,_ZN7rocprim17ROCPRIM_400000_NS6detail17trampoline_kernelINS0_14default_configENS1_38merge_sort_block_merge_config_selectorIaNS0_10empty_typeEEEZZNS1_27merge_sort_block_merge_implIS3_PaPS5_jNS1_19radix_merge_compareILb0ELb1EaNS0_19identity_decomposerEEEEE10hipError_tT0_T1_T2_jT3_P12ihipStream_tbPNSt15iterator_traitsISE_E10value_typeEPNSK_ISF_E10value_typeEPSG_NS1_7vsmem_tEENKUlT_SE_SF_SG_E_clIS8_S8_S9_S9_EESD_ST_SE_SF_SG_EUlST_E0_NS1_11comp_targetILNS1_3genE10ELNS1_11target_archE1201ELNS1_3gpuE5ELNS1_3repE0EEENS1_38merge_mergepath_config_static_selectorELNS0_4arch9wavefront6targetE0EEEvSF_,comdat
.Lfunc_end433:
	.size	_ZN7rocprim17ROCPRIM_400000_NS6detail17trampoline_kernelINS0_14default_configENS1_38merge_sort_block_merge_config_selectorIaNS0_10empty_typeEEEZZNS1_27merge_sort_block_merge_implIS3_PaPS5_jNS1_19radix_merge_compareILb0ELb1EaNS0_19identity_decomposerEEEEE10hipError_tT0_T1_T2_jT3_P12ihipStream_tbPNSt15iterator_traitsISE_E10value_typeEPNSK_ISF_E10value_typeEPSG_NS1_7vsmem_tEENKUlT_SE_SF_SG_E_clIS8_S8_S9_S9_EESD_ST_SE_SF_SG_EUlST_E0_NS1_11comp_targetILNS1_3genE10ELNS1_11target_archE1201ELNS1_3gpuE5ELNS1_3repE0EEENS1_38merge_mergepath_config_static_selectorELNS0_4arch9wavefront6targetE0EEEvSF_, .Lfunc_end433-_ZN7rocprim17ROCPRIM_400000_NS6detail17trampoline_kernelINS0_14default_configENS1_38merge_sort_block_merge_config_selectorIaNS0_10empty_typeEEEZZNS1_27merge_sort_block_merge_implIS3_PaPS5_jNS1_19radix_merge_compareILb0ELb1EaNS0_19identity_decomposerEEEEE10hipError_tT0_T1_T2_jT3_P12ihipStream_tbPNSt15iterator_traitsISE_E10value_typeEPNSK_ISF_E10value_typeEPSG_NS1_7vsmem_tEENKUlT_SE_SF_SG_E_clIS8_S8_S9_S9_EESD_ST_SE_SF_SG_EUlST_E0_NS1_11comp_targetILNS1_3genE10ELNS1_11target_archE1201ELNS1_3gpuE5ELNS1_3repE0EEENS1_38merge_mergepath_config_static_selectorELNS0_4arch9wavefront6targetE0EEEvSF_
                                        ; -- End function
	.set _ZN7rocprim17ROCPRIM_400000_NS6detail17trampoline_kernelINS0_14default_configENS1_38merge_sort_block_merge_config_selectorIaNS0_10empty_typeEEEZZNS1_27merge_sort_block_merge_implIS3_PaPS5_jNS1_19radix_merge_compareILb0ELb1EaNS0_19identity_decomposerEEEEE10hipError_tT0_T1_T2_jT3_P12ihipStream_tbPNSt15iterator_traitsISE_E10value_typeEPNSK_ISF_E10value_typeEPSG_NS1_7vsmem_tEENKUlT_SE_SF_SG_E_clIS8_S8_S9_S9_EESD_ST_SE_SF_SG_EUlST_E0_NS1_11comp_targetILNS1_3genE10ELNS1_11target_archE1201ELNS1_3gpuE5ELNS1_3repE0EEENS1_38merge_mergepath_config_static_selectorELNS0_4arch9wavefront6targetE0EEEvSF_.num_vgpr, 0
	.set _ZN7rocprim17ROCPRIM_400000_NS6detail17trampoline_kernelINS0_14default_configENS1_38merge_sort_block_merge_config_selectorIaNS0_10empty_typeEEEZZNS1_27merge_sort_block_merge_implIS3_PaPS5_jNS1_19radix_merge_compareILb0ELb1EaNS0_19identity_decomposerEEEEE10hipError_tT0_T1_T2_jT3_P12ihipStream_tbPNSt15iterator_traitsISE_E10value_typeEPNSK_ISF_E10value_typeEPSG_NS1_7vsmem_tEENKUlT_SE_SF_SG_E_clIS8_S8_S9_S9_EESD_ST_SE_SF_SG_EUlST_E0_NS1_11comp_targetILNS1_3genE10ELNS1_11target_archE1201ELNS1_3gpuE5ELNS1_3repE0EEENS1_38merge_mergepath_config_static_selectorELNS0_4arch9wavefront6targetE0EEEvSF_.num_agpr, 0
	.set _ZN7rocprim17ROCPRIM_400000_NS6detail17trampoline_kernelINS0_14default_configENS1_38merge_sort_block_merge_config_selectorIaNS0_10empty_typeEEEZZNS1_27merge_sort_block_merge_implIS3_PaPS5_jNS1_19radix_merge_compareILb0ELb1EaNS0_19identity_decomposerEEEEE10hipError_tT0_T1_T2_jT3_P12ihipStream_tbPNSt15iterator_traitsISE_E10value_typeEPNSK_ISF_E10value_typeEPSG_NS1_7vsmem_tEENKUlT_SE_SF_SG_E_clIS8_S8_S9_S9_EESD_ST_SE_SF_SG_EUlST_E0_NS1_11comp_targetILNS1_3genE10ELNS1_11target_archE1201ELNS1_3gpuE5ELNS1_3repE0EEENS1_38merge_mergepath_config_static_selectorELNS0_4arch9wavefront6targetE0EEEvSF_.numbered_sgpr, 0
	.set _ZN7rocprim17ROCPRIM_400000_NS6detail17trampoline_kernelINS0_14default_configENS1_38merge_sort_block_merge_config_selectorIaNS0_10empty_typeEEEZZNS1_27merge_sort_block_merge_implIS3_PaPS5_jNS1_19radix_merge_compareILb0ELb1EaNS0_19identity_decomposerEEEEE10hipError_tT0_T1_T2_jT3_P12ihipStream_tbPNSt15iterator_traitsISE_E10value_typeEPNSK_ISF_E10value_typeEPSG_NS1_7vsmem_tEENKUlT_SE_SF_SG_E_clIS8_S8_S9_S9_EESD_ST_SE_SF_SG_EUlST_E0_NS1_11comp_targetILNS1_3genE10ELNS1_11target_archE1201ELNS1_3gpuE5ELNS1_3repE0EEENS1_38merge_mergepath_config_static_selectorELNS0_4arch9wavefront6targetE0EEEvSF_.num_named_barrier, 0
	.set _ZN7rocprim17ROCPRIM_400000_NS6detail17trampoline_kernelINS0_14default_configENS1_38merge_sort_block_merge_config_selectorIaNS0_10empty_typeEEEZZNS1_27merge_sort_block_merge_implIS3_PaPS5_jNS1_19radix_merge_compareILb0ELb1EaNS0_19identity_decomposerEEEEE10hipError_tT0_T1_T2_jT3_P12ihipStream_tbPNSt15iterator_traitsISE_E10value_typeEPNSK_ISF_E10value_typeEPSG_NS1_7vsmem_tEENKUlT_SE_SF_SG_E_clIS8_S8_S9_S9_EESD_ST_SE_SF_SG_EUlST_E0_NS1_11comp_targetILNS1_3genE10ELNS1_11target_archE1201ELNS1_3gpuE5ELNS1_3repE0EEENS1_38merge_mergepath_config_static_selectorELNS0_4arch9wavefront6targetE0EEEvSF_.private_seg_size, 0
	.set _ZN7rocprim17ROCPRIM_400000_NS6detail17trampoline_kernelINS0_14default_configENS1_38merge_sort_block_merge_config_selectorIaNS0_10empty_typeEEEZZNS1_27merge_sort_block_merge_implIS3_PaPS5_jNS1_19radix_merge_compareILb0ELb1EaNS0_19identity_decomposerEEEEE10hipError_tT0_T1_T2_jT3_P12ihipStream_tbPNSt15iterator_traitsISE_E10value_typeEPNSK_ISF_E10value_typeEPSG_NS1_7vsmem_tEENKUlT_SE_SF_SG_E_clIS8_S8_S9_S9_EESD_ST_SE_SF_SG_EUlST_E0_NS1_11comp_targetILNS1_3genE10ELNS1_11target_archE1201ELNS1_3gpuE5ELNS1_3repE0EEENS1_38merge_mergepath_config_static_selectorELNS0_4arch9wavefront6targetE0EEEvSF_.uses_vcc, 0
	.set _ZN7rocprim17ROCPRIM_400000_NS6detail17trampoline_kernelINS0_14default_configENS1_38merge_sort_block_merge_config_selectorIaNS0_10empty_typeEEEZZNS1_27merge_sort_block_merge_implIS3_PaPS5_jNS1_19radix_merge_compareILb0ELb1EaNS0_19identity_decomposerEEEEE10hipError_tT0_T1_T2_jT3_P12ihipStream_tbPNSt15iterator_traitsISE_E10value_typeEPNSK_ISF_E10value_typeEPSG_NS1_7vsmem_tEENKUlT_SE_SF_SG_E_clIS8_S8_S9_S9_EESD_ST_SE_SF_SG_EUlST_E0_NS1_11comp_targetILNS1_3genE10ELNS1_11target_archE1201ELNS1_3gpuE5ELNS1_3repE0EEENS1_38merge_mergepath_config_static_selectorELNS0_4arch9wavefront6targetE0EEEvSF_.uses_flat_scratch, 0
	.set _ZN7rocprim17ROCPRIM_400000_NS6detail17trampoline_kernelINS0_14default_configENS1_38merge_sort_block_merge_config_selectorIaNS0_10empty_typeEEEZZNS1_27merge_sort_block_merge_implIS3_PaPS5_jNS1_19radix_merge_compareILb0ELb1EaNS0_19identity_decomposerEEEEE10hipError_tT0_T1_T2_jT3_P12ihipStream_tbPNSt15iterator_traitsISE_E10value_typeEPNSK_ISF_E10value_typeEPSG_NS1_7vsmem_tEENKUlT_SE_SF_SG_E_clIS8_S8_S9_S9_EESD_ST_SE_SF_SG_EUlST_E0_NS1_11comp_targetILNS1_3genE10ELNS1_11target_archE1201ELNS1_3gpuE5ELNS1_3repE0EEENS1_38merge_mergepath_config_static_selectorELNS0_4arch9wavefront6targetE0EEEvSF_.has_dyn_sized_stack, 0
	.set _ZN7rocprim17ROCPRIM_400000_NS6detail17trampoline_kernelINS0_14default_configENS1_38merge_sort_block_merge_config_selectorIaNS0_10empty_typeEEEZZNS1_27merge_sort_block_merge_implIS3_PaPS5_jNS1_19radix_merge_compareILb0ELb1EaNS0_19identity_decomposerEEEEE10hipError_tT0_T1_T2_jT3_P12ihipStream_tbPNSt15iterator_traitsISE_E10value_typeEPNSK_ISF_E10value_typeEPSG_NS1_7vsmem_tEENKUlT_SE_SF_SG_E_clIS8_S8_S9_S9_EESD_ST_SE_SF_SG_EUlST_E0_NS1_11comp_targetILNS1_3genE10ELNS1_11target_archE1201ELNS1_3gpuE5ELNS1_3repE0EEENS1_38merge_mergepath_config_static_selectorELNS0_4arch9wavefront6targetE0EEEvSF_.has_recursion, 0
	.set _ZN7rocprim17ROCPRIM_400000_NS6detail17trampoline_kernelINS0_14default_configENS1_38merge_sort_block_merge_config_selectorIaNS0_10empty_typeEEEZZNS1_27merge_sort_block_merge_implIS3_PaPS5_jNS1_19radix_merge_compareILb0ELb1EaNS0_19identity_decomposerEEEEE10hipError_tT0_T1_T2_jT3_P12ihipStream_tbPNSt15iterator_traitsISE_E10value_typeEPNSK_ISF_E10value_typeEPSG_NS1_7vsmem_tEENKUlT_SE_SF_SG_E_clIS8_S8_S9_S9_EESD_ST_SE_SF_SG_EUlST_E0_NS1_11comp_targetILNS1_3genE10ELNS1_11target_archE1201ELNS1_3gpuE5ELNS1_3repE0EEENS1_38merge_mergepath_config_static_selectorELNS0_4arch9wavefront6targetE0EEEvSF_.has_indirect_call, 0
	.section	.AMDGPU.csdata,"",@progbits
; Kernel info:
; codeLenInByte = 0
; TotalNumSgprs: 0
; NumVgprs: 0
; ScratchSize: 0
; MemoryBound: 0
; FloatMode: 240
; IeeeMode: 1
; LDSByteSize: 0 bytes/workgroup (compile time only)
; SGPRBlocks: 0
; VGPRBlocks: 0
; NumSGPRsForWavesPerEU: 1
; NumVGPRsForWavesPerEU: 1
; NamedBarCnt: 0
; Occupancy: 16
; WaveLimiterHint : 0
; COMPUTE_PGM_RSRC2:SCRATCH_EN: 0
; COMPUTE_PGM_RSRC2:USER_SGPR: 2
; COMPUTE_PGM_RSRC2:TRAP_HANDLER: 0
; COMPUTE_PGM_RSRC2:TGID_X_EN: 1
; COMPUTE_PGM_RSRC2:TGID_Y_EN: 0
; COMPUTE_PGM_RSRC2:TGID_Z_EN: 0
; COMPUTE_PGM_RSRC2:TIDIG_COMP_CNT: 0
	.section	.text._ZN7rocprim17ROCPRIM_400000_NS6detail17trampoline_kernelINS0_14default_configENS1_38merge_sort_block_merge_config_selectorIaNS0_10empty_typeEEEZZNS1_27merge_sort_block_merge_implIS3_PaPS5_jNS1_19radix_merge_compareILb0ELb1EaNS0_19identity_decomposerEEEEE10hipError_tT0_T1_T2_jT3_P12ihipStream_tbPNSt15iterator_traitsISE_E10value_typeEPNSK_ISF_E10value_typeEPSG_NS1_7vsmem_tEENKUlT_SE_SF_SG_E_clIS8_S8_S9_S9_EESD_ST_SE_SF_SG_EUlST_E0_NS1_11comp_targetILNS1_3genE5ELNS1_11target_archE942ELNS1_3gpuE9ELNS1_3repE0EEENS1_38merge_mergepath_config_static_selectorELNS0_4arch9wavefront6targetE0EEEvSF_,"axG",@progbits,_ZN7rocprim17ROCPRIM_400000_NS6detail17trampoline_kernelINS0_14default_configENS1_38merge_sort_block_merge_config_selectorIaNS0_10empty_typeEEEZZNS1_27merge_sort_block_merge_implIS3_PaPS5_jNS1_19radix_merge_compareILb0ELb1EaNS0_19identity_decomposerEEEEE10hipError_tT0_T1_T2_jT3_P12ihipStream_tbPNSt15iterator_traitsISE_E10value_typeEPNSK_ISF_E10value_typeEPSG_NS1_7vsmem_tEENKUlT_SE_SF_SG_E_clIS8_S8_S9_S9_EESD_ST_SE_SF_SG_EUlST_E0_NS1_11comp_targetILNS1_3genE5ELNS1_11target_archE942ELNS1_3gpuE9ELNS1_3repE0EEENS1_38merge_mergepath_config_static_selectorELNS0_4arch9wavefront6targetE0EEEvSF_,comdat
	.protected	_ZN7rocprim17ROCPRIM_400000_NS6detail17trampoline_kernelINS0_14default_configENS1_38merge_sort_block_merge_config_selectorIaNS0_10empty_typeEEEZZNS1_27merge_sort_block_merge_implIS3_PaPS5_jNS1_19radix_merge_compareILb0ELb1EaNS0_19identity_decomposerEEEEE10hipError_tT0_T1_T2_jT3_P12ihipStream_tbPNSt15iterator_traitsISE_E10value_typeEPNSK_ISF_E10value_typeEPSG_NS1_7vsmem_tEENKUlT_SE_SF_SG_E_clIS8_S8_S9_S9_EESD_ST_SE_SF_SG_EUlST_E0_NS1_11comp_targetILNS1_3genE5ELNS1_11target_archE942ELNS1_3gpuE9ELNS1_3repE0EEENS1_38merge_mergepath_config_static_selectorELNS0_4arch9wavefront6targetE0EEEvSF_ ; -- Begin function _ZN7rocprim17ROCPRIM_400000_NS6detail17trampoline_kernelINS0_14default_configENS1_38merge_sort_block_merge_config_selectorIaNS0_10empty_typeEEEZZNS1_27merge_sort_block_merge_implIS3_PaPS5_jNS1_19radix_merge_compareILb0ELb1EaNS0_19identity_decomposerEEEEE10hipError_tT0_T1_T2_jT3_P12ihipStream_tbPNSt15iterator_traitsISE_E10value_typeEPNSK_ISF_E10value_typeEPSG_NS1_7vsmem_tEENKUlT_SE_SF_SG_E_clIS8_S8_S9_S9_EESD_ST_SE_SF_SG_EUlST_E0_NS1_11comp_targetILNS1_3genE5ELNS1_11target_archE942ELNS1_3gpuE9ELNS1_3repE0EEENS1_38merge_mergepath_config_static_selectorELNS0_4arch9wavefront6targetE0EEEvSF_
	.globl	_ZN7rocprim17ROCPRIM_400000_NS6detail17trampoline_kernelINS0_14default_configENS1_38merge_sort_block_merge_config_selectorIaNS0_10empty_typeEEEZZNS1_27merge_sort_block_merge_implIS3_PaPS5_jNS1_19radix_merge_compareILb0ELb1EaNS0_19identity_decomposerEEEEE10hipError_tT0_T1_T2_jT3_P12ihipStream_tbPNSt15iterator_traitsISE_E10value_typeEPNSK_ISF_E10value_typeEPSG_NS1_7vsmem_tEENKUlT_SE_SF_SG_E_clIS8_S8_S9_S9_EESD_ST_SE_SF_SG_EUlST_E0_NS1_11comp_targetILNS1_3genE5ELNS1_11target_archE942ELNS1_3gpuE9ELNS1_3repE0EEENS1_38merge_mergepath_config_static_selectorELNS0_4arch9wavefront6targetE0EEEvSF_
	.p2align	8
	.type	_ZN7rocprim17ROCPRIM_400000_NS6detail17trampoline_kernelINS0_14default_configENS1_38merge_sort_block_merge_config_selectorIaNS0_10empty_typeEEEZZNS1_27merge_sort_block_merge_implIS3_PaPS5_jNS1_19radix_merge_compareILb0ELb1EaNS0_19identity_decomposerEEEEE10hipError_tT0_T1_T2_jT3_P12ihipStream_tbPNSt15iterator_traitsISE_E10value_typeEPNSK_ISF_E10value_typeEPSG_NS1_7vsmem_tEENKUlT_SE_SF_SG_E_clIS8_S8_S9_S9_EESD_ST_SE_SF_SG_EUlST_E0_NS1_11comp_targetILNS1_3genE5ELNS1_11target_archE942ELNS1_3gpuE9ELNS1_3repE0EEENS1_38merge_mergepath_config_static_selectorELNS0_4arch9wavefront6targetE0EEEvSF_,@function
_ZN7rocprim17ROCPRIM_400000_NS6detail17trampoline_kernelINS0_14default_configENS1_38merge_sort_block_merge_config_selectorIaNS0_10empty_typeEEEZZNS1_27merge_sort_block_merge_implIS3_PaPS5_jNS1_19radix_merge_compareILb0ELb1EaNS0_19identity_decomposerEEEEE10hipError_tT0_T1_T2_jT3_P12ihipStream_tbPNSt15iterator_traitsISE_E10value_typeEPNSK_ISF_E10value_typeEPSG_NS1_7vsmem_tEENKUlT_SE_SF_SG_E_clIS8_S8_S9_S9_EESD_ST_SE_SF_SG_EUlST_E0_NS1_11comp_targetILNS1_3genE5ELNS1_11target_archE942ELNS1_3gpuE9ELNS1_3repE0EEENS1_38merge_mergepath_config_static_selectorELNS0_4arch9wavefront6targetE0EEEvSF_: ; @_ZN7rocprim17ROCPRIM_400000_NS6detail17trampoline_kernelINS0_14default_configENS1_38merge_sort_block_merge_config_selectorIaNS0_10empty_typeEEEZZNS1_27merge_sort_block_merge_implIS3_PaPS5_jNS1_19radix_merge_compareILb0ELb1EaNS0_19identity_decomposerEEEEE10hipError_tT0_T1_T2_jT3_P12ihipStream_tbPNSt15iterator_traitsISE_E10value_typeEPNSK_ISF_E10value_typeEPSG_NS1_7vsmem_tEENKUlT_SE_SF_SG_E_clIS8_S8_S9_S9_EESD_ST_SE_SF_SG_EUlST_E0_NS1_11comp_targetILNS1_3genE5ELNS1_11target_archE942ELNS1_3gpuE9ELNS1_3repE0EEENS1_38merge_mergepath_config_static_selectorELNS0_4arch9wavefront6targetE0EEEvSF_
; %bb.0:
	.section	.rodata,"a",@progbits
	.p2align	6, 0x0
	.amdhsa_kernel _ZN7rocprim17ROCPRIM_400000_NS6detail17trampoline_kernelINS0_14default_configENS1_38merge_sort_block_merge_config_selectorIaNS0_10empty_typeEEEZZNS1_27merge_sort_block_merge_implIS3_PaPS5_jNS1_19radix_merge_compareILb0ELb1EaNS0_19identity_decomposerEEEEE10hipError_tT0_T1_T2_jT3_P12ihipStream_tbPNSt15iterator_traitsISE_E10value_typeEPNSK_ISF_E10value_typeEPSG_NS1_7vsmem_tEENKUlT_SE_SF_SG_E_clIS8_S8_S9_S9_EESD_ST_SE_SF_SG_EUlST_E0_NS1_11comp_targetILNS1_3genE5ELNS1_11target_archE942ELNS1_3gpuE9ELNS1_3repE0EEENS1_38merge_mergepath_config_static_selectorELNS0_4arch9wavefront6targetE0EEEvSF_
		.amdhsa_group_segment_fixed_size 0
		.amdhsa_private_segment_fixed_size 0
		.amdhsa_kernarg_size 64
		.amdhsa_user_sgpr_count 2
		.amdhsa_user_sgpr_dispatch_ptr 0
		.amdhsa_user_sgpr_queue_ptr 0
		.amdhsa_user_sgpr_kernarg_segment_ptr 1
		.amdhsa_user_sgpr_dispatch_id 0
		.amdhsa_user_sgpr_kernarg_preload_length 0
		.amdhsa_user_sgpr_kernarg_preload_offset 0
		.amdhsa_user_sgpr_private_segment_size 0
		.amdhsa_wavefront_size32 1
		.amdhsa_uses_dynamic_stack 0
		.amdhsa_enable_private_segment 0
		.amdhsa_system_sgpr_workgroup_id_x 1
		.amdhsa_system_sgpr_workgroup_id_y 0
		.amdhsa_system_sgpr_workgroup_id_z 0
		.amdhsa_system_sgpr_workgroup_info 0
		.amdhsa_system_vgpr_workitem_id 0
		.amdhsa_next_free_vgpr 1
		.amdhsa_next_free_sgpr 1
		.amdhsa_named_barrier_count 0
		.amdhsa_reserve_vcc 0
		.amdhsa_float_round_mode_32 0
		.amdhsa_float_round_mode_16_64 0
		.amdhsa_float_denorm_mode_32 3
		.amdhsa_float_denorm_mode_16_64 3
		.amdhsa_fp16_overflow 0
		.amdhsa_memory_ordered 1
		.amdhsa_forward_progress 1
		.amdhsa_inst_pref_size 0
		.amdhsa_round_robin_scheduling 0
		.amdhsa_exception_fp_ieee_invalid_op 0
		.amdhsa_exception_fp_denorm_src 0
		.amdhsa_exception_fp_ieee_div_zero 0
		.amdhsa_exception_fp_ieee_overflow 0
		.amdhsa_exception_fp_ieee_underflow 0
		.amdhsa_exception_fp_ieee_inexact 0
		.amdhsa_exception_int_div_zero 0
	.end_amdhsa_kernel
	.section	.text._ZN7rocprim17ROCPRIM_400000_NS6detail17trampoline_kernelINS0_14default_configENS1_38merge_sort_block_merge_config_selectorIaNS0_10empty_typeEEEZZNS1_27merge_sort_block_merge_implIS3_PaPS5_jNS1_19radix_merge_compareILb0ELb1EaNS0_19identity_decomposerEEEEE10hipError_tT0_T1_T2_jT3_P12ihipStream_tbPNSt15iterator_traitsISE_E10value_typeEPNSK_ISF_E10value_typeEPSG_NS1_7vsmem_tEENKUlT_SE_SF_SG_E_clIS8_S8_S9_S9_EESD_ST_SE_SF_SG_EUlST_E0_NS1_11comp_targetILNS1_3genE5ELNS1_11target_archE942ELNS1_3gpuE9ELNS1_3repE0EEENS1_38merge_mergepath_config_static_selectorELNS0_4arch9wavefront6targetE0EEEvSF_,"axG",@progbits,_ZN7rocprim17ROCPRIM_400000_NS6detail17trampoline_kernelINS0_14default_configENS1_38merge_sort_block_merge_config_selectorIaNS0_10empty_typeEEEZZNS1_27merge_sort_block_merge_implIS3_PaPS5_jNS1_19radix_merge_compareILb0ELb1EaNS0_19identity_decomposerEEEEE10hipError_tT0_T1_T2_jT3_P12ihipStream_tbPNSt15iterator_traitsISE_E10value_typeEPNSK_ISF_E10value_typeEPSG_NS1_7vsmem_tEENKUlT_SE_SF_SG_E_clIS8_S8_S9_S9_EESD_ST_SE_SF_SG_EUlST_E0_NS1_11comp_targetILNS1_3genE5ELNS1_11target_archE942ELNS1_3gpuE9ELNS1_3repE0EEENS1_38merge_mergepath_config_static_selectorELNS0_4arch9wavefront6targetE0EEEvSF_,comdat
.Lfunc_end434:
	.size	_ZN7rocprim17ROCPRIM_400000_NS6detail17trampoline_kernelINS0_14default_configENS1_38merge_sort_block_merge_config_selectorIaNS0_10empty_typeEEEZZNS1_27merge_sort_block_merge_implIS3_PaPS5_jNS1_19radix_merge_compareILb0ELb1EaNS0_19identity_decomposerEEEEE10hipError_tT0_T1_T2_jT3_P12ihipStream_tbPNSt15iterator_traitsISE_E10value_typeEPNSK_ISF_E10value_typeEPSG_NS1_7vsmem_tEENKUlT_SE_SF_SG_E_clIS8_S8_S9_S9_EESD_ST_SE_SF_SG_EUlST_E0_NS1_11comp_targetILNS1_3genE5ELNS1_11target_archE942ELNS1_3gpuE9ELNS1_3repE0EEENS1_38merge_mergepath_config_static_selectorELNS0_4arch9wavefront6targetE0EEEvSF_, .Lfunc_end434-_ZN7rocprim17ROCPRIM_400000_NS6detail17trampoline_kernelINS0_14default_configENS1_38merge_sort_block_merge_config_selectorIaNS0_10empty_typeEEEZZNS1_27merge_sort_block_merge_implIS3_PaPS5_jNS1_19radix_merge_compareILb0ELb1EaNS0_19identity_decomposerEEEEE10hipError_tT0_T1_T2_jT3_P12ihipStream_tbPNSt15iterator_traitsISE_E10value_typeEPNSK_ISF_E10value_typeEPSG_NS1_7vsmem_tEENKUlT_SE_SF_SG_E_clIS8_S8_S9_S9_EESD_ST_SE_SF_SG_EUlST_E0_NS1_11comp_targetILNS1_3genE5ELNS1_11target_archE942ELNS1_3gpuE9ELNS1_3repE0EEENS1_38merge_mergepath_config_static_selectorELNS0_4arch9wavefront6targetE0EEEvSF_
                                        ; -- End function
	.set _ZN7rocprim17ROCPRIM_400000_NS6detail17trampoline_kernelINS0_14default_configENS1_38merge_sort_block_merge_config_selectorIaNS0_10empty_typeEEEZZNS1_27merge_sort_block_merge_implIS3_PaPS5_jNS1_19radix_merge_compareILb0ELb1EaNS0_19identity_decomposerEEEEE10hipError_tT0_T1_T2_jT3_P12ihipStream_tbPNSt15iterator_traitsISE_E10value_typeEPNSK_ISF_E10value_typeEPSG_NS1_7vsmem_tEENKUlT_SE_SF_SG_E_clIS8_S8_S9_S9_EESD_ST_SE_SF_SG_EUlST_E0_NS1_11comp_targetILNS1_3genE5ELNS1_11target_archE942ELNS1_3gpuE9ELNS1_3repE0EEENS1_38merge_mergepath_config_static_selectorELNS0_4arch9wavefront6targetE0EEEvSF_.num_vgpr, 0
	.set _ZN7rocprim17ROCPRIM_400000_NS6detail17trampoline_kernelINS0_14default_configENS1_38merge_sort_block_merge_config_selectorIaNS0_10empty_typeEEEZZNS1_27merge_sort_block_merge_implIS3_PaPS5_jNS1_19radix_merge_compareILb0ELb1EaNS0_19identity_decomposerEEEEE10hipError_tT0_T1_T2_jT3_P12ihipStream_tbPNSt15iterator_traitsISE_E10value_typeEPNSK_ISF_E10value_typeEPSG_NS1_7vsmem_tEENKUlT_SE_SF_SG_E_clIS8_S8_S9_S9_EESD_ST_SE_SF_SG_EUlST_E0_NS1_11comp_targetILNS1_3genE5ELNS1_11target_archE942ELNS1_3gpuE9ELNS1_3repE0EEENS1_38merge_mergepath_config_static_selectorELNS0_4arch9wavefront6targetE0EEEvSF_.num_agpr, 0
	.set _ZN7rocprim17ROCPRIM_400000_NS6detail17trampoline_kernelINS0_14default_configENS1_38merge_sort_block_merge_config_selectorIaNS0_10empty_typeEEEZZNS1_27merge_sort_block_merge_implIS3_PaPS5_jNS1_19radix_merge_compareILb0ELb1EaNS0_19identity_decomposerEEEEE10hipError_tT0_T1_T2_jT3_P12ihipStream_tbPNSt15iterator_traitsISE_E10value_typeEPNSK_ISF_E10value_typeEPSG_NS1_7vsmem_tEENKUlT_SE_SF_SG_E_clIS8_S8_S9_S9_EESD_ST_SE_SF_SG_EUlST_E0_NS1_11comp_targetILNS1_3genE5ELNS1_11target_archE942ELNS1_3gpuE9ELNS1_3repE0EEENS1_38merge_mergepath_config_static_selectorELNS0_4arch9wavefront6targetE0EEEvSF_.numbered_sgpr, 0
	.set _ZN7rocprim17ROCPRIM_400000_NS6detail17trampoline_kernelINS0_14default_configENS1_38merge_sort_block_merge_config_selectorIaNS0_10empty_typeEEEZZNS1_27merge_sort_block_merge_implIS3_PaPS5_jNS1_19radix_merge_compareILb0ELb1EaNS0_19identity_decomposerEEEEE10hipError_tT0_T1_T2_jT3_P12ihipStream_tbPNSt15iterator_traitsISE_E10value_typeEPNSK_ISF_E10value_typeEPSG_NS1_7vsmem_tEENKUlT_SE_SF_SG_E_clIS8_S8_S9_S9_EESD_ST_SE_SF_SG_EUlST_E0_NS1_11comp_targetILNS1_3genE5ELNS1_11target_archE942ELNS1_3gpuE9ELNS1_3repE0EEENS1_38merge_mergepath_config_static_selectorELNS0_4arch9wavefront6targetE0EEEvSF_.num_named_barrier, 0
	.set _ZN7rocprim17ROCPRIM_400000_NS6detail17trampoline_kernelINS0_14default_configENS1_38merge_sort_block_merge_config_selectorIaNS0_10empty_typeEEEZZNS1_27merge_sort_block_merge_implIS3_PaPS5_jNS1_19radix_merge_compareILb0ELb1EaNS0_19identity_decomposerEEEEE10hipError_tT0_T1_T2_jT3_P12ihipStream_tbPNSt15iterator_traitsISE_E10value_typeEPNSK_ISF_E10value_typeEPSG_NS1_7vsmem_tEENKUlT_SE_SF_SG_E_clIS8_S8_S9_S9_EESD_ST_SE_SF_SG_EUlST_E0_NS1_11comp_targetILNS1_3genE5ELNS1_11target_archE942ELNS1_3gpuE9ELNS1_3repE0EEENS1_38merge_mergepath_config_static_selectorELNS0_4arch9wavefront6targetE0EEEvSF_.private_seg_size, 0
	.set _ZN7rocprim17ROCPRIM_400000_NS6detail17trampoline_kernelINS0_14default_configENS1_38merge_sort_block_merge_config_selectorIaNS0_10empty_typeEEEZZNS1_27merge_sort_block_merge_implIS3_PaPS5_jNS1_19radix_merge_compareILb0ELb1EaNS0_19identity_decomposerEEEEE10hipError_tT0_T1_T2_jT3_P12ihipStream_tbPNSt15iterator_traitsISE_E10value_typeEPNSK_ISF_E10value_typeEPSG_NS1_7vsmem_tEENKUlT_SE_SF_SG_E_clIS8_S8_S9_S9_EESD_ST_SE_SF_SG_EUlST_E0_NS1_11comp_targetILNS1_3genE5ELNS1_11target_archE942ELNS1_3gpuE9ELNS1_3repE0EEENS1_38merge_mergepath_config_static_selectorELNS0_4arch9wavefront6targetE0EEEvSF_.uses_vcc, 0
	.set _ZN7rocprim17ROCPRIM_400000_NS6detail17trampoline_kernelINS0_14default_configENS1_38merge_sort_block_merge_config_selectorIaNS0_10empty_typeEEEZZNS1_27merge_sort_block_merge_implIS3_PaPS5_jNS1_19radix_merge_compareILb0ELb1EaNS0_19identity_decomposerEEEEE10hipError_tT0_T1_T2_jT3_P12ihipStream_tbPNSt15iterator_traitsISE_E10value_typeEPNSK_ISF_E10value_typeEPSG_NS1_7vsmem_tEENKUlT_SE_SF_SG_E_clIS8_S8_S9_S9_EESD_ST_SE_SF_SG_EUlST_E0_NS1_11comp_targetILNS1_3genE5ELNS1_11target_archE942ELNS1_3gpuE9ELNS1_3repE0EEENS1_38merge_mergepath_config_static_selectorELNS0_4arch9wavefront6targetE0EEEvSF_.uses_flat_scratch, 0
	.set _ZN7rocprim17ROCPRIM_400000_NS6detail17trampoline_kernelINS0_14default_configENS1_38merge_sort_block_merge_config_selectorIaNS0_10empty_typeEEEZZNS1_27merge_sort_block_merge_implIS3_PaPS5_jNS1_19radix_merge_compareILb0ELb1EaNS0_19identity_decomposerEEEEE10hipError_tT0_T1_T2_jT3_P12ihipStream_tbPNSt15iterator_traitsISE_E10value_typeEPNSK_ISF_E10value_typeEPSG_NS1_7vsmem_tEENKUlT_SE_SF_SG_E_clIS8_S8_S9_S9_EESD_ST_SE_SF_SG_EUlST_E0_NS1_11comp_targetILNS1_3genE5ELNS1_11target_archE942ELNS1_3gpuE9ELNS1_3repE0EEENS1_38merge_mergepath_config_static_selectorELNS0_4arch9wavefront6targetE0EEEvSF_.has_dyn_sized_stack, 0
	.set _ZN7rocprim17ROCPRIM_400000_NS6detail17trampoline_kernelINS0_14default_configENS1_38merge_sort_block_merge_config_selectorIaNS0_10empty_typeEEEZZNS1_27merge_sort_block_merge_implIS3_PaPS5_jNS1_19radix_merge_compareILb0ELb1EaNS0_19identity_decomposerEEEEE10hipError_tT0_T1_T2_jT3_P12ihipStream_tbPNSt15iterator_traitsISE_E10value_typeEPNSK_ISF_E10value_typeEPSG_NS1_7vsmem_tEENKUlT_SE_SF_SG_E_clIS8_S8_S9_S9_EESD_ST_SE_SF_SG_EUlST_E0_NS1_11comp_targetILNS1_3genE5ELNS1_11target_archE942ELNS1_3gpuE9ELNS1_3repE0EEENS1_38merge_mergepath_config_static_selectorELNS0_4arch9wavefront6targetE0EEEvSF_.has_recursion, 0
	.set _ZN7rocprim17ROCPRIM_400000_NS6detail17trampoline_kernelINS0_14default_configENS1_38merge_sort_block_merge_config_selectorIaNS0_10empty_typeEEEZZNS1_27merge_sort_block_merge_implIS3_PaPS5_jNS1_19radix_merge_compareILb0ELb1EaNS0_19identity_decomposerEEEEE10hipError_tT0_T1_T2_jT3_P12ihipStream_tbPNSt15iterator_traitsISE_E10value_typeEPNSK_ISF_E10value_typeEPSG_NS1_7vsmem_tEENKUlT_SE_SF_SG_E_clIS8_S8_S9_S9_EESD_ST_SE_SF_SG_EUlST_E0_NS1_11comp_targetILNS1_3genE5ELNS1_11target_archE942ELNS1_3gpuE9ELNS1_3repE0EEENS1_38merge_mergepath_config_static_selectorELNS0_4arch9wavefront6targetE0EEEvSF_.has_indirect_call, 0
	.section	.AMDGPU.csdata,"",@progbits
; Kernel info:
; codeLenInByte = 0
; TotalNumSgprs: 0
; NumVgprs: 0
; ScratchSize: 0
; MemoryBound: 0
; FloatMode: 240
; IeeeMode: 1
; LDSByteSize: 0 bytes/workgroup (compile time only)
; SGPRBlocks: 0
; VGPRBlocks: 0
; NumSGPRsForWavesPerEU: 1
; NumVGPRsForWavesPerEU: 1
; NamedBarCnt: 0
; Occupancy: 16
; WaveLimiterHint : 0
; COMPUTE_PGM_RSRC2:SCRATCH_EN: 0
; COMPUTE_PGM_RSRC2:USER_SGPR: 2
; COMPUTE_PGM_RSRC2:TRAP_HANDLER: 0
; COMPUTE_PGM_RSRC2:TGID_X_EN: 1
; COMPUTE_PGM_RSRC2:TGID_Y_EN: 0
; COMPUTE_PGM_RSRC2:TGID_Z_EN: 0
; COMPUTE_PGM_RSRC2:TIDIG_COMP_CNT: 0
	.section	.text._ZN7rocprim17ROCPRIM_400000_NS6detail17trampoline_kernelINS0_14default_configENS1_38merge_sort_block_merge_config_selectorIaNS0_10empty_typeEEEZZNS1_27merge_sort_block_merge_implIS3_PaPS5_jNS1_19radix_merge_compareILb0ELb1EaNS0_19identity_decomposerEEEEE10hipError_tT0_T1_T2_jT3_P12ihipStream_tbPNSt15iterator_traitsISE_E10value_typeEPNSK_ISF_E10value_typeEPSG_NS1_7vsmem_tEENKUlT_SE_SF_SG_E_clIS8_S8_S9_S9_EESD_ST_SE_SF_SG_EUlST_E0_NS1_11comp_targetILNS1_3genE4ELNS1_11target_archE910ELNS1_3gpuE8ELNS1_3repE0EEENS1_38merge_mergepath_config_static_selectorELNS0_4arch9wavefront6targetE0EEEvSF_,"axG",@progbits,_ZN7rocprim17ROCPRIM_400000_NS6detail17trampoline_kernelINS0_14default_configENS1_38merge_sort_block_merge_config_selectorIaNS0_10empty_typeEEEZZNS1_27merge_sort_block_merge_implIS3_PaPS5_jNS1_19radix_merge_compareILb0ELb1EaNS0_19identity_decomposerEEEEE10hipError_tT0_T1_T2_jT3_P12ihipStream_tbPNSt15iterator_traitsISE_E10value_typeEPNSK_ISF_E10value_typeEPSG_NS1_7vsmem_tEENKUlT_SE_SF_SG_E_clIS8_S8_S9_S9_EESD_ST_SE_SF_SG_EUlST_E0_NS1_11comp_targetILNS1_3genE4ELNS1_11target_archE910ELNS1_3gpuE8ELNS1_3repE0EEENS1_38merge_mergepath_config_static_selectorELNS0_4arch9wavefront6targetE0EEEvSF_,comdat
	.protected	_ZN7rocprim17ROCPRIM_400000_NS6detail17trampoline_kernelINS0_14default_configENS1_38merge_sort_block_merge_config_selectorIaNS0_10empty_typeEEEZZNS1_27merge_sort_block_merge_implIS3_PaPS5_jNS1_19radix_merge_compareILb0ELb1EaNS0_19identity_decomposerEEEEE10hipError_tT0_T1_T2_jT3_P12ihipStream_tbPNSt15iterator_traitsISE_E10value_typeEPNSK_ISF_E10value_typeEPSG_NS1_7vsmem_tEENKUlT_SE_SF_SG_E_clIS8_S8_S9_S9_EESD_ST_SE_SF_SG_EUlST_E0_NS1_11comp_targetILNS1_3genE4ELNS1_11target_archE910ELNS1_3gpuE8ELNS1_3repE0EEENS1_38merge_mergepath_config_static_selectorELNS0_4arch9wavefront6targetE0EEEvSF_ ; -- Begin function _ZN7rocprim17ROCPRIM_400000_NS6detail17trampoline_kernelINS0_14default_configENS1_38merge_sort_block_merge_config_selectorIaNS0_10empty_typeEEEZZNS1_27merge_sort_block_merge_implIS3_PaPS5_jNS1_19radix_merge_compareILb0ELb1EaNS0_19identity_decomposerEEEEE10hipError_tT0_T1_T2_jT3_P12ihipStream_tbPNSt15iterator_traitsISE_E10value_typeEPNSK_ISF_E10value_typeEPSG_NS1_7vsmem_tEENKUlT_SE_SF_SG_E_clIS8_S8_S9_S9_EESD_ST_SE_SF_SG_EUlST_E0_NS1_11comp_targetILNS1_3genE4ELNS1_11target_archE910ELNS1_3gpuE8ELNS1_3repE0EEENS1_38merge_mergepath_config_static_selectorELNS0_4arch9wavefront6targetE0EEEvSF_
	.globl	_ZN7rocprim17ROCPRIM_400000_NS6detail17trampoline_kernelINS0_14default_configENS1_38merge_sort_block_merge_config_selectorIaNS0_10empty_typeEEEZZNS1_27merge_sort_block_merge_implIS3_PaPS5_jNS1_19radix_merge_compareILb0ELb1EaNS0_19identity_decomposerEEEEE10hipError_tT0_T1_T2_jT3_P12ihipStream_tbPNSt15iterator_traitsISE_E10value_typeEPNSK_ISF_E10value_typeEPSG_NS1_7vsmem_tEENKUlT_SE_SF_SG_E_clIS8_S8_S9_S9_EESD_ST_SE_SF_SG_EUlST_E0_NS1_11comp_targetILNS1_3genE4ELNS1_11target_archE910ELNS1_3gpuE8ELNS1_3repE0EEENS1_38merge_mergepath_config_static_selectorELNS0_4arch9wavefront6targetE0EEEvSF_
	.p2align	8
	.type	_ZN7rocprim17ROCPRIM_400000_NS6detail17trampoline_kernelINS0_14default_configENS1_38merge_sort_block_merge_config_selectorIaNS0_10empty_typeEEEZZNS1_27merge_sort_block_merge_implIS3_PaPS5_jNS1_19radix_merge_compareILb0ELb1EaNS0_19identity_decomposerEEEEE10hipError_tT0_T1_T2_jT3_P12ihipStream_tbPNSt15iterator_traitsISE_E10value_typeEPNSK_ISF_E10value_typeEPSG_NS1_7vsmem_tEENKUlT_SE_SF_SG_E_clIS8_S8_S9_S9_EESD_ST_SE_SF_SG_EUlST_E0_NS1_11comp_targetILNS1_3genE4ELNS1_11target_archE910ELNS1_3gpuE8ELNS1_3repE0EEENS1_38merge_mergepath_config_static_selectorELNS0_4arch9wavefront6targetE0EEEvSF_,@function
_ZN7rocprim17ROCPRIM_400000_NS6detail17trampoline_kernelINS0_14default_configENS1_38merge_sort_block_merge_config_selectorIaNS0_10empty_typeEEEZZNS1_27merge_sort_block_merge_implIS3_PaPS5_jNS1_19radix_merge_compareILb0ELb1EaNS0_19identity_decomposerEEEEE10hipError_tT0_T1_T2_jT3_P12ihipStream_tbPNSt15iterator_traitsISE_E10value_typeEPNSK_ISF_E10value_typeEPSG_NS1_7vsmem_tEENKUlT_SE_SF_SG_E_clIS8_S8_S9_S9_EESD_ST_SE_SF_SG_EUlST_E0_NS1_11comp_targetILNS1_3genE4ELNS1_11target_archE910ELNS1_3gpuE8ELNS1_3repE0EEENS1_38merge_mergepath_config_static_selectorELNS0_4arch9wavefront6targetE0EEEvSF_: ; @_ZN7rocprim17ROCPRIM_400000_NS6detail17trampoline_kernelINS0_14default_configENS1_38merge_sort_block_merge_config_selectorIaNS0_10empty_typeEEEZZNS1_27merge_sort_block_merge_implIS3_PaPS5_jNS1_19radix_merge_compareILb0ELb1EaNS0_19identity_decomposerEEEEE10hipError_tT0_T1_T2_jT3_P12ihipStream_tbPNSt15iterator_traitsISE_E10value_typeEPNSK_ISF_E10value_typeEPSG_NS1_7vsmem_tEENKUlT_SE_SF_SG_E_clIS8_S8_S9_S9_EESD_ST_SE_SF_SG_EUlST_E0_NS1_11comp_targetILNS1_3genE4ELNS1_11target_archE910ELNS1_3gpuE8ELNS1_3repE0EEENS1_38merge_mergepath_config_static_selectorELNS0_4arch9wavefront6targetE0EEEvSF_
; %bb.0:
	.section	.rodata,"a",@progbits
	.p2align	6, 0x0
	.amdhsa_kernel _ZN7rocprim17ROCPRIM_400000_NS6detail17trampoline_kernelINS0_14default_configENS1_38merge_sort_block_merge_config_selectorIaNS0_10empty_typeEEEZZNS1_27merge_sort_block_merge_implIS3_PaPS5_jNS1_19radix_merge_compareILb0ELb1EaNS0_19identity_decomposerEEEEE10hipError_tT0_T1_T2_jT3_P12ihipStream_tbPNSt15iterator_traitsISE_E10value_typeEPNSK_ISF_E10value_typeEPSG_NS1_7vsmem_tEENKUlT_SE_SF_SG_E_clIS8_S8_S9_S9_EESD_ST_SE_SF_SG_EUlST_E0_NS1_11comp_targetILNS1_3genE4ELNS1_11target_archE910ELNS1_3gpuE8ELNS1_3repE0EEENS1_38merge_mergepath_config_static_selectorELNS0_4arch9wavefront6targetE0EEEvSF_
		.amdhsa_group_segment_fixed_size 0
		.amdhsa_private_segment_fixed_size 0
		.amdhsa_kernarg_size 64
		.amdhsa_user_sgpr_count 2
		.amdhsa_user_sgpr_dispatch_ptr 0
		.amdhsa_user_sgpr_queue_ptr 0
		.amdhsa_user_sgpr_kernarg_segment_ptr 1
		.amdhsa_user_sgpr_dispatch_id 0
		.amdhsa_user_sgpr_kernarg_preload_length 0
		.amdhsa_user_sgpr_kernarg_preload_offset 0
		.amdhsa_user_sgpr_private_segment_size 0
		.amdhsa_wavefront_size32 1
		.amdhsa_uses_dynamic_stack 0
		.amdhsa_enable_private_segment 0
		.amdhsa_system_sgpr_workgroup_id_x 1
		.amdhsa_system_sgpr_workgroup_id_y 0
		.amdhsa_system_sgpr_workgroup_id_z 0
		.amdhsa_system_sgpr_workgroup_info 0
		.amdhsa_system_vgpr_workitem_id 0
		.amdhsa_next_free_vgpr 1
		.amdhsa_next_free_sgpr 1
		.amdhsa_named_barrier_count 0
		.amdhsa_reserve_vcc 0
		.amdhsa_float_round_mode_32 0
		.amdhsa_float_round_mode_16_64 0
		.amdhsa_float_denorm_mode_32 3
		.amdhsa_float_denorm_mode_16_64 3
		.amdhsa_fp16_overflow 0
		.amdhsa_memory_ordered 1
		.amdhsa_forward_progress 1
		.amdhsa_inst_pref_size 0
		.amdhsa_round_robin_scheduling 0
		.amdhsa_exception_fp_ieee_invalid_op 0
		.amdhsa_exception_fp_denorm_src 0
		.amdhsa_exception_fp_ieee_div_zero 0
		.amdhsa_exception_fp_ieee_overflow 0
		.amdhsa_exception_fp_ieee_underflow 0
		.amdhsa_exception_fp_ieee_inexact 0
		.amdhsa_exception_int_div_zero 0
	.end_amdhsa_kernel
	.section	.text._ZN7rocprim17ROCPRIM_400000_NS6detail17trampoline_kernelINS0_14default_configENS1_38merge_sort_block_merge_config_selectorIaNS0_10empty_typeEEEZZNS1_27merge_sort_block_merge_implIS3_PaPS5_jNS1_19radix_merge_compareILb0ELb1EaNS0_19identity_decomposerEEEEE10hipError_tT0_T1_T2_jT3_P12ihipStream_tbPNSt15iterator_traitsISE_E10value_typeEPNSK_ISF_E10value_typeEPSG_NS1_7vsmem_tEENKUlT_SE_SF_SG_E_clIS8_S8_S9_S9_EESD_ST_SE_SF_SG_EUlST_E0_NS1_11comp_targetILNS1_3genE4ELNS1_11target_archE910ELNS1_3gpuE8ELNS1_3repE0EEENS1_38merge_mergepath_config_static_selectorELNS0_4arch9wavefront6targetE0EEEvSF_,"axG",@progbits,_ZN7rocprim17ROCPRIM_400000_NS6detail17trampoline_kernelINS0_14default_configENS1_38merge_sort_block_merge_config_selectorIaNS0_10empty_typeEEEZZNS1_27merge_sort_block_merge_implIS3_PaPS5_jNS1_19radix_merge_compareILb0ELb1EaNS0_19identity_decomposerEEEEE10hipError_tT0_T1_T2_jT3_P12ihipStream_tbPNSt15iterator_traitsISE_E10value_typeEPNSK_ISF_E10value_typeEPSG_NS1_7vsmem_tEENKUlT_SE_SF_SG_E_clIS8_S8_S9_S9_EESD_ST_SE_SF_SG_EUlST_E0_NS1_11comp_targetILNS1_3genE4ELNS1_11target_archE910ELNS1_3gpuE8ELNS1_3repE0EEENS1_38merge_mergepath_config_static_selectorELNS0_4arch9wavefront6targetE0EEEvSF_,comdat
.Lfunc_end435:
	.size	_ZN7rocprim17ROCPRIM_400000_NS6detail17trampoline_kernelINS0_14default_configENS1_38merge_sort_block_merge_config_selectorIaNS0_10empty_typeEEEZZNS1_27merge_sort_block_merge_implIS3_PaPS5_jNS1_19radix_merge_compareILb0ELb1EaNS0_19identity_decomposerEEEEE10hipError_tT0_T1_T2_jT3_P12ihipStream_tbPNSt15iterator_traitsISE_E10value_typeEPNSK_ISF_E10value_typeEPSG_NS1_7vsmem_tEENKUlT_SE_SF_SG_E_clIS8_S8_S9_S9_EESD_ST_SE_SF_SG_EUlST_E0_NS1_11comp_targetILNS1_3genE4ELNS1_11target_archE910ELNS1_3gpuE8ELNS1_3repE0EEENS1_38merge_mergepath_config_static_selectorELNS0_4arch9wavefront6targetE0EEEvSF_, .Lfunc_end435-_ZN7rocprim17ROCPRIM_400000_NS6detail17trampoline_kernelINS0_14default_configENS1_38merge_sort_block_merge_config_selectorIaNS0_10empty_typeEEEZZNS1_27merge_sort_block_merge_implIS3_PaPS5_jNS1_19radix_merge_compareILb0ELb1EaNS0_19identity_decomposerEEEEE10hipError_tT0_T1_T2_jT3_P12ihipStream_tbPNSt15iterator_traitsISE_E10value_typeEPNSK_ISF_E10value_typeEPSG_NS1_7vsmem_tEENKUlT_SE_SF_SG_E_clIS8_S8_S9_S9_EESD_ST_SE_SF_SG_EUlST_E0_NS1_11comp_targetILNS1_3genE4ELNS1_11target_archE910ELNS1_3gpuE8ELNS1_3repE0EEENS1_38merge_mergepath_config_static_selectorELNS0_4arch9wavefront6targetE0EEEvSF_
                                        ; -- End function
	.set _ZN7rocprim17ROCPRIM_400000_NS6detail17trampoline_kernelINS0_14default_configENS1_38merge_sort_block_merge_config_selectorIaNS0_10empty_typeEEEZZNS1_27merge_sort_block_merge_implIS3_PaPS5_jNS1_19radix_merge_compareILb0ELb1EaNS0_19identity_decomposerEEEEE10hipError_tT0_T1_T2_jT3_P12ihipStream_tbPNSt15iterator_traitsISE_E10value_typeEPNSK_ISF_E10value_typeEPSG_NS1_7vsmem_tEENKUlT_SE_SF_SG_E_clIS8_S8_S9_S9_EESD_ST_SE_SF_SG_EUlST_E0_NS1_11comp_targetILNS1_3genE4ELNS1_11target_archE910ELNS1_3gpuE8ELNS1_3repE0EEENS1_38merge_mergepath_config_static_selectorELNS0_4arch9wavefront6targetE0EEEvSF_.num_vgpr, 0
	.set _ZN7rocprim17ROCPRIM_400000_NS6detail17trampoline_kernelINS0_14default_configENS1_38merge_sort_block_merge_config_selectorIaNS0_10empty_typeEEEZZNS1_27merge_sort_block_merge_implIS3_PaPS5_jNS1_19radix_merge_compareILb0ELb1EaNS0_19identity_decomposerEEEEE10hipError_tT0_T1_T2_jT3_P12ihipStream_tbPNSt15iterator_traitsISE_E10value_typeEPNSK_ISF_E10value_typeEPSG_NS1_7vsmem_tEENKUlT_SE_SF_SG_E_clIS8_S8_S9_S9_EESD_ST_SE_SF_SG_EUlST_E0_NS1_11comp_targetILNS1_3genE4ELNS1_11target_archE910ELNS1_3gpuE8ELNS1_3repE0EEENS1_38merge_mergepath_config_static_selectorELNS0_4arch9wavefront6targetE0EEEvSF_.num_agpr, 0
	.set _ZN7rocprim17ROCPRIM_400000_NS6detail17trampoline_kernelINS0_14default_configENS1_38merge_sort_block_merge_config_selectorIaNS0_10empty_typeEEEZZNS1_27merge_sort_block_merge_implIS3_PaPS5_jNS1_19radix_merge_compareILb0ELb1EaNS0_19identity_decomposerEEEEE10hipError_tT0_T1_T2_jT3_P12ihipStream_tbPNSt15iterator_traitsISE_E10value_typeEPNSK_ISF_E10value_typeEPSG_NS1_7vsmem_tEENKUlT_SE_SF_SG_E_clIS8_S8_S9_S9_EESD_ST_SE_SF_SG_EUlST_E0_NS1_11comp_targetILNS1_3genE4ELNS1_11target_archE910ELNS1_3gpuE8ELNS1_3repE0EEENS1_38merge_mergepath_config_static_selectorELNS0_4arch9wavefront6targetE0EEEvSF_.numbered_sgpr, 0
	.set _ZN7rocprim17ROCPRIM_400000_NS6detail17trampoline_kernelINS0_14default_configENS1_38merge_sort_block_merge_config_selectorIaNS0_10empty_typeEEEZZNS1_27merge_sort_block_merge_implIS3_PaPS5_jNS1_19radix_merge_compareILb0ELb1EaNS0_19identity_decomposerEEEEE10hipError_tT0_T1_T2_jT3_P12ihipStream_tbPNSt15iterator_traitsISE_E10value_typeEPNSK_ISF_E10value_typeEPSG_NS1_7vsmem_tEENKUlT_SE_SF_SG_E_clIS8_S8_S9_S9_EESD_ST_SE_SF_SG_EUlST_E0_NS1_11comp_targetILNS1_3genE4ELNS1_11target_archE910ELNS1_3gpuE8ELNS1_3repE0EEENS1_38merge_mergepath_config_static_selectorELNS0_4arch9wavefront6targetE0EEEvSF_.num_named_barrier, 0
	.set _ZN7rocprim17ROCPRIM_400000_NS6detail17trampoline_kernelINS0_14default_configENS1_38merge_sort_block_merge_config_selectorIaNS0_10empty_typeEEEZZNS1_27merge_sort_block_merge_implIS3_PaPS5_jNS1_19radix_merge_compareILb0ELb1EaNS0_19identity_decomposerEEEEE10hipError_tT0_T1_T2_jT3_P12ihipStream_tbPNSt15iterator_traitsISE_E10value_typeEPNSK_ISF_E10value_typeEPSG_NS1_7vsmem_tEENKUlT_SE_SF_SG_E_clIS8_S8_S9_S9_EESD_ST_SE_SF_SG_EUlST_E0_NS1_11comp_targetILNS1_3genE4ELNS1_11target_archE910ELNS1_3gpuE8ELNS1_3repE0EEENS1_38merge_mergepath_config_static_selectorELNS0_4arch9wavefront6targetE0EEEvSF_.private_seg_size, 0
	.set _ZN7rocprim17ROCPRIM_400000_NS6detail17trampoline_kernelINS0_14default_configENS1_38merge_sort_block_merge_config_selectorIaNS0_10empty_typeEEEZZNS1_27merge_sort_block_merge_implIS3_PaPS5_jNS1_19radix_merge_compareILb0ELb1EaNS0_19identity_decomposerEEEEE10hipError_tT0_T1_T2_jT3_P12ihipStream_tbPNSt15iterator_traitsISE_E10value_typeEPNSK_ISF_E10value_typeEPSG_NS1_7vsmem_tEENKUlT_SE_SF_SG_E_clIS8_S8_S9_S9_EESD_ST_SE_SF_SG_EUlST_E0_NS1_11comp_targetILNS1_3genE4ELNS1_11target_archE910ELNS1_3gpuE8ELNS1_3repE0EEENS1_38merge_mergepath_config_static_selectorELNS0_4arch9wavefront6targetE0EEEvSF_.uses_vcc, 0
	.set _ZN7rocprim17ROCPRIM_400000_NS6detail17trampoline_kernelINS0_14default_configENS1_38merge_sort_block_merge_config_selectorIaNS0_10empty_typeEEEZZNS1_27merge_sort_block_merge_implIS3_PaPS5_jNS1_19radix_merge_compareILb0ELb1EaNS0_19identity_decomposerEEEEE10hipError_tT0_T1_T2_jT3_P12ihipStream_tbPNSt15iterator_traitsISE_E10value_typeEPNSK_ISF_E10value_typeEPSG_NS1_7vsmem_tEENKUlT_SE_SF_SG_E_clIS8_S8_S9_S9_EESD_ST_SE_SF_SG_EUlST_E0_NS1_11comp_targetILNS1_3genE4ELNS1_11target_archE910ELNS1_3gpuE8ELNS1_3repE0EEENS1_38merge_mergepath_config_static_selectorELNS0_4arch9wavefront6targetE0EEEvSF_.uses_flat_scratch, 0
	.set _ZN7rocprim17ROCPRIM_400000_NS6detail17trampoline_kernelINS0_14default_configENS1_38merge_sort_block_merge_config_selectorIaNS0_10empty_typeEEEZZNS1_27merge_sort_block_merge_implIS3_PaPS5_jNS1_19radix_merge_compareILb0ELb1EaNS0_19identity_decomposerEEEEE10hipError_tT0_T1_T2_jT3_P12ihipStream_tbPNSt15iterator_traitsISE_E10value_typeEPNSK_ISF_E10value_typeEPSG_NS1_7vsmem_tEENKUlT_SE_SF_SG_E_clIS8_S8_S9_S9_EESD_ST_SE_SF_SG_EUlST_E0_NS1_11comp_targetILNS1_3genE4ELNS1_11target_archE910ELNS1_3gpuE8ELNS1_3repE0EEENS1_38merge_mergepath_config_static_selectorELNS0_4arch9wavefront6targetE0EEEvSF_.has_dyn_sized_stack, 0
	.set _ZN7rocprim17ROCPRIM_400000_NS6detail17trampoline_kernelINS0_14default_configENS1_38merge_sort_block_merge_config_selectorIaNS0_10empty_typeEEEZZNS1_27merge_sort_block_merge_implIS3_PaPS5_jNS1_19radix_merge_compareILb0ELb1EaNS0_19identity_decomposerEEEEE10hipError_tT0_T1_T2_jT3_P12ihipStream_tbPNSt15iterator_traitsISE_E10value_typeEPNSK_ISF_E10value_typeEPSG_NS1_7vsmem_tEENKUlT_SE_SF_SG_E_clIS8_S8_S9_S9_EESD_ST_SE_SF_SG_EUlST_E0_NS1_11comp_targetILNS1_3genE4ELNS1_11target_archE910ELNS1_3gpuE8ELNS1_3repE0EEENS1_38merge_mergepath_config_static_selectorELNS0_4arch9wavefront6targetE0EEEvSF_.has_recursion, 0
	.set _ZN7rocprim17ROCPRIM_400000_NS6detail17trampoline_kernelINS0_14default_configENS1_38merge_sort_block_merge_config_selectorIaNS0_10empty_typeEEEZZNS1_27merge_sort_block_merge_implIS3_PaPS5_jNS1_19radix_merge_compareILb0ELb1EaNS0_19identity_decomposerEEEEE10hipError_tT0_T1_T2_jT3_P12ihipStream_tbPNSt15iterator_traitsISE_E10value_typeEPNSK_ISF_E10value_typeEPSG_NS1_7vsmem_tEENKUlT_SE_SF_SG_E_clIS8_S8_S9_S9_EESD_ST_SE_SF_SG_EUlST_E0_NS1_11comp_targetILNS1_3genE4ELNS1_11target_archE910ELNS1_3gpuE8ELNS1_3repE0EEENS1_38merge_mergepath_config_static_selectorELNS0_4arch9wavefront6targetE0EEEvSF_.has_indirect_call, 0
	.section	.AMDGPU.csdata,"",@progbits
; Kernel info:
; codeLenInByte = 0
; TotalNumSgprs: 0
; NumVgprs: 0
; ScratchSize: 0
; MemoryBound: 0
; FloatMode: 240
; IeeeMode: 1
; LDSByteSize: 0 bytes/workgroup (compile time only)
; SGPRBlocks: 0
; VGPRBlocks: 0
; NumSGPRsForWavesPerEU: 1
; NumVGPRsForWavesPerEU: 1
; NamedBarCnt: 0
; Occupancy: 16
; WaveLimiterHint : 0
; COMPUTE_PGM_RSRC2:SCRATCH_EN: 0
; COMPUTE_PGM_RSRC2:USER_SGPR: 2
; COMPUTE_PGM_RSRC2:TRAP_HANDLER: 0
; COMPUTE_PGM_RSRC2:TGID_X_EN: 1
; COMPUTE_PGM_RSRC2:TGID_Y_EN: 0
; COMPUTE_PGM_RSRC2:TGID_Z_EN: 0
; COMPUTE_PGM_RSRC2:TIDIG_COMP_CNT: 0
	.section	.text._ZN7rocprim17ROCPRIM_400000_NS6detail17trampoline_kernelINS0_14default_configENS1_38merge_sort_block_merge_config_selectorIaNS0_10empty_typeEEEZZNS1_27merge_sort_block_merge_implIS3_PaPS5_jNS1_19radix_merge_compareILb0ELb1EaNS0_19identity_decomposerEEEEE10hipError_tT0_T1_T2_jT3_P12ihipStream_tbPNSt15iterator_traitsISE_E10value_typeEPNSK_ISF_E10value_typeEPSG_NS1_7vsmem_tEENKUlT_SE_SF_SG_E_clIS8_S8_S9_S9_EESD_ST_SE_SF_SG_EUlST_E0_NS1_11comp_targetILNS1_3genE3ELNS1_11target_archE908ELNS1_3gpuE7ELNS1_3repE0EEENS1_38merge_mergepath_config_static_selectorELNS0_4arch9wavefront6targetE0EEEvSF_,"axG",@progbits,_ZN7rocprim17ROCPRIM_400000_NS6detail17trampoline_kernelINS0_14default_configENS1_38merge_sort_block_merge_config_selectorIaNS0_10empty_typeEEEZZNS1_27merge_sort_block_merge_implIS3_PaPS5_jNS1_19radix_merge_compareILb0ELb1EaNS0_19identity_decomposerEEEEE10hipError_tT0_T1_T2_jT3_P12ihipStream_tbPNSt15iterator_traitsISE_E10value_typeEPNSK_ISF_E10value_typeEPSG_NS1_7vsmem_tEENKUlT_SE_SF_SG_E_clIS8_S8_S9_S9_EESD_ST_SE_SF_SG_EUlST_E0_NS1_11comp_targetILNS1_3genE3ELNS1_11target_archE908ELNS1_3gpuE7ELNS1_3repE0EEENS1_38merge_mergepath_config_static_selectorELNS0_4arch9wavefront6targetE0EEEvSF_,comdat
	.protected	_ZN7rocprim17ROCPRIM_400000_NS6detail17trampoline_kernelINS0_14default_configENS1_38merge_sort_block_merge_config_selectorIaNS0_10empty_typeEEEZZNS1_27merge_sort_block_merge_implIS3_PaPS5_jNS1_19radix_merge_compareILb0ELb1EaNS0_19identity_decomposerEEEEE10hipError_tT0_T1_T2_jT3_P12ihipStream_tbPNSt15iterator_traitsISE_E10value_typeEPNSK_ISF_E10value_typeEPSG_NS1_7vsmem_tEENKUlT_SE_SF_SG_E_clIS8_S8_S9_S9_EESD_ST_SE_SF_SG_EUlST_E0_NS1_11comp_targetILNS1_3genE3ELNS1_11target_archE908ELNS1_3gpuE7ELNS1_3repE0EEENS1_38merge_mergepath_config_static_selectorELNS0_4arch9wavefront6targetE0EEEvSF_ ; -- Begin function _ZN7rocprim17ROCPRIM_400000_NS6detail17trampoline_kernelINS0_14default_configENS1_38merge_sort_block_merge_config_selectorIaNS0_10empty_typeEEEZZNS1_27merge_sort_block_merge_implIS3_PaPS5_jNS1_19radix_merge_compareILb0ELb1EaNS0_19identity_decomposerEEEEE10hipError_tT0_T1_T2_jT3_P12ihipStream_tbPNSt15iterator_traitsISE_E10value_typeEPNSK_ISF_E10value_typeEPSG_NS1_7vsmem_tEENKUlT_SE_SF_SG_E_clIS8_S8_S9_S9_EESD_ST_SE_SF_SG_EUlST_E0_NS1_11comp_targetILNS1_3genE3ELNS1_11target_archE908ELNS1_3gpuE7ELNS1_3repE0EEENS1_38merge_mergepath_config_static_selectorELNS0_4arch9wavefront6targetE0EEEvSF_
	.globl	_ZN7rocprim17ROCPRIM_400000_NS6detail17trampoline_kernelINS0_14default_configENS1_38merge_sort_block_merge_config_selectorIaNS0_10empty_typeEEEZZNS1_27merge_sort_block_merge_implIS3_PaPS5_jNS1_19radix_merge_compareILb0ELb1EaNS0_19identity_decomposerEEEEE10hipError_tT0_T1_T2_jT3_P12ihipStream_tbPNSt15iterator_traitsISE_E10value_typeEPNSK_ISF_E10value_typeEPSG_NS1_7vsmem_tEENKUlT_SE_SF_SG_E_clIS8_S8_S9_S9_EESD_ST_SE_SF_SG_EUlST_E0_NS1_11comp_targetILNS1_3genE3ELNS1_11target_archE908ELNS1_3gpuE7ELNS1_3repE0EEENS1_38merge_mergepath_config_static_selectorELNS0_4arch9wavefront6targetE0EEEvSF_
	.p2align	8
	.type	_ZN7rocprim17ROCPRIM_400000_NS6detail17trampoline_kernelINS0_14default_configENS1_38merge_sort_block_merge_config_selectorIaNS0_10empty_typeEEEZZNS1_27merge_sort_block_merge_implIS3_PaPS5_jNS1_19radix_merge_compareILb0ELb1EaNS0_19identity_decomposerEEEEE10hipError_tT0_T1_T2_jT3_P12ihipStream_tbPNSt15iterator_traitsISE_E10value_typeEPNSK_ISF_E10value_typeEPSG_NS1_7vsmem_tEENKUlT_SE_SF_SG_E_clIS8_S8_S9_S9_EESD_ST_SE_SF_SG_EUlST_E0_NS1_11comp_targetILNS1_3genE3ELNS1_11target_archE908ELNS1_3gpuE7ELNS1_3repE0EEENS1_38merge_mergepath_config_static_selectorELNS0_4arch9wavefront6targetE0EEEvSF_,@function
_ZN7rocprim17ROCPRIM_400000_NS6detail17trampoline_kernelINS0_14default_configENS1_38merge_sort_block_merge_config_selectorIaNS0_10empty_typeEEEZZNS1_27merge_sort_block_merge_implIS3_PaPS5_jNS1_19radix_merge_compareILb0ELb1EaNS0_19identity_decomposerEEEEE10hipError_tT0_T1_T2_jT3_P12ihipStream_tbPNSt15iterator_traitsISE_E10value_typeEPNSK_ISF_E10value_typeEPSG_NS1_7vsmem_tEENKUlT_SE_SF_SG_E_clIS8_S8_S9_S9_EESD_ST_SE_SF_SG_EUlST_E0_NS1_11comp_targetILNS1_3genE3ELNS1_11target_archE908ELNS1_3gpuE7ELNS1_3repE0EEENS1_38merge_mergepath_config_static_selectorELNS0_4arch9wavefront6targetE0EEEvSF_: ; @_ZN7rocprim17ROCPRIM_400000_NS6detail17trampoline_kernelINS0_14default_configENS1_38merge_sort_block_merge_config_selectorIaNS0_10empty_typeEEEZZNS1_27merge_sort_block_merge_implIS3_PaPS5_jNS1_19radix_merge_compareILb0ELb1EaNS0_19identity_decomposerEEEEE10hipError_tT0_T1_T2_jT3_P12ihipStream_tbPNSt15iterator_traitsISE_E10value_typeEPNSK_ISF_E10value_typeEPSG_NS1_7vsmem_tEENKUlT_SE_SF_SG_E_clIS8_S8_S9_S9_EESD_ST_SE_SF_SG_EUlST_E0_NS1_11comp_targetILNS1_3genE3ELNS1_11target_archE908ELNS1_3gpuE7ELNS1_3repE0EEENS1_38merge_mergepath_config_static_selectorELNS0_4arch9wavefront6targetE0EEEvSF_
; %bb.0:
	.section	.rodata,"a",@progbits
	.p2align	6, 0x0
	.amdhsa_kernel _ZN7rocprim17ROCPRIM_400000_NS6detail17trampoline_kernelINS0_14default_configENS1_38merge_sort_block_merge_config_selectorIaNS0_10empty_typeEEEZZNS1_27merge_sort_block_merge_implIS3_PaPS5_jNS1_19radix_merge_compareILb0ELb1EaNS0_19identity_decomposerEEEEE10hipError_tT0_T1_T2_jT3_P12ihipStream_tbPNSt15iterator_traitsISE_E10value_typeEPNSK_ISF_E10value_typeEPSG_NS1_7vsmem_tEENKUlT_SE_SF_SG_E_clIS8_S8_S9_S9_EESD_ST_SE_SF_SG_EUlST_E0_NS1_11comp_targetILNS1_3genE3ELNS1_11target_archE908ELNS1_3gpuE7ELNS1_3repE0EEENS1_38merge_mergepath_config_static_selectorELNS0_4arch9wavefront6targetE0EEEvSF_
		.amdhsa_group_segment_fixed_size 0
		.amdhsa_private_segment_fixed_size 0
		.amdhsa_kernarg_size 64
		.amdhsa_user_sgpr_count 2
		.amdhsa_user_sgpr_dispatch_ptr 0
		.amdhsa_user_sgpr_queue_ptr 0
		.amdhsa_user_sgpr_kernarg_segment_ptr 1
		.amdhsa_user_sgpr_dispatch_id 0
		.amdhsa_user_sgpr_kernarg_preload_length 0
		.amdhsa_user_sgpr_kernarg_preload_offset 0
		.amdhsa_user_sgpr_private_segment_size 0
		.amdhsa_wavefront_size32 1
		.amdhsa_uses_dynamic_stack 0
		.amdhsa_enable_private_segment 0
		.amdhsa_system_sgpr_workgroup_id_x 1
		.amdhsa_system_sgpr_workgroup_id_y 0
		.amdhsa_system_sgpr_workgroup_id_z 0
		.amdhsa_system_sgpr_workgroup_info 0
		.amdhsa_system_vgpr_workitem_id 0
		.amdhsa_next_free_vgpr 1
		.amdhsa_next_free_sgpr 1
		.amdhsa_named_barrier_count 0
		.amdhsa_reserve_vcc 0
		.amdhsa_float_round_mode_32 0
		.amdhsa_float_round_mode_16_64 0
		.amdhsa_float_denorm_mode_32 3
		.amdhsa_float_denorm_mode_16_64 3
		.amdhsa_fp16_overflow 0
		.amdhsa_memory_ordered 1
		.amdhsa_forward_progress 1
		.amdhsa_inst_pref_size 0
		.amdhsa_round_robin_scheduling 0
		.amdhsa_exception_fp_ieee_invalid_op 0
		.amdhsa_exception_fp_denorm_src 0
		.amdhsa_exception_fp_ieee_div_zero 0
		.amdhsa_exception_fp_ieee_overflow 0
		.amdhsa_exception_fp_ieee_underflow 0
		.amdhsa_exception_fp_ieee_inexact 0
		.amdhsa_exception_int_div_zero 0
	.end_amdhsa_kernel
	.section	.text._ZN7rocprim17ROCPRIM_400000_NS6detail17trampoline_kernelINS0_14default_configENS1_38merge_sort_block_merge_config_selectorIaNS0_10empty_typeEEEZZNS1_27merge_sort_block_merge_implIS3_PaPS5_jNS1_19radix_merge_compareILb0ELb1EaNS0_19identity_decomposerEEEEE10hipError_tT0_T1_T2_jT3_P12ihipStream_tbPNSt15iterator_traitsISE_E10value_typeEPNSK_ISF_E10value_typeEPSG_NS1_7vsmem_tEENKUlT_SE_SF_SG_E_clIS8_S8_S9_S9_EESD_ST_SE_SF_SG_EUlST_E0_NS1_11comp_targetILNS1_3genE3ELNS1_11target_archE908ELNS1_3gpuE7ELNS1_3repE0EEENS1_38merge_mergepath_config_static_selectorELNS0_4arch9wavefront6targetE0EEEvSF_,"axG",@progbits,_ZN7rocprim17ROCPRIM_400000_NS6detail17trampoline_kernelINS0_14default_configENS1_38merge_sort_block_merge_config_selectorIaNS0_10empty_typeEEEZZNS1_27merge_sort_block_merge_implIS3_PaPS5_jNS1_19radix_merge_compareILb0ELb1EaNS0_19identity_decomposerEEEEE10hipError_tT0_T1_T2_jT3_P12ihipStream_tbPNSt15iterator_traitsISE_E10value_typeEPNSK_ISF_E10value_typeEPSG_NS1_7vsmem_tEENKUlT_SE_SF_SG_E_clIS8_S8_S9_S9_EESD_ST_SE_SF_SG_EUlST_E0_NS1_11comp_targetILNS1_3genE3ELNS1_11target_archE908ELNS1_3gpuE7ELNS1_3repE0EEENS1_38merge_mergepath_config_static_selectorELNS0_4arch9wavefront6targetE0EEEvSF_,comdat
.Lfunc_end436:
	.size	_ZN7rocprim17ROCPRIM_400000_NS6detail17trampoline_kernelINS0_14default_configENS1_38merge_sort_block_merge_config_selectorIaNS0_10empty_typeEEEZZNS1_27merge_sort_block_merge_implIS3_PaPS5_jNS1_19radix_merge_compareILb0ELb1EaNS0_19identity_decomposerEEEEE10hipError_tT0_T1_T2_jT3_P12ihipStream_tbPNSt15iterator_traitsISE_E10value_typeEPNSK_ISF_E10value_typeEPSG_NS1_7vsmem_tEENKUlT_SE_SF_SG_E_clIS8_S8_S9_S9_EESD_ST_SE_SF_SG_EUlST_E0_NS1_11comp_targetILNS1_3genE3ELNS1_11target_archE908ELNS1_3gpuE7ELNS1_3repE0EEENS1_38merge_mergepath_config_static_selectorELNS0_4arch9wavefront6targetE0EEEvSF_, .Lfunc_end436-_ZN7rocprim17ROCPRIM_400000_NS6detail17trampoline_kernelINS0_14default_configENS1_38merge_sort_block_merge_config_selectorIaNS0_10empty_typeEEEZZNS1_27merge_sort_block_merge_implIS3_PaPS5_jNS1_19radix_merge_compareILb0ELb1EaNS0_19identity_decomposerEEEEE10hipError_tT0_T1_T2_jT3_P12ihipStream_tbPNSt15iterator_traitsISE_E10value_typeEPNSK_ISF_E10value_typeEPSG_NS1_7vsmem_tEENKUlT_SE_SF_SG_E_clIS8_S8_S9_S9_EESD_ST_SE_SF_SG_EUlST_E0_NS1_11comp_targetILNS1_3genE3ELNS1_11target_archE908ELNS1_3gpuE7ELNS1_3repE0EEENS1_38merge_mergepath_config_static_selectorELNS0_4arch9wavefront6targetE0EEEvSF_
                                        ; -- End function
	.set _ZN7rocprim17ROCPRIM_400000_NS6detail17trampoline_kernelINS0_14default_configENS1_38merge_sort_block_merge_config_selectorIaNS0_10empty_typeEEEZZNS1_27merge_sort_block_merge_implIS3_PaPS5_jNS1_19radix_merge_compareILb0ELb1EaNS0_19identity_decomposerEEEEE10hipError_tT0_T1_T2_jT3_P12ihipStream_tbPNSt15iterator_traitsISE_E10value_typeEPNSK_ISF_E10value_typeEPSG_NS1_7vsmem_tEENKUlT_SE_SF_SG_E_clIS8_S8_S9_S9_EESD_ST_SE_SF_SG_EUlST_E0_NS1_11comp_targetILNS1_3genE3ELNS1_11target_archE908ELNS1_3gpuE7ELNS1_3repE0EEENS1_38merge_mergepath_config_static_selectorELNS0_4arch9wavefront6targetE0EEEvSF_.num_vgpr, 0
	.set _ZN7rocprim17ROCPRIM_400000_NS6detail17trampoline_kernelINS0_14default_configENS1_38merge_sort_block_merge_config_selectorIaNS0_10empty_typeEEEZZNS1_27merge_sort_block_merge_implIS3_PaPS5_jNS1_19radix_merge_compareILb0ELb1EaNS0_19identity_decomposerEEEEE10hipError_tT0_T1_T2_jT3_P12ihipStream_tbPNSt15iterator_traitsISE_E10value_typeEPNSK_ISF_E10value_typeEPSG_NS1_7vsmem_tEENKUlT_SE_SF_SG_E_clIS8_S8_S9_S9_EESD_ST_SE_SF_SG_EUlST_E0_NS1_11comp_targetILNS1_3genE3ELNS1_11target_archE908ELNS1_3gpuE7ELNS1_3repE0EEENS1_38merge_mergepath_config_static_selectorELNS0_4arch9wavefront6targetE0EEEvSF_.num_agpr, 0
	.set _ZN7rocprim17ROCPRIM_400000_NS6detail17trampoline_kernelINS0_14default_configENS1_38merge_sort_block_merge_config_selectorIaNS0_10empty_typeEEEZZNS1_27merge_sort_block_merge_implIS3_PaPS5_jNS1_19radix_merge_compareILb0ELb1EaNS0_19identity_decomposerEEEEE10hipError_tT0_T1_T2_jT3_P12ihipStream_tbPNSt15iterator_traitsISE_E10value_typeEPNSK_ISF_E10value_typeEPSG_NS1_7vsmem_tEENKUlT_SE_SF_SG_E_clIS8_S8_S9_S9_EESD_ST_SE_SF_SG_EUlST_E0_NS1_11comp_targetILNS1_3genE3ELNS1_11target_archE908ELNS1_3gpuE7ELNS1_3repE0EEENS1_38merge_mergepath_config_static_selectorELNS0_4arch9wavefront6targetE0EEEvSF_.numbered_sgpr, 0
	.set _ZN7rocprim17ROCPRIM_400000_NS6detail17trampoline_kernelINS0_14default_configENS1_38merge_sort_block_merge_config_selectorIaNS0_10empty_typeEEEZZNS1_27merge_sort_block_merge_implIS3_PaPS5_jNS1_19radix_merge_compareILb0ELb1EaNS0_19identity_decomposerEEEEE10hipError_tT0_T1_T2_jT3_P12ihipStream_tbPNSt15iterator_traitsISE_E10value_typeEPNSK_ISF_E10value_typeEPSG_NS1_7vsmem_tEENKUlT_SE_SF_SG_E_clIS8_S8_S9_S9_EESD_ST_SE_SF_SG_EUlST_E0_NS1_11comp_targetILNS1_3genE3ELNS1_11target_archE908ELNS1_3gpuE7ELNS1_3repE0EEENS1_38merge_mergepath_config_static_selectorELNS0_4arch9wavefront6targetE0EEEvSF_.num_named_barrier, 0
	.set _ZN7rocprim17ROCPRIM_400000_NS6detail17trampoline_kernelINS0_14default_configENS1_38merge_sort_block_merge_config_selectorIaNS0_10empty_typeEEEZZNS1_27merge_sort_block_merge_implIS3_PaPS5_jNS1_19radix_merge_compareILb0ELb1EaNS0_19identity_decomposerEEEEE10hipError_tT0_T1_T2_jT3_P12ihipStream_tbPNSt15iterator_traitsISE_E10value_typeEPNSK_ISF_E10value_typeEPSG_NS1_7vsmem_tEENKUlT_SE_SF_SG_E_clIS8_S8_S9_S9_EESD_ST_SE_SF_SG_EUlST_E0_NS1_11comp_targetILNS1_3genE3ELNS1_11target_archE908ELNS1_3gpuE7ELNS1_3repE0EEENS1_38merge_mergepath_config_static_selectorELNS0_4arch9wavefront6targetE0EEEvSF_.private_seg_size, 0
	.set _ZN7rocprim17ROCPRIM_400000_NS6detail17trampoline_kernelINS0_14default_configENS1_38merge_sort_block_merge_config_selectorIaNS0_10empty_typeEEEZZNS1_27merge_sort_block_merge_implIS3_PaPS5_jNS1_19radix_merge_compareILb0ELb1EaNS0_19identity_decomposerEEEEE10hipError_tT0_T1_T2_jT3_P12ihipStream_tbPNSt15iterator_traitsISE_E10value_typeEPNSK_ISF_E10value_typeEPSG_NS1_7vsmem_tEENKUlT_SE_SF_SG_E_clIS8_S8_S9_S9_EESD_ST_SE_SF_SG_EUlST_E0_NS1_11comp_targetILNS1_3genE3ELNS1_11target_archE908ELNS1_3gpuE7ELNS1_3repE0EEENS1_38merge_mergepath_config_static_selectorELNS0_4arch9wavefront6targetE0EEEvSF_.uses_vcc, 0
	.set _ZN7rocprim17ROCPRIM_400000_NS6detail17trampoline_kernelINS0_14default_configENS1_38merge_sort_block_merge_config_selectorIaNS0_10empty_typeEEEZZNS1_27merge_sort_block_merge_implIS3_PaPS5_jNS1_19radix_merge_compareILb0ELb1EaNS0_19identity_decomposerEEEEE10hipError_tT0_T1_T2_jT3_P12ihipStream_tbPNSt15iterator_traitsISE_E10value_typeEPNSK_ISF_E10value_typeEPSG_NS1_7vsmem_tEENKUlT_SE_SF_SG_E_clIS8_S8_S9_S9_EESD_ST_SE_SF_SG_EUlST_E0_NS1_11comp_targetILNS1_3genE3ELNS1_11target_archE908ELNS1_3gpuE7ELNS1_3repE0EEENS1_38merge_mergepath_config_static_selectorELNS0_4arch9wavefront6targetE0EEEvSF_.uses_flat_scratch, 0
	.set _ZN7rocprim17ROCPRIM_400000_NS6detail17trampoline_kernelINS0_14default_configENS1_38merge_sort_block_merge_config_selectorIaNS0_10empty_typeEEEZZNS1_27merge_sort_block_merge_implIS3_PaPS5_jNS1_19radix_merge_compareILb0ELb1EaNS0_19identity_decomposerEEEEE10hipError_tT0_T1_T2_jT3_P12ihipStream_tbPNSt15iterator_traitsISE_E10value_typeEPNSK_ISF_E10value_typeEPSG_NS1_7vsmem_tEENKUlT_SE_SF_SG_E_clIS8_S8_S9_S9_EESD_ST_SE_SF_SG_EUlST_E0_NS1_11comp_targetILNS1_3genE3ELNS1_11target_archE908ELNS1_3gpuE7ELNS1_3repE0EEENS1_38merge_mergepath_config_static_selectorELNS0_4arch9wavefront6targetE0EEEvSF_.has_dyn_sized_stack, 0
	.set _ZN7rocprim17ROCPRIM_400000_NS6detail17trampoline_kernelINS0_14default_configENS1_38merge_sort_block_merge_config_selectorIaNS0_10empty_typeEEEZZNS1_27merge_sort_block_merge_implIS3_PaPS5_jNS1_19radix_merge_compareILb0ELb1EaNS0_19identity_decomposerEEEEE10hipError_tT0_T1_T2_jT3_P12ihipStream_tbPNSt15iterator_traitsISE_E10value_typeEPNSK_ISF_E10value_typeEPSG_NS1_7vsmem_tEENKUlT_SE_SF_SG_E_clIS8_S8_S9_S9_EESD_ST_SE_SF_SG_EUlST_E0_NS1_11comp_targetILNS1_3genE3ELNS1_11target_archE908ELNS1_3gpuE7ELNS1_3repE0EEENS1_38merge_mergepath_config_static_selectorELNS0_4arch9wavefront6targetE0EEEvSF_.has_recursion, 0
	.set _ZN7rocprim17ROCPRIM_400000_NS6detail17trampoline_kernelINS0_14default_configENS1_38merge_sort_block_merge_config_selectorIaNS0_10empty_typeEEEZZNS1_27merge_sort_block_merge_implIS3_PaPS5_jNS1_19radix_merge_compareILb0ELb1EaNS0_19identity_decomposerEEEEE10hipError_tT0_T1_T2_jT3_P12ihipStream_tbPNSt15iterator_traitsISE_E10value_typeEPNSK_ISF_E10value_typeEPSG_NS1_7vsmem_tEENKUlT_SE_SF_SG_E_clIS8_S8_S9_S9_EESD_ST_SE_SF_SG_EUlST_E0_NS1_11comp_targetILNS1_3genE3ELNS1_11target_archE908ELNS1_3gpuE7ELNS1_3repE0EEENS1_38merge_mergepath_config_static_selectorELNS0_4arch9wavefront6targetE0EEEvSF_.has_indirect_call, 0
	.section	.AMDGPU.csdata,"",@progbits
; Kernel info:
; codeLenInByte = 0
; TotalNumSgprs: 0
; NumVgprs: 0
; ScratchSize: 0
; MemoryBound: 0
; FloatMode: 240
; IeeeMode: 1
; LDSByteSize: 0 bytes/workgroup (compile time only)
; SGPRBlocks: 0
; VGPRBlocks: 0
; NumSGPRsForWavesPerEU: 1
; NumVGPRsForWavesPerEU: 1
; NamedBarCnt: 0
; Occupancy: 16
; WaveLimiterHint : 0
; COMPUTE_PGM_RSRC2:SCRATCH_EN: 0
; COMPUTE_PGM_RSRC2:USER_SGPR: 2
; COMPUTE_PGM_RSRC2:TRAP_HANDLER: 0
; COMPUTE_PGM_RSRC2:TGID_X_EN: 1
; COMPUTE_PGM_RSRC2:TGID_Y_EN: 0
; COMPUTE_PGM_RSRC2:TGID_Z_EN: 0
; COMPUTE_PGM_RSRC2:TIDIG_COMP_CNT: 0
	.section	.text._ZN7rocprim17ROCPRIM_400000_NS6detail17trampoline_kernelINS0_14default_configENS1_38merge_sort_block_merge_config_selectorIaNS0_10empty_typeEEEZZNS1_27merge_sort_block_merge_implIS3_PaPS5_jNS1_19radix_merge_compareILb0ELb1EaNS0_19identity_decomposerEEEEE10hipError_tT0_T1_T2_jT3_P12ihipStream_tbPNSt15iterator_traitsISE_E10value_typeEPNSK_ISF_E10value_typeEPSG_NS1_7vsmem_tEENKUlT_SE_SF_SG_E_clIS8_S8_S9_S9_EESD_ST_SE_SF_SG_EUlST_E0_NS1_11comp_targetILNS1_3genE2ELNS1_11target_archE906ELNS1_3gpuE6ELNS1_3repE0EEENS1_38merge_mergepath_config_static_selectorELNS0_4arch9wavefront6targetE0EEEvSF_,"axG",@progbits,_ZN7rocprim17ROCPRIM_400000_NS6detail17trampoline_kernelINS0_14default_configENS1_38merge_sort_block_merge_config_selectorIaNS0_10empty_typeEEEZZNS1_27merge_sort_block_merge_implIS3_PaPS5_jNS1_19radix_merge_compareILb0ELb1EaNS0_19identity_decomposerEEEEE10hipError_tT0_T1_T2_jT3_P12ihipStream_tbPNSt15iterator_traitsISE_E10value_typeEPNSK_ISF_E10value_typeEPSG_NS1_7vsmem_tEENKUlT_SE_SF_SG_E_clIS8_S8_S9_S9_EESD_ST_SE_SF_SG_EUlST_E0_NS1_11comp_targetILNS1_3genE2ELNS1_11target_archE906ELNS1_3gpuE6ELNS1_3repE0EEENS1_38merge_mergepath_config_static_selectorELNS0_4arch9wavefront6targetE0EEEvSF_,comdat
	.protected	_ZN7rocprim17ROCPRIM_400000_NS6detail17trampoline_kernelINS0_14default_configENS1_38merge_sort_block_merge_config_selectorIaNS0_10empty_typeEEEZZNS1_27merge_sort_block_merge_implIS3_PaPS5_jNS1_19radix_merge_compareILb0ELb1EaNS0_19identity_decomposerEEEEE10hipError_tT0_T1_T2_jT3_P12ihipStream_tbPNSt15iterator_traitsISE_E10value_typeEPNSK_ISF_E10value_typeEPSG_NS1_7vsmem_tEENKUlT_SE_SF_SG_E_clIS8_S8_S9_S9_EESD_ST_SE_SF_SG_EUlST_E0_NS1_11comp_targetILNS1_3genE2ELNS1_11target_archE906ELNS1_3gpuE6ELNS1_3repE0EEENS1_38merge_mergepath_config_static_selectorELNS0_4arch9wavefront6targetE0EEEvSF_ ; -- Begin function _ZN7rocprim17ROCPRIM_400000_NS6detail17trampoline_kernelINS0_14default_configENS1_38merge_sort_block_merge_config_selectorIaNS0_10empty_typeEEEZZNS1_27merge_sort_block_merge_implIS3_PaPS5_jNS1_19radix_merge_compareILb0ELb1EaNS0_19identity_decomposerEEEEE10hipError_tT0_T1_T2_jT3_P12ihipStream_tbPNSt15iterator_traitsISE_E10value_typeEPNSK_ISF_E10value_typeEPSG_NS1_7vsmem_tEENKUlT_SE_SF_SG_E_clIS8_S8_S9_S9_EESD_ST_SE_SF_SG_EUlST_E0_NS1_11comp_targetILNS1_3genE2ELNS1_11target_archE906ELNS1_3gpuE6ELNS1_3repE0EEENS1_38merge_mergepath_config_static_selectorELNS0_4arch9wavefront6targetE0EEEvSF_
	.globl	_ZN7rocprim17ROCPRIM_400000_NS6detail17trampoline_kernelINS0_14default_configENS1_38merge_sort_block_merge_config_selectorIaNS0_10empty_typeEEEZZNS1_27merge_sort_block_merge_implIS3_PaPS5_jNS1_19radix_merge_compareILb0ELb1EaNS0_19identity_decomposerEEEEE10hipError_tT0_T1_T2_jT3_P12ihipStream_tbPNSt15iterator_traitsISE_E10value_typeEPNSK_ISF_E10value_typeEPSG_NS1_7vsmem_tEENKUlT_SE_SF_SG_E_clIS8_S8_S9_S9_EESD_ST_SE_SF_SG_EUlST_E0_NS1_11comp_targetILNS1_3genE2ELNS1_11target_archE906ELNS1_3gpuE6ELNS1_3repE0EEENS1_38merge_mergepath_config_static_selectorELNS0_4arch9wavefront6targetE0EEEvSF_
	.p2align	8
	.type	_ZN7rocprim17ROCPRIM_400000_NS6detail17trampoline_kernelINS0_14default_configENS1_38merge_sort_block_merge_config_selectorIaNS0_10empty_typeEEEZZNS1_27merge_sort_block_merge_implIS3_PaPS5_jNS1_19radix_merge_compareILb0ELb1EaNS0_19identity_decomposerEEEEE10hipError_tT0_T1_T2_jT3_P12ihipStream_tbPNSt15iterator_traitsISE_E10value_typeEPNSK_ISF_E10value_typeEPSG_NS1_7vsmem_tEENKUlT_SE_SF_SG_E_clIS8_S8_S9_S9_EESD_ST_SE_SF_SG_EUlST_E0_NS1_11comp_targetILNS1_3genE2ELNS1_11target_archE906ELNS1_3gpuE6ELNS1_3repE0EEENS1_38merge_mergepath_config_static_selectorELNS0_4arch9wavefront6targetE0EEEvSF_,@function
_ZN7rocprim17ROCPRIM_400000_NS6detail17trampoline_kernelINS0_14default_configENS1_38merge_sort_block_merge_config_selectorIaNS0_10empty_typeEEEZZNS1_27merge_sort_block_merge_implIS3_PaPS5_jNS1_19radix_merge_compareILb0ELb1EaNS0_19identity_decomposerEEEEE10hipError_tT0_T1_T2_jT3_P12ihipStream_tbPNSt15iterator_traitsISE_E10value_typeEPNSK_ISF_E10value_typeEPSG_NS1_7vsmem_tEENKUlT_SE_SF_SG_E_clIS8_S8_S9_S9_EESD_ST_SE_SF_SG_EUlST_E0_NS1_11comp_targetILNS1_3genE2ELNS1_11target_archE906ELNS1_3gpuE6ELNS1_3repE0EEENS1_38merge_mergepath_config_static_selectorELNS0_4arch9wavefront6targetE0EEEvSF_: ; @_ZN7rocprim17ROCPRIM_400000_NS6detail17trampoline_kernelINS0_14default_configENS1_38merge_sort_block_merge_config_selectorIaNS0_10empty_typeEEEZZNS1_27merge_sort_block_merge_implIS3_PaPS5_jNS1_19radix_merge_compareILb0ELb1EaNS0_19identity_decomposerEEEEE10hipError_tT0_T1_T2_jT3_P12ihipStream_tbPNSt15iterator_traitsISE_E10value_typeEPNSK_ISF_E10value_typeEPSG_NS1_7vsmem_tEENKUlT_SE_SF_SG_E_clIS8_S8_S9_S9_EESD_ST_SE_SF_SG_EUlST_E0_NS1_11comp_targetILNS1_3genE2ELNS1_11target_archE906ELNS1_3gpuE6ELNS1_3repE0EEENS1_38merge_mergepath_config_static_selectorELNS0_4arch9wavefront6targetE0EEEvSF_
; %bb.0:
	.section	.rodata,"a",@progbits
	.p2align	6, 0x0
	.amdhsa_kernel _ZN7rocprim17ROCPRIM_400000_NS6detail17trampoline_kernelINS0_14default_configENS1_38merge_sort_block_merge_config_selectorIaNS0_10empty_typeEEEZZNS1_27merge_sort_block_merge_implIS3_PaPS5_jNS1_19radix_merge_compareILb0ELb1EaNS0_19identity_decomposerEEEEE10hipError_tT0_T1_T2_jT3_P12ihipStream_tbPNSt15iterator_traitsISE_E10value_typeEPNSK_ISF_E10value_typeEPSG_NS1_7vsmem_tEENKUlT_SE_SF_SG_E_clIS8_S8_S9_S9_EESD_ST_SE_SF_SG_EUlST_E0_NS1_11comp_targetILNS1_3genE2ELNS1_11target_archE906ELNS1_3gpuE6ELNS1_3repE0EEENS1_38merge_mergepath_config_static_selectorELNS0_4arch9wavefront6targetE0EEEvSF_
		.amdhsa_group_segment_fixed_size 0
		.amdhsa_private_segment_fixed_size 0
		.amdhsa_kernarg_size 64
		.amdhsa_user_sgpr_count 2
		.amdhsa_user_sgpr_dispatch_ptr 0
		.amdhsa_user_sgpr_queue_ptr 0
		.amdhsa_user_sgpr_kernarg_segment_ptr 1
		.amdhsa_user_sgpr_dispatch_id 0
		.amdhsa_user_sgpr_kernarg_preload_length 0
		.amdhsa_user_sgpr_kernarg_preload_offset 0
		.amdhsa_user_sgpr_private_segment_size 0
		.amdhsa_wavefront_size32 1
		.amdhsa_uses_dynamic_stack 0
		.amdhsa_enable_private_segment 0
		.amdhsa_system_sgpr_workgroup_id_x 1
		.amdhsa_system_sgpr_workgroup_id_y 0
		.amdhsa_system_sgpr_workgroup_id_z 0
		.amdhsa_system_sgpr_workgroup_info 0
		.amdhsa_system_vgpr_workitem_id 0
		.amdhsa_next_free_vgpr 1
		.amdhsa_next_free_sgpr 1
		.amdhsa_named_barrier_count 0
		.amdhsa_reserve_vcc 0
		.amdhsa_float_round_mode_32 0
		.amdhsa_float_round_mode_16_64 0
		.amdhsa_float_denorm_mode_32 3
		.amdhsa_float_denorm_mode_16_64 3
		.amdhsa_fp16_overflow 0
		.amdhsa_memory_ordered 1
		.amdhsa_forward_progress 1
		.amdhsa_inst_pref_size 0
		.amdhsa_round_robin_scheduling 0
		.amdhsa_exception_fp_ieee_invalid_op 0
		.amdhsa_exception_fp_denorm_src 0
		.amdhsa_exception_fp_ieee_div_zero 0
		.amdhsa_exception_fp_ieee_overflow 0
		.amdhsa_exception_fp_ieee_underflow 0
		.amdhsa_exception_fp_ieee_inexact 0
		.amdhsa_exception_int_div_zero 0
	.end_amdhsa_kernel
	.section	.text._ZN7rocprim17ROCPRIM_400000_NS6detail17trampoline_kernelINS0_14default_configENS1_38merge_sort_block_merge_config_selectorIaNS0_10empty_typeEEEZZNS1_27merge_sort_block_merge_implIS3_PaPS5_jNS1_19radix_merge_compareILb0ELb1EaNS0_19identity_decomposerEEEEE10hipError_tT0_T1_T2_jT3_P12ihipStream_tbPNSt15iterator_traitsISE_E10value_typeEPNSK_ISF_E10value_typeEPSG_NS1_7vsmem_tEENKUlT_SE_SF_SG_E_clIS8_S8_S9_S9_EESD_ST_SE_SF_SG_EUlST_E0_NS1_11comp_targetILNS1_3genE2ELNS1_11target_archE906ELNS1_3gpuE6ELNS1_3repE0EEENS1_38merge_mergepath_config_static_selectorELNS0_4arch9wavefront6targetE0EEEvSF_,"axG",@progbits,_ZN7rocprim17ROCPRIM_400000_NS6detail17trampoline_kernelINS0_14default_configENS1_38merge_sort_block_merge_config_selectorIaNS0_10empty_typeEEEZZNS1_27merge_sort_block_merge_implIS3_PaPS5_jNS1_19radix_merge_compareILb0ELb1EaNS0_19identity_decomposerEEEEE10hipError_tT0_T1_T2_jT3_P12ihipStream_tbPNSt15iterator_traitsISE_E10value_typeEPNSK_ISF_E10value_typeEPSG_NS1_7vsmem_tEENKUlT_SE_SF_SG_E_clIS8_S8_S9_S9_EESD_ST_SE_SF_SG_EUlST_E0_NS1_11comp_targetILNS1_3genE2ELNS1_11target_archE906ELNS1_3gpuE6ELNS1_3repE0EEENS1_38merge_mergepath_config_static_selectorELNS0_4arch9wavefront6targetE0EEEvSF_,comdat
.Lfunc_end437:
	.size	_ZN7rocprim17ROCPRIM_400000_NS6detail17trampoline_kernelINS0_14default_configENS1_38merge_sort_block_merge_config_selectorIaNS0_10empty_typeEEEZZNS1_27merge_sort_block_merge_implIS3_PaPS5_jNS1_19radix_merge_compareILb0ELb1EaNS0_19identity_decomposerEEEEE10hipError_tT0_T1_T2_jT3_P12ihipStream_tbPNSt15iterator_traitsISE_E10value_typeEPNSK_ISF_E10value_typeEPSG_NS1_7vsmem_tEENKUlT_SE_SF_SG_E_clIS8_S8_S9_S9_EESD_ST_SE_SF_SG_EUlST_E0_NS1_11comp_targetILNS1_3genE2ELNS1_11target_archE906ELNS1_3gpuE6ELNS1_3repE0EEENS1_38merge_mergepath_config_static_selectorELNS0_4arch9wavefront6targetE0EEEvSF_, .Lfunc_end437-_ZN7rocprim17ROCPRIM_400000_NS6detail17trampoline_kernelINS0_14default_configENS1_38merge_sort_block_merge_config_selectorIaNS0_10empty_typeEEEZZNS1_27merge_sort_block_merge_implIS3_PaPS5_jNS1_19radix_merge_compareILb0ELb1EaNS0_19identity_decomposerEEEEE10hipError_tT0_T1_T2_jT3_P12ihipStream_tbPNSt15iterator_traitsISE_E10value_typeEPNSK_ISF_E10value_typeEPSG_NS1_7vsmem_tEENKUlT_SE_SF_SG_E_clIS8_S8_S9_S9_EESD_ST_SE_SF_SG_EUlST_E0_NS1_11comp_targetILNS1_3genE2ELNS1_11target_archE906ELNS1_3gpuE6ELNS1_3repE0EEENS1_38merge_mergepath_config_static_selectorELNS0_4arch9wavefront6targetE0EEEvSF_
                                        ; -- End function
	.set _ZN7rocprim17ROCPRIM_400000_NS6detail17trampoline_kernelINS0_14default_configENS1_38merge_sort_block_merge_config_selectorIaNS0_10empty_typeEEEZZNS1_27merge_sort_block_merge_implIS3_PaPS5_jNS1_19radix_merge_compareILb0ELb1EaNS0_19identity_decomposerEEEEE10hipError_tT0_T1_T2_jT3_P12ihipStream_tbPNSt15iterator_traitsISE_E10value_typeEPNSK_ISF_E10value_typeEPSG_NS1_7vsmem_tEENKUlT_SE_SF_SG_E_clIS8_S8_S9_S9_EESD_ST_SE_SF_SG_EUlST_E0_NS1_11comp_targetILNS1_3genE2ELNS1_11target_archE906ELNS1_3gpuE6ELNS1_3repE0EEENS1_38merge_mergepath_config_static_selectorELNS0_4arch9wavefront6targetE0EEEvSF_.num_vgpr, 0
	.set _ZN7rocprim17ROCPRIM_400000_NS6detail17trampoline_kernelINS0_14default_configENS1_38merge_sort_block_merge_config_selectorIaNS0_10empty_typeEEEZZNS1_27merge_sort_block_merge_implIS3_PaPS5_jNS1_19radix_merge_compareILb0ELb1EaNS0_19identity_decomposerEEEEE10hipError_tT0_T1_T2_jT3_P12ihipStream_tbPNSt15iterator_traitsISE_E10value_typeEPNSK_ISF_E10value_typeEPSG_NS1_7vsmem_tEENKUlT_SE_SF_SG_E_clIS8_S8_S9_S9_EESD_ST_SE_SF_SG_EUlST_E0_NS1_11comp_targetILNS1_3genE2ELNS1_11target_archE906ELNS1_3gpuE6ELNS1_3repE0EEENS1_38merge_mergepath_config_static_selectorELNS0_4arch9wavefront6targetE0EEEvSF_.num_agpr, 0
	.set _ZN7rocprim17ROCPRIM_400000_NS6detail17trampoline_kernelINS0_14default_configENS1_38merge_sort_block_merge_config_selectorIaNS0_10empty_typeEEEZZNS1_27merge_sort_block_merge_implIS3_PaPS5_jNS1_19radix_merge_compareILb0ELb1EaNS0_19identity_decomposerEEEEE10hipError_tT0_T1_T2_jT3_P12ihipStream_tbPNSt15iterator_traitsISE_E10value_typeEPNSK_ISF_E10value_typeEPSG_NS1_7vsmem_tEENKUlT_SE_SF_SG_E_clIS8_S8_S9_S9_EESD_ST_SE_SF_SG_EUlST_E0_NS1_11comp_targetILNS1_3genE2ELNS1_11target_archE906ELNS1_3gpuE6ELNS1_3repE0EEENS1_38merge_mergepath_config_static_selectorELNS0_4arch9wavefront6targetE0EEEvSF_.numbered_sgpr, 0
	.set _ZN7rocprim17ROCPRIM_400000_NS6detail17trampoline_kernelINS0_14default_configENS1_38merge_sort_block_merge_config_selectorIaNS0_10empty_typeEEEZZNS1_27merge_sort_block_merge_implIS3_PaPS5_jNS1_19radix_merge_compareILb0ELb1EaNS0_19identity_decomposerEEEEE10hipError_tT0_T1_T2_jT3_P12ihipStream_tbPNSt15iterator_traitsISE_E10value_typeEPNSK_ISF_E10value_typeEPSG_NS1_7vsmem_tEENKUlT_SE_SF_SG_E_clIS8_S8_S9_S9_EESD_ST_SE_SF_SG_EUlST_E0_NS1_11comp_targetILNS1_3genE2ELNS1_11target_archE906ELNS1_3gpuE6ELNS1_3repE0EEENS1_38merge_mergepath_config_static_selectorELNS0_4arch9wavefront6targetE0EEEvSF_.num_named_barrier, 0
	.set _ZN7rocprim17ROCPRIM_400000_NS6detail17trampoline_kernelINS0_14default_configENS1_38merge_sort_block_merge_config_selectorIaNS0_10empty_typeEEEZZNS1_27merge_sort_block_merge_implIS3_PaPS5_jNS1_19radix_merge_compareILb0ELb1EaNS0_19identity_decomposerEEEEE10hipError_tT0_T1_T2_jT3_P12ihipStream_tbPNSt15iterator_traitsISE_E10value_typeEPNSK_ISF_E10value_typeEPSG_NS1_7vsmem_tEENKUlT_SE_SF_SG_E_clIS8_S8_S9_S9_EESD_ST_SE_SF_SG_EUlST_E0_NS1_11comp_targetILNS1_3genE2ELNS1_11target_archE906ELNS1_3gpuE6ELNS1_3repE0EEENS1_38merge_mergepath_config_static_selectorELNS0_4arch9wavefront6targetE0EEEvSF_.private_seg_size, 0
	.set _ZN7rocprim17ROCPRIM_400000_NS6detail17trampoline_kernelINS0_14default_configENS1_38merge_sort_block_merge_config_selectorIaNS0_10empty_typeEEEZZNS1_27merge_sort_block_merge_implIS3_PaPS5_jNS1_19radix_merge_compareILb0ELb1EaNS0_19identity_decomposerEEEEE10hipError_tT0_T1_T2_jT3_P12ihipStream_tbPNSt15iterator_traitsISE_E10value_typeEPNSK_ISF_E10value_typeEPSG_NS1_7vsmem_tEENKUlT_SE_SF_SG_E_clIS8_S8_S9_S9_EESD_ST_SE_SF_SG_EUlST_E0_NS1_11comp_targetILNS1_3genE2ELNS1_11target_archE906ELNS1_3gpuE6ELNS1_3repE0EEENS1_38merge_mergepath_config_static_selectorELNS0_4arch9wavefront6targetE0EEEvSF_.uses_vcc, 0
	.set _ZN7rocprim17ROCPRIM_400000_NS6detail17trampoline_kernelINS0_14default_configENS1_38merge_sort_block_merge_config_selectorIaNS0_10empty_typeEEEZZNS1_27merge_sort_block_merge_implIS3_PaPS5_jNS1_19radix_merge_compareILb0ELb1EaNS0_19identity_decomposerEEEEE10hipError_tT0_T1_T2_jT3_P12ihipStream_tbPNSt15iterator_traitsISE_E10value_typeEPNSK_ISF_E10value_typeEPSG_NS1_7vsmem_tEENKUlT_SE_SF_SG_E_clIS8_S8_S9_S9_EESD_ST_SE_SF_SG_EUlST_E0_NS1_11comp_targetILNS1_3genE2ELNS1_11target_archE906ELNS1_3gpuE6ELNS1_3repE0EEENS1_38merge_mergepath_config_static_selectorELNS0_4arch9wavefront6targetE0EEEvSF_.uses_flat_scratch, 0
	.set _ZN7rocprim17ROCPRIM_400000_NS6detail17trampoline_kernelINS0_14default_configENS1_38merge_sort_block_merge_config_selectorIaNS0_10empty_typeEEEZZNS1_27merge_sort_block_merge_implIS3_PaPS5_jNS1_19radix_merge_compareILb0ELb1EaNS0_19identity_decomposerEEEEE10hipError_tT0_T1_T2_jT3_P12ihipStream_tbPNSt15iterator_traitsISE_E10value_typeEPNSK_ISF_E10value_typeEPSG_NS1_7vsmem_tEENKUlT_SE_SF_SG_E_clIS8_S8_S9_S9_EESD_ST_SE_SF_SG_EUlST_E0_NS1_11comp_targetILNS1_3genE2ELNS1_11target_archE906ELNS1_3gpuE6ELNS1_3repE0EEENS1_38merge_mergepath_config_static_selectorELNS0_4arch9wavefront6targetE0EEEvSF_.has_dyn_sized_stack, 0
	.set _ZN7rocprim17ROCPRIM_400000_NS6detail17trampoline_kernelINS0_14default_configENS1_38merge_sort_block_merge_config_selectorIaNS0_10empty_typeEEEZZNS1_27merge_sort_block_merge_implIS3_PaPS5_jNS1_19radix_merge_compareILb0ELb1EaNS0_19identity_decomposerEEEEE10hipError_tT0_T1_T2_jT3_P12ihipStream_tbPNSt15iterator_traitsISE_E10value_typeEPNSK_ISF_E10value_typeEPSG_NS1_7vsmem_tEENKUlT_SE_SF_SG_E_clIS8_S8_S9_S9_EESD_ST_SE_SF_SG_EUlST_E0_NS1_11comp_targetILNS1_3genE2ELNS1_11target_archE906ELNS1_3gpuE6ELNS1_3repE0EEENS1_38merge_mergepath_config_static_selectorELNS0_4arch9wavefront6targetE0EEEvSF_.has_recursion, 0
	.set _ZN7rocprim17ROCPRIM_400000_NS6detail17trampoline_kernelINS0_14default_configENS1_38merge_sort_block_merge_config_selectorIaNS0_10empty_typeEEEZZNS1_27merge_sort_block_merge_implIS3_PaPS5_jNS1_19radix_merge_compareILb0ELb1EaNS0_19identity_decomposerEEEEE10hipError_tT0_T1_T2_jT3_P12ihipStream_tbPNSt15iterator_traitsISE_E10value_typeEPNSK_ISF_E10value_typeEPSG_NS1_7vsmem_tEENKUlT_SE_SF_SG_E_clIS8_S8_S9_S9_EESD_ST_SE_SF_SG_EUlST_E0_NS1_11comp_targetILNS1_3genE2ELNS1_11target_archE906ELNS1_3gpuE6ELNS1_3repE0EEENS1_38merge_mergepath_config_static_selectorELNS0_4arch9wavefront6targetE0EEEvSF_.has_indirect_call, 0
	.section	.AMDGPU.csdata,"",@progbits
; Kernel info:
; codeLenInByte = 0
; TotalNumSgprs: 0
; NumVgprs: 0
; ScratchSize: 0
; MemoryBound: 0
; FloatMode: 240
; IeeeMode: 1
; LDSByteSize: 0 bytes/workgroup (compile time only)
; SGPRBlocks: 0
; VGPRBlocks: 0
; NumSGPRsForWavesPerEU: 1
; NumVGPRsForWavesPerEU: 1
; NamedBarCnt: 0
; Occupancy: 16
; WaveLimiterHint : 0
; COMPUTE_PGM_RSRC2:SCRATCH_EN: 0
; COMPUTE_PGM_RSRC2:USER_SGPR: 2
; COMPUTE_PGM_RSRC2:TRAP_HANDLER: 0
; COMPUTE_PGM_RSRC2:TGID_X_EN: 1
; COMPUTE_PGM_RSRC2:TGID_Y_EN: 0
; COMPUTE_PGM_RSRC2:TGID_Z_EN: 0
; COMPUTE_PGM_RSRC2:TIDIG_COMP_CNT: 0
	.section	.text._ZN7rocprim17ROCPRIM_400000_NS6detail17trampoline_kernelINS0_14default_configENS1_38merge_sort_block_merge_config_selectorIaNS0_10empty_typeEEEZZNS1_27merge_sort_block_merge_implIS3_PaPS5_jNS1_19radix_merge_compareILb0ELb1EaNS0_19identity_decomposerEEEEE10hipError_tT0_T1_T2_jT3_P12ihipStream_tbPNSt15iterator_traitsISE_E10value_typeEPNSK_ISF_E10value_typeEPSG_NS1_7vsmem_tEENKUlT_SE_SF_SG_E_clIS8_S8_S9_S9_EESD_ST_SE_SF_SG_EUlST_E0_NS1_11comp_targetILNS1_3genE9ELNS1_11target_archE1100ELNS1_3gpuE3ELNS1_3repE0EEENS1_38merge_mergepath_config_static_selectorELNS0_4arch9wavefront6targetE0EEEvSF_,"axG",@progbits,_ZN7rocprim17ROCPRIM_400000_NS6detail17trampoline_kernelINS0_14default_configENS1_38merge_sort_block_merge_config_selectorIaNS0_10empty_typeEEEZZNS1_27merge_sort_block_merge_implIS3_PaPS5_jNS1_19radix_merge_compareILb0ELb1EaNS0_19identity_decomposerEEEEE10hipError_tT0_T1_T2_jT3_P12ihipStream_tbPNSt15iterator_traitsISE_E10value_typeEPNSK_ISF_E10value_typeEPSG_NS1_7vsmem_tEENKUlT_SE_SF_SG_E_clIS8_S8_S9_S9_EESD_ST_SE_SF_SG_EUlST_E0_NS1_11comp_targetILNS1_3genE9ELNS1_11target_archE1100ELNS1_3gpuE3ELNS1_3repE0EEENS1_38merge_mergepath_config_static_selectorELNS0_4arch9wavefront6targetE0EEEvSF_,comdat
	.protected	_ZN7rocprim17ROCPRIM_400000_NS6detail17trampoline_kernelINS0_14default_configENS1_38merge_sort_block_merge_config_selectorIaNS0_10empty_typeEEEZZNS1_27merge_sort_block_merge_implIS3_PaPS5_jNS1_19radix_merge_compareILb0ELb1EaNS0_19identity_decomposerEEEEE10hipError_tT0_T1_T2_jT3_P12ihipStream_tbPNSt15iterator_traitsISE_E10value_typeEPNSK_ISF_E10value_typeEPSG_NS1_7vsmem_tEENKUlT_SE_SF_SG_E_clIS8_S8_S9_S9_EESD_ST_SE_SF_SG_EUlST_E0_NS1_11comp_targetILNS1_3genE9ELNS1_11target_archE1100ELNS1_3gpuE3ELNS1_3repE0EEENS1_38merge_mergepath_config_static_selectorELNS0_4arch9wavefront6targetE0EEEvSF_ ; -- Begin function _ZN7rocprim17ROCPRIM_400000_NS6detail17trampoline_kernelINS0_14default_configENS1_38merge_sort_block_merge_config_selectorIaNS0_10empty_typeEEEZZNS1_27merge_sort_block_merge_implIS3_PaPS5_jNS1_19radix_merge_compareILb0ELb1EaNS0_19identity_decomposerEEEEE10hipError_tT0_T1_T2_jT3_P12ihipStream_tbPNSt15iterator_traitsISE_E10value_typeEPNSK_ISF_E10value_typeEPSG_NS1_7vsmem_tEENKUlT_SE_SF_SG_E_clIS8_S8_S9_S9_EESD_ST_SE_SF_SG_EUlST_E0_NS1_11comp_targetILNS1_3genE9ELNS1_11target_archE1100ELNS1_3gpuE3ELNS1_3repE0EEENS1_38merge_mergepath_config_static_selectorELNS0_4arch9wavefront6targetE0EEEvSF_
	.globl	_ZN7rocprim17ROCPRIM_400000_NS6detail17trampoline_kernelINS0_14default_configENS1_38merge_sort_block_merge_config_selectorIaNS0_10empty_typeEEEZZNS1_27merge_sort_block_merge_implIS3_PaPS5_jNS1_19radix_merge_compareILb0ELb1EaNS0_19identity_decomposerEEEEE10hipError_tT0_T1_T2_jT3_P12ihipStream_tbPNSt15iterator_traitsISE_E10value_typeEPNSK_ISF_E10value_typeEPSG_NS1_7vsmem_tEENKUlT_SE_SF_SG_E_clIS8_S8_S9_S9_EESD_ST_SE_SF_SG_EUlST_E0_NS1_11comp_targetILNS1_3genE9ELNS1_11target_archE1100ELNS1_3gpuE3ELNS1_3repE0EEENS1_38merge_mergepath_config_static_selectorELNS0_4arch9wavefront6targetE0EEEvSF_
	.p2align	8
	.type	_ZN7rocprim17ROCPRIM_400000_NS6detail17trampoline_kernelINS0_14default_configENS1_38merge_sort_block_merge_config_selectorIaNS0_10empty_typeEEEZZNS1_27merge_sort_block_merge_implIS3_PaPS5_jNS1_19radix_merge_compareILb0ELb1EaNS0_19identity_decomposerEEEEE10hipError_tT0_T1_T2_jT3_P12ihipStream_tbPNSt15iterator_traitsISE_E10value_typeEPNSK_ISF_E10value_typeEPSG_NS1_7vsmem_tEENKUlT_SE_SF_SG_E_clIS8_S8_S9_S9_EESD_ST_SE_SF_SG_EUlST_E0_NS1_11comp_targetILNS1_3genE9ELNS1_11target_archE1100ELNS1_3gpuE3ELNS1_3repE0EEENS1_38merge_mergepath_config_static_selectorELNS0_4arch9wavefront6targetE0EEEvSF_,@function
_ZN7rocprim17ROCPRIM_400000_NS6detail17trampoline_kernelINS0_14default_configENS1_38merge_sort_block_merge_config_selectorIaNS0_10empty_typeEEEZZNS1_27merge_sort_block_merge_implIS3_PaPS5_jNS1_19radix_merge_compareILb0ELb1EaNS0_19identity_decomposerEEEEE10hipError_tT0_T1_T2_jT3_P12ihipStream_tbPNSt15iterator_traitsISE_E10value_typeEPNSK_ISF_E10value_typeEPSG_NS1_7vsmem_tEENKUlT_SE_SF_SG_E_clIS8_S8_S9_S9_EESD_ST_SE_SF_SG_EUlST_E0_NS1_11comp_targetILNS1_3genE9ELNS1_11target_archE1100ELNS1_3gpuE3ELNS1_3repE0EEENS1_38merge_mergepath_config_static_selectorELNS0_4arch9wavefront6targetE0EEEvSF_: ; @_ZN7rocprim17ROCPRIM_400000_NS6detail17trampoline_kernelINS0_14default_configENS1_38merge_sort_block_merge_config_selectorIaNS0_10empty_typeEEEZZNS1_27merge_sort_block_merge_implIS3_PaPS5_jNS1_19radix_merge_compareILb0ELb1EaNS0_19identity_decomposerEEEEE10hipError_tT0_T1_T2_jT3_P12ihipStream_tbPNSt15iterator_traitsISE_E10value_typeEPNSK_ISF_E10value_typeEPSG_NS1_7vsmem_tEENKUlT_SE_SF_SG_E_clIS8_S8_S9_S9_EESD_ST_SE_SF_SG_EUlST_E0_NS1_11comp_targetILNS1_3genE9ELNS1_11target_archE1100ELNS1_3gpuE3ELNS1_3repE0EEENS1_38merge_mergepath_config_static_selectorELNS0_4arch9wavefront6targetE0EEEvSF_
; %bb.0:
	.section	.rodata,"a",@progbits
	.p2align	6, 0x0
	.amdhsa_kernel _ZN7rocprim17ROCPRIM_400000_NS6detail17trampoline_kernelINS0_14default_configENS1_38merge_sort_block_merge_config_selectorIaNS0_10empty_typeEEEZZNS1_27merge_sort_block_merge_implIS3_PaPS5_jNS1_19radix_merge_compareILb0ELb1EaNS0_19identity_decomposerEEEEE10hipError_tT0_T1_T2_jT3_P12ihipStream_tbPNSt15iterator_traitsISE_E10value_typeEPNSK_ISF_E10value_typeEPSG_NS1_7vsmem_tEENKUlT_SE_SF_SG_E_clIS8_S8_S9_S9_EESD_ST_SE_SF_SG_EUlST_E0_NS1_11comp_targetILNS1_3genE9ELNS1_11target_archE1100ELNS1_3gpuE3ELNS1_3repE0EEENS1_38merge_mergepath_config_static_selectorELNS0_4arch9wavefront6targetE0EEEvSF_
		.amdhsa_group_segment_fixed_size 0
		.amdhsa_private_segment_fixed_size 0
		.amdhsa_kernarg_size 64
		.amdhsa_user_sgpr_count 2
		.amdhsa_user_sgpr_dispatch_ptr 0
		.amdhsa_user_sgpr_queue_ptr 0
		.amdhsa_user_sgpr_kernarg_segment_ptr 1
		.amdhsa_user_sgpr_dispatch_id 0
		.amdhsa_user_sgpr_kernarg_preload_length 0
		.amdhsa_user_sgpr_kernarg_preload_offset 0
		.amdhsa_user_sgpr_private_segment_size 0
		.amdhsa_wavefront_size32 1
		.amdhsa_uses_dynamic_stack 0
		.amdhsa_enable_private_segment 0
		.amdhsa_system_sgpr_workgroup_id_x 1
		.amdhsa_system_sgpr_workgroup_id_y 0
		.amdhsa_system_sgpr_workgroup_id_z 0
		.amdhsa_system_sgpr_workgroup_info 0
		.amdhsa_system_vgpr_workitem_id 0
		.amdhsa_next_free_vgpr 1
		.amdhsa_next_free_sgpr 1
		.amdhsa_named_barrier_count 0
		.amdhsa_reserve_vcc 0
		.amdhsa_float_round_mode_32 0
		.amdhsa_float_round_mode_16_64 0
		.amdhsa_float_denorm_mode_32 3
		.amdhsa_float_denorm_mode_16_64 3
		.amdhsa_fp16_overflow 0
		.amdhsa_memory_ordered 1
		.amdhsa_forward_progress 1
		.amdhsa_inst_pref_size 0
		.amdhsa_round_robin_scheduling 0
		.amdhsa_exception_fp_ieee_invalid_op 0
		.amdhsa_exception_fp_denorm_src 0
		.amdhsa_exception_fp_ieee_div_zero 0
		.amdhsa_exception_fp_ieee_overflow 0
		.amdhsa_exception_fp_ieee_underflow 0
		.amdhsa_exception_fp_ieee_inexact 0
		.amdhsa_exception_int_div_zero 0
	.end_amdhsa_kernel
	.section	.text._ZN7rocprim17ROCPRIM_400000_NS6detail17trampoline_kernelINS0_14default_configENS1_38merge_sort_block_merge_config_selectorIaNS0_10empty_typeEEEZZNS1_27merge_sort_block_merge_implIS3_PaPS5_jNS1_19radix_merge_compareILb0ELb1EaNS0_19identity_decomposerEEEEE10hipError_tT0_T1_T2_jT3_P12ihipStream_tbPNSt15iterator_traitsISE_E10value_typeEPNSK_ISF_E10value_typeEPSG_NS1_7vsmem_tEENKUlT_SE_SF_SG_E_clIS8_S8_S9_S9_EESD_ST_SE_SF_SG_EUlST_E0_NS1_11comp_targetILNS1_3genE9ELNS1_11target_archE1100ELNS1_3gpuE3ELNS1_3repE0EEENS1_38merge_mergepath_config_static_selectorELNS0_4arch9wavefront6targetE0EEEvSF_,"axG",@progbits,_ZN7rocprim17ROCPRIM_400000_NS6detail17trampoline_kernelINS0_14default_configENS1_38merge_sort_block_merge_config_selectorIaNS0_10empty_typeEEEZZNS1_27merge_sort_block_merge_implIS3_PaPS5_jNS1_19radix_merge_compareILb0ELb1EaNS0_19identity_decomposerEEEEE10hipError_tT0_T1_T2_jT3_P12ihipStream_tbPNSt15iterator_traitsISE_E10value_typeEPNSK_ISF_E10value_typeEPSG_NS1_7vsmem_tEENKUlT_SE_SF_SG_E_clIS8_S8_S9_S9_EESD_ST_SE_SF_SG_EUlST_E0_NS1_11comp_targetILNS1_3genE9ELNS1_11target_archE1100ELNS1_3gpuE3ELNS1_3repE0EEENS1_38merge_mergepath_config_static_selectorELNS0_4arch9wavefront6targetE0EEEvSF_,comdat
.Lfunc_end438:
	.size	_ZN7rocprim17ROCPRIM_400000_NS6detail17trampoline_kernelINS0_14default_configENS1_38merge_sort_block_merge_config_selectorIaNS0_10empty_typeEEEZZNS1_27merge_sort_block_merge_implIS3_PaPS5_jNS1_19radix_merge_compareILb0ELb1EaNS0_19identity_decomposerEEEEE10hipError_tT0_T1_T2_jT3_P12ihipStream_tbPNSt15iterator_traitsISE_E10value_typeEPNSK_ISF_E10value_typeEPSG_NS1_7vsmem_tEENKUlT_SE_SF_SG_E_clIS8_S8_S9_S9_EESD_ST_SE_SF_SG_EUlST_E0_NS1_11comp_targetILNS1_3genE9ELNS1_11target_archE1100ELNS1_3gpuE3ELNS1_3repE0EEENS1_38merge_mergepath_config_static_selectorELNS0_4arch9wavefront6targetE0EEEvSF_, .Lfunc_end438-_ZN7rocprim17ROCPRIM_400000_NS6detail17trampoline_kernelINS0_14default_configENS1_38merge_sort_block_merge_config_selectorIaNS0_10empty_typeEEEZZNS1_27merge_sort_block_merge_implIS3_PaPS5_jNS1_19radix_merge_compareILb0ELb1EaNS0_19identity_decomposerEEEEE10hipError_tT0_T1_T2_jT3_P12ihipStream_tbPNSt15iterator_traitsISE_E10value_typeEPNSK_ISF_E10value_typeEPSG_NS1_7vsmem_tEENKUlT_SE_SF_SG_E_clIS8_S8_S9_S9_EESD_ST_SE_SF_SG_EUlST_E0_NS1_11comp_targetILNS1_3genE9ELNS1_11target_archE1100ELNS1_3gpuE3ELNS1_3repE0EEENS1_38merge_mergepath_config_static_selectorELNS0_4arch9wavefront6targetE0EEEvSF_
                                        ; -- End function
	.set _ZN7rocprim17ROCPRIM_400000_NS6detail17trampoline_kernelINS0_14default_configENS1_38merge_sort_block_merge_config_selectorIaNS0_10empty_typeEEEZZNS1_27merge_sort_block_merge_implIS3_PaPS5_jNS1_19radix_merge_compareILb0ELb1EaNS0_19identity_decomposerEEEEE10hipError_tT0_T1_T2_jT3_P12ihipStream_tbPNSt15iterator_traitsISE_E10value_typeEPNSK_ISF_E10value_typeEPSG_NS1_7vsmem_tEENKUlT_SE_SF_SG_E_clIS8_S8_S9_S9_EESD_ST_SE_SF_SG_EUlST_E0_NS1_11comp_targetILNS1_3genE9ELNS1_11target_archE1100ELNS1_3gpuE3ELNS1_3repE0EEENS1_38merge_mergepath_config_static_selectorELNS0_4arch9wavefront6targetE0EEEvSF_.num_vgpr, 0
	.set _ZN7rocprim17ROCPRIM_400000_NS6detail17trampoline_kernelINS0_14default_configENS1_38merge_sort_block_merge_config_selectorIaNS0_10empty_typeEEEZZNS1_27merge_sort_block_merge_implIS3_PaPS5_jNS1_19radix_merge_compareILb0ELb1EaNS0_19identity_decomposerEEEEE10hipError_tT0_T1_T2_jT3_P12ihipStream_tbPNSt15iterator_traitsISE_E10value_typeEPNSK_ISF_E10value_typeEPSG_NS1_7vsmem_tEENKUlT_SE_SF_SG_E_clIS8_S8_S9_S9_EESD_ST_SE_SF_SG_EUlST_E0_NS1_11comp_targetILNS1_3genE9ELNS1_11target_archE1100ELNS1_3gpuE3ELNS1_3repE0EEENS1_38merge_mergepath_config_static_selectorELNS0_4arch9wavefront6targetE0EEEvSF_.num_agpr, 0
	.set _ZN7rocprim17ROCPRIM_400000_NS6detail17trampoline_kernelINS0_14default_configENS1_38merge_sort_block_merge_config_selectorIaNS0_10empty_typeEEEZZNS1_27merge_sort_block_merge_implIS3_PaPS5_jNS1_19radix_merge_compareILb0ELb1EaNS0_19identity_decomposerEEEEE10hipError_tT0_T1_T2_jT3_P12ihipStream_tbPNSt15iterator_traitsISE_E10value_typeEPNSK_ISF_E10value_typeEPSG_NS1_7vsmem_tEENKUlT_SE_SF_SG_E_clIS8_S8_S9_S9_EESD_ST_SE_SF_SG_EUlST_E0_NS1_11comp_targetILNS1_3genE9ELNS1_11target_archE1100ELNS1_3gpuE3ELNS1_3repE0EEENS1_38merge_mergepath_config_static_selectorELNS0_4arch9wavefront6targetE0EEEvSF_.numbered_sgpr, 0
	.set _ZN7rocprim17ROCPRIM_400000_NS6detail17trampoline_kernelINS0_14default_configENS1_38merge_sort_block_merge_config_selectorIaNS0_10empty_typeEEEZZNS1_27merge_sort_block_merge_implIS3_PaPS5_jNS1_19radix_merge_compareILb0ELb1EaNS0_19identity_decomposerEEEEE10hipError_tT0_T1_T2_jT3_P12ihipStream_tbPNSt15iterator_traitsISE_E10value_typeEPNSK_ISF_E10value_typeEPSG_NS1_7vsmem_tEENKUlT_SE_SF_SG_E_clIS8_S8_S9_S9_EESD_ST_SE_SF_SG_EUlST_E0_NS1_11comp_targetILNS1_3genE9ELNS1_11target_archE1100ELNS1_3gpuE3ELNS1_3repE0EEENS1_38merge_mergepath_config_static_selectorELNS0_4arch9wavefront6targetE0EEEvSF_.num_named_barrier, 0
	.set _ZN7rocprim17ROCPRIM_400000_NS6detail17trampoline_kernelINS0_14default_configENS1_38merge_sort_block_merge_config_selectorIaNS0_10empty_typeEEEZZNS1_27merge_sort_block_merge_implIS3_PaPS5_jNS1_19radix_merge_compareILb0ELb1EaNS0_19identity_decomposerEEEEE10hipError_tT0_T1_T2_jT3_P12ihipStream_tbPNSt15iterator_traitsISE_E10value_typeEPNSK_ISF_E10value_typeEPSG_NS1_7vsmem_tEENKUlT_SE_SF_SG_E_clIS8_S8_S9_S9_EESD_ST_SE_SF_SG_EUlST_E0_NS1_11comp_targetILNS1_3genE9ELNS1_11target_archE1100ELNS1_3gpuE3ELNS1_3repE0EEENS1_38merge_mergepath_config_static_selectorELNS0_4arch9wavefront6targetE0EEEvSF_.private_seg_size, 0
	.set _ZN7rocprim17ROCPRIM_400000_NS6detail17trampoline_kernelINS0_14default_configENS1_38merge_sort_block_merge_config_selectorIaNS0_10empty_typeEEEZZNS1_27merge_sort_block_merge_implIS3_PaPS5_jNS1_19radix_merge_compareILb0ELb1EaNS0_19identity_decomposerEEEEE10hipError_tT0_T1_T2_jT3_P12ihipStream_tbPNSt15iterator_traitsISE_E10value_typeEPNSK_ISF_E10value_typeEPSG_NS1_7vsmem_tEENKUlT_SE_SF_SG_E_clIS8_S8_S9_S9_EESD_ST_SE_SF_SG_EUlST_E0_NS1_11comp_targetILNS1_3genE9ELNS1_11target_archE1100ELNS1_3gpuE3ELNS1_3repE0EEENS1_38merge_mergepath_config_static_selectorELNS0_4arch9wavefront6targetE0EEEvSF_.uses_vcc, 0
	.set _ZN7rocprim17ROCPRIM_400000_NS6detail17trampoline_kernelINS0_14default_configENS1_38merge_sort_block_merge_config_selectorIaNS0_10empty_typeEEEZZNS1_27merge_sort_block_merge_implIS3_PaPS5_jNS1_19radix_merge_compareILb0ELb1EaNS0_19identity_decomposerEEEEE10hipError_tT0_T1_T2_jT3_P12ihipStream_tbPNSt15iterator_traitsISE_E10value_typeEPNSK_ISF_E10value_typeEPSG_NS1_7vsmem_tEENKUlT_SE_SF_SG_E_clIS8_S8_S9_S9_EESD_ST_SE_SF_SG_EUlST_E0_NS1_11comp_targetILNS1_3genE9ELNS1_11target_archE1100ELNS1_3gpuE3ELNS1_3repE0EEENS1_38merge_mergepath_config_static_selectorELNS0_4arch9wavefront6targetE0EEEvSF_.uses_flat_scratch, 0
	.set _ZN7rocprim17ROCPRIM_400000_NS6detail17trampoline_kernelINS0_14default_configENS1_38merge_sort_block_merge_config_selectorIaNS0_10empty_typeEEEZZNS1_27merge_sort_block_merge_implIS3_PaPS5_jNS1_19radix_merge_compareILb0ELb1EaNS0_19identity_decomposerEEEEE10hipError_tT0_T1_T2_jT3_P12ihipStream_tbPNSt15iterator_traitsISE_E10value_typeEPNSK_ISF_E10value_typeEPSG_NS1_7vsmem_tEENKUlT_SE_SF_SG_E_clIS8_S8_S9_S9_EESD_ST_SE_SF_SG_EUlST_E0_NS1_11comp_targetILNS1_3genE9ELNS1_11target_archE1100ELNS1_3gpuE3ELNS1_3repE0EEENS1_38merge_mergepath_config_static_selectorELNS0_4arch9wavefront6targetE0EEEvSF_.has_dyn_sized_stack, 0
	.set _ZN7rocprim17ROCPRIM_400000_NS6detail17trampoline_kernelINS0_14default_configENS1_38merge_sort_block_merge_config_selectorIaNS0_10empty_typeEEEZZNS1_27merge_sort_block_merge_implIS3_PaPS5_jNS1_19radix_merge_compareILb0ELb1EaNS0_19identity_decomposerEEEEE10hipError_tT0_T1_T2_jT3_P12ihipStream_tbPNSt15iterator_traitsISE_E10value_typeEPNSK_ISF_E10value_typeEPSG_NS1_7vsmem_tEENKUlT_SE_SF_SG_E_clIS8_S8_S9_S9_EESD_ST_SE_SF_SG_EUlST_E0_NS1_11comp_targetILNS1_3genE9ELNS1_11target_archE1100ELNS1_3gpuE3ELNS1_3repE0EEENS1_38merge_mergepath_config_static_selectorELNS0_4arch9wavefront6targetE0EEEvSF_.has_recursion, 0
	.set _ZN7rocprim17ROCPRIM_400000_NS6detail17trampoline_kernelINS0_14default_configENS1_38merge_sort_block_merge_config_selectorIaNS0_10empty_typeEEEZZNS1_27merge_sort_block_merge_implIS3_PaPS5_jNS1_19radix_merge_compareILb0ELb1EaNS0_19identity_decomposerEEEEE10hipError_tT0_T1_T2_jT3_P12ihipStream_tbPNSt15iterator_traitsISE_E10value_typeEPNSK_ISF_E10value_typeEPSG_NS1_7vsmem_tEENKUlT_SE_SF_SG_E_clIS8_S8_S9_S9_EESD_ST_SE_SF_SG_EUlST_E0_NS1_11comp_targetILNS1_3genE9ELNS1_11target_archE1100ELNS1_3gpuE3ELNS1_3repE0EEENS1_38merge_mergepath_config_static_selectorELNS0_4arch9wavefront6targetE0EEEvSF_.has_indirect_call, 0
	.section	.AMDGPU.csdata,"",@progbits
; Kernel info:
; codeLenInByte = 0
; TotalNumSgprs: 0
; NumVgprs: 0
; ScratchSize: 0
; MemoryBound: 0
; FloatMode: 240
; IeeeMode: 1
; LDSByteSize: 0 bytes/workgroup (compile time only)
; SGPRBlocks: 0
; VGPRBlocks: 0
; NumSGPRsForWavesPerEU: 1
; NumVGPRsForWavesPerEU: 1
; NamedBarCnt: 0
; Occupancy: 16
; WaveLimiterHint : 0
; COMPUTE_PGM_RSRC2:SCRATCH_EN: 0
; COMPUTE_PGM_RSRC2:USER_SGPR: 2
; COMPUTE_PGM_RSRC2:TRAP_HANDLER: 0
; COMPUTE_PGM_RSRC2:TGID_X_EN: 1
; COMPUTE_PGM_RSRC2:TGID_Y_EN: 0
; COMPUTE_PGM_RSRC2:TGID_Z_EN: 0
; COMPUTE_PGM_RSRC2:TIDIG_COMP_CNT: 0
	.section	.text._ZN7rocprim17ROCPRIM_400000_NS6detail17trampoline_kernelINS0_14default_configENS1_38merge_sort_block_merge_config_selectorIaNS0_10empty_typeEEEZZNS1_27merge_sort_block_merge_implIS3_PaPS5_jNS1_19radix_merge_compareILb0ELb1EaNS0_19identity_decomposerEEEEE10hipError_tT0_T1_T2_jT3_P12ihipStream_tbPNSt15iterator_traitsISE_E10value_typeEPNSK_ISF_E10value_typeEPSG_NS1_7vsmem_tEENKUlT_SE_SF_SG_E_clIS8_S8_S9_S9_EESD_ST_SE_SF_SG_EUlST_E0_NS1_11comp_targetILNS1_3genE8ELNS1_11target_archE1030ELNS1_3gpuE2ELNS1_3repE0EEENS1_38merge_mergepath_config_static_selectorELNS0_4arch9wavefront6targetE0EEEvSF_,"axG",@progbits,_ZN7rocprim17ROCPRIM_400000_NS6detail17trampoline_kernelINS0_14default_configENS1_38merge_sort_block_merge_config_selectorIaNS0_10empty_typeEEEZZNS1_27merge_sort_block_merge_implIS3_PaPS5_jNS1_19radix_merge_compareILb0ELb1EaNS0_19identity_decomposerEEEEE10hipError_tT0_T1_T2_jT3_P12ihipStream_tbPNSt15iterator_traitsISE_E10value_typeEPNSK_ISF_E10value_typeEPSG_NS1_7vsmem_tEENKUlT_SE_SF_SG_E_clIS8_S8_S9_S9_EESD_ST_SE_SF_SG_EUlST_E0_NS1_11comp_targetILNS1_3genE8ELNS1_11target_archE1030ELNS1_3gpuE2ELNS1_3repE0EEENS1_38merge_mergepath_config_static_selectorELNS0_4arch9wavefront6targetE0EEEvSF_,comdat
	.protected	_ZN7rocprim17ROCPRIM_400000_NS6detail17trampoline_kernelINS0_14default_configENS1_38merge_sort_block_merge_config_selectorIaNS0_10empty_typeEEEZZNS1_27merge_sort_block_merge_implIS3_PaPS5_jNS1_19radix_merge_compareILb0ELb1EaNS0_19identity_decomposerEEEEE10hipError_tT0_T1_T2_jT3_P12ihipStream_tbPNSt15iterator_traitsISE_E10value_typeEPNSK_ISF_E10value_typeEPSG_NS1_7vsmem_tEENKUlT_SE_SF_SG_E_clIS8_S8_S9_S9_EESD_ST_SE_SF_SG_EUlST_E0_NS1_11comp_targetILNS1_3genE8ELNS1_11target_archE1030ELNS1_3gpuE2ELNS1_3repE0EEENS1_38merge_mergepath_config_static_selectorELNS0_4arch9wavefront6targetE0EEEvSF_ ; -- Begin function _ZN7rocprim17ROCPRIM_400000_NS6detail17trampoline_kernelINS0_14default_configENS1_38merge_sort_block_merge_config_selectorIaNS0_10empty_typeEEEZZNS1_27merge_sort_block_merge_implIS3_PaPS5_jNS1_19radix_merge_compareILb0ELb1EaNS0_19identity_decomposerEEEEE10hipError_tT0_T1_T2_jT3_P12ihipStream_tbPNSt15iterator_traitsISE_E10value_typeEPNSK_ISF_E10value_typeEPSG_NS1_7vsmem_tEENKUlT_SE_SF_SG_E_clIS8_S8_S9_S9_EESD_ST_SE_SF_SG_EUlST_E0_NS1_11comp_targetILNS1_3genE8ELNS1_11target_archE1030ELNS1_3gpuE2ELNS1_3repE0EEENS1_38merge_mergepath_config_static_selectorELNS0_4arch9wavefront6targetE0EEEvSF_
	.globl	_ZN7rocprim17ROCPRIM_400000_NS6detail17trampoline_kernelINS0_14default_configENS1_38merge_sort_block_merge_config_selectorIaNS0_10empty_typeEEEZZNS1_27merge_sort_block_merge_implIS3_PaPS5_jNS1_19radix_merge_compareILb0ELb1EaNS0_19identity_decomposerEEEEE10hipError_tT0_T1_T2_jT3_P12ihipStream_tbPNSt15iterator_traitsISE_E10value_typeEPNSK_ISF_E10value_typeEPSG_NS1_7vsmem_tEENKUlT_SE_SF_SG_E_clIS8_S8_S9_S9_EESD_ST_SE_SF_SG_EUlST_E0_NS1_11comp_targetILNS1_3genE8ELNS1_11target_archE1030ELNS1_3gpuE2ELNS1_3repE0EEENS1_38merge_mergepath_config_static_selectorELNS0_4arch9wavefront6targetE0EEEvSF_
	.p2align	8
	.type	_ZN7rocprim17ROCPRIM_400000_NS6detail17trampoline_kernelINS0_14default_configENS1_38merge_sort_block_merge_config_selectorIaNS0_10empty_typeEEEZZNS1_27merge_sort_block_merge_implIS3_PaPS5_jNS1_19radix_merge_compareILb0ELb1EaNS0_19identity_decomposerEEEEE10hipError_tT0_T1_T2_jT3_P12ihipStream_tbPNSt15iterator_traitsISE_E10value_typeEPNSK_ISF_E10value_typeEPSG_NS1_7vsmem_tEENKUlT_SE_SF_SG_E_clIS8_S8_S9_S9_EESD_ST_SE_SF_SG_EUlST_E0_NS1_11comp_targetILNS1_3genE8ELNS1_11target_archE1030ELNS1_3gpuE2ELNS1_3repE0EEENS1_38merge_mergepath_config_static_selectorELNS0_4arch9wavefront6targetE0EEEvSF_,@function
_ZN7rocprim17ROCPRIM_400000_NS6detail17trampoline_kernelINS0_14default_configENS1_38merge_sort_block_merge_config_selectorIaNS0_10empty_typeEEEZZNS1_27merge_sort_block_merge_implIS3_PaPS5_jNS1_19radix_merge_compareILb0ELb1EaNS0_19identity_decomposerEEEEE10hipError_tT0_T1_T2_jT3_P12ihipStream_tbPNSt15iterator_traitsISE_E10value_typeEPNSK_ISF_E10value_typeEPSG_NS1_7vsmem_tEENKUlT_SE_SF_SG_E_clIS8_S8_S9_S9_EESD_ST_SE_SF_SG_EUlST_E0_NS1_11comp_targetILNS1_3genE8ELNS1_11target_archE1030ELNS1_3gpuE2ELNS1_3repE0EEENS1_38merge_mergepath_config_static_selectorELNS0_4arch9wavefront6targetE0EEEvSF_: ; @_ZN7rocprim17ROCPRIM_400000_NS6detail17trampoline_kernelINS0_14default_configENS1_38merge_sort_block_merge_config_selectorIaNS0_10empty_typeEEEZZNS1_27merge_sort_block_merge_implIS3_PaPS5_jNS1_19radix_merge_compareILb0ELb1EaNS0_19identity_decomposerEEEEE10hipError_tT0_T1_T2_jT3_P12ihipStream_tbPNSt15iterator_traitsISE_E10value_typeEPNSK_ISF_E10value_typeEPSG_NS1_7vsmem_tEENKUlT_SE_SF_SG_E_clIS8_S8_S9_S9_EESD_ST_SE_SF_SG_EUlST_E0_NS1_11comp_targetILNS1_3genE8ELNS1_11target_archE1030ELNS1_3gpuE2ELNS1_3repE0EEENS1_38merge_mergepath_config_static_selectorELNS0_4arch9wavefront6targetE0EEEvSF_
; %bb.0:
	.section	.rodata,"a",@progbits
	.p2align	6, 0x0
	.amdhsa_kernel _ZN7rocprim17ROCPRIM_400000_NS6detail17trampoline_kernelINS0_14default_configENS1_38merge_sort_block_merge_config_selectorIaNS0_10empty_typeEEEZZNS1_27merge_sort_block_merge_implIS3_PaPS5_jNS1_19radix_merge_compareILb0ELb1EaNS0_19identity_decomposerEEEEE10hipError_tT0_T1_T2_jT3_P12ihipStream_tbPNSt15iterator_traitsISE_E10value_typeEPNSK_ISF_E10value_typeEPSG_NS1_7vsmem_tEENKUlT_SE_SF_SG_E_clIS8_S8_S9_S9_EESD_ST_SE_SF_SG_EUlST_E0_NS1_11comp_targetILNS1_3genE8ELNS1_11target_archE1030ELNS1_3gpuE2ELNS1_3repE0EEENS1_38merge_mergepath_config_static_selectorELNS0_4arch9wavefront6targetE0EEEvSF_
		.amdhsa_group_segment_fixed_size 0
		.amdhsa_private_segment_fixed_size 0
		.amdhsa_kernarg_size 64
		.amdhsa_user_sgpr_count 2
		.amdhsa_user_sgpr_dispatch_ptr 0
		.amdhsa_user_sgpr_queue_ptr 0
		.amdhsa_user_sgpr_kernarg_segment_ptr 1
		.amdhsa_user_sgpr_dispatch_id 0
		.amdhsa_user_sgpr_kernarg_preload_length 0
		.amdhsa_user_sgpr_kernarg_preload_offset 0
		.amdhsa_user_sgpr_private_segment_size 0
		.amdhsa_wavefront_size32 1
		.amdhsa_uses_dynamic_stack 0
		.amdhsa_enable_private_segment 0
		.amdhsa_system_sgpr_workgroup_id_x 1
		.amdhsa_system_sgpr_workgroup_id_y 0
		.amdhsa_system_sgpr_workgroup_id_z 0
		.amdhsa_system_sgpr_workgroup_info 0
		.amdhsa_system_vgpr_workitem_id 0
		.amdhsa_next_free_vgpr 1
		.amdhsa_next_free_sgpr 1
		.amdhsa_named_barrier_count 0
		.amdhsa_reserve_vcc 0
		.amdhsa_float_round_mode_32 0
		.amdhsa_float_round_mode_16_64 0
		.amdhsa_float_denorm_mode_32 3
		.amdhsa_float_denorm_mode_16_64 3
		.amdhsa_fp16_overflow 0
		.amdhsa_memory_ordered 1
		.amdhsa_forward_progress 1
		.amdhsa_inst_pref_size 0
		.amdhsa_round_robin_scheduling 0
		.amdhsa_exception_fp_ieee_invalid_op 0
		.amdhsa_exception_fp_denorm_src 0
		.amdhsa_exception_fp_ieee_div_zero 0
		.amdhsa_exception_fp_ieee_overflow 0
		.amdhsa_exception_fp_ieee_underflow 0
		.amdhsa_exception_fp_ieee_inexact 0
		.amdhsa_exception_int_div_zero 0
	.end_amdhsa_kernel
	.section	.text._ZN7rocprim17ROCPRIM_400000_NS6detail17trampoline_kernelINS0_14default_configENS1_38merge_sort_block_merge_config_selectorIaNS0_10empty_typeEEEZZNS1_27merge_sort_block_merge_implIS3_PaPS5_jNS1_19radix_merge_compareILb0ELb1EaNS0_19identity_decomposerEEEEE10hipError_tT0_T1_T2_jT3_P12ihipStream_tbPNSt15iterator_traitsISE_E10value_typeEPNSK_ISF_E10value_typeEPSG_NS1_7vsmem_tEENKUlT_SE_SF_SG_E_clIS8_S8_S9_S9_EESD_ST_SE_SF_SG_EUlST_E0_NS1_11comp_targetILNS1_3genE8ELNS1_11target_archE1030ELNS1_3gpuE2ELNS1_3repE0EEENS1_38merge_mergepath_config_static_selectorELNS0_4arch9wavefront6targetE0EEEvSF_,"axG",@progbits,_ZN7rocprim17ROCPRIM_400000_NS6detail17trampoline_kernelINS0_14default_configENS1_38merge_sort_block_merge_config_selectorIaNS0_10empty_typeEEEZZNS1_27merge_sort_block_merge_implIS3_PaPS5_jNS1_19radix_merge_compareILb0ELb1EaNS0_19identity_decomposerEEEEE10hipError_tT0_T1_T2_jT3_P12ihipStream_tbPNSt15iterator_traitsISE_E10value_typeEPNSK_ISF_E10value_typeEPSG_NS1_7vsmem_tEENKUlT_SE_SF_SG_E_clIS8_S8_S9_S9_EESD_ST_SE_SF_SG_EUlST_E0_NS1_11comp_targetILNS1_3genE8ELNS1_11target_archE1030ELNS1_3gpuE2ELNS1_3repE0EEENS1_38merge_mergepath_config_static_selectorELNS0_4arch9wavefront6targetE0EEEvSF_,comdat
.Lfunc_end439:
	.size	_ZN7rocprim17ROCPRIM_400000_NS6detail17trampoline_kernelINS0_14default_configENS1_38merge_sort_block_merge_config_selectorIaNS0_10empty_typeEEEZZNS1_27merge_sort_block_merge_implIS3_PaPS5_jNS1_19radix_merge_compareILb0ELb1EaNS0_19identity_decomposerEEEEE10hipError_tT0_T1_T2_jT3_P12ihipStream_tbPNSt15iterator_traitsISE_E10value_typeEPNSK_ISF_E10value_typeEPSG_NS1_7vsmem_tEENKUlT_SE_SF_SG_E_clIS8_S8_S9_S9_EESD_ST_SE_SF_SG_EUlST_E0_NS1_11comp_targetILNS1_3genE8ELNS1_11target_archE1030ELNS1_3gpuE2ELNS1_3repE0EEENS1_38merge_mergepath_config_static_selectorELNS0_4arch9wavefront6targetE0EEEvSF_, .Lfunc_end439-_ZN7rocprim17ROCPRIM_400000_NS6detail17trampoline_kernelINS0_14default_configENS1_38merge_sort_block_merge_config_selectorIaNS0_10empty_typeEEEZZNS1_27merge_sort_block_merge_implIS3_PaPS5_jNS1_19radix_merge_compareILb0ELb1EaNS0_19identity_decomposerEEEEE10hipError_tT0_T1_T2_jT3_P12ihipStream_tbPNSt15iterator_traitsISE_E10value_typeEPNSK_ISF_E10value_typeEPSG_NS1_7vsmem_tEENKUlT_SE_SF_SG_E_clIS8_S8_S9_S9_EESD_ST_SE_SF_SG_EUlST_E0_NS1_11comp_targetILNS1_3genE8ELNS1_11target_archE1030ELNS1_3gpuE2ELNS1_3repE0EEENS1_38merge_mergepath_config_static_selectorELNS0_4arch9wavefront6targetE0EEEvSF_
                                        ; -- End function
	.set _ZN7rocprim17ROCPRIM_400000_NS6detail17trampoline_kernelINS0_14default_configENS1_38merge_sort_block_merge_config_selectorIaNS0_10empty_typeEEEZZNS1_27merge_sort_block_merge_implIS3_PaPS5_jNS1_19radix_merge_compareILb0ELb1EaNS0_19identity_decomposerEEEEE10hipError_tT0_T1_T2_jT3_P12ihipStream_tbPNSt15iterator_traitsISE_E10value_typeEPNSK_ISF_E10value_typeEPSG_NS1_7vsmem_tEENKUlT_SE_SF_SG_E_clIS8_S8_S9_S9_EESD_ST_SE_SF_SG_EUlST_E0_NS1_11comp_targetILNS1_3genE8ELNS1_11target_archE1030ELNS1_3gpuE2ELNS1_3repE0EEENS1_38merge_mergepath_config_static_selectorELNS0_4arch9wavefront6targetE0EEEvSF_.num_vgpr, 0
	.set _ZN7rocprim17ROCPRIM_400000_NS6detail17trampoline_kernelINS0_14default_configENS1_38merge_sort_block_merge_config_selectorIaNS0_10empty_typeEEEZZNS1_27merge_sort_block_merge_implIS3_PaPS5_jNS1_19radix_merge_compareILb0ELb1EaNS0_19identity_decomposerEEEEE10hipError_tT0_T1_T2_jT3_P12ihipStream_tbPNSt15iterator_traitsISE_E10value_typeEPNSK_ISF_E10value_typeEPSG_NS1_7vsmem_tEENKUlT_SE_SF_SG_E_clIS8_S8_S9_S9_EESD_ST_SE_SF_SG_EUlST_E0_NS1_11comp_targetILNS1_3genE8ELNS1_11target_archE1030ELNS1_3gpuE2ELNS1_3repE0EEENS1_38merge_mergepath_config_static_selectorELNS0_4arch9wavefront6targetE0EEEvSF_.num_agpr, 0
	.set _ZN7rocprim17ROCPRIM_400000_NS6detail17trampoline_kernelINS0_14default_configENS1_38merge_sort_block_merge_config_selectorIaNS0_10empty_typeEEEZZNS1_27merge_sort_block_merge_implIS3_PaPS5_jNS1_19radix_merge_compareILb0ELb1EaNS0_19identity_decomposerEEEEE10hipError_tT0_T1_T2_jT3_P12ihipStream_tbPNSt15iterator_traitsISE_E10value_typeEPNSK_ISF_E10value_typeEPSG_NS1_7vsmem_tEENKUlT_SE_SF_SG_E_clIS8_S8_S9_S9_EESD_ST_SE_SF_SG_EUlST_E0_NS1_11comp_targetILNS1_3genE8ELNS1_11target_archE1030ELNS1_3gpuE2ELNS1_3repE0EEENS1_38merge_mergepath_config_static_selectorELNS0_4arch9wavefront6targetE0EEEvSF_.numbered_sgpr, 0
	.set _ZN7rocprim17ROCPRIM_400000_NS6detail17trampoline_kernelINS0_14default_configENS1_38merge_sort_block_merge_config_selectorIaNS0_10empty_typeEEEZZNS1_27merge_sort_block_merge_implIS3_PaPS5_jNS1_19radix_merge_compareILb0ELb1EaNS0_19identity_decomposerEEEEE10hipError_tT0_T1_T2_jT3_P12ihipStream_tbPNSt15iterator_traitsISE_E10value_typeEPNSK_ISF_E10value_typeEPSG_NS1_7vsmem_tEENKUlT_SE_SF_SG_E_clIS8_S8_S9_S9_EESD_ST_SE_SF_SG_EUlST_E0_NS1_11comp_targetILNS1_3genE8ELNS1_11target_archE1030ELNS1_3gpuE2ELNS1_3repE0EEENS1_38merge_mergepath_config_static_selectorELNS0_4arch9wavefront6targetE0EEEvSF_.num_named_barrier, 0
	.set _ZN7rocprim17ROCPRIM_400000_NS6detail17trampoline_kernelINS0_14default_configENS1_38merge_sort_block_merge_config_selectorIaNS0_10empty_typeEEEZZNS1_27merge_sort_block_merge_implIS3_PaPS5_jNS1_19radix_merge_compareILb0ELb1EaNS0_19identity_decomposerEEEEE10hipError_tT0_T1_T2_jT3_P12ihipStream_tbPNSt15iterator_traitsISE_E10value_typeEPNSK_ISF_E10value_typeEPSG_NS1_7vsmem_tEENKUlT_SE_SF_SG_E_clIS8_S8_S9_S9_EESD_ST_SE_SF_SG_EUlST_E0_NS1_11comp_targetILNS1_3genE8ELNS1_11target_archE1030ELNS1_3gpuE2ELNS1_3repE0EEENS1_38merge_mergepath_config_static_selectorELNS0_4arch9wavefront6targetE0EEEvSF_.private_seg_size, 0
	.set _ZN7rocprim17ROCPRIM_400000_NS6detail17trampoline_kernelINS0_14default_configENS1_38merge_sort_block_merge_config_selectorIaNS0_10empty_typeEEEZZNS1_27merge_sort_block_merge_implIS3_PaPS5_jNS1_19radix_merge_compareILb0ELb1EaNS0_19identity_decomposerEEEEE10hipError_tT0_T1_T2_jT3_P12ihipStream_tbPNSt15iterator_traitsISE_E10value_typeEPNSK_ISF_E10value_typeEPSG_NS1_7vsmem_tEENKUlT_SE_SF_SG_E_clIS8_S8_S9_S9_EESD_ST_SE_SF_SG_EUlST_E0_NS1_11comp_targetILNS1_3genE8ELNS1_11target_archE1030ELNS1_3gpuE2ELNS1_3repE0EEENS1_38merge_mergepath_config_static_selectorELNS0_4arch9wavefront6targetE0EEEvSF_.uses_vcc, 0
	.set _ZN7rocprim17ROCPRIM_400000_NS6detail17trampoline_kernelINS0_14default_configENS1_38merge_sort_block_merge_config_selectorIaNS0_10empty_typeEEEZZNS1_27merge_sort_block_merge_implIS3_PaPS5_jNS1_19radix_merge_compareILb0ELb1EaNS0_19identity_decomposerEEEEE10hipError_tT0_T1_T2_jT3_P12ihipStream_tbPNSt15iterator_traitsISE_E10value_typeEPNSK_ISF_E10value_typeEPSG_NS1_7vsmem_tEENKUlT_SE_SF_SG_E_clIS8_S8_S9_S9_EESD_ST_SE_SF_SG_EUlST_E0_NS1_11comp_targetILNS1_3genE8ELNS1_11target_archE1030ELNS1_3gpuE2ELNS1_3repE0EEENS1_38merge_mergepath_config_static_selectorELNS0_4arch9wavefront6targetE0EEEvSF_.uses_flat_scratch, 0
	.set _ZN7rocprim17ROCPRIM_400000_NS6detail17trampoline_kernelINS0_14default_configENS1_38merge_sort_block_merge_config_selectorIaNS0_10empty_typeEEEZZNS1_27merge_sort_block_merge_implIS3_PaPS5_jNS1_19radix_merge_compareILb0ELb1EaNS0_19identity_decomposerEEEEE10hipError_tT0_T1_T2_jT3_P12ihipStream_tbPNSt15iterator_traitsISE_E10value_typeEPNSK_ISF_E10value_typeEPSG_NS1_7vsmem_tEENKUlT_SE_SF_SG_E_clIS8_S8_S9_S9_EESD_ST_SE_SF_SG_EUlST_E0_NS1_11comp_targetILNS1_3genE8ELNS1_11target_archE1030ELNS1_3gpuE2ELNS1_3repE0EEENS1_38merge_mergepath_config_static_selectorELNS0_4arch9wavefront6targetE0EEEvSF_.has_dyn_sized_stack, 0
	.set _ZN7rocprim17ROCPRIM_400000_NS6detail17trampoline_kernelINS0_14default_configENS1_38merge_sort_block_merge_config_selectorIaNS0_10empty_typeEEEZZNS1_27merge_sort_block_merge_implIS3_PaPS5_jNS1_19radix_merge_compareILb0ELb1EaNS0_19identity_decomposerEEEEE10hipError_tT0_T1_T2_jT3_P12ihipStream_tbPNSt15iterator_traitsISE_E10value_typeEPNSK_ISF_E10value_typeEPSG_NS1_7vsmem_tEENKUlT_SE_SF_SG_E_clIS8_S8_S9_S9_EESD_ST_SE_SF_SG_EUlST_E0_NS1_11comp_targetILNS1_3genE8ELNS1_11target_archE1030ELNS1_3gpuE2ELNS1_3repE0EEENS1_38merge_mergepath_config_static_selectorELNS0_4arch9wavefront6targetE0EEEvSF_.has_recursion, 0
	.set _ZN7rocprim17ROCPRIM_400000_NS6detail17trampoline_kernelINS0_14default_configENS1_38merge_sort_block_merge_config_selectorIaNS0_10empty_typeEEEZZNS1_27merge_sort_block_merge_implIS3_PaPS5_jNS1_19radix_merge_compareILb0ELb1EaNS0_19identity_decomposerEEEEE10hipError_tT0_T1_T2_jT3_P12ihipStream_tbPNSt15iterator_traitsISE_E10value_typeEPNSK_ISF_E10value_typeEPSG_NS1_7vsmem_tEENKUlT_SE_SF_SG_E_clIS8_S8_S9_S9_EESD_ST_SE_SF_SG_EUlST_E0_NS1_11comp_targetILNS1_3genE8ELNS1_11target_archE1030ELNS1_3gpuE2ELNS1_3repE0EEENS1_38merge_mergepath_config_static_selectorELNS0_4arch9wavefront6targetE0EEEvSF_.has_indirect_call, 0
	.section	.AMDGPU.csdata,"",@progbits
; Kernel info:
; codeLenInByte = 0
; TotalNumSgprs: 0
; NumVgprs: 0
; ScratchSize: 0
; MemoryBound: 0
; FloatMode: 240
; IeeeMode: 1
; LDSByteSize: 0 bytes/workgroup (compile time only)
; SGPRBlocks: 0
; VGPRBlocks: 0
; NumSGPRsForWavesPerEU: 1
; NumVGPRsForWavesPerEU: 1
; NamedBarCnt: 0
; Occupancy: 16
; WaveLimiterHint : 0
; COMPUTE_PGM_RSRC2:SCRATCH_EN: 0
; COMPUTE_PGM_RSRC2:USER_SGPR: 2
; COMPUTE_PGM_RSRC2:TRAP_HANDLER: 0
; COMPUTE_PGM_RSRC2:TGID_X_EN: 1
; COMPUTE_PGM_RSRC2:TGID_Y_EN: 0
; COMPUTE_PGM_RSRC2:TGID_Z_EN: 0
; COMPUTE_PGM_RSRC2:TIDIG_COMP_CNT: 0
	.section	.text._ZN7rocprim17ROCPRIM_400000_NS6detail17trampoline_kernelINS0_14default_configENS1_38merge_sort_block_merge_config_selectorIaNS0_10empty_typeEEEZZNS1_27merge_sort_block_merge_implIS3_PaPS5_jNS1_19radix_merge_compareILb0ELb1EaNS0_19identity_decomposerEEEEE10hipError_tT0_T1_T2_jT3_P12ihipStream_tbPNSt15iterator_traitsISE_E10value_typeEPNSK_ISF_E10value_typeEPSG_NS1_7vsmem_tEENKUlT_SE_SF_SG_E_clIS8_S8_S9_S9_EESD_ST_SE_SF_SG_EUlST_E1_NS1_11comp_targetILNS1_3genE0ELNS1_11target_archE4294967295ELNS1_3gpuE0ELNS1_3repE0EEENS1_36merge_oddeven_config_static_selectorELNS0_4arch9wavefront6targetE0EEEvSF_,"axG",@progbits,_ZN7rocprim17ROCPRIM_400000_NS6detail17trampoline_kernelINS0_14default_configENS1_38merge_sort_block_merge_config_selectorIaNS0_10empty_typeEEEZZNS1_27merge_sort_block_merge_implIS3_PaPS5_jNS1_19radix_merge_compareILb0ELb1EaNS0_19identity_decomposerEEEEE10hipError_tT0_T1_T2_jT3_P12ihipStream_tbPNSt15iterator_traitsISE_E10value_typeEPNSK_ISF_E10value_typeEPSG_NS1_7vsmem_tEENKUlT_SE_SF_SG_E_clIS8_S8_S9_S9_EESD_ST_SE_SF_SG_EUlST_E1_NS1_11comp_targetILNS1_3genE0ELNS1_11target_archE4294967295ELNS1_3gpuE0ELNS1_3repE0EEENS1_36merge_oddeven_config_static_selectorELNS0_4arch9wavefront6targetE0EEEvSF_,comdat
	.protected	_ZN7rocprim17ROCPRIM_400000_NS6detail17trampoline_kernelINS0_14default_configENS1_38merge_sort_block_merge_config_selectorIaNS0_10empty_typeEEEZZNS1_27merge_sort_block_merge_implIS3_PaPS5_jNS1_19radix_merge_compareILb0ELb1EaNS0_19identity_decomposerEEEEE10hipError_tT0_T1_T2_jT3_P12ihipStream_tbPNSt15iterator_traitsISE_E10value_typeEPNSK_ISF_E10value_typeEPSG_NS1_7vsmem_tEENKUlT_SE_SF_SG_E_clIS8_S8_S9_S9_EESD_ST_SE_SF_SG_EUlST_E1_NS1_11comp_targetILNS1_3genE0ELNS1_11target_archE4294967295ELNS1_3gpuE0ELNS1_3repE0EEENS1_36merge_oddeven_config_static_selectorELNS0_4arch9wavefront6targetE0EEEvSF_ ; -- Begin function _ZN7rocprim17ROCPRIM_400000_NS6detail17trampoline_kernelINS0_14default_configENS1_38merge_sort_block_merge_config_selectorIaNS0_10empty_typeEEEZZNS1_27merge_sort_block_merge_implIS3_PaPS5_jNS1_19radix_merge_compareILb0ELb1EaNS0_19identity_decomposerEEEEE10hipError_tT0_T1_T2_jT3_P12ihipStream_tbPNSt15iterator_traitsISE_E10value_typeEPNSK_ISF_E10value_typeEPSG_NS1_7vsmem_tEENKUlT_SE_SF_SG_E_clIS8_S8_S9_S9_EESD_ST_SE_SF_SG_EUlST_E1_NS1_11comp_targetILNS1_3genE0ELNS1_11target_archE4294967295ELNS1_3gpuE0ELNS1_3repE0EEENS1_36merge_oddeven_config_static_selectorELNS0_4arch9wavefront6targetE0EEEvSF_
	.globl	_ZN7rocprim17ROCPRIM_400000_NS6detail17trampoline_kernelINS0_14default_configENS1_38merge_sort_block_merge_config_selectorIaNS0_10empty_typeEEEZZNS1_27merge_sort_block_merge_implIS3_PaPS5_jNS1_19radix_merge_compareILb0ELb1EaNS0_19identity_decomposerEEEEE10hipError_tT0_T1_T2_jT3_P12ihipStream_tbPNSt15iterator_traitsISE_E10value_typeEPNSK_ISF_E10value_typeEPSG_NS1_7vsmem_tEENKUlT_SE_SF_SG_E_clIS8_S8_S9_S9_EESD_ST_SE_SF_SG_EUlST_E1_NS1_11comp_targetILNS1_3genE0ELNS1_11target_archE4294967295ELNS1_3gpuE0ELNS1_3repE0EEENS1_36merge_oddeven_config_static_selectorELNS0_4arch9wavefront6targetE0EEEvSF_
	.p2align	8
	.type	_ZN7rocprim17ROCPRIM_400000_NS6detail17trampoline_kernelINS0_14default_configENS1_38merge_sort_block_merge_config_selectorIaNS0_10empty_typeEEEZZNS1_27merge_sort_block_merge_implIS3_PaPS5_jNS1_19radix_merge_compareILb0ELb1EaNS0_19identity_decomposerEEEEE10hipError_tT0_T1_T2_jT3_P12ihipStream_tbPNSt15iterator_traitsISE_E10value_typeEPNSK_ISF_E10value_typeEPSG_NS1_7vsmem_tEENKUlT_SE_SF_SG_E_clIS8_S8_S9_S9_EESD_ST_SE_SF_SG_EUlST_E1_NS1_11comp_targetILNS1_3genE0ELNS1_11target_archE4294967295ELNS1_3gpuE0ELNS1_3repE0EEENS1_36merge_oddeven_config_static_selectorELNS0_4arch9wavefront6targetE0EEEvSF_,@function
_ZN7rocprim17ROCPRIM_400000_NS6detail17trampoline_kernelINS0_14default_configENS1_38merge_sort_block_merge_config_selectorIaNS0_10empty_typeEEEZZNS1_27merge_sort_block_merge_implIS3_PaPS5_jNS1_19radix_merge_compareILb0ELb1EaNS0_19identity_decomposerEEEEE10hipError_tT0_T1_T2_jT3_P12ihipStream_tbPNSt15iterator_traitsISE_E10value_typeEPNSK_ISF_E10value_typeEPSG_NS1_7vsmem_tEENKUlT_SE_SF_SG_E_clIS8_S8_S9_S9_EESD_ST_SE_SF_SG_EUlST_E1_NS1_11comp_targetILNS1_3genE0ELNS1_11target_archE4294967295ELNS1_3gpuE0ELNS1_3repE0EEENS1_36merge_oddeven_config_static_selectorELNS0_4arch9wavefront6targetE0EEEvSF_: ; @_ZN7rocprim17ROCPRIM_400000_NS6detail17trampoline_kernelINS0_14default_configENS1_38merge_sort_block_merge_config_selectorIaNS0_10empty_typeEEEZZNS1_27merge_sort_block_merge_implIS3_PaPS5_jNS1_19radix_merge_compareILb0ELb1EaNS0_19identity_decomposerEEEEE10hipError_tT0_T1_T2_jT3_P12ihipStream_tbPNSt15iterator_traitsISE_E10value_typeEPNSK_ISF_E10value_typeEPSG_NS1_7vsmem_tEENKUlT_SE_SF_SG_E_clIS8_S8_S9_S9_EESD_ST_SE_SF_SG_EUlST_E1_NS1_11comp_targetILNS1_3genE0ELNS1_11target_archE4294967295ELNS1_3gpuE0ELNS1_3repE0EEENS1_36merge_oddeven_config_static_selectorELNS0_4arch9wavefront6targetE0EEEvSF_
; %bb.0:
	s_load_b32 s11, s[0:1], 0x20
	s_bfe_u32 s2, ttmp6, 0x4000c
	s_and_b32 s3, ttmp6, 15
	s_add_co_i32 s2, s2, 1
	s_getreg_b32 s4, hwreg(HW_REG_IB_STS2, 6, 4)
	s_mul_i32 s2, ttmp9, s2
	s_mov_b32 s9, 0
	s_add_co_i32 s3, s3, s2
	s_cmp_eq_u32 s4, 0
	s_cselect_b32 s2, ttmp9, s3
	s_wait_kmcnt 0x0
	s_lshr_b32 s3, s11, 8
	s_delay_alu instid0(SALU_CYCLE_1) | instskip(SKIP_4) | instid1(SALU_CYCLE_1)
	s_cmp_lg_u32 s2, s3
	s_cselect_b32 s15, -1, 0
	s_cmp_eq_u32 s2, s3
	s_cselect_b32 s12, -1, 0
	s_lshl_b32 s8, s2, 8
	s_sub_co_i32 s3, s11, s8
	s_delay_alu instid0(SALU_CYCLE_1) | instskip(SKIP_1) | instid1(SALU_CYCLE_1)
	v_cmp_gt_u32_e64 s3, s3, v0
	s_or_b32 s4, s15, s3
	s_and_saveexec_b32 s5, s4
	s_cbranch_execz .LBB440_20
; %bb.1:
	s_clause 0x1
	s_load_b128 s[4:7], s[0:1], 0x0
	s_load_b32 s13, s[0:1], 0x24
	v_add_nc_u32_e32 v3, s8, v0
	s_wait_kmcnt 0x0
	s_add_nc_u64 s[16:17], s[4:5], s[8:9]
	s_lshr_b32 s10, s13, 8
	global_load_u8 v1, v0, s[16:17]
	s_sub_co_i32 s14, 0, s10
	s_wait_xcnt 0x0
	s_sub_co_i32 s16, 0, s13
	s_and_b32 s2, s2, s14
	s_delay_alu instid0(SALU_CYCLE_1) | instskip(SKIP_3) | instid1(SALU_CYCLE_1)
	s_and_b32 s10, s2, s10
	s_lshl_b32 s14, s2, 8
	s_cmp_eq_u32 s10, 0
	s_cselect_b32 s2, -1, 0
	s_and_b32 s10, s2, exec_lo
	s_cselect_b32 s10, s13, s16
	s_delay_alu instid0(SALU_CYCLE_1) | instskip(NEXT) | instid1(SALU_CYCLE_1)
	s_add_co_i32 s10, s10, s14
	s_cmp_gt_u32 s11, s10
	s_cbranch_scc1 .LBB440_3
; %bb.2:
	v_cmp_gt_u32_e32 vcc_lo, s11, v3
	s_or_b32 s9, vcc_lo, s15
	s_delay_alu instid0(SALU_CYCLE_1)
	s_and_b32 s9, s9, exec_lo
	s_cbranch_execz .LBB440_4
	s_branch .LBB440_18
.LBB440_3:
.LBB440_4:
	s_load_b32 s0, s[0:1], 0x28
	s_wait_xcnt 0x0
	s_min_u32 s1, s10, s11
	s_and_b32 vcc_lo, exec_lo, s12
	s_add_co_i32 s8, s14, s1
	s_add_co_i32 s13, s1, s13
	v_subrev_nc_u32_e32 v0, s8, v3
	s_min_u32 s8, s14, s1
	s_delay_alu instid0(VALU_DEP_1) | instid1(SALU_CYCLE_1)
	v_add_nc_u32_e32 v0, s8, v0
	s_min_u32 s8, s13, s11
	s_wait_loadcnt 0x0
	s_wait_kmcnt 0x0
	v_and_b32_e32 v2, s0, v1
	s_delay_alu instid0(VALU_DEP_1)
	v_bfe_i32 v2, v2, 0, 8
	s_cbranch_vccz .LBB440_12
; %bb.5:
                                        ; implicit-def: $vgpr3
	s_and_saveexec_b32 s11, s3
	s_cbranch_execz .LBB440_11
; %bb.6:
	v_mov_b32_e32 v3, s1
	s_cmp_ge_u32 s10, s8
	s_cbranch_scc1 .LBB440_10
; %bb.7:
	v_dual_mov_b32 v4, s8 :: v_dual_mov_b32 v3, s1
	s_mov_b32 s3, 0
.LBB440_8:                              ; =>This Inner Loop Header: Depth=1
	s_delay_alu instid0(VALU_DEP_1) | instskip(NEXT) | instid1(VALU_DEP_1)
	v_add_nc_u32_e32 v5, v3, v4
	v_lshrrev_b32_e32 v5, 1, v5
	global_load_u8 v6, v5, s[4:5]
	s_wait_loadcnt 0x0
	v_and_b32_e32 v6, s0, v6
	s_delay_alu instid0(VALU_DEP_1) | instskip(NEXT) | instid1(VALU_DEP_1)
	v_bfe_i32 v6, v6, 0, 8
	v_cmp_gt_i16_e32 vcc_lo, v2, v6
	v_cndmask_b32_e64 v7, 0, 1, vcc_lo
	v_cmp_le_i16_e32 vcc_lo, v6, v2
	v_cndmask_b32_e64 v6, 0, 1, vcc_lo
	s_delay_alu instid0(VALU_DEP_1) | instskip(NEXT) | instid1(VALU_DEP_1)
	v_dual_cndmask_b32 v6, v6, v7, s2 :: v_dual_add_nc_u32 v7, 1, v5
	v_and_b32_e32 v6, 1, v6
	s_delay_alu instid0(VALU_DEP_1) | instskip(NEXT) | instid1(VALU_DEP_3)
	v_cmp_eq_u32_e32 vcc_lo, 1, v6
	v_dual_cndmask_b32 v4, v5, v4 :: v_dual_cndmask_b32 v3, v3, v7
	s_delay_alu instid0(VALU_DEP_1) | instskip(SKIP_1) | instid1(SALU_CYCLE_1)
	v_cmp_ge_u32_e32 vcc_lo, v3, v4
	s_or_b32 s3, vcc_lo, s3
	s_and_not1_b32 exec_lo, exec_lo, s3
	s_cbranch_execnz .LBB440_8
; %bb.9:
	s_or_b32 exec_lo, exec_lo, s3
.LBB440_10:
	s_delay_alu instid0(VALU_DEP_1)
	v_add_nc_u32_e32 v3, v3, v0
	s_or_b32 s9, s9, exec_lo
.LBB440_11:
	s_or_b32 exec_lo, exec_lo, s11
	s_branch .LBB440_18
.LBB440_12:
                                        ; implicit-def: $vgpr3
	s_cbranch_execz .LBB440_18
; %bb.13:
	v_mov_b32_e32 v3, s1
	s_cmp_ge_u32 s10, s8
	s_cbranch_scc1 .LBB440_17
; %bb.14:
	v_dual_mov_b32 v4, s8 :: v_dual_mov_b32 v3, s1
	s_mov_b32 s1, 0
.LBB440_15:                             ; =>This Inner Loop Header: Depth=1
	s_delay_alu instid0(VALU_DEP_1) | instskip(NEXT) | instid1(VALU_DEP_1)
	v_add_nc_u32_e32 v5, v3, v4
	v_lshrrev_b32_e32 v5, 1, v5
	global_load_u8 v6, v5, s[4:5]
	s_wait_loadcnt 0x0
	v_and_b32_e32 v6, s0, v6
	s_delay_alu instid0(VALU_DEP_1) | instskip(NEXT) | instid1(VALU_DEP_1)
	v_bfe_i32 v6, v6, 0, 8
	v_cmp_gt_i16_e32 vcc_lo, v2, v6
	v_cndmask_b32_e64 v7, 0, 1, vcc_lo
	v_cmp_le_i16_e32 vcc_lo, v6, v2
	v_cndmask_b32_e64 v6, 0, 1, vcc_lo
	s_delay_alu instid0(VALU_DEP_1) | instskip(NEXT) | instid1(VALU_DEP_1)
	v_dual_cndmask_b32 v6, v6, v7, s2 :: v_dual_add_nc_u32 v7, 1, v5
	v_and_b32_e32 v6, 1, v6
	s_delay_alu instid0(VALU_DEP_1) | instskip(NEXT) | instid1(VALU_DEP_3)
	v_cmp_eq_u32_e32 vcc_lo, 1, v6
	v_dual_cndmask_b32 v4, v5, v4 :: v_dual_cndmask_b32 v3, v3, v7
	s_delay_alu instid0(VALU_DEP_1) | instskip(SKIP_1) | instid1(SALU_CYCLE_1)
	v_cmp_ge_u32_e32 vcc_lo, v3, v4
	s_or_b32 s1, vcc_lo, s1
	s_and_not1_b32 exec_lo, exec_lo, s1
	s_cbranch_execnz .LBB440_15
; %bb.16:
	s_or_b32 exec_lo, exec_lo, s1
.LBB440_17:
	s_delay_alu instid0(VALU_DEP_1)
	v_add_nc_u32_e32 v3, v3, v0
	s_mov_b32 s9, -1
.LBB440_18:
	s_delay_alu instid0(SALU_CYCLE_1)
	s_and_b32 exec_lo, exec_lo, s9
	s_cbranch_execz .LBB440_20
; %bb.19:
	s_wait_loadcnt 0x0
	global_store_b8 v3, v1, s[6:7]
.LBB440_20:
	s_endpgm
	.section	.rodata,"a",@progbits
	.p2align	6, 0x0
	.amdhsa_kernel _ZN7rocprim17ROCPRIM_400000_NS6detail17trampoline_kernelINS0_14default_configENS1_38merge_sort_block_merge_config_selectorIaNS0_10empty_typeEEEZZNS1_27merge_sort_block_merge_implIS3_PaPS5_jNS1_19radix_merge_compareILb0ELb1EaNS0_19identity_decomposerEEEEE10hipError_tT0_T1_T2_jT3_P12ihipStream_tbPNSt15iterator_traitsISE_E10value_typeEPNSK_ISF_E10value_typeEPSG_NS1_7vsmem_tEENKUlT_SE_SF_SG_E_clIS8_S8_S9_S9_EESD_ST_SE_SF_SG_EUlST_E1_NS1_11comp_targetILNS1_3genE0ELNS1_11target_archE4294967295ELNS1_3gpuE0ELNS1_3repE0EEENS1_36merge_oddeven_config_static_selectorELNS0_4arch9wavefront6targetE0EEEvSF_
		.amdhsa_group_segment_fixed_size 0
		.amdhsa_private_segment_fixed_size 0
		.amdhsa_kernarg_size 48
		.amdhsa_user_sgpr_count 2
		.amdhsa_user_sgpr_dispatch_ptr 0
		.amdhsa_user_sgpr_queue_ptr 0
		.amdhsa_user_sgpr_kernarg_segment_ptr 1
		.amdhsa_user_sgpr_dispatch_id 0
		.amdhsa_user_sgpr_kernarg_preload_length 0
		.amdhsa_user_sgpr_kernarg_preload_offset 0
		.amdhsa_user_sgpr_private_segment_size 0
		.amdhsa_wavefront_size32 1
		.amdhsa_uses_dynamic_stack 0
		.amdhsa_enable_private_segment 0
		.amdhsa_system_sgpr_workgroup_id_x 1
		.amdhsa_system_sgpr_workgroup_id_y 0
		.amdhsa_system_sgpr_workgroup_id_z 0
		.amdhsa_system_sgpr_workgroup_info 0
		.amdhsa_system_vgpr_workitem_id 0
		.amdhsa_next_free_vgpr 8
		.amdhsa_next_free_sgpr 18
		.amdhsa_named_barrier_count 0
		.amdhsa_reserve_vcc 1
		.amdhsa_float_round_mode_32 0
		.amdhsa_float_round_mode_16_64 0
		.amdhsa_float_denorm_mode_32 3
		.amdhsa_float_denorm_mode_16_64 3
		.amdhsa_fp16_overflow 0
		.amdhsa_memory_ordered 1
		.amdhsa_forward_progress 1
		.amdhsa_inst_pref_size 6
		.amdhsa_round_robin_scheduling 0
		.amdhsa_exception_fp_ieee_invalid_op 0
		.amdhsa_exception_fp_denorm_src 0
		.amdhsa_exception_fp_ieee_div_zero 0
		.amdhsa_exception_fp_ieee_overflow 0
		.amdhsa_exception_fp_ieee_underflow 0
		.amdhsa_exception_fp_ieee_inexact 0
		.amdhsa_exception_int_div_zero 0
	.end_amdhsa_kernel
	.section	.text._ZN7rocprim17ROCPRIM_400000_NS6detail17trampoline_kernelINS0_14default_configENS1_38merge_sort_block_merge_config_selectorIaNS0_10empty_typeEEEZZNS1_27merge_sort_block_merge_implIS3_PaPS5_jNS1_19radix_merge_compareILb0ELb1EaNS0_19identity_decomposerEEEEE10hipError_tT0_T1_T2_jT3_P12ihipStream_tbPNSt15iterator_traitsISE_E10value_typeEPNSK_ISF_E10value_typeEPSG_NS1_7vsmem_tEENKUlT_SE_SF_SG_E_clIS8_S8_S9_S9_EESD_ST_SE_SF_SG_EUlST_E1_NS1_11comp_targetILNS1_3genE0ELNS1_11target_archE4294967295ELNS1_3gpuE0ELNS1_3repE0EEENS1_36merge_oddeven_config_static_selectorELNS0_4arch9wavefront6targetE0EEEvSF_,"axG",@progbits,_ZN7rocprim17ROCPRIM_400000_NS6detail17trampoline_kernelINS0_14default_configENS1_38merge_sort_block_merge_config_selectorIaNS0_10empty_typeEEEZZNS1_27merge_sort_block_merge_implIS3_PaPS5_jNS1_19radix_merge_compareILb0ELb1EaNS0_19identity_decomposerEEEEE10hipError_tT0_T1_T2_jT3_P12ihipStream_tbPNSt15iterator_traitsISE_E10value_typeEPNSK_ISF_E10value_typeEPSG_NS1_7vsmem_tEENKUlT_SE_SF_SG_E_clIS8_S8_S9_S9_EESD_ST_SE_SF_SG_EUlST_E1_NS1_11comp_targetILNS1_3genE0ELNS1_11target_archE4294967295ELNS1_3gpuE0ELNS1_3repE0EEENS1_36merge_oddeven_config_static_selectorELNS0_4arch9wavefront6targetE0EEEvSF_,comdat
.Lfunc_end440:
	.size	_ZN7rocprim17ROCPRIM_400000_NS6detail17trampoline_kernelINS0_14default_configENS1_38merge_sort_block_merge_config_selectorIaNS0_10empty_typeEEEZZNS1_27merge_sort_block_merge_implIS3_PaPS5_jNS1_19radix_merge_compareILb0ELb1EaNS0_19identity_decomposerEEEEE10hipError_tT0_T1_T2_jT3_P12ihipStream_tbPNSt15iterator_traitsISE_E10value_typeEPNSK_ISF_E10value_typeEPSG_NS1_7vsmem_tEENKUlT_SE_SF_SG_E_clIS8_S8_S9_S9_EESD_ST_SE_SF_SG_EUlST_E1_NS1_11comp_targetILNS1_3genE0ELNS1_11target_archE4294967295ELNS1_3gpuE0ELNS1_3repE0EEENS1_36merge_oddeven_config_static_selectorELNS0_4arch9wavefront6targetE0EEEvSF_, .Lfunc_end440-_ZN7rocprim17ROCPRIM_400000_NS6detail17trampoline_kernelINS0_14default_configENS1_38merge_sort_block_merge_config_selectorIaNS0_10empty_typeEEEZZNS1_27merge_sort_block_merge_implIS3_PaPS5_jNS1_19radix_merge_compareILb0ELb1EaNS0_19identity_decomposerEEEEE10hipError_tT0_T1_T2_jT3_P12ihipStream_tbPNSt15iterator_traitsISE_E10value_typeEPNSK_ISF_E10value_typeEPSG_NS1_7vsmem_tEENKUlT_SE_SF_SG_E_clIS8_S8_S9_S9_EESD_ST_SE_SF_SG_EUlST_E1_NS1_11comp_targetILNS1_3genE0ELNS1_11target_archE4294967295ELNS1_3gpuE0ELNS1_3repE0EEENS1_36merge_oddeven_config_static_selectorELNS0_4arch9wavefront6targetE0EEEvSF_
                                        ; -- End function
	.set _ZN7rocprim17ROCPRIM_400000_NS6detail17trampoline_kernelINS0_14default_configENS1_38merge_sort_block_merge_config_selectorIaNS0_10empty_typeEEEZZNS1_27merge_sort_block_merge_implIS3_PaPS5_jNS1_19radix_merge_compareILb0ELb1EaNS0_19identity_decomposerEEEEE10hipError_tT0_T1_T2_jT3_P12ihipStream_tbPNSt15iterator_traitsISE_E10value_typeEPNSK_ISF_E10value_typeEPSG_NS1_7vsmem_tEENKUlT_SE_SF_SG_E_clIS8_S8_S9_S9_EESD_ST_SE_SF_SG_EUlST_E1_NS1_11comp_targetILNS1_3genE0ELNS1_11target_archE4294967295ELNS1_3gpuE0ELNS1_3repE0EEENS1_36merge_oddeven_config_static_selectorELNS0_4arch9wavefront6targetE0EEEvSF_.num_vgpr, 8
	.set _ZN7rocprim17ROCPRIM_400000_NS6detail17trampoline_kernelINS0_14default_configENS1_38merge_sort_block_merge_config_selectorIaNS0_10empty_typeEEEZZNS1_27merge_sort_block_merge_implIS3_PaPS5_jNS1_19radix_merge_compareILb0ELb1EaNS0_19identity_decomposerEEEEE10hipError_tT0_T1_T2_jT3_P12ihipStream_tbPNSt15iterator_traitsISE_E10value_typeEPNSK_ISF_E10value_typeEPSG_NS1_7vsmem_tEENKUlT_SE_SF_SG_E_clIS8_S8_S9_S9_EESD_ST_SE_SF_SG_EUlST_E1_NS1_11comp_targetILNS1_3genE0ELNS1_11target_archE4294967295ELNS1_3gpuE0ELNS1_3repE0EEENS1_36merge_oddeven_config_static_selectorELNS0_4arch9wavefront6targetE0EEEvSF_.num_agpr, 0
	.set _ZN7rocprim17ROCPRIM_400000_NS6detail17trampoline_kernelINS0_14default_configENS1_38merge_sort_block_merge_config_selectorIaNS0_10empty_typeEEEZZNS1_27merge_sort_block_merge_implIS3_PaPS5_jNS1_19radix_merge_compareILb0ELb1EaNS0_19identity_decomposerEEEEE10hipError_tT0_T1_T2_jT3_P12ihipStream_tbPNSt15iterator_traitsISE_E10value_typeEPNSK_ISF_E10value_typeEPSG_NS1_7vsmem_tEENKUlT_SE_SF_SG_E_clIS8_S8_S9_S9_EESD_ST_SE_SF_SG_EUlST_E1_NS1_11comp_targetILNS1_3genE0ELNS1_11target_archE4294967295ELNS1_3gpuE0ELNS1_3repE0EEENS1_36merge_oddeven_config_static_selectorELNS0_4arch9wavefront6targetE0EEEvSF_.numbered_sgpr, 18
	.set _ZN7rocprim17ROCPRIM_400000_NS6detail17trampoline_kernelINS0_14default_configENS1_38merge_sort_block_merge_config_selectorIaNS0_10empty_typeEEEZZNS1_27merge_sort_block_merge_implIS3_PaPS5_jNS1_19radix_merge_compareILb0ELb1EaNS0_19identity_decomposerEEEEE10hipError_tT0_T1_T2_jT3_P12ihipStream_tbPNSt15iterator_traitsISE_E10value_typeEPNSK_ISF_E10value_typeEPSG_NS1_7vsmem_tEENKUlT_SE_SF_SG_E_clIS8_S8_S9_S9_EESD_ST_SE_SF_SG_EUlST_E1_NS1_11comp_targetILNS1_3genE0ELNS1_11target_archE4294967295ELNS1_3gpuE0ELNS1_3repE0EEENS1_36merge_oddeven_config_static_selectorELNS0_4arch9wavefront6targetE0EEEvSF_.num_named_barrier, 0
	.set _ZN7rocprim17ROCPRIM_400000_NS6detail17trampoline_kernelINS0_14default_configENS1_38merge_sort_block_merge_config_selectorIaNS0_10empty_typeEEEZZNS1_27merge_sort_block_merge_implIS3_PaPS5_jNS1_19radix_merge_compareILb0ELb1EaNS0_19identity_decomposerEEEEE10hipError_tT0_T1_T2_jT3_P12ihipStream_tbPNSt15iterator_traitsISE_E10value_typeEPNSK_ISF_E10value_typeEPSG_NS1_7vsmem_tEENKUlT_SE_SF_SG_E_clIS8_S8_S9_S9_EESD_ST_SE_SF_SG_EUlST_E1_NS1_11comp_targetILNS1_3genE0ELNS1_11target_archE4294967295ELNS1_3gpuE0ELNS1_3repE0EEENS1_36merge_oddeven_config_static_selectorELNS0_4arch9wavefront6targetE0EEEvSF_.private_seg_size, 0
	.set _ZN7rocprim17ROCPRIM_400000_NS6detail17trampoline_kernelINS0_14default_configENS1_38merge_sort_block_merge_config_selectorIaNS0_10empty_typeEEEZZNS1_27merge_sort_block_merge_implIS3_PaPS5_jNS1_19radix_merge_compareILb0ELb1EaNS0_19identity_decomposerEEEEE10hipError_tT0_T1_T2_jT3_P12ihipStream_tbPNSt15iterator_traitsISE_E10value_typeEPNSK_ISF_E10value_typeEPSG_NS1_7vsmem_tEENKUlT_SE_SF_SG_E_clIS8_S8_S9_S9_EESD_ST_SE_SF_SG_EUlST_E1_NS1_11comp_targetILNS1_3genE0ELNS1_11target_archE4294967295ELNS1_3gpuE0ELNS1_3repE0EEENS1_36merge_oddeven_config_static_selectorELNS0_4arch9wavefront6targetE0EEEvSF_.uses_vcc, 1
	.set _ZN7rocprim17ROCPRIM_400000_NS6detail17trampoline_kernelINS0_14default_configENS1_38merge_sort_block_merge_config_selectorIaNS0_10empty_typeEEEZZNS1_27merge_sort_block_merge_implIS3_PaPS5_jNS1_19radix_merge_compareILb0ELb1EaNS0_19identity_decomposerEEEEE10hipError_tT0_T1_T2_jT3_P12ihipStream_tbPNSt15iterator_traitsISE_E10value_typeEPNSK_ISF_E10value_typeEPSG_NS1_7vsmem_tEENKUlT_SE_SF_SG_E_clIS8_S8_S9_S9_EESD_ST_SE_SF_SG_EUlST_E1_NS1_11comp_targetILNS1_3genE0ELNS1_11target_archE4294967295ELNS1_3gpuE0ELNS1_3repE0EEENS1_36merge_oddeven_config_static_selectorELNS0_4arch9wavefront6targetE0EEEvSF_.uses_flat_scratch, 0
	.set _ZN7rocprim17ROCPRIM_400000_NS6detail17trampoline_kernelINS0_14default_configENS1_38merge_sort_block_merge_config_selectorIaNS0_10empty_typeEEEZZNS1_27merge_sort_block_merge_implIS3_PaPS5_jNS1_19radix_merge_compareILb0ELb1EaNS0_19identity_decomposerEEEEE10hipError_tT0_T1_T2_jT3_P12ihipStream_tbPNSt15iterator_traitsISE_E10value_typeEPNSK_ISF_E10value_typeEPSG_NS1_7vsmem_tEENKUlT_SE_SF_SG_E_clIS8_S8_S9_S9_EESD_ST_SE_SF_SG_EUlST_E1_NS1_11comp_targetILNS1_3genE0ELNS1_11target_archE4294967295ELNS1_3gpuE0ELNS1_3repE0EEENS1_36merge_oddeven_config_static_selectorELNS0_4arch9wavefront6targetE0EEEvSF_.has_dyn_sized_stack, 0
	.set _ZN7rocprim17ROCPRIM_400000_NS6detail17trampoline_kernelINS0_14default_configENS1_38merge_sort_block_merge_config_selectorIaNS0_10empty_typeEEEZZNS1_27merge_sort_block_merge_implIS3_PaPS5_jNS1_19radix_merge_compareILb0ELb1EaNS0_19identity_decomposerEEEEE10hipError_tT0_T1_T2_jT3_P12ihipStream_tbPNSt15iterator_traitsISE_E10value_typeEPNSK_ISF_E10value_typeEPSG_NS1_7vsmem_tEENKUlT_SE_SF_SG_E_clIS8_S8_S9_S9_EESD_ST_SE_SF_SG_EUlST_E1_NS1_11comp_targetILNS1_3genE0ELNS1_11target_archE4294967295ELNS1_3gpuE0ELNS1_3repE0EEENS1_36merge_oddeven_config_static_selectorELNS0_4arch9wavefront6targetE0EEEvSF_.has_recursion, 0
	.set _ZN7rocprim17ROCPRIM_400000_NS6detail17trampoline_kernelINS0_14default_configENS1_38merge_sort_block_merge_config_selectorIaNS0_10empty_typeEEEZZNS1_27merge_sort_block_merge_implIS3_PaPS5_jNS1_19radix_merge_compareILb0ELb1EaNS0_19identity_decomposerEEEEE10hipError_tT0_T1_T2_jT3_P12ihipStream_tbPNSt15iterator_traitsISE_E10value_typeEPNSK_ISF_E10value_typeEPSG_NS1_7vsmem_tEENKUlT_SE_SF_SG_E_clIS8_S8_S9_S9_EESD_ST_SE_SF_SG_EUlST_E1_NS1_11comp_targetILNS1_3genE0ELNS1_11target_archE4294967295ELNS1_3gpuE0ELNS1_3repE0EEENS1_36merge_oddeven_config_static_selectorELNS0_4arch9wavefront6targetE0EEEvSF_.has_indirect_call, 0
	.section	.AMDGPU.csdata,"",@progbits
; Kernel info:
; codeLenInByte = 696
; TotalNumSgprs: 20
; NumVgprs: 8
; ScratchSize: 0
; MemoryBound: 0
; FloatMode: 240
; IeeeMode: 1
; LDSByteSize: 0 bytes/workgroup (compile time only)
; SGPRBlocks: 0
; VGPRBlocks: 0
; NumSGPRsForWavesPerEU: 20
; NumVGPRsForWavesPerEU: 8
; NamedBarCnt: 0
; Occupancy: 16
; WaveLimiterHint : 0
; COMPUTE_PGM_RSRC2:SCRATCH_EN: 0
; COMPUTE_PGM_RSRC2:USER_SGPR: 2
; COMPUTE_PGM_RSRC2:TRAP_HANDLER: 0
; COMPUTE_PGM_RSRC2:TGID_X_EN: 1
; COMPUTE_PGM_RSRC2:TGID_Y_EN: 0
; COMPUTE_PGM_RSRC2:TGID_Z_EN: 0
; COMPUTE_PGM_RSRC2:TIDIG_COMP_CNT: 0
	.section	.text._ZN7rocprim17ROCPRIM_400000_NS6detail17trampoline_kernelINS0_14default_configENS1_38merge_sort_block_merge_config_selectorIaNS0_10empty_typeEEEZZNS1_27merge_sort_block_merge_implIS3_PaPS5_jNS1_19radix_merge_compareILb0ELb1EaNS0_19identity_decomposerEEEEE10hipError_tT0_T1_T2_jT3_P12ihipStream_tbPNSt15iterator_traitsISE_E10value_typeEPNSK_ISF_E10value_typeEPSG_NS1_7vsmem_tEENKUlT_SE_SF_SG_E_clIS8_S8_S9_S9_EESD_ST_SE_SF_SG_EUlST_E1_NS1_11comp_targetILNS1_3genE10ELNS1_11target_archE1201ELNS1_3gpuE5ELNS1_3repE0EEENS1_36merge_oddeven_config_static_selectorELNS0_4arch9wavefront6targetE0EEEvSF_,"axG",@progbits,_ZN7rocprim17ROCPRIM_400000_NS6detail17trampoline_kernelINS0_14default_configENS1_38merge_sort_block_merge_config_selectorIaNS0_10empty_typeEEEZZNS1_27merge_sort_block_merge_implIS3_PaPS5_jNS1_19radix_merge_compareILb0ELb1EaNS0_19identity_decomposerEEEEE10hipError_tT0_T1_T2_jT3_P12ihipStream_tbPNSt15iterator_traitsISE_E10value_typeEPNSK_ISF_E10value_typeEPSG_NS1_7vsmem_tEENKUlT_SE_SF_SG_E_clIS8_S8_S9_S9_EESD_ST_SE_SF_SG_EUlST_E1_NS1_11comp_targetILNS1_3genE10ELNS1_11target_archE1201ELNS1_3gpuE5ELNS1_3repE0EEENS1_36merge_oddeven_config_static_selectorELNS0_4arch9wavefront6targetE0EEEvSF_,comdat
	.protected	_ZN7rocprim17ROCPRIM_400000_NS6detail17trampoline_kernelINS0_14default_configENS1_38merge_sort_block_merge_config_selectorIaNS0_10empty_typeEEEZZNS1_27merge_sort_block_merge_implIS3_PaPS5_jNS1_19radix_merge_compareILb0ELb1EaNS0_19identity_decomposerEEEEE10hipError_tT0_T1_T2_jT3_P12ihipStream_tbPNSt15iterator_traitsISE_E10value_typeEPNSK_ISF_E10value_typeEPSG_NS1_7vsmem_tEENKUlT_SE_SF_SG_E_clIS8_S8_S9_S9_EESD_ST_SE_SF_SG_EUlST_E1_NS1_11comp_targetILNS1_3genE10ELNS1_11target_archE1201ELNS1_3gpuE5ELNS1_3repE0EEENS1_36merge_oddeven_config_static_selectorELNS0_4arch9wavefront6targetE0EEEvSF_ ; -- Begin function _ZN7rocprim17ROCPRIM_400000_NS6detail17trampoline_kernelINS0_14default_configENS1_38merge_sort_block_merge_config_selectorIaNS0_10empty_typeEEEZZNS1_27merge_sort_block_merge_implIS3_PaPS5_jNS1_19radix_merge_compareILb0ELb1EaNS0_19identity_decomposerEEEEE10hipError_tT0_T1_T2_jT3_P12ihipStream_tbPNSt15iterator_traitsISE_E10value_typeEPNSK_ISF_E10value_typeEPSG_NS1_7vsmem_tEENKUlT_SE_SF_SG_E_clIS8_S8_S9_S9_EESD_ST_SE_SF_SG_EUlST_E1_NS1_11comp_targetILNS1_3genE10ELNS1_11target_archE1201ELNS1_3gpuE5ELNS1_3repE0EEENS1_36merge_oddeven_config_static_selectorELNS0_4arch9wavefront6targetE0EEEvSF_
	.globl	_ZN7rocprim17ROCPRIM_400000_NS6detail17trampoline_kernelINS0_14default_configENS1_38merge_sort_block_merge_config_selectorIaNS0_10empty_typeEEEZZNS1_27merge_sort_block_merge_implIS3_PaPS5_jNS1_19radix_merge_compareILb0ELb1EaNS0_19identity_decomposerEEEEE10hipError_tT0_T1_T2_jT3_P12ihipStream_tbPNSt15iterator_traitsISE_E10value_typeEPNSK_ISF_E10value_typeEPSG_NS1_7vsmem_tEENKUlT_SE_SF_SG_E_clIS8_S8_S9_S9_EESD_ST_SE_SF_SG_EUlST_E1_NS1_11comp_targetILNS1_3genE10ELNS1_11target_archE1201ELNS1_3gpuE5ELNS1_3repE0EEENS1_36merge_oddeven_config_static_selectorELNS0_4arch9wavefront6targetE0EEEvSF_
	.p2align	8
	.type	_ZN7rocprim17ROCPRIM_400000_NS6detail17trampoline_kernelINS0_14default_configENS1_38merge_sort_block_merge_config_selectorIaNS0_10empty_typeEEEZZNS1_27merge_sort_block_merge_implIS3_PaPS5_jNS1_19radix_merge_compareILb0ELb1EaNS0_19identity_decomposerEEEEE10hipError_tT0_T1_T2_jT3_P12ihipStream_tbPNSt15iterator_traitsISE_E10value_typeEPNSK_ISF_E10value_typeEPSG_NS1_7vsmem_tEENKUlT_SE_SF_SG_E_clIS8_S8_S9_S9_EESD_ST_SE_SF_SG_EUlST_E1_NS1_11comp_targetILNS1_3genE10ELNS1_11target_archE1201ELNS1_3gpuE5ELNS1_3repE0EEENS1_36merge_oddeven_config_static_selectorELNS0_4arch9wavefront6targetE0EEEvSF_,@function
_ZN7rocprim17ROCPRIM_400000_NS6detail17trampoline_kernelINS0_14default_configENS1_38merge_sort_block_merge_config_selectorIaNS0_10empty_typeEEEZZNS1_27merge_sort_block_merge_implIS3_PaPS5_jNS1_19radix_merge_compareILb0ELb1EaNS0_19identity_decomposerEEEEE10hipError_tT0_T1_T2_jT3_P12ihipStream_tbPNSt15iterator_traitsISE_E10value_typeEPNSK_ISF_E10value_typeEPSG_NS1_7vsmem_tEENKUlT_SE_SF_SG_E_clIS8_S8_S9_S9_EESD_ST_SE_SF_SG_EUlST_E1_NS1_11comp_targetILNS1_3genE10ELNS1_11target_archE1201ELNS1_3gpuE5ELNS1_3repE0EEENS1_36merge_oddeven_config_static_selectorELNS0_4arch9wavefront6targetE0EEEvSF_: ; @_ZN7rocprim17ROCPRIM_400000_NS6detail17trampoline_kernelINS0_14default_configENS1_38merge_sort_block_merge_config_selectorIaNS0_10empty_typeEEEZZNS1_27merge_sort_block_merge_implIS3_PaPS5_jNS1_19radix_merge_compareILb0ELb1EaNS0_19identity_decomposerEEEEE10hipError_tT0_T1_T2_jT3_P12ihipStream_tbPNSt15iterator_traitsISE_E10value_typeEPNSK_ISF_E10value_typeEPSG_NS1_7vsmem_tEENKUlT_SE_SF_SG_E_clIS8_S8_S9_S9_EESD_ST_SE_SF_SG_EUlST_E1_NS1_11comp_targetILNS1_3genE10ELNS1_11target_archE1201ELNS1_3gpuE5ELNS1_3repE0EEENS1_36merge_oddeven_config_static_selectorELNS0_4arch9wavefront6targetE0EEEvSF_
; %bb.0:
	.section	.rodata,"a",@progbits
	.p2align	6, 0x0
	.amdhsa_kernel _ZN7rocprim17ROCPRIM_400000_NS6detail17trampoline_kernelINS0_14default_configENS1_38merge_sort_block_merge_config_selectorIaNS0_10empty_typeEEEZZNS1_27merge_sort_block_merge_implIS3_PaPS5_jNS1_19radix_merge_compareILb0ELb1EaNS0_19identity_decomposerEEEEE10hipError_tT0_T1_T2_jT3_P12ihipStream_tbPNSt15iterator_traitsISE_E10value_typeEPNSK_ISF_E10value_typeEPSG_NS1_7vsmem_tEENKUlT_SE_SF_SG_E_clIS8_S8_S9_S9_EESD_ST_SE_SF_SG_EUlST_E1_NS1_11comp_targetILNS1_3genE10ELNS1_11target_archE1201ELNS1_3gpuE5ELNS1_3repE0EEENS1_36merge_oddeven_config_static_selectorELNS0_4arch9wavefront6targetE0EEEvSF_
		.amdhsa_group_segment_fixed_size 0
		.amdhsa_private_segment_fixed_size 0
		.amdhsa_kernarg_size 48
		.amdhsa_user_sgpr_count 2
		.amdhsa_user_sgpr_dispatch_ptr 0
		.amdhsa_user_sgpr_queue_ptr 0
		.amdhsa_user_sgpr_kernarg_segment_ptr 1
		.amdhsa_user_sgpr_dispatch_id 0
		.amdhsa_user_sgpr_kernarg_preload_length 0
		.amdhsa_user_sgpr_kernarg_preload_offset 0
		.amdhsa_user_sgpr_private_segment_size 0
		.amdhsa_wavefront_size32 1
		.amdhsa_uses_dynamic_stack 0
		.amdhsa_enable_private_segment 0
		.amdhsa_system_sgpr_workgroup_id_x 1
		.amdhsa_system_sgpr_workgroup_id_y 0
		.amdhsa_system_sgpr_workgroup_id_z 0
		.amdhsa_system_sgpr_workgroup_info 0
		.amdhsa_system_vgpr_workitem_id 0
		.amdhsa_next_free_vgpr 1
		.amdhsa_next_free_sgpr 1
		.amdhsa_named_barrier_count 0
		.amdhsa_reserve_vcc 0
		.amdhsa_float_round_mode_32 0
		.amdhsa_float_round_mode_16_64 0
		.amdhsa_float_denorm_mode_32 3
		.amdhsa_float_denorm_mode_16_64 3
		.amdhsa_fp16_overflow 0
		.amdhsa_memory_ordered 1
		.amdhsa_forward_progress 1
		.amdhsa_inst_pref_size 0
		.amdhsa_round_robin_scheduling 0
		.amdhsa_exception_fp_ieee_invalid_op 0
		.amdhsa_exception_fp_denorm_src 0
		.amdhsa_exception_fp_ieee_div_zero 0
		.amdhsa_exception_fp_ieee_overflow 0
		.amdhsa_exception_fp_ieee_underflow 0
		.amdhsa_exception_fp_ieee_inexact 0
		.amdhsa_exception_int_div_zero 0
	.end_amdhsa_kernel
	.section	.text._ZN7rocprim17ROCPRIM_400000_NS6detail17trampoline_kernelINS0_14default_configENS1_38merge_sort_block_merge_config_selectorIaNS0_10empty_typeEEEZZNS1_27merge_sort_block_merge_implIS3_PaPS5_jNS1_19radix_merge_compareILb0ELb1EaNS0_19identity_decomposerEEEEE10hipError_tT0_T1_T2_jT3_P12ihipStream_tbPNSt15iterator_traitsISE_E10value_typeEPNSK_ISF_E10value_typeEPSG_NS1_7vsmem_tEENKUlT_SE_SF_SG_E_clIS8_S8_S9_S9_EESD_ST_SE_SF_SG_EUlST_E1_NS1_11comp_targetILNS1_3genE10ELNS1_11target_archE1201ELNS1_3gpuE5ELNS1_3repE0EEENS1_36merge_oddeven_config_static_selectorELNS0_4arch9wavefront6targetE0EEEvSF_,"axG",@progbits,_ZN7rocprim17ROCPRIM_400000_NS6detail17trampoline_kernelINS0_14default_configENS1_38merge_sort_block_merge_config_selectorIaNS0_10empty_typeEEEZZNS1_27merge_sort_block_merge_implIS3_PaPS5_jNS1_19radix_merge_compareILb0ELb1EaNS0_19identity_decomposerEEEEE10hipError_tT0_T1_T2_jT3_P12ihipStream_tbPNSt15iterator_traitsISE_E10value_typeEPNSK_ISF_E10value_typeEPSG_NS1_7vsmem_tEENKUlT_SE_SF_SG_E_clIS8_S8_S9_S9_EESD_ST_SE_SF_SG_EUlST_E1_NS1_11comp_targetILNS1_3genE10ELNS1_11target_archE1201ELNS1_3gpuE5ELNS1_3repE0EEENS1_36merge_oddeven_config_static_selectorELNS0_4arch9wavefront6targetE0EEEvSF_,comdat
.Lfunc_end441:
	.size	_ZN7rocprim17ROCPRIM_400000_NS6detail17trampoline_kernelINS0_14default_configENS1_38merge_sort_block_merge_config_selectorIaNS0_10empty_typeEEEZZNS1_27merge_sort_block_merge_implIS3_PaPS5_jNS1_19radix_merge_compareILb0ELb1EaNS0_19identity_decomposerEEEEE10hipError_tT0_T1_T2_jT3_P12ihipStream_tbPNSt15iterator_traitsISE_E10value_typeEPNSK_ISF_E10value_typeEPSG_NS1_7vsmem_tEENKUlT_SE_SF_SG_E_clIS8_S8_S9_S9_EESD_ST_SE_SF_SG_EUlST_E1_NS1_11comp_targetILNS1_3genE10ELNS1_11target_archE1201ELNS1_3gpuE5ELNS1_3repE0EEENS1_36merge_oddeven_config_static_selectorELNS0_4arch9wavefront6targetE0EEEvSF_, .Lfunc_end441-_ZN7rocprim17ROCPRIM_400000_NS6detail17trampoline_kernelINS0_14default_configENS1_38merge_sort_block_merge_config_selectorIaNS0_10empty_typeEEEZZNS1_27merge_sort_block_merge_implIS3_PaPS5_jNS1_19radix_merge_compareILb0ELb1EaNS0_19identity_decomposerEEEEE10hipError_tT0_T1_T2_jT3_P12ihipStream_tbPNSt15iterator_traitsISE_E10value_typeEPNSK_ISF_E10value_typeEPSG_NS1_7vsmem_tEENKUlT_SE_SF_SG_E_clIS8_S8_S9_S9_EESD_ST_SE_SF_SG_EUlST_E1_NS1_11comp_targetILNS1_3genE10ELNS1_11target_archE1201ELNS1_3gpuE5ELNS1_3repE0EEENS1_36merge_oddeven_config_static_selectorELNS0_4arch9wavefront6targetE0EEEvSF_
                                        ; -- End function
	.set _ZN7rocprim17ROCPRIM_400000_NS6detail17trampoline_kernelINS0_14default_configENS1_38merge_sort_block_merge_config_selectorIaNS0_10empty_typeEEEZZNS1_27merge_sort_block_merge_implIS3_PaPS5_jNS1_19radix_merge_compareILb0ELb1EaNS0_19identity_decomposerEEEEE10hipError_tT0_T1_T2_jT3_P12ihipStream_tbPNSt15iterator_traitsISE_E10value_typeEPNSK_ISF_E10value_typeEPSG_NS1_7vsmem_tEENKUlT_SE_SF_SG_E_clIS8_S8_S9_S9_EESD_ST_SE_SF_SG_EUlST_E1_NS1_11comp_targetILNS1_3genE10ELNS1_11target_archE1201ELNS1_3gpuE5ELNS1_3repE0EEENS1_36merge_oddeven_config_static_selectorELNS0_4arch9wavefront6targetE0EEEvSF_.num_vgpr, 0
	.set _ZN7rocprim17ROCPRIM_400000_NS6detail17trampoline_kernelINS0_14default_configENS1_38merge_sort_block_merge_config_selectorIaNS0_10empty_typeEEEZZNS1_27merge_sort_block_merge_implIS3_PaPS5_jNS1_19radix_merge_compareILb0ELb1EaNS0_19identity_decomposerEEEEE10hipError_tT0_T1_T2_jT3_P12ihipStream_tbPNSt15iterator_traitsISE_E10value_typeEPNSK_ISF_E10value_typeEPSG_NS1_7vsmem_tEENKUlT_SE_SF_SG_E_clIS8_S8_S9_S9_EESD_ST_SE_SF_SG_EUlST_E1_NS1_11comp_targetILNS1_3genE10ELNS1_11target_archE1201ELNS1_3gpuE5ELNS1_3repE0EEENS1_36merge_oddeven_config_static_selectorELNS0_4arch9wavefront6targetE0EEEvSF_.num_agpr, 0
	.set _ZN7rocprim17ROCPRIM_400000_NS6detail17trampoline_kernelINS0_14default_configENS1_38merge_sort_block_merge_config_selectorIaNS0_10empty_typeEEEZZNS1_27merge_sort_block_merge_implIS3_PaPS5_jNS1_19radix_merge_compareILb0ELb1EaNS0_19identity_decomposerEEEEE10hipError_tT0_T1_T2_jT3_P12ihipStream_tbPNSt15iterator_traitsISE_E10value_typeEPNSK_ISF_E10value_typeEPSG_NS1_7vsmem_tEENKUlT_SE_SF_SG_E_clIS8_S8_S9_S9_EESD_ST_SE_SF_SG_EUlST_E1_NS1_11comp_targetILNS1_3genE10ELNS1_11target_archE1201ELNS1_3gpuE5ELNS1_3repE0EEENS1_36merge_oddeven_config_static_selectorELNS0_4arch9wavefront6targetE0EEEvSF_.numbered_sgpr, 0
	.set _ZN7rocprim17ROCPRIM_400000_NS6detail17trampoline_kernelINS0_14default_configENS1_38merge_sort_block_merge_config_selectorIaNS0_10empty_typeEEEZZNS1_27merge_sort_block_merge_implIS3_PaPS5_jNS1_19radix_merge_compareILb0ELb1EaNS0_19identity_decomposerEEEEE10hipError_tT0_T1_T2_jT3_P12ihipStream_tbPNSt15iterator_traitsISE_E10value_typeEPNSK_ISF_E10value_typeEPSG_NS1_7vsmem_tEENKUlT_SE_SF_SG_E_clIS8_S8_S9_S9_EESD_ST_SE_SF_SG_EUlST_E1_NS1_11comp_targetILNS1_3genE10ELNS1_11target_archE1201ELNS1_3gpuE5ELNS1_3repE0EEENS1_36merge_oddeven_config_static_selectorELNS0_4arch9wavefront6targetE0EEEvSF_.num_named_barrier, 0
	.set _ZN7rocprim17ROCPRIM_400000_NS6detail17trampoline_kernelINS0_14default_configENS1_38merge_sort_block_merge_config_selectorIaNS0_10empty_typeEEEZZNS1_27merge_sort_block_merge_implIS3_PaPS5_jNS1_19radix_merge_compareILb0ELb1EaNS0_19identity_decomposerEEEEE10hipError_tT0_T1_T2_jT3_P12ihipStream_tbPNSt15iterator_traitsISE_E10value_typeEPNSK_ISF_E10value_typeEPSG_NS1_7vsmem_tEENKUlT_SE_SF_SG_E_clIS8_S8_S9_S9_EESD_ST_SE_SF_SG_EUlST_E1_NS1_11comp_targetILNS1_3genE10ELNS1_11target_archE1201ELNS1_3gpuE5ELNS1_3repE0EEENS1_36merge_oddeven_config_static_selectorELNS0_4arch9wavefront6targetE0EEEvSF_.private_seg_size, 0
	.set _ZN7rocprim17ROCPRIM_400000_NS6detail17trampoline_kernelINS0_14default_configENS1_38merge_sort_block_merge_config_selectorIaNS0_10empty_typeEEEZZNS1_27merge_sort_block_merge_implIS3_PaPS5_jNS1_19radix_merge_compareILb0ELb1EaNS0_19identity_decomposerEEEEE10hipError_tT0_T1_T2_jT3_P12ihipStream_tbPNSt15iterator_traitsISE_E10value_typeEPNSK_ISF_E10value_typeEPSG_NS1_7vsmem_tEENKUlT_SE_SF_SG_E_clIS8_S8_S9_S9_EESD_ST_SE_SF_SG_EUlST_E1_NS1_11comp_targetILNS1_3genE10ELNS1_11target_archE1201ELNS1_3gpuE5ELNS1_3repE0EEENS1_36merge_oddeven_config_static_selectorELNS0_4arch9wavefront6targetE0EEEvSF_.uses_vcc, 0
	.set _ZN7rocprim17ROCPRIM_400000_NS6detail17trampoline_kernelINS0_14default_configENS1_38merge_sort_block_merge_config_selectorIaNS0_10empty_typeEEEZZNS1_27merge_sort_block_merge_implIS3_PaPS5_jNS1_19radix_merge_compareILb0ELb1EaNS0_19identity_decomposerEEEEE10hipError_tT0_T1_T2_jT3_P12ihipStream_tbPNSt15iterator_traitsISE_E10value_typeEPNSK_ISF_E10value_typeEPSG_NS1_7vsmem_tEENKUlT_SE_SF_SG_E_clIS8_S8_S9_S9_EESD_ST_SE_SF_SG_EUlST_E1_NS1_11comp_targetILNS1_3genE10ELNS1_11target_archE1201ELNS1_3gpuE5ELNS1_3repE0EEENS1_36merge_oddeven_config_static_selectorELNS0_4arch9wavefront6targetE0EEEvSF_.uses_flat_scratch, 0
	.set _ZN7rocprim17ROCPRIM_400000_NS6detail17trampoline_kernelINS0_14default_configENS1_38merge_sort_block_merge_config_selectorIaNS0_10empty_typeEEEZZNS1_27merge_sort_block_merge_implIS3_PaPS5_jNS1_19radix_merge_compareILb0ELb1EaNS0_19identity_decomposerEEEEE10hipError_tT0_T1_T2_jT3_P12ihipStream_tbPNSt15iterator_traitsISE_E10value_typeEPNSK_ISF_E10value_typeEPSG_NS1_7vsmem_tEENKUlT_SE_SF_SG_E_clIS8_S8_S9_S9_EESD_ST_SE_SF_SG_EUlST_E1_NS1_11comp_targetILNS1_3genE10ELNS1_11target_archE1201ELNS1_3gpuE5ELNS1_3repE0EEENS1_36merge_oddeven_config_static_selectorELNS0_4arch9wavefront6targetE0EEEvSF_.has_dyn_sized_stack, 0
	.set _ZN7rocprim17ROCPRIM_400000_NS6detail17trampoline_kernelINS0_14default_configENS1_38merge_sort_block_merge_config_selectorIaNS0_10empty_typeEEEZZNS1_27merge_sort_block_merge_implIS3_PaPS5_jNS1_19radix_merge_compareILb0ELb1EaNS0_19identity_decomposerEEEEE10hipError_tT0_T1_T2_jT3_P12ihipStream_tbPNSt15iterator_traitsISE_E10value_typeEPNSK_ISF_E10value_typeEPSG_NS1_7vsmem_tEENKUlT_SE_SF_SG_E_clIS8_S8_S9_S9_EESD_ST_SE_SF_SG_EUlST_E1_NS1_11comp_targetILNS1_3genE10ELNS1_11target_archE1201ELNS1_3gpuE5ELNS1_3repE0EEENS1_36merge_oddeven_config_static_selectorELNS0_4arch9wavefront6targetE0EEEvSF_.has_recursion, 0
	.set _ZN7rocprim17ROCPRIM_400000_NS6detail17trampoline_kernelINS0_14default_configENS1_38merge_sort_block_merge_config_selectorIaNS0_10empty_typeEEEZZNS1_27merge_sort_block_merge_implIS3_PaPS5_jNS1_19radix_merge_compareILb0ELb1EaNS0_19identity_decomposerEEEEE10hipError_tT0_T1_T2_jT3_P12ihipStream_tbPNSt15iterator_traitsISE_E10value_typeEPNSK_ISF_E10value_typeEPSG_NS1_7vsmem_tEENKUlT_SE_SF_SG_E_clIS8_S8_S9_S9_EESD_ST_SE_SF_SG_EUlST_E1_NS1_11comp_targetILNS1_3genE10ELNS1_11target_archE1201ELNS1_3gpuE5ELNS1_3repE0EEENS1_36merge_oddeven_config_static_selectorELNS0_4arch9wavefront6targetE0EEEvSF_.has_indirect_call, 0
	.section	.AMDGPU.csdata,"",@progbits
; Kernel info:
; codeLenInByte = 0
; TotalNumSgprs: 0
; NumVgprs: 0
; ScratchSize: 0
; MemoryBound: 0
; FloatMode: 240
; IeeeMode: 1
; LDSByteSize: 0 bytes/workgroup (compile time only)
; SGPRBlocks: 0
; VGPRBlocks: 0
; NumSGPRsForWavesPerEU: 1
; NumVGPRsForWavesPerEU: 1
; NamedBarCnt: 0
; Occupancy: 16
; WaveLimiterHint : 0
; COMPUTE_PGM_RSRC2:SCRATCH_EN: 0
; COMPUTE_PGM_RSRC2:USER_SGPR: 2
; COMPUTE_PGM_RSRC2:TRAP_HANDLER: 0
; COMPUTE_PGM_RSRC2:TGID_X_EN: 1
; COMPUTE_PGM_RSRC2:TGID_Y_EN: 0
; COMPUTE_PGM_RSRC2:TGID_Z_EN: 0
; COMPUTE_PGM_RSRC2:TIDIG_COMP_CNT: 0
	.section	.text._ZN7rocprim17ROCPRIM_400000_NS6detail17trampoline_kernelINS0_14default_configENS1_38merge_sort_block_merge_config_selectorIaNS0_10empty_typeEEEZZNS1_27merge_sort_block_merge_implIS3_PaPS5_jNS1_19radix_merge_compareILb0ELb1EaNS0_19identity_decomposerEEEEE10hipError_tT0_T1_T2_jT3_P12ihipStream_tbPNSt15iterator_traitsISE_E10value_typeEPNSK_ISF_E10value_typeEPSG_NS1_7vsmem_tEENKUlT_SE_SF_SG_E_clIS8_S8_S9_S9_EESD_ST_SE_SF_SG_EUlST_E1_NS1_11comp_targetILNS1_3genE5ELNS1_11target_archE942ELNS1_3gpuE9ELNS1_3repE0EEENS1_36merge_oddeven_config_static_selectorELNS0_4arch9wavefront6targetE0EEEvSF_,"axG",@progbits,_ZN7rocprim17ROCPRIM_400000_NS6detail17trampoline_kernelINS0_14default_configENS1_38merge_sort_block_merge_config_selectorIaNS0_10empty_typeEEEZZNS1_27merge_sort_block_merge_implIS3_PaPS5_jNS1_19radix_merge_compareILb0ELb1EaNS0_19identity_decomposerEEEEE10hipError_tT0_T1_T2_jT3_P12ihipStream_tbPNSt15iterator_traitsISE_E10value_typeEPNSK_ISF_E10value_typeEPSG_NS1_7vsmem_tEENKUlT_SE_SF_SG_E_clIS8_S8_S9_S9_EESD_ST_SE_SF_SG_EUlST_E1_NS1_11comp_targetILNS1_3genE5ELNS1_11target_archE942ELNS1_3gpuE9ELNS1_3repE0EEENS1_36merge_oddeven_config_static_selectorELNS0_4arch9wavefront6targetE0EEEvSF_,comdat
	.protected	_ZN7rocprim17ROCPRIM_400000_NS6detail17trampoline_kernelINS0_14default_configENS1_38merge_sort_block_merge_config_selectorIaNS0_10empty_typeEEEZZNS1_27merge_sort_block_merge_implIS3_PaPS5_jNS1_19radix_merge_compareILb0ELb1EaNS0_19identity_decomposerEEEEE10hipError_tT0_T1_T2_jT3_P12ihipStream_tbPNSt15iterator_traitsISE_E10value_typeEPNSK_ISF_E10value_typeEPSG_NS1_7vsmem_tEENKUlT_SE_SF_SG_E_clIS8_S8_S9_S9_EESD_ST_SE_SF_SG_EUlST_E1_NS1_11comp_targetILNS1_3genE5ELNS1_11target_archE942ELNS1_3gpuE9ELNS1_3repE0EEENS1_36merge_oddeven_config_static_selectorELNS0_4arch9wavefront6targetE0EEEvSF_ ; -- Begin function _ZN7rocprim17ROCPRIM_400000_NS6detail17trampoline_kernelINS0_14default_configENS1_38merge_sort_block_merge_config_selectorIaNS0_10empty_typeEEEZZNS1_27merge_sort_block_merge_implIS3_PaPS5_jNS1_19radix_merge_compareILb0ELb1EaNS0_19identity_decomposerEEEEE10hipError_tT0_T1_T2_jT3_P12ihipStream_tbPNSt15iterator_traitsISE_E10value_typeEPNSK_ISF_E10value_typeEPSG_NS1_7vsmem_tEENKUlT_SE_SF_SG_E_clIS8_S8_S9_S9_EESD_ST_SE_SF_SG_EUlST_E1_NS1_11comp_targetILNS1_3genE5ELNS1_11target_archE942ELNS1_3gpuE9ELNS1_3repE0EEENS1_36merge_oddeven_config_static_selectorELNS0_4arch9wavefront6targetE0EEEvSF_
	.globl	_ZN7rocprim17ROCPRIM_400000_NS6detail17trampoline_kernelINS0_14default_configENS1_38merge_sort_block_merge_config_selectorIaNS0_10empty_typeEEEZZNS1_27merge_sort_block_merge_implIS3_PaPS5_jNS1_19radix_merge_compareILb0ELb1EaNS0_19identity_decomposerEEEEE10hipError_tT0_T1_T2_jT3_P12ihipStream_tbPNSt15iterator_traitsISE_E10value_typeEPNSK_ISF_E10value_typeEPSG_NS1_7vsmem_tEENKUlT_SE_SF_SG_E_clIS8_S8_S9_S9_EESD_ST_SE_SF_SG_EUlST_E1_NS1_11comp_targetILNS1_3genE5ELNS1_11target_archE942ELNS1_3gpuE9ELNS1_3repE0EEENS1_36merge_oddeven_config_static_selectorELNS0_4arch9wavefront6targetE0EEEvSF_
	.p2align	8
	.type	_ZN7rocprim17ROCPRIM_400000_NS6detail17trampoline_kernelINS0_14default_configENS1_38merge_sort_block_merge_config_selectorIaNS0_10empty_typeEEEZZNS1_27merge_sort_block_merge_implIS3_PaPS5_jNS1_19radix_merge_compareILb0ELb1EaNS0_19identity_decomposerEEEEE10hipError_tT0_T1_T2_jT3_P12ihipStream_tbPNSt15iterator_traitsISE_E10value_typeEPNSK_ISF_E10value_typeEPSG_NS1_7vsmem_tEENKUlT_SE_SF_SG_E_clIS8_S8_S9_S9_EESD_ST_SE_SF_SG_EUlST_E1_NS1_11comp_targetILNS1_3genE5ELNS1_11target_archE942ELNS1_3gpuE9ELNS1_3repE0EEENS1_36merge_oddeven_config_static_selectorELNS0_4arch9wavefront6targetE0EEEvSF_,@function
_ZN7rocprim17ROCPRIM_400000_NS6detail17trampoline_kernelINS0_14default_configENS1_38merge_sort_block_merge_config_selectorIaNS0_10empty_typeEEEZZNS1_27merge_sort_block_merge_implIS3_PaPS5_jNS1_19radix_merge_compareILb0ELb1EaNS0_19identity_decomposerEEEEE10hipError_tT0_T1_T2_jT3_P12ihipStream_tbPNSt15iterator_traitsISE_E10value_typeEPNSK_ISF_E10value_typeEPSG_NS1_7vsmem_tEENKUlT_SE_SF_SG_E_clIS8_S8_S9_S9_EESD_ST_SE_SF_SG_EUlST_E1_NS1_11comp_targetILNS1_3genE5ELNS1_11target_archE942ELNS1_3gpuE9ELNS1_3repE0EEENS1_36merge_oddeven_config_static_selectorELNS0_4arch9wavefront6targetE0EEEvSF_: ; @_ZN7rocprim17ROCPRIM_400000_NS6detail17trampoline_kernelINS0_14default_configENS1_38merge_sort_block_merge_config_selectorIaNS0_10empty_typeEEEZZNS1_27merge_sort_block_merge_implIS3_PaPS5_jNS1_19radix_merge_compareILb0ELb1EaNS0_19identity_decomposerEEEEE10hipError_tT0_T1_T2_jT3_P12ihipStream_tbPNSt15iterator_traitsISE_E10value_typeEPNSK_ISF_E10value_typeEPSG_NS1_7vsmem_tEENKUlT_SE_SF_SG_E_clIS8_S8_S9_S9_EESD_ST_SE_SF_SG_EUlST_E1_NS1_11comp_targetILNS1_3genE5ELNS1_11target_archE942ELNS1_3gpuE9ELNS1_3repE0EEENS1_36merge_oddeven_config_static_selectorELNS0_4arch9wavefront6targetE0EEEvSF_
; %bb.0:
	.section	.rodata,"a",@progbits
	.p2align	6, 0x0
	.amdhsa_kernel _ZN7rocprim17ROCPRIM_400000_NS6detail17trampoline_kernelINS0_14default_configENS1_38merge_sort_block_merge_config_selectorIaNS0_10empty_typeEEEZZNS1_27merge_sort_block_merge_implIS3_PaPS5_jNS1_19radix_merge_compareILb0ELb1EaNS0_19identity_decomposerEEEEE10hipError_tT0_T1_T2_jT3_P12ihipStream_tbPNSt15iterator_traitsISE_E10value_typeEPNSK_ISF_E10value_typeEPSG_NS1_7vsmem_tEENKUlT_SE_SF_SG_E_clIS8_S8_S9_S9_EESD_ST_SE_SF_SG_EUlST_E1_NS1_11comp_targetILNS1_3genE5ELNS1_11target_archE942ELNS1_3gpuE9ELNS1_3repE0EEENS1_36merge_oddeven_config_static_selectorELNS0_4arch9wavefront6targetE0EEEvSF_
		.amdhsa_group_segment_fixed_size 0
		.amdhsa_private_segment_fixed_size 0
		.amdhsa_kernarg_size 48
		.amdhsa_user_sgpr_count 2
		.amdhsa_user_sgpr_dispatch_ptr 0
		.amdhsa_user_sgpr_queue_ptr 0
		.amdhsa_user_sgpr_kernarg_segment_ptr 1
		.amdhsa_user_sgpr_dispatch_id 0
		.amdhsa_user_sgpr_kernarg_preload_length 0
		.amdhsa_user_sgpr_kernarg_preload_offset 0
		.amdhsa_user_sgpr_private_segment_size 0
		.amdhsa_wavefront_size32 1
		.amdhsa_uses_dynamic_stack 0
		.amdhsa_enable_private_segment 0
		.amdhsa_system_sgpr_workgroup_id_x 1
		.amdhsa_system_sgpr_workgroup_id_y 0
		.amdhsa_system_sgpr_workgroup_id_z 0
		.amdhsa_system_sgpr_workgroup_info 0
		.amdhsa_system_vgpr_workitem_id 0
		.amdhsa_next_free_vgpr 1
		.amdhsa_next_free_sgpr 1
		.amdhsa_named_barrier_count 0
		.amdhsa_reserve_vcc 0
		.amdhsa_float_round_mode_32 0
		.amdhsa_float_round_mode_16_64 0
		.amdhsa_float_denorm_mode_32 3
		.amdhsa_float_denorm_mode_16_64 3
		.amdhsa_fp16_overflow 0
		.amdhsa_memory_ordered 1
		.amdhsa_forward_progress 1
		.amdhsa_inst_pref_size 0
		.amdhsa_round_robin_scheduling 0
		.amdhsa_exception_fp_ieee_invalid_op 0
		.amdhsa_exception_fp_denorm_src 0
		.amdhsa_exception_fp_ieee_div_zero 0
		.amdhsa_exception_fp_ieee_overflow 0
		.amdhsa_exception_fp_ieee_underflow 0
		.amdhsa_exception_fp_ieee_inexact 0
		.amdhsa_exception_int_div_zero 0
	.end_amdhsa_kernel
	.section	.text._ZN7rocprim17ROCPRIM_400000_NS6detail17trampoline_kernelINS0_14default_configENS1_38merge_sort_block_merge_config_selectorIaNS0_10empty_typeEEEZZNS1_27merge_sort_block_merge_implIS3_PaPS5_jNS1_19radix_merge_compareILb0ELb1EaNS0_19identity_decomposerEEEEE10hipError_tT0_T1_T2_jT3_P12ihipStream_tbPNSt15iterator_traitsISE_E10value_typeEPNSK_ISF_E10value_typeEPSG_NS1_7vsmem_tEENKUlT_SE_SF_SG_E_clIS8_S8_S9_S9_EESD_ST_SE_SF_SG_EUlST_E1_NS1_11comp_targetILNS1_3genE5ELNS1_11target_archE942ELNS1_3gpuE9ELNS1_3repE0EEENS1_36merge_oddeven_config_static_selectorELNS0_4arch9wavefront6targetE0EEEvSF_,"axG",@progbits,_ZN7rocprim17ROCPRIM_400000_NS6detail17trampoline_kernelINS0_14default_configENS1_38merge_sort_block_merge_config_selectorIaNS0_10empty_typeEEEZZNS1_27merge_sort_block_merge_implIS3_PaPS5_jNS1_19radix_merge_compareILb0ELb1EaNS0_19identity_decomposerEEEEE10hipError_tT0_T1_T2_jT3_P12ihipStream_tbPNSt15iterator_traitsISE_E10value_typeEPNSK_ISF_E10value_typeEPSG_NS1_7vsmem_tEENKUlT_SE_SF_SG_E_clIS8_S8_S9_S9_EESD_ST_SE_SF_SG_EUlST_E1_NS1_11comp_targetILNS1_3genE5ELNS1_11target_archE942ELNS1_3gpuE9ELNS1_3repE0EEENS1_36merge_oddeven_config_static_selectorELNS0_4arch9wavefront6targetE0EEEvSF_,comdat
.Lfunc_end442:
	.size	_ZN7rocprim17ROCPRIM_400000_NS6detail17trampoline_kernelINS0_14default_configENS1_38merge_sort_block_merge_config_selectorIaNS0_10empty_typeEEEZZNS1_27merge_sort_block_merge_implIS3_PaPS5_jNS1_19radix_merge_compareILb0ELb1EaNS0_19identity_decomposerEEEEE10hipError_tT0_T1_T2_jT3_P12ihipStream_tbPNSt15iterator_traitsISE_E10value_typeEPNSK_ISF_E10value_typeEPSG_NS1_7vsmem_tEENKUlT_SE_SF_SG_E_clIS8_S8_S9_S9_EESD_ST_SE_SF_SG_EUlST_E1_NS1_11comp_targetILNS1_3genE5ELNS1_11target_archE942ELNS1_3gpuE9ELNS1_3repE0EEENS1_36merge_oddeven_config_static_selectorELNS0_4arch9wavefront6targetE0EEEvSF_, .Lfunc_end442-_ZN7rocprim17ROCPRIM_400000_NS6detail17trampoline_kernelINS0_14default_configENS1_38merge_sort_block_merge_config_selectorIaNS0_10empty_typeEEEZZNS1_27merge_sort_block_merge_implIS3_PaPS5_jNS1_19radix_merge_compareILb0ELb1EaNS0_19identity_decomposerEEEEE10hipError_tT0_T1_T2_jT3_P12ihipStream_tbPNSt15iterator_traitsISE_E10value_typeEPNSK_ISF_E10value_typeEPSG_NS1_7vsmem_tEENKUlT_SE_SF_SG_E_clIS8_S8_S9_S9_EESD_ST_SE_SF_SG_EUlST_E1_NS1_11comp_targetILNS1_3genE5ELNS1_11target_archE942ELNS1_3gpuE9ELNS1_3repE0EEENS1_36merge_oddeven_config_static_selectorELNS0_4arch9wavefront6targetE0EEEvSF_
                                        ; -- End function
	.set _ZN7rocprim17ROCPRIM_400000_NS6detail17trampoline_kernelINS0_14default_configENS1_38merge_sort_block_merge_config_selectorIaNS0_10empty_typeEEEZZNS1_27merge_sort_block_merge_implIS3_PaPS5_jNS1_19radix_merge_compareILb0ELb1EaNS0_19identity_decomposerEEEEE10hipError_tT0_T1_T2_jT3_P12ihipStream_tbPNSt15iterator_traitsISE_E10value_typeEPNSK_ISF_E10value_typeEPSG_NS1_7vsmem_tEENKUlT_SE_SF_SG_E_clIS8_S8_S9_S9_EESD_ST_SE_SF_SG_EUlST_E1_NS1_11comp_targetILNS1_3genE5ELNS1_11target_archE942ELNS1_3gpuE9ELNS1_3repE0EEENS1_36merge_oddeven_config_static_selectorELNS0_4arch9wavefront6targetE0EEEvSF_.num_vgpr, 0
	.set _ZN7rocprim17ROCPRIM_400000_NS6detail17trampoline_kernelINS0_14default_configENS1_38merge_sort_block_merge_config_selectorIaNS0_10empty_typeEEEZZNS1_27merge_sort_block_merge_implIS3_PaPS5_jNS1_19radix_merge_compareILb0ELb1EaNS0_19identity_decomposerEEEEE10hipError_tT0_T1_T2_jT3_P12ihipStream_tbPNSt15iterator_traitsISE_E10value_typeEPNSK_ISF_E10value_typeEPSG_NS1_7vsmem_tEENKUlT_SE_SF_SG_E_clIS8_S8_S9_S9_EESD_ST_SE_SF_SG_EUlST_E1_NS1_11comp_targetILNS1_3genE5ELNS1_11target_archE942ELNS1_3gpuE9ELNS1_3repE0EEENS1_36merge_oddeven_config_static_selectorELNS0_4arch9wavefront6targetE0EEEvSF_.num_agpr, 0
	.set _ZN7rocprim17ROCPRIM_400000_NS6detail17trampoline_kernelINS0_14default_configENS1_38merge_sort_block_merge_config_selectorIaNS0_10empty_typeEEEZZNS1_27merge_sort_block_merge_implIS3_PaPS5_jNS1_19radix_merge_compareILb0ELb1EaNS0_19identity_decomposerEEEEE10hipError_tT0_T1_T2_jT3_P12ihipStream_tbPNSt15iterator_traitsISE_E10value_typeEPNSK_ISF_E10value_typeEPSG_NS1_7vsmem_tEENKUlT_SE_SF_SG_E_clIS8_S8_S9_S9_EESD_ST_SE_SF_SG_EUlST_E1_NS1_11comp_targetILNS1_3genE5ELNS1_11target_archE942ELNS1_3gpuE9ELNS1_3repE0EEENS1_36merge_oddeven_config_static_selectorELNS0_4arch9wavefront6targetE0EEEvSF_.numbered_sgpr, 0
	.set _ZN7rocprim17ROCPRIM_400000_NS6detail17trampoline_kernelINS0_14default_configENS1_38merge_sort_block_merge_config_selectorIaNS0_10empty_typeEEEZZNS1_27merge_sort_block_merge_implIS3_PaPS5_jNS1_19radix_merge_compareILb0ELb1EaNS0_19identity_decomposerEEEEE10hipError_tT0_T1_T2_jT3_P12ihipStream_tbPNSt15iterator_traitsISE_E10value_typeEPNSK_ISF_E10value_typeEPSG_NS1_7vsmem_tEENKUlT_SE_SF_SG_E_clIS8_S8_S9_S9_EESD_ST_SE_SF_SG_EUlST_E1_NS1_11comp_targetILNS1_3genE5ELNS1_11target_archE942ELNS1_3gpuE9ELNS1_3repE0EEENS1_36merge_oddeven_config_static_selectorELNS0_4arch9wavefront6targetE0EEEvSF_.num_named_barrier, 0
	.set _ZN7rocprim17ROCPRIM_400000_NS6detail17trampoline_kernelINS0_14default_configENS1_38merge_sort_block_merge_config_selectorIaNS0_10empty_typeEEEZZNS1_27merge_sort_block_merge_implIS3_PaPS5_jNS1_19radix_merge_compareILb0ELb1EaNS0_19identity_decomposerEEEEE10hipError_tT0_T1_T2_jT3_P12ihipStream_tbPNSt15iterator_traitsISE_E10value_typeEPNSK_ISF_E10value_typeEPSG_NS1_7vsmem_tEENKUlT_SE_SF_SG_E_clIS8_S8_S9_S9_EESD_ST_SE_SF_SG_EUlST_E1_NS1_11comp_targetILNS1_3genE5ELNS1_11target_archE942ELNS1_3gpuE9ELNS1_3repE0EEENS1_36merge_oddeven_config_static_selectorELNS0_4arch9wavefront6targetE0EEEvSF_.private_seg_size, 0
	.set _ZN7rocprim17ROCPRIM_400000_NS6detail17trampoline_kernelINS0_14default_configENS1_38merge_sort_block_merge_config_selectorIaNS0_10empty_typeEEEZZNS1_27merge_sort_block_merge_implIS3_PaPS5_jNS1_19radix_merge_compareILb0ELb1EaNS0_19identity_decomposerEEEEE10hipError_tT0_T1_T2_jT3_P12ihipStream_tbPNSt15iterator_traitsISE_E10value_typeEPNSK_ISF_E10value_typeEPSG_NS1_7vsmem_tEENKUlT_SE_SF_SG_E_clIS8_S8_S9_S9_EESD_ST_SE_SF_SG_EUlST_E1_NS1_11comp_targetILNS1_3genE5ELNS1_11target_archE942ELNS1_3gpuE9ELNS1_3repE0EEENS1_36merge_oddeven_config_static_selectorELNS0_4arch9wavefront6targetE0EEEvSF_.uses_vcc, 0
	.set _ZN7rocprim17ROCPRIM_400000_NS6detail17trampoline_kernelINS0_14default_configENS1_38merge_sort_block_merge_config_selectorIaNS0_10empty_typeEEEZZNS1_27merge_sort_block_merge_implIS3_PaPS5_jNS1_19radix_merge_compareILb0ELb1EaNS0_19identity_decomposerEEEEE10hipError_tT0_T1_T2_jT3_P12ihipStream_tbPNSt15iterator_traitsISE_E10value_typeEPNSK_ISF_E10value_typeEPSG_NS1_7vsmem_tEENKUlT_SE_SF_SG_E_clIS8_S8_S9_S9_EESD_ST_SE_SF_SG_EUlST_E1_NS1_11comp_targetILNS1_3genE5ELNS1_11target_archE942ELNS1_3gpuE9ELNS1_3repE0EEENS1_36merge_oddeven_config_static_selectorELNS0_4arch9wavefront6targetE0EEEvSF_.uses_flat_scratch, 0
	.set _ZN7rocprim17ROCPRIM_400000_NS6detail17trampoline_kernelINS0_14default_configENS1_38merge_sort_block_merge_config_selectorIaNS0_10empty_typeEEEZZNS1_27merge_sort_block_merge_implIS3_PaPS5_jNS1_19radix_merge_compareILb0ELb1EaNS0_19identity_decomposerEEEEE10hipError_tT0_T1_T2_jT3_P12ihipStream_tbPNSt15iterator_traitsISE_E10value_typeEPNSK_ISF_E10value_typeEPSG_NS1_7vsmem_tEENKUlT_SE_SF_SG_E_clIS8_S8_S9_S9_EESD_ST_SE_SF_SG_EUlST_E1_NS1_11comp_targetILNS1_3genE5ELNS1_11target_archE942ELNS1_3gpuE9ELNS1_3repE0EEENS1_36merge_oddeven_config_static_selectorELNS0_4arch9wavefront6targetE0EEEvSF_.has_dyn_sized_stack, 0
	.set _ZN7rocprim17ROCPRIM_400000_NS6detail17trampoline_kernelINS0_14default_configENS1_38merge_sort_block_merge_config_selectorIaNS0_10empty_typeEEEZZNS1_27merge_sort_block_merge_implIS3_PaPS5_jNS1_19radix_merge_compareILb0ELb1EaNS0_19identity_decomposerEEEEE10hipError_tT0_T1_T2_jT3_P12ihipStream_tbPNSt15iterator_traitsISE_E10value_typeEPNSK_ISF_E10value_typeEPSG_NS1_7vsmem_tEENKUlT_SE_SF_SG_E_clIS8_S8_S9_S9_EESD_ST_SE_SF_SG_EUlST_E1_NS1_11comp_targetILNS1_3genE5ELNS1_11target_archE942ELNS1_3gpuE9ELNS1_3repE0EEENS1_36merge_oddeven_config_static_selectorELNS0_4arch9wavefront6targetE0EEEvSF_.has_recursion, 0
	.set _ZN7rocprim17ROCPRIM_400000_NS6detail17trampoline_kernelINS0_14default_configENS1_38merge_sort_block_merge_config_selectorIaNS0_10empty_typeEEEZZNS1_27merge_sort_block_merge_implIS3_PaPS5_jNS1_19radix_merge_compareILb0ELb1EaNS0_19identity_decomposerEEEEE10hipError_tT0_T1_T2_jT3_P12ihipStream_tbPNSt15iterator_traitsISE_E10value_typeEPNSK_ISF_E10value_typeEPSG_NS1_7vsmem_tEENKUlT_SE_SF_SG_E_clIS8_S8_S9_S9_EESD_ST_SE_SF_SG_EUlST_E1_NS1_11comp_targetILNS1_3genE5ELNS1_11target_archE942ELNS1_3gpuE9ELNS1_3repE0EEENS1_36merge_oddeven_config_static_selectorELNS0_4arch9wavefront6targetE0EEEvSF_.has_indirect_call, 0
	.section	.AMDGPU.csdata,"",@progbits
; Kernel info:
; codeLenInByte = 0
; TotalNumSgprs: 0
; NumVgprs: 0
; ScratchSize: 0
; MemoryBound: 0
; FloatMode: 240
; IeeeMode: 1
; LDSByteSize: 0 bytes/workgroup (compile time only)
; SGPRBlocks: 0
; VGPRBlocks: 0
; NumSGPRsForWavesPerEU: 1
; NumVGPRsForWavesPerEU: 1
; NamedBarCnt: 0
; Occupancy: 16
; WaveLimiterHint : 0
; COMPUTE_PGM_RSRC2:SCRATCH_EN: 0
; COMPUTE_PGM_RSRC2:USER_SGPR: 2
; COMPUTE_PGM_RSRC2:TRAP_HANDLER: 0
; COMPUTE_PGM_RSRC2:TGID_X_EN: 1
; COMPUTE_PGM_RSRC2:TGID_Y_EN: 0
; COMPUTE_PGM_RSRC2:TGID_Z_EN: 0
; COMPUTE_PGM_RSRC2:TIDIG_COMP_CNT: 0
	.section	.text._ZN7rocprim17ROCPRIM_400000_NS6detail17trampoline_kernelINS0_14default_configENS1_38merge_sort_block_merge_config_selectorIaNS0_10empty_typeEEEZZNS1_27merge_sort_block_merge_implIS3_PaPS5_jNS1_19radix_merge_compareILb0ELb1EaNS0_19identity_decomposerEEEEE10hipError_tT0_T1_T2_jT3_P12ihipStream_tbPNSt15iterator_traitsISE_E10value_typeEPNSK_ISF_E10value_typeEPSG_NS1_7vsmem_tEENKUlT_SE_SF_SG_E_clIS8_S8_S9_S9_EESD_ST_SE_SF_SG_EUlST_E1_NS1_11comp_targetILNS1_3genE4ELNS1_11target_archE910ELNS1_3gpuE8ELNS1_3repE0EEENS1_36merge_oddeven_config_static_selectorELNS0_4arch9wavefront6targetE0EEEvSF_,"axG",@progbits,_ZN7rocprim17ROCPRIM_400000_NS6detail17trampoline_kernelINS0_14default_configENS1_38merge_sort_block_merge_config_selectorIaNS0_10empty_typeEEEZZNS1_27merge_sort_block_merge_implIS3_PaPS5_jNS1_19radix_merge_compareILb0ELb1EaNS0_19identity_decomposerEEEEE10hipError_tT0_T1_T2_jT3_P12ihipStream_tbPNSt15iterator_traitsISE_E10value_typeEPNSK_ISF_E10value_typeEPSG_NS1_7vsmem_tEENKUlT_SE_SF_SG_E_clIS8_S8_S9_S9_EESD_ST_SE_SF_SG_EUlST_E1_NS1_11comp_targetILNS1_3genE4ELNS1_11target_archE910ELNS1_3gpuE8ELNS1_3repE0EEENS1_36merge_oddeven_config_static_selectorELNS0_4arch9wavefront6targetE0EEEvSF_,comdat
	.protected	_ZN7rocprim17ROCPRIM_400000_NS6detail17trampoline_kernelINS0_14default_configENS1_38merge_sort_block_merge_config_selectorIaNS0_10empty_typeEEEZZNS1_27merge_sort_block_merge_implIS3_PaPS5_jNS1_19radix_merge_compareILb0ELb1EaNS0_19identity_decomposerEEEEE10hipError_tT0_T1_T2_jT3_P12ihipStream_tbPNSt15iterator_traitsISE_E10value_typeEPNSK_ISF_E10value_typeEPSG_NS1_7vsmem_tEENKUlT_SE_SF_SG_E_clIS8_S8_S9_S9_EESD_ST_SE_SF_SG_EUlST_E1_NS1_11comp_targetILNS1_3genE4ELNS1_11target_archE910ELNS1_3gpuE8ELNS1_3repE0EEENS1_36merge_oddeven_config_static_selectorELNS0_4arch9wavefront6targetE0EEEvSF_ ; -- Begin function _ZN7rocprim17ROCPRIM_400000_NS6detail17trampoline_kernelINS0_14default_configENS1_38merge_sort_block_merge_config_selectorIaNS0_10empty_typeEEEZZNS1_27merge_sort_block_merge_implIS3_PaPS5_jNS1_19radix_merge_compareILb0ELb1EaNS0_19identity_decomposerEEEEE10hipError_tT0_T1_T2_jT3_P12ihipStream_tbPNSt15iterator_traitsISE_E10value_typeEPNSK_ISF_E10value_typeEPSG_NS1_7vsmem_tEENKUlT_SE_SF_SG_E_clIS8_S8_S9_S9_EESD_ST_SE_SF_SG_EUlST_E1_NS1_11comp_targetILNS1_3genE4ELNS1_11target_archE910ELNS1_3gpuE8ELNS1_3repE0EEENS1_36merge_oddeven_config_static_selectorELNS0_4arch9wavefront6targetE0EEEvSF_
	.globl	_ZN7rocprim17ROCPRIM_400000_NS6detail17trampoline_kernelINS0_14default_configENS1_38merge_sort_block_merge_config_selectorIaNS0_10empty_typeEEEZZNS1_27merge_sort_block_merge_implIS3_PaPS5_jNS1_19radix_merge_compareILb0ELb1EaNS0_19identity_decomposerEEEEE10hipError_tT0_T1_T2_jT3_P12ihipStream_tbPNSt15iterator_traitsISE_E10value_typeEPNSK_ISF_E10value_typeEPSG_NS1_7vsmem_tEENKUlT_SE_SF_SG_E_clIS8_S8_S9_S9_EESD_ST_SE_SF_SG_EUlST_E1_NS1_11comp_targetILNS1_3genE4ELNS1_11target_archE910ELNS1_3gpuE8ELNS1_3repE0EEENS1_36merge_oddeven_config_static_selectorELNS0_4arch9wavefront6targetE0EEEvSF_
	.p2align	8
	.type	_ZN7rocprim17ROCPRIM_400000_NS6detail17trampoline_kernelINS0_14default_configENS1_38merge_sort_block_merge_config_selectorIaNS0_10empty_typeEEEZZNS1_27merge_sort_block_merge_implIS3_PaPS5_jNS1_19radix_merge_compareILb0ELb1EaNS0_19identity_decomposerEEEEE10hipError_tT0_T1_T2_jT3_P12ihipStream_tbPNSt15iterator_traitsISE_E10value_typeEPNSK_ISF_E10value_typeEPSG_NS1_7vsmem_tEENKUlT_SE_SF_SG_E_clIS8_S8_S9_S9_EESD_ST_SE_SF_SG_EUlST_E1_NS1_11comp_targetILNS1_3genE4ELNS1_11target_archE910ELNS1_3gpuE8ELNS1_3repE0EEENS1_36merge_oddeven_config_static_selectorELNS0_4arch9wavefront6targetE0EEEvSF_,@function
_ZN7rocprim17ROCPRIM_400000_NS6detail17trampoline_kernelINS0_14default_configENS1_38merge_sort_block_merge_config_selectorIaNS0_10empty_typeEEEZZNS1_27merge_sort_block_merge_implIS3_PaPS5_jNS1_19radix_merge_compareILb0ELb1EaNS0_19identity_decomposerEEEEE10hipError_tT0_T1_T2_jT3_P12ihipStream_tbPNSt15iterator_traitsISE_E10value_typeEPNSK_ISF_E10value_typeEPSG_NS1_7vsmem_tEENKUlT_SE_SF_SG_E_clIS8_S8_S9_S9_EESD_ST_SE_SF_SG_EUlST_E1_NS1_11comp_targetILNS1_3genE4ELNS1_11target_archE910ELNS1_3gpuE8ELNS1_3repE0EEENS1_36merge_oddeven_config_static_selectorELNS0_4arch9wavefront6targetE0EEEvSF_: ; @_ZN7rocprim17ROCPRIM_400000_NS6detail17trampoline_kernelINS0_14default_configENS1_38merge_sort_block_merge_config_selectorIaNS0_10empty_typeEEEZZNS1_27merge_sort_block_merge_implIS3_PaPS5_jNS1_19radix_merge_compareILb0ELb1EaNS0_19identity_decomposerEEEEE10hipError_tT0_T1_T2_jT3_P12ihipStream_tbPNSt15iterator_traitsISE_E10value_typeEPNSK_ISF_E10value_typeEPSG_NS1_7vsmem_tEENKUlT_SE_SF_SG_E_clIS8_S8_S9_S9_EESD_ST_SE_SF_SG_EUlST_E1_NS1_11comp_targetILNS1_3genE4ELNS1_11target_archE910ELNS1_3gpuE8ELNS1_3repE0EEENS1_36merge_oddeven_config_static_selectorELNS0_4arch9wavefront6targetE0EEEvSF_
; %bb.0:
	.section	.rodata,"a",@progbits
	.p2align	6, 0x0
	.amdhsa_kernel _ZN7rocprim17ROCPRIM_400000_NS6detail17trampoline_kernelINS0_14default_configENS1_38merge_sort_block_merge_config_selectorIaNS0_10empty_typeEEEZZNS1_27merge_sort_block_merge_implIS3_PaPS5_jNS1_19radix_merge_compareILb0ELb1EaNS0_19identity_decomposerEEEEE10hipError_tT0_T1_T2_jT3_P12ihipStream_tbPNSt15iterator_traitsISE_E10value_typeEPNSK_ISF_E10value_typeEPSG_NS1_7vsmem_tEENKUlT_SE_SF_SG_E_clIS8_S8_S9_S9_EESD_ST_SE_SF_SG_EUlST_E1_NS1_11comp_targetILNS1_3genE4ELNS1_11target_archE910ELNS1_3gpuE8ELNS1_3repE0EEENS1_36merge_oddeven_config_static_selectorELNS0_4arch9wavefront6targetE0EEEvSF_
		.amdhsa_group_segment_fixed_size 0
		.amdhsa_private_segment_fixed_size 0
		.amdhsa_kernarg_size 48
		.amdhsa_user_sgpr_count 2
		.amdhsa_user_sgpr_dispatch_ptr 0
		.amdhsa_user_sgpr_queue_ptr 0
		.amdhsa_user_sgpr_kernarg_segment_ptr 1
		.amdhsa_user_sgpr_dispatch_id 0
		.amdhsa_user_sgpr_kernarg_preload_length 0
		.amdhsa_user_sgpr_kernarg_preload_offset 0
		.amdhsa_user_sgpr_private_segment_size 0
		.amdhsa_wavefront_size32 1
		.amdhsa_uses_dynamic_stack 0
		.amdhsa_enable_private_segment 0
		.amdhsa_system_sgpr_workgroup_id_x 1
		.amdhsa_system_sgpr_workgroup_id_y 0
		.amdhsa_system_sgpr_workgroup_id_z 0
		.amdhsa_system_sgpr_workgroup_info 0
		.amdhsa_system_vgpr_workitem_id 0
		.amdhsa_next_free_vgpr 1
		.amdhsa_next_free_sgpr 1
		.amdhsa_named_barrier_count 0
		.amdhsa_reserve_vcc 0
		.amdhsa_float_round_mode_32 0
		.amdhsa_float_round_mode_16_64 0
		.amdhsa_float_denorm_mode_32 3
		.amdhsa_float_denorm_mode_16_64 3
		.amdhsa_fp16_overflow 0
		.amdhsa_memory_ordered 1
		.amdhsa_forward_progress 1
		.amdhsa_inst_pref_size 0
		.amdhsa_round_robin_scheduling 0
		.amdhsa_exception_fp_ieee_invalid_op 0
		.amdhsa_exception_fp_denorm_src 0
		.amdhsa_exception_fp_ieee_div_zero 0
		.amdhsa_exception_fp_ieee_overflow 0
		.amdhsa_exception_fp_ieee_underflow 0
		.amdhsa_exception_fp_ieee_inexact 0
		.amdhsa_exception_int_div_zero 0
	.end_amdhsa_kernel
	.section	.text._ZN7rocprim17ROCPRIM_400000_NS6detail17trampoline_kernelINS0_14default_configENS1_38merge_sort_block_merge_config_selectorIaNS0_10empty_typeEEEZZNS1_27merge_sort_block_merge_implIS3_PaPS5_jNS1_19radix_merge_compareILb0ELb1EaNS0_19identity_decomposerEEEEE10hipError_tT0_T1_T2_jT3_P12ihipStream_tbPNSt15iterator_traitsISE_E10value_typeEPNSK_ISF_E10value_typeEPSG_NS1_7vsmem_tEENKUlT_SE_SF_SG_E_clIS8_S8_S9_S9_EESD_ST_SE_SF_SG_EUlST_E1_NS1_11comp_targetILNS1_3genE4ELNS1_11target_archE910ELNS1_3gpuE8ELNS1_3repE0EEENS1_36merge_oddeven_config_static_selectorELNS0_4arch9wavefront6targetE0EEEvSF_,"axG",@progbits,_ZN7rocprim17ROCPRIM_400000_NS6detail17trampoline_kernelINS0_14default_configENS1_38merge_sort_block_merge_config_selectorIaNS0_10empty_typeEEEZZNS1_27merge_sort_block_merge_implIS3_PaPS5_jNS1_19radix_merge_compareILb0ELb1EaNS0_19identity_decomposerEEEEE10hipError_tT0_T1_T2_jT3_P12ihipStream_tbPNSt15iterator_traitsISE_E10value_typeEPNSK_ISF_E10value_typeEPSG_NS1_7vsmem_tEENKUlT_SE_SF_SG_E_clIS8_S8_S9_S9_EESD_ST_SE_SF_SG_EUlST_E1_NS1_11comp_targetILNS1_3genE4ELNS1_11target_archE910ELNS1_3gpuE8ELNS1_3repE0EEENS1_36merge_oddeven_config_static_selectorELNS0_4arch9wavefront6targetE0EEEvSF_,comdat
.Lfunc_end443:
	.size	_ZN7rocprim17ROCPRIM_400000_NS6detail17trampoline_kernelINS0_14default_configENS1_38merge_sort_block_merge_config_selectorIaNS0_10empty_typeEEEZZNS1_27merge_sort_block_merge_implIS3_PaPS5_jNS1_19radix_merge_compareILb0ELb1EaNS0_19identity_decomposerEEEEE10hipError_tT0_T1_T2_jT3_P12ihipStream_tbPNSt15iterator_traitsISE_E10value_typeEPNSK_ISF_E10value_typeEPSG_NS1_7vsmem_tEENKUlT_SE_SF_SG_E_clIS8_S8_S9_S9_EESD_ST_SE_SF_SG_EUlST_E1_NS1_11comp_targetILNS1_3genE4ELNS1_11target_archE910ELNS1_3gpuE8ELNS1_3repE0EEENS1_36merge_oddeven_config_static_selectorELNS0_4arch9wavefront6targetE0EEEvSF_, .Lfunc_end443-_ZN7rocprim17ROCPRIM_400000_NS6detail17trampoline_kernelINS0_14default_configENS1_38merge_sort_block_merge_config_selectorIaNS0_10empty_typeEEEZZNS1_27merge_sort_block_merge_implIS3_PaPS5_jNS1_19radix_merge_compareILb0ELb1EaNS0_19identity_decomposerEEEEE10hipError_tT0_T1_T2_jT3_P12ihipStream_tbPNSt15iterator_traitsISE_E10value_typeEPNSK_ISF_E10value_typeEPSG_NS1_7vsmem_tEENKUlT_SE_SF_SG_E_clIS8_S8_S9_S9_EESD_ST_SE_SF_SG_EUlST_E1_NS1_11comp_targetILNS1_3genE4ELNS1_11target_archE910ELNS1_3gpuE8ELNS1_3repE0EEENS1_36merge_oddeven_config_static_selectorELNS0_4arch9wavefront6targetE0EEEvSF_
                                        ; -- End function
	.set _ZN7rocprim17ROCPRIM_400000_NS6detail17trampoline_kernelINS0_14default_configENS1_38merge_sort_block_merge_config_selectorIaNS0_10empty_typeEEEZZNS1_27merge_sort_block_merge_implIS3_PaPS5_jNS1_19radix_merge_compareILb0ELb1EaNS0_19identity_decomposerEEEEE10hipError_tT0_T1_T2_jT3_P12ihipStream_tbPNSt15iterator_traitsISE_E10value_typeEPNSK_ISF_E10value_typeEPSG_NS1_7vsmem_tEENKUlT_SE_SF_SG_E_clIS8_S8_S9_S9_EESD_ST_SE_SF_SG_EUlST_E1_NS1_11comp_targetILNS1_3genE4ELNS1_11target_archE910ELNS1_3gpuE8ELNS1_3repE0EEENS1_36merge_oddeven_config_static_selectorELNS0_4arch9wavefront6targetE0EEEvSF_.num_vgpr, 0
	.set _ZN7rocprim17ROCPRIM_400000_NS6detail17trampoline_kernelINS0_14default_configENS1_38merge_sort_block_merge_config_selectorIaNS0_10empty_typeEEEZZNS1_27merge_sort_block_merge_implIS3_PaPS5_jNS1_19radix_merge_compareILb0ELb1EaNS0_19identity_decomposerEEEEE10hipError_tT0_T1_T2_jT3_P12ihipStream_tbPNSt15iterator_traitsISE_E10value_typeEPNSK_ISF_E10value_typeEPSG_NS1_7vsmem_tEENKUlT_SE_SF_SG_E_clIS8_S8_S9_S9_EESD_ST_SE_SF_SG_EUlST_E1_NS1_11comp_targetILNS1_3genE4ELNS1_11target_archE910ELNS1_3gpuE8ELNS1_3repE0EEENS1_36merge_oddeven_config_static_selectorELNS0_4arch9wavefront6targetE0EEEvSF_.num_agpr, 0
	.set _ZN7rocprim17ROCPRIM_400000_NS6detail17trampoline_kernelINS0_14default_configENS1_38merge_sort_block_merge_config_selectorIaNS0_10empty_typeEEEZZNS1_27merge_sort_block_merge_implIS3_PaPS5_jNS1_19radix_merge_compareILb0ELb1EaNS0_19identity_decomposerEEEEE10hipError_tT0_T1_T2_jT3_P12ihipStream_tbPNSt15iterator_traitsISE_E10value_typeEPNSK_ISF_E10value_typeEPSG_NS1_7vsmem_tEENKUlT_SE_SF_SG_E_clIS8_S8_S9_S9_EESD_ST_SE_SF_SG_EUlST_E1_NS1_11comp_targetILNS1_3genE4ELNS1_11target_archE910ELNS1_3gpuE8ELNS1_3repE0EEENS1_36merge_oddeven_config_static_selectorELNS0_4arch9wavefront6targetE0EEEvSF_.numbered_sgpr, 0
	.set _ZN7rocprim17ROCPRIM_400000_NS6detail17trampoline_kernelINS0_14default_configENS1_38merge_sort_block_merge_config_selectorIaNS0_10empty_typeEEEZZNS1_27merge_sort_block_merge_implIS3_PaPS5_jNS1_19radix_merge_compareILb0ELb1EaNS0_19identity_decomposerEEEEE10hipError_tT0_T1_T2_jT3_P12ihipStream_tbPNSt15iterator_traitsISE_E10value_typeEPNSK_ISF_E10value_typeEPSG_NS1_7vsmem_tEENKUlT_SE_SF_SG_E_clIS8_S8_S9_S9_EESD_ST_SE_SF_SG_EUlST_E1_NS1_11comp_targetILNS1_3genE4ELNS1_11target_archE910ELNS1_3gpuE8ELNS1_3repE0EEENS1_36merge_oddeven_config_static_selectorELNS0_4arch9wavefront6targetE0EEEvSF_.num_named_barrier, 0
	.set _ZN7rocprim17ROCPRIM_400000_NS6detail17trampoline_kernelINS0_14default_configENS1_38merge_sort_block_merge_config_selectorIaNS0_10empty_typeEEEZZNS1_27merge_sort_block_merge_implIS3_PaPS5_jNS1_19radix_merge_compareILb0ELb1EaNS0_19identity_decomposerEEEEE10hipError_tT0_T1_T2_jT3_P12ihipStream_tbPNSt15iterator_traitsISE_E10value_typeEPNSK_ISF_E10value_typeEPSG_NS1_7vsmem_tEENKUlT_SE_SF_SG_E_clIS8_S8_S9_S9_EESD_ST_SE_SF_SG_EUlST_E1_NS1_11comp_targetILNS1_3genE4ELNS1_11target_archE910ELNS1_3gpuE8ELNS1_3repE0EEENS1_36merge_oddeven_config_static_selectorELNS0_4arch9wavefront6targetE0EEEvSF_.private_seg_size, 0
	.set _ZN7rocprim17ROCPRIM_400000_NS6detail17trampoline_kernelINS0_14default_configENS1_38merge_sort_block_merge_config_selectorIaNS0_10empty_typeEEEZZNS1_27merge_sort_block_merge_implIS3_PaPS5_jNS1_19radix_merge_compareILb0ELb1EaNS0_19identity_decomposerEEEEE10hipError_tT0_T1_T2_jT3_P12ihipStream_tbPNSt15iterator_traitsISE_E10value_typeEPNSK_ISF_E10value_typeEPSG_NS1_7vsmem_tEENKUlT_SE_SF_SG_E_clIS8_S8_S9_S9_EESD_ST_SE_SF_SG_EUlST_E1_NS1_11comp_targetILNS1_3genE4ELNS1_11target_archE910ELNS1_3gpuE8ELNS1_3repE0EEENS1_36merge_oddeven_config_static_selectorELNS0_4arch9wavefront6targetE0EEEvSF_.uses_vcc, 0
	.set _ZN7rocprim17ROCPRIM_400000_NS6detail17trampoline_kernelINS0_14default_configENS1_38merge_sort_block_merge_config_selectorIaNS0_10empty_typeEEEZZNS1_27merge_sort_block_merge_implIS3_PaPS5_jNS1_19radix_merge_compareILb0ELb1EaNS0_19identity_decomposerEEEEE10hipError_tT0_T1_T2_jT3_P12ihipStream_tbPNSt15iterator_traitsISE_E10value_typeEPNSK_ISF_E10value_typeEPSG_NS1_7vsmem_tEENKUlT_SE_SF_SG_E_clIS8_S8_S9_S9_EESD_ST_SE_SF_SG_EUlST_E1_NS1_11comp_targetILNS1_3genE4ELNS1_11target_archE910ELNS1_3gpuE8ELNS1_3repE0EEENS1_36merge_oddeven_config_static_selectorELNS0_4arch9wavefront6targetE0EEEvSF_.uses_flat_scratch, 0
	.set _ZN7rocprim17ROCPRIM_400000_NS6detail17trampoline_kernelINS0_14default_configENS1_38merge_sort_block_merge_config_selectorIaNS0_10empty_typeEEEZZNS1_27merge_sort_block_merge_implIS3_PaPS5_jNS1_19radix_merge_compareILb0ELb1EaNS0_19identity_decomposerEEEEE10hipError_tT0_T1_T2_jT3_P12ihipStream_tbPNSt15iterator_traitsISE_E10value_typeEPNSK_ISF_E10value_typeEPSG_NS1_7vsmem_tEENKUlT_SE_SF_SG_E_clIS8_S8_S9_S9_EESD_ST_SE_SF_SG_EUlST_E1_NS1_11comp_targetILNS1_3genE4ELNS1_11target_archE910ELNS1_3gpuE8ELNS1_3repE0EEENS1_36merge_oddeven_config_static_selectorELNS0_4arch9wavefront6targetE0EEEvSF_.has_dyn_sized_stack, 0
	.set _ZN7rocprim17ROCPRIM_400000_NS6detail17trampoline_kernelINS0_14default_configENS1_38merge_sort_block_merge_config_selectorIaNS0_10empty_typeEEEZZNS1_27merge_sort_block_merge_implIS3_PaPS5_jNS1_19radix_merge_compareILb0ELb1EaNS0_19identity_decomposerEEEEE10hipError_tT0_T1_T2_jT3_P12ihipStream_tbPNSt15iterator_traitsISE_E10value_typeEPNSK_ISF_E10value_typeEPSG_NS1_7vsmem_tEENKUlT_SE_SF_SG_E_clIS8_S8_S9_S9_EESD_ST_SE_SF_SG_EUlST_E1_NS1_11comp_targetILNS1_3genE4ELNS1_11target_archE910ELNS1_3gpuE8ELNS1_3repE0EEENS1_36merge_oddeven_config_static_selectorELNS0_4arch9wavefront6targetE0EEEvSF_.has_recursion, 0
	.set _ZN7rocprim17ROCPRIM_400000_NS6detail17trampoline_kernelINS0_14default_configENS1_38merge_sort_block_merge_config_selectorIaNS0_10empty_typeEEEZZNS1_27merge_sort_block_merge_implIS3_PaPS5_jNS1_19radix_merge_compareILb0ELb1EaNS0_19identity_decomposerEEEEE10hipError_tT0_T1_T2_jT3_P12ihipStream_tbPNSt15iterator_traitsISE_E10value_typeEPNSK_ISF_E10value_typeEPSG_NS1_7vsmem_tEENKUlT_SE_SF_SG_E_clIS8_S8_S9_S9_EESD_ST_SE_SF_SG_EUlST_E1_NS1_11comp_targetILNS1_3genE4ELNS1_11target_archE910ELNS1_3gpuE8ELNS1_3repE0EEENS1_36merge_oddeven_config_static_selectorELNS0_4arch9wavefront6targetE0EEEvSF_.has_indirect_call, 0
	.section	.AMDGPU.csdata,"",@progbits
; Kernel info:
; codeLenInByte = 0
; TotalNumSgprs: 0
; NumVgprs: 0
; ScratchSize: 0
; MemoryBound: 0
; FloatMode: 240
; IeeeMode: 1
; LDSByteSize: 0 bytes/workgroup (compile time only)
; SGPRBlocks: 0
; VGPRBlocks: 0
; NumSGPRsForWavesPerEU: 1
; NumVGPRsForWavesPerEU: 1
; NamedBarCnt: 0
; Occupancy: 16
; WaveLimiterHint : 0
; COMPUTE_PGM_RSRC2:SCRATCH_EN: 0
; COMPUTE_PGM_RSRC2:USER_SGPR: 2
; COMPUTE_PGM_RSRC2:TRAP_HANDLER: 0
; COMPUTE_PGM_RSRC2:TGID_X_EN: 1
; COMPUTE_PGM_RSRC2:TGID_Y_EN: 0
; COMPUTE_PGM_RSRC2:TGID_Z_EN: 0
; COMPUTE_PGM_RSRC2:TIDIG_COMP_CNT: 0
	.section	.text._ZN7rocprim17ROCPRIM_400000_NS6detail17trampoline_kernelINS0_14default_configENS1_38merge_sort_block_merge_config_selectorIaNS0_10empty_typeEEEZZNS1_27merge_sort_block_merge_implIS3_PaPS5_jNS1_19radix_merge_compareILb0ELb1EaNS0_19identity_decomposerEEEEE10hipError_tT0_T1_T2_jT3_P12ihipStream_tbPNSt15iterator_traitsISE_E10value_typeEPNSK_ISF_E10value_typeEPSG_NS1_7vsmem_tEENKUlT_SE_SF_SG_E_clIS8_S8_S9_S9_EESD_ST_SE_SF_SG_EUlST_E1_NS1_11comp_targetILNS1_3genE3ELNS1_11target_archE908ELNS1_3gpuE7ELNS1_3repE0EEENS1_36merge_oddeven_config_static_selectorELNS0_4arch9wavefront6targetE0EEEvSF_,"axG",@progbits,_ZN7rocprim17ROCPRIM_400000_NS6detail17trampoline_kernelINS0_14default_configENS1_38merge_sort_block_merge_config_selectorIaNS0_10empty_typeEEEZZNS1_27merge_sort_block_merge_implIS3_PaPS5_jNS1_19radix_merge_compareILb0ELb1EaNS0_19identity_decomposerEEEEE10hipError_tT0_T1_T2_jT3_P12ihipStream_tbPNSt15iterator_traitsISE_E10value_typeEPNSK_ISF_E10value_typeEPSG_NS1_7vsmem_tEENKUlT_SE_SF_SG_E_clIS8_S8_S9_S9_EESD_ST_SE_SF_SG_EUlST_E1_NS1_11comp_targetILNS1_3genE3ELNS1_11target_archE908ELNS1_3gpuE7ELNS1_3repE0EEENS1_36merge_oddeven_config_static_selectorELNS0_4arch9wavefront6targetE0EEEvSF_,comdat
	.protected	_ZN7rocprim17ROCPRIM_400000_NS6detail17trampoline_kernelINS0_14default_configENS1_38merge_sort_block_merge_config_selectorIaNS0_10empty_typeEEEZZNS1_27merge_sort_block_merge_implIS3_PaPS5_jNS1_19radix_merge_compareILb0ELb1EaNS0_19identity_decomposerEEEEE10hipError_tT0_T1_T2_jT3_P12ihipStream_tbPNSt15iterator_traitsISE_E10value_typeEPNSK_ISF_E10value_typeEPSG_NS1_7vsmem_tEENKUlT_SE_SF_SG_E_clIS8_S8_S9_S9_EESD_ST_SE_SF_SG_EUlST_E1_NS1_11comp_targetILNS1_3genE3ELNS1_11target_archE908ELNS1_3gpuE7ELNS1_3repE0EEENS1_36merge_oddeven_config_static_selectorELNS0_4arch9wavefront6targetE0EEEvSF_ ; -- Begin function _ZN7rocprim17ROCPRIM_400000_NS6detail17trampoline_kernelINS0_14default_configENS1_38merge_sort_block_merge_config_selectorIaNS0_10empty_typeEEEZZNS1_27merge_sort_block_merge_implIS3_PaPS5_jNS1_19radix_merge_compareILb0ELb1EaNS0_19identity_decomposerEEEEE10hipError_tT0_T1_T2_jT3_P12ihipStream_tbPNSt15iterator_traitsISE_E10value_typeEPNSK_ISF_E10value_typeEPSG_NS1_7vsmem_tEENKUlT_SE_SF_SG_E_clIS8_S8_S9_S9_EESD_ST_SE_SF_SG_EUlST_E1_NS1_11comp_targetILNS1_3genE3ELNS1_11target_archE908ELNS1_3gpuE7ELNS1_3repE0EEENS1_36merge_oddeven_config_static_selectorELNS0_4arch9wavefront6targetE0EEEvSF_
	.globl	_ZN7rocprim17ROCPRIM_400000_NS6detail17trampoline_kernelINS0_14default_configENS1_38merge_sort_block_merge_config_selectorIaNS0_10empty_typeEEEZZNS1_27merge_sort_block_merge_implIS3_PaPS5_jNS1_19radix_merge_compareILb0ELb1EaNS0_19identity_decomposerEEEEE10hipError_tT0_T1_T2_jT3_P12ihipStream_tbPNSt15iterator_traitsISE_E10value_typeEPNSK_ISF_E10value_typeEPSG_NS1_7vsmem_tEENKUlT_SE_SF_SG_E_clIS8_S8_S9_S9_EESD_ST_SE_SF_SG_EUlST_E1_NS1_11comp_targetILNS1_3genE3ELNS1_11target_archE908ELNS1_3gpuE7ELNS1_3repE0EEENS1_36merge_oddeven_config_static_selectorELNS0_4arch9wavefront6targetE0EEEvSF_
	.p2align	8
	.type	_ZN7rocprim17ROCPRIM_400000_NS6detail17trampoline_kernelINS0_14default_configENS1_38merge_sort_block_merge_config_selectorIaNS0_10empty_typeEEEZZNS1_27merge_sort_block_merge_implIS3_PaPS5_jNS1_19radix_merge_compareILb0ELb1EaNS0_19identity_decomposerEEEEE10hipError_tT0_T1_T2_jT3_P12ihipStream_tbPNSt15iterator_traitsISE_E10value_typeEPNSK_ISF_E10value_typeEPSG_NS1_7vsmem_tEENKUlT_SE_SF_SG_E_clIS8_S8_S9_S9_EESD_ST_SE_SF_SG_EUlST_E1_NS1_11comp_targetILNS1_3genE3ELNS1_11target_archE908ELNS1_3gpuE7ELNS1_3repE0EEENS1_36merge_oddeven_config_static_selectorELNS0_4arch9wavefront6targetE0EEEvSF_,@function
_ZN7rocprim17ROCPRIM_400000_NS6detail17trampoline_kernelINS0_14default_configENS1_38merge_sort_block_merge_config_selectorIaNS0_10empty_typeEEEZZNS1_27merge_sort_block_merge_implIS3_PaPS5_jNS1_19radix_merge_compareILb0ELb1EaNS0_19identity_decomposerEEEEE10hipError_tT0_T1_T2_jT3_P12ihipStream_tbPNSt15iterator_traitsISE_E10value_typeEPNSK_ISF_E10value_typeEPSG_NS1_7vsmem_tEENKUlT_SE_SF_SG_E_clIS8_S8_S9_S9_EESD_ST_SE_SF_SG_EUlST_E1_NS1_11comp_targetILNS1_3genE3ELNS1_11target_archE908ELNS1_3gpuE7ELNS1_3repE0EEENS1_36merge_oddeven_config_static_selectorELNS0_4arch9wavefront6targetE0EEEvSF_: ; @_ZN7rocprim17ROCPRIM_400000_NS6detail17trampoline_kernelINS0_14default_configENS1_38merge_sort_block_merge_config_selectorIaNS0_10empty_typeEEEZZNS1_27merge_sort_block_merge_implIS3_PaPS5_jNS1_19radix_merge_compareILb0ELb1EaNS0_19identity_decomposerEEEEE10hipError_tT0_T1_T2_jT3_P12ihipStream_tbPNSt15iterator_traitsISE_E10value_typeEPNSK_ISF_E10value_typeEPSG_NS1_7vsmem_tEENKUlT_SE_SF_SG_E_clIS8_S8_S9_S9_EESD_ST_SE_SF_SG_EUlST_E1_NS1_11comp_targetILNS1_3genE3ELNS1_11target_archE908ELNS1_3gpuE7ELNS1_3repE0EEENS1_36merge_oddeven_config_static_selectorELNS0_4arch9wavefront6targetE0EEEvSF_
; %bb.0:
	.section	.rodata,"a",@progbits
	.p2align	6, 0x0
	.amdhsa_kernel _ZN7rocprim17ROCPRIM_400000_NS6detail17trampoline_kernelINS0_14default_configENS1_38merge_sort_block_merge_config_selectorIaNS0_10empty_typeEEEZZNS1_27merge_sort_block_merge_implIS3_PaPS5_jNS1_19radix_merge_compareILb0ELb1EaNS0_19identity_decomposerEEEEE10hipError_tT0_T1_T2_jT3_P12ihipStream_tbPNSt15iterator_traitsISE_E10value_typeEPNSK_ISF_E10value_typeEPSG_NS1_7vsmem_tEENKUlT_SE_SF_SG_E_clIS8_S8_S9_S9_EESD_ST_SE_SF_SG_EUlST_E1_NS1_11comp_targetILNS1_3genE3ELNS1_11target_archE908ELNS1_3gpuE7ELNS1_3repE0EEENS1_36merge_oddeven_config_static_selectorELNS0_4arch9wavefront6targetE0EEEvSF_
		.amdhsa_group_segment_fixed_size 0
		.amdhsa_private_segment_fixed_size 0
		.amdhsa_kernarg_size 48
		.amdhsa_user_sgpr_count 2
		.amdhsa_user_sgpr_dispatch_ptr 0
		.amdhsa_user_sgpr_queue_ptr 0
		.amdhsa_user_sgpr_kernarg_segment_ptr 1
		.amdhsa_user_sgpr_dispatch_id 0
		.amdhsa_user_sgpr_kernarg_preload_length 0
		.amdhsa_user_sgpr_kernarg_preload_offset 0
		.amdhsa_user_sgpr_private_segment_size 0
		.amdhsa_wavefront_size32 1
		.amdhsa_uses_dynamic_stack 0
		.amdhsa_enable_private_segment 0
		.amdhsa_system_sgpr_workgroup_id_x 1
		.amdhsa_system_sgpr_workgroup_id_y 0
		.amdhsa_system_sgpr_workgroup_id_z 0
		.amdhsa_system_sgpr_workgroup_info 0
		.amdhsa_system_vgpr_workitem_id 0
		.amdhsa_next_free_vgpr 1
		.amdhsa_next_free_sgpr 1
		.amdhsa_named_barrier_count 0
		.amdhsa_reserve_vcc 0
		.amdhsa_float_round_mode_32 0
		.amdhsa_float_round_mode_16_64 0
		.amdhsa_float_denorm_mode_32 3
		.amdhsa_float_denorm_mode_16_64 3
		.amdhsa_fp16_overflow 0
		.amdhsa_memory_ordered 1
		.amdhsa_forward_progress 1
		.amdhsa_inst_pref_size 0
		.amdhsa_round_robin_scheduling 0
		.amdhsa_exception_fp_ieee_invalid_op 0
		.amdhsa_exception_fp_denorm_src 0
		.amdhsa_exception_fp_ieee_div_zero 0
		.amdhsa_exception_fp_ieee_overflow 0
		.amdhsa_exception_fp_ieee_underflow 0
		.amdhsa_exception_fp_ieee_inexact 0
		.amdhsa_exception_int_div_zero 0
	.end_amdhsa_kernel
	.section	.text._ZN7rocprim17ROCPRIM_400000_NS6detail17trampoline_kernelINS0_14default_configENS1_38merge_sort_block_merge_config_selectorIaNS0_10empty_typeEEEZZNS1_27merge_sort_block_merge_implIS3_PaPS5_jNS1_19radix_merge_compareILb0ELb1EaNS0_19identity_decomposerEEEEE10hipError_tT0_T1_T2_jT3_P12ihipStream_tbPNSt15iterator_traitsISE_E10value_typeEPNSK_ISF_E10value_typeEPSG_NS1_7vsmem_tEENKUlT_SE_SF_SG_E_clIS8_S8_S9_S9_EESD_ST_SE_SF_SG_EUlST_E1_NS1_11comp_targetILNS1_3genE3ELNS1_11target_archE908ELNS1_3gpuE7ELNS1_3repE0EEENS1_36merge_oddeven_config_static_selectorELNS0_4arch9wavefront6targetE0EEEvSF_,"axG",@progbits,_ZN7rocprim17ROCPRIM_400000_NS6detail17trampoline_kernelINS0_14default_configENS1_38merge_sort_block_merge_config_selectorIaNS0_10empty_typeEEEZZNS1_27merge_sort_block_merge_implIS3_PaPS5_jNS1_19radix_merge_compareILb0ELb1EaNS0_19identity_decomposerEEEEE10hipError_tT0_T1_T2_jT3_P12ihipStream_tbPNSt15iterator_traitsISE_E10value_typeEPNSK_ISF_E10value_typeEPSG_NS1_7vsmem_tEENKUlT_SE_SF_SG_E_clIS8_S8_S9_S9_EESD_ST_SE_SF_SG_EUlST_E1_NS1_11comp_targetILNS1_3genE3ELNS1_11target_archE908ELNS1_3gpuE7ELNS1_3repE0EEENS1_36merge_oddeven_config_static_selectorELNS0_4arch9wavefront6targetE0EEEvSF_,comdat
.Lfunc_end444:
	.size	_ZN7rocprim17ROCPRIM_400000_NS6detail17trampoline_kernelINS0_14default_configENS1_38merge_sort_block_merge_config_selectorIaNS0_10empty_typeEEEZZNS1_27merge_sort_block_merge_implIS3_PaPS5_jNS1_19radix_merge_compareILb0ELb1EaNS0_19identity_decomposerEEEEE10hipError_tT0_T1_T2_jT3_P12ihipStream_tbPNSt15iterator_traitsISE_E10value_typeEPNSK_ISF_E10value_typeEPSG_NS1_7vsmem_tEENKUlT_SE_SF_SG_E_clIS8_S8_S9_S9_EESD_ST_SE_SF_SG_EUlST_E1_NS1_11comp_targetILNS1_3genE3ELNS1_11target_archE908ELNS1_3gpuE7ELNS1_3repE0EEENS1_36merge_oddeven_config_static_selectorELNS0_4arch9wavefront6targetE0EEEvSF_, .Lfunc_end444-_ZN7rocprim17ROCPRIM_400000_NS6detail17trampoline_kernelINS0_14default_configENS1_38merge_sort_block_merge_config_selectorIaNS0_10empty_typeEEEZZNS1_27merge_sort_block_merge_implIS3_PaPS5_jNS1_19radix_merge_compareILb0ELb1EaNS0_19identity_decomposerEEEEE10hipError_tT0_T1_T2_jT3_P12ihipStream_tbPNSt15iterator_traitsISE_E10value_typeEPNSK_ISF_E10value_typeEPSG_NS1_7vsmem_tEENKUlT_SE_SF_SG_E_clIS8_S8_S9_S9_EESD_ST_SE_SF_SG_EUlST_E1_NS1_11comp_targetILNS1_3genE3ELNS1_11target_archE908ELNS1_3gpuE7ELNS1_3repE0EEENS1_36merge_oddeven_config_static_selectorELNS0_4arch9wavefront6targetE0EEEvSF_
                                        ; -- End function
	.set _ZN7rocprim17ROCPRIM_400000_NS6detail17trampoline_kernelINS0_14default_configENS1_38merge_sort_block_merge_config_selectorIaNS0_10empty_typeEEEZZNS1_27merge_sort_block_merge_implIS3_PaPS5_jNS1_19radix_merge_compareILb0ELb1EaNS0_19identity_decomposerEEEEE10hipError_tT0_T1_T2_jT3_P12ihipStream_tbPNSt15iterator_traitsISE_E10value_typeEPNSK_ISF_E10value_typeEPSG_NS1_7vsmem_tEENKUlT_SE_SF_SG_E_clIS8_S8_S9_S9_EESD_ST_SE_SF_SG_EUlST_E1_NS1_11comp_targetILNS1_3genE3ELNS1_11target_archE908ELNS1_3gpuE7ELNS1_3repE0EEENS1_36merge_oddeven_config_static_selectorELNS0_4arch9wavefront6targetE0EEEvSF_.num_vgpr, 0
	.set _ZN7rocprim17ROCPRIM_400000_NS6detail17trampoline_kernelINS0_14default_configENS1_38merge_sort_block_merge_config_selectorIaNS0_10empty_typeEEEZZNS1_27merge_sort_block_merge_implIS3_PaPS5_jNS1_19radix_merge_compareILb0ELb1EaNS0_19identity_decomposerEEEEE10hipError_tT0_T1_T2_jT3_P12ihipStream_tbPNSt15iterator_traitsISE_E10value_typeEPNSK_ISF_E10value_typeEPSG_NS1_7vsmem_tEENKUlT_SE_SF_SG_E_clIS8_S8_S9_S9_EESD_ST_SE_SF_SG_EUlST_E1_NS1_11comp_targetILNS1_3genE3ELNS1_11target_archE908ELNS1_3gpuE7ELNS1_3repE0EEENS1_36merge_oddeven_config_static_selectorELNS0_4arch9wavefront6targetE0EEEvSF_.num_agpr, 0
	.set _ZN7rocprim17ROCPRIM_400000_NS6detail17trampoline_kernelINS0_14default_configENS1_38merge_sort_block_merge_config_selectorIaNS0_10empty_typeEEEZZNS1_27merge_sort_block_merge_implIS3_PaPS5_jNS1_19radix_merge_compareILb0ELb1EaNS0_19identity_decomposerEEEEE10hipError_tT0_T1_T2_jT3_P12ihipStream_tbPNSt15iterator_traitsISE_E10value_typeEPNSK_ISF_E10value_typeEPSG_NS1_7vsmem_tEENKUlT_SE_SF_SG_E_clIS8_S8_S9_S9_EESD_ST_SE_SF_SG_EUlST_E1_NS1_11comp_targetILNS1_3genE3ELNS1_11target_archE908ELNS1_3gpuE7ELNS1_3repE0EEENS1_36merge_oddeven_config_static_selectorELNS0_4arch9wavefront6targetE0EEEvSF_.numbered_sgpr, 0
	.set _ZN7rocprim17ROCPRIM_400000_NS6detail17trampoline_kernelINS0_14default_configENS1_38merge_sort_block_merge_config_selectorIaNS0_10empty_typeEEEZZNS1_27merge_sort_block_merge_implIS3_PaPS5_jNS1_19radix_merge_compareILb0ELb1EaNS0_19identity_decomposerEEEEE10hipError_tT0_T1_T2_jT3_P12ihipStream_tbPNSt15iterator_traitsISE_E10value_typeEPNSK_ISF_E10value_typeEPSG_NS1_7vsmem_tEENKUlT_SE_SF_SG_E_clIS8_S8_S9_S9_EESD_ST_SE_SF_SG_EUlST_E1_NS1_11comp_targetILNS1_3genE3ELNS1_11target_archE908ELNS1_3gpuE7ELNS1_3repE0EEENS1_36merge_oddeven_config_static_selectorELNS0_4arch9wavefront6targetE0EEEvSF_.num_named_barrier, 0
	.set _ZN7rocprim17ROCPRIM_400000_NS6detail17trampoline_kernelINS0_14default_configENS1_38merge_sort_block_merge_config_selectorIaNS0_10empty_typeEEEZZNS1_27merge_sort_block_merge_implIS3_PaPS5_jNS1_19radix_merge_compareILb0ELb1EaNS0_19identity_decomposerEEEEE10hipError_tT0_T1_T2_jT3_P12ihipStream_tbPNSt15iterator_traitsISE_E10value_typeEPNSK_ISF_E10value_typeEPSG_NS1_7vsmem_tEENKUlT_SE_SF_SG_E_clIS8_S8_S9_S9_EESD_ST_SE_SF_SG_EUlST_E1_NS1_11comp_targetILNS1_3genE3ELNS1_11target_archE908ELNS1_3gpuE7ELNS1_3repE0EEENS1_36merge_oddeven_config_static_selectorELNS0_4arch9wavefront6targetE0EEEvSF_.private_seg_size, 0
	.set _ZN7rocprim17ROCPRIM_400000_NS6detail17trampoline_kernelINS0_14default_configENS1_38merge_sort_block_merge_config_selectorIaNS0_10empty_typeEEEZZNS1_27merge_sort_block_merge_implIS3_PaPS5_jNS1_19radix_merge_compareILb0ELb1EaNS0_19identity_decomposerEEEEE10hipError_tT0_T1_T2_jT3_P12ihipStream_tbPNSt15iterator_traitsISE_E10value_typeEPNSK_ISF_E10value_typeEPSG_NS1_7vsmem_tEENKUlT_SE_SF_SG_E_clIS8_S8_S9_S9_EESD_ST_SE_SF_SG_EUlST_E1_NS1_11comp_targetILNS1_3genE3ELNS1_11target_archE908ELNS1_3gpuE7ELNS1_3repE0EEENS1_36merge_oddeven_config_static_selectorELNS0_4arch9wavefront6targetE0EEEvSF_.uses_vcc, 0
	.set _ZN7rocprim17ROCPRIM_400000_NS6detail17trampoline_kernelINS0_14default_configENS1_38merge_sort_block_merge_config_selectorIaNS0_10empty_typeEEEZZNS1_27merge_sort_block_merge_implIS3_PaPS5_jNS1_19radix_merge_compareILb0ELb1EaNS0_19identity_decomposerEEEEE10hipError_tT0_T1_T2_jT3_P12ihipStream_tbPNSt15iterator_traitsISE_E10value_typeEPNSK_ISF_E10value_typeEPSG_NS1_7vsmem_tEENKUlT_SE_SF_SG_E_clIS8_S8_S9_S9_EESD_ST_SE_SF_SG_EUlST_E1_NS1_11comp_targetILNS1_3genE3ELNS1_11target_archE908ELNS1_3gpuE7ELNS1_3repE0EEENS1_36merge_oddeven_config_static_selectorELNS0_4arch9wavefront6targetE0EEEvSF_.uses_flat_scratch, 0
	.set _ZN7rocprim17ROCPRIM_400000_NS6detail17trampoline_kernelINS0_14default_configENS1_38merge_sort_block_merge_config_selectorIaNS0_10empty_typeEEEZZNS1_27merge_sort_block_merge_implIS3_PaPS5_jNS1_19radix_merge_compareILb0ELb1EaNS0_19identity_decomposerEEEEE10hipError_tT0_T1_T2_jT3_P12ihipStream_tbPNSt15iterator_traitsISE_E10value_typeEPNSK_ISF_E10value_typeEPSG_NS1_7vsmem_tEENKUlT_SE_SF_SG_E_clIS8_S8_S9_S9_EESD_ST_SE_SF_SG_EUlST_E1_NS1_11comp_targetILNS1_3genE3ELNS1_11target_archE908ELNS1_3gpuE7ELNS1_3repE0EEENS1_36merge_oddeven_config_static_selectorELNS0_4arch9wavefront6targetE0EEEvSF_.has_dyn_sized_stack, 0
	.set _ZN7rocprim17ROCPRIM_400000_NS6detail17trampoline_kernelINS0_14default_configENS1_38merge_sort_block_merge_config_selectorIaNS0_10empty_typeEEEZZNS1_27merge_sort_block_merge_implIS3_PaPS5_jNS1_19radix_merge_compareILb0ELb1EaNS0_19identity_decomposerEEEEE10hipError_tT0_T1_T2_jT3_P12ihipStream_tbPNSt15iterator_traitsISE_E10value_typeEPNSK_ISF_E10value_typeEPSG_NS1_7vsmem_tEENKUlT_SE_SF_SG_E_clIS8_S8_S9_S9_EESD_ST_SE_SF_SG_EUlST_E1_NS1_11comp_targetILNS1_3genE3ELNS1_11target_archE908ELNS1_3gpuE7ELNS1_3repE0EEENS1_36merge_oddeven_config_static_selectorELNS0_4arch9wavefront6targetE0EEEvSF_.has_recursion, 0
	.set _ZN7rocprim17ROCPRIM_400000_NS6detail17trampoline_kernelINS0_14default_configENS1_38merge_sort_block_merge_config_selectorIaNS0_10empty_typeEEEZZNS1_27merge_sort_block_merge_implIS3_PaPS5_jNS1_19radix_merge_compareILb0ELb1EaNS0_19identity_decomposerEEEEE10hipError_tT0_T1_T2_jT3_P12ihipStream_tbPNSt15iterator_traitsISE_E10value_typeEPNSK_ISF_E10value_typeEPSG_NS1_7vsmem_tEENKUlT_SE_SF_SG_E_clIS8_S8_S9_S9_EESD_ST_SE_SF_SG_EUlST_E1_NS1_11comp_targetILNS1_3genE3ELNS1_11target_archE908ELNS1_3gpuE7ELNS1_3repE0EEENS1_36merge_oddeven_config_static_selectorELNS0_4arch9wavefront6targetE0EEEvSF_.has_indirect_call, 0
	.section	.AMDGPU.csdata,"",@progbits
; Kernel info:
; codeLenInByte = 0
; TotalNumSgprs: 0
; NumVgprs: 0
; ScratchSize: 0
; MemoryBound: 0
; FloatMode: 240
; IeeeMode: 1
; LDSByteSize: 0 bytes/workgroup (compile time only)
; SGPRBlocks: 0
; VGPRBlocks: 0
; NumSGPRsForWavesPerEU: 1
; NumVGPRsForWavesPerEU: 1
; NamedBarCnt: 0
; Occupancy: 16
; WaveLimiterHint : 0
; COMPUTE_PGM_RSRC2:SCRATCH_EN: 0
; COMPUTE_PGM_RSRC2:USER_SGPR: 2
; COMPUTE_PGM_RSRC2:TRAP_HANDLER: 0
; COMPUTE_PGM_RSRC2:TGID_X_EN: 1
; COMPUTE_PGM_RSRC2:TGID_Y_EN: 0
; COMPUTE_PGM_RSRC2:TGID_Z_EN: 0
; COMPUTE_PGM_RSRC2:TIDIG_COMP_CNT: 0
	.section	.text._ZN7rocprim17ROCPRIM_400000_NS6detail17trampoline_kernelINS0_14default_configENS1_38merge_sort_block_merge_config_selectorIaNS0_10empty_typeEEEZZNS1_27merge_sort_block_merge_implIS3_PaPS5_jNS1_19radix_merge_compareILb0ELb1EaNS0_19identity_decomposerEEEEE10hipError_tT0_T1_T2_jT3_P12ihipStream_tbPNSt15iterator_traitsISE_E10value_typeEPNSK_ISF_E10value_typeEPSG_NS1_7vsmem_tEENKUlT_SE_SF_SG_E_clIS8_S8_S9_S9_EESD_ST_SE_SF_SG_EUlST_E1_NS1_11comp_targetILNS1_3genE2ELNS1_11target_archE906ELNS1_3gpuE6ELNS1_3repE0EEENS1_36merge_oddeven_config_static_selectorELNS0_4arch9wavefront6targetE0EEEvSF_,"axG",@progbits,_ZN7rocprim17ROCPRIM_400000_NS6detail17trampoline_kernelINS0_14default_configENS1_38merge_sort_block_merge_config_selectorIaNS0_10empty_typeEEEZZNS1_27merge_sort_block_merge_implIS3_PaPS5_jNS1_19radix_merge_compareILb0ELb1EaNS0_19identity_decomposerEEEEE10hipError_tT0_T1_T2_jT3_P12ihipStream_tbPNSt15iterator_traitsISE_E10value_typeEPNSK_ISF_E10value_typeEPSG_NS1_7vsmem_tEENKUlT_SE_SF_SG_E_clIS8_S8_S9_S9_EESD_ST_SE_SF_SG_EUlST_E1_NS1_11comp_targetILNS1_3genE2ELNS1_11target_archE906ELNS1_3gpuE6ELNS1_3repE0EEENS1_36merge_oddeven_config_static_selectorELNS0_4arch9wavefront6targetE0EEEvSF_,comdat
	.protected	_ZN7rocprim17ROCPRIM_400000_NS6detail17trampoline_kernelINS0_14default_configENS1_38merge_sort_block_merge_config_selectorIaNS0_10empty_typeEEEZZNS1_27merge_sort_block_merge_implIS3_PaPS5_jNS1_19radix_merge_compareILb0ELb1EaNS0_19identity_decomposerEEEEE10hipError_tT0_T1_T2_jT3_P12ihipStream_tbPNSt15iterator_traitsISE_E10value_typeEPNSK_ISF_E10value_typeEPSG_NS1_7vsmem_tEENKUlT_SE_SF_SG_E_clIS8_S8_S9_S9_EESD_ST_SE_SF_SG_EUlST_E1_NS1_11comp_targetILNS1_3genE2ELNS1_11target_archE906ELNS1_3gpuE6ELNS1_3repE0EEENS1_36merge_oddeven_config_static_selectorELNS0_4arch9wavefront6targetE0EEEvSF_ ; -- Begin function _ZN7rocprim17ROCPRIM_400000_NS6detail17trampoline_kernelINS0_14default_configENS1_38merge_sort_block_merge_config_selectorIaNS0_10empty_typeEEEZZNS1_27merge_sort_block_merge_implIS3_PaPS5_jNS1_19radix_merge_compareILb0ELb1EaNS0_19identity_decomposerEEEEE10hipError_tT0_T1_T2_jT3_P12ihipStream_tbPNSt15iterator_traitsISE_E10value_typeEPNSK_ISF_E10value_typeEPSG_NS1_7vsmem_tEENKUlT_SE_SF_SG_E_clIS8_S8_S9_S9_EESD_ST_SE_SF_SG_EUlST_E1_NS1_11comp_targetILNS1_3genE2ELNS1_11target_archE906ELNS1_3gpuE6ELNS1_3repE0EEENS1_36merge_oddeven_config_static_selectorELNS0_4arch9wavefront6targetE0EEEvSF_
	.globl	_ZN7rocprim17ROCPRIM_400000_NS6detail17trampoline_kernelINS0_14default_configENS1_38merge_sort_block_merge_config_selectorIaNS0_10empty_typeEEEZZNS1_27merge_sort_block_merge_implIS3_PaPS5_jNS1_19radix_merge_compareILb0ELb1EaNS0_19identity_decomposerEEEEE10hipError_tT0_T1_T2_jT3_P12ihipStream_tbPNSt15iterator_traitsISE_E10value_typeEPNSK_ISF_E10value_typeEPSG_NS1_7vsmem_tEENKUlT_SE_SF_SG_E_clIS8_S8_S9_S9_EESD_ST_SE_SF_SG_EUlST_E1_NS1_11comp_targetILNS1_3genE2ELNS1_11target_archE906ELNS1_3gpuE6ELNS1_3repE0EEENS1_36merge_oddeven_config_static_selectorELNS0_4arch9wavefront6targetE0EEEvSF_
	.p2align	8
	.type	_ZN7rocprim17ROCPRIM_400000_NS6detail17trampoline_kernelINS0_14default_configENS1_38merge_sort_block_merge_config_selectorIaNS0_10empty_typeEEEZZNS1_27merge_sort_block_merge_implIS3_PaPS5_jNS1_19radix_merge_compareILb0ELb1EaNS0_19identity_decomposerEEEEE10hipError_tT0_T1_T2_jT3_P12ihipStream_tbPNSt15iterator_traitsISE_E10value_typeEPNSK_ISF_E10value_typeEPSG_NS1_7vsmem_tEENKUlT_SE_SF_SG_E_clIS8_S8_S9_S9_EESD_ST_SE_SF_SG_EUlST_E1_NS1_11comp_targetILNS1_3genE2ELNS1_11target_archE906ELNS1_3gpuE6ELNS1_3repE0EEENS1_36merge_oddeven_config_static_selectorELNS0_4arch9wavefront6targetE0EEEvSF_,@function
_ZN7rocprim17ROCPRIM_400000_NS6detail17trampoline_kernelINS0_14default_configENS1_38merge_sort_block_merge_config_selectorIaNS0_10empty_typeEEEZZNS1_27merge_sort_block_merge_implIS3_PaPS5_jNS1_19radix_merge_compareILb0ELb1EaNS0_19identity_decomposerEEEEE10hipError_tT0_T1_T2_jT3_P12ihipStream_tbPNSt15iterator_traitsISE_E10value_typeEPNSK_ISF_E10value_typeEPSG_NS1_7vsmem_tEENKUlT_SE_SF_SG_E_clIS8_S8_S9_S9_EESD_ST_SE_SF_SG_EUlST_E1_NS1_11comp_targetILNS1_3genE2ELNS1_11target_archE906ELNS1_3gpuE6ELNS1_3repE0EEENS1_36merge_oddeven_config_static_selectorELNS0_4arch9wavefront6targetE0EEEvSF_: ; @_ZN7rocprim17ROCPRIM_400000_NS6detail17trampoline_kernelINS0_14default_configENS1_38merge_sort_block_merge_config_selectorIaNS0_10empty_typeEEEZZNS1_27merge_sort_block_merge_implIS3_PaPS5_jNS1_19radix_merge_compareILb0ELb1EaNS0_19identity_decomposerEEEEE10hipError_tT0_T1_T2_jT3_P12ihipStream_tbPNSt15iterator_traitsISE_E10value_typeEPNSK_ISF_E10value_typeEPSG_NS1_7vsmem_tEENKUlT_SE_SF_SG_E_clIS8_S8_S9_S9_EESD_ST_SE_SF_SG_EUlST_E1_NS1_11comp_targetILNS1_3genE2ELNS1_11target_archE906ELNS1_3gpuE6ELNS1_3repE0EEENS1_36merge_oddeven_config_static_selectorELNS0_4arch9wavefront6targetE0EEEvSF_
; %bb.0:
	.section	.rodata,"a",@progbits
	.p2align	6, 0x0
	.amdhsa_kernel _ZN7rocprim17ROCPRIM_400000_NS6detail17trampoline_kernelINS0_14default_configENS1_38merge_sort_block_merge_config_selectorIaNS0_10empty_typeEEEZZNS1_27merge_sort_block_merge_implIS3_PaPS5_jNS1_19radix_merge_compareILb0ELb1EaNS0_19identity_decomposerEEEEE10hipError_tT0_T1_T2_jT3_P12ihipStream_tbPNSt15iterator_traitsISE_E10value_typeEPNSK_ISF_E10value_typeEPSG_NS1_7vsmem_tEENKUlT_SE_SF_SG_E_clIS8_S8_S9_S9_EESD_ST_SE_SF_SG_EUlST_E1_NS1_11comp_targetILNS1_3genE2ELNS1_11target_archE906ELNS1_3gpuE6ELNS1_3repE0EEENS1_36merge_oddeven_config_static_selectorELNS0_4arch9wavefront6targetE0EEEvSF_
		.amdhsa_group_segment_fixed_size 0
		.amdhsa_private_segment_fixed_size 0
		.amdhsa_kernarg_size 48
		.amdhsa_user_sgpr_count 2
		.amdhsa_user_sgpr_dispatch_ptr 0
		.amdhsa_user_sgpr_queue_ptr 0
		.amdhsa_user_sgpr_kernarg_segment_ptr 1
		.amdhsa_user_sgpr_dispatch_id 0
		.amdhsa_user_sgpr_kernarg_preload_length 0
		.amdhsa_user_sgpr_kernarg_preload_offset 0
		.amdhsa_user_sgpr_private_segment_size 0
		.amdhsa_wavefront_size32 1
		.amdhsa_uses_dynamic_stack 0
		.amdhsa_enable_private_segment 0
		.amdhsa_system_sgpr_workgroup_id_x 1
		.amdhsa_system_sgpr_workgroup_id_y 0
		.amdhsa_system_sgpr_workgroup_id_z 0
		.amdhsa_system_sgpr_workgroup_info 0
		.amdhsa_system_vgpr_workitem_id 0
		.amdhsa_next_free_vgpr 1
		.amdhsa_next_free_sgpr 1
		.amdhsa_named_barrier_count 0
		.amdhsa_reserve_vcc 0
		.amdhsa_float_round_mode_32 0
		.amdhsa_float_round_mode_16_64 0
		.amdhsa_float_denorm_mode_32 3
		.amdhsa_float_denorm_mode_16_64 3
		.amdhsa_fp16_overflow 0
		.amdhsa_memory_ordered 1
		.amdhsa_forward_progress 1
		.amdhsa_inst_pref_size 0
		.amdhsa_round_robin_scheduling 0
		.amdhsa_exception_fp_ieee_invalid_op 0
		.amdhsa_exception_fp_denorm_src 0
		.amdhsa_exception_fp_ieee_div_zero 0
		.amdhsa_exception_fp_ieee_overflow 0
		.amdhsa_exception_fp_ieee_underflow 0
		.amdhsa_exception_fp_ieee_inexact 0
		.amdhsa_exception_int_div_zero 0
	.end_amdhsa_kernel
	.section	.text._ZN7rocprim17ROCPRIM_400000_NS6detail17trampoline_kernelINS0_14default_configENS1_38merge_sort_block_merge_config_selectorIaNS0_10empty_typeEEEZZNS1_27merge_sort_block_merge_implIS3_PaPS5_jNS1_19radix_merge_compareILb0ELb1EaNS0_19identity_decomposerEEEEE10hipError_tT0_T1_T2_jT3_P12ihipStream_tbPNSt15iterator_traitsISE_E10value_typeEPNSK_ISF_E10value_typeEPSG_NS1_7vsmem_tEENKUlT_SE_SF_SG_E_clIS8_S8_S9_S9_EESD_ST_SE_SF_SG_EUlST_E1_NS1_11comp_targetILNS1_3genE2ELNS1_11target_archE906ELNS1_3gpuE6ELNS1_3repE0EEENS1_36merge_oddeven_config_static_selectorELNS0_4arch9wavefront6targetE0EEEvSF_,"axG",@progbits,_ZN7rocprim17ROCPRIM_400000_NS6detail17trampoline_kernelINS0_14default_configENS1_38merge_sort_block_merge_config_selectorIaNS0_10empty_typeEEEZZNS1_27merge_sort_block_merge_implIS3_PaPS5_jNS1_19radix_merge_compareILb0ELb1EaNS0_19identity_decomposerEEEEE10hipError_tT0_T1_T2_jT3_P12ihipStream_tbPNSt15iterator_traitsISE_E10value_typeEPNSK_ISF_E10value_typeEPSG_NS1_7vsmem_tEENKUlT_SE_SF_SG_E_clIS8_S8_S9_S9_EESD_ST_SE_SF_SG_EUlST_E1_NS1_11comp_targetILNS1_3genE2ELNS1_11target_archE906ELNS1_3gpuE6ELNS1_3repE0EEENS1_36merge_oddeven_config_static_selectorELNS0_4arch9wavefront6targetE0EEEvSF_,comdat
.Lfunc_end445:
	.size	_ZN7rocprim17ROCPRIM_400000_NS6detail17trampoline_kernelINS0_14default_configENS1_38merge_sort_block_merge_config_selectorIaNS0_10empty_typeEEEZZNS1_27merge_sort_block_merge_implIS3_PaPS5_jNS1_19radix_merge_compareILb0ELb1EaNS0_19identity_decomposerEEEEE10hipError_tT0_T1_T2_jT3_P12ihipStream_tbPNSt15iterator_traitsISE_E10value_typeEPNSK_ISF_E10value_typeEPSG_NS1_7vsmem_tEENKUlT_SE_SF_SG_E_clIS8_S8_S9_S9_EESD_ST_SE_SF_SG_EUlST_E1_NS1_11comp_targetILNS1_3genE2ELNS1_11target_archE906ELNS1_3gpuE6ELNS1_3repE0EEENS1_36merge_oddeven_config_static_selectorELNS0_4arch9wavefront6targetE0EEEvSF_, .Lfunc_end445-_ZN7rocprim17ROCPRIM_400000_NS6detail17trampoline_kernelINS0_14default_configENS1_38merge_sort_block_merge_config_selectorIaNS0_10empty_typeEEEZZNS1_27merge_sort_block_merge_implIS3_PaPS5_jNS1_19radix_merge_compareILb0ELb1EaNS0_19identity_decomposerEEEEE10hipError_tT0_T1_T2_jT3_P12ihipStream_tbPNSt15iterator_traitsISE_E10value_typeEPNSK_ISF_E10value_typeEPSG_NS1_7vsmem_tEENKUlT_SE_SF_SG_E_clIS8_S8_S9_S9_EESD_ST_SE_SF_SG_EUlST_E1_NS1_11comp_targetILNS1_3genE2ELNS1_11target_archE906ELNS1_3gpuE6ELNS1_3repE0EEENS1_36merge_oddeven_config_static_selectorELNS0_4arch9wavefront6targetE0EEEvSF_
                                        ; -- End function
	.set _ZN7rocprim17ROCPRIM_400000_NS6detail17trampoline_kernelINS0_14default_configENS1_38merge_sort_block_merge_config_selectorIaNS0_10empty_typeEEEZZNS1_27merge_sort_block_merge_implIS3_PaPS5_jNS1_19radix_merge_compareILb0ELb1EaNS0_19identity_decomposerEEEEE10hipError_tT0_T1_T2_jT3_P12ihipStream_tbPNSt15iterator_traitsISE_E10value_typeEPNSK_ISF_E10value_typeEPSG_NS1_7vsmem_tEENKUlT_SE_SF_SG_E_clIS8_S8_S9_S9_EESD_ST_SE_SF_SG_EUlST_E1_NS1_11comp_targetILNS1_3genE2ELNS1_11target_archE906ELNS1_3gpuE6ELNS1_3repE0EEENS1_36merge_oddeven_config_static_selectorELNS0_4arch9wavefront6targetE0EEEvSF_.num_vgpr, 0
	.set _ZN7rocprim17ROCPRIM_400000_NS6detail17trampoline_kernelINS0_14default_configENS1_38merge_sort_block_merge_config_selectorIaNS0_10empty_typeEEEZZNS1_27merge_sort_block_merge_implIS3_PaPS5_jNS1_19radix_merge_compareILb0ELb1EaNS0_19identity_decomposerEEEEE10hipError_tT0_T1_T2_jT3_P12ihipStream_tbPNSt15iterator_traitsISE_E10value_typeEPNSK_ISF_E10value_typeEPSG_NS1_7vsmem_tEENKUlT_SE_SF_SG_E_clIS8_S8_S9_S9_EESD_ST_SE_SF_SG_EUlST_E1_NS1_11comp_targetILNS1_3genE2ELNS1_11target_archE906ELNS1_3gpuE6ELNS1_3repE0EEENS1_36merge_oddeven_config_static_selectorELNS0_4arch9wavefront6targetE0EEEvSF_.num_agpr, 0
	.set _ZN7rocprim17ROCPRIM_400000_NS6detail17trampoline_kernelINS0_14default_configENS1_38merge_sort_block_merge_config_selectorIaNS0_10empty_typeEEEZZNS1_27merge_sort_block_merge_implIS3_PaPS5_jNS1_19radix_merge_compareILb0ELb1EaNS0_19identity_decomposerEEEEE10hipError_tT0_T1_T2_jT3_P12ihipStream_tbPNSt15iterator_traitsISE_E10value_typeEPNSK_ISF_E10value_typeEPSG_NS1_7vsmem_tEENKUlT_SE_SF_SG_E_clIS8_S8_S9_S9_EESD_ST_SE_SF_SG_EUlST_E1_NS1_11comp_targetILNS1_3genE2ELNS1_11target_archE906ELNS1_3gpuE6ELNS1_3repE0EEENS1_36merge_oddeven_config_static_selectorELNS0_4arch9wavefront6targetE0EEEvSF_.numbered_sgpr, 0
	.set _ZN7rocprim17ROCPRIM_400000_NS6detail17trampoline_kernelINS0_14default_configENS1_38merge_sort_block_merge_config_selectorIaNS0_10empty_typeEEEZZNS1_27merge_sort_block_merge_implIS3_PaPS5_jNS1_19radix_merge_compareILb0ELb1EaNS0_19identity_decomposerEEEEE10hipError_tT0_T1_T2_jT3_P12ihipStream_tbPNSt15iterator_traitsISE_E10value_typeEPNSK_ISF_E10value_typeEPSG_NS1_7vsmem_tEENKUlT_SE_SF_SG_E_clIS8_S8_S9_S9_EESD_ST_SE_SF_SG_EUlST_E1_NS1_11comp_targetILNS1_3genE2ELNS1_11target_archE906ELNS1_3gpuE6ELNS1_3repE0EEENS1_36merge_oddeven_config_static_selectorELNS0_4arch9wavefront6targetE0EEEvSF_.num_named_barrier, 0
	.set _ZN7rocprim17ROCPRIM_400000_NS6detail17trampoline_kernelINS0_14default_configENS1_38merge_sort_block_merge_config_selectorIaNS0_10empty_typeEEEZZNS1_27merge_sort_block_merge_implIS3_PaPS5_jNS1_19radix_merge_compareILb0ELb1EaNS0_19identity_decomposerEEEEE10hipError_tT0_T1_T2_jT3_P12ihipStream_tbPNSt15iterator_traitsISE_E10value_typeEPNSK_ISF_E10value_typeEPSG_NS1_7vsmem_tEENKUlT_SE_SF_SG_E_clIS8_S8_S9_S9_EESD_ST_SE_SF_SG_EUlST_E1_NS1_11comp_targetILNS1_3genE2ELNS1_11target_archE906ELNS1_3gpuE6ELNS1_3repE0EEENS1_36merge_oddeven_config_static_selectorELNS0_4arch9wavefront6targetE0EEEvSF_.private_seg_size, 0
	.set _ZN7rocprim17ROCPRIM_400000_NS6detail17trampoline_kernelINS0_14default_configENS1_38merge_sort_block_merge_config_selectorIaNS0_10empty_typeEEEZZNS1_27merge_sort_block_merge_implIS3_PaPS5_jNS1_19radix_merge_compareILb0ELb1EaNS0_19identity_decomposerEEEEE10hipError_tT0_T1_T2_jT3_P12ihipStream_tbPNSt15iterator_traitsISE_E10value_typeEPNSK_ISF_E10value_typeEPSG_NS1_7vsmem_tEENKUlT_SE_SF_SG_E_clIS8_S8_S9_S9_EESD_ST_SE_SF_SG_EUlST_E1_NS1_11comp_targetILNS1_3genE2ELNS1_11target_archE906ELNS1_3gpuE6ELNS1_3repE0EEENS1_36merge_oddeven_config_static_selectorELNS0_4arch9wavefront6targetE0EEEvSF_.uses_vcc, 0
	.set _ZN7rocprim17ROCPRIM_400000_NS6detail17trampoline_kernelINS0_14default_configENS1_38merge_sort_block_merge_config_selectorIaNS0_10empty_typeEEEZZNS1_27merge_sort_block_merge_implIS3_PaPS5_jNS1_19radix_merge_compareILb0ELb1EaNS0_19identity_decomposerEEEEE10hipError_tT0_T1_T2_jT3_P12ihipStream_tbPNSt15iterator_traitsISE_E10value_typeEPNSK_ISF_E10value_typeEPSG_NS1_7vsmem_tEENKUlT_SE_SF_SG_E_clIS8_S8_S9_S9_EESD_ST_SE_SF_SG_EUlST_E1_NS1_11comp_targetILNS1_3genE2ELNS1_11target_archE906ELNS1_3gpuE6ELNS1_3repE0EEENS1_36merge_oddeven_config_static_selectorELNS0_4arch9wavefront6targetE0EEEvSF_.uses_flat_scratch, 0
	.set _ZN7rocprim17ROCPRIM_400000_NS6detail17trampoline_kernelINS0_14default_configENS1_38merge_sort_block_merge_config_selectorIaNS0_10empty_typeEEEZZNS1_27merge_sort_block_merge_implIS3_PaPS5_jNS1_19radix_merge_compareILb0ELb1EaNS0_19identity_decomposerEEEEE10hipError_tT0_T1_T2_jT3_P12ihipStream_tbPNSt15iterator_traitsISE_E10value_typeEPNSK_ISF_E10value_typeEPSG_NS1_7vsmem_tEENKUlT_SE_SF_SG_E_clIS8_S8_S9_S9_EESD_ST_SE_SF_SG_EUlST_E1_NS1_11comp_targetILNS1_3genE2ELNS1_11target_archE906ELNS1_3gpuE6ELNS1_3repE0EEENS1_36merge_oddeven_config_static_selectorELNS0_4arch9wavefront6targetE0EEEvSF_.has_dyn_sized_stack, 0
	.set _ZN7rocprim17ROCPRIM_400000_NS6detail17trampoline_kernelINS0_14default_configENS1_38merge_sort_block_merge_config_selectorIaNS0_10empty_typeEEEZZNS1_27merge_sort_block_merge_implIS3_PaPS5_jNS1_19radix_merge_compareILb0ELb1EaNS0_19identity_decomposerEEEEE10hipError_tT0_T1_T2_jT3_P12ihipStream_tbPNSt15iterator_traitsISE_E10value_typeEPNSK_ISF_E10value_typeEPSG_NS1_7vsmem_tEENKUlT_SE_SF_SG_E_clIS8_S8_S9_S9_EESD_ST_SE_SF_SG_EUlST_E1_NS1_11comp_targetILNS1_3genE2ELNS1_11target_archE906ELNS1_3gpuE6ELNS1_3repE0EEENS1_36merge_oddeven_config_static_selectorELNS0_4arch9wavefront6targetE0EEEvSF_.has_recursion, 0
	.set _ZN7rocprim17ROCPRIM_400000_NS6detail17trampoline_kernelINS0_14default_configENS1_38merge_sort_block_merge_config_selectorIaNS0_10empty_typeEEEZZNS1_27merge_sort_block_merge_implIS3_PaPS5_jNS1_19radix_merge_compareILb0ELb1EaNS0_19identity_decomposerEEEEE10hipError_tT0_T1_T2_jT3_P12ihipStream_tbPNSt15iterator_traitsISE_E10value_typeEPNSK_ISF_E10value_typeEPSG_NS1_7vsmem_tEENKUlT_SE_SF_SG_E_clIS8_S8_S9_S9_EESD_ST_SE_SF_SG_EUlST_E1_NS1_11comp_targetILNS1_3genE2ELNS1_11target_archE906ELNS1_3gpuE6ELNS1_3repE0EEENS1_36merge_oddeven_config_static_selectorELNS0_4arch9wavefront6targetE0EEEvSF_.has_indirect_call, 0
	.section	.AMDGPU.csdata,"",@progbits
; Kernel info:
; codeLenInByte = 0
; TotalNumSgprs: 0
; NumVgprs: 0
; ScratchSize: 0
; MemoryBound: 0
; FloatMode: 240
; IeeeMode: 1
; LDSByteSize: 0 bytes/workgroup (compile time only)
; SGPRBlocks: 0
; VGPRBlocks: 0
; NumSGPRsForWavesPerEU: 1
; NumVGPRsForWavesPerEU: 1
; NamedBarCnt: 0
; Occupancy: 16
; WaveLimiterHint : 0
; COMPUTE_PGM_RSRC2:SCRATCH_EN: 0
; COMPUTE_PGM_RSRC2:USER_SGPR: 2
; COMPUTE_PGM_RSRC2:TRAP_HANDLER: 0
; COMPUTE_PGM_RSRC2:TGID_X_EN: 1
; COMPUTE_PGM_RSRC2:TGID_Y_EN: 0
; COMPUTE_PGM_RSRC2:TGID_Z_EN: 0
; COMPUTE_PGM_RSRC2:TIDIG_COMP_CNT: 0
	.section	.text._ZN7rocprim17ROCPRIM_400000_NS6detail17trampoline_kernelINS0_14default_configENS1_38merge_sort_block_merge_config_selectorIaNS0_10empty_typeEEEZZNS1_27merge_sort_block_merge_implIS3_PaPS5_jNS1_19radix_merge_compareILb0ELb1EaNS0_19identity_decomposerEEEEE10hipError_tT0_T1_T2_jT3_P12ihipStream_tbPNSt15iterator_traitsISE_E10value_typeEPNSK_ISF_E10value_typeEPSG_NS1_7vsmem_tEENKUlT_SE_SF_SG_E_clIS8_S8_S9_S9_EESD_ST_SE_SF_SG_EUlST_E1_NS1_11comp_targetILNS1_3genE9ELNS1_11target_archE1100ELNS1_3gpuE3ELNS1_3repE0EEENS1_36merge_oddeven_config_static_selectorELNS0_4arch9wavefront6targetE0EEEvSF_,"axG",@progbits,_ZN7rocprim17ROCPRIM_400000_NS6detail17trampoline_kernelINS0_14default_configENS1_38merge_sort_block_merge_config_selectorIaNS0_10empty_typeEEEZZNS1_27merge_sort_block_merge_implIS3_PaPS5_jNS1_19radix_merge_compareILb0ELb1EaNS0_19identity_decomposerEEEEE10hipError_tT0_T1_T2_jT3_P12ihipStream_tbPNSt15iterator_traitsISE_E10value_typeEPNSK_ISF_E10value_typeEPSG_NS1_7vsmem_tEENKUlT_SE_SF_SG_E_clIS8_S8_S9_S9_EESD_ST_SE_SF_SG_EUlST_E1_NS1_11comp_targetILNS1_3genE9ELNS1_11target_archE1100ELNS1_3gpuE3ELNS1_3repE0EEENS1_36merge_oddeven_config_static_selectorELNS0_4arch9wavefront6targetE0EEEvSF_,comdat
	.protected	_ZN7rocprim17ROCPRIM_400000_NS6detail17trampoline_kernelINS0_14default_configENS1_38merge_sort_block_merge_config_selectorIaNS0_10empty_typeEEEZZNS1_27merge_sort_block_merge_implIS3_PaPS5_jNS1_19radix_merge_compareILb0ELb1EaNS0_19identity_decomposerEEEEE10hipError_tT0_T1_T2_jT3_P12ihipStream_tbPNSt15iterator_traitsISE_E10value_typeEPNSK_ISF_E10value_typeEPSG_NS1_7vsmem_tEENKUlT_SE_SF_SG_E_clIS8_S8_S9_S9_EESD_ST_SE_SF_SG_EUlST_E1_NS1_11comp_targetILNS1_3genE9ELNS1_11target_archE1100ELNS1_3gpuE3ELNS1_3repE0EEENS1_36merge_oddeven_config_static_selectorELNS0_4arch9wavefront6targetE0EEEvSF_ ; -- Begin function _ZN7rocprim17ROCPRIM_400000_NS6detail17trampoline_kernelINS0_14default_configENS1_38merge_sort_block_merge_config_selectorIaNS0_10empty_typeEEEZZNS1_27merge_sort_block_merge_implIS3_PaPS5_jNS1_19radix_merge_compareILb0ELb1EaNS0_19identity_decomposerEEEEE10hipError_tT0_T1_T2_jT3_P12ihipStream_tbPNSt15iterator_traitsISE_E10value_typeEPNSK_ISF_E10value_typeEPSG_NS1_7vsmem_tEENKUlT_SE_SF_SG_E_clIS8_S8_S9_S9_EESD_ST_SE_SF_SG_EUlST_E1_NS1_11comp_targetILNS1_3genE9ELNS1_11target_archE1100ELNS1_3gpuE3ELNS1_3repE0EEENS1_36merge_oddeven_config_static_selectorELNS0_4arch9wavefront6targetE0EEEvSF_
	.globl	_ZN7rocprim17ROCPRIM_400000_NS6detail17trampoline_kernelINS0_14default_configENS1_38merge_sort_block_merge_config_selectorIaNS0_10empty_typeEEEZZNS1_27merge_sort_block_merge_implIS3_PaPS5_jNS1_19radix_merge_compareILb0ELb1EaNS0_19identity_decomposerEEEEE10hipError_tT0_T1_T2_jT3_P12ihipStream_tbPNSt15iterator_traitsISE_E10value_typeEPNSK_ISF_E10value_typeEPSG_NS1_7vsmem_tEENKUlT_SE_SF_SG_E_clIS8_S8_S9_S9_EESD_ST_SE_SF_SG_EUlST_E1_NS1_11comp_targetILNS1_3genE9ELNS1_11target_archE1100ELNS1_3gpuE3ELNS1_3repE0EEENS1_36merge_oddeven_config_static_selectorELNS0_4arch9wavefront6targetE0EEEvSF_
	.p2align	8
	.type	_ZN7rocprim17ROCPRIM_400000_NS6detail17trampoline_kernelINS0_14default_configENS1_38merge_sort_block_merge_config_selectorIaNS0_10empty_typeEEEZZNS1_27merge_sort_block_merge_implIS3_PaPS5_jNS1_19radix_merge_compareILb0ELb1EaNS0_19identity_decomposerEEEEE10hipError_tT0_T1_T2_jT3_P12ihipStream_tbPNSt15iterator_traitsISE_E10value_typeEPNSK_ISF_E10value_typeEPSG_NS1_7vsmem_tEENKUlT_SE_SF_SG_E_clIS8_S8_S9_S9_EESD_ST_SE_SF_SG_EUlST_E1_NS1_11comp_targetILNS1_3genE9ELNS1_11target_archE1100ELNS1_3gpuE3ELNS1_3repE0EEENS1_36merge_oddeven_config_static_selectorELNS0_4arch9wavefront6targetE0EEEvSF_,@function
_ZN7rocprim17ROCPRIM_400000_NS6detail17trampoline_kernelINS0_14default_configENS1_38merge_sort_block_merge_config_selectorIaNS0_10empty_typeEEEZZNS1_27merge_sort_block_merge_implIS3_PaPS5_jNS1_19radix_merge_compareILb0ELb1EaNS0_19identity_decomposerEEEEE10hipError_tT0_T1_T2_jT3_P12ihipStream_tbPNSt15iterator_traitsISE_E10value_typeEPNSK_ISF_E10value_typeEPSG_NS1_7vsmem_tEENKUlT_SE_SF_SG_E_clIS8_S8_S9_S9_EESD_ST_SE_SF_SG_EUlST_E1_NS1_11comp_targetILNS1_3genE9ELNS1_11target_archE1100ELNS1_3gpuE3ELNS1_3repE0EEENS1_36merge_oddeven_config_static_selectorELNS0_4arch9wavefront6targetE0EEEvSF_: ; @_ZN7rocprim17ROCPRIM_400000_NS6detail17trampoline_kernelINS0_14default_configENS1_38merge_sort_block_merge_config_selectorIaNS0_10empty_typeEEEZZNS1_27merge_sort_block_merge_implIS3_PaPS5_jNS1_19radix_merge_compareILb0ELb1EaNS0_19identity_decomposerEEEEE10hipError_tT0_T1_T2_jT3_P12ihipStream_tbPNSt15iterator_traitsISE_E10value_typeEPNSK_ISF_E10value_typeEPSG_NS1_7vsmem_tEENKUlT_SE_SF_SG_E_clIS8_S8_S9_S9_EESD_ST_SE_SF_SG_EUlST_E1_NS1_11comp_targetILNS1_3genE9ELNS1_11target_archE1100ELNS1_3gpuE3ELNS1_3repE0EEENS1_36merge_oddeven_config_static_selectorELNS0_4arch9wavefront6targetE0EEEvSF_
; %bb.0:
	.section	.rodata,"a",@progbits
	.p2align	6, 0x0
	.amdhsa_kernel _ZN7rocprim17ROCPRIM_400000_NS6detail17trampoline_kernelINS0_14default_configENS1_38merge_sort_block_merge_config_selectorIaNS0_10empty_typeEEEZZNS1_27merge_sort_block_merge_implIS3_PaPS5_jNS1_19radix_merge_compareILb0ELb1EaNS0_19identity_decomposerEEEEE10hipError_tT0_T1_T2_jT3_P12ihipStream_tbPNSt15iterator_traitsISE_E10value_typeEPNSK_ISF_E10value_typeEPSG_NS1_7vsmem_tEENKUlT_SE_SF_SG_E_clIS8_S8_S9_S9_EESD_ST_SE_SF_SG_EUlST_E1_NS1_11comp_targetILNS1_3genE9ELNS1_11target_archE1100ELNS1_3gpuE3ELNS1_3repE0EEENS1_36merge_oddeven_config_static_selectorELNS0_4arch9wavefront6targetE0EEEvSF_
		.amdhsa_group_segment_fixed_size 0
		.amdhsa_private_segment_fixed_size 0
		.amdhsa_kernarg_size 48
		.amdhsa_user_sgpr_count 2
		.amdhsa_user_sgpr_dispatch_ptr 0
		.amdhsa_user_sgpr_queue_ptr 0
		.amdhsa_user_sgpr_kernarg_segment_ptr 1
		.amdhsa_user_sgpr_dispatch_id 0
		.amdhsa_user_sgpr_kernarg_preload_length 0
		.amdhsa_user_sgpr_kernarg_preload_offset 0
		.amdhsa_user_sgpr_private_segment_size 0
		.amdhsa_wavefront_size32 1
		.amdhsa_uses_dynamic_stack 0
		.amdhsa_enable_private_segment 0
		.amdhsa_system_sgpr_workgroup_id_x 1
		.amdhsa_system_sgpr_workgroup_id_y 0
		.amdhsa_system_sgpr_workgroup_id_z 0
		.amdhsa_system_sgpr_workgroup_info 0
		.amdhsa_system_vgpr_workitem_id 0
		.amdhsa_next_free_vgpr 1
		.amdhsa_next_free_sgpr 1
		.amdhsa_named_barrier_count 0
		.amdhsa_reserve_vcc 0
		.amdhsa_float_round_mode_32 0
		.amdhsa_float_round_mode_16_64 0
		.amdhsa_float_denorm_mode_32 3
		.amdhsa_float_denorm_mode_16_64 3
		.amdhsa_fp16_overflow 0
		.amdhsa_memory_ordered 1
		.amdhsa_forward_progress 1
		.amdhsa_inst_pref_size 0
		.amdhsa_round_robin_scheduling 0
		.amdhsa_exception_fp_ieee_invalid_op 0
		.amdhsa_exception_fp_denorm_src 0
		.amdhsa_exception_fp_ieee_div_zero 0
		.amdhsa_exception_fp_ieee_overflow 0
		.amdhsa_exception_fp_ieee_underflow 0
		.amdhsa_exception_fp_ieee_inexact 0
		.amdhsa_exception_int_div_zero 0
	.end_amdhsa_kernel
	.section	.text._ZN7rocprim17ROCPRIM_400000_NS6detail17trampoline_kernelINS0_14default_configENS1_38merge_sort_block_merge_config_selectorIaNS0_10empty_typeEEEZZNS1_27merge_sort_block_merge_implIS3_PaPS5_jNS1_19radix_merge_compareILb0ELb1EaNS0_19identity_decomposerEEEEE10hipError_tT0_T1_T2_jT3_P12ihipStream_tbPNSt15iterator_traitsISE_E10value_typeEPNSK_ISF_E10value_typeEPSG_NS1_7vsmem_tEENKUlT_SE_SF_SG_E_clIS8_S8_S9_S9_EESD_ST_SE_SF_SG_EUlST_E1_NS1_11comp_targetILNS1_3genE9ELNS1_11target_archE1100ELNS1_3gpuE3ELNS1_3repE0EEENS1_36merge_oddeven_config_static_selectorELNS0_4arch9wavefront6targetE0EEEvSF_,"axG",@progbits,_ZN7rocprim17ROCPRIM_400000_NS6detail17trampoline_kernelINS0_14default_configENS1_38merge_sort_block_merge_config_selectorIaNS0_10empty_typeEEEZZNS1_27merge_sort_block_merge_implIS3_PaPS5_jNS1_19radix_merge_compareILb0ELb1EaNS0_19identity_decomposerEEEEE10hipError_tT0_T1_T2_jT3_P12ihipStream_tbPNSt15iterator_traitsISE_E10value_typeEPNSK_ISF_E10value_typeEPSG_NS1_7vsmem_tEENKUlT_SE_SF_SG_E_clIS8_S8_S9_S9_EESD_ST_SE_SF_SG_EUlST_E1_NS1_11comp_targetILNS1_3genE9ELNS1_11target_archE1100ELNS1_3gpuE3ELNS1_3repE0EEENS1_36merge_oddeven_config_static_selectorELNS0_4arch9wavefront6targetE0EEEvSF_,comdat
.Lfunc_end446:
	.size	_ZN7rocprim17ROCPRIM_400000_NS6detail17trampoline_kernelINS0_14default_configENS1_38merge_sort_block_merge_config_selectorIaNS0_10empty_typeEEEZZNS1_27merge_sort_block_merge_implIS3_PaPS5_jNS1_19radix_merge_compareILb0ELb1EaNS0_19identity_decomposerEEEEE10hipError_tT0_T1_T2_jT3_P12ihipStream_tbPNSt15iterator_traitsISE_E10value_typeEPNSK_ISF_E10value_typeEPSG_NS1_7vsmem_tEENKUlT_SE_SF_SG_E_clIS8_S8_S9_S9_EESD_ST_SE_SF_SG_EUlST_E1_NS1_11comp_targetILNS1_3genE9ELNS1_11target_archE1100ELNS1_3gpuE3ELNS1_3repE0EEENS1_36merge_oddeven_config_static_selectorELNS0_4arch9wavefront6targetE0EEEvSF_, .Lfunc_end446-_ZN7rocprim17ROCPRIM_400000_NS6detail17trampoline_kernelINS0_14default_configENS1_38merge_sort_block_merge_config_selectorIaNS0_10empty_typeEEEZZNS1_27merge_sort_block_merge_implIS3_PaPS5_jNS1_19radix_merge_compareILb0ELb1EaNS0_19identity_decomposerEEEEE10hipError_tT0_T1_T2_jT3_P12ihipStream_tbPNSt15iterator_traitsISE_E10value_typeEPNSK_ISF_E10value_typeEPSG_NS1_7vsmem_tEENKUlT_SE_SF_SG_E_clIS8_S8_S9_S9_EESD_ST_SE_SF_SG_EUlST_E1_NS1_11comp_targetILNS1_3genE9ELNS1_11target_archE1100ELNS1_3gpuE3ELNS1_3repE0EEENS1_36merge_oddeven_config_static_selectorELNS0_4arch9wavefront6targetE0EEEvSF_
                                        ; -- End function
	.set _ZN7rocprim17ROCPRIM_400000_NS6detail17trampoline_kernelINS0_14default_configENS1_38merge_sort_block_merge_config_selectorIaNS0_10empty_typeEEEZZNS1_27merge_sort_block_merge_implIS3_PaPS5_jNS1_19radix_merge_compareILb0ELb1EaNS0_19identity_decomposerEEEEE10hipError_tT0_T1_T2_jT3_P12ihipStream_tbPNSt15iterator_traitsISE_E10value_typeEPNSK_ISF_E10value_typeEPSG_NS1_7vsmem_tEENKUlT_SE_SF_SG_E_clIS8_S8_S9_S9_EESD_ST_SE_SF_SG_EUlST_E1_NS1_11comp_targetILNS1_3genE9ELNS1_11target_archE1100ELNS1_3gpuE3ELNS1_3repE0EEENS1_36merge_oddeven_config_static_selectorELNS0_4arch9wavefront6targetE0EEEvSF_.num_vgpr, 0
	.set _ZN7rocprim17ROCPRIM_400000_NS6detail17trampoline_kernelINS0_14default_configENS1_38merge_sort_block_merge_config_selectorIaNS0_10empty_typeEEEZZNS1_27merge_sort_block_merge_implIS3_PaPS5_jNS1_19radix_merge_compareILb0ELb1EaNS0_19identity_decomposerEEEEE10hipError_tT0_T1_T2_jT3_P12ihipStream_tbPNSt15iterator_traitsISE_E10value_typeEPNSK_ISF_E10value_typeEPSG_NS1_7vsmem_tEENKUlT_SE_SF_SG_E_clIS8_S8_S9_S9_EESD_ST_SE_SF_SG_EUlST_E1_NS1_11comp_targetILNS1_3genE9ELNS1_11target_archE1100ELNS1_3gpuE3ELNS1_3repE0EEENS1_36merge_oddeven_config_static_selectorELNS0_4arch9wavefront6targetE0EEEvSF_.num_agpr, 0
	.set _ZN7rocprim17ROCPRIM_400000_NS6detail17trampoline_kernelINS0_14default_configENS1_38merge_sort_block_merge_config_selectorIaNS0_10empty_typeEEEZZNS1_27merge_sort_block_merge_implIS3_PaPS5_jNS1_19radix_merge_compareILb0ELb1EaNS0_19identity_decomposerEEEEE10hipError_tT0_T1_T2_jT3_P12ihipStream_tbPNSt15iterator_traitsISE_E10value_typeEPNSK_ISF_E10value_typeEPSG_NS1_7vsmem_tEENKUlT_SE_SF_SG_E_clIS8_S8_S9_S9_EESD_ST_SE_SF_SG_EUlST_E1_NS1_11comp_targetILNS1_3genE9ELNS1_11target_archE1100ELNS1_3gpuE3ELNS1_3repE0EEENS1_36merge_oddeven_config_static_selectorELNS0_4arch9wavefront6targetE0EEEvSF_.numbered_sgpr, 0
	.set _ZN7rocprim17ROCPRIM_400000_NS6detail17trampoline_kernelINS0_14default_configENS1_38merge_sort_block_merge_config_selectorIaNS0_10empty_typeEEEZZNS1_27merge_sort_block_merge_implIS3_PaPS5_jNS1_19radix_merge_compareILb0ELb1EaNS0_19identity_decomposerEEEEE10hipError_tT0_T1_T2_jT3_P12ihipStream_tbPNSt15iterator_traitsISE_E10value_typeEPNSK_ISF_E10value_typeEPSG_NS1_7vsmem_tEENKUlT_SE_SF_SG_E_clIS8_S8_S9_S9_EESD_ST_SE_SF_SG_EUlST_E1_NS1_11comp_targetILNS1_3genE9ELNS1_11target_archE1100ELNS1_3gpuE3ELNS1_3repE0EEENS1_36merge_oddeven_config_static_selectorELNS0_4arch9wavefront6targetE0EEEvSF_.num_named_barrier, 0
	.set _ZN7rocprim17ROCPRIM_400000_NS6detail17trampoline_kernelINS0_14default_configENS1_38merge_sort_block_merge_config_selectorIaNS0_10empty_typeEEEZZNS1_27merge_sort_block_merge_implIS3_PaPS5_jNS1_19radix_merge_compareILb0ELb1EaNS0_19identity_decomposerEEEEE10hipError_tT0_T1_T2_jT3_P12ihipStream_tbPNSt15iterator_traitsISE_E10value_typeEPNSK_ISF_E10value_typeEPSG_NS1_7vsmem_tEENKUlT_SE_SF_SG_E_clIS8_S8_S9_S9_EESD_ST_SE_SF_SG_EUlST_E1_NS1_11comp_targetILNS1_3genE9ELNS1_11target_archE1100ELNS1_3gpuE3ELNS1_3repE0EEENS1_36merge_oddeven_config_static_selectorELNS0_4arch9wavefront6targetE0EEEvSF_.private_seg_size, 0
	.set _ZN7rocprim17ROCPRIM_400000_NS6detail17trampoline_kernelINS0_14default_configENS1_38merge_sort_block_merge_config_selectorIaNS0_10empty_typeEEEZZNS1_27merge_sort_block_merge_implIS3_PaPS5_jNS1_19radix_merge_compareILb0ELb1EaNS0_19identity_decomposerEEEEE10hipError_tT0_T1_T2_jT3_P12ihipStream_tbPNSt15iterator_traitsISE_E10value_typeEPNSK_ISF_E10value_typeEPSG_NS1_7vsmem_tEENKUlT_SE_SF_SG_E_clIS8_S8_S9_S9_EESD_ST_SE_SF_SG_EUlST_E1_NS1_11comp_targetILNS1_3genE9ELNS1_11target_archE1100ELNS1_3gpuE3ELNS1_3repE0EEENS1_36merge_oddeven_config_static_selectorELNS0_4arch9wavefront6targetE0EEEvSF_.uses_vcc, 0
	.set _ZN7rocprim17ROCPRIM_400000_NS6detail17trampoline_kernelINS0_14default_configENS1_38merge_sort_block_merge_config_selectorIaNS0_10empty_typeEEEZZNS1_27merge_sort_block_merge_implIS3_PaPS5_jNS1_19radix_merge_compareILb0ELb1EaNS0_19identity_decomposerEEEEE10hipError_tT0_T1_T2_jT3_P12ihipStream_tbPNSt15iterator_traitsISE_E10value_typeEPNSK_ISF_E10value_typeEPSG_NS1_7vsmem_tEENKUlT_SE_SF_SG_E_clIS8_S8_S9_S9_EESD_ST_SE_SF_SG_EUlST_E1_NS1_11comp_targetILNS1_3genE9ELNS1_11target_archE1100ELNS1_3gpuE3ELNS1_3repE0EEENS1_36merge_oddeven_config_static_selectorELNS0_4arch9wavefront6targetE0EEEvSF_.uses_flat_scratch, 0
	.set _ZN7rocprim17ROCPRIM_400000_NS6detail17trampoline_kernelINS0_14default_configENS1_38merge_sort_block_merge_config_selectorIaNS0_10empty_typeEEEZZNS1_27merge_sort_block_merge_implIS3_PaPS5_jNS1_19radix_merge_compareILb0ELb1EaNS0_19identity_decomposerEEEEE10hipError_tT0_T1_T2_jT3_P12ihipStream_tbPNSt15iterator_traitsISE_E10value_typeEPNSK_ISF_E10value_typeEPSG_NS1_7vsmem_tEENKUlT_SE_SF_SG_E_clIS8_S8_S9_S9_EESD_ST_SE_SF_SG_EUlST_E1_NS1_11comp_targetILNS1_3genE9ELNS1_11target_archE1100ELNS1_3gpuE3ELNS1_3repE0EEENS1_36merge_oddeven_config_static_selectorELNS0_4arch9wavefront6targetE0EEEvSF_.has_dyn_sized_stack, 0
	.set _ZN7rocprim17ROCPRIM_400000_NS6detail17trampoline_kernelINS0_14default_configENS1_38merge_sort_block_merge_config_selectorIaNS0_10empty_typeEEEZZNS1_27merge_sort_block_merge_implIS3_PaPS5_jNS1_19radix_merge_compareILb0ELb1EaNS0_19identity_decomposerEEEEE10hipError_tT0_T1_T2_jT3_P12ihipStream_tbPNSt15iterator_traitsISE_E10value_typeEPNSK_ISF_E10value_typeEPSG_NS1_7vsmem_tEENKUlT_SE_SF_SG_E_clIS8_S8_S9_S9_EESD_ST_SE_SF_SG_EUlST_E1_NS1_11comp_targetILNS1_3genE9ELNS1_11target_archE1100ELNS1_3gpuE3ELNS1_3repE0EEENS1_36merge_oddeven_config_static_selectorELNS0_4arch9wavefront6targetE0EEEvSF_.has_recursion, 0
	.set _ZN7rocprim17ROCPRIM_400000_NS6detail17trampoline_kernelINS0_14default_configENS1_38merge_sort_block_merge_config_selectorIaNS0_10empty_typeEEEZZNS1_27merge_sort_block_merge_implIS3_PaPS5_jNS1_19radix_merge_compareILb0ELb1EaNS0_19identity_decomposerEEEEE10hipError_tT0_T1_T2_jT3_P12ihipStream_tbPNSt15iterator_traitsISE_E10value_typeEPNSK_ISF_E10value_typeEPSG_NS1_7vsmem_tEENKUlT_SE_SF_SG_E_clIS8_S8_S9_S9_EESD_ST_SE_SF_SG_EUlST_E1_NS1_11comp_targetILNS1_3genE9ELNS1_11target_archE1100ELNS1_3gpuE3ELNS1_3repE0EEENS1_36merge_oddeven_config_static_selectorELNS0_4arch9wavefront6targetE0EEEvSF_.has_indirect_call, 0
	.section	.AMDGPU.csdata,"",@progbits
; Kernel info:
; codeLenInByte = 0
; TotalNumSgprs: 0
; NumVgprs: 0
; ScratchSize: 0
; MemoryBound: 0
; FloatMode: 240
; IeeeMode: 1
; LDSByteSize: 0 bytes/workgroup (compile time only)
; SGPRBlocks: 0
; VGPRBlocks: 0
; NumSGPRsForWavesPerEU: 1
; NumVGPRsForWavesPerEU: 1
; NamedBarCnt: 0
; Occupancy: 16
; WaveLimiterHint : 0
; COMPUTE_PGM_RSRC2:SCRATCH_EN: 0
; COMPUTE_PGM_RSRC2:USER_SGPR: 2
; COMPUTE_PGM_RSRC2:TRAP_HANDLER: 0
; COMPUTE_PGM_RSRC2:TGID_X_EN: 1
; COMPUTE_PGM_RSRC2:TGID_Y_EN: 0
; COMPUTE_PGM_RSRC2:TGID_Z_EN: 0
; COMPUTE_PGM_RSRC2:TIDIG_COMP_CNT: 0
	.section	.text._ZN7rocprim17ROCPRIM_400000_NS6detail17trampoline_kernelINS0_14default_configENS1_38merge_sort_block_merge_config_selectorIaNS0_10empty_typeEEEZZNS1_27merge_sort_block_merge_implIS3_PaPS5_jNS1_19radix_merge_compareILb0ELb1EaNS0_19identity_decomposerEEEEE10hipError_tT0_T1_T2_jT3_P12ihipStream_tbPNSt15iterator_traitsISE_E10value_typeEPNSK_ISF_E10value_typeEPSG_NS1_7vsmem_tEENKUlT_SE_SF_SG_E_clIS8_S8_S9_S9_EESD_ST_SE_SF_SG_EUlST_E1_NS1_11comp_targetILNS1_3genE8ELNS1_11target_archE1030ELNS1_3gpuE2ELNS1_3repE0EEENS1_36merge_oddeven_config_static_selectorELNS0_4arch9wavefront6targetE0EEEvSF_,"axG",@progbits,_ZN7rocprim17ROCPRIM_400000_NS6detail17trampoline_kernelINS0_14default_configENS1_38merge_sort_block_merge_config_selectorIaNS0_10empty_typeEEEZZNS1_27merge_sort_block_merge_implIS3_PaPS5_jNS1_19radix_merge_compareILb0ELb1EaNS0_19identity_decomposerEEEEE10hipError_tT0_T1_T2_jT3_P12ihipStream_tbPNSt15iterator_traitsISE_E10value_typeEPNSK_ISF_E10value_typeEPSG_NS1_7vsmem_tEENKUlT_SE_SF_SG_E_clIS8_S8_S9_S9_EESD_ST_SE_SF_SG_EUlST_E1_NS1_11comp_targetILNS1_3genE8ELNS1_11target_archE1030ELNS1_3gpuE2ELNS1_3repE0EEENS1_36merge_oddeven_config_static_selectorELNS0_4arch9wavefront6targetE0EEEvSF_,comdat
	.protected	_ZN7rocprim17ROCPRIM_400000_NS6detail17trampoline_kernelINS0_14default_configENS1_38merge_sort_block_merge_config_selectorIaNS0_10empty_typeEEEZZNS1_27merge_sort_block_merge_implIS3_PaPS5_jNS1_19radix_merge_compareILb0ELb1EaNS0_19identity_decomposerEEEEE10hipError_tT0_T1_T2_jT3_P12ihipStream_tbPNSt15iterator_traitsISE_E10value_typeEPNSK_ISF_E10value_typeEPSG_NS1_7vsmem_tEENKUlT_SE_SF_SG_E_clIS8_S8_S9_S9_EESD_ST_SE_SF_SG_EUlST_E1_NS1_11comp_targetILNS1_3genE8ELNS1_11target_archE1030ELNS1_3gpuE2ELNS1_3repE0EEENS1_36merge_oddeven_config_static_selectorELNS0_4arch9wavefront6targetE0EEEvSF_ ; -- Begin function _ZN7rocprim17ROCPRIM_400000_NS6detail17trampoline_kernelINS0_14default_configENS1_38merge_sort_block_merge_config_selectorIaNS0_10empty_typeEEEZZNS1_27merge_sort_block_merge_implIS3_PaPS5_jNS1_19radix_merge_compareILb0ELb1EaNS0_19identity_decomposerEEEEE10hipError_tT0_T1_T2_jT3_P12ihipStream_tbPNSt15iterator_traitsISE_E10value_typeEPNSK_ISF_E10value_typeEPSG_NS1_7vsmem_tEENKUlT_SE_SF_SG_E_clIS8_S8_S9_S9_EESD_ST_SE_SF_SG_EUlST_E1_NS1_11comp_targetILNS1_3genE8ELNS1_11target_archE1030ELNS1_3gpuE2ELNS1_3repE0EEENS1_36merge_oddeven_config_static_selectorELNS0_4arch9wavefront6targetE0EEEvSF_
	.globl	_ZN7rocprim17ROCPRIM_400000_NS6detail17trampoline_kernelINS0_14default_configENS1_38merge_sort_block_merge_config_selectorIaNS0_10empty_typeEEEZZNS1_27merge_sort_block_merge_implIS3_PaPS5_jNS1_19radix_merge_compareILb0ELb1EaNS0_19identity_decomposerEEEEE10hipError_tT0_T1_T2_jT3_P12ihipStream_tbPNSt15iterator_traitsISE_E10value_typeEPNSK_ISF_E10value_typeEPSG_NS1_7vsmem_tEENKUlT_SE_SF_SG_E_clIS8_S8_S9_S9_EESD_ST_SE_SF_SG_EUlST_E1_NS1_11comp_targetILNS1_3genE8ELNS1_11target_archE1030ELNS1_3gpuE2ELNS1_3repE0EEENS1_36merge_oddeven_config_static_selectorELNS0_4arch9wavefront6targetE0EEEvSF_
	.p2align	8
	.type	_ZN7rocprim17ROCPRIM_400000_NS6detail17trampoline_kernelINS0_14default_configENS1_38merge_sort_block_merge_config_selectorIaNS0_10empty_typeEEEZZNS1_27merge_sort_block_merge_implIS3_PaPS5_jNS1_19radix_merge_compareILb0ELb1EaNS0_19identity_decomposerEEEEE10hipError_tT0_T1_T2_jT3_P12ihipStream_tbPNSt15iterator_traitsISE_E10value_typeEPNSK_ISF_E10value_typeEPSG_NS1_7vsmem_tEENKUlT_SE_SF_SG_E_clIS8_S8_S9_S9_EESD_ST_SE_SF_SG_EUlST_E1_NS1_11comp_targetILNS1_3genE8ELNS1_11target_archE1030ELNS1_3gpuE2ELNS1_3repE0EEENS1_36merge_oddeven_config_static_selectorELNS0_4arch9wavefront6targetE0EEEvSF_,@function
_ZN7rocprim17ROCPRIM_400000_NS6detail17trampoline_kernelINS0_14default_configENS1_38merge_sort_block_merge_config_selectorIaNS0_10empty_typeEEEZZNS1_27merge_sort_block_merge_implIS3_PaPS5_jNS1_19radix_merge_compareILb0ELb1EaNS0_19identity_decomposerEEEEE10hipError_tT0_T1_T2_jT3_P12ihipStream_tbPNSt15iterator_traitsISE_E10value_typeEPNSK_ISF_E10value_typeEPSG_NS1_7vsmem_tEENKUlT_SE_SF_SG_E_clIS8_S8_S9_S9_EESD_ST_SE_SF_SG_EUlST_E1_NS1_11comp_targetILNS1_3genE8ELNS1_11target_archE1030ELNS1_3gpuE2ELNS1_3repE0EEENS1_36merge_oddeven_config_static_selectorELNS0_4arch9wavefront6targetE0EEEvSF_: ; @_ZN7rocprim17ROCPRIM_400000_NS6detail17trampoline_kernelINS0_14default_configENS1_38merge_sort_block_merge_config_selectorIaNS0_10empty_typeEEEZZNS1_27merge_sort_block_merge_implIS3_PaPS5_jNS1_19radix_merge_compareILb0ELb1EaNS0_19identity_decomposerEEEEE10hipError_tT0_T1_T2_jT3_P12ihipStream_tbPNSt15iterator_traitsISE_E10value_typeEPNSK_ISF_E10value_typeEPSG_NS1_7vsmem_tEENKUlT_SE_SF_SG_E_clIS8_S8_S9_S9_EESD_ST_SE_SF_SG_EUlST_E1_NS1_11comp_targetILNS1_3genE8ELNS1_11target_archE1030ELNS1_3gpuE2ELNS1_3repE0EEENS1_36merge_oddeven_config_static_selectorELNS0_4arch9wavefront6targetE0EEEvSF_
; %bb.0:
	.section	.rodata,"a",@progbits
	.p2align	6, 0x0
	.amdhsa_kernel _ZN7rocprim17ROCPRIM_400000_NS6detail17trampoline_kernelINS0_14default_configENS1_38merge_sort_block_merge_config_selectorIaNS0_10empty_typeEEEZZNS1_27merge_sort_block_merge_implIS3_PaPS5_jNS1_19radix_merge_compareILb0ELb1EaNS0_19identity_decomposerEEEEE10hipError_tT0_T1_T2_jT3_P12ihipStream_tbPNSt15iterator_traitsISE_E10value_typeEPNSK_ISF_E10value_typeEPSG_NS1_7vsmem_tEENKUlT_SE_SF_SG_E_clIS8_S8_S9_S9_EESD_ST_SE_SF_SG_EUlST_E1_NS1_11comp_targetILNS1_3genE8ELNS1_11target_archE1030ELNS1_3gpuE2ELNS1_3repE0EEENS1_36merge_oddeven_config_static_selectorELNS0_4arch9wavefront6targetE0EEEvSF_
		.amdhsa_group_segment_fixed_size 0
		.amdhsa_private_segment_fixed_size 0
		.amdhsa_kernarg_size 48
		.amdhsa_user_sgpr_count 2
		.amdhsa_user_sgpr_dispatch_ptr 0
		.amdhsa_user_sgpr_queue_ptr 0
		.amdhsa_user_sgpr_kernarg_segment_ptr 1
		.amdhsa_user_sgpr_dispatch_id 0
		.amdhsa_user_sgpr_kernarg_preload_length 0
		.amdhsa_user_sgpr_kernarg_preload_offset 0
		.amdhsa_user_sgpr_private_segment_size 0
		.amdhsa_wavefront_size32 1
		.amdhsa_uses_dynamic_stack 0
		.amdhsa_enable_private_segment 0
		.amdhsa_system_sgpr_workgroup_id_x 1
		.amdhsa_system_sgpr_workgroup_id_y 0
		.amdhsa_system_sgpr_workgroup_id_z 0
		.amdhsa_system_sgpr_workgroup_info 0
		.amdhsa_system_vgpr_workitem_id 0
		.amdhsa_next_free_vgpr 1
		.amdhsa_next_free_sgpr 1
		.amdhsa_named_barrier_count 0
		.amdhsa_reserve_vcc 0
		.amdhsa_float_round_mode_32 0
		.amdhsa_float_round_mode_16_64 0
		.amdhsa_float_denorm_mode_32 3
		.amdhsa_float_denorm_mode_16_64 3
		.amdhsa_fp16_overflow 0
		.amdhsa_memory_ordered 1
		.amdhsa_forward_progress 1
		.amdhsa_inst_pref_size 0
		.amdhsa_round_robin_scheduling 0
		.amdhsa_exception_fp_ieee_invalid_op 0
		.amdhsa_exception_fp_denorm_src 0
		.amdhsa_exception_fp_ieee_div_zero 0
		.amdhsa_exception_fp_ieee_overflow 0
		.amdhsa_exception_fp_ieee_underflow 0
		.amdhsa_exception_fp_ieee_inexact 0
		.amdhsa_exception_int_div_zero 0
	.end_amdhsa_kernel
	.section	.text._ZN7rocprim17ROCPRIM_400000_NS6detail17trampoline_kernelINS0_14default_configENS1_38merge_sort_block_merge_config_selectorIaNS0_10empty_typeEEEZZNS1_27merge_sort_block_merge_implIS3_PaPS5_jNS1_19radix_merge_compareILb0ELb1EaNS0_19identity_decomposerEEEEE10hipError_tT0_T1_T2_jT3_P12ihipStream_tbPNSt15iterator_traitsISE_E10value_typeEPNSK_ISF_E10value_typeEPSG_NS1_7vsmem_tEENKUlT_SE_SF_SG_E_clIS8_S8_S9_S9_EESD_ST_SE_SF_SG_EUlST_E1_NS1_11comp_targetILNS1_3genE8ELNS1_11target_archE1030ELNS1_3gpuE2ELNS1_3repE0EEENS1_36merge_oddeven_config_static_selectorELNS0_4arch9wavefront6targetE0EEEvSF_,"axG",@progbits,_ZN7rocprim17ROCPRIM_400000_NS6detail17trampoline_kernelINS0_14default_configENS1_38merge_sort_block_merge_config_selectorIaNS0_10empty_typeEEEZZNS1_27merge_sort_block_merge_implIS3_PaPS5_jNS1_19radix_merge_compareILb0ELb1EaNS0_19identity_decomposerEEEEE10hipError_tT0_T1_T2_jT3_P12ihipStream_tbPNSt15iterator_traitsISE_E10value_typeEPNSK_ISF_E10value_typeEPSG_NS1_7vsmem_tEENKUlT_SE_SF_SG_E_clIS8_S8_S9_S9_EESD_ST_SE_SF_SG_EUlST_E1_NS1_11comp_targetILNS1_3genE8ELNS1_11target_archE1030ELNS1_3gpuE2ELNS1_3repE0EEENS1_36merge_oddeven_config_static_selectorELNS0_4arch9wavefront6targetE0EEEvSF_,comdat
.Lfunc_end447:
	.size	_ZN7rocprim17ROCPRIM_400000_NS6detail17trampoline_kernelINS0_14default_configENS1_38merge_sort_block_merge_config_selectorIaNS0_10empty_typeEEEZZNS1_27merge_sort_block_merge_implIS3_PaPS5_jNS1_19radix_merge_compareILb0ELb1EaNS0_19identity_decomposerEEEEE10hipError_tT0_T1_T2_jT3_P12ihipStream_tbPNSt15iterator_traitsISE_E10value_typeEPNSK_ISF_E10value_typeEPSG_NS1_7vsmem_tEENKUlT_SE_SF_SG_E_clIS8_S8_S9_S9_EESD_ST_SE_SF_SG_EUlST_E1_NS1_11comp_targetILNS1_3genE8ELNS1_11target_archE1030ELNS1_3gpuE2ELNS1_3repE0EEENS1_36merge_oddeven_config_static_selectorELNS0_4arch9wavefront6targetE0EEEvSF_, .Lfunc_end447-_ZN7rocprim17ROCPRIM_400000_NS6detail17trampoline_kernelINS0_14default_configENS1_38merge_sort_block_merge_config_selectorIaNS0_10empty_typeEEEZZNS1_27merge_sort_block_merge_implIS3_PaPS5_jNS1_19radix_merge_compareILb0ELb1EaNS0_19identity_decomposerEEEEE10hipError_tT0_T1_T2_jT3_P12ihipStream_tbPNSt15iterator_traitsISE_E10value_typeEPNSK_ISF_E10value_typeEPSG_NS1_7vsmem_tEENKUlT_SE_SF_SG_E_clIS8_S8_S9_S9_EESD_ST_SE_SF_SG_EUlST_E1_NS1_11comp_targetILNS1_3genE8ELNS1_11target_archE1030ELNS1_3gpuE2ELNS1_3repE0EEENS1_36merge_oddeven_config_static_selectorELNS0_4arch9wavefront6targetE0EEEvSF_
                                        ; -- End function
	.set _ZN7rocprim17ROCPRIM_400000_NS6detail17trampoline_kernelINS0_14default_configENS1_38merge_sort_block_merge_config_selectorIaNS0_10empty_typeEEEZZNS1_27merge_sort_block_merge_implIS3_PaPS5_jNS1_19radix_merge_compareILb0ELb1EaNS0_19identity_decomposerEEEEE10hipError_tT0_T1_T2_jT3_P12ihipStream_tbPNSt15iterator_traitsISE_E10value_typeEPNSK_ISF_E10value_typeEPSG_NS1_7vsmem_tEENKUlT_SE_SF_SG_E_clIS8_S8_S9_S9_EESD_ST_SE_SF_SG_EUlST_E1_NS1_11comp_targetILNS1_3genE8ELNS1_11target_archE1030ELNS1_3gpuE2ELNS1_3repE0EEENS1_36merge_oddeven_config_static_selectorELNS0_4arch9wavefront6targetE0EEEvSF_.num_vgpr, 0
	.set _ZN7rocprim17ROCPRIM_400000_NS6detail17trampoline_kernelINS0_14default_configENS1_38merge_sort_block_merge_config_selectorIaNS0_10empty_typeEEEZZNS1_27merge_sort_block_merge_implIS3_PaPS5_jNS1_19radix_merge_compareILb0ELb1EaNS0_19identity_decomposerEEEEE10hipError_tT0_T1_T2_jT3_P12ihipStream_tbPNSt15iterator_traitsISE_E10value_typeEPNSK_ISF_E10value_typeEPSG_NS1_7vsmem_tEENKUlT_SE_SF_SG_E_clIS8_S8_S9_S9_EESD_ST_SE_SF_SG_EUlST_E1_NS1_11comp_targetILNS1_3genE8ELNS1_11target_archE1030ELNS1_3gpuE2ELNS1_3repE0EEENS1_36merge_oddeven_config_static_selectorELNS0_4arch9wavefront6targetE0EEEvSF_.num_agpr, 0
	.set _ZN7rocprim17ROCPRIM_400000_NS6detail17trampoline_kernelINS0_14default_configENS1_38merge_sort_block_merge_config_selectorIaNS0_10empty_typeEEEZZNS1_27merge_sort_block_merge_implIS3_PaPS5_jNS1_19radix_merge_compareILb0ELb1EaNS0_19identity_decomposerEEEEE10hipError_tT0_T1_T2_jT3_P12ihipStream_tbPNSt15iterator_traitsISE_E10value_typeEPNSK_ISF_E10value_typeEPSG_NS1_7vsmem_tEENKUlT_SE_SF_SG_E_clIS8_S8_S9_S9_EESD_ST_SE_SF_SG_EUlST_E1_NS1_11comp_targetILNS1_3genE8ELNS1_11target_archE1030ELNS1_3gpuE2ELNS1_3repE0EEENS1_36merge_oddeven_config_static_selectorELNS0_4arch9wavefront6targetE0EEEvSF_.numbered_sgpr, 0
	.set _ZN7rocprim17ROCPRIM_400000_NS6detail17trampoline_kernelINS0_14default_configENS1_38merge_sort_block_merge_config_selectorIaNS0_10empty_typeEEEZZNS1_27merge_sort_block_merge_implIS3_PaPS5_jNS1_19radix_merge_compareILb0ELb1EaNS0_19identity_decomposerEEEEE10hipError_tT0_T1_T2_jT3_P12ihipStream_tbPNSt15iterator_traitsISE_E10value_typeEPNSK_ISF_E10value_typeEPSG_NS1_7vsmem_tEENKUlT_SE_SF_SG_E_clIS8_S8_S9_S9_EESD_ST_SE_SF_SG_EUlST_E1_NS1_11comp_targetILNS1_3genE8ELNS1_11target_archE1030ELNS1_3gpuE2ELNS1_3repE0EEENS1_36merge_oddeven_config_static_selectorELNS0_4arch9wavefront6targetE0EEEvSF_.num_named_barrier, 0
	.set _ZN7rocprim17ROCPRIM_400000_NS6detail17trampoline_kernelINS0_14default_configENS1_38merge_sort_block_merge_config_selectorIaNS0_10empty_typeEEEZZNS1_27merge_sort_block_merge_implIS3_PaPS5_jNS1_19radix_merge_compareILb0ELb1EaNS0_19identity_decomposerEEEEE10hipError_tT0_T1_T2_jT3_P12ihipStream_tbPNSt15iterator_traitsISE_E10value_typeEPNSK_ISF_E10value_typeEPSG_NS1_7vsmem_tEENKUlT_SE_SF_SG_E_clIS8_S8_S9_S9_EESD_ST_SE_SF_SG_EUlST_E1_NS1_11comp_targetILNS1_3genE8ELNS1_11target_archE1030ELNS1_3gpuE2ELNS1_3repE0EEENS1_36merge_oddeven_config_static_selectorELNS0_4arch9wavefront6targetE0EEEvSF_.private_seg_size, 0
	.set _ZN7rocprim17ROCPRIM_400000_NS6detail17trampoline_kernelINS0_14default_configENS1_38merge_sort_block_merge_config_selectorIaNS0_10empty_typeEEEZZNS1_27merge_sort_block_merge_implIS3_PaPS5_jNS1_19radix_merge_compareILb0ELb1EaNS0_19identity_decomposerEEEEE10hipError_tT0_T1_T2_jT3_P12ihipStream_tbPNSt15iterator_traitsISE_E10value_typeEPNSK_ISF_E10value_typeEPSG_NS1_7vsmem_tEENKUlT_SE_SF_SG_E_clIS8_S8_S9_S9_EESD_ST_SE_SF_SG_EUlST_E1_NS1_11comp_targetILNS1_3genE8ELNS1_11target_archE1030ELNS1_3gpuE2ELNS1_3repE0EEENS1_36merge_oddeven_config_static_selectorELNS0_4arch9wavefront6targetE0EEEvSF_.uses_vcc, 0
	.set _ZN7rocprim17ROCPRIM_400000_NS6detail17trampoline_kernelINS0_14default_configENS1_38merge_sort_block_merge_config_selectorIaNS0_10empty_typeEEEZZNS1_27merge_sort_block_merge_implIS3_PaPS5_jNS1_19radix_merge_compareILb0ELb1EaNS0_19identity_decomposerEEEEE10hipError_tT0_T1_T2_jT3_P12ihipStream_tbPNSt15iterator_traitsISE_E10value_typeEPNSK_ISF_E10value_typeEPSG_NS1_7vsmem_tEENKUlT_SE_SF_SG_E_clIS8_S8_S9_S9_EESD_ST_SE_SF_SG_EUlST_E1_NS1_11comp_targetILNS1_3genE8ELNS1_11target_archE1030ELNS1_3gpuE2ELNS1_3repE0EEENS1_36merge_oddeven_config_static_selectorELNS0_4arch9wavefront6targetE0EEEvSF_.uses_flat_scratch, 0
	.set _ZN7rocprim17ROCPRIM_400000_NS6detail17trampoline_kernelINS0_14default_configENS1_38merge_sort_block_merge_config_selectorIaNS0_10empty_typeEEEZZNS1_27merge_sort_block_merge_implIS3_PaPS5_jNS1_19radix_merge_compareILb0ELb1EaNS0_19identity_decomposerEEEEE10hipError_tT0_T1_T2_jT3_P12ihipStream_tbPNSt15iterator_traitsISE_E10value_typeEPNSK_ISF_E10value_typeEPSG_NS1_7vsmem_tEENKUlT_SE_SF_SG_E_clIS8_S8_S9_S9_EESD_ST_SE_SF_SG_EUlST_E1_NS1_11comp_targetILNS1_3genE8ELNS1_11target_archE1030ELNS1_3gpuE2ELNS1_3repE0EEENS1_36merge_oddeven_config_static_selectorELNS0_4arch9wavefront6targetE0EEEvSF_.has_dyn_sized_stack, 0
	.set _ZN7rocprim17ROCPRIM_400000_NS6detail17trampoline_kernelINS0_14default_configENS1_38merge_sort_block_merge_config_selectorIaNS0_10empty_typeEEEZZNS1_27merge_sort_block_merge_implIS3_PaPS5_jNS1_19radix_merge_compareILb0ELb1EaNS0_19identity_decomposerEEEEE10hipError_tT0_T1_T2_jT3_P12ihipStream_tbPNSt15iterator_traitsISE_E10value_typeEPNSK_ISF_E10value_typeEPSG_NS1_7vsmem_tEENKUlT_SE_SF_SG_E_clIS8_S8_S9_S9_EESD_ST_SE_SF_SG_EUlST_E1_NS1_11comp_targetILNS1_3genE8ELNS1_11target_archE1030ELNS1_3gpuE2ELNS1_3repE0EEENS1_36merge_oddeven_config_static_selectorELNS0_4arch9wavefront6targetE0EEEvSF_.has_recursion, 0
	.set _ZN7rocprim17ROCPRIM_400000_NS6detail17trampoline_kernelINS0_14default_configENS1_38merge_sort_block_merge_config_selectorIaNS0_10empty_typeEEEZZNS1_27merge_sort_block_merge_implIS3_PaPS5_jNS1_19radix_merge_compareILb0ELb1EaNS0_19identity_decomposerEEEEE10hipError_tT0_T1_T2_jT3_P12ihipStream_tbPNSt15iterator_traitsISE_E10value_typeEPNSK_ISF_E10value_typeEPSG_NS1_7vsmem_tEENKUlT_SE_SF_SG_E_clIS8_S8_S9_S9_EESD_ST_SE_SF_SG_EUlST_E1_NS1_11comp_targetILNS1_3genE8ELNS1_11target_archE1030ELNS1_3gpuE2ELNS1_3repE0EEENS1_36merge_oddeven_config_static_selectorELNS0_4arch9wavefront6targetE0EEEvSF_.has_indirect_call, 0
	.section	.AMDGPU.csdata,"",@progbits
; Kernel info:
; codeLenInByte = 0
; TotalNumSgprs: 0
; NumVgprs: 0
; ScratchSize: 0
; MemoryBound: 0
; FloatMode: 240
; IeeeMode: 1
; LDSByteSize: 0 bytes/workgroup (compile time only)
; SGPRBlocks: 0
; VGPRBlocks: 0
; NumSGPRsForWavesPerEU: 1
; NumVGPRsForWavesPerEU: 1
; NamedBarCnt: 0
; Occupancy: 16
; WaveLimiterHint : 0
; COMPUTE_PGM_RSRC2:SCRATCH_EN: 0
; COMPUTE_PGM_RSRC2:USER_SGPR: 2
; COMPUTE_PGM_RSRC2:TRAP_HANDLER: 0
; COMPUTE_PGM_RSRC2:TGID_X_EN: 1
; COMPUTE_PGM_RSRC2:TGID_Y_EN: 0
; COMPUTE_PGM_RSRC2:TGID_Z_EN: 0
; COMPUTE_PGM_RSRC2:TIDIG_COMP_CNT: 0
	.section	.text._ZN7rocprim17ROCPRIM_400000_NS6detail17trampoline_kernelINS0_14default_configENS1_35radix_sort_onesweep_config_selectorIaNS0_10empty_typeEEEZNS1_34radix_sort_onesweep_global_offsetsIS3_Lb0EPKaPS5_mNS0_19identity_decomposerEEE10hipError_tT1_T2_PT3_SF_jT4_jjP12ihipStream_tbEUlT_E_NS1_11comp_targetILNS1_3genE0ELNS1_11target_archE4294967295ELNS1_3gpuE0ELNS1_3repE0EEENS1_52radix_sort_onesweep_histogram_config_static_selectorELNS0_4arch9wavefront6targetE0EEEvSD_,"axG",@progbits,_ZN7rocprim17ROCPRIM_400000_NS6detail17trampoline_kernelINS0_14default_configENS1_35radix_sort_onesweep_config_selectorIaNS0_10empty_typeEEEZNS1_34radix_sort_onesweep_global_offsetsIS3_Lb0EPKaPS5_mNS0_19identity_decomposerEEE10hipError_tT1_T2_PT3_SF_jT4_jjP12ihipStream_tbEUlT_E_NS1_11comp_targetILNS1_3genE0ELNS1_11target_archE4294967295ELNS1_3gpuE0ELNS1_3repE0EEENS1_52radix_sort_onesweep_histogram_config_static_selectorELNS0_4arch9wavefront6targetE0EEEvSD_,comdat
	.protected	_ZN7rocprim17ROCPRIM_400000_NS6detail17trampoline_kernelINS0_14default_configENS1_35radix_sort_onesweep_config_selectorIaNS0_10empty_typeEEEZNS1_34radix_sort_onesweep_global_offsetsIS3_Lb0EPKaPS5_mNS0_19identity_decomposerEEE10hipError_tT1_T2_PT3_SF_jT4_jjP12ihipStream_tbEUlT_E_NS1_11comp_targetILNS1_3genE0ELNS1_11target_archE4294967295ELNS1_3gpuE0ELNS1_3repE0EEENS1_52radix_sort_onesweep_histogram_config_static_selectorELNS0_4arch9wavefront6targetE0EEEvSD_ ; -- Begin function _ZN7rocprim17ROCPRIM_400000_NS6detail17trampoline_kernelINS0_14default_configENS1_35radix_sort_onesweep_config_selectorIaNS0_10empty_typeEEEZNS1_34radix_sort_onesweep_global_offsetsIS3_Lb0EPKaPS5_mNS0_19identity_decomposerEEE10hipError_tT1_T2_PT3_SF_jT4_jjP12ihipStream_tbEUlT_E_NS1_11comp_targetILNS1_3genE0ELNS1_11target_archE4294967295ELNS1_3gpuE0ELNS1_3repE0EEENS1_52radix_sort_onesweep_histogram_config_static_selectorELNS0_4arch9wavefront6targetE0EEEvSD_
	.globl	_ZN7rocprim17ROCPRIM_400000_NS6detail17trampoline_kernelINS0_14default_configENS1_35radix_sort_onesweep_config_selectorIaNS0_10empty_typeEEEZNS1_34radix_sort_onesweep_global_offsetsIS3_Lb0EPKaPS5_mNS0_19identity_decomposerEEE10hipError_tT1_T2_PT3_SF_jT4_jjP12ihipStream_tbEUlT_E_NS1_11comp_targetILNS1_3genE0ELNS1_11target_archE4294967295ELNS1_3gpuE0ELNS1_3repE0EEENS1_52radix_sort_onesweep_histogram_config_static_selectorELNS0_4arch9wavefront6targetE0EEEvSD_
	.p2align	8
	.type	_ZN7rocprim17ROCPRIM_400000_NS6detail17trampoline_kernelINS0_14default_configENS1_35radix_sort_onesweep_config_selectorIaNS0_10empty_typeEEEZNS1_34radix_sort_onesweep_global_offsetsIS3_Lb0EPKaPS5_mNS0_19identity_decomposerEEE10hipError_tT1_T2_PT3_SF_jT4_jjP12ihipStream_tbEUlT_E_NS1_11comp_targetILNS1_3genE0ELNS1_11target_archE4294967295ELNS1_3gpuE0ELNS1_3repE0EEENS1_52radix_sort_onesweep_histogram_config_static_selectorELNS0_4arch9wavefront6targetE0EEEvSD_,@function
_ZN7rocprim17ROCPRIM_400000_NS6detail17trampoline_kernelINS0_14default_configENS1_35radix_sort_onesweep_config_selectorIaNS0_10empty_typeEEEZNS1_34radix_sort_onesweep_global_offsetsIS3_Lb0EPKaPS5_mNS0_19identity_decomposerEEE10hipError_tT1_T2_PT3_SF_jT4_jjP12ihipStream_tbEUlT_E_NS1_11comp_targetILNS1_3genE0ELNS1_11target_archE4294967295ELNS1_3gpuE0ELNS1_3repE0EEENS1_52radix_sort_onesweep_histogram_config_static_selectorELNS0_4arch9wavefront6targetE0EEEvSD_: ; @_ZN7rocprim17ROCPRIM_400000_NS6detail17trampoline_kernelINS0_14default_configENS1_35radix_sort_onesweep_config_selectorIaNS0_10empty_typeEEEZNS1_34radix_sort_onesweep_global_offsetsIS3_Lb0EPKaPS5_mNS0_19identity_decomposerEEE10hipError_tT1_T2_PT3_SF_jT4_jjP12ihipStream_tbEUlT_E_NS1_11comp_targetILNS1_3genE0ELNS1_11target_archE4294967295ELNS1_3gpuE0ELNS1_3repE0EEENS1_52radix_sort_onesweep_histogram_config_static_selectorELNS0_4arch9wavefront6targetE0EEEvSD_
; %bb.0:
	s_clause 0x1
	s_load_b64 s[8:9], s[0:1], 0x18
	s_load_b128 s[4:7], s[0:1], 0x0
	s_bfe_u32 s10, ttmp6, 0x4000c
	s_load_b64 s[2:3], s[0:1], 0x24
	s_add_co_i32 s10, s10, 1
	s_and_b32 s11, ttmp6, 15
	s_mul_i32 s10, ttmp9, s10
	s_getreg_b32 s12, hwreg(HW_REG_IB_STS2, 6, 4)
	s_add_co_i32 s10, s11, s10
	s_cmp_eq_u32 s12, 0
	s_mov_b32 s11, 0
	s_cselect_b32 s10, ttmp9, s10
	v_and_b32_e32 v1, 3, v0
	s_wait_kmcnt 0x0
	v_cmp_le_u64_e64 s9, s[8:9], s[10:11]
	s_mul_u64 s[10:11], s[10:11], 0x5800
	s_delay_alu instid0(SALU_CYCLE_1)
	s_add_nc_u64 s[4:5], s[4:5], s[10:11]
	s_and_b32 vcc_lo, exec_lo, s9
	s_mov_b32 s9, -1
	s_cbranch_vccz .LBB448_207
; %bb.1:
	s_load_b32 s1, s[0:1], 0x10
	v_dual_mov_b32 v21, 0 :: v_dual_mov_b32 v23, 0
	v_dual_mov_b32 v20, 0 :: v_dual_mov_b32 v19, 0
	;; [unrolled: 1-line block ×10, first 2 shown]
	v_mov_b32_e32 v2, 0
	s_wait_xcnt 0x0
	s_mul_i32 s0, s8, 0xffffa800
	s_wait_kmcnt 0x0
	s_add_co_i32 s1, s1, s0
	s_mov_b32 s0, exec_lo
	v_cmpx_gt_u32_e64 s1, v0
	s_cbranch_execz .LBB448_3
; %bb.2:
	global_load_u8 v23, v0, s[4:5]
	v_dual_mov_b32 v20, 0 :: v_dual_mov_b32 v19, 0
	v_dual_mov_b32 v18, 0 :: v_dual_mov_b32 v17, 0
	;; [unrolled: 1-line block ×9, first 2 shown]
	v_mov_b32_e32 v2, 0
.LBB448_3:
	s_wait_xcnt 0x0
	s_or_b32 exec_lo, exec_lo, s0
	v_or_b32_e32 v22, 0x400, v0
	v_mov_b32_e32 v24, v21
	s_mov_b32 s0, exec_lo
	s_delay_alu instid0(VALU_DEP_2)
	v_cmpx_gt_u32_e64 s1, v22
	s_cbranch_execz .LBB448_5
; %bb.4:
	global_load_u8 v24, v0, s[4:5] offset:1024
.LBB448_5:
	s_wait_xcnt 0x0
	s_or_b32 exec_lo, exec_lo, s0
	v_or_b32_e32 v25, 0x800, v0
	s_mov_b32 s0, exec_lo
	s_delay_alu instid0(VALU_DEP_1)
	v_cmpx_gt_u32_e64 s1, v25
	s_cbranch_execz .LBB448_7
; %bb.6:
	global_load_u8 v21, v0, s[4:5] offset:2048
.LBB448_7:
	s_wait_xcnt 0x0
	s_or_b32 exec_lo, exec_lo, s0
	v_or_b32_e32 v26, 0xc00, v0
	s_mov_b32 s0, exec_lo
	s_delay_alu instid0(VALU_DEP_1)
	;; [unrolled: 10-line block ×20, first 2 shown]
	v_cmpx_gt_u32_e64 s1, v44
	s_cbranch_execz .LBB448_45
; %bb.44:
	global_load_u8 v2, v0, s[4:5] offset:21504
.LBB448_45:
	s_wait_xcnt 0x0
	s_or_b32 exec_lo, exec_lo, s0
	s_delay_alu instid0(SALU_CYCLE_1)
	s_mov_b32 s0, exec_lo
	v_cmpx_gt_u32_e32 0x80, v0
; %bb.46:
	v_dual_mov_b32 v46, 0 :: v_dual_lshlrev_b32 v45, 2, v0
	ds_store_b32 v45, v46
; %bb.47:
	s_or_b32 exec_lo, exec_lo, s0
	s_cmp_le_u32 s3, s2
	s_wait_loadcnt 0x0
	v_xor_b32_e32 v23, 0x80, v23
	s_cselect_b32 s8, -1, 0
	v_cmp_le_u32_e32 vcc_lo, s1, v0
	s_and_b32 s0, s8, exec_lo
	s_cselect_b32 s9, 8, 10
	v_and_b32_e32 v23, 0xff, v23
	v_mov_b32_e32 v45, s9
	s_nor_b32 s10, s8, vcc_lo
	s_wait_dscnt 0x0
	s_barrier_signal -1
	s_barrier_wait -1
	s_and_saveexec_b32 s0, s10
	s_cbranch_execz .LBB448_49
; %bb.48:
	v_dual_lshrrev_b32 v45, s2, v23 :: v_dual_lshlrev_b32 v46, 2, v1
	s_sub_co_i32 s10, s3, s2
	s_delay_alu instid0(SALU_CYCLE_1)
	s_min_u32 s10, s10, 4
	s_delay_alu instid0(VALU_DEP_1) | instid1(SALU_CYCLE_1)
	v_bfe_u32 v45, v45, 0, s10
	s_delay_alu instid0(VALU_DEP_1)
	v_lshl_or_b32 v45, v45, 4, v46
	v_mov_b32_e32 v46, 1
	ds_add_u32 v45, v46
	v_mov_b32_e32 v45, 0
.LBB448_49:
	s_or_b32 exec_lo, exec_lo, s0
	s_mov_b32 s10, -1
	s_mov_b32 s11, exec_lo
	s_delay_alu instid0(VALU_DEP_1)
	v_cmpx_gt_i32_e32 10, v45
; %bb.50:
	v_cmp_eq_u32_e64 s0, 0, v45
	s_or_not1_b32 s10, s0, exec_lo
; %bb.51:
	s_or_b32 exec_lo, exec_lo, s11
	s_and_saveexec_b32 s0, s10
	s_cbranch_execz .LBB448_54
; %bb.52:
	s_add_co_i32 s10, s2, 4
	s_delay_alu instid0(SALU_CYCLE_1) | instskip(SKIP_2) | instid1(SALU_CYCLE_1)
	s_cmp_gt_u32 s3, s10
	s_cselect_b32 s11, -1, 0
	s_xor_b32 s12, vcc_lo, -1
	s_and_b32 s11, s11, s12
	s_delay_alu instid0(SALU_CYCLE_1)
	s_and_b32 exec_lo, exec_lo, s11
	s_cbranch_execz .LBB448_54
; %bb.53:
	v_dual_lshrrev_b32 v23, s10, v23 :: v_dual_lshlrev_b32 v45, 2, v1
	s_sub_co_i32 s10, s3, s10
	s_delay_alu instid0(SALU_CYCLE_1)
	s_min_u32 s10, s10, 4
	s_delay_alu instid0(VALU_DEP_1) | instid1(SALU_CYCLE_1)
	v_bfe_u32 v23, v23, 0, s10
	s_delay_alu instid0(VALU_DEP_1)
	v_lshl_or_b32 v23, v23, 4, v45
	v_mov_b32_e32 v45, 1
	ds_add_u32 v23, v45 offset:256
.LBB448_54:
	s_or_b32 exec_lo, exec_lo, s0
	v_xor_b32_e32 v23, 0x80, v24
	v_cmp_le_u32_e32 vcc_lo, s1, v22
	s_delay_alu instid0(VALU_DEP_2) | instskip(SKIP_2) | instid1(SALU_CYCLE_1)
	v_and_b32_e32 v22, 0xff, v23
	v_mov_b32_e32 v23, s9
	s_nor_b32 s10, s8, vcc_lo
	s_and_saveexec_b32 s0, s10
	s_cbranch_execz .LBB448_56
; %bb.55:
	v_dual_lshrrev_b32 v23, s2, v22 :: v_dual_lshlrev_b32 v24, 2, v1
	s_sub_co_i32 s10, s3, s2
	s_delay_alu instid0(SALU_CYCLE_1)
	s_min_u32 s10, s10, 4
	s_delay_alu instid0(VALU_DEP_1) | instid1(SALU_CYCLE_1)
	v_bfe_u32 v23, v23, 0, s10
	s_delay_alu instid0(VALU_DEP_1)
	v_lshl_or_b32 v23, v23, 4, v24
	v_mov_b32_e32 v24, 1
	ds_add_u32 v23, v24
	v_mov_b32_e32 v23, 0
.LBB448_56:
	s_or_b32 exec_lo, exec_lo, s0
	s_mov_b32 s10, -1
	s_mov_b32 s11, exec_lo
	s_delay_alu instid0(VALU_DEP_1)
	v_cmpx_gt_i32_e32 10, v23
; %bb.57:
	v_cmp_eq_u32_e64 s0, 0, v23
	s_or_not1_b32 s10, s0, exec_lo
; %bb.58:
	s_or_b32 exec_lo, exec_lo, s11
	s_and_saveexec_b32 s0, s10
	s_cbranch_execz .LBB448_61
; %bb.59:
	s_add_co_i32 s10, s2, 4
	s_delay_alu instid0(SALU_CYCLE_1) | instskip(SKIP_2) | instid1(SALU_CYCLE_1)
	s_cmp_gt_u32 s3, s10
	s_cselect_b32 s11, -1, 0
	s_xor_b32 s12, vcc_lo, -1
	s_and_b32 s11, s11, s12
	s_delay_alu instid0(SALU_CYCLE_1)
	s_and_b32 exec_lo, exec_lo, s11
	s_cbranch_execz .LBB448_61
; %bb.60:
	v_dual_lshrrev_b32 v22, s10, v22 :: v_dual_lshlrev_b32 v23, 2, v1
	s_sub_co_i32 s10, s3, s10
	s_delay_alu instid0(SALU_CYCLE_1)
	s_min_u32 s10, s10, 4
	s_delay_alu instid0(VALU_DEP_1) | instid1(SALU_CYCLE_1)
	v_bfe_u32 v22, v22, 0, s10
	s_delay_alu instid0(VALU_DEP_1)
	v_lshl_or_b32 v22, v22, 4, v23
	v_mov_b32_e32 v23, 1
	ds_add_u32 v22, v23 offset:256
.LBB448_61:
	s_or_b32 exec_lo, exec_lo, s0
	v_xor_b32_e32 v21, 0x80, v21
	v_cmp_le_u32_e32 vcc_lo, s1, v25
	v_mov_b32_e32 v22, s9
	s_delay_alu instid0(VALU_DEP_3) | instskip(SKIP_1) | instid1(SALU_CYCLE_1)
	v_and_b32_e32 v21, 0xff, v21
	s_nor_b32 s10, s8, vcc_lo
	s_and_saveexec_b32 s0, s10
	s_cbranch_execz .LBB448_63
; %bb.62:
	s_delay_alu instid0(VALU_DEP_1)
	v_lshrrev_b32_e32 v22, s2, v21
	s_sub_co_i32 s10, s3, s2
	v_lshlrev_b32_e32 v23, 2, v1
	s_min_u32 s10, s10, 4
	s_delay_alu instid0(VALU_DEP_2) | instid1(SALU_CYCLE_1)
	v_bfe_u32 v22, v22, 0, s10
	s_delay_alu instid0(VALU_DEP_1)
	v_lshl_or_b32 v22, v22, 4, v23
	v_mov_b32_e32 v23, 1
	ds_add_u32 v22, v23
	v_mov_b32_e32 v22, 0
.LBB448_63:
	s_or_b32 exec_lo, exec_lo, s0
	s_mov_b32 s10, -1
	s_mov_b32 s11, exec_lo
	s_delay_alu instid0(VALU_DEP_1)
	v_cmpx_gt_i32_e32 10, v22
; %bb.64:
	v_cmp_eq_u32_e64 s0, 0, v22
	s_or_not1_b32 s10, s0, exec_lo
; %bb.65:
	s_or_b32 exec_lo, exec_lo, s11
	s_and_saveexec_b32 s0, s10
	s_cbranch_execz .LBB448_68
; %bb.66:
	s_add_co_i32 s10, s2, 4
	s_delay_alu instid0(SALU_CYCLE_1) | instskip(SKIP_2) | instid1(SALU_CYCLE_1)
	s_cmp_gt_u32 s3, s10
	s_cselect_b32 s11, -1, 0
	s_xor_b32 s12, vcc_lo, -1
	s_and_b32 s11, s11, s12
	s_delay_alu instid0(SALU_CYCLE_1)
	s_and_b32 exec_lo, exec_lo, s11
	s_cbranch_execz .LBB448_68
; %bb.67:
	v_lshrrev_b32_e32 v21, s10, v21
	s_sub_co_i32 s10, s3, s10
	v_lshlrev_b32_e32 v22, 2, v1
	s_min_u32 s10, s10, 4
	s_delay_alu instid0(VALU_DEP_2) | instid1(SALU_CYCLE_1)
	v_bfe_u32 v21, v21, 0, s10
	s_delay_alu instid0(VALU_DEP_1)
	v_lshl_or_b32 v21, v21, 4, v22
	v_mov_b32_e32 v22, 1
	ds_add_u32 v21, v22 offset:256
.LBB448_68:
	s_or_b32 exec_lo, exec_lo, s0
	v_xor_b32_e32 v20, 0x80, v20
	v_cmp_le_u32_e32 vcc_lo, s1, v26
	v_mov_b32_e32 v21, s9
	s_delay_alu instid0(VALU_DEP_3) | instskip(SKIP_1) | instid1(SALU_CYCLE_1)
	v_and_b32_e32 v20, 0xff, v20
	s_nor_b32 s10, s8, vcc_lo
	s_and_saveexec_b32 s0, s10
	s_cbranch_execz .LBB448_70
; %bb.69:
	s_delay_alu instid0(VALU_DEP_1) | instskip(SKIP_1) | instid1(SALU_CYCLE_1)
	v_dual_lshrrev_b32 v21, s2, v20 :: v_dual_lshlrev_b32 v22, 2, v1
	s_sub_co_i32 s10, s3, s2
	s_min_u32 s10, s10, 4
	s_delay_alu instid0(VALU_DEP_1) | instid1(SALU_CYCLE_1)
	v_bfe_u32 v21, v21, 0, s10
	s_delay_alu instid0(VALU_DEP_1)
	v_lshl_or_b32 v21, v21, 4, v22
	v_mov_b32_e32 v22, 1
	ds_add_u32 v21, v22
	v_mov_b32_e32 v21, 0
.LBB448_70:
	s_or_b32 exec_lo, exec_lo, s0
	s_mov_b32 s10, -1
	s_mov_b32 s11, exec_lo
	s_delay_alu instid0(VALU_DEP_1)
	v_cmpx_gt_i32_e32 10, v21
; %bb.71:
	v_cmp_eq_u32_e64 s0, 0, v21
	s_or_not1_b32 s10, s0, exec_lo
; %bb.72:
	s_or_b32 exec_lo, exec_lo, s11
	s_and_saveexec_b32 s0, s10
	s_cbranch_execz .LBB448_75
; %bb.73:
	s_add_co_i32 s10, s2, 4
	s_delay_alu instid0(SALU_CYCLE_1) | instskip(SKIP_2) | instid1(SALU_CYCLE_1)
	s_cmp_gt_u32 s3, s10
	s_cselect_b32 s11, -1, 0
	s_xor_b32 s12, vcc_lo, -1
	s_and_b32 s11, s11, s12
	s_delay_alu instid0(SALU_CYCLE_1)
	s_and_b32 exec_lo, exec_lo, s11
	s_cbranch_execz .LBB448_75
; %bb.74:
	v_dual_lshrrev_b32 v20, s10, v20 :: v_dual_lshlrev_b32 v21, 2, v1
	s_sub_co_i32 s10, s3, s10
	s_delay_alu instid0(SALU_CYCLE_1)
	s_min_u32 s10, s10, 4
	s_delay_alu instid0(VALU_DEP_1) | instid1(SALU_CYCLE_1)
	v_bfe_u32 v20, v20, 0, s10
	s_delay_alu instid0(VALU_DEP_1)
	v_lshl_or_b32 v20, v20, 4, v21
	v_mov_b32_e32 v21, 1
	ds_add_u32 v20, v21 offset:256
.LBB448_75:
	s_or_b32 exec_lo, exec_lo, s0
	v_xor_b32_e32 v19, 0x80, v19
	v_cmp_le_u32_e32 vcc_lo, s1, v27
	v_mov_b32_e32 v20, s9
	s_delay_alu instid0(VALU_DEP_3) | instskip(SKIP_1) | instid1(SALU_CYCLE_1)
	v_and_b32_e32 v19, 0xff, v19
	s_nor_b32 s10, s8, vcc_lo
	s_and_saveexec_b32 s0, s10
	s_cbranch_execz .LBB448_77
; %bb.76:
	s_delay_alu instid0(VALU_DEP_1) | instskip(SKIP_1) | instid1(SALU_CYCLE_1)
	v_dual_lshrrev_b32 v20, s2, v19 :: v_dual_lshlrev_b32 v21, 2, v1
	s_sub_co_i32 s10, s3, s2
	s_min_u32 s10, s10, 4
	s_delay_alu instid0(VALU_DEP_1) | instid1(SALU_CYCLE_1)
	v_bfe_u32 v20, v20, 0, s10
	s_delay_alu instid0(VALU_DEP_1)
	v_lshl_or_b32 v20, v20, 4, v21
	v_mov_b32_e32 v21, 1
	ds_add_u32 v20, v21
	v_mov_b32_e32 v20, 0
.LBB448_77:
	s_or_b32 exec_lo, exec_lo, s0
	s_mov_b32 s10, -1
	s_mov_b32 s11, exec_lo
	s_delay_alu instid0(VALU_DEP_1)
	v_cmpx_gt_i32_e32 10, v20
; %bb.78:
	v_cmp_eq_u32_e64 s0, 0, v20
	s_or_not1_b32 s10, s0, exec_lo
; %bb.79:
	s_or_b32 exec_lo, exec_lo, s11
	s_and_saveexec_b32 s0, s10
	s_cbranch_execz .LBB448_82
; %bb.80:
	s_add_co_i32 s10, s2, 4
	s_delay_alu instid0(SALU_CYCLE_1) | instskip(SKIP_2) | instid1(SALU_CYCLE_1)
	s_cmp_gt_u32 s3, s10
	s_cselect_b32 s11, -1, 0
	s_xor_b32 s12, vcc_lo, -1
	s_and_b32 s11, s11, s12
	s_delay_alu instid0(SALU_CYCLE_1)
	s_and_b32 exec_lo, exec_lo, s11
	s_cbranch_execz .LBB448_82
; %bb.81:
	v_dual_lshrrev_b32 v19, s10, v19 :: v_dual_lshlrev_b32 v20, 2, v1
	s_sub_co_i32 s10, s3, s10
	s_delay_alu instid0(SALU_CYCLE_1)
	s_min_u32 s10, s10, 4
	s_delay_alu instid0(VALU_DEP_1) | instid1(SALU_CYCLE_1)
	v_bfe_u32 v19, v19, 0, s10
	s_delay_alu instid0(VALU_DEP_1)
	v_lshl_or_b32 v19, v19, 4, v20
	v_mov_b32_e32 v20, 1
	ds_add_u32 v19, v20 offset:256
.LBB448_82:
	;; [unrolled: 56-line block ×3, first 2 shown]
	s_or_b32 exec_lo, exec_lo, s0
	v_xor_b32_e32 v17, 0x80, v17
	v_cmp_le_u32_e32 vcc_lo, s1, v29
	v_mov_b32_e32 v18, s9
	s_delay_alu instid0(VALU_DEP_3) | instskip(SKIP_1) | instid1(SALU_CYCLE_1)
	v_and_b32_e32 v17, 0xff, v17
	s_nor_b32 s10, s8, vcc_lo
	s_and_saveexec_b32 s0, s10
	s_cbranch_execz .LBB448_91
; %bb.90:
	s_delay_alu instid0(VALU_DEP_1)
	v_lshrrev_b32_e32 v18, s2, v17
	s_sub_co_i32 s10, s3, s2
	v_lshlrev_b32_e32 v19, 2, v1
	s_min_u32 s10, s10, 4
	s_delay_alu instid0(VALU_DEP_2) | instid1(SALU_CYCLE_1)
	v_bfe_u32 v18, v18, 0, s10
	s_delay_alu instid0(VALU_DEP_1)
	v_lshl_or_b32 v18, v18, 4, v19
	v_mov_b32_e32 v19, 1
	ds_add_u32 v18, v19
	v_mov_b32_e32 v18, 0
.LBB448_91:
	s_or_b32 exec_lo, exec_lo, s0
	s_mov_b32 s10, -1
	s_mov_b32 s11, exec_lo
	s_delay_alu instid0(VALU_DEP_1)
	v_cmpx_gt_i32_e32 10, v18
; %bb.92:
	v_cmp_eq_u32_e64 s0, 0, v18
	s_or_not1_b32 s10, s0, exec_lo
; %bb.93:
	s_or_b32 exec_lo, exec_lo, s11
	s_and_saveexec_b32 s0, s10
	s_cbranch_execz .LBB448_96
; %bb.94:
	s_add_co_i32 s10, s2, 4
	s_delay_alu instid0(SALU_CYCLE_1) | instskip(SKIP_2) | instid1(SALU_CYCLE_1)
	s_cmp_gt_u32 s3, s10
	s_cselect_b32 s11, -1, 0
	s_xor_b32 s12, vcc_lo, -1
	s_and_b32 s11, s11, s12
	s_delay_alu instid0(SALU_CYCLE_1)
	s_and_b32 exec_lo, exec_lo, s11
	s_cbranch_execz .LBB448_96
; %bb.95:
	v_lshrrev_b32_e32 v17, s10, v17
	s_sub_co_i32 s10, s3, s10
	v_lshlrev_b32_e32 v18, 2, v1
	s_min_u32 s10, s10, 4
	s_delay_alu instid0(VALU_DEP_2) | instid1(SALU_CYCLE_1)
	v_bfe_u32 v17, v17, 0, s10
	s_delay_alu instid0(VALU_DEP_1)
	v_lshl_or_b32 v17, v17, 4, v18
	v_mov_b32_e32 v18, 1
	ds_add_u32 v17, v18 offset:256
.LBB448_96:
	s_or_b32 exec_lo, exec_lo, s0
	v_xor_b32_e32 v16, 0x80, v16
	v_cmp_le_u32_e32 vcc_lo, s1, v30
	v_mov_b32_e32 v17, s9
	s_delay_alu instid0(VALU_DEP_3) | instskip(SKIP_1) | instid1(SALU_CYCLE_1)
	v_and_b32_e32 v16, 0xff, v16
	s_nor_b32 s10, s8, vcc_lo
	s_and_saveexec_b32 s0, s10
	s_cbranch_execz .LBB448_98
; %bb.97:
	s_delay_alu instid0(VALU_DEP_1) | instskip(SKIP_1) | instid1(SALU_CYCLE_1)
	v_dual_lshrrev_b32 v17, s2, v16 :: v_dual_lshlrev_b32 v18, 2, v1
	s_sub_co_i32 s10, s3, s2
	s_min_u32 s10, s10, 4
	s_delay_alu instid0(VALU_DEP_1) | instid1(SALU_CYCLE_1)
	v_bfe_u32 v17, v17, 0, s10
	s_delay_alu instid0(VALU_DEP_1)
	v_lshl_or_b32 v17, v17, 4, v18
	v_mov_b32_e32 v18, 1
	ds_add_u32 v17, v18
	v_mov_b32_e32 v17, 0
.LBB448_98:
	s_or_b32 exec_lo, exec_lo, s0
	s_mov_b32 s10, -1
	s_mov_b32 s11, exec_lo
	s_delay_alu instid0(VALU_DEP_1)
	v_cmpx_gt_i32_e32 10, v17
; %bb.99:
	v_cmp_eq_u32_e64 s0, 0, v17
	s_or_not1_b32 s10, s0, exec_lo
; %bb.100:
	s_or_b32 exec_lo, exec_lo, s11
	s_and_saveexec_b32 s0, s10
	s_cbranch_execz .LBB448_103
; %bb.101:
	s_add_co_i32 s10, s2, 4
	s_delay_alu instid0(SALU_CYCLE_1) | instskip(SKIP_2) | instid1(SALU_CYCLE_1)
	s_cmp_gt_u32 s3, s10
	s_cselect_b32 s11, -1, 0
	s_xor_b32 s12, vcc_lo, -1
	s_and_b32 s11, s11, s12
	s_delay_alu instid0(SALU_CYCLE_1)
	s_and_b32 exec_lo, exec_lo, s11
	s_cbranch_execz .LBB448_103
; %bb.102:
	v_dual_lshrrev_b32 v16, s10, v16 :: v_dual_lshlrev_b32 v17, 2, v1
	s_sub_co_i32 s10, s3, s10
	s_delay_alu instid0(SALU_CYCLE_1)
	s_min_u32 s10, s10, 4
	s_delay_alu instid0(VALU_DEP_1) | instid1(SALU_CYCLE_1)
	v_bfe_u32 v16, v16, 0, s10
	s_delay_alu instid0(VALU_DEP_1)
	v_lshl_or_b32 v16, v16, 4, v17
	v_mov_b32_e32 v17, 1
	ds_add_u32 v16, v17 offset:256
.LBB448_103:
	s_or_b32 exec_lo, exec_lo, s0
	v_xor_b32_e32 v15, 0x80, v15
	v_cmp_le_u32_e32 vcc_lo, s1, v31
	v_mov_b32_e32 v16, s9
	s_delay_alu instid0(VALU_DEP_3) | instskip(SKIP_1) | instid1(SALU_CYCLE_1)
	v_and_b32_e32 v15, 0xff, v15
	s_nor_b32 s10, s8, vcc_lo
	s_and_saveexec_b32 s0, s10
	s_cbranch_execz .LBB448_105
; %bb.104:
	s_delay_alu instid0(VALU_DEP_1) | instskip(SKIP_1) | instid1(SALU_CYCLE_1)
	v_dual_lshrrev_b32 v16, s2, v15 :: v_dual_lshlrev_b32 v17, 2, v1
	s_sub_co_i32 s10, s3, s2
	s_min_u32 s10, s10, 4
	s_delay_alu instid0(VALU_DEP_1) | instid1(SALU_CYCLE_1)
	v_bfe_u32 v16, v16, 0, s10
	s_delay_alu instid0(VALU_DEP_1)
	v_lshl_or_b32 v16, v16, 4, v17
	v_mov_b32_e32 v17, 1
	ds_add_u32 v16, v17
	v_mov_b32_e32 v16, 0
.LBB448_105:
	s_or_b32 exec_lo, exec_lo, s0
	s_mov_b32 s10, -1
	s_mov_b32 s11, exec_lo
	s_delay_alu instid0(VALU_DEP_1)
	v_cmpx_gt_i32_e32 10, v16
; %bb.106:
	v_cmp_eq_u32_e64 s0, 0, v16
	s_or_not1_b32 s10, s0, exec_lo
; %bb.107:
	s_or_b32 exec_lo, exec_lo, s11
	s_and_saveexec_b32 s0, s10
	s_cbranch_execz .LBB448_110
; %bb.108:
	s_add_co_i32 s10, s2, 4
	s_delay_alu instid0(SALU_CYCLE_1) | instskip(SKIP_2) | instid1(SALU_CYCLE_1)
	s_cmp_gt_u32 s3, s10
	s_cselect_b32 s11, -1, 0
	s_xor_b32 s12, vcc_lo, -1
	s_and_b32 s11, s11, s12
	s_delay_alu instid0(SALU_CYCLE_1)
	s_and_b32 exec_lo, exec_lo, s11
	s_cbranch_execz .LBB448_110
; %bb.109:
	v_dual_lshrrev_b32 v15, s10, v15 :: v_dual_lshlrev_b32 v16, 2, v1
	s_sub_co_i32 s10, s3, s10
	s_delay_alu instid0(SALU_CYCLE_1)
	s_min_u32 s10, s10, 4
	s_delay_alu instid0(VALU_DEP_1) | instid1(SALU_CYCLE_1)
	v_bfe_u32 v15, v15, 0, s10
	s_delay_alu instid0(VALU_DEP_1)
	v_lshl_or_b32 v15, v15, 4, v16
	v_mov_b32_e32 v16, 1
	ds_add_u32 v15, v16 offset:256
.LBB448_110:
	;; [unrolled: 56-line block ×3, first 2 shown]
	s_or_b32 exec_lo, exec_lo, s0
	v_xor_b32_e32 v13, 0x80, v13
	v_cmp_le_u32_e32 vcc_lo, s1, v33
	v_mov_b32_e32 v14, s9
	s_delay_alu instid0(VALU_DEP_3) | instskip(SKIP_1) | instid1(SALU_CYCLE_1)
	v_and_b32_e32 v13, 0xff, v13
	s_nor_b32 s10, s8, vcc_lo
	s_and_saveexec_b32 s0, s10
	s_cbranch_execz .LBB448_119
; %bb.118:
	s_delay_alu instid0(VALU_DEP_1)
	v_lshrrev_b32_e32 v14, s2, v13
	s_sub_co_i32 s10, s3, s2
	v_lshlrev_b32_e32 v15, 2, v1
	s_min_u32 s10, s10, 4
	s_delay_alu instid0(VALU_DEP_2) | instid1(SALU_CYCLE_1)
	v_bfe_u32 v14, v14, 0, s10
	s_delay_alu instid0(VALU_DEP_1)
	v_lshl_or_b32 v14, v14, 4, v15
	v_mov_b32_e32 v15, 1
	ds_add_u32 v14, v15
	v_mov_b32_e32 v14, 0
.LBB448_119:
	s_or_b32 exec_lo, exec_lo, s0
	s_mov_b32 s10, -1
	s_mov_b32 s11, exec_lo
	s_delay_alu instid0(VALU_DEP_1)
	v_cmpx_gt_i32_e32 10, v14
; %bb.120:
	v_cmp_eq_u32_e64 s0, 0, v14
	s_or_not1_b32 s10, s0, exec_lo
; %bb.121:
	s_or_b32 exec_lo, exec_lo, s11
	s_and_saveexec_b32 s0, s10
	s_cbranch_execz .LBB448_124
; %bb.122:
	s_add_co_i32 s10, s2, 4
	s_delay_alu instid0(SALU_CYCLE_1) | instskip(SKIP_2) | instid1(SALU_CYCLE_1)
	s_cmp_gt_u32 s3, s10
	s_cselect_b32 s11, -1, 0
	s_xor_b32 s12, vcc_lo, -1
	s_and_b32 s11, s11, s12
	s_delay_alu instid0(SALU_CYCLE_1)
	s_and_b32 exec_lo, exec_lo, s11
	s_cbranch_execz .LBB448_124
; %bb.123:
	v_lshrrev_b32_e32 v13, s10, v13
	s_sub_co_i32 s10, s3, s10
	v_lshlrev_b32_e32 v14, 2, v1
	s_min_u32 s10, s10, 4
	s_delay_alu instid0(VALU_DEP_2) | instid1(SALU_CYCLE_1)
	v_bfe_u32 v13, v13, 0, s10
	s_delay_alu instid0(VALU_DEP_1)
	v_lshl_or_b32 v13, v13, 4, v14
	v_mov_b32_e32 v14, 1
	ds_add_u32 v13, v14 offset:256
.LBB448_124:
	s_or_b32 exec_lo, exec_lo, s0
	v_xor_b32_e32 v12, 0x80, v12
	v_cmp_le_u32_e32 vcc_lo, s1, v34
	v_mov_b32_e32 v13, s9
	s_delay_alu instid0(VALU_DEP_3) | instskip(SKIP_1) | instid1(SALU_CYCLE_1)
	v_and_b32_e32 v12, 0xff, v12
	s_nor_b32 s10, s8, vcc_lo
	s_and_saveexec_b32 s0, s10
	s_cbranch_execz .LBB448_126
; %bb.125:
	s_delay_alu instid0(VALU_DEP_1) | instskip(SKIP_1) | instid1(SALU_CYCLE_1)
	v_dual_lshrrev_b32 v13, s2, v12 :: v_dual_lshlrev_b32 v14, 2, v1
	s_sub_co_i32 s10, s3, s2
	s_min_u32 s10, s10, 4
	s_delay_alu instid0(VALU_DEP_1) | instid1(SALU_CYCLE_1)
	v_bfe_u32 v13, v13, 0, s10
	s_delay_alu instid0(VALU_DEP_1)
	v_lshl_or_b32 v13, v13, 4, v14
	v_mov_b32_e32 v14, 1
	ds_add_u32 v13, v14
	v_mov_b32_e32 v13, 0
.LBB448_126:
	s_or_b32 exec_lo, exec_lo, s0
	s_mov_b32 s10, -1
	s_mov_b32 s11, exec_lo
	s_delay_alu instid0(VALU_DEP_1)
	v_cmpx_gt_i32_e32 10, v13
; %bb.127:
	v_cmp_eq_u32_e64 s0, 0, v13
	s_or_not1_b32 s10, s0, exec_lo
; %bb.128:
	s_or_b32 exec_lo, exec_lo, s11
	s_and_saveexec_b32 s0, s10
	s_cbranch_execz .LBB448_131
; %bb.129:
	s_add_co_i32 s10, s2, 4
	s_delay_alu instid0(SALU_CYCLE_1) | instskip(SKIP_2) | instid1(SALU_CYCLE_1)
	s_cmp_gt_u32 s3, s10
	s_cselect_b32 s11, -1, 0
	s_xor_b32 s12, vcc_lo, -1
	s_and_b32 s11, s11, s12
	s_delay_alu instid0(SALU_CYCLE_1)
	s_and_b32 exec_lo, exec_lo, s11
	s_cbranch_execz .LBB448_131
; %bb.130:
	v_dual_lshrrev_b32 v12, s10, v12 :: v_dual_lshlrev_b32 v13, 2, v1
	s_sub_co_i32 s10, s3, s10
	s_delay_alu instid0(SALU_CYCLE_1)
	s_min_u32 s10, s10, 4
	s_delay_alu instid0(VALU_DEP_1) | instid1(SALU_CYCLE_1)
	v_bfe_u32 v12, v12, 0, s10
	s_delay_alu instid0(VALU_DEP_1)
	v_lshl_or_b32 v12, v12, 4, v13
	v_mov_b32_e32 v13, 1
	ds_add_u32 v12, v13 offset:256
.LBB448_131:
	s_or_b32 exec_lo, exec_lo, s0
	v_xor_b32_e32 v11, 0x80, v11
	v_cmp_le_u32_e32 vcc_lo, s1, v35
	v_mov_b32_e32 v12, s9
	s_delay_alu instid0(VALU_DEP_3) | instskip(SKIP_1) | instid1(SALU_CYCLE_1)
	v_and_b32_e32 v11, 0xff, v11
	s_nor_b32 s10, s8, vcc_lo
	s_and_saveexec_b32 s0, s10
	s_cbranch_execz .LBB448_133
; %bb.132:
	s_delay_alu instid0(VALU_DEP_1) | instskip(SKIP_1) | instid1(SALU_CYCLE_1)
	v_dual_lshrrev_b32 v12, s2, v11 :: v_dual_lshlrev_b32 v13, 2, v1
	s_sub_co_i32 s10, s3, s2
	s_min_u32 s10, s10, 4
	s_delay_alu instid0(VALU_DEP_1) | instid1(SALU_CYCLE_1)
	v_bfe_u32 v12, v12, 0, s10
	s_delay_alu instid0(VALU_DEP_1)
	v_lshl_or_b32 v12, v12, 4, v13
	v_mov_b32_e32 v13, 1
	ds_add_u32 v12, v13
	v_mov_b32_e32 v12, 0
.LBB448_133:
	s_or_b32 exec_lo, exec_lo, s0
	s_mov_b32 s10, -1
	s_mov_b32 s11, exec_lo
	s_delay_alu instid0(VALU_DEP_1)
	v_cmpx_gt_i32_e32 10, v12
; %bb.134:
	v_cmp_eq_u32_e64 s0, 0, v12
	s_or_not1_b32 s10, s0, exec_lo
; %bb.135:
	s_or_b32 exec_lo, exec_lo, s11
	s_and_saveexec_b32 s0, s10
	s_cbranch_execz .LBB448_138
; %bb.136:
	s_add_co_i32 s10, s2, 4
	s_delay_alu instid0(SALU_CYCLE_1) | instskip(SKIP_2) | instid1(SALU_CYCLE_1)
	s_cmp_gt_u32 s3, s10
	s_cselect_b32 s11, -1, 0
	s_xor_b32 s12, vcc_lo, -1
	s_and_b32 s11, s11, s12
	s_delay_alu instid0(SALU_CYCLE_1)
	s_and_b32 exec_lo, exec_lo, s11
	s_cbranch_execz .LBB448_138
; %bb.137:
	v_dual_lshrrev_b32 v11, s10, v11 :: v_dual_lshlrev_b32 v12, 2, v1
	s_sub_co_i32 s10, s3, s10
	s_delay_alu instid0(SALU_CYCLE_1)
	s_min_u32 s10, s10, 4
	s_delay_alu instid0(VALU_DEP_1) | instid1(SALU_CYCLE_1)
	v_bfe_u32 v11, v11, 0, s10
	s_delay_alu instid0(VALU_DEP_1)
	v_lshl_or_b32 v11, v11, 4, v12
	v_mov_b32_e32 v12, 1
	ds_add_u32 v11, v12 offset:256
.LBB448_138:
	;; [unrolled: 56-line block ×3, first 2 shown]
	s_or_b32 exec_lo, exec_lo, s0
	v_xor_b32_e32 v9, 0x80, v9
	v_cmp_le_u32_e32 vcc_lo, s1, v37
	v_mov_b32_e32 v10, s9
	s_delay_alu instid0(VALU_DEP_3) | instskip(SKIP_1) | instid1(SALU_CYCLE_1)
	v_and_b32_e32 v9, 0xff, v9
	s_nor_b32 s10, s8, vcc_lo
	s_and_saveexec_b32 s0, s10
	s_cbranch_execz .LBB448_147
; %bb.146:
	s_delay_alu instid0(VALU_DEP_1)
	v_lshrrev_b32_e32 v10, s2, v9
	s_sub_co_i32 s10, s3, s2
	v_lshlrev_b32_e32 v11, 2, v1
	s_min_u32 s10, s10, 4
	s_delay_alu instid0(VALU_DEP_2) | instid1(SALU_CYCLE_1)
	v_bfe_u32 v10, v10, 0, s10
	s_delay_alu instid0(VALU_DEP_1)
	v_lshl_or_b32 v10, v10, 4, v11
	v_mov_b32_e32 v11, 1
	ds_add_u32 v10, v11
	v_mov_b32_e32 v10, 0
.LBB448_147:
	s_or_b32 exec_lo, exec_lo, s0
	s_mov_b32 s10, -1
	s_mov_b32 s11, exec_lo
	s_delay_alu instid0(VALU_DEP_1)
	v_cmpx_gt_i32_e32 10, v10
; %bb.148:
	v_cmp_eq_u32_e64 s0, 0, v10
	s_or_not1_b32 s10, s0, exec_lo
; %bb.149:
	s_or_b32 exec_lo, exec_lo, s11
	s_and_saveexec_b32 s0, s10
	s_cbranch_execz .LBB448_152
; %bb.150:
	s_add_co_i32 s10, s2, 4
	s_delay_alu instid0(SALU_CYCLE_1) | instskip(SKIP_2) | instid1(SALU_CYCLE_1)
	s_cmp_gt_u32 s3, s10
	s_cselect_b32 s11, -1, 0
	s_xor_b32 s12, vcc_lo, -1
	s_and_b32 s11, s11, s12
	s_delay_alu instid0(SALU_CYCLE_1)
	s_and_b32 exec_lo, exec_lo, s11
	s_cbranch_execz .LBB448_152
; %bb.151:
	v_lshrrev_b32_e32 v9, s10, v9
	s_sub_co_i32 s10, s3, s10
	v_lshlrev_b32_e32 v10, 2, v1
	s_min_u32 s10, s10, 4
	s_delay_alu instid0(VALU_DEP_2) | instid1(SALU_CYCLE_1)
	v_bfe_u32 v9, v9, 0, s10
	s_delay_alu instid0(VALU_DEP_1)
	v_lshl_or_b32 v9, v9, 4, v10
	v_mov_b32_e32 v10, 1
	ds_add_u32 v9, v10 offset:256
.LBB448_152:
	s_or_b32 exec_lo, exec_lo, s0
	v_xor_b32_e32 v8, 0x80, v8
	v_cmp_le_u32_e32 vcc_lo, s1, v38
	v_mov_b32_e32 v9, s9
	s_delay_alu instid0(VALU_DEP_3) | instskip(SKIP_1) | instid1(SALU_CYCLE_1)
	v_and_b32_e32 v8, 0xff, v8
	s_nor_b32 s10, s8, vcc_lo
	s_and_saveexec_b32 s0, s10
	s_cbranch_execz .LBB448_154
; %bb.153:
	s_delay_alu instid0(VALU_DEP_1) | instskip(SKIP_1) | instid1(SALU_CYCLE_1)
	v_dual_lshrrev_b32 v9, s2, v8 :: v_dual_lshlrev_b32 v10, 2, v1
	s_sub_co_i32 s10, s3, s2
	s_min_u32 s10, s10, 4
	s_delay_alu instid0(VALU_DEP_1) | instid1(SALU_CYCLE_1)
	v_bfe_u32 v9, v9, 0, s10
	s_delay_alu instid0(VALU_DEP_1)
	v_lshl_or_b32 v9, v9, 4, v10
	v_mov_b32_e32 v10, 1
	ds_add_u32 v9, v10
	v_mov_b32_e32 v9, 0
.LBB448_154:
	s_or_b32 exec_lo, exec_lo, s0
	s_mov_b32 s10, -1
	s_mov_b32 s11, exec_lo
	s_delay_alu instid0(VALU_DEP_1)
	v_cmpx_gt_i32_e32 10, v9
; %bb.155:
	v_cmp_eq_u32_e64 s0, 0, v9
	s_or_not1_b32 s10, s0, exec_lo
; %bb.156:
	s_or_b32 exec_lo, exec_lo, s11
	s_and_saveexec_b32 s0, s10
	s_cbranch_execz .LBB448_159
; %bb.157:
	s_add_co_i32 s10, s2, 4
	s_delay_alu instid0(SALU_CYCLE_1) | instskip(SKIP_2) | instid1(SALU_CYCLE_1)
	s_cmp_gt_u32 s3, s10
	s_cselect_b32 s11, -1, 0
	s_xor_b32 s12, vcc_lo, -1
	s_and_b32 s11, s11, s12
	s_delay_alu instid0(SALU_CYCLE_1)
	s_and_b32 exec_lo, exec_lo, s11
	s_cbranch_execz .LBB448_159
; %bb.158:
	v_dual_lshrrev_b32 v8, s10, v8 :: v_dual_lshlrev_b32 v9, 2, v1
	s_sub_co_i32 s10, s3, s10
	s_delay_alu instid0(SALU_CYCLE_1)
	s_min_u32 s10, s10, 4
	s_delay_alu instid0(VALU_DEP_1) | instid1(SALU_CYCLE_1)
	v_bfe_u32 v8, v8, 0, s10
	s_delay_alu instid0(VALU_DEP_1)
	v_lshl_or_b32 v8, v8, 4, v9
	v_mov_b32_e32 v9, 1
	ds_add_u32 v8, v9 offset:256
.LBB448_159:
	s_or_b32 exec_lo, exec_lo, s0
	v_xor_b32_e32 v7, 0x80, v7
	v_cmp_le_u32_e32 vcc_lo, s1, v39
	v_mov_b32_e32 v8, s9
	s_delay_alu instid0(VALU_DEP_3) | instskip(SKIP_1) | instid1(SALU_CYCLE_1)
	v_and_b32_e32 v7, 0xff, v7
	s_nor_b32 s10, s8, vcc_lo
	s_and_saveexec_b32 s0, s10
	s_cbranch_execz .LBB448_161
; %bb.160:
	s_delay_alu instid0(VALU_DEP_1) | instskip(SKIP_1) | instid1(SALU_CYCLE_1)
	v_dual_lshrrev_b32 v8, s2, v7 :: v_dual_lshlrev_b32 v9, 2, v1
	s_sub_co_i32 s10, s3, s2
	s_min_u32 s10, s10, 4
	s_delay_alu instid0(VALU_DEP_1) | instid1(SALU_CYCLE_1)
	v_bfe_u32 v8, v8, 0, s10
	s_delay_alu instid0(VALU_DEP_1)
	v_lshl_or_b32 v8, v8, 4, v9
	v_mov_b32_e32 v9, 1
	ds_add_u32 v8, v9
	v_mov_b32_e32 v8, 0
.LBB448_161:
	s_or_b32 exec_lo, exec_lo, s0
	s_mov_b32 s10, -1
	s_mov_b32 s11, exec_lo
	s_delay_alu instid0(VALU_DEP_1)
	v_cmpx_gt_i32_e32 10, v8
; %bb.162:
	v_cmp_eq_u32_e64 s0, 0, v8
	s_or_not1_b32 s10, s0, exec_lo
; %bb.163:
	s_or_b32 exec_lo, exec_lo, s11
	s_and_saveexec_b32 s0, s10
	s_cbranch_execz .LBB448_166
; %bb.164:
	s_add_co_i32 s10, s2, 4
	s_delay_alu instid0(SALU_CYCLE_1) | instskip(SKIP_2) | instid1(SALU_CYCLE_1)
	s_cmp_gt_u32 s3, s10
	s_cselect_b32 s11, -1, 0
	s_xor_b32 s12, vcc_lo, -1
	s_and_b32 s11, s11, s12
	s_delay_alu instid0(SALU_CYCLE_1)
	s_and_b32 exec_lo, exec_lo, s11
	s_cbranch_execz .LBB448_166
; %bb.165:
	v_dual_lshrrev_b32 v7, s10, v7 :: v_dual_lshlrev_b32 v8, 2, v1
	s_sub_co_i32 s10, s3, s10
	s_delay_alu instid0(SALU_CYCLE_1)
	s_min_u32 s10, s10, 4
	s_delay_alu instid0(VALU_DEP_1) | instid1(SALU_CYCLE_1)
	v_bfe_u32 v7, v7, 0, s10
	s_delay_alu instid0(VALU_DEP_1)
	v_lshl_or_b32 v7, v7, 4, v8
	v_mov_b32_e32 v8, 1
	ds_add_u32 v7, v8 offset:256
.LBB448_166:
	s_or_b32 exec_lo, exec_lo, s0
	v_xor_b32_e32 v6, 0x80, v6
	v_cmp_le_u32_e32 vcc_lo, s1, v40
	v_mov_b32_e32 v7, s9
	s_delay_alu instid0(VALU_DEP_3) | instskip(SKIP_1) | instid1(SALU_CYCLE_1)
	v_and_b32_e32 v6, 0xff, v6
	s_nor_b32 s10, s8, vcc_lo
	s_and_saveexec_b32 s0, s10
	s_cbranch_execz .LBB448_168
; %bb.167:
	s_delay_alu instid0(VALU_DEP_1) | instskip(SKIP_1) | instid1(SALU_CYCLE_1)
	v_dual_lshrrev_b32 v7, s2, v6 :: v_dual_lshlrev_b32 v8, 2, v1
	s_sub_co_i32 s10, s3, s2
	s_min_u32 s10, s10, 4
	s_delay_alu instid0(VALU_DEP_1) | instid1(SALU_CYCLE_1)
	v_bfe_u32 v7, v7, 0, s10
	s_delay_alu instid0(VALU_DEP_1)
	v_lshl_or_b32 v7, v7, 4, v8
	v_mov_b32_e32 v8, 1
	ds_add_u32 v7, v8
	v_mov_b32_e32 v7, 0
.LBB448_168:
	s_or_b32 exec_lo, exec_lo, s0
	s_mov_b32 s10, -1
	s_mov_b32 s11, exec_lo
	s_delay_alu instid0(VALU_DEP_1)
	v_cmpx_gt_i32_e32 10, v7
; %bb.169:
	v_cmp_eq_u32_e64 s0, 0, v7
	s_or_not1_b32 s10, s0, exec_lo
; %bb.170:
	s_or_b32 exec_lo, exec_lo, s11
	s_and_saveexec_b32 s0, s10
	s_cbranch_execz .LBB448_173
; %bb.171:
	s_add_co_i32 s10, s2, 4
	s_delay_alu instid0(SALU_CYCLE_1) | instskip(SKIP_2) | instid1(SALU_CYCLE_1)
	s_cmp_gt_u32 s3, s10
	s_cselect_b32 s11, -1, 0
	s_xor_b32 s12, vcc_lo, -1
	s_and_b32 s11, s11, s12
	s_delay_alu instid0(SALU_CYCLE_1)
	s_and_b32 exec_lo, exec_lo, s11
	s_cbranch_execz .LBB448_173
; %bb.172:
	v_dual_lshrrev_b32 v6, s10, v6 :: v_dual_lshlrev_b32 v7, 2, v1
	s_sub_co_i32 s10, s3, s10
	s_delay_alu instid0(SALU_CYCLE_1)
	s_min_u32 s10, s10, 4
	s_delay_alu instid0(VALU_DEP_1) | instid1(SALU_CYCLE_1)
	v_bfe_u32 v6, v6, 0, s10
	s_delay_alu instid0(VALU_DEP_1)
	v_lshl_or_b32 v6, v6, 4, v7
	v_mov_b32_e32 v7, 1
	ds_add_u32 v6, v7 offset:256
.LBB448_173:
	s_or_b32 exec_lo, exec_lo, s0
	v_xor_b32_e32 v5, 0x80, v5
	v_cmp_le_u32_e32 vcc_lo, s1, v41
	v_mov_b32_e32 v6, s9
	s_delay_alu instid0(VALU_DEP_3) | instskip(SKIP_1) | instid1(SALU_CYCLE_1)
	v_and_b32_e32 v5, 0xff, v5
	s_nor_b32 s10, s8, vcc_lo
	s_and_saveexec_b32 s0, s10
	s_cbranch_execz .LBB448_175
; %bb.174:
	s_delay_alu instid0(VALU_DEP_1)
	v_lshrrev_b32_e32 v6, s2, v5
	s_sub_co_i32 s10, s3, s2
	v_lshlrev_b32_e32 v7, 2, v1
	s_min_u32 s10, s10, 4
	s_delay_alu instid0(VALU_DEP_2) | instid1(SALU_CYCLE_1)
	v_bfe_u32 v6, v6, 0, s10
	s_delay_alu instid0(VALU_DEP_1)
	v_lshl_or_b32 v6, v6, 4, v7
	v_mov_b32_e32 v7, 1
	ds_add_u32 v6, v7
	v_mov_b32_e32 v6, 0
.LBB448_175:
	s_or_b32 exec_lo, exec_lo, s0
	s_mov_b32 s10, -1
	s_mov_b32 s11, exec_lo
	s_delay_alu instid0(VALU_DEP_1)
	v_cmpx_gt_i32_e32 10, v6
; %bb.176:
	v_cmp_eq_u32_e64 s0, 0, v6
	s_or_not1_b32 s10, s0, exec_lo
; %bb.177:
	s_or_b32 exec_lo, exec_lo, s11
	s_and_saveexec_b32 s0, s10
	s_cbranch_execz .LBB448_180
; %bb.178:
	s_add_co_i32 s10, s2, 4
	s_delay_alu instid0(SALU_CYCLE_1) | instskip(SKIP_2) | instid1(SALU_CYCLE_1)
	s_cmp_gt_u32 s3, s10
	s_cselect_b32 s11, -1, 0
	s_xor_b32 s12, vcc_lo, -1
	s_and_b32 s11, s11, s12
	s_delay_alu instid0(SALU_CYCLE_1)
	s_and_b32 exec_lo, exec_lo, s11
	s_cbranch_execz .LBB448_180
; %bb.179:
	v_lshrrev_b32_e32 v5, s10, v5
	s_sub_co_i32 s10, s3, s10
	v_lshlrev_b32_e32 v6, 2, v1
	s_min_u32 s10, s10, 4
	s_delay_alu instid0(VALU_DEP_2) | instid1(SALU_CYCLE_1)
	v_bfe_u32 v5, v5, 0, s10
	s_delay_alu instid0(VALU_DEP_1)
	v_lshl_or_b32 v5, v5, 4, v6
	v_mov_b32_e32 v6, 1
	ds_add_u32 v5, v6 offset:256
.LBB448_180:
	s_or_b32 exec_lo, exec_lo, s0
	v_xor_b32_e32 v4, 0x80, v4
	v_cmp_le_u32_e32 vcc_lo, s1, v42
	v_mov_b32_e32 v5, s9
	s_delay_alu instid0(VALU_DEP_3) | instskip(SKIP_1) | instid1(SALU_CYCLE_1)
	v_and_b32_e32 v4, 0xff, v4
	s_nor_b32 s10, s8, vcc_lo
	s_and_saveexec_b32 s0, s10
	s_cbranch_execz .LBB448_182
; %bb.181:
	s_delay_alu instid0(VALU_DEP_1) | instskip(SKIP_1) | instid1(SALU_CYCLE_1)
	v_dual_lshrrev_b32 v5, s2, v4 :: v_dual_lshlrev_b32 v6, 2, v1
	s_sub_co_i32 s10, s3, s2
	s_min_u32 s10, s10, 4
	s_delay_alu instid0(VALU_DEP_1) | instid1(SALU_CYCLE_1)
	v_bfe_u32 v5, v5, 0, s10
	s_delay_alu instid0(VALU_DEP_1)
	v_lshl_or_b32 v5, v5, 4, v6
	v_mov_b32_e32 v6, 1
	ds_add_u32 v5, v6
	v_mov_b32_e32 v5, 0
.LBB448_182:
	s_or_b32 exec_lo, exec_lo, s0
	s_mov_b32 s10, -1
	s_mov_b32 s11, exec_lo
	s_delay_alu instid0(VALU_DEP_1)
	v_cmpx_gt_i32_e32 10, v5
; %bb.183:
	v_cmp_eq_u32_e64 s0, 0, v5
	s_or_not1_b32 s10, s0, exec_lo
; %bb.184:
	s_or_b32 exec_lo, exec_lo, s11
	s_and_saveexec_b32 s0, s10
	s_cbranch_execz .LBB448_187
; %bb.185:
	s_add_co_i32 s10, s2, 4
	s_delay_alu instid0(SALU_CYCLE_1) | instskip(SKIP_2) | instid1(SALU_CYCLE_1)
	s_cmp_gt_u32 s3, s10
	s_cselect_b32 s11, -1, 0
	s_xor_b32 s12, vcc_lo, -1
	s_and_b32 s11, s11, s12
	s_delay_alu instid0(SALU_CYCLE_1)
	s_and_b32 exec_lo, exec_lo, s11
	s_cbranch_execz .LBB448_187
; %bb.186:
	v_dual_lshrrev_b32 v4, s10, v4 :: v_dual_lshlrev_b32 v5, 2, v1
	s_sub_co_i32 s10, s3, s10
	s_delay_alu instid0(SALU_CYCLE_1)
	s_min_u32 s10, s10, 4
	s_delay_alu instid0(VALU_DEP_1) | instid1(SALU_CYCLE_1)
	v_bfe_u32 v4, v4, 0, s10
	s_delay_alu instid0(VALU_DEP_1)
	v_lshl_or_b32 v4, v4, 4, v5
	v_mov_b32_e32 v5, 1
	ds_add_u32 v4, v5 offset:256
.LBB448_187:
	s_or_b32 exec_lo, exec_lo, s0
	v_xor_b32_e32 v3, 0x80, v3
	v_cmp_le_u32_e32 vcc_lo, s1, v43
	v_mov_b32_e32 v4, s9
	s_delay_alu instid0(VALU_DEP_3) | instskip(SKIP_1) | instid1(SALU_CYCLE_1)
	v_and_b32_e32 v3, 0xff, v3
	s_nor_b32 s10, s8, vcc_lo
	s_and_saveexec_b32 s0, s10
	s_cbranch_execz .LBB448_189
; %bb.188:
	s_delay_alu instid0(VALU_DEP_1) | instskip(SKIP_1) | instid1(SALU_CYCLE_1)
	v_dual_lshrrev_b32 v4, s2, v3 :: v_dual_lshlrev_b32 v5, 2, v1
	s_sub_co_i32 s10, s3, s2
	s_min_u32 s10, s10, 4
	s_delay_alu instid0(VALU_DEP_1) | instid1(SALU_CYCLE_1)
	v_bfe_u32 v4, v4, 0, s10
	s_delay_alu instid0(VALU_DEP_1)
	v_lshl_or_b32 v4, v4, 4, v5
	v_mov_b32_e32 v5, 1
	ds_add_u32 v4, v5
	v_mov_b32_e32 v4, 0
.LBB448_189:
	s_or_b32 exec_lo, exec_lo, s0
	s_mov_b32 s10, -1
	s_mov_b32 s11, exec_lo
	s_delay_alu instid0(VALU_DEP_1)
	v_cmpx_gt_i32_e32 10, v4
; %bb.190:
	v_cmp_eq_u32_e64 s0, 0, v4
	s_or_not1_b32 s10, s0, exec_lo
; %bb.191:
	s_or_b32 exec_lo, exec_lo, s11
	s_and_saveexec_b32 s0, s10
	s_cbranch_execz .LBB448_194
; %bb.192:
	s_add_co_i32 s10, s2, 4
	s_delay_alu instid0(SALU_CYCLE_1) | instskip(SKIP_2) | instid1(SALU_CYCLE_1)
	s_cmp_gt_u32 s3, s10
	s_cselect_b32 s11, -1, 0
	s_xor_b32 s12, vcc_lo, -1
	s_and_b32 s11, s11, s12
	s_delay_alu instid0(SALU_CYCLE_1)
	s_and_b32 exec_lo, exec_lo, s11
	s_cbranch_execz .LBB448_194
; %bb.193:
	v_dual_lshrrev_b32 v3, s10, v3 :: v_dual_lshlrev_b32 v4, 2, v1
	s_sub_co_i32 s10, s3, s10
	s_delay_alu instid0(SALU_CYCLE_1)
	s_min_u32 s10, s10, 4
	s_delay_alu instid0(VALU_DEP_1) | instid1(SALU_CYCLE_1)
	v_bfe_u32 v3, v3, 0, s10
	s_delay_alu instid0(VALU_DEP_1)
	v_lshl_or_b32 v3, v3, 4, v4
	v_mov_b32_e32 v4, 1
	ds_add_u32 v3, v4 offset:256
.LBB448_194:
	s_or_b32 exec_lo, exec_lo, s0
	v_xor_b32_e32 v2, 0x80, v2
	v_cmp_le_u32_e32 vcc_lo, s1, v44
	v_mov_b32_e32 v3, s9
	s_delay_alu instid0(VALU_DEP_3) | instskip(SKIP_1) | instid1(SALU_CYCLE_1)
	v_and_b32_e32 v2, 0xff, v2
	s_nor_b32 s1, s8, vcc_lo
	s_and_saveexec_b32 s0, s1
	s_cbranch_execz .LBB448_196
; %bb.195:
	s_delay_alu instid0(VALU_DEP_1) | instskip(SKIP_1) | instid1(SALU_CYCLE_1)
	v_dual_lshrrev_b32 v3, s2, v2 :: v_dual_lshlrev_b32 v4, 2, v1
	s_sub_co_i32 s1, s3, s2
	s_min_u32 s1, s1, 4
	s_delay_alu instid0(VALU_DEP_1) | instid1(SALU_CYCLE_1)
	v_bfe_u32 v3, v3, 0, s1
	s_delay_alu instid0(VALU_DEP_1)
	v_lshl_or_b32 v3, v3, 4, v4
	v_mov_b32_e32 v4, 1
	ds_add_u32 v3, v4
	v_mov_b32_e32 v3, 0
.LBB448_196:
	s_or_b32 exec_lo, exec_lo, s0
	s_mov_b32 s1, -1
	s_mov_b32 s8, exec_lo
	s_delay_alu instid0(VALU_DEP_1)
	v_cmpx_gt_i32_e32 10, v3
; %bb.197:
	v_cmp_eq_u32_e64 s0, 0, v3
	s_or_not1_b32 s1, s0, exec_lo
; %bb.198:
	s_or_b32 exec_lo, exec_lo, s8
	s_and_saveexec_b32 s0, s1
	s_cbranch_execz .LBB448_201
; %bb.199:
	s_add_co_i32 s1, s2, 4
	s_delay_alu instid0(SALU_CYCLE_1) | instskip(SKIP_2) | instid1(SALU_CYCLE_1)
	s_cmp_gt_u32 s3, s1
	s_cselect_b32 s8, -1, 0
	s_xor_b32 s9, vcc_lo, -1
	s_and_b32 s8, s8, s9
	s_delay_alu instid0(SALU_CYCLE_1)
	s_and_b32 exec_lo, exec_lo, s8
	s_cbranch_execz .LBB448_201
; %bb.200:
	v_dual_lshrrev_b32 v2, s1, v2 :: v_dual_lshlrev_b32 v3, 2, v1
	s_sub_co_i32 s1, s3, s1
	s_delay_alu instid0(SALU_CYCLE_1)
	s_min_u32 s1, s1, 4
	s_delay_alu instid0(VALU_DEP_1) | instid1(SALU_CYCLE_1)
	v_bfe_u32 v2, v2, 0, s1
	s_delay_alu instid0(VALU_DEP_1)
	v_lshl_or_b32 v2, v2, 4, v3
	v_mov_b32_e32 v3, 1
	ds_add_u32 v2, v3 offset:256
.LBB448_201:
	s_or_b32 exec_lo, exec_lo, s0
	s_cmp_gt_u32 s3, s2
	s_wait_dscnt 0x0
	s_barrier_signal -1
	s_barrier_wait -1
	s_cbranch_scc0 .LBB448_206
; %bb.202:
	v_dual_mov_b32 v3, 0 :: v_dual_lshlrev_b32 v4, 4, v0
	v_mov_b32_e32 v5, v0
	s_mov_b32 s0, s2
	v_cmp_gt_u32_e32 vcc_lo, 16, v0
	s_branch .LBB448_204
.LBB448_203:                            ;   in Loop: Header=BB448_204 Depth=1
	s_wait_xcnt 0x0
	s_or_b32 exec_lo, exec_lo, s1
	v_add_nc_u32_e32 v5, 16, v5
	v_add_nc_u32_e32 v4, 0x100, v4
	s_add_co_i32 s0, s0, 4
	s_delay_alu instid0(SALU_CYCLE_1)
	s_cmp_lt_u32 s0, s3
	s_cbranch_scc0 .LBB448_206
.LBB448_204:                            ; =>This Inner Loop Header: Depth=1
	s_and_saveexec_b32 s1, vcc_lo
	s_cbranch_execz .LBB448_203
; %bb.205:                              ;   in Loop: Header=BB448_204 Depth=1
	ds_load_2addr_b32 v[6:7], v4 offset1:1
	ds_load_2addr_b32 v[8:9], v4 offset0:2 offset1:3
	s_wait_dscnt 0x1
	v_add_nc_u32_e32 v2, v7, v6
	s_wait_dscnt 0x0
	s_delay_alu instid0(VALU_DEP_1)
	v_add3_u32 v2, v2, v8, v9
	global_atomic_add_u64 v5, v[2:3], s[6:7] scale_offset scope:SCOPE_DEV
	s_branch .LBB448_203
.LBB448_206:
	s_mov_b32 s9, 0
.LBB448_207:
	s_delay_alu instid0(SALU_CYCLE_1)
	s_and_b32 vcc_lo, exec_lo, s9
	s_cbranch_vccz .LBB448_268
; %bb.208:
	s_clause 0x15
	global_load_u8 v10, v0, s[4:5]
	global_load_u8 v11, v0, s[4:5] offset:1024
	global_load_u8 v12, v0, s[4:5] offset:2048
	;; [unrolled: 1-line block ×21, first 2 shown]
	s_cmp_lg_u32 s2, 0
	s_cselect_b32 s0, -1, 0
	s_cmp_lg_u32 s3, 8
	s_cselect_b32 s1, -1, 0
	s_delay_alu instid0(SALU_CYCLE_1)
	s_or_b32 s1, s0, s1
	v_cmp_gt_u32_e64 s0, 0x80, v0
	s_and_b32 vcc_lo, exec_lo, s1
	s_mov_b32 s1, -1
	s_cbranch_vccz .LBB448_263
; %bb.209:
	s_wait_xcnt 0x0
	s_and_saveexec_b32 s1, s0
; %bb.210:
	v_dual_mov_b32 v3, 0 :: v_dual_lshlrev_b32 v2, 2, v0
	ds_store_b32 v2, v3
; %bb.211:
	s_or_b32 exec_lo, exec_lo, s1
	s_cmp_gt_u32 s3, s2
	s_wait_storecnt 0x0
	s_wait_loadcnt_dscnt 0x0
	s_cselect_b32 s1, -1, 0
	s_barrier_signal -1
	s_and_b32 vcc_lo, exec_lo, s1
	s_barrier_wait -1
	s_cbranch_vccz .LBB448_257
; %bb.212:
	v_xor_b32_e32 v2, 0x80, v10
	s_sub_co_i32 s4, s3, s2
	v_mov_b32_e32 v27, 1
	s_min_u32 s4, s4, 4
	s_mov_b32 s9, -1
	v_and_b32_e32 v3, 0xff, v2
	s_lshl_b32 s5, -1, s4
	s_add_co_i32 s4, s2, 4
	s_delay_alu instid0(VALU_DEP_1) | instskip(NEXT) | instid1(VALU_DEP_1)
	v_dual_lshlrev_b32 v2, 2, v1 :: v_dual_lshrrev_b32 v26, s2, v3
	v_bitop3_b32 v26, v26, s5, v26 bitop3:0x30
	s_not_b32 s5, s5
	s_cmp_le_u32 s3, s4
	s_cselect_b32 s8, -1, 0
	s_delay_alu instid0(VALU_DEP_1) | instskip(SKIP_3) | instid1(VALU_DEP_1)
	v_lshl_or_b32 v26, v26, 4, v2
	s_and_b32 vcc_lo, exec_lo, s8
	ds_add_u32 v26, v27
	v_xor_b32_e32 v26, 0xffffff80, v11
                                        ; implicit-def: $vgpr27
	v_and_b32_e32 v26, 0xff, v26
	s_cbranch_vccz .LBB448_214
; %bb.213:
	s_delay_alu instid0(VALU_DEP_1) | instskip(SKIP_1) | instid1(VALU_DEP_1)
	v_lshrrev_b32_e32 v27, s2, v26
	s_mov_b32 s9, 0
	v_and_b32_e32 v27, s5, v27
	s_delay_alu instid0(VALU_DEP_1)
	v_lshlrev_b32_e32 v27, 4, v27
.LBB448_214:
	s_and_not1_b32 vcc_lo, exec_lo, s9
	s_cbranch_vccnz .LBB448_216
; %bb.215:
	s_sub_co_i32 s9, s3, s4
	v_dual_lshrrev_b32 v3, s4, v3 :: v_dual_lshrrev_b32 v27, s2, v26
	s_min_u32 s9, s9, 4
	v_mov_b32_e32 v28, 1
	s_lshl_b32 s9, -1, s9
	s_delay_alu instid0(VALU_DEP_2) | instid1(SALU_CYCLE_1)
	v_bitop3_b32 v3, v3, s9, v3 bitop3:0x30
	v_and_b32_e32 v27, s5, v27
	s_delay_alu instid0(VALU_DEP_2) | instskip(NEXT) | instid1(VALU_DEP_2)
	v_lshl_or_b32 v3, v3, 4, v2
	v_lshl_or_b32 v27, v27, 4, v2
	ds_add_u32 v3, v28 offset:256
	ds_add_u32 v27, v28
	v_lshrrev_b32_e32 v3, s4, v26
	s_delay_alu instid0(VALU_DEP_1) | instskip(NEXT) | instid1(VALU_DEP_1)
	v_bitop3_b32 v3, v3, s9, v3 bitop3:0x30
	v_lshl_add_u32 v27, v3, 4, 0x100
.LBB448_216:
	v_xor_b32_e32 v3, 0x80, v12
	s_and_b32 vcc_lo, exec_lo, s8
	s_delay_alu instid0(VALU_DEP_2) | instskip(NEXT) | instid1(VALU_DEP_2)
	v_dual_mov_b32 v28, 1 :: v_dual_add_nc_u32 v27, v27, v2
	v_and_b32_e32 v26, 0xff, v3
	s_delay_alu instid0(VALU_DEP_1) | instskip(NEXT) | instid1(VALU_DEP_1)
	v_lshrrev_b32_e32 v3, s2, v26
	v_and_b32_e32 v3, s5, v3
	s_delay_alu instid0(VALU_DEP_1) | instskip(SKIP_3) | instid1(VALU_DEP_1)
	v_lshl_or_b32 v3, v3, 4, v2
	ds_add_u32 v27, v28
	ds_add_u32 v3, v28
	v_xor_b32_e32 v3, 0xffffff80, v13
	v_and_b32_e32 v3, 0xff, v3
	s_cbranch_vccz .LBB448_218
; %bb.217:
	s_delay_alu instid0(VALU_DEP_1) | instskip(NEXT) | instid1(VALU_DEP_1)
	v_lshrrev_b32_e32 v27, s2, v3
	v_and_b32_e32 v27, s5, v27
	s_delay_alu instid0(VALU_DEP_1)
	v_lshlrev_b32_e32 v27, 4, v27
	s_cbranch_execz .LBB448_219
	s_branch .LBB448_220
.LBB448_218:
                                        ; implicit-def: $vgpr27
.LBB448_219:
	s_sub_co_i32 s9, s3, s4
	s_delay_alu instid0(VALU_DEP_1) | instskip(SKIP_3) | instid1(VALU_DEP_2)
	v_dual_lshrrev_b32 v26, s4, v26 :: v_dual_lshrrev_b32 v27, s2, v3
	s_min_u32 s9, s9, 4
	v_lshrrev_b32_e32 v3, s4, v3
	s_lshl_b32 s9, -1, s9
	v_dual_mov_b32 v28, 1 :: v_dual_bitop2_b32 v27, s5, v27 bitop3:0x40
	v_bitop3_b32 v26, v26, s9, v26 bitop3:0x30
	s_delay_alu instid0(VALU_DEP_3) | instskip(NEXT) | instid1(VALU_DEP_3)
	v_bitop3_b32 v3, v3, s9, v3 bitop3:0x30
	v_lshl_or_b32 v27, v27, 4, v2
	s_delay_alu instid0(VALU_DEP_3)
	v_lshl_or_b32 v26, v26, 4, v2
	ds_add_u32 v26, v28 offset:256
	ds_add_u32 v27, v28
	v_lshl_add_u32 v27, v3, 4, 0x100
.LBB448_220:
	v_xor_b32_e32 v3, 0x80, v14
	s_and_b32 vcc_lo, exec_lo, s8
	s_delay_alu instid0(VALU_DEP_2) | instskip(NEXT) | instid1(VALU_DEP_2)
	v_dual_mov_b32 v28, 1 :: v_dual_add_nc_u32 v27, v27, v2
	v_and_b32_e32 v26, 0xff, v3
	s_delay_alu instid0(VALU_DEP_1) | instskip(NEXT) | instid1(VALU_DEP_1)
	v_lshrrev_b32_e32 v3, s2, v26
	v_and_b32_e32 v3, s5, v3
	s_delay_alu instid0(VALU_DEP_1) | instskip(SKIP_3) | instid1(VALU_DEP_1)
	v_lshl_or_b32 v3, v3, 4, v2
	ds_add_u32 v27, v28
	ds_add_u32 v3, v28
	v_xor_b32_e32 v3, 0xffffff80, v15
	v_and_b32_e32 v3, 0xff, v3
	s_cbranch_vccz .LBB448_222
; %bb.221:
	s_delay_alu instid0(VALU_DEP_1) | instskip(NEXT) | instid1(VALU_DEP_1)
	v_lshrrev_b32_e32 v27, s2, v3
	v_and_b32_e32 v27, s5, v27
	s_delay_alu instid0(VALU_DEP_1)
	v_lshlrev_b32_e32 v27, 4, v27
	s_cbranch_execz .LBB448_223
	s_branch .LBB448_224
.LBB448_222:
                                        ; implicit-def: $vgpr27
.LBB448_223:
	s_sub_co_i32 s9, s3, s4
	s_delay_alu instid0(VALU_DEP_1) | instskip(SKIP_3) | instid1(VALU_DEP_2)
	v_dual_lshrrev_b32 v26, s4, v26 :: v_dual_lshrrev_b32 v27, s2, v3
	s_min_u32 s9, s9, 4
	v_lshrrev_b32_e32 v3, s4, v3
	s_lshl_b32 s9, -1, s9
	v_dual_mov_b32 v28, 1 :: v_dual_bitop2_b32 v27, s5, v27 bitop3:0x40
	v_bitop3_b32 v26, v26, s9, v26 bitop3:0x30
	s_delay_alu instid0(VALU_DEP_3) | instskip(NEXT) | instid1(VALU_DEP_3)
	v_bitop3_b32 v3, v3, s9, v3 bitop3:0x30
	v_lshl_or_b32 v27, v27, 4, v2
	s_delay_alu instid0(VALU_DEP_3)
	v_lshl_or_b32 v26, v26, 4, v2
	ds_add_u32 v26, v28 offset:256
	ds_add_u32 v27, v28
	v_lshl_add_u32 v27, v3, 4, 0x100
.LBB448_224:
	;; [unrolled: 43-line block ×9, first 2 shown]
	v_xor_b32_e32 v3, 0x80, v5
	s_and_b32 vcc_lo, exec_lo, s8
	s_delay_alu instid0(VALU_DEP_2) | instskip(NEXT) | instid1(VALU_DEP_2)
	v_dual_mov_b32 v28, 1 :: v_dual_add_nc_u32 v27, v27, v2
	v_and_b32_e32 v26, 0xff, v3
	s_delay_alu instid0(VALU_DEP_1) | instskip(NEXT) | instid1(VALU_DEP_1)
	v_lshrrev_b32_e32 v3, s2, v26
	v_and_b32_e32 v3, s5, v3
	s_delay_alu instid0(VALU_DEP_1) | instskip(SKIP_3) | instid1(VALU_DEP_1)
	v_lshl_or_b32 v3, v3, 4, v2
	ds_add_u32 v27, v28
	ds_add_u32 v3, v28
	v_xor_b32_e32 v3, 0xffffff80, v4
	v_and_b32_e32 v3, 0xff, v3
	s_cbranch_vccz .LBB448_254
; %bb.253:
	s_delay_alu instid0(VALU_DEP_1) | instskip(NEXT) | instid1(VALU_DEP_1)
	v_lshrrev_b32_e32 v27, s2, v3
	v_and_b32_e32 v27, s5, v27
	s_delay_alu instid0(VALU_DEP_1)
	v_lshlrev_b32_e32 v27, 4, v27
	s_cbranch_execz .LBB448_255
	s_branch .LBB448_256
.LBB448_254:
                                        ; implicit-def: $vgpr27
.LBB448_255:
	s_sub_co_i32 s8, s3, s4
	s_delay_alu instid0(VALU_DEP_1)
	v_dual_lshrrev_b32 v26, s4, v26 :: v_dual_lshrrev_b32 v27, s2, v3
	s_min_u32 s8, s8, 4
	v_mov_b32_e32 v28, 1
	s_lshl_b32 s8, -1, s8
	s_delay_alu instid0(VALU_DEP_2) | instid1(SALU_CYCLE_1)
	v_bitop3_b32 v26, v26, s8, v26 bitop3:0x30
	v_and_b32_e32 v27, s5, v27
	s_delay_alu instid0(VALU_DEP_2) | instskip(NEXT) | instid1(VALU_DEP_2)
	v_lshl_or_b32 v26, v26, 4, v2
	v_lshl_or_b32 v2, v27, 4, v2
	ds_add_u32 v26, v28 offset:256
	ds_add_u32 v2, v28
	v_lshrrev_b32_e32 v2, s4, v3
	s_delay_alu instid0(VALU_DEP_1) | instskip(NEXT) | instid1(VALU_DEP_1)
	v_bitop3_b32 v2, v2, s8, v2 bitop3:0x30
	v_lshl_add_u32 v27, v2, 4, 0x100
.LBB448_256:
	s_delay_alu instid0(VALU_DEP_1)
	v_lshl_add_u32 v2, v1, 2, v27
	v_mov_b32_e32 v3, 1
	ds_add_u32 v2, v3
.LBB448_257:
	s_and_b32 vcc_lo, exec_lo, s1
	s_wait_dscnt 0x0
	s_barrier_signal -1
	s_barrier_wait -1
	s_cbranch_vccz .LBB448_262
; %bb.258:
	v_dual_mov_b32 v3, 0 :: v_dual_lshlrev_b32 v26, 4, v0
	v_mov_b32_e32 v27, v0
	v_cmp_gt_u32_e32 vcc_lo, 16, v0
	s_branch .LBB448_260
.LBB448_259:                            ;   in Loop: Header=BB448_260 Depth=1
	s_wait_xcnt 0x0
	s_or_b32 exec_lo, exec_lo, s1
	v_add_nc_u32_e32 v27, 16, v27
	v_add_nc_u32_e32 v26, 0x100, v26
	s_add_co_i32 s2, s2, 4
	s_delay_alu instid0(SALU_CYCLE_1)
	s_cmp_ge_u32 s2, s3
	s_cbranch_scc1 .LBB448_262
.LBB448_260:                            ; =>This Inner Loop Header: Depth=1
	s_and_saveexec_b32 s1, vcc_lo
	s_cbranch_execz .LBB448_259
; %bb.261:                              ;   in Loop: Header=BB448_260 Depth=1
	ds_load_2addr_b32 v[28:29], v26 offset1:1
	ds_load_2addr_b32 v[30:31], v26 offset0:2 offset1:3
	s_wait_dscnt 0x1
	v_add_nc_u32_e32 v2, v29, v28
	s_wait_dscnt 0x0
	s_delay_alu instid0(VALU_DEP_1)
	v_add3_u32 v2, v2, v30, v31
	global_atomic_add_u64 v27, v[2:3], s[6:7] scale_offset scope:SCOPE_DEV
	s_branch .LBB448_259
.LBB448_262:
	s_mov_b32 s1, 0
.LBB448_263:
	s_delay_alu instid0(SALU_CYCLE_1)
	s_and_b32 vcc_lo, exec_lo, s1
	s_cbranch_vccz .LBB448_268
; %bb.264:
	s_wait_xcnt 0x0
	s_and_saveexec_b32 s1, s0
; %bb.265:
	v_dual_mov_b32 v3, 0 :: v_dual_lshlrev_b32 v2, 2, v0
	ds_store_b32 v2, v3
; %bb.266:
	s_or_b32 exec_lo, exec_lo, s1
	s_wait_loadcnt 0x15
	v_xor_b32_e32 v2, 0x80, v10
	s_wait_loadcnt 0x14
	v_xor_b32_e32 v3, 0x80, v11
	;; [unrolled: 2-line block ×9, first 2 shown]
	v_dual_lshlrev_b32 v24, 4, v2 :: v_dual_lshlrev_b32 v1, 2, v1
	v_xor_b32_e32 v11, 0x80, v13
	v_xor_b32_e32 v13, 0x80, v15
	;; [unrolled: 1-line block ×6, first 2 shown]
	s_wait_loadcnt 0x6
	v_xor_b32_e32 v23, 0x80, v25
	v_and_or_b32 v24, 0xf0, v24, v1
	v_dual_mov_b32 v26, 1 :: v_dual_lshlrev_b32 v25, 4, v3
	v_and_or_b32 v2, 0xf0, v2, v1
	s_wait_storecnt 0x0
	s_wait_loadcnt_dscnt 0x0
	s_barrier_signal -1
	s_barrier_wait -1
	v_and_or_b32 v25, 0xf0, v25, v1
	ds_add_u32 v24, v26
	v_lshlrev_b32_e32 v24, 4, v10
	ds_add_u32 v2, v26 offset:256
	v_and_or_b32 v2, 0xf0, v3, v1
	v_lshlrev_b32_e32 v3, 4, v11
	ds_add_u32 v25, v26
	v_and_or_b32 v24, 0xf0, v24, v1
	v_and_or_b32 v10, 0xf0, v10, v1
	ds_add_u32 v2, v26 offset:256
	v_lshlrev_b32_e32 v2, 4, v12
	v_and_or_b32 v3, 0xf0, v3, v1
	ds_add_u32 v24, v26
	ds_add_u32 v10, v26 offset:256
	v_and_or_b32 v10, 0xf0, v11, v1
	v_and_or_b32 v11, 0xf0, v12, v1
	v_xor_b32_e32 v6, 0x80, v6
	ds_add_u32 v3, v26
	v_lshlrev_b32_e32 v3, 4, v13
	v_and_or_b32 v2, 0xf0, v2, v1
	ds_add_u32 v10, v26 offset:256
	ds_add_u32 v2, v26
	v_lshlrev_b32_e32 v2, 4, v14
	v_and_or_b32 v3, 0xf0, v3, v1
	ds_add_u32 v11, v26 offset:256
	v_and_or_b32 v10, 0xf0, v13, v1
	v_lshlrev_b32_e32 v11, 4, v15
	v_and_or_b32 v2, 0xf0, v2, v1
	ds_add_u32 v3, v26
	v_and_or_b32 v3, 0xf0, v14, v1
	ds_add_u32 v10, v26 offset:256
	v_and_or_b32 v10, 0xf0, v11, v1
	ds_add_u32 v2, v26
	v_lshlrev_b32_e32 v2, 4, v16
	ds_add_u32 v3, v26 offset:256
	v_and_or_b32 v3, 0xf0, v15, v1
	ds_add_u32 v10, v26
	v_lshlrev_b32_e32 v10, 4, v17
	v_and_or_b32 v2, 0xf0, v2, v1
	v_and_or_b32 v11, 0xf0, v16, v1
	ds_add_u32 v3, v26 offset:256
	v_lshlrev_b32_e32 v3, 4, v18
	v_and_or_b32 v10, 0xf0, v10, v1
	ds_add_u32 v2, v26
	ds_add_u32 v11, v26 offset:256
	v_and_or_b32 v2, 0xf0, v17, v1
	v_and_or_b32 v11, 0xf0, v18, v1
	v_xor_b32_e32 v7, 0x80, v7
	ds_add_u32 v10, v26
	v_lshlrev_b32_e32 v10, 4, v19
	v_and_or_b32 v3, 0xf0, v3, v1
	ds_add_u32 v2, v26 offset:256
	ds_add_u32 v3, v26
	v_lshlrev_b32_e32 v2, 4, v20
	v_and_or_b32 v3, 0xf0, v10, v1
	ds_add_u32 v11, v26 offset:256
	v_and_or_b32 v10, 0xf0, v19, v1
	v_lshlrev_b32_e32 v11, 4, v21
	v_and_or_b32 v2, 0xf0, v2, v1
	ds_add_u32 v3, v26
	v_and_or_b32 v3, 0xf0, v20, v1
	ds_add_u32 v10, v26 offset:256
	v_and_or_b32 v10, 0xf0, v11, v1
	ds_add_u32 v2, v26
	v_lshlrev_b32_e32 v2, 4, v22
	ds_add_u32 v3, v26 offset:256
	v_and_or_b32 v3, 0xf0, v21, v1
	ds_add_u32 v10, v26
	v_lshlrev_b32_e32 v10, 4, v23
	v_and_or_b32 v2, 0xf0, v2, v1
	v_and_or_b32 v11, 0xf0, v22, v1
	ds_add_u32 v3, v26 offset:256
	v_lshlrev_b32_e32 v3, 4, v6
	v_and_or_b32 v10, 0xf0, v10, v1
	v_xor_b32_e32 v8, 0x80, v8
	ds_add_u32 v2, v26
	ds_add_u32 v11, v26 offset:256
	v_and_or_b32 v2, 0xf0, v23, v1
	v_xor_b32_e32 v9, 0x80, v9
	ds_add_u32 v10, v26
	v_lshlrev_b32_e32 v10, 4, v7
	v_and_or_b32 v3, 0xf0, v3, v1
	v_and_or_b32 v6, 0xf0, v6, v1
	ds_add_u32 v2, v26 offset:256
	ds_add_u32 v3, v26
	v_lshlrev_b32_e32 v2, 4, v8
	v_and_or_b32 v3, 0xf0, v10, v1
	ds_add_u32 v6, v26 offset:256
	v_and_or_b32 v6, 0xf0, v7, v1
	v_lshlrev_b32_e32 v7, 4, v9
	v_xor_b32_e32 v5, 0x80, v5
	v_and_or_b32 v2, 0xf0, v2, v1
	v_xor_b32_e32 v4, 0x80, v4
	ds_add_u32 v3, v26
	v_and_or_b32 v3, 0xf0, v8, v1
	ds_add_u32 v6, v26 offset:256
	v_and_or_b32 v6, 0xf0, v7, v1
	ds_add_u32 v2, v26
	v_lshlrev_b32_e32 v2, 4, v5
	ds_add_u32 v3, v26 offset:256
	v_lshlrev_b32_e32 v3, 4, v4
	ds_add_u32 v6, v26
	v_and_or_b32 v6, 0xf0, v9, v1
	v_and_or_b32 v2, 0xf0, v2, v1
	v_and_or_b32 v5, 0xf0, v5, v1
	v_and_or_b32 v3, 0xf0, v3, v1
	v_and_or_b32 v1, 0xf0, v4, v1
	ds_add_u32 v6, v26 offset:256
	ds_add_u32 v2, v26
	ds_add_u32 v5, v26 offset:256
	ds_add_u32 v3, v26
	ds_add_u32 v1, v26 offset:256
	s_wait_dscnt 0x0
	s_barrier_signal -1
	s_barrier_wait -1
	s_mov_b32 s0, exec_lo
	v_cmpx_gt_u32_e32 16, v0
	s_cbranch_execz .LBB448_268
; %bb.267:
	v_lshlrev_b32_e32 v1, 4, v0
	ds_load_2addr_b32 v[2:3], v1 offset1:1
	ds_load_2addr_b32 v[4:5], v1 offset0:2 offset1:3
	s_wait_dscnt 0x1
	v_dual_mov_b32 v3, 0 :: v_dual_add_nc_u32 v2, v3, v2
	s_wait_dscnt 0x0
	s_delay_alu instid0(VALU_DEP_1)
	v_add3_u32 v2, v2, v4, v5
	global_atomic_add_u64 v0, v[2:3], s[6:7] scale_offset scope:SCOPE_DEV
	ds_load_2addr_b32 v[4:5], v1 offset0:64 offset1:65
	ds_load_2addr_b32 v[6:7], v1 offset0:66 offset1:67
	s_wait_dscnt 0x1
	v_add_nc_u32_e32 v1, v5, v4
	s_wait_dscnt 0x0
	s_wait_xcnt 0x0
	s_delay_alu instid0(VALU_DEP_1)
	v_add3_u32 v2, v1, v6, v7
	global_atomic_add_u64 v0, v[2:3], s[6:7] offset:128 scale_offset scope:SCOPE_DEV
.LBB448_268:
	s_endpgm
	.section	.rodata,"a",@progbits
	.p2align	6, 0x0
	.amdhsa_kernel _ZN7rocprim17ROCPRIM_400000_NS6detail17trampoline_kernelINS0_14default_configENS1_35radix_sort_onesweep_config_selectorIaNS0_10empty_typeEEEZNS1_34radix_sort_onesweep_global_offsetsIS3_Lb0EPKaPS5_mNS0_19identity_decomposerEEE10hipError_tT1_T2_PT3_SF_jT4_jjP12ihipStream_tbEUlT_E_NS1_11comp_targetILNS1_3genE0ELNS1_11target_archE4294967295ELNS1_3gpuE0ELNS1_3repE0EEENS1_52radix_sort_onesweep_histogram_config_static_selectorELNS0_4arch9wavefront6targetE0EEEvSD_
		.amdhsa_group_segment_fixed_size 512
		.amdhsa_private_segment_fixed_size 0
		.amdhsa_kernarg_size 48
		.amdhsa_user_sgpr_count 2
		.amdhsa_user_sgpr_dispatch_ptr 0
		.amdhsa_user_sgpr_queue_ptr 0
		.amdhsa_user_sgpr_kernarg_segment_ptr 1
		.amdhsa_user_sgpr_dispatch_id 0
		.amdhsa_user_sgpr_kernarg_preload_length 0
		.amdhsa_user_sgpr_kernarg_preload_offset 0
		.amdhsa_user_sgpr_private_segment_size 0
		.amdhsa_wavefront_size32 1
		.amdhsa_uses_dynamic_stack 0
		.amdhsa_enable_private_segment 0
		.amdhsa_system_sgpr_workgroup_id_x 1
		.amdhsa_system_sgpr_workgroup_id_y 0
		.amdhsa_system_sgpr_workgroup_id_z 0
		.amdhsa_system_sgpr_workgroup_info 0
		.amdhsa_system_vgpr_workitem_id 0
		.amdhsa_next_free_vgpr 47
		.amdhsa_next_free_sgpr 13
		.amdhsa_named_barrier_count 0
		.amdhsa_reserve_vcc 1
		.amdhsa_float_round_mode_32 0
		.amdhsa_float_round_mode_16_64 0
		.amdhsa_float_denorm_mode_32 3
		.amdhsa_float_denorm_mode_16_64 3
		.amdhsa_fp16_overflow 0
		.amdhsa_memory_ordered 1
		.amdhsa_forward_progress 1
		.amdhsa_inst_pref_size 90
		.amdhsa_round_robin_scheduling 0
		.amdhsa_exception_fp_ieee_invalid_op 0
		.amdhsa_exception_fp_denorm_src 0
		.amdhsa_exception_fp_ieee_div_zero 0
		.amdhsa_exception_fp_ieee_overflow 0
		.amdhsa_exception_fp_ieee_underflow 0
		.amdhsa_exception_fp_ieee_inexact 0
		.amdhsa_exception_int_div_zero 0
	.end_amdhsa_kernel
	.section	.text._ZN7rocprim17ROCPRIM_400000_NS6detail17trampoline_kernelINS0_14default_configENS1_35radix_sort_onesweep_config_selectorIaNS0_10empty_typeEEEZNS1_34radix_sort_onesweep_global_offsetsIS3_Lb0EPKaPS5_mNS0_19identity_decomposerEEE10hipError_tT1_T2_PT3_SF_jT4_jjP12ihipStream_tbEUlT_E_NS1_11comp_targetILNS1_3genE0ELNS1_11target_archE4294967295ELNS1_3gpuE0ELNS1_3repE0EEENS1_52radix_sort_onesweep_histogram_config_static_selectorELNS0_4arch9wavefront6targetE0EEEvSD_,"axG",@progbits,_ZN7rocprim17ROCPRIM_400000_NS6detail17trampoline_kernelINS0_14default_configENS1_35radix_sort_onesweep_config_selectorIaNS0_10empty_typeEEEZNS1_34radix_sort_onesweep_global_offsetsIS3_Lb0EPKaPS5_mNS0_19identity_decomposerEEE10hipError_tT1_T2_PT3_SF_jT4_jjP12ihipStream_tbEUlT_E_NS1_11comp_targetILNS1_3genE0ELNS1_11target_archE4294967295ELNS1_3gpuE0ELNS1_3repE0EEENS1_52radix_sort_onesweep_histogram_config_static_selectorELNS0_4arch9wavefront6targetE0EEEvSD_,comdat
.Lfunc_end448:
	.size	_ZN7rocprim17ROCPRIM_400000_NS6detail17trampoline_kernelINS0_14default_configENS1_35radix_sort_onesweep_config_selectorIaNS0_10empty_typeEEEZNS1_34radix_sort_onesweep_global_offsetsIS3_Lb0EPKaPS5_mNS0_19identity_decomposerEEE10hipError_tT1_T2_PT3_SF_jT4_jjP12ihipStream_tbEUlT_E_NS1_11comp_targetILNS1_3genE0ELNS1_11target_archE4294967295ELNS1_3gpuE0ELNS1_3repE0EEENS1_52radix_sort_onesweep_histogram_config_static_selectorELNS0_4arch9wavefront6targetE0EEEvSD_, .Lfunc_end448-_ZN7rocprim17ROCPRIM_400000_NS6detail17trampoline_kernelINS0_14default_configENS1_35radix_sort_onesweep_config_selectorIaNS0_10empty_typeEEEZNS1_34radix_sort_onesweep_global_offsetsIS3_Lb0EPKaPS5_mNS0_19identity_decomposerEEE10hipError_tT1_T2_PT3_SF_jT4_jjP12ihipStream_tbEUlT_E_NS1_11comp_targetILNS1_3genE0ELNS1_11target_archE4294967295ELNS1_3gpuE0ELNS1_3repE0EEENS1_52radix_sort_onesweep_histogram_config_static_selectorELNS0_4arch9wavefront6targetE0EEEvSD_
                                        ; -- End function
	.set _ZN7rocprim17ROCPRIM_400000_NS6detail17trampoline_kernelINS0_14default_configENS1_35radix_sort_onesweep_config_selectorIaNS0_10empty_typeEEEZNS1_34radix_sort_onesweep_global_offsetsIS3_Lb0EPKaPS5_mNS0_19identity_decomposerEEE10hipError_tT1_T2_PT3_SF_jT4_jjP12ihipStream_tbEUlT_E_NS1_11comp_targetILNS1_3genE0ELNS1_11target_archE4294967295ELNS1_3gpuE0ELNS1_3repE0EEENS1_52radix_sort_onesweep_histogram_config_static_selectorELNS0_4arch9wavefront6targetE0EEEvSD_.num_vgpr, 47
	.set _ZN7rocprim17ROCPRIM_400000_NS6detail17trampoline_kernelINS0_14default_configENS1_35radix_sort_onesweep_config_selectorIaNS0_10empty_typeEEEZNS1_34radix_sort_onesweep_global_offsetsIS3_Lb0EPKaPS5_mNS0_19identity_decomposerEEE10hipError_tT1_T2_PT3_SF_jT4_jjP12ihipStream_tbEUlT_E_NS1_11comp_targetILNS1_3genE0ELNS1_11target_archE4294967295ELNS1_3gpuE0ELNS1_3repE0EEENS1_52radix_sort_onesweep_histogram_config_static_selectorELNS0_4arch9wavefront6targetE0EEEvSD_.num_agpr, 0
	.set _ZN7rocprim17ROCPRIM_400000_NS6detail17trampoline_kernelINS0_14default_configENS1_35radix_sort_onesweep_config_selectorIaNS0_10empty_typeEEEZNS1_34radix_sort_onesweep_global_offsetsIS3_Lb0EPKaPS5_mNS0_19identity_decomposerEEE10hipError_tT1_T2_PT3_SF_jT4_jjP12ihipStream_tbEUlT_E_NS1_11comp_targetILNS1_3genE0ELNS1_11target_archE4294967295ELNS1_3gpuE0ELNS1_3repE0EEENS1_52radix_sort_onesweep_histogram_config_static_selectorELNS0_4arch9wavefront6targetE0EEEvSD_.numbered_sgpr, 13
	.set _ZN7rocprim17ROCPRIM_400000_NS6detail17trampoline_kernelINS0_14default_configENS1_35radix_sort_onesweep_config_selectorIaNS0_10empty_typeEEEZNS1_34radix_sort_onesweep_global_offsetsIS3_Lb0EPKaPS5_mNS0_19identity_decomposerEEE10hipError_tT1_T2_PT3_SF_jT4_jjP12ihipStream_tbEUlT_E_NS1_11comp_targetILNS1_3genE0ELNS1_11target_archE4294967295ELNS1_3gpuE0ELNS1_3repE0EEENS1_52radix_sort_onesweep_histogram_config_static_selectorELNS0_4arch9wavefront6targetE0EEEvSD_.num_named_barrier, 0
	.set _ZN7rocprim17ROCPRIM_400000_NS6detail17trampoline_kernelINS0_14default_configENS1_35radix_sort_onesweep_config_selectorIaNS0_10empty_typeEEEZNS1_34radix_sort_onesweep_global_offsetsIS3_Lb0EPKaPS5_mNS0_19identity_decomposerEEE10hipError_tT1_T2_PT3_SF_jT4_jjP12ihipStream_tbEUlT_E_NS1_11comp_targetILNS1_3genE0ELNS1_11target_archE4294967295ELNS1_3gpuE0ELNS1_3repE0EEENS1_52radix_sort_onesweep_histogram_config_static_selectorELNS0_4arch9wavefront6targetE0EEEvSD_.private_seg_size, 0
	.set _ZN7rocprim17ROCPRIM_400000_NS6detail17trampoline_kernelINS0_14default_configENS1_35radix_sort_onesweep_config_selectorIaNS0_10empty_typeEEEZNS1_34radix_sort_onesweep_global_offsetsIS3_Lb0EPKaPS5_mNS0_19identity_decomposerEEE10hipError_tT1_T2_PT3_SF_jT4_jjP12ihipStream_tbEUlT_E_NS1_11comp_targetILNS1_3genE0ELNS1_11target_archE4294967295ELNS1_3gpuE0ELNS1_3repE0EEENS1_52radix_sort_onesweep_histogram_config_static_selectorELNS0_4arch9wavefront6targetE0EEEvSD_.uses_vcc, 1
	.set _ZN7rocprim17ROCPRIM_400000_NS6detail17trampoline_kernelINS0_14default_configENS1_35radix_sort_onesweep_config_selectorIaNS0_10empty_typeEEEZNS1_34radix_sort_onesweep_global_offsetsIS3_Lb0EPKaPS5_mNS0_19identity_decomposerEEE10hipError_tT1_T2_PT3_SF_jT4_jjP12ihipStream_tbEUlT_E_NS1_11comp_targetILNS1_3genE0ELNS1_11target_archE4294967295ELNS1_3gpuE0ELNS1_3repE0EEENS1_52radix_sort_onesweep_histogram_config_static_selectorELNS0_4arch9wavefront6targetE0EEEvSD_.uses_flat_scratch, 0
	.set _ZN7rocprim17ROCPRIM_400000_NS6detail17trampoline_kernelINS0_14default_configENS1_35radix_sort_onesweep_config_selectorIaNS0_10empty_typeEEEZNS1_34radix_sort_onesweep_global_offsetsIS3_Lb0EPKaPS5_mNS0_19identity_decomposerEEE10hipError_tT1_T2_PT3_SF_jT4_jjP12ihipStream_tbEUlT_E_NS1_11comp_targetILNS1_3genE0ELNS1_11target_archE4294967295ELNS1_3gpuE0ELNS1_3repE0EEENS1_52radix_sort_onesweep_histogram_config_static_selectorELNS0_4arch9wavefront6targetE0EEEvSD_.has_dyn_sized_stack, 0
	.set _ZN7rocprim17ROCPRIM_400000_NS6detail17trampoline_kernelINS0_14default_configENS1_35radix_sort_onesweep_config_selectorIaNS0_10empty_typeEEEZNS1_34radix_sort_onesweep_global_offsetsIS3_Lb0EPKaPS5_mNS0_19identity_decomposerEEE10hipError_tT1_T2_PT3_SF_jT4_jjP12ihipStream_tbEUlT_E_NS1_11comp_targetILNS1_3genE0ELNS1_11target_archE4294967295ELNS1_3gpuE0ELNS1_3repE0EEENS1_52radix_sort_onesweep_histogram_config_static_selectorELNS0_4arch9wavefront6targetE0EEEvSD_.has_recursion, 0
	.set _ZN7rocprim17ROCPRIM_400000_NS6detail17trampoline_kernelINS0_14default_configENS1_35radix_sort_onesweep_config_selectorIaNS0_10empty_typeEEEZNS1_34radix_sort_onesweep_global_offsetsIS3_Lb0EPKaPS5_mNS0_19identity_decomposerEEE10hipError_tT1_T2_PT3_SF_jT4_jjP12ihipStream_tbEUlT_E_NS1_11comp_targetILNS1_3genE0ELNS1_11target_archE4294967295ELNS1_3gpuE0ELNS1_3repE0EEENS1_52radix_sort_onesweep_histogram_config_static_selectorELNS0_4arch9wavefront6targetE0EEEvSD_.has_indirect_call, 0
	.section	.AMDGPU.csdata,"",@progbits
; Kernel info:
; codeLenInByte = 11492
; TotalNumSgprs: 15
; NumVgprs: 47
; ScratchSize: 0
; MemoryBound: 0
; FloatMode: 240
; IeeeMode: 1
; LDSByteSize: 512 bytes/workgroup (compile time only)
; SGPRBlocks: 0
; VGPRBlocks: 2
; NumSGPRsForWavesPerEU: 15
; NumVGPRsForWavesPerEU: 47
; NamedBarCnt: 0
; Occupancy: 16
; WaveLimiterHint : 1
; COMPUTE_PGM_RSRC2:SCRATCH_EN: 0
; COMPUTE_PGM_RSRC2:USER_SGPR: 2
; COMPUTE_PGM_RSRC2:TRAP_HANDLER: 0
; COMPUTE_PGM_RSRC2:TGID_X_EN: 1
; COMPUTE_PGM_RSRC2:TGID_Y_EN: 0
; COMPUTE_PGM_RSRC2:TGID_Z_EN: 0
; COMPUTE_PGM_RSRC2:TIDIG_COMP_CNT: 0
	.section	.text._ZN7rocprim17ROCPRIM_400000_NS6detail17trampoline_kernelINS0_14default_configENS1_35radix_sort_onesweep_config_selectorIaNS0_10empty_typeEEEZNS1_34radix_sort_onesweep_global_offsetsIS3_Lb0EPKaPS5_mNS0_19identity_decomposerEEE10hipError_tT1_T2_PT3_SF_jT4_jjP12ihipStream_tbEUlT_E_NS1_11comp_targetILNS1_3genE6ELNS1_11target_archE950ELNS1_3gpuE13ELNS1_3repE0EEENS1_52radix_sort_onesweep_histogram_config_static_selectorELNS0_4arch9wavefront6targetE0EEEvSD_,"axG",@progbits,_ZN7rocprim17ROCPRIM_400000_NS6detail17trampoline_kernelINS0_14default_configENS1_35radix_sort_onesweep_config_selectorIaNS0_10empty_typeEEEZNS1_34radix_sort_onesweep_global_offsetsIS3_Lb0EPKaPS5_mNS0_19identity_decomposerEEE10hipError_tT1_T2_PT3_SF_jT4_jjP12ihipStream_tbEUlT_E_NS1_11comp_targetILNS1_3genE6ELNS1_11target_archE950ELNS1_3gpuE13ELNS1_3repE0EEENS1_52radix_sort_onesweep_histogram_config_static_selectorELNS0_4arch9wavefront6targetE0EEEvSD_,comdat
	.protected	_ZN7rocprim17ROCPRIM_400000_NS6detail17trampoline_kernelINS0_14default_configENS1_35radix_sort_onesweep_config_selectorIaNS0_10empty_typeEEEZNS1_34radix_sort_onesweep_global_offsetsIS3_Lb0EPKaPS5_mNS0_19identity_decomposerEEE10hipError_tT1_T2_PT3_SF_jT4_jjP12ihipStream_tbEUlT_E_NS1_11comp_targetILNS1_3genE6ELNS1_11target_archE950ELNS1_3gpuE13ELNS1_3repE0EEENS1_52radix_sort_onesweep_histogram_config_static_selectorELNS0_4arch9wavefront6targetE0EEEvSD_ ; -- Begin function _ZN7rocprim17ROCPRIM_400000_NS6detail17trampoline_kernelINS0_14default_configENS1_35radix_sort_onesweep_config_selectorIaNS0_10empty_typeEEEZNS1_34radix_sort_onesweep_global_offsetsIS3_Lb0EPKaPS5_mNS0_19identity_decomposerEEE10hipError_tT1_T2_PT3_SF_jT4_jjP12ihipStream_tbEUlT_E_NS1_11comp_targetILNS1_3genE6ELNS1_11target_archE950ELNS1_3gpuE13ELNS1_3repE0EEENS1_52radix_sort_onesweep_histogram_config_static_selectorELNS0_4arch9wavefront6targetE0EEEvSD_
	.globl	_ZN7rocprim17ROCPRIM_400000_NS6detail17trampoline_kernelINS0_14default_configENS1_35radix_sort_onesweep_config_selectorIaNS0_10empty_typeEEEZNS1_34radix_sort_onesweep_global_offsetsIS3_Lb0EPKaPS5_mNS0_19identity_decomposerEEE10hipError_tT1_T2_PT3_SF_jT4_jjP12ihipStream_tbEUlT_E_NS1_11comp_targetILNS1_3genE6ELNS1_11target_archE950ELNS1_3gpuE13ELNS1_3repE0EEENS1_52radix_sort_onesweep_histogram_config_static_selectorELNS0_4arch9wavefront6targetE0EEEvSD_
	.p2align	8
	.type	_ZN7rocprim17ROCPRIM_400000_NS6detail17trampoline_kernelINS0_14default_configENS1_35radix_sort_onesweep_config_selectorIaNS0_10empty_typeEEEZNS1_34radix_sort_onesweep_global_offsetsIS3_Lb0EPKaPS5_mNS0_19identity_decomposerEEE10hipError_tT1_T2_PT3_SF_jT4_jjP12ihipStream_tbEUlT_E_NS1_11comp_targetILNS1_3genE6ELNS1_11target_archE950ELNS1_3gpuE13ELNS1_3repE0EEENS1_52radix_sort_onesweep_histogram_config_static_selectorELNS0_4arch9wavefront6targetE0EEEvSD_,@function
_ZN7rocprim17ROCPRIM_400000_NS6detail17trampoline_kernelINS0_14default_configENS1_35radix_sort_onesweep_config_selectorIaNS0_10empty_typeEEEZNS1_34radix_sort_onesweep_global_offsetsIS3_Lb0EPKaPS5_mNS0_19identity_decomposerEEE10hipError_tT1_T2_PT3_SF_jT4_jjP12ihipStream_tbEUlT_E_NS1_11comp_targetILNS1_3genE6ELNS1_11target_archE950ELNS1_3gpuE13ELNS1_3repE0EEENS1_52radix_sort_onesweep_histogram_config_static_selectorELNS0_4arch9wavefront6targetE0EEEvSD_: ; @_ZN7rocprim17ROCPRIM_400000_NS6detail17trampoline_kernelINS0_14default_configENS1_35radix_sort_onesweep_config_selectorIaNS0_10empty_typeEEEZNS1_34radix_sort_onesweep_global_offsetsIS3_Lb0EPKaPS5_mNS0_19identity_decomposerEEE10hipError_tT1_T2_PT3_SF_jT4_jjP12ihipStream_tbEUlT_E_NS1_11comp_targetILNS1_3genE6ELNS1_11target_archE950ELNS1_3gpuE13ELNS1_3repE0EEENS1_52radix_sort_onesweep_histogram_config_static_selectorELNS0_4arch9wavefront6targetE0EEEvSD_
; %bb.0:
	.section	.rodata,"a",@progbits
	.p2align	6, 0x0
	.amdhsa_kernel _ZN7rocprim17ROCPRIM_400000_NS6detail17trampoline_kernelINS0_14default_configENS1_35radix_sort_onesweep_config_selectorIaNS0_10empty_typeEEEZNS1_34radix_sort_onesweep_global_offsetsIS3_Lb0EPKaPS5_mNS0_19identity_decomposerEEE10hipError_tT1_T2_PT3_SF_jT4_jjP12ihipStream_tbEUlT_E_NS1_11comp_targetILNS1_3genE6ELNS1_11target_archE950ELNS1_3gpuE13ELNS1_3repE0EEENS1_52radix_sort_onesweep_histogram_config_static_selectorELNS0_4arch9wavefront6targetE0EEEvSD_
		.amdhsa_group_segment_fixed_size 0
		.amdhsa_private_segment_fixed_size 0
		.amdhsa_kernarg_size 48
		.amdhsa_user_sgpr_count 2
		.amdhsa_user_sgpr_dispatch_ptr 0
		.amdhsa_user_sgpr_queue_ptr 0
		.amdhsa_user_sgpr_kernarg_segment_ptr 1
		.amdhsa_user_sgpr_dispatch_id 0
		.amdhsa_user_sgpr_kernarg_preload_length 0
		.amdhsa_user_sgpr_kernarg_preload_offset 0
		.amdhsa_user_sgpr_private_segment_size 0
		.amdhsa_wavefront_size32 1
		.amdhsa_uses_dynamic_stack 0
		.amdhsa_enable_private_segment 0
		.amdhsa_system_sgpr_workgroup_id_x 1
		.amdhsa_system_sgpr_workgroup_id_y 0
		.amdhsa_system_sgpr_workgroup_id_z 0
		.amdhsa_system_sgpr_workgroup_info 0
		.amdhsa_system_vgpr_workitem_id 0
		.amdhsa_next_free_vgpr 1
		.amdhsa_next_free_sgpr 1
		.amdhsa_named_barrier_count 0
		.amdhsa_reserve_vcc 0
		.amdhsa_float_round_mode_32 0
		.amdhsa_float_round_mode_16_64 0
		.amdhsa_float_denorm_mode_32 3
		.amdhsa_float_denorm_mode_16_64 3
		.amdhsa_fp16_overflow 0
		.amdhsa_memory_ordered 1
		.amdhsa_forward_progress 1
		.amdhsa_inst_pref_size 0
		.amdhsa_round_robin_scheduling 0
		.amdhsa_exception_fp_ieee_invalid_op 0
		.amdhsa_exception_fp_denorm_src 0
		.amdhsa_exception_fp_ieee_div_zero 0
		.amdhsa_exception_fp_ieee_overflow 0
		.amdhsa_exception_fp_ieee_underflow 0
		.amdhsa_exception_fp_ieee_inexact 0
		.amdhsa_exception_int_div_zero 0
	.end_amdhsa_kernel
	.section	.text._ZN7rocprim17ROCPRIM_400000_NS6detail17trampoline_kernelINS0_14default_configENS1_35radix_sort_onesweep_config_selectorIaNS0_10empty_typeEEEZNS1_34radix_sort_onesweep_global_offsetsIS3_Lb0EPKaPS5_mNS0_19identity_decomposerEEE10hipError_tT1_T2_PT3_SF_jT4_jjP12ihipStream_tbEUlT_E_NS1_11comp_targetILNS1_3genE6ELNS1_11target_archE950ELNS1_3gpuE13ELNS1_3repE0EEENS1_52radix_sort_onesweep_histogram_config_static_selectorELNS0_4arch9wavefront6targetE0EEEvSD_,"axG",@progbits,_ZN7rocprim17ROCPRIM_400000_NS6detail17trampoline_kernelINS0_14default_configENS1_35radix_sort_onesweep_config_selectorIaNS0_10empty_typeEEEZNS1_34radix_sort_onesweep_global_offsetsIS3_Lb0EPKaPS5_mNS0_19identity_decomposerEEE10hipError_tT1_T2_PT3_SF_jT4_jjP12ihipStream_tbEUlT_E_NS1_11comp_targetILNS1_3genE6ELNS1_11target_archE950ELNS1_3gpuE13ELNS1_3repE0EEENS1_52radix_sort_onesweep_histogram_config_static_selectorELNS0_4arch9wavefront6targetE0EEEvSD_,comdat
.Lfunc_end449:
	.size	_ZN7rocprim17ROCPRIM_400000_NS6detail17trampoline_kernelINS0_14default_configENS1_35radix_sort_onesweep_config_selectorIaNS0_10empty_typeEEEZNS1_34radix_sort_onesweep_global_offsetsIS3_Lb0EPKaPS5_mNS0_19identity_decomposerEEE10hipError_tT1_T2_PT3_SF_jT4_jjP12ihipStream_tbEUlT_E_NS1_11comp_targetILNS1_3genE6ELNS1_11target_archE950ELNS1_3gpuE13ELNS1_3repE0EEENS1_52radix_sort_onesweep_histogram_config_static_selectorELNS0_4arch9wavefront6targetE0EEEvSD_, .Lfunc_end449-_ZN7rocprim17ROCPRIM_400000_NS6detail17trampoline_kernelINS0_14default_configENS1_35radix_sort_onesweep_config_selectorIaNS0_10empty_typeEEEZNS1_34radix_sort_onesweep_global_offsetsIS3_Lb0EPKaPS5_mNS0_19identity_decomposerEEE10hipError_tT1_T2_PT3_SF_jT4_jjP12ihipStream_tbEUlT_E_NS1_11comp_targetILNS1_3genE6ELNS1_11target_archE950ELNS1_3gpuE13ELNS1_3repE0EEENS1_52radix_sort_onesweep_histogram_config_static_selectorELNS0_4arch9wavefront6targetE0EEEvSD_
                                        ; -- End function
	.set _ZN7rocprim17ROCPRIM_400000_NS6detail17trampoline_kernelINS0_14default_configENS1_35radix_sort_onesweep_config_selectorIaNS0_10empty_typeEEEZNS1_34radix_sort_onesweep_global_offsetsIS3_Lb0EPKaPS5_mNS0_19identity_decomposerEEE10hipError_tT1_T2_PT3_SF_jT4_jjP12ihipStream_tbEUlT_E_NS1_11comp_targetILNS1_3genE6ELNS1_11target_archE950ELNS1_3gpuE13ELNS1_3repE0EEENS1_52radix_sort_onesweep_histogram_config_static_selectorELNS0_4arch9wavefront6targetE0EEEvSD_.num_vgpr, 0
	.set _ZN7rocprim17ROCPRIM_400000_NS6detail17trampoline_kernelINS0_14default_configENS1_35radix_sort_onesweep_config_selectorIaNS0_10empty_typeEEEZNS1_34radix_sort_onesweep_global_offsetsIS3_Lb0EPKaPS5_mNS0_19identity_decomposerEEE10hipError_tT1_T2_PT3_SF_jT4_jjP12ihipStream_tbEUlT_E_NS1_11comp_targetILNS1_3genE6ELNS1_11target_archE950ELNS1_3gpuE13ELNS1_3repE0EEENS1_52radix_sort_onesweep_histogram_config_static_selectorELNS0_4arch9wavefront6targetE0EEEvSD_.num_agpr, 0
	.set _ZN7rocprim17ROCPRIM_400000_NS6detail17trampoline_kernelINS0_14default_configENS1_35radix_sort_onesweep_config_selectorIaNS0_10empty_typeEEEZNS1_34radix_sort_onesweep_global_offsetsIS3_Lb0EPKaPS5_mNS0_19identity_decomposerEEE10hipError_tT1_T2_PT3_SF_jT4_jjP12ihipStream_tbEUlT_E_NS1_11comp_targetILNS1_3genE6ELNS1_11target_archE950ELNS1_3gpuE13ELNS1_3repE0EEENS1_52radix_sort_onesweep_histogram_config_static_selectorELNS0_4arch9wavefront6targetE0EEEvSD_.numbered_sgpr, 0
	.set _ZN7rocprim17ROCPRIM_400000_NS6detail17trampoline_kernelINS0_14default_configENS1_35radix_sort_onesweep_config_selectorIaNS0_10empty_typeEEEZNS1_34radix_sort_onesweep_global_offsetsIS3_Lb0EPKaPS5_mNS0_19identity_decomposerEEE10hipError_tT1_T2_PT3_SF_jT4_jjP12ihipStream_tbEUlT_E_NS1_11comp_targetILNS1_3genE6ELNS1_11target_archE950ELNS1_3gpuE13ELNS1_3repE0EEENS1_52radix_sort_onesweep_histogram_config_static_selectorELNS0_4arch9wavefront6targetE0EEEvSD_.num_named_barrier, 0
	.set _ZN7rocprim17ROCPRIM_400000_NS6detail17trampoline_kernelINS0_14default_configENS1_35radix_sort_onesweep_config_selectorIaNS0_10empty_typeEEEZNS1_34radix_sort_onesweep_global_offsetsIS3_Lb0EPKaPS5_mNS0_19identity_decomposerEEE10hipError_tT1_T2_PT3_SF_jT4_jjP12ihipStream_tbEUlT_E_NS1_11comp_targetILNS1_3genE6ELNS1_11target_archE950ELNS1_3gpuE13ELNS1_3repE0EEENS1_52radix_sort_onesweep_histogram_config_static_selectorELNS0_4arch9wavefront6targetE0EEEvSD_.private_seg_size, 0
	.set _ZN7rocprim17ROCPRIM_400000_NS6detail17trampoline_kernelINS0_14default_configENS1_35radix_sort_onesweep_config_selectorIaNS0_10empty_typeEEEZNS1_34radix_sort_onesweep_global_offsetsIS3_Lb0EPKaPS5_mNS0_19identity_decomposerEEE10hipError_tT1_T2_PT3_SF_jT4_jjP12ihipStream_tbEUlT_E_NS1_11comp_targetILNS1_3genE6ELNS1_11target_archE950ELNS1_3gpuE13ELNS1_3repE0EEENS1_52radix_sort_onesweep_histogram_config_static_selectorELNS0_4arch9wavefront6targetE0EEEvSD_.uses_vcc, 0
	.set _ZN7rocprim17ROCPRIM_400000_NS6detail17trampoline_kernelINS0_14default_configENS1_35radix_sort_onesweep_config_selectorIaNS0_10empty_typeEEEZNS1_34radix_sort_onesweep_global_offsetsIS3_Lb0EPKaPS5_mNS0_19identity_decomposerEEE10hipError_tT1_T2_PT3_SF_jT4_jjP12ihipStream_tbEUlT_E_NS1_11comp_targetILNS1_3genE6ELNS1_11target_archE950ELNS1_3gpuE13ELNS1_3repE0EEENS1_52radix_sort_onesweep_histogram_config_static_selectorELNS0_4arch9wavefront6targetE0EEEvSD_.uses_flat_scratch, 0
	.set _ZN7rocprim17ROCPRIM_400000_NS6detail17trampoline_kernelINS0_14default_configENS1_35radix_sort_onesweep_config_selectorIaNS0_10empty_typeEEEZNS1_34radix_sort_onesweep_global_offsetsIS3_Lb0EPKaPS5_mNS0_19identity_decomposerEEE10hipError_tT1_T2_PT3_SF_jT4_jjP12ihipStream_tbEUlT_E_NS1_11comp_targetILNS1_3genE6ELNS1_11target_archE950ELNS1_3gpuE13ELNS1_3repE0EEENS1_52radix_sort_onesweep_histogram_config_static_selectorELNS0_4arch9wavefront6targetE0EEEvSD_.has_dyn_sized_stack, 0
	.set _ZN7rocprim17ROCPRIM_400000_NS6detail17trampoline_kernelINS0_14default_configENS1_35radix_sort_onesweep_config_selectorIaNS0_10empty_typeEEEZNS1_34radix_sort_onesweep_global_offsetsIS3_Lb0EPKaPS5_mNS0_19identity_decomposerEEE10hipError_tT1_T2_PT3_SF_jT4_jjP12ihipStream_tbEUlT_E_NS1_11comp_targetILNS1_3genE6ELNS1_11target_archE950ELNS1_3gpuE13ELNS1_3repE0EEENS1_52radix_sort_onesweep_histogram_config_static_selectorELNS0_4arch9wavefront6targetE0EEEvSD_.has_recursion, 0
	.set _ZN7rocprim17ROCPRIM_400000_NS6detail17trampoline_kernelINS0_14default_configENS1_35radix_sort_onesweep_config_selectorIaNS0_10empty_typeEEEZNS1_34radix_sort_onesweep_global_offsetsIS3_Lb0EPKaPS5_mNS0_19identity_decomposerEEE10hipError_tT1_T2_PT3_SF_jT4_jjP12ihipStream_tbEUlT_E_NS1_11comp_targetILNS1_3genE6ELNS1_11target_archE950ELNS1_3gpuE13ELNS1_3repE0EEENS1_52radix_sort_onesweep_histogram_config_static_selectorELNS0_4arch9wavefront6targetE0EEEvSD_.has_indirect_call, 0
	.section	.AMDGPU.csdata,"",@progbits
; Kernel info:
; codeLenInByte = 0
; TotalNumSgprs: 0
; NumVgprs: 0
; ScratchSize: 0
; MemoryBound: 0
; FloatMode: 240
; IeeeMode: 1
; LDSByteSize: 0 bytes/workgroup (compile time only)
; SGPRBlocks: 0
; VGPRBlocks: 0
; NumSGPRsForWavesPerEU: 1
; NumVGPRsForWavesPerEU: 1
; NamedBarCnt: 0
; Occupancy: 16
; WaveLimiterHint : 0
; COMPUTE_PGM_RSRC2:SCRATCH_EN: 0
; COMPUTE_PGM_RSRC2:USER_SGPR: 2
; COMPUTE_PGM_RSRC2:TRAP_HANDLER: 0
; COMPUTE_PGM_RSRC2:TGID_X_EN: 1
; COMPUTE_PGM_RSRC2:TGID_Y_EN: 0
; COMPUTE_PGM_RSRC2:TGID_Z_EN: 0
; COMPUTE_PGM_RSRC2:TIDIG_COMP_CNT: 0
	.section	.text._ZN7rocprim17ROCPRIM_400000_NS6detail17trampoline_kernelINS0_14default_configENS1_35radix_sort_onesweep_config_selectorIaNS0_10empty_typeEEEZNS1_34radix_sort_onesweep_global_offsetsIS3_Lb0EPKaPS5_mNS0_19identity_decomposerEEE10hipError_tT1_T2_PT3_SF_jT4_jjP12ihipStream_tbEUlT_E_NS1_11comp_targetILNS1_3genE5ELNS1_11target_archE942ELNS1_3gpuE9ELNS1_3repE0EEENS1_52radix_sort_onesweep_histogram_config_static_selectorELNS0_4arch9wavefront6targetE0EEEvSD_,"axG",@progbits,_ZN7rocprim17ROCPRIM_400000_NS6detail17trampoline_kernelINS0_14default_configENS1_35radix_sort_onesweep_config_selectorIaNS0_10empty_typeEEEZNS1_34radix_sort_onesweep_global_offsetsIS3_Lb0EPKaPS5_mNS0_19identity_decomposerEEE10hipError_tT1_T2_PT3_SF_jT4_jjP12ihipStream_tbEUlT_E_NS1_11comp_targetILNS1_3genE5ELNS1_11target_archE942ELNS1_3gpuE9ELNS1_3repE0EEENS1_52radix_sort_onesweep_histogram_config_static_selectorELNS0_4arch9wavefront6targetE0EEEvSD_,comdat
	.protected	_ZN7rocprim17ROCPRIM_400000_NS6detail17trampoline_kernelINS0_14default_configENS1_35radix_sort_onesweep_config_selectorIaNS0_10empty_typeEEEZNS1_34radix_sort_onesweep_global_offsetsIS3_Lb0EPKaPS5_mNS0_19identity_decomposerEEE10hipError_tT1_T2_PT3_SF_jT4_jjP12ihipStream_tbEUlT_E_NS1_11comp_targetILNS1_3genE5ELNS1_11target_archE942ELNS1_3gpuE9ELNS1_3repE0EEENS1_52radix_sort_onesweep_histogram_config_static_selectorELNS0_4arch9wavefront6targetE0EEEvSD_ ; -- Begin function _ZN7rocprim17ROCPRIM_400000_NS6detail17trampoline_kernelINS0_14default_configENS1_35radix_sort_onesweep_config_selectorIaNS0_10empty_typeEEEZNS1_34radix_sort_onesweep_global_offsetsIS3_Lb0EPKaPS5_mNS0_19identity_decomposerEEE10hipError_tT1_T2_PT3_SF_jT4_jjP12ihipStream_tbEUlT_E_NS1_11comp_targetILNS1_3genE5ELNS1_11target_archE942ELNS1_3gpuE9ELNS1_3repE0EEENS1_52radix_sort_onesweep_histogram_config_static_selectorELNS0_4arch9wavefront6targetE0EEEvSD_
	.globl	_ZN7rocprim17ROCPRIM_400000_NS6detail17trampoline_kernelINS0_14default_configENS1_35radix_sort_onesweep_config_selectorIaNS0_10empty_typeEEEZNS1_34radix_sort_onesweep_global_offsetsIS3_Lb0EPKaPS5_mNS0_19identity_decomposerEEE10hipError_tT1_T2_PT3_SF_jT4_jjP12ihipStream_tbEUlT_E_NS1_11comp_targetILNS1_3genE5ELNS1_11target_archE942ELNS1_3gpuE9ELNS1_3repE0EEENS1_52radix_sort_onesweep_histogram_config_static_selectorELNS0_4arch9wavefront6targetE0EEEvSD_
	.p2align	8
	.type	_ZN7rocprim17ROCPRIM_400000_NS6detail17trampoline_kernelINS0_14default_configENS1_35radix_sort_onesweep_config_selectorIaNS0_10empty_typeEEEZNS1_34radix_sort_onesweep_global_offsetsIS3_Lb0EPKaPS5_mNS0_19identity_decomposerEEE10hipError_tT1_T2_PT3_SF_jT4_jjP12ihipStream_tbEUlT_E_NS1_11comp_targetILNS1_3genE5ELNS1_11target_archE942ELNS1_3gpuE9ELNS1_3repE0EEENS1_52radix_sort_onesweep_histogram_config_static_selectorELNS0_4arch9wavefront6targetE0EEEvSD_,@function
_ZN7rocprim17ROCPRIM_400000_NS6detail17trampoline_kernelINS0_14default_configENS1_35radix_sort_onesweep_config_selectorIaNS0_10empty_typeEEEZNS1_34radix_sort_onesweep_global_offsetsIS3_Lb0EPKaPS5_mNS0_19identity_decomposerEEE10hipError_tT1_T2_PT3_SF_jT4_jjP12ihipStream_tbEUlT_E_NS1_11comp_targetILNS1_3genE5ELNS1_11target_archE942ELNS1_3gpuE9ELNS1_3repE0EEENS1_52radix_sort_onesweep_histogram_config_static_selectorELNS0_4arch9wavefront6targetE0EEEvSD_: ; @_ZN7rocprim17ROCPRIM_400000_NS6detail17trampoline_kernelINS0_14default_configENS1_35radix_sort_onesweep_config_selectorIaNS0_10empty_typeEEEZNS1_34radix_sort_onesweep_global_offsetsIS3_Lb0EPKaPS5_mNS0_19identity_decomposerEEE10hipError_tT1_T2_PT3_SF_jT4_jjP12ihipStream_tbEUlT_E_NS1_11comp_targetILNS1_3genE5ELNS1_11target_archE942ELNS1_3gpuE9ELNS1_3repE0EEENS1_52radix_sort_onesweep_histogram_config_static_selectorELNS0_4arch9wavefront6targetE0EEEvSD_
; %bb.0:
	.section	.rodata,"a",@progbits
	.p2align	6, 0x0
	.amdhsa_kernel _ZN7rocprim17ROCPRIM_400000_NS6detail17trampoline_kernelINS0_14default_configENS1_35radix_sort_onesweep_config_selectorIaNS0_10empty_typeEEEZNS1_34radix_sort_onesweep_global_offsetsIS3_Lb0EPKaPS5_mNS0_19identity_decomposerEEE10hipError_tT1_T2_PT3_SF_jT4_jjP12ihipStream_tbEUlT_E_NS1_11comp_targetILNS1_3genE5ELNS1_11target_archE942ELNS1_3gpuE9ELNS1_3repE0EEENS1_52radix_sort_onesweep_histogram_config_static_selectorELNS0_4arch9wavefront6targetE0EEEvSD_
		.amdhsa_group_segment_fixed_size 0
		.amdhsa_private_segment_fixed_size 0
		.amdhsa_kernarg_size 48
		.amdhsa_user_sgpr_count 2
		.amdhsa_user_sgpr_dispatch_ptr 0
		.amdhsa_user_sgpr_queue_ptr 0
		.amdhsa_user_sgpr_kernarg_segment_ptr 1
		.amdhsa_user_sgpr_dispatch_id 0
		.amdhsa_user_sgpr_kernarg_preload_length 0
		.amdhsa_user_sgpr_kernarg_preload_offset 0
		.amdhsa_user_sgpr_private_segment_size 0
		.amdhsa_wavefront_size32 1
		.amdhsa_uses_dynamic_stack 0
		.amdhsa_enable_private_segment 0
		.amdhsa_system_sgpr_workgroup_id_x 1
		.amdhsa_system_sgpr_workgroup_id_y 0
		.amdhsa_system_sgpr_workgroup_id_z 0
		.amdhsa_system_sgpr_workgroup_info 0
		.amdhsa_system_vgpr_workitem_id 0
		.amdhsa_next_free_vgpr 1
		.amdhsa_next_free_sgpr 1
		.amdhsa_named_barrier_count 0
		.amdhsa_reserve_vcc 0
		.amdhsa_float_round_mode_32 0
		.amdhsa_float_round_mode_16_64 0
		.amdhsa_float_denorm_mode_32 3
		.amdhsa_float_denorm_mode_16_64 3
		.amdhsa_fp16_overflow 0
		.amdhsa_memory_ordered 1
		.amdhsa_forward_progress 1
		.amdhsa_inst_pref_size 0
		.amdhsa_round_robin_scheduling 0
		.amdhsa_exception_fp_ieee_invalid_op 0
		.amdhsa_exception_fp_denorm_src 0
		.amdhsa_exception_fp_ieee_div_zero 0
		.amdhsa_exception_fp_ieee_overflow 0
		.amdhsa_exception_fp_ieee_underflow 0
		.amdhsa_exception_fp_ieee_inexact 0
		.amdhsa_exception_int_div_zero 0
	.end_amdhsa_kernel
	.section	.text._ZN7rocprim17ROCPRIM_400000_NS6detail17trampoline_kernelINS0_14default_configENS1_35radix_sort_onesweep_config_selectorIaNS0_10empty_typeEEEZNS1_34radix_sort_onesweep_global_offsetsIS3_Lb0EPKaPS5_mNS0_19identity_decomposerEEE10hipError_tT1_T2_PT3_SF_jT4_jjP12ihipStream_tbEUlT_E_NS1_11comp_targetILNS1_3genE5ELNS1_11target_archE942ELNS1_3gpuE9ELNS1_3repE0EEENS1_52radix_sort_onesweep_histogram_config_static_selectorELNS0_4arch9wavefront6targetE0EEEvSD_,"axG",@progbits,_ZN7rocprim17ROCPRIM_400000_NS6detail17trampoline_kernelINS0_14default_configENS1_35radix_sort_onesweep_config_selectorIaNS0_10empty_typeEEEZNS1_34radix_sort_onesweep_global_offsetsIS3_Lb0EPKaPS5_mNS0_19identity_decomposerEEE10hipError_tT1_T2_PT3_SF_jT4_jjP12ihipStream_tbEUlT_E_NS1_11comp_targetILNS1_3genE5ELNS1_11target_archE942ELNS1_3gpuE9ELNS1_3repE0EEENS1_52radix_sort_onesweep_histogram_config_static_selectorELNS0_4arch9wavefront6targetE0EEEvSD_,comdat
.Lfunc_end450:
	.size	_ZN7rocprim17ROCPRIM_400000_NS6detail17trampoline_kernelINS0_14default_configENS1_35radix_sort_onesweep_config_selectorIaNS0_10empty_typeEEEZNS1_34radix_sort_onesweep_global_offsetsIS3_Lb0EPKaPS5_mNS0_19identity_decomposerEEE10hipError_tT1_T2_PT3_SF_jT4_jjP12ihipStream_tbEUlT_E_NS1_11comp_targetILNS1_3genE5ELNS1_11target_archE942ELNS1_3gpuE9ELNS1_3repE0EEENS1_52radix_sort_onesweep_histogram_config_static_selectorELNS0_4arch9wavefront6targetE0EEEvSD_, .Lfunc_end450-_ZN7rocprim17ROCPRIM_400000_NS6detail17trampoline_kernelINS0_14default_configENS1_35radix_sort_onesweep_config_selectorIaNS0_10empty_typeEEEZNS1_34radix_sort_onesweep_global_offsetsIS3_Lb0EPKaPS5_mNS0_19identity_decomposerEEE10hipError_tT1_T2_PT3_SF_jT4_jjP12ihipStream_tbEUlT_E_NS1_11comp_targetILNS1_3genE5ELNS1_11target_archE942ELNS1_3gpuE9ELNS1_3repE0EEENS1_52radix_sort_onesweep_histogram_config_static_selectorELNS0_4arch9wavefront6targetE0EEEvSD_
                                        ; -- End function
	.set _ZN7rocprim17ROCPRIM_400000_NS6detail17trampoline_kernelINS0_14default_configENS1_35radix_sort_onesweep_config_selectorIaNS0_10empty_typeEEEZNS1_34radix_sort_onesweep_global_offsetsIS3_Lb0EPKaPS5_mNS0_19identity_decomposerEEE10hipError_tT1_T2_PT3_SF_jT4_jjP12ihipStream_tbEUlT_E_NS1_11comp_targetILNS1_3genE5ELNS1_11target_archE942ELNS1_3gpuE9ELNS1_3repE0EEENS1_52radix_sort_onesweep_histogram_config_static_selectorELNS0_4arch9wavefront6targetE0EEEvSD_.num_vgpr, 0
	.set _ZN7rocprim17ROCPRIM_400000_NS6detail17trampoline_kernelINS0_14default_configENS1_35radix_sort_onesweep_config_selectorIaNS0_10empty_typeEEEZNS1_34radix_sort_onesweep_global_offsetsIS3_Lb0EPKaPS5_mNS0_19identity_decomposerEEE10hipError_tT1_T2_PT3_SF_jT4_jjP12ihipStream_tbEUlT_E_NS1_11comp_targetILNS1_3genE5ELNS1_11target_archE942ELNS1_3gpuE9ELNS1_3repE0EEENS1_52radix_sort_onesweep_histogram_config_static_selectorELNS0_4arch9wavefront6targetE0EEEvSD_.num_agpr, 0
	.set _ZN7rocprim17ROCPRIM_400000_NS6detail17trampoline_kernelINS0_14default_configENS1_35radix_sort_onesweep_config_selectorIaNS0_10empty_typeEEEZNS1_34radix_sort_onesweep_global_offsetsIS3_Lb0EPKaPS5_mNS0_19identity_decomposerEEE10hipError_tT1_T2_PT3_SF_jT4_jjP12ihipStream_tbEUlT_E_NS1_11comp_targetILNS1_3genE5ELNS1_11target_archE942ELNS1_3gpuE9ELNS1_3repE0EEENS1_52radix_sort_onesweep_histogram_config_static_selectorELNS0_4arch9wavefront6targetE0EEEvSD_.numbered_sgpr, 0
	.set _ZN7rocprim17ROCPRIM_400000_NS6detail17trampoline_kernelINS0_14default_configENS1_35radix_sort_onesweep_config_selectorIaNS0_10empty_typeEEEZNS1_34radix_sort_onesweep_global_offsetsIS3_Lb0EPKaPS5_mNS0_19identity_decomposerEEE10hipError_tT1_T2_PT3_SF_jT4_jjP12ihipStream_tbEUlT_E_NS1_11comp_targetILNS1_3genE5ELNS1_11target_archE942ELNS1_3gpuE9ELNS1_3repE0EEENS1_52radix_sort_onesweep_histogram_config_static_selectorELNS0_4arch9wavefront6targetE0EEEvSD_.num_named_barrier, 0
	.set _ZN7rocprim17ROCPRIM_400000_NS6detail17trampoline_kernelINS0_14default_configENS1_35radix_sort_onesweep_config_selectorIaNS0_10empty_typeEEEZNS1_34radix_sort_onesweep_global_offsetsIS3_Lb0EPKaPS5_mNS0_19identity_decomposerEEE10hipError_tT1_T2_PT3_SF_jT4_jjP12ihipStream_tbEUlT_E_NS1_11comp_targetILNS1_3genE5ELNS1_11target_archE942ELNS1_3gpuE9ELNS1_3repE0EEENS1_52radix_sort_onesweep_histogram_config_static_selectorELNS0_4arch9wavefront6targetE0EEEvSD_.private_seg_size, 0
	.set _ZN7rocprim17ROCPRIM_400000_NS6detail17trampoline_kernelINS0_14default_configENS1_35radix_sort_onesweep_config_selectorIaNS0_10empty_typeEEEZNS1_34radix_sort_onesweep_global_offsetsIS3_Lb0EPKaPS5_mNS0_19identity_decomposerEEE10hipError_tT1_T2_PT3_SF_jT4_jjP12ihipStream_tbEUlT_E_NS1_11comp_targetILNS1_3genE5ELNS1_11target_archE942ELNS1_3gpuE9ELNS1_3repE0EEENS1_52radix_sort_onesweep_histogram_config_static_selectorELNS0_4arch9wavefront6targetE0EEEvSD_.uses_vcc, 0
	.set _ZN7rocprim17ROCPRIM_400000_NS6detail17trampoline_kernelINS0_14default_configENS1_35radix_sort_onesweep_config_selectorIaNS0_10empty_typeEEEZNS1_34radix_sort_onesweep_global_offsetsIS3_Lb0EPKaPS5_mNS0_19identity_decomposerEEE10hipError_tT1_T2_PT3_SF_jT4_jjP12ihipStream_tbEUlT_E_NS1_11comp_targetILNS1_3genE5ELNS1_11target_archE942ELNS1_3gpuE9ELNS1_3repE0EEENS1_52radix_sort_onesweep_histogram_config_static_selectorELNS0_4arch9wavefront6targetE0EEEvSD_.uses_flat_scratch, 0
	.set _ZN7rocprim17ROCPRIM_400000_NS6detail17trampoline_kernelINS0_14default_configENS1_35radix_sort_onesweep_config_selectorIaNS0_10empty_typeEEEZNS1_34radix_sort_onesweep_global_offsetsIS3_Lb0EPKaPS5_mNS0_19identity_decomposerEEE10hipError_tT1_T2_PT3_SF_jT4_jjP12ihipStream_tbEUlT_E_NS1_11comp_targetILNS1_3genE5ELNS1_11target_archE942ELNS1_3gpuE9ELNS1_3repE0EEENS1_52radix_sort_onesweep_histogram_config_static_selectorELNS0_4arch9wavefront6targetE0EEEvSD_.has_dyn_sized_stack, 0
	.set _ZN7rocprim17ROCPRIM_400000_NS6detail17trampoline_kernelINS0_14default_configENS1_35radix_sort_onesweep_config_selectorIaNS0_10empty_typeEEEZNS1_34radix_sort_onesweep_global_offsetsIS3_Lb0EPKaPS5_mNS0_19identity_decomposerEEE10hipError_tT1_T2_PT3_SF_jT4_jjP12ihipStream_tbEUlT_E_NS1_11comp_targetILNS1_3genE5ELNS1_11target_archE942ELNS1_3gpuE9ELNS1_3repE0EEENS1_52radix_sort_onesweep_histogram_config_static_selectorELNS0_4arch9wavefront6targetE0EEEvSD_.has_recursion, 0
	.set _ZN7rocprim17ROCPRIM_400000_NS6detail17trampoline_kernelINS0_14default_configENS1_35radix_sort_onesweep_config_selectorIaNS0_10empty_typeEEEZNS1_34radix_sort_onesweep_global_offsetsIS3_Lb0EPKaPS5_mNS0_19identity_decomposerEEE10hipError_tT1_T2_PT3_SF_jT4_jjP12ihipStream_tbEUlT_E_NS1_11comp_targetILNS1_3genE5ELNS1_11target_archE942ELNS1_3gpuE9ELNS1_3repE0EEENS1_52radix_sort_onesweep_histogram_config_static_selectorELNS0_4arch9wavefront6targetE0EEEvSD_.has_indirect_call, 0
	.section	.AMDGPU.csdata,"",@progbits
; Kernel info:
; codeLenInByte = 0
; TotalNumSgprs: 0
; NumVgprs: 0
; ScratchSize: 0
; MemoryBound: 0
; FloatMode: 240
; IeeeMode: 1
; LDSByteSize: 0 bytes/workgroup (compile time only)
; SGPRBlocks: 0
; VGPRBlocks: 0
; NumSGPRsForWavesPerEU: 1
; NumVGPRsForWavesPerEU: 1
; NamedBarCnt: 0
; Occupancy: 16
; WaveLimiterHint : 0
; COMPUTE_PGM_RSRC2:SCRATCH_EN: 0
; COMPUTE_PGM_RSRC2:USER_SGPR: 2
; COMPUTE_PGM_RSRC2:TRAP_HANDLER: 0
; COMPUTE_PGM_RSRC2:TGID_X_EN: 1
; COMPUTE_PGM_RSRC2:TGID_Y_EN: 0
; COMPUTE_PGM_RSRC2:TGID_Z_EN: 0
; COMPUTE_PGM_RSRC2:TIDIG_COMP_CNT: 0
	.section	.text._ZN7rocprim17ROCPRIM_400000_NS6detail17trampoline_kernelINS0_14default_configENS1_35radix_sort_onesweep_config_selectorIaNS0_10empty_typeEEEZNS1_34radix_sort_onesweep_global_offsetsIS3_Lb0EPKaPS5_mNS0_19identity_decomposerEEE10hipError_tT1_T2_PT3_SF_jT4_jjP12ihipStream_tbEUlT_E_NS1_11comp_targetILNS1_3genE2ELNS1_11target_archE906ELNS1_3gpuE6ELNS1_3repE0EEENS1_52radix_sort_onesweep_histogram_config_static_selectorELNS0_4arch9wavefront6targetE0EEEvSD_,"axG",@progbits,_ZN7rocprim17ROCPRIM_400000_NS6detail17trampoline_kernelINS0_14default_configENS1_35radix_sort_onesweep_config_selectorIaNS0_10empty_typeEEEZNS1_34radix_sort_onesweep_global_offsetsIS3_Lb0EPKaPS5_mNS0_19identity_decomposerEEE10hipError_tT1_T2_PT3_SF_jT4_jjP12ihipStream_tbEUlT_E_NS1_11comp_targetILNS1_3genE2ELNS1_11target_archE906ELNS1_3gpuE6ELNS1_3repE0EEENS1_52radix_sort_onesweep_histogram_config_static_selectorELNS0_4arch9wavefront6targetE0EEEvSD_,comdat
	.protected	_ZN7rocprim17ROCPRIM_400000_NS6detail17trampoline_kernelINS0_14default_configENS1_35radix_sort_onesweep_config_selectorIaNS0_10empty_typeEEEZNS1_34radix_sort_onesweep_global_offsetsIS3_Lb0EPKaPS5_mNS0_19identity_decomposerEEE10hipError_tT1_T2_PT3_SF_jT4_jjP12ihipStream_tbEUlT_E_NS1_11comp_targetILNS1_3genE2ELNS1_11target_archE906ELNS1_3gpuE6ELNS1_3repE0EEENS1_52radix_sort_onesweep_histogram_config_static_selectorELNS0_4arch9wavefront6targetE0EEEvSD_ ; -- Begin function _ZN7rocprim17ROCPRIM_400000_NS6detail17trampoline_kernelINS0_14default_configENS1_35radix_sort_onesweep_config_selectorIaNS0_10empty_typeEEEZNS1_34radix_sort_onesweep_global_offsetsIS3_Lb0EPKaPS5_mNS0_19identity_decomposerEEE10hipError_tT1_T2_PT3_SF_jT4_jjP12ihipStream_tbEUlT_E_NS1_11comp_targetILNS1_3genE2ELNS1_11target_archE906ELNS1_3gpuE6ELNS1_3repE0EEENS1_52radix_sort_onesweep_histogram_config_static_selectorELNS0_4arch9wavefront6targetE0EEEvSD_
	.globl	_ZN7rocprim17ROCPRIM_400000_NS6detail17trampoline_kernelINS0_14default_configENS1_35radix_sort_onesweep_config_selectorIaNS0_10empty_typeEEEZNS1_34radix_sort_onesweep_global_offsetsIS3_Lb0EPKaPS5_mNS0_19identity_decomposerEEE10hipError_tT1_T2_PT3_SF_jT4_jjP12ihipStream_tbEUlT_E_NS1_11comp_targetILNS1_3genE2ELNS1_11target_archE906ELNS1_3gpuE6ELNS1_3repE0EEENS1_52radix_sort_onesweep_histogram_config_static_selectorELNS0_4arch9wavefront6targetE0EEEvSD_
	.p2align	8
	.type	_ZN7rocprim17ROCPRIM_400000_NS6detail17trampoline_kernelINS0_14default_configENS1_35radix_sort_onesweep_config_selectorIaNS0_10empty_typeEEEZNS1_34radix_sort_onesweep_global_offsetsIS3_Lb0EPKaPS5_mNS0_19identity_decomposerEEE10hipError_tT1_T2_PT3_SF_jT4_jjP12ihipStream_tbEUlT_E_NS1_11comp_targetILNS1_3genE2ELNS1_11target_archE906ELNS1_3gpuE6ELNS1_3repE0EEENS1_52radix_sort_onesweep_histogram_config_static_selectorELNS0_4arch9wavefront6targetE0EEEvSD_,@function
_ZN7rocprim17ROCPRIM_400000_NS6detail17trampoline_kernelINS0_14default_configENS1_35radix_sort_onesweep_config_selectorIaNS0_10empty_typeEEEZNS1_34radix_sort_onesweep_global_offsetsIS3_Lb0EPKaPS5_mNS0_19identity_decomposerEEE10hipError_tT1_T2_PT3_SF_jT4_jjP12ihipStream_tbEUlT_E_NS1_11comp_targetILNS1_3genE2ELNS1_11target_archE906ELNS1_3gpuE6ELNS1_3repE0EEENS1_52radix_sort_onesweep_histogram_config_static_selectorELNS0_4arch9wavefront6targetE0EEEvSD_: ; @_ZN7rocprim17ROCPRIM_400000_NS6detail17trampoline_kernelINS0_14default_configENS1_35radix_sort_onesweep_config_selectorIaNS0_10empty_typeEEEZNS1_34radix_sort_onesweep_global_offsetsIS3_Lb0EPKaPS5_mNS0_19identity_decomposerEEE10hipError_tT1_T2_PT3_SF_jT4_jjP12ihipStream_tbEUlT_E_NS1_11comp_targetILNS1_3genE2ELNS1_11target_archE906ELNS1_3gpuE6ELNS1_3repE0EEENS1_52radix_sort_onesweep_histogram_config_static_selectorELNS0_4arch9wavefront6targetE0EEEvSD_
; %bb.0:
	.section	.rodata,"a",@progbits
	.p2align	6, 0x0
	.amdhsa_kernel _ZN7rocprim17ROCPRIM_400000_NS6detail17trampoline_kernelINS0_14default_configENS1_35radix_sort_onesweep_config_selectorIaNS0_10empty_typeEEEZNS1_34radix_sort_onesweep_global_offsetsIS3_Lb0EPKaPS5_mNS0_19identity_decomposerEEE10hipError_tT1_T2_PT3_SF_jT4_jjP12ihipStream_tbEUlT_E_NS1_11comp_targetILNS1_3genE2ELNS1_11target_archE906ELNS1_3gpuE6ELNS1_3repE0EEENS1_52radix_sort_onesweep_histogram_config_static_selectorELNS0_4arch9wavefront6targetE0EEEvSD_
		.amdhsa_group_segment_fixed_size 0
		.amdhsa_private_segment_fixed_size 0
		.amdhsa_kernarg_size 48
		.amdhsa_user_sgpr_count 2
		.amdhsa_user_sgpr_dispatch_ptr 0
		.amdhsa_user_sgpr_queue_ptr 0
		.amdhsa_user_sgpr_kernarg_segment_ptr 1
		.amdhsa_user_sgpr_dispatch_id 0
		.amdhsa_user_sgpr_kernarg_preload_length 0
		.amdhsa_user_sgpr_kernarg_preload_offset 0
		.amdhsa_user_sgpr_private_segment_size 0
		.amdhsa_wavefront_size32 1
		.amdhsa_uses_dynamic_stack 0
		.amdhsa_enable_private_segment 0
		.amdhsa_system_sgpr_workgroup_id_x 1
		.amdhsa_system_sgpr_workgroup_id_y 0
		.amdhsa_system_sgpr_workgroup_id_z 0
		.amdhsa_system_sgpr_workgroup_info 0
		.amdhsa_system_vgpr_workitem_id 0
		.amdhsa_next_free_vgpr 1
		.amdhsa_next_free_sgpr 1
		.amdhsa_named_barrier_count 0
		.amdhsa_reserve_vcc 0
		.amdhsa_float_round_mode_32 0
		.amdhsa_float_round_mode_16_64 0
		.amdhsa_float_denorm_mode_32 3
		.amdhsa_float_denorm_mode_16_64 3
		.amdhsa_fp16_overflow 0
		.amdhsa_memory_ordered 1
		.amdhsa_forward_progress 1
		.amdhsa_inst_pref_size 0
		.amdhsa_round_robin_scheduling 0
		.amdhsa_exception_fp_ieee_invalid_op 0
		.amdhsa_exception_fp_denorm_src 0
		.amdhsa_exception_fp_ieee_div_zero 0
		.amdhsa_exception_fp_ieee_overflow 0
		.amdhsa_exception_fp_ieee_underflow 0
		.amdhsa_exception_fp_ieee_inexact 0
		.amdhsa_exception_int_div_zero 0
	.end_amdhsa_kernel
	.section	.text._ZN7rocprim17ROCPRIM_400000_NS6detail17trampoline_kernelINS0_14default_configENS1_35radix_sort_onesweep_config_selectorIaNS0_10empty_typeEEEZNS1_34radix_sort_onesweep_global_offsetsIS3_Lb0EPKaPS5_mNS0_19identity_decomposerEEE10hipError_tT1_T2_PT3_SF_jT4_jjP12ihipStream_tbEUlT_E_NS1_11comp_targetILNS1_3genE2ELNS1_11target_archE906ELNS1_3gpuE6ELNS1_3repE0EEENS1_52radix_sort_onesweep_histogram_config_static_selectorELNS0_4arch9wavefront6targetE0EEEvSD_,"axG",@progbits,_ZN7rocprim17ROCPRIM_400000_NS6detail17trampoline_kernelINS0_14default_configENS1_35radix_sort_onesweep_config_selectorIaNS0_10empty_typeEEEZNS1_34radix_sort_onesweep_global_offsetsIS3_Lb0EPKaPS5_mNS0_19identity_decomposerEEE10hipError_tT1_T2_PT3_SF_jT4_jjP12ihipStream_tbEUlT_E_NS1_11comp_targetILNS1_3genE2ELNS1_11target_archE906ELNS1_3gpuE6ELNS1_3repE0EEENS1_52radix_sort_onesweep_histogram_config_static_selectorELNS0_4arch9wavefront6targetE0EEEvSD_,comdat
.Lfunc_end451:
	.size	_ZN7rocprim17ROCPRIM_400000_NS6detail17trampoline_kernelINS0_14default_configENS1_35radix_sort_onesweep_config_selectorIaNS0_10empty_typeEEEZNS1_34radix_sort_onesweep_global_offsetsIS3_Lb0EPKaPS5_mNS0_19identity_decomposerEEE10hipError_tT1_T2_PT3_SF_jT4_jjP12ihipStream_tbEUlT_E_NS1_11comp_targetILNS1_3genE2ELNS1_11target_archE906ELNS1_3gpuE6ELNS1_3repE0EEENS1_52radix_sort_onesweep_histogram_config_static_selectorELNS0_4arch9wavefront6targetE0EEEvSD_, .Lfunc_end451-_ZN7rocprim17ROCPRIM_400000_NS6detail17trampoline_kernelINS0_14default_configENS1_35radix_sort_onesweep_config_selectorIaNS0_10empty_typeEEEZNS1_34radix_sort_onesweep_global_offsetsIS3_Lb0EPKaPS5_mNS0_19identity_decomposerEEE10hipError_tT1_T2_PT3_SF_jT4_jjP12ihipStream_tbEUlT_E_NS1_11comp_targetILNS1_3genE2ELNS1_11target_archE906ELNS1_3gpuE6ELNS1_3repE0EEENS1_52radix_sort_onesweep_histogram_config_static_selectorELNS0_4arch9wavefront6targetE0EEEvSD_
                                        ; -- End function
	.set _ZN7rocprim17ROCPRIM_400000_NS6detail17trampoline_kernelINS0_14default_configENS1_35radix_sort_onesweep_config_selectorIaNS0_10empty_typeEEEZNS1_34radix_sort_onesweep_global_offsetsIS3_Lb0EPKaPS5_mNS0_19identity_decomposerEEE10hipError_tT1_T2_PT3_SF_jT4_jjP12ihipStream_tbEUlT_E_NS1_11comp_targetILNS1_3genE2ELNS1_11target_archE906ELNS1_3gpuE6ELNS1_3repE0EEENS1_52radix_sort_onesweep_histogram_config_static_selectorELNS0_4arch9wavefront6targetE0EEEvSD_.num_vgpr, 0
	.set _ZN7rocprim17ROCPRIM_400000_NS6detail17trampoline_kernelINS0_14default_configENS1_35radix_sort_onesweep_config_selectorIaNS0_10empty_typeEEEZNS1_34radix_sort_onesweep_global_offsetsIS3_Lb0EPKaPS5_mNS0_19identity_decomposerEEE10hipError_tT1_T2_PT3_SF_jT4_jjP12ihipStream_tbEUlT_E_NS1_11comp_targetILNS1_3genE2ELNS1_11target_archE906ELNS1_3gpuE6ELNS1_3repE0EEENS1_52radix_sort_onesweep_histogram_config_static_selectorELNS0_4arch9wavefront6targetE0EEEvSD_.num_agpr, 0
	.set _ZN7rocprim17ROCPRIM_400000_NS6detail17trampoline_kernelINS0_14default_configENS1_35radix_sort_onesweep_config_selectorIaNS0_10empty_typeEEEZNS1_34radix_sort_onesweep_global_offsetsIS3_Lb0EPKaPS5_mNS0_19identity_decomposerEEE10hipError_tT1_T2_PT3_SF_jT4_jjP12ihipStream_tbEUlT_E_NS1_11comp_targetILNS1_3genE2ELNS1_11target_archE906ELNS1_3gpuE6ELNS1_3repE0EEENS1_52radix_sort_onesweep_histogram_config_static_selectorELNS0_4arch9wavefront6targetE0EEEvSD_.numbered_sgpr, 0
	.set _ZN7rocprim17ROCPRIM_400000_NS6detail17trampoline_kernelINS0_14default_configENS1_35radix_sort_onesweep_config_selectorIaNS0_10empty_typeEEEZNS1_34radix_sort_onesweep_global_offsetsIS3_Lb0EPKaPS5_mNS0_19identity_decomposerEEE10hipError_tT1_T2_PT3_SF_jT4_jjP12ihipStream_tbEUlT_E_NS1_11comp_targetILNS1_3genE2ELNS1_11target_archE906ELNS1_3gpuE6ELNS1_3repE0EEENS1_52radix_sort_onesweep_histogram_config_static_selectorELNS0_4arch9wavefront6targetE0EEEvSD_.num_named_barrier, 0
	.set _ZN7rocprim17ROCPRIM_400000_NS6detail17trampoline_kernelINS0_14default_configENS1_35radix_sort_onesweep_config_selectorIaNS0_10empty_typeEEEZNS1_34radix_sort_onesweep_global_offsetsIS3_Lb0EPKaPS5_mNS0_19identity_decomposerEEE10hipError_tT1_T2_PT3_SF_jT4_jjP12ihipStream_tbEUlT_E_NS1_11comp_targetILNS1_3genE2ELNS1_11target_archE906ELNS1_3gpuE6ELNS1_3repE0EEENS1_52radix_sort_onesweep_histogram_config_static_selectorELNS0_4arch9wavefront6targetE0EEEvSD_.private_seg_size, 0
	.set _ZN7rocprim17ROCPRIM_400000_NS6detail17trampoline_kernelINS0_14default_configENS1_35radix_sort_onesweep_config_selectorIaNS0_10empty_typeEEEZNS1_34radix_sort_onesweep_global_offsetsIS3_Lb0EPKaPS5_mNS0_19identity_decomposerEEE10hipError_tT1_T2_PT3_SF_jT4_jjP12ihipStream_tbEUlT_E_NS1_11comp_targetILNS1_3genE2ELNS1_11target_archE906ELNS1_3gpuE6ELNS1_3repE0EEENS1_52radix_sort_onesweep_histogram_config_static_selectorELNS0_4arch9wavefront6targetE0EEEvSD_.uses_vcc, 0
	.set _ZN7rocprim17ROCPRIM_400000_NS6detail17trampoline_kernelINS0_14default_configENS1_35radix_sort_onesweep_config_selectorIaNS0_10empty_typeEEEZNS1_34radix_sort_onesweep_global_offsetsIS3_Lb0EPKaPS5_mNS0_19identity_decomposerEEE10hipError_tT1_T2_PT3_SF_jT4_jjP12ihipStream_tbEUlT_E_NS1_11comp_targetILNS1_3genE2ELNS1_11target_archE906ELNS1_3gpuE6ELNS1_3repE0EEENS1_52radix_sort_onesweep_histogram_config_static_selectorELNS0_4arch9wavefront6targetE0EEEvSD_.uses_flat_scratch, 0
	.set _ZN7rocprim17ROCPRIM_400000_NS6detail17trampoline_kernelINS0_14default_configENS1_35radix_sort_onesweep_config_selectorIaNS0_10empty_typeEEEZNS1_34radix_sort_onesweep_global_offsetsIS3_Lb0EPKaPS5_mNS0_19identity_decomposerEEE10hipError_tT1_T2_PT3_SF_jT4_jjP12ihipStream_tbEUlT_E_NS1_11comp_targetILNS1_3genE2ELNS1_11target_archE906ELNS1_3gpuE6ELNS1_3repE0EEENS1_52radix_sort_onesweep_histogram_config_static_selectorELNS0_4arch9wavefront6targetE0EEEvSD_.has_dyn_sized_stack, 0
	.set _ZN7rocprim17ROCPRIM_400000_NS6detail17trampoline_kernelINS0_14default_configENS1_35radix_sort_onesweep_config_selectorIaNS0_10empty_typeEEEZNS1_34radix_sort_onesweep_global_offsetsIS3_Lb0EPKaPS5_mNS0_19identity_decomposerEEE10hipError_tT1_T2_PT3_SF_jT4_jjP12ihipStream_tbEUlT_E_NS1_11comp_targetILNS1_3genE2ELNS1_11target_archE906ELNS1_3gpuE6ELNS1_3repE0EEENS1_52radix_sort_onesweep_histogram_config_static_selectorELNS0_4arch9wavefront6targetE0EEEvSD_.has_recursion, 0
	.set _ZN7rocprim17ROCPRIM_400000_NS6detail17trampoline_kernelINS0_14default_configENS1_35radix_sort_onesweep_config_selectorIaNS0_10empty_typeEEEZNS1_34radix_sort_onesweep_global_offsetsIS3_Lb0EPKaPS5_mNS0_19identity_decomposerEEE10hipError_tT1_T2_PT3_SF_jT4_jjP12ihipStream_tbEUlT_E_NS1_11comp_targetILNS1_3genE2ELNS1_11target_archE906ELNS1_3gpuE6ELNS1_3repE0EEENS1_52radix_sort_onesweep_histogram_config_static_selectorELNS0_4arch9wavefront6targetE0EEEvSD_.has_indirect_call, 0
	.section	.AMDGPU.csdata,"",@progbits
; Kernel info:
; codeLenInByte = 0
; TotalNumSgprs: 0
; NumVgprs: 0
; ScratchSize: 0
; MemoryBound: 0
; FloatMode: 240
; IeeeMode: 1
; LDSByteSize: 0 bytes/workgroup (compile time only)
; SGPRBlocks: 0
; VGPRBlocks: 0
; NumSGPRsForWavesPerEU: 1
; NumVGPRsForWavesPerEU: 1
; NamedBarCnt: 0
; Occupancy: 16
; WaveLimiterHint : 0
; COMPUTE_PGM_RSRC2:SCRATCH_EN: 0
; COMPUTE_PGM_RSRC2:USER_SGPR: 2
; COMPUTE_PGM_RSRC2:TRAP_HANDLER: 0
; COMPUTE_PGM_RSRC2:TGID_X_EN: 1
; COMPUTE_PGM_RSRC2:TGID_Y_EN: 0
; COMPUTE_PGM_RSRC2:TGID_Z_EN: 0
; COMPUTE_PGM_RSRC2:TIDIG_COMP_CNT: 0
	.section	.text._ZN7rocprim17ROCPRIM_400000_NS6detail17trampoline_kernelINS0_14default_configENS1_35radix_sort_onesweep_config_selectorIaNS0_10empty_typeEEEZNS1_34radix_sort_onesweep_global_offsetsIS3_Lb0EPKaPS5_mNS0_19identity_decomposerEEE10hipError_tT1_T2_PT3_SF_jT4_jjP12ihipStream_tbEUlT_E_NS1_11comp_targetILNS1_3genE4ELNS1_11target_archE910ELNS1_3gpuE8ELNS1_3repE0EEENS1_52radix_sort_onesweep_histogram_config_static_selectorELNS0_4arch9wavefront6targetE0EEEvSD_,"axG",@progbits,_ZN7rocprim17ROCPRIM_400000_NS6detail17trampoline_kernelINS0_14default_configENS1_35radix_sort_onesweep_config_selectorIaNS0_10empty_typeEEEZNS1_34radix_sort_onesweep_global_offsetsIS3_Lb0EPKaPS5_mNS0_19identity_decomposerEEE10hipError_tT1_T2_PT3_SF_jT4_jjP12ihipStream_tbEUlT_E_NS1_11comp_targetILNS1_3genE4ELNS1_11target_archE910ELNS1_3gpuE8ELNS1_3repE0EEENS1_52radix_sort_onesweep_histogram_config_static_selectorELNS0_4arch9wavefront6targetE0EEEvSD_,comdat
	.protected	_ZN7rocprim17ROCPRIM_400000_NS6detail17trampoline_kernelINS0_14default_configENS1_35radix_sort_onesweep_config_selectorIaNS0_10empty_typeEEEZNS1_34radix_sort_onesweep_global_offsetsIS3_Lb0EPKaPS5_mNS0_19identity_decomposerEEE10hipError_tT1_T2_PT3_SF_jT4_jjP12ihipStream_tbEUlT_E_NS1_11comp_targetILNS1_3genE4ELNS1_11target_archE910ELNS1_3gpuE8ELNS1_3repE0EEENS1_52radix_sort_onesweep_histogram_config_static_selectorELNS0_4arch9wavefront6targetE0EEEvSD_ ; -- Begin function _ZN7rocprim17ROCPRIM_400000_NS6detail17trampoline_kernelINS0_14default_configENS1_35radix_sort_onesweep_config_selectorIaNS0_10empty_typeEEEZNS1_34radix_sort_onesweep_global_offsetsIS3_Lb0EPKaPS5_mNS0_19identity_decomposerEEE10hipError_tT1_T2_PT3_SF_jT4_jjP12ihipStream_tbEUlT_E_NS1_11comp_targetILNS1_3genE4ELNS1_11target_archE910ELNS1_3gpuE8ELNS1_3repE0EEENS1_52radix_sort_onesweep_histogram_config_static_selectorELNS0_4arch9wavefront6targetE0EEEvSD_
	.globl	_ZN7rocprim17ROCPRIM_400000_NS6detail17trampoline_kernelINS0_14default_configENS1_35radix_sort_onesweep_config_selectorIaNS0_10empty_typeEEEZNS1_34radix_sort_onesweep_global_offsetsIS3_Lb0EPKaPS5_mNS0_19identity_decomposerEEE10hipError_tT1_T2_PT3_SF_jT4_jjP12ihipStream_tbEUlT_E_NS1_11comp_targetILNS1_3genE4ELNS1_11target_archE910ELNS1_3gpuE8ELNS1_3repE0EEENS1_52radix_sort_onesweep_histogram_config_static_selectorELNS0_4arch9wavefront6targetE0EEEvSD_
	.p2align	8
	.type	_ZN7rocprim17ROCPRIM_400000_NS6detail17trampoline_kernelINS0_14default_configENS1_35radix_sort_onesweep_config_selectorIaNS0_10empty_typeEEEZNS1_34radix_sort_onesweep_global_offsetsIS3_Lb0EPKaPS5_mNS0_19identity_decomposerEEE10hipError_tT1_T2_PT3_SF_jT4_jjP12ihipStream_tbEUlT_E_NS1_11comp_targetILNS1_3genE4ELNS1_11target_archE910ELNS1_3gpuE8ELNS1_3repE0EEENS1_52radix_sort_onesweep_histogram_config_static_selectorELNS0_4arch9wavefront6targetE0EEEvSD_,@function
_ZN7rocprim17ROCPRIM_400000_NS6detail17trampoline_kernelINS0_14default_configENS1_35radix_sort_onesweep_config_selectorIaNS0_10empty_typeEEEZNS1_34radix_sort_onesweep_global_offsetsIS3_Lb0EPKaPS5_mNS0_19identity_decomposerEEE10hipError_tT1_T2_PT3_SF_jT4_jjP12ihipStream_tbEUlT_E_NS1_11comp_targetILNS1_3genE4ELNS1_11target_archE910ELNS1_3gpuE8ELNS1_3repE0EEENS1_52radix_sort_onesweep_histogram_config_static_selectorELNS0_4arch9wavefront6targetE0EEEvSD_: ; @_ZN7rocprim17ROCPRIM_400000_NS6detail17trampoline_kernelINS0_14default_configENS1_35radix_sort_onesweep_config_selectorIaNS0_10empty_typeEEEZNS1_34radix_sort_onesweep_global_offsetsIS3_Lb0EPKaPS5_mNS0_19identity_decomposerEEE10hipError_tT1_T2_PT3_SF_jT4_jjP12ihipStream_tbEUlT_E_NS1_11comp_targetILNS1_3genE4ELNS1_11target_archE910ELNS1_3gpuE8ELNS1_3repE0EEENS1_52radix_sort_onesweep_histogram_config_static_selectorELNS0_4arch9wavefront6targetE0EEEvSD_
; %bb.0:
	.section	.rodata,"a",@progbits
	.p2align	6, 0x0
	.amdhsa_kernel _ZN7rocprim17ROCPRIM_400000_NS6detail17trampoline_kernelINS0_14default_configENS1_35radix_sort_onesweep_config_selectorIaNS0_10empty_typeEEEZNS1_34radix_sort_onesweep_global_offsetsIS3_Lb0EPKaPS5_mNS0_19identity_decomposerEEE10hipError_tT1_T2_PT3_SF_jT4_jjP12ihipStream_tbEUlT_E_NS1_11comp_targetILNS1_3genE4ELNS1_11target_archE910ELNS1_3gpuE8ELNS1_3repE0EEENS1_52radix_sort_onesweep_histogram_config_static_selectorELNS0_4arch9wavefront6targetE0EEEvSD_
		.amdhsa_group_segment_fixed_size 0
		.amdhsa_private_segment_fixed_size 0
		.amdhsa_kernarg_size 48
		.amdhsa_user_sgpr_count 2
		.amdhsa_user_sgpr_dispatch_ptr 0
		.amdhsa_user_sgpr_queue_ptr 0
		.amdhsa_user_sgpr_kernarg_segment_ptr 1
		.amdhsa_user_sgpr_dispatch_id 0
		.amdhsa_user_sgpr_kernarg_preload_length 0
		.amdhsa_user_sgpr_kernarg_preload_offset 0
		.amdhsa_user_sgpr_private_segment_size 0
		.amdhsa_wavefront_size32 1
		.amdhsa_uses_dynamic_stack 0
		.amdhsa_enable_private_segment 0
		.amdhsa_system_sgpr_workgroup_id_x 1
		.amdhsa_system_sgpr_workgroup_id_y 0
		.amdhsa_system_sgpr_workgroup_id_z 0
		.amdhsa_system_sgpr_workgroup_info 0
		.amdhsa_system_vgpr_workitem_id 0
		.amdhsa_next_free_vgpr 1
		.amdhsa_next_free_sgpr 1
		.amdhsa_named_barrier_count 0
		.amdhsa_reserve_vcc 0
		.amdhsa_float_round_mode_32 0
		.amdhsa_float_round_mode_16_64 0
		.amdhsa_float_denorm_mode_32 3
		.amdhsa_float_denorm_mode_16_64 3
		.amdhsa_fp16_overflow 0
		.amdhsa_memory_ordered 1
		.amdhsa_forward_progress 1
		.amdhsa_inst_pref_size 0
		.amdhsa_round_robin_scheduling 0
		.amdhsa_exception_fp_ieee_invalid_op 0
		.amdhsa_exception_fp_denorm_src 0
		.amdhsa_exception_fp_ieee_div_zero 0
		.amdhsa_exception_fp_ieee_overflow 0
		.amdhsa_exception_fp_ieee_underflow 0
		.amdhsa_exception_fp_ieee_inexact 0
		.amdhsa_exception_int_div_zero 0
	.end_amdhsa_kernel
	.section	.text._ZN7rocprim17ROCPRIM_400000_NS6detail17trampoline_kernelINS0_14default_configENS1_35radix_sort_onesweep_config_selectorIaNS0_10empty_typeEEEZNS1_34radix_sort_onesweep_global_offsetsIS3_Lb0EPKaPS5_mNS0_19identity_decomposerEEE10hipError_tT1_T2_PT3_SF_jT4_jjP12ihipStream_tbEUlT_E_NS1_11comp_targetILNS1_3genE4ELNS1_11target_archE910ELNS1_3gpuE8ELNS1_3repE0EEENS1_52radix_sort_onesweep_histogram_config_static_selectorELNS0_4arch9wavefront6targetE0EEEvSD_,"axG",@progbits,_ZN7rocprim17ROCPRIM_400000_NS6detail17trampoline_kernelINS0_14default_configENS1_35radix_sort_onesweep_config_selectorIaNS0_10empty_typeEEEZNS1_34radix_sort_onesweep_global_offsetsIS3_Lb0EPKaPS5_mNS0_19identity_decomposerEEE10hipError_tT1_T2_PT3_SF_jT4_jjP12ihipStream_tbEUlT_E_NS1_11comp_targetILNS1_3genE4ELNS1_11target_archE910ELNS1_3gpuE8ELNS1_3repE0EEENS1_52radix_sort_onesweep_histogram_config_static_selectorELNS0_4arch9wavefront6targetE0EEEvSD_,comdat
.Lfunc_end452:
	.size	_ZN7rocprim17ROCPRIM_400000_NS6detail17trampoline_kernelINS0_14default_configENS1_35radix_sort_onesweep_config_selectorIaNS0_10empty_typeEEEZNS1_34radix_sort_onesweep_global_offsetsIS3_Lb0EPKaPS5_mNS0_19identity_decomposerEEE10hipError_tT1_T2_PT3_SF_jT4_jjP12ihipStream_tbEUlT_E_NS1_11comp_targetILNS1_3genE4ELNS1_11target_archE910ELNS1_3gpuE8ELNS1_3repE0EEENS1_52radix_sort_onesweep_histogram_config_static_selectorELNS0_4arch9wavefront6targetE0EEEvSD_, .Lfunc_end452-_ZN7rocprim17ROCPRIM_400000_NS6detail17trampoline_kernelINS0_14default_configENS1_35radix_sort_onesweep_config_selectorIaNS0_10empty_typeEEEZNS1_34radix_sort_onesweep_global_offsetsIS3_Lb0EPKaPS5_mNS0_19identity_decomposerEEE10hipError_tT1_T2_PT3_SF_jT4_jjP12ihipStream_tbEUlT_E_NS1_11comp_targetILNS1_3genE4ELNS1_11target_archE910ELNS1_3gpuE8ELNS1_3repE0EEENS1_52radix_sort_onesweep_histogram_config_static_selectorELNS0_4arch9wavefront6targetE0EEEvSD_
                                        ; -- End function
	.set _ZN7rocprim17ROCPRIM_400000_NS6detail17trampoline_kernelINS0_14default_configENS1_35radix_sort_onesweep_config_selectorIaNS0_10empty_typeEEEZNS1_34radix_sort_onesweep_global_offsetsIS3_Lb0EPKaPS5_mNS0_19identity_decomposerEEE10hipError_tT1_T2_PT3_SF_jT4_jjP12ihipStream_tbEUlT_E_NS1_11comp_targetILNS1_3genE4ELNS1_11target_archE910ELNS1_3gpuE8ELNS1_3repE0EEENS1_52radix_sort_onesweep_histogram_config_static_selectorELNS0_4arch9wavefront6targetE0EEEvSD_.num_vgpr, 0
	.set _ZN7rocprim17ROCPRIM_400000_NS6detail17trampoline_kernelINS0_14default_configENS1_35radix_sort_onesweep_config_selectorIaNS0_10empty_typeEEEZNS1_34radix_sort_onesweep_global_offsetsIS3_Lb0EPKaPS5_mNS0_19identity_decomposerEEE10hipError_tT1_T2_PT3_SF_jT4_jjP12ihipStream_tbEUlT_E_NS1_11comp_targetILNS1_3genE4ELNS1_11target_archE910ELNS1_3gpuE8ELNS1_3repE0EEENS1_52radix_sort_onesweep_histogram_config_static_selectorELNS0_4arch9wavefront6targetE0EEEvSD_.num_agpr, 0
	.set _ZN7rocprim17ROCPRIM_400000_NS6detail17trampoline_kernelINS0_14default_configENS1_35radix_sort_onesweep_config_selectorIaNS0_10empty_typeEEEZNS1_34radix_sort_onesweep_global_offsetsIS3_Lb0EPKaPS5_mNS0_19identity_decomposerEEE10hipError_tT1_T2_PT3_SF_jT4_jjP12ihipStream_tbEUlT_E_NS1_11comp_targetILNS1_3genE4ELNS1_11target_archE910ELNS1_3gpuE8ELNS1_3repE0EEENS1_52radix_sort_onesweep_histogram_config_static_selectorELNS0_4arch9wavefront6targetE0EEEvSD_.numbered_sgpr, 0
	.set _ZN7rocprim17ROCPRIM_400000_NS6detail17trampoline_kernelINS0_14default_configENS1_35radix_sort_onesweep_config_selectorIaNS0_10empty_typeEEEZNS1_34radix_sort_onesweep_global_offsetsIS3_Lb0EPKaPS5_mNS0_19identity_decomposerEEE10hipError_tT1_T2_PT3_SF_jT4_jjP12ihipStream_tbEUlT_E_NS1_11comp_targetILNS1_3genE4ELNS1_11target_archE910ELNS1_3gpuE8ELNS1_3repE0EEENS1_52radix_sort_onesweep_histogram_config_static_selectorELNS0_4arch9wavefront6targetE0EEEvSD_.num_named_barrier, 0
	.set _ZN7rocprim17ROCPRIM_400000_NS6detail17trampoline_kernelINS0_14default_configENS1_35radix_sort_onesweep_config_selectorIaNS0_10empty_typeEEEZNS1_34radix_sort_onesweep_global_offsetsIS3_Lb0EPKaPS5_mNS0_19identity_decomposerEEE10hipError_tT1_T2_PT3_SF_jT4_jjP12ihipStream_tbEUlT_E_NS1_11comp_targetILNS1_3genE4ELNS1_11target_archE910ELNS1_3gpuE8ELNS1_3repE0EEENS1_52radix_sort_onesweep_histogram_config_static_selectorELNS0_4arch9wavefront6targetE0EEEvSD_.private_seg_size, 0
	.set _ZN7rocprim17ROCPRIM_400000_NS6detail17trampoline_kernelINS0_14default_configENS1_35radix_sort_onesweep_config_selectorIaNS0_10empty_typeEEEZNS1_34radix_sort_onesweep_global_offsetsIS3_Lb0EPKaPS5_mNS0_19identity_decomposerEEE10hipError_tT1_T2_PT3_SF_jT4_jjP12ihipStream_tbEUlT_E_NS1_11comp_targetILNS1_3genE4ELNS1_11target_archE910ELNS1_3gpuE8ELNS1_3repE0EEENS1_52radix_sort_onesweep_histogram_config_static_selectorELNS0_4arch9wavefront6targetE0EEEvSD_.uses_vcc, 0
	.set _ZN7rocprim17ROCPRIM_400000_NS6detail17trampoline_kernelINS0_14default_configENS1_35radix_sort_onesweep_config_selectorIaNS0_10empty_typeEEEZNS1_34radix_sort_onesweep_global_offsetsIS3_Lb0EPKaPS5_mNS0_19identity_decomposerEEE10hipError_tT1_T2_PT3_SF_jT4_jjP12ihipStream_tbEUlT_E_NS1_11comp_targetILNS1_3genE4ELNS1_11target_archE910ELNS1_3gpuE8ELNS1_3repE0EEENS1_52radix_sort_onesweep_histogram_config_static_selectorELNS0_4arch9wavefront6targetE0EEEvSD_.uses_flat_scratch, 0
	.set _ZN7rocprim17ROCPRIM_400000_NS6detail17trampoline_kernelINS0_14default_configENS1_35radix_sort_onesweep_config_selectorIaNS0_10empty_typeEEEZNS1_34radix_sort_onesweep_global_offsetsIS3_Lb0EPKaPS5_mNS0_19identity_decomposerEEE10hipError_tT1_T2_PT3_SF_jT4_jjP12ihipStream_tbEUlT_E_NS1_11comp_targetILNS1_3genE4ELNS1_11target_archE910ELNS1_3gpuE8ELNS1_3repE0EEENS1_52radix_sort_onesweep_histogram_config_static_selectorELNS0_4arch9wavefront6targetE0EEEvSD_.has_dyn_sized_stack, 0
	.set _ZN7rocprim17ROCPRIM_400000_NS6detail17trampoline_kernelINS0_14default_configENS1_35radix_sort_onesweep_config_selectorIaNS0_10empty_typeEEEZNS1_34radix_sort_onesweep_global_offsetsIS3_Lb0EPKaPS5_mNS0_19identity_decomposerEEE10hipError_tT1_T2_PT3_SF_jT4_jjP12ihipStream_tbEUlT_E_NS1_11comp_targetILNS1_3genE4ELNS1_11target_archE910ELNS1_3gpuE8ELNS1_3repE0EEENS1_52radix_sort_onesweep_histogram_config_static_selectorELNS0_4arch9wavefront6targetE0EEEvSD_.has_recursion, 0
	.set _ZN7rocprim17ROCPRIM_400000_NS6detail17trampoline_kernelINS0_14default_configENS1_35radix_sort_onesweep_config_selectorIaNS0_10empty_typeEEEZNS1_34radix_sort_onesweep_global_offsetsIS3_Lb0EPKaPS5_mNS0_19identity_decomposerEEE10hipError_tT1_T2_PT3_SF_jT4_jjP12ihipStream_tbEUlT_E_NS1_11comp_targetILNS1_3genE4ELNS1_11target_archE910ELNS1_3gpuE8ELNS1_3repE0EEENS1_52radix_sort_onesweep_histogram_config_static_selectorELNS0_4arch9wavefront6targetE0EEEvSD_.has_indirect_call, 0
	.section	.AMDGPU.csdata,"",@progbits
; Kernel info:
; codeLenInByte = 0
; TotalNumSgprs: 0
; NumVgprs: 0
; ScratchSize: 0
; MemoryBound: 0
; FloatMode: 240
; IeeeMode: 1
; LDSByteSize: 0 bytes/workgroup (compile time only)
; SGPRBlocks: 0
; VGPRBlocks: 0
; NumSGPRsForWavesPerEU: 1
; NumVGPRsForWavesPerEU: 1
; NamedBarCnt: 0
; Occupancy: 16
; WaveLimiterHint : 0
; COMPUTE_PGM_RSRC2:SCRATCH_EN: 0
; COMPUTE_PGM_RSRC2:USER_SGPR: 2
; COMPUTE_PGM_RSRC2:TRAP_HANDLER: 0
; COMPUTE_PGM_RSRC2:TGID_X_EN: 1
; COMPUTE_PGM_RSRC2:TGID_Y_EN: 0
; COMPUTE_PGM_RSRC2:TGID_Z_EN: 0
; COMPUTE_PGM_RSRC2:TIDIG_COMP_CNT: 0
	.section	.text._ZN7rocprim17ROCPRIM_400000_NS6detail17trampoline_kernelINS0_14default_configENS1_35radix_sort_onesweep_config_selectorIaNS0_10empty_typeEEEZNS1_34radix_sort_onesweep_global_offsetsIS3_Lb0EPKaPS5_mNS0_19identity_decomposerEEE10hipError_tT1_T2_PT3_SF_jT4_jjP12ihipStream_tbEUlT_E_NS1_11comp_targetILNS1_3genE3ELNS1_11target_archE908ELNS1_3gpuE7ELNS1_3repE0EEENS1_52radix_sort_onesweep_histogram_config_static_selectorELNS0_4arch9wavefront6targetE0EEEvSD_,"axG",@progbits,_ZN7rocprim17ROCPRIM_400000_NS6detail17trampoline_kernelINS0_14default_configENS1_35radix_sort_onesweep_config_selectorIaNS0_10empty_typeEEEZNS1_34radix_sort_onesweep_global_offsetsIS3_Lb0EPKaPS5_mNS0_19identity_decomposerEEE10hipError_tT1_T2_PT3_SF_jT4_jjP12ihipStream_tbEUlT_E_NS1_11comp_targetILNS1_3genE3ELNS1_11target_archE908ELNS1_3gpuE7ELNS1_3repE0EEENS1_52radix_sort_onesweep_histogram_config_static_selectorELNS0_4arch9wavefront6targetE0EEEvSD_,comdat
	.protected	_ZN7rocprim17ROCPRIM_400000_NS6detail17trampoline_kernelINS0_14default_configENS1_35radix_sort_onesweep_config_selectorIaNS0_10empty_typeEEEZNS1_34radix_sort_onesweep_global_offsetsIS3_Lb0EPKaPS5_mNS0_19identity_decomposerEEE10hipError_tT1_T2_PT3_SF_jT4_jjP12ihipStream_tbEUlT_E_NS1_11comp_targetILNS1_3genE3ELNS1_11target_archE908ELNS1_3gpuE7ELNS1_3repE0EEENS1_52radix_sort_onesweep_histogram_config_static_selectorELNS0_4arch9wavefront6targetE0EEEvSD_ ; -- Begin function _ZN7rocprim17ROCPRIM_400000_NS6detail17trampoline_kernelINS0_14default_configENS1_35radix_sort_onesweep_config_selectorIaNS0_10empty_typeEEEZNS1_34radix_sort_onesweep_global_offsetsIS3_Lb0EPKaPS5_mNS0_19identity_decomposerEEE10hipError_tT1_T2_PT3_SF_jT4_jjP12ihipStream_tbEUlT_E_NS1_11comp_targetILNS1_3genE3ELNS1_11target_archE908ELNS1_3gpuE7ELNS1_3repE0EEENS1_52radix_sort_onesweep_histogram_config_static_selectorELNS0_4arch9wavefront6targetE0EEEvSD_
	.globl	_ZN7rocprim17ROCPRIM_400000_NS6detail17trampoline_kernelINS0_14default_configENS1_35radix_sort_onesweep_config_selectorIaNS0_10empty_typeEEEZNS1_34radix_sort_onesweep_global_offsetsIS3_Lb0EPKaPS5_mNS0_19identity_decomposerEEE10hipError_tT1_T2_PT3_SF_jT4_jjP12ihipStream_tbEUlT_E_NS1_11comp_targetILNS1_3genE3ELNS1_11target_archE908ELNS1_3gpuE7ELNS1_3repE0EEENS1_52radix_sort_onesweep_histogram_config_static_selectorELNS0_4arch9wavefront6targetE0EEEvSD_
	.p2align	8
	.type	_ZN7rocprim17ROCPRIM_400000_NS6detail17trampoline_kernelINS0_14default_configENS1_35radix_sort_onesweep_config_selectorIaNS0_10empty_typeEEEZNS1_34radix_sort_onesweep_global_offsetsIS3_Lb0EPKaPS5_mNS0_19identity_decomposerEEE10hipError_tT1_T2_PT3_SF_jT4_jjP12ihipStream_tbEUlT_E_NS1_11comp_targetILNS1_3genE3ELNS1_11target_archE908ELNS1_3gpuE7ELNS1_3repE0EEENS1_52radix_sort_onesweep_histogram_config_static_selectorELNS0_4arch9wavefront6targetE0EEEvSD_,@function
_ZN7rocprim17ROCPRIM_400000_NS6detail17trampoline_kernelINS0_14default_configENS1_35radix_sort_onesweep_config_selectorIaNS0_10empty_typeEEEZNS1_34radix_sort_onesweep_global_offsetsIS3_Lb0EPKaPS5_mNS0_19identity_decomposerEEE10hipError_tT1_T2_PT3_SF_jT4_jjP12ihipStream_tbEUlT_E_NS1_11comp_targetILNS1_3genE3ELNS1_11target_archE908ELNS1_3gpuE7ELNS1_3repE0EEENS1_52radix_sort_onesweep_histogram_config_static_selectorELNS0_4arch9wavefront6targetE0EEEvSD_: ; @_ZN7rocprim17ROCPRIM_400000_NS6detail17trampoline_kernelINS0_14default_configENS1_35radix_sort_onesweep_config_selectorIaNS0_10empty_typeEEEZNS1_34radix_sort_onesweep_global_offsetsIS3_Lb0EPKaPS5_mNS0_19identity_decomposerEEE10hipError_tT1_T2_PT3_SF_jT4_jjP12ihipStream_tbEUlT_E_NS1_11comp_targetILNS1_3genE3ELNS1_11target_archE908ELNS1_3gpuE7ELNS1_3repE0EEENS1_52radix_sort_onesweep_histogram_config_static_selectorELNS0_4arch9wavefront6targetE0EEEvSD_
; %bb.0:
	.section	.rodata,"a",@progbits
	.p2align	6, 0x0
	.amdhsa_kernel _ZN7rocprim17ROCPRIM_400000_NS6detail17trampoline_kernelINS0_14default_configENS1_35radix_sort_onesweep_config_selectorIaNS0_10empty_typeEEEZNS1_34radix_sort_onesweep_global_offsetsIS3_Lb0EPKaPS5_mNS0_19identity_decomposerEEE10hipError_tT1_T2_PT3_SF_jT4_jjP12ihipStream_tbEUlT_E_NS1_11comp_targetILNS1_3genE3ELNS1_11target_archE908ELNS1_3gpuE7ELNS1_3repE0EEENS1_52radix_sort_onesweep_histogram_config_static_selectorELNS0_4arch9wavefront6targetE0EEEvSD_
		.amdhsa_group_segment_fixed_size 0
		.amdhsa_private_segment_fixed_size 0
		.amdhsa_kernarg_size 48
		.amdhsa_user_sgpr_count 2
		.amdhsa_user_sgpr_dispatch_ptr 0
		.amdhsa_user_sgpr_queue_ptr 0
		.amdhsa_user_sgpr_kernarg_segment_ptr 1
		.amdhsa_user_sgpr_dispatch_id 0
		.amdhsa_user_sgpr_kernarg_preload_length 0
		.amdhsa_user_sgpr_kernarg_preload_offset 0
		.amdhsa_user_sgpr_private_segment_size 0
		.amdhsa_wavefront_size32 1
		.amdhsa_uses_dynamic_stack 0
		.amdhsa_enable_private_segment 0
		.amdhsa_system_sgpr_workgroup_id_x 1
		.amdhsa_system_sgpr_workgroup_id_y 0
		.amdhsa_system_sgpr_workgroup_id_z 0
		.amdhsa_system_sgpr_workgroup_info 0
		.amdhsa_system_vgpr_workitem_id 0
		.amdhsa_next_free_vgpr 1
		.amdhsa_next_free_sgpr 1
		.amdhsa_named_barrier_count 0
		.amdhsa_reserve_vcc 0
		.amdhsa_float_round_mode_32 0
		.amdhsa_float_round_mode_16_64 0
		.amdhsa_float_denorm_mode_32 3
		.amdhsa_float_denorm_mode_16_64 3
		.amdhsa_fp16_overflow 0
		.amdhsa_memory_ordered 1
		.amdhsa_forward_progress 1
		.amdhsa_inst_pref_size 0
		.amdhsa_round_robin_scheduling 0
		.amdhsa_exception_fp_ieee_invalid_op 0
		.amdhsa_exception_fp_denorm_src 0
		.amdhsa_exception_fp_ieee_div_zero 0
		.amdhsa_exception_fp_ieee_overflow 0
		.amdhsa_exception_fp_ieee_underflow 0
		.amdhsa_exception_fp_ieee_inexact 0
		.amdhsa_exception_int_div_zero 0
	.end_amdhsa_kernel
	.section	.text._ZN7rocprim17ROCPRIM_400000_NS6detail17trampoline_kernelINS0_14default_configENS1_35radix_sort_onesweep_config_selectorIaNS0_10empty_typeEEEZNS1_34radix_sort_onesweep_global_offsetsIS3_Lb0EPKaPS5_mNS0_19identity_decomposerEEE10hipError_tT1_T2_PT3_SF_jT4_jjP12ihipStream_tbEUlT_E_NS1_11comp_targetILNS1_3genE3ELNS1_11target_archE908ELNS1_3gpuE7ELNS1_3repE0EEENS1_52radix_sort_onesweep_histogram_config_static_selectorELNS0_4arch9wavefront6targetE0EEEvSD_,"axG",@progbits,_ZN7rocprim17ROCPRIM_400000_NS6detail17trampoline_kernelINS0_14default_configENS1_35radix_sort_onesweep_config_selectorIaNS0_10empty_typeEEEZNS1_34radix_sort_onesweep_global_offsetsIS3_Lb0EPKaPS5_mNS0_19identity_decomposerEEE10hipError_tT1_T2_PT3_SF_jT4_jjP12ihipStream_tbEUlT_E_NS1_11comp_targetILNS1_3genE3ELNS1_11target_archE908ELNS1_3gpuE7ELNS1_3repE0EEENS1_52radix_sort_onesweep_histogram_config_static_selectorELNS0_4arch9wavefront6targetE0EEEvSD_,comdat
.Lfunc_end453:
	.size	_ZN7rocprim17ROCPRIM_400000_NS6detail17trampoline_kernelINS0_14default_configENS1_35radix_sort_onesweep_config_selectorIaNS0_10empty_typeEEEZNS1_34radix_sort_onesweep_global_offsetsIS3_Lb0EPKaPS5_mNS0_19identity_decomposerEEE10hipError_tT1_T2_PT3_SF_jT4_jjP12ihipStream_tbEUlT_E_NS1_11comp_targetILNS1_3genE3ELNS1_11target_archE908ELNS1_3gpuE7ELNS1_3repE0EEENS1_52radix_sort_onesweep_histogram_config_static_selectorELNS0_4arch9wavefront6targetE0EEEvSD_, .Lfunc_end453-_ZN7rocprim17ROCPRIM_400000_NS6detail17trampoline_kernelINS0_14default_configENS1_35radix_sort_onesweep_config_selectorIaNS0_10empty_typeEEEZNS1_34radix_sort_onesweep_global_offsetsIS3_Lb0EPKaPS5_mNS0_19identity_decomposerEEE10hipError_tT1_T2_PT3_SF_jT4_jjP12ihipStream_tbEUlT_E_NS1_11comp_targetILNS1_3genE3ELNS1_11target_archE908ELNS1_3gpuE7ELNS1_3repE0EEENS1_52radix_sort_onesweep_histogram_config_static_selectorELNS0_4arch9wavefront6targetE0EEEvSD_
                                        ; -- End function
	.set _ZN7rocprim17ROCPRIM_400000_NS6detail17trampoline_kernelINS0_14default_configENS1_35radix_sort_onesweep_config_selectorIaNS0_10empty_typeEEEZNS1_34radix_sort_onesweep_global_offsetsIS3_Lb0EPKaPS5_mNS0_19identity_decomposerEEE10hipError_tT1_T2_PT3_SF_jT4_jjP12ihipStream_tbEUlT_E_NS1_11comp_targetILNS1_3genE3ELNS1_11target_archE908ELNS1_3gpuE7ELNS1_3repE0EEENS1_52radix_sort_onesweep_histogram_config_static_selectorELNS0_4arch9wavefront6targetE0EEEvSD_.num_vgpr, 0
	.set _ZN7rocprim17ROCPRIM_400000_NS6detail17trampoline_kernelINS0_14default_configENS1_35radix_sort_onesweep_config_selectorIaNS0_10empty_typeEEEZNS1_34radix_sort_onesweep_global_offsetsIS3_Lb0EPKaPS5_mNS0_19identity_decomposerEEE10hipError_tT1_T2_PT3_SF_jT4_jjP12ihipStream_tbEUlT_E_NS1_11comp_targetILNS1_3genE3ELNS1_11target_archE908ELNS1_3gpuE7ELNS1_3repE0EEENS1_52radix_sort_onesweep_histogram_config_static_selectorELNS0_4arch9wavefront6targetE0EEEvSD_.num_agpr, 0
	.set _ZN7rocprim17ROCPRIM_400000_NS6detail17trampoline_kernelINS0_14default_configENS1_35radix_sort_onesweep_config_selectorIaNS0_10empty_typeEEEZNS1_34radix_sort_onesweep_global_offsetsIS3_Lb0EPKaPS5_mNS0_19identity_decomposerEEE10hipError_tT1_T2_PT3_SF_jT4_jjP12ihipStream_tbEUlT_E_NS1_11comp_targetILNS1_3genE3ELNS1_11target_archE908ELNS1_3gpuE7ELNS1_3repE0EEENS1_52radix_sort_onesweep_histogram_config_static_selectorELNS0_4arch9wavefront6targetE0EEEvSD_.numbered_sgpr, 0
	.set _ZN7rocprim17ROCPRIM_400000_NS6detail17trampoline_kernelINS0_14default_configENS1_35radix_sort_onesweep_config_selectorIaNS0_10empty_typeEEEZNS1_34radix_sort_onesweep_global_offsetsIS3_Lb0EPKaPS5_mNS0_19identity_decomposerEEE10hipError_tT1_T2_PT3_SF_jT4_jjP12ihipStream_tbEUlT_E_NS1_11comp_targetILNS1_3genE3ELNS1_11target_archE908ELNS1_3gpuE7ELNS1_3repE0EEENS1_52radix_sort_onesweep_histogram_config_static_selectorELNS0_4arch9wavefront6targetE0EEEvSD_.num_named_barrier, 0
	.set _ZN7rocprim17ROCPRIM_400000_NS6detail17trampoline_kernelINS0_14default_configENS1_35radix_sort_onesweep_config_selectorIaNS0_10empty_typeEEEZNS1_34radix_sort_onesweep_global_offsetsIS3_Lb0EPKaPS5_mNS0_19identity_decomposerEEE10hipError_tT1_T2_PT3_SF_jT4_jjP12ihipStream_tbEUlT_E_NS1_11comp_targetILNS1_3genE3ELNS1_11target_archE908ELNS1_3gpuE7ELNS1_3repE0EEENS1_52radix_sort_onesweep_histogram_config_static_selectorELNS0_4arch9wavefront6targetE0EEEvSD_.private_seg_size, 0
	.set _ZN7rocprim17ROCPRIM_400000_NS6detail17trampoline_kernelINS0_14default_configENS1_35radix_sort_onesweep_config_selectorIaNS0_10empty_typeEEEZNS1_34radix_sort_onesweep_global_offsetsIS3_Lb0EPKaPS5_mNS0_19identity_decomposerEEE10hipError_tT1_T2_PT3_SF_jT4_jjP12ihipStream_tbEUlT_E_NS1_11comp_targetILNS1_3genE3ELNS1_11target_archE908ELNS1_3gpuE7ELNS1_3repE0EEENS1_52radix_sort_onesweep_histogram_config_static_selectorELNS0_4arch9wavefront6targetE0EEEvSD_.uses_vcc, 0
	.set _ZN7rocprim17ROCPRIM_400000_NS6detail17trampoline_kernelINS0_14default_configENS1_35radix_sort_onesweep_config_selectorIaNS0_10empty_typeEEEZNS1_34radix_sort_onesweep_global_offsetsIS3_Lb0EPKaPS5_mNS0_19identity_decomposerEEE10hipError_tT1_T2_PT3_SF_jT4_jjP12ihipStream_tbEUlT_E_NS1_11comp_targetILNS1_3genE3ELNS1_11target_archE908ELNS1_3gpuE7ELNS1_3repE0EEENS1_52radix_sort_onesweep_histogram_config_static_selectorELNS0_4arch9wavefront6targetE0EEEvSD_.uses_flat_scratch, 0
	.set _ZN7rocprim17ROCPRIM_400000_NS6detail17trampoline_kernelINS0_14default_configENS1_35radix_sort_onesweep_config_selectorIaNS0_10empty_typeEEEZNS1_34radix_sort_onesweep_global_offsetsIS3_Lb0EPKaPS5_mNS0_19identity_decomposerEEE10hipError_tT1_T2_PT3_SF_jT4_jjP12ihipStream_tbEUlT_E_NS1_11comp_targetILNS1_3genE3ELNS1_11target_archE908ELNS1_3gpuE7ELNS1_3repE0EEENS1_52radix_sort_onesweep_histogram_config_static_selectorELNS0_4arch9wavefront6targetE0EEEvSD_.has_dyn_sized_stack, 0
	.set _ZN7rocprim17ROCPRIM_400000_NS6detail17trampoline_kernelINS0_14default_configENS1_35radix_sort_onesweep_config_selectorIaNS0_10empty_typeEEEZNS1_34radix_sort_onesweep_global_offsetsIS3_Lb0EPKaPS5_mNS0_19identity_decomposerEEE10hipError_tT1_T2_PT3_SF_jT4_jjP12ihipStream_tbEUlT_E_NS1_11comp_targetILNS1_3genE3ELNS1_11target_archE908ELNS1_3gpuE7ELNS1_3repE0EEENS1_52radix_sort_onesweep_histogram_config_static_selectorELNS0_4arch9wavefront6targetE0EEEvSD_.has_recursion, 0
	.set _ZN7rocprim17ROCPRIM_400000_NS6detail17trampoline_kernelINS0_14default_configENS1_35radix_sort_onesweep_config_selectorIaNS0_10empty_typeEEEZNS1_34radix_sort_onesweep_global_offsetsIS3_Lb0EPKaPS5_mNS0_19identity_decomposerEEE10hipError_tT1_T2_PT3_SF_jT4_jjP12ihipStream_tbEUlT_E_NS1_11comp_targetILNS1_3genE3ELNS1_11target_archE908ELNS1_3gpuE7ELNS1_3repE0EEENS1_52radix_sort_onesweep_histogram_config_static_selectorELNS0_4arch9wavefront6targetE0EEEvSD_.has_indirect_call, 0
	.section	.AMDGPU.csdata,"",@progbits
; Kernel info:
; codeLenInByte = 0
; TotalNumSgprs: 0
; NumVgprs: 0
; ScratchSize: 0
; MemoryBound: 0
; FloatMode: 240
; IeeeMode: 1
; LDSByteSize: 0 bytes/workgroup (compile time only)
; SGPRBlocks: 0
; VGPRBlocks: 0
; NumSGPRsForWavesPerEU: 1
; NumVGPRsForWavesPerEU: 1
; NamedBarCnt: 0
; Occupancy: 16
; WaveLimiterHint : 0
; COMPUTE_PGM_RSRC2:SCRATCH_EN: 0
; COMPUTE_PGM_RSRC2:USER_SGPR: 2
; COMPUTE_PGM_RSRC2:TRAP_HANDLER: 0
; COMPUTE_PGM_RSRC2:TGID_X_EN: 1
; COMPUTE_PGM_RSRC2:TGID_Y_EN: 0
; COMPUTE_PGM_RSRC2:TGID_Z_EN: 0
; COMPUTE_PGM_RSRC2:TIDIG_COMP_CNT: 0
	.section	.text._ZN7rocprim17ROCPRIM_400000_NS6detail17trampoline_kernelINS0_14default_configENS1_35radix_sort_onesweep_config_selectorIaNS0_10empty_typeEEEZNS1_34radix_sort_onesweep_global_offsetsIS3_Lb0EPKaPS5_mNS0_19identity_decomposerEEE10hipError_tT1_T2_PT3_SF_jT4_jjP12ihipStream_tbEUlT_E_NS1_11comp_targetILNS1_3genE10ELNS1_11target_archE1201ELNS1_3gpuE5ELNS1_3repE0EEENS1_52radix_sort_onesweep_histogram_config_static_selectorELNS0_4arch9wavefront6targetE0EEEvSD_,"axG",@progbits,_ZN7rocprim17ROCPRIM_400000_NS6detail17trampoline_kernelINS0_14default_configENS1_35radix_sort_onesweep_config_selectorIaNS0_10empty_typeEEEZNS1_34radix_sort_onesweep_global_offsetsIS3_Lb0EPKaPS5_mNS0_19identity_decomposerEEE10hipError_tT1_T2_PT3_SF_jT4_jjP12ihipStream_tbEUlT_E_NS1_11comp_targetILNS1_3genE10ELNS1_11target_archE1201ELNS1_3gpuE5ELNS1_3repE0EEENS1_52radix_sort_onesweep_histogram_config_static_selectorELNS0_4arch9wavefront6targetE0EEEvSD_,comdat
	.protected	_ZN7rocprim17ROCPRIM_400000_NS6detail17trampoline_kernelINS0_14default_configENS1_35radix_sort_onesweep_config_selectorIaNS0_10empty_typeEEEZNS1_34radix_sort_onesweep_global_offsetsIS3_Lb0EPKaPS5_mNS0_19identity_decomposerEEE10hipError_tT1_T2_PT3_SF_jT4_jjP12ihipStream_tbEUlT_E_NS1_11comp_targetILNS1_3genE10ELNS1_11target_archE1201ELNS1_3gpuE5ELNS1_3repE0EEENS1_52radix_sort_onesweep_histogram_config_static_selectorELNS0_4arch9wavefront6targetE0EEEvSD_ ; -- Begin function _ZN7rocprim17ROCPRIM_400000_NS6detail17trampoline_kernelINS0_14default_configENS1_35radix_sort_onesweep_config_selectorIaNS0_10empty_typeEEEZNS1_34radix_sort_onesweep_global_offsetsIS3_Lb0EPKaPS5_mNS0_19identity_decomposerEEE10hipError_tT1_T2_PT3_SF_jT4_jjP12ihipStream_tbEUlT_E_NS1_11comp_targetILNS1_3genE10ELNS1_11target_archE1201ELNS1_3gpuE5ELNS1_3repE0EEENS1_52radix_sort_onesweep_histogram_config_static_selectorELNS0_4arch9wavefront6targetE0EEEvSD_
	.globl	_ZN7rocprim17ROCPRIM_400000_NS6detail17trampoline_kernelINS0_14default_configENS1_35radix_sort_onesweep_config_selectorIaNS0_10empty_typeEEEZNS1_34radix_sort_onesweep_global_offsetsIS3_Lb0EPKaPS5_mNS0_19identity_decomposerEEE10hipError_tT1_T2_PT3_SF_jT4_jjP12ihipStream_tbEUlT_E_NS1_11comp_targetILNS1_3genE10ELNS1_11target_archE1201ELNS1_3gpuE5ELNS1_3repE0EEENS1_52radix_sort_onesweep_histogram_config_static_selectorELNS0_4arch9wavefront6targetE0EEEvSD_
	.p2align	8
	.type	_ZN7rocprim17ROCPRIM_400000_NS6detail17trampoline_kernelINS0_14default_configENS1_35radix_sort_onesweep_config_selectorIaNS0_10empty_typeEEEZNS1_34radix_sort_onesweep_global_offsetsIS3_Lb0EPKaPS5_mNS0_19identity_decomposerEEE10hipError_tT1_T2_PT3_SF_jT4_jjP12ihipStream_tbEUlT_E_NS1_11comp_targetILNS1_3genE10ELNS1_11target_archE1201ELNS1_3gpuE5ELNS1_3repE0EEENS1_52radix_sort_onesweep_histogram_config_static_selectorELNS0_4arch9wavefront6targetE0EEEvSD_,@function
_ZN7rocprim17ROCPRIM_400000_NS6detail17trampoline_kernelINS0_14default_configENS1_35radix_sort_onesweep_config_selectorIaNS0_10empty_typeEEEZNS1_34radix_sort_onesweep_global_offsetsIS3_Lb0EPKaPS5_mNS0_19identity_decomposerEEE10hipError_tT1_T2_PT3_SF_jT4_jjP12ihipStream_tbEUlT_E_NS1_11comp_targetILNS1_3genE10ELNS1_11target_archE1201ELNS1_3gpuE5ELNS1_3repE0EEENS1_52radix_sort_onesweep_histogram_config_static_selectorELNS0_4arch9wavefront6targetE0EEEvSD_: ; @_ZN7rocprim17ROCPRIM_400000_NS6detail17trampoline_kernelINS0_14default_configENS1_35radix_sort_onesweep_config_selectorIaNS0_10empty_typeEEEZNS1_34radix_sort_onesweep_global_offsetsIS3_Lb0EPKaPS5_mNS0_19identity_decomposerEEE10hipError_tT1_T2_PT3_SF_jT4_jjP12ihipStream_tbEUlT_E_NS1_11comp_targetILNS1_3genE10ELNS1_11target_archE1201ELNS1_3gpuE5ELNS1_3repE0EEENS1_52radix_sort_onesweep_histogram_config_static_selectorELNS0_4arch9wavefront6targetE0EEEvSD_
; %bb.0:
	.section	.rodata,"a",@progbits
	.p2align	6, 0x0
	.amdhsa_kernel _ZN7rocprim17ROCPRIM_400000_NS6detail17trampoline_kernelINS0_14default_configENS1_35radix_sort_onesweep_config_selectorIaNS0_10empty_typeEEEZNS1_34radix_sort_onesweep_global_offsetsIS3_Lb0EPKaPS5_mNS0_19identity_decomposerEEE10hipError_tT1_T2_PT3_SF_jT4_jjP12ihipStream_tbEUlT_E_NS1_11comp_targetILNS1_3genE10ELNS1_11target_archE1201ELNS1_3gpuE5ELNS1_3repE0EEENS1_52radix_sort_onesweep_histogram_config_static_selectorELNS0_4arch9wavefront6targetE0EEEvSD_
		.amdhsa_group_segment_fixed_size 0
		.amdhsa_private_segment_fixed_size 0
		.amdhsa_kernarg_size 48
		.amdhsa_user_sgpr_count 2
		.amdhsa_user_sgpr_dispatch_ptr 0
		.amdhsa_user_sgpr_queue_ptr 0
		.amdhsa_user_sgpr_kernarg_segment_ptr 1
		.amdhsa_user_sgpr_dispatch_id 0
		.amdhsa_user_sgpr_kernarg_preload_length 0
		.amdhsa_user_sgpr_kernarg_preload_offset 0
		.amdhsa_user_sgpr_private_segment_size 0
		.amdhsa_wavefront_size32 1
		.amdhsa_uses_dynamic_stack 0
		.amdhsa_enable_private_segment 0
		.amdhsa_system_sgpr_workgroup_id_x 1
		.amdhsa_system_sgpr_workgroup_id_y 0
		.amdhsa_system_sgpr_workgroup_id_z 0
		.amdhsa_system_sgpr_workgroup_info 0
		.amdhsa_system_vgpr_workitem_id 0
		.amdhsa_next_free_vgpr 1
		.amdhsa_next_free_sgpr 1
		.amdhsa_named_barrier_count 0
		.amdhsa_reserve_vcc 0
		.amdhsa_float_round_mode_32 0
		.amdhsa_float_round_mode_16_64 0
		.amdhsa_float_denorm_mode_32 3
		.amdhsa_float_denorm_mode_16_64 3
		.amdhsa_fp16_overflow 0
		.amdhsa_memory_ordered 1
		.amdhsa_forward_progress 1
		.amdhsa_inst_pref_size 0
		.amdhsa_round_robin_scheduling 0
		.amdhsa_exception_fp_ieee_invalid_op 0
		.amdhsa_exception_fp_denorm_src 0
		.amdhsa_exception_fp_ieee_div_zero 0
		.amdhsa_exception_fp_ieee_overflow 0
		.amdhsa_exception_fp_ieee_underflow 0
		.amdhsa_exception_fp_ieee_inexact 0
		.amdhsa_exception_int_div_zero 0
	.end_amdhsa_kernel
	.section	.text._ZN7rocprim17ROCPRIM_400000_NS6detail17trampoline_kernelINS0_14default_configENS1_35radix_sort_onesweep_config_selectorIaNS0_10empty_typeEEEZNS1_34radix_sort_onesweep_global_offsetsIS3_Lb0EPKaPS5_mNS0_19identity_decomposerEEE10hipError_tT1_T2_PT3_SF_jT4_jjP12ihipStream_tbEUlT_E_NS1_11comp_targetILNS1_3genE10ELNS1_11target_archE1201ELNS1_3gpuE5ELNS1_3repE0EEENS1_52radix_sort_onesweep_histogram_config_static_selectorELNS0_4arch9wavefront6targetE0EEEvSD_,"axG",@progbits,_ZN7rocprim17ROCPRIM_400000_NS6detail17trampoline_kernelINS0_14default_configENS1_35radix_sort_onesweep_config_selectorIaNS0_10empty_typeEEEZNS1_34radix_sort_onesweep_global_offsetsIS3_Lb0EPKaPS5_mNS0_19identity_decomposerEEE10hipError_tT1_T2_PT3_SF_jT4_jjP12ihipStream_tbEUlT_E_NS1_11comp_targetILNS1_3genE10ELNS1_11target_archE1201ELNS1_3gpuE5ELNS1_3repE0EEENS1_52radix_sort_onesweep_histogram_config_static_selectorELNS0_4arch9wavefront6targetE0EEEvSD_,comdat
.Lfunc_end454:
	.size	_ZN7rocprim17ROCPRIM_400000_NS6detail17trampoline_kernelINS0_14default_configENS1_35radix_sort_onesweep_config_selectorIaNS0_10empty_typeEEEZNS1_34radix_sort_onesweep_global_offsetsIS3_Lb0EPKaPS5_mNS0_19identity_decomposerEEE10hipError_tT1_T2_PT3_SF_jT4_jjP12ihipStream_tbEUlT_E_NS1_11comp_targetILNS1_3genE10ELNS1_11target_archE1201ELNS1_3gpuE5ELNS1_3repE0EEENS1_52radix_sort_onesweep_histogram_config_static_selectorELNS0_4arch9wavefront6targetE0EEEvSD_, .Lfunc_end454-_ZN7rocprim17ROCPRIM_400000_NS6detail17trampoline_kernelINS0_14default_configENS1_35radix_sort_onesweep_config_selectorIaNS0_10empty_typeEEEZNS1_34radix_sort_onesweep_global_offsetsIS3_Lb0EPKaPS5_mNS0_19identity_decomposerEEE10hipError_tT1_T2_PT3_SF_jT4_jjP12ihipStream_tbEUlT_E_NS1_11comp_targetILNS1_3genE10ELNS1_11target_archE1201ELNS1_3gpuE5ELNS1_3repE0EEENS1_52radix_sort_onesweep_histogram_config_static_selectorELNS0_4arch9wavefront6targetE0EEEvSD_
                                        ; -- End function
	.set _ZN7rocprim17ROCPRIM_400000_NS6detail17trampoline_kernelINS0_14default_configENS1_35radix_sort_onesweep_config_selectorIaNS0_10empty_typeEEEZNS1_34radix_sort_onesweep_global_offsetsIS3_Lb0EPKaPS5_mNS0_19identity_decomposerEEE10hipError_tT1_T2_PT3_SF_jT4_jjP12ihipStream_tbEUlT_E_NS1_11comp_targetILNS1_3genE10ELNS1_11target_archE1201ELNS1_3gpuE5ELNS1_3repE0EEENS1_52radix_sort_onesweep_histogram_config_static_selectorELNS0_4arch9wavefront6targetE0EEEvSD_.num_vgpr, 0
	.set _ZN7rocprim17ROCPRIM_400000_NS6detail17trampoline_kernelINS0_14default_configENS1_35radix_sort_onesweep_config_selectorIaNS0_10empty_typeEEEZNS1_34radix_sort_onesweep_global_offsetsIS3_Lb0EPKaPS5_mNS0_19identity_decomposerEEE10hipError_tT1_T2_PT3_SF_jT4_jjP12ihipStream_tbEUlT_E_NS1_11comp_targetILNS1_3genE10ELNS1_11target_archE1201ELNS1_3gpuE5ELNS1_3repE0EEENS1_52radix_sort_onesweep_histogram_config_static_selectorELNS0_4arch9wavefront6targetE0EEEvSD_.num_agpr, 0
	.set _ZN7rocprim17ROCPRIM_400000_NS6detail17trampoline_kernelINS0_14default_configENS1_35radix_sort_onesweep_config_selectorIaNS0_10empty_typeEEEZNS1_34radix_sort_onesweep_global_offsetsIS3_Lb0EPKaPS5_mNS0_19identity_decomposerEEE10hipError_tT1_T2_PT3_SF_jT4_jjP12ihipStream_tbEUlT_E_NS1_11comp_targetILNS1_3genE10ELNS1_11target_archE1201ELNS1_3gpuE5ELNS1_3repE0EEENS1_52radix_sort_onesweep_histogram_config_static_selectorELNS0_4arch9wavefront6targetE0EEEvSD_.numbered_sgpr, 0
	.set _ZN7rocprim17ROCPRIM_400000_NS6detail17trampoline_kernelINS0_14default_configENS1_35radix_sort_onesweep_config_selectorIaNS0_10empty_typeEEEZNS1_34radix_sort_onesweep_global_offsetsIS3_Lb0EPKaPS5_mNS0_19identity_decomposerEEE10hipError_tT1_T2_PT3_SF_jT4_jjP12ihipStream_tbEUlT_E_NS1_11comp_targetILNS1_3genE10ELNS1_11target_archE1201ELNS1_3gpuE5ELNS1_3repE0EEENS1_52radix_sort_onesweep_histogram_config_static_selectorELNS0_4arch9wavefront6targetE0EEEvSD_.num_named_barrier, 0
	.set _ZN7rocprim17ROCPRIM_400000_NS6detail17trampoline_kernelINS0_14default_configENS1_35radix_sort_onesweep_config_selectorIaNS0_10empty_typeEEEZNS1_34radix_sort_onesweep_global_offsetsIS3_Lb0EPKaPS5_mNS0_19identity_decomposerEEE10hipError_tT1_T2_PT3_SF_jT4_jjP12ihipStream_tbEUlT_E_NS1_11comp_targetILNS1_3genE10ELNS1_11target_archE1201ELNS1_3gpuE5ELNS1_3repE0EEENS1_52radix_sort_onesweep_histogram_config_static_selectorELNS0_4arch9wavefront6targetE0EEEvSD_.private_seg_size, 0
	.set _ZN7rocprim17ROCPRIM_400000_NS6detail17trampoline_kernelINS0_14default_configENS1_35radix_sort_onesweep_config_selectorIaNS0_10empty_typeEEEZNS1_34radix_sort_onesweep_global_offsetsIS3_Lb0EPKaPS5_mNS0_19identity_decomposerEEE10hipError_tT1_T2_PT3_SF_jT4_jjP12ihipStream_tbEUlT_E_NS1_11comp_targetILNS1_3genE10ELNS1_11target_archE1201ELNS1_3gpuE5ELNS1_3repE0EEENS1_52radix_sort_onesweep_histogram_config_static_selectorELNS0_4arch9wavefront6targetE0EEEvSD_.uses_vcc, 0
	.set _ZN7rocprim17ROCPRIM_400000_NS6detail17trampoline_kernelINS0_14default_configENS1_35radix_sort_onesweep_config_selectorIaNS0_10empty_typeEEEZNS1_34radix_sort_onesweep_global_offsetsIS3_Lb0EPKaPS5_mNS0_19identity_decomposerEEE10hipError_tT1_T2_PT3_SF_jT4_jjP12ihipStream_tbEUlT_E_NS1_11comp_targetILNS1_3genE10ELNS1_11target_archE1201ELNS1_3gpuE5ELNS1_3repE0EEENS1_52radix_sort_onesweep_histogram_config_static_selectorELNS0_4arch9wavefront6targetE0EEEvSD_.uses_flat_scratch, 0
	.set _ZN7rocprim17ROCPRIM_400000_NS6detail17trampoline_kernelINS0_14default_configENS1_35radix_sort_onesweep_config_selectorIaNS0_10empty_typeEEEZNS1_34radix_sort_onesweep_global_offsetsIS3_Lb0EPKaPS5_mNS0_19identity_decomposerEEE10hipError_tT1_T2_PT3_SF_jT4_jjP12ihipStream_tbEUlT_E_NS1_11comp_targetILNS1_3genE10ELNS1_11target_archE1201ELNS1_3gpuE5ELNS1_3repE0EEENS1_52radix_sort_onesweep_histogram_config_static_selectorELNS0_4arch9wavefront6targetE0EEEvSD_.has_dyn_sized_stack, 0
	.set _ZN7rocprim17ROCPRIM_400000_NS6detail17trampoline_kernelINS0_14default_configENS1_35radix_sort_onesweep_config_selectorIaNS0_10empty_typeEEEZNS1_34radix_sort_onesweep_global_offsetsIS3_Lb0EPKaPS5_mNS0_19identity_decomposerEEE10hipError_tT1_T2_PT3_SF_jT4_jjP12ihipStream_tbEUlT_E_NS1_11comp_targetILNS1_3genE10ELNS1_11target_archE1201ELNS1_3gpuE5ELNS1_3repE0EEENS1_52radix_sort_onesweep_histogram_config_static_selectorELNS0_4arch9wavefront6targetE0EEEvSD_.has_recursion, 0
	.set _ZN7rocprim17ROCPRIM_400000_NS6detail17trampoline_kernelINS0_14default_configENS1_35radix_sort_onesweep_config_selectorIaNS0_10empty_typeEEEZNS1_34radix_sort_onesweep_global_offsetsIS3_Lb0EPKaPS5_mNS0_19identity_decomposerEEE10hipError_tT1_T2_PT3_SF_jT4_jjP12ihipStream_tbEUlT_E_NS1_11comp_targetILNS1_3genE10ELNS1_11target_archE1201ELNS1_3gpuE5ELNS1_3repE0EEENS1_52radix_sort_onesweep_histogram_config_static_selectorELNS0_4arch9wavefront6targetE0EEEvSD_.has_indirect_call, 0
	.section	.AMDGPU.csdata,"",@progbits
; Kernel info:
; codeLenInByte = 0
; TotalNumSgprs: 0
; NumVgprs: 0
; ScratchSize: 0
; MemoryBound: 0
; FloatMode: 240
; IeeeMode: 1
; LDSByteSize: 0 bytes/workgroup (compile time only)
; SGPRBlocks: 0
; VGPRBlocks: 0
; NumSGPRsForWavesPerEU: 1
; NumVGPRsForWavesPerEU: 1
; NamedBarCnt: 0
; Occupancy: 16
; WaveLimiterHint : 0
; COMPUTE_PGM_RSRC2:SCRATCH_EN: 0
; COMPUTE_PGM_RSRC2:USER_SGPR: 2
; COMPUTE_PGM_RSRC2:TRAP_HANDLER: 0
; COMPUTE_PGM_RSRC2:TGID_X_EN: 1
; COMPUTE_PGM_RSRC2:TGID_Y_EN: 0
; COMPUTE_PGM_RSRC2:TGID_Z_EN: 0
; COMPUTE_PGM_RSRC2:TIDIG_COMP_CNT: 0
	.section	.text._ZN7rocprim17ROCPRIM_400000_NS6detail17trampoline_kernelINS0_14default_configENS1_35radix_sort_onesweep_config_selectorIaNS0_10empty_typeEEEZNS1_34radix_sort_onesweep_global_offsetsIS3_Lb0EPKaPS5_mNS0_19identity_decomposerEEE10hipError_tT1_T2_PT3_SF_jT4_jjP12ihipStream_tbEUlT_E_NS1_11comp_targetILNS1_3genE9ELNS1_11target_archE1100ELNS1_3gpuE3ELNS1_3repE0EEENS1_52radix_sort_onesweep_histogram_config_static_selectorELNS0_4arch9wavefront6targetE0EEEvSD_,"axG",@progbits,_ZN7rocprim17ROCPRIM_400000_NS6detail17trampoline_kernelINS0_14default_configENS1_35radix_sort_onesweep_config_selectorIaNS0_10empty_typeEEEZNS1_34radix_sort_onesweep_global_offsetsIS3_Lb0EPKaPS5_mNS0_19identity_decomposerEEE10hipError_tT1_T2_PT3_SF_jT4_jjP12ihipStream_tbEUlT_E_NS1_11comp_targetILNS1_3genE9ELNS1_11target_archE1100ELNS1_3gpuE3ELNS1_3repE0EEENS1_52radix_sort_onesweep_histogram_config_static_selectorELNS0_4arch9wavefront6targetE0EEEvSD_,comdat
	.protected	_ZN7rocprim17ROCPRIM_400000_NS6detail17trampoline_kernelINS0_14default_configENS1_35radix_sort_onesweep_config_selectorIaNS0_10empty_typeEEEZNS1_34radix_sort_onesweep_global_offsetsIS3_Lb0EPKaPS5_mNS0_19identity_decomposerEEE10hipError_tT1_T2_PT3_SF_jT4_jjP12ihipStream_tbEUlT_E_NS1_11comp_targetILNS1_3genE9ELNS1_11target_archE1100ELNS1_3gpuE3ELNS1_3repE0EEENS1_52radix_sort_onesweep_histogram_config_static_selectorELNS0_4arch9wavefront6targetE0EEEvSD_ ; -- Begin function _ZN7rocprim17ROCPRIM_400000_NS6detail17trampoline_kernelINS0_14default_configENS1_35radix_sort_onesweep_config_selectorIaNS0_10empty_typeEEEZNS1_34radix_sort_onesweep_global_offsetsIS3_Lb0EPKaPS5_mNS0_19identity_decomposerEEE10hipError_tT1_T2_PT3_SF_jT4_jjP12ihipStream_tbEUlT_E_NS1_11comp_targetILNS1_3genE9ELNS1_11target_archE1100ELNS1_3gpuE3ELNS1_3repE0EEENS1_52radix_sort_onesweep_histogram_config_static_selectorELNS0_4arch9wavefront6targetE0EEEvSD_
	.globl	_ZN7rocprim17ROCPRIM_400000_NS6detail17trampoline_kernelINS0_14default_configENS1_35radix_sort_onesweep_config_selectorIaNS0_10empty_typeEEEZNS1_34radix_sort_onesweep_global_offsetsIS3_Lb0EPKaPS5_mNS0_19identity_decomposerEEE10hipError_tT1_T2_PT3_SF_jT4_jjP12ihipStream_tbEUlT_E_NS1_11comp_targetILNS1_3genE9ELNS1_11target_archE1100ELNS1_3gpuE3ELNS1_3repE0EEENS1_52radix_sort_onesweep_histogram_config_static_selectorELNS0_4arch9wavefront6targetE0EEEvSD_
	.p2align	8
	.type	_ZN7rocprim17ROCPRIM_400000_NS6detail17trampoline_kernelINS0_14default_configENS1_35radix_sort_onesweep_config_selectorIaNS0_10empty_typeEEEZNS1_34radix_sort_onesweep_global_offsetsIS3_Lb0EPKaPS5_mNS0_19identity_decomposerEEE10hipError_tT1_T2_PT3_SF_jT4_jjP12ihipStream_tbEUlT_E_NS1_11comp_targetILNS1_3genE9ELNS1_11target_archE1100ELNS1_3gpuE3ELNS1_3repE0EEENS1_52radix_sort_onesweep_histogram_config_static_selectorELNS0_4arch9wavefront6targetE0EEEvSD_,@function
_ZN7rocprim17ROCPRIM_400000_NS6detail17trampoline_kernelINS0_14default_configENS1_35radix_sort_onesweep_config_selectorIaNS0_10empty_typeEEEZNS1_34radix_sort_onesweep_global_offsetsIS3_Lb0EPKaPS5_mNS0_19identity_decomposerEEE10hipError_tT1_T2_PT3_SF_jT4_jjP12ihipStream_tbEUlT_E_NS1_11comp_targetILNS1_3genE9ELNS1_11target_archE1100ELNS1_3gpuE3ELNS1_3repE0EEENS1_52radix_sort_onesweep_histogram_config_static_selectorELNS0_4arch9wavefront6targetE0EEEvSD_: ; @_ZN7rocprim17ROCPRIM_400000_NS6detail17trampoline_kernelINS0_14default_configENS1_35radix_sort_onesweep_config_selectorIaNS0_10empty_typeEEEZNS1_34radix_sort_onesweep_global_offsetsIS3_Lb0EPKaPS5_mNS0_19identity_decomposerEEE10hipError_tT1_T2_PT3_SF_jT4_jjP12ihipStream_tbEUlT_E_NS1_11comp_targetILNS1_3genE9ELNS1_11target_archE1100ELNS1_3gpuE3ELNS1_3repE0EEENS1_52radix_sort_onesweep_histogram_config_static_selectorELNS0_4arch9wavefront6targetE0EEEvSD_
; %bb.0:
	.section	.rodata,"a",@progbits
	.p2align	6, 0x0
	.amdhsa_kernel _ZN7rocprim17ROCPRIM_400000_NS6detail17trampoline_kernelINS0_14default_configENS1_35radix_sort_onesweep_config_selectorIaNS0_10empty_typeEEEZNS1_34radix_sort_onesweep_global_offsetsIS3_Lb0EPKaPS5_mNS0_19identity_decomposerEEE10hipError_tT1_T2_PT3_SF_jT4_jjP12ihipStream_tbEUlT_E_NS1_11comp_targetILNS1_3genE9ELNS1_11target_archE1100ELNS1_3gpuE3ELNS1_3repE0EEENS1_52radix_sort_onesweep_histogram_config_static_selectorELNS0_4arch9wavefront6targetE0EEEvSD_
		.amdhsa_group_segment_fixed_size 0
		.amdhsa_private_segment_fixed_size 0
		.amdhsa_kernarg_size 48
		.amdhsa_user_sgpr_count 2
		.amdhsa_user_sgpr_dispatch_ptr 0
		.amdhsa_user_sgpr_queue_ptr 0
		.amdhsa_user_sgpr_kernarg_segment_ptr 1
		.amdhsa_user_sgpr_dispatch_id 0
		.amdhsa_user_sgpr_kernarg_preload_length 0
		.amdhsa_user_sgpr_kernarg_preload_offset 0
		.amdhsa_user_sgpr_private_segment_size 0
		.amdhsa_wavefront_size32 1
		.amdhsa_uses_dynamic_stack 0
		.amdhsa_enable_private_segment 0
		.amdhsa_system_sgpr_workgroup_id_x 1
		.amdhsa_system_sgpr_workgroup_id_y 0
		.amdhsa_system_sgpr_workgroup_id_z 0
		.amdhsa_system_sgpr_workgroup_info 0
		.amdhsa_system_vgpr_workitem_id 0
		.amdhsa_next_free_vgpr 1
		.amdhsa_next_free_sgpr 1
		.amdhsa_named_barrier_count 0
		.amdhsa_reserve_vcc 0
		.amdhsa_float_round_mode_32 0
		.amdhsa_float_round_mode_16_64 0
		.amdhsa_float_denorm_mode_32 3
		.amdhsa_float_denorm_mode_16_64 3
		.amdhsa_fp16_overflow 0
		.amdhsa_memory_ordered 1
		.amdhsa_forward_progress 1
		.amdhsa_inst_pref_size 0
		.amdhsa_round_robin_scheduling 0
		.amdhsa_exception_fp_ieee_invalid_op 0
		.amdhsa_exception_fp_denorm_src 0
		.amdhsa_exception_fp_ieee_div_zero 0
		.amdhsa_exception_fp_ieee_overflow 0
		.amdhsa_exception_fp_ieee_underflow 0
		.amdhsa_exception_fp_ieee_inexact 0
		.amdhsa_exception_int_div_zero 0
	.end_amdhsa_kernel
	.section	.text._ZN7rocprim17ROCPRIM_400000_NS6detail17trampoline_kernelINS0_14default_configENS1_35radix_sort_onesweep_config_selectorIaNS0_10empty_typeEEEZNS1_34radix_sort_onesweep_global_offsetsIS3_Lb0EPKaPS5_mNS0_19identity_decomposerEEE10hipError_tT1_T2_PT3_SF_jT4_jjP12ihipStream_tbEUlT_E_NS1_11comp_targetILNS1_3genE9ELNS1_11target_archE1100ELNS1_3gpuE3ELNS1_3repE0EEENS1_52radix_sort_onesweep_histogram_config_static_selectorELNS0_4arch9wavefront6targetE0EEEvSD_,"axG",@progbits,_ZN7rocprim17ROCPRIM_400000_NS6detail17trampoline_kernelINS0_14default_configENS1_35radix_sort_onesweep_config_selectorIaNS0_10empty_typeEEEZNS1_34radix_sort_onesweep_global_offsetsIS3_Lb0EPKaPS5_mNS0_19identity_decomposerEEE10hipError_tT1_T2_PT3_SF_jT4_jjP12ihipStream_tbEUlT_E_NS1_11comp_targetILNS1_3genE9ELNS1_11target_archE1100ELNS1_3gpuE3ELNS1_3repE0EEENS1_52radix_sort_onesweep_histogram_config_static_selectorELNS0_4arch9wavefront6targetE0EEEvSD_,comdat
.Lfunc_end455:
	.size	_ZN7rocprim17ROCPRIM_400000_NS6detail17trampoline_kernelINS0_14default_configENS1_35radix_sort_onesweep_config_selectorIaNS0_10empty_typeEEEZNS1_34radix_sort_onesweep_global_offsetsIS3_Lb0EPKaPS5_mNS0_19identity_decomposerEEE10hipError_tT1_T2_PT3_SF_jT4_jjP12ihipStream_tbEUlT_E_NS1_11comp_targetILNS1_3genE9ELNS1_11target_archE1100ELNS1_3gpuE3ELNS1_3repE0EEENS1_52radix_sort_onesweep_histogram_config_static_selectorELNS0_4arch9wavefront6targetE0EEEvSD_, .Lfunc_end455-_ZN7rocprim17ROCPRIM_400000_NS6detail17trampoline_kernelINS0_14default_configENS1_35radix_sort_onesweep_config_selectorIaNS0_10empty_typeEEEZNS1_34radix_sort_onesweep_global_offsetsIS3_Lb0EPKaPS5_mNS0_19identity_decomposerEEE10hipError_tT1_T2_PT3_SF_jT4_jjP12ihipStream_tbEUlT_E_NS1_11comp_targetILNS1_3genE9ELNS1_11target_archE1100ELNS1_3gpuE3ELNS1_3repE0EEENS1_52radix_sort_onesweep_histogram_config_static_selectorELNS0_4arch9wavefront6targetE0EEEvSD_
                                        ; -- End function
	.set _ZN7rocprim17ROCPRIM_400000_NS6detail17trampoline_kernelINS0_14default_configENS1_35radix_sort_onesweep_config_selectorIaNS0_10empty_typeEEEZNS1_34radix_sort_onesweep_global_offsetsIS3_Lb0EPKaPS5_mNS0_19identity_decomposerEEE10hipError_tT1_T2_PT3_SF_jT4_jjP12ihipStream_tbEUlT_E_NS1_11comp_targetILNS1_3genE9ELNS1_11target_archE1100ELNS1_3gpuE3ELNS1_3repE0EEENS1_52radix_sort_onesweep_histogram_config_static_selectorELNS0_4arch9wavefront6targetE0EEEvSD_.num_vgpr, 0
	.set _ZN7rocprim17ROCPRIM_400000_NS6detail17trampoline_kernelINS0_14default_configENS1_35radix_sort_onesweep_config_selectorIaNS0_10empty_typeEEEZNS1_34radix_sort_onesweep_global_offsetsIS3_Lb0EPKaPS5_mNS0_19identity_decomposerEEE10hipError_tT1_T2_PT3_SF_jT4_jjP12ihipStream_tbEUlT_E_NS1_11comp_targetILNS1_3genE9ELNS1_11target_archE1100ELNS1_3gpuE3ELNS1_3repE0EEENS1_52radix_sort_onesweep_histogram_config_static_selectorELNS0_4arch9wavefront6targetE0EEEvSD_.num_agpr, 0
	.set _ZN7rocprim17ROCPRIM_400000_NS6detail17trampoline_kernelINS0_14default_configENS1_35radix_sort_onesweep_config_selectorIaNS0_10empty_typeEEEZNS1_34radix_sort_onesweep_global_offsetsIS3_Lb0EPKaPS5_mNS0_19identity_decomposerEEE10hipError_tT1_T2_PT3_SF_jT4_jjP12ihipStream_tbEUlT_E_NS1_11comp_targetILNS1_3genE9ELNS1_11target_archE1100ELNS1_3gpuE3ELNS1_3repE0EEENS1_52radix_sort_onesweep_histogram_config_static_selectorELNS0_4arch9wavefront6targetE0EEEvSD_.numbered_sgpr, 0
	.set _ZN7rocprim17ROCPRIM_400000_NS6detail17trampoline_kernelINS0_14default_configENS1_35radix_sort_onesweep_config_selectorIaNS0_10empty_typeEEEZNS1_34radix_sort_onesweep_global_offsetsIS3_Lb0EPKaPS5_mNS0_19identity_decomposerEEE10hipError_tT1_T2_PT3_SF_jT4_jjP12ihipStream_tbEUlT_E_NS1_11comp_targetILNS1_3genE9ELNS1_11target_archE1100ELNS1_3gpuE3ELNS1_3repE0EEENS1_52radix_sort_onesweep_histogram_config_static_selectorELNS0_4arch9wavefront6targetE0EEEvSD_.num_named_barrier, 0
	.set _ZN7rocprim17ROCPRIM_400000_NS6detail17trampoline_kernelINS0_14default_configENS1_35radix_sort_onesweep_config_selectorIaNS0_10empty_typeEEEZNS1_34radix_sort_onesweep_global_offsetsIS3_Lb0EPKaPS5_mNS0_19identity_decomposerEEE10hipError_tT1_T2_PT3_SF_jT4_jjP12ihipStream_tbEUlT_E_NS1_11comp_targetILNS1_3genE9ELNS1_11target_archE1100ELNS1_3gpuE3ELNS1_3repE0EEENS1_52radix_sort_onesweep_histogram_config_static_selectorELNS0_4arch9wavefront6targetE0EEEvSD_.private_seg_size, 0
	.set _ZN7rocprim17ROCPRIM_400000_NS6detail17trampoline_kernelINS0_14default_configENS1_35radix_sort_onesweep_config_selectorIaNS0_10empty_typeEEEZNS1_34radix_sort_onesweep_global_offsetsIS3_Lb0EPKaPS5_mNS0_19identity_decomposerEEE10hipError_tT1_T2_PT3_SF_jT4_jjP12ihipStream_tbEUlT_E_NS1_11comp_targetILNS1_3genE9ELNS1_11target_archE1100ELNS1_3gpuE3ELNS1_3repE0EEENS1_52radix_sort_onesweep_histogram_config_static_selectorELNS0_4arch9wavefront6targetE0EEEvSD_.uses_vcc, 0
	.set _ZN7rocprim17ROCPRIM_400000_NS6detail17trampoline_kernelINS0_14default_configENS1_35radix_sort_onesweep_config_selectorIaNS0_10empty_typeEEEZNS1_34radix_sort_onesweep_global_offsetsIS3_Lb0EPKaPS5_mNS0_19identity_decomposerEEE10hipError_tT1_T2_PT3_SF_jT4_jjP12ihipStream_tbEUlT_E_NS1_11comp_targetILNS1_3genE9ELNS1_11target_archE1100ELNS1_3gpuE3ELNS1_3repE0EEENS1_52radix_sort_onesweep_histogram_config_static_selectorELNS0_4arch9wavefront6targetE0EEEvSD_.uses_flat_scratch, 0
	.set _ZN7rocprim17ROCPRIM_400000_NS6detail17trampoline_kernelINS0_14default_configENS1_35radix_sort_onesweep_config_selectorIaNS0_10empty_typeEEEZNS1_34radix_sort_onesweep_global_offsetsIS3_Lb0EPKaPS5_mNS0_19identity_decomposerEEE10hipError_tT1_T2_PT3_SF_jT4_jjP12ihipStream_tbEUlT_E_NS1_11comp_targetILNS1_3genE9ELNS1_11target_archE1100ELNS1_3gpuE3ELNS1_3repE0EEENS1_52radix_sort_onesweep_histogram_config_static_selectorELNS0_4arch9wavefront6targetE0EEEvSD_.has_dyn_sized_stack, 0
	.set _ZN7rocprim17ROCPRIM_400000_NS6detail17trampoline_kernelINS0_14default_configENS1_35radix_sort_onesweep_config_selectorIaNS0_10empty_typeEEEZNS1_34radix_sort_onesweep_global_offsetsIS3_Lb0EPKaPS5_mNS0_19identity_decomposerEEE10hipError_tT1_T2_PT3_SF_jT4_jjP12ihipStream_tbEUlT_E_NS1_11comp_targetILNS1_3genE9ELNS1_11target_archE1100ELNS1_3gpuE3ELNS1_3repE0EEENS1_52radix_sort_onesweep_histogram_config_static_selectorELNS0_4arch9wavefront6targetE0EEEvSD_.has_recursion, 0
	.set _ZN7rocprim17ROCPRIM_400000_NS6detail17trampoline_kernelINS0_14default_configENS1_35radix_sort_onesweep_config_selectorIaNS0_10empty_typeEEEZNS1_34radix_sort_onesweep_global_offsetsIS3_Lb0EPKaPS5_mNS0_19identity_decomposerEEE10hipError_tT1_T2_PT3_SF_jT4_jjP12ihipStream_tbEUlT_E_NS1_11comp_targetILNS1_3genE9ELNS1_11target_archE1100ELNS1_3gpuE3ELNS1_3repE0EEENS1_52radix_sort_onesweep_histogram_config_static_selectorELNS0_4arch9wavefront6targetE0EEEvSD_.has_indirect_call, 0
	.section	.AMDGPU.csdata,"",@progbits
; Kernel info:
; codeLenInByte = 0
; TotalNumSgprs: 0
; NumVgprs: 0
; ScratchSize: 0
; MemoryBound: 0
; FloatMode: 240
; IeeeMode: 1
; LDSByteSize: 0 bytes/workgroup (compile time only)
; SGPRBlocks: 0
; VGPRBlocks: 0
; NumSGPRsForWavesPerEU: 1
; NumVGPRsForWavesPerEU: 1
; NamedBarCnt: 0
; Occupancy: 16
; WaveLimiterHint : 0
; COMPUTE_PGM_RSRC2:SCRATCH_EN: 0
; COMPUTE_PGM_RSRC2:USER_SGPR: 2
; COMPUTE_PGM_RSRC2:TRAP_HANDLER: 0
; COMPUTE_PGM_RSRC2:TGID_X_EN: 1
; COMPUTE_PGM_RSRC2:TGID_Y_EN: 0
; COMPUTE_PGM_RSRC2:TGID_Z_EN: 0
; COMPUTE_PGM_RSRC2:TIDIG_COMP_CNT: 0
	.section	.text._ZN7rocprim17ROCPRIM_400000_NS6detail17trampoline_kernelINS0_14default_configENS1_35radix_sort_onesweep_config_selectorIaNS0_10empty_typeEEEZNS1_34radix_sort_onesweep_global_offsetsIS3_Lb0EPKaPS5_mNS0_19identity_decomposerEEE10hipError_tT1_T2_PT3_SF_jT4_jjP12ihipStream_tbEUlT_E_NS1_11comp_targetILNS1_3genE8ELNS1_11target_archE1030ELNS1_3gpuE2ELNS1_3repE0EEENS1_52radix_sort_onesweep_histogram_config_static_selectorELNS0_4arch9wavefront6targetE0EEEvSD_,"axG",@progbits,_ZN7rocprim17ROCPRIM_400000_NS6detail17trampoline_kernelINS0_14default_configENS1_35radix_sort_onesweep_config_selectorIaNS0_10empty_typeEEEZNS1_34radix_sort_onesweep_global_offsetsIS3_Lb0EPKaPS5_mNS0_19identity_decomposerEEE10hipError_tT1_T2_PT3_SF_jT4_jjP12ihipStream_tbEUlT_E_NS1_11comp_targetILNS1_3genE8ELNS1_11target_archE1030ELNS1_3gpuE2ELNS1_3repE0EEENS1_52radix_sort_onesweep_histogram_config_static_selectorELNS0_4arch9wavefront6targetE0EEEvSD_,comdat
	.protected	_ZN7rocprim17ROCPRIM_400000_NS6detail17trampoline_kernelINS0_14default_configENS1_35radix_sort_onesweep_config_selectorIaNS0_10empty_typeEEEZNS1_34radix_sort_onesweep_global_offsetsIS3_Lb0EPKaPS5_mNS0_19identity_decomposerEEE10hipError_tT1_T2_PT3_SF_jT4_jjP12ihipStream_tbEUlT_E_NS1_11comp_targetILNS1_3genE8ELNS1_11target_archE1030ELNS1_3gpuE2ELNS1_3repE0EEENS1_52radix_sort_onesweep_histogram_config_static_selectorELNS0_4arch9wavefront6targetE0EEEvSD_ ; -- Begin function _ZN7rocprim17ROCPRIM_400000_NS6detail17trampoline_kernelINS0_14default_configENS1_35radix_sort_onesweep_config_selectorIaNS0_10empty_typeEEEZNS1_34radix_sort_onesweep_global_offsetsIS3_Lb0EPKaPS5_mNS0_19identity_decomposerEEE10hipError_tT1_T2_PT3_SF_jT4_jjP12ihipStream_tbEUlT_E_NS1_11comp_targetILNS1_3genE8ELNS1_11target_archE1030ELNS1_3gpuE2ELNS1_3repE0EEENS1_52radix_sort_onesweep_histogram_config_static_selectorELNS0_4arch9wavefront6targetE0EEEvSD_
	.globl	_ZN7rocprim17ROCPRIM_400000_NS6detail17trampoline_kernelINS0_14default_configENS1_35radix_sort_onesweep_config_selectorIaNS0_10empty_typeEEEZNS1_34radix_sort_onesweep_global_offsetsIS3_Lb0EPKaPS5_mNS0_19identity_decomposerEEE10hipError_tT1_T2_PT3_SF_jT4_jjP12ihipStream_tbEUlT_E_NS1_11comp_targetILNS1_3genE8ELNS1_11target_archE1030ELNS1_3gpuE2ELNS1_3repE0EEENS1_52radix_sort_onesweep_histogram_config_static_selectorELNS0_4arch9wavefront6targetE0EEEvSD_
	.p2align	8
	.type	_ZN7rocprim17ROCPRIM_400000_NS6detail17trampoline_kernelINS0_14default_configENS1_35radix_sort_onesweep_config_selectorIaNS0_10empty_typeEEEZNS1_34radix_sort_onesweep_global_offsetsIS3_Lb0EPKaPS5_mNS0_19identity_decomposerEEE10hipError_tT1_T2_PT3_SF_jT4_jjP12ihipStream_tbEUlT_E_NS1_11comp_targetILNS1_3genE8ELNS1_11target_archE1030ELNS1_3gpuE2ELNS1_3repE0EEENS1_52radix_sort_onesweep_histogram_config_static_selectorELNS0_4arch9wavefront6targetE0EEEvSD_,@function
_ZN7rocprim17ROCPRIM_400000_NS6detail17trampoline_kernelINS0_14default_configENS1_35radix_sort_onesweep_config_selectorIaNS0_10empty_typeEEEZNS1_34radix_sort_onesweep_global_offsetsIS3_Lb0EPKaPS5_mNS0_19identity_decomposerEEE10hipError_tT1_T2_PT3_SF_jT4_jjP12ihipStream_tbEUlT_E_NS1_11comp_targetILNS1_3genE8ELNS1_11target_archE1030ELNS1_3gpuE2ELNS1_3repE0EEENS1_52radix_sort_onesweep_histogram_config_static_selectorELNS0_4arch9wavefront6targetE0EEEvSD_: ; @_ZN7rocprim17ROCPRIM_400000_NS6detail17trampoline_kernelINS0_14default_configENS1_35radix_sort_onesweep_config_selectorIaNS0_10empty_typeEEEZNS1_34radix_sort_onesweep_global_offsetsIS3_Lb0EPKaPS5_mNS0_19identity_decomposerEEE10hipError_tT1_T2_PT3_SF_jT4_jjP12ihipStream_tbEUlT_E_NS1_11comp_targetILNS1_3genE8ELNS1_11target_archE1030ELNS1_3gpuE2ELNS1_3repE0EEENS1_52radix_sort_onesweep_histogram_config_static_selectorELNS0_4arch9wavefront6targetE0EEEvSD_
; %bb.0:
	.section	.rodata,"a",@progbits
	.p2align	6, 0x0
	.amdhsa_kernel _ZN7rocprim17ROCPRIM_400000_NS6detail17trampoline_kernelINS0_14default_configENS1_35radix_sort_onesweep_config_selectorIaNS0_10empty_typeEEEZNS1_34radix_sort_onesweep_global_offsetsIS3_Lb0EPKaPS5_mNS0_19identity_decomposerEEE10hipError_tT1_T2_PT3_SF_jT4_jjP12ihipStream_tbEUlT_E_NS1_11comp_targetILNS1_3genE8ELNS1_11target_archE1030ELNS1_3gpuE2ELNS1_3repE0EEENS1_52radix_sort_onesweep_histogram_config_static_selectorELNS0_4arch9wavefront6targetE0EEEvSD_
		.amdhsa_group_segment_fixed_size 0
		.amdhsa_private_segment_fixed_size 0
		.amdhsa_kernarg_size 48
		.amdhsa_user_sgpr_count 2
		.amdhsa_user_sgpr_dispatch_ptr 0
		.amdhsa_user_sgpr_queue_ptr 0
		.amdhsa_user_sgpr_kernarg_segment_ptr 1
		.amdhsa_user_sgpr_dispatch_id 0
		.amdhsa_user_sgpr_kernarg_preload_length 0
		.amdhsa_user_sgpr_kernarg_preload_offset 0
		.amdhsa_user_sgpr_private_segment_size 0
		.amdhsa_wavefront_size32 1
		.amdhsa_uses_dynamic_stack 0
		.amdhsa_enable_private_segment 0
		.amdhsa_system_sgpr_workgroup_id_x 1
		.amdhsa_system_sgpr_workgroup_id_y 0
		.amdhsa_system_sgpr_workgroup_id_z 0
		.amdhsa_system_sgpr_workgroup_info 0
		.amdhsa_system_vgpr_workitem_id 0
		.amdhsa_next_free_vgpr 1
		.amdhsa_next_free_sgpr 1
		.amdhsa_named_barrier_count 0
		.amdhsa_reserve_vcc 0
		.amdhsa_float_round_mode_32 0
		.amdhsa_float_round_mode_16_64 0
		.amdhsa_float_denorm_mode_32 3
		.amdhsa_float_denorm_mode_16_64 3
		.amdhsa_fp16_overflow 0
		.amdhsa_memory_ordered 1
		.amdhsa_forward_progress 1
		.amdhsa_inst_pref_size 0
		.amdhsa_round_robin_scheduling 0
		.amdhsa_exception_fp_ieee_invalid_op 0
		.amdhsa_exception_fp_denorm_src 0
		.amdhsa_exception_fp_ieee_div_zero 0
		.amdhsa_exception_fp_ieee_overflow 0
		.amdhsa_exception_fp_ieee_underflow 0
		.amdhsa_exception_fp_ieee_inexact 0
		.amdhsa_exception_int_div_zero 0
	.end_amdhsa_kernel
	.section	.text._ZN7rocprim17ROCPRIM_400000_NS6detail17trampoline_kernelINS0_14default_configENS1_35radix_sort_onesweep_config_selectorIaNS0_10empty_typeEEEZNS1_34radix_sort_onesweep_global_offsetsIS3_Lb0EPKaPS5_mNS0_19identity_decomposerEEE10hipError_tT1_T2_PT3_SF_jT4_jjP12ihipStream_tbEUlT_E_NS1_11comp_targetILNS1_3genE8ELNS1_11target_archE1030ELNS1_3gpuE2ELNS1_3repE0EEENS1_52radix_sort_onesweep_histogram_config_static_selectorELNS0_4arch9wavefront6targetE0EEEvSD_,"axG",@progbits,_ZN7rocprim17ROCPRIM_400000_NS6detail17trampoline_kernelINS0_14default_configENS1_35radix_sort_onesweep_config_selectorIaNS0_10empty_typeEEEZNS1_34radix_sort_onesweep_global_offsetsIS3_Lb0EPKaPS5_mNS0_19identity_decomposerEEE10hipError_tT1_T2_PT3_SF_jT4_jjP12ihipStream_tbEUlT_E_NS1_11comp_targetILNS1_3genE8ELNS1_11target_archE1030ELNS1_3gpuE2ELNS1_3repE0EEENS1_52radix_sort_onesweep_histogram_config_static_selectorELNS0_4arch9wavefront6targetE0EEEvSD_,comdat
.Lfunc_end456:
	.size	_ZN7rocprim17ROCPRIM_400000_NS6detail17trampoline_kernelINS0_14default_configENS1_35radix_sort_onesweep_config_selectorIaNS0_10empty_typeEEEZNS1_34radix_sort_onesweep_global_offsetsIS3_Lb0EPKaPS5_mNS0_19identity_decomposerEEE10hipError_tT1_T2_PT3_SF_jT4_jjP12ihipStream_tbEUlT_E_NS1_11comp_targetILNS1_3genE8ELNS1_11target_archE1030ELNS1_3gpuE2ELNS1_3repE0EEENS1_52radix_sort_onesweep_histogram_config_static_selectorELNS0_4arch9wavefront6targetE0EEEvSD_, .Lfunc_end456-_ZN7rocprim17ROCPRIM_400000_NS6detail17trampoline_kernelINS0_14default_configENS1_35radix_sort_onesweep_config_selectorIaNS0_10empty_typeEEEZNS1_34radix_sort_onesweep_global_offsetsIS3_Lb0EPKaPS5_mNS0_19identity_decomposerEEE10hipError_tT1_T2_PT3_SF_jT4_jjP12ihipStream_tbEUlT_E_NS1_11comp_targetILNS1_3genE8ELNS1_11target_archE1030ELNS1_3gpuE2ELNS1_3repE0EEENS1_52radix_sort_onesweep_histogram_config_static_selectorELNS0_4arch9wavefront6targetE0EEEvSD_
                                        ; -- End function
	.set _ZN7rocprim17ROCPRIM_400000_NS6detail17trampoline_kernelINS0_14default_configENS1_35radix_sort_onesweep_config_selectorIaNS0_10empty_typeEEEZNS1_34radix_sort_onesweep_global_offsetsIS3_Lb0EPKaPS5_mNS0_19identity_decomposerEEE10hipError_tT1_T2_PT3_SF_jT4_jjP12ihipStream_tbEUlT_E_NS1_11comp_targetILNS1_3genE8ELNS1_11target_archE1030ELNS1_3gpuE2ELNS1_3repE0EEENS1_52radix_sort_onesweep_histogram_config_static_selectorELNS0_4arch9wavefront6targetE0EEEvSD_.num_vgpr, 0
	.set _ZN7rocprim17ROCPRIM_400000_NS6detail17trampoline_kernelINS0_14default_configENS1_35radix_sort_onesweep_config_selectorIaNS0_10empty_typeEEEZNS1_34radix_sort_onesweep_global_offsetsIS3_Lb0EPKaPS5_mNS0_19identity_decomposerEEE10hipError_tT1_T2_PT3_SF_jT4_jjP12ihipStream_tbEUlT_E_NS1_11comp_targetILNS1_3genE8ELNS1_11target_archE1030ELNS1_3gpuE2ELNS1_3repE0EEENS1_52radix_sort_onesweep_histogram_config_static_selectorELNS0_4arch9wavefront6targetE0EEEvSD_.num_agpr, 0
	.set _ZN7rocprim17ROCPRIM_400000_NS6detail17trampoline_kernelINS0_14default_configENS1_35radix_sort_onesweep_config_selectorIaNS0_10empty_typeEEEZNS1_34radix_sort_onesweep_global_offsetsIS3_Lb0EPKaPS5_mNS0_19identity_decomposerEEE10hipError_tT1_T2_PT3_SF_jT4_jjP12ihipStream_tbEUlT_E_NS1_11comp_targetILNS1_3genE8ELNS1_11target_archE1030ELNS1_3gpuE2ELNS1_3repE0EEENS1_52radix_sort_onesweep_histogram_config_static_selectorELNS0_4arch9wavefront6targetE0EEEvSD_.numbered_sgpr, 0
	.set _ZN7rocprim17ROCPRIM_400000_NS6detail17trampoline_kernelINS0_14default_configENS1_35radix_sort_onesweep_config_selectorIaNS0_10empty_typeEEEZNS1_34radix_sort_onesweep_global_offsetsIS3_Lb0EPKaPS5_mNS0_19identity_decomposerEEE10hipError_tT1_T2_PT3_SF_jT4_jjP12ihipStream_tbEUlT_E_NS1_11comp_targetILNS1_3genE8ELNS1_11target_archE1030ELNS1_3gpuE2ELNS1_3repE0EEENS1_52radix_sort_onesweep_histogram_config_static_selectorELNS0_4arch9wavefront6targetE0EEEvSD_.num_named_barrier, 0
	.set _ZN7rocprim17ROCPRIM_400000_NS6detail17trampoline_kernelINS0_14default_configENS1_35radix_sort_onesweep_config_selectorIaNS0_10empty_typeEEEZNS1_34radix_sort_onesweep_global_offsetsIS3_Lb0EPKaPS5_mNS0_19identity_decomposerEEE10hipError_tT1_T2_PT3_SF_jT4_jjP12ihipStream_tbEUlT_E_NS1_11comp_targetILNS1_3genE8ELNS1_11target_archE1030ELNS1_3gpuE2ELNS1_3repE0EEENS1_52radix_sort_onesweep_histogram_config_static_selectorELNS0_4arch9wavefront6targetE0EEEvSD_.private_seg_size, 0
	.set _ZN7rocprim17ROCPRIM_400000_NS6detail17trampoline_kernelINS0_14default_configENS1_35radix_sort_onesweep_config_selectorIaNS0_10empty_typeEEEZNS1_34radix_sort_onesweep_global_offsetsIS3_Lb0EPKaPS5_mNS0_19identity_decomposerEEE10hipError_tT1_T2_PT3_SF_jT4_jjP12ihipStream_tbEUlT_E_NS1_11comp_targetILNS1_3genE8ELNS1_11target_archE1030ELNS1_3gpuE2ELNS1_3repE0EEENS1_52radix_sort_onesweep_histogram_config_static_selectorELNS0_4arch9wavefront6targetE0EEEvSD_.uses_vcc, 0
	.set _ZN7rocprim17ROCPRIM_400000_NS6detail17trampoline_kernelINS0_14default_configENS1_35radix_sort_onesweep_config_selectorIaNS0_10empty_typeEEEZNS1_34radix_sort_onesweep_global_offsetsIS3_Lb0EPKaPS5_mNS0_19identity_decomposerEEE10hipError_tT1_T2_PT3_SF_jT4_jjP12ihipStream_tbEUlT_E_NS1_11comp_targetILNS1_3genE8ELNS1_11target_archE1030ELNS1_3gpuE2ELNS1_3repE0EEENS1_52radix_sort_onesweep_histogram_config_static_selectorELNS0_4arch9wavefront6targetE0EEEvSD_.uses_flat_scratch, 0
	.set _ZN7rocprim17ROCPRIM_400000_NS6detail17trampoline_kernelINS0_14default_configENS1_35radix_sort_onesweep_config_selectorIaNS0_10empty_typeEEEZNS1_34radix_sort_onesweep_global_offsetsIS3_Lb0EPKaPS5_mNS0_19identity_decomposerEEE10hipError_tT1_T2_PT3_SF_jT4_jjP12ihipStream_tbEUlT_E_NS1_11comp_targetILNS1_3genE8ELNS1_11target_archE1030ELNS1_3gpuE2ELNS1_3repE0EEENS1_52radix_sort_onesweep_histogram_config_static_selectorELNS0_4arch9wavefront6targetE0EEEvSD_.has_dyn_sized_stack, 0
	.set _ZN7rocprim17ROCPRIM_400000_NS6detail17trampoline_kernelINS0_14default_configENS1_35radix_sort_onesweep_config_selectorIaNS0_10empty_typeEEEZNS1_34radix_sort_onesweep_global_offsetsIS3_Lb0EPKaPS5_mNS0_19identity_decomposerEEE10hipError_tT1_T2_PT3_SF_jT4_jjP12ihipStream_tbEUlT_E_NS1_11comp_targetILNS1_3genE8ELNS1_11target_archE1030ELNS1_3gpuE2ELNS1_3repE0EEENS1_52radix_sort_onesweep_histogram_config_static_selectorELNS0_4arch9wavefront6targetE0EEEvSD_.has_recursion, 0
	.set _ZN7rocprim17ROCPRIM_400000_NS6detail17trampoline_kernelINS0_14default_configENS1_35radix_sort_onesweep_config_selectorIaNS0_10empty_typeEEEZNS1_34radix_sort_onesweep_global_offsetsIS3_Lb0EPKaPS5_mNS0_19identity_decomposerEEE10hipError_tT1_T2_PT3_SF_jT4_jjP12ihipStream_tbEUlT_E_NS1_11comp_targetILNS1_3genE8ELNS1_11target_archE1030ELNS1_3gpuE2ELNS1_3repE0EEENS1_52radix_sort_onesweep_histogram_config_static_selectorELNS0_4arch9wavefront6targetE0EEEvSD_.has_indirect_call, 0
	.section	.AMDGPU.csdata,"",@progbits
; Kernel info:
; codeLenInByte = 0
; TotalNumSgprs: 0
; NumVgprs: 0
; ScratchSize: 0
; MemoryBound: 0
; FloatMode: 240
; IeeeMode: 1
; LDSByteSize: 0 bytes/workgroup (compile time only)
; SGPRBlocks: 0
; VGPRBlocks: 0
; NumSGPRsForWavesPerEU: 1
; NumVGPRsForWavesPerEU: 1
; NamedBarCnt: 0
; Occupancy: 16
; WaveLimiterHint : 0
; COMPUTE_PGM_RSRC2:SCRATCH_EN: 0
; COMPUTE_PGM_RSRC2:USER_SGPR: 2
; COMPUTE_PGM_RSRC2:TRAP_HANDLER: 0
; COMPUTE_PGM_RSRC2:TGID_X_EN: 1
; COMPUTE_PGM_RSRC2:TGID_Y_EN: 0
; COMPUTE_PGM_RSRC2:TGID_Z_EN: 0
; COMPUTE_PGM_RSRC2:TIDIG_COMP_CNT: 0
	.section	.text._ZN7rocprim17ROCPRIM_400000_NS6detail17trampoline_kernelINS0_14default_configENS1_35radix_sort_onesweep_config_selectorIaNS0_10empty_typeEEEZNS1_34radix_sort_onesweep_global_offsetsIS3_Lb0EPKaPS5_mNS0_19identity_decomposerEEE10hipError_tT1_T2_PT3_SF_jT4_jjP12ihipStream_tbEUlT_E0_NS1_11comp_targetILNS1_3genE0ELNS1_11target_archE4294967295ELNS1_3gpuE0ELNS1_3repE0EEENS1_52radix_sort_onesweep_histogram_config_static_selectorELNS0_4arch9wavefront6targetE0EEEvSD_,"axG",@progbits,_ZN7rocprim17ROCPRIM_400000_NS6detail17trampoline_kernelINS0_14default_configENS1_35radix_sort_onesweep_config_selectorIaNS0_10empty_typeEEEZNS1_34radix_sort_onesweep_global_offsetsIS3_Lb0EPKaPS5_mNS0_19identity_decomposerEEE10hipError_tT1_T2_PT3_SF_jT4_jjP12ihipStream_tbEUlT_E0_NS1_11comp_targetILNS1_3genE0ELNS1_11target_archE4294967295ELNS1_3gpuE0ELNS1_3repE0EEENS1_52radix_sort_onesweep_histogram_config_static_selectorELNS0_4arch9wavefront6targetE0EEEvSD_,comdat
	.protected	_ZN7rocprim17ROCPRIM_400000_NS6detail17trampoline_kernelINS0_14default_configENS1_35radix_sort_onesweep_config_selectorIaNS0_10empty_typeEEEZNS1_34radix_sort_onesweep_global_offsetsIS3_Lb0EPKaPS5_mNS0_19identity_decomposerEEE10hipError_tT1_T2_PT3_SF_jT4_jjP12ihipStream_tbEUlT_E0_NS1_11comp_targetILNS1_3genE0ELNS1_11target_archE4294967295ELNS1_3gpuE0ELNS1_3repE0EEENS1_52radix_sort_onesweep_histogram_config_static_selectorELNS0_4arch9wavefront6targetE0EEEvSD_ ; -- Begin function _ZN7rocprim17ROCPRIM_400000_NS6detail17trampoline_kernelINS0_14default_configENS1_35radix_sort_onesweep_config_selectorIaNS0_10empty_typeEEEZNS1_34radix_sort_onesweep_global_offsetsIS3_Lb0EPKaPS5_mNS0_19identity_decomposerEEE10hipError_tT1_T2_PT3_SF_jT4_jjP12ihipStream_tbEUlT_E0_NS1_11comp_targetILNS1_3genE0ELNS1_11target_archE4294967295ELNS1_3gpuE0ELNS1_3repE0EEENS1_52radix_sort_onesweep_histogram_config_static_selectorELNS0_4arch9wavefront6targetE0EEEvSD_
	.globl	_ZN7rocprim17ROCPRIM_400000_NS6detail17trampoline_kernelINS0_14default_configENS1_35radix_sort_onesweep_config_selectorIaNS0_10empty_typeEEEZNS1_34radix_sort_onesweep_global_offsetsIS3_Lb0EPKaPS5_mNS0_19identity_decomposerEEE10hipError_tT1_T2_PT3_SF_jT4_jjP12ihipStream_tbEUlT_E0_NS1_11comp_targetILNS1_3genE0ELNS1_11target_archE4294967295ELNS1_3gpuE0ELNS1_3repE0EEENS1_52radix_sort_onesweep_histogram_config_static_selectorELNS0_4arch9wavefront6targetE0EEEvSD_
	.p2align	8
	.type	_ZN7rocprim17ROCPRIM_400000_NS6detail17trampoline_kernelINS0_14default_configENS1_35radix_sort_onesweep_config_selectorIaNS0_10empty_typeEEEZNS1_34radix_sort_onesweep_global_offsetsIS3_Lb0EPKaPS5_mNS0_19identity_decomposerEEE10hipError_tT1_T2_PT3_SF_jT4_jjP12ihipStream_tbEUlT_E0_NS1_11comp_targetILNS1_3genE0ELNS1_11target_archE4294967295ELNS1_3gpuE0ELNS1_3repE0EEENS1_52radix_sort_onesweep_histogram_config_static_selectorELNS0_4arch9wavefront6targetE0EEEvSD_,@function
_ZN7rocprim17ROCPRIM_400000_NS6detail17trampoline_kernelINS0_14default_configENS1_35radix_sort_onesweep_config_selectorIaNS0_10empty_typeEEEZNS1_34radix_sort_onesweep_global_offsetsIS3_Lb0EPKaPS5_mNS0_19identity_decomposerEEE10hipError_tT1_T2_PT3_SF_jT4_jjP12ihipStream_tbEUlT_E0_NS1_11comp_targetILNS1_3genE0ELNS1_11target_archE4294967295ELNS1_3gpuE0ELNS1_3repE0EEENS1_52radix_sort_onesweep_histogram_config_static_selectorELNS0_4arch9wavefront6targetE0EEEvSD_: ; @_ZN7rocprim17ROCPRIM_400000_NS6detail17trampoline_kernelINS0_14default_configENS1_35radix_sort_onesweep_config_selectorIaNS0_10empty_typeEEEZNS1_34radix_sort_onesweep_global_offsetsIS3_Lb0EPKaPS5_mNS0_19identity_decomposerEEE10hipError_tT1_T2_PT3_SF_jT4_jjP12ihipStream_tbEUlT_E0_NS1_11comp_targetILNS1_3genE0ELNS1_11target_archE4294967295ELNS1_3gpuE0ELNS1_3repE0EEENS1_52radix_sort_onesweep_histogram_config_static_selectorELNS0_4arch9wavefront6targetE0EEEvSD_
; %bb.0:
	s_load_b64 s[0:1], s[0:1], 0x0
	s_bfe_u32 s2, ttmp6, 0x4000c
	s_and_b32 s3, ttmp6, 15
	s_add_co_i32 s2, s2, 1
	s_getreg_b32 s4, hwreg(HW_REG_IB_STS2, 6, 4)
	s_mul_i32 s2, ttmp9, s2
	v_cmp_gt_u32_e32 vcc_lo, 16, v0
	s_add_co_i32 s3, s3, s2
	s_cmp_eq_u32 s4, 0
                                        ; implicit-def: $vgpr2_vgpr3
	s_cselect_b32 s2, ttmp9, s3
	s_mov_b32 s3, 0
	s_lshl_b32 s2, s2, 4
	s_delay_alu instid0(SALU_CYCLE_1)
	s_lshl_b64 s[2:3], s[2:3], 3
	s_wait_kmcnt 0x0
	s_add_nc_u64 s[8:9], s[0:1], s[2:3]
	s_and_saveexec_b32 s0, vcc_lo
	s_cbranch_execz .LBB457_2
; %bb.1:
	global_load_b64 v[2:3], v0, s[8:9] scale_offset
.LBB457_2:
	s_wait_xcnt 0x0
	s_or_b32 exec_lo, exec_lo, s0
	v_mbcnt_lo_u32_b32 v1, -1, 0
	s_wait_loadcnt 0x0
	v_mov_b32_dpp v6, v2 row_shr:1 row_mask:0xf bank_mask:0xf
	v_mov_b32_dpp v9, v3 row_shr:1 row_mask:0xf bank_mask:0xf
	s_delay_alu instid0(VALU_DEP_3) | instskip(NEXT) | instid1(VALU_DEP_1)
	v_dual_mov_b32 v4, v2 :: v_dual_bitop2_b32 v10, 15, v1 bitop3:0x40
	v_cmp_ne_u32_e64 s0, 0, v10
	s_and_saveexec_b32 s1, s0
; %bb.3:
	v_mov_b32_e32 v8, 0
	s_delay_alu instid0(VALU_DEP_1) | instskip(NEXT) | instid1(VALU_DEP_1)
	v_mov_b32_e32 v7, v8
	v_add_nc_u64_e32 v[4:5], v[2:3], v[6:7]
	s_delay_alu instid0(VALU_DEP_1)
	v_add_nc_u64_e32 v[2:3], v[8:9], v[4:5]
; %bb.4:
	s_or_b32 exec_lo, exec_lo, s1
	v_mov_b32_dpp v6, v4 row_shr:2 row_mask:0xf bank_mask:0xf
	s_delay_alu instid0(VALU_DEP_2)
	v_mov_b32_dpp v9, v3 row_shr:2 row_mask:0xf bank_mask:0xf
	v_cmp_lt_u32_e64 s1, 1, v10
	s_and_saveexec_b32 s2, s1
; %bb.5:
	v_mov_b32_e32 v8, 0
	s_delay_alu instid0(VALU_DEP_1) | instskip(NEXT) | instid1(VALU_DEP_1)
	v_mov_b32_e32 v7, v8
	v_add_nc_u64_e32 v[4:5], v[2:3], v[6:7]
	s_delay_alu instid0(VALU_DEP_1)
	v_add_nc_u64_e32 v[2:3], v[8:9], v[4:5]
; %bb.6:
	s_or_b32 exec_lo, exec_lo, s2
	v_mov_b32_dpp v6, v4 row_shr:4 row_mask:0xf bank_mask:0xf
	s_delay_alu instid0(VALU_DEP_2)
	v_mov_b32_dpp v9, v3 row_shr:4 row_mask:0xf bank_mask:0xf
	v_cmp_lt_u32_e64 s2, 3, v10
	s_and_saveexec_b32 s3, s2
; %bb.7:
	v_mov_b32_e32 v8, 0
	s_delay_alu instid0(VALU_DEP_1) | instskip(NEXT) | instid1(VALU_DEP_1)
	v_mov_b32_e32 v7, v8
	v_add_nc_u64_e32 v[4:5], v[2:3], v[6:7]
	s_delay_alu instid0(VALU_DEP_1)
	v_add_nc_u64_e32 v[2:3], v[8:9], v[4:5]
; %bb.8:
	s_or_b32 exec_lo, exec_lo, s3
	v_mov_b32_dpp v6, v4 row_shr:8 row_mask:0xf bank_mask:0xf
	s_delay_alu instid0(VALU_DEP_2)
	v_mov_b32_dpp v9, v3 row_shr:8 row_mask:0xf bank_mask:0xf
	v_cmp_lt_u32_e64 s3, 7, v10
	s_and_saveexec_b32 s4, s3
; %bb.9:
	v_mov_b32_e32 v8, 0
	s_delay_alu instid0(VALU_DEP_1) | instskip(NEXT) | instid1(VALU_DEP_1)
	v_mov_b32_e32 v7, v8
	v_add_nc_u64_e32 v[4:5], v[2:3], v[6:7]
	s_delay_alu instid0(VALU_DEP_1)
	v_add_nc_u64_e32 v[2:3], v[8:9], v[4:5]
; %bb.10:
	s_or_b32 exec_lo, exec_lo, s4
	ds_swizzle_b32 v4, v4 offset:swizzle(BROADCAST,32,15)
	ds_swizzle_b32 v7, v3 offset:swizzle(BROADCAST,32,15)
	v_and_b32_e32 v5, 16, v1
	s_delay_alu instid0(VALU_DEP_1)
	v_cmp_ne_u32_e64 s4, 0, v5
	s_and_saveexec_b32 s5, s4
	s_cbranch_execz .LBB457_12
; %bb.11:
	v_mov_b32_e32 v6, 0
	s_delay_alu instid0(VALU_DEP_1) | instskip(SKIP_1) | instid1(VALU_DEP_1)
	v_mov_b32_e32 v5, v6
	s_wait_dscnt 0x1
	v_add_nc_u64_e32 v[2:3], v[2:3], v[4:5]
	s_wait_dscnt 0x0
	s_delay_alu instid0(VALU_DEP_1)
	v_add_nc_u64_e32 v[2:3], v[2:3], v[6:7]
.LBB457_12:
	s_or_b32 exec_lo, exec_lo, s5
	s_wait_dscnt 0x1
	v_dual_lshrrev_b32 v12, 5, v0 :: v_dual_bitop2_b32 v4, 31, v0 bitop3:0x40
	s_mov_b32 s6, exec_lo
	s_delay_alu instid0(VALU_DEP_1)
	v_cmpx_eq_u32_e32 31, v4
; %bb.13:
	s_delay_alu instid0(VALU_DEP_2)
	v_lshlrev_b32_e32 v4, 3, v12
	ds_store_b64 v4, v[2:3]
; %bb.14:
	s_or_b32 exec_lo, exec_lo, s6
	v_cmp_lt_u32_e64 s5, 31, v0
	s_mov_b32 s7, exec_lo
	s_wait_dscnt 0x0
	s_barrier_signal -1
	s_barrier_wait -1
	v_cmpx_gt_u32_e32 32, v0
	s_cbranch_execz .LBB457_26
; %bb.15:
	v_lshlrev_b32_e32 v13, 3, v0
	ds_load_b64 v[4:5], v13
	s_wait_dscnt 0x0
	v_mov_b32_dpp v8, v4 row_shr:1 row_mask:0xf bank_mask:0xf
	v_mov_b32_dpp v11, v5 row_shr:1 row_mask:0xf bank_mask:0xf
	v_mov_b32_e32 v6, v4
	s_and_saveexec_b32 s6, s0
; %bb.16:
	v_mov_b32_e32 v10, 0
	s_delay_alu instid0(VALU_DEP_1) | instskip(NEXT) | instid1(VALU_DEP_1)
	v_mov_b32_e32 v9, v10
	v_add_nc_u64_e32 v[6:7], v[4:5], v[8:9]
	s_delay_alu instid0(VALU_DEP_1)
	v_add_nc_u64_e32 v[4:5], v[10:11], v[6:7]
; %bb.17:
	s_or_b32 exec_lo, exec_lo, s6
	v_mov_b32_dpp v8, v6 row_shr:2 row_mask:0xf bank_mask:0xf
	s_delay_alu instid0(VALU_DEP_2)
	v_mov_b32_dpp v11, v5 row_shr:2 row_mask:0xf bank_mask:0xf
	s_and_saveexec_b32 s0, s1
; %bb.18:
	v_mov_b32_e32 v10, 0
	s_delay_alu instid0(VALU_DEP_1) | instskip(NEXT) | instid1(VALU_DEP_1)
	v_mov_b32_e32 v9, v10
	v_add_nc_u64_e32 v[6:7], v[4:5], v[8:9]
	s_delay_alu instid0(VALU_DEP_1)
	v_add_nc_u64_e32 v[4:5], v[10:11], v[6:7]
; %bb.19:
	s_or_b32 exec_lo, exec_lo, s0
	v_mov_b32_dpp v8, v6 row_shr:4 row_mask:0xf bank_mask:0xf
	s_delay_alu instid0(VALU_DEP_2)
	v_mov_b32_dpp v11, v5 row_shr:4 row_mask:0xf bank_mask:0xf
	;; [unrolled: 13-line block ×3, first 2 shown]
	s_and_saveexec_b32 s0, s3
; %bb.22:
	v_mov_b32_e32 v10, 0
	s_delay_alu instid0(VALU_DEP_1) | instskip(NEXT) | instid1(VALU_DEP_1)
	v_mov_b32_e32 v9, v10
	v_add_nc_u64_e32 v[6:7], v[4:5], v[8:9]
	s_delay_alu instid0(VALU_DEP_1)
	v_add_nc_u64_e32 v[4:5], v[10:11], v[6:7]
; %bb.23:
	s_or_b32 exec_lo, exec_lo, s0
	ds_swizzle_b32 v6, v6 offset:swizzle(BROADCAST,32,15)
	ds_swizzle_b32 v9, v5 offset:swizzle(BROADCAST,32,15)
	s_and_saveexec_b32 s0, s4
	s_cbranch_execz .LBB457_25
; %bb.24:
	v_mov_b32_e32 v8, 0
	s_delay_alu instid0(VALU_DEP_1) | instskip(SKIP_1) | instid1(VALU_DEP_1)
	v_mov_b32_e32 v7, v8
	s_wait_dscnt 0x1
	v_add_nc_u64_e32 v[4:5], v[4:5], v[6:7]
	s_wait_dscnt 0x0
	s_delay_alu instid0(VALU_DEP_1)
	v_add_nc_u64_e32 v[4:5], v[4:5], v[8:9]
.LBB457_25:
	s_or_b32 exec_lo, exec_lo, s0
	ds_store_b64 v13, v[4:5]
.LBB457_26:
	s_or_b32 exec_lo, exec_lo, s7
	v_mov_b64_e32 v[4:5], 0
	s_wait_dscnt 0x0
	s_barrier_signal -1
	s_barrier_wait -1
	s_and_saveexec_b32 s0, s5
; %bb.27:
	v_lshl_add_u32 v4, v12, 3, -8
	ds_load_b64 v[4:5], v4
; %bb.28:
	s_or_b32 exec_lo, exec_lo, s0
	v_add_nc_u32_e32 v6, -1, v1
	s_wait_dscnt 0x0
	v_add_nc_u64_e32 v[2:3], v[4:5], v[2:3]
	s_delay_alu instid0(VALU_DEP_2) | instskip(NEXT) | instid1(VALU_DEP_1)
	v_cmp_gt_i32_e64 s0, 0, v6
	v_cndmask_b32_e64 v6, v6, v1, s0
	s_delay_alu instid0(VALU_DEP_1)
	v_lshlrev_b32_e32 v6, 2, v6
	ds_bpermute_b32 v2, v6, v2
	ds_bpermute_b32 v3, v6, v3
	s_and_saveexec_b32 s0, vcc_lo
	s_cbranch_execz .LBB457_30
; %bb.29:
	v_cmp_eq_u32_e32 vcc_lo, 0, v1
	s_wait_dscnt 0x0
	v_dual_cndmask_b32 v3, v3, v5 :: v_dual_cndmask_b32 v2, v2, v4
	global_store_b64 v0, v[2:3], s[8:9] scale_offset
.LBB457_30:
	s_endpgm
	.section	.rodata,"a",@progbits
	.p2align	6, 0x0
	.amdhsa_kernel _ZN7rocprim17ROCPRIM_400000_NS6detail17trampoline_kernelINS0_14default_configENS1_35radix_sort_onesweep_config_selectorIaNS0_10empty_typeEEEZNS1_34radix_sort_onesweep_global_offsetsIS3_Lb0EPKaPS5_mNS0_19identity_decomposerEEE10hipError_tT1_T2_PT3_SF_jT4_jjP12ihipStream_tbEUlT_E0_NS1_11comp_targetILNS1_3genE0ELNS1_11target_archE4294967295ELNS1_3gpuE0ELNS1_3repE0EEENS1_52radix_sort_onesweep_histogram_config_static_selectorELNS0_4arch9wavefront6targetE0EEEvSD_
		.amdhsa_group_segment_fixed_size 256
		.amdhsa_private_segment_fixed_size 0
		.amdhsa_kernarg_size 8
		.amdhsa_user_sgpr_count 2
		.amdhsa_user_sgpr_dispatch_ptr 0
		.amdhsa_user_sgpr_queue_ptr 0
		.amdhsa_user_sgpr_kernarg_segment_ptr 1
		.amdhsa_user_sgpr_dispatch_id 0
		.amdhsa_user_sgpr_kernarg_preload_length 0
		.amdhsa_user_sgpr_kernarg_preload_offset 0
		.amdhsa_user_sgpr_private_segment_size 0
		.amdhsa_wavefront_size32 1
		.amdhsa_uses_dynamic_stack 0
		.amdhsa_enable_private_segment 0
		.amdhsa_system_sgpr_workgroup_id_x 1
		.amdhsa_system_sgpr_workgroup_id_y 0
		.amdhsa_system_sgpr_workgroup_id_z 0
		.amdhsa_system_sgpr_workgroup_info 0
		.amdhsa_system_vgpr_workitem_id 0
		.amdhsa_next_free_vgpr 14
		.amdhsa_next_free_sgpr 10
		.amdhsa_named_barrier_count 0
		.amdhsa_reserve_vcc 1
		.amdhsa_float_round_mode_32 0
		.amdhsa_float_round_mode_16_64 0
		.amdhsa_float_denorm_mode_32 3
		.amdhsa_float_denorm_mode_16_64 3
		.amdhsa_fp16_overflow 0
		.amdhsa_memory_ordered 1
		.amdhsa_forward_progress 1
		.amdhsa_inst_pref_size 8
		.amdhsa_round_robin_scheduling 0
		.amdhsa_exception_fp_ieee_invalid_op 0
		.amdhsa_exception_fp_denorm_src 0
		.amdhsa_exception_fp_ieee_div_zero 0
		.amdhsa_exception_fp_ieee_overflow 0
		.amdhsa_exception_fp_ieee_underflow 0
		.amdhsa_exception_fp_ieee_inexact 0
		.amdhsa_exception_int_div_zero 0
	.end_amdhsa_kernel
	.section	.text._ZN7rocprim17ROCPRIM_400000_NS6detail17trampoline_kernelINS0_14default_configENS1_35radix_sort_onesweep_config_selectorIaNS0_10empty_typeEEEZNS1_34radix_sort_onesweep_global_offsetsIS3_Lb0EPKaPS5_mNS0_19identity_decomposerEEE10hipError_tT1_T2_PT3_SF_jT4_jjP12ihipStream_tbEUlT_E0_NS1_11comp_targetILNS1_3genE0ELNS1_11target_archE4294967295ELNS1_3gpuE0ELNS1_3repE0EEENS1_52radix_sort_onesweep_histogram_config_static_selectorELNS0_4arch9wavefront6targetE0EEEvSD_,"axG",@progbits,_ZN7rocprim17ROCPRIM_400000_NS6detail17trampoline_kernelINS0_14default_configENS1_35radix_sort_onesweep_config_selectorIaNS0_10empty_typeEEEZNS1_34radix_sort_onesweep_global_offsetsIS3_Lb0EPKaPS5_mNS0_19identity_decomposerEEE10hipError_tT1_T2_PT3_SF_jT4_jjP12ihipStream_tbEUlT_E0_NS1_11comp_targetILNS1_3genE0ELNS1_11target_archE4294967295ELNS1_3gpuE0ELNS1_3repE0EEENS1_52radix_sort_onesweep_histogram_config_static_selectorELNS0_4arch9wavefront6targetE0EEEvSD_,comdat
.Lfunc_end457:
	.size	_ZN7rocprim17ROCPRIM_400000_NS6detail17trampoline_kernelINS0_14default_configENS1_35radix_sort_onesweep_config_selectorIaNS0_10empty_typeEEEZNS1_34radix_sort_onesweep_global_offsetsIS3_Lb0EPKaPS5_mNS0_19identity_decomposerEEE10hipError_tT1_T2_PT3_SF_jT4_jjP12ihipStream_tbEUlT_E0_NS1_11comp_targetILNS1_3genE0ELNS1_11target_archE4294967295ELNS1_3gpuE0ELNS1_3repE0EEENS1_52radix_sort_onesweep_histogram_config_static_selectorELNS0_4arch9wavefront6targetE0EEEvSD_, .Lfunc_end457-_ZN7rocprim17ROCPRIM_400000_NS6detail17trampoline_kernelINS0_14default_configENS1_35radix_sort_onesweep_config_selectorIaNS0_10empty_typeEEEZNS1_34radix_sort_onesweep_global_offsetsIS3_Lb0EPKaPS5_mNS0_19identity_decomposerEEE10hipError_tT1_T2_PT3_SF_jT4_jjP12ihipStream_tbEUlT_E0_NS1_11comp_targetILNS1_3genE0ELNS1_11target_archE4294967295ELNS1_3gpuE0ELNS1_3repE0EEENS1_52radix_sort_onesweep_histogram_config_static_selectorELNS0_4arch9wavefront6targetE0EEEvSD_
                                        ; -- End function
	.set _ZN7rocprim17ROCPRIM_400000_NS6detail17trampoline_kernelINS0_14default_configENS1_35radix_sort_onesweep_config_selectorIaNS0_10empty_typeEEEZNS1_34radix_sort_onesweep_global_offsetsIS3_Lb0EPKaPS5_mNS0_19identity_decomposerEEE10hipError_tT1_T2_PT3_SF_jT4_jjP12ihipStream_tbEUlT_E0_NS1_11comp_targetILNS1_3genE0ELNS1_11target_archE4294967295ELNS1_3gpuE0ELNS1_3repE0EEENS1_52radix_sort_onesweep_histogram_config_static_selectorELNS0_4arch9wavefront6targetE0EEEvSD_.num_vgpr, 14
	.set _ZN7rocprim17ROCPRIM_400000_NS6detail17trampoline_kernelINS0_14default_configENS1_35radix_sort_onesweep_config_selectorIaNS0_10empty_typeEEEZNS1_34radix_sort_onesweep_global_offsetsIS3_Lb0EPKaPS5_mNS0_19identity_decomposerEEE10hipError_tT1_T2_PT3_SF_jT4_jjP12ihipStream_tbEUlT_E0_NS1_11comp_targetILNS1_3genE0ELNS1_11target_archE4294967295ELNS1_3gpuE0ELNS1_3repE0EEENS1_52radix_sort_onesweep_histogram_config_static_selectorELNS0_4arch9wavefront6targetE0EEEvSD_.num_agpr, 0
	.set _ZN7rocprim17ROCPRIM_400000_NS6detail17trampoline_kernelINS0_14default_configENS1_35radix_sort_onesweep_config_selectorIaNS0_10empty_typeEEEZNS1_34radix_sort_onesweep_global_offsetsIS3_Lb0EPKaPS5_mNS0_19identity_decomposerEEE10hipError_tT1_T2_PT3_SF_jT4_jjP12ihipStream_tbEUlT_E0_NS1_11comp_targetILNS1_3genE0ELNS1_11target_archE4294967295ELNS1_3gpuE0ELNS1_3repE0EEENS1_52radix_sort_onesweep_histogram_config_static_selectorELNS0_4arch9wavefront6targetE0EEEvSD_.numbered_sgpr, 10
	.set _ZN7rocprim17ROCPRIM_400000_NS6detail17trampoline_kernelINS0_14default_configENS1_35radix_sort_onesweep_config_selectorIaNS0_10empty_typeEEEZNS1_34radix_sort_onesweep_global_offsetsIS3_Lb0EPKaPS5_mNS0_19identity_decomposerEEE10hipError_tT1_T2_PT3_SF_jT4_jjP12ihipStream_tbEUlT_E0_NS1_11comp_targetILNS1_3genE0ELNS1_11target_archE4294967295ELNS1_3gpuE0ELNS1_3repE0EEENS1_52radix_sort_onesweep_histogram_config_static_selectorELNS0_4arch9wavefront6targetE0EEEvSD_.num_named_barrier, 0
	.set _ZN7rocprim17ROCPRIM_400000_NS6detail17trampoline_kernelINS0_14default_configENS1_35radix_sort_onesweep_config_selectorIaNS0_10empty_typeEEEZNS1_34radix_sort_onesweep_global_offsetsIS3_Lb0EPKaPS5_mNS0_19identity_decomposerEEE10hipError_tT1_T2_PT3_SF_jT4_jjP12ihipStream_tbEUlT_E0_NS1_11comp_targetILNS1_3genE0ELNS1_11target_archE4294967295ELNS1_3gpuE0ELNS1_3repE0EEENS1_52radix_sort_onesweep_histogram_config_static_selectorELNS0_4arch9wavefront6targetE0EEEvSD_.private_seg_size, 0
	.set _ZN7rocprim17ROCPRIM_400000_NS6detail17trampoline_kernelINS0_14default_configENS1_35radix_sort_onesweep_config_selectorIaNS0_10empty_typeEEEZNS1_34radix_sort_onesweep_global_offsetsIS3_Lb0EPKaPS5_mNS0_19identity_decomposerEEE10hipError_tT1_T2_PT3_SF_jT4_jjP12ihipStream_tbEUlT_E0_NS1_11comp_targetILNS1_3genE0ELNS1_11target_archE4294967295ELNS1_3gpuE0ELNS1_3repE0EEENS1_52radix_sort_onesweep_histogram_config_static_selectorELNS0_4arch9wavefront6targetE0EEEvSD_.uses_vcc, 1
	.set _ZN7rocprim17ROCPRIM_400000_NS6detail17trampoline_kernelINS0_14default_configENS1_35radix_sort_onesweep_config_selectorIaNS0_10empty_typeEEEZNS1_34radix_sort_onesweep_global_offsetsIS3_Lb0EPKaPS5_mNS0_19identity_decomposerEEE10hipError_tT1_T2_PT3_SF_jT4_jjP12ihipStream_tbEUlT_E0_NS1_11comp_targetILNS1_3genE0ELNS1_11target_archE4294967295ELNS1_3gpuE0ELNS1_3repE0EEENS1_52radix_sort_onesweep_histogram_config_static_selectorELNS0_4arch9wavefront6targetE0EEEvSD_.uses_flat_scratch, 0
	.set _ZN7rocprim17ROCPRIM_400000_NS6detail17trampoline_kernelINS0_14default_configENS1_35radix_sort_onesweep_config_selectorIaNS0_10empty_typeEEEZNS1_34radix_sort_onesweep_global_offsetsIS3_Lb0EPKaPS5_mNS0_19identity_decomposerEEE10hipError_tT1_T2_PT3_SF_jT4_jjP12ihipStream_tbEUlT_E0_NS1_11comp_targetILNS1_3genE0ELNS1_11target_archE4294967295ELNS1_3gpuE0ELNS1_3repE0EEENS1_52radix_sort_onesweep_histogram_config_static_selectorELNS0_4arch9wavefront6targetE0EEEvSD_.has_dyn_sized_stack, 0
	.set _ZN7rocprim17ROCPRIM_400000_NS6detail17trampoline_kernelINS0_14default_configENS1_35radix_sort_onesweep_config_selectorIaNS0_10empty_typeEEEZNS1_34radix_sort_onesweep_global_offsetsIS3_Lb0EPKaPS5_mNS0_19identity_decomposerEEE10hipError_tT1_T2_PT3_SF_jT4_jjP12ihipStream_tbEUlT_E0_NS1_11comp_targetILNS1_3genE0ELNS1_11target_archE4294967295ELNS1_3gpuE0ELNS1_3repE0EEENS1_52radix_sort_onesweep_histogram_config_static_selectorELNS0_4arch9wavefront6targetE0EEEvSD_.has_recursion, 0
	.set _ZN7rocprim17ROCPRIM_400000_NS6detail17trampoline_kernelINS0_14default_configENS1_35radix_sort_onesweep_config_selectorIaNS0_10empty_typeEEEZNS1_34radix_sort_onesweep_global_offsetsIS3_Lb0EPKaPS5_mNS0_19identity_decomposerEEE10hipError_tT1_T2_PT3_SF_jT4_jjP12ihipStream_tbEUlT_E0_NS1_11comp_targetILNS1_3genE0ELNS1_11target_archE4294967295ELNS1_3gpuE0ELNS1_3repE0EEENS1_52radix_sort_onesweep_histogram_config_static_selectorELNS0_4arch9wavefront6targetE0EEEvSD_.has_indirect_call, 0
	.section	.AMDGPU.csdata,"",@progbits
; Kernel info:
; codeLenInByte = 952
; TotalNumSgprs: 12
; NumVgprs: 14
; ScratchSize: 0
; MemoryBound: 0
; FloatMode: 240
; IeeeMode: 1
; LDSByteSize: 256 bytes/workgroup (compile time only)
; SGPRBlocks: 0
; VGPRBlocks: 0
; NumSGPRsForWavesPerEU: 12
; NumVGPRsForWavesPerEU: 14
; NamedBarCnt: 0
; Occupancy: 16
; WaveLimiterHint : 0
; COMPUTE_PGM_RSRC2:SCRATCH_EN: 0
; COMPUTE_PGM_RSRC2:USER_SGPR: 2
; COMPUTE_PGM_RSRC2:TRAP_HANDLER: 0
; COMPUTE_PGM_RSRC2:TGID_X_EN: 1
; COMPUTE_PGM_RSRC2:TGID_Y_EN: 0
; COMPUTE_PGM_RSRC2:TGID_Z_EN: 0
; COMPUTE_PGM_RSRC2:TIDIG_COMP_CNT: 0
	.section	.text._ZN7rocprim17ROCPRIM_400000_NS6detail17trampoline_kernelINS0_14default_configENS1_35radix_sort_onesweep_config_selectorIaNS0_10empty_typeEEEZNS1_34radix_sort_onesweep_global_offsetsIS3_Lb0EPKaPS5_mNS0_19identity_decomposerEEE10hipError_tT1_T2_PT3_SF_jT4_jjP12ihipStream_tbEUlT_E0_NS1_11comp_targetILNS1_3genE6ELNS1_11target_archE950ELNS1_3gpuE13ELNS1_3repE0EEENS1_52radix_sort_onesweep_histogram_config_static_selectorELNS0_4arch9wavefront6targetE0EEEvSD_,"axG",@progbits,_ZN7rocprim17ROCPRIM_400000_NS6detail17trampoline_kernelINS0_14default_configENS1_35radix_sort_onesweep_config_selectorIaNS0_10empty_typeEEEZNS1_34radix_sort_onesweep_global_offsetsIS3_Lb0EPKaPS5_mNS0_19identity_decomposerEEE10hipError_tT1_T2_PT3_SF_jT4_jjP12ihipStream_tbEUlT_E0_NS1_11comp_targetILNS1_3genE6ELNS1_11target_archE950ELNS1_3gpuE13ELNS1_3repE0EEENS1_52radix_sort_onesweep_histogram_config_static_selectorELNS0_4arch9wavefront6targetE0EEEvSD_,comdat
	.protected	_ZN7rocprim17ROCPRIM_400000_NS6detail17trampoline_kernelINS0_14default_configENS1_35radix_sort_onesweep_config_selectorIaNS0_10empty_typeEEEZNS1_34radix_sort_onesweep_global_offsetsIS3_Lb0EPKaPS5_mNS0_19identity_decomposerEEE10hipError_tT1_T2_PT3_SF_jT4_jjP12ihipStream_tbEUlT_E0_NS1_11comp_targetILNS1_3genE6ELNS1_11target_archE950ELNS1_3gpuE13ELNS1_3repE0EEENS1_52radix_sort_onesweep_histogram_config_static_selectorELNS0_4arch9wavefront6targetE0EEEvSD_ ; -- Begin function _ZN7rocprim17ROCPRIM_400000_NS6detail17trampoline_kernelINS0_14default_configENS1_35radix_sort_onesweep_config_selectorIaNS0_10empty_typeEEEZNS1_34radix_sort_onesweep_global_offsetsIS3_Lb0EPKaPS5_mNS0_19identity_decomposerEEE10hipError_tT1_T2_PT3_SF_jT4_jjP12ihipStream_tbEUlT_E0_NS1_11comp_targetILNS1_3genE6ELNS1_11target_archE950ELNS1_3gpuE13ELNS1_3repE0EEENS1_52radix_sort_onesweep_histogram_config_static_selectorELNS0_4arch9wavefront6targetE0EEEvSD_
	.globl	_ZN7rocprim17ROCPRIM_400000_NS6detail17trampoline_kernelINS0_14default_configENS1_35radix_sort_onesweep_config_selectorIaNS0_10empty_typeEEEZNS1_34radix_sort_onesweep_global_offsetsIS3_Lb0EPKaPS5_mNS0_19identity_decomposerEEE10hipError_tT1_T2_PT3_SF_jT4_jjP12ihipStream_tbEUlT_E0_NS1_11comp_targetILNS1_3genE6ELNS1_11target_archE950ELNS1_3gpuE13ELNS1_3repE0EEENS1_52radix_sort_onesweep_histogram_config_static_selectorELNS0_4arch9wavefront6targetE0EEEvSD_
	.p2align	8
	.type	_ZN7rocprim17ROCPRIM_400000_NS6detail17trampoline_kernelINS0_14default_configENS1_35radix_sort_onesweep_config_selectorIaNS0_10empty_typeEEEZNS1_34radix_sort_onesweep_global_offsetsIS3_Lb0EPKaPS5_mNS0_19identity_decomposerEEE10hipError_tT1_T2_PT3_SF_jT4_jjP12ihipStream_tbEUlT_E0_NS1_11comp_targetILNS1_3genE6ELNS1_11target_archE950ELNS1_3gpuE13ELNS1_3repE0EEENS1_52radix_sort_onesweep_histogram_config_static_selectorELNS0_4arch9wavefront6targetE0EEEvSD_,@function
_ZN7rocprim17ROCPRIM_400000_NS6detail17trampoline_kernelINS0_14default_configENS1_35radix_sort_onesweep_config_selectorIaNS0_10empty_typeEEEZNS1_34radix_sort_onesweep_global_offsetsIS3_Lb0EPKaPS5_mNS0_19identity_decomposerEEE10hipError_tT1_T2_PT3_SF_jT4_jjP12ihipStream_tbEUlT_E0_NS1_11comp_targetILNS1_3genE6ELNS1_11target_archE950ELNS1_3gpuE13ELNS1_3repE0EEENS1_52radix_sort_onesweep_histogram_config_static_selectorELNS0_4arch9wavefront6targetE0EEEvSD_: ; @_ZN7rocprim17ROCPRIM_400000_NS6detail17trampoline_kernelINS0_14default_configENS1_35radix_sort_onesweep_config_selectorIaNS0_10empty_typeEEEZNS1_34radix_sort_onesweep_global_offsetsIS3_Lb0EPKaPS5_mNS0_19identity_decomposerEEE10hipError_tT1_T2_PT3_SF_jT4_jjP12ihipStream_tbEUlT_E0_NS1_11comp_targetILNS1_3genE6ELNS1_11target_archE950ELNS1_3gpuE13ELNS1_3repE0EEENS1_52radix_sort_onesweep_histogram_config_static_selectorELNS0_4arch9wavefront6targetE0EEEvSD_
; %bb.0:
	.section	.rodata,"a",@progbits
	.p2align	6, 0x0
	.amdhsa_kernel _ZN7rocprim17ROCPRIM_400000_NS6detail17trampoline_kernelINS0_14default_configENS1_35radix_sort_onesweep_config_selectorIaNS0_10empty_typeEEEZNS1_34radix_sort_onesweep_global_offsetsIS3_Lb0EPKaPS5_mNS0_19identity_decomposerEEE10hipError_tT1_T2_PT3_SF_jT4_jjP12ihipStream_tbEUlT_E0_NS1_11comp_targetILNS1_3genE6ELNS1_11target_archE950ELNS1_3gpuE13ELNS1_3repE0EEENS1_52radix_sort_onesweep_histogram_config_static_selectorELNS0_4arch9wavefront6targetE0EEEvSD_
		.amdhsa_group_segment_fixed_size 0
		.amdhsa_private_segment_fixed_size 0
		.amdhsa_kernarg_size 8
		.amdhsa_user_sgpr_count 2
		.amdhsa_user_sgpr_dispatch_ptr 0
		.amdhsa_user_sgpr_queue_ptr 0
		.amdhsa_user_sgpr_kernarg_segment_ptr 1
		.amdhsa_user_sgpr_dispatch_id 0
		.amdhsa_user_sgpr_kernarg_preload_length 0
		.amdhsa_user_sgpr_kernarg_preload_offset 0
		.amdhsa_user_sgpr_private_segment_size 0
		.amdhsa_wavefront_size32 1
		.amdhsa_uses_dynamic_stack 0
		.amdhsa_enable_private_segment 0
		.amdhsa_system_sgpr_workgroup_id_x 1
		.amdhsa_system_sgpr_workgroup_id_y 0
		.amdhsa_system_sgpr_workgroup_id_z 0
		.amdhsa_system_sgpr_workgroup_info 0
		.amdhsa_system_vgpr_workitem_id 0
		.amdhsa_next_free_vgpr 1
		.amdhsa_next_free_sgpr 1
		.amdhsa_named_barrier_count 0
		.amdhsa_reserve_vcc 0
		.amdhsa_float_round_mode_32 0
		.amdhsa_float_round_mode_16_64 0
		.amdhsa_float_denorm_mode_32 3
		.amdhsa_float_denorm_mode_16_64 3
		.amdhsa_fp16_overflow 0
		.amdhsa_memory_ordered 1
		.amdhsa_forward_progress 1
		.amdhsa_inst_pref_size 0
		.amdhsa_round_robin_scheduling 0
		.amdhsa_exception_fp_ieee_invalid_op 0
		.amdhsa_exception_fp_denorm_src 0
		.amdhsa_exception_fp_ieee_div_zero 0
		.amdhsa_exception_fp_ieee_overflow 0
		.amdhsa_exception_fp_ieee_underflow 0
		.amdhsa_exception_fp_ieee_inexact 0
		.amdhsa_exception_int_div_zero 0
	.end_amdhsa_kernel
	.section	.text._ZN7rocprim17ROCPRIM_400000_NS6detail17trampoline_kernelINS0_14default_configENS1_35radix_sort_onesweep_config_selectorIaNS0_10empty_typeEEEZNS1_34radix_sort_onesweep_global_offsetsIS3_Lb0EPKaPS5_mNS0_19identity_decomposerEEE10hipError_tT1_T2_PT3_SF_jT4_jjP12ihipStream_tbEUlT_E0_NS1_11comp_targetILNS1_3genE6ELNS1_11target_archE950ELNS1_3gpuE13ELNS1_3repE0EEENS1_52radix_sort_onesweep_histogram_config_static_selectorELNS0_4arch9wavefront6targetE0EEEvSD_,"axG",@progbits,_ZN7rocprim17ROCPRIM_400000_NS6detail17trampoline_kernelINS0_14default_configENS1_35radix_sort_onesweep_config_selectorIaNS0_10empty_typeEEEZNS1_34radix_sort_onesweep_global_offsetsIS3_Lb0EPKaPS5_mNS0_19identity_decomposerEEE10hipError_tT1_T2_PT3_SF_jT4_jjP12ihipStream_tbEUlT_E0_NS1_11comp_targetILNS1_3genE6ELNS1_11target_archE950ELNS1_3gpuE13ELNS1_3repE0EEENS1_52radix_sort_onesweep_histogram_config_static_selectorELNS0_4arch9wavefront6targetE0EEEvSD_,comdat
.Lfunc_end458:
	.size	_ZN7rocprim17ROCPRIM_400000_NS6detail17trampoline_kernelINS0_14default_configENS1_35radix_sort_onesweep_config_selectorIaNS0_10empty_typeEEEZNS1_34radix_sort_onesweep_global_offsetsIS3_Lb0EPKaPS5_mNS0_19identity_decomposerEEE10hipError_tT1_T2_PT3_SF_jT4_jjP12ihipStream_tbEUlT_E0_NS1_11comp_targetILNS1_3genE6ELNS1_11target_archE950ELNS1_3gpuE13ELNS1_3repE0EEENS1_52radix_sort_onesweep_histogram_config_static_selectorELNS0_4arch9wavefront6targetE0EEEvSD_, .Lfunc_end458-_ZN7rocprim17ROCPRIM_400000_NS6detail17trampoline_kernelINS0_14default_configENS1_35radix_sort_onesweep_config_selectorIaNS0_10empty_typeEEEZNS1_34radix_sort_onesweep_global_offsetsIS3_Lb0EPKaPS5_mNS0_19identity_decomposerEEE10hipError_tT1_T2_PT3_SF_jT4_jjP12ihipStream_tbEUlT_E0_NS1_11comp_targetILNS1_3genE6ELNS1_11target_archE950ELNS1_3gpuE13ELNS1_3repE0EEENS1_52radix_sort_onesweep_histogram_config_static_selectorELNS0_4arch9wavefront6targetE0EEEvSD_
                                        ; -- End function
	.set _ZN7rocprim17ROCPRIM_400000_NS6detail17trampoline_kernelINS0_14default_configENS1_35radix_sort_onesweep_config_selectorIaNS0_10empty_typeEEEZNS1_34radix_sort_onesweep_global_offsetsIS3_Lb0EPKaPS5_mNS0_19identity_decomposerEEE10hipError_tT1_T2_PT3_SF_jT4_jjP12ihipStream_tbEUlT_E0_NS1_11comp_targetILNS1_3genE6ELNS1_11target_archE950ELNS1_3gpuE13ELNS1_3repE0EEENS1_52radix_sort_onesweep_histogram_config_static_selectorELNS0_4arch9wavefront6targetE0EEEvSD_.num_vgpr, 0
	.set _ZN7rocprim17ROCPRIM_400000_NS6detail17trampoline_kernelINS0_14default_configENS1_35radix_sort_onesweep_config_selectorIaNS0_10empty_typeEEEZNS1_34radix_sort_onesweep_global_offsetsIS3_Lb0EPKaPS5_mNS0_19identity_decomposerEEE10hipError_tT1_T2_PT3_SF_jT4_jjP12ihipStream_tbEUlT_E0_NS1_11comp_targetILNS1_3genE6ELNS1_11target_archE950ELNS1_3gpuE13ELNS1_3repE0EEENS1_52radix_sort_onesweep_histogram_config_static_selectorELNS0_4arch9wavefront6targetE0EEEvSD_.num_agpr, 0
	.set _ZN7rocprim17ROCPRIM_400000_NS6detail17trampoline_kernelINS0_14default_configENS1_35radix_sort_onesweep_config_selectorIaNS0_10empty_typeEEEZNS1_34radix_sort_onesweep_global_offsetsIS3_Lb0EPKaPS5_mNS0_19identity_decomposerEEE10hipError_tT1_T2_PT3_SF_jT4_jjP12ihipStream_tbEUlT_E0_NS1_11comp_targetILNS1_3genE6ELNS1_11target_archE950ELNS1_3gpuE13ELNS1_3repE0EEENS1_52radix_sort_onesweep_histogram_config_static_selectorELNS0_4arch9wavefront6targetE0EEEvSD_.numbered_sgpr, 0
	.set _ZN7rocprim17ROCPRIM_400000_NS6detail17trampoline_kernelINS0_14default_configENS1_35radix_sort_onesweep_config_selectorIaNS0_10empty_typeEEEZNS1_34radix_sort_onesweep_global_offsetsIS3_Lb0EPKaPS5_mNS0_19identity_decomposerEEE10hipError_tT1_T2_PT3_SF_jT4_jjP12ihipStream_tbEUlT_E0_NS1_11comp_targetILNS1_3genE6ELNS1_11target_archE950ELNS1_3gpuE13ELNS1_3repE0EEENS1_52radix_sort_onesweep_histogram_config_static_selectorELNS0_4arch9wavefront6targetE0EEEvSD_.num_named_barrier, 0
	.set _ZN7rocprim17ROCPRIM_400000_NS6detail17trampoline_kernelINS0_14default_configENS1_35radix_sort_onesweep_config_selectorIaNS0_10empty_typeEEEZNS1_34radix_sort_onesweep_global_offsetsIS3_Lb0EPKaPS5_mNS0_19identity_decomposerEEE10hipError_tT1_T2_PT3_SF_jT4_jjP12ihipStream_tbEUlT_E0_NS1_11comp_targetILNS1_3genE6ELNS1_11target_archE950ELNS1_3gpuE13ELNS1_3repE0EEENS1_52radix_sort_onesweep_histogram_config_static_selectorELNS0_4arch9wavefront6targetE0EEEvSD_.private_seg_size, 0
	.set _ZN7rocprim17ROCPRIM_400000_NS6detail17trampoline_kernelINS0_14default_configENS1_35radix_sort_onesweep_config_selectorIaNS0_10empty_typeEEEZNS1_34radix_sort_onesweep_global_offsetsIS3_Lb0EPKaPS5_mNS0_19identity_decomposerEEE10hipError_tT1_T2_PT3_SF_jT4_jjP12ihipStream_tbEUlT_E0_NS1_11comp_targetILNS1_3genE6ELNS1_11target_archE950ELNS1_3gpuE13ELNS1_3repE0EEENS1_52radix_sort_onesweep_histogram_config_static_selectorELNS0_4arch9wavefront6targetE0EEEvSD_.uses_vcc, 0
	.set _ZN7rocprim17ROCPRIM_400000_NS6detail17trampoline_kernelINS0_14default_configENS1_35radix_sort_onesweep_config_selectorIaNS0_10empty_typeEEEZNS1_34radix_sort_onesweep_global_offsetsIS3_Lb0EPKaPS5_mNS0_19identity_decomposerEEE10hipError_tT1_T2_PT3_SF_jT4_jjP12ihipStream_tbEUlT_E0_NS1_11comp_targetILNS1_3genE6ELNS1_11target_archE950ELNS1_3gpuE13ELNS1_3repE0EEENS1_52radix_sort_onesweep_histogram_config_static_selectorELNS0_4arch9wavefront6targetE0EEEvSD_.uses_flat_scratch, 0
	.set _ZN7rocprim17ROCPRIM_400000_NS6detail17trampoline_kernelINS0_14default_configENS1_35radix_sort_onesweep_config_selectorIaNS0_10empty_typeEEEZNS1_34radix_sort_onesweep_global_offsetsIS3_Lb0EPKaPS5_mNS0_19identity_decomposerEEE10hipError_tT1_T2_PT3_SF_jT4_jjP12ihipStream_tbEUlT_E0_NS1_11comp_targetILNS1_3genE6ELNS1_11target_archE950ELNS1_3gpuE13ELNS1_3repE0EEENS1_52radix_sort_onesweep_histogram_config_static_selectorELNS0_4arch9wavefront6targetE0EEEvSD_.has_dyn_sized_stack, 0
	.set _ZN7rocprim17ROCPRIM_400000_NS6detail17trampoline_kernelINS0_14default_configENS1_35radix_sort_onesweep_config_selectorIaNS0_10empty_typeEEEZNS1_34radix_sort_onesweep_global_offsetsIS3_Lb0EPKaPS5_mNS0_19identity_decomposerEEE10hipError_tT1_T2_PT3_SF_jT4_jjP12ihipStream_tbEUlT_E0_NS1_11comp_targetILNS1_3genE6ELNS1_11target_archE950ELNS1_3gpuE13ELNS1_3repE0EEENS1_52radix_sort_onesweep_histogram_config_static_selectorELNS0_4arch9wavefront6targetE0EEEvSD_.has_recursion, 0
	.set _ZN7rocprim17ROCPRIM_400000_NS6detail17trampoline_kernelINS0_14default_configENS1_35radix_sort_onesweep_config_selectorIaNS0_10empty_typeEEEZNS1_34radix_sort_onesweep_global_offsetsIS3_Lb0EPKaPS5_mNS0_19identity_decomposerEEE10hipError_tT1_T2_PT3_SF_jT4_jjP12ihipStream_tbEUlT_E0_NS1_11comp_targetILNS1_3genE6ELNS1_11target_archE950ELNS1_3gpuE13ELNS1_3repE0EEENS1_52radix_sort_onesweep_histogram_config_static_selectorELNS0_4arch9wavefront6targetE0EEEvSD_.has_indirect_call, 0
	.section	.AMDGPU.csdata,"",@progbits
; Kernel info:
; codeLenInByte = 0
; TotalNumSgprs: 0
; NumVgprs: 0
; ScratchSize: 0
; MemoryBound: 0
; FloatMode: 240
; IeeeMode: 1
; LDSByteSize: 0 bytes/workgroup (compile time only)
; SGPRBlocks: 0
; VGPRBlocks: 0
; NumSGPRsForWavesPerEU: 1
; NumVGPRsForWavesPerEU: 1
; NamedBarCnt: 0
; Occupancy: 16
; WaveLimiterHint : 0
; COMPUTE_PGM_RSRC2:SCRATCH_EN: 0
; COMPUTE_PGM_RSRC2:USER_SGPR: 2
; COMPUTE_PGM_RSRC2:TRAP_HANDLER: 0
; COMPUTE_PGM_RSRC2:TGID_X_EN: 1
; COMPUTE_PGM_RSRC2:TGID_Y_EN: 0
; COMPUTE_PGM_RSRC2:TGID_Z_EN: 0
; COMPUTE_PGM_RSRC2:TIDIG_COMP_CNT: 0
	.section	.text._ZN7rocprim17ROCPRIM_400000_NS6detail17trampoline_kernelINS0_14default_configENS1_35radix_sort_onesweep_config_selectorIaNS0_10empty_typeEEEZNS1_34radix_sort_onesweep_global_offsetsIS3_Lb0EPKaPS5_mNS0_19identity_decomposerEEE10hipError_tT1_T2_PT3_SF_jT4_jjP12ihipStream_tbEUlT_E0_NS1_11comp_targetILNS1_3genE5ELNS1_11target_archE942ELNS1_3gpuE9ELNS1_3repE0EEENS1_52radix_sort_onesweep_histogram_config_static_selectorELNS0_4arch9wavefront6targetE0EEEvSD_,"axG",@progbits,_ZN7rocprim17ROCPRIM_400000_NS6detail17trampoline_kernelINS0_14default_configENS1_35radix_sort_onesweep_config_selectorIaNS0_10empty_typeEEEZNS1_34radix_sort_onesweep_global_offsetsIS3_Lb0EPKaPS5_mNS0_19identity_decomposerEEE10hipError_tT1_T2_PT3_SF_jT4_jjP12ihipStream_tbEUlT_E0_NS1_11comp_targetILNS1_3genE5ELNS1_11target_archE942ELNS1_3gpuE9ELNS1_3repE0EEENS1_52radix_sort_onesweep_histogram_config_static_selectorELNS0_4arch9wavefront6targetE0EEEvSD_,comdat
	.protected	_ZN7rocprim17ROCPRIM_400000_NS6detail17trampoline_kernelINS0_14default_configENS1_35radix_sort_onesweep_config_selectorIaNS0_10empty_typeEEEZNS1_34radix_sort_onesweep_global_offsetsIS3_Lb0EPKaPS5_mNS0_19identity_decomposerEEE10hipError_tT1_T2_PT3_SF_jT4_jjP12ihipStream_tbEUlT_E0_NS1_11comp_targetILNS1_3genE5ELNS1_11target_archE942ELNS1_3gpuE9ELNS1_3repE0EEENS1_52radix_sort_onesweep_histogram_config_static_selectorELNS0_4arch9wavefront6targetE0EEEvSD_ ; -- Begin function _ZN7rocprim17ROCPRIM_400000_NS6detail17trampoline_kernelINS0_14default_configENS1_35radix_sort_onesweep_config_selectorIaNS0_10empty_typeEEEZNS1_34radix_sort_onesweep_global_offsetsIS3_Lb0EPKaPS5_mNS0_19identity_decomposerEEE10hipError_tT1_T2_PT3_SF_jT4_jjP12ihipStream_tbEUlT_E0_NS1_11comp_targetILNS1_3genE5ELNS1_11target_archE942ELNS1_3gpuE9ELNS1_3repE0EEENS1_52radix_sort_onesweep_histogram_config_static_selectorELNS0_4arch9wavefront6targetE0EEEvSD_
	.globl	_ZN7rocprim17ROCPRIM_400000_NS6detail17trampoline_kernelINS0_14default_configENS1_35radix_sort_onesweep_config_selectorIaNS0_10empty_typeEEEZNS1_34radix_sort_onesweep_global_offsetsIS3_Lb0EPKaPS5_mNS0_19identity_decomposerEEE10hipError_tT1_T2_PT3_SF_jT4_jjP12ihipStream_tbEUlT_E0_NS1_11comp_targetILNS1_3genE5ELNS1_11target_archE942ELNS1_3gpuE9ELNS1_3repE0EEENS1_52radix_sort_onesweep_histogram_config_static_selectorELNS0_4arch9wavefront6targetE0EEEvSD_
	.p2align	8
	.type	_ZN7rocprim17ROCPRIM_400000_NS6detail17trampoline_kernelINS0_14default_configENS1_35radix_sort_onesweep_config_selectorIaNS0_10empty_typeEEEZNS1_34radix_sort_onesweep_global_offsetsIS3_Lb0EPKaPS5_mNS0_19identity_decomposerEEE10hipError_tT1_T2_PT3_SF_jT4_jjP12ihipStream_tbEUlT_E0_NS1_11comp_targetILNS1_3genE5ELNS1_11target_archE942ELNS1_3gpuE9ELNS1_3repE0EEENS1_52radix_sort_onesweep_histogram_config_static_selectorELNS0_4arch9wavefront6targetE0EEEvSD_,@function
_ZN7rocprim17ROCPRIM_400000_NS6detail17trampoline_kernelINS0_14default_configENS1_35radix_sort_onesweep_config_selectorIaNS0_10empty_typeEEEZNS1_34radix_sort_onesweep_global_offsetsIS3_Lb0EPKaPS5_mNS0_19identity_decomposerEEE10hipError_tT1_T2_PT3_SF_jT4_jjP12ihipStream_tbEUlT_E0_NS1_11comp_targetILNS1_3genE5ELNS1_11target_archE942ELNS1_3gpuE9ELNS1_3repE0EEENS1_52radix_sort_onesweep_histogram_config_static_selectorELNS0_4arch9wavefront6targetE0EEEvSD_: ; @_ZN7rocprim17ROCPRIM_400000_NS6detail17trampoline_kernelINS0_14default_configENS1_35radix_sort_onesweep_config_selectorIaNS0_10empty_typeEEEZNS1_34radix_sort_onesweep_global_offsetsIS3_Lb0EPKaPS5_mNS0_19identity_decomposerEEE10hipError_tT1_T2_PT3_SF_jT4_jjP12ihipStream_tbEUlT_E0_NS1_11comp_targetILNS1_3genE5ELNS1_11target_archE942ELNS1_3gpuE9ELNS1_3repE0EEENS1_52radix_sort_onesweep_histogram_config_static_selectorELNS0_4arch9wavefront6targetE0EEEvSD_
; %bb.0:
	.section	.rodata,"a",@progbits
	.p2align	6, 0x0
	.amdhsa_kernel _ZN7rocprim17ROCPRIM_400000_NS6detail17trampoline_kernelINS0_14default_configENS1_35radix_sort_onesweep_config_selectorIaNS0_10empty_typeEEEZNS1_34radix_sort_onesweep_global_offsetsIS3_Lb0EPKaPS5_mNS0_19identity_decomposerEEE10hipError_tT1_T2_PT3_SF_jT4_jjP12ihipStream_tbEUlT_E0_NS1_11comp_targetILNS1_3genE5ELNS1_11target_archE942ELNS1_3gpuE9ELNS1_3repE0EEENS1_52radix_sort_onesweep_histogram_config_static_selectorELNS0_4arch9wavefront6targetE0EEEvSD_
		.amdhsa_group_segment_fixed_size 0
		.amdhsa_private_segment_fixed_size 0
		.amdhsa_kernarg_size 8
		.amdhsa_user_sgpr_count 2
		.amdhsa_user_sgpr_dispatch_ptr 0
		.amdhsa_user_sgpr_queue_ptr 0
		.amdhsa_user_sgpr_kernarg_segment_ptr 1
		.amdhsa_user_sgpr_dispatch_id 0
		.amdhsa_user_sgpr_kernarg_preload_length 0
		.amdhsa_user_sgpr_kernarg_preload_offset 0
		.amdhsa_user_sgpr_private_segment_size 0
		.amdhsa_wavefront_size32 1
		.amdhsa_uses_dynamic_stack 0
		.amdhsa_enable_private_segment 0
		.amdhsa_system_sgpr_workgroup_id_x 1
		.amdhsa_system_sgpr_workgroup_id_y 0
		.amdhsa_system_sgpr_workgroup_id_z 0
		.amdhsa_system_sgpr_workgroup_info 0
		.amdhsa_system_vgpr_workitem_id 0
		.amdhsa_next_free_vgpr 1
		.amdhsa_next_free_sgpr 1
		.amdhsa_named_barrier_count 0
		.amdhsa_reserve_vcc 0
		.amdhsa_float_round_mode_32 0
		.amdhsa_float_round_mode_16_64 0
		.amdhsa_float_denorm_mode_32 3
		.amdhsa_float_denorm_mode_16_64 3
		.amdhsa_fp16_overflow 0
		.amdhsa_memory_ordered 1
		.amdhsa_forward_progress 1
		.amdhsa_inst_pref_size 0
		.amdhsa_round_robin_scheduling 0
		.amdhsa_exception_fp_ieee_invalid_op 0
		.amdhsa_exception_fp_denorm_src 0
		.amdhsa_exception_fp_ieee_div_zero 0
		.amdhsa_exception_fp_ieee_overflow 0
		.amdhsa_exception_fp_ieee_underflow 0
		.amdhsa_exception_fp_ieee_inexact 0
		.amdhsa_exception_int_div_zero 0
	.end_amdhsa_kernel
	.section	.text._ZN7rocprim17ROCPRIM_400000_NS6detail17trampoline_kernelINS0_14default_configENS1_35radix_sort_onesweep_config_selectorIaNS0_10empty_typeEEEZNS1_34radix_sort_onesweep_global_offsetsIS3_Lb0EPKaPS5_mNS0_19identity_decomposerEEE10hipError_tT1_T2_PT3_SF_jT4_jjP12ihipStream_tbEUlT_E0_NS1_11comp_targetILNS1_3genE5ELNS1_11target_archE942ELNS1_3gpuE9ELNS1_3repE0EEENS1_52radix_sort_onesweep_histogram_config_static_selectorELNS0_4arch9wavefront6targetE0EEEvSD_,"axG",@progbits,_ZN7rocprim17ROCPRIM_400000_NS6detail17trampoline_kernelINS0_14default_configENS1_35radix_sort_onesweep_config_selectorIaNS0_10empty_typeEEEZNS1_34radix_sort_onesweep_global_offsetsIS3_Lb0EPKaPS5_mNS0_19identity_decomposerEEE10hipError_tT1_T2_PT3_SF_jT4_jjP12ihipStream_tbEUlT_E0_NS1_11comp_targetILNS1_3genE5ELNS1_11target_archE942ELNS1_3gpuE9ELNS1_3repE0EEENS1_52radix_sort_onesweep_histogram_config_static_selectorELNS0_4arch9wavefront6targetE0EEEvSD_,comdat
.Lfunc_end459:
	.size	_ZN7rocprim17ROCPRIM_400000_NS6detail17trampoline_kernelINS0_14default_configENS1_35radix_sort_onesweep_config_selectorIaNS0_10empty_typeEEEZNS1_34radix_sort_onesweep_global_offsetsIS3_Lb0EPKaPS5_mNS0_19identity_decomposerEEE10hipError_tT1_T2_PT3_SF_jT4_jjP12ihipStream_tbEUlT_E0_NS1_11comp_targetILNS1_3genE5ELNS1_11target_archE942ELNS1_3gpuE9ELNS1_3repE0EEENS1_52radix_sort_onesweep_histogram_config_static_selectorELNS0_4arch9wavefront6targetE0EEEvSD_, .Lfunc_end459-_ZN7rocprim17ROCPRIM_400000_NS6detail17trampoline_kernelINS0_14default_configENS1_35radix_sort_onesweep_config_selectorIaNS0_10empty_typeEEEZNS1_34radix_sort_onesweep_global_offsetsIS3_Lb0EPKaPS5_mNS0_19identity_decomposerEEE10hipError_tT1_T2_PT3_SF_jT4_jjP12ihipStream_tbEUlT_E0_NS1_11comp_targetILNS1_3genE5ELNS1_11target_archE942ELNS1_3gpuE9ELNS1_3repE0EEENS1_52radix_sort_onesweep_histogram_config_static_selectorELNS0_4arch9wavefront6targetE0EEEvSD_
                                        ; -- End function
	.set _ZN7rocprim17ROCPRIM_400000_NS6detail17trampoline_kernelINS0_14default_configENS1_35radix_sort_onesweep_config_selectorIaNS0_10empty_typeEEEZNS1_34radix_sort_onesweep_global_offsetsIS3_Lb0EPKaPS5_mNS0_19identity_decomposerEEE10hipError_tT1_T2_PT3_SF_jT4_jjP12ihipStream_tbEUlT_E0_NS1_11comp_targetILNS1_3genE5ELNS1_11target_archE942ELNS1_3gpuE9ELNS1_3repE0EEENS1_52radix_sort_onesweep_histogram_config_static_selectorELNS0_4arch9wavefront6targetE0EEEvSD_.num_vgpr, 0
	.set _ZN7rocprim17ROCPRIM_400000_NS6detail17trampoline_kernelINS0_14default_configENS1_35radix_sort_onesweep_config_selectorIaNS0_10empty_typeEEEZNS1_34radix_sort_onesweep_global_offsetsIS3_Lb0EPKaPS5_mNS0_19identity_decomposerEEE10hipError_tT1_T2_PT3_SF_jT4_jjP12ihipStream_tbEUlT_E0_NS1_11comp_targetILNS1_3genE5ELNS1_11target_archE942ELNS1_3gpuE9ELNS1_3repE0EEENS1_52radix_sort_onesweep_histogram_config_static_selectorELNS0_4arch9wavefront6targetE0EEEvSD_.num_agpr, 0
	.set _ZN7rocprim17ROCPRIM_400000_NS6detail17trampoline_kernelINS0_14default_configENS1_35radix_sort_onesweep_config_selectorIaNS0_10empty_typeEEEZNS1_34radix_sort_onesweep_global_offsetsIS3_Lb0EPKaPS5_mNS0_19identity_decomposerEEE10hipError_tT1_T2_PT3_SF_jT4_jjP12ihipStream_tbEUlT_E0_NS1_11comp_targetILNS1_3genE5ELNS1_11target_archE942ELNS1_3gpuE9ELNS1_3repE0EEENS1_52radix_sort_onesweep_histogram_config_static_selectorELNS0_4arch9wavefront6targetE0EEEvSD_.numbered_sgpr, 0
	.set _ZN7rocprim17ROCPRIM_400000_NS6detail17trampoline_kernelINS0_14default_configENS1_35radix_sort_onesweep_config_selectorIaNS0_10empty_typeEEEZNS1_34radix_sort_onesweep_global_offsetsIS3_Lb0EPKaPS5_mNS0_19identity_decomposerEEE10hipError_tT1_T2_PT3_SF_jT4_jjP12ihipStream_tbEUlT_E0_NS1_11comp_targetILNS1_3genE5ELNS1_11target_archE942ELNS1_3gpuE9ELNS1_3repE0EEENS1_52radix_sort_onesweep_histogram_config_static_selectorELNS0_4arch9wavefront6targetE0EEEvSD_.num_named_barrier, 0
	.set _ZN7rocprim17ROCPRIM_400000_NS6detail17trampoline_kernelINS0_14default_configENS1_35radix_sort_onesweep_config_selectorIaNS0_10empty_typeEEEZNS1_34radix_sort_onesweep_global_offsetsIS3_Lb0EPKaPS5_mNS0_19identity_decomposerEEE10hipError_tT1_T2_PT3_SF_jT4_jjP12ihipStream_tbEUlT_E0_NS1_11comp_targetILNS1_3genE5ELNS1_11target_archE942ELNS1_3gpuE9ELNS1_3repE0EEENS1_52radix_sort_onesweep_histogram_config_static_selectorELNS0_4arch9wavefront6targetE0EEEvSD_.private_seg_size, 0
	.set _ZN7rocprim17ROCPRIM_400000_NS6detail17trampoline_kernelINS0_14default_configENS1_35radix_sort_onesweep_config_selectorIaNS0_10empty_typeEEEZNS1_34radix_sort_onesweep_global_offsetsIS3_Lb0EPKaPS5_mNS0_19identity_decomposerEEE10hipError_tT1_T2_PT3_SF_jT4_jjP12ihipStream_tbEUlT_E0_NS1_11comp_targetILNS1_3genE5ELNS1_11target_archE942ELNS1_3gpuE9ELNS1_3repE0EEENS1_52radix_sort_onesweep_histogram_config_static_selectorELNS0_4arch9wavefront6targetE0EEEvSD_.uses_vcc, 0
	.set _ZN7rocprim17ROCPRIM_400000_NS6detail17trampoline_kernelINS0_14default_configENS1_35radix_sort_onesweep_config_selectorIaNS0_10empty_typeEEEZNS1_34radix_sort_onesweep_global_offsetsIS3_Lb0EPKaPS5_mNS0_19identity_decomposerEEE10hipError_tT1_T2_PT3_SF_jT4_jjP12ihipStream_tbEUlT_E0_NS1_11comp_targetILNS1_3genE5ELNS1_11target_archE942ELNS1_3gpuE9ELNS1_3repE0EEENS1_52radix_sort_onesweep_histogram_config_static_selectorELNS0_4arch9wavefront6targetE0EEEvSD_.uses_flat_scratch, 0
	.set _ZN7rocprim17ROCPRIM_400000_NS6detail17trampoline_kernelINS0_14default_configENS1_35radix_sort_onesweep_config_selectorIaNS0_10empty_typeEEEZNS1_34radix_sort_onesweep_global_offsetsIS3_Lb0EPKaPS5_mNS0_19identity_decomposerEEE10hipError_tT1_T2_PT3_SF_jT4_jjP12ihipStream_tbEUlT_E0_NS1_11comp_targetILNS1_3genE5ELNS1_11target_archE942ELNS1_3gpuE9ELNS1_3repE0EEENS1_52radix_sort_onesweep_histogram_config_static_selectorELNS0_4arch9wavefront6targetE0EEEvSD_.has_dyn_sized_stack, 0
	.set _ZN7rocprim17ROCPRIM_400000_NS6detail17trampoline_kernelINS0_14default_configENS1_35radix_sort_onesweep_config_selectorIaNS0_10empty_typeEEEZNS1_34radix_sort_onesweep_global_offsetsIS3_Lb0EPKaPS5_mNS0_19identity_decomposerEEE10hipError_tT1_T2_PT3_SF_jT4_jjP12ihipStream_tbEUlT_E0_NS1_11comp_targetILNS1_3genE5ELNS1_11target_archE942ELNS1_3gpuE9ELNS1_3repE0EEENS1_52radix_sort_onesweep_histogram_config_static_selectorELNS0_4arch9wavefront6targetE0EEEvSD_.has_recursion, 0
	.set _ZN7rocprim17ROCPRIM_400000_NS6detail17trampoline_kernelINS0_14default_configENS1_35radix_sort_onesweep_config_selectorIaNS0_10empty_typeEEEZNS1_34radix_sort_onesweep_global_offsetsIS3_Lb0EPKaPS5_mNS0_19identity_decomposerEEE10hipError_tT1_T2_PT3_SF_jT4_jjP12ihipStream_tbEUlT_E0_NS1_11comp_targetILNS1_3genE5ELNS1_11target_archE942ELNS1_3gpuE9ELNS1_3repE0EEENS1_52radix_sort_onesweep_histogram_config_static_selectorELNS0_4arch9wavefront6targetE0EEEvSD_.has_indirect_call, 0
	.section	.AMDGPU.csdata,"",@progbits
; Kernel info:
; codeLenInByte = 0
; TotalNumSgprs: 0
; NumVgprs: 0
; ScratchSize: 0
; MemoryBound: 0
; FloatMode: 240
; IeeeMode: 1
; LDSByteSize: 0 bytes/workgroup (compile time only)
; SGPRBlocks: 0
; VGPRBlocks: 0
; NumSGPRsForWavesPerEU: 1
; NumVGPRsForWavesPerEU: 1
; NamedBarCnt: 0
; Occupancy: 16
; WaveLimiterHint : 0
; COMPUTE_PGM_RSRC2:SCRATCH_EN: 0
; COMPUTE_PGM_RSRC2:USER_SGPR: 2
; COMPUTE_PGM_RSRC2:TRAP_HANDLER: 0
; COMPUTE_PGM_RSRC2:TGID_X_EN: 1
; COMPUTE_PGM_RSRC2:TGID_Y_EN: 0
; COMPUTE_PGM_RSRC2:TGID_Z_EN: 0
; COMPUTE_PGM_RSRC2:TIDIG_COMP_CNT: 0
	.section	.text._ZN7rocprim17ROCPRIM_400000_NS6detail17trampoline_kernelINS0_14default_configENS1_35radix_sort_onesweep_config_selectorIaNS0_10empty_typeEEEZNS1_34radix_sort_onesweep_global_offsetsIS3_Lb0EPKaPS5_mNS0_19identity_decomposerEEE10hipError_tT1_T2_PT3_SF_jT4_jjP12ihipStream_tbEUlT_E0_NS1_11comp_targetILNS1_3genE2ELNS1_11target_archE906ELNS1_3gpuE6ELNS1_3repE0EEENS1_52radix_sort_onesweep_histogram_config_static_selectorELNS0_4arch9wavefront6targetE0EEEvSD_,"axG",@progbits,_ZN7rocprim17ROCPRIM_400000_NS6detail17trampoline_kernelINS0_14default_configENS1_35radix_sort_onesweep_config_selectorIaNS0_10empty_typeEEEZNS1_34radix_sort_onesweep_global_offsetsIS3_Lb0EPKaPS5_mNS0_19identity_decomposerEEE10hipError_tT1_T2_PT3_SF_jT4_jjP12ihipStream_tbEUlT_E0_NS1_11comp_targetILNS1_3genE2ELNS1_11target_archE906ELNS1_3gpuE6ELNS1_3repE0EEENS1_52radix_sort_onesweep_histogram_config_static_selectorELNS0_4arch9wavefront6targetE0EEEvSD_,comdat
	.protected	_ZN7rocprim17ROCPRIM_400000_NS6detail17trampoline_kernelINS0_14default_configENS1_35radix_sort_onesweep_config_selectorIaNS0_10empty_typeEEEZNS1_34radix_sort_onesweep_global_offsetsIS3_Lb0EPKaPS5_mNS0_19identity_decomposerEEE10hipError_tT1_T2_PT3_SF_jT4_jjP12ihipStream_tbEUlT_E0_NS1_11comp_targetILNS1_3genE2ELNS1_11target_archE906ELNS1_3gpuE6ELNS1_3repE0EEENS1_52radix_sort_onesweep_histogram_config_static_selectorELNS0_4arch9wavefront6targetE0EEEvSD_ ; -- Begin function _ZN7rocprim17ROCPRIM_400000_NS6detail17trampoline_kernelINS0_14default_configENS1_35radix_sort_onesweep_config_selectorIaNS0_10empty_typeEEEZNS1_34radix_sort_onesweep_global_offsetsIS3_Lb0EPKaPS5_mNS0_19identity_decomposerEEE10hipError_tT1_T2_PT3_SF_jT4_jjP12ihipStream_tbEUlT_E0_NS1_11comp_targetILNS1_3genE2ELNS1_11target_archE906ELNS1_3gpuE6ELNS1_3repE0EEENS1_52radix_sort_onesweep_histogram_config_static_selectorELNS0_4arch9wavefront6targetE0EEEvSD_
	.globl	_ZN7rocprim17ROCPRIM_400000_NS6detail17trampoline_kernelINS0_14default_configENS1_35radix_sort_onesweep_config_selectorIaNS0_10empty_typeEEEZNS1_34radix_sort_onesweep_global_offsetsIS3_Lb0EPKaPS5_mNS0_19identity_decomposerEEE10hipError_tT1_T2_PT3_SF_jT4_jjP12ihipStream_tbEUlT_E0_NS1_11comp_targetILNS1_3genE2ELNS1_11target_archE906ELNS1_3gpuE6ELNS1_3repE0EEENS1_52radix_sort_onesweep_histogram_config_static_selectorELNS0_4arch9wavefront6targetE0EEEvSD_
	.p2align	8
	.type	_ZN7rocprim17ROCPRIM_400000_NS6detail17trampoline_kernelINS0_14default_configENS1_35radix_sort_onesweep_config_selectorIaNS0_10empty_typeEEEZNS1_34radix_sort_onesweep_global_offsetsIS3_Lb0EPKaPS5_mNS0_19identity_decomposerEEE10hipError_tT1_T2_PT3_SF_jT4_jjP12ihipStream_tbEUlT_E0_NS1_11comp_targetILNS1_3genE2ELNS1_11target_archE906ELNS1_3gpuE6ELNS1_3repE0EEENS1_52radix_sort_onesweep_histogram_config_static_selectorELNS0_4arch9wavefront6targetE0EEEvSD_,@function
_ZN7rocprim17ROCPRIM_400000_NS6detail17trampoline_kernelINS0_14default_configENS1_35radix_sort_onesweep_config_selectorIaNS0_10empty_typeEEEZNS1_34radix_sort_onesweep_global_offsetsIS3_Lb0EPKaPS5_mNS0_19identity_decomposerEEE10hipError_tT1_T2_PT3_SF_jT4_jjP12ihipStream_tbEUlT_E0_NS1_11comp_targetILNS1_3genE2ELNS1_11target_archE906ELNS1_3gpuE6ELNS1_3repE0EEENS1_52radix_sort_onesweep_histogram_config_static_selectorELNS0_4arch9wavefront6targetE0EEEvSD_: ; @_ZN7rocprim17ROCPRIM_400000_NS6detail17trampoline_kernelINS0_14default_configENS1_35radix_sort_onesweep_config_selectorIaNS0_10empty_typeEEEZNS1_34radix_sort_onesweep_global_offsetsIS3_Lb0EPKaPS5_mNS0_19identity_decomposerEEE10hipError_tT1_T2_PT3_SF_jT4_jjP12ihipStream_tbEUlT_E0_NS1_11comp_targetILNS1_3genE2ELNS1_11target_archE906ELNS1_3gpuE6ELNS1_3repE0EEENS1_52radix_sort_onesweep_histogram_config_static_selectorELNS0_4arch9wavefront6targetE0EEEvSD_
; %bb.0:
	.section	.rodata,"a",@progbits
	.p2align	6, 0x0
	.amdhsa_kernel _ZN7rocprim17ROCPRIM_400000_NS6detail17trampoline_kernelINS0_14default_configENS1_35radix_sort_onesweep_config_selectorIaNS0_10empty_typeEEEZNS1_34radix_sort_onesweep_global_offsetsIS3_Lb0EPKaPS5_mNS0_19identity_decomposerEEE10hipError_tT1_T2_PT3_SF_jT4_jjP12ihipStream_tbEUlT_E0_NS1_11comp_targetILNS1_3genE2ELNS1_11target_archE906ELNS1_3gpuE6ELNS1_3repE0EEENS1_52radix_sort_onesweep_histogram_config_static_selectorELNS0_4arch9wavefront6targetE0EEEvSD_
		.amdhsa_group_segment_fixed_size 0
		.amdhsa_private_segment_fixed_size 0
		.amdhsa_kernarg_size 8
		.amdhsa_user_sgpr_count 2
		.amdhsa_user_sgpr_dispatch_ptr 0
		.amdhsa_user_sgpr_queue_ptr 0
		.amdhsa_user_sgpr_kernarg_segment_ptr 1
		.amdhsa_user_sgpr_dispatch_id 0
		.amdhsa_user_sgpr_kernarg_preload_length 0
		.amdhsa_user_sgpr_kernarg_preload_offset 0
		.amdhsa_user_sgpr_private_segment_size 0
		.amdhsa_wavefront_size32 1
		.amdhsa_uses_dynamic_stack 0
		.amdhsa_enable_private_segment 0
		.amdhsa_system_sgpr_workgroup_id_x 1
		.amdhsa_system_sgpr_workgroup_id_y 0
		.amdhsa_system_sgpr_workgroup_id_z 0
		.amdhsa_system_sgpr_workgroup_info 0
		.amdhsa_system_vgpr_workitem_id 0
		.amdhsa_next_free_vgpr 1
		.amdhsa_next_free_sgpr 1
		.amdhsa_named_barrier_count 0
		.amdhsa_reserve_vcc 0
		.amdhsa_float_round_mode_32 0
		.amdhsa_float_round_mode_16_64 0
		.amdhsa_float_denorm_mode_32 3
		.amdhsa_float_denorm_mode_16_64 3
		.amdhsa_fp16_overflow 0
		.amdhsa_memory_ordered 1
		.amdhsa_forward_progress 1
		.amdhsa_inst_pref_size 0
		.amdhsa_round_robin_scheduling 0
		.amdhsa_exception_fp_ieee_invalid_op 0
		.amdhsa_exception_fp_denorm_src 0
		.amdhsa_exception_fp_ieee_div_zero 0
		.amdhsa_exception_fp_ieee_overflow 0
		.amdhsa_exception_fp_ieee_underflow 0
		.amdhsa_exception_fp_ieee_inexact 0
		.amdhsa_exception_int_div_zero 0
	.end_amdhsa_kernel
	.section	.text._ZN7rocprim17ROCPRIM_400000_NS6detail17trampoline_kernelINS0_14default_configENS1_35radix_sort_onesweep_config_selectorIaNS0_10empty_typeEEEZNS1_34radix_sort_onesweep_global_offsetsIS3_Lb0EPKaPS5_mNS0_19identity_decomposerEEE10hipError_tT1_T2_PT3_SF_jT4_jjP12ihipStream_tbEUlT_E0_NS1_11comp_targetILNS1_3genE2ELNS1_11target_archE906ELNS1_3gpuE6ELNS1_3repE0EEENS1_52radix_sort_onesweep_histogram_config_static_selectorELNS0_4arch9wavefront6targetE0EEEvSD_,"axG",@progbits,_ZN7rocprim17ROCPRIM_400000_NS6detail17trampoline_kernelINS0_14default_configENS1_35radix_sort_onesweep_config_selectorIaNS0_10empty_typeEEEZNS1_34radix_sort_onesweep_global_offsetsIS3_Lb0EPKaPS5_mNS0_19identity_decomposerEEE10hipError_tT1_T2_PT3_SF_jT4_jjP12ihipStream_tbEUlT_E0_NS1_11comp_targetILNS1_3genE2ELNS1_11target_archE906ELNS1_3gpuE6ELNS1_3repE0EEENS1_52radix_sort_onesweep_histogram_config_static_selectorELNS0_4arch9wavefront6targetE0EEEvSD_,comdat
.Lfunc_end460:
	.size	_ZN7rocprim17ROCPRIM_400000_NS6detail17trampoline_kernelINS0_14default_configENS1_35radix_sort_onesweep_config_selectorIaNS0_10empty_typeEEEZNS1_34radix_sort_onesweep_global_offsetsIS3_Lb0EPKaPS5_mNS0_19identity_decomposerEEE10hipError_tT1_T2_PT3_SF_jT4_jjP12ihipStream_tbEUlT_E0_NS1_11comp_targetILNS1_3genE2ELNS1_11target_archE906ELNS1_3gpuE6ELNS1_3repE0EEENS1_52radix_sort_onesweep_histogram_config_static_selectorELNS0_4arch9wavefront6targetE0EEEvSD_, .Lfunc_end460-_ZN7rocprim17ROCPRIM_400000_NS6detail17trampoline_kernelINS0_14default_configENS1_35radix_sort_onesweep_config_selectorIaNS0_10empty_typeEEEZNS1_34radix_sort_onesweep_global_offsetsIS3_Lb0EPKaPS5_mNS0_19identity_decomposerEEE10hipError_tT1_T2_PT3_SF_jT4_jjP12ihipStream_tbEUlT_E0_NS1_11comp_targetILNS1_3genE2ELNS1_11target_archE906ELNS1_3gpuE6ELNS1_3repE0EEENS1_52radix_sort_onesweep_histogram_config_static_selectorELNS0_4arch9wavefront6targetE0EEEvSD_
                                        ; -- End function
	.set _ZN7rocprim17ROCPRIM_400000_NS6detail17trampoline_kernelINS0_14default_configENS1_35radix_sort_onesweep_config_selectorIaNS0_10empty_typeEEEZNS1_34radix_sort_onesweep_global_offsetsIS3_Lb0EPKaPS5_mNS0_19identity_decomposerEEE10hipError_tT1_T2_PT3_SF_jT4_jjP12ihipStream_tbEUlT_E0_NS1_11comp_targetILNS1_3genE2ELNS1_11target_archE906ELNS1_3gpuE6ELNS1_3repE0EEENS1_52radix_sort_onesweep_histogram_config_static_selectorELNS0_4arch9wavefront6targetE0EEEvSD_.num_vgpr, 0
	.set _ZN7rocprim17ROCPRIM_400000_NS6detail17trampoline_kernelINS0_14default_configENS1_35radix_sort_onesweep_config_selectorIaNS0_10empty_typeEEEZNS1_34radix_sort_onesweep_global_offsetsIS3_Lb0EPKaPS5_mNS0_19identity_decomposerEEE10hipError_tT1_T2_PT3_SF_jT4_jjP12ihipStream_tbEUlT_E0_NS1_11comp_targetILNS1_3genE2ELNS1_11target_archE906ELNS1_3gpuE6ELNS1_3repE0EEENS1_52radix_sort_onesweep_histogram_config_static_selectorELNS0_4arch9wavefront6targetE0EEEvSD_.num_agpr, 0
	.set _ZN7rocprim17ROCPRIM_400000_NS6detail17trampoline_kernelINS0_14default_configENS1_35radix_sort_onesweep_config_selectorIaNS0_10empty_typeEEEZNS1_34radix_sort_onesweep_global_offsetsIS3_Lb0EPKaPS5_mNS0_19identity_decomposerEEE10hipError_tT1_T2_PT3_SF_jT4_jjP12ihipStream_tbEUlT_E0_NS1_11comp_targetILNS1_3genE2ELNS1_11target_archE906ELNS1_3gpuE6ELNS1_3repE0EEENS1_52radix_sort_onesweep_histogram_config_static_selectorELNS0_4arch9wavefront6targetE0EEEvSD_.numbered_sgpr, 0
	.set _ZN7rocprim17ROCPRIM_400000_NS6detail17trampoline_kernelINS0_14default_configENS1_35radix_sort_onesweep_config_selectorIaNS0_10empty_typeEEEZNS1_34radix_sort_onesweep_global_offsetsIS3_Lb0EPKaPS5_mNS0_19identity_decomposerEEE10hipError_tT1_T2_PT3_SF_jT4_jjP12ihipStream_tbEUlT_E0_NS1_11comp_targetILNS1_3genE2ELNS1_11target_archE906ELNS1_3gpuE6ELNS1_3repE0EEENS1_52radix_sort_onesweep_histogram_config_static_selectorELNS0_4arch9wavefront6targetE0EEEvSD_.num_named_barrier, 0
	.set _ZN7rocprim17ROCPRIM_400000_NS6detail17trampoline_kernelINS0_14default_configENS1_35radix_sort_onesweep_config_selectorIaNS0_10empty_typeEEEZNS1_34radix_sort_onesweep_global_offsetsIS3_Lb0EPKaPS5_mNS0_19identity_decomposerEEE10hipError_tT1_T2_PT3_SF_jT4_jjP12ihipStream_tbEUlT_E0_NS1_11comp_targetILNS1_3genE2ELNS1_11target_archE906ELNS1_3gpuE6ELNS1_3repE0EEENS1_52radix_sort_onesweep_histogram_config_static_selectorELNS0_4arch9wavefront6targetE0EEEvSD_.private_seg_size, 0
	.set _ZN7rocprim17ROCPRIM_400000_NS6detail17trampoline_kernelINS0_14default_configENS1_35radix_sort_onesweep_config_selectorIaNS0_10empty_typeEEEZNS1_34radix_sort_onesweep_global_offsetsIS3_Lb0EPKaPS5_mNS0_19identity_decomposerEEE10hipError_tT1_T2_PT3_SF_jT4_jjP12ihipStream_tbEUlT_E0_NS1_11comp_targetILNS1_3genE2ELNS1_11target_archE906ELNS1_3gpuE6ELNS1_3repE0EEENS1_52radix_sort_onesweep_histogram_config_static_selectorELNS0_4arch9wavefront6targetE0EEEvSD_.uses_vcc, 0
	.set _ZN7rocprim17ROCPRIM_400000_NS6detail17trampoline_kernelINS0_14default_configENS1_35radix_sort_onesweep_config_selectorIaNS0_10empty_typeEEEZNS1_34radix_sort_onesweep_global_offsetsIS3_Lb0EPKaPS5_mNS0_19identity_decomposerEEE10hipError_tT1_T2_PT3_SF_jT4_jjP12ihipStream_tbEUlT_E0_NS1_11comp_targetILNS1_3genE2ELNS1_11target_archE906ELNS1_3gpuE6ELNS1_3repE0EEENS1_52radix_sort_onesweep_histogram_config_static_selectorELNS0_4arch9wavefront6targetE0EEEvSD_.uses_flat_scratch, 0
	.set _ZN7rocprim17ROCPRIM_400000_NS6detail17trampoline_kernelINS0_14default_configENS1_35radix_sort_onesweep_config_selectorIaNS0_10empty_typeEEEZNS1_34radix_sort_onesweep_global_offsetsIS3_Lb0EPKaPS5_mNS0_19identity_decomposerEEE10hipError_tT1_T2_PT3_SF_jT4_jjP12ihipStream_tbEUlT_E0_NS1_11comp_targetILNS1_3genE2ELNS1_11target_archE906ELNS1_3gpuE6ELNS1_3repE0EEENS1_52radix_sort_onesweep_histogram_config_static_selectorELNS0_4arch9wavefront6targetE0EEEvSD_.has_dyn_sized_stack, 0
	.set _ZN7rocprim17ROCPRIM_400000_NS6detail17trampoline_kernelINS0_14default_configENS1_35radix_sort_onesweep_config_selectorIaNS0_10empty_typeEEEZNS1_34radix_sort_onesweep_global_offsetsIS3_Lb0EPKaPS5_mNS0_19identity_decomposerEEE10hipError_tT1_T2_PT3_SF_jT4_jjP12ihipStream_tbEUlT_E0_NS1_11comp_targetILNS1_3genE2ELNS1_11target_archE906ELNS1_3gpuE6ELNS1_3repE0EEENS1_52radix_sort_onesweep_histogram_config_static_selectorELNS0_4arch9wavefront6targetE0EEEvSD_.has_recursion, 0
	.set _ZN7rocprim17ROCPRIM_400000_NS6detail17trampoline_kernelINS0_14default_configENS1_35radix_sort_onesweep_config_selectorIaNS0_10empty_typeEEEZNS1_34radix_sort_onesweep_global_offsetsIS3_Lb0EPKaPS5_mNS0_19identity_decomposerEEE10hipError_tT1_T2_PT3_SF_jT4_jjP12ihipStream_tbEUlT_E0_NS1_11comp_targetILNS1_3genE2ELNS1_11target_archE906ELNS1_3gpuE6ELNS1_3repE0EEENS1_52radix_sort_onesweep_histogram_config_static_selectorELNS0_4arch9wavefront6targetE0EEEvSD_.has_indirect_call, 0
	.section	.AMDGPU.csdata,"",@progbits
; Kernel info:
; codeLenInByte = 0
; TotalNumSgprs: 0
; NumVgprs: 0
; ScratchSize: 0
; MemoryBound: 0
; FloatMode: 240
; IeeeMode: 1
; LDSByteSize: 0 bytes/workgroup (compile time only)
; SGPRBlocks: 0
; VGPRBlocks: 0
; NumSGPRsForWavesPerEU: 1
; NumVGPRsForWavesPerEU: 1
; NamedBarCnt: 0
; Occupancy: 16
; WaveLimiterHint : 0
; COMPUTE_PGM_RSRC2:SCRATCH_EN: 0
; COMPUTE_PGM_RSRC2:USER_SGPR: 2
; COMPUTE_PGM_RSRC2:TRAP_HANDLER: 0
; COMPUTE_PGM_RSRC2:TGID_X_EN: 1
; COMPUTE_PGM_RSRC2:TGID_Y_EN: 0
; COMPUTE_PGM_RSRC2:TGID_Z_EN: 0
; COMPUTE_PGM_RSRC2:TIDIG_COMP_CNT: 0
	.section	.text._ZN7rocprim17ROCPRIM_400000_NS6detail17trampoline_kernelINS0_14default_configENS1_35radix_sort_onesweep_config_selectorIaNS0_10empty_typeEEEZNS1_34radix_sort_onesweep_global_offsetsIS3_Lb0EPKaPS5_mNS0_19identity_decomposerEEE10hipError_tT1_T2_PT3_SF_jT4_jjP12ihipStream_tbEUlT_E0_NS1_11comp_targetILNS1_3genE4ELNS1_11target_archE910ELNS1_3gpuE8ELNS1_3repE0EEENS1_52radix_sort_onesweep_histogram_config_static_selectorELNS0_4arch9wavefront6targetE0EEEvSD_,"axG",@progbits,_ZN7rocprim17ROCPRIM_400000_NS6detail17trampoline_kernelINS0_14default_configENS1_35radix_sort_onesweep_config_selectorIaNS0_10empty_typeEEEZNS1_34radix_sort_onesweep_global_offsetsIS3_Lb0EPKaPS5_mNS0_19identity_decomposerEEE10hipError_tT1_T2_PT3_SF_jT4_jjP12ihipStream_tbEUlT_E0_NS1_11comp_targetILNS1_3genE4ELNS1_11target_archE910ELNS1_3gpuE8ELNS1_3repE0EEENS1_52radix_sort_onesweep_histogram_config_static_selectorELNS0_4arch9wavefront6targetE0EEEvSD_,comdat
	.protected	_ZN7rocprim17ROCPRIM_400000_NS6detail17trampoline_kernelINS0_14default_configENS1_35radix_sort_onesweep_config_selectorIaNS0_10empty_typeEEEZNS1_34radix_sort_onesweep_global_offsetsIS3_Lb0EPKaPS5_mNS0_19identity_decomposerEEE10hipError_tT1_T2_PT3_SF_jT4_jjP12ihipStream_tbEUlT_E0_NS1_11comp_targetILNS1_3genE4ELNS1_11target_archE910ELNS1_3gpuE8ELNS1_3repE0EEENS1_52radix_sort_onesweep_histogram_config_static_selectorELNS0_4arch9wavefront6targetE0EEEvSD_ ; -- Begin function _ZN7rocprim17ROCPRIM_400000_NS6detail17trampoline_kernelINS0_14default_configENS1_35radix_sort_onesweep_config_selectorIaNS0_10empty_typeEEEZNS1_34radix_sort_onesweep_global_offsetsIS3_Lb0EPKaPS5_mNS0_19identity_decomposerEEE10hipError_tT1_T2_PT3_SF_jT4_jjP12ihipStream_tbEUlT_E0_NS1_11comp_targetILNS1_3genE4ELNS1_11target_archE910ELNS1_3gpuE8ELNS1_3repE0EEENS1_52radix_sort_onesweep_histogram_config_static_selectorELNS0_4arch9wavefront6targetE0EEEvSD_
	.globl	_ZN7rocprim17ROCPRIM_400000_NS6detail17trampoline_kernelINS0_14default_configENS1_35radix_sort_onesweep_config_selectorIaNS0_10empty_typeEEEZNS1_34radix_sort_onesweep_global_offsetsIS3_Lb0EPKaPS5_mNS0_19identity_decomposerEEE10hipError_tT1_T2_PT3_SF_jT4_jjP12ihipStream_tbEUlT_E0_NS1_11comp_targetILNS1_3genE4ELNS1_11target_archE910ELNS1_3gpuE8ELNS1_3repE0EEENS1_52radix_sort_onesweep_histogram_config_static_selectorELNS0_4arch9wavefront6targetE0EEEvSD_
	.p2align	8
	.type	_ZN7rocprim17ROCPRIM_400000_NS6detail17trampoline_kernelINS0_14default_configENS1_35radix_sort_onesweep_config_selectorIaNS0_10empty_typeEEEZNS1_34radix_sort_onesweep_global_offsetsIS3_Lb0EPKaPS5_mNS0_19identity_decomposerEEE10hipError_tT1_T2_PT3_SF_jT4_jjP12ihipStream_tbEUlT_E0_NS1_11comp_targetILNS1_3genE4ELNS1_11target_archE910ELNS1_3gpuE8ELNS1_3repE0EEENS1_52radix_sort_onesweep_histogram_config_static_selectorELNS0_4arch9wavefront6targetE0EEEvSD_,@function
_ZN7rocprim17ROCPRIM_400000_NS6detail17trampoline_kernelINS0_14default_configENS1_35radix_sort_onesweep_config_selectorIaNS0_10empty_typeEEEZNS1_34radix_sort_onesweep_global_offsetsIS3_Lb0EPKaPS5_mNS0_19identity_decomposerEEE10hipError_tT1_T2_PT3_SF_jT4_jjP12ihipStream_tbEUlT_E0_NS1_11comp_targetILNS1_3genE4ELNS1_11target_archE910ELNS1_3gpuE8ELNS1_3repE0EEENS1_52radix_sort_onesweep_histogram_config_static_selectorELNS0_4arch9wavefront6targetE0EEEvSD_: ; @_ZN7rocprim17ROCPRIM_400000_NS6detail17trampoline_kernelINS0_14default_configENS1_35radix_sort_onesweep_config_selectorIaNS0_10empty_typeEEEZNS1_34radix_sort_onesweep_global_offsetsIS3_Lb0EPKaPS5_mNS0_19identity_decomposerEEE10hipError_tT1_T2_PT3_SF_jT4_jjP12ihipStream_tbEUlT_E0_NS1_11comp_targetILNS1_3genE4ELNS1_11target_archE910ELNS1_3gpuE8ELNS1_3repE0EEENS1_52radix_sort_onesweep_histogram_config_static_selectorELNS0_4arch9wavefront6targetE0EEEvSD_
; %bb.0:
	.section	.rodata,"a",@progbits
	.p2align	6, 0x0
	.amdhsa_kernel _ZN7rocprim17ROCPRIM_400000_NS6detail17trampoline_kernelINS0_14default_configENS1_35radix_sort_onesweep_config_selectorIaNS0_10empty_typeEEEZNS1_34radix_sort_onesweep_global_offsetsIS3_Lb0EPKaPS5_mNS0_19identity_decomposerEEE10hipError_tT1_T2_PT3_SF_jT4_jjP12ihipStream_tbEUlT_E0_NS1_11comp_targetILNS1_3genE4ELNS1_11target_archE910ELNS1_3gpuE8ELNS1_3repE0EEENS1_52radix_sort_onesweep_histogram_config_static_selectorELNS0_4arch9wavefront6targetE0EEEvSD_
		.amdhsa_group_segment_fixed_size 0
		.amdhsa_private_segment_fixed_size 0
		.amdhsa_kernarg_size 8
		.amdhsa_user_sgpr_count 2
		.amdhsa_user_sgpr_dispatch_ptr 0
		.amdhsa_user_sgpr_queue_ptr 0
		.amdhsa_user_sgpr_kernarg_segment_ptr 1
		.amdhsa_user_sgpr_dispatch_id 0
		.amdhsa_user_sgpr_kernarg_preload_length 0
		.amdhsa_user_sgpr_kernarg_preload_offset 0
		.amdhsa_user_sgpr_private_segment_size 0
		.amdhsa_wavefront_size32 1
		.amdhsa_uses_dynamic_stack 0
		.amdhsa_enable_private_segment 0
		.amdhsa_system_sgpr_workgroup_id_x 1
		.amdhsa_system_sgpr_workgroup_id_y 0
		.amdhsa_system_sgpr_workgroup_id_z 0
		.amdhsa_system_sgpr_workgroup_info 0
		.amdhsa_system_vgpr_workitem_id 0
		.amdhsa_next_free_vgpr 1
		.amdhsa_next_free_sgpr 1
		.amdhsa_named_barrier_count 0
		.amdhsa_reserve_vcc 0
		.amdhsa_float_round_mode_32 0
		.amdhsa_float_round_mode_16_64 0
		.amdhsa_float_denorm_mode_32 3
		.amdhsa_float_denorm_mode_16_64 3
		.amdhsa_fp16_overflow 0
		.amdhsa_memory_ordered 1
		.amdhsa_forward_progress 1
		.amdhsa_inst_pref_size 0
		.amdhsa_round_robin_scheduling 0
		.amdhsa_exception_fp_ieee_invalid_op 0
		.amdhsa_exception_fp_denorm_src 0
		.amdhsa_exception_fp_ieee_div_zero 0
		.amdhsa_exception_fp_ieee_overflow 0
		.amdhsa_exception_fp_ieee_underflow 0
		.amdhsa_exception_fp_ieee_inexact 0
		.amdhsa_exception_int_div_zero 0
	.end_amdhsa_kernel
	.section	.text._ZN7rocprim17ROCPRIM_400000_NS6detail17trampoline_kernelINS0_14default_configENS1_35radix_sort_onesweep_config_selectorIaNS0_10empty_typeEEEZNS1_34radix_sort_onesweep_global_offsetsIS3_Lb0EPKaPS5_mNS0_19identity_decomposerEEE10hipError_tT1_T2_PT3_SF_jT4_jjP12ihipStream_tbEUlT_E0_NS1_11comp_targetILNS1_3genE4ELNS1_11target_archE910ELNS1_3gpuE8ELNS1_3repE0EEENS1_52radix_sort_onesweep_histogram_config_static_selectorELNS0_4arch9wavefront6targetE0EEEvSD_,"axG",@progbits,_ZN7rocprim17ROCPRIM_400000_NS6detail17trampoline_kernelINS0_14default_configENS1_35radix_sort_onesweep_config_selectorIaNS0_10empty_typeEEEZNS1_34radix_sort_onesweep_global_offsetsIS3_Lb0EPKaPS5_mNS0_19identity_decomposerEEE10hipError_tT1_T2_PT3_SF_jT4_jjP12ihipStream_tbEUlT_E0_NS1_11comp_targetILNS1_3genE4ELNS1_11target_archE910ELNS1_3gpuE8ELNS1_3repE0EEENS1_52radix_sort_onesweep_histogram_config_static_selectorELNS0_4arch9wavefront6targetE0EEEvSD_,comdat
.Lfunc_end461:
	.size	_ZN7rocprim17ROCPRIM_400000_NS6detail17trampoline_kernelINS0_14default_configENS1_35radix_sort_onesweep_config_selectorIaNS0_10empty_typeEEEZNS1_34radix_sort_onesweep_global_offsetsIS3_Lb0EPKaPS5_mNS0_19identity_decomposerEEE10hipError_tT1_T2_PT3_SF_jT4_jjP12ihipStream_tbEUlT_E0_NS1_11comp_targetILNS1_3genE4ELNS1_11target_archE910ELNS1_3gpuE8ELNS1_3repE0EEENS1_52radix_sort_onesweep_histogram_config_static_selectorELNS0_4arch9wavefront6targetE0EEEvSD_, .Lfunc_end461-_ZN7rocprim17ROCPRIM_400000_NS6detail17trampoline_kernelINS0_14default_configENS1_35radix_sort_onesweep_config_selectorIaNS0_10empty_typeEEEZNS1_34radix_sort_onesweep_global_offsetsIS3_Lb0EPKaPS5_mNS0_19identity_decomposerEEE10hipError_tT1_T2_PT3_SF_jT4_jjP12ihipStream_tbEUlT_E0_NS1_11comp_targetILNS1_3genE4ELNS1_11target_archE910ELNS1_3gpuE8ELNS1_3repE0EEENS1_52radix_sort_onesweep_histogram_config_static_selectorELNS0_4arch9wavefront6targetE0EEEvSD_
                                        ; -- End function
	.set _ZN7rocprim17ROCPRIM_400000_NS6detail17trampoline_kernelINS0_14default_configENS1_35radix_sort_onesweep_config_selectorIaNS0_10empty_typeEEEZNS1_34radix_sort_onesweep_global_offsetsIS3_Lb0EPKaPS5_mNS0_19identity_decomposerEEE10hipError_tT1_T2_PT3_SF_jT4_jjP12ihipStream_tbEUlT_E0_NS1_11comp_targetILNS1_3genE4ELNS1_11target_archE910ELNS1_3gpuE8ELNS1_3repE0EEENS1_52radix_sort_onesweep_histogram_config_static_selectorELNS0_4arch9wavefront6targetE0EEEvSD_.num_vgpr, 0
	.set _ZN7rocprim17ROCPRIM_400000_NS6detail17trampoline_kernelINS0_14default_configENS1_35radix_sort_onesweep_config_selectorIaNS0_10empty_typeEEEZNS1_34radix_sort_onesweep_global_offsetsIS3_Lb0EPKaPS5_mNS0_19identity_decomposerEEE10hipError_tT1_T2_PT3_SF_jT4_jjP12ihipStream_tbEUlT_E0_NS1_11comp_targetILNS1_3genE4ELNS1_11target_archE910ELNS1_3gpuE8ELNS1_3repE0EEENS1_52radix_sort_onesweep_histogram_config_static_selectorELNS0_4arch9wavefront6targetE0EEEvSD_.num_agpr, 0
	.set _ZN7rocprim17ROCPRIM_400000_NS6detail17trampoline_kernelINS0_14default_configENS1_35radix_sort_onesweep_config_selectorIaNS0_10empty_typeEEEZNS1_34radix_sort_onesweep_global_offsetsIS3_Lb0EPKaPS5_mNS0_19identity_decomposerEEE10hipError_tT1_T2_PT3_SF_jT4_jjP12ihipStream_tbEUlT_E0_NS1_11comp_targetILNS1_3genE4ELNS1_11target_archE910ELNS1_3gpuE8ELNS1_3repE0EEENS1_52radix_sort_onesweep_histogram_config_static_selectorELNS0_4arch9wavefront6targetE0EEEvSD_.numbered_sgpr, 0
	.set _ZN7rocprim17ROCPRIM_400000_NS6detail17trampoline_kernelINS0_14default_configENS1_35radix_sort_onesweep_config_selectorIaNS0_10empty_typeEEEZNS1_34radix_sort_onesweep_global_offsetsIS3_Lb0EPKaPS5_mNS0_19identity_decomposerEEE10hipError_tT1_T2_PT3_SF_jT4_jjP12ihipStream_tbEUlT_E0_NS1_11comp_targetILNS1_3genE4ELNS1_11target_archE910ELNS1_3gpuE8ELNS1_3repE0EEENS1_52radix_sort_onesweep_histogram_config_static_selectorELNS0_4arch9wavefront6targetE0EEEvSD_.num_named_barrier, 0
	.set _ZN7rocprim17ROCPRIM_400000_NS6detail17trampoline_kernelINS0_14default_configENS1_35radix_sort_onesweep_config_selectorIaNS0_10empty_typeEEEZNS1_34radix_sort_onesweep_global_offsetsIS3_Lb0EPKaPS5_mNS0_19identity_decomposerEEE10hipError_tT1_T2_PT3_SF_jT4_jjP12ihipStream_tbEUlT_E0_NS1_11comp_targetILNS1_3genE4ELNS1_11target_archE910ELNS1_3gpuE8ELNS1_3repE0EEENS1_52radix_sort_onesweep_histogram_config_static_selectorELNS0_4arch9wavefront6targetE0EEEvSD_.private_seg_size, 0
	.set _ZN7rocprim17ROCPRIM_400000_NS6detail17trampoline_kernelINS0_14default_configENS1_35radix_sort_onesweep_config_selectorIaNS0_10empty_typeEEEZNS1_34radix_sort_onesweep_global_offsetsIS3_Lb0EPKaPS5_mNS0_19identity_decomposerEEE10hipError_tT1_T2_PT3_SF_jT4_jjP12ihipStream_tbEUlT_E0_NS1_11comp_targetILNS1_3genE4ELNS1_11target_archE910ELNS1_3gpuE8ELNS1_3repE0EEENS1_52radix_sort_onesweep_histogram_config_static_selectorELNS0_4arch9wavefront6targetE0EEEvSD_.uses_vcc, 0
	.set _ZN7rocprim17ROCPRIM_400000_NS6detail17trampoline_kernelINS0_14default_configENS1_35radix_sort_onesweep_config_selectorIaNS0_10empty_typeEEEZNS1_34radix_sort_onesweep_global_offsetsIS3_Lb0EPKaPS5_mNS0_19identity_decomposerEEE10hipError_tT1_T2_PT3_SF_jT4_jjP12ihipStream_tbEUlT_E0_NS1_11comp_targetILNS1_3genE4ELNS1_11target_archE910ELNS1_3gpuE8ELNS1_3repE0EEENS1_52radix_sort_onesweep_histogram_config_static_selectorELNS0_4arch9wavefront6targetE0EEEvSD_.uses_flat_scratch, 0
	.set _ZN7rocprim17ROCPRIM_400000_NS6detail17trampoline_kernelINS0_14default_configENS1_35radix_sort_onesweep_config_selectorIaNS0_10empty_typeEEEZNS1_34radix_sort_onesweep_global_offsetsIS3_Lb0EPKaPS5_mNS0_19identity_decomposerEEE10hipError_tT1_T2_PT3_SF_jT4_jjP12ihipStream_tbEUlT_E0_NS1_11comp_targetILNS1_3genE4ELNS1_11target_archE910ELNS1_3gpuE8ELNS1_3repE0EEENS1_52radix_sort_onesweep_histogram_config_static_selectorELNS0_4arch9wavefront6targetE0EEEvSD_.has_dyn_sized_stack, 0
	.set _ZN7rocprim17ROCPRIM_400000_NS6detail17trampoline_kernelINS0_14default_configENS1_35radix_sort_onesweep_config_selectorIaNS0_10empty_typeEEEZNS1_34radix_sort_onesweep_global_offsetsIS3_Lb0EPKaPS5_mNS0_19identity_decomposerEEE10hipError_tT1_T2_PT3_SF_jT4_jjP12ihipStream_tbEUlT_E0_NS1_11comp_targetILNS1_3genE4ELNS1_11target_archE910ELNS1_3gpuE8ELNS1_3repE0EEENS1_52radix_sort_onesweep_histogram_config_static_selectorELNS0_4arch9wavefront6targetE0EEEvSD_.has_recursion, 0
	.set _ZN7rocprim17ROCPRIM_400000_NS6detail17trampoline_kernelINS0_14default_configENS1_35radix_sort_onesweep_config_selectorIaNS0_10empty_typeEEEZNS1_34radix_sort_onesweep_global_offsetsIS3_Lb0EPKaPS5_mNS0_19identity_decomposerEEE10hipError_tT1_T2_PT3_SF_jT4_jjP12ihipStream_tbEUlT_E0_NS1_11comp_targetILNS1_3genE4ELNS1_11target_archE910ELNS1_3gpuE8ELNS1_3repE0EEENS1_52radix_sort_onesweep_histogram_config_static_selectorELNS0_4arch9wavefront6targetE0EEEvSD_.has_indirect_call, 0
	.section	.AMDGPU.csdata,"",@progbits
; Kernel info:
; codeLenInByte = 0
; TotalNumSgprs: 0
; NumVgprs: 0
; ScratchSize: 0
; MemoryBound: 0
; FloatMode: 240
; IeeeMode: 1
; LDSByteSize: 0 bytes/workgroup (compile time only)
; SGPRBlocks: 0
; VGPRBlocks: 0
; NumSGPRsForWavesPerEU: 1
; NumVGPRsForWavesPerEU: 1
; NamedBarCnt: 0
; Occupancy: 16
; WaveLimiterHint : 0
; COMPUTE_PGM_RSRC2:SCRATCH_EN: 0
; COMPUTE_PGM_RSRC2:USER_SGPR: 2
; COMPUTE_PGM_RSRC2:TRAP_HANDLER: 0
; COMPUTE_PGM_RSRC2:TGID_X_EN: 1
; COMPUTE_PGM_RSRC2:TGID_Y_EN: 0
; COMPUTE_PGM_RSRC2:TGID_Z_EN: 0
; COMPUTE_PGM_RSRC2:TIDIG_COMP_CNT: 0
	.section	.text._ZN7rocprim17ROCPRIM_400000_NS6detail17trampoline_kernelINS0_14default_configENS1_35radix_sort_onesweep_config_selectorIaNS0_10empty_typeEEEZNS1_34radix_sort_onesweep_global_offsetsIS3_Lb0EPKaPS5_mNS0_19identity_decomposerEEE10hipError_tT1_T2_PT3_SF_jT4_jjP12ihipStream_tbEUlT_E0_NS1_11comp_targetILNS1_3genE3ELNS1_11target_archE908ELNS1_3gpuE7ELNS1_3repE0EEENS1_52radix_sort_onesweep_histogram_config_static_selectorELNS0_4arch9wavefront6targetE0EEEvSD_,"axG",@progbits,_ZN7rocprim17ROCPRIM_400000_NS6detail17trampoline_kernelINS0_14default_configENS1_35radix_sort_onesweep_config_selectorIaNS0_10empty_typeEEEZNS1_34radix_sort_onesweep_global_offsetsIS3_Lb0EPKaPS5_mNS0_19identity_decomposerEEE10hipError_tT1_T2_PT3_SF_jT4_jjP12ihipStream_tbEUlT_E0_NS1_11comp_targetILNS1_3genE3ELNS1_11target_archE908ELNS1_3gpuE7ELNS1_3repE0EEENS1_52radix_sort_onesweep_histogram_config_static_selectorELNS0_4arch9wavefront6targetE0EEEvSD_,comdat
	.protected	_ZN7rocprim17ROCPRIM_400000_NS6detail17trampoline_kernelINS0_14default_configENS1_35radix_sort_onesweep_config_selectorIaNS0_10empty_typeEEEZNS1_34radix_sort_onesweep_global_offsetsIS3_Lb0EPKaPS5_mNS0_19identity_decomposerEEE10hipError_tT1_T2_PT3_SF_jT4_jjP12ihipStream_tbEUlT_E0_NS1_11comp_targetILNS1_3genE3ELNS1_11target_archE908ELNS1_3gpuE7ELNS1_3repE0EEENS1_52radix_sort_onesweep_histogram_config_static_selectorELNS0_4arch9wavefront6targetE0EEEvSD_ ; -- Begin function _ZN7rocprim17ROCPRIM_400000_NS6detail17trampoline_kernelINS0_14default_configENS1_35radix_sort_onesweep_config_selectorIaNS0_10empty_typeEEEZNS1_34radix_sort_onesweep_global_offsetsIS3_Lb0EPKaPS5_mNS0_19identity_decomposerEEE10hipError_tT1_T2_PT3_SF_jT4_jjP12ihipStream_tbEUlT_E0_NS1_11comp_targetILNS1_3genE3ELNS1_11target_archE908ELNS1_3gpuE7ELNS1_3repE0EEENS1_52radix_sort_onesweep_histogram_config_static_selectorELNS0_4arch9wavefront6targetE0EEEvSD_
	.globl	_ZN7rocprim17ROCPRIM_400000_NS6detail17trampoline_kernelINS0_14default_configENS1_35radix_sort_onesweep_config_selectorIaNS0_10empty_typeEEEZNS1_34radix_sort_onesweep_global_offsetsIS3_Lb0EPKaPS5_mNS0_19identity_decomposerEEE10hipError_tT1_T2_PT3_SF_jT4_jjP12ihipStream_tbEUlT_E0_NS1_11comp_targetILNS1_3genE3ELNS1_11target_archE908ELNS1_3gpuE7ELNS1_3repE0EEENS1_52radix_sort_onesweep_histogram_config_static_selectorELNS0_4arch9wavefront6targetE0EEEvSD_
	.p2align	8
	.type	_ZN7rocprim17ROCPRIM_400000_NS6detail17trampoline_kernelINS0_14default_configENS1_35radix_sort_onesweep_config_selectorIaNS0_10empty_typeEEEZNS1_34radix_sort_onesweep_global_offsetsIS3_Lb0EPKaPS5_mNS0_19identity_decomposerEEE10hipError_tT1_T2_PT3_SF_jT4_jjP12ihipStream_tbEUlT_E0_NS1_11comp_targetILNS1_3genE3ELNS1_11target_archE908ELNS1_3gpuE7ELNS1_3repE0EEENS1_52radix_sort_onesweep_histogram_config_static_selectorELNS0_4arch9wavefront6targetE0EEEvSD_,@function
_ZN7rocprim17ROCPRIM_400000_NS6detail17trampoline_kernelINS0_14default_configENS1_35radix_sort_onesweep_config_selectorIaNS0_10empty_typeEEEZNS1_34radix_sort_onesweep_global_offsetsIS3_Lb0EPKaPS5_mNS0_19identity_decomposerEEE10hipError_tT1_T2_PT3_SF_jT4_jjP12ihipStream_tbEUlT_E0_NS1_11comp_targetILNS1_3genE3ELNS1_11target_archE908ELNS1_3gpuE7ELNS1_3repE0EEENS1_52radix_sort_onesweep_histogram_config_static_selectorELNS0_4arch9wavefront6targetE0EEEvSD_: ; @_ZN7rocprim17ROCPRIM_400000_NS6detail17trampoline_kernelINS0_14default_configENS1_35radix_sort_onesweep_config_selectorIaNS0_10empty_typeEEEZNS1_34radix_sort_onesweep_global_offsetsIS3_Lb0EPKaPS5_mNS0_19identity_decomposerEEE10hipError_tT1_T2_PT3_SF_jT4_jjP12ihipStream_tbEUlT_E0_NS1_11comp_targetILNS1_3genE3ELNS1_11target_archE908ELNS1_3gpuE7ELNS1_3repE0EEENS1_52radix_sort_onesweep_histogram_config_static_selectorELNS0_4arch9wavefront6targetE0EEEvSD_
; %bb.0:
	.section	.rodata,"a",@progbits
	.p2align	6, 0x0
	.amdhsa_kernel _ZN7rocprim17ROCPRIM_400000_NS6detail17trampoline_kernelINS0_14default_configENS1_35radix_sort_onesweep_config_selectorIaNS0_10empty_typeEEEZNS1_34radix_sort_onesweep_global_offsetsIS3_Lb0EPKaPS5_mNS0_19identity_decomposerEEE10hipError_tT1_T2_PT3_SF_jT4_jjP12ihipStream_tbEUlT_E0_NS1_11comp_targetILNS1_3genE3ELNS1_11target_archE908ELNS1_3gpuE7ELNS1_3repE0EEENS1_52radix_sort_onesweep_histogram_config_static_selectorELNS0_4arch9wavefront6targetE0EEEvSD_
		.amdhsa_group_segment_fixed_size 0
		.amdhsa_private_segment_fixed_size 0
		.amdhsa_kernarg_size 8
		.amdhsa_user_sgpr_count 2
		.amdhsa_user_sgpr_dispatch_ptr 0
		.amdhsa_user_sgpr_queue_ptr 0
		.amdhsa_user_sgpr_kernarg_segment_ptr 1
		.amdhsa_user_sgpr_dispatch_id 0
		.amdhsa_user_sgpr_kernarg_preload_length 0
		.amdhsa_user_sgpr_kernarg_preload_offset 0
		.amdhsa_user_sgpr_private_segment_size 0
		.amdhsa_wavefront_size32 1
		.amdhsa_uses_dynamic_stack 0
		.amdhsa_enable_private_segment 0
		.amdhsa_system_sgpr_workgroup_id_x 1
		.amdhsa_system_sgpr_workgroup_id_y 0
		.amdhsa_system_sgpr_workgroup_id_z 0
		.amdhsa_system_sgpr_workgroup_info 0
		.amdhsa_system_vgpr_workitem_id 0
		.amdhsa_next_free_vgpr 1
		.amdhsa_next_free_sgpr 1
		.amdhsa_named_barrier_count 0
		.amdhsa_reserve_vcc 0
		.amdhsa_float_round_mode_32 0
		.amdhsa_float_round_mode_16_64 0
		.amdhsa_float_denorm_mode_32 3
		.amdhsa_float_denorm_mode_16_64 3
		.amdhsa_fp16_overflow 0
		.amdhsa_memory_ordered 1
		.amdhsa_forward_progress 1
		.amdhsa_inst_pref_size 0
		.amdhsa_round_robin_scheduling 0
		.amdhsa_exception_fp_ieee_invalid_op 0
		.amdhsa_exception_fp_denorm_src 0
		.amdhsa_exception_fp_ieee_div_zero 0
		.amdhsa_exception_fp_ieee_overflow 0
		.amdhsa_exception_fp_ieee_underflow 0
		.amdhsa_exception_fp_ieee_inexact 0
		.amdhsa_exception_int_div_zero 0
	.end_amdhsa_kernel
	.section	.text._ZN7rocprim17ROCPRIM_400000_NS6detail17trampoline_kernelINS0_14default_configENS1_35radix_sort_onesweep_config_selectorIaNS0_10empty_typeEEEZNS1_34radix_sort_onesweep_global_offsetsIS3_Lb0EPKaPS5_mNS0_19identity_decomposerEEE10hipError_tT1_T2_PT3_SF_jT4_jjP12ihipStream_tbEUlT_E0_NS1_11comp_targetILNS1_3genE3ELNS1_11target_archE908ELNS1_3gpuE7ELNS1_3repE0EEENS1_52radix_sort_onesweep_histogram_config_static_selectorELNS0_4arch9wavefront6targetE0EEEvSD_,"axG",@progbits,_ZN7rocprim17ROCPRIM_400000_NS6detail17trampoline_kernelINS0_14default_configENS1_35radix_sort_onesweep_config_selectorIaNS0_10empty_typeEEEZNS1_34radix_sort_onesweep_global_offsetsIS3_Lb0EPKaPS5_mNS0_19identity_decomposerEEE10hipError_tT1_T2_PT3_SF_jT4_jjP12ihipStream_tbEUlT_E0_NS1_11comp_targetILNS1_3genE3ELNS1_11target_archE908ELNS1_3gpuE7ELNS1_3repE0EEENS1_52radix_sort_onesweep_histogram_config_static_selectorELNS0_4arch9wavefront6targetE0EEEvSD_,comdat
.Lfunc_end462:
	.size	_ZN7rocprim17ROCPRIM_400000_NS6detail17trampoline_kernelINS0_14default_configENS1_35radix_sort_onesweep_config_selectorIaNS0_10empty_typeEEEZNS1_34radix_sort_onesweep_global_offsetsIS3_Lb0EPKaPS5_mNS0_19identity_decomposerEEE10hipError_tT1_T2_PT3_SF_jT4_jjP12ihipStream_tbEUlT_E0_NS1_11comp_targetILNS1_3genE3ELNS1_11target_archE908ELNS1_3gpuE7ELNS1_3repE0EEENS1_52radix_sort_onesweep_histogram_config_static_selectorELNS0_4arch9wavefront6targetE0EEEvSD_, .Lfunc_end462-_ZN7rocprim17ROCPRIM_400000_NS6detail17trampoline_kernelINS0_14default_configENS1_35radix_sort_onesweep_config_selectorIaNS0_10empty_typeEEEZNS1_34radix_sort_onesweep_global_offsetsIS3_Lb0EPKaPS5_mNS0_19identity_decomposerEEE10hipError_tT1_T2_PT3_SF_jT4_jjP12ihipStream_tbEUlT_E0_NS1_11comp_targetILNS1_3genE3ELNS1_11target_archE908ELNS1_3gpuE7ELNS1_3repE0EEENS1_52radix_sort_onesweep_histogram_config_static_selectorELNS0_4arch9wavefront6targetE0EEEvSD_
                                        ; -- End function
	.set _ZN7rocprim17ROCPRIM_400000_NS6detail17trampoline_kernelINS0_14default_configENS1_35radix_sort_onesweep_config_selectorIaNS0_10empty_typeEEEZNS1_34radix_sort_onesweep_global_offsetsIS3_Lb0EPKaPS5_mNS0_19identity_decomposerEEE10hipError_tT1_T2_PT3_SF_jT4_jjP12ihipStream_tbEUlT_E0_NS1_11comp_targetILNS1_3genE3ELNS1_11target_archE908ELNS1_3gpuE7ELNS1_3repE0EEENS1_52radix_sort_onesweep_histogram_config_static_selectorELNS0_4arch9wavefront6targetE0EEEvSD_.num_vgpr, 0
	.set _ZN7rocprim17ROCPRIM_400000_NS6detail17trampoline_kernelINS0_14default_configENS1_35radix_sort_onesweep_config_selectorIaNS0_10empty_typeEEEZNS1_34radix_sort_onesweep_global_offsetsIS3_Lb0EPKaPS5_mNS0_19identity_decomposerEEE10hipError_tT1_T2_PT3_SF_jT4_jjP12ihipStream_tbEUlT_E0_NS1_11comp_targetILNS1_3genE3ELNS1_11target_archE908ELNS1_3gpuE7ELNS1_3repE0EEENS1_52radix_sort_onesweep_histogram_config_static_selectorELNS0_4arch9wavefront6targetE0EEEvSD_.num_agpr, 0
	.set _ZN7rocprim17ROCPRIM_400000_NS6detail17trampoline_kernelINS0_14default_configENS1_35radix_sort_onesweep_config_selectorIaNS0_10empty_typeEEEZNS1_34radix_sort_onesweep_global_offsetsIS3_Lb0EPKaPS5_mNS0_19identity_decomposerEEE10hipError_tT1_T2_PT3_SF_jT4_jjP12ihipStream_tbEUlT_E0_NS1_11comp_targetILNS1_3genE3ELNS1_11target_archE908ELNS1_3gpuE7ELNS1_3repE0EEENS1_52radix_sort_onesweep_histogram_config_static_selectorELNS0_4arch9wavefront6targetE0EEEvSD_.numbered_sgpr, 0
	.set _ZN7rocprim17ROCPRIM_400000_NS6detail17trampoline_kernelINS0_14default_configENS1_35radix_sort_onesweep_config_selectorIaNS0_10empty_typeEEEZNS1_34radix_sort_onesweep_global_offsetsIS3_Lb0EPKaPS5_mNS0_19identity_decomposerEEE10hipError_tT1_T2_PT3_SF_jT4_jjP12ihipStream_tbEUlT_E0_NS1_11comp_targetILNS1_3genE3ELNS1_11target_archE908ELNS1_3gpuE7ELNS1_3repE0EEENS1_52radix_sort_onesweep_histogram_config_static_selectorELNS0_4arch9wavefront6targetE0EEEvSD_.num_named_barrier, 0
	.set _ZN7rocprim17ROCPRIM_400000_NS6detail17trampoline_kernelINS0_14default_configENS1_35radix_sort_onesweep_config_selectorIaNS0_10empty_typeEEEZNS1_34radix_sort_onesweep_global_offsetsIS3_Lb0EPKaPS5_mNS0_19identity_decomposerEEE10hipError_tT1_T2_PT3_SF_jT4_jjP12ihipStream_tbEUlT_E0_NS1_11comp_targetILNS1_3genE3ELNS1_11target_archE908ELNS1_3gpuE7ELNS1_3repE0EEENS1_52radix_sort_onesweep_histogram_config_static_selectorELNS0_4arch9wavefront6targetE0EEEvSD_.private_seg_size, 0
	.set _ZN7rocprim17ROCPRIM_400000_NS6detail17trampoline_kernelINS0_14default_configENS1_35radix_sort_onesweep_config_selectorIaNS0_10empty_typeEEEZNS1_34radix_sort_onesweep_global_offsetsIS3_Lb0EPKaPS5_mNS0_19identity_decomposerEEE10hipError_tT1_T2_PT3_SF_jT4_jjP12ihipStream_tbEUlT_E0_NS1_11comp_targetILNS1_3genE3ELNS1_11target_archE908ELNS1_3gpuE7ELNS1_3repE0EEENS1_52radix_sort_onesweep_histogram_config_static_selectorELNS0_4arch9wavefront6targetE0EEEvSD_.uses_vcc, 0
	.set _ZN7rocprim17ROCPRIM_400000_NS6detail17trampoline_kernelINS0_14default_configENS1_35radix_sort_onesweep_config_selectorIaNS0_10empty_typeEEEZNS1_34radix_sort_onesweep_global_offsetsIS3_Lb0EPKaPS5_mNS0_19identity_decomposerEEE10hipError_tT1_T2_PT3_SF_jT4_jjP12ihipStream_tbEUlT_E0_NS1_11comp_targetILNS1_3genE3ELNS1_11target_archE908ELNS1_3gpuE7ELNS1_3repE0EEENS1_52radix_sort_onesweep_histogram_config_static_selectorELNS0_4arch9wavefront6targetE0EEEvSD_.uses_flat_scratch, 0
	.set _ZN7rocprim17ROCPRIM_400000_NS6detail17trampoline_kernelINS0_14default_configENS1_35radix_sort_onesweep_config_selectorIaNS0_10empty_typeEEEZNS1_34radix_sort_onesweep_global_offsetsIS3_Lb0EPKaPS5_mNS0_19identity_decomposerEEE10hipError_tT1_T2_PT3_SF_jT4_jjP12ihipStream_tbEUlT_E0_NS1_11comp_targetILNS1_3genE3ELNS1_11target_archE908ELNS1_3gpuE7ELNS1_3repE0EEENS1_52radix_sort_onesweep_histogram_config_static_selectorELNS0_4arch9wavefront6targetE0EEEvSD_.has_dyn_sized_stack, 0
	.set _ZN7rocprim17ROCPRIM_400000_NS6detail17trampoline_kernelINS0_14default_configENS1_35radix_sort_onesweep_config_selectorIaNS0_10empty_typeEEEZNS1_34radix_sort_onesweep_global_offsetsIS3_Lb0EPKaPS5_mNS0_19identity_decomposerEEE10hipError_tT1_T2_PT3_SF_jT4_jjP12ihipStream_tbEUlT_E0_NS1_11comp_targetILNS1_3genE3ELNS1_11target_archE908ELNS1_3gpuE7ELNS1_3repE0EEENS1_52radix_sort_onesweep_histogram_config_static_selectorELNS0_4arch9wavefront6targetE0EEEvSD_.has_recursion, 0
	.set _ZN7rocprim17ROCPRIM_400000_NS6detail17trampoline_kernelINS0_14default_configENS1_35radix_sort_onesweep_config_selectorIaNS0_10empty_typeEEEZNS1_34radix_sort_onesweep_global_offsetsIS3_Lb0EPKaPS5_mNS0_19identity_decomposerEEE10hipError_tT1_T2_PT3_SF_jT4_jjP12ihipStream_tbEUlT_E0_NS1_11comp_targetILNS1_3genE3ELNS1_11target_archE908ELNS1_3gpuE7ELNS1_3repE0EEENS1_52radix_sort_onesweep_histogram_config_static_selectorELNS0_4arch9wavefront6targetE0EEEvSD_.has_indirect_call, 0
	.section	.AMDGPU.csdata,"",@progbits
; Kernel info:
; codeLenInByte = 0
; TotalNumSgprs: 0
; NumVgprs: 0
; ScratchSize: 0
; MemoryBound: 0
; FloatMode: 240
; IeeeMode: 1
; LDSByteSize: 0 bytes/workgroup (compile time only)
; SGPRBlocks: 0
; VGPRBlocks: 0
; NumSGPRsForWavesPerEU: 1
; NumVGPRsForWavesPerEU: 1
; NamedBarCnt: 0
; Occupancy: 16
; WaveLimiterHint : 0
; COMPUTE_PGM_RSRC2:SCRATCH_EN: 0
; COMPUTE_PGM_RSRC2:USER_SGPR: 2
; COMPUTE_PGM_RSRC2:TRAP_HANDLER: 0
; COMPUTE_PGM_RSRC2:TGID_X_EN: 1
; COMPUTE_PGM_RSRC2:TGID_Y_EN: 0
; COMPUTE_PGM_RSRC2:TGID_Z_EN: 0
; COMPUTE_PGM_RSRC2:TIDIG_COMP_CNT: 0
	.section	.text._ZN7rocprim17ROCPRIM_400000_NS6detail17trampoline_kernelINS0_14default_configENS1_35radix_sort_onesweep_config_selectorIaNS0_10empty_typeEEEZNS1_34radix_sort_onesweep_global_offsetsIS3_Lb0EPKaPS5_mNS0_19identity_decomposerEEE10hipError_tT1_T2_PT3_SF_jT4_jjP12ihipStream_tbEUlT_E0_NS1_11comp_targetILNS1_3genE10ELNS1_11target_archE1201ELNS1_3gpuE5ELNS1_3repE0EEENS1_52radix_sort_onesweep_histogram_config_static_selectorELNS0_4arch9wavefront6targetE0EEEvSD_,"axG",@progbits,_ZN7rocprim17ROCPRIM_400000_NS6detail17trampoline_kernelINS0_14default_configENS1_35radix_sort_onesweep_config_selectorIaNS0_10empty_typeEEEZNS1_34radix_sort_onesweep_global_offsetsIS3_Lb0EPKaPS5_mNS0_19identity_decomposerEEE10hipError_tT1_T2_PT3_SF_jT4_jjP12ihipStream_tbEUlT_E0_NS1_11comp_targetILNS1_3genE10ELNS1_11target_archE1201ELNS1_3gpuE5ELNS1_3repE0EEENS1_52radix_sort_onesweep_histogram_config_static_selectorELNS0_4arch9wavefront6targetE0EEEvSD_,comdat
	.protected	_ZN7rocprim17ROCPRIM_400000_NS6detail17trampoline_kernelINS0_14default_configENS1_35radix_sort_onesweep_config_selectorIaNS0_10empty_typeEEEZNS1_34radix_sort_onesweep_global_offsetsIS3_Lb0EPKaPS5_mNS0_19identity_decomposerEEE10hipError_tT1_T2_PT3_SF_jT4_jjP12ihipStream_tbEUlT_E0_NS1_11comp_targetILNS1_3genE10ELNS1_11target_archE1201ELNS1_3gpuE5ELNS1_3repE0EEENS1_52radix_sort_onesweep_histogram_config_static_selectorELNS0_4arch9wavefront6targetE0EEEvSD_ ; -- Begin function _ZN7rocprim17ROCPRIM_400000_NS6detail17trampoline_kernelINS0_14default_configENS1_35radix_sort_onesweep_config_selectorIaNS0_10empty_typeEEEZNS1_34radix_sort_onesweep_global_offsetsIS3_Lb0EPKaPS5_mNS0_19identity_decomposerEEE10hipError_tT1_T2_PT3_SF_jT4_jjP12ihipStream_tbEUlT_E0_NS1_11comp_targetILNS1_3genE10ELNS1_11target_archE1201ELNS1_3gpuE5ELNS1_3repE0EEENS1_52radix_sort_onesweep_histogram_config_static_selectorELNS0_4arch9wavefront6targetE0EEEvSD_
	.globl	_ZN7rocprim17ROCPRIM_400000_NS6detail17trampoline_kernelINS0_14default_configENS1_35radix_sort_onesweep_config_selectorIaNS0_10empty_typeEEEZNS1_34radix_sort_onesweep_global_offsetsIS3_Lb0EPKaPS5_mNS0_19identity_decomposerEEE10hipError_tT1_T2_PT3_SF_jT4_jjP12ihipStream_tbEUlT_E0_NS1_11comp_targetILNS1_3genE10ELNS1_11target_archE1201ELNS1_3gpuE5ELNS1_3repE0EEENS1_52radix_sort_onesweep_histogram_config_static_selectorELNS0_4arch9wavefront6targetE0EEEvSD_
	.p2align	8
	.type	_ZN7rocprim17ROCPRIM_400000_NS6detail17trampoline_kernelINS0_14default_configENS1_35radix_sort_onesweep_config_selectorIaNS0_10empty_typeEEEZNS1_34radix_sort_onesweep_global_offsetsIS3_Lb0EPKaPS5_mNS0_19identity_decomposerEEE10hipError_tT1_T2_PT3_SF_jT4_jjP12ihipStream_tbEUlT_E0_NS1_11comp_targetILNS1_3genE10ELNS1_11target_archE1201ELNS1_3gpuE5ELNS1_3repE0EEENS1_52radix_sort_onesweep_histogram_config_static_selectorELNS0_4arch9wavefront6targetE0EEEvSD_,@function
_ZN7rocprim17ROCPRIM_400000_NS6detail17trampoline_kernelINS0_14default_configENS1_35radix_sort_onesweep_config_selectorIaNS0_10empty_typeEEEZNS1_34radix_sort_onesweep_global_offsetsIS3_Lb0EPKaPS5_mNS0_19identity_decomposerEEE10hipError_tT1_T2_PT3_SF_jT4_jjP12ihipStream_tbEUlT_E0_NS1_11comp_targetILNS1_3genE10ELNS1_11target_archE1201ELNS1_3gpuE5ELNS1_3repE0EEENS1_52radix_sort_onesweep_histogram_config_static_selectorELNS0_4arch9wavefront6targetE0EEEvSD_: ; @_ZN7rocprim17ROCPRIM_400000_NS6detail17trampoline_kernelINS0_14default_configENS1_35radix_sort_onesweep_config_selectorIaNS0_10empty_typeEEEZNS1_34radix_sort_onesweep_global_offsetsIS3_Lb0EPKaPS5_mNS0_19identity_decomposerEEE10hipError_tT1_T2_PT3_SF_jT4_jjP12ihipStream_tbEUlT_E0_NS1_11comp_targetILNS1_3genE10ELNS1_11target_archE1201ELNS1_3gpuE5ELNS1_3repE0EEENS1_52radix_sort_onesweep_histogram_config_static_selectorELNS0_4arch9wavefront6targetE0EEEvSD_
; %bb.0:
	.section	.rodata,"a",@progbits
	.p2align	6, 0x0
	.amdhsa_kernel _ZN7rocprim17ROCPRIM_400000_NS6detail17trampoline_kernelINS0_14default_configENS1_35radix_sort_onesweep_config_selectorIaNS0_10empty_typeEEEZNS1_34radix_sort_onesweep_global_offsetsIS3_Lb0EPKaPS5_mNS0_19identity_decomposerEEE10hipError_tT1_T2_PT3_SF_jT4_jjP12ihipStream_tbEUlT_E0_NS1_11comp_targetILNS1_3genE10ELNS1_11target_archE1201ELNS1_3gpuE5ELNS1_3repE0EEENS1_52radix_sort_onesweep_histogram_config_static_selectorELNS0_4arch9wavefront6targetE0EEEvSD_
		.amdhsa_group_segment_fixed_size 0
		.amdhsa_private_segment_fixed_size 0
		.amdhsa_kernarg_size 8
		.amdhsa_user_sgpr_count 2
		.amdhsa_user_sgpr_dispatch_ptr 0
		.amdhsa_user_sgpr_queue_ptr 0
		.amdhsa_user_sgpr_kernarg_segment_ptr 1
		.amdhsa_user_sgpr_dispatch_id 0
		.amdhsa_user_sgpr_kernarg_preload_length 0
		.amdhsa_user_sgpr_kernarg_preload_offset 0
		.amdhsa_user_sgpr_private_segment_size 0
		.amdhsa_wavefront_size32 1
		.amdhsa_uses_dynamic_stack 0
		.amdhsa_enable_private_segment 0
		.amdhsa_system_sgpr_workgroup_id_x 1
		.amdhsa_system_sgpr_workgroup_id_y 0
		.amdhsa_system_sgpr_workgroup_id_z 0
		.amdhsa_system_sgpr_workgroup_info 0
		.amdhsa_system_vgpr_workitem_id 0
		.amdhsa_next_free_vgpr 1
		.amdhsa_next_free_sgpr 1
		.amdhsa_named_barrier_count 0
		.amdhsa_reserve_vcc 0
		.amdhsa_float_round_mode_32 0
		.amdhsa_float_round_mode_16_64 0
		.amdhsa_float_denorm_mode_32 3
		.amdhsa_float_denorm_mode_16_64 3
		.amdhsa_fp16_overflow 0
		.amdhsa_memory_ordered 1
		.amdhsa_forward_progress 1
		.amdhsa_inst_pref_size 0
		.amdhsa_round_robin_scheduling 0
		.amdhsa_exception_fp_ieee_invalid_op 0
		.amdhsa_exception_fp_denorm_src 0
		.amdhsa_exception_fp_ieee_div_zero 0
		.amdhsa_exception_fp_ieee_overflow 0
		.amdhsa_exception_fp_ieee_underflow 0
		.amdhsa_exception_fp_ieee_inexact 0
		.amdhsa_exception_int_div_zero 0
	.end_amdhsa_kernel
	.section	.text._ZN7rocprim17ROCPRIM_400000_NS6detail17trampoline_kernelINS0_14default_configENS1_35radix_sort_onesweep_config_selectorIaNS0_10empty_typeEEEZNS1_34radix_sort_onesweep_global_offsetsIS3_Lb0EPKaPS5_mNS0_19identity_decomposerEEE10hipError_tT1_T2_PT3_SF_jT4_jjP12ihipStream_tbEUlT_E0_NS1_11comp_targetILNS1_3genE10ELNS1_11target_archE1201ELNS1_3gpuE5ELNS1_3repE0EEENS1_52radix_sort_onesweep_histogram_config_static_selectorELNS0_4arch9wavefront6targetE0EEEvSD_,"axG",@progbits,_ZN7rocprim17ROCPRIM_400000_NS6detail17trampoline_kernelINS0_14default_configENS1_35radix_sort_onesweep_config_selectorIaNS0_10empty_typeEEEZNS1_34radix_sort_onesweep_global_offsetsIS3_Lb0EPKaPS5_mNS0_19identity_decomposerEEE10hipError_tT1_T2_PT3_SF_jT4_jjP12ihipStream_tbEUlT_E0_NS1_11comp_targetILNS1_3genE10ELNS1_11target_archE1201ELNS1_3gpuE5ELNS1_3repE0EEENS1_52radix_sort_onesweep_histogram_config_static_selectorELNS0_4arch9wavefront6targetE0EEEvSD_,comdat
.Lfunc_end463:
	.size	_ZN7rocprim17ROCPRIM_400000_NS6detail17trampoline_kernelINS0_14default_configENS1_35radix_sort_onesweep_config_selectorIaNS0_10empty_typeEEEZNS1_34radix_sort_onesweep_global_offsetsIS3_Lb0EPKaPS5_mNS0_19identity_decomposerEEE10hipError_tT1_T2_PT3_SF_jT4_jjP12ihipStream_tbEUlT_E0_NS1_11comp_targetILNS1_3genE10ELNS1_11target_archE1201ELNS1_3gpuE5ELNS1_3repE0EEENS1_52radix_sort_onesweep_histogram_config_static_selectorELNS0_4arch9wavefront6targetE0EEEvSD_, .Lfunc_end463-_ZN7rocprim17ROCPRIM_400000_NS6detail17trampoline_kernelINS0_14default_configENS1_35radix_sort_onesweep_config_selectorIaNS0_10empty_typeEEEZNS1_34radix_sort_onesweep_global_offsetsIS3_Lb0EPKaPS5_mNS0_19identity_decomposerEEE10hipError_tT1_T2_PT3_SF_jT4_jjP12ihipStream_tbEUlT_E0_NS1_11comp_targetILNS1_3genE10ELNS1_11target_archE1201ELNS1_3gpuE5ELNS1_3repE0EEENS1_52radix_sort_onesweep_histogram_config_static_selectorELNS0_4arch9wavefront6targetE0EEEvSD_
                                        ; -- End function
	.set _ZN7rocprim17ROCPRIM_400000_NS6detail17trampoline_kernelINS0_14default_configENS1_35radix_sort_onesweep_config_selectorIaNS0_10empty_typeEEEZNS1_34radix_sort_onesweep_global_offsetsIS3_Lb0EPKaPS5_mNS0_19identity_decomposerEEE10hipError_tT1_T2_PT3_SF_jT4_jjP12ihipStream_tbEUlT_E0_NS1_11comp_targetILNS1_3genE10ELNS1_11target_archE1201ELNS1_3gpuE5ELNS1_3repE0EEENS1_52radix_sort_onesweep_histogram_config_static_selectorELNS0_4arch9wavefront6targetE0EEEvSD_.num_vgpr, 0
	.set _ZN7rocprim17ROCPRIM_400000_NS6detail17trampoline_kernelINS0_14default_configENS1_35radix_sort_onesweep_config_selectorIaNS0_10empty_typeEEEZNS1_34radix_sort_onesweep_global_offsetsIS3_Lb0EPKaPS5_mNS0_19identity_decomposerEEE10hipError_tT1_T2_PT3_SF_jT4_jjP12ihipStream_tbEUlT_E0_NS1_11comp_targetILNS1_3genE10ELNS1_11target_archE1201ELNS1_3gpuE5ELNS1_3repE0EEENS1_52radix_sort_onesweep_histogram_config_static_selectorELNS0_4arch9wavefront6targetE0EEEvSD_.num_agpr, 0
	.set _ZN7rocprim17ROCPRIM_400000_NS6detail17trampoline_kernelINS0_14default_configENS1_35radix_sort_onesweep_config_selectorIaNS0_10empty_typeEEEZNS1_34radix_sort_onesweep_global_offsetsIS3_Lb0EPKaPS5_mNS0_19identity_decomposerEEE10hipError_tT1_T2_PT3_SF_jT4_jjP12ihipStream_tbEUlT_E0_NS1_11comp_targetILNS1_3genE10ELNS1_11target_archE1201ELNS1_3gpuE5ELNS1_3repE0EEENS1_52radix_sort_onesweep_histogram_config_static_selectorELNS0_4arch9wavefront6targetE0EEEvSD_.numbered_sgpr, 0
	.set _ZN7rocprim17ROCPRIM_400000_NS6detail17trampoline_kernelINS0_14default_configENS1_35radix_sort_onesweep_config_selectorIaNS0_10empty_typeEEEZNS1_34radix_sort_onesweep_global_offsetsIS3_Lb0EPKaPS5_mNS0_19identity_decomposerEEE10hipError_tT1_T2_PT3_SF_jT4_jjP12ihipStream_tbEUlT_E0_NS1_11comp_targetILNS1_3genE10ELNS1_11target_archE1201ELNS1_3gpuE5ELNS1_3repE0EEENS1_52radix_sort_onesweep_histogram_config_static_selectorELNS0_4arch9wavefront6targetE0EEEvSD_.num_named_barrier, 0
	.set _ZN7rocprim17ROCPRIM_400000_NS6detail17trampoline_kernelINS0_14default_configENS1_35radix_sort_onesweep_config_selectorIaNS0_10empty_typeEEEZNS1_34radix_sort_onesweep_global_offsetsIS3_Lb0EPKaPS5_mNS0_19identity_decomposerEEE10hipError_tT1_T2_PT3_SF_jT4_jjP12ihipStream_tbEUlT_E0_NS1_11comp_targetILNS1_3genE10ELNS1_11target_archE1201ELNS1_3gpuE5ELNS1_3repE0EEENS1_52radix_sort_onesweep_histogram_config_static_selectorELNS0_4arch9wavefront6targetE0EEEvSD_.private_seg_size, 0
	.set _ZN7rocprim17ROCPRIM_400000_NS6detail17trampoline_kernelINS0_14default_configENS1_35radix_sort_onesweep_config_selectorIaNS0_10empty_typeEEEZNS1_34radix_sort_onesweep_global_offsetsIS3_Lb0EPKaPS5_mNS0_19identity_decomposerEEE10hipError_tT1_T2_PT3_SF_jT4_jjP12ihipStream_tbEUlT_E0_NS1_11comp_targetILNS1_3genE10ELNS1_11target_archE1201ELNS1_3gpuE5ELNS1_3repE0EEENS1_52radix_sort_onesweep_histogram_config_static_selectorELNS0_4arch9wavefront6targetE0EEEvSD_.uses_vcc, 0
	.set _ZN7rocprim17ROCPRIM_400000_NS6detail17trampoline_kernelINS0_14default_configENS1_35radix_sort_onesweep_config_selectorIaNS0_10empty_typeEEEZNS1_34radix_sort_onesweep_global_offsetsIS3_Lb0EPKaPS5_mNS0_19identity_decomposerEEE10hipError_tT1_T2_PT3_SF_jT4_jjP12ihipStream_tbEUlT_E0_NS1_11comp_targetILNS1_3genE10ELNS1_11target_archE1201ELNS1_3gpuE5ELNS1_3repE0EEENS1_52radix_sort_onesweep_histogram_config_static_selectorELNS0_4arch9wavefront6targetE0EEEvSD_.uses_flat_scratch, 0
	.set _ZN7rocprim17ROCPRIM_400000_NS6detail17trampoline_kernelINS0_14default_configENS1_35radix_sort_onesweep_config_selectorIaNS0_10empty_typeEEEZNS1_34radix_sort_onesweep_global_offsetsIS3_Lb0EPKaPS5_mNS0_19identity_decomposerEEE10hipError_tT1_T2_PT3_SF_jT4_jjP12ihipStream_tbEUlT_E0_NS1_11comp_targetILNS1_3genE10ELNS1_11target_archE1201ELNS1_3gpuE5ELNS1_3repE0EEENS1_52radix_sort_onesweep_histogram_config_static_selectorELNS0_4arch9wavefront6targetE0EEEvSD_.has_dyn_sized_stack, 0
	.set _ZN7rocprim17ROCPRIM_400000_NS6detail17trampoline_kernelINS0_14default_configENS1_35radix_sort_onesweep_config_selectorIaNS0_10empty_typeEEEZNS1_34radix_sort_onesweep_global_offsetsIS3_Lb0EPKaPS5_mNS0_19identity_decomposerEEE10hipError_tT1_T2_PT3_SF_jT4_jjP12ihipStream_tbEUlT_E0_NS1_11comp_targetILNS1_3genE10ELNS1_11target_archE1201ELNS1_3gpuE5ELNS1_3repE0EEENS1_52radix_sort_onesweep_histogram_config_static_selectorELNS0_4arch9wavefront6targetE0EEEvSD_.has_recursion, 0
	.set _ZN7rocprim17ROCPRIM_400000_NS6detail17trampoline_kernelINS0_14default_configENS1_35radix_sort_onesweep_config_selectorIaNS0_10empty_typeEEEZNS1_34radix_sort_onesweep_global_offsetsIS3_Lb0EPKaPS5_mNS0_19identity_decomposerEEE10hipError_tT1_T2_PT3_SF_jT4_jjP12ihipStream_tbEUlT_E0_NS1_11comp_targetILNS1_3genE10ELNS1_11target_archE1201ELNS1_3gpuE5ELNS1_3repE0EEENS1_52radix_sort_onesweep_histogram_config_static_selectorELNS0_4arch9wavefront6targetE0EEEvSD_.has_indirect_call, 0
	.section	.AMDGPU.csdata,"",@progbits
; Kernel info:
; codeLenInByte = 0
; TotalNumSgprs: 0
; NumVgprs: 0
; ScratchSize: 0
; MemoryBound: 0
; FloatMode: 240
; IeeeMode: 1
; LDSByteSize: 0 bytes/workgroup (compile time only)
; SGPRBlocks: 0
; VGPRBlocks: 0
; NumSGPRsForWavesPerEU: 1
; NumVGPRsForWavesPerEU: 1
; NamedBarCnt: 0
; Occupancy: 16
; WaveLimiterHint : 0
; COMPUTE_PGM_RSRC2:SCRATCH_EN: 0
; COMPUTE_PGM_RSRC2:USER_SGPR: 2
; COMPUTE_PGM_RSRC2:TRAP_HANDLER: 0
; COMPUTE_PGM_RSRC2:TGID_X_EN: 1
; COMPUTE_PGM_RSRC2:TGID_Y_EN: 0
; COMPUTE_PGM_RSRC2:TGID_Z_EN: 0
; COMPUTE_PGM_RSRC2:TIDIG_COMP_CNT: 0
	.section	.text._ZN7rocprim17ROCPRIM_400000_NS6detail17trampoline_kernelINS0_14default_configENS1_35radix_sort_onesweep_config_selectorIaNS0_10empty_typeEEEZNS1_34radix_sort_onesweep_global_offsetsIS3_Lb0EPKaPS5_mNS0_19identity_decomposerEEE10hipError_tT1_T2_PT3_SF_jT4_jjP12ihipStream_tbEUlT_E0_NS1_11comp_targetILNS1_3genE9ELNS1_11target_archE1100ELNS1_3gpuE3ELNS1_3repE0EEENS1_52radix_sort_onesweep_histogram_config_static_selectorELNS0_4arch9wavefront6targetE0EEEvSD_,"axG",@progbits,_ZN7rocprim17ROCPRIM_400000_NS6detail17trampoline_kernelINS0_14default_configENS1_35radix_sort_onesweep_config_selectorIaNS0_10empty_typeEEEZNS1_34radix_sort_onesweep_global_offsetsIS3_Lb0EPKaPS5_mNS0_19identity_decomposerEEE10hipError_tT1_T2_PT3_SF_jT4_jjP12ihipStream_tbEUlT_E0_NS1_11comp_targetILNS1_3genE9ELNS1_11target_archE1100ELNS1_3gpuE3ELNS1_3repE0EEENS1_52radix_sort_onesweep_histogram_config_static_selectorELNS0_4arch9wavefront6targetE0EEEvSD_,comdat
	.protected	_ZN7rocprim17ROCPRIM_400000_NS6detail17trampoline_kernelINS0_14default_configENS1_35radix_sort_onesweep_config_selectorIaNS0_10empty_typeEEEZNS1_34radix_sort_onesweep_global_offsetsIS3_Lb0EPKaPS5_mNS0_19identity_decomposerEEE10hipError_tT1_T2_PT3_SF_jT4_jjP12ihipStream_tbEUlT_E0_NS1_11comp_targetILNS1_3genE9ELNS1_11target_archE1100ELNS1_3gpuE3ELNS1_3repE0EEENS1_52radix_sort_onesweep_histogram_config_static_selectorELNS0_4arch9wavefront6targetE0EEEvSD_ ; -- Begin function _ZN7rocprim17ROCPRIM_400000_NS6detail17trampoline_kernelINS0_14default_configENS1_35radix_sort_onesweep_config_selectorIaNS0_10empty_typeEEEZNS1_34radix_sort_onesweep_global_offsetsIS3_Lb0EPKaPS5_mNS0_19identity_decomposerEEE10hipError_tT1_T2_PT3_SF_jT4_jjP12ihipStream_tbEUlT_E0_NS1_11comp_targetILNS1_3genE9ELNS1_11target_archE1100ELNS1_3gpuE3ELNS1_3repE0EEENS1_52radix_sort_onesweep_histogram_config_static_selectorELNS0_4arch9wavefront6targetE0EEEvSD_
	.globl	_ZN7rocprim17ROCPRIM_400000_NS6detail17trampoline_kernelINS0_14default_configENS1_35radix_sort_onesweep_config_selectorIaNS0_10empty_typeEEEZNS1_34radix_sort_onesweep_global_offsetsIS3_Lb0EPKaPS5_mNS0_19identity_decomposerEEE10hipError_tT1_T2_PT3_SF_jT4_jjP12ihipStream_tbEUlT_E0_NS1_11comp_targetILNS1_3genE9ELNS1_11target_archE1100ELNS1_3gpuE3ELNS1_3repE0EEENS1_52radix_sort_onesweep_histogram_config_static_selectorELNS0_4arch9wavefront6targetE0EEEvSD_
	.p2align	8
	.type	_ZN7rocprim17ROCPRIM_400000_NS6detail17trampoline_kernelINS0_14default_configENS1_35radix_sort_onesweep_config_selectorIaNS0_10empty_typeEEEZNS1_34radix_sort_onesweep_global_offsetsIS3_Lb0EPKaPS5_mNS0_19identity_decomposerEEE10hipError_tT1_T2_PT3_SF_jT4_jjP12ihipStream_tbEUlT_E0_NS1_11comp_targetILNS1_3genE9ELNS1_11target_archE1100ELNS1_3gpuE3ELNS1_3repE0EEENS1_52radix_sort_onesweep_histogram_config_static_selectorELNS0_4arch9wavefront6targetE0EEEvSD_,@function
_ZN7rocprim17ROCPRIM_400000_NS6detail17trampoline_kernelINS0_14default_configENS1_35radix_sort_onesweep_config_selectorIaNS0_10empty_typeEEEZNS1_34radix_sort_onesweep_global_offsetsIS3_Lb0EPKaPS5_mNS0_19identity_decomposerEEE10hipError_tT1_T2_PT3_SF_jT4_jjP12ihipStream_tbEUlT_E0_NS1_11comp_targetILNS1_3genE9ELNS1_11target_archE1100ELNS1_3gpuE3ELNS1_3repE0EEENS1_52radix_sort_onesweep_histogram_config_static_selectorELNS0_4arch9wavefront6targetE0EEEvSD_: ; @_ZN7rocprim17ROCPRIM_400000_NS6detail17trampoline_kernelINS0_14default_configENS1_35radix_sort_onesweep_config_selectorIaNS0_10empty_typeEEEZNS1_34radix_sort_onesweep_global_offsetsIS3_Lb0EPKaPS5_mNS0_19identity_decomposerEEE10hipError_tT1_T2_PT3_SF_jT4_jjP12ihipStream_tbEUlT_E0_NS1_11comp_targetILNS1_3genE9ELNS1_11target_archE1100ELNS1_3gpuE3ELNS1_3repE0EEENS1_52radix_sort_onesweep_histogram_config_static_selectorELNS0_4arch9wavefront6targetE0EEEvSD_
; %bb.0:
	.section	.rodata,"a",@progbits
	.p2align	6, 0x0
	.amdhsa_kernel _ZN7rocprim17ROCPRIM_400000_NS6detail17trampoline_kernelINS0_14default_configENS1_35radix_sort_onesweep_config_selectorIaNS0_10empty_typeEEEZNS1_34radix_sort_onesweep_global_offsetsIS3_Lb0EPKaPS5_mNS0_19identity_decomposerEEE10hipError_tT1_T2_PT3_SF_jT4_jjP12ihipStream_tbEUlT_E0_NS1_11comp_targetILNS1_3genE9ELNS1_11target_archE1100ELNS1_3gpuE3ELNS1_3repE0EEENS1_52radix_sort_onesweep_histogram_config_static_selectorELNS0_4arch9wavefront6targetE0EEEvSD_
		.amdhsa_group_segment_fixed_size 0
		.amdhsa_private_segment_fixed_size 0
		.amdhsa_kernarg_size 8
		.amdhsa_user_sgpr_count 2
		.amdhsa_user_sgpr_dispatch_ptr 0
		.amdhsa_user_sgpr_queue_ptr 0
		.amdhsa_user_sgpr_kernarg_segment_ptr 1
		.amdhsa_user_sgpr_dispatch_id 0
		.amdhsa_user_sgpr_kernarg_preload_length 0
		.amdhsa_user_sgpr_kernarg_preload_offset 0
		.amdhsa_user_sgpr_private_segment_size 0
		.amdhsa_wavefront_size32 1
		.amdhsa_uses_dynamic_stack 0
		.amdhsa_enable_private_segment 0
		.amdhsa_system_sgpr_workgroup_id_x 1
		.amdhsa_system_sgpr_workgroup_id_y 0
		.amdhsa_system_sgpr_workgroup_id_z 0
		.amdhsa_system_sgpr_workgroup_info 0
		.amdhsa_system_vgpr_workitem_id 0
		.amdhsa_next_free_vgpr 1
		.amdhsa_next_free_sgpr 1
		.amdhsa_named_barrier_count 0
		.amdhsa_reserve_vcc 0
		.amdhsa_float_round_mode_32 0
		.amdhsa_float_round_mode_16_64 0
		.amdhsa_float_denorm_mode_32 3
		.amdhsa_float_denorm_mode_16_64 3
		.amdhsa_fp16_overflow 0
		.amdhsa_memory_ordered 1
		.amdhsa_forward_progress 1
		.amdhsa_inst_pref_size 0
		.amdhsa_round_robin_scheduling 0
		.amdhsa_exception_fp_ieee_invalid_op 0
		.amdhsa_exception_fp_denorm_src 0
		.amdhsa_exception_fp_ieee_div_zero 0
		.amdhsa_exception_fp_ieee_overflow 0
		.amdhsa_exception_fp_ieee_underflow 0
		.amdhsa_exception_fp_ieee_inexact 0
		.amdhsa_exception_int_div_zero 0
	.end_amdhsa_kernel
	.section	.text._ZN7rocprim17ROCPRIM_400000_NS6detail17trampoline_kernelINS0_14default_configENS1_35radix_sort_onesweep_config_selectorIaNS0_10empty_typeEEEZNS1_34radix_sort_onesweep_global_offsetsIS3_Lb0EPKaPS5_mNS0_19identity_decomposerEEE10hipError_tT1_T2_PT3_SF_jT4_jjP12ihipStream_tbEUlT_E0_NS1_11comp_targetILNS1_3genE9ELNS1_11target_archE1100ELNS1_3gpuE3ELNS1_3repE0EEENS1_52radix_sort_onesweep_histogram_config_static_selectorELNS0_4arch9wavefront6targetE0EEEvSD_,"axG",@progbits,_ZN7rocprim17ROCPRIM_400000_NS6detail17trampoline_kernelINS0_14default_configENS1_35radix_sort_onesweep_config_selectorIaNS0_10empty_typeEEEZNS1_34radix_sort_onesweep_global_offsetsIS3_Lb0EPKaPS5_mNS0_19identity_decomposerEEE10hipError_tT1_T2_PT3_SF_jT4_jjP12ihipStream_tbEUlT_E0_NS1_11comp_targetILNS1_3genE9ELNS1_11target_archE1100ELNS1_3gpuE3ELNS1_3repE0EEENS1_52radix_sort_onesweep_histogram_config_static_selectorELNS0_4arch9wavefront6targetE0EEEvSD_,comdat
.Lfunc_end464:
	.size	_ZN7rocprim17ROCPRIM_400000_NS6detail17trampoline_kernelINS0_14default_configENS1_35radix_sort_onesweep_config_selectorIaNS0_10empty_typeEEEZNS1_34radix_sort_onesweep_global_offsetsIS3_Lb0EPKaPS5_mNS0_19identity_decomposerEEE10hipError_tT1_T2_PT3_SF_jT4_jjP12ihipStream_tbEUlT_E0_NS1_11comp_targetILNS1_3genE9ELNS1_11target_archE1100ELNS1_3gpuE3ELNS1_3repE0EEENS1_52radix_sort_onesweep_histogram_config_static_selectorELNS0_4arch9wavefront6targetE0EEEvSD_, .Lfunc_end464-_ZN7rocprim17ROCPRIM_400000_NS6detail17trampoline_kernelINS0_14default_configENS1_35radix_sort_onesweep_config_selectorIaNS0_10empty_typeEEEZNS1_34radix_sort_onesweep_global_offsetsIS3_Lb0EPKaPS5_mNS0_19identity_decomposerEEE10hipError_tT1_T2_PT3_SF_jT4_jjP12ihipStream_tbEUlT_E0_NS1_11comp_targetILNS1_3genE9ELNS1_11target_archE1100ELNS1_3gpuE3ELNS1_3repE0EEENS1_52radix_sort_onesweep_histogram_config_static_selectorELNS0_4arch9wavefront6targetE0EEEvSD_
                                        ; -- End function
	.set _ZN7rocprim17ROCPRIM_400000_NS6detail17trampoline_kernelINS0_14default_configENS1_35radix_sort_onesweep_config_selectorIaNS0_10empty_typeEEEZNS1_34radix_sort_onesweep_global_offsetsIS3_Lb0EPKaPS5_mNS0_19identity_decomposerEEE10hipError_tT1_T2_PT3_SF_jT4_jjP12ihipStream_tbEUlT_E0_NS1_11comp_targetILNS1_3genE9ELNS1_11target_archE1100ELNS1_3gpuE3ELNS1_3repE0EEENS1_52radix_sort_onesweep_histogram_config_static_selectorELNS0_4arch9wavefront6targetE0EEEvSD_.num_vgpr, 0
	.set _ZN7rocprim17ROCPRIM_400000_NS6detail17trampoline_kernelINS0_14default_configENS1_35radix_sort_onesweep_config_selectorIaNS0_10empty_typeEEEZNS1_34radix_sort_onesweep_global_offsetsIS3_Lb0EPKaPS5_mNS0_19identity_decomposerEEE10hipError_tT1_T2_PT3_SF_jT4_jjP12ihipStream_tbEUlT_E0_NS1_11comp_targetILNS1_3genE9ELNS1_11target_archE1100ELNS1_3gpuE3ELNS1_3repE0EEENS1_52radix_sort_onesweep_histogram_config_static_selectorELNS0_4arch9wavefront6targetE0EEEvSD_.num_agpr, 0
	.set _ZN7rocprim17ROCPRIM_400000_NS6detail17trampoline_kernelINS0_14default_configENS1_35radix_sort_onesweep_config_selectorIaNS0_10empty_typeEEEZNS1_34radix_sort_onesweep_global_offsetsIS3_Lb0EPKaPS5_mNS0_19identity_decomposerEEE10hipError_tT1_T2_PT3_SF_jT4_jjP12ihipStream_tbEUlT_E0_NS1_11comp_targetILNS1_3genE9ELNS1_11target_archE1100ELNS1_3gpuE3ELNS1_3repE0EEENS1_52radix_sort_onesweep_histogram_config_static_selectorELNS0_4arch9wavefront6targetE0EEEvSD_.numbered_sgpr, 0
	.set _ZN7rocprim17ROCPRIM_400000_NS6detail17trampoline_kernelINS0_14default_configENS1_35radix_sort_onesweep_config_selectorIaNS0_10empty_typeEEEZNS1_34radix_sort_onesweep_global_offsetsIS3_Lb0EPKaPS5_mNS0_19identity_decomposerEEE10hipError_tT1_T2_PT3_SF_jT4_jjP12ihipStream_tbEUlT_E0_NS1_11comp_targetILNS1_3genE9ELNS1_11target_archE1100ELNS1_3gpuE3ELNS1_3repE0EEENS1_52radix_sort_onesweep_histogram_config_static_selectorELNS0_4arch9wavefront6targetE0EEEvSD_.num_named_barrier, 0
	.set _ZN7rocprim17ROCPRIM_400000_NS6detail17trampoline_kernelINS0_14default_configENS1_35radix_sort_onesweep_config_selectorIaNS0_10empty_typeEEEZNS1_34radix_sort_onesweep_global_offsetsIS3_Lb0EPKaPS5_mNS0_19identity_decomposerEEE10hipError_tT1_T2_PT3_SF_jT4_jjP12ihipStream_tbEUlT_E0_NS1_11comp_targetILNS1_3genE9ELNS1_11target_archE1100ELNS1_3gpuE3ELNS1_3repE0EEENS1_52radix_sort_onesweep_histogram_config_static_selectorELNS0_4arch9wavefront6targetE0EEEvSD_.private_seg_size, 0
	.set _ZN7rocprim17ROCPRIM_400000_NS6detail17trampoline_kernelINS0_14default_configENS1_35radix_sort_onesweep_config_selectorIaNS0_10empty_typeEEEZNS1_34radix_sort_onesweep_global_offsetsIS3_Lb0EPKaPS5_mNS0_19identity_decomposerEEE10hipError_tT1_T2_PT3_SF_jT4_jjP12ihipStream_tbEUlT_E0_NS1_11comp_targetILNS1_3genE9ELNS1_11target_archE1100ELNS1_3gpuE3ELNS1_3repE0EEENS1_52radix_sort_onesweep_histogram_config_static_selectorELNS0_4arch9wavefront6targetE0EEEvSD_.uses_vcc, 0
	.set _ZN7rocprim17ROCPRIM_400000_NS6detail17trampoline_kernelINS0_14default_configENS1_35radix_sort_onesweep_config_selectorIaNS0_10empty_typeEEEZNS1_34radix_sort_onesweep_global_offsetsIS3_Lb0EPKaPS5_mNS0_19identity_decomposerEEE10hipError_tT1_T2_PT3_SF_jT4_jjP12ihipStream_tbEUlT_E0_NS1_11comp_targetILNS1_3genE9ELNS1_11target_archE1100ELNS1_3gpuE3ELNS1_3repE0EEENS1_52radix_sort_onesweep_histogram_config_static_selectorELNS0_4arch9wavefront6targetE0EEEvSD_.uses_flat_scratch, 0
	.set _ZN7rocprim17ROCPRIM_400000_NS6detail17trampoline_kernelINS0_14default_configENS1_35radix_sort_onesweep_config_selectorIaNS0_10empty_typeEEEZNS1_34radix_sort_onesweep_global_offsetsIS3_Lb0EPKaPS5_mNS0_19identity_decomposerEEE10hipError_tT1_T2_PT3_SF_jT4_jjP12ihipStream_tbEUlT_E0_NS1_11comp_targetILNS1_3genE9ELNS1_11target_archE1100ELNS1_3gpuE3ELNS1_3repE0EEENS1_52radix_sort_onesweep_histogram_config_static_selectorELNS0_4arch9wavefront6targetE0EEEvSD_.has_dyn_sized_stack, 0
	.set _ZN7rocprim17ROCPRIM_400000_NS6detail17trampoline_kernelINS0_14default_configENS1_35radix_sort_onesweep_config_selectorIaNS0_10empty_typeEEEZNS1_34radix_sort_onesweep_global_offsetsIS3_Lb0EPKaPS5_mNS0_19identity_decomposerEEE10hipError_tT1_T2_PT3_SF_jT4_jjP12ihipStream_tbEUlT_E0_NS1_11comp_targetILNS1_3genE9ELNS1_11target_archE1100ELNS1_3gpuE3ELNS1_3repE0EEENS1_52radix_sort_onesweep_histogram_config_static_selectorELNS0_4arch9wavefront6targetE0EEEvSD_.has_recursion, 0
	.set _ZN7rocprim17ROCPRIM_400000_NS6detail17trampoline_kernelINS0_14default_configENS1_35radix_sort_onesweep_config_selectorIaNS0_10empty_typeEEEZNS1_34radix_sort_onesweep_global_offsetsIS3_Lb0EPKaPS5_mNS0_19identity_decomposerEEE10hipError_tT1_T2_PT3_SF_jT4_jjP12ihipStream_tbEUlT_E0_NS1_11comp_targetILNS1_3genE9ELNS1_11target_archE1100ELNS1_3gpuE3ELNS1_3repE0EEENS1_52radix_sort_onesweep_histogram_config_static_selectorELNS0_4arch9wavefront6targetE0EEEvSD_.has_indirect_call, 0
	.section	.AMDGPU.csdata,"",@progbits
; Kernel info:
; codeLenInByte = 0
; TotalNumSgprs: 0
; NumVgprs: 0
; ScratchSize: 0
; MemoryBound: 0
; FloatMode: 240
; IeeeMode: 1
; LDSByteSize: 0 bytes/workgroup (compile time only)
; SGPRBlocks: 0
; VGPRBlocks: 0
; NumSGPRsForWavesPerEU: 1
; NumVGPRsForWavesPerEU: 1
; NamedBarCnt: 0
; Occupancy: 16
; WaveLimiterHint : 0
; COMPUTE_PGM_RSRC2:SCRATCH_EN: 0
; COMPUTE_PGM_RSRC2:USER_SGPR: 2
; COMPUTE_PGM_RSRC2:TRAP_HANDLER: 0
; COMPUTE_PGM_RSRC2:TGID_X_EN: 1
; COMPUTE_PGM_RSRC2:TGID_Y_EN: 0
; COMPUTE_PGM_RSRC2:TGID_Z_EN: 0
; COMPUTE_PGM_RSRC2:TIDIG_COMP_CNT: 0
	.section	.text._ZN7rocprim17ROCPRIM_400000_NS6detail17trampoline_kernelINS0_14default_configENS1_35radix_sort_onesweep_config_selectorIaNS0_10empty_typeEEEZNS1_34radix_sort_onesweep_global_offsetsIS3_Lb0EPKaPS5_mNS0_19identity_decomposerEEE10hipError_tT1_T2_PT3_SF_jT4_jjP12ihipStream_tbEUlT_E0_NS1_11comp_targetILNS1_3genE8ELNS1_11target_archE1030ELNS1_3gpuE2ELNS1_3repE0EEENS1_52radix_sort_onesweep_histogram_config_static_selectorELNS0_4arch9wavefront6targetE0EEEvSD_,"axG",@progbits,_ZN7rocprim17ROCPRIM_400000_NS6detail17trampoline_kernelINS0_14default_configENS1_35radix_sort_onesweep_config_selectorIaNS0_10empty_typeEEEZNS1_34radix_sort_onesweep_global_offsetsIS3_Lb0EPKaPS5_mNS0_19identity_decomposerEEE10hipError_tT1_T2_PT3_SF_jT4_jjP12ihipStream_tbEUlT_E0_NS1_11comp_targetILNS1_3genE8ELNS1_11target_archE1030ELNS1_3gpuE2ELNS1_3repE0EEENS1_52radix_sort_onesweep_histogram_config_static_selectorELNS0_4arch9wavefront6targetE0EEEvSD_,comdat
	.protected	_ZN7rocprim17ROCPRIM_400000_NS6detail17trampoline_kernelINS0_14default_configENS1_35radix_sort_onesweep_config_selectorIaNS0_10empty_typeEEEZNS1_34radix_sort_onesweep_global_offsetsIS3_Lb0EPKaPS5_mNS0_19identity_decomposerEEE10hipError_tT1_T2_PT3_SF_jT4_jjP12ihipStream_tbEUlT_E0_NS1_11comp_targetILNS1_3genE8ELNS1_11target_archE1030ELNS1_3gpuE2ELNS1_3repE0EEENS1_52radix_sort_onesweep_histogram_config_static_selectorELNS0_4arch9wavefront6targetE0EEEvSD_ ; -- Begin function _ZN7rocprim17ROCPRIM_400000_NS6detail17trampoline_kernelINS0_14default_configENS1_35radix_sort_onesweep_config_selectorIaNS0_10empty_typeEEEZNS1_34radix_sort_onesweep_global_offsetsIS3_Lb0EPKaPS5_mNS0_19identity_decomposerEEE10hipError_tT1_T2_PT3_SF_jT4_jjP12ihipStream_tbEUlT_E0_NS1_11comp_targetILNS1_3genE8ELNS1_11target_archE1030ELNS1_3gpuE2ELNS1_3repE0EEENS1_52radix_sort_onesweep_histogram_config_static_selectorELNS0_4arch9wavefront6targetE0EEEvSD_
	.globl	_ZN7rocprim17ROCPRIM_400000_NS6detail17trampoline_kernelINS0_14default_configENS1_35radix_sort_onesweep_config_selectorIaNS0_10empty_typeEEEZNS1_34radix_sort_onesweep_global_offsetsIS3_Lb0EPKaPS5_mNS0_19identity_decomposerEEE10hipError_tT1_T2_PT3_SF_jT4_jjP12ihipStream_tbEUlT_E0_NS1_11comp_targetILNS1_3genE8ELNS1_11target_archE1030ELNS1_3gpuE2ELNS1_3repE0EEENS1_52radix_sort_onesweep_histogram_config_static_selectorELNS0_4arch9wavefront6targetE0EEEvSD_
	.p2align	8
	.type	_ZN7rocprim17ROCPRIM_400000_NS6detail17trampoline_kernelINS0_14default_configENS1_35radix_sort_onesweep_config_selectorIaNS0_10empty_typeEEEZNS1_34radix_sort_onesweep_global_offsetsIS3_Lb0EPKaPS5_mNS0_19identity_decomposerEEE10hipError_tT1_T2_PT3_SF_jT4_jjP12ihipStream_tbEUlT_E0_NS1_11comp_targetILNS1_3genE8ELNS1_11target_archE1030ELNS1_3gpuE2ELNS1_3repE0EEENS1_52radix_sort_onesweep_histogram_config_static_selectorELNS0_4arch9wavefront6targetE0EEEvSD_,@function
_ZN7rocprim17ROCPRIM_400000_NS6detail17trampoline_kernelINS0_14default_configENS1_35radix_sort_onesweep_config_selectorIaNS0_10empty_typeEEEZNS1_34radix_sort_onesweep_global_offsetsIS3_Lb0EPKaPS5_mNS0_19identity_decomposerEEE10hipError_tT1_T2_PT3_SF_jT4_jjP12ihipStream_tbEUlT_E0_NS1_11comp_targetILNS1_3genE8ELNS1_11target_archE1030ELNS1_3gpuE2ELNS1_3repE0EEENS1_52radix_sort_onesweep_histogram_config_static_selectorELNS0_4arch9wavefront6targetE0EEEvSD_: ; @_ZN7rocprim17ROCPRIM_400000_NS6detail17trampoline_kernelINS0_14default_configENS1_35radix_sort_onesweep_config_selectorIaNS0_10empty_typeEEEZNS1_34radix_sort_onesweep_global_offsetsIS3_Lb0EPKaPS5_mNS0_19identity_decomposerEEE10hipError_tT1_T2_PT3_SF_jT4_jjP12ihipStream_tbEUlT_E0_NS1_11comp_targetILNS1_3genE8ELNS1_11target_archE1030ELNS1_3gpuE2ELNS1_3repE0EEENS1_52radix_sort_onesweep_histogram_config_static_selectorELNS0_4arch9wavefront6targetE0EEEvSD_
; %bb.0:
	.section	.rodata,"a",@progbits
	.p2align	6, 0x0
	.amdhsa_kernel _ZN7rocprim17ROCPRIM_400000_NS6detail17trampoline_kernelINS0_14default_configENS1_35radix_sort_onesweep_config_selectorIaNS0_10empty_typeEEEZNS1_34radix_sort_onesweep_global_offsetsIS3_Lb0EPKaPS5_mNS0_19identity_decomposerEEE10hipError_tT1_T2_PT3_SF_jT4_jjP12ihipStream_tbEUlT_E0_NS1_11comp_targetILNS1_3genE8ELNS1_11target_archE1030ELNS1_3gpuE2ELNS1_3repE0EEENS1_52radix_sort_onesweep_histogram_config_static_selectorELNS0_4arch9wavefront6targetE0EEEvSD_
		.amdhsa_group_segment_fixed_size 0
		.amdhsa_private_segment_fixed_size 0
		.amdhsa_kernarg_size 8
		.amdhsa_user_sgpr_count 2
		.amdhsa_user_sgpr_dispatch_ptr 0
		.amdhsa_user_sgpr_queue_ptr 0
		.amdhsa_user_sgpr_kernarg_segment_ptr 1
		.amdhsa_user_sgpr_dispatch_id 0
		.amdhsa_user_sgpr_kernarg_preload_length 0
		.amdhsa_user_sgpr_kernarg_preload_offset 0
		.amdhsa_user_sgpr_private_segment_size 0
		.amdhsa_wavefront_size32 1
		.amdhsa_uses_dynamic_stack 0
		.amdhsa_enable_private_segment 0
		.amdhsa_system_sgpr_workgroup_id_x 1
		.amdhsa_system_sgpr_workgroup_id_y 0
		.amdhsa_system_sgpr_workgroup_id_z 0
		.amdhsa_system_sgpr_workgroup_info 0
		.amdhsa_system_vgpr_workitem_id 0
		.amdhsa_next_free_vgpr 1
		.amdhsa_next_free_sgpr 1
		.amdhsa_named_barrier_count 0
		.amdhsa_reserve_vcc 0
		.amdhsa_float_round_mode_32 0
		.amdhsa_float_round_mode_16_64 0
		.amdhsa_float_denorm_mode_32 3
		.amdhsa_float_denorm_mode_16_64 3
		.amdhsa_fp16_overflow 0
		.amdhsa_memory_ordered 1
		.amdhsa_forward_progress 1
		.amdhsa_inst_pref_size 0
		.amdhsa_round_robin_scheduling 0
		.amdhsa_exception_fp_ieee_invalid_op 0
		.amdhsa_exception_fp_denorm_src 0
		.amdhsa_exception_fp_ieee_div_zero 0
		.amdhsa_exception_fp_ieee_overflow 0
		.amdhsa_exception_fp_ieee_underflow 0
		.amdhsa_exception_fp_ieee_inexact 0
		.amdhsa_exception_int_div_zero 0
	.end_amdhsa_kernel
	.section	.text._ZN7rocprim17ROCPRIM_400000_NS6detail17trampoline_kernelINS0_14default_configENS1_35radix_sort_onesweep_config_selectorIaNS0_10empty_typeEEEZNS1_34radix_sort_onesweep_global_offsetsIS3_Lb0EPKaPS5_mNS0_19identity_decomposerEEE10hipError_tT1_T2_PT3_SF_jT4_jjP12ihipStream_tbEUlT_E0_NS1_11comp_targetILNS1_3genE8ELNS1_11target_archE1030ELNS1_3gpuE2ELNS1_3repE0EEENS1_52radix_sort_onesweep_histogram_config_static_selectorELNS0_4arch9wavefront6targetE0EEEvSD_,"axG",@progbits,_ZN7rocprim17ROCPRIM_400000_NS6detail17trampoline_kernelINS0_14default_configENS1_35radix_sort_onesweep_config_selectorIaNS0_10empty_typeEEEZNS1_34radix_sort_onesweep_global_offsetsIS3_Lb0EPKaPS5_mNS0_19identity_decomposerEEE10hipError_tT1_T2_PT3_SF_jT4_jjP12ihipStream_tbEUlT_E0_NS1_11comp_targetILNS1_3genE8ELNS1_11target_archE1030ELNS1_3gpuE2ELNS1_3repE0EEENS1_52radix_sort_onesweep_histogram_config_static_selectorELNS0_4arch9wavefront6targetE0EEEvSD_,comdat
.Lfunc_end465:
	.size	_ZN7rocprim17ROCPRIM_400000_NS6detail17trampoline_kernelINS0_14default_configENS1_35radix_sort_onesweep_config_selectorIaNS0_10empty_typeEEEZNS1_34radix_sort_onesweep_global_offsetsIS3_Lb0EPKaPS5_mNS0_19identity_decomposerEEE10hipError_tT1_T2_PT3_SF_jT4_jjP12ihipStream_tbEUlT_E0_NS1_11comp_targetILNS1_3genE8ELNS1_11target_archE1030ELNS1_3gpuE2ELNS1_3repE0EEENS1_52radix_sort_onesweep_histogram_config_static_selectorELNS0_4arch9wavefront6targetE0EEEvSD_, .Lfunc_end465-_ZN7rocprim17ROCPRIM_400000_NS6detail17trampoline_kernelINS0_14default_configENS1_35radix_sort_onesweep_config_selectorIaNS0_10empty_typeEEEZNS1_34radix_sort_onesweep_global_offsetsIS3_Lb0EPKaPS5_mNS0_19identity_decomposerEEE10hipError_tT1_T2_PT3_SF_jT4_jjP12ihipStream_tbEUlT_E0_NS1_11comp_targetILNS1_3genE8ELNS1_11target_archE1030ELNS1_3gpuE2ELNS1_3repE0EEENS1_52radix_sort_onesweep_histogram_config_static_selectorELNS0_4arch9wavefront6targetE0EEEvSD_
                                        ; -- End function
	.set _ZN7rocprim17ROCPRIM_400000_NS6detail17trampoline_kernelINS0_14default_configENS1_35radix_sort_onesweep_config_selectorIaNS0_10empty_typeEEEZNS1_34radix_sort_onesweep_global_offsetsIS3_Lb0EPKaPS5_mNS0_19identity_decomposerEEE10hipError_tT1_T2_PT3_SF_jT4_jjP12ihipStream_tbEUlT_E0_NS1_11comp_targetILNS1_3genE8ELNS1_11target_archE1030ELNS1_3gpuE2ELNS1_3repE0EEENS1_52radix_sort_onesweep_histogram_config_static_selectorELNS0_4arch9wavefront6targetE0EEEvSD_.num_vgpr, 0
	.set _ZN7rocprim17ROCPRIM_400000_NS6detail17trampoline_kernelINS0_14default_configENS1_35radix_sort_onesweep_config_selectorIaNS0_10empty_typeEEEZNS1_34radix_sort_onesweep_global_offsetsIS3_Lb0EPKaPS5_mNS0_19identity_decomposerEEE10hipError_tT1_T2_PT3_SF_jT4_jjP12ihipStream_tbEUlT_E0_NS1_11comp_targetILNS1_3genE8ELNS1_11target_archE1030ELNS1_3gpuE2ELNS1_3repE0EEENS1_52radix_sort_onesweep_histogram_config_static_selectorELNS0_4arch9wavefront6targetE0EEEvSD_.num_agpr, 0
	.set _ZN7rocprim17ROCPRIM_400000_NS6detail17trampoline_kernelINS0_14default_configENS1_35radix_sort_onesweep_config_selectorIaNS0_10empty_typeEEEZNS1_34radix_sort_onesweep_global_offsetsIS3_Lb0EPKaPS5_mNS0_19identity_decomposerEEE10hipError_tT1_T2_PT3_SF_jT4_jjP12ihipStream_tbEUlT_E0_NS1_11comp_targetILNS1_3genE8ELNS1_11target_archE1030ELNS1_3gpuE2ELNS1_3repE0EEENS1_52radix_sort_onesweep_histogram_config_static_selectorELNS0_4arch9wavefront6targetE0EEEvSD_.numbered_sgpr, 0
	.set _ZN7rocprim17ROCPRIM_400000_NS6detail17trampoline_kernelINS0_14default_configENS1_35radix_sort_onesweep_config_selectorIaNS0_10empty_typeEEEZNS1_34radix_sort_onesweep_global_offsetsIS3_Lb0EPKaPS5_mNS0_19identity_decomposerEEE10hipError_tT1_T2_PT3_SF_jT4_jjP12ihipStream_tbEUlT_E0_NS1_11comp_targetILNS1_3genE8ELNS1_11target_archE1030ELNS1_3gpuE2ELNS1_3repE0EEENS1_52radix_sort_onesweep_histogram_config_static_selectorELNS0_4arch9wavefront6targetE0EEEvSD_.num_named_barrier, 0
	.set _ZN7rocprim17ROCPRIM_400000_NS6detail17trampoline_kernelINS0_14default_configENS1_35radix_sort_onesweep_config_selectorIaNS0_10empty_typeEEEZNS1_34radix_sort_onesweep_global_offsetsIS3_Lb0EPKaPS5_mNS0_19identity_decomposerEEE10hipError_tT1_T2_PT3_SF_jT4_jjP12ihipStream_tbEUlT_E0_NS1_11comp_targetILNS1_3genE8ELNS1_11target_archE1030ELNS1_3gpuE2ELNS1_3repE0EEENS1_52radix_sort_onesweep_histogram_config_static_selectorELNS0_4arch9wavefront6targetE0EEEvSD_.private_seg_size, 0
	.set _ZN7rocprim17ROCPRIM_400000_NS6detail17trampoline_kernelINS0_14default_configENS1_35radix_sort_onesweep_config_selectorIaNS0_10empty_typeEEEZNS1_34radix_sort_onesweep_global_offsetsIS3_Lb0EPKaPS5_mNS0_19identity_decomposerEEE10hipError_tT1_T2_PT3_SF_jT4_jjP12ihipStream_tbEUlT_E0_NS1_11comp_targetILNS1_3genE8ELNS1_11target_archE1030ELNS1_3gpuE2ELNS1_3repE0EEENS1_52radix_sort_onesweep_histogram_config_static_selectorELNS0_4arch9wavefront6targetE0EEEvSD_.uses_vcc, 0
	.set _ZN7rocprim17ROCPRIM_400000_NS6detail17trampoline_kernelINS0_14default_configENS1_35radix_sort_onesweep_config_selectorIaNS0_10empty_typeEEEZNS1_34radix_sort_onesweep_global_offsetsIS3_Lb0EPKaPS5_mNS0_19identity_decomposerEEE10hipError_tT1_T2_PT3_SF_jT4_jjP12ihipStream_tbEUlT_E0_NS1_11comp_targetILNS1_3genE8ELNS1_11target_archE1030ELNS1_3gpuE2ELNS1_3repE0EEENS1_52radix_sort_onesweep_histogram_config_static_selectorELNS0_4arch9wavefront6targetE0EEEvSD_.uses_flat_scratch, 0
	.set _ZN7rocprim17ROCPRIM_400000_NS6detail17trampoline_kernelINS0_14default_configENS1_35radix_sort_onesweep_config_selectorIaNS0_10empty_typeEEEZNS1_34radix_sort_onesweep_global_offsetsIS3_Lb0EPKaPS5_mNS0_19identity_decomposerEEE10hipError_tT1_T2_PT3_SF_jT4_jjP12ihipStream_tbEUlT_E0_NS1_11comp_targetILNS1_3genE8ELNS1_11target_archE1030ELNS1_3gpuE2ELNS1_3repE0EEENS1_52radix_sort_onesweep_histogram_config_static_selectorELNS0_4arch9wavefront6targetE0EEEvSD_.has_dyn_sized_stack, 0
	.set _ZN7rocprim17ROCPRIM_400000_NS6detail17trampoline_kernelINS0_14default_configENS1_35radix_sort_onesweep_config_selectorIaNS0_10empty_typeEEEZNS1_34radix_sort_onesweep_global_offsetsIS3_Lb0EPKaPS5_mNS0_19identity_decomposerEEE10hipError_tT1_T2_PT3_SF_jT4_jjP12ihipStream_tbEUlT_E0_NS1_11comp_targetILNS1_3genE8ELNS1_11target_archE1030ELNS1_3gpuE2ELNS1_3repE0EEENS1_52radix_sort_onesweep_histogram_config_static_selectorELNS0_4arch9wavefront6targetE0EEEvSD_.has_recursion, 0
	.set _ZN7rocprim17ROCPRIM_400000_NS6detail17trampoline_kernelINS0_14default_configENS1_35radix_sort_onesweep_config_selectorIaNS0_10empty_typeEEEZNS1_34radix_sort_onesweep_global_offsetsIS3_Lb0EPKaPS5_mNS0_19identity_decomposerEEE10hipError_tT1_T2_PT3_SF_jT4_jjP12ihipStream_tbEUlT_E0_NS1_11comp_targetILNS1_3genE8ELNS1_11target_archE1030ELNS1_3gpuE2ELNS1_3repE0EEENS1_52radix_sort_onesweep_histogram_config_static_selectorELNS0_4arch9wavefront6targetE0EEEvSD_.has_indirect_call, 0
	.section	.AMDGPU.csdata,"",@progbits
; Kernel info:
; codeLenInByte = 0
; TotalNumSgprs: 0
; NumVgprs: 0
; ScratchSize: 0
; MemoryBound: 0
; FloatMode: 240
; IeeeMode: 1
; LDSByteSize: 0 bytes/workgroup (compile time only)
; SGPRBlocks: 0
; VGPRBlocks: 0
; NumSGPRsForWavesPerEU: 1
; NumVGPRsForWavesPerEU: 1
; NamedBarCnt: 0
; Occupancy: 16
; WaveLimiterHint : 0
; COMPUTE_PGM_RSRC2:SCRATCH_EN: 0
; COMPUTE_PGM_RSRC2:USER_SGPR: 2
; COMPUTE_PGM_RSRC2:TRAP_HANDLER: 0
; COMPUTE_PGM_RSRC2:TGID_X_EN: 1
; COMPUTE_PGM_RSRC2:TGID_Y_EN: 0
; COMPUTE_PGM_RSRC2:TGID_Z_EN: 0
; COMPUTE_PGM_RSRC2:TIDIG_COMP_CNT: 0
	.section	.text._ZN7rocprim17ROCPRIM_400000_NS6detail17trampoline_kernelINS0_14default_configENS1_35radix_sort_onesweep_config_selectorIaNS0_10empty_typeEEEZZNS1_29radix_sort_onesweep_iterationIS3_Lb0EPKaPaPS5_SB_mNS0_19identity_decomposerENS1_16block_id_wrapperIjLb1EEEEE10hipError_tT1_PNSt15iterator_traitsISG_E10value_typeET2_T3_PNSH_ISM_E10value_typeET4_T5_PSR_SS_PNS1_23onesweep_lookback_stateEbbT6_jjT7_P12ihipStream_tbENKUlT_T0_SG_SL_E_clIS9_SA_SB_SB_EEDaSZ_S10_SG_SL_EUlSZ_E_NS1_11comp_targetILNS1_3genE0ELNS1_11target_archE4294967295ELNS1_3gpuE0ELNS1_3repE0EEENS1_47radix_sort_onesweep_sort_config_static_selectorELNS0_4arch9wavefront6targetE0EEEvSG_,"axG",@progbits,_ZN7rocprim17ROCPRIM_400000_NS6detail17trampoline_kernelINS0_14default_configENS1_35radix_sort_onesweep_config_selectorIaNS0_10empty_typeEEEZZNS1_29radix_sort_onesweep_iterationIS3_Lb0EPKaPaPS5_SB_mNS0_19identity_decomposerENS1_16block_id_wrapperIjLb1EEEEE10hipError_tT1_PNSt15iterator_traitsISG_E10value_typeET2_T3_PNSH_ISM_E10value_typeET4_T5_PSR_SS_PNS1_23onesweep_lookback_stateEbbT6_jjT7_P12ihipStream_tbENKUlT_T0_SG_SL_E_clIS9_SA_SB_SB_EEDaSZ_S10_SG_SL_EUlSZ_E_NS1_11comp_targetILNS1_3genE0ELNS1_11target_archE4294967295ELNS1_3gpuE0ELNS1_3repE0EEENS1_47radix_sort_onesweep_sort_config_static_selectorELNS0_4arch9wavefront6targetE0EEEvSG_,comdat
	.protected	_ZN7rocprim17ROCPRIM_400000_NS6detail17trampoline_kernelINS0_14default_configENS1_35radix_sort_onesweep_config_selectorIaNS0_10empty_typeEEEZZNS1_29radix_sort_onesweep_iterationIS3_Lb0EPKaPaPS5_SB_mNS0_19identity_decomposerENS1_16block_id_wrapperIjLb1EEEEE10hipError_tT1_PNSt15iterator_traitsISG_E10value_typeET2_T3_PNSH_ISM_E10value_typeET4_T5_PSR_SS_PNS1_23onesweep_lookback_stateEbbT6_jjT7_P12ihipStream_tbENKUlT_T0_SG_SL_E_clIS9_SA_SB_SB_EEDaSZ_S10_SG_SL_EUlSZ_E_NS1_11comp_targetILNS1_3genE0ELNS1_11target_archE4294967295ELNS1_3gpuE0ELNS1_3repE0EEENS1_47radix_sort_onesweep_sort_config_static_selectorELNS0_4arch9wavefront6targetE0EEEvSG_ ; -- Begin function _ZN7rocprim17ROCPRIM_400000_NS6detail17trampoline_kernelINS0_14default_configENS1_35radix_sort_onesweep_config_selectorIaNS0_10empty_typeEEEZZNS1_29radix_sort_onesweep_iterationIS3_Lb0EPKaPaPS5_SB_mNS0_19identity_decomposerENS1_16block_id_wrapperIjLb1EEEEE10hipError_tT1_PNSt15iterator_traitsISG_E10value_typeET2_T3_PNSH_ISM_E10value_typeET4_T5_PSR_SS_PNS1_23onesweep_lookback_stateEbbT6_jjT7_P12ihipStream_tbENKUlT_T0_SG_SL_E_clIS9_SA_SB_SB_EEDaSZ_S10_SG_SL_EUlSZ_E_NS1_11comp_targetILNS1_3genE0ELNS1_11target_archE4294967295ELNS1_3gpuE0ELNS1_3repE0EEENS1_47radix_sort_onesweep_sort_config_static_selectorELNS0_4arch9wavefront6targetE0EEEvSG_
	.globl	_ZN7rocprim17ROCPRIM_400000_NS6detail17trampoline_kernelINS0_14default_configENS1_35radix_sort_onesweep_config_selectorIaNS0_10empty_typeEEEZZNS1_29radix_sort_onesweep_iterationIS3_Lb0EPKaPaPS5_SB_mNS0_19identity_decomposerENS1_16block_id_wrapperIjLb1EEEEE10hipError_tT1_PNSt15iterator_traitsISG_E10value_typeET2_T3_PNSH_ISM_E10value_typeET4_T5_PSR_SS_PNS1_23onesweep_lookback_stateEbbT6_jjT7_P12ihipStream_tbENKUlT_T0_SG_SL_E_clIS9_SA_SB_SB_EEDaSZ_S10_SG_SL_EUlSZ_E_NS1_11comp_targetILNS1_3genE0ELNS1_11target_archE4294967295ELNS1_3gpuE0ELNS1_3repE0EEENS1_47radix_sort_onesweep_sort_config_static_selectorELNS0_4arch9wavefront6targetE0EEEvSG_
	.p2align	8
	.type	_ZN7rocprim17ROCPRIM_400000_NS6detail17trampoline_kernelINS0_14default_configENS1_35radix_sort_onesweep_config_selectorIaNS0_10empty_typeEEEZZNS1_29radix_sort_onesweep_iterationIS3_Lb0EPKaPaPS5_SB_mNS0_19identity_decomposerENS1_16block_id_wrapperIjLb1EEEEE10hipError_tT1_PNSt15iterator_traitsISG_E10value_typeET2_T3_PNSH_ISM_E10value_typeET4_T5_PSR_SS_PNS1_23onesweep_lookback_stateEbbT6_jjT7_P12ihipStream_tbENKUlT_T0_SG_SL_E_clIS9_SA_SB_SB_EEDaSZ_S10_SG_SL_EUlSZ_E_NS1_11comp_targetILNS1_3genE0ELNS1_11target_archE4294967295ELNS1_3gpuE0ELNS1_3repE0EEENS1_47radix_sort_onesweep_sort_config_static_selectorELNS0_4arch9wavefront6targetE0EEEvSG_,@function
_ZN7rocprim17ROCPRIM_400000_NS6detail17trampoline_kernelINS0_14default_configENS1_35radix_sort_onesweep_config_selectorIaNS0_10empty_typeEEEZZNS1_29radix_sort_onesweep_iterationIS3_Lb0EPKaPaPS5_SB_mNS0_19identity_decomposerENS1_16block_id_wrapperIjLb1EEEEE10hipError_tT1_PNSt15iterator_traitsISG_E10value_typeET2_T3_PNSH_ISM_E10value_typeET4_T5_PSR_SS_PNS1_23onesweep_lookback_stateEbbT6_jjT7_P12ihipStream_tbENKUlT_T0_SG_SL_E_clIS9_SA_SB_SB_EEDaSZ_S10_SG_SL_EUlSZ_E_NS1_11comp_targetILNS1_3genE0ELNS1_11target_archE4294967295ELNS1_3gpuE0ELNS1_3repE0EEENS1_47radix_sort_onesweep_sort_config_static_selectorELNS0_4arch9wavefront6targetE0EEEvSG_: ; @_ZN7rocprim17ROCPRIM_400000_NS6detail17trampoline_kernelINS0_14default_configENS1_35radix_sort_onesweep_config_selectorIaNS0_10empty_typeEEEZZNS1_29radix_sort_onesweep_iterationIS3_Lb0EPKaPaPS5_SB_mNS0_19identity_decomposerENS1_16block_id_wrapperIjLb1EEEEE10hipError_tT1_PNSt15iterator_traitsISG_E10value_typeET2_T3_PNSH_ISM_E10value_typeET4_T5_PSR_SS_PNS1_23onesweep_lookback_stateEbbT6_jjT7_P12ihipStream_tbENKUlT_T0_SG_SL_E_clIS9_SA_SB_SB_EEDaSZ_S10_SG_SL_EUlSZ_E_NS1_11comp_targetILNS1_3genE0ELNS1_11target_archE4294967295ELNS1_3gpuE0ELNS1_3repE0EEENS1_47radix_sort_onesweep_sort_config_static_selectorELNS0_4arch9wavefront6targetE0EEEvSG_
; %bb.0:
	s_clause 0x1
	s_load_b128 s[8:11], s[0:1], 0x28
	s_load_b64 s[20:21], s[0:1], 0x38
	s_mov_b32 s2, exec_lo
	v_cmpx_eq_u32_e32 0, v0
	s_cbranch_execz .LBB466_4
; %bb.1:
	s_mov_b32 s4, exec_lo
	s_mov_b32 s3, exec_lo
	v_mbcnt_lo_u32_b32 v1, s4, 0
                                        ; implicit-def: $vgpr2
	s_delay_alu instid0(VALU_DEP_1)
	v_cmpx_eq_u32_e32 0, v1
	s_cbranch_execz .LBB466_3
; %bb.2:
	s_load_b64 s[6:7], s[0:1], 0x50
	s_bcnt1_i32_b32 s4, s4
	s_delay_alu instid0(SALU_CYCLE_1)
	v_dual_mov_b32 v2, 0 :: v_dual_mov_b32 v3, s4
	s_wait_xcnt 0x0
	s_wait_kmcnt 0x0
	global_atomic_add_u32 v2, v2, v3, s[6:7] th:TH_ATOMIC_RETURN scope:SCOPE_DEV
.LBB466_3:
	s_wait_xcnt 0x0
	s_or_b32 exec_lo, exec_lo, s3
	s_wait_loadcnt 0x0
	v_readfirstlane_b32 s3, v2
	s_delay_alu instid0(VALU_DEP_1)
	v_dual_mov_b32 v2, 0 :: v_dual_add_nc_u32 v1, s3, v1
	ds_store_b32 v2, v1 offset:32896
.LBB466_4:
	s_or_b32 exec_lo, exec_lo, s2
	v_mov_b32_e32 v7, 0
	s_clause 0x2
	s_load_b128 s[12:15], s[0:1], 0x0
	s_load_b32 s2, s[0:1], 0x20
	s_load_b96 s[16:18], s[0:1], 0x44
	s_wait_dscnt 0x0
	s_barrier_signal -1
	s_barrier_wait -1
	ds_load_b32 v1, v7 offset:32896
	v_mul_u32_u24_e32 v6, 22, v0
	s_mov_b32 s3, -1
	s_wait_dscnt 0x0
	s_barrier_signal -1
	s_barrier_wait -1
	v_readfirstlane_b32 s19, v1
	s_wait_kmcnt 0x0
	v_cmp_le_u32_e32 vcc_lo, s18, v1
	s_mul_i32 s22, s19, 0x5800
	s_cbranch_vccz .LBB466_116
; %bb.5:
	s_mov_b32 s23, 0
	s_mulk_i32 s18, 0xa800
	s_add_nc_u64 s[4:5], s[12:13], s[22:23]
	s_add_co_i32 s18, s18, s2
	v_add_nc_u64_e32 v[2:3], s[4:5], v[6:7]
	v_cmp_gt_u32_e32 vcc_lo, s18, v6
	v_dual_mov_b32 v1, 0x7f :: v_dual_mov_b32 v24, 0x7f
	v_dual_mov_b32 v25, 0x7f :: v_dual_mov_b32 v22, 0x7f
	;; [unrolled: 1-line block ×10, first 2 shown]
	v_mov_b32_e32 v7, 0x7f
	v_mov_b32_e32 v5, 0x7f
	s_and_saveexec_b32 s2, vcc_lo
	s_cbranch_execz .LBB466_7
; %bb.6:
	global_load_u8 v25, v[2:3], off
	v_dual_mov_b32 v1, 0x7f :: v_dual_mov_b32 v24, 0x7f
	v_dual_mov_b32 v23, 0x7f :: v_dual_mov_b32 v22, 0x7f
	;; [unrolled: 1-line block ×10, first 2 shown]
	v_mov_b32_e32 v5, 0x7f
.LBB466_7:
	s_wait_xcnt 0x0
	s_or_b32 exec_lo, exec_lo, s2
	v_or_b32_e32 v26, 1, v6
	s_mov_b32 s2, exec_lo
	s_delay_alu instid0(VALU_DEP_1)
	v_cmpx_gt_u32_e64 s18, v26
	s_cbranch_execz .LBB466_9
; %bb.8:
	global_load_u8 v24, v[2:3], off offset:1
.LBB466_9:
	s_wait_xcnt 0x0
	s_or_b32 exec_lo, exec_lo, s2
	v_add_nc_u32_e32 v26, 2, v6
	s_mov_b32 s2, exec_lo
	s_delay_alu instid0(VALU_DEP_1)
	v_cmpx_gt_u32_e64 s18, v26
	s_cbranch_execz .LBB466_11
; %bb.10:
	global_load_u8 v23, v[2:3], off offset:2
.LBB466_11:
	s_wait_xcnt 0x0
	s_or_b32 exec_lo, exec_lo, s2
	v_add_nc_u32_e32 v26, 3, v6
	;; [unrolled: 10-line block ×20, first 2 shown]
	s_mov_b32 s2, exec_lo
	s_delay_alu instid0(VALU_DEP_1)
	v_cmpx_gt_u32_e64 s18, v26
	s_cbranch_execz .LBB466_49
; %bb.48:
	global_load_u8 v1, v[2:3], off offset:21
.LBB466_49:
	s_wait_xcnt 0x0
	s_or_b32 exec_lo, exec_lo, s2
	s_wait_loadcnt 0x0
	v_xor_b32_e32 v25, 0xffffff80, v25
	s_lshl_b32 s23, -1, s17
	v_xor_b32_e32 v24, 0xffffff80, v24
	v_xor_b32_e32 v23, 0xffffff80, v23
	;; [unrolled: 1-line block ×3, first 2 shown]
	v_and_b32_e32 v2, 0xff, v25
	v_xor_b32_e32 v21, 0xffffff80, v21
	v_and_b32_e32 v28, 0xff, v24
	v_xor_b32_e32 v20, 0xffffff80, v20
	v_and_b32_e32 v30, 0xff, v22
	v_dual_lshrrev_b32 v2, s16, v2 :: v_dual_lshlrev_b32 v26, 2, v0
	v_xor_b32_e32 v19, 0xffffff80, v19
	v_xor_b32_e32 v18, 0xffffff80, v18
	;; [unrolled: 1-line block ×3, first 2 shown]
	s_delay_alu instid0(VALU_DEP_4)
	v_bitop3_b32 v2, v2, s23, v2 bitop3:0x30
	v_xor_b32_e32 v16, 0xffffff80, v16
	v_xor_b32_e32 v15, 0xffffff80, v15
	;; [unrolled: 1-line block ×4, first 2 shown]
	v_dual_lshlrev_b32 v3, 10, v2 :: v_dual_lshrrev_b32 v2, 2, v2
	v_mov_b32_e32 v27, 0
	v_xor_b32_e32 v12, 0xffffff80, v12
	v_xor_b32_e32 v11, 0xffffff80, v11
	s_delay_alu instid0(VALU_DEP_4)
	v_and_or_b32 v3, 0x1c00, v3, v0
	v_and_b32_e32 v2, 62, v2
	ds_store_2addr_stride64_b32 v26, v27, v27 offset1:16
	ds_store_2addr_stride64_b32 v26, v27, v27 offset0:32 offset1:48
	ds_store_2addr_stride64_b32 v26, v27, v27 offset0:64 offset1:80
	;; [unrolled: 1-line block ×3, first 2 shown]
	v_xor_b32_e32 v10, 0xffffff80, v10
	v_xor_b32_e32 v9, 0xffffff80, v9
	v_lshl_add_u32 v2, v3, 2, v2
	v_lshrrev_b32_e32 v3, s16, v28
	v_and_b32_e32 v28, 0xff, v23
	v_xor_b32_e32 v8, 0xffffff80, v8
	v_xor_b32_e32 v7, 0xffffff80, v7
	ds_load_u16 v26, v2
	s_mov_b32 s7, exec_lo
	v_lshrrev_b32_e32 v28, s16, v28
	v_bitop3_b32 v3, v3, s23, v3 bitop3:0x30
	s_delay_alu instid0(VALU_DEP_2) | instskip(NEXT) | instid1(VALU_DEP_2)
	v_bitop3_b32 v28, v28, s23, v28 bitop3:0x30
	v_dual_lshlrev_b32 v27, 10, v3 :: v_dual_lshrrev_b32 v3, 2, v3
	s_delay_alu instid0(VALU_DEP_1) | instskip(NEXT) | instid1(VALU_DEP_2)
	v_and_or_b32 v27, 0x1c00, v27, v0
	v_and_b32_e32 v3, 62, v3
	s_wait_dscnt 0x0
	v_add_nc_u16 v29, v26, 1
	ds_store_b16 v2, v29
	v_lshlrev_b32_e32 v29, 10, v28
	v_lshl_add_u32 v3, v27, 2, v3
	v_lshrrev_b32_e32 v28, 2, v28
	s_delay_alu instid0(VALU_DEP_3) | instskip(SKIP_2) | instid1(VALU_DEP_1)
	v_and_or_b32 v29, 0x1c00, v29, v0
	ds_load_u16 v27, v3
	v_and_b32_e32 v28, 62, v28
	v_lshl_add_u32 v34, v29, 2, v28
	v_lshrrev_b32_e32 v29, s16, v30
	s_delay_alu instid0(VALU_DEP_1) | instskip(NEXT) | instid1(VALU_DEP_1)
	v_bitop3_b32 v29, v29, s23, v29 bitop3:0x30
	v_lshlrev_b32_e32 v30, 10, v29
	s_wait_dscnt 0x0
	v_add_nc_u16 v31, v27, 1
	s_delay_alu instid0(VALU_DEP_2) | instskip(SKIP_4) | instid1(VALU_DEP_1)
	v_and_or_b32 v30, 0x1c00, v30, v0
	ds_store_b16 v3, v31
	ds_load_u16 v28, v34
	v_and_b32_e32 v31, 0xff, v21
	v_lshrrev_b32_e32 v29, 2, v29
	v_and_b32_e32 v29, 62, v29
	s_delay_alu instid0(VALU_DEP_1) | instskip(NEXT) | instid1(VALU_DEP_4)
	v_lshl_add_u32 v36, v30, 2, v29
	v_lshrrev_b32_e32 v30, s16, v31
	s_delay_alu instid0(VALU_DEP_1) | instskip(SKIP_2) | instid1(VALU_DEP_2)
	v_bitop3_b32 v30, v30, s23, v30 bitop3:0x30
	s_wait_dscnt 0x0
	v_add_nc_u16 v32, v28, 1
	v_lshlrev_b32_e32 v31, 10, v30
	ds_store_b16 v34, v32
	ds_load_u16 v29, v36
	v_and_b32_e32 v32, 0xff, v20
	v_lshrrev_b32_e32 v30, 2, v30
	v_and_or_b32 v31, 0x1c00, v31, v0
	s_delay_alu instid0(VALU_DEP_2) | instskip(NEXT) | instid1(VALU_DEP_1)
	v_and_b32_e32 v30, 62, v30
	v_lshl_add_u32 v38, v31, 2, v30
	v_lshrrev_b32_e32 v31, s16, v32
	s_delay_alu instid0(VALU_DEP_1) | instskip(SKIP_2) | instid1(VALU_DEP_2)
	v_bitop3_b32 v31, v31, s23, v31 bitop3:0x30
	s_wait_dscnt 0x0
	v_add_nc_u16 v33, v29, 1
	v_lshlrev_b32_e32 v32, 10, v31
	ds_store_b16 v36, v33
	ds_load_u16 v30, v38
	v_and_b32_e32 v33, 0xff, v19
	v_lshrrev_b32_e32 v31, 2, v31
	v_and_or_b32 v32, 0x1c00, v32, v0
	s_delay_alu instid0(VALU_DEP_2) | instskip(NEXT) | instid1(VALU_DEP_1)
	v_and_b32_e32 v31, 62, v31
	;; [unrolled: 14-line block ×3, first 2 shown]
	v_lshl_add_u32 v42, v33, 2, v32
	v_lshrrev_b32_e32 v33, s16, v35
	s_delay_alu instid0(VALU_DEP_1) | instskip(SKIP_2) | instid1(VALU_DEP_2)
	v_bitop3_b32 v33, v33, s23, v33 bitop3:0x30
	s_wait_dscnt 0x0
	v_add_nc_u16 v37, v31, 1
	v_dual_lshlrev_b32 v35, 10, v33 :: v_dual_lshrrev_b32 v33, 2, v33
	ds_store_b16 v40, v37
	ds_load_u16 v32, v42
	v_and_b32_e32 v37, 0xff, v17
	v_and_or_b32 v35, 0x1c00, v35, v0
	v_and_b32_e32 v33, 62, v33
	s_delay_alu instid0(VALU_DEP_1)
	v_lshl_add_u32 v45, v35, 2, v33
	s_wait_dscnt 0x0
	v_add_nc_u16 v39, v32, 1
	ds_store_b16 v42, v39
	ds_load_u16 v33, v45
	v_and_b32_e32 v39, 0xff, v16
	v_lshrrev_b32_e32 v35, s16, v37
	s_delay_alu instid0(VALU_DEP_1) | instskip(NEXT) | instid1(VALU_DEP_1)
	v_bitop3_b32 v35, v35, s23, v35 bitop3:0x30
	v_dual_lshlrev_b32 v37, 10, v35 :: v_dual_lshrrev_b32 v35, 2, v35
	s_delay_alu instid0(VALU_DEP_1) | instskip(NEXT) | instid1(VALU_DEP_2)
	v_and_or_b32 v37, 0x1c00, v37, v0
	v_and_b32_e32 v35, 62, v35
	s_wait_dscnt 0x0
	v_add_nc_u16 v41, v33, 1
	s_delay_alu instid0(VALU_DEP_2)
	v_lshl_add_u32 v48, v37, 2, v35
	v_lshrrev_b32_e32 v37, s16, v39
	ds_store_b16 v45, v41
	v_and_b32_e32 v41, 0xff, v15
	ds_load_u16 v35, v48
	v_bitop3_b32 v37, v37, s23, v37 bitop3:0x30
	s_delay_alu instid0(VALU_DEP_1) | instskip(NEXT) | instid1(VALU_DEP_1)
	v_dual_lshlrev_b32 v39, 10, v37 :: v_dual_lshrrev_b32 v37, 2, v37
	v_and_or_b32 v39, 0x1c00, v39, v0
	s_delay_alu instid0(VALU_DEP_2) | instskip(NEXT) | instid1(VALU_DEP_1)
	v_and_b32_e32 v37, 62, v37
	v_lshl_add_u32 v51, v39, 2, v37
	s_wait_dscnt 0x0
	v_add_nc_u16 v43, v35, 1
	ds_store_b16 v48, v43
	ds_load_u16 v37, v51
	v_and_b32_e32 v43, 0xff, v14
	v_lshrrev_b32_e32 v39, s16, v41
	s_delay_alu instid0(VALU_DEP_1) | instskip(NEXT) | instid1(VALU_DEP_1)
	v_bitop3_b32 v39, v39, s23, v39 bitop3:0x30
	v_dual_lshlrev_b32 v41, 10, v39 :: v_dual_lshrrev_b32 v39, 2, v39
	s_delay_alu instid0(VALU_DEP_1) | instskip(NEXT) | instid1(VALU_DEP_2)
	v_and_or_b32 v41, 0x1c00, v41, v0
	v_and_b32_e32 v39, 62, v39
	s_wait_dscnt 0x0
	v_add_nc_u16 v44, v37, 1
	s_delay_alu instid0(VALU_DEP_2)
	v_lshl_add_u32 v53, v41, 2, v39
	v_lshrrev_b32_e32 v41, s16, v43
	ds_store_b16 v51, v44
	v_and_b32_e32 v44, 0xff, v13
	ds_load_u16 v39, v53
	v_bitop3_b32 v41, v41, s23, v41 bitop3:0x30
	s_delay_alu instid0(VALU_DEP_1) | instskip(NEXT) | instid1(VALU_DEP_1)
	v_dual_lshlrev_b32 v43, 10, v41 :: v_dual_lshrrev_b32 v41, 2, v41
	v_and_or_b32 v43, 0x1c00, v43, v0
	s_delay_alu instid0(VALU_DEP_2) | instskip(NEXT) | instid1(VALU_DEP_1)
	v_and_b32_e32 v41, 62, v41
	v_lshl_add_u32 v55, v43, 2, v41
	v_lshrrev_b32_e32 v43, s16, v44
	s_wait_dscnt 0x0
	v_add_nc_u16 v46, v39, 1
	s_delay_alu instid0(VALU_DEP_2) | instskip(SKIP_4) | instid1(VALU_DEP_1)
	v_bitop3_b32 v43, v43, s23, v43 bitop3:0x30
	ds_store_b16 v53, v46
	ds_load_u16 v41, v55
	v_and_b32_e32 v46, 0xff, v12
	v_dual_lshlrev_b32 v44, 10, v43 :: v_dual_lshrrev_b32 v43, 2, v43
	v_and_or_b32 v44, 0x1c00, v44, v0
	s_delay_alu instid0(VALU_DEP_2) | instskip(NEXT) | instid1(VALU_DEP_1)
	v_and_b32_e32 v43, 62, v43
	v_lshl_add_u32 v57, v44, 2, v43
	v_lshrrev_b32_e32 v44, s16, v46
	s_delay_alu instid0(VALU_DEP_1) | instskip(SKIP_2) | instid1(VALU_DEP_2)
	v_bitop3_b32 v44, v44, s23, v44 bitop3:0x30
	s_wait_dscnt 0x0
	v_add_nc_u16 v47, v41, 1
	v_lshlrev_b32_e32 v46, 10, v44
	ds_store_b16 v55, v47
	ds_load_u16 v43, v57
	v_lshrrev_b32_e32 v44, 2, v44
	v_and_b32_e32 v47, 0xff, v11
	v_and_or_b32 v46, 0x1c00, v46, v0
	s_delay_alu instid0(VALU_DEP_3) | instskip(NEXT) | instid1(VALU_DEP_1)
	v_and_b32_e32 v44, 62, v44
	v_lshl_add_u32 v58, v46, 2, v44
	s_delay_alu instid0(VALU_DEP_4) | instskip(NEXT) | instid1(VALU_DEP_1)
	v_lshrrev_b32_e32 v44, s16, v47
	v_bitop3_b32 v44, v44, s23, v44 bitop3:0x30
	s_wait_dscnt 0x0
	v_add_nc_u16 v49, v43, 1
	s_delay_alu instid0(VALU_DEP_2)
	v_dual_lshlrev_b32 v47, 10, v44 :: v_dual_lshrrev_b32 v44, 2, v44
	ds_store_b16 v57, v49
	ds_load_u16 v46, v58
	v_and_or_b32 v47, 0x1c00, v47, v0
	v_and_b32_e32 v44, 62, v44
	v_and_b32_e32 v49, 0xff, v10
	s_delay_alu instid0(VALU_DEP_2) | instskip(NEXT) | instid1(VALU_DEP_2)
	v_lshl_add_u32 v60, v47, 2, v44
	v_lshrrev_b32_e32 v44, s16, v49
	s_delay_alu instid0(VALU_DEP_1) | instskip(NEXT) | instid1(VALU_DEP_1)
	v_bitop3_b32 v44, v44, s23, v44 bitop3:0x30
	v_dual_lshlrev_b32 v47, 10, v44 :: v_dual_lshrrev_b32 v44, 2, v44
	s_wait_dscnt 0x0
	v_add_nc_u16 v50, v46, 1
	s_delay_alu instid0(VALU_DEP_2) | instskip(NEXT) | instid1(VALU_DEP_3)
	v_and_or_b32 v47, 0x1c00, v47, v0
	v_and_b32_e32 v44, 62, v44
	ds_store_b16 v58, v50
	ds_load_u16 v49, v60
	v_and_b32_e32 v50, 0xff, v9
	v_lshl_add_u32 v62, v47, 2, v44
	s_delay_alu instid0(VALU_DEP_2) | instskip(SKIP_1) | instid1(VALU_DEP_2)
	v_lshrrev_b32_e32 v44, s16, v50
	v_and_b32_e32 v50, 0xff, v8
	v_bitop3_b32 v44, v44, s23, v44 bitop3:0x30
	s_delay_alu instid0(VALU_DEP_1) | instskip(SKIP_2) | instid1(VALU_DEP_2)
	v_dual_lshlrev_b32 v47, 10, v44 :: v_dual_lshrrev_b32 v44, 2, v44
	s_wait_dscnt 0x0
	v_add_nc_u16 v52, v49, 1
	v_and_or_b32 v47, 0x1c00, v47, v0
	s_delay_alu instid0(VALU_DEP_3)
	v_and_b32_e32 v44, 62, v44
	ds_store_b16 v60, v52
	ds_load_u16 v52, v62
	v_lshl_add_u32 v63, v47, 2, v44
	v_lshrrev_b32_e32 v44, s16, v50
	v_and_b32_e32 v50, 0xff, v7
	s_delay_alu instid0(VALU_DEP_2) | instskip(NEXT) | instid1(VALU_DEP_1)
	v_bitop3_b32 v44, v44, s23, v44 bitop3:0x30
	v_dual_lshlrev_b32 v47, 10, v44 :: v_dual_lshrrev_b32 v44, 2, v44
	s_delay_alu instid0(VALU_DEP_1) | instskip(NEXT) | instid1(VALU_DEP_2)
	v_and_or_b32 v47, 0x1c00, v47, v0
	v_and_b32_e32 v44, 62, v44
	s_wait_dscnt 0x0
	v_add_nc_u16 v54, v52, 1
	s_delay_alu instid0(VALU_DEP_2) | instskip(SKIP_4) | instid1(VALU_DEP_1)
	v_lshl_add_u32 v64, v47, 2, v44
	v_lshrrev_b32_e32 v44, s16, v50
	ds_store_b16 v62, v54
	ds_load_u16 v54, v63
	v_bitop3_b32 v44, v44, s23, v44 bitop3:0x30
	v_dual_lshlrev_b32 v47, 10, v44 :: v_dual_lshrrev_b32 v50, 2, v44
	v_xor_b32_e32 v44, 0xffffff80, v5
	s_delay_alu instid0(VALU_DEP_2) | instskip(NEXT) | instid1(VALU_DEP_3)
	v_and_or_b32 v5, 0x1c00, v47, v0
	v_and_b32_e32 v47, 62, v50
	s_delay_alu instid0(VALU_DEP_3) | instskip(NEXT) | instid1(VALU_DEP_2)
	v_and_b32_e32 v50, 0xff, v44
	v_lshl_add_u32 v65, v5, 2, v47
	s_wait_dscnt 0x0
	v_add_nc_u16 v56, v54, 1
	s_delay_alu instid0(VALU_DEP_3) | instskip(SKIP_3) | instid1(VALU_DEP_1)
	v_lshrrev_b32_e32 v47, s16, v50
	ds_store_b16 v63, v56
	ds_load_u16 v56, v64
	v_bitop3_b32 v47, v47, s23, v47 bitop3:0x30
	v_lshlrev_b32_e32 v50, 10, v47
	s_wait_dscnt 0x0
	v_add_nc_u16 v59, v56, 1
	ds_store_b16 v64, v59
	ds_load_u16 v5, v65
	v_lshrrev_b32_e32 v59, 2, v47
	v_xor_b32_e32 v47, 0xffffff80, v4
	v_and_or_b32 v4, 0x1c00, v50, v0
	s_delay_alu instid0(VALU_DEP_3) | instskip(NEXT) | instid1(VALU_DEP_3)
	v_and_b32_e32 v50, 62, v59
	v_and_b32_e32 v59, 0xff, v47
	s_delay_alu instid0(VALU_DEP_2) | instskip(NEXT) | instid1(VALU_DEP_2)
	v_lshl_add_u32 v4, v4, 2, v50
	v_lshrrev_b32_e32 v50, s16, v59
	s_delay_alu instid0(VALU_DEP_1) | instskip(SKIP_2) | instid1(VALU_DEP_2)
	v_bitop3_b32 v50, v50, s23, v50 bitop3:0x30
	s_wait_dscnt 0x0
	v_add_nc_u16 v61, v5, 1
	v_lshrrev_b32_e32 v66, 2, v50
	ds_store_b16 v65, v61
	ds_load_u16 v59, v4
	v_lshlrev_b32_e32 v61, 10, v50
	v_xor_b32_e32 v50, 0xffffff80, v1
	s_delay_alu instid0(VALU_DEP_2) | instskip(SKIP_1) | instid1(VALU_DEP_3)
	v_and_or_b32 v1, 0x1c00, v61, v0
	v_and_b32_e32 v61, 62, v66
	v_and_b32_e32 v67, 0xff, v50
	s_delay_alu instid0(VALU_DEP_2) | instskip(NEXT) | instid1(VALU_DEP_2)
	v_lshl_add_u32 v66, v1, 2, v61
	v_lshrrev_b32_e32 v61, s16, v67
	s_delay_alu instid0(VALU_DEP_1) | instskip(SKIP_2) | instid1(VALU_DEP_2)
	v_bitop3_b32 v61, v61, s23, v61 bitop3:0x30
	s_wait_dscnt 0x0
	v_add_nc_u16 v68, v59, 1
	v_dual_lshlrev_b32 v67, 10, v61 :: v_dual_lshrrev_b32 v61, 2, v61
	ds_store_b16 v4, v68
	ds_load_u16 v1, v66
	v_and_or_b32 v67, 0x1c00, v67, v0
	v_and_b32_e32 v61, 62, v61
	s_delay_alu instid0(VALU_DEP_1)
	v_lshl_add_u32 v67, v67, 2, v61
	s_wait_dscnt 0x0
	v_add_nc_u16 v68, v1, 1
	ds_store_b16 v66, v68
	ds_load_u16 v61, v67
	v_lshlrev_b32_e32 v68, 5, v0
	s_wait_dscnt 0x0
	v_add_nc_u16 v69, v61, 1
	ds_store_b16 v67, v69
	s_wait_dscnt 0x0
	s_barrier_signal -1
	s_barrier_wait -1
	ds_load_2addr_b64 v[70:73], v68 offset1:1
	ds_load_2addr_b64 v[74:77], v68 offset0:2 offset1:3
	s_wait_dscnt 0x1
	v_add_nc_u32_e32 v69, v71, v70
	s_delay_alu instid0(VALU_DEP_1) | instskip(SKIP_2) | instid1(VALU_DEP_2)
	v_add3_u32 v69, v69, v72, v73
	v_and_b32_e32 v73, 31, v0
	s_wait_dscnt 0x0
	v_add3_u32 v70, v69, v74, v75
	v_mbcnt_lo_u32_b32 v69, -1, 0
	s_delay_alu instid0(VALU_DEP_2) | instskip(NEXT) | instid1(VALU_DEP_2)
	v_add3_u32 v70, v70, v76, v77
	v_and_b32_e32 v71, 15, v69
	s_delay_alu instid0(VALU_DEP_2) | instskip(NEXT) | instid1(VALU_DEP_2)
	v_mov_b32_dpp v72, v70 row_shr:1 row_mask:0xf bank_mask:0xf
	v_cmp_eq_u32_e32 vcc_lo, 0, v71
	s_delay_alu instid0(VALU_DEP_2) | instskip(NEXT) | instid1(VALU_DEP_1)
	v_cndmask_b32_e64 v72, v72, 0, vcc_lo
	v_add_nc_u32_e32 v70, v72, v70
	v_cmp_lt_u32_e64 s2, 1, v71
	v_cmp_lt_u32_e64 s3, 3, v71
	;; [unrolled: 1-line block ×3, first 2 shown]
	s_delay_alu instid0(VALU_DEP_4) | instskip(NEXT) | instid1(VALU_DEP_1)
	v_mov_b32_dpp v72, v70 row_shr:2 row_mask:0xf bank_mask:0xf
	v_cndmask_b32_e64 v72, 0, v72, s2
	s_delay_alu instid0(VALU_DEP_1) | instskip(NEXT) | instid1(VALU_DEP_1)
	v_add_nc_u32_e32 v70, v70, v72
	v_mov_b32_dpp v72, v70 row_shr:4 row_mask:0xf bank_mask:0xf
	s_delay_alu instid0(VALU_DEP_1) | instskip(NEXT) | instid1(VALU_DEP_1)
	v_cndmask_b32_e64 v72, 0, v72, s3
	v_add_nc_u32_e32 v70, v70, v72
	s_delay_alu instid0(VALU_DEP_1) | instskip(NEXT) | instid1(VALU_DEP_1)
	v_mov_b32_dpp v72, v70 row_shr:8 row_mask:0xf bank_mask:0xf
	v_cndmask_b32_e64 v71, 0, v72, s4
	v_bfe_i32 v72, v69, 4, 1
	s_delay_alu instid0(VALU_DEP_2) | instskip(SKIP_4) | instid1(VALU_DEP_2)
	v_add_nc_u32_e32 v70, v70, v71
	ds_swizzle_b32 v71, v70 offset:swizzle(BROADCAST,32,15)
	s_wait_dscnt 0x0
	v_and_b32_e32 v71, v72, v71
	v_dual_lshrrev_b32 v72, 5, v0 :: v_dual_bitop2_b32 v74, 16, v69 bitop3:0x40
	v_add_nc_u32_e32 v70, v70, v71
	s_delay_alu instid0(VALU_DEP_2) | instskip(NEXT) | instid1(VALU_DEP_3)
	v_cmp_eq_u32_e64 s5, 0, v74
	v_lshlrev_b32_e32 v71, 2, v72
	v_cmpx_eq_u32_e32 31, v73
; %bb.50:
	ds_store_b32 v71, v70 offset:32768
; %bb.51:
	s_or_b32 exec_lo, exec_lo, s7
	v_cmp_lt_u32_e64 s6, 31, v0
	s_mov_b32 s24, exec_lo
	s_wait_dscnt 0x0
	s_barrier_signal -1
	s_barrier_wait -1
	v_cmpx_gt_u32_e32 32, v0
	s_cbranch_execz .LBB466_53
; %bb.52:
	v_mad_i32_i24 v72, 0xffffffe4, v0, v68
	ds_load_b32 v73, v72 offset:32768
	s_wait_dscnt 0x0
	v_mov_b32_dpp v74, v73 row_shr:1 row_mask:0xf bank_mask:0xf
	s_delay_alu instid0(VALU_DEP_1) | instskip(NEXT) | instid1(VALU_DEP_1)
	v_cndmask_b32_e64 v74, v74, 0, vcc_lo
	v_add_nc_u32_e32 v73, v74, v73
	s_delay_alu instid0(VALU_DEP_1) | instskip(NEXT) | instid1(VALU_DEP_1)
	v_mov_b32_dpp v74, v73 row_shr:2 row_mask:0xf bank_mask:0xf
	v_cndmask_b32_e64 v74, 0, v74, s2
	s_delay_alu instid0(VALU_DEP_1) | instskip(NEXT) | instid1(VALU_DEP_1)
	v_add_nc_u32_e32 v73, v73, v74
	v_mov_b32_dpp v74, v73 row_shr:4 row_mask:0xf bank_mask:0xf
	s_delay_alu instid0(VALU_DEP_1) | instskip(NEXT) | instid1(VALU_DEP_1)
	v_cndmask_b32_e64 v74, 0, v74, s3
	v_add_nc_u32_e32 v73, v73, v74
	s_delay_alu instid0(VALU_DEP_1) | instskip(NEXT) | instid1(VALU_DEP_1)
	v_mov_b32_dpp v74, v73 row_shr:8 row_mask:0xf bank_mask:0xf
	v_cndmask_b32_e64 v74, 0, v74, s4
	s_delay_alu instid0(VALU_DEP_1) | instskip(SKIP_3) | instid1(VALU_DEP_1)
	v_add_nc_u32_e32 v73, v73, v74
	ds_swizzle_b32 v74, v73 offset:swizzle(BROADCAST,32,15)
	s_wait_dscnt 0x0
	v_cndmask_b32_e64 v74, v74, 0, s5
	v_add_nc_u32_e32 v73, v73, v74
	ds_store_b32 v72, v73 offset:32768
.LBB466_53:
	s_or_b32 exec_lo, exec_lo, s24
	v_dual_mov_b32 v73, 0 :: v_dual_mov_b32 v72, 0
	s_wait_dscnt 0x0
	s_barrier_signal -1
	s_barrier_wait -1
	s_and_saveexec_b32 s2, s6
; %bb.54:
	ds_load_b32 v72, v71 offset:32764
; %bb.55:
	s_or_b32 exec_lo, exec_lo, s2
	v_sub_co_u32 v71, vcc_lo, v69, 1
	s_wait_dscnt 0x0
	v_add_nc_u32_e32 v70, v72, v70
	s_delay_alu instid0(VALU_DEP_2) | instskip(NEXT) | instid1(VALU_DEP_1)
	v_cmp_gt_i32_e64 s2, 0, v71
	v_cndmask_b32_e64 v69, v71, v69, s2
	v_cmp_gt_u32_e64 s2, 16, v0
	s_delay_alu instid0(VALU_DEP_2)
	v_lshlrev_b32_e32 v69, 2, v69
	ds_bpermute_b32 v69, v69, v70
	ds_load_b32 v70, v73 offset:32892
	ds_load_2addr_b64 v[74:77], v68 offset1:1
	ds_load_b32 v78, v68 offset:24
	s_wait_dscnt 0x3
	v_cndmask_b32_e32 v69, v69, v72, vcc_lo
	ds_load_b64 v[72:73], v68 offset:16
	v_cmp_lt_u32_e32 vcc_lo, 15, v0
	s_wait_dscnt 0x3
	v_lshl_add_u32 v70, v70, 16, v69
	s_wait_dscnt 0x2
	s_delay_alu instid0(VALU_DEP_1) | instskip(NEXT) | instid1(VALU_DEP_1)
	v_add_nc_u32_e32 v71, v70, v74
	v_add_nc_u32_e32 v74, v75, v71
	s_delay_alu instid0(VALU_DEP_1) | instskip(NEXT) | instid1(VALU_DEP_1)
	v_add_nc_u32_e32 v75, v76, v74
	v_add_nc_u32_e32 v76, v77, v75
	s_wait_dscnt 0x0
	s_delay_alu instid0(VALU_DEP_1) | instskip(NEXT) | instid1(VALU_DEP_1)
	v_add_nc_u32_e32 v77, v72, v76
	v_add_nc_u32_e32 v72, v73, v77
	s_delay_alu instid0(VALU_DEP_1)
	v_add_nc_u32_e32 v73, v78, v72
	ds_store_2addr_b64 v68, v[70:71], v[74:75] offset1:1
	ds_store_2addr_b64 v68, v[76:77], v[72:73] offset0:2 offset1:3
	s_wait_dscnt 0x0
	s_barrier_signal -1
	s_barrier_wait -1
	ds_load_u16 v68, v2
	ds_load_u16 v69, v3
	;; [unrolled: 1-line block ×22, first 2 shown]
	v_mov_b64_e32 v[2:3], 0
                                        ; implicit-def: $vgpr4
	s_and_saveexec_b32 s4, s2
	s_cbranch_execz .LBB466_59
; %bb.56:
	v_dual_lshlrev_b32 v2, 12, v0 :: v_dual_lshrrev_b32 v3, 2, v0
	v_add_nc_u32_e32 v4, 1, v0
	s_mov_b32 s5, exec_lo
	s_delay_alu instid0(VALU_DEP_2)
	v_bitop3_b32 v2, v2, 0x70fe, v3 bitop3:0xc8
	v_mov_b32_e32 v3, 0x5800
	ds_load_u16 v2, v2
	v_cmpx_ne_u32_e32 16, v4
; %bb.57:
	v_dual_lshlrev_b32 v3, 12, v4 :: v_dual_lshrrev_b32 v4, 2, v4
	s_delay_alu instid0(VALU_DEP_1)
	v_bitop3_b32 v3, v3, 0x71fe, v4 bitop3:0xc8
	ds_load_u16 v3, v3
; %bb.58:
	s_or_b32 exec_lo, exec_lo, s5
	s_wait_dscnt 0x0
	v_and_b32_e32 v2, 0xffff, v2
	s_mov_b32 s3, 0
	s_delay_alu instid0(VALU_DEP_1) | instid1(SALU_CYCLE_1)
	v_dual_mov_b32 v3, s3 :: v_dual_sub_nc_u32 v4, v3, v2
.LBB466_59:
	s_or_b32 exec_lo, exec_lo, s4
	s_wait_dscnt 0x15
	v_and_b32_e32 v68, 0xffff, v68
	v_and_b32_e32 v26, 0xffff, v26
	s_wait_dscnt 0x14
	v_and_b32_e32 v69, 0xffff, v69
	v_and_b32_e32 v27, 0xffff, v27
	;; [unrolled: 3-line block ×4, first 2 shown]
	v_dual_add_nc_u32 v26, v68, v26 :: v_dual_add_nc_u32 v27, v69, v27
	s_wait_dscnt 0x11
	v_and_b32_e32 v38, 0xffff, v38
	v_and_b32_e32 v30, 0xffff, v30
	s_wait_dscnt 0x10
	v_and_b32_e32 v40, 0xffff, v40
	v_and_b32_e32 v31, 0xffff, v31
	v_add_nc_u32_e32 v28, v34, v28
	s_wait_dscnt 0xf
	v_and_b32_e32 v42, 0xffff, v42
	v_and_b32_e32 v32, 0xffff, v32
	s_wait_dscnt 0xe
	v_and_b32_e32 v45, 0xffff, v45
	v_and_b32_e32 v33, 0xffff, v33
	;; [unrolled: 3-line block ×3, first 2 shown]
	s_wait_dscnt 0x0
	s_barrier_signal -1
	s_barrier_wait -1
	ds_store_b8 v26, v25 offset:128
	ds_store_b8 v27, v24 offset:128
	;; [unrolled: 1-line block ×3, first 2 shown]
	v_add_nc_u32_e32 v23, v36, v29
	v_and_b32_e32 v51, 0xffff, v51
	v_and_b32_e32 v37, 0xffff, v37
	v_dual_add_nc_u32 v24, v38, v30 :: v_dual_add_nc_u32 v25, v40, v31
	v_and_b32_e32 v53, 0xffff, v53
	v_and_b32_e32 v39, 0xffff, v39
	;; [unrolled: 1-line block ×4, first 2 shown]
	v_dual_add_nc_u32 v26, v42, v32 :: v_dual_add_nc_u32 v27, v45, v33
	v_and_b32_e32 v57, 0xffff, v57
	v_and_b32_e32 v43, 0xffff, v43
	;; [unrolled: 1-line block ×4, first 2 shown]
	ds_store_b8 v23, v22 offset:128
	ds_store_b8 v24, v21 offset:128
	;; [unrolled: 1-line block ×5, first 2 shown]
	v_dual_add_nc_u32 v18, v48, v35 :: v_dual_add_nc_u32 v19, v51, v37
	v_and_b32_e32 v60, 0xffff, v60
	v_and_b32_e32 v49, 0xffff, v49
	;; [unrolled: 1-line block ×4, first 2 shown]
	v_dual_add_nc_u32 v20, v53, v39 :: v_dual_add_nc_u32 v21, v55, v41
	v_and_b32_e32 v63, 0xffff, v63
	v_and_b32_e32 v54, 0xffff, v54
	;; [unrolled: 1-line block ×4, first 2 shown]
	v_add_nc_u32_e32 v22, v57, v43
	ds_store_b8 v18, v17 offset:128
	ds_store_b8 v19, v16 offset:128
	;; [unrolled: 1-line block ×5, first 2 shown]
	v_dual_add_nc_u32 v13, v58, v46 :: v_dual_add_nc_u32 v14, v60, v49
	v_dual_add_nc_u32 v15, v62, v52 :: v_dual_add_nc_u32 v16, v63, v54
	v_add_nc_u32_e32 v17, v64, v56
	v_and_b32_e32 v65, 0xffff, v65
	v_and_b32_e32 v66, 0xffff, v66
	;; [unrolled: 1-line block ×4, first 2 shown]
	ds_store_b8 v13, v12 offset:128
	ds_store_b8 v14, v11 offset:128
	;; [unrolled: 1-line block ×5, first 2 shown]
	v_mov_b32_e32 v9, 0
	v_and_b32_e32 v70, 0xffff, v70
	v_and_b32_e32 v59, 0xffff, v59
	;; [unrolled: 1-line block ×4, first 2 shown]
	v_add_nc_u32_e32 v8, v65, v5
	v_dual_add_nc_u32 v11, v66, v1 :: v_dual_mov_b32 v1, v9
	v_dual_lshlrev_b32 v5, 3, v0 :: v_dual_add_nc_u32 v10, v70, v59
	s_delay_alu instid0(VALU_DEP_4)
	v_add_nc_u32_e32 v12, v67, v61
	s_not_b32 s3, s23
	ds_store_b8 v8, v7 offset:128
	ds_store_b8 v10, v44 offset:128
	;; [unrolled: 1-line block ×4, first 2 shown]
	s_and_saveexec_b32 s4, s2
	s_cbranch_execz .LBB466_69
; %bb.60:
	v_lshl_add_u32 v8, s19, 4, v0
	v_dual_mov_b32 v12, 0 :: v_dual_bitop2_b32 v7, 2.0, v4 bitop3:0x54
	s_mov_b32 s5, 0
	s_mov_b32 s6, s19
	s_delay_alu instid0(VALU_DEP_2)
	v_lshl_add_u64 v[10:11], v[8:9], 2, s[20:21]
	global_store_b32 v8, v7, s[20:21] scale_offset scope:SCOPE_DEV
                                        ; implicit-def: $sgpr2
	s_branch .LBB466_63
.LBB466_61:                             ;   in Loop: Header=BB466_63 Depth=1
	s_or_b32 exec_lo, exec_lo, s23
.LBB466_62:                             ;   in Loop: Header=BB466_63 Depth=1
	s_delay_alu instid0(SALU_CYCLE_1) | instskip(SKIP_2) | instid1(VALU_DEP_2)
	s_or_b32 exec_lo, exec_lo, s7
	v_and_b32_e32 v8, 0x3fffffff, v7
	v_cmp_gt_i32_e64 s2, -2.0, v7
	v_add_nc_u32_e32 v12, v8, v12
	s_and_b32 s7, exec_lo, s2
	s_delay_alu instid0(SALU_CYCLE_1) | instskip(NEXT) | instid1(SALU_CYCLE_1)
	s_or_b32 s5, s7, s5
	s_and_not1_b32 exec_lo, exec_lo, s5
	s_cbranch_execz .LBB466_68
.LBB466_63:                             ; =>This Loop Header: Depth=1
                                        ;     Child Loop BB466_66 Depth 2
	s_or_b32 s2, s2, exec_lo
	s_cmp_eq_u32 s6, 0
	s_cbranch_scc1 .LBB466_67
; %bb.64:                               ;   in Loop: Header=BB466_63 Depth=1
	s_add_co_i32 s6, s6, -1
	s_mov_b32 s7, exec_lo
	s_wait_xcnt 0x0
	v_lshl_or_b32 v8, s6, 4, v0
	global_load_b32 v7, v8, s[20:21] scale_offset scope:SCOPE_DEV
	s_wait_loadcnt 0x0
	v_cmpx_gt_u32_e32 2.0, v7
	s_cbranch_execz .LBB466_62
; %bb.65:                               ;   in Loop: Header=BB466_63 Depth=1
	v_lshl_add_u64 v[14:15], v[8:9], 2, s[20:21]
	s_mov_b32 s23, 0
.LBB466_66:                             ;   Parent Loop BB466_63 Depth=1
                                        ; =>  This Inner Loop Header: Depth=2
	global_load_b32 v7, v[14:15], off scope:SCOPE_DEV
	s_wait_loadcnt 0x0
	v_cmp_lt_u32_e64 s2, 0x3fffffff, v7
	s_or_b32 s23, s2, s23
	s_wait_xcnt 0x0
	s_and_not1_b32 exec_lo, exec_lo, s23
	s_cbranch_execnz .LBB466_66
	s_branch .LBB466_61
.LBB466_67:                             ;   in Loop: Header=BB466_63 Depth=1
                                        ; implicit-def: $sgpr6
	s_and_b32 s7, exec_lo, s2
	s_delay_alu instid0(SALU_CYCLE_1)
	s_or_b32 s5, s7, s5
	s_wait_xcnt 0x0
	s_and_not1_b32 exec_lo, exec_lo, s5
	s_cbranch_execnz .LBB466_63
.LBB466_68:
	s_or_b32 exec_lo, exec_lo, s5
	v_dual_add_nc_u32 v7, v12, v4 :: v_dual_mov_b32 v13, 0
	s_delay_alu instid0(VALU_DEP_1)
	v_or_b32_e32 v7, 0x80000000, v7
	global_store_b32 v[10:11], v7, off scope:SCOPE_DEV
	global_load_b64 v[8:9], v0, s[8:9] scale_offset
	s_wait_xcnt 0x1
	v_sub_nc_u64_e32 v[10:11], v[12:13], v[2:3]
	s_wait_loadcnt 0x0
	s_delay_alu instid0(VALU_DEP_1)
	v_add_nc_u64_e32 v[8:9], v[10:11], v[8:9]
	ds_store_b64 v5, v[8:9]
.LBB466_69:
	s_wait_xcnt 0x0
	s_or_b32 exec_lo, exec_lo, s4
	s_delay_alu instid0(SALU_CYCLE_1)
	s_mov_b32 s4, exec_lo
	s_wait_storecnt_dscnt 0x0
	s_barrier_signal -1
	s_barrier_wait -1
	v_cmpx_gt_u32_e64 s18, v0
	s_cbranch_execz .LBB466_71
; %bb.70:
	ds_load_u8 v7, v0 offset:128
	s_wait_dscnt 0x0
	v_and_b32_e32 v8, 0xff, v7
	v_xor_b32_e32 v7, 0x80, v7
	s_delay_alu instid0(VALU_DEP_2) | instskip(NEXT) | instid1(VALU_DEP_1)
	v_lshrrev_b32_e32 v8, s16, v8
	v_and_b32_e32 v8, s3, v8
	s_delay_alu instid0(VALU_DEP_1) | instskip(SKIP_3) | instid1(VALU_DEP_1)
	v_lshlrev_b32_e32 v8, 3, v8
	ds_load_b64 v[8:9], v8
	s_wait_dscnt 0x0
	v_add_nc_u64_e32 v[8:9], s[14:15], v[8:9]
	v_add_nc_u64_e32 v[8:9], v[8:9], v[0:1]
	global_store_b8 v[8:9], v7, off
.LBB466_71:
	s_wait_xcnt 0x0
	s_or_b32 exec_lo, exec_lo, s4
	v_or_b32_e32 v7, 0x400, v0
	s_mov_b32 s4, exec_lo
	s_delay_alu instid0(VALU_DEP_1)
	v_cmpx_gt_u32_e64 s18, v7
	s_cbranch_execz .LBB466_73
; %bb.72:
	ds_load_u8 v7, v0 offset:1152
	s_wait_dscnt 0x0
	v_and_b32_e32 v8, 0xff, v7
	v_xor_b32_e32 v7, 0x80, v7
	s_delay_alu instid0(VALU_DEP_2) | instskip(NEXT) | instid1(VALU_DEP_1)
	v_lshrrev_b32_e32 v8, s16, v8
	v_and_b32_e32 v8, s3, v8
	s_delay_alu instid0(VALU_DEP_1) | instskip(SKIP_3) | instid1(VALU_DEP_1)
	v_lshlrev_b32_e32 v8, 3, v8
	ds_load_b64 v[8:9], v8
	s_wait_dscnt 0x0
	v_add_nc_u64_e32 v[8:9], s[14:15], v[8:9]
	v_add_nc_u64_e32 v[8:9], v[8:9], v[0:1]
	global_store_b8 v[8:9], v7, off offset:1024
.LBB466_73:
	s_wait_xcnt 0x0
	s_or_b32 exec_lo, exec_lo, s4
	v_or_b32_e32 v7, 0x800, v0
	s_mov_b32 s4, exec_lo
	s_delay_alu instid0(VALU_DEP_1)
	v_cmpx_gt_u32_e64 s18, v7
	s_cbranch_execz .LBB466_75
; %bb.74:
	ds_load_u8 v7, v0 offset:2176
	s_wait_dscnt 0x0
	v_and_b32_e32 v8, 0xff, v7
	v_xor_b32_e32 v7, 0x80, v7
	s_delay_alu instid0(VALU_DEP_2) | instskip(NEXT) | instid1(VALU_DEP_1)
	v_lshrrev_b32_e32 v8, s16, v8
	v_and_b32_e32 v8, s3, v8
	s_delay_alu instid0(VALU_DEP_1) | instskip(SKIP_3) | instid1(VALU_DEP_1)
	v_lshlrev_b32_e32 v8, 3, v8
	ds_load_b64 v[8:9], v8
	s_wait_dscnt 0x0
	v_add_nc_u64_e32 v[8:9], s[14:15], v[8:9]
	v_add_nc_u64_e32 v[8:9], v[8:9], v[0:1]
	global_store_b8 v[8:9], v7, off offset:2048
.LBB466_75:
	;; [unrolled: 23-line block ×20, first 2 shown]
	s_wait_xcnt 0x0
	s_or_b32 exec_lo, exec_lo, s4
	v_or_b32_e32 v7, 0x5400, v0
	s_mov_b32 s4, exec_lo
	s_delay_alu instid0(VALU_DEP_1)
	v_cmpx_gt_u32_e64 s18, v7
	s_cbranch_execz .LBB466_113
; %bb.112:
	ds_load_u8 v7, v0 offset:21632
	s_wait_dscnt 0x0
	v_and_b32_e32 v8, 0xff, v7
	s_delay_alu instid0(VALU_DEP_1) | instskip(NEXT) | instid1(VALU_DEP_1)
	v_lshrrev_b32_e32 v8, s16, v8
	v_and_b32_e32 v8, s3, v8
	s_delay_alu instid0(VALU_DEP_1) | instskip(SKIP_3) | instid1(VALU_DEP_1)
	v_lshlrev_b32_e32 v8, 3, v8
	ds_load_b64 v[8:9], v8
	s_wait_dscnt 0x0
	v_add_nc_u64_e32 v[8:9], s[14:15], v[8:9]
	v_add_nc_u64_e32 v[8:9], v[8:9], v[0:1]
	v_xor_b32_e32 v1, 0x80, v7
	global_store_b8 v[8:9], v1, off offset:21504
.LBB466_113:
	s_wait_xcnt 0x0
	s_or_b32 exec_lo, exec_lo, s4
	s_load_b32 s2, s[0:1], 0x58
	s_wait_kmcnt 0x0
	s_add_co_i32 s2, s2, -1
	s_delay_alu instid0(SALU_CYCLE_1) | instskip(SKIP_2) | instid1(SALU_CYCLE_1)
	s_cmp_eq_u32 s19, s2
	s_cselect_b32 s2, -1, 0
	s_xor_b32 s3, vcc_lo, -1
	s_and_b32 s3, s3, s2
	s_delay_alu instid0(SALU_CYCLE_1)
	s_and_saveexec_b32 s2, s3
	s_cbranch_execz .LBB466_115
; %bb.114:
	ds_load_b64 v[8:9], v5
	v_mov_b32_e32 v5, 0
	s_delay_alu instid0(VALU_DEP_1) | instskip(SKIP_1) | instid1(VALU_DEP_1)
	v_add_nc_u64_e32 v[2:3], v[2:3], v[4:5]
	s_wait_dscnt 0x0
	v_add_nc_u64_e32 v[2:3], v[2:3], v[8:9]
	global_store_b64 v0, v[2:3], s[10:11] scale_offset
.LBB466_115:
	s_wait_xcnt 0x0
	s_or_b32 exec_lo, exec_lo, s2
	s_mov_b32 s3, 0
.LBB466_116:
	s_delay_alu instid0(SALU_CYCLE_1)
	s_and_b32 vcc_lo, exec_lo, s3
	s_cbranch_vccz .LBB466_139
; %bb.117:
	s_mov_b32 s23, 0
	v_dual_mov_b32 v13, 0 :: v_dual_lshlrev_b32 v12, 2, v0
	s_add_nc_u64 s[2:3], s[12:13], s[22:23]
	s_clause 0x1
	global_load_b128 v[2:5], v6, s[2:3]
	global_load_b32 v8, v6, s[2:3] offset:16
	s_lshl_b32 s12, -1, s17
	ds_store_2addr_stride64_b32 v12, v13, v13 offset1:16
	ds_store_2addr_stride64_b32 v12, v13, v13 offset0:32 offset1:48
	ds_store_2addr_stride64_b32 v12, v13, v13 offset0:64 offset1:80
	ds_store_2addr_stride64_b32 v12, v13, v13 offset0:96 offset1:112
	global_load_u16 v42, v6, s[2:3] offset:20
	s_mov_b32 s7, exec_lo
	s_wait_loadcnt 0x2
	v_xor_b32_e32 v1, 0xffffff80, v2
	v_lshrrev_b32_e32 v9, 8, v2
	s_delay_alu instid0(VALU_DEP_2) | instskip(NEXT) | instid1(VALU_DEP_1)
	v_and_b32_e32 v7, 0xff, v1
	v_lshrrev_b32_e32 v7, s16, v7
	s_delay_alu instid0(VALU_DEP_1) | instskip(NEXT) | instid1(VALU_DEP_1)
	v_bitop3_b32 v7, v7, s12, v7 bitop3:0x30
	v_dual_lshlrev_b32 v10, 10, v7 :: v_dual_lshrrev_b32 v11, 2, v7
	v_xor_b32_e32 v7, 0xffffff80, v9
	s_delay_alu instid0(VALU_DEP_2) | instskip(NEXT) | instid1(VALU_DEP_3)
	v_and_or_b32 v9, 0x1c00, v10, v0
	v_and_b32_e32 v10, 62, v11
	s_delay_alu instid0(VALU_DEP_3) | instskip(NEXT) | instid1(VALU_DEP_2)
	v_and_b32_e32 v11, 0xff, v7
	v_lshl_add_u32 v17, v9, 2, v10
	s_delay_alu instid0(VALU_DEP_2) | instskip(SKIP_3) | instid1(VALU_DEP_2)
	v_lshrrev_b32_e32 v9, s16, v11
	ds_load_u16 v11, v17
	v_bitop3_b32 v9, v9, s12, v9 bitop3:0x30
	v_dual_lshrrev_b32 v10, 16, v2 :: v_dual_lshrrev_b32 v2, 24, v2
	v_dual_lshlrev_b32 v12, 10, v9 :: v_dual_lshrrev_b32 v9, 2, v9
	s_delay_alu instid0(VALU_DEP_2) | instskip(NEXT) | instid1(VALU_DEP_2)
	v_xor_b32_e32 v10, 0xffffff80, v10
	v_and_or_b32 v12, 0x1c00, v12, v0
	s_delay_alu instid0(VALU_DEP_3) | instskip(NEXT) | instid1(VALU_DEP_3)
	v_and_b32_e32 v9, 62, v9
	v_and_b32_e32 v13, 0xff, v10
	s_delay_alu instid0(VALU_DEP_2) | instskip(NEXT) | instid1(VALU_DEP_2)
	v_lshl_add_u32 v20, v12, 2, v9
	v_lshrrev_b32_e32 v9, s16, v13
	v_xor_b32_e32 v12, 0xffffff80, v2
	s_wait_dscnt 0x0
	v_add_nc_u16 v14, v11, 1
	s_delay_alu instid0(VALU_DEP_3) | instskip(SKIP_3) | instid1(VALU_DEP_1)
	v_bitop3_b32 v9, v9, s12, v9 bitop3:0x30
	ds_store_b16 v17, v14
	ds_load_u16 v14, v20
	v_dual_lshlrev_b32 v13, 10, v9 :: v_dual_lshrrev_b32 v9, 2, v9
	v_and_or_b32 v2, 0x1c00, v13, v0
	s_delay_alu instid0(VALU_DEP_2) | instskip(SKIP_1) | instid1(VALU_DEP_2)
	v_and_b32_e32 v9, 62, v9
	v_and_b32_e32 v13, 0xff, v12
	v_lshl_add_u32 v2, v2, 2, v9
	s_delay_alu instid0(VALU_DEP_2) | instskip(SKIP_1) | instid1(VALU_DEP_2)
	v_lshrrev_b32_e32 v9, s16, v13
	v_xor_b32_e32 v13, 0xffffff80, v3
	v_bitop3_b32 v9, v9, s12, v9 bitop3:0x30
	s_wait_dscnt 0x0
	v_add_nc_u16 v15, v14, 1
	s_delay_alu instid0(VALU_DEP_3) | instskip(NEXT) | instid1(VALU_DEP_3)
	v_and_b32_e32 v18, 0xff, v13
	v_dual_lshlrev_b32 v16, 10, v9 :: v_dual_lshrrev_b32 v9, 2, v9
	ds_store_b16 v20, v15
	ds_load_u16 v15, v2
	v_and_or_b32 v16, 0x1c00, v16, v0
	v_and_b32_e32 v9, 62, v9
	s_delay_alu instid0(VALU_DEP_1) | instskip(SKIP_1) | instid1(VALU_DEP_1)
	v_lshl_add_u32 v27, v16, 2, v9
	v_dual_lshrrev_b32 v9, s16, v18 :: v_dual_lshrrev_b32 v16, 8, v3
	v_bitop3_b32 v9, v9, s12, v9 bitop3:0x30
	s_delay_alu instid0(VALU_DEP_2) | instskip(NEXT) | instid1(VALU_DEP_2)
	v_xor_b32_e32 v16, 0xffffff80, v16
	v_dual_lshlrev_b32 v18, 10, v9 :: v_dual_lshrrev_b32 v9, 2, v9
	s_wait_dscnt 0x0
	v_add_nc_u16 v19, v15, 1
	s_delay_alu instid0(VALU_DEP_3) | instskip(NEXT) | instid1(VALU_DEP_3)
	v_and_b32_e32 v21, 0xff, v16
	v_and_or_b32 v18, 0x1c00, v18, v0
	v_and_b32_e32 v9, 62, v9
	ds_store_b16 v2, v19
	ds_load_u16 v19, v27
	v_lshl_add_u32 v34, v18, 2, v9
	v_dual_lshrrev_b32 v9, s16, v21 :: v_dual_lshrrev_b32 v18, 16, v3
	v_lshrrev_b32_e32 v3, 24, v3
	s_delay_alu instid0(VALU_DEP_2) | instskip(NEXT) | instid1(VALU_DEP_3)
	v_bitop3_b32 v9, v9, s12, v9 bitop3:0x30
	v_xor_b32_e32 v18, 0xffffff80, v18
	s_wait_xcnt 0x0
	s_delay_alu instid0(VALU_DEP_1) | instskip(SKIP_2) | instid1(VALU_DEP_2)
	v_and_b32_e32 v6, 0xff, v18
	s_wait_dscnt 0x0
	v_add_nc_u16 v22, v19, 1
	v_lshrrev_b32_e32 v6, s16, v6
	ds_store_b16 v27, v22
	ds_load_u16 v21, v34
	v_dual_lshlrev_b32 v22, 10, v9 :: v_dual_lshrrev_b32 v9, 2, v9
	v_bitop3_b32 v6, v6, s12, v6 bitop3:0x30
	s_delay_alu instid0(VALU_DEP_2) | instskip(NEXT) | instid1(VALU_DEP_3)
	v_and_or_b32 v22, 0x1c00, v22, v0
	v_and_b32_e32 v9, 62, v9
	s_delay_alu instid0(VALU_DEP_1) | instskip(NEXT) | instid1(VALU_DEP_4)
	v_lshl_add_u32 v41, v22, 2, v9
	v_dual_lshlrev_b32 v9, 10, v6 :: v_dual_lshrrev_b32 v22, 2, v6
	v_xor_b32_e32 v6, 0xffffff80, v3
	s_delay_alu instid0(VALU_DEP_2) | instskip(NEXT) | instid1(VALU_DEP_3)
	v_and_or_b32 v3, 0x1c00, v9, v0
	v_and_b32_e32 v9, 62, v22
	s_wait_dscnt 0x0
	v_add_nc_u16 v23, v21, 1
	v_and_b32_e32 v22, 0xff, v6
	s_delay_alu instid0(VALU_DEP_3) | instskip(SKIP_4) | instid1(VALU_DEP_2)
	v_lshl_add_u32 v3, v3, 2, v9
	ds_store_b16 v34, v23
	ds_load_u16 v25, v41
	v_lshrrev_b32_e32 v9, s16, v22
	v_xor_b32_e32 v22, 0xffffff80, v4
	v_bitop3_b32 v9, v9, s12, v9 bitop3:0x30
	s_delay_alu instid0(VALU_DEP_2)
	v_and_b32_e32 v24, 0xff, v22
	s_wait_dscnt 0x0
	v_add_nc_u16 v23, v25, 1
	ds_store_b16 v41, v23
	ds_load_u16 v29, v3
	v_dual_lshlrev_b32 v23, 10, v9 :: v_dual_lshrrev_b32 v9, 2, v9
	s_delay_alu instid0(VALU_DEP_1) | instskip(NEXT) | instid1(VALU_DEP_2)
	v_and_or_b32 v23, 0x1c00, v23, v0
	v_and_b32_e32 v9, 62, v9
	s_delay_alu instid0(VALU_DEP_1) | instskip(SKIP_2) | instid1(VALU_DEP_2)
	v_lshl_add_u32 v47, v23, 2, v9
	v_lshrrev_b32_e32 v9, s16, v24
	v_lshrrev_b32_e32 v23, 8, v4
	v_bitop3_b32 v9, v9, s12, v9 bitop3:0x30
	s_delay_alu instid0(VALU_DEP_2) | instskip(SKIP_2) | instid1(VALU_DEP_3)
	v_xor_b32_e32 v23, 0xffffff80, v23
	s_wait_dscnt 0x0
	v_add_nc_u16 v26, v29, 1
	v_dual_lshlrev_b32 v24, 10, v9 :: v_dual_lshrrev_b32 v9, 2, v9
	ds_store_b16 v3, v26
	ds_load_u16 v31, v47
	v_and_b32_e32 v26, 0xff, v23
	v_and_or_b32 v24, 0x1c00, v24, v0
	v_and_b32_e32 v9, 62, v9
	s_delay_alu instid0(VALU_DEP_1) | instskip(NEXT) | instid1(VALU_DEP_4)
	v_lshl_add_u32 v49, v24, 2, v9
	v_dual_lshrrev_b32 v9, s16, v26 :: v_dual_lshrrev_b32 v24, 16, v4
	v_lshrrev_b32_e32 v4, 24, v4
	s_delay_alu instid0(VALU_DEP_2) | instskip(NEXT) | instid1(VALU_DEP_3)
	v_bitop3_b32 v9, v9, s12, v9 bitop3:0x30
	v_xor_b32_e32 v24, 0xffffff80, v24
	s_delay_alu instid0(VALU_DEP_2) | instskip(SKIP_2) | instid1(VALU_DEP_2)
	v_dual_lshlrev_b32 v26, 10, v9 :: v_dual_lshrrev_b32 v9, 2, v9
	s_wait_dscnt 0x0
	v_add_nc_u16 v28, v31, 1
	v_and_or_b32 v26, 0x1c00, v26, v0
	s_delay_alu instid0(VALU_DEP_3)
	v_and_b32_e32 v9, 62, v9
	ds_store_b16 v47, v28
	ds_load_u16 v33, v49
	v_and_b32_e32 v28, 0xff, v24
	v_lshl_add_u32 v51, v26, 2, v9
	v_xor_b32_e32 v26, 0xffffff80, v4
	s_delay_alu instid0(VALU_DEP_3) | instskip(NEXT) | instid1(VALU_DEP_1)
	v_lshrrev_b32_e32 v9, s16, v28
	v_bitop3_b32 v9, v9, s12, v9 bitop3:0x30
	s_delay_alu instid0(VALU_DEP_1) | instskip(SKIP_2) | instid1(VALU_DEP_2)
	v_dual_lshlrev_b32 v28, 10, v9 :: v_dual_lshrrev_b32 v9, 2, v9
	s_wait_dscnt 0x0
	v_add_nc_u16 v30, v33, 1
	v_and_or_b32 v4, 0x1c00, v28, v0
	s_delay_alu instid0(VALU_DEP_3)
	v_and_b32_e32 v9, 62, v9
	v_and_b32_e32 v28, 0xff, v26
	ds_store_b16 v49, v30
	ds_load_u16 v35, v51
	v_lshl_add_u32 v4, v4, 2, v9
	v_lshrrev_b32_e32 v9, s16, v28
	v_xor_b32_e32 v28, 0xffffff80, v5
	s_delay_alu instid0(VALU_DEP_2) | instskip(NEXT) | instid1(VALU_DEP_2)
	v_bitop3_b32 v9, v9, s12, v9 bitop3:0x30
	v_and_b32_e32 v32, 0xff, v28
	s_wait_dscnt 0x0
	v_add_nc_u16 v30, v35, 1
	ds_store_b16 v51, v30
	ds_load_u16 v38, v4
	v_dual_lshlrev_b32 v30, 10, v9 :: v_dual_lshrrev_b32 v9, 2, v9
	s_delay_alu instid0(VALU_DEP_1) | instskip(NEXT) | instid1(VALU_DEP_2)
	v_and_or_b32 v30, 0x1c00, v30, v0
	v_and_b32_e32 v9, 62, v9
	s_delay_alu instid0(VALU_DEP_1) | instskip(SKIP_1) | instid1(VALU_DEP_1)
	v_lshl_add_u32 v54, v30, 2, v9
	v_dual_lshrrev_b32 v9, s16, v32 :: v_dual_lshrrev_b32 v30, 8, v5
	v_bitop3_b32 v9, v9, s12, v9 bitop3:0x30
	s_delay_alu instid0(VALU_DEP_2) | instskip(SKIP_2) | instid1(VALU_DEP_3)
	v_xor_b32_e32 v30, 0xffffff80, v30
	s_wait_dscnt 0x0
	v_add_nc_u16 v36, v38, 1
	v_dual_lshlrev_b32 v32, 10, v9 :: v_dual_lshrrev_b32 v9, 2, v9
	ds_store_b16 v4, v36
	ds_load_u16 v40, v54
	v_and_b32_e32 v36, 0xff, v30
	v_and_or_b32 v32, 0x1c00, v32, v0
	v_and_b32_e32 v9, 62, v9
	s_delay_alu instid0(VALU_DEP_1) | instskip(NEXT) | instid1(VALU_DEP_4)
	v_lshl_add_u32 v56, v32, 2, v9
	v_dual_lshrrev_b32 v9, s16, v36 :: v_dual_lshrrev_b32 v32, 16, v5
	v_lshrrev_b32_e32 v5, 24, v5
	s_delay_alu instid0(VALU_DEP_2) | instskip(NEXT) | instid1(VALU_DEP_3)
	v_bitop3_b32 v9, v9, s12, v9 bitop3:0x30
	v_xor_b32_e32 v32, 0xffffff80, v32
	s_delay_alu instid0(VALU_DEP_3) | instskip(NEXT) | instid1(VALU_DEP_3)
	v_xor_b32_e32 v5, 0xffffff80, v5
	v_dual_lshlrev_b32 v36, 10, v9 :: v_dual_lshrrev_b32 v9, 2, v9
	s_wait_dscnt 0x0
	v_add_nc_u16 v37, v40, 1
	s_delay_alu instid0(VALU_DEP_2) | instskip(NEXT) | instid1(VALU_DEP_3)
	v_and_or_b32 v36, 0x1c00, v36, v0
	v_and_b32_e32 v9, 62, v9
	ds_store_b16 v54, v37
	ds_load_u16 v43, v56
	v_and_b32_e32 v37, 0xff, v32
	v_lshl_add_u32 v58, v36, 2, v9
	s_delay_alu instid0(VALU_DEP_2) | instskip(SKIP_1) | instid1(VALU_DEP_2)
	v_lshrrev_b32_e32 v9, s16, v37
	v_and_b32_e32 v37, 0xff, v5
	v_bitop3_b32 v9, v9, s12, v9 bitop3:0x30
	s_delay_alu instid0(VALU_DEP_1) | instskip(SKIP_2) | instid1(VALU_DEP_2)
	v_dual_lshlrev_b32 v36, 10, v9 :: v_dual_lshrrev_b32 v9, 2, v9
	s_wait_dscnt 0x0
	v_add_nc_u16 v39, v43, 1
	v_and_or_b32 v36, 0x1c00, v36, v0
	s_delay_alu instid0(VALU_DEP_3)
	v_and_b32_e32 v9, 62, v9
	ds_store_b16 v56, v39
	ds_load_u16 v44, v58
	v_lshl_add_u32 v59, v36, 2, v9
	v_lshrrev_b32_e32 v9, s16, v37
	s_wait_loadcnt 0x1
	v_xor_b32_e32 v36, 0xffffff80, v8
	s_delay_alu instid0(VALU_DEP_2) | instskip(NEXT) | instid1(VALU_DEP_1)
	v_bitop3_b32 v9, v9, s12, v9 bitop3:0x30
	v_dual_lshlrev_b32 v37, 10, v9 :: v_dual_lshrrev_b32 v9, 2, v9
	s_delay_alu instid0(VALU_DEP_1) | instskip(NEXT) | instid1(VALU_DEP_2)
	v_and_or_b32 v37, 0x1c00, v37, v0
	v_and_b32_e32 v9, 62, v9
	s_wait_dscnt 0x0
	v_add_nc_u16 v39, v44, 1
	s_delay_alu instid0(VALU_DEP_2) | instskip(SKIP_4) | instid1(VALU_DEP_1)
	v_lshl_add_u32 v60, v37, 2, v9
	v_lshrrev_b32_e32 v37, 8, v8
	ds_store_b16 v58, v39
	ds_load_u16 v45, v59
	v_and_b32_e32 v39, 0xff, v36
	v_lshrrev_b32_e32 v9, s16, v39
	v_xor_b32_e32 v39, 0xffffff80, v37
	s_delay_alu instid0(VALU_DEP_2) | instskip(NEXT) | instid1(VALU_DEP_1)
	v_bitop3_b32 v9, v9, s12, v9 bitop3:0x30
	v_dual_lshlrev_b32 v48, 10, v9 :: v_dual_lshrrev_b32 v9, 2, v9
	s_wait_dscnt 0x0
	v_add_nc_u16 v46, v45, 1
	s_delay_alu instid0(VALU_DEP_2) | instskip(NEXT) | instid1(VALU_DEP_3)
	v_and_or_b32 v37, 0x1c00, v48, v0
	v_and_b32_e32 v9, 62, v9
	v_and_b32_e32 v48, 0xff, v39
	ds_store_b16 v59, v46
	ds_load_u16 v46, v60
	v_lshl_add_u32 v61, v37, 2, v9
	v_lshrrev_b32_e32 v9, s16, v48
	v_lshrrev_b32_e32 v37, 16, v8
	s_delay_alu instid0(VALU_DEP_2) | instskip(NEXT) | instid1(VALU_DEP_2)
	v_bitop3_b32 v9, v9, s12, v9 bitop3:0x30
	v_xor_b32_e32 v37, 0xffffff80, v37
	s_delay_alu instid0(VALU_DEP_1) | instskip(NEXT) | instid1(VALU_DEP_1)
	v_and_b32_e32 v52, 0xff, v37
	v_lshrrev_b32_e32 v52, s16, v52
	s_wait_dscnt 0x0
	v_add_nc_u16 v50, v46, 1
	s_delay_alu instid0(VALU_DEP_2) | instskip(SKIP_3) | instid1(VALU_DEP_1)
	v_bitop3_b32 v55, v52, s12, v52 bitop3:0x30
	ds_store_b16 v60, v50
	ds_load_u16 v48, v61
	v_dual_lshlrev_b32 v50, 10, v9 :: v_dual_lshrrev_b32 v9, 2, v9
	v_and_or_b32 v50, 0x1c00, v50, v0
	s_delay_alu instid0(VALU_DEP_2) | instskip(NEXT) | instid1(VALU_DEP_1)
	v_and_b32_e32 v9, 62, v9
	v_lshl_add_u32 v62, v50, 2, v9
	s_wait_loadcnt 0x0
	v_and_b32_e32 v9, 0xffff, v42
	v_xor_b32_e32 v42, 0xffffff80, v42
	s_wait_dscnt 0x0
	v_add_nc_u16 v53, v48, 1
	ds_store_b16 v61, v53
	ds_load_u16 v50, v62
	v_lshrrev_b64 v[52:53], 24, v[8:9]
	v_dual_lshlrev_b32 v53, 10, v55 :: v_dual_lshrrev_b32 v55, 2, v55
	v_lshrrev_b32_e32 v9, 8, v9
	s_delay_alu instid0(VALU_DEP_3) | instskip(NEXT) | instid1(VALU_DEP_3)
	v_xor_b32_e32 v8, 0xffffff80, v52
	v_and_or_b32 v52, 0x1c00, v53, v0
	s_delay_alu instid0(VALU_DEP_4) | instskip(NEXT) | instid1(VALU_DEP_4)
	v_and_b32_e32 v53, 62, v55
	v_xor_b32_e32 v9, 0xffffff80, v9
	s_delay_alu instid0(VALU_DEP_4) | instskip(NEXT) | instid1(VALU_DEP_3)
	v_and_b32_e32 v55, 0xff, v8
	v_lshl_add_u32 v63, v52, 2, v53
	s_delay_alu instid0(VALU_DEP_3) | instskip(NEXT) | instid1(VALU_DEP_3)
	v_and_b32_e32 v66, 0xff, v9
	v_lshrrev_b32_e32 v53, s16, v55
	s_wait_dscnt 0x0
	v_add_nc_u16 v57, v50, 1
	s_delay_alu instid0(VALU_DEP_2) | instskip(SKIP_4) | instid1(VALU_DEP_1)
	v_bitop3_b32 v53, v53, s12, v53 bitop3:0x30
	ds_store_b16 v62, v57
	ds_load_u16 v52, v63
	v_and_b32_e32 v57, 0xff, v42
	v_dual_lshlrev_b32 v55, 10, v53 :: v_dual_lshrrev_b32 v53, 2, v53
	v_and_or_b32 v55, 0x1c00, v55, v0
	s_delay_alu instid0(VALU_DEP_2) | instskip(NEXT) | instid1(VALU_DEP_1)
	v_and_b32_e32 v53, 62, v53
	v_lshl_add_u32 v64, v55, 2, v53
	v_lshrrev_b32_e32 v55, s16, v57
	s_delay_alu instid0(VALU_DEP_1) | instskip(SKIP_2) | instid1(VALU_DEP_2)
	v_bitop3_b32 v55, v55, s12, v55 bitop3:0x30
	s_wait_dscnt 0x0
	v_add_nc_u16 v65, v52, 1
	v_lshlrev_b32_e32 v57, 10, v55
	ds_store_b16 v63, v65
	ds_load_u16 v53, v64
	v_lshrrev_b32_e32 v55, 2, v55
	v_and_or_b32 v57, 0x1c00, v57, v0
	s_delay_alu instid0(VALU_DEP_2) | instskip(NEXT) | instid1(VALU_DEP_1)
	v_and_b32_e32 v55, 62, v55
	v_lshl_add_u32 v65, v57, 2, v55
	v_lshrrev_b32_e32 v57, s16, v66
	s_delay_alu instid0(VALU_DEP_1) | instskip(SKIP_2) | instid1(VALU_DEP_2)
	v_bitop3_b32 v57, v57, s12, v57 bitop3:0x30
	s_wait_dscnt 0x0
	v_add_nc_u16 v67, v53, 1
	v_dual_lshlrev_b32 v66, 10, v57 :: v_dual_lshrrev_b32 v57, 2, v57
	ds_store_b16 v64, v67
	ds_load_u16 v55, v65
	v_and_or_b32 v66, 0x1c00, v66, v0
	v_and_b32_e32 v57, 62, v57
	s_delay_alu instid0(VALU_DEP_1)
	v_lshl_add_u32 v66, v66, 2, v57
	s_wait_dscnt 0x0
	v_add_nc_u16 v67, v55, 1
	ds_store_b16 v65, v67
	ds_load_u16 v57, v66
	v_lshlrev_b32_e32 v67, 5, v0
	s_wait_dscnt 0x0
	v_add_nc_u16 v68, v57, 1
	ds_store_b16 v66, v68
	s_wait_storecnt_dscnt 0x0
	s_barrier_signal -1
	s_barrier_wait -1
	ds_load_2addr_b64 v[68:71], v67 offset1:1
	ds_load_2addr_b64 v[72:75], v67 offset0:2 offset1:3
	s_wait_dscnt 0x1
	v_add_nc_u32_e32 v68, v69, v68
	s_delay_alu instid0(VALU_DEP_1) | instskip(SKIP_1) | instid1(VALU_DEP_1)
	v_add3_u32 v68, v68, v70, v71
	s_wait_dscnt 0x0
	v_add3_u32 v69, v68, v72, v73
	v_mbcnt_lo_u32_b32 v68, -1, 0
	v_and_b32_e32 v72, 31, v0
	s_delay_alu instid0(VALU_DEP_3) | instskip(NEXT) | instid1(VALU_DEP_3)
	v_add3_u32 v69, v69, v74, v75
	v_and_b32_e32 v70, 15, v68
	s_delay_alu instid0(VALU_DEP_2) | instskip(NEXT) | instid1(VALU_DEP_2)
	v_mov_b32_dpp v71, v69 row_shr:1 row_mask:0xf bank_mask:0xf
	v_cmp_eq_u32_e32 vcc_lo, 0, v70
	v_cmp_lt_u32_e64 s2, 1, v70
	v_cmp_lt_u32_e64 s3, 3, v70
	;; [unrolled: 1-line block ×3, first 2 shown]
	v_cndmask_b32_e64 v71, v71, 0, vcc_lo
	s_delay_alu instid0(VALU_DEP_1) | instskip(NEXT) | instid1(VALU_DEP_1)
	v_add_nc_u32_e32 v69, v71, v69
	v_mov_b32_dpp v71, v69 row_shr:2 row_mask:0xf bank_mask:0xf
	s_delay_alu instid0(VALU_DEP_1) | instskip(NEXT) | instid1(VALU_DEP_1)
	v_cndmask_b32_e64 v71, 0, v71, s2
	v_add_nc_u32_e32 v69, v69, v71
	s_delay_alu instid0(VALU_DEP_1) | instskip(NEXT) | instid1(VALU_DEP_1)
	v_mov_b32_dpp v71, v69 row_shr:4 row_mask:0xf bank_mask:0xf
	v_cndmask_b32_e64 v71, 0, v71, s3
	s_delay_alu instid0(VALU_DEP_1) | instskip(NEXT) | instid1(VALU_DEP_1)
	v_add_nc_u32_e32 v69, v69, v71
	v_mov_b32_dpp v71, v69 row_shr:8 row_mask:0xf bank_mask:0xf
	s_delay_alu instid0(VALU_DEP_1) | instskip(SKIP_1) | instid1(VALU_DEP_2)
	v_cndmask_b32_e64 v70, 0, v71, s4
	v_bfe_i32 v71, v68, 4, 1
	v_add_nc_u32_e32 v69, v69, v70
	ds_swizzle_b32 v70, v69 offset:swizzle(BROADCAST,32,15)
	s_wait_dscnt 0x0
	v_dual_lshrrev_b32 v71, 5, v0 :: v_dual_bitop2_b32 v70, v71, v70 bitop3:0x40
	s_delay_alu instid0(VALU_DEP_1) | instskip(NEXT) | instid1(VALU_DEP_2)
	v_dual_add_nc_u32 v69, v69, v70 :: v_dual_bitop2_b32 v73, 16, v68 bitop3:0x40
	v_lshlrev_b32_e32 v70, 2, v71
	s_delay_alu instid0(VALU_DEP_2)
	v_cmp_eq_u32_e64 s5, 0, v73
	v_cmpx_eq_u32_e32 31, v72
; %bb.118:
	ds_store_b32 v70, v69 offset:32768
; %bb.119:
	s_or_b32 exec_lo, exec_lo, s7
	v_cmp_lt_u32_e64 s6, 31, v0
	s_mov_b32 s13, exec_lo
	s_wait_dscnt 0x0
	s_barrier_signal -1
	s_barrier_wait -1
	v_cmpx_gt_u32_e32 32, v0
	s_cbranch_execz .LBB466_121
; %bb.120:
	v_mad_i32_i24 v71, 0xffffffe4, v0, v67
	ds_load_b32 v72, v71 offset:32768
	s_wait_dscnt 0x0
	v_mov_b32_dpp v73, v72 row_shr:1 row_mask:0xf bank_mask:0xf
	s_delay_alu instid0(VALU_DEP_1) | instskip(NEXT) | instid1(VALU_DEP_1)
	v_cndmask_b32_e64 v73, v73, 0, vcc_lo
	v_add_nc_u32_e32 v72, v73, v72
	s_delay_alu instid0(VALU_DEP_1) | instskip(NEXT) | instid1(VALU_DEP_1)
	v_mov_b32_dpp v73, v72 row_shr:2 row_mask:0xf bank_mask:0xf
	v_cndmask_b32_e64 v73, 0, v73, s2
	s_delay_alu instid0(VALU_DEP_1) | instskip(NEXT) | instid1(VALU_DEP_1)
	v_add_nc_u32_e32 v72, v72, v73
	v_mov_b32_dpp v73, v72 row_shr:4 row_mask:0xf bank_mask:0xf
	s_delay_alu instid0(VALU_DEP_1) | instskip(NEXT) | instid1(VALU_DEP_1)
	v_cndmask_b32_e64 v73, 0, v73, s3
	v_add_nc_u32_e32 v72, v72, v73
	s_delay_alu instid0(VALU_DEP_1) | instskip(NEXT) | instid1(VALU_DEP_1)
	v_mov_b32_dpp v73, v72 row_shr:8 row_mask:0xf bank_mask:0xf
	v_cndmask_b32_e64 v73, 0, v73, s4
	s_delay_alu instid0(VALU_DEP_1) | instskip(SKIP_3) | instid1(VALU_DEP_1)
	v_add_nc_u32_e32 v72, v72, v73
	ds_swizzle_b32 v73, v72 offset:swizzle(BROADCAST,32,15)
	s_wait_dscnt 0x0
	v_cndmask_b32_e64 v73, v73, 0, s5
	v_add_nc_u32_e32 v72, v72, v73
	ds_store_b32 v71, v72 offset:32768
.LBB466_121:
	s_or_b32 exec_lo, exec_lo, s13
	v_dual_mov_b32 v72, 0 :: v_dual_mov_b32 v71, 0
	s_wait_dscnt 0x0
	s_barrier_signal -1
	s_barrier_wait -1
	s_and_saveexec_b32 s2, s6
; %bb.122:
	ds_load_b32 v71, v70 offset:32764
; %bb.123:
	s_or_b32 exec_lo, exec_lo, s2
	v_sub_co_u32 v70, vcc_lo, v68, 1
	s_wait_dscnt 0x0
	v_add_nc_u32_e32 v69, v71, v69
	s_delay_alu instid0(VALU_DEP_2) | instskip(NEXT) | instid1(VALU_DEP_1)
	v_cmp_gt_i32_e64 s2, 0, v70
	v_cndmask_b32_e64 v68, v70, v68, s2
	v_cmp_gt_u32_e64 s2, 16, v0
	s_delay_alu instid0(VALU_DEP_2)
	v_lshlrev_b32_e32 v68, 2, v68
	ds_bpermute_b32 v68, v68, v69
	ds_load_b32 v69, v72 offset:32892
	ds_load_2addr_b64 v[72:75], v67 offset1:1
	ds_load_b32 v76, v67 offset:24
	s_wait_dscnt 0x3
	v_cndmask_b32_e32 v68, v68, v71, vcc_lo
	ds_load_b64 v[70:71], v67 offset:16
	v_cmp_lt_u32_e32 vcc_lo, 15, v0
	s_wait_dscnt 0x3
	v_lshl_add_u32 v68, v69, 16, v68
	s_wait_dscnt 0x2
	s_delay_alu instid0(VALU_DEP_1) | instskip(NEXT) | instid1(VALU_DEP_1)
	v_add_nc_u32_e32 v69, v68, v72
	v_add_nc_u32_e32 v72, v73, v69
	s_delay_alu instid0(VALU_DEP_1) | instskip(NEXT) | instid1(VALU_DEP_1)
	v_add_nc_u32_e32 v73, v74, v72
	v_add_nc_u32_e32 v74, v75, v73
	s_wait_dscnt 0x0
	s_delay_alu instid0(VALU_DEP_1) | instskip(NEXT) | instid1(VALU_DEP_1)
	v_add_nc_u32_e32 v75, v70, v74
	v_add_nc_u32_e32 v70, v71, v75
	s_delay_alu instid0(VALU_DEP_1)
	v_add_nc_u32_e32 v71, v76, v70
	ds_store_2addr_b64 v67, v[68:69], v[72:73] offset1:1
	ds_store_2addr_b64 v67, v[74:75], v[70:71] offset0:2 offset1:3
	s_wait_dscnt 0x0
	s_barrier_signal -1
	s_barrier_wait -1
	ds_load_u16 v17, v17
	ds_load_u16 v20, v20
	;; [unrolled: 1-line block ×22, first 2 shown]
	v_mov_b64_e32 v[2:3], 0
                                        ; implicit-def: $vgpr4
	s_and_saveexec_b32 s4, s2
	s_cbranch_execz .LBB466_127
; %bb.124:
	v_dual_lshlrev_b32 v2, 12, v0 :: v_dual_lshrrev_b32 v3, 2, v0
	v_add_nc_u32_e32 v4, 1, v0
	s_mov_b32 s5, exec_lo
	s_delay_alu instid0(VALU_DEP_2)
	v_bitop3_b32 v2, v2, 0x70fe, v3 bitop3:0xc8
	v_mov_b32_e32 v3, 0x5800
	ds_load_u16 v2, v2
	v_cmpx_ne_u32_e32 16, v4
; %bb.125:
	v_dual_lshlrev_b32 v3, 12, v4 :: v_dual_lshrrev_b32 v4, 2, v4
	s_delay_alu instid0(VALU_DEP_1)
	v_bitop3_b32 v3, v3, 0x71fe, v4 bitop3:0xc8
	ds_load_u16 v3, v3
; %bb.126:
	s_or_b32 exec_lo, exec_lo, s5
	s_wait_dscnt 0x0
	v_and_b32_e32 v2, 0xffff, v2
	s_mov_b32 s3, 0
	s_delay_alu instid0(VALU_DEP_1) | instid1(SALU_CYCLE_1)
	v_dual_mov_b32 v3, s3 :: v_dual_sub_nc_u32 v4, v3, v2
.LBB466_127:
	s_or_b32 exec_lo, exec_lo, s4
	s_wait_dscnt 0x15
	v_and_b32_e32 v17, 0xffff, v17
	v_and_b32_e32 v11, 0xffff, v11
	s_wait_dscnt 0x14
	v_and_b32_e32 v20, 0xffff, v20
	v_and_b32_e32 v14, 0xffff, v14
	;; [unrolled: 3-line block ×4, first 2 shown]
	v_dual_add_nc_u32 v11, v17, v11 :: v_dual_add_nc_u32 v14, v20, v14
	s_wait_dscnt 0x11
	v_and_b32_e32 v34, 0xffff, v34
	v_and_b32_e32 v21, 0xffff, v21
	s_wait_dscnt 0x10
	v_and_b32_e32 v41, 0xffff, v41
	v_and_b32_e32 v25, 0xffff, v25
	v_add_nc_u32_e32 v15, v67, v15
	s_wait_dscnt 0xf
	v_and_b32_e32 v68, 0xffff, v68
	v_and_b32_e32 v29, 0xffff, v29
	s_wait_dscnt 0xe
	v_and_b32_e32 v47, 0xffff, v47
	v_and_b32_e32 v31, 0xffff, v31
	;; [unrolled: 3-line block ×3, first 2 shown]
	s_wait_dscnt 0x0
	s_barrier_signal -1
	s_barrier_wait -1
	ds_store_b8 v11, v1 offset:128
	ds_store_b8 v14, v7 offset:128
	;; [unrolled: 1-line block ×3, first 2 shown]
	v_dual_add_nc_u32 v1, v27, v19 :: v_dual_add_nc_u32 v10, v41, v25
	v_and_b32_e32 v51, 0xffff, v51
	v_and_b32_e32 v35, 0xffff, v35
	v_add_nc_u32_e32 v7, v34, v21
	v_and_b32_e32 v69, 0xffff, v69
	v_and_b32_e32 v38, 0xffff, v38
	;; [unrolled: 1-line block ×4, first 2 shown]
	v_dual_add_nc_u32 v11, v68, v29 :: v_dual_add_nc_u32 v14, v47, v31
	v_and_b32_e32 v56, 0xffff, v56
	v_and_b32_e32 v43, 0xffff, v43
	;; [unrolled: 1-line block ×4, first 2 shown]
	ds_store_b8 v1, v12 offset:128
	ds_store_b8 v7, v13 offset:128
	;; [unrolled: 1-line block ×5, first 2 shown]
	v_dual_add_nc_u32 v1, v49, v33 :: v_dual_add_nc_u32 v6, v51, v35
	v_and_b32_e32 v59, 0xffff, v59
	v_and_b32_e32 v45, 0xffff, v45
	;; [unrolled: 1-line block ×4, first 2 shown]
	v_dual_add_nc_u32 v7, v69, v38 :: v_dual_add_nc_u32 v10, v54, v40
	v_and_b32_e32 v61, 0xffff, v61
	v_and_b32_e32 v48, 0xffff, v48
	;; [unrolled: 1-line block ×4, first 2 shown]
	v_add_nc_u32_e32 v11, v56, v43
	ds_store_b8 v1, v22 offset:128
	ds_store_b8 v6, v23 offset:128
	;; [unrolled: 1-line block ×5, first 2 shown]
	v_dual_add_nc_u32 v1, v58, v44 :: v_dual_add_nc_u32 v6, v59, v45
	v_dual_add_nc_u32 v7, v60, v46 :: v_dual_add_nc_u32 v10, v61, v48
	v_add_nc_u32_e32 v11, v62, v50
	v_and_b32_e32 v63, 0xffff, v63
	v_and_b32_e32 v66, 0xffff, v66
	;; [unrolled: 1-line block ×4, first 2 shown]
	ds_store_b8 v1, v30 offset:128
	ds_store_b8 v6, v32 offset:128
	;; [unrolled: 1-line block ×5, first 2 shown]
	v_mov_b32_e32 v7, 0
	v_and_b32_e32 v64, 0xffff, v64
	v_and_b32_e32 v53, 0xffff, v53
	;; [unrolled: 1-line block ×4, first 2 shown]
	v_dual_add_nc_u32 v6, v63, v52 :: v_dual_add_nc_u32 v12, v66, v57
	v_dual_mov_b32 v1, v7 :: v_dual_lshlrev_b32 v5, 3, v0
	s_delay_alu instid0(VALU_DEP_3)
	v_dual_add_nc_u32 v10, v64, v53 :: v_dual_add_nc_u32 v11, v65, v55
	s_not_b32 s3, s12
	ds_store_b8 v6, v37 offset:128
	ds_store_b8 v10, v8 offset:128
	;; [unrolled: 1-line block ×4, first 2 shown]
	s_and_saveexec_b32 s4, s2
	s_cbranch_execz .LBB466_137
; %bb.128:
	v_lshl_add_u32 v6, s19, 4, v0
	v_dual_mov_b32 v10, 0 :: v_dual_bitop2_b32 v11, 2.0, v4 bitop3:0x54
	s_mov_b32 s5, 0
	s_mov_b32 s6, s19
	s_delay_alu instid0(VALU_DEP_2)
	v_lshl_add_u64 v[8:9], v[6:7], 2, s[20:21]
	global_store_b32 v6, v11, s[20:21] scale_offset scope:SCOPE_DEV
                                        ; implicit-def: $sgpr2
	s_branch .LBB466_131
.LBB466_129:                            ;   in Loop: Header=BB466_131 Depth=1
	s_or_b32 exec_lo, exec_lo, s12
.LBB466_130:                            ;   in Loop: Header=BB466_131 Depth=1
	s_delay_alu instid0(SALU_CYCLE_1) | instskip(SKIP_2) | instid1(VALU_DEP_2)
	s_or_b32 exec_lo, exec_lo, s7
	v_and_b32_e32 v6, 0x3fffffff, v11
	v_cmp_gt_i32_e64 s2, -2.0, v11
	v_add_nc_u32_e32 v10, v6, v10
	s_and_b32 s7, exec_lo, s2
	s_delay_alu instid0(SALU_CYCLE_1) | instskip(NEXT) | instid1(SALU_CYCLE_1)
	s_or_b32 s5, s7, s5
	s_and_not1_b32 exec_lo, exec_lo, s5
	s_cbranch_execz .LBB466_136
.LBB466_131:                            ; =>This Loop Header: Depth=1
                                        ;     Child Loop BB466_134 Depth 2
	s_or_b32 s2, s2, exec_lo
	s_cmp_eq_u32 s6, 0
	s_cbranch_scc1 .LBB466_135
; %bb.132:                              ;   in Loop: Header=BB466_131 Depth=1
	s_add_co_i32 s6, s6, -1
	s_mov_b32 s7, exec_lo
	s_wait_xcnt 0x0
	v_lshl_or_b32 v6, s6, 4, v0
	global_load_b32 v11, v6, s[20:21] scale_offset scope:SCOPE_DEV
	s_wait_loadcnt 0x0
	v_cmpx_gt_u32_e32 2.0, v11
	s_cbranch_execz .LBB466_130
; %bb.133:                              ;   in Loop: Header=BB466_131 Depth=1
	v_lshl_add_u64 v[12:13], v[6:7], 2, s[20:21]
	s_mov_b32 s12, 0
.LBB466_134:                            ;   Parent Loop BB466_131 Depth=1
                                        ; =>  This Inner Loop Header: Depth=2
	global_load_b32 v11, v[12:13], off scope:SCOPE_DEV
	s_wait_loadcnt 0x0
	v_cmp_lt_u32_e64 s2, 0x3fffffff, v11
	s_or_b32 s12, s2, s12
	s_wait_xcnt 0x0
	s_and_not1_b32 exec_lo, exec_lo, s12
	s_cbranch_execnz .LBB466_134
	s_branch .LBB466_129
.LBB466_135:                            ;   in Loop: Header=BB466_131 Depth=1
                                        ; implicit-def: $sgpr6
	s_and_b32 s7, exec_lo, s2
	s_delay_alu instid0(SALU_CYCLE_1)
	s_or_b32 s5, s7, s5
	s_wait_xcnt 0x0
	s_and_not1_b32 exec_lo, exec_lo, s5
	s_cbranch_execnz .LBB466_131
.LBB466_136:
	s_or_b32 exec_lo, exec_lo, s5
	v_dual_mov_b32 v11, 0 :: v_dual_add_nc_u32 v6, v10, v4
	s_delay_alu instid0(VALU_DEP_1) | instskip(SKIP_4) | instid1(VALU_DEP_1)
	v_or_b32_e32 v6, 0x80000000, v6
	global_store_b32 v[8:9], v6, off scope:SCOPE_DEV
	global_load_b64 v[6:7], v0, s[8:9] scale_offset
	v_sub_nc_u64_e32 v[8:9], v[10:11], v[2:3]
	s_wait_loadcnt 0x0
	v_add_nc_u64_e32 v[6:7], v[8:9], v[6:7]
	ds_store_b64 v5, v[6:7]
.LBB466_137:
	s_wait_xcnt 0x0
	s_or_b32 exec_lo, exec_lo, s4
	s_wait_storecnt_dscnt 0x0
	s_barrier_signal -1
	s_barrier_wait -1
	ds_load_u8 v26, v0 offset:20608
	ds_load_u8 v27, v0 offset:21632
	;; [unrolled: 1-line block ×22, first 2 shown]
	s_wait_dscnt 0xf
	v_and_b32_e32 v12, 0xff, v10
	v_xor_b32_e32 v45, 0x80, v10
	s_wait_dscnt 0xe
	v_and_b32_e32 v10, 0xff, v30
	s_wait_dscnt 0xd
	v_and_b32_e32 v18, 0xff, v31
	v_and_b32_e32 v6, 0xff, v26
	v_and_b32_e32 v7, 0xff, v27
	v_and_b32_e32 v11, 0xff, v8
	v_and_b32_e32 v13, 0xff, v20
	v_dual_lshrrev_b32 v12, s16, v12 :: v_dual_lshrrev_b32 v10, s16, v10
	s_delay_alu instid0(VALU_DEP_4) | instskip(NEXT) | instid1(VALU_DEP_3)
	v_dual_lshrrev_b32 v6, s16, v6 :: v_dual_lshrrev_b32 v7, s16, v7
	v_dual_lshrrev_b32 v13, s16, v13 :: v_dual_lshrrev_b32 v11, s16, v11
	s_delay_alu instid0(VALU_DEP_3) | instskip(NEXT) | instid1(VALU_DEP_4)
	v_and_b32_e32 v10, s3, v10
	v_and_b32_e32 v12, s3, v12
	s_delay_alu instid0(VALU_DEP_4) | instskip(SKIP_4) | instid1(VALU_DEP_4)
	v_and_b32_e32 v7, s3, v7
	v_and_b32_e32 v6, s3, v6
	;; [unrolled: 1-line block ×4, first 2 shown]
	v_xor_b32_e32 v24, 0x80, v8
	v_dual_lshlrev_b32 v9, 3, v7 :: v_dual_lshlrev_b32 v6, 3, v6
	s_delay_alu instid0(VALU_DEP_3)
	v_dual_lshlrev_b32 v14, 3, v11 :: v_dual_lshlrev_b32 v13, 3, v13
	ds_load_b64 v[6:7], v6
	ds_load_b64 v[8:9], v9
	v_dual_lshlrev_b32 v16, 3, v10 :: v_dual_lshlrev_b32 v15, 3, v12
	ds_load_b64 v[10:11], v13
	ds_load_b64 v[12:13], v14
	s_wait_dscnt 0x10
	v_and_b32_e32 v19, 0xff, v32
	s_wait_dscnt 0xf
	v_and_b32_e32 v21, 0xff, v33
	;; [unrolled: 2-line block ×3, first 2 shown]
	v_lshrrev_b32_e32 v18, s16, v18
	ds_load_b64 v[14:15], v15
	ds_load_b64 v[16:17], v16
	v_lshrrev_b32_e32 v19, s16, v19
	s_wait_dscnt 0xf
	v_and_b32_e32 v23, 0xff, v35
	s_wait_dscnt 0xe
	v_and_b32_e32 v25, 0xff, v36
	v_dual_lshrrev_b32 v21, s16, v21 :: v_dual_lshrrev_b32 v22, s16, v22
	v_and_b32_e32 v19, s3, v19
	v_and_b32_e32 v18, s3, v18
	s_wait_dscnt 0xd
	v_and_b32_e32 v46, 0xff, v37
	v_dual_lshrrev_b32 v23, s16, v23 :: v_dual_lshrrev_b32 v25, s16, v25
	v_and_b32_e32 v48, s3, v22
	v_dual_lshlrev_b32 v22, 3, v19 :: v_dual_bitop2_b32 v21, s3, v21 bitop3:0x40
	v_lshlrev_b32_e32 v18, 3, v18
	s_wait_dscnt 0x3
	v_add_nc_u64_e32 v[10:11], s[14:15], v[10:11]
	s_wait_dscnt 0x2
	v_add_nc_u64_e32 v[12:13], s[14:15], v[12:13]
	v_dual_lshrrev_b32 v46, s16, v46 :: v_dual_bitop2_b32 v25, s3, v25 bitop3:0x40
	v_dual_lshlrev_b32 v23, 3, v21 :: v_dual_bitop2_b32 v49, s3, v23 bitop3:0x40
	ds_load_b64 v[18:19], v18
	v_add_nc_u64_e32 v[10:11], v[10:11], v[0:1]
	v_add_nc_u64_e32 v[12:13], v[12:13], v[0:1]
	v_xor_b32_e32 v50, 0x80, v20
	ds_load_b64 v[20:21], v22
	ds_load_b64 v[22:23], v23
	v_and_b32_e32 v47, 0xff, v38
	s_wait_dscnt 0x4
	v_add_nc_u64_e32 v[14:15], s[14:15], v[14:15]
	s_wait_dscnt 0x3
	v_add_nc_u64_e32 v[16:17], s[14:15], v[16:17]
	s_clause 0x1
	global_store_b8 v[10:11], v50, off
	global_store_b8 v[12:13], v24, off offset:1024
	s_wait_xcnt 0x0
	v_dual_lshlrev_b32 v10, 3, v48 :: v_dual_lshlrev_b32 v24, 3, v25
	v_dual_lshlrev_b32 v12, 3, v49 :: v_dual_lshrrev_b32 v47, s16, v47
	v_add_nc_u64_e32 v[14:15], v[14:15], v[0:1]
	ds_load_b64 v[10:11], v10
	ds_load_b64 v[12:13], v12
	ds_load_b64 v[24:25], v24
	v_and_b32_e32 v46, s3, v46
	v_and_b32_e32 v47, s3, v47
	v_add_nc_u64_e32 v[16:17], v[16:17], v[0:1]
	v_xor_b32_e32 v30, 0x80, v30
	global_store_b8 v[14:15], v45, off offset:2048
	s_wait_xcnt 0x0
	v_lshlrev_b32_e32 v45, 3, v46
	s_wait_dscnt 0x5
	v_add_nc_u64_e32 v[14:15], s[14:15], v[18:19]
	v_lshlrev_b32_e32 v46, 3, v47
	s_wait_dscnt 0x3
	v_add_nc_u64_e32 v[18:19], s[14:15], v[22:23]
	global_store_b8 v[16:17], v30, off offset:3072
	s_wait_xcnt 0x0
	v_add_nc_u64_e32 v[16:17], s[14:15], v[20:21]
	ds_load_b64 v[20:21], v45
	ds_load_b64 v[22:23], v46
	v_xor_b32_e32 v30, 0x80, v31
	v_add_nc_u64_e32 v[14:15], v[14:15], v[0:1]
	v_xor_b32_e32 v31, 0x80, v32
	v_add_nc_u64_e32 v[18:19], v[18:19], v[0:1]
	v_xor_b32_e32 v32, 0x80, v33
	s_wait_dscnt 0x4
	v_add_nc_u64_e32 v[10:11], s[14:15], v[10:11]
	s_wait_dscnt 0x3
	v_add_nc_u64_e32 v[12:13], s[14:15], v[12:13]
	v_add_nc_u64_e32 v[16:17], v[16:17], v[0:1]
	global_store_b8 v[14:15], v30, off offset:4096
	s_wait_dscnt 0x2
	s_wait_xcnt 0x0
	v_add_nc_u64_e32 v[14:15], s[14:15], v[24:25]
	s_clause 0x1
	global_store_b8 v[16:17], v31, off offset:5120
	global_store_b8 v[18:19], v32, off offset:6144
	v_add_nc_u64_e32 v[10:11], v[10:11], v[0:1]
	v_add_nc_u64_e32 v[14:15], v[14:15], v[0:1]
	v_add_nc_u64_e32 v[12:13], v[12:13], v[0:1]
	v_xor_b32_e32 v24, 0x80, v34
	v_xor_b32_e32 v30, 0x80, v36
	s_wait_dscnt 0x1
	s_wait_xcnt 0x1
	v_add_nc_u64_e32 v[16:17], s[14:15], v[20:21]
	v_and_b32_e32 v20, 0xff, v39
	v_xor_b32_e32 v25, 0x80, v35
	s_clause 0x2
	global_store_b8 v[10:11], v24, off offset:7168
	global_store_b8 v[12:13], v25, off offset:8192
	;; [unrolled: 1-line block ×3, first 2 shown]
	s_wait_xcnt 0x0
	v_lshrrev_b32_e32 v14, s16, v20
	v_and_b32_e32 v15, 0xff, v40
	s_wait_dscnt 0x0
	v_add_nc_u64_e32 v[18:19], s[14:15], v[22:23]
	v_add_nc_u64_e32 v[10:11], v[16:17], v[0:1]
	v_and_b32_e32 v16, 0xff, v41
	v_and_b32_e32 v17, 0xff, v42
	v_dual_lshrrev_b32 v15, s16, v15 :: v_dual_bitop2_b32 v14, s3, v14 bitop3:0x40
	v_and_b32_e32 v23, 0xff, v44
	v_add_nc_u64_e32 v[12:13], v[18:19], v[0:1]
	v_and_b32_e32 v18, 0xff, v43
	v_dual_lshrrev_b32 v16, s16, v16 :: v_dual_lshrrev_b32 v17, s16, v17
	v_dual_lshlrev_b32 v14, 3, v14 :: v_dual_bitop2_b32 v19, s3, v15 bitop3:0x40
	s_delay_alu instid0(VALU_DEP_2)
	v_dual_lshrrev_b32 v18, s16, v18 :: v_dual_bitop2_b32 v16, s3, v16 bitop3:0x40
	v_and_b32_e32 v25, 0xff, v28
	ds_load_b64 v[14:15], v14
	v_dual_lshlrev_b32 v19, 3, v19 :: v_dual_bitop2_b32 v17, s3, v17 bitop3:0x40
	v_dual_lshlrev_b32 v20, 3, v16 :: v_dual_bitop2_b32 v18, s3, v18 bitop3:0x40
	v_and_b32_e32 v30, 0xff, v29
	v_xor_b32_e32 v24, 0x80, v37
	s_delay_alu instid0(VALU_DEP_4) | instskip(NEXT) | instid1(VALU_DEP_4)
	v_dual_lshlrev_b32 v21, 3, v17 :: v_dual_lshrrev_b32 v31, s16, v23
	v_lshlrev_b32_e32 v22, 3, v18
	ds_load_b64 v[16:17], v19
	ds_load_b64 v[18:19], v20
	;; [unrolled: 1-line block ×3, first 2 shown]
	v_dual_lshrrev_b32 v25, s16, v25 :: v_dual_lshrrev_b32 v30, s16, v30
	v_xor_b32_e32 v32, 0x80, v38
	global_store_b8 v[10:11], v24, off offset:10240
	ds_load_b64 v[22:23], v22
	s_wait_xcnt 0x0
	v_and_b32_e32 v10, s3, v25
	v_and_b32_e32 v31, s3, v31
	global_store_b8 v[12:13], v32, off offset:11264
	s_wait_xcnt 0x0
	v_and_b32_e32 v12, s3, v30
	v_xor_b32_e32 v30, 0x80, v39
	v_dual_lshlrev_b32 v24, 3, v10 :: v_dual_lshlrev_b32 v13, 3, v31
	s_wait_dscnt 0x4
	v_add_nc_u64_e32 v[10:11], s[14:15], v[14:15]
	v_lshlrev_b32_e32 v25, 3, v12
	v_xor_b32_e32 v31, 0x80, v40
	v_xor_b32_e32 v32, 0x80, v41
	;; [unrolled: 1-line block ×3, first 2 shown]
	s_wait_dscnt 0x3
	v_add_nc_u64_e32 v[14:15], s[14:15], v[16:17]
	ds_load_b64 v[16:17], v24
	ds_load_b64 v[12:13], v13
	ds_load_b64 v[24:25], v25
	s_wait_dscnt 0x5
	v_add_nc_u64_e32 v[18:19], s[14:15], v[18:19]
	s_wait_dscnt 0x4
	v_add_nc_u64_e32 v[20:21], s[14:15], v[20:21]
	v_add_nc_u64_e32 v[10:11], v[10:11], v[0:1]
	;; [unrolled: 1-line block ×3, first 2 shown]
	s_wait_dscnt 0x3
	v_add_nc_u64_e32 v[22:23], s[14:15], v[22:23]
	v_add_nc_u64_e32 v[6:7], s[14:15], v[6:7]
	;; [unrolled: 1-line block ×5, first 2 shown]
	s_clause 0x3
	global_store_b8 v[10:11], v30, off offset:12288
	global_store_b8 v[14:15], v31, off offset:13312
	;; [unrolled: 1-line block ×4, first 2 shown]
	v_add_nc_u64_e32 v[22:23], v[22:23], v[0:1]
	s_wait_xcnt 0x3
	v_xor_b32_e32 v30, 0x80, v43
	v_add_nc_u64_e32 v[6:7], v[6:7], v[0:1]
	s_wait_xcnt 0x1
	v_xor_b32_e32 v18, 0x80, v29
	s_wait_dscnt 0x1
	v_add_nc_u64_e32 v[10:11], s[14:15], v[12:13]
	v_add_nc_u64_e32 v[12:13], s[14:15], v[16:17]
	s_wait_dscnt 0x0
	v_add_nc_u64_e32 v[14:15], s[14:15], v[24:25]
	v_xor_b32_e32 v16, 0x80, v44
	v_xor_b32_e32 v17, 0x80, v28
	v_add_nc_u64_e32 v[8:9], v[8:9], v[0:1]
	v_xor_b32_e32 v19, 0x80, v27
	v_add_nc_u64_e32 v[10:11], v[10:11], v[0:1]
	v_add_nc_u64_e32 v[12:13], v[12:13], v[0:1]
	;; [unrolled: 1-line block ×3, first 2 shown]
	v_xor_b32_e32 v1, 0x80, v26
	s_clause 0x5
	global_store_b8 v[22:23], v30, off offset:16384
	global_store_b8 v[10:11], v16, off offset:17408
	;; [unrolled: 1-line block ×6, first 2 shown]
	s_load_b32 s0, s[0:1], 0x58
	s_wait_kmcnt 0x0
	s_add_co_i32 s0, s0, -1
	s_delay_alu instid0(SALU_CYCLE_1) | instskip(SKIP_2) | instid1(SALU_CYCLE_1)
	s_cmp_eq_u32 s19, s0
	s_cselect_b32 s0, -1, 0
	s_xor_b32 s1, vcc_lo, -1
	s_and_b32 s0, s1, s0
	s_delay_alu instid0(SALU_CYCLE_1)
	s_and_saveexec_b32 s1, s0
	s_cbranch_execz .LBB466_139
; %bb.138:
	ds_load_b64 v[6:7], v5
	v_mov_b32_e32 v5, 0
	s_delay_alu instid0(VALU_DEP_1) | instskip(SKIP_1) | instid1(VALU_DEP_1)
	v_add_nc_u64_e32 v[2:3], v[2:3], v[4:5]
	s_wait_dscnt 0x0
	v_add_nc_u64_e32 v[2:3], v[2:3], v[6:7]
	global_store_b64 v0, v[2:3], s[10:11] scale_offset
.LBB466_139:
	s_sendmsg sendmsg(MSG_DEALLOC_VGPRS)
	s_endpgm
	.section	.rodata,"a",@progbits
	.p2align	6, 0x0
	.amdhsa_kernel _ZN7rocprim17ROCPRIM_400000_NS6detail17trampoline_kernelINS0_14default_configENS1_35radix_sort_onesweep_config_selectorIaNS0_10empty_typeEEEZZNS1_29radix_sort_onesweep_iterationIS3_Lb0EPKaPaPS5_SB_mNS0_19identity_decomposerENS1_16block_id_wrapperIjLb1EEEEE10hipError_tT1_PNSt15iterator_traitsISG_E10value_typeET2_T3_PNSH_ISM_E10value_typeET4_T5_PSR_SS_PNS1_23onesweep_lookback_stateEbbT6_jjT7_P12ihipStream_tbENKUlT_T0_SG_SL_E_clIS9_SA_SB_SB_EEDaSZ_S10_SG_SL_EUlSZ_E_NS1_11comp_targetILNS1_3genE0ELNS1_11target_archE4294967295ELNS1_3gpuE0ELNS1_3repE0EEENS1_47radix_sort_onesweep_sort_config_static_selectorELNS0_4arch9wavefront6targetE0EEEvSG_
		.amdhsa_group_segment_fixed_size 32904
		.amdhsa_private_segment_fixed_size 0
		.amdhsa_kernarg_size 344
		.amdhsa_user_sgpr_count 2
		.amdhsa_user_sgpr_dispatch_ptr 0
		.amdhsa_user_sgpr_queue_ptr 0
		.amdhsa_user_sgpr_kernarg_segment_ptr 1
		.amdhsa_user_sgpr_dispatch_id 0
		.amdhsa_user_sgpr_kernarg_preload_length 0
		.amdhsa_user_sgpr_kernarg_preload_offset 0
		.amdhsa_user_sgpr_private_segment_size 0
		.amdhsa_wavefront_size32 1
		.amdhsa_uses_dynamic_stack 0
		.amdhsa_enable_private_segment 0
		.amdhsa_system_sgpr_workgroup_id_x 1
		.amdhsa_system_sgpr_workgroup_id_y 0
		.amdhsa_system_sgpr_workgroup_id_z 0
		.amdhsa_system_sgpr_workgroup_info 0
		.amdhsa_system_vgpr_workitem_id 0
		.amdhsa_next_free_vgpr 79
		.amdhsa_next_free_sgpr 25
		.amdhsa_named_barrier_count 0
		.amdhsa_reserve_vcc 1
		.amdhsa_float_round_mode_32 0
		.amdhsa_float_round_mode_16_64 0
		.amdhsa_float_denorm_mode_32 3
		.amdhsa_float_denorm_mode_16_64 3
		.amdhsa_fp16_overflow 0
		.amdhsa_memory_ordered 1
		.amdhsa_forward_progress 1
		.amdhsa_inst_pref_size 117
		.amdhsa_round_robin_scheduling 0
		.amdhsa_exception_fp_ieee_invalid_op 0
		.amdhsa_exception_fp_denorm_src 0
		.amdhsa_exception_fp_ieee_div_zero 0
		.amdhsa_exception_fp_ieee_overflow 0
		.amdhsa_exception_fp_ieee_underflow 0
		.amdhsa_exception_fp_ieee_inexact 0
		.amdhsa_exception_int_div_zero 0
	.end_amdhsa_kernel
	.section	.text._ZN7rocprim17ROCPRIM_400000_NS6detail17trampoline_kernelINS0_14default_configENS1_35radix_sort_onesweep_config_selectorIaNS0_10empty_typeEEEZZNS1_29radix_sort_onesweep_iterationIS3_Lb0EPKaPaPS5_SB_mNS0_19identity_decomposerENS1_16block_id_wrapperIjLb1EEEEE10hipError_tT1_PNSt15iterator_traitsISG_E10value_typeET2_T3_PNSH_ISM_E10value_typeET4_T5_PSR_SS_PNS1_23onesweep_lookback_stateEbbT6_jjT7_P12ihipStream_tbENKUlT_T0_SG_SL_E_clIS9_SA_SB_SB_EEDaSZ_S10_SG_SL_EUlSZ_E_NS1_11comp_targetILNS1_3genE0ELNS1_11target_archE4294967295ELNS1_3gpuE0ELNS1_3repE0EEENS1_47radix_sort_onesweep_sort_config_static_selectorELNS0_4arch9wavefront6targetE0EEEvSG_,"axG",@progbits,_ZN7rocprim17ROCPRIM_400000_NS6detail17trampoline_kernelINS0_14default_configENS1_35radix_sort_onesweep_config_selectorIaNS0_10empty_typeEEEZZNS1_29radix_sort_onesweep_iterationIS3_Lb0EPKaPaPS5_SB_mNS0_19identity_decomposerENS1_16block_id_wrapperIjLb1EEEEE10hipError_tT1_PNSt15iterator_traitsISG_E10value_typeET2_T3_PNSH_ISM_E10value_typeET4_T5_PSR_SS_PNS1_23onesweep_lookback_stateEbbT6_jjT7_P12ihipStream_tbENKUlT_T0_SG_SL_E_clIS9_SA_SB_SB_EEDaSZ_S10_SG_SL_EUlSZ_E_NS1_11comp_targetILNS1_3genE0ELNS1_11target_archE4294967295ELNS1_3gpuE0ELNS1_3repE0EEENS1_47radix_sort_onesweep_sort_config_static_selectorELNS0_4arch9wavefront6targetE0EEEvSG_,comdat
.Lfunc_end466:
	.size	_ZN7rocprim17ROCPRIM_400000_NS6detail17trampoline_kernelINS0_14default_configENS1_35radix_sort_onesweep_config_selectorIaNS0_10empty_typeEEEZZNS1_29radix_sort_onesweep_iterationIS3_Lb0EPKaPaPS5_SB_mNS0_19identity_decomposerENS1_16block_id_wrapperIjLb1EEEEE10hipError_tT1_PNSt15iterator_traitsISG_E10value_typeET2_T3_PNSH_ISM_E10value_typeET4_T5_PSR_SS_PNS1_23onesweep_lookback_stateEbbT6_jjT7_P12ihipStream_tbENKUlT_T0_SG_SL_E_clIS9_SA_SB_SB_EEDaSZ_S10_SG_SL_EUlSZ_E_NS1_11comp_targetILNS1_3genE0ELNS1_11target_archE4294967295ELNS1_3gpuE0ELNS1_3repE0EEENS1_47radix_sort_onesweep_sort_config_static_selectorELNS0_4arch9wavefront6targetE0EEEvSG_, .Lfunc_end466-_ZN7rocprim17ROCPRIM_400000_NS6detail17trampoline_kernelINS0_14default_configENS1_35radix_sort_onesweep_config_selectorIaNS0_10empty_typeEEEZZNS1_29radix_sort_onesweep_iterationIS3_Lb0EPKaPaPS5_SB_mNS0_19identity_decomposerENS1_16block_id_wrapperIjLb1EEEEE10hipError_tT1_PNSt15iterator_traitsISG_E10value_typeET2_T3_PNSH_ISM_E10value_typeET4_T5_PSR_SS_PNS1_23onesweep_lookback_stateEbbT6_jjT7_P12ihipStream_tbENKUlT_T0_SG_SL_E_clIS9_SA_SB_SB_EEDaSZ_S10_SG_SL_EUlSZ_E_NS1_11comp_targetILNS1_3genE0ELNS1_11target_archE4294967295ELNS1_3gpuE0ELNS1_3repE0EEENS1_47radix_sort_onesweep_sort_config_static_selectorELNS0_4arch9wavefront6targetE0EEEvSG_
                                        ; -- End function
	.set _ZN7rocprim17ROCPRIM_400000_NS6detail17trampoline_kernelINS0_14default_configENS1_35radix_sort_onesweep_config_selectorIaNS0_10empty_typeEEEZZNS1_29radix_sort_onesweep_iterationIS3_Lb0EPKaPaPS5_SB_mNS0_19identity_decomposerENS1_16block_id_wrapperIjLb1EEEEE10hipError_tT1_PNSt15iterator_traitsISG_E10value_typeET2_T3_PNSH_ISM_E10value_typeET4_T5_PSR_SS_PNS1_23onesweep_lookback_stateEbbT6_jjT7_P12ihipStream_tbENKUlT_T0_SG_SL_E_clIS9_SA_SB_SB_EEDaSZ_S10_SG_SL_EUlSZ_E_NS1_11comp_targetILNS1_3genE0ELNS1_11target_archE4294967295ELNS1_3gpuE0ELNS1_3repE0EEENS1_47radix_sort_onesweep_sort_config_static_selectorELNS0_4arch9wavefront6targetE0EEEvSG_.num_vgpr, 79
	.set _ZN7rocprim17ROCPRIM_400000_NS6detail17trampoline_kernelINS0_14default_configENS1_35radix_sort_onesweep_config_selectorIaNS0_10empty_typeEEEZZNS1_29radix_sort_onesweep_iterationIS3_Lb0EPKaPaPS5_SB_mNS0_19identity_decomposerENS1_16block_id_wrapperIjLb1EEEEE10hipError_tT1_PNSt15iterator_traitsISG_E10value_typeET2_T3_PNSH_ISM_E10value_typeET4_T5_PSR_SS_PNS1_23onesweep_lookback_stateEbbT6_jjT7_P12ihipStream_tbENKUlT_T0_SG_SL_E_clIS9_SA_SB_SB_EEDaSZ_S10_SG_SL_EUlSZ_E_NS1_11comp_targetILNS1_3genE0ELNS1_11target_archE4294967295ELNS1_3gpuE0ELNS1_3repE0EEENS1_47radix_sort_onesweep_sort_config_static_selectorELNS0_4arch9wavefront6targetE0EEEvSG_.num_agpr, 0
	.set _ZN7rocprim17ROCPRIM_400000_NS6detail17trampoline_kernelINS0_14default_configENS1_35radix_sort_onesweep_config_selectorIaNS0_10empty_typeEEEZZNS1_29radix_sort_onesweep_iterationIS3_Lb0EPKaPaPS5_SB_mNS0_19identity_decomposerENS1_16block_id_wrapperIjLb1EEEEE10hipError_tT1_PNSt15iterator_traitsISG_E10value_typeET2_T3_PNSH_ISM_E10value_typeET4_T5_PSR_SS_PNS1_23onesweep_lookback_stateEbbT6_jjT7_P12ihipStream_tbENKUlT_T0_SG_SL_E_clIS9_SA_SB_SB_EEDaSZ_S10_SG_SL_EUlSZ_E_NS1_11comp_targetILNS1_3genE0ELNS1_11target_archE4294967295ELNS1_3gpuE0ELNS1_3repE0EEENS1_47radix_sort_onesweep_sort_config_static_selectorELNS0_4arch9wavefront6targetE0EEEvSG_.numbered_sgpr, 25
	.set _ZN7rocprim17ROCPRIM_400000_NS6detail17trampoline_kernelINS0_14default_configENS1_35radix_sort_onesweep_config_selectorIaNS0_10empty_typeEEEZZNS1_29radix_sort_onesweep_iterationIS3_Lb0EPKaPaPS5_SB_mNS0_19identity_decomposerENS1_16block_id_wrapperIjLb1EEEEE10hipError_tT1_PNSt15iterator_traitsISG_E10value_typeET2_T3_PNSH_ISM_E10value_typeET4_T5_PSR_SS_PNS1_23onesweep_lookback_stateEbbT6_jjT7_P12ihipStream_tbENKUlT_T0_SG_SL_E_clIS9_SA_SB_SB_EEDaSZ_S10_SG_SL_EUlSZ_E_NS1_11comp_targetILNS1_3genE0ELNS1_11target_archE4294967295ELNS1_3gpuE0ELNS1_3repE0EEENS1_47radix_sort_onesweep_sort_config_static_selectorELNS0_4arch9wavefront6targetE0EEEvSG_.num_named_barrier, 0
	.set _ZN7rocprim17ROCPRIM_400000_NS6detail17trampoline_kernelINS0_14default_configENS1_35radix_sort_onesweep_config_selectorIaNS0_10empty_typeEEEZZNS1_29radix_sort_onesweep_iterationIS3_Lb0EPKaPaPS5_SB_mNS0_19identity_decomposerENS1_16block_id_wrapperIjLb1EEEEE10hipError_tT1_PNSt15iterator_traitsISG_E10value_typeET2_T3_PNSH_ISM_E10value_typeET4_T5_PSR_SS_PNS1_23onesweep_lookback_stateEbbT6_jjT7_P12ihipStream_tbENKUlT_T0_SG_SL_E_clIS9_SA_SB_SB_EEDaSZ_S10_SG_SL_EUlSZ_E_NS1_11comp_targetILNS1_3genE0ELNS1_11target_archE4294967295ELNS1_3gpuE0ELNS1_3repE0EEENS1_47radix_sort_onesweep_sort_config_static_selectorELNS0_4arch9wavefront6targetE0EEEvSG_.private_seg_size, 0
	.set _ZN7rocprim17ROCPRIM_400000_NS6detail17trampoline_kernelINS0_14default_configENS1_35radix_sort_onesweep_config_selectorIaNS0_10empty_typeEEEZZNS1_29radix_sort_onesweep_iterationIS3_Lb0EPKaPaPS5_SB_mNS0_19identity_decomposerENS1_16block_id_wrapperIjLb1EEEEE10hipError_tT1_PNSt15iterator_traitsISG_E10value_typeET2_T3_PNSH_ISM_E10value_typeET4_T5_PSR_SS_PNS1_23onesweep_lookback_stateEbbT6_jjT7_P12ihipStream_tbENKUlT_T0_SG_SL_E_clIS9_SA_SB_SB_EEDaSZ_S10_SG_SL_EUlSZ_E_NS1_11comp_targetILNS1_3genE0ELNS1_11target_archE4294967295ELNS1_3gpuE0ELNS1_3repE0EEENS1_47radix_sort_onesweep_sort_config_static_selectorELNS0_4arch9wavefront6targetE0EEEvSG_.uses_vcc, 1
	.set _ZN7rocprim17ROCPRIM_400000_NS6detail17trampoline_kernelINS0_14default_configENS1_35radix_sort_onesweep_config_selectorIaNS0_10empty_typeEEEZZNS1_29radix_sort_onesweep_iterationIS3_Lb0EPKaPaPS5_SB_mNS0_19identity_decomposerENS1_16block_id_wrapperIjLb1EEEEE10hipError_tT1_PNSt15iterator_traitsISG_E10value_typeET2_T3_PNSH_ISM_E10value_typeET4_T5_PSR_SS_PNS1_23onesweep_lookback_stateEbbT6_jjT7_P12ihipStream_tbENKUlT_T0_SG_SL_E_clIS9_SA_SB_SB_EEDaSZ_S10_SG_SL_EUlSZ_E_NS1_11comp_targetILNS1_3genE0ELNS1_11target_archE4294967295ELNS1_3gpuE0ELNS1_3repE0EEENS1_47radix_sort_onesweep_sort_config_static_selectorELNS0_4arch9wavefront6targetE0EEEvSG_.uses_flat_scratch, 0
	.set _ZN7rocprim17ROCPRIM_400000_NS6detail17trampoline_kernelINS0_14default_configENS1_35radix_sort_onesweep_config_selectorIaNS0_10empty_typeEEEZZNS1_29radix_sort_onesweep_iterationIS3_Lb0EPKaPaPS5_SB_mNS0_19identity_decomposerENS1_16block_id_wrapperIjLb1EEEEE10hipError_tT1_PNSt15iterator_traitsISG_E10value_typeET2_T3_PNSH_ISM_E10value_typeET4_T5_PSR_SS_PNS1_23onesweep_lookback_stateEbbT6_jjT7_P12ihipStream_tbENKUlT_T0_SG_SL_E_clIS9_SA_SB_SB_EEDaSZ_S10_SG_SL_EUlSZ_E_NS1_11comp_targetILNS1_3genE0ELNS1_11target_archE4294967295ELNS1_3gpuE0ELNS1_3repE0EEENS1_47radix_sort_onesweep_sort_config_static_selectorELNS0_4arch9wavefront6targetE0EEEvSG_.has_dyn_sized_stack, 0
	.set _ZN7rocprim17ROCPRIM_400000_NS6detail17trampoline_kernelINS0_14default_configENS1_35radix_sort_onesweep_config_selectorIaNS0_10empty_typeEEEZZNS1_29radix_sort_onesweep_iterationIS3_Lb0EPKaPaPS5_SB_mNS0_19identity_decomposerENS1_16block_id_wrapperIjLb1EEEEE10hipError_tT1_PNSt15iterator_traitsISG_E10value_typeET2_T3_PNSH_ISM_E10value_typeET4_T5_PSR_SS_PNS1_23onesweep_lookback_stateEbbT6_jjT7_P12ihipStream_tbENKUlT_T0_SG_SL_E_clIS9_SA_SB_SB_EEDaSZ_S10_SG_SL_EUlSZ_E_NS1_11comp_targetILNS1_3genE0ELNS1_11target_archE4294967295ELNS1_3gpuE0ELNS1_3repE0EEENS1_47radix_sort_onesweep_sort_config_static_selectorELNS0_4arch9wavefront6targetE0EEEvSG_.has_recursion, 0
	.set _ZN7rocprim17ROCPRIM_400000_NS6detail17trampoline_kernelINS0_14default_configENS1_35radix_sort_onesweep_config_selectorIaNS0_10empty_typeEEEZZNS1_29radix_sort_onesweep_iterationIS3_Lb0EPKaPaPS5_SB_mNS0_19identity_decomposerENS1_16block_id_wrapperIjLb1EEEEE10hipError_tT1_PNSt15iterator_traitsISG_E10value_typeET2_T3_PNSH_ISM_E10value_typeET4_T5_PSR_SS_PNS1_23onesweep_lookback_stateEbbT6_jjT7_P12ihipStream_tbENKUlT_T0_SG_SL_E_clIS9_SA_SB_SB_EEDaSZ_S10_SG_SL_EUlSZ_E_NS1_11comp_targetILNS1_3genE0ELNS1_11target_archE4294967295ELNS1_3gpuE0ELNS1_3repE0EEENS1_47radix_sort_onesweep_sort_config_static_selectorELNS0_4arch9wavefront6targetE0EEEvSG_.has_indirect_call, 0
	.section	.AMDGPU.csdata,"",@progbits
; Kernel info:
; codeLenInByte = 14888
; TotalNumSgprs: 27
; NumVgprs: 79
; ScratchSize: 0
; MemoryBound: 0
; FloatMode: 240
; IeeeMode: 1
; LDSByteSize: 32904 bytes/workgroup (compile time only)
; SGPRBlocks: 0
; VGPRBlocks: 4
; NumSGPRsForWavesPerEU: 27
; NumVGPRsForWavesPerEU: 79
; NamedBarCnt: 0
; Occupancy: 12
; WaveLimiterHint : 0
; COMPUTE_PGM_RSRC2:SCRATCH_EN: 0
; COMPUTE_PGM_RSRC2:USER_SGPR: 2
; COMPUTE_PGM_RSRC2:TRAP_HANDLER: 0
; COMPUTE_PGM_RSRC2:TGID_X_EN: 1
; COMPUTE_PGM_RSRC2:TGID_Y_EN: 0
; COMPUTE_PGM_RSRC2:TGID_Z_EN: 0
; COMPUTE_PGM_RSRC2:TIDIG_COMP_CNT: 0
	.section	.text._ZN7rocprim17ROCPRIM_400000_NS6detail17trampoline_kernelINS0_14default_configENS1_35radix_sort_onesweep_config_selectorIaNS0_10empty_typeEEEZZNS1_29radix_sort_onesweep_iterationIS3_Lb0EPKaPaPS5_SB_mNS0_19identity_decomposerENS1_16block_id_wrapperIjLb1EEEEE10hipError_tT1_PNSt15iterator_traitsISG_E10value_typeET2_T3_PNSH_ISM_E10value_typeET4_T5_PSR_SS_PNS1_23onesweep_lookback_stateEbbT6_jjT7_P12ihipStream_tbENKUlT_T0_SG_SL_E_clIS9_SA_SB_SB_EEDaSZ_S10_SG_SL_EUlSZ_E_NS1_11comp_targetILNS1_3genE6ELNS1_11target_archE950ELNS1_3gpuE13ELNS1_3repE0EEENS1_47radix_sort_onesweep_sort_config_static_selectorELNS0_4arch9wavefront6targetE0EEEvSG_,"axG",@progbits,_ZN7rocprim17ROCPRIM_400000_NS6detail17trampoline_kernelINS0_14default_configENS1_35radix_sort_onesweep_config_selectorIaNS0_10empty_typeEEEZZNS1_29radix_sort_onesweep_iterationIS3_Lb0EPKaPaPS5_SB_mNS0_19identity_decomposerENS1_16block_id_wrapperIjLb1EEEEE10hipError_tT1_PNSt15iterator_traitsISG_E10value_typeET2_T3_PNSH_ISM_E10value_typeET4_T5_PSR_SS_PNS1_23onesweep_lookback_stateEbbT6_jjT7_P12ihipStream_tbENKUlT_T0_SG_SL_E_clIS9_SA_SB_SB_EEDaSZ_S10_SG_SL_EUlSZ_E_NS1_11comp_targetILNS1_3genE6ELNS1_11target_archE950ELNS1_3gpuE13ELNS1_3repE0EEENS1_47radix_sort_onesweep_sort_config_static_selectorELNS0_4arch9wavefront6targetE0EEEvSG_,comdat
	.protected	_ZN7rocprim17ROCPRIM_400000_NS6detail17trampoline_kernelINS0_14default_configENS1_35radix_sort_onesweep_config_selectorIaNS0_10empty_typeEEEZZNS1_29radix_sort_onesweep_iterationIS3_Lb0EPKaPaPS5_SB_mNS0_19identity_decomposerENS1_16block_id_wrapperIjLb1EEEEE10hipError_tT1_PNSt15iterator_traitsISG_E10value_typeET2_T3_PNSH_ISM_E10value_typeET4_T5_PSR_SS_PNS1_23onesweep_lookback_stateEbbT6_jjT7_P12ihipStream_tbENKUlT_T0_SG_SL_E_clIS9_SA_SB_SB_EEDaSZ_S10_SG_SL_EUlSZ_E_NS1_11comp_targetILNS1_3genE6ELNS1_11target_archE950ELNS1_3gpuE13ELNS1_3repE0EEENS1_47radix_sort_onesweep_sort_config_static_selectorELNS0_4arch9wavefront6targetE0EEEvSG_ ; -- Begin function _ZN7rocprim17ROCPRIM_400000_NS6detail17trampoline_kernelINS0_14default_configENS1_35radix_sort_onesweep_config_selectorIaNS0_10empty_typeEEEZZNS1_29radix_sort_onesweep_iterationIS3_Lb0EPKaPaPS5_SB_mNS0_19identity_decomposerENS1_16block_id_wrapperIjLb1EEEEE10hipError_tT1_PNSt15iterator_traitsISG_E10value_typeET2_T3_PNSH_ISM_E10value_typeET4_T5_PSR_SS_PNS1_23onesweep_lookback_stateEbbT6_jjT7_P12ihipStream_tbENKUlT_T0_SG_SL_E_clIS9_SA_SB_SB_EEDaSZ_S10_SG_SL_EUlSZ_E_NS1_11comp_targetILNS1_3genE6ELNS1_11target_archE950ELNS1_3gpuE13ELNS1_3repE0EEENS1_47radix_sort_onesweep_sort_config_static_selectorELNS0_4arch9wavefront6targetE0EEEvSG_
	.globl	_ZN7rocprim17ROCPRIM_400000_NS6detail17trampoline_kernelINS0_14default_configENS1_35radix_sort_onesweep_config_selectorIaNS0_10empty_typeEEEZZNS1_29radix_sort_onesweep_iterationIS3_Lb0EPKaPaPS5_SB_mNS0_19identity_decomposerENS1_16block_id_wrapperIjLb1EEEEE10hipError_tT1_PNSt15iterator_traitsISG_E10value_typeET2_T3_PNSH_ISM_E10value_typeET4_T5_PSR_SS_PNS1_23onesweep_lookback_stateEbbT6_jjT7_P12ihipStream_tbENKUlT_T0_SG_SL_E_clIS9_SA_SB_SB_EEDaSZ_S10_SG_SL_EUlSZ_E_NS1_11comp_targetILNS1_3genE6ELNS1_11target_archE950ELNS1_3gpuE13ELNS1_3repE0EEENS1_47radix_sort_onesweep_sort_config_static_selectorELNS0_4arch9wavefront6targetE0EEEvSG_
	.p2align	8
	.type	_ZN7rocprim17ROCPRIM_400000_NS6detail17trampoline_kernelINS0_14default_configENS1_35radix_sort_onesweep_config_selectorIaNS0_10empty_typeEEEZZNS1_29radix_sort_onesweep_iterationIS3_Lb0EPKaPaPS5_SB_mNS0_19identity_decomposerENS1_16block_id_wrapperIjLb1EEEEE10hipError_tT1_PNSt15iterator_traitsISG_E10value_typeET2_T3_PNSH_ISM_E10value_typeET4_T5_PSR_SS_PNS1_23onesweep_lookback_stateEbbT6_jjT7_P12ihipStream_tbENKUlT_T0_SG_SL_E_clIS9_SA_SB_SB_EEDaSZ_S10_SG_SL_EUlSZ_E_NS1_11comp_targetILNS1_3genE6ELNS1_11target_archE950ELNS1_3gpuE13ELNS1_3repE0EEENS1_47radix_sort_onesweep_sort_config_static_selectorELNS0_4arch9wavefront6targetE0EEEvSG_,@function
_ZN7rocprim17ROCPRIM_400000_NS6detail17trampoline_kernelINS0_14default_configENS1_35radix_sort_onesweep_config_selectorIaNS0_10empty_typeEEEZZNS1_29radix_sort_onesweep_iterationIS3_Lb0EPKaPaPS5_SB_mNS0_19identity_decomposerENS1_16block_id_wrapperIjLb1EEEEE10hipError_tT1_PNSt15iterator_traitsISG_E10value_typeET2_T3_PNSH_ISM_E10value_typeET4_T5_PSR_SS_PNS1_23onesweep_lookback_stateEbbT6_jjT7_P12ihipStream_tbENKUlT_T0_SG_SL_E_clIS9_SA_SB_SB_EEDaSZ_S10_SG_SL_EUlSZ_E_NS1_11comp_targetILNS1_3genE6ELNS1_11target_archE950ELNS1_3gpuE13ELNS1_3repE0EEENS1_47radix_sort_onesweep_sort_config_static_selectorELNS0_4arch9wavefront6targetE0EEEvSG_: ; @_ZN7rocprim17ROCPRIM_400000_NS6detail17trampoline_kernelINS0_14default_configENS1_35radix_sort_onesweep_config_selectorIaNS0_10empty_typeEEEZZNS1_29radix_sort_onesweep_iterationIS3_Lb0EPKaPaPS5_SB_mNS0_19identity_decomposerENS1_16block_id_wrapperIjLb1EEEEE10hipError_tT1_PNSt15iterator_traitsISG_E10value_typeET2_T3_PNSH_ISM_E10value_typeET4_T5_PSR_SS_PNS1_23onesweep_lookback_stateEbbT6_jjT7_P12ihipStream_tbENKUlT_T0_SG_SL_E_clIS9_SA_SB_SB_EEDaSZ_S10_SG_SL_EUlSZ_E_NS1_11comp_targetILNS1_3genE6ELNS1_11target_archE950ELNS1_3gpuE13ELNS1_3repE0EEENS1_47radix_sort_onesweep_sort_config_static_selectorELNS0_4arch9wavefront6targetE0EEEvSG_
; %bb.0:
	.section	.rodata,"a",@progbits
	.p2align	6, 0x0
	.amdhsa_kernel _ZN7rocprim17ROCPRIM_400000_NS6detail17trampoline_kernelINS0_14default_configENS1_35radix_sort_onesweep_config_selectorIaNS0_10empty_typeEEEZZNS1_29radix_sort_onesweep_iterationIS3_Lb0EPKaPaPS5_SB_mNS0_19identity_decomposerENS1_16block_id_wrapperIjLb1EEEEE10hipError_tT1_PNSt15iterator_traitsISG_E10value_typeET2_T3_PNSH_ISM_E10value_typeET4_T5_PSR_SS_PNS1_23onesweep_lookback_stateEbbT6_jjT7_P12ihipStream_tbENKUlT_T0_SG_SL_E_clIS9_SA_SB_SB_EEDaSZ_S10_SG_SL_EUlSZ_E_NS1_11comp_targetILNS1_3genE6ELNS1_11target_archE950ELNS1_3gpuE13ELNS1_3repE0EEENS1_47radix_sort_onesweep_sort_config_static_selectorELNS0_4arch9wavefront6targetE0EEEvSG_
		.amdhsa_group_segment_fixed_size 0
		.amdhsa_private_segment_fixed_size 0
		.amdhsa_kernarg_size 88
		.amdhsa_user_sgpr_count 2
		.amdhsa_user_sgpr_dispatch_ptr 0
		.amdhsa_user_sgpr_queue_ptr 0
		.amdhsa_user_sgpr_kernarg_segment_ptr 1
		.amdhsa_user_sgpr_dispatch_id 0
		.amdhsa_user_sgpr_kernarg_preload_length 0
		.amdhsa_user_sgpr_kernarg_preload_offset 0
		.amdhsa_user_sgpr_private_segment_size 0
		.amdhsa_wavefront_size32 1
		.amdhsa_uses_dynamic_stack 0
		.amdhsa_enable_private_segment 0
		.amdhsa_system_sgpr_workgroup_id_x 1
		.amdhsa_system_sgpr_workgroup_id_y 0
		.amdhsa_system_sgpr_workgroup_id_z 0
		.amdhsa_system_sgpr_workgroup_info 0
		.amdhsa_system_vgpr_workitem_id 0
		.amdhsa_next_free_vgpr 1
		.amdhsa_next_free_sgpr 1
		.amdhsa_named_barrier_count 0
		.amdhsa_reserve_vcc 0
		.amdhsa_float_round_mode_32 0
		.amdhsa_float_round_mode_16_64 0
		.amdhsa_float_denorm_mode_32 3
		.amdhsa_float_denorm_mode_16_64 3
		.amdhsa_fp16_overflow 0
		.amdhsa_memory_ordered 1
		.amdhsa_forward_progress 1
		.amdhsa_inst_pref_size 0
		.amdhsa_round_robin_scheduling 0
		.amdhsa_exception_fp_ieee_invalid_op 0
		.amdhsa_exception_fp_denorm_src 0
		.amdhsa_exception_fp_ieee_div_zero 0
		.amdhsa_exception_fp_ieee_overflow 0
		.amdhsa_exception_fp_ieee_underflow 0
		.amdhsa_exception_fp_ieee_inexact 0
		.amdhsa_exception_int_div_zero 0
	.end_amdhsa_kernel
	.section	.text._ZN7rocprim17ROCPRIM_400000_NS6detail17trampoline_kernelINS0_14default_configENS1_35radix_sort_onesweep_config_selectorIaNS0_10empty_typeEEEZZNS1_29radix_sort_onesweep_iterationIS3_Lb0EPKaPaPS5_SB_mNS0_19identity_decomposerENS1_16block_id_wrapperIjLb1EEEEE10hipError_tT1_PNSt15iterator_traitsISG_E10value_typeET2_T3_PNSH_ISM_E10value_typeET4_T5_PSR_SS_PNS1_23onesweep_lookback_stateEbbT6_jjT7_P12ihipStream_tbENKUlT_T0_SG_SL_E_clIS9_SA_SB_SB_EEDaSZ_S10_SG_SL_EUlSZ_E_NS1_11comp_targetILNS1_3genE6ELNS1_11target_archE950ELNS1_3gpuE13ELNS1_3repE0EEENS1_47radix_sort_onesweep_sort_config_static_selectorELNS0_4arch9wavefront6targetE0EEEvSG_,"axG",@progbits,_ZN7rocprim17ROCPRIM_400000_NS6detail17trampoline_kernelINS0_14default_configENS1_35radix_sort_onesweep_config_selectorIaNS0_10empty_typeEEEZZNS1_29radix_sort_onesweep_iterationIS3_Lb0EPKaPaPS5_SB_mNS0_19identity_decomposerENS1_16block_id_wrapperIjLb1EEEEE10hipError_tT1_PNSt15iterator_traitsISG_E10value_typeET2_T3_PNSH_ISM_E10value_typeET4_T5_PSR_SS_PNS1_23onesweep_lookback_stateEbbT6_jjT7_P12ihipStream_tbENKUlT_T0_SG_SL_E_clIS9_SA_SB_SB_EEDaSZ_S10_SG_SL_EUlSZ_E_NS1_11comp_targetILNS1_3genE6ELNS1_11target_archE950ELNS1_3gpuE13ELNS1_3repE0EEENS1_47radix_sort_onesweep_sort_config_static_selectorELNS0_4arch9wavefront6targetE0EEEvSG_,comdat
.Lfunc_end467:
	.size	_ZN7rocprim17ROCPRIM_400000_NS6detail17trampoline_kernelINS0_14default_configENS1_35radix_sort_onesweep_config_selectorIaNS0_10empty_typeEEEZZNS1_29radix_sort_onesweep_iterationIS3_Lb0EPKaPaPS5_SB_mNS0_19identity_decomposerENS1_16block_id_wrapperIjLb1EEEEE10hipError_tT1_PNSt15iterator_traitsISG_E10value_typeET2_T3_PNSH_ISM_E10value_typeET4_T5_PSR_SS_PNS1_23onesweep_lookback_stateEbbT6_jjT7_P12ihipStream_tbENKUlT_T0_SG_SL_E_clIS9_SA_SB_SB_EEDaSZ_S10_SG_SL_EUlSZ_E_NS1_11comp_targetILNS1_3genE6ELNS1_11target_archE950ELNS1_3gpuE13ELNS1_3repE0EEENS1_47radix_sort_onesweep_sort_config_static_selectorELNS0_4arch9wavefront6targetE0EEEvSG_, .Lfunc_end467-_ZN7rocprim17ROCPRIM_400000_NS6detail17trampoline_kernelINS0_14default_configENS1_35radix_sort_onesweep_config_selectorIaNS0_10empty_typeEEEZZNS1_29radix_sort_onesweep_iterationIS3_Lb0EPKaPaPS5_SB_mNS0_19identity_decomposerENS1_16block_id_wrapperIjLb1EEEEE10hipError_tT1_PNSt15iterator_traitsISG_E10value_typeET2_T3_PNSH_ISM_E10value_typeET4_T5_PSR_SS_PNS1_23onesweep_lookback_stateEbbT6_jjT7_P12ihipStream_tbENKUlT_T0_SG_SL_E_clIS9_SA_SB_SB_EEDaSZ_S10_SG_SL_EUlSZ_E_NS1_11comp_targetILNS1_3genE6ELNS1_11target_archE950ELNS1_3gpuE13ELNS1_3repE0EEENS1_47radix_sort_onesweep_sort_config_static_selectorELNS0_4arch9wavefront6targetE0EEEvSG_
                                        ; -- End function
	.set _ZN7rocprim17ROCPRIM_400000_NS6detail17trampoline_kernelINS0_14default_configENS1_35radix_sort_onesweep_config_selectorIaNS0_10empty_typeEEEZZNS1_29radix_sort_onesweep_iterationIS3_Lb0EPKaPaPS5_SB_mNS0_19identity_decomposerENS1_16block_id_wrapperIjLb1EEEEE10hipError_tT1_PNSt15iterator_traitsISG_E10value_typeET2_T3_PNSH_ISM_E10value_typeET4_T5_PSR_SS_PNS1_23onesweep_lookback_stateEbbT6_jjT7_P12ihipStream_tbENKUlT_T0_SG_SL_E_clIS9_SA_SB_SB_EEDaSZ_S10_SG_SL_EUlSZ_E_NS1_11comp_targetILNS1_3genE6ELNS1_11target_archE950ELNS1_3gpuE13ELNS1_3repE0EEENS1_47radix_sort_onesweep_sort_config_static_selectorELNS0_4arch9wavefront6targetE0EEEvSG_.num_vgpr, 0
	.set _ZN7rocprim17ROCPRIM_400000_NS6detail17trampoline_kernelINS0_14default_configENS1_35radix_sort_onesweep_config_selectorIaNS0_10empty_typeEEEZZNS1_29radix_sort_onesweep_iterationIS3_Lb0EPKaPaPS5_SB_mNS0_19identity_decomposerENS1_16block_id_wrapperIjLb1EEEEE10hipError_tT1_PNSt15iterator_traitsISG_E10value_typeET2_T3_PNSH_ISM_E10value_typeET4_T5_PSR_SS_PNS1_23onesweep_lookback_stateEbbT6_jjT7_P12ihipStream_tbENKUlT_T0_SG_SL_E_clIS9_SA_SB_SB_EEDaSZ_S10_SG_SL_EUlSZ_E_NS1_11comp_targetILNS1_3genE6ELNS1_11target_archE950ELNS1_3gpuE13ELNS1_3repE0EEENS1_47radix_sort_onesweep_sort_config_static_selectorELNS0_4arch9wavefront6targetE0EEEvSG_.num_agpr, 0
	.set _ZN7rocprim17ROCPRIM_400000_NS6detail17trampoline_kernelINS0_14default_configENS1_35radix_sort_onesweep_config_selectorIaNS0_10empty_typeEEEZZNS1_29radix_sort_onesweep_iterationIS3_Lb0EPKaPaPS5_SB_mNS0_19identity_decomposerENS1_16block_id_wrapperIjLb1EEEEE10hipError_tT1_PNSt15iterator_traitsISG_E10value_typeET2_T3_PNSH_ISM_E10value_typeET4_T5_PSR_SS_PNS1_23onesweep_lookback_stateEbbT6_jjT7_P12ihipStream_tbENKUlT_T0_SG_SL_E_clIS9_SA_SB_SB_EEDaSZ_S10_SG_SL_EUlSZ_E_NS1_11comp_targetILNS1_3genE6ELNS1_11target_archE950ELNS1_3gpuE13ELNS1_3repE0EEENS1_47radix_sort_onesweep_sort_config_static_selectorELNS0_4arch9wavefront6targetE0EEEvSG_.numbered_sgpr, 0
	.set _ZN7rocprim17ROCPRIM_400000_NS6detail17trampoline_kernelINS0_14default_configENS1_35radix_sort_onesweep_config_selectorIaNS0_10empty_typeEEEZZNS1_29radix_sort_onesweep_iterationIS3_Lb0EPKaPaPS5_SB_mNS0_19identity_decomposerENS1_16block_id_wrapperIjLb1EEEEE10hipError_tT1_PNSt15iterator_traitsISG_E10value_typeET2_T3_PNSH_ISM_E10value_typeET4_T5_PSR_SS_PNS1_23onesweep_lookback_stateEbbT6_jjT7_P12ihipStream_tbENKUlT_T0_SG_SL_E_clIS9_SA_SB_SB_EEDaSZ_S10_SG_SL_EUlSZ_E_NS1_11comp_targetILNS1_3genE6ELNS1_11target_archE950ELNS1_3gpuE13ELNS1_3repE0EEENS1_47radix_sort_onesweep_sort_config_static_selectorELNS0_4arch9wavefront6targetE0EEEvSG_.num_named_barrier, 0
	.set _ZN7rocprim17ROCPRIM_400000_NS6detail17trampoline_kernelINS0_14default_configENS1_35radix_sort_onesweep_config_selectorIaNS0_10empty_typeEEEZZNS1_29radix_sort_onesweep_iterationIS3_Lb0EPKaPaPS5_SB_mNS0_19identity_decomposerENS1_16block_id_wrapperIjLb1EEEEE10hipError_tT1_PNSt15iterator_traitsISG_E10value_typeET2_T3_PNSH_ISM_E10value_typeET4_T5_PSR_SS_PNS1_23onesweep_lookback_stateEbbT6_jjT7_P12ihipStream_tbENKUlT_T0_SG_SL_E_clIS9_SA_SB_SB_EEDaSZ_S10_SG_SL_EUlSZ_E_NS1_11comp_targetILNS1_3genE6ELNS1_11target_archE950ELNS1_3gpuE13ELNS1_3repE0EEENS1_47radix_sort_onesweep_sort_config_static_selectorELNS0_4arch9wavefront6targetE0EEEvSG_.private_seg_size, 0
	.set _ZN7rocprim17ROCPRIM_400000_NS6detail17trampoline_kernelINS0_14default_configENS1_35radix_sort_onesweep_config_selectorIaNS0_10empty_typeEEEZZNS1_29radix_sort_onesweep_iterationIS3_Lb0EPKaPaPS5_SB_mNS0_19identity_decomposerENS1_16block_id_wrapperIjLb1EEEEE10hipError_tT1_PNSt15iterator_traitsISG_E10value_typeET2_T3_PNSH_ISM_E10value_typeET4_T5_PSR_SS_PNS1_23onesweep_lookback_stateEbbT6_jjT7_P12ihipStream_tbENKUlT_T0_SG_SL_E_clIS9_SA_SB_SB_EEDaSZ_S10_SG_SL_EUlSZ_E_NS1_11comp_targetILNS1_3genE6ELNS1_11target_archE950ELNS1_3gpuE13ELNS1_3repE0EEENS1_47radix_sort_onesweep_sort_config_static_selectorELNS0_4arch9wavefront6targetE0EEEvSG_.uses_vcc, 0
	.set _ZN7rocprim17ROCPRIM_400000_NS6detail17trampoline_kernelINS0_14default_configENS1_35radix_sort_onesweep_config_selectorIaNS0_10empty_typeEEEZZNS1_29radix_sort_onesweep_iterationIS3_Lb0EPKaPaPS5_SB_mNS0_19identity_decomposerENS1_16block_id_wrapperIjLb1EEEEE10hipError_tT1_PNSt15iterator_traitsISG_E10value_typeET2_T3_PNSH_ISM_E10value_typeET4_T5_PSR_SS_PNS1_23onesweep_lookback_stateEbbT6_jjT7_P12ihipStream_tbENKUlT_T0_SG_SL_E_clIS9_SA_SB_SB_EEDaSZ_S10_SG_SL_EUlSZ_E_NS1_11comp_targetILNS1_3genE6ELNS1_11target_archE950ELNS1_3gpuE13ELNS1_3repE0EEENS1_47radix_sort_onesweep_sort_config_static_selectorELNS0_4arch9wavefront6targetE0EEEvSG_.uses_flat_scratch, 0
	.set _ZN7rocprim17ROCPRIM_400000_NS6detail17trampoline_kernelINS0_14default_configENS1_35radix_sort_onesweep_config_selectorIaNS0_10empty_typeEEEZZNS1_29radix_sort_onesweep_iterationIS3_Lb0EPKaPaPS5_SB_mNS0_19identity_decomposerENS1_16block_id_wrapperIjLb1EEEEE10hipError_tT1_PNSt15iterator_traitsISG_E10value_typeET2_T3_PNSH_ISM_E10value_typeET4_T5_PSR_SS_PNS1_23onesweep_lookback_stateEbbT6_jjT7_P12ihipStream_tbENKUlT_T0_SG_SL_E_clIS9_SA_SB_SB_EEDaSZ_S10_SG_SL_EUlSZ_E_NS1_11comp_targetILNS1_3genE6ELNS1_11target_archE950ELNS1_3gpuE13ELNS1_3repE0EEENS1_47radix_sort_onesweep_sort_config_static_selectorELNS0_4arch9wavefront6targetE0EEEvSG_.has_dyn_sized_stack, 0
	.set _ZN7rocprim17ROCPRIM_400000_NS6detail17trampoline_kernelINS0_14default_configENS1_35radix_sort_onesweep_config_selectorIaNS0_10empty_typeEEEZZNS1_29radix_sort_onesweep_iterationIS3_Lb0EPKaPaPS5_SB_mNS0_19identity_decomposerENS1_16block_id_wrapperIjLb1EEEEE10hipError_tT1_PNSt15iterator_traitsISG_E10value_typeET2_T3_PNSH_ISM_E10value_typeET4_T5_PSR_SS_PNS1_23onesweep_lookback_stateEbbT6_jjT7_P12ihipStream_tbENKUlT_T0_SG_SL_E_clIS9_SA_SB_SB_EEDaSZ_S10_SG_SL_EUlSZ_E_NS1_11comp_targetILNS1_3genE6ELNS1_11target_archE950ELNS1_3gpuE13ELNS1_3repE0EEENS1_47radix_sort_onesweep_sort_config_static_selectorELNS0_4arch9wavefront6targetE0EEEvSG_.has_recursion, 0
	.set _ZN7rocprim17ROCPRIM_400000_NS6detail17trampoline_kernelINS0_14default_configENS1_35radix_sort_onesweep_config_selectorIaNS0_10empty_typeEEEZZNS1_29radix_sort_onesweep_iterationIS3_Lb0EPKaPaPS5_SB_mNS0_19identity_decomposerENS1_16block_id_wrapperIjLb1EEEEE10hipError_tT1_PNSt15iterator_traitsISG_E10value_typeET2_T3_PNSH_ISM_E10value_typeET4_T5_PSR_SS_PNS1_23onesweep_lookback_stateEbbT6_jjT7_P12ihipStream_tbENKUlT_T0_SG_SL_E_clIS9_SA_SB_SB_EEDaSZ_S10_SG_SL_EUlSZ_E_NS1_11comp_targetILNS1_3genE6ELNS1_11target_archE950ELNS1_3gpuE13ELNS1_3repE0EEENS1_47radix_sort_onesweep_sort_config_static_selectorELNS0_4arch9wavefront6targetE0EEEvSG_.has_indirect_call, 0
	.section	.AMDGPU.csdata,"",@progbits
; Kernel info:
; codeLenInByte = 0
; TotalNumSgprs: 0
; NumVgprs: 0
; ScratchSize: 0
; MemoryBound: 0
; FloatMode: 240
; IeeeMode: 1
; LDSByteSize: 0 bytes/workgroup (compile time only)
; SGPRBlocks: 0
; VGPRBlocks: 0
; NumSGPRsForWavesPerEU: 1
; NumVGPRsForWavesPerEU: 1
; NamedBarCnt: 0
; Occupancy: 16
; WaveLimiterHint : 0
; COMPUTE_PGM_RSRC2:SCRATCH_EN: 0
; COMPUTE_PGM_RSRC2:USER_SGPR: 2
; COMPUTE_PGM_RSRC2:TRAP_HANDLER: 0
; COMPUTE_PGM_RSRC2:TGID_X_EN: 1
; COMPUTE_PGM_RSRC2:TGID_Y_EN: 0
; COMPUTE_PGM_RSRC2:TGID_Z_EN: 0
; COMPUTE_PGM_RSRC2:TIDIG_COMP_CNT: 0
	.section	.text._ZN7rocprim17ROCPRIM_400000_NS6detail17trampoline_kernelINS0_14default_configENS1_35radix_sort_onesweep_config_selectorIaNS0_10empty_typeEEEZZNS1_29radix_sort_onesweep_iterationIS3_Lb0EPKaPaPS5_SB_mNS0_19identity_decomposerENS1_16block_id_wrapperIjLb1EEEEE10hipError_tT1_PNSt15iterator_traitsISG_E10value_typeET2_T3_PNSH_ISM_E10value_typeET4_T5_PSR_SS_PNS1_23onesweep_lookback_stateEbbT6_jjT7_P12ihipStream_tbENKUlT_T0_SG_SL_E_clIS9_SA_SB_SB_EEDaSZ_S10_SG_SL_EUlSZ_E_NS1_11comp_targetILNS1_3genE5ELNS1_11target_archE942ELNS1_3gpuE9ELNS1_3repE0EEENS1_47radix_sort_onesweep_sort_config_static_selectorELNS0_4arch9wavefront6targetE0EEEvSG_,"axG",@progbits,_ZN7rocprim17ROCPRIM_400000_NS6detail17trampoline_kernelINS0_14default_configENS1_35radix_sort_onesweep_config_selectorIaNS0_10empty_typeEEEZZNS1_29radix_sort_onesweep_iterationIS3_Lb0EPKaPaPS5_SB_mNS0_19identity_decomposerENS1_16block_id_wrapperIjLb1EEEEE10hipError_tT1_PNSt15iterator_traitsISG_E10value_typeET2_T3_PNSH_ISM_E10value_typeET4_T5_PSR_SS_PNS1_23onesweep_lookback_stateEbbT6_jjT7_P12ihipStream_tbENKUlT_T0_SG_SL_E_clIS9_SA_SB_SB_EEDaSZ_S10_SG_SL_EUlSZ_E_NS1_11comp_targetILNS1_3genE5ELNS1_11target_archE942ELNS1_3gpuE9ELNS1_3repE0EEENS1_47radix_sort_onesweep_sort_config_static_selectorELNS0_4arch9wavefront6targetE0EEEvSG_,comdat
	.protected	_ZN7rocprim17ROCPRIM_400000_NS6detail17trampoline_kernelINS0_14default_configENS1_35radix_sort_onesweep_config_selectorIaNS0_10empty_typeEEEZZNS1_29radix_sort_onesweep_iterationIS3_Lb0EPKaPaPS5_SB_mNS0_19identity_decomposerENS1_16block_id_wrapperIjLb1EEEEE10hipError_tT1_PNSt15iterator_traitsISG_E10value_typeET2_T3_PNSH_ISM_E10value_typeET4_T5_PSR_SS_PNS1_23onesweep_lookback_stateEbbT6_jjT7_P12ihipStream_tbENKUlT_T0_SG_SL_E_clIS9_SA_SB_SB_EEDaSZ_S10_SG_SL_EUlSZ_E_NS1_11comp_targetILNS1_3genE5ELNS1_11target_archE942ELNS1_3gpuE9ELNS1_3repE0EEENS1_47radix_sort_onesweep_sort_config_static_selectorELNS0_4arch9wavefront6targetE0EEEvSG_ ; -- Begin function _ZN7rocprim17ROCPRIM_400000_NS6detail17trampoline_kernelINS0_14default_configENS1_35radix_sort_onesweep_config_selectorIaNS0_10empty_typeEEEZZNS1_29radix_sort_onesweep_iterationIS3_Lb0EPKaPaPS5_SB_mNS0_19identity_decomposerENS1_16block_id_wrapperIjLb1EEEEE10hipError_tT1_PNSt15iterator_traitsISG_E10value_typeET2_T3_PNSH_ISM_E10value_typeET4_T5_PSR_SS_PNS1_23onesweep_lookback_stateEbbT6_jjT7_P12ihipStream_tbENKUlT_T0_SG_SL_E_clIS9_SA_SB_SB_EEDaSZ_S10_SG_SL_EUlSZ_E_NS1_11comp_targetILNS1_3genE5ELNS1_11target_archE942ELNS1_3gpuE9ELNS1_3repE0EEENS1_47radix_sort_onesweep_sort_config_static_selectorELNS0_4arch9wavefront6targetE0EEEvSG_
	.globl	_ZN7rocprim17ROCPRIM_400000_NS6detail17trampoline_kernelINS0_14default_configENS1_35radix_sort_onesweep_config_selectorIaNS0_10empty_typeEEEZZNS1_29radix_sort_onesweep_iterationIS3_Lb0EPKaPaPS5_SB_mNS0_19identity_decomposerENS1_16block_id_wrapperIjLb1EEEEE10hipError_tT1_PNSt15iterator_traitsISG_E10value_typeET2_T3_PNSH_ISM_E10value_typeET4_T5_PSR_SS_PNS1_23onesweep_lookback_stateEbbT6_jjT7_P12ihipStream_tbENKUlT_T0_SG_SL_E_clIS9_SA_SB_SB_EEDaSZ_S10_SG_SL_EUlSZ_E_NS1_11comp_targetILNS1_3genE5ELNS1_11target_archE942ELNS1_3gpuE9ELNS1_3repE0EEENS1_47radix_sort_onesweep_sort_config_static_selectorELNS0_4arch9wavefront6targetE0EEEvSG_
	.p2align	8
	.type	_ZN7rocprim17ROCPRIM_400000_NS6detail17trampoline_kernelINS0_14default_configENS1_35radix_sort_onesweep_config_selectorIaNS0_10empty_typeEEEZZNS1_29radix_sort_onesweep_iterationIS3_Lb0EPKaPaPS5_SB_mNS0_19identity_decomposerENS1_16block_id_wrapperIjLb1EEEEE10hipError_tT1_PNSt15iterator_traitsISG_E10value_typeET2_T3_PNSH_ISM_E10value_typeET4_T5_PSR_SS_PNS1_23onesweep_lookback_stateEbbT6_jjT7_P12ihipStream_tbENKUlT_T0_SG_SL_E_clIS9_SA_SB_SB_EEDaSZ_S10_SG_SL_EUlSZ_E_NS1_11comp_targetILNS1_3genE5ELNS1_11target_archE942ELNS1_3gpuE9ELNS1_3repE0EEENS1_47radix_sort_onesweep_sort_config_static_selectorELNS0_4arch9wavefront6targetE0EEEvSG_,@function
_ZN7rocprim17ROCPRIM_400000_NS6detail17trampoline_kernelINS0_14default_configENS1_35radix_sort_onesweep_config_selectorIaNS0_10empty_typeEEEZZNS1_29radix_sort_onesweep_iterationIS3_Lb0EPKaPaPS5_SB_mNS0_19identity_decomposerENS1_16block_id_wrapperIjLb1EEEEE10hipError_tT1_PNSt15iterator_traitsISG_E10value_typeET2_T3_PNSH_ISM_E10value_typeET4_T5_PSR_SS_PNS1_23onesweep_lookback_stateEbbT6_jjT7_P12ihipStream_tbENKUlT_T0_SG_SL_E_clIS9_SA_SB_SB_EEDaSZ_S10_SG_SL_EUlSZ_E_NS1_11comp_targetILNS1_3genE5ELNS1_11target_archE942ELNS1_3gpuE9ELNS1_3repE0EEENS1_47radix_sort_onesweep_sort_config_static_selectorELNS0_4arch9wavefront6targetE0EEEvSG_: ; @_ZN7rocprim17ROCPRIM_400000_NS6detail17trampoline_kernelINS0_14default_configENS1_35radix_sort_onesweep_config_selectorIaNS0_10empty_typeEEEZZNS1_29radix_sort_onesweep_iterationIS3_Lb0EPKaPaPS5_SB_mNS0_19identity_decomposerENS1_16block_id_wrapperIjLb1EEEEE10hipError_tT1_PNSt15iterator_traitsISG_E10value_typeET2_T3_PNSH_ISM_E10value_typeET4_T5_PSR_SS_PNS1_23onesweep_lookback_stateEbbT6_jjT7_P12ihipStream_tbENKUlT_T0_SG_SL_E_clIS9_SA_SB_SB_EEDaSZ_S10_SG_SL_EUlSZ_E_NS1_11comp_targetILNS1_3genE5ELNS1_11target_archE942ELNS1_3gpuE9ELNS1_3repE0EEENS1_47radix_sort_onesweep_sort_config_static_selectorELNS0_4arch9wavefront6targetE0EEEvSG_
; %bb.0:
	.section	.rodata,"a",@progbits
	.p2align	6, 0x0
	.amdhsa_kernel _ZN7rocprim17ROCPRIM_400000_NS6detail17trampoline_kernelINS0_14default_configENS1_35radix_sort_onesweep_config_selectorIaNS0_10empty_typeEEEZZNS1_29radix_sort_onesweep_iterationIS3_Lb0EPKaPaPS5_SB_mNS0_19identity_decomposerENS1_16block_id_wrapperIjLb1EEEEE10hipError_tT1_PNSt15iterator_traitsISG_E10value_typeET2_T3_PNSH_ISM_E10value_typeET4_T5_PSR_SS_PNS1_23onesweep_lookback_stateEbbT6_jjT7_P12ihipStream_tbENKUlT_T0_SG_SL_E_clIS9_SA_SB_SB_EEDaSZ_S10_SG_SL_EUlSZ_E_NS1_11comp_targetILNS1_3genE5ELNS1_11target_archE942ELNS1_3gpuE9ELNS1_3repE0EEENS1_47radix_sort_onesweep_sort_config_static_selectorELNS0_4arch9wavefront6targetE0EEEvSG_
		.amdhsa_group_segment_fixed_size 0
		.amdhsa_private_segment_fixed_size 0
		.amdhsa_kernarg_size 88
		.amdhsa_user_sgpr_count 2
		.amdhsa_user_sgpr_dispatch_ptr 0
		.amdhsa_user_sgpr_queue_ptr 0
		.amdhsa_user_sgpr_kernarg_segment_ptr 1
		.amdhsa_user_sgpr_dispatch_id 0
		.amdhsa_user_sgpr_kernarg_preload_length 0
		.amdhsa_user_sgpr_kernarg_preload_offset 0
		.amdhsa_user_sgpr_private_segment_size 0
		.amdhsa_wavefront_size32 1
		.amdhsa_uses_dynamic_stack 0
		.amdhsa_enable_private_segment 0
		.amdhsa_system_sgpr_workgroup_id_x 1
		.amdhsa_system_sgpr_workgroup_id_y 0
		.amdhsa_system_sgpr_workgroup_id_z 0
		.amdhsa_system_sgpr_workgroup_info 0
		.amdhsa_system_vgpr_workitem_id 0
		.amdhsa_next_free_vgpr 1
		.amdhsa_next_free_sgpr 1
		.amdhsa_named_barrier_count 0
		.amdhsa_reserve_vcc 0
		.amdhsa_float_round_mode_32 0
		.amdhsa_float_round_mode_16_64 0
		.amdhsa_float_denorm_mode_32 3
		.amdhsa_float_denorm_mode_16_64 3
		.amdhsa_fp16_overflow 0
		.amdhsa_memory_ordered 1
		.amdhsa_forward_progress 1
		.amdhsa_inst_pref_size 0
		.amdhsa_round_robin_scheduling 0
		.amdhsa_exception_fp_ieee_invalid_op 0
		.amdhsa_exception_fp_denorm_src 0
		.amdhsa_exception_fp_ieee_div_zero 0
		.amdhsa_exception_fp_ieee_overflow 0
		.amdhsa_exception_fp_ieee_underflow 0
		.amdhsa_exception_fp_ieee_inexact 0
		.amdhsa_exception_int_div_zero 0
	.end_amdhsa_kernel
	.section	.text._ZN7rocprim17ROCPRIM_400000_NS6detail17trampoline_kernelINS0_14default_configENS1_35radix_sort_onesweep_config_selectorIaNS0_10empty_typeEEEZZNS1_29radix_sort_onesweep_iterationIS3_Lb0EPKaPaPS5_SB_mNS0_19identity_decomposerENS1_16block_id_wrapperIjLb1EEEEE10hipError_tT1_PNSt15iterator_traitsISG_E10value_typeET2_T3_PNSH_ISM_E10value_typeET4_T5_PSR_SS_PNS1_23onesweep_lookback_stateEbbT6_jjT7_P12ihipStream_tbENKUlT_T0_SG_SL_E_clIS9_SA_SB_SB_EEDaSZ_S10_SG_SL_EUlSZ_E_NS1_11comp_targetILNS1_3genE5ELNS1_11target_archE942ELNS1_3gpuE9ELNS1_3repE0EEENS1_47radix_sort_onesweep_sort_config_static_selectorELNS0_4arch9wavefront6targetE0EEEvSG_,"axG",@progbits,_ZN7rocprim17ROCPRIM_400000_NS6detail17trampoline_kernelINS0_14default_configENS1_35radix_sort_onesweep_config_selectorIaNS0_10empty_typeEEEZZNS1_29radix_sort_onesweep_iterationIS3_Lb0EPKaPaPS5_SB_mNS0_19identity_decomposerENS1_16block_id_wrapperIjLb1EEEEE10hipError_tT1_PNSt15iterator_traitsISG_E10value_typeET2_T3_PNSH_ISM_E10value_typeET4_T5_PSR_SS_PNS1_23onesweep_lookback_stateEbbT6_jjT7_P12ihipStream_tbENKUlT_T0_SG_SL_E_clIS9_SA_SB_SB_EEDaSZ_S10_SG_SL_EUlSZ_E_NS1_11comp_targetILNS1_3genE5ELNS1_11target_archE942ELNS1_3gpuE9ELNS1_3repE0EEENS1_47radix_sort_onesweep_sort_config_static_selectorELNS0_4arch9wavefront6targetE0EEEvSG_,comdat
.Lfunc_end468:
	.size	_ZN7rocprim17ROCPRIM_400000_NS6detail17trampoline_kernelINS0_14default_configENS1_35radix_sort_onesweep_config_selectorIaNS0_10empty_typeEEEZZNS1_29radix_sort_onesweep_iterationIS3_Lb0EPKaPaPS5_SB_mNS0_19identity_decomposerENS1_16block_id_wrapperIjLb1EEEEE10hipError_tT1_PNSt15iterator_traitsISG_E10value_typeET2_T3_PNSH_ISM_E10value_typeET4_T5_PSR_SS_PNS1_23onesweep_lookback_stateEbbT6_jjT7_P12ihipStream_tbENKUlT_T0_SG_SL_E_clIS9_SA_SB_SB_EEDaSZ_S10_SG_SL_EUlSZ_E_NS1_11comp_targetILNS1_3genE5ELNS1_11target_archE942ELNS1_3gpuE9ELNS1_3repE0EEENS1_47radix_sort_onesweep_sort_config_static_selectorELNS0_4arch9wavefront6targetE0EEEvSG_, .Lfunc_end468-_ZN7rocprim17ROCPRIM_400000_NS6detail17trampoline_kernelINS0_14default_configENS1_35radix_sort_onesweep_config_selectorIaNS0_10empty_typeEEEZZNS1_29radix_sort_onesweep_iterationIS3_Lb0EPKaPaPS5_SB_mNS0_19identity_decomposerENS1_16block_id_wrapperIjLb1EEEEE10hipError_tT1_PNSt15iterator_traitsISG_E10value_typeET2_T3_PNSH_ISM_E10value_typeET4_T5_PSR_SS_PNS1_23onesweep_lookback_stateEbbT6_jjT7_P12ihipStream_tbENKUlT_T0_SG_SL_E_clIS9_SA_SB_SB_EEDaSZ_S10_SG_SL_EUlSZ_E_NS1_11comp_targetILNS1_3genE5ELNS1_11target_archE942ELNS1_3gpuE9ELNS1_3repE0EEENS1_47radix_sort_onesweep_sort_config_static_selectorELNS0_4arch9wavefront6targetE0EEEvSG_
                                        ; -- End function
	.set _ZN7rocprim17ROCPRIM_400000_NS6detail17trampoline_kernelINS0_14default_configENS1_35radix_sort_onesweep_config_selectorIaNS0_10empty_typeEEEZZNS1_29radix_sort_onesweep_iterationIS3_Lb0EPKaPaPS5_SB_mNS0_19identity_decomposerENS1_16block_id_wrapperIjLb1EEEEE10hipError_tT1_PNSt15iterator_traitsISG_E10value_typeET2_T3_PNSH_ISM_E10value_typeET4_T5_PSR_SS_PNS1_23onesweep_lookback_stateEbbT6_jjT7_P12ihipStream_tbENKUlT_T0_SG_SL_E_clIS9_SA_SB_SB_EEDaSZ_S10_SG_SL_EUlSZ_E_NS1_11comp_targetILNS1_3genE5ELNS1_11target_archE942ELNS1_3gpuE9ELNS1_3repE0EEENS1_47radix_sort_onesweep_sort_config_static_selectorELNS0_4arch9wavefront6targetE0EEEvSG_.num_vgpr, 0
	.set _ZN7rocprim17ROCPRIM_400000_NS6detail17trampoline_kernelINS0_14default_configENS1_35radix_sort_onesweep_config_selectorIaNS0_10empty_typeEEEZZNS1_29radix_sort_onesweep_iterationIS3_Lb0EPKaPaPS5_SB_mNS0_19identity_decomposerENS1_16block_id_wrapperIjLb1EEEEE10hipError_tT1_PNSt15iterator_traitsISG_E10value_typeET2_T3_PNSH_ISM_E10value_typeET4_T5_PSR_SS_PNS1_23onesweep_lookback_stateEbbT6_jjT7_P12ihipStream_tbENKUlT_T0_SG_SL_E_clIS9_SA_SB_SB_EEDaSZ_S10_SG_SL_EUlSZ_E_NS1_11comp_targetILNS1_3genE5ELNS1_11target_archE942ELNS1_3gpuE9ELNS1_3repE0EEENS1_47radix_sort_onesweep_sort_config_static_selectorELNS0_4arch9wavefront6targetE0EEEvSG_.num_agpr, 0
	.set _ZN7rocprim17ROCPRIM_400000_NS6detail17trampoline_kernelINS0_14default_configENS1_35radix_sort_onesweep_config_selectorIaNS0_10empty_typeEEEZZNS1_29radix_sort_onesweep_iterationIS3_Lb0EPKaPaPS5_SB_mNS0_19identity_decomposerENS1_16block_id_wrapperIjLb1EEEEE10hipError_tT1_PNSt15iterator_traitsISG_E10value_typeET2_T3_PNSH_ISM_E10value_typeET4_T5_PSR_SS_PNS1_23onesweep_lookback_stateEbbT6_jjT7_P12ihipStream_tbENKUlT_T0_SG_SL_E_clIS9_SA_SB_SB_EEDaSZ_S10_SG_SL_EUlSZ_E_NS1_11comp_targetILNS1_3genE5ELNS1_11target_archE942ELNS1_3gpuE9ELNS1_3repE0EEENS1_47radix_sort_onesweep_sort_config_static_selectorELNS0_4arch9wavefront6targetE0EEEvSG_.numbered_sgpr, 0
	.set _ZN7rocprim17ROCPRIM_400000_NS6detail17trampoline_kernelINS0_14default_configENS1_35radix_sort_onesweep_config_selectorIaNS0_10empty_typeEEEZZNS1_29radix_sort_onesweep_iterationIS3_Lb0EPKaPaPS5_SB_mNS0_19identity_decomposerENS1_16block_id_wrapperIjLb1EEEEE10hipError_tT1_PNSt15iterator_traitsISG_E10value_typeET2_T3_PNSH_ISM_E10value_typeET4_T5_PSR_SS_PNS1_23onesweep_lookback_stateEbbT6_jjT7_P12ihipStream_tbENKUlT_T0_SG_SL_E_clIS9_SA_SB_SB_EEDaSZ_S10_SG_SL_EUlSZ_E_NS1_11comp_targetILNS1_3genE5ELNS1_11target_archE942ELNS1_3gpuE9ELNS1_3repE0EEENS1_47radix_sort_onesweep_sort_config_static_selectorELNS0_4arch9wavefront6targetE0EEEvSG_.num_named_barrier, 0
	.set _ZN7rocprim17ROCPRIM_400000_NS6detail17trampoline_kernelINS0_14default_configENS1_35radix_sort_onesweep_config_selectorIaNS0_10empty_typeEEEZZNS1_29radix_sort_onesweep_iterationIS3_Lb0EPKaPaPS5_SB_mNS0_19identity_decomposerENS1_16block_id_wrapperIjLb1EEEEE10hipError_tT1_PNSt15iterator_traitsISG_E10value_typeET2_T3_PNSH_ISM_E10value_typeET4_T5_PSR_SS_PNS1_23onesweep_lookback_stateEbbT6_jjT7_P12ihipStream_tbENKUlT_T0_SG_SL_E_clIS9_SA_SB_SB_EEDaSZ_S10_SG_SL_EUlSZ_E_NS1_11comp_targetILNS1_3genE5ELNS1_11target_archE942ELNS1_3gpuE9ELNS1_3repE0EEENS1_47radix_sort_onesweep_sort_config_static_selectorELNS0_4arch9wavefront6targetE0EEEvSG_.private_seg_size, 0
	.set _ZN7rocprim17ROCPRIM_400000_NS6detail17trampoline_kernelINS0_14default_configENS1_35radix_sort_onesweep_config_selectorIaNS0_10empty_typeEEEZZNS1_29radix_sort_onesweep_iterationIS3_Lb0EPKaPaPS5_SB_mNS0_19identity_decomposerENS1_16block_id_wrapperIjLb1EEEEE10hipError_tT1_PNSt15iterator_traitsISG_E10value_typeET2_T3_PNSH_ISM_E10value_typeET4_T5_PSR_SS_PNS1_23onesweep_lookback_stateEbbT6_jjT7_P12ihipStream_tbENKUlT_T0_SG_SL_E_clIS9_SA_SB_SB_EEDaSZ_S10_SG_SL_EUlSZ_E_NS1_11comp_targetILNS1_3genE5ELNS1_11target_archE942ELNS1_3gpuE9ELNS1_3repE0EEENS1_47radix_sort_onesweep_sort_config_static_selectorELNS0_4arch9wavefront6targetE0EEEvSG_.uses_vcc, 0
	.set _ZN7rocprim17ROCPRIM_400000_NS6detail17trampoline_kernelINS0_14default_configENS1_35radix_sort_onesweep_config_selectorIaNS0_10empty_typeEEEZZNS1_29radix_sort_onesweep_iterationIS3_Lb0EPKaPaPS5_SB_mNS0_19identity_decomposerENS1_16block_id_wrapperIjLb1EEEEE10hipError_tT1_PNSt15iterator_traitsISG_E10value_typeET2_T3_PNSH_ISM_E10value_typeET4_T5_PSR_SS_PNS1_23onesweep_lookback_stateEbbT6_jjT7_P12ihipStream_tbENKUlT_T0_SG_SL_E_clIS9_SA_SB_SB_EEDaSZ_S10_SG_SL_EUlSZ_E_NS1_11comp_targetILNS1_3genE5ELNS1_11target_archE942ELNS1_3gpuE9ELNS1_3repE0EEENS1_47radix_sort_onesweep_sort_config_static_selectorELNS0_4arch9wavefront6targetE0EEEvSG_.uses_flat_scratch, 0
	.set _ZN7rocprim17ROCPRIM_400000_NS6detail17trampoline_kernelINS0_14default_configENS1_35radix_sort_onesweep_config_selectorIaNS0_10empty_typeEEEZZNS1_29radix_sort_onesweep_iterationIS3_Lb0EPKaPaPS5_SB_mNS0_19identity_decomposerENS1_16block_id_wrapperIjLb1EEEEE10hipError_tT1_PNSt15iterator_traitsISG_E10value_typeET2_T3_PNSH_ISM_E10value_typeET4_T5_PSR_SS_PNS1_23onesweep_lookback_stateEbbT6_jjT7_P12ihipStream_tbENKUlT_T0_SG_SL_E_clIS9_SA_SB_SB_EEDaSZ_S10_SG_SL_EUlSZ_E_NS1_11comp_targetILNS1_3genE5ELNS1_11target_archE942ELNS1_3gpuE9ELNS1_3repE0EEENS1_47radix_sort_onesweep_sort_config_static_selectorELNS0_4arch9wavefront6targetE0EEEvSG_.has_dyn_sized_stack, 0
	.set _ZN7rocprim17ROCPRIM_400000_NS6detail17trampoline_kernelINS0_14default_configENS1_35radix_sort_onesweep_config_selectorIaNS0_10empty_typeEEEZZNS1_29radix_sort_onesweep_iterationIS3_Lb0EPKaPaPS5_SB_mNS0_19identity_decomposerENS1_16block_id_wrapperIjLb1EEEEE10hipError_tT1_PNSt15iterator_traitsISG_E10value_typeET2_T3_PNSH_ISM_E10value_typeET4_T5_PSR_SS_PNS1_23onesweep_lookback_stateEbbT6_jjT7_P12ihipStream_tbENKUlT_T0_SG_SL_E_clIS9_SA_SB_SB_EEDaSZ_S10_SG_SL_EUlSZ_E_NS1_11comp_targetILNS1_3genE5ELNS1_11target_archE942ELNS1_3gpuE9ELNS1_3repE0EEENS1_47radix_sort_onesweep_sort_config_static_selectorELNS0_4arch9wavefront6targetE0EEEvSG_.has_recursion, 0
	.set _ZN7rocprim17ROCPRIM_400000_NS6detail17trampoline_kernelINS0_14default_configENS1_35radix_sort_onesweep_config_selectorIaNS0_10empty_typeEEEZZNS1_29radix_sort_onesweep_iterationIS3_Lb0EPKaPaPS5_SB_mNS0_19identity_decomposerENS1_16block_id_wrapperIjLb1EEEEE10hipError_tT1_PNSt15iterator_traitsISG_E10value_typeET2_T3_PNSH_ISM_E10value_typeET4_T5_PSR_SS_PNS1_23onesweep_lookback_stateEbbT6_jjT7_P12ihipStream_tbENKUlT_T0_SG_SL_E_clIS9_SA_SB_SB_EEDaSZ_S10_SG_SL_EUlSZ_E_NS1_11comp_targetILNS1_3genE5ELNS1_11target_archE942ELNS1_3gpuE9ELNS1_3repE0EEENS1_47radix_sort_onesweep_sort_config_static_selectorELNS0_4arch9wavefront6targetE0EEEvSG_.has_indirect_call, 0
	.section	.AMDGPU.csdata,"",@progbits
; Kernel info:
; codeLenInByte = 0
; TotalNumSgprs: 0
; NumVgprs: 0
; ScratchSize: 0
; MemoryBound: 0
; FloatMode: 240
; IeeeMode: 1
; LDSByteSize: 0 bytes/workgroup (compile time only)
; SGPRBlocks: 0
; VGPRBlocks: 0
; NumSGPRsForWavesPerEU: 1
; NumVGPRsForWavesPerEU: 1
; NamedBarCnt: 0
; Occupancy: 16
; WaveLimiterHint : 0
; COMPUTE_PGM_RSRC2:SCRATCH_EN: 0
; COMPUTE_PGM_RSRC2:USER_SGPR: 2
; COMPUTE_PGM_RSRC2:TRAP_HANDLER: 0
; COMPUTE_PGM_RSRC2:TGID_X_EN: 1
; COMPUTE_PGM_RSRC2:TGID_Y_EN: 0
; COMPUTE_PGM_RSRC2:TGID_Z_EN: 0
; COMPUTE_PGM_RSRC2:TIDIG_COMP_CNT: 0
	.section	.text._ZN7rocprim17ROCPRIM_400000_NS6detail17trampoline_kernelINS0_14default_configENS1_35radix_sort_onesweep_config_selectorIaNS0_10empty_typeEEEZZNS1_29radix_sort_onesweep_iterationIS3_Lb0EPKaPaPS5_SB_mNS0_19identity_decomposerENS1_16block_id_wrapperIjLb1EEEEE10hipError_tT1_PNSt15iterator_traitsISG_E10value_typeET2_T3_PNSH_ISM_E10value_typeET4_T5_PSR_SS_PNS1_23onesweep_lookback_stateEbbT6_jjT7_P12ihipStream_tbENKUlT_T0_SG_SL_E_clIS9_SA_SB_SB_EEDaSZ_S10_SG_SL_EUlSZ_E_NS1_11comp_targetILNS1_3genE2ELNS1_11target_archE906ELNS1_3gpuE6ELNS1_3repE0EEENS1_47radix_sort_onesweep_sort_config_static_selectorELNS0_4arch9wavefront6targetE0EEEvSG_,"axG",@progbits,_ZN7rocprim17ROCPRIM_400000_NS6detail17trampoline_kernelINS0_14default_configENS1_35radix_sort_onesweep_config_selectorIaNS0_10empty_typeEEEZZNS1_29radix_sort_onesweep_iterationIS3_Lb0EPKaPaPS5_SB_mNS0_19identity_decomposerENS1_16block_id_wrapperIjLb1EEEEE10hipError_tT1_PNSt15iterator_traitsISG_E10value_typeET2_T3_PNSH_ISM_E10value_typeET4_T5_PSR_SS_PNS1_23onesweep_lookback_stateEbbT6_jjT7_P12ihipStream_tbENKUlT_T0_SG_SL_E_clIS9_SA_SB_SB_EEDaSZ_S10_SG_SL_EUlSZ_E_NS1_11comp_targetILNS1_3genE2ELNS1_11target_archE906ELNS1_3gpuE6ELNS1_3repE0EEENS1_47radix_sort_onesweep_sort_config_static_selectorELNS0_4arch9wavefront6targetE0EEEvSG_,comdat
	.protected	_ZN7rocprim17ROCPRIM_400000_NS6detail17trampoline_kernelINS0_14default_configENS1_35radix_sort_onesweep_config_selectorIaNS0_10empty_typeEEEZZNS1_29radix_sort_onesweep_iterationIS3_Lb0EPKaPaPS5_SB_mNS0_19identity_decomposerENS1_16block_id_wrapperIjLb1EEEEE10hipError_tT1_PNSt15iterator_traitsISG_E10value_typeET2_T3_PNSH_ISM_E10value_typeET4_T5_PSR_SS_PNS1_23onesweep_lookback_stateEbbT6_jjT7_P12ihipStream_tbENKUlT_T0_SG_SL_E_clIS9_SA_SB_SB_EEDaSZ_S10_SG_SL_EUlSZ_E_NS1_11comp_targetILNS1_3genE2ELNS1_11target_archE906ELNS1_3gpuE6ELNS1_3repE0EEENS1_47radix_sort_onesweep_sort_config_static_selectorELNS0_4arch9wavefront6targetE0EEEvSG_ ; -- Begin function _ZN7rocprim17ROCPRIM_400000_NS6detail17trampoline_kernelINS0_14default_configENS1_35radix_sort_onesweep_config_selectorIaNS0_10empty_typeEEEZZNS1_29radix_sort_onesweep_iterationIS3_Lb0EPKaPaPS5_SB_mNS0_19identity_decomposerENS1_16block_id_wrapperIjLb1EEEEE10hipError_tT1_PNSt15iterator_traitsISG_E10value_typeET2_T3_PNSH_ISM_E10value_typeET4_T5_PSR_SS_PNS1_23onesweep_lookback_stateEbbT6_jjT7_P12ihipStream_tbENKUlT_T0_SG_SL_E_clIS9_SA_SB_SB_EEDaSZ_S10_SG_SL_EUlSZ_E_NS1_11comp_targetILNS1_3genE2ELNS1_11target_archE906ELNS1_3gpuE6ELNS1_3repE0EEENS1_47radix_sort_onesweep_sort_config_static_selectorELNS0_4arch9wavefront6targetE0EEEvSG_
	.globl	_ZN7rocprim17ROCPRIM_400000_NS6detail17trampoline_kernelINS0_14default_configENS1_35radix_sort_onesweep_config_selectorIaNS0_10empty_typeEEEZZNS1_29radix_sort_onesweep_iterationIS3_Lb0EPKaPaPS5_SB_mNS0_19identity_decomposerENS1_16block_id_wrapperIjLb1EEEEE10hipError_tT1_PNSt15iterator_traitsISG_E10value_typeET2_T3_PNSH_ISM_E10value_typeET4_T5_PSR_SS_PNS1_23onesweep_lookback_stateEbbT6_jjT7_P12ihipStream_tbENKUlT_T0_SG_SL_E_clIS9_SA_SB_SB_EEDaSZ_S10_SG_SL_EUlSZ_E_NS1_11comp_targetILNS1_3genE2ELNS1_11target_archE906ELNS1_3gpuE6ELNS1_3repE0EEENS1_47radix_sort_onesweep_sort_config_static_selectorELNS0_4arch9wavefront6targetE0EEEvSG_
	.p2align	8
	.type	_ZN7rocprim17ROCPRIM_400000_NS6detail17trampoline_kernelINS0_14default_configENS1_35radix_sort_onesweep_config_selectorIaNS0_10empty_typeEEEZZNS1_29radix_sort_onesweep_iterationIS3_Lb0EPKaPaPS5_SB_mNS0_19identity_decomposerENS1_16block_id_wrapperIjLb1EEEEE10hipError_tT1_PNSt15iterator_traitsISG_E10value_typeET2_T3_PNSH_ISM_E10value_typeET4_T5_PSR_SS_PNS1_23onesweep_lookback_stateEbbT6_jjT7_P12ihipStream_tbENKUlT_T0_SG_SL_E_clIS9_SA_SB_SB_EEDaSZ_S10_SG_SL_EUlSZ_E_NS1_11comp_targetILNS1_3genE2ELNS1_11target_archE906ELNS1_3gpuE6ELNS1_3repE0EEENS1_47radix_sort_onesweep_sort_config_static_selectorELNS0_4arch9wavefront6targetE0EEEvSG_,@function
_ZN7rocprim17ROCPRIM_400000_NS6detail17trampoline_kernelINS0_14default_configENS1_35radix_sort_onesweep_config_selectorIaNS0_10empty_typeEEEZZNS1_29radix_sort_onesweep_iterationIS3_Lb0EPKaPaPS5_SB_mNS0_19identity_decomposerENS1_16block_id_wrapperIjLb1EEEEE10hipError_tT1_PNSt15iterator_traitsISG_E10value_typeET2_T3_PNSH_ISM_E10value_typeET4_T5_PSR_SS_PNS1_23onesweep_lookback_stateEbbT6_jjT7_P12ihipStream_tbENKUlT_T0_SG_SL_E_clIS9_SA_SB_SB_EEDaSZ_S10_SG_SL_EUlSZ_E_NS1_11comp_targetILNS1_3genE2ELNS1_11target_archE906ELNS1_3gpuE6ELNS1_3repE0EEENS1_47radix_sort_onesweep_sort_config_static_selectorELNS0_4arch9wavefront6targetE0EEEvSG_: ; @_ZN7rocprim17ROCPRIM_400000_NS6detail17trampoline_kernelINS0_14default_configENS1_35radix_sort_onesweep_config_selectorIaNS0_10empty_typeEEEZZNS1_29radix_sort_onesweep_iterationIS3_Lb0EPKaPaPS5_SB_mNS0_19identity_decomposerENS1_16block_id_wrapperIjLb1EEEEE10hipError_tT1_PNSt15iterator_traitsISG_E10value_typeET2_T3_PNSH_ISM_E10value_typeET4_T5_PSR_SS_PNS1_23onesweep_lookback_stateEbbT6_jjT7_P12ihipStream_tbENKUlT_T0_SG_SL_E_clIS9_SA_SB_SB_EEDaSZ_S10_SG_SL_EUlSZ_E_NS1_11comp_targetILNS1_3genE2ELNS1_11target_archE906ELNS1_3gpuE6ELNS1_3repE0EEENS1_47radix_sort_onesweep_sort_config_static_selectorELNS0_4arch9wavefront6targetE0EEEvSG_
; %bb.0:
	.section	.rodata,"a",@progbits
	.p2align	6, 0x0
	.amdhsa_kernel _ZN7rocprim17ROCPRIM_400000_NS6detail17trampoline_kernelINS0_14default_configENS1_35radix_sort_onesweep_config_selectorIaNS0_10empty_typeEEEZZNS1_29radix_sort_onesweep_iterationIS3_Lb0EPKaPaPS5_SB_mNS0_19identity_decomposerENS1_16block_id_wrapperIjLb1EEEEE10hipError_tT1_PNSt15iterator_traitsISG_E10value_typeET2_T3_PNSH_ISM_E10value_typeET4_T5_PSR_SS_PNS1_23onesweep_lookback_stateEbbT6_jjT7_P12ihipStream_tbENKUlT_T0_SG_SL_E_clIS9_SA_SB_SB_EEDaSZ_S10_SG_SL_EUlSZ_E_NS1_11comp_targetILNS1_3genE2ELNS1_11target_archE906ELNS1_3gpuE6ELNS1_3repE0EEENS1_47radix_sort_onesweep_sort_config_static_selectorELNS0_4arch9wavefront6targetE0EEEvSG_
		.amdhsa_group_segment_fixed_size 0
		.amdhsa_private_segment_fixed_size 0
		.amdhsa_kernarg_size 88
		.amdhsa_user_sgpr_count 2
		.amdhsa_user_sgpr_dispatch_ptr 0
		.amdhsa_user_sgpr_queue_ptr 0
		.amdhsa_user_sgpr_kernarg_segment_ptr 1
		.amdhsa_user_sgpr_dispatch_id 0
		.amdhsa_user_sgpr_kernarg_preload_length 0
		.amdhsa_user_sgpr_kernarg_preload_offset 0
		.amdhsa_user_sgpr_private_segment_size 0
		.amdhsa_wavefront_size32 1
		.amdhsa_uses_dynamic_stack 0
		.amdhsa_enable_private_segment 0
		.amdhsa_system_sgpr_workgroup_id_x 1
		.amdhsa_system_sgpr_workgroup_id_y 0
		.amdhsa_system_sgpr_workgroup_id_z 0
		.amdhsa_system_sgpr_workgroup_info 0
		.amdhsa_system_vgpr_workitem_id 0
		.amdhsa_next_free_vgpr 1
		.amdhsa_next_free_sgpr 1
		.amdhsa_named_barrier_count 0
		.amdhsa_reserve_vcc 0
		.amdhsa_float_round_mode_32 0
		.amdhsa_float_round_mode_16_64 0
		.amdhsa_float_denorm_mode_32 3
		.amdhsa_float_denorm_mode_16_64 3
		.amdhsa_fp16_overflow 0
		.amdhsa_memory_ordered 1
		.amdhsa_forward_progress 1
		.amdhsa_inst_pref_size 0
		.amdhsa_round_robin_scheduling 0
		.amdhsa_exception_fp_ieee_invalid_op 0
		.amdhsa_exception_fp_denorm_src 0
		.amdhsa_exception_fp_ieee_div_zero 0
		.amdhsa_exception_fp_ieee_overflow 0
		.amdhsa_exception_fp_ieee_underflow 0
		.amdhsa_exception_fp_ieee_inexact 0
		.amdhsa_exception_int_div_zero 0
	.end_amdhsa_kernel
	.section	.text._ZN7rocprim17ROCPRIM_400000_NS6detail17trampoline_kernelINS0_14default_configENS1_35radix_sort_onesweep_config_selectorIaNS0_10empty_typeEEEZZNS1_29radix_sort_onesweep_iterationIS3_Lb0EPKaPaPS5_SB_mNS0_19identity_decomposerENS1_16block_id_wrapperIjLb1EEEEE10hipError_tT1_PNSt15iterator_traitsISG_E10value_typeET2_T3_PNSH_ISM_E10value_typeET4_T5_PSR_SS_PNS1_23onesweep_lookback_stateEbbT6_jjT7_P12ihipStream_tbENKUlT_T0_SG_SL_E_clIS9_SA_SB_SB_EEDaSZ_S10_SG_SL_EUlSZ_E_NS1_11comp_targetILNS1_3genE2ELNS1_11target_archE906ELNS1_3gpuE6ELNS1_3repE0EEENS1_47radix_sort_onesweep_sort_config_static_selectorELNS0_4arch9wavefront6targetE0EEEvSG_,"axG",@progbits,_ZN7rocprim17ROCPRIM_400000_NS6detail17trampoline_kernelINS0_14default_configENS1_35radix_sort_onesweep_config_selectorIaNS0_10empty_typeEEEZZNS1_29radix_sort_onesweep_iterationIS3_Lb0EPKaPaPS5_SB_mNS0_19identity_decomposerENS1_16block_id_wrapperIjLb1EEEEE10hipError_tT1_PNSt15iterator_traitsISG_E10value_typeET2_T3_PNSH_ISM_E10value_typeET4_T5_PSR_SS_PNS1_23onesweep_lookback_stateEbbT6_jjT7_P12ihipStream_tbENKUlT_T0_SG_SL_E_clIS9_SA_SB_SB_EEDaSZ_S10_SG_SL_EUlSZ_E_NS1_11comp_targetILNS1_3genE2ELNS1_11target_archE906ELNS1_3gpuE6ELNS1_3repE0EEENS1_47radix_sort_onesweep_sort_config_static_selectorELNS0_4arch9wavefront6targetE0EEEvSG_,comdat
.Lfunc_end469:
	.size	_ZN7rocprim17ROCPRIM_400000_NS6detail17trampoline_kernelINS0_14default_configENS1_35radix_sort_onesweep_config_selectorIaNS0_10empty_typeEEEZZNS1_29radix_sort_onesweep_iterationIS3_Lb0EPKaPaPS5_SB_mNS0_19identity_decomposerENS1_16block_id_wrapperIjLb1EEEEE10hipError_tT1_PNSt15iterator_traitsISG_E10value_typeET2_T3_PNSH_ISM_E10value_typeET4_T5_PSR_SS_PNS1_23onesweep_lookback_stateEbbT6_jjT7_P12ihipStream_tbENKUlT_T0_SG_SL_E_clIS9_SA_SB_SB_EEDaSZ_S10_SG_SL_EUlSZ_E_NS1_11comp_targetILNS1_3genE2ELNS1_11target_archE906ELNS1_3gpuE6ELNS1_3repE0EEENS1_47radix_sort_onesweep_sort_config_static_selectorELNS0_4arch9wavefront6targetE0EEEvSG_, .Lfunc_end469-_ZN7rocprim17ROCPRIM_400000_NS6detail17trampoline_kernelINS0_14default_configENS1_35radix_sort_onesweep_config_selectorIaNS0_10empty_typeEEEZZNS1_29radix_sort_onesweep_iterationIS3_Lb0EPKaPaPS5_SB_mNS0_19identity_decomposerENS1_16block_id_wrapperIjLb1EEEEE10hipError_tT1_PNSt15iterator_traitsISG_E10value_typeET2_T3_PNSH_ISM_E10value_typeET4_T5_PSR_SS_PNS1_23onesweep_lookback_stateEbbT6_jjT7_P12ihipStream_tbENKUlT_T0_SG_SL_E_clIS9_SA_SB_SB_EEDaSZ_S10_SG_SL_EUlSZ_E_NS1_11comp_targetILNS1_3genE2ELNS1_11target_archE906ELNS1_3gpuE6ELNS1_3repE0EEENS1_47radix_sort_onesweep_sort_config_static_selectorELNS0_4arch9wavefront6targetE0EEEvSG_
                                        ; -- End function
	.set _ZN7rocprim17ROCPRIM_400000_NS6detail17trampoline_kernelINS0_14default_configENS1_35radix_sort_onesweep_config_selectorIaNS0_10empty_typeEEEZZNS1_29radix_sort_onesweep_iterationIS3_Lb0EPKaPaPS5_SB_mNS0_19identity_decomposerENS1_16block_id_wrapperIjLb1EEEEE10hipError_tT1_PNSt15iterator_traitsISG_E10value_typeET2_T3_PNSH_ISM_E10value_typeET4_T5_PSR_SS_PNS1_23onesweep_lookback_stateEbbT6_jjT7_P12ihipStream_tbENKUlT_T0_SG_SL_E_clIS9_SA_SB_SB_EEDaSZ_S10_SG_SL_EUlSZ_E_NS1_11comp_targetILNS1_3genE2ELNS1_11target_archE906ELNS1_3gpuE6ELNS1_3repE0EEENS1_47radix_sort_onesweep_sort_config_static_selectorELNS0_4arch9wavefront6targetE0EEEvSG_.num_vgpr, 0
	.set _ZN7rocprim17ROCPRIM_400000_NS6detail17trampoline_kernelINS0_14default_configENS1_35radix_sort_onesweep_config_selectorIaNS0_10empty_typeEEEZZNS1_29radix_sort_onesweep_iterationIS3_Lb0EPKaPaPS5_SB_mNS0_19identity_decomposerENS1_16block_id_wrapperIjLb1EEEEE10hipError_tT1_PNSt15iterator_traitsISG_E10value_typeET2_T3_PNSH_ISM_E10value_typeET4_T5_PSR_SS_PNS1_23onesweep_lookback_stateEbbT6_jjT7_P12ihipStream_tbENKUlT_T0_SG_SL_E_clIS9_SA_SB_SB_EEDaSZ_S10_SG_SL_EUlSZ_E_NS1_11comp_targetILNS1_3genE2ELNS1_11target_archE906ELNS1_3gpuE6ELNS1_3repE0EEENS1_47radix_sort_onesweep_sort_config_static_selectorELNS0_4arch9wavefront6targetE0EEEvSG_.num_agpr, 0
	.set _ZN7rocprim17ROCPRIM_400000_NS6detail17trampoline_kernelINS0_14default_configENS1_35radix_sort_onesweep_config_selectorIaNS0_10empty_typeEEEZZNS1_29radix_sort_onesweep_iterationIS3_Lb0EPKaPaPS5_SB_mNS0_19identity_decomposerENS1_16block_id_wrapperIjLb1EEEEE10hipError_tT1_PNSt15iterator_traitsISG_E10value_typeET2_T3_PNSH_ISM_E10value_typeET4_T5_PSR_SS_PNS1_23onesweep_lookback_stateEbbT6_jjT7_P12ihipStream_tbENKUlT_T0_SG_SL_E_clIS9_SA_SB_SB_EEDaSZ_S10_SG_SL_EUlSZ_E_NS1_11comp_targetILNS1_3genE2ELNS1_11target_archE906ELNS1_3gpuE6ELNS1_3repE0EEENS1_47radix_sort_onesweep_sort_config_static_selectorELNS0_4arch9wavefront6targetE0EEEvSG_.numbered_sgpr, 0
	.set _ZN7rocprim17ROCPRIM_400000_NS6detail17trampoline_kernelINS0_14default_configENS1_35radix_sort_onesweep_config_selectorIaNS0_10empty_typeEEEZZNS1_29radix_sort_onesweep_iterationIS3_Lb0EPKaPaPS5_SB_mNS0_19identity_decomposerENS1_16block_id_wrapperIjLb1EEEEE10hipError_tT1_PNSt15iterator_traitsISG_E10value_typeET2_T3_PNSH_ISM_E10value_typeET4_T5_PSR_SS_PNS1_23onesweep_lookback_stateEbbT6_jjT7_P12ihipStream_tbENKUlT_T0_SG_SL_E_clIS9_SA_SB_SB_EEDaSZ_S10_SG_SL_EUlSZ_E_NS1_11comp_targetILNS1_3genE2ELNS1_11target_archE906ELNS1_3gpuE6ELNS1_3repE0EEENS1_47radix_sort_onesweep_sort_config_static_selectorELNS0_4arch9wavefront6targetE0EEEvSG_.num_named_barrier, 0
	.set _ZN7rocprim17ROCPRIM_400000_NS6detail17trampoline_kernelINS0_14default_configENS1_35radix_sort_onesweep_config_selectorIaNS0_10empty_typeEEEZZNS1_29radix_sort_onesweep_iterationIS3_Lb0EPKaPaPS5_SB_mNS0_19identity_decomposerENS1_16block_id_wrapperIjLb1EEEEE10hipError_tT1_PNSt15iterator_traitsISG_E10value_typeET2_T3_PNSH_ISM_E10value_typeET4_T5_PSR_SS_PNS1_23onesweep_lookback_stateEbbT6_jjT7_P12ihipStream_tbENKUlT_T0_SG_SL_E_clIS9_SA_SB_SB_EEDaSZ_S10_SG_SL_EUlSZ_E_NS1_11comp_targetILNS1_3genE2ELNS1_11target_archE906ELNS1_3gpuE6ELNS1_3repE0EEENS1_47radix_sort_onesweep_sort_config_static_selectorELNS0_4arch9wavefront6targetE0EEEvSG_.private_seg_size, 0
	.set _ZN7rocprim17ROCPRIM_400000_NS6detail17trampoline_kernelINS0_14default_configENS1_35radix_sort_onesweep_config_selectorIaNS0_10empty_typeEEEZZNS1_29radix_sort_onesweep_iterationIS3_Lb0EPKaPaPS5_SB_mNS0_19identity_decomposerENS1_16block_id_wrapperIjLb1EEEEE10hipError_tT1_PNSt15iterator_traitsISG_E10value_typeET2_T3_PNSH_ISM_E10value_typeET4_T5_PSR_SS_PNS1_23onesweep_lookback_stateEbbT6_jjT7_P12ihipStream_tbENKUlT_T0_SG_SL_E_clIS9_SA_SB_SB_EEDaSZ_S10_SG_SL_EUlSZ_E_NS1_11comp_targetILNS1_3genE2ELNS1_11target_archE906ELNS1_3gpuE6ELNS1_3repE0EEENS1_47radix_sort_onesweep_sort_config_static_selectorELNS0_4arch9wavefront6targetE0EEEvSG_.uses_vcc, 0
	.set _ZN7rocprim17ROCPRIM_400000_NS6detail17trampoline_kernelINS0_14default_configENS1_35radix_sort_onesweep_config_selectorIaNS0_10empty_typeEEEZZNS1_29radix_sort_onesweep_iterationIS3_Lb0EPKaPaPS5_SB_mNS0_19identity_decomposerENS1_16block_id_wrapperIjLb1EEEEE10hipError_tT1_PNSt15iterator_traitsISG_E10value_typeET2_T3_PNSH_ISM_E10value_typeET4_T5_PSR_SS_PNS1_23onesweep_lookback_stateEbbT6_jjT7_P12ihipStream_tbENKUlT_T0_SG_SL_E_clIS9_SA_SB_SB_EEDaSZ_S10_SG_SL_EUlSZ_E_NS1_11comp_targetILNS1_3genE2ELNS1_11target_archE906ELNS1_3gpuE6ELNS1_3repE0EEENS1_47radix_sort_onesweep_sort_config_static_selectorELNS0_4arch9wavefront6targetE0EEEvSG_.uses_flat_scratch, 0
	.set _ZN7rocprim17ROCPRIM_400000_NS6detail17trampoline_kernelINS0_14default_configENS1_35radix_sort_onesweep_config_selectorIaNS0_10empty_typeEEEZZNS1_29radix_sort_onesweep_iterationIS3_Lb0EPKaPaPS5_SB_mNS0_19identity_decomposerENS1_16block_id_wrapperIjLb1EEEEE10hipError_tT1_PNSt15iterator_traitsISG_E10value_typeET2_T3_PNSH_ISM_E10value_typeET4_T5_PSR_SS_PNS1_23onesweep_lookback_stateEbbT6_jjT7_P12ihipStream_tbENKUlT_T0_SG_SL_E_clIS9_SA_SB_SB_EEDaSZ_S10_SG_SL_EUlSZ_E_NS1_11comp_targetILNS1_3genE2ELNS1_11target_archE906ELNS1_3gpuE6ELNS1_3repE0EEENS1_47radix_sort_onesweep_sort_config_static_selectorELNS0_4arch9wavefront6targetE0EEEvSG_.has_dyn_sized_stack, 0
	.set _ZN7rocprim17ROCPRIM_400000_NS6detail17trampoline_kernelINS0_14default_configENS1_35radix_sort_onesweep_config_selectorIaNS0_10empty_typeEEEZZNS1_29radix_sort_onesweep_iterationIS3_Lb0EPKaPaPS5_SB_mNS0_19identity_decomposerENS1_16block_id_wrapperIjLb1EEEEE10hipError_tT1_PNSt15iterator_traitsISG_E10value_typeET2_T3_PNSH_ISM_E10value_typeET4_T5_PSR_SS_PNS1_23onesweep_lookback_stateEbbT6_jjT7_P12ihipStream_tbENKUlT_T0_SG_SL_E_clIS9_SA_SB_SB_EEDaSZ_S10_SG_SL_EUlSZ_E_NS1_11comp_targetILNS1_3genE2ELNS1_11target_archE906ELNS1_3gpuE6ELNS1_3repE0EEENS1_47radix_sort_onesweep_sort_config_static_selectorELNS0_4arch9wavefront6targetE0EEEvSG_.has_recursion, 0
	.set _ZN7rocprim17ROCPRIM_400000_NS6detail17trampoline_kernelINS0_14default_configENS1_35radix_sort_onesweep_config_selectorIaNS0_10empty_typeEEEZZNS1_29radix_sort_onesweep_iterationIS3_Lb0EPKaPaPS5_SB_mNS0_19identity_decomposerENS1_16block_id_wrapperIjLb1EEEEE10hipError_tT1_PNSt15iterator_traitsISG_E10value_typeET2_T3_PNSH_ISM_E10value_typeET4_T5_PSR_SS_PNS1_23onesweep_lookback_stateEbbT6_jjT7_P12ihipStream_tbENKUlT_T0_SG_SL_E_clIS9_SA_SB_SB_EEDaSZ_S10_SG_SL_EUlSZ_E_NS1_11comp_targetILNS1_3genE2ELNS1_11target_archE906ELNS1_3gpuE6ELNS1_3repE0EEENS1_47radix_sort_onesweep_sort_config_static_selectorELNS0_4arch9wavefront6targetE0EEEvSG_.has_indirect_call, 0
	.section	.AMDGPU.csdata,"",@progbits
; Kernel info:
; codeLenInByte = 0
; TotalNumSgprs: 0
; NumVgprs: 0
; ScratchSize: 0
; MemoryBound: 0
; FloatMode: 240
; IeeeMode: 1
; LDSByteSize: 0 bytes/workgroup (compile time only)
; SGPRBlocks: 0
; VGPRBlocks: 0
; NumSGPRsForWavesPerEU: 1
; NumVGPRsForWavesPerEU: 1
; NamedBarCnt: 0
; Occupancy: 16
; WaveLimiterHint : 0
; COMPUTE_PGM_RSRC2:SCRATCH_EN: 0
; COMPUTE_PGM_RSRC2:USER_SGPR: 2
; COMPUTE_PGM_RSRC2:TRAP_HANDLER: 0
; COMPUTE_PGM_RSRC2:TGID_X_EN: 1
; COMPUTE_PGM_RSRC2:TGID_Y_EN: 0
; COMPUTE_PGM_RSRC2:TGID_Z_EN: 0
; COMPUTE_PGM_RSRC2:TIDIG_COMP_CNT: 0
	.section	.text._ZN7rocprim17ROCPRIM_400000_NS6detail17trampoline_kernelINS0_14default_configENS1_35radix_sort_onesweep_config_selectorIaNS0_10empty_typeEEEZZNS1_29radix_sort_onesweep_iterationIS3_Lb0EPKaPaPS5_SB_mNS0_19identity_decomposerENS1_16block_id_wrapperIjLb1EEEEE10hipError_tT1_PNSt15iterator_traitsISG_E10value_typeET2_T3_PNSH_ISM_E10value_typeET4_T5_PSR_SS_PNS1_23onesweep_lookback_stateEbbT6_jjT7_P12ihipStream_tbENKUlT_T0_SG_SL_E_clIS9_SA_SB_SB_EEDaSZ_S10_SG_SL_EUlSZ_E_NS1_11comp_targetILNS1_3genE4ELNS1_11target_archE910ELNS1_3gpuE8ELNS1_3repE0EEENS1_47radix_sort_onesweep_sort_config_static_selectorELNS0_4arch9wavefront6targetE0EEEvSG_,"axG",@progbits,_ZN7rocprim17ROCPRIM_400000_NS6detail17trampoline_kernelINS0_14default_configENS1_35radix_sort_onesweep_config_selectorIaNS0_10empty_typeEEEZZNS1_29radix_sort_onesweep_iterationIS3_Lb0EPKaPaPS5_SB_mNS0_19identity_decomposerENS1_16block_id_wrapperIjLb1EEEEE10hipError_tT1_PNSt15iterator_traitsISG_E10value_typeET2_T3_PNSH_ISM_E10value_typeET4_T5_PSR_SS_PNS1_23onesweep_lookback_stateEbbT6_jjT7_P12ihipStream_tbENKUlT_T0_SG_SL_E_clIS9_SA_SB_SB_EEDaSZ_S10_SG_SL_EUlSZ_E_NS1_11comp_targetILNS1_3genE4ELNS1_11target_archE910ELNS1_3gpuE8ELNS1_3repE0EEENS1_47radix_sort_onesweep_sort_config_static_selectorELNS0_4arch9wavefront6targetE0EEEvSG_,comdat
	.protected	_ZN7rocprim17ROCPRIM_400000_NS6detail17trampoline_kernelINS0_14default_configENS1_35radix_sort_onesweep_config_selectorIaNS0_10empty_typeEEEZZNS1_29radix_sort_onesweep_iterationIS3_Lb0EPKaPaPS5_SB_mNS0_19identity_decomposerENS1_16block_id_wrapperIjLb1EEEEE10hipError_tT1_PNSt15iterator_traitsISG_E10value_typeET2_T3_PNSH_ISM_E10value_typeET4_T5_PSR_SS_PNS1_23onesweep_lookback_stateEbbT6_jjT7_P12ihipStream_tbENKUlT_T0_SG_SL_E_clIS9_SA_SB_SB_EEDaSZ_S10_SG_SL_EUlSZ_E_NS1_11comp_targetILNS1_3genE4ELNS1_11target_archE910ELNS1_3gpuE8ELNS1_3repE0EEENS1_47radix_sort_onesweep_sort_config_static_selectorELNS0_4arch9wavefront6targetE0EEEvSG_ ; -- Begin function _ZN7rocprim17ROCPRIM_400000_NS6detail17trampoline_kernelINS0_14default_configENS1_35radix_sort_onesweep_config_selectorIaNS0_10empty_typeEEEZZNS1_29radix_sort_onesweep_iterationIS3_Lb0EPKaPaPS5_SB_mNS0_19identity_decomposerENS1_16block_id_wrapperIjLb1EEEEE10hipError_tT1_PNSt15iterator_traitsISG_E10value_typeET2_T3_PNSH_ISM_E10value_typeET4_T5_PSR_SS_PNS1_23onesweep_lookback_stateEbbT6_jjT7_P12ihipStream_tbENKUlT_T0_SG_SL_E_clIS9_SA_SB_SB_EEDaSZ_S10_SG_SL_EUlSZ_E_NS1_11comp_targetILNS1_3genE4ELNS1_11target_archE910ELNS1_3gpuE8ELNS1_3repE0EEENS1_47radix_sort_onesweep_sort_config_static_selectorELNS0_4arch9wavefront6targetE0EEEvSG_
	.globl	_ZN7rocprim17ROCPRIM_400000_NS6detail17trampoline_kernelINS0_14default_configENS1_35radix_sort_onesweep_config_selectorIaNS0_10empty_typeEEEZZNS1_29radix_sort_onesweep_iterationIS3_Lb0EPKaPaPS5_SB_mNS0_19identity_decomposerENS1_16block_id_wrapperIjLb1EEEEE10hipError_tT1_PNSt15iterator_traitsISG_E10value_typeET2_T3_PNSH_ISM_E10value_typeET4_T5_PSR_SS_PNS1_23onesweep_lookback_stateEbbT6_jjT7_P12ihipStream_tbENKUlT_T0_SG_SL_E_clIS9_SA_SB_SB_EEDaSZ_S10_SG_SL_EUlSZ_E_NS1_11comp_targetILNS1_3genE4ELNS1_11target_archE910ELNS1_3gpuE8ELNS1_3repE0EEENS1_47radix_sort_onesweep_sort_config_static_selectorELNS0_4arch9wavefront6targetE0EEEvSG_
	.p2align	8
	.type	_ZN7rocprim17ROCPRIM_400000_NS6detail17trampoline_kernelINS0_14default_configENS1_35radix_sort_onesweep_config_selectorIaNS0_10empty_typeEEEZZNS1_29radix_sort_onesweep_iterationIS3_Lb0EPKaPaPS5_SB_mNS0_19identity_decomposerENS1_16block_id_wrapperIjLb1EEEEE10hipError_tT1_PNSt15iterator_traitsISG_E10value_typeET2_T3_PNSH_ISM_E10value_typeET4_T5_PSR_SS_PNS1_23onesweep_lookback_stateEbbT6_jjT7_P12ihipStream_tbENKUlT_T0_SG_SL_E_clIS9_SA_SB_SB_EEDaSZ_S10_SG_SL_EUlSZ_E_NS1_11comp_targetILNS1_3genE4ELNS1_11target_archE910ELNS1_3gpuE8ELNS1_3repE0EEENS1_47radix_sort_onesweep_sort_config_static_selectorELNS0_4arch9wavefront6targetE0EEEvSG_,@function
_ZN7rocprim17ROCPRIM_400000_NS6detail17trampoline_kernelINS0_14default_configENS1_35radix_sort_onesweep_config_selectorIaNS0_10empty_typeEEEZZNS1_29radix_sort_onesweep_iterationIS3_Lb0EPKaPaPS5_SB_mNS0_19identity_decomposerENS1_16block_id_wrapperIjLb1EEEEE10hipError_tT1_PNSt15iterator_traitsISG_E10value_typeET2_T3_PNSH_ISM_E10value_typeET4_T5_PSR_SS_PNS1_23onesweep_lookback_stateEbbT6_jjT7_P12ihipStream_tbENKUlT_T0_SG_SL_E_clIS9_SA_SB_SB_EEDaSZ_S10_SG_SL_EUlSZ_E_NS1_11comp_targetILNS1_3genE4ELNS1_11target_archE910ELNS1_3gpuE8ELNS1_3repE0EEENS1_47radix_sort_onesweep_sort_config_static_selectorELNS0_4arch9wavefront6targetE0EEEvSG_: ; @_ZN7rocprim17ROCPRIM_400000_NS6detail17trampoline_kernelINS0_14default_configENS1_35radix_sort_onesweep_config_selectorIaNS0_10empty_typeEEEZZNS1_29radix_sort_onesweep_iterationIS3_Lb0EPKaPaPS5_SB_mNS0_19identity_decomposerENS1_16block_id_wrapperIjLb1EEEEE10hipError_tT1_PNSt15iterator_traitsISG_E10value_typeET2_T3_PNSH_ISM_E10value_typeET4_T5_PSR_SS_PNS1_23onesweep_lookback_stateEbbT6_jjT7_P12ihipStream_tbENKUlT_T0_SG_SL_E_clIS9_SA_SB_SB_EEDaSZ_S10_SG_SL_EUlSZ_E_NS1_11comp_targetILNS1_3genE4ELNS1_11target_archE910ELNS1_3gpuE8ELNS1_3repE0EEENS1_47radix_sort_onesweep_sort_config_static_selectorELNS0_4arch9wavefront6targetE0EEEvSG_
; %bb.0:
	.section	.rodata,"a",@progbits
	.p2align	6, 0x0
	.amdhsa_kernel _ZN7rocprim17ROCPRIM_400000_NS6detail17trampoline_kernelINS0_14default_configENS1_35radix_sort_onesweep_config_selectorIaNS0_10empty_typeEEEZZNS1_29radix_sort_onesweep_iterationIS3_Lb0EPKaPaPS5_SB_mNS0_19identity_decomposerENS1_16block_id_wrapperIjLb1EEEEE10hipError_tT1_PNSt15iterator_traitsISG_E10value_typeET2_T3_PNSH_ISM_E10value_typeET4_T5_PSR_SS_PNS1_23onesweep_lookback_stateEbbT6_jjT7_P12ihipStream_tbENKUlT_T0_SG_SL_E_clIS9_SA_SB_SB_EEDaSZ_S10_SG_SL_EUlSZ_E_NS1_11comp_targetILNS1_3genE4ELNS1_11target_archE910ELNS1_3gpuE8ELNS1_3repE0EEENS1_47radix_sort_onesweep_sort_config_static_selectorELNS0_4arch9wavefront6targetE0EEEvSG_
		.amdhsa_group_segment_fixed_size 0
		.amdhsa_private_segment_fixed_size 0
		.amdhsa_kernarg_size 88
		.amdhsa_user_sgpr_count 2
		.amdhsa_user_sgpr_dispatch_ptr 0
		.amdhsa_user_sgpr_queue_ptr 0
		.amdhsa_user_sgpr_kernarg_segment_ptr 1
		.amdhsa_user_sgpr_dispatch_id 0
		.amdhsa_user_sgpr_kernarg_preload_length 0
		.amdhsa_user_sgpr_kernarg_preload_offset 0
		.amdhsa_user_sgpr_private_segment_size 0
		.amdhsa_wavefront_size32 1
		.amdhsa_uses_dynamic_stack 0
		.amdhsa_enable_private_segment 0
		.amdhsa_system_sgpr_workgroup_id_x 1
		.amdhsa_system_sgpr_workgroup_id_y 0
		.amdhsa_system_sgpr_workgroup_id_z 0
		.amdhsa_system_sgpr_workgroup_info 0
		.amdhsa_system_vgpr_workitem_id 0
		.amdhsa_next_free_vgpr 1
		.amdhsa_next_free_sgpr 1
		.amdhsa_named_barrier_count 0
		.amdhsa_reserve_vcc 0
		.amdhsa_float_round_mode_32 0
		.amdhsa_float_round_mode_16_64 0
		.amdhsa_float_denorm_mode_32 3
		.amdhsa_float_denorm_mode_16_64 3
		.amdhsa_fp16_overflow 0
		.amdhsa_memory_ordered 1
		.amdhsa_forward_progress 1
		.amdhsa_inst_pref_size 0
		.amdhsa_round_robin_scheduling 0
		.amdhsa_exception_fp_ieee_invalid_op 0
		.amdhsa_exception_fp_denorm_src 0
		.amdhsa_exception_fp_ieee_div_zero 0
		.amdhsa_exception_fp_ieee_overflow 0
		.amdhsa_exception_fp_ieee_underflow 0
		.amdhsa_exception_fp_ieee_inexact 0
		.amdhsa_exception_int_div_zero 0
	.end_amdhsa_kernel
	.section	.text._ZN7rocprim17ROCPRIM_400000_NS6detail17trampoline_kernelINS0_14default_configENS1_35radix_sort_onesweep_config_selectorIaNS0_10empty_typeEEEZZNS1_29radix_sort_onesweep_iterationIS3_Lb0EPKaPaPS5_SB_mNS0_19identity_decomposerENS1_16block_id_wrapperIjLb1EEEEE10hipError_tT1_PNSt15iterator_traitsISG_E10value_typeET2_T3_PNSH_ISM_E10value_typeET4_T5_PSR_SS_PNS1_23onesweep_lookback_stateEbbT6_jjT7_P12ihipStream_tbENKUlT_T0_SG_SL_E_clIS9_SA_SB_SB_EEDaSZ_S10_SG_SL_EUlSZ_E_NS1_11comp_targetILNS1_3genE4ELNS1_11target_archE910ELNS1_3gpuE8ELNS1_3repE0EEENS1_47radix_sort_onesweep_sort_config_static_selectorELNS0_4arch9wavefront6targetE0EEEvSG_,"axG",@progbits,_ZN7rocprim17ROCPRIM_400000_NS6detail17trampoline_kernelINS0_14default_configENS1_35radix_sort_onesweep_config_selectorIaNS0_10empty_typeEEEZZNS1_29radix_sort_onesweep_iterationIS3_Lb0EPKaPaPS5_SB_mNS0_19identity_decomposerENS1_16block_id_wrapperIjLb1EEEEE10hipError_tT1_PNSt15iterator_traitsISG_E10value_typeET2_T3_PNSH_ISM_E10value_typeET4_T5_PSR_SS_PNS1_23onesweep_lookback_stateEbbT6_jjT7_P12ihipStream_tbENKUlT_T0_SG_SL_E_clIS9_SA_SB_SB_EEDaSZ_S10_SG_SL_EUlSZ_E_NS1_11comp_targetILNS1_3genE4ELNS1_11target_archE910ELNS1_3gpuE8ELNS1_3repE0EEENS1_47radix_sort_onesweep_sort_config_static_selectorELNS0_4arch9wavefront6targetE0EEEvSG_,comdat
.Lfunc_end470:
	.size	_ZN7rocprim17ROCPRIM_400000_NS6detail17trampoline_kernelINS0_14default_configENS1_35radix_sort_onesweep_config_selectorIaNS0_10empty_typeEEEZZNS1_29radix_sort_onesweep_iterationIS3_Lb0EPKaPaPS5_SB_mNS0_19identity_decomposerENS1_16block_id_wrapperIjLb1EEEEE10hipError_tT1_PNSt15iterator_traitsISG_E10value_typeET2_T3_PNSH_ISM_E10value_typeET4_T5_PSR_SS_PNS1_23onesweep_lookback_stateEbbT6_jjT7_P12ihipStream_tbENKUlT_T0_SG_SL_E_clIS9_SA_SB_SB_EEDaSZ_S10_SG_SL_EUlSZ_E_NS1_11comp_targetILNS1_3genE4ELNS1_11target_archE910ELNS1_3gpuE8ELNS1_3repE0EEENS1_47radix_sort_onesweep_sort_config_static_selectorELNS0_4arch9wavefront6targetE0EEEvSG_, .Lfunc_end470-_ZN7rocprim17ROCPRIM_400000_NS6detail17trampoline_kernelINS0_14default_configENS1_35radix_sort_onesweep_config_selectorIaNS0_10empty_typeEEEZZNS1_29radix_sort_onesweep_iterationIS3_Lb0EPKaPaPS5_SB_mNS0_19identity_decomposerENS1_16block_id_wrapperIjLb1EEEEE10hipError_tT1_PNSt15iterator_traitsISG_E10value_typeET2_T3_PNSH_ISM_E10value_typeET4_T5_PSR_SS_PNS1_23onesweep_lookback_stateEbbT6_jjT7_P12ihipStream_tbENKUlT_T0_SG_SL_E_clIS9_SA_SB_SB_EEDaSZ_S10_SG_SL_EUlSZ_E_NS1_11comp_targetILNS1_3genE4ELNS1_11target_archE910ELNS1_3gpuE8ELNS1_3repE0EEENS1_47radix_sort_onesweep_sort_config_static_selectorELNS0_4arch9wavefront6targetE0EEEvSG_
                                        ; -- End function
	.set _ZN7rocprim17ROCPRIM_400000_NS6detail17trampoline_kernelINS0_14default_configENS1_35radix_sort_onesweep_config_selectorIaNS0_10empty_typeEEEZZNS1_29radix_sort_onesweep_iterationIS3_Lb0EPKaPaPS5_SB_mNS0_19identity_decomposerENS1_16block_id_wrapperIjLb1EEEEE10hipError_tT1_PNSt15iterator_traitsISG_E10value_typeET2_T3_PNSH_ISM_E10value_typeET4_T5_PSR_SS_PNS1_23onesweep_lookback_stateEbbT6_jjT7_P12ihipStream_tbENKUlT_T0_SG_SL_E_clIS9_SA_SB_SB_EEDaSZ_S10_SG_SL_EUlSZ_E_NS1_11comp_targetILNS1_3genE4ELNS1_11target_archE910ELNS1_3gpuE8ELNS1_3repE0EEENS1_47radix_sort_onesweep_sort_config_static_selectorELNS0_4arch9wavefront6targetE0EEEvSG_.num_vgpr, 0
	.set _ZN7rocprim17ROCPRIM_400000_NS6detail17trampoline_kernelINS0_14default_configENS1_35radix_sort_onesweep_config_selectorIaNS0_10empty_typeEEEZZNS1_29radix_sort_onesweep_iterationIS3_Lb0EPKaPaPS5_SB_mNS0_19identity_decomposerENS1_16block_id_wrapperIjLb1EEEEE10hipError_tT1_PNSt15iterator_traitsISG_E10value_typeET2_T3_PNSH_ISM_E10value_typeET4_T5_PSR_SS_PNS1_23onesweep_lookback_stateEbbT6_jjT7_P12ihipStream_tbENKUlT_T0_SG_SL_E_clIS9_SA_SB_SB_EEDaSZ_S10_SG_SL_EUlSZ_E_NS1_11comp_targetILNS1_3genE4ELNS1_11target_archE910ELNS1_3gpuE8ELNS1_3repE0EEENS1_47radix_sort_onesweep_sort_config_static_selectorELNS0_4arch9wavefront6targetE0EEEvSG_.num_agpr, 0
	.set _ZN7rocprim17ROCPRIM_400000_NS6detail17trampoline_kernelINS0_14default_configENS1_35radix_sort_onesweep_config_selectorIaNS0_10empty_typeEEEZZNS1_29radix_sort_onesweep_iterationIS3_Lb0EPKaPaPS5_SB_mNS0_19identity_decomposerENS1_16block_id_wrapperIjLb1EEEEE10hipError_tT1_PNSt15iterator_traitsISG_E10value_typeET2_T3_PNSH_ISM_E10value_typeET4_T5_PSR_SS_PNS1_23onesweep_lookback_stateEbbT6_jjT7_P12ihipStream_tbENKUlT_T0_SG_SL_E_clIS9_SA_SB_SB_EEDaSZ_S10_SG_SL_EUlSZ_E_NS1_11comp_targetILNS1_3genE4ELNS1_11target_archE910ELNS1_3gpuE8ELNS1_3repE0EEENS1_47radix_sort_onesweep_sort_config_static_selectorELNS0_4arch9wavefront6targetE0EEEvSG_.numbered_sgpr, 0
	.set _ZN7rocprim17ROCPRIM_400000_NS6detail17trampoline_kernelINS0_14default_configENS1_35radix_sort_onesweep_config_selectorIaNS0_10empty_typeEEEZZNS1_29radix_sort_onesweep_iterationIS3_Lb0EPKaPaPS5_SB_mNS0_19identity_decomposerENS1_16block_id_wrapperIjLb1EEEEE10hipError_tT1_PNSt15iterator_traitsISG_E10value_typeET2_T3_PNSH_ISM_E10value_typeET4_T5_PSR_SS_PNS1_23onesweep_lookback_stateEbbT6_jjT7_P12ihipStream_tbENKUlT_T0_SG_SL_E_clIS9_SA_SB_SB_EEDaSZ_S10_SG_SL_EUlSZ_E_NS1_11comp_targetILNS1_3genE4ELNS1_11target_archE910ELNS1_3gpuE8ELNS1_3repE0EEENS1_47radix_sort_onesweep_sort_config_static_selectorELNS0_4arch9wavefront6targetE0EEEvSG_.num_named_barrier, 0
	.set _ZN7rocprim17ROCPRIM_400000_NS6detail17trampoline_kernelINS0_14default_configENS1_35radix_sort_onesweep_config_selectorIaNS0_10empty_typeEEEZZNS1_29radix_sort_onesweep_iterationIS3_Lb0EPKaPaPS5_SB_mNS0_19identity_decomposerENS1_16block_id_wrapperIjLb1EEEEE10hipError_tT1_PNSt15iterator_traitsISG_E10value_typeET2_T3_PNSH_ISM_E10value_typeET4_T5_PSR_SS_PNS1_23onesweep_lookback_stateEbbT6_jjT7_P12ihipStream_tbENKUlT_T0_SG_SL_E_clIS9_SA_SB_SB_EEDaSZ_S10_SG_SL_EUlSZ_E_NS1_11comp_targetILNS1_3genE4ELNS1_11target_archE910ELNS1_3gpuE8ELNS1_3repE0EEENS1_47radix_sort_onesweep_sort_config_static_selectorELNS0_4arch9wavefront6targetE0EEEvSG_.private_seg_size, 0
	.set _ZN7rocprim17ROCPRIM_400000_NS6detail17trampoline_kernelINS0_14default_configENS1_35radix_sort_onesweep_config_selectorIaNS0_10empty_typeEEEZZNS1_29radix_sort_onesweep_iterationIS3_Lb0EPKaPaPS5_SB_mNS0_19identity_decomposerENS1_16block_id_wrapperIjLb1EEEEE10hipError_tT1_PNSt15iterator_traitsISG_E10value_typeET2_T3_PNSH_ISM_E10value_typeET4_T5_PSR_SS_PNS1_23onesweep_lookback_stateEbbT6_jjT7_P12ihipStream_tbENKUlT_T0_SG_SL_E_clIS9_SA_SB_SB_EEDaSZ_S10_SG_SL_EUlSZ_E_NS1_11comp_targetILNS1_3genE4ELNS1_11target_archE910ELNS1_3gpuE8ELNS1_3repE0EEENS1_47radix_sort_onesweep_sort_config_static_selectorELNS0_4arch9wavefront6targetE0EEEvSG_.uses_vcc, 0
	.set _ZN7rocprim17ROCPRIM_400000_NS6detail17trampoline_kernelINS0_14default_configENS1_35radix_sort_onesweep_config_selectorIaNS0_10empty_typeEEEZZNS1_29radix_sort_onesweep_iterationIS3_Lb0EPKaPaPS5_SB_mNS0_19identity_decomposerENS1_16block_id_wrapperIjLb1EEEEE10hipError_tT1_PNSt15iterator_traitsISG_E10value_typeET2_T3_PNSH_ISM_E10value_typeET4_T5_PSR_SS_PNS1_23onesweep_lookback_stateEbbT6_jjT7_P12ihipStream_tbENKUlT_T0_SG_SL_E_clIS9_SA_SB_SB_EEDaSZ_S10_SG_SL_EUlSZ_E_NS1_11comp_targetILNS1_3genE4ELNS1_11target_archE910ELNS1_3gpuE8ELNS1_3repE0EEENS1_47radix_sort_onesweep_sort_config_static_selectorELNS0_4arch9wavefront6targetE0EEEvSG_.uses_flat_scratch, 0
	.set _ZN7rocprim17ROCPRIM_400000_NS6detail17trampoline_kernelINS0_14default_configENS1_35radix_sort_onesweep_config_selectorIaNS0_10empty_typeEEEZZNS1_29radix_sort_onesweep_iterationIS3_Lb0EPKaPaPS5_SB_mNS0_19identity_decomposerENS1_16block_id_wrapperIjLb1EEEEE10hipError_tT1_PNSt15iterator_traitsISG_E10value_typeET2_T3_PNSH_ISM_E10value_typeET4_T5_PSR_SS_PNS1_23onesweep_lookback_stateEbbT6_jjT7_P12ihipStream_tbENKUlT_T0_SG_SL_E_clIS9_SA_SB_SB_EEDaSZ_S10_SG_SL_EUlSZ_E_NS1_11comp_targetILNS1_3genE4ELNS1_11target_archE910ELNS1_3gpuE8ELNS1_3repE0EEENS1_47radix_sort_onesweep_sort_config_static_selectorELNS0_4arch9wavefront6targetE0EEEvSG_.has_dyn_sized_stack, 0
	.set _ZN7rocprim17ROCPRIM_400000_NS6detail17trampoline_kernelINS0_14default_configENS1_35radix_sort_onesweep_config_selectorIaNS0_10empty_typeEEEZZNS1_29radix_sort_onesweep_iterationIS3_Lb0EPKaPaPS5_SB_mNS0_19identity_decomposerENS1_16block_id_wrapperIjLb1EEEEE10hipError_tT1_PNSt15iterator_traitsISG_E10value_typeET2_T3_PNSH_ISM_E10value_typeET4_T5_PSR_SS_PNS1_23onesweep_lookback_stateEbbT6_jjT7_P12ihipStream_tbENKUlT_T0_SG_SL_E_clIS9_SA_SB_SB_EEDaSZ_S10_SG_SL_EUlSZ_E_NS1_11comp_targetILNS1_3genE4ELNS1_11target_archE910ELNS1_3gpuE8ELNS1_3repE0EEENS1_47radix_sort_onesweep_sort_config_static_selectorELNS0_4arch9wavefront6targetE0EEEvSG_.has_recursion, 0
	.set _ZN7rocprim17ROCPRIM_400000_NS6detail17trampoline_kernelINS0_14default_configENS1_35radix_sort_onesweep_config_selectorIaNS0_10empty_typeEEEZZNS1_29radix_sort_onesweep_iterationIS3_Lb0EPKaPaPS5_SB_mNS0_19identity_decomposerENS1_16block_id_wrapperIjLb1EEEEE10hipError_tT1_PNSt15iterator_traitsISG_E10value_typeET2_T3_PNSH_ISM_E10value_typeET4_T5_PSR_SS_PNS1_23onesweep_lookback_stateEbbT6_jjT7_P12ihipStream_tbENKUlT_T0_SG_SL_E_clIS9_SA_SB_SB_EEDaSZ_S10_SG_SL_EUlSZ_E_NS1_11comp_targetILNS1_3genE4ELNS1_11target_archE910ELNS1_3gpuE8ELNS1_3repE0EEENS1_47radix_sort_onesweep_sort_config_static_selectorELNS0_4arch9wavefront6targetE0EEEvSG_.has_indirect_call, 0
	.section	.AMDGPU.csdata,"",@progbits
; Kernel info:
; codeLenInByte = 0
; TotalNumSgprs: 0
; NumVgprs: 0
; ScratchSize: 0
; MemoryBound: 0
; FloatMode: 240
; IeeeMode: 1
; LDSByteSize: 0 bytes/workgroup (compile time only)
; SGPRBlocks: 0
; VGPRBlocks: 0
; NumSGPRsForWavesPerEU: 1
; NumVGPRsForWavesPerEU: 1
; NamedBarCnt: 0
; Occupancy: 16
; WaveLimiterHint : 0
; COMPUTE_PGM_RSRC2:SCRATCH_EN: 0
; COMPUTE_PGM_RSRC2:USER_SGPR: 2
; COMPUTE_PGM_RSRC2:TRAP_HANDLER: 0
; COMPUTE_PGM_RSRC2:TGID_X_EN: 1
; COMPUTE_PGM_RSRC2:TGID_Y_EN: 0
; COMPUTE_PGM_RSRC2:TGID_Z_EN: 0
; COMPUTE_PGM_RSRC2:TIDIG_COMP_CNT: 0
	.section	.text._ZN7rocprim17ROCPRIM_400000_NS6detail17trampoline_kernelINS0_14default_configENS1_35radix_sort_onesweep_config_selectorIaNS0_10empty_typeEEEZZNS1_29radix_sort_onesweep_iterationIS3_Lb0EPKaPaPS5_SB_mNS0_19identity_decomposerENS1_16block_id_wrapperIjLb1EEEEE10hipError_tT1_PNSt15iterator_traitsISG_E10value_typeET2_T3_PNSH_ISM_E10value_typeET4_T5_PSR_SS_PNS1_23onesweep_lookback_stateEbbT6_jjT7_P12ihipStream_tbENKUlT_T0_SG_SL_E_clIS9_SA_SB_SB_EEDaSZ_S10_SG_SL_EUlSZ_E_NS1_11comp_targetILNS1_3genE3ELNS1_11target_archE908ELNS1_3gpuE7ELNS1_3repE0EEENS1_47radix_sort_onesweep_sort_config_static_selectorELNS0_4arch9wavefront6targetE0EEEvSG_,"axG",@progbits,_ZN7rocprim17ROCPRIM_400000_NS6detail17trampoline_kernelINS0_14default_configENS1_35radix_sort_onesweep_config_selectorIaNS0_10empty_typeEEEZZNS1_29radix_sort_onesweep_iterationIS3_Lb0EPKaPaPS5_SB_mNS0_19identity_decomposerENS1_16block_id_wrapperIjLb1EEEEE10hipError_tT1_PNSt15iterator_traitsISG_E10value_typeET2_T3_PNSH_ISM_E10value_typeET4_T5_PSR_SS_PNS1_23onesweep_lookback_stateEbbT6_jjT7_P12ihipStream_tbENKUlT_T0_SG_SL_E_clIS9_SA_SB_SB_EEDaSZ_S10_SG_SL_EUlSZ_E_NS1_11comp_targetILNS1_3genE3ELNS1_11target_archE908ELNS1_3gpuE7ELNS1_3repE0EEENS1_47radix_sort_onesweep_sort_config_static_selectorELNS0_4arch9wavefront6targetE0EEEvSG_,comdat
	.protected	_ZN7rocprim17ROCPRIM_400000_NS6detail17trampoline_kernelINS0_14default_configENS1_35radix_sort_onesweep_config_selectorIaNS0_10empty_typeEEEZZNS1_29radix_sort_onesweep_iterationIS3_Lb0EPKaPaPS5_SB_mNS0_19identity_decomposerENS1_16block_id_wrapperIjLb1EEEEE10hipError_tT1_PNSt15iterator_traitsISG_E10value_typeET2_T3_PNSH_ISM_E10value_typeET4_T5_PSR_SS_PNS1_23onesweep_lookback_stateEbbT6_jjT7_P12ihipStream_tbENKUlT_T0_SG_SL_E_clIS9_SA_SB_SB_EEDaSZ_S10_SG_SL_EUlSZ_E_NS1_11comp_targetILNS1_3genE3ELNS1_11target_archE908ELNS1_3gpuE7ELNS1_3repE0EEENS1_47radix_sort_onesweep_sort_config_static_selectorELNS0_4arch9wavefront6targetE0EEEvSG_ ; -- Begin function _ZN7rocprim17ROCPRIM_400000_NS6detail17trampoline_kernelINS0_14default_configENS1_35radix_sort_onesweep_config_selectorIaNS0_10empty_typeEEEZZNS1_29radix_sort_onesweep_iterationIS3_Lb0EPKaPaPS5_SB_mNS0_19identity_decomposerENS1_16block_id_wrapperIjLb1EEEEE10hipError_tT1_PNSt15iterator_traitsISG_E10value_typeET2_T3_PNSH_ISM_E10value_typeET4_T5_PSR_SS_PNS1_23onesweep_lookback_stateEbbT6_jjT7_P12ihipStream_tbENKUlT_T0_SG_SL_E_clIS9_SA_SB_SB_EEDaSZ_S10_SG_SL_EUlSZ_E_NS1_11comp_targetILNS1_3genE3ELNS1_11target_archE908ELNS1_3gpuE7ELNS1_3repE0EEENS1_47radix_sort_onesweep_sort_config_static_selectorELNS0_4arch9wavefront6targetE0EEEvSG_
	.globl	_ZN7rocprim17ROCPRIM_400000_NS6detail17trampoline_kernelINS0_14default_configENS1_35radix_sort_onesweep_config_selectorIaNS0_10empty_typeEEEZZNS1_29radix_sort_onesweep_iterationIS3_Lb0EPKaPaPS5_SB_mNS0_19identity_decomposerENS1_16block_id_wrapperIjLb1EEEEE10hipError_tT1_PNSt15iterator_traitsISG_E10value_typeET2_T3_PNSH_ISM_E10value_typeET4_T5_PSR_SS_PNS1_23onesweep_lookback_stateEbbT6_jjT7_P12ihipStream_tbENKUlT_T0_SG_SL_E_clIS9_SA_SB_SB_EEDaSZ_S10_SG_SL_EUlSZ_E_NS1_11comp_targetILNS1_3genE3ELNS1_11target_archE908ELNS1_3gpuE7ELNS1_3repE0EEENS1_47radix_sort_onesweep_sort_config_static_selectorELNS0_4arch9wavefront6targetE0EEEvSG_
	.p2align	8
	.type	_ZN7rocprim17ROCPRIM_400000_NS6detail17trampoline_kernelINS0_14default_configENS1_35radix_sort_onesweep_config_selectorIaNS0_10empty_typeEEEZZNS1_29radix_sort_onesweep_iterationIS3_Lb0EPKaPaPS5_SB_mNS0_19identity_decomposerENS1_16block_id_wrapperIjLb1EEEEE10hipError_tT1_PNSt15iterator_traitsISG_E10value_typeET2_T3_PNSH_ISM_E10value_typeET4_T5_PSR_SS_PNS1_23onesweep_lookback_stateEbbT6_jjT7_P12ihipStream_tbENKUlT_T0_SG_SL_E_clIS9_SA_SB_SB_EEDaSZ_S10_SG_SL_EUlSZ_E_NS1_11comp_targetILNS1_3genE3ELNS1_11target_archE908ELNS1_3gpuE7ELNS1_3repE0EEENS1_47radix_sort_onesweep_sort_config_static_selectorELNS0_4arch9wavefront6targetE0EEEvSG_,@function
_ZN7rocprim17ROCPRIM_400000_NS6detail17trampoline_kernelINS0_14default_configENS1_35radix_sort_onesweep_config_selectorIaNS0_10empty_typeEEEZZNS1_29radix_sort_onesweep_iterationIS3_Lb0EPKaPaPS5_SB_mNS0_19identity_decomposerENS1_16block_id_wrapperIjLb1EEEEE10hipError_tT1_PNSt15iterator_traitsISG_E10value_typeET2_T3_PNSH_ISM_E10value_typeET4_T5_PSR_SS_PNS1_23onesweep_lookback_stateEbbT6_jjT7_P12ihipStream_tbENKUlT_T0_SG_SL_E_clIS9_SA_SB_SB_EEDaSZ_S10_SG_SL_EUlSZ_E_NS1_11comp_targetILNS1_3genE3ELNS1_11target_archE908ELNS1_3gpuE7ELNS1_3repE0EEENS1_47radix_sort_onesweep_sort_config_static_selectorELNS0_4arch9wavefront6targetE0EEEvSG_: ; @_ZN7rocprim17ROCPRIM_400000_NS6detail17trampoline_kernelINS0_14default_configENS1_35radix_sort_onesweep_config_selectorIaNS0_10empty_typeEEEZZNS1_29radix_sort_onesweep_iterationIS3_Lb0EPKaPaPS5_SB_mNS0_19identity_decomposerENS1_16block_id_wrapperIjLb1EEEEE10hipError_tT1_PNSt15iterator_traitsISG_E10value_typeET2_T3_PNSH_ISM_E10value_typeET4_T5_PSR_SS_PNS1_23onesweep_lookback_stateEbbT6_jjT7_P12ihipStream_tbENKUlT_T0_SG_SL_E_clIS9_SA_SB_SB_EEDaSZ_S10_SG_SL_EUlSZ_E_NS1_11comp_targetILNS1_3genE3ELNS1_11target_archE908ELNS1_3gpuE7ELNS1_3repE0EEENS1_47radix_sort_onesweep_sort_config_static_selectorELNS0_4arch9wavefront6targetE0EEEvSG_
; %bb.0:
	.section	.rodata,"a",@progbits
	.p2align	6, 0x0
	.amdhsa_kernel _ZN7rocprim17ROCPRIM_400000_NS6detail17trampoline_kernelINS0_14default_configENS1_35radix_sort_onesweep_config_selectorIaNS0_10empty_typeEEEZZNS1_29radix_sort_onesweep_iterationIS3_Lb0EPKaPaPS5_SB_mNS0_19identity_decomposerENS1_16block_id_wrapperIjLb1EEEEE10hipError_tT1_PNSt15iterator_traitsISG_E10value_typeET2_T3_PNSH_ISM_E10value_typeET4_T5_PSR_SS_PNS1_23onesweep_lookback_stateEbbT6_jjT7_P12ihipStream_tbENKUlT_T0_SG_SL_E_clIS9_SA_SB_SB_EEDaSZ_S10_SG_SL_EUlSZ_E_NS1_11comp_targetILNS1_3genE3ELNS1_11target_archE908ELNS1_3gpuE7ELNS1_3repE0EEENS1_47radix_sort_onesweep_sort_config_static_selectorELNS0_4arch9wavefront6targetE0EEEvSG_
		.amdhsa_group_segment_fixed_size 0
		.amdhsa_private_segment_fixed_size 0
		.amdhsa_kernarg_size 88
		.amdhsa_user_sgpr_count 2
		.amdhsa_user_sgpr_dispatch_ptr 0
		.amdhsa_user_sgpr_queue_ptr 0
		.amdhsa_user_sgpr_kernarg_segment_ptr 1
		.amdhsa_user_sgpr_dispatch_id 0
		.amdhsa_user_sgpr_kernarg_preload_length 0
		.amdhsa_user_sgpr_kernarg_preload_offset 0
		.amdhsa_user_sgpr_private_segment_size 0
		.amdhsa_wavefront_size32 1
		.amdhsa_uses_dynamic_stack 0
		.amdhsa_enable_private_segment 0
		.amdhsa_system_sgpr_workgroup_id_x 1
		.amdhsa_system_sgpr_workgroup_id_y 0
		.amdhsa_system_sgpr_workgroup_id_z 0
		.amdhsa_system_sgpr_workgroup_info 0
		.amdhsa_system_vgpr_workitem_id 0
		.amdhsa_next_free_vgpr 1
		.amdhsa_next_free_sgpr 1
		.amdhsa_named_barrier_count 0
		.amdhsa_reserve_vcc 0
		.amdhsa_float_round_mode_32 0
		.amdhsa_float_round_mode_16_64 0
		.amdhsa_float_denorm_mode_32 3
		.amdhsa_float_denorm_mode_16_64 3
		.amdhsa_fp16_overflow 0
		.amdhsa_memory_ordered 1
		.amdhsa_forward_progress 1
		.amdhsa_inst_pref_size 0
		.amdhsa_round_robin_scheduling 0
		.amdhsa_exception_fp_ieee_invalid_op 0
		.amdhsa_exception_fp_denorm_src 0
		.amdhsa_exception_fp_ieee_div_zero 0
		.amdhsa_exception_fp_ieee_overflow 0
		.amdhsa_exception_fp_ieee_underflow 0
		.amdhsa_exception_fp_ieee_inexact 0
		.amdhsa_exception_int_div_zero 0
	.end_amdhsa_kernel
	.section	.text._ZN7rocprim17ROCPRIM_400000_NS6detail17trampoline_kernelINS0_14default_configENS1_35radix_sort_onesweep_config_selectorIaNS0_10empty_typeEEEZZNS1_29radix_sort_onesweep_iterationIS3_Lb0EPKaPaPS5_SB_mNS0_19identity_decomposerENS1_16block_id_wrapperIjLb1EEEEE10hipError_tT1_PNSt15iterator_traitsISG_E10value_typeET2_T3_PNSH_ISM_E10value_typeET4_T5_PSR_SS_PNS1_23onesweep_lookback_stateEbbT6_jjT7_P12ihipStream_tbENKUlT_T0_SG_SL_E_clIS9_SA_SB_SB_EEDaSZ_S10_SG_SL_EUlSZ_E_NS1_11comp_targetILNS1_3genE3ELNS1_11target_archE908ELNS1_3gpuE7ELNS1_3repE0EEENS1_47radix_sort_onesweep_sort_config_static_selectorELNS0_4arch9wavefront6targetE0EEEvSG_,"axG",@progbits,_ZN7rocprim17ROCPRIM_400000_NS6detail17trampoline_kernelINS0_14default_configENS1_35radix_sort_onesweep_config_selectorIaNS0_10empty_typeEEEZZNS1_29radix_sort_onesweep_iterationIS3_Lb0EPKaPaPS5_SB_mNS0_19identity_decomposerENS1_16block_id_wrapperIjLb1EEEEE10hipError_tT1_PNSt15iterator_traitsISG_E10value_typeET2_T3_PNSH_ISM_E10value_typeET4_T5_PSR_SS_PNS1_23onesweep_lookback_stateEbbT6_jjT7_P12ihipStream_tbENKUlT_T0_SG_SL_E_clIS9_SA_SB_SB_EEDaSZ_S10_SG_SL_EUlSZ_E_NS1_11comp_targetILNS1_3genE3ELNS1_11target_archE908ELNS1_3gpuE7ELNS1_3repE0EEENS1_47radix_sort_onesweep_sort_config_static_selectorELNS0_4arch9wavefront6targetE0EEEvSG_,comdat
.Lfunc_end471:
	.size	_ZN7rocprim17ROCPRIM_400000_NS6detail17trampoline_kernelINS0_14default_configENS1_35radix_sort_onesweep_config_selectorIaNS0_10empty_typeEEEZZNS1_29radix_sort_onesweep_iterationIS3_Lb0EPKaPaPS5_SB_mNS0_19identity_decomposerENS1_16block_id_wrapperIjLb1EEEEE10hipError_tT1_PNSt15iterator_traitsISG_E10value_typeET2_T3_PNSH_ISM_E10value_typeET4_T5_PSR_SS_PNS1_23onesweep_lookback_stateEbbT6_jjT7_P12ihipStream_tbENKUlT_T0_SG_SL_E_clIS9_SA_SB_SB_EEDaSZ_S10_SG_SL_EUlSZ_E_NS1_11comp_targetILNS1_3genE3ELNS1_11target_archE908ELNS1_3gpuE7ELNS1_3repE0EEENS1_47radix_sort_onesweep_sort_config_static_selectorELNS0_4arch9wavefront6targetE0EEEvSG_, .Lfunc_end471-_ZN7rocprim17ROCPRIM_400000_NS6detail17trampoline_kernelINS0_14default_configENS1_35radix_sort_onesweep_config_selectorIaNS0_10empty_typeEEEZZNS1_29radix_sort_onesweep_iterationIS3_Lb0EPKaPaPS5_SB_mNS0_19identity_decomposerENS1_16block_id_wrapperIjLb1EEEEE10hipError_tT1_PNSt15iterator_traitsISG_E10value_typeET2_T3_PNSH_ISM_E10value_typeET4_T5_PSR_SS_PNS1_23onesweep_lookback_stateEbbT6_jjT7_P12ihipStream_tbENKUlT_T0_SG_SL_E_clIS9_SA_SB_SB_EEDaSZ_S10_SG_SL_EUlSZ_E_NS1_11comp_targetILNS1_3genE3ELNS1_11target_archE908ELNS1_3gpuE7ELNS1_3repE0EEENS1_47radix_sort_onesweep_sort_config_static_selectorELNS0_4arch9wavefront6targetE0EEEvSG_
                                        ; -- End function
	.set _ZN7rocprim17ROCPRIM_400000_NS6detail17trampoline_kernelINS0_14default_configENS1_35radix_sort_onesweep_config_selectorIaNS0_10empty_typeEEEZZNS1_29radix_sort_onesweep_iterationIS3_Lb0EPKaPaPS5_SB_mNS0_19identity_decomposerENS1_16block_id_wrapperIjLb1EEEEE10hipError_tT1_PNSt15iterator_traitsISG_E10value_typeET2_T3_PNSH_ISM_E10value_typeET4_T5_PSR_SS_PNS1_23onesweep_lookback_stateEbbT6_jjT7_P12ihipStream_tbENKUlT_T0_SG_SL_E_clIS9_SA_SB_SB_EEDaSZ_S10_SG_SL_EUlSZ_E_NS1_11comp_targetILNS1_3genE3ELNS1_11target_archE908ELNS1_3gpuE7ELNS1_3repE0EEENS1_47radix_sort_onesweep_sort_config_static_selectorELNS0_4arch9wavefront6targetE0EEEvSG_.num_vgpr, 0
	.set _ZN7rocprim17ROCPRIM_400000_NS6detail17trampoline_kernelINS0_14default_configENS1_35radix_sort_onesweep_config_selectorIaNS0_10empty_typeEEEZZNS1_29radix_sort_onesweep_iterationIS3_Lb0EPKaPaPS5_SB_mNS0_19identity_decomposerENS1_16block_id_wrapperIjLb1EEEEE10hipError_tT1_PNSt15iterator_traitsISG_E10value_typeET2_T3_PNSH_ISM_E10value_typeET4_T5_PSR_SS_PNS1_23onesweep_lookback_stateEbbT6_jjT7_P12ihipStream_tbENKUlT_T0_SG_SL_E_clIS9_SA_SB_SB_EEDaSZ_S10_SG_SL_EUlSZ_E_NS1_11comp_targetILNS1_3genE3ELNS1_11target_archE908ELNS1_3gpuE7ELNS1_3repE0EEENS1_47radix_sort_onesweep_sort_config_static_selectorELNS0_4arch9wavefront6targetE0EEEvSG_.num_agpr, 0
	.set _ZN7rocprim17ROCPRIM_400000_NS6detail17trampoline_kernelINS0_14default_configENS1_35radix_sort_onesweep_config_selectorIaNS0_10empty_typeEEEZZNS1_29radix_sort_onesweep_iterationIS3_Lb0EPKaPaPS5_SB_mNS0_19identity_decomposerENS1_16block_id_wrapperIjLb1EEEEE10hipError_tT1_PNSt15iterator_traitsISG_E10value_typeET2_T3_PNSH_ISM_E10value_typeET4_T5_PSR_SS_PNS1_23onesweep_lookback_stateEbbT6_jjT7_P12ihipStream_tbENKUlT_T0_SG_SL_E_clIS9_SA_SB_SB_EEDaSZ_S10_SG_SL_EUlSZ_E_NS1_11comp_targetILNS1_3genE3ELNS1_11target_archE908ELNS1_3gpuE7ELNS1_3repE0EEENS1_47radix_sort_onesweep_sort_config_static_selectorELNS0_4arch9wavefront6targetE0EEEvSG_.numbered_sgpr, 0
	.set _ZN7rocprim17ROCPRIM_400000_NS6detail17trampoline_kernelINS0_14default_configENS1_35radix_sort_onesweep_config_selectorIaNS0_10empty_typeEEEZZNS1_29radix_sort_onesweep_iterationIS3_Lb0EPKaPaPS5_SB_mNS0_19identity_decomposerENS1_16block_id_wrapperIjLb1EEEEE10hipError_tT1_PNSt15iterator_traitsISG_E10value_typeET2_T3_PNSH_ISM_E10value_typeET4_T5_PSR_SS_PNS1_23onesweep_lookback_stateEbbT6_jjT7_P12ihipStream_tbENKUlT_T0_SG_SL_E_clIS9_SA_SB_SB_EEDaSZ_S10_SG_SL_EUlSZ_E_NS1_11comp_targetILNS1_3genE3ELNS1_11target_archE908ELNS1_3gpuE7ELNS1_3repE0EEENS1_47radix_sort_onesweep_sort_config_static_selectorELNS0_4arch9wavefront6targetE0EEEvSG_.num_named_barrier, 0
	.set _ZN7rocprim17ROCPRIM_400000_NS6detail17trampoline_kernelINS0_14default_configENS1_35radix_sort_onesweep_config_selectorIaNS0_10empty_typeEEEZZNS1_29radix_sort_onesweep_iterationIS3_Lb0EPKaPaPS5_SB_mNS0_19identity_decomposerENS1_16block_id_wrapperIjLb1EEEEE10hipError_tT1_PNSt15iterator_traitsISG_E10value_typeET2_T3_PNSH_ISM_E10value_typeET4_T5_PSR_SS_PNS1_23onesweep_lookback_stateEbbT6_jjT7_P12ihipStream_tbENKUlT_T0_SG_SL_E_clIS9_SA_SB_SB_EEDaSZ_S10_SG_SL_EUlSZ_E_NS1_11comp_targetILNS1_3genE3ELNS1_11target_archE908ELNS1_3gpuE7ELNS1_3repE0EEENS1_47radix_sort_onesweep_sort_config_static_selectorELNS0_4arch9wavefront6targetE0EEEvSG_.private_seg_size, 0
	.set _ZN7rocprim17ROCPRIM_400000_NS6detail17trampoline_kernelINS0_14default_configENS1_35radix_sort_onesweep_config_selectorIaNS0_10empty_typeEEEZZNS1_29radix_sort_onesweep_iterationIS3_Lb0EPKaPaPS5_SB_mNS0_19identity_decomposerENS1_16block_id_wrapperIjLb1EEEEE10hipError_tT1_PNSt15iterator_traitsISG_E10value_typeET2_T3_PNSH_ISM_E10value_typeET4_T5_PSR_SS_PNS1_23onesweep_lookback_stateEbbT6_jjT7_P12ihipStream_tbENKUlT_T0_SG_SL_E_clIS9_SA_SB_SB_EEDaSZ_S10_SG_SL_EUlSZ_E_NS1_11comp_targetILNS1_3genE3ELNS1_11target_archE908ELNS1_3gpuE7ELNS1_3repE0EEENS1_47radix_sort_onesweep_sort_config_static_selectorELNS0_4arch9wavefront6targetE0EEEvSG_.uses_vcc, 0
	.set _ZN7rocprim17ROCPRIM_400000_NS6detail17trampoline_kernelINS0_14default_configENS1_35radix_sort_onesweep_config_selectorIaNS0_10empty_typeEEEZZNS1_29radix_sort_onesweep_iterationIS3_Lb0EPKaPaPS5_SB_mNS0_19identity_decomposerENS1_16block_id_wrapperIjLb1EEEEE10hipError_tT1_PNSt15iterator_traitsISG_E10value_typeET2_T3_PNSH_ISM_E10value_typeET4_T5_PSR_SS_PNS1_23onesweep_lookback_stateEbbT6_jjT7_P12ihipStream_tbENKUlT_T0_SG_SL_E_clIS9_SA_SB_SB_EEDaSZ_S10_SG_SL_EUlSZ_E_NS1_11comp_targetILNS1_3genE3ELNS1_11target_archE908ELNS1_3gpuE7ELNS1_3repE0EEENS1_47radix_sort_onesweep_sort_config_static_selectorELNS0_4arch9wavefront6targetE0EEEvSG_.uses_flat_scratch, 0
	.set _ZN7rocprim17ROCPRIM_400000_NS6detail17trampoline_kernelINS0_14default_configENS1_35radix_sort_onesweep_config_selectorIaNS0_10empty_typeEEEZZNS1_29radix_sort_onesweep_iterationIS3_Lb0EPKaPaPS5_SB_mNS0_19identity_decomposerENS1_16block_id_wrapperIjLb1EEEEE10hipError_tT1_PNSt15iterator_traitsISG_E10value_typeET2_T3_PNSH_ISM_E10value_typeET4_T5_PSR_SS_PNS1_23onesweep_lookback_stateEbbT6_jjT7_P12ihipStream_tbENKUlT_T0_SG_SL_E_clIS9_SA_SB_SB_EEDaSZ_S10_SG_SL_EUlSZ_E_NS1_11comp_targetILNS1_3genE3ELNS1_11target_archE908ELNS1_3gpuE7ELNS1_3repE0EEENS1_47radix_sort_onesweep_sort_config_static_selectorELNS0_4arch9wavefront6targetE0EEEvSG_.has_dyn_sized_stack, 0
	.set _ZN7rocprim17ROCPRIM_400000_NS6detail17trampoline_kernelINS0_14default_configENS1_35radix_sort_onesweep_config_selectorIaNS0_10empty_typeEEEZZNS1_29radix_sort_onesweep_iterationIS3_Lb0EPKaPaPS5_SB_mNS0_19identity_decomposerENS1_16block_id_wrapperIjLb1EEEEE10hipError_tT1_PNSt15iterator_traitsISG_E10value_typeET2_T3_PNSH_ISM_E10value_typeET4_T5_PSR_SS_PNS1_23onesweep_lookback_stateEbbT6_jjT7_P12ihipStream_tbENKUlT_T0_SG_SL_E_clIS9_SA_SB_SB_EEDaSZ_S10_SG_SL_EUlSZ_E_NS1_11comp_targetILNS1_3genE3ELNS1_11target_archE908ELNS1_3gpuE7ELNS1_3repE0EEENS1_47radix_sort_onesweep_sort_config_static_selectorELNS0_4arch9wavefront6targetE0EEEvSG_.has_recursion, 0
	.set _ZN7rocprim17ROCPRIM_400000_NS6detail17trampoline_kernelINS0_14default_configENS1_35radix_sort_onesweep_config_selectorIaNS0_10empty_typeEEEZZNS1_29radix_sort_onesweep_iterationIS3_Lb0EPKaPaPS5_SB_mNS0_19identity_decomposerENS1_16block_id_wrapperIjLb1EEEEE10hipError_tT1_PNSt15iterator_traitsISG_E10value_typeET2_T3_PNSH_ISM_E10value_typeET4_T5_PSR_SS_PNS1_23onesweep_lookback_stateEbbT6_jjT7_P12ihipStream_tbENKUlT_T0_SG_SL_E_clIS9_SA_SB_SB_EEDaSZ_S10_SG_SL_EUlSZ_E_NS1_11comp_targetILNS1_3genE3ELNS1_11target_archE908ELNS1_3gpuE7ELNS1_3repE0EEENS1_47radix_sort_onesweep_sort_config_static_selectorELNS0_4arch9wavefront6targetE0EEEvSG_.has_indirect_call, 0
	.section	.AMDGPU.csdata,"",@progbits
; Kernel info:
; codeLenInByte = 0
; TotalNumSgprs: 0
; NumVgprs: 0
; ScratchSize: 0
; MemoryBound: 0
; FloatMode: 240
; IeeeMode: 1
; LDSByteSize: 0 bytes/workgroup (compile time only)
; SGPRBlocks: 0
; VGPRBlocks: 0
; NumSGPRsForWavesPerEU: 1
; NumVGPRsForWavesPerEU: 1
; NamedBarCnt: 0
; Occupancy: 16
; WaveLimiterHint : 0
; COMPUTE_PGM_RSRC2:SCRATCH_EN: 0
; COMPUTE_PGM_RSRC2:USER_SGPR: 2
; COMPUTE_PGM_RSRC2:TRAP_HANDLER: 0
; COMPUTE_PGM_RSRC2:TGID_X_EN: 1
; COMPUTE_PGM_RSRC2:TGID_Y_EN: 0
; COMPUTE_PGM_RSRC2:TGID_Z_EN: 0
; COMPUTE_PGM_RSRC2:TIDIG_COMP_CNT: 0
	.section	.text._ZN7rocprim17ROCPRIM_400000_NS6detail17trampoline_kernelINS0_14default_configENS1_35radix_sort_onesweep_config_selectorIaNS0_10empty_typeEEEZZNS1_29radix_sort_onesweep_iterationIS3_Lb0EPKaPaPS5_SB_mNS0_19identity_decomposerENS1_16block_id_wrapperIjLb1EEEEE10hipError_tT1_PNSt15iterator_traitsISG_E10value_typeET2_T3_PNSH_ISM_E10value_typeET4_T5_PSR_SS_PNS1_23onesweep_lookback_stateEbbT6_jjT7_P12ihipStream_tbENKUlT_T0_SG_SL_E_clIS9_SA_SB_SB_EEDaSZ_S10_SG_SL_EUlSZ_E_NS1_11comp_targetILNS1_3genE10ELNS1_11target_archE1201ELNS1_3gpuE5ELNS1_3repE0EEENS1_47radix_sort_onesweep_sort_config_static_selectorELNS0_4arch9wavefront6targetE0EEEvSG_,"axG",@progbits,_ZN7rocprim17ROCPRIM_400000_NS6detail17trampoline_kernelINS0_14default_configENS1_35radix_sort_onesweep_config_selectorIaNS0_10empty_typeEEEZZNS1_29radix_sort_onesweep_iterationIS3_Lb0EPKaPaPS5_SB_mNS0_19identity_decomposerENS1_16block_id_wrapperIjLb1EEEEE10hipError_tT1_PNSt15iterator_traitsISG_E10value_typeET2_T3_PNSH_ISM_E10value_typeET4_T5_PSR_SS_PNS1_23onesweep_lookback_stateEbbT6_jjT7_P12ihipStream_tbENKUlT_T0_SG_SL_E_clIS9_SA_SB_SB_EEDaSZ_S10_SG_SL_EUlSZ_E_NS1_11comp_targetILNS1_3genE10ELNS1_11target_archE1201ELNS1_3gpuE5ELNS1_3repE0EEENS1_47radix_sort_onesweep_sort_config_static_selectorELNS0_4arch9wavefront6targetE0EEEvSG_,comdat
	.protected	_ZN7rocprim17ROCPRIM_400000_NS6detail17trampoline_kernelINS0_14default_configENS1_35radix_sort_onesweep_config_selectorIaNS0_10empty_typeEEEZZNS1_29radix_sort_onesweep_iterationIS3_Lb0EPKaPaPS5_SB_mNS0_19identity_decomposerENS1_16block_id_wrapperIjLb1EEEEE10hipError_tT1_PNSt15iterator_traitsISG_E10value_typeET2_T3_PNSH_ISM_E10value_typeET4_T5_PSR_SS_PNS1_23onesweep_lookback_stateEbbT6_jjT7_P12ihipStream_tbENKUlT_T0_SG_SL_E_clIS9_SA_SB_SB_EEDaSZ_S10_SG_SL_EUlSZ_E_NS1_11comp_targetILNS1_3genE10ELNS1_11target_archE1201ELNS1_3gpuE5ELNS1_3repE0EEENS1_47radix_sort_onesweep_sort_config_static_selectorELNS0_4arch9wavefront6targetE0EEEvSG_ ; -- Begin function _ZN7rocprim17ROCPRIM_400000_NS6detail17trampoline_kernelINS0_14default_configENS1_35radix_sort_onesweep_config_selectorIaNS0_10empty_typeEEEZZNS1_29radix_sort_onesweep_iterationIS3_Lb0EPKaPaPS5_SB_mNS0_19identity_decomposerENS1_16block_id_wrapperIjLb1EEEEE10hipError_tT1_PNSt15iterator_traitsISG_E10value_typeET2_T3_PNSH_ISM_E10value_typeET4_T5_PSR_SS_PNS1_23onesweep_lookback_stateEbbT6_jjT7_P12ihipStream_tbENKUlT_T0_SG_SL_E_clIS9_SA_SB_SB_EEDaSZ_S10_SG_SL_EUlSZ_E_NS1_11comp_targetILNS1_3genE10ELNS1_11target_archE1201ELNS1_3gpuE5ELNS1_3repE0EEENS1_47radix_sort_onesweep_sort_config_static_selectorELNS0_4arch9wavefront6targetE0EEEvSG_
	.globl	_ZN7rocprim17ROCPRIM_400000_NS6detail17trampoline_kernelINS0_14default_configENS1_35radix_sort_onesweep_config_selectorIaNS0_10empty_typeEEEZZNS1_29radix_sort_onesweep_iterationIS3_Lb0EPKaPaPS5_SB_mNS0_19identity_decomposerENS1_16block_id_wrapperIjLb1EEEEE10hipError_tT1_PNSt15iterator_traitsISG_E10value_typeET2_T3_PNSH_ISM_E10value_typeET4_T5_PSR_SS_PNS1_23onesweep_lookback_stateEbbT6_jjT7_P12ihipStream_tbENKUlT_T0_SG_SL_E_clIS9_SA_SB_SB_EEDaSZ_S10_SG_SL_EUlSZ_E_NS1_11comp_targetILNS1_3genE10ELNS1_11target_archE1201ELNS1_3gpuE5ELNS1_3repE0EEENS1_47radix_sort_onesweep_sort_config_static_selectorELNS0_4arch9wavefront6targetE0EEEvSG_
	.p2align	8
	.type	_ZN7rocprim17ROCPRIM_400000_NS6detail17trampoline_kernelINS0_14default_configENS1_35radix_sort_onesweep_config_selectorIaNS0_10empty_typeEEEZZNS1_29radix_sort_onesweep_iterationIS3_Lb0EPKaPaPS5_SB_mNS0_19identity_decomposerENS1_16block_id_wrapperIjLb1EEEEE10hipError_tT1_PNSt15iterator_traitsISG_E10value_typeET2_T3_PNSH_ISM_E10value_typeET4_T5_PSR_SS_PNS1_23onesweep_lookback_stateEbbT6_jjT7_P12ihipStream_tbENKUlT_T0_SG_SL_E_clIS9_SA_SB_SB_EEDaSZ_S10_SG_SL_EUlSZ_E_NS1_11comp_targetILNS1_3genE10ELNS1_11target_archE1201ELNS1_3gpuE5ELNS1_3repE0EEENS1_47radix_sort_onesweep_sort_config_static_selectorELNS0_4arch9wavefront6targetE0EEEvSG_,@function
_ZN7rocprim17ROCPRIM_400000_NS6detail17trampoline_kernelINS0_14default_configENS1_35radix_sort_onesweep_config_selectorIaNS0_10empty_typeEEEZZNS1_29radix_sort_onesweep_iterationIS3_Lb0EPKaPaPS5_SB_mNS0_19identity_decomposerENS1_16block_id_wrapperIjLb1EEEEE10hipError_tT1_PNSt15iterator_traitsISG_E10value_typeET2_T3_PNSH_ISM_E10value_typeET4_T5_PSR_SS_PNS1_23onesweep_lookback_stateEbbT6_jjT7_P12ihipStream_tbENKUlT_T0_SG_SL_E_clIS9_SA_SB_SB_EEDaSZ_S10_SG_SL_EUlSZ_E_NS1_11comp_targetILNS1_3genE10ELNS1_11target_archE1201ELNS1_3gpuE5ELNS1_3repE0EEENS1_47radix_sort_onesweep_sort_config_static_selectorELNS0_4arch9wavefront6targetE0EEEvSG_: ; @_ZN7rocprim17ROCPRIM_400000_NS6detail17trampoline_kernelINS0_14default_configENS1_35radix_sort_onesweep_config_selectorIaNS0_10empty_typeEEEZZNS1_29radix_sort_onesweep_iterationIS3_Lb0EPKaPaPS5_SB_mNS0_19identity_decomposerENS1_16block_id_wrapperIjLb1EEEEE10hipError_tT1_PNSt15iterator_traitsISG_E10value_typeET2_T3_PNSH_ISM_E10value_typeET4_T5_PSR_SS_PNS1_23onesweep_lookback_stateEbbT6_jjT7_P12ihipStream_tbENKUlT_T0_SG_SL_E_clIS9_SA_SB_SB_EEDaSZ_S10_SG_SL_EUlSZ_E_NS1_11comp_targetILNS1_3genE10ELNS1_11target_archE1201ELNS1_3gpuE5ELNS1_3repE0EEENS1_47radix_sort_onesweep_sort_config_static_selectorELNS0_4arch9wavefront6targetE0EEEvSG_
; %bb.0:
	.section	.rodata,"a",@progbits
	.p2align	6, 0x0
	.amdhsa_kernel _ZN7rocprim17ROCPRIM_400000_NS6detail17trampoline_kernelINS0_14default_configENS1_35radix_sort_onesweep_config_selectorIaNS0_10empty_typeEEEZZNS1_29radix_sort_onesweep_iterationIS3_Lb0EPKaPaPS5_SB_mNS0_19identity_decomposerENS1_16block_id_wrapperIjLb1EEEEE10hipError_tT1_PNSt15iterator_traitsISG_E10value_typeET2_T3_PNSH_ISM_E10value_typeET4_T5_PSR_SS_PNS1_23onesweep_lookback_stateEbbT6_jjT7_P12ihipStream_tbENKUlT_T0_SG_SL_E_clIS9_SA_SB_SB_EEDaSZ_S10_SG_SL_EUlSZ_E_NS1_11comp_targetILNS1_3genE10ELNS1_11target_archE1201ELNS1_3gpuE5ELNS1_3repE0EEENS1_47radix_sort_onesweep_sort_config_static_selectorELNS0_4arch9wavefront6targetE0EEEvSG_
		.amdhsa_group_segment_fixed_size 0
		.amdhsa_private_segment_fixed_size 0
		.amdhsa_kernarg_size 88
		.amdhsa_user_sgpr_count 2
		.amdhsa_user_sgpr_dispatch_ptr 0
		.amdhsa_user_sgpr_queue_ptr 0
		.amdhsa_user_sgpr_kernarg_segment_ptr 1
		.amdhsa_user_sgpr_dispatch_id 0
		.amdhsa_user_sgpr_kernarg_preload_length 0
		.amdhsa_user_sgpr_kernarg_preload_offset 0
		.amdhsa_user_sgpr_private_segment_size 0
		.amdhsa_wavefront_size32 1
		.amdhsa_uses_dynamic_stack 0
		.amdhsa_enable_private_segment 0
		.amdhsa_system_sgpr_workgroup_id_x 1
		.amdhsa_system_sgpr_workgroup_id_y 0
		.amdhsa_system_sgpr_workgroup_id_z 0
		.amdhsa_system_sgpr_workgroup_info 0
		.amdhsa_system_vgpr_workitem_id 0
		.amdhsa_next_free_vgpr 1
		.amdhsa_next_free_sgpr 1
		.amdhsa_named_barrier_count 0
		.amdhsa_reserve_vcc 0
		.amdhsa_float_round_mode_32 0
		.amdhsa_float_round_mode_16_64 0
		.amdhsa_float_denorm_mode_32 3
		.amdhsa_float_denorm_mode_16_64 3
		.amdhsa_fp16_overflow 0
		.amdhsa_memory_ordered 1
		.amdhsa_forward_progress 1
		.amdhsa_inst_pref_size 0
		.amdhsa_round_robin_scheduling 0
		.amdhsa_exception_fp_ieee_invalid_op 0
		.amdhsa_exception_fp_denorm_src 0
		.amdhsa_exception_fp_ieee_div_zero 0
		.amdhsa_exception_fp_ieee_overflow 0
		.amdhsa_exception_fp_ieee_underflow 0
		.amdhsa_exception_fp_ieee_inexact 0
		.amdhsa_exception_int_div_zero 0
	.end_amdhsa_kernel
	.section	.text._ZN7rocprim17ROCPRIM_400000_NS6detail17trampoline_kernelINS0_14default_configENS1_35radix_sort_onesweep_config_selectorIaNS0_10empty_typeEEEZZNS1_29radix_sort_onesweep_iterationIS3_Lb0EPKaPaPS5_SB_mNS0_19identity_decomposerENS1_16block_id_wrapperIjLb1EEEEE10hipError_tT1_PNSt15iterator_traitsISG_E10value_typeET2_T3_PNSH_ISM_E10value_typeET4_T5_PSR_SS_PNS1_23onesweep_lookback_stateEbbT6_jjT7_P12ihipStream_tbENKUlT_T0_SG_SL_E_clIS9_SA_SB_SB_EEDaSZ_S10_SG_SL_EUlSZ_E_NS1_11comp_targetILNS1_3genE10ELNS1_11target_archE1201ELNS1_3gpuE5ELNS1_3repE0EEENS1_47radix_sort_onesweep_sort_config_static_selectorELNS0_4arch9wavefront6targetE0EEEvSG_,"axG",@progbits,_ZN7rocprim17ROCPRIM_400000_NS6detail17trampoline_kernelINS0_14default_configENS1_35radix_sort_onesweep_config_selectorIaNS0_10empty_typeEEEZZNS1_29radix_sort_onesweep_iterationIS3_Lb0EPKaPaPS5_SB_mNS0_19identity_decomposerENS1_16block_id_wrapperIjLb1EEEEE10hipError_tT1_PNSt15iterator_traitsISG_E10value_typeET2_T3_PNSH_ISM_E10value_typeET4_T5_PSR_SS_PNS1_23onesweep_lookback_stateEbbT6_jjT7_P12ihipStream_tbENKUlT_T0_SG_SL_E_clIS9_SA_SB_SB_EEDaSZ_S10_SG_SL_EUlSZ_E_NS1_11comp_targetILNS1_3genE10ELNS1_11target_archE1201ELNS1_3gpuE5ELNS1_3repE0EEENS1_47radix_sort_onesweep_sort_config_static_selectorELNS0_4arch9wavefront6targetE0EEEvSG_,comdat
.Lfunc_end472:
	.size	_ZN7rocprim17ROCPRIM_400000_NS6detail17trampoline_kernelINS0_14default_configENS1_35radix_sort_onesweep_config_selectorIaNS0_10empty_typeEEEZZNS1_29radix_sort_onesweep_iterationIS3_Lb0EPKaPaPS5_SB_mNS0_19identity_decomposerENS1_16block_id_wrapperIjLb1EEEEE10hipError_tT1_PNSt15iterator_traitsISG_E10value_typeET2_T3_PNSH_ISM_E10value_typeET4_T5_PSR_SS_PNS1_23onesweep_lookback_stateEbbT6_jjT7_P12ihipStream_tbENKUlT_T0_SG_SL_E_clIS9_SA_SB_SB_EEDaSZ_S10_SG_SL_EUlSZ_E_NS1_11comp_targetILNS1_3genE10ELNS1_11target_archE1201ELNS1_3gpuE5ELNS1_3repE0EEENS1_47radix_sort_onesweep_sort_config_static_selectorELNS0_4arch9wavefront6targetE0EEEvSG_, .Lfunc_end472-_ZN7rocprim17ROCPRIM_400000_NS6detail17trampoline_kernelINS0_14default_configENS1_35radix_sort_onesweep_config_selectorIaNS0_10empty_typeEEEZZNS1_29radix_sort_onesweep_iterationIS3_Lb0EPKaPaPS5_SB_mNS0_19identity_decomposerENS1_16block_id_wrapperIjLb1EEEEE10hipError_tT1_PNSt15iterator_traitsISG_E10value_typeET2_T3_PNSH_ISM_E10value_typeET4_T5_PSR_SS_PNS1_23onesweep_lookback_stateEbbT6_jjT7_P12ihipStream_tbENKUlT_T0_SG_SL_E_clIS9_SA_SB_SB_EEDaSZ_S10_SG_SL_EUlSZ_E_NS1_11comp_targetILNS1_3genE10ELNS1_11target_archE1201ELNS1_3gpuE5ELNS1_3repE0EEENS1_47radix_sort_onesweep_sort_config_static_selectorELNS0_4arch9wavefront6targetE0EEEvSG_
                                        ; -- End function
	.set _ZN7rocprim17ROCPRIM_400000_NS6detail17trampoline_kernelINS0_14default_configENS1_35radix_sort_onesweep_config_selectorIaNS0_10empty_typeEEEZZNS1_29radix_sort_onesweep_iterationIS3_Lb0EPKaPaPS5_SB_mNS0_19identity_decomposerENS1_16block_id_wrapperIjLb1EEEEE10hipError_tT1_PNSt15iterator_traitsISG_E10value_typeET2_T3_PNSH_ISM_E10value_typeET4_T5_PSR_SS_PNS1_23onesweep_lookback_stateEbbT6_jjT7_P12ihipStream_tbENKUlT_T0_SG_SL_E_clIS9_SA_SB_SB_EEDaSZ_S10_SG_SL_EUlSZ_E_NS1_11comp_targetILNS1_3genE10ELNS1_11target_archE1201ELNS1_3gpuE5ELNS1_3repE0EEENS1_47radix_sort_onesweep_sort_config_static_selectorELNS0_4arch9wavefront6targetE0EEEvSG_.num_vgpr, 0
	.set _ZN7rocprim17ROCPRIM_400000_NS6detail17trampoline_kernelINS0_14default_configENS1_35radix_sort_onesweep_config_selectorIaNS0_10empty_typeEEEZZNS1_29radix_sort_onesweep_iterationIS3_Lb0EPKaPaPS5_SB_mNS0_19identity_decomposerENS1_16block_id_wrapperIjLb1EEEEE10hipError_tT1_PNSt15iterator_traitsISG_E10value_typeET2_T3_PNSH_ISM_E10value_typeET4_T5_PSR_SS_PNS1_23onesweep_lookback_stateEbbT6_jjT7_P12ihipStream_tbENKUlT_T0_SG_SL_E_clIS9_SA_SB_SB_EEDaSZ_S10_SG_SL_EUlSZ_E_NS1_11comp_targetILNS1_3genE10ELNS1_11target_archE1201ELNS1_3gpuE5ELNS1_3repE0EEENS1_47radix_sort_onesweep_sort_config_static_selectorELNS0_4arch9wavefront6targetE0EEEvSG_.num_agpr, 0
	.set _ZN7rocprim17ROCPRIM_400000_NS6detail17trampoline_kernelINS0_14default_configENS1_35radix_sort_onesweep_config_selectorIaNS0_10empty_typeEEEZZNS1_29radix_sort_onesweep_iterationIS3_Lb0EPKaPaPS5_SB_mNS0_19identity_decomposerENS1_16block_id_wrapperIjLb1EEEEE10hipError_tT1_PNSt15iterator_traitsISG_E10value_typeET2_T3_PNSH_ISM_E10value_typeET4_T5_PSR_SS_PNS1_23onesweep_lookback_stateEbbT6_jjT7_P12ihipStream_tbENKUlT_T0_SG_SL_E_clIS9_SA_SB_SB_EEDaSZ_S10_SG_SL_EUlSZ_E_NS1_11comp_targetILNS1_3genE10ELNS1_11target_archE1201ELNS1_3gpuE5ELNS1_3repE0EEENS1_47radix_sort_onesweep_sort_config_static_selectorELNS0_4arch9wavefront6targetE0EEEvSG_.numbered_sgpr, 0
	.set _ZN7rocprim17ROCPRIM_400000_NS6detail17trampoline_kernelINS0_14default_configENS1_35radix_sort_onesweep_config_selectorIaNS0_10empty_typeEEEZZNS1_29radix_sort_onesweep_iterationIS3_Lb0EPKaPaPS5_SB_mNS0_19identity_decomposerENS1_16block_id_wrapperIjLb1EEEEE10hipError_tT1_PNSt15iterator_traitsISG_E10value_typeET2_T3_PNSH_ISM_E10value_typeET4_T5_PSR_SS_PNS1_23onesweep_lookback_stateEbbT6_jjT7_P12ihipStream_tbENKUlT_T0_SG_SL_E_clIS9_SA_SB_SB_EEDaSZ_S10_SG_SL_EUlSZ_E_NS1_11comp_targetILNS1_3genE10ELNS1_11target_archE1201ELNS1_3gpuE5ELNS1_3repE0EEENS1_47radix_sort_onesweep_sort_config_static_selectorELNS0_4arch9wavefront6targetE0EEEvSG_.num_named_barrier, 0
	.set _ZN7rocprim17ROCPRIM_400000_NS6detail17trampoline_kernelINS0_14default_configENS1_35radix_sort_onesweep_config_selectorIaNS0_10empty_typeEEEZZNS1_29radix_sort_onesweep_iterationIS3_Lb0EPKaPaPS5_SB_mNS0_19identity_decomposerENS1_16block_id_wrapperIjLb1EEEEE10hipError_tT1_PNSt15iterator_traitsISG_E10value_typeET2_T3_PNSH_ISM_E10value_typeET4_T5_PSR_SS_PNS1_23onesweep_lookback_stateEbbT6_jjT7_P12ihipStream_tbENKUlT_T0_SG_SL_E_clIS9_SA_SB_SB_EEDaSZ_S10_SG_SL_EUlSZ_E_NS1_11comp_targetILNS1_3genE10ELNS1_11target_archE1201ELNS1_3gpuE5ELNS1_3repE0EEENS1_47radix_sort_onesweep_sort_config_static_selectorELNS0_4arch9wavefront6targetE0EEEvSG_.private_seg_size, 0
	.set _ZN7rocprim17ROCPRIM_400000_NS6detail17trampoline_kernelINS0_14default_configENS1_35radix_sort_onesweep_config_selectorIaNS0_10empty_typeEEEZZNS1_29radix_sort_onesweep_iterationIS3_Lb0EPKaPaPS5_SB_mNS0_19identity_decomposerENS1_16block_id_wrapperIjLb1EEEEE10hipError_tT1_PNSt15iterator_traitsISG_E10value_typeET2_T3_PNSH_ISM_E10value_typeET4_T5_PSR_SS_PNS1_23onesweep_lookback_stateEbbT6_jjT7_P12ihipStream_tbENKUlT_T0_SG_SL_E_clIS9_SA_SB_SB_EEDaSZ_S10_SG_SL_EUlSZ_E_NS1_11comp_targetILNS1_3genE10ELNS1_11target_archE1201ELNS1_3gpuE5ELNS1_3repE0EEENS1_47radix_sort_onesweep_sort_config_static_selectorELNS0_4arch9wavefront6targetE0EEEvSG_.uses_vcc, 0
	.set _ZN7rocprim17ROCPRIM_400000_NS6detail17trampoline_kernelINS0_14default_configENS1_35radix_sort_onesweep_config_selectorIaNS0_10empty_typeEEEZZNS1_29radix_sort_onesweep_iterationIS3_Lb0EPKaPaPS5_SB_mNS0_19identity_decomposerENS1_16block_id_wrapperIjLb1EEEEE10hipError_tT1_PNSt15iterator_traitsISG_E10value_typeET2_T3_PNSH_ISM_E10value_typeET4_T5_PSR_SS_PNS1_23onesweep_lookback_stateEbbT6_jjT7_P12ihipStream_tbENKUlT_T0_SG_SL_E_clIS9_SA_SB_SB_EEDaSZ_S10_SG_SL_EUlSZ_E_NS1_11comp_targetILNS1_3genE10ELNS1_11target_archE1201ELNS1_3gpuE5ELNS1_3repE0EEENS1_47radix_sort_onesweep_sort_config_static_selectorELNS0_4arch9wavefront6targetE0EEEvSG_.uses_flat_scratch, 0
	.set _ZN7rocprim17ROCPRIM_400000_NS6detail17trampoline_kernelINS0_14default_configENS1_35radix_sort_onesweep_config_selectorIaNS0_10empty_typeEEEZZNS1_29radix_sort_onesweep_iterationIS3_Lb0EPKaPaPS5_SB_mNS0_19identity_decomposerENS1_16block_id_wrapperIjLb1EEEEE10hipError_tT1_PNSt15iterator_traitsISG_E10value_typeET2_T3_PNSH_ISM_E10value_typeET4_T5_PSR_SS_PNS1_23onesweep_lookback_stateEbbT6_jjT7_P12ihipStream_tbENKUlT_T0_SG_SL_E_clIS9_SA_SB_SB_EEDaSZ_S10_SG_SL_EUlSZ_E_NS1_11comp_targetILNS1_3genE10ELNS1_11target_archE1201ELNS1_3gpuE5ELNS1_3repE0EEENS1_47radix_sort_onesweep_sort_config_static_selectorELNS0_4arch9wavefront6targetE0EEEvSG_.has_dyn_sized_stack, 0
	.set _ZN7rocprim17ROCPRIM_400000_NS6detail17trampoline_kernelINS0_14default_configENS1_35radix_sort_onesweep_config_selectorIaNS0_10empty_typeEEEZZNS1_29radix_sort_onesweep_iterationIS3_Lb0EPKaPaPS5_SB_mNS0_19identity_decomposerENS1_16block_id_wrapperIjLb1EEEEE10hipError_tT1_PNSt15iterator_traitsISG_E10value_typeET2_T3_PNSH_ISM_E10value_typeET4_T5_PSR_SS_PNS1_23onesweep_lookback_stateEbbT6_jjT7_P12ihipStream_tbENKUlT_T0_SG_SL_E_clIS9_SA_SB_SB_EEDaSZ_S10_SG_SL_EUlSZ_E_NS1_11comp_targetILNS1_3genE10ELNS1_11target_archE1201ELNS1_3gpuE5ELNS1_3repE0EEENS1_47radix_sort_onesweep_sort_config_static_selectorELNS0_4arch9wavefront6targetE0EEEvSG_.has_recursion, 0
	.set _ZN7rocprim17ROCPRIM_400000_NS6detail17trampoline_kernelINS0_14default_configENS1_35radix_sort_onesweep_config_selectorIaNS0_10empty_typeEEEZZNS1_29radix_sort_onesweep_iterationIS3_Lb0EPKaPaPS5_SB_mNS0_19identity_decomposerENS1_16block_id_wrapperIjLb1EEEEE10hipError_tT1_PNSt15iterator_traitsISG_E10value_typeET2_T3_PNSH_ISM_E10value_typeET4_T5_PSR_SS_PNS1_23onesweep_lookback_stateEbbT6_jjT7_P12ihipStream_tbENKUlT_T0_SG_SL_E_clIS9_SA_SB_SB_EEDaSZ_S10_SG_SL_EUlSZ_E_NS1_11comp_targetILNS1_3genE10ELNS1_11target_archE1201ELNS1_3gpuE5ELNS1_3repE0EEENS1_47radix_sort_onesweep_sort_config_static_selectorELNS0_4arch9wavefront6targetE0EEEvSG_.has_indirect_call, 0
	.section	.AMDGPU.csdata,"",@progbits
; Kernel info:
; codeLenInByte = 0
; TotalNumSgprs: 0
; NumVgprs: 0
; ScratchSize: 0
; MemoryBound: 0
; FloatMode: 240
; IeeeMode: 1
; LDSByteSize: 0 bytes/workgroup (compile time only)
; SGPRBlocks: 0
; VGPRBlocks: 0
; NumSGPRsForWavesPerEU: 1
; NumVGPRsForWavesPerEU: 1
; NamedBarCnt: 0
; Occupancy: 16
; WaveLimiterHint : 0
; COMPUTE_PGM_RSRC2:SCRATCH_EN: 0
; COMPUTE_PGM_RSRC2:USER_SGPR: 2
; COMPUTE_PGM_RSRC2:TRAP_HANDLER: 0
; COMPUTE_PGM_RSRC2:TGID_X_EN: 1
; COMPUTE_PGM_RSRC2:TGID_Y_EN: 0
; COMPUTE_PGM_RSRC2:TGID_Z_EN: 0
; COMPUTE_PGM_RSRC2:TIDIG_COMP_CNT: 0
	.section	.text._ZN7rocprim17ROCPRIM_400000_NS6detail17trampoline_kernelINS0_14default_configENS1_35radix_sort_onesweep_config_selectorIaNS0_10empty_typeEEEZZNS1_29radix_sort_onesweep_iterationIS3_Lb0EPKaPaPS5_SB_mNS0_19identity_decomposerENS1_16block_id_wrapperIjLb1EEEEE10hipError_tT1_PNSt15iterator_traitsISG_E10value_typeET2_T3_PNSH_ISM_E10value_typeET4_T5_PSR_SS_PNS1_23onesweep_lookback_stateEbbT6_jjT7_P12ihipStream_tbENKUlT_T0_SG_SL_E_clIS9_SA_SB_SB_EEDaSZ_S10_SG_SL_EUlSZ_E_NS1_11comp_targetILNS1_3genE9ELNS1_11target_archE1100ELNS1_3gpuE3ELNS1_3repE0EEENS1_47radix_sort_onesweep_sort_config_static_selectorELNS0_4arch9wavefront6targetE0EEEvSG_,"axG",@progbits,_ZN7rocprim17ROCPRIM_400000_NS6detail17trampoline_kernelINS0_14default_configENS1_35radix_sort_onesweep_config_selectorIaNS0_10empty_typeEEEZZNS1_29radix_sort_onesweep_iterationIS3_Lb0EPKaPaPS5_SB_mNS0_19identity_decomposerENS1_16block_id_wrapperIjLb1EEEEE10hipError_tT1_PNSt15iterator_traitsISG_E10value_typeET2_T3_PNSH_ISM_E10value_typeET4_T5_PSR_SS_PNS1_23onesweep_lookback_stateEbbT6_jjT7_P12ihipStream_tbENKUlT_T0_SG_SL_E_clIS9_SA_SB_SB_EEDaSZ_S10_SG_SL_EUlSZ_E_NS1_11comp_targetILNS1_3genE9ELNS1_11target_archE1100ELNS1_3gpuE3ELNS1_3repE0EEENS1_47radix_sort_onesweep_sort_config_static_selectorELNS0_4arch9wavefront6targetE0EEEvSG_,comdat
	.protected	_ZN7rocprim17ROCPRIM_400000_NS6detail17trampoline_kernelINS0_14default_configENS1_35radix_sort_onesweep_config_selectorIaNS0_10empty_typeEEEZZNS1_29radix_sort_onesweep_iterationIS3_Lb0EPKaPaPS5_SB_mNS0_19identity_decomposerENS1_16block_id_wrapperIjLb1EEEEE10hipError_tT1_PNSt15iterator_traitsISG_E10value_typeET2_T3_PNSH_ISM_E10value_typeET4_T5_PSR_SS_PNS1_23onesweep_lookback_stateEbbT6_jjT7_P12ihipStream_tbENKUlT_T0_SG_SL_E_clIS9_SA_SB_SB_EEDaSZ_S10_SG_SL_EUlSZ_E_NS1_11comp_targetILNS1_3genE9ELNS1_11target_archE1100ELNS1_3gpuE3ELNS1_3repE0EEENS1_47radix_sort_onesweep_sort_config_static_selectorELNS0_4arch9wavefront6targetE0EEEvSG_ ; -- Begin function _ZN7rocprim17ROCPRIM_400000_NS6detail17trampoline_kernelINS0_14default_configENS1_35radix_sort_onesweep_config_selectorIaNS0_10empty_typeEEEZZNS1_29radix_sort_onesweep_iterationIS3_Lb0EPKaPaPS5_SB_mNS0_19identity_decomposerENS1_16block_id_wrapperIjLb1EEEEE10hipError_tT1_PNSt15iterator_traitsISG_E10value_typeET2_T3_PNSH_ISM_E10value_typeET4_T5_PSR_SS_PNS1_23onesweep_lookback_stateEbbT6_jjT7_P12ihipStream_tbENKUlT_T0_SG_SL_E_clIS9_SA_SB_SB_EEDaSZ_S10_SG_SL_EUlSZ_E_NS1_11comp_targetILNS1_3genE9ELNS1_11target_archE1100ELNS1_3gpuE3ELNS1_3repE0EEENS1_47radix_sort_onesweep_sort_config_static_selectorELNS0_4arch9wavefront6targetE0EEEvSG_
	.globl	_ZN7rocprim17ROCPRIM_400000_NS6detail17trampoline_kernelINS0_14default_configENS1_35radix_sort_onesweep_config_selectorIaNS0_10empty_typeEEEZZNS1_29radix_sort_onesweep_iterationIS3_Lb0EPKaPaPS5_SB_mNS0_19identity_decomposerENS1_16block_id_wrapperIjLb1EEEEE10hipError_tT1_PNSt15iterator_traitsISG_E10value_typeET2_T3_PNSH_ISM_E10value_typeET4_T5_PSR_SS_PNS1_23onesweep_lookback_stateEbbT6_jjT7_P12ihipStream_tbENKUlT_T0_SG_SL_E_clIS9_SA_SB_SB_EEDaSZ_S10_SG_SL_EUlSZ_E_NS1_11comp_targetILNS1_3genE9ELNS1_11target_archE1100ELNS1_3gpuE3ELNS1_3repE0EEENS1_47radix_sort_onesweep_sort_config_static_selectorELNS0_4arch9wavefront6targetE0EEEvSG_
	.p2align	8
	.type	_ZN7rocprim17ROCPRIM_400000_NS6detail17trampoline_kernelINS0_14default_configENS1_35radix_sort_onesweep_config_selectorIaNS0_10empty_typeEEEZZNS1_29radix_sort_onesweep_iterationIS3_Lb0EPKaPaPS5_SB_mNS0_19identity_decomposerENS1_16block_id_wrapperIjLb1EEEEE10hipError_tT1_PNSt15iterator_traitsISG_E10value_typeET2_T3_PNSH_ISM_E10value_typeET4_T5_PSR_SS_PNS1_23onesweep_lookback_stateEbbT6_jjT7_P12ihipStream_tbENKUlT_T0_SG_SL_E_clIS9_SA_SB_SB_EEDaSZ_S10_SG_SL_EUlSZ_E_NS1_11comp_targetILNS1_3genE9ELNS1_11target_archE1100ELNS1_3gpuE3ELNS1_3repE0EEENS1_47radix_sort_onesweep_sort_config_static_selectorELNS0_4arch9wavefront6targetE0EEEvSG_,@function
_ZN7rocprim17ROCPRIM_400000_NS6detail17trampoline_kernelINS0_14default_configENS1_35radix_sort_onesweep_config_selectorIaNS0_10empty_typeEEEZZNS1_29radix_sort_onesweep_iterationIS3_Lb0EPKaPaPS5_SB_mNS0_19identity_decomposerENS1_16block_id_wrapperIjLb1EEEEE10hipError_tT1_PNSt15iterator_traitsISG_E10value_typeET2_T3_PNSH_ISM_E10value_typeET4_T5_PSR_SS_PNS1_23onesweep_lookback_stateEbbT6_jjT7_P12ihipStream_tbENKUlT_T0_SG_SL_E_clIS9_SA_SB_SB_EEDaSZ_S10_SG_SL_EUlSZ_E_NS1_11comp_targetILNS1_3genE9ELNS1_11target_archE1100ELNS1_3gpuE3ELNS1_3repE0EEENS1_47radix_sort_onesweep_sort_config_static_selectorELNS0_4arch9wavefront6targetE0EEEvSG_: ; @_ZN7rocprim17ROCPRIM_400000_NS6detail17trampoline_kernelINS0_14default_configENS1_35radix_sort_onesweep_config_selectorIaNS0_10empty_typeEEEZZNS1_29radix_sort_onesweep_iterationIS3_Lb0EPKaPaPS5_SB_mNS0_19identity_decomposerENS1_16block_id_wrapperIjLb1EEEEE10hipError_tT1_PNSt15iterator_traitsISG_E10value_typeET2_T3_PNSH_ISM_E10value_typeET4_T5_PSR_SS_PNS1_23onesweep_lookback_stateEbbT6_jjT7_P12ihipStream_tbENKUlT_T0_SG_SL_E_clIS9_SA_SB_SB_EEDaSZ_S10_SG_SL_EUlSZ_E_NS1_11comp_targetILNS1_3genE9ELNS1_11target_archE1100ELNS1_3gpuE3ELNS1_3repE0EEENS1_47radix_sort_onesweep_sort_config_static_selectorELNS0_4arch9wavefront6targetE0EEEvSG_
; %bb.0:
	.section	.rodata,"a",@progbits
	.p2align	6, 0x0
	.amdhsa_kernel _ZN7rocprim17ROCPRIM_400000_NS6detail17trampoline_kernelINS0_14default_configENS1_35radix_sort_onesweep_config_selectorIaNS0_10empty_typeEEEZZNS1_29radix_sort_onesweep_iterationIS3_Lb0EPKaPaPS5_SB_mNS0_19identity_decomposerENS1_16block_id_wrapperIjLb1EEEEE10hipError_tT1_PNSt15iterator_traitsISG_E10value_typeET2_T3_PNSH_ISM_E10value_typeET4_T5_PSR_SS_PNS1_23onesweep_lookback_stateEbbT6_jjT7_P12ihipStream_tbENKUlT_T0_SG_SL_E_clIS9_SA_SB_SB_EEDaSZ_S10_SG_SL_EUlSZ_E_NS1_11comp_targetILNS1_3genE9ELNS1_11target_archE1100ELNS1_3gpuE3ELNS1_3repE0EEENS1_47radix_sort_onesweep_sort_config_static_selectorELNS0_4arch9wavefront6targetE0EEEvSG_
		.amdhsa_group_segment_fixed_size 0
		.amdhsa_private_segment_fixed_size 0
		.amdhsa_kernarg_size 88
		.amdhsa_user_sgpr_count 2
		.amdhsa_user_sgpr_dispatch_ptr 0
		.amdhsa_user_sgpr_queue_ptr 0
		.amdhsa_user_sgpr_kernarg_segment_ptr 1
		.amdhsa_user_sgpr_dispatch_id 0
		.amdhsa_user_sgpr_kernarg_preload_length 0
		.amdhsa_user_sgpr_kernarg_preload_offset 0
		.amdhsa_user_sgpr_private_segment_size 0
		.amdhsa_wavefront_size32 1
		.amdhsa_uses_dynamic_stack 0
		.amdhsa_enable_private_segment 0
		.amdhsa_system_sgpr_workgroup_id_x 1
		.amdhsa_system_sgpr_workgroup_id_y 0
		.amdhsa_system_sgpr_workgroup_id_z 0
		.amdhsa_system_sgpr_workgroup_info 0
		.amdhsa_system_vgpr_workitem_id 0
		.amdhsa_next_free_vgpr 1
		.amdhsa_next_free_sgpr 1
		.amdhsa_named_barrier_count 0
		.amdhsa_reserve_vcc 0
		.amdhsa_float_round_mode_32 0
		.amdhsa_float_round_mode_16_64 0
		.amdhsa_float_denorm_mode_32 3
		.amdhsa_float_denorm_mode_16_64 3
		.amdhsa_fp16_overflow 0
		.amdhsa_memory_ordered 1
		.amdhsa_forward_progress 1
		.amdhsa_inst_pref_size 0
		.amdhsa_round_robin_scheduling 0
		.amdhsa_exception_fp_ieee_invalid_op 0
		.amdhsa_exception_fp_denorm_src 0
		.amdhsa_exception_fp_ieee_div_zero 0
		.amdhsa_exception_fp_ieee_overflow 0
		.amdhsa_exception_fp_ieee_underflow 0
		.amdhsa_exception_fp_ieee_inexact 0
		.amdhsa_exception_int_div_zero 0
	.end_amdhsa_kernel
	.section	.text._ZN7rocprim17ROCPRIM_400000_NS6detail17trampoline_kernelINS0_14default_configENS1_35radix_sort_onesweep_config_selectorIaNS0_10empty_typeEEEZZNS1_29radix_sort_onesweep_iterationIS3_Lb0EPKaPaPS5_SB_mNS0_19identity_decomposerENS1_16block_id_wrapperIjLb1EEEEE10hipError_tT1_PNSt15iterator_traitsISG_E10value_typeET2_T3_PNSH_ISM_E10value_typeET4_T5_PSR_SS_PNS1_23onesweep_lookback_stateEbbT6_jjT7_P12ihipStream_tbENKUlT_T0_SG_SL_E_clIS9_SA_SB_SB_EEDaSZ_S10_SG_SL_EUlSZ_E_NS1_11comp_targetILNS1_3genE9ELNS1_11target_archE1100ELNS1_3gpuE3ELNS1_3repE0EEENS1_47radix_sort_onesweep_sort_config_static_selectorELNS0_4arch9wavefront6targetE0EEEvSG_,"axG",@progbits,_ZN7rocprim17ROCPRIM_400000_NS6detail17trampoline_kernelINS0_14default_configENS1_35radix_sort_onesweep_config_selectorIaNS0_10empty_typeEEEZZNS1_29radix_sort_onesweep_iterationIS3_Lb0EPKaPaPS5_SB_mNS0_19identity_decomposerENS1_16block_id_wrapperIjLb1EEEEE10hipError_tT1_PNSt15iterator_traitsISG_E10value_typeET2_T3_PNSH_ISM_E10value_typeET4_T5_PSR_SS_PNS1_23onesweep_lookback_stateEbbT6_jjT7_P12ihipStream_tbENKUlT_T0_SG_SL_E_clIS9_SA_SB_SB_EEDaSZ_S10_SG_SL_EUlSZ_E_NS1_11comp_targetILNS1_3genE9ELNS1_11target_archE1100ELNS1_3gpuE3ELNS1_3repE0EEENS1_47radix_sort_onesweep_sort_config_static_selectorELNS0_4arch9wavefront6targetE0EEEvSG_,comdat
.Lfunc_end473:
	.size	_ZN7rocprim17ROCPRIM_400000_NS6detail17trampoline_kernelINS0_14default_configENS1_35radix_sort_onesweep_config_selectorIaNS0_10empty_typeEEEZZNS1_29radix_sort_onesweep_iterationIS3_Lb0EPKaPaPS5_SB_mNS0_19identity_decomposerENS1_16block_id_wrapperIjLb1EEEEE10hipError_tT1_PNSt15iterator_traitsISG_E10value_typeET2_T3_PNSH_ISM_E10value_typeET4_T5_PSR_SS_PNS1_23onesweep_lookback_stateEbbT6_jjT7_P12ihipStream_tbENKUlT_T0_SG_SL_E_clIS9_SA_SB_SB_EEDaSZ_S10_SG_SL_EUlSZ_E_NS1_11comp_targetILNS1_3genE9ELNS1_11target_archE1100ELNS1_3gpuE3ELNS1_3repE0EEENS1_47radix_sort_onesweep_sort_config_static_selectorELNS0_4arch9wavefront6targetE0EEEvSG_, .Lfunc_end473-_ZN7rocprim17ROCPRIM_400000_NS6detail17trampoline_kernelINS0_14default_configENS1_35radix_sort_onesweep_config_selectorIaNS0_10empty_typeEEEZZNS1_29radix_sort_onesweep_iterationIS3_Lb0EPKaPaPS5_SB_mNS0_19identity_decomposerENS1_16block_id_wrapperIjLb1EEEEE10hipError_tT1_PNSt15iterator_traitsISG_E10value_typeET2_T3_PNSH_ISM_E10value_typeET4_T5_PSR_SS_PNS1_23onesweep_lookback_stateEbbT6_jjT7_P12ihipStream_tbENKUlT_T0_SG_SL_E_clIS9_SA_SB_SB_EEDaSZ_S10_SG_SL_EUlSZ_E_NS1_11comp_targetILNS1_3genE9ELNS1_11target_archE1100ELNS1_3gpuE3ELNS1_3repE0EEENS1_47radix_sort_onesweep_sort_config_static_selectorELNS0_4arch9wavefront6targetE0EEEvSG_
                                        ; -- End function
	.set _ZN7rocprim17ROCPRIM_400000_NS6detail17trampoline_kernelINS0_14default_configENS1_35radix_sort_onesweep_config_selectorIaNS0_10empty_typeEEEZZNS1_29radix_sort_onesweep_iterationIS3_Lb0EPKaPaPS5_SB_mNS0_19identity_decomposerENS1_16block_id_wrapperIjLb1EEEEE10hipError_tT1_PNSt15iterator_traitsISG_E10value_typeET2_T3_PNSH_ISM_E10value_typeET4_T5_PSR_SS_PNS1_23onesweep_lookback_stateEbbT6_jjT7_P12ihipStream_tbENKUlT_T0_SG_SL_E_clIS9_SA_SB_SB_EEDaSZ_S10_SG_SL_EUlSZ_E_NS1_11comp_targetILNS1_3genE9ELNS1_11target_archE1100ELNS1_3gpuE3ELNS1_3repE0EEENS1_47radix_sort_onesweep_sort_config_static_selectorELNS0_4arch9wavefront6targetE0EEEvSG_.num_vgpr, 0
	.set _ZN7rocprim17ROCPRIM_400000_NS6detail17trampoline_kernelINS0_14default_configENS1_35radix_sort_onesweep_config_selectorIaNS0_10empty_typeEEEZZNS1_29radix_sort_onesweep_iterationIS3_Lb0EPKaPaPS5_SB_mNS0_19identity_decomposerENS1_16block_id_wrapperIjLb1EEEEE10hipError_tT1_PNSt15iterator_traitsISG_E10value_typeET2_T3_PNSH_ISM_E10value_typeET4_T5_PSR_SS_PNS1_23onesweep_lookback_stateEbbT6_jjT7_P12ihipStream_tbENKUlT_T0_SG_SL_E_clIS9_SA_SB_SB_EEDaSZ_S10_SG_SL_EUlSZ_E_NS1_11comp_targetILNS1_3genE9ELNS1_11target_archE1100ELNS1_3gpuE3ELNS1_3repE0EEENS1_47radix_sort_onesweep_sort_config_static_selectorELNS0_4arch9wavefront6targetE0EEEvSG_.num_agpr, 0
	.set _ZN7rocprim17ROCPRIM_400000_NS6detail17trampoline_kernelINS0_14default_configENS1_35radix_sort_onesweep_config_selectorIaNS0_10empty_typeEEEZZNS1_29radix_sort_onesweep_iterationIS3_Lb0EPKaPaPS5_SB_mNS0_19identity_decomposerENS1_16block_id_wrapperIjLb1EEEEE10hipError_tT1_PNSt15iterator_traitsISG_E10value_typeET2_T3_PNSH_ISM_E10value_typeET4_T5_PSR_SS_PNS1_23onesweep_lookback_stateEbbT6_jjT7_P12ihipStream_tbENKUlT_T0_SG_SL_E_clIS9_SA_SB_SB_EEDaSZ_S10_SG_SL_EUlSZ_E_NS1_11comp_targetILNS1_3genE9ELNS1_11target_archE1100ELNS1_3gpuE3ELNS1_3repE0EEENS1_47radix_sort_onesweep_sort_config_static_selectorELNS0_4arch9wavefront6targetE0EEEvSG_.numbered_sgpr, 0
	.set _ZN7rocprim17ROCPRIM_400000_NS6detail17trampoline_kernelINS0_14default_configENS1_35radix_sort_onesweep_config_selectorIaNS0_10empty_typeEEEZZNS1_29radix_sort_onesweep_iterationIS3_Lb0EPKaPaPS5_SB_mNS0_19identity_decomposerENS1_16block_id_wrapperIjLb1EEEEE10hipError_tT1_PNSt15iterator_traitsISG_E10value_typeET2_T3_PNSH_ISM_E10value_typeET4_T5_PSR_SS_PNS1_23onesweep_lookback_stateEbbT6_jjT7_P12ihipStream_tbENKUlT_T0_SG_SL_E_clIS9_SA_SB_SB_EEDaSZ_S10_SG_SL_EUlSZ_E_NS1_11comp_targetILNS1_3genE9ELNS1_11target_archE1100ELNS1_3gpuE3ELNS1_3repE0EEENS1_47radix_sort_onesweep_sort_config_static_selectorELNS0_4arch9wavefront6targetE0EEEvSG_.num_named_barrier, 0
	.set _ZN7rocprim17ROCPRIM_400000_NS6detail17trampoline_kernelINS0_14default_configENS1_35radix_sort_onesweep_config_selectorIaNS0_10empty_typeEEEZZNS1_29radix_sort_onesweep_iterationIS3_Lb0EPKaPaPS5_SB_mNS0_19identity_decomposerENS1_16block_id_wrapperIjLb1EEEEE10hipError_tT1_PNSt15iterator_traitsISG_E10value_typeET2_T3_PNSH_ISM_E10value_typeET4_T5_PSR_SS_PNS1_23onesweep_lookback_stateEbbT6_jjT7_P12ihipStream_tbENKUlT_T0_SG_SL_E_clIS9_SA_SB_SB_EEDaSZ_S10_SG_SL_EUlSZ_E_NS1_11comp_targetILNS1_3genE9ELNS1_11target_archE1100ELNS1_3gpuE3ELNS1_3repE0EEENS1_47radix_sort_onesweep_sort_config_static_selectorELNS0_4arch9wavefront6targetE0EEEvSG_.private_seg_size, 0
	.set _ZN7rocprim17ROCPRIM_400000_NS6detail17trampoline_kernelINS0_14default_configENS1_35radix_sort_onesweep_config_selectorIaNS0_10empty_typeEEEZZNS1_29radix_sort_onesweep_iterationIS3_Lb0EPKaPaPS5_SB_mNS0_19identity_decomposerENS1_16block_id_wrapperIjLb1EEEEE10hipError_tT1_PNSt15iterator_traitsISG_E10value_typeET2_T3_PNSH_ISM_E10value_typeET4_T5_PSR_SS_PNS1_23onesweep_lookback_stateEbbT6_jjT7_P12ihipStream_tbENKUlT_T0_SG_SL_E_clIS9_SA_SB_SB_EEDaSZ_S10_SG_SL_EUlSZ_E_NS1_11comp_targetILNS1_3genE9ELNS1_11target_archE1100ELNS1_3gpuE3ELNS1_3repE0EEENS1_47radix_sort_onesweep_sort_config_static_selectorELNS0_4arch9wavefront6targetE0EEEvSG_.uses_vcc, 0
	.set _ZN7rocprim17ROCPRIM_400000_NS6detail17trampoline_kernelINS0_14default_configENS1_35radix_sort_onesweep_config_selectorIaNS0_10empty_typeEEEZZNS1_29radix_sort_onesweep_iterationIS3_Lb0EPKaPaPS5_SB_mNS0_19identity_decomposerENS1_16block_id_wrapperIjLb1EEEEE10hipError_tT1_PNSt15iterator_traitsISG_E10value_typeET2_T3_PNSH_ISM_E10value_typeET4_T5_PSR_SS_PNS1_23onesweep_lookback_stateEbbT6_jjT7_P12ihipStream_tbENKUlT_T0_SG_SL_E_clIS9_SA_SB_SB_EEDaSZ_S10_SG_SL_EUlSZ_E_NS1_11comp_targetILNS1_3genE9ELNS1_11target_archE1100ELNS1_3gpuE3ELNS1_3repE0EEENS1_47radix_sort_onesweep_sort_config_static_selectorELNS0_4arch9wavefront6targetE0EEEvSG_.uses_flat_scratch, 0
	.set _ZN7rocprim17ROCPRIM_400000_NS6detail17trampoline_kernelINS0_14default_configENS1_35radix_sort_onesweep_config_selectorIaNS0_10empty_typeEEEZZNS1_29radix_sort_onesweep_iterationIS3_Lb0EPKaPaPS5_SB_mNS0_19identity_decomposerENS1_16block_id_wrapperIjLb1EEEEE10hipError_tT1_PNSt15iterator_traitsISG_E10value_typeET2_T3_PNSH_ISM_E10value_typeET4_T5_PSR_SS_PNS1_23onesweep_lookback_stateEbbT6_jjT7_P12ihipStream_tbENKUlT_T0_SG_SL_E_clIS9_SA_SB_SB_EEDaSZ_S10_SG_SL_EUlSZ_E_NS1_11comp_targetILNS1_3genE9ELNS1_11target_archE1100ELNS1_3gpuE3ELNS1_3repE0EEENS1_47radix_sort_onesweep_sort_config_static_selectorELNS0_4arch9wavefront6targetE0EEEvSG_.has_dyn_sized_stack, 0
	.set _ZN7rocprim17ROCPRIM_400000_NS6detail17trampoline_kernelINS0_14default_configENS1_35radix_sort_onesweep_config_selectorIaNS0_10empty_typeEEEZZNS1_29radix_sort_onesweep_iterationIS3_Lb0EPKaPaPS5_SB_mNS0_19identity_decomposerENS1_16block_id_wrapperIjLb1EEEEE10hipError_tT1_PNSt15iterator_traitsISG_E10value_typeET2_T3_PNSH_ISM_E10value_typeET4_T5_PSR_SS_PNS1_23onesweep_lookback_stateEbbT6_jjT7_P12ihipStream_tbENKUlT_T0_SG_SL_E_clIS9_SA_SB_SB_EEDaSZ_S10_SG_SL_EUlSZ_E_NS1_11comp_targetILNS1_3genE9ELNS1_11target_archE1100ELNS1_3gpuE3ELNS1_3repE0EEENS1_47radix_sort_onesweep_sort_config_static_selectorELNS0_4arch9wavefront6targetE0EEEvSG_.has_recursion, 0
	.set _ZN7rocprim17ROCPRIM_400000_NS6detail17trampoline_kernelINS0_14default_configENS1_35radix_sort_onesweep_config_selectorIaNS0_10empty_typeEEEZZNS1_29radix_sort_onesweep_iterationIS3_Lb0EPKaPaPS5_SB_mNS0_19identity_decomposerENS1_16block_id_wrapperIjLb1EEEEE10hipError_tT1_PNSt15iterator_traitsISG_E10value_typeET2_T3_PNSH_ISM_E10value_typeET4_T5_PSR_SS_PNS1_23onesweep_lookback_stateEbbT6_jjT7_P12ihipStream_tbENKUlT_T0_SG_SL_E_clIS9_SA_SB_SB_EEDaSZ_S10_SG_SL_EUlSZ_E_NS1_11comp_targetILNS1_3genE9ELNS1_11target_archE1100ELNS1_3gpuE3ELNS1_3repE0EEENS1_47radix_sort_onesweep_sort_config_static_selectorELNS0_4arch9wavefront6targetE0EEEvSG_.has_indirect_call, 0
	.section	.AMDGPU.csdata,"",@progbits
; Kernel info:
; codeLenInByte = 0
; TotalNumSgprs: 0
; NumVgprs: 0
; ScratchSize: 0
; MemoryBound: 0
; FloatMode: 240
; IeeeMode: 1
; LDSByteSize: 0 bytes/workgroup (compile time only)
; SGPRBlocks: 0
; VGPRBlocks: 0
; NumSGPRsForWavesPerEU: 1
; NumVGPRsForWavesPerEU: 1
; NamedBarCnt: 0
; Occupancy: 16
; WaveLimiterHint : 0
; COMPUTE_PGM_RSRC2:SCRATCH_EN: 0
; COMPUTE_PGM_RSRC2:USER_SGPR: 2
; COMPUTE_PGM_RSRC2:TRAP_HANDLER: 0
; COMPUTE_PGM_RSRC2:TGID_X_EN: 1
; COMPUTE_PGM_RSRC2:TGID_Y_EN: 0
; COMPUTE_PGM_RSRC2:TGID_Z_EN: 0
; COMPUTE_PGM_RSRC2:TIDIG_COMP_CNT: 0
	.section	.text._ZN7rocprim17ROCPRIM_400000_NS6detail17trampoline_kernelINS0_14default_configENS1_35radix_sort_onesweep_config_selectorIaNS0_10empty_typeEEEZZNS1_29radix_sort_onesweep_iterationIS3_Lb0EPKaPaPS5_SB_mNS0_19identity_decomposerENS1_16block_id_wrapperIjLb1EEEEE10hipError_tT1_PNSt15iterator_traitsISG_E10value_typeET2_T3_PNSH_ISM_E10value_typeET4_T5_PSR_SS_PNS1_23onesweep_lookback_stateEbbT6_jjT7_P12ihipStream_tbENKUlT_T0_SG_SL_E_clIS9_SA_SB_SB_EEDaSZ_S10_SG_SL_EUlSZ_E_NS1_11comp_targetILNS1_3genE8ELNS1_11target_archE1030ELNS1_3gpuE2ELNS1_3repE0EEENS1_47radix_sort_onesweep_sort_config_static_selectorELNS0_4arch9wavefront6targetE0EEEvSG_,"axG",@progbits,_ZN7rocprim17ROCPRIM_400000_NS6detail17trampoline_kernelINS0_14default_configENS1_35radix_sort_onesweep_config_selectorIaNS0_10empty_typeEEEZZNS1_29radix_sort_onesweep_iterationIS3_Lb0EPKaPaPS5_SB_mNS0_19identity_decomposerENS1_16block_id_wrapperIjLb1EEEEE10hipError_tT1_PNSt15iterator_traitsISG_E10value_typeET2_T3_PNSH_ISM_E10value_typeET4_T5_PSR_SS_PNS1_23onesweep_lookback_stateEbbT6_jjT7_P12ihipStream_tbENKUlT_T0_SG_SL_E_clIS9_SA_SB_SB_EEDaSZ_S10_SG_SL_EUlSZ_E_NS1_11comp_targetILNS1_3genE8ELNS1_11target_archE1030ELNS1_3gpuE2ELNS1_3repE0EEENS1_47radix_sort_onesweep_sort_config_static_selectorELNS0_4arch9wavefront6targetE0EEEvSG_,comdat
	.protected	_ZN7rocprim17ROCPRIM_400000_NS6detail17trampoline_kernelINS0_14default_configENS1_35radix_sort_onesweep_config_selectorIaNS0_10empty_typeEEEZZNS1_29radix_sort_onesweep_iterationIS3_Lb0EPKaPaPS5_SB_mNS0_19identity_decomposerENS1_16block_id_wrapperIjLb1EEEEE10hipError_tT1_PNSt15iterator_traitsISG_E10value_typeET2_T3_PNSH_ISM_E10value_typeET4_T5_PSR_SS_PNS1_23onesweep_lookback_stateEbbT6_jjT7_P12ihipStream_tbENKUlT_T0_SG_SL_E_clIS9_SA_SB_SB_EEDaSZ_S10_SG_SL_EUlSZ_E_NS1_11comp_targetILNS1_3genE8ELNS1_11target_archE1030ELNS1_3gpuE2ELNS1_3repE0EEENS1_47radix_sort_onesweep_sort_config_static_selectorELNS0_4arch9wavefront6targetE0EEEvSG_ ; -- Begin function _ZN7rocprim17ROCPRIM_400000_NS6detail17trampoline_kernelINS0_14default_configENS1_35radix_sort_onesweep_config_selectorIaNS0_10empty_typeEEEZZNS1_29radix_sort_onesweep_iterationIS3_Lb0EPKaPaPS5_SB_mNS0_19identity_decomposerENS1_16block_id_wrapperIjLb1EEEEE10hipError_tT1_PNSt15iterator_traitsISG_E10value_typeET2_T3_PNSH_ISM_E10value_typeET4_T5_PSR_SS_PNS1_23onesweep_lookback_stateEbbT6_jjT7_P12ihipStream_tbENKUlT_T0_SG_SL_E_clIS9_SA_SB_SB_EEDaSZ_S10_SG_SL_EUlSZ_E_NS1_11comp_targetILNS1_3genE8ELNS1_11target_archE1030ELNS1_3gpuE2ELNS1_3repE0EEENS1_47radix_sort_onesweep_sort_config_static_selectorELNS0_4arch9wavefront6targetE0EEEvSG_
	.globl	_ZN7rocprim17ROCPRIM_400000_NS6detail17trampoline_kernelINS0_14default_configENS1_35radix_sort_onesweep_config_selectorIaNS0_10empty_typeEEEZZNS1_29radix_sort_onesweep_iterationIS3_Lb0EPKaPaPS5_SB_mNS0_19identity_decomposerENS1_16block_id_wrapperIjLb1EEEEE10hipError_tT1_PNSt15iterator_traitsISG_E10value_typeET2_T3_PNSH_ISM_E10value_typeET4_T5_PSR_SS_PNS1_23onesweep_lookback_stateEbbT6_jjT7_P12ihipStream_tbENKUlT_T0_SG_SL_E_clIS9_SA_SB_SB_EEDaSZ_S10_SG_SL_EUlSZ_E_NS1_11comp_targetILNS1_3genE8ELNS1_11target_archE1030ELNS1_3gpuE2ELNS1_3repE0EEENS1_47radix_sort_onesweep_sort_config_static_selectorELNS0_4arch9wavefront6targetE0EEEvSG_
	.p2align	8
	.type	_ZN7rocprim17ROCPRIM_400000_NS6detail17trampoline_kernelINS0_14default_configENS1_35radix_sort_onesweep_config_selectorIaNS0_10empty_typeEEEZZNS1_29radix_sort_onesweep_iterationIS3_Lb0EPKaPaPS5_SB_mNS0_19identity_decomposerENS1_16block_id_wrapperIjLb1EEEEE10hipError_tT1_PNSt15iterator_traitsISG_E10value_typeET2_T3_PNSH_ISM_E10value_typeET4_T5_PSR_SS_PNS1_23onesweep_lookback_stateEbbT6_jjT7_P12ihipStream_tbENKUlT_T0_SG_SL_E_clIS9_SA_SB_SB_EEDaSZ_S10_SG_SL_EUlSZ_E_NS1_11comp_targetILNS1_3genE8ELNS1_11target_archE1030ELNS1_3gpuE2ELNS1_3repE0EEENS1_47radix_sort_onesweep_sort_config_static_selectorELNS0_4arch9wavefront6targetE0EEEvSG_,@function
_ZN7rocprim17ROCPRIM_400000_NS6detail17trampoline_kernelINS0_14default_configENS1_35radix_sort_onesweep_config_selectorIaNS0_10empty_typeEEEZZNS1_29radix_sort_onesweep_iterationIS3_Lb0EPKaPaPS5_SB_mNS0_19identity_decomposerENS1_16block_id_wrapperIjLb1EEEEE10hipError_tT1_PNSt15iterator_traitsISG_E10value_typeET2_T3_PNSH_ISM_E10value_typeET4_T5_PSR_SS_PNS1_23onesweep_lookback_stateEbbT6_jjT7_P12ihipStream_tbENKUlT_T0_SG_SL_E_clIS9_SA_SB_SB_EEDaSZ_S10_SG_SL_EUlSZ_E_NS1_11comp_targetILNS1_3genE8ELNS1_11target_archE1030ELNS1_3gpuE2ELNS1_3repE0EEENS1_47radix_sort_onesweep_sort_config_static_selectorELNS0_4arch9wavefront6targetE0EEEvSG_: ; @_ZN7rocprim17ROCPRIM_400000_NS6detail17trampoline_kernelINS0_14default_configENS1_35radix_sort_onesweep_config_selectorIaNS0_10empty_typeEEEZZNS1_29radix_sort_onesweep_iterationIS3_Lb0EPKaPaPS5_SB_mNS0_19identity_decomposerENS1_16block_id_wrapperIjLb1EEEEE10hipError_tT1_PNSt15iterator_traitsISG_E10value_typeET2_T3_PNSH_ISM_E10value_typeET4_T5_PSR_SS_PNS1_23onesweep_lookback_stateEbbT6_jjT7_P12ihipStream_tbENKUlT_T0_SG_SL_E_clIS9_SA_SB_SB_EEDaSZ_S10_SG_SL_EUlSZ_E_NS1_11comp_targetILNS1_3genE8ELNS1_11target_archE1030ELNS1_3gpuE2ELNS1_3repE0EEENS1_47radix_sort_onesweep_sort_config_static_selectorELNS0_4arch9wavefront6targetE0EEEvSG_
; %bb.0:
	.section	.rodata,"a",@progbits
	.p2align	6, 0x0
	.amdhsa_kernel _ZN7rocprim17ROCPRIM_400000_NS6detail17trampoline_kernelINS0_14default_configENS1_35radix_sort_onesweep_config_selectorIaNS0_10empty_typeEEEZZNS1_29radix_sort_onesweep_iterationIS3_Lb0EPKaPaPS5_SB_mNS0_19identity_decomposerENS1_16block_id_wrapperIjLb1EEEEE10hipError_tT1_PNSt15iterator_traitsISG_E10value_typeET2_T3_PNSH_ISM_E10value_typeET4_T5_PSR_SS_PNS1_23onesweep_lookback_stateEbbT6_jjT7_P12ihipStream_tbENKUlT_T0_SG_SL_E_clIS9_SA_SB_SB_EEDaSZ_S10_SG_SL_EUlSZ_E_NS1_11comp_targetILNS1_3genE8ELNS1_11target_archE1030ELNS1_3gpuE2ELNS1_3repE0EEENS1_47radix_sort_onesweep_sort_config_static_selectorELNS0_4arch9wavefront6targetE0EEEvSG_
		.amdhsa_group_segment_fixed_size 0
		.amdhsa_private_segment_fixed_size 0
		.amdhsa_kernarg_size 88
		.amdhsa_user_sgpr_count 2
		.amdhsa_user_sgpr_dispatch_ptr 0
		.amdhsa_user_sgpr_queue_ptr 0
		.amdhsa_user_sgpr_kernarg_segment_ptr 1
		.amdhsa_user_sgpr_dispatch_id 0
		.amdhsa_user_sgpr_kernarg_preload_length 0
		.amdhsa_user_sgpr_kernarg_preload_offset 0
		.amdhsa_user_sgpr_private_segment_size 0
		.amdhsa_wavefront_size32 1
		.amdhsa_uses_dynamic_stack 0
		.amdhsa_enable_private_segment 0
		.amdhsa_system_sgpr_workgroup_id_x 1
		.amdhsa_system_sgpr_workgroup_id_y 0
		.amdhsa_system_sgpr_workgroup_id_z 0
		.amdhsa_system_sgpr_workgroup_info 0
		.amdhsa_system_vgpr_workitem_id 0
		.amdhsa_next_free_vgpr 1
		.amdhsa_next_free_sgpr 1
		.amdhsa_named_barrier_count 0
		.amdhsa_reserve_vcc 0
		.amdhsa_float_round_mode_32 0
		.amdhsa_float_round_mode_16_64 0
		.amdhsa_float_denorm_mode_32 3
		.amdhsa_float_denorm_mode_16_64 3
		.amdhsa_fp16_overflow 0
		.amdhsa_memory_ordered 1
		.amdhsa_forward_progress 1
		.amdhsa_inst_pref_size 0
		.amdhsa_round_robin_scheduling 0
		.amdhsa_exception_fp_ieee_invalid_op 0
		.amdhsa_exception_fp_denorm_src 0
		.amdhsa_exception_fp_ieee_div_zero 0
		.amdhsa_exception_fp_ieee_overflow 0
		.amdhsa_exception_fp_ieee_underflow 0
		.amdhsa_exception_fp_ieee_inexact 0
		.amdhsa_exception_int_div_zero 0
	.end_amdhsa_kernel
	.section	.text._ZN7rocprim17ROCPRIM_400000_NS6detail17trampoline_kernelINS0_14default_configENS1_35radix_sort_onesweep_config_selectorIaNS0_10empty_typeEEEZZNS1_29radix_sort_onesweep_iterationIS3_Lb0EPKaPaPS5_SB_mNS0_19identity_decomposerENS1_16block_id_wrapperIjLb1EEEEE10hipError_tT1_PNSt15iterator_traitsISG_E10value_typeET2_T3_PNSH_ISM_E10value_typeET4_T5_PSR_SS_PNS1_23onesweep_lookback_stateEbbT6_jjT7_P12ihipStream_tbENKUlT_T0_SG_SL_E_clIS9_SA_SB_SB_EEDaSZ_S10_SG_SL_EUlSZ_E_NS1_11comp_targetILNS1_3genE8ELNS1_11target_archE1030ELNS1_3gpuE2ELNS1_3repE0EEENS1_47radix_sort_onesweep_sort_config_static_selectorELNS0_4arch9wavefront6targetE0EEEvSG_,"axG",@progbits,_ZN7rocprim17ROCPRIM_400000_NS6detail17trampoline_kernelINS0_14default_configENS1_35radix_sort_onesweep_config_selectorIaNS0_10empty_typeEEEZZNS1_29radix_sort_onesweep_iterationIS3_Lb0EPKaPaPS5_SB_mNS0_19identity_decomposerENS1_16block_id_wrapperIjLb1EEEEE10hipError_tT1_PNSt15iterator_traitsISG_E10value_typeET2_T3_PNSH_ISM_E10value_typeET4_T5_PSR_SS_PNS1_23onesweep_lookback_stateEbbT6_jjT7_P12ihipStream_tbENKUlT_T0_SG_SL_E_clIS9_SA_SB_SB_EEDaSZ_S10_SG_SL_EUlSZ_E_NS1_11comp_targetILNS1_3genE8ELNS1_11target_archE1030ELNS1_3gpuE2ELNS1_3repE0EEENS1_47radix_sort_onesweep_sort_config_static_selectorELNS0_4arch9wavefront6targetE0EEEvSG_,comdat
.Lfunc_end474:
	.size	_ZN7rocprim17ROCPRIM_400000_NS6detail17trampoline_kernelINS0_14default_configENS1_35radix_sort_onesweep_config_selectorIaNS0_10empty_typeEEEZZNS1_29radix_sort_onesweep_iterationIS3_Lb0EPKaPaPS5_SB_mNS0_19identity_decomposerENS1_16block_id_wrapperIjLb1EEEEE10hipError_tT1_PNSt15iterator_traitsISG_E10value_typeET2_T3_PNSH_ISM_E10value_typeET4_T5_PSR_SS_PNS1_23onesweep_lookback_stateEbbT6_jjT7_P12ihipStream_tbENKUlT_T0_SG_SL_E_clIS9_SA_SB_SB_EEDaSZ_S10_SG_SL_EUlSZ_E_NS1_11comp_targetILNS1_3genE8ELNS1_11target_archE1030ELNS1_3gpuE2ELNS1_3repE0EEENS1_47radix_sort_onesweep_sort_config_static_selectorELNS0_4arch9wavefront6targetE0EEEvSG_, .Lfunc_end474-_ZN7rocprim17ROCPRIM_400000_NS6detail17trampoline_kernelINS0_14default_configENS1_35radix_sort_onesweep_config_selectorIaNS0_10empty_typeEEEZZNS1_29radix_sort_onesweep_iterationIS3_Lb0EPKaPaPS5_SB_mNS0_19identity_decomposerENS1_16block_id_wrapperIjLb1EEEEE10hipError_tT1_PNSt15iterator_traitsISG_E10value_typeET2_T3_PNSH_ISM_E10value_typeET4_T5_PSR_SS_PNS1_23onesweep_lookback_stateEbbT6_jjT7_P12ihipStream_tbENKUlT_T0_SG_SL_E_clIS9_SA_SB_SB_EEDaSZ_S10_SG_SL_EUlSZ_E_NS1_11comp_targetILNS1_3genE8ELNS1_11target_archE1030ELNS1_3gpuE2ELNS1_3repE0EEENS1_47radix_sort_onesweep_sort_config_static_selectorELNS0_4arch9wavefront6targetE0EEEvSG_
                                        ; -- End function
	.set _ZN7rocprim17ROCPRIM_400000_NS6detail17trampoline_kernelINS0_14default_configENS1_35radix_sort_onesweep_config_selectorIaNS0_10empty_typeEEEZZNS1_29radix_sort_onesweep_iterationIS3_Lb0EPKaPaPS5_SB_mNS0_19identity_decomposerENS1_16block_id_wrapperIjLb1EEEEE10hipError_tT1_PNSt15iterator_traitsISG_E10value_typeET2_T3_PNSH_ISM_E10value_typeET4_T5_PSR_SS_PNS1_23onesweep_lookback_stateEbbT6_jjT7_P12ihipStream_tbENKUlT_T0_SG_SL_E_clIS9_SA_SB_SB_EEDaSZ_S10_SG_SL_EUlSZ_E_NS1_11comp_targetILNS1_3genE8ELNS1_11target_archE1030ELNS1_3gpuE2ELNS1_3repE0EEENS1_47radix_sort_onesweep_sort_config_static_selectorELNS0_4arch9wavefront6targetE0EEEvSG_.num_vgpr, 0
	.set _ZN7rocprim17ROCPRIM_400000_NS6detail17trampoline_kernelINS0_14default_configENS1_35radix_sort_onesweep_config_selectorIaNS0_10empty_typeEEEZZNS1_29radix_sort_onesweep_iterationIS3_Lb0EPKaPaPS5_SB_mNS0_19identity_decomposerENS1_16block_id_wrapperIjLb1EEEEE10hipError_tT1_PNSt15iterator_traitsISG_E10value_typeET2_T3_PNSH_ISM_E10value_typeET4_T5_PSR_SS_PNS1_23onesweep_lookback_stateEbbT6_jjT7_P12ihipStream_tbENKUlT_T0_SG_SL_E_clIS9_SA_SB_SB_EEDaSZ_S10_SG_SL_EUlSZ_E_NS1_11comp_targetILNS1_3genE8ELNS1_11target_archE1030ELNS1_3gpuE2ELNS1_3repE0EEENS1_47radix_sort_onesweep_sort_config_static_selectorELNS0_4arch9wavefront6targetE0EEEvSG_.num_agpr, 0
	.set _ZN7rocprim17ROCPRIM_400000_NS6detail17trampoline_kernelINS0_14default_configENS1_35radix_sort_onesweep_config_selectorIaNS0_10empty_typeEEEZZNS1_29radix_sort_onesweep_iterationIS3_Lb0EPKaPaPS5_SB_mNS0_19identity_decomposerENS1_16block_id_wrapperIjLb1EEEEE10hipError_tT1_PNSt15iterator_traitsISG_E10value_typeET2_T3_PNSH_ISM_E10value_typeET4_T5_PSR_SS_PNS1_23onesweep_lookback_stateEbbT6_jjT7_P12ihipStream_tbENKUlT_T0_SG_SL_E_clIS9_SA_SB_SB_EEDaSZ_S10_SG_SL_EUlSZ_E_NS1_11comp_targetILNS1_3genE8ELNS1_11target_archE1030ELNS1_3gpuE2ELNS1_3repE0EEENS1_47radix_sort_onesweep_sort_config_static_selectorELNS0_4arch9wavefront6targetE0EEEvSG_.numbered_sgpr, 0
	.set _ZN7rocprim17ROCPRIM_400000_NS6detail17trampoline_kernelINS0_14default_configENS1_35radix_sort_onesweep_config_selectorIaNS0_10empty_typeEEEZZNS1_29radix_sort_onesweep_iterationIS3_Lb0EPKaPaPS5_SB_mNS0_19identity_decomposerENS1_16block_id_wrapperIjLb1EEEEE10hipError_tT1_PNSt15iterator_traitsISG_E10value_typeET2_T3_PNSH_ISM_E10value_typeET4_T5_PSR_SS_PNS1_23onesweep_lookback_stateEbbT6_jjT7_P12ihipStream_tbENKUlT_T0_SG_SL_E_clIS9_SA_SB_SB_EEDaSZ_S10_SG_SL_EUlSZ_E_NS1_11comp_targetILNS1_3genE8ELNS1_11target_archE1030ELNS1_3gpuE2ELNS1_3repE0EEENS1_47radix_sort_onesweep_sort_config_static_selectorELNS0_4arch9wavefront6targetE0EEEvSG_.num_named_barrier, 0
	.set _ZN7rocprim17ROCPRIM_400000_NS6detail17trampoline_kernelINS0_14default_configENS1_35radix_sort_onesweep_config_selectorIaNS0_10empty_typeEEEZZNS1_29radix_sort_onesweep_iterationIS3_Lb0EPKaPaPS5_SB_mNS0_19identity_decomposerENS1_16block_id_wrapperIjLb1EEEEE10hipError_tT1_PNSt15iterator_traitsISG_E10value_typeET2_T3_PNSH_ISM_E10value_typeET4_T5_PSR_SS_PNS1_23onesweep_lookback_stateEbbT6_jjT7_P12ihipStream_tbENKUlT_T0_SG_SL_E_clIS9_SA_SB_SB_EEDaSZ_S10_SG_SL_EUlSZ_E_NS1_11comp_targetILNS1_3genE8ELNS1_11target_archE1030ELNS1_3gpuE2ELNS1_3repE0EEENS1_47radix_sort_onesweep_sort_config_static_selectorELNS0_4arch9wavefront6targetE0EEEvSG_.private_seg_size, 0
	.set _ZN7rocprim17ROCPRIM_400000_NS6detail17trampoline_kernelINS0_14default_configENS1_35radix_sort_onesweep_config_selectorIaNS0_10empty_typeEEEZZNS1_29radix_sort_onesweep_iterationIS3_Lb0EPKaPaPS5_SB_mNS0_19identity_decomposerENS1_16block_id_wrapperIjLb1EEEEE10hipError_tT1_PNSt15iterator_traitsISG_E10value_typeET2_T3_PNSH_ISM_E10value_typeET4_T5_PSR_SS_PNS1_23onesweep_lookback_stateEbbT6_jjT7_P12ihipStream_tbENKUlT_T0_SG_SL_E_clIS9_SA_SB_SB_EEDaSZ_S10_SG_SL_EUlSZ_E_NS1_11comp_targetILNS1_3genE8ELNS1_11target_archE1030ELNS1_3gpuE2ELNS1_3repE0EEENS1_47radix_sort_onesweep_sort_config_static_selectorELNS0_4arch9wavefront6targetE0EEEvSG_.uses_vcc, 0
	.set _ZN7rocprim17ROCPRIM_400000_NS6detail17trampoline_kernelINS0_14default_configENS1_35radix_sort_onesweep_config_selectorIaNS0_10empty_typeEEEZZNS1_29radix_sort_onesweep_iterationIS3_Lb0EPKaPaPS5_SB_mNS0_19identity_decomposerENS1_16block_id_wrapperIjLb1EEEEE10hipError_tT1_PNSt15iterator_traitsISG_E10value_typeET2_T3_PNSH_ISM_E10value_typeET4_T5_PSR_SS_PNS1_23onesweep_lookback_stateEbbT6_jjT7_P12ihipStream_tbENKUlT_T0_SG_SL_E_clIS9_SA_SB_SB_EEDaSZ_S10_SG_SL_EUlSZ_E_NS1_11comp_targetILNS1_3genE8ELNS1_11target_archE1030ELNS1_3gpuE2ELNS1_3repE0EEENS1_47radix_sort_onesweep_sort_config_static_selectorELNS0_4arch9wavefront6targetE0EEEvSG_.uses_flat_scratch, 0
	.set _ZN7rocprim17ROCPRIM_400000_NS6detail17trampoline_kernelINS0_14default_configENS1_35radix_sort_onesweep_config_selectorIaNS0_10empty_typeEEEZZNS1_29radix_sort_onesweep_iterationIS3_Lb0EPKaPaPS5_SB_mNS0_19identity_decomposerENS1_16block_id_wrapperIjLb1EEEEE10hipError_tT1_PNSt15iterator_traitsISG_E10value_typeET2_T3_PNSH_ISM_E10value_typeET4_T5_PSR_SS_PNS1_23onesweep_lookback_stateEbbT6_jjT7_P12ihipStream_tbENKUlT_T0_SG_SL_E_clIS9_SA_SB_SB_EEDaSZ_S10_SG_SL_EUlSZ_E_NS1_11comp_targetILNS1_3genE8ELNS1_11target_archE1030ELNS1_3gpuE2ELNS1_3repE0EEENS1_47radix_sort_onesweep_sort_config_static_selectorELNS0_4arch9wavefront6targetE0EEEvSG_.has_dyn_sized_stack, 0
	.set _ZN7rocprim17ROCPRIM_400000_NS6detail17trampoline_kernelINS0_14default_configENS1_35radix_sort_onesweep_config_selectorIaNS0_10empty_typeEEEZZNS1_29radix_sort_onesweep_iterationIS3_Lb0EPKaPaPS5_SB_mNS0_19identity_decomposerENS1_16block_id_wrapperIjLb1EEEEE10hipError_tT1_PNSt15iterator_traitsISG_E10value_typeET2_T3_PNSH_ISM_E10value_typeET4_T5_PSR_SS_PNS1_23onesweep_lookback_stateEbbT6_jjT7_P12ihipStream_tbENKUlT_T0_SG_SL_E_clIS9_SA_SB_SB_EEDaSZ_S10_SG_SL_EUlSZ_E_NS1_11comp_targetILNS1_3genE8ELNS1_11target_archE1030ELNS1_3gpuE2ELNS1_3repE0EEENS1_47radix_sort_onesweep_sort_config_static_selectorELNS0_4arch9wavefront6targetE0EEEvSG_.has_recursion, 0
	.set _ZN7rocprim17ROCPRIM_400000_NS6detail17trampoline_kernelINS0_14default_configENS1_35radix_sort_onesweep_config_selectorIaNS0_10empty_typeEEEZZNS1_29radix_sort_onesweep_iterationIS3_Lb0EPKaPaPS5_SB_mNS0_19identity_decomposerENS1_16block_id_wrapperIjLb1EEEEE10hipError_tT1_PNSt15iterator_traitsISG_E10value_typeET2_T3_PNSH_ISM_E10value_typeET4_T5_PSR_SS_PNS1_23onesweep_lookback_stateEbbT6_jjT7_P12ihipStream_tbENKUlT_T0_SG_SL_E_clIS9_SA_SB_SB_EEDaSZ_S10_SG_SL_EUlSZ_E_NS1_11comp_targetILNS1_3genE8ELNS1_11target_archE1030ELNS1_3gpuE2ELNS1_3repE0EEENS1_47radix_sort_onesweep_sort_config_static_selectorELNS0_4arch9wavefront6targetE0EEEvSG_.has_indirect_call, 0
	.section	.AMDGPU.csdata,"",@progbits
; Kernel info:
; codeLenInByte = 0
; TotalNumSgprs: 0
; NumVgprs: 0
; ScratchSize: 0
; MemoryBound: 0
; FloatMode: 240
; IeeeMode: 1
; LDSByteSize: 0 bytes/workgroup (compile time only)
; SGPRBlocks: 0
; VGPRBlocks: 0
; NumSGPRsForWavesPerEU: 1
; NumVGPRsForWavesPerEU: 1
; NamedBarCnt: 0
; Occupancy: 16
; WaveLimiterHint : 0
; COMPUTE_PGM_RSRC2:SCRATCH_EN: 0
; COMPUTE_PGM_RSRC2:USER_SGPR: 2
; COMPUTE_PGM_RSRC2:TRAP_HANDLER: 0
; COMPUTE_PGM_RSRC2:TGID_X_EN: 1
; COMPUTE_PGM_RSRC2:TGID_Y_EN: 0
; COMPUTE_PGM_RSRC2:TGID_Z_EN: 0
; COMPUTE_PGM_RSRC2:TIDIG_COMP_CNT: 0
	.section	.text._ZN7rocprim17ROCPRIM_400000_NS6detail17trampoline_kernelINS0_14default_configENS1_35radix_sort_onesweep_config_selectorIaNS0_10empty_typeEEEZZNS1_29radix_sort_onesweep_iterationIS3_Lb0EPKaPaPS5_SB_mNS0_19identity_decomposerENS1_16block_id_wrapperIjLb1EEEEE10hipError_tT1_PNSt15iterator_traitsISG_E10value_typeET2_T3_PNSH_ISM_E10value_typeET4_T5_PSR_SS_PNS1_23onesweep_lookback_stateEbbT6_jjT7_P12ihipStream_tbENKUlT_T0_SG_SL_E_clISA_SA_SB_SB_EEDaSZ_S10_SG_SL_EUlSZ_E_NS1_11comp_targetILNS1_3genE0ELNS1_11target_archE4294967295ELNS1_3gpuE0ELNS1_3repE0EEENS1_47radix_sort_onesweep_sort_config_static_selectorELNS0_4arch9wavefront6targetE0EEEvSG_,"axG",@progbits,_ZN7rocprim17ROCPRIM_400000_NS6detail17trampoline_kernelINS0_14default_configENS1_35radix_sort_onesweep_config_selectorIaNS0_10empty_typeEEEZZNS1_29radix_sort_onesweep_iterationIS3_Lb0EPKaPaPS5_SB_mNS0_19identity_decomposerENS1_16block_id_wrapperIjLb1EEEEE10hipError_tT1_PNSt15iterator_traitsISG_E10value_typeET2_T3_PNSH_ISM_E10value_typeET4_T5_PSR_SS_PNS1_23onesweep_lookback_stateEbbT6_jjT7_P12ihipStream_tbENKUlT_T0_SG_SL_E_clISA_SA_SB_SB_EEDaSZ_S10_SG_SL_EUlSZ_E_NS1_11comp_targetILNS1_3genE0ELNS1_11target_archE4294967295ELNS1_3gpuE0ELNS1_3repE0EEENS1_47radix_sort_onesweep_sort_config_static_selectorELNS0_4arch9wavefront6targetE0EEEvSG_,comdat
	.protected	_ZN7rocprim17ROCPRIM_400000_NS6detail17trampoline_kernelINS0_14default_configENS1_35radix_sort_onesweep_config_selectorIaNS0_10empty_typeEEEZZNS1_29radix_sort_onesweep_iterationIS3_Lb0EPKaPaPS5_SB_mNS0_19identity_decomposerENS1_16block_id_wrapperIjLb1EEEEE10hipError_tT1_PNSt15iterator_traitsISG_E10value_typeET2_T3_PNSH_ISM_E10value_typeET4_T5_PSR_SS_PNS1_23onesweep_lookback_stateEbbT6_jjT7_P12ihipStream_tbENKUlT_T0_SG_SL_E_clISA_SA_SB_SB_EEDaSZ_S10_SG_SL_EUlSZ_E_NS1_11comp_targetILNS1_3genE0ELNS1_11target_archE4294967295ELNS1_3gpuE0ELNS1_3repE0EEENS1_47radix_sort_onesweep_sort_config_static_selectorELNS0_4arch9wavefront6targetE0EEEvSG_ ; -- Begin function _ZN7rocprim17ROCPRIM_400000_NS6detail17trampoline_kernelINS0_14default_configENS1_35radix_sort_onesweep_config_selectorIaNS0_10empty_typeEEEZZNS1_29radix_sort_onesweep_iterationIS3_Lb0EPKaPaPS5_SB_mNS0_19identity_decomposerENS1_16block_id_wrapperIjLb1EEEEE10hipError_tT1_PNSt15iterator_traitsISG_E10value_typeET2_T3_PNSH_ISM_E10value_typeET4_T5_PSR_SS_PNS1_23onesweep_lookback_stateEbbT6_jjT7_P12ihipStream_tbENKUlT_T0_SG_SL_E_clISA_SA_SB_SB_EEDaSZ_S10_SG_SL_EUlSZ_E_NS1_11comp_targetILNS1_3genE0ELNS1_11target_archE4294967295ELNS1_3gpuE0ELNS1_3repE0EEENS1_47radix_sort_onesweep_sort_config_static_selectorELNS0_4arch9wavefront6targetE0EEEvSG_
	.globl	_ZN7rocprim17ROCPRIM_400000_NS6detail17trampoline_kernelINS0_14default_configENS1_35radix_sort_onesweep_config_selectorIaNS0_10empty_typeEEEZZNS1_29radix_sort_onesweep_iterationIS3_Lb0EPKaPaPS5_SB_mNS0_19identity_decomposerENS1_16block_id_wrapperIjLb1EEEEE10hipError_tT1_PNSt15iterator_traitsISG_E10value_typeET2_T3_PNSH_ISM_E10value_typeET4_T5_PSR_SS_PNS1_23onesweep_lookback_stateEbbT6_jjT7_P12ihipStream_tbENKUlT_T0_SG_SL_E_clISA_SA_SB_SB_EEDaSZ_S10_SG_SL_EUlSZ_E_NS1_11comp_targetILNS1_3genE0ELNS1_11target_archE4294967295ELNS1_3gpuE0ELNS1_3repE0EEENS1_47radix_sort_onesweep_sort_config_static_selectorELNS0_4arch9wavefront6targetE0EEEvSG_
	.p2align	8
	.type	_ZN7rocprim17ROCPRIM_400000_NS6detail17trampoline_kernelINS0_14default_configENS1_35radix_sort_onesweep_config_selectorIaNS0_10empty_typeEEEZZNS1_29radix_sort_onesweep_iterationIS3_Lb0EPKaPaPS5_SB_mNS0_19identity_decomposerENS1_16block_id_wrapperIjLb1EEEEE10hipError_tT1_PNSt15iterator_traitsISG_E10value_typeET2_T3_PNSH_ISM_E10value_typeET4_T5_PSR_SS_PNS1_23onesweep_lookback_stateEbbT6_jjT7_P12ihipStream_tbENKUlT_T0_SG_SL_E_clISA_SA_SB_SB_EEDaSZ_S10_SG_SL_EUlSZ_E_NS1_11comp_targetILNS1_3genE0ELNS1_11target_archE4294967295ELNS1_3gpuE0ELNS1_3repE0EEENS1_47radix_sort_onesweep_sort_config_static_selectorELNS0_4arch9wavefront6targetE0EEEvSG_,@function
_ZN7rocprim17ROCPRIM_400000_NS6detail17trampoline_kernelINS0_14default_configENS1_35radix_sort_onesweep_config_selectorIaNS0_10empty_typeEEEZZNS1_29radix_sort_onesweep_iterationIS3_Lb0EPKaPaPS5_SB_mNS0_19identity_decomposerENS1_16block_id_wrapperIjLb1EEEEE10hipError_tT1_PNSt15iterator_traitsISG_E10value_typeET2_T3_PNSH_ISM_E10value_typeET4_T5_PSR_SS_PNS1_23onesweep_lookback_stateEbbT6_jjT7_P12ihipStream_tbENKUlT_T0_SG_SL_E_clISA_SA_SB_SB_EEDaSZ_S10_SG_SL_EUlSZ_E_NS1_11comp_targetILNS1_3genE0ELNS1_11target_archE4294967295ELNS1_3gpuE0ELNS1_3repE0EEENS1_47radix_sort_onesweep_sort_config_static_selectorELNS0_4arch9wavefront6targetE0EEEvSG_: ; @_ZN7rocprim17ROCPRIM_400000_NS6detail17trampoline_kernelINS0_14default_configENS1_35radix_sort_onesweep_config_selectorIaNS0_10empty_typeEEEZZNS1_29radix_sort_onesweep_iterationIS3_Lb0EPKaPaPS5_SB_mNS0_19identity_decomposerENS1_16block_id_wrapperIjLb1EEEEE10hipError_tT1_PNSt15iterator_traitsISG_E10value_typeET2_T3_PNSH_ISM_E10value_typeET4_T5_PSR_SS_PNS1_23onesweep_lookback_stateEbbT6_jjT7_P12ihipStream_tbENKUlT_T0_SG_SL_E_clISA_SA_SB_SB_EEDaSZ_S10_SG_SL_EUlSZ_E_NS1_11comp_targetILNS1_3genE0ELNS1_11target_archE4294967295ELNS1_3gpuE0ELNS1_3repE0EEENS1_47radix_sort_onesweep_sort_config_static_selectorELNS0_4arch9wavefront6targetE0EEEvSG_
; %bb.0:
	s_clause 0x1
	s_load_b128 s[8:11], s[0:1], 0x28
	s_load_b64 s[20:21], s[0:1], 0x38
	s_mov_b32 s2, exec_lo
	v_cmpx_eq_u32_e32 0, v0
	s_cbranch_execz .LBB475_4
; %bb.1:
	s_mov_b32 s4, exec_lo
	s_mov_b32 s3, exec_lo
	v_mbcnt_lo_u32_b32 v1, s4, 0
                                        ; implicit-def: $vgpr2
	s_delay_alu instid0(VALU_DEP_1)
	v_cmpx_eq_u32_e32 0, v1
	s_cbranch_execz .LBB475_3
; %bb.2:
	s_load_b64 s[6:7], s[0:1], 0x50
	s_bcnt1_i32_b32 s4, s4
	s_delay_alu instid0(SALU_CYCLE_1)
	v_dual_mov_b32 v2, 0 :: v_dual_mov_b32 v3, s4
	s_wait_xcnt 0x0
	s_wait_kmcnt 0x0
	global_atomic_add_u32 v2, v2, v3, s[6:7] th:TH_ATOMIC_RETURN scope:SCOPE_DEV
.LBB475_3:
	s_wait_xcnt 0x0
	s_or_b32 exec_lo, exec_lo, s3
	s_wait_loadcnt 0x0
	v_readfirstlane_b32 s3, v2
	s_delay_alu instid0(VALU_DEP_1)
	v_dual_mov_b32 v2, 0 :: v_dual_add_nc_u32 v1, s3, v1
	ds_store_b32 v2, v1 offset:32896
.LBB475_4:
	s_or_b32 exec_lo, exec_lo, s2
	v_mov_b32_e32 v7, 0
	s_clause 0x2
	s_load_b128 s[12:15], s[0:1], 0x0
	s_load_b32 s2, s[0:1], 0x20
	s_load_b96 s[16:18], s[0:1], 0x44
	s_wait_dscnt 0x0
	s_barrier_signal -1
	s_barrier_wait -1
	ds_load_b32 v1, v7 offset:32896
	v_mul_u32_u24_e32 v6, 22, v0
	s_mov_b32 s3, -1
	s_wait_dscnt 0x0
	s_barrier_signal -1
	s_barrier_wait -1
	v_readfirstlane_b32 s19, v1
	s_wait_kmcnt 0x0
	v_cmp_le_u32_e32 vcc_lo, s18, v1
	s_mul_i32 s22, s19, 0x5800
	s_cbranch_vccz .LBB475_116
; %bb.5:
	s_mov_b32 s23, 0
	s_mulk_i32 s18, 0xa800
	s_add_nc_u64 s[4:5], s[12:13], s[22:23]
	s_add_co_i32 s18, s18, s2
	v_add_nc_u64_e32 v[2:3], s[4:5], v[6:7]
	v_cmp_gt_u32_e32 vcc_lo, s18, v6
	v_dual_mov_b32 v1, 0x7f :: v_dual_mov_b32 v24, 0x7f
	v_dual_mov_b32 v25, 0x7f :: v_dual_mov_b32 v22, 0x7f
	;; [unrolled: 1-line block ×10, first 2 shown]
	v_mov_b32_e32 v7, 0x7f
	v_mov_b32_e32 v5, 0x7f
	s_and_saveexec_b32 s2, vcc_lo
	s_cbranch_execz .LBB475_7
; %bb.6:
	global_load_u8 v25, v[2:3], off
	v_dual_mov_b32 v1, 0x7f :: v_dual_mov_b32 v24, 0x7f
	v_dual_mov_b32 v23, 0x7f :: v_dual_mov_b32 v22, 0x7f
	;; [unrolled: 1-line block ×10, first 2 shown]
	v_mov_b32_e32 v5, 0x7f
.LBB475_7:
	s_wait_xcnt 0x0
	s_or_b32 exec_lo, exec_lo, s2
	v_or_b32_e32 v26, 1, v6
	s_mov_b32 s2, exec_lo
	s_delay_alu instid0(VALU_DEP_1)
	v_cmpx_gt_u32_e64 s18, v26
	s_cbranch_execz .LBB475_9
; %bb.8:
	global_load_u8 v24, v[2:3], off offset:1
.LBB475_9:
	s_wait_xcnt 0x0
	s_or_b32 exec_lo, exec_lo, s2
	v_add_nc_u32_e32 v26, 2, v6
	s_mov_b32 s2, exec_lo
	s_delay_alu instid0(VALU_DEP_1)
	v_cmpx_gt_u32_e64 s18, v26
	s_cbranch_execz .LBB475_11
; %bb.10:
	global_load_u8 v23, v[2:3], off offset:2
.LBB475_11:
	s_wait_xcnt 0x0
	s_or_b32 exec_lo, exec_lo, s2
	v_add_nc_u32_e32 v26, 3, v6
	;; [unrolled: 10-line block ×20, first 2 shown]
	s_mov_b32 s2, exec_lo
	s_delay_alu instid0(VALU_DEP_1)
	v_cmpx_gt_u32_e64 s18, v26
	s_cbranch_execz .LBB475_49
; %bb.48:
	global_load_u8 v1, v[2:3], off offset:21
.LBB475_49:
	s_wait_xcnt 0x0
	s_or_b32 exec_lo, exec_lo, s2
	s_wait_loadcnt 0x0
	v_xor_b32_e32 v25, 0xffffff80, v25
	s_lshl_b32 s23, -1, s17
	v_xor_b32_e32 v24, 0xffffff80, v24
	v_xor_b32_e32 v23, 0xffffff80, v23
	v_xor_b32_e32 v22, 0xffffff80, v22
	v_and_b32_e32 v2, 0xff, v25
	v_xor_b32_e32 v21, 0xffffff80, v21
	v_and_b32_e32 v28, 0xff, v24
	v_xor_b32_e32 v20, 0xffffff80, v20
	v_and_b32_e32 v30, 0xff, v22
	v_dual_lshrrev_b32 v2, s16, v2 :: v_dual_lshlrev_b32 v26, 2, v0
	v_xor_b32_e32 v19, 0xffffff80, v19
	v_xor_b32_e32 v18, 0xffffff80, v18
	;; [unrolled: 1-line block ×3, first 2 shown]
	s_delay_alu instid0(VALU_DEP_4)
	v_bitop3_b32 v2, v2, s23, v2 bitop3:0x30
	v_xor_b32_e32 v16, 0xffffff80, v16
	v_xor_b32_e32 v15, 0xffffff80, v15
	;; [unrolled: 1-line block ×4, first 2 shown]
	v_dual_lshlrev_b32 v3, 10, v2 :: v_dual_lshrrev_b32 v2, 2, v2
	v_mov_b32_e32 v27, 0
	v_xor_b32_e32 v12, 0xffffff80, v12
	v_xor_b32_e32 v11, 0xffffff80, v11
	s_delay_alu instid0(VALU_DEP_4)
	v_and_or_b32 v3, 0x1c00, v3, v0
	v_and_b32_e32 v2, 62, v2
	ds_store_2addr_stride64_b32 v26, v27, v27 offset1:16
	ds_store_2addr_stride64_b32 v26, v27, v27 offset0:32 offset1:48
	ds_store_2addr_stride64_b32 v26, v27, v27 offset0:64 offset1:80
	;; [unrolled: 1-line block ×3, first 2 shown]
	v_xor_b32_e32 v10, 0xffffff80, v10
	v_xor_b32_e32 v9, 0xffffff80, v9
	v_lshl_add_u32 v2, v3, 2, v2
	v_lshrrev_b32_e32 v3, s16, v28
	v_and_b32_e32 v28, 0xff, v23
	v_xor_b32_e32 v8, 0xffffff80, v8
	v_xor_b32_e32 v7, 0xffffff80, v7
	ds_load_u16 v26, v2
	s_mov_b32 s7, exec_lo
	v_lshrrev_b32_e32 v28, s16, v28
	v_bitop3_b32 v3, v3, s23, v3 bitop3:0x30
	s_delay_alu instid0(VALU_DEP_2) | instskip(NEXT) | instid1(VALU_DEP_2)
	v_bitop3_b32 v28, v28, s23, v28 bitop3:0x30
	v_dual_lshlrev_b32 v27, 10, v3 :: v_dual_lshrrev_b32 v3, 2, v3
	s_delay_alu instid0(VALU_DEP_1) | instskip(NEXT) | instid1(VALU_DEP_2)
	v_and_or_b32 v27, 0x1c00, v27, v0
	v_and_b32_e32 v3, 62, v3
	s_wait_dscnt 0x0
	v_add_nc_u16 v29, v26, 1
	ds_store_b16 v2, v29
	v_lshlrev_b32_e32 v29, 10, v28
	v_lshl_add_u32 v3, v27, 2, v3
	v_lshrrev_b32_e32 v28, 2, v28
	s_delay_alu instid0(VALU_DEP_3) | instskip(SKIP_2) | instid1(VALU_DEP_1)
	v_and_or_b32 v29, 0x1c00, v29, v0
	ds_load_u16 v27, v3
	v_and_b32_e32 v28, 62, v28
	v_lshl_add_u32 v34, v29, 2, v28
	v_lshrrev_b32_e32 v29, s16, v30
	s_delay_alu instid0(VALU_DEP_1) | instskip(NEXT) | instid1(VALU_DEP_1)
	v_bitop3_b32 v29, v29, s23, v29 bitop3:0x30
	v_lshlrev_b32_e32 v30, 10, v29
	s_wait_dscnt 0x0
	v_add_nc_u16 v31, v27, 1
	s_delay_alu instid0(VALU_DEP_2) | instskip(SKIP_4) | instid1(VALU_DEP_1)
	v_and_or_b32 v30, 0x1c00, v30, v0
	ds_store_b16 v3, v31
	ds_load_u16 v28, v34
	v_and_b32_e32 v31, 0xff, v21
	v_lshrrev_b32_e32 v29, 2, v29
	v_and_b32_e32 v29, 62, v29
	s_delay_alu instid0(VALU_DEP_1) | instskip(NEXT) | instid1(VALU_DEP_4)
	v_lshl_add_u32 v36, v30, 2, v29
	v_lshrrev_b32_e32 v30, s16, v31
	s_delay_alu instid0(VALU_DEP_1) | instskip(SKIP_2) | instid1(VALU_DEP_2)
	v_bitop3_b32 v30, v30, s23, v30 bitop3:0x30
	s_wait_dscnt 0x0
	v_add_nc_u16 v32, v28, 1
	v_lshlrev_b32_e32 v31, 10, v30
	ds_store_b16 v34, v32
	ds_load_u16 v29, v36
	v_and_b32_e32 v32, 0xff, v20
	v_lshrrev_b32_e32 v30, 2, v30
	v_and_or_b32 v31, 0x1c00, v31, v0
	s_delay_alu instid0(VALU_DEP_2) | instskip(NEXT) | instid1(VALU_DEP_1)
	v_and_b32_e32 v30, 62, v30
	v_lshl_add_u32 v38, v31, 2, v30
	v_lshrrev_b32_e32 v31, s16, v32
	s_delay_alu instid0(VALU_DEP_1) | instskip(SKIP_2) | instid1(VALU_DEP_2)
	v_bitop3_b32 v31, v31, s23, v31 bitop3:0x30
	s_wait_dscnt 0x0
	v_add_nc_u16 v33, v29, 1
	v_lshlrev_b32_e32 v32, 10, v31
	ds_store_b16 v36, v33
	ds_load_u16 v30, v38
	v_and_b32_e32 v33, 0xff, v19
	v_lshrrev_b32_e32 v31, 2, v31
	v_and_or_b32 v32, 0x1c00, v32, v0
	s_delay_alu instid0(VALU_DEP_2) | instskip(NEXT) | instid1(VALU_DEP_1)
	v_and_b32_e32 v31, 62, v31
	;; [unrolled: 14-line block ×3, first 2 shown]
	v_lshl_add_u32 v42, v33, 2, v32
	v_lshrrev_b32_e32 v33, s16, v35
	s_delay_alu instid0(VALU_DEP_1) | instskip(SKIP_2) | instid1(VALU_DEP_2)
	v_bitop3_b32 v33, v33, s23, v33 bitop3:0x30
	s_wait_dscnt 0x0
	v_add_nc_u16 v37, v31, 1
	v_dual_lshlrev_b32 v35, 10, v33 :: v_dual_lshrrev_b32 v33, 2, v33
	ds_store_b16 v40, v37
	ds_load_u16 v32, v42
	v_and_b32_e32 v37, 0xff, v17
	v_and_or_b32 v35, 0x1c00, v35, v0
	v_and_b32_e32 v33, 62, v33
	s_delay_alu instid0(VALU_DEP_1)
	v_lshl_add_u32 v45, v35, 2, v33
	s_wait_dscnt 0x0
	v_add_nc_u16 v39, v32, 1
	ds_store_b16 v42, v39
	ds_load_u16 v33, v45
	v_and_b32_e32 v39, 0xff, v16
	v_lshrrev_b32_e32 v35, s16, v37
	s_delay_alu instid0(VALU_DEP_1) | instskip(NEXT) | instid1(VALU_DEP_1)
	v_bitop3_b32 v35, v35, s23, v35 bitop3:0x30
	v_dual_lshlrev_b32 v37, 10, v35 :: v_dual_lshrrev_b32 v35, 2, v35
	s_delay_alu instid0(VALU_DEP_1) | instskip(NEXT) | instid1(VALU_DEP_2)
	v_and_or_b32 v37, 0x1c00, v37, v0
	v_and_b32_e32 v35, 62, v35
	s_wait_dscnt 0x0
	v_add_nc_u16 v41, v33, 1
	s_delay_alu instid0(VALU_DEP_2)
	v_lshl_add_u32 v48, v37, 2, v35
	v_lshrrev_b32_e32 v37, s16, v39
	ds_store_b16 v45, v41
	v_and_b32_e32 v41, 0xff, v15
	ds_load_u16 v35, v48
	v_bitop3_b32 v37, v37, s23, v37 bitop3:0x30
	s_delay_alu instid0(VALU_DEP_1) | instskip(NEXT) | instid1(VALU_DEP_1)
	v_dual_lshlrev_b32 v39, 10, v37 :: v_dual_lshrrev_b32 v37, 2, v37
	v_and_or_b32 v39, 0x1c00, v39, v0
	s_delay_alu instid0(VALU_DEP_2) | instskip(NEXT) | instid1(VALU_DEP_1)
	v_and_b32_e32 v37, 62, v37
	v_lshl_add_u32 v51, v39, 2, v37
	s_wait_dscnt 0x0
	v_add_nc_u16 v43, v35, 1
	ds_store_b16 v48, v43
	ds_load_u16 v37, v51
	v_and_b32_e32 v43, 0xff, v14
	v_lshrrev_b32_e32 v39, s16, v41
	s_delay_alu instid0(VALU_DEP_1) | instskip(NEXT) | instid1(VALU_DEP_1)
	v_bitop3_b32 v39, v39, s23, v39 bitop3:0x30
	v_dual_lshlrev_b32 v41, 10, v39 :: v_dual_lshrrev_b32 v39, 2, v39
	s_delay_alu instid0(VALU_DEP_1) | instskip(NEXT) | instid1(VALU_DEP_2)
	v_and_or_b32 v41, 0x1c00, v41, v0
	v_and_b32_e32 v39, 62, v39
	s_wait_dscnt 0x0
	v_add_nc_u16 v44, v37, 1
	s_delay_alu instid0(VALU_DEP_2)
	v_lshl_add_u32 v53, v41, 2, v39
	v_lshrrev_b32_e32 v41, s16, v43
	ds_store_b16 v51, v44
	v_and_b32_e32 v44, 0xff, v13
	ds_load_u16 v39, v53
	v_bitop3_b32 v41, v41, s23, v41 bitop3:0x30
	s_delay_alu instid0(VALU_DEP_1) | instskip(NEXT) | instid1(VALU_DEP_1)
	v_dual_lshlrev_b32 v43, 10, v41 :: v_dual_lshrrev_b32 v41, 2, v41
	v_and_or_b32 v43, 0x1c00, v43, v0
	s_delay_alu instid0(VALU_DEP_2) | instskip(NEXT) | instid1(VALU_DEP_1)
	v_and_b32_e32 v41, 62, v41
	v_lshl_add_u32 v55, v43, 2, v41
	v_lshrrev_b32_e32 v43, s16, v44
	s_wait_dscnt 0x0
	v_add_nc_u16 v46, v39, 1
	s_delay_alu instid0(VALU_DEP_2) | instskip(SKIP_4) | instid1(VALU_DEP_1)
	v_bitop3_b32 v43, v43, s23, v43 bitop3:0x30
	ds_store_b16 v53, v46
	ds_load_u16 v41, v55
	v_and_b32_e32 v46, 0xff, v12
	v_dual_lshlrev_b32 v44, 10, v43 :: v_dual_lshrrev_b32 v43, 2, v43
	v_and_or_b32 v44, 0x1c00, v44, v0
	s_delay_alu instid0(VALU_DEP_2) | instskip(NEXT) | instid1(VALU_DEP_1)
	v_and_b32_e32 v43, 62, v43
	v_lshl_add_u32 v57, v44, 2, v43
	v_lshrrev_b32_e32 v44, s16, v46
	s_delay_alu instid0(VALU_DEP_1) | instskip(SKIP_2) | instid1(VALU_DEP_2)
	v_bitop3_b32 v44, v44, s23, v44 bitop3:0x30
	s_wait_dscnt 0x0
	v_add_nc_u16 v47, v41, 1
	v_lshlrev_b32_e32 v46, 10, v44
	ds_store_b16 v55, v47
	ds_load_u16 v43, v57
	v_lshrrev_b32_e32 v44, 2, v44
	v_and_b32_e32 v47, 0xff, v11
	v_and_or_b32 v46, 0x1c00, v46, v0
	s_delay_alu instid0(VALU_DEP_3) | instskip(NEXT) | instid1(VALU_DEP_1)
	v_and_b32_e32 v44, 62, v44
	v_lshl_add_u32 v58, v46, 2, v44
	s_delay_alu instid0(VALU_DEP_4) | instskip(NEXT) | instid1(VALU_DEP_1)
	v_lshrrev_b32_e32 v44, s16, v47
	v_bitop3_b32 v44, v44, s23, v44 bitop3:0x30
	s_wait_dscnt 0x0
	v_add_nc_u16 v49, v43, 1
	s_delay_alu instid0(VALU_DEP_2)
	v_dual_lshlrev_b32 v47, 10, v44 :: v_dual_lshrrev_b32 v44, 2, v44
	ds_store_b16 v57, v49
	ds_load_u16 v46, v58
	v_and_or_b32 v47, 0x1c00, v47, v0
	v_and_b32_e32 v44, 62, v44
	v_and_b32_e32 v49, 0xff, v10
	s_delay_alu instid0(VALU_DEP_2) | instskip(NEXT) | instid1(VALU_DEP_2)
	v_lshl_add_u32 v60, v47, 2, v44
	v_lshrrev_b32_e32 v44, s16, v49
	s_delay_alu instid0(VALU_DEP_1) | instskip(NEXT) | instid1(VALU_DEP_1)
	v_bitop3_b32 v44, v44, s23, v44 bitop3:0x30
	v_dual_lshlrev_b32 v47, 10, v44 :: v_dual_lshrrev_b32 v44, 2, v44
	s_wait_dscnt 0x0
	v_add_nc_u16 v50, v46, 1
	s_delay_alu instid0(VALU_DEP_2) | instskip(NEXT) | instid1(VALU_DEP_3)
	v_and_or_b32 v47, 0x1c00, v47, v0
	v_and_b32_e32 v44, 62, v44
	ds_store_b16 v58, v50
	ds_load_u16 v49, v60
	v_and_b32_e32 v50, 0xff, v9
	v_lshl_add_u32 v62, v47, 2, v44
	s_delay_alu instid0(VALU_DEP_2) | instskip(SKIP_1) | instid1(VALU_DEP_2)
	v_lshrrev_b32_e32 v44, s16, v50
	v_and_b32_e32 v50, 0xff, v8
	v_bitop3_b32 v44, v44, s23, v44 bitop3:0x30
	s_delay_alu instid0(VALU_DEP_1) | instskip(SKIP_2) | instid1(VALU_DEP_2)
	v_dual_lshlrev_b32 v47, 10, v44 :: v_dual_lshrrev_b32 v44, 2, v44
	s_wait_dscnt 0x0
	v_add_nc_u16 v52, v49, 1
	v_and_or_b32 v47, 0x1c00, v47, v0
	s_delay_alu instid0(VALU_DEP_3)
	v_and_b32_e32 v44, 62, v44
	ds_store_b16 v60, v52
	ds_load_u16 v52, v62
	v_lshl_add_u32 v63, v47, 2, v44
	v_lshrrev_b32_e32 v44, s16, v50
	v_and_b32_e32 v50, 0xff, v7
	s_delay_alu instid0(VALU_DEP_2) | instskip(NEXT) | instid1(VALU_DEP_1)
	v_bitop3_b32 v44, v44, s23, v44 bitop3:0x30
	v_dual_lshlrev_b32 v47, 10, v44 :: v_dual_lshrrev_b32 v44, 2, v44
	s_delay_alu instid0(VALU_DEP_1) | instskip(NEXT) | instid1(VALU_DEP_2)
	v_and_or_b32 v47, 0x1c00, v47, v0
	v_and_b32_e32 v44, 62, v44
	s_wait_dscnt 0x0
	v_add_nc_u16 v54, v52, 1
	s_delay_alu instid0(VALU_DEP_2) | instskip(SKIP_4) | instid1(VALU_DEP_1)
	v_lshl_add_u32 v64, v47, 2, v44
	v_lshrrev_b32_e32 v44, s16, v50
	ds_store_b16 v62, v54
	ds_load_u16 v54, v63
	v_bitop3_b32 v44, v44, s23, v44 bitop3:0x30
	v_dual_lshlrev_b32 v47, 10, v44 :: v_dual_lshrrev_b32 v50, 2, v44
	v_xor_b32_e32 v44, 0xffffff80, v5
	s_delay_alu instid0(VALU_DEP_2) | instskip(NEXT) | instid1(VALU_DEP_3)
	v_and_or_b32 v5, 0x1c00, v47, v0
	v_and_b32_e32 v47, 62, v50
	s_delay_alu instid0(VALU_DEP_3) | instskip(NEXT) | instid1(VALU_DEP_2)
	v_and_b32_e32 v50, 0xff, v44
	v_lshl_add_u32 v65, v5, 2, v47
	s_wait_dscnt 0x0
	v_add_nc_u16 v56, v54, 1
	s_delay_alu instid0(VALU_DEP_3) | instskip(SKIP_3) | instid1(VALU_DEP_1)
	v_lshrrev_b32_e32 v47, s16, v50
	ds_store_b16 v63, v56
	ds_load_u16 v56, v64
	v_bitop3_b32 v47, v47, s23, v47 bitop3:0x30
	v_lshlrev_b32_e32 v50, 10, v47
	s_wait_dscnt 0x0
	v_add_nc_u16 v59, v56, 1
	ds_store_b16 v64, v59
	ds_load_u16 v5, v65
	v_lshrrev_b32_e32 v59, 2, v47
	v_xor_b32_e32 v47, 0xffffff80, v4
	v_and_or_b32 v4, 0x1c00, v50, v0
	s_delay_alu instid0(VALU_DEP_3) | instskip(NEXT) | instid1(VALU_DEP_3)
	v_and_b32_e32 v50, 62, v59
	v_and_b32_e32 v59, 0xff, v47
	s_delay_alu instid0(VALU_DEP_2) | instskip(NEXT) | instid1(VALU_DEP_2)
	v_lshl_add_u32 v4, v4, 2, v50
	v_lshrrev_b32_e32 v50, s16, v59
	s_delay_alu instid0(VALU_DEP_1) | instskip(SKIP_2) | instid1(VALU_DEP_2)
	v_bitop3_b32 v50, v50, s23, v50 bitop3:0x30
	s_wait_dscnt 0x0
	v_add_nc_u16 v61, v5, 1
	v_lshrrev_b32_e32 v66, 2, v50
	ds_store_b16 v65, v61
	ds_load_u16 v59, v4
	v_lshlrev_b32_e32 v61, 10, v50
	v_xor_b32_e32 v50, 0xffffff80, v1
	s_delay_alu instid0(VALU_DEP_2) | instskip(SKIP_1) | instid1(VALU_DEP_3)
	v_and_or_b32 v1, 0x1c00, v61, v0
	v_and_b32_e32 v61, 62, v66
	v_and_b32_e32 v67, 0xff, v50
	s_delay_alu instid0(VALU_DEP_2) | instskip(NEXT) | instid1(VALU_DEP_2)
	v_lshl_add_u32 v66, v1, 2, v61
	v_lshrrev_b32_e32 v61, s16, v67
	s_delay_alu instid0(VALU_DEP_1) | instskip(SKIP_2) | instid1(VALU_DEP_2)
	v_bitop3_b32 v61, v61, s23, v61 bitop3:0x30
	s_wait_dscnt 0x0
	v_add_nc_u16 v68, v59, 1
	v_dual_lshlrev_b32 v67, 10, v61 :: v_dual_lshrrev_b32 v61, 2, v61
	ds_store_b16 v4, v68
	ds_load_u16 v1, v66
	v_and_or_b32 v67, 0x1c00, v67, v0
	v_and_b32_e32 v61, 62, v61
	s_delay_alu instid0(VALU_DEP_1)
	v_lshl_add_u32 v67, v67, 2, v61
	s_wait_dscnt 0x0
	v_add_nc_u16 v68, v1, 1
	ds_store_b16 v66, v68
	ds_load_u16 v61, v67
	v_lshlrev_b32_e32 v68, 5, v0
	s_wait_dscnt 0x0
	v_add_nc_u16 v69, v61, 1
	ds_store_b16 v67, v69
	s_wait_dscnt 0x0
	s_barrier_signal -1
	s_barrier_wait -1
	ds_load_2addr_b64 v[70:73], v68 offset1:1
	ds_load_2addr_b64 v[74:77], v68 offset0:2 offset1:3
	s_wait_dscnt 0x1
	v_add_nc_u32_e32 v69, v71, v70
	s_delay_alu instid0(VALU_DEP_1) | instskip(SKIP_2) | instid1(VALU_DEP_2)
	v_add3_u32 v69, v69, v72, v73
	v_and_b32_e32 v73, 31, v0
	s_wait_dscnt 0x0
	v_add3_u32 v70, v69, v74, v75
	v_mbcnt_lo_u32_b32 v69, -1, 0
	s_delay_alu instid0(VALU_DEP_2) | instskip(NEXT) | instid1(VALU_DEP_2)
	v_add3_u32 v70, v70, v76, v77
	v_and_b32_e32 v71, 15, v69
	s_delay_alu instid0(VALU_DEP_2) | instskip(NEXT) | instid1(VALU_DEP_2)
	v_mov_b32_dpp v72, v70 row_shr:1 row_mask:0xf bank_mask:0xf
	v_cmp_eq_u32_e32 vcc_lo, 0, v71
	s_delay_alu instid0(VALU_DEP_2) | instskip(NEXT) | instid1(VALU_DEP_1)
	v_cndmask_b32_e64 v72, v72, 0, vcc_lo
	v_add_nc_u32_e32 v70, v72, v70
	v_cmp_lt_u32_e64 s2, 1, v71
	v_cmp_lt_u32_e64 s3, 3, v71
	v_cmp_lt_u32_e64 s4, 7, v71
	s_delay_alu instid0(VALU_DEP_4) | instskip(NEXT) | instid1(VALU_DEP_1)
	v_mov_b32_dpp v72, v70 row_shr:2 row_mask:0xf bank_mask:0xf
	v_cndmask_b32_e64 v72, 0, v72, s2
	s_delay_alu instid0(VALU_DEP_1) | instskip(NEXT) | instid1(VALU_DEP_1)
	v_add_nc_u32_e32 v70, v70, v72
	v_mov_b32_dpp v72, v70 row_shr:4 row_mask:0xf bank_mask:0xf
	s_delay_alu instid0(VALU_DEP_1) | instskip(NEXT) | instid1(VALU_DEP_1)
	v_cndmask_b32_e64 v72, 0, v72, s3
	v_add_nc_u32_e32 v70, v70, v72
	s_delay_alu instid0(VALU_DEP_1) | instskip(NEXT) | instid1(VALU_DEP_1)
	v_mov_b32_dpp v72, v70 row_shr:8 row_mask:0xf bank_mask:0xf
	v_cndmask_b32_e64 v71, 0, v72, s4
	v_bfe_i32 v72, v69, 4, 1
	s_delay_alu instid0(VALU_DEP_2) | instskip(SKIP_4) | instid1(VALU_DEP_2)
	v_add_nc_u32_e32 v70, v70, v71
	ds_swizzle_b32 v71, v70 offset:swizzle(BROADCAST,32,15)
	s_wait_dscnt 0x0
	v_and_b32_e32 v71, v72, v71
	v_dual_lshrrev_b32 v72, 5, v0 :: v_dual_bitop2_b32 v74, 16, v69 bitop3:0x40
	v_add_nc_u32_e32 v70, v70, v71
	s_delay_alu instid0(VALU_DEP_2) | instskip(NEXT) | instid1(VALU_DEP_3)
	v_cmp_eq_u32_e64 s5, 0, v74
	v_lshlrev_b32_e32 v71, 2, v72
	v_cmpx_eq_u32_e32 31, v73
; %bb.50:
	ds_store_b32 v71, v70 offset:32768
; %bb.51:
	s_or_b32 exec_lo, exec_lo, s7
	v_cmp_lt_u32_e64 s6, 31, v0
	s_mov_b32 s24, exec_lo
	s_wait_dscnt 0x0
	s_barrier_signal -1
	s_barrier_wait -1
	v_cmpx_gt_u32_e32 32, v0
	s_cbranch_execz .LBB475_53
; %bb.52:
	v_mad_i32_i24 v72, 0xffffffe4, v0, v68
	ds_load_b32 v73, v72 offset:32768
	s_wait_dscnt 0x0
	v_mov_b32_dpp v74, v73 row_shr:1 row_mask:0xf bank_mask:0xf
	s_delay_alu instid0(VALU_DEP_1) | instskip(NEXT) | instid1(VALU_DEP_1)
	v_cndmask_b32_e64 v74, v74, 0, vcc_lo
	v_add_nc_u32_e32 v73, v74, v73
	s_delay_alu instid0(VALU_DEP_1) | instskip(NEXT) | instid1(VALU_DEP_1)
	v_mov_b32_dpp v74, v73 row_shr:2 row_mask:0xf bank_mask:0xf
	v_cndmask_b32_e64 v74, 0, v74, s2
	s_delay_alu instid0(VALU_DEP_1) | instskip(NEXT) | instid1(VALU_DEP_1)
	v_add_nc_u32_e32 v73, v73, v74
	v_mov_b32_dpp v74, v73 row_shr:4 row_mask:0xf bank_mask:0xf
	s_delay_alu instid0(VALU_DEP_1) | instskip(NEXT) | instid1(VALU_DEP_1)
	v_cndmask_b32_e64 v74, 0, v74, s3
	v_add_nc_u32_e32 v73, v73, v74
	s_delay_alu instid0(VALU_DEP_1) | instskip(NEXT) | instid1(VALU_DEP_1)
	v_mov_b32_dpp v74, v73 row_shr:8 row_mask:0xf bank_mask:0xf
	v_cndmask_b32_e64 v74, 0, v74, s4
	s_delay_alu instid0(VALU_DEP_1) | instskip(SKIP_3) | instid1(VALU_DEP_1)
	v_add_nc_u32_e32 v73, v73, v74
	ds_swizzle_b32 v74, v73 offset:swizzle(BROADCAST,32,15)
	s_wait_dscnt 0x0
	v_cndmask_b32_e64 v74, v74, 0, s5
	v_add_nc_u32_e32 v73, v73, v74
	ds_store_b32 v72, v73 offset:32768
.LBB475_53:
	s_or_b32 exec_lo, exec_lo, s24
	v_dual_mov_b32 v73, 0 :: v_dual_mov_b32 v72, 0
	s_wait_dscnt 0x0
	s_barrier_signal -1
	s_barrier_wait -1
	s_and_saveexec_b32 s2, s6
; %bb.54:
	ds_load_b32 v72, v71 offset:32764
; %bb.55:
	s_or_b32 exec_lo, exec_lo, s2
	v_sub_co_u32 v71, vcc_lo, v69, 1
	s_wait_dscnt 0x0
	v_add_nc_u32_e32 v70, v72, v70
	s_delay_alu instid0(VALU_DEP_2) | instskip(NEXT) | instid1(VALU_DEP_1)
	v_cmp_gt_i32_e64 s2, 0, v71
	v_cndmask_b32_e64 v69, v71, v69, s2
	v_cmp_gt_u32_e64 s2, 16, v0
	s_delay_alu instid0(VALU_DEP_2)
	v_lshlrev_b32_e32 v69, 2, v69
	ds_bpermute_b32 v69, v69, v70
	ds_load_b32 v70, v73 offset:32892
	ds_load_2addr_b64 v[74:77], v68 offset1:1
	ds_load_b32 v78, v68 offset:24
	s_wait_dscnt 0x3
	v_cndmask_b32_e32 v69, v69, v72, vcc_lo
	ds_load_b64 v[72:73], v68 offset:16
	v_cmp_lt_u32_e32 vcc_lo, 15, v0
	s_wait_dscnt 0x3
	v_lshl_add_u32 v70, v70, 16, v69
	s_wait_dscnt 0x2
	s_delay_alu instid0(VALU_DEP_1) | instskip(NEXT) | instid1(VALU_DEP_1)
	v_add_nc_u32_e32 v71, v70, v74
	v_add_nc_u32_e32 v74, v75, v71
	s_delay_alu instid0(VALU_DEP_1) | instskip(NEXT) | instid1(VALU_DEP_1)
	v_add_nc_u32_e32 v75, v76, v74
	v_add_nc_u32_e32 v76, v77, v75
	s_wait_dscnt 0x0
	s_delay_alu instid0(VALU_DEP_1) | instskip(NEXT) | instid1(VALU_DEP_1)
	v_add_nc_u32_e32 v77, v72, v76
	v_add_nc_u32_e32 v72, v73, v77
	s_delay_alu instid0(VALU_DEP_1)
	v_add_nc_u32_e32 v73, v78, v72
	ds_store_2addr_b64 v68, v[70:71], v[74:75] offset1:1
	ds_store_2addr_b64 v68, v[76:77], v[72:73] offset0:2 offset1:3
	s_wait_dscnt 0x0
	s_barrier_signal -1
	s_barrier_wait -1
	ds_load_u16 v68, v2
	ds_load_u16 v69, v3
	;; [unrolled: 1-line block ×22, first 2 shown]
	v_mov_b64_e32 v[2:3], 0
                                        ; implicit-def: $vgpr4
	s_and_saveexec_b32 s4, s2
	s_cbranch_execz .LBB475_59
; %bb.56:
	v_dual_lshlrev_b32 v2, 12, v0 :: v_dual_lshrrev_b32 v3, 2, v0
	v_add_nc_u32_e32 v4, 1, v0
	s_mov_b32 s5, exec_lo
	s_delay_alu instid0(VALU_DEP_2)
	v_bitop3_b32 v2, v2, 0x70fe, v3 bitop3:0xc8
	v_mov_b32_e32 v3, 0x5800
	ds_load_u16 v2, v2
	v_cmpx_ne_u32_e32 16, v4
; %bb.57:
	v_dual_lshlrev_b32 v3, 12, v4 :: v_dual_lshrrev_b32 v4, 2, v4
	s_delay_alu instid0(VALU_DEP_1)
	v_bitop3_b32 v3, v3, 0x71fe, v4 bitop3:0xc8
	ds_load_u16 v3, v3
; %bb.58:
	s_or_b32 exec_lo, exec_lo, s5
	s_wait_dscnt 0x0
	v_and_b32_e32 v2, 0xffff, v2
	s_mov_b32 s3, 0
	s_delay_alu instid0(VALU_DEP_1) | instid1(SALU_CYCLE_1)
	v_dual_mov_b32 v3, s3 :: v_dual_sub_nc_u32 v4, v3, v2
.LBB475_59:
	s_or_b32 exec_lo, exec_lo, s4
	s_wait_dscnt 0x15
	v_and_b32_e32 v68, 0xffff, v68
	v_and_b32_e32 v26, 0xffff, v26
	s_wait_dscnt 0x14
	v_and_b32_e32 v69, 0xffff, v69
	v_and_b32_e32 v27, 0xffff, v27
	;; [unrolled: 3-line block ×4, first 2 shown]
	v_dual_add_nc_u32 v26, v68, v26 :: v_dual_add_nc_u32 v27, v69, v27
	s_wait_dscnt 0x11
	v_and_b32_e32 v38, 0xffff, v38
	v_and_b32_e32 v30, 0xffff, v30
	s_wait_dscnt 0x10
	v_and_b32_e32 v40, 0xffff, v40
	v_and_b32_e32 v31, 0xffff, v31
	v_add_nc_u32_e32 v28, v34, v28
	s_wait_dscnt 0xf
	v_and_b32_e32 v42, 0xffff, v42
	v_and_b32_e32 v32, 0xffff, v32
	s_wait_dscnt 0xe
	v_and_b32_e32 v45, 0xffff, v45
	v_and_b32_e32 v33, 0xffff, v33
	;; [unrolled: 3-line block ×3, first 2 shown]
	s_wait_dscnt 0x0
	s_barrier_signal -1
	s_barrier_wait -1
	ds_store_b8 v26, v25 offset:128
	ds_store_b8 v27, v24 offset:128
	;; [unrolled: 1-line block ×3, first 2 shown]
	v_add_nc_u32_e32 v23, v36, v29
	v_and_b32_e32 v51, 0xffff, v51
	v_and_b32_e32 v37, 0xffff, v37
	v_dual_add_nc_u32 v24, v38, v30 :: v_dual_add_nc_u32 v25, v40, v31
	v_and_b32_e32 v53, 0xffff, v53
	v_and_b32_e32 v39, 0xffff, v39
	;; [unrolled: 1-line block ×4, first 2 shown]
	v_dual_add_nc_u32 v26, v42, v32 :: v_dual_add_nc_u32 v27, v45, v33
	v_and_b32_e32 v57, 0xffff, v57
	v_and_b32_e32 v43, 0xffff, v43
	;; [unrolled: 1-line block ×4, first 2 shown]
	ds_store_b8 v23, v22 offset:128
	ds_store_b8 v24, v21 offset:128
	;; [unrolled: 1-line block ×5, first 2 shown]
	v_dual_add_nc_u32 v18, v48, v35 :: v_dual_add_nc_u32 v19, v51, v37
	v_and_b32_e32 v60, 0xffff, v60
	v_and_b32_e32 v49, 0xffff, v49
	v_and_b32_e32 v62, 0xffff, v62
	v_and_b32_e32 v52, 0xffff, v52
	v_dual_add_nc_u32 v20, v53, v39 :: v_dual_add_nc_u32 v21, v55, v41
	v_and_b32_e32 v63, 0xffff, v63
	v_and_b32_e32 v54, 0xffff, v54
	;; [unrolled: 1-line block ×4, first 2 shown]
	v_add_nc_u32_e32 v22, v57, v43
	ds_store_b8 v18, v17 offset:128
	ds_store_b8 v19, v16 offset:128
	;; [unrolled: 1-line block ×5, first 2 shown]
	v_dual_add_nc_u32 v13, v58, v46 :: v_dual_add_nc_u32 v14, v60, v49
	v_dual_add_nc_u32 v15, v62, v52 :: v_dual_add_nc_u32 v16, v63, v54
	v_add_nc_u32_e32 v17, v64, v56
	v_and_b32_e32 v65, 0xffff, v65
	v_and_b32_e32 v66, 0xffff, v66
	v_and_b32_e32 v5, 0xffff, v5
	v_and_b32_e32 v1, 0xffff, v1
	ds_store_b8 v13, v12 offset:128
	ds_store_b8 v14, v11 offset:128
	;; [unrolled: 1-line block ×5, first 2 shown]
	v_mov_b32_e32 v9, 0
	v_and_b32_e32 v70, 0xffff, v70
	v_and_b32_e32 v59, 0xffff, v59
	;; [unrolled: 1-line block ×4, first 2 shown]
	v_add_nc_u32_e32 v8, v65, v5
	v_dual_add_nc_u32 v11, v66, v1 :: v_dual_mov_b32 v1, v9
	v_dual_lshlrev_b32 v5, 3, v0 :: v_dual_add_nc_u32 v10, v70, v59
	s_delay_alu instid0(VALU_DEP_4)
	v_add_nc_u32_e32 v12, v67, v61
	s_not_b32 s3, s23
	ds_store_b8 v8, v7 offset:128
	ds_store_b8 v10, v44 offset:128
	;; [unrolled: 1-line block ×4, first 2 shown]
	s_and_saveexec_b32 s4, s2
	s_cbranch_execz .LBB475_69
; %bb.60:
	v_lshl_add_u32 v8, s19, 4, v0
	v_dual_mov_b32 v12, 0 :: v_dual_bitop2_b32 v7, 2.0, v4 bitop3:0x54
	s_mov_b32 s5, 0
	s_mov_b32 s6, s19
	s_delay_alu instid0(VALU_DEP_2)
	v_lshl_add_u64 v[10:11], v[8:9], 2, s[20:21]
	global_store_b32 v8, v7, s[20:21] scale_offset scope:SCOPE_DEV
                                        ; implicit-def: $sgpr2
	s_branch .LBB475_63
.LBB475_61:                             ;   in Loop: Header=BB475_63 Depth=1
	s_or_b32 exec_lo, exec_lo, s23
.LBB475_62:                             ;   in Loop: Header=BB475_63 Depth=1
	s_delay_alu instid0(SALU_CYCLE_1) | instskip(SKIP_2) | instid1(VALU_DEP_2)
	s_or_b32 exec_lo, exec_lo, s7
	v_and_b32_e32 v8, 0x3fffffff, v7
	v_cmp_gt_i32_e64 s2, -2.0, v7
	v_add_nc_u32_e32 v12, v8, v12
	s_and_b32 s7, exec_lo, s2
	s_delay_alu instid0(SALU_CYCLE_1) | instskip(NEXT) | instid1(SALU_CYCLE_1)
	s_or_b32 s5, s7, s5
	s_and_not1_b32 exec_lo, exec_lo, s5
	s_cbranch_execz .LBB475_68
.LBB475_63:                             ; =>This Loop Header: Depth=1
                                        ;     Child Loop BB475_66 Depth 2
	s_or_b32 s2, s2, exec_lo
	s_cmp_eq_u32 s6, 0
	s_cbranch_scc1 .LBB475_67
; %bb.64:                               ;   in Loop: Header=BB475_63 Depth=1
	s_add_co_i32 s6, s6, -1
	s_mov_b32 s7, exec_lo
	s_wait_xcnt 0x0
	v_lshl_or_b32 v8, s6, 4, v0
	global_load_b32 v7, v8, s[20:21] scale_offset scope:SCOPE_DEV
	s_wait_loadcnt 0x0
	v_cmpx_gt_u32_e32 2.0, v7
	s_cbranch_execz .LBB475_62
; %bb.65:                               ;   in Loop: Header=BB475_63 Depth=1
	v_lshl_add_u64 v[14:15], v[8:9], 2, s[20:21]
	s_mov_b32 s23, 0
.LBB475_66:                             ;   Parent Loop BB475_63 Depth=1
                                        ; =>  This Inner Loop Header: Depth=2
	global_load_b32 v7, v[14:15], off scope:SCOPE_DEV
	s_wait_loadcnt 0x0
	v_cmp_lt_u32_e64 s2, 0x3fffffff, v7
	s_or_b32 s23, s2, s23
	s_wait_xcnt 0x0
	s_and_not1_b32 exec_lo, exec_lo, s23
	s_cbranch_execnz .LBB475_66
	s_branch .LBB475_61
.LBB475_67:                             ;   in Loop: Header=BB475_63 Depth=1
                                        ; implicit-def: $sgpr6
	s_and_b32 s7, exec_lo, s2
	s_delay_alu instid0(SALU_CYCLE_1)
	s_or_b32 s5, s7, s5
	s_wait_xcnt 0x0
	s_and_not1_b32 exec_lo, exec_lo, s5
	s_cbranch_execnz .LBB475_63
.LBB475_68:
	s_or_b32 exec_lo, exec_lo, s5
	v_dual_add_nc_u32 v7, v12, v4 :: v_dual_mov_b32 v13, 0
	s_delay_alu instid0(VALU_DEP_1)
	v_or_b32_e32 v7, 0x80000000, v7
	global_store_b32 v[10:11], v7, off scope:SCOPE_DEV
	global_load_b64 v[8:9], v0, s[8:9] scale_offset
	s_wait_xcnt 0x1
	v_sub_nc_u64_e32 v[10:11], v[12:13], v[2:3]
	s_wait_loadcnt 0x0
	s_delay_alu instid0(VALU_DEP_1)
	v_add_nc_u64_e32 v[8:9], v[10:11], v[8:9]
	ds_store_b64 v5, v[8:9]
.LBB475_69:
	s_wait_xcnt 0x0
	s_or_b32 exec_lo, exec_lo, s4
	s_delay_alu instid0(SALU_CYCLE_1)
	s_mov_b32 s4, exec_lo
	s_wait_storecnt_dscnt 0x0
	s_barrier_signal -1
	s_barrier_wait -1
	v_cmpx_gt_u32_e64 s18, v0
	s_cbranch_execz .LBB475_71
; %bb.70:
	ds_load_u8 v7, v0 offset:128
	s_wait_dscnt 0x0
	v_and_b32_e32 v8, 0xff, v7
	v_xor_b32_e32 v7, 0x80, v7
	s_delay_alu instid0(VALU_DEP_2) | instskip(NEXT) | instid1(VALU_DEP_1)
	v_lshrrev_b32_e32 v8, s16, v8
	v_and_b32_e32 v8, s3, v8
	s_delay_alu instid0(VALU_DEP_1) | instskip(SKIP_3) | instid1(VALU_DEP_1)
	v_lshlrev_b32_e32 v8, 3, v8
	ds_load_b64 v[8:9], v8
	s_wait_dscnt 0x0
	v_add_nc_u64_e32 v[8:9], s[14:15], v[8:9]
	v_add_nc_u64_e32 v[8:9], v[8:9], v[0:1]
	global_store_b8 v[8:9], v7, off
.LBB475_71:
	s_wait_xcnt 0x0
	s_or_b32 exec_lo, exec_lo, s4
	v_or_b32_e32 v7, 0x400, v0
	s_mov_b32 s4, exec_lo
	s_delay_alu instid0(VALU_DEP_1)
	v_cmpx_gt_u32_e64 s18, v7
	s_cbranch_execz .LBB475_73
; %bb.72:
	ds_load_u8 v7, v0 offset:1152
	s_wait_dscnt 0x0
	v_and_b32_e32 v8, 0xff, v7
	v_xor_b32_e32 v7, 0x80, v7
	s_delay_alu instid0(VALU_DEP_2) | instskip(NEXT) | instid1(VALU_DEP_1)
	v_lshrrev_b32_e32 v8, s16, v8
	v_and_b32_e32 v8, s3, v8
	s_delay_alu instid0(VALU_DEP_1) | instskip(SKIP_3) | instid1(VALU_DEP_1)
	v_lshlrev_b32_e32 v8, 3, v8
	ds_load_b64 v[8:9], v8
	s_wait_dscnt 0x0
	v_add_nc_u64_e32 v[8:9], s[14:15], v[8:9]
	v_add_nc_u64_e32 v[8:9], v[8:9], v[0:1]
	global_store_b8 v[8:9], v7, off offset:1024
.LBB475_73:
	s_wait_xcnt 0x0
	s_or_b32 exec_lo, exec_lo, s4
	v_or_b32_e32 v7, 0x800, v0
	s_mov_b32 s4, exec_lo
	s_delay_alu instid0(VALU_DEP_1)
	v_cmpx_gt_u32_e64 s18, v7
	s_cbranch_execz .LBB475_75
; %bb.74:
	ds_load_u8 v7, v0 offset:2176
	s_wait_dscnt 0x0
	v_and_b32_e32 v8, 0xff, v7
	v_xor_b32_e32 v7, 0x80, v7
	s_delay_alu instid0(VALU_DEP_2) | instskip(NEXT) | instid1(VALU_DEP_1)
	v_lshrrev_b32_e32 v8, s16, v8
	v_and_b32_e32 v8, s3, v8
	s_delay_alu instid0(VALU_DEP_1) | instskip(SKIP_3) | instid1(VALU_DEP_1)
	v_lshlrev_b32_e32 v8, 3, v8
	ds_load_b64 v[8:9], v8
	s_wait_dscnt 0x0
	v_add_nc_u64_e32 v[8:9], s[14:15], v[8:9]
	v_add_nc_u64_e32 v[8:9], v[8:9], v[0:1]
	global_store_b8 v[8:9], v7, off offset:2048
.LBB475_75:
	;; [unrolled: 23-line block ×20, first 2 shown]
	s_wait_xcnt 0x0
	s_or_b32 exec_lo, exec_lo, s4
	v_or_b32_e32 v7, 0x5400, v0
	s_mov_b32 s4, exec_lo
	s_delay_alu instid0(VALU_DEP_1)
	v_cmpx_gt_u32_e64 s18, v7
	s_cbranch_execz .LBB475_113
; %bb.112:
	ds_load_u8 v7, v0 offset:21632
	s_wait_dscnt 0x0
	v_and_b32_e32 v8, 0xff, v7
	s_delay_alu instid0(VALU_DEP_1) | instskip(NEXT) | instid1(VALU_DEP_1)
	v_lshrrev_b32_e32 v8, s16, v8
	v_and_b32_e32 v8, s3, v8
	s_delay_alu instid0(VALU_DEP_1) | instskip(SKIP_3) | instid1(VALU_DEP_1)
	v_lshlrev_b32_e32 v8, 3, v8
	ds_load_b64 v[8:9], v8
	s_wait_dscnt 0x0
	v_add_nc_u64_e32 v[8:9], s[14:15], v[8:9]
	v_add_nc_u64_e32 v[8:9], v[8:9], v[0:1]
	v_xor_b32_e32 v1, 0x80, v7
	global_store_b8 v[8:9], v1, off offset:21504
.LBB475_113:
	s_wait_xcnt 0x0
	s_or_b32 exec_lo, exec_lo, s4
	s_load_b32 s2, s[0:1], 0x58
	s_wait_kmcnt 0x0
	s_add_co_i32 s2, s2, -1
	s_delay_alu instid0(SALU_CYCLE_1) | instskip(SKIP_2) | instid1(SALU_CYCLE_1)
	s_cmp_eq_u32 s19, s2
	s_cselect_b32 s2, -1, 0
	s_xor_b32 s3, vcc_lo, -1
	s_and_b32 s3, s3, s2
	s_delay_alu instid0(SALU_CYCLE_1)
	s_and_saveexec_b32 s2, s3
	s_cbranch_execz .LBB475_115
; %bb.114:
	ds_load_b64 v[8:9], v5
	v_mov_b32_e32 v5, 0
	s_delay_alu instid0(VALU_DEP_1) | instskip(SKIP_1) | instid1(VALU_DEP_1)
	v_add_nc_u64_e32 v[2:3], v[2:3], v[4:5]
	s_wait_dscnt 0x0
	v_add_nc_u64_e32 v[2:3], v[2:3], v[8:9]
	global_store_b64 v0, v[2:3], s[10:11] scale_offset
.LBB475_115:
	s_wait_xcnt 0x0
	s_or_b32 exec_lo, exec_lo, s2
	s_mov_b32 s3, 0
.LBB475_116:
	s_delay_alu instid0(SALU_CYCLE_1)
	s_and_b32 vcc_lo, exec_lo, s3
	s_cbranch_vccz .LBB475_139
; %bb.117:
	s_mov_b32 s23, 0
	v_dual_mov_b32 v13, 0 :: v_dual_lshlrev_b32 v12, 2, v0
	s_add_nc_u64 s[2:3], s[12:13], s[22:23]
	s_clause 0x1
	global_load_b128 v[2:5], v6, s[2:3]
	global_load_b32 v8, v6, s[2:3] offset:16
	s_lshl_b32 s12, -1, s17
	ds_store_2addr_stride64_b32 v12, v13, v13 offset1:16
	ds_store_2addr_stride64_b32 v12, v13, v13 offset0:32 offset1:48
	ds_store_2addr_stride64_b32 v12, v13, v13 offset0:64 offset1:80
	;; [unrolled: 1-line block ×3, first 2 shown]
	global_load_u16 v42, v6, s[2:3] offset:20
	s_mov_b32 s7, exec_lo
	s_wait_loadcnt 0x2
	v_xor_b32_e32 v1, 0xffffff80, v2
	v_lshrrev_b32_e32 v9, 8, v2
	s_delay_alu instid0(VALU_DEP_2) | instskip(NEXT) | instid1(VALU_DEP_1)
	v_and_b32_e32 v7, 0xff, v1
	v_lshrrev_b32_e32 v7, s16, v7
	s_delay_alu instid0(VALU_DEP_1) | instskip(NEXT) | instid1(VALU_DEP_1)
	v_bitop3_b32 v7, v7, s12, v7 bitop3:0x30
	v_dual_lshlrev_b32 v10, 10, v7 :: v_dual_lshrrev_b32 v11, 2, v7
	v_xor_b32_e32 v7, 0xffffff80, v9
	s_delay_alu instid0(VALU_DEP_2) | instskip(NEXT) | instid1(VALU_DEP_3)
	v_and_or_b32 v9, 0x1c00, v10, v0
	v_and_b32_e32 v10, 62, v11
	s_delay_alu instid0(VALU_DEP_3) | instskip(NEXT) | instid1(VALU_DEP_2)
	v_and_b32_e32 v11, 0xff, v7
	v_lshl_add_u32 v17, v9, 2, v10
	s_delay_alu instid0(VALU_DEP_2) | instskip(SKIP_3) | instid1(VALU_DEP_2)
	v_lshrrev_b32_e32 v9, s16, v11
	ds_load_u16 v11, v17
	v_bitop3_b32 v9, v9, s12, v9 bitop3:0x30
	v_dual_lshrrev_b32 v10, 16, v2 :: v_dual_lshrrev_b32 v2, 24, v2
	v_dual_lshlrev_b32 v12, 10, v9 :: v_dual_lshrrev_b32 v9, 2, v9
	s_delay_alu instid0(VALU_DEP_2) | instskip(NEXT) | instid1(VALU_DEP_2)
	v_xor_b32_e32 v10, 0xffffff80, v10
	v_and_or_b32 v12, 0x1c00, v12, v0
	s_delay_alu instid0(VALU_DEP_3) | instskip(NEXT) | instid1(VALU_DEP_3)
	v_and_b32_e32 v9, 62, v9
	v_and_b32_e32 v13, 0xff, v10
	s_delay_alu instid0(VALU_DEP_2) | instskip(NEXT) | instid1(VALU_DEP_2)
	v_lshl_add_u32 v20, v12, 2, v9
	v_lshrrev_b32_e32 v9, s16, v13
	v_xor_b32_e32 v12, 0xffffff80, v2
	s_wait_dscnt 0x0
	v_add_nc_u16 v14, v11, 1
	s_delay_alu instid0(VALU_DEP_3) | instskip(SKIP_3) | instid1(VALU_DEP_1)
	v_bitop3_b32 v9, v9, s12, v9 bitop3:0x30
	ds_store_b16 v17, v14
	ds_load_u16 v14, v20
	v_dual_lshlrev_b32 v13, 10, v9 :: v_dual_lshrrev_b32 v9, 2, v9
	v_and_or_b32 v2, 0x1c00, v13, v0
	s_delay_alu instid0(VALU_DEP_2) | instskip(SKIP_1) | instid1(VALU_DEP_2)
	v_and_b32_e32 v9, 62, v9
	v_and_b32_e32 v13, 0xff, v12
	v_lshl_add_u32 v2, v2, 2, v9
	s_delay_alu instid0(VALU_DEP_2) | instskip(SKIP_1) | instid1(VALU_DEP_2)
	v_lshrrev_b32_e32 v9, s16, v13
	v_xor_b32_e32 v13, 0xffffff80, v3
	v_bitop3_b32 v9, v9, s12, v9 bitop3:0x30
	s_wait_dscnt 0x0
	v_add_nc_u16 v15, v14, 1
	s_delay_alu instid0(VALU_DEP_3) | instskip(NEXT) | instid1(VALU_DEP_3)
	v_and_b32_e32 v18, 0xff, v13
	v_dual_lshlrev_b32 v16, 10, v9 :: v_dual_lshrrev_b32 v9, 2, v9
	ds_store_b16 v20, v15
	ds_load_u16 v15, v2
	v_and_or_b32 v16, 0x1c00, v16, v0
	v_and_b32_e32 v9, 62, v9
	s_delay_alu instid0(VALU_DEP_1) | instskip(SKIP_1) | instid1(VALU_DEP_1)
	v_lshl_add_u32 v27, v16, 2, v9
	v_dual_lshrrev_b32 v9, s16, v18 :: v_dual_lshrrev_b32 v16, 8, v3
	v_bitop3_b32 v9, v9, s12, v9 bitop3:0x30
	s_delay_alu instid0(VALU_DEP_2) | instskip(NEXT) | instid1(VALU_DEP_2)
	v_xor_b32_e32 v16, 0xffffff80, v16
	v_dual_lshlrev_b32 v18, 10, v9 :: v_dual_lshrrev_b32 v9, 2, v9
	s_wait_dscnt 0x0
	v_add_nc_u16 v19, v15, 1
	s_delay_alu instid0(VALU_DEP_3) | instskip(NEXT) | instid1(VALU_DEP_3)
	v_and_b32_e32 v21, 0xff, v16
	v_and_or_b32 v18, 0x1c00, v18, v0
	v_and_b32_e32 v9, 62, v9
	ds_store_b16 v2, v19
	ds_load_u16 v19, v27
	v_lshl_add_u32 v34, v18, 2, v9
	v_dual_lshrrev_b32 v9, s16, v21 :: v_dual_lshrrev_b32 v18, 16, v3
	v_lshrrev_b32_e32 v3, 24, v3
	s_delay_alu instid0(VALU_DEP_2) | instskip(NEXT) | instid1(VALU_DEP_3)
	v_bitop3_b32 v9, v9, s12, v9 bitop3:0x30
	v_xor_b32_e32 v18, 0xffffff80, v18
	s_wait_xcnt 0x0
	s_delay_alu instid0(VALU_DEP_1) | instskip(SKIP_2) | instid1(VALU_DEP_2)
	v_and_b32_e32 v6, 0xff, v18
	s_wait_dscnt 0x0
	v_add_nc_u16 v22, v19, 1
	v_lshrrev_b32_e32 v6, s16, v6
	ds_store_b16 v27, v22
	ds_load_u16 v21, v34
	v_dual_lshlrev_b32 v22, 10, v9 :: v_dual_lshrrev_b32 v9, 2, v9
	v_bitop3_b32 v6, v6, s12, v6 bitop3:0x30
	s_delay_alu instid0(VALU_DEP_2) | instskip(NEXT) | instid1(VALU_DEP_3)
	v_and_or_b32 v22, 0x1c00, v22, v0
	v_and_b32_e32 v9, 62, v9
	s_delay_alu instid0(VALU_DEP_1) | instskip(NEXT) | instid1(VALU_DEP_4)
	v_lshl_add_u32 v41, v22, 2, v9
	v_dual_lshlrev_b32 v9, 10, v6 :: v_dual_lshrrev_b32 v22, 2, v6
	v_xor_b32_e32 v6, 0xffffff80, v3
	s_delay_alu instid0(VALU_DEP_2) | instskip(NEXT) | instid1(VALU_DEP_3)
	v_and_or_b32 v3, 0x1c00, v9, v0
	v_and_b32_e32 v9, 62, v22
	s_wait_dscnt 0x0
	v_add_nc_u16 v23, v21, 1
	v_and_b32_e32 v22, 0xff, v6
	s_delay_alu instid0(VALU_DEP_3) | instskip(SKIP_4) | instid1(VALU_DEP_2)
	v_lshl_add_u32 v3, v3, 2, v9
	ds_store_b16 v34, v23
	ds_load_u16 v25, v41
	v_lshrrev_b32_e32 v9, s16, v22
	v_xor_b32_e32 v22, 0xffffff80, v4
	v_bitop3_b32 v9, v9, s12, v9 bitop3:0x30
	s_delay_alu instid0(VALU_DEP_2)
	v_and_b32_e32 v24, 0xff, v22
	s_wait_dscnt 0x0
	v_add_nc_u16 v23, v25, 1
	ds_store_b16 v41, v23
	ds_load_u16 v29, v3
	v_dual_lshlrev_b32 v23, 10, v9 :: v_dual_lshrrev_b32 v9, 2, v9
	s_delay_alu instid0(VALU_DEP_1) | instskip(NEXT) | instid1(VALU_DEP_2)
	v_and_or_b32 v23, 0x1c00, v23, v0
	v_and_b32_e32 v9, 62, v9
	s_delay_alu instid0(VALU_DEP_1) | instskip(SKIP_2) | instid1(VALU_DEP_2)
	v_lshl_add_u32 v47, v23, 2, v9
	v_lshrrev_b32_e32 v9, s16, v24
	v_lshrrev_b32_e32 v23, 8, v4
	v_bitop3_b32 v9, v9, s12, v9 bitop3:0x30
	s_delay_alu instid0(VALU_DEP_2) | instskip(SKIP_2) | instid1(VALU_DEP_3)
	v_xor_b32_e32 v23, 0xffffff80, v23
	s_wait_dscnt 0x0
	v_add_nc_u16 v26, v29, 1
	v_dual_lshlrev_b32 v24, 10, v9 :: v_dual_lshrrev_b32 v9, 2, v9
	ds_store_b16 v3, v26
	ds_load_u16 v31, v47
	v_and_b32_e32 v26, 0xff, v23
	v_and_or_b32 v24, 0x1c00, v24, v0
	v_and_b32_e32 v9, 62, v9
	s_delay_alu instid0(VALU_DEP_1) | instskip(NEXT) | instid1(VALU_DEP_4)
	v_lshl_add_u32 v49, v24, 2, v9
	v_dual_lshrrev_b32 v9, s16, v26 :: v_dual_lshrrev_b32 v24, 16, v4
	v_lshrrev_b32_e32 v4, 24, v4
	s_delay_alu instid0(VALU_DEP_2) | instskip(NEXT) | instid1(VALU_DEP_3)
	v_bitop3_b32 v9, v9, s12, v9 bitop3:0x30
	v_xor_b32_e32 v24, 0xffffff80, v24
	s_delay_alu instid0(VALU_DEP_2) | instskip(SKIP_2) | instid1(VALU_DEP_2)
	v_dual_lshlrev_b32 v26, 10, v9 :: v_dual_lshrrev_b32 v9, 2, v9
	s_wait_dscnt 0x0
	v_add_nc_u16 v28, v31, 1
	v_and_or_b32 v26, 0x1c00, v26, v0
	s_delay_alu instid0(VALU_DEP_3)
	v_and_b32_e32 v9, 62, v9
	ds_store_b16 v47, v28
	ds_load_u16 v33, v49
	v_and_b32_e32 v28, 0xff, v24
	v_lshl_add_u32 v51, v26, 2, v9
	v_xor_b32_e32 v26, 0xffffff80, v4
	s_delay_alu instid0(VALU_DEP_3) | instskip(NEXT) | instid1(VALU_DEP_1)
	v_lshrrev_b32_e32 v9, s16, v28
	v_bitop3_b32 v9, v9, s12, v9 bitop3:0x30
	s_delay_alu instid0(VALU_DEP_1) | instskip(SKIP_2) | instid1(VALU_DEP_2)
	v_dual_lshlrev_b32 v28, 10, v9 :: v_dual_lshrrev_b32 v9, 2, v9
	s_wait_dscnt 0x0
	v_add_nc_u16 v30, v33, 1
	v_and_or_b32 v4, 0x1c00, v28, v0
	s_delay_alu instid0(VALU_DEP_3)
	v_and_b32_e32 v9, 62, v9
	v_and_b32_e32 v28, 0xff, v26
	ds_store_b16 v49, v30
	ds_load_u16 v35, v51
	v_lshl_add_u32 v4, v4, 2, v9
	v_lshrrev_b32_e32 v9, s16, v28
	v_xor_b32_e32 v28, 0xffffff80, v5
	s_delay_alu instid0(VALU_DEP_2) | instskip(NEXT) | instid1(VALU_DEP_2)
	v_bitop3_b32 v9, v9, s12, v9 bitop3:0x30
	v_and_b32_e32 v32, 0xff, v28
	s_wait_dscnt 0x0
	v_add_nc_u16 v30, v35, 1
	ds_store_b16 v51, v30
	ds_load_u16 v38, v4
	v_dual_lshlrev_b32 v30, 10, v9 :: v_dual_lshrrev_b32 v9, 2, v9
	s_delay_alu instid0(VALU_DEP_1) | instskip(NEXT) | instid1(VALU_DEP_2)
	v_and_or_b32 v30, 0x1c00, v30, v0
	v_and_b32_e32 v9, 62, v9
	s_delay_alu instid0(VALU_DEP_1) | instskip(SKIP_1) | instid1(VALU_DEP_1)
	v_lshl_add_u32 v54, v30, 2, v9
	v_dual_lshrrev_b32 v9, s16, v32 :: v_dual_lshrrev_b32 v30, 8, v5
	v_bitop3_b32 v9, v9, s12, v9 bitop3:0x30
	s_delay_alu instid0(VALU_DEP_2) | instskip(SKIP_2) | instid1(VALU_DEP_3)
	v_xor_b32_e32 v30, 0xffffff80, v30
	s_wait_dscnt 0x0
	v_add_nc_u16 v36, v38, 1
	v_dual_lshlrev_b32 v32, 10, v9 :: v_dual_lshrrev_b32 v9, 2, v9
	ds_store_b16 v4, v36
	ds_load_u16 v40, v54
	v_and_b32_e32 v36, 0xff, v30
	v_and_or_b32 v32, 0x1c00, v32, v0
	v_and_b32_e32 v9, 62, v9
	s_delay_alu instid0(VALU_DEP_1) | instskip(NEXT) | instid1(VALU_DEP_4)
	v_lshl_add_u32 v56, v32, 2, v9
	v_dual_lshrrev_b32 v9, s16, v36 :: v_dual_lshrrev_b32 v32, 16, v5
	v_lshrrev_b32_e32 v5, 24, v5
	s_delay_alu instid0(VALU_DEP_2) | instskip(NEXT) | instid1(VALU_DEP_3)
	v_bitop3_b32 v9, v9, s12, v9 bitop3:0x30
	v_xor_b32_e32 v32, 0xffffff80, v32
	s_delay_alu instid0(VALU_DEP_3) | instskip(NEXT) | instid1(VALU_DEP_3)
	v_xor_b32_e32 v5, 0xffffff80, v5
	v_dual_lshlrev_b32 v36, 10, v9 :: v_dual_lshrrev_b32 v9, 2, v9
	s_wait_dscnt 0x0
	v_add_nc_u16 v37, v40, 1
	s_delay_alu instid0(VALU_DEP_2) | instskip(NEXT) | instid1(VALU_DEP_3)
	v_and_or_b32 v36, 0x1c00, v36, v0
	v_and_b32_e32 v9, 62, v9
	ds_store_b16 v54, v37
	ds_load_u16 v43, v56
	v_and_b32_e32 v37, 0xff, v32
	v_lshl_add_u32 v58, v36, 2, v9
	s_delay_alu instid0(VALU_DEP_2) | instskip(SKIP_1) | instid1(VALU_DEP_2)
	v_lshrrev_b32_e32 v9, s16, v37
	v_and_b32_e32 v37, 0xff, v5
	v_bitop3_b32 v9, v9, s12, v9 bitop3:0x30
	s_delay_alu instid0(VALU_DEP_1) | instskip(SKIP_2) | instid1(VALU_DEP_2)
	v_dual_lshlrev_b32 v36, 10, v9 :: v_dual_lshrrev_b32 v9, 2, v9
	s_wait_dscnt 0x0
	v_add_nc_u16 v39, v43, 1
	v_and_or_b32 v36, 0x1c00, v36, v0
	s_delay_alu instid0(VALU_DEP_3)
	v_and_b32_e32 v9, 62, v9
	ds_store_b16 v56, v39
	ds_load_u16 v44, v58
	v_lshl_add_u32 v59, v36, 2, v9
	v_lshrrev_b32_e32 v9, s16, v37
	s_wait_loadcnt 0x1
	v_xor_b32_e32 v36, 0xffffff80, v8
	s_delay_alu instid0(VALU_DEP_2) | instskip(NEXT) | instid1(VALU_DEP_1)
	v_bitop3_b32 v9, v9, s12, v9 bitop3:0x30
	v_dual_lshlrev_b32 v37, 10, v9 :: v_dual_lshrrev_b32 v9, 2, v9
	s_delay_alu instid0(VALU_DEP_1) | instskip(NEXT) | instid1(VALU_DEP_2)
	v_and_or_b32 v37, 0x1c00, v37, v0
	v_and_b32_e32 v9, 62, v9
	s_wait_dscnt 0x0
	v_add_nc_u16 v39, v44, 1
	s_delay_alu instid0(VALU_DEP_2) | instskip(SKIP_4) | instid1(VALU_DEP_1)
	v_lshl_add_u32 v60, v37, 2, v9
	v_lshrrev_b32_e32 v37, 8, v8
	ds_store_b16 v58, v39
	ds_load_u16 v45, v59
	v_and_b32_e32 v39, 0xff, v36
	v_lshrrev_b32_e32 v9, s16, v39
	v_xor_b32_e32 v39, 0xffffff80, v37
	s_delay_alu instid0(VALU_DEP_2) | instskip(NEXT) | instid1(VALU_DEP_1)
	v_bitop3_b32 v9, v9, s12, v9 bitop3:0x30
	v_dual_lshlrev_b32 v48, 10, v9 :: v_dual_lshrrev_b32 v9, 2, v9
	s_wait_dscnt 0x0
	v_add_nc_u16 v46, v45, 1
	s_delay_alu instid0(VALU_DEP_2) | instskip(NEXT) | instid1(VALU_DEP_3)
	v_and_or_b32 v37, 0x1c00, v48, v0
	v_and_b32_e32 v9, 62, v9
	v_and_b32_e32 v48, 0xff, v39
	ds_store_b16 v59, v46
	ds_load_u16 v46, v60
	v_lshl_add_u32 v61, v37, 2, v9
	v_lshrrev_b32_e32 v9, s16, v48
	v_lshrrev_b32_e32 v37, 16, v8
	s_delay_alu instid0(VALU_DEP_2) | instskip(NEXT) | instid1(VALU_DEP_2)
	v_bitop3_b32 v9, v9, s12, v9 bitop3:0x30
	v_xor_b32_e32 v37, 0xffffff80, v37
	s_delay_alu instid0(VALU_DEP_1) | instskip(NEXT) | instid1(VALU_DEP_1)
	v_and_b32_e32 v52, 0xff, v37
	v_lshrrev_b32_e32 v52, s16, v52
	s_wait_dscnt 0x0
	v_add_nc_u16 v50, v46, 1
	s_delay_alu instid0(VALU_DEP_2) | instskip(SKIP_3) | instid1(VALU_DEP_1)
	v_bitop3_b32 v55, v52, s12, v52 bitop3:0x30
	ds_store_b16 v60, v50
	ds_load_u16 v48, v61
	v_dual_lshlrev_b32 v50, 10, v9 :: v_dual_lshrrev_b32 v9, 2, v9
	v_and_or_b32 v50, 0x1c00, v50, v0
	s_delay_alu instid0(VALU_DEP_2) | instskip(NEXT) | instid1(VALU_DEP_1)
	v_and_b32_e32 v9, 62, v9
	v_lshl_add_u32 v62, v50, 2, v9
	s_wait_loadcnt 0x0
	v_and_b32_e32 v9, 0xffff, v42
	v_xor_b32_e32 v42, 0xffffff80, v42
	s_wait_dscnt 0x0
	v_add_nc_u16 v53, v48, 1
	ds_store_b16 v61, v53
	ds_load_u16 v50, v62
	v_lshrrev_b64 v[52:53], 24, v[8:9]
	v_dual_lshlrev_b32 v53, 10, v55 :: v_dual_lshrrev_b32 v55, 2, v55
	v_lshrrev_b32_e32 v9, 8, v9
	s_delay_alu instid0(VALU_DEP_3) | instskip(NEXT) | instid1(VALU_DEP_3)
	v_xor_b32_e32 v8, 0xffffff80, v52
	v_and_or_b32 v52, 0x1c00, v53, v0
	s_delay_alu instid0(VALU_DEP_4) | instskip(NEXT) | instid1(VALU_DEP_4)
	v_and_b32_e32 v53, 62, v55
	v_xor_b32_e32 v9, 0xffffff80, v9
	s_delay_alu instid0(VALU_DEP_4) | instskip(NEXT) | instid1(VALU_DEP_3)
	v_and_b32_e32 v55, 0xff, v8
	v_lshl_add_u32 v63, v52, 2, v53
	s_delay_alu instid0(VALU_DEP_3) | instskip(NEXT) | instid1(VALU_DEP_3)
	v_and_b32_e32 v66, 0xff, v9
	v_lshrrev_b32_e32 v53, s16, v55
	s_wait_dscnt 0x0
	v_add_nc_u16 v57, v50, 1
	s_delay_alu instid0(VALU_DEP_2) | instskip(SKIP_4) | instid1(VALU_DEP_1)
	v_bitop3_b32 v53, v53, s12, v53 bitop3:0x30
	ds_store_b16 v62, v57
	ds_load_u16 v52, v63
	v_and_b32_e32 v57, 0xff, v42
	v_dual_lshlrev_b32 v55, 10, v53 :: v_dual_lshrrev_b32 v53, 2, v53
	v_and_or_b32 v55, 0x1c00, v55, v0
	s_delay_alu instid0(VALU_DEP_2) | instskip(NEXT) | instid1(VALU_DEP_1)
	v_and_b32_e32 v53, 62, v53
	v_lshl_add_u32 v64, v55, 2, v53
	v_lshrrev_b32_e32 v55, s16, v57
	s_delay_alu instid0(VALU_DEP_1) | instskip(SKIP_2) | instid1(VALU_DEP_2)
	v_bitop3_b32 v55, v55, s12, v55 bitop3:0x30
	s_wait_dscnt 0x0
	v_add_nc_u16 v65, v52, 1
	v_lshlrev_b32_e32 v57, 10, v55
	ds_store_b16 v63, v65
	ds_load_u16 v53, v64
	v_lshrrev_b32_e32 v55, 2, v55
	v_and_or_b32 v57, 0x1c00, v57, v0
	s_delay_alu instid0(VALU_DEP_2) | instskip(NEXT) | instid1(VALU_DEP_1)
	v_and_b32_e32 v55, 62, v55
	v_lshl_add_u32 v65, v57, 2, v55
	v_lshrrev_b32_e32 v57, s16, v66
	s_delay_alu instid0(VALU_DEP_1) | instskip(SKIP_2) | instid1(VALU_DEP_2)
	v_bitop3_b32 v57, v57, s12, v57 bitop3:0x30
	s_wait_dscnt 0x0
	v_add_nc_u16 v67, v53, 1
	v_dual_lshlrev_b32 v66, 10, v57 :: v_dual_lshrrev_b32 v57, 2, v57
	ds_store_b16 v64, v67
	ds_load_u16 v55, v65
	v_and_or_b32 v66, 0x1c00, v66, v0
	v_and_b32_e32 v57, 62, v57
	s_delay_alu instid0(VALU_DEP_1)
	v_lshl_add_u32 v66, v66, 2, v57
	s_wait_dscnt 0x0
	v_add_nc_u16 v67, v55, 1
	ds_store_b16 v65, v67
	ds_load_u16 v57, v66
	v_lshlrev_b32_e32 v67, 5, v0
	s_wait_dscnt 0x0
	v_add_nc_u16 v68, v57, 1
	ds_store_b16 v66, v68
	s_wait_storecnt_dscnt 0x0
	s_barrier_signal -1
	s_barrier_wait -1
	ds_load_2addr_b64 v[68:71], v67 offset1:1
	ds_load_2addr_b64 v[72:75], v67 offset0:2 offset1:3
	s_wait_dscnt 0x1
	v_add_nc_u32_e32 v68, v69, v68
	s_delay_alu instid0(VALU_DEP_1) | instskip(SKIP_1) | instid1(VALU_DEP_1)
	v_add3_u32 v68, v68, v70, v71
	s_wait_dscnt 0x0
	v_add3_u32 v69, v68, v72, v73
	v_mbcnt_lo_u32_b32 v68, -1, 0
	v_and_b32_e32 v72, 31, v0
	s_delay_alu instid0(VALU_DEP_3) | instskip(NEXT) | instid1(VALU_DEP_3)
	v_add3_u32 v69, v69, v74, v75
	v_and_b32_e32 v70, 15, v68
	s_delay_alu instid0(VALU_DEP_2) | instskip(NEXT) | instid1(VALU_DEP_2)
	v_mov_b32_dpp v71, v69 row_shr:1 row_mask:0xf bank_mask:0xf
	v_cmp_eq_u32_e32 vcc_lo, 0, v70
	v_cmp_lt_u32_e64 s2, 1, v70
	v_cmp_lt_u32_e64 s3, 3, v70
	;; [unrolled: 1-line block ×3, first 2 shown]
	v_cndmask_b32_e64 v71, v71, 0, vcc_lo
	s_delay_alu instid0(VALU_DEP_1) | instskip(NEXT) | instid1(VALU_DEP_1)
	v_add_nc_u32_e32 v69, v71, v69
	v_mov_b32_dpp v71, v69 row_shr:2 row_mask:0xf bank_mask:0xf
	s_delay_alu instid0(VALU_DEP_1) | instskip(NEXT) | instid1(VALU_DEP_1)
	v_cndmask_b32_e64 v71, 0, v71, s2
	v_add_nc_u32_e32 v69, v69, v71
	s_delay_alu instid0(VALU_DEP_1) | instskip(NEXT) | instid1(VALU_DEP_1)
	v_mov_b32_dpp v71, v69 row_shr:4 row_mask:0xf bank_mask:0xf
	v_cndmask_b32_e64 v71, 0, v71, s3
	s_delay_alu instid0(VALU_DEP_1) | instskip(NEXT) | instid1(VALU_DEP_1)
	v_add_nc_u32_e32 v69, v69, v71
	v_mov_b32_dpp v71, v69 row_shr:8 row_mask:0xf bank_mask:0xf
	s_delay_alu instid0(VALU_DEP_1) | instskip(SKIP_1) | instid1(VALU_DEP_2)
	v_cndmask_b32_e64 v70, 0, v71, s4
	v_bfe_i32 v71, v68, 4, 1
	v_add_nc_u32_e32 v69, v69, v70
	ds_swizzle_b32 v70, v69 offset:swizzle(BROADCAST,32,15)
	s_wait_dscnt 0x0
	v_dual_lshrrev_b32 v71, 5, v0 :: v_dual_bitop2_b32 v70, v71, v70 bitop3:0x40
	s_delay_alu instid0(VALU_DEP_1) | instskip(NEXT) | instid1(VALU_DEP_2)
	v_dual_add_nc_u32 v69, v69, v70 :: v_dual_bitop2_b32 v73, 16, v68 bitop3:0x40
	v_lshlrev_b32_e32 v70, 2, v71
	s_delay_alu instid0(VALU_DEP_2)
	v_cmp_eq_u32_e64 s5, 0, v73
	v_cmpx_eq_u32_e32 31, v72
; %bb.118:
	ds_store_b32 v70, v69 offset:32768
; %bb.119:
	s_or_b32 exec_lo, exec_lo, s7
	v_cmp_lt_u32_e64 s6, 31, v0
	s_mov_b32 s13, exec_lo
	s_wait_dscnt 0x0
	s_barrier_signal -1
	s_barrier_wait -1
	v_cmpx_gt_u32_e32 32, v0
	s_cbranch_execz .LBB475_121
; %bb.120:
	v_mad_i32_i24 v71, 0xffffffe4, v0, v67
	ds_load_b32 v72, v71 offset:32768
	s_wait_dscnt 0x0
	v_mov_b32_dpp v73, v72 row_shr:1 row_mask:0xf bank_mask:0xf
	s_delay_alu instid0(VALU_DEP_1) | instskip(NEXT) | instid1(VALU_DEP_1)
	v_cndmask_b32_e64 v73, v73, 0, vcc_lo
	v_add_nc_u32_e32 v72, v73, v72
	s_delay_alu instid0(VALU_DEP_1) | instskip(NEXT) | instid1(VALU_DEP_1)
	v_mov_b32_dpp v73, v72 row_shr:2 row_mask:0xf bank_mask:0xf
	v_cndmask_b32_e64 v73, 0, v73, s2
	s_delay_alu instid0(VALU_DEP_1) | instskip(NEXT) | instid1(VALU_DEP_1)
	v_add_nc_u32_e32 v72, v72, v73
	v_mov_b32_dpp v73, v72 row_shr:4 row_mask:0xf bank_mask:0xf
	s_delay_alu instid0(VALU_DEP_1) | instskip(NEXT) | instid1(VALU_DEP_1)
	v_cndmask_b32_e64 v73, 0, v73, s3
	v_add_nc_u32_e32 v72, v72, v73
	s_delay_alu instid0(VALU_DEP_1) | instskip(NEXT) | instid1(VALU_DEP_1)
	v_mov_b32_dpp v73, v72 row_shr:8 row_mask:0xf bank_mask:0xf
	v_cndmask_b32_e64 v73, 0, v73, s4
	s_delay_alu instid0(VALU_DEP_1) | instskip(SKIP_3) | instid1(VALU_DEP_1)
	v_add_nc_u32_e32 v72, v72, v73
	ds_swizzle_b32 v73, v72 offset:swizzle(BROADCAST,32,15)
	s_wait_dscnt 0x0
	v_cndmask_b32_e64 v73, v73, 0, s5
	v_add_nc_u32_e32 v72, v72, v73
	ds_store_b32 v71, v72 offset:32768
.LBB475_121:
	s_or_b32 exec_lo, exec_lo, s13
	v_dual_mov_b32 v72, 0 :: v_dual_mov_b32 v71, 0
	s_wait_dscnt 0x0
	s_barrier_signal -1
	s_barrier_wait -1
	s_and_saveexec_b32 s2, s6
; %bb.122:
	ds_load_b32 v71, v70 offset:32764
; %bb.123:
	s_or_b32 exec_lo, exec_lo, s2
	v_sub_co_u32 v70, vcc_lo, v68, 1
	s_wait_dscnt 0x0
	v_add_nc_u32_e32 v69, v71, v69
	s_delay_alu instid0(VALU_DEP_2) | instskip(NEXT) | instid1(VALU_DEP_1)
	v_cmp_gt_i32_e64 s2, 0, v70
	v_cndmask_b32_e64 v68, v70, v68, s2
	v_cmp_gt_u32_e64 s2, 16, v0
	s_delay_alu instid0(VALU_DEP_2)
	v_lshlrev_b32_e32 v68, 2, v68
	ds_bpermute_b32 v68, v68, v69
	ds_load_b32 v69, v72 offset:32892
	ds_load_2addr_b64 v[72:75], v67 offset1:1
	ds_load_b32 v76, v67 offset:24
	s_wait_dscnt 0x3
	v_cndmask_b32_e32 v68, v68, v71, vcc_lo
	ds_load_b64 v[70:71], v67 offset:16
	v_cmp_lt_u32_e32 vcc_lo, 15, v0
	s_wait_dscnt 0x3
	v_lshl_add_u32 v68, v69, 16, v68
	s_wait_dscnt 0x2
	s_delay_alu instid0(VALU_DEP_1) | instskip(NEXT) | instid1(VALU_DEP_1)
	v_add_nc_u32_e32 v69, v68, v72
	v_add_nc_u32_e32 v72, v73, v69
	s_delay_alu instid0(VALU_DEP_1) | instskip(NEXT) | instid1(VALU_DEP_1)
	v_add_nc_u32_e32 v73, v74, v72
	v_add_nc_u32_e32 v74, v75, v73
	s_wait_dscnt 0x0
	s_delay_alu instid0(VALU_DEP_1) | instskip(NEXT) | instid1(VALU_DEP_1)
	v_add_nc_u32_e32 v75, v70, v74
	v_add_nc_u32_e32 v70, v71, v75
	s_delay_alu instid0(VALU_DEP_1)
	v_add_nc_u32_e32 v71, v76, v70
	ds_store_2addr_b64 v67, v[68:69], v[72:73] offset1:1
	ds_store_2addr_b64 v67, v[74:75], v[70:71] offset0:2 offset1:3
	s_wait_dscnt 0x0
	s_barrier_signal -1
	s_barrier_wait -1
	ds_load_u16 v17, v17
	ds_load_u16 v20, v20
	;; [unrolled: 1-line block ×22, first 2 shown]
	v_mov_b64_e32 v[2:3], 0
                                        ; implicit-def: $vgpr4
	s_and_saveexec_b32 s4, s2
	s_cbranch_execz .LBB475_127
; %bb.124:
	v_dual_lshlrev_b32 v2, 12, v0 :: v_dual_lshrrev_b32 v3, 2, v0
	v_add_nc_u32_e32 v4, 1, v0
	s_mov_b32 s5, exec_lo
	s_delay_alu instid0(VALU_DEP_2)
	v_bitop3_b32 v2, v2, 0x70fe, v3 bitop3:0xc8
	v_mov_b32_e32 v3, 0x5800
	ds_load_u16 v2, v2
	v_cmpx_ne_u32_e32 16, v4
; %bb.125:
	v_dual_lshlrev_b32 v3, 12, v4 :: v_dual_lshrrev_b32 v4, 2, v4
	s_delay_alu instid0(VALU_DEP_1)
	v_bitop3_b32 v3, v3, 0x71fe, v4 bitop3:0xc8
	ds_load_u16 v3, v3
; %bb.126:
	s_or_b32 exec_lo, exec_lo, s5
	s_wait_dscnt 0x0
	v_and_b32_e32 v2, 0xffff, v2
	s_mov_b32 s3, 0
	s_delay_alu instid0(VALU_DEP_1) | instid1(SALU_CYCLE_1)
	v_dual_mov_b32 v3, s3 :: v_dual_sub_nc_u32 v4, v3, v2
.LBB475_127:
	s_or_b32 exec_lo, exec_lo, s4
	s_wait_dscnt 0x15
	v_and_b32_e32 v17, 0xffff, v17
	v_and_b32_e32 v11, 0xffff, v11
	s_wait_dscnt 0x14
	v_and_b32_e32 v20, 0xffff, v20
	v_and_b32_e32 v14, 0xffff, v14
	;; [unrolled: 3-line block ×4, first 2 shown]
	v_dual_add_nc_u32 v11, v17, v11 :: v_dual_add_nc_u32 v14, v20, v14
	s_wait_dscnt 0x11
	v_and_b32_e32 v34, 0xffff, v34
	v_and_b32_e32 v21, 0xffff, v21
	s_wait_dscnt 0x10
	v_and_b32_e32 v41, 0xffff, v41
	v_and_b32_e32 v25, 0xffff, v25
	v_add_nc_u32_e32 v15, v67, v15
	s_wait_dscnt 0xf
	v_and_b32_e32 v68, 0xffff, v68
	v_and_b32_e32 v29, 0xffff, v29
	s_wait_dscnt 0xe
	v_and_b32_e32 v47, 0xffff, v47
	v_and_b32_e32 v31, 0xffff, v31
	s_wait_dscnt 0xd
	v_and_b32_e32 v49, 0xffff, v49
	v_and_b32_e32 v33, 0xffff, v33
	s_wait_dscnt 0x0
	s_barrier_signal -1
	s_barrier_wait -1
	ds_store_b8 v11, v1 offset:128
	ds_store_b8 v14, v7 offset:128
	ds_store_b8 v15, v10 offset:128
	v_dual_add_nc_u32 v1, v27, v19 :: v_dual_add_nc_u32 v10, v41, v25
	v_and_b32_e32 v51, 0xffff, v51
	v_and_b32_e32 v35, 0xffff, v35
	v_add_nc_u32_e32 v7, v34, v21
	v_and_b32_e32 v69, 0xffff, v69
	v_and_b32_e32 v38, 0xffff, v38
	;; [unrolled: 1-line block ×4, first 2 shown]
	v_dual_add_nc_u32 v11, v68, v29 :: v_dual_add_nc_u32 v14, v47, v31
	v_and_b32_e32 v56, 0xffff, v56
	v_and_b32_e32 v43, 0xffff, v43
	;; [unrolled: 1-line block ×4, first 2 shown]
	ds_store_b8 v1, v12 offset:128
	ds_store_b8 v7, v13 offset:128
	;; [unrolled: 1-line block ×5, first 2 shown]
	v_dual_add_nc_u32 v1, v49, v33 :: v_dual_add_nc_u32 v6, v51, v35
	v_and_b32_e32 v59, 0xffff, v59
	v_and_b32_e32 v45, 0xffff, v45
	;; [unrolled: 1-line block ×4, first 2 shown]
	v_dual_add_nc_u32 v7, v69, v38 :: v_dual_add_nc_u32 v10, v54, v40
	v_and_b32_e32 v61, 0xffff, v61
	v_and_b32_e32 v48, 0xffff, v48
	;; [unrolled: 1-line block ×4, first 2 shown]
	v_add_nc_u32_e32 v11, v56, v43
	ds_store_b8 v1, v22 offset:128
	ds_store_b8 v6, v23 offset:128
	ds_store_b8 v7, v24 offset:128
	ds_store_b8 v10, v26 offset:128
	ds_store_b8 v11, v28 offset:128
	v_dual_add_nc_u32 v1, v58, v44 :: v_dual_add_nc_u32 v6, v59, v45
	v_dual_add_nc_u32 v7, v60, v46 :: v_dual_add_nc_u32 v10, v61, v48
	v_add_nc_u32_e32 v11, v62, v50
	v_and_b32_e32 v63, 0xffff, v63
	v_and_b32_e32 v66, 0xffff, v66
	;; [unrolled: 1-line block ×4, first 2 shown]
	ds_store_b8 v1, v30 offset:128
	ds_store_b8 v6, v32 offset:128
	ds_store_b8 v7, v5 offset:128
	ds_store_b8 v10, v36 offset:128
	ds_store_b8 v11, v39 offset:128
	v_mov_b32_e32 v7, 0
	v_and_b32_e32 v64, 0xffff, v64
	v_and_b32_e32 v53, 0xffff, v53
	;; [unrolled: 1-line block ×4, first 2 shown]
	v_dual_add_nc_u32 v6, v63, v52 :: v_dual_add_nc_u32 v12, v66, v57
	v_dual_mov_b32 v1, v7 :: v_dual_lshlrev_b32 v5, 3, v0
	s_delay_alu instid0(VALU_DEP_3)
	v_dual_add_nc_u32 v10, v64, v53 :: v_dual_add_nc_u32 v11, v65, v55
	s_not_b32 s3, s12
	ds_store_b8 v6, v37 offset:128
	ds_store_b8 v10, v8 offset:128
	;; [unrolled: 1-line block ×4, first 2 shown]
	s_and_saveexec_b32 s4, s2
	s_cbranch_execz .LBB475_137
; %bb.128:
	v_lshl_add_u32 v6, s19, 4, v0
	v_dual_mov_b32 v10, 0 :: v_dual_bitop2_b32 v11, 2.0, v4 bitop3:0x54
	s_mov_b32 s5, 0
	s_mov_b32 s6, s19
	s_delay_alu instid0(VALU_DEP_2)
	v_lshl_add_u64 v[8:9], v[6:7], 2, s[20:21]
	global_store_b32 v6, v11, s[20:21] scale_offset scope:SCOPE_DEV
                                        ; implicit-def: $sgpr2
	s_branch .LBB475_131
.LBB475_129:                            ;   in Loop: Header=BB475_131 Depth=1
	s_or_b32 exec_lo, exec_lo, s12
.LBB475_130:                            ;   in Loop: Header=BB475_131 Depth=1
	s_delay_alu instid0(SALU_CYCLE_1) | instskip(SKIP_2) | instid1(VALU_DEP_2)
	s_or_b32 exec_lo, exec_lo, s7
	v_and_b32_e32 v6, 0x3fffffff, v11
	v_cmp_gt_i32_e64 s2, -2.0, v11
	v_add_nc_u32_e32 v10, v6, v10
	s_and_b32 s7, exec_lo, s2
	s_delay_alu instid0(SALU_CYCLE_1) | instskip(NEXT) | instid1(SALU_CYCLE_1)
	s_or_b32 s5, s7, s5
	s_and_not1_b32 exec_lo, exec_lo, s5
	s_cbranch_execz .LBB475_136
.LBB475_131:                            ; =>This Loop Header: Depth=1
                                        ;     Child Loop BB475_134 Depth 2
	s_or_b32 s2, s2, exec_lo
	s_cmp_eq_u32 s6, 0
	s_cbranch_scc1 .LBB475_135
; %bb.132:                              ;   in Loop: Header=BB475_131 Depth=1
	s_add_co_i32 s6, s6, -1
	s_mov_b32 s7, exec_lo
	s_wait_xcnt 0x0
	v_lshl_or_b32 v6, s6, 4, v0
	global_load_b32 v11, v6, s[20:21] scale_offset scope:SCOPE_DEV
	s_wait_loadcnt 0x0
	v_cmpx_gt_u32_e32 2.0, v11
	s_cbranch_execz .LBB475_130
; %bb.133:                              ;   in Loop: Header=BB475_131 Depth=1
	v_lshl_add_u64 v[12:13], v[6:7], 2, s[20:21]
	s_mov_b32 s12, 0
.LBB475_134:                            ;   Parent Loop BB475_131 Depth=1
                                        ; =>  This Inner Loop Header: Depth=2
	global_load_b32 v11, v[12:13], off scope:SCOPE_DEV
	s_wait_loadcnt 0x0
	v_cmp_lt_u32_e64 s2, 0x3fffffff, v11
	s_or_b32 s12, s2, s12
	s_wait_xcnt 0x0
	s_and_not1_b32 exec_lo, exec_lo, s12
	s_cbranch_execnz .LBB475_134
	s_branch .LBB475_129
.LBB475_135:                            ;   in Loop: Header=BB475_131 Depth=1
                                        ; implicit-def: $sgpr6
	s_and_b32 s7, exec_lo, s2
	s_delay_alu instid0(SALU_CYCLE_1)
	s_or_b32 s5, s7, s5
	s_wait_xcnt 0x0
	s_and_not1_b32 exec_lo, exec_lo, s5
	s_cbranch_execnz .LBB475_131
.LBB475_136:
	s_or_b32 exec_lo, exec_lo, s5
	v_dual_mov_b32 v11, 0 :: v_dual_add_nc_u32 v6, v10, v4
	s_delay_alu instid0(VALU_DEP_1) | instskip(SKIP_4) | instid1(VALU_DEP_1)
	v_or_b32_e32 v6, 0x80000000, v6
	global_store_b32 v[8:9], v6, off scope:SCOPE_DEV
	global_load_b64 v[6:7], v0, s[8:9] scale_offset
	v_sub_nc_u64_e32 v[8:9], v[10:11], v[2:3]
	s_wait_loadcnt 0x0
	v_add_nc_u64_e32 v[6:7], v[8:9], v[6:7]
	ds_store_b64 v5, v[6:7]
.LBB475_137:
	s_wait_xcnt 0x0
	s_or_b32 exec_lo, exec_lo, s4
	s_wait_storecnt_dscnt 0x0
	s_barrier_signal -1
	s_barrier_wait -1
	ds_load_u8 v26, v0 offset:20608
	ds_load_u8 v27, v0 offset:21632
	;; [unrolled: 1-line block ×22, first 2 shown]
	s_wait_dscnt 0xf
	v_and_b32_e32 v12, 0xff, v10
	v_xor_b32_e32 v45, 0x80, v10
	s_wait_dscnt 0xe
	v_and_b32_e32 v10, 0xff, v30
	s_wait_dscnt 0xd
	v_and_b32_e32 v18, 0xff, v31
	v_and_b32_e32 v6, 0xff, v26
	;; [unrolled: 1-line block ×5, first 2 shown]
	v_dual_lshrrev_b32 v12, s16, v12 :: v_dual_lshrrev_b32 v10, s16, v10
	s_delay_alu instid0(VALU_DEP_4) | instskip(NEXT) | instid1(VALU_DEP_3)
	v_dual_lshrrev_b32 v6, s16, v6 :: v_dual_lshrrev_b32 v7, s16, v7
	v_dual_lshrrev_b32 v13, s16, v13 :: v_dual_lshrrev_b32 v11, s16, v11
	s_delay_alu instid0(VALU_DEP_3) | instskip(NEXT) | instid1(VALU_DEP_4)
	v_and_b32_e32 v10, s3, v10
	v_and_b32_e32 v12, s3, v12
	s_delay_alu instid0(VALU_DEP_4) | instskip(SKIP_4) | instid1(VALU_DEP_4)
	v_and_b32_e32 v7, s3, v7
	v_and_b32_e32 v6, s3, v6
	;; [unrolled: 1-line block ×4, first 2 shown]
	v_xor_b32_e32 v24, 0x80, v8
	v_dual_lshlrev_b32 v9, 3, v7 :: v_dual_lshlrev_b32 v6, 3, v6
	s_delay_alu instid0(VALU_DEP_3)
	v_dual_lshlrev_b32 v14, 3, v11 :: v_dual_lshlrev_b32 v13, 3, v13
	ds_load_b64 v[6:7], v6
	ds_load_b64 v[8:9], v9
	v_dual_lshlrev_b32 v16, 3, v10 :: v_dual_lshlrev_b32 v15, 3, v12
	ds_load_b64 v[10:11], v13
	ds_load_b64 v[12:13], v14
	s_wait_dscnt 0x10
	v_and_b32_e32 v19, 0xff, v32
	s_wait_dscnt 0xf
	v_and_b32_e32 v21, 0xff, v33
	;; [unrolled: 2-line block ×3, first 2 shown]
	v_lshrrev_b32_e32 v18, s16, v18
	ds_load_b64 v[14:15], v15
	ds_load_b64 v[16:17], v16
	v_lshrrev_b32_e32 v19, s16, v19
	s_wait_dscnt 0xf
	v_and_b32_e32 v23, 0xff, v35
	s_wait_dscnt 0xe
	v_and_b32_e32 v25, 0xff, v36
	v_dual_lshrrev_b32 v21, s16, v21 :: v_dual_lshrrev_b32 v22, s16, v22
	v_and_b32_e32 v19, s3, v19
	v_and_b32_e32 v18, s3, v18
	s_wait_dscnt 0xd
	v_and_b32_e32 v46, 0xff, v37
	v_dual_lshrrev_b32 v23, s16, v23 :: v_dual_lshrrev_b32 v25, s16, v25
	v_and_b32_e32 v48, s3, v22
	v_dual_lshlrev_b32 v22, 3, v19 :: v_dual_bitop2_b32 v21, s3, v21 bitop3:0x40
	v_lshlrev_b32_e32 v18, 3, v18
	s_wait_dscnt 0x3
	v_add_nc_u64_e32 v[10:11], s[14:15], v[10:11]
	s_wait_dscnt 0x2
	v_add_nc_u64_e32 v[12:13], s[14:15], v[12:13]
	v_dual_lshrrev_b32 v46, s16, v46 :: v_dual_bitop2_b32 v25, s3, v25 bitop3:0x40
	v_dual_lshlrev_b32 v23, 3, v21 :: v_dual_bitop2_b32 v49, s3, v23 bitop3:0x40
	ds_load_b64 v[18:19], v18
	v_add_nc_u64_e32 v[10:11], v[10:11], v[0:1]
	v_add_nc_u64_e32 v[12:13], v[12:13], v[0:1]
	v_xor_b32_e32 v50, 0x80, v20
	ds_load_b64 v[20:21], v22
	ds_load_b64 v[22:23], v23
	v_and_b32_e32 v47, 0xff, v38
	s_wait_dscnt 0x4
	v_add_nc_u64_e32 v[14:15], s[14:15], v[14:15]
	s_wait_dscnt 0x3
	v_add_nc_u64_e32 v[16:17], s[14:15], v[16:17]
	s_clause 0x1
	global_store_b8 v[10:11], v50, off
	global_store_b8 v[12:13], v24, off offset:1024
	s_wait_xcnt 0x0
	v_dual_lshlrev_b32 v10, 3, v48 :: v_dual_lshlrev_b32 v24, 3, v25
	v_dual_lshlrev_b32 v12, 3, v49 :: v_dual_lshrrev_b32 v47, s16, v47
	v_add_nc_u64_e32 v[14:15], v[14:15], v[0:1]
	ds_load_b64 v[10:11], v10
	ds_load_b64 v[12:13], v12
	;; [unrolled: 1-line block ×3, first 2 shown]
	v_and_b32_e32 v46, s3, v46
	v_and_b32_e32 v47, s3, v47
	v_add_nc_u64_e32 v[16:17], v[16:17], v[0:1]
	v_xor_b32_e32 v30, 0x80, v30
	global_store_b8 v[14:15], v45, off offset:2048
	s_wait_xcnt 0x0
	v_lshlrev_b32_e32 v45, 3, v46
	s_wait_dscnt 0x5
	v_add_nc_u64_e32 v[14:15], s[14:15], v[18:19]
	v_lshlrev_b32_e32 v46, 3, v47
	s_wait_dscnt 0x3
	v_add_nc_u64_e32 v[18:19], s[14:15], v[22:23]
	global_store_b8 v[16:17], v30, off offset:3072
	s_wait_xcnt 0x0
	v_add_nc_u64_e32 v[16:17], s[14:15], v[20:21]
	ds_load_b64 v[20:21], v45
	ds_load_b64 v[22:23], v46
	v_xor_b32_e32 v30, 0x80, v31
	v_add_nc_u64_e32 v[14:15], v[14:15], v[0:1]
	v_xor_b32_e32 v31, 0x80, v32
	v_add_nc_u64_e32 v[18:19], v[18:19], v[0:1]
	v_xor_b32_e32 v32, 0x80, v33
	s_wait_dscnt 0x4
	v_add_nc_u64_e32 v[10:11], s[14:15], v[10:11]
	s_wait_dscnt 0x3
	v_add_nc_u64_e32 v[12:13], s[14:15], v[12:13]
	v_add_nc_u64_e32 v[16:17], v[16:17], v[0:1]
	global_store_b8 v[14:15], v30, off offset:4096
	s_wait_dscnt 0x2
	s_wait_xcnt 0x0
	v_add_nc_u64_e32 v[14:15], s[14:15], v[24:25]
	s_clause 0x1
	global_store_b8 v[16:17], v31, off offset:5120
	global_store_b8 v[18:19], v32, off offset:6144
	v_add_nc_u64_e32 v[10:11], v[10:11], v[0:1]
	v_add_nc_u64_e32 v[14:15], v[14:15], v[0:1]
	v_add_nc_u64_e32 v[12:13], v[12:13], v[0:1]
	v_xor_b32_e32 v24, 0x80, v34
	v_xor_b32_e32 v30, 0x80, v36
	s_wait_dscnt 0x1
	s_wait_xcnt 0x1
	v_add_nc_u64_e32 v[16:17], s[14:15], v[20:21]
	v_and_b32_e32 v20, 0xff, v39
	v_xor_b32_e32 v25, 0x80, v35
	s_clause 0x2
	global_store_b8 v[10:11], v24, off offset:7168
	global_store_b8 v[12:13], v25, off offset:8192
	;; [unrolled: 1-line block ×3, first 2 shown]
	s_wait_xcnt 0x0
	v_lshrrev_b32_e32 v14, s16, v20
	v_and_b32_e32 v15, 0xff, v40
	s_wait_dscnt 0x0
	v_add_nc_u64_e32 v[18:19], s[14:15], v[22:23]
	v_add_nc_u64_e32 v[10:11], v[16:17], v[0:1]
	v_and_b32_e32 v16, 0xff, v41
	v_and_b32_e32 v17, 0xff, v42
	v_dual_lshrrev_b32 v15, s16, v15 :: v_dual_bitop2_b32 v14, s3, v14 bitop3:0x40
	v_and_b32_e32 v23, 0xff, v44
	v_add_nc_u64_e32 v[12:13], v[18:19], v[0:1]
	v_and_b32_e32 v18, 0xff, v43
	v_dual_lshrrev_b32 v16, s16, v16 :: v_dual_lshrrev_b32 v17, s16, v17
	v_dual_lshlrev_b32 v14, 3, v14 :: v_dual_bitop2_b32 v19, s3, v15 bitop3:0x40
	s_delay_alu instid0(VALU_DEP_2)
	v_dual_lshrrev_b32 v18, s16, v18 :: v_dual_bitop2_b32 v16, s3, v16 bitop3:0x40
	v_and_b32_e32 v25, 0xff, v28
	ds_load_b64 v[14:15], v14
	v_dual_lshlrev_b32 v19, 3, v19 :: v_dual_bitop2_b32 v17, s3, v17 bitop3:0x40
	v_dual_lshlrev_b32 v20, 3, v16 :: v_dual_bitop2_b32 v18, s3, v18 bitop3:0x40
	v_and_b32_e32 v30, 0xff, v29
	v_xor_b32_e32 v24, 0x80, v37
	s_delay_alu instid0(VALU_DEP_4) | instskip(NEXT) | instid1(VALU_DEP_4)
	v_dual_lshlrev_b32 v21, 3, v17 :: v_dual_lshrrev_b32 v31, s16, v23
	v_lshlrev_b32_e32 v22, 3, v18
	ds_load_b64 v[16:17], v19
	ds_load_b64 v[18:19], v20
	;; [unrolled: 1-line block ×3, first 2 shown]
	v_dual_lshrrev_b32 v25, s16, v25 :: v_dual_lshrrev_b32 v30, s16, v30
	v_xor_b32_e32 v32, 0x80, v38
	global_store_b8 v[10:11], v24, off offset:10240
	ds_load_b64 v[22:23], v22
	s_wait_xcnt 0x0
	v_and_b32_e32 v10, s3, v25
	v_and_b32_e32 v31, s3, v31
	global_store_b8 v[12:13], v32, off offset:11264
	s_wait_xcnt 0x0
	v_and_b32_e32 v12, s3, v30
	v_xor_b32_e32 v30, 0x80, v39
	v_dual_lshlrev_b32 v24, 3, v10 :: v_dual_lshlrev_b32 v13, 3, v31
	s_wait_dscnt 0x4
	v_add_nc_u64_e32 v[10:11], s[14:15], v[14:15]
	v_lshlrev_b32_e32 v25, 3, v12
	v_xor_b32_e32 v31, 0x80, v40
	v_xor_b32_e32 v32, 0x80, v41
	;; [unrolled: 1-line block ×3, first 2 shown]
	s_wait_dscnt 0x3
	v_add_nc_u64_e32 v[14:15], s[14:15], v[16:17]
	ds_load_b64 v[16:17], v24
	ds_load_b64 v[12:13], v13
	;; [unrolled: 1-line block ×3, first 2 shown]
	s_wait_dscnt 0x5
	v_add_nc_u64_e32 v[18:19], s[14:15], v[18:19]
	s_wait_dscnt 0x4
	v_add_nc_u64_e32 v[20:21], s[14:15], v[20:21]
	v_add_nc_u64_e32 v[10:11], v[10:11], v[0:1]
	v_add_nc_u64_e32 v[14:15], v[14:15], v[0:1]
	s_wait_dscnt 0x3
	v_add_nc_u64_e32 v[22:23], s[14:15], v[22:23]
	v_add_nc_u64_e32 v[6:7], s[14:15], v[6:7]
	v_add_nc_u64_e32 v[8:9], s[14:15], v[8:9]
	v_add_nc_u64_e32 v[18:19], v[18:19], v[0:1]
	v_add_nc_u64_e32 v[20:21], v[20:21], v[0:1]
	s_clause 0x3
	global_store_b8 v[10:11], v30, off offset:12288
	global_store_b8 v[14:15], v31, off offset:13312
	;; [unrolled: 1-line block ×4, first 2 shown]
	v_add_nc_u64_e32 v[22:23], v[22:23], v[0:1]
	s_wait_xcnt 0x3
	v_xor_b32_e32 v30, 0x80, v43
	v_add_nc_u64_e32 v[6:7], v[6:7], v[0:1]
	s_wait_xcnt 0x1
	v_xor_b32_e32 v18, 0x80, v29
	s_wait_dscnt 0x1
	v_add_nc_u64_e32 v[10:11], s[14:15], v[12:13]
	v_add_nc_u64_e32 v[12:13], s[14:15], v[16:17]
	s_wait_dscnt 0x0
	v_add_nc_u64_e32 v[14:15], s[14:15], v[24:25]
	v_xor_b32_e32 v16, 0x80, v44
	v_xor_b32_e32 v17, 0x80, v28
	v_add_nc_u64_e32 v[8:9], v[8:9], v[0:1]
	v_xor_b32_e32 v19, 0x80, v27
	v_add_nc_u64_e32 v[10:11], v[10:11], v[0:1]
	v_add_nc_u64_e32 v[12:13], v[12:13], v[0:1]
	;; [unrolled: 1-line block ×3, first 2 shown]
	v_xor_b32_e32 v1, 0x80, v26
	s_clause 0x5
	global_store_b8 v[22:23], v30, off offset:16384
	global_store_b8 v[10:11], v16, off offset:17408
	;; [unrolled: 1-line block ×6, first 2 shown]
	s_load_b32 s0, s[0:1], 0x58
	s_wait_kmcnt 0x0
	s_add_co_i32 s0, s0, -1
	s_delay_alu instid0(SALU_CYCLE_1) | instskip(SKIP_2) | instid1(SALU_CYCLE_1)
	s_cmp_eq_u32 s19, s0
	s_cselect_b32 s0, -1, 0
	s_xor_b32 s1, vcc_lo, -1
	s_and_b32 s0, s1, s0
	s_delay_alu instid0(SALU_CYCLE_1)
	s_and_saveexec_b32 s1, s0
	s_cbranch_execz .LBB475_139
; %bb.138:
	ds_load_b64 v[6:7], v5
	v_mov_b32_e32 v5, 0
	s_delay_alu instid0(VALU_DEP_1) | instskip(SKIP_1) | instid1(VALU_DEP_1)
	v_add_nc_u64_e32 v[2:3], v[2:3], v[4:5]
	s_wait_dscnt 0x0
	v_add_nc_u64_e32 v[2:3], v[2:3], v[6:7]
	global_store_b64 v0, v[2:3], s[10:11] scale_offset
.LBB475_139:
	s_sendmsg sendmsg(MSG_DEALLOC_VGPRS)
	s_endpgm
	.section	.rodata,"a",@progbits
	.p2align	6, 0x0
	.amdhsa_kernel _ZN7rocprim17ROCPRIM_400000_NS6detail17trampoline_kernelINS0_14default_configENS1_35radix_sort_onesweep_config_selectorIaNS0_10empty_typeEEEZZNS1_29radix_sort_onesweep_iterationIS3_Lb0EPKaPaPS5_SB_mNS0_19identity_decomposerENS1_16block_id_wrapperIjLb1EEEEE10hipError_tT1_PNSt15iterator_traitsISG_E10value_typeET2_T3_PNSH_ISM_E10value_typeET4_T5_PSR_SS_PNS1_23onesweep_lookback_stateEbbT6_jjT7_P12ihipStream_tbENKUlT_T0_SG_SL_E_clISA_SA_SB_SB_EEDaSZ_S10_SG_SL_EUlSZ_E_NS1_11comp_targetILNS1_3genE0ELNS1_11target_archE4294967295ELNS1_3gpuE0ELNS1_3repE0EEENS1_47radix_sort_onesweep_sort_config_static_selectorELNS0_4arch9wavefront6targetE0EEEvSG_
		.amdhsa_group_segment_fixed_size 32904
		.amdhsa_private_segment_fixed_size 0
		.amdhsa_kernarg_size 344
		.amdhsa_user_sgpr_count 2
		.amdhsa_user_sgpr_dispatch_ptr 0
		.amdhsa_user_sgpr_queue_ptr 0
		.amdhsa_user_sgpr_kernarg_segment_ptr 1
		.amdhsa_user_sgpr_dispatch_id 0
		.amdhsa_user_sgpr_kernarg_preload_length 0
		.amdhsa_user_sgpr_kernarg_preload_offset 0
		.amdhsa_user_sgpr_private_segment_size 0
		.amdhsa_wavefront_size32 1
		.amdhsa_uses_dynamic_stack 0
		.amdhsa_enable_private_segment 0
		.amdhsa_system_sgpr_workgroup_id_x 1
		.amdhsa_system_sgpr_workgroup_id_y 0
		.amdhsa_system_sgpr_workgroup_id_z 0
		.amdhsa_system_sgpr_workgroup_info 0
		.amdhsa_system_vgpr_workitem_id 0
		.amdhsa_next_free_vgpr 79
		.amdhsa_next_free_sgpr 25
		.amdhsa_named_barrier_count 0
		.amdhsa_reserve_vcc 1
		.amdhsa_float_round_mode_32 0
		.amdhsa_float_round_mode_16_64 0
		.amdhsa_float_denorm_mode_32 3
		.amdhsa_float_denorm_mode_16_64 3
		.amdhsa_fp16_overflow 0
		.amdhsa_memory_ordered 1
		.amdhsa_forward_progress 1
		.amdhsa_inst_pref_size 117
		.amdhsa_round_robin_scheduling 0
		.amdhsa_exception_fp_ieee_invalid_op 0
		.amdhsa_exception_fp_denorm_src 0
		.amdhsa_exception_fp_ieee_div_zero 0
		.amdhsa_exception_fp_ieee_overflow 0
		.amdhsa_exception_fp_ieee_underflow 0
		.amdhsa_exception_fp_ieee_inexact 0
		.amdhsa_exception_int_div_zero 0
	.end_amdhsa_kernel
	.section	.text._ZN7rocprim17ROCPRIM_400000_NS6detail17trampoline_kernelINS0_14default_configENS1_35radix_sort_onesweep_config_selectorIaNS0_10empty_typeEEEZZNS1_29radix_sort_onesweep_iterationIS3_Lb0EPKaPaPS5_SB_mNS0_19identity_decomposerENS1_16block_id_wrapperIjLb1EEEEE10hipError_tT1_PNSt15iterator_traitsISG_E10value_typeET2_T3_PNSH_ISM_E10value_typeET4_T5_PSR_SS_PNS1_23onesweep_lookback_stateEbbT6_jjT7_P12ihipStream_tbENKUlT_T0_SG_SL_E_clISA_SA_SB_SB_EEDaSZ_S10_SG_SL_EUlSZ_E_NS1_11comp_targetILNS1_3genE0ELNS1_11target_archE4294967295ELNS1_3gpuE0ELNS1_3repE0EEENS1_47radix_sort_onesweep_sort_config_static_selectorELNS0_4arch9wavefront6targetE0EEEvSG_,"axG",@progbits,_ZN7rocprim17ROCPRIM_400000_NS6detail17trampoline_kernelINS0_14default_configENS1_35radix_sort_onesweep_config_selectorIaNS0_10empty_typeEEEZZNS1_29radix_sort_onesweep_iterationIS3_Lb0EPKaPaPS5_SB_mNS0_19identity_decomposerENS1_16block_id_wrapperIjLb1EEEEE10hipError_tT1_PNSt15iterator_traitsISG_E10value_typeET2_T3_PNSH_ISM_E10value_typeET4_T5_PSR_SS_PNS1_23onesweep_lookback_stateEbbT6_jjT7_P12ihipStream_tbENKUlT_T0_SG_SL_E_clISA_SA_SB_SB_EEDaSZ_S10_SG_SL_EUlSZ_E_NS1_11comp_targetILNS1_3genE0ELNS1_11target_archE4294967295ELNS1_3gpuE0ELNS1_3repE0EEENS1_47radix_sort_onesweep_sort_config_static_selectorELNS0_4arch9wavefront6targetE0EEEvSG_,comdat
.Lfunc_end475:
	.size	_ZN7rocprim17ROCPRIM_400000_NS6detail17trampoline_kernelINS0_14default_configENS1_35radix_sort_onesweep_config_selectorIaNS0_10empty_typeEEEZZNS1_29radix_sort_onesweep_iterationIS3_Lb0EPKaPaPS5_SB_mNS0_19identity_decomposerENS1_16block_id_wrapperIjLb1EEEEE10hipError_tT1_PNSt15iterator_traitsISG_E10value_typeET2_T3_PNSH_ISM_E10value_typeET4_T5_PSR_SS_PNS1_23onesweep_lookback_stateEbbT6_jjT7_P12ihipStream_tbENKUlT_T0_SG_SL_E_clISA_SA_SB_SB_EEDaSZ_S10_SG_SL_EUlSZ_E_NS1_11comp_targetILNS1_3genE0ELNS1_11target_archE4294967295ELNS1_3gpuE0ELNS1_3repE0EEENS1_47radix_sort_onesweep_sort_config_static_selectorELNS0_4arch9wavefront6targetE0EEEvSG_, .Lfunc_end475-_ZN7rocprim17ROCPRIM_400000_NS6detail17trampoline_kernelINS0_14default_configENS1_35radix_sort_onesweep_config_selectorIaNS0_10empty_typeEEEZZNS1_29radix_sort_onesweep_iterationIS3_Lb0EPKaPaPS5_SB_mNS0_19identity_decomposerENS1_16block_id_wrapperIjLb1EEEEE10hipError_tT1_PNSt15iterator_traitsISG_E10value_typeET2_T3_PNSH_ISM_E10value_typeET4_T5_PSR_SS_PNS1_23onesweep_lookback_stateEbbT6_jjT7_P12ihipStream_tbENKUlT_T0_SG_SL_E_clISA_SA_SB_SB_EEDaSZ_S10_SG_SL_EUlSZ_E_NS1_11comp_targetILNS1_3genE0ELNS1_11target_archE4294967295ELNS1_3gpuE0ELNS1_3repE0EEENS1_47radix_sort_onesweep_sort_config_static_selectorELNS0_4arch9wavefront6targetE0EEEvSG_
                                        ; -- End function
	.set _ZN7rocprim17ROCPRIM_400000_NS6detail17trampoline_kernelINS0_14default_configENS1_35radix_sort_onesweep_config_selectorIaNS0_10empty_typeEEEZZNS1_29radix_sort_onesweep_iterationIS3_Lb0EPKaPaPS5_SB_mNS0_19identity_decomposerENS1_16block_id_wrapperIjLb1EEEEE10hipError_tT1_PNSt15iterator_traitsISG_E10value_typeET2_T3_PNSH_ISM_E10value_typeET4_T5_PSR_SS_PNS1_23onesweep_lookback_stateEbbT6_jjT7_P12ihipStream_tbENKUlT_T0_SG_SL_E_clISA_SA_SB_SB_EEDaSZ_S10_SG_SL_EUlSZ_E_NS1_11comp_targetILNS1_3genE0ELNS1_11target_archE4294967295ELNS1_3gpuE0ELNS1_3repE0EEENS1_47radix_sort_onesweep_sort_config_static_selectorELNS0_4arch9wavefront6targetE0EEEvSG_.num_vgpr, 79
	.set _ZN7rocprim17ROCPRIM_400000_NS6detail17trampoline_kernelINS0_14default_configENS1_35radix_sort_onesweep_config_selectorIaNS0_10empty_typeEEEZZNS1_29radix_sort_onesweep_iterationIS3_Lb0EPKaPaPS5_SB_mNS0_19identity_decomposerENS1_16block_id_wrapperIjLb1EEEEE10hipError_tT1_PNSt15iterator_traitsISG_E10value_typeET2_T3_PNSH_ISM_E10value_typeET4_T5_PSR_SS_PNS1_23onesweep_lookback_stateEbbT6_jjT7_P12ihipStream_tbENKUlT_T0_SG_SL_E_clISA_SA_SB_SB_EEDaSZ_S10_SG_SL_EUlSZ_E_NS1_11comp_targetILNS1_3genE0ELNS1_11target_archE4294967295ELNS1_3gpuE0ELNS1_3repE0EEENS1_47radix_sort_onesweep_sort_config_static_selectorELNS0_4arch9wavefront6targetE0EEEvSG_.num_agpr, 0
	.set _ZN7rocprim17ROCPRIM_400000_NS6detail17trampoline_kernelINS0_14default_configENS1_35radix_sort_onesweep_config_selectorIaNS0_10empty_typeEEEZZNS1_29radix_sort_onesweep_iterationIS3_Lb0EPKaPaPS5_SB_mNS0_19identity_decomposerENS1_16block_id_wrapperIjLb1EEEEE10hipError_tT1_PNSt15iterator_traitsISG_E10value_typeET2_T3_PNSH_ISM_E10value_typeET4_T5_PSR_SS_PNS1_23onesweep_lookback_stateEbbT6_jjT7_P12ihipStream_tbENKUlT_T0_SG_SL_E_clISA_SA_SB_SB_EEDaSZ_S10_SG_SL_EUlSZ_E_NS1_11comp_targetILNS1_3genE0ELNS1_11target_archE4294967295ELNS1_3gpuE0ELNS1_3repE0EEENS1_47radix_sort_onesweep_sort_config_static_selectorELNS0_4arch9wavefront6targetE0EEEvSG_.numbered_sgpr, 25
	.set _ZN7rocprim17ROCPRIM_400000_NS6detail17trampoline_kernelINS0_14default_configENS1_35radix_sort_onesweep_config_selectorIaNS0_10empty_typeEEEZZNS1_29radix_sort_onesweep_iterationIS3_Lb0EPKaPaPS5_SB_mNS0_19identity_decomposerENS1_16block_id_wrapperIjLb1EEEEE10hipError_tT1_PNSt15iterator_traitsISG_E10value_typeET2_T3_PNSH_ISM_E10value_typeET4_T5_PSR_SS_PNS1_23onesweep_lookback_stateEbbT6_jjT7_P12ihipStream_tbENKUlT_T0_SG_SL_E_clISA_SA_SB_SB_EEDaSZ_S10_SG_SL_EUlSZ_E_NS1_11comp_targetILNS1_3genE0ELNS1_11target_archE4294967295ELNS1_3gpuE0ELNS1_3repE0EEENS1_47radix_sort_onesweep_sort_config_static_selectorELNS0_4arch9wavefront6targetE0EEEvSG_.num_named_barrier, 0
	.set _ZN7rocprim17ROCPRIM_400000_NS6detail17trampoline_kernelINS0_14default_configENS1_35radix_sort_onesweep_config_selectorIaNS0_10empty_typeEEEZZNS1_29radix_sort_onesweep_iterationIS3_Lb0EPKaPaPS5_SB_mNS0_19identity_decomposerENS1_16block_id_wrapperIjLb1EEEEE10hipError_tT1_PNSt15iterator_traitsISG_E10value_typeET2_T3_PNSH_ISM_E10value_typeET4_T5_PSR_SS_PNS1_23onesweep_lookback_stateEbbT6_jjT7_P12ihipStream_tbENKUlT_T0_SG_SL_E_clISA_SA_SB_SB_EEDaSZ_S10_SG_SL_EUlSZ_E_NS1_11comp_targetILNS1_3genE0ELNS1_11target_archE4294967295ELNS1_3gpuE0ELNS1_3repE0EEENS1_47radix_sort_onesweep_sort_config_static_selectorELNS0_4arch9wavefront6targetE0EEEvSG_.private_seg_size, 0
	.set _ZN7rocprim17ROCPRIM_400000_NS6detail17trampoline_kernelINS0_14default_configENS1_35radix_sort_onesweep_config_selectorIaNS0_10empty_typeEEEZZNS1_29radix_sort_onesweep_iterationIS3_Lb0EPKaPaPS5_SB_mNS0_19identity_decomposerENS1_16block_id_wrapperIjLb1EEEEE10hipError_tT1_PNSt15iterator_traitsISG_E10value_typeET2_T3_PNSH_ISM_E10value_typeET4_T5_PSR_SS_PNS1_23onesweep_lookback_stateEbbT6_jjT7_P12ihipStream_tbENKUlT_T0_SG_SL_E_clISA_SA_SB_SB_EEDaSZ_S10_SG_SL_EUlSZ_E_NS1_11comp_targetILNS1_3genE0ELNS1_11target_archE4294967295ELNS1_3gpuE0ELNS1_3repE0EEENS1_47radix_sort_onesweep_sort_config_static_selectorELNS0_4arch9wavefront6targetE0EEEvSG_.uses_vcc, 1
	.set _ZN7rocprim17ROCPRIM_400000_NS6detail17trampoline_kernelINS0_14default_configENS1_35radix_sort_onesweep_config_selectorIaNS0_10empty_typeEEEZZNS1_29radix_sort_onesweep_iterationIS3_Lb0EPKaPaPS5_SB_mNS0_19identity_decomposerENS1_16block_id_wrapperIjLb1EEEEE10hipError_tT1_PNSt15iterator_traitsISG_E10value_typeET2_T3_PNSH_ISM_E10value_typeET4_T5_PSR_SS_PNS1_23onesweep_lookback_stateEbbT6_jjT7_P12ihipStream_tbENKUlT_T0_SG_SL_E_clISA_SA_SB_SB_EEDaSZ_S10_SG_SL_EUlSZ_E_NS1_11comp_targetILNS1_3genE0ELNS1_11target_archE4294967295ELNS1_3gpuE0ELNS1_3repE0EEENS1_47radix_sort_onesweep_sort_config_static_selectorELNS0_4arch9wavefront6targetE0EEEvSG_.uses_flat_scratch, 0
	.set _ZN7rocprim17ROCPRIM_400000_NS6detail17trampoline_kernelINS0_14default_configENS1_35radix_sort_onesweep_config_selectorIaNS0_10empty_typeEEEZZNS1_29radix_sort_onesweep_iterationIS3_Lb0EPKaPaPS5_SB_mNS0_19identity_decomposerENS1_16block_id_wrapperIjLb1EEEEE10hipError_tT1_PNSt15iterator_traitsISG_E10value_typeET2_T3_PNSH_ISM_E10value_typeET4_T5_PSR_SS_PNS1_23onesweep_lookback_stateEbbT6_jjT7_P12ihipStream_tbENKUlT_T0_SG_SL_E_clISA_SA_SB_SB_EEDaSZ_S10_SG_SL_EUlSZ_E_NS1_11comp_targetILNS1_3genE0ELNS1_11target_archE4294967295ELNS1_3gpuE0ELNS1_3repE0EEENS1_47radix_sort_onesweep_sort_config_static_selectorELNS0_4arch9wavefront6targetE0EEEvSG_.has_dyn_sized_stack, 0
	.set _ZN7rocprim17ROCPRIM_400000_NS6detail17trampoline_kernelINS0_14default_configENS1_35radix_sort_onesweep_config_selectorIaNS0_10empty_typeEEEZZNS1_29radix_sort_onesweep_iterationIS3_Lb0EPKaPaPS5_SB_mNS0_19identity_decomposerENS1_16block_id_wrapperIjLb1EEEEE10hipError_tT1_PNSt15iterator_traitsISG_E10value_typeET2_T3_PNSH_ISM_E10value_typeET4_T5_PSR_SS_PNS1_23onesweep_lookback_stateEbbT6_jjT7_P12ihipStream_tbENKUlT_T0_SG_SL_E_clISA_SA_SB_SB_EEDaSZ_S10_SG_SL_EUlSZ_E_NS1_11comp_targetILNS1_3genE0ELNS1_11target_archE4294967295ELNS1_3gpuE0ELNS1_3repE0EEENS1_47radix_sort_onesweep_sort_config_static_selectorELNS0_4arch9wavefront6targetE0EEEvSG_.has_recursion, 0
	.set _ZN7rocprim17ROCPRIM_400000_NS6detail17trampoline_kernelINS0_14default_configENS1_35radix_sort_onesweep_config_selectorIaNS0_10empty_typeEEEZZNS1_29radix_sort_onesweep_iterationIS3_Lb0EPKaPaPS5_SB_mNS0_19identity_decomposerENS1_16block_id_wrapperIjLb1EEEEE10hipError_tT1_PNSt15iterator_traitsISG_E10value_typeET2_T3_PNSH_ISM_E10value_typeET4_T5_PSR_SS_PNS1_23onesweep_lookback_stateEbbT6_jjT7_P12ihipStream_tbENKUlT_T0_SG_SL_E_clISA_SA_SB_SB_EEDaSZ_S10_SG_SL_EUlSZ_E_NS1_11comp_targetILNS1_3genE0ELNS1_11target_archE4294967295ELNS1_3gpuE0ELNS1_3repE0EEENS1_47radix_sort_onesweep_sort_config_static_selectorELNS0_4arch9wavefront6targetE0EEEvSG_.has_indirect_call, 0
	.section	.AMDGPU.csdata,"",@progbits
; Kernel info:
; codeLenInByte = 14888
; TotalNumSgprs: 27
; NumVgprs: 79
; ScratchSize: 0
; MemoryBound: 0
; FloatMode: 240
; IeeeMode: 1
; LDSByteSize: 32904 bytes/workgroup (compile time only)
; SGPRBlocks: 0
; VGPRBlocks: 4
; NumSGPRsForWavesPerEU: 27
; NumVGPRsForWavesPerEU: 79
; NamedBarCnt: 0
; Occupancy: 12
; WaveLimiterHint : 0
; COMPUTE_PGM_RSRC2:SCRATCH_EN: 0
; COMPUTE_PGM_RSRC2:USER_SGPR: 2
; COMPUTE_PGM_RSRC2:TRAP_HANDLER: 0
; COMPUTE_PGM_RSRC2:TGID_X_EN: 1
; COMPUTE_PGM_RSRC2:TGID_Y_EN: 0
; COMPUTE_PGM_RSRC2:TGID_Z_EN: 0
; COMPUTE_PGM_RSRC2:TIDIG_COMP_CNT: 0
	.section	.text._ZN7rocprim17ROCPRIM_400000_NS6detail17trampoline_kernelINS0_14default_configENS1_35radix_sort_onesweep_config_selectorIaNS0_10empty_typeEEEZZNS1_29radix_sort_onesweep_iterationIS3_Lb0EPKaPaPS5_SB_mNS0_19identity_decomposerENS1_16block_id_wrapperIjLb1EEEEE10hipError_tT1_PNSt15iterator_traitsISG_E10value_typeET2_T3_PNSH_ISM_E10value_typeET4_T5_PSR_SS_PNS1_23onesweep_lookback_stateEbbT6_jjT7_P12ihipStream_tbENKUlT_T0_SG_SL_E_clISA_SA_SB_SB_EEDaSZ_S10_SG_SL_EUlSZ_E_NS1_11comp_targetILNS1_3genE6ELNS1_11target_archE950ELNS1_3gpuE13ELNS1_3repE0EEENS1_47radix_sort_onesweep_sort_config_static_selectorELNS0_4arch9wavefront6targetE0EEEvSG_,"axG",@progbits,_ZN7rocprim17ROCPRIM_400000_NS6detail17trampoline_kernelINS0_14default_configENS1_35radix_sort_onesweep_config_selectorIaNS0_10empty_typeEEEZZNS1_29radix_sort_onesweep_iterationIS3_Lb0EPKaPaPS5_SB_mNS0_19identity_decomposerENS1_16block_id_wrapperIjLb1EEEEE10hipError_tT1_PNSt15iterator_traitsISG_E10value_typeET2_T3_PNSH_ISM_E10value_typeET4_T5_PSR_SS_PNS1_23onesweep_lookback_stateEbbT6_jjT7_P12ihipStream_tbENKUlT_T0_SG_SL_E_clISA_SA_SB_SB_EEDaSZ_S10_SG_SL_EUlSZ_E_NS1_11comp_targetILNS1_3genE6ELNS1_11target_archE950ELNS1_3gpuE13ELNS1_3repE0EEENS1_47radix_sort_onesweep_sort_config_static_selectorELNS0_4arch9wavefront6targetE0EEEvSG_,comdat
	.protected	_ZN7rocprim17ROCPRIM_400000_NS6detail17trampoline_kernelINS0_14default_configENS1_35radix_sort_onesweep_config_selectorIaNS0_10empty_typeEEEZZNS1_29radix_sort_onesweep_iterationIS3_Lb0EPKaPaPS5_SB_mNS0_19identity_decomposerENS1_16block_id_wrapperIjLb1EEEEE10hipError_tT1_PNSt15iterator_traitsISG_E10value_typeET2_T3_PNSH_ISM_E10value_typeET4_T5_PSR_SS_PNS1_23onesweep_lookback_stateEbbT6_jjT7_P12ihipStream_tbENKUlT_T0_SG_SL_E_clISA_SA_SB_SB_EEDaSZ_S10_SG_SL_EUlSZ_E_NS1_11comp_targetILNS1_3genE6ELNS1_11target_archE950ELNS1_3gpuE13ELNS1_3repE0EEENS1_47radix_sort_onesweep_sort_config_static_selectorELNS0_4arch9wavefront6targetE0EEEvSG_ ; -- Begin function _ZN7rocprim17ROCPRIM_400000_NS6detail17trampoline_kernelINS0_14default_configENS1_35radix_sort_onesweep_config_selectorIaNS0_10empty_typeEEEZZNS1_29radix_sort_onesweep_iterationIS3_Lb0EPKaPaPS5_SB_mNS0_19identity_decomposerENS1_16block_id_wrapperIjLb1EEEEE10hipError_tT1_PNSt15iterator_traitsISG_E10value_typeET2_T3_PNSH_ISM_E10value_typeET4_T5_PSR_SS_PNS1_23onesweep_lookback_stateEbbT6_jjT7_P12ihipStream_tbENKUlT_T0_SG_SL_E_clISA_SA_SB_SB_EEDaSZ_S10_SG_SL_EUlSZ_E_NS1_11comp_targetILNS1_3genE6ELNS1_11target_archE950ELNS1_3gpuE13ELNS1_3repE0EEENS1_47radix_sort_onesweep_sort_config_static_selectorELNS0_4arch9wavefront6targetE0EEEvSG_
	.globl	_ZN7rocprim17ROCPRIM_400000_NS6detail17trampoline_kernelINS0_14default_configENS1_35radix_sort_onesweep_config_selectorIaNS0_10empty_typeEEEZZNS1_29radix_sort_onesweep_iterationIS3_Lb0EPKaPaPS5_SB_mNS0_19identity_decomposerENS1_16block_id_wrapperIjLb1EEEEE10hipError_tT1_PNSt15iterator_traitsISG_E10value_typeET2_T3_PNSH_ISM_E10value_typeET4_T5_PSR_SS_PNS1_23onesweep_lookback_stateEbbT6_jjT7_P12ihipStream_tbENKUlT_T0_SG_SL_E_clISA_SA_SB_SB_EEDaSZ_S10_SG_SL_EUlSZ_E_NS1_11comp_targetILNS1_3genE6ELNS1_11target_archE950ELNS1_3gpuE13ELNS1_3repE0EEENS1_47radix_sort_onesweep_sort_config_static_selectorELNS0_4arch9wavefront6targetE0EEEvSG_
	.p2align	8
	.type	_ZN7rocprim17ROCPRIM_400000_NS6detail17trampoline_kernelINS0_14default_configENS1_35radix_sort_onesweep_config_selectorIaNS0_10empty_typeEEEZZNS1_29radix_sort_onesweep_iterationIS3_Lb0EPKaPaPS5_SB_mNS0_19identity_decomposerENS1_16block_id_wrapperIjLb1EEEEE10hipError_tT1_PNSt15iterator_traitsISG_E10value_typeET2_T3_PNSH_ISM_E10value_typeET4_T5_PSR_SS_PNS1_23onesweep_lookback_stateEbbT6_jjT7_P12ihipStream_tbENKUlT_T0_SG_SL_E_clISA_SA_SB_SB_EEDaSZ_S10_SG_SL_EUlSZ_E_NS1_11comp_targetILNS1_3genE6ELNS1_11target_archE950ELNS1_3gpuE13ELNS1_3repE0EEENS1_47radix_sort_onesweep_sort_config_static_selectorELNS0_4arch9wavefront6targetE0EEEvSG_,@function
_ZN7rocprim17ROCPRIM_400000_NS6detail17trampoline_kernelINS0_14default_configENS1_35radix_sort_onesweep_config_selectorIaNS0_10empty_typeEEEZZNS1_29radix_sort_onesweep_iterationIS3_Lb0EPKaPaPS5_SB_mNS0_19identity_decomposerENS1_16block_id_wrapperIjLb1EEEEE10hipError_tT1_PNSt15iterator_traitsISG_E10value_typeET2_T3_PNSH_ISM_E10value_typeET4_T5_PSR_SS_PNS1_23onesweep_lookback_stateEbbT6_jjT7_P12ihipStream_tbENKUlT_T0_SG_SL_E_clISA_SA_SB_SB_EEDaSZ_S10_SG_SL_EUlSZ_E_NS1_11comp_targetILNS1_3genE6ELNS1_11target_archE950ELNS1_3gpuE13ELNS1_3repE0EEENS1_47radix_sort_onesweep_sort_config_static_selectorELNS0_4arch9wavefront6targetE0EEEvSG_: ; @_ZN7rocprim17ROCPRIM_400000_NS6detail17trampoline_kernelINS0_14default_configENS1_35radix_sort_onesweep_config_selectorIaNS0_10empty_typeEEEZZNS1_29radix_sort_onesweep_iterationIS3_Lb0EPKaPaPS5_SB_mNS0_19identity_decomposerENS1_16block_id_wrapperIjLb1EEEEE10hipError_tT1_PNSt15iterator_traitsISG_E10value_typeET2_T3_PNSH_ISM_E10value_typeET4_T5_PSR_SS_PNS1_23onesweep_lookback_stateEbbT6_jjT7_P12ihipStream_tbENKUlT_T0_SG_SL_E_clISA_SA_SB_SB_EEDaSZ_S10_SG_SL_EUlSZ_E_NS1_11comp_targetILNS1_3genE6ELNS1_11target_archE950ELNS1_3gpuE13ELNS1_3repE0EEENS1_47radix_sort_onesweep_sort_config_static_selectorELNS0_4arch9wavefront6targetE0EEEvSG_
; %bb.0:
	.section	.rodata,"a",@progbits
	.p2align	6, 0x0
	.amdhsa_kernel _ZN7rocprim17ROCPRIM_400000_NS6detail17trampoline_kernelINS0_14default_configENS1_35radix_sort_onesweep_config_selectorIaNS0_10empty_typeEEEZZNS1_29radix_sort_onesweep_iterationIS3_Lb0EPKaPaPS5_SB_mNS0_19identity_decomposerENS1_16block_id_wrapperIjLb1EEEEE10hipError_tT1_PNSt15iterator_traitsISG_E10value_typeET2_T3_PNSH_ISM_E10value_typeET4_T5_PSR_SS_PNS1_23onesweep_lookback_stateEbbT6_jjT7_P12ihipStream_tbENKUlT_T0_SG_SL_E_clISA_SA_SB_SB_EEDaSZ_S10_SG_SL_EUlSZ_E_NS1_11comp_targetILNS1_3genE6ELNS1_11target_archE950ELNS1_3gpuE13ELNS1_3repE0EEENS1_47radix_sort_onesweep_sort_config_static_selectorELNS0_4arch9wavefront6targetE0EEEvSG_
		.amdhsa_group_segment_fixed_size 0
		.amdhsa_private_segment_fixed_size 0
		.amdhsa_kernarg_size 88
		.amdhsa_user_sgpr_count 2
		.amdhsa_user_sgpr_dispatch_ptr 0
		.amdhsa_user_sgpr_queue_ptr 0
		.amdhsa_user_sgpr_kernarg_segment_ptr 1
		.amdhsa_user_sgpr_dispatch_id 0
		.amdhsa_user_sgpr_kernarg_preload_length 0
		.amdhsa_user_sgpr_kernarg_preload_offset 0
		.amdhsa_user_sgpr_private_segment_size 0
		.amdhsa_wavefront_size32 1
		.amdhsa_uses_dynamic_stack 0
		.amdhsa_enable_private_segment 0
		.amdhsa_system_sgpr_workgroup_id_x 1
		.amdhsa_system_sgpr_workgroup_id_y 0
		.amdhsa_system_sgpr_workgroup_id_z 0
		.amdhsa_system_sgpr_workgroup_info 0
		.amdhsa_system_vgpr_workitem_id 0
		.amdhsa_next_free_vgpr 1
		.amdhsa_next_free_sgpr 1
		.amdhsa_named_barrier_count 0
		.amdhsa_reserve_vcc 0
		.amdhsa_float_round_mode_32 0
		.amdhsa_float_round_mode_16_64 0
		.amdhsa_float_denorm_mode_32 3
		.amdhsa_float_denorm_mode_16_64 3
		.amdhsa_fp16_overflow 0
		.amdhsa_memory_ordered 1
		.amdhsa_forward_progress 1
		.amdhsa_inst_pref_size 0
		.amdhsa_round_robin_scheduling 0
		.amdhsa_exception_fp_ieee_invalid_op 0
		.amdhsa_exception_fp_denorm_src 0
		.amdhsa_exception_fp_ieee_div_zero 0
		.amdhsa_exception_fp_ieee_overflow 0
		.amdhsa_exception_fp_ieee_underflow 0
		.amdhsa_exception_fp_ieee_inexact 0
		.amdhsa_exception_int_div_zero 0
	.end_amdhsa_kernel
	.section	.text._ZN7rocprim17ROCPRIM_400000_NS6detail17trampoline_kernelINS0_14default_configENS1_35radix_sort_onesweep_config_selectorIaNS0_10empty_typeEEEZZNS1_29radix_sort_onesweep_iterationIS3_Lb0EPKaPaPS5_SB_mNS0_19identity_decomposerENS1_16block_id_wrapperIjLb1EEEEE10hipError_tT1_PNSt15iterator_traitsISG_E10value_typeET2_T3_PNSH_ISM_E10value_typeET4_T5_PSR_SS_PNS1_23onesweep_lookback_stateEbbT6_jjT7_P12ihipStream_tbENKUlT_T0_SG_SL_E_clISA_SA_SB_SB_EEDaSZ_S10_SG_SL_EUlSZ_E_NS1_11comp_targetILNS1_3genE6ELNS1_11target_archE950ELNS1_3gpuE13ELNS1_3repE0EEENS1_47radix_sort_onesweep_sort_config_static_selectorELNS0_4arch9wavefront6targetE0EEEvSG_,"axG",@progbits,_ZN7rocprim17ROCPRIM_400000_NS6detail17trampoline_kernelINS0_14default_configENS1_35radix_sort_onesweep_config_selectorIaNS0_10empty_typeEEEZZNS1_29radix_sort_onesweep_iterationIS3_Lb0EPKaPaPS5_SB_mNS0_19identity_decomposerENS1_16block_id_wrapperIjLb1EEEEE10hipError_tT1_PNSt15iterator_traitsISG_E10value_typeET2_T3_PNSH_ISM_E10value_typeET4_T5_PSR_SS_PNS1_23onesweep_lookback_stateEbbT6_jjT7_P12ihipStream_tbENKUlT_T0_SG_SL_E_clISA_SA_SB_SB_EEDaSZ_S10_SG_SL_EUlSZ_E_NS1_11comp_targetILNS1_3genE6ELNS1_11target_archE950ELNS1_3gpuE13ELNS1_3repE0EEENS1_47radix_sort_onesweep_sort_config_static_selectorELNS0_4arch9wavefront6targetE0EEEvSG_,comdat
.Lfunc_end476:
	.size	_ZN7rocprim17ROCPRIM_400000_NS6detail17trampoline_kernelINS0_14default_configENS1_35radix_sort_onesweep_config_selectorIaNS0_10empty_typeEEEZZNS1_29radix_sort_onesweep_iterationIS3_Lb0EPKaPaPS5_SB_mNS0_19identity_decomposerENS1_16block_id_wrapperIjLb1EEEEE10hipError_tT1_PNSt15iterator_traitsISG_E10value_typeET2_T3_PNSH_ISM_E10value_typeET4_T5_PSR_SS_PNS1_23onesweep_lookback_stateEbbT6_jjT7_P12ihipStream_tbENKUlT_T0_SG_SL_E_clISA_SA_SB_SB_EEDaSZ_S10_SG_SL_EUlSZ_E_NS1_11comp_targetILNS1_3genE6ELNS1_11target_archE950ELNS1_3gpuE13ELNS1_3repE0EEENS1_47radix_sort_onesweep_sort_config_static_selectorELNS0_4arch9wavefront6targetE0EEEvSG_, .Lfunc_end476-_ZN7rocprim17ROCPRIM_400000_NS6detail17trampoline_kernelINS0_14default_configENS1_35radix_sort_onesweep_config_selectorIaNS0_10empty_typeEEEZZNS1_29radix_sort_onesweep_iterationIS3_Lb0EPKaPaPS5_SB_mNS0_19identity_decomposerENS1_16block_id_wrapperIjLb1EEEEE10hipError_tT1_PNSt15iterator_traitsISG_E10value_typeET2_T3_PNSH_ISM_E10value_typeET4_T5_PSR_SS_PNS1_23onesweep_lookback_stateEbbT6_jjT7_P12ihipStream_tbENKUlT_T0_SG_SL_E_clISA_SA_SB_SB_EEDaSZ_S10_SG_SL_EUlSZ_E_NS1_11comp_targetILNS1_3genE6ELNS1_11target_archE950ELNS1_3gpuE13ELNS1_3repE0EEENS1_47radix_sort_onesweep_sort_config_static_selectorELNS0_4arch9wavefront6targetE0EEEvSG_
                                        ; -- End function
	.set _ZN7rocprim17ROCPRIM_400000_NS6detail17trampoline_kernelINS0_14default_configENS1_35radix_sort_onesweep_config_selectorIaNS0_10empty_typeEEEZZNS1_29radix_sort_onesweep_iterationIS3_Lb0EPKaPaPS5_SB_mNS0_19identity_decomposerENS1_16block_id_wrapperIjLb1EEEEE10hipError_tT1_PNSt15iterator_traitsISG_E10value_typeET2_T3_PNSH_ISM_E10value_typeET4_T5_PSR_SS_PNS1_23onesweep_lookback_stateEbbT6_jjT7_P12ihipStream_tbENKUlT_T0_SG_SL_E_clISA_SA_SB_SB_EEDaSZ_S10_SG_SL_EUlSZ_E_NS1_11comp_targetILNS1_3genE6ELNS1_11target_archE950ELNS1_3gpuE13ELNS1_3repE0EEENS1_47radix_sort_onesweep_sort_config_static_selectorELNS0_4arch9wavefront6targetE0EEEvSG_.num_vgpr, 0
	.set _ZN7rocprim17ROCPRIM_400000_NS6detail17trampoline_kernelINS0_14default_configENS1_35radix_sort_onesweep_config_selectorIaNS0_10empty_typeEEEZZNS1_29radix_sort_onesweep_iterationIS3_Lb0EPKaPaPS5_SB_mNS0_19identity_decomposerENS1_16block_id_wrapperIjLb1EEEEE10hipError_tT1_PNSt15iterator_traitsISG_E10value_typeET2_T3_PNSH_ISM_E10value_typeET4_T5_PSR_SS_PNS1_23onesweep_lookback_stateEbbT6_jjT7_P12ihipStream_tbENKUlT_T0_SG_SL_E_clISA_SA_SB_SB_EEDaSZ_S10_SG_SL_EUlSZ_E_NS1_11comp_targetILNS1_3genE6ELNS1_11target_archE950ELNS1_3gpuE13ELNS1_3repE0EEENS1_47radix_sort_onesweep_sort_config_static_selectorELNS0_4arch9wavefront6targetE0EEEvSG_.num_agpr, 0
	.set _ZN7rocprim17ROCPRIM_400000_NS6detail17trampoline_kernelINS0_14default_configENS1_35radix_sort_onesweep_config_selectorIaNS0_10empty_typeEEEZZNS1_29radix_sort_onesweep_iterationIS3_Lb0EPKaPaPS5_SB_mNS0_19identity_decomposerENS1_16block_id_wrapperIjLb1EEEEE10hipError_tT1_PNSt15iterator_traitsISG_E10value_typeET2_T3_PNSH_ISM_E10value_typeET4_T5_PSR_SS_PNS1_23onesweep_lookback_stateEbbT6_jjT7_P12ihipStream_tbENKUlT_T0_SG_SL_E_clISA_SA_SB_SB_EEDaSZ_S10_SG_SL_EUlSZ_E_NS1_11comp_targetILNS1_3genE6ELNS1_11target_archE950ELNS1_3gpuE13ELNS1_3repE0EEENS1_47radix_sort_onesweep_sort_config_static_selectorELNS0_4arch9wavefront6targetE0EEEvSG_.numbered_sgpr, 0
	.set _ZN7rocprim17ROCPRIM_400000_NS6detail17trampoline_kernelINS0_14default_configENS1_35radix_sort_onesweep_config_selectorIaNS0_10empty_typeEEEZZNS1_29radix_sort_onesweep_iterationIS3_Lb0EPKaPaPS5_SB_mNS0_19identity_decomposerENS1_16block_id_wrapperIjLb1EEEEE10hipError_tT1_PNSt15iterator_traitsISG_E10value_typeET2_T3_PNSH_ISM_E10value_typeET4_T5_PSR_SS_PNS1_23onesweep_lookback_stateEbbT6_jjT7_P12ihipStream_tbENKUlT_T0_SG_SL_E_clISA_SA_SB_SB_EEDaSZ_S10_SG_SL_EUlSZ_E_NS1_11comp_targetILNS1_3genE6ELNS1_11target_archE950ELNS1_3gpuE13ELNS1_3repE0EEENS1_47radix_sort_onesweep_sort_config_static_selectorELNS0_4arch9wavefront6targetE0EEEvSG_.num_named_barrier, 0
	.set _ZN7rocprim17ROCPRIM_400000_NS6detail17trampoline_kernelINS0_14default_configENS1_35radix_sort_onesweep_config_selectorIaNS0_10empty_typeEEEZZNS1_29radix_sort_onesweep_iterationIS3_Lb0EPKaPaPS5_SB_mNS0_19identity_decomposerENS1_16block_id_wrapperIjLb1EEEEE10hipError_tT1_PNSt15iterator_traitsISG_E10value_typeET2_T3_PNSH_ISM_E10value_typeET4_T5_PSR_SS_PNS1_23onesweep_lookback_stateEbbT6_jjT7_P12ihipStream_tbENKUlT_T0_SG_SL_E_clISA_SA_SB_SB_EEDaSZ_S10_SG_SL_EUlSZ_E_NS1_11comp_targetILNS1_3genE6ELNS1_11target_archE950ELNS1_3gpuE13ELNS1_3repE0EEENS1_47radix_sort_onesweep_sort_config_static_selectorELNS0_4arch9wavefront6targetE0EEEvSG_.private_seg_size, 0
	.set _ZN7rocprim17ROCPRIM_400000_NS6detail17trampoline_kernelINS0_14default_configENS1_35radix_sort_onesweep_config_selectorIaNS0_10empty_typeEEEZZNS1_29radix_sort_onesweep_iterationIS3_Lb0EPKaPaPS5_SB_mNS0_19identity_decomposerENS1_16block_id_wrapperIjLb1EEEEE10hipError_tT1_PNSt15iterator_traitsISG_E10value_typeET2_T3_PNSH_ISM_E10value_typeET4_T5_PSR_SS_PNS1_23onesweep_lookback_stateEbbT6_jjT7_P12ihipStream_tbENKUlT_T0_SG_SL_E_clISA_SA_SB_SB_EEDaSZ_S10_SG_SL_EUlSZ_E_NS1_11comp_targetILNS1_3genE6ELNS1_11target_archE950ELNS1_3gpuE13ELNS1_3repE0EEENS1_47radix_sort_onesweep_sort_config_static_selectorELNS0_4arch9wavefront6targetE0EEEvSG_.uses_vcc, 0
	.set _ZN7rocprim17ROCPRIM_400000_NS6detail17trampoline_kernelINS0_14default_configENS1_35radix_sort_onesweep_config_selectorIaNS0_10empty_typeEEEZZNS1_29radix_sort_onesweep_iterationIS3_Lb0EPKaPaPS5_SB_mNS0_19identity_decomposerENS1_16block_id_wrapperIjLb1EEEEE10hipError_tT1_PNSt15iterator_traitsISG_E10value_typeET2_T3_PNSH_ISM_E10value_typeET4_T5_PSR_SS_PNS1_23onesweep_lookback_stateEbbT6_jjT7_P12ihipStream_tbENKUlT_T0_SG_SL_E_clISA_SA_SB_SB_EEDaSZ_S10_SG_SL_EUlSZ_E_NS1_11comp_targetILNS1_3genE6ELNS1_11target_archE950ELNS1_3gpuE13ELNS1_3repE0EEENS1_47radix_sort_onesweep_sort_config_static_selectorELNS0_4arch9wavefront6targetE0EEEvSG_.uses_flat_scratch, 0
	.set _ZN7rocprim17ROCPRIM_400000_NS6detail17trampoline_kernelINS0_14default_configENS1_35radix_sort_onesweep_config_selectorIaNS0_10empty_typeEEEZZNS1_29radix_sort_onesweep_iterationIS3_Lb0EPKaPaPS5_SB_mNS0_19identity_decomposerENS1_16block_id_wrapperIjLb1EEEEE10hipError_tT1_PNSt15iterator_traitsISG_E10value_typeET2_T3_PNSH_ISM_E10value_typeET4_T5_PSR_SS_PNS1_23onesweep_lookback_stateEbbT6_jjT7_P12ihipStream_tbENKUlT_T0_SG_SL_E_clISA_SA_SB_SB_EEDaSZ_S10_SG_SL_EUlSZ_E_NS1_11comp_targetILNS1_3genE6ELNS1_11target_archE950ELNS1_3gpuE13ELNS1_3repE0EEENS1_47radix_sort_onesweep_sort_config_static_selectorELNS0_4arch9wavefront6targetE0EEEvSG_.has_dyn_sized_stack, 0
	.set _ZN7rocprim17ROCPRIM_400000_NS6detail17trampoline_kernelINS0_14default_configENS1_35radix_sort_onesweep_config_selectorIaNS0_10empty_typeEEEZZNS1_29radix_sort_onesweep_iterationIS3_Lb0EPKaPaPS5_SB_mNS0_19identity_decomposerENS1_16block_id_wrapperIjLb1EEEEE10hipError_tT1_PNSt15iterator_traitsISG_E10value_typeET2_T3_PNSH_ISM_E10value_typeET4_T5_PSR_SS_PNS1_23onesweep_lookback_stateEbbT6_jjT7_P12ihipStream_tbENKUlT_T0_SG_SL_E_clISA_SA_SB_SB_EEDaSZ_S10_SG_SL_EUlSZ_E_NS1_11comp_targetILNS1_3genE6ELNS1_11target_archE950ELNS1_3gpuE13ELNS1_3repE0EEENS1_47radix_sort_onesweep_sort_config_static_selectorELNS0_4arch9wavefront6targetE0EEEvSG_.has_recursion, 0
	.set _ZN7rocprim17ROCPRIM_400000_NS6detail17trampoline_kernelINS0_14default_configENS1_35radix_sort_onesweep_config_selectorIaNS0_10empty_typeEEEZZNS1_29radix_sort_onesweep_iterationIS3_Lb0EPKaPaPS5_SB_mNS0_19identity_decomposerENS1_16block_id_wrapperIjLb1EEEEE10hipError_tT1_PNSt15iterator_traitsISG_E10value_typeET2_T3_PNSH_ISM_E10value_typeET4_T5_PSR_SS_PNS1_23onesweep_lookback_stateEbbT6_jjT7_P12ihipStream_tbENKUlT_T0_SG_SL_E_clISA_SA_SB_SB_EEDaSZ_S10_SG_SL_EUlSZ_E_NS1_11comp_targetILNS1_3genE6ELNS1_11target_archE950ELNS1_3gpuE13ELNS1_3repE0EEENS1_47radix_sort_onesweep_sort_config_static_selectorELNS0_4arch9wavefront6targetE0EEEvSG_.has_indirect_call, 0
	.section	.AMDGPU.csdata,"",@progbits
; Kernel info:
; codeLenInByte = 0
; TotalNumSgprs: 0
; NumVgprs: 0
; ScratchSize: 0
; MemoryBound: 0
; FloatMode: 240
; IeeeMode: 1
; LDSByteSize: 0 bytes/workgroup (compile time only)
; SGPRBlocks: 0
; VGPRBlocks: 0
; NumSGPRsForWavesPerEU: 1
; NumVGPRsForWavesPerEU: 1
; NamedBarCnt: 0
; Occupancy: 16
; WaveLimiterHint : 0
; COMPUTE_PGM_RSRC2:SCRATCH_EN: 0
; COMPUTE_PGM_RSRC2:USER_SGPR: 2
; COMPUTE_PGM_RSRC2:TRAP_HANDLER: 0
; COMPUTE_PGM_RSRC2:TGID_X_EN: 1
; COMPUTE_PGM_RSRC2:TGID_Y_EN: 0
; COMPUTE_PGM_RSRC2:TGID_Z_EN: 0
; COMPUTE_PGM_RSRC2:TIDIG_COMP_CNT: 0
	.section	.text._ZN7rocprim17ROCPRIM_400000_NS6detail17trampoline_kernelINS0_14default_configENS1_35radix_sort_onesweep_config_selectorIaNS0_10empty_typeEEEZZNS1_29radix_sort_onesweep_iterationIS3_Lb0EPKaPaPS5_SB_mNS0_19identity_decomposerENS1_16block_id_wrapperIjLb1EEEEE10hipError_tT1_PNSt15iterator_traitsISG_E10value_typeET2_T3_PNSH_ISM_E10value_typeET4_T5_PSR_SS_PNS1_23onesweep_lookback_stateEbbT6_jjT7_P12ihipStream_tbENKUlT_T0_SG_SL_E_clISA_SA_SB_SB_EEDaSZ_S10_SG_SL_EUlSZ_E_NS1_11comp_targetILNS1_3genE5ELNS1_11target_archE942ELNS1_3gpuE9ELNS1_3repE0EEENS1_47radix_sort_onesweep_sort_config_static_selectorELNS0_4arch9wavefront6targetE0EEEvSG_,"axG",@progbits,_ZN7rocprim17ROCPRIM_400000_NS6detail17trampoline_kernelINS0_14default_configENS1_35radix_sort_onesweep_config_selectorIaNS0_10empty_typeEEEZZNS1_29radix_sort_onesweep_iterationIS3_Lb0EPKaPaPS5_SB_mNS0_19identity_decomposerENS1_16block_id_wrapperIjLb1EEEEE10hipError_tT1_PNSt15iterator_traitsISG_E10value_typeET2_T3_PNSH_ISM_E10value_typeET4_T5_PSR_SS_PNS1_23onesweep_lookback_stateEbbT6_jjT7_P12ihipStream_tbENKUlT_T0_SG_SL_E_clISA_SA_SB_SB_EEDaSZ_S10_SG_SL_EUlSZ_E_NS1_11comp_targetILNS1_3genE5ELNS1_11target_archE942ELNS1_3gpuE9ELNS1_3repE0EEENS1_47radix_sort_onesweep_sort_config_static_selectorELNS0_4arch9wavefront6targetE0EEEvSG_,comdat
	.protected	_ZN7rocprim17ROCPRIM_400000_NS6detail17trampoline_kernelINS0_14default_configENS1_35radix_sort_onesweep_config_selectorIaNS0_10empty_typeEEEZZNS1_29radix_sort_onesweep_iterationIS3_Lb0EPKaPaPS5_SB_mNS0_19identity_decomposerENS1_16block_id_wrapperIjLb1EEEEE10hipError_tT1_PNSt15iterator_traitsISG_E10value_typeET2_T3_PNSH_ISM_E10value_typeET4_T5_PSR_SS_PNS1_23onesweep_lookback_stateEbbT6_jjT7_P12ihipStream_tbENKUlT_T0_SG_SL_E_clISA_SA_SB_SB_EEDaSZ_S10_SG_SL_EUlSZ_E_NS1_11comp_targetILNS1_3genE5ELNS1_11target_archE942ELNS1_3gpuE9ELNS1_3repE0EEENS1_47radix_sort_onesweep_sort_config_static_selectorELNS0_4arch9wavefront6targetE0EEEvSG_ ; -- Begin function _ZN7rocprim17ROCPRIM_400000_NS6detail17trampoline_kernelINS0_14default_configENS1_35radix_sort_onesweep_config_selectorIaNS0_10empty_typeEEEZZNS1_29radix_sort_onesweep_iterationIS3_Lb0EPKaPaPS5_SB_mNS0_19identity_decomposerENS1_16block_id_wrapperIjLb1EEEEE10hipError_tT1_PNSt15iterator_traitsISG_E10value_typeET2_T3_PNSH_ISM_E10value_typeET4_T5_PSR_SS_PNS1_23onesweep_lookback_stateEbbT6_jjT7_P12ihipStream_tbENKUlT_T0_SG_SL_E_clISA_SA_SB_SB_EEDaSZ_S10_SG_SL_EUlSZ_E_NS1_11comp_targetILNS1_3genE5ELNS1_11target_archE942ELNS1_3gpuE9ELNS1_3repE0EEENS1_47radix_sort_onesweep_sort_config_static_selectorELNS0_4arch9wavefront6targetE0EEEvSG_
	.globl	_ZN7rocprim17ROCPRIM_400000_NS6detail17trampoline_kernelINS0_14default_configENS1_35radix_sort_onesweep_config_selectorIaNS0_10empty_typeEEEZZNS1_29radix_sort_onesweep_iterationIS3_Lb0EPKaPaPS5_SB_mNS0_19identity_decomposerENS1_16block_id_wrapperIjLb1EEEEE10hipError_tT1_PNSt15iterator_traitsISG_E10value_typeET2_T3_PNSH_ISM_E10value_typeET4_T5_PSR_SS_PNS1_23onesweep_lookback_stateEbbT6_jjT7_P12ihipStream_tbENKUlT_T0_SG_SL_E_clISA_SA_SB_SB_EEDaSZ_S10_SG_SL_EUlSZ_E_NS1_11comp_targetILNS1_3genE5ELNS1_11target_archE942ELNS1_3gpuE9ELNS1_3repE0EEENS1_47radix_sort_onesweep_sort_config_static_selectorELNS0_4arch9wavefront6targetE0EEEvSG_
	.p2align	8
	.type	_ZN7rocprim17ROCPRIM_400000_NS6detail17trampoline_kernelINS0_14default_configENS1_35radix_sort_onesweep_config_selectorIaNS0_10empty_typeEEEZZNS1_29radix_sort_onesweep_iterationIS3_Lb0EPKaPaPS5_SB_mNS0_19identity_decomposerENS1_16block_id_wrapperIjLb1EEEEE10hipError_tT1_PNSt15iterator_traitsISG_E10value_typeET2_T3_PNSH_ISM_E10value_typeET4_T5_PSR_SS_PNS1_23onesweep_lookback_stateEbbT6_jjT7_P12ihipStream_tbENKUlT_T0_SG_SL_E_clISA_SA_SB_SB_EEDaSZ_S10_SG_SL_EUlSZ_E_NS1_11comp_targetILNS1_3genE5ELNS1_11target_archE942ELNS1_3gpuE9ELNS1_3repE0EEENS1_47radix_sort_onesweep_sort_config_static_selectorELNS0_4arch9wavefront6targetE0EEEvSG_,@function
_ZN7rocprim17ROCPRIM_400000_NS6detail17trampoline_kernelINS0_14default_configENS1_35radix_sort_onesweep_config_selectorIaNS0_10empty_typeEEEZZNS1_29radix_sort_onesweep_iterationIS3_Lb0EPKaPaPS5_SB_mNS0_19identity_decomposerENS1_16block_id_wrapperIjLb1EEEEE10hipError_tT1_PNSt15iterator_traitsISG_E10value_typeET2_T3_PNSH_ISM_E10value_typeET4_T5_PSR_SS_PNS1_23onesweep_lookback_stateEbbT6_jjT7_P12ihipStream_tbENKUlT_T0_SG_SL_E_clISA_SA_SB_SB_EEDaSZ_S10_SG_SL_EUlSZ_E_NS1_11comp_targetILNS1_3genE5ELNS1_11target_archE942ELNS1_3gpuE9ELNS1_3repE0EEENS1_47radix_sort_onesweep_sort_config_static_selectorELNS0_4arch9wavefront6targetE0EEEvSG_: ; @_ZN7rocprim17ROCPRIM_400000_NS6detail17trampoline_kernelINS0_14default_configENS1_35radix_sort_onesweep_config_selectorIaNS0_10empty_typeEEEZZNS1_29radix_sort_onesweep_iterationIS3_Lb0EPKaPaPS5_SB_mNS0_19identity_decomposerENS1_16block_id_wrapperIjLb1EEEEE10hipError_tT1_PNSt15iterator_traitsISG_E10value_typeET2_T3_PNSH_ISM_E10value_typeET4_T5_PSR_SS_PNS1_23onesweep_lookback_stateEbbT6_jjT7_P12ihipStream_tbENKUlT_T0_SG_SL_E_clISA_SA_SB_SB_EEDaSZ_S10_SG_SL_EUlSZ_E_NS1_11comp_targetILNS1_3genE5ELNS1_11target_archE942ELNS1_3gpuE9ELNS1_3repE0EEENS1_47radix_sort_onesweep_sort_config_static_selectorELNS0_4arch9wavefront6targetE0EEEvSG_
; %bb.0:
	.section	.rodata,"a",@progbits
	.p2align	6, 0x0
	.amdhsa_kernel _ZN7rocprim17ROCPRIM_400000_NS6detail17trampoline_kernelINS0_14default_configENS1_35radix_sort_onesweep_config_selectorIaNS0_10empty_typeEEEZZNS1_29radix_sort_onesweep_iterationIS3_Lb0EPKaPaPS5_SB_mNS0_19identity_decomposerENS1_16block_id_wrapperIjLb1EEEEE10hipError_tT1_PNSt15iterator_traitsISG_E10value_typeET2_T3_PNSH_ISM_E10value_typeET4_T5_PSR_SS_PNS1_23onesweep_lookback_stateEbbT6_jjT7_P12ihipStream_tbENKUlT_T0_SG_SL_E_clISA_SA_SB_SB_EEDaSZ_S10_SG_SL_EUlSZ_E_NS1_11comp_targetILNS1_3genE5ELNS1_11target_archE942ELNS1_3gpuE9ELNS1_3repE0EEENS1_47radix_sort_onesweep_sort_config_static_selectorELNS0_4arch9wavefront6targetE0EEEvSG_
		.amdhsa_group_segment_fixed_size 0
		.amdhsa_private_segment_fixed_size 0
		.amdhsa_kernarg_size 88
		.amdhsa_user_sgpr_count 2
		.amdhsa_user_sgpr_dispatch_ptr 0
		.amdhsa_user_sgpr_queue_ptr 0
		.amdhsa_user_sgpr_kernarg_segment_ptr 1
		.amdhsa_user_sgpr_dispatch_id 0
		.amdhsa_user_sgpr_kernarg_preload_length 0
		.amdhsa_user_sgpr_kernarg_preload_offset 0
		.amdhsa_user_sgpr_private_segment_size 0
		.amdhsa_wavefront_size32 1
		.amdhsa_uses_dynamic_stack 0
		.amdhsa_enable_private_segment 0
		.amdhsa_system_sgpr_workgroup_id_x 1
		.amdhsa_system_sgpr_workgroup_id_y 0
		.amdhsa_system_sgpr_workgroup_id_z 0
		.amdhsa_system_sgpr_workgroup_info 0
		.amdhsa_system_vgpr_workitem_id 0
		.amdhsa_next_free_vgpr 1
		.amdhsa_next_free_sgpr 1
		.amdhsa_named_barrier_count 0
		.amdhsa_reserve_vcc 0
		.amdhsa_float_round_mode_32 0
		.amdhsa_float_round_mode_16_64 0
		.amdhsa_float_denorm_mode_32 3
		.amdhsa_float_denorm_mode_16_64 3
		.amdhsa_fp16_overflow 0
		.amdhsa_memory_ordered 1
		.amdhsa_forward_progress 1
		.amdhsa_inst_pref_size 0
		.amdhsa_round_robin_scheduling 0
		.amdhsa_exception_fp_ieee_invalid_op 0
		.amdhsa_exception_fp_denorm_src 0
		.amdhsa_exception_fp_ieee_div_zero 0
		.amdhsa_exception_fp_ieee_overflow 0
		.amdhsa_exception_fp_ieee_underflow 0
		.amdhsa_exception_fp_ieee_inexact 0
		.amdhsa_exception_int_div_zero 0
	.end_amdhsa_kernel
	.section	.text._ZN7rocprim17ROCPRIM_400000_NS6detail17trampoline_kernelINS0_14default_configENS1_35radix_sort_onesweep_config_selectorIaNS0_10empty_typeEEEZZNS1_29radix_sort_onesweep_iterationIS3_Lb0EPKaPaPS5_SB_mNS0_19identity_decomposerENS1_16block_id_wrapperIjLb1EEEEE10hipError_tT1_PNSt15iterator_traitsISG_E10value_typeET2_T3_PNSH_ISM_E10value_typeET4_T5_PSR_SS_PNS1_23onesweep_lookback_stateEbbT6_jjT7_P12ihipStream_tbENKUlT_T0_SG_SL_E_clISA_SA_SB_SB_EEDaSZ_S10_SG_SL_EUlSZ_E_NS1_11comp_targetILNS1_3genE5ELNS1_11target_archE942ELNS1_3gpuE9ELNS1_3repE0EEENS1_47radix_sort_onesweep_sort_config_static_selectorELNS0_4arch9wavefront6targetE0EEEvSG_,"axG",@progbits,_ZN7rocprim17ROCPRIM_400000_NS6detail17trampoline_kernelINS0_14default_configENS1_35radix_sort_onesweep_config_selectorIaNS0_10empty_typeEEEZZNS1_29radix_sort_onesweep_iterationIS3_Lb0EPKaPaPS5_SB_mNS0_19identity_decomposerENS1_16block_id_wrapperIjLb1EEEEE10hipError_tT1_PNSt15iterator_traitsISG_E10value_typeET2_T3_PNSH_ISM_E10value_typeET4_T5_PSR_SS_PNS1_23onesweep_lookback_stateEbbT6_jjT7_P12ihipStream_tbENKUlT_T0_SG_SL_E_clISA_SA_SB_SB_EEDaSZ_S10_SG_SL_EUlSZ_E_NS1_11comp_targetILNS1_3genE5ELNS1_11target_archE942ELNS1_3gpuE9ELNS1_3repE0EEENS1_47radix_sort_onesweep_sort_config_static_selectorELNS0_4arch9wavefront6targetE0EEEvSG_,comdat
.Lfunc_end477:
	.size	_ZN7rocprim17ROCPRIM_400000_NS6detail17trampoline_kernelINS0_14default_configENS1_35radix_sort_onesweep_config_selectorIaNS0_10empty_typeEEEZZNS1_29radix_sort_onesweep_iterationIS3_Lb0EPKaPaPS5_SB_mNS0_19identity_decomposerENS1_16block_id_wrapperIjLb1EEEEE10hipError_tT1_PNSt15iterator_traitsISG_E10value_typeET2_T3_PNSH_ISM_E10value_typeET4_T5_PSR_SS_PNS1_23onesweep_lookback_stateEbbT6_jjT7_P12ihipStream_tbENKUlT_T0_SG_SL_E_clISA_SA_SB_SB_EEDaSZ_S10_SG_SL_EUlSZ_E_NS1_11comp_targetILNS1_3genE5ELNS1_11target_archE942ELNS1_3gpuE9ELNS1_3repE0EEENS1_47radix_sort_onesweep_sort_config_static_selectorELNS0_4arch9wavefront6targetE0EEEvSG_, .Lfunc_end477-_ZN7rocprim17ROCPRIM_400000_NS6detail17trampoline_kernelINS0_14default_configENS1_35radix_sort_onesweep_config_selectorIaNS0_10empty_typeEEEZZNS1_29radix_sort_onesweep_iterationIS3_Lb0EPKaPaPS5_SB_mNS0_19identity_decomposerENS1_16block_id_wrapperIjLb1EEEEE10hipError_tT1_PNSt15iterator_traitsISG_E10value_typeET2_T3_PNSH_ISM_E10value_typeET4_T5_PSR_SS_PNS1_23onesweep_lookback_stateEbbT6_jjT7_P12ihipStream_tbENKUlT_T0_SG_SL_E_clISA_SA_SB_SB_EEDaSZ_S10_SG_SL_EUlSZ_E_NS1_11comp_targetILNS1_3genE5ELNS1_11target_archE942ELNS1_3gpuE9ELNS1_3repE0EEENS1_47radix_sort_onesweep_sort_config_static_selectorELNS0_4arch9wavefront6targetE0EEEvSG_
                                        ; -- End function
	.set _ZN7rocprim17ROCPRIM_400000_NS6detail17trampoline_kernelINS0_14default_configENS1_35radix_sort_onesweep_config_selectorIaNS0_10empty_typeEEEZZNS1_29radix_sort_onesweep_iterationIS3_Lb0EPKaPaPS5_SB_mNS0_19identity_decomposerENS1_16block_id_wrapperIjLb1EEEEE10hipError_tT1_PNSt15iterator_traitsISG_E10value_typeET2_T3_PNSH_ISM_E10value_typeET4_T5_PSR_SS_PNS1_23onesweep_lookback_stateEbbT6_jjT7_P12ihipStream_tbENKUlT_T0_SG_SL_E_clISA_SA_SB_SB_EEDaSZ_S10_SG_SL_EUlSZ_E_NS1_11comp_targetILNS1_3genE5ELNS1_11target_archE942ELNS1_3gpuE9ELNS1_3repE0EEENS1_47radix_sort_onesweep_sort_config_static_selectorELNS0_4arch9wavefront6targetE0EEEvSG_.num_vgpr, 0
	.set _ZN7rocprim17ROCPRIM_400000_NS6detail17trampoline_kernelINS0_14default_configENS1_35radix_sort_onesweep_config_selectorIaNS0_10empty_typeEEEZZNS1_29radix_sort_onesweep_iterationIS3_Lb0EPKaPaPS5_SB_mNS0_19identity_decomposerENS1_16block_id_wrapperIjLb1EEEEE10hipError_tT1_PNSt15iterator_traitsISG_E10value_typeET2_T3_PNSH_ISM_E10value_typeET4_T5_PSR_SS_PNS1_23onesweep_lookback_stateEbbT6_jjT7_P12ihipStream_tbENKUlT_T0_SG_SL_E_clISA_SA_SB_SB_EEDaSZ_S10_SG_SL_EUlSZ_E_NS1_11comp_targetILNS1_3genE5ELNS1_11target_archE942ELNS1_3gpuE9ELNS1_3repE0EEENS1_47radix_sort_onesweep_sort_config_static_selectorELNS0_4arch9wavefront6targetE0EEEvSG_.num_agpr, 0
	.set _ZN7rocprim17ROCPRIM_400000_NS6detail17trampoline_kernelINS0_14default_configENS1_35radix_sort_onesweep_config_selectorIaNS0_10empty_typeEEEZZNS1_29radix_sort_onesweep_iterationIS3_Lb0EPKaPaPS5_SB_mNS0_19identity_decomposerENS1_16block_id_wrapperIjLb1EEEEE10hipError_tT1_PNSt15iterator_traitsISG_E10value_typeET2_T3_PNSH_ISM_E10value_typeET4_T5_PSR_SS_PNS1_23onesweep_lookback_stateEbbT6_jjT7_P12ihipStream_tbENKUlT_T0_SG_SL_E_clISA_SA_SB_SB_EEDaSZ_S10_SG_SL_EUlSZ_E_NS1_11comp_targetILNS1_3genE5ELNS1_11target_archE942ELNS1_3gpuE9ELNS1_3repE0EEENS1_47radix_sort_onesweep_sort_config_static_selectorELNS0_4arch9wavefront6targetE0EEEvSG_.numbered_sgpr, 0
	.set _ZN7rocprim17ROCPRIM_400000_NS6detail17trampoline_kernelINS0_14default_configENS1_35radix_sort_onesweep_config_selectorIaNS0_10empty_typeEEEZZNS1_29radix_sort_onesweep_iterationIS3_Lb0EPKaPaPS5_SB_mNS0_19identity_decomposerENS1_16block_id_wrapperIjLb1EEEEE10hipError_tT1_PNSt15iterator_traitsISG_E10value_typeET2_T3_PNSH_ISM_E10value_typeET4_T5_PSR_SS_PNS1_23onesweep_lookback_stateEbbT6_jjT7_P12ihipStream_tbENKUlT_T0_SG_SL_E_clISA_SA_SB_SB_EEDaSZ_S10_SG_SL_EUlSZ_E_NS1_11comp_targetILNS1_3genE5ELNS1_11target_archE942ELNS1_3gpuE9ELNS1_3repE0EEENS1_47radix_sort_onesweep_sort_config_static_selectorELNS0_4arch9wavefront6targetE0EEEvSG_.num_named_barrier, 0
	.set _ZN7rocprim17ROCPRIM_400000_NS6detail17trampoline_kernelINS0_14default_configENS1_35radix_sort_onesweep_config_selectorIaNS0_10empty_typeEEEZZNS1_29radix_sort_onesweep_iterationIS3_Lb0EPKaPaPS5_SB_mNS0_19identity_decomposerENS1_16block_id_wrapperIjLb1EEEEE10hipError_tT1_PNSt15iterator_traitsISG_E10value_typeET2_T3_PNSH_ISM_E10value_typeET4_T5_PSR_SS_PNS1_23onesweep_lookback_stateEbbT6_jjT7_P12ihipStream_tbENKUlT_T0_SG_SL_E_clISA_SA_SB_SB_EEDaSZ_S10_SG_SL_EUlSZ_E_NS1_11comp_targetILNS1_3genE5ELNS1_11target_archE942ELNS1_3gpuE9ELNS1_3repE0EEENS1_47radix_sort_onesweep_sort_config_static_selectorELNS0_4arch9wavefront6targetE0EEEvSG_.private_seg_size, 0
	.set _ZN7rocprim17ROCPRIM_400000_NS6detail17trampoline_kernelINS0_14default_configENS1_35radix_sort_onesweep_config_selectorIaNS0_10empty_typeEEEZZNS1_29radix_sort_onesweep_iterationIS3_Lb0EPKaPaPS5_SB_mNS0_19identity_decomposerENS1_16block_id_wrapperIjLb1EEEEE10hipError_tT1_PNSt15iterator_traitsISG_E10value_typeET2_T3_PNSH_ISM_E10value_typeET4_T5_PSR_SS_PNS1_23onesweep_lookback_stateEbbT6_jjT7_P12ihipStream_tbENKUlT_T0_SG_SL_E_clISA_SA_SB_SB_EEDaSZ_S10_SG_SL_EUlSZ_E_NS1_11comp_targetILNS1_3genE5ELNS1_11target_archE942ELNS1_3gpuE9ELNS1_3repE0EEENS1_47radix_sort_onesweep_sort_config_static_selectorELNS0_4arch9wavefront6targetE0EEEvSG_.uses_vcc, 0
	.set _ZN7rocprim17ROCPRIM_400000_NS6detail17trampoline_kernelINS0_14default_configENS1_35radix_sort_onesweep_config_selectorIaNS0_10empty_typeEEEZZNS1_29radix_sort_onesweep_iterationIS3_Lb0EPKaPaPS5_SB_mNS0_19identity_decomposerENS1_16block_id_wrapperIjLb1EEEEE10hipError_tT1_PNSt15iterator_traitsISG_E10value_typeET2_T3_PNSH_ISM_E10value_typeET4_T5_PSR_SS_PNS1_23onesweep_lookback_stateEbbT6_jjT7_P12ihipStream_tbENKUlT_T0_SG_SL_E_clISA_SA_SB_SB_EEDaSZ_S10_SG_SL_EUlSZ_E_NS1_11comp_targetILNS1_3genE5ELNS1_11target_archE942ELNS1_3gpuE9ELNS1_3repE0EEENS1_47radix_sort_onesweep_sort_config_static_selectorELNS0_4arch9wavefront6targetE0EEEvSG_.uses_flat_scratch, 0
	.set _ZN7rocprim17ROCPRIM_400000_NS6detail17trampoline_kernelINS0_14default_configENS1_35radix_sort_onesweep_config_selectorIaNS0_10empty_typeEEEZZNS1_29radix_sort_onesweep_iterationIS3_Lb0EPKaPaPS5_SB_mNS0_19identity_decomposerENS1_16block_id_wrapperIjLb1EEEEE10hipError_tT1_PNSt15iterator_traitsISG_E10value_typeET2_T3_PNSH_ISM_E10value_typeET4_T5_PSR_SS_PNS1_23onesweep_lookback_stateEbbT6_jjT7_P12ihipStream_tbENKUlT_T0_SG_SL_E_clISA_SA_SB_SB_EEDaSZ_S10_SG_SL_EUlSZ_E_NS1_11comp_targetILNS1_3genE5ELNS1_11target_archE942ELNS1_3gpuE9ELNS1_3repE0EEENS1_47radix_sort_onesweep_sort_config_static_selectorELNS0_4arch9wavefront6targetE0EEEvSG_.has_dyn_sized_stack, 0
	.set _ZN7rocprim17ROCPRIM_400000_NS6detail17trampoline_kernelINS0_14default_configENS1_35radix_sort_onesweep_config_selectorIaNS0_10empty_typeEEEZZNS1_29radix_sort_onesweep_iterationIS3_Lb0EPKaPaPS5_SB_mNS0_19identity_decomposerENS1_16block_id_wrapperIjLb1EEEEE10hipError_tT1_PNSt15iterator_traitsISG_E10value_typeET2_T3_PNSH_ISM_E10value_typeET4_T5_PSR_SS_PNS1_23onesweep_lookback_stateEbbT6_jjT7_P12ihipStream_tbENKUlT_T0_SG_SL_E_clISA_SA_SB_SB_EEDaSZ_S10_SG_SL_EUlSZ_E_NS1_11comp_targetILNS1_3genE5ELNS1_11target_archE942ELNS1_3gpuE9ELNS1_3repE0EEENS1_47radix_sort_onesweep_sort_config_static_selectorELNS0_4arch9wavefront6targetE0EEEvSG_.has_recursion, 0
	.set _ZN7rocprim17ROCPRIM_400000_NS6detail17trampoline_kernelINS0_14default_configENS1_35radix_sort_onesweep_config_selectorIaNS0_10empty_typeEEEZZNS1_29radix_sort_onesweep_iterationIS3_Lb0EPKaPaPS5_SB_mNS0_19identity_decomposerENS1_16block_id_wrapperIjLb1EEEEE10hipError_tT1_PNSt15iterator_traitsISG_E10value_typeET2_T3_PNSH_ISM_E10value_typeET4_T5_PSR_SS_PNS1_23onesweep_lookback_stateEbbT6_jjT7_P12ihipStream_tbENKUlT_T0_SG_SL_E_clISA_SA_SB_SB_EEDaSZ_S10_SG_SL_EUlSZ_E_NS1_11comp_targetILNS1_3genE5ELNS1_11target_archE942ELNS1_3gpuE9ELNS1_3repE0EEENS1_47radix_sort_onesweep_sort_config_static_selectorELNS0_4arch9wavefront6targetE0EEEvSG_.has_indirect_call, 0
	.section	.AMDGPU.csdata,"",@progbits
; Kernel info:
; codeLenInByte = 0
; TotalNumSgprs: 0
; NumVgprs: 0
; ScratchSize: 0
; MemoryBound: 0
; FloatMode: 240
; IeeeMode: 1
; LDSByteSize: 0 bytes/workgroup (compile time only)
; SGPRBlocks: 0
; VGPRBlocks: 0
; NumSGPRsForWavesPerEU: 1
; NumVGPRsForWavesPerEU: 1
; NamedBarCnt: 0
; Occupancy: 16
; WaveLimiterHint : 0
; COMPUTE_PGM_RSRC2:SCRATCH_EN: 0
; COMPUTE_PGM_RSRC2:USER_SGPR: 2
; COMPUTE_PGM_RSRC2:TRAP_HANDLER: 0
; COMPUTE_PGM_RSRC2:TGID_X_EN: 1
; COMPUTE_PGM_RSRC2:TGID_Y_EN: 0
; COMPUTE_PGM_RSRC2:TGID_Z_EN: 0
; COMPUTE_PGM_RSRC2:TIDIG_COMP_CNT: 0
	.section	.text._ZN7rocprim17ROCPRIM_400000_NS6detail17trampoline_kernelINS0_14default_configENS1_35radix_sort_onesweep_config_selectorIaNS0_10empty_typeEEEZZNS1_29radix_sort_onesweep_iterationIS3_Lb0EPKaPaPS5_SB_mNS0_19identity_decomposerENS1_16block_id_wrapperIjLb1EEEEE10hipError_tT1_PNSt15iterator_traitsISG_E10value_typeET2_T3_PNSH_ISM_E10value_typeET4_T5_PSR_SS_PNS1_23onesweep_lookback_stateEbbT6_jjT7_P12ihipStream_tbENKUlT_T0_SG_SL_E_clISA_SA_SB_SB_EEDaSZ_S10_SG_SL_EUlSZ_E_NS1_11comp_targetILNS1_3genE2ELNS1_11target_archE906ELNS1_3gpuE6ELNS1_3repE0EEENS1_47radix_sort_onesweep_sort_config_static_selectorELNS0_4arch9wavefront6targetE0EEEvSG_,"axG",@progbits,_ZN7rocprim17ROCPRIM_400000_NS6detail17trampoline_kernelINS0_14default_configENS1_35radix_sort_onesweep_config_selectorIaNS0_10empty_typeEEEZZNS1_29radix_sort_onesweep_iterationIS3_Lb0EPKaPaPS5_SB_mNS0_19identity_decomposerENS1_16block_id_wrapperIjLb1EEEEE10hipError_tT1_PNSt15iterator_traitsISG_E10value_typeET2_T3_PNSH_ISM_E10value_typeET4_T5_PSR_SS_PNS1_23onesweep_lookback_stateEbbT6_jjT7_P12ihipStream_tbENKUlT_T0_SG_SL_E_clISA_SA_SB_SB_EEDaSZ_S10_SG_SL_EUlSZ_E_NS1_11comp_targetILNS1_3genE2ELNS1_11target_archE906ELNS1_3gpuE6ELNS1_3repE0EEENS1_47radix_sort_onesweep_sort_config_static_selectorELNS0_4arch9wavefront6targetE0EEEvSG_,comdat
	.protected	_ZN7rocprim17ROCPRIM_400000_NS6detail17trampoline_kernelINS0_14default_configENS1_35radix_sort_onesweep_config_selectorIaNS0_10empty_typeEEEZZNS1_29radix_sort_onesweep_iterationIS3_Lb0EPKaPaPS5_SB_mNS0_19identity_decomposerENS1_16block_id_wrapperIjLb1EEEEE10hipError_tT1_PNSt15iterator_traitsISG_E10value_typeET2_T3_PNSH_ISM_E10value_typeET4_T5_PSR_SS_PNS1_23onesweep_lookback_stateEbbT6_jjT7_P12ihipStream_tbENKUlT_T0_SG_SL_E_clISA_SA_SB_SB_EEDaSZ_S10_SG_SL_EUlSZ_E_NS1_11comp_targetILNS1_3genE2ELNS1_11target_archE906ELNS1_3gpuE6ELNS1_3repE0EEENS1_47radix_sort_onesweep_sort_config_static_selectorELNS0_4arch9wavefront6targetE0EEEvSG_ ; -- Begin function _ZN7rocprim17ROCPRIM_400000_NS6detail17trampoline_kernelINS0_14default_configENS1_35radix_sort_onesweep_config_selectorIaNS0_10empty_typeEEEZZNS1_29radix_sort_onesweep_iterationIS3_Lb0EPKaPaPS5_SB_mNS0_19identity_decomposerENS1_16block_id_wrapperIjLb1EEEEE10hipError_tT1_PNSt15iterator_traitsISG_E10value_typeET2_T3_PNSH_ISM_E10value_typeET4_T5_PSR_SS_PNS1_23onesweep_lookback_stateEbbT6_jjT7_P12ihipStream_tbENKUlT_T0_SG_SL_E_clISA_SA_SB_SB_EEDaSZ_S10_SG_SL_EUlSZ_E_NS1_11comp_targetILNS1_3genE2ELNS1_11target_archE906ELNS1_3gpuE6ELNS1_3repE0EEENS1_47radix_sort_onesweep_sort_config_static_selectorELNS0_4arch9wavefront6targetE0EEEvSG_
	.globl	_ZN7rocprim17ROCPRIM_400000_NS6detail17trampoline_kernelINS0_14default_configENS1_35radix_sort_onesweep_config_selectorIaNS0_10empty_typeEEEZZNS1_29radix_sort_onesweep_iterationIS3_Lb0EPKaPaPS5_SB_mNS0_19identity_decomposerENS1_16block_id_wrapperIjLb1EEEEE10hipError_tT1_PNSt15iterator_traitsISG_E10value_typeET2_T3_PNSH_ISM_E10value_typeET4_T5_PSR_SS_PNS1_23onesweep_lookback_stateEbbT6_jjT7_P12ihipStream_tbENKUlT_T0_SG_SL_E_clISA_SA_SB_SB_EEDaSZ_S10_SG_SL_EUlSZ_E_NS1_11comp_targetILNS1_3genE2ELNS1_11target_archE906ELNS1_3gpuE6ELNS1_3repE0EEENS1_47radix_sort_onesweep_sort_config_static_selectorELNS0_4arch9wavefront6targetE0EEEvSG_
	.p2align	8
	.type	_ZN7rocprim17ROCPRIM_400000_NS6detail17trampoline_kernelINS0_14default_configENS1_35radix_sort_onesweep_config_selectorIaNS0_10empty_typeEEEZZNS1_29radix_sort_onesweep_iterationIS3_Lb0EPKaPaPS5_SB_mNS0_19identity_decomposerENS1_16block_id_wrapperIjLb1EEEEE10hipError_tT1_PNSt15iterator_traitsISG_E10value_typeET2_T3_PNSH_ISM_E10value_typeET4_T5_PSR_SS_PNS1_23onesweep_lookback_stateEbbT6_jjT7_P12ihipStream_tbENKUlT_T0_SG_SL_E_clISA_SA_SB_SB_EEDaSZ_S10_SG_SL_EUlSZ_E_NS1_11comp_targetILNS1_3genE2ELNS1_11target_archE906ELNS1_3gpuE6ELNS1_3repE0EEENS1_47radix_sort_onesweep_sort_config_static_selectorELNS0_4arch9wavefront6targetE0EEEvSG_,@function
_ZN7rocprim17ROCPRIM_400000_NS6detail17trampoline_kernelINS0_14default_configENS1_35radix_sort_onesweep_config_selectorIaNS0_10empty_typeEEEZZNS1_29radix_sort_onesweep_iterationIS3_Lb0EPKaPaPS5_SB_mNS0_19identity_decomposerENS1_16block_id_wrapperIjLb1EEEEE10hipError_tT1_PNSt15iterator_traitsISG_E10value_typeET2_T3_PNSH_ISM_E10value_typeET4_T5_PSR_SS_PNS1_23onesweep_lookback_stateEbbT6_jjT7_P12ihipStream_tbENKUlT_T0_SG_SL_E_clISA_SA_SB_SB_EEDaSZ_S10_SG_SL_EUlSZ_E_NS1_11comp_targetILNS1_3genE2ELNS1_11target_archE906ELNS1_3gpuE6ELNS1_3repE0EEENS1_47radix_sort_onesweep_sort_config_static_selectorELNS0_4arch9wavefront6targetE0EEEvSG_: ; @_ZN7rocprim17ROCPRIM_400000_NS6detail17trampoline_kernelINS0_14default_configENS1_35radix_sort_onesweep_config_selectorIaNS0_10empty_typeEEEZZNS1_29radix_sort_onesweep_iterationIS3_Lb0EPKaPaPS5_SB_mNS0_19identity_decomposerENS1_16block_id_wrapperIjLb1EEEEE10hipError_tT1_PNSt15iterator_traitsISG_E10value_typeET2_T3_PNSH_ISM_E10value_typeET4_T5_PSR_SS_PNS1_23onesweep_lookback_stateEbbT6_jjT7_P12ihipStream_tbENKUlT_T0_SG_SL_E_clISA_SA_SB_SB_EEDaSZ_S10_SG_SL_EUlSZ_E_NS1_11comp_targetILNS1_3genE2ELNS1_11target_archE906ELNS1_3gpuE6ELNS1_3repE0EEENS1_47radix_sort_onesweep_sort_config_static_selectorELNS0_4arch9wavefront6targetE0EEEvSG_
; %bb.0:
	.section	.rodata,"a",@progbits
	.p2align	6, 0x0
	.amdhsa_kernel _ZN7rocprim17ROCPRIM_400000_NS6detail17trampoline_kernelINS0_14default_configENS1_35radix_sort_onesweep_config_selectorIaNS0_10empty_typeEEEZZNS1_29radix_sort_onesweep_iterationIS3_Lb0EPKaPaPS5_SB_mNS0_19identity_decomposerENS1_16block_id_wrapperIjLb1EEEEE10hipError_tT1_PNSt15iterator_traitsISG_E10value_typeET2_T3_PNSH_ISM_E10value_typeET4_T5_PSR_SS_PNS1_23onesweep_lookback_stateEbbT6_jjT7_P12ihipStream_tbENKUlT_T0_SG_SL_E_clISA_SA_SB_SB_EEDaSZ_S10_SG_SL_EUlSZ_E_NS1_11comp_targetILNS1_3genE2ELNS1_11target_archE906ELNS1_3gpuE6ELNS1_3repE0EEENS1_47radix_sort_onesweep_sort_config_static_selectorELNS0_4arch9wavefront6targetE0EEEvSG_
		.amdhsa_group_segment_fixed_size 0
		.amdhsa_private_segment_fixed_size 0
		.amdhsa_kernarg_size 88
		.amdhsa_user_sgpr_count 2
		.amdhsa_user_sgpr_dispatch_ptr 0
		.amdhsa_user_sgpr_queue_ptr 0
		.amdhsa_user_sgpr_kernarg_segment_ptr 1
		.amdhsa_user_sgpr_dispatch_id 0
		.amdhsa_user_sgpr_kernarg_preload_length 0
		.amdhsa_user_sgpr_kernarg_preload_offset 0
		.amdhsa_user_sgpr_private_segment_size 0
		.amdhsa_wavefront_size32 1
		.amdhsa_uses_dynamic_stack 0
		.amdhsa_enable_private_segment 0
		.amdhsa_system_sgpr_workgroup_id_x 1
		.amdhsa_system_sgpr_workgroup_id_y 0
		.amdhsa_system_sgpr_workgroup_id_z 0
		.amdhsa_system_sgpr_workgroup_info 0
		.amdhsa_system_vgpr_workitem_id 0
		.amdhsa_next_free_vgpr 1
		.amdhsa_next_free_sgpr 1
		.amdhsa_named_barrier_count 0
		.amdhsa_reserve_vcc 0
		.amdhsa_float_round_mode_32 0
		.amdhsa_float_round_mode_16_64 0
		.amdhsa_float_denorm_mode_32 3
		.amdhsa_float_denorm_mode_16_64 3
		.amdhsa_fp16_overflow 0
		.amdhsa_memory_ordered 1
		.amdhsa_forward_progress 1
		.amdhsa_inst_pref_size 0
		.amdhsa_round_robin_scheduling 0
		.amdhsa_exception_fp_ieee_invalid_op 0
		.amdhsa_exception_fp_denorm_src 0
		.amdhsa_exception_fp_ieee_div_zero 0
		.amdhsa_exception_fp_ieee_overflow 0
		.amdhsa_exception_fp_ieee_underflow 0
		.amdhsa_exception_fp_ieee_inexact 0
		.amdhsa_exception_int_div_zero 0
	.end_amdhsa_kernel
	.section	.text._ZN7rocprim17ROCPRIM_400000_NS6detail17trampoline_kernelINS0_14default_configENS1_35radix_sort_onesweep_config_selectorIaNS0_10empty_typeEEEZZNS1_29radix_sort_onesweep_iterationIS3_Lb0EPKaPaPS5_SB_mNS0_19identity_decomposerENS1_16block_id_wrapperIjLb1EEEEE10hipError_tT1_PNSt15iterator_traitsISG_E10value_typeET2_T3_PNSH_ISM_E10value_typeET4_T5_PSR_SS_PNS1_23onesweep_lookback_stateEbbT6_jjT7_P12ihipStream_tbENKUlT_T0_SG_SL_E_clISA_SA_SB_SB_EEDaSZ_S10_SG_SL_EUlSZ_E_NS1_11comp_targetILNS1_3genE2ELNS1_11target_archE906ELNS1_3gpuE6ELNS1_3repE0EEENS1_47radix_sort_onesweep_sort_config_static_selectorELNS0_4arch9wavefront6targetE0EEEvSG_,"axG",@progbits,_ZN7rocprim17ROCPRIM_400000_NS6detail17trampoline_kernelINS0_14default_configENS1_35radix_sort_onesweep_config_selectorIaNS0_10empty_typeEEEZZNS1_29radix_sort_onesweep_iterationIS3_Lb0EPKaPaPS5_SB_mNS0_19identity_decomposerENS1_16block_id_wrapperIjLb1EEEEE10hipError_tT1_PNSt15iterator_traitsISG_E10value_typeET2_T3_PNSH_ISM_E10value_typeET4_T5_PSR_SS_PNS1_23onesweep_lookback_stateEbbT6_jjT7_P12ihipStream_tbENKUlT_T0_SG_SL_E_clISA_SA_SB_SB_EEDaSZ_S10_SG_SL_EUlSZ_E_NS1_11comp_targetILNS1_3genE2ELNS1_11target_archE906ELNS1_3gpuE6ELNS1_3repE0EEENS1_47radix_sort_onesweep_sort_config_static_selectorELNS0_4arch9wavefront6targetE0EEEvSG_,comdat
.Lfunc_end478:
	.size	_ZN7rocprim17ROCPRIM_400000_NS6detail17trampoline_kernelINS0_14default_configENS1_35radix_sort_onesweep_config_selectorIaNS0_10empty_typeEEEZZNS1_29radix_sort_onesweep_iterationIS3_Lb0EPKaPaPS5_SB_mNS0_19identity_decomposerENS1_16block_id_wrapperIjLb1EEEEE10hipError_tT1_PNSt15iterator_traitsISG_E10value_typeET2_T3_PNSH_ISM_E10value_typeET4_T5_PSR_SS_PNS1_23onesweep_lookback_stateEbbT6_jjT7_P12ihipStream_tbENKUlT_T0_SG_SL_E_clISA_SA_SB_SB_EEDaSZ_S10_SG_SL_EUlSZ_E_NS1_11comp_targetILNS1_3genE2ELNS1_11target_archE906ELNS1_3gpuE6ELNS1_3repE0EEENS1_47radix_sort_onesweep_sort_config_static_selectorELNS0_4arch9wavefront6targetE0EEEvSG_, .Lfunc_end478-_ZN7rocprim17ROCPRIM_400000_NS6detail17trampoline_kernelINS0_14default_configENS1_35radix_sort_onesweep_config_selectorIaNS0_10empty_typeEEEZZNS1_29radix_sort_onesweep_iterationIS3_Lb0EPKaPaPS5_SB_mNS0_19identity_decomposerENS1_16block_id_wrapperIjLb1EEEEE10hipError_tT1_PNSt15iterator_traitsISG_E10value_typeET2_T3_PNSH_ISM_E10value_typeET4_T5_PSR_SS_PNS1_23onesweep_lookback_stateEbbT6_jjT7_P12ihipStream_tbENKUlT_T0_SG_SL_E_clISA_SA_SB_SB_EEDaSZ_S10_SG_SL_EUlSZ_E_NS1_11comp_targetILNS1_3genE2ELNS1_11target_archE906ELNS1_3gpuE6ELNS1_3repE0EEENS1_47radix_sort_onesweep_sort_config_static_selectorELNS0_4arch9wavefront6targetE0EEEvSG_
                                        ; -- End function
	.set _ZN7rocprim17ROCPRIM_400000_NS6detail17trampoline_kernelINS0_14default_configENS1_35radix_sort_onesweep_config_selectorIaNS0_10empty_typeEEEZZNS1_29radix_sort_onesweep_iterationIS3_Lb0EPKaPaPS5_SB_mNS0_19identity_decomposerENS1_16block_id_wrapperIjLb1EEEEE10hipError_tT1_PNSt15iterator_traitsISG_E10value_typeET2_T3_PNSH_ISM_E10value_typeET4_T5_PSR_SS_PNS1_23onesweep_lookback_stateEbbT6_jjT7_P12ihipStream_tbENKUlT_T0_SG_SL_E_clISA_SA_SB_SB_EEDaSZ_S10_SG_SL_EUlSZ_E_NS1_11comp_targetILNS1_3genE2ELNS1_11target_archE906ELNS1_3gpuE6ELNS1_3repE0EEENS1_47radix_sort_onesweep_sort_config_static_selectorELNS0_4arch9wavefront6targetE0EEEvSG_.num_vgpr, 0
	.set _ZN7rocprim17ROCPRIM_400000_NS6detail17trampoline_kernelINS0_14default_configENS1_35radix_sort_onesweep_config_selectorIaNS0_10empty_typeEEEZZNS1_29radix_sort_onesweep_iterationIS3_Lb0EPKaPaPS5_SB_mNS0_19identity_decomposerENS1_16block_id_wrapperIjLb1EEEEE10hipError_tT1_PNSt15iterator_traitsISG_E10value_typeET2_T3_PNSH_ISM_E10value_typeET4_T5_PSR_SS_PNS1_23onesweep_lookback_stateEbbT6_jjT7_P12ihipStream_tbENKUlT_T0_SG_SL_E_clISA_SA_SB_SB_EEDaSZ_S10_SG_SL_EUlSZ_E_NS1_11comp_targetILNS1_3genE2ELNS1_11target_archE906ELNS1_3gpuE6ELNS1_3repE0EEENS1_47radix_sort_onesweep_sort_config_static_selectorELNS0_4arch9wavefront6targetE0EEEvSG_.num_agpr, 0
	.set _ZN7rocprim17ROCPRIM_400000_NS6detail17trampoline_kernelINS0_14default_configENS1_35radix_sort_onesweep_config_selectorIaNS0_10empty_typeEEEZZNS1_29radix_sort_onesweep_iterationIS3_Lb0EPKaPaPS5_SB_mNS0_19identity_decomposerENS1_16block_id_wrapperIjLb1EEEEE10hipError_tT1_PNSt15iterator_traitsISG_E10value_typeET2_T3_PNSH_ISM_E10value_typeET4_T5_PSR_SS_PNS1_23onesweep_lookback_stateEbbT6_jjT7_P12ihipStream_tbENKUlT_T0_SG_SL_E_clISA_SA_SB_SB_EEDaSZ_S10_SG_SL_EUlSZ_E_NS1_11comp_targetILNS1_3genE2ELNS1_11target_archE906ELNS1_3gpuE6ELNS1_3repE0EEENS1_47radix_sort_onesweep_sort_config_static_selectorELNS0_4arch9wavefront6targetE0EEEvSG_.numbered_sgpr, 0
	.set _ZN7rocprim17ROCPRIM_400000_NS6detail17trampoline_kernelINS0_14default_configENS1_35radix_sort_onesweep_config_selectorIaNS0_10empty_typeEEEZZNS1_29radix_sort_onesweep_iterationIS3_Lb0EPKaPaPS5_SB_mNS0_19identity_decomposerENS1_16block_id_wrapperIjLb1EEEEE10hipError_tT1_PNSt15iterator_traitsISG_E10value_typeET2_T3_PNSH_ISM_E10value_typeET4_T5_PSR_SS_PNS1_23onesweep_lookback_stateEbbT6_jjT7_P12ihipStream_tbENKUlT_T0_SG_SL_E_clISA_SA_SB_SB_EEDaSZ_S10_SG_SL_EUlSZ_E_NS1_11comp_targetILNS1_3genE2ELNS1_11target_archE906ELNS1_3gpuE6ELNS1_3repE0EEENS1_47radix_sort_onesweep_sort_config_static_selectorELNS0_4arch9wavefront6targetE0EEEvSG_.num_named_barrier, 0
	.set _ZN7rocprim17ROCPRIM_400000_NS6detail17trampoline_kernelINS0_14default_configENS1_35radix_sort_onesweep_config_selectorIaNS0_10empty_typeEEEZZNS1_29radix_sort_onesweep_iterationIS3_Lb0EPKaPaPS5_SB_mNS0_19identity_decomposerENS1_16block_id_wrapperIjLb1EEEEE10hipError_tT1_PNSt15iterator_traitsISG_E10value_typeET2_T3_PNSH_ISM_E10value_typeET4_T5_PSR_SS_PNS1_23onesweep_lookback_stateEbbT6_jjT7_P12ihipStream_tbENKUlT_T0_SG_SL_E_clISA_SA_SB_SB_EEDaSZ_S10_SG_SL_EUlSZ_E_NS1_11comp_targetILNS1_3genE2ELNS1_11target_archE906ELNS1_3gpuE6ELNS1_3repE0EEENS1_47radix_sort_onesweep_sort_config_static_selectorELNS0_4arch9wavefront6targetE0EEEvSG_.private_seg_size, 0
	.set _ZN7rocprim17ROCPRIM_400000_NS6detail17trampoline_kernelINS0_14default_configENS1_35radix_sort_onesweep_config_selectorIaNS0_10empty_typeEEEZZNS1_29radix_sort_onesweep_iterationIS3_Lb0EPKaPaPS5_SB_mNS0_19identity_decomposerENS1_16block_id_wrapperIjLb1EEEEE10hipError_tT1_PNSt15iterator_traitsISG_E10value_typeET2_T3_PNSH_ISM_E10value_typeET4_T5_PSR_SS_PNS1_23onesweep_lookback_stateEbbT6_jjT7_P12ihipStream_tbENKUlT_T0_SG_SL_E_clISA_SA_SB_SB_EEDaSZ_S10_SG_SL_EUlSZ_E_NS1_11comp_targetILNS1_3genE2ELNS1_11target_archE906ELNS1_3gpuE6ELNS1_3repE0EEENS1_47radix_sort_onesweep_sort_config_static_selectorELNS0_4arch9wavefront6targetE0EEEvSG_.uses_vcc, 0
	.set _ZN7rocprim17ROCPRIM_400000_NS6detail17trampoline_kernelINS0_14default_configENS1_35radix_sort_onesweep_config_selectorIaNS0_10empty_typeEEEZZNS1_29radix_sort_onesweep_iterationIS3_Lb0EPKaPaPS5_SB_mNS0_19identity_decomposerENS1_16block_id_wrapperIjLb1EEEEE10hipError_tT1_PNSt15iterator_traitsISG_E10value_typeET2_T3_PNSH_ISM_E10value_typeET4_T5_PSR_SS_PNS1_23onesweep_lookback_stateEbbT6_jjT7_P12ihipStream_tbENKUlT_T0_SG_SL_E_clISA_SA_SB_SB_EEDaSZ_S10_SG_SL_EUlSZ_E_NS1_11comp_targetILNS1_3genE2ELNS1_11target_archE906ELNS1_3gpuE6ELNS1_3repE0EEENS1_47radix_sort_onesweep_sort_config_static_selectorELNS0_4arch9wavefront6targetE0EEEvSG_.uses_flat_scratch, 0
	.set _ZN7rocprim17ROCPRIM_400000_NS6detail17trampoline_kernelINS0_14default_configENS1_35radix_sort_onesweep_config_selectorIaNS0_10empty_typeEEEZZNS1_29radix_sort_onesweep_iterationIS3_Lb0EPKaPaPS5_SB_mNS0_19identity_decomposerENS1_16block_id_wrapperIjLb1EEEEE10hipError_tT1_PNSt15iterator_traitsISG_E10value_typeET2_T3_PNSH_ISM_E10value_typeET4_T5_PSR_SS_PNS1_23onesweep_lookback_stateEbbT6_jjT7_P12ihipStream_tbENKUlT_T0_SG_SL_E_clISA_SA_SB_SB_EEDaSZ_S10_SG_SL_EUlSZ_E_NS1_11comp_targetILNS1_3genE2ELNS1_11target_archE906ELNS1_3gpuE6ELNS1_3repE0EEENS1_47radix_sort_onesweep_sort_config_static_selectorELNS0_4arch9wavefront6targetE0EEEvSG_.has_dyn_sized_stack, 0
	.set _ZN7rocprim17ROCPRIM_400000_NS6detail17trampoline_kernelINS0_14default_configENS1_35radix_sort_onesweep_config_selectorIaNS0_10empty_typeEEEZZNS1_29radix_sort_onesweep_iterationIS3_Lb0EPKaPaPS5_SB_mNS0_19identity_decomposerENS1_16block_id_wrapperIjLb1EEEEE10hipError_tT1_PNSt15iterator_traitsISG_E10value_typeET2_T3_PNSH_ISM_E10value_typeET4_T5_PSR_SS_PNS1_23onesweep_lookback_stateEbbT6_jjT7_P12ihipStream_tbENKUlT_T0_SG_SL_E_clISA_SA_SB_SB_EEDaSZ_S10_SG_SL_EUlSZ_E_NS1_11comp_targetILNS1_3genE2ELNS1_11target_archE906ELNS1_3gpuE6ELNS1_3repE0EEENS1_47radix_sort_onesweep_sort_config_static_selectorELNS0_4arch9wavefront6targetE0EEEvSG_.has_recursion, 0
	.set _ZN7rocprim17ROCPRIM_400000_NS6detail17trampoline_kernelINS0_14default_configENS1_35radix_sort_onesweep_config_selectorIaNS0_10empty_typeEEEZZNS1_29radix_sort_onesweep_iterationIS3_Lb0EPKaPaPS5_SB_mNS0_19identity_decomposerENS1_16block_id_wrapperIjLb1EEEEE10hipError_tT1_PNSt15iterator_traitsISG_E10value_typeET2_T3_PNSH_ISM_E10value_typeET4_T5_PSR_SS_PNS1_23onesweep_lookback_stateEbbT6_jjT7_P12ihipStream_tbENKUlT_T0_SG_SL_E_clISA_SA_SB_SB_EEDaSZ_S10_SG_SL_EUlSZ_E_NS1_11comp_targetILNS1_3genE2ELNS1_11target_archE906ELNS1_3gpuE6ELNS1_3repE0EEENS1_47radix_sort_onesweep_sort_config_static_selectorELNS0_4arch9wavefront6targetE0EEEvSG_.has_indirect_call, 0
	.section	.AMDGPU.csdata,"",@progbits
; Kernel info:
; codeLenInByte = 0
; TotalNumSgprs: 0
; NumVgprs: 0
; ScratchSize: 0
; MemoryBound: 0
; FloatMode: 240
; IeeeMode: 1
; LDSByteSize: 0 bytes/workgroup (compile time only)
; SGPRBlocks: 0
; VGPRBlocks: 0
; NumSGPRsForWavesPerEU: 1
; NumVGPRsForWavesPerEU: 1
; NamedBarCnt: 0
; Occupancy: 16
; WaveLimiterHint : 0
; COMPUTE_PGM_RSRC2:SCRATCH_EN: 0
; COMPUTE_PGM_RSRC2:USER_SGPR: 2
; COMPUTE_PGM_RSRC2:TRAP_HANDLER: 0
; COMPUTE_PGM_RSRC2:TGID_X_EN: 1
; COMPUTE_PGM_RSRC2:TGID_Y_EN: 0
; COMPUTE_PGM_RSRC2:TGID_Z_EN: 0
; COMPUTE_PGM_RSRC2:TIDIG_COMP_CNT: 0
	.section	.text._ZN7rocprim17ROCPRIM_400000_NS6detail17trampoline_kernelINS0_14default_configENS1_35radix_sort_onesweep_config_selectorIaNS0_10empty_typeEEEZZNS1_29radix_sort_onesweep_iterationIS3_Lb0EPKaPaPS5_SB_mNS0_19identity_decomposerENS1_16block_id_wrapperIjLb1EEEEE10hipError_tT1_PNSt15iterator_traitsISG_E10value_typeET2_T3_PNSH_ISM_E10value_typeET4_T5_PSR_SS_PNS1_23onesweep_lookback_stateEbbT6_jjT7_P12ihipStream_tbENKUlT_T0_SG_SL_E_clISA_SA_SB_SB_EEDaSZ_S10_SG_SL_EUlSZ_E_NS1_11comp_targetILNS1_3genE4ELNS1_11target_archE910ELNS1_3gpuE8ELNS1_3repE0EEENS1_47radix_sort_onesweep_sort_config_static_selectorELNS0_4arch9wavefront6targetE0EEEvSG_,"axG",@progbits,_ZN7rocprim17ROCPRIM_400000_NS6detail17trampoline_kernelINS0_14default_configENS1_35radix_sort_onesweep_config_selectorIaNS0_10empty_typeEEEZZNS1_29radix_sort_onesweep_iterationIS3_Lb0EPKaPaPS5_SB_mNS0_19identity_decomposerENS1_16block_id_wrapperIjLb1EEEEE10hipError_tT1_PNSt15iterator_traitsISG_E10value_typeET2_T3_PNSH_ISM_E10value_typeET4_T5_PSR_SS_PNS1_23onesweep_lookback_stateEbbT6_jjT7_P12ihipStream_tbENKUlT_T0_SG_SL_E_clISA_SA_SB_SB_EEDaSZ_S10_SG_SL_EUlSZ_E_NS1_11comp_targetILNS1_3genE4ELNS1_11target_archE910ELNS1_3gpuE8ELNS1_3repE0EEENS1_47radix_sort_onesweep_sort_config_static_selectorELNS0_4arch9wavefront6targetE0EEEvSG_,comdat
	.protected	_ZN7rocprim17ROCPRIM_400000_NS6detail17trampoline_kernelINS0_14default_configENS1_35radix_sort_onesweep_config_selectorIaNS0_10empty_typeEEEZZNS1_29radix_sort_onesweep_iterationIS3_Lb0EPKaPaPS5_SB_mNS0_19identity_decomposerENS1_16block_id_wrapperIjLb1EEEEE10hipError_tT1_PNSt15iterator_traitsISG_E10value_typeET2_T3_PNSH_ISM_E10value_typeET4_T5_PSR_SS_PNS1_23onesweep_lookback_stateEbbT6_jjT7_P12ihipStream_tbENKUlT_T0_SG_SL_E_clISA_SA_SB_SB_EEDaSZ_S10_SG_SL_EUlSZ_E_NS1_11comp_targetILNS1_3genE4ELNS1_11target_archE910ELNS1_3gpuE8ELNS1_3repE0EEENS1_47radix_sort_onesweep_sort_config_static_selectorELNS0_4arch9wavefront6targetE0EEEvSG_ ; -- Begin function _ZN7rocprim17ROCPRIM_400000_NS6detail17trampoline_kernelINS0_14default_configENS1_35radix_sort_onesweep_config_selectorIaNS0_10empty_typeEEEZZNS1_29radix_sort_onesweep_iterationIS3_Lb0EPKaPaPS5_SB_mNS0_19identity_decomposerENS1_16block_id_wrapperIjLb1EEEEE10hipError_tT1_PNSt15iterator_traitsISG_E10value_typeET2_T3_PNSH_ISM_E10value_typeET4_T5_PSR_SS_PNS1_23onesweep_lookback_stateEbbT6_jjT7_P12ihipStream_tbENKUlT_T0_SG_SL_E_clISA_SA_SB_SB_EEDaSZ_S10_SG_SL_EUlSZ_E_NS1_11comp_targetILNS1_3genE4ELNS1_11target_archE910ELNS1_3gpuE8ELNS1_3repE0EEENS1_47radix_sort_onesweep_sort_config_static_selectorELNS0_4arch9wavefront6targetE0EEEvSG_
	.globl	_ZN7rocprim17ROCPRIM_400000_NS6detail17trampoline_kernelINS0_14default_configENS1_35radix_sort_onesweep_config_selectorIaNS0_10empty_typeEEEZZNS1_29radix_sort_onesweep_iterationIS3_Lb0EPKaPaPS5_SB_mNS0_19identity_decomposerENS1_16block_id_wrapperIjLb1EEEEE10hipError_tT1_PNSt15iterator_traitsISG_E10value_typeET2_T3_PNSH_ISM_E10value_typeET4_T5_PSR_SS_PNS1_23onesweep_lookback_stateEbbT6_jjT7_P12ihipStream_tbENKUlT_T0_SG_SL_E_clISA_SA_SB_SB_EEDaSZ_S10_SG_SL_EUlSZ_E_NS1_11comp_targetILNS1_3genE4ELNS1_11target_archE910ELNS1_3gpuE8ELNS1_3repE0EEENS1_47radix_sort_onesweep_sort_config_static_selectorELNS0_4arch9wavefront6targetE0EEEvSG_
	.p2align	8
	.type	_ZN7rocprim17ROCPRIM_400000_NS6detail17trampoline_kernelINS0_14default_configENS1_35radix_sort_onesweep_config_selectorIaNS0_10empty_typeEEEZZNS1_29radix_sort_onesweep_iterationIS3_Lb0EPKaPaPS5_SB_mNS0_19identity_decomposerENS1_16block_id_wrapperIjLb1EEEEE10hipError_tT1_PNSt15iterator_traitsISG_E10value_typeET2_T3_PNSH_ISM_E10value_typeET4_T5_PSR_SS_PNS1_23onesweep_lookback_stateEbbT6_jjT7_P12ihipStream_tbENKUlT_T0_SG_SL_E_clISA_SA_SB_SB_EEDaSZ_S10_SG_SL_EUlSZ_E_NS1_11comp_targetILNS1_3genE4ELNS1_11target_archE910ELNS1_3gpuE8ELNS1_3repE0EEENS1_47radix_sort_onesweep_sort_config_static_selectorELNS0_4arch9wavefront6targetE0EEEvSG_,@function
_ZN7rocprim17ROCPRIM_400000_NS6detail17trampoline_kernelINS0_14default_configENS1_35radix_sort_onesweep_config_selectorIaNS0_10empty_typeEEEZZNS1_29radix_sort_onesweep_iterationIS3_Lb0EPKaPaPS5_SB_mNS0_19identity_decomposerENS1_16block_id_wrapperIjLb1EEEEE10hipError_tT1_PNSt15iterator_traitsISG_E10value_typeET2_T3_PNSH_ISM_E10value_typeET4_T5_PSR_SS_PNS1_23onesweep_lookback_stateEbbT6_jjT7_P12ihipStream_tbENKUlT_T0_SG_SL_E_clISA_SA_SB_SB_EEDaSZ_S10_SG_SL_EUlSZ_E_NS1_11comp_targetILNS1_3genE4ELNS1_11target_archE910ELNS1_3gpuE8ELNS1_3repE0EEENS1_47radix_sort_onesweep_sort_config_static_selectorELNS0_4arch9wavefront6targetE0EEEvSG_: ; @_ZN7rocprim17ROCPRIM_400000_NS6detail17trampoline_kernelINS0_14default_configENS1_35radix_sort_onesweep_config_selectorIaNS0_10empty_typeEEEZZNS1_29radix_sort_onesweep_iterationIS3_Lb0EPKaPaPS5_SB_mNS0_19identity_decomposerENS1_16block_id_wrapperIjLb1EEEEE10hipError_tT1_PNSt15iterator_traitsISG_E10value_typeET2_T3_PNSH_ISM_E10value_typeET4_T5_PSR_SS_PNS1_23onesweep_lookback_stateEbbT6_jjT7_P12ihipStream_tbENKUlT_T0_SG_SL_E_clISA_SA_SB_SB_EEDaSZ_S10_SG_SL_EUlSZ_E_NS1_11comp_targetILNS1_3genE4ELNS1_11target_archE910ELNS1_3gpuE8ELNS1_3repE0EEENS1_47radix_sort_onesweep_sort_config_static_selectorELNS0_4arch9wavefront6targetE0EEEvSG_
; %bb.0:
	.section	.rodata,"a",@progbits
	.p2align	6, 0x0
	.amdhsa_kernel _ZN7rocprim17ROCPRIM_400000_NS6detail17trampoline_kernelINS0_14default_configENS1_35radix_sort_onesweep_config_selectorIaNS0_10empty_typeEEEZZNS1_29radix_sort_onesweep_iterationIS3_Lb0EPKaPaPS5_SB_mNS0_19identity_decomposerENS1_16block_id_wrapperIjLb1EEEEE10hipError_tT1_PNSt15iterator_traitsISG_E10value_typeET2_T3_PNSH_ISM_E10value_typeET4_T5_PSR_SS_PNS1_23onesweep_lookback_stateEbbT6_jjT7_P12ihipStream_tbENKUlT_T0_SG_SL_E_clISA_SA_SB_SB_EEDaSZ_S10_SG_SL_EUlSZ_E_NS1_11comp_targetILNS1_3genE4ELNS1_11target_archE910ELNS1_3gpuE8ELNS1_3repE0EEENS1_47radix_sort_onesweep_sort_config_static_selectorELNS0_4arch9wavefront6targetE0EEEvSG_
		.amdhsa_group_segment_fixed_size 0
		.amdhsa_private_segment_fixed_size 0
		.amdhsa_kernarg_size 88
		.amdhsa_user_sgpr_count 2
		.amdhsa_user_sgpr_dispatch_ptr 0
		.amdhsa_user_sgpr_queue_ptr 0
		.amdhsa_user_sgpr_kernarg_segment_ptr 1
		.amdhsa_user_sgpr_dispatch_id 0
		.amdhsa_user_sgpr_kernarg_preload_length 0
		.amdhsa_user_sgpr_kernarg_preload_offset 0
		.amdhsa_user_sgpr_private_segment_size 0
		.amdhsa_wavefront_size32 1
		.amdhsa_uses_dynamic_stack 0
		.amdhsa_enable_private_segment 0
		.amdhsa_system_sgpr_workgroup_id_x 1
		.amdhsa_system_sgpr_workgroup_id_y 0
		.amdhsa_system_sgpr_workgroup_id_z 0
		.amdhsa_system_sgpr_workgroup_info 0
		.amdhsa_system_vgpr_workitem_id 0
		.amdhsa_next_free_vgpr 1
		.amdhsa_next_free_sgpr 1
		.amdhsa_named_barrier_count 0
		.amdhsa_reserve_vcc 0
		.amdhsa_float_round_mode_32 0
		.amdhsa_float_round_mode_16_64 0
		.amdhsa_float_denorm_mode_32 3
		.amdhsa_float_denorm_mode_16_64 3
		.amdhsa_fp16_overflow 0
		.amdhsa_memory_ordered 1
		.amdhsa_forward_progress 1
		.amdhsa_inst_pref_size 0
		.amdhsa_round_robin_scheduling 0
		.amdhsa_exception_fp_ieee_invalid_op 0
		.amdhsa_exception_fp_denorm_src 0
		.amdhsa_exception_fp_ieee_div_zero 0
		.amdhsa_exception_fp_ieee_overflow 0
		.amdhsa_exception_fp_ieee_underflow 0
		.amdhsa_exception_fp_ieee_inexact 0
		.amdhsa_exception_int_div_zero 0
	.end_amdhsa_kernel
	.section	.text._ZN7rocprim17ROCPRIM_400000_NS6detail17trampoline_kernelINS0_14default_configENS1_35radix_sort_onesweep_config_selectorIaNS0_10empty_typeEEEZZNS1_29radix_sort_onesweep_iterationIS3_Lb0EPKaPaPS5_SB_mNS0_19identity_decomposerENS1_16block_id_wrapperIjLb1EEEEE10hipError_tT1_PNSt15iterator_traitsISG_E10value_typeET2_T3_PNSH_ISM_E10value_typeET4_T5_PSR_SS_PNS1_23onesweep_lookback_stateEbbT6_jjT7_P12ihipStream_tbENKUlT_T0_SG_SL_E_clISA_SA_SB_SB_EEDaSZ_S10_SG_SL_EUlSZ_E_NS1_11comp_targetILNS1_3genE4ELNS1_11target_archE910ELNS1_3gpuE8ELNS1_3repE0EEENS1_47radix_sort_onesweep_sort_config_static_selectorELNS0_4arch9wavefront6targetE0EEEvSG_,"axG",@progbits,_ZN7rocprim17ROCPRIM_400000_NS6detail17trampoline_kernelINS0_14default_configENS1_35radix_sort_onesweep_config_selectorIaNS0_10empty_typeEEEZZNS1_29radix_sort_onesweep_iterationIS3_Lb0EPKaPaPS5_SB_mNS0_19identity_decomposerENS1_16block_id_wrapperIjLb1EEEEE10hipError_tT1_PNSt15iterator_traitsISG_E10value_typeET2_T3_PNSH_ISM_E10value_typeET4_T5_PSR_SS_PNS1_23onesweep_lookback_stateEbbT6_jjT7_P12ihipStream_tbENKUlT_T0_SG_SL_E_clISA_SA_SB_SB_EEDaSZ_S10_SG_SL_EUlSZ_E_NS1_11comp_targetILNS1_3genE4ELNS1_11target_archE910ELNS1_3gpuE8ELNS1_3repE0EEENS1_47radix_sort_onesweep_sort_config_static_selectorELNS0_4arch9wavefront6targetE0EEEvSG_,comdat
.Lfunc_end479:
	.size	_ZN7rocprim17ROCPRIM_400000_NS6detail17trampoline_kernelINS0_14default_configENS1_35radix_sort_onesweep_config_selectorIaNS0_10empty_typeEEEZZNS1_29radix_sort_onesweep_iterationIS3_Lb0EPKaPaPS5_SB_mNS0_19identity_decomposerENS1_16block_id_wrapperIjLb1EEEEE10hipError_tT1_PNSt15iterator_traitsISG_E10value_typeET2_T3_PNSH_ISM_E10value_typeET4_T5_PSR_SS_PNS1_23onesweep_lookback_stateEbbT6_jjT7_P12ihipStream_tbENKUlT_T0_SG_SL_E_clISA_SA_SB_SB_EEDaSZ_S10_SG_SL_EUlSZ_E_NS1_11comp_targetILNS1_3genE4ELNS1_11target_archE910ELNS1_3gpuE8ELNS1_3repE0EEENS1_47radix_sort_onesweep_sort_config_static_selectorELNS0_4arch9wavefront6targetE0EEEvSG_, .Lfunc_end479-_ZN7rocprim17ROCPRIM_400000_NS6detail17trampoline_kernelINS0_14default_configENS1_35radix_sort_onesweep_config_selectorIaNS0_10empty_typeEEEZZNS1_29radix_sort_onesweep_iterationIS3_Lb0EPKaPaPS5_SB_mNS0_19identity_decomposerENS1_16block_id_wrapperIjLb1EEEEE10hipError_tT1_PNSt15iterator_traitsISG_E10value_typeET2_T3_PNSH_ISM_E10value_typeET4_T5_PSR_SS_PNS1_23onesweep_lookback_stateEbbT6_jjT7_P12ihipStream_tbENKUlT_T0_SG_SL_E_clISA_SA_SB_SB_EEDaSZ_S10_SG_SL_EUlSZ_E_NS1_11comp_targetILNS1_3genE4ELNS1_11target_archE910ELNS1_3gpuE8ELNS1_3repE0EEENS1_47radix_sort_onesweep_sort_config_static_selectorELNS0_4arch9wavefront6targetE0EEEvSG_
                                        ; -- End function
	.set _ZN7rocprim17ROCPRIM_400000_NS6detail17trampoline_kernelINS0_14default_configENS1_35radix_sort_onesweep_config_selectorIaNS0_10empty_typeEEEZZNS1_29radix_sort_onesweep_iterationIS3_Lb0EPKaPaPS5_SB_mNS0_19identity_decomposerENS1_16block_id_wrapperIjLb1EEEEE10hipError_tT1_PNSt15iterator_traitsISG_E10value_typeET2_T3_PNSH_ISM_E10value_typeET4_T5_PSR_SS_PNS1_23onesweep_lookback_stateEbbT6_jjT7_P12ihipStream_tbENKUlT_T0_SG_SL_E_clISA_SA_SB_SB_EEDaSZ_S10_SG_SL_EUlSZ_E_NS1_11comp_targetILNS1_3genE4ELNS1_11target_archE910ELNS1_3gpuE8ELNS1_3repE0EEENS1_47radix_sort_onesweep_sort_config_static_selectorELNS0_4arch9wavefront6targetE0EEEvSG_.num_vgpr, 0
	.set _ZN7rocprim17ROCPRIM_400000_NS6detail17trampoline_kernelINS0_14default_configENS1_35radix_sort_onesweep_config_selectorIaNS0_10empty_typeEEEZZNS1_29radix_sort_onesweep_iterationIS3_Lb0EPKaPaPS5_SB_mNS0_19identity_decomposerENS1_16block_id_wrapperIjLb1EEEEE10hipError_tT1_PNSt15iterator_traitsISG_E10value_typeET2_T3_PNSH_ISM_E10value_typeET4_T5_PSR_SS_PNS1_23onesweep_lookback_stateEbbT6_jjT7_P12ihipStream_tbENKUlT_T0_SG_SL_E_clISA_SA_SB_SB_EEDaSZ_S10_SG_SL_EUlSZ_E_NS1_11comp_targetILNS1_3genE4ELNS1_11target_archE910ELNS1_3gpuE8ELNS1_3repE0EEENS1_47radix_sort_onesweep_sort_config_static_selectorELNS0_4arch9wavefront6targetE0EEEvSG_.num_agpr, 0
	.set _ZN7rocprim17ROCPRIM_400000_NS6detail17trampoline_kernelINS0_14default_configENS1_35radix_sort_onesweep_config_selectorIaNS0_10empty_typeEEEZZNS1_29radix_sort_onesweep_iterationIS3_Lb0EPKaPaPS5_SB_mNS0_19identity_decomposerENS1_16block_id_wrapperIjLb1EEEEE10hipError_tT1_PNSt15iterator_traitsISG_E10value_typeET2_T3_PNSH_ISM_E10value_typeET4_T5_PSR_SS_PNS1_23onesweep_lookback_stateEbbT6_jjT7_P12ihipStream_tbENKUlT_T0_SG_SL_E_clISA_SA_SB_SB_EEDaSZ_S10_SG_SL_EUlSZ_E_NS1_11comp_targetILNS1_3genE4ELNS1_11target_archE910ELNS1_3gpuE8ELNS1_3repE0EEENS1_47radix_sort_onesweep_sort_config_static_selectorELNS0_4arch9wavefront6targetE0EEEvSG_.numbered_sgpr, 0
	.set _ZN7rocprim17ROCPRIM_400000_NS6detail17trampoline_kernelINS0_14default_configENS1_35radix_sort_onesweep_config_selectorIaNS0_10empty_typeEEEZZNS1_29radix_sort_onesweep_iterationIS3_Lb0EPKaPaPS5_SB_mNS0_19identity_decomposerENS1_16block_id_wrapperIjLb1EEEEE10hipError_tT1_PNSt15iterator_traitsISG_E10value_typeET2_T3_PNSH_ISM_E10value_typeET4_T5_PSR_SS_PNS1_23onesweep_lookback_stateEbbT6_jjT7_P12ihipStream_tbENKUlT_T0_SG_SL_E_clISA_SA_SB_SB_EEDaSZ_S10_SG_SL_EUlSZ_E_NS1_11comp_targetILNS1_3genE4ELNS1_11target_archE910ELNS1_3gpuE8ELNS1_3repE0EEENS1_47radix_sort_onesweep_sort_config_static_selectorELNS0_4arch9wavefront6targetE0EEEvSG_.num_named_barrier, 0
	.set _ZN7rocprim17ROCPRIM_400000_NS6detail17trampoline_kernelINS0_14default_configENS1_35radix_sort_onesweep_config_selectorIaNS0_10empty_typeEEEZZNS1_29radix_sort_onesweep_iterationIS3_Lb0EPKaPaPS5_SB_mNS0_19identity_decomposerENS1_16block_id_wrapperIjLb1EEEEE10hipError_tT1_PNSt15iterator_traitsISG_E10value_typeET2_T3_PNSH_ISM_E10value_typeET4_T5_PSR_SS_PNS1_23onesweep_lookback_stateEbbT6_jjT7_P12ihipStream_tbENKUlT_T0_SG_SL_E_clISA_SA_SB_SB_EEDaSZ_S10_SG_SL_EUlSZ_E_NS1_11comp_targetILNS1_3genE4ELNS1_11target_archE910ELNS1_3gpuE8ELNS1_3repE0EEENS1_47radix_sort_onesweep_sort_config_static_selectorELNS0_4arch9wavefront6targetE0EEEvSG_.private_seg_size, 0
	.set _ZN7rocprim17ROCPRIM_400000_NS6detail17trampoline_kernelINS0_14default_configENS1_35radix_sort_onesweep_config_selectorIaNS0_10empty_typeEEEZZNS1_29radix_sort_onesweep_iterationIS3_Lb0EPKaPaPS5_SB_mNS0_19identity_decomposerENS1_16block_id_wrapperIjLb1EEEEE10hipError_tT1_PNSt15iterator_traitsISG_E10value_typeET2_T3_PNSH_ISM_E10value_typeET4_T5_PSR_SS_PNS1_23onesweep_lookback_stateEbbT6_jjT7_P12ihipStream_tbENKUlT_T0_SG_SL_E_clISA_SA_SB_SB_EEDaSZ_S10_SG_SL_EUlSZ_E_NS1_11comp_targetILNS1_3genE4ELNS1_11target_archE910ELNS1_3gpuE8ELNS1_3repE0EEENS1_47radix_sort_onesweep_sort_config_static_selectorELNS0_4arch9wavefront6targetE0EEEvSG_.uses_vcc, 0
	.set _ZN7rocprim17ROCPRIM_400000_NS6detail17trampoline_kernelINS0_14default_configENS1_35radix_sort_onesweep_config_selectorIaNS0_10empty_typeEEEZZNS1_29radix_sort_onesweep_iterationIS3_Lb0EPKaPaPS5_SB_mNS0_19identity_decomposerENS1_16block_id_wrapperIjLb1EEEEE10hipError_tT1_PNSt15iterator_traitsISG_E10value_typeET2_T3_PNSH_ISM_E10value_typeET4_T5_PSR_SS_PNS1_23onesweep_lookback_stateEbbT6_jjT7_P12ihipStream_tbENKUlT_T0_SG_SL_E_clISA_SA_SB_SB_EEDaSZ_S10_SG_SL_EUlSZ_E_NS1_11comp_targetILNS1_3genE4ELNS1_11target_archE910ELNS1_3gpuE8ELNS1_3repE0EEENS1_47radix_sort_onesweep_sort_config_static_selectorELNS0_4arch9wavefront6targetE0EEEvSG_.uses_flat_scratch, 0
	.set _ZN7rocprim17ROCPRIM_400000_NS6detail17trampoline_kernelINS0_14default_configENS1_35radix_sort_onesweep_config_selectorIaNS0_10empty_typeEEEZZNS1_29radix_sort_onesweep_iterationIS3_Lb0EPKaPaPS5_SB_mNS0_19identity_decomposerENS1_16block_id_wrapperIjLb1EEEEE10hipError_tT1_PNSt15iterator_traitsISG_E10value_typeET2_T3_PNSH_ISM_E10value_typeET4_T5_PSR_SS_PNS1_23onesweep_lookback_stateEbbT6_jjT7_P12ihipStream_tbENKUlT_T0_SG_SL_E_clISA_SA_SB_SB_EEDaSZ_S10_SG_SL_EUlSZ_E_NS1_11comp_targetILNS1_3genE4ELNS1_11target_archE910ELNS1_3gpuE8ELNS1_3repE0EEENS1_47radix_sort_onesweep_sort_config_static_selectorELNS0_4arch9wavefront6targetE0EEEvSG_.has_dyn_sized_stack, 0
	.set _ZN7rocprim17ROCPRIM_400000_NS6detail17trampoline_kernelINS0_14default_configENS1_35radix_sort_onesweep_config_selectorIaNS0_10empty_typeEEEZZNS1_29radix_sort_onesweep_iterationIS3_Lb0EPKaPaPS5_SB_mNS0_19identity_decomposerENS1_16block_id_wrapperIjLb1EEEEE10hipError_tT1_PNSt15iterator_traitsISG_E10value_typeET2_T3_PNSH_ISM_E10value_typeET4_T5_PSR_SS_PNS1_23onesweep_lookback_stateEbbT6_jjT7_P12ihipStream_tbENKUlT_T0_SG_SL_E_clISA_SA_SB_SB_EEDaSZ_S10_SG_SL_EUlSZ_E_NS1_11comp_targetILNS1_3genE4ELNS1_11target_archE910ELNS1_3gpuE8ELNS1_3repE0EEENS1_47radix_sort_onesweep_sort_config_static_selectorELNS0_4arch9wavefront6targetE0EEEvSG_.has_recursion, 0
	.set _ZN7rocprim17ROCPRIM_400000_NS6detail17trampoline_kernelINS0_14default_configENS1_35radix_sort_onesweep_config_selectorIaNS0_10empty_typeEEEZZNS1_29radix_sort_onesweep_iterationIS3_Lb0EPKaPaPS5_SB_mNS0_19identity_decomposerENS1_16block_id_wrapperIjLb1EEEEE10hipError_tT1_PNSt15iterator_traitsISG_E10value_typeET2_T3_PNSH_ISM_E10value_typeET4_T5_PSR_SS_PNS1_23onesweep_lookback_stateEbbT6_jjT7_P12ihipStream_tbENKUlT_T0_SG_SL_E_clISA_SA_SB_SB_EEDaSZ_S10_SG_SL_EUlSZ_E_NS1_11comp_targetILNS1_3genE4ELNS1_11target_archE910ELNS1_3gpuE8ELNS1_3repE0EEENS1_47radix_sort_onesweep_sort_config_static_selectorELNS0_4arch9wavefront6targetE0EEEvSG_.has_indirect_call, 0
	.section	.AMDGPU.csdata,"",@progbits
; Kernel info:
; codeLenInByte = 0
; TotalNumSgprs: 0
; NumVgprs: 0
; ScratchSize: 0
; MemoryBound: 0
; FloatMode: 240
; IeeeMode: 1
; LDSByteSize: 0 bytes/workgroup (compile time only)
; SGPRBlocks: 0
; VGPRBlocks: 0
; NumSGPRsForWavesPerEU: 1
; NumVGPRsForWavesPerEU: 1
; NamedBarCnt: 0
; Occupancy: 16
; WaveLimiterHint : 0
; COMPUTE_PGM_RSRC2:SCRATCH_EN: 0
; COMPUTE_PGM_RSRC2:USER_SGPR: 2
; COMPUTE_PGM_RSRC2:TRAP_HANDLER: 0
; COMPUTE_PGM_RSRC2:TGID_X_EN: 1
; COMPUTE_PGM_RSRC2:TGID_Y_EN: 0
; COMPUTE_PGM_RSRC2:TGID_Z_EN: 0
; COMPUTE_PGM_RSRC2:TIDIG_COMP_CNT: 0
	.section	.text._ZN7rocprim17ROCPRIM_400000_NS6detail17trampoline_kernelINS0_14default_configENS1_35radix_sort_onesweep_config_selectorIaNS0_10empty_typeEEEZZNS1_29radix_sort_onesweep_iterationIS3_Lb0EPKaPaPS5_SB_mNS0_19identity_decomposerENS1_16block_id_wrapperIjLb1EEEEE10hipError_tT1_PNSt15iterator_traitsISG_E10value_typeET2_T3_PNSH_ISM_E10value_typeET4_T5_PSR_SS_PNS1_23onesweep_lookback_stateEbbT6_jjT7_P12ihipStream_tbENKUlT_T0_SG_SL_E_clISA_SA_SB_SB_EEDaSZ_S10_SG_SL_EUlSZ_E_NS1_11comp_targetILNS1_3genE3ELNS1_11target_archE908ELNS1_3gpuE7ELNS1_3repE0EEENS1_47radix_sort_onesweep_sort_config_static_selectorELNS0_4arch9wavefront6targetE0EEEvSG_,"axG",@progbits,_ZN7rocprim17ROCPRIM_400000_NS6detail17trampoline_kernelINS0_14default_configENS1_35radix_sort_onesweep_config_selectorIaNS0_10empty_typeEEEZZNS1_29radix_sort_onesweep_iterationIS3_Lb0EPKaPaPS5_SB_mNS0_19identity_decomposerENS1_16block_id_wrapperIjLb1EEEEE10hipError_tT1_PNSt15iterator_traitsISG_E10value_typeET2_T3_PNSH_ISM_E10value_typeET4_T5_PSR_SS_PNS1_23onesweep_lookback_stateEbbT6_jjT7_P12ihipStream_tbENKUlT_T0_SG_SL_E_clISA_SA_SB_SB_EEDaSZ_S10_SG_SL_EUlSZ_E_NS1_11comp_targetILNS1_3genE3ELNS1_11target_archE908ELNS1_3gpuE7ELNS1_3repE0EEENS1_47radix_sort_onesweep_sort_config_static_selectorELNS0_4arch9wavefront6targetE0EEEvSG_,comdat
	.protected	_ZN7rocprim17ROCPRIM_400000_NS6detail17trampoline_kernelINS0_14default_configENS1_35radix_sort_onesweep_config_selectorIaNS0_10empty_typeEEEZZNS1_29radix_sort_onesweep_iterationIS3_Lb0EPKaPaPS5_SB_mNS0_19identity_decomposerENS1_16block_id_wrapperIjLb1EEEEE10hipError_tT1_PNSt15iterator_traitsISG_E10value_typeET2_T3_PNSH_ISM_E10value_typeET4_T5_PSR_SS_PNS1_23onesweep_lookback_stateEbbT6_jjT7_P12ihipStream_tbENKUlT_T0_SG_SL_E_clISA_SA_SB_SB_EEDaSZ_S10_SG_SL_EUlSZ_E_NS1_11comp_targetILNS1_3genE3ELNS1_11target_archE908ELNS1_3gpuE7ELNS1_3repE0EEENS1_47radix_sort_onesweep_sort_config_static_selectorELNS0_4arch9wavefront6targetE0EEEvSG_ ; -- Begin function _ZN7rocprim17ROCPRIM_400000_NS6detail17trampoline_kernelINS0_14default_configENS1_35radix_sort_onesweep_config_selectorIaNS0_10empty_typeEEEZZNS1_29radix_sort_onesweep_iterationIS3_Lb0EPKaPaPS5_SB_mNS0_19identity_decomposerENS1_16block_id_wrapperIjLb1EEEEE10hipError_tT1_PNSt15iterator_traitsISG_E10value_typeET2_T3_PNSH_ISM_E10value_typeET4_T5_PSR_SS_PNS1_23onesweep_lookback_stateEbbT6_jjT7_P12ihipStream_tbENKUlT_T0_SG_SL_E_clISA_SA_SB_SB_EEDaSZ_S10_SG_SL_EUlSZ_E_NS1_11comp_targetILNS1_3genE3ELNS1_11target_archE908ELNS1_3gpuE7ELNS1_3repE0EEENS1_47radix_sort_onesweep_sort_config_static_selectorELNS0_4arch9wavefront6targetE0EEEvSG_
	.globl	_ZN7rocprim17ROCPRIM_400000_NS6detail17trampoline_kernelINS0_14default_configENS1_35radix_sort_onesweep_config_selectorIaNS0_10empty_typeEEEZZNS1_29radix_sort_onesweep_iterationIS3_Lb0EPKaPaPS5_SB_mNS0_19identity_decomposerENS1_16block_id_wrapperIjLb1EEEEE10hipError_tT1_PNSt15iterator_traitsISG_E10value_typeET2_T3_PNSH_ISM_E10value_typeET4_T5_PSR_SS_PNS1_23onesweep_lookback_stateEbbT6_jjT7_P12ihipStream_tbENKUlT_T0_SG_SL_E_clISA_SA_SB_SB_EEDaSZ_S10_SG_SL_EUlSZ_E_NS1_11comp_targetILNS1_3genE3ELNS1_11target_archE908ELNS1_3gpuE7ELNS1_3repE0EEENS1_47radix_sort_onesweep_sort_config_static_selectorELNS0_4arch9wavefront6targetE0EEEvSG_
	.p2align	8
	.type	_ZN7rocprim17ROCPRIM_400000_NS6detail17trampoline_kernelINS0_14default_configENS1_35radix_sort_onesweep_config_selectorIaNS0_10empty_typeEEEZZNS1_29radix_sort_onesweep_iterationIS3_Lb0EPKaPaPS5_SB_mNS0_19identity_decomposerENS1_16block_id_wrapperIjLb1EEEEE10hipError_tT1_PNSt15iterator_traitsISG_E10value_typeET2_T3_PNSH_ISM_E10value_typeET4_T5_PSR_SS_PNS1_23onesweep_lookback_stateEbbT6_jjT7_P12ihipStream_tbENKUlT_T0_SG_SL_E_clISA_SA_SB_SB_EEDaSZ_S10_SG_SL_EUlSZ_E_NS1_11comp_targetILNS1_3genE3ELNS1_11target_archE908ELNS1_3gpuE7ELNS1_3repE0EEENS1_47radix_sort_onesweep_sort_config_static_selectorELNS0_4arch9wavefront6targetE0EEEvSG_,@function
_ZN7rocprim17ROCPRIM_400000_NS6detail17trampoline_kernelINS0_14default_configENS1_35radix_sort_onesweep_config_selectorIaNS0_10empty_typeEEEZZNS1_29radix_sort_onesweep_iterationIS3_Lb0EPKaPaPS5_SB_mNS0_19identity_decomposerENS1_16block_id_wrapperIjLb1EEEEE10hipError_tT1_PNSt15iterator_traitsISG_E10value_typeET2_T3_PNSH_ISM_E10value_typeET4_T5_PSR_SS_PNS1_23onesweep_lookback_stateEbbT6_jjT7_P12ihipStream_tbENKUlT_T0_SG_SL_E_clISA_SA_SB_SB_EEDaSZ_S10_SG_SL_EUlSZ_E_NS1_11comp_targetILNS1_3genE3ELNS1_11target_archE908ELNS1_3gpuE7ELNS1_3repE0EEENS1_47radix_sort_onesweep_sort_config_static_selectorELNS0_4arch9wavefront6targetE0EEEvSG_: ; @_ZN7rocprim17ROCPRIM_400000_NS6detail17trampoline_kernelINS0_14default_configENS1_35radix_sort_onesweep_config_selectorIaNS0_10empty_typeEEEZZNS1_29radix_sort_onesweep_iterationIS3_Lb0EPKaPaPS5_SB_mNS0_19identity_decomposerENS1_16block_id_wrapperIjLb1EEEEE10hipError_tT1_PNSt15iterator_traitsISG_E10value_typeET2_T3_PNSH_ISM_E10value_typeET4_T5_PSR_SS_PNS1_23onesweep_lookback_stateEbbT6_jjT7_P12ihipStream_tbENKUlT_T0_SG_SL_E_clISA_SA_SB_SB_EEDaSZ_S10_SG_SL_EUlSZ_E_NS1_11comp_targetILNS1_3genE3ELNS1_11target_archE908ELNS1_3gpuE7ELNS1_3repE0EEENS1_47radix_sort_onesweep_sort_config_static_selectorELNS0_4arch9wavefront6targetE0EEEvSG_
; %bb.0:
	.section	.rodata,"a",@progbits
	.p2align	6, 0x0
	.amdhsa_kernel _ZN7rocprim17ROCPRIM_400000_NS6detail17trampoline_kernelINS0_14default_configENS1_35radix_sort_onesweep_config_selectorIaNS0_10empty_typeEEEZZNS1_29radix_sort_onesweep_iterationIS3_Lb0EPKaPaPS5_SB_mNS0_19identity_decomposerENS1_16block_id_wrapperIjLb1EEEEE10hipError_tT1_PNSt15iterator_traitsISG_E10value_typeET2_T3_PNSH_ISM_E10value_typeET4_T5_PSR_SS_PNS1_23onesweep_lookback_stateEbbT6_jjT7_P12ihipStream_tbENKUlT_T0_SG_SL_E_clISA_SA_SB_SB_EEDaSZ_S10_SG_SL_EUlSZ_E_NS1_11comp_targetILNS1_3genE3ELNS1_11target_archE908ELNS1_3gpuE7ELNS1_3repE0EEENS1_47radix_sort_onesweep_sort_config_static_selectorELNS0_4arch9wavefront6targetE0EEEvSG_
		.amdhsa_group_segment_fixed_size 0
		.amdhsa_private_segment_fixed_size 0
		.amdhsa_kernarg_size 88
		.amdhsa_user_sgpr_count 2
		.amdhsa_user_sgpr_dispatch_ptr 0
		.amdhsa_user_sgpr_queue_ptr 0
		.amdhsa_user_sgpr_kernarg_segment_ptr 1
		.amdhsa_user_sgpr_dispatch_id 0
		.amdhsa_user_sgpr_kernarg_preload_length 0
		.amdhsa_user_sgpr_kernarg_preload_offset 0
		.amdhsa_user_sgpr_private_segment_size 0
		.amdhsa_wavefront_size32 1
		.amdhsa_uses_dynamic_stack 0
		.amdhsa_enable_private_segment 0
		.amdhsa_system_sgpr_workgroup_id_x 1
		.amdhsa_system_sgpr_workgroup_id_y 0
		.amdhsa_system_sgpr_workgroup_id_z 0
		.amdhsa_system_sgpr_workgroup_info 0
		.amdhsa_system_vgpr_workitem_id 0
		.amdhsa_next_free_vgpr 1
		.amdhsa_next_free_sgpr 1
		.amdhsa_named_barrier_count 0
		.amdhsa_reserve_vcc 0
		.amdhsa_float_round_mode_32 0
		.amdhsa_float_round_mode_16_64 0
		.amdhsa_float_denorm_mode_32 3
		.amdhsa_float_denorm_mode_16_64 3
		.amdhsa_fp16_overflow 0
		.amdhsa_memory_ordered 1
		.amdhsa_forward_progress 1
		.amdhsa_inst_pref_size 0
		.amdhsa_round_robin_scheduling 0
		.amdhsa_exception_fp_ieee_invalid_op 0
		.amdhsa_exception_fp_denorm_src 0
		.amdhsa_exception_fp_ieee_div_zero 0
		.amdhsa_exception_fp_ieee_overflow 0
		.amdhsa_exception_fp_ieee_underflow 0
		.amdhsa_exception_fp_ieee_inexact 0
		.amdhsa_exception_int_div_zero 0
	.end_amdhsa_kernel
	.section	.text._ZN7rocprim17ROCPRIM_400000_NS6detail17trampoline_kernelINS0_14default_configENS1_35radix_sort_onesweep_config_selectorIaNS0_10empty_typeEEEZZNS1_29radix_sort_onesweep_iterationIS3_Lb0EPKaPaPS5_SB_mNS0_19identity_decomposerENS1_16block_id_wrapperIjLb1EEEEE10hipError_tT1_PNSt15iterator_traitsISG_E10value_typeET2_T3_PNSH_ISM_E10value_typeET4_T5_PSR_SS_PNS1_23onesweep_lookback_stateEbbT6_jjT7_P12ihipStream_tbENKUlT_T0_SG_SL_E_clISA_SA_SB_SB_EEDaSZ_S10_SG_SL_EUlSZ_E_NS1_11comp_targetILNS1_3genE3ELNS1_11target_archE908ELNS1_3gpuE7ELNS1_3repE0EEENS1_47radix_sort_onesweep_sort_config_static_selectorELNS0_4arch9wavefront6targetE0EEEvSG_,"axG",@progbits,_ZN7rocprim17ROCPRIM_400000_NS6detail17trampoline_kernelINS0_14default_configENS1_35radix_sort_onesweep_config_selectorIaNS0_10empty_typeEEEZZNS1_29radix_sort_onesweep_iterationIS3_Lb0EPKaPaPS5_SB_mNS0_19identity_decomposerENS1_16block_id_wrapperIjLb1EEEEE10hipError_tT1_PNSt15iterator_traitsISG_E10value_typeET2_T3_PNSH_ISM_E10value_typeET4_T5_PSR_SS_PNS1_23onesweep_lookback_stateEbbT6_jjT7_P12ihipStream_tbENKUlT_T0_SG_SL_E_clISA_SA_SB_SB_EEDaSZ_S10_SG_SL_EUlSZ_E_NS1_11comp_targetILNS1_3genE3ELNS1_11target_archE908ELNS1_3gpuE7ELNS1_3repE0EEENS1_47radix_sort_onesweep_sort_config_static_selectorELNS0_4arch9wavefront6targetE0EEEvSG_,comdat
.Lfunc_end480:
	.size	_ZN7rocprim17ROCPRIM_400000_NS6detail17trampoline_kernelINS0_14default_configENS1_35radix_sort_onesweep_config_selectorIaNS0_10empty_typeEEEZZNS1_29radix_sort_onesweep_iterationIS3_Lb0EPKaPaPS5_SB_mNS0_19identity_decomposerENS1_16block_id_wrapperIjLb1EEEEE10hipError_tT1_PNSt15iterator_traitsISG_E10value_typeET2_T3_PNSH_ISM_E10value_typeET4_T5_PSR_SS_PNS1_23onesweep_lookback_stateEbbT6_jjT7_P12ihipStream_tbENKUlT_T0_SG_SL_E_clISA_SA_SB_SB_EEDaSZ_S10_SG_SL_EUlSZ_E_NS1_11comp_targetILNS1_3genE3ELNS1_11target_archE908ELNS1_3gpuE7ELNS1_3repE0EEENS1_47radix_sort_onesweep_sort_config_static_selectorELNS0_4arch9wavefront6targetE0EEEvSG_, .Lfunc_end480-_ZN7rocprim17ROCPRIM_400000_NS6detail17trampoline_kernelINS0_14default_configENS1_35radix_sort_onesweep_config_selectorIaNS0_10empty_typeEEEZZNS1_29radix_sort_onesweep_iterationIS3_Lb0EPKaPaPS5_SB_mNS0_19identity_decomposerENS1_16block_id_wrapperIjLb1EEEEE10hipError_tT1_PNSt15iterator_traitsISG_E10value_typeET2_T3_PNSH_ISM_E10value_typeET4_T5_PSR_SS_PNS1_23onesweep_lookback_stateEbbT6_jjT7_P12ihipStream_tbENKUlT_T0_SG_SL_E_clISA_SA_SB_SB_EEDaSZ_S10_SG_SL_EUlSZ_E_NS1_11comp_targetILNS1_3genE3ELNS1_11target_archE908ELNS1_3gpuE7ELNS1_3repE0EEENS1_47radix_sort_onesweep_sort_config_static_selectorELNS0_4arch9wavefront6targetE0EEEvSG_
                                        ; -- End function
	.set _ZN7rocprim17ROCPRIM_400000_NS6detail17trampoline_kernelINS0_14default_configENS1_35radix_sort_onesweep_config_selectorIaNS0_10empty_typeEEEZZNS1_29radix_sort_onesweep_iterationIS3_Lb0EPKaPaPS5_SB_mNS0_19identity_decomposerENS1_16block_id_wrapperIjLb1EEEEE10hipError_tT1_PNSt15iterator_traitsISG_E10value_typeET2_T3_PNSH_ISM_E10value_typeET4_T5_PSR_SS_PNS1_23onesweep_lookback_stateEbbT6_jjT7_P12ihipStream_tbENKUlT_T0_SG_SL_E_clISA_SA_SB_SB_EEDaSZ_S10_SG_SL_EUlSZ_E_NS1_11comp_targetILNS1_3genE3ELNS1_11target_archE908ELNS1_3gpuE7ELNS1_3repE0EEENS1_47radix_sort_onesweep_sort_config_static_selectorELNS0_4arch9wavefront6targetE0EEEvSG_.num_vgpr, 0
	.set _ZN7rocprim17ROCPRIM_400000_NS6detail17trampoline_kernelINS0_14default_configENS1_35radix_sort_onesweep_config_selectorIaNS0_10empty_typeEEEZZNS1_29radix_sort_onesweep_iterationIS3_Lb0EPKaPaPS5_SB_mNS0_19identity_decomposerENS1_16block_id_wrapperIjLb1EEEEE10hipError_tT1_PNSt15iterator_traitsISG_E10value_typeET2_T3_PNSH_ISM_E10value_typeET4_T5_PSR_SS_PNS1_23onesweep_lookback_stateEbbT6_jjT7_P12ihipStream_tbENKUlT_T0_SG_SL_E_clISA_SA_SB_SB_EEDaSZ_S10_SG_SL_EUlSZ_E_NS1_11comp_targetILNS1_3genE3ELNS1_11target_archE908ELNS1_3gpuE7ELNS1_3repE0EEENS1_47radix_sort_onesweep_sort_config_static_selectorELNS0_4arch9wavefront6targetE0EEEvSG_.num_agpr, 0
	.set _ZN7rocprim17ROCPRIM_400000_NS6detail17trampoline_kernelINS0_14default_configENS1_35radix_sort_onesweep_config_selectorIaNS0_10empty_typeEEEZZNS1_29radix_sort_onesweep_iterationIS3_Lb0EPKaPaPS5_SB_mNS0_19identity_decomposerENS1_16block_id_wrapperIjLb1EEEEE10hipError_tT1_PNSt15iterator_traitsISG_E10value_typeET2_T3_PNSH_ISM_E10value_typeET4_T5_PSR_SS_PNS1_23onesweep_lookback_stateEbbT6_jjT7_P12ihipStream_tbENKUlT_T0_SG_SL_E_clISA_SA_SB_SB_EEDaSZ_S10_SG_SL_EUlSZ_E_NS1_11comp_targetILNS1_3genE3ELNS1_11target_archE908ELNS1_3gpuE7ELNS1_3repE0EEENS1_47radix_sort_onesweep_sort_config_static_selectorELNS0_4arch9wavefront6targetE0EEEvSG_.numbered_sgpr, 0
	.set _ZN7rocprim17ROCPRIM_400000_NS6detail17trampoline_kernelINS0_14default_configENS1_35radix_sort_onesweep_config_selectorIaNS0_10empty_typeEEEZZNS1_29radix_sort_onesweep_iterationIS3_Lb0EPKaPaPS5_SB_mNS0_19identity_decomposerENS1_16block_id_wrapperIjLb1EEEEE10hipError_tT1_PNSt15iterator_traitsISG_E10value_typeET2_T3_PNSH_ISM_E10value_typeET4_T5_PSR_SS_PNS1_23onesweep_lookback_stateEbbT6_jjT7_P12ihipStream_tbENKUlT_T0_SG_SL_E_clISA_SA_SB_SB_EEDaSZ_S10_SG_SL_EUlSZ_E_NS1_11comp_targetILNS1_3genE3ELNS1_11target_archE908ELNS1_3gpuE7ELNS1_3repE0EEENS1_47radix_sort_onesweep_sort_config_static_selectorELNS0_4arch9wavefront6targetE0EEEvSG_.num_named_barrier, 0
	.set _ZN7rocprim17ROCPRIM_400000_NS6detail17trampoline_kernelINS0_14default_configENS1_35radix_sort_onesweep_config_selectorIaNS0_10empty_typeEEEZZNS1_29radix_sort_onesweep_iterationIS3_Lb0EPKaPaPS5_SB_mNS0_19identity_decomposerENS1_16block_id_wrapperIjLb1EEEEE10hipError_tT1_PNSt15iterator_traitsISG_E10value_typeET2_T3_PNSH_ISM_E10value_typeET4_T5_PSR_SS_PNS1_23onesweep_lookback_stateEbbT6_jjT7_P12ihipStream_tbENKUlT_T0_SG_SL_E_clISA_SA_SB_SB_EEDaSZ_S10_SG_SL_EUlSZ_E_NS1_11comp_targetILNS1_3genE3ELNS1_11target_archE908ELNS1_3gpuE7ELNS1_3repE0EEENS1_47radix_sort_onesweep_sort_config_static_selectorELNS0_4arch9wavefront6targetE0EEEvSG_.private_seg_size, 0
	.set _ZN7rocprim17ROCPRIM_400000_NS6detail17trampoline_kernelINS0_14default_configENS1_35radix_sort_onesweep_config_selectorIaNS0_10empty_typeEEEZZNS1_29radix_sort_onesweep_iterationIS3_Lb0EPKaPaPS5_SB_mNS0_19identity_decomposerENS1_16block_id_wrapperIjLb1EEEEE10hipError_tT1_PNSt15iterator_traitsISG_E10value_typeET2_T3_PNSH_ISM_E10value_typeET4_T5_PSR_SS_PNS1_23onesweep_lookback_stateEbbT6_jjT7_P12ihipStream_tbENKUlT_T0_SG_SL_E_clISA_SA_SB_SB_EEDaSZ_S10_SG_SL_EUlSZ_E_NS1_11comp_targetILNS1_3genE3ELNS1_11target_archE908ELNS1_3gpuE7ELNS1_3repE0EEENS1_47radix_sort_onesweep_sort_config_static_selectorELNS0_4arch9wavefront6targetE0EEEvSG_.uses_vcc, 0
	.set _ZN7rocprim17ROCPRIM_400000_NS6detail17trampoline_kernelINS0_14default_configENS1_35radix_sort_onesweep_config_selectorIaNS0_10empty_typeEEEZZNS1_29radix_sort_onesweep_iterationIS3_Lb0EPKaPaPS5_SB_mNS0_19identity_decomposerENS1_16block_id_wrapperIjLb1EEEEE10hipError_tT1_PNSt15iterator_traitsISG_E10value_typeET2_T3_PNSH_ISM_E10value_typeET4_T5_PSR_SS_PNS1_23onesweep_lookback_stateEbbT6_jjT7_P12ihipStream_tbENKUlT_T0_SG_SL_E_clISA_SA_SB_SB_EEDaSZ_S10_SG_SL_EUlSZ_E_NS1_11comp_targetILNS1_3genE3ELNS1_11target_archE908ELNS1_3gpuE7ELNS1_3repE0EEENS1_47radix_sort_onesweep_sort_config_static_selectorELNS0_4arch9wavefront6targetE0EEEvSG_.uses_flat_scratch, 0
	.set _ZN7rocprim17ROCPRIM_400000_NS6detail17trampoline_kernelINS0_14default_configENS1_35radix_sort_onesweep_config_selectorIaNS0_10empty_typeEEEZZNS1_29radix_sort_onesweep_iterationIS3_Lb0EPKaPaPS5_SB_mNS0_19identity_decomposerENS1_16block_id_wrapperIjLb1EEEEE10hipError_tT1_PNSt15iterator_traitsISG_E10value_typeET2_T3_PNSH_ISM_E10value_typeET4_T5_PSR_SS_PNS1_23onesweep_lookback_stateEbbT6_jjT7_P12ihipStream_tbENKUlT_T0_SG_SL_E_clISA_SA_SB_SB_EEDaSZ_S10_SG_SL_EUlSZ_E_NS1_11comp_targetILNS1_3genE3ELNS1_11target_archE908ELNS1_3gpuE7ELNS1_3repE0EEENS1_47radix_sort_onesweep_sort_config_static_selectorELNS0_4arch9wavefront6targetE0EEEvSG_.has_dyn_sized_stack, 0
	.set _ZN7rocprim17ROCPRIM_400000_NS6detail17trampoline_kernelINS0_14default_configENS1_35radix_sort_onesweep_config_selectorIaNS0_10empty_typeEEEZZNS1_29radix_sort_onesweep_iterationIS3_Lb0EPKaPaPS5_SB_mNS0_19identity_decomposerENS1_16block_id_wrapperIjLb1EEEEE10hipError_tT1_PNSt15iterator_traitsISG_E10value_typeET2_T3_PNSH_ISM_E10value_typeET4_T5_PSR_SS_PNS1_23onesweep_lookback_stateEbbT6_jjT7_P12ihipStream_tbENKUlT_T0_SG_SL_E_clISA_SA_SB_SB_EEDaSZ_S10_SG_SL_EUlSZ_E_NS1_11comp_targetILNS1_3genE3ELNS1_11target_archE908ELNS1_3gpuE7ELNS1_3repE0EEENS1_47radix_sort_onesweep_sort_config_static_selectorELNS0_4arch9wavefront6targetE0EEEvSG_.has_recursion, 0
	.set _ZN7rocprim17ROCPRIM_400000_NS6detail17trampoline_kernelINS0_14default_configENS1_35radix_sort_onesweep_config_selectorIaNS0_10empty_typeEEEZZNS1_29radix_sort_onesweep_iterationIS3_Lb0EPKaPaPS5_SB_mNS0_19identity_decomposerENS1_16block_id_wrapperIjLb1EEEEE10hipError_tT1_PNSt15iterator_traitsISG_E10value_typeET2_T3_PNSH_ISM_E10value_typeET4_T5_PSR_SS_PNS1_23onesweep_lookback_stateEbbT6_jjT7_P12ihipStream_tbENKUlT_T0_SG_SL_E_clISA_SA_SB_SB_EEDaSZ_S10_SG_SL_EUlSZ_E_NS1_11comp_targetILNS1_3genE3ELNS1_11target_archE908ELNS1_3gpuE7ELNS1_3repE0EEENS1_47radix_sort_onesweep_sort_config_static_selectorELNS0_4arch9wavefront6targetE0EEEvSG_.has_indirect_call, 0
	.section	.AMDGPU.csdata,"",@progbits
; Kernel info:
; codeLenInByte = 0
; TotalNumSgprs: 0
; NumVgprs: 0
; ScratchSize: 0
; MemoryBound: 0
; FloatMode: 240
; IeeeMode: 1
; LDSByteSize: 0 bytes/workgroup (compile time only)
; SGPRBlocks: 0
; VGPRBlocks: 0
; NumSGPRsForWavesPerEU: 1
; NumVGPRsForWavesPerEU: 1
; NamedBarCnt: 0
; Occupancy: 16
; WaveLimiterHint : 0
; COMPUTE_PGM_RSRC2:SCRATCH_EN: 0
; COMPUTE_PGM_RSRC2:USER_SGPR: 2
; COMPUTE_PGM_RSRC2:TRAP_HANDLER: 0
; COMPUTE_PGM_RSRC2:TGID_X_EN: 1
; COMPUTE_PGM_RSRC2:TGID_Y_EN: 0
; COMPUTE_PGM_RSRC2:TGID_Z_EN: 0
; COMPUTE_PGM_RSRC2:TIDIG_COMP_CNT: 0
	.section	.text._ZN7rocprim17ROCPRIM_400000_NS6detail17trampoline_kernelINS0_14default_configENS1_35radix_sort_onesweep_config_selectorIaNS0_10empty_typeEEEZZNS1_29radix_sort_onesweep_iterationIS3_Lb0EPKaPaPS5_SB_mNS0_19identity_decomposerENS1_16block_id_wrapperIjLb1EEEEE10hipError_tT1_PNSt15iterator_traitsISG_E10value_typeET2_T3_PNSH_ISM_E10value_typeET4_T5_PSR_SS_PNS1_23onesweep_lookback_stateEbbT6_jjT7_P12ihipStream_tbENKUlT_T0_SG_SL_E_clISA_SA_SB_SB_EEDaSZ_S10_SG_SL_EUlSZ_E_NS1_11comp_targetILNS1_3genE10ELNS1_11target_archE1201ELNS1_3gpuE5ELNS1_3repE0EEENS1_47radix_sort_onesweep_sort_config_static_selectorELNS0_4arch9wavefront6targetE0EEEvSG_,"axG",@progbits,_ZN7rocprim17ROCPRIM_400000_NS6detail17trampoline_kernelINS0_14default_configENS1_35radix_sort_onesweep_config_selectorIaNS0_10empty_typeEEEZZNS1_29radix_sort_onesweep_iterationIS3_Lb0EPKaPaPS5_SB_mNS0_19identity_decomposerENS1_16block_id_wrapperIjLb1EEEEE10hipError_tT1_PNSt15iterator_traitsISG_E10value_typeET2_T3_PNSH_ISM_E10value_typeET4_T5_PSR_SS_PNS1_23onesweep_lookback_stateEbbT6_jjT7_P12ihipStream_tbENKUlT_T0_SG_SL_E_clISA_SA_SB_SB_EEDaSZ_S10_SG_SL_EUlSZ_E_NS1_11comp_targetILNS1_3genE10ELNS1_11target_archE1201ELNS1_3gpuE5ELNS1_3repE0EEENS1_47radix_sort_onesweep_sort_config_static_selectorELNS0_4arch9wavefront6targetE0EEEvSG_,comdat
	.protected	_ZN7rocprim17ROCPRIM_400000_NS6detail17trampoline_kernelINS0_14default_configENS1_35radix_sort_onesweep_config_selectorIaNS0_10empty_typeEEEZZNS1_29radix_sort_onesweep_iterationIS3_Lb0EPKaPaPS5_SB_mNS0_19identity_decomposerENS1_16block_id_wrapperIjLb1EEEEE10hipError_tT1_PNSt15iterator_traitsISG_E10value_typeET2_T3_PNSH_ISM_E10value_typeET4_T5_PSR_SS_PNS1_23onesweep_lookback_stateEbbT6_jjT7_P12ihipStream_tbENKUlT_T0_SG_SL_E_clISA_SA_SB_SB_EEDaSZ_S10_SG_SL_EUlSZ_E_NS1_11comp_targetILNS1_3genE10ELNS1_11target_archE1201ELNS1_3gpuE5ELNS1_3repE0EEENS1_47radix_sort_onesweep_sort_config_static_selectorELNS0_4arch9wavefront6targetE0EEEvSG_ ; -- Begin function _ZN7rocprim17ROCPRIM_400000_NS6detail17trampoline_kernelINS0_14default_configENS1_35radix_sort_onesweep_config_selectorIaNS0_10empty_typeEEEZZNS1_29radix_sort_onesweep_iterationIS3_Lb0EPKaPaPS5_SB_mNS0_19identity_decomposerENS1_16block_id_wrapperIjLb1EEEEE10hipError_tT1_PNSt15iterator_traitsISG_E10value_typeET2_T3_PNSH_ISM_E10value_typeET4_T5_PSR_SS_PNS1_23onesweep_lookback_stateEbbT6_jjT7_P12ihipStream_tbENKUlT_T0_SG_SL_E_clISA_SA_SB_SB_EEDaSZ_S10_SG_SL_EUlSZ_E_NS1_11comp_targetILNS1_3genE10ELNS1_11target_archE1201ELNS1_3gpuE5ELNS1_3repE0EEENS1_47radix_sort_onesweep_sort_config_static_selectorELNS0_4arch9wavefront6targetE0EEEvSG_
	.globl	_ZN7rocprim17ROCPRIM_400000_NS6detail17trampoline_kernelINS0_14default_configENS1_35radix_sort_onesweep_config_selectorIaNS0_10empty_typeEEEZZNS1_29radix_sort_onesweep_iterationIS3_Lb0EPKaPaPS5_SB_mNS0_19identity_decomposerENS1_16block_id_wrapperIjLb1EEEEE10hipError_tT1_PNSt15iterator_traitsISG_E10value_typeET2_T3_PNSH_ISM_E10value_typeET4_T5_PSR_SS_PNS1_23onesweep_lookback_stateEbbT6_jjT7_P12ihipStream_tbENKUlT_T0_SG_SL_E_clISA_SA_SB_SB_EEDaSZ_S10_SG_SL_EUlSZ_E_NS1_11comp_targetILNS1_3genE10ELNS1_11target_archE1201ELNS1_3gpuE5ELNS1_3repE0EEENS1_47radix_sort_onesweep_sort_config_static_selectorELNS0_4arch9wavefront6targetE0EEEvSG_
	.p2align	8
	.type	_ZN7rocprim17ROCPRIM_400000_NS6detail17trampoline_kernelINS0_14default_configENS1_35radix_sort_onesweep_config_selectorIaNS0_10empty_typeEEEZZNS1_29radix_sort_onesweep_iterationIS3_Lb0EPKaPaPS5_SB_mNS0_19identity_decomposerENS1_16block_id_wrapperIjLb1EEEEE10hipError_tT1_PNSt15iterator_traitsISG_E10value_typeET2_T3_PNSH_ISM_E10value_typeET4_T5_PSR_SS_PNS1_23onesweep_lookback_stateEbbT6_jjT7_P12ihipStream_tbENKUlT_T0_SG_SL_E_clISA_SA_SB_SB_EEDaSZ_S10_SG_SL_EUlSZ_E_NS1_11comp_targetILNS1_3genE10ELNS1_11target_archE1201ELNS1_3gpuE5ELNS1_3repE0EEENS1_47radix_sort_onesweep_sort_config_static_selectorELNS0_4arch9wavefront6targetE0EEEvSG_,@function
_ZN7rocprim17ROCPRIM_400000_NS6detail17trampoline_kernelINS0_14default_configENS1_35radix_sort_onesweep_config_selectorIaNS0_10empty_typeEEEZZNS1_29radix_sort_onesweep_iterationIS3_Lb0EPKaPaPS5_SB_mNS0_19identity_decomposerENS1_16block_id_wrapperIjLb1EEEEE10hipError_tT1_PNSt15iterator_traitsISG_E10value_typeET2_T3_PNSH_ISM_E10value_typeET4_T5_PSR_SS_PNS1_23onesweep_lookback_stateEbbT6_jjT7_P12ihipStream_tbENKUlT_T0_SG_SL_E_clISA_SA_SB_SB_EEDaSZ_S10_SG_SL_EUlSZ_E_NS1_11comp_targetILNS1_3genE10ELNS1_11target_archE1201ELNS1_3gpuE5ELNS1_3repE0EEENS1_47radix_sort_onesweep_sort_config_static_selectorELNS0_4arch9wavefront6targetE0EEEvSG_: ; @_ZN7rocprim17ROCPRIM_400000_NS6detail17trampoline_kernelINS0_14default_configENS1_35radix_sort_onesweep_config_selectorIaNS0_10empty_typeEEEZZNS1_29radix_sort_onesweep_iterationIS3_Lb0EPKaPaPS5_SB_mNS0_19identity_decomposerENS1_16block_id_wrapperIjLb1EEEEE10hipError_tT1_PNSt15iterator_traitsISG_E10value_typeET2_T3_PNSH_ISM_E10value_typeET4_T5_PSR_SS_PNS1_23onesweep_lookback_stateEbbT6_jjT7_P12ihipStream_tbENKUlT_T0_SG_SL_E_clISA_SA_SB_SB_EEDaSZ_S10_SG_SL_EUlSZ_E_NS1_11comp_targetILNS1_3genE10ELNS1_11target_archE1201ELNS1_3gpuE5ELNS1_3repE0EEENS1_47radix_sort_onesweep_sort_config_static_selectorELNS0_4arch9wavefront6targetE0EEEvSG_
; %bb.0:
	.section	.rodata,"a",@progbits
	.p2align	6, 0x0
	.amdhsa_kernel _ZN7rocprim17ROCPRIM_400000_NS6detail17trampoline_kernelINS0_14default_configENS1_35radix_sort_onesweep_config_selectorIaNS0_10empty_typeEEEZZNS1_29radix_sort_onesweep_iterationIS3_Lb0EPKaPaPS5_SB_mNS0_19identity_decomposerENS1_16block_id_wrapperIjLb1EEEEE10hipError_tT1_PNSt15iterator_traitsISG_E10value_typeET2_T3_PNSH_ISM_E10value_typeET4_T5_PSR_SS_PNS1_23onesweep_lookback_stateEbbT6_jjT7_P12ihipStream_tbENKUlT_T0_SG_SL_E_clISA_SA_SB_SB_EEDaSZ_S10_SG_SL_EUlSZ_E_NS1_11comp_targetILNS1_3genE10ELNS1_11target_archE1201ELNS1_3gpuE5ELNS1_3repE0EEENS1_47radix_sort_onesweep_sort_config_static_selectorELNS0_4arch9wavefront6targetE0EEEvSG_
		.amdhsa_group_segment_fixed_size 0
		.amdhsa_private_segment_fixed_size 0
		.amdhsa_kernarg_size 88
		.amdhsa_user_sgpr_count 2
		.amdhsa_user_sgpr_dispatch_ptr 0
		.amdhsa_user_sgpr_queue_ptr 0
		.amdhsa_user_sgpr_kernarg_segment_ptr 1
		.amdhsa_user_sgpr_dispatch_id 0
		.amdhsa_user_sgpr_kernarg_preload_length 0
		.amdhsa_user_sgpr_kernarg_preload_offset 0
		.amdhsa_user_sgpr_private_segment_size 0
		.amdhsa_wavefront_size32 1
		.amdhsa_uses_dynamic_stack 0
		.amdhsa_enable_private_segment 0
		.amdhsa_system_sgpr_workgroup_id_x 1
		.amdhsa_system_sgpr_workgroup_id_y 0
		.amdhsa_system_sgpr_workgroup_id_z 0
		.amdhsa_system_sgpr_workgroup_info 0
		.amdhsa_system_vgpr_workitem_id 0
		.amdhsa_next_free_vgpr 1
		.amdhsa_next_free_sgpr 1
		.amdhsa_named_barrier_count 0
		.amdhsa_reserve_vcc 0
		.amdhsa_float_round_mode_32 0
		.amdhsa_float_round_mode_16_64 0
		.amdhsa_float_denorm_mode_32 3
		.amdhsa_float_denorm_mode_16_64 3
		.amdhsa_fp16_overflow 0
		.amdhsa_memory_ordered 1
		.amdhsa_forward_progress 1
		.amdhsa_inst_pref_size 0
		.amdhsa_round_robin_scheduling 0
		.amdhsa_exception_fp_ieee_invalid_op 0
		.amdhsa_exception_fp_denorm_src 0
		.amdhsa_exception_fp_ieee_div_zero 0
		.amdhsa_exception_fp_ieee_overflow 0
		.amdhsa_exception_fp_ieee_underflow 0
		.amdhsa_exception_fp_ieee_inexact 0
		.amdhsa_exception_int_div_zero 0
	.end_amdhsa_kernel
	.section	.text._ZN7rocprim17ROCPRIM_400000_NS6detail17trampoline_kernelINS0_14default_configENS1_35radix_sort_onesweep_config_selectorIaNS0_10empty_typeEEEZZNS1_29radix_sort_onesweep_iterationIS3_Lb0EPKaPaPS5_SB_mNS0_19identity_decomposerENS1_16block_id_wrapperIjLb1EEEEE10hipError_tT1_PNSt15iterator_traitsISG_E10value_typeET2_T3_PNSH_ISM_E10value_typeET4_T5_PSR_SS_PNS1_23onesweep_lookback_stateEbbT6_jjT7_P12ihipStream_tbENKUlT_T0_SG_SL_E_clISA_SA_SB_SB_EEDaSZ_S10_SG_SL_EUlSZ_E_NS1_11comp_targetILNS1_3genE10ELNS1_11target_archE1201ELNS1_3gpuE5ELNS1_3repE0EEENS1_47radix_sort_onesweep_sort_config_static_selectorELNS0_4arch9wavefront6targetE0EEEvSG_,"axG",@progbits,_ZN7rocprim17ROCPRIM_400000_NS6detail17trampoline_kernelINS0_14default_configENS1_35radix_sort_onesweep_config_selectorIaNS0_10empty_typeEEEZZNS1_29radix_sort_onesweep_iterationIS3_Lb0EPKaPaPS5_SB_mNS0_19identity_decomposerENS1_16block_id_wrapperIjLb1EEEEE10hipError_tT1_PNSt15iterator_traitsISG_E10value_typeET2_T3_PNSH_ISM_E10value_typeET4_T5_PSR_SS_PNS1_23onesweep_lookback_stateEbbT6_jjT7_P12ihipStream_tbENKUlT_T0_SG_SL_E_clISA_SA_SB_SB_EEDaSZ_S10_SG_SL_EUlSZ_E_NS1_11comp_targetILNS1_3genE10ELNS1_11target_archE1201ELNS1_3gpuE5ELNS1_3repE0EEENS1_47radix_sort_onesweep_sort_config_static_selectorELNS0_4arch9wavefront6targetE0EEEvSG_,comdat
.Lfunc_end481:
	.size	_ZN7rocprim17ROCPRIM_400000_NS6detail17trampoline_kernelINS0_14default_configENS1_35radix_sort_onesweep_config_selectorIaNS0_10empty_typeEEEZZNS1_29radix_sort_onesweep_iterationIS3_Lb0EPKaPaPS5_SB_mNS0_19identity_decomposerENS1_16block_id_wrapperIjLb1EEEEE10hipError_tT1_PNSt15iterator_traitsISG_E10value_typeET2_T3_PNSH_ISM_E10value_typeET4_T5_PSR_SS_PNS1_23onesweep_lookback_stateEbbT6_jjT7_P12ihipStream_tbENKUlT_T0_SG_SL_E_clISA_SA_SB_SB_EEDaSZ_S10_SG_SL_EUlSZ_E_NS1_11comp_targetILNS1_3genE10ELNS1_11target_archE1201ELNS1_3gpuE5ELNS1_3repE0EEENS1_47radix_sort_onesweep_sort_config_static_selectorELNS0_4arch9wavefront6targetE0EEEvSG_, .Lfunc_end481-_ZN7rocprim17ROCPRIM_400000_NS6detail17trampoline_kernelINS0_14default_configENS1_35radix_sort_onesweep_config_selectorIaNS0_10empty_typeEEEZZNS1_29radix_sort_onesweep_iterationIS3_Lb0EPKaPaPS5_SB_mNS0_19identity_decomposerENS1_16block_id_wrapperIjLb1EEEEE10hipError_tT1_PNSt15iterator_traitsISG_E10value_typeET2_T3_PNSH_ISM_E10value_typeET4_T5_PSR_SS_PNS1_23onesweep_lookback_stateEbbT6_jjT7_P12ihipStream_tbENKUlT_T0_SG_SL_E_clISA_SA_SB_SB_EEDaSZ_S10_SG_SL_EUlSZ_E_NS1_11comp_targetILNS1_3genE10ELNS1_11target_archE1201ELNS1_3gpuE5ELNS1_3repE0EEENS1_47radix_sort_onesweep_sort_config_static_selectorELNS0_4arch9wavefront6targetE0EEEvSG_
                                        ; -- End function
	.set _ZN7rocprim17ROCPRIM_400000_NS6detail17trampoline_kernelINS0_14default_configENS1_35radix_sort_onesweep_config_selectorIaNS0_10empty_typeEEEZZNS1_29radix_sort_onesweep_iterationIS3_Lb0EPKaPaPS5_SB_mNS0_19identity_decomposerENS1_16block_id_wrapperIjLb1EEEEE10hipError_tT1_PNSt15iterator_traitsISG_E10value_typeET2_T3_PNSH_ISM_E10value_typeET4_T5_PSR_SS_PNS1_23onesweep_lookback_stateEbbT6_jjT7_P12ihipStream_tbENKUlT_T0_SG_SL_E_clISA_SA_SB_SB_EEDaSZ_S10_SG_SL_EUlSZ_E_NS1_11comp_targetILNS1_3genE10ELNS1_11target_archE1201ELNS1_3gpuE5ELNS1_3repE0EEENS1_47radix_sort_onesweep_sort_config_static_selectorELNS0_4arch9wavefront6targetE0EEEvSG_.num_vgpr, 0
	.set _ZN7rocprim17ROCPRIM_400000_NS6detail17trampoline_kernelINS0_14default_configENS1_35radix_sort_onesweep_config_selectorIaNS0_10empty_typeEEEZZNS1_29radix_sort_onesweep_iterationIS3_Lb0EPKaPaPS5_SB_mNS0_19identity_decomposerENS1_16block_id_wrapperIjLb1EEEEE10hipError_tT1_PNSt15iterator_traitsISG_E10value_typeET2_T3_PNSH_ISM_E10value_typeET4_T5_PSR_SS_PNS1_23onesweep_lookback_stateEbbT6_jjT7_P12ihipStream_tbENKUlT_T0_SG_SL_E_clISA_SA_SB_SB_EEDaSZ_S10_SG_SL_EUlSZ_E_NS1_11comp_targetILNS1_3genE10ELNS1_11target_archE1201ELNS1_3gpuE5ELNS1_3repE0EEENS1_47radix_sort_onesweep_sort_config_static_selectorELNS0_4arch9wavefront6targetE0EEEvSG_.num_agpr, 0
	.set _ZN7rocprim17ROCPRIM_400000_NS6detail17trampoline_kernelINS0_14default_configENS1_35radix_sort_onesweep_config_selectorIaNS0_10empty_typeEEEZZNS1_29radix_sort_onesweep_iterationIS3_Lb0EPKaPaPS5_SB_mNS0_19identity_decomposerENS1_16block_id_wrapperIjLb1EEEEE10hipError_tT1_PNSt15iterator_traitsISG_E10value_typeET2_T3_PNSH_ISM_E10value_typeET4_T5_PSR_SS_PNS1_23onesweep_lookback_stateEbbT6_jjT7_P12ihipStream_tbENKUlT_T0_SG_SL_E_clISA_SA_SB_SB_EEDaSZ_S10_SG_SL_EUlSZ_E_NS1_11comp_targetILNS1_3genE10ELNS1_11target_archE1201ELNS1_3gpuE5ELNS1_3repE0EEENS1_47radix_sort_onesweep_sort_config_static_selectorELNS0_4arch9wavefront6targetE0EEEvSG_.numbered_sgpr, 0
	.set _ZN7rocprim17ROCPRIM_400000_NS6detail17trampoline_kernelINS0_14default_configENS1_35radix_sort_onesweep_config_selectorIaNS0_10empty_typeEEEZZNS1_29radix_sort_onesweep_iterationIS3_Lb0EPKaPaPS5_SB_mNS0_19identity_decomposerENS1_16block_id_wrapperIjLb1EEEEE10hipError_tT1_PNSt15iterator_traitsISG_E10value_typeET2_T3_PNSH_ISM_E10value_typeET4_T5_PSR_SS_PNS1_23onesweep_lookback_stateEbbT6_jjT7_P12ihipStream_tbENKUlT_T0_SG_SL_E_clISA_SA_SB_SB_EEDaSZ_S10_SG_SL_EUlSZ_E_NS1_11comp_targetILNS1_3genE10ELNS1_11target_archE1201ELNS1_3gpuE5ELNS1_3repE0EEENS1_47radix_sort_onesweep_sort_config_static_selectorELNS0_4arch9wavefront6targetE0EEEvSG_.num_named_barrier, 0
	.set _ZN7rocprim17ROCPRIM_400000_NS6detail17trampoline_kernelINS0_14default_configENS1_35radix_sort_onesweep_config_selectorIaNS0_10empty_typeEEEZZNS1_29radix_sort_onesweep_iterationIS3_Lb0EPKaPaPS5_SB_mNS0_19identity_decomposerENS1_16block_id_wrapperIjLb1EEEEE10hipError_tT1_PNSt15iterator_traitsISG_E10value_typeET2_T3_PNSH_ISM_E10value_typeET4_T5_PSR_SS_PNS1_23onesweep_lookback_stateEbbT6_jjT7_P12ihipStream_tbENKUlT_T0_SG_SL_E_clISA_SA_SB_SB_EEDaSZ_S10_SG_SL_EUlSZ_E_NS1_11comp_targetILNS1_3genE10ELNS1_11target_archE1201ELNS1_3gpuE5ELNS1_3repE0EEENS1_47radix_sort_onesweep_sort_config_static_selectorELNS0_4arch9wavefront6targetE0EEEvSG_.private_seg_size, 0
	.set _ZN7rocprim17ROCPRIM_400000_NS6detail17trampoline_kernelINS0_14default_configENS1_35radix_sort_onesweep_config_selectorIaNS0_10empty_typeEEEZZNS1_29radix_sort_onesweep_iterationIS3_Lb0EPKaPaPS5_SB_mNS0_19identity_decomposerENS1_16block_id_wrapperIjLb1EEEEE10hipError_tT1_PNSt15iterator_traitsISG_E10value_typeET2_T3_PNSH_ISM_E10value_typeET4_T5_PSR_SS_PNS1_23onesweep_lookback_stateEbbT6_jjT7_P12ihipStream_tbENKUlT_T0_SG_SL_E_clISA_SA_SB_SB_EEDaSZ_S10_SG_SL_EUlSZ_E_NS1_11comp_targetILNS1_3genE10ELNS1_11target_archE1201ELNS1_3gpuE5ELNS1_3repE0EEENS1_47radix_sort_onesweep_sort_config_static_selectorELNS0_4arch9wavefront6targetE0EEEvSG_.uses_vcc, 0
	.set _ZN7rocprim17ROCPRIM_400000_NS6detail17trampoline_kernelINS0_14default_configENS1_35radix_sort_onesweep_config_selectorIaNS0_10empty_typeEEEZZNS1_29radix_sort_onesweep_iterationIS3_Lb0EPKaPaPS5_SB_mNS0_19identity_decomposerENS1_16block_id_wrapperIjLb1EEEEE10hipError_tT1_PNSt15iterator_traitsISG_E10value_typeET2_T3_PNSH_ISM_E10value_typeET4_T5_PSR_SS_PNS1_23onesweep_lookback_stateEbbT6_jjT7_P12ihipStream_tbENKUlT_T0_SG_SL_E_clISA_SA_SB_SB_EEDaSZ_S10_SG_SL_EUlSZ_E_NS1_11comp_targetILNS1_3genE10ELNS1_11target_archE1201ELNS1_3gpuE5ELNS1_3repE0EEENS1_47radix_sort_onesweep_sort_config_static_selectorELNS0_4arch9wavefront6targetE0EEEvSG_.uses_flat_scratch, 0
	.set _ZN7rocprim17ROCPRIM_400000_NS6detail17trampoline_kernelINS0_14default_configENS1_35radix_sort_onesweep_config_selectorIaNS0_10empty_typeEEEZZNS1_29radix_sort_onesweep_iterationIS3_Lb0EPKaPaPS5_SB_mNS0_19identity_decomposerENS1_16block_id_wrapperIjLb1EEEEE10hipError_tT1_PNSt15iterator_traitsISG_E10value_typeET2_T3_PNSH_ISM_E10value_typeET4_T5_PSR_SS_PNS1_23onesweep_lookback_stateEbbT6_jjT7_P12ihipStream_tbENKUlT_T0_SG_SL_E_clISA_SA_SB_SB_EEDaSZ_S10_SG_SL_EUlSZ_E_NS1_11comp_targetILNS1_3genE10ELNS1_11target_archE1201ELNS1_3gpuE5ELNS1_3repE0EEENS1_47radix_sort_onesweep_sort_config_static_selectorELNS0_4arch9wavefront6targetE0EEEvSG_.has_dyn_sized_stack, 0
	.set _ZN7rocprim17ROCPRIM_400000_NS6detail17trampoline_kernelINS0_14default_configENS1_35radix_sort_onesweep_config_selectorIaNS0_10empty_typeEEEZZNS1_29radix_sort_onesweep_iterationIS3_Lb0EPKaPaPS5_SB_mNS0_19identity_decomposerENS1_16block_id_wrapperIjLb1EEEEE10hipError_tT1_PNSt15iterator_traitsISG_E10value_typeET2_T3_PNSH_ISM_E10value_typeET4_T5_PSR_SS_PNS1_23onesweep_lookback_stateEbbT6_jjT7_P12ihipStream_tbENKUlT_T0_SG_SL_E_clISA_SA_SB_SB_EEDaSZ_S10_SG_SL_EUlSZ_E_NS1_11comp_targetILNS1_3genE10ELNS1_11target_archE1201ELNS1_3gpuE5ELNS1_3repE0EEENS1_47radix_sort_onesweep_sort_config_static_selectorELNS0_4arch9wavefront6targetE0EEEvSG_.has_recursion, 0
	.set _ZN7rocprim17ROCPRIM_400000_NS6detail17trampoline_kernelINS0_14default_configENS1_35radix_sort_onesweep_config_selectorIaNS0_10empty_typeEEEZZNS1_29radix_sort_onesweep_iterationIS3_Lb0EPKaPaPS5_SB_mNS0_19identity_decomposerENS1_16block_id_wrapperIjLb1EEEEE10hipError_tT1_PNSt15iterator_traitsISG_E10value_typeET2_T3_PNSH_ISM_E10value_typeET4_T5_PSR_SS_PNS1_23onesweep_lookback_stateEbbT6_jjT7_P12ihipStream_tbENKUlT_T0_SG_SL_E_clISA_SA_SB_SB_EEDaSZ_S10_SG_SL_EUlSZ_E_NS1_11comp_targetILNS1_3genE10ELNS1_11target_archE1201ELNS1_3gpuE5ELNS1_3repE0EEENS1_47radix_sort_onesweep_sort_config_static_selectorELNS0_4arch9wavefront6targetE0EEEvSG_.has_indirect_call, 0
	.section	.AMDGPU.csdata,"",@progbits
; Kernel info:
; codeLenInByte = 0
; TotalNumSgprs: 0
; NumVgprs: 0
; ScratchSize: 0
; MemoryBound: 0
; FloatMode: 240
; IeeeMode: 1
; LDSByteSize: 0 bytes/workgroup (compile time only)
; SGPRBlocks: 0
; VGPRBlocks: 0
; NumSGPRsForWavesPerEU: 1
; NumVGPRsForWavesPerEU: 1
; NamedBarCnt: 0
; Occupancy: 16
; WaveLimiterHint : 0
; COMPUTE_PGM_RSRC2:SCRATCH_EN: 0
; COMPUTE_PGM_RSRC2:USER_SGPR: 2
; COMPUTE_PGM_RSRC2:TRAP_HANDLER: 0
; COMPUTE_PGM_RSRC2:TGID_X_EN: 1
; COMPUTE_PGM_RSRC2:TGID_Y_EN: 0
; COMPUTE_PGM_RSRC2:TGID_Z_EN: 0
; COMPUTE_PGM_RSRC2:TIDIG_COMP_CNT: 0
	.section	.text._ZN7rocprim17ROCPRIM_400000_NS6detail17trampoline_kernelINS0_14default_configENS1_35radix_sort_onesweep_config_selectorIaNS0_10empty_typeEEEZZNS1_29radix_sort_onesweep_iterationIS3_Lb0EPKaPaPS5_SB_mNS0_19identity_decomposerENS1_16block_id_wrapperIjLb1EEEEE10hipError_tT1_PNSt15iterator_traitsISG_E10value_typeET2_T3_PNSH_ISM_E10value_typeET4_T5_PSR_SS_PNS1_23onesweep_lookback_stateEbbT6_jjT7_P12ihipStream_tbENKUlT_T0_SG_SL_E_clISA_SA_SB_SB_EEDaSZ_S10_SG_SL_EUlSZ_E_NS1_11comp_targetILNS1_3genE9ELNS1_11target_archE1100ELNS1_3gpuE3ELNS1_3repE0EEENS1_47radix_sort_onesweep_sort_config_static_selectorELNS0_4arch9wavefront6targetE0EEEvSG_,"axG",@progbits,_ZN7rocprim17ROCPRIM_400000_NS6detail17trampoline_kernelINS0_14default_configENS1_35radix_sort_onesweep_config_selectorIaNS0_10empty_typeEEEZZNS1_29radix_sort_onesweep_iterationIS3_Lb0EPKaPaPS5_SB_mNS0_19identity_decomposerENS1_16block_id_wrapperIjLb1EEEEE10hipError_tT1_PNSt15iterator_traitsISG_E10value_typeET2_T3_PNSH_ISM_E10value_typeET4_T5_PSR_SS_PNS1_23onesweep_lookback_stateEbbT6_jjT7_P12ihipStream_tbENKUlT_T0_SG_SL_E_clISA_SA_SB_SB_EEDaSZ_S10_SG_SL_EUlSZ_E_NS1_11comp_targetILNS1_3genE9ELNS1_11target_archE1100ELNS1_3gpuE3ELNS1_3repE0EEENS1_47radix_sort_onesweep_sort_config_static_selectorELNS0_4arch9wavefront6targetE0EEEvSG_,comdat
	.protected	_ZN7rocprim17ROCPRIM_400000_NS6detail17trampoline_kernelINS0_14default_configENS1_35radix_sort_onesweep_config_selectorIaNS0_10empty_typeEEEZZNS1_29radix_sort_onesweep_iterationIS3_Lb0EPKaPaPS5_SB_mNS0_19identity_decomposerENS1_16block_id_wrapperIjLb1EEEEE10hipError_tT1_PNSt15iterator_traitsISG_E10value_typeET2_T3_PNSH_ISM_E10value_typeET4_T5_PSR_SS_PNS1_23onesweep_lookback_stateEbbT6_jjT7_P12ihipStream_tbENKUlT_T0_SG_SL_E_clISA_SA_SB_SB_EEDaSZ_S10_SG_SL_EUlSZ_E_NS1_11comp_targetILNS1_3genE9ELNS1_11target_archE1100ELNS1_3gpuE3ELNS1_3repE0EEENS1_47radix_sort_onesweep_sort_config_static_selectorELNS0_4arch9wavefront6targetE0EEEvSG_ ; -- Begin function _ZN7rocprim17ROCPRIM_400000_NS6detail17trampoline_kernelINS0_14default_configENS1_35radix_sort_onesweep_config_selectorIaNS0_10empty_typeEEEZZNS1_29radix_sort_onesweep_iterationIS3_Lb0EPKaPaPS5_SB_mNS0_19identity_decomposerENS1_16block_id_wrapperIjLb1EEEEE10hipError_tT1_PNSt15iterator_traitsISG_E10value_typeET2_T3_PNSH_ISM_E10value_typeET4_T5_PSR_SS_PNS1_23onesweep_lookback_stateEbbT6_jjT7_P12ihipStream_tbENKUlT_T0_SG_SL_E_clISA_SA_SB_SB_EEDaSZ_S10_SG_SL_EUlSZ_E_NS1_11comp_targetILNS1_3genE9ELNS1_11target_archE1100ELNS1_3gpuE3ELNS1_3repE0EEENS1_47radix_sort_onesweep_sort_config_static_selectorELNS0_4arch9wavefront6targetE0EEEvSG_
	.globl	_ZN7rocprim17ROCPRIM_400000_NS6detail17trampoline_kernelINS0_14default_configENS1_35radix_sort_onesweep_config_selectorIaNS0_10empty_typeEEEZZNS1_29radix_sort_onesweep_iterationIS3_Lb0EPKaPaPS5_SB_mNS0_19identity_decomposerENS1_16block_id_wrapperIjLb1EEEEE10hipError_tT1_PNSt15iterator_traitsISG_E10value_typeET2_T3_PNSH_ISM_E10value_typeET4_T5_PSR_SS_PNS1_23onesweep_lookback_stateEbbT6_jjT7_P12ihipStream_tbENKUlT_T0_SG_SL_E_clISA_SA_SB_SB_EEDaSZ_S10_SG_SL_EUlSZ_E_NS1_11comp_targetILNS1_3genE9ELNS1_11target_archE1100ELNS1_3gpuE3ELNS1_3repE0EEENS1_47radix_sort_onesweep_sort_config_static_selectorELNS0_4arch9wavefront6targetE0EEEvSG_
	.p2align	8
	.type	_ZN7rocprim17ROCPRIM_400000_NS6detail17trampoline_kernelINS0_14default_configENS1_35radix_sort_onesweep_config_selectorIaNS0_10empty_typeEEEZZNS1_29radix_sort_onesweep_iterationIS3_Lb0EPKaPaPS5_SB_mNS0_19identity_decomposerENS1_16block_id_wrapperIjLb1EEEEE10hipError_tT1_PNSt15iterator_traitsISG_E10value_typeET2_T3_PNSH_ISM_E10value_typeET4_T5_PSR_SS_PNS1_23onesweep_lookback_stateEbbT6_jjT7_P12ihipStream_tbENKUlT_T0_SG_SL_E_clISA_SA_SB_SB_EEDaSZ_S10_SG_SL_EUlSZ_E_NS1_11comp_targetILNS1_3genE9ELNS1_11target_archE1100ELNS1_3gpuE3ELNS1_3repE0EEENS1_47radix_sort_onesweep_sort_config_static_selectorELNS0_4arch9wavefront6targetE0EEEvSG_,@function
_ZN7rocprim17ROCPRIM_400000_NS6detail17trampoline_kernelINS0_14default_configENS1_35radix_sort_onesweep_config_selectorIaNS0_10empty_typeEEEZZNS1_29radix_sort_onesweep_iterationIS3_Lb0EPKaPaPS5_SB_mNS0_19identity_decomposerENS1_16block_id_wrapperIjLb1EEEEE10hipError_tT1_PNSt15iterator_traitsISG_E10value_typeET2_T3_PNSH_ISM_E10value_typeET4_T5_PSR_SS_PNS1_23onesweep_lookback_stateEbbT6_jjT7_P12ihipStream_tbENKUlT_T0_SG_SL_E_clISA_SA_SB_SB_EEDaSZ_S10_SG_SL_EUlSZ_E_NS1_11comp_targetILNS1_3genE9ELNS1_11target_archE1100ELNS1_3gpuE3ELNS1_3repE0EEENS1_47radix_sort_onesweep_sort_config_static_selectorELNS0_4arch9wavefront6targetE0EEEvSG_: ; @_ZN7rocprim17ROCPRIM_400000_NS6detail17trampoline_kernelINS0_14default_configENS1_35radix_sort_onesweep_config_selectorIaNS0_10empty_typeEEEZZNS1_29radix_sort_onesweep_iterationIS3_Lb0EPKaPaPS5_SB_mNS0_19identity_decomposerENS1_16block_id_wrapperIjLb1EEEEE10hipError_tT1_PNSt15iterator_traitsISG_E10value_typeET2_T3_PNSH_ISM_E10value_typeET4_T5_PSR_SS_PNS1_23onesweep_lookback_stateEbbT6_jjT7_P12ihipStream_tbENKUlT_T0_SG_SL_E_clISA_SA_SB_SB_EEDaSZ_S10_SG_SL_EUlSZ_E_NS1_11comp_targetILNS1_3genE9ELNS1_11target_archE1100ELNS1_3gpuE3ELNS1_3repE0EEENS1_47radix_sort_onesweep_sort_config_static_selectorELNS0_4arch9wavefront6targetE0EEEvSG_
; %bb.0:
	.section	.rodata,"a",@progbits
	.p2align	6, 0x0
	.amdhsa_kernel _ZN7rocprim17ROCPRIM_400000_NS6detail17trampoline_kernelINS0_14default_configENS1_35radix_sort_onesweep_config_selectorIaNS0_10empty_typeEEEZZNS1_29radix_sort_onesweep_iterationIS3_Lb0EPKaPaPS5_SB_mNS0_19identity_decomposerENS1_16block_id_wrapperIjLb1EEEEE10hipError_tT1_PNSt15iterator_traitsISG_E10value_typeET2_T3_PNSH_ISM_E10value_typeET4_T5_PSR_SS_PNS1_23onesweep_lookback_stateEbbT6_jjT7_P12ihipStream_tbENKUlT_T0_SG_SL_E_clISA_SA_SB_SB_EEDaSZ_S10_SG_SL_EUlSZ_E_NS1_11comp_targetILNS1_3genE9ELNS1_11target_archE1100ELNS1_3gpuE3ELNS1_3repE0EEENS1_47radix_sort_onesweep_sort_config_static_selectorELNS0_4arch9wavefront6targetE0EEEvSG_
		.amdhsa_group_segment_fixed_size 0
		.amdhsa_private_segment_fixed_size 0
		.amdhsa_kernarg_size 88
		.amdhsa_user_sgpr_count 2
		.amdhsa_user_sgpr_dispatch_ptr 0
		.amdhsa_user_sgpr_queue_ptr 0
		.amdhsa_user_sgpr_kernarg_segment_ptr 1
		.amdhsa_user_sgpr_dispatch_id 0
		.amdhsa_user_sgpr_kernarg_preload_length 0
		.amdhsa_user_sgpr_kernarg_preload_offset 0
		.amdhsa_user_sgpr_private_segment_size 0
		.amdhsa_wavefront_size32 1
		.amdhsa_uses_dynamic_stack 0
		.amdhsa_enable_private_segment 0
		.amdhsa_system_sgpr_workgroup_id_x 1
		.amdhsa_system_sgpr_workgroup_id_y 0
		.amdhsa_system_sgpr_workgroup_id_z 0
		.amdhsa_system_sgpr_workgroup_info 0
		.amdhsa_system_vgpr_workitem_id 0
		.amdhsa_next_free_vgpr 1
		.amdhsa_next_free_sgpr 1
		.amdhsa_named_barrier_count 0
		.amdhsa_reserve_vcc 0
		.amdhsa_float_round_mode_32 0
		.amdhsa_float_round_mode_16_64 0
		.amdhsa_float_denorm_mode_32 3
		.amdhsa_float_denorm_mode_16_64 3
		.amdhsa_fp16_overflow 0
		.amdhsa_memory_ordered 1
		.amdhsa_forward_progress 1
		.amdhsa_inst_pref_size 0
		.amdhsa_round_robin_scheduling 0
		.amdhsa_exception_fp_ieee_invalid_op 0
		.amdhsa_exception_fp_denorm_src 0
		.amdhsa_exception_fp_ieee_div_zero 0
		.amdhsa_exception_fp_ieee_overflow 0
		.amdhsa_exception_fp_ieee_underflow 0
		.amdhsa_exception_fp_ieee_inexact 0
		.amdhsa_exception_int_div_zero 0
	.end_amdhsa_kernel
	.section	.text._ZN7rocprim17ROCPRIM_400000_NS6detail17trampoline_kernelINS0_14default_configENS1_35radix_sort_onesweep_config_selectorIaNS0_10empty_typeEEEZZNS1_29radix_sort_onesweep_iterationIS3_Lb0EPKaPaPS5_SB_mNS0_19identity_decomposerENS1_16block_id_wrapperIjLb1EEEEE10hipError_tT1_PNSt15iterator_traitsISG_E10value_typeET2_T3_PNSH_ISM_E10value_typeET4_T5_PSR_SS_PNS1_23onesweep_lookback_stateEbbT6_jjT7_P12ihipStream_tbENKUlT_T0_SG_SL_E_clISA_SA_SB_SB_EEDaSZ_S10_SG_SL_EUlSZ_E_NS1_11comp_targetILNS1_3genE9ELNS1_11target_archE1100ELNS1_3gpuE3ELNS1_3repE0EEENS1_47radix_sort_onesweep_sort_config_static_selectorELNS0_4arch9wavefront6targetE0EEEvSG_,"axG",@progbits,_ZN7rocprim17ROCPRIM_400000_NS6detail17trampoline_kernelINS0_14default_configENS1_35radix_sort_onesweep_config_selectorIaNS0_10empty_typeEEEZZNS1_29radix_sort_onesweep_iterationIS3_Lb0EPKaPaPS5_SB_mNS0_19identity_decomposerENS1_16block_id_wrapperIjLb1EEEEE10hipError_tT1_PNSt15iterator_traitsISG_E10value_typeET2_T3_PNSH_ISM_E10value_typeET4_T5_PSR_SS_PNS1_23onesweep_lookback_stateEbbT6_jjT7_P12ihipStream_tbENKUlT_T0_SG_SL_E_clISA_SA_SB_SB_EEDaSZ_S10_SG_SL_EUlSZ_E_NS1_11comp_targetILNS1_3genE9ELNS1_11target_archE1100ELNS1_3gpuE3ELNS1_3repE0EEENS1_47radix_sort_onesweep_sort_config_static_selectorELNS0_4arch9wavefront6targetE0EEEvSG_,comdat
.Lfunc_end482:
	.size	_ZN7rocprim17ROCPRIM_400000_NS6detail17trampoline_kernelINS0_14default_configENS1_35radix_sort_onesweep_config_selectorIaNS0_10empty_typeEEEZZNS1_29radix_sort_onesweep_iterationIS3_Lb0EPKaPaPS5_SB_mNS0_19identity_decomposerENS1_16block_id_wrapperIjLb1EEEEE10hipError_tT1_PNSt15iterator_traitsISG_E10value_typeET2_T3_PNSH_ISM_E10value_typeET4_T5_PSR_SS_PNS1_23onesweep_lookback_stateEbbT6_jjT7_P12ihipStream_tbENKUlT_T0_SG_SL_E_clISA_SA_SB_SB_EEDaSZ_S10_SG_SL_EUlSZ_E_NS1_11comp_targetILNS1_3genE9ELNS1_11target_archE1100ELNS1_3gpuE3ELNS1_3repE0EEENS1_47radix_sort_onesweep_sort_config_static_selectorELNS0_4arch9wavefront6targetE0EEEvSG_, .Lfunc_end482-_ZN7rocprim17ROCPRIM_400000_NS6detail17trampoline_kernelINS0_14default_configENS1_35radix_sort_onesweep_config_selectorIaNS0_10empty_typeEEEZZNS1_29radix_sort_onesweep_iterationIS3_Lb0EPKaPaPS5_SB_mNS0_19identity_decomposerENS1_16block_id_wrapperIjLb1EEEEE10hipError_tT1_PNSt15iterator_traitsISG_E10value_typeET2_T3_PNSH_ISM_E10value_typeET4_T5_PSR_SS_PNS1_23onesweep_lookback_stateEbbT6_jjT7_P12ihipStream_tbENKUlT_T0_SG_SL_E_clISA_SA_SB_SB_EEDaSZ_S10_SG_SL_EUlSZ_E_NS1_11comp_targetILNS1_3genE9ELNS1_11target_archE1100ELNS1_3gpuE3ELNS1_3repE0EEENS1_47radix_sort_onesweep_sort_config_static_selectorELNS0_4arch9wavefront6targetE0EEEvSG_
                                        ; -- End function
	.set _ZN7rocprim17ROCPRIM_400000_NS6detail17trampoline_kernelINS0_14default_configENS1_35radix_sort_onesweep_config_selectorIaNS0_10empty_typeEEEZZNS1_29radix_sort_onesweep_iterationIS3_Lb0EPKaPaPS5_SB_mNS0_19identity_decomposerENS1_16block_id_wrapperIjLb1EEEEE10hipError_tT1_PNSt15iterator_traitsISG_E10value_typeET2_T3_PNSH_ISM_E10value_typeET4_T5_PSR_SS_PNS1_23onesweep_lookback_stateEbbT6_jjT7_P12ihipStream_tbENKUlT_T0_SG_SL_E_clISA_SA_SB_SB_EEDaSZ_S10_SG_SL_EUlSZ_E_NS1_11comp_targetILNS1_3genE9ELNS1_11target_archE1100ELNS1_3gpuE3ELNS1_3repE0EEENS1_47radix_sort_onesweep_sort_config_static_selectorELNS0_4arch9wavefront6targetE0EEEvSG_.num_vgpr, 0
	.set _ZN7rocprim17ROCPRIM_400000_NS6detail17trampoline_kernelINS0_14default_configENS1_35radix_sort_onesweep_config_selectorIaNS0_10empty_typeEEEZZNS1_29radix_sort_onesweep_iterationIS3_Lb0EPKaPaPS5_SB_mNS0_19identity_decomposerENS1_16block_id_wrapperIjLb1EEEEE10hipError_tT1_PNSt15iterator_traitsISG_E10value_typeET2_T3_PNSH_ISM_E10value_typeET4_T5_PSR_SS_PNS1_23onesweep_lookback_stateEbbT6_jjT7_P12ihipStream_tbENKUlT_T0_SG_SL_E_clISA_SA_SB_SB_EEDaSZ_S10_SG_SL_EUlSZ_E_NS1_11comp_targetILNS1_3genE9ELNS1_11target_archE1100ELNS1_3gpuE3ELNS1_3repE0EEENS1_47radix_sort_onesweep_sort_config_static_selectorELNS0_4arch9wavefront6targetE0EEEvSG_.num_agpr, 0
	.set _ZN7rocprim17ROCPRIM_400000_NS6detail17trampoline_kernelINS0_14default_configENS1_35radix_sort_onesweep_config_selectorIaNS0_10empty_typeEEEZZNS1_29radix_sort_onesweep_iterationIS3_Lb0EPKaPaPS5_SB_mNS0_19identity_decomposerENS1_16block_id_wrapperIjLb1EEEEE10hipError_tT1_PNSt15iterator_traitsISG_E10value_typeET2_T3_PNSH_ISM_E10value_typeET4_T5_PSR_SS_PNS1_23onesweep_lookback_stateEbbT6_jjT7_P12ihipStream_tbENKUlT_T0_SG_SL_E_clISA_SA_SB_SB_EEDaSZ_S10_SG_SL_EUlSZ_E_NS1_11comp_targetILNS1_3genE9ELNS1_11target_archE1100ELNS1_3gpuE3ELNS1_3repE0EEENS1_47radix_sort_onesweep_sort_config_static_selectorELNS0_4arch9wavefront6targetE0EEEvSG_.numbered_sgpr, 0
	.set _ZN7rocprim17ROCPRIM_400000_NS6detail17trampoline_kernelINS0_14default_configENS1_35radix_sort_onesweep_config_selectorIaNS0_10empty_typeEEEZZNS1_29radix_sort_onesweep_iterationIS3_Lb0EPKaPaPS5_SB_mNS0_19identity_decomposerENS1_16block_id_wrapperIjLb1EEEEE10hipError_tT1_PNSt15iterator_traitsISG_E10value_typeET2_T3_PNSH_ISM_E10value_typeET4_T5_PSR_SS_PNS1_23onesweep_lookback_stateEbbT6_jjT7_P12ihipStream_tbENKUlT_T0_SG_SL_E_clISA_SA_SB_SB_EEDaSZ_S10_SG_SL_EUlSZ_E_NS1_11comp_targetILNS1_3genE9ELNS1_11target_archE1100ELNS1_3gpuE3ELNS1_3repE0EEENS1_47radix_sort_onesweep_sort_config_static_selectorELNS0_4arch9wavefront6targetE0EEEvSG_.num_named_barrier, 0
	.set _ZN7rocprim17ROCPRIM_400000_NS6detail17trampoline_kernelINS0_14default_configENS1_35radix_sort_onesweep_config_selectorIaNS0_10empty_typeEEEZZNS1_29radix_sort_onesweep_iterationIS3_Lb0EPKaPaPS5_SB_mNS0_19identity_decomposerENS1_16block_id_wrapperIjLb1EEEEE10hipError_tT1_PNSt15iterator_traitsISG_E10value_typeET2_T3_PNSH_ISM_E10value_typeET4_T5_PSR_SS_PNS1_23onesweep_lookback_stateEbbT6_jjT7_P12ihipStream_tbENKUlT_T0_SG_SL_E_clISA_SA_SB_SB_EEDaSZ_S10_SG_SL_EUlSZ_E_NS1_11comp_targetILNS1_3genE9ELNS1_11target_archE1100ELNS1_3gpuE3ELNS1_3repE0EEENS1_47radix_sort_onesweep_sort_config_static_selectorELNS0_4arch9wavefront6targetE0EEEvSG_.private_seg_size, 0
	.set _ZN7rocprim17ROCPRIM_400000_NS6detail17trampoline_kernelINS0_14default_configENS1_35radix_sort_onesweep_config_selectorIaNS0_10empty_typeEEEZZNS1_29radix_sort_onesweep_iterationIS3_Lb0EPKaPaPS5_SB_mNS0_19identity_decomposerENS1_16block_id_wrapperIjLb1EEEEE10hipError_tT1_PNSt15iterator_traitsISG_E10value_typeET2_T3_PNSH_ISM_E10value_typeET4_T5_PSR_SS_PNS1_23onesweep_lookback_stateEbbT6_jjT7_P12ihipStream_tbENKUlT_T0_SG_SL_E_clISA_SA_SB_SB_EEDaSZ_S10_SG_SL_EUlSZ_E_NS1_11comp_targetILNS1_3genE9ELNS1_11target_archE1100ELNS1_3gpuE3ELNS1_3repE0EEENS1_47radix_sort_onesweep_sort_config_static_selectorELNS0_4arch9wavefront6targetE0EEEvSG_.uses_vcc, 0
	.set _ZN7rocprim17ROCPRIM_400000_NS6detail17trampoline_kernelINS0_14default_configENS1_35radix_sort_onesweep_config_selectorIaNS0_10empty_typeEEEZZNS1_29radix_sort_onesweep_iterationIS3_Lb0EPKaPaPS5_SB_mNS0_19identity_decomposerENS1_16block_id_wrapperIjLb1EEEEE10hipError_tT1_PNSt15iterator_traitsISG_E10value_typeET2_T3_PNSH_ISM_E10value_typeET4_T5_PSR_SS_PNS1_23onesweep_lookback_stateEbbT6_jjT7_P12ihipStream_tbENKUlT_T0_SG_SL_E_clISA_SA_SB_SB_EEDaSZ_S10_SG_SL_EUlSZ_E_NS1_11comp_targetILNS1_3genE9ELNS1_11target_archE1100ELNS1_3gpuE3ELNS1_3repE0EEENS1_47radix_sort_onesweep_sort_config_static_selectorELNS0_4arch9wavefront6targetE0EEEvSG_.uses_flat_scratch, 0
	.set _ZN7rocprim17ROCPRIM_400000_NS6detail17trampoline_kernelINS0_14default_configENS1_35radix_sort_onesweep_config_selectorIaNS0_10empty_typeEEEZZNS1_29radix_sort_onesweep_iterationIS3_Lb0EPKaPaPS5_SB_mNS0_19identity_decomposerENS1_16block_id_wrapperIjLb1EEEEE10hipError_tT1_PNSt15iterator_traitsISG_E10value_typeET2_T3_PNSH_ISM_E10value_typeET4_T5_PSR_SS_PNS1_23onesweep_lookback_stateEbbT6_jjT7_P12ihipStream_tbENKUlT_T0_SG_SL_E_clISA_SA_SB_SB_EEDaSZ_S10_SG_SL_EUlSZ_E_NS1_11comp_targetILNS1_3genE9ELNS1_11target_archE1100ELNS1_3gpuE3ELNS1_3repE0EEENS1_47radix_sort_onesweep_sort_config_static_selectorELNS0_4arch9wavefront6targetE0EEEvSG_.has_dyn_sized_stack, 0
	.set _ZN7rocprim17ROCPRIM_400000_NS6detail17trampoline_kernelINS0_14default_configENS1_35radix_sort_onesweep_config_selectorIaNS0_10empty_typeEEEZZNS1_29radix_sort_onesweep_iterationIS3_Lb0EPKaPaPS5_SB_mNS0_19identity_decomposerENS1_16block_id_wrapperIjLb1EEEEE10hipError_tT1_PNSt15iterator_traitsISG_E10value_typeET2_T3_PNSH_ISM_E10value_typeET4_T5_PSR_SS_PNS1_23onesweep_lookback_stateEbbT6_jjT7_P12ihipStream_tbENKUlT_T0_SG_SL_E_clISA_SA_SB_SB_EEDaSZ_S10_SG_SL_EUlSZ_E_NS1_11comp_targetILNS1_3genE9ELNS1_11target_archE1100ELNS1_3gpuE3ELNS1_3repE0EEENS1_47radix_sort_onesweep_sort_config_static_selectorELNS0_4arch9wavefront6targetE0EEEvSG_.has_recursion, 0
	.set _ZN7rocprim17ROCPRIM_400000_NS6detail17trampoline_kernelINS0_14default_configENS1_35radix_sort_onesweep_config_selectorIaNS0_10empty_typeEEEZZNS1_29radix_sort_onesweep_iterationIS3_Lb0EPKaPaPS5_SB_mNS0_19identity_decomposerENS1_16block_id_wrapperIjLb1EEEEE10hipError_tT1_PNSt15iterator_traitsISG_E10value_typeET2_T3_PNSH_ISM_E10value_typeET4_T5_PSR_SS_PNS1_23onesweep_lookback_stateEbbT6_jjT7_P12ihipStream_tbENKUlT_T0_SG_SL_E_clISA_SA_SB_SB_EEDaSZ_S10_SG_SL_EUlSZ_E_NS1_11comp_targetILNS1_3genE9ELNS1_11target_archE1100ELNS1_3gpuE3ELNS1_3repE0EEENS1_47radix_sort_onesweep_sort_config_static_selectorELNS0_4arch9wavefront6targetE0EEEvSG_.has_indirect_call, 0
	.section	.AMDGPU.csdata,"",@progbits
; Kernel info:
; codeLenInByte = 0
; TotalNumSgprs: 0
; NumVgprs: 0
; ScratchSize: 0
; MemoryBound: 0
; FloatMode: 240
; IeeeMode: 1
; LDSByteSize: 0 bytes/workgroup (compile time only)
; SGPRBlocks: 0
; VGPRBlocks: 0
; NumSGPRsForWavesPerEU: 1
; NumVGPRsForWavesPerEU: 1
; NamedBarCnt: 0
; Occupancy: 16
; WaveLimiterHint : 0
; COMPUTE_PGM_RSRC2:SCRATCH_EN: 0
; COMPUTE_PGM_RSRC2:USER_SGPR: 2
; COMPUTE_PGM_RSRC2:TRAP_HANDLER: 0
; COMPUTE_PGM_RSRC2:TGID_X_EN: 1
; COMPUTE_PGM_RSRC2:TGID_Y_EN: 0
; COMPUTE_PGM_RSRC2:TGID_Z_EN: 0
; COMPUTE_PGM_RSRC2:TIDIG_COMP_CNT: 0
	.section	.text._ZN7rocprim17ROCPRIM_400000_NS6detail17trampoline_kernelINS0_14default_configENS1_35radix_sort_onesweep_config_selectorIaNS0_10empty_typeEEEZZNS1_29radix_sort_onesweep_iterationIS3_Lb0EPKaPaPS5_SB_mNS0_19identity_decomposerENS1_16block_id_wrapperIjLb1EEEEE10hipError_tT1_PNSt15iterator_traitsISG_E10value_typeET2_T3_PNSH_ISM_E10value_typeET4_T5_PSR_SS_PNS1_23onesweep_lookback_stateEbbT6_jjT7_P12ihipStream_tbENKUlT_T0_SG_SL_E_clISA_SA_SB_SB_EEDaSZ_S10_SG_SL_EUlSZ_E_NS1_11comp_targetILNS1_3genE8ELNS1_11target_archE1030ELNS1_3gpuE2ELNS1_3repE0EEENS1_47radix_sort_onesweep_sort_config_static_selectorELNS0_4arch9wavefront6targetE0EEEvSG_,"axG",@progbits,_ZN7rocprim17ROCPRIM_400000_NS6detail17trampoline_kernelINS0_14default_configENS1_35radix_sort_onesweep_config_selectorIaNS0_10empty_typeEEEZZNS1_29radix_sort_onesweep_iterationIS3_Lb0EPKaPaPS5_SB_mNS0_19identity_decomposerENS1_16block_id_wrapperIjLb1EEEEE10hipError_tT1_PNSt15iterator_traitsISG_E10value_typeET2_T3_PNSH_ISM_E10value_typeET4_T5_PSR_SS_PNS1_23onesweep_lookback_stateEbbT6_jjT7_P12ihipStream_tbENKUlT_T0_SG_SL_E_clISA_SA_SB_SB_EEDaSZ_S10_SG_SL_EUlSZ_E_NS1_11comp_targetILNS1_3genE8ELNS1_11target_archE1030ELNS1_3gpuE2ELNS1_3repE0EEENS1_47radix_sort_onesweep_sort_config_static_selectorELNS0_4arch9wavefront6targetE0EEEvSG_,comdat
	.protected	_ZN7rocprim17ROCPRIM_400000_NS6detail17trampoline_kernelINS0_14default_configENS1_35radix_sort_onesweep_config_selectorIaNS0_10empty_typeEEEZZNS1_29radix_sort_onesweep_iterationIS3_Lb0EPKaPaPS5_SB_mNS0_19identity_decomposerENS1_16block_id_wrapperIjLb1EEEEE10hipError_tT1_PNSt15iterator_traitsISG_E10value_typeET2_T3_PNSH_ISM_E10value_typeET4_T5_PSR_SS_PNS1_23onesweep_lookback_stateEbbT6_jjT7_P12ihipStream_tbENKUlT_T0_SG_SL_E_clISA_SA_SB_SB_EEDaSZ_S10_SG_SL_EUlSZ_E_NS1_11comp_targetILNS1_3genE8ELNS1_11target_archE1030ELNS1_3gpuE2ELNS1_3repE0EEENS1_47radix_sort_onesweep_sort_config_static_selectorELNS0_4arch9wavefront6targetE0EEEvSG_ ; -- Begin function _ZN7rocprim17ROCPRIM_400000_NS6detail17trampoline_kernelINS0_14default_configENS1_35radix_sort_onesweep_config_selectorIaNS0_10empty_typeEEEZZNS1_29radix_sort_onesweep_iterationIS3_Lb0EPKaPaPS5_SB_mNS0_19identity_decomposerENS1_16block_id_wrapperIjLb1EEEEE10hipError_tT1_PNSt15iterator_traitsISG_E10value_typeET2_T3_PNSH_ISM_E10value_typeET4_T5_PSR_SS_PNS1_23onesweep_lookback_stateEbbT6_jjT7_P12ihipStream_tbENKUlT_T0_SG_SL_E_clISA_SA_SB_SB_EEDaSZ_S10_SG_SL_EUlSZ_E_NS1_11comp_targetILNS1_3genE8ELNS1_11target_archE1030ELNS1_3gpuE2ELNS1_3repE0EEENS1_47radix_sort_onesweep_sort_config_static_selectorELNS0_4arch9wavefront6targetE0EEEvSG_
	.globl	_ZN7rocprim17ROCPRIM_400000_NS6detail17trampoline_kernelINS0_14default_configENS1_35radix_sort_onesweep_config_selectorIaNS0_10empty_typeEEEZZNS1_29radix_sort_onesweep_iterationIS3_Lb0EPKaPaPS5_SB_mNS0_19identity_decomposerENS1_16block_id_wrapperIjLb1EEEEE10hipError_tT1_PNSt15iterator_traitsISG_E10value_typeET2_T3_PNSH_ISM_E10value_typeET4_T5_PSR_SS_PNS1_23onesweep_lookback_stateEbbT6_jjT7_P12ihipStream_tbENKUlT_T0_SG_SL_E_clISA_SA_SB_SB_EEDaSZ_S10_SG_SL_EUlSZ_E_NS1_11comp_targetILNS1_3genE8ELNS1_11target_archE1030ELNS1_3gpuE2ELNS1_3repE0EEENS1_47radix_sort_onesweep_sort_config_static_selectorELNS0_4arch9wavefront6targetE0EEEvSG_
	.p2align	8
	.type	_ZN7rocprim17ROCPRIM_400000_NS6detail17trampoline_kernelINS0_14default_configENS1_35radix_sort_onesweep_config_selectorIaNS0_10empty_typeEEEZZNS1_29radix_sort_onesweep_iterationIS3_Lb0EPKaPaPS5_SB_mNS0_19identity_decomposerENS1_16block_id_wrapperIjLb1EEEEE10hipError_tT1_PNSt15iterator_traitsISG_E10value_typeET2_T3_PNSH_ISM_E10value_typeET4_T5_PSR_SS_PNS1_23onesweep_lookback_stateEbbT6_jjT7_P12ihipStream_tbENKUlT_T0_SG_SL_E_clISA_SA_SB_SB_EEDaSZ_S10_SG_SL_EUlSZ_E_NS1_11comp_targetILNS1_3genE8ELNS1_11target_archE1030ELNS1_3gpuE2ELNS1_3repE0EEENS1_47radix_sort_onesweep_sort_config_static_selectorELNS0_4arch9wavefront6targetE0EEEvSG_,@function
_ZN7rocprim17ROCPRIM_400000_NS6detail17trampoline_kernelINS0_14default_configENS1_35radix_sort_onesweep_config_selectorIaNS0_10empty_typeEEEZZNS1_29radix_sort_onesweep_iterationIS3_Lb0EPKaPaPS5_SB_mNS0_19identity_decomposerENS1_16block_id_wrapperIjLb1EEEEE10hipError_tT1_PNSt15iterator_traitsISG_E10value_typeET2_T3_PNSH_ISM_E10value_typeET4_T5_PSR_SS_PNS1_23onesweep_lookback_stateEbbT6_jjT7_P12ihipStream_tbENKUlT_T0_SG_SL_E_clISA_SA_SB_SB_EEDaSZ_S10_SG_SL_EUlSZ_E_NS1_11comp_targetILNS1_3genE8ELNS1_11target_archE1030ELNS1_3gpuE2ELNS1_3repE0EEENS1_47radix_sort_onesweep_sort_config_static_selectorELNS0_4arch9wavefront6targetE0EEEvSG_: ; @_ZN7rocprim17ROCPRIM_400000_NS6detail17trampoline_kernelINS0_14default_configENS1_35radix_sort_onesweep_config_selectorIaNS0_10empty_typeEEEZZNS1_29radix_sort_onesweep_iterationIS3_Lb0EPKaPaPS5_SB_mNS0_19identity_decomposerENS1_16block_id_wrapperIjLb1EEEEE10hipError_tT1_PNSt15iterator_traitsISG_E10value_typeET2_T3_PNSH_ISM_E10value_typeET4_T5_PSR_SS_PNS1_23onesweep_lookback_stateEbbT6_jjT7_P12ihipStream_tbENKUlT_T0_SG_SL_E_clISA_SA_SB_SB_EEDaSZ_S10_SG_SL_EUlSZ_E_NS1_11comp_targetILNS1_3genE8ELNS1_11target_archE1030ELNS1_3gpuE2ELNS1_3repE0EEENS1_47radix_sort_onesweep_sort_config_static_selectorELNS0_4arch9wavefront6targetE0EEEvSG_
; %bb.0:
	.section	.rodata,"a",@progbits
	.p2align	6, 0x0
	.amdhsa_kernel _ZN7rocprim17ROCPRIM_400000_NS6detail17trampoline_kernelINS0_14default_configENS1_35radix_sort_onesweep_config_selectorIaNS0_10empty_typeEEEZZNS1_29radix_sort_onesweep_iterationIS3_Lb0EPKaPaPS5_SB_mNS0_19identity_decomposerENS1_16block_id_wrapperIjLb1EEEEE10hipError_tT1_PNSt15iterator_traitsISG_E10value_typeET2_T3_PNSH_ISM_E10value_typeET4_T5_PSR_SS_PNS1_23onesweep_lookback_stateEbbT6_jjT7_P12ihipStream_tbENKUlT_T0_SG_SL_E_clISA_SA_SB_SB_EEDaSZ_S10_SG_SL_EUlSZ_E_NS1_11comp_targetILNS1_3genE8ELNS1_11target_archE1030ELNS1_3gpuE2ELNS1_3repE0EEENS1_47radix_sort_onesweep_sort_config_static_selectorELNS0_4arch9wavefront6targetE0EEEvSG_
		.amdhsa_group_segment_fixed_size 0
		.amdhsa_private_segment_fixed_size 0
		.amdhsa_kernarg_size 88
		.amdhsa_user_sgpr_count 2
		.amdhsa_user_sgpr_dispatch_ptr 0
		.amdhsa_user_sgpr_queue_ptr 0
		.amdhsa_user_sgpr_kernarg_segment_ptr 1
		.amdhsa_user_sgpr_dispatch_id 0
		.amdhsa_user_sgpr_kernarg_preload_length 0
		.amdhsa_user_sgpr_kernarg_preload_offset 0
		.amdhsa_user_sgpr_private_segment_size 0
		.amdhsa_wavefront_size32 1
		.amdhsa_uses_dynamic_stack 0
		.amdhsa_enable_private_segment 0
		.amdhsa_system_sgpr_workgroup_id_x 1
		.amdhsa_system_sgpr_workgroup_id_y 0
		.amdhsa_system_sgpr_workgroup_id_z 0
		.amdhsa_system_sgpr_workgroup_info 0
		.amdhsa_system_vgpr_workitem_id 0
		.amdhsa_next_free_vgpr 1
		.amdhsa_next_free_sgpr 1
		.amdhsa_named_barrier_count 0
		.amdhsa_reserve_vcc 0
		.amdhsa_float_round_mode_32 0
		.amdhsa_float_round_mode_16_64 0
		.amdhsa_float_denorm_mode_32 3
		.amdhsa_float_denorm_mode_16_64 3
		.amdhsa_fp16_overflow 0
		.amdhsa_memory_ordered 1
		.amdhsa_forward_progress 1
		.amdhsa_inst_pref_size 0
		.amdhsa_round_robin_scheduling 0
		.amdhsa_exception_fp_ieee_invalid_op 0
		.amdhsa_exception_fp_denorm_src 0
		.amdhsa_exception_fp_ieee_div_zero 0
		.amdhsa_exception_fp_ieee_overflow 0
		.amdhsa_exception_fp_ieee_underflow 0
		.amdhsa_exception_fp_ieee_inexact 0
		.amdhsa_exception_int_div_zero 0
	.end_amdhsa_kernel
	.section	.text._ZN7rocprim17ROCPRIM_400000_NS6detail17trampoline_kernelINS0_14default_configENS1_35radix_sort_onesweep_config_selectorIaNS0_10empty_typeEEEZZNS1_29radix_sort_onesweep_iterationIS3_Lb0EPKaPaPS5_SB_mNS0_19identity_decomposerENS1_16block_id_wrapperIjLb1EEEEE10hipError_tT1_PNSt15iterator_traitsISG_E10value_typeET2_T3_PNSH_ISM_E10value_typeET4_T5_PSR_SS_PNS1_23onesweep_lookback_stateEbbT6_jjT7_P12ihipStream_tbENKUlT_T0_SG_SL_E_clISA_SA_SB_SB_EEDaSZ_S10_SG_SL_EUlSZ_E_NS1_11comp_targetILNS1_3genE8ELNS1_11target_archE1030ELNS1_3gpuE2ELNS1_3repE0EEENS1_47radix_sort_onesweep_sort_config_static_selectorELNS0_4arch9wavefront6targetE0EEEvSG_,"axG",@progbits,_ZN7rocprim17ROCPRIM_400000_NS6detail17trampoline_kernelINS0_14default_configENS1_35radix_sort_onesweep_config_selectorIaNS0_10empty_typeEEEZZNS1_29radix_sort_onesweep_iterationIS3_Lb0EPKaPaPS5_SB_mNS0_19identity_decomposerENS1_16block_id_wrapperIjLb1EEEEE10hipError_tT1_PNSt15iterator_traitsISG_E10value_typeET2_T3_PNSH_ISM_E10value_typeET4_T5_PSR_SS_PNS1_23onesweep_lookback_stateEbbT6_jjT7_P12ihipStream_tbENKUlT_T0_SG_SL_E_clISA_SA_SB_SB_EEDaSZ_S10_SG_SL_EUlSZ_E_NS1_11comp_targetILNS1_3genE8ELNS1_11target_archE1030ELNS1_3gpuE2ELNS1_3repE0EEENS1_47radix_sort_onesweep_sort_config_static_selectorELNS0_4arch9wavefront6targetE0EEEvSG_,comdat
.Lfunc_end483:
	.size	_ZN7rocprim17ROCPRIM_400000_NS6detail17trampoline_kernelINS0_14default_configENS1_35radix_sort_onesweep_config_selectorIaNS0_10empty_typeEEEZZNS1_29radix_sort_onesweep_iterationIS3_Lb0EPKaPaPS5_SB_mNS0_19identity_decomposerENS1_16block_id_wrapperIjLb1EEEEE10hipError_tT1_PNSt15iterator_traitsISG_E10value_typeET2_T3_PNSH_ISM_E10value_typeET4_T5_PSR_SS_PNS1_23onesweep_lookback_stateEbbT6_jjT7_P12ihipStream_tbENKUlT_T0_SG_SL_E_clISA_SA_SB_SB_EEDaSZ_S10_SG_SL_EUlSZ_E_NS1_11comp_targetILNS1_3genE8ELNS1_11target_archE1030ELNS1_3gpuE2ELNS1_3repE0EEENS1_47radix_sort_onesweep_sort_config_static_selectorELNS0_4arch9wavefront6targetE0EEEvSG_, .Lfunc_end483-_ZN7rocprim17ROCPRIM_400000_NS6detail17trampoline_kernelINS0_14default_configENS1_35radix_sort_onesweep_config_selectorIaNS0_10empty_typeEEEZZNS1_29radix_sort_onesweep_iterationIS3_Lb0EPKaPaPS5_SB_mNS0_19identity_decomposerENS1_16block_id_wrapperIjLb1EEEEE10hipError_tT1_PNSt15iterator_traitsISG_E10value_typeET2_T3_PNSH_ISM_E10value_typeET4_T5_PSR_SS_PNS1_23onesweep_lookback_stateEbbT6_jjT7_P12ihipStream_tbENKUlT_T0_SG_SL_E_clISA_SA_SB_SB_EEDaSZ_S10_SG_SL_EUlSZ_E_NS1_11comp_targetILNS1_3genE8ELNS1_11target_archE1030ELNS1_3gpuE2ELNS1_3repE0EEENS1_47radix_sort_onesweep_sort_config_static_selectorELNS0_4arch9wavefront6targetE0EEEvSG_
                                        ; -- End function
	.set _ZN7rocprim17ROCPRIM_400000_NS6detail17trampoline_kernelINS0_14default_configENS1_35radix_sort_onesweep_config_selectorIaNS0_10empty_typeEEEZZNS1_29radix_sort_onesweep_iterationIS3_Lb0EPKaPaPS5_SB_mNS0_19identity_decomposerENS1_16block_id_wrapperIjLb1EEEEE10hipError_tT1_PNSt15iterator_traitsISG_E10value_typeET2_T3_PNSH_ISM_E10value_typeET4_T5_PSR_SS_PNS1_23onesweep_lookback_stateEbbT6_jjT7_P12ihipStream_tbENKUlT_T0_SG_SL_E_clISA_SA_SB_SB_EEDaSZ_S10_SG_SL_EUlSZ_E_NS1_11comp_targetILNS1_3genE8ELNS1_11target_archE1030ELNS1_3gpuE2ELNS1_3repE0EEENS1_47radix_sort_onesweep_sort_config_static_selectorELNS0_4arch9wavefront6targetE0EEEvSG_.num_vgpr, 0
	.set _ZN7rocprim17ROCPRIM_400000_NS6detail17trampoline_kernelINS0_14default_configENS1_35radix_sort_onesweep_config_selectorIaNS0_10empty_typeEEEZZNS1_29radix_sort_onesweep_iterationIS3_Lb0EPKaPaPS5_SB_mNS0_19identity_decomposerENS1_16block_id_wrapperIjLb1EEEEE10hipError_tT1_PNSt15iterator_traitsISG_E10value_typeET2_T3_PNSH_ISM_E10value_typeET4_T5_PSR_SS_PNS1_23onesweep_lookback_stateEbbT6_jjT7_P12ihipStream_tbENKUlT_T0_SG_SL_E_clISA_SA_SB_SB_EEDaSZ_S10_SG_SL_EUlSZ_E_NS1_11comp_targetILNS1_3genE8ELNS1_11target_archE1030ELNS1_3gpuE2ELNS1_3repE0EEENS1_47radix_sort_onesweep_sort_config_static_selectorELNS0_4arch9wavefront6targetE0EEEvSG_.num_agpr, 0
	.set _ZN7rocprim17ROCPRIM_400000_NS6detail17trampoline_kernelINS0_14default_configENS1_35radix_sort_onesweep_config_selectorIaNS0_10empty_typeEEEZZNS1_29radix_sort_onesweep_iterationIS3_Lb0EPKaPaPS5_SB_mNS0_19identity_decomposerENS1_16block_id_wrapperIjLb1EEEEE10hipError_tT1_PNSt15iterator_traitsISG_E10value_typeET2_T3_PNSH_ISM_E10value_typeET4_T5_PSR_SS_PNS1_23onesweep_lookback_stateEbbT6_jjT7_P12ihipStream_tbENKUlT_T0_SG_SL_E_clISA_SA_SB_SB_EEDaSZ_S10_SG_SL_EUlSZ_E_NS1_11comp_targetILNS1_3genE8ELNS1_11target_archE1030ELNS1_3gpuE2ELNS1_3repE0EEENS1_47radix_sort_onesweep_sort_config_static_selectorELNS0_4arch9wavefront6targetE0EEEvSG_.numbered_sgpr, 0
	.set _ZN7rocprim17ROCPRIM_400000_NS6detail17trampoline_kernelINS0_14default_configENS1_35radix_sort_onesweep_config_selectorIaNS0_10empty_typeEEEZZNS1_29radix_sort_onesweep_iterationIS3_Lb0EPKaPaPS5_SB_mNS0_19identity_decomposerENS1_16block_id_wrapperIjLb1EEEEE10hipError_tT1_PNSt15iterator_traitsISG_E10value_typeET2_T3_PNSH_ISM_E10value_typeET4_T5_PSR_SS_PNS1_23onesweep_lookback_stateEbbT6_jjT7_P12ihipStream_tbENKUlT_T0_SG_SL_E_clISA_SA_SB_SB_EEDaSZ_S10_SG_SL_EUlSZ_E_NS1_11comp_targetILNS1_3genE8ELNS1_11target_archE1030ELNS1_3gpuE2ELNS1_3repE0EEENS1_47radix_sort_onesweep_sort_config_static_selectorELNS0_4arch9wavefront6targetE0EEEvSG_.num_named_barrier, 0
	.set _ZN7rocprim17ROCPRIM_400000_NS6detail17trampoline_kernelINS0_14default_configENS1_35radix_sort_onesweep_config_selectorIaNS0_10empty_typeEEEZZNS1_29radix_sort_onesweep_iterationIS3_Lb0EPKaPaPS5_SB_mNS0_19identity_decomposerENS1_16block_id_wrapperIjLb1EEEEE10hipError_tT1_PNSt15iterator_traitsISG_E10value_typeET2_T3_PNSH_ISM_E10value_typeET4_T5_PSR_SS_PNS1_23onesweep_lookback_stateEbbT6_jjT7_P12ihipStream_tbENKUlT_T0_SG_SL_E_clISA_SA_SB_SB_EEDaSZ_S10_SG_SL_EUlSZ_E_NS1_11comp_targetILNS1_3genE8ELNS1_11target_archE1030ELNS1_3gpuE2ELNS1_3repE0EEENS1_47radix_sort_onesweep_sort_config_static_selectorELNS0_4arch9wavefront6targetE0EEEvSG_.private_seg_size, 0
	.set _ZN7rocprim17ROCPRIM_400000_NS6detail17trampoline_kernelINS0_14default_configENS1_35radix_sort_onesweep_config_selectorIaNS0_10empty_typeEEEZZNS1_29radix_sort_onesweep_iterationIS3_Lb0EPKaPaPS5_SB_mNS0_19identity_decomposerENS1_16block_id_wrapperIjLb1EEEEE10hipError_tT1_PNSt15iterator_traitsISG_E10value_typeET2_T3_PNSH_ISM_E10value_typeET4_T5_PSR_SS_PNS1_23onesweep_lookback_stateEbbT6_jjT7_P12ihipStream_tbENKUlT_T0_SG_SL_E_clISA_SA_SB_SB_EEDaSZ_S10_SG_SL_EUlSZ_E_NS1_11comp_targetILNS1_3genE8ELNS1_11target_archE1030ELNS1_3gpuE2ELNS1_3repE0EEENS1_47radix_sort_onesweep_sort_config_static_selectorELNS0_4arch9wavefront6targetE0EEEvSG_.uses_vcc, 0
	.set _ZN7rocprim17ROCPRIM_400000_NS6detail17trampoline_kernelINS0_14default_configENS1_35radix_sort_onesweep_config_selectorIaNS0_10empty_typeEEEZZNS1_29radix_sort_onesweep_iterationIS3_Lb0EPKaPaPS5_SB_mNS0_19identity_decomposerENS1_16block_id_wrapperIjLb1EEEEE10hipError_tT1_PNSt15iterator_traitsISG_E10value_typeET2_T3_PNSH_ISM_E10value_typeET4_T5_PSR_SS_PNS1_23onesweep_lookback_stateEbbT6_jjT7_P12ihipStream_tbENKUlT_T0_SG_SL_E_clISA_SA_SB_SB_EEDaSZ_S10_SG_SL_EUlSZ_E_NS1_11comp_targetILNS1_3genE8ELNS1_11target_archE1030ELNS1_3gpuE2ELNS1_3repE0EEENS1_47radix_sort_onesweep_sort_config_static_selectorELNS0_4arch9wavefront6targetE0EEEvSG_.uses_flat_scratch, 0
	.set _ZN7rocprim17ROCPRIM_400000_NS6detail17trampoline_kernelINS0_14default_configENS1_35radix_sort_onesweep_config_selectorIaNS0_10empty_typeEEEZZNS1_29radix_sort_onesweep_iterationIS3_Lb0EPKaPaPS5_SB_mNS0_19identity_decomposerENS1_16block_id_wrapperIjLb1EEEEE10hipError_tT1_PNSt15iterator_traitsISG_E10value_typeET2_T3_PNSH_ISM_E10value_typeET4_T5_PSR_SS_PNS1_23onesweep_lookback_stateEbbT6_jjT7_P12ihipStream_tbENKUlT_T0_SG_SL_E_clISA_SA_SB_SB_EEDaSZ_S10_SG_SL_EUlSZ_E_NS1_11comp_targetILNS1_3genE8ELNS1_11target_archE1030ELNS1_3gpuE2ELNS1_3repE0EEENS1_47radix_sort_onesweep_sort_config_static_selectorELNS0_4arch9wavefront6targetE0EEEvSG_.has_dyn_sized_stack, 0
	.set _ZN7rocprim17ROCPRIM_400000_NS6detail17trampoline_kernelINS0_14default_configENS1_35radix_sort_onesweep_config_selectorIaNS0_10empty_typeEEEZZNS1_29radix_sort_onesweep_iterationIS3_Lb0EPKaPaPS5_SB_mNS0_19identity_decomposerENS1_16block_id_wrapperIjLb1EEEEE10hipError_tT1_PNSt15iterator_traitsISG_E10value_typeET2_T3_PNSH_ISM_E10value_typeET4_T5_PSR_SS_PNS1_23onesweep_lookback_stateEbbT6_jjT7_P12ihipStream_tbENKUlT_T0_SG_SL_E_clISA_SA_SB_SB_EEDaSZ_S10_SG_SL_EUlSZ_E_NS1_11comp_targetILNS1_3genE8ELNS1_11target_archE1030ELNS1_3gpuE2ELNS1_3repE0EEENS1_47radix_sort_onesweep_sort_config_static_selectorELNS0_4arch9wavefront6targetE0EEEvSG_.has_recursion, 0
	.set _ZN7rocprim17ROCPRIM_400000_NS6detail17trampoline_kernelINS0_14default_configENS1_35radix_sort_onesweep_config_selectorIaNS0_10empty_typeEEEZZNS1_29radix_sort_onesweep_iterationIS3_Lb0EPKaPaPS5_SB_mNS0_19identity_decomposerENS1_16block_id_wrapperIjLb1EEEEE10hipError_tT1_PNSt15iterator_traitsISG_E10value_typeET2_T3_PNSH_ISM_E10value_typeET4_T5_PSR_SS_PNS1_23onesweep_lookback_stateEbbT6_jjT7_P12ihipStream_tbENKUlT_T0_SG_SL_E_clISA_SA_SB_SB_EEDaSZ_S10_SG_SL_EUlSZ_E_NS1_11comp_targetILNS1_3genE8ELNS1_11target_archE1030ELNS1_3gpuE2ELNS1_3repE0EEENS1_47radix_sort_onesweep_sort_config_static_selectorELNS0_4arch9wavefront6targetE0EEEvSG_.has_indirect_call, 0
	.section	.AMDGPU.csdata,"",@progbits
; Kernel info:
; codeLenInByte = 0
; TotalNumSgprs: 0
; NumVgprs: 0
; ScratchSize: 0
; MemoryBound: 0
; FloatMode: 240
; IeeeMode: 1
; LDSByteSize: 0 bytes/workgroup (compile time only)
; SGPRBlocks: 0
; VGPRBlocks: 0
; NumSGPRsForWavesPerEU: 1
; NumVGPRsForWavesPerEU: 1
; NamedBarCnt: 0
; Occupancy: 16
; WaveLimiterHint : 0
; COMPUTE_PGM_RSRC2:SCRATCH_EN: 0
; COMPUTE_PGM_RSRC2:USER_SGPR: 2
; COMPUTE_PGM_RSRC2:TRAP_HANDLER: 0
; COMPUTE_PGM_RSRC2:TGID_X_EN: 1
; COMPUTE_PGM_RSRC2:TGID_Y_EN: 0
; COMPUTE_PGM_RSRC2:TGID_Z_EN: 0
; COMPUTE_PGM_RSRC2:TIDIG_COMP_CNT: 0
	.section	.text._ZN7rocprim17ROCPRIM_400000_NS6detail17trampoline_kernelINS0_14default_configENS1_35radix_sort_onesweep_config_selectorIaNS0_10empty_typeEEEZZNS1_29radix_sort_onesweep_iterationIS3_Lb0EPKaPaPS5_SB_mNS0_19identity_decomposerENS1_16block_id_wrapperIjLb0EEEEE10hipError_tT1_PNSt15iterator_traitsISG_E10value_typeET2_T3_PNSH_ISM_E10value_typeET4_T5_PSR_SS_PNS1_23onesweep_lookback_stateEbbT6_jjT7_P12ihipStream_tbENKUlT_T0_SG_SL_E_clIS9_SA_SB_SB_EEDaSZ_S10_SG_SL_EUlSZ_E_NS1_11comp_targetILNS1_3genE0ELNS1_11target_archE4294967295ELNS1_3gpuE0ELNS1_3repE0EEENS1_47radix_sort_onesweep_sort_config_static_selectorELNS0_4arch9wavefront6targetE0EEEvSG_,"axG",@progbits,_ZN7rocprim17ROCPRIM_400000_NS6detail17trampoline_kernelINS0_14default_configENS1_35radix_sort_onesweep_config_selectorIaNS0_10empty_typeEEEZZNS1_29radix_sort_onesweep_iterationIS3_Lb0EPKaPaPS5_SB_mNS0_19identity_decomposerENS1_16block_id_wrapperIjLb0EEEEE10hipError_tT1_PNSt15iterator_traitsISG_E10value_typeET2_T3_PNSH_ISM_E10value_typeET4_T5_PSR_SS_PNS1_23onesweep_lookback_stateEbbT6_jjT7_P12ihipStream_tbENKUlT_T0_SG_SL_E_clIS9_SA_SB_SB_EEDaSZ_S10_SG_SL_EUlSZ_E_NS1_11comp_targetILNS1_3genE0ELNS1_11target_archE4294967295ELNS1_3gpuE0ELNS1_3repE0EEENS1_47radix_sort_onesweep_sort_config_static_selectorELNS0_4arch9wavefront6targetE0EEEvSG_,comdat
	.protected	_ZN7rocprim17ROCPRIM_400000_NS6detail17trampoline_kernelINS0_14default_configENS1_35radix_sort_onesweep_config_selectorIaNS0_10empty_typeEEEZZNS1_29radix_sort_onesweep_iterationIS3_Lb0EPKaPaPS5_SB_mNS0_19identity_decomposerENS1_16block_id_wrapperIjLb0EEEEE10hipError_tT1_PNSt15iterator_traitsISG_E10value_typeET2_T3_PNSH_ISM_E10value_typeET4_T5_PSR_SS_PNS1_23onesweep_lookback_stateEbbT6_jjT7_P12ihipStream_tbENKUlT_T0_SG_SL_E_clIS9_SA_SB_SB_EEDaSZ_S10_SG_SL_EUlSZ_E_NS1_11comp_targetILNS1_3genE0ELNS1_11target_archE4294967295ELNS1_3gpuE0ELNS1_3repE0EEENS1_47radix_sort_onesweep_sort_config_static_selectorELNS0_4arch9wavefront6targetE0EEEvSG_ ; -- Begin function _ZN7rocprim17ROCPRIM_400000_NS6detail17trampoline_kernelINS0_14default_configENS1_35radix_sort_onesweep_config_selectorIaNS0_10empty_typeEEEZZNS1_29radix_sort_onesweep_iterationIS3_Lb0EPKaPaPS5_SB_mNS0_19identity_decomposerENS1_16block_id_wrapperIjLb0EEEEE10hipError_tT1_PNSt15iterator_traitsISG_E10value_typeET2_T3_PNSH_ISM_E10value_typeET4_T5_PSR_SS_PNS1_23onesweep_lookback_stateEbbT6_jjT7_P12ihipStream_tbENKUlT_T0_SG_SL_E_clIS9_SA_SB_SB_EEDaSZ_S10_SG_SL_EUlSZ_E_NS1_11comp_targetILNS1_3genE0ELNS1_11target_archE4294967295ELNS1_3gpuE0ELNS1_3repE0EEENS1_47radix_sort_onesweep_sort_config_static_selectorELNS0_4arch9wavefront6targetE0EEEvSG_
	.globl	_ZN7rocprim17ROCPRIM_400000_NS6detail17trampoline_kernelINS0_14default_configENS1_35radix_sort_onesweep_config_selectorIaNS0_10empty_typeEEEZZNS1_29radix_sort_onesweep_iterationIS3_Lb0EPKaPaPS5_SB_mNS0_19identity_decomposerENS1_16block_id_wrapperIjLb0EEEEE10hipError_tT1_PNSt15iterator_traitsISG_E10value_typeET2_T3_PNSH_ISM_E10value_typeET4_T5_PSR_SS_PNS1_23onesweep_lookback_stateEbbT6_jjT7_P12ihipStream_tbENKUlT_T0_SG_SL_E_clIS9_SA_SB_SB_EEDaSZ_S10_SG_SL_EUlSZ_E_NS1_11comp_targetILNS1_3genE0ELNS1_11target_archE4294967295ELNS1_3gpuE0ELNS1_3repE0EEENS1_47radix_sort_onesweep_sort_config_static_selectorELNS0_4arch9wavefront6targetE0EEEvSG_
	.p2align	8
	.type	_ZN7rocprim17ROCPRIM_400000_NS6detail17trampoline_kernelINS0_14default_configENS1_35radix_sort_onesweep_config_selectorIaNS0_10empty_typeEEEZZNS1_29radix_sort_onesweep_iterationIS3_Lb0EPKaPaPS5_SB_mNS0_19identity_decomposerENS1_16block_id_wrapperIjLb0EEEEE10hipError_tT1_PNSt15iterator_traitsISG_E10value_typeET2_T3_PNSH_ISM_E10value_typeET4_T5_PSR_SS_PNS1_23onesweep_lookback_stateEbbT6_jjT7_P12ihipStream_tbENKUlT_T0_SG_SL_E_clIS9_SA_SB_SB_EEDaSZ_S10_SG_SL_EUlSZ_E_NS1_11comp_targetILNS1_3genE0ELNS1_11target_archE4294967295ELNS1_3gpuE0ELNS1_3repE0EEENS1_47radix_sort_onesweep_sort_config_static_selectorELNS0_4arch9wavefront6targetE0EEEvSG_,@function
_ZN7rocprim17ROCPRIM_400000_NS6detail17trampoline_kernelINS0_14default_configENS1_35radix_sort_onesweep_config_selectorIaNS0_10empty_typeEEEZZNS1_29radix_sort_onesweep_iterationIS3_Lb0EPKaPaPS5_SB_mNS0_19identity_decomposerENS1_16block_id_wrapperIjLb0EEEEE10hipError_tT1_PNSt15iterator_traitsISG_E10value_typeET2_T3_PNSH_ISM_E10value_typeET4_T5_PSR_SS_PNS1_23onesweep_lookback_stateEbbT6_jjT7_P12ihipStream_tbENKUlT_T0_SG_SL_E_clIS9_SA_SB_SB_EEDaSZ_S10_SG_SL_EUlSZ_E_NS1_11comp_targetILNS1_3genE0ELNS1_11target_archE4294967295ELNS1_3gpuE0ELNS1_3repE0EEENS1_47radix_sort_onesweep_sort_config_static_selectorELNS0_4arch9wavefront6targetE0EEEvSG_: ; @_ZN7rocprim17ROCPRIM_400000_NS6detail17trampoline_kernelINS0_14default_configENS1_35radix_sort_onesweep_config_selectorIaNS0_10empty_typeEEEZZNS1_29radix_sort_onesweep_iterationIS3_Lb0EPKaPaPS5_SB_mNS0_19identity_decomposerENS1_16block_id_wrapperIjLb0EEEEE10hipError_tT1_PNSt15iterator_traitsISG_E10value_typeET2_T3_PNSH_ISM_E10value_typeET4_T5_PSR_SS_PNS1_23onesweep_lookback_stateEbbT6_jjT7_P12ihipStream_tbENKUlT_T0_SG_SL_E_clIS9_SA_SB_SB_EEDaSZ_S10_SG_SL_EUlSZ_E_NS1_11comp_targetILNS1_3genE0ELNS1_11target_archE4294967295ELNS1_3gpuE0ELNS1_3repE0EEENS1_47radix_sort_onesweep_sort_config_static_selectorELNS0_4arch9wavefront6targetE0EEEvSG_
; %bb.0:
	s_clause 0x3
	s_load_b96 s[16:18], s[0:1], 0x44
	s_load_b64 s[20:21], s[0:1], 0x38
	s_load_b128 s[12:15], s[0:1], 0x0
	s_load_b128 s[8:11], s[0:1], 0x28
	s_bfe_u32 s2, ttmp6, 0x4000c
	s_and_b32 s3, ttmp6, 15
	s_add_co_i32 s2, s2, 1
	s_getreg_b32 s4, hwreg(HW_REG_IB_STS2, 6, 4)
	s_mul_i32 s2, ttmp9, s2
	v_mul_u32_u24_e32 v6, 22, v0
	s_add_co_i32 s3, s3, s2
	s_cmp_eq_u32 s4, 0
	s_mov_b32 s23, 0
	s_cselect_b32 s19, ttmp9, s3
	s_mov_b32 s2, -1
	s_mul_i32 s22, s19, 0x5800
	s_wait_kmcnt 0x0
	s_cmp_ge_u32 s19, s18
	s_cbranch_scc0 .LBB484_112
; %bb.1:
	s_load_b32 s4, s[0:1], 0x20
	v_dual_mov_b32 v7, 0 :: v_dual_mov_b32 v24, 0x7f
	s_add_nc_u64 s[2:3], s[12:13], s[22:23]
	v_dual_mov_b32 v1, 0x7f :: v_dual_mov_b32 v22, 0x7f
	s_delay_alu instid0(VALU_DEP_2)
	v_add_nc_u64_e32 v[2:3], s[2:3], v[6:7]
	v_dual_mov_b32 v25, 0x7f :: v_dual_mov_b32 v20, 0x7f
	v_dual_mov_b32 v23, 0x7f :: v_dual_mov_b32 v18, 0x7f
	;; [unrolled: 1-line block ×8, first 2 shown]
	v_mov_b32_e32 v9, 0x7f
	v_mov_b32_e32 v7, 0x7f
	;; [unrolled: 1-line block ×3, first 2 shown]
	s_mul_i32 s5, s18, 0xffffa800
	s_mov_b32 s2, exec_lo
	s_wait_kmcnt 0x0
	s_add_co_i32 s18, s4, s5
	s_delay_alu instid0(SALU_CYCLE_1)
	v_cmpx_gt_u32_e64 s18, v6
	s_cbranch_execz .LBB484_3
; %bb.2:
	global_load_u8 v25, v[2:3], off
	v_dual_mov_b32 v1, 0x7f :: v_dual_mov_b32 v24, 0x7f
	v_dual_mov_b32 v23, 0x7f :: v_dual_mov_b32 v22, 0x7f
	;; [unrolled: 1-line block ×10, first 2 shown]
	v_mov_b32_e32 v5, 0x7f
.LBB484_3:
	s_wait_xcnt 0x0
	s_or_b32 exec_lo, exec_lo, s2
	v_or_b32_e32 v26, 1, v6
	s_mov_b32 s2, exec_lo
	s_delay_alu instid0(VALU_DEP_1)
	v_cmpx_gt_u32_e64 s18, v26
	s_cbranch_execz .LBB484_5
; %bb.4:
	global_load_u8 v24, v[2:3], off offset:1
.LBB484_5:
	s_wait_xcnt 0x0
	s_or_b32 exec_lo, exec_lo, s2
	v_add_nc_u32_e32 v26, 2, v6
	s_mov_b32 s2, exec_lo
	s_delay_alu instid0(VALU_DEP_1)
	v_cmpx_gt_u32_e64 s18, v26
	s_cbranch_execz .LBB484_7
; %bb.6:
	global_load_u8 v23, v[2:3], off offset:2
.LBB484_7:
	s_wait_xcnt 0x0
	s_or_b32 exec_lo, exec_lo, s2
	v_add_nc_u32_e32 v26, 3, v6
	;; [unrolled: 10-line block ×20, first 2 shown]
	s_mov_b32 s2, exec_lo
	s_delay_alu instid0(VALU_DEP_1)
	v_cmpx_gt_u32_e64 s18, v26
	s_cbranch_execz .LBB484_45
; %bb.44:
	global_load_u8 v1, v[2:3], off offset:21
.LBB484_45:
	s_wait_xcnt 0x0
	s_or_b32 exec_lo, exec_lo, s2
	s_wait_loadcnt 0x0
	v_xor_b32_e32 v25, 0xffffff80, v25
	s_lshl_b32 s23, -1, s17
	v_xor_b32_e32 v24, 0xffffff80, v24
	v_xor_b32_e32 v23, 0xffffff80, v23
	;; [unrolled: 1-line block ×3, first 2 shown]
	v_and_b32_e32 v2, 0xff, v25
	v_xor_b32_e32 v21, 0xffffff80, v21
	v_and_b32_e32 v28, 0xff, v24
	v_xor_b32_e32 v20, 0xffffff80, v20
	v_and_b32_e32 v30, 0xff, v22
	v_dual_lshrrev_b32 v2, s16, v2 :: v_dual_lshlrev_b32 v26, 2, v0
	v_xor_b32_e32 v19, 0xffffff80, v19
	v_xor_b32_e32 v18, 0xffffff80, v18
	;; [unrolled: 1-line block ×3, first 2 shown]
	s_delay_alu instid0(VALU_DEP_4)
	v_bitop3_b32 v2, v2, s23, v2 bitop3:0x30
	v_xor_b32_e32 v16, 0xffffff80, v16
	v_xor_b32_e32 v15, 0xffffff80, v15
	;; [unrolled: 1-line block ×4, first 2 shown]
	v_dual_lshlrev_b32 v3, 10, v2 :: v_dual_lshrrev_b32 v2, 2, v2
	v_mov_b32_e32 v27, 0
	v_xor_b32_e32 v12, 0xffffff80, v12
	v_xor_b32_e32 v11, 0xffffff80, v11
	s_delay_alu instid0(VALU_DEP_4)
	v_and_or_b32 v3, 0x1c00, v3, v0
	v_and_b32_e32 v2, 62, v2
	ds_store_2addr_stride64_b32 v26, v27, v27 offset1:16
	ds_store_2addr_stride64_b32 v26, v27, v27 offset0:32 offset1:48
	ds_store_2addr_stride64_b32 v26, v27, v27 offset0:64 offset1:80
	;; [unrolled: 1-line block ×3, first 2 shown]
	v_xor_b32_e32 v10, 0xffffff80, v10
	v_xor_b32_e32 v9, 0xffffff80, v9
	v_lshl_add_u32 v2, v3, 2, v2
	v_lshrrev_b32_e32 v3, s16, v28
	v_and_b32_e32 v28, 0xff, v23
	v_xor_b32_e32 v8, 0xffffff80, v8
	v_xor_b32_e32 v7, 0xffffff80, v7
	ds_load_u16 v26, v2
	s_mov_b32 s7, exec_lo
	v_lshrrev_b32_e32 v28, s16, v28
	v_bitop3_b32 v3, v3, s23, v3 bitop3:0x30
	s_delay_alu instid0(VALU_DEP_2) | instskip(NEXT) | instid1(VALU_DEP_2)
	v_bitop3_b32 v28, v28, s23, v28 bitop3:0x30
	v_dual_lshlrev_b32 v27, 10, v3 :: v_dual_lshrrev_b32 v3, 2, v3
	s_delay_alu instid0(VALU_DEP_1) | instskip(NEXT) | instid1(VALU_DEP_2)
	v_and_or_b32 v27, 0x1c00, v27, v0
	v_and_b32_e32 v3, 62, v3
	s_wait_dscnt 0x0
	v_add_nc_u16 v29, v26, 1
	ds_store_b16 v2, v29
	v_lshlrev_b32_e32 v29, 10, v28
	v_lshl_add_u32 v3, v27, 2, v3
	v_lshrrev_b32_e32 v28, 2, v28
	s_delay_alu instid0(VALU_DEP_3) | instskip(SKIP_2) | instid1(VALU_DEP_1)
	v_and_or_b32 v29, 0x1c00, v29, v0
	ds_load_u16 v27, v3
	v_and_b32_e32 v28, 62, v28
	v_lshl_add_u32 v34, v29, 2, v28
	v_lshrrev_b32_e32 v29, s16, v30
	s_delay_alu instid0(VALU_DEP_1) | instskip(NEXT) | instid1(VALU_DEP_1)
	v_bitop3_b32 v29, v29, s23, v29 bitop3:0x30
	v_lshlrev_b32_e32 v30, 10, v29
	s_wait_dscnt 0x0
	v_add_nc_u16 v31, v27, 1
	s_delay_alu instid0(VALU_DEP_2) | instskip(SKIP_4) | instid1(VALU_DEP_1)
	v_and_or_b32 v30, 0x1c00, v30, v0
	ds_store_b16 v3, v31
	ds_load_u16 v28, v34
	v_and_b32_e32 v31, 0xff, v21
	v_lshrrev_b32_e32 v29, 2, v29
	v_and_b32_e32 v29, 62, v29
	s_delay_alu instid0(VALU_DEP_1) | instskip(NEXT) | instid1(VALU_DEP_4)
	v_lshl_add_u32 v36, v30, 2, v29
	v_lshrrev_b32_e32 v30, s16, v31
	s_delay_alu instid0(VALU_DEP_1) | instskip(SKIP_2) | instid1(VALU_DEP_2)
	v_bitop3_b32 v30, v30, s23, v30 bitop3:0x30
	s_wait_dscnt 0x0
	v_add_nc_u16 v32, v28, 1
	v_lshlrev_b32_e32 v31, 10, v30
	ds_store_b16 v34, v32
	ds_load_u16 v29, v36
	v_and_b32_e32 v32, 0xff, v20
	v_lshrrev_b32_e32 v30, 2, v30
	v_and_or_b32 v31, 0x1c00, v31, v0
	s_delay_alu instid0(VALU_DEP_2) | instskip(NEXT) | instid1(VALU_DEP_1)
	v_and_b32_e32 v30, 62, v30
	v_lshl_add_u32 v38, v31, 2, v30
	v_lshrrev_b32_e32 v31, s16, v32
	s_delay_alu instid0(VALU_DEP_1) | instskip(SKIP_2) | instid1(VALU_DEP_2)
	v_bitop3_b32 v31, v31, s23, v31 bitop3:0x30
	s_wait_dscnt 0x0
	v_add_nc_u16 v33, v29, 1
	v_lshlrev_b32_e32 v32, 10, v31
	ds_store_b16 v36, v33
	ds_load_u16 v30, v38
	v_and_b32_e32 v33, 0xff, v19
	v_lshrrev_b32_e32 v31, 2, v31
	v_and_or_b32 v32, 0x1c00, v32, v0
	s_delay_alu instid0(VALU_DEP_2) | instskip(NEXT) | instid1(VALU_DEP_1)
	v_and_b32_e32 v31, 62, v31
	;; [unrolled: 14-line block ×3, first 2 shown]
	v_lshl_add_u32 v42, v33, 2, v32
	v_lshrrev_b32_e32 v33, s16, v35
	s_delay_alu instid0(VALU_DEP_1) | instskip(SKIP_2) | instid1(VALU_DEP_2)
	v_bitop3_b32 v33, v33, s23, v33 bitop3:0x30
	s_wait_dscnt 0x0
	v_add_nc_u16 v37, v31, 1
	v_dual_lshlrev_b32 v35, 10, v33 :: v_dual_lshrrev_b32 v33, 2, v33
	ds_store_b16 v40, v37
	ds_load_u16 v32, v42
	v_and_b32_e32 v37, 0xff, v17
	v_and_or_b32 v35, 0x1c00, v35, v0
	v_and_b32_e32 v33, 62, v33
	s_delay_alu instid0(VALU_DEP_1)
	v_lshl_add_u32 v45, v35, 2, v33
	s_wait_dscnt 0x0
	v_add_nc_u16 v39, v32, 1
	ds_store_b16 v42, v39
	ds_load_u16 v33, v45
	v_and_b32_e32 v39, 0xff, v16
	v_lshrrev_b32_e32 v35, s16, v37
	s_delay_alu instid0(VALU_DEP_1) | instskip(NEXT) | instid1(VALU_DEP_1)
	v_bitop3_b32 v35, v35, s23, v35 bitop3:0x30
	v_dual_lshlrev_b32 v37, 10, v35 :: v_dual_lshrrev_b32 v35, 2, v35
	s_delay_alu instid0(VALU_DEP_1) | instskip(NEXT) | instid1(VALU_DEP_2)
	v_and_or_b32 v37, 0x1c00, v37, v0
	v_and_b32_e32 v35, 62, v35
	s_wait_dscnt 0x0
	v_add_nc_u16 v41, v33, 1
	s_delay_alu instid0(VALU_DEP_2)
	v_lshl_add_u32 v48, v37, 2, v35
	v_lshrrev_b32_e32 v37, s16, v39
	ds_store_b16 v45, v41
	v_and_b32_e32 v41, 0xff, v15
	ds_load_u16 v35, v48
	v_bitop3_b32 v37, v37, s23, v37 bitop3:0x30
	s_delay_alu instid0(VALU_DEP_1) | instskip(NEXT) | instid1(VALU_DEP_1)
	v_dual_lshlrev_b32 v39, 10, v37 :: v_dual_lshrrev_b32 v37, 2, v37
	v_and_or_b32 v39, 0x1c00, v39, v0
	s_delay_alu instid0(VALU_DEP_2) | instskip(NEXT) | instid1(VALU_DEP_1)
	v_and_b32_e32 v37, 62, v37
	v_lshl_add_u32 v51, v39, 2, v37
	s_wait_dscnt 0x0
	v_add_nc_u16 v43, v35, 1
	ds_store_b16 v48, v43
	ds_load_u16 v37, v51
	v_and_b32_e32 v43, 0xff, v14
	v_lshrrev_b32_e32 v39, s16, v41
	s_delay_alu instid0(VALU_DEP_1) | instskip(NEXT) | instid1(VALU_DEP_1)
	v_bitop3_b32 v39, v39, s23, v39 bitop3:0x30
	v_dual_lshlrev_b32 v41, 10, v39 :: v_dual_lshrrev_b32 v39, 2, v39
	s_delay_alu instid0(VALU_DEP_1) | instskip(NEXT) | instid1(VALU_DEP_2)
	v_and_or_b32 v41, 0x1c00, v41, v0
	v_and_b32_e32 v39, 62, v39
	s_wait_dscnt 0x0
	v_add_nc_u16 v44, v37, 1
	s_delay_alu instid0(VALU_DEP_2)
	v_lshl_add_u32 v53, v41, 2, v39
	v_lshrrev_b32_e32 v41, s16, v43
	ds_store_b16 v51, v44
	v_and_b32_e32 v44, 0xff, v13
	ds_load_u16 v39, v53
	v_bitop3_b32 v41, v41, s23, v41 bitop3:0x30
	s_delay_alu instid0(VALU_DEP_1) | instskip(NEXT) | instid1(VALU_DEP_1)
	v_dual_lshlrev_b32 v43, 10, v41 :: v_dual_lshrrev_b32 v41, 2, v41
	v_and_or_b32 v43, 0x1c00, v43, v0
	s_delay_alu instid0(VALU_DEP_2) | instskip(NEXT) | instid1(VALU_DEP_1)
	v_and_b32_e32 v41, 62, v41
	v_lshl_add_u32 v55, v43, 2, v41
	v_lshrrev_b32_e32 v43, s16, v44
	s_wait_dscnt 0x0
	v_add_nc_u16 v46, v39, 1
	s_delay_alu instid0(VALU_DEP_2) | instskip(SKIP_4) | instid1(VALU_DEP_1)
	v_bitop3_b32 v43, v43, s23, v43 bitop3:0x30
	ds_store_b16 v53, v46
	ds_load_u16 v41, v55
	v_and_b32_e32 v46, 0xff, v12
	v_dual_lshlrev_b32 v44, 10, v43 :: v_dual_lshrrev_b32 v43, 2, v43
	v_and_or_b32 v44, 0x1c00, v44, v0
	s_delay_alu instid0(VALU_DEP_2) | instskip(NEXT) | instid1(VALU_DEP_1)
	v_and_b32_e32 v43, 62, v43
	v_lshl_add_u32 v57, v44, 2, v43
	v_lshrrev_b32_e32 v44, s16, v46
	s_delay_alu instid0(VALU_DEP_1) | instskip(SKIP_2) | instid1(VALU_DEP_2)
	v_bitop3_b32 v44, v44, s23, v44 bitop3:0x30
	s_wait_dscnt 0x0
	v_add_nc_u16 v47, v41, 1
	v_lshlrev_b32_e32 v46, 10, v44
	ds_store_b16 v55, v47
	ds_load_u16 v43, v57
	v_lshrrev_b32_e32 v44, 2, v44
	v_and_b32_e32 v47, 0xff, v11
	v_and_or_b32 v46, 0x1c00, v46, v0
	s_delay_alu instid0(VALU_DEP_3) | instskip(NEXT) | instid1(VALU_DEP_1)
	v_and_b32_e32 v44, 62, v44
	v_lshl_add_u32 v58, v46, 2, v44
	s_delay_alu instid0(VALU_DEP_4) | instskip(NEXT) | instid1(VALU_DEP_1)
	v_lshrrev_b32_e32 v44, s16, v47
	v_bitop3_b32 v44, v44, s23, v44 bitop3:0x30
	s_wait_dscnt 0x0
	v_add_nc_u16 v49, v43, 1
	s_delay_alu instid0(VALU_DEP_2)
	v_dual_lshlrev_b32 v47, 10, v44 :: v_dual_lshrrev_b32 v44, 2, v44
	ds_store_b16 v57, v49
	ds_load_u16 v46, v58
	v_and_or_b32 v47, 0x1c00, v47, v0
	v_and_b32_e32 v44, 62, v44
	v_and_b32_e32 v49, 0xff, v10
	s_delay_alu instid0(VALU_DEP_2) | instskip(NEXT) | instid1(VALU_DEP_2)
	v_lshl_add_u32 v60, v47, 2, v44
	v_lshrrev_b32_e32 v44, s16, v49
	s_delay_alu instid0(VALU_DEP_1) | instskip(NEXT) | instid1(VALU_DEP_1)
	v_bitop3_b32 v44, v44, s23, v44 bitop3:0x30
	v_dual_lshlrev_b32 v47, 10, v44 :: v_dual_lshrrev_b32 v44, 2, v44
	s_wait_dscnt 0x0
	v_add_nc_u16 v50, v46, 1
	s_delay_alu instid0(VALU_DEP_2) | instskip(NEXT) | instid1(VALU_DEP_3)
	v_and_or_b32 v47, 0x1c00, v47, v0
	v_and_b32_e32 v44, 62, v44
	ds_store_b16 v58, v50
	ds_load_u16 v49, v60
	v_and_b32_e32 v50, 0xff, v9
	v_lshl_add_u32 v62, v47, 2, v44
	s_delay_alu instid0(VALU_DEP_2) | instskip(SKIP_1) | instid1(VALU_DEP_2)
	v_lshrrev_b32_e32 v44, s16, v50
	v_and_b32_e32 v50, 0xff, v8
	v_bitop3_b32 v44, v44, s23, v44 bitop3:0x30
	s_delay_alu instid0(VALU_DEP_1) | instskip(SKIP_2) | instid1(VALU_DEP_2)
	v_dual_lshlrev_b32 v47, 10, v44 :: v_dual_lshrrev_b32 v44, 2, v44
	s_wait_dscnt 0x0
	v_add_nc_u16 v52, v49, 1
	v_and_or_b32 v47, 0x1c00, v47, v0
	s_delay_alu instid0(VALU_DEP_3)
	v_and_b32_e32 v44, 62, v44
	ds_store_b16 v60, v52
	ds_load_u16 v52, v62
	v_lshl_add_u32 v63, v47, 2, v44
	v_lshrrev_b32_e32 v44, s16, v50
	v_and_b32_e32 v50, 0xff, v7
	s_delay_alu instid0(VALU_DEP_2) | instskip(NEXT) | instid1(VALU_DEP_1)
	v_bitop3_b32 v44, v44, s23, v44 bitop3:0x30
	v_dual_lshlrev_b32 v47, 10, v44 :: v_dual_lshrrev_b32 v44, 2, v44
	s_delay_alu instid0(VALU_DEP_1) | instskip(NEXT) | instid1(VALU_DEP_2)
	v_and_or_b32 v47, 0x1c00, v47, v0
	v_and_b32_e32 v44, 62, v44
	s_wait_dscnt 0x0
	v_add_nc_u16 v54, v52, 1
	s_delay_alu instid0(VALU_DEP_2) | instskip(SKIP_4) | instid1(VALU_DEP_1)
	v_lshl_add_u32 v64, v47, 2, v44
	v_lshrrev_b32_e32 v44, s16, v50
	ds_store_b16 v62, v54
	ds_load_u16 v54, v63
	v_bitop3_b32 v44, v44, s23, v44 bitop3:0x30
	v_dual_lshlrev_b32 v47, 10, v44 :: v_dual_lshrrev_b32 v50, 2, v44
	v_xor_b32_e32 v44, 0xffffff80, v5
	s_delay_alu instid0(VALU_DEP_2) | instskip(NEXT) | instid1(VALU_DEP_3)
	v_and_or_b32 v5, 0x1c00, v47, v0
	v_and_b32_e32 v47, 62, v50
	s_delay_alu instid0(VALU_DEP_3) | instskip(NEXT) | instid1(VALU_DEP_2)
	v_and_b32_e32 v50, 0xff, v44
	v_lshl_add_u32 v65, v5, 2, v47
	s_wait_dscnt 0x0
	v_add_nc_u16 v56, v54, 1
	s_delay_alu instid0(VALU_DEP_3) | instskip(SKIP_3) | instid1(VALU_DEP_1)
	v_lshrrev_b32_e32 v47, s16, v50
	ds_store_b16 v63, v56
	ds_load_u16 v56, v64
	v_bitop3_b32 v47, v47, s23, v47 bitop3:0x30
	v_lshlrev_b32_e32 v50, 10, v47
	s_wait_dscnt 0x0
	v_add_nc_u16 v59, v56, 1
	ds_store_b16 v64, v59
	ds_load_u16 v5, v65
	v_lshrrev_b32_e32 v59, 2, v47
	v_xor_b32_e32 v47, 0xffffff80, v4
	v_and_or_b32 v4, 0x1c00, v50, v0
	s_delay_alu instid0(VALU_DEP_3) | instskip(NEXT) | instid1(VALU_DEP_3)
	v_and_b32_e32 v50, 62, v59
	v_and_b32_e32 v59, 0xff, v47
	s_delay_alu instid0(VALU_DEP_2) | instskip(NEXT) | instid1(VALU_DEP_2)
	v_lshl_add_u32 v4, v4, 2, v50
	v_lshrrev_b32_e32 v50, s16, v59
	s_delay_alu instid0(VALU_DEP_1) | instskip(SKIP_2) | instid1(VALU_DEP_2)
	v_bitop3_b32 v50, v50, s23, v50 bitop3:0x30
	s_wait_dscnt 0x0
	v_add_nc_u16 v61, v5, 1
	v_lshrrev_b32_e32 v66, 2, v50
	ds_store_b16 v65, v61
	ds_load_u16 v59, v4
	v_lshlrev_b32_e32 v61, 10, v50
	v_xor_b32_e32 v50, 0xffffff80, v1
	s_delay_alu instid0(VALU_DEP_2) | instskip(SKIP_1) | instid1(VALU_DEP_3)
	v_and_or_b32 v1, 0x1c00, v61, v0
	v_and_b32_e32 v61, 62, v66
	v_and_b32_e32 v67, 0xff, v50
	s_delay_alu instid0(VALU_DEP_2) | instskip(NEXT) | instid1(VALU_DEP_2)
	v_lshl_add_u32 v66, v1, 2, v61
	v_lshrrev_b32_e32 v61, s16, v67
	s_delay_alu instid0(VALU_DEP_1) | instskip(SKIP_2) | instid1(VALU_DEP_2)
	v_bitop3_b32 v61, v61, s23, v61 bitop3:0x30
	s_wait_dscnt 0x0
	v_add_nc_u16 v68, v59, 1
	v_dual_lshlrev_b32 v67, 10, v61 :: v_dual_lshrrev_b32 v61, 2, v61
	ds_store_b16 v4, v68
	ds_load_u16 v1, v66
	v_and_or_b32 v67, 0x1c00, v67, v0
	v_and_b32_e32 v61, 62, v61
	s_delay_alu instid0(VALU_DEP_1)
	v_lshl_add_u32 v67, v67, 2, v61
	s_wait_dscnt 0x0
	v_add_nc_u16 v68, v1, 1
	ds_store_b16 v66, v68
	ds_load_u16 v61, v67
	v_lshlrev_b32_e32 v68, 5, v0
	s_wait_dscnt 0x0
	v_add_nc_u16 v69, v61, 1
	ds_store_b16 v67, v69
	s_wait_dscnt 0x0
	s_barrier_signal -1
	s_barrier_wait -1
	ds_load_2addr_b64 v[70:73], v68 offset1:1
	ds_load_2addr_b64 v[74:77], v68 offset0:2 offset1:3
	s_wait_dscnt 0x1
	v_add_nc_u32_e32 v69, v71, v70
	s_delay_alu instid0(VALU_DEP_1) | instskip(SKIP_2) | instid1(VALU_DEP_2)
	v_add3_u32 v69, v69, v72, v73
	v_and_b32_e32 v73, 31, v0
	s_wait_dscnt 0x0
	v_add3_u32 v70, v69, v74, v75
	v_mbcnt_lo_u32_b32 v69, -1, 0
	s_delay_alu instid0(VALU_DEP_2) | instskip(NEXT) | instid1(VALU_DEP_2)
	v_add3_u32 v70, v70, v76, v77
	v_and_b32_e32 v71, 15, v69
	s_delay_alu instid0(VALU_DEP_2) | instskip(NEXT) | instid1(VALU_DEP_2)
	v_mov_b32_dpp v72, v70 row_shr:1 row_mask:0xf bank_mask:0xf
	v_cmp_eq_u32_e32 vcc_lo, 0, v71
	s_delay_alu instid0(VALU_DEP_2) | instskip(NEXT) | instid1(VALU_DEP_1)
	v_cndmask_b32_e64 v72, v72, 0, vcc_lo
	v_add_nc_u32_e32 v70, v72, v70
	v_cmp_lt_u32_e64 s2, 1, v71
	v_cmp_lt_u32_e64 s3, 3, v71
	;; [unrolled: 1-line block ×3, first 2 shown]
	s_delay_alu instid0(VALU_DEP_4) | instskip(NEXT) | instid1(VALU_DEP_1)
	v_mov_b32_dpp v72, v70 row_shr:2 row_mask:0xf bank_mask:0xf
	v_cndmask_b32_e64 v72, 0, v72, s2
	s_delay_alu instid0(VALU_DEP_1) | instskip(NEXT) | instid1(VALU_DEP_1)
	v_add_nc_u32_e32 v70, v70, v72
	v_mov_b32_dpp v72, v70 row_shr:4 row_mask:0xf bank_mask:0xf
	s_delay_alu instid0(VALU_DEP_1) | instskip(NEXT) | instid1(VALU_DEP_1)
	v_cndmask_b32_e64 v72, 0, v72, s3
	v_add_nc_u32_e32 v70, v70, v72
	s_delay_alu instid0(VALU_DEP_1) | instskip(NEXT) | instid1(VALU_DEP_1)
	v_mov_b32_dpp v72, v70 row_shr:8 row_mask:0xf bank_mask:0xf
	v_cndmask_b32_e64 v71, 0, v72, s4
	v_bfe_i32 v72, v69, 4, 1
	s_delay_alu instid0(VALU_DEP_2) | instskip(SKIP_4) | instid1(VALU_DEP_2)
	v_add_nc_u32_e32 v70, v70, v71
	ds_swizzle_b32 v71, v70 offset:swizzle(BROADCAST,32,15)
	s_wait_dscnt 0x0
	v_and_b32_e32 v71, v72, v71
	v_dual_lshrrev_b32 v72, 5, v0 :: v_dual_bitop2_b32 v74, 16, v69 bitop3:0x40
	v_add_nc_u32_e32 v70, v70, v71
	s_delay_alu instid0(VALU_DEP_2) | instskip(NEXT) | instid1(VALU_DEP_3)
	v_cmp_eq_u32_e64 s5, 0, v74
	v_lshlrev_b32_e32 v71, 2, v72
	v_cmpx_eq_u32_e32 31, v73
; %bb.46:
	ds_store_b32 v71, v70 offset:32768
; %bb.47:
	s_or_b32 exec_lo, exec_lo, s7
	v_cmp_lt_u32_e64 s6, 31, v0
	s_mov_b32 s24, exec_lo
	s_wait_dscnt 0x0
	s_barrier_signal -1
	s_barrier_wait -1
	v_cmpx_gt_u32_e32 32, v0
	s_cbranch_execz .LBB484_49
; %bb.48:
	v_mad_i32_i24 v72, 0xffffffe4, v0, v68
	ds_load_b32 v73, v72 offset:32768
	s_wait_dscnt 0x0
	v_mov_b32_dpp v74, v73 row_shr:1 row_mask:0xf bank_mask:0xf
	s_delay_alu instid0(VALU_DEP_1) | instskip(NEXT) | instid1(VALU_DEP_1)
	v_cndmask_b32_e64 v74, v74, 0, vcc_lo
	v_add_nc_u32_e32 v73, v74, v73
	s_delay_alu instid0(VALU_DEP_1) | instskip(NEXT) | instid1(VALU_DEP_1)
	v_mov_b32_dpp v74, v73 row_shr:2 row_mask:0xf bank_mask:0xf
	v_cndmask_b32_e64 v74, 0, v74, s2
	s_delay_alu instid0(VALU_DEP_1) | instskip(NEXT) | instid1(VALU_DEP_1)
	v_add_nc_u32_e32 v73, v73, v74
	v_mov_b32_dpp v74, v73 row_shr:4 row_mask:0xf bank_mask:0xf
	s_delay_alu instid0(VALU_DEP_1) | instskip(NEXT) | instid1(VALU_DEP_1)
	v_cndmask_b32_e64 v74, 0, v74, s3
	v_add_nc_u32_e32 v73, v73, v74
	s_delay_alu instid0(VALU_DEP_1) | instskip(NEXT) | instid1(VALU_DEP_1)
	v_mov_b32_dpp v74, v73 row_shr:8 row_mask:0xf bank_mask:0xf
	v_cndmask_b32_e64 v74, 0, v74, s4
	s_delay_alu instid0(VALU_DEP_1) | instskip(SKIP_3) | instid1(VALU_DEP_1)
	v_add_nc_u32_e32 v73, v73, v74
	ds_swizzle_b32 v74, v73 offset:swizzle(BROADCAST,32,15)
	s_wait_dscnt 0x0
	v_cndmask_b32_e64 v74, v74, 0, s5
	v_add_nc_u32_e32 v73, v73, v74
	ds_store_b32 v72, v73 offset:32768
.LBB484_49:
	s_or_b32 exec_lo, exec_lo, s24
	v_dual_mov_b32 v73, 0 :: v_dual_mov_b32 v72, 0
	s_wait_dscnt 0x0
	s_barrier_signal -1
	s_barrier_wait -1
	s_and_saveexec_b32 s2, s6
; %bb.50:
	ds_load_b32 v72, v71 offset:32764
; %bb.51:
	s_or_b32 exec_lo, exec_lo, s2
	v_sub_co_u32 v71, vcc_lo, v69, 1
	s_wait_dscnt 0x0
	v_add_nc_u32_e32 v70, v72, v70
	s_delay_alu instid0(VALU_DEP_2) | instskip(NEXT) | instid1(VALU_DEP_1)
	v_cmp_gt_i32_e64 s2, 0, v71
	v_cndmask_b32_e64 v69, v71, v69, s2
	v_cmp_gt_u32_e64 s2, 16, v0
	s_delay_alu instid0(VALU_DEP_2)
	v_lshlrev_b32_e32 v69, 2, v69
	ds_bpermute_b32 v69, v69, v70
	ds_load_b32 v70, v73 offset:32892
	ds_load_2addr_b64 v[74:77], v68 offset1:1
	ds_load_b32 v78, v68 offset:24
	s_wait_dscnt 0x3
	v_cndmask_b32_e32 v69, v69, v72, vcc_lo
	ds_load_b64 v[72:73], v68 offset:16
	v_cmp_lt_u32_e32 vcc_lo, 15, v0
	s_wait_dscnt 0x3
	v_lshl_add_u32 v70, v70, 16, v69
	s_wait_dscnt 0x2
	s_delay_alu instid0(VALU_DEP_1) | instskip(NEXT) | instid1(VALU_DEP_1)
	v_add_nc_u32_e32 v71, v70, v74
	v_add_nc_u32_e32 v74, v75, v71
	s_delay_alu instid0(VALU_DEP_1) | instskip(NEXT) | instid1(VALU_DEP_1)
	v_add_nc_u32_e32 v75, v76, v74
	v_add_nc_u32_e32 v76, v77, v75
	s_wait_dscnt 0x0
	s_delay_alu instid0(VALU_DEP_1) | instskip(NEXT) | instid1(VALU_DEP_1)
	v_add_nc_u32_e32 v77, v72, v76
	v_add_nc_u32_e32 v72, v73, v77
	s_delay_alu instid0(VALU_DEP_1)
	v_add_nc_u32_e32 v73, v78, v72
	ds_store_2addr_b64 v68, v[70:71], v[74:75] offset1:1
	ds_store_2addr_b64 v68, v[76:77], v[72:73] offset0:2 offset1:3
	s_wait_dscnt 0x0
	s_barrier_signal -1
	s_barrier_wait -1
	ds_load_u16 v68, v2
	ds_load_u16 v69, v3
	;; [unrolled: 1-line block ×22, first 2 shown]
	v_mov_b64_e32 v[2:3], 0
                                        ; implicit-def: $vgpr4
	s_and_saveexec_b32 s4, s2
	s_cbranch_execz .LBB484_55
; %bb.52:
	v_dual_lshlrev_b32 v2, 12, v0 :: v_dual_lshrrev_b32 v3, 2, v0
	v_add_nc_u32_e32 v4, 1, v0
	s_mov_b32 s5, exec_lo
	s_delay_alu instid0(VALU_DEP_2)
	v_bitop3_b32 v2, v2, 0x70fe, v3 bitop3:0xc8
	v_mov_b32_e32 v3, 0x5800
	ds_load_u16 v2, v2
	v_cmpx_ne_u32_e32 16, v4
; %bb.53:
	v_dual_lshlrev_b32 v3, 12, v4 :: v_dual_lshrrev_b32 v4, 2, v4
	s_delay_alu instid0(VALU_DEP_1)
	v_bitop3_b32 v3, v3, 0x71fe, v4 bitop3:0xc8
	ds_load_u16 v3, v3
; %bb.54:
	s_or_b32 exec_lo, exec_lo, s5
	s_wait_dscnt 0x0
	v_and_b32_e32 v2, 0xffff, v2
	s_mov_b32 s3, 0
	s_delay_alu instid0(VALU_DEP_1) | instid1(SALU_CYCLE_1)
	v_dual_mov_b32 v3, s3 :: v_dual_sub_nc_u32 v4, v3, v2
.LBB484_55:
	s_or_b32 exec_lo, exec_lo, s4
	s_wait_dscnt 0x15
	v_and_b32_e32 v68, 0xffff, v68
	v_and_b32_e32 v26, 0xffff, v26
	s_wait_dscnt 0x14
	v_and_b32_e32 v69, 0xffff, v69
	v_and_b32_e32 v27, 0xffff, v27
	;; [unrolled: 3-line block ×4, first 2 shown]
	v_dual_add_nc_u32 v26, v68, v26 :: v_dual_add_nc_u32 v27, v69, v27
	s_wait_dscnt 0x11
	v_and_b32_e32 v38, 0xffff, v38
	v_and_b32_e32 v30, 0xffff, v30
	s_wait_dscnt 0x10
	v_and_b32_e32 v40, 0xffff, v40
	v_and_b32_e32 v31, 0xffff, v31
	v_add_nc_u32_e32 v28, v34, v28
	s_wait_dscnt 0xf
	v_and_b32_e32 v42, 0xffff, v42
	v_and_b32_e32 v32, 0xffff, v32
	s_wait_dscnt 0xe
	v_and_b32_e32 v45, 0xffff, v45
	v_and_b32_e32 v33, 0xffff, v33
	;; [unrolled: 3-line block ×3, first 2 shown]
	s_wait_dscnt 0x0
	s_barrier_signal -1
	s_barrier_wait -1
	ds_store_b8 v26, v25 offset:128
	ds_store_b8 v27, v24 offset:128
	;; [unrolled: 1-line block ×3, first 2 shown]
	v_add_nc_u32_e32 v23, v36, v29
	v_and_b32_e32 v51, 0xffff, v51
	v_and_b32_e32 v37, 0xffff, v37
	v_dual_add_nc_u32 v24, v38, v30 :: v_dual_add_nc_u32 v25, v40, v31
	v_and_b32_e32 v53, 0xffff, v53
	v_and_b32_e32 v39, 0xffff, v39
	;; [unrolled: 1-line block ×4, first 2 shown]
	v_dual_add_nc_u32 v26, v42, v32 :: v_dual_add_nc_u32 v27, v45, v33
	v_and_b32_e32 v57, 0xffff, v57
	v_and_b32_e32 v43, 0xffff, v43
	v_and_b32_e32 v58, 0xffff, v58
	v_and_b32_e32 v46, 0xffff, v46
	ds_store_b8 v23, v22 offset:128
	ds_store_b8 v24, v21 offset:128
	ds_store_b8 v25, v20 offset:128
	ds_store_b8 v26, v19 offset:128
	ds_store_b8 v27, v18 offset:128
	v_dual_add_nc_u32 v18, v48, v35 :: v_dual_add_nc_u32 v19, v51, v37
	v_and_b32_e32 v60, 0xffff, v60
	v_and_b32_e32 v49, 0xffff, v49
	;; [unrolled: 1-line block ×4, first 2 shown]
	v_dual_add_nc_u32 v20, v53, v39 :: v_dual_add_nc_u32 v21, v55, v41
	v_and_b32_e32 v63, 0xffff, v63
	v_and_b32_e32 v54, 0xffff, v54
	;; [unrolled: 1-line block ×4, first 2 shown]
	v_add_nc_u32_e32 v22, v57, v43
	ds_store_b8 v18, v17 offset:128
	ds_store_b8 v19, v16 offset:128
	ds_store_b8 v20, v15 offset:128
	ds_store_b8 v21, v14 offset:128
	ds_store_b8 v22, v13 offset:128
	v_dual_add_nc_u32 v13, v58, v46 :: v_dual_add_nc_u32 v14, v60, v49
	v_dual_add_nc_u32 v15, v62, v52 :: v_dual_add_nc_u32 v16, v63, v54
	v_add_nc_u32_e32 v17, v64, v56
	v_and_b32_e32 v65, 0xffff, v65
	v_and_b32_e32 v66, 0xffff, v66
	;; [unrolled: 1-line block ×4, first 2 shown]
	ds_store_b8 v13, v12 offset:128
	ds_store_b8 v14, v11 offset:128
	;; [unrolled: 1-line block ×5, first 2 shown]
	v_mov_b32_e32 v9, 0
	v_and_b32_e32 v70, 0xffff, v70
	v_and_b32_e32 v59, 0xffff, v59
	;; [unrolled: 1-line block ×4, first 2 shown]
	v_add_nc_u32_e32 v8, v65, v5
	v_dual_add_nc_u32 v11, v66, v1 :: v_dual_mov_b32 v1, v9
	v_dual_lshlrev_b32 v5, 3, v0 :: v_dual_add_nc_u32 v10, v70, v59
	s_delay_alu instid0(VALU_DEP_4)
	v_add_nc_u32_e32 v12, v67, v61
	s_not_b32 s3, s23
	ds_store_b8 v8, v7 offset:128
	ds_store_b8 v10, v44 offset:128
	;; [unrolled: 1-line block ×4, first 2 shown]
	s_and_saveexec_b32 s4, s2
	s_cbranch_execz .LBB484_65
; %bb.56:
	v_lshl_add_u32 v8, s19, 4, v0
	v_dual_mov_b32 v12, 0 :: v_dual_bitop2_b32 v7, 2.0, v4 bitop3:0x54
	s_mov_b32 s5, 0
	s_mov_b32 s6, s19
	s_delay_alu instid0(VALU_DEP_2)
	v_lshl_add_u64 v[10:11], v[8:9], 2, s[20:21]
	global_store_b32 v8, v7, s[20:21] scale_offset scope:SCOPE_DEV
                                        ; implicit-def: $sgpr2
	s_branch .LBB484_59
.LBB484_57:                             ;   in Loop: Header=BB484_59 Depth=1
	s_or_b32 exec_lo, exec_lo, s23
.LBB484_58:                             ;   in Loop: Header=BB484_59 Depth=1
	s_delay_alu instid0(SALU_CYCLE_1) | instskip(SKIP_2) | instid1(VALU_DEP_2)
	s_or_b32 exec_lo, exec_lo, s7
	v_and_b32_e32 v8, 0x3fffffff, v7
	v_cmp_gt_i32_e64 s2, -2.0, v7
	v_add_nc_u32_e32 v12, v8, v12
	s_and_b32 s7, exec_lo, s2
	s_delay_alu instid0(SALU_CYCLE_1) | instskip(NEXT) | instid1(SALU_CYCLE_1)
	s_or_b32 s5, s7, s5
	s_and_not1_b32 exec_lo, exec_lo, s5
	s_cbranch_execz .LBB484_64
.LBB484_59:                             ; =>This Loop Header: Depth=1
                                        ;     Child Loop BB484_62 Depth 2
	s_or_b32 s2, s2, exec_lo
	s_cmp_eq_u32 s6, 0
	s_cbranch_scc1 .LBB484_63
; %bb.60:                               ;   in Loop: Header=BB484_59 Depth=1
	s_add_co_i32 s6, s6, -1
	s_mov_b32 s7, exec_lo
	s_wait_xcnt 0x0
	v_lshl_or_b32 v8, s6, 4, v0
	global_load_b32 v7, v8, s[20:21] scale_offset scope:SCOPE_DEV
	s_wait_loadcnt 0x0
	v_cmpx_gt_u32_e32 2.0, v7
	s_cbranch_execz .LBB484_58
; %bb.61:                               ;   in Loop: Header=BB484_59 Depth=1
	v_lshl_add_u64 v[14:15], v[8:9], 2, s[20:21]
	s_mov_b32 s23, 0
.LBB484_62:                             ;   Parent Loop BB484_59 Depth=1
                                        ; =>  This Inner Loop Header: Depth=2
	global_load_b32 v7, v[14:15], off scope:SCOPE_DEV
	s_wait_loadcnt 0x0
	v_cmp_lt_u32_e64 s2, 0x3fffffff, v7
	s_or_b32 s23, s2, s23
	s_wait_xcnt 0x0
	s_and_not1_b32 exec_lo, exec_lo, s23
	s_cbranch_execnz .LBB484_62
	s_branch .LBB484_57
.LBB484_63:                             ;   in Loop: Header=BB484_59 Depth=1
                                        ; implicit-def: $sgpr6
	s_and_b32 s7, exec_lo, s2
	s_delay_alu instid0(SALU_CYCLE_1)
	s_or_b32 s5, s7, s5
	s_wait_xcnt 0x0
	s_and_not1_b32 exec_lo, exec_lo, s5
	s_cbranch_execnz .LBB484_59
.LBB484_64:
	s_or_b32 exec_lo, exec_lo, s5
	v_dual_add_nc_u32 v7, v12, v4 :: v_dual_mov_b32 v13, 0
	s_delay_alu instid0(VALU_DEP_1)
	v_or_b32_e32 v7, 0x80000000, v7
	global_store_b32 v[10:11], v7, off scope:SCOPE_DEV
	global_load_b64 v[8:9], v0, s[8:9] scale_offset
	s_wait_xcnt 0x1
	v_sub_nc_u64_e32 v[10:11], v[12:13], v[2:3]
	s_wait_loadcnt 0x0
	s_delay_alu instid0(VALU_DEP_1)
	v_add_nc_u64_e32 v[8:9], v[10:11], v[8:9]
	ds_store_b64 v5, v[8:9]
.LBB484_65:
	s_wait_xcnt 0x0
	s_or_b32 exec_lo, exec_lo, s4
	s_delay_alu instid0(SALU_CYCLE_1)
	s_mov_b32 s4, exec_lo
	s_wait_storecnt_dscnt 0x0
	s_barrier_signal -1
	s_barrier_wait -1
	v_cmpx_gt_u32_e64 s18, v0
	s_cbranch_execz .LBB484_67
; %bb.66:
	ds_load_u8 v7, v0 offset:128
	s_wait_dscnt 0x0
	v_and_b32_e32 v8, 0xff, v7
	v_xor_b32_e32 v7, 0x80, v7
	s_delay_alu instid0(VALU_DEP_2) | instskip(NEXT) | instid1(VALU_DEP_1)
	v_lshrrev_b32_e32 v8, s16, v8
	v_and_b32_e32 v8, s3, v8
	s_delay_alu instid0(VALU_DEP_1) | instskip(SKIP_3) | instid1(VALU_DEP_1)
	v_lshlrev_b32_e32 v8, 3, v8
	ds_load_b64 v[8:9], v8
	s_wait_dscnt 0x0
	v_add_nc_u64_e32 v[8:9], s[14:15], v[8:9]
	v_add_nc_u64_e32 v[8:9], v[8:9], v[0:1]
	global_store_b8 v[8:9], v7, off
.LBB484_67:
	s_wait_xcnt 0x0
	s_or_b32 exec_lo, exec_lo, s4
	v_or_b32_e32 v7, 0x400, v0
	s_mov_b32 s4, exec_lo
	s_delay_alu instid0(VALU_DEP_1)
	v_cmpx_gt_u32_e64 s18, v7
	s_cbranch_execz .LBB484_69
; %bb.68:
	ds_load_u8 v7, v0 offset:1152
	s_wait_dscnt 0x0
	v_and_b32_e32 v8, 0xff, v7
	v_xor_b32_e32 v7, 0x80, v7
	s_delay_alu instid0(VALU_DEP_2) | instskip(NEXT) | instid1(VALU_DEP_1)
	v_lshrrev_b32_e32 v8, s16, v8
	v_and_b32_e32 v8, s3, v8
	s_delay_alu instid0(VALU_DEP_1) | instskip(SKIP_3) | instid1(VALU_DEP_1)
	v_lshlrev_b32_e32 v8, 3, v8
	ds_load_b64 v[8:9], v8
	s_wait_dscnt 0x0
	v_add_nc_u64_e32 v[8:9], s[14:15], v[8:9]
	v_add_nc_u64_e32 v[8:9], v[8:9], v[0:1]
	global_store_b8 v[8:9], v7, off offset:1024
.LBB484_69:
	s_wait_xcnt 0x0
	s_or_b32 exec_lo, exec_lo, s4
	v_or_b32_e32 v7, 0x800, v0
	s_mov_b32 s4, exec_lo
	s_delay_alu instid0(VALU_DEP_1)
	v_cmpx_gt_u32_e64 s18, v7
	s_cbranch_execz .LBB484_71
; %bb.70:
	ds_load_u8 v7, v0 offset:2176
	s_wait_dscnt 0x0
	v_and_b32_e32 v8, 0xff, v7
	v_xor_b32_e32 v7, 0x80, v7
	s_delay_alu instid0(VALU_DEP_2) | instskip(NEXT) | instid1(VALU_DEP_1)
	v_lshrrev_b32_e32 v8, s16, v8
	v_and_b32_e32 v8, s3, v8
	s_delay_alu instid0(VALU_DEP_1) | instskip(SKIP_3) | instid1(VALU_DEP_1)
	v_lshlrev_b32_e32 v8, 3, v8
	ds_load_b64 v[8:9], v8
	s_wait_dscnt 0x0
	v_add_nc_u64_e32 v[8:9], s[14:15], v[8:9]
	v_add_nc_u64_e32 v[8:9], v[8:9], v[0:1]
	global_store_b8 v[8:9], v7, off offset:2048
.LBB484_71:
	;; [unrolled: 23-line block ×20, first 2 shown]
	s_wait_xcnt 0x0
	s_or_b32 exec_lo, exec_lo, s4
	v_or_b32_e32 v7, 0x5400, v0
	s_mov_b32 s4, exec_lo
	s_delay_alu instid0(VALU_DEP_1)
	v_cmpx_gt_u32_e64 s18, v7
	s_cbranch_execz .LBB484_109
; %bb.108:
	ds_load_u8 v7, v0 offset:21632
	s_wait_dscnt 0x0
	v_and_b32_e32 v8, 0xff, v7
	s_delay_alu instid0(VALU_DEP_1) | instskip(NEXT) | instid1(VALU_DEP_1)
	v_lshrrev_b32_e32 v8, s16, v8
	v_and_b32_e32 v8, s3, v8
	s_delay_alu instid0(VALU_DEP_1) | instskip(SKIP_3) | instid1(VALU_DEP_1)
	v_lshlrev_b32_e32 v8, 3, v8
	ds_load_b64 v[8:9], v8
	s_wait_dscnt 0x0
	v_add_nc_u64_e32 v[8:9], s[14:15], v[8:9]
	v_add_nc_u64_e32 v[8:9], v[8:9], v[0:1]
	v_xor_b32_e32 v1, 0x80, v7
	global_store_b8 v[8:9], v1, off offset:21504
.LBB484_109:
	s_wait_xcnt 0x0
	s_or_b32 exec_lo, exec_lo, s4
	s_load_b32 s2, s[0:1], 0x58
	s_wait_kmcnt 0x0
	s_add_co_i32 s2, s2, -1
	s_delay_alu instid0(SALU_CYCLE_1) | instskip(SKIP_2) | instid1(SALU_CYCLE_1)
	s_cmp_eq_u32 s19, s2
	s_cselect_b32 s2, -1, 0
	s_xor_b32 s3, vcc_lo, -1
	s_and_b32 s3, s3, s2
	s_delay_alu instid0(SALU_CYCLE_1)
	s_and_saveexec_b32 s2, s3
	s_cbranch_execz .LBB484_111
; %bb.110:
	ds_load_b64 v[8:9], v5
	v_mov_b32_e32 v5, 0
	s_delay_alu instid0(VALU_DEP_1) | instskip(SKIP_1) | instid1(VALU_DEP_1)
	v_add_nc_u64_e32 v[2:3], v[2:3], v[4:5]
	s_wait_dscnt 0x0
	v_add_nc_u64_e32 v[2:3], v[2:3], v[8:9]
	global_store_b64 v0, v[2:3], s[10:11] scale_offset
.LBB484_111:
	s_wait_xcnt 0x0
	s_or_b32 exec_lo, exec_lo, s2
	s_mov_b32 s2, 0
.LBB484_112:
	s_delay_alu instid0(SALU_CYCLE_1)
	s_and_b32 vcc_lo, exec_lo, s2
	s_cbranch_vccz .LBB484_135
; %bb.113:
	s_mov_b32 s23, 0
	v_dual_mov_b32 v13, 0 :: v_dual_lshlrev_b32 v12, 2, v0
	s_add_nc_u64 s[2:3], s[12:13], s[22:23]
	s_clause 0x1
	global_load_b128 v[2:5], v6, s[2:3]
	global_load_b32 v8, v6, s[2:3] offset:16
	s_lshl_b32 s12, -1, s17
	ds_store_2addr_stride64_b32 v12, v13, v13 offset1:16
	ds_store_2addr_stride64_b32 v12, v13, v13 offset0:32 offset1:48
	ds_store_2addr_stride64_b32 v12, v13, v13 offset0:64 offset1:80
	;; [unrolled: 1-line block ×3, first 2 shown]
	global_load_u16 v42, v6, s[2:3] offset:20
	s_mov_b32 s7, exec_lo
	s_wait_loadcnt 0x2
	v_xor_b32_e32 v1, 0xffffff80, v2
	v_lshrrev_b32_e32 v9, 8, v2
	s_delay_alu instid0(VALU_DEP_2) | instskip(NEXT) | instid1(VALU_DEP_1)
	v_and_b32_e32 v7, 0xff, v1
	v_lshrrev_b32_e32 v7, s16, v7
	s_delay_alu instid0(VALU_DEP_1) | instskip(NEXT) | instid1(VALU_DEP_1)
	v_bitop3_b32 v7, v7, s12, v7 bitop3:0x30
	v_dual_lshlrev_b32 v10, 10, v7 :: v_dual_lshrrev_b32 v11, 2, v7
	v_xor_b32_e32 v7, 0xffffff80, v9
	s_delay_alu instid0(VALU_DEP_2) | instskip(NEXT) | instid1(VALU_DEP_3)
	v_and_or_b32 v9, 0x1c00, v10, v0
	v_and_b32_e32 v10, 62, v11
	s_delay_alu instid0(VALU_DEP_3) | instskip(NEXT) | instid1(VALU_DEP_2)
	v_and_b32_e32 v11, 0xff, v7
	v_lshl_add_u32 v17, v9, 2, v10
	s_delay_alu instid0(VALU_DEP_2) | instskip(SKIP_3) | instid1(VALU_DEP_2)
	v_lshrrev_b32_e32 v9, s16, v11
	ds_load_u16 v11, v17
	v_bitop3_b32 v9, v9, s12, v9 bitop3:0x30
	v_dual_lshrrev_b32 v10, 16, v2 :: v_dual_lshrrev_b32 v2, 24, v2
	v_dual_lshlrev_b32 v12, 10, v9 :: v_dual_lshrrev_b32 v9, 2, v9
	s_delay_alu instid0(VALU_DEP_2) | instskip(NEXT) | instid1(VALU_DEP_2)
	v_xor_b32_e32 v10, 0xffffff80, v10
	v_and_or_b32 v12, 0x1c00, v12, v0
	s_delay_alu instid0(VALU_DEP_3) | instskip(NEXT) | instid1(VALU_DEP_3)
	v_and_b32_e32 v9, 62, v9
	v_and_b32_e32 v13, 0xff, v10
	s_delay_alu instid0(VALU_DEP_2) | instskip(NEXT) | instid1(VALU_DEP_2)
	v_lshl_add_u32 v20, v12, 2, v9
	v_lshrrev_b32_e32 v9, s16, v13
	v_xor_b32_e32 v12, 0xffffff80, v2
	s_wait_dscnt 0x0
	v_add_nc_u16 v14, v11, 1
	s_delay_alu instid0(VALU_DEP_3) | instskip(SKIP_3) | instid1(VALU_DEP_1)
	v_bitop3_b32 v9, v9, s12, v9 bitop3:0x30
	ds_store_b16 v17, v14
	ds_load_u16 v14, v20
	v_dual_lshlrev_b32 v13, 10, v9 :: v_dual_lshrrev_b32 v9, 2, v9
	v_and_or_b32 v2, 0x1c00, v13, v0
	s_delay_alu instid0(VALU_DEP_2) | instskip(SKIP_1) | instid1(VALU_DEP_2)
	v_and_b32_e32 v9, 62, v9
	v_and_b32_e32 v13, 0xff, v12
	v_lshl_add_u32 v2, v2, 2, v9
	s_delay_alu instid0(VALU_DEP_2) | instskip(SKIP_1) | instid1(VALU_DEP_2)
	v_lshrrev_b32_e32 v9, s16, v13
	v_xor_b32_e32 v13, 0xffffff80, v3
	v_bitop3_b32 v9, v9, s12, v9 bitop3:0x30
	s_wait_dscnt 0x0
	v_add_nc_u16 v15, v14, 1
	s_delay_alu instid0(VALU_DEP_3) | instskip(NEXT) | instid1(VALU_DEP_3)
	v_and_b32_e32 v18, 0xff, v13
	v_dual_lshlrev_b32 v16, 10, v9 :: v_dual_lshrrev_b32 v9, 2, v9
	ds_store_b16 v20, v15
	ds_load_u16 v15, v2
	v_and_or_b32 v16, 0x1c00, v16, v0
	v_and_b32_e32 v9, 62, v9
	s_delay_alu instid0(VALU_DEP_1) | instskip(SKIP_1) | instid1(VALU_DEP_1)
	v_lshl_add_u32 v27, v16, 2, v9
	v_dual_lshrrev_b32 v9, s16, v18 :: v_dual_lshrrev_b32 v16, 8, v3
	v_bitop3_b32 v9, v9, s12, v9 bitop3:0x30
	s_delay_alu instid0(VALU_DEP_2) | instskip(NEXT) | instid1(VALU_DEP_2)
	v_xor_b32_e32 v16, 0xffffff80, v16
	v_dual_lshlrev_b32 v18, 10, v9 :: v_dual_lshrrev_b32 v9, 2, v9
	s_wait_dscnt 0x0
	v_add_nc_u16 v19, v15, 1
	s_delay_alu instid0(VALU_DEP_3) | instskip(NEXT) | instid1(VALU_DEP_3)
	v_and_b32_e32 v21, 0xff, v16
	v_and_or_b32 v18, 0x1c00, v18, v0
	v_and_b32_e32 v9, 62, v9
	ds_store_b16 v2, v19
	ds_load_u16 v19, v27
	v_lshl_add_u32 v34, v18, 2, v9
	v_dual_lshrrev_b32 v9, s16, v21 :: v_dual_lshrrev_b32 v18, 16, v3
	v_lshrrev_b32_e32 v3, 24, v3
	s_delay_alu instid0(VALU_DEP_2) | instskip(NEXT) | instid1(VALU_DEP_3)
	v_bitop3_b32 v9, v9, s12, v9 bitop3:0x30
	v_xor_b32_e32 v18, 0xffffff80, v18
	s_wait_xcnt 0x0
	s_delay_alu instid0(VALU_DEP_1) | instskip(SKIP_2) | instid1(VALU_DEP_2)
	v_and_b32_e32 v6, 0xff, v18
	s_wait_dscnt 0x0
	v_add_nc_u16 v22, v19, 1
	v_lshrrev_b32_e32 v6, s16, v6
	ds_store_b16 v27, v22
	ds_load_u16 v21, v34
	v_dual_lshlrev_b32 v22, 10, v9 :: v_dual_lshrrev_b32 v9, 2, v9
	v_bitop3_b32 v6, v6, s12, v6 bitop3:0x30
	s_delay_alu instid0(VALU_DEP_2) | instskip(NEXT) | instid1(VALU_DEP_3)
	v_and_or_b32 v22, 0x1c00, v22, v0
	v_and_b32_e32 v9, 62, v9
	s_delay_alu instid0(VALU_DEP_1) | instskip(NEXT) | instid1(VALU_DEP_4)
	v_lshl_add_u32 v41, v22, 2, v9
	v_dual_lshlrev_b32 v9, 10, v6 :: v_dual_lshrrev_b32 v22, 2, v6
	v_xor_b32_e32 v6, 0xffffff80, v3
	s_delay_alu instid0(VALU_DEP_2) | instskip(NEXT) | instid1(VALU_DEP_3)
	v_and_or_b32 v3, 0x1c00, v9, v0
	v_and_b32_e32 v9, 62, v22
	s_wait_dscnt 0x0
	v_add_nc_u16 v23, v21, 1
	v_and_b32_e32 v22, 0xff, v6
	s_delay_alu instid0(VALU_DEP_3) | instskip(SKIP_4) | instid1(VALU_DEP_2)
	v_lshl_add_u32 v3, v3, 2, v9
	ds_store_b16 v34, v23
	ds_load_u16 v25, v41
	v_lshrrev_b32_e32 v9, s16, v22
	v_xor_b32_e32 v22, 0xffffff80, v4
	v_bitop3_b32 v9, v9, s12, v9 bitop3:0x30
	s_delay_alu instid0(VALU_DEP_2)
	v_and_b32_e32 v24, 0xff, v22
	s_wait_dscnt 0x0
	v_add_nc_u16 v23, v25, 1
	ds_store_b16 v41, v23
	ds_load_u16 v29, v3
	v_dual_lshlrev_b32 v23, 10, v9 :: v_dual_lshrrev_b32 v9, 2, v9
	s_delay_alu instid0(VALU_DEP_1) | instskip(NEXT) | instid1(VALU_DEP_2)
	v_and_or_b32 v23, 0x1c00, v23, v0
	v_and_b32_e32 v9, 62, v9
	s_delay_alu instid0(VALU_DEP_1) | instskip(SKIP_2) | instid1(VALU_DEP_2)
	v_lshl_add_u32 v47, v23, 2, v9
	v_lshrrev_b32_e32 v9, s16, v24
	v_lshrrev_b32_e32 v23, 8, v4
	v_bitop3_b32 v9, v9, s12, v9 bitop3:0x30
	s_delay_alu instid0(VALU_DEP_2) | instskip(SKIP_2) | instid1(VALU_DEP_3)
	v_xor_b32_e32 v23, 0xffffff80, v23
	s_wait_dscnt 0x0
	v_add_nc_u16 v26, v29, 1
	v_dual_lshlrev_b32 v24, 10, v9 :: v_dual_lshrrev_b32 v9, 2, v9
	ds_store_b16 v3, v26
	ds_load_u16 v31, v47
	v_and_b32_e32 v26, 0xff, v23
	v_and_or_b32 v24, 0x1c00, v24, v0
	v_and_b32_e32 v9, 62, v9
	s_delay_alu instid0(VALU_DEP_1) | instskip(NEXT) | instid1(VALU_DEP_4)
	v_lshl_add_u32 v49, v24, 2, v9
	v_dual_lshrrev_b32 v9, s16, v26 :: v_dual_lshrrev_b32 v24, 16, v4
	v_lshrrev_b32_e32 v4, 24, v4
	s_delay_alu instid0(VALU_DEP_2) | instskip(NEXT) | instid1(VALU_DEP_3)
	v_bitop3_b32 v9, v9, s12, v9 bitop3:0x30
	v_xor_b32_e32 v24, 0xffffff80, v24
	s_delay_alu instid0(VALU_DEP_2) | instskip(SKIP_2) | instid1(VALU_DEP_2)
	v_dual_lshlrev_b32 v26, 10, v9 :: v_dual_lshrrev_b32 v9, 2, v9
	s_wait_dscnt 0x0
	v_add_nc_u16 v28, v31, 1
	v_and_or_b32 v26, 0x1c00, v26, v0
	s_delay_alu instid0(VALU_DEP_3)
	v_and_b32_e32 v9, 62, v9
	ds_store_b16 v47, v28
	ds_load_u16 v33, v49
	v_and_b32_e32 v28, 0xff, v24
	v_lshl_add_u32 v51, v26, 2, v9
	v_xor_b32_e32 v26, 0xffffff80, v4
	s_delay_alu instid0(VALU_DEP_3) | instskip(NEXT) | instid1(VALU_DEP_1)
	v_lshrrev_b32_e32 v9, s16, v28
	v_bitop3_b32 v9, v9, s12, v9 bitop3:0x30
	s_delay_alu instid0(VALU_DEP_1) | instskip(SKIP_2) | instid1(VALU_DEP_2)
	v_dual_lshlrev_b32 v28, 10, v9 :: v_dual_lshrrev_b32 v9, 2, v9
	s_wait_dscnt 0x0
	v_add_nc_u16 v30, v33, 1
	v_and_or_b32 v4, 0x1c00, v28, v0
	s_delay_alu instid0(VALU_DEP_3)
	v_and_b32_e32 v9, 62, v9
	v_and_b32_e32 v28, 0xff, v26
	ds_store_b16 v49, v30
	ds_load_u16 v35, v51
	v_lshl_add_u32 v4, v4, 2, v9
	v_lshrrev_b32_e32 v9, s16, v28
	v_xor_b32_e32 v28, 0xffffff80, v5
	s_delay_alu instid0(VALU_DEP_2) | instskip(NEXT) | instid1(VALU_DEP_2)
	v_bitop3_b32 v9, v9, s12, v9 bitop3:0x30
	v_and_b32_e32 v32, 0xff, v28
	s_wait_dscnt 0x0
	v_add_nc_u16 v30, v35, 1
	ds_store_b16 v51, v30
	ds_load_u16 v38, v4
	v_dual_lshlrev_b32 v30, 10, v9 :: v_dual_lshrrev_b32 v9, 2, v9
	s_delay_alu instid0(VALU_DEP_1) | instskip(NEXT) | instid1(VALU_DEP_2)
	v_and_or_b32 v30, 0x1c00, v30, v0
	v_and_b32_e32 v9, 62, v9
	s_delay_alu instid0(VALU_DEP_1) | instskip(SKIP_1) | instid1(VALU_DEP_1)
	v_lshl_add_u32 v54, v30, 2, v9
	v_dual_lshrrev_b32 v9, s16, v32 :: v_dual_lshrrev_b32 v30, 8, v5
	v_bitop3_b32 v9, v9, s12, v9 bitop3:0x30
	s_delay_alu instid0(VALU_DEP_2) | instskip(SKIP_2) | instid1(VALU_DEP_3)
	v_xor_b32_e32 v30, 0xffffff80, v30
	s_wait_dscnt 0x0
	v_add_nc_u16 v36, v38, 1
	v_dual_lshlrev_b32 v32, 10, v9 :: v_dual_lshrrev_b32 v9, 2, v9
	ds_store_b16 v4, v36
	ds_load_u16 v40, v54
	v_and_b32_e32 v36, 0xff, v30
	v_and_or_b32 v32, 0x1c00, v32, v0
	v_and_b32_e32 v9, 62, v9
	s_delay_alu instid0(VALU_DEP_1) | instskip(NEXT) | instid1(VALU_DEP_4)
	v_lshl_add_u32 v56, v32, 2, v9
	v_dual_lshrrev_b32 v9, s16, v36 :: v_dual_lshrrev_b32 v32, 16, v5
	v_lshrrev_b32_e32 v5, 24, v5
	s_delay_alu instid0(VALU_DEP_2) | instskip(NEXT) | instid1(VALU_DEP_3)
	v_bitop3_b32 v9, v9, s12, v9 bitop3:0x30
	v_xor_b32_e32 v32, 0xffffff80, v32
	s_delay_alu instid0(VALU_DEP_3) | instskip(NEXT) | instid1(VALU_DEP_3)
	v_xor_b32_e32 v5, 0xffffff80, v5
	v_dual_lshlrev_b32 v36, 10, v9 :: v_dual_lshrrev_b32 v9, 2, v9
	s_wait_dscnt 0x0
	v_add_nc_u16 v37, v40, 1
	s_delay_alu instid0(VALU_DEP_2) | instskip(NEXT) | instid1(VALU_DEP_3)
	v_and_or_b32 v36, 0x1c00, v36, v0
	v_and_b32_e32 v9, 62, v9
	ds_store_b16 v54, v37
	ds_load_u16 v43, v56
	v_and_b32_e32 v37, 0xff, v32
	v_lshl_add_u32 v58, v36, 2, v9
	s_delay_alu instid0(VALU_DEP_2) | instskip(SKIP_1) | instid1(VALU_DEP_2)
	v_lshrrev_b32_e32 v9, s16, v37
	v_and_b32_e32 v37, 0xff, v5
	v_bitop3_b32 v9, v9, s12, v9 bitop3:0x30
	s_delay_alu instid0(VALU_DEP_1) | instskip(SKIP_2) | instid1(VALU_DEP_2)
	v_dual_lshlrev_b32 v36, 10, v9 :: v_dual_lshrrev_b32 v9, 2, v9
	s_wait_dscnt 0x0
	v_add_nc_u16 v39, v43, 1
	v_and_or_b32 v36, 0x1c00, v36, v0
	s_delay_alu instid0(VALU_DEP_3)
	v_and_b32_e32 v9, 62, v9
	ds_store_b16 v56, v39
	ds_load_u16 v44, v58
	v_lshl_add_u32 v59, v36, 2, v9
	v_lshrrev_b32_e32 v9, s16, v37
	s_wait_loadcnt 0x1
	v_xor_b32_e32 v36, 0xffffff80, v8
	s_delay_alu instid0(VALU_DEP_2) | instskip(NEXT) | instid1(VALU_DEP_1)
	v_bitop3_b32 v9, v9, s12, v9 bitop3:0x30
	v_dual_lshlrev_b32 v37, 10, v9 :: v_dual_lshrrev_b32 v9, 2, v9
	s_delay_alu instid0(VALU_DEP_1) | instskip(NEXT) | instid1(VALU_DEP_2)
	v_and_or_b32 v37, 0x1c00, v37, v0
	v_and_b32_e32 v9, 62, v9
	s_wait_dscnt 0x0
	v_add_nc_u16 v39, v44, 1
	s_delay_alu instid0(VALU_DEP_2) | instskip(SKIP_4) | instid1(VALU_DEP_1)
	v_lshl_add_u32 v60, v37, 2, v9
	v_lshrrev_b32_e32 v37, 8, v8
	ds_store_b16 v58, v39
	ds_load_u16 v45, v59
	v_and_b32_e32 v39, 0xff, v36
	v_lshrrev_b32_e32 v9, s16, v39
	v_xor_b32_e32 v39, 0xffffff80, v37
	s_delay_alu instid0(VALU_DEP_2) | instskip(NEXT) | instid1(VALU_DEP_1)
	v_bitop3_b32 v9, v9, s12, v9 bitop3:0x30
	v_dual_lshlrev_b32 v48, 10, v9 :: v_dual_lshrrev_b32 v9, 2, v9
	s_wait_dscnt 0x0
	v_add_nc_u16 v46, v45, 1
	s_delay_alu instid0(VALU_DEP_2) | instskip(NEXT) | instid1(VALU_DEP_3)
	v_and_or_b32 v37, 0x1c00, v48, v0
	v_and_b32_e32 v9, 62, v9
	v_and_b32_e32 v48, 0xff, v39
	ds_store_b16 v59, v46
	ds_load_u16 v46, v60
	v_lshl_add_u32 v61, v37, 2, v9
	v_lshrrev_b32_e32 v9, s16, v48
	v_lshrrev_b32_e32 v37, 16, v8
	s_delay_alu instid0(VALU_DEP_2) | instskip(NEXT) | instid1(VALU_DEP_2)
	v_bitop3_b32 v9, v9, s12, v9 bitop3:0x30
	v_xor_b32_e32 v37, 0xffffff80, v37
	s_delay_alu instid0(VALU_DEP_1) | instskip(NEXT) | instid1(VALU_DEP_1)
	v_and_b32_e32 v52, 0xff, v37
	v_lshrrev_b32_e32 v52, s16, v52
	s_wait_dscnt 0x0
	v_add_nc_u16 v50, v46, 1
	s_delay_alu instid0(VALU_DEP_2) | instskip(SKIP_3) | instid1(VALU_DEP_1)
	v_bitop3_b32 v55, v52, s12, v52 bitop3:0x30
	ds_store_b16 v60, v50
	ds_load_u16 v48, v61
	v_dual_lshlrev_b32 v50, 10, v9 :: v_dual_lshrrev_b32 v9, 2, v9
	v_and_or_b32 v50, 0x1c00, v50, v0
	s_delay_alu instid0(VALU_DEP_2) | instskip(NEXT) | instid1(VALU_DEP_1)
	v_and_b32_e32 v9, 62, v9
	v_lshl_add_u32 v62, v50, 2, v9
	s_wait_loadcnt 0x0
	v_and_b32_e32 v9, 0xffff, v42
	v_xor_b32_e32 v42, 0xffffff80, v42
	s_wait_dscnt 0x0
	v_add_nc_u16 v53, v48, 1
	ds_store_b16 v61, v53
	ds_load_u16 v50, v62
	v_lshrrev_b64 v[52:53], 24, v[8:9]
	v_dual_lshlrev_b32 v53, 10, v55 :: v_dual_lshrrev_b32 v55, 2, v55
	v_lshrrev_b32_e32 v9, 8, v9
	s_delay_alu instid0(VALU_DEP_3) | instskip(NEXT) | instid1(VALU_DEP_3)
	v_xor_b32_e32 v8, 0xffffff80, v52
	v_and_or_b32 v52, 0x1c00, v53, v0
	s_delay_alu instid0(VALU_DEP_4) | instskip(NEXT) | instid1(VALU_DEP_4)
	v_and_b32_e32 v53, 62, v55
	v_xor_b32_e32 v9, 0xffffff80, v9
	s_delay_alu instid0(VALU_DEP_4) | instskip(NEXT) | instid1(VALU_DEP_3)
	v_and_b32_e32 v55, 0xff, v8
	v_lshl_add_u32 v63, v52, 2, v53
	s_delay_alu instid0(VALU_DEP_3) | instskip(NEXT) | instid1(VALU_DEP_3)
	v_and_b32_e32 v66, 0xff, v9
	v_lshrrev_b32_e32 v53, s16, v55
	s_wait_dscnt 0x0
	v_add_nc_u16 v57, v50, 1
	s_delay_alu instid0(VALU_DEP_2) | instskip(SKIP_4) | instid1(VALU_DEP_1)
	v_bitop3_b32 v53, v53, s12, v53 bitop3:0x30
	ds_store_b16 v62, v57
	ds_load_u16 v52, v63
	v_and_b32_e32 v57, 0xff, v42
	v_dual_lshlrev_b32 v55, 10, v53 :: v_dual_lshrrev_b32 v53, 2, v53
	v_and_or_b32 v55, 0x1c00, v55, v0
	s_delay_alu instid0(VALU_DEP_2) | instskip(NEXT) | instid1(VALU_DEP_1)
	v_and_b32_e32 v53, 62, v53
	v_lshl_add_u32 v64, v55, 2, v53
	v_lshrrev_b32_e32 v55, s16, v57
	s_delay_alu instid0(VALU_DEP_1) | instskip(SKIP_2) | instid1(VALU_DEP_2)
	v_bitop3_b32 v55, v55, s12, v55 bitop3:0x30
	s_wait_dscnt 0x0
	v_add_nc_u16 v65, v52, 1
	v_lshlrev_b32_e32 v57, 10, v55
	ds_store_b16 v63, v65
	ds_load_u16 v53, v64
	v_lshrrev_b32_e32 v55, 2, v55
	v_and_or_b32 v57, 0x1c00, v57, v0
	s_delay_alu instid0(VALU_DEP_2) | instskip(NEXT) | instid1(VALU_DEP_1)
	v_and_b32_e32 v55, 62, v55
	v_lshl_add_u32 v65, v57, 2, v55
	v_lshrrev_b32_e32 v57, s16, v66
	s_delay_alu instid0(VALU_DEP_1) | instskip(SKIP_2) | instid1(VALU_DEP_2)
	v_bitop3_b32 v57, v57, s12, v57 bitop3:0x30
	s_wait_dscnt 0x0
	v_add_nc_u16 v67, v53, 1
	v_dual_lshlrev_b32 v66, 10, v57 :: v_dual_lshrrev_b32 v57, 2, v57
	ds_store_b16 v64, v67
	ds_load_u16 v55, v65
	v_and_or_b32 v66, 0x1c00, v66, v0
	v_and_b32_e32 v57, 62, v57
	s_delay_alu instid0(VALU_DEP_1)
	v_lshl_add_u32 v66, v66, 2, v57
	s_wait_dscnt 0x0
	v_add_nc_u16 v67, v55, 1
	ds_store_b16 v65, v67
	ds_load_u16 v57, v66
	v_lshlrev_b32_e32 v67, 5, v0
	s_wait_dscnt 0x0
	v_add_nc_u16 v68, v57, 1
	ds_store_b16 v66, v68
	s_wait_storecnt_dscnt 0x0
	s_barrier_signal -1
	s_barrier_wait -1
	ds_load_2addr_b64 v[68:71], v67 offset1:1
	ds_load_2addr_b64 v[72:75], v67 offset0:2 offset1:3
	s_wait_dscnt 0x1
	v_add_nc_u32_e32 v68, v69, v68
	s_delay_alu instid0(VALU_DEP_1) | instskip(SKIP_1) | instid1(VALU_DEP_1)
	v_add3_u32 v68, v68, v70, v71
	s_wait_dscnt 0x0
	v_add3_u32 v69, v68, v72, v73
	v_mbcnt_lo_u32_b32 v68, -1, 0
	v_and_b32_e32 v72, 31, v0
	s_delay_alu instid0(VALU_DEP_3) | instskip(NEXT) | instid1(VALU_DEP_3)
	v_add3_u32 v69, v69, v74, v75
	v_and_b32_e32 v70, 15, v68
	s_delay_alu instid0(VALU_DEP_2) | instskip(NEXT) | instid1(VALU_DEP_2)
	v_mov_b32_dpp v71, v69 row_shr:1 row_mask:0xf bank_mask:0xf
	v_cmp_eq_u32_e32 vcc_lo, 0, v70
	v_cmp_lt_u32_e64 s2, 1, v70
	v_cmp_lt_u32_e64 s3, 3, v70
	;; [unrolled: 1-line block ×3, first 2 shown]
	v_cndmask_b32_e64 v71, v71, 0, vcc_lo
	s_delay_alu instid0(VALU_DEP_1) | instskip(NEXT) | instid1(VALU_DEP_1)
	v_add_nc_u32_e32 v69, v71, v69
	v_mov_b32_dpp v71, v69 row_shr:2 row_mask:0xf bank_mask:0xf
	s_delay_alu instid0(VALU_DEP_1) | instskip(NEXT) | instid1(VALU_DEP_1)
	v_cndmask_b32_e64 v71, 0, v71, s2
	v_add_nc_u32_e32 v69, v69, v71
	s_delay_alu instid0(VALU_DEP_1) | instskip(NEXT) | instid1(VALU_DEP_1)
	v_mov_b32_dpp v71, v69 row_shr:4 row_mask:0xf bank_mask:0xf
	v_cndmask_b32_e64 v71, 0, v71, s3
	s_delay_alu instid0(VALU_DEP_1) | instskip(NEXT) | instid1(VALU_DEP_1)
	v_add_nc_u32_e32 v69, v69, v71
	v_mov_b32_dpp v71, v69 row_shr:8 row_mask:0xf bank_mask:0xf
	s_delay_alu instid0(VALU_DEP_1) | instskip(SKIP_1) | instid1(VALU_DEP_2)
	v_cndmask_b32_e64 v70, 0, v71, s4
	v_bfe_i32 v71, v68, 4, 1
	v_add_nc_u32_e32 v69, v69, v70
	ds_swizzle_b32 v70, v69 offset:swizzle(BROADCAST,32,15)
	s_wait_dscnt 0x0
	v_dual_lshrrev_b32 v71, 5, v0 :: v_dual_bitop2_b32 v70, v71, v70 bitop3:0x40
	s_delay_alu instid0(VALU_DEP_1) | instskip(NEXT) | instid1(VALU_DEP_2)
	v_dual_add_nc_u32 v69, v69, v70 :: v_dual_bitop2_b32 v73, 16, v68 bitop3:0x40
	v_lshlrev_b32_e32 v70, 2, v71
	s_delay_alu instid0(VALU_DEP_2)
	v_cmp_eq_u32_e64 s5, 0, v73
	v_cmpx_eq_u32_e32 31, v72
; %bb.114:
	ds_store_b32 v70, v69 offset:32768
; %bb.115:
	s_or_b32 exec_lo, exec_lo, s7
	v_cmp_lt_u32_e64 s6, 31, v0
	s_mov_b32 s13, exec_lo
	s_wait_dscnt 0x0
	s_barrier_signal -1
	s_barrier_wait -1
	v_cmpx_gt_u32_e32 32, v0
	s_cbranch_execz .LBB484_117
; %bb.116:
	v_mad_i32_i24 v71, 0xffffffe4, v0, v67
	ds_load_b32 v72, v71 offset:32768
	s_wait_dscnt 0x0
	v_mov_b32_dpp v73, v72 row_shr:1 row_mask:0xf bank_mask:0xf
	s_delay_alu instid0(VALU_DEP_1) | instskip(NEXT) | instid1(VALU_DEP_1)
	v_cndmask_b32_e64 v73, v73, 0, vcc_lo
	v_add_nc_u32_e32 v72, v73, v72
	s_delay_alu instid0(VALU_DEP_1) | instskip(NEXT) | instid1(VALU_DEP_1)
	v_mov_b32_dpp v73, v72 row_shr:2 row_mask:0xf bank_mask:0xf
	v_cndmask_b32_e64 v73, 0, v73, s2
	s_delay_alu instid0(VALU_DEP_1) | instskip(NEXT) | instid1(VALU_DEP_1)
	v_add_nc_u32_e32 v72, v72, v73
	v_mov_b32_dpp v73, v72 row_shr:4 row_mask:0xf bank_mask:0xf
	s_delay_alu instid0(VALU_DEP_1) | instskip(NEXT) | instid1(VALU_DEP_1)
	v_cndmask_b32_e64 v73, 0, v73, s3
	v_add_nc_u32_e32 v72, v72, v73
	s_delay_alu instid0(VALU_DEP_1) | instskip(NEXT) | instid1(VALU_DEP_1)
	v_mov_b32_dpp v73, v72 row_shr:8 row_mask:0xf bank_mask:0xf
	v_cndmask_b32_e64 v73, 0, v73, s4
	s_delay_alu instid0(VALU_DEP_1) | instskip(SKIP_3) | instid1(VALU_DEP_1)
	v_add_nc_u32_e32 v72, v72, v73
	ds_swizzle_b32 v73, v72 offset:swizzle(BROADCAST,32,15)
	s_wait_dscnt 0x0
	v_cndmask_b32_e64 v73, v73, 0, s5
	v_add_nc_u32_e32 v72, v72, v73
	ds_store_b32 v71, v72 offset:32768
.LBB484_117:
	s_or_b32 exec_lo, exec_lo, s13
	v_dual_mov_b32 v72, 0 :: v_dual_mov_b32 v71, 0
	s_wait_dscnt 0x0
	s_barrier_signal -1
	s_barrier_wait -1
	s_and_saveexec_b32 s2, s6
; %bb.118:
	ds_load_b32 v71, v70 offset:32764
; %bb.119:
	s_or_b32 exec_lo, exec_lo, s2
	v_sub_co_u32 v70, vcc_lo, v68, 1
	s_wait_dscnt 0x0
	v_add_nc_u32_e32 v69, v71, v69
	s_delay_alu instid0(VALU_DEP_2) | instskip(NEXT) | instid1(VALU_DEP_1)
	v_cmp_gt_i32_e64 s2, 0, v70
	v_cndmask_b32_e64 v68, v70, v68, s2
	v_cmp_gt_u32_e64 s2, 16, v0
	s_delay_alu instid0(VALU_DEP_2)
	v_lshlrev_b32_e32 v68, 2, v68
	ds_bpermute_b32 v68, v68, v69
	ds_load_b32 v69, v72 offset:32892
	ds_load_2addr_b64 v[72:75], v67 offset1:1
	ds_load_b32 v76, v67 offset:24
	s_wait_dscnt 0x3
	v_cndmask_b32_e32 v68, v68, v71, vcc_lo
	ds_load_b64 v[70:71], v67 offset:16
	v_cmp_lt_u32_e32 vcc_lo, 15, v0
	s_wait_dscnt 0x3
	v_lshl_add_u32 v68, v69, 16, v68
	s_wait_dscnt 0x2
	s_delay_alu instid0(VALU_DEP_1) | instskip(NEXT) | instid1(VALU_DEP_1)
	v_add_nc_u32_e32 v69, v68, v72
	v_add_nc_u32_e32 v72, v73, v69
	s_delay_alu instid0(VALU_DEP_1) | instskip(NEXT) | instid1(VALU_DEP_1)
	v_add_nc_u32_e32 v73, v74, v72
	v_add_nc_u32_e32 v74, v75, v73
	s_wait_dscnt 0x0
	s_delay_alu instid0(VALU_DEP_1) | instskip(NEXT) | instid1(VALU_DEP_1)
	v_add_nc_u32_e32 v75, v70, v74
	v_add_nc_u32_e32 v70, v71, v75
	s_delay_alu instid0(VALU_DEP_1)
	v_add_nc_u32_e32 v71, v76, v70
	ds_store_2addr_b64 v67, v[68:69], v[72:73] offset1:1
	ds_store_2addr_b64 v67, v[74:75], v[70:71] offset0:2 offset1:3
	s_wait_dscnt 0x0
	s_barrier_signal -1
	s_barrier_wait -1
	ds_load_u16 v17, v17
	ds_load_u16 v20, v20
	;; [unrolled: 1-line block ×22, first 2 shown]
	v_mov_b64_e32 v[2:3], 0
                                        ; implicit-def: $vgpr4
	s_and_saveexec_b32 s4, s2
	s_cbranch_execz .LBB484_123
; %bb.120:
	v_dual_lshlrev_b32 v2, 12, v0 :: v_dual_lshrrev_b32 v3, 2, v0
	v_add_nc_u32_e32 v4, 1, v0
	s_mov_b32 s5, exec_lo
	s_delay_alu instid0(VALU_DEP_2)
	v_bitop3_b32 v2, v2, 0x70fe, v3 bitop3:0xc8
	v_mov_b32_e32 v3, 0x5800
	ds_load_u16 v2, v2
	v_cmpx_ne_u32_e32 16, v4
; %bb.121:
	v_dual_lshlrev_b32 v3, 12, v4 :: v_dual_lshrrev_b32 v4, 2, v4
	s_delay_alu instid0(VALU_DEP_1)
	v_bitop3_b32 v3, v3, 0x71fe, v4 bitop3:0xc8
	ds_load_u16 v3, v3
; %bb.122:
	s_or_b32 exec_lo, exec_lo, s5
	s_wait_dscnt 0x0
	v_and_b32_e32 v2, 0xffff, v2
	s_mov_b32 s3, 0
	s_delay_alu instid0(VALU_DEP_1) | instid1(SALU_CYCLE_1)
	v_dual_mov_b32 v3, s3 :: v_dual_sub_nc_u32 v4, v3, v2
.LBB484_123:
	s_or_b32 exec_lo, exec_lo, s4
	s_wait_dscnt 0x15
	v_and_b32_e32 v17, 0xffff, v17
	v_and_b32_e32 v11, 0xffff, v11
	s_wait_dscnt 0x14
	v_and_b32_e32 v20, 0xffff, v20
	v_and_b32_e32 v14, 0xffff, v14
	;; [unrolled: 3-line block ×4, first 2 shown]
	v_dual_add_nc_u32 v11, v17, v11 :: v_dual_add_nc_u32 v14, v20, v14
	s_wait_dscnt 0x11
	v_and_b32_e32 v34, 0xffff, v34
	v_and_b32_e32 v21, 0xffff, v21
	s_wait_dscnt 0x10
	v_and_b32_e32 v41, 0xffff, v41
	v_and_b32_e32 v25, 0xffff, v25
	v_add_nc_u32_e32 v15, v67, v15
	s_wait_dscnt 0xf
	v_and_b32_e32 v68, 0xffff, v68
	v_and_b32_e32 v29, 0xffff, v29
	s_wait_dscnt 0xe
	v_and_b32_e32 v47, 0xffff, v47
	v_and_b32_e32 v31, 0xffff, v31
	;; [unrolled: 3-line block ×3, first 2 shown]
	s_wait_dscnt 0x0
	s_barrier_signal -1
	s_barrier_wait -1
	ds_store_b8 v11, v1 offset:128
	ds_store_b8 v14, v7 offset:128
	;; [unrolled: 1-line block ×3, first 2 shown]
	v_dual_add_nc_u32 v1, v27, v19 :: v_dual_add_nc_u32 v10, v41, v25
	v_and_b32_e32 v51, 0xffff, v51
	v_and_b32_e32 v35, 0xffff, v35
	v_add_nc_u32_e32 v7, v34, v21
	v_and_b32_e32 v69, 0xffff, v69
	v_and_b32_e32 v38, 0xffff, v38
	;; [unrolled: 1-line block ×4, first 2 shown]
	v_dual_add_nc_u32 v11, v68, v29 :: v_dual_add_nc_u32 v14, v47, v31
	v_and_b32_e32 v56, 0xffff, v56
	v_and_b32_e32 v43, 0xffff, v43
	;; [unrolled: 1-line block ×4, first 2 shown]
	ds_store_b8 v1, v12 offset:128
	ds_store_b8 v7, v13 offset:128
	;; [unrolled: 1-line block ×5, first 2 shown]
	v_dual_add_nc_u32 v1, v49, v33 :: v_dual_add_nc_u32 v6, v51, v35
	v_and_b32_e32 v59, 0xffff, v59
	v_and_b32_e32 v45, 0xffff, v45
	;; [unrolled: 1-line block ×4, first 2 shown]
	v_dual_add_nc_u32 v7, v69, v38 :: v_dual_add_nc_u32 v10, v54, v40
	v_and_b32_e32 v61, 0xffff, v61
	v_and_b32_e32 v48, 0xffff, v48
	;; [unrolled: 1-line block ×4, first 2 shown]
	v_add_nc_u32_e32 v11, v56, v43
	ds_store_b8 v1, v22 offset:128
	ds_store_b8 v6, v23 offset:128
	;; [unrolled: 1-line block ×5, first 2 shown]
	v_dual_add_nc_u32 v1, v58, v44 :: v_dual_add_nc_u32 v6, v59, v45
	v_dual_add_nc_u32 v7, v60, v46 :: v_dual_add_nc_u32 v10, v61, v48
	v_add_nc_u32_e32 v11, v62, v50
	v_and_b32_e32 v63, 0xffff, v63
	v_and_b32_e32 v66, 0xffff, v66
	;; [unrolled: 1-line block ×4, first 2 shown]
	ds_store_b8 v1, v30 offset:128
	ds_store_b8 v6, v32 offset:128
	;; [unrolled: 1-line block ×5, first 2 shown]
	v_mov_b32_e32 v7, 0
	v_and_b32_e32 v64, 0xffff, v64
	v_and_b32_e32 v53, 0xffff, v53
	;; [unrolled: 1-line block ×4, first 2 shown]
	v_dual_add_nc_u32 v6, v63, v52 :: v_dual_add_nc_u32 v12, v66, v57
	v_dual_mov_b32 v1, v7 :: v_dual_lshlrev_b32 v5, 3, v0
	s_delay_alu instid0(VALU_DEP_3)
	v_dual_add_nc_u32 v10, v64, v53 :: v_dual_add_nc_u32 v11, v65, v55
	s_not_b32 s3, s12
	ds_store_b8 v6, v37 offset:128
	ds_store_b8 v10, v8 offset:128
	;; [unrolled: 1-line block ×4, first 2 shown]
	s_and_saveexec_b32 s4, s2
	s_cbranch_execz .LBB484_133
; %bb.124:
	v_lshl_add_u32 v6, s19, 4, v0
	v_dual_mov_b32 v10, 0 :: v_dual_bitop2_b32 v11, 2.0, v4 bitop3:0x54
	s_mov_b32 s5, 0
	s_mov_b32 s6, s19
	s_delay_alu instid0(VALU_DEP_2)
	v_lshl_add_u64 v[8:9], v[6:7], 2, s[20:21]
	global_store_b32 v6, v11, s[20:21] scale_offset scope:SCOPE_DEV
                                        ; implicit-def: $sgpr2
	s_branch .LBB484_127
.LBB484_125:                            ;   in Loop: Header=BB484_127 Depth=1
	s_or_b32 exec_lo, exec_lo, s12
.LBB484_126:                            ;   in Loop: Header=BB484_127 Depth=1
	s_delay_alu instid0(SALU_CYCLE_1) | instskip(SKIP_2) | instid1(VALU_DEP_2)
	s_or_b32 exec_lo, exec_lo, s7
	v_and_b32_e32 v6, 0x3fffffff, v11
	v_cmp_gt_i32_e64 s2, -2.0, v11
	v_add_nc_u32_e32 v10, v6, v10
	s_and_b32 s7, exec_lo, s2
	s_delay_alu instid0(SALU_CYCLE_1) | instskip(NEXT) | instid1(SALU_CYCLE_1)
	s_or_b32 s5, s7, s5
	s_and_not1_b32 exec_lo, exec_lo, s5
	s_cbranch_execz .LBB484_132
.LBB484_127:                            ; =>This Loop Header: Depth=1
                                        ;     Child Loop BB484_130 Depth 2
	s_or_b32 s2, s2, exec_lo
	s_cmp_eq_u32 s6, 0
	s_cbranch_scc1 .LBB484_131
; %bb.128:                              ;   in Loop: Header=BB484_127 Depth=1
	s_add_co_i32 s6, s6, -1
	s_mov_b32 s7, exec_lo
	s_wait_xcnt 0x0
	v_lshl_or_b32 v6, s6, 4, v0
	global_load_b32 v11, v6, s[20:21] scale_offset scope:SCOPE_DEV
	s_wait_loadcnt 0x0
	v_cmpx_gt_u32_e32 2.0, v11
	s_cbranch_execz .LBB484_126
; %bb.129:                              ;   in Loop: Header=BB484_127 Depth=1
	v_lshl_add_u64 v[12:13], v[6:7], 2, s[20:21]
	s_mov_b32 s12, 0
.LBB484_130:                            ;   Parent Loop BB484_127 Depth=1
                                        ; =>  This Inner Loop Header: Depth=2
	global_load_b32 v11, v[12:13], off scope:SCOPE_DEV
	s_wait_loadcnt 0x0
	v_cmp_lt_u32_e64 s2, 0x3fffffff, v11
	s_or_b32 s12, s2, s12
	s_wait_xcnt 0x0
	s_and_not1_b32 exec_lo, exec_lo, s12
	s_cbranch_execnz .LBB484_130
	s_branch .LBB484_125
.LBB484_131:                            ;   in Loop: Header=BB484_127 Depth=1
                                        ; implicit-def: $sgpr6
	s_and_b32 s7, exec_lo, s2
	s_delay_alu instid0(SALU_CYCLE_1)
	s_or_b32 s5, s7, s5
	s_wait_xcnt 0x0
	s_and_not1_b32 exec_lo, exec_lo, s5
	s_cbranch_execnz .LBB484_127
.LBB484_132:
	s_or_b32 exec_lo, exec_lo, s5
	v_dual_mov_b32 v11, 0 :: v_dual_add_nc_u32 v6, v10, v4
	s_delay_alu instid0(VALU_DEP_1) | instskip(SKIP_4) | instid1(VALU_DEP_1)
	v_or_b32_e32 v6, 0x80000000, v6
	global_store_b32 v[8:9], v6, off scope:SCOPE_DEV
	global_load_b64 v[6:7], v0, s[8:9] scale_offset
	v_sub_nc_u64_e32 v[8:9], v[10:11], v[2:3]
	s_wait_loadcnt 0x0
	v_add_nc_u64_e32 v[6:7], v[8:9], v[6:7]
	ds_store_b64 v5, v[6:7]
.LBB484_133:
	s_wait_xcnt 0x0
	s_or_b32 exec_lo, exec_lo, s4
	s_wait_storecnt_dscnt 0x0
	s_barrier_signal -1
	s_barrier_wait -1
	ds_load_u8 v26, v0 offset:20608
	ds_load_u8 v27, v0 offset:21632
	;; [unrolled: 1-line block ×22, first 2 shown]
	s_wait_dscnt 0xf
	v_and_b32_e32 v12, 0xff, v10
	v_xor_b32_e32 v45, 0x80, v10
	s_wait_dscnt 0xe
	v_and_b32_e32 v10, 0xff, v30
	s_wait_dscnt 0xd
	v_and_b32_e32 v18, 0xff, v31
	v_and_b32_e32 v6, 0xff, v26
	;; [unrolled: 1-line block ×5, first 2 shown]
	v_dual_lshrrev_b32 v12, s16, v12 :: v_dual_lshrrev_b32 v10, s16, v10
	s_delay_alu instid0(VALU_DEP_4) | instskip(NEXT) | instid1(VALU_DEP_3)
	v_dual_lshrrev_b32 v6, s16, v6 :: v_dual_lshrrev_b32 v7, s16, v7
	v_dual_lshrrev_b32 v13, s16, v13 :: v_dual_lshrrev_b32 v11, s16, v11
	s_delay_alu instid0(VALU_DEP_3) | instskip(NEXT) | instid1(VALU_DEP_4)
	v_and_b32_e32 v10, s3, v10
	v_and_b32_e32 v12, s3, v12
	s_delay_alu instid0(VALU_DEP_4) | instskip(SKIP_4) | instid1(VALU_DEP_4)
	v_and_b32_e32 v7, s3, v7
	v_and_b32_e32 v6, s3, v6
	;; [unrolled: 1-line block ×4, first 2 shown]
	v_xor_b32_e32 v24, 0x80, v8
	v_dual_lshlrev_b32 v9, 3, v7 :: v_dual_lshlrev_b32 v6, 3, v6
	s_delay_alu instid0(VALU_DEP_3)
	v_dual_lshlrev_b32 v14, 3, v11 :: v_dual_lshlrev_b32 v13, 3, v13
	ds_load_b64 v[6:7], v6
	ds_load_b64 v[8:9], v9
	v_dual_lshlrev_b32 v16, 3, v10 :: v_dual_lshlrev_b32 v15, 3, v12
	ds_load_b64 v[10:11], v13
	ds_load_b64 v[12:13], v14
	s_wait_dscnt 0x10
	v_and_b32_e32 v19, 0xff, v32
	s_wait_dscnt 0xf
	v_and_b32_e32 v21, 0xff, v33
	;; [unrolled: 2-line block ×3, first 2 shown]
	v_lshrrev_b32_e32 v18, s16, v18
	ds_load_b64 v[14:15], v15
	ds_load_b64 v[16:17], v16
	v_lshrrev_b32_e32 v19, s16, v19
	s_wait_dscnt 0xf
	v_and_b32_e32 v23, 0xff, v35
	s_wait_dscnt 0xe
	v_and_b32_e32 v25, 0xff, v36
	v_dual_lshrrev_b32 v21, s16, v21 :: v_dual_lshrrev_b32 v22, s16, v22
	v_and_b32_e32 v19, s3, v19
	v_and_b32_e32 v18, s3, v18
	s_wait_dscnt 0xd
	v_and_b32_e32 v46, 0xff, v37
	v_dual_lshrrev_b32 v23, s16, v23 :: v_dual_lshrrev_b32 v25, s16, v25
	v_and_b32_e32 v48, s3, v22
	v_dual_lshlrev_b32 v22, 3, v19 :: v_dual_bitop2_b32 v21, s3, v21 bitop3:0x40
	v_lshlrev_b32_e32 v18, 3, v18
	s_wait_dscnt 0x3
	v_add_nc_u64_e32 v[10:11], s[14:15], v[10:11]
	s_wait_dscnt 0x2
	v_add_nc_u64_e32 v[12:13], s[14:15], v[12:13]
	v_dual_lshrrev_b32 v46, s16, v46 :: v_dual_bitop2_b32 v25, s3, v25 bitop3:0x40
	v_dual_lshlrev_b32 v23, 3, v21 :: v_dual_bitop2_b32 v49, s3, v23 bitop3:0x40
	ds_load_b64 v[18:19], v18
	v_add_nc_u64_e32 v[10:11], v[10:11], v[0:1]
	v_add_nc_u64_e32 v[12:13], v[12:13], v[0:1]
	v_xor_b32_e32 v50, 0x80, v20
	ds_load_b64 v[20:21], v22
	ds_load_b64 v[22:23], v23
	v_and_b32_e32 v47, 0xff, v38
	s_wait_dscnt 0x4
	v_add_nc_u64_e32 v[14:15], s[14:15], v[14:15]
	s_wait_dscnt 0x3
	v_add_nc_u64_e32 v[16:17], s[14:15], v[16:17]
	s_clause 0x1
	global_store_b8 v[10:11], v50, off
	global_store_b8 v[12:13], v24, off offset:1024
	s_wait_xcnt 0x0
	v_dual_lshlrev_b32 v10, 3, v48 :: v_dual_lshlrev_b32 v24, 3, v25
	v_dual_lshlrev_b32 v12, 3, v49 :: v_dual_lshrrev_b32 v47, s16, v47
	v_add_nc_u64_e32 v[14:15], v[14:15], v[0:1]
	ds_load_b64 v[10:11], v10
	ds_load_b64 v[12:13], v12
	;; [unrolled: 1-line block ×3, first 2 shown]
	v_and_b32_e32 v46, s3, v46
	v_and_b32_e32 v47, s3, v47
	v_add_nc_u64_e32 v[16:17], v[16:17], v[0:1]
	v_xor_b32_e32 v30, 0x80, v30
	global_store_b8 v[14:15], v45, off offset:2048
	s_wait_xcnt 0x0
	v_lshlrev_b32_e32 v45, 3, v46
	s_wait_dscnt 0x5
	v_add_nc_u64_e32 v[14:15], s[14:15], v[18:19]
	v_lshlrev_b32_e32 v46, 3, v47
	s_wait_dscnt 0x3
	v_add_nc_u64_e32 v[18:19], s[14:15], v[22:23]
	global_store_b8 v[16:17], v30, off offset:3072
	s_wait_xcnt 0x0
	v_add_nc_u64_e32 v[16:17], s[14:15], v[20:21]
	ds_load_b64 v[20:21], v45
	ds_load_b64 v[22:23], v46
	v_xor_b32_e32 v30, 0x80, v31
	v_add_nc_u64_e32 v[14:15], v[14:15], v[0:1]
	v_xor_b32_e32 v31, 0x80, v32
	v_add_nc_u64_e32 v[18:19], v[18:19], v[0:1]
	v_xor_b32_e32 v32, 0x80, v33
	s_wait_dscnt 0x4
	v_add_nc_u64_e32 v[10:11], s[14:15], v[10:11]
	s_wait_dscnt 0x3
	v_add_nc_u64_e32 v[12:13], s[14:15], v[12:13]
	v_add_nc_u64_e32 v[16:17], v[16:17], v[0:1]
	global_store_b8 v[14:15], v30, off offset:4096
	s_wait_dscnt 0x2
	s_wait_xcnt 0x0
	v_add_nc_u64_e32 v[14:15], s[14:15], v[24:25]
	s_clause 0x1
	global_store_b8 v[16:17], v31, off offset:5120
	global_store_b8 v[18:19], v32, off offset:6144
	v_add_nc_u64_e32 v[10:11], v[10:11], v[0:1]
	v_add_nc_u64_e32 v[14:15], v[14:15], v[0:1]
	;; [unrolled: 1-line block ×3, first 2 shown]
	v_xor_b32_e32 v24, 0x80, v34
	v_xor_b32_e32 v30, 0x80, v36
	s_wait_dscnt 0x1
	s_wait_xcnt 0x1
	v_add_nc_u64_e32 v[16:17], s[14:15], v[20:21]
	v_and_b32_e32 v20, 0xff, v39
	v_xor_b32_e32 v25, 0x80, v35
	s_clause 0x2
	global_store_b8 v[10:11], v24, off offset:7168
	global_store_b8 v[12:13], v25, off offset:8192
	;; [unrolled: 1-line block ×3, first 2 shown]
	s_wait_xcnt 0x0
	v_lshrrev_b32_e32 v14, s16, v20
	v_and_b32_e32 v15, 0xff, v40
	s_wait_dscnt 0x0
	v_add_nc_u64_e32 v[18:19], s[14:15], v[22:23]
	v_add_nc_u64_e32 v[10:11], v[16:17], v[0:1]
	v_and_b32_e32 v16, 0xff, v41
	v_and_b32_e32 v17, 0xff, v42
	v_dual_lshrrev_b32 v15, s16, v15 :: v_dual_bitop2_b32 v14, s3, v14 bitop3:0x40
	v_and_b32_e32 v23, 0xff, v44
	v_add_nc_u64_e32 v[12:13], v[18:19], v[0:1]
	v_and_b32_e32 v18, 0xff, v43
	v_dual_lshrrev_b32 v16, s16, v16 :: v_dual_lshrrev_b32 v17, s16, v17
	v_dual_lshlrev_b32 v14, 3, v14 :: v_dual_bitop2_b32 v19, s3, v15 bitop3:0x40
	s_delay_alu instid0(VALU_DEP_2)
	v_dual_lshrrev_b32 v18, s16, v18 :: v_dual_bitop2_b32 v16, s3, v16 bitop3:0x40
	v_and_b32_e32 v25, 0xff, v28
	ds_load_b64 v[14:15], v14
	v_dual_lshlrev_b32 v19, 3, v19 :: v_dual_bitop2_b32 v17, s3, v17 bitop3:0x40
	v_dual_lshlrev_b32 v20, 3, v16 :: v_dual_bitop2_b32 v18, s3, v18 bitop3:0x40
	v_and_b32_e32 v30, 0xff, v29
	v_xor_b32_e32 v24, 0x80, v37
	s_delay_alu instid0(VALU_DEP_4) | instskip(NEXT) | instid1(VALU_DEP_4)
	v_dual_lshlrev_b32 v21, 3, v17 :: v_dual_lshrrev_b32 v31, s16, v23
	v_lshlrev_b32_e32 v22, 3, v18
	ds_load_b64 v[16:17], v19
	ds_load_b64 v[18:19], v20
	;; [unrolled: 1-line block ×3, first 2 shown]
	v_dual_lshrrev_b32 v25, s16, v25 :: v_dual_lshrrev_b32 v30, s16, v30
	v_xor_b32_e32 v32, 0x80, v38
	global_store_b8 v[10:11], v24, off offset:10240
	ds_load_b64 v[22:23], v22
	s_wait_xcnt 0x0
	v_and_b32_e32 v10, s3, v25
	v_and_b32_e32 v31, s3, v31
	global_store_b8 v[12:13], v32, off offset:11264
	s_wait_xcnt 0x0
	v_and_b32_e32 v12, s3, v30
	v_xor_b32_e32 v30, 0x80, v39
	v_dual_lshlrev_b32 v24, 3, v10 :: v_dual_lshlrev_b32 v13, 3, v31
	s_wait_dscnt 0x4
	v_add_nc_u64_e32 v[10:11], s[14:15], v[14:15]
	v_lshlrev_b32_e32 v25, 3, v12
	v_xor_b32_e32 v31, 0x80, v40
	v_xor_b32_e32 v32, 0x80, v41
	;; [unrolled: 1-line block ×3, first 2 shown]
	s_wait_dscnt 0x3
	v_add_nc_u64_e32 v[14:15], s[14:15], v[16:17]
	ds_load_b64 v[16:17], v24
	ds_load_b64 v[12:13], v13
	;; [unrolled: 1-line block ×3, first 2 shown]
	s_wait_dscnt 0x5
	v_add_nc_u64_e32 v[18:19], s[14:15], v[18:19]
	s_wait_dscnt 0x4
	v_add_nc_u64_e32 v[20:21], s[14:15], v[20:21]
	v_add_nc_u64_e32 v[10:11], v[10:11], v[0:1]
	;; [unrolled: 1-line block ×3, first 2 shown]
	s_wait_dscnt 0x3
	v_add_nc_u64_e32 v[22:23], s[14:15], v[22:23]
	v_add_nc_u64_e32 v[6:7], s[14:15], v[6:7]
	;; [unrolled: 1-line block ×5, first 2 shown]
	s_clause 0x3
	global_store_b8 v[10:11], v30, off offset:12288
	global_store_b8 v[14:15], v31, off offset:13312
	;; [unrolled: 1-line block ×4, first 2 shown]
	v_add_nc_u64_e32 v[22:23], v[22:23], v[0:1]
	s_wait_xcnt 0x3
	v_xor_b32_e32 v30, 0x80, v43
	v_add_nc_u64_e32 v[6:7], v[6:7], v[0:1]
	s_wait_xcnt 0x1
	v_xor_b32_e32 v18, 0x80, v29
	s_wait_dscnt 0x1
	v_add_nc_u64_e32 v[10:11], s[14:15], v[12:13]
	v_add_nc_u64_e32 v[12:13], s[14:15], v[16:17]
	s_wait_dscnt 0x0
	v_add_nc_u64_e32 v[14:15], s[14:15], v[24:25]
	v_xor_b32_e32 v16, 0x80, v44
	v_xor_b32_e32 v17, 0x80, v28
	v_add_nc_u64_e32 v[8:9], v[8:9], v[0:1]
	v_xor_b32_e32 v19, 0x80, v27
	v_add_nc_u64_e32 v[10:11], v[10:11], v[0:1]
	v_add_nc_u64_e32 v[12:13], v[12:13], v[0:1]
	;; [unrolled: 1-line block ×3, first 2 shown]
	v_xor_b32_e32 v1, 0x80, v26
	s_clause 0x5
	global_store_b8 v[22:23], v30, off offset:16384
	global_store_b8 v[10:11], v16, off offset:17408
	;; [unrolled: 1-line block ×6, first 2 shown]
	s_load_b32 s0, s[0:1], 0x58
	s_wait_kmcnt 0x0
	s_add_co_i32 s0, s0, -1
	s_delay_alu instid0(SALU_CYCLE_1) | instskip(SKIP_2) | instid1(SALU_CYCLE_1)
	s_cmp_eq_u32 s19, s0
	s_cselect_b32 s0, -1, 0
	s_xor_b32 s1, vcc_lo, -1
	s_and_b32 s0, s1, s0
	s_delay_alu instid0(SALU_CYCLE_1)
	s_and_saveexec_b32 s1, s0
	s_cbranch_execz .LBB484_135
; %bb.134:
	ds_load_b64 v[6:7], v5
	v_mov_b32_e32 v5, 0
	s_delay_alu instid0(VALU_DEP_1) | instskip(SKIP_1) | instid1(VALU_DEP_1)
	v_add_nc_u64_e32 v[2:3], v[2:3], v[4:5]
	s_wait_dscnt 0x0
	v_add_nc_u64_e32 v[2:3], v[2:3], v[6:7]
	global_store_b64 v0, v[2:3], s[10:11] scale_offset
.LBB484_135:
	s_sendmsg sendmsg(MSG_DEALLOC_VGPRS)
	s_endpgm
	.section	.rodata,"a",@progbits
	.p2align	6, 0x0
	.amdhsa_kernel _ZN7rocprim17ROCPRIM_400000_NS6detail17trampoline_kernelINS0_14default_configENS1_35radix_sort_onesweep_config_selectorIaNS0_10empty_typeEEEZZNS1_29radix_sort_onesweep_iterationIS3_Lb0EPKaPaPS5_SB_mNS0_19identity_decomposerENS1_16block_id_wrapperIjLb0EEEEE10hipError_tT1_PNSt15iterator_traitsISG_E10value_typeET2_T3_PNSH_ISM_E10value_typeET4_T5_PSR_SS_PNS1_23onesweep_lookback_stateEbbT6_jjT7_P12ihipStream_tbENKUlT_T0_SG_SL_E_clIS9_SA_SB_SB_EEDaSZ_S10_SG_SL_EUlSZ_E_NS1_11comp_targetILNS1_3genE0ELNS1_11target_archE4294967295ELNS1_3gpuE0ELNS1_3repE0EEENS1_47radix_sort_onesweep_sort_config_static_selectorELNS0_4arch9wavefront6targetE0EEEvSG_
		.amdhsa_group_segment_fixed_size 32904
		.amdhsa_private_segment_fixed_size 0
		.amdhsa_kernarg_size 344
		.amdhsa_user_sgpr_count 2
		.amdhsa_user_sgpr_dispatch_ptr 0
		.amdhsa_user_sgpr_queue_ptr 0
		.amdhsa_user_sgpr_kernarg_segment_ptr 1
		.amdhsa_user_sgpr_dispatch_id 0
		.amdhsa_user_sgpr_kernarg_preload_length 0
		.amdhsa_user_sgpr_kernarg_preload_offset 0
		.amdhsa_user_sgpr_private_segment_size 0
		.amdhsa_wavefront_size32 1
		.amdhsa_uses_dynamic_stack 0
		.amdhsa_enable_private_segment 0
		.amdhsa_system_sgpr_workgroup_id_x 1
		.amdhsa_system_sgpr_workgroup_id_y 0
		.amdhsa_system_sgpr_workgroup_id_z 0
		.amdhsa_system_sgpr_workgroup_info 0
		.amdhsa_system_vgpr_workitem_id 0
		.amdhsa_next_free_vgpr 79
		.amdhsa_next_free_sgpr 25
		.amdhsa_named_barrier_count 0
		.amdhsa_reserve_vcc 1
		.amdhsa_float_round_mode_32 0
		.amdhsa_float_round_mode_16_64 0
		.amdhsa_float_denorm_mode_32 3
		.amdhsa_float_denorm_mode_16_64 3
		.amdhsa_fp16_overflow 0
		.amdhsa_memory_ordered 1
		.amdhsa_forward_progress 1
		.amdhsa_inst_pref_size 116
		.amdhsa_round_robin_scheduling 0
		.amdhsa_exception_fp_ieee_invalid_op 0
		.amdhsa_exception_fp_denorm_src 0
		.amdhsa_exception_fp_ieee_div_zero 0
		.amdhsa_exception_fp_ieee_overflow 0
		.amdhsa_exception_fp_ieee_underflow 0
		.amdhsa_exception_fp_ieee_inexact 0
		.amdhsa_exception_int_div_zero 0
	.end_amdhsa_kernel
	.section	.text._ZN7rocprim17ROCPRIM_400000_NS6detail17trampoline_kernelINS0_14default_configENS1_35radix_sort_onesweep_config_selectorIaNS0_10empty_typeEEEZZNS1_29radix_sort_onesweep_iterationIS3_Lb0EPKaPaPS5_SB_mNS0_19identity_decomposerENS1_16block_id_wrapperIjLb0EEEEE10hipError_tT1_PNSt15iterator_traitsISG_E10value_typeET2_T3_PNSH_ISM_E10value_typeET4_T5_PSR_SS_PNS1_23onesweep_lookback_stateEbbT6_jjT7_P12ihipStream_tbENKUlT_T0_SG_SL_E_clIS9_SA_SB_SB_EEDaSZ_S10_SG_SL_EUlSZ_E_NS1_11comp_targetILNS1_3genE0ELNS1_11target_archE4294967295ELNS1_3gpuE0ELNS1_3repE0EEENS1_47radix_sort_onesweep_sort_config_static_selectorELNS0_4arch9wavefront6targetE0EEEvSG_,"axG",@progbits,_ZN7rocprim17ROCPRIM_400000_NS6detail17trampoline_kernelINS0_14default_configENS1_35radix_sort_onesweep_config_selectorIaNS0_10empty_typeEEEZZNS1_29radix_sort_onesweep_iterationIS3_Lb0EPKaPaPS5_SB_mNS0_19identity_decomposerENS1_16block_id_wrapperIjLb0EEEEE10hipError_tT1_PNSt15iterator_traitsISG_E10value_typeET2_T3_PNSH_ISM_E10value_typeET4_T5_PSR_SS_PNS1_23onesweep_lookback_stateEbbT6_jjT7_P12ihipStream_tbENKUlT_T0_SG_SL_E_clIS9_SA_SB_SB_EEDaSZ_S10_SG_SL_EUlSZ_E_NS1_11comp_targetILNS1_3genE0ELNS1_11target_archE4294967295ELNS1_3gpuE0ELNS1_3repE0EEENS1_47radix_sort_onesweep_sort_config_static_selectorELNS0_4arch9wavefront6targetE0EEEvSG_,comdat
.Lfunc_end484:
	.size	_ZN7rocprim17ROCPRIM_400000_NS6detail17trampoline_kernelINS0_14default_configENS1_35radix_sort_onesweep_config_selectorIaNS0_10empty_typeEEEZZNS1_29radix_sort_onesweep_iterationIS3_Lb0EPKaPaPS5_SB_mNS0_19identity_decomposerENS1_16block_id_wrapperIjLb0EEEEE10hipError_tT1_PNSt15iterator_traitsISG_E10value_typeET2_T3_PNSH_ISM_E10value_typeET4_T5_PSR_SS_PNS1_23onesweep_lookback_stateEbbT6_jjT7_P12ihipStream_tbENKUlT_T0_SG_SL_E_clIS9_SA_SB_SB_EEDaSZ_S10_SG_SL_EUlSZ_E_NS1_11comp_targetILNS1_3genE0ELNS1_11target_archE4294967295ELNS1_3gpuE0ELNS1_3repE0EEENS1_47radix_sort_onesweep_sort_config_static_selectorELNS0_4arch9wavefront6targetE0EEEvSG_, .Lfunc_end484-_ZN7rocprim17ROCPRIM_400000_NS6detail17trampoline_kernelINS0_14default_configENS1_35radix_sort_onesweep_config_selectorIaNS0_10empty_typeEEEZZNS1_29radix_sort_onesweep_iterationIS3_Lb0EPKaPaPS5_SB_mNS0_19identity_decomposerENS1_16block_id_wrapperIjLb0EEEEE10hipError_tT1_PNSt15iterator_traitsISG_E10value_typeET2_T3_PNSH_ISM_E10value_typeET4_T5_PSR_SS_PNS1_23onesweep_lookback_stateEbbT6_jjT7_P12ihipStream_tbENKUlT_T0_SG_SL_E_clIS9_SA_SB_SB_EEDaSZ_S10_SG_SL_EUlSZ_E_NS1_11comp_targetILNS1_3genE0ELNS1_11target_archE4294967295ELNS1_3gpuE0ELNS1_3repE0EEENS1_47radix_sort_onesweep_sort_config_static_selectorELNS0_4arch9wavefront6targetE0EEEvSG_
                                        ; -- End function
	.set _ZN7rocprim17ROCPRIM_400000_NS6detail17trampoline_kernelINS0_14default_configENS1_35radix_sort_onesweep_config_selectorIaNS0_10empty_typeEEEZZNS1_29radix_sort_onesweep_iterationIS3_Lb0EPKaPaPS5_SB_mNS0_19identity_decomposerENS1_16block_id_wrapperIjLb0EEEEE10hipError_tT1_PNSt15iterator_traitsISG_E10value_typeET2_T3_PNSH_ISM_E10value_typeET4_T5_PSR_SS_PNS1_23onesweep_lookback_stateEbbT6_jjT7_P12ihipStream_tbENKUlT_T0_SG_SL_E_clIS9_SA_SB_SB_EEDaSZ_S10_SG_SL_EUlSZ_E_NS1_11comp_targetILNS1_3genE0ELNS1_11target_archE4294967295ELNS1_3gpuE0ELNS1_3repE0EEENS1_47radix_sort_onesweep_sort_config_static_selectorELNS0_4arch9wavefront6targetE0EEEvSG_.num_vgpr, 79
	.set _ZN7rocprim17ROCPRIM_400000_NS6detail17trampoline_kernelINS0_14default_configENS1_35radix_sort_onesweep_config_selectorIaNS0_10empty_typeEEEZZNS1_29radix_sort_onesweep_iterationIS3_Lb0EPKaPaPS5_SB_mNS0_19identity_decomposerENS1_16block_id_wrapperIjLb0EEEEE10hipError_tT1_PNSt15iterator_traitsISG_E10value_typeET2_T3_PNSH_ISM_E10value_typeET4_T5_PSR_SS_PNS1_23onesweep_lookback_stateEbbT6_jjT7_P12ihipStream_tbENKUlT_T0_SG_SL_E_clIS9_SA_SB_SB_EEDaSZ_S10_SG_SL_EUlSZ_E_NS1_11comp_targetILNS1_3genE0ELNS1_11target_archE4294967295ELNS1_3gpuE0ELNS1_3repE0EEENS1_47radix_sort_onesweep_sort_config_static_selectorELNS0_4arch9wavefront6targetE0EEEvSG_.num_agpr, 0
	.set _ZN7rocprim17ROCPRIM_400000_NS6detail17trampoline_kernelINS0_14default_configENS1_35radix_sort_onesweep_config_selectorIaNS0_10empty_typeEEEZZNS1_29radix_sort_onesweep_iterationIS3_Lb0EPKaPaPS5_SB_mNS0_19identity_decomposerENS1_16block_id_wrapperIjLb0EEEEE10hipError_tT1_PNSt15iterator_traitsISG_E10value_typeET2_T3_PNSH_ISM_E10value_typeET4_T5_PSR_SS_PNS1_23onesweep_lookback_stateEbbT6_jjT7_P12ihipStream_tbENKUlT_T0_SG_SL_E_clIS9_SA_SB_SB_EEDaSZ_S10_SG_SL_EUlSZ_E_NS1_11comp_targetILNS1_3genE0ELNS1_11target_archE4294967295ELNS1_3gpuE0ELNS1_3repE0EEENS1_47radix_sort_onesweep_sort_config_static_selectorELNS0_4arch9wavefront6targetE0EEEvSG_.numbered_sgpr, 25
	.set _ZN7rocprim17ROCPRIM_400000_NS6detail17trampoline_kernelINS0_14default_configENS1_35radix_sort_onesweep_config_selectorIaNS0_10empty_typeEEEZZNS1_29radix_sort_onesweep_iterationIS3_Lb0EPKaPaPS5_SB_mNS0_19identity_decomposerENS1_16block_id_wrapperIjLb0EEEEE10hipError_tT1_PNSt15iterator_traitsISG_E10value_typeET2_T3_PNSH_ISM_E10value_typeET4_T5_PSR_SS_PNS1_23onesweep_lookback_stateEbbT6_jjT7_P12ihipStream_tbENKUlT_T0_SG_SL_E_clIS9_SA_SB_SB_EEDaSZ_S10_SG_SL_EUlSZ_E_NS1_11comp_targetILNS1_3genE0ELNS1_11target_archE4294967295ELNS1_3gpuE0ELNS1_3repE0EEENS1_47radix_sort_onesweep_sort_config_static_selectorELNS0_4arch9wavefront6targetE0EEEvSG_.num_named_barrier, 0
	.set _ZN7rocprim17ROCPRIM_400000_NS6detail17trampoline_kernelINS0_14default_configENS1_35radix_sort_onesweep_config_selectorIaNS0_10empty_typeEEEZZNS1_29radix_sort_onesweep_iterationIS3_Lb0EPKaPaPS5_SB_mNS0_19identity_decomposerENS1_16block_id_wrapperIjLb0EEEEE10hipError_tT1_PNSt15iterator_traitsISG_E10value_typeET2_T3_PNSH_ISM_E10value_typeET4_T5_PSR_SS_PNS1_23onesweep_lookback_stateEbbT6_jjT7_P12ihipStream_tbENKUlT_T0_SG_SL_E_clIS9_SA_SB_SB_EEDaSZ_S10_SG_SL_EUlSZ_E_NS1_11comp_targetILNS1_3genE0ELNS1_11target_archE4294967295ELNS1_3gpuE0ELNS1_3repE0EEENS1_47radix_sort_onesweep_sort_config_static_selectorELNS0_4arch9wavefront6targetE0EEEvSG_.private_seg_size, 0
	.set _ZN7rocprim17ROCPRIM_400000_NS6detail17trampoline_kernelINS0_14default_configENS1_35radix_sort_onesweep_config_selectorIaNS0_10empty_typeEEEZZNS1_29radix_sort_onesweep_iterationIS3_Lb0EPKaPaPS5_SB_mNS0_19identity_decomposerENS1_16block_id_wrapperIjLb0EEEEE10hipError_tT1_PNSt15iterator_traitsISG_E10value_typeET2_T3_PNSH_ISM_E10value_typeET4_T5_PSR_SS_PNS1_23onesweep_lookback_stateEbbT6_jjT7_P12ihipStream_tbENKUlT_T0_SG_SL_E_clIS9_SA_SB_SB_EEDaSZ_S10_SG_SL_EUlSZ_E_NS1_11comp_targetILNS1_3genE0ELNS1_11target_archE4294967295ELNS1_3gpuE0ELNS1_3repE0EEENS1_47radix_sort_onesweep_sort_config_static_selectorELNS0_4arch9wavefront6targetE0EEEvSG_.uses_vcc, 1
	.set _ZN7rocprim17ROCPRIM_400000_NS6detail17trampoline_kernelINS0_14default_configENS1_35radix_sort_onesweep_config_selectorIaNS0_10empty_typeEEEZZNS1_29radix_sort_onesweep_iterationIS3_Lb0EPKaPaPS5_SB_mNS0_19identity_decomposerENS1_16block_id_wrapperIjLb0EEEEE10hipError_tT1_PNSt15iterator_traitsISG_E10value_typeET2_T3_PNSH_ISM_E10value_typeET4_T5_PSR_SS_PNS1_23onesweep_lookback_stateEbbT6_jjT7_P12ihipStream_tbENKUlT_T0_SG_SL_E_clIS9_SA_SB_SB_EEDaSZ_S10_SG_SL_EUlSZ_E_NS1_11comp_targetILNS1_3genE0ELNS1_11target_archE4294967295ELNS1_3gpuE0ELNS1_3repE0EEENS1_47radix_sort_onesweep_sort_config_static_selectorELNS0_4arch9wavefront6targetE0EEEvSG_.uses_flat_scratch, 0
	.set _ZN7rocprim17ROCPRIM_400000_NS6detail17trampoline_kernelINS0_14default_configENS1_35radix_sort_onesweep_config_selectorIaNS0_10empty_typeEEEZZNS1_29radix_sort_onesweep_iterationIS3_Lb0EPKaPaPS5_SB_mNS0_19identity_decomposerENS1_16block_id_wrapperIjLb0EEEEE10hipError_tT1_PNSt15iterator_traitsISG_E10value_typeET2_T3_PNSH_ISM_E10value_typeET4_T5_PSR_SS_PNS1_23onesweep_lookback_stateEbbT6_jjT7_P12ihipStream_tbENKUlT_T0_SG_SL_E_clIS9_SA_SB_SB_EEDaSZ_S10_SG_SL_EUlSZ_E_NS1_11comp_targetILNS1_3genE0ELNS1_11target_archE4294967295ELNS1_3gpuE0ELNS1_3repE0EEENS1_47radix_sort_onesweep_sort_config_static_selectorELNS0_4arch9wavefront6targetE0EEEvSG_.has_dyn_sized_stack, 0
	.set _ZN7rocprim17ROCPRIM_400000_NS6detail17trampoline_kernelINS0_14default_configENS1_35radix_sort_onesweep_config_selectorIaNS0_10empty_typeEEEZZNS1_29radix_sort_onesweep_iterationIS3_Lb0EPKaPaPS5_SB_mNS0_19identity_decomposerENS1_16block_id_wrapperIjLb0EEEEE10hipError_tT1_PNSt15iterator_traitsISG_E10value_typeET2_T3_PNSH_ISM_E10value_typeET4_T5_PSR_SS_PNS1_23onesweep_lookback_stateEbbT6_jjT7_P12ihipStream_tbENKUlT_T0_SG_SL_E_clIS9_SA_SB_SB_EEDaSZ_S10_SG_SL_EUlSZ_E_NS1_11comp_targetILNS1_3genE0ELNS1_11target_archE4294967295ELNS1_3gpuE0ELNS1_3repE0EEENS1_47radix_sort_onesweep_sort_config_static_selectorELNS0_4arch9wavefront6targetE0EEEvSG_.has_recursion, 0
	.set _ZN7rocprim17ROCPRIM_400000_NS6detail17trampoline_kernelINS0_14default_configENS1_35radix_sort_onesweep_config_selectorIaNS0_10empty_typeEEEZZNS1_29radix_sort_onesweep_iterationIS3_Lb0EPKaPaPS5_SB_mNS0_19identity_decomposerENS1_16block_id_wrapperIjLb0EEEEE10hipError_tT1_PNSt15iterator_traitsISG_E10value_typeET2_T3_PNSH_ISM_E10value_typeET4_T5_PSR_SS_PNS1_23onesweep_lookback_stateEbbT6_jjT7_P12ihipStream_tbENKUlT_T0_SG_SL_E_clIS9_SA_SB_SB_EEDaSZ_S10_SG_SL_EUlSZ_E_NS1_11comp_targetILNS1_3genE0ELNS1_11target_archE4294967295ELNS1_3gpuE0ELNS1_3repE0EEENS1_47radix_sort_onesweep_sort_config_static_selectorELNS0_4arch9wavefront6targetE0EEEvSG_.has_indirect_call, 0
	.section	.AMDGPU.csdata,"",@progbits
; Kernel info:
; codeLenInByte = 14784
; TotalNumSgprs: 27
; NumVgprs: 79
; ScratchSize: 0
; MemoryBound: 0
; FloatMode: 240
; IeeeMode: 1
; LDSByteSize: 32904 bytes/workgroup (compile time only)
; SGPRBlocks: 0
; VGPRBlocks: 4
; NumSGPRsForWavesPerEU: 27
; NumVGPRsForWavesPerEU: 79
; NamedBarCnt: 0
; Occupancy: 12
; WaveLimiterHint : 0
; COMPUTE_PGM_RSRC2:SCRATCH_EN: 0
; COMPUTE_PGM_RSRC2:USER_SGPR: 2
; COMPUTE_PGM_RSRC2:TRAP_HANDLER: 0
; COMPUTE_PGM_RSRC2:TGID_X_EN: 1
; COMPUTE_PGM_RSRC2:TGID_Y_EN: 0
; COMPUTE_PGM_RSRC2:TGID_Z_EN: 0
; COMPUTE_PGM_RSRC2:TIDIG_COMP_CNT: 0
	.section	.text._ZN7rocprim17ROCPRIM_400000_NS6detail17trampoline_kernelINS0_14default_configENS1_35radix_sort_onesweep_config_selectorIaNS0_10empty_typeEEEZZNS1_29radix_sort_onesweep_iterationIS3_Lb0EPKaPaPS5_SB_mNS0_19identity_decomposerENS1_16block_id_wrapperIjLb0EEEEE10hipError_tT1_PNSt15iterator_traitsISG_E10value_typeET2_T3_PNSH_ISM_E10value_typeET4_T5_PSR_SS_PNS1_23onesweep_lookback_stateEbbT6_jjT7_P12ihipStream_tbENKUlT_T0_SG_SL_E_clIS9_SA_SB_SB_EEDaSZ_S10_SG_SL_EUlSZ_E_NS1_11comp_targetILNS1_3genE6ELNS1_11target_archE950ELNS1_3gpuE13ELNS1_3repE0EEENS1_47radix_sort_onesweep_sort_config_static_selectorELNS0_4arch9wavefront6targetE0EEEvSG_,"axG",@progbits,_ZN7rocprim17ROCPRIM_400000_NS6detail17trampoline_kernelINS0_14default_configENS1_35radix_sort_onesweep_config_selectorIaNS0_10empty_typeEEEZZNS1_29radix_sort_onesweep_iterationIS3_Lb0EPKaPaPS5_SB_mNS0_19identity_decomposerENS1_16block_id_wrapperIjLb0EEEEE10hipError_tT1_PNSt15iterator_traitsISG_E10value_typeET2_T3_PNSH_ISM_E10value_typeET4_T5_PSR_SS_PNS1_23onesweep_lookback_stateEbbT6_jjT7_P12ihipStream_tbENKUlT_T0_SG_SL_E_clIS9_SA_SB_SB_EEDaSZ_S10_SG_SL_EUlSZ_E_NS1_11comp_targetILNS1_3genE6ELNS1_11target_archE950ELNS1_3gpuE13ELNS1_3repE0EEENS1_47radix_sort_onesweep_sort_config_static_selectorELNS0_4arch9wavefront6targetE0EEEvSG_,comdat
	.protected	_ZN7rocprim17ROCPRIM_400000_NS6detail17trampoline_kernelINS0_14default_configENS1_35radix_sort_onesweep_config_selectorIaNS0_10empty_typeEEEZZNS1_29radix_sort_onesweep_iterationIS3_Lb0EPKaPaPS5_SB_mNS0_19identity_decomposerENS1_16block_id_wrapperIjLb0EEEEE10hipError_tT1_PNSt15iterator_traitsISG_E10value_typeET2_T3_PNSH_ISM_E10value_typeET4_T5_PSR_SS_PNS1_23onesweep_lookback_stateEbbT6_jjT7_P12ihipStream_tbENKUlT_T0_SG_SL_E_clIS9_SA_SB_SB_EEDaSZ_S10_SG_SL_EUlSZ_E_NS1_11comp_targetILNS1_3genE6ELNS1_11target_archE950ELNS1_3gpuE13ELNS1_3repE0EEENS1_47radix_sort_onesweep_sort_config_static_selectorELNS0_4arch9wavefront6targetE0EEEvSG_ ; -- Begin function _ZN7rocprim17ROCPRIM_400000_NS6detail17trampoline_kernelINS0_14default_configENS1_35radix_sort_onesweep_config_selectorIaNS0_10empty_typeEEEZZNS1_29radix_sort_onesweep_iterationIS3_Lb0EPKaPaPS5_SB_mNS0_19identity_decomposerENS1_16block_id_wrapperIjLb0EEEEE10hipError_tT1_PNSt15iterator_traitsISG_E10value_typeET2_T3_PNSH_ISM_E10value_typeET4_T5_PSR_SS_PNS1_23onesweep_lookback_stateEbbT6_jjT7_P12ihipStream_tbENKUlT_T0_SG_SL_E_clIS9_SA_SB_SB_EEDaSZ_S10_SG_SL_EUlSZ_E_NS1_11comp_targetILNS1_3genE6ELNS1_11target_archE950ELNS1_3gpuE13ELNS1_3repE0EEENS1_47radix_sort_onesweep_sort_config_static_selectorELNS0_4arch9wavefront6targetE0EEEvSG_
	.globl	_ZN7rocprim17ROCPRIM_400000_NS6detail17trampoline_kernelINS0_14default_configENS1_35radix_sort_onesweep_config_selectorIaNS0_10empty_typeEEEZZNS1_29radix_sort_onesweep_iterationIS3_Lb0EPKaPaPS5_SB_mNS0_19identity_decomposerENS1_16block_id_wrapperIjLb0EEEEE10hipError_tT1_PNSt15iterator_traitsISG_E10value_typeET2_T3_PNSH_ISM_E10value_typeET4_T5_PSR_SS_PNS1_23onesweep_lookback_stateEbbT6_jjT7_P12ihipStream_tbENKUlT_T0_SG_SL_E_clIS9_SA_SB_SB_EEDaSZ_S10_SG_SL_EUlSZ_E_NS1_11comp_targetILNS1_3genE6ELNS1_11target_archE950ELNS1_3gpuE13ELNS1_3repE0EEENS1_47radix_sort_onesweep_sort_config_static_selectorELNS0_4arch9wavefront6targetE0EEEvSG_
	.p2align	8
	.type	_ZN7rocprim17ROCPRIM_400000_NS6detail17trampoline_kernelINS0_14default_configENS1_35radix_sort_onesweep_config_selectorIaNS0_10empty_typeEEEZZNS1_29radix_sort_onesweep_iterationIS3_Lb0EPKaPaPS5_SB_mNS0_19identity_decomposerENS1_16block_id_wrapperIjLb0EEEEE10hipError_tT1_PNSt15iterator_traitsISG_E10value_typeET2_T3_PNSH_ISM_E10value_typeET4_T5_PSR_SS_PNS1_23onesweep_lookback_stateEbbT6_jjT7_P12ihipStream_tbENKUlT_T0_SG_SL_E_clIS9_SA_SB_SB_EEDaSZ_S10_SG_SL_EUlSZ_E_NS1_11comp_targetILNS1_3genE6ELNS1_11target_archE950ELNS1_3gpuE13ELNS1_3repE0EEENS1_47radix_sort_onesweep_sort_config_static_selectorELNS0_4arch9wavefront6targetE0EEEvSG_,@function
_ZN7rocprim17ROCPRIM_400000_NS6detail17trampoline_kernelINS0_14default_configENS1_35radix_sort_onesweep_config_selectorIaNS0_10empty_typeEEEZZNS1_29radix_sort_onesweep_iterationIS3_Lb0EPKaPaPS5_SB_mNS0_19identity_decomposerENS1_16block_id_wrapperIjLb0EEEEE10hipError_tT1_PNSt15iterator_traitsISG_E10value_typeET2_T3_PNSH_ISM_E10value_typeET4_T5_PSR_SS_PNS1_23onesweep_lookback_stateEbbT6_jjT7_P12ihipStream_tbENKUlT_T0_SG_SL_E_clIS9_SA_SB_SB_EEDaSZ_S10_SG_SL_EUlSZ_E_NS1_11comp_targetILNS1_3genE6ELNS1_11target_archE950ELNS1_3gpuE13ELNS1_3repE0EEENS1_47radix_sort_onesweep_sort_config_static_selectorELNS0_4arch9wavefront6targetE0EEEvSG_: ; @_ZN7rocprim17ROCPRIM_400000_NS6detail17trampoline_kernelINS0_14default_configENS1_35radix_sort_onesweep_config_selectorIaNS0_10empty_typeEEEZZNS1_29radix_sort_onesweep_iterationIS3_Lb0EPKaPaPS5_SB_mNS0_19identity_decomposerENS1_16block_id_wrapperIjLb0EEEEE10hipError_tT1_PNSt15iterator_traitsISG_E10value_typeET2_T3_PNSH_ISM_E10value_typeET4_T5_PSR_SS_PNS1_23onesweep_lookback_stateEbbT6_jjT7_P12ihipStream_tbENKUlT_T0_SG_SL_E_clIS9_SA_SB_SB_EEDaSZ_S10_SG_SL_EUlSZ_E_NS1_11comp_targetILNS1_3genE6ELNS1_11target_archE950ELNS1_3gpuE13ELNS1_3repE0EEENS1_47radix_sort_onesweep_sort_config_static_selectorELNS0_4arch9wavefront6targetE0EEEvSG_
; %bb.0:
	.section	.rodata,"a",@progbits
	.p2align	6, 0x0
	.amdhsa_kernel _ZN7rocprim17ROCPRIM_400000_NS6detail17trampoline_kernelINS0_14default_configENS1_35radix_sort_onesweep_config_selectorIaNS0_10empty_typeEEEZZNS1_29radix_sort_onesweep_iterationIS3_Lb0EPKaPaPS5_SB_mNS0_19identity_decomposerENS1_16block_id_wrapperIjLb0EEEEE10hipError_tT1_PNSt15iterator_traitsISG_E10value_typeET2_T3_PNSH_ISM_E10value_typeET4_T5_PSR_SS_PNS1_23onesweep_lookback_stateEbbT6_jjT7_P12ihipStream_tbENKUlT_T0_SG_SL_E_clIS9_SA_SB_SB_EEDaSZ_S10_SG_SL_EUlSZ_E_NS1_11comp_targetILNS1_3genE6ELNS1_11target_archE950ELNS1_3gpuE13ELNS1_3repE0EEENS1_47radix_sort_onesweep_sort_config_static_selectorELNS0_4arch9wavefront6targetE0EEEvSG_
		.amdhsa_group_segment_fixed_size 0
		.amdhsa_private_segment_fixed_size 0
		.amdhsa_kernarg_size 88
		.amdhsa_user_sgpr_count 2
		.amdhsa_user_sgpr_dispatch_ptr 0
		.amdhsa_user_sgpr_queue_ptr 0
		.amdhsa_user_sgpr_kernarg_segment_ptr 1
		.amdhsa_user_sgpr_dispatch_id 0
		.amdhsa_user_sgpr_kernarg_preload_length 0
		.amdhsa_user_sgpr_kernarg_preload_offset 0
		.amdhsa_user_sgpr_private_segment_size 0
		.amdhsa_wavefront_size32 1
		.amdhsa_uses_dynamic_stack 0
		.amdhsa_enable_private_segment 0
		.amdhsa_system_sgpr_workgroup_id_x 1
		.amdhsa_system_sgpr_workgroup_id_y 0
		.amdhsa_system_sgpr_workgroup_id_z 0
		.amdhsa_system_sgpr_workgroup_info 0
		.amdhsa_system_vgpr_workitem_id 0
		.amdhsa_next_free_vgpr 1
		.amdhsa_next_free_sgpr 1
		.amdhsa_named_barrier_count 0
		.amdhsa_reserve_vcc 0
		.amdhsa_float_round_mode_32 0
		.amdhsa_float_round_mode_16_64 0
		.amdhsa_float_denorm_mode_32 3
		.amdhsa_float_denorm_mode_16_64 3
		.amdhsa_fp16_overflow 0
		.amdhsa_memory_ordered 1
		.amdhsa_forward_progress 1
		.amdhsa_inst_pref_size 0
		.amdhsa_round_robin_scheduling 0
		.amdhsa_exception_fp_ieee_invalid_op 0
		.amdhsa_exception_fp_denorm_src 0
		.amdhsa_exception_fp_ieee_div_zero 0
		.amdhsa_exception_fp_ieee_overflow 0
		.amdhsa_exception_fp_ieee_underflow 0
		.amdhsa_exception_fp_ieee_inexact 0
		.amdhsa_exception_int_div_zero 0
	.end_amdhsa_kernel
	.section	.text._ZN7rocprim17ROCPRIM_400000_NS6detail17trampoline_kernelINS0_14default_configENS1_35radix_sort_onesweep_config_selectorIaNS0_10empty_typeEEEZZNS1_29radix_sort_onesweep_iterationIS3_Lb0EPKaPaPS5_SB_mNS0_19identity_decomposerENS1_16block_id_wrapperIjLb0EEEEE10hipError_tT1_PNSt15iterator_traitsISG_E10value_typeET2_T3_PNSH_ISM_E10value_typeET4_T5_PSR_SS_PNS1_23onesweep_lookback_stateEbbT6_jjT7_P12ihipStream_tbENKUlT_T0_SG_SL_E_clIS9_SA_SB_SB_EEDaSZ_S10_SG_SL_EUlSZ_E_NS1_11comp_targetILNS1_3genE6ELNS1_11target_archE950ELNS1_3gpuE13ELNS1_3repE0EEENS1_47radix_sort_onesweep_sort_config_static_selectorELNS0_4arch9wavefront6targetE0EEEvSG_,"axG",@progbits,_ZN7rocprim17ROCPRIM_400000_NS6detail17trampoline_kernelINS0_14default_configENS1_35radix_sort_onesweep_config_selectorIaNS0_10empty_typeEEEZZNS1_29radix_sort_onesweep_iterationIS3_Lb0EPKaPaPS5_SB_mNS0_19identity_decomposerENS1_16block_id_wrapperIjLb0EEEEE10hipError_tT1_PNSt15iterator_traitsISG_E10value_typeET2_T3_PNSH_ISM_E10value_typeET4_T5_PSR_SS_PNS1_23onesweep_lookback_stateEbbT6_jjT7_P12ihipStream_tbENKUlT_T0_SG_SL_E_clIS9_SA_SB_SB_EEDaSZ_S10_SG_SL_EUlSZ_E_NS1_11comp_targetILNS1_3genE6ELNS1_11target_archE950ELNS1_3gpuE13ELNS1_3repE0EEENS1_47radix_sort_onesweep_sort_config_static_selectorELNS0_4arch9wavefront6targetE0EEEvSG_,comdat
.Lfunc_end485:
	.size	_ZN7rocprim17ROCPRIM_400000_NS6detail17trampoline_kernelINS0_14default_configENS1_35radix_sort_onesweep_config_selectorIaNS0_10empty_typeEEEZZNS1_29radix_sort_onesweep_iterationIS3_Lb0EPKaPaPS5_SB_mNS0_19identity_decomposerENS1_16block_id_wrapperIjLb0EEEEE10hipError_tT1_PNSt15iterator_traitsISG_E10value_typeET2_T3_PNSH_ISM_E10value_typeET4_T5_PSR_SS_PNS1_23onesweep_lookback_stateEbbT6_jjT7_P12ihipStream_tbENKUlT_T0_SG_SL_E_clIS9_SA_SB_SB_EEDaSZ_S10_SG_SL_EUlSZ_E_NS1_11comp_targetILNS1_3genE6ELNS1_11target_archE950ELNS1_3gpuE13ELNS1_3repE0EEENS1_47radix_sort_onesweep_sort_config_static_selectorELNS0_4arch9wavefront6targetE0EEEvSG_, .Lfunc_end485-_ZN7rocprim17ROCPRIM_400000_NS6detail17trampoline_kernelINS0_14default_configENS1_35radix_sort_onesweep_config_selectorIaNS0_10empty_typeEEEZZNS1_29radix_sort_onesweep_iterationIS3_Lb0EPKaPaPS5_SB_mNS0_19identity_decomposerENS1_16block_id_wrapperIjLb0EEEEE10hipError_tT1_PNSt15iterator_traitsISG_E10value_typeET2_T3_PNSH_ISM_E10value_typeET4_T5_PSR_SS_PNS1_23onesweep_lookback_stateEbbT6_jjT7_P12ihipStream_tbENKUlT_T0_SG_SL_E_clIS9_SA_SB_SB_EEDaSZ_S10_SG_SL_EUlSZ_E_NS1_11comp_targetILNS1_3genE6ELNS1_11target_archE950ELNS1_3gpuE13ELNS1_3repE0EEENS1_47radix_sort_onesweep_sort_config_static_selectorELNS0_4arch9wavefront6targetE0EEEvSG_
                                        ; -- End function
	.set _ZN7rocprim17ROCPRIM_400000_NS6detail17trampoline_kernelINS0_14default_configENS1_35radix_sort_onesweep_config_selectorIaNS0_10empty_typeEEEZZNS1_29radix_sort_onesweep_iterationIS3_Lb0EPKaPaPS5_SB_mNS0_19identity_decomposerENS1_16block_id_wrapperIjLb0EEEEE10hipError_tT1_PNSt15iterator_traitsISG_E10value_typeET2_T3_PNSH_ISM_E10value_typeET4_T5_PSR_SS_PNS1_23onesweep_lookback_stateEbbT6_jjT7_P12ihipStream_tbENKUlT_T0_SG_SL_E_clIS9_SA_SB_SB_EEDaSZ_S10_SG_SL_EUlSZ_E_NS1_11comp_targetILNS1_3genE6ELNS1_11target_archE950ELNS1_3gpuE13ELNS1_3repE0EEENS1_47radix_sort_onesweep_sort_config_static_selectorELNS0_4arch9wavefront6targetE0EEEvSG_.num_vgpr, 0
	.set _ZN7rocprim17ROCPRIM_400000_NS6detail17trampoline_kernelINS0_14default_configENS1_35radix_sort_onesweep_config_selectorIaNS0_10empty_typeEEEZZNS1_29radix_sort_onesweep_iterationIS3_Lb0EPKaPaPS5_SB_mNS0_19identity_decomposerENS1_16block_id_wrapperIjLb0EEEEE10hipError_tT1_PNSt15iterator_traitsISG_E10value_typeET2_T3_PNSH_ISM_E10value_typeET4_T5_PSR_SS_PNS1_23onesweep_lookback_stateEbbT6_jjT7_P12ihipStream_tbENKUlT_T0_SG_SL_E_clIS9_SA_SB_SB_EEDaSZ_S10_SG_SL_EUlSZ_E_NS1_11comp_targetILNS1_3genE6ELNS1_11target_archE950ELNS1_3gpuE13ELNS1_3repE0EEENS1_47radix_sort_onesweep_sort_config_static_selectorELNS0_4arch9wavefront6targetE0EEEvSG_.num_agpr, 0
	.set _ZN7rocprim17ROCPRIM_400000_NS6detail17trampoline_kernelINS0_14default_configENS1_35radix_sort_onesweep_config_selectorIaNS0_10empty_typeEEEZZNS1_29radix_sort_onesweep_iterationIS3_Lb0EPKaPaPS5_SB_mNS0_19identity_decomposerENS1_16block_id_wrapperIjLb0EEEEE10hipError_tT1_PNSt15iterator_traitsISG_E10value_typeET2_T3_PNSH_ISM_E10value_typeET4_T5_PSR_SS_PNS1_23onesweep_lookback_stateEbbT6_jjT7_P12ihipStream_tbENKUlT_T0_SG_SL_E_clIS9_SA_SB_SB_EEDaSZ_S10_SG_SL_EUlSZ_E_NS1_11comp_targetILNS1_3genE6ELNS1_11target_archE950ELNS1_3gpuE13ELNS1_3repE0EEENS1_47radix_sort_onesweep_sort_config_static_selectorELNS0_4arch9wavefront6targetE0EEEvSG_.numbered_sgpr, 0
	.set _ZN7rocprim17ROCPRIM_400000_NS6detail17trampoline_kernelINS0_14default_configENS1_35radix_sort_onesweep_config_selectorIaNS0_10empty_typeEEEZZNS1_29radix_sort_onesweep_iterationIS3_Lb0EPKaPaPS5_SB_mNS0_19identity_decomposerENS1_16block_id_wrapperIjLb0EEEEE10hipError_tT1_PNSt15iterator_traitsISG_E10value_typeET2_T3_PNSH_ISM_E10value_typeET4_T5_PSR_SS_PNS1_23onesweep_lookback_stateEbbT6_jjT7_P12ihipStream_tbENKUlT_T0_SG_SL_E_clIS9_SA_SB_SB_EEDaSZ_S10_SG_SL_EUlSZ_E_NS1_11comp_targetILNS1_3genE6ELNS1_11target_archE950ELNS1_3gpuE13ELNS1_3repE0EEENS1_47radix_sort_onesweep_sort_config_static_selectorELNS0_4arch9wavefront6targetE0EEEvSG_.num_named_barrier, 0
	.set _ZN7rocprim17ROCPRIM_400000_NS6detail17trampoline_kernelINS0_14default_configENS1_35radix_sort_onesweep_config_selectorIaNS0_10empty_typeEEEZZNS1_29radix_sort_onesweep_iterationIS3_Lb0EPKaPaPS5_SB_mNS0_19identity_decomposerENS1_16block_id_wrapperIjLb0EEEEE10hipError_tT1_PNSt15iterator_traitsISG_E10value_typeET2_T3_PNSH_ISM_E10value_typeET4_T5_PSR_SS_PNS1_23onesweep_lookback_stateEbbT6_jjT7_P12ihipStream_tbENKUlT_T0_SG_SL_E_clIS9_SA_SB_SB_EEDaSZ_S10_SG_SL_EUlSZ_E_NS1_11comp_targetILNS1_3genE6ELNS1_11target_archE950ELNS1_3gpuE13ELNS1_3repE0EEENS1_47radix_sort_onesweep_sort_config_static_selectorELNS0_4arch9wavefront6targetE0EEEvSG_.private_seg_size, 0
	.set _ZN7rocprim17ROCPRIM_400000_NS6detail17trampoline_kernelINS0_14default_configENS1_35radix_sort_onesweep_config_selectorIaNS0_10empty_typeEEEZZNS1_29radix_sort_onesweep_iterationIS3_Lb0EPKaPaPS5_SB_mNS0_19identity_decomposerENS1_16block_id_wrapperIjLb0EEEEE10hipError_tT1_PNSt15iterator_traitsISG_E10value_typeET2_T3_PNSH_ISM_E10value_typeET4_T5_PSR_SS_PNS1_23onesweep_lookback_stateEbbT6_jjT7_P12ihipStream_tbENKUlT_T0_SG_SL_E_clIS9_SA_SB_SB_EEDaSZ_S10_SG_SL_EUlSZ_E_NS1_11comp_targetILNS1_3genE6ELNS1_11target_archE950ELNS1_3gpuE13ELNS1_3repE0EEENS1_47radix_sort_onesweep_sort_config_static_selectorELNS0_4arch9wavefront6targetE0EEEvSG_.uses_vcc, 0
	.set _ZN7rocprim17ROCPRIM_400000_NS6detail17trampoline_kernelINS0_14default_configENS1_35radix_sort_onesweep_config_selectorIaNS0_10empty_typeEEEZZNS1_29radix_sort_onesweep_iterationIS3_Lb0EPKaPaPS5_SB_mNS0_19identity_decomposerENS1_16block_id_wrapperIjLb0EEEEE10hipError_tT1_PNSt15iterator_traitsISG_E10value_typeET2_T3_PNSH_ISM_E10value_typeET4_T5_PSR_SS_PNS1_23onesweep_lookback_stateEbbT6_jjT7_P12ihipStream_tbENKUlT_T0_SG_SL_E_clIS9_SA_SB_SB_EEDaSZ_S10_SG_SL_EUlSZ_E_NS1_11comp_targetILNS1_3genE6ELNS1_11target_archE950ELNS1_3gpuE13ELNS1_3repE0EEENS1_47radix_sort_onesweep_sort_config_static_selectorELNS0_4arch9wavefront6targetE0EEEvSG_.uses_flat_scratch, 0
	.set _ZN7rocprim17ROCPRIM_400000_NS6detail17trampoline_kernelINS0_14default_configENS1_35radix_sort_onesweep_config_selectorIaNS0_10empty_typeEEEZZNS1_29radix_sort_onesweep_iterationIS3_Lb0EPKaPaPS5_SB_mNS0_19identity_decomposerENS1_16block_id_wrapperIjLb0EEEEE10hipError_tT1_PNSt15iterator_traitsISG_E10value_typeET2_T3_PNSH_ISM_E10value_typeET4_T5_PSR_SS_PNS1_23onesweep_lookback_stateEbbT6_jjT7_P12ihipStream_tbENKUlT_T0_SG_SL_E_clIS9_SA_SB_SB_EEDaSZ_S10_SG_SL_EUlSZ_E_NS1_11comp_targetILNS1_3genE6ELNS1_11target_archE950ELNS1_3gpuE13ELNS1_3repE0EEENS1_47radix_sort_onesweep_sort_config_static_selectorELNS0_4arch9wavefront6targetE0EEEvSG_.has_dyn_sized_stack, 0
	.set _ZN7rocprim17ROCPRIM_400000_NS6detail17trampoline_kernelINS0_14default_configENS1_35radix_sort_onesweep_config_selectorIaNS0_10empty_typeEEEZZNS1_29radix_sort_onesweep_iterationIS3_Lb0EPKaPaPS5_SB_mNS0_19identity_decomposerENS1_16block_id_wrapperIjLb0EEEEE10hipError_tT1_PNSt15iterator_traitsISG_E10value_typeET2_T3_PNSH_ISM_E10value_typeET4_T5_PSR_SS_PNS1_23onesweep_lookback_stateEbbT6_jjT7_P12ihipStream_tbENKUlT_T0_SG_SL_E_clIS9_SA_SB_SB_EEDaSZ_S10_SG_SL_EUlSZ_E_NS1_11comp_targetILNS1_3genE6ELNS1_11target_archE950ELNS1_3gpuE13ELNS1_3repE0EEENS1_47radix_sort_onesweep_sort_config_static_selectorELNS0_4arch9wavefront6targetE0EEEvSG_.has_recursion, 0
	.set _ZN7rocprim17ROCPRIM_400000_NS6detail17trampoline_kernelINS0_14default_configENS1_35radix_sort_onesweep_config_selectorIaNS0_10empty_typeEEEZZNS1_29radix_sort_onesweep_iterationIS3_Lb0EPKaPaPS5_SB_mNS0_19identity_decomposerENS1_16block_id_wrapperIjLb0EEEEE10hipError_tT1_PNSt15iterator_traitsISG_E10value_typeET2_T3_PNSH_ISM_E10value_typeET4_T5_PSR_SS_PNS1_23onesweep_lookback_stateEbbT6_jjT7_P12ihipStream_tbENKUlT_T0_SG_SL_E_clIS9_SA_SB_SB_EEDaSZ_S10_SG_SL_EUlSZ_E_NS1_11comp_targetILNS1_3genE6ELNS1_11target_archE950ELNS1_3gpuE13ELNS1_3repE0EEENS1_47radix_sort_onesweep_sort_config_static_selectorELNS0_4arch9wavefront6targetE0EEEvSG_.has_indirect_call, 0
	.section	.AMDGPU.csdata,"",@progbits
; Kernel info:
; codeLenInByte = 0
; TotalNumSgprs: 0
; NumVgprs: 0
; ScratchSize: 0
; MemoryBound: 0
; FloatMode: 240
; IeeeMode: 1
; LDSByteSize: 0 bytes/workgroup (compile time only)
; SGPRBlocks: 0
; VGPRBlocks: 0
; NumSGPRsForWavesPerEU: 1
; NumVGPRsForWavesPerEU: 1
; NamedBarCnt: 0
; Occupancy: 16
; WaveLimiterHint : 0
; COMPUTE_PGM_RSRC2:SCRATCH_EN: 0
; COMPUTE_PGM_RSRC2:USER_SGPR: 2
; COMPUTE_PGM_RSRC2:TRAP_HANDLER: 0
; COMPUTE_PGM_RSRC2:TGID_X_EN: 1
; COMPUTE_PGM_RSRC2:TGID_Y_EN: 0
; COMPUTE_PGM_RSRC2:TGID_Z_EN: 0
; COMPUTE_PGM_RSRC2:TIDIG_COMP_CNT: 0
	.section	.text._ZN7rocprim17ROCPRIM_400000_NS6detail17trampoline_kernelINS0_14default_configENS1_35radix_sort_onesweep_config_selectorIaNS0_10empty_typeEEEZZNS1_29radix_sort_onesweep_iterationIS3_Lb0EPKaPaPS5_SB_mNS0_19identity_decomposerENS1_16block_id_wrapperIjLb0EEEEE10hipError_tT1_PNSt15iterator_traitsISG_E10value_typeET2_T3_PNSH_ISM_E10value_typeET4_T5_PSR_SS_PNS1_23onesweep_lookback_stateEbbT6_jjT7_P12ihipStream_tbENKUlT_T0_SG_SL_E_clIS9_SA_SB_SB_EEDaSZ_S10_SG_SL_EUlSZ_E_NS1_11comp_targetILNS1_3genE5ELNS1_11target_archE942ELNS1_3gpuE9ELNS1_3repE0EEENS1_47radix_sort_onesweep_sort_config_static_selectorELNS0_4arch9wavefront6targetE0EEEvSG_,"axG",@progbits,_ZN7rocprim17ROCPRIM_400000_NS6detail17trampoline_kernelINS0_14default_configENS1_35radix_sort_onesweep_config_selectorIaNS0_10empty_typeEEEZZNS1_29radix_sort_onesweep_iterationIS3_Lb0EPKaPaPS5_SB_mNS0_19identity_decomposerENS1_16block_id_wrapperIjLb0EEEEE10hipError_tT1_PNSt15iterator_traitsISG_E10value_typeET2_T3_PNSH_ISM_E10value_typeET4_T5_PSR_SS_PNS1_23onesweep_lookback_stateEbbT6_jjT7_P12ihipStream_tbENKUlT_T0_SG_SL_E_clIS9_SA_SB_SB_EEDaSZ_S10_SG_SL_EUlSZ_E_NS1_11comp_targetILNS1_3genE5ELNS1_11target_archE942ELNS1_3gpuE9ELNS1_3repE0EEENS1_47radix_sort_onesweep_sort_config_static_selectorELNS0_4arch9wavefront6targetE0EEEvSG_,comdat
	.protected	_ZN7rocprim17ROCPRIM_400000_NS6detail17trampoline_kernelINS0_14default_configENS1_35radix_sort_onesweep_config_selectorIaNS0_10empty_typeEEEZZNS1_29radix_sort_onesweep_iterationIS3_Lb0EPKaPaPS5_SB_mNS0_19identity_decomposerENS1_16block_id_wrapperIjLb0EEEEE10hipError_tT1_PNSt15iterator_traitsISG_E10value_typeET2_T3_PNSH_ISM_E10value_typeET4_T5_PSR_SS_PNS1_23onesweep_lookback_stateEbbT6_jjT7_P12ihipStream_tbENKUlT_T0_SG_SL_E_clIS9_SA_SB_SB_EEDaSZ_S10_SG_SL_EUlSZ_E_NS1_11comp_targetILNS1_3genE5ELNS1_11target_archE942ELNS1_3gpuE9ELNS1_3repE0EEENS1_47radix_sort_onesweep_sort_config_static_selectorELNS0_4arch9wavefront6targetE0EEEvSG_ ; -- Begin function _ZN7rocprim17ROCPRIM_400000_NS6detail17trampoline_kernelINS0_14default_configENS1_35radix_sort_onesweep_config_selectorIaNS0_10empty_typeEEEZZNS1_29radix_sort_onesweep_iterationIS3_Lb0EPKaPaPS5_SB_mNS0_19identity_decomposerENS1_16block_id_wrapperIjLb0EEEEE10hipError_tT1_PNSt15iterator_traitsISG_E10value_typeET2_T3_PNSH_ISM_E10value_typeET4_T5_PSR_SS_PNS1_23onesweep_lookback_stateEbbT6_jjT7_P12ihipStream_tbENKUlT_T0_SG_SL_E_clIS9_SA_SB_SB_EEDaSZ_S10_SG_SL_EUlSZ_E_NS1_11comp_targetILNS1_3genE5ELNS1_11target_archE942ELNS1_3gpuE9ELNS1_3repE0EEENS1_47radix_sort_onesweep_sort_config_static_selectorELNS0_4arch9wavefront6targetE0EEEvSG_
	.globl	_ZN7rocprim17ROCPRIM_400000_NS6detail17trampoline_kernelINS0_14default_configENS1_35radix_sort_onesweep_config_selectorIaNS0_10empty_typeEEEZZNS1_29radix_sort_onesweep_iterationIS3_Lb0EPKaPaPS5_SB_mNS0_19identity_decomposerENS1_16block_id_wrapperIjLb0EEEEE10hipError_tT1_PNSt15iterator_traitsISG_E10value_typeET2_T3_PNSH_ISM_E10value_typeET4_T5_PSR_SS_PNS1_23onesweep_lookback_stateEbbT6_jjT7_P12ihipStream_tbENKUlT_T0_SG_SL_E_clIS9_SA_SB_SB_EEDaSZ_S10_SG_SL_EUlSZ_E_NS1_11comp_targetILNS1_3genE5ELNS1_11target_archE942ELNS1_3gpuE9ELNS1_3repE0EEENS1_47radix_sort_onesweep_sort_config_static_selectorELNS0_4arch9wavefront6targetE0EEEvSG_
	.p2align	8
	.type	_ZN7rocprim17ROCPRIM_400000_NS6detail17trampoline_kernelINS0_14default_configENS1_35radix_sort_onesweep_config_selectorIaNS0_10empty_typeEEEZZNS1_29radix_sort_onesweep_iterationIS3_Lb0EPKaPaPS5_SB_mNS0_19identity_decomposerENS1_16block_id_wrapperIjLb0EEEEE10hipError_tT1_PNSt15iterator_traitsISG_E10value_typeET2_T3_PNSH_ISM_E10value_typeET4_T5_PSR_SS_PNS1_23onesweep_lookback_stateEbbT6_jjT7_P12ihipStream_tbENKUlT_T0_SG_SL_E_clIS9_SA_SB_SB_EEDaSZ_S10_SG_SL_EUlSZ_E_NS1_11comp_targetILNS1_3genE5ELNS1_11target_archE942ELNS1_3gpuE9ELNS1_3repE0EEENS1_47radix_sort_onesweep_sort_config_static_selectorELNS0_4arch9wavefront6targetE0EEEvSG_,@function
_ZN7rocprim17ROCPRIM_400000_NS6detail17trampoline_kernelINS0_14default_configENS1_35radix_sort_onesweep_config_selectorIaNS0_10empty_typeEEEZZNS1_29radix_sort_onesweep_iterationIS3_Lb0EPKaPaPS5_SB_mNS0_19identity_decomposerENS1_16block_id_wrapperIjLb0EEEEE10hipError_tT1_PNSt15iterator_traitsISG_E10value_typeET2_T3_PNSH_ISM_E10value_typeET4_T5_PSR_SS_PNS1_23onesweep_lookback_stateEbbT6_jjT7_P12ihipStream_tbENKUlT_T0_SG_SL_E_clIS9_SA_SB_SB_EEDaSZ_S10_SG_SL_EUlSZ_E_NS1_11comp_targetILNS1_3genE5ELNS1_11target_archE942ELNS1_3gpuE9ELNS1_3repE0EEENS1_47radix_sort_onesweep_sort_config_static_selectorELNS0_4arch9wavefront6targetE0EEEvSG_: ; @_ZN7rocprim17ROCPRIM_400000_NS6detail17trampoline_kernelINS0_14default_configENS1_35radix_sort_onesweep_config_selectorIaNS0_10empty_typeEEEZZNS1_29radix_sort_onesweep_iterationIS3_Lb0EPKaPaPS5_SB_mNS0_19identity_decomposerENS1_16block_id_wrapperIjLb0EEEEE10hipError_tT1_PNSt15iterator_traitsISG_E10value_typeET2_T3_PNSH_ISM_E10value_typeET4_T5_PSR_SS_PNS1_23onesweep_lookback_stateEbbT6_jjT7_P12ihipStream_tbENKUlT_T0_SG_SL_E_clIS9_SA_SB_SB_EEDaSZ_S10_SG_SL_EUlSZ_E_NS1_11comp_targetILNS1_3genE5ELNS1_11target_archE942ELNS1_3gpuE9ELNS1_3repE0EEENS1_47radix_sort_onesweep_sort_config_static_selectorELNS0_4arch9wavefront6targetE0EEEvSG_
; %bb.0:
	.section	.rodata,"a",@progbits
	.p2align	6, 0x0
	.amdhsa_kernel _ZN7rocprim17ROCPRIM_400000_NS6detail17trampoline_kernelINS0_14default_configENS1_35radix_sort_onesweep_config_selectorIaNS0_10empty_typeEEEZZNS1_29radix_sort_onesweep_iterationIS3_Lb0EPKaPaPS5_SB_mNS0_19identity_decomposerENS1_16block_id_wrapperIjLb0EEEEE10hipError_tT1_PNSt15iterator_traitsISG_E10value_typeET2_T3_PNSH_ISM_E10value_typeET4_T5_PSR_SS_PNS1_23onesweep_lookback_stateEbbT6_jjT7_P12ihipStream_tbENKUlT_T0_SG_SL_E_clIS9_SA_SB_SB_EEDaSZ_S10_SG_SL_EUlSZ_E_NS1_11comp_targetILNS1_3genE5ELNS1_11target_archE942ELNS1_3gpuE9ELNS1_3repE0EEENS1_47radix_sort_onesweep_sort_config_static_selectorELNS0_4arch9wavefront6targetE0EEEvSG_
		.amdhsa_group_segment_fixed_size 0
		.amdhsa_private_segment_fixed_size 0
		.amdhsa_kernarg_size 88
		.amdhsa_user_sgpr_count 2
		.amdhsa_user_sgpr_dispatch_ptr 0
		.amdhsa_user_sgpr_queue_ptr 0
		.amdhsa_user_sgpr_kernarg_segment_ptr 1
		.amdhsa_user_sgpr_dispatch_id 0
		.amdhsa_user_sgpr_kernarg_preload_length 0
		.amdhsa_user_sgpr_kernarg_preload_offset 0
		.amdhsa_user_sgpr_private_segment_size 0
		.amdhsa_wavefront_size32 1
		.amdhsa_uses_dynamic_stack 0
		.amdhsa_enable_private_segment 0
		.amdhsa_system_sgpr_workgroup_id_x 1
		.amdhsa_system_sgpr_workgroup_id_y 0
		.amdhsa_system_sgpr_workgroup_id_z 0
		.amdhsa_system_sgpr_workgroup_info 0
		.amdhsa_system_vgpr_workitem_id 0
		.amdhsa_next_free_vgpr 1
		.amdhsa_next_free_sgpr 1
		.amdhsa_named_barrier_count 0
		.amdhsa_reserve_vcc 0
		.amdhsa_float_round_mode_32 0
		.amdhsa_float_round_mode_16_64 0
		.amdhsa_float_denorm_mode_32 3
		.amdhsa_float_denorm_mode_16_64 3
		.amdhsa_fp16_overflow 0
		.amdhsa_memory_ordered 1
		.amdhsa_forward_progress 1
		.amdhsa_inst_pref_size 0
		.amdhsa_round_robin_scheduling 0
		.amdhsa_exception_fp_ieee_invalid_op 0
		.amdhsa_exception_fp_denorm_src 0
		.amdhsa_exception_fp_ieee_div_zero 0
		.amdhsa_exception_fp_ieee_overflow 0
		.amdhsa_exception_fp_ieee_underflow 0
		.amdhsa_exception_fp_ieee_inexact 0
		.amdhsa_exception_int_div_zero 0
	.end_amdhsa_kernel
	.section	.text._ZN7rocprim17ROCPRIM_400000_NS6detail17trampoline_kernelINS0_14default_configENS1_35radix_sort_onesweep_config_selectorIaNS0_10empty_typeEEEZZNS1_29radix_sort_onesweep_iterationIS3_Lb0EPKaPaPS5_SB_mNS0_19identity_decomposerENS1_16block_id_wrapperIjLb0EEEEE10hipError_tT1_PNSt15iterator_traitsISG_E10value_typeET2_T3_PNSH_ISM_E10value_typeET4_T5_PSR_SS_PNS1_23onesweep_lookback_stateEbbT6_jjT7_P12ihipStream_tbENKUlT_T0_SG_SL_E_clIS9_SA_SB_SB_EEDaSZ_S10_SG_SL_EUlSZ_E_NS1_11comp_targetILNS1_3genE5ELNS1_11target_archE942ELNS1_3gpuE9ELNS1_3repE0EEENS1_47radix_sort_onesweep_sort_config_static_selectorELNS0_4arch9wavefront6targetE0EEEvSG_,"axG",@progbits,_ZN7rocprim17ROCPRIM_400000_NS6detail17trampoline_kernelINS0_14default_configENS1_35radix_sort_onesweep_config_selectorIaNS0_10empty_typeEEEZZNS1_29radix_sort_onesweep_iterationIS3_Lb0EPKaPaPS5_SB_mNS0_19identity_decomposerENS1_16block_id_wrapperIjLb0EEEEE10hipError_tT1_PNSt15iterator_traitsISG_E10value_typeET2_T3_PNSH_ISM_E10value_typeET4_T5_PSR_SS_PNS1_23onesweep_lookback_stateEbbT6_jjT7_P12ihipStream_tbENKUlT_T0_SG_SL_E_clIS9_SA_SB_SB_EEDaSZ_S10_SG_SL_EUlSZ_E_NS1_11comp_targetILNS1_3genE5ELNS1_11target_archE942ELNS1_3gpuE9ELNS1_3repE0EEENS1_47radix_sort_onesweep_sort_config_static_selectorELNS0_4arch9wavefront6targetE0EEEvSG_,comdat
.Lfunc_end486:
	.size	_ZN7rocprim17ROCPRIM_400000_NS6detail17trampoline_kernelINS0_14default_configENS1_35radix_sort_onesweep_config_selectorIaNS0_10empty_typeEEEZZNS1_29radix_sort_onesweep_iterationIS3_Lb0EPKaPaPS5_SB_mNS0_19identity_decomposerENS1_16block_id_wrapperIjLb0EEEEE10hipError_tT1_PNSt15iterator_traitsISG_E10value_typeET2_T3_PNSH_ISM_E10value_typeET4_T5_PSR_SS_PNS1_23onesweep_lookback_stateEbbT6_jjT7_P12ihipStream_tbENKUlT_T0_SG_SL_E_clIS9_SA_SB_SB_EEDaSZ_S10_SG_SL_EUlSZ_E_NS1_11comp_targetILNS1_3genE5ELNS1_11target_archE942ELNS1_3gpuE9ELNS1_3repE0EEENS1_47radix_sort_onesweep_sort_config_static_selectorELNS0_4arch9wavefront6targetE0EEEvSG_, .Lfunc_end486-_ZN7rocprim17ROCPRIM_400000_NS6detail17trampoline_kernelINS0_14default_configENS1_35radix_sort_onesweep_config_selectorIaNS0_10empty_typeEEEZZNS1_29radix_sort_onesweep_iterationIS3_Lb0EPKaPaPS5_SB_mNS0_19identity_decomposerENS1_16block_id_wrapperIjLb0EEEEE10hipError_tT1_PNSt15iterator_traitsISG_E10value_typeET2_T3_PNSH_ISM_E10value_typeET4_T5_PSR_SS_PNS1_23onesweep_lookback_stateEbbT6_jjT7_P12ihipStream_tbENKUlT_T0_SG_SL_E_clIS9_SA_SB_SB_EEDaSZ_S10_SG_SL_EUlSZ_E_NS1_11comp_targetILNS1_3genE5ELNS1_11target_archE942ELNS1_3gpuE9ELNS1_3repE0EEENS1_47radix_sort_onesweep_sort_config_static_selectorELNS0_4arch9wavefront6targetE0EEEvSG_
                                        ; -- End function
	.set _ZN7rocprim17ROCPRIM_400000_NS6detail17trampoline_kernelINS0_14default_configENS1_35radix_sort_onesweep_config_selectorIaNS0_10empty_typeEEEZZNS1_29radix_sort_onesweep_iterationIS3_Lb0EPKaPaPS5_SB_mNS0_19identity_decomposerENS1_16block_id_wrapperIjLb0EEEEE10hipError_tT1_PNSt15iterator_traitsISG_E10value_typeET2_T3_PNSH_ISM_E10value_typeET4_T5_PSR_SS_PNS1_23onesweep_lookback_stateEbbT6_jjT7_P12ihipStream_tbENKUlT_T0_SG_SL_E_clIS9_SA_SB_SB_EEDaSZ_S10_SG_SL_EUlSZ_E_NS1_11comp_targetILNS1_3genE5ELNS1_11target_archE942ELNS1_3gpuE9ELNS1_3repE0EEENS1_47radix_sort_onesweep_sort_config_static_selectorELNS0_4arch9wavefront6targetE0EEEvSG_.num_vgpr, 0
	.set _ZN7rocprim17ROCPRIM_400000_NS6detail17trampoline_kernelINS0_14default_configENS1_35radix_sort_onesweep_config_selectorIaNS0_10empty_typeEEEZZNS1_29radix_sort_onesweep_iterationIS3_Lb0EPKaPaPS5_SB_mNS0_19identity_decomposerENS1_16block_id_wrapperIjLb0EEEEE10hipError_tT1_PNSt15iterator_traitsISG_E10value_typeET2_T3_PNSH_ISM_E10value_typeET4_T5_PSR_SS_PNS1_23onesweep_lookback_stateEbbT6_jjT7_P12ihipStream_tbENKUlT_T0_SG_SL_E_clIS9_SA_SB_SB_EEDaSZ_S10_SG_SL_EUlSZ_E_NS1_11comp_targetILNS1_3genE5ELNS1_11target_archE942ELNS1_3gpuE9ELNS1_3repE0EEENS1_47radix_sort_onesweep_sort_config_static_selectorELNS0_4arch9wavefront6targetE0EEEvSG_.num_agpr, 0
	.set _ZN7rocprim17ROCPRIM_400000_NS6detail17trampoline_kernelINS0_14default_configENS1_35radix_sort_onesweep_config_selectorIaNS0_10empty_typeEEEZZNS1_29radix_sort_onesweep_iterationIS3_Lb0EPKaPaPS5_SB_mNS0_19identity_decomposerENS1_16block_id_wrapperIjLb0EEEEE10hipError_tT1_PNSt15iterator_traitsISG_E10value_typeET2_T3_PNSH_ISM_E10value_typeET4_T5_PSR_SS_PNS1_23onesweep_lookback_stateEbbT6_jjT7_P12ihipStream_tbENKUlT_T0_SG_SL_E_clIS9_SA_SB_SB_EEDaSZ_S10_SG_SL_EUlSZ_E_NS1_11comp_targetILNS1_3genE5ELNS1_11target_archE942ELNS1_3gpuE9ELNS1_3repE0EEENS1_47radix_sort_onesweep_sort_config_static_selectorELNS0_4arch9wavefront6targetE0EEEvSG_.numbered_sgpr, 0
	.set _ZN7rocprim17ROCPRIM_400000_NS6detail17trampoline_kernelINS0_14default_configENS1_35radix_sort_onesweep_config_selectorIaNS0_10empty_typeEEEZZNS1_29radix_sort_onesweep_iterationIS3_Lb0EPKaPaPS5_SB_mNS0_19identity_decomposerENS1_16block_id_wrapperIjLb0EEEEE10hipError_tT1_PNSt15iterator_traitsISG_E10value_typeET2_T3_PNSH_ISM_E10value_typeET4_T5_PSR_SS_PNS1_23onesweep_lookback_stateEbbT6_jjT7_P12ihipStream_tbENKUlT_T0_SG_SL_E_clIS9_SA_SB_SB_EEDaSZ_S10_SG_SL_EUlSZ_E_NS1_11comp_targetILNS1_3genE5ELNS1_11target_archE942ELNS1_3gpuE9ELNS1_3repE0EEENS1_47radix_sort_onesweep_sort_config_static_selectorELNS0_4arch9wavefront6targetE0EEEvSG_.num_named_barrier, 0
	.set _ZN7rocprim17ROCPRIM_400000_NS6detail17trampoline_kernelINS0_14default_configENS1_35radix_sort_onesweep_config_selectorIaNS0_10empty_typeEEEZZNS1_29radix_sort_onesweep_iterationIS3_Lb0EPKaPaPS5_SB_mNS0_19identity_decomposerENS1_16block_id_wrapperIjLb0EEEEE10hipError_tT1_PNSt15iterator_traitsISG_E10value_typeET2_T3_PNSH_ISM_E10value_typeET4_T5_PSR_SS_PNS1_23onesweep_lookback_stateEbbT6_jjT7_P12ihipStream_tbENKUlT_T0_SG_SL_E_clIS9_SA_SB_SB_EEDaSZ_S10_SG_SL_EUlSZ_E_NS1_11comp_targetILNS1_3genE5ELNS1_11target_archE942ELNS1_3gpuE9ELNS1_3repE0EEENS1_47radix_sort_onesweep_sort_config_static_selectorELNS0_4arch9wavefront6targetE0EEEvSG_.private_seg_size, 0
	.set _ZN7rocprim17ROCPRIM_400000_NS6detail17trampoline_kernelINS0_14default_configENS1_35radix_sort_onesweep_config_selectorIaNS0_10empty_typeEEEZZNS1_29radix_sort_onesweep_iterationIS3_Lb0EPKaPaPS5_SB_mNS0_19identity_decomposerENS1_16block_id_wrapperIjLb0EEEEE10hipError_tT1_PNSt15iterator_traitsISG_E10value_typeET2_T3_PNSH_ISM_E10value_typeET4_T5_PSR_SS_PNS1_23onesweep_lookback_stateEbbT6_jjT7_P12ihipStream_tbENKUlT_T0_SG_SL_E_clIS9_SA_SB_SB_EEDaSZ_S10_SG_SL_EUlSZ_E_NS1_11comp_targetILNS1_3genE5ELNS1_11target_archE942ELNS1_3gpuE9ELNS1_3repE0EEENS1_47radix_sort_onesweep_sort_config_static_selectorELNS0_4arch9wavefront6targetE0EEEvSG_.uses_vcc, 0
	.set _ZN7rocprim17ROCPRIM_400000_NS6detail17trampoline_kernelINS0_14default_configENS1_35radix_sort_onesweep_config_selectorIaNS0_10empty_typeEEEZZNS1_29radix_sort_onesweep_iterationIS3_Lb0EPKaPaPS5_SB_mNS0_19identity_decomposerENS1_16block_id_wrapperIjLb0EEEEE10hipError_tT1_PNSt15iterator_traitsISG_E10value_typeET2_T3_PNSH_ISM_E10value_typeET4_T5_PSR_SS_PNS1_23onesweep_lookback_stateEbbT6_jjT7_P12ihipStream_tbENKUlT_T0_SG_SL_E_clIS9_SA_SB_SB_EEDaSZ_S10_SG_SL_EUlSZ_E_NS1_11comp_targetILNS1_3genE5ELNS1_11target_archE942ELNS1_3gpuE9ELNS1_3repE0EEENS1_47radix_sort_onesweep_sort_config_static_selectorELNS0_4arch9wavefront6targetE0EEEvSG_.uses_flat_scratch, 0
	.set _ZN7rocprim17ROCPRIM_400000_NS6detail17trampoline_kernelINS0_14default_configENS1_35radix_sort_onesweep_config_selectorIaNS0_10empty_typeEEEZZNS1_29radix_sort_onesweep_iterationIS3_Lb0EPKaPaPS5_SB_mNS0_19identity_decomposerENS1_16block_id_wrapperIjLb0EEEEE10hipError_tT1_PNSt15iterator_traitsISG_E10value_typeET2_T3_PNSH_ISM_E10value_typeET4_T5_PSR_SS_PNS1_23onesweep_lookback_stateEbbT6_jjT7_P12ihipStream_tbENKUlT_T0_SG_SL_E_clIS9_SA_SB_SB_EEDaSZ_S10_SG_SL_EUlSZ_E_NS1_11comp_targetILNS1_3genE5ELNS1_11target_archE942ELNS1_3gpuE9ELNS1_3repE0EEENS1_47radix_sort_onesweep_sort_config_static_selectorELNS0_4arch9wavefront6targetE0EEEvSG_.has_dyn_sized_stack, 0
	.set _ZN7rocprim17ROCPRIM_400000_NS6detail17trampoline_kernelINS0_14default_configENS1_35radix_sort_onesweep_config_selectorIaNS0_10empty_typeEEEZZNS1_29radix_sort_onesweep_iterationIS3_Lb0EPKaPaPS5_SB_mNS0_19identity_decomposerENS1_16block_id_wrapperIjLb0EEEEE10hipError_tT1_PNSt15iterator_traitsISG_E10value_typeET2_T3_PNSH_ISM_E10value_typeET4_T5_PSR_SS_PNS1_23onesweep_lookback_stateEbbT6_jjT7_P12ihipStream_tbENKUlT_T0_SG_SL_E_clIS9_SA_SB_SB_EEDaSZ_S10_SG_SL_EUlSZ_E_NS1_11comp_targetILNS1_3genE5ELNS1_11target_archE942ELNS1_3gpuE9ELNS1_3repE0EEENS1_47radix_sort_onesweep_sort_config_static_selectorELNS0_4arch9wavefront6targetE0EEEvSG_.has_recursion, 0
	.set _ZN7rocprim17ROCPRIM_400000_NS6detail17trampoline_kernelINS0_14default_configENS1_35radix_sort_onesweep_config_selectorIaNS0_10empty_typeEEEZZNS1_29radix_sort_onesweep_iterationIS3_Lb0EPKaPaPS5_SB_mNS0_19identity_decomposerENS1_16block_id_wrapperIjLb0EEEEE10hipError_tT1_PNSt15iterator_traitsISG_E10value_typeET2_T3_PNSH_ISM_E10value_typeET4_T5_PSR_SS_PNS1_23onesweep_lookback_stateEbbT6_jjT7_P12ihipStream_tbENKUlT_T0_SG_SL_E_clIS9_SA_SB_SB_EEDaSZ_S10_SG_SL_EUlSZ_E_NS1_11comp_targetILNS1_3genE5ELNS1_11target_archE942ELNS1_3gpuE9ELNS1_3repE0EEENS1_47radix_sort_onesweep_sort_config_static_selectorELNS0_4arch9wavefront6targetE0EEEvSG_.has_indirect_call, 0
	.section	.AMDGPU.csdata,"",@progbits
; Kernel info:
; codeLenInByte = 0
; TotalNumSgprs: 0
; NumVgprs: 0
; ScratchSize: 0
; MemoryBound: 0
; FloatMode: 240
; IeeeMode: 1
; LDSByteSize: 0 bytes/workgroup (compile time only)
; SGPRBlocks: 0
; VGPRBlocks: 0
; NumSGPRsForWavesPerEU: 1
; NumVGPRsForWavesPerEU: 1
; NamedBarCnt: 0
; Occupancy: 16
; WaveLimiterHint : 0
; COMPUTE_PGM_RSRC2:SCRATCH_EN: 0
; COMPUTE_PGM_RSRC2:USER_SGPR: 2
; COMPUTE_PGM_RSRC2:TRAP_HANDLER: 0
; COMPUTE_PGM_RSRC2:TGID_X_EN: 1
; COMPUTE_PGM_RSRC2:TGID_Y_EN: 0
; COMPUTE_PGM_RSRC2:TGID_Z_EN: 0
; COMPUTE_PGM_RSRC2:TIDIG_COMP_CNT: 0
	.section	.text._ZN7rocprim17ROCPRIM_400000_NS6detail17trampoline_kernelINS0_14default_configENS1_35radix_sort_onesweep_config_selectorIaNS0_10empty_typeEEEZZNS1_29radix_sort_onesweep_iterationIS3_Lb0EPKaPaPS5_SB_mNS0_19identity_decomposerENS1_16block_id_wrapperIjLb0EEEEE10hipError_tT1_PNSt15iterator_traitsISG_E10value_typeET2_T3_PNSH_ISM_E10value_typeET4_T5_PSR_SS_PNS1_23onesweep_lookback_stateEbbT6_jjT7_P12ihipStream_tbENKUlT_T0_SG_SL_E_clIS9_SA_SB_SB_EEDaSZ_S10_SG_SL_EUlSZ_E_NS1_11comp_targetILNS1_3genE2ELNS1_11target_archE906ELNS1_3gpuE6ELNS1_3repE0EEENS1_47radix_sort_onesweep_sort_config_static_selectorELNS0_4arch9wavefront6targetE0EEEvSG_,"axG",@progbits,_ZN7rocprim17ROCPRIM_400000_NS6detail17trampoline_kernelINS0_14default_configENS1_35radix_sort_onesweep_config_selectorIaNS0_10empty_typeEEEZZNS1_29radix_sort_onesweep_iterationIS3_Lb0EPKaPaPS5_SB_mNS0_19identity_decomposerENS1_16block_id_wrapperIjLb0EEEEE10hipError_tT1_PNSt15iterator_traitsISG_E10value_typeET2_T3_PNSH_ISM_E10value_typeET4_T5_PSR_SS_PNS1_23onesweep_lookback_stateEbbT6_jjT7_P12ihipStream_tbENKUlT_T0_SG_SL_E_clIS9_SA_SB_SB_EEDaSZ_S10_SG_SL_EUlSZ_E_NS1_11comp_targetILNS1_3genE2ELNS1_11target_archE906ELNS1_3gpuE6ELNS1_3repE0EEENS1_47radix_sort_onesweep_sort_config_static_selectorELNS0_4arch9wavefront6targetE0EEEvSG_,comdat
	.protected	_ZN7rocprim17ROCPRIM_400000_NS6detail17trampoline_kernelINS0_14default_configENS1_35radix_sort_onesweep_config_selectorIaNS0_10empty_typeEEEZZNS1_29radix_sort_onesweep_iterationIS3_Lb0EPKaPaPS5_SB_mNS0_19identity_decomposerENS1_16block_id_wrapperIjLb0EEEEE10hipError_tT1_PNSt15iterator_traitsISG_E10value_typeET2_T3_PNSH_ISM_E10value_typeET4_T5_PSR_SS_PNS1_23onesweep_lookback_stateEbbT6_jjT7_P12ihipStream_tbENKUlT_T0_SG_SL_E_clIS9_SA_SB_SB_EEDaSZ_S10_SG_SL_EUlSZ_E_NS1_11comp_targetILNS1_3genE2ELNS1_11target_archE906ELNS1_3gpuE6ELNS1_3repE0EEENS1_47radix_sort_onesweep_sort_config_static_selectorELNS0_4arch9wavefront6targetE0EEEvSG_ ; -- Begin function _ZN7rocprim17ROCPRIM_400000_NS6detail17trampoline_kernelINS0_14default_configENS1_35radix_sort_onesweep_config_selectorIaNS0_10empty_typeEEEZZNS1_29radix_sort_onesweep_iterationIS3_Lb0EPKaPaPS5_SB_mNS0_19identity_decomposerENS1_16block_id_wrapperIjLb0EEEEE10hipError_tT1_PNSt15iterator_traitsISG_E10value_typeET2_T3_PNSH_ISM_E10value_typeET4_T5_PSR_SS_PNS1_23onesweep_lookback_stateEbbT6_jjT7_P12ihipStream_tbENKUlT_T0_SG_SL_E_clIS9_SA_SB_SB_EEDaSZ_S10_SG_SL_EUlSZ_E_NS1_11comp_targetILNS1_3genE2ELNS1_11target_archE906ELNS1_3gpuE6ELNS1_3repE0EEENS1_47radix_sort_onesweep_sort_config_static_selectorELNS0_4arch9wavefront6targetE0EEEvSG_
	.globl	_ZN7rocprim17ROCPRIM_400000_NS6detail17trampoline_kernelINS0_14default_configENS1_35radix_sort_onesweep_config_selectorIaNS0_10empty_typeEEEZZNS1_29radix_sort_onesweep_iterationIS3_Lb0EPKaPaPS5_SB_mNS0_19identity_decomposerENS1_16block_id_wrapperIjLb0EEEEE10hipError_tT1_PNSt15iterator_traitsISG_E10value_typeET2_T3_PNSH_ISM_E10value_typeET4_T5_PSR_SS_PNS1_23onesweep_lookback_stateEbbT6_jjT7_P12ihipStream_tbENKUlT_T0_SG_SL_E_clIS9_SA_SB_SB_EEDaSZ_S10_SG_SL_EUlSZ_E_NS1_11comp_targetILNS1_3genE2ELNS1_11target_archE906ELNS1_3gpuE6ELNS1_3repE0EEENS1_47radix_sort_onesweep_sort_config_static_selectorELNS0_4arch9wavefront6targetE0EEEvSG_
	.p2align	8
	.type	_ZN7rocprim17ROCPRIM_400000_NS6detail17trampoline_kernelINS0_14default_configENS1_35radix_sort_onesweep_config_selectorIaNS0_10empty_typeEEEZZNS1_29radix_sort_onesweep_iterationIS3_Lb0EPKaPaPS5_SB_mNS0_19identity_decomposerENS1_16block_id_wrapperIjLb0EEEEE10hipError_tT1_PNSt15iterator_traitsISG_E10value_typeET2_T3_PNSH_ISM_E10value_typeET4_T5_PSR_SS_PNS1_23onesweep_lookback_stateEbbT6_jjT7_P12ihipStream_tbENKUlT_T0_SG_SL_E_clIS9_SA_SB_SB_EEDaSZ_S10_SG_SL_EUlSZ_E_NS1_11comp_targetILNS1_3genE2ELNS1_11target_archE906ELNS1_3gpuE6ELNS1_3repE0EEENS1_47radix_sort_onesweep_sort_config_static_selectorELNS0_4arch9wavefront6targetE0EEEvSG_,@function
_ZN7rocprim17ROCPRIM_400000_NS6detail17trampoline_kernelINS0_14default_configENS1_35radix_sort_onesweep_config_selectorIaNS0_10empty_typeEEEZZNS1_29radix_sort_onesweep_iterationIS3_Lb0EPKaPaPS5_SB_mNS0_19identity_decomposerENS1_16block_id_wrapperIjLb0EEEEE10hipError_tT1_PNSt15iterator_traitsISG_E10value_typeET2_T3_PNSH_ISM_E10value_typeET4_T5_PSR_SS_PNS1_23onesweep_lookback_stateEbbT6_jjT7_P12ihipStream_tbENKUlT_T0_SG_SL_E_clIS9_SA_SB_SB_EEDaSZ_S10_SG_SL_EUlSZ_E_NS1_11comp_targetILNS1_3genE2ELNS1_11target_archE906ELNS1_3gpuE6ELNS1_3repE0EEENS1_47radix_sort_onesweep_sort_config_static_selectorELNS0_4arch9wavefront6targetE0EEEvSG_: ; @_ZN7rocprim17ROCPRIM_400000_NS6detail17trampoline_kernelINS0_14default_configENS1_35radix_sort_onesweep_config_selectorIaNS0_10empty_typeEEEZZNS1_29radix_sort_onesweep_iterationIS3_Lb0EPKaPaPS5_SB_mNS0_19identity_decomposerENS1_16block_id_wrapperIjLb0EEEEE10hipError_tT1_PNSt15iterator_traitsISG_E10value_typeET2_T3_PNSH_ISM_E10value_typeET4_T5_PSR_SS_PNS1_23onesweep_lookback_stateEbbT6_jjT7_P12ihipStream_tbENKUlT_T0_SG_SL_E_clIS9_SA_SB_SB_EEDaSZ_S10_SG_SL_EUlSZ_E_NS1_11comp_targetILNS1_3genE2ELNS1_11target_archE906ELNS1_3gpuE6ELNS1_3repE0EEENS1_47radix_sort_onesweep_sort_config_static_selectorELNS0_4arch9wavefront6targetE0EEEvSG_
; %bb.0:
	.section	.rodata,"a",@progbits
	.p2align	6, 0x0
	.amdhsa_kernel _ZN7rocprim17ROCPRIM_400000_NS6detail17trampoline_kernelINS0_14default_configENS1_35radix_sort_onesweep_config_selectorIaNS0_10empty_typeEEEZZNS1_29radix_sort_onesweep_iterationIS3_Lb0EPKaPaPS5_SB_mNS0_19identity_decomposerENS1_16block_id_wrapperIjLb0EEEEE10hipError_tT1_PNSt15iterator_traitsISG_E10value_typeET2_T3_PNSH_ISM_E10value_typeET4_T5_PSR_SS_PNS1_23onesweep_lookback_stateEbbT6_jjT7_P12ihipStream_tbENKUlT_T0_SG_SL_E_clIS9_SA_SB_SB_EEDaSZ_S10_SG_SL_EUlSZ_E_NS1_11comp_targetILNS1_3genE2ELNS1_11target_archE906ELNS1_3gpuE6ELNS1_3repE0EEENS1_47radix_sort_onesweep_sort_config_static_selectorELNS0_4arch9wavefront6targetE0EEEvSG_
		.amdhsa_group_segment_fixed_size 0
		.amdhsa_private_segment_fixed_size 0
		.amdhsa_kernarg_size 88
		.amdhsa_user_sgpr_count 2
		.amdhsa_user_sgpr_dispatch_ptr 0
		.amdhsa_user_sgpr_queue_ptr 0
		.amdhsa_user_sgpr_kernarg_segment_ptr 1
		.amdhsa_user_sgpr_dispatch_id 0
		.amdhsa_user_sgpr_kernarg_preload_length 0
		.amdhsa_user_sgpr_kernarg_preload_offset 0
		.amdhsa_user_sgpr_private_segment_size 0
		.amdhsa_wavefront_size32 1
		.amdhsa_uses_dynamic_stack 0
		.amdhsa_enable_private_segment 0
		.amdhsa_system_sgpr_workgroup_id_x 1
		.amdhsa_system_sgpr_workgroup_id_y 0
		.amdhsa_system_sgpr_workgroup_id_z 0
		.amdhsa_system_sgpr_workgroup_info 0
		.amdhsa_system_vgpr_workitem_id 0
		.amdhsa_next_free_vgpr 1
		.amdhsa_next_free_sgpr 1
		.amdhsa_named_barrier_count 0
		.amdhsa_reserve_vcc 0
		.amdhsa_float_round_mode_32 0
		.amdhsa_float_round_mode_16_64 0
		.amdhsa_float_denorm_mode_32 3
		.amdhsa_float_denorm_mode_16_64 3
		.amdhsa_fp16_overflow 0
		.amdhsa_memory_ordered 1
		.amdhsa_forward_progress 1
		.amdhsa_inst_pref_size 0
		.amdhsa_round_robin_scheduling 0
		.amdhsa_exception_fp_ieee_invalid_op 0
		.amdhsa_exception_fp_denorm_src 0
		.amdhsa_exception_fp_ieee_div_zero 0
		.amdhsa_exception_fp_ieee_overflow 0
		.amdhsa_exception_fp_ieee_underflow 0
		.amdhsa_exception_fp_ieee_inexact 0
		.amdhsa_exception_int_div_zero 0
	.end_amdhsa_kernel
	.section	.text._ZN7rocprim17ROCPRIM_400000_NS6detail17trampoline_kernelINS0_14default_configENS1_35radix_sort_onesweep_config_selectorIaNS0_10empty_typeEEEZZNS1_29radix_sort_onesweep_iterationIS3_Lb0EPKaPaPS5_SB_mNS0_19identity_decomposerENS1_16block_id_wrapperIjLb0EEEEE10hipError_tT1_PNSt15iterator_traitsISG_E10value_typeET2_T3_PNSH_ISM_E10value_typeET4_T5_PSR_SS_PNS1_23onesweep_lookback_stateEbbT6_jjT7_P12ihipStream_tbENKUlT_T0_SG_SL_E_clIS9_SA_SB_SB_EEDaSZ_S10_SG_SL_EUlSZ_E_NS1_11comp_targetILNS1_3genE2ELNS1_11target_archE906ELNS1_3gpuE6ELNS1_3repE0EEENS1_47radix_sort_onesweep_sort_config_static_selectorELNS0_4arch9wavefront6targetE0EEEvSG_,"axG",@progbits,_ZN7rocprim17ROCPRIM_400000_NS6detail17trampoline_kernelINS0_14default_configENS1_35radix_sort_onesweep_config_selectorIaNS0_10empty_typeEEEZZNS1_29radix_sort_onesweep_iterationIS3_Lb0EPKaPaPS5_SB_mNS0_19identity_decomposerENS1_16block_id_wrapperIjLb0EEEEE10hipError_tT1_PNSt15iterator_traitsISG_E10value_typeET2_T3_PNSH_ISM_E10value_typeET4_T5_PSR_SS_PNS1_23onesweep_lookback_stateEbbT6_jjT7_P12ihipStream_tbENKUlT_T0_SG_SL_E_clIS9_SA_SB_SB_EEDaSZ_S10_SG_SL_EUlSZ_E_NS1_11comp_targetILNS1_3genE2ELNS1_11target_archE906ELNS1_3gpuE6ELNS1_3repE0EEENS1_47radix_sort_onesweep_sort_config_static_selectorELNS0_4arch9wavefront6targetE0EEEvSG_,comdat
.Lfunc_end487:
	.size	_ZN7rocprim17ROCPRIM_400000_NS6detail17trampoline_kernelINS0_14default_configENS1_35radix_sort_onesweep_config_selectorIaNS0_10empty_typeEEEZZNS1_29radix_sort_onesweep_iterationIS3_Lb0EPKaPaPS5_SB_mNS0_19identity_decomposerENS1_16block_id_wrapperIjLb0EEEEE10hipError_tT1_PNSt15iterator_traitsISG_E10value_typeET2_T3_PNSH_ISM_E10value_typeET4_T5_PSR_SS_PNS1_23onesweep_lookback_stateEbbT6_jjT7_P12ihipStream_tbENKUlT_T0_SG_SL_E_clIS9_SA_SB_SB_EEDaSZ_S10_SG_SL_EUlSZ_E_NS1_11comp_targetILNS1_3genE2ELNS1_11target_archE906ELNS1_3gpuE6ELNS1_3repE0EEENS1_47radix_sort_onesweep_sort_config_static_selectorELNS0_4arch9wavefront6targetE0EEEvSG_, .Lfunc_end487-_ZN7rocprim17ROCPRIM_400000_NS6detail17trampoline_kernelINS0_14default_configENS1_35radix_sort_onesweep_config_selectorIaNS0_10empty_typeEEEZZNS1_29radix_sort_onesweep_iterationIS3_Lb0EPKaPaPS5_SB_mNS0_19identity_decomposerENS1_16block_id_wrapperIjLb0EEEEE10hipError_tT1_PNSt15iterator_traitsISG_E10value_typeET2_T3_PNSH_ISM_E10value_typeET4_T5_PSR_SS_PNS1_23onesweep_lookback_stateEbbT6_jjT7_P12ihipStream_tbENKUlT_T0_SG_SL_E_clIS9_SA_SB_SB_EEDaSZ_S10_SG_SL_EUlSZ_E_NS1_11comp_targetILNS1_3genE2ELNS1_11target_archE906ELNS1_3gpuE6ELNS1_3repE0EEENS1_47radix_sort_onesweep_sort_config_static_selectorELNS0_4arch9wavefront6targetE0EEEvSG_
                                        ; -- End function
	.set _ZN7rocprim17ROCPRIM_400000_NS6detail17trampoline_kernelINS0_14default_configENS1_35radix_sort_onesweep_config_selectorIaNS0_10empty_typeEEEZZNS1_29radix_sort_onesweep_iterationIS3_Lb0EPKaPaPS5_SB_mNS0_19identity_decomposerENS1_16block_id_wrapperIjLb0EEEEE10hipError_tT1_PNSt15iterator_traitsISG_E10value_typeET2_T3_PNSH_ISM_E10value_typeET4_T5_PSR_SS_PNS1_23onesweep_lookback_stateEbbT6_jjT7_P12ihipStream_tbENKUlT_T0_SG_SL_E_clIS9_SA_SB_SB_EEDaSZ_S10_SG_SL_EUlSZ_E_NS1_11comp_targetILNS1_3genE2ELNS1_11target_archE906ELNS1_3gpuE6ELNS1_3repE0EEENS1_47radix_sort_onesweep_sort_config_static_selectorELNS0_4arch9wavefront6targetE0EEEvSG_.num_vgpr, 0
	.set _ZN7rocprim17ROCPRIM_400000_NS6detail17trampoline_kernelINS0_14default_configENS1_35radix_sort_onesweep_config_selectorIaNS0_10empty_typeEEEZZNS1_29radix_sort_onesweep_iterationIS3_Lb0EPKaPaPS5_SB_mNS0_19identity_decomposerENS1_16block_id_wrapperIjLb0EEEEE10hipError_tT1_PNSt15iterator_traitsISG_E10value_typeET2_T3_PNSH_ISM_E10value_typeET4_T5_PSR_SS_PNS1_23onesweep_lookback_stateEbbT6_jjT7_P12ihipStream_tbENKUlT_T0_SG_SL_E_clIS9_SA_SB_SB_EEDaSZ_S10_SG_SL_EUlSZ_E_NS1_11comp_targetILNS1_3genE2ELNS1_11target_archE906ELNS1_3gpuE6ELNS1_3repE0EEENS1_47radix_sort_onesweep_sort_config_static_selectorELNS0_4arch9wavefront6targetE0EEEvSG_.num_agpr, 0
	.set _ZN7rocprim17ROCPRIM_400000_NS6detail17trampoline_kernelINS0_14default_configENS1_35radix_sort_onesweep_config_selectorIaNS0_10empty_typeEEEZZNS1_29radix_sort_onesweep_iterationIS3_Lb0EPKaPaPS5_SB_mNS0_19identity_decomposerENS1_16block_id_wrapperIjLb0EEEEE10hipError_tT1_PNSt15iterator_traitsISG_E10value_typeET2_T3_PNSH_ISM_E10value_typeET4_T5_PSR_SS_PNS1_23onesweep_lookback_stateEbbT6_jjT7_P12ihipStream_tbENKUlT_T0_SG_SL_E_clIS9_SA_SB_SB_EEDaSZ_S10_SG_SL_EUlSZ_E_NS1_11comp_targetILNS1_3genE2ELNS1_11target_archE906ELNS1_3gpuE6ELNS1_3repE0EEENS1_47radix_sort_onesweep_sort_config_static_selectorELNS0_4arch9wavefront6targetE0EEEvSG_.numbered_sgpr, 0
	.set _ZN7rocprim17ROCPRIM_400000_NS6detail17trampoline_kernelINS0_14default_configENS1_35radix_sort_onesweep_config_selectorIaNS0_10empty_typeEEEZZNS1_29radix_sort_onesweep_iterationIS3_Lb0EPKaPaPS5_SB_mNS0_19identity_decomposerENS1_16block_id_wrapperIjLb0EEEEE10hipError_tT1_PNSt15iterator_traitsISG_E10value_typeET2_T3_PNSH_ISM_E10value_typeET4_T5_PSR_SS_PNS1_23onesweep_lookback_stateEbbT6_jjT7_P12ihipStream_tbENKUlT_T0_SG_SL_E_clIS9_SA_SB_SB_EEDaSZ_S10_SG_SL_EUlSZ_E_NS1_11comp_targetILNS1_3genE2ELNS1_11target_archE906ELNS1_3gpuE6ELNS1_3repE0EEENS1_47radix_sort_onesweep_sort_config_static_selectorELNS0_4arch9wavefront6targetE0EEEvSG_.num_named_barrier, 0
	.set _ZN7rocprim17ROCPRIM_400000_NS6detail17trampoline_kernelINS0_14default_configENS1_35radix_sort_onesweep_config_selectorIaNS0_10empty_typeEEEZZNS1_29radix_sort_onesweep_iterationIS3_Lb0EPKaPaPS5_SB_mNS0_19identity_decomposerENS1_16block_id_wrapperIjLb0EEEEE10hipError_tT1_PNSt15iterator_traitsISG_E10value_typeET2_T3_PNSH_ISM_E10value_typeET4_T5_PSR_SS_PNS1_23onesweep_lookback_stateEbbT6_jjT7_P12ihipStream_tbENKUlT_T0_SG_SL_E_clIS9_SA_SB_SB_EEDaSZ_S10_SG_SL_EUlSZ_E_NS1_11comp_targetILNS1_3genE2ELNS1_11target_archE906ELNS1_3gpuE6ELNS1_3repE0EEENS1_47radix_sort_onesweep_sort_config_static_selectorELNS0_4arch9wavefront6targetE0EEEvSG_.private_seg_size, 0
	.set _ZN7rocprim17ROCPRIM_400000_NS6detail17trampoline_kernelINS0_14default_configENS1_35radix_sort_onesweep_config_selectorIaNS0_10empty_typeEEEZZNS1_29radix_sort_onesweep_iterationIS3_Lb0EPKaPaPS5_SB_mNS0_19identity_decomposerENS1_16block_id_wrapperIjLb0EEEEE10hipError_tT1_PNSt15iterator_traitsISG_E10value_typeET2_T3_PNSH_ISM_E10value_typeET4_T5_PSR_SS_PNS1_23onesweep_lookback_stateEbbT6_jjT7_P12ihipStream_tbENKUlT_T0_SG_SL_E_clIS9_SA_SB_SB_EEDaSZ_S10_SG_SL_EUlSZ_E_NS1_11comp_targetILNS1_3genE2ELNS1_11target_archE906ELNS1_3gpuE6ELNS1_3repE0EEENS1_47radix_sort_onesweep_sort_config_static_selectorELNS0_4arch9wavefront6targetE0EEEvSG_.uses_vcc, 0
	.set _ZN7rocprim17ROCPRIM_400000_NS6detail17trampoline_kernelINS0_14default_configENS1_35radix_sort_onesweep_config_selectorIaNS0_10empty_typeEEEZZNS1_29radix_sort_onesweep_iterationIS3_Lb0EPKaPaPS5_SB_mNS0_19identity_decomposerENS1_16block_id_wrapperIjLb0EEEEE10hipError_tT1_PNSt15iterator_traitsISG_E10value_typeET2_T3_PNSH_ISM_E10value_typeET4_T5_PSR_SS_PNS1_23onesweep_lookback_stateEbbT6_jjT7_P12ihipStream_tbENKUlT_T0_SG_SL_E_clIS9_SA_SB_SB_EEDaSZ_S10_SG_SL_EUlSZ_E_NS1_11comp_targetILNS1_3genE2ELNS1_11target_archE906ELNS1_3gpuE6ELNS1_3repE0EEENS1_47radix_sort_onesweep_sort_config_static_selectorELNS0_4arch9wavefront6targetE0EEEvSG_.uses_flat_scratch, 0
	.set _ZN7rocprim17ROCPRIM_400000_NS6detail17trampoline_kernelINS0_14default_configENS1_35radix_sort_onesweep_config_selectorIaNS0_10empty_typeEEEZZNS1_29radix_sort_onesweep_iterationIS3_Lb0EPKaPaPS5_SB_mNS0_19identity_decomposerENS1_16block_id_wrapperIjLb0EEEEE10hipError_tT1_PNSt15iterator_traitsISG_E10value_typeET2_T3_PNSH_ISM_E10value_typeET4_T5_PSR_SS_PNS1_23onesweep_lookback_stateEbbT6_jjT7_P12ihipStream_tbENKUlT_T0_SG_SL_E_clIS9_SA_SB_SB_EEDaSZ_S10_SG_SL_EUlSZ_E_NS1_11comp_targetILNS1_3genE2ELNS1_11target_archE906ELNS1_3gpuE6ELNS1_3repE0EEENS1_47radix_sort_onesweep_sort_config_static_selectorELNS0_4arch9wavefront6targetE0EEEvSG_.has_dyn_sized_stack, 0
	.set _ZN7rocprim17ROCPRIM_400000_NS6detail17trampoline_kernelINS0_14default_configENS1_35radix_sort_onesweep_config_selectorIaNS0_10empty_typeEEEZZNS1_29radix_sort_onesweep_iterationIS3_Lb0EPKaPaPS5_SB_mNS0_19identity_decomposerENS1_16block_id_wrapperIjLb0EEEEE10hipError_tT1_PNSt15iterator_traitsISG_E10value_typeET2_T3_PNSH_ISM_E10value_typeET4_T5_PSR_SS_PNS1_23onesweep_lookback_stateEbbT6_jjT7_P12ihipStream_tbENKUlT_T0_SG_SL_E_clIS9_SA_SB_SB_EEDaSZ_S10_SG_SL_EUlSZ_E_NS1_11comp_targetILNS1_3genE2ELNS1_11target_archE906ELNS1_3gpuE6ELNS1_3repE0EEENS1_47radix_sort_onesweep_sort_config_static_selectorELNS0_4arch9wavefront6targetE0EEEvSG_.has_recursion, 0
	.set _ZN7rocprim17ROCPRIM_400000_NS6detail17trampoline_kernelINS0_14default_configENS1_35radix_sort_onesweep_config_selectorIaNS0_10empty_typeEEEZZNS1_29radix_sort_onesweep_iterationIS3_Lb0EPKaPaPS5_SB_mNS0_19identity_decomposerENS1_16block_id_wrapperIjLb0EEEEE10hipError_tT1_PNSt15iterator_traitsISG_E10value_typeET2_T3_PNSH_ISM_E10value_typeET4_T5_PSR_SS_PNS1_23onesweep_lookback_stateEbbT6_jjT7_P12ihipStream_tbENKUlT_T0_SG_SL_E_clIS9_SA_SB_SB_EEDaSZ_S10_SG_SL_EUlSZ_E_NS1_11comp_targetILNS1_3genE2ELNS1_11target_archE906ELNS1_3gpuE6ELNS1_3repE0EEENS1_47radix_sort_onesweep_sort_config_static_selectorELNS0_4arch9wavefront6targetE0EEEvSG_.has_indirect_call, 0
	.section	.AMDGPU.csdata,"",@progbits
; Kernel info:
; codeLenInByte = 0
; TotalNumSgprs: 0
; NumVgprs: 0
; ScratchSize: 0
; MemoryBound: 0
; FloatMode: 240
; IeeeMode: 1
; LDSByteSize: 0 bytes/workgroup (compile time only)
; SGPRBlocks: 0
; VGPRBlocks: 0
; NumSGPRsForWavesPerEU: 1
; NumVGPRsForWavesPerEU: 1
; NamedBarCnt: 0
; Occupancy: 16
; WaveLimiterHint : 0
; COMPUTE_PGM_RSRC2:SCRATCH_EN: 0
; COMPUTE_PGM_RSRC2:USER_SGPR: 2
; COMPUTE_PGM_RSRC2:TRAP_HANDLER: 0
; COMPUTE_PGM_RSRC2:TGID_X_EN: 1
; COMPUTE_PGM_RSRC2:TGID_Y_EN: 0
; COMPUTE_PGM_RSRC2:TGID_Z_EN: 0
; COMPUTE_PGM_RSRC2:TIDIG_COMP_CNT: 0
	.section	.text._ZN7rocprim17ROCPRIM_400000_NS6detail17trampoline_kernelINS0_14default_configENS1_35radix_sort_onesweep_config_selectorIaNS0_10empty_typeEEEZZNS1_29radix_sort_onesweep_iterationIS3_Lb0EPKaPaPS5_SB_mNS0_19identity_decomposerENS1_16block_id_wrapperIjLb0EEEEE10hipError_tT1_PNSt15iterator_traitsISG_E10value_typeET2_T3_PNSH_ISM_E10value_typeET4_T5_PSR_SS_PNS1_23onesweep_lookback_stateEbbT6_jjT7_P12ihipStream_tbENKUlT_T0_SG_SL_E_clIS9_SA_SB_SB_EEDaSZ_S10_SG_SL_EUlSZ_E_NS1_11comp_targetILNS1_3genE4ELNS1_11target_archE910ELNS1_3gpuE8ELNS1_3repE0EEENS1_47radix_sort_onesweep_sort_config_static_selectorELNS0_4arch9wavefront6targetE0EEEvSG_,"axG",@progbits,_ZN7rocprim17ROCPRIM_400000_NS6detail17trampoline_kernelINS0_14default_configENS1_35radix_sort_onesweep_config_selectorIaNS0_10empty_typeEEEZZNS1_29radix_sort_onesweep_iterationIS3_Lb0EPKaPaPS5_SB_mNS0_19identity_decomposerENS1_16block_id_wrapperIjLb0EEEEE10hipError_tT1_PNSt15iterator_traitsISG_E10value_typeET2_T3_PNSH_ISM_E10value_typeET4_T5_PSR_SS_PNS1_23onesweep_lookback_stateEbbT6_jjT7_P12ihipStream_tbENKUlT_T0_SG_SL_E_clIS9_SA_SB_SB_EEDaSZ_S10_SG_SL_EUlSZ_E_NS1_11comp_targetILNS1_3genE4ELNS1_11target_archE910ELNS1_3gpuE8ELNS1_3repE0EEENS1_47radix_sort_onesweep_sort_config_static_selectorELNS0_4arch9wavefront6targetE0EEEvSG_,comdat
	.protected	_ZN7rocprim17ROCPRIM_400000_NS6detail17trampoline_kernelINS0_14default_configENS1_35radix_sort_onesweep_config_selectorIaNS0_10empty_typeEEEZZNS1_29radix_sort_onesweep_iterationIS3_Lb0EPKaPaPS5_SB_mNS0_19identity_decomposerENS1_16block_id_wrapperIjLb0EEEEE10hipError_tT1_PNSt15iterator_traitsISG_E10value_typeET2_T3_PNSH_ISM_E10value_typeET4_T5_PSR_SS_PNS1_23onesweep_lookback_stateEbbT6_jjT7_P12ihipStream_tbENKUlT_T0_SG_SL_E_clIS9_SA_SB_SB_EEDaSZ_S10_SG_SL_EUlSZ_E_NS1_11comp_targetILNS1_3genE4ELNS1_11target_archE910ELNS1_3gpuE8ELNS1_3repE0EEENS1_47radix_sort_onesweep_sort_config_static_selectorELNS0_4arch9wavefront6targetE0EEEvSG_ ; -- Begin function _ZN7rocprim17ROCPRIM_400000_NS6detail17trampoline_kernelINS0_14default_configENS1_35radix_sort_onesweep_config_selectorIaNS0_10empty_typeEEEZZNS1_29radix_sort_onesweep_iterationIS3_Lb0EPKaPaPS5_SB_mNS0_19identity_decomposerENS1_16block_id_wrapperIjLb0EEEEE10hipError_tT1_PNSt15iterator_traitsISG_E10value_typeET2_T3_PNSH_ISM_E10value_typeET4_T5_PSR_SS_PNS1_23onesweep_lookback_stateEbbT6_jjT7_P12ihipStream_tbENKUlT_T0_SG_SL_E_clIS9_SA_SB_SB_EEDaSZ_S10_SG_SL_EUlSZ_E_NS1_11comp_targetILNS1_3genE4ELNS1_11target_archE910ELNS1_3gpuE8ELNS1_3repE0EEENS1_47radix_sort_onesweep_sort_config_static_selectorELNS0_4arch9wavefront6targetE0EEEvSG_
	.globl	_ZN7rocprim17ROCPRIM_400000_NS6detail17trampoline_kernelINS0_14default_configENS1_35radix_sort_onesweep_config_selectorIaNS0_10empty_typeEEEZZNS1_29radix_sort_onesweep_iterationIS3_Lb0EPKaPaPS5_SB_mNS0_19identity_decomposerENS1_16block_id_wrapperIjLb0EEEEE10hipError_tT1_PNSt15iterator_traitsISG_E10value_typeET2_T3_PNSH_ISM_E10value_typeET4_T5_PSR_SS_PNS1_23onesweep_lookback_stateEbbT6_jjT7_P12ihipStream_tbENKUlT_T0_SG_SL_E_clIS9_SA_SB_SB_EEDaSZ_S10_SG_SL_EUlSZ_E_NS1_11comp_targetILNS1_3genE4ELNS1_11target_archE910ELNS1_3gpuE8ELNS1_3repE0EEENS1_47radix_sort_onesweep_sort_config_static_selectorELNS0_4arch9wavefront6targetE0EEEvSG_
	.p2align	8
	.type	_ZN7rocprim17ROCPRIM_400000_NS6detail17trampoline_kernelINS0_14default_configENS1_35radix_sort_onesweep_config_selectorIaNS0_10empty_typeEEEZZNS1_29radix_sort_onesweep_iterationIS3_Lb0EPKaPaPS5_SB_mNS0_19identity_decomposerENS1_16block_id_wrapperIjLb0EEEEE10hipError_tT1_PNSt15iterator_traitsISG_E10value_typeET2_T3_PNSH_ISM_E10value_typeET4_T5_PSR_SS_PNS1_23onesweep_lookback_stateEbbT6_jjT7_P12ihipStream_tbENKUlT_T0_SG_SL_E_clIS9_SA_SB_SB_EEDaSZ_S10_SG_SL_EUlSZ_E_NS1_11comp_targetILNS1_3genE4ELNS1_11target_archE910ELNS1_3gpuE8ELNS1_3repE0EEENS1_47radix_sort_onesweep_sort_config_static_selectorELNS0_4arch9wavefront6targetE0EEEvSG_,@function
_ZN7rocprim17ROCPRIM_400000_NS6detail17trampoline_kernelINS0_14default_configENS1_35radix_sort_onesweep_config_selectorIaNS0_10empty_typeEEEZZNS1_29radix_sort_onesweep_iterationIS3_Lb0EPKaPaPS5_SB_mNS0_19identity_decomposerENS1_16block_id_wrapperIjLb0EEEEE10hipError_tT1_PNSt15iterator_traitsISG_E10value_typeET2_T3_PNSH_ISM_E10value_typeET4_T5_PSR_SS_PNS1_23onesweep_lookback_stateEbbT6_jjT7_P12ihipStream_tbENKUlT_T0_SG_SL_E_clIS9_SA_SB_SB_EEDaSZ_S10_SG_SL_EUlSZ_E_NS1_11comp_targetILNS1_3genE4ELNS1_11target_archE910ELNS1_3gpuE8ELNS1_3repE0EEENS1_47radix_sort_onesweep_sort_config_static_selectorELNS0_4arch9wavefront6targetE0EEEvSG_: ; @_ZN7rocprim17ROCPRIM_400000_NS6detail17trampoline_kernelINS0_14default_configENS1_35radix_sort_onesweep_config_selectorIaNS0_10empty_typeEEEZZNS1_29radix_sort_onesweep_iterationIS3_Lb0EPKaPaPS5_SB_mNS0_19identity_decomposerENS1_16block_id_wrapperIjLb0EEEEE10hipError_tT1_PNSt15iterator_traitsISG_E10value_typeET2_T3_PNSH_ISM_E10value_typeET4_T5_PSR_SS_PNS1_23onesweep_lookback_stateEbbT6_jjT7_P12ihipStream_tbENKUlT_T0_SG_SL_E_clIS9_SA_SB_SB_EEDaSZ_S10_SG_SL_EUlSZ_E_NS1_11comp_targetILNS1_3genE4ELNS1_11target_archE910ELNS1_3gpuE8ELNS1_3repE0EEENS1_47radix_sort_onesweep_sort_config_static_selectorELNS0_4arch9wavefront6targetE0EEEvSG_
; %bb.0:
	.section	.rodata,"a",@progbits
	.p2align	6, 0x0
	.amdhsa_kernel _ZN7rocprim17ROCPRIM_400000_NS6detail17trampoline_kernelINS0_14default_configENS1_35radix_sort_onesweep_config_selectorIaNS0_10empty_typeEEEZZNS1_29radix_sort_onesweep_iterationIS3_Lb0EPKaPaPS5_SB_mNS0_19identity_decomposerENS1_16block_id_wrapperIjLb0EEEEE10hipError_tT1_PNSt15iterator_traitsISG_E10value_typeET2_T3_PNSH_ISM_E10value_typeET4_T5_PSR_SS_PNS1_23onesweep_lookback_stateEbbT6_jjT7_P12ihipStream_tbENKUlT_T0_SG_SL_E_clIS9_SA_SB_SB_EEDaSZ_S10_SG_SL_EUlSZ_E_NS1_11comp_targetILNS1_3genE4ELNS1_11target_archE910ELNS1_3gpuE8ELNS1_3repE0EEENS1_47radix_sort_onesweep_sort_config_static_selectorELNS0_4arch9wavefront6targetE0EEEvSG_
		.amdhsa_group_segment_fixed_size 0
		.amdhsa_private_segment_fixed_size 0
		.amdhsa_kernarg_size 88
		.amdhsa_user_sgpr_count 2
		.amdhsa_user_sgpr_dispatch_ptr 0
		.amdhsa_user_sgpr_queue_ptr 0
		.amdhsa_user_sgpr_kernarg_segment_ptr 1
		.amdhsa_user_sgpr_dispatch_id 0
		.amdhsa_user_sgpr_kernarg_preload_length 0
		.amdhsa_user_sgpr_kernarg_preload_offset 0
		.amdhsa_user_sgpr_private_segment_size 0
		.amdhsa_wavefront_size32 1
		.amdhsa_uses_dynamic_stack 0
		.amdhsa_enable_private_segment 0
		.amdhsa_system_sgpr_workgroup_id_x 1
		.amdhsa_system_sgpr_workgroup_id_y 0
		.amdhsa_system_sgpr_workgroup_id_z 0
		.amdhsa_system_sgpr_workgroup_info 0
		.amdhsa_system_vgpr_workitem_id 0
		.amdhsa_next_free_vgpr 1
		.amdhsa_next_free_sgpr 1
		.amdhsa_named_barrier_count 0
		.amdhsa_reserve_vcc 0
		.amdhsa_float_round_mode_32 0
		.amdhsa_float_round_mode_16_64 0
		.amdhsa_float_denorm_mode_32 3
		.amdhsa_float_denorm_mode_16_64 3
		.amdhsa_fp16_overflow 0
		.amdhsa_memory_ordered 1
		.amdhsa_forward_progress 1
		.amdhsa_inst_pref_size 0
		.amdhsa_round_robin_scheduling 0
		.amdhsa_exception_fp_ieee_invalid_op 0
		.amdhsa_exception_fp_denorm_src 0
		.amdhsa_exception_fp_ieee_div_zero 0
		.amdhsa_exception_fp_ieee_overflow 0
		.amdhsa_exception_fp_ieee_underflow 0
		.amdhsa_exception_fp_ieee_inexact 0
		.amdhsa_exception_int_div_zero 0
	.end_amdhsa_kernel
	.section	.text._ZN7rocprim17ROCPRIM_400000_NS6detail17trampoline_kernelINS0_14default_configENS1_35radix_sort_onesweep_config_selectorIaNS0_10empty_typeEEEZZNS1_29radix_sort_onesweep_iterationIS3_Lb0EPKaPaPS5_SB_mNS0_19identity_decomposerENS1_16block_id_wrapperIjLb0EEEEE10hipError_tT1_PNSt15iterator_traitsISG_E10value_typeET2_T3_PNSH_ISM_E10value_typeET4_T5_PSR_SS_PNS1_23onesweep_lookback_stateEbbT6_jjT7_P12ihipStream_tbENKUlT_T0_SG_SL_E_clIS9_SA_SB_SB_EEDaSZ_S10_SG_SL_EUlSZ_E_NS1_11comp_targetILNS1_3genE4ELNS1_11target_archE910ELNS1_3gpuE8ELNS1_3repE0EEENS1_47radix_sort_onesweep_sort_config_static_selectorELNS0_4arch9wavefront6targetE0EEEvSG_,"axG",@progbits,_ZN7rocprim17ROCPRIM_400000_NS6detail17trampoline_kernelINS0_14default_configENS1_35radix_sort_onesweep_config_selectorIaNS0_10empty_typeEEEZZNS1_29radix_sort_onesweep_iterationIS3_Lb0EPKaPaPS5_SB_mNS0_19identity_decomposerENS1_16block_id_wrapperIjLb0EEEEE10hipError_tT1_PNSt15iterator_traitsISG_E10value_typeET2_T3_PNSH_ISM_E10value_typeET4_T5_PSR_SS_PNS1_23onesweep_lookback_stateEbbT6_jjT7_P12ihipStream_tbENKUlT_T0_SG_SL_E_clIS9_SA_SB_SB_EEDaSZ_S10_SG_SL_EUlSZ_E_NS1_11comp_targetILNS1_3genE4ELNS1_11target_archE910ELNS1_3gpuE8ELNS1_3repE0EEENS1_47radix_sort_onesweep_sort_config_static_selectorELNS0_4arch9wavefront6targetE0EEEvSG_,comdat
.Lfunc_end488:
	.size	_ZN7rocprim17ROCPRIM_400000_NS6detail17trampoline_kernelINS0_14default_configENS1_35radix_sort_onesweep_config_selectorIaNS0_10empty_typeEEEZZNS1_29radix_sort_onesweep_iterationIS3_Lb0EPKaPaPS5_SB_mNS0_19identity_decomposerENS1_16block_id_wrapperIjLb0EEEEE10hipError_tT1_PNSt15iterator_traitsISG_E10value_typeET2_T3_PNSH_ISM_E10value_typeET4_T5_PSR_SS_PNS1_23onesweep_lookback_stateEbbT6_jjT7_P12ihipStream_tbENKUlT_T0_SG_SL_E_clIS9_SA_SB_SB_EEDaSZ_S10_SG_SL_EUlSZ_E_NS1_11comp_targetILNS1_3genE4ELNS1_11target_archE910ELNS1_3gpuE8ELNS1_3repE0EEENS1_47radix_sort_onesweep_sort_config_static_selectorELNS0_4arch9wavefront6targetE0EEEvSG_, .Lfunc_end488-_ZN7rocprim17ROCPRIM_400000_NS6detail17trampoline_kernelINS0_14default_configENS1_35radix_sort_onesweep_config_selectorIaNS0_10empty_typeEEEZZNS1_29radix_sort_onesweep_iterationIS3_Lb0EPKaPaPS5_SB_mNS0_19identity_decomposerENS1_16block_id_wrapperIjLb0EEEEE10hipError_tT1_PNSt15iterator_traitsISG_E10value_typeET2_T3_PNSH_ISM_E10value_typeET4_T5_PSR_SS_PNS1_23onesweep_lookback_stateEbbT6_jjT7_P12ihipStream_tbENKUlT_T0_SG_SL_E_clIS9_SA_SB_SB_EEDaSZ_S10_SG_SL_EUlSZ_E_NS1_11comp_targetILNS1_3genE4ELNS1_11target_archE910ELNS1_3gpuE8ELNS1_3repE0EEENS1_47radix_sort_onesweep_sort_config_static_selectorELNS0_4arch9wavefront6targetE0EEEvSG_
                                        ; -- End function
	.set _ZN7rocprim17ROCPRIM_400000_NS6detail17trampoline_kernelINS0_14default_configENS1_35radix_sort_onesweep_config_selectorIaNS0_10empty_typeEEEZZNS1_29radix_sort_onesweep_iterationIS3_Lb0EPKaPaPS5_SB_mNS0_19identity_decomposerENS1_16block_id_wrapperIjLb0EEEEE10hipError_tT1_PNSt15iterator_traitsISG_E10value_typeET2_T3_PNSH_ISM_E10value_typeET4_T5_PSR_SS_PNS1_23onesweep_lookback_stateEbbT6_jjT7_P12ihipStream_tbENKUlT_T0_SG_SL_E_clIS9_SA_SB_SB_EEDaSZ_S10_SG_SL_EUlSZ_E_NS1_11comp_targetILNS1_3genE4ELNS1_11target_archE910ELNS1_3gpuE8ELNS1_3repE0EEENS1_47radix_sort_onesweep_sort_config_static_selectorELNS0_4arch9wavefront6targetE0EEEvSG_.num_vgpr, 0
	.set _ZN7rocprim17ROCPRIM_400000_NS6detail17trampoline_kernelINS0_14default_configENS1_35radix_sort_onesweep_config_selectorIaNS0_10empty_typeEEEZZNS1_29radix_sort_onesweep_iterationIS3_Lb0EPKaPaPS5_SB_mNS0_19identity_decomposerENS1_16block_id_wrapperIjLb0EEEEE10hipError_tT1_PNSt15iterator_traitsISG_E10value_typeET2_T3_PNSH_ISM_E10value_typeET4_T5_PSR_SS_PNS1_23onesweep_lookback_stateEbbT6_jjT7_P12ihipStream_tbENKUlT_T0_SG_SL_E_clIS9_SA_SB_SB_EEDaSZ_S10_SG_SL_EUlSZ_E_NS1_11comp_targetILNS1_3genE4ELNS1_11target_archE910ELNS1_3gpuE8ELNS1_3repE0EEENS1_47radix_sort_onesweep_sort_config_static_selectorELNS0_4arch9wavefront6targetE0EEEvSG_.num_agpr, 0
	.set _ZN7rocprim17ROCPRIM_400000_NS6detail17trampoline_kernelINS0_14default_configENS1_35radix_sort_onesweep_config_selectorIaNS0_10empty_typeEEEZZNS1_29radix_sort_onesweep_iterationIS3_Lb0EPKaPaPS5_SB_mNS0_19identity_decomposerENS1_16block_id_wrapperIjLb0EEEEE10hipError_tT1_PNSt15iterator_traitsISG_E10value_typeET2_T3_PNSH_ISM_E10value_typeET4_T5_PSR_SS_PNS1_23onesweep_lookback_stateEbbT6_jjT7_P12ihipStream_tbENKUlT_T0_SG_SL_E_clIS9_SA_SB_SB_EEDaSZ_S10_SG_SL_EUlSZ_E_NS1_11comp_targetILNS1_3genE4ELNS1_11target_archE910ELNS1_3gpuE8ELNS1_3repE0EEENS1_47radix_sort_onesweep_sort_config_static_selectorELNS0_4arch9wavefront6targetE0EEEvSG_.numbered_sgpr, 0
	.set _ZN7rocprim17ROCPRIM_400000_NS6detail17trampoline_kernelINS0_14default_configENS1_35radix_sort_onesweep_config_selectorIaNS0_10empty_typeEEEZZNS1_29radix_sort_onesweep_iterationIS3_Lb0EPKaPaPS5_SB_mNS0_19identity_decomposerENS1_16block_id_wrapperIjLb0EEEEE10hipError_tT1_PNSt15iterator_traitsISG_E10value_typeET2_T3_PNSH_ISM_E10value_typeET4_T5_PSR_SS_PNS1_23onesweep_lookback_stateEbbT6_jjT7_P12ihipStream_tbENKUlT_T0_SG_SL_E_clIS9_SA_SB_SB_EEDaSZ_S10_SG_SL_EUlSZ_E_NS1_11comp_targetILNS1_3genE4ELNS1_11target_archE910ELNS1_3gpuE8ELNS1_3repE0EEENS1_47radix_sort_onesweep_sort_config_static_selectorELNS0_4arch9wavefront6targetE0EEEvSG_.num_named_barrier, 0
	.set _ZN7rocprim17ROCPRIM_400000_NS6detail17trampoline_kernelINS0_14default_configENS1_35radix_sort_onesweep_config_selectorIaNS0_10empty_typeEEEZZNS1_29radix_sort_onesweep_iterationIS3_Lb0EPKaPaPS5_SB_mNS0_19identity_decomposerENS1_16block_id_wrapperIjLb0EEEEE10hipError_tT1_PNSt15iterator_traitsISG_E10value_typeET2_T3_PNSH_ISM_E10value_typeET4_T5_PSR_SS_PNS1_23onesweep_lookback_stateEbbT6_jjT7_P12ihipStream_tbENKUlT_T0_SG_SL_E_clIS9_SA_SB_SB_EEDaSZ_S10_SG_SL_EUlSZ_E_NS1_11comp_targetILNS1_3genE4ELNS1_11target_archE910ELNS1_3gpuE8ELNS1_3repE0EEENS1_47radix_sort_onesweep_sort_config_static_selectorELNS0_4arch9wavefront6targetE0EEEvSG_.private_seg_size, 0
	.set _ZN7rocprim17ROCPRIM_400000_NS6detail17trampoline_kernelINS0_14default_configENS1_35radix_sort_onesweep_config_selectorIaNS0_10empty_typeEEEZZNS1_29radix_sort_onesweep_iterationIS3_Lb0EPKaPaPS5_SB_mNS0_19identity_decomposerENS1_16block_id_wrapperIjLb0EEEEE10hipError_tT1_PNSt15iterator_traitsISG_E10value_typeET2_T3_PNSH_ISM_E10value_typeET4_T5_PSR_SS_PNS1_23onesweep_lookback_stateEbbT6_jjT7_P12ihipStream_tbENKUlT_T0_SG_SL_E_clIS9_SA_SB_SB_EEDaSZ_S10_SG_SL_EUlSZ_E_NS1_11comp_targetILNS1_3genE4ELNS1_11target_archE910ELNS1_3gpuE8ELNS1_3repE0EEENS1_47radix_sort_onesweep_sort_config_static_selectorELNS0_4arch9wavefront6targetE0EEEvSG_.uses_vcc, 0
	.set _ZN7rocprim17ROCPRIM_400000_NS6detail17trampoline_kernelINS0_14default_configENS1_35radix_sort_onesweep_config_selectorIaNS0_10empty_typeEEEZZNS1_29radix_sort_onesweep_iterationIS3_Lb0EPKaPaPS5_SB_mNS0_19identity_decomposerENS1_16block_id_wrapperIjLb0EEEEE10hipError_tT1_PNSt15iterator_traitsISG_E10value_typeET2_T3_PNSH_ISM_E10value_typeET4_T5_PSR_SS_PNS1_23onesweep_lookback_stateEbbT6_jjT7_P12ihipStream_tbENKUlT_T0_SG_SL_E_clIS9_SA_SB_SB_EEDaSZ_S10_SG_SL_EUlSZ_E_NS1_11comp_targetILNS1_3genE4ELNS1_11target_archE910ELNS1_3gpuE8ELNS1_3repE0EEENS1_47radix_sort_onesweep_sort_config_static_selectorELNS0_4arch9wavefront6targetE0EEEvSG_.uses_flat_scratch, 0
	.set _ZN7rocprim17ROCPRIM_400000_NS6detail17trampoline_kernelINS0_14default_configENS1_35radix_sort_onesweep_config_selectorIaNS0_10empty_typeEEEZZNS1_29radix_sort_onesweep_iterationIS3_Lb0EPKaPaPS5_SB_mNS0_19identity_decomposerENS1_16block_id_wrapperIjLb0EEEEE10hipError_tT1_PNSt15iterator_traitsISG_E10value_typeET2_T3_PNSH_ISM_E10value_typeET4_T5_PSR_SS_PNS1_23onesweep_lookback_stateEbbT6_jjT7_P12ihipStream_tbENKUlT_T0_SG_SL_E_clIS9_SA_SB_SB_EEDaSZ_S10_SG_SL_EUlSZ_E_NS1_11comp_targetILNS1_3genE4ELNS1_11target_archE910ELNS1_3gpuE8ELNS1_3repE0EEENS1_47radix_sort_onesweep_sort_config_static_selectorELNS0_4arch9wavefront6targetE0EEEvSG_.has_dyn_sized_stack, 0
	.set _ZN7rocprim17ROCPRIM_400000_NS6detail17trampoline_kernelINS0_14default_configENS1_35radix_sort_onesweep_config_selectorIaNS0_10empty_typeEEEZZNS1_29radix_sort_onesweep_iterationIS3_Lb0EPKaPaPS5_SB_mNS0_19identity_decomposerENS1_16block_id_wrapperIjLb0EEEEE10hipError_tT1_PNSt15iterator_traitsISG_E10value_typeET2_T3_PNSH_ISM_E10value_typeET4_T5_PSR_SS_PNS1_23onesweep_lookback_stateEbbT6_jjT7_P12ihipStream_tbENKUlT_T0_SG_SL_E_clIS9_SA_SB_SB_EEDaSZ_S10_SG_SL_EUlSZ_E_NS1_11comp_targetILNS1_3genE4ELNS1_11target_archE910ELNS1_3gpuE8ELNS1_3repE0EEENS1_47radix_sort_onesweep_sort_config_static_selectorELNS0_4arch9wavefront6targetE0EEEvSG_.has_recursion, 0
	.set _ZN7rocprim17ROCPRIM_400000_NS6detail17trampoline_kernelINS0_14default_configENS1_35radix_sort_onesweep_config_selectorIaNS0_10empty_typeEEEZZNS1_29radix_sort_onesweep_iterationIS3_Lb0EPKaPaPS5_SB_mNS0_19identity_decomposerENS1_16block_id_wrapperIjLb0EEEEE10hipError_tT1_PNSt15iterator_traitsISG_E10value_typeET2_T3_PNSH_ISM_E10value_typeET4_T5_PSR_SS_PNS1_23onesweep_lookback_stateEbbT6_jjT7_P12ihipStream_tbENKUlT_T0_SG_SL_E_clIS9_SA_SB_SB_EEDaSZ_S10_SG_SL_EUlSZ_E_NS1_11comp_targetILNS1_3genE4ELNS1_11target_archE910ELNS1_3gpuE8ELNS1_3repE0EEENS1_47radix_sort_onesweep_sort_config_static_selectorELNS0_4arch9wavefront6targetE0EEEvSG_.has_indirect_call, 0
	.section	.AMDGPU.csdata,"",@progbits
; Kernel info:
; codeLenInByte = 0
; TotalNumSgprs: 0
; NumVgprs: 0
; ScratchSize: 0
; MemoryBound: 0
; FloatMode: 240
; IeeeMode: 1
; LDSByteSize: 0 bytes/workgroup (compile time only)
; SGPRBlocks: 0
; VGPRBlocks: 0
; NumSGPRsForWavesPerEU: 1
; NumVGPRsForWavesPerEU: 1
; NamedBarCnt: 0
; Occupancy: 16
; WaveLimiterHint : 0
; COMPUTE_PGM_RSRC2:SCRATCH_EN: 0
; COMPUTE_PGM_RSRC2:USER_SGPR: 2
; COMPUTE_PGM_RSRC2:TRAP_HANDLER: 0
; COMPUTE_PGM_RSRC2:TGID_X_EN: 1
; COMPUTE_PGM_RSRC2:TGID_Y_EN: 0
; COMPUTE_PGM_RSRC2:TGID_Z_EN: 0
; COMPUTE_PGM_RSRC2:TIDIG_COMP_CNT: 0
	.section	.text._ZN7rocprim17ROCPRIM_400000_NS6detail17trampoline_kernelINS0_14default_configENS1_35radix_sort_onesweep_config_selectorIaNS0_10empty_typeEEEZZNS1_29radix_sort_onesweep_iterationIS3_Lb0EPKaPaPS5_SB_mNS0_19identity_decomposerENS1_16block_id_wrapperIjLb0EEEEE10hipError_tT1_PNSt15iterator_traitsISG_E10value_typeET2_T3_PNSH_ISM_E10value_typeET4_T5_PSR_SS_PNS1_23onesweep_lookback_stateEbbT6_jjT7_P12ihipStream_tbENKUlT_T0_SG_SL_E_clIS9_SA_SB_SB_EEDaSZ_S10_SG_SL_EUlSZ_E_NS1_11comp_targetILNS1_3genE3ELNS1_11target_archE908ELNS1_3gpuE7ELNS1_3repE0EEENS1_47radix_sort_onesweep_sort_config_static_selectorELNS0_4arch9wavefront6targetE0EEEvSG_,"axG",@progbits,_ZN7rocprim17ROCPRIM_400000_NS6detail17trampoline_kernelINS0_14default_configENS1_35radix_sort_onesweep_config_selectorIaNS0_10empty_typeEEEZZNS1_29radix_sort_onesweep_iterationIS3_Lb0EPKaPaPS5_SB_mNS0_19identity_decomposerENS1_16block_id_wrapperIjLb0EEEEE10hipError_tT1_PNSt15iterator_traitsISG_E10value_typeET2_T3_PNSH_ISM_E10value_typeET4_T5_PSR_SS_PNS1_23onesweep_lookback_stateEbbT6_jjT7_P12ihipStream_tbENKUlT_T0_SG_SL_E_clIS9_SA_SB_SB_EEDaSZ_S10_SG_SL_EUlSZ_E_NS1_11comp_targetILNS1_3genE3ELNS1_11target_archE908ELNS1_3gpuE7ELNS1_3repE0EEENS1_47radix_sort_onesweep_sort_config_static_selectorELNS0_4arch9wavefront6targetE0EEEvSG_,comdat
	.protected	_ZN7rocprim17ROCPRIM_400000_NS6detail17trampoline_kernelINS0_14default_configENS1_35radix_sort_onesweep_config_selectorIaNS0_10empty_typeEEEZZNS1_29radix_sort_onesweep_iterationIS3_Lb0EPKaPaPS5_SB_mNS0_19identity_decomposerENS1_16block_id_wrapperIjLb0EEEEE10hipError_tT1_PNSt15iterator_traitsISG_E10value_typeET2_T3_PNSH_ISM_E10value_typeET4_T5_PSR_SS_PNS1_23onesweep_lookback_stateEbbT6_jjT7_P12ihipStream_tbENKUlT_T0_SG_SL_E_clIS9_SA_SB_SB_EEDaSZ_S10_SG_SL_EUlSZ_E_NS1_11comp_targetILNS1_3genE3ELNS1_11target_archE908ELNS1_3gpuE7ELNS1_3repE0EEENS1_47radix_sort_onesweep_sort_config_static_selectorELNS0_4arch9wavefront6targetE0EEEvSG_ ; -- Begin function _ZN7rocprim17ROCPRIM_400000_NS6detail17trampoline_kernelINS0_14default_configENS1_35radix_sort_onesweep_config_selectorIaNS0_10empty_typeEEEZZNS1_29radix_sort_onesweep_iterationIS3_Lb0EPKaPaPS5_SB_mNS0_19identity_decomposerENS1_16block_id_wrapperIjLb0EEEEE10hipError_tT1_PNSt15iterator_traitsISG_E10value_typeET2_T3_PNSH_ISM_E10value_typeET4_T5_PSR_SS_PNS1_23onesweep_lookback_stateEbbT6_jjT7_P12ihipStream_tbENKUlT_T0_SG_SL_E_clIS9_SA_SB_SB_EEDaSZ_S10_SG_SL_EUlSZ_E_NS1_11comp_targetILNS1_3genE3ELNS1_11target_archE908ELNS1_3gpuE7ELNS1_3repE0EEENS1_47radix_sort_onesweep_sort_config_static_selectorELNS0_4arch9wavefront6targetE0EEEvSG_
	.globl	_ZN7rocprim17ROCPRIM_400000_NS6detail17trampoline_kernelINS0_14default_configENS1_35radix_sort_onesweep_config_selectorIaNS0_10empty_typeEEEZZNS1_29radix_sort_onesweep_iterationIS3_Lb0EPKaPaPS5_SB_mNS0_19identity_decomposerENS1_16block_id_wrapperIjLb0EEEEE10hipError_tT1_PNSt15iterator_traitsISG_E10value_typeET2_T3_PNSH_ISM_E10value_typeET4_T5_PSR_SS_PNS1_23onesweep_lookback_stateEbbT6_jjT7_P12ihipStream_tbENKUlT_T0_SG_SL_E_clIS9_SA_SB_SB_EEDaSZ_S10_SG_SL_EUlSZ_E_NS1_11comp_targetILNS1_3genE3ELNS1_11target_archE908ELNS1_3gpuE7ELNS1_3repE0EEENS1_47radix_sort_onesweep_sort_config_static_selectorELNS0_4arch9wavefront6targetE0EEEvSG_
	.p2align	8
	.type	_ZN7rocprim17ROCPRIM_400000_NS6detail17trampoline_kernelINS0_14default_configENS1_35radix_sort_onesweep_config_selectorIaNS0_10empty_typeEEEZZNS1_29radix_sort_onesweep_iterationIS3_Lb0EPKaPaPS5_SB_mNS0_19identity_decomposerENS1_16block_id_wrapperIjLb0EEEEE10hipError_tT1_PNSt15iterator_traitsISG_E10value_typeET2_T3_PNSH_ISM_E10value_typeET4_T5_PSR_SS_PNS1_23onesweep_lookback_stateEbbT6_jjT7_P12ihipStream_tbENKUlT_T0_SG_SL_E_clIS9_SA_SB_SB_EEDaSZ_S10_SG_SL_EUlSZ_E_NS1_11comp_targetILNS1_3genE3ELNS1_11target_archE908ELNS1_3gpuE7ELNS1_3repE0EEENS1_47radix_sort_onesweep_sort_config_static_selectorELNS0_4arch9wavefront6targetE0EEEvSG_,@function
_ZN7rocprim17ROCPRIM_400000_NS6detail17trampoline_kernelINS0_14default_configENS1_35radix_sort_onesweep_config_selectorIaNS0_10empty_typeEEEZZNS1_29radix_sort_onesweep_iterationIS3_Lb0EPKaPaPS5_SB_mNS0_19identity_decomposerENS1_16block_id_wrapperIjLb0EEEEE10hipError_tT1_PNSt15iterator_traitsISG_E10value_typeET2_T3_PNSH_ISM_E10value_typeET4_T5_PSR_SS_PNS1_23onesweep_lookback_stateEbbT6_jjT7_P12ihipStream_tbENKUlT_T0_SG_SL_E_clIS9_SA_SB_SB_EEDaSZ_S10_SG_SL_EUlSZ_E_NS1_11comp_targetILNS1_3genE3ELNS1_11target_archE908ELNS1_3gpuE7ELNS1_3repE0EEENS1_47radix_sort_onesweep_sort_config_static_selectorELNS0_4arch9wavefront6targetE0EEEvSG_: ; @_ZN7rocprim17ROCPRIM_400000_NS6detail17trampoline_kernelINS0_14default_configENS1_35radix_sort_onesweep_config_selectorIaNS0_10empty_typeEEEZZNS1_29radix_sort_onesweep_iterationIS3_Lb0EPKaPaPS5_SB_mNS0_19identity_decomposerENS1_16block_id_wrapperIjLb0EEEEE10hipError_tT1_PNSt15iterator_traitsISG_E10value_typeET2_T3_PNSH_ISM_E10value_typeET4_T5_PSR_SS_PNS1_23onesweep_lookback_stateEbbT6_jjT7_P12ihipStream_tbENKUlT_T0_SG_SL_E_clIS9_SA_SB_SB_EEDaSZ_S10_SG_SL_EUlSZ_E_NS1_11comp_targetILNS1_3genE3ELNS1_11target_archE908ELNS1_3gpuE7ELNS1_3repE0EEENS1_47radix_sort_onesweep_sort_config_static_selectorELNS0_4arch9wavefront6targetE0EEEvSG_
; %bb.0:
	.section	.rodata,"a",@progbits
	.p2align	6, 0x0
	.amdhsa_kernel _ZN7rocprim17ROCPRIM_400000_NS6detail17trampoline_kernelINS0_14default_configENS1_35radix_sort_onesweep_config_selectorIaNS0_10empty_typeEEEZZNS1_29radix_sort_onesweep_iterationIS3_Lb0EPKaPaPS5_SB_mNS0_19identity_decomposerENS1_16block_id_wrapperIjLb0EEEEE10hipError_tT1_PNSt15iterator_traitsISG_E10value_typeET2_T3_PNSH_ISM_E10value_typeET4_T5_PSR_SS_PNS1_23onesweep_lookback_stateEbbT6_jjT7_P12ihipStream_tbENKUlT_T0_SG_SL_E_clIS9_SA_SB_SB_EEDaSZ_S10_SG_SL_EUlSZ_E_NS1_11comp_targetILNS1_3genE3ELNS1_11target_archE908ELNS1_3gpuE7ELNS1_3repE0EEENS1_47radix_sort_onesweep_sort_config_static_selectorELNS0_4arch9wavefront6targetE0EEEvSG_
		.amdhsa_group_segment_fixed_size 0
		.amdhsa_private_segment_fixed_size 0
		.amdhsa_kernarg_size 88
		.amdhsa_user_sgpr_count 2
		.amdhsa_user_sgpr_dispatch_ptr 0
		.amdhsa_user_sgpr_queue_ptr 0
		.amdhsa_user_sgpr_kernarg_segment_ptr 1
		.amdhsa_user_sgpr_dispatch_id 0
		.amdhsa_user_sgpr_kernarg_preload_length 0
		.amdhsa_user_sgpr_kernarg_preload_offset 0
		.amdhsa_user_sgpr_private_segment_size 0
		.amdhsa_wavefront_size32 1
		.amdhsa_uses_dynamic_stack 0
		.amdhsa_enable_private_segment 0
		.amdhsa_system_sgpr_workgroup_id_x 1
		.amdhsa_system_sgpr_workgroup_id_y 0
		.amdhsa_system_sgpr_workgroup_id_z 0
		.amdhsa_system_sgpr_workgroup_info 0
		.amdhsa_system_vgpr_workitem_id 0
		.amdhsa_next_free_vgpr 1
		.amdhsa_next_free_sgpr 1
		.amdhsa_named_barrier_count 0
		.amdhsa_reserve_vcc 0
		.amdhsa_float_round_mode_32 0
		.amdhsa_float_round_mode_16_64 0
		.amdhsa_float_denorm_mode_32 3
		.amdhsa_float_denorm_mode_16_64 3
		.amdhsa_fp16_overflow 0
		.amdhsa_memory_ordered 1
		.amdhsa_forward_progress 1
		.amdhsa_inst_pref_size 0
		.amdhsa_round_robin_scheduling 0
		.amdhsa_exception_fp_ieee_invalid_op 0
		.amdhsa_exception_fp_denorm_src 0
		.amdhsa_exception_fp_ieee_div_zero 0
		.amdhsa_exception_fp_ieee_overflow 0
		.amdhsa_exception_fp_ieee_underflow 0
		.amdhsa_exception_fp_ieee_inexact 0
		.amdhsa_exception_int_div_zero 0
	.end_amdhsa_kernel
	.section	.text._ZN7rocprim17ROCPRIM_400000_NS6detail17trampoline_kernelINS0_14default_configENS1_35radix_sort_onesweep_config_selectorIaNS0_10empty_typeEEEZZNS1_29radix_sort_onesweep_iterationIS3_Lb0EPKaPaPS5_SB_mNS0_19identity_decomposerENS1_16block_id_wrapperIjLb0EEEEE10hipError_tT1_PNSt15iterator_traitsISG_E10value_typeET2_T3_PNSH_ISM_E10value_typeET4_T5_PSR_SS_PNS1_23onesweep_lookback_stateEbbT6_jjT7_P12ihipStream_tbENKUlT_T0_SG_SL_E_clIS9_SA_SB_SB_EEDaSZ_S10_SG_SL_EUlSZ_E_NS1_11comp_targetILNS1_3genE3ELNS1_11target_archE908ELNS1_3gpuE7ELNS1_3repE0EEENS1_47radix_sort_onesweep_sort_config_static_selectorELNS0_4arch9wavefront6targetE0EEEvSG_,"axG",@progbits,_ZN7rocprim17ROCPRIM_400000_NS6detail17trampoline_kernelINS0_14default_configENS1_35radix_sort_onesweep_config_selectorIaNS0_10empty_typeEEEZZNS1_29radix_sort_onesweep_iterationIS3_Lb0EPKaPaPS5_SB_mNS0_19identity_decomposerENS1_16block_id_wrapperIjLb0EEEEE10hipError_tT1_PNSt15iterator_traitsISG_E10value_typeET2_T3_PNSH_ISM_E10value_typeET4_T5_PSR_SS_PNS1_23onesweep_lookback_stateEbbT6_jjT7_P12ihipStream_tbENKUlT_T0_SG_SL_E_clIS9_SA_SB_SB_EEDaSZ_S10_SG_SL_EUlSZ_E_NS1_11comp_targetILNS1_3genE3ELNS1_11target_archE908ELNS1_3gpuE7ELNS1_3repE0EEENS1_47radix_sort_onesweep_sort_config_static_selectorELNS0_4arch9wavefront6targetE0EEEvSG_,comdat
.Lfunc_end489:
	.size	_ZN7rocprim17ROCPRIM_400000_NS6detail17trampoline_kernelINS0_14default_configENS1_35radix_sort_onesweep_config_selectorIaNS0_10empty_typeEEEZZNS1_29radix_sort_onesweep_iterationIS3_Lb0EPKaPaPS5_SB_mNS0_19identity_decomposerENS1_16block_id_wrapperIjLb0EEEEE10hipError_tT1_PNSt15iterator_traitsISG_E10value_typeET2_T3_PNSH_ISM_E10value_typeET4_T5_PSR_SS_PNS1_23onesweep_lookback_stateEbbT6_jjT7_P12ihipStream_tbENKUlT_T0_SG_SL_E_clIS9_SA_SB_SB_EEDaSZ_S10_SG_SL_EUlSZ_E_NS1_11comp_targetILNS1_3genE3ELNS1_11target_archE908ELNS1_3gpuE7ELNS1_3repE0EEENS1_47radix_sort_onesweep_sort_config_static_selectorELNS0_4arch9wavefront6targetE0EEEvSG_, .Lfunc_end489-_ZN7rocprim17ROCPRIM_400000_NS6detail17trampoline_kernelINS0_14default_configENS1_35radix_sort_onesweep_config_selectorIaNS0_10empty_typeEEEZZNS1_29radix_sort_onesweep_iterationIS3_Lb0EPKaPaPS5_SB_mNS0_19identity_decomposerENS1_16block_id_wrapperIjLb0EEEEE10hipError_tT1_PNSt15iterator_traitsISG_E10value_typeET2_T3_PNSH_ISM_E10value_typeET4_T5_PSR_SS_PNS1_23onesweep_lookback_stateEbbT6_jjT7_P12ihipStream_tbENKUlT_T0_SG_SL_E_clIS9_SA_SB_SB_EEDaSZ_S10_SG_SL_EUlSZ_E_NS1_11comp_targetILNS1_3genE3ELNS1_11target_archE908ELNS1_3gpuE7ELNS1_3repE0EEENS1_47radix_sort_onesweep_sort_config_static_selectorELNS0_4arch9wavefront6targetE0EEEvSG_
                                        ; -- End function
	.set _ZN7rocprim17ROCPRIM_400000_NS6detail17trampoline_kernelINS0_14default_configENS1_35radix_sort_onesweep_config_selectorIaNS0_10empty_typeEEEZZNS1_29radix_sort_onesweep_iterationIS3_Lb0EPKaPaPS5_SB_mNS0_19identity_decomposerENS1_16block_id_wrapperIjLb0EEEEE10hipError_tT1_PNSt15iterator_traitsISG_E10value_typeET2_T3_PNSH_ISM_E10value_typeET4_T5_PSR_SS_PNS1_23onesweep_lookback_stateEbbT6_jjT7_P12ihipStream_tbENKUlT_T0_SG_SL_E_clIS9_SA_SB_SB_EEDaSZ_S10_SG_SL_EUlSZ_E_NS1_11comp_targetILNS1_3genE3ELNS1_11target_archE908ELNS1_3gpuE7ELNS1_3repE0EEENS1_47radix_sort_onesweep_sort_config_static_selectorELNS0_4arch9wavefront6targetE0EEEvSG_.num_vgpr, 0
	.set _ZN7rocprim17ROCPRIM_400000_NS6detail17trampoline_kernelINS0_14default_configENS1_35radix_sort_onesweep_config_selectorIaNS0_10empty_typeEEEZZNS1_29radix_sort_onesweep_iterationIS3_Lb0EPKaPaPS5_SB_mNS0_19identity_decomposerENS1_16block_id_wrapperIjLb0EEEEE10hipError_tT1_PNSt15iterator_traitsISG_E10value_typeET2_T3_PNSH_ISM_E10value_typeET4_T5_PSR_SS_PNS1_23onesweep_lookback_stateEbbT6_jjT7_P12ihipStream_tbENKUlT_T0_SG_SL_E_clIS9_SA_SB_SB_EEDaSZ_S10_SG_SL_EUlSZ_E_NS1_11comp_targetILNS1_3genE3ELNS1_11target_archE908ELNS1_3gpuE7ELNS1_3repE0EEENS1_47radix_sort_onesweep_sort_config_static_selectorELNS0_4arch9wavefront6targetE0EEEvSG_.num_agpr, 0
	.set _ZN7rocprim17ROCPRIM_400000_NS6detail17trampoline_kernelINS0_14default_configENS1_35radix_sort_onesweep_config_selectorIaNS0_10empty_typeEEEZZNS1_29radix_sort_onesweep_iterationIS3_Lb0EPKaPaPS5_SB_mNS0_19identity_decomposerENS1_16block_id_wrapperIjLb0EEEEE10hipError_tT1_PNSt15iterator_traitsISG_E10value_typeET2_T3_PNSH_ISM_E10value_typeET4_T5_PSR_SS_PNS1_23onesweep_lookback_stateEbbT6_jjT7_P12ihipStream_tbENKUlT_T0_SG_SL_E_clIS9_SA_SB_SB_EEDaSZ_S10_SG_SL_EUlSZ_E_NS1_11comp_targetILNS1_3genE3ELNS1_11target_archE908ELNS1_3gpuE7ELNS1_3repE0EEENS1_47radix_sort_onesweep_sort_config_static_selectorELNS0_4arch9wavefront6targetE0EEEvSG_.numbered_sgpr, 0
	.set _ZN7rocprim17ROCPRIM_400000_NS6detail17trampoline_kernelINS0_14default_configENS1_35radix_sort_onesweep_config_selectorIaNS0_10empty_typeEEEZZNS1_29radix_sort_onesweep_iterationIS3_Lb0EPKaPaPS5_SB_mNS0_19identity_decomposerENS1_16block_id_wrapperIjLb0EEEEE10hipError_tT1_PNSt15iterator_traitsISG_E10value_typeET2_T3_PNSH_ISM_E10value_typeET4_T5_PSR_SS_PNS1_23onesweep_lookback_stateEbbT6_jjT7_P12ihipStream_tbENKUlT_T0_SG_SL_E_clIS9_SA_SB_SB_EEDaSZ_S10_SG_SL_EUlSZ_E_NS1_11comp_targetILNS1_3genE3ELNS1_11target_archE908ELNS1_3gpuE7ELNS1_3repE0EEENS1_47radix_sort_onesweep_sort_config_static_selectorELNS0_4arch9wavefront6targetE0EEEvSG_.num_named_barrier, 0
	.set _ZN7rocprim17ROCPRIM_400000_NS6detail17trampoline_kernelINS0_14default_configENS1_35radix_sort_onesweep_config_selectorIaNS0_10empty_typeEEEZZNS1_29radix_sort_onesweep_iterationIS3_Lb0EPKaPaPS5_SB_mNS0_19identity_decomposerENS1_16block_id_wrapperIjLb0EEEEE10hipError_tT1_PNSt15iterator_traitsISG_E10value_typeET2_T3_PNSH_ISM_E10value_typeET4_T5_PSR_SS_PNS1_23onesweep_lookback_stateEbbT6_jjT7_P12ihipStream_tbENKUlT_T0_SG_SL_E_clIS9_SA_SB_SB_EEDaSZ_S10_SG_SL_EUlSZ_E_NS1_11comp_targetILNS1_3genE3ELNS1_11target_archE908ELNS1_3gpuE7ELNS1_3repE0EEENS1_47radix_sort_onesweep_sort_config_static_selectorELNS0_4arch9wavefront6targetE0EEEvSG_.private_seg_size, 0
	.set _ZN7rocprim17ROCPRIM_400000_NS6detail17trampoline_kernelINS0_14default_configENS1_35radix_sort_onesweep_config_selectorIaNS0_10empty_typeEEEZZNS1_29radix_sort_onesweep_iterationIS3_Lb0EPKaPaPS5_SB_mNS0_19identity_decomposerENS1_16block_id_wrapperIjLb0EEEEE10hipError_tT1_PNSt15iterator_traitsISG_E10value_typeET2_T3_PNSH_ISM_E10value_typeET4_T5_PSR_SS_PNS1_23onesweep_lookback_stateEbbT6_jjT7_P12ihipStream_tbENKUlT_T0_SG_SL_E_clIS9_SA_SB_SB_EEDaSZ_S10_SG_SL_EUlSZ_E_NS1_11comp_targetILNS1_3genE3ELNS1_11target_archE908ELNS1_3gpuE7ELNS1_3repE0EEENS1_47radix_sort_onesweep_sort_config_static_selectorELNS0_4arch9wavefront6targetE0EEEvSG_.uses_vcc, 0
	.set _ZN7rocprim17ROCPRIM_400000_NS6detail17trampoline_kernelINS0_14default_configENS1_35radix_sort_onesweep_config_selectorIaNS0_10empty_typeEEEZZNS1_29radix_sort_onesweep_iterationIS3_Lb0EPKaPaPS5_SB_mNS0_19identity_decomposerENS1_16block_id_wrapperIjLb0EEEEE10hipError_tT1_PNSt15iterator_traitsISG_E10value_typeET2_T3_PNSH_ISM_E10value_typeET4_T5_PSR_SS_PNS1_23onesweep_lookback_stateEbbT6_jjT7_P12ihipStream_tbENKUlT_T0_SG_SL_E_clIS9_SA_SB_SB_EEDaSZ_S10_SG_SL_EUlSZ_E_NS1_11comp_targetILNS1_3genE3ELNS1_11target_archE908ELNS1_3gpuE7ELNS1_3repE0EEENS1_47radix_sort_onesweep_sort_config_static_selectorELNS0_4arch9wavefront6targetE0EEEvSG_.uses_flat_scratch, 0
	.set _ZN7rocprim17ROCPRIM_400000_NS6detail17trampoline_kernelINS0_14default_configENS1_35radix_sort_onesweep_config_selectorIaNS0_10empty_typeEEEZZNS1_29radix_sort_onesweep_iterationIS3_Lb0EPKaPaPS5_SB_mNS0_19identity_decomposerENS1_16block_id_wrapperIjLb0EEEEE10hipError_tT1_PNSt15iterator_traitsISG_E10value_typeET2_T3_PNSH_ISM_E10value_typeET4_T5_PSR_SS_PNS1_23onesweep_lookback_stateEbbT6_jjT7_P12ihipStream_tbENKUlT_T0_SG_SL_E_clIS9_SA_SB_SB_EEDaSZ_S10_SG_SL_EUlSZ_E_NS1_11comp_targetILNS1_3genE3ELNS1_11target_archE908ELNS1_3gpuE7ELNS1_3repE0EEENS1_47radix_sort_onesweep_sort_config_static_selectorELNS0_4arch9wavefront6targetE0EEEvSG_.has_dyn_sized_stack, 0
	.set _ZN7rocprim17ROCPRIM_400000_NS6detail17trampoline_kernelINS0_14default_configENS1_35radix_sort_onesweep_config_selectorIaNS0_10empty_typeEEEZZNS1_29radix_sort_onesweep_iterationIS3_Lb0EPKaPaPS5_SB_mNS0_19identity_decomposerENS1_16block_id_wrapperIjLb0EEEEE10hipError_tT1_PNSt15iterator_traitsISG_E10value_typeET2_T3_PNSH_ISM_E10value_typeET4_T5_PSR_SS_PNS1_23onesweep_lookback_stateEbbT6_jjT7_P12ihipStream_tbENKUlT_T0_SG_SL_E_clIS9_SA_SB_SB_EEDaSZ_S10_SG_SL_EUlSZ_E_NS1_11comp_targetILNS1_3genE3ELNS1_11target_archE908ELNS1_3gpuE7ELNS1_3repE0EEENS1_47radix_sort_onesweep_sort_config_static_selectorELNS0_4arch9wavefront6targetE0EEEvSG_.has_recursion, 0
	.set _ZN7rocprim17ROCPRIM_400000_NS6detail17trampoline_kernelINS0_14default_configENS1_35radix_sort_onesweep_config_selectorIaNS0_10empty_typeEEEZZNS1_29radix_sort_onesweep_iterationIS3_Lb0EPKaPaPS5_SB_mNS0_19identity_decomposerENS1_16block_id_wrapperIjLb0EEEEE10hipError_tT1_PNSt15iterator_traitsISG_E10value_typeET2_T3_PNSH_ISM_E10value_typeET4_T5_PSR_SS_PNS1_23onesweep_lookback_stateEbbT6_jjT7_P12ihipStream_tbENKUlT_T0_SG_SL_E_clIS9_SA_SB_SB_EEDaSZ_S10_SG_SL_EUlSZ_E_NS1_11comp_targetILNS1_3genE3ELNS1_11target_archE908ELNS1_3gpuE7ELNS1_3repE0EEENS1_47radix_sort_onesweep_sort_config_static_selectorELNS0_4arch9wavefront6targetE0EEEvSG_.has_indirect_call, 0
	.section	.AMDGPU.csdata,"",@progbits
; Kernel info:
; codeLenInByte = 0
; TotalNumSgprs: 0
; NumVgprs: 0
; ScratchSize: 0
; MemoryBound: 0
; FloatMode: 240
; IeeeMode: 1
; LDSByteSize: 0 bytes/workgroup (compile time only)
; SGPRBlocks: 0
; VGPRBlocks: 0
; NumSGPRsForWavesPerEU: 1
; NumVGPRsForWavesPerEU: 1
; NamedBarCnt: 0
; Occupancy: 16
; WaveLimiterHint : 0
; COMPUTE_PGM_RSRC2:SCRATCH_EN: 0
; COMPUTE_PGM_RSRC2:USER_SGPR: 2
; COMPUTE_PGM_RSRC2:TRAP_HANDLER: 0
; COMPUTE_PGM_RSRC2:TGID_X_EN: 1
; COMPUTE_PGM_RSRC2:TGID_Y_EN: 0
; COMPUTE_PGM_RSRC2:TGID_Z_EN: 0
; COMPUTE_PGM_RSRC2:TIDIG_COMP_CNT: 0
	.section	.text._ZN7rocprim17ROCPRIM_400000_NS6detail17trampoline_kernelINS0_14default_configENS1_35radix_sort_onesweep_config_selectorIaNS0_10empty_typeEEEZZNS1_29radix_sort_onesweep_iterationIS3_Lb0EPKaPaPS5_SB_mNS0_19identity_decomposerENS1_16block_id_wrapperIjLb0EEEEE10hipError_tT1_PNSt15iterator_traitsISG_E10value_typeET2_T3_PNSH_ISM_E10value_typeET4_T5_PSR_SS_PNS1_23onesweep_lookback_stateEbbT6_jjT7_P12ihipStream_tbENKUlT_T0_SG_SL_E_clIS9_SA_SB_SB_EEDaSZ_S10_SG_SL_EUlSZ_E_NS1_11comp_targetILNS1_3genE10ELNS1_11target_archE1201ELNS1_3gpuE5ELNS1_3repE0EEENS1_47radix_sort_onesweep_sort_config_static_selectorELNS0_4arch9wavefront6targetE0EEEvSG_,"axG",@progbits,_ZN7rocprim17ROCPRIM_400000_NS6detail17trampoline_kernelINS0_14default_configENS1_35radix_sort_onesweep_config_selectorIaNS0_10empty_typeEEEZZNS1_29radix_sort_onesweep_iterationIS3_Lb0EPKaPaPS5_SB_mNS0_19identity_decomposerENS1_16block_id_wrapperIjLb0EEEEE10hipError_tT1_PNSt15iterator_traitsISG_E10value_typeET2_T3_PNSH_ISM_E10value_typeET4_T5_PSR_SS_PNS1_23onesweep_lookback_stateEbbT6_jjT7_P12ihipStream_tbENKUlT_T0_SG_SL_E_clIS9_SA_SB_SB_EEDaSZ_S10_SG_SL_EUlSZ_E_NS1_11comp_targetILNS1_3genE10ELNS1_11target_archE1201ELNS1_3gpuE5ELNS1_3repE0EEENS1_47radix_sort_onesweep_sort_config_static_selectorELNS0_4arch9wavefront6targetE0EEEvSG_,comdat
	.protected	_ZN7rocprim17ROCPRIM_400000_NS6detail17trampoline_kernelINS0_14default_configENS1_35radix_sort_onesweep_config_selectorIaNS0_10empty_typeEEEZZNS1_29radix_sort_onesweep_iterationIS3_Lb0EPKaPaPS5_SB_mNS0_19identity_decomposerENS1_16block_id_wrapperIjLb0EEEEE10hipError_tT1_PNSt15iterator_traitsISG_E10value_typeET2_T3_PNSH_ISM_E10value_typeET4_T5_PSR_SS_PNS1_23onesweep_lookback_stateEbbT6_jjT7_P12ihipStream_tbENKUlT_T0_SG_SL_E_clIS9_SA_SB_SB_EEDaSZ_S10_SG_SL_EUlSZ_E_NS1_11comp_targetILNS1_3genE10ELNS1_11target_archE1201ELNS1_3gpuE5ELNS1_3repE0EEENS1_47radix_sort_onesweep_sort_config_static_selectorELNS0_4arch9wavefront6targetE0EEEvSG_ ; -- Begin function _ZN7rocprim17ROCPRIM_400000_NS6detail17trampoline_kernelINS0_14default_configENS1_35radix_sort_onesweep_config_selectorIaNS0_10empty_typeEEEZZNS1_29radix_sort_onesweep_iterationIS3_Lb0EPKaPaPS5_SB_mNS0_19identity_decomposerENS1_16block_id_wrapperIjLb0EEEEE10hipError_tT1_PNSt15iterator_traitsISG_E10value_typeET2_T3_PNSH_ISM_E10value_typeET4_T5_PSR_SS_PNS1_23onesweep_lookback_stateEbbT6_jjT7_P12ihipStream_tbENKUlT_T0_SG_SL_E_clIS9_SA_SB_SB_EEDaSZ_S10_SG_SL_EUlSZ_E_NS1_11comp_targetILNS1_3genE10ELNS1_11target_archE1201ELNS1_3gpuE5ELNS1_3repE0EEENS1_47radix_sort_onesweep_sort_config_static_selectorELNS0_4arch9wavefront6targetE0EEEvSG_
	.globl	_ZN7rocprim17ROCPRIM_400000_NS6detail17trampoline_kernelINS0_14default_configENS1_35radix_sort_onesweep_config_selectorIaNS0_10empty_typeEEEZZNS1_29radix_sort_onesweep_iterationIS3_Lb0EPKaPaPS5_SB_mNS0_19identity_decomposerENS1_16block_id_wrapperIjLb0EEEEE10hipError_tT1_PNSt15iterator_traitsISG_E10value_typeET2_T3_PNSH_ISM_E10value_typeET4_T5_PSR_SS_PNS1_23onesweep_lookback_stateEbbT6_jjT7_P12ihipStream_tbENKUlT_T0_SG_SL_E_clIS9_SA_SB_SB_EEDaSZ_S10_SG_SL_EUlSZ_E_NS1_11comp_targetILNS1_3genE10ELNS1_11target_archE1201ELNS1_3gpuE5ELNS1_3repE0EEENS1_47radix_sort_onesweep_sort_config_static_selectorELNS0_4arch9wavefront6targetE0EEEvSG_
	.p2align	8
	.type	_ZN7rocprim17ROCPRIM_400000_NS6detail17trampoline_kernelINS0_14default_configENS1_35radix_sort_onesweep_config_selectorIaNS0_10empty_typeEEEZZNS1_29radix_sort_onesweep_iterationIS3_Lb0EPKaPaPS5_SB_mNS0_19identity_decomposerENS1_16block_id_wrapperIjLb0EEEEE10hipError_tT1_PNSt15iterator_traitsISG_E10value_typeET2_T3_PNSH_ISM_E10value_typeET4_T5_PSR_SS_PNS1_23onesweep_lookback_stateEbbT6_jjT7_P12ihipStream_tbENKUlT_T0_SG_SL_E_clIS9_SA_SB_SB_EEDaSZ_S10_SG_SL_EUlSZ_E_NS1_11comp_targetILNS1_3genE10ELNS1_11target_archE1201ELNS1_3gpuE5ELNS1_3repE0EEENS1_47radix_sort_onesweep_sort_config_static_selectorELNS0_4arch9wavefront6targetE0EEEvSG_,@function
_ZN7rocprim17ROCPRIM_400000_NS6detail17trampoline_kernelINS0_14default_configENS1_35radix_sort_onesweep_config_selectorIaNS0_10empty_typeEEEZZNS1_29radix_sort_onesweep_iterationIS3_Lb0EPKaPaPS5_SB_mNS0_19identity_decomposerENS1_16block_id_wrapperIjLb0EEEEE10hipError_tT1_PNSt15iterator_traitsISG_E10value_typeET2_T3_PNSH_ISM_E10value_typeET4_T5_PSR_SS_PNS1_23onesweep_lookback_stateEbbT6_jjT7_P12ihipStream_tbENKUlT_T0_SG_SL_E_clIS9_SA_SB_SB_EEDaSZ_S10_SG_SL_EUlSZ_E_NS1_11comp_targetILNS1_3genE10ELNS1_11target_archE1201ELNS1_3gpuE5ELNS1_3repE0EEENS1_47radix_sort_onesweep_sort_config_static_selectorELNS0_4arch9wavefront6targetE0EEEvSG_: ; @_ZN7rocprim17ROCPRIM_400000_NS6detail17trampoline_kernelINS0_14default_configENS1_35radix_sort_onesweep_config_selectorIaNS0_10empty_typeEEEZZNS1_29radix_sort_onesweep_iterationIS3_Lb0EPKaPaPS5_SB_mNS0_19identity_decomposerENS1_16block_id_wrapperIjLb0EEEEE10hipError_tT1_PNSt15iterator_traitsISG_E10value_typeET2_T3_PNSH_ISM_E10value_typeET4_T5_PSR_SS_PNS1_23onesweep_lookback_stateEbbT6_jjT7_P12ihipStream_tbENKUlT_T0_SG_SL_E_clIS9_SA_SB_SB_EEDaSZ_S10_SG_SL_EUlSZ_E_NS1_11comp_targetILNS1_3genE10ELNS1_11target_archE1201ELNS1_3gpuE5ELNS1_3repE0EEENS1_47radix_sort_onesweep_sort_config_static_selectorELNS0_4arch9wavefront6targetE0EEEvSG_
; %bb.0:
	.section	.rodata,"a",@progbits
	.p2align	6, 0x0
	.amdhsa_kernel _ZN7rocprim17ROCPRIM_400000_NS6detail17trampoline_kernelINS0_14default_configENS1_35radix_sort_onesweep_config_selectorIaNS0_10empty_typeEEEZZNS1_29radix_sort_onesweep_iterationIS3_Lb0EPKaPaPS5_SB_mNS0_19identity_decomposerENS1_16block_id_wrapperIjLb0EEEEE10hipError_tT1_PNSt15iterator_traitsISG_E10value_typeET2_T3_PNSH_ISM_E10value_typeET4_T5_PSR_SS_PNS1_23onesweep_lookback_stateEbbT6_jjT7_P12ihipStream_tbENKUlT_T0_SG_SL_E_clIS9_SA_SB_SB_EEDaSZ_S10_SG_SL_EUlSZ_E_NS1_11comp_targetILNS1_3genE10ELNS1_11target_archE1201ELNS1_3gpuE5ELNS1_3repE0EEENS1_47radix_sort_onesweep_sort_config_static_selectorELNS0_4arch9wavefront6targetE0EEEvSG_
		.amdhsa_group_segment_fixed_size 0
		.amdhsa_private_segment_fixed_size 0
		.amdhsa_kernarg_size 88
		.amdhsa_user_sgpr_count 2
		.amdhsa_user_sgpr_dispatch_ptr 0
		.amdhsa_user_sgpr_queue_ptr 0
		.amdhsa_user_sgpr_kernarg_segment_ptr 1
		.amdhsa_user_sgpr_dispatch_id 0
		.amdhsa_user_sgpr_kernarg_preload_length 0
		.amdhsa_user_sgpr_kernarg_preload_offset 0
		.amdhsa_user_sgpr_private_segment_size 0
		.amdhsa_wavefront_size32 1
		.amdhsa_uses_dynamic_stack 0
		.amdhsa_enable_private_segment 0
		.amdhsa_system_sgpr_workgroup_id_x 1
		.amdhsa_system_sgpr_workgroup_id_y 0
		.amdhsa_system_sgpr_workgroup_id_z 0
		.amdhsa_system_sgpr_workgroup_info 0
		.amdhsa_system_vgpr_workitem_id 0
		.amdhsa_next_free_vgpr 1
		.amdhsa_next_free_sgpr 1
		.amdhsa_named_barrier_count 0
		.amdhsa_reserve_vcc 0
		.amdhsa_float_round_mode_32 0
		.amdhsa_float_round_mode_16_64 0
		.amdhsa_float_denorm_mode_32 3
		.amdhsa_float_denorm_mode_16_64 3
		.amdhsa_fp16_overflow 0
		.amdhsa_memory_ordered 1
		.amdhsa_forward_progress 1
		.amdhsa_inst_pref_size 0
		.amdhsa_round_robin_scheduling 0
		.amdhsa_exception_fp_ieee_invalid_op 0
		.amdhsa_exception_fp_denorm_src 0
		.amdhsa_exception_fp_ieee_div_zero 0
		.amdhsa_exception_fp_ieee_overflow 0
		.amdhsa_exception_fp_ieee_underflow 0
		.amdhsa_exception_fp_ieee_inexact 0
		.amdhsa_exception_int_div_zero 0
	.end_amdhsa_kernel
	.section	.text._ZN7rocprim17ROCPRIM_400000_NS6detail17trampoline_kernelINS0_14default_configENS1_35radix_sort_onesweep_config_selectorIaNS0_10empty_typeEEEZZNS1_29radix_sort_onesweep_iterationIS3_Lb0EPKaPaPS5_SB_mNS0_19identity_decomposerENS1_16block_id_wrapperIjLb0EEEEE10hipError_tT1_PNSt15iterator_traitsISG_E10value_typeET2_T3_PNSH_ISM_E10value_typeET4_T5_PSR_SS_PNS1_23onesweep_lookback_stateEbbT6_jjT7_P12ihipStream_tbENKUlT_T0_SG_SL_E_clIS9_SA_SB_SB_EEDaSZ_S10_SG_SL_EUlSZ_E_NS1_11comp_targetILNS1_3genE10ELNS1_11target_archE1201ELNS1_3gpuE5ELNS1_3repE0EEENS1_47radix_sort_onesweep_sort_config_static_selectorELNS0_4arch9wavefront6targetE0EEEvSG_,"axG",@progbits,_ZN7rocprim17ROCPRIM_400000_NS6detail17trampoline_kernelINS0_14default_configENS1_35radix_sort_onesweep_config_selectorIaNS0_10empty_typeEEEZZNS1_29radix_sort_onesweep_iterationIS3_Lb0EPKaPaPS5_SB_mNS0_19identity_decomposerENS1_16block_id_wrapperIjLb0EEEEE10hipError_tT1_PNSt15iterator_traitsISG_E10value_typeET2_T3_PNSH_ISM_E10value_typeET4_T5_PSR_SS_PNS1_23onesweep_lookback_stateEbbT6_jjT7_P12ihipStream_tbENKUlT_T0_SG_SL_E_clIS9_SA_SB_SB_EEDaSZ_S10_SG_SL_EUlSZ_E_NS1_11comp_targetILNS1_3genE10ELNS1_11target_archE1201ELNS1_3gpuE5ELNS1_3repE0EEENS1_47radix_sort_onesweep_sort_config_static_selectorELNS0_4arch9wavefront6targetE0EEEvSG_,comdat
.Lfunc_end490:
	.size	_ZN7rocprim17ROCPRIM_400000_NS6detail17trampoline_kernelINS0_14default_configENS1_35radix_sort_onesweep_config_selectorIaNS0_10empty_typeEEEZZNS1_29radix_sort_onesweep_iterationIS3_Lb0EPKaPaPS5_SB_mNS0_19identity_decomposerENS1_16block_id_wrapperIjLb0EEEEE10hipError_tT1_PNSt15iterator_traitsISG_E10value_typeET2_T3_PNSH_ISM_E10value_typeET4_T5_PSR_SS_PNS1_23onesweep_lookback_stateEbbT6_jjT7_P12ihipStream_tbENKUlT_T0_SG_SL_E_clIS9_SA_SB_SB_EEDaSZ_S10_SG_SL_EUlSZ_E_NS1_11comp_targetILNS1_3genE10ELNS1_11target_archE1201ELNS1_3gpuE5ELNS1_3repE0EEENS1_47radix_sort_onesweep_sort_config_static_selectorELNS0_4arch9wavefront6targetE0EEEvSG_, .Lfunc_end490-_ZN7rocprim17ROCPRIM_400000_NS6detail17trampoline_kernelINS0_14default_configENS1_35radix_sort_onesweep_config_selectorIaNS0_10empty_typeEEEZZNS1_29radix_sort_onesweep_iterationIS3_Lb0EPKaPaPS5_SB_mNS0_19identity_decomposerENS1_16block_id_wrapperIjLb0EEEEE10hipError_tT1_PNSt15iterator_traitsISG_E10value_typeET2_T3_PNSH_ISM_E10value_typeET4_T5_PSR_SS_PNS1_23onesweep_lookback_stateEbbT6_jjT7_P12ihipStream_tbENKUlT_T0_SG_SL_E_clIS9_SA_SB_SB_EEDaSZ_S10_SG_SL_EUlSZ_E_NS1_11comp_targetILNS1_3genE10ELNS1_11target_archE1201ELNS1_3gpuE5ELNS1_3repE0EEENS1_47radix_sort_onesweep_sort_config_static_selectorELNS0_4arch9wavefront6targetE0EEEvSG_
                                        ; -- End function
	.set _ZN7rocprim17ROCPRIM_400000_NS6detail17trampoline_kernelINS0_14default_configENS1_35radix_sort_onesweep_config_selectorIaNS0_10empty_typeEEEZZNS1_29radix_sort_onesweep_iterationIS3_Lb0EPKaPaPS5_SB_mNS0_19identity_decomposerENS1_16block_id_wrapperIjLb0EEEEE10hipError_tT1_PNSt15iterator_traitsISG_E10value_typeET2_T3_PNSH_ISM_E10value_typeET4_T5_PSR_SS_PNS1_23onesweep_lookback_stateEbbT6_jjT7_P12ihipStream_tbENKUlT_T0_SG_SL_E_clIS9_SA_SB_SB_EEDaSZ_S10_SG_SL_EUlSZ_E_NS1_11comp_targetILNS1_3genE10ELNS1_11target_archE1201ELNS1_3gpuE5ELNS1_3repE0EEENS1_47radix_sort_onesweep_sort_config_static_selectorELNS0_4arch9wavefront6targetE0EEEvSG_.num_vgpr, 0
	.set _ZN7rocprim17ROCPRIM_400000_NS6detail17trampoline_kernelINS0_14default_configENS1_35radix_sort_onesweep_config_selectorIaNS0_10empty_typeEEEZZNS1_29radix_sort_onesweep_iterationIS3_Lb0EPKaPaPS5_SB_mNS0_19identity_decomposerENS1_16block_id_wrapperIjLb0EEEEE10hipError_tT1_PNSt15iterator_traitsISG_E10value_typeET2_T3_PNSH_ISM_E10value_typeET4_T5_PSR_SS_PNS1_23onesweep_lookback_stateEbbT6_jjT7_P12ihipStream_tbENKUlT_T0_SG_SL_E_clIS9_SA_SB_SB_EEDaSZ_S10_SG_SL_EUlSZ_E_NS1_11comp_targetILNS1_3genE10ELNS1_11target_archE1201ELNS1_3gpuE5ELNS1_3repE0EEENS1_47radix_sort_onesweep_sort_config_static_selectorELNS0_4arch9wavefront6targetE0EEEvSG_.num_agpr, 0
	.set _ZN7rocprim17ROCPRIM_400000_NS6detail17trampoline_kernelINS0_14default_configENS1_35radix_sort_onesweep_config_selectorIaNS0_10empty_typeEEEZZNS1_29radix_sort_onesweep_iterationIS3_Lb0EPKaPaPS5_SB_mNS0_19identity_decomposerENS1_16block_id_wrapperIjLb0EEEEE10hipError_tT1_PNSt15iterator_traitsISG_E10value_typeET2_T3_PNSH_ISM_E10value_typeET4_T5_PSR_SS_PNS1_23onesweep_lookback_stateEbbT6_jjT7_P12ihipStream_tbENKUlT_T0_SG_SL_E_clIS9_SA_SB_SB_EEDaSZ_S10_SG_SL_EUlSZ_E_NS1_11comp_targetILNS1_3genE10ELNS1_11target_archE1201ELNS1_3gpuE5ELNS1_3repE0EEENS1_47radix_sort_onesweep_sort_config_static_selectorELNS0_4arch9wavefront6targetE0EEEvSG_.numbered_sgpr, 0
	.set _ZN7rocprim17ROCPRIM_400000_NS6detail17trampoline_kernelINS0_14default_configENS1_35radix_sort_onesweep_config_selectorIaNS0_10empty_typeEEEZZNS1_29radix_sort_onesweep_iterationIS3_Lb0EPKaPaPS5_SB_mNS0_19identity_decomposerENS1_16block_id_wrapperIjLb0EEEEE10hipError_tT1_PNSt15iterator_traitsISG_E10value_typeET2_T3_PNSH_ISM_E10value_typeET4_T5_PSR_SS_PNS1_23onesweep_lookback_stateEbbT6_jjT7_P12ihipStream_tbENKUlT_T0_SG_SL_E_clIS9_SA_SB_SB_EEDaSZ_S10_SG_SL_EUlSZ_E_NS1_11comp_targetILNS1_3genE10ELNS1_11target_archE1201ELNS1_3gpuE5ELNS1_3repE0EEENS1_47radix_sort_onesweep_sort_config_static_selectorELNS0_4arch9wavefront6targetE0EEEvSG_.num_named_barrier, 0
	.set _ZN7rocprim17ROCPRIM_400000_NS6detail17trampoline_kernelINS0_14default_configENS1_35radix_sort_onesweep_config_selectorIaNS0_10empty_typeEEEZZNS1_29radix_sort_onesweep_iterationIS3_Lb0EPKaPaPS5_SB_mNS0_19identity_decomposerENS1_16block_id_wrapperIjLb0EEEEE10hipError_tT1_PNSt15iterator_traitsISG_E10value_typeET2_T3_PNSH_ISM_E10value_typeET4_T5_PSR_SS_PNS1_23onesweep_lookback_stateEbbT6_jjT7_P12ihipStream_tbENKUlT_T0_SG_SL_E_clIS9_SA_SB_SB_EEDaSZ_S10_SG_SL_EUlSZ_E_NS1_11comp_targetILNS1_3genE10ELNS1_11target_archE1201ELNS1_3gpuE5ELNS1_3repE0EEENS1_47radix_sort_onesweep_sort_config_static_selectorELNS0_4arch9wavefront6targetE0EEEvSG_.private_seg_size, 0
	.set _ZN7rocprim17ROCPRIM_400000_NS6detail17trampoline_kernelINS0_14default_configENS1_35radix_sort_onesweep_config_selectorIaNS0_10empty_typeEEEZZNS1_29radix_sort_onesweep_iterationIS3_Lb0EPKaPaPS5_SB_mNS0_19identity_decomposerENS1_16block_id_wrapperIjLb0EEEEE10hipError_tT1_PNSt15iterator_traitsISG_E10value_typeET2_T3_PNSH_ISM_E10value_typeET4_T5_PSR_SS_PNS1_23onesweep_lookback_stateEbbT6_jjT7_P12ihipStream_tbENKUlT_T0_SG_SL_E_clIS9_SA_SB_SB_EEDaSZ_S10_SG_SL_EUlSZ_E_NS1_11comp_targetILNS1_3genE10ELNS1_11target_archE1201ELNS1_3gpuE5ELNS1_3repE0EEENS1_47radix_sort_onesweep_sort_config_static_selectorELNS0_4arch9wavefront6targetE0EEEvSG_.uses_vcc, 0
	.set _ZN7rocprim17ROCPRIM_400000_NS6detail17trampoline_kernelINS0_14default_configENS1_35radix_sort_onesweep_config_selectorIaNS0_10empty_typeEEEZZNS1_29radix_sort_onesweep_iterationIS3_Lb0EPKaPaPS5_SB_mNS0_19identity_decomposerENS1_16block_id_wrapperIjLb0EEEEE10hipError_tT1_PNSt15iterator_traitsISG_E10value_typeET2_T3_PNSH_ISM_E10value_typeET4_T5_PSR_SS_PNS1_23onesweep_lookback_stateEbbT6_jjT7_P12ihipStream_tbENKUlT_T0_SG_SL_E_clIS9_SA_SB_SB_EEDaSZ_S10_SG_SL_EUlSZ_E_NS1_11comp_targetILNS1_3genE10ELNS1_11target_archE1201ELNS1_3gpuE5ELNS1_3repE0EEENS1_47radix_sort_onesweep_sort_config_static_selectorELNS0_4arch9wavefront6targetE0EEEvSG_.uses_flat_scratch, 0
	.set _ZN7rocprim17ROCPRIM_400000_NS6detail17trampoline_kernelINS0_14default_configENS1_35radix_sort_onesweep_config_selectorIaNS0_10empty_typeEEEZZNS1_29radix_sort_onesweep_iterationIS3_Lb0EPKaPaPS5_SB_mNS0_19identity_decomposerENS1_16block_id_wrapperIjLb0EEEEE10hipError_tT1_PNSt15iterator_traitsISG_E10value_typeET2_T3_PNSH_ISM_E10value_typeET4_T5_PSR_SS_PNS1_23onesweep_lookback_stateEbbT6_jjT7_P12ihipStream_tbENKUlT_T0_SG_SL_E_clIS9_SA_SB_SB_EEDaSZ_S10_SG_SL_EUlSZ_E_NS1_11comp_targetILNS1_3genE10ELNS1_11target_archE1201ELNS1_3gpuE5ELNS1_3repE0EEENS1_47radix_sort_onesweep_sort_config_static_selectorELNS0_4arch9wavefront6targetE0EEEvSG_.has_dyn_sized_stack, 0
	.set _ZN7rocprim17ROCPRIM_400000_NS6detail17trampoline_kernelINS0_14default_configENS1_35radix_sort_onesweep_config_selectorIaNS0_10empty_typeEEEZZNS1_29radix_sort_onesweep_iterationIS3_Lb0EPKaPaPS5_SB_mNS0_19identity_decomposerENS1_16block_id_wrapperIjLb0EEEEE10hipError_tT1_PNSt15iterator_traitsISG_E10value_typeET2_T3_PNSH_ISM_E10value_typeET4_T5_PSR_SS_PNS1_23onesweep_lookback_stateEbbT6_jjT7_P12ihipStream_tbENKUlT_T0_SG_SL_E_clIS9_SA_SB_SB_EEDaSZ_S10_SG_SL_EUlSZ_E_NS1_11comp_targetILNS1_3genE10ELNS1_11target_archE1201ELNS1_3gpuE5ELNS1_3repE0EEENS1_47radix_sort_onesweep_sort_config_static_selectorELNS0_4arch9wavefront6targetE0EEEvSG_.has_recursion, 0
	.set _ZN7rocprim17ROCPRIM_400000_NS6detail17trampoline_kernelINS0_14default_configENS1_35radix_sort_onesweep_config_selectorIaNS0_10empty_typeEEEZZNS1_29radix_sort_onesweep_iterationIS3_Lb0EPKaPaPS5_SB_mNS0_19identity_decomposerENS1_16block_id_wrapperIjLb0EEEEE10hipError_tT1_PNSt15iterator_traitsISG_E10value_typeET2_T3_PNSH_ISM_E10value_typeET4_T5_PSR_SS_PNS1_23onesweep_lookback_stateEbbT6_jjT7_P12ihipStream_tbENKUlT_T0_SG_SL_E_clIS9_SA_SB_SB_EEDaSZ_S10_SG_SL_EUlSZ_E_NS1_11comp_targetILNS1_3genE10ELNS1_11target_archE1201ELNS1_3gpuE5ELNS1_3repE0EEENS1_47radix_sort_onesweep_sort_config_static_selectorELNS0_4arch9wavefront6targetE0EEEvSG_.has_indirect_call, 0
	.section	.AMDGPU.csdata,"",@progbits
; Kernel info:
; codeLenInByte = 0
; TotalNumSgprs: 0
; NumVgprs: 0
; ScratchSize: 0
; MemoryBound: 0
; FloatMode: 240
; IeeeMode: 1
; LDSByteSize: 0 bytes/workgroup (compile time only)
; SGPRBlocks: 0
; VGPRBlocks: 0
; NumSGPRsForWavesPerEU: 1
; NumVGPRsForWavesPerEU: 1
; NamedBarCnt: 0
; Occupancy: 16
; WaveLimiterHint : 0
; COMPUTE_PGM_RSRC2:SCRATCH_EN: 0
; COMPUTE_PGM_RSRC2:USER_SGPR: 2
; COMPUTE_PGM_RSRC2:TRAP_HANDLER: 0
; COMPUTE_PGM_RSRC2:TGID_X_EN: 1
; COMPUTE_PGM_RSRC2:TGID_Y_EN: 0
; COMPUTE_PGM_RSRC2:TGID_Z_EN: 0
; COMPUTE_PGM_RSRC2:TIDIG_COMP_CNT: 0
	.section	.text._ZN7rocprim17ROCPRIM_400000_NS6detail17trampoline_kernelINS0_14default_configENS1_35radix_sort_onesweep_config_selectorIaNS0_10empty_typeEEEZZNS1_29radix_sort_onesweep_iterationIS3_Lb0EPKaPaPS5_SB_mNS0_19identity_decomposerENS1_16block_id_wrapperIjLb0EEEEE10hipError_tT1_PNSt15iterator_traitsISG_E10value_typeET2_T3_PNSH_ISM_E10value_typeET4_T5_PSR_SS_PNS1_23onesweep_lookback_stateEbbT6_jjT7_P12ihipStream_tbENKUlT_T0_SG_SL_E_clIS9_SA_SB_SB_EEDaSZ_S10_SG_SL_EUlSZ_E_NS1_11comp_targetILNS1_3genE9ELNS1_11target_archE1100ELNS1_3gpuE3ELNS1_3repE0EEENS1_47radix_sort_onesweep_sort_config_static_selectorELNS0_4arch9wavefront6targetE0EEEvSG_,"axG",@progbits,_ZN7rocprim17ROCPRIM_400000_NS6detail17trampoline_kernelINS0_14default_configENS1_35radix_sort_onesweep_config_selectorIaNS0_10empty_typeEEEZZNS1_29radix_sort_onesweep_iterationIS3_Lb0EPKaPaPS5_SB_mNS0_19identity_decomposerENS1_16block_id_wrapperIjLb0EEEEE10hipError_tT1_PNSt15iterator_traitsISG_E10value_typeET2_T3_PNSH_ISM_E10value_typeET4_T5_PSR_SS_PNS1_23onesweep_lookback_stateEbbT6_jjT7_P12ihipStream_tbENKUlT_T0_SG_SL_E_clIS9_SA_SB_SB_EEDaSZ_S10_SG_SL_EUlSZ_E_NS1_11comp_targetILNS1_3genE9ELNS1_11target_archE1100ELNS1_3gpuE3ELNS1_3repE0EEENS1_47radix_sort_onesweep_sort_config_static_selectorELNS0_4arch9wavefront6targetE0EEEvSG_,comdat
	.protected	_ZN7rocprim17ROCPRIM_400000_NS6detail17trampoline_kernelINS0_14default_configENS1_35radix_sort_onesweep_config_selectorIaNS0_10empty_typeEEEZZNS1_29radix_sort_onesweep_iterationIS3_Lb0EPKaPaPS5_SB_mNS0_19identity_decomposerENS1_16block_id_wrapperIjLb0EEEEE10hipError_tT1_PNSt15iterator_traitsISG_E10value_typeET2_T3_PNSH_ISM_E10value_typeET4_T5_PSR_SS_PNS1_23onesweep_lookback_stateEbbT6_jjT7_P12ihipStream_tbENKUlT_T0_SG_SL_E_clIS9_SA_SB_SB_EEDaSZ_S10_SG_SL_EUlSZ_E_NS1_11comp_targetILNS1_3genE9ELNS1_11target_archE1100ELNS1_3gpuE3ELNS1_3repE0EEENS1_47radix_sort_onesweep_sort_config_static_selectorELNS0_4arch9wavefront6targetE0EEEvSG_ ; -- Begin function _ZN7rocprim17ROCPRIM_400000_NS6detail17trampoline_kernelINS0_14default_configENS1_35radix_sort_onesweep_config_selectorIaNS0_10empty_typeEEEZZNS1_29radix_sort_onesweep_iterationIS3_Lb0EPKaPaPS5_SB_mNS0_19identity_decomposerENS1_16block_id_wrapperIjLb0EEEEE10hipError_tT1_PNSt15iterator_traitsISG_E10value_typeET2_T3_PNSH_ISM_E10value_typeET4_T5_PSR_SS_PNS1_23onesweep_lookback_stateEbbT6_jjT7_P12ihipStream_tbENKUlT_T0_SG_SL_E_clIS9_SA_SB_SB_EEDaSZ_S10_SG_SL_EUlSZ_E_NS1_11comp_targetILNS1_3genE9ELNS1_11target_archE1100ELNS1_3gpuE3ELNS1_3repE0EEENS1_47radix_sort_onesweep_sort_config_static_selectorELNS0_4arch9wavefront6targetE0EEEvSG_
	.globl	_ZN7rocprim17ROCPRIM_400000_NS6detail17trampoline_kernelINS0_14default_configENS1_35radix_sort_onesweep_config_selectorIaNS0_10empty_typeEEEZZNS1_29radix_sort_onesweep_iterationIS3_Lb0EPKaPaPS5_SB_mNS0_19identity_decomposerENS1_16block_id_wrapperIjLb0EEEEE10hipError_tT1_PNSt15iterator_traitsISG_E10value_typeET2_T3_PNSH_ISM_E10value_typeET4_T5_PSR_SS_PNS1_23onesweep_lookback_stateEbbT6_jjT7_P12ihipStream_tbENKUlT_T0_SG_SL_E_clIS9_SA_SB_SB_EEDaSZ_S10_SG_SL_EUlSZ_E_NS1_11comp_targetILNS1_3genE9ELNS1_11target_archE1100ELNS1_3gpuE3ELNS1_3repE0EEENS1_47radix_sort_onesweep_sort_config_static_selectorELNS0_4arch9wavefront6targetE0EEEvSG_
	.p2align	8
	.type	_ZN7rocprim17ROCPRIM_400000_NS6detail17trampoline_kernelINS0_14default_configENS1_35radix_sort_onesweep_config_selectorIaNS0_10empty_typeEEEZZNS1_29radix_sort_onesweep_iterationIS3_Lb0EPKaPaPS5_SB_mNS0_19identity_decomposerENS1_16block_id_wrapperIjLb0EEEEE10hipError_tT1_PNSt15iterator_traitsISG_E10value_typeET2_T3_PNSH_ISM_E10value_typeET4_T5_PSR_SS_PNS1_23onesweep_lookback_stateEbbT6_jjT7_P12ihipStream_tbENKUlT_T0_SG_SL_E_clIS9_SA_SB_SB_EEDaSZ_S10_SG_SL_EUlSZ_E_NS1_11comp_targetILNS1_3genE9ELNS1_11target_archE1100ELNS1_3gpuE3ELNS1_3repE0EEENS1_47radix_sort_onesweep_sort_config_static_selectorELNS0_4arch9wavefront6targetE0EEEvSG_,@function
_ZN7rocprim17ROCPRIM_400000_NS6detail17trampoline_kernelINS0_14default_configENS1_35radix_sort_onesweep_config_selectorIaNS0_10empty_typeEEEZZNS1_29radix_sort_onesweep_iterationIS3_Lb0EPKaPaPS5_SB_mNS0_19identity_decomposerENS1_16block_id_wrapperIjLb0EEEEE10hipError_tT1_PNSt15iterator_traitsISG_E10value_typeET2_T3_PNSH_ISM_E10value_typeET4_T5_PSR_SS_PNS1_23onesweep_lookback_stateEbbT6_jjT7_P12ihipStream_tbENKUlT_T0_SG_SL_E_clIS9_SA_SB_SB_EEDaSZ_S10_SG_SL_EUlSZ_E_NS1_11comp_targetILNS1_3genE9ELNS1_11target_archE1100ELNS1_3gpuE3ELNS1_3repE0EEENS1_47radix_sort_onesweep_sort_config_static_selectorELNS0_4arch9wavefront6targetE0EEEvSG_: ; @_ZN7rocprim17ROCPRIM_400000_NS6detail17trampoline_kernelINS0_14default_configENS1_35radix_sort_onesweep_config_selectorIaNS0_10empty_typeEEEZZNS1_29radix_sort_onesweep_iterationIS3_Lb0EPKaPaPS5_SB_mNS0_19identity_decomposerENS1_16block_id_wrapperIjLb0EEEEE10hipError_tT1_PNSt15iterator_traitsISG_E10value_typeET2_T3_PNSH_ISM_E10value_typeET4_T5_PSR_SS_PNS1_23onesweep_lookback_stateEbbT6_jjT7_P12ihipStream_tbENKUlT_T0_SG_SL_E_clIS9_SA_SB_SB_EEDaSZ_S10_SG_SL_EUlSZ_E_NS1_11comp_targetILNS1_3genE9ELNS1_11target_archE1100ELNS1_3gpuE3ELNS1_3repE0EEENS1_47radix_sort_onesweep_sort_config_static_selectorELNS0_4arch9wavefront6targetE0EEEvSG_
; %bb.0:
	.section	.rodata,"a",@progbits
	.p2align	6, 0x0
	.amdhsa_kernel _ZN7rocprim17ROCPRIM_400000_NS6detail17trampoline_kernelINS0_14default_configENS1_35radix_sort_onesweep_config_selectorIaNS0_10empty_typeEEEZZNS1_29radix_sort_onesweep_iterationIS3_Lb0EPKaPaPS5_SB_mNS0_19identity_decomposerENS1_16block_id_wrapperIjLb0EEEEE10hipError_tT1_PNSt15iterator_traitsISG_E10value_typeET2_T3_PNSH_ISM_E10value_typeET4_T5_PSR_SS_PNS1_23onesweep_lookback_stateEbbT6_jjT7_P12ihipStream_tbENKUlT_T0_SG_SL_E_clIS9_SA_SB_SB_EEDaSZ_S10_SG_SL_EUlSZ_E_NS1_11comp_targetILNS1_3genE9ELNS1_11target_archE1100ELNS1_3gpuE3ELNS1_3repE0EEENS1_47radix_sort_onesweep_sort_config_static_selectorELNS0_4arch9wavefront6targetE0EEEvSG_
		.amdhsa_group_segment_fixed_size 0
		.amdhsa_private_segment_fixed_size 0
		.amdhsa_kernarg_size 88
		.amdhsa_user_sgpr_count 2
		.amdhsa_user_sgpr_dispatch_ptr 0
		.amdhsa_user_sgpr_queue_ptr 0
		.amdhsa_user_sgpr_kernarg_segment_ptr 1
		.amdhsa_user_sgpr_dispatch_id 0
		.amdhsa_user_sgpr_kernarg_preload_length 0
		.amdhsa_user_sgpr_kernarg_preload_offset 0
		.amdhsa_user_sgpr_private_segment_size 0
		.amdhsa_wavefront_size32 1
		.amdhsa_uses_dynamic_stack 0
		.amdhsa_enable_private_segment 0
		.amdhsa_system_sgpr_workgroup_id_x 1
		.amdhsa_system_sgpr_workgroup_id_y 0
		.amdhsa_system_sgpr_workgroup_id_z 0
		.amdhsa_system_sgpr_workgroup_info 0
		.amdhsa_system_vgpr_workitem_id 0
		.amdhsa_next_free_vgpr 1
		.amdhsa_next_free_sgpr 1
		.amdhsa_named_barrier_count 0
		.amdhsa_reserve_vcc 0
		.amdhsa_float_round_mode_32 0
		.amdhsa_float_round_mode_16_64 0
		.amdhsa_float_denorm_mode_32 3
		.amdhsa_float_denorm_mode_16_64 3
		.amdhsa_fp16_overflow 0
		.amdhsa_memory_ordered 1
		.amdhsa_forward_progress 1
		.amdhsa_inst_pref_size 0
		.amdhsa_round_robin_scheduling 0
		.amdhsa_exception_fp_ieee_invalid_op 0
		.amdhsa_exception_fp_denorm_src 0
		.amdhsa_exception_fp_ieee_div_zero 0
		.amdhsa_exception_fp_ieee_overflow 0
		.amdhsa_exception_fp_ieee_underflow 0
		.amdhsa_exception_fp_ieee_inexact 0
		.amdhsa_exception_int_div_zero 0
	.end_amdhsa_kernel
	.section	.text._ZN7rocprim17ROCPRIM_400000_NS6detail17trampoline_kernelINS0_14default_configENS1_35radix_sort_onesweep_config_selectorIaNS0_10empty_typeEEEZZNS1_29radix_sort_onesweep_iterationIS3_Lb0EPKaPaPS5_SB_mNS0_19identity_decomposerENS1_16block_id_wrapperIjLb0EEEEE10hipError_tT1_PNSt15iterator_traitsISG_E10value_typeET2_T3_PNSH_ISM_E10value_typeET4_T5_PSR_SS_PNS1_23onesweep_lookback_stateEbbT6_jjT7_P12ihipStream_tbENKUlT_T0_SG_SL_E_clIS9_SA_SB_SB_EEDaSZ_S10_SG_SL_EUlSZ_E_NS1_11comp_targetILNS1_3genE9ELNS1_11target_archE1100ELNS1_3gpuE3ELNS1_3repE0EEENS1_47radix_sort_onesweep_sort_config_static_selectorELNS0_4arch9wavefront6targetE0EEEvSG_,"axG",@progbits,_ZN7rocprim17ROCPRIM_400000_NS6detail17trampoline_kernelINS0_14default_configENS1_35radix_sort_onesweep_config_selectorIaNS0_10empty_typeEEEZZNS1_29radix_sort_onesweep_iterationIS3_Lb0EPKaPaPS5_SB_mNS0_19identity_decomposerENS1_16block_id_wrapperIjLb0EEEEE10hipError_tT1_PNSt15iterator_traitsISG_E10value_typeET2_T3_PNSH_ISM_E10value_typeET4_T5_PSR_SS_PNS1_23onesweep_lookback_stateEbbT6_jjT7_P12ihipStream_tbENKUlT_T0_SG_SL_E_clIS9_SA_SB_SB_EEDaSZ_S10_SG_SL_EUlSZ_E_NS1_11comp_targetILNS1_3genE9ELNS1_11target_archE1100ELNS1_3gpuE3ELNS1_3repE0EEENS1_47radix_sort_onesweep_sort_config_static_selectorELNS0_4arch9wavefront6targetE0EEEvSG_,comdat
.Lfunc_end491:
	.size	_ZN7rocprim17ROCPRIM_400000_NS6detail17trampoline_kernelINS0_14default_configENS1_35radix_sort_onesweep_config_selectorIaNS0_10empty_typeEEEZZNS1_29radix_sort_onesweep_iterationIS3_Lb0EPKaPaPS5_SB_mNS0_19identity_decomposerENS1_16block_id_wrapperIjLb0EEEEE10hipError_tT1_PNSt15iterator_traitsISG_E10value_typeET2_T3_PNSH_ISM_E10value_typeET4_T5_PSR_SS_PNS1_23onesweep_lookback_stateEbbT6_jjT7_P12ihipStream_tbENKUlT_T0_SG_SL_E_clIS9_SA_SB_SB_EEDaSZ_S10_SG_SL_EUlSZ_E_NS1_11comp_targetILNS1_3genE9ELNS1_11target_archE1100ELNS1_3gpuE3ELNS1_3repE0EEENS1_47radix_sort_onesweep_sort_config_static_selectorELNS0_4arch9wavefront6targetE0EEEvSG_, .Lfunc_end491-_ZN7rocprim17ROCPRIM_400000_NS6detail17trampoline_kernelINS0_14default_configENS1_35radix_sort_onesweep_config_selectorIaNS0_10empty_typeEEEZZNS1_29radix_sort_onesweep_iterationIS3_Lb0EPKaPaPS5_SB_mNS0_19identity_decomposerENS1_16block_id_wrapperIjLb0EEEEE10hipError_tT1_PNSt15iterator_traitsISG_E10value_typeET2_T3_PNSH_ISM_E10value_typeET4_T5_PSR_SS_PNS1_23onesweep_lookback_stateEbbT6_jjT7_P12ihipStream_tbENKUlT_T0_SG_SL_E_clIS9_SA_SB_SB_EEDaSZ_S10_SG_SL_EUlSZ_E_NS1_11comp_targetILNS1_3genE9ELNS1_11target_archE1100ELNS1_3gpuE3ELNS1_3repE0EEENS1_47radix_sort_onesweep_sort_config_static_selectorELNS0_4arch9wavefront6targetE0EEEvSG_
                                        ; -- End function
	.set _ZN7rocprim17ROCPRIM_400000_NS6detail17trampoline_kernelINS0_14default_configENS1_35radix_sort_onesweep_config_selectorIaNS0_10empty_typeEEEZZNS1_29radix_sort_onesweep_iterationIS3_Lb0EPKaPaPS5_SB_mNS0_19identity_decomposerENS1_16block_id_wrapperIjLb0EEEEE10hipError_tT1_PNSt15iterator_traitsISG_E10value_typeET2_T3_PNSH_ISM_E10value_typeET4_T5_PSR_SS_PNS1_23onesweep_lookback_stateEbbT6_jjT7_P12ihipStream_tbENKUlT_T0_SG_SL_E_clIS9_SA_SB_SB_EEDaSZ_S10_SG_SL_EUlSZ_E_NS1_11comp_targetILNS1_3genE9ELNS1_11target_archE1100ELNS1_3gpuE3ELNS1_3repE0EEENS1_47radix_sort_onesweep_sort_config_static_selectorELNS0_4arch9wavefront6targetE0EEEvSG_.num_vgpr, 0
	.set _ZN7rocprim17ROCPRIM_400000_NS6detail17trampoline_kernelINS0_14default_configENS1_35radix_sort_onesweep_config_selectorIaNS0_10empty_typeEEEZZNS1_29radix_sort_onesweep_iterationIS3_Lb0EPKaPaPS5_SB_mNS0_19identity_decomposerENS1_16block_id_wrapperIjLb0EEEEE10hipError_tT1_PNSt15iterator_traitsISG_E10value_typeET2_T3_PNSH_ISM_E10value_typeET4_T5_PSR_SS_PNS1_23onesweep_lookback_stateEbbT6_jjT7_P12ihipStream_tbENKUlT_T0_SG_SL_E_clIS9_SA_SB_SB_EEDaSZ_S10_SG_SL_EUlSZ_E_NS1_11comp_targetILNS1_3genE9ELNS1_11target_archE1100ELNS1_3gpuE3ELNS1_3repE0EEENS1_47radix_sort_onesweep_sort_config_static_selectorELNS0_4arch9wavefront6targetE0EEEvSG_.num_agpr, 0
	.set _ZN7rocprim17ROCPRIM_400000_NS6detail17trampoline_kernelINS0_14default_configENS1_35radix_sort_onesweep_config_selectorIaNS0_10empty_typeEEEZZNS1_29radix_sort_onesweep_iterationIS3_Lb0EPKaPaPS5_SB_mNS0_19identity_decomposerENS1_16block_id_wrapperIjLb0EEEEE10hipError_tT1_PNSt15iterator_traitsISG_E10value_typeET2_T3_PNSH_ISM_E10value_typeET4_T5_PSR_SS_PNS1_23onesweep_lookback_stateEbbT6_jjT7_P12ihipStream_tbENKUlT_T0_SG_SL_E_clIS9_SA_SB_SB_EEDaSZ_S10_SG_SL_EUlSZ_E_NS1_11comp_targetILNS1_3genE9ELNS1_11target_archE1100ELNS1_3gpuE3ELNS1_3repE0EEENS1_47radix_sort_onesweep_sort_config_static_selectorELNS0_4arch9wavefront6targetE0EEEvSG_.numbered_sgpr, 0
	.set _ZN7rocprim17ROCPRIM_400000_NS6detail17trampoline_kernelINS0_14default_configENS1_35radix_sort_onesweep_config_selectorIaNS0_10empty_typeEEEZZNS1_29radix_sort_onesweep_iterationIS3_Lb0EPKaPaPS5_SB_mNS0_19identity_decomposerENS1_16block_id_wrapperIjLb0EEEEE10hipError_tT1_PNSt15iterator_traitsISG_E10value_typeET2_T3_PNSH_ISM_E10value_typeET4_T5_PSR_SS_PNS1_23onesweep_lookback_stateEbbT6_jjT7_P12ihipStream_tbENKUlT_T0_SG_SL_E_clIS9_SA_SB_SB_EEDaSZ_S10_SG_SL_EUlSZ_E_NS1_11comp_targetILNS1_3genE9ELNS1_11target_archE1100ELNS1_3gpuE3ELNS1_3repE0EEENS1_47radix_sort_onesweep_sort_config_static_selectorELNS0_4arch9wavefront6targetE0EEEvSG_.num_named_barrier, 0
	.set _ZN7rocprim17ROCPRIM_400000_NS6detail17trampoline_kernelINS0_14default_configENS1_35radix_sort_onesweep_config_selectorIaNS0_10empty_typeEEEZZNS1_29radix_sort_onesweep_iterationIS3_Lb0EPKaPaPS5_SB_mNS0_19identity_decomposerENS1_16block_id_wrapperIjLb0EEEEE10hipError_tT1_PNSt15iterator_traitsISG_E10value_typeET2_T3_PNSH_ISM_E10value_typeET4_T5_PSR_SS_PNS1_23onesweep_lookback_stateEbbT6_jjT7_P12ihipStream_tbENKUlT_T0_SG_SL_E_clIS9_SA_SB_SB_EEDaSZ_S10_SG_SL_EUlSZ_E_NS1_11comp_targetILNS1_3genE9ELNS1_11target_archE1100ELNS1_3gpuE3ELNS1_3repE0EEENS1_47radix_sort_onesweep_sort_config_static_selectorELNS0_4arch9wavefront6targetE0EEEvSG_.private_seg_size, 0
	.set _ZN7rocprim17ROCPRIM_400000_NS6detail17trampoline_kernelINS0_14default_configENS1_35radix_sort_onesweep_config_selectorIaNS0_10empty_typeEEEZZNS1_29radix_sort_onesweep_iterationIS3_Lb0EPKaPaPS5_SB_mNS0_19identity_decomposerENS1_16block_id_wrapperIjLb0EEEEE10hipError_tT1_PNSt15iterator_traitsISG_E10value_typeET2_T3_PNSH_ISM_E10value_typeET4_T5_PSR_SS_PNS1_23onesweep_lookback_stateEbbT6_jjT7_P12ihipStream_tbENKUlT_T0_SG_SL_E_clIS9_SA_SB_SB_EEDaSZ_S10_SG_SL_EUlSZ_E_NS1_11comp_targetILNS1_3genE9ELNS1_11target_archE1100ELNS1_3gpuE3ELNS1_3repE0EEENS1_47radix_sort_onesweep_sort_config_static_selectorELNS0_4arch9wavefront6targetE0EEEvSG_.uses_vcc, 0
	.set _ZN7rocprim17ROCPRIM_400000_NS6detail17trampoline_kernelINS0_14default_configENS1_35radix_sort_onesweep_config_selectorIaNS0_10empty_typeEEEZZNS1_29radix_sort_onesweep_iterationIS3_Lb0EPKaPaPS5_SB_mNS0_19identity_decomposerENS1_16block_id_wrapperIjLb0EEEEE10hipError_tT1_PNSt15iterator_traitsISG_E10value_typeET2_T3_PNSH_ISM_E10value_typeET4_T5_PSR_SS_PNS1_23onesweep_lookback_stateEbbT6_jjT7_P12ihipStream_tbENKUlT_T0_SG_SL_E_clIS9_SA_SB_SB_EEDaSZ_S10_SG_SL_EUlSZ_E_NS1_11comp_targetILNS1_3genE9ELNS1_11target_archE1100ELNS1_3gpuE3ELNS1_3repE0EEENS1_47radix_sort_onesweep_sort_config_static_selectorELNS0_4arch9wavefront6targetE0EEEvSG_.uses_flat_scratch, 0
	.set _ZN7rocprim17ROCPRIM_400000_NS6detail17trampoline_kernelINS0_14default_configENS1_35radix_sort_onesweep_config_selectorIaNS0_10empty_typeEEEZZNS1_29radix_sort_onesweep_iterationIS3_Lb0EPKaPaPS5_SB_mNS0_19identity_decomposerENS1_16block_id_wrapperIjLb0EEEEE10hipError_tT1_PNSt15iterator_traitsISG_E10value_typeET2_T3_PNSH_ISM_E10value_typeET4_T5_PSR_SS_PNS1_23onesweep_lookback_stateEbbT6_jjT7_P12ihipStream_tbENKUlT_T0_SG_SL_E_clIS9_SA_SB_SB_EEDaSZ_S10_SG_SL_EUlSZ_E_NS1_11comp_targetILNS1_3genE9ELNS1_11target_archE1100ELNS1_3gpuE3ELNS1_3repE0EEENS1_47radix_sort_onesweep_sort_config_static_selectorELNS0_4arch9wavefront6targetE0EEEvSG_.has_dyn_sized_stack, 0
	.set _ZN7rocprim17ROCPRIM_400000_NS6detail17trampoline_kernelINS0_14default_configENS1_35radix_sort_onesweep_config_selectorIaNS0_10empty_typeEEEZZNS1_29radix_sort_onesweep_iterationIS3_Lb0EPKaPaPS5_SB_mNS0_19identity_decomposerENS1_16block_id_wrapperIjLb0EEEEE10hipError_tT1_PNSt15iterator_traitsISG_E10value_typeET2_T3_PNSH_ISM_E10value_typeET4_T5_PSR_SS_PNS1_23onesweep_lookback_stateEbbT6_jjT7_P12ihipStream_tbENKUlT_T0_SG_SL_E_clIS9_SA_SB_SB_EEDaSZ_S10_SG_SL_EUlSZ_E_NS1_11comp_targetILNS1_3genE9ELNS1_11target_archE1100ELNS1_3gpuE3ELNS1_3repE0EEENS1_47radix_sort_onesweep_sort_config_static_selectorELNS0_4arch9wavefront6targetE0EEEvSG_.has_recursion, 0
	.set _ZN7rocprim17ROCPRIM_400000_NS6detail17trampoline_kernelINS0_14default_configENS1_35radix_sort_onesweep_config_selectorIaNS0_10empty_typeEEEZZNS1_29radix_sort_onesweep_iterationIS3_Lb0EPKaPaPS5_SB_mNS0_19identity_decomposerENS1_16block_id_wrapperIjLb0EEEEE10hipError_tT1_PNSt15iterator_traitsISG_E10value_typeET2_T3_PNSH_ISM_E10value_typeET4_T5_PSR_SS_PNS1_23onesweep_lookback_stateEbbT6_jjT7_P12ihipStream_tbENKUlT_T0_SG_SL_E_clIS9_SA_SB_SB_EEDaSZ_S10_SG_SL_EUlSZ_E_NS1_11comp_targetILNS1_3genE9ELNS1_11target_archE1100ELNS1_3gpuE3ELNS1_3repE0EEENS1_47radix_sort_onesweep_sort_config_static_selectorELNS0_4arch9wavefront6targetE0EEEvSG_.has_indirect_call, 0
	.section	.AMDGPU.csdata,"",@progbits
; Kernel info:
; codeLenInByte = 0
; TotalNumSgprs: 0
; NumVgprs: 0
; ScratchSize: 0
; MemoryBound: 0
; FloatMode: 240
; IeeeMode: 1
; LDSByteSize: 0 bytes/workgroup (compile time only)
; SGPRBlocks: 0
; VGPRBlocks: 0
; NumSGPRsForWavesPerEU: 1
; NumVGPRsForWavesPerEU: 1
; NamedBarCnt: 0
; Occupancy: 16
; WaveLimiterHint : 0
; COMPUTE_PGM_RSRC2:SCRATCH_EN: 0
; COMPUTE_PGM_RSRC2:USER_SGPR: 2
; COMPUTE_PGM_RSRC2:TRAP_HANDLER: 0
; COMPUTE_PGM_RSRC2:TGID_X_EN: 1
; COMPUTE_PGM_RSRC2:TGID_Y_EN: 0
; COMPUTE_PGM_RSRC2:TGID_Z_EN: 0
; COMPUTE_PGM_RSRC2:TIDIG_COMP_CNT: 0
	.section	.text._ZN7rocprim17ROCPRIM_400000_NS6detail17trampoline_kernelINS0_14default_configENS1_35radix_sort_onesweep_config_selectorIaNS0_10empty_typeEEEZZNS1_29radix_sort_onesweep_iterationIS3_Lb0EPKaPaPS5_SB_mNS0_19identity_decomposerENS1_16block_id_wrapperIjLb0EEEEE10hipError_tT1_PNSt15iterator_traitsISG_E10value_typeET2_T3_PNSH_ISM_E10value_typeET4_T5_PSR_SS_PNS1_23onesweep_lookback_stateEbbT6_jjT7_P12ihipStream_tbENKUlT_T0_SG_SL_E_clIS9_SA_SB_SB_EEDaSZ_S10_SG_SL_EUlSZ_E_NS1_11comp_targetILNS1_3genE8ELNS1_11target_archE1030ELNS1_3gpuE2ELNS1_3repE0EEENS1_47radix_sort_onesweep_sort_config_static_selectorELNS0_4arch9wavefront6targetE0EEEvSG_,"axG",@progbits,_ZN7rocprim17ROCPRIM_400000_NS6detail17trampoline_kernelINS0_14default_configENS1_35radix_sort_onesweep_config_selectorIaNS0_10empty_typeEEEZZNS1_29radix_sort_onesweep_iterationIS3_Lb0EPKaPaPS5_SB_mNS0_19identity_decomposerENS1_16block_id_wrapperIjLb0EEEEE10hipError_tT1_PNSt15iterator_traitsISG_E10value_typeET2_T3_PNSH_ISM_E10value_typeET4_T5_PSR_SS_PNS1_23onesweep_lookback_stateEbbT6_jjT7_P12ihipStream_tbENKUlT_T0_SG_SL_E_clIS9_SA_SB_SB_EEDaSZ_S10_SG_SL_EUlSZ_E_NS1_11comp_targetILNS1_3genE8ELNS1_11target_archE1030ELNS1_3gpuE2ELNS1_3repE0EEENS1_47radix_sort_onesweep_sort_config_static_selectorELNS0_4arch9wavefront6targetE0EEEvSG_,comdat
	.protected	_ZN7rocprim17ROCPRIM_400000_NS6detail17trampoline_kernelINS0_14default_configENS1_35radix_sort_onesweep_config_selectorIaNS0_10empty_typeEEEZZNS1_29radix_sort_onesweep_iterationIS3_Lb0EPKaPaPS5_SB_mNS0_19identity_decomposerENS1_16block_id_wrapperIjLb0EEEEE10hipError_tT1_PNSt15iterator_traitsISG_E10value_typeET2_T3_PNSH_ISM_E10value_typeET4_T5_PSR_SS_PNS1_23onesweep_lookback_stateEbbT6_jjT7_P12ihipStream_tbENKUlT_T0_SG_SL_E_clIS9_SA_SB_SB_EEDaSZ_S10_SG_SL_EUlSZ_E_NS1_11comp_targetILNS1_3genE8ELNS1_11target_archE1030ELNS1_3gpuE2ELNS1_3repE0EEENS1_47radix_sort_onesweep_sort_config_static_selectorELNS0_4arch9wavefront6targetE0EEEvSG_ ; -- Begin function _ZN7rocprim17ROCPRIM_400000_NS6detail17trampoline_kernelINS0_14default_configENS1_35radix_sort_onesweep_config_selectorIaNS0_10empty_typeEEEZZNS1_29radix_sort_onesweep_iterationIS3_Lb0EPKaPaPS5_SB_mNS0_19identity_decomposerENS1_16block_id_wrapperIjLb0EEEEE10hipError_tT1_PNSt15iterator_traitsISG_E10value_typeET2_T3_PNSH_ISM_E10value_typeET4_T5_PSR_SS_PNS1_23onesweep_lookback_stateEbbT6_jjT7_P12ihipStream_tbENKUlT_T0_SG_SL_E_clIS9_SA_SB_SB_EEDaSZ_S10_SG_SL_EUlSZ_E_NS1_11comp_targetILNS1_3genE8ELNS1_11target_archE1030ELNS1_3gpuE2ELNS1_3repE0EEENS1_47radix_sort_onesweep_sort_config_static_selectorELNS0_4arch9wavefront6targetE0EEEvSG_
	.globl	_ZN7rocprim17ROCPRIM_400000_NS6detail17trampoline_kernelINS0_14default_configENS1_35radix_sort_onesweep_config_selectorIaNS0_10empty_typeEEEZZNS1_29radix_sort_onesweep_iterationIS3_Lb0EPKaPaPS5_SB_mNS0_19identity_decomposerENS1_16block_id_wrapperIjLb0EEEEE10hipError_tT1_PNSt15iterator_traitsISG_E10value_typeET2_T3_PNSH_ISM_E10value_typeET4_T5_PSR_SS_PNS1_23onesweep_lookback_stateEbbT6_jjT7_P12ihipStream_tbENKUlT_T0_SG_SL_E_clIS9_SA_SB_SB_EEDaSZ_S10_SG_SL_EUlSZ_E_NS1_11comp_targetILNS1_3genE8ELNS1_11target_archE1030ELNS1_3gpuE2ELNS1_3repE0EEENS1_47radix_sort_onesweep_sort_config_static_selectorELNS0_4arch9wavefront6targetE0EEEvSG_
	.p2align	8
	.type	_ZN7rocprim17ROCPRIM_400000_NS6detail17trampoline_kernelINS0_14default_configENS1_35radix_sort_onesweep_config_selectorIaNS0_10empty_typeEEEZZNS1_29radix_sort_onesweep_iterationIS3_Lb0EPKaPaPS5_SB_mNS0_19identity_decomposerENS1_16block_id_wrapperIjLb0EEEEE10hipError_tT1_PNSt15iterator_traitsISG_E10value_typeET2_T3_PNSH_ISM_E10value_typeET4_T5_PSR_SS_PNS1_23onesweep_lookback_stateEbbT6_jjT7_P12ihipStream_tbENKUlT_T0_SG_SL_E_clIS9_SA_SB_SB_EEDaSZ_S10_SG_SL_EUlSZ_E_NS1_11comp_targetILNS1_3genE8ELNS1_11target_archE1030ELNS1_3gpuE2ELNS1_3repE0EEENS1_47radix_sort_onesweep_sort_config_static_selectorELNS0_4arch9wavefront6targetE0EEEvSG_,@function
_ZN7rocprim17ROCPRIM_400000_NS6detail17trampoline_kernelINS0_14default_configENS1_35radix_sort_onesweep_config_selectorIaNS0_10empty_typeEEEZZNS1_29radix_sort_onesweep_iterationIS3_Lb0EPKaPaPS5_SB_mNS0_19identity_decomposerENS1_16block_id_wrapperIjLb0EEEEE10hipError_tT1_PNSt15iterator_traitsISG_E10value_typeET2_T3_PNSH_ISM_E10value_typeET4_T5_PSR_SS_PNS1_23onesweep_lookback_stateEbbT6_jjT7_P12ihipStream_tbENKUlT_T0_SG_SL_E_clIS9_SA_SB_SB_EEDaSZ_S10_SG_SL_EUlSZ_E_NS1_11comp_targetILNS1_3genE8ELNS1_11target_archE1030ELNS1_3gpuE2ELNS1_3repE0EEENS1_47radix_sort_onesweep_sort_config_static_selectorELNS0_4arch9wavefront6targetE0EEEvSG_: ; @_ZN7rocprim17ROCPRIM_400000_NS6detail17trampoline_kernelINS0_14default_configENS1_35radix_sort_onesweep_config_selectorIaNS0_10empty_typeEEEZZNS1_29radix_sort_onesweep_iterationIS3_Lb0EPKaPaPS5_SB_mNS0_19identity_decomposerENS1_16block_id_wrapperIjLb0EEEEE10hipError_tT1_PNSt15iterator_traitsISG_E10value_typeET2_T3_PNSH_ISM_E10value_typeET4_T5_PSR_SS_PNS1_23onesweep_lookback_stateEbbT6_jjT7_P12ihipStream_tbENKUlT_T0_SG_SL_E_clIS9_SA_SB_SB_EEDaSZ_S10_SG_SL_EUlSZ_E_NS1_11comp_targetILNS1_3genE8ELNS1_11target_archE1030ELNS1_3gpuE2ELNS1_3repE0EEENS1_47radix_sort_onesweep_sort_config_static_selectorELNS0_4arch9wavefront6targetE0EEEvSG_
; %bb.0:
	.section	.rodata,"a",@progbits
	.p2align	6, 0x0
	.amdhsa_kernel _ZN7rocprim17ROCPRIM_400000_NS6detail17trampoline_kernelINS0_14default_configENS1_35radix_sort_onesweep_config_selectorIaNS0_10empty_typeEEEZZNS1_29radix_sort_onesweep_iterationIS3_Lb0EPKaPaPS5_SB_mNS0_19identity_decomposerENS1_16block_id_wrapperIjLb0EEEEE10hipError_tT1_PNSt15iterator_traitsISG_E10value_typeET2_T3_PNSH_ISM_E10value_typeET4_T5_PSR_SS_PNS1_23onesweep_lookback_stateEbbT6_jjT7_P12ihipStream_tbENKUlT_T0_SG_SL_E_clIS9_SA_SB_SB_EEDaSZ_S10_SG_SL_EUlSZ_E_NS1_11comp_targetILNS1_3genE8ELNS1_11target_archE1030ELNS1_3gpuE2ELNS1_3repE0EEENS1_47radix_sort_onesweep_sort_config_static_selectorELNS0_4arch9wavefront6targetE0EEEvSG_
		.amdhsa_group_segment_fixed_size 0
		.amdhsa_private_segment_fixed_size 0
		.amdhsa_kernarg_size 88
		.amdhsa_user_sgpr_count 2
		.amdhsa_user_sgpr_dispatch_ptr 0
		.amdhsa_user_sgpr_queue_ptr 0
		.amdhsa_user_sgpr_kernarg_segment_ptr 1
		.amdhsa_user_sgpr_dispatch_id 0
		.amdhsa_user_sgpr_kernarg_preload_length 0
		.amdhsa_user_sgpr_kernarg_preload_offset 0
		.amdhsa_user_sgpr_private_segment_size 0
		.amdhsa_wavefront_size32 1
		.amdhsa_uses_dynamic_stack 0
		.amdhsa_enable_private_segment 0
		.amdhsa_system_sgpr_workgroup_id_x 1
		.amdhsa_system_sgpr_workgroup_id_y 0
		.amdhsa_system_sgpr_workgroup_id_z 0
		.amdhsa_system_sgpr_workgroup_info 0
		.amdhsa_system_vgpr_workitem_id 0
		.amdhsa_next_free_vgpr 1
		.amdhsa_next_free_sgpr 1
		.amdhsa_named_barrier_count 0
		.amdhsa_reserve_vcc 0
		.amdhsa_float_round_mode_32 0
		.amdhsa_float_round_mode_16_64 0
		.amdhsa_float_denorm_mode_32 3
		.amdhsa_float_denorm_mode_16_64 3
		.amdhsa_fp16_overflow 0
		.amdhsa_memory_ordered 1
		.amdhsa_forward_progress 1
		.amdhsa_inst_pref_size 0
		.amdhsa_round_robin_scheduling 0
		.amdhsa_exception_fp_ieee_invalid_op 0
		.amdhsa_exception_fp_denorm_src 0
		.amdhsa_exception_fp_ieee_div_zero 0
		.amdhsa_exception_fp_ieee_overflow 0
		.amdhsa_exception_fp_ieee_underflow 0
		.amdhsa_exception_fp_ieee_inexact 0
		.amdhsa_exception_int_div_zero 0
	.end_amdhsa_kernel
	.section	.text._ZN7rocprim17ROCPRIM_400000_NS6detail17trampoline_kernelINS0_14default_configENS1_35radix_sort_onesweep_config_selectorIaNS0_10empty_typeEEEZZNS1_29radix_sort_onesweep_iterationIS3_Lb0EPKaPaPS5_SB_mNS0_19identity_decomposerENS1_16block_id_wrapperIjLb0EEEEE10hipError_tT1_PNSt15iterator_traitsISG_E10value_typeET2_T3_PNSH_ISM_E10value_typeET4_T5_PSR_SS_PNS1_23onesweep_lookback_stateEbbT6_jjT7_P12ihipStream_tbENKUlT_T0_SG_SL_E_clIS9_SA_SB_SB_EEDaSZ_S10_SG_SL_EUlSZ_E_NS1_11comp_targetILNS1_3genE8ELNS1_11target_archE1030ELNS1_3gpuE2ELNS1_3repE0EEENS1_47radix_sort_onesweep_sort_config_static_selectorELNS0_4arch9wavefront6targetE0EEEvSG_,"axG",@progbits,_ZN7rocprim17ROCPRIM_400000_NS6detail17trampoline_kernelINS0_14default_configENS1_35radix_sort_onesweep_config_selectorIaNS0_10empty_typeEEEZZNS1_29radix_sort_onesweep_iterationIS3_Lb0EPKaPaPS5_SB_mNS0_19identity_decomposerENS1_16block_id_wrapperIjLb0EEEEE10hipError_tT1_PNSt15iterator_traitsISG_E10value_typeET2_T3_PNSH_ISM_E10value_typeET4_T5_PSR_SS_PNS1_23onesweep_lookback_stateEbbT6_jjT7_P12ihipStream_tbENKUlT_T0_SG_SL_E_clIS9_SA_SB_SB_EEDaSZ_S10_SG_SL_EUlSZ_E_NS1_11comp_targetILNS1_3genE8ELNS1_11target_archE1030ELNS1_3gpuE2ELNS1_3repE0EEENS1_47radix_sort_onesweep_sort_config_static_selectorELNS0_4arch9wavefront6targetE0EEEvSG_,comdat
.Lfunc_end492:
	.size	_ZN7rocprim17ROCPRIM_400000_NS6detail17trampoline_kernelINS0_14default_configENS1_35radix_sort_onesweep_config_selectorIaNS0_10empty_typeEEEZZNS1_29radix_sort_onesweep_iterationIS3_Lb0EPKaPaPS5_SB_mNS0_19identity_decomposerENS1_16block_id_wrapperIjLb0EEEEE10hipError_tT1_PNSt15iterator_traitsISG_E10value_typeET2_T3_PNSH_ISM_E10value_typeET4_T5_PSR_SS_PNS1_23onesweep_lookback_stateEbbT6_jjT7_P12ihipStream_tbENKUlT_T0_SG_SL_E_clIS9_SA_SB_SB_EEDaSZ_S10_SG_SL_EUlSZ_E_NS1_11comp_targetILNS1_3genE8ELNS1_11target_archE1030ELNS1_3gpuE2ELNS1_3repE0EEENS1_47radix_sort_onesweep_sort_config_static_selectorELNS0_4arch9wavefront6targetE0EEEvSG_, .Lfunc_end492-_ZN7rocprim17ROCPRIM_400000_NS6detail17trampoline_kernelINS0_14default_configENS1_35radix_sort_onesweep_config_selectorIaNS0_10empty_typeEEEZZNS1_29radix_sort_onesweep_iterationIS3_Lb0EPKaPaPS5_SB_mNS0_19identity_decomposerENS1_16block_id_wrapperIjLb0EEEEE10hipError_tT1_PNSt15iterator_traitsISG_E10value_typeET2_T3_PNSH_ISM_E10value_typeET4_T5_PSR_SS_PNS1_23onesweep_lookback_stateEbbT6_jjT7_P12ihipStream_tbENKUlT_T0_SG_SL_E_clIS9_SA_SB_SB_EEDaSZ_S10_SG_SL_EUlSZ_E_NS1_11comp_targetILNS1_3genE8ELNS1_11target_archE1030ELNS1_3gpuE2ELNS1_3repE0EEENS1_47radix_sort_onesweep_sort_config_static_selectorELNS0_4arch9wavefront6targetE0EEEvSG_
                                        ; -- End function
	.set _ZN7rocprim17ROCPRIM_400000_NS6detail17trampoline_kernelINS0_14default_configENS1_35radix_sort_onesweep_config_selectorIaNS0_10empty_typeEEEZZNS1_29radix_sort_onesweep_iterationIS3_Lb0EPKaPaPS5_SB_mNS0_19identity_decomposerENS1_16block_id_wrapperIjLb0EEEEE10hipError_tT1_PNSt15iterator_traitsISG_E10value_typeET2_T3_PNSH_ISM_E10value_typeET4_T5_PSR_SS_PNS1_23onesweep_lookback_stateEbbT6_jjT7_P12ihipStream_tbENKUlT_T0_SG_SL_E_clIS9_SA_SB_SB_EEDaSZ_S10_SG_SL_EUlSZ_E_NS1_11comp_targetILNS1_3genE8ELNS1_11target_archE1030ELNS1_3gpuE2ELNS1_3repE0EEENS1_47radix_sort_onesweep_sort_config_static_selectorELNS0_4arch9wavefront6targetE0EEEvSG_.num_vgpr, 0
	.set _ZN7rocprim17ROCPRIM_400000_NS6detail17trampoline_kernelINS0_14default_configENS1_35radix_sort_onesweep_config_selectorIaNS0_10empty_typeEEEZZNS1_29radix_sort_onesweep_iterationIS3_Lb0EPKaPaPS5_SB_mNS0_19identity_decomposerENS1_16block_id_wrapperIjLb0EEEEE10hipError_tT1_PNSt15iterator_traitsISG_E10value_typeET2_T3_PNSH_ISM_E10value_typeET4_T5_PSR_SS_PNS1_23onesweep_lookback_stateEbbT6_jjT7_P12ihipStream_tbENKUlT_T0_SG_SL_E_clIS9_SA_SB_SB_EEDaSZ_S10_SG_SL_EUlSZ_E_NS1_11comp_targetILNS1_3genE8ELNS1_11target_archE1030ELNS1_3gpuE2ELNS1_3repE0EEENS1_47radix_sort_onesweep_sort_config_static_selectorELNS0_4arch9wavefront6targetE0EEEvSG_.num_agpr, 0
	.set _ZN7rocprim17ROCPRIM_400000_NS6detail17trampoline_kernelINS0_14default_configENS1_35radix_sort_onesweep_config_selectorIaNS0_10empty_typeEEEZZNS1_29radix_sort_onesweep_iterationIS3_Lb0EPKaPaPS5_SB_mNS0_19identity_decomposerENS1_16block_id_wrapperIjLb0EEEEE10hipError_tT1_PNSt15iterator_traitsISG_E10value_typeET2_T3_PNSH_ISM_E10value_typeET4_T5_PSR_SS_PNS1_23onesweep_lookback_stateEbbT6_jjT7_P12ihipStream_tbENKUlT_T0_SG_SL_E_clIS9_SA_SB_SB_EEDaSZ_S10_SG_SL_EUlSZ_E_NS1_11comp_targetILNS1_3genE8ELNS1_11target_archE1030ELNS1_3gpuE2ELNS1_3repE0EEENS1_47radix_sort_onesweep_sort_config_static_selectorELNS0_4arch9wavefront6targetE0EEEvSG_.numbered_sgpr, 0
	.set _ZN7rocprim17ROCPRIM_400000_NS6detail17trampoline_kernelINS0_14default_configENS1_35radix_sort_onesweep_config_selectorIaNS0_10empty_typeEEEZZNS1_29radix_sort_onesweep_iterationIS3_Lb0EPKaPaPS5_SB_mNS0_19identity_decomposerENS1_16block_id_wrapperIjLb0EEEEE10hipError_tT1_PNSt15iterator_traitsISG_E10value_typeET2_T3_PNSH_ISM_E10value_typeET4_T5_PSR_SS_PNS1_23onesweep_lookback_stateEbbT6_jjT7_P12ihipStream_tbENKUlT_T0_SG_SL_E_clIS9_SA_SB_SB_EEDaSZ_S10_SG_SL_EUlSZ_E_NS1_11comp_targetILNS1_3genE8ELNS1_11target_archE1030ELNS1_3gpuE2ELNS1_3repE0EEENS1_47radix_sort_onesweep_sort_config_static_selectorELNS0_4arch9wavefront6targetE0EEEvSG_.num_named_barrier, 0
	.set _ZN7rocprim17ROCPRIM_400000_NS6detail17trampoline_kernelINS0_14default_configENS1_35radix_sort_onesweep_config_selectorIaNS0_10empty_typeEEEZZNS1_29radix_sort_onesweep_iterationIS3_Lb0EPKaPaPS5_SB_mNS0_19identity_decomposerENS1_16block_id_wrapperIjLb0EEEEE10hipError_tT1_PNSt15iterator_traitsISG_E10value_typeET2_T3_PNSH_ISM_E10value_typeET4_T5_PSR_SS_PNS1_23onesweep_lookback_stateEbbT6_jjT7_P12ihipStream_tbENKUlT_T0_SG_SL_E_clIS9_SA_SB_SB_EEDaSZ_S10_SG_SL_EUlSZ_E_NS1_11comp_targetILNS1_3genE8ELNS1_11target_archE1030ELNS1_3gpuE2ELNS1_3repE0EEENS1_47radix_sort_onesweep_sort_config_static_selectorELNS0_4arch9wavefront6targetE0EEEvSG_.private_seg_size, 0
	.set _ZN7rocprim17ROCPRIM_400000_NS6detail17trampoline_kernelINS0_14default_configENS1_35radix_sort_onesweep_config_selectorIaNS0_10empty_typeEEEZZNS1_29radix_sort_onesweep_iterationIS3_Lb0EPKaPaPS5_SB_mNS0_19identity_decomposerENS1_16block_id_wrapperIjLb0EEEEE10hipError_tT1_PNSt15iterator_traitsISG_E10value_typeET2_T3_PNSH_ISM_E10value_typeET4_T5_PSR_SS_PNS1_23onesweep_lookback_stateEbbT6_jjT7_P12ihipStream_tbENKUlT_T0_SG_SL_E_clIS9_SA_SB_SB_EEDaSZ_S10_SG_SL_EUlSZ_E_NS1_11comp_targetILNS1_3genE8ELNS1_11target_archE1030ELNS1_3gpuE2ELNS1_3repE0EEENS1_47radix_sort_onesweep_sort_config_static_selectorELNS0_4arch9wavefront6targetE0EEEvSG_.uses_vcc, 0
	.set _ZN7rocprim17ROCPRIM_400000_NS6detail17trampoline_kernelINS0_14default_configENS1_35radix_sort_onesweep_config_selectorIaNS0_10empty_typeEEEZZNS1_29radix_sort_onesweep_iterationIS3_Lb0EPKaPaPS5_SB_mNS0_19identity_decomposerENS1_16block_id_wrapperIjLb0EEEEE10hipError_tT1_PNSt15iterator_traitsISG_E10value_typeET2_T3_PNSH_ISM_E10value_typeET4_T5_PSR_SS_PNS1_23onesweep_lookback_stateEbbT6_jjT7_P12ihipStream_tbENKUlT_T0_SG_SL_E_clIS9_SA_SB_SB_EEDaSZ_S10_SG_SL_EUlSZ_E_NS1_11comp_targetILNS1_3genE8ELNS1_11target_archE1030ELNS1_3gpuE2ELNS1_3repE0EEENS1_47radix_sort_onesweep_sort_config_static_selectorELNS0_4arch9wavefront6targetE0EEEvSG_.uses_flat_scratch, 0
	.set _ZN7rocprim17ROCPRIM_400000_NS6detail17trampoline_kernelINS0_14default_configENS1_35radix_sort_onesweep_config_selectorIaNS0_10empty_typeEEEZZNS1_29radix_sort_onesweep_iterationIS3_Lb0EPKaPaPS5_SB_mNS0_19identity_decomposerENS1_16block_id_wrapperIjLb0EEEEE10hipError_tT1_PNSt15iterator_traitsISG_E10value_typeET2_T3_PNSH_ISM_E10value_typeET4_T5_PSR_SS_PNS1_23onesweep_lookback_stateEbbT6_jjT7_P12ihipStream_tbENKUlT_T0_SG_SL_E_clIS9_SA_SB_SB_EEDaSZ_S10_SG_SL_EUlSZ_E_NS1_11comp_targetILNS1_3genE8ELNS1_11target_archE1030ELNS1_3gpuE2ELNS1_3repE0EEENS1_47radix_sort_onesweep_sort_config_static_selectorELNS0_4arch9wavefront6targetE0EEEvSG_.has_dyn_sized_stack, 0
	.set _ZN7rocprim17ROCPRIM_400000_NS6detail17trampoline_kernelINS0_14default_configENS1_35radix_sort_onesweep_config_selectorIaNS0_10empty_typeEEEZZNS1_29radix_sort_onesweep_iterationIS3_Lb0EPKaPaPS5_SB_mNS0_19identity_decomposerENS1_16block_id_wrapperIjLb0EEEEE10hipError_tT1_PNSt15iterator_traitsISG_E10value_typeET2_T3_PNSH_ISM_E10value_typeET4_T5_PSR_SS_PNS1_23onesweep_lookback_stateEbbT6_jjT7_P12ihipStream_tbENKUlT_T0_SG_SL_E_clIS9_SA_SB_SB_EEDaSZ_S10_SG_SL_EUlSZ_E_NS1_11comp_targetILNS1_3genE8ELNS1_11target_archE1030ELNS1_3gpuE2ELNS1_3repE0EEENS1_47radix_sort_onesweep_sort_config_static_selectorELNS0_4arch9wavefront6targetE0EEEvSG_.has_recursion, 0
	.set _ZN7rocprim17ROCPRIM_400000_NS6detail17trampoline_kernelINS0_14default_configENS1_35radix_sort_onesweep_config_selectorIaNS0_10empty_typeEEEZZNS1_29radix_sort_onesweep_iterationIS3_Lb0EPKaPaPS5_SB_mNS0_19identity_decomposerENS1_16block_id_wrapperIjLb0EEEEE10hipError_tT1_PNSt15iterator_traitsISG_E10value_typeET2_T3_PNSH_ISM_E10value_typeET4_T5_PSR_SS_PNS1_23onesweep_lookback_stateEbbT6_jjT7_P12ihipStream_tbENKUlT_T0_SG_SL_E_clIS9_SA_SB_SB_EEDaSZ_S10_SG_SL_EUlSZ_E_NS1_11comp_targetILNS1_3genE8ELNS1_11target_archE1030ELNS1_3gpuE2ELNS1_3repE0EEENS1_47radix_sort_onesweep_sort_config_static_selectorELNS0_4arch9wavefront6targetE0EEEvSG_.has_indirect_call, 0
	.section	.AMDGPU.csdata,"",@progbits
; Kernel info:
; codeLenInByte = 0
; TotalNumSgprs: 0
; NumVgprs: 0
; ScratchSize: 0
; MemoryBound: 0
; FloatMode: 240
; IeeeMode: 1
; LDSByteSize: 0 bytes/workgroup (compile time only)
; SGPRBlocks: 0
; VGPRBlocks: 0
; NumSGPRsForWavesPerEU: 1
; NumVGPRsForWavesPerEU: 1
; NamedBarCnt: 0
; Occupancy: 16
; WaveLimiterHint : 0
; COMPUTE_PGM_RSRC2:SCRATCH_EN: 0
; COMPUTE_PGM_RSRC2:USER_SGPR: 2
; COMPUTE_PGM_RSRC2:TRAP_HANDLER: 0
; COMPUTE_PGM_RSRC2:TGID_X_EN: 1
; COMPUTE_PGM_RSRC2:TGID_Y_EN: 0
; COMPUTE_PGM_RSRC2:TGID_Z_EN: 0
; COMPUTE_PGM_RSRC2:TIDIG_COMP_CNT: 0
	.section	.text._ZN7rocprim17ROCPRIM_400000_NS6detail17trampoline_kernelINS0_14default_configENS1_35radix_sort_onesweep_config_selectorIaNS0_10empty_typeEEEZZNS1_29radix_sort_onesweep_iterationIS3_Lb0EPKaPaPS5_SB_mNS0_19identity_decomposerENS1_16block_id_wrapperIjLb0EEEEE10hipError_tT1_PNSt15iterator_traitsISG_E10value_typeET2_T3_PNSH_ISM_E10value_typeET4_T5_PSR_SS_PNS1_23onesweep_lookback_stateEbbT6_jjT7_P12ihipStream_tbENKUlT_T0_SG_SL_E_clISA_SA_SB_SB_EEDaSZ_S10_SG_SL_EUlSZ_E_NS1_11comp_targetILNS1_3genE0ELNS1_11target_archE4294967295ELNS1_3gpuE0ELNS1_3repE0EEENS1_47radix_sort_onesweep_sort_config_static_selectorELNS0_4arch9wavefront6targetE0EEEvSG_,"axG",@progbits,_ZN7rocprim17ROCPRIM_400000_NS6detail17trampoline_kernelINS0_14default_configENS1_35radix_sort_onesweep_config_selectorIaNS0_10empty_typeEEEZZNS1_29radix_sort_onesweep_iterationIS3_Lb0EPKaPaPS5_SB_mNS0_19identity_decomposerENS1_16block_id_wrapperIjLb0EEEEE10hipError_tT1_PNSt15iterator_traitsISG_E10value_typeET2_T3_PNSH_ISM_E10value_typeET4_T5_PSR_SS_PNS1_23onesweep_lookback_stateEbbT6_jjT7_P12ihipStream_tbENKUlT_T0_SG_SL_E_clISA_SA_SB_SB_EEDaSZ_S10_SG_SL_EUlSZ_E_NS1_11comp_targetILNS1_3genE0ELNS1_11target_archE4294967295ELNS1_3gpuE0ELNS1_3repE0EEENS1_47radix_sort_onesweep_sort_config_static_selectorELNS0_4arch9wavefront6targetE0EEEvSG_,comdat
	.protected	_ZN7rocprim17ROCPRIM_400000_NS6detail17trampoline_kernelINS0_14default_configENS1_35radix_sort_onesweep_config_selectorIaNS0_10empty_typeEEEZZNS1_29radix_sort_onesweep_iterationIS3_Lb0EPKaPaPS5_SB_mNS0_19identity_decomposerENS1_16block_id_wrapperIjLb0EEEEE10hipError_tT1_PNSt15iterator_traitsISG_E10value_typeET2_T3_PNSH_ISM_E10value_typeET4_T5_PSR_SS_PNS1_23onesweep_lookback_stateEbbT6_jjT7_P12ihipStream_tbENKUlT_T0_SG_SL_E_clISA_SA_SB_SB_EEDaSZ_S10_SG_SL_EUlSZ_E_NS1_11comp_targetILNS1_3genE0ELNS1_11target_archE4294967295ELNS1_3gpuE0ELNS1_3repE0EEENS1_47radix_sort_onesweep_sort_config_static_selectorELNS0_4arch9wavefront6targetE0EEEvSG_ ; -- Begin function _ZN7rocprim17ROCPRIM_400000_NS6detail17trampoline_kernelINS0_14default_configENS1_35radix_sort_onesweep_config_selectorIaNS0_10empty_typeEEEZZNS1_29radix_sort_onesweep_iterationIS3_Lb0EPKaPaPS5_SB_mNS0_19identity_decomposerENS1_16block_id_wrapperIjLb0EEEEE10hipError_tT1_PNSt15iterator_traitsISG_E10value_typeET2_T3_PNSH_ISM_E10value_typeET4_T5_PSR_SS_PNS1_23onesweep_lookback_stateEbbT6_jjT7_P12ihipStream_tbENKUlT_T0_SG_SL_E_clISA_SA_SB_SB_EEDaSZ_S10_SG_SL_EUlSZ_E_NS1_11comp_targetILNS1_3genE0ELNS1_11target_archE4294967295ELNS1_3gpuE0ELNS1_3repE0EEENS1_47radix_sort_onesweep_sort_config_static_selectorELNS0_4arch9wavefront6targetE0EEEvSG_
	.globl	_ZN7rocprim17ROCPRIM_400000_NS6detail17trampoline_kernelINS0_14default_configENS1_35radix_sort_onesweep_config_selectorIaNS0_10empty_typeEEEZZNS1_29radix_sort_onesweep_iterationIS3_Lb0EPKaPaPS5_SB_mNS0_19identity_decomposerENS1_16block_id_wrapperIjLb0EEEEE10hipError_tT1_PNSt15iterator_traitsISG_E10value_typeET2_T3_PNSH_ISM_E10value_typeET4_T5_PSR_SS_PNS1_23onesweep_lookback_stateEbbT6_jjT7_P12ihipStream_tbENKUlT_T0_SG_SL_E_clISA_SA_SB_SB_EEDaSZ_S10_SG_SL_EUlSZ_E_NS1_11comp_targetILNS1_3genE0ELNS1_11target_archE4294967295ELNS1_3gpuE0ELNS1_3repE0EEENS1_47radix_sort_onesweep_sort_config_static_selectorELNS0_4arch9wavefront6targetE0EEEvSG_
	.p2align	8
	.type	_ZN7rocprim17ROCPRIM_400000_NS6detail17trampoline_kernelINS0_14default_configENS1_35radix_sort_onesweep_config_selectorIaNS0_10empty_typeEEEZZNS1_29radix_sort_onesweep_iterationIS3_Lb0EPKaPaPS5_SB_mNS0_19identity_decomposerENS1_16block_id_wrapperIjLb0EEEEE10hipError_tT1_PNSt15iterator_traitsISG_E10value_typeET2_T3_PNSH_ISM_E10value_typeET4_T5_PSR_SS_PNS1_23onesweep_lookback_stateEbbT6_jjT7_P12ihipStream_tbENKUlT_T0_SG_SL_E_clISA_SA_SB_SB_EEDaSZ_S10_SG_SL_EUlSZ_E_NS1_11comp_targetILNS1_3genE0ELNS1_11target_archE4294967295ELNS1_3gpuE0ELNS1_3repE0EEENS1_47radix_sort_onesweep_sort_config_static_selectorELNS0_4arch9wavefront6targetE0EEEvSG_,@function
_ZN7rocprim17ROCPRIM_400000_NS6detail17trampoline_kernelINS0_14default_configENS1_35radix_sort_onesweep_config_selectorIaNS0_10empty_typeEEEZZNS1_29radix_sort_onesweep_iterationIS3_Lb0EPKaPaPS5_SB_mNS0_19identity_decomposerENS1_16block_id_wrapperIjLb0EEEEE10hipError_tT1_PNSt15iterator_traitsISG_E10value_typeET2_T3_PNSH_ISM_E10value_typeET4_T5_PSR_SS_PNS1_23onesweep_lookback_stateEbbT6_jjT7_P12ihipStream_tbENKUlT_T0_SG_SL_E_clISA_SA_SB_SB_EEDaSZ_S10_SG_SL_EUlSZ_E_NS1_11comp_targetILNS1_3genE0ELNS1_11target_archE4294967295ELNS1_3gpuE0ELNS1_3repE0EEENS1_47radix_sort_onesweep_sort_config_static_selectorELNS0_4arch9wavefront6targetE0EEEvSG_: ; @_ZN7rocprim17ROCPRIM_400000_NS6detail17trampoline_kernelINS0_14default_configENS1_35radix_sort_onesweep_config_selectorIaNS0_10empty_typeEEEZZNS1_29radix_sort_onesweep_iterationIS3_Lb0EPKaPaPS5_SB_mNS0_19identity_decomposerENS1_16block_id_wrapperIjLb0EEEEE10hipError_tT1_PNSt15iterator_traitsISG_E10value_typeET2_T3_PNSH_ISM_E10value_typeET4_T5_PSR_SS_PNS1_23onesweep_lookback_stateEbbT6_jjT7_P12ihipStream_tbENKUlT_T0_SG_SL_E_clISA_SA_SB_SB_EEDaSZ_S10_SG_SL_EUlSZ_E_NS1_11comp_targetILNS1_3genE0ELNS1_11target_archE4294967295ELNS1_3gpuE0ELNS1_3repE0EEENS1_47radix_sort_onesweep_sort_config_static_selectorELNS0_4arch9wavefront6targetE0EEEvSG_
; %bb.0:
	s_clause 0x3
	s_load_b96 s[16:18], s[0:1], 0x44
	s_load_b64 s[20:21], s[0:1], 0x38
	s_load_b128 s[12:15], s[0:1], 0x0
	s_load_b128 s[8:11], s[0:1], 0x28
	s_bfe_u32 s2, ttmp6, 0x4000c
	s_and_b32 s3, ttmp6, 15
	s_add_co_i32 s2, s2, 1
	s_getreg_b32 s4, hwreg(HW_REG_IB_STS2, 6, 4)
	s_mul_i32 s2, ttmp9, s2
	v_mul_u32_u24_e32 v6, 22, v0
	s_add_co_i32 s3, s3, s2
	s_cmp_eq_u32 s4, 0
	s_mov_b32 s23, 0
	s_cselect_b32 s19, ttmp9, s3
	s_mov_b32 s2, -1
	s_mul_i32 s22, s19, 0x5800
	s_wait_kmcnt 0x0
	s_cmp_ge_u32 s19, s18
	s_cbranch_scc0 .LBB493_112
; %bb.1:
	s_load_b32 s4, s[0:1], 0x20
	v_dual_mov_b32 v7, 0 :: v_dual_mov_b32 v24, 0x7f
	s_add_nc_u64 s[2:3], s[12:13], s[22:23]
	v_dual_mov_b32 v1, 0x7f :: v_dual_mov_b32 v22, 0x7f
	s_delay_alu instid0(VALU_DEP_2)
	v_add_nc_u64_e32 v[2:3], s[2:3], v[6:7]
	v_dual_mov_b32 v25, 0x7f :: v_dual_mov_b32 v20, 0x7f
	v_dual_mov_b32 v23, 0x7f :: v_dual_mov_b32 v18, 0x7f
	;; [unrolled: 1-line block ×8, first 2 shown]
	v_mov_b32_e32 v9, 0x7f
	v_mov_b32_e32 v7, 0x7f
	;; [unrolled: 1-line block ×3, first 2 shown]
	s_mul_i32 s5, s18, 0xffffa800
	s_mov_b32 s2, exec_lo
	s_wait_kmcnt 0x0
	s_add_co_i32 s18, s4, s5
	s_delay_alu instid0(SALU_CYCLE_1)
	v_cmpx_gt_u32_e64 s18, v6
	s_cbranch_execz .LBB493_3
; %bb.2:
	global_load_u8 v25, v[2:3], off
	v_dual_mov_b32 v1, 0x7f :: v_dual_mov_b32 v24, 0x7f
	v_dual_mov_b32 v23, 0x7f :: v_dual_mov_b32 v22, 0x7f
	;; [unrolled: 1-line block ×10, first 2 shown]
	v_mov_b32_e32 v5, 0x7f
.LBB493_3:
	s_wait_xcnt 0x0
	s_or_b32 exec_lo, exec_lo, s2
	v_or_b32_e32 v26, 1, v6
	s_mov_b32 s2, exec_lo
	s_delay_alu instid0(VALU_DEP_1)
	v_cmpx_gt_u32_e64 s18, v26
	s_cbranch_execz .LBB493_5
; %bb.4:
	global_load_u8 v24, v[2:3], off offset:1
.LBB493_5:
	s_wait_xcnt 0x0
	s_or_b32 exec_lo, exec_lo, s2
	v_add_nc_u32_e32 v26, 2, v6
	s_mov_b32 s2, exec_lo
	s_delay_alu instid0(VALU_DEP_1)
	v_cmpx_gt_u32_e64 s18, v26
	s_cbranch_execz .LBB493_7
; %bb.6:
	global_load_u8 v23, v[2:3], off offset:2
.LBB493_7:
	s_wait_xcnt 0x0
	s_or_b32 exec_lo, exec_lo, s2
	v_add_nc_u32_e32 v26, 3, v6
	;; [unrolled: 10-line block ×20, first 2 shown]
	s_mov_b32 s2, exec_lo
	s_delay_alu instid0(VALU_DEP_1)
	v_cmpx_gt_u32_e64 s18, v26
	s_cbranch_execz .LBB493_45
; %bb.44:
	global_load_u8 v1, v[2:3], off offset:21
.LBB493_45:
	s_wait_xcnt 0x0
	s_or_b32 exec_lo, exec_lo, s2
	s_wait_loadcnt 0x0
	v_xor_b32_e32 v25, 0xffffff80, v25
	s_lshl_b32 s23, -1, s17
	v_xor_b32_e32 v24, 0xffffff80, v24
	v_xor_b32_e32 v23, 0xffffff80, v23
	;; [unrolled: 1-line block ×3, first 2 shown]
	v_and_b32_e32 v2, 0xff, v25
	v_xor_b32_e32 v21, 0xffffff80, v21
	v_and_b32_e32 v28, 0xff, v24
	v_xor_b32_e32 v20, 0xffffff80, v20
	v_and_b32_e32 v30, 0xff, v22
	v_dual_lshrrev_b32 v2, s16, v2 :: v_dual_lshlrev_b32 v26, 2, v0
	v_xor_b32_e32 v19, 0xffffff80, v19
	v_xor_b32_e32 v18, 0xffffff80, v18
	;; [unrolled: 1-line block ×3, first 2 shown]
	s_delay_alu instid0(VALU_DEP_4)
	v_bitop3_b32 v2, v2, s23, v2 bitop3:0x30
	v_xor_b32_e32 v16, 0xffffff80, v16
	v_xor_b32_e32 v15, 0xffffff80, v15
	;; [unrolled: 1-line block ×4, first 2 shown]
	v_dual_lshlrev_b32 v3, 10, v2 :: v_dual_lshrrev_b32 v2, 2, v2
	v_mov_b32_e32 v27, 0
	v_xor_b32_e32 v12, 0xffffff80, v12
	v_xor_b32_e32 v11, 0xffffff80, v11
	s_delay_alu instid0(VALU_DEP_4)
	v_and_or_b32 v3, 0x1c00, v3, v0
	v_and_b32_e32 v2, 62, v2
	ds_store_2addr_stride64_b32 v26, v27, v27 offset1:16
	ds_store_2addr_stride64_b32 v26, v27, v27 offset0:32 offset1:48
	ds_store_2addr_stride64_b32 v26, v27, v27 offset0:64 offset1:80
	;; [unrolled: 1-line block ×3, first 2 shown]
	v_xor_b32_e32 v10, 0xffffff80, v10
	v_xor_b32_e32 v9, 0xffffff80, v9
	v_lshl_add_u32 v2, v3, 2, v2
	v_lshrrev_b32_e32 v3, s16, v28
	v_and_b32_e32 v28, 0xff, v23
	v_xor_b32_e32 v8, 0xffffff80, v8
	v_xor_b32_e32 v7, 0xffffff80, v7
	ds_load_u16 v26, v2
	s_mov_b32 s7, exec_lo
	v_lshrrev_b32_e32 v28, s16, v28
	v_bitop3_b32 v3, v3, s23, v3 bitop3:0x30
	s_delay_alu instid0(VALU_DEP_2) | instskip(NEXT) | instid1(VALU_DEP_2)
	v_bitop3_b32 v28, v28, s23, v28 bitop3:0x30
	v_dual_lshlrev_b32 v27, 10, v3 :: v_dual_lshrrev_b32 v3, 2, v3
	s_delay_alu instid0(VALU_DEP_1) | instskip(NEXT) | instid1(VALU_DEP_2)
	v_and_or_b32 v27, 0x1c00, v27, v0
	v_and_b32_e32 v3, 62, v3
	s_wait_dscnt 0x0
	v_add_nc_u16 v29, v26, 1
	ds_store_b16 v2, v29
	v_lshlrev_b32_e32 v29, 10, v28
	v_lshl_add_u32 v3, v27, 2, v3
	v_lshrrev_b32_e32 v28, 2, v28
	s_delay_alu instid0(VALU_DEP_3) | instskip(SKIP_2) | instid1(VALU_DEP_1)
	v_and_or_b32 v29, 0x1c00, v29, v0
	ds_load_u16 v27, v3
	v_and_b32_e32 v28, 62, v28
	v_lshl_add_u32 v34, v29, 2, v28
	v_lshrrev_b32_e32 v29, s16, v30
	s_delay_alu instid0(VALU_DEP_1) | instskip(NEXT) | instid1(VALU_DEP_1)
	v_bitop3_b32 v29, v29, s23, v29 bitop3:0x30
	v_lshlrev_b32_e32 v30, 10, v29
	s_wait_dscnt 0x0
	v_add_nc_u16 v31, v27, 1
	s_delay_alu instid0(VALU_DEP_2) | instskip(SKIP_4) | instid1(VALU_DEP_1)
	v_and_or_b32 v30, 0x1c00, v30, v0
	ds_store_b16 v3, v31
	ds_load_u16 v28, v34
	v_and_b32_e32 v31, 0xff, v21
	v_lshrrev_b32_e32 v29, 2, v29
	v_and_b32_e32 v29, 62, v29
	s_delay_alu instid0(VALU_DEP_1) | instskip(NEXT) | instid1(VALU_DEP_4)
	v_lshl_add_u32 v36, v30, 2, v29
	v_lshrrev_b32_e32 v30, s16, v31
	s_delay_alu instid0(VALU_DEP_1) | instskip(SKIP_2) | instid1(VALU_DEP_2)
	v_bitop3_b32 v30, v30, s23, v30 bitop3:0x30
	s_wait_dscnt 0x0
	v_add_nc_u16 v32, v28, 1
	v_lshlrev_b32_e32 v31, 10, v30
	ds_store_b16 v34, v32
	ds_load_u16 v29, v36
	v_and_b32_e32 v32, 0xff, v20
	v_lshrrev_b32_e32 v30, 2, v30
	v_and_or_b32 v31, 0x1c00, v31, v0
	s_delay_alu instid0(VALU_DEP_2) | instskip(NEXT) | instid1(VALU_DEP_1)
	v_and_b32_e32 v30, 62, v30
	v_lshl_add_u32 v38, v31, 2, v30
	v_lshrrev_b32_e32 v31, s16, v32
	s_delay_alu instid0(VALU_DEP_1) | instskip(SKIP_2) | instid1(VALU_DEP_2)
	v_bitop3_b32 v31, v31, s23, v31 bitop3:0x30
	s_wait_dscnt 0x0
	v_add_nc_u16 v33, v29, 1
	v_lshlrev_b32_e32 v32, 10, v31
	ds_store_b16 v36, v33
	ds_load_u16 v30, v38
	v_and_b32_e32 v33, 0xff, v19
	v_lshrrev_b32_e32 v31, 2, v31
	v_and_or_b32 v32, 0x1c00, v32, v0
	s_delay_alu instid0(VALU_DEP_2) | instskip(NEXT) | instid1(VALU_DEP_1)
	v_and_b32_e32 v31, 62, v31
	;; [unrolled: 14-line block ×3, first 2 shown]
	v_lshl_add_u32 v42, v33, 2, v32
	v_lshrrev_b32_e32 v33, s16, v35
	s_delay_alu instid0(VALU_DEP_1) | instskip(SKIP_2) | instid1(VALU_DEP_2)
	v_bitop3_b32 v33, v33, s23, v33 bitop3:0x30
	s_wait_dscnt 0x0
	v_add_nc_u16 v37, v31, 1
	v_dual_lshlrev_b32 v35, 10, v33 :: v_dual_lshrrev_b32 v33, 2, v33
	ds_store_b16 v40, v37
	ds_load_u16 v32, v42
	v_and_b32_e32 v37, 0xff, v17
	v_and_or_b32 v35, 0x1c00, v35, v0
	v_and_b32_e32 v33, 62, v33
	s_delay_alu instid0(VALU_DEP_1)
	v_lshl_add_u32 v45, v35, 2, v33
	s_wait_dscnt 0x0
	v_add_nc_u16 v39, v32, 1
	ds_store_b16 v42, v39
	ds_load_u16 v33, v45
	v_and_b32_e32 v39, 0xff, v16
	v_lshrrev_b32_e32 v35, s16, v37
	s_delay_alu instid0(VALU_DEP_1) | instskip(NEXT) | instid1(VALU_DEP_1)
	v_bitop3_b32 v35, v35, s23, v35 bitop3:0x30
	v_dual_lshlrev_b32 v37, 10, v35 :: v_dual_lshrrev_b32 v35, 2, v35
	s_delay_alu instid0(VALU_DEP_1) | instskip(NEXT) | instid1(VALU_DEP_2)
	v_and_or_b32 v37, 0x1c00, v37, v0
	v_and_b32_e32 v35, 62, v35
	s_wait_dscnt 0x0
	v_add_nc_u16 v41, v33, 1
	s_delay_alu instid0(VALU_DEP_2)
	v_lshl_add_u32 v48, v37, 2, v35
	v_lshrrev_b32_e32 v37, s16, v39
	ds_store_b16 v45, v41
	v_and_b32_e32 v41, 0xff, v15
	ds_load_u16 v35, v48
	v_bitop3_b32 v37, v37, s23, v37 bitop3:0x30
	s_delay_alu instid0(VALU_DEP_1) | instskip(NEXT) | instid1(VALU_DEP_1)
	v_dual_lshlrev_b32 v39, 10, v37 :: v_dual_lshrrev_b32 v37, 2, v37
	v_and_or_b32 v39, 0x1c00, v39, v0
	s_delay_alu instid0(VALU_DEP_2) | instskip(NEXT) | instid1(VALU_DEP_1)
	v_and_b32_e32 v37, 62, v37
	v_lshl_add_u32 v51, v39, 2, v37
	s_wait_dscnt 0x0
	v_add_nc_u16 v43, v35, 1
	ds_store_b16 v48, v43
	ds_load_u16 v37, v51
	v_and_b32_e32 v43, 0xff, v14
	v_lshrrev_b32_e32 v39, s16, v41
	s_delay_alu instid0(VALU_DEP_1) | instskip(NEXT) | instid1(VALU_DEP_1)
	v_bitop3_b32 v39, v39, s23, v39 bitop3:0x30
	v_dual_lshlrev_b32 v41, 10, v39 :: v_dual_lshrrev_b32 v39, 2, v39
	s_delay_alu instid0(VALU_DEP_1) | instskip(NEXT) | instid1(VALU_DEP_2)
	v_and_or_b32 v41, 0x1c00, v41, v0
	v_and_b32_e32 v39, 62, v39
	s_wait_dscnt 0x0
	v_add_nc_u16 v44, v37, 1
	s_delay_alu instid0(VALU_DEP_2)
	v_lshl_add_u32 v53, v41, 2, v39
	v_lshrrev_b32_e32 v41, s16, v43
	ds_store_b16 v51, v44
	v_and_b32_e32 v44, 0xff, v13
	ds_load_u16 v39, v53
	v_bitop3_b32 v41, v41, s23, v41 bitop3:0x30
	s_delay_alu instid0(VALU_DEP_1) | instskip(NEXT) | instid1(VALU_DEP_1)
	v_dual_lshlrev_b32 v43, 10, v41 :: v_dual_lshrrev_b32 v41, 2, v41
	v_and_or_b32 v43, 0x1c00, v43, v0
	s_delay_alu instid0(VALU_DEP_2) | instskip(NEXT) | instid1(VALU_DEP_1)
	v_and_b32_e32 v41, 62, v41
	v_lshl_add_u32 v55, v43, 2, v41
	v_lshrrev_b32_e32 v43, s16, v44
	s_wait_dscnt 0x0
	v_add_nc_u16 v46, v39, 1
	s_delay_alu instid0(VALU_DEP_2) | instskip(SKIP_4) | instid1(VALU_DEP_1)
	v_bitop3_b32 v43, v43, s23, v43 bitop3:0x30
	ds_store_b16 v53, v46
	ds_load_u16 v41, v55
	v_and_b32_e32 v46, 0xff, v12
	v_dual_lshlrev_b32 v44, 10, v43 :: v_dual_lshrrev_b32 v43, 2, v43
	v_and_or_b32 v44, 0x1c00, v44, v0
	s_delay_alu instid0(VALU_DEP_2) | instskip(NEXT) | instid1(VALU_DEP_1)
	v_and_b32_e32 v43, 62, v43
	v_lshl_add_u32 v57, v44, 2, v43
	v_lshrrev_b32_e32 v44, s16, v46
	s_delay_alu instid0(VALU_DEP_1) | instskip(SKIP_2) | instid1(VALU_DEP_2)
	v_bitop3_b32 v44, v44, s23, v44 bitop3:0x30
	s_wait_dscnt 0x0
	v_add_nc_u16 v47, v41, 1
	v_lshlrev_b32_e32 v46, 10, v44
	ds_store_b16 v55, v47
	ds_load_u16 v43, v57
	v_lshrrev_b32_e32 v44, 2, v44
	v_and_b32_e32 v47, 0xff, v11
	v_and_or_b32 v46, 0x1c00, v46, v0
	s_delay_alu instid0(VALU_DEP_3) | instskip(NEXT) | instid1(VALU_DEP_1)
	v_and_b32_e32 v44, 62, v44
	v_lshl_add_u32 v58, v46, 2, v44
	s_delay_alu instid0(VALU_DEP_4) | instskip(NEXT) | instid1(VALU_DEP_1)
	v_lshrrev_b32_e32 v44, s16, v47
	v_bitop3_b32 v44, v44, s23, v44 bitop3:0x30
	s_wait_dscnt 0x0
	v_add_nc_u16 v49, v43, 1
	s_delay_alu instid0(VALU_DEP_2)
	v_dual_lshlrev_b32 v47, 10, v44 :: v_dual_lshrrev_b32 v44, 2, v44
	ds_store_b16 v57, v49
	ds_load_u16 v46, v58
	v_and_or_b32 v47, 0x1c00, v47, v0
	v_and_b32_e32 v44, 62, v44
	v_and_b32_e32 v49, 0xff, v10
	s_delay_alu instid0(VALU_DEP_2) | instskip(NEXT) | instid1(VALU_DEP_2)
	v_lshl_add_u32 v60, v47, 2, v44
	v_lshrrev_b32_e32 v44, s16, v49
	s_delay_alu instid0(VALU_DEP_1) | instskip(NEXT) | instid1(VALU_DEP_1)
	v_bitop3_b32 v44, v44, s23, v44 bitop3:0x30
	v_dual_lshlrev_b32 v47, 10, v44 :: v_dual_lshrrev_b32 v44, 2, v44
	s_wait_dscnt 0x0
	v_add_nc_u16 v50, v46, 1
	s_delay_alu instid0(VALU_DEP_2) | instskip(NEXT) | instid1(VALU_DEP_3)
	v_and_or_b32 v47, 0x1c00, v47, v0
	v_and_b32_e32 v44, 62, v44
	ds_store_b16 v58, v50
	ds_load_u16 v49, v60
	v_and_b32_e32 v50, 0xff, v9
	v_lshl_add_u32 v62, v47, 2, v44
	s_delay_alu instid0(VALU_DEP_2) | instskip(SKIP_1) | instid1(VALU_DEP_2)
	v_lshrrev_b32_e32 v44, s16, v50
	v_and_b32_e32 v50, 0xff, v8
	v_bitop3_b32 v44, v44, s23, v44 bitop3:0x30
	s_delay_alu instid0(VALU_DEP_1) | instskip(SKIP_2) | instid1(VALU_DEP_2)
	v_dual_lshlrev_b32 v47, 10, v44 :: v_dual_lshrrev_b32 v44, 2, v44
	s_wait_dscnt 0x0
	v_add_nc_u16 v52, v49, 1
	v_and_or_b32 v47, 0x1c00, v47, v0
	s_delay_alu instid0(VALU_DEP_3)
	v_and_b32_e32 v44, 62, v44
	ds_store_b16 v60, v52
	ds_load_u16 v52, v62
	v_lshl_add_u32 v63, v47, 2, v44
	v_lshrrev_b32_e32 v44, s16, v50
	v_and_b32_e32 v50, 0xff, v7
	s_delay_alu instid0(VALU_DEP_2) | instskip(NEXT) | instid1(VALU_DEP_1)
	v_bitop3_b32 v44, v44, s23, v44 bitop3:0x30
	v_dual_lshlrev_b32 v47, 10, v44 :: v_dual_lshrrev_b32 v44, 2, v44
	s_delay_alu instid0(VALU_DEP_1) | instskip(NEXT) | instid1(VALU_DEP_2)
	v_and_or_b32 v47, 0x1c00, v47, v0
	v_and_b32_e32 v44, 62, v44
	s_wait_dscnt 0x0
	v_add_nc_u16 v54, v52, 1
	s_delay_alu instid0(VALU_DEP_2) | instskip(SKIP_4) | instid1(VALU_DEP_1)
	v_lshl_add_u32 v64, v47, 2, v44
	v_lshrrev_b32_e32 v44, s16, v50
	ds_store_b16 v62, v54
	ds_load_u16 v54, v63
	v_bitop3_b32 v44, v44, s23, v44 bitop3:0x30
	v_dual_lshlrev_b32 v47, 10, v44 :: v_dual_lshrrev_b32 v50, 2, v44
	v_xor_b32_e32 v44, 0xffffff80, v5
	s_delay_alu instid0(VALU_DEP_2) | instskip(NEXT) | instid1(VALU_DEP_3)
	v_and_or_b32 v5, 0x1c00, v47, v0
	v_and_b32_e32 v47, 62, v50
	s_delay_alu instid0(VALU_DEP_3) | instskip(NEXT) | instid1(VALU_DEP_2)
	v_and_b32_e32 v50, 0xff, v44
	v_lshl_add_u32 v65, v5, 2, v47
	s_wait_dscnt 0x0
	v_add_nc_u16 v56, v54, 1
	s_delay_alu instid0(VALU_DEP_3) | instskip(SKIP_3) | instid1(VALU_DEP_1)
	v_lshrrev_b32_e32 v47, s16, v50
	ds_store_b16 v63, v56
	ds_load_u16 v56, v64
	v_bitop3_b32 v47, v47, s23, v47 bitop3:0x30
	v_lshlrev_b32_e32 v50, 10, v47
	s_wait_dscnt 0x0
	v_add_nc_u16 v59, v56, 1
	ds_store_b16 v64, v59
	ds_load_u16 v5, v65
	v_lshrrev_b32_e32 v59, 2, v47
	v_xor_b32_e32 v47, 0xffffff80, v4
	v_and_or_b32 v4, 0x1c00, v50, v0
	s_delay_alu instid0(VALU_DEP_3) | instskip(NEXT) | instid1(VALU_DEP_3)
	v_and_b32_e32 v50, 62, v59
	v_and_b32_e32 v59, 0xff, v47
	s_delay_alu instid0(VALU_DEP_2) | instskip(NEXT) | instid1(VALU_DEP_2)
	v_lshl_add_u32 v4, v4, 2, v50
	v_lshrrev_b32_e32 v50, s16, v59
	s_delay_alu instid0(VALU_DEP_1) | instskip(SKIP_2) | instid1(VALU_DEP_2)
	v_bitop3_b32 v50, v50, s23, v50 bitop3:0x30
	s_wait_dscnt 0x0
	v_add_nc_u16 v61, v5, 1
	v_lshrrev_b32_e32 v66, 2, v50
	ds_store_b16 v65, v61
	ds_load_u16 v59, v4
	v_lshlrev_b32_e32 v61, 10, v50
	v_xor_b32_e32 v50, 0xffffff80, v1
	s_delay_alu instid0(VALU_DEP_2) | instskip(SKIP_1) | instid1(VALU_DEP_3)
	v_and_or_b32 v1, 0x1c00, v61, v0
	v_and_b32_e32 v61, 62, v66
	v_and_b32_e32 v67, 0xff, v50
	s_delay_alu instid0(VALU_DEP_2) | instskip(NEXT) | instid1(VALU_DEP_2)
	v_lshl_add_u32 v66, v1, 2, v61
	v_lshrrev_b32_e32 v61, s16, v67
	s_delay_alu instid0(VALU_DEP_1) | instskip(SKIP_2) | instid1(VALU_DEP_2)
	v_bitop3_b32 v61, v61, s23, v61 bitop3:0x30
	s_wait_dscnt 0x0
	v_add_nc_u16 v68, v59, 1
	v_dual_lshlrev_b32 v67, 10, v61 :: v_dual_lshrrev_b32 v61, 2, v61
	ds_store_b16 v4, v68
	ds_load_u16 v1, v66
	v_and_or_b32 v67, 0x1c00, v67, v0
	v_and_b32_e32 v61, 62, v61
	s_delay_alu instid0(VALU_DEP_1)
	v_lshl_add_u32 v67, v67, 2, v61
	s_wait_dscnt 0x0
	v_add_nc_u16 v68, v1, 1
	ds_store_b16 v66, v68
	ds_load_u16 v61, v67
	v_lshlrev_b32_e32 v68, 5, v0
	s_wait_dscnt 0x0
	v_add_nc_u16 v69, v61, 1
	ds_store_b16 v67, v69
	s_wait_dscnt 0x0
	s_barrier_signal -1
	s_barrier_wait -1
	ds_load_2addr_b64 v[70:73], v68 offset1:1
	ds_load_2addr_b64 v[74:77], v68 offset0:2 offset1:3
	s_wait_dscnt 0x1
	v_add_nc_u32_e32 v69, v71, v70
	s_delay_alu instid0(VALU_DEP_1) | instskip(SKIP_2) | instid1(VALU_DEP_2)
	v_add3_u32 v69, v69, v72, v73
	v_and_b32_e32 v73, 31, v0
	s_wait_dscnt 0x0
	v_add3_u32 v70, v69, v74, v75
	v_mbcnt_lo_u32_b32 v69, -1, 0
	s_delay_alu instid0(VALU_DEP_2) | instskip(NEXT) | instid1(VALU_DEP_2)
	v_add3_u32 v70, v70, v76, v77
	v_and_b32_e32 v71, 15, v69
	s_delay_alu instid0(VALU_DEP_2) | instskip(NEXT) | instid1(VALU_DEP_2)
	v_mov_b32_dpp v72, v70 row_shr:1 row_mask:0xf bank_mask:0xf
	v_cmp_eq_u32_e32 vcc_lo, 0, v71
	s_delay_alu instid0(VALU_DEP_2) | instskip(NEXT) | instid1(VALU_DEP_1)
	v_cndmask_b32_e64 v72, v72, 0, vcc_lo
	v_add_nc_u32_e32 v70, v72, v70
	v_cmp_lt_u32_e64 s2, 1, v71
	v_cmp_lt_u32_e64 s3, 3, v71
	;; [unrolled: 1-line block ×3, first 2 shown]
	s_delay_alu instid0(VALU_DEP_4) | instskip(NEXT) | instid1(VALU_DEP_1)
	v_mov_b32_dpp v72, v70 row_shr:2 row_mask:0xf bank_mask:0xf
	v_cndmask_b32_e64 v72, 0, v72, s2
	s_delay_alu instid0(VALU_DEP_1) | instskip(NEXT) | instid1(VALU_DEP_1)
	v_add_nc_u32_e32 v70, v70, v72
	v_mov_b32_dpp v72, v70 row_shr:4 row_mask:0xf bank_mask:0xf
	s_delay_alu instid0(VALU_DEP_1) | instskip(NEXT) | instid1(VALU_DEP_1)
	v_cndmask_b32_e64 v72, 0, v72, s3
	v_add_nc_u32_e32 v70, v70, v72
	s_delay_alu instid0(VALU_DEP_1) | instskip(NEXT) | instid1(VALU_DEP_1)
	v_mov_b32_dpp v72, v70 row_shr:8 row_mask:0xf bank_mask:0xf
	v_cndmask_b32_e64 v71, 0, v72, s4
	v_bfe_i32 v72, v69, 4, 1
	s_delay_alu instid0(VALU_DEP_2) | instskip(SKIP_4) | instid1(VALU_DEP_2)
	v_add_nc_u32_e32 v70, v70, v71
	ds_swizzle_b32 v71, v70 offset:swizzle(BROADCAST,32,15)
	s_wait_dscnt 0x0
	v_and_b32_e32 v71, v72, v71
	v_dual_lshrrev_b32 v72, 5, v0 :: v_dual_bitop2_b32 v74, 16, v69 bitop3:0x40
	v_add_nc_u32_e32 v70, v70, v71
	s_delay_alu instid0(VALU_DEP_2) | instskip(NEXT) | instid1(VALU_DEP_3)
	v_cmp_eq_u32_e64 s5, 0, v74
	v_lshlrev_b32_e32 v71, 2, v72
	v_cmpx_eq_u32_e32 31, v73
; %bb.46:
	ds_store_b32 v71, v70 offset:32768
; %bb.47:
	s_or_b32 exec_lo, exec_lo, s7
	v_cmp_lt_u32_e64 s6, 31, v0
	s_mov_b32 s24, exec_lo
	s_wait_dscnt 0x0
	s_barrier_signal -1
	s_barrier_wait -1
	v_cmpx_gt_u32_e32 32, v0
	s_cbranch_execz .LBB493_49
; %bb.48:
	v_mad_i32_i24 v72, 0xffffffe4, v0, v68
	ds_load_b32 v73, v72 offset:32768
	s_wait_dscnt 0x0
	v_mov_b32_dpp v74, v73 row_shr:1 row_mask:0xf bank_mask:0xf
	s_delay_alu instid0(VALU_DEP_1) | instskip(NEXT) | instid1(VALU_DEP_1)
	v_cndmask_b32_e64 v74, v74, 0, vcc_lo
	v_add_nc_u32_e32 v73, v74, v73
	s_delay_alu instid0(VALU_DEP_1) | instskip(NEXT) | instid1(VALU_DEP_1)
	v_mov_b32_dpp v74, v73 row_shr:2 row_mask:0xf bank_mask:0xf
	v_cndmask_b32_e64 v74, 0, v74, s2
	s_delay_alu instid0(VALU_DEP_1) | instskip(NEXT) | instid1(VALU_DEP_1)
	v_add_nc_u32_e32 v73, v73, v74
	v_mov_b32_dpp v74, v73 row_shr:4 row_mask:0xf bank_mask:0xf
	s_delay_alu instid0(VALU_DEP_1) | instskip(NEXT) | instid1(VALU_DEP_1)
	v_cndmask_b32_e64 v74, 0, v74, s3
	v_add_nc_u32_e32 v73, v73, v74
	s_delay_alu instid0(VALU_DEP_1) | instskip(NEXT) | instid1(VALU_DEP_1)
	v_mov_b32_dpp v74, v73 row_shr:8 row_mask:0xf bank_mask:0xf
	v_cndmask_b32_e64 v74, 0, v74, s4
	s_delay_alu instid0(VALU_DEP_1) | instskip(SKIP_3) | instid1(VALU_DEP_1)
	v_add_nc_u32_e32 v73, v73, v74
	ds_swizzle_b32 v74, v73 offset:swizzle(BROADCAST,32,15)
	s_wait_dscnt 0x0
	v_cndmask_b32_e64 v74, v74, 0, s5
	v_add_nc_u32_e32 v73, v73, v74
	ds_store_b32 v72, v73 offset:32768
.LBB493_49:
	s_or_b32 exec_lo, exec_lo, s24
	v_dual_mov_b32 v73, 0 :: v_dual_mov_b32 v72, 0
	s_wait_dscnt 0x0
	s_barrier_signal -1
	s_barrier_wait -1
	s_and_saveexec_b32 s2, s6
; %bb.50:
	ds_load_b32 v72, v71 offset:32764
; %bb.51:
	s_or_b32 exec_lo, exec_lo, s2
	v_sub_co_u32 v71, vcc_lo, v69, 1
	s_wait_dscnt 0x0
	v_add_nc_u32_e32 v70, v72, v70
	s_delay_alu instid0(VALU_DEP_2) | instskip(NEXT) | instid1(VALU_DEP_1)
	v_cmp_gt_i32_e64 s2, 0, v71
	v_cndmask_b32_e64 v69, v71, v69, s2
	v_cmp_gt_u32_e64 s2, 16, v0
	s_delay_alu instid0(VALU_DEP_2)
	v_lshlrev_b32_e32 v69, 2, v69
	ds_bpermute_b32 v69, v69, v70
	ds_load_b32 v70, v73 offset:32892
	ds_load_2addr_b64 v[74:77], v68 offset1:1
	ds_load_b32 v78, v68 offset:24
	s_wait_dscnt 0x3
	v_cndmask_b32_e32 v69, v69, v72, vcc_lo
	ds_load_b64 v[72:73], v68 offset:16
	v_cmp_lt_u32_e32 vcc_lo, 15, v0
	s_wait_dscnt 0x3
	v_lshl_add_u32 v70, v70, 16, v69
	s_wait_dscnt 0x2
	s_delay_alu instid0(VALU_DEP_1) | instskip(NEXT) | instid1(VALU_DEP_1)
	v_add_nc_u32_e32 v71, v70, v74
	v_add_nc_u32_e32 v74, v75, v71
	s_delay_alu instid0(VALU_DEP_1) | instskip(NEXT) | instid1(VALU_DEP_1)
	v_add_nc_u32_e32 v75, v76, v74
	v_add_nc_u32_e32 v76, v77, v75
	s_wait_dscnt 0x0
	s_delay_alu instid0(VALU_DEP_1) | instskip(NEXT) | instid1(VALU_DEP_1)
	v_add_nc_u32_e32 v77, v72, v76
	v_add_nc_u32_e32 v72, v73, v77
	s_delay_alu instid0(VALU_DEP_1)
	v_add_nc_u32_e32 v73, v78, v72
	ds_store_2addr_b64 v68, v[70:71], v[74:75] offset1:1
	ds_store_2addr_b64 v68, v[76:77], v[72:73] offset0:2 offset1:3
	s_wait_dscnt 0x0
	s_barrier_signal -1
	s_barrier_wait -1
	ds_load_u16 v68, v2
	ds_load_u16 v69, v3
	;; [unrolled: 1-line block ×22, first 2 shown]
	v_mov_b64_e32 v[2:3], 0
                                        ; implicit-def: $vgpr4
	s_and_saveexec_b32 s4, s2
	s_cbranch_execz .LBB493_55
; %bb.52:
	v_dual_lshlrev_b32 v2, 12, v0 :: v_dual_lshrrev_b32 v3, 2, v0
	v_add_nc_u32_e32 v4, 1, v0
	s_mov_b32 s5, exec_lo
	s_delay_alu instid0(VALU_DEP_2)
	v_bitop3_b32 v2, v2, 0x70fe, v3 bitop3:0xc8
	v_mov_b32_e32 v3, 0x5800
	ds_load_u16 v2, v2
	v_cmpx_ne_u32_e32 16, v4
; %bb.53:
	v_dual_lshlrev_b32 v3, 12, v4 :: v_dual_lshrrev_b32 v4, 2, v4
	s_delay_alu instid0(VALU_DEP_1)
	v_bitop3_b32 v3, v3, 0x71fe, v4 bitop3:0xc8
	ds_load_u16 v3, v3
; %bb.54:
	s_or_b32 exec_lo, exec_lo, s5
	s_wait_dscnt 0x0
	v_and_b32_e32 v2, 0xffff, v2
	s_mov_b32 s3, 0
	s_delay_alu instid0(VALU_DEP_1) | instid1(SALU_CYCLE_1)
	v_dual_mov_b32 v3, s3 :: v_dual_sub_nc_u32 v4, v3, v2
.LBB493_55:
	s_or_b32 exec_lo, exec_lo, s4
	s_wait_dscnt 0x15
	v_and_b32_e32 v68, 0xffff, v68
	v_and_b32_e32 v26, 0xffff, v26
	s_wait_dscnt 0x14
	v_and_b32_e32 v69, 0xffff, v69
	v_and_b32_e32 v27, 0xffff, v27
	;; [unrolled: 3-line block ×4, first 2 shown]
	v_dual_add_nc_u32 v26, v68, v26 :: v_dual_add_nc_u32 v27, v69, v27
	s_wait_dscnt 0x11
	v_and_b32_e32 v38, 0xffff, v38
	v_and_b32_e32 v30, 0xffff, v30
	s_wait_dscnt 0x10
	v_and_b32_e32 v40, 0xffff, v40
	v_and_b32_e32 v31, 0xffff, v31
	v_add_nc_u32_e32 v28, v34, v28
	s_wait_dscnt 0xf
	v_and_b32_e32 v42, 0xffff, v42
	v_and_b32_e32 v32, 0xffff, v32
	s_wait_dscnt 0xe
	v_and_b32_e32 v45, 0xffff, v45
	v_and_b32_e32 v33, 0xffff, v33
	;; [unrolled: 3-line block ×3, first 2 shown]
	s_wait_dscnt 0x0
	s_barrier_signal -1
	s_barrier_wait -1
	ds_store_b8 v26, v25 offset:128
	ds_store_b8 v27, v24 offset:128
	;; [unrolled: 1-line block ×3, first 2 shown]
	v_add_nc_u32_e32 v23, v36, v29
	v_and_b32_e32 v51, 0xffff, v51
	v_and_b32_e32 v37, 0xffff, v37
	v_dual_add_nc_u32 v24, v38, v30 :: v_dual_add_nc_u32 v25, v40, v31
	v_and_b32_e32 v53, 0xffff, v53
	v_and_b32_e32 v39, 0xffff, v39
	v_and_b32_e32 v55, 0xffff, v55
	v_and_b32_e32 v41, 0xffff, v41
	v_dual_add_nc_u32 v26, v42, v32 :: v_dual_add_nc_u32 v27, v45, v33
	v_and_b32_e32 v57, 0xffff, v57
	v_and_b32_e32 v43, 0xffff, v43
	;; [unrolled: 1-line block ×4, first 2 shown]
	ds_store_b8 v23, v22 offset:128
	ds_store_b8 v24, v21 offset:128
	;; [unrolled: 1-line block ×5, first 2 shown]
	v_dual_add_nc_u32 v18, v48, v35 :: v_dual_add_nc_u32 v19, v51, v37
	v_and_b32_e32 v60, 0xffff, v60
	v_and_b32_e32 v49, 0xffff, v49
	;; [unrolled: 1-line block ×4, first 2 shown]
	v_dual_add_nc_u32 v20, v53, v39 :: v_dual_add_nc_u32 v21, v55, v41
	v_and_b32_e32 v63, 0xffff, v63
	v_and_b32_e32 v54, 0xffff, v54
	;; [unrolled: 1-line block ×4, first 2 shown]
	v_add_nc_u32_e32 v22, v57, v43
	ds_store_b8 v18, v17 offset:128
	ds_store_b8 v19, v16 offset:128
	ds_store_b8 v20, v15 offset:128
	ds_store_b8 v21, v14 offset:128
	ds_store_b8 v22, v13 offset:128
	v_dual_add_nc_u32 v13, v58, v46 :: v_dual_add_nc_u32 v14, v60, v49
	v_dual_add_nc_u32 v15, v62, v52 :: v_dual_add_nc_u32 v16, v63, v54
	v_add_nc_u32_e32 v17, v64, v56
	v_and_b32_e32 v65, 0xffff, v65
	v_and_b32_e32 v66, 0xffff, v66
	;; [unrolled: 1-line block ×4, first 2 shown]
	ds_store_b8 v13, v12 offset:128
	ds_store_b8 v14, v11 offset:128
	;; [unrolled: 1-line block ×5, first 2 shown]
	v_mov_b32_e32 v9, 0
	v_and_b32_e32 v70, 0xffff, v70
	v_and_b32_e32 v59, 0xffff, v59
	;; [unrolled: 1-line block ×4, first 2 shown]
	v_add_nc_u32_e32 v8, v65, v5
	v_dual_add_nc_u32 v11, v66, v1 :: v_dual_mov_b32 v1, v9
	v_dual_lshlrev_b32 v5, 3, v0 :: v_dual_add_nc_u32 v10, v70, v59
	s_delay_alu instid0(VALU_DEP_4)
	v_add_nc_u32_e32 v12, v67, v61
	s_not_b32 s3, s23
	ds_store_b8 v8, v7 offset:128
	ds_store_b8 v10, v44 offset:128
	;; [unrolled: 1-line block ×4, first 2 shown]
	s_and_saveexec_b32 s4, s2
	s_cbranch_execz .LBB493_65
; %bb.56:
	v_lshl_add_u32 v8, s19, 4, v0
	v_dual_mov_b32 v12, 0 :: v_dual_bitop2_b32 v7, 2.0, v4 bitop3:0x54
	s_mov_b32 s5, 0
	s_mov_b32 s6, s19
	s_delay_alu instid0(VALU_DEP_2)
	v_lshl_add_u64 v[10:11], v[8:9], 2, s[20:21]
	global_store_b32 v8, v7, s[20:21] scale_offset scope:SCOPE_DEV
                                        ; implicit-def: $sgpr2
	s_branch .LBB493_59
.LBB493_57:                             ;   in Loop: Header=BB493_59 Depth=1
	s_or_b32 exec_lo, exec_lo, s23
.LBB493_58:                             ;   in Loop: Header=BB493_59 Depth=1
	s_delay_alu instid0(SALU_CYCLE_1) | instskip(SKIP_2) | instid1(VALU_DEP_2)
	s_or_b32 exec_lo, exec_lo, s7
	v_and_b32_e32 v8, 0x3fffffff, v7
	v_cmp_gt_i32_e64 s2, -2.0, v7
	v_add_nc_u32_e32 v12, v8, v12
	s_and_b32 s7, exec_lo, s2
	s_delay_alu instid0(SALU_CYCLE_1) | instskip(NEXT) | instid1(SALU_CYCLE_1)
	s_or_b32 s5, s7, s5
	s_and_not1_b32 exec_lo, exec_lo, s5
	s_cbranch_execz .LBB493_64
.LBB493_59:                             ; =>This Loop Header: Depth=1
                                        ;     Child Loop BB493_62 Depth 2
	s_or_b32 s2, s2, exec_lo
	s_cmp_eq_u32 s6, 0
	s_cbranch_scc1 .LBB493_63
; %bb.60:                               ;   in Loop: Header=BB493_59 Depth=1
	s_add_co_i32 s6, s6, -1
	s_mov_b32 s7, exec_lo
	s_wait_xcnt 0x0
	v_lshl_or_b32 v8, s6, 4, v0
	global_load_b32 v7, v8, s[20:21] scale_offset scope:SCOPE_DEV
	s_wait_loadcnt 0x0
	v_cmpx_gt_u32_e32 2.0, v7
	s_cbranch_execz .LBB493_58
; %bb.61:                               ;   in Loop: Header=BB493_59 Depth=1
	v_lshl_add_u64 v[14:15], v[8:9], 2, s[20:21]
	s_mov_b32 s23, 0
.LBB493_62:                             ;   Parent Loop BB493_59 Depth=1
                                        ; =>  This Inner Loop Header: Depth=2
	global_load_b32 v7, v[14:15], off scope:SCOPE_DEV
	s_wait_loadcnt 0x0
	v_cmp_lt_u32_e64 s2, 0x3fffffff, v7
	s_or_b32 s23, s2, s23
	s_wait_xcnt 0x0
	s_and_not1_b32 exec_lo, exec_lo, s23
	s_cbranch_execnz .LBB493_62
	s_branch .LBB493_57
.LBB493_63:                             ;   in Loop: Header=BB493_59 Depth=1
                                        ; implicit-def: $sgpr6
	s_and_b32 s7, exec_lo, s2
	s_delay_alu instid0(SALU_CYCLE_1)
	s_or_b32 s5, s7, s5
	s_wait_xcnt 0x0
	s_and_not1_b32 exec_lo, exec_lo, s5
	s_cbranch_execnz .LBB493_59
.LBB493_64:
	s_or_b32 exec_lo, exec_lo, s5
	v_dual_add_nc_u32 v7, v12, v4 :: v_dual_mov_b32 v13, 0
	s_delay_alu instid0(VALU_DEP_1)
	v_or_b32_e32 v7, 0x80000000, v7
	global_store_b32 v[10:11], v7, off scope:SCOPE_DEV
	global_load_b64 v[8:9], v0, s[8:9] scale_offset
	s_wait_xcnt 0x1
	v_sub_nc_u64_e32 v[10:11], v[12:13], v[2:3]
	s_wait_loadcnt 0x0
	s_delay_alu instid0(VALU_DEP_1)
	v_add_nc_u64_e32 v[8:9], v[10:11], v[8:9]
	ds_store_b64 v5, v[8:9]
.LBB493_65:
	s_wait_xcnt 0x0
	s_or_b32 exec_lo, exec_lo, s4
	s_delay_alu instid0(SALU_CYCLE_1)
	s_mov_b32 s4, exec_lo
	s_wait_storecnt_dscnt 0x0
	s_barrier_signal -1
	s_barrier_wait -1
	v_cmpx_gt_u32_e64 s18, v0
	s_cbranch_execz .LBB493_67
; %bb.66:
	ds_load_u8 v7, v0 offset:128
	s_wait_dscnt 0x0
	v_and_b32_e32 v8, 0xff, v7
	v_xor_b32_e32 v7, 0x80, v7
	s_delay_alu instid0(VALU_DEP_2) | instskip(NEXT) | instid1(VALU_DEP_1)
	v_lshrrev_b32_e32 v8, s16, v8
	v_and_b32_e32 v8, s3, v8
	s_delay_alu instid0(VALU_DEP_1) | instskip(SKIP_3) | instid1(VALU_DEP_1)
	v_lshlrev_b32_e32 v8, 3, v8
	ds_load_b64 v[8:9], v8
	s_wait_dscnt 0x0
	v_add_nc_u64_e32 v[8:9], s[14:15], v[8:9]
	v_add_nc_u64_e32 v[8:9], v[8:9], v[0:1]
	global_store_b8 v[8:9], v7, off
.LBB493_67:
	s_wait_xcnt 0x0
	s_or_b32 exec_lo, exec_lo, s4
	v_or_b32_e32 v7, 0x400, v0
	s_mov_b32 s4, exec_lo
	s_delay_alu instid0(VALU_DEP_1)
	v_cmpx_gt_u32_e64 s18, v7
	s_cbranch_execz .LBB493_69
; %bb.68:
	ds_load_u8 v7, v0 offset:1152
	s_wait_dscnt 0x0
	v_and_b32_e32 v8, 0xff, v7
	v_xor_b32_e32 v7, 0x80, v7
	s_delay_alu instid0(VALU_DEP_2) | instskip(NEXT) | instid1(VALU_DEP_1)
	v_lshrrev_b32_e32 v8, s16, v8
	v_and_b32_e32 v8, s3, v8
	s_delay_alu instid0(VALU_DEP_1) | instskip(SKIP_3) | instid1(VALU_DEP_1)
	v_lshlrev_b32_e32 v8, 3, v8
	ds_load_b64 v[8:9], v8
	s_wait_dscnt 0x0
	v_add_nc_u64_e32 v[8:9], s[14:15], v[8:9]
	v_add_nc_u64_e32 v[8:9], v[8:9], v[0:1]
	global_store_b8 v[8:9], v7, off offset:1024
.LBB493_69:
	s_wait_xcnt 0x0
	s_or_b32 exec_lo, exec_lo, s4
	v_or_b32_e32 v7, 0x800, v0
	s_mov_b32 s4, exec_lo
	s_delay_alu instid0(VALU_DEP_1)
	v_cmpx_gt_u32_e64 s18, v7
	s_cbranch_execz .LBB493_71
; %bb.70:
	ds_load_u8 v7, v0 offset:2176
	s_wait_dscnt 0x0
	v_and_b32_e32 v8, 0xff, v7
	v_xor_b32_e32 v7, 0x80, v7
	s_delay_alu instid0(VALU_DEP_2) | instskip(NEXT) | instid1(VALU_DEP_1)
	v_lshrrev_b32_e32 v8, s16, v8
	v_and_b32_e32 v8, s3, v8
	s_delay_alu instid0(VALU_DEP_1) | instskip(SKIP_3) | instid1(VALU_DEP_1)
	v_lshlrev_b32_e32 v8, 3, v8
	ds_load_b64 v[8:9], v8
	s_wait_dscnt 0x0
	v_add_nc_u64_e32 v[8:9], s[14:15], v[8:9]
	v_add_nc_u64_e32 v[8:9], v[8:9], v[0:1]
	global_store_b8 v[8:9], v7, off offset:2048
.LBB493_71:
	;; [unrolled: 23-line block ×20, first 2 shown]
	s_wait_xcnt 0x0
	s_or_b32 exec_lo, exec_lo, s4
	v_or_b32_e32 v7, 0x5400, v0
	s_mov_b32 s4, exec_lo
	s_delay_alu instid0(VALU_DEP_1)
	v_cmpx_gt_u32_e64 s18, v7
	s_cbranch_execz .LBB493_109
; %bb.108:
	ds_load_u8 v7, v0 offset:21632
	s_wait_dscnt 0x0
	v_and_b32_e32 v8, 0xff, v7
	s_delay_alu instid0(VALU_DEP_1) | instskip(NEXT) | instid1(VALU_DEP_1)
	v_lshrrev_b32_e32 v8, s16, v8
	v_and_b32_e32 v8, s3, v8
	s_delay_alu instid0(VALU_DEP_1) | instskip(SKIP_3) | instid1(VALU_DEP_1)
	v_lshlrev_b32_e32 v8, 3, v8
	ds_load_b64 v[8:9], v8
	s_wait_dscnt 0x0
	v_add_nc_u64_e32 v[8:9], s[14:15], v[8:9]
	v_add_nc_u64_e32 v[8:9], v[8:9], v[0:1]
	v_xor_b32_e32 v1, 0x80, v7
	global_store_b8 v[8:9], v1, off offset:21504
.LBB493_109:
	s_wait_xcnt 0x0
	s_or_b32 exec_lo, exec_lo, s4
	s_load_b32 s2, s[0:1], 0x58
	s_wait_kmcnt 0x0
	s_add_co_i32 s2, s2, -1
	s_delay_alu instid0(SALU_CYCLE_1) | instskip(SKIP_2) | instid1(SALU_CYCLE_1)
	s_cmp_eq_u32 s19, s2
	s_cselect_b32 s2, -1, 0
	s_xor_b32 s3, vcc_lo, -1
	s_and_b32 s3, s3, s2
	s_delay_alu instid0(SALU_CYCLE_1)
	s_and_saveexec_b32 s2, s3
	s_cbranch_execz .LBB493_111
; %bb.110:
	ds_load_b64 v[8:9], v5
	v_mov_b32_e32 v5, 0
	s_delay_alu instid0(VALU_DEP_1) | instskip(SKIP_1) | instid1(VALU_DEP_1)
	v_add_nc_u64_e32 v[2:3], v[2:3], v[4:5]
	s_wait_dscnt 0x0
	v_add_nc_u64_e32 v[2:3], v[2:3], v[8:9]
	global_store_b64 v0, v[2:3], s[10:11] scale_offset
.LBB493_111:
	s_wait_xcnt 0x0
	s_or_b32 exec_lo, exec_lo, s2
	s_mov_b32 s2, 0
.LBB493_112:
	s_delay_alu instid0(SALU_CYCLE_1)
	s_and_b32 vcc_lo, exec_lo, s2
	s_cbranch_vccz .LBB493_135
; %bb.113:
	s_mov_b32 s23, 0
	v_dual_mov_b32 v13, 0 :: v_dual_lshlrev_b32 v12, 2, v0
	s_add_nc_u64 s[2:3], s[12:13], s[22:23]
	s_clause 0x1
	global_load_b128 v[2:5], v6, s[2:3]
	global_load_b32 v8, v6, s[2:3] offset:16
	s_lshl_b32 s12, -1, s17
	ds_store_2addr_stride64_b32 v12, v13, v13 offset1:16
	ds_store_2addr_stride64_b32 v12, v13, v13 offset0:32 offset1:48
	ds_store_2addr_stride64_b32 v12, v13, v13 offset0:64 offset1:80
	;; [unrolled: 1-line block ×3, first 2 shown]
	global_load_u16 v42, v6, s[2:3] offset:20
	s_mov_b32 s7, exec_lo
	s_wait_loadcnt 0x2
	v_xor_b32_e32 v1, 0xffffff80, v2
	v_lshrrev_b32_e32 v9, 8, v2
	s_delay_alu instid0(VALU_DEP_2) | instskip(NEXT) | instid1(VALU_DEP_1)
	v_and_b32_e32 v7, 0xff, v1
	v_lshrrev_b32_e32 v7, s16, v7
	s_delay_alu instid0(VALU_DEP_1) | instskip(NEXT) | instid1(VALU_DEP_1)
	v_bitop3_b32 v7, v7, s12, v7 bitop3:0x30
	v_dual_lshlrev_b32 v10, 10, v7 :: v_dual_lshrrev_b32 v11, 2, v7
	v_xor_b32_e32 v7, 0xffffff80, v9
	s_delay_alu instid0(VALU_DEP_2) | instskip(NEXT) | instid1(VALU_DEP_3)
	v_and_or_b32 v9, 0x1c00, v10, v0
	v_and_b32_e32 v10, 62, v11
	s_delay_alu instid0(VALU_DEP_3) | instskip(NEXT) | instid1(VALU_DEP_2)
	v_and_b32_e32 v11, 0xff, v7
	v_lshl_add_u32 v17, v9, 2, v10
	s_delay_alu instid0(VALU_DEP_2) | instskip(SKIP_3) | instid1(VALU_DEP_2)
	v_lshrrev_b32_e32 v9, s16, v11
	ds_load_u16 v11, v17
	v_bitop3_b32 v9, v9, s12, v9 bitop3:0x30
	v_dual_lshrrev_b32 v10, 16, v2 :: v_dual_lshrrev_b32 v2, 24, v2
	v_dual_lshlrev_b32 v12, 10, v9 :: v_dual_lshrrev_b32 v9, 2, v9
	s_delay_alu instid0(VALU_DEP_2) | instskip(NEXT) | instid1(VALU_DEP_2)
	v_xor_b32_e32 v10, 0xffffff80, v10
	v_and_or_b32 v12, 0x1c00, v12, v0
	s_delay_alu instid0(VALU_DEP_3) | instskip(NEXT) | instid1(VALU_DEP_3)
	v_and_b32_e32 v9, 62, v9
	v_and_b32_e32 v13, 0xff, v10
	s_delay_alu instid0(VALU_DEP_2) | instskip(NEXT) | instid1(VALU_DEP_2)
	v_lshl_add_u32 v20, v12, 2, v9
	v_lshrrev_b32_e32 v9, s16, v13
	v_xor_b32_e32 v12, 0xffffff80, v2
	s_wait_dscnt 0x0
	v_add_nc_u16 v14, v11, 1
	s_delay_alu instid0(VALU_DEP_3) | instskip(SKIP_3) | instid1(VALU_DEP_1)
	v_bitop3_b32 v9, v9, s12, v9 bitop3:0x30
	ds_store_b16 v17, v14
	ds_load_u16 v14, v20
	v_dual_lshlrev_b32 v13, 10, v9 :: v_dual_lshrrev_b32 v9, 2, v9
	v_and_or_b32 v2, 0x1c00, v13, v0
	s_delay_alu instid0(VALU_DEP_2) | instskip(SKIP_1) | instid1(VALU_DEP_2)
	v_and_b32_e32 v9, 62, v9
	v_and_b32_e32 v13, 0xff, v12
	v_lshl_add_u32 v2, v2, 2, v9
	s_delay_alu instid0(VALU_DEP_2) | instskip(SKIP_1) | instid1(VALU_DEP_2)
	v_lshrrev_b32_e32 v9, s16, v13
	v_xor_b32_e32 v13, 0xffffff80, v3
	v_bitop3_b32 v9, v9, s12, v9 bitop3:0x30
	s_wait_dscnt 0x0
	v_add_nc_u16 v15, v14, 1
	s_delay_alu instid0(VALU_DEP_3) | instskip(NEXT) | instid1(VALU_DEP_3)
	v_and_b32_e32 v18, 0xff, v13
	v_dual_lshlrev_b32 v16, 10, v9 :: v_dual_lshrrev_b32 v9, 2, v9
	ds_store_b16 v20, v15
	ds_load_u16 v15, v2
	v_and_or_b32 v16, 0x1c00, v16, v0
	v_and_b32_e32 v9, 62, v9
	s_delay_alu instid0(VALU_DEP_1) | instskip(SKIP_1) | instid1(VALU_DEP_1)
	v_lshl_add_u32 v27, v16, 2, v9
	v_dual_lshrrev_b32 v9, s16, v18 :: v_dual_lshrrev_b32 v16, 8, v3
	v_bitop3_b32 v9, v9, s12, v9 bitop3:0x30
	s_delay_alu instid0(VALU_DEP_2) | instskip(NEXT) | instid1(VALU_DEP_2)
	v_xor_b32_e32 v16, 0xffffff80, v16
	v_dual_lshlrev_b32 v18, 10, v9 :: v_dual_lshrrev_b32 v9, 2, v9
	s_wait_dscnt 0x0
	v_add_nc_u16 v19, v15, 1
	s_delay_alu instid0(VALU_DEP_3) | instskip(NEXT) | instid1(VALU_DEP_3)
	v_and_b32_e32 v21, 0xff, v16
	v_and_or_b32 v18, 0x1c00, v18, v0
	v_and_b32_e32 v9, 62, v9
	ds_store_b16 v2, v19
	ds_load_u16 v19, v27
	v_lshl_add_u32 v34, v18, 2, v9
	v_dual_lshrrev_b32 v9, s16, v21 :: v_dual_lshrrev_b32 v18, 16, v3
	v_lshrrev_b32_e32 v3, 24, v3
	s_delay_alu instid0(VALU_DEP_2) | instskip(NEXT) | instid1(VALU_DEP_3)
	v_bitop3_b32 v9, v9, s12, v9 bitop3:0x30
	v_xor_b32_e32 v18, 0xffffff80, v18
	s_wait_xcnt 0x0
	s_delay_alu instid0(VALU_DEP_1) | instskip(SKIP_2) | instid1(VALU_DEP_2)
	v_and_b32_e32 v6, 0xff, v18
	s_wait_dscnt 0x0
	v_add_nc_u16 v22, v19, 1
	v_lshrrev_b32_e32 v6, s16, v6
	ds_store_b16 v27, v22
	ds_load_u16 v21, v34
	v_dual_lshlrev_b32 v22, 10, v9 :: v_dual_lshrrev_b32 v9, 2, v9
	v_bitop3_b32 v6, v6, s12, v6 bitop3:0x30
	s_delay_alu instid0(VALU_DEP_2) | instskip(NEXT) | instid1(VALU_DEP_3)
	v_and_or_b32 v22, 0x1c00, v22, v0
	v_and_b32_e32 v9, 62, v9
	s_delay_alu instid0(VALU_DEP_1) | instskip(NEXT) | instid1(VALU_DEP_4)
	v_lshl_add_u32 v41, v22, 2, v9
	v_dual_lshlrev_b32 v9, 10, v6 :: v_dual_lshrrev_b32 v22, 2, v6
	v_xor_b32_e32 v6, 0xffffff80, v3
	s_delay_alu instid0(VALU_DEP_2) | instskip(NEXT) | instid1(VALU_DEP_3)
	v_and_or_b32 v3, 0x1c00, v9, v0
	v_and_b32_e32 v9, 62, v22
	s_wait_dscnt 0x0
	v_add_nc_u16 v23, v21, 1
	v_and_b32_e32 v22, 0xff, v6
	s_delay_alu instid0(VALU_DEP_3) | instskip(SKIP_4) | instid1(VALU_DEP_2)
	v_lshl_add_u32 v3, v3, 2, v9
	ds_store_b16 v34, v23
	ds_load_u16 v25, v41
	v_lshrrev_b32_e32 v9, s16, v22
	v_xor_b32_e32 v22, 0xffffff80, v4
	v_bitop3_b32 v9, v9, s12, v9 bitop3:0x30
	s_delay_alu instid0(VALU_DEP_2)
	v_and_b32_e32 v24, 0xff, v22
	s_wait_dscnt 0x0
	v_add_nc_u16 v23, v25, 1
	ds_store_b16 v41, v23
	ds_load_u16 v29, v3
	v_dual_lshlrev_b32 v23, 10, v9 :: v_dual_lshrrev_b32 v9, 2, v9
	s_delay_alu instid0(VALU_DEP_1) | instskip(NEXT) | instid1(VALU_DEP_2)
	v_and_or_b32 v23, 0x1c00, v23, v0
	v_and_b32_e32 v9, 62, v9
	s_delay_alu instid0(VALU_DEP_1) | instskip(SKIP_2) | instid1(VALU_DEP_2)
	v_lshl_add_u32 v47, v23, 2, v9
	v_lshrrev_b32_e32 v9, s16, v24
	v_lshrrev_b32_e32 v23, 8, v4
	v_bitop3_b32 v9, v9, s12, v9 bitop3:0x30
	s_delay_alu instid0(VALU_DEP_2) | instskip(SKIP_2) | instid1(VALU_DEP_3)
	v_xor_b32_e32 v23, 0xffffff80, v23
	s_wait_dscnt 0x0
	v_add_nc_u16 v26, v29, 1
	v_dual_lshlrev_b32 v24, 10, v9 :: v_dual_lshrrev_b32 v9, 2, v9
	ds_store_b16 v3, v26
	ds_load_u16 v31, v47
	v_and_b32_e32 v26, 0xff, v23
	v_and_or_b32 v24, 0x1c00, v24, v0
	v_and_b32_e32 v9, 62, v9
	s_delay_alu instid0(VALU_DEP_1) | instskip(NEXT) | instid1(VALU_DEP_4)
	v_lshl_add_u32 v49, v24, 2, v9
	v_dual_lshrrev_b32 v9, s16, v26 :: v_dual_lshrrev_b32 v24, 16, v4
	v_lshrrev_b32_e32 v4, 24, v4
	s_delay_alu instid0(VALU_DEP_2) | instskip(NEXT) | instid1(VALU_DEP_3)
	v_bitop3_b32 v9, v9, s12, v9 bitop3:0x30
	v_xor_b32_e32 v24, 0xffffff80, v24
	s_delay_alu instid0(VALU_DEP_2) | instskip(SKIP_2) | instid1(VALU_DEP_2)
	v_dual_lshlrev_b32 v26, 10, v9 :: v_dual_lshrrev_b32 v9, 2, v9
	s_wait_dscnt 0x0
	v_add_nc_u16 v28, v31, 1
	v_and_or_b32 v26, 0x1c00, v26, v0
	s_delay_alu instid0(VALU_DEP_3)
	v_and_b32_e32 v9, 62, v9
	ds_store_b16 v47, v28
	ds_load_u16 v33, v49
	v_and_b32_e32 v28, 0xff, v24
	v_lshl_add_u32 v51, v26, 2, v9
	v_xor_b32_e32 v26, 0xffffff80, v4
	s_delay_alu instid0(VALU_DEP_3) | instskip(NEXT) | instid1(VALU_DEP_1)
	v_lshrrev_b32_e32 v9, s16, v28
	v_bitop3_b32 v9, v9, s12, v9 bitop3:0x30
	s_delay_alu instid0(VALU_DEP_1) | instskip(SKIP_2) | instid1(VALU_DEP_2)
	v_dual_lshlrev_b32 v28, 10, v9 :: v_dual_lshrrev_b32 v9, 2, v9
	s_wait_dscnt 0x0
	v_add_nc_u16 v30, v33, 1
	v_and_or_b32 v4, 0x1c00, v28, v0
	s_delay_alu instid0(VALU_DEP_3)
	v_and_b32_e32 v9, 62, v9
	v_and_b32_e32 v28, 0xff, v26
	ds_store_b16 v49, v30
	ds_load_u16 v35, v51
	v_lshl_add_u32 v4, v4, 2, v9
	v_lshrrev_b32_e32 v9, s16, v28
	v_xor_b32_e32 v28, 0xffffff80, v5
	s_delay_alu instid0(VALU_DEP_2) | instskip(NEXT) | instid1(VALU_DEP_2)
	v_bitop3_b32 v9, v9, s12, v9 bitop3:0x30
	v_and_b32_e32 v32, 0xff, v28
	s_wait_dscnt 0x0
	v_add_nc_u16 v30, v35, 1
	ds_store_b16 v51, v30
	ds_load_u16 v38, v4
	v_dual_lshlrev_b32 v30, 10, v9 :: v_dual_lshrrev_b32 v9, 2, v9
	s_delay_alu instid0(VALU_DEP_1) | instskip(NEXT) | instid1(VALU_DEP_2)
	v_and_or_b32 v30, 0x1c00, v30, v0
	v_and_b32_e32 v9, 62, v9
	s_delay_alu instid0(VALU_DEP_1) | instskip(SKIP_1) | instid1(VALU_DEP_1)
	v_lshl_add_u32 v54, v30, 2, v9
	v_dual_lshrrev_b32 v9, s16, v32 :: v_dual_lshrrev_b32 v30, 8, v5
	v_bitop3_b32 v9, v9, s12, v9 bitop3:0x30
	s_delay_alu instid0(VALU_DEP_2) | instskip(SKIP_2) | instid1(VALU_DEP_3)
	v_xor_b32_e32 v30, 0xffffff80, v30
	s_wait_dscnt 0x0
	v_add_nc_u16 v36, v38, 1
	v_dual_lshlrev_b32 v32, 10, v9 :: v_dual_lshrrev_b32 v9, 2, v9
	ds_store_b16 v4, v36
	ds_load_u16 v40, v54
	v_and_b32_e32 v36, 0xff, v30
	v_and_or_b32 v32, 0x1c00, v32, v0
	v_and_b32_e32 v9, 62, v9
	s_delay_alu instid0(VALU_DEP_1) | instskip(NEXT) | instid1(VALU_DEP_4)
	v_lshl_add_u32 v56, v32, 2, v9
	v_dual_lshrrev_b32 v9, s16, v36 :: v_dual_lshrrev_b32 v32, 16, v5
	v_lshrrev_b32_e32 v5, 24, v5
	s_delay_alu instid0(VALU_DEP_2) | instskip(NEXT) | instid1(VALU_DEP_3)
	v_bitop3_b32 v9, v9, s12, v9 bitop3:0x30
	v_xor_b32_e32 v32, 0xffffff80, v32
	s_delay_alu instid0(VALU_DEP_3) | instskip(NEXT) | instid1(VALU_DEP_3)
	v_xor_b32_e32 v5, 0xffffff80, v5
	v_dual_lshlrev_b32 v36, 10, v9 :: v_dual_lshrrev_b32 v9, 2, v9
	s_wait_dscnt 0x0
	v_add_nc_u16 v37, v40, 1
	s_delay_alu instid0(VALU_DEP_2) | instskip(NEXT) | instid1(VALU_DEP_3)
	v_and_or_b32 v36, 0x1c00, v36, v0
	v_and_b32_e32 v9, 62, v9
	ds_store_b16 v54, v37
	ds_load_u16 v43, v56
	v_and_b32_e32 v37, 0xff, v32
	v_lshl_add_u32 v58, v36, 2, v9
	s_delay_alu instid0(VALU_DEP_2) | instskip(SKIP_1) | instid1(VALU_DEP_2)
	v_lshrrev_b32_e32 v9, s16, v37
	v_and_b32_e32 v37, 0xff, v5
	v_bitop3_b32 v9, v9, s12, v9 bitop3:0x30
	s_delay_alu instid0(VALU_DEP_1) | instskip(SKIP_2) | instid1(VALU_DEP_2)
	v_dual_lshlrev_b32 v36, 10, v9 :: v_dual_lshrrev_b32 v9, 2, v9
	s_wait_dscnt 0x0
	v_add_nc_u16 v39, v43, 1
	v_and_or_b32 v36, 0x1c00, v36, v0
	s_delay_alu instid0(VALU_DEP_3)
	v_and_b32_e32 v9, 62, v9
	ds_store_b16 v56, v39
	ds_load_u16 v44, v58
	v_lshl_add_u32 v59, v36, 2, v9
	v_lshrrev_b32_e32 v9, s16, v37
	s_wait_loadcnt 0x1
	v_xor_b32_e32 v36, 0xffffff80, v8
	s_delay_alu instid0(VALU_DEP_2) | instskip(NEXT) | instid1(VALU_DEP_1)
	v_bitop3_b32 v9, v9, s12, v9 bitop3:0x30
	v_dual_lshlrev_b32 v37, 10, v9 :: v_dual_lshrrev_b32 v9, 2, v9
	s_delay_alu instid0(VALU_DEP_1) | instskip(NEXT) | instid1(VALU_DEP_2)
	v_and_or_b32 v37, 0x1c00, v37, v0
	v_and_b32_e32 v9, 62, v9
	s_wait_dscnt 0x0
	v_add_nc_u16 v39, v44, 1
	s_delay_alu instid0(VALU_DEP_2) | instskip(SKIP_4) | instid1(VALU_DEP_1)
	v_lshl_add_u32 v60, v37, 2, v9
	v_lshrrev_b32_e32 v37, 8, v8
	ds_store_b16 v58, v39
	ds_load_u16 v45, v59
	v_and_b32_e32 v39, 0xff, v36
	v_lshrrev_b32_e32 v9, s16, v39
	v_xor_b32_e32 v39, 0xffffff80, v37
	s_delay_alu instid0(VALU_DEP_2) | instskip(NEXT) | instid1(VALU_DEP_1)
	v_bitop3_b32 v9, v9, s12, v9 bitop3:0x30
	v_dual_lshlrev_b32 v48, 10, v9 :: v_dual_lshrrev_b32 v9, 2, v9
	s_wait_dscnt 0x0
	v_add_nc_u16 v46, v45, 1
	s_delay_alu instid0(VALU_DEP_2) | instskip(NEXT) | instid1(VALU_DEP_3)
	v_and_or_b32 v37, 0x1c00, v48, v0
	v_and_b32_e32 v9, 62, v9
	v_and_b32_e32 v48, 0xff, v39
	ds_store_b16 v59, v46
	ds_load_u16 v46, v60
	v_lshl_add_u32 v61, v37, 2, v9
	v_lshrrev_b32_e32 v9, s16, v48
	v_lshrrev_b32_e32 v37, 16, v8
	s_delay_alu instid0(VALU_DEP_2) | instskip(NEXT) | instid1(VALU_DEP_2)
	v_bitop3_b32 v9, v9, s12, v9 bitop3:0x30
	v_xor_b32_e32 v37, 0xffffff80, v37
	s_delay_alu instid0(VALU_DEP_1) | instskip(NEXT) | instid1(VALU_DEP_1)
	v_and_b32_e32 v52, 0xff, v37
	v_lshrrev_b32_e32 v52, s16, v52
	s_wait_dscnt 0x0
	v_add_nc_u16 v50, v46, 1
	s_delay_alu instid0(VALU_DEP_2) | instskip(SKIP_3) | instid1(VALU_DEP_1)
	v_bitop3_b32 v55, v52, s12, v52 bitop3:0x30
	ds_store_b16 v60, v50
	ds_load_u16 v48, v61
	v_dual_lshlrev_b32 v50, 10, v9 :: v_dual_lshrrev_b32 v9, 2, v9
	v_and_or_b32 v50, 0x1c00, v50, v0
	s_delay_alu instid0(VALU_DEP_2) | instskip(NEXT) | instid1(VALU_DEP_1)
	v_and_b32_e32 v9, 62, v9
	v_lshl_add_u32 v62, v50, 2, v9
	s_wait_loadcnt 0x0
	v_and_b32_e32 v9, 0xffff, v42
	v_xor_b32_e32 v42, 0xffffff80, v42
	s_wait_dscnt 0x0
	v_add_nc_u16 v53, v48, 1
	ds_store_b16 v61, v53
	ds_load_u16 v50, v62
	v_lshrrev_b64 v[52:53], 24, v[8:9]
	v_dual_lshlrev_b32 v53, 10, v55 :: v_dual_lshrrev_b32 v55, 2, v55
	v_lshrrev_b32_e32 v9, 8, v9
	s_delay_alu instid0(VALU_DEP_3) | instskip(NEXT) | instid1(VALU_DEP_3)
	v_xor_b32_e32 v8, 0xffffff80, v52
	v_and_or_b32 v52, 0x1c00, v53, v0
	s_delay_alu instid0(VALU_DEP_4) | instskip(NEXT) | instid1(VALU_DEP_4)
	v_and_b32_e32 v53, 62, v55
	v_xor_b32_e32 v9, 0xffffff80, v9
	s_delay_alu instid0(VALU_DEP_4) | instskip(NEXT) | instid1(VALU_DEP_3)
	v_and_b32_e32 v55, 0xff, v8
	v_lshl_add_u32 v63, v52, 2, v53
	s_delay_alu instid0(VALU_DEP_3) | instskip(NEXT) | instid1(VALU_DEP_3)
	v_and_b32_e32 v66, 0xff, v9
	v_lshrrev_b32_e32 v53, s16, v55
	s_wait_dscnt 0x0
	v_add_nc_u16 v57, v50, 1
	s_delay_alu instid0(VALU_DEP_2) | instskip(SKIP_4) | instid1(VALU_DEP_1)
	v_bitop3_b32 v53, v53, s12, v53 bitop3:0x30
	ds_store_b16 v62, v57
	ds_load_u16 v52, v63
	v_and_b32_e32 v57, 0xff, v42
	v_dual_lshlrev_b32 v55, 10, v53 :: v_dual_lshrrev_b32 v53, 2, v53
	v_and_or_b32 v55, 0x1c00, v55, v0
	s_delay_alu instid0(VALU_DEP_2) | instskip(NEXT) | instid1(VALU_DEP_1)
	v_and_b32_e32 v53, 62, v53
	v_lshl_add_u32 v64, v55, 2, v53
	v_lshrrev_b32_e32 v55, s16, v57
	s_delay_alu instid0(VALU_DEP_1) | instskip(SKIP_2) | instid1(VALU_DEP_2)
	v_bitop3_b32 v55, v55, s12, v55 bitop3:0x30
	s_wait_dscnt 0x0
	v_add_nc_u16 v65, v52, 1
	v_lshlrev_b32_e32 v57, 10, v55
	ds_store_b16 v63, v65
	ds_load_u16 v53, v64
	v_lshrrev_b32_e32 v55, 2, v55
	v_and_or_b32 v57, 0x1c00, v57, v0
	s_delay_alu instid0(VALU_DEP_2) | instskip(NEXT) | instid1(VALU_DEP_1)
	v_and_b32_e32 v55, 62, v55
	v_lshl_add_u32 v65, v57, 2, v55
	v_lshrrev_b32_e32 v57, s16, v66
	s_delay_alu instid0(VALU_DEP_1) | instskip(SKIP_2) | instid1(VALU_DEP_2)
	v_bitop3_b32 v57, v57, s12, v57 bitop3:0x30
	s_wait_dscnt 0x0
	v_add_nc_u16 v67, v53, 1
	v_dual_lshlrev_b32 v66, 10, v57 :: v_dual_lshrrev_b32 v57, 2, v57
	ds_store_b16 v64, v67
	ds_load_u16 v55, v65
	v_and_or_b32 v66, 0x1c00, v66, v0
	v_and_b32_e32 v57, 62, v57
	s_delay_alu instid0(VALU_DEP_1)
	v_lshl_add_u32 v66, v66, 2, v57
	s_wait_dscnt 0x0
	v_add_nc_u16 v67, v55, 1
	ds_store_b16 v65, v67
	ds_load_u16 v57, v66
	v_lshlrev_b32_e32 v67, 5, v0
	s_wait_dscnt 0x0
	v_add_nc_u16 v68, v57, 1
	ds_store_b16 v66, v68
	s_wait_storecnt_dscnt 0x0
	s_barrier_signal -1
	s_barrier_wait -1
	ds_load_2addr_b64 v[68:71], v67 offset1:1
	ds_load_2addr_b64 v[72:75], v67 offset0:2 offset1:3
	s_wait_dscnt 0x1
	v_add_nc_u32_e32 v68, v69, v68
	s_delay_alu instid0(VALU_DEP_1) | instskip(SKIP_1) | instid1(VALU_DEP_1)
	v_add3_u32 v68, v68, v70, v71
	s_wait_dscnt 0x0
	v_add3_u32 v69, v68, v72, v73
	v_mbcnt_lo_u32_b32 v68, -1, 0
	v_and_b32_e32 v72, 31, v0
	s_delay_alu instid0(VALU_DEP_3) | instskip(NEXT) | instid1(VALU_DEP_3)
	v_add3_u32 v69, v69, v74, v75
	v_and_b32_e32 v70, 15, v68
	s_delay_alu instid0(VALU_DEP_2) | instskip(NEXT) | instid1(VALU_DEP_2)
	v_mov_b32_dpp v71, v69 row_shr:1 row_mask:0xf bank_mask:0xf
	v_cmp_eq_u32_e32 vcc_lo, 0, v70
	v_cmp_lt_u32_e64 s2, 1, v70
	v_cmp_lt_u32_e64 s3, 3, v70
	;; [unrolled: 1-line block ×3, first 2 shown]
	v_cndmask_b32_e64 v71, v71, 0, vcc_lo
	s_delay_alu instid0(VALU_DEP_1) | instskip(NEXT) | instid1(VALU_DEP_1)
	v_add_nc_u32_e32 v69, v71, v69
	v_mov_b32_dpp v71, v69 row_shr:2 row_mask:0xf bank_mask:0xf
	s_delay_alu instid0(VALU_DEP_1) | instskip(NEXT) | instid1(VALU_DEP_1)
	v_cndmask_b32_e64 v71, 0, v71, s2
	v_add_nc_u32_e32 v69, v69, v71
	s_delay_alu instid0(VALU_DEP_1) | instskip(NEXT) | instid1(VALU_DEP_1)
	v_mov_b32_dpp v71, v69 row_shr:4 row_mask:0xf bank_mask:0xf
	v_cndmask_b32_e64 v71, 0, v71, s3
	s_delay_alu instid0(VALU_DEP_1) | instskip(NEXT) | instid1(VALU_DEP_1)
	v_add_nc_u32_e32 v69, v69, v71
	v_mov_b32_dpp v71, v69 row_shr:8 row_mask:0xf bank_mask:0xf
	s_delay_alu instid0(VALU_DEP_1) | instskip(SKIP_1) | instid1(VALU_DEP_2)
	v_cndmask_b32_e64 v70, 0, v71, s4
	v_bfe_i32 v71, v68, 4, 1
	v_add_nc_u32_e32 v69, v69, v70
	ds_swizzle_b32 v70, v69 offset:swizzle(BROADCAST,32,15)
	s_wait_dscnt 0x0
	v_dual_lshrrev_b32 v71, 5, v0 :: v_dual_bitop2_b32 v70, v71, v70 bitop3:0x40
	s_delay_alu instid0(VALU_DEP_1) | instskip(NEXT) | instid1(VALU_DEP_2)
	v_dual_add_nc_u32 v69, v69, v70 :: v_dual_bitop2_b32 v73, 16, v68 bitop3:0x40
	v_lshlrev_b32_e32 v70, 2, v71
	s_delay_alu instid0(VALU_DEP_2)
	v_cmp_eq_u32_e64 s5, 0, v73
	v_cmpx_eq_u32_e32 31, v72
; %bb.114:
	ds_store_b32 v70, v69 offset:32768
; %bb.115:
	s_or_b32 exec_lo, exec_lo, s7
	v_cmp_lt_u32_e64 s6, 31, v0
	s_mov_b32 s13, exec_lo
	s_wait_dscnt 0x0
	s_barrier_signal -1
	s_barrier_wait -1
	v_cmpx_gt_u32_e32 32, v0
	s_cbranch_execz .LBB493_117
; %bb.116:
	v_mad_i32_i24 v71, 0xffffffe4, v0, v67
	ds_load_b32 v72, v71 offset:32768
	s_wait_dscnt 0x0
	v_mov_b32_dpp v73, v72 row_shr:1 row_mask:0xf bank_mask:0xf
	s_delay_alu instid0(VALU_DEP_1) | instskip(NEXT) | instid1(VALU_DEP_1)
	v_cndmask_b32_e64 v73, v73, 0, vcc_lo
	v_add_nc_u32_e32 v72, v73, v72
	s_delay_alu instid0(VALU_DEP_1) | instskip(NEXT) | instid1(VALU_DEP_1)
	v_mov_b32_dpp v73, v72 row_shr:2 row_mask:0xf bank_mask:0xf
	v_cndmask_b32_e64 v73, 0, v73, s2
	s_delay_alu instid0(VALU_DEP_1) | instskip(NEXT) | instid1(VALU_DEP_1)
	v_add_nc_u32_e32 v72, v72, v73
	v_mov_b32_dpp v73, v72 row_shr:4 row_mask:0xf bank_mask:0xf
	s_delay_alu instid0(VALU_DEP_1) | instskip(NEXT) | instid1(VALU_DEP_1)
	v_cndmask_b32_e64 v73, 0, v73, s3
	v_add_nc_u32_e32 v72, v72, v73
	s_delay_alu instid0(VALU_DEP_1) | instskip(NEXT) | instid1(VALU_DEP_1)
	v_mov_b32_dpp v73, v72 row_shr:8 row_mask:0xf bank_mask:0xf
	v_cndmask_b32_e64 v73, 0, v73, s4
	s_delay_alu instid0(VALU_DEP_1) | instskip(SKIP_3) | instid1(VALU_DEP_1)
	v_add_nc_u32_e32 v72, v72, v73
	ds_swizzle_b32 v73, v72 offset:swizzle(BROADCAST,32,15)
	s_wait_dscnt 0x0
	v_cndmask_b32_e64 v73, v73, 0, s5
	v_add_nc_u32_e32 v72, v72, v73
	ds_store_b32 v71, v72 offset:32768
.LBB493_117:
	s_or_b32 exec_lo, exec_lo, s13
	v_dual_mov_b32 v72, 0 :: v_dual_mov_b32 v71, 0
	s_wait_dscnt 0x0
	s_barrier_signal -1
	s_barrier_wait -1
	s_and_saveexec_b32 s2, s6
; %bb.118:
	ds_load_b32 v71, v70 offset:32764
; %bb.119:
	s_or_b32 exec_lo, exec_lo, s2
	v_sub_co_u32 v70, vcc_lo, v68, 1
	s_wait_dscnt 0x0
	v_add_nc_u32_e32 v69, v71, v69
	s_delay_alu instid0(VALU_DEP_2) | instskip(NEXT) | instid1(VALU_DEP_1)
	v_cmp_gt_i32_e64 s2, 0, v70
	v_cndmask_b32_e64 v68, v70, v68, s2
	v_cmp_gt_u32_e64 s2, 16, v0
	s_delay_alu instid0(VALU_DEP_2)
	v_lshlrev_b32_e32 v68, 2, v68
	ds_bpermute_b32 v68, v68, v69
	ds_load_b32 v69, v72 offset:32892
	ds_load_2addr_b64 v[72:75], v67 offset1:1
	ds_load_b32 v76, v67 offset:24
	s_wait_dscnt 0x3
	v_cndmask_b32_e32 v68, v68, v71, vcc_lo
	ds_load_b64 v[70:71], v67 offset:16
	v_cmp_lt_u32_e32 vcc_lo, 15, v0
	s_wait_dscnt 0x3
	v_lshl_add_u32 v68, v69, 16, v68
	s_wait_dscnt 0x2
	s_delay_alu instid0(VALU_DEP_1) | instskip(NEXT) | instid1(VALU_DEP_1)
	v_add_nc_u32_e32 v69, v68, v72
	v_add_nc_u32_e32 v72, v73, v69
	s_delay_alu instid0(VALU_DEP_1) | instskip(NEXT) | instid1(VALU_DEP_1)
	v_add_nc_u32_e32 v73, v74, v72
	v_add_nc_u32_e32 v74, v75, v73
	s_wait_dscnt 0x0
	s_delay_alu instid0(VALU_DEP_1) | instskip(NEXT) | instid1(VALU_DEP_1)
	v_add_nc_u32_e32 v75, v70, v74
	v_add_nc_u32_e32 v70, v71, v75
	s_delay_alu instid0(VALU_DEP_1)
	v_add_nc_u32_e32 v71, v76, v70
	ds_store_2addr_b64 v67, v[68:69], v[72:73] offset1:1
	ds_store_2addr_b64 v67, v[74:75], v[70:71] offset0:2 offset1:3
	s_wait_dscnt 0x0
	s_barrier_signal -1
	s_barrier_wait -1
	ds_load_u16 v17, v17
	ds_load_u16 v20, v20
	;; [unrolled: 1-line block ×22, first 2 shown]
	v_mov_b64_e32 v[2:3], 0
                                        ; implicit-def: $vgpr4
	s_and_saveexec_b32 s4, s2
	s_cbranch_execz .LBB493_123
; %bb.120:
	v_dual_lshlrev_b32 v2, 12, v0 :: v_dual_lshrrev_b32 v3, 2, v0
	v_add_nc_u32_e32 v4, 1, v0
	s_mov_b32 s5, exec_lo
	s_delay_alu instid0(VALU_DEP_2)
	v_bitop3_b32 v2, v2, 0x70fe, v3 bitop3:0xc8
	v_mov_b32_e32 v3, 0x5800
	ds_load_u16 v2, v2
	v_cmpx_ne_u32_e32 16, v4
; %bb.121:
	v_dual_lshlrev_b32 v3, 12, v4 :: v_dual_lshrrev_b32 v4, 2, v4
	s_delay_alu instid0(VALU_DEP_1)
	v_bitop3_b32 v3, v3, 0x71fe, v4 bitop3:0xc8
	ds_load_u16 v3, v3
; %bb.122:
	s_or_b32 exec_lo, exec_lo, s5
	s_wait_dscnt 0x0
	v_and_b32_e32 v2, 0xffff, v2
	s_mov_b32 s3, 0
	s_delay_alu instid0(VALU_DEP_1) | instid1(SALU_CYCLE_1)
	v_dual_mov_b32 v3, s3 :: v_dual_sub_nc_u32 v4, v3, v2
.LBB493_123:
	s_or_b32 exec_lo, exec_lo, s4
	s_wait_dscnt 0x15
	v_and_b32_e32 v17, 0xffff, v17
	v_and_b32_e32 v11, 0xffff, v11
	s_wait_dscnt 0x14
	v_and_b32_e32 v20, 0xffff, v20
	v_and_b32_e32 v14, 0xffff, v14
	;; [unrolled: 3-line block ×4, first 2 shown]
	v_dual_add_nc_u32 v11, v17, v11 :: v_dual_add_nc_u32 v14, v20, v14
	s_wait_dscnt 0x11
	v_and_b32_e32 v34, 0xffff, v34
	v_and_b32_e32 v21, 0xffff, v21
	s_wait_dscnt 0x10
	v_and_b32_e32 v41, 0xffff, v41
	v_and_b32_e32 v25, 0xffff, v25
	v_add_nc_u32_e32 v15, v67, v15
	s_wait_dscnt 0xf
	v_and_b32_e32 v68, 0xffff, v68
	v_and_b32_e32 v29, 0xffff, v29
	s_wait_dscnt 0xe
	v_and_b32_e32 v47, 0xffff, v47
	v_and_b32_e32 v31, 0xffff, v31
	;; [unrolled: 3-line block ×3, first 2 shown]
	s_wait_dscnt 0x0
	s_barrier_signal -1
	s_barrier_wait -1
	ds_store_b8 v11, v1 offset:128
	ds_store_b8 v14, v7 offset:128
	;; [unrolled: 1-line block ×3, first 2 shown]
	v_dual_add_nc_u32 v1, v27, v19 :: v_dual_add_nc_u32 v10, v41, v25
	v_and_b32_e32 v51, 0xffff, v51
	v_and_b32_e32 v35, 0xffff, v35
	v_add_nc_u32_e32 v7, v34, v21
	v_and_b32_e32 v69, 0xffff, v69
	v_and_b32_e32 v38, 0xffff, v38
	;; [unrolled: 1-line block ×4, first 2 shown]
	v_dual_add_nc_u32 v11, v68, v29 :: v_dual_add_nc_u32 v14, v47, v31
	v_and_b32_e32 v56, 0xffff, v56
	v_and_b32_e32 v43, 0xffff, v43
	;; [unrolled: 1-line block ×4, first 2 shown]
	ds_store_b8 v1, v12 offset:128
	ds_store_b8 v7, v13 offset:128
	;; [unrolled: 1-line block ×5, first 2 shown]
	v_dual_add_nc_u32 v1, v49, v33 :: v_dual_add_nc_u32 v6, v51, v35
	v_and_b32_e32 v59, 0xffff, v59
	v_and_b32_e32 v45, 0xffff, v45
	;; [unrolled: 1-line block ×4, first 2 shown]
	v_dual_add_nc_u32 v7, v69, v38 :: v_dual_add_nc_u32 v10, v54, v40
	v_and_b32_e32 v61, 0xffff, v61
	v_and_b32_e32 v48, 0xffff, v48
	v_and_b32_e32 v62, 0xffff, v62
	v_and_b32_e32 v50, 0xffff, v50
	v_add_nc_u32_e32 v11, v56, v43
	ds_store_b8 v1, v22 offset:128
	ds_store_b8 v6, v23 offset:128
	;; [unrolled: 1-line block ×5, first 2 shown]
	v_dual_add_nc_u32 v1, v58, v44 :: v_dual_add_nc_u32 v6, v59, v45
	v_dual_add_nc_u32 v7, v60, v46 :: v_dual_add_nc_u32 v10, v61, v48
	v_add_nc_u32_e32 v11, v62, v50
	v_and_b32_e32 v63, 0xffff, v63
	v_and_b32_e32 v66, 0xffff, v66
	;; [unrolled: 1-line block ×4, first 2 shown]
	ds_store_b8 v1, v30 offset:128
	ds_store_b8 v6, v32 offset:128
	;; [unrolled: 1-line block ×5, first 2 shown]
	v_mov_b32_e32 v7, 0
	v_and_b32_e32 v64, 0xffff, v64
	v_and_b32_e32 v53, 0xffff, v53
	v_and_b32_e32 v65, 0xffff, v65
	v_and_b32_e32 v55, 0xffff, v55
	v_dual_add_nc_u32 v6, v63, v52 :: v_dual_add_nc_u32 v12, v66, v57
	v_dual_mov_b32 v1, v7 :: v_dual_lshlrev_b32 v5, 3, v0
	s_delay_alu instid0(VALU_DEP_3)
	v_dual_add_nc_u32 v10, v64, v53 :: v_dual_add_nc_u32 v11, v65, v55
	s_not_b32 s3, s12
	ds_store_b8 v6, v37 offset:128
	ds_store_b8 v10, v8 offset:128
	;; [unrolled: 1-line block ×4, first 2 shown]
	s_and_saveexec_b32 s4, s2
	s_cbranch_execz .LBB493_133
; %bb.124:
	v_lshl_add_u32 v6, s19, 4, v0
	v_dual_mov_b32 v10, 0 :: v_dual_bitop2_b32 v11, 2.0, v4 bitop3:0x54
	s_mov_b32 s5, 0
	s_mov_b32 s6, s19
	s_delay_alu instid0(VALU_DEP_2)
	v_lshl_add_u64 v[8:9], v[6:7], 2, s[20:21]
	global_store_b32 v6, v11, s[20:21] scale_offset scope:SCOPE_DEV
                                        ; implicit-def: $sgpr2
	s_branch .LBB493_127
.LBB493_125:                            ;   in Loop: Header=BB493_127 Depth=1
	s_or_b32 exec_lo, exec_lo, s12
.LBB493_126:                            ;   in Loop: Header=BB493_127 Depth=1
	s_delay_alu instid0(SALU_CYCLE_1) | instskip(SKIP_2) | instid1(VALU_DEP_2)
	s_or_b32 exec_lo, exec_lo, s7
	v_and_b32_e32 v6, 0x3fffffff, v11
	v_cmp_gt_i32_e64 s2, -2.0, v11
	v_add_nc_u32_e32 v10, v6, v10
	s_and_b32 s7, exec_lo, s2
	s_delay_alu instid0(SALU_CYCLE_1) | instskip(NEXT) | instid1(SALU_CYCLE_1)
	s_or_b32 s5, s7, s5
	s_and_not1_b32 exec_lo, exec_lo, s5
	s_cbranch_execz .LBB493_132
.LBB493_127:                            ; =>This Loop Header: Depth=1
                                        ;     Child Loop BB493_130 Depth 2
	s_or_b32 s2, s2, exec_lo
	s_cmp_eq_u32 s6, 0
	s_cbranch_scc1 .LBB493_131
; %bb.128:                              ;   in Loop: Header=BB493_127 Depth=1
	s_add_co_i32 s6, s6, -1
	s_mov_b32 s7, exec_lo
	s_wait_xcnt 0x0
	v_lshl_or_b32 v6, s6, 4, v0
	global_load_b32 v11, v6, s[20:21] scale_offset scope:SCOPE_DEV
	s_wait_loadcnt 0x0
	v_cmpx_gt_u32_e32 2.0, v11
	s_cbranch_execz .LBB493_126
; %bb.129:                              ;   in Loop: Header=BB493_127 Depth=1
	v_lshl_add_u64 v[12:13], v[6:7], 2, s[20:21]
	s_mov_b32 s12, 0
.LBB493_130:                            ;   Parent Loop BB493_127 Depth=1
                                        ; =>  This Inner Loop Header: Depth=2
	global_load_b32 v11, v[12:13], off scope:SCOPE_DEV
	s_wait_loadcnt 0x0
	v_cmp_lt_u32_e64 s2, 0x3fffffff, v11
	s_or_b32 s12, s2, s12
	s_wait_xcnt 0x0
	s_and_not1_b32 exec_lo, exec_lo, s12
	s_cbranch_execnz .LBB493_130
	s_branch .LBB493_125
.LBB493_131:                            ;   in Loop: Header=BB493_127 Depth=1
                                        ; implicit-def: $sgpr6
	s_and_b32 s7, exec_lo, s2
	s_delay_alu instid0(SALU_CYCLE_1)
	s_or_b32 s5, s7, s5
	s_wait_xcnt 0x0
	s_and_not1_b32 exec_lo, exec_lo, s5
	s_cbranch_execnz .LBB493_127
.LBB493_132:
	s_or_b32 exec_lo, exec_lo, s5
	v_dual_mov_b32 v11, 0 :: v_dual_add_nc_u32 v6, v10, v4
	s_delay_alu instid0(VALU_DEP_1) | instskip(SKIP_4) | instid1(VALU_DEP_1)
	v_or_b32_e32 v6, 0x80000000, v6
	global_store_b32 v[8:9], v6, off scope:SCOPE_DEV
	global_load_b64 v[6:7], v0, s[8:9] scale_offset
	v_sub_nc_u64_e32 v[8:9], v[10:11], v[2:3]
	s_wait_loadcnt 0x0
	v_add_nc_u64_e32 v[6:7], v[8:9], v[6:7]
	ds_store_b64 v5, v[6:7]
.LBB493_133:
	s_wait_xcnt 0x0
	s_or_b32 exec_lo, exec_lo, s4
	s_wait_storecnt_dscnt 0x0
	s_barrier_signal -1
	s_barrier_wait -1
	ds_load_u8 v26, v0 offset:20608
	ds_load_u8 v27, v0 offset:21632
	;; [unrolled: 1-line block ×22, first 2 shown]
	s_wait_dscnt 0xf
	v_and_b32_e32 v12, 0xff, v10
	v_xor_b32_e32 v45, 0x80, v10
	s_wait_dscnt 0xe
	v_and_b32_e32 v10, 0xff, v30
	s_wait_dscnt 0xd
	v_and_b32_e32 v18, 0xff, v31
	v_and_b32_e32 v6, 0xff, v26
	;; [unrolled: 1-line block ×5, first 2 shown]
	v_dual_lshrrev_b32 v12, s16, v12 :: v_dual_lshrrev_b32 v10, s16, v10
	s_delay_alu instid0(VALU_DEP_4) | instskip(NEXT) | instid1(VALU_DEP_3)
	v_dual_lshrrev_b32 v6, s16, v6 :: v_dual_lshrrev_b32 v7, s16, v7
	v_dual_lshrrev_b32 v13, s16, v13 :: v_dual_lshrrev_b32 v11, s16, v11
	s_delay_alu instid0(VALU_DEP_3) | instskip(NEXT) | instid1(VALU_DEP_4)
	v_and_b32_e32 v10, s3, v10
	v_and_b32_e32 v12, s3, v12
	s_delay_alu instid0(VALU_DEP_4) | instskip(SKIP_4) | instid1(VALU_DEP_4)
	v_and_b32_e32 v7, s3, v7
	v_and_b32_e32 v6, s3, v6
	v_and_b32_e32 v11, s3, v11
	v_and_b32_e32 v13, s3, v13
	v_xor_b32_e32 v24, 0x80, v8
	v_dual_lshlrev_b32 v9, 3, v7 :: v_dual_lshlrev_b32 v6, 3, v6
	s_delay_alu instid0(VALU_DEP_3)
	v_dual_lshlrev_b32 v14, 3, v11 :: v_dual_lshlrev_b32 v13, 3, v13
	ds_load_b64 v[6:7], v6
	ds_load_b64 v[8:9], v9
	v_dual_lshlrev_b32 v16, 3, v10 :: v_dual_lshlrev_b32 v15, 3, v12
	ds_load_b64 v[10:11], v13
	ds_load_b64 v[12:13], v14
	s_wait_dscnt 0x10
	v_and_b32_e32 v19, 0xff, v32
	s_wait_dscnt 0xf
	v_and_b32_e32 v21, 0xff, v33
	;; [unrolled: 2-line block ×3, first 2 shown]
	v_lshrrev_b32_e32 v18, s16, v18
	ds_load_b64 v[14:15], v15
	ds_load_b64 v[16:17], v16
	v_lshrrev_b32_e32 v19, s16, v19
	s_wait_dscnt 0xf
	v_and_b32_e32 v23, 0xff, v35
	s_wait_dscnt 0xe
	v_and_b32_e32 v25, 0xff, v36
	v_dual_lshrrev_b32 v21, s16, v21 :: v_dual_lshrrev_b32 v22, s16, v22
	v_and_b32_e32 v19, s3, v19
	v_and_b32_e32 v18, s3, v18
	s_wait_dscnt 0xd
	v_and_b32_e32 v46, 0xff, v37
	v_dual_lshrrev_b32 v23, s16, v23 :: v_dual_lshrrev_b32 v25, s16, v25
	v_and_b32_e32 v48, s3, v22
	v_dual_lshlrev_b32 v22, 3, v19 :: v_dual_bitop2_b32 v21, s3, v21 bitop3:0x40
	v_lshlrev_b32_e32 v18, 3, v18
	s_wait_dscnt 0x3
	v_add_nc_u64_e32 v[10:11], s[14:15], v[10:11]
	s_wait_dscnt 0x2
	v_add_nc_u64_e32 v[12:13], s[14:15], v[12:13]
	v_dual_lshrrev_b32 v46, s16, v46 :: v_dual_bitop2_b32 v25, s3, v25 bitop3:0x40
	v_dual_lshlrev_b32 v23, 3, v21 :: v_dual_bitop2_b32 v49, s3, v23 bitop3:0x40
	ds_load_b64 v[18:19], v18
	v_add_nc_u64_e32 v[10:11], v[10:11], v[0:1]
	v_add_nc_u64_e32 v[12:13], v[12:13], v[0:1]
	v_xor_b32_e32 v50, 0x80, v20
	ds_load_b64 v[20:21], v22
	ds_load_b64 v[22:23], v23
	v_and_b32_e32 v47, 0xff, v38
	s_wait_dscnt 0x4
	v_add_nc_u64_e32 v[14:15], s[14:15], v[14:15]
	s_wait_dscnt 0x3
	v_add_nc_u64_e32 v[16:17], s[14:15], v[16:17]
	s_clause 0x1
	global_store_b8 v[10:11], v50, off
	global_store_b8 v[12:13], v24, off offset:1024
	s_wait_xcnt 0x0
	v_dual_lshlrev_b32 v10, 3, v48 :: v_dual_lshlrev_b32 v24, 3, v25
	v_dual_lshlrev_b32 v12, 3, v49 :: v_dual_lshrrev_b32 v47, s16, v47
	v_add_nc_u64_e32 v[14:15], v[14:15], v[0:1]
	ds_load_b64 v[10:11], v10
	ds_load_b64 v[12:13], v12
	;; [unrolled: 1-line block ×3, first 2 shown]
	v_and_b32_e32 v46, s3, v46
	v_and_b32_e32 v47, s3, v47
	v_add_nc_u64_e32 v[16:17], v[16:17], v[0:1]
	v_xor_b32_e32 v30, 0x80, v30
	global_store_b8 v[14:15], v45, off offset:2048
	s_wait_xcnt 0x0
	v_lshlrev_b32_e32 v45, 3, v46
	s_wait_dscnt 0x5
	v_add_nc_u64_e32 v[14:15], s[14:15], v[18:19]
	v_lshlrev_b32_e32 v46, 3, v47
	s_wait_dscnt 0x3
	v_add_nc_u64_e32 v[18:19], s[14:15], v[22:23]
	global_store_b8 v[16:17], v30, off offset:3072
	s_wait_xcnt 0x0
	v_add_nc_u64_e32 v[16:17], s[14:15], v[20:21]
	ds_load_b64 v[20:21], v45
	ds_load_b64 v[22:23], v46
	v_xor_b32_e32 v30, 0x80, v31
	v_add_nc_u64_e32 v[14:15], v[14:15], v[0:1]
	v_xor_b32_e32 v31, 0x80, v32
	v_add_nc_u64_e32 v[18:19], v[18:19], v[0:1]
	v_xor_b32_e32 v32, 0x80, v33
	s_wait_dscnt 0x4
	v_add_nc_u64_e32 v[10:11], s[14:15], v[10:11]
	s_wait_dscnt 0x3
	v_add_nc_u64_e32 v[12:13], s[14:15], v[12:13]
	v_add_nc_u64_e32 v[16:17], v[16:17], v[0:1]
	global_store_b8 v[14:15], v30, off offset:4096
	s_wait_dscnt 0x2
	s_wait_xcnt 0x0
	v_add_nc_u64_e32 v[14:15], s[14:15], v[24:25]
	s_clause 0x1
	global_store_b8 v[16:17], v31, off offset:5120
	global_store_b8 v[18:19], v32, off offset:6144
	v_add_nc_u64_e32 v[10:11], v[10:11], v[0:1]
	v_add_nc_u64_e32 v[14:15], v[14:15], v[0:1]
	;; [unrolled: 1-line block ×3, first 2 shown]
	v_xor_b32_e32 v24, 0x80, v34
	v_xor_b32_e32 v30, 0x80, v36
	s_wait_dscnt 0x1
	s_wait_xcnt 0x1
	v_add_nc_u64_e32 v[16:17], s[14:15], v[20:21]
	v_and_b32_e32 v20, 0xff, v39
	v_xor_b32_e32 v25, 0x80, v35
	s_clause 0x2
	global_store_b8 v[10:11], v24, off offset:7168
	global_store_b8 v[12:13], v25, off offset:8192
	;; [unrolled: 1-line block ×3, first 2 shown]
	s_wait_xcnt 0x0
	v_lshrrev_b32_e32 v14, s16, v20
	v_and_b32_e32 v15, 0xff, v40
	s_wait_dscnt 0x0
	v_add_nc_u64_e32 v[18:19], s[14:15], v[22:23]
	v_add_nc_u64_e32 v[10:11], v[16:17], v[0:1]
	v_and_b32_e32 v16, 0xff, v41
	v_and_b32_e32 v17, 0xff, v42
	v_dual_lshrrev_b32 v15, s16, v15 :: v_dual_bitop2_b32 v14, s3, v14 bitop3:0x40
	v_and_b32_e32 v23, 0xff, v44
	v_add_nc_u64_e32 v[12:13], v[18:19], v[0:1]
	v_and_b32_e32 v18, 0xff, v43
	v_dual_lshrrev_b32 v16, s16, v16 :: v_dual_lshrrev_b32 v17, s16, v17
	v_dual_lshlrev_b32 v14, 3, v14 :: v_dual_bitop2_b32 v19, s3, v15 bitop3:0x40
	s_delay_alu instid0(VALU_DEP_2)
	v_dual_lshrrev_b32 v18, s16, v18 :: v_dual_bitop2_b32 v16, s3, v16 bitop3:0x40
	v_and_b32_e32 v25, 0xff, v28
	ds_load_b64 v[14:15], v14
	v_dual_lshlrev_b32 v19, 3, v19 :: v_dual_bitop2_b32 v17, s3, v17 bitop3:0x40
	v_dual_lshlrev_b32 v20, 3, v16 :: v_dual_bitop2_b32 v18, s3, v18 bitop3:0x40
	v_and_b32_e32 v30, 0xff, v29
	v_xor_b32_e32 v24, 0x80, v37
	s_delay_alu instid0(VALU_DEP_4) | instskip(NEXT) | instid1(VALU_DEP_4)
	v_dual_lshlrev_b32 v21, 3, v17 :: v_dual_lshrrev_b32 v31, s16, v23
	v_lshlrev_b32_e32 v22, 3, v18
	ds_load_b64 v[16:17], v19
	ds_load_b64 v[18:19], v20
	ds_load_b64 v[20:21], v21
	v_dual_lshrrev_b32 v25, s16, v25 :: v_dual_lshrrev_b32 v30, s16, v30
	v_xor_b32_e32 v32, 0x80, v38
	global_store_b8 v[10:11], v24, off offset:10240
	ds_load_b64 v[22:23], v22
	s_wait_xcnt 0x0
	v_and_b32_e32 v10, s3, v25
	v_and_b32_e32 v31, s3, v31
	global_store_b8 v[12:13], v32, off offset:11264
	s_wait_xcnt 0x0
	v_and_b32_e32 v12, s3, v30
	v_xor_b32_e32 v30, 0x80, v39
	v_dual_lshlrev_b32 v24, 3, v10 :: v_dual_lshlrev_b32 v13, 3, v31
	s_wait_dscnt 0x4
	v_add_nc_u64_e32 v[10:11], s[14:15], v[14:15]
	v_lshlrev_b32_e32 v25, 3, v12
	v_xor_b32_e32 v31, 0x80, v40
	v_xor_b32_e32 v32, 0x80, v41
	v_xor_b32_e32 v33, 0x80, v42
	s_wait_dscnt 0x3
	v_add_nc_u64_e32 v[14:15], s[14:15], v[16:17]
	ds_load_b64 v[16:17], v24
	ds_load_b64 v[12:13], v13
	ds_load_b64 v[24:25], v25
	s_wait_dscnt 0x5
	v_add_nc_u64_e32 v[18:19], s[14:15], v[18:19]
	s_wait_dscnt 0x4
	v_add_nc_u64_e32 v[20:21], s[14:15], v[20:21]
	v_add_nc_u64_e32 v[10:11], v[10:11], v[0:1]
	;; [unrolled: 1-line block ×3, first 2 shown]
	s_wait_dscnt 0x3
	v_add_nc_u64_e32 v[22:23], s[14:15], v[22:23]
	v_add_nc_u64_e32 v[6:7], s[14:15], v[6:7]
	;; [unrolled: 1-line block ×5, first 2 shown]
	s_clause 0x3
	global_store_b8 v[10:11], v30, off offset:12288
	global_store_b8 v[14:15], v31, off offset:13312
	;; [unrolled: 1-line block ×4, first 2 shown]
	v_add_nc_u64_e32 v[22:23], v[22:23], v[0:1]
	s_wait_xcnt 0x3
	v_xor_b32_e32 v30, 0x80, v43
	v_add_nc_u64_e32 v[6:7], v[6:7], v[0:1]
	s_wait_xcnt 0x1
	v_xor_b32_e32 v18, 0x80, v29
	s_wait_dscnt 0x1
	v_add_nc_u64_e32 v[10:11], s[14:15], v[12:13]
	v_add_nc_u64_e32 v[12:13], s[14:15], v[16:17]
	s_wait_dscnt 0x0
	v_add_nc_u64_e32 v[14:15], s[14:15], v[24:25]
	v_xor_b32_e32 v16, 0x80, v44
	v_xor_b32_e32 v17, 0x80, v28
	v_add_nc_u64_e32 v[8:9], v[8:9], v[0:1]
	v_xor_b32_e32 v19, 0x80, v27
	v_add_nc_u64_e32 v[10:11], v[10:11], v[0:1]
	v_add_nc_u64_e32 v[12:13], v[12:13], v[0:1]
	;; [unrolled: 1-line block ×3, first 2 shown]
	v_xor_b32_e32 v1, 0x80, v26
	s_clause 0x5
	global_store_b8 v[22:23], v30, off offset:16384
	global_store_b8 v[10:11], v16, off offset:17408
	;; [unrolled: 1-line block ×6, first 2 shown]
	s_load_b32 s0, s[0:1], 0x58
	s_wait_kmcnt 0x0
	s_add_co_i32 s0, s0, -1
	s_delay_alu instid0(SALU_CYCLE_1) | instskip(SKIP_2) | instid1(SALU_CYCLE_1)
	s_cmp_eq_u32 s19, s0
	s_cselect_b32 s0, -1, 0
	s_xor_b32 s1, vcc_lo, -1
	s_and_b32 s0, s1, s0
	s_delay_alu instid0(SALU_CYCLE_1)
	s_and_saveexec_b32 s1, s0
	s_cbranch_execz .LBB493_135
; %bb.134:
	ds_load_b64 v[6:7], v5
	v_mov_b32_e32 v5, 0
	s_delay_alu instid0(VALU_DEP_1) | instskip(SKIP_1) | instid1(VALU_DEP_1)
	v_add_nc_u64_e32 v[2:3], v[2:3], v[4:5]
	s_wait_dscnt 0x0
	v_add_nc_u64_e32 v[2:3], v[2:3], v[6:7]
	global_store_b64 v0, v[2:3], s[10:11] scale_offset
.LBB493_135:
	s_sendmsg sendmsg(MSG_DEALLOC_VGPRS)
	s_endpgm
	.section	.rodata,"a",@progbits
	.p2align	6, 0x0
	.amdhsa_kernel _ZN7rocprim17ROCPRIM_400000_NS6detail17trampoline_kernelINS0_14default_configENS1_35radix_sort_onesweep_config_selectorIaNS0_10empty_typeEEEZZNS1_29radix_sort_onesweep_iterationIS3_Lb0EPKaPaPS5_SB_mNS0_19identity_decomposerENS1_16block_id_wrapperIjLb0EEEEE10hipError_tT1_PNSt15iterator_traitsISG_E10value_typeET2_T3_PNSH_ISM_E10value_typeET4_T5_PSR_SS_PNS1_23onesweep_lookback_stateEbbT6_jjT7_P12ihipStream_tbENKUlT_T0_SG_SL_E_clISA_SA_SB_SB_EEDaSZ_S10_SG_SL_EUlSZ_E_NS1_11comp_targetILNS1_3genE0ELNS1_11target_archE4294967295ELNS1_3gpuE0ELNS1_3repE0EEENS1_47radix_sort_onesweep_sort_config_static_selectorELNS0_4arch9wavefront6targetE0EEEvSG_
		.amdhsa_group_segment_fixed_size 32904
		.amdhsa_private_segment_fixed_size 0
		.amdhsa_kernarg_size 344
		.amdhsa_user_sgpr_count 2
		.amdhsa_user_sgpr_dispatch_ptr 0
		.amdhsa_user_sgpr_queue_ptr 0
		.amdhsa_user_sgpr_kernarg_segment_ptr 1
		.amdhsa_user_sgpr_dispatch_id 0
		.amdhsa_user_sgpr_kernarg_preload_length 0
		.amdhsa_user_sgpr_kernarg_preload_offset 0
		.amdhsa_user_sgpr_private_segment_size 0
		.amdhsa_wavefront_size32 1
		.amdhsa_uses_dynamic_stack 0
		.amdhsa_enable_private_segment 0
		.amdhsa_system_sgpr_workgroup_id_x 1
		.amdhsa_system_sgpr_workgroup_id_y 0
		.amdhsa_system_sgpr_workgroup_id_z 0
		.amdhsa_system_sgpr_workgroup_info 0
		.amdhsa_system_vgpr_workitem_id 0
		.amdhsa_next_free_vgpr 79
		.amdhsa_next_free_sgpr 25
		.amdhsa_named_barrier_count 0
		.amdhsa_reserve_vcc 1
		.amdhsa_float_round_mode_32 0
		.amdhsa_float_round_mode_16_64 0
		.amdhsa_float_denorm_mode_32 3
		.amdhsa_float_denorm_mode_16_64 3
		.amdhsa_fp16_overflow 0
		.amdhsa_memory_ordered 1
		.amdhsa_forward_progress 1
		.amdhsa_inst_pref_size 116
		.amdhsa_round_robin_scheduling 0
		.amdhsa_exception_fp_ieee_invalid_op 0
		.amdhsa_exception_fp_denorm_src 0
		.amdhsa_exception_fp_ieee_div_zero 0
		.amdhsa_exception_fp_ieee_overflow 0
		.amdhsa_exception_fp_ieee_underflow 0
		.amdhsa_exception_fp_ieee_inexact 0
		.amdhsa_exception_int_div_zero 0
	.end_amdhsa_kernel
	.section	.text._ZN7rocprim17ROCPRIM_400000_NS6detail17trampoline_kernelINS0_14default_configENS1_35radix_sort_onesweep_config_selectorIaNS0_10empty_typeEEEZZNS1_29radix_sort_onesweep_iterationIS3_Lb0EPKaPaPS5_SB_mNS0_19identity_decomposerENS1_16block_id_wrapperIjLb0EEEEE10hipError_tT1_PNSt15iterator_traitsISG_E10value_typeET2_T3_PNSH_ISM_E10value_typeET4_T5_PSR_SS_PNS1_23onesweep_lookback_stateEbbT6_jjT7_P12ihipStream_tbENKUlT_T0_SG_SL_E_clISA_SA_SB_SB_EEDaSZ_S10_SG_SL_EUlSZ_E_NS1_11comp_targetILNS1_3genE0ELNS1_11target_archE4294967295ELNS1_3gpuE0ELNS1_3repE0EEENS1_47radix_sort_onesweep_sort_config_static_selectorELNS0_4arch9wavefront6targetE0EEEvSG_,"axG",@progbits,_ZN7rocprim17ROCPRIM_400000_NS6detail17trampoline_kernelINS0_14default_configENS1_35radix_sort_onesweep_config_selectorIaNS0_10empty_typeEEEZZNS1_29radix_sort_onesweep_iterationIS3_Lb0EPKaPaPS5_SB_mNS0_19identity_decomposerENS1_16block_id_wrapperIjLb0EEEEE10hipError_tT1_PNSt15iterator_traitsISG_E10value_typeET2_T3_PNSH_ISM_E10value_typeET4_T5_PSR_SS_PNS1_23onesweep_lookback_stateEbbT6_jjT7_P12ihipStream_tbENKUlT_T0_SG_SL_E_clISA_SA_SB_SB_EEDaSZ_S10_SG_SL_EUlSZ_E_NS1_11comp_targetILNS1_3genE0ELNS1_11target_archE4294967295ELNS1_3gpuE0ELNS1_3repE0EEENS1_47radix_sort_onesweep_sort_config_static_selectorELNS0_4arch9wavefront6targetE0EEEvSG_,comdat
.Lfunc_end493:
	.size	_ZN7rocprim17ROCPRIM_400000_NS6detail17trampoline_kernelINS0_14default_configENS1_35radix_sort_onesweep_config_selectorIaNS0_10empty_typeEEEZZNS1_29radix_sort_onesweep_iterationIS3_Lb0EPKaPaPS5_SB_mNS0_19identity_decomposerENS1_16block_id_wrapperIjLb0EEEEE10hipError_tT1_PNSt15iterator_traitsISG_E10value_typeET2_T3_PNSH_ISM_E10value_typeET4_T5_PSR_SS_PNS1_23onesweep_lookback_stateEbbT6_jjT7_P12ihipStream_tbENKUlT_T0_SG_SL_E_clISA_SA_SB_SB_EEDaSZ_S10_SG_SL_EUlSZ_E_NS1_11comp_targetILNS1_3genE0ELNS1_11target_archE4294967295ELNS1_3gpuE0ELNS1_3repE0EEENS1_47radix_sort_onesweep_sort_config_static_selectorELNS0_4arch9wavefront6targetE0EEEvSG_, .Lfunc_end493-_ZN7rocprim17ROCPRIM_400000_NS6detail17trampoline_kernelINS0_14default_configENS1_35radix_sort_onesweep_config_selectorIaNS0_10empty_typeEEEZZNS1_29radix_sort_onesweep_iterationIS3_Lb0EPKaPaPS5_SB_mNS0_19identity_decomposerENS1_16block_id_wrapperIjLb0EEEEE10hipError_tT1_PNSt15iterator_traitsISG_E10value_typeET2_T3_PNSH_ISM_E10value_typeET4_T5_PSR_SS_PNS1_23onesweep_lookback_stateEbbT6_jjT7_P12ihipStream_tbENKUlT_T0_SG_SL_E_clISA_SA_SB_SB_EEDaSZ_S10_SG_SL_EUlSZ_E_NS1_11comp_targetILNS1_3genE0ELNS1_11target_archE4294967295ELNS1_3gpuE0ELNS1_3repE0EEENS1_47radix_sort_onesweep_sort_config_static_selectorELNS0_4arch9wavefront6targetE0EEEvSG_
                                        ; -- End function
	.set _ZN7rocprim17ROCPRIM_400000_NS6detail17trampoline_kernelINS0_14default_configENS1_35radix_sort_onesweep_config_selectorIaNS0_10empty_typeEEEZZNS1_29radix_sort_onesweep_iterationIS3_Lb0EPKaPaPS5_SB_mNS0_19identity_decomposerENS1_16block_id_wrapperIjLb0EEEEE10hipError_tT1_PNSt15iterator_traitsISG_E10value_typeET2_T3_PNSH_ISM_E10value_typeET4_T5_PSR_SS_PNS1_23onesweep_lookback_stateEbbT6_jjT7_P12ihipStream_tbENKUlT_T0_SG_SL_E_clISA_SA_SB_SB_EEDaSZ_S10_SG_SL_EUlSZ_E_NS1_11comp_targetILNS1_3genE0ELNS1_11target_archE4294967295ELNS1_3gpuE0ELNS1_3repE0EEENS1_47radix_sort_onesweep_sort_config_static_selectorELNS0_4arch9wavefront6targetE0EEEvSG_.num_vgpr, 79
	.set _ZN7rocprim17ROCPRIM_400000_NS6detail17trampoline_kernelINS0_14default_configENS1_35radix_sort_onesweep_config_selectorIaNS0_10empty_typeEEEZZNS1_29radix_sort_onesweep_iterationIS3_Lb0EPKaPaPS5_SB_mNS0_19identity_decomposerENS1_16block_id_wrapperIjLb0EEEEE10hipError_tT1_PNSt15iterator_traitsISG_E10value_typeET2_T3_PNSH_ISM_E10value_typeET4_T5_PSR_SS_PNS1_23onesweep_lookback_stateEbbT6_jjT7_P12ihipStream_tbENKUlT_T0_SG_SL_E_clISA_SA_SB_SB_EEDaSZ_S10_SG_SL_EUlSZ_E_NS1_11comp_targetILNS1_3genE0ELNS1_11target_archE4294967295ELNS1_3gpuE0ELNS1_3repE0EEENS1_47radix_sort_onesweep_sort_config_static_selectorELNS0_4arch9wavefront6targetE0EEEvSG_.num_agpr, 0
	.set _ZN7rocprim17ROCPRIM_400000_NS6detail17trampoline_kernelINS0_14default_configENS1_35radix_sort_onesweep_config_selectorIaNS0_10empty_typeEEEZZNS1_29radix_sort_onesweep_iterationIS3_Lb0EPKaPaPS5_SB_mNS0_19identity_decomposerENS1_16block_id_wrapperIjLb0EEEEE10hipError_tT1_PNSt15iterator_traitsISG_E10value_typeET2_T3_PNSH_ISM_E10value_typeET4_T5_PSR_SS_PNS1_23onesweep_lookback_stateEbbT6_jjT7_P12ihipStream_tbENKUlT_T0_SG_SL_E_clISA_SA_SB_SB_EEDaSZ_S10_SG_SL_EUlSZ_E_NS1_11comp_targetILNS1_3genE0ELNS1_11target_archE4294967295ELNS1_3gpuE0ELNS1_3repE0EEENS1_47radix_sort_onesweep_sort_config_static_selectorELNS0_4arch9wavefront6targetE0EEEvSG_.numbered_sgpr, 25
	.set _ZN7rocprim17ROCPRIM_400000_NS6detail17trampoline_kernelINS0_14default_configENS1_35radix_sort_onesweep_config_selectorIaNS0_10empty_typeEEEZZNS1_29radix_sort_onesweep_iterationIS3_Lb0EPKaPaPS5_SB_mNS0_19identity_decomposerENS1_16block_id_wrapperIjLb0EEEEE10hipError_tT1_PNSt15iterator_traitsISG_E10value_typeET2_T3_PNSH_ISM_E10value_typeET4_T5_PSR_SS_PNS1_23onesweep_lookback_stateEbbT6_jjT7_P12ihipStream_tbENKUlT_T0_SG_SL_E_clISA_SA_SB_SB_EEDaSZ_S10_SG_SL_EUlSZ_E_NS1_11comp_targetILNS1_3genE0ELNS1_11target_archE4294967295ELNS1_3gpuE0ELNS1_3repE0EEENS1_47radix_sort_onesweep_sort_config_static_selectorELNS0_4arch9wavefront6targetE0EEEvSG_.num_named_barrier, 0
	.set _ZN7rocprim17ROCPRIM_400000_NS6detail17trampoline_kernelINS0_14default_configENS1_35radix_sort_onesweep_config_selectorIaNS0_10empty_typeEEEZZNS1_29radix_sort_onesweep_iterationIS3_Lb0EPKaPaPS5_SB_mNS0_19identity_decomposerENS1_16block_id_wrapperIjLb0EEEEE10hipError_tT1_PNSt15iterator_traitsISG_E10value_typeET2_T3_PNSH_ISM_E10value_typeET4_T5_PSR_SS_PNS1_23onesweep_lookback_stateEbbT6_jjT7_P12ihipStream_tbENKUlT_T0_SG_SL_E_clISA_SA_SB_SB_EEDaSZ_S10_SG_SL_EUlSZ_E_NS1_11comp_targetILNS1_3genE0ELNS1_11target_archE4294967295ELNS1_3gpuE0ELNS1_3repE0EEENS1_47radix_sort_onesweep_sort_config_static_selectorELNS0_4arch9wavefront6targetE0EEEvSG_.private_seg_size, 0
	.set _ZN7rocprim17ROCPRIM_400000_NS6detail17trampoline_kernelINS0_14default_configENS1_35radix_sort_onesweep_config_selectorIaNS0_10empty_typeEEEZZNS1_29radix_sort_onesweep_iterationIS3_Lb0EPKaPaPS5_SB_mNS0_19identity_decomposerENS1_16block_id_wrapperIjLb0EEEEE10hipError_tT1_PNSt15iterator_traitsISG_E10value_typeET2_T3_PNSH_ISM_E10value_typeET4_T5_PSR_SS_PNS1_23onesweep_lookback_stateEbbT6_jjT7_P12ihipStream_tbENKUlT_T0_SG_SL_E_clISA_SA_SB_SB_EEDaSZ_S10_SG_SL_EUlSZ_E_NS1_11comp_targetILNS1_3genE0ELNS1_11target_archE4294967295ELNS1_3gpuE0ELNS1_3repE0EEENS1_47radix_sort_onesweep_sort_config_static_selectorELNS0_4arch9wavefront6targetE0EEEvSG_.uses_vcc, 1
	.set _ZN7rocprim17ROCPRIM_400000_NS6detail17trampoline_kernelINS0_14default_configENS1_35radix_sort_onesweep_config_selectorIaNS0_10empty_typeEEEZZNS1_29radix_sort_onesweep_iterationIS3_Lb0EPKaPaPS5_SB_mNS0_19identity_decomposerENS1_16block_id_wrapperIjLb0EEEEE10hipError_tT1_PNSt15iterator_traitsISG_E10value_typeET2_T3_PNSH_ISM_E10value_typeET4_T5_PSR_SS_PNS1_23onesweep_lookback_stateEbbT6_jjT7_P12ihipStream_tbENKUlT_T0_SG_SL_E_clISA_SA_SB_SB_EEDaSZ_S10_SG_SL_EUlSZ_E_NS1_11comp_targetILNS1_3genE0ELNS1_11target_archE4294967295ELNS1_3gpuE0ELNS1_3repE0EEENS1_47radix_sort_onesweep_sort_config_static_selectorELNS0_4arch9wavefront6targetE0EEEvSG_.uses_flat_scratch, 0
	.set _ZN7rocprim17ROCPRIM_400000_NS6detail17trampoline_kernelINS0_14default_configENS1_35radix_sort_onesweep_config_selectorIaNS0_10empty_typeEEEZZNS1_29radix_sort_onesweep_iterationIS3_Lb0EPKaPaPS5_SB_mNS0_19identity_decomposerENS1_16block_id_wrapperIjLb0EEEEE10hipError_tT1_PNSt15iterator_traitsISG_E10value_typeET2_T3_PNSH_ISM_E10value_typeET4_T5_PSR_SS_PNS1_23onesweep_lookback_stateEbbT6_jjT7_P12ihipStream_tbENKUlT_T0_SG_SL_E_clISA_SA_SB_SB_EEDaSZ_S10_SG_SL_EUlSZ_E_NS1_11comp_targetILNS1_3genE0ELNS1_11target_archE4294967295ELNS1_3gpuE0ELNS1_3repE0EEENS1_47radix_sort_onesweep_sort_config_static_selectorELNS0_4arch9wavefront6targetE0EEEvSG_.has_dyn_sized_stack, 0
	.set _ZN7rocprim17ROCPRIM_400000_NS6detail17trampoline_kernelINS0_14default_configENS1_35radix_sort_onesweep_config_selectorIaNS0_10empty_typeEEEZZNS1_29radix_sort_onesweep_iterationIS3_Lb0EPKaPaPS5_SB_mNS0_19identity_decomposerENS1_16block_id_wrapperIjLb0EEEEE10hipError_tT1_PNSt15iterator_traitsISG_E10value_typeET2_T3_PNSH_ISM_E10value_typeET4_T5_PSR_SS_PNS1_23onesweep_lookback_stateEbbT6_jjT7_P12ihipStream_tbENKUlT_T0_SG_SL_E_clISA_SA_SB_SB_EEDaSZ_S10_SG_SL_EUlSZ_E_NS1_11comp_targetILNS1_3genE0ELNS1_11target_archE4294967295ELNS1_3gpuE0ELNS1_3repE0EEENS1_47radix_sort_onesweep_sort_config_static_selectorELNS0_4arch9wavefront6targetE0EEEvSG_.has_recursion, 0
	.set _ZN7rocprim17ROCPRIM_400000_NS6detail17trampoline_kernelINS0_14default_configENS1_35radix_sort_onesweep_config_selectorIaNS0_10empty_typeEEEZZNS1_29radix_sort_onesweep_iterationIS3_Lb0EPKaPaPS5_SB_mNS0_19identity_decomposerENS1_16block_id_wrapperIjLb0EEEEE10hipError_tT1_PNSt15iterator_traitsISG_E10value_typeET2_T3_PNSH_ISM_E10value_typeET4_T5_PSR_SS_PNS1_23onesweep_lookback_stateEbbT6_jjT7_P12ihipStream_tbENKUlT_T0_SG_SL_E_clISA_SA_SB_SB_EEDaSZ_S10_SG_SL_EUlSZ_E_NS1_11comp_targetILNS1_3genE0ELNS1_11target_archE4294967295ELNS1_3gpuE0ELNS1_3repE0EEENS1_47radix_sort_onesweep_sort_config_static_selectorELNS0_4arch9wavefront6targetE0EEEvSG_.has_indirect_call, 0
	.section	.AMDGPU.csdata,"",@progbits
; Kernel info:
; codeLenInByte = 14784
; TotalNumSgprs: 27
; NumVgprs: 79
; ScratchSize: 0
; MemoryBound: 0
; FloatMode: 240
; IeeeMode: 1
; LDSByteSize: 32904 bytes/workgroup (compile time only)
; SGPRBlocks: 0
; VGPRBlocks: 4
; NumSGPRsForWavesPerEU: 27
; NumVGPRsForWavesPerEU: 79
; NamedBarCnt: 0
; Occupancy: 12
; WaveLimiterHint : 0
; COMPUTE_PGM_RSRC2:SCRATCH_EN: 0
; COMPUTE_PGM_RSRC2:USER_SGPR: 2
; COMPUTE_PGM_RSRC2:TRAP_HANDLER: 0
; COMPUTE_PGM_RSRC2:TGID_X_EN: 1
; COMPUTE_PGM_RSRC2:TGID_Y_EN: 0
; COMPUTE_PGM_RSRC2:TGID_Z_EN: 0
; COMPUTE_PGM_RSRC2:TIDIG_COMP_CNT: 0
	.section	.text._ZN7rocprim17ROCPRIM_400000_NS6detail17trampoline_kernelINS0_14default_configENS1_35radix_sort_onesweep_config_selectorIaNS0_10empty_typeEEEZZNS1_29radix_sort_onesweep_iterationIS3_Lb0EPKaPaPS5_SB_mNS0_19identity_decomposerENS1_16block_id_wrapperIjLb0EEEEE10hipError_tT1_PNSt15iterator_traitsISG_E10value_typeET2_T3_PNSH_ISM_E10value_typeET4_T5_PSR_SS_PNS1_23onesweep_lookback_stateEbbT6_jjT7_P12ihipStream_tbENKUlT_T0_SG_SL_E_clISA_SA_SB_SB_EEDaSZ_S10_SG_SL_EUlSZ_E_NS1_11comp_targetILNS1_3genE6ELNS1_11target_archE950ELNS1_3gpuE13ELNS1_3repE0EEENS1_47radix_sort_onesweep_sort_config_static_selectorELNS0_4arch9wavefront6targetE0EEEvSG_,"axG",@progbits,_ZN7rocprim17ROCPRIM_400000_NS6detail17trampoline_kernelINS0_14default_configENS1_35radix_sort_onesweep_config_selectorIaNS0_10empty_typeEEEZZNS1_29radix_sort_onesweep_iterationIS3_Lb0EPKaPaPS5_SB_mNS0_19identity_decomposerENS1_16block_id_wrapperIjLb0EEEEE10hipError_tT1_PNSt15iterator_traitsISG_E10value_typeET2_T3_PNSH_ISM_E10value_typeET4_T5_PSR_SS_PNS1_23onesweep_lookback_stateEbbT6_jjT7_P12ihipStream_tbENKUlT_T0_SG_SL_E_clISA_SA_SB_SB_EEDaSZ_S10_SG_SL_EUlSZ_E_NS1_11comp_targetILNS1_3genE6ELNS1_11target_archE950ELNS1_3gpuE13ELNS1_3repE0EEENS1_47radix_sort_onesweep_sort_config_static_selectorELNS0_4arch9wavefront6targetE0EEEvSG_,comdat
	.protected	_ZN7rocprim17ROCPRIM_400000_NS6detail17trampoline_kernelINS0_14default_configENS1_35radix_sort_onesweep_config_selectorIaNS0_10empty_typeEEEZZNS1_29radix_sort_onesweep_iterationIS3_Lb0EPKaPaPS5_SB_mNS0_19identity_decomposerENS1_16block_id_wrapperIjLb0EEEEE10hipError_tT1_PNSt15iterator_traitsISG_E10value_typeET2_T3_PNSH_ISM_E10value_typeET4_T5_PSR_SS_PNS1_23onesweep_lookback_stateEbbT6_jjT7_P12ihipStream_tbENKUlT_T0_SG_SL_E_clISA_SA_SB_SB_EEDaSZ_S10_SG_SL_EUlSZ_E_NS1_11comp_targetILNS1_3genE6ELNS1_11target_archE950ELNS1_3gpuE13ELNS1_3repE0EEENS1_47radix_sort_onesweep_sort_config_static_selectorELNS0_4arch9wavefront6targetE0EEEvSG_ ; -- Begin function _ZN7rocprim17ROCPRIM_400000_NS6detail17trampoline_kernelINS0_14default_configENS1_35radix_sort_onesweep_config_selectorIaNS0_10empty_typeEEEZZNS1_29radix_sort_onesweep_iterationIS3_Lb0EPKaPaPS5_SB_mNS0_19identity_decomposerENS1_16block_id_wrapperIjLb0EEEEE10hipError_tT1_PNSt15iterator_traitsISG_E10value_typeET2_T3_PNSH_ISM_E10value_typeET4_T5_PSR_SS_PNS1_23onesweep_lookback_stateEbbT6_jjT7_P12ihipStream_tbENKUlT_T0_SG_SL_E_clISA_SA_SB_SB_EEDaSZ_S10_SG_SL_EUlSZ_E_NS1_11comp_targetILNS1_3genE6ELNS1_11target_archE950ELNS1_3gpuE13ELNS1_3repE0EEENS1_47radix_sort_onesweep_sort_config_static_selectorELNS0_4arch9wavefront6targetE0EEEvSG_
	.globl	_ZN7rocprim17ROCPRIM_400000_NS6detail17trampoline_kernelINS0_14default_configENS1_35radix_sort_onesweep_config_selectorIaNS0_10empty_typeEEEZZNS1_29radix_sort_onesweep_iterationIS3_Lb0EPKaPaPS5_SB_mNS0_19identity_decomposerENS1_16block_id_wrapperIjLb0EEEEE10hipError_tT1_PNSt15iterator_traitsISG_E10value_typeET2_T3_PNSH_ISM_E10value_typeET4_T5_PSR_SS_PNS1_23onesweep_lookback_stateEbbT6_jjT7_P12ihipStream_tbENKUlT_T0_SG_SL_E_clISA_SA_SB_SB_EEDaSZ_S10_SG_SL_EUlSZ_E_NS1_11comp_targetILNS1_3genE6ELNS1_11target_archE950ELNS1_3gpuE13ELNS1_3repE0EEENS1_47radix_sort_onesweep_sort_config_static_selectorELNS0_4arch9wavefront6targetE0EEEvSG_
	.p2align	8
	.type	_ZN7rocprim17ROCPRIM_400000_NS6detail17trampoline_kernelINS0_14default_configENS1_35radix_sort_onesweep_config_selectorIaNS0_10empty_typeEEEZZNS1_29radix_sort_onesweep_iterationIS3_Lb0EPKaPaPS5_SB_mNS0_19identity_decomposerENS1_16block_id_wrapperIjLb0EEEEE10hipError_tT1_PNSt15iterator_traitsISG_E10value_typeET2_T3_PNSH_ISM_E10value_typeET4_T5_PSR_SS_PNS1_23onesweep_lookback_stateEbbT6_jjT7_P12ihipStream_tbENKUlT_T0_SG_SL_E_clISA_SA_SB_SB_EEDaSZ_S10_SG_SL_EUlSZ_E_NS1_11comp_targetILNS1_3genE6ELNS1_11target_archE950ELNS1_3gpuE13ELNS1_3repE0EEENS1_47radix_sort_onesweep_sort_config_static_selectorELNS0_4arch9wavefront6targetE0EEEvSG_,@function
_ZN7rocprim17ROCPRIM_400000_NS6detail17trampoline_kernelINS0_14default_configENS1_35radix_sort_onesweep_config_selectorIaNS0_10empty_typeEEEZZNS1_29radix_sort_onesweep_iterationIS3_Lb0EPKaPaPS5_SB_mNS0_19identity_decomposerENS1_16block_id_wrapperIjLb0EEEEE10hipError_tT1_PNSt15iterator_traitsISG_E10value_typeET2_T3_PNSH_ISM_E10value_typeET4_T5_PSR_SS_PNS1_23onesweep_lookback_stateEbbT6_jjT7_P12ihipStream_tbENKUlT_T0_SG_SL_E_clISA_SA_SB_SB_EEDaSZ_S10_SG_SL_EUlSZ_E_NS1_11comp_targetILNS1_3genE6ELNS1_11target_archE950ELNS1_3gpuE13ELNS1_3repE0EEENS1_47radix_sort_onesweep_sort_config_static_selectorELNS0_4arch9wavefront6targetE0EEEvSG_: ; @_ZN7rocprim17ROCPRIM_400000_NS6detail17trampoline_kernelINS0_14default_configENS1_35radix_sort_onesweep_config_selectorIaNS0_10empty_typeEEEZZNS1_29radix_sort_onesweep_iterationIS3_Lb0EPKaPaPS5_SB_mNS0_19identity_decomposerENS1_16block_id_wrapperIjLb0EEEEE10hipError_tT1_PNSt15iterator_traitsISG_E10value_typeET2_T3_PNSH_ISM_E10value_typeET4_T5_PSR_SS_PNS1_23onesweep_lookback_stateEbbT6_jjT7_P12ihipStream_tbENKUlT_T0_SG_SL_E_clISA_SA_SB_SB_EEDaSZ_S10_SG_SL_EUlSZ_E_NS1_11comp_targetILNS1_3genE6ELNS1_11target_archE950ELNS1_3gpuE13ELNS1_3repE0EEENS1_47radix_sort_onesweep_sort_config_static_selectorELNS0_4arch9wavefront6targetE0EEEvSG_
; %bb.0:
	.section	.rodata,"a",@progbits
	.p2align	6, 0x0
	.amdhsa_kernel _ZN7rocprim17ROCPRIM_400000_NS6detail17trampoline_kernelINS0_14default_configENS1_35radix_sort_onesweep_config_selectorIaNS0_10empty_typeEEEZZNS1_29radix_sort_onesweep_iterationIS3_Lb0EPKaPaPS5_SB_mNS0_19identity_decomposerENS1_16block_id_wrapperIjLb0EEEEE10hipError_tT1_PNSt15iterator_traitsISG_E10value_typeET2_T3_PNSH_ISM_E10value_typeET4_T5_PSR_SS_PNS1_23onesweep_lookback_stateEbbT6_jjT7_P12ihipStream_tbENKUlT_T0_SG_SL_E_clISA_SA_SB_SB_EEDaSZ_S10_SG_SL_EUlSZ_E_NS1_11comp_targetILNS1_3genE6ELNS1_11target_archE950ELNS1_3gpuE13ELNS1_3repE0EEENS1_47radix_sort_onesweep_sort_config_static_selectorELNS0_4arch9wavefront6targetE0EEEvSG_
		.amdhsa_group_segment_fixed_size 0
		.amdhsa_private_segment_fixed_size 0
		.amdhsa_kernarg_size 88
		.amdhsa_user_sgpr_count 2
		.amdhsa_user_sgpr_dispatch_ptr 0
		.amdhsa_user_sgpr_queue_ptr 0
		.amdhsa_user_sgpr_kernarg_segment_ptr 1
		.amdhsa_user_sgpr_dispatch_id 0
		.amdhsa_user_sgpr_kernarg_preload_length 0
		.amdhsa_user_sgpr_kernarg_preload_offset 0
		.amdhsa_user_sgpr_private_segment_size 0
		.amdhsa_wavefront_size32 1
		.amdhsa_uses_dynamic_stack 0
		.amdhsa_enable_private_segment 0
		.amdhsa_system_sgpr_workgroup_id_x 1
		.amdhsa_system_sgpr_workgroup_id_y 0
		.amdhsa_system_sgpr_workgroup_id_z 0
		.amdhsa_system_sgpr_workgroup_info 0
		.amdhsa_system_vgpr_workitem_id 0
		.amdhsa_next_free_vgpr 1
		.amdhsa_next_free_sgpr 1
		.amdhsa_named_barrier_count 0
		.amdhsa_reserve_vcc 0
		.amdhsa_float_round_mode_32 0
		.amdhsa_float_round_mode_16_64 0
		.amdhsa_float_denorm_mode_32 3
		.amdhsa_float_denorm_mode_16_64 3
		.amdhsa_fp16_overflow 0
		.amdhsa_memory_ordered 1
		.amdhsa_forward_progress 1
		.amdhsa_inst_pref_size 0
		.amdhsa_round_robin_scheduling 0
		.amdhsa_exception_fp_ieee_invalid_op 0
		.amdhsa_exception_fp_denorm_src 0
		.amdhsa_exception_fp_ieee_div_zero 0
		.amdhsa_exception_fp_ieee_overflow 0
		.amdhsa_exception_fp_ieee_underflow 0
		.amdhsa_exception_fp_ieee_inexact 0
		.amdhsa_exception_int_div_zero 0
	.end_amdhsa_kernel
	.section	.text._ZN7rocprim17ROCPRIM_400000_NS6detail17trampoline_kernelINS0_14default_configENS1_35radix_sort_onesweep_config_selectorIaNS0_10empty_typeEEEZZNS1_29radix_sort_onesweep_iterationIS3_Lb0EPKaPaPS5_SB_mNS0_19identity_decomposerENS1_16block_id_wrapperIjLb0EEEEE10hipError_tT1_PNSt15iterator_traitsISG_E10value_typeET2_T3_PNSH_ISM_E10value_typeET4_T5_PSR_SS_PNS1_23onesweep_lookback_stateEbbT6_jjT7_P12ihipStream_tbENKUlT_T0_SG_SL_E_clISA_SA_SB_SB_EEDaSZ_S10_SG_SL_EUlSZ_E_NS1_11comp_targetILNS1_3genE6ELNS1_11target_archE950ELNS1_3gpuE13ELNS1_3repE0EEENS1_47radix_sort_onesweep_sort_config_static_selectorELNS0_4arch9wavefront6targetE0EEEvSG_,"axG",@progbits,_ZN7rocprim17ROCPRIM_400000_NS6detail17trampoline_kernelINS0_14default_configENS1_35radix_sort_onesweep_config_selectorIaNS0_10empty_typeEEEZZNS1_29radix_sort_onesweep_iterationIS3_Lb0EPKaPaPS5_SB_mNS0_19identity_decomposerENS1_16block_id_wrapperIjLb0EEEEE10hipError_tT1_PNSt15iterator_traitsISG_E10value_typeET2_T3_PNSH_ISM_E10value_typeET4_T5_PSR_SS_PNS1_23onesweep_lookback_stateEbbT6_jjT7_P12ihipStream_tbENKUlT_T0_SG_SL_E_clISA_SA_SB_SB_EEDaSZ_S10_SG_SL_EUlSZ_E_NS1_11comp_targetILNS1_3genE6ELNS1_11target_archE950ELNS1_3gpuE13ELNS1_3repE0EEENS1_47radix_sort_onesweep_sort_config_static_selectorELNS0_4arch9wavefront6targetE0EEEvSG_,comdat
.Lfunc_end494:
	.size	_ZN7rocprim17ROCPRIM_400000_NS6detail17trampoline_kernelINS0_14default_configENS1_35radix_sort_onesweep_config_selectorIaNS0_10empty_typeEEEZZNS1_29radix_sort_onesweep_iterationIS3_Lb0EPKaPaPS5_SB_mNS0_19identity_decomposerENS1_16block_id_wrapperIjLb0EEEEE10hipError_tT1_PNSt15iterator_traitsISG_E10value_typeET2_T3_PNSH_ISM_E10value_typeET4_T5_PSR_SS_PNS1_23onesweep_lookback_stateEbbT6_jjT7_P12ihipStream_tbENKUlT_T0_SG_SL_E_clISA_SA_SB_SB_EEDaSZ_S10_SG_SL_EUlSZ_E_NS1_11comp_targetILNS1_3genE6ELNS1_11target_archE950ELNS1_3gpuE13ELNS1_3repE0EEENS1_47radix_sort_onesweep_sort_config_static_selectorELNS0_4arch9wavefront6targetE0EEEvSG_, .Lfunc_end494-_ZN7rocprim17ROCPRIM_400000_NS6detail17trampoline_kernelINS0_14default_configENS1_35radix_sort_onesweep_config_selectorIaNS0_10empty_typeEEEZZNS1_29radix_sort_onesweep_iterationIS3_Lb0EPKaPaPS5_SB_mNS0_19identity_decomposerENS1_16block_id_wrapperIjLb0EEEEE10hipError_tT1_PNSt15iterator_traitsISG_E10value_typeET2_T3_PNSH_ISM_E10value_typeET4_T5_PSR_SS_PNS1_23onesweep_lookback_stateEbbT6_jjT7_P12ihipStream_tbENKUlT_T0_SG_SL_E_clISA_SA_SB_SB_EEDaSZ_S10_SG_SL_EUlSZ_E_NS1_11comp_targetILNS1_3genE6ELNS1_11target_archE950ELNS1_3gpuE13ELNS1_3repE0EEENS1_47radix_sort_onesweep_sort_config_static_selectorELNS0_4arch9wavefront6targetE0EEEvSG_
                                        ; -- End function
	.set _ZN7rocprim17ROCPRIM_400000_NS6detail17trampoline_kernelINS0_14default_configENS1_35radix_sort_onesweep_config_selectorIaNS0_10empty_typeEEEZZNS1_29radix_sort_onesweep_iterationIS3_Lb0EPKaPaPS5_SB_mNS0_19identity_decomposerENS1_16block_id_wrapperIjLb0EEEEE10hipError_tT1_PNSt15iterator_traitsISG_E10value_typeET2_T3_PNSH_ISM_E10value_typeET4_T5_PSR_SS_PNS1_23onesweep_lookback_stateEbbT6_jjT7_P12ihipStream_tbENKUlT_T0_SG_SL_E_clISA_SA_SB_SB_EEDaSZ_S10_SG_SL_EUlSZ_E_NS1_11comp_targetILNS1_3genE6ELNS1_11target_archE950ELNS1_3gpuE13ELNS1_3repE0EEENS1_47radix_sort_onesweep_sort_config_static_selectorELNS0_4arch9wavefront6targetE0EEEvSG_.num_vgpr, 0
	.set _ZN7rocprim17ROCPRIM_400000_NS6detail17trampoline_kernelINS0_14default_configENS1_35radix_sort_onesweep_config_selectorIaNS0_10empty_typeEEEZZNS1_29radix_sort_onesweep_iterationIS3_Lb0EPKaPaPS5_SB_mNS0_19identity_decomposerENS1_16block_id_wrapperIjLb0EEEEE10hipError_tT1_PNSt15iterator_traitsISG_E10value_typeET2_T3_PNSH_ISM_E10value_typeET4_T5_PSR_SS_PNS1_23onesweep_lookback_stateEbbT6_jjT7_P12ihipStream_tbENKUlT_T0_SG_SL_E_clISA_SA_SB_SB_EEDaSZ_S10_SG_SL_EUlSZ_E_NS1_11comp_targetILNS1_3genE6ELNS1_11target_archE950ELNS1_3gpuE13ELNS1_3repE0EEENS1_47radix_sort_onesweep_sort_config_static_selectorELNS0_4arch9wavefront6targetE0EEEvSG_.num_agpr, 0
	.set _ZN7rocprim17ROCPRIM_400000_NS6detail17trampoline_kernelINS0_14default_configENS1_35radix_sort_onesweep_config_selectorIaNS0_10empty_typeEEEZZNS1_29radix_sort_onesweep_iterationIS3_Lb0EPKaPaPS5_SB_mNS0_19identity_decomposerENS1_16block_id_wrapperIjLb0EEEEE10hipError_tT1_PNSt15iterator_traitsISG_E10value_typeET2_T3_PNSH_ISM_E10value_typeET4_T5_PSR_SS_PNS1_23onesweep_lookback_stateEbbT6_jjT7_P12ihipStream_tbENKUlT_T0_SG_SL_E_clISA_SA_SB_SB_EEDaSZ_S10_SG_SL_EUlSZ_E_NS1_11comp_targetILNS1_3genE6ELNS1_11target_archE950ELNS1_3gpuE13ELNS1_3repE0EEENS1_47radix_sort_onesweep_sort_config_static_selectorELNS0_4arch9wavefront6targetE0EEEvSG_.numbered_sgpr, 0
	.set _ZN7rocprim17ROCPRIM_400000_NS6detail17trampoline_kernelINS0_14default_configENS1_35radix_sort_onesweep_config_selectorIaNS0_10empty_typeEEEZZNS1_29radix_sort_onesweep_iterationIS3_Lb0EPKaPaPS5_SB_mNS0_19identity_decomposerENS1_16block_id_wrapperIjLb0EEEEE10hipError_tT1_PNSt15iterator_traitsISG_E10value_typeET2_T3_PNSH_ISM_E10value_typeET4_T5_PSR_SS_PNS1_23onesweep_lookback_stateEbbT6_jjT7_P12ihipStream_tbENKUlT_T0_SG_SL_E_clISA_SA_SB_SB_EEDaSZ_S10_SG_SL_EUlSZ_E_NS1_11comp_targetILNS1_3genE6ELNS1_11target_archE950ELNS1_3gpuE13ELNS1_3repE0EEENS1_47radix_sort_onesweep_sort_config_static_selectorELNS0_4arch9wavefront6targetE0EEEvSG_.num_named_barrier, 0
	.set _ZN7rocprim17ROCPRIM_400000_NS6detail17trampoline_kernelINS0_14default_configENS1_35radix_sort_onesweep_config_selectorIaNS0_10empty_typeEEEZZNS1_29radix_sort_onesweep_iterationIS3_Lb0EPKaPaPS5_SB_mNS0_19identity_decomposerENS1_16block_id_wrapperIjLb0EEEEE10hipError_tT1_PNSt15iterator_traitsISG_E10value_typeET2_T3_PNSH_ISM_E10value_typeET4_T5_PSR_SS_PNS1_23onesweep_lookback_stateEbbT6_jjT7_P12ihipStream_tbENKUlT_T0_SG_SL_E_clISA_SA_SB_SB_EEDaSZ_S10_SG_SL_EUlSZ_E_NS1_11comp_targetILNS1_3genE6ELNS1_11target_archE950ELNS1_3gpuE13ELNS1_3repE0EEENS1_47radix_sort_onesweep_sort_config_static_selectorELNS0_4arch9wavefront6targetE0EEEvSG_.private_seg_size, 0
	.set _ZN7rocprim17ROCPRIM_400000_NS6detail17trampoline_kernelINS0_14default_configENS1_35radix_sort_onesweep_config_selectorIaNS0_10empty_typeEEEZZNS1_29radix_sort_onesweep_iterationIS3_Lb0EPKaPaPS5_SB_mNS0_19identity_decomposerENS1_16block_id_wrapperIjLb0EEEEE10hipError_tT1_PNSt15iterator_traitsISG_E10value_typeET2_T3_PNSH_ISM_E10value_typeET4_T5_PSR_SS_PNS1_23onesweep_lookback_stateEbbT6_jjT7_P12ihipStream_tbENKUlT_T0_SG_SL_E_clISA_SA_SB_SB_EEDaSZ_S10_SG_SL_EUlSZ_E_NS1_11comp_targetILNS1_3genE6ELNS1_11target_archE950ELNS1_3gpuE13ELNS1_3repE0EEENS1_47radix_sort_onesweep_sort_config_static_selectorELNS0_4arch9wavefront6targetE0EEEvSG_.uses_vcc, 0
	.set _ZN7rocprim17ROCPRIM_400000_NS6detail17trampoline_kernelINS0_14default_configENS1_35radix_sort_onesweep_config_selectorIaNS0_10empty_typeEEEZZNS1_29radix_sort_onesweep_iterationIS3_Lb0EPKaPaPS5_SB_mNS0_19identity_decomposerENS1_16block_id_wrapperIjLb0EEEEE10hipError_tT1_PNSt15iterator_traitsISG_E10value_typeET2_T3_PNSH_ISM_E10value_typeET4_T5_PSR_SS_PNS1_23onesweep_lookback_stateEbbT6_jjT7_P12ihipStream_tbENKUlT_T0_SG_SL_E_clISA_SA_SB_SB_EEDaSZ_S10_SG_SL_EUlSZ_E_NS1_11comp_targetILNS1_3genE6ELNS1_11target_archE950ELNS1_3gpuE13ELNS1_3repE0EEENS1_47radix_sort_onesweep_sort_config_static_selectorELNS0_4arch9wavefront6targetE0EEEvSG_.uses_flat_scratch, 0
	.set _ZN7rocprim17ROCPRIM_400000_NS6detail17trampoline_kernelINS0_14default_configENS1_35radix_sort_onesweep_config_selectorIaNS0_10empty_typeEEEZZNS1_29radix_sort_onesweep_iterationIS3_Lb0EPKaPaPS5_SB_mNS0_19identity_decomposerENS1_16block_id_wrapperIjLb0EEEEE10hipError_tT1_PNSt15iterator_traitsISG_E10value_typeET2_T3_PNSH_ISM_E10value_typeET4_T5_PSR_SS_PNS1_23onesweep_lookback_stateEbbT6_jjT7_P12ihipStream_tbENKUlT_T0_SG_SL_E_clISA_SA_SB_SB_EEDaSZ_S10_SG_SL_EUlSZ_E_NS1_11comp_targetILNS1_3genE6ELNS1_11target_archE950ELNS1_3gpuE13ELNS1_3repE0EEENS1_47radix_sort_onesweep_sort_config_static_selectorELNS0_4arch9wavefront6targetE0EEEvSG_.has_dyn_sized_stack, 0
	.set _ZN7rocprim17ROCPRIM_400000_NS6detail17trampoline_kernelINS0_14default_configENS1_35radix_sort_onesweep_config_selectorIaNS0_10empty_typeEEEZZNS1_29radix_sort_onesweep_iterationIS3_Lb0EPKaPaPS5_SB_mNS0_19identity_decomposerENS1_16block_id_wrapperIjLb0EEEEE10hipError_tT1_PNSt15iterator_traitsISG_E10value_typeET2_T3_PNSH_ISM_E10value_typeET4_T5_PSR_SS_PNS1_23onesweep_lookback_stateEbbT6_jjT7_P12ihipStream_tbENKUlT_T0_SG_SL_E_clISA_SA_SB_SB_EEDaSZ_S10_SG_SL_EUlSZ_E_NS1_11comp_targetILNS1_3genE6ELNS1_11target_archE950ELNS1_3gpuE13ELNS1_3repE0EEENS1_47radix_sort_onesweep_sort_config_static_selectorELNS0_4arch9wavefront6targetE0EEEvSG_.has_recursion, 0
	.set _ZN7rocprim17ROCPRIM_400000_NS6detail17trampoline_kernelINS0_14default_configENS1_35radix_sort_onesweep_config_selectorIaNS0_10empty_typeEEEZZNS1_29radix_sort_onesweep_iterationIS3_Lb0EPKaPaPS5_SB_mNS0_19identity_decomposerENS1_16block_id_wrapperIjLb0EEEEE10hipError_tT1_PNSt15iterator_traitsISG_E10value_typeET2_T3_PNSH_ISM_E10value_typeET4_T5_PSR_SS_PNS1_23onesweep_lookback_stateEbbT6_jjT7_P12ihipStream_tbENKUlT_T0_SG_SL_E_clISA_SA_SB_SB_EEDaSZ_S10_SG_SL_EUlSZ_E_NS1_11comp_targetILNS1_3genE6ELNS1_11target_archE950ELNS1_3gpuE13ELNS1_3repE0EEENS1_47radix_sort_onesweep_sort_config_static_selectorELNS0_4arch9wavefront6targetE0EEEvSG_.has_indirect_call, 0
	.section	.AMDGPU.csdata,"",@progbits
; Kernel info:
; codeLenInByte = 0
; TotalNumSgprs: 0
; NumVgprs: 0
; ScratchSize: 0
; MemoryBound: 0
; FloatMode: 240
; IeeeMode: 1
; LDSByteSize: 0 bytes/workgroup (compile time only)
; SGPRBlocks: 0
; VGPRBlocks: 0
; NumSGPRsForWavesPerEU: 1
; NumVGPRsForWavesPerEU: 1
; NamedBarCnt: 0
; Occupancy: 16
; WaveLimiterHint : 0
; COMPUTE_PGM_RSRC2:SCRATCH_EN: 0
; COMPUTE_PGM_RSRC2:USER_SGPR: 2
; COMPUTE_PGM_RSRC2:TRAP_HANDLER: 0
; COMPUTE_PGM_RSRC2:TGID_X_EN: 1
; COMPUTE_PGM_RSRC2:TGID_Y_EN: 0
; COMPUTE_PGM_RSRC2:TGID_Z_EN: 0
; COMPUTE_PGM_RSRC2:TIDIG_COMP_CNT: 0
	.section	.text._ZN7rocprim17ROCPRIM_400000_NS6detail17trampoline_kernelINS0_14default_configENS1_35radix_sort_onesweep_config_selectorIaNS0_10empty_typeEEEZZNS1_29radix_sort_onesweep_iterationIS3_Lb0EPKaPaPS5_SB_mNS0_19identity_decomposerENS1_16block_id_wrapperIjLb0EEEEE10hipError_tT1_PNSt15iterator_traitsISG_E10value_typeET2_T3_PNSH_ISM_E10value_typeET4_T5_PSR_SS_PNS1_23onesweep_lookback_stateEbbT6_jjT7_P12ihipStream_tbENKUlT_T0_SG_SL_E_clISA_SA_SB_SB_EEDaSZ_S10_SG_SL_EUlSZ_E_NS1_11comp_targetILNS1_3genE5ELNS1_11target_archE942ELNS1_3gpuE9ELNS1_3repE0EEENS1_47radix_sort_onesweep_sort_config_static_selectorELNS0_4arch9wavefront6targetE0EEEvSG_,"axG",@progbits,_ZN7rocprim17ROCPRIM_400000_NS6detail17trampoline_kernelINS0_14default_configENS1_35radix_sort_onesweep_config_selectorIaNS0_10empty_typeEEEZZNS1_29radix_sort_onesweep_iterationIS3_Lb0EPKaPaPS5_SB_mNS0_19identity_decomposerENS1_16block_id_wrapperIjLb0EEEEE10hipError_tT1_PNSt15iterator_traitsISG_E10value_typeET2_T3_PNSH_ISM_E10value_typeET4_T5_PSR_SS_PNS1_23onesweep_lookback_stateEbbT6_jjT7_P12ihipStream_tbENKUlT_T0_SG_SL_E_clISA_SA_SB_SB_EEDaSZ_S10_SG_SL_EUlSZ_E_NS1_11comp_targetILNS1_3genE5ELNS1_11target_archE942ELNS1_3gpuE9ELNS1_3repE0EEENS1_47radix_sort_onesweep_sort_config_static_selectorELNS0_4arch9wavefront6targetE0EEEvSG_,comdat
	.protected	_ZN7rocprim17ROCPRIM_400000_NS6detail17trampoline_kernelINS0_14default_configENS1_35radix_sort_onesweep_config_selectorIaNS0_10empty_typeEEEZZNS1_29radix_sort_onesweep_iterationIS3_Lb0EPKaPaPS5_SB_mNS0_19identity_decomposerENS1_16block_id_wrapperIjLb0EEEEE10hipError_tT1_PNSt15iterator_traitsISG_E10value_typeET2_T3_PNSH_ISM_E10value_typeET4_T5_PSR_SS_PNS1_23onesweep_lookback_stateEbbT6_jjT7_P12ihipStream_tbENKUlT_T0_SG_SL_E_clISA_SA_SB_SB_EEDaSZ_S10_SG_SL_EUlSZ_E_NS1_11comp_targetILNS1_3genE5ELNS1_11target_archE942ELNS1_3gpuE9ELNS1_3repE0EEENS1_47radix_sort_onesweep_sort_config_static_selectorELNS0_4arch9wavefront6targetE0EEEvSG_ ; -- Begin function _ZN7rocprim17ROCPRIM_400000_NS6detail17trampoline_kernelINS0_14default_configENS1_35radix_sort_onesweep_config_selectorIaNS0_10empty_typeEEEZZNS1_29radix_sort_onesweep_iterationIS3_Lb0EPKaPaPS5_SB_mNS0_19identity_decomposerENS1_16block_id_wrapperIjLb0EEEEE10hipError_tT1_PNSt15iterator_traitsISG_E10value_typeET2_T3_PNSH_ISM_E10value_typeET4_T5_PSR_SS_PNS1_23onesweep_lookback_stateEbbT6_jjT7_P12ihipStream_tbENKUlT_T0_SG_SL_E_clISA_SA_SB_SB_EEDaSZ_S10_SG_SL_EUlSZ_E_NS1_11comp_targetILNS1_3genE5ELNS1_11target_archE942ELNS1_3gpuE9ELNS1_3repE0EEENS1_47radix_sort_onesweep_sort_config_static_selectorELNS0_4arch9wavefront6targetE0EEEvSG_
	.globl	_ZN7rocprim17ROCPRIM_400000_NS6detail17trampoline_kernelINS0_14default_configENS1_35radix_sort_onesweep_config_selectorIaNS0_10empty_typeEEEZZNS1_29radix_sort_onesweep_iterationIS3_Lb0EPKaPaPS5_SB_mNS0_19identity_decomposerENS1_16block_id_wrapperIjLb0EEEEE10hipError_tT1_PNSt15iterator_traitsISG_E10value_typeET2_T3_PNSH_ISM_E10value_typeET4_T5_PSR_SS_PNS1_23onesweep_lookback_stateEbbT6_jjT7_P12ihipStream_tbENKUlT_T0_SG_SL_E_clISA_SA_SB_SB_EEDaSZ_S10_SG_SL_EUlSZ_E_NS1_11comp_targetILNS1_3genE5ELNS1_11target_archE942ELNS1_3gpuE9ELNS1_3repE0EEENS1_47radix_sort_onesweep_sort_config_static_selectorELNS0_4arch9wavefront6targetE0EEEvSG_
	.p2align	8
	.type	_ZN7rocprim17ROCPRIM_400000_NS6detail17trampoline_kernelINS0_14default_configENS1_35radix_sort_onesweep_config_selectorIaNS0_10empty_typeEEEZZNS1_29radix_sort_onesweep_iterationIS3_Lb0EPKaPaPS5_SB_mNS0_19identity_decomposerENS1_16block_id_wrapperIjLb0EEEEE10hipError_tT1_PNSt15iterator_traitsISG_E10value_typeET2_T3_PNSH_ISM_E10value_typeET4_T5_PSR_SS_PNS1_23onesweep_lookback_stateEbbT6_jjT7_P12ihipStream_tbENKUlT_T0_SG_SL_E_clISA_SA_SB_SB_EEDaSZ_S10_SG_SL_EUlSZ_E_NS1_11comp_targetILNS1_3genE5ELNS1_11target_archE942ELNS1_3gpuE9ELNS1_3repE0EEENS1_47radix_sort_onesweep_sort_config_static_selectorELNS0_4arch9wavefront6targetE0EEEvSG_,@function
_ZN7rocprim17ROCPRIM_400000_NS6detail17trampoline_kernelINS0_14default_configENS1_35radix_sort_onesweep_config_selectorIaNS0_10empty_typeEEEZZNS1_29radix_sort_onesweep_iterationIS3_Lb0EPKaPaPS5_SB_mNS0_19identity_decomposerENS1_16block_id_wrapperIjLb0EEEEE10hipError_tT1_PNSt15iterator_traitsISG_E10value_typeET2_T3_PNSH_ISM_E10value_typeET4_T5_PSR_SS_PNS1_23onesweep_lookback_stateEbbT6_jjT7_P12ihipStream_tbENKUlT_T0_SG_SL_E_clISA_SA_SB_SB_EEDaSZ_S10_SG_SL_EUlSZ_E_NS1_11comp_targetILNS1_3genE5ELNS1_11target_archE942ELNS1_3gpuE9ELNS1_3repE0EEENS1_47radix_sort_onesweep_sort_config_static_selectorELNS0_4arch9wavefront6targetE0EEEvSG_: ; @_ZN7rocprim17ROCPRIM_400000_NS6detail17trampoline_kernelINS0_14default_configENS1_35radix_sort_onesweep_config_selectorIaNS0_10empty_typeEEEZZNS1_29radix_sort_onesweep_iterationIS3_Lb0EPKaPaPS5_SB_mNS0_19identity_decomposerENS1_16block_id_wrapperIjLb0EEEEE10hipError_tT1_PNSt15iterator_traitsISG_E10value_typeET2_T3_PNSH_ISM_E10value_typeET4_T5_PSR_SS_PNS1_23onesweep_lookback_stateEbbT6_jjT7_P12ihipStream_tbENKUlT_T0_SG_SL_E_clISA_SA_SB_SB_EEDaSZ_S10_SG_SL_EUlSZ_E_NS1_11comp_targetILNS1_3genE5ELNS1_11target_archE942ELNS1_3gpuE9ELNS1_3repE0EEENS1_47radix_sort_onesweep_sort_config_static_selectorELNS0_4arch9wavefront6targetE0EEEvSG_
; %bb.0:
	.section	.rodata,"a",@progbits
	.p2align	6, 0x0
	.amdhsa_kernel _ZN7rocprim17ROCPRIM_400000_NS6detail17trampoline_kernelINS0_14default_configENS1_35radix_sort_onesweep_config_selectorIaNS0_10empty_typeEEEZZNS1_29radix_sort_onesweep_iterationIS3_Lb0EPKaPaPS5_SB_mNS0_19identity_decomposerENS1_16block_id_wrapperIjLb0EEEEE10hipError_tT1_PNSt15iterator_traitsISG_E10value_typeET2_T3_PNSH_ISM_E10value_typeET4_T5_PSR_SS_PNS1_23onesweep_lookback_stateEbbT6_jjT7_P12ihipStream_tbENKUlT_T0_SG_SL_E_clISA_SA_SB_SB_EEDaSZ_S10_SG_SL_EUlSZ_E_NS1_11comp_targetILNS1_3genE5ELNS1_11target_archE942ELNS1_3gpuE9ELNS1_3repE0EEENS1_47radix_sort_onesweep_sort_config_static_selectorELNS0_4arch9wavefront6targetE0EEEvSG_
		.amdhsa_group_segment_fixed_size 0
		.amdhsa_private_segment_fixed_size 0
		.amdhsa_kernarg_size 88
		.amdhsa_user_sgpr_count 2
		.amdhsa_user_sgpr_dispatch_ptr 0
		.amdhsa_user_sgpr_queue_ptr 0
		.amdhsa_user_sgpr_kernarg_segment_ptr 1
		.amdhsa_user_sgpr_dispatch_id 0
		.amdhsa_user_sgpr_kernarg_preload_length 0
		.amdhsa_user_sgpr_kernarg_preload_offset 0
		.amdhsa_user_sgpr_private_segment_size 0
		.amdhsa_wavefront_size32 1
		.amdhsa_uses_dynamic_stack 0
		.amdhsa_enable_private_segment 0
		.amdhsa_system_sgpr_workgroup_id_x 1
		.amdhsa_system_sgpr_workgroup_id_y 0
		.amdhsa_system_sgpr_workgroup_id_z 0
		.amdhsa_system_sgpr_workgroup_info 0
		.amdhsa_system_vgpr_workitem_id 0
		.amdhsa_next_free_vgpr 1
		.amdhsa_next_free_sgpr 1
		.amdhsa_named_barrier_count 0
		.amdhsa_reserve_vcc 0
		.amdhsa_float_round_mode_32 0
		.amdhsa_float_round_mode_16_64 0
		.amdhsa_float_denorm_mode_32 3
		.amdhsa_float_denorm_mode_16_64 3
		.amdhsa_fp16_overflow 0
		.amdhsa_memory_ordered 1
		.amdhsa_forward_progress 1
		.amdhsa_inst_pref_size 0
		.amdhsa_round_robin_scheduling 0
		.amdhsa_exception_fp_ieee_invalid_op 0
		.amdhsa_exception_fp_denorm_src 0
		.amdhsa_exception_fp_ieee_div_zero 0
		.amdhsa_exception_fp_ieee_overflow 0
		.amdhsa_exception_fp_ieee_underflow 0
		.amdhsa_exception_fp_ieee_inexact 0
		.amdhsa_exception_int_div_zero 0
	.end_amdhsa_kernel
	.section	.text._ZN7rocprim17ROCPRIM_400000_NS6detail17trampoline_kernelINS0_14default_configENS1_35radix_sort_onesweep_config_selectorIaNS0_10empty_typeEEEZZNS1_29radix_sort_onesweep_iterationIS3_Lb0EPKaPaPS5_SB_mNS0_19identity_decomposerENS1_16block_id_wrapperIjLb0EEEEE10hipError_tT1_PNSt15iterator_traitsISG_E10value_typeET2_T3_PNSH_ISM_E10value_typeET4_T5_PSR_SS_PNS1_23onesweep_lookback_stateEbbT6_jjT7_P12ihipStream_tbENKUlT_T0_SG_SL_E_clISA_SA_SB_SB_EEDaSZ_S10_SG_SL_EUlSZ_E_NS1_11comp_targetILNS1_3genE5ELNS1_11target_archE942ELNS1_3gpuE9ELNS1_3repE0EEENS1_47radix_sort_onesweep_sort_config_static_selectorELNS0_4arch9wavefront6targetE0EEEvSG_,"axG",@progbits,_ZN7rocprim17ROCPRIM_400000_NS6detail17trampoline_kernelINS0_14default_configENS1_35radix_sort_onesweep_config_selectorIaNS0_10empty_typeEEEZZNS1_29radix_sort_onesweep_iterationIS3_Lb0EPKaPaPS5_SB_mNS0_19identity_decomposerENS1_16block_id_wrapperIjLb0EEEEE10hipError_tT1_PNSt15iterator_traitsISG_E10value_typeET2_T3_PNSH_ISM_E10value_typeET4_T5_PSR_SS_PNS1_23onesweep_lookback_stateEbbT6_jjT7_P12ihipStream_tbENKUlT_T0_SG_SL_E_clISA_SA_SB_SB_EEDaSZ_S10_SG_SL_EUlSZ_E_NS1_11comp_targetILNS1_3genE5ELNS1_11target_archE942ELNS1_3gpuE9ELNS1_3repE0EEENS1_47radix_sort_onesweep_sort_config_static_selectorELNS0_4arch9wavefront6targetE0EEEvSG_,comdat
.Lfunc_end495:
	.size	_ZN7rocprim17ROCPRIM_400000_NS6detail17trampoline_kernelINS0_14default_configENS1_35radix_sort_onesweep_config_selectorIaNS0_10empty_typeEEEZZNS1_29radix_sort_onesweep_iterationIS3_Lb0EPKaPaPS5_SB_mNS0_19identity_decomposerENS1_16block_id_wrapperIjLb0EEEEE10hipError_tT1_PNSt15iterator_traitsISG_E10value_typeET2_T3_PNSH_ISM_E10value_typeET4_T5_PSR_SS_PNS1_23onesweep_lookback_stateEbbT6_jjT7_P12ihipStream_tbENKUlT_T0_SG_SL_E_clISA_SA_SB_SB_EEDaSZ_S10_SG_SL_EUlSZ_E_NS1_11comp_targetILNS1_3genE5ELNS1_11target_archE942ELNS1_3gpuE9ELNS1_3repE0EEENS1_47radix_sort_onesweep_sort_config_static_selectorELNS0_4arch9wavefront6targetE0EEEvSG_, .Lfunc_end495-_ZN7rocprim17ROCPRIM_400000_NS6detail17trampoline_kernelINS0_14default_configENS1_35radix_sort_onesweep_config_selectorIaNS0_10empty_typeEEEZZNS1_29radix_sort_onesweep_iterationIS3_Lb0EPKaPaPS5_SB_mNS0_19identity_decomposerENS1_16block_id_wrapperIjLb0EEEEE10hipError_tT1_PNSt15iterator_traitsISG_E10value_typeET2_T3_PNSH_ISM_E10value_typeET4_T5_PSR_SS_PNS1_23onesweep_lookback_stateEbbT6_jjT7_P12ihipStream_tbENKUlT_T0_SG_SL_E_clISA_SA_SB_SB_EEDaSZ_S10_SG_SL_EUlSZ_E_NS1_11comp_targetILNS1_3genE5ELNS1_11target_archE942ELNS1_3gpuE9ELNS1_3repE0EEENS1_47radix_sort_onesweep_sort_config_static_selectorELNS0_4arch9wavefront6targetE0EEEvSG_
                                        ; -- End function
	.set _ZN7rocprim17ROCPRIM_400000_NS6detail17trampoline_kernelINS0_14default_configENS1_35radix_sort_onesweep_config_selectorIaNS0_10empty_typeEEEZZNS1_29radix_sort_onesweep_iterationIS3_Lb0EPKaPaPS5_SB_mNS0_19identity_decomposerENS1_16block_id_wrapperIjLb0EEEEE10hipError_tT1_PNSt15iterator_traitsISG_E10value_typeET2_T3_PNSH_ISM_E10value_typeET4_T5_PSR_SS_PNS1_23onesweep_lookback_stateEbbT6_jjT7_P12ihipStream_tbENKUlT_T0_SG_SL_E_clISA_SA_SB_SB_EEDaSZ_S10_SG_SL_EUlSZ_E_NS1_11comp_targetILNS1_3genE5ELNS1_11target_archE942ELNS1_3gpuE9ELNS1_3repE0EEENS1_47radix_sort_onesweep_sort_config_static_selectorELNS0_4arch9wavefront6targetE0EEEvSG_.num_vgpr, 0
	.set _ZN7rocprim17ROCPRIM_400000_NS6detail17trampoline_kernelINS0_14default_configENS1_35radix_sort_onesweep_config_selectorIaNS0_10empty_typeEEEZZNS1_29radix_sort_onesweep_iterationIS3_Lb0EPKaPaPS5_SB_mNS0_19identity_decomposerENS1_16block_id_wrapperIjLb0EEEEE10hipError_tT1_PNSt15iterator_traitsISG_E10value_typeET2_T3_PNSH_ISM_E10value_typeET4_T5_PSR_SS_PNS1_23onesweep_lookback_stateEbbT6_jjT7_P12ihipStream_tbENKUlT_T0_SG_SL_E_clISA_SA_SB_SB_EEDaSZ_S10_SG_SL_EUlSZ_E_NS1_11comp_targetILNS1_3genE5ELNS1_11target_archE942ELNS1_3gpuE9ELNS1_3repE0EEENS1_47radix_sort_onesweep_sort_config_static_selectorELNS0_4arch9wavefront6targetE0EEEvSG_.num_agpr, 0
	.set _ZN7rocprim17ROCPRIM_400000_NS6detail17trampoline_kernelINS0_14default_configENS1_35radix_sort_onesweep_config_selectorIaNS0_10empty_typeEEEZZNS1_29radix_sort_onesweep_iterationIS3_Lb0EPKaPaPS5_SB_mNS0_19identity_decomposerENS1_16block_id_wrapperIjLb0EEEEE10hipError_tT1_PNSt15iterator_traitsISG_E10value_typeET2_T3_PNSH_ISM_E10value_typeET4_T5_PSR_SS_PNS1_23onesweep_lookback_stateEbbT6_jjT7_P12ihipStream_tbENKUlT_T0_SG_SL_E_clISA_SA_SB_SB_EEDaSZ_S10_SG_SL_EUlSZ_E_NS1_11comp_targetILNS1_3genE5ELNS1_11target_archE942ELNS1_3gpuE9ELNS1_3repE0EEENS1_47radix_sort_onesweep_sort_config_static_selectorELNS0_4arch9wavefront6targetE0EEEvSG_.numbered_sgpr, 0
	.set _ZN7rocprim17ROCPRIM_400000_NS6detail17trampoline_kernelINS0_14default_configENS1_35radix_sort_onesweep_config_selectorIaNS0_10empty_typeEEEZZNS1_29radix_sort_onesweep_iterationIS3_Lb0EPKaPaPS5_SB_mNS0_19identity_decomposerENS1_16block_id_wrapperIjLb0EEEEE10hipError_tT1_PNSt15iterator_traitsISG_E10value_typeET2_T3_PNSH_ISM_E10value_typeET4_T5_PSR_SS_PNS1_23onesweep_lookback_stateEbbT6_jjT7_P12ihipStream_tbENKUlT_T0_SG_SL_E_clISA_SA_SB_SB_EEDaSZ_S10_SG_SL_EUlSZ_E_NS1_11comp_targetILNS1_3genE5ELNS1_11target_archE942ELNS1_3gpuE9ELNS1_3repE0EEENS1_47radix_sort_onesweep_sort_config_static_selectorELNS0_4arch9wavefront6targetE0EEEvSG_.num_named_barrier, 0
	.set _ZN7rocprim17ROCPRIM_400000_NS6detail17trampoline_kernelINS0_14default_configENS1_35radix_sort_onesweep_config_selectorIaNS0_10empty_typeEEEZZNS1_29radix_sort_onesweep_iterationIS3_Lb0EPKaPaPS5_SB_mNS0_19identity_decomposerENS1_16block_id_wrapperIjLb0EEEEE10hipError_tT1_PNSt15iterator_traitsISG_E10value_typeET2_T3_PNSH_ISM_E10value_typeET4_T5_PSR_SS_PNS1_23onesweep_lookback_stateEbbT6_jjT7_P12ihipStream_tbENKUlT_T0_SG_SL_E_clISA_SA_SB_SB_EEDaSZ_S10_SG_SL_EUlSZ_E_NS1_11comp_targetILNS1_3genE5ELNS1_11target_archE942ELNS1_3gpuE9ELNS1_3repE0EEENS1_47radix_sort_onesweep_sort_config_static_selectorELNS0_4arch9wavefront6targetE0EEEvSG_.private_seg_size, 0
	.set _ZN7rocprim17ROCPRIM_400000_NS6detail17trampoline_kernelINS0_14default_configENS1_35radix_sort_onesweep_config_selectorIaNS0_10empty_typeEEEZZNS1_29radix_sort_onesweep_iterationIS3_Lb0EPKaPaPS5_SB_mNS0_19identity_decomposerENS1_16block_id_wrapperIjLb0EEEEE10hipError_tT1_PNSt15iterator_traitsISG_E10value_typeET2_T3_PNSH_ISM_E10value_typeET4_T5_PSR_SS_PNS1_23onesweep_lookback_stateEbbT6_jjT7_P12ihipStream_tbENKUlT_T0_SG_SL_E_clISA_SA_SB_SB_EEDaSZ_S10_SG_SL_EUlSZ_E_NS1_11comp_targetILNS1_3genE5ELNS1_11target_archE942ELNS1_3gpuE9ELNS1_3repE0EEENS1_47radix_sort_onesweep_sort_config_static_selectorELNS0_4arch9wavefront6targetE0EEEvSG_.uses_vcc, 0
	.set _ZN7rocprim17ROCPRIM_400000_NS6detail17trampoline_kernelINS0_14default_configENS1_35radix_sort_onesweep_config_selectorIaNS0_10empty_typeEEEZZNS1_29radix_sort_onesweep_iterationIS3_Lb0EPKaPaPS5_SB_mNS0_19identity_decomposerENS1_16block_id_wrapperIjLb0EEEEE10hipError_tT1_PNSt15iterator_traitsISG_E10value_typeET2_T3_PNSH_ISM_E10value_typeET4_T5_PSR_SS_PNS1_23onesweep_lookback_stateEbbT6_jjT7_P12ihipStream_tbENKUlT_T0_SG_SL_E_clISA_SA_SB_SB_EEDaSZ_S10_SG_SL_EUlSZ_E_NS1_11comp_targetILNS1_3genE5ELNS1_11target_archE942ELNS1_3gpuE9ELNS1_3repE0EEENS1_47radix_sort_onesweep_sort_config_static_selectorELNS0_4arch9wavefront6targetE0EEEvSG_.uses_flat_scratch, 0
	.set _ZN7rocprim17ROCPRIM_400000_NS6detail17trampoline_kernelINS0_14default_configENS1_35radix_sort_onesweep_config_selectorIaNS0_10empty_typeEEEZZNS1_29radix_sort_onesweep_iterationIS3_Lb0EPKaPaPS5_SB_mNS0_19identity_decomposerENS1_16block_id_wrapperIjLb0EEEEE10hipError_tT1_PNSt15iterator_traitsISG_E10value_typeET2_T3_PNSH_ISM_E10value_typeET4_T5_PSR_SS_PNS1_23onesweep_lookback_stateEbbT6_jjT7_P12ihipStream_tbENKUlT_T0_SG_SL_E_clISA_SA_SB_SB_EEDaSZ_S10_SG_SL_EUlSZ_E_NS1_11comp_targetILNS1_3genE5ELNS1_11target_archE942ELNS1_3gpuE9ELNS1_3repE0EEENS1_47radix_sort_onesweep_sort_config_static_selectorELNS0_4arch9wavefront6targetE0EEEvSG_.has_dyn_sized_stack, 0
	.set _ZN7rocprim17ROCPRIM_400000_NS6detail17trampoline_kernelINS0_14default_configENS1_35radix_sort_onesweep_config_selectorIaNS0_10empty_typeEEEZZNS1_29radix_sort_onesweep_iterationIS3_Lb0EPKaPaPS5_SB_mNS0_19identity_decomposerENS1_16block_id_wrapperIjLb0EEEEE10hipError_tT1_PNSt15iterator_traitsISG_E10value_typeET2_T3_PNSH_ISM_E10value_typeET4_T5_PSR_SS_PNS1_23onesweep_lookback_stateEbbT6_jjT7_P12ihipStream_tbENKUlT_T0_SG_SL_E_clISA_SA_SB_SB_EEDaSZ_S10_SG_SL_EUlSZ_E_NS1_11comp_targetILNS1_3genE5ELNS1_11target_archE942ELNS1_3gpuE9ELNS1_3repE0EEENS1_47radix_sort_onesweep_sort_config_static_selectorELNS0_4arch9wavefront6targetE0EEEvSG_.has_recursion, 0
	.set _ZN7rocprim17ROCPRIM_400000_NS6detail17trampoline_kernelINS0_14default_configENS1_35radix_sort_onesweep_config_selectorIaNS0_10empty_typeEEEZZNS1_29radix_sort_onesweep_iterationIS3_Lb0EPKaPaPS5_SB_mNS0_19identity_decomposerENS1_16block_id_wrapperIjLb0EEEEE10hipError_tT1_PNSt15iterator_traitsISG_E10value_typeET2_T3_PNSH_ISM_E10value_typeET4_T5_PSR_SS_PNS1_23onesweep_lookback_stateEbbT6_jjT7_P12ihipStream_tbENKUlT_T0_SG_SL_E_clISA_SA_SB_SB_EEDaSZ_S10_SG_SL_EUlSZ_E_NS1_11comp_targetILNS1_3genE5ELNS1_11target_archE942ELNS1_3gpuE9ELNS1_3repE0EEENS1_47radix_sort_onesweep_sort_config_static_selectorELNS0_4arch9wavefront6targetE0EEEvSG_.has_indirect_call, 0
	.section	.AMDGPU.csdata,"",@progbits
; Kernel info:
; codeLenInByte = 0
; TotalNumSgprs: 0
; NumVgprs: 0
; ScratchSize: 0
; MemoryBound: 0
; FloatMode: 240
; IeeeMode: 1
; LDSByteSize: 0 bytes/workgroup (compile time only)
; SGPRBlocks: 0
; VGPRBlocks: 0
; NumSGPRsForWavesPerEU: 1
; NumVGPRsForWavesPerEU: 1
; NamedBarCnt: 0
; Occupancy: 16
; WaveLimiterHint : 0
; COMPUTE_PGM_RSRC2:SCRATCH_EN: 0
; COMPUTE_PGM_RSRC2:USER_SGPR: 2
; COMPUTE_PGM_RSRC2:TRAP_HANDLER: 0
; COMPUTE_PGM_RSRC2:TGID_X_EN: 1
; COMPUTE_PGM_RSRC2:TGID_Y_EN: 0
; COMPUTE_PGM_RSRC2:TGID_Z_EN: 0
; COMPUTE_PGM_RSRC2:TIDIG_COMP_CNT: 0
	.section	.text._ZN7rocprim17ROCPRIM_400000_NS6detail17trampoline_kernelINS0_14default_configENS1_35radix_sort_onesweep_config_selectorIaNS0_10empty_typeEEEZZNS1_29radix_sort_onesweep_iterationIS3_Lb0EPKaPaPS5_SB_mNS0_19identity_decomposerENS1_16block_id_wrapperIjLb0EEEEE10hipError_tT1_PNSt15iterator_traitsISG_E10value_typeET2_T3_PNSH_ISM_E10value_typeET4_T5_PSR_SS_PNS1_23onesweep_lookback_stateEbbT6_jjT7_P12ihipStream_tbENKUlT_T0_SG_SL_E_clISA_SA_SB_SB_EEDaSZ_S10_SG_SL_EUlSZ_E_NS1_11comp_targetILNS1_3genE2ELNS1_11target_archE906ELNS1_3gpuE6ELNS1_3repE0EEENS1_47radix_sort_onesweep_sort_config_static_selectorELNS0_4arch9wavefront6targetE0EEEvSG_,"axG",@progbits,_ZN7rocprim17ROCPRIM_400000_NS6detail17trampoline_kernelINS0_14default_configENS1_35radix_sort_onesweep_config_selectorIaNS0_10empty_typeEEEZZNS1_29radix_sort_onesweep_iterationIS3_Lb0EPKaPaPS5_SB_mNS0_19identity_decomposerENS1_16block_id_wrapperIjLb0EEEEE10hipError_tT1_PNSt15iterator_traitsISG_E10value_typeET2_T3_PNSH_ISM_E10value_typeET4_T5_PSR_SS_PNS1_23onesweep_lookback_stateEbbT6_jjT7_P12ihipStream_tbENKUlT_T0_SG_SL_E_clISA_SA_SB_SB_EEDaSZ_S10_SG_SL_EUlSZ_E_NS1_11comp_targetILNS1_3genE2ELNS1_11target_archE906ELNS1_3gpuE6ELNS1_3repE0EEENS1_47radix_sort_onesweep_sort_config_static_selectorELNS0_4arch9wavefront6targetE0EEEvSG_,comdat
	.protected	_ZN7rocprim17ROCPRIM_400000_NS6detail17trampoline_kernelINS0_14default_configENS1_35radix_sort_onesweep_config_selectorIaNS0_10empty_typeEEEZZNS1_29radix_sort_onesweep_iterationIS3_Lb0EPKaPaPS5_SB_mNS0_19identity_decomposerENS1_16block_id_wrapperIjLb0EEEEE10hipError_tT1_PNSt15iterator_traitsISG_E10value_typeET2_T3_PNSH_ISM_E10value_typeET4_T5_PSR_SS_PNS1_23onesweep_lookback_stateEbbT6_jjT7_P12ihipStream_tbENKUlT_T0_SG_SL_E_clISA_SA_SB_SB_EEDaSZ_S10_SG_SL_EUlSZ_E_NS1_11comp_targetILNS1_3genE2ELNS1_11target_archE906ELNS1_3gpuE6ELNS1_3repE0EEENS1_47radix_sort_onesweep_sort_config_static_selectorELNS0_4arch9wavefront6targetE0EEEvSG_ ; -- Begin function _ZN7rocprim17ROCPRIM_400000_NS6detail17trampoline_kernelINS0_14default_configENS1_35radix_sort_onesweep_config_selectorIaNS0_10empty_typeEEEZZNS1_29radix_sort_onesweep_iterationIS3_Lb0EPKaPaPS5_SB_mNS0_19identity_decomposerENS1_16block_id_wrapperIjLb0EEEEE10hipError_tT1_PNSt15iterator_traitsISG_E10value_typeET2_T3_PNSH_ISM_E10value_typeET4_T5_PSR_SS_PNS1_23onesweep_lookback_stateEbbT6_jjT7_P12ihipStream_tbENKUlT_T0_SG_SL_E_clISA_SA_SB_SB_EEDaSZ_S10_SG_SL_EUlSZ_E_NS1_11comp_targetILNS1_3genE2ELNS1_11target_archE906ELNS1_3gpuE6ELNS1_3repE0EEENS1_47radix_sort_onesweep_sort_config_static_selectorELNS0_4arch9wavefront6targetE0EEEvSG_
	.globl	_ZN7rocprim17ROCPRIM_400000_NS6detail17trampoline_kernelINS0_14default_configENS1_35radix_sort_onesweep_config_selectorIaNS0_10empty_typeEEEZZNS1_29radix_sort_onesweep_iterationIS3_Lb0EPKaPaPS5_SB_mNS0_19identity_decomposerENS1_16block_id_wrapperIjLb0EEEEE10hipError_tT1_PNSt15iterator_traitsISG_E10value_typeET2_T3_PNSH_ISM_E10value_typeET4_T5_PSR_SS_PNS1_23onesweep_lookback_stateEbbT6_jjT7_P12ihipStream_tbENKUlT_T0_SG_SL_E_clISA_SA_SB_SB_EEDaSZ_S10_SG_SL_EUlSZ_E_NS1_11comp_targetILNS1_3genE2ELNS1_11target_archE906ELNS1_3gpuE6ELNS1_3repE0EEENS1_47radix_sort_onesweep_sort_config_static_selectorELNS0_4arch9wavefront6targetE0EEEvSG_
	.p2align	8
	.type	_ZN7rocprim17ROCPRIM_400000_NS6detail17trampoline_kernelINS0_14default_configENS1_35radix_sort_onesweep_config_selectorIaNS0_10empty_typeEEEZZNS1_29radix_sort_onesweep_iterationIS3_Lb0EPKaPaPS5_SB_mNS0_19identity_decomposerENS1_16block_id_wrapperIjLb0EEEEE10hipError_tT1_PNSt15iterator_traitsISG_E10value_typeET2_T3_PNSH_ISM_E10value_typeET4_T5_PSR_SS_PNS1_23onesweep_lookback_stateEbbT6_jjT7_P12ihipStream_tbENKUlT_T0_SG_SL_E_clISA_SA_SB_SB_EEDaSZ_S10_SG_SL_EUlSZ_E_NS1_11comp_targetILNS1_3genE2ELNS1_11target_archE906ELNS1_3gpuE6ELNS1_3repE0EEENS1_47radix_sort_onesweep_sort_config_static_selectorELNS0_4arch9wavefront6targetE0EEEvSG_,@function
_ZN7rocprim17ROCPRIM_400000_NS6detail17trampoline_kernelINS0_14default_configENS1_35radix_sort_onesweep_config_selectorIaNS0_10empty_typeEEEZZNS1_29radix_sort_onesweep_iterationIS3_Lb0EPKaPaPS5_SB_mNS0_19identity_decomposerENS1_16block_id_wrapperIjLb0EEEEE10hipError_tT1_PNSt15iterator_traitsISG_E10value_typeET2_T3_PNSH_ISM_E10value_typeET4_T5_PSR_SS_PNS1_23onesweep_lookback_stateEbbT6_jjT7_P12ihipStream_tbENKUlT_T0_SG_SL_E_clISA_SA_SB_SB_EEDaSZ_S10_SG_SL_EUlSZ_E_NS1_11comp_targetILNS1_3genE2ELNS1_11target_archE906ELNS1_3gpuE6ELNS1_3repE0EEENS1_47radix_sort_onesweep_sort_config_static_selectorELNS0_4arch9wavefront6targetE0EEEvSG_: ; @_ZN7rocprim17ROCPRIM_400000_NS6detail17trampoline_kernelINS0_14default_configENS1_35radix_sort_onesweep_config_selectorIaNS0_10empty_typeEEEZZNS1_29radix_sort_onesweep_iterationIS3_Lb0EPKaPaPS5_SB_mNS0_19identity_decomposerENS1_16block_id_wrapperIjLb0EEEEE10hipError_tT1_PNSt15iterator_traitsISG_E10value_typeET2_T3_PNSH_ISM_E10value_typeET4_T5_PSR_SS_PNS1_23onesweep_lookback_stateEbbT6_jjT7_P12ihipStream_tbENKUlT_T0_SG_SL_E_clISA_SA_SB_SB_EEDaSZ_S10_SG_SL_EUlSZ_E_NS1_11comp_targetILNS1_3genE2ELNS1_11target_archE906ELNS1_3gpuE6ELNS1_3repE0EEENS1_47radix_sort_onesweep_sort_config_static_selectorELNS0_4arch9wavefront6targetE0EEEvSG_
; %bb.0:
	.section	.rodata,"a",@progbits
	.p2align	6, 0x0
	.amdhsa_kernel _ZN7rocprim17ROCPRIM_400000_NS6detail17trampoline_kernelINS0_14default_configENS1_35radix_sort_onesweep_config_selectorIaNS0_10empty_typeEEEZZNS1_29radix_sort_onesweep_iterationIS3_Lb0EPKaPaPS5_SB_mNS0_19identity_decomposerENS1_16block_id_wrapperIjLb0EEEEE10hipError_tT1_PNSt15iterator_traitsISG_E10value_typeET2_T3_PNSH_ISM_E10value_typeET4_T5_PSR_SS_PNS1_23onesweep_lookback_stateEbbT6_jjT7_P12ihipStream_tbENKUlT_T0_SG_SL_E_clISA_SA_SB_SB_EEDaSZ_S10_SG_SL_EUlSZ_E_NS1_11comp_targetILNS1_3genE2ELNS1_11target_archE906ELNS1_3gpuE6ELNS1_3repE0EEENS1_47radix_sort_onesweep_sort_config_static_selectorELNS0_4arch9wavefront6targetE0EEEvSG_
		.amdhsa_group_segment_fixed_size 0
		.amdhsa_private_segment_fixed_size 0
		.amdhsa_kernarg_size 88
		.amdhsa_user_sgpr_count 2
		.amdhsa_user_sgpr_dispatch_ptr 0
		.amdhsa_user_sgpr_queue_ptr 0
		.amdhsa_user_sgpr_kernarg_segment_ptr 1
		.amdhsa_user_sgpr_dispatch_id 0
		.amdhsa_user_sgpr_kernarg_preload_length 0
		.amdhsa_user_sgpr_kernarg_preload_offset 0
		.amdhsa_user_sgpr_private_segment_size 0
		.amdhsa_wavefront_size32 1
		.amdhsa_uses_dynamic_stack 0
		.amdhsa_enable_private_segment 0
		.amdhsa_system_sgpr_workgroup_id_x 1
		.amdhsa_system_sgpr_workgroup_id_y 0
		.amdhsa_system_sgpr_workgroup_id_z 0
		.amdhsa_system_sgpr_workgroup_info 0
		.amdhsa_system_vgpr_workitem_id 0
		.amdhsa_next_free_vgpr 1
		.amdhsa_next_free_sgpr 1
		.amdhsa_named_barrier_count 0
		.amdhsa_reserve_vcc 0
		.amdhsa_float_round_mode_32 0
		.amdhsa_float_round_mode_16_64 0
		.amdhsa_float_denorm_mode_32 3
		.amdhsa_float_denorm_mode_16_64 3
		.amdhsa_fp16_overflow 0
		.amdhsa_memory_ordered 1
		.amdhsa_forward_progress 1
		.amdhsa_inst_pref_size 0
		.amdhsa_round_robin_scheduling 0
		.amdhsa_exception_fp_ieee_invalid_op 0
		.amdhsa_exception_fp_denorm_src 0
		.amdhsa_exception_fp_ieee_div_zero 0
		.amdhsa_exception_fp_ieee_overflow 0
		.amdhsa_exception_fp_ieee_underflow 0
		.amdhsa_exception_fp_ieee_inexact 0
		.amdhsa_exception_int_div_zero 0
	.end_amdhsa_kernel
	.section	.text._ZN7rocprim17ROCPRIM_400000_NS6detail17trampoline_kernelINS0_14default_configENS1_35radix_sort_onesweep_config_selectorIaNS0_10empty_typeEEEZZNS1_29radix_sort_onesweep_iterationIS3_Lb0EPKaPaPS5_SB_mNS0_19identity_decomposerENS1_16block_id_wrapperIjLb0EEEEE10hipError_tT1_PNSt15iterator_traitsISG_E10value_typeET2_T3_PNSH_ISM_E10value_typeET4_T5_PSR_SS_PNS1_23onesweep_lookback_stateEbbT6_jjT7_P12ihipStream_tbENKUlT_T0_SG_SL_E_clISA_SA_SB_SB_EEDaSZ_S10_SG_SL_EUlSZ_E_NS1_11comp_targetILNS1_3genE2ELNS1_11target_archE906ELNS1_3gpuE6ELNS1_3repE0EEENS1_47radix_sort_onesweep_sort_config_static_selectorELNS0_4arch9wavefront6targetE0EEEvSG_,"axG",@progbits,_ZN7rocprim17ROCPRIM_400000_NS6detail17trampoline_kernelINS0_14default_configENS1_35radix_sort_onesweep_config_selectorIaNS0_10empty_typeEEEZZNS1_29radix_sort_onesweep_iterationIS3_Lb0EPKaPaPS5_SB_mNS0_19identity_decomposerENS1_16block_id_wrapperIjLb0EEEEE10hipError_tT1_PNSt15iterator_traitsISG_E10value_typeET2_T3_PNSH_ISM_E10value_typeET4_T5_PSR_SS_PNS1_23onesweep_lookback_stateEbbT6_jjT7_P12ihipStream_tbENKUlT_T0_SG_SL_E_clISA_SA_SB_SB_EEDaSZ_S10_SG_SL_EUlSZ_E_NS1_11comp_targetILNS1_3genE2ELNS1_11target_archE906ELNS1_3gpuE6ELNS1_3repE0EEENS1_47radix_sort_onesweep_sort_config_static_selectorELNS0_4arch9wavefront6targetE0EEEvSG_,comdat
.Lfunc_end496:
	.size	_ZN7rocprim17ROCPRIM_400000_NS6detail17trampoline_kernelINS0_14default_configENS1_35radix_sort_onesweep_config_selectorIaNS0_10empty_typeEEEZZNS1_29radix_sort_onesweep_iterationIS3_Lb0EPKaPaPS5_SB_mNS0_19identity_decomposerENS1_16block_id_wrapperIjLb0EEEEE10hipError_tT1_PNSt15iterator_traitsISG_E10value_typeET2_T3_PNSH_ISM_E10value_typeET4_T5_PSR_SS_PNS1_23onesweep_lookback_stateEbbT6_jjT7_P12ihipStream_tbENKUlT_T0_SG_SL_E_clISA_SA_SB_SB_EEDaSZ_S10_SG_SL_EUlSZ_E_NS1_11comp_targetILNS1_3genE2ELNS1_11target_archE906ELNS1_3gpuE6ELNS1_3repE0EEENS1_47radix_sort_onesweep_sort_config_static_selectorELNS0_4arch9wavefront6targetE0EEEvSG_, .Lfunc_end496-_ZN7rocprim17ROCPRIM_400000_NS6detail17trampoline_kernelINS0_14default_configENS1_35radix_sort_onesweep_config_selectorIaNS0_10empty_typeEEEZZNS1_29radix_sort_onesweep_iterationIS3_Lb0EPKaPaPS5_SB_mNS0_19identity_decomposerENS1_16block_id_wrapperIjLb0EEEEE10hipError_tT1_PNSt15iterator_traitsISG_E10value_typeET2_T3_PNSH_ISM_E10value_typeET4_T5_PSR_SS_PNS1_23onesweep_lookback_stateEbbT6_jjT7_P12ihipStream_tbENKUlT_T0_SG_SL_E_clISA_SA_SB_SB_EEDaSZ_S10_SG_SL_EUlSZ_E_NS1_11comp_targetILNS1_3genE2ELNS1_11target_archE906ELNS1_3gpuE6ELNS1_3repE0EEENS1_47radix_sort_onesweep_sort_config_static_selectorELNS0_4arch9wavefront6targetE0EEEvSG_
                                        ; -- End function
	.set _ZN7rocprim17ROCPRIM_400000_NS6detail17trampoline_kernelINS0_14default_configENS1_35radix_sort_onesweep_config_selectorIaNS0_10empty_typeEEEZZNS1_29radix_sort_onesweep_iterationIS3_Lb0EPKaPaPS5_SB_mNS0_19identity_decomposerENS1_16block_id_wrapperIjLb0EEEEE10hipError_tT1_PNSt15iterator_traitsISG_E10value_typeET2_T3_PNSH_ISM_E10value_typeET4_T5_PSR_SS_PNS1_23onesweep_lookback_stateEbbT6_jjT7_P12ihipStream_tbENKUlT_T0_SG_SL_E_clISA_SA_SB_SB_EEDaSZ_S10_SG_SL_EUlSZ_E_NS1_11comp_targetILNS1_3genE2ELNS1_11target_archE906ELNS1_3gpuE6ELNS1_3repE0EEENS1_47radix_sort_onesweep_sort_config_static_selectorELNS0_4arch9wavefront6targetE0EEEvSG_.num_vgpr, 0
	.set _ZN7rocprim17ROCPRIM_400000_NS6detail17trampoline_kernelINS0_14default_configENS1_35radix_sort_onesweep_config_selectorIaNS0_10empty_typeEEEZZNS1_29radix_sort_onesweep_iterationIS3_Lb0EPKaPaPS5_SB_mNS0_19identity_decomposerENS1_16block_id_wrapperIjLb0EEEEE10hipError_tT1_PNSt15iterator_traitsISG_E10value_typeET2_T3_PNSH_ISM_E10value_typeET4_T5_PSR_SS_PNS1_23onesweep_lookback_stateEbbT6_jjT7_P12ihipStream_tbENKUlT_T0_SG_SL_E_clISA_SA_SB_SB_EEDaSZ_S10_SG_SL_EUlSZ_E_NS1_11comp_targetILNS1_3genE2ELNS1_11target_archE906ELNS1_3gpuE6ELNS1_3repE0EEENS1_47radix_sort_onesweep_sort_config_static_selectorELNS0_4arch9wavefront6targetE0EEEvSG_.num_agpr, 0
	.set _ZN7rocprim17ROCPRIM_400000_NS6detail17trampoline_kernelINS0_14default_configENS1_35radix_sort_onesweep_config_selectorIaNS0_10empty_typeEEEZZNS1_29radix_sort_onesweep_iterationIS3_Lb0EPKaPaPS5_SB_mNS0_19identity_decomposerENS1_16block_id_wrapperIjLb0EEEEE10hipError_tT1_PNSt15iterator_traitsISG_E10value_typeET2_T3_PNSH_ISM_E10value_typeET4_T5_PSR_SS_PNS1_23onesweep_lookback_stateEbbT6_jjT7_P12ihipStream_tbENKUlT_T0_SG_SL_E_clISA_SA_SB_SB_EEDaSZ_S10_SG_SL_EUlSZ_E_NS1_11comp_targetILNS1_3genE2ELNS1_11target_archE906ELNS1_3gpuE6ELNS1_3repE0EEENS1_47radix_sort_onesweep_sort_config_static_selectorELNS0_4arch9wavefront6targetE0EEEvSG_.numbered_sgpr, 0
	.set _ZN7rocprim17ROCPRIM_400000_NS6detail17trampoline_kernelINS0_14default_configENS1_35radix_sort_onesweep_config_selectorIaNS0_10empty_typeEEEZZNS1_29radix_sort_onesweep_iterationIS3_Lb0EPKaPaPS5_SB_mNS0_19identity_decomposerENS1_16block_id_wrapperIjLb0EEEEE10hipError_tT1_PNSt15iterator_traitsISG_E10value_typeET2_T3_PNSH_ISM_E10value_typeET4_T5_PSR_SS_PNS1_23onesweep_lookback_stateEbbT6_jjT7_P12ihipStream_tbENKUlT_T0_SG_SL_E_clISA_SA_SB_SB_EEDaSZ_S10_SG_SL_EUlSZ_E_NS1_11comp_targetILNS1_3genE2ELNS1_11target_archE906ELNS1_3gpuE6ELNS1_3repE0EEENS1_47radix_sort_onesweep_sort_config_static_selectorELNS0_4arch9wavefront6targetE0EEEvSG_.num_named_barrier, 0
	.set _ZN7rocprim17ROCPRIM_400000_NS6detail17trampoline_kernelINS0_14default_configENS1_35radix_sort_onesweep_config_selectorIaNS0_10empty_typeEEEZZNS1_29radix_sort_onesweep_iterationIS3_Lb0EPKaPaPS5_SB_mNS0_19identity_decomposerENS1_16block_id_wrapperIjLb0EEEEE10hipError_tT1_PNSt15iterator_traitsISG_E10value_typeET2_T3_PNSH_ISM_E10value_typeET4_T5_PSR_SS_PNS1_23onesweep_lookback_stateEbbT6_jjT7_P12ihipStream_tbENKUlT_T0_SG_SL_E_clISA_SA_SB_SB_EEDaSZ_S10_SG_SL_EUlSZ_E_NS1_11comp_targetILNS1_3genE2ELNS1_11target_archE906ELNS1_3gpuE6ELNS1_3repE0EEENS1_47radix_sort_onesweep_sort_config_static_selectorELNS0_4arch9wavefront6targetE0EEEvSG_.private_seg_size, 0
	.set _ZN7rocprim17ROCPRIM_400000_NS6detail17trampoline_kernelINS0_14default_configENS1_35radix_sort_onesweep_config_selectorIaNS0_10empty_typeEEEZZNS1_29radix_sort_onesweep_iterationIS3_Lb0EPKaPaPS5_SB_mNS0_19identity_decomposerENS1_16block_id_wrapperIjLb0EEEEE10hipError_tT1_PNSt15iterator_traitsISG_E10value_typeET2_T3_PNSH_ISM_E10value_typeET4_T5_PSR_SS_PNS1_23onesweep_lookback_stateEbbT6_jjT7_P12ihipStream_tbENKUlT_T0_SG_SL_E_clISA_SA_SB_SB_EEDaSZ_S10_SG_SL_EUlSZ_E_NS1_11comp_targetILNS1_3genE2ELNS1_11target_archE906ELNS1_3gpuE6ELNS1_3repE0EEENS1_47radix_sort_onesweep_sort_config_static_selectorELNS0_4arch9wavefront6targetE0EEEvSG_.uses_vcc, 0
	.set _ZN7rocprim17ROCPRIM_400000_NS6detail17trampoline_kernelINS0_14default_configENS1_35radix_sort_onesweep_config_selectorIaNS0_10empty_typeEEEZZNS1_29radix_sort_onesweep_iterationIS3_Lb0EPKaPaPS5_SB_mNS0_19identity_decomposerENS1_16block_id_wrapperIjLb0EEEEE10hipError_tT1_PNSt15iterator_traitsISG_E10value_typeET2_T3_PNSH_ISM_E10value_typeET4_T5_PSR_SS_PNS1_23onesweep_lookback_stateEbbT6_jjT7_P12ihipStream_tbENKUlT_T0_SG_SL_E_clISA_SA_SB_SB_EEDaSZ_S10_SG_SL_EUlSZ_E_NS1_11comp_targetILNS1_3genE2ELNS1_11target_archE906ELNS1_3gpuE6ELNS1_3repE0EEENS1_47radix_sort_onesweep_sort_config_static_selectorELNS0_4arch9wavefront6targetE0EEEvSG_.uses_flat_scratch, 0
	.set _ZN7rocprim17ROCPRIM_400000_NS6detail17trampoline_kernelINS0_14default_configENS1_35radix_sort_onesweep_config_selectorIaNS0_10empty_typeEEEZZNS1_29radix_sort_onesweep_iterationIS3_Lb0EPKaPaPS5_SB_mNS0_19identity_decomposerENS1_16block_id_wrapperIjLb0EEEEE10hipError_tT1_PNSt15iterator_traitsISG_E10value_typeET2_T3_PNSH_ISM_E10value_typeET4_T5_PSR_SS_PNS1_23onesweep_lookback_stateEbbT6_jjT7_P12ihipStream_tbENKUlT_T0_SG_SL_E_clISA_SA_SB_SB_EEDaSZ_S10_SG_SL_EUlSZ_E_NS1_11comp_targetILNS1_3genE2ELNS1_11target_archE906ELNS1_3gpuE6ELNS1_3repE0EEENS1_47radix_sort_onesweep_sort_config_static_selectorELNS0_4arch9wavefront6targetE0EEEvSG_.has_dyn_sized_stack, 0
	.set _ZN7rocprim17ROCPRIM_400000_NS6detail17trampoline_kernelINS0_14default_configENS1_35radix_sort_onesweep_config_selectorIaNS0_10empty_typeEEEZZNS1_29radix_sort_onesweep_iterationIS3_Lb0EPKaPaPS5_SB_mNS0_19identity_decomposerENS1_16block_id_wrapperIjLb0EEEEE10hipError_tT1_PNSt15iterator_traitsISG_E10value_typeET2_T3_PNSH_ISM_E10value_typeET4_T5_PSR_SS_PNS1_23onesweep_lookback_stateEbbT6_jjT7_P12ihipStream_tbENKUlT_T0_SG_SL_E_clISA_SA_SB_SB_EEDaSZ_S10_SG_SL_EUlSZ_E_NS1_11comp_targetILNS1_3genE2ELNS1_11target_archE906ELNS1_3gpuE6ELNS1_3repE0EEENS1_47radix_sort_onesweep_sort_config_static_selectorELNS0_4arch9wavefront6targetE0EEEvSG_.has_recursion, 0
	.set _ZN7rocprim17ROCPRIM_400000_NS6detail17trampoline_kernelINS0_14default_configENS1_35radix_sort_onesweep_config_selectorIaNS0_10empty_typeEEEZZNS1_29radix_sort_onesweep_iterationIS3_Lb0EPKaPaPS5_SB_mNS0_19identity_decomposerENS1_16block_id_wrapperIjLb0EEEEE10hipError_tT1_PNSt15iterator_traitsISG_E10value_typeET2_T3_PNSH_ISM_E10value_typeET4_T5_PSR_SS_PNS1_23onesweep_lookback_stateEbbT6_jjT7_P12ihipStream_tbENKUlT_T0_SG_SL_E_clISA_SA_SB_SB_EEDaSZ_S10_SG_SL_EUlSZ_E_NS1_11comp_targetILNS1_3genE2ELNS1_11target_archE906ELNS1_3gpuE6ELNS1_3repE0EEENS1_47radix_sort_onesweep_sort_config_static_selectorELNS0_4arch9wavefront6targetE0EEEvSG_.has_indirect_call, 0
	.section	.AMDGPU.csdata,"",@progbits
; Kernel info:
; codeLenInByte = 0
; TotalNumSgprs: 0
; NumVgprs: 0
; ScratchSize: 0
; MemoryBound: 0
; FloatMode: 240
; IeeeMode: 1
; LDSByteSize: 0 bytes/workgroup (compile time only)
; SGPRBlocks: 0
; VGPRBlocks: 0
; NumSGPRsForWavesPerEU: 1
; NumVGPRsForWavesPerEU: 1
; NamedBarCnt: 0
; Occupancy: 16
; WaveLimiterHint : 0
; COMPUTE_PGM_RSRC2:SCRATCH_EN: 0
; COMPUTE_PGM_RSRC2:USER_SGPR: 2
; COMPUTE_PGM_RSRC2:TRAP_HANDLER: 0
; COMPUTE_PGM_RSRC2:TGID_X_EN: 1
; COMPUTE_PGM_RSRC2:TGID_Y_EN: 0
; COMPUTE_PGM_RSRC2:TGID_Z_EN: 0
; COMPUTE_PGM_RSRC2:TIDIG_COMP_CNT: 0
	.section	.text._ZN7rocprim17ROCPRIM_400000_NS6detail17trampoline_kernelINS0_14default_configENS1_35radix_sort_onesweep_config_selectorIaNS0_10empty_typeEEEZZNS1_29radix_sort_onesweep_iterationIS3_Lb0EPKaPaPS5_SB_mNS0_19identity_decomposerENS1_16block_id_wrapperIjLb0EEEEE10hipError_tT1_PNSt15iterator_traitsISG_E10value_typeET2_T3_PNSH_ISM_E10value_typeET4_T5_PSR_SS_PNS1_23onesweep_lookback_stateEbbT6_jjT7_P12ihipStream_tbENKUlT_T0_SG_SL_E_clISA_SA_SB_SB_EEDaSZ_S10_SG_SL_EUlSZ_E_NS1_11comp_targetILNS1_3genE4ELNS1_11target_archE910ELNS1_3gpuE8ELNS1_3repE0EEENS1_47radix_sort_onesweep_sort_config_static_selectorELNS0_4arch9wavefront6targetE0EEEvSG_,"axG",@progbits,_ZN7rocprim17ROCPRIM_400000_NS6detail17trampoline_kernelINS0_14default_configENS1_35radix_sort_onesweep_config_selectorIaNS0_10empty_typeEEEZZNS1_29radix_sort_onesweep_iterationIS3_Lb0EPKaPaPS5_SB_mNS0_19identity_decomposerENS1_16block_id_wrapperIjLb0EEEEE10hipError_tT1_PNSt15iterator_traitsISG_E10value_typeET2_T3_PNSH_ISM_E10value_typeET4_T5_PSR_SS_PNS1_23onesweep_lookback_stateEbbT6_jjT7_P12ihipStream_tbENKUlT_T0_SG_SL_E_clISA_SA_SB_SB_EEDaSZ_S10_SG_SL_EUlSZ_E_NS1_11comp_targetILNS1_3genE4ELNS1_11target_archE910ELNS1_3gpuE8ELNS1_3repE0EEENS1_47radix_sort_onesweep_sort_config_static_selectorELNS0_4arch9wavefront6targetE0EEEvSG_,comdat
	.protected	_ZN7rocprim17ROCPRIM_400000_NS6detail17trampoline_kernelINS0_14default_configENS1_35radix_sort_onesweep_config_selectorIaNS0_10empty_typeEEEZZNS1_29radix_sort_onesweep_iterationIS3_Lb0EPKaPaPS5_SB_mNS0_19identity_decomposerENS1_16block_id_wrapperIjLb0EEEEE10hipError_tT1_PNSt15iterator_traitsISG_E10value_typeET2_T3_PNSH_ISM_E10value_typeET4_T5_PSR_SS_PNS1_23onesweep_lookback_stateEbbT6_jjT7_P12ihipStream_tbENKUlT_T0_SG_SL_E_clISA_SA_SB_SB_EEDaSZ_S10_SG_SL_EUlSZ_E_NS1_11comp_targetILNS1_3genE4ELNS1_11target_archE910ELNS1_3gpuE8ELNS1_3repE0EEENS1_47radix_sort_onesweep_sort_config_static_selectorELNS0_4arch9wavefront6targetE0EEEvSG_ ; -- Begin function _ZN7rocprim17ROCPRIM_400000_NS6detail17trampoline_kernelINS0_14default_configENS1_35radix_sort_onesweep_config_selectorIaNS0_10empty_typeEEEZZNS1_29radix_sort_onesweep_iterationIS3_Lb0EPKaPaPS5_SB_mNS0_19identity_decomposerENS1_16block_id_wrapperIjLb0EEEEE10hipError_tT1_PNSt15iterator_traitsISG_E10value_typeET2_T3_PNSH_ISM_E10value_typeET4_T5_PSR_SS_PNS1_23onesweep_lookback_stateEbbT6_jjT7_P12ihipStream_tbENKUlT_T0_SG_SL_E_clISA_SA_SB_SB_EEDaSZ_S10_SG_SL_EUlSZ_E_NS1_11comp_targetILNS1_3genE4ELNS1_11target_archE910ELNS1_3gpuE8ELNS1_3repE0EEENS1_47radix_sort_onesweep_sort_config_static_selectorELNS0_4arch9wavefront6targetE0EEEvSG_
	.globl	_ZN7rocprim17ROCPRIM_400000_NS6detail17trampoline_kernelINS0_14default_configENS1_35radix_sort_onesweep_config_selectorIaNS0_10empty_typeEEEZZNS1_29radix_sort_onesweep_iterationIS3_Lb0EPKaPaPS5_SB_mNS0_19identity_decomposerENS1_16block_id_wrapperIjLb0EEEEE10hipError_tT1_PNSt15iterator_traitsISG_E10value_typeET2_T3_PNSH_ISM_E10value_typeET4_T5_PSR_SS_PNS1_23onesweep_lookback_stateEbbT6_jjT7_P12ihipStream_tbENKUlT_T0_SG_SL_E_clISA_SA_SB_SB_EEDaSZ_S10_SG_SL_EUlSZ_E_NS1_11comp_targetILNS1_3genE4ELNS1_11target_archE910ELNS1_3gpuE8ELNS1_3repE0EEENS1_47radix_sort_onesweep_sort_config_static_selectorELNS0_4arch9wavefront6targetE0EEEvSG_
	.p2align	8
	.type	_ZN7rocprim17ROCPRIM_400000_NS6detail17trampoline_kernelINS0_14default_configENS1_35radix_sort_onesweep_config_selectorIaNS0_10empty_typeEEEZZNS1_29radix_sort_onesweep_iterationIS3_Lb0EPKaPaPS5_SB_mNS0_19identity_decomposerENS1_16block_id_wrapperIjLb0EEEEE10hipError_tT1_PNSt15iterator_traitsISG_E10value_typeET2_T3_PNSH_ISM_E10value_typeET4_T5_PSR_SS_PNS1_23onesweep_lookback_stateEbbT6_jjT7_P12ihipStream_tbENKUlT_T0_SG_SL_E_clISA_SA_SB_SB_EEDaSZ_S10_SG_SL_EUlSZ_E_NS1_11comp_targetILNS1_3genE4ELNS1_11target_archE910ELNS1_3gpuE8ELNS1_3repE0EEENS1_47radix_sort_onesweep_sort_config_static_selectorELNS0_4arch9wavefront6targetE0EEEvSG_,@function
_ZN7rocprim17ROCPRIM_400000_NS6detail17trampoline_kernelINS0_14default_configENS1_35radix_sort_onesweep_config_selectorIaNS0_10empty_typeEEEZZNS1_29radix_sort_onesweep_iterationIS3_Lb0EPKaPaPS5_SB_mNS0_19identity_decomposerENS1_16block_id_wrapperIjLb0EEEEE10hipError_tT1_PNSt15iterator_traitsISG_E10value_typeET2_T3_PNSH_ISM_E10value_typeET4_T5_PSR_SS_PNS1_23onesweep_lookback_stateEbbT6_jjT7_P12ihipStream_tbENKUlT_T0_SG_SL_E_clISA_SA_SB_SB_EEDaSZ_S10_SG_SL_EUlSZ_E_NS1_11comp_targetILNS1_3genE4ELNS1_11target_archE910ELNS1_3gpuE8ELNS1_3repE0EEENS1_47radix_sort_onesweep_sort_config_static_selectorELNS0_4arch9wavefront6targetE0EEEvSG_: ; @_ZN7rocprim17ROCPRIM_400000_NS6detail17trampoline_kernelINS0_14default_configENS1_35radix_sort_onesweep_config_selectorIaNS0_10empty_typeEEEZZNS1_29radix_sort_onesweep_iterationIS3_Lb0EPKaPaPS5_SB_mNS0_19identity_decomposerENS1_16block_id_wrapperIjLb0EEEEE10hipError_tT1_PNSt15iterator_traitsISG_E10value_typeET2_T3_PNSH_ISM_E10value_typeET4_T5_PSR_SS_PNS1_23onesweep_lookback_stateEbbT6_jjT7_P12ihipStream_tbENKUlT_T0_SG_SL_E_clISA_SA_SB_SB_EEDaSZ_S10_SG_SL_EUlSZ_E_NS1_11comp_targetILNS1_3genE4ELNS1_11target_archE910ELNS1_3gpuE8ELNS1_3repE0EEENS1_47radix_sort_onesweep_sort_config_static_selectorELNS0_4arch9wavefront6targetE0EEEvSG_
; %bb.0:
	.section	.rodata,"a",@progbits
	.p2align	6, 0x0
	.amdhsa_kernel _ZN7rocprim17ROCPRIM_400000_NS6detail17trampoline_kernelINS0_14default_configENS1_35radix_sort_onesweep_config_selectorIaNS0_10empty_typeEEEZZNS1_29radix_sort_onesweep_iterationIS3_Lb0EPKaPaPS5_SB_mNS0_19identity_decomposerENS1_16block_id_wrapperIjLb0EEEEE10hipError_tT1_PNSt15iterator_traitsISG_E10value_typeET2_T3_PNSH_ISM_E10value_typeET4_T5_PSR_SS_PNS1_23onesweep_lookback_stateEbbT6_jjT7_P12ihipStream_tbENKUlT_T0_SG_SL_E_clISA_SA_SB_SB_EEDaSZ_S10_SG_SL_EUlSZ_E_NS1_11comp_targetILNS1_3genE4ELNS1_11target_archE910ELNS1_3gpuE8ELNS1_3repE0EEENS1_47radix_sort_onesweep_sort_config_static_selectorELNS0_4arch9wavefront6targetE0EEEvSG_
		.amdhsa_group_segment_fixed_size 0
		.amdhsa_private_segment_fixed_size 0
		.amdhsa_kernarg_size 88
		.amdhsa_user_sgpr_count 2
		.amdhsa_user_sgpr_dispatch_ptr 0
		.amdhsa_user_sgpr_queue_ptr 0
		.amdhsa_user_sgpr_kernarg_segment_ptr 1
		.amdhsa_user_sgpr_dispatch_id 0
		.amdhsa_user_sgpr_kernarg_preload_length 0
		.amdhsa_user_sgpr_kernarg_preload_offset 0
		.amdhsa_user_sgpr_private_segment_size 0
		.amdhsa_wavefront_size32 1
		.amdhsa_uses_dynamic_stack 0
		.amdhsa_enable_private_segment 0
		.amdhsa_system_sgpr_workgroup_id_x 1
		.amdhsa_system_sgpr_workgroup_id_y 0
		.amdhsa_system_sgpr_workgroup_id_z 0
		.amdhsa_system_sgpr_workgroup_info 0
		.amdhsa_system_vgpr_workitem_id 0
		.amdhsa_next_free_vgpr 1
		.amdhsa_next_free_sgpr 1
		.amdhsa_named_barrier_count 0
		.amdhsa_reserve_vcc 0
		.amdhsa_float_round_mode_32 0
		.amdhsa_float_round_mode_16_64 0
		.amdhsa_float_denorm_mode_32 3
		.amdhsa_float_denorm_mode_16_64 3
		.amdhsa_fp16_overflow 0
		.amdhsa_memory_ordered 1
		.amdhsa_forward_progress 1
		.amdhsa_inst_pref_size 0
		.amdhsa_round_robin_scheduling 0
		.amdhsa_exception_fp_ieee_invalid_op 0
		.amdhsa_exception_fp_denorm_src 0
		.amdhsa_exception_fp_ieee_div_zero 0
		.amdhsa_exception_fp_ieee_overflow 0
		.amdhsa_exception_fp_ieee_underflow 0
		.amdhsa_exception_fp_ieee_inexact 0
		.amdhsa_exception_int_div_zero 0
	.end_amdhsa_kernel
	.section	.text._ZN7rocprim17ROCPRIM_400000_NS6detail17trampoline_kernelINS0_14default_configENS1_35radix_sort_onesweep_config_selectorIaNS0_10empty_typeEEEZZNS1_29radix_sort_onesweep_iterationIS3_Lb0EPKaPaPS5_SB_mNS0_19identity_decomposerENS1_16block_id_wrapperIjLb0EEEEE10hipError_tT1_PNSt15iterator_traitsISG_E10value_typeET2_T3_PNSH_ISM_E10value_typeET4_T5_PSR_SS_PNS1_23onesweep_lookback_stateEbbT6_jjT7_P12ihipStream_tbENKUlT_T0_SG_SL_E_clISA_SA_SB_SB_EEDaSZ_S10_SG_SL_EUlSZ_E_NS1_11comp_targetILNS1_3genE4ELNS1_11target_archE910ELNS1_3gpuE8ELNS1_3repE0EEENS1_47radix_sort_onesweep_sort_config_static_selectorELNS0_4arch9wavefront6targetE0EEEvSG_,"axG",@progbits,_ZN7rocprim17ROCPRIM_400000_NS6detail17trampoline_kernelINS0_14default_configENS1_35radix_sort_onesweep_config_selectorIaNS0_10empty_typeEEEZZNS1_29radix_sort_onesweep_iterationIS3_Lb0EPKaPaPS5_SB_mNS0_19identity_decomposerENS1_16block_id_wrapperIjLb0EEEEE10hipError_tT1_PNSt15iterator_traitsISG_E10value_typeET2_T3_PNSH_ISM_E10value_typeET4_T5_PSR_SS_PNS1_23onesweep_lookback_stateEbbT6_jjT7_P12ihipStream_tbENKUlT_T0_SG_SL_E_clISA_SA_SB_SB_EEDaSZ_S10_SG_SL_EUlSZ_E_NS1_11comp_targetILNS1_3genE4ELNS1_11target_archE910ELNS1_3gpuE8ELNS1_3repE0EEENS1_47radix_sort_onesweep_sort_config_static_selectorELNS0_4arch9wavefront6targetE0EEEvSG_,comdat
.Lfunc_end497:
	.size	_ZN7rocprim17ROCPRIM_400000_NS6detail17trampoline_kernelINS0_14default_configENS1_35radix_sort_onesweep_config_selectorIaNS0_10empty_typeEEEZZNS1_29radix_sort_onesweep_iterationIS3_Lb0EPKaPaPS5_SB_mNS0_19identity_decomposerENS1_16block_id_wrapperIjLb0EEEEE10hipError_tT1_PNSt15iterator_traitsISG_E10value_typeET2_T3_PNSH_ISM_E10value_typeET4_T5_PSR_SS_PNS1_23onesweep_lookback_stateEbbT6_jjT7_P12ihipStream_tbENKUlT_T0_SG_SL_E_clISA_SA_SB_SB_EEDaSZ_S10_SG_SL_EUlSZ_E_NS1_11comp_targetILNS1_3genE4ELNS1_11target_archE910ELNS1_3gpuE8ELNS1_3repE0EEENS1_47radix_sort_onesweep_sort_config_static_selectorELNS0_4arch9wavefront6targetE0EEEvSG_, .Lfunc_end497-_ZN7rocprim17ROCPRIM_400000_NS6detail17trampoline_kernelINS0_14default_configENS1_35radix_sort_onesweep_config_selectorIaNS0_10empty_typeEEEZZNS1_29radix_sort_onesweep_iterationIS3_Lb0EPKaPaPS5_SB_mNS0_19identity_decomposerENS1_16block_id_wrapperIjLb0EEEEE10hipError_tT1_PNSt15iterator_traitsISG_E10value_typeET2_T3_PNSH_ISM_E10value_typeET4_T5_PSR_SS_PNS1_23onesweep_lookback_stateEbbT6_jjT7_P12ihipStream_tbENKUlT_T0_SG_SL_E_clISA_SA_SB_SB_EEDaSZ_S10_SG_SL_EUlSZ_E_NS1_11comp_targetILNS1_3genE4ELNS1_11target_archE910ELNS1_3gpuE8ELNS1_3repE0EEENS1_47radix_sort_onesweep_sort_config_static_selectorELNS0_4arch9wavefront6targetE0EEEvSG_
                                        ; -- End function
	.set _ZN7rocprim17ROCPRIM_400000_NS6detail17trampoline_kernelINS0_14default_configENS1_35radix_sort_onesweep_config_selectorIaNS0_10empty_typeEEEZZNS1_29radix_sort_onesweep_iterationIS3_Lb0EPKaPaPS5_SB_mNS0_19identity_decomposerENS1_16block_id_wrapperIjLb0EEEEE10hipError_tT1_PNSt15iterator_traitsISG_E10value_typeET2_T3_PNSH_ISM_E10value_typeET4_T5_PSR_SS_PNS1_23onesweep_lookback_stateEbbT6_jjT7_P12ihipStream_tbENKUlT_T0_SG_SL_E_clISA_SA_SB_SB_EEDaSZ_S10_SG_SL_EUlSZ_E_NS1_11comp_targetILNS1_3genE4ELNS1_11target_archE910ELNS1_3gpuE8ELNS1_3repE0EEENS1_47radix_sort_onesweep_sort_config_static_selectorELNS0_4arch9wavefront6targetE0EEEvSG_.num_vgpr, 0
	.set _ZN7rocprim17ROCPRIM_400000_NS6detail17trampoline_kernelINS0_14default_configENS1_35radix_sort_onesweep_config_selectorIaNS0_10empty_typeEEEZZNS1_29radix_sort_onesweep_iterationIS3_Lb0EPKaPaPS5_SB_mNS0_19identity_decomposerENS1_16block_id_wrapperIjLb0EEEEE10hipError_tT1_PNSt15iterator_traitsISG_E10value_typeET2_T3_PNSH_ISM_E10value_typeET4_T5_PSR_SS_PNS1_23onesweep_lookback_stateEbbT6_jjT7_P12ihipStream_tbENKUlT_T0_SG_SL_E_clISA_SA_SB_SB_EEDaSZ_S10_SG_SL_EUlSZ_E_NS1_11comp_targetILNS1_3genE4ELNS1_11target_archE910ELNS1_3gpuE8ELNS1_3repE0EEENS1_47radix_sort_onesweep_sort_config_static_selectorELNS0_4arch9wavefront6targetE0EEEvSG_.num_agpr, 0
	.set _ZN7rocprim17ROCPRIM_400000_NS6detail17trampoline_kernelINS0_14default_configENS1_35radix_sort_onesweep_config_selectorIaNS0_10empty_typeEEEZZNS1_29radix_sort_onesweep_iterationIS3_Lb0EPKaPaPS5_SB_mNS0_19identity_decomposerENS1_16block_id_wrapperIjLb0EEEEE10hipError_tT1_PNSt15iterator_traitsISG_E10value_typeET2_T3_PNSH_ISM_E10value_typeET4_T5_PSR_SS_PNS1_23onesweep_lookback_stateEbbT6_jjT7_P12ihipStream_tbENKUlT_T0_SG_SL_E_clISA_SA_SB_SB_EEDaSZ_S10_SG_SL_EUlSZ_E_NS1_11comp_targetILNS1_3genE4ELNS1_11target_archE910ELNS1_3gpuE8ELNS1_3repE0EEENS1_47radix_sort_onesweep_sort_config_static_selectorELNS0_4arch9wavefront6targetE0EEEvSG_.numbered_sgpr, 0
	.set _ZN7rocprim17ROCPRIM_400000_NS6detail17trampoline_kernelINS0_14default_configENS1_35radix_sort_onesweep_config_selectorIaNS0_10empty_typeEEEZZNS1_29radix_sort_onesweep_iterationIS3_Lb0EPKaPaPS5_SB_mNS0_19identity_decomposerENS1_16block_id_wrapperIjLb0EEEEE10hipError_tT1_PNSt15iterator_traitsISG_E10value_typeET2_T3_PNSH_ISM_E10value_typeET4_T5_PSR_SS_PNS1_23onesweep_lookback_stateEbbT6_jjT7_P12ihipStream_tbENKUlT_T0_SG_SL_E_clISA_SA_SB_SB_EEDaSZ_S10_SG_SL_EUlSZ_E_NS1_11comp_targetILNS1_3genE4ELNS1_11target_archE910ELNS1_3gpuE8ELNS1_3repE0EEENS1_47radix_sort_onesweep_sort_config_static_selectorELNS0_4arch9wavefront6targetE0EEEvSG_.num_named_barrier, 0
	.set _ZN7rocprim17ROCPRIM_400000_NS6detail17trampoline_kernelINS0_14default_configENS1_35radix_sort_onesweep_config_selectorIaNS0_10empty_typeEEEZZNS1_29radix_sort_onesweep_iterationIS3_Lb0EPKaPaPS5_SB_mNS0_19identity_decomposerENS1_16block_id_wrapperIjLb0EEEEE10hipError_tT1_PNSt15iterator_traitsISG_E10value_typeET2_T3_PNSH_ISM_E10value_typeET4_T5_PSR_SS_PNS1_23onesweep_lookback_stateEbbT6_jjT7_P12ihipStream_tbENKUlT_T0_SG_SL_E_clISA_SA_SB_SB_EEDaSZ_S10_SG_SL_EUlSZ_E_NS1_11comp_targetILNS1_3genE4ELNS1_11target_archE910ELNS1_3gpuE8ELNS1_3repE0EEENS1_47radix_sort_onesweep_sort_config_static_selectorELNS0_4arch9wavefront6targetE0EEEvSG_.private_seg_size, 0
	.set _ZN7rocprim17ROCPRIM_400000_NS6detail17trampoline_kernelINS0_14default_configENS1_35radix_sort_onesweep_config_selectorIaNS0_10empty_typeEEEZZNS1_29radix_sort_onesweep_iterationIS3_Lb0EPKaPaPS5_SB_mNS0_19identity_decomposerENS1_16block_id_wrapperIjLb0EEEEE10hipError_tT1_PNSt15iterator_traitsISG_E10value_typeET2_T3_PNSH_ISM_E10value_typeET4_T5_PSR_SS_PNS1_23onesweep_lookback_stateEbbT6_jjT7_P12ihipStream_tbENKUlT_T0_SG_SL_E_clISA_SA_SB_SB_EEDaSZ_S10_SG_SL_EUlSZ_E_NS1_11comp_targetILNS1_3genE4ELNS1_11target_archE910ELNS1_3gpuE8ELNS1_3repE0EEENS1_47radix_sort_onesweep_sort_config_static_selectorELNS0_4arch9wavefront6targetE0EEEvSG_.uses_vcc, 0
	.set _ZN7rocprim17ROCPRIM_400000_NS6detail17trampoline_kernelINS0_14default_configENS1_35radix_sort_onesweep_config_selectorIaNS0_10empty_typeEEEZZNS1_29radix_sort_onesweep_iterationIS3_Lb0EPKaPaPS5_SB_mNS0_19identity_decomposerENS1_16block_id_wrapperIjLb0EEEEE10hipError_tT1_PNSt15iterator_traitsISG_E10value_typeET2_T3_PNSH_ISM_E10value_typeET4_T5_PSR_SS_PNS1_23onesweep_lookback_stateEbbT6_jjT7_P12ihipStream_tbENKUlT_T0_SG_SL_E_clISA_SA_SB_SB_EEDaSZ_S10_SG_SL_EUlSZ_E_NS1_11comp_targetILNS1_3genE4ELNS1_11target_archE910ELNS1_3gpuE8ELNS1_3repE0EEENS1_47radix_sort_onesweep_sort_config_static_selectorELNS0_4arch9wavefront6targetE0EEEvSG_.uses_flat_scratch, 0
	.set _ZN7rocprim17ROCPRIM_400000_NS6detail17trampoline_kernelINS0_14default_configENS1_35radix_sort_onesweep_config_selectorIaNS0_10empty_typeEEEZZNS1_29radix_sort_onesweep_iterationIS3_Lb0EPKaPaPS5_SB_mNS0_19identity_decomposerENS1_16block_id_wrapperIjLb0EEEEE10hipError_tT1_PNSt15iterator_traitsISG_E10value_typeET2_T3_PNSH_ISM_E10value_typeET4_T5_PSR_SS_PNS1_23onesweep_lookback_stateEbbT6_jjT7_P12ihipStream_tbENKUlT_T0_SG_SL_E_clISA_SA_SB_SB_EEDaSZ_S10_SG_SL_EUlSZ_E_NS1_11comp_targetILNS1_3genE4ELNS1_11target_archE910ELNS1_3gpuE8ELNS1_3repE0EEENS1_47radix_sort_onesweep_sort_config_static_selectorELNS0_4arch9wavefront6targetE0EEEvSG_.has_dyn_sized_stack, 0
	.set _ZN7rocprim17ROCPRIM_400000_NS6detail17trampoline_kernelINS0_14default_configENS1_35radix_sort_onesweep_config_selectorIaNS0_10empty_typeEEEZZNS1_29radix_sort_onesweep_iterationIS3_Lb0EPKaPaPS5_SB_mNS0_19identity_decomposerENS1_16block_id_wrapperIjLb0EEEEE10hipError_tT1_PNSt15iterator_traitsISG_E10value_typeET2_T3_PNSH_ISM_E10value_typeET4_T5_PSR_SS_PNS1_23onesweep_lookback_stateEbbT6_jjT7_P12ihipStream_tbENKUlT_T0_SG_SL_E_clISA_SA_SB_SB_EEDaSZ_S10_SG_SL_EUlSZ_E_NS1_11comp_targetILNS1_3genE4ELNS1_11target_archE910ELNS1_3gpuE8ELNS1_3repE0EEENS1_47radix_sort_onesweep_sort_config_static_selectorELNS0_4arch9wavefront6targetE0EEEvSG_.has_recursion, 0
	.set _ZN7rocprim17ROCPRIM_400000_NS6detail17trampoline_kernelINS0_14default_configENS1_35radix_sort_onesweep_config_selectorIaNS0_10empty_typeEEEZZNS1_29radix_sort_onesweep_iterationIS3_Lb0EPKaPaPS5_SB_mNS0_19identity_decomposerENS1_16block_id_wrapperIjLb0EEEEE10hipError_tT1_PNSt15iterator_traitsISG_E10value_typeET2_T3_PNSH_ISM_E10value_typeET4_T5_PSR_SS_PNS1_23onesweep_lookback_stateEbbT6_jjT7_P12ihipStream_tbENKUlT_T0_SG_SL_E_clISA_SA_SB_SB_EEDaSZ_S10_SG_SL_EUlSZ_E_NS1_11comp_targetILNS1_3genE4ELNS1_11target_archE910ELNS1_3gpuE8ELNS1_3repE0EEENS1_47radix_sort_onesweep_sort_config_static_selectorELNS0_4arch9wavefront6targetE0EEEvSG_.has_indirect_call, 0
	.section	.AMDGPU.csdata,"",@progbits
; Kernel info:
; codeLenInByte = 0
; TotalNumSgprs: 0
; NumVgprs: 0
; ScratchSize: 0
; MemoryBound: 0
; FloatMode: 240
; IeeeMode: 1
; LDSByteSize: 0 bytes/workgroup (compile time only)
; SGPRBlocks: 0
; VGPRBlocks: 0
; NumSGPRsForWavesPerEU: 1
; NumVGPRsForWavesPerEU: 1
; NamedBarCnt: 0
; Occupancy: 16
; WaveLimiterHint : 0
; COMPUTE_PGM_RSRC2:SCRATCH_EN: 0
; COMPUTE_PGM_RSRC2:USER_SGPR: 2
; COMPUTE_PGM_RSRC2:TRAP_HANDLER: 0
; COMPUTE_PGM_RSRC2:TGID_X_EN: 1
; COMPUTE_PGM_RSRC2:TGID_Y_EN: 0
; COMPUTE_PGM_RSRC2:TGID_Z_EN: 0
; COMPUTE_PGM_RSRC2:TIDIG_COMP_CNT: 0
	.section	.text._ZN7rocprim17ROCPRIM_400000_NS6detail17trampoline_kernelINS0_14default_configENS1_35radix_sort_onesweep_config_selectorIaNS0_10empty_typeEEEZZNS1_29radix_sort_onesweep_iterationIS3_Lb0EPKaPaPS5_SB_mNS0_19identity_decomposerENS1_16block_id_wrapperIjLb0EEEEE10hipError_tT1_PNSt15iterator_traitsISG_E10value_typeET2_T3_PNSH_ISM_E10value_typeET4_T5_PSR_SS_PNS1_23onesweep_lookback_stateEbbT6_jjT7_P12ihipStream_tbENKUlT_T0_SG_SL_E_clISA_SA_SB_SB_EEDaSZ_S10_SG_SL_EUlSZ_E_NS1_11comp_targetILNS1_3genE3ELNS1_11target_archE908ELNS1_3gpuE7ELNS1_3repE0EEENS1_47radix_sort_onesweep_sort_config_static_selectorELNS0_4arch9wavefront6targetE0EEEvSG_,"axG",@progbits,_ZN7rocprim17ROCPRIM_400000_NS6detail17trampoline_kernelINS0_14default_configENS1_35radix_sort_onesweep_config_selectorIaNS0_10empty_typeEEEZZNS1_29radix_sort_onesweep_iterationIS3_Lb0EPKaPaPS5_SB_mNS0_19identity_decomposerENS1_16block_id_wrapperIjLb0EEEEE10hipError_tT1_PNSt15iterator_traitsISG_E10value_typeET2_T3_PNSH_ISM_E10value_typeET4_T5_PSR_SS_PNS1_23onesweep_lookback_stateEbbT6_jjT7_P12ihipStream_tbENKUlT_T0_SG_SL_E_clISA_SA_SB_SB_EEDaSZ_S10_SG_SL_EUlSZ_E_NS1_11comp_targetILNS1_3genE3ELNS1_11target_archE908ELNS1_3gpuE7ELNS1_3repE0EEENS1_47radix_sort_onesweep_sort_config_static_selectorELNS0_4arch9wavefront6targetE0EEEvSG_,comdat
	.protected	_ZN7rocprim17ROCPRIM_400000_NS6detail17trampoline_kernelINS0_14default_configENS1_35radix_sort_onesweep_config_selectorIaNS0_10empty_typeEEEZZNS1_29radix_sort_onesweep_iterationIS3_Lb0EPKaPaPS5_SB_mNS0_19identity_decomposerENS1_16block_id_wrapperIjLb0EEEEE10hipError_tT1_PNSt15iterator_traitsISG_E10value_typeET2_T3_PNSH_ISM_E10value_typeET4_T5_PSR_SS_PNS1_23onesweep_lookback_stateEbbT6_jjT7_P12ihipStream_tbENKUlT_T0_SG_SL_E_clISA_SA_SB_SB_EEDaSZ_S10_SG_SL_EUlSZ_E_NS1_11comp_targetILNS1_3genE3ELNS1_11target_archE908ELNS1_3gpuE7ELNS1_3repE0EEENS1_47radix_sort_onesweep_sort_config_static_selectorELNS0_4arch9wavefront6targetE0EEEvSG_ ; -- Begin function _ZN7rocprim17ROCPRIM_400000_NS6detail17trampoline_kernelINS0_14default_configENS1_35radix_sort_onesweep_config_selectorIaNS0_10empty_typeEEEZZNS1_29radix_sort_onesweep_iterationIS3_Lb0EPKaPaPS5_SB_mNS0_19identity_decomposerENS1_16block_id_wrapperIjLb0EEEEE10hipError_tT1_PNSt15iterator_traitsISG_E10value_typeET2_T3_PNSH_ISM_E10value_typeET4_T5_PSR_SS_PNS1_23onesweep_lookback_stateEbbT6_jjT7_P12ihipStream_tbENKUlT_T0_SG_SL_E_clISA_SA_SB_SB_EEDaSZ_S10_SG_SL_EUlSZ_E_NS1_11comp_targetILNS1_3genE3ELNS1_11target_archE908ELNS1_3gpuE7ELNS1_3repE0EEENS1_47radix_sort_onesweep_sort_config_static_selectorELNS0_4arch9wavefront6targetE0EEEvSG_
	.globl	_ZN7rocprim17ROCPRIM_400000_NS6detail17trampoline_kernelINS0_14default_configENS1_35radix_sort_onesweep_config_selectorIaNS0_10empty_typeEEEZZNS1_29radix_sort_onesweep_iterationIS3_Lb0EPKaPaPS5_SB_mNS0_19identity_decomposerENS1_16block_id_wrapperIjLb0EEEEE10hipError_tT1_PNSt15iterator_traitsISG_E10value_typeET2_T3_PNSH_ISM_E10value_typeET4_T5_PSR_SS_PNS1_23onesweep_lookback_stateEbbT6_jjT7_P12ihipStream_tbENKUlT_T0_SG_SL_E_clISA_SA_SB_SB_EEDaSZ_S10_SG_SL_EUlSZ_E_NS1_11comp_targetILNS1_3genE3ELNS1_11target_archE908ELNS1_3gpuE7ELNS1_3repE0EEENS1_47radix_sort_onesweep_sort_config_static_selectorELNS0_4arch9wavefront6targetE0EEEvSG_
	.p2align	8
	.type	_ZN7rocprim17ROCPRIM_400000_NS6detail17trampoline_kernelINS0_14default_configENS1_35radix_sort_onesweep_config_selectorIaNS0_10empty_typeEEEZZNS1_29radix_sort_onesweep_iterationIS3_Lb0EPKaPaPS5_SB_mNS0_19identity_decomposerENS1_16block_id_wrapperIjLb0EEEEE10hipError_tT1_PNSt15iterator_traitsISG_E10value_typeET2_T3_PNSH_ISM_E10value_typeET4_T5_PSR_SS_PNS1_23onesweep_lookback_stateEbbT6_jjT7_P12ihipStream_tbENKUlT_T0_SG_SL_E_clISA_SA_SB_SB_EEDaSZ_S10_SG_SL_EUlSZ_E_NS1_11comp_targetILNS1_3genE3ELNS1_11target_archE908ELNS1_3gpuE7ELNS1_3repE0EEENS1_47radix_sort_onesweep_sort_config_static_selectorELNS0_4arch9wavefront6targetE0EEEvSG_,@function
_ZN7rocprim17ROCPRIM_400000_NS6detail17trampoline_kernelINS0_14default_configENS1_35radix_sort_onesweep_config_selectorIaNS0_10empty_typeEEEZZNS1_29radix_sort_onesweep_iterationIS3_Lb0EPKaPaPS5_SB_mNS0_19identity_decomposerENS1_16block_id_wrapperIjLb0EEEEE10hipError_tT1_PNSt15iterator_traitsISG_E10value_typeET2_T3_PNSH_ISM_E10value_typeET4_T5_PSR_SS_PNS1_23onesweep_lookback_stateEbbT6_jjT7_P12ihipStream_tbENKUlT_T0_SG_SL_E_clISA_SA_SB_SB_EEDaSZ_S10_SG_SL_EUlSZ_E_NS1_11comp_targetILNS1_3genE3ELNS1_11target_archE908ELNS1_3gpuE7ELNS1_3repE0EEENS1_47radix_sort_onesweep_sort_config_static_selectorELNS0_4arch9wavefront6targetE0EEEvSG_: ; @_ZN7rocprim17ROCPRIM_400000_NS6detail17trampoline_kernelINS0_14default_configENS1_35radix_sort_onesweep_config_selectorIaNS0_10empty_typeEEEZZNS1_29radix_sort_onesweep_iterationIS3_Lb0EPKaPaPS5_SB_mNS0_19identity_decomposerENS1_16block_id_wrapperIjLb0EEEEE10hipError_tT1_PNSt15iterator_traitsISG_E10value_typeET2_T3_PNSH_ISM_E10value_typeET4_T5_PSR_SS_PNS1_23onesweep_lookback_stateEbbT6_jjT7_P12ihipStream_tbENKUlT_T0_SG_SL_E_clISA_SA_SB_SB_EEDaSZ_S10_SG_SL_EUlSZ_E_NS1_11comp_targetILNS1_3genE3ELNS1_11target_archE908ELNS1_3gpuE7ELNS1_3repE0EEENS1_47radix_sort_onesweep_sort_config_static_selectorELNS0_4arch9wavefront6targetE0EEEvSG_
; %bb.0:
	.section	.rodata,"a",@progbits
	.p2align	6, 0x0
	.amdhsa_kernel _ZN7rocprim17ROCPRIM_400000_NS6detail17trampoline_kernelINS0_14default_configENS1_35radix_sort_onesweep_config_selectorIaNS0_10empty_typeEEEZZNS1_29radix_sort_onesweep_iterationIS3_Lb0EPKaPaPS5_SB_mNS0_19identity_decomposerENS1_16block_id_wrapperIjLb0EEEEE10hipError_tT1_PNSt15iterator_traitsISG_E10value_typeET2_T3_PNSH_ISM_E10value_typeET4_T5_PSR_SS_PNS1_23onesweep_lookback_stateEbbT6_jjT7_P12ihipStream_tbENKUlT_T0_SG_SL_E_clISA_SA_SB_SB_EEDaSZ_S10_SG_SL_EUlSZ_E_NS1_11comp_targetILNS1_3genE3ELNS1_11target_archE908ELNS1_3gpuE7ELNS1_3repE0EEENS1_47radix_sort_onesweep_sort_config_static_selectorELNS0_4arch9wavefront6targetE0EEEvSG_
		.amdhsa_group_segment_fixed_size 0
		.amdhsa_private_segment_fixed_size 0
		.amdhsa_kernarg_size 88
		.amdhsa_user_sgpr_count 2
		.amdhsa_user_sgpr_dispatch_ptr 0
		.amdhsa_user_sgpr_queue_ptr 0
		.amdhsa_user_sgpr_kernarg_segment_ptr 1
		.amdhsa_user_sgpr_dispatch_id 0
		.amdhsa_user_sgpr_kernarg_preload_length 0
		.amdhsa_user_sgpr_kernarg_preload_offset 0
		.amdhsa_user_sgpr_private_segment_size 0
		.amdhsa_wavefront_size32 1
		.amdhsa_uses_dynamic_stack 0
		.amdhsa_enable_private_segment 0
		.amdhsa_system_sgpr_workgroup_id_x 1
		.amdhsa_system_sgpr_workgroup_id_y 0
		.amdhsa_system_sgpr_workgroup_id_z 0
		.amdhsa_system_sgpr_workgroup_info 0
		.amdhsa_system_vgpr_workitem_id 0
		.amdhsa_next_free_vgpr 1
		.amdhsa_next_free_sgpr 1
		.amdhsa_named_barrier_count 0
		.amdhsa_reserve_vcc 0
		.amdhsa_float_round_mode_32 0
		.amdhsa_float_round_mode_16_64 0
		.amdhsa_float_denorm_mode_32 3
		.amdhsa_float_denorm_mode_16_64 3
		.amdhsa_fp16_overflow 0
		.amdhsa_memory_ordered 1
		.amdhsa_forward_progress 1
		.amdhsa_inst_pref_size 0
		.amdhsa_round_robin_scheduling 0
		.amdhsa_exception_fp_ieee_invalid_op 0
		.amdhsa_exception_fp_denorm_src 0
		.amdhsa_exception_fp_ieee_div_zero 0
		.amdhsa_exception_fp_ieee_overflow 0
		.amdhsa_exception_fp_ieee_underflow 0
		.amdhsa_exception_fp_ieee_inexact 0
		.amdhsa_exception_int_div_zero 0
	.end_amdhsa_kernel
	.section	.text._ZN7rocprim17ROCPRIM_400000_NS6detail17trampoline_kernelINS0_14default_configENS1_35radix_sort_onesweep_config_selectorIaNS0_10empty_typeEEEZZNS1_29radix_sort_onesweep_iterationIS3_Lb0EPKaPaPS5_SB_mNS0_19identity_decomposerENS1_16block_id_wrapperIjLb0EEEEE10hipError_tT1_PNSt15iterator_traitsISG_E10value_typeET2_T3_PNSH_ISM_E10value_typeET4_T5_PSR_SS_PNS1_23onesweep_lookback_stateEbbT6_jjT7_P12ihipStream_tbENKUlT_T0_SG_SL_E_clISA_SA_SB_SB_EEDaSZ_S10_SG_SL_EUlSZ_E_NS1_11comp_targetILNS1_3genE3ELNS1_11target_archE908ELNS1_3gpuE7ELNS1_3repE0EEENS1_47radix_sort_onesweep_sort_config_static_selectorELNS0_4arch9wavefront6targetE0EEEvSG_,"axG",@progbits,_ZN7rocprim17ROCPRIM_400000_NS6detail17trampoline_kernelINS0_14default_configENS1_35radix_sort_onesweep_config_selectorIaNS0_10empty_typeEEEZZNS1_29radix_sort_onesweep_iterationIS3_Lb0EPKaPaPS5_SB_mNS0_19identity_decomposerENS1_16block_id_wrapperIjLb0EEEEE10hipError_tT1_PNSt15iterator_traitsISG_E10value_typeET2_T3_PNSH_ISM_E10value_typeET4_T5_PSR_SS_PNS1_23onesweep_lookback_stateEbbT6_jjT7_P12ihipStream_tbENKUlT_T0_SG_SL_E_clISA_SA_SB_SB_EEDaSZ_S10_SG_SL_EUlSZ_E_NS1_11comp_targetILNS1_3genE3ELNS1_11target_archE908ELNS1_3gpuE7ELNS1_3repE0EEENS1_47radix_sort_onesweep_sort_config_static_selectorELNS0_4arch9wavefront6targetE0EEEvSG_,comdat
.Lfunc_end498:
	.size	_ZN7rocprim17ROCPRIM_400000_NS6detail17trampoline_kernelINS0_14default_configENS1_35radix_sort_onesweep_config_selectorIaNS0_10empty_typeEEEZZNS1_29radix_sort_onesweep_iterationIS3_Lb0EPKaPaPS5_SB_mNS0_19identity_decomposerENS1_16block_id_wrapperIjLb0EEEEE10hipError_tT1_PNSt15iterator_traitsISG_E10value_typeET2_T3_PNSH_ISM_E10value_typeET4_T5_PSR_SS_PNS1_23onesweep_lookback_stateEbbT6_jjT7_P12ihipStream_tbENKUlT_T0_SG_SL_E_clISA_SA_SB_SB_EEDaSZ_S10_SG_SL_EUlSZ_E_NS1_11comp_targetILNS1_3genE3ELNS1_11target_archE908ELNS1_3gpuE7ELNS1_3repE0EEENS1_47radix_sort_onesweep_sort_config_static_selectorELNS0_4arch9wavefront6targetE0EEEvSG_, .Lfunc_end498-_ZN7rocprim17ROCPRIM_400000_NS6detail17trampoline_kernelINS0_14default_configENS1_35radix_sort_onesweep_config_selectorIaNS0_10empty_typeEEEZZNS1_29radix_sort_onesweep_iterationIS3_Lb0EPKaPaPS5_SB_mNS0_19identity_decomposerENS1_16block_id_wrapperIjLb0EEEEE10hipError_tT1_PNSt15iterator_traitsISG_E10value_typeET2_T3_PNSH_ISM_E10value_typeET4_T5_PSR_SS_PNS1_23onesweep_lookback_stateEbbT6_jjT7_P12ihipStream_tbENKUlT_T0_SG_SL_E_clISA_SA_SB_SB_EEDaSZ_S10_SG_SL_EUlSZ_E_NS1_11comp_targetILNS1_3genE3ELNS1_11target_archE908ELNS1_3gpuE7ELNS1_3repE0EEENS1_47radix_sort_onesweep_sort_config_static_selectorELNS0_4arch9wavefront6targetE0EEEvSG_
                                        ; -- End function
	.set _ZN7rocprim17ROCPRIM_400000_NS6detail17trampoline_kernelINS0_14default_configENS1_35radix_sort_onesweep_config_selectorIaNS0_10empty_typeEEEZZNS1_29radix_sort_onesweep_iterationIS3_Lb0EPKaPaPS5_SB_mNS0_19identity_decomposerENS1_16block_id_wrapperIjLb0EEEEE10hipError_tT1_PNSt15iterator_traitsISG_E10value_typeET2_T3_PNSH_ISM_E10value_typeET4_T5_PSR_SS_PNS1_23onesweep_lookback_stateEbbT6_jjT7_P12ihipStream_tbENKUlT_T0_SG_SL_E_clISA_SA_SB_SB_EEDaSZ_S10_SG_SL_EUlSZ_E_NS1_11comp_targetILNS1_3genE3ELNS1_11target_archE908ELNS1_3gpuE7ELNS1_3repE0EEENS1_47radix_sort_onesweep_sort_config_static_selectorELNS0_4arch9wavefront6targetE0EEEvSG_.num_vgpr, 0
	.set _ZN7rocprim17ROCPRIM_400000_NS6detail17trampoline_kernelINS0_14default_configENS1_35radix_sort_onesweep_config_selectorIaNS0_10empty_typeEEEZZNS1_29radix_sort_onesweep_iterationIS3_Lb0EPKaPaPS5_SB_mNS0_19identity_decomposerENS1_16block_id_wrapperIjLb0EEEEE10hipError_tT1_PNSt15iterator_traitsISG_E10value_typeET2_T3_PNSH_ISM_E10value_typeET4_T5_PSR_SS_PNS1_23onesweep_lookback_stateEbbT6_jjT7_P12ihipStream_tbENKUlT_T0_SG_SL_E_clISA_SA_SB_SB_EEDaSZ_S10_SG_SL_EUlSZ_E_NS1_11comp_targetILNS1_3genE3ELNS1_11target_archE908ELNS1_3gpuE7ELNS1_3repE0EEENS1_47radix_sort_onesweep_sort_config_static_selectorELNS0_4arch9wavefront6targetE0EEEvSG_.num_agpr, 0
	.set _ZN7rocprim17ROCPRIM_400000_NS6detail17trampoline_kernelINS0_14default_configENS1_35radix_sort_onesweep_config_selectorIaNS0_10empty_typeEEEZZNS1_29radix_sort_onesweep_iterationIS3_Lb0EPKaPaPS5_SB_mNS0_19identity_decomposerENS1_16block_id_wrapperIjLb0EEEEE10hipError_tT1_PNSt15iterator_traitsISG_E10value_typeET2_T3_PNSH_ISM_E10value_typeET4_T5_PSR_SS_PNS1_23onesweep_lookback_stateEbbT6_jjT7_P12ihipStream_tbENKUlT_T0_SG_SL_E_clISA_SA_SB_SB_EEDaSZ_S10_SG_SL_EUlSZ_E_NS1_11comp_targetILNS1_3genE3ELNS1_11target_archE908ELNS1_3gpuE7ELNS1_3repE0EEENS1_47radix_sort_onesweep_sort_config_static_selectorELNS0_4arch9wavefront6targetE0EEEvSG_.numbered_sgpr, 0
	.set _ZN7rocprim17ROCPRIM_400000_NS6detail17trampoline_kernelINS0_14default_configENS1_35radix_sort_onesweep_config_selectorIaNS0_10empty_typeEEEZZNS1_29radix_sort_onesweep_iterationIS3_Lb0EPKaPaPS5_SB_mNS0_19identity_decomposerENS1_16block_id_wrapperIjLb0EEEEE10hipError_tT1_PNSt15iterator_traitsISG_E10value_typeET2_T3_PNSH_ISM_E10value_typeET4_T5_PSR_SS_PNS1_23onesweep_lookback_stateEbbT6_jjT7_P12ihipStream_tbENKUlT_T0_SG_SL_E_clISA_SA_SB_SB_EEDaSZ_S10_SG_SL_EUlSZ_E_NS1_11comp_targetILNS1_3genE3ELNS1_11target_archE908ELNS1_3gpuE7ELNS1_3repE0EEENS1_47radix_sort_onesweep_sort_config_static_selectorELNS0_4arch9wavefront6targetE0EEEvSG_.num_named_barrier, 0
	.set _ZN7rocprim17ROCPRIM_400000_NS6detail17trampoline_kernelINS0_14default_configENS1_35radix_sort_onesweep_config_selectorIaNS0_10empty_typeEEEZZNS1_29radix_sort_onesweep_iterationIS3_Lb0EPKaPaPS5_SB_mNS0_19identity_decomposerENS1_16block_id_wrapperIjLb0EEEEE10hipError_tT1_PNSt15iterator_traitsISG_E10value_typeET2_T3_PNSH_ISM_E10value_typeET4_T5_PSR_SS_PNS1_23onesweep_lookback_stateEbbT6_jjT7_P12ihipStream_tbENKUlT_T0_SG_SL_E_clISA_SA_SB_SB_EEDaSZ_S10_SG_SL_EUlSZ_E_NS1_11comp_targetILNS1_3genE3ELNS1_11target_archE908ELNS1_3gpuE7ELNS1_3repE0EEENS1_47radix_sort_onesweep_sort_config_static_selectorELNS0_4arch9wavefront6targetE0EEEvSG_.private_seg_size, 0
	.set _ZN7rocprim17ROCPRIM_400000_NS6detail17trampoline_kernelINS0_14default_configENS1_35radix_sort_onesweep_config_selectorIaNS0_10empty_typeEEEZZNS1_29radix_sort_onesweep_iterationIS3_Lb0EPKaPaPS5_SB_mNS0_19identity_decomposerENS1_16block_id_wrapperIjLb0EEEEE10hipError_tT1_PNSt15iterator_traitsISG_E10value_typeET2_T3_PNSH_ISM_E10value_typeET4_T5_PSR_SS_PNS1_23onesweep_lookback_stateEbbT6_jjT7_P12ihipStream_tbENKUlT_T0_SG_SL_E_clISA_SA_SB_SB_EEDaSZ_S10_SG_SL_EUlSZ_E_NS1_11comp_targetILNS1_3genE3ELNS1_11target_archE908ELNS1_3gpuE7ELNS1_3repE0EEENS1_47radix_sort_onesweep_sort_config_static_selectorELNS0_4arch9wavefront6targetE0EEEvSG_.uses_vcc, 0
	.set _ZN7rocprim17ROCPRIM_400000_NS6detail17trampoline_kernelINS0_14default_configENS1_35radix_sort_onesweep_config_selectorIaNS0_10empty_typeEEEZZNS1_29radix_sort_onesweep_iterationIS3_Lb0EPKaPaPS5_SB_mNS0_19identity_decomposerENS1_16block_id_wrapperIjLb0EEEEE10hipError_tT1_PNSt15iterator_traitsISG_E10value_typeET2_T3_PNSH_ISM_E10value_typeET4_T5_PSR_SS_PNS1_23onesweep_lookback_stateEbbT6_jjT7_P12ihipStream_tbENKUlT_T0_SG_SL_E_clISA_SA_SB_SB_EEDaSZ_S10_SG_SL_EUlSZ_E_NS1_11comp_targetILNS1_3genE3ELNS1_11target_archE908ELNS1_3gpuE7ELNS1_3repE0EEENS1_47radix_sort_onesweep_sort_config_static_selectorELNS0_4arch9wavefront6targetE0EEEvSG_.uses_flat_scratch, 0
	.set _ZN7rocprim17ROCPRIM_400000_NS6detail17trampoline_kernelINS0_14default_configENS1_35radix_sort_onesweep_config_selectorIaNS0_10empty_typeEEEZZNS1_29radix_sort_onesweep_iterationIS3_Lb0EPKaPaPS5_SB_mNS0_19identity_decomposerENS1_16block_id_wrapperIjLb0EEEEE10hipError_tT1_PNSt15iterator_traitsISG_E10value_typeET2_T3_PNSH_ISM_E10value_typeET4_T5_PSR_SS_PNS1_23onesweep_lookback_stateEbbT6_jjT7_P12ihipStream_tbENKUlT_T0_SG_SL_E_clISA_SA_SB_SB_EEDaSZ_S10_SG_SL_EUlSZ_E_NS1_11comp_targetILNS1_3genE3ELNS1_11target_archE908ELNS1_3gpuE7ELNS1_3repE0EEENS1_47radix_sort_onesweep_sort_config_static_selectorELNS0_4arch9wavefront6targetE0EEEvSG_.has_dyn_sized_stack, 0
	.set _ZN7rocprim17ROCPRIM_400000_NS6detail17trampoline_kernelINS0_14default_configENS1_35radix_sort_onesweep_config_selectorIaNS0_10empty_typeEEEZZNS1_29radix_sort_onesweep_iterationIS3_Lb0EPKaPaPS5_SB_mNS0_19identity_decomposerENS1_16block_id_wrapperIjLb0EEEEE10hipError_tT1_PNSt15iterator_traitsISG_E10value_typeET2_T3_PNSH_ISM_E10value_typeET4_T5_PSR_SS_PNS1_23onesweep_lookback_stateEbbT6_jjT7_P12ihipStream_tbENKUlT_T0_SG_SL_E_clISA_SA_SB_SB_EEDaSZ_S10_SG_SL_EUlSZ_E_NS1_11comp_targetILNS1_3genE3ELNS1_11target_archE908ELNS1_3gpuE7ELNS1_3repE0EEENS1_47radix_sort_onesweep_sort_config_static_selectorELNS0_4arch9wavefront6targetE0EEEvSG_.has_recursion, 0
	.set _ZN7rocprim17ROCPRIM_400000_NS6detail17trampoline_kernelINS0_14default_configENS1_35radix_sort_onesweep_config_selectorIaNS0_10empty_typeEEEZZNS1_29radix_sort_onesweep_iterationIS3_Lb0EPKaPaPS5_SB_mNS0_19identity_decomposerENS1_16block_id_wrapperIjLb0EEEEE10hipError_tT1_PNSt15iterator_traitsISG_E10value_typeET2_T3_PNSH_ISM_E10value_typeET4_T5_PSR_SS_PNS1_23onesweep_lookback_stateEbbT6_jjT7_P12ihipStream_tbENKUlT_T0_SG_SL_E_clISA_SA_SB_SB_EEDaSZ_S10_SG_SL_EUlSZ_E_NS1_11comp_targetILNS1_3genE3ELNS1_11target_archE908ELNS1_3gpuE7ELNS1_3repE0EEENS1_47radix_sort_onesweep_sort_config_static_selectorELNS0_4arch9wavefront6targetE0EEEvSG_.has_indirect_call, 0
	.section	.AMDGPU.csdata,"",@progbits
; Kernel info:
; codeLenInByte = 0
; TotalNumSgprs: 0
; NumVgprs: 0
; ScratchSize: 0
; MemoryBound: 0
; FloatMode: 240
; IeeeMode: 1
; LDSByteSize: 0 bytes/workgroup (compile time only)
; SGPRBlocks: 0
; VGPRBlocks: 0
; NumSGPRsForWavesPerEU: 1
; NumVGPRsForWavesPerEU: 1
; NamedBarCnt: 0
; Occupancy: 16
; WaveLimiterHint : 0
; COMPUTE_PGM_RSRC2:SCRATCH_EN: 0
; COMPUTE_PGM_RSRC2:USER_SGPR: 2
; COMPUTE_PGM_RSRC2:TRAP_HANDLER: 0
; COMPUTE_PGM_RSRC2:TGID_X_EN: 1
; COMPUTE_PGM_RSRC2:TGID_Y_EN: 0
; COMPUTE_PGM_RSRC2:TGID_Z_EN: 0
; COMPUTE_PGM_RSRC2:TIDIG_COMP_CNT: 0
	.section	.text._ZN7rocprim17ROCPRIM_400000_NS6detail17trampoline_kernelINS0_14default_configENS1_35radix_sort_onesweep_config_selectorIaNS0_10empty_typeEEEZZNS1_29radix_sort_onesweep_iterationIS3_Lb0EPKaPaPS5_SB_mNS0_19identity_decomposerENS1_16block_id_wrapperIjLb0EEEEE10hipError_tT1_PNSt15iterator_traitsISG_E10value_typeET2_T3_PNSH_ISM_E10value_typeET4_T5_PSR_SS_PNS1_23onesweep_lookback_stateEbbT6_jjT7_P12ihipStream_tbENKUlT_T0_SG_SL_E_clISA_SA_SB_SB_EEDaSZ_S10_SG_SL_EUlSZ_E_NS1_11comp_targetILNS1_3genE10ELNS1_11target_archE1201ELNS1_3gpuE5ELNS1_3repE0EEENS1_47radix_sort_onesweep_sort_config_static_selectorELNS0_4arch9wavefront6targetE0EEEvSG_,"axG",@progbits,_ZN7rocprim17ROCPRIM_400000_NS6detail17trampoline_kernelINS0_14default_configENS1_35radix_sort_onesweep_config_selectorIaNS0_10empty_typeEEEZZNS1_29radix_sort_onesweep_iterationIS3_Lb0EPKaPaPS5_SB_mNS0_19identity_decomposerENS1_16block_id_wrapperIjLb0EEEEE10hipError_tT1_PNSt15iterator_traitsISG_E10value_typeET2_T3_PNSH_ISM_E10value_typeET4_T5_PSR_SS_PNS1_23onesweep_lookback_stateEbbT6_jjT7_P12ihipStream_tbENKUlT_T0_SG_SL_E_clISA_SA_SB_SB_EEDaSZ_S10_SG_SL_EUlSZ_E_NS1_11comp_targetILNS1_3genE10ELNS1_11target_archE1201ELNS1_3gpuE5ELNS1_3repE0EEENS1_47radix_sort_onesweep_sort_config_static_selectorELNS0_4arch9wavefront6targetE0EEEvSG_,comdat
	.protected	_ZN7rocprim17ROCPRIM_400000_NS6detail17trampoline_kernelINS0_14default_configENS1_35radix_sort_onesweep_config_selectorIaNS0_10empty_typeEEEZZNS1_29radix_sort_onesweep_iterationIS3_Lb0EPKaPaPS5_SB_mNS0_19identity_decomposerENS1_16block_id_wrapperIjLb0EEEEE10hipError_tT1_PNSt15iterator_traitsISG_E10value_typeET2_T3_PNSH_ISM_E10value_typeET4_T5_PSR_SS_PNS1_23onesweep_lookback_stateEbbT6_jjT7_P12ihipStream_tbENKUlT_T0_SG_SL_E_clISA_SA_SB_SB_EEDaSZ_S10_SG_SL_EUlSZ_E_NS1_11comp_targetILNS1_3genE10ELNS1_11target_archE1201ELNS1_3gpuE5ELNS1_3repE0EEENS1_47radix_sort_onesweep_sort_config_static_selectorELNS0_4arch9wavefront6targetE0EEEvSG_ ; -- Begin function _ZN7rocprim17ROCPRIM_400000_NS6detail17trampoline_kernelINS0_14default_configENS1_35radix_sort_onesweep_config_selectorIaNS0_10empty_typeEEEZZNS1_29radix_sort_onesweep_iterationIS3_Lb0EPKaPaPS5_SB_mNS0_19identity_decomposerENS1_16block_id_wrapperIjLb0EEEEE10hipError_tT1_PNSt15iterator_traitsISG_E10value_typeET2_T3_PNSH_ISM_E10value_typeET4_T5_PSR_SS_PNS1_23onesweep_lookback_stateEbbT6_jjT7_P12ihipStream_tbENKUlT_T0_SG_SL_E_clISA_SA_SB_SB_EEDaSZ_S10_SG_SL_EUlSZ_E_NS1_11comp_targetILNS1_3genE10ELNS1_11target_archE1201ELNS1_3gpuE5ELNS1_3repE0EEENS1_47radix_sort_onesweep_sort_config_static_selectorELNS0_4arch9wavefront6targetE0EEEvSG_
	.globl	_ZN7rocprim17ROCPRIM_400000_NS6detail17trampoline_kernelINS0_14default_configENS1_35radix_sort_onesweep_config_selectorIaNS0_10empty_typeEEEZZNS1_29radix_sort_onesweep_iterationIS3_Lb0EPKaPaPS5_SB_mNS0_19identity_decomposerENS1_16block_id_wrapperIjLb0EEEEE10hipError_tT1_PNSt15iterator_traitsISG_E10value_typeET2_T3_PNSH_ISM_E10value_typeET4_T5_PSR_SS_PNS1_23onesweep_lookback_stateEbbT6_jjT7_P12ihipStream_tbENKUlT_T0_SG_SL_E_clISA_SA_SB_SB_EEDaSZ_S10_SG_SL_EUlSZ_E_NS1_11comp_targetILNS1_3genE10ELNS1_11target_archE1201ELNS1_3gpuE5ELNS1_3repE0EEENS1_47radix_sort_onesweep_sort_config_static_selectorELNS0_4arch9wavefront6targetE0EEEvSG_
	.p2align	8
	.type	_ZN7rocprim17ROCPRIM_400000_NS6detail17trampoline_kernelINS0_14default_configENS1_35radix_sort_onesweep_config_selectorIaNS0_10empty_typeEEEZZNS1_29radix_sort_onesweep_iterationIS3_Lb0EPKaPaPS5_SB_mNS0_19identity_decomposerENS1_16block_id_wrapperIjLb0EEEEE10hipError_tT1_PNSt15iterator_traitsISG_E10value_typeET2_T3_PNSH_ISM_E10value_typeET4_T5_PSR_SS_PNS1_23onesweep_lookback_stateEbbT6_jjT7_P12ihipStream_tbENKUlT_T0_SG_SL_E_clISA_SA_SB_SB_EEDaSZ_S10_SG_SL_EUlSZ_E_NS1_11comp_targetILNS1_3genE10ELNS1_11target_archE1201ELNS1_3gpuE5ELNS1_3repE0EEENS1_47radix_sort_onesweep_sort_config_static_selectorELNS0_4arch9wavefront6targetE0EEEvSG_,@function
_ZN7rocprim17ROCPRIM_400000_NS6detail17trampoline_kernelINS0_14default_configENS1_35radix_sort_onesweep_config_selectorIaNS0_10empty_typeEEEZZNS1_29radix_sort_onesweep_iterationIS3_Lb0EPKaPaPS5_SB_mNS0_19identity_decomposerENS1_16block_id_wrapperIjLb0EEEEE10hipError_tT1_PNSt15iterator_traitsISG_E10value_typeET2_T3_PNSH_ISM_E10value_typeET4_T5_PSR_SS_PNS1_23onesweep_lookback_stateEbbT6_jjT7_P12ihipStream_tbENKUlT_T0_SG_SL_E_clISA_SA_SB_SB_EEDaSZ_S10_SG_SL_EUlSZ_E_NS1_11comp_targetILNS1_3genE10ELNS1_11target_archE1201ELNS1_3gpuE5ELNS1_3repE0EEENS1_47radix_sort_onesweep_sort_config_static_selectorELNS0_4arch9wavefront6targetE0EEEvSG_: ; @_ZN7rocprim17ROCPRIM_400000_NS6detail17trampoline_kernelINS0_14default_configENS1_35radix_sort_onesweep_config_selectorIaNS0_10empty_typeEEEZZNS1_29radix_sort_onesweep_iterationIS3_Lb0EPKaPaPS5_SB_mNS0_19identity_decomposerENS1_16block_id_wrapperIjLb0EEEEE10hipError_tT1_PNSt15iterator_traitsISG_E10value_typeET2_T3_PNSH_ISM_E10value_typeET4_T5_PSR_SS_PNS1_23onesweep_lookback_stateEbbT6_jjT7_P12ihipStream_tbENKUlT_T0_SG_SL_E_clISA_SA_SB_SB_EEDaSZ_S10_SG_SL_EUlSZ_E_NS1_11comp_targetILNS1_3genE10ELNS1_11target_archE1201ELNS1_3gpuE5ELNS1_3repE0EEENS1_47radix_sort_onesweep_sort_config_static_selectorELNS0_4arch9wavefront6targetE0EEEvSG_
; %bb.0:
	.section	.rodata,"a",@progbits
	.p2align	6, 0x0
	.amdhsa_kernel _ZN7rocprim17ROCPRIM_400000_NS6detail17trampoline_kernelINS0_14default_configENS1_35radix_sort_onesweep_config_selectorIaNS0_10empty_typeEEEZZNS1_29radix_sort_onesweep_iterationIS3_Lb0EPKaPaPS5_SB_mNS0_19identity_decomposerENS1_16block_id_wrapperIjLb0EEEEE10hipError_tT1_PNSt15iterator_traitsISG_E10value_typeET2_T3_PNSH_ISM_E10value_typeET4_T5_PSR_SS_PNS1_23onesweep_lookback_stateEbbT6_jjT7_P12ihipStream_tbENKUlT_T0_SG_SL_E_clISA_SA_SB_SB_EEDaSZ_S10_SG_SL_EUlSZ_E_NS1_11comp_targetILNS1_3genE10ELNS1_11target_archE1201ELNS1_3gpuE5ELNS1_3repE0EEENS1_47radix_sort_onesweep_sort_config_static_selectorELNS0_4arch9wavefront6targetE0EEEvSG_
		.amdhsa_group_segment_fixed_size 0
		.amdhsa_private_segment_fixed_size 0
		.amdhsa_kernarg_size 88
		.amdhsa_user_sgpr_count 2
		.amdhsa_user_sgpr_dispatch_ptr 0
		.amdhsa_user_sgpr_queue_ptr 0
		.amdhsa_user_sgpr_kernarg_segment_ptr 1
		.amdhsa_user_sgpr_dispatch_id 0
		.amdhsa_user_sgpr_kernarg_preload_length 0
		.amdhsa_user_sgpr_kernarg_preload_offset 0
		.amdhsa_user_sgpr_private_segment_size 0
		.amdhsa_wavefront_size32 1
		.amdhsa_uses_dynamic_stack 0
		.amdhsa_enable_private_segment 0
		.amdhsa_system_sgpr_workgroup_id_x 1
		.amdhsa_system_sgpr_workgroup_id_y 0
		.amdhsa_system_sgpr_workgroup_id_z 0
		.amdhsa_system_sgpr_workgroup_info 0
		.amdhsa_system_vgpr_workitem_id 0
		.amdhsa_next_free_vgpr 1
		.amdhsa_next_free_sgpr 1
		.amdhsa_named_barrier_count 0
		.amdhsa_reserve_vcc 0
		.amdhsa_float_round_mode_32 0
		.amdhsa_float_round_mode_16_64 0
		.amdhsa_float_denorm_mode_32 3
		.amdhsa_float_denorm_mode_16_64 3
		.amdhsa_fp16_overflow 0
		.amdhsa_memory_ordered 1
		.amdhsa_forward_progress 1
		.amdhsa_inst_pref_size 0
		.amdhsa_round_robin_scheduling 0
		.amdhsa_exception_fp_ieee_invalid_op 0
		.amdhsa_exception_fp_denorm_src 0
		.amdhsa_exception_fp_ieee_div_zero 0
		.amdhsa_exception_fp_ieee_overflow 0
		.amdhsa_exception_fp_ieee_underflow 0
		.amdhsa_exception_fp_ieee_inexact 0
		.amdhsa_exception_int_div_zero 0
	.end_amdhsa_kernel
	.section	.text._ZN7rocprim17ROCPRIM_400000_NS6detail17trampoline_kernelINS0_14default_configENS1_35radix_sort_onesweep_config_selectorIaNS0_10empty_typeEEEZZNS1_29radix_sort_onesweep_iterationIS3_Lb0EPKaPaPS5_SB_mNS0_19identity_decomposerENS1_16block_id_wrapperIjLb0EEEEE10hipError_tT1_PNSt15iterator_traitsISG_E10value_typeET2_T3_PNSH_ISM_E10value_typeET4_T5_PSR_SS_PNS1_23onesweep_lookback_stateEbbT6_jjT7_P12ihipStream_tbENKUlT_T0_SG_SL_E_clISA_SA_SB_SB_EEDaSZ_S10_SG_SL_EUlSZ_E_NS1_11comp_targetILNS1_3genE10ELNS1_11target_archE1201ELNS1_3gpuE5ELNS1_3repE0EEENS1_47radix_sort_onesweep_sort_config_static_selectorELNS0_4arch9wavefront6targetE0EEEvSG_,"axG",@progbits,_ZN7rocprim17ROCPRIM_400000_NS6detail17trampoline_kernelINS0_14default_configENS1_35radix_sort_onesweep_config_selectorIaNS0_10empty_typeEEEZZNS1_29radix_sort_onesweep_iterationIS3_Lb0EPKaPaPS5_SB_mNS0_19identity_decomposerENS1_16block_id_wrapperIjLb0EEEEE10hipError_tT1_PNSt15iterator_traitsISG_E10value_typeET2_T3_PNSH_ISM_E10value_typeET4_T5_PSR_SS_PNS1_23onesweep_lookback_stateEbbT6_jjT7_P12ihipStream_tbENKUlT_T0_SG_SL_E_clISA_SA_SB_SB_EEDaSZ_S10_SG_SL_EUlSZ_E_NS1_11comp_targetILNS1_3genE10ELNS1_11target_archE1201ELNS1_3gpuE5ELNS1_3repE0EEENS1_47radix_sort_onesweep_sort_config_static_selectorELNS0_4arch9wavefront6targetE0EEEvSG_,comdat
.Lfunc_end499:
	.size	_ZN7rocprim17ROCPRIM_400000_NS6detail17trampoline_kernelINS0_14default_configENS1_35radix_sort_onesweep_config_selectorIaNS0_10empty_typeEEEZZNS1_29radix_sort_onesweep_iterationIS3_Lb0EPKaPaPS5_SB_mNS0_19identity_decomposerENS1_16block_id_wrapperIjLb0EEEEE10hipError_tT1_PNSt15iterator_traitsISG_E10value_typeET2_T3_PNSH_ISM_E10value_typeET4_T5_PSR_SS_PNS1_23onesweep_lookback_stateEbbT6_jjT7_P12ihipStream_tbENKUlT_T0_SG_SL_E_clISA_SA_SB_SB_EEDaSZ_S10_SG_SL_EUlSZ_E_NS1_11comp_targetILNS1_3genE10ELNS1_11target_archE1201ELNS1_3gpuE5ELNS1_3repE0EEENS1_47radix_sort_onesweep_sort_config_static_selectorELNS0_4arch9wavefront6targetE0EEEvSG_, .Lfunc_end499-_ZN7rocprim17ROCPRIM_400000_NS6detail17trampoline_kernelINS0_14default_configENS1_35radix_sort_onesweep_config_selectorIaNS0_10empty_typeEEEZZNS1_29radix_sort_onesweep_iterationIS3_Lb0EPKaPaPS5_SB_mNS0_19identity_decomposerENS1_16block_id_wrapperIjLb0EEEEE10hipError_tT1_PNSt15iterator_traitsISG_E10value_typeET2_T3_PNSH_ISM_E10value_typeET4_T5_PSR_SS_PNS1_23onesweep_lookback_stateEbbT6_jjT7_P12ihipStream_tbENKUlT_T0_SG_SL_E_clISA_SA_SB_SB_EEDaSZ_S10_SG_SL_EUlSZ_E_NS1_11comp_targetILNS1_3genE10ELNS1_11target_archE1201ELNS1_3gpuE5ELNS1_3repE0EEENS1_47radix_sort_onesweep_sort_config_static_selectorELNS0_4arch9wavefront6targetE0EEEvSG_
                                        ; -- End function
	.set _ZN7rocprim17ROCPRIM_400000_NS6detail17trampoline_kernelINS0_14default_configENS1_35radix_sort_onesweep_config_selectorIaNS0_10empty_typeEEEZZNS1_29radix_sort_onesweep_iterationIS3_Lb0EPKaPaPS5_SB_mNS0_19identity_decomposerENS1_16block_id_wrapperIjLb0EEEEE10hipError_tT1_PNSt15iterator_traitsISG_E10value_typeET2_T3_PNSH_ISM_E10value_typeET4_T5_PSR_SS_PNS1_23onesweep_lookback_stateEbbT6_jjT7_P12ihipStream_tbENKUlT_T0_SG_SL_E_clISA_SA_SB_SB_EEDaSZ_S10_SG_SL_EUlSZ_E_NS1_11comp_targetILNS1_3genE10ELNS1_11target_archE1201ELNS1_3gpuE5ELNS1_3repE0EEENS1_47radix_sort_onesweep_sort_config_static_selectorELNS0_4arch9wavefront6targetE0EEEvSG_.num_vgpr, 0
	.set _ZN7rocprim17ROCPRIM_400000_NS6detail17trampoline_kernelINS0_14default_configENS1_35radix_sort_onesweep_config_selectorIaNS0_10empty_typeEEEZZNS1_29radix_sort_onesweep_iterationIS3_Lb0EPKaPaPS5_SB_mNS0_19identity_decomposerENS1_16block_id_wrapperIjLb0EEEEE10hipError_tT1_PNSt15iterator_traitsISG_E10value_typeET2_T3_PNSH_ISM_E10value_typeET4_T5_PSR_SS_PNS1_23onesweep_lookback_stateEbbT6_jjT7_P12ihipStream_tbENKUlT_T0_SG_SL_E_clISA_SA_SB_SB_EEDaSZ_S10_SG_SL_EUlSZ_E_NS1_11comp_targetILNS1_3genE10ELNS1_11target_archE1201ELNS1_3gpuE5ELNS1_3repE0EEENS1_47radix_sort_onesweep_sort_config_static_selectorELNS0_4arch9wavefront6targetE0EEEvSG_.num_agpr, 0
	.set _ZN7rocprim17ROCPRIM_400000_NS6detail17trampoline_kernelINS0_14default_configENS1_35radix_sort_onesweep_config_selectorIaNS0_10empty_typeEEEZZNS1_29radix_sort_onesweep_iterationIS3_Lb0EPKaPaPS5_SB_mNS0_19identity_decomposerENS1_16block_id_wrapperIjLb0EEEEE10hipError_tT1_PNSt15iterator_traitsISG_E10value_typeET2_T3_PNSH_ISM_E10value_typeET4_T5_PSR_SS_PNS1_23onesweep_lookback_stateEbbT6_jjT7_P12ihipStream_tbENKUlT_T0_SG_SL_E_clISA_SA_SB_SB_EEDaSZ_S10_SG_SL_EUlSZ_E_NS1_11comp_targetILNS1_3genE10ELNS1_11target_archE1201ELNS1_3gpuE5ELNS1_3repE0EEENS1_47radix_sort_onesweep_sort_config_static_selectorELNS0_4arch9wavefront6targetE0EEEvSG_.numbered_sgpr, 0
	.set _ZN7rocprim17ROCPRIM_400000_NS6detail17trampoline_kernelINS0_14default_configENS1_35radix_sort_onesweep_config_selectorIaNS0_10empty_typeEEEZZNS1_29radix_sort_onesweep_iterationIS3_Lb0EPKaPaPS5_SB_mNS0_19identity_decomposerENS1_16block_id_wrapperIjLb0EEEEE10hipError_tT1_PNSt15iterator_traitsISG_E10value_typeET2_T3_PNSH_ISM_E10value_typeET4_T5_PSR_SS_PNS1_23onesweep_lookback_stateEbbT6_jjT7_P12ihipStream_tbENKUlT_T0_SG_SL_E_clISA_SA_SB_SB_EEDaSZ_S10_SG_SL_EUlSZ_E_NS1_11comp_targetILNS1_3genE10ELNS1_11target_archE1201ELNS1_3gpuE5ELNS1_3repE0EEENS1_47radix_sort_onesweep_sort_config_static_selectorELNS0_4arch9wavefront6targetE0EEEvSG_.num_named_barrier, 0
	.set _ZN7rocprim17ROCPRIM_400000_NS6detail17trampoline_kernelINS0_14default_configENS1_35radix_sort_onesweep_config_selectorIaNS0_10empty_typeEEEZZNS1_29radix_sort_onesweep_iterationIS3_Lb0EPKaPaPS5_SB_mNS0_19identity_decomposerENS1_16block_id_wrapperIjLb0EEEEE10hipError_tT1_PNSt15iterator_traitsISG_E10value_typeET2_T3_PNSH_ISM_E10value_typeET4_T5_PSR_SS_PNS1_23onesweep_lookback_stateEbbT6_jjT7_P12ihipStream_tbENKUlT_T0_SG_SL_E_clISA_SA_SB_SB_EEDaSZ_S10_SG_SL_EUlSZ_E_NS1_11comp_targetILNS1_3genE10ELNS1_11target_archE1201ELNS1_3gpuE5ELNS1_3repE0EEENS1_47radix_sort_onesweep_sort_config_static_selectorELNS0_4arch9wavefront6targetE0EEEvSG_.private_seg_size, 0
	.set _ZN7rocprim17ROCPRIM_400000_NS6detail17trampoline_kernelINS0_14default_configENS1_35radix_sort_onesweep_config_selectorIaNS0_10empty_typeEEEZZNS1_29radix_sort_onesweep_iterationIS3_Lb0EPKaPaPS5_SB_mNS0_19identity_decomposerENS1_16block_id_wrapperIjLb0EEEEE10hipError_tT1_PNSt15iterator_traitsISG_E10value_typeET2_T3_PNSH_ISM_E10value_typeET4_T5_PSR_SS_PNS1_23onesweep_lookback_stateEbbT6_jjT7_P12ihipStream_tbENKUlT_T0_SG_SL_E_clISA_SA_SB_SB_EEDaSZ_S10_SG_SL_EUlSZ_E_NS1_11comp_targetILNS1_3genE10ELNS1_11target_archE1201ELNS1_3gpuE5ELNS1_3repE0EEENS1_47radix_sort_onesweep_sort_config_static_selectorELNS0_4arch9wavefront6targetE0EEEvSG_.uses_vcc, 0
	.set _ZN7rocprim17ROCPRIM_400000_NS6detail17trampoline_kernelINS0_14default_configENS1_35radix_sort_onesweep_config_selectorIaNS0_10empty_typeEEEZZNS1_29radix_sort_onesweep_iterationIS3_Lb0EPKaPaPS5_SB_mNS0_19identity_decomposerENS1_16block_id_wrapperIjLb0EEEEE10hipError_tT1_PNSt15iterator_traitsISG_E10value_typeET2_T3_PNSH_ISM_E10value_typeET4_T5_PSR_SS_PNS1_23onesweep_lookback_stateEbbT6_jjT7_P12ihipStream_tbENKUlT_T0_SG_SL_E_clISA_SA_SB_SB_EEDaSZ_S10_SG_SL_EUlSZ_E_NS1_11comp_targetILNS1_3genE10ELNS1_11target_archE1201ELNS1_3gpuE5ELNS1_3repE0EEENS1_47radix_sort_onesweep_sort_config_static_selectorELNS0_4arch9wavefront6targetE0EEEvSG_.uses_flat_scratch, 0
	.set _ZN7rocprim17ROCPRIM_400000_NS6detail17trampoline_kernelINS0_14default_configENS1_35radix_sort_onesweep_config_selectorIaNS0_10empty_typeEEEZZNS1_29radix_sort_onesweep_iterationIS3_Lb0EPKaPaPS5_SB_mNS0_19identity_decomposerENS1_16block_id_wrapperIjLb0EEEEE10hipError_tT1_PNSt15iterator_traitsISG_E10value_typeET2_T3_PNSH_ISM_E10value_typeET4_T5_PSR_SS_PNS1_23onesweep_lookback_stateEbbT6_jjT7_P12ihipStream_tbENKUlT_T0_SG_SL_E_clISA_SA_SB_SB_EEDaSZ_S10_SG_SL_EUlSZ_E_NS1_11comp_targetILNS1_3genE10ELNS1_11target_archE1201ELNS1_3gpuE5ELNS1_3repE0EEENS1_47radix_sort_onesweep_sort_config_static_selectorELNS0_4arch9wavefront6targetE0EEEvSG_.has_dyn_sized_stack, 0
	.set _ZN7rocprim17ROCPRIM_400000_NS6detail17trampoline_kernelINS0_14default_configENS1_35radix_sort_onesweep_config_selectorIaNS0_10empty_typeEEEZZNS1_29radix_sort_onesweep_iterationIS3_Lb0EPKaPaPS5_SB_mNS0_19identity_decomposerENS1_16block_id_wrapperIjLb0EEEEE10hipError_tT1_PNSt15iterator_traitsISG_E10value_typeET2_T3_PNSH_ISM_E10value_typeET4_T5_PSR_SS_PNS1_23onesweep_lookback_stateEbbT6_jjT7_P12ihipStream_tbENKUlT_T0_SG_SL_E_clISA_SA_SB_SB_EEDaSZ_S10_SG_SL_EUlSZ_E_NS1_11comp_targetILNS1_3genE10ELNS1_11target_archE1201ELNS1_3gpuE5ELNS1_3repE0EEENS1_47radix_sort_onesweep_sort_config_static_selectorELNS0_4arch9wavefront6targetE0EEEvSG_.has_recursion, 0
	.set _ZN7rocprim17ROCPRIM_400000_NS6detail17trampoline_kernelINS0_14default_configENS1_35radix_sort_onesweep_config_selectorIaNS0_10empty_typeEEEZZNS1_29radix_sort_onesweep_iterationIS3_Lb0EPKaPaPS5_SB_mNS0_19identity_decomposerENS1_16block_id_wrapperIjLb0EEEEE10hipError_tT1_PNSt15iterator_traitsISG_E10value_typeET2_T3_PNSH_ISM_E10value_typeET4_T5_PSR_SS_PNS1_23onesweep_lookback_stateEbbT6_jjT7_P12ihipStream_tbENKUlT_T0_SG_SL_E_clISA_SA_SB_SB_EEDaSZ_S10_SG_SL_EUlSZ_E_NS1_11comp_targetILNS1_3genE10ELNS1_11target_archE1201ELNS1_3gpuE5ELNS1_3repE0EEENS1_47radix_sort_onesweep_sort_config_static_selectorELNS0_4arch9wavefront6targetE0EEEvSG_.has_indirect_call, 0
	.section	.AMDGPU.csdata,"",@progbits
; Kernel info:
; codeLenInByte = 0
; TotalNumSgprs: 0
; NumVgprs: 0
; ScratchSize: 0
; MemoryBound: 0
; FloatMode: 240
; IeeeMode: 1
; LDSByteSize: 0 bytes/workgroup (compile time only)
; SGPRBlocks: 0
; VGPRBlocks: 0
; NumSGPRsForWavesPerEU: 1
; NumVGPRsForWavesPerEU: 1
; NamedBarCnt: 0
; Occupancy: 16
; WaveLimiterHint : 0
; COMPUTE_PGM_RSRC2:SCRATCH_EN: 0
; COMPUTE_PGM_RSRC2:USER_SGPR: 2
; COMPUTE_PGM_RSRC2:TRAP_HANDLER: 0
; COMPUTE_PGM_RSRC2:TGID_X_EN: 1
; COMPUTE_PGM_RSRC2:TGID_Y_EN: 0
; COMPUTE_PGM_RSRC2:TGID_Z_EN: 0
; COMPUTE_PGM_RSRC2:TIDIG_COMP_CNT: 0
	.section	.text._ZN7rocprim17ROCPRIM_400000_NS6detail17trampoline_kernelINS0_14default_configENS1_35radix_sort_onesweep_config_selectorIaNS0_10empty_typeEEEZZNS1_29radix_sort_onesweep_iterationIS3_Lb0EPKaPaPS5_SB_mNS0_19identity_decomposerENS1_16block_id_wrapperIjLb0EEEEE10hipError_tT1_PNSt15iterator_traitsISG_E10value_typeET2_T3_PNSH_ISM_E10value_typeET4_T5_PSR_SS_PNS1_23onesweep_lookback_stateEbbT6_jjT7_P12ihipStream_tbENKUlT_T0_SG_SL_E_clISA_SA_SB_SB_EEDaSZ_S10_SG_SL_EUlSZ_E_NS1_11comp_targetILNS1_3genE9ELNS1_11target_archE1100ELNS1_3gpuE3ELNS1_3repE0EEENS1_47radix_sort_onesweep_sort_config_static_selectorELNS0_4arch9wavefront6targetE0EEEvSG_,"axG",@progbits,_ZN7rocprim17ROCPRIM_400000_NS6detail17trampoline_kernelINS0_14default_configENS1_35radix_sort_onesweep_config_selectorIaNS0_10empty_typeEEEZZNS1_29radix_sort_onesweep_iterationIS3_Lb0EPKaPaPS5_SB_mNS0_19identity_decomposerENS1_16block_id_wrapperIjLb0EEEEE10hipError_tT1_PNSt15iterator_traitsISG_E10value_typeET2_T3_PNSH_ISM_E10value_typeET4_T5_PSR_SS_PNS1_23onesweep_lookback_stateEbbT6_jjT7_P12ihipStream_tbENKUlT_T0_SG_SL_E_clISA_SA_SB_SB_EEDaSZ_S10_SG_SL_EUlSZ_E_NS1_11comp_targetILNS1_3genE9ELNS1_11target_archE1100ELNS1_3gpuE3ELNS1_3repE0EEENS1_47radix_sort_onesweep_sort_config_static_selectorELNS0_4arch9wavefront6targetE0EEEvSG_,comdat
	.protected	_ZN7rocprim17ROCPRIM_400000_NS6detail17trampoline_kernelINS0_14default_configENS1_35radix_sort_onesweep_config_selectorIaNS0_10empty_typeEEEZZNS1_29radix_sort_onesweep_iterationIS3_Lb0EPKaPaPS5_SB_mNS0_19identity_decomposerENS1_16block_id_wrapperIjLb0EEEEE10hipError_tT1_PNSt15iterator_traitsISG_E10value_typeET2_T3_PNSH_ISM_E10value_typeET4_T5_PSR_SS_PNS1_23onesweep_lookback_stateEbbT6_jjT7_P12ihipStream_tbENKUlT_T0_SG_SL_E_clISA_SA_SB_SB_EEDaSZ_S10_SG_SL_EUlSZ_E_NS1_11comp_targetILNS1_3genE9ELNS1_11target_archE1100ELNS1_3gpuE3ELNS1_3repE0EEENS1_47radix_sort_onesweep_sort_config_static_selectorELNS0_4arch9wavefront6targetE0EEEvSG_ ; -- Begin function _ZN7rocprim17ROCPRIM_400000_NS6detail17trampoline_kernelINS0_14default_configENS1_35radix_sort_onesweep_config_selectorIaNS0_10empty_typeEEEZZNS1_29radix_sort_onesweep_iterationIS3_Lb0EPKaPaPS5_SB_mNS0_19identity_decomposerENS1_16block_id_wrapperIjLb0EEEEE10hipError_tT1_PNSt15iterator_traitsISG_E10value_typeET2_T3_PNSH_ISM_E10value_typeET4_T5_PSR_SS_PNS1_23onesweep_lookback_stateEbbT6_jjT7_P12ihipStream_tbENKUlT_T0_SG_SL_E_clISA_SA_SB_SB_EEDaSZ_S10_SG_SL_EUlSZ_E_NS1_11comp_targetILNS1_3genE9ELNS1_11target_archE1100ELNS1_3gpuE3ELNS1_3repE0EEENS1_47radix_sort_onesweep_sort_config_static_selectorELNS0_4arch9wavefront6targetE0EEEvSG_
	.globl	_ZN7rocprim17ROCPRIM_400000_NS6detail17trampoline_kernelINS0_14default_configENS1_35radix_sort_onesweep_config_selectorIaNS0_10empty_typeEEEZZNS1_29radix_sort_onesweep_iterationIS3_Lb0EPKaPaPS5_SB_mNS0_19identity_decomposerENS1_16block_id_wrapperIjLb0EEEEE10hipError_tT1_PNSt15iterator_traitsISG_E10value_typeET2_T3_PNSH_ISM_E10value_typeET4_T5_PSR_SS_PNS1_23onesweep_lookback_stateEbbT6_jjT7_P12ihipStream_tbENKUlT_T0_SG_SL_E_clISA_SA_SB_SB_EEDaSZ_S10_SG_SL_EUlSZ_E_NS1_11comp_targetILNS1_3genE9ELNS1_11target_archE1100ELNS1_3gpuE3ELNS1_3repE0EEENS1_47radix_sort_onesweep_sort_config_static_selectorELNS0_4arch9wavefront6targetE0EEEvSG_
	.p2align	8
	.type	_ZN7rocprim17ROCPRIM_400000_NS6detail17trampoline_kernelINS0_14default_configENS1_35radix_sort_onesweep_config_selectorIaNS0_10empty_typeEEEZZNS1_29radix_sort_onesweep_iterationIS3_Lb0EPKaPaPS5_SB_mNS0_19identity_decomposerENS1_16block_id_wrapperIjLb0EEEEE10hipError_tT1_PNSt15iterator_traitsISG_E10value_typeET2_T3_PNSH_ISM_E10value_typeET4_T5_PSR_SS_PNS1_23onesweep_lookback_stateEbbT6_jjT7_P12ihipStream_tbENKUlT_T0_SG_SL_E_clISA_SA_SB_SB_EEDaSZ_S10_SG_SL_EUlSZ_E_NS1_11comp_targetILNS1_3genE9ELNS1_11target_archE1100ELNS1_3gpuE3ELNS1_3repE0EEENS1_47radix_sort_onesweep_sort_config_static_selectorELNS0_4arch9wavefront6targetE0EEEvSG_,@function
_ZN7rocprim17ROCPRIM_400000_NS6detail17trampoline_kernelINS0_14default_configENS1_35radix_sort_onesweep_config_selectorIaNS0_10empty_typeEEEZZNS1_29radix_sort_onesweep_iterationIS3_Lb0EPKaPaPS5_SB_mNS0_19identity_decomposerENS1_16block_id_wrapperIjLb0EEEEE10hipError_tT1_PNSt15iterator_traitsISG_E10value_typeET2_T3_PNSH_ISM_E10value_typeET4_T5_PSR_SS_PNS1_23onesweep_lookback_stateEbbT6_jjT7_P12ihipStream_tbENKUlT_T0_SG_SL_E_clISA_SA_SB_SB_EEDaSZ_S10_SG_SL_EUlSZ_E_NS1_11comp_targetILNS1_3genE9ELNS1_11target_archE1100ELNS1_3gpuE3ELNS1_3repE0EEENS1_47radix_sort_onesweep_sort_config_static_selectorELNS0_4arch9wavefront6targetE0EEEvSG_: ; @_ZN7rocprim17ROCPRIM_400000_NS6detail17trampoline_kernelINS0_14default_configENS1_35radix_sort_onesweep_config_selectorIaNS0_10empty_typeEEEZZNS1_29radix_sort_onesweep_iterationIS3_Lb0EPKaPaPS5_SB_mNS0_19identity_decomposerENS1_16block_id_wrapperIjLb0EEEEE10hipError_tT1_PNSt15iterator_traitsISG_E10value_typeET2_T3_PNSH_ISM_E10value_typeET4_T5_PSR_SS_PNS1_23onesweep_lookback_stateEbbT6_jjT7_P12ihipStream_tbENKUlT_T0_SG_SL_E_clISA_SA_SB_SB_EEDaSZ_S10_SG_SL_EUlSZ_E_NS1_11comp_targetILNS1_3genE9ELNS1_11target_archE1100ELNS1_3gpuE3ELNS1_3repE0EEENS1_47radix_sort_onesweep_sort_config_static_selectorELNS0_4arch9wavefront6targetE0EEEvSG_
; %bb.0:
	.section	.rodata,"a",@progbits
	.p2align	6, 0x0
	.amdhsa_kernel _ZN7rocprim17ROCPRIM_400000_NS6detail17trampoline_kernelINS0_14default_configENS1_35radix_sort_onesweep_config_selectorIaNS0_10empty_typeEEEZZNS1_29radix_sort_onesweep_iterationIS3_Lb0EPKaPaPS5_SB_mNS0_19identity_decomposerENS1_16block_id_wrapperIjLb0EEEEE10hipError_tT1_PNSt15iterator_traitsISG_E10value_typeET2_T3_PNSH_ISM_E10value_typeET4_T5_PSR_SS_PNS1_23onesweep_lookback_stateEbbT6_jjT7_P12ihipStream_tbENKUlT_T0_SG_SL_E_clISA_SA_SB_SB_EEDaSZ_S10_SG_SL_EUlSZ_E_NS1_11comp_targetILNS1_3genE9ELNS1_11target_archE1100ELNS1_3gpuE3ELNS1_3repE0EEENS1_47radix_sort_onesweep_sort_config_static_selectorELNS0_4arch9wavefront6targetE0EEEvSG_
		.amdhsa_group_segment_fixed_size 0
		.amdhsa_private_segment_fixed_size 0
		.amdhsa_kernarg_size 88
		.amdhsa_user_sgpr_count 2
		.amdhsa_user_sgpr_dispatch_ptr 0
		.amdhsa_user_sgpr_queue_ptr 0
		.amdhsa_user_sgpr_kernarg_segment_ptr 1
		.amdhsa_user_sgpr_dispatch_id 0
		.amdhsa_user_sgpr_kernarg_preload_length 0
		.amdhsa_user_sgpr_kernarg_preload_offset 0
		.amdhsa_user_sgpr_private_segment_size 0
		.amdhsa_wavefront_size32 1
		.amdhsa_uses_dynamic_stack 0
		.amdhsa_enable_private_segment 0
		.amdhsa_system_sgpr_workgroup_id_x 1
		.amdhsa_system_sgpr_workgroup_id_y 0
		.amdhsa_system_sgpr_workgroup_id_z 0
		.amdhsa_system_sgpr_workgroup_info 0
		.amdhsa_system_vgpr_workitem_id 0
		.amdhsa_next_free_vgpr 1
		.amdhsa_next_free_sgpr 1
		.amdhsa_named_barrier_count 0
		.amdhsa_reserve_vcc 0
		.amdhsa_float_round_mode_32 0
		.amdhsa_float_round_mode_16_64 0
		.amdhsa_float_denorm_mode_32 3
		.amdhsa_float_denorm_mode_16_64 3
		.amdhsa_fp16_overflow 0
		.amdhsa_memory_ordered 1
		.amdhsa_forward_progress 1
		.amdhsa_inst_pref_size 0
		.amdhsa_round_robin_scheduling 0
		.amdhsa_exception_fp_ieee_invalid_op 0
		.amdhsa_exception_fp_denorm_src 0
		.amdhsa_exception_fp_ieee_div_zero 0
		.amdhsa_exception_fp_ieee_overflow 0
		.amdhsa_exception_fp_ieee_underflow 0
		.amdhsa_exception_fp_ieee_inexact 0
		.amdhsa_exception_int_div_zero 0
	.end_amdhsa_kernel
	.section	.text._ZN7rocprim17ROCPRIM_400000_NS6detail17trampoline_kernelINS0_14default_configENS1_35radix_sort_onesweep_config_selectorIaNS0_10empty_typeEEEZZNS1_29radix_sort_onesweep_iterationIS3_Lb0EPKaPaPS5_SB_mNS0_19identity_decomposerENS1_16block_id_wrapperIjLb0EEEEE10hipError_tT1_PNSt15iterator_traitsISG_E10value_typeET2_T3_PNSH_ISM_E10value_typeET4_T5_PSR_SS_PNS1_23onesweep_lookback_stateEbbT6_jjT7_P12ihipStream_tbENKUlT_T0_SG_SL_E_clISA_SA_SB_SB_EEDaSZ_S10_SG_SL_EUlSZ_E_NS1_11comp_targetILNS1_3genE9ELNS1_11target_archE1100ELNS1_3gpuE3ELNS1_3repE0EEENS1_47radix_sort_onesweep_sort_config_static_selectorELNS0_4arch9wavefront6targetE0EEEvSG_,"axG",@progbits,_ZN7rocprim17ROCPRIM_400000_NS6detail17trampoline_kernelINS0_14default_configENS1_35radix_sort_onesweep_config_selectorIaNS0_10empty_typeEEEZZNS1_29radix_sort_onesweep_iterationIS3_Lb0EPKaPaPS5_SB_mNS0_19identity_decomposerENS1_16block_id_wrapperIjLb0EEEEE10hipError_tT1_PNSt15iterator_traitsISG_E10value_typeET2_T3_PNSH_ISM_E10value_typeET4_T5_PSR_SS_PNS1_23onesweep_lookback_stateEbbT6_jjT7_P12ihipStream_tbENKUlT_T0_SG_SL_E_clISA_SA_SB_SB_EEDaSZ_S10_SG_SL_EUlSZ_E_NS1_11comp_targetILNS1_3genE9ELNS1_11target_archE1100ELNS1_3gpuE3ELNS1_3repE0EEENS1_47radix_sort_onesweep_sort_config_static_selectorELNS0_4arch9wavefront6targetE0EEEvSG_,comdat
.Lfunc_end500:
	.size	_ZN7rocprim17ROCPRIM_400000_NS6detail17trampoline_kernelINS0_14default_configENS1_35radix_sort_onesweep_config_selectorIaNS0_10empty_typeEEEZZNS1_29radix_sort_onesweep_iterationIS3_Lb0EPKaPaPS5_SB_mNS0_19identity_decomposerENS1_16block_id_wrapperIjLb0EEEEE10hipError_tT1_PNSt15iterator_traitsISG_E10value_typeET2_T3_PNSH_ISM_E10value_typeET4_T5_PSR_SS_PNS1_23onesweep_lookback_stateEbbT6_jjT7_P12ihipStream_tbENKUlT_T0_SG_SL_E_clISA_SA_SB_SB_EEDaSZ_S10_SG_SL_EUlSZ_E_NS1_11comp_targetILNS1_3genE9ELNS1_11target_archE1100ELNS1_3gpuE3ELNS1_3repE0EEENS1_47radix_sort_onesweep_sort_config_static_selectorELNS0_4arch9wavefront6targetE0EEEvSG_, .Lfunc_end500-_ZN7rocprim17ROCPRIM_400000_NS6detail17trampoline_kernelINS0_14default_configENS1_35radix_sort_onesweep_config_selectorIaNS0_10empty_typeEEEZZNS1_29radix_sort_onesweep_iterationIS3_Lb0EPKaPaPS5_SB_mNS0_19identity_decomposerENS1_16block_id_wrapperIjLb0EEEEE10hipError_tT1_PNSt15iterator_traitsISG_E10value_typeET2_T3_PNSH_ISM_E10value_typeET4_T5_PSR_SS_PNS1_23onesweep_lookback_stateEbbT6_jjT7_P12ihipStream_tbENKUlT_T0_SG_SL_E_clISA_SA_SB_SB_EEDaSZ_S10_SG_SL_EUlSZ_E_NS1_11comp_targetILNS1_3genE9ELNS1_11target_archE1100ELNS1_3gpuE3ELNS1_3repE0EEENS1_47radix_sort_onesweep_sort_config_static_selectorELNS0_4arch9wavefront6targetE0EEEvSG_
                                        ; -- End function
	.set _ZN7rocprim17ROCPRIM_400000_NS6detail17trampoline_kernelINS0_14default_configENS1_35radix_sort_onesweep_config_selectorIaNS0_10empty_typeEEEZZNS1_29radix_sort_onesweep_iterationIS3_Lb0EPKaPaPS5_SB_mNS0_19identity_decomposerENS1_16block_id_wrapperIjLb0EEEEE10hipError_tT1_PNSt15iterator_traitsISG_E10value_typeET2_T3_PNSH_ISM_E10value_typeET4_T5_PSR_SS_PNS1_23onesweep_lookback_stateEbbT6_jjT7_P12ihipStream_tbENKUlT_T0_SG_SL_E_clISA_SA_SB_SB_EEDaSZ_S10_SG_SL_EUlSZ_E_NS1_11comp_targetILNS1_3genE9ELNS1_11target_archE1100ELNS1_3gpuE3ELNS1_3repE0EEENS1_47radix_sort_onesweep_sort_config_static_selectorELNS0_4arch9wavefront6targetE0EEEvSG_.num_vgpr, 0
	.set _ZN7rocprim17ROCPRIM_400000_NS6detail17trampoline_kernelINS0_14default_configENS1_35radix_sort_onesweep_config_selectorIaNS0_10empty_typeEEEZZNS1_29radix_sort_onesweep_iterationIS3_Lb0EPKaPaPS5_SB_mNS0_19identity_decomposerENS1_16block_id_wrapperIjLb0EEEEE10hipError_tT1_PNSt15iterator_traitsISG_E10value_typeET2_T3_PNSH_ISM_E10value_typeET4_T5_PSR_SS_PNS1_23onesweep_lookback_stateEbbT6_jjT7_P12ihipStream_tbENKUlT_T0_SG_SL_E_clISA_SA_SB_SB_EEDaSZ_S10_SG_SL_EUlSZ_E_NS1_11comp_targetILNS1_3genE9ELNS1_11target_archE1100ELNS1_3gpuE3ELNS1_3repE0EEENS1_47radix_sort_onesweep_sort_config_static_selectorELNS0_4arch9wavefront6targetE0EEEvSG_.num_agpr, 0
	.set _ZN7rocprim17ROCPRIM_400000_NS6detail17trampoline_kernelINS0_14default_configENS1_35radix_sort_onesweep_config_selectorIaNS0_10empty_typeEEEZZNS1_29radix_sort_onesweep_iterationIS3_Lb0EPKaPaPS5_SB_mNS0_19identity_decomposerENS1_16block_id_wrapperIjLb0EEEEE10hipError_tT1_PNSt15iterator_traitsISG_E10value_typeET2_T3_PNSH_ISM_E10value_typeET4_T5_PSR_SS_PNS1_23onesweep_lookback_stateEbbT6_jjT7_P12ihipStream_tbENKUlT_T0_SG_SL_E_clISA_SA_SB_SB_EEDaSZ_S10_SG_SL_EUlSZ_E_NS1_11comp_targetILNS1_3genE9ELNS1_11target_archE1100ELNS1_3gpuE3ELNS1_3repE0EEENS1_47radix_sort_onesweep_sort_config_static_selectorELNS0_4arch9wavefront6targetE0EEEvSG_.numbered_sgpr, 0
	.set _ZN7rocprim17ROCPRIM_400000_NS6detail17trampoline_kernelINS0_14default_configENS1_35radix_sort_onesweep_config_selectorIaNS0_10empty_typeEEEZZNS1_29radix_sort_onesweep_iterationIS3_Lb0EPKaPaPS5_SB_mNS0_19identity_decomposerENS1_16block_id_wrapperIjLb0EEEEE10hipError_tT1_PNSt15iterator_traitsISG_E10value_typeET2_T3_PNSH_ISM_E10value_typeET4_T5_PSR_SS_PNS1_23onesweep_lookback_stateEbbT6_jjT7_P12ihipStream_tbENKUlT_T0_SG_SL_E_clISA_SA_SB_SB_EEDaSZ_S10_SG_SL_EUlSZ_E_NS1_11comp_targetILNS1_3genE9ELNS1_11target_archE1100ELNS1_3gpuE3ELNS1_3repE0EEENS1_47radix_sort_onesweep_sort_config_static_selectorELNS0_4arch9wavefront6targetE0EEEvSG_.num_named_barrier, 0
	.set _ZN7rocprim17ROCPRIM_400000_NS6detail17trampoline_kernelINS0_14default_configENS1_35radix_sort_onesweep_config_selectorIaNS0_10empty_typeEEEZZNS1_29radix_sort_onesweep_iterationIS3_Lb0EPKaPaPS5_SB_mNS0_19identity_decomposerENS1_16block_id_wrapperIjLb0EEEEE10hipError_tT1_PNSt15iterator_traitsISG_E10value_typeET2_T3_PNSH_ISM_E10value_typeET4_T5_PSR_SS_PNS1_23onesweep_lookback_stateEbbT6_jjT7_P12ihipStream_tbENKUlT_T0_SG_SL_E_clISA_SA_SB_SB_EEDaSZ_S10_SG_SL_EUlSZ_E_NS1_11comp_targetILNS1_3genE9ELNS1_11target_archE1100ELNS1_3gpuE3ELNS1_3repE0EEENS1_47radix_sort_onesweep_sort_config_static_selectorELNS0_4arch9wavefront6targetE0EEEvSG_.private_seg_size, 0
	.set _ZN7rocprim17ROCPRIM_400000_NS6detail17trampoline_kernelINS0_14default_configENS1_35radix_sort_onesweep_config_selectorIaNS0_10empty_typeEEEZZNS1_29radix_sort_onesweep_iterationIS3_Lb0EPKaPaPS5_SB_mNS0_19identity_decomposerENS1_16block_id_wrapperIjLb0EEEEE10hipError_tT1_PNSt15iterator_traitsISG_E10value_typeET2_T3_PNSH_ISM_E10value_typeET4_T5_PSR_SS_PNS1_23onesweep_lookback_stateEbbT6_jjT7_P12ihipStream_tbENKUlT_T0_SG_SL_E_clISA_SA_SB_SB_EEDaSZ_S10_SG_SL_EUlSZ_E_NS1_11comp_targetILNS1_3genE9ELNS1_11target_archE1100ELNS1_3gpuE3ELNS1_3repE0EEENS1_47radix_sort_onesweep_sort_config_static_selectorELNS0_4arch9wavefront6targetE0EEEvSG_.uses_vcc, 0
	.set _ZN7rocprim17ROCPRIM_400000_NS6detail17trampoline_kernelINS0_14default_configENS1_35radix_sort_onesweep_config_selectorIaNS0_10empty_typeEEEZZNS1_29radix_sort_onesweep_iterationIS3_Lb0EPKaPaPS5_SB_mNS0_19identity_decomposerENS1_16block_id_wrapperIjLb0EEEEE10hipError_tT1_PNSt15iterator_traitsISG_E10value_typeET2_T3_PNSH_ISM_E10value_typeET4_T5_PSR_SS_PNS1_23onesweep_lookback_stateEbbT6_jjT7_P12ihipStream_tbENKUlT_T0_SG_SL_E_clISA_SA_SB_SB_EEDaSZ_S10_SG_SL_EUlSZ_E_NS1_11comp_targetILNS1_3genE9ELNS1_11target_archE1100ELNS1_3gpuE3ELNS1_3repE0EEENS1_47radix_sort_onesweep_sort_config_static_selectorELNS0_4arch9wavefront6targetE0EEEvSG_.uses_flat_scratch, 0
	.set _ZN7rocprim17ROCPRIM_400000_NS6detail17trampoline_kernelINS0_14default_configENS1_35radix_sort_onesweep_config_selectorIaNS0_10empty_typeEEEZZNS1_29radix_sort_onesweep_iterationIS3_Lb0EPKaPaPS5_SB_mNS0_19identity_decomposerENS1_16block_id_wrapperIjLb0EEEEE10hipError_tT1_PNSt15iterator_traitsISG_E10value_typeET2_T3_PNSH_ISM_E10value_typeET4_T5_PSR_SS_PNS1_23onesweep_lookback_stateEbbT6_jjT7_P12ihipStream_tbENKUlT_T0_SG_SL_E_clISA_SA_SB_SB_EEDaSZ_S10_SG_SL_EUlSZ_E_NS1_11comp_targetILNS1_3genE9ELNS1_11target_archE1100ELNS1_3gpuE3ELNS1_3repE0EEENS1_47radix_sort_onesweep_sort_config_static_selectorELNS0_4arch9wavefront6targetE0EEEvSG_.has_dyn_sized_stack, 0
	.set _ZN7rocprim17ROCPRIM_400000_NS6detail17trampoline_kernelINS0_14default_configENS1_35radix_sort_onesweep_config_selectorIaNS0_10empty_typeEEEZZNS1_29radix_sort_onesweep_iterationIS3_Lb0EPKaPaPS5_SB_mNS0_19identity_decomposerENS1_16block_id_wrapperIjLb0EEEEE10hipError_tT1_PNSt15iterator_traitsISG_E10value_typeET2_T3_PNSH_ISM_E10value_typeET4_T5_PSR_SS_PNS1_23onesweep_lookback_stateEbbT6_jjT7_P12ihipStream_tbENKUlT_T0_SG_SL_E_clISA_SA_SB_SB_EEDaSZ_S10_SG_SL_EUlSZ_E_NS1_11comp_targetILNS1_3genE9ELNS1_11target_archE1100ELNS1_3gpuE3ELNS1_3repE0EEENS1_47radix_sort_onesweep_sort_config_static_selectorELNS0_4arch9wavefront6targetE0EEEvSG_.has_recursion, 0
	.set _ZN7rocprim17ROCPRIM_400000_NS6detail17trampoline_kernelINS0_14default_configENS1_35radix_sort_onesweep_config_selectorIaNS0_10empty_typeEEEZZNS1_29radix_sort_onesweep_iterationIS3_Lb0EPKaPaPS5_SB_mNS0_19identity_decomposerENS1_16block_id_wrapperIjLb0EEEEE10hipError_tT1_PNSt15iterator_traitsISG_E10value_typeET2_T3_PNSH_ISM_E10value_typeET4_T5_PSR_SS_PNS1_23onesweep_lookback_stateEbbT6_jjT7_P12ihipStream_tbENKUlT_T0_SG_SL_E_clISA_SA_SB_SB_EEDaSZ_S10_SG_SL_EUlSZ_E_NS1_11comp_targetILNS1_3genE9ELNS1_11target_archE1100ELNS1_3gpuE3ELNS1_3repE0EEENS1_47radix_sort_onesweep_sort_config_static_selectorELNS0_4arch9wavefront6targetE0EEEvSG_.has_indirect_call, 0
	.section	.AMDGPU.csdata,"",@progbits
; Kernel info:
; codeLenInByte = 0
; TotalNumSgprs: 0
; NumVgprs: 0
; ScratchSize: 0
; MemoryBound: 0
; FloatMode: 240
; IeeeMode: 1
; LDSByteSize: 0 bytes/workgroup (compile time only)
; SGPRBlocks: 0
; VGPRBlocks: 0
; NumSGPRsForWavesPerEU: 1
; NumVGPRsForWavesPerEU: 1
; NamedBarCnt: 0
; Occupancy: 16
; WaveLimiterHint : 0
; COMPUTE_PGM_RSRC2:SCRATCH_EN: 0
; COMPUTE_PGM_RSRC2:USER_SGPR: 2
; COMPUTE_PGM_RSRC2:TRAP_HANDLER: 0
; COMPUTE_PGM_RSRC2:TGID_X_EN: 1
; COMPUTE_PGM_RSRC2:TGID_Y_EN: 0
; COMPUTE_PGM_RSRC2:TGID_Z_EN: 0
; COMPUTE_PGM_RSRC2:TIDIG_COMP_CNT: 0
	.section	.text._ZN7rocprim17ROCPRIM_400000_NS6detail17trampoline_kernelINS0_14default_configENS1_35radix_sort_onesweep_config_selectorIaNS0_10empty_typeEEEZZNS1_29radix_sort_onesweep_iterationIS3_Lb0EPKaPaPS5_SB_mNS0_19identity_decomposerENS1_16block_id_wrapperIjLb0EEEEE10hipError_tT1_PNSt15iterator_traitsISG_E10value_typeET2_T3_PNSH_ISM_E10value_typeET4_T5_PSR_SS_PNS1_23onesweep_lookback_stateEbbT6_jjT7_P12ihipStream_tbENKUlT_T0_SG_SL_E_clISA_SA_SB_SB_EEDaSZ_S10_SG_SL_EUlSZ_E_NS1_11comp_targetILNS1_3genE8ELNS1_11target_archE1030ELNS1_3gpuE2ELNS1_3repE0EEENS1_47radix_sort_onesweep_sort_config_static_selectorELNS0_4arch9wavefront6targetE0EEEvSG_,"axG",@progbits,_ZN7rocprim17ROCPRIM_400000_NS6detail17trampoline_kernelINS0_14default_configENS1_35radix_sort_onesweep_config_selectorIaNS0_10empty_typeEEEZZNS1_29radix_sort_onesweep_iterationIS3_Lb0EPKaPaPS5_SB_mNS0_19identity_decomposerENS1_16block_id_wrapperIjLb0EEEEE10hipError_tT1_PNSt15iterator_traitsISG_E10value_typeET2_T3_PNSH_ISM_E10value_typeET4_T5_PSR_SS_PNS1_23onesweep_lookback_stateEbbT6_jjT7_P12ihipStream_tbENKUlT_T0_SG_SL_E_clISA_SA_SB_SB_EEDaSZ_S10_SG_SL_EUlSZ_E_NS1_11comp_targetILNS1_3genE8ELNS1_11target_archE1030ELNS1_3gpuE2ELNS1_3repE0EEENS1_47radix_sort_onesweep_sort_config_static_selectorELNS0_4arch9wavefront6targetE0EEEvSG_,comdat
	.protected	_ZN7rocprim17ROCPRIM_400000_NS6detail17trampoline_kernelINS0_14default_configENS1_35radix_sort_onesweep_config_selectorIaNS0_10empty_typeEEEZZNS1_29radix_sort_onesweep_iterationIS3_Lb0EPKaPaPS5_SB_mNS0_19identity_decomposerENS1_16block_id_wrapperIjLb0EEEEE10hipError_tT1_PNSt15iterator_traitsISG_E10value_typeET2_T3_PNSH_ISM_E10value_typeET4_T5_PSR_SS_PNS1_23onesweep_lookback_stateEbbT6_jjT7_P12ihipStream_tbENKUlT_T0_SG_SL_E_clISA_SA_SB_SB_EEDaSZ_S10_SG_SL_EUlSZ_E_NS1_11comp_targetILNS1_3genE8ELNS1_11target_archE1030ELNS1_3gpuE2ELNS1_3repE0EEENS1_47radix_sort_onesweep_sort_config_static_selectorELNS0_4arch9wavefront6targetE0EEEvSG_ ; -- Begin function _ZN7rocprim17ROCPRIM_400000_NS6detail17trampoline_kernelINS0_14default_configENS1_35radix_sort_onesweep_config_selectorIaNS0_10empty_typeEEEZZNS1_29radix_sort_onesweep_iterationIS3_Lb0EPKaPaPS5_SB_mNS0_19identity_decomposerENS1_16block_id_wrapperIjLb0EEEEE10hipError_tT1_PNSt15iterator_traitsISG_E10value_typeET2_T3_PNSH_ISM_E10value_typeET4_T5_PSR_SS_PNS1_23onesweep_lookback_stateEbbT6_jjT7_P12ihipStream_tbENKUlT_T0_SG_SL_E_clISA_SA_SB_SB_EEDaSZ_S10_SG_SL_EUlSZ_E_NS1_11comp_targetILNS1_3genE8ELNS1_11target_archE1030ELNS1_3gpuE2ELNS1_3repE0EEENS1_47radix_sort_onesweep_sort_config_static_selectorELNS0_4arch9wavefront6targetE0EEEvSG_
	.globl	_ZN7rocprim17ROCPRIM_400000_NS6detail17trampoline_kernelINS0_14default_configENS1_35radix_sort_onesweep_config_selectorIaNS0_10empty_typeEEEZZNS1_29radix_sort_onesweep_iterationIS3_Lb0EPKaPaPS5_SB_mNS0_19identity_decomposerENS1_16block_id_wrapperIjLb0EEEEE10hipError_tT1_PNSt15iterator_traitsISG_E10value_typeET2_T3_PNSH_ISM_E10value_typeET4_T5_PSR_SS_PNS1_23onesweep_lookback_stateEbbT6_jjT7_P12ihipStream_tbENKUlT_T0_SG_SL_E_clISA_SA_SB_SB_EEDaSZ_S10_SG_SL_EUlSZ_E_NS1_11comp_targetILNS1_3genE8ELNS1_11target_archE1030ELNS1_3gpuE2ELNS1_3repE0EEENS1_47radix_sort_onesweep_sort_config_static_selectorELNS0_4arch9wavefront6targetE0EEEvSG_
	.p2align	8
	.type	_ZN7rocprim17ROCPRIM_400000_NS6detail17trampoline_kernelINS0_14default_configENS1_35radix_sort_onesweep_config_selectorIaNS0_10empty_typeEEEZZNS1_29radix_sort_onesweep_iterationIS3_Lb0EPKaPaPS5_SB_mNS0_19identity_decomposerENS1_16block_id_wrapperIjLb0EEEEE10hipError_tT1_PNSt15iterator_traitsISG_E10value_typeET2_T3_PNSH_ISM_E10value_typeET4_T5_PSR_SS_PNS1_23onesweep_lookback_stateEbbT6_jjT7_P12ihipStream_tbENKUlT_T0_SG_SL_E_clISA_SA_SB_SB_EEDaSZ_S10_SG_SL_EUlSZ_E_NS1_11comp_targetILNS1_3genE8ELNS1_11target_archE1030ELNS1_3gpuE2ELNS1_3repE0EEENS1_47radix_sort_onesweep_sort_config_static_selectorELNS0_4arch9wavefront6targetE0EEEvSG_,@function
_ZN7rocprim17ROCPRIM_400000_NS6detail17trampoline_kernelINS0_14default_configENS1_35radix_sort_onesweep_config_selectorIaNS0_10empty_typeEEEZZNS1_29radix_sort_onesweep_iterationIS3_Lb0EPKaPaPS5_SB_mNS0_19identity_decomposerENS1_16block_id_wrapperIjLb0EEEEE10hipError_tT1_PNSt15iterator_traitsISG_E10value_typeET2_T3_PNSH_ISM_E10value_typeET4_T5_PSR_SS_PNS1_23onesweep_lookback_stateEbbT6_jjT7_P12ihipStream_tbENKUlT_T0_SG_SL_E_clISA_SA_SB_SB_EEDaSZ_S10_SG_SL_EUlSZ_E_NS1_11comp_targetILNS1_3genE8ELNS1_11target_archE1030ELNS1_3gpuE2ELNS1_3repE0EEENS1_47radix_sort_onesweep_sort_config_static_selectorELNS0_4arch9wavefront6targetE0EEEvSG_: ; @_ZN7rocprim17ROCPRIM_400000_NS6detail17trampoline_kernelINS0_14default_configENS1_35radix_sort_onesweep_config_selectorIaNS0_10empty_typeEEEZZNS1_29radix_sort_onesweep_iterationIS3_Lb0EPKaPaPS5_SB_mNS0_19identity_decomposerENS1_16block_id_wrapperIjLb0EEEEE10hipError_tT1_PNSt15iterator_traitsISG_E10value_typeET2_T3_PNSH_ISM_E10value_typeET4_T5_PSR_SS_PNS1_23onesweep_lookback_stateEbbT6_jjT7_P12ihipStream_tbENKUlT_T0_SG_SL_E_clISA_SA_SB_SB_EEDaSZ_S10_SG_SL_EUlSZ_E_NS1_11comp_targetILNS1_3genE8ELNS1_11target_archE1030ELNS1_3gpuE2ELNS1_3repE0EEENS1_47radix_sort_onesweep_sort_config_static_selectorELNS0_4arch9wavefront6targetE0EEEvSG_
; %bb.0:
	.section	.rodata,"a",@progbits
	.p2align	6, 0x0
	.amdhsa_kernel _ZN7rocprim17ROCPRIM_400000_NS6detail17trampoline_kernelINS0_14default_configENS1_35radix_sort_onesweep_config_selectorIaNS0_10empty_typeEEEZZNS1_29radix_sort_onesweep_iterationIS3_Lb0EPKaPaPS5_SB_mNS0_19identity_decomposerENS1_16block_id_wrapperIjLb0EEEEE10hipError_tT1_PNSt15iterator_traitsISG_E10value_typeET2_T3_PNSH_ISM_E10value_typeET4_T5_PSR_SS_PNS1_23onesweep_lookback_stateEbbT6_jjT7_P12ihipStream_tbENKUlT_T0_SG_SL_E_clISA_SA_SB_SB_EEDaSZ_S10_SG_SL_EUlSZ_E_NS1_11comp_targetILNS1_3genE8ELNS1_11target_archE1030ELNS1_3gpuE2ELNS1_3repE0EEENS1_47radix_sort_onesweep_sort_config_static_selectorELNS0_4arch9wavefront6targetE0EEEvSG_
		.amdhsa_group_segment_fixed_size 0
		.amdhsa_private_segment_fixed_size 0
		.amdhsa_kernarg_size 88
		.amdhsa_user_sgpr_count 2
		.amdhsa_user_sgpr_dispatch_ptr 0
		.amdhsa_user_sgpr_queue_ptr 0
		.amdhsa_user_sgpr_kernarg_segment_ptr 1
		.amdhsa_user_sgpr_dispatch_id 0
		.amdhsa_user_sgpr_kernarg_preload_length 0
		.amdhsa_user_sgpr_kernarg_preload_offset 0
		.amdhsa_user_sgpr_private_segment_size 0
		.amdhsa_wavefront_size32 1
		.amdhsa_uses_dynamic_stack 0
		.amdhsa_enable_private_segment 0
		.amdhsa_system_sgpr_workgroup_id_x 1
		.amdhsa_system_sgpr_workgroup_id_y 0
		.amdhsa_system_sgpr_workgroup_id_z 0
		.amdhsa_system_sgpr_workgroup_info 0
		.amdhsa_system_vgpr_workitem_id 0
		.amdhsa_next_free_vgpr 1
		.amdhsa_next_free_sgpr 1
		.amdhsa_named_barrier_count 0
		.amdhsa_reserve_vcc 0
		.amdhsa_float_round_mode_32 0
		.amdhsa_float_round_mode_16_64 0
		.amdhsa_float_denorm_mode_32 3
		.amdhsa_float_denorm_mode_16_64 3
		.amdhsa_fp16_overflow 0
		.amdhsa_memory_ordered 1
		.amdhsa_forward_progress 1
		.amdhsa_inst_pref_size 0
		.amdhsa_round_robin_scheduling 0
		.amdhsa_exception_fp_ieee_invalid_op 0
		.amdhsa_exception_fp_denorm_src 0
		.amdhsa_exception_fp_ieee_div_zero 0
		.amdhsa_exception_fp_ieee_overflow 0
		.amdhsa_exception_fp_ieee_underflow 0
		.amdhsa_exception_fp_ieee_inexact 0
		.amdhsa_exception_int_div_zero 0
	.end_amdhsa_kernel
	.section	.text._ZN7rocprim17ROCPRIM_400000_NS6detail17trampoline_kernelINS0_14default_configENS1_35radix_sort_onesweep_config_selectorIaNS0_10empty_typeEEEZZNS1_29radix_sort_onesweep_iterationIS3_Lb0EPKaPaPS5_SB_mNS0_19identity_decomposerENS1_16block_id_wrapperIjLb0EEEEE10hipError_tT1_PNSt15iterator_traitsISG_E10value_typeET2_T3_PNSH_ISM_E10value_typeET4_T5_PSR_SS_PNS1_23onesweep_lookback_stateEbbT6_jjT7_P12ihipStream_tbENKUlT_T0_SG_SL_E_clISA_SA_SB_SB_EEDaSZ_S10_SG_SL_EUlSZ_E_NS1_11comp_targetILNS1_3genE8ELNS1_11target_archE1030ELNS1_3gpuE2ELNS1_3repE0EEENS1_47radix_sort_onesweep_sort_config_static_selectorELNS0_4arch9wavefront6targetE0EEEvSG_,"axG",@progbits,_ZN7rocprim17ROCPRIM_400000_NS6detail17trampoline_kernelINS0_14default_configENS1_35radix_sort_onesweep_config_selectorIaNS0_10empty_typeEEEZZNS1_29radix_sort_onesweep_iterationIS3_Lb0EPKaPaPS5_SB_mNS0_19identity_decomposerENS1_16block_id_wrapperIjLb0EEEEE10hipError_tT1_PNSt15iterator_traitsISG_E10value_typeET2_T3_PNSH_ISM_E10value_typeET4_T5_PSR_SS_PNS1_23onesweep_lookback_stateEbbT6_jjT7_P12ihipStream_tbENKUlT_T0_SG_SL_E_clISA_SA_SB_SB_EEDaSZ_S10_SG_SL_EUlSZ_E_NS1_11comp_targetILNS1_3genE8ELNS1_11target_archE1030ELNS1_3gpuE2ELNS1_3repE0EEENS1_47radix_sort_onesweep_sort_config_static_selectorELNS0_4arch9wavefront6targetE0EEEvSG_,comdat
.Lfunc_end501:
	.size	_ZN7rocprim17ROCPRIM_400000_NS6detail17trampoline_kernelINS0_14default_configENS1_35radix_sort_onesweep_config_selectorIaNS0_10empty_typeEEEZZNS1_29radix_sort_onesweep_iterationIS3_Lb0EPKaPaPS5_SB_mNS0_19identity_decomposerENS1_16block_id_wrapperIjLb0EEEEE10hipError_tT1_PNSt15iterator_traitsISG_E10value_typeET2_T3_PNSH_ISM_E10value_typeET4_T5_PSR_SS_PNS1_23onesweep_lookback_stateEbbT6_jjT7_P12ihipStream_tbENKUlT_T0_SG_SL_E_clISA_SA_SB_SB_EEDaSZ_S10_SG_SL_EUlSZ_E_NS1_11comp_targetILNS1_3genE8ELNS1_11target_archE1030ELNS1_3gpuE2ELNS1_3repE0EEENS1_47radix_sort_onesweep_sort_config_static_selectorELNS0_4arch9wavefront6targetE0EEEvSG_, .Lfunc_end501-_ZN7rocprim17ROCPRIM_400000_NS6detail17trampoline_kernelINS0_14default_configENS1_35radix_sort_onesweep_config_selectorIaNS0_10empty_typeEEEZZNS1_29radix_sort_onesweep_iterationIS3_Lb0EPKaPaPS5_SB_mNS0_19identity_decomposerENS1_16block_id_wrapperIjLb0EEEEE10hipError_tT1_PNSt15iterator_traitsISG_E10value_typeET2_T3_PNSH_ISM_E10value_typeET4_T5_PSR_SS_PNS1_23onesweep_lookback_stateEbbT6_jjT7_P12ihipStream_tbENKUlT_T0_SG_SL_E_clISA_SA_SB_SB_EEDaSZ_S10_SG_SL_EUlSZ_E_NS1_11comp_targetILNS1_3genE8ELNS1_11target_archE1030ELNS1_3gpuE2ELNS1_3repE0EEENS1_47radix_sort_onesweep_sort_config_static_selectorELNS0_4arch9wavefront6targetE0EEEvSG_
                                        ; -- End function
	.set _ZN7rocprim17ROCPRIM_400000_NS6detail17trampoline_kernelINS0_14default_configENS1_35radix_sort_onesweep_config_selectorIaNS0_10empty_typeEEEZZNS1_29radix_sort_onesweep_iterationIS3_Lb0EPKaPaPS5_SB_mNS0_19identity_decomposerENS1_16block_id_wrapperIjLb0EEEEE10hipError_tT1_PNSt15iterator_traitsISG_E10value_typeET2_T3_PNSH_ISM_E10value_typeET4_T5_PSR_SS_PNS1_23onesweep_lookback_stateEbbT6_jjT7_P12ihipStream_tbENKUlT_T0_SG_SL_E_clISA_SA_SB_SB_EEDaSZ_S10_SG_SL_EUlSZ_E_NS1_11comp_targetILNS1_3genE8ELNS1_11target_archE1030ELNS1_3gpuE2ELNS1_3repE0EEENS1_47radix_sort_onesweep_sort_config_static_selectorELNS0_4arch9wavefront6targetE0EEEvSG_.num_vgpr, 0
	.set _ZN7rocprim17ROCPRIM_400000_NS6detail17trampoline_kernelINS0_14default_configENS1_35radix_sort_onesweep_config_selectorIaNS0_10empty_typeEEEZZNS1_29radix_sort_onesweep_iterationIS3_Lb0EPKaPaPS5_SB_mNS0_19identity_decomposerENS1_16block_id_wrapperIjLb0EEEEE10hipError_tT1_PNSt15iterator_traitsISG_E10value_typeET2_T3_PNSH_ISM_E10value_typeET4_T5_PSR_SS_PNS1_23onesweep_lookback_stateEbbT6_jjT7_P12ihipStream_tbENKUlT_T0_SG_SL_E_clISA_SA_SB_SB_EEDaSZ_S10_SG_SL_EUlSZ_E_NS1_11comp_targetILNS1_3genE8ELNS1_11target_archE1030ELNS1_3gpuE2ELNS1_3repE0EEENS1_47radix_sort_onesweep_sort_config_static_selectorELNS0_4arch9wavefront6targetE0EEEvSG_.num_agpr, 0
	.set _ZN7rocprim17ROCPRIM_400000_NS6detail17trampoline_kernelINS0_14default_configENS1_35radix_sort_onesweep_config_selectorIaNS0_10empty_typeEEEZZNS1_29radix_sort_onesweep_iterationIS3_Lb0EPKaPaPS5_SB_mNS0_19identity_decomposerENS1_16block_id_wrapperIjLb0EEEEE10hipError_tT1_PNSt15iterator_traitsISG_E10value_typeET2_T3_PNSH_ISM_E10value_typeET4_T5_PSR_SS_PNS1_23onesweep_lookback_stateEbbT6_jjT7_P12ihipStream_tbENKUlT_T0_SG_SL_E_clISA_SA_SB_SB_EEDaSZ_S10_SG_SL_EUlSZ_E_NS1_11comp_targetILNS1_3genE8ELNS1_11target_archE1030ELNS1_3gpuE2ELNS1_3repE0EEENS1_47radix_sort_onesweep_sort_config_static_selectorELNS0_4arch9wavefront6targetE0EEEvSG_.numbered_sgpr, 0
	.set _ZN7rocprim17ROCPRIM_400000_NS6detail17trampoline_kernelINS0_14default_configENS1_35radix_sort_onesweep_config_selectorIaNS0_10empty_typeEEEZZNS1_29radix_sort_onesweep_iterationIS3_Lb0EPKaPaPS5_SB_mNS0_19identity_decomposerENS1_16block_id_wrapperIjLb0EEEEE10hipError_tT1_PNSt15iterator_traitsISG_E10value_typeET2_T3_PNSH_ISM_E10value_typeET4_T5_PSR_SS_PNS1_23onesweep_lookback_stateEbbT6_jjT7_P12ihipStream_tbENKUlT_T0_SG_SL_E_clISA_SA_SB_SB_EEDaSZ_S10_SG_SL_EUlSZ_E_NS1_11comp_targetILNS1_3genE8ELNS1_11target_archE1030ELNS1_3gpuE2ELNS1_3repE0EEENS1_47radix_sort_onesweep_sort_config_static_selectorELNS0_4arch9wavefront6targetE0EEEvSG_.num_named_barrier, 0
	.set _ZN7rocprim17ROCPRIM_400000_NS6detail17trampoline_kernelINS0_14default_configENS1_35radix_sort_onesweep_config_selectorIaNS0_10empty_typeEEEZZNS1_29radix_sort_onesweep_iterationIS3_Lb0EPKaPaPS5_SB_mNS0_19identity_decomposerENS1_16block_id_wrapperIjLb0EEEEE10hipError_tT1_PNSt15iterator_traitsISG_E10value_typeET2_T3_PNSH_ISM_E10value_typeET4_T5_PSR_SS_PNS1_23onesweep_lookback_stateEbbT6_jjT7_P12ihipStream_tbENKUlT_T0_SG_SL_E_clISA_SA_SB_SB_EEDaSZ_S10_SG_SL_EUlSZ_E_NS1_11comp_targetILNS1_3genE8ELNS1_11target_archE1030ELNS1_3gpuE2ELNS1_3repE0EEENS1_47radix_sort_onesweep_sort_config_static_selectorELNS0_4arch9wavefront6targetE0EEEvSG_.private_seg_size, 0
	.set _ZN7rocprim17ROCPRIM_400000_NS6detail17trampoline_kernelINS0_14default_configENS1_35radix_sort_onesweep_config_selectorIaNS0_10empty_typeEEEZZNS1_29radix_sort_onesweep_iterationIS3_Lb0EPKaPaPS5_SB_mNS0_19identity_decomposerENS1_16block_id_wrapperIjLb0EEEEE10hipError_tT1_PNSt15iterator_traitsISG_E10value_typeET2_T3_PNSH_ISM_E10value_typeET4_T5_PSR_SS_PNS1_23onesweep_lookback_stateEbbT6_jjT7_P12ihipStream_tbENKUlT_T0_SG_SL_E_clISA_SA_SB_SB_EEDaSZ_S10_SG_SL_EUlSZ_E_NS1_11comp_targetILNS1_3genE8ELNS1_11target_archE1030ELNS1_3gpuE2ELNS1_3repE0EEENS1_47radix_sort_onesweep_sort_config_static_selectorELNS0_4arch9wavefront6targetE0EEEvSG_.uses_vcc, 0
	.set _ZN7rocprim17ROCPRIM_400000_NS6detail17trampoline_kernelINS0_14default_configENS1_35radix_sort_onesweep_config_selectorIaNS0_10empty_typeEEEZZNS1_29radix_sort_onesweep_iterationIS3_Lb0EPKaPaPS5_SB_mNS0_19identity_decomposerENS1_16block_id_wrapperIjLb0EEEEE10hipError_tT1_PNSt15iterator_traitsISG_E10value_typeET2_T3_PNSH_ISM_E10value_typeET4_T5_PSR_SS_PNS1_23onesweep_lookback_stateEbbT6_jjT7_P12ihipStream_tbENKUlT_T0_SG_SL_E_clISA_SA_SB_SB_EEDaSZ_S10_SG_SL_EUlSZ_E_NS1_11comp_targetILNS1_3genE8ELNS1_11target_archE1030ELNS1_3gpuE2ELNS1_3repE0EEENS1_47radix_sort_onesweep_sort_config_static_selectorELNS0_4arch9wavefront6targetE0EEEvSG_.uses_flat_scratch, 0
	.set _ZN7rocprim17ROCPRIM_400000_NS6detail17trampoline_kernelINS0_14default_configENS1_35radix_sort_onesweep_config_selectorIaNS0_10empty_typeEEEZZNS1_29radix_sort_onesweep_iterationIS3_Lb0EPKaPaPS5_SB_mNS0_19identity_decomposerENS1_16block_id_wrapperIjLb0EEEEE10hipError_tT1_PNSt15iterator_traitsISG_E10value_typeET2_T3_PNSH_ISM_E10value_typeET4_T5_PSR_SS_PNS1_23onesweep_lookback_stateEbbT6_jjT7_P12ihipStream_tbENKUlT_T0_SG_SL_E_clISA_SA_SB_SB_EEDaSZ_S10_SG_SL_EUlSZ_E_NS1_11comp_targetILNS1_3genE8ELNS1_11target_archE1030ELNS1_3gpuE2ELNS1_3repE0EEENS1_47radix_sort_onesweep_sort_config_static_selectorELNS0_4arch9wavefront6targetE0EEEvSG_.has_dyn_sized_stack, 0
	.set _ZN7rocprim17ROCPRIM_400000_NS6detail17trampoline_kernelINS0_14default_configENS1_35radix_sort_onesweep_config_selectorIaNS0_10empty_typeEEEZZNS1_29radix_sort_onesweep_iterationIS3_Lb0EPKaPaPS5_SB_mNS0_19identity_decomposerENS1_16block_id_wrapperIjLb0EEEEE10hipError_tT1_PNSt15iterator_traitsISG_E10value_typeET2_T3_PNSH_ISM_E10value_typeET4_T5_PSR_SS_PNS1_23onesweep_lookback_stateEbbT6_jjT7_P12ihipStream_tbENKUlT_T0_SG_SL_E_clISA_SA_SB_SB_EEDaSZ_S10_SG_SL_EUlSZ_E_NS1_11comp_targetILNS1_3genE8ELNS1_11target_archE1030ELNS1_3gpuE2ELNS1_3repE0EEENS1_47radix_sort_onesweep_sort_config_static_selectorELNS0_4arch9wavefront6targetE0EEEvSG_.has_recursion, 0
	.set _ZN7rocprim17ROCPRIM_400000_NS6detail17trampoline_kernelINS0_14default_configENS1_35radix_sort_onesweep_config_selectorIaNS0_10empty_typeEEEZZNS1_29radix_sort_onesweep_iterationIS3_Lb0EPKaPaPS5_SB_mNS0_19identity_decomposerENS1_16block_id_wrapperIjLb0EEEEE10hipError_tT1_PNSt15iterator_traitsISG_E10value_typeET2_T3_PNSH_ISM_E10value_typeET4_T5_PSR_SS_PNS1_23onesweep_lookback_stateEbbT6_jjT7_P12ihipStream_tbENKUlT_T0_SG_SL_E_clISA_SA_SB_SB_EEDaSZ_S10_SG_SL_EUlSZ_E_NS1_11comp_targetILNS1_3genE8ELNS1_11target_archE1030ELNS1_3gpuE2ELNS1_3repE0EEENS1_47radix_sort_onesweep_sort_config_static_selectorELNS0_4arch9wavefront6targetE0EEEvSG_.has_indirect_call, 0
	.section	.AMDGPU.csdata,"",@progbits
; Kernel info:
; codeLenInByte = 0
; TotalNumSgprs: 0
; NumVgprs: 0
; ScratchSize: 0
; MemoryBound: 0
; FloatMode: 240
; IeeeMode: 1
; LDSByteSize: 0 bytes/workgroup (compile time only)
; SGPRBlocks: 0
; VGPRBlocks: 0
; NumSGPRsForWavesPerEU: 1
; NumVGPRsForWavesPerEU: 1
; NamedBarCnt: 0
; Occupancy: 16
; WaveLimiterHint : 0
; COMPUTE_PGM_RSRC2:SCRATCH_EN: 0
; COMPUTE_PGM_RSRC2:USER_SGPR: 2
; COMPUTE_PGM_RSRC2:TRAP_HANDLER: 0
; COMPUTE_PGM_RSRC2:TGID_X_EN: 1
; COMPUTE_PGM_RSRC2:TGID_Y_EN: 0
; COMPUTE_PGM_RSRC2:TGID_Z_EN: 0
; COMPUTE_PGM_RSRC2:TIDIG_COMP_CNT: 0
	.section	.text._ZN7rocprim17ROCPRIM_400000_NS6detail17trampoline_kernelINS0_13kernel_configILj256ELj4ELj4294967295EEENS1_37radix_sort_block_sort_config_selectorIsNS0_10empty_typeEEEZNS1_21radix_sort_block_sortIS4_Lb1EPKsPsPS6_SC_NS0_19identity_decomposerEEE10hipError_tT1_T2_T3_T4_jRjT5_jjP12ihipStream_tbEUlT_E_NS1_11comp_targetILNS1_3genE0ELNS1_11target_archE4294967295ELNS1_3gpuE0ELNS1_3repE0EEENS1_44radix_sort_block_sort_config_static_selectorELNS0_4arch9wavefront6targetE0EEEvSF_,"axG",@progbits,_ZN7rocprim17ROCPRIM_400000_NS6detail17trampoline_kernelINS0_13kernel_configILj256ELj4ELj4294967295EEENS1_37radix_sort_block_sort_config_selectorIsNS0_10empty_typeEEEZNS1_21radix_sort_block_sortIS4_Lb1EPKsPsPS6_SC_NS0_19identity_decomposerEEE10hipError_tT1_T2_T3_T4_jRjT5_jjP12ihipStream_tbEUlT_E_NS1_11comp_targetILNS1_3genE0ELNS1_11target_archE4294967295ELNS1_3gpuE0ELNS1_3repE0EEENS1_44radix_sort_block_sort_config_static_selectorELNS0_4arch9wavefront6targetE0EEEvSF_,comdat
	.protected	_ZN7rocprim17ROCPRIM_400000_NS6detail17trampoline_kernelINS0_13kernel_configILj256ELj4ELj4294967295EEENS1_37radix_sort_block_sort_config_selectorIsNS0_10empty_typeEEEZNS1_21radix_sort_block_sortIS4_Lb1EPKsPsPS6_SC_NS0_19identity_decomposerEEE10hipError_tT1_T2_T3_T4_jRjT5_jjP12ihipStream_tbEUlT_E_NS1_11comp_targetILNS1_3genE0ELNS1_11target_archE4294967295ELNS1_3gpuE0ELNS1_3repE0EEENS1_44radix_sort_block_sort_config_static_selectorELNS0_4arch9wavefront6targetE0EEEvSF_ ; -- Begin function _ZN7rocprim17ROCPRIM_400000_NS6detail17trampoline_kernelINS0_13kernel_configILj256ELj4ELj4294967295EEENS1_37radix_sort_block_sort_config_selectorIsNS0_10empty_typeEEEZNS1_21radix_sort_block_sortIS4_Lb1EPKsPsPS6_SC_NS0_19identity_decomposerEEE10hipError_tT1_T2_T3_T4_jRjT5_jjP12ihipStream_tbEUlT_E_NS1_11comp_targetILNS1_3genE0ELNS1_11target_archE4294967295ELNS1_3gpuE0ELNS1_3repE0EEENS1_44radix_sort_block_sort_config_static_selectorELNS0_4arch9wavefront6targetE0EEEvSF_
	.globl	_ZN7rocprim17ROCPRIM_400000_NS6detail17trampoline_kernelINS0_13kernel_configILj256ELj4ELj4294967295EEENS1_37radix_sort_block_sort_config_selectorIsNS0_10empty_typeEEEZNS1_21radix_sort_block_sortIS4_Lb1EPKsPsPS6_SC_NS0_19identity_decomposerEEE10hipError_tT1_T2_T3_T4_jRjT5_jjP12ihipStream_tbEUlT_E_NS1_11comp_targetILNS1_3genE0ELNS1_11target_archE4294967295ELNS1_3gpuE0ELNS1_3repE0EEENS1_44radix_sort_block_sort_config_static_selectorELNS0_4arch9wavefront6targetE0EEEvSF_
	.p2align	8
	.type	_ZN7rocprim17ROCPRIM_400000_NS6detail17trampoline_kernelINS0_13kernel_configILj256ELj4ELj4294967295EEENS1_37radix_sort_block_sort_config_selectorIsNS0_10empty_typeEEEZNS1_21radix_sort_block_sortIS4_Lb1EPKsPsPS6_SC_NS0_19identity_decomposerEEE10hipError_tT1_T2_T3_T4_jRjT5_jjP12ihipStream_tbEUlT_E_NS1_11comp_targetILNS1_3genE0ELNS1_11target_archE4294967295ELNS1_3gpuE0ELNS1_3repE0EEENS1_44radix_sort_block_sort_config_static_selectorELNS0_4arch9wavefront6targetE0EEEvSF_,@function
_ZN7rocprim17ROCPRIM_400000_NS6detail17trampoline_kernelINS0_13kernel_configILj256ELj4ELj4294967295EEENS1_37radix_sort_block_sort_config_selectorIsNS0_10empty_typeEEEZNS1_21radix_sort_block_sortIS4_Lb1EPKsPsPS6_SC_NS0_19identity_decomposerEEE10hipError_tT1_T2_T3_T4_jRjT5_jjP12ihipStream_tbEUlT_E_NS1_11comp_targetILNS1_3genE0ELNS1_11target_archE4294967295ELNS1_3gpuE0ELNS1_3repE0EEENS1_44radix_sort_block_sort_config_static_selectorELNS0_4arch9wavefront6targetE0EEEvSF_: ; @_ZN7rocprim17ROCPRIM_400000_NS6detail17trampoline_kernelINS0_13kernel_configILj256ELj4ELj4294967295EEENS1_37radix_sort_block_sort_config_selectorIsNS0_10empty_typeEEEZNS1_21radix_sort_block_sortIS4_Lb1EPKsPsPS6_SC_NS0_19identity_decomposerEEE10hipError_tT1_T2_T3_T4_jRjT5_jjP12ihipStream_tbEUlT_E_NS1_11comp_targetILNS1_3genE0ELNS1_11target_archE4294967295ELNS1_3gpuE0ELNS1_3repE0EEENS1_44radix_sort_block_sort_config_static_selectorELNS0_4arch9wavefront6targetE0EEEvSF_
; %bb.0:
	s_clause 0x1
	s_load_b32 s4, s[0:1], 0x20
	s_load_b128 s[16:19], s[0:1], 0x0
	s_bfe_u32 s5, ttmp6, 0x4000c
	s_and_b32 s2, ttmp6, 15
	s_add_co_i32 s5, s5, 1
	s_getreg_b32 s6, hwreg(HW_REG_IB_STS2, 6, 4)
	s_mul_i32 s5, ttmp9, s5
	v_and_b32_e32 v12, 0x3ff, v0
	s_add_co_i32 s2, s2, s5
	s_cmp_eq_u32 s6, 0
	v_mbcnt_lo_u32_b32 v1, -1, 0
	s_cselect_b32 s5, ttmp9, s2
	v_dual_mov_b32 v3, 0 :: v_dual_lshlrev_b32 v4, 2, v12
	s_lshl_b32 s2, s5, 10
	s_mov_b32 s3, 0
	v_lshlrev_b32_e32 v2, 1, v1
	s_delay_alu instid0(VALU_DEP_2) | instskip(SKIP_2) | instid1(SALU_CYCLE_1)
	v_and_b32_e32 v8, 0x380, v4
	s_wait_kmcnt 0x0
	s_lshr_b32 s8, s4, 10
	s_cmp_lg_u32 s5, s8
	s_cselect_b32 s25, -1, 0
	s_lshl_b64 s[20:21], s[2:3], 1
	s_cmp_eq_u32 s5, s8
	s_add_nc_u64 s[6:7], s[16:17], s[20:21]
	s_mov_b32 s5, -1
	v_add_nc_u64_e32 v[4:5], s[6:7], v[2:3]
	v_lshlrev_b32_e32 v2, 1, v8
	s_delay_alu instid0(VALU_DEP_1)
	v_add_nc_u64_e32 v[6:7], v[4:5], v[2:3]
                                        ; implicit-def: $vgpr4_vgpr5
	s_cbranch_scc0 .LBB502_24
; %bb.1:
	s_load_b64 s[22:23], s[0:1], 0x28
	s_and_not1_b32 vcc_lo, exec_lo, s5
	s_sub_co_i32 s24, s4, s2
	s_cbranch_vccz .LBB502_25
.LBB502_2:
	s_and_saveexec_b32 s2, s3
	s_cbranch_execz .LBB502_4
.LBB502_3:
	global_load_u16 v3, v[6:7], off offset:192
	s_wait_loadcnt 0x0
	v_perm_b32 v5, v3, v5, 0x5040100
.LBB502_4:
	s_or_b32 exec_lo, exec_lo, s2
	s_load_b32 s6, s[0:1], 0x3c
	v_bfe_u32 v7, v0, 10, 10
	v_bfe_u32 v0, v0, 20, 10
	s_get_pc_i64 s[4:5]
	s_add_nc_u64 s[4:5], s[4:5], _ZN7rocprim17ROCPRIM_400000_NS16block_radix_sortIsLj256ELj4ENS0_10empty_typeELj1ELj1ELj0ELNS0_26block_radix_rank_algorithmE1ELNS0_18block_padding_hintE2ELNS0_4arch9wavefront6targetE0EE19radix_bits_per_passE@rel64+4
	v_sub_co_u32 v11, s2, v1, 1
	v_and_b32_e32 v10, 0x3e0, v12
	s_load_b32 s26, s[4:5], 0x0
	v_dual_lshlrev_b32 v13, 5, v12 :: v_dual_bitop2_b32 v8, 15, v1 bitop3:0x40
	s_delay_alu instid0(VALU_DEP_3)
	v_cmp_gt_i32_e32 vcc_lo, 0, v11
	s_wait_loadcnt 0x0
	v_xor_b32_e32 v3, 0x7fff, v5
	v_lshrrev_b32_e32 v5, 16, v5
	v_xor_b32_e32 v6, 0x7fff, v4
	v_dual_lshrrev_b32 v4, 16, v4 :: v_dual_bitop2_b32 v9, 16, v1 bitop3:0x40
	v_dual_lshrrev_b32 v14, 3, v12 :: v_dual_bitop2_b32 v17, 7, v1 bitop3:0x40
	s_wait_xcnt 0x0
	v_cmp_eq_u32_e64 s4, 0, v8
	v_cmp_lt_u32_e64 s5, 1, v8
	s_wait_kmcnt 0x0
	s_lshr_b32 s7, s6, 16
	s_and_b32 s6, s6, 0xffff
	v_mad_u32_u24 v0, v0, s7, v7
	v_min_u32_e32 v7, 0xe0, v10
	v_cmp_lt_u32_e64 s7, 7, v8
	s_mov_b32 s14, 0
	v_mul_i32_i24_e32 v19, 0xffffffe4, v12
	v_mad_u32 v0, v0, s6, v12
	v_cmp_lt_u32_e64 s6, 3, v8
	v_cndmask_b32_e32 v8, v11, v1, vcc_lo
	v_xor_b32_e32 v5, 0x7fff, v5
	v_xor_b32_e32 v4, 0x7fff, v4
	v_and_b32_e32 v14, 0x7c, v14
	v_or_b32_e32 v7, 31, v7
	s_mov_b32 s15, s14
	s_mov_b32 s16, s14
	;; [unrolled: 1-line block ×3, first 2 shown]
	v_cmp_eq_u32_e64 s8, 0, v9
	v_lshrrev_b32_e32 v0, 3, v0
	v_lshlrev_b32_e32 v15, 2, v8
	v_mov_b64_e32 v[8:9], s[14:15]
	v_mov_b64_e32 v[10:11], s[16:17]
	v_cmp_gt_u32_e64 s0, 8, v12
	v_cmp_lt_u32_e64 s1, 31, v12
	v_cmp_eq_u32_e64 s3, 0, v12
	v_cmp_eq_u32_e64 s9, 0, v17
	v_cmp_lt_u32_e64 s10, 1, v17
	v_cmp_eq_u32_e64 s11, v12, v7
	v_and_b32_e32 v16, 0x1ffffffc, v0
	v_cmp_lt_u32_e64 s12, 3, v17
	v_add_nc_u32_e32 v17, -4, v14
	v_lshl_add_u32 v18, v1, 1, v2
	v_perm_b32 v20, v4, v6, 0x5040100
	v_perm_b32 v0, v5, v3, 0x5040100
	v_add_nc_u32_e32 v19, v13, v19
	s_add_co_i32 s27, s23, s22
	s_branch .LBB502_6
.LBB502_5:                              ;   in Loop: Header=BB502_6 Depth=1
	s_and_not1_b32 vcc_lo, exec_lo, s13
	s_cbranch_vccz .LBB502_22
.LBB502_6:                              ; =>This Inner Loop Header: Depth=1
	v_and_b32_e32 v1, 0xffff, v20
	s_min_u32 s13, s26, s23
	ds_store_2addr_b64 v13, v[8:9], v[10:11] offset0:4 offset1:5
	ds_store_2addr_b64 v13, v[8:9], v[10:11] offset0:6 offset1:7
	s_lshl_b32 s28, -1, s13
	s_wait_dscnt 0x0
	v_lshrrev_b32_e32 v1, s22, v1
	s_barrier_signal -1
	s_barrier_wait -1
	s_delay_alu instid0(VALU_DEP_1) | instskip(NEXT) | instid1(VALU_DEP_1)
	v_bitop3_b32 v3, v1, s28, v1 bitop3:0x30
	; wave barrier
	v_lshlrev_b32_e32 v4, 30, v3
	v_bitop3_b32 v2, v1, 1, s28 bitop3:0x40
	v_dual_lshlrev_b32 v5, 29, v3 :: v_dual_lshlrev_b32 v6, 28, v3
	v_dual_lshlrev_b32 v7, 27, v3 :: v_dual_lshlrev_b32 v21, 26, v3
	s_delay_alu instid0(VALU_DEP_3) | instskip(NEXT) | instid1(VALU_DEP_1)
	v_add_co_u32 v1, s13, v2, -1
	v_cndmask_b32_e64 v2, 0, 1, s13
	v_cmp_gt_i32_e64 s13, 0, v4
	v_cmp_gt_i32_e64 s14, 0, v5
	v_dual_lshlrev_b32 v22, 25, v3 :: v_dual_lshlrev_b32 v23, 24, v3
	s_delay_alu instid0(VALU_DEP_4)
	v_cmp_ne_u32_e32 vcc_lo, 0, v2
	v_not_b32_e32 v2, v4
	v_not_b32_e32 v4, v5
	v_not_b32_e32 v5, v6
	v_cmp_gt_i32_e64 s15, 0, v6
	v_cmp_gt_i32_e64 s16, 0, v7
	v_dual_ashrrev_i32 v2, 31, v2 :: v_dual_bitop2_b32 v1, vcc_lo, v1 bitop3:0x14
	v_not_b32_e32 v6, v7
	v_dual_ashrrev_i32 v4, 31, v4 :: v_dual_ashrrev_i32 v5, 31, v5
	v_not_b32_e32 v7, v21
	s_delay_alu instid0(VALU_DEP_4) | instskip(SKIP_1) | instid1(VALU_DEP_4)
	v_xor_b32_e32 v2, s13, v2
	v_cmp_gt_i32_e64 s17, 0, v21
	v_dual_ashrrev_i32 v6, 31, v6 :: v_dual_bitop2_b32 v4, s14, v4 bitop3:0x14
	v_not_b32_e32 v21, v23
	v_ashrrev_i32_e32 v7, 31, v7
	v_bitop3_b32 v1, v1, v2, exec_lo bitop3:0x80
	v_not_b32_e32 v2, v22
	v_xor_b32_e32 v5, s15, v5
	v_xor_b32_e32 v6, s16, v6
	v_cmp_gt_i32_e32 vcc_lo, 0, v22
	v_cmp_gt_i32_e64 s13, 0, v23
	v_ashrrev_i32_e32 v2, 31, v2
	v_bitop3_b32 v1, v1, v5, v4 bitop3:0x80
	v_dual_ashrrev_i32 v4, 31, v21 :: v_dual_bitop2_b32 v5, s17, v7 bitop3:0x14
	s_delay_alu instid0(VALU_DEP_3) | instskip(NEXT) | instid1(VALU_DEP_2)
	v_dual_mov_b32 v21, v0 :: v_dual_bitop2_b32 v2, vcc_lo, v2 bitop3:0x14
	v_dual_lshlrev_b32 v0, 5, v3 :: v_dual_bitop2_b32 v4, s13, v4 bitop3:0x14
	s_delay_alu instid0(VALU_DEP_3) | instskip(NEXT) | instid1(VALU_DEP_2)
	v_bitop3_b32 v1, v1, v5, v6 bitop3:0x80
	v_add_nc_u32_e32 v24, v16, v0
	s_delay_alu instid0(VALU_DEP_2) | instskip(NEXT) | instid1(VALU_DEP_1)
	v_bitop3_b32 v1, v1, v4, v2 bitop3:0x80
	v_mbcnt_lo_u32_b32 v23, v1, 0
	v_cmp_ne_u32_e64 s13, 0, v1
	s_delay_alu instid0(VALU_DEP_2) | instskip(SKIP_1) | instid1(SALU_CYCLE_1)
	v_cmp_eq_u32_e32 vcc_lo, 0, v23
	s_and_b32 s14, s13, vcc_lo
	s_and_saveexec_b32 s13, s14
; %bb.7:                                ;   in Loop: Header=BB502_6 Depth=1
	v_bcnt_u32_b32 v0, v1, 0
	ds_store_b32 v24, v0 offset:32
; %bb.8:                                ;   in Loop: Header=BB502_6 Depth=1
	s_or_b32 exec_lo, exec_lo, s13
	v_lshrrev_b32_e32 v22, 16, v20
	s_not_b32 s28, s28
	; wave barrier
	s_delay_alu instid0(VALU_DEP_1) | instskip(NEXT) | instid1(VALU_DEP_1)
	v_lshrrev_b32_e32 v0, s22, v22
	v_and_b32_e32 v1, s28, v0
	s_delay_alu instid0(VALU_DEP_1) | instskip(SKIP_1) | instid1(VALU_DEP_1)
	v_lshlrev_b32_e32 v4, 30, v1
	v_bitop3_b32 v0, v0, 1, s28 bitop3:0x80
	v_add_co_u32 v0, s13, v0, -1
	s_delay_alu instid0(VALU_DEP_1) | instskip(NEXT) | instid1(VALU_DEP_4)
	v_cndmask_b32_e64 v3, 0, 1, s13
	v_cmp_gt_i32_e64 s13, 0, v4
	s_delay_alu instid0(VALU_DEP_2) | instskip(SKIP_1) | instid1(VALU_DEP_1)
	v_cmp_ne_u32_e32 vcc_lo, 0, v3
	v_not_b32_e32 v3, v4
	v_dual_ashrrev_i32 v3, 31, v3 :: v_dual_lshlrev_b32 v5, 29, v1
	v_dual_lshlrev_b32 v6, 28, v1 :: v_dual_lshlrev_b32 v7, 27, v1
	v_dual_lshlrev_b32 v25, 26, v1 :: v_dual_lshlrev_b32 v2, 5, v1
	s_delay_alu instid0(VALU_DEP_3) | instskip(SKIP_1) | instid1(VALU_DEP_4)
	v_cmp_gt_i32_e64 s14, 0, v5
	v_not_b32_e32 v4, v5
	v_not_b32_e32 v5, v6
	v_dual_lshlrev_b32 v26, 25, v1 :: v_dual_lshlrev_b32 v1, 24, v1
	v_cmp_gt_i32_e64 s15, 0, v6
	v_cmp_gt_i32_e64 s16, 0, v7
	v_not_b32_e32 v6, v7
	v_dual_ashrrev_i32 v5, 31, v5 :: v_dual_bitop2_b32 v0, vcc_lo, v0 bitop3:0x14
	v_dual_ashrrev_i32 v4, 31, v4 :: v_dual_bitop2_b32 v3, s13, v3 bitop3:0x14
	v_not_b32_e32 v7, v25
	v_cmp_gt_i32_e64 s17, 0, v25
	s_delay_alu instid0(VALU_DEP_3)
	v_dual_ashrrev_i32 v6, 31, v6 :: v_dual_bitop2_b32 v4, s14, v4 bitop3:0x14
	v_xor_b32_e32 v5, s15, v5
	v_bitop3_b32 v0, v0, v3, exec_lo bitop3:0x80
	v_ashrrev_i32_e32 v3, 31, v7
	v_not_b32_e32 v7, v26
	v_not_b32_e32 v25, v1
	v_xor_b32_e32 v6, s16, v6
	v_bitop3_b32 v0, v0, v5, v4 bitop3:0x80
	v_xor_b32_e32 v3, s17, v3
	v_cmp_gt_i32_e32 vcc_lo, 0, v26
	v_ashrrev_i32_e32 v4, 31, v7
	v_cmp_gt_i32_e64 s13, 0, v1
	v_dual_ashrrev_i32 v1, 31, v25 :: v_dual_add_nc_u32 v26, v16, v2
	v_bitop3_b32 v0, v0, v3, v6 bitop3:0x80
	s_delay_alu instid0(VALU_DEP_4) | instskip(NEXT) | instid1(VALU_DEP_3)
	v_xor_b32_e32 v2, vcc_lo, v4
	v_xor_b32_e32 v1, s13, v1
	ds_load_b32 v25, v26 offset:32
	; wave barrier
	v_bitop3_b32 v0, v0, v1, v2 bitop3:0x80
	s_delay_alu instid0(VALU_DEP_1) | instskip(SKIP_1) | instid1(VALU_DEP_2)
	v_mbcnt_lo_u32_b32 v27, v0, 0
	v_cmp_ne_u32_e64 s13, 0, v0
	v_cmp_eq_u32_e32 vcc_lo, 0, v27
	s_and_b32 s14, s13, vcc_lo
	s_delay_alu instid0(SALU_CYCLE_1)
	s_and_saveexec_b32 s13, s14
	s_cbranch_execz .LBB502_10
; %bb.9:                                ;   in Loop: Header=BB502_6 Depth=1
	s_wait_dscnt 0x0
	v_bcnt_u32_b32 v0, v0, v25
	ds_store_b32 v26, v0 offset:32
.LBB502_10:                             ;   in Loop: Header=BB502_6 Depth=1
	s_or_b32 exec_lo, exec_lo, s13
	v_and_b32_e32 v0, 0xffff, v21
	; wave barrier
	s_delay_alu instid0(VALU_DEP_1) | instskip(NEXT) | instid1(VALU_DEP_1)
	v_lshrrev_b32_e32 v0, s22, v0
	v_and_b32_e32 v1, s28, v0
	s_delay_alu instid0(VALU_DEP_1) | instskip(SKIP_1) | instid1(VALU_DEP_2)
	v_lshlrev_b32_e32 v2, 5, v1
	v_bitop3_b32 v0, v0, 1, s28 bitop3:0x80
	v_dual_lshlrev_b32 v4, 30, v1 :: v_dual_add_nc_u32 v31, v16, v2
	s_delay_alu instid0(VALU_DEP_2) | instskip(NEXT) | instid1(VALU_DEP_1)
	v_add_co_u32 v0, s13, v0, -1
	v_cndmask_b32_e64 v3, 0, 1, s13
	s_delay_alu instid0(VALU_DEP_1) | instskip(NEXT) | instid1(VALU_DEP_4)
	v_cmp_ne_u32_e32 vcc_lo, 0, v3
	v_not_b32_e32 v3, v4
	s_delay_alu instid0(VALU_DEP_1) | instskip(SKIP_4) | instid1(VALU_DEP_4)
	v_dual_ashrrev_i32 v3, 31, v3 :: v_dual_bitop2_b32 v0, vcc_lo, v0 bitop3:0x14
	v_dual_lshlrev_b32 v5, 29, v1 :: v_dual_lshlrev_b32 v6, 28, v1
	v_dual_lshlrev_b32 v7, 27, v1 :: v_dual_lshlrev_b32 v28, 26, v1
	v_lshlrev_b32_e32 v29, 25, v1
	v_cmp_gt_i32_e64 s13, 0, v4
	v_cmp_gt_i32_e64 s14, 0, v5
	v_not_b32_e32 v4, v5
	v_not_b32_e32 v5, v6
	v_lshlrev_b32_e32 v1, 24, v1
	v_cmp_gt_i32_e64 s15, 0, v6
	v_cmp_gt_i32_e64 s16, 0, v7
	v_not_b32_e32 v6, v7
	v_not_b32_e32 v7, v28
	v_dual_ashrrev_i32 v4, 31, v4 :: v_dual_ashrrev_i32 v5, 31, v5
	s_delay_alu instid0(VALU_DEP_3) | instskip(SKIP_1) | instid1(VALU_DEP_3)
	v_dual_ashrrev_i32 v6, 31, v6 :: v_dual_bitop2_b32 v3, s13, v3 bitop3:0x14
	v_cmp_gt_i32_e64 s17, 0, v28
	v_dual_ashrrev_i32 v7, 31, v7 :: v_dual_bitop2_b32 v4, s14, v4 bitop3:0x14
	s_delay_alu instid0(VALU_DEP_3)
	v_bitop3_b32 v0, v0, v3, exec_lo bitop3:0x80
	v_not_b32_e32 v3, v29
	v_xor_b32_e32 v5, s15, v5
	v_not_b32_e32 v28, v1
	v_xor_b32_e32 v6, s16, v6
	v_xor_b32_e32 v7, s17, v7
	v_cmp_gt_i32_e32 vcc_lo, 0, v29
	v_ashrrev_i32_e32 v3, 31, v3
	v_bitop3_b32 v0, v0, v5, v4 bitop3:0x80
	v_cmp_gt_i32_e64 s13, 0, v1
	v_ashrrev_i32_e32 v1, 31, v28
	ds_load_b32 v29, v31 offset:32
	v_xor_b32_e32 v2, vcc_lo, v3
	v_bitop3_b32 v0, v0, v7, v6 bitop3:0x80
	v_xor_b32_e32 v1, s13, v1
	; wave barrier
	s_delay_alu instid0(VALU_DEP_1) | instskip(NEXT) | instid1(VALU_DEP_1)
	v_bitop3_b32 v0, v0, v1, v2 bitop3:0x80
	v_mbcnt_lo_u32_b32 v30, v0, 0
	v_cmp_ne_u32_e64 s13, 0, v0
	s_delay_alu instid0(VALU_DEP_2) | instskip(SKIP_1) | instid1(SALU_CYCLE_1)
	v_cmp_eq_u32_e32 vcc_lo, 0, v30
	s_and_b32 s14, s13, vcc_lo
	s_and_saveexec_b32 s13, s14
	s_cbranch_execz .LBB502_12
; %bb.11:                               ;   in Loop: Header=BB502_6 Depth=1
	s_wait_dscnt 0x0
	v_bcnt_u32_b32 v0, v0, v29
	ds_store_b32 v31, v0 offset:32
.LBB502_12:                             ;   in Loop: Header=BB502_6 Depth=1
	s_or_b32 exec_lo, exec_lo, s13
	v_lshrrev_b32_e32 v28, 16, v21
	; wave barrier
	s_delay_alu instid0(VALU_DEP_1) | instskip(NEXT) | instid1(VALU_DEP_1)
	v_lshrrev_b32_e32 v0, s22, v28
	v_and_b32_e32 v1, s28, v0
	s_delay_alu instid0(VALU_DEP_1) | instskip(SKIP_3) | instid1(VALU_DEP_3)
	v_lshlrev_b32_e32 v2, 5, v1
	v_bitop3_b32 v0, v0, 1, s28 bitop3:0x80
	v_dual_lshlrev_b32 v4, 30, v1 :: v_dual_lshlrev_b32 v5, 29, v1
	v_dual_lshlrev_b32 v6, 28, v1 :: v_dual_lshlrev_b32 v7, 27, v1
	v_add_co_u32 v0, s13, v0, -1
	s_delay_alu instid0(VALU_DEP_1) | instskip(SKIP_3) | instid1(VALU_DEP_4)
	v_cndmask_b32_e64 v3, 0, 1, s13
	v_dual_lshlrev_b32 v32, 26, v1 :: v_dual_lshlrev_b32 v33, 25, v1
	v_cmp_gt_i32_e64 s13, 0, v4
	v_cmp_gt_i32_e64 s14, 0, v5
	v_cmp_ne_u32_e32 vcc_lo, 0, v3
	v_not_b32_e32 v3, v4
	v_lshlrev_b32_e32 v1, 24, v1
	v_not_b32_e32 v4, v5
	v_not_b32_e32 v5, v6
	v_cmp_gt_i32_e64 s15, 0, v6
	v_ashrrev_i32_e32 v3, 31, v3
	v_cmp_gt_i32_e64 s16, 0, v7
	v_not_b32_e32 v6, v7
	v_not_b32_e32 v7, v32
	v_dual_ashrrev_i32 v5, 31, v5 :: v_dual_bitop2_b32 v0, vcc_lo, v0 bitop3:0x14
	v_dual_ashrrev_i32 v4, 31, v4 :: v_dual_bitop2_b32 v3, s13, v3 bitop3:0x14
	v_cmp_gt_i32_e64 s17, 0, v32
	s_delay_alu instid0(VALU_DEP_4)
	v_dual_ashrrev_i32 v6, 31, v6 :: v_dual_ashrrev_i32 v7, 31, v7
	v_not_b32_e32 v32, v1
	v_xor_b32_e32 v5, s15, v5
	v_bitop3_b32 v0, v0, v3, exec_lo bitop3:0x80
	v_not_b32_e32 v3, v33
	v_xor_b32_e32 v4, s14, v4
	v_xor_b32_e32 v6, s16, v6
	v_dual_add_nc_u32 v34, v16, v2 :: v_dual_bitop2_b32 v7, s17, v7 bitop3:0x14
	v_cmp_gt_i32_e32 vcc_lo, 0, v33
	v_ashrrev_i32_e32 v3, 31, v3
	v_cmp_gt_i32_e64 s13, 0, v1
	v_ashrrev_i32_e32 v1, 31, v32
	v_bitop3_b32 v0, v0, v5, v4 bitop3:0x80
	ds_load_b32 v32, v34 offset:32
	v_xor_b32_e32 v2, vcc_lo, v3
	v_xor_b32_e32 v1, s13, v1
	v_bitop3_b32 v0, v0, v7, v6 bitop3:0x80
	; wave barrier
	s_delay_alu instid0(VALU_DEP_1) | instskip(NEXT) | instid1(VALU_DEP_1)
	v_bitop3_b32 v0, v0, v1, v2 bitop3:0x80
	v_mbcnt_lo_u32_b32 v33, v0, 0
	v_cmp_ne_u32_e64 s13, 0, v0
	s_delay_alu instid0(VALU_DEP_2) | instskip(SKIP_1) | instid1(SALU_CYCLE_1)
	v_cmp_eq_u32_e32 vcc_lo, 0, v33
	s_and_b32 s14, s13, vcc_lo
	s_and_saveexec_b32 s13, s14
	s_cbranch_execz .LBB502_14
; %bb.13:                               ;   in Loop: Header=BB502_6 Depth=1
	s_wait_dscnt 0x0
	v_bcnt_u32_b32 v0, v0, v32
	ds_store_b32 v34, v0 offset:32
.LBB502_14:                             ;   in Loop: Header=BB502_6 Depth=1
	s_or_b32 exec_lo, exec_lo, s13
	; wave barrier
	s_wait_dscnt 0x0
	s_barrier_signal -1
	s_barrier_wait -1
	ds_load_2addr_b64 v[4:7], v13 offset0:4 offset1:5
	ds_load_2addr_b64 v[0:3], v13 offset0:6 offset1:7
	s_wait_dscnt 0x1
	v_add_nc_u32_e32 v35, v5, v4
	s_delay_alu instid0(VALU_DEP_1) | instskip(SKIP_1) | instid1(VALU_DEP_1)
	v_add3_u32 v35, v35, v6, v7
	s_wait_dscnt 0x0
	v_add3_u32 v35, v35, v0, v1
	s_delay_alu instid0(VALU_DEP_1) | instskip(NEXT) | instid1(VALU_DEP_1)
	v_add3_u32 v3, v35, v2, v3
	v_mov_b32_dpp v35, v3 row_shr:1 row_mask:0xf bank_mask:0xf
	s_delay_alu instid0(VALU_DEP_1) | instskip(NEXT) | instid1(VALU_DEP_1)
	v_cndmask_b32_e64 v35, v35, 0, s4
	v_add_nc_u32_e32 v3, v35, v3
	s_delay_alu instid0(VALU_DEP_1) | instskip(NEXT) | instid1(VALU_DEP_1)
	v_mov_b32_dpp v35, v3 row_shr:2 row_mask:0xf bank_mask:0xf
	v_cndmask_b32_e64 v35, 0, v35, s5
	s_delay_alu instid0(VALU_DEP_1) | instskip(NEXT) | instid1(VALU_DEP_1)
	v_add_nc_u32_e32 v3, v3, v35
	v_mov_b32_dpp v35, v3 row_shr:4 row_mask:0xf bank_mask:0xf
	s_delay_alu instid0(VALU_DEP_1) | instskip(NEXT) | instid1(VALU_DEP_1)
	v_cndmask_b32_e64 v35, 0, v35, s6
	v_add_nc_u32_e32 v3, v3, v35
	s_delay_alu instid0(VALU_DEP_1) | instskip(NEXT) | instid1(VALU_DEP_1)
	v_mov_b32_dpp v35, v3 row_shr:8 row_mask:0xf bank_mask:0xf
	v_cndmask_b32_e64 v35, 0, v35, s7
	s_delay_alu instid0(VALU_DEP_1) | instskip(SKIP_3) | instid1(VALU_DEP_1)
	v_add_nc_u32_e32 v3, v3, v35
	ds_swizzle_b32 v35, v3 offset:swizzle(BROADCAST,32,15)
	s_wait_dscnt 0x0
	v_cndmask_b32_e64 v35, v35, 0, s8
	v_add_nc_u32_e32 v3, v3, v35
	s_and_saveexec_b32 s13, s11
; %bb.15:                               ;   in Loop: Header=BB502_6 Depth=1
	ds_store_b32 v14, v3
; %bb.16:                               ;   in Loop: Header=BB502_6 Depth=1
	s_or_b32 exec_lo, exec_lo, s13
	s_wait_dscnt 0x0
	s_barrier_signal -1
	s_barrier_wait -1
	s_and_saveexec_b32 s13, s0
	s_cbranch_execz .LBB502_18
; %bb.17:                               ;   in Loop: Header=BB502_6 Depth=1
	ds_load_b32 v35, v19
	s_wait_dscnt 0x0
	v_mov_b32_dpp v36, v35 row_shr:1 row_mask:0xf bank_mask:0xf
	s_delay_alu instid0(VALU_DEP_1) | instskip(NEXT) | instid1(VALU_DEP_1)
	v_cndmask_b32_e64 v36, v36, 0, s9
	v_add_nc_u32_e32 v35, v36, v35
	s_delay_alu instid0(VALU_DEP_1) | instskip(NEXT) | instid1(VALU_DEP_1)
	v_mov_b32_dpp v36, v35 row_shr:2 row_mask:0xf bank_mask:0xf
	v_cndmask_b32_e64 v36, 0, v36, s10
	s_delay_alu instid0(VALU_DEP_1) | instskip(NEXT) | instid1(VALU_DEP_1)
	v_add_nc_u32_e32 v35, v35, v36
	v_mov_b32_dpp v36, v35 row_shr:4 row_mask:0xf bank_mask:0xf
	s_delay_alu instid0(VALU_DEP_1) | instskip(NEXT) | instid1(VALU_DEP_1)
	v_cndmask_b32_e64 v36, 0, v36, s12
	v_add_nc_u32_e32 v35, v35, v36
	ds_store_b32 v19, v35
.LBB502_18:                             ;   in Loop: Header=BB502_6 Depth=1
	s_or_b32 exec_lo, exec_lo, s13
	v_mov_b32_e32 v35, 0
	s_wait_dscnt 0x0
	s_barrier_signal -1
	s_barrier_wait -1
	s_and_saveexec_b32 s13, s1
; %bb.19:                               ;   in Loop: Header=BB502_6 Depth=1
	ds_load_b32 v35, v17
; %bb.20:                               ;   in Loop: Header=BB502_6 Depth=1
	s_or_b32 exec_lo, exec_lo, s13
	s_wait_dscnt 0x0
	v_add_nc_u32_e32 v3, v35, v3
	s_add_co_i32 s22, s22, 8
	s_mov_b32 s13, -1
	s_cmp_ge_u32 s22, s27
	ds_bpermute_b32 v3, v15, v3
	s_wait_dscnt 0x0
	v_cndmask_b32_e64 v3, v3, v35, s2
	s_delay_alu instid0(VALU_DEP_1) | instskip(NEXT) | instid1(VALU_DEP_1)
	v_cndmask_b32_e64 v36, v3, 0, s3
	v_add_nc_u32_e32 v37, v36, v4
	s_delay_alu instid0(VALU_DEP_1) | instskip(NEXT) | instid1(VALU_DEP_1)
	v_add_nc_u32_e32 v4, v37, v5
	v_add_nc_u32_e32 v5, v4, v6
	s_delay_alu instid0(VALU_DEP_1) | instskip(NEXT) | instid1(VALU_DEP_1)
	v_add_nc_u32_e32 v6, v5, v7
	;; [unrolled: 3-line block ×3, first 2 shown]
	v_add_nc_u32_e32 v1, v0, v2
	ds_store_2addr_b64 v13, v[36:37], v[4:5] offset0:4 offset1:5
	ds_store_2addr_b64 v13, v[6:7], v[0:1] offset0:6 offset1:7
	s_wait_dscnt 0x0
	s_barrier_signal -1
	s_barrier_wait -1
	ds_load_b32 v0, v26 offset:32
	ds_load_b32 v2, v31 offset:32
	;; [unrolled: 1-line block ×4, first 2 shown]
	v_dual_mov_b32 v1, v20 :: v_dual_lshlrev_b32 v6, 1, v27
	v_dual_lshlrev_b32 v5, 1, v23 :: v_dual_lshlrev_b32 v7, 1, v25
	v_dual_lshlrev_b32 v23, 1, v30 :: v_dual_lshlrev_b32 v24, 1, v29
	;; [unrolled: 1-line block ×3, first 2 shown]
	s_wait_dscnt 0x0
	v_dual_lshlrev_b32 v0, 1, v0 :: v_dual_lshlrev_b32 v27, 1, v2
	v_lshlrev_b32_e32 v29, 1, v3
	v_lshl_add_u32 v2, v4, 1, v5
	s_delay_alu instid0(VALU_DEP_3) | instskip(NEXT) | instid1(VALU_DEP_4)
	v_add3_u32 v3, v6, v7, v0
	v_add3_u32 v4, v23, v24, v27
	s_delay_alu instid0(VALU_DEP_4)
	v_add3_u32 v5, v25, v26, v29
                                        ; implicit-def: $vgpr0
	s_cbranch_scc1 .LBB502_5
; %bb.21:                               ;   in Loop: Header=BB502_6 Depth=1
	s_barrier_signal -1
	s_barrier_wait -1
	ds_store_b16 v2, v20
	ds_store_b16 v3, v22
	;; [unrolled: 1-line block ×4, first 2 shown]
	s_wait_dscnt 0x0
	s_barrier_signal -1
	s_barrier_wait -1
	ds_load_u16 v0, v18
	ds_load_u16 v6, v18 offset:64
	ds_load_u16 v7, v18 offset:128
	;; [unrolled: 1-line block ×3, first 2 shown]
	s_add_co_i32 s23, s23, -8
	s_mov_b32 s13, 0
	s_wait_dscnt 0x0
	s_barrier_signal -1
	s_barrier_wait -1
	v_perm_b32 v20, v6, v0, 0x5040100
	v_perm_b32 v0, v23, v7, 0x5040100
	s_branch .LBB502_5
.LBB502_22:
	v_lshlrev_b32_e32 v0, 1, v12
	s_barrier_signal -1
	s_barrier_wait -1
	ds_store_b16 v2, v1
	ds_store_b16 v3, v22
	;; [unrolled: 1-line block ×4, first 2 shown]
	s_wait_dscnt 0x0
	s_barrier_signal -1
	s_barrier_wait -1
	v_mov_b32_e32 v1, 0
	ds_load_u16 v3, v0
	ds_load_u16 v4, v0 offset:512
	ds_load_u16 v6, v0 offset:1024
	;; [unrolled: 1-line block ×3, first 2 shown]
	s_add_nc_u64 s[0:1], s[18:19], s[20:21]
	s_and_not1_b32 vcc_lo, exec_lo, s25
	v_add_nc_u64_e32 v[0:1], s[0:1], v[0:1]
	s_wait_dscnt 0x3
	v_xor_b32_e32 v5, 0x7fff, v3
	s_wait_dscnt 0x2
	v_xor_b32_e32 v4, 0x7fff, v4
	;; [unrolled: 2-line block ×3, first 2 shown]
	s_cbranch_vccnz .LBB502_32
; %bb.23:
	s_mov_b32 s0, -1
	s_clause 0x2
	global_store_b16 v[0:1], v5, off
	global_store_b16 v[0:1], v4, off offset:512
	global_store_b16 v[0:1], v3, off offset:1024
	s_cbranch_execz .LBB502_33
	s_branch .LBB502_40
.LBB502_24:
	s_clause 0x2
	global_load_u16 v3, v[6:7], off
	global_load_u16 v4, v[6:7], off offset:64
	global_load_u16 v5, v[6:7], off offset:128
	s_mov_b32 s3, -1
	s_wait_loadcnt 0x1
	v_perm_b32 v4, v4, v3, 0x5040100
	s_load_b64 s[22:23], s[0:1], 0x28
	s_sub_co_i32 s24, s4, s2
	s_cbranch_execnz .LBB502_2
.LBB502_25:
	v_mov_b32_e32 v4, 0x80008000
	v_or_b32_e32 v3, v1, v8
	s_mov_b32 s2, exec_lo
	s_wait_loadcnt 0x0
	s_delay_alu instid0(VALU_DEP_2) | instskip(NEXT) | instid1(VALU_DEP_2)
	v_mov_b32_e32 v5, v4
	v_cmpx_gt_u32_e64 s24, v3
	s_cbranch_execz .LBB502_27
; %bb.26:
	global_load_u16 v5, v[6:7], off
	s_movk_i32 s3, 0x8000
	v_mov_b32_e32 v9, v4
	s_wait_loadcnt 0x0
	v_perm_b32 v8, s3, v5, 0x5040100
	s_delay_alu instid0(VALU_DEP_1)
	v_mov_b64_e32 v[4:5], v[8:9]
.LBB502_27:
	s_or_b32 exec_lo, exec_lo, s2
	v_or_b32_e32 v8, 32, v3
	s_mov_b32 s2, exec_lo
	s_delay_alu instid0(VALU_DEP_1)
	v_cmpx_gt_u32_e64 s24, v8
	s_cbranch_execz .LBB502_29
; %bb.28:
	global_load_u16 v8, v[6:7], off offset:64
	s_wait_loadcnt 0x0
	v_perm_b32 v4, v8, v4, 0x5040100
.LBB502_29:
	s_or_b32 exec_lo, exec_lo, s2
	v_or_b32_e32 v8, 64, v3
	s_mov_b32 s2, exec_lo
	s_delay_alu instid0(VALU_DEP_1)
	v_cmpx_gt_u32_e64 s24, v8
	s_cbranch_execz .LBB502_31
; %bb.30:
	global_load_u16 v8, v[6:7], off offset:128
	s_wait_loadcnt 0x0
	v_bfi_b32 v5, 0xffff, v8, v5
.LBB502_31:
	s_or_b32 exec_lo, exec_lo, s2
	v_or_b32_e32 v3, 0x60, v3
	s_delay_alu instid0(VALU_DEP_1)
	v_cmp_gt_u32_e64 s3, s24, v3
	s_and_saveexec_b32 s2, s3
	s_cbranch_execnz .LBB502_3
	s_branch .LBB502_4
.LBB502_32:
	s_mov_b32 s0, 0
.LBB502_33:
	s_mov_b32 s0, exec_lo
	s_wait_xcnt 0x0
	v_cmpx_gt_u32_e64 s24, v12
	s_cbranch_execz .LBB502_35
; %bb.34:
	global_store_b16 v[0:1], v5, off
.LBB502_35:
	s_wait_xcnt 0x0
	s_or_b32 exec_lo, exec_lo, s0
	v_add_nc_u32_e32 v5, 0x100, v12
	s_mov_b32 s0, exec_lo
	s_delay_alu instid0(VALU_DEP_1)
	v_cmpx_gt_u32_e64 s24, v5
	s_cbranch_execz .LBB502_37
; %bb.36:
	global_store_b16 v[0:1], v4, off offset:512
.LBB502_37:
	s_wait_xcnt 0x0
	s_or_b32 exec_lo, exec_lo, s0
	v_add_nc_u32_e32 v4, 0x200, v12
	s_mov_b32 s0, exec_lo
	s_delay_alu instid0(VALU_DEP_1)
	v_cmpx_gt_u32_e64 s24, v4
	s_cbranch_execz .LBB502_39
; %bb.38:
	global_store_b16 v[0:1], v3, off offset:1024
.LBB502_39:
	s_wait_xcnt 0x0
	s_or_b32 exec_lo, exec_lo, s0
	v_add_nc_u32_e32 v3, 0x300, v12
	s_delay_alu instid0(VALU_DEP_1)
	v_cmp_gt_u32_e64 s0, s24, v3
.LBB502_40:
	s_wait_xcnt 0x0
	s_delay_alu instid0(VALU_DEP_1)
	s_and_saveexec_b32 s1, s0
	s_cbranch_execnz .LBB502_42
; %bb.41:
	s_endpgm
.LBB502_42:
	s_wait_dscnt 0x0
	v_xor_b32_e32 v2, 0x7fff, v2
	global_store_b16 v[0:1], v2, off offset:1536
	s_endpgm
	.section	.rodata,"a",@progbits
	.p2align	6, 0x0
	.amdhsa_kernel _ZN7rocprim17ROCPRIM_400000_NS6detail17trampoline_kernelINS0_13kernel_configILj256ELj4ELj4294967295EEENS1_37radix_sort_block_sort_config_selectorIsNS0_10empty_typeEEEZNS1_21radix_sort_block_sortIS4_Lb1EPKsPsPS6_SC_NS0_19identity_decomposerEEE10hipError_tT1_T2_T3_T4_jRjT5_jjP12ihipStream_tbEUlT_E_NS1_11comp_targetILNS1_3genE0ELNS1_11target_archE4294967295ELNS1_3gpuE0ELNS1_3repE0EEENS1_44radix_sort_block_sort_config_static_selectorELNS0_4arch9wavefront6targetE0EEEvSF_
		.amdhsa_group_segment_fixed_size 8224
		.amdhsa_private_segment_fixed_size 0
		.amdhsa_kernarg_size 304
		.amdhsa_user_sgpr_count 2
		.amdhsa_user_sgpr_dispatch_ptr 0
		.amdhsa_user_sgpr_queue_ptr 0
		.amdhsa_user_sgpr_kernarg_segment_ptr 1
		.amdhsa_user_sgpr_dispatch_id 0
		.amdhsa_user_sgpr_kernarg_preload_length 0
		.amdhsa_user_sgpr_kernarg_preload_offset 0
		.amdhsa_user_sgpr_private_segment_size 0
		.amdhsa_wavefront_size32 1
		.amdhsa_uses_dynamic_stack 0
		.amdhsa_enable_private_segment 0
		.amdhsa_system_sgpr_workgroup_id_x 1
		.amdhsa_system_sgpr_workgroup_id_y 0
		.amdhsa_system_sgpr_workgroup_id_z 0
		.amdhsa_system_sgpr_workgroup_info 0
		.amdhsa_system_vgpr_workitem_id 2
		.amdhsa_next_free_vgpr 38
		.amdhsa_next_free_sgpr 29
		.amdhsa_named_barrier_count 0
		.amdhsa_reserve_vcc 1
		.amdhsa_float_round_mode_32 0
		.amdhsa_float_round_mode_16_64 0
		.amdhsa_float_denorm_mode_32 3
		.amdhsa_float_denorm_mode_16_64 3
		.amdhsa_fp16_overflow 0
		.amdhsa_memory_ordered 1
		.amdhsa_forward_progress 1
		.amdhsa_inst_pref_size 29
		.amdhsa_round_robin_scheduling 0
		.amdhsa_exception_fp_ieee_invalid_op 0
		.amdhsa_exception_fp_denorm_src 0
		.amdhsa_exception_fp_ieee_div_zero 0
		.amdhsa_exception_fp_ieee_overflow 0
		.amdhsa_exception_fp_ieee_underflow 0
		.amdhsa_exception_fp_ieee_inexact 0
		.amdhsa_exception_int_div_zero 0
	.end_amdhsa_kernel
	.section	.text._ZN7rocprim17ROCPRIM_400000_NS6detail17trampoline_kernelINS0_13kernel_configILj256ELj4ELj4294967295EEENS1_37radix_sort_block_sort_config_selectorIsNS0_10empty_typeEEEZNS1_21radix_sort_block_sortIS4_Lb1EPKsPsPS6_SC_NS0_19identity_decomposerEEE10hipError_tT1_T2_T3_T4_jRjT5_jjP12ihipStream_tbEUlT_E_NS1_11comp_targetILNS1_3genE0ELNS1_11target_archE4294967295ELNS1_3gpuE0ELNS1_3repE0EEENS1_44radix_sort_block_sort_config_static_selectorELNS0_4arch9wavefront6targetE0EEEvSF_,"axG",@progbits,_ZN7rocprim17ROCPRIM_400000_NS6detail17trampoline_kernelINS0_13kernel_configILj256ELj4ELj4294967295EEENS1_37radix_sort_block_sort_config_selectorIsNS0_10empty_typeEEEZNS1_21radix_sort_block_sortIS4_Lb1EPKsPsPS6_SC_NS0_19identity_decomposerEEE10hipError_tT1_T2_T3_T4_jRjT5_jjP12ihipStream_tbEUlT_E_NS1_11comp_targetILNS1_3genE0ELNS1_11target_archE4294967295ELNS1_3gpuE0ELNS1_3repE0EEENS1_44radix_sort_block_sort_config_static_selectorELNS0_4arch9wavefront6targetE0EEEvSF_,comdat
.Lfunc_end502:
	.size	_ZN7rocprim17ROCPRIM_400000_NS6detail17trampoline_kernelINS0_13kernel_configILj256ELj4ELj4294967295EEENS1_37radix_sort_block_sort_config_selectorIsNS0_10empty_typeEEEZNS1_21radix_sort_block_sortIS4_Lb1EPKsPsPS6_SC_NS0_19identity_decomposerEEE10hipError_tT1_T2_T3_T4_jRjT5_jjP12ihipStream_tbEUlT_E_NS1_11comp_targetILNS1_3genE0ELNS1_11target_archE4294967295ELNS1_3gpuE0ELNS1_3repE0EEENS1_44radix_sort_block_sort_config_static_selectorELNS0_4arch9wavefront6targetE0EEEvSF_, .Lfunc_end502-_ZN7rocprim17ROCPRIM_400000_NS6detail17trampoline_kernelINS0_13kernel_configILj256ELj4ELj4294967295EEENS1_37radix_sort_block_sort_config_selectorIsNS0_10empty_typeEEEZNS1_21radix_sort_block_sortIS4_Lb1EPKsPsPS6_SC_NS0_19identity_decomposerEEE10hipError_tT1_T2_T3_T4_jRjT5_jjP12ihipStream_tbEUlT_E_NS1_11comp_targetILNS1_3genE0ELNS1_11target_archE4294967295ELNS1_3gpuE0ELNS1_3repE0EEENS1_44radix_sort_block_sort_config_static_selectorELNS0_4arch9wavefront6targetE0EEEvSF_
                                        ; -- End function
	.set _ZN7rocprim17ROCPRIM_400000_NS6detail17trampoline_kernelINS0_13kernel_configILj256ELj4ELj4294967295EEENS1_37radix_sort_block_sort_config_selectorIsNS0_10empty_typeEEEZNS1_21radix_sort_block_sortIS4_Lb1EPKsPsPS6_SC_NS0_19identity_decomposerEEE10hipError_tT1_T2_T3_T4_jRjT5_jjP12ihipStream_tbEUlT_E_NS1_11comp_targetILNS1_3genE0ELNS1_11target_archE4294967295ELNS1_3gpuE0ELNS1_3repE0EEENS1_44radix_sort_block_sort_config_static_selectorELNS0_4arch9wavefront6targetE0EEEvSF_.num_vgpr, 38
	.set _ZN7rocprim17ROCPRIM_400000_NS6detail17trampoline_kernelINS0_13kernel_configILj256ELj4ELj4294967295EEENS1_37radix_sort_block_sort_config_selectorIsNS0_10empty_typeEEEZNS1_21radix_sort_block_sortIS4_Lb1EPKsPsPS6_SC_NS0_19identity_decomposerEEE10hipError_tT1_T2_T3_T4_jRjT5_jjP12ihipStream_tbEUlT_E_NS1_11comp_targetILNS1_3genE0ELNS1_11target_archE4294967295ELNS1_3gpuE0ELNS1_3repE0EEENS1_44radix_sort_block_sort_config_static_selectorELNS0_4arch9wavefront6targetE0EEEvSF_.num_agpr, 0
	.set _ZN7rocprim17ROCPRIM_400000_NS6detail17trampoline_kernelINS0_13kernel_configILj256ELj4ELj4294967295EEENS1_37radix_sort_block_sort_config_selectorIsNS0_10empty_typeEEEZNS1_21radix_sort_block_sortIS4_Lb1EPKsPsPS6_SC_NS0_19identity_decomposerEEE10hipError_tT1_T2_T3_T4_jRjT5_jjP12ihipStream_tbEUlT_E_NS1_11comp_targetILNS1_3genE0ELNS1_11target_archE4294967295ELNS1_3gpuE0ELNS1_3repE0EEENS1_44radix_sort_block_sort_config_static_selectorELNS0_4arch9wavefront6targetE0EEEvSF_.numbered_sgpr, 29
	.set _ZN7rocprim17ROCPRIM_400000_NS6detail17trampoline_kernelINS0_13kernel_configILj256ELj4ELj4294967295EEENS1_37radix_sort_block_sort_config_selectorIsNS0_10empty_typeEEEZNS1_21radix_sort_block_sortIS4_Lb1EPKsPsPS6_SC_NS0_19identity_decomposerEEE10hipError_tT1_T2_T3_T4_jRjT5_jjP12ihipStream_tbEUlT_E_NS1_11comp_targetILNS1_3genE0ELNS1_11target_archE4294967295ELNS1_3gpuE0ELNS1_3repE0EEENS1_44radix_sort_block_sort_config_static_selectorELNS0_4arch9wavefront6targetE0EEEvSF_.num_named_barrier, 0
	.set _ZN7rocprim17ROCPRIM_400000_NS6detail17trampoline_kernelINS0_13kernel_configILj256ELj4ELj4294967295EEENS1_37radix_sort_block_sort_config_selectorIsNS0_10empty_typeEEEZNS1_21radix_sort_block_sortIS4_Lb1EPKsPsPS6_SC_NS0_19identity_decomposerEEE10hipError_tT1_T2_T3_T4_jRjT5_jjP12ihipStream_tbEUlT_E_NS1_11comp_targetILNS1_3genE0ELNS1_11target_archE4294967295ELNS1_3gpuE0ELNS1_3repE0EEENS1_44radix_sort_block_sort_config_static_selectorELNS0_4arch9wavefront6targetE0EEEvSF_.private_seg_size, 0
	.set _ZN7rocprim17ROCPRIM_400000_NS6detail17trampoline_kernelINS0_13kernel_configILj256ELj4ELj4294967295EEENS1_37radix_sort_block_sort_config_selectorIsNS0_10empty_typeEEEZNS1_21radix_sort_block_sortIS4_Lb1EPKsPsPS6_SC_NS0_19identity_decomposerEEE10hipError_tT1_T2_T3_T4_jRjT5_jjP12ihipStream_tbEUlT_E_NS1_11comp_targetILNS1_3genE0ELNS1_11target_archE4294967295ELNS1_3gpuE0ELNS1_3repE0EEENS1_44radix_sort_block_sort_config_static_selectorELNS0_4arch9wavefront6targetE0EEEvSF_.uses_vcc, 1
	.set _ZN7rocprim17ROCPRIM_400000_NS6detail17trampoline_kernelINS0_13kernel_configILj256ELj4ELj4294967295EEENS1_37radix_sort_block_sort_config_selectorIsNS0_10empty_typeEEEZNS1_21radix_sort_block_sortIS4_Lb1EPKsPsPS6_SC_NS0_19identity_decomposerEEE10hipError_tT1_T2_T3_T4_jRjT5_jjP12ihipStream_tbEUlT_E_NS1_11comp_targetILNS1_3genE0ELNS1_11target_archE4294967295ELNS1_3gpuE0ELNS1_3repE0EEENS1_44radix_sort_block_sort_config_static_selectorELNS0_4arch9wavefront6targetE0EEEvSF_.uses_flat_scratch, 0
	.set _ZN7rocprim17ROCPRIM_400000_NS6detail17trampoline_kernelINS0_13kernel_configILj256ELj4ELj4294967295EEENS1_37radix_sort_block_sort_config_selectorIsNS0_10empty_typeEEEZNS1_21radix_sort_block_sortIS4_Lb1EPKsPsPS6_SC_NS0_19identity_decomposerEEE10hipError_tT1_T2_T3_T4_jRjT5_jjP12ihipStream_tbEUlT_E_NS1_11comp_targetILNS1_3genE0ELNS1_11target_archE4294967295ELNS1_3gpuE0ELNS1_3repE0EEENS1_44radix_sort_block_sort_config_static_selectorELNS0_4arch9wavefront6targetE0EEEvSF_.has_dyn_sized_stack, 0
	.set _ZN7rocprim17ROCPRIM_400000_NS6detail17trampoline_kernelINS0_13kernel_configILj256ELj4ELj4294967295EEENS1_37radix_sort_block_sort_config_selectorIsNS0_10empty_typeEEEZNS1_21radix_sort_block_sortIS4_Lb1EPKsPsPS6_SC_NS0_19identity_decomposerEEE10hipError_tT1_T2_T3_T4_jRjT5_jjP12ihipStream_tbEUlT_E_NS1_11comp_targetILNS1_3genE0ELNS1_11target_archE4294967295ELNS1_3gpuE0ELNS1_3repE0EEENS1_44radix_sort_block_sort_config_static_selectorELNS0_4arch9wavefront6targetE0EEEvSF_.has_recursion, 0
	.set _ZN7rocprim17ROCPRIM_400000_NS6detail17trampoline_kernelINS0_13kernel_configILj256ELj4ELj4294967295EEENS1_37radix_sort_block_sort_config_selectorIsNS0_10empty_typeEEEZNS1_21radix_sort_block_sortIS4_Lb1EPKsPsPS6_SC_NS0_19identity_decomposerEEE10hipError_tT1_T2_T3_T4_jRjT5_jjP12ihipStream_tbEUlT_E_NS1_11comp_targetILNS1_3genE0ELNS1_11target_archE4294967295ELNS1_3gpuE0ELNS1_3repE0EEENS1_44radix_sort_block_sort_config_static_selectorELNS0_4arch9wavefront6targetE0EEEvSF_.has_indirect_call, 0
	.section	.AMDGPU.csdata,"",@progbits
; Kernel info:
; codeLenInByte = 3636
; TotalNumSgprs: 31
; NumVgprs: 38
; ScratchSize: 0
; MemoryBound: 0
; FloatMode: 240
; IeeeMode: 1
; LDSByteSize: 8224 bytes/workgroup (compile time only)
; SGPRBlocks: 0
; VGPRBlocks: 2
; NumSGPRsForWavesPerEU: 31
; NumVGPRsForWavesPerEU: 38
; NamedBarCnt: 0
; Occupancy: 16
; WaveLimiterHint : 1
; COMPUTE_PGM_RSRC2:SCRATCH_EN: 0
; COMPUTE_PGM_RSRC2:USER_SGPR: 2
; COMPUTE_PGM_RSRC2:TRAP_HANDLER: 0
; COMPUTE_PGM_RSRC2:TGID_X_EN: 1
; COMPUTE_PGM_RSRC2:TGID_Y_EN: 0
; COMPUTE_PGM_RSRC2:TGID_Z_EN: 0
; COMPUTE_PGM_RSRC2:TIDIG_COMP_CNT: 2
	.section	.text._ZN7rocprim17ROCPRIM_400000_NS6detail17trampoline_kernelINS0_13kernel_configILj256ELj4ELj4294967295EEENS1_37radix_sort_block_sort_config_selectorIsNS0_10empty_typeEEEZNS1_21radix_sort_block_sortIS4_Lb1EPKsPsPS6_SC_NS0_19identity_decomposerEEE10hipError_tT1_T2_T3_T4_jRjT5_jjP12ihipStream_tbEUlT_E_NS1_11comp_targetILNS1_3genE5ELNS1_11target_archE942ELNS1_3gpuE9ELNS1_3repE0EEENS1_44radix_sort_block_sort_config_static_selectorELNS0_4arch9wavefront6targetE0EEEvSF_,"axG",@progbits,_ZN7rocprim17ROCPRIM_400000_NS6detail17trampoline_kernelINS0_13kernel_configILj256ELj4ELj4294967295EEENS1_37radix_sort_block_sort_config_selectorIsNS0_10empty_typeEEEZNS1_21radix_sort_block_sortIS4_Lb1EPKsPsPS6_SC_NS0_19identity_decomposerEEE10hipError_tT1_T2_T3_T4_jRjT5_jjP12ihipStream_tbEUlT_E_NS1_11comp_targetILNS1_3genE5ELNS1_11target_archE942ELNS1_3gpuE9ELNS1_3repE0EEENS1_44radix_sort_block_sort_config_static_selectorELNS0_4arch9wavefront6targetE0EEEvSF_,comdat
	.protected	_ZN7rocprim17ROCPRIM_400000_NS6detail17trampoline_kernelINS0_13kernel_configILj256ELj4ELj4294967295EEENS1_37radix_sort_block_sort_config_selectorIsNS0_10empty_typeEEEZNS1_21radix_sort_block_sortIS4_Lb1EPKsPsPS6_SC_NS0_19identity_decomposerEEE10hipError_tT1_T2_T3_T4_jRjT5_jjP12ihipStream_tbEUlT_E_NS1_11comp_targetILNS1_3genE5ELNS1_11target_archE942ELNS1_3gpuE9ELNS1_3repE0EEENS1_44radix_sort_block_sort_config_static_selectorELNS0_4arch9wavefront6targetE0EEEvSF_ ; -- Begin function _ZN7rocprim17ROCPRIM_400000_NS6detail17trampoline_kernelINS0_13kernel_configILj256ELj4ELj4294967295EEENS1_37radix_sort_block_sort_config_selectorIsNS0_10empty_typeEEEZNS1_21radix_sort_block_sortIS4_Lb1EPKsPsPS6_SC_NS0_19identity_decomposerEEE10hipError_tT1_T2_T3_T4_jRjT5_jjP12ihipStream_tbEUlT_E_NS1_11comp_targetILNS1_3genE5ELNS1_11target_archE942ELNS1_3gpuE9ELNS1_3repE0EEENS1_44radix_sort_block_sort_config_static_selectorELNS0_4arch9wavefront6targetE0EEEvSF_
	.globl	_ZN7rocprim17ROCPRIM_400000_NS6detail17trampoline_kernelINS0_13kernel_configILj256ELj4ELj4294967295EEENS1_37radix_sort_block_sort_config_selectorIsNS0_10empty_typeEEEZNS1_21radix_sort_block_sortIS4_Lb1EPKsPsPS6_SC_NS0_19identity_decomposerEEE10hipError_tT1_T2_T3_T4_jRjT5_jjP12ihipStream_tbEUlT_E_NS1_11comp_targetILNS1_3genE5ELNS1_11target_archE942ELNS1_3gpuE9ELNS1_3repE0EEENS1_44radix_sort_block_sort_config_static_selectorELNS0_4arch9wavefront6targetE0EEEvSF_
	.p2align	8
	.type	_ZN7rocprim17ROCPRIM_400000_NS6detail17trampoline_kernelINS0_13kernel_configILj256ELj4ELj4294967295EEENS1_37radix_sort_block_sort_config_selectorIsNS0_10empty_typeEEEZNS1_21radix_sort_block_sortIS4_Lb1EPKsPsPS6_SC_NS0_19identity_decomposerEEE10hipError_tT1_T2_T3_T4_jRjT5_jjP12ihipStream_tbEUlT_E_NS1_11comp_targetILNS1_3genE5ELNS1_11target_archE942ELNS1_3gpuE9ELNS1_3repE0EEENS1_44radix_sort_block_sort_config_static_selectorELNS0_4arch9wavefront6targetE0EEEvSF_,@function
_ZN7rocprim17ROCPRIM_400000_NS6detail17trampoline_kernelINS0_13kernel_configILj256ELj4ELj4294967295EEENS1_37radix_sort_block_sort_config_selectorIsNS0_10empty_typeEEEZNS1_21radix_sort_block_sortIS4_Lb1EPKsPsPS6_SC_NS0_19identity_decomposerEEE10hipError_tT1_T2_T3_T4_jRjT5_jjP12ihipStream_tbEUlT_E_NS1_11comp_targetILNS1_3genE5ELNS1_11target_archE942ELNS1_3gpuE9ELNS1_3repE0EEENS1_44radix_sort_block_sort_config_static_selectorELNS0_4arch9wavefront6targetE0EEEvSF_: ; @_ZN7rocprim17ROCPRIM_400000_NS6detail17trampoline_kernelINS0_13kernel_configILj256ELj4ELj4294967295EEENS1_37radix_sort_block_sort_config_selectorIsNS0_10empty_typeEEEZNS1_21radix_sort_block_sortIS4_Lb1EPKsPsPS6_SC_NS0_19identity_decomposerEEE10hipError_tT1_T2_T3_T4_jRjT5_jjP12ihipStream_tbEUlT_E_NS1_11comp_targetILNS1_3genE5ELNS1_11target_archE942ELNS1_3gpuE9ELNS1_3repE0EEENS1_44radix_sort_block_sort_config_static_selectorELNS0_4arch9wavefront6targetE0EEEvSF_
; %bb.0:
	.section	.rodata,"a",@progbits
	.p2align	6, 0x0
	.amdhsa_kernel _ZN7rocprim17ROCPRIM_400000_NS6detail17trampoline_kernelINS0_13kernel_configILj256ELj4ELj4294967295EEENS1_37radix_sort_block_sort_config_selectorIsNS0_10empty_typeEEEZNS1_21radix_sort_block_sortIS4_Lb1EPKsPsPS6_SC_NS0_19identity_decomposerEEE10hipError_tT1_T2_T3_T4_jRjT5_jjP12ihipStream_tbEUlT_E_NS1_11comp_targetILNS1_3genE5ELNS1_11target_archE942ELNS1_3gpuE9ELNS1_3repE0EEENS1_44radix_sort_block_sort_config_static_selectorELNS0_4arch9wavefront6targetE0EEEvSF_
		.amdhsa_group_segment_fixed_size 0
		.amdhsa_private_segment_fixed_size 0
		.amdhsa_kernarg_size 48
		.amdhsa_user_sgpr_count 2
		.amdhsa_user_sgpr_dispatch_ptr 0
		.amdhsa_user_sgpr_queue_ptr 0
		.amdhsa_user_sgpr_kernarg_segment_ptr 1
		.amdhsa_user_sgpr_dispatch_id 0
		.amdhsa_user_sgpr_kernarg_preload_length 0
		.amdhsa_user_sgpr_kernarg_preload_offset 0
		.amdhsa_user_sgpr_private_segment_size 0
		.amdhsa_wavefront_size32 1
		.amdhsa_uses_dynamic_stack 0
		.amdhsa_enable_private_segment 0
		.amdhsa_system_sgpr_workgroup_id_x 1
		.amdhsa_system_sgpr_workgroup_id_y 0
		.amdhsa_system_sgpr_workgroup_id_z 0
		.amdhsa_system_sgpr_workgroup_info 0
		.amdhsa_system_vgpr_workitem_id 0
		.amdhsa_next_free_vgpr 1
		.amdhsa_next_free_sgpr 1
		.amdhsa_named_barrier_count 0
		.amdhsa_reserve_vcc 0
		.amdhsa_float_round_mode_32 0
		.amdhsa_float_round_mode_16_64 0
		.amdhsa_float_denorm_mode_32 3
		.amdhsa_float_denorm_mode_16_64 3
		.amdhsa_fp16_overflow 0
		.amdhsa_memory_ordered 1
		.amdhsa_forward_progress 1
		.amdhsa_inst_pref_size 0
		.amdhsa_round_robin_scheduling 0
		.amdhsa_exception_fp_ieee_invalid_op 0
		.amdhsa_exception_fp_denorm_src 0
		.amdhsa_exception_fp_ieee_div_zero 0
		.amdhsa_exception_fp_ieee_overflow 0
		.amdhsa_exception_fp_ieee_underflow 0
		.amdhsa_exception_fp_ieee_inexact 0
		.amdhsa_exception_int_div_zero 0
	.end_amdhsa_kernel
	.section	.text._ZN7rocprim17ROCPRIM_400000_NS6detail17trampoline_kernelINS0_13kernel_configILj256ELj4ELj4294967295EEENS1_37radix_sort_block_sort_config_selectorIsNS0_10empty_typeEEEZNS1_21radix_sort_block_sortIS4_Lb1EPKsPsPS6_SC_NS0_19identity_decomposerEEE10hipError_tT1_T2_T3_T4_jRjT5_jjP12ihipStream_tbEUlT_E_NS1_11comp_targetILNS1_3genE5ELNS1_11target_archE942ELNS1_3gpuE9ELNS1_3repE0EEENS1_44radix_sort_block_sort_config_static_selectorELNS0_4arch9wavefront6targetE0EEEvSF_,"axG",@progbits,_ZN7rocprim17ROCPRIM_400000_NS6detail17trampoline_kernelINS0_13kernel_configILj256ELj4ELj4294967295EEENS1_37radix_sort_block_sort_config_selectorIsNS0_10empty_typeEEEZNS1_21radix_sort_block_sortIS4_Lb1EPKsPsPS6_SC_NS0_19identity_decomposerEEE10hipError_tT1_T2_T3_T4_jRjT5_jjP12ihipStream_tbEUlT_E_NS1_11comp_targetILNS1_3genE5ELNS1_11target_archE942ELNS1_3gpuE9ELNS1_3repE0EEENS1_44radix_sort_block_sort_config_static_selectorELNS0_4arch9wavefront6targetE0EEEvSF_,comdat
.Lfunc_end503:
	.size	_ZN7rocprim17ROCPRIM_400000_NS6detail17trampoline_kernelINS0_13kernel_configILj256ELj4ELj4294967295EEENS1_37radix_sort_block_sort_config_selectorIsNS0_10empty_typeEEEZNS1_21radix_sort_block_sortIS4_Lb1EPKsPsPS6_SC_NS0_19identity_decomposerEEE10hipError_tT1_T2_T3_T4_jRjT5_jjP12ihipStream_tbEUlT_E_NS1_11comp_targetILNS1_3genE5ELNS1_11target_archE942ELNS1_3gpuE9ELNS1_3repE0EEENS1_44radix_sort_block_sort_config_static_selectorELNS0_4arch9wavefront6targetE0EEEvSF_, .Lfunc_end503-_ZN7rocprim17ROCPRIM_400000_NS6detail17trampoline_kernelINS0_13kernel_configILj256ELj4ELj4294967295EEENS1_37radix_sort_block_sort_config_selectorIsNS0_10empty_typeEEEZNS1_21radix_sort_block_sortIS4_Lb1EPKsPsPS6_SC_NS0_19identity_decomposerEEE10hipError_tT1_T2_T3_T4_jRjT5_jjP12ihipStream_tbEUlT_E_NS1_11comp_targetILNS1_3genE5ELNS1_11target_archE942ELNS1_3gpuE9ELNS1_3repE0EEENS1_44radix_sort_block_sort_config_static_selectorELNS0_4arch9wavefront6targetE0EEEvSF_
                                        ; -- End function
	.set _ZN7rocprim17ROCPRIM_400000_NS6detail17trampoline_kernelINS0_13kernel_configILj256ELj4ELj4294967295EEENS1_37radix_sort_block_sort_config_selectorIsNS0_10empty_typeEEEZNS1_21radix_sort_block_sortIS4_Lb1EPKsPsPS6_SC_NS0_19identity_decomposerEEE10hipError_tT1_T2_T3_T4_jRjT5_jjP12ihipStream_tbEUlT_E_NS1_11comp_targetILNS1_3genE5ELNS1_11target_archE942ELNS1_3gpuE9ELNS1_3repE0EEENS1_44radix_sort_block_sort_config_static_selectorELNS0_4arch9wavefront6targetE0EEEvSF_.num_vgpr, 0
	.set _ZN7rocprim17ROCPRIM_400000_NS6detail17trampoline_kernelINS0_13kernel_configILj256ELj4ELj4294967295EEENS1_37radix_sort_block_sort_config_selectorIsNS0_10empty_typeEEEZNS1_21radix_sort_block_sortIS4_Lb1EPKsPsPS6_SC_NS0_19identity_decomposerEEE10hipError_tT1_T2_T3_T4_jRjT5_jjP12ihipStream_tbEUlT_E_NS1_11comp_targetILNS1_3genE5ELNS1_11target_archE942ELNS1_3gpuE9ELNS1_3repE0EEENS1_44radix_sort_block_sort_config_static_selectorELNS0_4arch9wavefront6targetE0EEEvSF_.num_agpr, 0
	.set _ZN7rocprim17ROCPRIM_400000_NS6detail17trampoline_kernelINS0_13kernel_configILj256ELj4ELj4294967295EEENS1_37radix_sort_block_sort_config_selectorIsNS0_10empty_typeEEEZNS1_21radix_sort_block_sortIS4_Lb1EPKsPsPS6_SC_NS0_19identity_decomposerEEE10hipError_tT1_T2_T3_T4_jRjT5_jjP12ihipStream_tbEUlT_E_NS1_11comp_targetILNS1_3genE5ELNS1_11target_archE942ELNS1_3gpuE9ELNS1_3repE0EEENS1_44radix_sort_block_sort_config_static_selectorELNS0_4arch9wavefront6targetE0EEEvSF_.numbered_sgpr, 0
	.set _ZN7rocprim17ROCPRIM_400000_NS6detail17trampoline_kernelINS0_13kernel_configILj256ELj4ELj4294967295EEENS1_37radix_sort_block_sort_config_selectorIsNS0_10empty_typeEEEZNS1_21radix_sort_block_sortIS4_Lb1EPKsPsPS6_SC_NS0_19identity_decomposerEEE10hipError_tT1_T2_T3_T4_jRjT5_jjP12ihipStream_tbEUlT_E_NS1_11comp_targetILNS1_3genE5ELNS1_11target_archE942ELNS1_3gpuE9ELNS1_3repE0EEENS1_44radix_sort_block_sort_config_static_selectorELNS0_4arch9wavefront6targetE0EEEvSF_.num_named_barrier, 0
	.set _ZN7rocprim17ROCPRIM_400000_NS6detail17trampoline_kernelINS0_13kernel_configILj256ELj4ELj4294967295EEENS1_37radix_sort_block_sort_config_selectorIsNS0_10empty_typeEEEZNS1_21radix_sort_block_sortIS4_Lb1EPKsPsPS6_SC_NS0_19identity_decomposerEEE10hipError_tT1_T2_T3_T4_jRjT5_jjP12ihipStream_tbEUlT_E_NS1_11comp_targetILNS1_3genE5ELNS1_11target_archE942ELNS1_3gpuE9ELNS1_3repE0EEENS1_44radix_sort_block_sort_config_static_selectorELNS0_4arch9wavefront6targetE0EEEvSF_.private_seg_size, 0
	.set _ZN7rocprim17ROCPRIM_400000_NS6detail17trampoline_kernelINS0_13kernel_configILj256ELj4ELj4294967295EEENS1_37radix_sort_block_sort_config_selectorIsNS0_10empty_typeEEEZNS1_21radix_sort_block_sortIS4_Lb1EPKsPsPS6_SC_NS0_19identity_decomposerEEE10hipError_tT1_T2_T3_T4_jRjT5_jjP12ihipStream_tbEUlT_E_NS1_11comp_targetILNS1_3genE5ELNS1_11target_archE942ELNS1_3gpuE9ELNS1_3repE0EEENS1_44radix_sort_block_sort_config_static_selectorELNS0_4arch9wavefront6targetE0EEEvSF_.uses_vcc, 0
	.set _ZN7rocprim17ROCPRIM_400000_NS6detail17trampoline_kernelINS0_13kernel_configILj256ELj4ELj4294967295EEENS1_37radix_sort_block_sort_config_selectorIsNS0_10empty_typeEEEZNS1_21radix_sort_block_sortIS4_Lb1EPKsPsPS6_SC_NS0_19identity_decomposerEEE10hipError_tT1_T2_T3_T4_jRjT5_jjP12ihipStream_tbEUlT_E_NS1_11comp_targetILNS1_3genE5ELNS1_11target_archE942ELNS1_3gpuE9ELNS1_3repE0EEENS1_44radix_sort_block_sort_config_static_selectorELNS0_4arch9wavefront6targetE0EEEvSF_.uses_flat_scratch, 0
	.set _ZN7rocprim17ROCPRIM_400000_NS6detail17trampoline_kernelINS0_13kernel_configILj256ELj4ELj4294967295EEENS1_37radix_sort_block_sort_config_selectorIsNS0_10empty_typeEEEZNS1_21radix_sort_block_sortIS4_Lb1EPKsPsPS6_SC_NS0_19identity_decomposerEEE10hipError_tT1_T2_T3_T4_jRjT5_jjP12ihipStream_tbEUlT_E_NS1_11comp_targetILNS1_3genE5ELNS1_11target_archE942ELNS1_3gpuE9ELNS1_3repE0EEENS1_44radix_sort_block_sort_config_static_selectorELNS0_4arch9wavefront6targetE0EEEvSF_.has_dyn_sized_stack, 0
	.set _ZN7rocprim17ROCPRIM_400000_NS6detail17trampoline_kernelINS0_13kernel_configILj256ELj4ELj4294967295EEENS1_37radix_sort_block_sort_config_selectorIsNS0_10empty_typeEEEZNS1_21radix_sort_block_sortIS4_Lb1EPKsPsPS6_SC_NS0_19identity_decomposerEEE10hipError_tT1_T2_T3_T4_jRjT5_jjP12ihipStream_tbEUlT_E_NS1_11comp_targetILNS1_3genE5ELNS1_11target_archE942ELNS1_3gpuE9ELNS1_3repE0EEENS1_44radix_sort_block_sort_config_static_selectorELNS0_4arch9wavefront6targetE0EEEvSF_.has_recursion, 0
	.set _ZN7rocprim17ROCPRIM_400000_NS6detail17trampoline_kernelINS0_13kernel_configILj256ELj4ELj4294967295EEENS1_37radix_sort_block_sort_config_selectorIsNS0_10empty_typeEEEZNS1_21radix_sort_block_sortIS4_Lb1EPKsPsPS6_SC_NS0_19identity_decomposerEEE10hipError_tT1_T2_T3_T4_jRjT5_jjP12ihipStream_tbEUlT_E_NS1_11comp_targetILNS1_3genE5ELNS1_11target_archE942ELNS1_3gpuE9ELNS1_3repE0EEENS1_44radix_sort_block_sort_config_static_selectorELNS0_4arch9wavefront6targetE0EEEvSF_.has_indirect_call, 0
	.section	.AMDGPU.csdata,"",@progbits
; Kernel info:
; codeLenInByte = 0
; TotalNumSgprs: 0
; NumVgprs: 0
; ScratchSize: 0
; MemoryBound: 0
; FloatMode: 240
; IeeeMode: 1
; LDSByteSize: 0 bytes/workgroup (compile time only)
; SGPRBlocks: 0
; VGPRBlocks: 0
; NumSGPRsForWavesPerEU: 1
; NumVGPRsForWavesPerEU: 1
; NamedBarCnt: 0
; Occupancy: 16
; WaveLimiterHint : 0
; COMPUTE_PGM_RSRC2:SCRATCH_EN: 0
; COMPUTE_PGM_RSRC2:USER_SGPR: 2
; COMPUTE_PGM_RSRC2:TRAP_HANDLER: 0
; COMPUTE_PGM_RSRC2:TGID_X_EN: 1
; COMPUTE_PGM_RSRC2:TGID_Y_EN: 0
; COMPUTE_PGM_RSRC2:TGID_Z_EN: 0
; COMPUTE_PGM_RSRC2:TIDIG_COMP_CNT: 0
	.section	.text._ZN7rocprim17ROCPRIM_400000_NS6detail17trampoline_kernelINS0_13kernel_configILj256ELj4ELj4294967295EEENS1_37radix_sort_block_sort_config_selectorIsNS0_10empty_typeEEEZNS1_21radix_sort_block_sortIS4_Lb1EPKsPsPS6_SC_NS0_19identity_decomposerEEE10hipError_tT1_T2_T3_T4_jRjT5_jjP12ihipStream_tbEUlT_E_NS1_11comp_targetILNS1_3genE4ELNS1_11target_archE910ELNS1_3gpuE8ELNS1_3repE0EEENS1_44radix_sort_block_sort_config_static_selectorELNS0_4arch9wavefront6targetE0EEEvSF_,"axG",@progbits,_ZN7rocprim17ROCPRIM_400000_NS6detail17trampoline_kernelINS0_13kernel_configILj256ELj4ELj4294967295EEENS1_37radix_sort_block_sort_config_selectorIsNS0_10empty_typeEEEZNS1_21radix_sort_block_sortIS4_Lb1EPKsPsPS6_SC_NS0_19identity_decomposerEEE10hipError_tT1_T2_T3_T4_jRjT5_jjP12ihipStream_tbEUlT_E_NS1_11comp_targetILNS1_3genE4ELNS1_11target_archE910ELNS1_3gpuE8ELNS1_3repE0EEENS1_44radix_sort_block_sort_config_static_selectorELNS0_4arch9wavefront6targetE0EEEvSF_,comdat
	.protected	_ZN7rocprim17ROCPRIM_400000_NS6detail17trampoline_kernelINS0_13kernel_configILj256ELj4ELj4294967295EEENS1_37radix_sort_block_sort_config_selectorIsNS0_10empty_typeEEEZNS1_21radix_sort_block_sortIS4_Lb1EPKsPsPS6_SC_NS0_19identity_decomposerEEE10hipError_tT1_T2_T3_T4_jRjT5_jjP12ihipStream_tbEUlT_E_NS1_11comp_targetILNS1_3genE4ELNS1_11target_archE910ELNS1_3gpuE8ELNS1_3repE0EEENS1_44radix_sort_block_sort_config_static_selectorELNS0_4arch9wavefront6targetE0EEEvSF_ ; -- Begin function _ZN7rocprim17ROCPRIM_400000_NS6detail17trampoline_kernelINS0_13kernel_configILj256ELj4ELj4294967295EEENS1_37radix_sort_block_sort_config_selectorIsNS0_10empty_typeEEEZNS1_21radix_sort_block_sortIS4_Lb1EPKsPsPS6_SC_NS0_19identity_decomposerEEE10hipError_tT1_T2_T3_T4_jRjT5_jjP12ihipStream_tbEUlT_E_NS1_11comp_targetILNS1_3genE4ELNS1_11target_archE910ELNS1_3gpuE8ELNS1_3repE0EEENS1_44radix_sort_block_sort_config_static_selectorELNS0_4arch9wavefront6targetE0EEEvSF_
	.globl	_ZN7rocprim17ROCPRIM_400000_NS6detail17trampoline_kernelINS0_13kernel_configILj256ELj4ELj4294967295EEENS1_37radix_sort_block_sort_config_selectorIsNS0_10empty_typeEEEZNS1_21radix_sort_block_sortIS4_Lb1EPKsPsPS6_SC_NS0_19identity_decomposerEEE10hipError_tT1_T2_T3_T4_jRjT5_jjP12ihipStream_tbEUlT_E_NS1_11comp_targetILNS1_3genE4ELNS1_11target_archE910ELNS1_3gpuE8ELNS1_3repE0EEENS1_44radix_sort_block_sort_config_static_selectorELNS0_4arch9wavefront6targetE0EEEvSF_
	.p2align	8
	.type	_ZN7rocprim17ROCPRIM_400000_NS6detail17trampoline_kernelINS0_13kernel_configILj256ELj4ELj4294967295EEENS1_37radix_sort_block_sort_config_selectorIsNS0_10empty_typeEEEZNS1_21radix_sort_block_sortIS4_Lb1EPKsPsPS6_SC_NS0_19identity_decomposerEEE10hipError_tT1_T2_T3_T4_jRjT5_jjP12ihipStream_tbEUlT_E_NS1_11comp_targetILNS1_3genE4ELNS1_11target_archE910ELNS1_3gpuE8ELNS1_3repE0EEENS1_44radix_sort_block_sort_config_static_selectorELNS0_4arch9wavefront6targetE0EEEvSF_,@function
_ZN7rocprim17ROCPRIM_400000_NS6detail17trampoline_kernelINS0_13kernel_configILj256ELj4ELj4294967295EEENS1_37radix_sort_block_sort_config_selectorIsNS0_10empty_typeEEEZNS1_21radix_sort_block_sortIS4_Lb1EPKsPsPS6_SC_NS0_19identity_decomposerEEE10hipError_tT1_T2_T3_T4_jRjT5_jjP12ihipStream_tbEUlT_E_NS1_11comp_targetILNS1_3genE4ELNS1_11target_archE910ELNS1_3gpuE8ELNS1_3repE0EEENS1_44radix_sort_block_sort_config_static_selectorELNS0_4arch9wavefront6targetE0EEEvSF_: ; @_ZN7rocprim17ROCPRIM_400000_NS6detail17trampoline_kernelINS0_13kernel_configILj256ELj4ELj4294967295EEENS1_37radix_sort_block_sort_config_selectorIsNS0_10empty_typeEEEZNS1_21radix_sort_block_sortIS4_Lb1EPKsPsPS6_SC_NS0_19identity_decomposerEEE10hipError_tT1_T2_T3_T4_jRjT5_jjP12ihipStream_tbEUlT_E_NS1_11comp_targetILNS1_3genE4ELNS1_11target_archE910ELNS1_3gpuE8ELNS1_3repE0EEENS1_44radix_sort_block_sort_config_static_selectorELNS0_4arch9wavefront6targetE0EEEvSF_
; %bb.0:
	.section	.rodata,"a",@progbits
	.p2align	6, 0x0
	.amdhsa_kernel _ZN7rocprim17ROCPRIM_400000_NS6detail17trampoline_kernelINS0_13kernel_configILj256ELj4ELj4294967295EEENS1_37radix_sort_block_sort_config_selectorIsNS0_10empty_typeEEEZNS1_21radix_sort_block_sortIS4_Lb1EPKsPsPS6_SC_NS0_19identity_decomposerEEE10hipError_tT1_T2_T3_T4_jRjT5_jjP12ihipStream_tbEUlT_E_NS1_11comp_targetILNS1_3genE4ELNS1_11target_archE910ELNS1_3gpuE8ELNS1_3repE0EEENS1_44radix_sort_block_sort_config_static_selectorELNS0_4arch9wavefront6targetE0EEEvSF_
		.amdhsa_group_segment_fixed_size 0
		.amdhsa_private_segment_fixed_size 0
		.amdhsa_kernarg_size 48
		.amdhsa_user_sgpr_count 2
		.amdhsa_user_sgpr_dispatch_ptr 0
		.amdhsa_user_sgpr_queue_ptr 0
		.amdhsa_user_sgpr_kernarg_segment_ptr 1
		.amdhsa_user_sgpr_dispatch_id 0
		.amdhsa_user_sgpr_kernarg_preload_length 0
		.amdhsa_user_sgpr_kernarg_preload_offset 0
		.amdhsa_user_sgpr_private_segment_size 0
		.amdhsa_wavefront_size32 1
		.amdhsa_uses_dynamic_stack 0
		.amdhsa_enable_private_segment 0
		.amdhsa_system_sgpr_workgroup_id_x 1
		.amdhsa_system_sgpr_workgroup_id_y 0
		.amdhsa_system_sgpr_workgroup_id_z 0
		.amdhsa_system_sgpr_workgroup_info 0
		.amdhsa_system_vgpr_workitem_id 0
		.amdhsa_next_free_vgpr 1
		.amdhsa_next_free_sgpr 1
		.amdhsa_named_barrier_count 0
		.amdhsa_reserve_vcc 0
		.amdhsa_float_round_mode_32 0
		.amdhsa_float_round_mode_16_64 0
		.amdhsa_float_denorm_mode_32 3
		.amdhsa_float_denorm_mode_16_64 3
		.amdhsa_fp16_overflow 0
		.amdhsa_memory_ordered 1
		.amdhsa_forward_progress 1
		.amdhsa_inst_pref_size 0
		.amdhsa_round_robin_scheduling 0
		.amdhsa_exception_fp_ieee_invalid_op 0
		.amdhsa_exception_fp_denorm_src 0
		.amdhsa_exception_fp_ieee_div_zero 0
		.amdhsa_exception_fp_ieee_overflow 0
		.amdhsa_exception_fp_ieee_underflow 0
		.amdhsa_exception_fp_ieee_inexact 0
		.amdhsa_exception_int_div_zero 0
	.end_amdhsa_kernel
	.section	.text._ZN7rocprim17ROCPRIM_400000_NS6detail17trampoline_kernelINS0_13kernel_configILj256ELj4ELj4294967295EEENS1_37radix_sort_block_sort_config_selectorIsNS0_10empty_typeEEEZNS1_21radix_sort_block_sortIS4_Lb1EPKsPsPS6_SC_NS0_19identity_decomposerEEE10hipError_tT1_T2_T3_T4_jRjT5_jjP12ihipStream_tbEUlT_E_NS1_11comp_targetILNS1_3genE4ELNS1_11target_archE910ELNS1_3gpuE8ELNS1_3repE0EEENS1_44radix_sort_block_sort_config_static_selectorELNS0_4arch9wavefront6targetE0EEEvSF_,"axG",@progbits,_ZN7rocprim17ROCPRIM_400000_NS6detail17trampoline_kernelINS0_13kernel_configILj256ELj4ELj4294967295EEENS1_37radix_sort_block_sort_config_selectorIsNS0_10empty_typeEEEZNS1_21radix_sort_block_sortIS4_Lb1EPKsPsPS6_SC_NS0_19identity_decomposerEEE10hipError_tT1_T2_T3_T4_jRjT5_jjP12ihipStream_tbEUlT_E_NS1_11comp_targetILNS1_3genE4ELNS1_11target_archE910ELNS1_3gpuE8ELNS1_3repE0EEENS1_44radix_sort_block_sort_config_static_selectorELNS0_4arch9wavefront6targetE0EEEvSF_,comdat
.Lfunc_end504:
	.size	_ZN7rocprim17ROCPRIM_400000_NS6detail17trampoline_kernelINS0_13kernel_configILj256ELj4ELj4294967295EEENS1_37radix_sort_block_sort_config_selectorIsNS0_10empty_typeEEEZNS1_21radix_sort_block_sortIS4_Lb1EPKsPsPS6_SC_NS0_19identity_decomposerEEE10hipError_tT1_T2_T3_T4_jRjT5_jjP12ihipStream_tbEUlT_E_NS1_11comp_targetILNS1_3genE4ELNS1_11target_archE910ELNS1_3gpuE8ELNS1_3repE0EEENS1_44radix_sort_block_sort_config_static_selectorELNS0_4arch9wavefront6targetE0EEEvSF_, .Lfunc_end504-_ZN7rocprim17ROCPRIM_400000_NS6detail17trampoline_kernelINS0_13kernel_configILj256ELj4ELj4294967295EEENS1_37radix_sort_block_sort_config_selectorIsNS0_10empty_typeEEEZNS1_21radix_sort_block_sortIS4_Lb1EPKsPsPS6_SC_NS0_19identity_decomposerEEE10hipError_tT1_T2_T3_T4_jRjT5_jjP12ihipStream_tbEUlT_E_NS1_11comp_targetILNS1_3genE4ELNS1_11target_archE910ELNS1_3gpuE8ELNS1_3repE0EEENS1_44radix_sort_block_sort_config_static_selectorELNS0_4arch9wavefront6targetE0EEEvSF_
                                        ; -- End function
	.set _ZN7rocprim17ROCPRIM_400000_NS6detail17trampoline_kernelINS0_13kernel_configILj256ELj4ELj4294967295EEENS1_37radix_sort_block_sort_config_selectorIsNS0_10empty_typeEEEZNS1_21radix_sort_block_sortIS4_Lb1EPKsPsPS6_SC_NS0_19identity_decomposerEEE10hipError_tT1_T2_T3_T4_jRjT5_jjP12ihipStream_tbEUlT_E_NS1_11comp_targetILNS1_3genE4ELNS1_11target_archE910ELNS1_3gpuE8ELNS1_3repE0EEENS1_44radix_sort_block_sort_config_static_selectorELNS0_4arch9wavefront6targetE0EEEvSF_.num_vgpr, 0
	.set _ZN7rocprim17ROCPRIM_400000_NS6detail17trampoline_kernelINS0_13kernel_configILj256ELj4ELj4294967295EEENS1_37radix_sort_block_sort_config_selectorIsNS0_10empty_typeEEEZNS1_21radix_sort_block_sortIS4_Lb1EPKsPsPS6_SC_NS0_19identity_decomposerEEE10hipError_tT1_T2_T3_T4_jRjT5_jjP12ihipStream_tbEUlT_E_NS1_11comp_targetILNS1_3genE4ELNS1_11target_archE910ELNS1_3gpuE8ELNS1_3repE0EEENS1_44radix_sort_block_sort_config_static_selectorELNS0_4arch9wavefront6targetE0EEEvSF_.num_agpr, 0
	.set _ZN7rocprim17ROCPRIM_400000_NS6detail17trampoline_kernelINS0_13kernel_configILj256ELj4ELj4294967295EEENS1_37radix_sort_block_sort_config_selectorIsNS0_10empty_typeEEEZNS1_21radix_sort_block_sortIS4_Lb1EPKsPsPS6_SC_NS0_19identity_decomposerEEE10hipError_tT1_T2_T3_T4_jRjT5_jjP12ihipStream_tbEUlT_E_NS1_11comp_targetILNS1_3genE4ELNS1_11target_archE910ELNS1_3gpuE8ELNS1_3repE0EEENS1_44radix_sort_block_sort_config_static_selectorELNS0_4arch9wavefront6targetE0EEEvSF_.numbered_sgpr, 0
	.set _ZN7rocprim17ROCPRIM_400000_NS6detail17trampoline_kernelINS0_13kernel_configILj256ELj4ELj4294967295EEENS1_37radix_sort_block_sort_config_selectorIsNS0_10empty_typeEEEZNS1_21radix_sort_block_sortIS4_Lb1EPKsPsPS6_SC_NS0_19identity_decomposerEEE10hipError_tT1_T2_T3_T4_jRjT5_jjP12ihipStream_tbEUlT_E_NS1_11comp_targetILNS1_3genE4ELNS1_11target_archE910ELNS1_3gpuE8ELNS1_3repE0EEENS1_44radix_sort_block_sort_config_static_selectorELNS0_4arch9wavefront6targetE0EEEvSF_.num_named_barrier, 0
	.set _ZN7rocprim17ROCPRIM_400000_NS6detail17trampoline_kernelINS0_13kernel_configILj256ELj4ELj4294967295EEENS1_37radix_sort_block_sort_config_selectorIsNS0_10empty_typeEEEZNS1_21radix_sort_block_sortIS4_Lb1EPKsPsPS6_SC_NS0_19identity_decomposerEEE10hipError_tT1_T2_T3_T4_jRjT5_jjP12ihipStream_tbEUlT_E_NS1_11comp_targetILNS1_3genE4ELNS1_11target_archE910ELNS1_3gpuE8ELNS1_3repE0EEENS1_44radix_sort_block_sort_config_static_selectorELNS0_4arch9wavefront6targetE0EEEvSF_.private_seg_size, 0
	.set _ZN7rocprim17ROCPRIM_400000_NS6detail17trampoline_kernelINS0_13kernel_configILj256ELj4ELj4294967295EEENS1_37radix_sort_block_sort_config_selectorIsNS0_10empty_typeEEEZNS1_21radix_sort_block_sortIS4_Lb1EPKsPsPS6_SC_NS0_19identity_decomposerEEE10hipError_tT1_T2_T3_T4_jRjT5_jjP12ihipStream_tbEUlT_E_NS1_11comp_targetILNS1_3genE4ELNS1_11target_archE910ELNS1_3gpuE8ELNS1_3repE0EEENS1_44radix_sort_block_sort_config_static_selectorELNS0_4arch9wavefront6targetE0EEEvSF_.uses_vcc, 0
	.set _ZN7rocprim17ROCPRIM_400000_NS6detail17trampoline_kernelINS0_13kernel_configILj256ELj4ELj4294967295EEENS1_37radix_sort_block_sort_config_selectorIsNS0_10empty_typeEEEZNS1_21radix_sort_block_sortIS4_Lb1EPKsPsPS6_SC_NS0_19identity_decomposerEEE10hipError_tT1_T2_T3_T4_jRjT5_jjP12ihipStream_tbEUlT_E_NS1_11comp_targetILNS1_3genE4ELNS1_11target_archE910ELNS1_3gpuE8ELNS1_3repE0EEENS1_44radix_sort_block_sort_config_static_selectorELNS0_4arch9wavefront6targetE0EEEvSF_.uses_flat_scratch, 0
	.set _ZN7rocprim17ROCPRIM_400000_NS6detail17trampoline_kernelINS0_13kernel_configILj256ELj4ELj4294967295EEENS1_37radix_sort_block_sort_config_selectorIsNS0_10empty_typeEEEZNS1_21radix_sort_block_sortIS4_Lb1EPKsPsPS6_SC_NS0_19identity_decomposerEEE10hipError_tT1_T2_T3_T4_jRjT5_jjP12ihipStream_tbEUlT_E_NS1_11comp_targetILNS1_3genE4ELNS1_11target_archE910ELNS1_3gpuE8ELNS1_3repE0EEENS1_44radix_sort_block_sort_config_static_selectorELNS0_4arch9wavefront6targetE0EEEvSF_.has_dyn_sized_stack, 0
	.set _ZN7rocprim17ROCPRIM_400000_NS6detail17trampoline_kernelINS0_13kernel_configILj256ELj4ELj4294967295EEENS1_37radix_sort_block_sort_config_selectorIsNS0_10empty_typeEEEZNS1_21radix_sort_block_sortIS4_Lb1EPKsPsPS6_SC_NS0_19identity_decomposerEEE10hipError_tT1_T2_T3_T4_jRjT5_jjP12ihipStream_tbEUlT_E_NS1_11comp_targetILNS1_3genE4ELNS1_11target_archE910ELNS1_3gpuE8ELNS1_3repE0EEENS1_44radix_sort_block_sort_config_static_selectorELNS0_4arch9wavefront6targetE0EEEvSF_.has_recursion, 0
	.set _ZN7rocprim17ROCPRIM_400000_NS6detail17trampoline_kernelINS0_13kernel_configILj256ELj4ELj4294967295EEENS1_37radix_sort_block_sort_config_selectorIsNS0_10empty_typeEEEZNS1_21radix_sort_block_sortIS4_Lb1EPKsPsPS6_SC_NS0_19identity_decomposerEEE10hipError_tT1_T2_T3_T4_jRjT5_jjP12ihipStream_tbEUlT_E_NS1_11comp_targetILNS1_3genE4ELNS1_11target_archE910ELNS1_3gpuE8ELNS1_3repE0EEENS1_44radix_sort_block_sort_config_static_selectorELNS0_4arch9wavefront6targetE0EEEvSF_.has_indirect_call, 0
	.section	.AMDGPU.csdata,"",@progbits
; Kernel info:
; codeLenInByte = 0
; TotalNumSgprs: 0
; NumVgprs: 0
; ScratchSize: 0
; MemoryBound: 0
; FloatMode: 240
; IeeeMode: 1
; LDSByteSize: 0 bytes/workgroup (compile time only)
; SGPRBlocks: 0
; VGPRBlocks: 0
; NumSGPRsForWavesPerEU: 1
; NumVGPRsForWavesPerEU: 1
; NamedBarCnt: 0
; Occupancy: 16
; WaveLimiterHint : 0
; COMPUTE_PGM_RSRC2:SCRATCH_EN: 0
; COMPUTE_PGM_RSRC2:USER_SGPR: 2
; COMPUTE_PGM_RSRC2:TRAP_HANDLER: 0
; COMPUTE_PGM_RSRC2:TGID_X_EN: 1
; COMPUTE_PGM_RSRC2:TGID_Y_EN: 0
; COMPUTE_PGM_RSRC2:TGID_Z_EN: 0
; COMPUTE_PGM_RSRC2:TIDIG_COMP_CNT: 0
	.section	.text._ZN7rocprim17ROCPRIM_400000_NS6detail17trampoline_kernelINS0_13kernel_configILj256ELj4ELj4294967295EEENS1_37radix_sort_block_sort_config_selectorIsNS0_10empty_typeEEEZNS1_21radix_sort_block_sortIS4_Lb1EPKsPsPS6_SC_NS0_19identity_decomposerEEE10hipError_tT1_T2_T3_T4_jRjT5_jjP12ihipStream_tbEUlT_E_NS1_11comp_targetILNS1_3genE3ELNS1_11target_archE908ELNS1_3gpuE7ELNS1_3repE0EEENS1_44radix_sort_block_sort_config_static_selectorELNS0_4arch9wavefront6targetE0EEEvSF_,"axG",@progbits,_ZN7rocprim17ROCPRIM_400000_NS6detail17trampoline_kernelINS0_13kernel_configILj256ELj4ELj4294967295EEENS1_37radix_sort_block_sort_config_selectorIsNS0_10empty_typeEEEZNS1_21radix_sort_block_sortIS4_Lb1EPKsPsPS6_SC_NS0_19identity_decomposerEEE10hipError_tT1_T2_T3_T4_jRjT5_jjP12ihipStream_tbEUlT_E_NS1_11comp_targetILNS1_3genE3ELNS1_11target_archE908ELNS1_3gpuE7ELNS1_3repE0EEENS1_44radix_sort_block_sort_config_static_selectorELNS0_4arch9wavefront6targetE0EEEvSF_,comdat
	.protected	_ZN7rocprim17ROCPRIM_400000_NS6detail17trampoline_kernelINS0_13kernel_configILj256ELj4ELj4294967295EEENS1_37radix_sort_block_sort_config_selectorIsNS0_10empty_typeEEEZNS1_21radix_sort_block_sortIS4_Lb1EPKsPsPS6_SC_NS0_19identity_decomposerEEE10hipError_tT1_T2_T3_T4_jRjT5_jjP12ihipStream_tbEUlT_E_NS1_11comp_targetILNS1_3genE3ELNS1_11target_archE908ELNS1_3gpuE7ELNS1_3repE0EEENS1_44radix_sort_block_sort_config_static_selectorELNS0_4arch9wavefront6targetE0EEEvSF_ ; -- Begin function _ZN7rocprim17ROCPRIM_400000_NS6detail17trampoline_kernelINS0_13kernel_configILj256ELj4ELj4294967295EEENS1_37radix_sort_block_sort_config_selectorIsNS0_10empty_typeEEEZNS1_21radix_sort_block_sortIS4_Lb1EPKsPsPS6_SC_NS0_19identity_decomposerEEE10hipError_tT1_T2_T3_T4_jRjT5_jjP12ihipStream_tbEUlT_E_NS1_11comp_targetILNS1_3genE3ELNS1_11target_archE908ELNS1_3gpuE7ELNS1_3repE0EEENS1_44radix_sort_block_sort_config_static_selectorELNS0_4arch9wavefront6targetE0EEEvSF_
	.globl	_ZN7rocprim17ROCPRIM_400000_NS6detail17trampoline_kernelINS0_13kernel_configILj256ELj4ELj4294967295EEENS1_37radix_sort_block_sort_config_selectorIsNS0_10empty_typeEEEZNS1_21radix_sort_block_sortIS4_Lb1EPKsPsPS6_SC_NS0_19identity_decomposerEEE10hipError_tT1_T2_T3_T4_jRjT5_jjP12ihipStream_tbEUlT_E_NS1_11comp_targetILNS1_3genE3ELNS1_11target_archE908ELNS1_3gpuE7ELNS1_3repE0EEENS1_44radix_sort_block_sort_config_static_selectorELNS0_4arch9wavefront6targetE0EEEvSF_
	.p2align	8
	.type	_ZN7rocprim17ROCPRIM_400000_NS6detail17trampoline_kernelINS0_13kernel_configILj256ELj4ELj4294967295EEENS1_37radix_sort_block_sort_config_selectorIsNS0_10empty_typeEEEZNS1_21radix_sort_block_sortIS4_Lb1EPKsPsPS6_SC_NS0_19identity_decomposerEEE10hipError_tT1_T2_T3_T4_jRjT5_jjP12ihipStream_tbEUlT_E_NS1_11comp_targetILNS1_3genE3ELNS1_11target_archE908ELNS1_3gpuE7ELNS1_3repE0EEENS1_44radix_sort_block_sort_config_static_selectorELNS0_4arch9wavefront6targetE0EEEvSF_,@function
_ZN7rocprim17ROCPRIM_400000_NS6detail17trampoline_kernelINS0_13kernel_configILj256ELj4ELj4294967295EEENS1_37radix_sort_block_sort_config_selectorIsNS0_10empty_typeEEEZNS1_21radix_sort_block_sortIS4_Lb1EPKsPsPS6_SC_NS0_19identity_decomposerEEE10hipError_tT1_T2_T3_T4_jRjT5_jjP12ihipStream_tbEUlT_E_NS1_11comp_targetILNS1_3genE3ELNS1_11target_archE908ELNS1_3gpuE7ELNS1_3repE0EEENS1_44radix_sort_block_sort_config_static_selectorELNS0_4arch9wavefront6targetE0EEEvSF_: ; @_ZN7rocprim17ROCPRIM_400000_NS6detail17trampoline_kernelINS0_13kernel_configILj256ELj4ELj4294967295EEENS1_37radix_sort_block_sort_config_selectorIsNS0_10empty_typeEEEZNS1_21radix_sort_block_sortIS4_Lb1EPKsPsPS6_SC_NS0_19identity_decomposerEEE10hipError_tT1_T2_T3_T4_jRjT5_jjP12ihipStream_tbEUlT_E_NS1_11comp_targetILNS1_3genE3ELNS1_11target_archE908ELNS1_3gpuE7ELNS1_3repE0EEENS1_44radix_sort_block_sort_config_static_selectorELNS0_4arch9wavefront6targetE0EEEvSF_
; %bb.0:
	.section	.rodata,"a",@progbits
	.p2align	6, 0x0
	.amdhsa_kernel _ZN7rocprim17ROCPRIM_400000_NS6detail17trampoline_kernelINS0_13kernel_configILj256ELj4ELj4294967295EEENS1_37radix_sort_block_sort_config_selectorIsNS0_10empty_typeEEEZNS1_21radix_sort_block_sortIS4_Lb1EPKsPsPS6_SC_NS0_19identity_decomposerEEE10hipError_tT1_T2_T3_T4_jRjT5_jjP12ihipStream_tbEUlT_E_NS1_11comp_targetILNS1_3genE3ELNS1_11target_archE908ELNS1_3gpuE7ELNS1_3repE0EEENS1_44radix_sort_block_sort_config_static_selectorELNS0_4arch9wavefront6targetE0EEEvSF_
		.amdhsa_group_segment_fixed_size 0
		.amdhsa_private_segment_fixed_size 0
		.amdhsa_kernarg_size 48
		.amdhsa_user_sgpr_count 2
		.amdhsa_user_sgpr_dispatch_ptr 0
		.amdhsa_user_sgpr_queue_ptr 0
		.amdhsa_user_sgpr_kernarg_segment_ptr 1
		.amdhsa_user_sgpr_dispatch_id 0
		.amdhsa_user_sgpr_kernarg_preload_length 0
		.amdhsa_user_sgpr_kernarg_preload_offset 0
		.amdhsa_user_sgpr_private_segment_size 0
		.amdhsa_wavefront_size32 1
		.amdhsa_uses_dynamic_stack 0
		.amdhsa_enable_private_segment 0
		.amdhsa_system_sgpr_workgroup_id_x 1
		.amdhsa_system_sgpr_workgroup_id_y 0
		.amdhsa_system_sgpr_workgroup_id_z 0
		.amdhsa_system_sgpr_workgroup_info 0
		.amdhsa_system_vgpr_workitem_id 0
		.amdhsa_next_free_vgpr 1
		.amdhsa_next_free_sgpr 1
		.amdhsa_named_barrier_count 0
		.amdhsa_reserve_vcc 0
		.amdhsa_float_round_mode_32 0
		.amdhsa_float_round_mode_16_64 0
		.amdhsa_float_denorm_mode_32 3
		.amdhsa_float_denorm_mode_16_64 3
		.amdhsa_fp16_overflow 0
		.amdhsa_memory_ordered 1
		.amdhsa_forward_progress 1
		.amdhsa_inst_pref_size 0
		.amdhsa_round_robin_scheduling 0
		.amdhsa_exception_fp_ieee_invalid_op 0
		.amdhsa_exception_fp_denorm_src 0
		.amdhsa_exception_fp_ieee_div_zero 0
		.amdhsa_exception_fp_ieee_overflow 0
		.amdhsa_exception_fp_ieee_underflow 0
		.amdhsa_exception_fp_ieee_inexact 0
		.amdhsa_exception_int_div_zero 0
	.end_amdhsa_kernel
	.section	.text._ZN7rocprim17ROCPRIM_400000_NS6detail17trampoline_kernelINS0_13kernel_configILj256ELj4ELj4294967295EEENS1_37radix_sort_block_sort_config_selectorIsNS0_10empty_typeEEEZNS1_21radix_sort_block_sortIS4_Lb1EPKsPsPS6_SC_NS0_19identity_decomposerEEE10hipError_tT1_T2_T3_T4_jRjT5_jjP12ihipStream_tbEUlT_E_NS1_11comp_targetILNS1_3genE3ELNS1_11target_archE908ELNS1_3gpuE7ELNS1_3repE0EEENS1_44radix_sort_block_sort_config_static_selectorELNS0_4arch9wavefront6targetE0EEEvSF_,"axG",@progbits,_ZN7rocprim17ROCPRIM_400000_NS6detail17trampoline_kernelINS0_13kernel_configILj256ELj4ELj4294967295EEENS1_37radix_sort_block_sort_config_selectorIsNS0_10empty_typeEEEZNS1_21radix_sort_block_sortIS4_Lb1EPKsPsPS6_SC_NS0_19identity_decomposerEEE10hipError_tT1_T2_T3_T4_jRjT5_jjP12ihipStream_tbEUlT_E_NS1_11comp_targetILNS1_3genE3ELNS1_11target_archE908ELNS1_3gpuE7ELNS1_3repE0EEENS1_44radix_sort_block_sort_config_static_selectorELNS0_4arch9wavefront6targetE0EEEvSF_,comdat
.Lfunc_end505:
	.size	_ZN7rocprim17ROCPRIM_400000_NS6detail17trampoline_kernelINS0_13kernel_configILj256ELj4ELj4294967295EEENS1_37radix_sort_block_sort_config_selectorIsNS0_10empty_typeEEEZNS1_21radix_sort_block_sortIS4_Lb1EPKsPsPS6_SC_NS0_19identity_decomposerEEE10hipError_tT1_T2_T3_T4_jRjT5_jjP12ihipStream_tbEUlT_E_NS1_11comp_targetILNS1_3genE3ELNS1_11target_archE908ELNS1_3gpuE7ELNS1_3repE0EEENS1_44radix_sort_block_sort_config_static_selectorELNS0_4arch9wavefront6targetE0EEEvSF_, .Lfunc_end505-_ZN7rocprim17ROCPRIM_400000_NS6detail17trampoline_kernelINS0_13kernel_configILj256ELj4ELj4294967295EEENS1_37radix_sort_block_sort_config_selectorIsNS0_10empty_typeEEEZNS1_21radix_sort_block_sortIS4_Lb1EPKsPsPS6_SC_NS0_19identity_decomposerEEE10hipError_tT1_T2_T3_T4_jRjT5_jjP12ihipStream_tbEUlT_E_NS1_11comp_targetILNS1_3genE3ELNS1_11target_archE908ELNS1_3gpuE7ELNS1_3repE0EEENS1_44radix_sort_block_sort_config_static_selectorELNS0_4arch9wavefront6targetE0EEEvSF_
                                        ; -- End function
	.set _ZN7rocprim17ROCPRIM_400000_NS6detail17trampoline_kernelINS0_13kernel_configILj256ELj4ELj4294967295EEENS1_37radix_sort_block_sort_config_selectorIsNS0_10empty_typeEEEZNS1_21radix_sort_block_sortIS4_Lb1EPKsPsPS6_SC_NS0_19identity_decomposerEEE10hipError_tT1_T2_T3_T4_jRjT5_jjP12ihipStream_tbEUlT_E_NS1_11comp_targetILNS1_3genE3ELNS1_11target_archE908ELNS1_3gpuE7ELNS1_3repE0EEENS1_44radix_sort_block_sort_config_static_selectorELNS0_4arch9wavefront6targetE0EEEvSF_.num_vgpr, 0
	.set _ZN7rocprim17ROCPRIM_400000_NS6detail17trampoline_kernelINS0_13kernel_configILj256ELj4ELj4294967295EEENS1_37radix_sort_block_sort_config_selectorIsNS0_10empty_typeEEEZNS1_21radix_sort_block_sortIS4_Lb1EPKsPsPS6_SC_NS0_19identity_decomposerEEE10hipError_tT1_T2_T3_T4_jRjT5_jjP12ihipStream_tbEUlT_E_NS1_11comp_targetILNS1_3genE3ELNS1_11target_archE908ELNS1_3gpuE7ELNS1_3repE0EEENS1_44radix_sort_block_sort_config_static_selectorELNS0_4arch9wavefront6targetE0EEEvSF_.num_agpr, 0
	.set _ZN7rocprim17ROCPRIM_400000_NS6detail17trampoline_kernelINS0_13kernel_configILj256ELj4ELj4294967295EEENS1_37radix_sort_block_sort_config_selectorIsNS0_10empty_typeEEEZNS1_21radix_sort_block_sortIS4_Lb1EPKsPsPS6_SC_NS0_19identity_decomposerEEE10hipError_tT1_T2_T3_T4_jRjT5_jjP12ihipStream_tbEUlT_E_NS1_11comp_targetILNS1_3genE3ELNS1_11target_archE908ELNS1_3gpuE7ELNS1_3repE0EEENS1_44radix_sort_block_sort_config_static_selectorELNS0_4arch9wavefront6targetE0EEEvSF_.numbered_sgpr, 0
	.set _ZN7rocprim17ROCPRIM_400000_NS6detail17trampoline_kernelINS0_13kernel_configILj256ELj4ELj4294967295EEENS1_37radix_sort_block_sort_config_selectorIsNS0_10empty_typeEEEZNS1_21radix_sort_block_sortIS4_Lb1EPKsPsPS6_SC_NS0_19identity_decomposerEEE10hipError_tT1_T2_T3_T4_jRjT5_jjP12ihipStream_tbEUlT_E_NS1_11comp_targetILNS1_3genE3ELNS1_11target_archE908ELNS1_3gpuE7ELNS1_3repE0EEENS1_44radix_sort_block_sort_config_static_selectorELNS0_4arch9wavefront6targetE0EEEvSF_.num_named_barrier, 0
	.set _ZN7rocprim17ROCPRIM_400000_NS6detail17trampoline_kernelINS0_13kernel_configILj256ELj4ELj4294967295EEENS1_37radix_sort_block_sort_config_selectorIsNS0_10empty_typeEEEZNS1_21radix_sort_block_sortIS4_Lb1EPKsPsPS6_SC_NS0_19identity_decomposerEEE10hipError_tT1_T2_T3_T4_jRjT5_jjP12ihipStream_tbEUlT_E_NS1_11comp_targetILNS1_3genE3ELNS1_11target_archE908ELNS1_3gpuE7ELNS1_3repE0EEENS1_44radix_sort_block_sort_config_static_selectorELNS0_4arch9wavefront6targetE0EEEvSF_.private_seg_size, 0
	.set _ZN7rocprim17ROCPRIM_400000_NS6detail17trampoline_kernelINS0_13kernel_configILj256ELj4ELj4294967295EEENS1_37radix_sort_block_sort_config_selectorIsNS0_10empty_typeEEEZNS1_21radix_sort_block_sortIS4_Lb1EPKsPsPS6_SC_NS0_19identity_decomposerEEE10hipError_tT1_T2_T3_T4_jRjT5_jjP12ihipStream_tbEUlT_E_NS1_11comp_targetILNS1_3genE3ELNS1_11target_archE908ELNS1_3gpuE7ELNS1_3repE0EEENS1_44radix_sort_block_sort_config_static_selectorELNS0_4arch9wavefront6targetE0EEEvSF_.uses_vcc, 0
	.set _ZN7rocprim17ROCPRIM_400000_NS6detail17trampoline_kernelINS0_13kernel_configILj256ELj4ELj4294967295EEENS1_37radix_sort_block_sort_config_selectorIsNS0_10empty_typeEEEZNS1_21radix_sort_block_sortIS4_Lb1EPKsPsPS6_SC_NS0_19identity_decomposerEEE10hipError_tT1_T2_T3_T4_jRjT5_jjP12ihipStream_tbEUlT_E_NS1_11comp_targetILNS1_3genE3ELNS1_11target_archE908ELNS1_3gpuE7ELNS1_3repE0EEENS1_44radix_sort_block_sort_config_static_selectorELNS0_4arch9wavefront6targetE0EEEvSF_.uses_flat_scratch, 0
	.set _ZN7rocprim17ROCPRIM_400000_NS6detail17trampoline_kernelINS0_13kernel_configILj256ELj4ELj4294967295EEENS1_37radix_sort_block_sort_config_selectorIsNS0_10empty_typeEEEZNS1_21radix_sort_block_sortIS4_Lb1EPKsPsPS6_SC_NS0_19identity_decomposerEEE10hipError_tT1_T2_T3_T4_jRjT5_jjP12ihipStream_tbEUlT_E_NS1_11comp_targetILNS1_3genE3ELNS1_11target_archE908ELNS1_3gpuE7ELNS1_3repE0EEENS1_44radix_sort_block_sort_config_static_selectorELNS0_4arch9wavefront6targetE0EEEvSF_.has_dyn_sized_stack, 0
	.set _ZN7rocprim17ROCPRIM_400000_NS6detail17trampoline_kernelINS0_13kernel_configILj256ELj4ELj4294967295EEENS1_37radix_sort_block_sort_config_selectorIsNS0_10empty_typeEEEZNS1_21radix_sort_block_sortIS4_Lb1EPKsPsPS6_SC_NS0_19identity_decomposerEEE10hipError_tT1_T2_T3_T4_jRjT5_jjP12ihipStream_tbEUlT_E_NS1_11comp_targetILNS1_3genE3ELNS1_11target_archE908ELNS1_3gpuE7ELNS1_3repE0EEENS1_44radix_sort_block_sort_config_static_selectorELNS0_4arch9wavefront6targetE0EEEvSF_.has_recursion, 0
	.set _ZN7rocprim17ROCPRIM_400000_NS6detail17trampoline_kernelINS0_13kernel_configILj256ELj4ELj4294967295EEENS1_37radix_sort_block_sort_config_selectorIsNS0_10empty_typeEEEZNS1_21radix_sort_block_sortIS4_Lb1EPKsPsPS6_SC_NS0_19identity_decomposerEEE10hipError_tT1_T2_T3_T4_jRjT5_jjP12ihipStream_tbEUlT_E_NS1_11comp_targetILNS1_3genE3ELNS1_11target_archE908ELNS1_3gpuE7ELNS1_3repE0EEENS1_44radix_sort_block_sort_config_static_selectorELNS0_4arch9wavefront6targetE0EEEvSF_.has_indirect_call, 0
	.section	.AMDGPU.csdata,"",@progbits
; Kernel info:
; codeLenInByte = 0
; TotalNumSgprs: 0
; NumVgprs: 0
; ScratchSize: 0
; MemoryBound: 0
; FloatMode: 240
; IeeeMode: 1
; LDSByteSize: 0 bytes/workgroup (compile time only)
; SGPRBlocks: 0
; VGPRBlocks: 0
; NumSGPRsForWavesPerEU: 1
; NumVGPRsForWavesPerEU: 1
; NamedBarCnt: 0
; Occupancy: 16
; WaveLimiterHint : 0
; COMPUTE_PGM_RSRC2:SCRATCH_EN: 0
; COMPUTE_PGM_RSRC2:USER_SGPR: 2
; COMPUTE_PGM_RSRC2:TRAP_HANDLER: 0
; COMPUTE_PGM_RSRC2:TGID_X_EN: 1
; COMPUTE_PGM_RSRC2:TGID_Y_EN: 0
; COMPUTE_PGM_RSRC2:TGID_Z_EN: 0
; COMPUTE_PGM_RSRC2:TIDIG_COMP_CNT: 0
	.section	.text._ZN7rocprim17ROCPRIM_400000_NS6detail17trampoline_kernelINS0_13kernel_configILj256ELj4ELj4294967295EEENS1_37radix_sort_block_sort_config_selectorIsNS0_10empty_typeEEEZNS1_21radix_sort_block_sortIS4_Lb1EPKsPsPS6_SC_NS0_19identity_decomposerEEE10hipError_tT1_T2_T3_T4_jRjT5_jjP12ihipStream_tbEUlT_E_NS1_11comp_targetILNS1_3genE2ELNS1_11target_archE906ELNS1_3gpuE6ELNS1_3repE0EEENS1_44radix_sort_block_sort_config_static_selectorELNS0_4arch9wavefront6targetE0EEEvSF_,"axG",@progbits,_ZN7rocprim17ROCPRIM_400000_NS6detail17trampoline_kernelINS0_13kernel_configILj256ELj4ELj4294967295EEENS1_37radix_sort_block_sort_config_selectorIsNS0_10empty_typeEEEZNS1_21radix_sort_block_sortIS4_Lb1EPKsPsPS6_SC_NS0_19identity_decomposerEEE10hipError_tT1_T2_T3_T4_jRjT5_jjP12ihipStream_tbEUlT_E_NS1_11comp_targetILNS1_3genE2ELNS1_11target_archE906ELNS1_3gpuE6ELNS1_3repE0EEENS1_44radix_sort_block_sort_config_static_selectorELNS0_4arch9wavefront6targetE0EEEvSF_,comdat
	.protected	_ZN7rocprim17ROCPRIM_400000_NS6detail17trampoline_kernelINS0_13kernel_configILj256ELj4ELj4294967295EEENS1_37radix_sort_block_sort_config_selectorIsNS0_10empty_typeEEEZNS1_21radix_sort_block_sortIS4_Lb1EPKsPsPS6_SC_NS0_19identity_decomposerEEE10hipError_tT1_T2_T3_T4_jRjT5_jjP12ihipStream_tbEUlT_E_NS1_11comp_targetILNS1_3genE2ELNS1_11target_archE906ELNS1_3gpuE6ELNS1_3repE0EEENS1_44radix_sort_block_sort_config_static_selectorELNS0_4arch9wavefront6targetE0EEEvSF_ ; -- Begin function _ZN7rocprim17ROCPRIM_400000_NS6detail17trampoline_kernelINS0_13kernel_configILj256ELj4ELj4294967295EEENS1_37radix_sort_block_sort_config_selectorIsNS0_10empty_typeEEEZNS1_21radix_sort_block_sortIS4_Lb1EPKsPsPS6_SC_NS0_19identity_decomposerEEE10hipError_tT1_T2_T3_T4_jRjT5_jjP12ihipStream_tbEUlT_E_NS1_11comp_targetILNS1_3genE2ELNS1_11target_archE906ELNS1_3gpuE6ELNS1_3repE0EEENS1_44radix_sort_block_sort_config_static_selectorELNS0_4arch9wavefront6targetE0EEEvSF_
	.globl	_ZN7rocprim17ROCPRIM_400000_NS6detail17trampoline_kernelINS0_13kernel_configILj256ELj4ELj4294967295EEENS1_37radix_sort_block_sort_config_selectorIsNS0_10empty_typeEEEZNS1_21radix_sort_block_sortIS4_Lb1EPKsPsPS6_SC_NS0_19identity_decomposerEEE10hipError_tT1_T2_T3_T4_jRjT5_jjP12ihipStream_tbEUlT_E_NS1_11comp_targetILNS1_3genE2ELNS1_11target_archE906ELNS1_3gpuE6ELNS1_3repE0EEENS1_44radix_sort_block_sort_config_static_selectorELNS0_4arch9wavefront6targetE0EEEvSF_
	.p2align	8
	.type	_ZN7rocprim17ROCPRIM_400000_NS6detail17trampoline_kernelINS0_13kernel_configILj256ELj4ELj4294967295EEENS1_37radix_sort_block_sort_config_selectorIsNS0_10empty_typeEEEZNS1_21radix_sort_block_sortIS4_Lb1EPKsPsPS6_SC_NS0_19identity_decomposerEEE10hipError_tT1_T2_T3_T4_jRjT5_jjP12ihipStream_tbEUlT_E_NS1_11comp_targetILNS1_3genE2ELNS1_11target_archE906ELNS1_3gpuE6ELNS1_3repE0EEENS1_44radix_sort_block_sort_config_static_selectorELNS0_4arch9wavefront6targetE0EEEvSF_,@function
_ZN7rocprim17ROCPRIM_400000_NS6detail17trampoline_kernelINS0_13kernel_configILj256ELj4ELj4294967295EEENS1_37radix_sort_block_sort_config_selectorIsNS0_10empty_typeEEEZNS1_21radix_sort_block_sortIS4_Lb1EPKsPsPS6_SC_NS0_19identity_decomposerEEE10hipError_tT1_T2_T3_T4_jRjT5_jjP12ihipStream_tbEUlT_E_NS1_11comp_targetILNS1_3genE2ELNS1_11target_archE906ELNS1_3gpuE6ELNS1_3repE0EEENS1_44radix_sort_block_sort_config_static_selectorELNS0_4arch9wavefront6targetE0EEEvSF_: ; @_ZN7rocprim17ROCPRIM_400000_NS6detail17trampoline_kernelINS0_13kernel_configILj256ELj4ELj4294967295EEENS1_37radix_sort_block_sort_config_selectorIsNS0_10empty_typeEEEZNS1_21radix_sort_block_sortIS4_Lb1EPKsPsPS6_SC_NS0_19identity_decomposerEEE10hipError_tT1_T2_T3_T4_jRjT5_jjP12ihipStream_tbEUlT_E_NS1_11comp_targetILNS1_3genE2ELNS1_11target_archE906ELNS1_3gpuE6ELNS1_3repE0EEENS1_44radix_sort_block_sort_config_static_selectorELNS0_4arch9wavefront6targetE0EEEvSF_
; %bb.0:
	.section	.rodata,"a",@progbits
	.p2align	6, 0x0
	.amdhsa_kernel _ZN7rocprim17ROCPRIM_400000_NS6detail17trampoline_kernelINS0_13kernel_configILj256ELj4ELj4294967295EEENS1_37radix_sort_block_sort_config_selectorIsNS0_10empty_typeEEEZNS1_21radix_sort_block_sortIS4_Lb1EPKsPsPS6_SC_NS0_19identity_decomposerEEE10hipError_tT1_T2_T3_T4_jRjT5_jjP12ihipStream_tbEUlT_E_NS1_11comp_targetILNS1_3genE2ELNS1_11target_archE906ELNS1_3gpuE6ELNS1_3repE0EEENS1_44radix_sort_block_sort_config_static_selectorELNS0_4arch9wavefront6targetE0EEEvSF_
		.amdhsa_group_segment_fixed_size 0
		.amdhsa_private_segment_fixed_size 0
		.amdhsa_kernarg_size 48
		.amdhsa_user_sgpr_count 2
		.amdhsa_user_sgpr_dispatch_ptr 0
		.amdhsa_user_sgpr_queue_ptr 0
		.amdhsa_user_sgpr_kernarg_segment_ptr 1
		.amdhsa_user_sgpr_dispatch_id 0
		.amdhsa_user_sgpr_kernarg_preload_length 0
		.amdhsa_user_sgpr_kernarg_preload_offset 0
		.amdhsa_user_sgpr_private_segment_size 0
		.amdhsa_wavefront_size32 1
		.amdhsa_uses_dynamic_stack 0
		.amdhsa_enable_private_segment 0
		.amdhsa_system_sgpr_workgroup_id_x 1
		.amdhsa_system_sgpr_workgroup_id_y 0
		.amdhsa_system_sgpr_workgroup_id_z 0
		.amdhsa_system_sgpr_workgroup_info 0
		.amdhsa_system_vgpr_workitem_id 0
		.amdhsa_next_free_vgpr 1
		.amdhsa_next_free_sgpr 1
		.amdhsa_named_barrier_count 0
		.amdhsa_reserve_vcc 0
		.amdhsa_float_round_mode_32 0
		.amdhsa_float_round_mode_16_64 0
		.amdhsa_float_denorm_mode_32 3
		.amdhsa_float_denorm_mode_16_64 3
		.amdhsa_fp16_overflow 0
		.amdhsa_memory_ordered 1
		.amdhsa_forward_progress 1
		.amdhsa_inst_pref_size 0
		.amdhsa_round_robin_scheduling 0
		.amdhsa_exception_fp_ieee_invalid_op 0
		.amdhsa_exception_fp_denorm_src 0
		.amdhsa_exception_fp_ieee_div_zero 0
		.amdhsa_exception_fp_ieee_overflow 0
		.amdhsa_exception_fp_ieee_underflow 0
		.amdhsa_exception_fp_ieee_inexact 0
		.amdhsa_exception_int_div_zero 0
	.end_amdhsa_kernel
	.section	.text._ZN7rocprim17ROCPRIM_400000_NS6detail17trampoline_kernelINS0_13kernel_configILj256ELj4ELj4294967295EEENS1_37radix_sort_block_sort_config_selectorIsNS0_10empty_typeEEEZNS1_21radix_sort_block_sortIS4_Lb1EPKsPsPS6_SC_NS0_19identity_decomposerEEE10hipError_tT1_T2_T3_T4_jRjT5_jjP12ihipStream_tbEUlT_E_NS1_11comp_targetILNS1_3genE2ELNS1_11target_archE906ELNS1_3gpuE6ELNS1_3repE0EEENS1_44radix_sort_block_sort_config_static_selectorELNS0_4arch9wavefront6targetE0EEEvSF_,"axG",@progbits,_ZN7rocprim17ROCPRIM_400000_NS6detail17trampoline_kernelINS0_13kernel_configILj256ELj4ELj4294967295EEENS1_37radix_sort_block_sort_config_selectorIsNS0_10empty_typeEEEZNS1_21radix_sort_block_sortIS4_Lb1EPKsPsPS6_SC_NS0_19identity_decomposerEEE10hipError_tT1_T2_T3_T4_jRjT5_jjP12ihipStream_tbEUlT_E_NS1_11comp_targetILNS1_3genE2ELNS1_11target_archE906ELNS1_3gpuE6ELNS1_3repE0EEENS1_44radix_sort_block_sort_config_static_selectorELNS0_4arch9wavefront6targetE0EEEvSF_,comdat
.Lfunc_end506:
	.size	_ZN7rocprim17ROCPRIM_400000_NS6detail17trampoline_kernelINS0_13kernel_configILj256ELj4ELj4294967295EEENS1_37radix_sort_block_sort_config_selectorIsNS0_10empty_typeEEEZNS1_21radix_sort_block_sortIS4_Lb1EPKsPsPS6_SC_NS0_19identity_decomposerEEE10hipError_tT1_T2_T3_T4_jRjT5_jjP12ihipStream_tbEUlT_E_NS1_11comp_targetILNS1_3genE2ELNS1_11target_archE906ELNS1_3gpuE6ELNS1_3repE0EEENS1_44radix_sort_block_sort_config_static_selectorELNS0_4arch9wavefront6targetE0EEEvSF_, .Lfunc_end506-_ZN7rocprim17ROCPRIM_400000_NS6detail17trampoline_kernelINS0_13kernel_configILj256ELj4ELj4294967295EEENS1_37radix_sort_block_sort_config_selectorIsNS0_10empty_typeEEEZNS1_21radix_sort_block_sortIS4_Lb1EPKsPsPS6_SC_NS0_19identity_decomposerEEE10hipError_tT1_T2_T3_T4_jRjT5_jjP12ihipStream_tbEUlT_E_NS1_11comp_targetILNS1_3genE2ELNS1_11target_archE906ELNS1_3gpuE6ELNS1_3repE0EEENS1_44radix_sort_block_sort_config_static_selectorELNS0_4arch9wavefront6targetE0EEEvSF_
                                        ; -- End function
	.set _ZN7rocprim17ROCPRIM_400000_NS6detail17trampoline_kernelINS0_13kernel_configILj256ELj4ELj4294967295EEENS1_37radix_sort_block_sort_config_selectorIsNS0_10empty_typeEEEZNS1_21radix_sort_block_sortIS4_Lb1EPKsPsPS6_SC_NS0_19identity_decomposerEEE10hipError_tT1_T2_T3_T4_jRjT5_jjP12ihipStream_tbEUlT_E_NS1_11comp_targetILNS1_3genE2ELNS1_11target_archE906ELNS1_3gpuE6ELNS1_3repE0EEENS1_44radix_sort_block_sort_config_static_selectorELNS0_4arch9wavefront6targetE0EEEvSF_.num_vgpr, 0
	.set _ZN7rocprim17ROCPRIM_400000_NS6detail17trampoline_kernelINS0_13kernel_configILj256ELj4ELj4294967295EEENS1_37radix_sort_block_sort_config_selectorIsNS0_10empty_typeEEEZNS1_21radix_sort_block_sortIS4_Lb1EPKsPsPS6_SC_NS0_19identity_decomposerEEE10hipError_tT1_T2_T3_T4_jRjT5_jjP12ihipStream_tbEUlT_E_NS1_11comp_targetILNS1_3genE2ELNS1_11target_archE906ELNS1_3gpuE6ELNS1_3repE0EEENS1_44radix_sort_block_sort_config_static_selectorELNS0_4arch9wavefront6targetE0EEEvSF_.num_agpr, 0
	.set _ZN7rocprim17ROCPRIM_400000_NS6detail17trampoline_kernelINS0_13kernel_configILj256ELj4ELj4294967295EEENS1_37radix_sort_block_sort_config_selectorIsNS0_10empty_typeEEEZNS1_21radix_sort_block_sortIS4_Lb1EPKsPsPS6_SC_NS0_19identity_decomposerEEE10hipError_tT1_T2_T3_T4_jRjT5_jjP12ihipStream_tbEUlT_E_NS1_11comp_targetILNS1_3genE2ELNS1_11target_archE906ELNS1_3gpuE6ELNS1_3repE0EEENS1_44radix_sort_block_sort_config_static_selectorELNS0_4arch9wavefront6targetE0EEEvSF_.numbered_sgpr, 0
	.set _ZN7rocprim17ROCPRIM_400000_NS6detail17trampoline_kernelINS0_13kernel_configILj256ELj4ELj4294967295EEENS1_37radix_sort_block_sort_config_selectorIsNS0_10empty_typeEEEZNS1_21radix_sort_block_sortIS4_Lb1EPKsPsPS6_SC_NS0_19identity_decomposerEEE10hipError_tT1_T2_T3_T4_jRjT5_jjP12ihipStream_tbEUlT_E_NS1_11comp_targetILNS1_3genE2ELNS1_11target_archE906ELNS1_3gpuE6ELNS1_3repE0EEENS1_44radix_sort_block_sort_config_static_selectorELNS0_4arch9wavefront6targetE0EEEvSF_.num_named_barrier, 0
	.set _ZN7rocprim17ROCPRIM_400000_NS6detail17trampoline_kernelINS0_13kernel_configILj256ELj4ELj4294967295EEENS1_37radix_sort_block_sort_config_selectorIsNS0_10empty_typeEEEZNS1_21radix_sort_block_sortIS4_Lb1EPKsPsPS6_SC_NS0_19identity_decomposerEEE10hipError_tT1_T2_T3_T4_jRjT5_jjP12ihipStream_tbEUlT_E_NS1_11comp_targetILNS1_3genE2ELNS1_11target_archE906ELNS1_3gpuE6ELNS1_3repE0EEENS1_44radix_sort_block_sort_config_static_selectorELNS0_4arch9wavefront6targetE0EEEvSF_.private_seg_size, 0
	.set _ZN7rocprim17ROCPRIM_400000_NS6detail17trampoline_kernelINS0_13kernel_configILj256ELj4ELj4294967295EEENS1_37radix_sort_block_sort_config_selectorIsNS0_10empty_typeEEEZNS1_21radix_sort_block_sortIS4_Lb1EPKsPsPS6_SC_NS0_19identity_decomposerEEE10hipError_tT1_T2_T3_T4_jRjT5_jjP12ihipStream_tbEUlT_E_NS1_11comp_targetILNS1_3genE2ELNS1_11target_archE906ELNS1_3gpuE6ELNS1_3repE0EEENS1_44radix_sort_block_sort_config_static_selectorELNS0_4arch9wavefront6targetE0EEEvSF_.uses_vcc, 0
	.set _ZN7rocprim17ROCPRIM_400000_NS6detail17trampoline_kernelINS0_13kernel_configILj256ELj4ELj4294967295EEENS1_37radix_sort_block_sort_config_selectorIsNS0_10empty_typeEEEZNS1_21radix_sort_block_sortIS4_Lb1EPKsPsPS6_SC_NS0_19identity_decomposerEEE10hipError_tT1_T2_T3_T4_jRjT5_jjP12ihipStream_tbEUlT_E_NS1_11comp_targetILNS1_3genE2ELNS1_11target_archE906ELNS1_3gpuE6ELNS1_3repE0EEENS1_44radix_sort_block_sort_config_static_selectorELNS0_4arch9wavefront6targetE0EEEvSF_.uses_flat_scratch, 0
	.set _ZN7rocprim17ROCPRIM_400000_NS6detail17trampoline_kernelINS0_13kernel_configILj256ELj4ELj4294967295EEENS1_37radix_sort_block_sort_config_selectorIsNS0_10empty_typeEEEZNS1_21radix_sort_block_sortIS4_Lb1EPKsPsPS6_SC_NS0_19identity_decomposerEEE10hipError_tT1_T2_T3_T4_jRjT5_jjP12ihipStream_tbEUlT_E_NS1_11comp_targetILNS1_3genE2ELNS1_11target_archE906ELNS1_3gpuE6ELNS1_3repE0EEENS1_44radix_sort_block_sort_config_static_selectorELNS0_4arch9wavefront6targetE0EEEvSF_.has_dyn_sized_stack, 0
	.set _ZN7rocprim17ROCPRIM_400000_NS6detail17trampoline_kernelINS0_13kernel_configILj256ELj4ELj4294967295EEENS1_37radix_sort_block_sort_config_selectorIsNS0_10empty_typeEEEZNS1_21radix_sort_block_sortIS4_Lb1EPKsPsPS6_SC_NS0_19identity_decomposerEEE10hipError_tT1_T2_T3_T4_jRjT5_jjP12ihipStream_tbEUlT_E_NS1_11comp_targetILNS1_3genE2ELNS1_11target_archE906ELNS1_3gpuE6ELNS1_3repE0EEENS1_44radix_sort_block_sort_config_static_selectorELNS0_4arch9wavefront6targetE0EEEvSF_.has_recursion, 0
	.set _ZN7rocprim17ROCPRIM_400000_NS6detail17trampoline_kernelINS0_13kernel_configILj256ELj4ELj4294967295EEENS1_37radix_sort_block_sort_config_selectorIsNS0_10empty_typeEEEZNS1_21radix_sort_block_sortIS4_Lb1EPKsPsPS6_SC_NS0_19identity_decomposerEEE10hipError_tT1_T2_T3_T4_jRjT5_jjP12ihipStream_tbEUlT_E_NS1_11comp_targetILNS1_3genE2ELNS1_11target_archE906ELNS1_3gpuE6ELNS1_3repE0EEENS1_44radix_sort_block_sort_config_static_selectorELNS0_4arch9wavefront6targetE0EEEvSF_.has_indirect_call, 0
	.section	.AMDGPU.csdata,"",@progbits
; Kernel info:
; codeLenInByte = 0
; TotalNumSgprs: 0
; NumVgprs: 0
; ScratchSize: 0
; MemoryBound: 0
; FloatMode: 240
; IeeeMode: 1
; LDSByteSize: 0 bytes/workgroup (compile time only)
; SGPRBlocks: 0
; VGPRBlocks: 0
; NumSGPRsForWavesPerEU: 1
; NumVGPRsForWavesPerEU: 1
; NamedBarCnt: 0
; Occupancy: 16
; WaveLimiterHint : 0
; COMPUTE_PGM_RSRC2:SCRATCH_EN: 0
; COMPUTE_PGM_RSRC2:USER_SGPR: 2
; COMPUTE_PGM_RSRC2:TRAP_HANDLER: 0
; COMPUTE_PGM_RSRC2:TGID_X_EN: 1
; COMPUTE_PGM_RSRC2:TGID_Y_EN: 0
; COMPUTE_PGM_RSRC2:TGID_Z_EN: 0
; COMPUTE_PGM_RSRC2:TIDIG_COMP_CNT: 0
	.section	.text._ZN7rocprim17ROCPRIM_400000_NS6detail17trampoline_kernelINS0_13kernel_configILj256ELj4ELj4294967295EEENS1_37radix_sort_block_sort_config_selectorIsNS0_10empty_typeEEEZNS1_21radix_sort_block_sortIS4_Lb1EPKsPsPS6_SC_NS0_19identity_decomposerEEE10hipError_tT1_T2_T3_T4_jRjT5_jjP12ihipStream_tbEUlT_E_NS1_11comp_targetILNS1_3genE10ELNS1_11target_archE1201ELNS1_3gpuE5ELNS1_3repE0EEENS1_44radix_sort_block_sort_config_static_selectorELNS0_4arch9wavefront6targetE0EEEvSF_,"axG",@progbits,_ZN7rocprim17ROCPRIM_400000_NS6detail17trampoline_kernelINS0_13kernel_configILj256ELj4ELj4294967295EEENS1_37radix_sort_block_sort_config_selectorIsNS0_10empty_typeEEEZNS1_21radix_sort_block_sortIS4_Lb1EPKsPsPS6_SC_NS0_19identity_decomposerEEE10hipError_tT1_T2_T3_T4_jRjT5_jjP12ihipStream_tbEUlT_E_NS1_11comp_targetILNS1_3genE10ELNS1_11target_archE1201ELNS1_3gpuE5ELNS1_3repE0EEENS1_44radix_sort_block_sort_config_static_selectorELNS0_4arch9wavefront6targetE0EEEvSF_,comdat
	.protected	_ZN7rocprim17ROCPRIM_400000_NS6detail17trampoline_kernelINS0_13kernel_configILj256ELj4ELj4294967295EEENS1_37radix_sort_block_sort_config_selectorIsNS0_10empty_typeEEEZNS1_21radix_sort_block_sortIS4_Lb1EPKsPsPS6_SC_NS0_19identity_decomposerEEE10hipError_tT1_T2_T3_T4_jRjT5_jjP12ihipStream_tbEUlT_E_NS1_11comp_targetILNS1_3genE10ELNS1_11target_archE1201ELNS1_3gpuE5ELNS1_3repE0EEENS1_44radix_sort_block_sort_config_static_selectorELNS0_4arch9wavefront6targetE0EEEvSF_ ; -- Begin function _ZN7rocprim17ROCPRIM_400000_NS6detail17trampoline_kernelINS0_13kernel_configILj256ELj4ELj4294967295EEENS1_37radix_sort_block_sort_config_selectorIsNS0_10empty_typeEEEZNS1_21radix_sort_block_sortIS4_Lb1EPKsPsPS6_SC_NS0_19identity_decomposerEEE10hipError_tT1_T2_T3_T4_jRjT5_jjP12ihipStream_tbEUlT_E_NS1_11comp_targetILNS1_3genE10ELNS1_11target_archE1201ELNS1_3gpuE5ELNS1_3repE0EEENS1_44radix_sort_block_sort_config_static_selectorELNS0_4arch9wavefront6targetE0EEEvSF_
	.globl	_ZN7rocprim17ROCPRIM_400000_NS6detail17trampoline_kernelINS0_13kernel_configILj256ELj4ELj4294967295EEENS1_37radix_sort_block_sort_config_selectorIsNS0_10empty_typeEEEZNS1_21radix_sort_block_sortIS4_Lb1EPKsPsPS6_SC_NS0_19identity_decomposerEEE10hipError_tT1_T2_T3_T4_jRjT5_jjP12ihipStream_tbEUlT_E_NS1_11comp_targetILNS1_3genE10ELNS1_11target_archE1201ELNS1_3gpuE5ELNS1_3repE0EEENS1_44radix_sort_block_sort_config_static_selectorELNS0_4arch9wavefront6targetE0EEEvSF_
	.p2align	8
	.type	_ZN7rocprim17ROCPRIM_400000_NS6detail17trampoline_kernelINS0_13kernel_configILj256ELj4ELj4294967295EEENS1_37radix_sort_block_sort_config_selectorIsNS0_10empty_typeEEEZNS1_21radix_sort_block_sortIS4_Lb1EPKsPsPS6_SC_NS0_19identity_decomposerEEE10hipError_tT1_T2_T3_T4_jRjT5_jjP12ihipStream_tbEUlT_E_NS1_11comp_targetILNS1_3genE10ELNS1_11target_archE1201ELNS1_3gpuE5ELNS1_3repE0EEENS1_44radix_sort_block_sort_config_static_selectorELNS0_4arch9wavefront6targetE0EEEvSF_,@function
_ZN7rocprim17ROCPRIM_400000_NS6detail17trampoline_kernelINS0_13kernel_configILj256ELj4ELj4294967295EEENS1_37radix_sort_block_sort_config_selectorIsNS0_10empty_typeEEEZNS1_21radix_sort_block_sortIS4_Lb1EPKsPsPS6_SC_NS0_19identity_decomposerEEE10hipError_tT1_T2_T3_T4_jRjT5_jjP12ihipStream_tbEUlT_E_NS1_11comp_targetILNS1_3genE10ELNS1_11target_archE1201ELNS1_3gpuE5ELNS1_3repE0EEENS1_44radix_sort_block_sort_config_static_selectorELNS0_4arch9wavefront6targetE0EEEvSF_: ; @_ZN7rocprim17ROCPRIM_400000_NS6detail17trampoline_kernelINS0_13kernel_configILj256ELj4ELj4294967295EEENS1_37radix_sort_block_sort_config_selectorIsNS0_10empty_typeEEEZNS1_21radix_sort_block_sortIS4_Lb1EPKsPsPS6_SC_NS0_19identity_decomposerEEE10hipError_tT1_T2_T3_T4_jRjT5_jjP12ihipStream_tbEUlT_E_NS1_11comp_targetILNS1_3genE10ELNS1_11target_archE1201ELNS1_3gpuE5ELNS1_3repE0EEENS1_44radix_sort_block_sort_config_static_selectorELNS0_4arch9wavefront6targetE0EEEvSF_
; %bb.0:
	.section	.rodata,"a",@progbits
	.p2align	6, 0x0
	.amdhsa_kernel _ZN7rocprim17ROCPRIM_400000_NS6detail17trampoline_kernelINS0_13kernel_configILj256ELj4ELj4294967295EEENS1_37radix_sort_block_sort_config_selectorIsNS0_10empty_typeEEEZNS1_21radix_sort_block_sortIS4_Lb1EPKsPsPS6_SC_NS0_19identity_decomposerEEE10hipError_tT1_T2_T3_T4_jRjT5_jjP12ihipStream_tbEUlT_E_NS1_11comp_targetILNS1_3genE10ELNS1_11target_archE1201ELNS1_3gpuE5ELNS1_3repE0EEENS1_44radix_sort_block_sort_config_static_selectorELNS0_4arch9wavefront6targetE0EEEvSF_
		.amdhsa_group_segment_fixed_size 0
		.amdhsa_private_segment_fixed_size 0
		.amdhsa_kernarg_size 48
		.amdhsa_user_sgpr_count 2
		.amdhsa_user_sgpr_dispatch_ptr 0
		.amdhsa_user_sgpr_queue_ptr 0
		.amdhsa_user_sgpr_kernarg_segment_ptr 1
		.amdhsa_user_sgpr_dispatch_id 0
		.amdhsa_user_sgpr_kernarg_preload_length 0
		.amdhsa_user_sgpr_kernarg_preload_offset 0
		.amdhsa_user_sgpr_private_segment_size 0
		.amdhsa_wavefront_size32 1
		.amdhsa_uses_dynamic_stack 0
		.amdhsa_enable_private_segment 0
		.amdhsa_system_sgpr_workgroup_id_x 1
		.amdhsa_system_sgpr_workgroup_id_y 0
		.amdhsa_system_sgpr_workgroup_id_z 0
		.amdhsa_system_sgpr_workgroup_info 0
		.amdhsa_system_vgpr_workitem_id 0
		.amdhsa_next_free_vgpr 1
		.amdhsa_next_free_sgpr 1
		.amdhsa_named_barrier_count 0
		.amdhsa_reserve_vcc 0
		.amdhsa_float_round_mode_32 0
		.amdhsa_float_round_mode_16_64 0
		.amdhsa_float_denorm_mode_32 3
		.amdhsa_float_denorm_mode_16_64 3
		.amdhsa_fp16_overflow 0
		.amdhsa_memory_ordered 1
		.amdhsa_forward_progress 1
		.amdhsa_inst_pref_size 0
		.amdhsa_round_robin_scheduling 0
		.amdhsa_exception_fp_ieee_invalid_op 0
		.amdhsa_exception_fp_denorm_src 0
		.amdhsa_exception_fp_ieee_div_zero 0
		.amdhsa_exception_fp_ieee_overflow 0
		.amdhsa_exception_fp_ieee_underflow 0
		.amdhsa_exception_fp_ieee_inexact 0
		.amdhsa_exception_int_div_zero 0
	.end_amdhsa_kernel
	.section	.text._ZN7rocprim17ROCPRIM_400000_NS6detail17trampoline_kernelINS0_13kernel_configILj256ELj4ELj4294967295EEENS1_37radix_sort_block_sort_config_selectorIsNS0_10empty_typeEEEZNS1_21radix_sort_block_sortIS4_Lb1EPKsPsPS6_SC_NS0_19identity_decomposerEEE10hipError_tT1_T2_T3_T4_jRjT5_jjP12ihipStream_tbEUlT_E_NS1_11comp_targetILNS1_3genE10ELNS1_11target_archE1201ELNS1_3gpuE5ELNS1_3repE0EEENS1_44radix_sort_block_sort_config_static_selectorELNS0_4arch9wavefront6targetE0EEEvSF_,"axG",@progbits,_ZN7rocprim17ROCPRIM_400000_NS6detail17trampoline_kernelINS0_13kernel_configILj256ELj4ELj4294967295EEENS1_37radix_sort_block_sort_config_selectorIsNS0_10empty_typeEEEZNS1_21radix_sort_block_sortIS4_Lb1EPKsPsPS6_SC_NS0_19identity_decomposerEEE10hipError_tT1_T2_T3_T4_jRjT5_jjP12ihipStream_tbEUlT_E_NS1_11comp_targetILNS1_3genE10ELNS1_11target_archE1201ELNS1_3gpuE5ELNS1_3repE0EEENS1_44radix_sort_block_sort_config_static_selectorELNS0_4arch9wavefront6targetE0EEEvSF_,comdat
.Lfunc_end507:
	.size	_ZN7rocprim17ROCPRIM_400000_NS6detail17trampoline_kernelINS0_13kernel_configILj256ELj4ELj4294967295EEENS1_37radix_sort_block_sort_config_selectorIsNS0_10empty_typeEEEZNS1_21radix_sort_block_sortIS4_Lb1EPKsPsPS6_SC_NS0_19identity_decomposerEEE10hipError_tT1_T2_T3_T4_jRjT5_jjP12ihipStream_tbEUlT_E_NS1_11comp_targetILNS1_3genE10ELNS1_11target_archE1201ELNS1_3gpuE5ELNS1_3repE0EEENS1_44radix_sort_block_sort_config_static_selectorELNS0_4arch9wavefront6targetE0EEEvSF_, .Lfunc_end507-_ZN7rocprim17ROCPRIM_400000_NS6detail17trampoline_kernelINS0_13kernel_configILj256ELj4ELj4294967295EEENS1_37radix_sort_block_sort_config_selectorIsNS0_10empty_typeEEEZNS1_21radix_sort_block_sortIS4_Lb1EPKsPsPS6_SC_NS0_19identity_decomposerEEE10hipError_tT1_T2_T3_T4_jRjT5_jjP12ihipStream_tbEUlT_E_NS1_11comp_targetILNS1_3genE10ELNS1_11target_archE1201ELNS1_3gpuE5ELNS1_3repE0EEENS1_44radix_sort_block_sort_config_static_selectorELNS0_4arch9wavefront6targetE0EEEvSF_
                                        ; -- End function
	.set _ZN7rocprim17ROCPRIM_400000_NS6detail17trampoline_kernelINS0_13kernel_configILj256ELj4ELj4294967295EEENS1_37radix_sort_block_sort_config_selectorIsNS0_10empty_typeEEEZNS1_21radix_sort_block_sortIS4_Lb1EPKsPsPS6_SC_NS0_19identity_decomposerEEE10hipError_tT1_T2_T3_T4_jRjT5_jjP12ihipStream_tbEUlT_E_NS1_11comp_targetILNS1_3genE10ELNS1_11target_archE1201ELNS1_3gpuE5ELNS1_3repE0EEENS1_44radix_sort_block_sort_config_static_selectorELNS0_4arch9wavefront6targetE0EEEvSF_.num_vgpr, 0
	.set _ZN7rocprim17ROCPRIM_400000_NS6detail17trampoline_kernelINS0_13kernel_configILj256ELj4ELj4294967295EEENS1_37radix_sort_block_sort_config_selectorIsNS0_10empty_typeEEEZNS1_21radix_sort_block_sortIS4_Lb1EPKsPsPS6_SC_NS0_19identity_decomposerEEE10hipError_tT1_T2_T3_T4_jRjT5_jjP12ihipStream_tbEUlT_E_NS1_11comp_targetILNS1_3genE10ELNS1_11target_archE1201ELNS1_3gpuE5ELNS1_3repE0EEENS1_44radix_sort_block_sort_config_static_selectorELNS0_4arch9wavefront6targetE0EEEvSF_.num_agpr, 0
	.set _ZN7rocprim17ROCPRIM_400000_NS6detail17trampoline_kernelINS0_13kernel_configILj256ELj4ELj4294967295EEENS1_37radix_sort_block_sort_config_selectorIsNS0_10empty_typeEEEZNS1_21radix_sort_block_sortIS4_Lb1EPKsPsPS6_SC_NS0_19identity_decomposerEEE10hipError_tT1_T2_T3_T4_jRjT5_jjP12ihipStream_tbEUlT_E_NS1_11comp_targetILNS1_3genE10ELNS1_11target_archE1201ELNS1_3gpuE5ELNS1_3repE0EEENS1_44radix_sort_block_sort_config_static_selectorELNS0_4arch9wavefront6targetE0EEEvSF_.numbered_sgpr, 0
	.set _ZN7rocprim17ROCPRIM_400000_NS6detail17trampoline_kernelINS0_13kernel_configILj256ELj4ELj4294967295EEENS1_37radix_sort_block_sort_config_selectorIsNS0_10empty_typeEEEZNS1_21radix_sort_block_sortIS4_Lb1EPKsPsPS6_SC_NS0_19identity_decomposerEEE10hipError_tT1_T2_T3_T4_jRjT5_jjP12ihipStream_tbEUlT_E_NS1_11comp_targetILNS1_3genE10ELNS1_11target_archE1201ELNS1_3gpuE5ELNS1_3repE0EEENS1_44radix_sort_block_sort_config_static_selectorELNS0_4arch9wavefront6targetE0EEEvSF_.num_named_barrier, 0
	.set _ZN7rocprim17ROCPRIM_400000_NS6detail17trampoline_kernelINS0_13kernel_configILj256ELj4ELj4294967295EEENS1_37radix_sort_block_sort_config_selectorIsNS0_10empty_typeEEEZNS1_21radix_sort_block_sortIS4_Lb1EPKsPsPS6_SC_NS0_19identity_decomposerEEE10hipError_tT1_T2_T3_T4_jRjT5_jjP12ihipStream_tbEUlT_E_NS1_11comp_targetILNS1_3genE10ELNS1_11target_archE1201ELNS1_3gpuE5ELNS1_3repE0EEENS1_44radix_sort_block_sort_config_static_selectorELNS0_4arch9wavefront6targetE0EEEvSF_.private_seg_size, 0
	.set _ZN7rocprim17ROCPRIM_400000_NS6detail17trampoline_kernelINS0_13kernel_configILj256ELj4ELj4294967295EEENS1_37radix_sort_block_sort_config_selectorIsNS0_10empty_typeEEEZNS1_21radix_sort_block_sortIS4_Lb1EPKsPsPS6_SC_NS0_19identity_decomposerEEE10hipError_tT1_T2_T3_T4_jRjT5_jjP12ihipStream_tbEUlT_E_NS1_11comp_targetILNS1_3genE10ELNS1_11target_archE1201ELNS1_3gpuE5ELNS1_3repE0EEENS1_44radix_sort_block_sort_config_static_selectorELNS0_4arch9wavefront6targetE0EEEvSF_.uses_vcc, 0
	.set _ZN7rocprim17ROCPRIM_400000_NS6detail17trampoline_kernelINS0_13kernel_configILj256ELj4ELj4294967295EEENS1_37radix_sort_block_sort_config_selectorIsNS0_10empty_typeEEEZNS1_21radix_sort_block_sortIS4_Lb1EPKsPsPS6_SC_NS0_19identity_decomposerEEE10hipError_tT1_T2_T3_T4_jRjT5_jjP12ihipStream_tbEUlT_E_NS1_11comp_targetILNS1_3genE10ELNS1_11target_archE1201ELNS1_3gpuE5ELNS1_3repE0EEENS1_44radix_sort_block_sort_config_static_selectorELNS0_4arch9wavefront6targetE0EEEvSF_.uses_flat_scratch, 0
	.set _ZN7rocprim17ROCPRIM_400000_NS6detail17trampoline_kernelINS0_13kernel_configILj256ELj4ELj4294967295EEENS1_37radix_sort_block_sort_config_selectorIsNS0_10empty_typeEEEZNS1_21radix_sort_block_sortIS4_Lb1EPKsPsPS6_SC_NS0_19identity_decomposerEEE10hipError_tT1_T2_T3_T4_jRjT5_jjP12ihipStream_tbEUlT_E_NS1_11comp_targetILNS1_3genE10ELNS1_11target_archE1201ELNS1_3gpuE5ELNS1_3repE0EEENS1_44radix_sort_block_sort_config_static_selectorELNS0_4arch9wavefront6targetE0EEEvSF_.has_dyn_sized_stack, 0
	.set _ZN7rocprim17ROCPRIM_400000_NS6detail17trampoline_kernelINS0_13kernel_configILj256ELj4ELj4294967295EEENS1_37radix_sort_block_sort_config_selectorIsNS0_10empty_typeEEEZNS1_21radix_sort_block_sortIS4_Lb1EPKsPsPS6_SC_NS0_19identity_decomposerEEE10hipError_tT1_T2_T3_T4_jRjT5_jjP12ihipStream_tbEUlT_E_NS1_11comp_targetILNS1_3genE10ELNS1_11target_archE1201ELNS1_3gpuE5ELNS1_3repE0EEENS1_44radix_sort_block_sort_config_static_selectorELNS0_4arch9wavefront6targetE0EEEvSF_.has_recursion, 0
	.set _ZN7rocprim17ROCPRIM_400000_NS6detail17trampoline_kernelINS0_13kernel_configILj256ELj4ELj4294967295EEENS1_37radix_sort_block_sort_config_selectorIsNS0_10empty_typeEEEZNS1_21radix_sort_block_sortIS4_Lb1EPKsPsPS6_SC_NS0_19identity_decomposerEEE10hipError_tT1_T2_T3_T4_jRjT5_jjP12ihipStream_tbEUlT_E_NS1_11comp_targetILNS1_3genE10ELNS1_11target_archE1201ELNS1_3gpuE5ELNS1_3repE0EEENS1_44radix_sort_block_sort_config_static_selectorELNS0_4arch9wavefront6targetE0EEEvSF_.has_indirect_call, 0
	.section	.AMDGPU.csdata,"",@progbits
; Kernel info:
; codeLenInByte = 0
; TotalNumSgprs: 0
; NumVgprs: 0
; ScratchSize: 0
; MemoryBound: 0
; FloatMode: 240
; IeeeMode: 1
; LDSByteSize: 0 bytes/workgroup (compile time only)
; SGPRBlocks: 0
; VGPRBlocks: 0
; NumSGPRsForWavesPerEU: 1
; NumVGPRsForWavesPerEU: 1
; NamedBarCnt: 0
; Occupancy: 16
; WaveLimiterHint : 0
; COMPUTE_PGM_RSRC2:SCRATCH_EN: 0
; COMPUTE_PGM_RSRC2:USER_SGPR: 2
; COMPUTE_PGM_RSRC2:TRAP_HANDLER: 0
; COMPUTE_PGM_RSRC2:TGID_X_EN: 1
; COMPUTE_PGM_RSRC2:TGID_Y_EN: 0
; COMPUTE_PGM_RSRC2:TGID_Z_EN: 0
; COMPUTE_PGM_RSRC2:TIDIG_COMP_CNT: 0
	.section	.text._ZN7rocprim17ROCPRIM_400000_NS6detail17trampoline_kernelINS0_13kernel_configILj256ELj4ELj4294967295EEENS1_37radix_sort_block_sort_config_selectorIsNS0_10empty_typeEEEZNS1_21radix_sort_block_sortIS4_Lb1EPKsPsPS6_SC_NS0_19identity_decomposerEEE10hipError_tT1_T2_T3_T4_jRjT5_jjP12ihipStream_tbEUlT_E_NS1_11comp_targetILNS1_3genE10ELNS1_11target_archE1200ELNS1_3gpuE4ELNS1_3repE0EEENS1_44radix_sort_block_sort_config_static_selectorELNS0_4arch9wavefront6targetE0EEEvSF_,"axG",@progbits,_ZN7rocprim17ROCPRIM_400000_NS6detail17trampoline_kernelINS0_13kernel_configILj256ELj4ELj4294967295EEENS1_37radix_sort_block_sort_config_selectorIsNS0_10empty_typeEEEZNS1_21radix_sort_block_sortIS4_Lb1EPKsPsPS6_SC_NS0_19identity_decomposerEEE10hipError_tT1_T2_T3_T4_jRjT5_jjP12ihipStream_tbEUlT_E_NS1_11comp_targetILNS1_3genE10ELNS1_11target_archE1200ELNS1_3gpuE4ELNS1_3repE0EEENS1_44radix_sort_block_sort_config_static_selectorELNS0_4arch9wavefront6targetE0EEEvSF_,comdat
	.protected	_ZN7rocprim17ROCPRIM_400000_NS6detail17trampoline_kernelINS0_13kernel_configILj256ELj4ELj4294967295EEENS1_37radix_sort_block_sort_config_selectorIsNS0_10empty_typeEEEZNS1_21radix_sort_block_sortIS4_Lb1EPKsPsPS6_SC_NS0_19identity_decomposerEEE10hipError_tT1_T2_T3_T4_jRjT5_jjP12ihipStream_tbEUlT_E_NS1_11comp_targetILNS1_3genE10ELNS1_11target_archE1200ELNS1_3gpuE4ELNS1_3repE0EEENS1_44radix_sort_block_sort_config_static_selectorELNS0_4arch9wavefront6targetE0EEEvSF_ ; -- Begin function _ZN7rocprim17ROCPRIM_400000_NS6detail17trampoline_kernelINS0_13kernel_configILj256ELj4ELj4294967295EEENS1_37radix_sort_block_sort_config_selectorIsNS0_10empty_typeEEEZNS1_21radix_sort_block_sortIS4_Lb1EPKsPsPS6_SC_NS0_19identity_decomposerEEE10hipError_tT1_T2_T3_T4_jRjT5_jjP12ihipStream_tbEUlT_E_NS1_11comp_targetILNS1_3genE10ELNS1_11target_archE1200ELNS1_3gpuE4ELNS1_3repE0EEENS1_44radix_sort_block_sort_config_static_selectorELNS0_4arch9wavefront6targetE0EEEvSF_
	.globl	_ZN7rocprim17ROCPRIM_400000_NS6detail17trampoline_kernelINS0_13kernel_configILj256ELj4ELj4294967295EEENS1_37radix_sort_block_sort_config_selectorIsNS0_10empty_typeEEEZNS1_21radix_sort_block_sortIS4_Lb1EPKsPsPS6_SC_NS0_19identity_decomposerEEE10hipError_tT1_T2_T3_T4_jRjT5_jjP12ihipStream_tbEUlT_E_NS1_11comp_targetILNS1_3genE10ELNS1_11target_archE1200ELNS1_3gpuE4ELNS1_3repE0EEENS1_44radix_sort_block_sort_config_static_selectorELNS0_4arch9wavefront6targetE0EEEvSF_
	.p2align	8
	.type	_ZN7rocprim17ROCPRIM_400000_NS6detail17trampoline_kernelINS0_13kernel_configILj256ELj4ELj4294967295EEENS1_37radix_sort_block_sort_config_selectorIsNS0_10empty_typeEEEZNS1_21radix_sort_block_sortIS4_Lb1EPKsPsPS6_SC_NS0_19identity_decomposerEEE10hipError_tT1_T2_T3_T4_jRjT5_jjP12ihipStream_tbEUlT_E_NS1_11comp_targetILNS1_3genE10ELNS1_11target_archE1200ELNS1_3gpuE4ELNS1_3repE0EEENS1_44radix_sort_block_sort_config_static_selectorELNS0_4arch9wavefront6targetE0EEEvSF_,@function
_ZN7rocprim17ROCPRIM_400000_NS6detail17trampoline_kernelINS0_13kernel_configILj256ELj4ELj4294967295EEENS1_37radix_sort_block_sort_config_selectorIsNS0_10empty_typeEEEZNS1_21radix_sort_block_sortIS4_Lb1EPKsPsPS6_SC_NS0_19identity_decomposerEEE10hipError_tT1_T2_T3_T4_jRjT5_jjP12ihipStream_tbEUlT_E_NS1_11comp_targetILNS1_3genE10ELNS1_11target_archE1200ELNS1_3gpuE4ELNS1_3repE0EEENS1_44radix_sort_block_sort_config_static_selectorELNS0_4arch9wavefront6targetE0EEEvSF_: ; @_ZN7rocprim17ROCPRIM_400000_NS6detail17trampoline_kernelINS0_13kernel_configILj256ELj4ELj4294967295EEENS1_37radix_sort_block_sort_config_selectorIsNS0_10empty_typeEEEZNS1_21radix_sort_block_sortIS4_Lb1EPKsPsPS6_SC_NS0_19identity_decomposerEEE10hipError_tT1_T2_T3_T4_jRjT5_jjP12ihipStream_tbEUlT_E_NS1_11comp_targetILNS1_3genE10ELNS1_11target_archE1200ELNS1_3gpuE4ELNS1_3repE0EEENS1_44radix_sort_block_sort_config_static_selectorELNS0_4arch9wavefront6targetE0EEEvSF_
; %bb.0:
	.section	.rodata,"a",@progbits
	.p2align	6, 0x0
	.amdhsa_kernel _ZN7rocprim17ROCPRIM_400000_NS6detail17trampoline_kernelINS0_13kernel_configILj256ELj4ELj4294967295EEENS1_37radix_sort_block_sort_config_selectorIsNS0_10empty_typeEEEZNS1_21radix_sort_block_sortIS4_Lb1EPKsPsPS6_SC_NS0_19identity_decomposerEEE10hipError_tT1_T2_T3_T4_jRjT5_jjP12ihipStream_tbEUlT_E_NS1_11comp_targetILNS1_3genE10ELNS1_11target_archE1200ELNS1_3gpuE4ELNS1_3repE0EEENS1_44radix_sort_block_sort_config_static_selectorELNS0_4arch9wavefront6targetE0EEEvSF_
		.amdhsa_group_segment_fixed_size 0
		.amdhsa_private_segment_fixed_size 0
		.amdhsa_kernarg_size 48
		.amdhsa_user_sgpr_count 2
		.amdhsa_user_sgpr_dispatch_ptr 0
		.amdhsa_user_sgpr_queue_ptr 0
		.amdhsa_user_sgpr_kernarg_segment_ptr 1
		.amdhsa_user_sgpr_dispatch_id 0
		.amdhsa_user_sgpr_kernarg_preload_length 0
		.amdhsa_user_sgpr_kernarg_preload_offset 0
		.amdhsa_user_sgpr_private_segment_size 0
		.amdhsa_wavefront_size32 1
		.amdhsa_uses_dynamic_stack 0
		.amdhsa_enable_private_segment 0
		.amdhsa_system_sgpr_workgroup_id_x 1
		.amdhsa_system_sgpr_workgroup_id_y 0
		.amdhsa_system_sgpr_workgroup_id_z 0
		.amdhsa_system_sgpr_workgroup_info 0
		.amdhsa_system_vgpr_workitem_id 0
		.amdhsa_next_free_vgpr 1
		.amdhsa_next_free_sgpr 1
		.amdhsa_named_barrier_count 0
		.amdhsa_reserve_vcc 0
		.amdhsa_float_round_mode_32 0
		.amdhsa_float_round_mode_16_64 0
		.amdhsa_float_denorm_mode_32 3
		.amdhsa_float_denorm_mode_16_64 3
		.amdhsa_fp16_overflow 0
		.amdhsa_memory_ordered 1
		.amdhsa_forward_progress 1
		.amdhsa_inst_pref_size 0
		.amdhsa_round_robin_scheduling 0
		.amdhsa_exception_fp_ieee_invalid_op 0
		.amdhsa_exception_fp_denorm_src 0
		.amdhsa_exception_fp_ieee_div_zero 0
		.amdhsa_exception_fp_ieee_overflow 0
		.amdhsa_exception_fp_ieee_underflow 0
		.amdhsa_exception_fp_ieee_inexact 0
		.amdhsa_exception_int_div_zero 0
	.end_amdhsa_kernel
	.section	.text._ZN7rocprim17ROCPRIM_400000_NS6detail17trampoline_kernelINS0_13kernel_configILj256ELj4ELj4294967295EEENS1_37radix_sort_block_sort_config_selectorIsNS0_10empty_typeEEEZNS1_21radix_sort_block_sortIS4_Lb1EPKsPsPS6_SC_NS0_19identity_decomposerEEE10hipError_tT1_T2_T3_T4_jRjT5_jjP12ihipStream_tbEUlT_E_NS1_11comp_targetILNS1_3genE10ELNS1_11target_archE1200ELNS1_3gpuE4ELNS1_3repE0EEENS1_44radix_sort_block_sort_config_static_selectorELNS0_4arch9wavefront6targetE0EEEvSF_,"axG",@progbits,_ZN7rocprim17ROCPRIM_400000_NS6detail17trampoline_kernelINS0_13kernel_configILj256ELj4ELj4294967295EEENS1_37radix_sort_block_sort_config_selectorIsNS0_10empty_typeEEEZNS1_21radix_sort_block_sortIS4_Lb1EPKsPsPS6_SC_NS0_19identity_decomposerEEE10hipError_tT1_T2_T3_T4_jRjT5_jjP12ihipStream_tbEUlT_E_NS1_11comp_targetILNS1_3genE10ELNS1_11target_archE1200ELNS1_3gpuE4ELNS1_3repE0EEENS1_44radix_sort_block_sort_config_static_selectorELNS0_4arch9wavefront6targetE0EEEvSF_,comdat
.Lfunc_end508:
	.size	_ZN7rocprim17ROCPRIM_400000_NS6detail17trampoline_kernelINS0_13kernel_configILj256ELj4ELj4294967295EEENS1_37radix_sort_block_sort_config_selectorIsNS0_10empty_typeEEEZNS1_21radix_sort_block_sortIS4_Lb1EPKsPsPS6_SC_NS0_19identity_decomposerEEE10hipError_tT1_T2_T3_T4_jRjT5_jjP12ihipStream_tbEUlT_E_NS1_11comp_targetILNS1_3genE10ELNS1_11target_archE1200ELNS1_3gpuE4ELNS1_3repE0EEENS1_44radix_sort_block_sort_config_static_selectorELNS0_4arch9wavefront6targetE0EEEvSF_, .Lfunc_end508-_ZN7rocprim17ROCPRIM_400000_NS6detail17trampoline_kernelINS0_13kernel_configILj256ELj4ELj4294967295EEENS1_37radix_sort_block_sort_config_selectorIsNS0_10empty_typeEEEZNS1_21radix_sort_block_sortIS4_Lb1EPKsPsPS6_SC_NS0_19identity_decomposerEEE10hipError_tT1_T2_T3_T4_jRjT5_jjP12ihipStream_tbEUlT_E_NS1_11comp_targetILNS1_3genE10ELNS1_11target_archE1200ELNS1_3gpuE4ELNS1_3repE0EEENS1_44radix_sort_block_sort_config_static_selectorELNS0_4arch9wavefront6targetE0EEEvSF_
                                        ; -- End function
	.set _ZN7rocprim17ROCPRIM_400000_NS6detail17trampoline_kernelINS0_13kernel_configILj256ELj4ELj4294967295EEENS1_37radix_sort_block_sort_config_selectorIsNS0_10empty_typeEEEZNS1_21radix_sort_block_sortIS4_Lb1EPKsPsPS6_SC_NS0_19identity_decomposerEEE10hipError_tT1_T2_T3_T4_jRjT5_jjP12ihipStream_tbEUlT_E_NS1_11comp_targetILNS1_3genE10ELNS1_11target_archE1200ELNS1_3gpuE4ELNS1_3repE0EEENS1_44radix_sort_block_sort_config_static_selectorELNS0_4arch9wavefront6targetE0EEEvSF_.num_vgpr, 0
	.set _ZN7rocprim17ROCPRIM_400000_NS6detail17trampoline_kernelINS0_13kernel_configILj256ELj4ELj4294967295EEENS1_37radix_sort_block_sort_config_selectorIsNS0_10empty_typeEEEZNS1_21radix_sort_block_sortIS4_Lb1EPKsPsPS6_SC_NS0_19identity_decomposerEEE10hipError_tT1_T2_T3_T4_jRjT5_jjP12ihipStream_tbEUlT_E_NS1_11comp_targetILNS1_3genE10ELNS1_11target_archE1200ELNS1_3gpuE4ELNS1_3repE0EEENS1_44radix_sort_block_sort_config_static_selectorELNS0_4arch9wavefront6targetE0EEEvSF_.num_agpr, 0
	.set _ZN7rocprim17ROCPRIM_400000_NS6detail17trampoline_kernelINS0_13kernel_configILj256ELj4ELj4294967295EEENS1_37radix_sort_block_sort_config_selectorIsNS0_10empty_typeEEEZNS1_21radix_sort_block_sortIS4_Lb1EPKsPsPS6_SC_NS0_19identity_decomposerEEE10hipError_tT1_T2_T3_T4_jRjT5_jjP12ihipStream_tbEUlT_E_NS1_11comp_targetILNS1_3genE10ELNS1_11target_archE1200ELNS1_3gpuE4ELNS1_3repE0EEENS1_44radix_sort_block_sort_config_static_selectorELNS0_4arch9wavefront6targetE0EEEvSF_.numbered_sgpr, 0
	.set _ZN7rocprim17ROCPRIM_400000_NS6detail17trampoline_kernelINS0_13kernel_configILj256ELj4ELj4294967295EEENS1_37radix_sort_block_sort_config_selectorIsNS0_10empty_typeEEEZNS1_21radix_sort_block_sortIS4_Lb1EPKsPsPS6_SC_NS0_19identity_decomposerEEE10hipError_tT1_T2_T3_T4_jRjT5_jjP12ihipStream_tbEUlT_E_NS1_11comp_targetILNS1_3genE10ELNS1_11target_archE1200ELNS1_3gpuE4ELNS1_3repE0EEENS1_44radix_sort_block_sort_config_static_selectorELNS0_4arch9wavefront6targetE0EEEvSF_.num_named_barrier, 0
	.set _ZN7rocprim17ROCPRIM_400000_NS6detail17trampoline_kernelINS0_13kernel_configILj256ELj4ELj4294967295EEENS1_37radix_sort_block_sort_config_selectorIsNS0_10empty_typeEEEZNS1_21radix_sort_block_sortIS4_Lb1EPKsPsPS6_SC_NS0_19identity_decomposerEEE10hipError_tT1_T2_T3_T4_jRjT5_jjP12ihipStream_tbEUlT_E_NS1_11comp_targetILNS1_3genE10ELNS1_11target_archE1200ELNS1_3gpuE4ELNS1_3repE0EEENS1_44radix_sort_block_sort_config_static_selectorELNS0_4arch9wavefront6targetE0EEEvSF_.private_seg_size, 0
	.set _ZN7rocprim17ROCPRIM_400000_NS6detail17trampoline_kernelINS0_13kernel_configILj256ELj4ELj4294967295EEENS1_37radix_sort_block_sort_config_selectorIsNS0_10empty_typeEEEZNS1_21radix_sort_block_sortIS4_Lb1EPKsPsPS6_SC_NS0_19identity_decomposerEEE10hipError_tT1_T2_T3_T4_jRjT5_jjP12ihipStream_tbEUlT_E_NS1_11comp_targetILNS1_3genE10ELNS1_11target_archE1200ELNS1_3gpuE4ELNS1_3repE0EEENS1_44radix_sort_block_sort_config_static_selectorELNS0_4arch9wavefront6targetE0EEEvSF_.uses_vcc, 0
	.set _ZN7rocprim17ROCPRIM_400000_NS6detail17trampoline_kernelINS0_13kernel_configILj256ELj4ELj4294967295EEENS1_37radix_sort_block_sort_config_selectorIsNS0_10empty_typeEEEZNS1_21radix_sort_block_sortIS4_Lb1EPKsPsPS6_SC_NS0_19identity_decomposerEEE10hipError_tT1_T2_T3_T4_jRjT5_jjP12ihipStream_tbEUlT_E_NS1_11comp_targetILNS1_3genE10ELNS1_11target_archE1200ELNS1_3gpuE4ELNS1_3repE0EEENS1_44radix_sort_block_sort_config_static_selectorELNS0_4arch9wavefront6targetE0EEEvSF_.uses_flat_scratch, 0
	.set _ZN7rocprim17ROCPRIM_400000_NS6detail17trampoline_kernelINS0_13kernel_configILj256ELj4ELj4294967295EEENS1_37radix_sort_block_sort_config_selectorIsNS0_10empty_typeEEEZNS1_21radix_sort_block_sortIS4_Lb1EPKsPsPS6_SC_NS0_19identity_decomposerEEE10hipError_tT1_T2_T3_T4_jRjT5_jjP12ihipStream_tbEUlT_E_NS1_11comp_targetILNS1_3genE10ELNS1_11target_archE1200ELNS1_3gpuE4ELNS1_3repE0EEENS1_44radix_sort_block_sort_config_static_selectorELNS0_4arch9wavefront6targetE0EEEvSF_.has_dyn_sized_stack, 0
	.set _ZN7rocprim17ROCPRIM_400000_NS6detail17trampoline_kernelINS0_13kernel_configILj256ELj4ELj4294967295EEENS1_37radix_sort_block_sort_config_selectorIsNS0_10empty_typeEEEZNS1_21radix_sort_block_sortIS4_Lb1EPKsPsPS6_SC_NS0_19identity_decomposerEEE10hipError_tT1_T2_T3_T4_jRjT5_jjP12ihipStream_tbEUlT_E_NS1_11comp_targetILNS1_3genE10ELNS1_11target_archE1200ELNS1_3gpuE4ELNS1_3repE0EEENS1_44radix_sort_block_sort_config_static_selectorELNS0_4arch9wavefront6targetE0EEEvSF_.has_recursion, 0
	.set _ZN7rocprim17ROCPRIM_400000_NS6detail17trampoline_kernelINS0_13kernel_configILj256ELj4ELj4294967295EEENS1_37radix_sort_block_sort_config_selectorIsNS0_10empty_typeEEEZNS1_21radix_sort_block_sortIS4_Lb1EPKsPsPS6_SC_NS0_19identity_decomposerEEE10hipError_tT1_T2_T3_T4_jRjT5_jjP12ihipStream_tbEUlT_E_NS1_11comp_targetILNS1_3genE10ELNS1_11target_archE1200ELNS1_3gpuE4ELNS1_3repE0EEENS1_44radix_sort_block_sort_config_static_selectorELNS0_4arch9wavefront6targetE0EEEvSF_.has_indirect_call, 0
	.section	.AMDGPU.csdata,"",@progbits
; Kernel info:
; codeLenInByte = 0
; TotalNumSgprs: 0
; NumVgprs: 0
; ScratchSize: 0
; MemoryBound: 0
; FloatMode: 240
; IeeeMode: 1
; LDSByteSize: 0 bytes/workgroup (compile time only)
; SGPRBlocks: 0
; VGPRBlocks: 0
; NumSGPRsForWavesPerEU: 1
; NumVGPRsForWavesPerEU: 1
; NamedBarCnt: 0
; Occupancy: 16
; WaveLimiterHint : 0
; COMPUTE_PGM_RSRC2:SCRATCH_EN: 0
; COMPUTE_PGM_RSRC2:USER_SGPR: 2
; COMPUTE_PGM_RSRC2:TRAP_HANDLER: 0
; COMPUTE_PGM_RSRC2:TGID_X_EN: 1
; COMPUTE_PGM_RSRC2:TGID_Y_EN: 0
; COMPUTE_PGM_RSRC2:TGID_Z_EN: 0
; COMPUTE_PGM_RSRC2:TIDIG_COMP_CNT: 0
	.section	.text._ZN7rocprim17ROCPRIM_400000_NS6detail17trampoline_kernelINS0_13kernel_configILj256ELj4ELj4294967295EEENS1_37radix_sort_block_sort_config_selectorIsNS0_10empty_typeEEEZNS1_21radix_sort_block_sortIS4_Lb1EPKsPsPS6_SC_NS0_19identity_decomposerEEE10hipError_tT1_T2_T3_T4_jRjT5_jjP12ihipStream_tbEUlT_E_NS1_11comp_targetILNS1_3genE9ELNS1_11target_archE1100ELNS1_3gpuE3ELNS1_3repE0EEENS1_44radix_sort_block_sort_config_static_selectorELNS0_4arch9wavefront6targetE0EEEvSF_,"axG",@progbits,_ZN7rocprim17ROCPRIM_400000_NS6detail17trampoline_kernelINS0_13kernel_configILj256ELj4ELj4294967295EEENS1_37radix_sort_block_sort_config_selectorIsNS0_10empty_typeEEEZNS1_21radix_sort_block_sortIS4_Lb1EPKsPsPS6_SC_NS0_19identity_decomposerEEE10hipError_tT1_T2_T3_T4_jRjT5_jjP12ihipStream_tbEUlT_E_NS1_11comp_targetILNS1_3genE9ELNS1_11target_archE1100ELNS1_3gpuE3ELNS1_3repE0EEENS1_44radix_sort_block_sort_config_static_selectorELNS0_4arch9wavefront6targetE0EEEvSF_,comdat
	.protected	_ZN7rocprim17ROCPRIM_400000_NS6detail17trampoline_kernelINS0_13kernel_configILj256ELj4ELj4294967295EEENS1_37radix_sort_block_sort_config_selectorIsNS0_10empty_typeEEEZNS1_21radix_sort_block_sortIS4_Lb1EPKsPsPS6_SC_NS0_19identity_decomposerEEE10hipError_tT1_T2_T3_T4_jRjT5_jjP12ihipStream_tbEUlT_E_NS1_11comp_targetILNS1_3genE9ELNS1_11target_archE1100ELNS1_3gpuE3ELNS1_3repE0EEENS1_44radix_sort_block_sort_config_static_selectorELNS0_4arch9wavefront6targetE0EEEvSF_ ; -- Begin function _ZN7rocprim17ROCPRIM_400000_NS6detail17trampoline_kernelINS0_13kernel_configILj256ELj4ELj4294967295EEENS1_37radix_sort_block_sort_config_selectorIsNS0_10empty_typeEEEZNS1_21radix_sort_block_sortIS4_Lb1EPKsPsPS6_SC_NS0_19identity_decomposerEEE10hipError_tT1_T2_T3_T4_jRjT5_jjP12ihipStream_tbEUlT_E_NS1_11comp_targetILNS1_3genE9ELNS1_11target_archE1100ELNS1_3gpuE3ELNS1_3repE0EEENS1_44radix_sort_block_sort_config_static_selectorELNS0_4arch9wavefront6targetE0EEEvSF_
	.globl	_ZN7rocprim17ROCPRIM_400000_NS6detail17trampoline_kernelINS0_13kernel_configILj256ELj4ELj4294967295EEENS1_37radix_sort_block_sort_config_selectorIsNS0_10empty_typeEEEZNS1_21radix_sort_block_sortIS4_Lb1EPKsPsPS6_SC_NS0_19identity_decomposerEEE10hipError_tT1_T2_T3_T4_jRjT5_jjP12ihipStream_tbEUlT_E_NS1_11comp_targetILNS1_3genE9ELNS1_11target_archE1100ELNS1_3gpuE3ELNS1_3repE0EEENS1_44radix_sort_block_sort_config_static_selectorELNS0_4arch9wavefront6targetE0EEEvSF_
	.p2align	8
	.type	_ZN7rocprim17ROCPRIM_400000_NS6detail17trampoline_kernelINS0_13kernel_configILj256ELj4ELj4294967295EEENS1_37radix_sort_block_sort_config_selectorIsNS0_10empty_typeEEEZNS1_21radix_sort_block_sortIS4_Lb1EPKsPsPS6_SC_NS0_19identity_decomposerEEE10hipError_tT1_T2_T3_T4_jRjT5_jjP12ihipStream_tbEUlT_E_NS1_11comp_targetILNS1_3genE9ELNS1_11target_archE1100ELNS1_3gpuE3ELNS1_3repE0EEENS1_44radix_sort_block_sort_config_static_selectorELNS0_4arch9wavefront6targetE0EEEvSF_,@function
_ZN7rocprim17ROCPRIM_400000_NS6detail17trampoline_kernelINS0_13kernel_configILj256ELj4ELj4294967295EEENS1_37radix_sort_block_sort_config_selectorIsNS0_10empty_typeEEEZNS1_21radix_sort_block_sortIS4_Lb1EPKsPsPS6_SC_NS0_19identity_decomposerEEE10hipError_tT1_T2_T3_T4_jRjT5_jjP12ihipStream_tbEUlT_E_NS1_11comp_targetILNS1_3genE9ELNS1_11target_archE1100ELNS1_3gpuE3ELNS1_3repE0EEENS1_44radix_sort_block_sort_config_static_selectorELNS0_4arch9wavefront6targetE0EEEvSF_: ; @_ZN7rocprim17ROCPRIM_400000_NS6detail17trampoline_kernelINS0_13kernel_configILj256ELj4ELj4294967295EEENS1_37radix_sort_block_sort_config_selectorIsNS0_10empty_typeEEEZNS1_21radix_sort_block_sortIS4_Lb1EPKsPsPS6_SC_NS0_19identity_decomposerEEE10hipError_tT1_T2_T3_T4_jRjT5_jjP12ihipStream_tbEUlT_E_NS1_11comp_targetILNS1_3genE9ELNS1_11target_archE1100ELNS1_3gpuE3ELNS1_3repE0EEENS1_44radix_sort_block_sort_config_static_selectorELNS0_4arch9wavefront6targetE0EEEvSF_
; %bb.0:
	.section	.rodata,"a",@progbits
	.p2align	6, 0x0
	.amdhsa_kernel _ZN7rocprim17ROCPRIM_400000_NS6detail17trampoline_kernelINS0_13kernel_configILj256ELj4ELj4294967295EEENS1_37radix_sort_block_sort_config_selectorIsNS0_10empty_typeEEEZNS1_21radix_sort_block_sortIS4_Lb1EPKsPsPS6_SC_NS0_19identity_decomposerEEE10hipError_tT1_T2_T3_T4_jRjT5_jjP12ihipStream_tbEUlT_E_NS1_11comp_targetILNS1_3genE9ELNS1_11target_archE1100ELNS1_3gpuE3ELNS1_3repE0EEENS1_44radix_sort_block_sort_config_static_selectorELNS0_4arch9wavefront6targetE0EEEvSF_
		.amdhsa_group_segment_fixed_size 0
		.amdhsa_private_segment_fixed_size 0
		.amdhsa_kernarg_size 48
		.amdhsa_user_sgpr_count 2
		.amdhsa_user_sgpr_dispatch_ptr 0
		.amdhsa_user_sgpr_queue_ptr 0
		.amdhsa_user_sgpr_kernarg_segment_ptr 1
		.amdhsa_user_sgpr_dispatch_id 0
		.amdhsa_user_sgpr_kernarg_preload_length 0
		.amdhsa_user_sgpr_kernarg_preload_offset 0
		.amdhsa_user_sgpr_private_segment_size 0
		.amdhsa_wavefront_size32 1
		.amdhsa_uses_dynamic_stack 0
		.amdhsa_enable_private_segment 0
		.amdhsa_system_sgpr_workgroup_id_x 1
		.amdhsa_system_sgpr_workgroup_id_y 0
		.amdhsa_system_sgpr_workgroup_id_z 0
		.amdhsa_system_sgpr_workgroup_info 0
		.amdhsa_system_vgpr_workitem_id 0
		.amdhsa_next_free_vgpr 1
		.amdhsa_next_free_sgpr 1
		.amdhsa_named_barrier_count 0
		.amdhsa_reserve_vcc 0
		.amdhsa_float_round_mode_32 0
		.amdhsa_float_round_mode_16_64 0
		.amdhsa_float_denorm_mode_32 3
		.amdhsa_float_denorm_mode_16_64 3
		.amdhsa_fp16_overflow 0
		.amdhsa_memory_ordered 1
		.amdhsa_forward_progress 1
		.amdhsa_inst_pref_size 0
		.amdhsa_round_robin_scheduling 0
		.amdhsa_exception_fp_ieee_invalid_op 0
		.amdhsa_exception_fp_denorm_src 0
		.amdhsa_exception_fp_ieee_div_zero 0
		.amdhsa_exception_fp_ieee_overflow 0
		.amdhsa_exception_fp_ieee_underflow 0
		.amdhsa_exception_fp_ieee_inexact 0
		.amdhsa_exception_int_div_zero 0
	.end_amdhsa_kernel
	.section	.text._ZN7rocprim17ROCPRIM_400000_NS6detail17trampoline_kernelINS0_13kernel_configILj256ELj4ELj4294967295EEENS1_37radix_sort_block_sort_config_selectorIsNS0_10empty_typeEEEZNS1_21radix_sort_block_sortIS4_Lb1EPKsPsPS6_SC_NS0_19identity_decomposerEEE10hipError_tT1_T2_T3_T4_jRjT5_jjP12ihipStream_tbEUlT_E_NS1_11comp_targetILNS1_3genE9ELNS1_11target_archE1100ELNS1_3gpuE3ELNS1_3repE0EEENS1_44radix_sort_block_sort_config_static_selectorELNS0_4arch9wavefront6targetE0EEEvSF_,"axG",@progbits,_ZN7rocprim17ROCPRIM_400000_NS6detail17trampoline_kernelINS0_13kernel_configILj256ELj4ELj4294967295EEENS1_37radix_sort_block_sort_config_selectorIsNS0_10empty_typeEEEZNS1_21radix_sort_block_sortIS4_Lb1EPKsPsPS6_SC_NS0_19identity_decomposerEEE10hipError_tT1_T2_T3_T4_jRjT5_jjP12ihipStream_tbEUlT_E_NS1_11comp_targetILNS1_3genE9ELNS1_11target_archE1100ELNS1_3gpuE3ELNS1_3repE0EEENS1_44radix_sort_block_sort_config_static_selectorELNS0_4arch9wavefront6targetE0EEEvSF_,comdat
.Lfunc_end509:
	.size	_ZN7rocprim17ROCPRIM_400000_NS6detail17trampoline_kernelINS0_13kernel_configILj256ELj4ELj4294967295EEENS1_37radix_sort_block_sort_config_selectorIsNS0_10empty_typeEEEZNS1_21radix_sort_block_sortIS4_Lb1EPKsPsPS6_SC_NS0_19identity_decomposerEEE10hipError_tT1_T2_T3_T4_jRjT5_jjP12ihipStream_tbEUlT_E_NS1_11comp_targetILNS1_3genE9ELNS1_11target_archE1100ELNS1_3gpuE3ELNS1_3repE0EEENS1_44radix_sort_block_sort_config_static_selectorELNS0_4arch9wavefront6targetE0EEEvSF_, .Lfunc_end509-_ZN7rocprim17ROCPRIM_400000_NS6detail17trampoline_kernelINS0_13kernel_configILj256ELj4ELj4294967295EEENS1_37radix_sort_block_sort_config_selectorIsNS0_10empty_typeEEEZNS1_21radix_sort_block_sortIS4_Lb1EPKsPsPS6_SC_NS0_19identity_decomposerEEE10hipError_tT1_T2_T3_T4_jRjT5_jjP12ihipStream_tbEUlT_E_NS1_11comp_targetILNS1_3genE9ELNS1_11target_archE1100ELNS1_3gpuE3ELNS1_3repE0EEENS1_44radix_sort_block_sort_config_static_selectorELNS0_4arch9wavefront6targetE0EEEvSF_
                                        ; -- End function
	.set _ZN7rocprim17ROCPRIM_400000_NS6detail17trampoline_kernelINS0_13kernel_configILj256ELj4ELj4294967295EEENS1_37radix_sort_block_sort_config_selectorIsNS0_10empty_typeEEEZNS1_21radix_sort_block_sortIS4_Lb1EPKsPsPS6_SC_NS0_19identity_decomposerEEE10hipError_tT1_T2_T3_T4_jRjT5_jjP12ihipStream_tbEUlT_E_NS1_11comp_targetILNS1_3genE9ELNS1_11target_archE1100ELNS1_3gpuE3ELNS1_3repE0EEENS1_44radix_sort_block_sort_config_static_selectorELNS0_4arch9wavefront6targetE0EEEvSF_.num_vgpr, 0
	.set _ZN7rocprim17ROCPRIM_400000_NS6detail17trampoline_kernelINS0_13kernel_configILj256ELj4ELj4294967295EEENS1_37radix_sort_block_sort_config_selectorIsNS0_10empty_typeEEEZNS1_21radix_sort_block_sortIS4_Lb1EPKsPsPS6_SC_NS0_19identity_decomposerEEE10hipError_tT1_T2_T3_T4_jRjT5_jjP12ihipStream_tbEUlT_E_NS1_11comp_targetILNS1_3genE9ELNS1_11target_archE1100ELNS1_3gpuE3ELNS1_3repE0EEENS1_44radix_sort_block_sort_config_static_selectorELNS0_4arch9wavefront6targetE0EEEvSF_.num_agpr, 0
	.set _ZN7rocprim17ROCPRIM_400000_NS6detail17trampoline_kernelINS0_13kernel_configILj256ELj4ELj4294967295EEENS1_37radix_sort_block_sort_config_selectorIsNS0_10empty_typeEEEZNS1_21radix_sort_block_sortIS4_Lb1EPKsPsPS6_SC_NS0_19identity_decomposerEEE10hipError_tT1_T2_T3_T4_jRjT5_jjP12ihipStream_tbEUlT_E_NS1_11comp_targetILNS1_3genE9ELNS1_11target_archE1100ELNS1_3gpuE3ELNS1_3repE0EEENS1_44radix_sort_block_sort_config_static_selectorELNS0_4arch9wavefront6targetE0EEEvSF_.numbered_sgpr, 0
	.set _ZN7rocprim17ROCPRIM_400000_NS6detail17trampoline_kernelINS0_13kernel_configILj256ELj4ELj4294967295EEENS1_37radix_sort_block_sort_config_selectorIsNS0_10empty_typeEEEZNS1_21radix_sort_block_sortIS4_Lb1EPKsPsPS6_SC_NS0_19identity_decomposerEEE10hipError_tT1_T2_T3_T4_jRjT5_jjP12ihipStream_tbEUlT_E_NS1_11comp_targetILNS1_3genE9ELNS1_11target_archE1100ELNS1_3gpuE3ELNS1_3repE0EEENS1_44radix_sort_block_sort_config_static_selectorELNS0_4arch9wavefront6targetE0EEEvSF_.num_named_barrier, 0
	.set _ZN7rocprim17ROCPRIM_400000_NS6detail17trampoline_kernelINS0_13kernel_configILj256ELj4ELj4294967295EEENS1_37radix_sort_block_sort_config_selectorIsNS0_10empty_typeEEEZNS1_21radix_sort_block_sortIS4_Lb1EPKsPsPS6_SC_NS0_19identity_decomposerEEE10hipError_tT1_T2_T3_T4_jRjT5_jjP12ihipStream_tbEUlT_E_NS1_11comp_targetILNS1_3genE9ELNS1_11target_archE1100ELNS1_3gpuE3ELNS1_3repE0EEENS1_44radix_sort_block_sort_config_static_selectorELNS0_4arch9wavefront6targetE0EEEvSF_.private_seg_size, 0
	.set _ZN7rocprim17ROCPRIM_400000_NS6detail17trampoline_kernelINS0_13kernel_configILj256ELj4ELj4294967295EEENS1_37radix_sort_block_sort_config_selectorIsNS0_10empty_typeEEEZNS1_21radix_sort_block_sortIS4_Lb1EPKsPsPS6_SC_NS0_19identity_decomposerEEE10hipError_tT1_T2_T3_T4_jRjT5_jjP12ihipStream_tbEUlT_E_NS1_11comp_targetILNS1_3genE9ELNS1_11target_archE1100ELNS1_3gpuE3ELNS1_3repE0EEENS1_44radix_sort_block_sort_config_static_selectorELNS0_4arch9wavefront6targetE0EEEvSF_.uses_vcc, 0
	.set _ZN7rocprim17ROCPRIM_400000_NS6detail17trampoline_kernelINS0_13kernel_configILj256ELj4ELj4294967295EEENS1_37radix_sort_block_sort_config_selectorIsNS0_10empty_typeEEEZNS1_21radix_sort_block_sortIS4_Lb1EPKsPsPS6_SC_NS0_19identity_decomposerEEE10hipError_tT1_T2_T3_T4_jRjT5_jjP12ihipStream_tbEUlT_E_NS1_11comp_targetILNS1_3genE9ELNS1_11target_archE1100ELNS1_3gpuE3ELNS1_3repE0EEENS1_44radix_sort_block_sort_config_static_selectorELNS0_4arch9wavefront6targetE0EEEvSF_.uses_flat_scratch, 0
	.set _ZN7rocprim17ROCPRIM_400000_NS6detail17trampoline_kernelINS0_13kernel_configILj256ELj4ELj4294967295EEENS1_37radix_sort_block_sort_config_selectorIsNS0_10empty_typeEEEZNS1_21radix_sort_block_sortIS4_Lb1EPKsPsPS6_SC_NS0_19identity_decomposerEEE10hipError_tT1_T2_T3_T4_jRjT5_jjP12ihipStream_tbEUlT_E_NS1_11comp_targetILNS1_3genE9ELNS1_11target_archE1100ELNS1_3gpuE3ELNS1_3repE0EEENS1_44radix_sort_block_sort_config_static_selectorELNS0_4arch9wavefront6targetE0EEEvSF_.has_dyn_sized_stack, 0
	.set _ZN7rocprim17ROCPRIM_400000_NS6detail17trampoline_kernelINS0_13kernel_configILj256ELj4ELj4294967295EEENS1_37radix_sort_block_sort_config_selectorIsNS0_10empty_typeEEEZNS1_21radix_sort_block_sortIS4_Lb1EPKsPsPS6_SC_NS0_19identity_decomposerEEE10hipError_tT1_T2_T3_T4_jRjT5_jjP12ihipStream_tbEUlT_E_NS1_11comp_targetILNS1_3genE9ELNS1_11target_archE1100ELNS1_3gpuE3ELNS1_3repE0EEENS1_44radix_sort_block_sort_config_static_selectorELNS0_4arch9wavefront6targetE0EEEvSF_.has_recursion, 0
	.set _ZN7rocprim17ROCPRIM_400000_NS6detail17trampoline_kernelINS0_13kernel_configILj256ELj4ELj4294967295EEENS1_37radix_sort_block_sort_config_selectorIsNS0_10empty_typeEEEZNS1_21radix_sort_block_sortIS4_Lb1EPKsPsPS6_SC_NS0_19identity_decomposerEEE10hipError_tT1_T2_T3_T4_jRjT5_jjP12ihipStream_tbEUlT_E_NS1_11comp_targetILNS1_3genE9ELNS1_11target_archE1100ELNS1_3gpuE3ELNS1_3repE0EEENS1_44radix_sort_block_sort_config_static_selectorELNS0_4arch9wavefront6targetE0EEEvSF_.has_indirect_call, 0
	.section	.AMDGPU.csdata,"",@progbits
; Kernel info:
; codeLenInByte = 0
; TotalNumSgprs: 0
; NumVgprs: 0
; ScratchSize: 0
; MemoryBound: 0
; FloatMode: 240
; IeeeMode: 1
; LDSByteSize: 0 bytes/workgroup (compile time only)
; SGPRBlocks: 0
; VGPRBlocks: 0
; NumSGPRsForWavesPerEU: 1
; NumVGPRsForWavesPerEU: 1
; NamedBarCnt: 0
; Occupancy: 16
; WaveLimiterHint : 0
; COMPUTE_PGM_RSRC2:SCRATCH_EN: 0
; COMPUTE_PGM_RSRC2:USER_SGPR: 2
; COMPUTE_PGM_RSRC2:TRAP_HANDLER: 0
; COMPUTE_PGM_RSRC2:TGID_X_EN: 1
; COMPUTE_PGM_RSRC2:TGID_Y_EN: 0
; COMPUTE_PGM_RSRC2:TGID_Z_EN: 0
; COMPUTE_PGM_RSRC2:TIDIG_COMP_CNT: 0
	.section	.text._ZN7rocprim17ROCPRIM_400000_NS6detail17trampoline_kernelINS0_13kernel_configILj256ELj4ELj4294967295EEENS1_37radix_sort_block_sort_config_selectorIsNS0_10empty_typeEEEZNS1_21radix_sort_block_sortIS4_Lb1EPKsPsPS6_SC_NS0_19identity_decomposerEEE10hipError_tT1_T2_T3_T4_jRjT5_jjP12ihipStream_tbEUlT_E_NS1_11comp_targetILNS1_3genE8ELNS1_11target_archE1030ELNS1_3gpuE2ELNS1_3repE0EEENS1_44radix_sort_block_sort_config_static_selectorELNS0_4arch9wavefront6targetE0EEEvSF_,"axG",@progbits,_ZN7rocprim17ROCPRIM_400000_NS6detail17trampoline_kernelINS0_13kernel_configILj256ELj4ELj4294967295EEENS1_37radix_sort_block_sort_config_selectorIsNS0_10empty_typeEEEZNS1_21radix_sort_block_sortIS4_Lb1EPKsPsPS6_SC_NS0_19identity_decomposerEEE10hipError_tT1_T2_T3_T4_jRjT5_jjP12ihipStream_tbEUlT_E_NS1_11comp_targetILNS1_3genE8ELNS1_11target_archE1030ELNS1_3gpuE2ELNS1_3repE0EEENS1_44radix_sort_block_sort_config_static_selectorELNS0_4arch9wavefront6targetE0EEEvSF_,comdat
	.protected	_ZN7rocprim17ROCPRIM_400000_NS6detail17trampoline_kernelINS0_13kernel_configILj256ELj4ELj4294967295EEENS1_37radix_sort_block_sort_config_selectorIsNS0_10empty_typeEEEZNS1_21radix_sort_block_sortIS4_Lb1EPKsPsPS6_SC_NS0_19identity_decomposerEEE10hipError_tT1_T2_T3_T4_jRjT5_jjP12ihipStream_tbEUlT_E_NS1_11comp_targetILNS1_3genE8ELNS1_11target_archE1030ELNS1_3gpuE2ELNS1_3repE0EEENS1_44radix_sort_block_sort_config_static_selectorELNS0_4arch9wavefront6targetE0EEEvSF_ ; -- Begin function _ZN7rocprim17ROCPRIM_400000_NS6detail17trampoline_kernelINS0_13kernel_configILj256ELj4ELj4294967295EEENS1_37radix_sort_block_sort_config_selectorIsNS0_10empty_typeEEEZNS1_21radix_sort_block_sortIS4_Lb1EPKsPsPS6_SC_NS0_19identity_decomposerEEE10hipError_tT1_T2_T3_T4_jRjT5_jjP12ihipStream_tbEUlT_E_NS1_11comp_targetILNS1_3genE8ELNS1_11target_archE1030ELNS1_3gpuE2ELNS1_3repE0EEENS1_44radix_sort_block_sort_config_static_selectorELNS0_4arch9wavefront6targetE0EEEvSF_
	.globl	_ZN7rocprim17ROCPRIM_400000_NS6detail17trampoline_kernelINS0_13kernel_configILj256ELj4ELj4294967295EEENS1_37radix_sort_block_sort_config_selectorIsNS0_10empty_typeEEEZNS1_21radix_sort_block_sortIS4_Lb1EPKsPsPS6_SC_NS0_19identity_decomposerEEE10hipError_tT1_T2_T3_T4_jRjT5_jjP12ihipStream_tbEUlT_E_NS1_11comp_targetILNS1_3genE8ELNS1_11target_archE1030ELNS1_3gpuE2ELNS1_3repE0EEENS1_44radix_sort_block_sort_config_static_selectorELNS0_4arch9wavefront6targetE0EEEvSF_
	.p2align	8
	.type	_ZN7rocprim17ROCPRIM_400000_NS6detail17trampoline_kernelINS0_13kernel_configILj256ELj4ELj4294967295EEENS1_37radix_sort_block_sort_config_selectorIsNS0_10empty_typeEEEZNS1_21radix_sort_block_sortIS4_Lb1EPKsPsPS6_SC_NS0_19identity_decomposerEEE10hipError_tT1_T2_T3_T4_jRjT5_jjP12ihipStream_tbEUlT_E_NS1_11comp_targetILNS1_3genE8ELNS1_11target_archE1030ELNS1_3gpuE2ELNS1_3repE0EEENS1_44radix_sort_block_sort_config_static_selectorELNS0_4arch9wavefront6targetE0EEEvSF_,@function
_ZN7rocprim17ROCPRIM_400000_NS6detail17trampoline_kernelINS0_13kernel_configILj256ELj4ELj4294967295EEENS1_37radix_sort_block_sort_config_selectorIsNS0_10empty_typeEEEZNS1_21radix_sort_block_sortIS4_Lb1EPKsPsPS6_SC_NS0_19identity_decomposerEEE10hipError_tT1_T2_T3_T4_jRjT5_jjP12ihipStream_tbEUlT_E_NS1_11comp_targetILNS1_3genE8ELNS1_11target_archE1030ELNS1_3gpuE2ELNS1_3repE0EEENS1_44radix_sort_block_sort_config_static_selectorELNS0_4arch9wavefront6targetE0EEEvSF_: ; @_ZN7rocprim17ROCPRIM_400000_NS6detail17trampoline_kernelINS0_13kernel_configILj256ELj4ELj4294967295EEENS1_37radix_sort_block_sort_config_selectorIsNS0_10empty_typeEEEZNS1_21radix_sort_block_sortIS4_Lb1EPKsPsPS6_SC_NS0_19identity_decomposerEEE10hipError_tT1_T2_T3_T4_jRjT5_jjP12ihipStream_tbEUlT_E_NS1_11comp_targetILNS1_3genE8ELNS1_11target_archE1030ELNS1_3gpuE2ELNS1_3repE0EEENS1_44radix_sort_block_sort_config_static_selectorELNS0_4arch9wavefront6targetE0EEEvSF_
; %bb.0:
	.section	.rodata,"a",@progbits
	.p2align	6, 0x0
	.amdhsa_kernel _ZN7rocprim17ROCPRIM_400000_NS6detail17trampoline_kernelINS0_13kernel_configILj256ELj4ELj4294967295EEENS1_37radix_sort_block_sort_config_selectorIsNS0_10empty_typeEEEZNS1_21radix_sort_block_sortIS4_Lb1EPKsPsPS6_SC_NS0_19identity_decomposerEEE10hipError_tT1_T2_T3_T4_jRjT5_jjP12ihipStream_tbEUlT_E_NS1_11comp_targetILNS1_3genE8ELNS1_11target_archE1030ELNS1_3gpuE2ELNS1_3repE0EEENS1_44radix_sort_block_sort_config_static_selectorELNS0_4arch9wavefront6targetE0EEEvSF_
		.amdhsa_group_segment_fixed_size 0
		.amdhsa_private_segment_fixed_size 0
		.amdhsa_kernarg_size 48
		.amdhsa_user_sgpr_count 2
		.amdhsa_user_sgpr_dispatch_ptr 0
		.amdhsa_user_sgpr_queue_ptr 0
		.amdhsa_user_sgpr_kernarg_segment_ptr 1
		.amdhsa_user_sgpr_dispatch_id 0
		.amdhsa_user_sgpr_kernarg_preload_length 0
		.amdhsa_user_sgpr_kernarg_preload_offset 0
		.amdhsa_user_sgpr_private_segment_size 0
		.amdhsa_wavefront_size32 1
		.amdhsa_uses_dynamic_stack 0
		.amdhsa_enable_private_segment 0
		.amdhsa_system_sgpr_workgroup_id_x 1
		.amdhsa_system_sgpr_workgroup_id_y 0
		.amdhsa_system_sgpr_workgroup_id_z 0
		.amdhsa_system_sgpr_workgroup_info 0
		.amdhsa_system_vgpr_workitem_id 0
		.amdhsa_next_free_vgpr 1
		.amdhsa_next_free_sgpr 1
		.amdhsa_named_barrier_count 0
		.amdhsa_reserve_vcc 0
		.amdhsa_float_round_mode_32 0
		.amdhsa_float_round_mode_16_64 0
		.amdhsa_float_denorm_mode_32 3
		.amdhsa_float_denorm_mode_16_64 3
		.amdhsa_fp16_overflow 0
		.amdhsa_memory_ordered 1
		.amdhsa_forward_progress 1
		.amdhsa_inst_pref_size 0
		.amdhsa_round_robin_scheduling 0
		.amdhsa_exception_fp_ieee_invalid_op 0
		.amdhsa_exception_fp_denorm_src 0
		.amdhsa_exception_fp_ieee_div_zero 0
		.amdhsa_exception_fp_ieee_overflow 0
		.amdhsa_exception_fp_ieee_underflow 0
		.amdhsa_exception_fp_ieee_inexact 0
		.amdhsa_exception_int_div_zero 0
	.end_amdhsa_kernel
	.section	.text._ZN7rocprim17ROCPRIM_400000_NS6detail17trampoline_kernelINS0_13kernel_configILj256ELj4ELj4294967295EEENS1_37radix_sort_block_sort_config_selectorIsNS0_10empty_typeEEEZNS1_21radix_sort_block_sortIS4_Lb1EPKsPsPS6_SC_NS0_19identity_decomposerEEE10hipError_tT1_T2_T3_T4_jRjT5_jjP12ihipStream_tbEUlT_E_NS1_11comp_targetILNS1_3genE8ELNS1_11target_archE1030ELNS1_3gpuE2ELNS1_3repE0EEENS1_44radix_sort_block_sort_config_static_selectorELNS0_4arch9wavefront6targetE0EEEvSF_,"axG",@progbits,_ZN7rocprim17ROCPRIM_400000_NS6detail17trampoline_kernelINS0_13kernel_configILj256ELj4ELj4294967295EEENS1_37radix_sort_block_sort_config_selectorIsNS0_10empty_typeEEEZNS1_21radix_sort_block_sortIS4_Lb1EPKsPsPS6_SC_NS0_19identity_decomposerEEE10hipError_tT1_T2_T3_T4_jRjT5_jjP12ihipStream_tbEUlT_E_NS1_11comp_targetILNS1_3genE8ELNS1_11target_archE1030ELNS1_3gpuE2ELNS1_3repE0EEENS1_44radix_sort_block_sort_config_static_selectorELNS0_4arch9wavefront6targetE0EEEvSF_,comdat
.Lfunc_end510:
	.size	_ZN7rocprim17ROCPRIM_400000_NS6detail17trampoline_kernelINS0_13kernel_configILj256ELj4ELj4294967295EEENS1_37radix_sort_block_sort_config_selectorIsNS0_10empty_typeEEEZNS1_21radix_sort_block_sortIS4_Lb1EPKsPsPS6_SC_NS0_19identity_decomposerEEE10hipError_tT1_T2_T3_T4_jRjT5_jjP12ihipStream_tbEUlT_E_NS1_11comp_targetILNS1_3genE8ELNS1_11target_archE1030ELNS1_3gpuE2ELNS1_3repE0EEENS1_44radix_sort_block_sort_config_static_selectorELNS0_4arch9wavefront6targetE0EEEvSF_, .Lfunc_end510-_ZN7rocprim17ROCPRIM_400000_NS6detail17trampoline_kernelINS0_13kernel_configILj256ELj4ELj4294967295EEENS1_37radix_sort_block_sort_config_selectorIsNS0_10empty_typeEEEZNS1_21radix_sort_block_sortIS4_Lb1EPKsPsPS6_SC_NS0_19identity_decomposerEEE10hipError_tT1_T2_T3_T4_jRjT5_jjP12ihipStream_tbEUlT_E_NS1_11comp_targetILNS1_3genE8ELNS1_11target_archE1030ELNS1_3gpuE2ELNS1_3repE0EEENS1_44radix_sort_block_sort_config_static_selectorELNS0_4arch9wavefront6targetE0EEEvSF_
                                        ; -- End function
	.set _ZN7rocprim17ROCPRIM_400000_NS6detail17trampoline_kernelINS0_13kernel_configILj256ELj4ELj4294967295EEENS1_37radix_sort_block_sort_config_selectorIsNS0_10empty_typeEEEZNS1_21radix_sort_block_sortIS4_Lb1EPKsPsPS6_SC_NS0_19identity_decomposerEEE10hipError_tT1_T2_T3_T4_jRjT5_jjP12ihipStream_tbEUlT_E_NS1_11comp_targetILNS1_3genE8ELNS1_11target_archE1030ELNS1_3gpuE2ELNS1_3repE0EEENS1_44radix_sort_block_sort_config_static_selectorELNS0_4arch9wavefront6targetE0EEEvSF_.num_vgpr, 0
	.set _ZN7rocprim17ROCPRIM_400000_NS6detail17trampoline_kernelINS0_13kernel_configILj256ELj4ELj4294967295EEENS1_37radix_sort_block_sort_config_selectorIsNS0_10empty_typeEEEZNS1_21radix_sort_block_sortIS4_Lb1EPKsPsPS6_SC_NS0_19identity_decomposerEEE10hipError_tT1_T2_T3_T4_jRjT5_jjP12ihipStream_tbEUlT_E_NS1_11comp_targetILNS1_3genE8ELNS1_11target_archE1030ELNS1_3gpuE2ELNS1_3repE0EEENS1_44radix_sort_block_sort_config_static_selectorELNS0_4arch9wavefront6targetE0EEEvSF_.num_agpr, 0
	.set _ZN7rocprim17ROCPRIM_400000_NS6detail17trampoline_kernelINS0_13kernel_configILj256ELj4ELj4294967295EEENS1_37radix_sort_block_sort_config_selectorIsNS0_10empty_typeEEEZNS1_21radix_sort_block_sortIS4_Lb1EPKsPsPS6_SC_NS0_19identity_decomposerEEE10hipError_tT1_T2_T3_T4_jRjT5_jjP12ihipStream_tbEUlT_E_NS1_11comp_targetILNS1_3genE8ELNS1_11target_archE1030ELNS1_3gpuE2ELNS1_3repE0EEENS1_44radix_sort_block_sort_config_static_selectorELNS0_4arch9wavefront6targetE0EEEvSF_.numbered_sgpr, 0
	.set _ZN7rocprim17ROCPRIM_400000_NS6detail17trampoline_kernelINS0_13kernel_configILj256ELj4ELj4294967295EEENS1_37radix_sort_block_sort_config_selectorIsNS0_10empty_typeEEEZNS1_21radix_sort_block_sortIS4_Lb1EPKsPsPS6_SC_NS0_19identity_decomposerEEE10hipError_tT1_T2_T3_T4_jRjT5_jjP12ihipStream_tbEUlT_E_NS1_11comp_targetILNS1_3genE8ELNS1_11target_archE1030ELNS1_3gpuE2ELNS1_3repE0EEENS1_44radix_sort_block_sort_config_static_selectorELNS0_4arch9wavefront6targetE0EEEvSF_.num_named_barrier, 0
	.set _ZN7rocprim17ROCPRIM_400000_NS6detail17trampoline_kernelINS0_13kernel_configILj256ELj4ELj4294967295EEENS1_37radix_sort_block_sort_config_selectorIsNS0_10empty_typeEEEZNS1_21radix_sort_block_sortIS4_Lb1EPKsPsPS6_SC_NS0_19identity_decomposerEEE10hipError_tT1_T2_T3_T4_jRjT5_jjP12ihipStream_tbEUlT_E_NS1_11comp_targetILNS1_3genE8ELNS1_11target_archE1030ELNS1_3gpuE2ELNS1_3repE0EEENS1_44radix_sort_block_sort_config_static_selectorELNS0_4arch9wavefront6targetE0EEEvSF_.private_seg_size, 0
	.set _ZN7rocprim17ROCPRIM_400000_NS6detail17trampoline_kernelINS0_13kernel_configILj256ELj4ELj4294967295EEENS1_37radix_sort_block_sort_config_selectorIsNS0_10empty_typeEEEZNS1_21radix_sort_block_sortIS4_Lb1EPKsPsPS6_SC_NS0_19identity_decomposerEEE10hipError_tT1_T2_T3_T4_jRjT5_jjP12ihipStream_tbEUlT_E_NS1_11comp_targetILNS1_3genE8ELNS1_11target_archE1030ELNS1_3gpuE2ELNS1_3repE0EEENS1_44radix_sort_block_sort_config_static_selectorELNS0_4arch9wavefront6targetE0EEEvSF_.uses_vcc, 0
	.set _ZN7rocprim17ROCPRIM_400000_NS6detail17trampoline_kernelINS0_13kernel_configILj256ELj4ELj4294967295EEENS1_37radix_sort_block_sort_config_selectorIsNS0_10empty_typeEEEZNS1_21radix_sort_block_sortIS4_Lb1EPKsPsPS6_SC_NS0_19identity_decomposerEEE10hipError_tT1_T2_T3_T4_jRjT5_jjP12ihipStream_tbEUlT_E_NS1_11comp_targetILNS1_3genE8ELNS1_11target_archE1030ELNS1_3gpuE2ELNS1_3repE0EEENS1_44radix_sort_block_sort_config_static_selectorELNS0_4arch9wavefront6targetE0EEEvSF_.uses_flat_scratch, 0
	.set _ZN7rocprim17ROCPRIM_400000_NS6detail17trampoline_kernelINS0_13kernel_configILj256ELj4ELj4294967295EEENS1_37radix_sort_block_sort_config_selectorIsNS0_10empty_typeEEEZNS1_21radix_sort_block_sortIS4_Lb1EPKsPsPS6_SC_NS0_19identity_decomposerEEE10hipError_tT1_T2_T3_T4_jRjT5_jjP12ihipStream_tbEUlT_E_NS1_11comp_targetILNS1_3genE8ELNS1_11target_archE1030ELNS1_3gpuE2ELNS1_3repE0EEENS1_44radix_sort_block_sort_config_static_selectorELNS0_4arch9wavefront6targetE0EEEvSF_.has_dyn_sized_stack, 0
	.set _ZN7rocprim17ROCPRIM_400000_NS6detail17trampoline_kernelINS0_13kernel_configILj256ELj4ELj4294967295EEENS1_37radix_sort_block_sort_config_selectorIsNS0_10empty_typeEEEZNS1_21radix_sort_block_sortIS4_Lb1EPKsPsPS6_SC_NS0_19identity_decomposerEEE10hipError_tT1_T2_T3_T4_jRjT5_jjP12ihipStream_tbEUlT_E_NS1_11comp_targetILNS1_3genE8ELNS1_11target_archE1030ELNS1_3gpuE2ELNS1_3repE0EEENS1_44radix_sort_block_sort_config_static_selectorELNS0_4arch9wavefront6targetE0EEEvSF_.has_recursion, 0
	.set _ZN7rocprim17ROCPRIM_400000_NS6detail17trampoline_kernelINS0_13kernel_configILj256ELj4ELj4294967295EEENS1_37radix_sort_block_sort_config_selectorIsNS0_10empty_typeEEEZNS1_21radix_sort_block_sortIS4_Lb1EPKsPsPS6_SC_NS0_19identity_decomposerEEE10hipError_tT1_T2_T3_T4_jRjT5_jjP12ihipStream_tbEUlT_E_NS1_11comp_targetILNS1_3genE8ELNS1_11target_archE1030ELNS1_3gpuE2ELNS1_3repE0EEENS1_44radix_sort_block_sort_config_static_selectorELNS0_4arch9wavefront6targetE0EEEvSF_.has_indirect_call, 0
	.section	.AMDGPU.csdata,"",@progbits
; Kernel info:
; codeLenInByte = 0
; TotalNumSgprs: 0
; NumVgprs: 0
; ScratchSize: 0
; MemoryBound: 0
; FloatMode: 240
; IeeeMode: 1
; LDSByteSize: 0 bytes/workgroup (compile time only)
; SGPRBlocks: 0
; VGPRBlocks: 0
; NumSGPRsForWavesPerEU: 1
; NumVGPRsForWavesPerEU: 1
; NamedBarCnt: 0
; Occupancy: 16
; WaveLimiterHint : 0
; COMPUTE_PGM_RSRC2:SCRATCH_EN: 0
; COMPUTE_PGM_RSRC2:USER_SGPR: 2
; COMPUTE_PGM_RSRC2:TRAP_HANDLER: 0
; COMPUTE_PGM_RSRC2:TGID_X_EN: 1
; COMPUTE_PGM_RSRC2:TGID_Y_EN: 0
; COMPUTE_PGM_RSRC2:TGID_Z_EN: 0
; COMPUTE_PGM_RSRC2:TIDIG_COMP_CNT: 0
	.section	.text._ZN7rocprim17ROCPRIM_400000_NS6detail44device_merge_sort_compile_time_verifier_archINS1_11comp_targetILNS1_3genE0ELNS1_11target_archE4294967295ELNS1_3gpuE0ELNS1_3repE0EEES8_NS1_28merge_sort_block_sort_configILj256ELj4ELNS0_20block_sort_algorithmE0EEENS0_14default_configENS1_37merge_sort_block_sort_config_selectorIsNS0_10empty_typeEEENS1_38merge_sort_block_merge_config_selectorIsSE_EEEEvv,"axG",@progbits,_ZN7rocprim17ROCPRIM_400000_NS6detail44device_merge_sort_compile_time_verifier_archINS1_11comp_targetILNS1_3genE0ELNS1_11target_archE4294967295ELNS1_3gpuE0ELNS1_3repE0EEES8_NS1_28merge_sort_block_sort_configILj256ELj4ELNS0_20block_sort_algorithmE0EEENS0_14default_configENS1_37merge_sort_block_sort_config_selectorIsNS0_10empty_typeEEENS1_38merge_sort_block_merge_config_selectorIsSE_EEEEvv,comdat
	.protected	_ZN7rocprim17ROCPRIM_400000_NS6detail44device_merge_sort_compile_time_verifier_archINS1_11comp_targetILNS1_3genE0ELNS1_11target_archE4294967295ELNS1_3gpuE0ELNS1_3repE0EEES8_NS1_28merge_sort_block_sort_configILj256ELj4ELNS0_20block_sort_algorithmE0EEENS0_14default_configENS1_37merge_sort_block_sort_config_selectorIsNS0_10empty_typeEEENS1_38merge_sort_block_merge_config_selectorIsSE_EEEEvv ; -- Begin function _ZN7rocprim17ROCPRIM_400000_NS6detail44device_merge_sort_compile_time_verifier_archINS1_11comp_targetILNS1_3genE0ELNS1_11target_archE4294967295ELNS1_3gpuE0ELNS1_3repE0EEES8_NS1_28merge_sort_block_sort_configILj256ELj4ELNS0_20block_sort_algorithmE0EEENS0_14default_configENS1_37merge_sort_block_sort_config_selectorIsNS0_10empty_typeEEENS1_38merge_sort_block_merge_config_selectorIsSE_EEEEvv
	.globl	_ZN7rocprim17ROCPRIM_400000_NS6detail44device_merge_sort_compile_time_verifier_archINS1_11comp_targetILNS1_3genE0ELNS1_11target_archE4294967295ELNS1_3gpuE0ELNS1_3repE0EEES8_NS1_28merge_sort_block_sort_configILj256ELj4ELNS0_20block_sort_algorithmE0EEENS0_14default_configENS1_37merge_sort_block_sort_config_selectorIsNS0_10empty_typeEEENS1_38merge_sort_block_merge_config_selectorIsSE_EEEEvv
	.p2align	8
	.type	_ZN7rocprim17ROCPRIM_400000_NS6detail44device_merge_sort_compile_time_verifier_archINS1_11comp_targetILNS1_3genE0ELNS1_11target_archE4294967295ELNS1_3gpuE0ELNS1_3repE0EEES8_NS1_28merge_sort_block_sort_configILj256ELj4ELNS0_20block_sort_algorithmE0EEENS0_14default_configENS1_37merge_sort_block_sort_config_selectorIsNS0_10empty_typeEEENS1_38merge_sort_block_merge_config_selectorIsSE_EEEEvv,@function
_ZN7rocprim17ROCPRIM_400000_NS6detail44device_merge_sort_compile_time_verifier_archINS1_11comp_targetILNS1_3genE0ELNS1_11target_archE4294967295ELNS1_3gpuE0ELNS1_3repE0EEES8_NS1_28merge_sort_block_sort_configILj256ELj4ELNS0_20block_sort_algorithmE0EEENS0_14default_configENS1_37merge_sort_block_sort_config_selectorIsNS0_10empty_typeEEENS1_38merge_sort_block_merge_config_selectorIsSE_EEEEvv: ; @_ZN7rocprim17ROCPRIM_400000_NS6detail44device_merge_sort_compile_time_verifier_archINS1_11comp_targetILNS1_3genE0ELNS1_11target_archE4294967295ELNS1_3gpuE0ELNS1_3repE0EEES8_NS1_28merge_sort_block_sort_configILj256ELj4ELNS0_20block_sort_algorithmE0EEENS0_14default_configENS1_37merge_sort_block_sort_config_selectorIsNS0_10empty_typeEEENS1_38merge_sort_block_merge_config_selectorIsSE_EEEEvv
; %bb.0:
	s_endpgm
	.section	.rodata,"a",@progbits
	.p2align	6, 0x0
	.amdhsa_kernel _ZN7rocprim17ROCPRIM_400000_NS6detail44device_merge_sort_compile_time_verifier_archINS1_11comp_targetILNS1_3genE0ELNS1_11target_archE4294967295ELNS1_3gpuE0ELNS1_3repE0EEES8_NS1_28merge_sort_block_sort_configILj256ELj4ELNS0_20block_sort_algorithmE0EEENS0_14default_configENS1_37merge_sort_block_sort_config_selectorIsNS0_10empty_typeEEENS1_38merge_sort_block_merge_config_selectorIsSE_EEEEvv
		.amdhsa_group_segment_fixed_size 0
		.amdhsa_private_segment_fixed_size 0
		.amdhsa_kernarg_size 0
		.amdhsa_user_sgpr_count 0
		.amdhsa_user_sgpr_dispatch_ptr 0
		.amdhsa_user_sgpr_queue_ptr 0
		.amdhsa_user_sgpr_kernarg_segment_ptr 0
		.amdhsa_user_sgpr_dispatch_id 0
		.amdhsa_user_sgpr_kernarg_preload_length 0
		.amdhsa_user_sgpr_kernarg_preload_offset 0
		.amdhsa_user_sgpr_private_segment_size 0
		.amdhsa_wavefront_size32 1
		.amdhsa_uses_dynamic_stack 0
		.amdhsa_enable_private_segment 0
		.amdhsa_system_sgpr_workgroup_id_x 1
		.amdhsa_system_sgpr_workgroup_id_y 0
		.amdhsa_system_sgpr_workgroup_id_z 0
		.amdhsa_system_sgpr_workgroup_info 0
		.amdhsa_system_vgpr_workitem_id 0
		.amdhsa_next_free_vgpr 1
		.amdhsa_next_free_sgpr 1
		.amdhsa_named_barrier_count 0
		.amdhsa_reserve_vcc 0
		.amdhsa_float_round_mode_32 0
		.amdhsa_float_round_mode_16_64 0
		.amdhsa_float_denorm_mode_32 3
		.amdhsa_float_denorm_mode_16_64 3
		.amdhsa_fp16_overflow 0
		.amdhsa_memory_ordered 1
		.amdhsa_forward_progress 1
		.amdhsa_inst_pref_size 1
		.amdhsa_round_robin_scheduling 0
		.amdhsa_exception_fp_ieee_invalid_op 0
		.amdhsa_exception_fp_denorm_src 0
		.amdhsa_exception_fp_ieee_div_zero 0
		.amdhsa_exception_fp_ieee_overflow 0
		.amdhsa_exception_fp_ieee_underflow 0
		.amdhsa_exception_fp_ieee_inexact 0
		.amdhsa_exception_int_div_zero 0
	.end_amdhsa_kernel
	.section	.text._ZN7rocprim17ROCPRIM_400000_NS6detail44device_merge_sort_compile_time_verifier_archINS1_11comp_targetILNS1_3genE0ELNS1_11target_archE4294967295ELNS1_3gpuE0ELNS1_3repE0EEES8_NS1_28merge_sort_block_sort_configILj256ELj4ELNS0_20block_sort_algorithmE0EEENS0_14default_configENS1_37merge_sort_block_sort_config_selectorIsNS0_10empty_typeEEENS1_38merge_sort_block_merge_config_selectorIsSE_EEEEvv,"axG",@progbits,_ZN7rocprim17ROCPRIM_400000_NS6detail44device_merge_sort_compile_time_verifier_archINS1_11comp_targetILNS1_3genE0ELNS1_11target_archE4294967295ELNS1_3gpuE0ELNS1_3repE0EEES8_NS1_28merge_sort_block_sort_configILj256ELj4ELNS0_20block_sort_algorithmE0EEENS0_14default_configENS1_37merge_sort_block_sort_config_selectorIsNS0_10empty_typeEEENS1_38merge_sort_block_merge_config_selectorIsSE_EEEEvv,comdat
.Lfunc_end511:
	.size	_ZN7rocprim17ROCPRIM_400000_NS6detail44device_merge_sort_compile_time_verifier_archINS1_11comp_targetILNS1_3genE0ELNS1_11target_archE4294967295ELNS1_3gpuE0ELNS1_3repE0EEES8_NS1_28merge_sort_block_sort_configILj256ELj4ELNS0_20block_sort_algorithmE0EEENS0_14default_configENS1_37merge_sort_block_sort_config_selectorIsNS0_10empty_typeEEENS1_38merge_sort_block_merge_config_selectorIsSE_EEEEvv, .Lfunc_end511-_ZN7rocprim17ROCPRIM_400000_NS6detail44device_merge_sort_compile_time_verifier_archINS1_11comp_targetILNS1_3genE0ELNS1_11target_archE4294967295ELNS1_3gpuE0ELNS1_3repE0EEES8_NS1_28merge_sort_block_sort_configILj256ELj4ELNS0_20block_sort_algorithmE0EEENS0_14default_configENS1_37merge_sort_block_sort_config_selectorIsNS0_10empty_typeEEENS1_38merge_sort_block_merge_config_selectorIsSE_EEEEvv
                                        ; -- End function
	.set _ZN7rocprim17ROCPRIM_400000_NS6detail44device_merge_sort_compile_time_verifier_archINS1_11comp_targetILNS1_3genE0ELNS1_11target_archE4294967295ELNS1_3gpuE0ELNS1_3repE0EEES8_NS1_28merge_sort_block_sort_configILj256ELj4ELNS0_20block_sort_algorithmE0EEENS0_14default_configENS1_37merge_sort_block_sort_config_selectorIsNS0_10empty_typeEEENS1_38merge_sort_block_merge_config_selectorIsSE_EEEEvv.num_vgpr, 0
	.set _ZN7rocprim17ROCPRIM_400000_NS6detail44device_merge_sort_compile_time_verifier_archINS1_11comp_targetILNS1_3genE0ELNS1_11target_archE4294967295ELNS1_3gpuE0ELNS1_3repE0EEES8_NS1_28merge_sort_block_sort_configILj256ELj4ELNS0_20block_sort_algorithmE0EEENS0_14default_configENS1_37merge_sort_block_sort_config_selectorIsNS0_10empty_typeEEENS1_38merge_sort_block_merge_config_selectorIsSE_EEEEvv.num_agpr, 0
	.set _ZN7rocprim17ROCPRIM_400000_NS6detail44device_merge_sort_compile_time_verifier_archINS1_11comp_targetILNS1_3genE0ELNS1_11target_archE4294967295ELNS1_3gpuE0ELNS1_3repE0EEES8_NS1_28merge_sort_block_sort_configILj256ELj4ELNS0_20block_sort_algorithmE0EEENS0_14default_configENS1_37merge_sort_block_sort_config_selectorIsNS0_10empty_typeEEENS1_38merge_sort_block_merge_config_selectorIsSE_EEEEvv.numbered_sgpr, 0
	.set _ZN7rocprim17ROCPRIM_400000_NS6detail44device_merge_sort_compile_time_verifier_archINS1_11comp_targetILNS1_3genE0ELNS1_11target_archE4294967295ELNS1_3gpuE0ELNS1_3repE0EEES8_NS1_28merge_sort_block_sort_configILj256ELj4ELNS0_20block_sort_algorithmE0EEENS0_14default_configENS1_37merge_sort_block_sort_config_selectorIsNS0_10empty_typeEEENS1_38merge_sort_block_merge_config_selectorIsSE_EEEEvv.num_named_barrier, 0
	.set _ZN7rocprim17ROCPRIM_400000_NS6detail44device_merge_sort_compile_time_verifier_archINS1_11comp_targetILNS1_3genE0ELNS1_11target_archE4294967295ELNS1_3gpuE0ELNS1_3repE0EEES8_NS1_28merge_sort_block_sort_configILj256ELj4ELNS0_20block_sort_algorithmE0EEENS0_14default_configENS1_37merge_sort_block_sort_config_selectorIsNS0_10empty_typeEEENS1_38merge_sort_block_merge_config_selectorIsSE_EEEEvv.private_seg_size, 0
	.set _ZN7rocprim17ROCPRIM_400000_NS6detail44device_merge_sort_compile_time_verifier_archINS1_11comp_targetILNS1_3genE0ELNS1_11target_archE4294967295ELNS1_3gpuE0ELNS1_3repE0EEES8_NS1_28merge_sort_block_sort_configILj256ELj4ELNS0_20block_sort_algorithmE0EEENS0_14default_configENS1_37merge_sort_block_sort_config_selectorIsNS0_10empty_typeEEENS1_38merge_sort_block_merge_config_selectorIsSE_EEEEvv.uses_vcc, 0
	.set _ZN7rocprim17ROCPRIM_400000_NS6detail44device_merge_sort_compile_time_verifier_archINS1_11comp_targetILNS1_3genE0ELNS1_11target_archE4294967295ELNS1_3gpuE0ELNS1_3repE0EEES8_NS1_28merge_sort_block_sort_configILj256ELj4ELNS0_20block_sort_algorithmE0EEENS0_14default_configENS1_37merge_sort_block_sort_config_selectorIsNS0_10empty_typeEEENS1_38merge_sort_block_merge_config_selectorIsSE_EEEEvv.uses_flat_scratch, 0
	.set _ZN7rocprim17ROCPRIM_400000_NS6detail44device_merge_sort_compile_time_verifier_archINS1_11comp_targetILNS1_3genE0ELNS1_11target_archE4294967295ELNS1_3gpuE0ELNS1_3repE0EEES8_NS1_28merge_sort_block_sort_configILj256ELj4ELNS0_20block_sort_algorithmE0EEENS0_14default_configENS1_37merge_sort_block_sort_config_selectorIsNS0_10empty_typeEEENS1_38merge_sort_block_merge_config_selectorIsSE_EEEEvv.has_dyn_sized_stack, 0
	.set _ZN7rocprim17ROCPRIM_400000_NS6detail44device_merge_sort_compile_time_verifier_archINS1_11comp_targetILNS1_3genE0ELNS1_11target_archE4294967295ELNS1_3gpuE0ELNS1_3repE0EEES8_NS1_28merge_sort_block_sort_configILj256ELj4ELNS0_20block_sort_algorithmE0EEENS0_14default_configENS1_37merge_sort_block_sort_config_selectorIsNS0_10empty_typeEEENS1_38merge_sort_block_merge_config_selectorIsSE_EEEEvv.has_recursion, 0
	.set _ZN7rocprim17ROCPRIM_400000_NS6detail44device_merge_sort_compile_time_verifier_archINS1_11comp_targetILNS1_3genE0ELNS1_11target_archE4294967295ELNS1_3gpuE0ELNS1_3repE0EEES8_NS1_28merge_sort_block_sort_configILj256ELj4ELNS0_20block_sort_algorithmE0EEENS0_14default_configENS1_37merge_sort_block_sort_config_selectorIsNS0_10empty_typeEEENS1_38merge_sort_block_merge_config_selectorIsSE_EEEEvv.has_indirect_call, 0
	.section	.AMDGPU.csdata,"",@progbits
; Kernel info:
; codeLenInByte = 4
; TotalNumSgprs: 0
; NumVgprs: 0
; ScratchSize: 0
; MemoryBound: 0
; FloatMode: 240
; IeeeMode: 1
; LDSByteSize: 0 bytes/workgroup (compile time only)
; SGPRBlocks: 0
; VGPRBlocks: 0
; NumSGPRsForWavesPerEU: 1
; NumVGPRsForWavesPerEU: 1
; NamedBarCnt: 0
; Occupancy: 16
; WaveLimiterHint : 0
; COMPUTE_PGM_RSRC2:SCRATCH_EN: 0
; COMPUTE_PGM_RSRC2:USER_SGPR: 0
; COMPUTE_PGM_RSRC2:TRAP_HANDLER: 0
; COMPUTE_PGM_RSRC2:TGID_X_EN: 1
; COMPUTE_PGM_RSRC2:TGID_Y_EN: 0
; COMPUTE_PGM_RSRC2:TGID_Z_EN: 0
; COMPUTE_PGM_RSRC2:TIDIG_COMP_CNT: 0
	.section	.text._ZN7rocprim17ROCPRIM_400000_NS6detail44device_merge_sort_compile_time_verifier_archINS1_11comp_targetILNS1_3genE5ELNS1_11target_archE942ELNS1_3gpuE9ELNS1_3repE0EEES8_NS1_28merge_sort_block_sort_configILj256ELj4ELNS0_20block_sort_algorithmE0EEENS0_14default_configENS1_37merge_sort_block_sort_config_selectorIsNS0_10empty_typeEEENS1_38merge_sort_block_merge_config_selectorIsSE_EEEEvv,"axG",@progbits,_ZN7rocprim17ROCPRIM_400000_NS6detail44device_merge_sort_compile_time_verifier_archINS1_11comp_targetILNS1_3genE5ELNS1_11target_archE942ELNS1_3gpuE9ELNS1_3repE0EEES8_NS1_28merge_sort_block_sort_configILj256ELj4ELNS0_20block_sort_algorithmE0EEENS0_14default_configENS1_37merge_sort_block_sort_config_selectorIsNS0_10empty_typeEEENS1_38merge_sort_block_merge_config_selectorIsSE_EEEEvv,comdat
	.protected	_ZN7rocprim17ROCPRIM_400000_NS6detail44device_merge_sort_compile_time_verifier_archINS1_11comp_targetILNS1_3genE5ELNS1_11target_archE942ELNS1_3gpuE9ELNS1_3repE0EEES8_NS1_28merge_sort_block_sort_configILj256ELj4ELNS0_20block_sort_algorithmE0EEENS0_14default_configENS1_37merge_sort_block_sort_config_selectorIsNS0_10empty_typeEEENS1_38merge_sort_block_merge_config_selectorIsSE_EEEEvv ; -- Begin function _ZN7rocprim17ROCPRIM_400000_NS6detail44device_merge_sort_compile_time_verifier_archINS1_11comp_targetILNS1_3genE5ELNS1_11target_archE942ELNS1_3gpuE9ELNS1_3repE0EEES8_NS1_28merge_sort_block_sort_configILj256ELj4ELNS0_20block_sort_algorithmE0EEENS0_14default_configENS1_37merge_sort_block_sort_config_selectorIsNS0_10empty_typeEEENS1_38merge_sort_block_merge_config_selectorIsSE_EEEEvv
	.globl	_ZN7rocprim17ROCPRIM_400000_NS6detail44device_merge_sort_compile_time_verifier_archINS1_11comp_targetILNS1_3genE5ELNS1_11target_archE942ELNS1_3gpuE9ELNS1_3repE0EEES8_NS1_28merge_sort_block_sort_configILj256ELj4ELNS0_20block_sort_algorithmE0EEENS0_14default_configENS1_37merge_sort_block_sort_config_selectorIsNS0_10empty_typeEEENS1_38merge_sort_block_merge_config_selectorIsSE_EEEEvv
	.p2align	8
	.type	_ZN7rocprim17ROCPRIM_400000_NS6detail44device_merge_sort_compile_time_verifier_archINS1_11comp_targetILNS1_3genE5ELNS1_11target_archE942ELNS1_3gpuE9ELNS1_3repE0EEES8_NS1_28merge_sort_block_sort_configILj256ELj4ELNS0_20block_sort_algorithmE0EEENS0_14default_configENS1_37merge_sort_block_sort_config_selectorIsNS0_10empty_typeEEENS1_38merge_sort_block_merge_config_selectorIsSE_EEEEvv,@function
_ZN7rocprim17ROCPRIM_400000_NS6detail44device_merge_sort_compile_time_verifier_archINS1_11comp_targetILNS1_3genE5ELNS1_11target_archE942ELNS1_3gpuE9ELNS1_3repE0EEES8_NS1_28merge_sort_block_sort_configILj256ELj4ELNS0_20block_sort_algorithmE0EEENS0_14default_configENS1_37merge_sort_block_sort_config_selectorIsNS0_10empty_typeEEENS1_38merge_sort_block_merge_config_selectorIsSE_EEEEvv: ; @_ZN7rocprim17ROCPRIM_400000_NS6detail44device_merge_sort_compile_time_verifier_archINS1_11comp_targetILNS1_3genE5ELNS1_11target_archE942ELNS1_3gpuE9ELNS1_3repE0EEES8_NS1_28merge_sort_block_sort_configILj256ELj4ELNS0_20block_sort_algorithmE0EEENS0_14default_configENS1_37merge_sort_block_sort_config_selectorIsNS0_10empty_typeEEENS1_38merge_sort_block_merge_config_selectorIsSE_EEEEvv
; %bb.0:
	s_endpgm
	.section	.rodata,"a",@progbits
	.p2align	6, 0x0
	.amdhsa_kernel _ZN7rocprim17ROCPRIM_400000_NS6detail44device_merge_sort_compile_time_verifier_archINS1_11comp_targetILNS1_3genE5ELNS1_11target_archE942ELNS1_3gpuE9ELNS1_3repE0EEES8_NS1_28merge_sort_block_sort_configILj256ELj4ELNS0_20block_sort_algorithmE0EEENS0_14default_configENS1_37merge_sort_block_sort_config_selectorIsNS0_10empty_typeEEENS1_38merge_sort_block_merge_config_selectorIsSE_EEEEvv
		.amdhsa_group_segment_fixed_size 0
		.amdhsa_private_segment_fixed_size 0
		.amdhsa_kernarg_size 0
		.amdhsa_user_sgpr_count 0
		.amdhsa_user_sgpr_dispatch_ptr 0
		.amdhsa_user_sgpr_queue_ptr 0
		.amdhsa_user_sgpr_kernarg_segment_ptr 0
		.amdhsa_user_sgpr_dispatch_id 0
		.amdhsa_user_sgpr_kernarg_preload_length 0
		.amdhsa_user_sgpr_kernarg_preload_offset 0
		.amdhsa_user_sgpr_private_segment_size 0
		.amdhsa_wavefront_size32 1
		.amdhsa_uses_dynamic_stack 0
		.amdhsa_enable_private_segment 0
		.amdhsa_system_sgpr_workgroup_id_x 1
		.amdhsa_system_sgpr_workgroup_id_y 0
		.amdhsa_system_sgpr_workgroup_id_z 0
		.amdhsa_system_sgpr_workgroup_info 0
		.amdhsa_system_vgpr_workitem_id 0
		.amdhsa_next_free_vgpr 1
		.amdhsa_next_free_sgpr 1
		.amdhsa_named_barrier_count 0
		.amdhsa_reserve_vcc 0
		.amdhsa_float_round_mode_32 0
		.amdhsa_float_round_mode_16_64 0
		.amdhsa_float_denorm_mode_32 3
		.amdhsa_float_denorm_mode_16_64 3
		.amdhsa_fp16_overflow 0
		.amdhsa_memory_ordered 1
		.amdhsa_forward_progress 1
		.amdhsa_inst_pref_size 1
		.amdhsa_round_robin_scheduling 0
		.amdhsa_exception_fp_ieee_invalid_op 0
		.amdhsa_exception_fp_denorm_src 0
		.amdhsa_exception_fp_ieee_div_zero 0
		.amdhsa_exception_fp_ieee_overflow 0
		.amdhsa_exception_fp_ieee_underflow 0
		.amdhsa_exception_fp_ieee_inexact 0
		.amdhsa_exception_int_div_zero 0
	.end_amdhsa_kernel
	.section	.text._ZN7rocprim17ROCPRIM_400000_NS6detail44device_merge_sort_compile_time_verifier_archINS1_11comp_targetILNS1_3genE5ELNS1_11target_archE942ELNS1_3gpuE9ELNS1_3repE0EEES8_NS1_28merge_sort_block_sort_configILj256ELj4ELNS0_20block_sort_algorithmE0EEENS0_14default_configENS1_37merge_sort_block_sort_config_selectorIsNS0_10empty_typeEEENS1_38merge_sort_block_merge_config_selectorIsSE_EEEEvv,"axG",@progbits,_ZN7rocprim17ROCPRIM_400000_NS6detail44device_merge_sort_compile_time_verifier_archINS1_11comp_targetILNS1_3genE5ELNS1_11target_archE942ELNS1_3gpuE9ELNS1_3repE0EEES8_NS1_28merge_sort_block_sort_configILj256ELj4ELNS0_20block_sort_algorithmE0EEENS0_14default_configENS1_37merge_sort_block_sort_config_selectorIsNS0_10empty_typeEEENS1_38merge_sort_block_merge_config_selectorIsSE_EEEEvv,comdat
.Lfunc_end512:
	.size	_ZN7rocprim17ROCPRIM_400000_NS6detail44device_merge_sort_compile_time_verifier_archINS1_11comp_targetILNS1_3genE5ELNS1_11target_archE942ELNS1_3gpuE9ELNS1_3repE0EEES8_NS1_28merge_sort_block_sort_configILj256ELj4ELNS0_20block_sort_algorithmE0EEENS0_14default_configENS1_37merge_sort_block_sort_config_selectorIsNS0_10empty_typeEEENS1_38merge_sort_block_merge_config_selectorIsSE_EEEEvv, .Lfunc_end512-_ZN7rocprim17ROCPRIM_400000_NS6detail44device_merge_sort_compile_time_verifier_archINS1_11comp_targetILNS1_3genE5ELNS1_11target_archE942ELNS1_3gpuE9ELNS1_3repE0EEES8_NS1_28merge_sort_block_sort_configILj256ELj4ELNS0_20block_sort_algorithmE0EEENS0_14default_configENS1_37merge_sort_block_sort_config_selectorIsNS0_10empty_typeEEENS1_38merge_sort_block_merge_config_selectorIsSE_EEEEvv
                                        ; -- End function
	.set _ZN7rocprim17ROCPRIM_400000_NS6detail44device_merge_sort_compile_time_verifier_archINS1_11comp_targetILNS1_3genE5ELNS1_11target_archE942ELNS1_3gpuE9ELNS1_3repE0EEES8_NS1_28merge_sort_block_sort_configILj256ELj4ELNS0_20block_sort_algorithmE0EEENS0_14default_configENS1_37merge_sort_block_sort_config_selectorIsNS0_10empty_typeEEENS1_38merge_sort_block_merge_config_selectorIsSE_EEEEvv.num_vgpr, 0
	.set _ZN7rocprim17ROCPRIM_400000_NS6detail44device_merge_sort_compile_time_verifier_archINS1_11comp_targetILNS1_3genE5ELNS1_11target_archE942ELNS1_3gpuE9ELNS1_3repE0EEES8_NS1_28merge_sort_block_sort_configILj256ELj4ELNS0_20block_sort_algorithmE0EEENS0_14default_configENS1_37merge_sort_block_sort_config_selectorIsNS0_10empty_typeEEENS1_38merge_sort_block_merge_config_selectorIsSE_EEEEvv.num_agpr, 0
	.set _ZN7rocprim17ROCPRIM_400000_NS6detail44device_merge_sort_compile_time_verifier_archINS1_11comp_targetILNS1_3genE5ELNS1_11target_archE942ELNS1_3gpuE9ELNS1_3repE0EEES8_NS1_28merge_sort_block_sort_configILj256ELj4ELNS0_20block_sort_algorithmE0EEENS0_14default_configENS1_37merge_sort_block_sort_config_selectorIsNS0_10empty_typeEEENS1_38merge_sort_block_merge_config_selectorIsSE_EEEEvv.numbered_sgpr, 0
	.set _ZN7rocprim17ROCPRIM_400000_NS6detail44device_merge_sort_compile_time_verifier_archINS1_11comp_targetILNS1_3genE5ELNS1_11target_archE942ELNS1_3gpuE9ELNS1_3repE0EEES8_NS1_28merge_sort_block_sort_configILj256ELj4ELNS0_20block_sort_algorithmE0EEENS0_14default_configENS1_37merge_sort_block_sort_config_selectorIsNS0_10empty_typeEEENS1_38merge_sort_block_merge_config_selectorIsSE_EEEEvv.num_named_barrier, 0
	.set _ZN7rocprim17ROCPRIM_400000_NS6detail44device_merge_sort_compile_time_verifier_archINS1_11comp_targetILNS1_3genE5ELNS1_11target_archE942ELNS1_3gpuE9ELNS1_3repE0EEES8_NS1_28merge_sort_block_sort_configILj256ELj4ELNS0_20block_sort_algorithmE0EEENS0_14default_configENS1_37merge_sort_block_sort_config_selectorIsNS0_10empty_typeEEENS1_38merge_sort_block_merge_config_selectorIsSE_EEEEvv.private_seg_size, 0
	.set _ZN7rocprim17ROCPRIM_400000_NS6detail44device_merge_sort_compile_time_verifier_archINS1_11comp_targetILNS1_3genE5ELNS1_11target_archE942ELNS1_3gpuE9ELNS1_3repE0EEES8_NS1_28merge_sort_block_sort_configILj256ELj4ELNS0_20block_sort_algorithmE0EEENS0_14default_configENS1_37merge_sort_block_sort_config_selectorIsNS0_10empty_typeEEENS1_38merge_sort_block_merge_config_selectorIsSE_EEEEvv.uses_vcc, 0
	.set _ZN7rocprim17ROCPRIM_400000_NS6detail44device_merge_sort_compile_time_verifier_archINS1_11comp_targetILNS1_3genE5ELNS1_11target_archE942ELNS1_3gpuE9ELNS1_3repE0EEES8_NS1_28merge_sort_block_sort_configILj256ELj4ELNS0_20block_sort_algorithmE0EEENS0_14default_configENS1_37merge_sort_block_sort_config_selectorIsNS0_10empty_typeEEENS1_38merge_sort_block_merge_config_selectorIsSE_EEEEvv.uses_flat_scratch, 0
	.set _ZN7rocprim17ROCPRIM_400000_NS6detail44device_merge_sort_compile_time_verifier_archINS1_11comp_targetILNS1_3genE5ELNS1_11target_archE942ELNS1_3gpuE9ELNS1_3repE0EEES8_NS1_28merge_sort_block_sort_configILj256ELj4ELNS0_20block_sort_algorithmE0EEENS0_14default_configENS1_37merge_sort_block_sort_config_selectorIsNS0_10empty_typeEEENS1_38merge_sort_block_merge_config_selectorIsSE_EEEEvv.has_dyn_sized_stack, 0
	.set _ZN7rocprim17ROCPRIM_400000_NS6detail44device_merge_sort_compile_time_verifier_archINS1_11comp_targetILNS1_3genE5ELNS1_11target_archE942ELNS1_3gpuE9ELNS1_3repE0EEES8_NS1_28merge_sort_block_sort_configILj256ELj4ELNS0_20block_sort_algorithmE0EEENS0_14default_configENS1_37merge_sort_block_sort_config_selectorIsNS0_10empty_typeEEENS1_38merge_sort_block_merge_config_selectorIsSE_EEEEvv.has_recursion, 0
	.set _ZN7rocprim17ROCPRIM_400000_NS6detail44device_merge_sort_compile_time_verifier_archINS1_11comp_targetILNS1_3genE5ELNS1_11target_archE942ELNS1_3gpuE9ELNS1_3repE0EEES8_NS1_28merge_sort_block_sort_configILj256ELj4ELNS0_20block_sort_algorithmE0EEENS0_14default_configENS1_37merge_sort_block_sort_config_selectorIsNS0_10empty_typeEEENS1_38merge_sort_block_merge_config_selectorIsSE_EEEEvv.has_indirect_call, 0
	.section	.AMDGPU.csdata,"",@progbits
; Kernel info:
; codeLenInByte = 4
; TotalNumSgprs: 0
; NumVgprs: 0
; ScratchSize: 0
; MemoryBound: 0
; FloatMode: 240
; IeeeMode: 1
; LDSByteSize: 0 bytes/workgroup (compile time only)
; SGPRBlocks: 0
; VGPRBlocks: 0
; NumSGPRsForWavesPerEU: 1
; NumVGPRsForWavesPerEU: 1
; NamedBarCnt: 0
; Occupancy: 16
; WaveLimiterHint : 0
; COMPUTE_PGM_RSRC2:SCRATCH_EN: 0
; COMPUTE_PGM_RSRC2:USER_SGPR: 0
; COMPUTE_PGM_RSRC2:TRAP_HANDLER: 0
; COMPUTE_PGM_RSRC2:TGID_X_EN: 1
; COMPUTE_PGM_RSRC2:TGID_Y_EN: 0
; COMPUTE_PGM_RSRC2:TGID_Z_EN: 0
; COMPUTE_PGM_RSRC2:TIDIG_COMP_CNT: 0
	.section	.text._ZN7rocprim17ROCPRIM_400000_NS6detail44device_merge_sort_compile_time_verifier_archINS1_11comp_targetILNS1_3genE4ELNS1_11target_archE910ELNS1_3gpuE8ELNS1_3repE0EEES8_NS1_28merge_sort_block_sort_configILj256ELj4ELNS0_20block_sort_algorithmE0EEENS0_14default_configENS1_37merge_sort_block_sort_config_selectorIsNS0_10empty_typeEEENS1_38merge_sort_block_merge_config_selectorIsSE_EEEEvv,"axG",@progbits,_ZN7rocprim17ROCPRIM_400000_NS6detail44device_merge_sort_compile_time_verifier_archINS1_11comp_targetILNS1_3genE4ELNS1_11target_archE910ELNS1_3gpuE8ELNS1_3repE0EEES8_NS1_28merge_sort_block_sort_configILj256ELj4ELNS0_20block_sort_algorithmE0EEENS0_14default_configENS1_37merge_sort_block_sort_config_selectorIsNS0_10empty_typeEEENS1_38merge_sort_block_merge_config_selectorIsSE_EEEEvv,comdat
	.protected	_ZN7rocprim17ROCPRIM_400000_NS6detail44device_merge_sort_compile_time_verifier_archINS1_11comp_targetILNS1_3genE4ELNS1_11target_archE910ELNS1_3gpuE8ELNS1_3repE0EEES8_NS1_28merge_sort_block_sort_configILj256ELj4ELNS0_20block_sort_algorithmE0EEENS0_14default_configENS1_37merge_sort_block_sort_config_selectorIsNS0_10empty_typeEEENS1_38merge_sort_block_merge_config_selectorIsSE_EEEEvv ; -- Begin function _ZN7rocprim17ROCPRIM_400000_NS6detail44device_merge_sort_compile_time_verifier_archINS1_11comp_targetILNS1_3genE4ELNS1_11target_archE910ELNS1_3gpuE8ELNS1_3repE0EEES8_NS1_28merge_sort_block_sort_configILj256ELj4ELNS0_20block_sort_algorithmE0EEENS0_14default_configENS1_37merge_sort_block_sort_config_selectorIsNS0_10empty_typeEEENS1_38merge_sort_block_merge_config_selectorIsSE_EEEEvv
	.globl	_ZN7rocprim17ROCPRIM_400000_NS6detail44device_merge_sort_compile_time_verifier_archINS1_11comp_targetILNS1_3genE4ELNS1_11target_archE910ELNS1_3gpuE8ELNS1_3repE0EEES8_NS1_28merge_sort_block_sort_configILj256ELj4ELNS0_20block_sort_algorithmE0EEENS0_14default_configENS1_37merge_sort_block_sort_config_selectorIsNS0_10empty_typeEEENS1_38merge_sort_block_merge_config_selectorIsSE_EEEEvv
	.p2align	8
	.type	_ZN7rocprim17ROCPRIM_400000_NS6detail44device_merge_sort_compile_time_verifier_archINS1_11comp_targetILNS1_3genE4ELNS1_11target_archE910ELNS1_3gpuE8ELNS1_3repE0EEES8_NS1_28merge_sort_block_sort_configILj256ELj4ELNS0_20block_sort_algorithmE0EEENS0_14default_configENS1_37merge_sort_block_sort_config_selectorIsNS0_10empty_typeEEENS1_38merge_sort_block_merge_config_selectorIsSE_EEEEvv,@function
_ZN7rocprim17ROCPRIM_400000_NS6detail44device_merge_sort_compile_time_verifier_archINS1_11comp_targetILNS1_3genE4ELNS1_11target_archE910ELNS1_3gpuE8ELNS1_3repE0EEES8_NS1_28merge_sort_block_sort_configILj256ELj4ELNS0_20block_sort_algorithmE0EEENS0_14default_configENS1_37merge_sort_block_sort_config_selectorIsNS0_10empty_typeEEENS1_38merge_sort_block_merge_config_selectorIsSE_EEEEvv: ; @_ZN7rocprim17ROCPRIM_400000_NS6detail44device_merge_sort_compile_time_verifier_archINS1_11comp_targetILNS1_3genE4ELNS1_11target_archE910ELNS1_3gpuE8ELNS1_3repE0EEES8_NS1_28merge_sort_block_sort_configILj256ELj4ELNS0_20block_sort_algorithmE0EEENS0_14default_configENS1_37merge_sort_block_sort_config_selectorIsNS0_10empty_typeEEENS1_38merge_sort_block_merge_config_selectorIsSE_EEEEvv
; %bb.0:
	s_endpgm
	.section	.rodata,"a",@progbits
	.p2align	6, 0x0
	.amdhsa_kernel _ZN7rocprim17ROCPRIM_400000_NS6detail44device_merge_sort_compile_time_verifier_archINS1_11comp_targetILNS1_3genE4ELNS1_11target_archE910ELNS1_3gpuE8ELNS1_3repE0EEES8_NS1_28merge_sort_block_sort_configILj256ELj4ELNS0_20block_sort_algorithmE0EEENS0_14default_configENS1_37merge_sort_block_sort_config_selectorIsNS0_10empty_typeEEENS1_38merge_sort_block_merge_config_selectorIsSE_EEEEvv
		.amdhsa_group_segment_fixed_size 0
		.amdhsa_private_segment_fixed_size 0
		.amdhsa_kernarg_size 0
		.amdhsa_user_sgpr_count 0
		.amdhsa_user_sgpr_dispatch_ptr 0
		.amdhsa_user_sgpr_queue_ptr 0
		.amdhsa_user_sgpr_kernarg_segment_ptr 0
		.amdhsa_user_sgpr_dispatch_id 0
		.amdhsa_user_sgpr_kernarg_preload_length 0
		.amdhsa_user_sgpr_kernarg_preload_offset 0
		.amdhsa_user_sgpr_private_segment_size 0
		.amdhsa_wavefront_size32 1
		.amdhsa_uses_dynamic_stack 0
		.amdhsa_enable_private_segment 0
		.amdhsa_system_sgpr_workgroup_id_x 1
		.amdhsa_system_sgpr_workgroup_id_y 0
		.amdhsa_system_sgpr_workgroup_id_z 0
		.amdhsa_system_sgpr_workgroup_info 0
		.amdhsa_system_vgpr_workitem_id 0
		.amdhsa_next_free_vgpr 1
		.amdhsa_next_free_sgpr 1
		.amdhsa_named_barrier_count 0
		.amdhsa_reserve_vcc 0
		.amdhsa_float_round_mode_32 0
		.amdhsa_float_round_mode_16_64 0
		.amdhsa_float_denorm_mode_32 3
		.amdhsa_float_denorm_mode_16_64 3
		.amdhsa_fp16_overflow 0
		.amdhsa_memory_ordered 1
		.amdhsa_forward_progress 1
		.amdhsa_inst_pref_size 1
		.amdhsa_round_robin_scheduling 0
		.amdhsa_exception_fp_ieee_invalid_op 0
		.amdhsa_exception_fp_denorm_src 0
		.amdhsa_exception_fp_ieee_div_zero 0
		.amdhsa_exception_fp_ieee_overflow 0
		.amdhsa_exception_fp_ieee_underflow 0
		.amdhsa_exception_fp_ieee_inexact 0
		.amdhsa_exception_int_div_zero 0
	.end_amdhsa_kernel
	.section	.text._ZN7rocprim17ROCPRIM_400000_NS6detail44device_merge_sort_compile_time_verifier_archINS1_11comp_targetILNS1_3genE4ELNS1_11target_archE910ELNS1_3gpuE8ELNS1_3repE0EEES8_NS1_28merge_sort_block_sort_configILj256ELj4ELNS0_20block_sort_algorithmE0EEENS0_14default_configENS1_37merge_sort_block_sort_config_selectorIsNS0_10empty_typeEEENS1_38merge_sort_block_merge_config_selectorIsSE_EEEEvv,"axG",@progbits,_ZN7rocprim17ROCPRIM_400000_NS6detail44device_merge_sort_compile_time_verifier_archINS1_11comp_targetILNS1_3genE4ELNS1_11target_archE910ELNS1_3gpuE8ELNS1_3repE0EEES8_NS1_28merge_sort_block_sort_configILj256ELj4ELNS0_20block_sort_algorithmE0EEENS0_14default_configENS1_37merge_sort_block_sort_config_selectorIsNS0_10empty_typeEEENS1_38merge_sort_block_merge_config_selectorIsSE_EEEEvv,comdat
.Lfunc_end513:
	.size	_ZN7rocprim17ROCPRIM_400000_NS6detail44device_merge_sort_compile_time_verifier_archINS1_11comp_targetILNS1_3genE4ELNS1_11target_archE910ELNS1_3gpuE8ELNS1_3repE0EEES8_NS1_28merge_sort_block_sort_configILj256ELj4ELNS0_20block_sort_algorithmE0EEENS0_14default_configENS1_37merge_sort_block_sort_config_selectorIsNS0_10empty_typeEEENS1_38merge_sort_block_merge_config_selectorIsSE_EEEEvv, .Lfunc_end513-_ZN7rocprim17ROCPRIM_400000_NS6detail44device_merge_sort_compile_time_verifier_archINS1_11comp_targetILNS1_3genE4ELNS1_11target_archE910ELNS1_3gpuE8ELNS1_3repE0EEES8_NS1_28merge_sort_block_sort_configILj256ELj4ELNS0_20block_sort_algorithmE0EEENS0_14default_configENS1_37merge_sort_block_sort_config_selectorIsNS0_10empty_typeEEENS1_38merge_sort_block_merge_config_selectorIsSE_EEEEvv
                                        ; -- End function
	.set _ZN7rocprim17ROCPRIM_400000_NS6detail44device_merge_sort_compile_time_verifier_archINS1_11comp_targetILNS1_3genE4ELNS1_11target_archE910ELNS1_3gpuE8ELNS1_3repE0EEES8_NS1_28merge_sort_block_sort_configILj256ELj4ELNS0_20block_sort_algorithmE0EEENS0_14default_configENS1_37merge_sort_block_sort_config_selectorIsNS0_10empty_typeEEENS1_38merge_sort_block_merge_config_selectorIsSE_EEEEvv.num_vgpr, 0
	.set _ZN7rocprim17ROCPRIM_400000_NS6detail44device_merge_sort_compile_time_verifier_archINS1_11comp_targetILNS1_3genE4ELNS1_11target_archE910ELNS1_3gpuE8ELNS1_3repE0EEES8_NS1_28merge_sort_block_sort_configILj256ELj4ELNS0_20block_sort_algorithmE0EEENS0_14default_configENS1_37merge_sort_block_sort_config_selectorIsNS0_10empty_typeEEENS1_38merge_sort_block_merge_config_selectorIsSE_EEEEvv.num_agpr, 0
	.set _ZN7rocprim17ROCPRIM_400000_NS6detail44device_merge_sort_compile_time_verifier_archINS1_11comp_targetILNS1_3genE4ELNS1_11target_archE910ELNS1_3gpuE8ELNS1_3repE0EEES8_NS1_28merge_sort_block_sort_configILj256ELj4ELNS0_20block_sort_algorithmE0EEENS0_14default_configENS1_37merge_sort_block_sort_config_selectorIsNS0_10empty_typeEEENS1_38merge_sort_block_merge_config_selectorIsSE_EEEEvv.numbered_sgpr, 0
	.set _ZN7rocprim17ROCPRIM_400000_NS6detail44device_merge_sort_compile_time_verifier_archINS1_11comp_targetILNS1_3genE4ELNS1_11target_archE910ELNS1_3gpuE8ELNS1_3repE0EEES8_NS1_28merge_sort_block_sort_configILj256ELj4ELNS0_20block_sort_algorithmE0EEENS0_14default_configENS1_37merge_sort_block_sort_config_selectorIsNS0_10empty_typeEEENS1_38merge_sort_block_merge_config_selectorIsSE_EEEEvv.num_named_barrier, 0
	.set _ZN7rocprim17ROCPRIM_400000_NS6detail44device_merge_sort_compile_time_verifier_archINS1_11comp_targetILNS1_3genE4ELNS1_11target_archE910ELNS1_3gpuE8ELNS1_3repE0EEES8_NS1_28merge_sort_block_sort_configILj256ELj4ELNS0_20block_sort_algorithmE0EEENS0_14default_configENS1_37merge_sort_block_sort_config_selectorIsNS0_10empty_typeEEENS1_38merge_sort_block_merge_config_selectorIsSE_EEEEvv.private_seg_size, 0
	.set _ZN7rocprim17ROCPRIM_400000_NS6detail44device_merge_sort_compile_time_verifier_archINS1_11comp_targetILNS1_3genE4ELNS1_11target_archE910ELNS1_3gpuE8ELNS1_3repE0EEES8_NS1_28merge_sort_block_sort_configILj256ELj4ELNS0_20block_sort_algorithmE0EEENS0_14default_configENS1_37merge_sort_block_sort_config_selectorIsNS0_10empty_typeEEENS1_38merge_sort_block_merge_config_selectorIsSE_EEEEvv.uses_vcc, 0
	.set _ZN7rocprim17ROCPRIM_400000_NS6detail44device_merge_sort_compile_time_verifier_archINS1_11comp_targetILNS1_3genE4ELNS1_11target_archE910ELNS1_3gpuE8ELNS1_3repE0EEES8_NS1_28merge_sort_block_sort_configILj256ELj4ELNS0_20block_sort_algorithmE0EEENS0_14default_configENS1_37merge_sort_block_sort_config_selectorIsNS0_10empty_typeEEENS1_38merge_sort_block_merge_config_selectorIsSE_EEEEvv.uses_flat_scratch, 0
	.set _ZN7rocprim17ROCPRIM_400000_NS6detail44device_merge_sort_compile_time_verifier_archINS1_11comp_targetILNS1_3genE4ELNS1_11target_archE910ELNS1_3gpuE8ELNS1_3repE0EEES8_NS1_28merge_sort_block_sort_configILj256ELj4ELNS0_20block_sort_algorithmE0EEENS0_14default_configENS1_37merge_sort_block_sort_config_selectorIsNS0_10empty_typeEEENS1_38merge_sort_block_merge_config_selectorIsSE_EEEEvv.has_dyn_sized_stack, 0
	.set _ZN7rocprim17ROCPRIM_400000_NS6detail44device_merge_sort_compile_time_verifier_archINS1_11comp_targetILNS1_3genE4ELNS1_11target_archE910ELNS1_3gpuE8ELNS1_3repE0EEES8_NS1_28merge_sort_block_sort_configILj256ELj4ELNS0_20block_sort_algorithmE0EEENS0_14default_configENS1_37merge_sort_block_sort_config_selectorIsNS0_10empty_typeEEENS1_38merge_sort_block_merge_config_selectorIsSE_EEEEvv.has_recursion, 0
	.set _ZN7rocprim17ROCPRIM_400000_NS6detail44device_merge_sort_compile_time_verifier_archINS1_11comp_targetILNS1_3genE4ELNS1_11target_archE910ELNS1_3gpuE8ELNS1_3repE0EEES8_NS1_28merge_sort_block_sort_configILj256ELj4ELNS0_20block_sort_algorithmE0EEENS0_14default_configENS1_37merge_sort_block_sort_config_selectorIsNS0_10empty_typeEEENS1_38merge_sort_block_merge_config_selectorIsSE_EEEEvv.has_indirect_call, 0
	.section	.AMDGPU.csdata,"",@progbits
; Kernel info:
; codeLenInByte = 4
; TotalNumSgprs: 0
; NumVgprs: 0
; ScratchSize: 0
; MemoryBound: 0
; FloatMode: 240
; IeeeMode: 1
; LDSByteSize: 0 bytes/workgroup (compile time only)
; SGPRBlocks: 0
; VGPRBlocks: 0
; NumSGPRsForWavesPerEU: 1
; NumVGPRsForWavesPerEU: 1
; NamedBarCnt: 0
; Occupancy: 16
; WaveLimiterHint : 0
; COMPUTE_PGM_RSRC2:SCRATCH_EN: 0
; COMPUTE_PGM_RSRC2:USER_SGPR: 0
; COMPUTE_PGM_RSRC2:TRAP_HANDLER: 0
; COMPUTE_PGM_RSRC2:TGID_X_EN: 1
; COMPUTE_PGM_RSRC2:TGID_Y_EN: 0
; COMPUTE_PGM_RSRC2:TGID_Z_EN: 0
; COMPUTE_PGM_RSRC2:TIDIG_COMP_CNT: 0
	.section	.text._ZN7rocprim17ROCPRIM_400000_NS6detail44device_merge_sort_compile_time_verifier_archINS1_11comp_targetILNS1_3genE3ELNS1_11target_archE908ELNS1_3gpuE7ELNS1_3repE0EEES8_NS1_28merge_sort_block_sort_configILj256ELj4ELNS0_20block_sort_algorithmE0EEENS0_14default_configENS1_37merge_sort_block_sort_config_selectorIsNS0_10empty_typeEEENS1_38merge_sort_block_merge_config_selectorIsSE_EEEEvv,"axG",@progbits,_ZN7rocprim17ROCPRIM_400000_NS6detail44device_merge_sort_compile_time_verifier_archINS1_11comp_targetILNS1_3genE3ELNS1_11target_archE908ELNS1_3gpuE7ELNS1_3repE0EEES8_NS1_28merge_sort_block_sort_configILj256ELj4ELNS0_20block_sort_algorithmE0EEENS0_14default_configENS1_37merge_sort_block_sort_config_selectorIsNS0_10empty_typeEEENS1_38merge_sort_block_merge_config_selectorIsSE_EEEEvv,comdat
	.protected	_ZN7rocprim17ROCPRIM_400000_NS6detail44device_merge_sort_compile_time_verifier_archINS1_11comp_targetILNS1_3genE3ELNS1_11target_archE908ELNS1_3gpuE7ELNS1_3repE0EEES8_NS1_28merge_sort_block_sort_configILj256ELj4ELNS0_20block_sort_algorithmE0EEENS0_14default_configENS1_37merge_sort_block_sort_config_selectorIsNS0_10empty_typeEEENS1_38merge_sort_block_merge_config_selectorIsSE_EEEEvv ; -- Begin function _ZN7rocprim17ROCPRIM_400000_NS6detail44device_merge_sort_compile_time_verifier_archINS1_11comp_targetILNS1_3genE3ELNS1_11target_archE908ELNS1_3gpuE7ELNS1_3repE0EEES8_NS1_28merge_sort_block_sort_configILj256ELj4ELNS0_20block_sort_algorithmE0EEENS0_14default_configENS1_37merge_sort_block_sort_config_selectorIsNS0_10empty_typeEEENS1_38merge_sort_block_merge_config_selectorIsSE_EEEEvv
	.globl	_ZN7rocprim17ROCPRIM_400000_NS6detail44device_merge_sort_compile_time_verifier_archINS1_11comp_targetILNS1_3genE3ELNS1_11target_archE908ELNS1_3gpuE7ELNS1_3repE0EEES8_NS1_28merge_sort_block_sort_configILj256ELj4ELNS0_20block_sort_algorithmE0EEENS0_14default_configENS1_37merge_sort_block_sort_config_selectorIsNS0_10empty_typeEEENS1_38merge_sort_block_merge_config_selectorIsSE_EEEEvv
	.p2align	8
	.type	_ZN7rocprim17ROCPRIM_400000_NS6detail44device_merge_sort_compile_time_verifier_archINS1_11comp_targetILNS1_3genE3ELNS1_11target_archE908ELNS1_3gpuE7ELNS1_3repE0EEES8_NS1_28merge_sort_block_sort_configILj256ELj4ELNS0_20block_sort_algorithmE0EEENS0_14default_configENS1_37merge_sort_block_sort_config_selectorIsNS0_10empty_typeEEENS1_38merge_sort_block_merge_config_selectorIsSE_EEEEvv,@function
_ZN7rocprim17ROCPRIM_400000_NS6detail44device_merge_sort_compile_time_verifier_archINS1_11comp_targetILNS1_3genE3ELNS1_11target_archE908ELNS1_3gpuE7ELNS1_3repE0EEES8_NS1_28merge_sort_block_sort_configILj256ELj4ELNS0_20block_sort_algorithmE0EEENS0_14default_configENS1_37merge_sort_block_sort_config_selectorIsNS0_10empty_typeEEENS1_38merge_sort_block_merge_config_selectorIsSE_EEEEvv: ; @_ZN7rocprim17ROCPRIM_400000_NS6detail44device_merge_sort_compile_time_verifier_archINS1_11comp_targetILNS1_3genE3ELNS1_11target_archE908ELNS1_3gpuE7ELNS1_3repE0EEES8_NS1_28merge_sort_block_sort_configILj256ELj4ELNS0_20block_sort_algorithmE0EEENS0_14default_configENS1_37merge_sort_block_sort_config_selectorIsNS0_10empty_typeEEENS1_38merge_sort_block_merge_config_selectorIsSE_EEEEvv
; %bb.0:
	s_endpgm
	.section	.rodata,"a",@progbits
	.p2align	6, 0x0
	.amdhsa_kernel _ZN7rocprim17ROCPRIM_400000_NS6detail44device_merge_sort_compile_time_verifier_archINS1_11comp_targetILNS1_3genE3ELNS1_11target_archE908ELNS1_3gpuE7ELNS1_3repE0EEES8_NS1_28merge_sort_block_sort_configILj256ELj4ELNS0_20block_sort_algorithmE0EEENS0_14default_configENS1_37merge_sort_block_sort_config_selectorIsNS0_10empty_typeEEENS1_38merge_sort_block_merge_config_selectorIsSE_EEEEvv
		.amdhsa_group_segment_fixed_size 0
		.amdhsa_private_segment_fixed_size 0
		.amdhsa_kernarg_size 0
		.amdhsa_user_sgpr_count 0
		.amdhsa_user_sgpr_dispatch_ptr 0
		.amdhsa_user_sgpr_queue_ptr 0
		.amdhsa_user_sgpr_kernarg_segment_ptr 0
		.amdhsa_user_sgpr_dispatch_id 0
		.amdhsa_user_sgpr_kernarg_preload_length 0
		.amdhsa_user_sgpr_kernarg_preload_offset 0
		.amdhsa_user_sgpr_private_segment_size 0
		.amdhsa_wavefront_size32 1
		.amdhsa_uses_dynamic_stack 0
		.amdhsa_enable_private_segment 0
		.amdhsa_system_sgpr_workgroup_id_x 1
		.amdhsa_system_sgpr_workgroup_id_y 0
		.amdhsa_system_sgpr_workgroup_id_z 0
		.amdhsa_system_sgpr_workgroup_info 0
		.amdhsa_system_vgpr_workitem_id 0
		.amdhsa_next_free_vgpr 1
		.amdhsa_next_free_sgpr 1
		.amdhsa_named_barrier_count 0
		.amdhsa_reserve_vcc 0
		.amdhsa_float_round_mode_32 0
		.amdhsa_float_round_mode_16_64 0
		.amdhsa_float_denorm_mode_32 3
		.amdhsa_float_denorm_mode_16_64 3
		.amdhsa_fp16_overflow 0
		.amdhsa_memory_ordered 1
		.amdhsa_forward_progress 1
		.amdhsa_inst_pref_size 1
		.amdhsa_round_robin_scheduling 0
		.amdhsa_exception_fp_ieee_invalid_op 0
		.amdhsa_exception_fp_denorm_src 0
		.amdhsa_exception_fp_ieee_div_zero 0
		.amdhsa_exception_fp_ieee_overflow 0
		.amdhsa_exception_fp_ieee_underflow 0
		.amdhsa_exception_fp_ieee_inexact 0
		.amdhsa_exception_int_div_zero 0
	.end_amdhsa_kernel
	.section	.text._ZN7rocprim17ROCPRIM_400000_NS6detail44device_merge_sort_compile_time_verifier_archINS1_11comp_targetILNS1_3genE3ELNS1_11target_archE908ELNS1_3gpuE7ELNS1_3repE0EEES8_NS1_28merge_sort_block_sort_configILj256ELj4ELNS0_20block_sort_algorithmE0EEENS0_14default_configENS1_37merge_sort_block_sort_config_selectorIsNS0_10empty_typeEEENS1_38merge_sort_block_merge_config_selectorIsSE_EEEEvv,"axG",@progbits,_ZN7rocprim17ROCPRIM_400000_NS6detail44device_merge_sort_compile_time_verifier_archINS1_11comp_targetILNS1_3genE3ELNS1_11target_archE908ELNS1_3gpuE7ELNS1_3repE0EEES8_NS1_28merge_sort_block_sort_configILj256ELj4ELNS0_20block_sort_algorithmE0EEENS0_14default_configENS1_37merge_sort_block_sort_config_selectorIsNS0_10empty_typeEEENS1_38merge_sort_block_merge_config_selectorIsSE_EEEEvv,comdat
.Lfunc_end514:
	.size	_ZN7rocprim17ROCPRIM_400000_NS6detail44device_merge_sort_compile_time_verifier_archINS1_11comp_targetILNS1_3genE3ELNS1_11target_archE908ELNS1_3gpuE7ELNS1_3repE0EEES8_NS1_28merge_sort_block_sort_configILj256ELj4ELNS0_20block_sort_algorithmE0EEENS0_14default_configENS1_37merge_sort_block_sort_config_selectorIsNS0_10empty_typeEEENS1_38merge_sort_block_merge_config_selectorIsSE_EEEEvv, .Lfunc_end514-_ZN7rocprim17ROCPRIM_400000_NS6detail44device_merge_sort_compile_time_verifier_archINS1_11comp_targetILNS1_3genE3ELNS1_11target_archE908ELNS1_3gpuE7ELNS1_3repE0EEES8_NS1_28merge_sort_block_sort_configILj256ELj4ELNS0_20block_sort_algorithmE0EEENS0_14default_configENS1_37merge_sort_block_sort_config_selectorIsNS0_10empty_typeEEENS1_38merge_sort_block_merge_config_selectorIsSE_EEEEvv
                                        ; -- End function
	.set _ZN7rocprim17ROCPRIM_400000_NS6detail44device_merge_sort_compile_time_verifier_archINS1_11comp_targetILNS1_3genE3ELNS1_11target_archE908ELNS1_3gpuE7ELNS1_3repE0EEES8_NS1_28merge_sort_block_sort_configILj256ELj4ELNS0_20block_sort_algorithmE0EEENS0_14default_configENS1_37merge_sort_block_sort_config_selectorIsNS0_10empty_typeEEENS1_38merge_sort_block_merge_config_selectorIsSE_EEEEvv.num_vgpr, 0
	.set _ZN7rocprim17ROCPRIM_400000_NS6detail44device_merge_sort_compile_time_verifier_archINS1_11comp_targetILNS1_3genE3ELNS1_11target_archE908ELNS1_3gpuE7ELNS1_3repE0EEES8_NS1_28merge_sort_block_sort_configILj256ELj4ELNS0_20block_sort_algorithmE0EEENS0_14default_configENS1_37merge_sort_block_sort_config_selectorIsNS0_10empty_typeEEENS1_38merge_sort_block_merge_config_selectorIsSE_EEEEvv.num_agpr, 0
	.set _ZN7rocprim17ROCPRIM_400000_NS6detail44device_merge_sort_compile_time_verifier_archINS1_11comp_targetILNS1_3genE3ELNS1_11target_archE908ELNS1_3gpuE7ELNS1_3repE0EEES8_NS1_28merge_sort_block_sort_configILj256ELj4ELNS0_20block_sort_algorithmE0EEENS0_14default_configENS1_37merge_sort_block_sort_config_selectorIsNS0_10empty_typeEEENS1_38merge_sort_block_merge_config_selectorIsSE_EEEEvv.numbered_sgpr, 0
	.set _ZN7rocprim17ROCPRIM_400000_NS6detail44device_merge_sort_compile_time_verifier_archINS1_11comp_targetILNS1_3genE3ELNS1_11target_archE908ELNS1_3gpuE7ELNS1_3repE0EEES8_NS1_28merge_sort_block_sort_configILj256ELj4ELNS0_20block_sort_algorithmE0EEENS0_14default_configENS1_37merge_sort_block_sort_config_selectorIsNS0_10empty_typeEEENS1_38merge_sort_block_merge_config_selectorIsSE_EEEEvv.num_named_barrier, 0
	.set _ZN7rocprim17ROCPRIM_400000_NS6detail44device_merge_sort_compile_time_verifier_archINS1_11comp_targetILNS1_3genE3ELNS1_11target_archE908ELNS1_3gpuE7ELNS1_3repE0EEES8_NS1_28merge_sort_block_sort_configILj256ELj4ELNS0_20block_sort_algorithmE0EEENS0_14default_configENS1_37merge_sort_block_sort_config_selectorIsNS0_10empty_typeEEENS1_38merge_sort_block_merge_config_selectorIsSE_EEEEvv.private_seg_size, 0
	.set _ZN7rocprim17ROCPRIM_400000_NS6detail44device_merge_sort_compile_time_verifier_archINS1_11comp_targetILNS1_3genE3ELNS1_11target_archE908ELNS1_3gpuE7ELNS1_3repE0EEES8_NS1_28merge_sort_block_sort_configILj256ELj4ELNS0_20block_sort_algorithmE0EEENS0_14default_configENS1_37merge_sort_block_sort_config_selectorIsNS0_10empty_typeEEENS1_38merge_sort_block_merge_config_selectorIsSE_EEEEvv.uses_vcc, 0
	.set _ZN7rocprim17ROCPRIM_400000_NS6detail44device_merge_sort_compile_time_verifier_archINS1_11comp_targetILNS1_3genE3ELNS1_11target_archE908ELNS1_3gpuE7ELNS1_3repE0EEES8_NS1_28merge_sort_block_sort_configILj256ELj4ELNS0_20block_sort_algorithmE0EEENS0_14default_configENS1_37merge_sort_block_sort_config_selectorIsNS0_10empty_typeEEENS1_38merge_sort_block_merge_config_selectorIsSE_EEEEvv.uses_flat_scratch, 0
	.set _ZN7rocprim17ROCPRIM_400000_NS6detail44device_merge_sort_compile_time_verifier_archINS1_11comp_targetILNS1_3genE3ELNS1_11target_archE908ELNS1_3gpuE7ELNS1_3repE0EEES8_NS1_28merge_sort_block_sort_configILj256ELj4ELNS0_20block_sort_algorithmE0EEENS0_14default_configENS1_37merge_sort_block_sort_config_selectorIsNS0_10empty_typeEEENS1_38merge_sort_block_merge_config_selectorIsSE_EEEEvv.has_dyn_sized_stack, 0
	.set _ZN7rocprim17ROCPRIM_400000_NS6detail44device_merge_sort_compile_time_verifier_archINS1_11comp_targetILNS1_3genE3ELNS1_11target_archE908ELNS1_3gpuE7ELNS1_3repE0EEES8_NS1_28merge_sort_block_sort_configILj256ELj4ELNS0_20block_sort_algorithmE0EEENS0_14default_configENS1_37merge_sort_block_sort_config_selectorIsNS0_10empty_typeEEENS1_38merge_sort_block_merge_config_selectorIsSE_EEEEvv.has_recursion, 0
	.set _ZN7rocprim17ROCPRIM_400000_NS6detail44device_merge_sort_compile_time_verifier_archINS1_11comp_targetILNS1_3genE3ELNS1_11target_archE908ELNS1_3gpuE7ELNS1_3repE0EEES8_NS1_28merge_sort_block_sort_configILj256ELj4ELNS0_20block_sort_algorithmE0EEENS0_14default_configENS1_37merge_sort_block_sort_config_selectorIsNS0_10empty_typeEEENS1_38merge_sort_block_merge_config_selectorIsSE_EEEEvv.has_indirect_call, 0
	.section	.AMDGPU.csdata,"",@progbits
; Kernel info:
; codeLenInByte = 4
; TotalNumSgprs: 0
; NumVgprs: 0
; ScratchSize: 0
; MemoryBound: 0
; FloatMode: 240
; IeeeMode: 1
; LDSByteSize: 0 bytes/workgroup (compile time only)
; SGPRBlocks: 0
; VGPRBlocks: 0
; NumSGPRsForWavesPerEU: 1
; NumVGPRsForWavesPerEU: 1
; NamedBarCnt: 0
; Occupancy: 16
; WaveLimiterHint : 0
; COMPUTE_PGM_RSRC2:SCRATCH_EN: 0
; COMPUTE_PGM_RSRC2:USER_SGPR: 0
; COMPUTE_PGM_RSRC2:TRAP_HANDLER: 0
; COMPUTE_PGM_RSRC2:TGID_X_EN: 1
; COMPUTE_PGM_RSRC2:TGID_Y_EN: 0
; COMPUTE_PGM_RSRC2:TGID_Z_EN: 0
; COMPUTE_PGM_RSRC2:TIDIG_COMP_CNT: 0
	.section	.text._ZN7rocprim17ROCPRIM_400000_NS6detail44device_merge_sort_compile_time_verifier_archINS1_11comp_targetILNS1_3genE2ELNS1_11target_archE906ELNS1_3gpuE6ELNS1_3repE0EEES8_NS1_28merge_sort_block_sort_configILj256ELj4ELNS0_20block_sort_algorithmE0EEENS0_14default_configENS1_37merge_sort_block_sort_config_selectorIsNS0_10empty_typeEEENS1_38merge_sort_block_merge_config_selectorIsSE_EEEEvv,"axG",@progbits,_ZN7rocprim17ROCPRIM_400000_NS6detail44device_merge_sort_compile_time_verifier_archINS1_11comp_targetILNS1_3genE2ELNS1_11target_archE906ELNS1_3gpuE6ELNS1_3repE0EEES8_NS1_28merge_sort_block_sort_configILj256ELj4ELNS0_20block_sort_algorithmE0EEENS0_14default_configENS1_37merge_sort_block_sort_config_selectorIsNS0_10empty_typeEEENS1_38merge_sort_block_merge_config_selectorIsSE_EEEEvv,comdat
	.protected	_ZN7rocprim17ROCPRIM_400000_NS6detail44device_merge_sort_compile_time_verifier_archINS1_11comp_targetILNS1_3genE2ELNS1_11target_archE906ELNS1_3gpuE6ELNS1_3repE0EEES8_NS1_28merge_sort_block_sort_configILj256ELj4ELNS0_20block_sort_algorithmE0EEENS0_14default_configENS1_37merge_sort_block_sort_config_selectorIsNS0_10empty_typeEEENS1_38merge_sort_block_merge_config_selectorIsSE_EEEEvv ; -- Begin function _ZN7rocprim17ROCPRIM_400000_NS6detail44device_merge_sort_compile_time_verifier_archINS1_11comp_targetILNS1_3genE2ELNS1_11target_archE906ELNS1_3gpuE6ELNS1_3repE0EEES8_NS1_28merge_sort_block_sort_configILj256ELj4ELNS0_20block_sort_algorithmE0EEENS0_14default_configENS1_37merge_sort_block_sort_config_selectorIsNS0_10empty_typeEEENS1_38merge_sort_block_merge_config_selectorIsSE_EEEEvv
	.globl	_ZN7rocprim17ROCPRIM_400000_NS6detail44device_merge_sort_compile_time_verifier_archINS1_11comp_targetILNS1_3genE2ELNS1_11target_archE906ELNS1_3gpuE6ELNS1_3repE0EEES8_NS1_28merge_sort_block_sort_configILj256ELj4ELNS0_20block_sort_algorithmE0EEENS0_14default_configENS1_37merge_sort_block_sort_config_selectorIsNS0_10empty_typeEEENS1_38merge_sort_block_merge_config_selectorIsSE_EEEEvv
	.p2align	8
	.type	_ZN7rocprim17ROCPRIM_400000_NS6detail44device_merge_sort_compile_time_verifier_archINS1_11comp_targetILNS1_3genE2ELNS1_11target_archE906ELNS1_3gpuE6ELNS1_3repE0EEES8_NS1_28merge_sort_block_sort_configILj256ELj4ELNS0_20block_sort_algorithmE0EEENS0_14default_configENS1_37merge_sort_block_sort_config_selectorIsNS0_10empty_typeEEENS1_38merge_sort_block_merge_config_selectorIsSE_EEEEvv,@function
_ZN7rocprim17ROCPRIM_400000_NS6detail44device_merge_sort_compile_time_verifier_archINS1_11comp_targetILNS1_3genE2ELNS1_11target_archE906ELNS1_3gpuE6ELNS1_3repE0EEES8_NS1_28merge_sort_block_sort_configILj256ELj4ELNS0_20block_sort_algorithmE0EEENS0_14default_configENS1_37merge_sort_block_sort_config_selectorIsNS0_10empty_typeEEENS1_38merge_sort_block_merge_config_selectorIsSE_EEEEvv: ; @_ZN7rocprim17ROCPRIM_400000_NS6detail44device_merge_sort_compile_time_verifier_archINS1_11comp_targetILNS1_3genE2ELNS1_11target_archE906ELNS1_3gpuE6ELNS1_3repE0EEES8_NS1_28merge_sort_block_sort_configILj256ELj4ELNS0_20block_sort_algorithmE0EEENS0_14default_configENS1_37merge_sort_block_sort_config_selectorIsNS0_10empty_typeEEENS1_38merge_sort_block_merge_config_selectorIsSE_EEEEvv
; %bb.0:
	s_endpgm
	.section	.rodata,"a",@progbits
	.p2align	6, 0x0
	.amdhsa_kernel _ZN7rocprim17ROCPRIM_400000_NS6detail44device_merge_sort_compile_time_verifier_archINS1_11comp_targetILNS1_3genE2ELNS1_11target_archE906ELNS1_3gpuE6ELNS1_3repE0EEES8_NS1_28merge_sort_block_sort_configILj256ELj4ELNS0_20block_sort_algorithmE0EEENS0_14default_configENS1_37merge_sort_block_sort_config_selectorIsNS0_10empty_typeEEENS1_38merge_sort_block_merge_config_selectorIsSE_EEEEvv
		.amdhsa_group_segment_fixed_size 0
		.amdhsa_private_segment_fixed_size 0
		.amdhsa_kernarg_size 0
		.amdhsa_user_sgpr_count 0
		.amdhsa_user_sgpr_dispatch_ptr 0
		.amdhsa_user_sgpr_queue_ptr 0
		.amdhsa_user_sgpr_kernarg_segment_ptr 0
		.amdhsa_user_sgpr_dispatch_id 0
		.amdhsa_user_sgpr_kernarg_preload_length 0
		.amdhsa_user_sgpr_kernarg_preload_offset 0
		.amdhsa_user_sgpr_private_segment_size 0
		.amdhsa_wavefront_size32 1
		.amdhsa_uses_dynamic_stack 0
		.amdhsa_enable_private_segment 0
		.amdhsa_system_sgpr_workgroup_id_x 1
		.amdhsa_system_sgpr_workgroup_id_y 0
		.amdhsa_system_sgpr_workgroup_id_z 0
		.amdhsa_system_sgpr_workgroup_info 0
		.amdhsa_system_vgpr_workitem_id 0
		.amdhsa_next_free_vgpr 1
		.amdhsa_next_free_sgpr 1
		.amdhsa_named_barrier_count 0
		.amdhsa_reserve_vcc 0
		.amdhsa_float_round_mode_32 0
		.amdhsa_float_round_mode_16_64 0
		.amdhsa_float_denorm_mode_32 3
		.amdhsa_float_denorm_mode_16_64 3
		.amdhsa_fp16_overflow 0
		.amdhsa_memory_ordered 1
		.amdhsa_forward_progress 1
		.amdhsa_inst_pref_size 1
		.amdhsa_round_robin_scheduling 0
		.amdhsa_exception_fp_ieee_invalid_op 0
		.amdhsa_exception_fp_denorm_src 0
		.amdhsa_exception_fp_ieee_div_zero 0
		.amdhsa_exception_fp_ieee_overflow 0
		.amdhsa_exception_fp_ieee_underflow 0
		.amdhsa_exception_fp_ieee_inexact 0
		.amdhsa_exception_int_div_zero 0
	.end_amdhsa_kernel
	.section	.text._ZN7rocprim17ROCPRIM_400000_NS6detail44device_merge_sort_compile_time_verifier_archINS1_11comp_targetILNS1_3genE2ELNS1_11target_archE906ELNS1_3gpuE6ELNS1_3repE0EEES8_NS1_28merge_sort_block_sort_configILj256ELj4ELNS0_20block_sort_algorithmE0EEENS0_14default_configENS1_37merge_sort_block_sort_config_selectorIsNS0_10empty_typeEEENS1_38merge_sort_block_merge_config_selectorIsSE_EEEEvv,"axG",@progbits,_ZN7rocprim17ROCPRIM_400000_NS6detail44device_merge_sort_compile_time_verifier_archINS1_11comp_targetILNS1_3genE2ELNS1_11target_archE906ELNS1_3gpuE6ELNS1_3repE0EEES8_NS1_28merge_sort_block_sort_configILj256ELj4ELNS0_20block_sort_algorithmE0EEENS0_14default_configENS1_37merge_sort_block_sort_config_selectorIsNS0_10empty_typeEEENS1_38merge_sort_block_merge_config_selectorIsSE_EEEEvv,comdat
.Lfunc_end515:
	.size	_ZN7rocprim17ROCPRIM_400000_NS6detail44device_merge_sort_compile_time_verifier_archINS1_11comp_targetILNS1_3genE2ELNS1_11target_archE906ELNS1_3gpuE6ELNS1_3repE0EEES8_NS1_28merge_sort_block_sort_configILj256ELj4ELNS0_20block_sort_algorithmE0EEENS0_14default_configENS1_37merge_sort_block_sort_config_selectorIsNS0_10empty_typeEEENS1_38merge_sort_block_merge_config_selectorIsSE_EEEEvv, .Lfunc_end515-_ZN7rocprim17ROCPRIM_400000_NS6detail44device_merge_sort_compile_time_verifier_archINS1_11comp_targetILNS1_3genE2ELNS1_11target_archE906ELNS1_3gpuE6ELNS1_3repE0EEES8_NS1_28merge_sort_block_sort_configILj256ELj4ELNS0_20block_sort_algorithmE0EEENS0_14default_configENS1_37merge_sort_block_sort_config_selectorIsNS0_10empty_typeEEENS1_38merge_sort_block_merge_config_selectorIsSE_EEEEvv
                                        ; -- End function
	.set _ZN7rocprim17ROCPRIM_400000_NS6detail44device_merge_sort_compile_time_verifier_archINS1_11comp_targetILNS1_3genE2ELNS1_11target_archE906ELNS1_3gpuE6ELNS1_3repE0EEES8_NS1_28merge_sort_block_sort_configILj256ELj4ELNS0_20block_sort_algorithmE0EEENS0_14default_configENS1_37merge_sort_block_sort_config_selectorIsNS0_10empty_typeEEENS1_38merge_sort_block_merge_config_selectorIsSE_EEEEvv.num_vgpr, 0
	.set _ZN7rocprim17ROCPRIM_400000_NS6detail44device_merge_sort_compile_time_verifier_archINS1_11comp_targetILNS1_3genE2ELNS1_11target_archE906ELNS1_3gpuE6ELNS1_3repE0EEES8_NS1_28merge_sort_block_sort_configILj256ELj4ELNS0_20block_sort_algorithmE0EEENS0_14default_configENS1_37merge_sort_block_sort_config_selectorIsNS0_10empty_typeEEENS1_38merge_sort_block_merge_config_selectorIsSE_EEEEvv.num_agpr, 0
	.set _ZN7rocprim17ROCPRIM_400000_NS6detail44device_merge_sort_compile_time_verifier_archINS1_11comp_targetILNS1_3genE2ELNS1_11target_archE906ELNS1_3gpuE6ELNS1_3repE0EEES8_NS1_28merge_sort_block_sort_configILj256ELj4ELNS0_20block_sort_algorithmE0EEENS0_14default_configENS1_37merge_sort_block_sort_config_selectorIsNS0_10empty_typeEEENS1_38merge_sort_block_merge_config_selectorIsSE_EEEEvv.numbered_sgpr, 0
	.set _ZN7rocprim17ROCPRIM_400000_NS6detail44device_merge_sort_compile_time_verifier_archINS1_11comp_targetILNS1_3genE2ELNS1_11target_archE906ELNS1_3gpuE6ELNS1_3repE0EEES8_NS1_28merge_sort_block_sort_configILj256ELj4ELNS0_20block_sort_algorithmE0EEENS0_14default_configENS1_37merge_sort_block_sort_config_selectorIsNS0_10empty_typeEEENS1_38merge_sort_block_merge_config_selectorIsSE_EEEEvv.num_named_barrier, 0
	.set _ZN7rocprim17ROCPRIM_400000_NS6detail44device_merge_sort_compile_time_verifier_archINS1_11comp_targetILNS1_3genE2ELNS1_11target_archE906ELNS1_3gpuE6ELNS1_3repE0EEES8_NS1_28merge_sort_block_sort_configILj256ELj4ELNS0_20block_sort_algorithmE0EEENS0_14default_configENS1_37merge_sort_block_sort_config_selectorIsNS0_10empty_typeEEENS1_38merge_sort_block_merge_config_selectorIsSE_EEEEvv.private_seg_size, 0
	.set _ZN7rocprim17ROCPRIM_400000_NS6detail44device_merge_sort_compile_time_verifier_archINS1_11comp_targetILNS1_3genE2ELNS1_11target_archE906ELNS1_3gpuE6ELNS1_3repE0EEES8_NS1_28merge_sort_block_sort_configILj256ELj4ELNS0_20block_sort_algorithmE0EEENS0_14default_configENS1_37merge_sort_block_sort_config_selectorIsNS0_10empty_typeEEENS1_38merge_sort_block_merge_config_selectorIsSE_EEEEvv.uses_vcc, 0
	.set _ZN7rocprim17ROCPRIM_400000_NS6detail44device_merge_sort_compile_time_verifier_archINS1_11comp_targetILNS1_3genE2ELNS1_11target_archE906ELNS1_3gpuE6ELNS1_3repE0EEES8_NS1_28merge_sort_block_sort_configILj256ELj4ELNS0_20block_sort_algorithmE0EEENS0_14default_configENS1_37merge_sort_block_sort_config_selectorIsNS0_10empty_typeEEENS1_38merge_sort_block_merge_config_selectorIsSE_EEEEvv.uses_flat_scratch, 0
	.set _ZN7rocprim17ROCPRIM_400000_NS6detail44device_merge_sort_compile_time_verifier_archINS1_11comp_targetILNS1_3genE2ELNS1_11target_archE906ELNS1_3gpuE6ELNS1_3repE0EEES8_NS1_28merge_sort_block_sort_configILj256ELj4ELNS0_20block_sort_algorithmE0EEENS0_14default_configENS1_37merge_sort_block_sort_config_selectorIsNS0_10empty_typeEEENS1_38merge_sort_block_merge_config_selectorIsSE_EEEEvv.has_dyn_sized_stack, 0
	.set _ZN7rocprim17ROCPRIM_400000_NS6detail44device_merge_sort_compile_time_verifier_archINS1_11comp_targetILNS1_3genE2ELNS1_11target_archE906ELNS1_3gpuE6ELNS1_3repE0EEES8_NS1_28merge_sort_block_sort_configILj256ELj4ELNS0_20block_sort_algorithmE0EEENS0_14default_configENS1_37merge_sort_block_sort_config_selectorIsNS0_10empty_typeEEENS1_38merge_sort_block_merge_config_selectorIsSE_EEEEvv.has_recursion, 0
	.set _ZN7rocprim17ROCPRIM_400000_NS6detail44device_merge_sort_compile_time_verifier_archINS1_11comp_targetILNS1_3genE2ELNS1_11target_archE906ELNS1_3gpuE6ELNS1_3repE0EEES8_NS1_28merge_sort_block_sort_configILj256ELj4ELNS0_20block_sort_algorithmE0EEENS0_14default_configENS1_37merge_sort_block_sort_config_selectorIsNS0_10empty_typeEEENS1_38merge_sort_block_merge_config_selectorIsSE_EEEEvv.has_indirect_call, 0
	.section	.AMDGPU.csdata,"",@progbits
; Kernel info:
; codeLenInByte = 4
; TotalNumSgprs: 0
; NumVgprs: 0
; ScratchSize: 0
; MemoryBound: 0
; FloatMode: 240
; IeeeMode: 1
; LDSByteSize: 0 bytes/workgroup (compile time only)
; SGPRBlocks: 0
; VGPRBlocks: 0
; NumSGPRsForWavesPerEU: 1
; NumVGPRsForWavesPerEU: 1
; NamedBarCnt: 0
; Occupancy: 16
; WaveLimiterHint : 0
; COMPUTE_PGM_RSRC2:SCRATCH_EN: 0
; COMPUTE_PGM_RSRC2:USER_SGPR: 0
; COMPUTE_PGM_RSRC2:TRAP_HANDLER: 0
; COMPUTE_PGM_RSRC2:TGID_X_EN: 1
; COMPUTE_PGM_RSRC2:TGID_Y_EN: 0
; COMPUTE_PGM_RSRC2:TGID_Z_EN: 0
; COMPUTE_PGM_RSRC2:TIDIG_COMP_CNT: 0
	.section	.text._ZN7rocprim17ROCPRIM_400000_NS6detail44device_merge_sort_compile_time_verifier_archINS1_11comp_targetILNS1_3genE10ELNS1_11target_archE1201ELNS1_3gpuE5ELNS1_3repE0EEES8_NS1_28merge_sort_block_sort_configILj256ELj4ELNS0_20block_sort_algorithmE0EEENS0_14default_configENS1_37merge_sort_block_sort_config_selectorIsNS0_10empty_typeEEENS1_38merge_sort_block_merge_config_selectorIsSE_EEEEvv,"axG",@progbits,_ZN7rocprim17ROCPRIM_400000_NS6detail44device_merge_sort_compile_time_verifier_archINS1_11comp_targetILNS1_3genE10ELNS1_11target_archE1201ELNS1_3gpuE5ELNS1_3repE0EEES8_NS1_28merge_sort_block_sort_configILj256ELj4ELNS0_20block_sort_algorithmE0EEENS0_14default_configENS1_37merge_sort_block_sort_config_selectorIsNS0_10empty_typeEEENS1_38merge_sort_block_merge_config_selectorIsSE_EEEEvv,comdat
	.protected	_ZN7rocprim17ROCPRIM_400000_NS6detail44device_merge_sort_compile_time_verifier_archINS1_11comp_targetILNS1_3genE10ELNS1_11target_archE1201ELNS1_3gpuE5ELNS1_3repE0EEES8_NS1_28merge_sort_block_sort_configILj256ELj4ELNS0_20block_sort_algorithmE0EEENS0_14default_configENS1_37merge_sort_block_sort_config_selectorIsNS0_10empty_typeEEENS1_38merge_sort_block_merge_config_selectorIsSE_EEEEvv ; -- Begin function _ZN7rocprim17ROCPRIM_400000_NS6detail44device_merge_sort_compile_time_verifier_archINS1_11comp_targetILNS1_3genE10ELNS1_11target_archE1201ELNS1_3gpuE5ELNS1_3repE0EEES8_NS1_28merge_sort_block_sort_configILj256ELj4ELNS0_20block_sort_algorithmE0EEENS0_14default_configENS1_37merge_sort_block_sort_config_selectorIsNS0_10empty_typeEEENS1_38merge_sort_block_merge_config_selectorIsSE_EEEEvv
	.globl	_ZN7rocprim17ROCPRIM_400000_NS6detail44device_merge_sort_compile_time_verifier_archINS1_11comp_targetILNS1_3genE10ELNS1_11target_archE1201ELNS1_3gpuE5ELNS1_3repE0EEES8_NS1_28merge_sort_block_sort_configILj256ELj4ELNS0_20block_sort_algorithmE0EEENS0_14default_configENS1_37merge_sort_block_sort_config_selectorIsNS0_10empty_typeEEENS1_38merge_sort_block_merge_config_selectorIsSE_EEEEvv
	.p2align	8
	.type	_ZN7rocprim17ROCPRIM_400000_NS6detail44device_merge_sort_compile_time_verifier_archINS1_11comp_targetILNS1_3genE10ELNS1_11target_archE1201ELNS1_3gpuE5ELNS1_3repE0EEES8_NS1_28merge_sort_block_sort_configILj256ELj4ELNS0_20block_sort_algorithmE0EEENS0_14default_configENS1_37merge_sort_block_sort_config_selectorIsNS0_10empty_typeEEENS1_38merge_sort_block_merge_config_selectorIsSE_EEEEvv,@function
_ZN7rocprim17ROCPRIM_400000_NS6detail44device_merge_sort_compile_time_verifier_archINS1_11comp_targetILNS1_3genE10ELNS1_11target_archE1201ELNS1_3gpuE5ELNS1_3repE0EEES8_NS1_28merge_sort_block_sort_configILj256ELj4ELNS0_20block_sort_algorithmE0EEENS0_14default_configENS1_37merge_sort_block_sort_config_selectorIsNS0_10empty_typeEEENS1_38merge_sort_block_merge_config_selectorIsSE_EEEEvv: ; @_ZN7rocprim17ROCPRIM_400000_NS6detail44device_merge_sort_compile_time_verifier_archINS1_11comp_targetILNS1_3genE10ELNS1_11target_archE1201ELNS1_3gpuE5ELNS1_3repE0EEES8_NS1_28merge_sort_block_sort_configILj256ELj4ELNS0_20block_sort_algorithmE0EEENS0_14default_configENS1_37merge_sort_block_sort_config_selectorIsNS0_10empty_typeEEENS1_38merge_sort_block_merge_config_selectorIsSE_EEEEvv
; %bb.0:
	s_endpgm
	.section	.rodata,"a",@progbits
	.p2align	6, 0x0
	.amdhsa_kernel _ZN7rocprim17ROCPRIM_400000_NS6detail44device_merge_sort_compile_time_verifier_archINS1_11comp_targetILNS1_3genE10ELNS1_11target_archE1201ELNS1_3gpuE5ELNS1_3repE0EEES8_NS1_28merge_sort_block_sort_configILj256ELj4ELNS0_20block_sort_algorithmE0EEENS0_14default_configENS1_37merge_sort_block_sort_config_selectorIsNS0_10empty_typeEEENS1_38merge_sort_block_merge_config_selectorIsSE_EEEEvv
		.amdhsa_group_segment_fixed_size 0
		.amdhsa_private_segment_fixed_size 0
		.amdhsa_kernarg_size 0
		.amdhsa_user_sgpr_count 0
		.amdhsa_user_sgpr_dispatch_ptr 0
		.amdhsa_user_sgpr_queue_ptr 0
		.amdhsa_user_sgpr_kernarg_segment_ptr 0
		.amdhsa_user_sgpr_dispatch_id 0
		.amdhsa_user_sgpr_kernarg_preload_length 0
		.amdhsa_user_sgpr_kernarg_preload_offset 0
		.amdhsa_user_sgpr_private_segment_size 0
		.amdhsa_wavefront_size32 1
		.amdhsa_uses_dynamic_stack 0
		.amdhsa_enable_private_segment 0
		.amdhsa_system_sgpr_workgroup_id_x 1
		.amdhsa_system_sgpr_workgroup_id_y 0
		.amdhsa_system_sgpr_workgroup_id_z 0
		.amdhsa_system_sgpr_workgroup_info 0
		.amdhsa_system_vgpr_workitem_id 0
		.amdhsa_next_free_vgpr 1
		.amdhsa_next_free_sgpr 1
		.amdhsa_named_barrier_count 0
		.amdhsa_reserve_vcc 0
		.amdhsa_float_round_mode_32 0
		.amdhsa_float_round_mode_16_64 0
		.amdhsa_float_denorm_mode_32 3
		.amdhsa_float_denorm_mode_16_64 3
		.amdhsa_fp16_overflow 0
		.amdhsa_memory_ordered 1
		.amdhsa_forward_progress 1
		.amdhsa_inst_pref_size 1
		.amdhsa_round_robin_scheduling 0
		.amdhsa_exception_fp_ieee_invalid_op 0
		.amdhsa_exception_fp_denorm_src 0
		.amdhsa_exception_fp_ieee_div_zero 0
		.amdhsa_exception_fp_ieee_overflow 0
		.amdhsa_exception_fp_ieee_underflow 0
		.amdhsa_exception_fp_ieee_inexact 0
		.amdhsa_exception_int_div_zero 0
	.end_amdhsa_kernel
	.section	.text._ZN7rocprim17ROCPRIM_400000_NS6detail44device_merge_sort_compile_time_verifier_archINS1_11comp_targetILNS1_3genE10ELNS1_11target_archE1201ELNS1_3gpuE5ELNS1_3repE0EEES8_NS1_28merge_sort_block_sort_configILj256ELj4ELNS0_20block_sort_algorithmE0EEENS0_14default_configENS1_37merge_sort_block_sort_config_selectorIsNS0_10empty_typeEEENS1_38merge_sort_block_merge_config_selectorIsSE_EEEEvv,"axG",@progbits,_ZN7rocprim17ROCPRIM_400000_NS6detail44device_merge_sort_compile_time_verifier_archINS1_11comp_targetILNS1_3genE10ELNS1_11target_archE1201ELNS1_3gpuE5ELNS1_3repE0EEES8_NS1_28merge_sort_block_sort_configILj256ELj4ELNS0_20block_sort_algorithmE0EEENS0_14default_configENS1_37merge_sort_block_sort_config_selectorIsNS0_10empty_typeEEENS1_38merge_sort_block_merge_config_selectorIsSE_EEEEvv,comdat
.Lfunc_end516:
	.size	_ZN7rocprim17ROCPRIM_400000_NS6detail44device_merge_sort_compile_time_verifier_archINS1_11comp_targetILNS1_3genE10ELNS1_11target_archE1201ELNS1_3gpuE5ELNS1_3repE0EEES8_NS1_28merge_sort_block_sort_configILj256ELj4ELNS0_20block_sort_algorithmE0EEENS0_14default_configENS1_37merge_sort_block_sort_config_selectorIsNS0_10empty_typeEEENS1_38merge_sort_block_merge_config_selectorIsSE_EEEEvv, .Lfunc_end516-_ZN7rocprim17ROCPRIM_400000_NS6detail44device_merge_sort_compile_time_verifier_archINS1_11comp_targetILNS1_3genE10ELNS1_11target_archE1201ELNS1_3gpuE5ELNS1_3repE0EEES8_NS1_28merge_sort_block_sort_configILj256ELj4ELNS0_20block_sort_algorithmE0EEENS0_14default_configENS1_37merge_sort_block_sort_config_selectorIsNS0_10empty_typeEEENS1_38merge_sort_block_merge_config_selectorIsSE_EEEEvv
                                        ; -- End function
	.set _ZN7rocprim17ROCPRIM_400000_NS6detail44device_merge_sort_compile_time_verifier_archINS1_11comp_targetILNS1_3genE10ELNS1_11target_archE1201ELNS1_3gpuE5ELNS1_3repE0EEES8_NS1_28merge_sort_block_sort_configILj256ELj4ELNS0_20block_sort_algorithmE0EEENS0_14default_configENS1_37merge_sort_block_sort_config_selectorIsNS0_10empty_typeEEENS1_38merge_sort_block_merge_config_selectorIsSE_EEEEvv.num_vgpr, 0
	.set _ZN7rocprim17ROCPRIM_400000_NS6detail44device_merge_sort_compile_time_verifier_archINS1_11comp_targetILNS1_3genE10ELNS1_11target_archE1201ELNS1_3gpuE5ELNS1_3repE0EEES8_NS1_28merge_sort_block_sort_configILj256ELj4ELNS0_20block_sort_algorithmE0EEENS0_14default_configENS1_37merge_sort_block_sort_config_selectorIsNS0_10empty_typeEEENS1_38merge_sort_block_merge_config_selectorIsSE_EEEEvv.num_agpr, 0
	.set _ZN7rocprim17ROCPRIM_400000_NS6detail44device_merge_sort_compile_time_verifier_archINS1_11comp_targetILNS1_3genE10ELNS1_11target_archE1201ELNS1_3gpuE5ELNS1_3repE0EEES8_NS1_28merge_sort_block_sort_configILj256ELj4ELNS0_20block_sort_algorithmE0EEENS0_14default_configENS1_37merge_sort_block_sort_config_selectorIsNS0_10empty_typeEEENS1_38merge_sort_block_merge_config_selectorIsSE_EEEEvv.numbered_sgpr, 0
	.set _ZN7rocprim17ROCPRIM_400000_NS6detail44device_merge_sort_compile_time_verifier_archINS1_11comp_targetILNS1_3genE10ELNS1_11target_archE1201ELNS1_3gpuE5ELNS1_3repE0EEES8_NS1_28merge_sort_block_sort_configILj256ELj4ELNS0_20block_sort_algorithmE0EEENS0_14default_configENS1_37merge_sort_block_sort_config_selectorIsNS0_10empty_typeEEENS1_38merge_sort_block_merge_config_selectorIsSE_EEEEvv.num_named_barrier, 0
	.set _ZN7rocprim17ROCPRIM_400000_NS6detail44device_merge_sort_compile_time_verifier_archINS1_11comp_targetILNS1_3genE10ELNS1_11target_archE1201ELNS1_3gpuE5ELNS1_3repE0EEES8_NS1_28merge_sort_block_sort_configILj256ELj4ELNS0_20block_sort_algorithmE0EEENS0_14default_configENS1_37merge_sort_block_sort_config_selectorIsNS0_10empty_typeEEENS1_38merge_sort_block_merge_config_selectorIsSE_EEEEvv.private_seg_size, 0
	.set _ZN7rocprim17ROCPRIM_400000_NS6detail44device_merge_sort_compile_time_verifier_archINS1_11comp_targetILNS1_3genE10ELNS1_11target_archE1201ELNS1_3gpuE5ELNS1_3repE0EEES8_NS1_28merge_sort_block_sort_configILj256ELj4ELNS0_20block_sort_algorithmE0EEENS0_14default_configENS1_37merge_sort_block_sort_config_selectorIsNS0_10empty_typeEEENS1_38merge_sort_block_merge_config_selectorIsSE_EEEEvv.uses_vcc, 0
	.set _ZN7rocprim17ROCPRIM_400000_NS6detail44device_merge_sort_compile_time_verifier_archINS1_11comp_targetILNS1_3genE10ELNS1_11target_archE1201ELNS1_3gpuE5ELNS1_3repE0EEES8_NS1_28merge_sort_block_sort_configILj256ELj4ELNS0_20block_sort_algorithmE0EEENS0_14default_configENS1_37merge_sort_block_sort_config_selectorIsNS0_10empty_typeEEENS1_38merge_sort_block_merge_config_selectorIsSE_EEEEvv.uses_flat_scratch, 0
	.set _ZN7rocprim17ROCPRIM_400000_NS6detail44device_merge_sort_compile_time_verifier_archINS1_11comp_targetILNS1_3genE10ELNS1_11target_archE1201ELNS1_3gpuE5ELNS1_3repE0EEES8_NS1_28merge_sort_block_sort_configILj256ELj4ELNS0_20block_sort_algorithmE0EEENS0_14default_configENS1_37merge_sort_block_sort_config_selectorIsNS0_10empty_typeEEENS1_38merge_sort_block_merge_config_selectorIsSE_EEEEvv.has_dyn_sized_stack, 0
	.set _ZN7rocprim17ROCPRIM_400000_NS6detail44device_merge_sort_compile_time_verifier_archINS1_11comp_targetILNS1_3genE10ELNS1_11target_archE1201ELNS1_3gpuE5ELNS1_3repE0EEES8_NS1_28merge_sort_block_sort_configILj256ELj4ELNS0_20block_sort_algorithmE0EEENS0_14default_configENS1_37merge_sort_block_sort_config_selectorIsNS0_10empty_typeEEENS1_38merge_sort_block_merge_config_selectorIsSE_EEEEvv.has_recursion, 0
	.set _ZN7rocprim17ROCPRIM_400000_NS6detail44device_merge_sort_compile_time_verifier_archINS1_11comp_targetILNS1_3genE10ELNS1_11target_archE1201ELNS1_3gpuE5ELNS1_3repE0EEES8_NS1_28merge_sort_block_sort_configILj256ELj4ELNS0_20block_sort_algorithmE0EEENS0_14default_configENS1_37merge_sort_block_sort_config_selectorIsNS0_10empty_typeEEENS1_38merge_sort_block_merge_config_selectorIsSE_EEEEvv.has_indirect_call, 0
	.section	.AMDGPU.csdata,"",@progbits
; Kernel info:
; codeLenInByte = 4
; TotalNumSgprs: 0
; NumVgprs: 0
; ScratchSize: 0
; MemoryBound: 0
; FloatMode: 240
; IeeeMode: 1
; LDSByteSize: 0 bytes/workgroup (compile time only)
; SGPRBlocks: 0
; VGPRBlocks: 0
; NumSGPRsForWavesPerEU: 1
; NumVGPRsForWavesPerEU: 1
; NamedBarCnt: 0
; Occupancy: 16
; WaveLimiterHint : 0
; COMPUTE_PGM_RSRC2:SCRATCH_EN: 0
; COMPUTE_PGM_RSRC2:USER_SGPR: 0
; COMPUTE_PGM_RSRC2:TRAP_HANDLER: 0
; COMPUTE_PGM_RSRC2:TGID_X_EN: 1
; COMPUTE_PGM_RSRC2:TGID_Y_EN: 0
; COMPUTE_PGM_RSRC2:TGID_Z_EN: 0
; COMPUTE_PGM_RSRC2:TIDIG_COMP_CNT: 0
	.section	.text._ZN7rocprim17ROCPRIM_400000_NS6detail44device_merge_sort_compile_time_verifier_archINS1_11comp_targetILNS1_3genE10ELNS1_11target_archE1200ELNS1_3gpuE4ELNS1_3repE0EEENS3_ILS4_10ELS5_1201ELS6_5ELS7_0EEENS1_28merge_sort_block_sort_configILj256ELj4ELNS0_20block_sort_algorithmE0EEENS0_14default_configENS1_37merge_sort_block_sort_config_selectorIsNS0_10empty_typeEEENS1_38merge_sort_block_merge_config_selectorIsSF_EEEEvv,"axG",@progbits,_ZN7rocprim17ROCPRIM_400000_NS6detail44device_merge_sort_compile_time_verifier_archINS1_11comp_targetILNS1_3genE10ELNS1_11target_archE1200ELNS1_3gpuE4ELNS1_3repE0EEENS3_ILS4_10ELS5_1201ELS6_5ELS7_0EEENS1_28merge_sort_block_sort_configILj256ELj4ELNS0_20block_sort_algorithmE0EEENS0_14default_configENS1_37merge_sort_block_sort_config_selectorIsNS0_10empty_typeEEENS1_38merge_sort_block_merge_config_selectorIsSF_EEEEvv,comdat
	.protected	_ZN7rocprim17ROCPRIM_400000_NS6detail44device_merge_sort_compile_time_verifier_archINS1_11comp_targetILNS1_3genE10ELNS1_11target_archE1200ELNS1_3gpuE4ELNS1_3repE0EEENS3_ILS4_10ELS5_1201ELS6_5ELS7_0EEENS1_28merge_sort_block_sort_configILj256ELj4ELNS0_20block_sort_algorithmE0EEENS0_14default_configENS1_37merge_sort_block_sort_config_selectorIsNS0_10empty_typeEEENS1_38merge_sort_block_merge_config_selectorIsSF_EEEEvv ; -- Begin function _ZN7rocprim17ROCPRIM_400000_NS6detail44device_merge_sort_compile_time_verifier_archINS1_11comp_targetILNS1_3genE10ELNS1_11target_archE1200ELNS1_3gpuE4ELNS1_3repE0EEENS3_ILS4_10ELS5_1201ELS6_5ELS7_0EEENS1_28merge_sort_block_sort_configILj256ELj4ELNS0_20block_sort_algorithmE0EEENS0_14default_configENS1_37merge_sort_block_sort_config_selectorIsNS0_10empty_typeEEENS1_38merge_sort_block_merge_config_selectorIsSF_EEEEvv
	.globl	_ZN7rocprim17ROCPRIM_400000_NS6detail44device_merge_sort_compile_time_verifier_archINS1_11comp_targetILNS1_3genE10ELNS1_11target_archE1200ELNS1_3gpuE4ELNS1_3repE0EEENS3_ILS4_10ELS5_1201ELS6_5ELS7_0EEENS1_28merge_sort_block_sort_configILj256ELj4ELNS0_20block_sort_algorithmE0EEENS0_14default_configENS1_37merge_sort_block_sort_config_selectorIsNS0_10empty_typeEEENS1_38merge_sort_block_merge_config_selectorIsSF_EEEEvv
	.p2align	8
	.type	_ZN7rocprim17ROCPRIM_400000_NS6detail44device_merge_sort_compile_time_verifier_archINS1_11comp_targetILNS1_3genE10ELNS1_11target_archE1200ELNS1_3gpuE4ELNS1_3repE0EEENS3_ILS4_10ELS5_1201ELS6_5ELS7_0EEENS1_28merge_sort_block_sort_configILj256ELj4ELNS0_20block_sort_algorithmE0EEENS0_14default_configENS1_37merge_sort_block_sort_config_selectorIsNS0_10empty_typeEEENS1_38merge_sort_block_merge_config_selectorIsSF_EEEEvv,@function
_ZN7rocprim17ROCPRIM_400000_NS6detail44device_merge_sort_compile_time_verifier_archINS1_11comp_targetILNS1_3genE10ELNS1_11target_archE1200ELNS1_3gpuE4ELNS1_3repE0EEENS3_ILS4_10ELS5_1201ELS6_5ELS7_0EEENS1_28merge_sort_block_sort_configILj256ELj4ELNS0_20block_sort_algorithmE0EEENS0_14default_configENS1_37merge_sort_block_sort_config_selectorIsNS0_10empty_typeEEENS1_38merge_sort_block_merge_config_selectorIsSF_EEEEvv: ; @_ZN7rocprim17ROCPRIM_400000_NS6detail44device_merge_sort_compile_time_verifier_archINS1_11comp_targetILNS1_3genE10ELNS1_11target_archE1200ELNS1_3gpuE4ELNS1_3repE0EEENS3_ILS4_10ELS5_1201ELS6_5ELS7_0EEENS1_28merge_sort_block_sort_configILj256ELj4ELNS0_20block_sort_algorithmE0EEENS0_14default_configENS1_37merge_sort_block_sort_config_selectorIsNS0_10empty_typeEEENS1_38merge_sort_block_merge_config_selectorIsSF_EEEEvv
; %bb.0:
	s_endpgm
	.section	.rodata,"a",@progbits
	.p2align	6, 0x0
	.amdhsa_kernel _ZN7rocprim17ROCPRIM_400000_NS6detail44device_merge_sort_compile_time_verifier_archINS1_11comp_targetILNS1_3genE10ELNS1_11target_archE1200ELNS1_3gpuE4ELNS1_3repE0EEENS3_ILS4_10ELS5_1201ELS6_5ELS7_0EEENS1_28merge_sort_block_sort_configILj256ELj4ELNS0_20block_sort_algorithmE0EEENS0_14default_configENS1_37merge_sort_block_sort_config_selectorIsNS0_10empty_typeEEENS1_38merge_sort_block_merge_config_selectorIsSF_EEEEvv
		.amdhsa_group_segment_fixed_size 0
		.amdhsa_private_segment_fixed_size 0
		.amdhsa_kernarg_size 0
		.amdhsa_user_sgpr_count 0
		.amdhsa_user_sgpr_dispatch_ptr 0
		.amdhsa_user_sgpr_queue_ptr 0
		.amdhsa_user_sgpr_kernarg_segment_ptr 0
		.amdhsa_user_sgpr_dispatch_id 0
		.amdhsa_user_sgpr_kernarg_preload_length 0
		.amdhsa_user_sgpr_kernarg_preload_offset 0
		.amdhsa_user_sgpr_private_segment_size 0
		.amdhsa_wavefront_size32 1
		.amdhsa_uses_dynamic_stack 0
		.amdhsa_enable_private_segment 0
		.amdhsa_system_sgpr_workgroup_id_x 1
		.amdhsa_system_sgpr_workgroup_id_y 0
		.amdhsa_system_sgpr_workgroup_id_z 0
		.amdhsa_system_sgpr_workgroup_info 0
		.amdhsa_system_vgpr_workitem_id 0
		.amdhsa_next_free_vgpr 1
		.amdhsa_next_free_sgpr 1
		.amdhsa_named_barrier_count 0
		.amdhsa_reserve_vcc 0
		.amdhsa_float_round_mode_32 0
		.amdhsa_float_round_mode_16_64 0
		.amdhsa_float_denorm_mode_32 3
		.amdhsa_float_denorm_mode_16_64 3
		.amdhsa_fp16_overflow 0
		.amdhsa_memory_ordered 1
		.amdhsa_forward_progress 1
		.amdhsa_inst_pref_size 1
		.amdhsa_round_robin_scheduling 0
		.amdhsa_exception_fp_ieee_invalid_op 0
		.amdhsa_exception_fp_denorm_src 0
		.amdhsa_exception_fp_ieee_div_zero 0
		.amdhsa_exception_fp_ieee_overflow 0
		.amdhsa_exception_fp_ieee_underflow 0
		.amdhsa_exception_fp_ieee_inexact 0
		.amdhsa_exception_int_div_zero 0
	.end_amdhsa_kernel
	.section	.text._ZN7rocprim17ROCPRIM_400000_NS6detail44device_merge_sort_compile_time_verifier_archINS1_11comp_targetILNS1_3genE10ELNS1_11target_archE1200ELNS1_3gpuE4ELNS1_3repE0EEENS3_ILS4_10ELS5_1201ELS6_5ELS7_0EEENS1_28merge_sort_block_sort_configILj256ELj4ELNS0_20block_sort_algorithmE0EEENS0_14default_configENS1_37merge_sort_block_sort_config_selectorIsNS0_10empty_typeEEENS1_38merge_sort_block_merge_config_selectorIsSF_EEEEvv,"axG",@progbits,_ZN7rocprim17ROCPRIM_400000_NS6detail44device_merge_sort_compile_time_verifier_archINS1_11comp_targetILNS1_3genE10ELNS1_11target_archE1200ELNS1_3gpuE4ELNS1_3repE0EEENS3_ILS4_10ELS5_1201ELS6_5ELS7_0EEENS1_28merge_sort_block_sort_configILj256ELj4ELNS0_20block_sort_algorithmE0EEENS0_14default_configENS1_37merge_sort_block_sort_config_selectorIsNS0_10empty_typeEEENS1_38merge_sort_block_merge_config_selectorIsSF_EEEEvv,comdat
.Lfunc_end517:
	.size	_ZN7rocprim17ROCPRIM_400000_NS6detail44device_merge_sort_compile_time_verifier_archINS1_11comp_targetILNS1_3genE10ELNS1_11target_archE1200ELNS1_3gpuE4ELNS1_3repE0EEENS3_ILS4_10ELS5_1201ELS6_5ELS7_0EEENS1_28merge_sort_block_sort_configILj256ELj4ELNS0_20block_sort_algorithmE0EEENS0_14default_configENS1_37merge_sort_block_sort_config_selectorIsNS0_10empty_typeEEENS1_38merge_sort_block_merge_config_selectorIsSF_EEEEvv, .Lfunc_end517-_ZN7rocprim17ROCPRIM_400000_NS6detail44device_merge_sort_compile_time_verifier_archINS1_11comp_targetILNS1_3genE10ELNS1_11target_archE1200ELNS1_3gpuE4ELNS1_3repE0EEENS3_ILS4_10ELS5_1201ELS6_5ELS7_0EEENS1_28merge_sort_block_sort_configILj256ELj4ELNS0_20block_sort_algorithmE0EEENS0_14default_configENS1_37merge_sort_block_sort_config_selectorIsNS0_10empty_typeEEENS1_38merge_sort_block_merge_config_selectorIsSF_EEEEvv
                                        ; -- End function
	.set _ZN7rocprim17ROCPRIM_400000_NS6detail44device_merge_sort_compile_time_verifier_archINS1_11comp_targetILNS1_3genE10ELNS1_11target_archE1200ELNS1_3gpuE4ELNS1_3repE0EEENS3_ILS4_10ELS5_1201ELS6_5ELS7_0EEENS1_28merge_sort_block_sort_configILj256ELj4ELNS0_20block_sort_algorithmE0EEENS0_14default_configENS1_37merge_sort_block_sort_config_selectorIsNS0_10empty_typeEEENS1_38merge_sort_block_merge_config_selectorIsSF_EEEEvv.num_vgpr, 0
	.set _ZN7rocprim17ROCPRIM_400000_NS6detail44device_merge_sort_compile_time_verifier_archINS1_11comp_targetILNS1_3genE10ELNS1_11target_archE1200ELNS1_3gpuE4ELNS1_3repE0EEENS3_ILS4_10ELS5_1201ELS6_5ELS7_0EEENS1_28merge_sort_block_sort_configILj256ELj4ELNS0_20block_sort_algorithmE0EEENS0_14default_configENS1_37merge_sort_block_sort_config_selectorIsNS0_10empty_typeEEENS1_38merge_sort_block_merge_config_selectorIsSF_EEEEvv.num_agpr, 0
	.set _ZN7rocprim17ROCPRIM_400000_NS6detail44device_merge_sort_compile_time_verifier_archINS1_11comp_targetILNS1_3genE10ELNS1_11target_archE1200ELNS1_3gpuE4ELNS1_3repE0EEENS3_ILS4_10ELS5_1201ELS6_5ELS7_0EEENS1_28merge_sort_block_sort_configILj256ELj4ELNS0_20block_sort_algorithmE0EEENS0_14default_configENS1_37merge_sort_block_sort_config_selectorIsNS0_10empty_typeEEENS1_38merge_sort_block_merge_config_selectorIsSF_EEEEvv.numbered_sgpr, 0
	.set _ZN7rocprim17ROCPRIM_400000_NS6detail44device_merge_sort_compile_time_verifier_archINS1_11comp_targetILNS1_3genE10ELNS1_11target_archE1200ELNS1_3gpuE4ELNS1_3repE0EEENS3_ILS4_10ELS5_1201ELS6_5ELS7_0EEENS1_28merge_sort_block_sort_configILj256ELj4ELNS0_20block_sort_algorithmE0EEENS0_14default_configENS1_37merge_sort_block_sort_config_selectorIsNS0_10empty_typeEEENS1_38merge_sort_block_merge_config_selectorIsSF_EEEEvv.num_named_barrier, 0
	.set _ZN7rocprim17ROCPRIM_400000_NS6detail44device_merge_sort_compile_time_verifier_archINS1_11comp_targetILNS1_3genE10ELNS1_11target_archE1200ELNS1_3gpuE4ELNS1_3repE0EEENS3_ILS4_10ELS5_1201ELS6_5ELS7_0EEENS1_28merge_sort_block_sort_configILj256ELj4ELNS0_20block_sort_algorithmE0EEENS0_14default_configENS1_37merge_sort_block_sort_config_selectorIsNS0_10empty_typeEEENS1_38merge_sort_block_merge_config_selectorIsSF_EEEEvv.private_seg_size, 0
	.set _ZN7rocprim17ROCPRIM_400000_NS6detail44device_merge_sort_compile_time_verifier_archINS1_11comp_targetILNS1_3genE10ELNS1_11target_archE1200ELNS1_3gpuE4ELNS1_3repE0EEENS3_ILS4_10ELS5_1201ELS6_5ELS7_0EEENS1_28merge_sort_block_sort_configILj256ELj4ELNS0_20block_sort_algorithmE0EEENS0_14default_configENS1_37merge_sort_block_sort_config_selectorIsNS0_10empty_typeEEENS1_38merge_sort_block_merge_config_selectorIsSF_EEEEvv.uses_vcc, 0
	.set _ZN7rocprim17ROCPRIM_400000_NS6detail44device_merge_sort_compile_time_verifier_archINS1_11comp_targetILNS1_3genE10ELNS1_11target_archE1200ELNS1_3gpuE4ELNS1_3repE0EEENS3_ILS4_10ELS5_1201ELS6_5ELS7_0EEENS1_28merge_sort_block_sort_configILj256ELj4ELNS0_20block_sort_algorithmE0EEENS0_14default_configENS1_37merge_sort_block_sort_config_selectorIsNS0_10empty_typeEEENS1_38merge_sort_block_merge_config_selectorIsSF_EEEEvv.uses_flat_scratch, 0
	.set _ZN7rocprim17ROCPRIM_400000_NS6detail44device_merge_sort_compile_time_verifier_archINS1_11comp_targetILNS1_3genE10ELNS1_11target_archE1200ELNS1_3gpuE4ELNS1_3repE0EEENS3_ILS4_10ELS5_1201ELS6_5ELS7_0EEENS1_28merge_sort_block_sort_configILj256ELj4ELNS0_20block_sort_algorithmE0EEENS0_14default_configENS1_37merge_sort_block_sort_config_selectorIsNS0_10empty_typeEEENS1_38merge_sort_block_merge_config_selectorIsSF_EEEEvv.has_dyn_sized_stack, 0
	.set _ZN7rocprim17ROCPRIM_400000_NS6detail44device_merge_sort_compile_time_verifier_archINS1_11comp_targetILNS1_3genE10ELNS1_11target_archE1200ELNS1_3gpuE4ELNS1_3repE0EEENS3_ILS4_10ELS5_1201ELS6_5ELS7_0EEENS1_28merge_sort_block_sort_configILj256ELj4ELNS0_20block_sort_algorithmE0EEENS0_14default_configENS1_37merge_sort_block_sort_config_selectorIsNS0_10empty_typeEEENS1_38merge_sort_block_merge_config_selectorIsSF_EEEEvv.has_recursion, 0
	.set _ZN7rocprim17ROCPRIM_400000_NS6detail44device_merge_sort_compile_time_verifier_archINS1_11comp_targetILNS1_3genE10ELNS1_11target_archE1200ELNS1_3gpuE4ELNS1_3repE0EEENS3_ILS4_10ELS5_1201ELS6_5ELS7_0EEENS1_28merge_sort_block_sort_configILj256ELj4ELNS0_20block_sort_algorithmE0EEENS0_14default_configENS1_37merge_sort_block_sort_config_selectorIsNS0_10empty_typeEEENS1_38merge_sort_block_merge_config_selectorIsSF_EEEEvv.has_indirect_call, 0
	.section	.AMDGPU.csdata,"",@progbits
; Kernel info:
; codeLenInByte = 4
; TotalNumSgprs: 0
; NumVgprs: 0
; ScratchSize: 0
; MemoryBound: 0
; FloatMode: 240
; IeeeMode: 1
; LDSByteSize: 0 bytes/workgroup (compile time only)
; SGPRBlocks: 0
; VGPRBlocks: 0
; NumSGPRsForWavesPerEU: 1
; NumVGPRsForWavesPerEU: 1
; NamedBarCnt: 0
; Occupancy: 16
; WaveLimiterHint : 0
; COMPUTE_PGM_RSRC2:SCRATCH_EN: 0
; COMPUTE_PGM_RSRC2:USER_SGPR: 0
; COMPUTE_PGM_RSRC2:TRAP_HANDLER: 0
; COMPUTE_PGM_RSRC2:TGID_X_EN: 1
; COMPUTE_PGM_RSRC2:TGID_Y_EN: 0
; COMPUTE_PGM_RSRC2:TGID_Z_EN: 0
; COMPUTE_PGM_RSRC2:TIDIG_COMP_CNT: 0
	.section	.text._ZN7rocprim17ROCPRIM_400000_NS6detail44device_merge_sort_compile_time_verifier_archINS1_11comp_targetILNS1_3genE9ELNS1_11target_archE1100ELNS1_3gpuE3ELNS1_3repE0EEES8_NS1_28merge_sort_block_sort_configILj256ELj4ELNS0_20block_sort_algorithmE0EEENS0_14default_configENS1_37merge_sort_block_sort_config_selectorIsNS0_10empty_typeEEENS1_38merge_sort_block_merge_config_selectorIsSE_EEEEvv,"axG",@progbits,_ZN7rocprim17ROCPRIM_400000_NS6detail44device_merge_sort_compile_time_verifier_archINS1_11comp_targetILNS1_3genE9ELNS1_11target_archE1100ELNS1_3gpuE3ELNS1_3repE0EEES8_NS1_28merge_sort_block_sort_configILj256ELj4ELNS0_20block_sort_algorithmE0EEENS0_14default_configENS1_37merge_sort_block_sort_config_selectorIsNS0_10empty_typeEEENS1_38merge_sort_block_merge_config_selectorIsSE_EEEEvv,comdat
	.protected	_ZN7rocprim17ROCPRIM_400000_NS6detail44device_merge_sort_compile_time_verifier_archINS1_11comp_targetILNS1_3genE9ELNS1_11target_archE1100ELNS1_3gpuE3ELNS1_3repE0EEES8_NS1_28merge_sort_block_sort_configILj256ELj4ELNS0_20block_sort_algorithmE0EEENS0_14default_configENS1_37merge_sort_block_sort_config_selectorIsNS0_10empty_typeEEENS1_38merge_sort_block_merge_config_selectorIsSE_EEEEvv ; -- Begin function _ZN7rocprim17ROCPRIM_400000_NS6detail44device_merge_sort_compile_time_verifier_archINS1_11comp_targetILNS1_3genE9ELNS1_11target_archE1100ELNS1_3gpuE3ELNS1_3repE0EEES8_NS1_28merge_sort_block_sort_configILj256ELj4ELNS0_20block_sort_algorithmE0EEENS0_14default_configENS1_37merge_sort_block_sort_config_selectorIsNS0_10empty_typeEEENS1_38merge_sort_block_merge_config_selectorIsSE_EEEEvv
	.globl	_ZN7rocprim17ROCPRIM_400000_NS6detail44device_merge_sort_compile_time_verifier_archINS1_11comp_targetILNS1_3genE9ELNS1_11target_archE1100ELNS1_3gpuE3ELNS1_3repE0EEES8_NS1_28merge_sort_block_sort_configILj256ELj4ELNS0_20block_sort_algorithmE0EEENS0_14default_configENS1_37merge_sort_block_sort_config_selectorIsNS0_10empty_typeEEENS1_38merge_sort_block_merge_config_selectorIsSE_EEEEvv
	.p2align	8
	.type	_ZN7rocprim17ROCPRIM_400000_NS6detail44device_merge_sort_compile_time_verifier_archINS1_11comp_targetILNS1_3genE9ELNS1_11target_archE1100ELNS1_3gpuE3ELNS1_3repE0EEES8_NS1_28merge_sort_block_sort_configILj256ELj4ELNS0_20block_sort_algorithmE0EEENS0_14default_configENS1_37merge_sort_block_sort_config_selectorIsNS0_10empty_typeEEENS1_38merge_sort_block_merge_config_selectorIsSE_EEEEvv,@function
_ZN7rocprim17ROCPRIM_400000_NS6detail44device_merge_sort_compile_time_verifier_archINS1_11comp_targetILNS1_3genE9ELNS1_11target_archE1100ELNS1_3gpuE3ELNS1_3repE0EEES8_NS1_28merge_sort_block_sort_configILj256ELj4ELNS0_20block_sort_algorithmE0EEENS0_14default_configENS1_37merge_sort_block_sort_config_selectorIsNS0_10empty_typeEEENS1_38merge_sort_block_merge_config_selectorIsSE_EEEEvv: ; @_ZN7rocprim17ROCPRIM_400000_NS6detail44device_merge_sort_compile_time_verifier_archINS1_11comp_targetILNS1_3genE9ELNS1_11target_archE1100ELNS1_3gpuE3ELNS1_3repE0EEES8_NS1_28merge_sort_block_sort_configILj256ELj4ELNS0_20block_sort_algorithmE0EEENS0_14default_configENS1_37merge_sort_block_sort_config_selectorIsNS0_10empty_typeEEENS1_38merge_sort_block_merge_config_selectorIsSE_EEEEvv
; %bb.0:
	s_endpgm
	.section	.rodata,"a",@progbits
	.p2align	6, 0x0
	.amdhsa_kernel _ZN7rocprim17ROCPRIM_400000_NS6detail44device_merge_sort_compile_time_verifier_archINS1_11comp_targetILNS1_3genE9ELNS1_11target_archE1100ELNS1_3gpuE3ELNS1_3repE0EEES8_NS1_28merge_sort_block_sort_configILj256ELj4ELNS0_20block_sort_algorithmE0EEENS0_14default_configENS1_37merge_sort_block_sort_config_selectorIsNS0_10empty_typeEEENS1_38merge_sort_block_merge_config_selectorIsSE_EEEEvv
		.amdhsa_group_segment_fixed_size 0
		.amdhsa_private_segment_fixed_size 0
		.amdhsa_kernarg_size 0
		.amdhsa_user_sgpr_count 0
		.amdhsa_user_sgpr_dispatch_ptr 0
		.amdhsa_user_sgpr_queue_ptr 0
		.amdhsa_user_sgpr_kernarg_segment_ptr 0
		.amdhsa_user_sgpr_dispatch_id 0
		.amdhsa_user_sgpr_kernarg_preload_length 0
		.amdhsa_user_sgpr_kernarg_preload_offset 0
		.amdhsa_user_sgpr_private_segment_size 0
		.amdhsa_wavefront_size32 1
		.amdhsa_uses_dynamic_stack 0
		.amdhsa_enable_private_segment 0
		.amdhsa_system_sgpr_workgroup_id_x 1
		.amdhsa_system_sgpr_workgroup_id_y 0
		.amdhsa_system_sgpr_workgroup_id_z 0
		.amdhsa_system_sgpr_workgroup_info 0
		.amdhsa_system_vgpr_workitem_id 0
		.amdhsa_next_free_vgpr 1
		.amdhsa_next_free_sgpr 1
		.amdhsa_named_barrier_count 0
		.amdhsa_reserve_vcc 0
		.amdhsa_float_round_mode_32 0
		.amdhsa_float_round_mode_16_64 0
		.amdhsa_float_denorm_mode_32 3
		.amdhsa_float_denorm_mode_16_64 3
		.amdhsa_fp16_overflow 0
		.amdhsa_memory_ordered 1
		.amdhsa_forward_progress 1
		.amdhsa_inst_pref_size 1
		.amdhsa_round_robin_scheduling 0
		.amdhsa_exception_fp_ieee_invalid_op 0
		.amdhsa_exception_fp_denorm_src 0
		.amdhsa_exception_fp_ieee_div_zero 0
		.amdhsa_exception_fp_ieee_overflow 0
		.amdhsa_exception_fp_ieee_underflow 0
		.amdhsa_exception_fp_ieee_inexact 0
		.amdhsa_exception_int_div_zero 0
	.end_amdhsa_kernel
	.section	.text._ZN7rocprim17ROCPRIM_400000_NS6detail44device_merge_sort_compile_time_verifier_archINS1_11comp_targetILNS1_3genE9ELNS1_11target_archE1100ELNS1_3gpuE3ELNS1_3repE0EEES8_NS1_28merge_sort_block_sort_configILj256ELj4ELNS0_20block_sort_algorithmE0EEENS0_14default_configENS1_37merge_sort_block_sort_config_selectorIsNS0_10empty_typeEEENS1_38merge_sort_block_merge_config_selectorIsSE_EEEEvv,"axG",@progbits,_ZN7rocprim17ROCPRIM_400000_NS6detail44device_merge_sort_compile_time_verifier_archINS1_11comp_targetILNS1_3genE9ELNS1_11target_archE1100ELNS1_3gpuE3ELNS1_3repE0EEES8_NS1_28merge_sort_block_sort_configILj256ELj4ELNS0_20block_sort_algorithmE0EEENS0_14default_configENS1_37merge_sort_block_sort_config_selectorIsNS0_10empty_typeEEENS1_38merge_sort_block_merge_config_selectorIsSE_EEEEvv,comdat
.Lfunc_end518:
	.size	_ZN7rocprim17ROCPRIM_400000_NS6detail44device_merge_sort_compile_time_verifier_archINS1_11comp_targetILNS1_3genE9ELNS1_11target_archE1100ELNS1_3gpuE3ELNS1_3repE0EEES8_NS1_28merge_sort_block_sort_configILj256ELj4ELNS0_20block_sort_algorithmE0EEENS0_14default_configENS1_37merge_sort_block_sort_config_selectorIsNS0_10empty_typeEEENS1_38merge_sort_block_merge_config_selectorIsSE_EEEEvv, .Lfunc_end518-_ZN7rocprim17ROCPRIM_400000_NS6detail44device_merge_sort_compile_time_verifier_archINS1_11comp_targetILNS1_3genE9ELNS1_11target_archE1100ELNS1_3gpuE3ELNS1_3repE0EEES8_NS1_28merge_sort_block_sort_configILj256ELj4ELNS0_20block_sort_algorithmE0EEENS0_14default_configENS1_37merge_sort_block_sort_config_selectorIsNS0_10empty_typeEEENS1_38merge_sort_block_merge_config_selectorIsSE_EEEEvv
                                        ; -- End function
	.set _ZN7rocprim17ROCPRIM_400000_NS6detail44device_merge_sort_compile_time_verifier_archINS1_11comp_targetILNS1_3genE9ELNS1_11target_archE1100ELNS1_3gpuE3ELNS1_3repE0EEES8_NS1_28merge_sort_block_sort_configILj256ELj4ELNS0_20block_sort_algorithmE0EEENS0_14default_configENS1_37merge_sort_block_sort_config_selectorIsNS0_10empty_typeEEENS1_38merge_sort_block_merge_config_selectorIsSE_EEEEvv.num_vgpr, 0
	.set _ZN7rocprim17ROCPRIM_400000_NS6detail44device_merge_sort_compile_time_verifier_archINS1_11comp_targetILNS1_3genE9ELNS1_11target_archE1100ELNS1_3gpuE3ELNS1_3repE0EEES8_NS1_28merge_sort_block_sort_configILj256ELj4ELNS0_20block_sort_algorithmE0EEENS0_14default_configENS1_37merge_sort_block_sort_config_selectorIsNS0_10empty_typeEEENS1_38merge_sort_block_merge_config_selectorIsSE_EEEEvv.num_agpr, 0
	.set _ZN7rocprim17ROCPRIM_400000_NS6detail44device_merge_sort_compile_time_verifier_archINS1_11comp_targetILNS1_3genE9ELNS1_11target_archE1100ELNS1_3gpuE3ELNS1_3repE0EEES8_NS1_28merge_sort_block_sort_configILj256ELj4ELNS0_20block_sort_algorithmE0EEENS0_14default_configENS1_37merge_sort_block_sort_config_selectorIsNS0_10empty_typeEEENS1_38merge_sort_block_merge_config_selectorIsSE_EEEEvv.numbered_sgpr, 0
	.set _ZN7rocprim17ROCPRIM_400000_NS6detail44device_merge_sort_compile_time_verifier_archINS1_11comp_targetILNS1_3genE9ELNS1_11target_archE1100ELNS1_3gpuE3ELNS1_3repE0EEES8_NS1_28merge_sort_block_sort_configILj256ELj4ELNS0_20block_sort_algorithmE0EEENS0_14default_configENS1_37merge_sort_block_sort_config_selectorIsNS0_10empty_typeEEENS1_38merge_sort_block_merge_config_selectorIsSE_EEEEvv.num_named_barrier, 0
	.set _ZN7rocprim17ROCPRIM_400000_NS6detail44device_merge_sort_compile_time_verifier_archINS1_11comp_targetILNS1_3genE9ELNS1_11target_archE1100ELNS1_3gpuE3ELNS1_3repE0EEES8_NS1_28merge_sort_block_sort_configILj256ELj4ELNS0_20block_sort_algorithmE0EEENS0_14default_configENS1_37merge_sort_block_sort_config_selectorIsNS0_10empty_typeEEENS1_38merge_sort_block_merge_config_selectorIsSE_EEEEvv.private_seg_size, 0
	.set _ZN7rocprim17ROCPRIM_400000_NS6detail44device_merge_sort_compile_time_verifier_archINS1_11comp_targetILNS1_3genE9ELNS1_11target_archE1100ELNS1_3gpuE3ELNS1_3repE0EEES8_NS1_28merge_sort_block_sort_configILj256ELj4ELNS0_20block_sort_algorithmE0EEENS0_14default_configENS1_37merge_sort_block_sort_config_selectorIsNS0_10empty_typeEEENS1_38merge_sort_block_merge_config_selectorIsSE_EEEEvv.uses_vcc, 0
	.set _ZN7rocprim17ROCPRIM_400000_NS6detail44device_merge_sort_compile_time_verifier_archINS1_11comp_targetILNS1_3genE9ELNS1_11target_archE1100ELNS1_3gpuE3ELNS1_3repE0EEES8_NS1_28merge_sort_block_sort_configILj256ELj4ELNS0_20block_sort_algorithmE0EEENS0_14default_configENS1_37merge_sort_block_sort_config_selectorIsNS0_10empty_typeEEENS1_38merge_sort_block_merge_config_selectorIsSE_EEEEvv.uses_flat_scratch, 0
	.set _ZN7rocprim17ROCPRIM_400000_NS6detail44device_merge_sort_compile_time_verifier_archINS1_11comp_targetILNS1_3genE9ELNS1_11target_archE1100ELNS1_3gpuE3ELNS1_3repE0EEES8_NS1_28merge_sort_block_sort_configILj256ELj4ELNS0_20block_sort_algorithmE0EEENS0_14default_configENS1_37merge_sort_block_sort_config_selectorIsNS0_10empty_typeEEENS1_38merge_sort_block_merge_config_selectorIsSE_EEEEvv.has_dyn_sized_stack, 0
	.set _ZN7rocprim17ROCPRIM_400000_NS6detail44device_merge_sort_compile_time_verifier_archINS1_11comp_targetILNS1_3genE9ELNS1_11target_archE1100ELNS1_3gpuE3ELNS1_3repE0EEES8_NS1_28merge_sort_block_sort_configILj256ELj4ELNS0_20block_sort_algorithmE0EEENS0_14default_configENS1_37merge_sort_block_sort_config_selectorIsNS0_10empty_typeEEENS1_38merge_sort_block_merge_config_selectorIsSE_EEEEvv.has_recursion, 0
	.set _ZN7rocprim17ROCPRIM_400000_NS6detail44device_merge_sort_compile_time_verifier_archINS1_11comp_targetILNS1_3genE9ELNS1_11target_archE1100ELNS1_3gpuE3ELNS1_3repE0EEES8_NS1_28merge_sort_block_sort_configILj256ELj4ELNS0_20block_sort_algorithmE0EEENS0_14default_configENS1_37merge_sort_block_sort_config_selectorIsNS0_10empty_typeEEENS1_38merge_sort_block_merge_config_selectorIsSE_EEEEvv.has_indirect_call, 0
	.section	.AMDGPU.csdata,"",@progbits
; Kernel info:
; codeLenInByte = 4
; TotalNumSgprs: 0
; NumVgprs: 0
; ScratchSize: 0
; MemoryBound: 0
; FloatMode: 240
; IeeeMode: 1
; LDSByteSize: 0 bytes/workgroup (compile time only)
; SGPRBlocks: 0
; VGPRBlocks: 0
; NumSGPRsForWavesPerEU: 1
; NumVGPRsForWavesPerEU: 1
; NamedBarCnt: 0
; Occupancy: 16
; WaveLimiterHint : 0
; COMPUTE_PGM_RSRC2:SCRATCH_EN: 0
; COMPUTE_PGM_RSRC2:USER_SGPR: 0
; COMPUTE_PGM_RSRC2:TRAP_HANDLER: 0
; COMPUTE_PGM_RSRC2:TGID_X_EN: 1
; COMPUTE_PGM_RSRC2:TGID_Y_EN: 0
; COMPUTE_PGM_RSRC2:TGID_Z_EN: 0
; COMPUTE_PGM_RSRC2:TIDIG_COMP_CNT: 0
	.section	.text._ZN7rocprim17ROCPRIM_400000_NS6detail44device_merge_sort_compile_time_verifier_archINS1_11comp_targetILNS1_3genE8ELNS1_11target_archE1030ELNS1_3gpuE2ELNS1_3repE0EEES8_NS1_28merge_sort_block_sort_configILj256ELj4ELNS0_20block_sort_algorithmE0EEENS0_14default_configENS1_37merge_sort_block_sort_config_selectorIsNS0_10empty_typeEEENS1_38merge_sort_block_merge_config_selectorIsSE_EEEEvv,"axG",@progbits,_ZN7rocprim17ROCPRIM_400000_NS6detail44device_merge_sort_compile_time_verifier_archINS1_11comp_targetILNS1_3genE8ELNS1_11target_archE1030ELNS1_3gpuE2ELNS1_3repE0EEES8_NS1_28merge_sort_block_sort_configILj256ELj4ELNS0_20block_sort_algorithmE0EEENS0_14default_configENS1_37merge_sort_block_sort_config_selectorIsNS0_10empty_typeEEENS1_38merge_sort_block_merge_config_selectorIsSE_EEEEvv,comdat
	.protected	_ZN7rocprim17ROCPRIM_400000_NS6detail44device_merge_sort_compile_time_verifier_archINS1_11comp_targetILNS1_3genE8ELNS1_11target_archE1030ELNS1_3gpuE2ELNS1_3repE0EEES8_NS1_28merge_sort_block_sort_configILj256ELj4ELNS0_20block_sort_algorithmE0EEENS0_14default_configENS1_37merge_sort_block_sort_config_selectorIsNS0_10empty_typeEEENS1_38merge_sort_block_merge_config_selectorIsSE_EEEEvv ; -- Begin function _ZN7rocprim17ROCPRIM_400000_NS6detail44device_merge_sort_compile_time_verifier_archINS1_11comp_targetILNS1_3genE8ELNS1_11target_archE1030ELNS1_3gpuE2ELNS1_3repE0EEES8_NS1_28merge_sort_block_sort_configILj256ELj4ELNS0_20block_sort_algorithmE0EEENS0_14default_configENS1_37merge_sort_block_sort_config_selectorIsNS0_10empty_typeEEENS1_38merge_sort_block_merge_config_selectorIsSE_EEEEvv
	.globl	_ZN7rocprim17ROCPRIM_400000_NS6detail44device_merge_sort_compile_time_verifier_archINS1_11comp_targetILNS1_3genE8ELNS1_11target_archE1030ELNS1_3gpuE2ELNS1_3repE0EEES8_NS1_28merge_sort_block_sort_configILj256ELj4ELNS0_20block_sort_algorithmE0EEENS0_14default_configENS1_37merge_sort_block_sort_config_selectorIsNS0_10empty_typeEEENS1_38merge_sort_block_merge_config_selectorIsSE_EEEEvv
	.p2align	8
	.type	_ZN7rocprim17ROCPRIM_400000_NS6detail44device_merge_sort_compile_time_verifier_archINS1_11comp_targetILNS1_3genE8ELNS1_11target_archE1030ELNS1_3gpuE2ELNS1_3repE0EEES8_NS1_28merge_sort_block_sort_configILj256ELj4ELNS0_20block_sort_algorithmE0EEENS0_14default_configENS1_37merge_sort_block_sort_config_selectorIsNS0_10empty_typeEEENS1_38merge_sort_block_merge_config_selectorIsSE_EEEEvv,@function
_ZN7rocprim17ROCPRIM_400000_NS6detail44device_merge_sort_compile_time_verifier_archINS1_11comp_targetILNS1_3genE8ELNS1_11target_archE1030ELNS1_3gpuE2ELNS1_3repE0EEES8_NS1_28merge_sort_block_sort_configILj256ELj4ELNS0_20block_sort_algorithmE0EEENS0_14default_configENS1_37merge_sort_block_sort_config_selectorIsNS0_10empty_typeEEENS1_38merge_sort_block_merge_config_selectorIsSE_EEEEvv: ; @_ZN7rocprim17ROCPRIM_400000_NS6detail44device_merge_sort_compile_time_verifier_archINS1_11comp_targetILNS1_3genE8ELNS1_11target_archE1030ELNS1_3gpuE2ELNS1_3repE0EEES8_NS1_28merge_sort_block_sort_configILj256ELj4ELNS0_20block_sort_algorithmE0EEENS0_14default_configENS1_37merge_sort_block_sort_config_selectorIsNS0_10empty_typeEEENS1_38merge_sort_block_merge_config_selectorIsSE_EEEEvv
; %bb.0:
	s_endpgm
	.section	.rodata,"a",@progbits
	.p2align	6, 0x0
	.amdhsa_kernel _ZN7rocprim17ROCPRIM_400000_NS6detail44device_merge_sort_compile_time_verifier_archINS1_11comp_targetILNS1_3genE8ELNS1_11target_archE1030ELNS1_3gpuE2ELNS1_3repE0EEES8_NS1_28merge_sort_block_sort_configILj256ELj4ELNS0_20block_sort_algorithmE0EEENS0_14default_configENS1_37merge_sort_block_sort_config_selectorIsNS0_10empty_typeEEENS1_38merge_sort_block_merge_config_selectorIsSE_EEEEvv
		.amdhsa_group_segment_fixed_size 0
		.amdhsa_private_segment_fixed_size 0
		.amdhsa_kernarg_size 0
		.amdhsa_user_sgpr_count 0
		.amdhsa_user_sgpr_dispatch_ptr 0
		.amdhsa_user_sgpr_queue_ptr 0
		.amdhsa_user_sgpr_kernarg_segment_ptr 0
		.amdhsa_user_sgpr_dispatch_id 0
		.amdhsa_user_sgpr_kernarg_preload_length 0
		.amdhsa_user_sgpr_kernarg_preload_offset 0
		.amdhsa_user_sgpr_private_segment_size 0
		.amdhsa_wavefront_size32 1
		.amdhsa_uses_dynamic_stack 0
		.amdhsa_enable_private_segment 0
		.amdhsa_system_sgpr_workgroup_id_x 1
		.amdhsa_system_sgpr_workgroup_id_y 0
		.amdhsa_system_sgpr_workgroup_id_z 0
		.amdhsa_system_sgpr_workgroup_info 0
		.amdhsa_system_vgpr_workitem_id 0
		.amdhsa_next_free_vgpr 1
		.amdhsa_next_free_sgpr 1
		.amdhsa_named_barrier_count 0
		.amdhsa_reserve_vcc 0
		.amdhsa_float_round_mode_32 0
		.amdhsa_float_round_mode_16_64 0
		.amdhsa_float_denorm_mode_32 3
		.amdhsa_float_denorm_mode_16_64 3
		.amdhsa_fp16_overflow 0
		.amdhsa_memory_ordered 1
		.amdhsa_forward_progress 1
		.amdhsa_inst_pref_size 1
		.amdhsa_round_robin_scheduling 0
		.amdhsa_exception_fp_ieee_invalid_op 0
		.amdhsa_exception_fp_denorm_src 0
		.amdhsa_exception_fp_ieee_div_zero 0
		.amdhsa_exception_fp_ieee_overflow 0
		.amdhsa_exception_fp_ieee_underflow 0
		.amdhsa_exception_fp_ieee_inexact 0
		.amdhsa_exception_int_div_zero 0
	.end_amdhsa_kernel
	.section	.text._ZN7rocprim17ROCPRIM_400000_NS6detail44device_merge_sort_compile_time_verifier_archINS1_11comp_targetILNS1_3genE8ELNS1_11target_archE1030ELNS1_3gpuE2ELNS1_3repE0EEES8_NS1_28merge_sort_block_sort_configILj256ELj4ELNS0_20block_sort_algorithmE0EEENS0_14default_configENS1_37merge_sort_block_sort_config_selectorIsNS0_10empty_typeEEENS1_38merge_sort_block_merge_config_selectorIsSE_EEEEvv,"axG",@progbits,_ZN7rocprim17ROCPRIM_400000_NS6detail44device_merge_sort_compile_time_verifier_archINS1_11comp_targetILNS1_3genE8ELNS1_11target_archE1030ELNS1_3gpuE2ELNS1_3repE0EEES8_NS1_28merge_sort_block_sort_configILj256ELj4ELNS0_20block_sort_algorithmE0EEENS0_14default_configENS1_37merge_sort_block_sort_config_selectorIsNS0_10empty_typeEEENS1_38merge_sort_block_merge_config_selectorIsSE_EEEEvv,comdat
.Lfunc_end519:
	.size	_ZN7rocprim17ROCPRIM_400000_NS6detail44device_merge_sort_compile_time_verifier_archINS1_11comp_targetILNS1_3genE8ELNS1_11target_archE1030ELNS1_3gpuE2ELNS1_3repE0EEES8_NS1_28merge_sort_block_sort_configILj256ELj4ELNS0_20block_sort_algorithmE0EEENS0_14default_configENS1_37merge_sort_block_sort_config_selectorIsNS0_10empty_typeEEENS1_38merge_sort_block_merge_config_selectorIsSE_EEEEvv, .Lfunc_end519-_ZN7rocprim17ROCPRIM_400000_NS6detail44device_merge_sort_compile_time_verifier_archINS1_11comp_targetILNS1_3genE8ELNS1_11target_archE1030ELNS1_3gpuE2ELNS1_3repE0EEES8_NS1_28merge_sort_block_sort_configILj256ELj4ELNS0_20block_sort_algorithmE0EEENS0_14default_configENS1_37merge_sort_block_sort_config_selectorIsNS0_10empty_typeEEENS1_38merge_sort_block_merge_config_selectorIsSE_EEEEvv
                                        ; -- End function
	.set _ZN7rocprim17ROCPRIM_400000_NS6detail44device_merge_sort_compile_time_verifier_archINS1_11comp_targetILNS1_3genE8ELNS1_11target_archE1030ELNS1_3gpuE2ELNS1_3repE0EEES8_NS1_28merge_sort_block_sort_configILj256ELj4ELNS0_20block_sort_algorithmE0EEENS0_14default_configENS1_37merge_sort_block_sort_config_selectorIsNS0_10empty_typeEEENS1_38merge_sort_block_merge_config_selectorIsSE_EEEEvv.num_vgpr, 0
	.set _ZN7rocprim17ROCPRIM_400000_NS6detail44device_merge_sort_compile_time_verifier_archINS1_11comp_targetILNS1_3genE8ELNS1_11target_archE1030ELNS1_3gpuE2ELNS1_3repE0EEES8_NS1_28merge_sort_block_sort_configILj256ELj4ELNS0_20block_sort_algorithmE0EEENS0_14default_configENS1_37merge_sort_block_sort_config_selectorIsNS0_10empty_typeEEENS1_38merge_sort_block_merge_config_selectorIsSE_EEEEvv.num_agpr, 0
	.set _ZN7rocprim17ROCPRIM_400000_NS6detail44device_merge_sort_compile_time_verifier_archINS1_11comp_targetILNS1_3genE8ELNS1_11target_archE1030ELNS1_3gpuE2ELNS1_3repE0EEES8_NS1_28merge_sort_block_sort_configILj256ELj4ELNS0_20block_sort_algorithmE0EEENS0_14default_configENS1_37merge_sort_block_sort_config_selectorIsNS0_10empty_typeEEENS1_38merge_sort_block_merge_config_selectorIsSE_EEEEvv.numbered_sgpr, 0
	.set _ZN7rocprim17ROCPRIM_400000_NS6detail44device_merge_sort_compile_time_verifier_archINS1_11comp_targetILNS1_3genE8ELNS1_11target_archE1030ELNS1_3gpuE2ELNS1_3repE0EEES8_NS1_28merge_sort_block_sort_configILj256ELj4ELNS0_20block_sort_algorithmE0EEENS0_14default_configENS1_37merge_sort_block_sort_config_selectorIsNS0_10empty_typeEEENS1_38merge_sort_block_merge_config_selectorIsSE_EEEEvv.num_named_barrier, 0
	.set _ZN7rocprim17ROCPRIM_400000_NS6detail44device_merge_sort_compile_time_verifier_archINS1_11comp_targetILNS1_3genE8ELNS1_11target_archE1030ELNS1_3gpuE2ELNS1_3repE0EEES8_NS1_28merge_sort_block_sort_configILj256ELj4ELNS0_20block_sort_algorithmE0EEENS0_14default_configENS1_37merge_sort_block_sort_config_selectorIsNS0_10empty_typeEEENS1_38merge_sort_block_merge_config_selectorIsSE_EEEEvv.private_seg_size, 0
	.set _ZN7rocprim17ROCPRIM_400000_NS6detail44device_merge_sort_compile_time_verifier_archINS1_11comp_targetILNS1_3genE8ELNS1_11target_archE1030ELNS1_3gpuE2ELNS1_3repE0EEES8_NS1_28merge_sort_block_sort_configILj256ELj4ELNS0_20block_sort_algorithmE0EEENS0_14default_configENS1_37merge_sort_block_sort_config_selectorIsNS0_10empty_typeEEENS1_38merge_sort_block_merge_config_selectorIsSE_EEEEvv.uses_vcc, 0
	.set _ZN7rocprim17ROCPRIM_400000_NS6detail44device_merge_sort_compile_time_verifier_archINS1_11comp_targetILNS1_3genE8ELNS1_11target_archE1030ELNS1_3gpuE2ELNS1_3repE0EEES8_NS1_28merge_sort_block_sort_configILj256ELj4ELNS0_20block_sort_algorithmE0EEENS0_14default_configENS1_37merge_sort_block_sort_config_selectorIsNS0_10empty_typeEEENS1_38merge_sort_block_merge_config_selectorIsSE_EEEEvv.uses_flat_scratch, 0
	.set _ZN7rocprim17ROCPRIM_400000_NS6detail44device_merge_sort_compile_time_verifier_archINS1_11comp_targetILNS1_3genE8ELNS1_11target_archE1030ELNS1_3gpuE2ELNS1_3repE0EEES8_NS1_28merge_sort_block_sort_configILj256ELj4ELNS0_20block_sort_algorithmE0EEENS0_14default_configENS1_37merge_sort_block_sort_config_selectorIsNS0_10empty_typeEEENS1_38merge_sort_block_merge_config_selectorIsSE_EEEEvv.has_dyn_sized_stack, 0
	.set _ZN7rocprim17ROCPRIM_400000_NS6detail44device_merge_sort_compile_time_verifier_archINS1_11comp_targetILNS1_3genE8ELNS1_11target_archE1030ELNS1_3gpuE2ELNS1_3repE0EEES8_NS1_28merge_sort_block_sort_configILj256ELj4ELNS0_20block_sort_algorithmE0EEENS0_14default_configENS1_37merge_sort_block_sort_config_selectorIsNS0_10empty_typeEEENS1_38merge_sort_block_merge_config_selectorIsSE_EEEEvv.has_recursion, 0
	.set _ZN7rocprim17ROCPRIM_400000_NS6detail44device_merge_sort_compile_time_verifier_archINS1_11comp_targetILNS1_3genE8ELNS1_11target_archE1030ELNS1_3gpuE2ELNS1_3repE0EEES8_NS1_28merge_sort_block_sort_configILj256ELj4ELNS0_20block_sort_algorithmE0EEENS0_14default_configENS1_37merge_sort_block_sort_config_selectorIsNS0_10empty_typeEEENS1_38merge_sort_block_merge_config_selectorIsSE_EEEEvv.has_indirect_call, 0
	.section	.AMDGPU.csdata,"",@progbits
; Kernel info:
; codeLenInByte = 4
; TotalNumSgprs: 0
; NumVgprs: 0
; ScratchSize: 0
; MemoryBound: 0
; FloatMode: 240
; IeeeMode: 1
; LDSByteSize: 0 bytes/workgroup (compile time only)
; SGPRBlocks: 0
; VGPRBlocks: 0
; NumSGPRsForWavesPerEU: 1
; NumVGPRsForWavesPerEU: 1
; NamedBarCnt: 0
; Occupancy: 16
; WaveLimiterHint : 0
; COMPUTE_PGM_RSRC2:SCRATCH_EN: 0
; COMPUTE_PGM_RSRC2:USER_SGPR: 0
; COMPUTE_PGM_RSRC2:TRAP_HANDLER: 0
; COMPUTE_PGM_RSRC2:TGID_X_EN: 1
; COMPUTE_PGM_RSRC2:TGID_Y_EN: 0
; COMPUTE_PGM_RSRC2:TGID_Z_EN: 0
; COMPUTE_PGM_RSRC2:TIDIG_COMP_CNT: 0
	.section	.text._ZN7rocprim17ROCPRIM_400000_NS6detail17trampoline_kernelINS0_14default_configENS1_38merge_sort_block_merge_config_selectorIsNS0_10empty_typeEEEZZNS1_27merge_sort_block_merge_implIS3_PsPS5_jNS1_19radix_merge_compareILb1ELb0EsNS0_19identity_decomposerEEEEE10hipError_tT0_T1_T2_jT3_P12ihipStream_tbPNSt15iterator_traitsISE_E10value_typeEPNSK_ISF_E10value_typeEPSG_NS1_7vsmem_tEENKUlT_SE_SF_SG_E_clIS8_S8_S9_S9_EESD_ST_SE_SF_SG_EUlST_E_NS1_11comp_targetILNS1_3genE0ELNS1_11target_archE4294967295ELNS1_3gpuE0ELNS1_3repE0EEENS1_48merge_mergepath_partition_config_static_selectorELNS0_4arch9wavefront6targetE0EEEvSF_,"axG",@progbits,_ZN7rocprim17ROCPRIM_400000_NS6detail17trampoline_kernelINS0_14default_configENS1_38merge_sort_block_merge_config_selectorIsNS0_10empty_typeEEEZZNS1_27merge_sort_block_merge_implIS3_PsPS5_jNS1_19radix_merge_compareILb1ELb0EsNS0_19identity_decomposerEEEEE10hipError_tT0_T1_T2_jT3_P12ihipStream_tbPNSt15iterator_traitsISE_E10value_typeEPNSK_ISF_E10value_typeEPSG_NS1_7vsmem_tEENKUlT_SE_SF_SG_E_clIS8_S8_S9_S9_EESD_ST_SE_SF_SG_EUlST_E_NS1_11comp_targetILNS1_3genE0ELNS1_11target_archE4294967295ELNS1_3gpuE0ELNS1_3repE0EEENS1_48merge_mergepath_partition_config_static_selectorELNS0_4arch9wavefront6targetE0EEEvSF_,comdat
	.protected	_ZN7rocprim17ROCPRIM_400000_NS6detail17trampoline_kernelINS0_14default_configENS1_38merge_sort_block_merge_config_selectorIsNS0_10empty_typeEEEZZNS1_27merge_sort_block_merge_implIS3_PsPS5_jNS1_19radix_merge_compareILb1ELb0EsNS0_19identity_decomposerEEEEE10hipError_tT0_T1_T2_jT3_P12ihipStream_tbPNSt15iterator_traitsISE_E10value_typeEPNSK_ISF_E10value_typeEPSG_NS1_7vsmem_tEENKUlT_SE_SF_SG_E_clIS8_S8_S9_S9_EESD_ST_SE_SF_SG_EUlST_E_NS1_11comp_targetILNS1_3genE0ELNS1_11target_archE4294967295ELNS1_3gpuE0ELNS1_3repE0EEENS1_48merge_mergepath_partition_config_static_selectorELNS0_4arch9wavefront6targetE0EEEvSF_ ; -- Begin function _ZN7rocprim17ROCPRIM_400000_NS6detail17trampoline_kernelINS0_14default_configENS1_38merge_sort_block_merge_config_selectorIsNS0_10empty_typeEEEZZNS1_27merge_sort_block_merge_implIS3_PsPS5_jNS1_19radix_merge_compareILb1ELb0EsNS0_19identity_decomposerEEEEE10hipError_tT0_T1_T2_jT3_P12ihipStream_tbPNSt15iterator_traitsISE_E10value_typeEPNSK_ISF_E10value_typeEPSG_NS1_7vsmem_tEENKUlT_SE_SF_SG_E_clIS8_S8_S9_S9_EESD_ST_SE_SF_SG_EUlST_E_NS1_11comp_targetILNS1_3genE0ELNS1_11target_archE4294967295ELNS1_3gpuE0ELNS1_3repE0EEENS1_48merge_mergepath_partition_config_static_selectorELNS0_4arch9wavefront6targetE0EEEvSF_
	.globl	_ZN7rocprim17ROCPRIM_400000_NS6detail17trampoline_kernelINS0_14default_configENS1_38merge_sort_block_merge_config_selectorIsNS0_10empty_typeEEEZZNS1_27merge_sort_block_merge_implIS3_PsPS5_jNS1_19radix_merge_compareILb1ELb0EsNS0_19identity_decomposerEEEEE10hipError_tT0_T1_T2_jT3_P12ihipStream_tbPNSt15iterator_traitsISE_E10value_typeEPNSK_ISF_E10value_typeEPSG_NS1_7vsmem_tEENKUlT_SE_SF_SG_E_clIS8_S8_S9_S9_EESD_ST_SE_SF_SG_EUlST_E_NS1_11comp_targetILNS1_3genE0ELNS1_11target_archE4294967295ELNS1_3gpuE0ELNS1_3repE0EEENS1_48merge_mergepath_partition_config_static_selectorELNS0_4arch9wavefront6targetE0EEEvSF_
	.p2align	8
	.type	_ZN7rocprim17ROCPRIM_400000_NS6detail17trampoline_kernelINS0_14default_configENS1_38merge_sort_block_merge_config_selectorIsNS0_10empty_typeEEEZZNS1_27merge_sort_block_merge_implIS3_PsPS5_jNS1_19radix_merge_compareILb1ELb0EsNS0_19identity_decomposerEEEEE10hipError_tT0_T1_T2_jT3_P12ihipStream_tbPNSt15iterator_traitsISE_E10value_typeEPNSK_ISF_E10value_typeEPSG_NS1_7vsmem_tEENKUlT_SE_SF_SG_E_clIS8_S8_S9_S9_EESD_ST_SE_SF_SG_EUlST_E_NS1_11comp_targetILNS1_3genE0ELNS1_11target_archE4294967295ELNS1_3gpuE0ELNS1_3repE0EEENS1_48merge_mergepath_partition_config_static_selectorELNS0_4arch9wavefront6targetE0EEEvSF_,@function
_ZN7rocprim17ROCPRIM_400000_NS6detail17trampoline_kernelINS0_14default_configENS1_38merge_sort_block_merge_config_selectorIsNS0_10empty_typeEEEZZNS1_27merge_sort_block_merge_implIS3_PsPS5_jNS1_19radix_merge_compareILb1ELb0EsNS0_19identity_decomposerEEEEE10hipError_tT0_T1_T2_jT3_P12ihipStream_tbPNSt15iterator_traitsISE_E10value_typeEPNSK_ISF_E10value_typeEPSG_NS1_7vsmem_tEENKUlT_SE_SF_SG_E_clIS8_S8_S9_S9_EESD_ST_SE_SF_SG_EUlST_E_NS1_11comp_targetILNS1_3genE0ELNS1_11target_archE4294967295ELNS1_3gpuE0ELNS1_3repE0EEENS1_48merge_mergepath_partition_config_static_selectorELNS0_4arch9wavefront6targetE0EEEvSF_: ; @_ZN7rocprim17ROCPRIM_400000_NS6detail17trampoline_kernelINS0_14default_configENS1_38merge_sort_block_merge_config_selectorIsNS0_10empty_typeEEEZZNS1_27merge_sort_block_merge_implIS3_PsPS5_jNS1_19radix_merge_compareILb1ELb0EsNS0_19identity_decomposerEEEEE10hipError_tT0_T1_T2_jT3_P12ihipStream_tbPNSt15iterator_traitsISE_E10value_typeEPNSK_ISF_E10value_typeEPSG_NS1_7vsmem_tEENKUlT_SE_SF_SG_E_clIS8_S8_S9_S9_EESD_ST_SE_SF_SG_EUlST_E_NS1_11comp_targetILNS1_3genE0ELNS1_11target_archE4294967295ELNS1_3gpuE0ELNS1_3repE0EEENS1_48merge_mergepath_partition_config_static_selectorELNS0_4arch9wavefront6targetE0EEEvSF_
; %bb.0:
	s_load_b32 s2, s[0:1], 0x0
	s_bfe_u32 s3, ttmp6, 0x4000c
	s_and_b32 s4, ttmp6, 15
	s_add_co_i32 s3, s3, 1
	s_getreg_b32 s5, hwreg(HW_REG_IB_STS2, 6, 4)
	s_mul_i32 s3, ttmp9, s3
	s_delay_alu instid0(SALU_CYCLE_1) | instskip(SKIP_2) | instid1(SALU_CYCLE_1)
	s_add_co_i32 s4, s4, s3
	s_cmp_eq_u32 s5, 0
	s_cselect_b32 s3, ttmp9, s4
	v_lshl_or_b32 v8, s3, 7, v0
	s_wait_kmcnt 0x0
	s_delay_alu instid0(VALU_DEP_1)
	v_cmp_gt_u32_e32 vcc_lo, s2, v8
	s_and_saveexec_b32 s2, vcc_lo
	s_cbranch_execz .LBB520_6
; %bb.1:
	s_load_b64 s[2:3], s[0:1], 0x4
	s_wait_kmcnt 0x0
	s_lshr_b32 s4, s2, 9
	s_delay_alu instid0(SALU_CYCLE_1) | instskip(NEXT) | instid1(SALU_CYCLE_1)
	s_and_b32 s4, s4, 0x7ffffe
	s_sub_co_i32 s5, 0, s4
	s_add_co_i32 s4, s4, -1
	s_delay_alu instid0(SALU_CYCLE_1) | instskip(SKIP_2) | instid1(VALU_DEP_1)
	v_and_b32_e32 v1, s4, v8
	v_and_b32_e32 v0, s5, v8
	s_mov_b32 s4, exec_lo
	v_dual_lshlrev_b32 v1, 10, v1 :: v_dual_lshlrev_b32 v0, 10, v0
	s_delay_alu instid0(VALU_DEP_1) | instskip(SKIP_1) | instid1(VALU_DEP_2)
	v_add_min_u32_e64 v2, v0, s2, s3
	v_min_u32_e32 v0, s3, v0
	v_add_min_u32_e64 v3, v2, s2, s3
	s_load_b64 s[2:3], s[0:1], 0x20
	s_delay_alu instid0(VALU_DEP_1) | instskip(NEXT) | instid1(VALU_DEP_1)
	v_dual_sub_nc_u32 v4, v3, v0 :: v_dual_sub_nc_u32 v3, v3, v2
	v_min_u32_e32 v10, v4, v1
	v_sub_nc_u32_e32 v1, v2, v0
	s_delay_alu instid0(VALU_DEP_2) | instskip(NEXT) | instid1(VALU_DEP_2)
	v_sub_nc_u32_e64 v9, v10, v3 clamp
	v_min_u32_e32 v11, v10, v1
	s_delay_alu instid0(VALU_DEP_1)
	v_cmpx_lt_u32_e64 v9, v11
	s_cbranch_execz .LBB520_5
; %bb.2:
	s_wait_xcnt 0x0
	s_load_b64 s[0:1], s[0:1], 0x10
	v_mov_b32_e32 v3, 0
	s_delay_alu instid0(VALU_DEP_1) | instskip(SKIP_1) | instid1(VALU_DEP_1)
	v_mov_b32_e32 v1, v3
	s_wait_kmcnt 0x0
	v_lshl_add_u64 v[4:5], v[0:1], 1, s[0:1]
	v_lshl_add_u64 v[6:7], v[2:3], 1, s[0:1]
	s_mov_b32 s0, 0
.LBB520_3:                              ; =>This Inner Loop Header: Depth=1
	v_add_nc_u32_e32 v1, v11, v9
	s_delay_alu instid0(VALU_DEP_1) | instskip(SKIP_1) | instid1(VALU_DEP_2)
	v_dual_mov_b32 v13, v3 :: v_dual_lshrrev_b32 v16, 1, v1
	v_and_b32_e32 v2, -2, v1
	v_xad_u32 v12, v16, -1, v10
	s_delay_alu instid0(VALU_DEP_2) | instskip(NEXT) | instid1(VALU_DEP_2)
	v_add_nc_u64_e32 v[14:15], v[4:5], v[2:3]
	v_lshl_add_u64 v[12:13], v[12:13], 1, v[6:7]
	s_clause 0x1
	global_load_u16 v1, v[14:15], off
	global_load_u16 v2, v[12:13], off
	s_wait_xcnt 0x0
	v_add_nc_u32_e32 v12, 1, v16
	s_wait_loadcnt 0x0
	v_cmp_gt_i16_e32 vcc_lo, v2, v1
	s_delay_alu instid0(VALU_DEP_2) | instskip(NEXT) | instid1(VALU_DEP_1)
	v_dual_cndmask_b32 v11, v11, v16, vcc_lo :: v_dual_cndmask_b32 v9, v12, v9, vcc_lo
	v_cmp_ge_u32_e32 vcc_lo, v9, v11
	s_or_b32 s0, vcc_lo, s0
	s_delay_alu instid0(SALU_CYCLE_1)
	s_and_not1_b32 exec_lo, exec_lo, s0
	s_cbranch_execnz .LBB520_3
; %bb.4:
	s_or_b32 exec_lo, exec_lo, s0
.LBB520_5:
	s_delay_alu instid0(SALU_CYCLE_1)
	s_or_b32 exec_lo, exec_lo, s4
	v_add_nc_u32_e32 v0, v9, v0
	s_wait_kmcnt 0x0
	global_store_b32 v8, v0, s[2:3] scale_offset
.LBB520_6:
	s_endpgm
	.section	.rodata,"a",@progbits
	.p2align	6, 0x0
	.amdhsa_kernel _ZN7rocprim17ROCPRIM_400000_NS6detail17trampoline_kernelINS0_14default_configENS1_38merge_sort_block_merge_config_selectorIsNS0_10empty_typeEEEZZNS1_27merge_sort_block_merge_implIS3_PsPS5_jNS1_19radix_merge_compareILb1ELb0EsNS0_19identity_decomposerEEEEE10hipError_tT0_T1_T2_jT3_P12ihipStream_tbPNSt15iterator_traitsISE_E10value_typeEPNSK_ISF_E10value_typeEPSG_NS1_7vsmem_tEENKUlT_SE_SF_SG_E_clIS8_S8_S9_S9_EESD_ST_SE_SF_SG_EUlST_E_NS1_11comp_targetILNS1_3genE0ELNS1_11target_archE4294967295ELNS1_3gpuE0ELNS1_3repE0EEENS1_48merge_mergepath_partition_config_static_selectorELNS0_4arch9wavefront6targetE0EEEvSF_
		.amdhsa_group_segment_fixed_size 0
		.amdhsa_private_segment_fixed_size 0
		.amdhsa_kernarg_size 40
		.amdhsa_user_sgpr_count 2
		.amdhsa_user_sgpr_dispatch_ptr 0
		.amdhsa_user_sgpr_queue_ptr 0
		.amdhsa_user_sgpr_kernarg_segment_ptr 1
		.amdhsa_user_sgpr_dispatch_id 0
		.amdhsa_user_sgpr_kernarg_preload_length 0
		.amdhsa_user_sgpr_kernarg_preload_offset 0
		.amdhsa_user_sgpr_private_segment_size 0
		.amdhsa_wavefront_size32 1
		.amdhsa_uses_dynamic_stack 0
		.amdhsa_enable_private_segment 0
		.amdhsa_system_sgpr_workgroup_id_x 1
		.amdhsa_system_sgpr_workgroup_id_y 0
		.amdhsa_system_sgpr_workgroup_id_z 0
		.amdhsa_system_sgpr_workgroup_info 0
		.amdhsa_system_vgpr_workitem_id 0
		.amdhsa_next_free_vgpr 17
		.amdhsa_next_free_sgpr 6
		.amdhsa_named_barrier_count 0
		.amdhsa_reserve_vcc 1
		.amdhsa_float_round_mode_32 0
		.amdhsa_float_round_mode_16_64 0
		.amdhsa_float_denorm_mode_32 3
		.amdhsa_float_denorm_mode_16_64 3
		.amdhsa_fp16_overflow 0
		.amdhsa_memory_ordered 1
		.amdhsa_forward_progress 1
		.amdhsa_inst_pref_size 4
		.amdhsa_round_robin_scheduling 0
		.amdhsa_exception_fp_ieee_invalid_op 0
		.amdhsa_exception_fp_denorm_src 0
		.amdhsa_exception_fp_ieee_div_zero 0
		.amdhsa_exception_fp_ieee_overflow 0
		.amdhsa_exception_fp_ieee_underflow 0
		.amdhsa_exception_fp_ieee_inexact 0
		.amdhsa_exception_int_div_zero 0
	.end_amdhsa_kernel
	.section	.text._ZN7rocprim17ROCPRIM_400000_NS6detail17trampoline_kernelINS0_14default_configENS1_38merge_sort_block_merge_config_selectorIsNS0_10empty_typeEEEZZNS1_27merge_sort_block_merge_implIS3_PsPS5_jNS1_19radix_merge_compareILb1ELb0EsNS0_19identity_decomposerEEEEE10hipError_tT0_T1_T2_jT3_P12ihipStream_tbPNSt15iterator_traitsISE_E10value_typeEPNSK_ISF_E10value_typeEPSG_NS1_7vsmem_tEENKUlT_SE_SF_SG_E_clIS8_S8_S9_S9_EESD_ST_SE_SF_SG_EUlST_E_NS1_11comp_targetILNS1_3genE0ELNS1_11target_archE4294967295ELNS1_3gpuE0ELNS1_3repE0EEENS1_48merge_mergepath_partition_config_static_selectorELNS0_4arch9wavefront6targetE0EEEvSF_,"axG",@progbits,_ZN7rocprim17ROCPRIM_400000_NS6detail17trampoline_kernelINS0_14default_configENS1_38merge_sort_block_merge_config_selectorIsNS0_10empty_typeEEEZZNS1_27merge_sort_block_merge_implIS3_PsPS5_jNS1_19radix_merge_compareILb1ELb0EsNS0_19identity_decomposerEEEEE10hipError_tT0_T1_T2_jT3_P12ihipStream_tbPNSt15iterator_traitsISE_E10value_typeEPNSK_ISF_E10value_typeEPSG_NS1_7vsmem_tEENKUlT_SE_SF_SG_E_clIS8_S8_S9_S9_EESD_ST_SE_SF_SG_EUlST_E_NS1_11comp_targetILNS1_3genE0ELNS1_11target_archE4294967295ELNS1_3gpuE0ELNS1_3repE0EEENS1_48merge_mergepath_partition_config_static_selectorELNS0_4arch9wavefront6targetE0EEEvSF_,comdat
.Lfunc_end520:
	.size	_ZN7rocprim17ROCPRIM_400000_NS6detail17trampoline_kernelINS0_14default_configENS1_38merge_sort_block_merge_config_selectorIsNS0_10empty_typeEEEZZNS1_27merge_sort_block_merge_implIS3_PsPS5_jNS1_19radix_merge_compareILb1ELb0EsNS0_19identity_decomposerEEEEE10hipError_tT0_T1_T2_jT3_P12ihipStream_tbPNSt15iterator_traitsISE_E10value_typeEPNSK_ISF_E10value_typeEPSG_NS1_7vsmem_tEENKUlT_SE_SF_SG_E_clIS8_S8_S9_S9_EESD_ST_SE_SF_SG_EUlST_E_NS1_11comp_targetILNS1_3genE0ELNS1_11target_archE4294967295ELNS1_3gpuE0ELNS1_3repE0EEENS1_48merge_mergepath_partition_config_static_selectorELNS0_4arch9wavefront6targetE0EEEvSF_, .Lfunc_end520-_ZN7rocprim17ROCPRIM_400000_NS6detail17trampoline_kernelINS0_14default_configENS1_38merge_sort_block_merge_config_selectorIsNS0_10empty_typeEEEZZNS1_27merge_sort_block_merge_implIS3_PsPS5_jNS1_19radix_merge_compareILb1ELb0EsNS0_19identity_decomposerEEEEE10hipError_tT0_T1_T2_jT3_P12ihipStream_tbPNSt15iterator_traitsISE_E10value_typeEPNSK_ISF_E10value_typeEPSG_NS1_7vsmem_tEENKUlT_SE_SF_SG_E_clIS8_S8_S9_S9_EESD_ST_SE_SF_SG_EUlST_E_NS1_11comp_targetILNS1_3genE0ELNS1_11target_archE4294967295ELNS1_3gpuE0ELNS1_3repE0EEENS1_48merge_mergepath_partition_config_static_selectorELNS0_4arch9wavefront6targetE0EEEvSF_
                                        ; -- End function
	.set _ZN7rocprim17ROCPRIM_400000_NS6detail17trampoline_kernelINS0_14default_configENS1_38merge_sort_block_merge_config_selectorIsNS0_10empty_typeEEEZZNS1_27merge_sort_block_merge_implIS3_PsPS5_jNS1_19radix_merge_compareILb1ELb0EsNS0_19identity_decomposerEEEEE10hipError_tT0_T1_T2_jT3_P12ihipStream_tbPNSt15iterator_traitsISE_E10value_typeEPNSK_ISF_E10value_typeEPSG_NS1_7vsmem_tEENKUlT_SE_SF_SG_E_clIS8_S8_S9_S9_EESD_ST_SE_SF_SG_EUlST_E_NS1_11comp_targetILNS1_3genE0ELNS1_11target_archE4294967295ELNS1_3gpuE0ELNS1_3repE0EEENS1_48merge_mergepath_partition_config_static_selectorELNS0_4arch9wavefront6targetE0EEEvSF_.num_vgpr, 17
	.set _ZN7rocprim17ROCPRIM_400000_NS6detail17trampoline_kernelINS0_14default_configENS1_38merge_sort_block_merge_config_selectorIsNS0_10empty_typeEEEZZNS1_27merge_sort_block_merge_implIS3_PsPS5_jNS1_19radix_merge_compareILb1ELb0EsNS0_19identity_decomposerEEEEE10hipError_tT0_T1_T2_jT3_P12ihipStream_tbPNSt15iterator_traitsISE_E10value_typeEPNSK_ISF_E10value_typeEPSG_NS1_7vsmem_tEENKUlT_SE_SF_SG_E_clIS8_S8_S9_S9_EESD_ST_SE_SF_SG_EUlST_E_NS1_11comp_targetILNS1_3genE0ELNS1_11target_archE4294967295ELNS1_3gpuE0ELNS1_3repE0EEENS1_48merge_mergepath_partition_config_static_selectorELNS0_4arch9wavefront6targetE0EEEvSF_.num_agpr, 0
	.set _ZN7rocprim17ROCPRIM_400000_NS6detail17trampoline_kernelINS0_14default_configENS1_38merge_sort_block_merge_config_selectorIsNS0_10empty_typeEEEZZNS1_27merge_sort_block_merge_implIS3_PsPS5_jNS1_19radix_merge_compareILb1ELb0EsNS0_19identity_decomposerEEEEE10hipError_tT0_T1_T2_jT3_P12ihipStream_tbPNSt15iterator_traitsISE_E10value_typeEPNSK_ISF_E10value_typeEPSG_NS1_7vsmem_tEENKUlT_SE_SF_SG_E_clIS8_S8_S9_S9_EESD_ST_SE_SF_SG_EUlST_E_NS1_11comp_targetILNS1_3genE0ELNS1_11target_archE4294967295ELNS1_3gpuE0ELNS1_3repE0EEENS1_48merge_mergepath_partition_config_static_selectorELNS0_4arch9wavefront6targetE0EEEvSF_.numbered_sgpr, 6
	.set _ZN7rocprim17ROCPRIM_400000_NS6detail17trampoline_kernelINS0_14default_configENS1_38merge_sort_block_merge_config_selectorIsNS0_10empty_typeEEEZZNS1_27merge_sort_block_merge_implIS3_PsPS5_jNS1_19radix_merge_compareILb1ELb0EsNS0_19identity_decomposerEEEEE10hipError_tT0_T1_T2_jT3_P12ihipStream_tbPNSt15iterator_traitsISE_E10value_typeEPNSK_ISF_E10value_typeEPSG_NS1_7vsmem_tEENKUlT_SE_SF_SG_E_clIS8_S8_S9_S9_EESD_ST_SE_SF_SG_EUlST_E_NS1_11comp_targetILNS1_3genE0ELNS1_11target_archE4294967295ELNS1_3gpuE0ELNS1_3repE0EEENS1_48merge_mergepath_partition_config_static_selectorELNS0_4arch9wavefront6targetE0EEEvSF_.num_named_barrier, 0
	.set _ZN7rocprim17ROCPRIM_400000_NS6detail17trampoline_kernelINS0_14default_configENS1_38merge_sort_block_merge_config_selectorIsNS0_10empty_typeEEEZZNS1_27merge_sort_block_merge_implIS3_PsPS5_jNS1_19radix_merge_compareILb1ELb0EsNS0_19identity_decomposerEEEEE10hipError_tT0_T1_T2_jT3_P12ihipStream_tbPNSt15iterator_traitsISE_E10value_typeEPNSK_ISF_E10value_typeEPSG_NS1_7vsmem_tEENKUlT_SE_SF_SG_E_clIS8_S8_S9_S9_EESD_ST_SE_SF_SG_EUlST_E_NS1_11comp_targetILNS1_3genE0ELNS1_11target_archE4294967295ELNS1_3gpuE0ELNS1_3repE0EEENS1_48merge_mergepath_partition_config_static_selectorELNS0_4arch9wavefront6targetE0EEEvSF_.private_seg_size, 0
	.set _ZN7rocprim17ROCPRIM_400000_NS6detail17trampoline_kernelINS0_14default_configENS1_38merge_sort_block_merge_config_selectorIsNS0_10empty_typeEEEZZNS1_27merge_sort_block_merge_implIS3_PsPS5_jNS1_19radix_merge_compareILb1ELb0EsNS0_19identity_decomposerEEEEE10hipError_tT0_T1_T2_jT3_P12ihipStream_tbPNSt15iterator_traitsISE_E10value_typeEPNSK_ISF_E10value_typeEPSG_NS1_7vsmem_tEENKUlT_SE_SF_SG_E_clIS8_S8_S9_S9_EESD_ST_SE_SF_SG_EUlST_E_NS1_11comp_targetILNS1_3genE0ELNS1_11target_archE4294967295ELNS1_3gpuE0ELNS1_3repE0EEENS1_48merge_mergepath_partition_config_static_selectorELNS0_4arch9wavefront6targetE0EEEvSF_.uses_vcc, 1
	.set _ZN7rocprim17ROCPRIM_400000_NS6detail17trampoline_kernelINS0_14default_configENS1_38merge_sort_block_merge_config_selectorIsNS0_10empty_typeEEEZZNS1_27merge_sort_block_merge_implIS3_PsPS5_jNS1_19radix_merge_compareILb1ELb0EsNS0_19identity_decomposerEEEEE10hipError_tT0_T1_T2_jT3_P12ihipStream_tbPNSt15iterator_traitsISE_E10value_typeEPNSK_ISF_E10value_typeEPSG_NS1_7vsmem_tEENKUlT_SE_SF_SG_E_clIS8_S8_S9_S9_EESD_ST_SE_SF_SG_EUlST_E_NS1_11comp_targetILNS1_3genE0ELNS1_11target_archE4294967295ELNS1_3gpuE0ELNS1_3repE0EEENS1_48merge_mergepath_partition_config_static_selectorELNS0_4arch9wavefront6targetE0EEEvSF_.uses_flat_scratch, 0
	.set _ZN7rocprim17ROCPRIM_400000_NS6detail17trampoline_kernelINS0_14default_configENS1_38merge_sort_block_merge_config_selectorIsNS0_10empty_typeEEEZZNS1_27merge_sort_block_merge_implIS3_PsPS5_jNS1_19radix_merge_compareILb1ELb0EsNS0_19identity_decomposerEEEEE10hipError_tT0_T1_T2_jT3_P12ihipStream_tbPNSt15iterator_traitsISE_E10value_typeEPNSK_ISF_E10value_typeEPSG_NS1_7vsmem_tEENKUlT_SE_SF_SG_E_clIS8_S8_S9_S9_EESD_ST_SE_SF_SG_EUlST_E_NS1_11comp_targetILNS1_3genE0ELNS1_11target_archE4294967295ELNS1_3gpuE0ELNS1_3repE0EEENS1_48merge_mergepath_partition_config_static_selectorELNS0_4arch9wavefront6targetE0EEEvSF_.has_dyn_sized_stack, 0
	.set _ZN7rocprim17ROCPRIM_400000_NS6detail17trampoline_kernelINS0_14default_configENS1_38merge_sort_block_merge_config_selectorIsNS0_10empty_typeEEEZZNS1_27merge_sort_block_merge_implIS3_PsPS5_jNS1_19radix_merge_compareILb1ELb0EsNS0_19identity_decomposerEEEEE10hipError_tT0_T1_T2_jT3_P12ihipStream_tbPNSt15iterator_traitsISE_E10value_typeEPNSK_ISF_E10value_typeEPSG_NS1_7vsmem_tEENKUlT_SE_SF_SG_E_clIS8_S8_S9_S9_EESD_ST_SE_SF_SG_EUlST_E_NS1_11comp_targetILNS1_3genE0ELNS1_11target_archE4294967295ELNS1_3gpuE0ELNS1_3repE0EEENS1_48merge_mergepath_partition_config_static_selectorELNS0_4arch9wavefront6targetE0EEEvSF_.has_recursion, 0
	.set _ZN7rocprim17ROCPRIM_400000_NS6detail17trampoline_kernelINS0_14default_configENS1_38merge_sort_block_merge_config_selectorIsNS0_10empty_typeEEEZZNS1_27merge_sort_block_merge_implIS3_PsPS5_jNS1_19radix_merge_compareILb1ELb0EsNS0_19identity_decomposerEEEEE10hipError_tT0_T1_T2_jT3_P12ihipStream_tbPNSt15iterator_traitsISE_E10value_typeEPNSK_ISF_E10value_typeEPSG_NS1_7vsmem_tEENKUlT_SE_SF_SG_E_clIS8_S8_S9_S9_EESD_ST_SE_SF_SG_EUlST_E_NS1_11comp_targetILNS1_3genE0ELNS1_11target_archE4294967295ELNS1_3gpuE0ELNS1_3repE0EEENS1_48merge_mergepath_partition_config_static_selectorELNS0_4arch9wavefront6targetE0EEEvSF_.has_indirect_call, 0
	.section	.AMDGPU.csdata,"",@progbits
; Kernel info:
; codeLenInByte = 436
; TotalNumSgprs: 8
; NumVgprs: 17
; ScratchSize: 0
; MemoryBound: 0
; FloatMode: 240
; IeeeMode: 1
; LDSByteSize: 0 bytes/workgroup (compile time only)
; SGPRBlocks: 0
; VGPRBlocks: 1
; NumSGPRsForWavesPerEU: 8
; NumVGPRsForWavesPerEU: 17
; NamedBarCnt: 0
; Occupancy: 16
; WaveLimiterHint : 0
; COMPUTE_PGM_RSRC2:SCRATCH_EN: 0
; COMPUTE_PGM_RSRC2:USER_SGPR: 2
; COMPUTE_PGM_RSRC2:TRAP_HANDLER: 0
; COMPUTE_PGM_RSRC2:TGID_X_EN: 1
; COMPUTE_PGM_RSRC2:TGID_Y_EN: 0
; COMPUTE_PGM_RSRC2:TGID_Z_EN: 0
; COMPUTE_PGM_RSRC2:TIDIG_COMP_CNT: 0
	.section	.text._ZN7rocprim17ROCPRIM_400000_NS6detail17trampoline_kernelINS0_14default_configENS1_38merge_sort_block_merge_config_selectorIsNS0_10empty_typeEEEZZNS1_27merge_sort_block_merge_implIS3_PsPS5_jNS1_19radix_merge_compareILb1ELb0EsNS0_19identity_decomposerEEEEE10hipError_tT0_T1_T2_jT3_P12ihipStream_tbPNSt15iterator_traitsISE_E10value_typeEPNSK_ISF_E10value_typeEPSG_NS1_7vsmem_tEENKUlT_SE_SF_SG_E_clIS8_S8_S9_S9_EESD_ST_SE_SF_SG_EUlST_E_NS1_11comp_targetILNS1_3genE10ELNS1_11target_archE1201ELNS1_3gpuE5ELNS1_3repE0EEENS1_48merge_mergepath_partition_config_static_selectorELNS0_4arch9wavefront6targetE0EEEvSF_,"axG",@progbits,_ZN7rocprim17ROCPRIM_400000_NS6detail17trampoline_kernelINS0_14default_configENS1_38merge_sort_block_merge_config_selectorIsNS0_10empty_typeEEEZZNS1_27merge_sort_block_merge_implIS3_PsPS5_jNS1_19radix_merge_compareILb1ELb0EsNS0_19identity_decomposerEEEEE10hipError_tT0_T1_T2_jT3_P12ihipStream_tbPNSt15iterator_traitsISE_E10value_typeEPNSK_ISF_E10value_typeEPSG_NS1_7vsmem_tEENKUlT_SE_SF_SG_E_clIS8_S8_S9_S9_EESD_ST_SE_SF_SG_EUlST_E_NS1_11comp_targetILNS1_3genE10ELNS1_11target_archE1201ELNS1_3gpuE5ELNS1_3repE0EEENS1_48merge_mergepath_partition_config_static_selectorELNS0_4arch9wavefront6targetE0EEEvSF_,comdat
	.protected	_ZN7rocprim17ROCPRIM_400000_NS6detail17trampoline_kernelINS0_14default_configENS1_38merge_sort_block_merge_config_selectorIsNS0_10empty_typeEEEZZNS1_27merge_sort_block_merge_implIS3_PsPS5_jNS1_19radix_merge_compareILb1ELb0EsNS0_19identity_decomposerEEEEE10hipError_tT0_T1_T2_jT3_P12ihipStream_tbPNSt15iterator_traitsISE_E10value_typeEPNSK_ISF_E10value_typeEPSG_NS1_7vsmem_tEENKUlT_SE_SF_SG_E_clIS8_S8_S9_S9_EESD_ST_SE_SF_SG_EUlST_E_NS1_11comp_targetILNS1_3genE10ELNS1_11target_archE1201ELNS1_3gpuE5ELNS1_3repE0EEENS1_48merge_mergepath_partition_config_static_selectorELNS0_4arch9wavefront6targetE0EEEvSF_ ; -- Begin function _ZN7rocprim17ROCPRIM_400000_NS6detail17trampoline_kernelINS0_14default_configENS1_38merge_sort_block_merge_config_selectorIsNS0_10empty_typeEEEZZNS1_27merge_sort_block_merge_implIS3_PsPS5_jNS1_19radix_merge_compareILb1ELb0EsNS0_19identity_decomposerEEEEE10hipError_tT0_T1_T2_jT3_P12ihipStream_tbPNSt15iterator_traitsISE_E10value_typeEPNSK_ISF_E10value_typeEPSG_NS1_7vsmem_tEENKUlT_SE_SF_SG_E_clIS8_S8_S9_S9_EESD_ST_SE_SF_SG_EUlST_E_NS1_11comp_targetILNS1_3genE10ELNS1_11target_archE1201ELNS1_3gpuE5ELNS1_3repE0EEENS1_48merge_mergepath_partition_config_static_selectorELNS0_4arch9wavefront6targetE0EEEvSF_
	.globl	_ZN7rocprim17ROCPRIM_400000_NS6detail17trampoline_kernelINS0_14default_configENS1_38merge_sort_block_merge_config_selectorIsNS0_10empty_typeEEEZZNS1_27merge_sort_block_merge_implIS3_PsPS5_jNS1_19radix_merge_compareILb1ELb0EsNS0_19identity_decomposerEEEEE10hipError_tT0_T1_T2_jT3_P12ihipStream_tbPNSt15iterator_traitsISE_E10value_typeEPNSK_ISF_E10value_typeEPSG_NS1_7vsmem_tEENKUlT_SE_SF_SG_E_clIS8_S8_S9_S9_EESD_ST_SE_SF_SG_EUlST_E_NS1_11comp_targetILNS1_3genE10ELNS1_11target_archE1201ELNS1_3gpuE5ELNS1_3repE0EEENS1_48merge_mergepath_partition_config_static_selectorELNS0_4arch9wavefront6targetE0EEEvSF_
	.p2align	8
	.type	_ZN7rocprim17ROCPRIM_400000_NS6detail17trampoline_kernelINS0_14default_configENS1_38merge_sort_block_merge_config_selectorIsNS0_10empty_typeEEEZZNS1_27merge_sort_block_merge_implIS3_PsPS5_jNS1_19radix_merge_compareILb1ELb0EsNS0_19identity_decomposerEEEEE10hipError_tT0_T1_T2_jT3_P12ihipStream_tbPNSt15iterator_traitsISE_E10value_typeEPNSK_ISF_E10value_typeEPSG_NS1_7vsmem_tEENKUlT_SE_SF_SG_E_clIS8_S8_S9_S9_EESD_ST_SE_SF_SG_EUlST_E_NS1_11comp_targetILNS1_3genE10ELNS1_11target_archE1201ELNS1_3gpuE5ELNS1_3repE0EEENS1_48merge_mergepath_partition_config_static_selectorELNS0_4arch9wavefront6targetE0EEEvSF_,@function
_ZN7rocprim17ROCPRIM_400000_NS6detail17trampoline_kernelINS0_14default_configENS1_38merge_sort_block_merge_config_selectorIsNS0_10empty_typeEEEZZNS1_27merge_sort_block_merge_implIS3_PsPS5_jNS1_19radix_merge_compareILb1ELb0EsNS0_19identity_decomposerEEEEE10hipError_tT0_T1_T2_jT3_P12ihipStream_tbPNSt15iterator_traitsISE_E10value_typeEPNSK_ISF_E10value_typeEPSG_NS1_7vsmem_tEENKUlT_SE_SF_SG_E_clIS8_S8_S9_S9_EESD_ST_SE_SF_SG_EUlST_E_NS1_11comp_targetILNS1_3genE10ELNS1_11target_archE1201ELNS1_3gpuE5ELNS1_3repE0EEENS1_48merge_mergepath_partition_config_static_selectorELNS0_4arch9wavefront6targetE0EEEvSF_: ; @_ZN7rocprim17ROCPRIM_400000_NS6detail17trampoline_kernelINS0_14default_configENS1_38merge_sort_block_merge_config_selectorIsNS0_10empty_typeEEEZZNS1_27merge_sort_block_merge_implIS3_PsPS5_jNS1_19radix_merge_compareILb1ELb0EsNS0_19identity_decomposerEEEEE10hipError_tT0_T1_T2_jT3_P12ihipStream_tbPNSt15iterator_traitsISE_E10value_typeEPNSK_ISF_E10value_typeEPSG_NS1_7vsmem_tEENKUlT_SE_SF_SG_E_clIS8_S8_S9_S9_EESD_ST_SE_SF_SG_EUlST_E_NS1_11comp_targetILNS1_3genE10ELNS1_11target_archE1201ELNS1_3gpuE5ELNS1_3repE0EEENS1_48merge_mergepath_partition_config_static_selectorELNS0_4arch9wavefront6targetE0EEEvSF_
; %bb.0:
	.section	.rodata,"a",@progbits
	.p2align	6, 0x0
	.amdhsa_kernel _ZN7rocprim17ROCPRIM_400000_NS6detail17trampoline_kernelINS0_14default_configENS1_38merge_sort_block_merge_config_selectorIsNS0_10empty_typeEEEZZNS1_27merge_sort_block_merge_implIS3_PsPS5_jNS1_19radix_merge_compareILb1ELb0EsNS0_19identity_decomposerEEEEE10hipError_tT0_T1_T2_jT3_P12ihipStream_tbPNSt15iterator_traitsISE_E10value_typeEPNSK_ISF_E10value_typeEPSG_NS1_7vsmem_tEENKUlT_SE_SF_SG_E_clIS8_S8_S9_S9_EESD_ST_SE_SF_SG_EUlST_E_NS1_11comp_targetILNS1_3genE10ELNS1_11target_archE1201ELNS1_3gpuE5ELNS1_3repE0EEENS1_48merge_mergepath_partition_config_static_selectorELNS0_4arch9wavefront6targetE0EEEvSF_
		.amdhsa_group_segment_fixed_size 0
		.amdhsa_private_segment_fixed_size 0
		.amdhsa_kernarg_size 40
		.amdhsa_user_sgpr_count 2
		.amdhsa_user_sgpr_dispatch_ptr 0
		.amdhsa_user_sgpr_queue_ptr 0
		.amdhsa_user_sgpr_kernarg_segment_ptr 1
		.amdhsa_user_sgpr_dispatch_id 0
		.amdhsa_user_sgpr_kernarg_preload_length 0
		.amdhsa_user_sgpr_kernarg_preload_offset 0
		.amdhsa_user_sgpr_private_segment_size 0
		.amdhsa_wavefront_size32 1
		.amdhsa_uses_dynamic_stack 0
		.amdhsa_enable_private_segment 0
		.amdhsa_system_sgpr_workgroup_id_x 1
		.amdhsa_system_sgpr_workgroup_id_y 0
		.amdhsa_system_sgpr_workgroup_id_z 0
		.amdhsa_system_sgpr_workgroup_info 0
		.amdhsa_system_vgpr_workitem_id 0
		.amdhsa_next_free_vgpr 1
		.amdhsa_next_free_sgpr 1
		.amdhsa_named_barrier_count 0
		.amdhsa_reserve_vcc 0
		.amdhsa_float_round_mode_32 0
		.amdhsa_float_round_mode_16_64 0
		.amdhsa_float_denorm_mode_32 3
		.amdhsa_float_denorm_mode_16_64 3
		.amdhsa_fp16_overflow 0
		.amdhsa_memory_ordered 1
		.amdhsa_forward_progress 1
		.amdhsa_inst_pref_size 0
		.amdhsa_round_robin_scheduling 0
		.amdhsa_exception_fp_ieee_invalid_op 0
		.amdhsa_exception_fp_denorm_src 0
		.amdhsa_exception_fp_ieee_div_zero 0
		.amdhsa_exception_fp_ieee_overflow 0
		.amdhsa_exception_fp_ieee_underflow 0
		.amdhsa_exception_fp_ieee_inexact 0
		.amdhsa_exception_int_div_zero 0
	.end_amdhsa_kernel
	.section	.text._ZN7rocprim17ROCPRIM_400000_NS6detail17trampoline_kernelINS0_14default_configENS1_38merge_sort_block_merge_config_selectorIsNS0_10empty_typeEEEZZNS1_27merge_sort_block_merge_implIS3_PsPS5_jNS1_19radix_merge_compareILb1ELb0EsNS0_19identity_decomposerEEEEE10hipError_tT0_T1_T2_jT3_P12ihipStream_tbPNSt15iterator_traitsISE_E10value_typeEPNSK_ISF_E10value_typeEPSG_NS1_7vsmem_tEENKUlT_SE_SF_SG_E_clIS8_S8_S9_S9_EESD_ST_SE_SF_SG_EUlST_E_NS1_11comp_targetILNS1_3genE10ELNS1_11target_archE1201ELNS1_3gpuE5ELNS1_3repE0EEENS1_48merge_mergepath_partition_config_static_selectorELNS0_4arch9wavefront6targetE0EEEvSF_,"axG",@progbits,_ZN7rocprim17ROCPRIM_400000_NS6detail17trampoline_kernelINS0_14default_configENS1_38merge_sort_block_merge_config_selectorIsNS0_10empty_typeEEEZZNS1_27merge_sort_block_merge_implIS3_PsPS5_jNS1_19radix_merge_compareILb1ELb0EsNS0_19identity_decomposerEEEEE10hipError_tT0_T1_T2_jT3_P12ihipStream_tbPNSt15iterator_traitsISE_E10value_typeEPNSK_ISF_E10value_typeEPSG_NS1_7vsmem_tEENKUlT_SE_SF_SG_E_clIS8_S8_S9_S9_EESD_ST_SE_SF_SG_EUlST_E_NS1_11comp_targetILNS1_3genE10ELNS1_11target_archE1201ELNS1_3gpuE5ELNS1_3repE0EEENS1_48merge_mergepath_partition_config_static_selectorELNS0_4arch9wavefront6targetE0EEEvSF_,comdat
.Lfunc_end521:
	.size	_ZN7rocprim17ROCPRIM_400000_NS6detail17trampoline_kernelINS0_14default_configENS1_38merge_sort_block_merge_config_selectorIsNS0_10empty_typeEEEZZNS1_27merge_sort_block_merge_implIS3_PsPS5_jNS1_19radix_merge_compareILb1ELb0EsNS0_19identity_decomposerEEEEE10hipError_tT0_T1_T2_jT3_P12ihipStream_tbPNSt15iterator_traitsISE_E10value_typeEPNSK_ISF_E10value_typeEPSG_NS1_7vsmem_tEENKUlT_SE_SF_SG_E_clIS8_S8_S9_S9_EESD_ST_SE_SF_SG_EUlST_E_NS1_11comp_targetILNS1_3genE10ELNS1_11target_archE1201ELNS1_3gpuE5ELNS1_3repE0EEENS1_48merge_mergepath_partition_config_static_selectorELNS0_4arch9wavefront6targetE0EEEvSF_, .Lfunc_end521-_ZN7rocprim17ROCPRIM_400000_NS6detail17trampoline_kernelINS0_14default_configENS1_38merge_sort_block_merge_config_selectorIsNS0_10empty_typeEEEZZNS1_27merge_sort_block_merge_implIS3_PsPS5_jNS1_19radix_merge_compareILb1ELb0EsNS0_19identity_decomposerEEEEE10hipError_tT0_T1_T2_jT3_P12ihipStream_tbPNSt15iterator_traitsISE_E10value_typeEPNSK_ISF_E10value_typeEPSG_NS1_7vsmem_tEENKUlT_SE_SF_SG_E_clIS8_S8_S9_S9_EESD_ST_SE_SF_SG_EUlST_E_NS1_11comp_targetILNS1_3genE10ELNS1_11target_archE1201ELNS1_3gpuE5ELNS1_3repE0EEENS1_48merge_mergepath_partition_config_static_selectorELNS0_4arch9wavefront6targetE0EEEvSF_
                                        ; -- End function
	.set _ZN7rocprim17ROCPRIM_400000_NS6detail17trampoline_kernelINS0_14default_configENS1_38merge_sort_block_merge_config_selectorIsNS0_10empty_typeEEEZZNS1_27merge_sort_block_merge_implIS3_PsPS5_jNS1_19radix_merge_compareILb1ELb0EsNS0_19identity_decomposerEEEEE10hipError_tT0_T1_T2_jT3_P12ihipStream_tbPNSt15iterator_traitsISE_E10value_typeEPNSK_ISF_E10value_typeEPSG_NS1_7vsmem_tEENKUlT_SE_SF_SG_E_clIS8_S8_S9_S9_EESD_ST_SE_SF_SG_EUlST_E_NS1_11comp_targetILNS1_3genE10ELNS1_11target_archE1201ELNS1_3gpuE5ELNS1_3repE0EEENS1_48merge_mergepath_partition_config_static_selectorELNS0_4arch9wavefront6targetE0EEEvSF_.num_vgpr, 0
	.set _ZN7rocprim17ROCPRIM_400000_NS6detail17trampoline_kernelINS0_14default_configENS1_38merge_sort_block_merge_config_selectorIsNS0_10empty_typeEEEZZNS1_27merge_sort_block_merge_implIS3_PsPS5_jNS1_19radix_merge_compareILb1ELb0EsNS0_19identity_decomposerEEEEE10hipError_tT0_T1_T2_jT3_P12ihipStream_tbPNSt15iterator_traitsISE_E10value_typeEPNSK_ISF_E10value_typeEPSG_NS1_7vsmem_tEENKUlT_SE_SF_SG_E_clIS8_S8_S9_S9_EESD_ST_SE_SF_SG_EUlST_E_NS1_11comp_targetILNS1_3genE10ELNS1_11target_archE1201ELNS1_3gpuE5ELNS1_3repE0EEENS1_48merge_mergepath_partition_config_static_selectorELNS0_4arch9wavefront6targetE0EEEvSF_.num_agpr, 0
	.set _ZN7rocprim17ROCPRIM_400000_NS6detail17trampoline_kernelINS0_14default_configENS1_38merge_sort_block_merge_config_selectorIsNS0_10empty_typeEEEZZNS1_27merge_sort_block_merge_implIS3_PsPS5_jNS1_19radix_merge_compareILb1ELb0EsNS0_19identity_decomposerEEEEE10hipError_tT0_T1_T2_jT3_P12ihipStream_tbPNSt15iterator_traitsISE_E10value_typeEPNSK_ISF_E10value_typeEPSG_NS1_7vsmem_tEENKUlT_SE_SF_SG_E_clIS8_S8_S9_S9_EESD_ST_SE_SF_SG_EUlST_E_NS1_11comp_targetILNS1_3genE10ELNS1_11target_archE1201ELNS1_3gpuE5ELNS1_3repE0EEENS1_48merge_mergepath_partition_config_static_selectorELNS0_4arch9wavefront6targetE0EEEvSF_.numbered_sgpr, 0
	.set _ZN7rocprim17ROCPRIM_400000_NS6detail17trampoline_kernelINS0_14default_configENS1_38merge_sort_block_merge_config_selectorIsNS0_10empty_typeEEEZZNS1_27merge_sort_block_merge_implIS3_PsPS5_jNS1_19radix_merge_compareILb1ELb0EsNS0_19identity_decomposerEEEEE10hipError_tT0_T1_T2_jT3_P12ihipStream_tbPNSt15iterator_traitsISE_E10value_typeEPNSK_ISF_E10value_typeEPSG_NS1_7vsmem_tEENKUlT_SE_SF_SG_E_clIS8_S8_S9_S9_EESD_ST_SE_SF_SG_EUlST_E_NS1_11comp_targetILNS1_3genE10ELNS1_11target_archE1201ELNS1_3gpuE5ELNS1_3repE0EEENS1_48merge_mergepath_partition_config_static_selectorELNS0_4arch9wavefront6targetE0EEEvSF_.num_named_barrier, 0
	.set _ZN7rocprim17ROCPRIM_400000_NS6detail17trampoline_kernelINS0_14default_configENS1_38merge_sort_block_merge_config_selectorIsNS0_10empty_typeEEEZZNS1_27merge_sort_block_merge_implIS3_PsPS5_jNS1_19radix_merge_compareILb1ELb0EsNS0_19identity_decomposerEEEEE10hipError_tT0_T1_T2_jT3_P12ihipStream_tbPNSt15iterator_traitsISE_E10value_typeEPNSK_ISF_E10value_typeEPSG_NS1_7vsmem_tEENKUlT_SE_SF_SG_E_clIS8_S8_S9_S9_EESD_ST_SE_SF_SG_EUlST_E_NS1_11comp_targetILNS1_3genE10ELNS1_11target_archE1201ELNS1_3gpuE5ELNS1_3repE0EEENS1_48merge_mergepath_partition_config_static_selectorELNS0_4arch9wavefront6targetE0EEEvSF_.private_seg_size, 0
	.set _ZN7rocprim17ROCPRIM_400000_NS6detail17trampoline_kernelINS0_14default_configENS1_38merge_sort_block_merge_config_selectorIsNS0_10empty_typeEEEZZNS1_27merge_sort_block_merge_implIS3_PsPS5_jNS1_19radix_merge_compareILb1ELb0EsNS0_19identity_decomposerEEEEE10hipError_tT0_T1_T2_jT3_P12ihipStream_tbPNSt15iterator_traitsISE_E10value_typeEPNSK_ISF_E10value_typeEPSG_NS1_7vsmem_tEENKUlT_SE_SF_SG_E_clIS8_S8_S9_S9_EESD_ST_SE_SF_SG_EUlST_E_NS1_11comp_targetILNS1_3genE10ELNS1_11target_archE1201ELNS1_3gpuE5ELNS1_3repE0EEENS1_48merge_mergepath_partition_config_static_selectorELNS0_4arch9wavefront6targetE0EEEvSF_.uses_vcc, 0
	.set _ZN7rocprim17ROCPRIM_400000_NS6detail17trampoline_kernelINS0_14default_configENS1_38merge_sort_block_merge_config_selectorIsNS0_10empty_typeEEEZZNS1_27merge_sort_block_merge_implIS3_PsPS5_jNS1_19radix_merge_compareILb1ELb0EsNS0_19identity_decomposerEEEEE10hipError_tT0_T1_T2_jT3_P12ihipStream_tbPNSt15iterator_traitsISE_E10value_typeEPNSK_ISF_E10value_typeEPSG_NS1_7vsmem_tEENKUlT_SE_SF_SG_E_clIS8_S8_S9_S9_EESD_ST_SE_SF_SG_EUlST_E_NS1_11comp_targetILNS1_3genE10ELNS1_11target_archE1201ELNS1_3gpuE5ELNS1_3repE0EEENS1_48merge_mergepath_partition_config_static_selectorELNS0_4arch9wavefront6targetE0EEEvSF_.uses_flat_scratch, 0
	.set _ZN7rocprim17ROCPRIM_400000_NS6detail17trampoline_kernelINS0_14default_configENS1_38merge_sort_block_merge_config_selectorIsNS0_10empty_typeEEEZZNS1_27merge_sort_block_merge_implIS3_PsPS5_jNS1_19radix_merge_compareILb1ELb0EsNS0_19identity_decomposerEEEEE10hipError_tT0_T1_T2_jT3_P12ihipStream_tbPNSt15iterator_traitsISE_E10value_typeEPNSK_ISF_E10value_typeEPSG_NS1_7vsmem_tEENKUlT_SE_SF_SG_E_clIS8_S8_S9_S9_EESD_ST_SE_SF_SG_EUlST_E_NS1_11comp_targetILNS1_3genE10ELNS1_11target_archE1201ELNS1_3gpuE5ELNS1_3repE0EEENS1_48merge_mergepath_partition_config_static_selectorELNS0_4arch9wavefront6targetE0EEEvSF_.has_dyn_sized_stack, 0
	.set _ZN7rocprim17ROCPRIM_400000_NS6detail17trampoline_kernelINS0_14default_configENS1_38merge_sort_block_merge_config_selectorIsNS0_10empty_typeEEEZZNS1_27merge_sort_block_merge_implIS3_PsPS5_jNS1_19radix_merge_compareILb1ELb0EsNS0_19identity_decomposerEEEEE10hipError_tT0_T1_T2_jT3_P12ihipStream_tbPNSt15iterator_traitsISE_E10value_typeEPNSK_ISF_E10value_typeEPSG_NS1_7vsmem_tEENKUlT_SE_SF_SG_E_clIS8_S8_S9_S9_EESD_ST_SE_SF_SG_EUlST_E_NS1_11comp_targetILNS1_3genE10ELNS1_11target_archE1201ELNS1_3gpuE5ELNS1_3repE0EEENS1_48merge_mergepath_partition_config_static_selectorELNS0_4arch9wavefront6targetE0EEEvSF_.has_recursion, 0
	.set _ZN7rocprim17ROCPRIM_400000_NS6detail17trampoline_kernelINS0_14default_configENS1_38merge_sort_block_merge_config_selectorIsNS0_10empty_typeEEEZZNS1_27merge_sort_block_merge_implIS3_PsPS5_jNS1_19radix_merge_compareILb1ELb0EsNS0_19identity_decomposerEEEEE10hipError_tT0_T1_T2_jT3_P12ihipStream_tbPNSt15iterator_traitsISE_E10value_typeEPNSK_ISF_E10value_typeEPSG_NS1_7vsmem_tEENKUlT_SE_SF_SG_E_clIS8_S8_S9_S9_EESD_ST_SE_SF_SG_EUlST_E_NS1_11comp_targetILNS1_3genE10ELNS1_11target_archE1201ELNS1_3gpuE5ELNS1_3repE0EEENS1_48merge_mergepath_partition_config_static_selectorELNS0_4arch9wavefront6targetE0EEEvSF_.has_indirect_call, 0
	.section	.AMDGPU.csdata,"",@progbits
; Kernel info:
; codeLenInByte = 0
; TotalNumSgprs: 0
; NumVgprs: 0
; ScratchSize: 0
; MemoryBound: 0
; FloatMode: 240
; IeeeMode: 1
; LDSByteSize: 0 bytes/workgroup (compile time only)
; SGPRBlocks: 0
; VGPRBlocks: 0
; NumSGPRsForWavesPerEU: 1
; NumVGPRsForWavesPerEU: 1
; NamedBarCnt: 0
; Occupancy: 16
; WaveLimiterHint : 0
; COMPUTE_PGM_RSRC2:SCRATCH_EN: 0
; COMPUTE_PGM_RSRC2:USER_SGPR: 2
; COMPUTE_PGM_RSRC2:TRAP_HANDLER: 0
; COMPUTE_PGM_RSRC2:TGID_X_EN: 1
; COMPUTE_PGM_RSRC2:TGID_Y_EN: 0
; COMPUTE_PGM_RSRC2:TGID_Z_EN: 0
; COMPUTE_PGM_RSRC2:TIDIG_COMP_CNT: 0
	.section	.text._ZN7rocprim17ROCPRIM_400000_NS6detail17trampoline_kernelINS0_14default_configENS1_38merge_sort_block_merge_config_selectorIsNS0_10empty_typeEEEZZNS1_27merge_sort_block_merge_implIS3_PsPS5_jNS1_19radix_merge_compareILb1ELb0EsNS0_19identity_decomposerEEEEE10hipError_tT0_T1_T2_jT3_P12ihipStream_tbPNSt15iterator_traitsISE_E10value_typeEPNSK_ISF_E10value_typeEPSG_NS1_7vsmem_tEENKUlT_SE_SF_SG_E_clIS8_S8_S9_S9_EESD_ST_SE_SF_SG_EUlST_E_NS1_11comp_targetILNS1_3genE5ELNS1_11target_archE942ELNS1_3gpuE9ELNS1_3repE0EEENS1_48merge_mergepath_partition_config_static_selectorELNS0_4arch9wavefront6targetE0EEEvSF_,"axG",@progbits,_ZN7rocprim17ROCPRIM_400000_NS6detail17trampoline_kernelINS0_14default_configENS1_38merge_sort_block_merge_config_selectorIsNS0_10empty_typeEEEZZNS1_27merge_sort_block_merge_implIS3_PsPS5_jNS1_19radix_merge_compareILb1ELb0EsNS0_19identity_decomposerEEEEE10hipError_tT0_T1_T2_jT3_P12ihipStream_tbPNSt15iterator_traitsISE_E10value_typeEPNSK_ISF_E10value_typeEPSG_NS1_7vsmem_tEENKUlT_SE_SF_SG_E_clIS8_S8_S9_S9_EESD_ST_SE_SF_SG_EUlST_E_NS1_11comp_targetILNS1_3genE5ELNS1_11target_archE942ELNS1_3gpuE9ELNS1_3repE0EEENS1_48merge_mergepath_partition_config_static_selectorELNS0_4arch9wavefront6targetE0EEEvSF_,comdat
	.protected	_ZN7rocprim17ROCPRIM_400000_NS6detail17trampoline_kernelINS0_14default_configENS1_38merge_sort_block_merge_config_selectorIsNS0_10empty_typeEEEZZNS1_27merge_sort_block_merge_implIS3_PsPS5_jNS1_19radix_merge_compareILb1ELb0EsNS0_19identity_decomposerEEEEE10hipError_tT0_T1_T2_jT3_P12ihipStream_tbPNSt15iterator_traitsISE_E10value_typeEPNSK_ISF_E10value_typeEPSG_NS1_7vsmem_tEENKUlT_SE_SF_SG_E_clIS8_S8_S9_S9_EESD_ST_SE_SF_SG_EUlST_E_NS1_11comp_targetILNS1_3genE5ELNS1_11target_archE942ELNS1_3gpuE9ELNS1_3repE0EEENS1_48merge_mergepath_partition_config_static_selectorELNS0_4arch9wavefront6targetE0EEEvSF_ ; -- Begin function _ZN7rocprim17ROCPRIM_400000_NS6detail17trampoline_kernelINS0_14default_configENS1_38merge_sort_block_merge_config_selectorIsNS0_10empty_typeEEEZZNS1_27merge_sort_block_merge_implIS3_PsPS5_jNS1_19radix_merge_compareILb1ELb0EsNS0_19identity_decomposerEEEEE10hipError_tT0_T1_T2_jT3_P12ihipStream_tbPNSt15iterator_traitsISE_E10value_typeEPNSK_ISF_E10value_typeEPSG_NS1_7vsmem_tEENKUlT_SE_SF_SG_E_clIS8_S8_S9_S9_EESD_ST_SE_SF_SG_EUlST_E_NS1_11comp_targetILNS1_3genE5ELNS1_11target_archE942ELNS1_3gpuE9ELNS1_3repE0EEENS1_48merge_mergepath_partition_config_static_selectorELNS0_4arch9wavefront6targetE0EEEvSF_
	.globl	_ZN7rocprim17ROCPRIM_400000_NS6detail17trampoline_kernelINS0_14default_configENS1_38merge_sort_block_merge_config_selectorIsNS0_10empty_typeEEEZZNS1_27merge_sort_block_merge_implIS3_PsPS5_jNS1_19radix_merge_compareILb1ELb0EsNS0_19identity_decomposerEEEEE10hipError_tT0_T1_T2_jT3_P12ihipStream_tbPNSt15iterator_traitsISE_E10value_typeEPNSK_ISF_E10value_typeEPSG_NS1_7vsmem_tEENKUlT_SE_SF_SG_E_clIS8_S8_S9_S9_EESD_ST_SE_SF_SG_EUlST_E_NS1_11comp_targetILNS1_3genE5ELNS1_11target_archE942ELNS1_3gpuE9ELNS1_3repE0EEENS1_48merge_mergepath_partition_config_static_selectorELNS0_4arch9wavefront6targetE0EEEvSF_
	.p2align	8
	.type	_ZN7rocprim17ROCPRIM_400000_NS6detail17trampoline_kernelINS0_14default_configENS1_38merge_sort_block_merge_config_selectorIsNS0_10empty_typeEEEZZNS1_27merge_sort_block_merge_implIS3_PsPS5_jNS1_19radix_merge_compareILb1ELb0EsNS0_19identity_decomposerEEEEE10hipError_tT0_T1_T2_jT3_P12ihipStream_tbPNSt15iterator_traitsISE_E10value_typeEPNSK_ISF_E10value_typeEPSG_NS1_7vsmem_tEENKUlT_SE_SF_SG_E_clIS8_S8_S9_S9_EESD_ST_SE_SF_SG_EUlST_E_NS1_11comp_targetILNS1_3genE5ELNS1_11target_archE942ELNS1_3gpuE9ELNS1_3repE0EEENS1_48merge_mergepath_partition_config_static_selectorELNS0_4arch9wavefront6targetE0EEEvSF_,@function
_ZN7rocprim17ROCPRIM_400000_NS6detail17trampoline_kernelINS0_14default_configENS1_38merge_sort_block_merge_config_selectorIsNS0_10empty_typeEEEZZNS1_27merge_sort_block_merge_implIS3_PsPS5_jNS1_19radix_merge_compareILb1ELb0EsNS0_19identity_decomposerEEEEE10hipError_tT0_T1_T2_jT3_P12ihipStream_tbPNSt15iterator_traitsISE_E10value_typeEPNSK_ISF_E10value_typeEPSG_NS1_7vsmem_tEENKUlT_SE_SF_SG_E_clIS8_S8_S9_S9_EESD_ST_SE_SF_SG_EUlST_E_NS1_11comp_targetILNS1_3genE5ELNS1_11target_archE942ELNS1_3gpuE9ELNS1_3repE0EEENS1_48merge_mergepath_partition_config_static_selectorELNS0_4arch9wavefront6targetE0EEEvSF_: ; @_ZN7rocprim17ROCPRIM_400000_NS6detail17trampoline_kernelINS0_14default_configENS1_38merge_sort_block_merge_config_selectorIsNS0_10empty_typeEEEZZNS1_27merge_sort_block_merge_implIS3_PsPS5_jNS1_19radix_merge_compareILb1ELb0EsNS0_19identity_decomposerEEEEE10hipError_tT0_T1_T2_jT3_P12ihipStream_tbPNSt15iterator_traitsISE_E10value_typeEPNSK_ISF_E10value_typeEPSG_NS1_7vsmem_tEENKUlT_SE_SF_SG_E_clIS8_S8_S9_S9_EESD_ST_SE_SF_SG_EUlST_E_NS1_11comp_targetILNS1_3genE5ELNS1_11target_archE942ELNS1_3gpuE9ELNS1_3repE0EEENS1_48merge_mergepath_partition_config_static_selectorELNS0_4arch9wavefront6targetE0EEEvSF_
; %bb.0:
	.section	.rodata,"a",@progbits
	.p2align	6, 0x0
	.amdhsa_kernel _ZN7rocprim17ROCPRIM_400000_NS6detail17trampoline_kernelINS0_14default_configENS1_38merge_sort_block_merge_config_selectorIsNS0_10empty_typeEEEZZNS1_27merge_sort_block_merge_implIS3_PsPS5_jNS1_19radix_merge_compareILb1ELb0EsNS0_19identity_decomposerEEEEE10hipError_tT0_T1_T2_jT3_P12ihipStream_tbPNSt15iterator_traitsISE_E10value_typeEPNSK_ISF_E10value_typeEPSG_NS1_7vsmem_tEENKUlT_SE_SF_SG_E_clIS8_S8_S9_S9_EESD_ST_SE_SF_SG_EUlST_E_NS1_11comp_targetILNS1_3genE5ELNS1_11target_archE942ELNS1_3gpuE9ELNS1_3repE0EEENS1_48merge_mergepath_partition_config_static_selectorELNS0_4arch9wavefront6targetE0EEEvSF_
		.amdhsa_group_segment_fixed_size 0
		.amdhsa_private_segment_fixed_size 0
		.amdhsa_kernarg_size 40
		.amdhsa_user_sgpr_count 2
		.amdhsa_user_sgpr_dispatch_ptr 0
		.amdhsa_user_sgpr_queue_ptr 0
		.amdhsa_user_sgpr_kernarg_segment_ptr 1
		.amdhsa_user_sgpr_dispatch_id 0
		.amdhsa_user_sgpr_kernarg_preload_length 0
		.amdhsa_user_sgpr_kernarg_preload_offset 0
		.amdhsa_user_sgpr_private_segment_size 0
		.amdhsa_wavefront_size32 1
		.amdhsa_uses_dynamic_stack 0
		.amdhsa_enable_private_segment 0
		.amdhsa_system_sgpr_workgroup_id_x 1
		.amdhsa_system_sgpr_workgroup_id_y 0
		.amdhsa_system_sgpr_workgroup_id_z 0
		.amdhsa_system_sgpr_workgroup_info 0
		.amdhsa_system_vgpr_workitem_id 0
		.amdhsa_next_free_vgpr 1
		.amdhsa_next_free_sgpr 1
		.amdhsa_named_barrier_count 0
		.amdhsa_reserve_vcc 0
		.amdhsa_float_round_mode_32 0
		.amdhsa_float_round_mode_16_64 0
		.amdhsa_float_denorm_mode_32 3
		.amdhsa_float_denorm_mode_16_64 3
		.amdhsa_fp16_overflow 0
		.amdhsa_memory_ordered 1
		.amdhsa_forward_progress 1
		.amdhsa_inst_pref_size 0
		.amdhsa_round_robin_scheduling 0
		.amdhsa_exception_fp_ieee_invalid_op 0
		.amdhsa_exception_fp_denorm_src 0
		.amdhsa_exception_fp_ieee_div_zero 0
		.amdhsa_exception_fp_ieee_overflow 0
		.amdhsa_exception_fp_ieee_underflow 0
		.amdhsa_exception_fp_ieee_inexact 0
		.amdhsa_exception_int_div_zero 0
	.end_amdhsa_kernel
	.section	.text._ZN7rocprim17ROCPRIM_400000_NS6detail17trampoline_kernelINS0_14default_configENS1_38merge_sort_block_merge_config_selectorIsNS0_10empty_typeEEEZZNS1_27merge_sort_block_merge_implIS3_PsPS5_jNS1_19radix_merge_compareILb1ELb0EsNS0_19identity_decomposerEEEEE10hipError_tT0_T1_T2_jT3_P12ihipStream_tbPNSt15iterator_traitsISE_E10value_typeEPNSK_ISF_E10value_typeEPSG_NS1_7vsmem_tEENKUlT_SE_SF_SG_E_clIS8_S8_S9_S9_EESD_ST_SE_SF_SG_EUlST_E_NS1_11comp_targetILNS1_3genE5ELNS1_11target_archE942ELNS1_3gpuE9ELNS1_3repE0EEENS1_48merge_mergepath_partition_config_static_selectorELNS0_4arch9wavefront6targetE0EEEvSF_,"axG",@progbits,_ZN7rocprim17ROCPRIM_400000_NS6detail17trampoline_kernelINS0_14default_configENS1_38merge_sort_block_merge_config_selectorIsNS0_10empty_typeEEEZZNS1_27merge_sort_block_merge_implIS3_PsPS5_jNS1_19radix_merge_compareILb1ELb0EsNS0_19identity_decomposerEEEEE10hipError_tT0_T1_T2_jT3_P12ihipStream_tbPNSt15iterator_traitsISE_E10value_typeEPNSK_ISF_E10value_typeEPSG_NS1_7vsmem_tEENKUlT_SE_SF_SG_E_clIS8_S8_S9_S9_EESD_ST_SE_SF_SG_EUlST_E_NS1_11comp_targetILNS1_3genE5ELNS1_11target_archE942ELNS1_3gpuE9ELNS1_3repE0EEENS1_48merge_mergepath_partition_config_static_selectorELNS0_4arch9wavefront6targetE0EEEvSF_,comdat
.Lfunc_end522:
	.size	_ZN7rocprim17ROCPRIM_400000_NS6detail17trampoline_kernelINS0_14default_configENS1_38merge_sort_block_merge_config_selectorIsNS0_10empty_typeEEEZZNS1_27merge_sort_block_merge_implIS3_PsPS5_jNS1_19radix_merge_compareILb1ELb0EsNS0_19identity_decomposerEEEEE10hipError_tT0_T1_T2_jT3_P12ihipStream_tbPNSt15iterator_traitsISE_E10value_typeEPNSK_ISF_E10value_typeEPSG_NS1_7vsmem_tEENKUlT_SE_SF_SG_E_clIS8_S8_S9_S9_EESD_ST_SE_SF_SG_EUlST_E_NS1_11comp_targetILNS1_3genE5ELNS1_11target_archE942ELNS1_3gpuE9ELNS1_3repE0EEENS1_48merge_mergepath_partition_config_static_selectorELNS0_4arch9wavefront6targetE0EEEvSF_, .Lfunc_end522-_ZN7rocprim17ROCPRIM_400000_NS6detail17trampoline_kernelINS0_14default_configENS1_38merge_sort_block_merge_config_selectorIsNS0_10empty_typeEEEZZNS1_27merge_sort_block_merge_implIS3_PsPS5_jNS1_19radix_merge_compareILb1ELb0EsNS0_19identity_decomposerEEEEE10hipError_tT0_T1_T2_jT3_P12ihipStream_tbPNSt15iterator_traitsISE_E10value_typeEPNSK_ISF_E10value_typeEPSG_NS1_7vsmem_tEENKUlT_SE_SF_SG_E_clIS8_S8_S9_S9_EESD_ST_SE_SF_SG_EUlST_E_NS1_11comp_targetILNS1_3genE5ELNS1_11target_archE942ELNS1_3gpuE9ELNS1_3repE0EEENS1_48merge_mergepath_partition_config_static_selectorELNS0_4arch9wavefront6targetE0EEEvSF_
                                        ; -- End function
	.set _ZN7rocprim17ROCPRIM_400000_NS6detail17trampoline_kernelINS0_14default_configENS1_38merge_sort_block_merge_config_selectorIsNS0_10empty_typeEEEZZNS1_27merge_sort_block_merge_implIS3_PsPS5_jNS1_19radix_merge_compareILb1ELb0EsNS0_19identity_decomposerEEEEE10hipError_tT0_T1_T2_jT3_P12ihipStream_tbPNSt15iterator_traitsISE_E10value_typeEPNSK_ISF_E10value_typeEPSG_NS1_7vsmem_tEENKUlT_SE_SF_SG_E_clIS8_S8_S9_S9_EESD_ST_SE_SF_SG_EUlST_E_NS1_11comp_targetILNS1_3genE5ELNS1_11target_archE942ELNS1_3gpuE9ELNS1_3repE0EEENS1_48merge_mergepath_partition_config_static_selectorELNS0_4arch9wavefront6targetE0EEEvSF_.num_vgpr, 0
	.set _ZN7rocprim17ROCPRIM_400000_NS6detail17trampoline_kernelINS0_14default_configENS1_38merge_sort_block_merge_config_selectorIsNS0_10empty_typeEEEZZNS1_27merge_sort_block_merge_implIS3_PsPS5_jNS1_19radix_merge_compareILb1ELb0EsNS0_19identity_decomposerEEEEE10hipError_tT0_T1_T2_jT3_P12ihipStream_tbPNSt15iterator_traitsISE_E10value_typeEPNSK_ISF_E10value_typeEPSG_NS1_7vsmem_tEENKUlT_SE_SF_SG_E_clIS8_S8_S9_S9_EESD_ST_SE_SF_SG_EUlST_E_NS1_11comp_targetILNS1_3genE5ELNS1_11target_archE942ELNS1_3gpuE9ELNS1_3repE0EEENS1_48merge_mergepath_partition_config_static_selectorELNS0_4arch9wavefront6targetE0EEEvSF_.num_agpr, 0
	.set _ZN7rocprim17ROCPRIM_400000_NS6detail17trampoline_kernelINS0_14default_configENS1_38merge_sort_block_merge_config_selectorIsNS0_10empty_typeEEEZZNS1_27merge_sort_block_merge_implIS3_PsPS5_jNS1_19radix_merge_compareILb1ELb0EsNS0_19identity_decomposerEEEEE10hipError_tT0_T1_T2_jT3_P12ihipStream_tbPNSt15iterator_traitsISE_E10value_typeEPNSK_ISF_E10value_typeEPSG_NS1_7vsmem_tEENKUlT_SE_SF_SG_E_clIS8_S8_S9_S9_EESD_ST_SE_SF_SG_EUlST_E_NS1_11comp_targetILNS1_3genE5ELNS1_11target_archE942ELNS1_3gpuE9ELNS1_3repE0EEENS1_48merge_mergepath_partition_config_static_selectorELNS0_4arch9wavefront6targetE0EEEvSF_.numbered_sgpr, 0
	.set _ZN7rocprim17ROCPRIM_400000_NS6detail17trampoline_kernelINS0_14default_configENS1_38merge_sort_block_merge_config_selectorIsNS0_10empty_typeEEEZZNS1_27merge_sort_block_merge_implIS3_PsPS5_jNS1_19radix_merge_compareILb1ELb0EsNS0_19identity_decomposerEEEEE10hipError_tT0_T1_T2_jT3_P12ihipStream_tbPNSt15iterator_traitsISE_E10value_typeEPNSK_ISF_E10value_typeEPSG_NS1_7vsmem_tEENKUlT_SE_SF_SG_E_clIS8_S8_S9_S9_EESD_ST_SE_SF_SG_EUlST_E_NS1_11comp_targetILNS1_3genE5ELNS1_11target_archE942ELNS1_3gpuE9ELNS1_3repE0EEENS1_48merge_mergepath_partition_config_static_selectorELNS0_4arch9wavefront6targetE0EEEvSF_.num_named_barrier, 0
	.set _ZN7rocprim17ROCPRIM_400000_NS6detail17trampoline_kernelINS0_14default_configENS1_38merge_sort_block_merge_config_selectorIsNS0_10empty_typeEEEZZNS1_27merge_sort_block_merge_implIS3_PsPS5_jNS1_19radix_merge_compareILb1ELb0EsNS0_19identity_decomposerEEEEE10hipError_tT0_T1_T2_jT3_P12ihipStream_tbPNSt15iterator_traitsISE_E10value_typeEPNSK_ISF_E10value_typeEPSG_NS1_7vsmem_tEENKUlT_SE_SF_SG_E_clIS8_S8_S9_S9_EESD_ST_SE_SF_SG_EUlST_E_NS1_11comp_targetILNS1_3genE5ELNS1_11target_archE942ELNS1_3gpuE9ELNS1_3repE0EEENS1_48merge_mergepath_partition_config_static_selectorELNS0_4arch9wavefront6targetE0EEEvSF_.private_seg_size, 0
	.set _ZN7rocprim17ROCPRIM_400000_NS6detail17trampoline_kernelINS0_14default_configENS1_38merge_sort_block_merge_config_selectorIsNS0_10empty_typeEEEZZNS1_27merge_sort_block_merge_implIS3_PsPS5_jNS1_19radix_merge_compareILb1ELb0EsNS0_19identity_decomposerEEEEE10hipError_tT0_T1_T2_jT3_P12ihipStream_tbPNSt15iterator_traitsISE_E10value_typeEPNSK_ISF_E10value_typeEPSG_NS1_7vsmem_tEENKUlT_SE_SF_SG_E_clIS8_S8_S9_S9_EESD_ST_SE_SF_SG_EUlST_E_NS1_11comp_targetILNS1_3genE5ELNS1_11target_archE942ELNS1_3gpuE9ELNS1_3repE0EEENS1_48merge_mergepath_partition_config_static_selectorELNS0_4arch9wavefront6targetE0EEEvSF_.uses_vcc, 0
	.set _ZN7rocprim17ROCPRIM_400000_NS6detail17trampoline_kernelINS0_14default_configENS1_38merge_sort_block_merge_config_selectorIsNS0_10empty_typeEEEZZNS1_27merge_sort_block_merge_implIS3_PsPS5_jNS1_19radix_merge_compareILb1ELb0EsNS0_19identity_decomposerEEEEE10hipError_tT0_T1_T2_jT3_P12ihipStream_tbPNSt15iterator_traitsISE_E10value_typeEPNSK_ISF_E10value_typeEPSG_NS1_7vsmem_tEENKUlT_SE_SF_SG_E_clIS8_S8_S9_S9_EESD_ST_SE_SF_SG_EUlST_E_NS1_11comp_targetILNS1_3genE5ELNS1_11target_archE942ELNS1_3gpuE9ELNS1_3repE0EEENS1_48merge_mergepath_partition_config_static_selectorELNS0_4arch9wavefront6targetE0EEEvSF_.uses_flat_scratch, 0
	.set _ZN7rocprim17ROCPRIM_400000_NS6detail17trampoline_kernelINS0_14default_configENS1_38merge_sort_block_merge_config_selectorIsNS0_10empty_typeEEEZZNS1_27merge_sort_block_merge_implIS3_PsPS5_jNS1_19radix_merge_compareILb1ELb0EsNS0_19identity_decomposerEEEEE10hipError_tT0_T1_T2_jT3_P12ihipStream_tbPNSt15iterator_traitsISE_E10value_typeEPNSK_ISF_E10value_typeEPSG_NS1_7vsmem_tEENKUlT_SE_SF_SG_E_clIS8_S8_S9_S9_EESD_ST_SE_SF_SG_EUlST_E_NS1_11comp_targetILNS1_3genE5ELNS1_11target_archE942ELNS1_3gpuE9ELNS1_3repE0EEENS1_48merge_mergepath_partition_config_static_selectorELNS0_4arch9wavefront6targetE0EEEvSF_.has_dyn_sized_stack, 0
	.set _ZN7rocprim17ROCPRIM_400000_NS6detail17trampoline_kernelINS0_14default_configENS1_38merge_sort_block_merge_config_selectorIsNS0_10empty_typeEEEZZNS1_27merge_sort_block_merge_implIS3_PsPS5_jNS1_19radix_merge_compareILb1ELb0EsNS0_19identity_decomposerEEEEE10hipError_tT0_T1_T2_jT3_P12ihipStream_tbPNSt15iterator_traitsISE_E10value_typeEPNSK_ISF_E10value_typeEPSG_NS1_7vsmem_tEENKUlT_SE_SF_SG_E_clIS8_S8_S9_S9_EESD_ST_SE_SF_SG_EUlST_E_NS1_11comp_targetILNS1_3genE5ELNS1_11target_archE942ELNS1_3gpuE9ELNS1_3repE0EEENS1_48merge_mergepath_partition_config_static_selectorELNS0_4arch9wavefront6targetE0EEEvSF_.has_recursion, 0
	.set _ZN7rocprim17ROCPRIM_400000_NS6detail17trampoline_kernelINS0_14default_configENS1_38merge_sort_block_merge_config_selectorIsNS0_10empty_typeEEEZZNS1_27merge_sort_block_merge_implIS3_PsPS5_jNS1_19radix_merge_compareILb1ELb0EsNS0_19identity_decomposerEEEEE10hipError_tT0_T1_T2_jT3_P12ihipStream_tbPNSt15iterator_traitsISE_E10value_typeEPNSK_ISF_E10value_typeEPSG_NS1_7vsmem_tEENKUlT_SE_SF_SG_E_clIS8_S8_S9_S9_EESD_ST_SE_SF_SG_EUlST_E_NS1_11comp_targetILNS1_3genE5ELNS1_11target_archE942ELNS1_3gpuE9ELNS1_3repE0EEENS1_48merge_mergepath_partition_config_static_selectorELNS0_4arch9wavefront6targetE0EEEvSF_.has_indirect_call, 0
	.section	.AMDGPU.csdata,"",@progbits
; Kernel info:
; codeLenInByte = 0
; TotalNumSgprs: 0
; NumVgprs: 0
; ScratchSize: 0
; MemoryBound: 0
; FloatMode: 240
; IeeeMode: 1
; LDSByteSize: 0 bytes/workgroup (compile time only)
; SGPRBlocks: 0
; VGPRBlocks: 0
; NumSGPRsForWavesPerEU: 1
; NumVGPRsForWavesPerEU: 1
; NamedBarCnt: 0
; Occupancy: 16
; WaveLimiterHint : 0
; COMPUTE_PGM_RSRC2:SCRATCH_EN: 0
; COMPUTE_PGM_RSRC2:USER_SGPR: 2
; COMPUTE_PGM_RSRC2:TRAP_HANDLER: 0
; COMPUTE_PGM_RSRC2:TGID_X_EN: 1
; COMPUTE_PGM_RSRC2:TGID_Y_EN: 0
; COMPUTE_PGM_RSRC2:TGID_Z_EN: 0
; COMPUTE_PGM_RSRC2:TIDIG_COMP_CNT: 0
	.section	.text._ZN7rocprim17ROCPRIM_400000_NS6detail17trampoline_kernelINS0_14default_configENS1_38merge_sort_block_merge_config_selectorIsNS0_10empty_typeEEEZZNS1_27merge_sort_block_merge_implIS3_PsPS5_jNS1_19radix_merge_compareILb1ELb0EsNS0_19identity_decomposerEEEEE10hipError_tT0_T1_T2_jT3_P12ihipStream_tbPNSt15iterator_traitsISE_E10value_typeEPNSK_ISF_E10value_typeEPSG_NS1_7vsmem_tEENKUlT_SE_SF_SG_E_clIS8_S8_S9_S9_EESD_ST_SE_SF_SG_EUlST_E_NS1_11comp_targetILNS1_3genE4ELNS1_11target_archE910ELNS1_3gpuE8ELNS1_3repE0EEENS1_48merge_mergepath_partition_config_static_selectorELNS0_4arch9wavefront6targetE0EEEvSF_,"axG",@progbits,_ZN7rocprim17ROCPRIM_400000_NS6detail17trampoline_kernelINS0_14default_configENS1_38merge_sort_block_merge_config_selectorIsNS0_10empty_typeEEEZZNS1_27merge_sort_block_merge_implIS3_PsPS5_jNS1_19radix_merge_compareILb1ELb0EsNS0_19identity_decomposerEEEEE10hipError_tT0_T1_T2_jT3_P12ihipStream_tbPNSt15iterator_traitsISE_E10value_typeEPNSK_ISF_E10value_typeEPSG_NS1_7vsmem_tEENKUlT_SE_SF_SG_E_clIS8_S8_S9_S9_EESD_ST_SE_SF_SG_EUlST_E_NS1_11comp_targetILNS1_3genE4ELNS1_11target_archE910ELNS1_3gpuE8ELNS1_3repE0EEENS1_48merge_mergepath_partition_config_static_selectorELNS0_4arch9wavefront6targetE0EEEvSF_,comdat
	.protected	_ZN7rocprim17ROCPRIM_400000_NS6detail17trampoline_kernelINS0_14default_configENS1_38merge_sort_block_merge_config_selectorIsNS0_10empty_typeEEEZZNS1_27merge_sort_block_merge_implIS3_PsPS5_jNS1_19radix_merge_compareILb1ELb0EsNS0_19identity_decomposerEEEEE10hipError_tT0_T1_T2_jT3_P12ihipStream_tbPNSt15iterator_traitsISE_E10value_typeEPNSK_ISF_E10value_typeEPSG_NS1_7vsmem_tEENKUlT_SE_SF_SG_E_clIS8_S8_S9_S9_EESD_ST_SE_SF_SG_EUlST_E_NS1_11comp_targetILNS1_3genE4ELNS1_11target_archE910ELNS1_3gpuE8ELNS1_3repE0EEENS1_48merge_mergepath_partition_config_static_selectorELNS0_4arch9wavefront6targetE0EEEvSF_ ; -- Begin function _ZN7rocprim17ROCPRIM_400000_NS6detail17trampoline_kernelINS0_14default_configENS1_38merge_sort_block_merge_config_selectorIsNS0_10empty_typeEEEZZNS1_27merge_sort_block_merge_implIS3_PsPS5_jNS1_19radix_merge_compareILb1ELb0EsNS0_19identity_decomposerEEEEE10hipError_tT0_T1_T2_jT3_P12ihipStream_tbPNSt15iterator_traitsISE_E10value_typeEPNSK_ISF_E10value_typeEPSG_NS1_7vsmem_tEENKUlT_SE_SF_SG_E_clIS8_S8_S9_S9_EESD_ST_SE_SF_SG_EUlST_E_NS1_11comp_targetILNS1_3genE4ELNS1_11target_archE910ELNS1_3gpuE8ELNS1_3repE0EEENS1_48merge_mergepath_partition_config_static_selectorELNS0_4arch9wavefront6targetE0EEEvSF_
	.globl	_ZN7rocprim17ROCPRIM_400000_NS6detail17trampoline_kernelINS0_14default_configENS1_38merge_sort_block_merge_config_selectorIsNS0_10empty_typeEEEZZNS1_27merge_sort_block_merge_implIS3_PsPS5_jNS1_19radix_merge_compareILb1ELb0EsNS0_19identity_decomposerEEEEE10hipError_tT0_T1_T2_jT3_P12ihipStream_tbPNSt15iterator_traitsISE_E10value_typeEPNSK_ISF_E10value_typeEPSG_NS1_7vsmem_tEENKUlT_SE_SF_SG_E_clIS8_S8_S9_S9_EESD_ST_SE_SF_SG_EUlST_E_NS1_11comp_targetILNS1_3genE4ELNS1_11target_archE910ELNS1_3gpuE8ELNS1_3repE0EEENS1_48merge_mergepath_partition_config_static_selectorELNS0_4arch9wavefront6targetE0EEEvSF_
	.p2align	8
	.type	_ZN7rocprim17ROCPRIM_400000_NS6detail17trampoline_kernelINS0_14default_configENS1_38merge_sort_block_merge_config_selectorIsNS0_10empty_typeEEEZZNS1_27merge_sort_block_merge_implIS3_PsPS5_jNS1_19radix_merge_compareILb1ELb0EsNS0_19identity_decomposerEEEEE10hipError_tT0_T1_T2_jT3_P12ihipStream_tbPNSt15iterator_traitsISE_E10value_typeEPNSK_ISF_E10value_typeEPSG_NS1_7vsmem_tEENKUlT_SE_SF_SG_E_clIS8_S8_S9_S9_EESD_ST_SE_SF_SG_EUlST_E_NS1_11comp_targetILNS1_3genE4ELNS1_11target_archE910ELNS1_3gpuE8ELNS1_3repE0EEENS1_48merge_mergepath_partition_config_static_selectorELNS0_4arch9wavefront6targetE0EEEvSF_,@function
_ZN7rocprim17ROCPRIM_400000_NS6detail17trampoline_kernelINS0_14default_configENS1_38merge_sort_block_merge_config_selectorIsNS0_10empty_typeEEEZZNS1_27merge_sort_block_merge_implIS3_PsPS5_jNS1_19radix_merge_compareILb1ELb0EsNS0_19identity_decomposerEEEEE10hipError_tT0_T1_T2_jT3_P12ihipStream_tbPNSt15iterator_traitsISE_E10value_typeEPNSK_ISF_E10value_typeEPSG_NS1_7vsmem_tEENKUlT_SE_SF_SG_E_clIS8_S8_S9_S9_EESD_ST_SE_SF_SG_EUlST_E_NS1_11comp_targetILNS1_3genE4ELNS1_11target_archE910ELNS1_3gpuE8ELNS1_3repE0EEENS1_48merge_mergepath_partition_config_static_selectorELNS0_4arch9wavefront6targetE0EEEvSF_: ; @_ZN7rocprim17ROCPRIM_400000_NS6detail17trampoline_kernelINS0_14default_configENS1_38merge_sort_block_merge_config_selectorIsNS0_10empty_typeEEEZZNS1_27merge_sort_block_merge_implIS3_PsPS5_jNS1_19radix_merge_compareILb1ELb0EsNS0_19identity_decomposerEEEEE10hipError_tT0_T1_T2_jT3_P12ihipStream_tbPNSt15iterator_traitsISE_E10value_typeEPNSK_ISF_E10value_typeEPSG_NS1_7vsmem_tEENKUlT_SE_SF_SG_E_clIS8_S8_S9_S9_EESD_ST_SE_SF_SG_EUlST_E_NS1_11comp_targetILNS1_3genE4ELNS1_11target_archE910ELNS1_3gpuE8ELNS1_3repE0EEENS1_48merge_mergepath_partition_config_static_selectorELNS0_4arch9wavefront6targetE0EEEvSF_
; %bb.0:
	.section	.rodata,"a",@progbits
	.p2align	6, 0x0
	.amdhsa_kernel _ZN7rocprim17ROCPRIM_400000_NS6detail17trampoline_kernelINS0_14default_configENS1_38merge_sort_block_merge_config_selectorIsNS0_10empty_typeEEEZZNS1_27merge_sort_block_merge_implIS3_PsPS5_jNS1_19radix_merge_compareILb1ELb0EsNS0_19identity_decomposerEEEEE10hipError_tT0_T1_T2_jT3_P12ihipStream_tbPNSt15iterator_traitsISE_E10value_typeEPNSK_ISF_E10value_typeEPSG_NS1_7vsmem_tEENKUlT_SE_SF_SG_E_clIS8_S8_S9_S9_EESD_ST_SE_SF_SG_EUlST_E_NS1_11comp_targetILNS1_3genE4ELNS1_11target_archE910ELNS1_3gpuE8ELNS1_3repE0EEENS1_48merge_mergepath_partition_config_static_selectorELNS0_4arch9wavefront6targetE0EEEvSF_
		.amdhsa_group_segment_fixed_size 0
		.amdhsa_private_segment_fixed_size 0
		.amdhsa_kernarg_size 40
		.amdhsa_user_sgpr_count 2
		.amdhsa_user_sgpr_dispatch_ptr 0
		.amdhsa_user_sgpr_queue_ptr 0
		.amdhsa_user_sgpr_kernarg_segment_ptr 1
		.amdhsa_user_sgpr_dispatch_id 0
		.amdhsa_user_sgpr_kernarg_preload_length 0
		.amdhsa_user_sgpr_kernarg_preload_offset 0
		.amdhsa_user_sgpr_private_segment_size 0
		.amdhsa_wavefront_size32 1
		.amdhsa_uses_dynamic_stack 0
		.amdhsa_enable_private_segment 0
		.amdhsa_system_sgpr_workgroup_id_x 1
		.amdhsa_system_sgpr_workgroup_id_y 0
		.amdhsa_system_sgpr_workgroup_id_z 0
		.amdhsa_system_sgpr_workgroup_info 0
		.amdhsa_system_vgpr_workitem_id 0
		.amdhsa_next_free_vgpr 1
		.amdhsa_next_free_sgpr 1
		.amdhsa_named_barrier_count 0
		.amdhsa_reserve_vcc 0
		.amdhsa_float_round_mode_32 0
		.amdhsa_float_round_mode_16_64 0
		.amdhsa_float_denorm_mode_32 3
		.amdhsa_float_denorm_mode_16_64 3
		.amdhsa_fp16_overflow 0
		.amdhsa_memory_ordered 1
		.amdhsa_forward_progress 1
		.amdhsa_inst_pref_size 0
		.amdhsa_round_robin_scheduling 0
		.amdhsa_exception_fp_ieee_invalid_op 0
		.amdhsa_exception_fp_denorm_src 0
		.amdhsa_exception_fp_ieee_div_zero 0
		.amdhsa_exception_fp_ieee_overflow 0
		.amdhsa_exception_fp_ieee_underflow 0
		.amdhsa_exception_fp_ieee_inexact 0
		.amdhsa_exception_int_div_zero 0
	.end_amdhsa_kernel
	.section	.text._ZN7rocprim17ROCPRIM_400000_NS6detail17trampoline_kernelINS0_14default_configENS1_38merge_sort_block_merge_config_selectorIsNS0_10empty_typeEEEZZNS1_27merge_sort_block_merge_implIS3_PsPS5_jNS1_19radix_merge_compareILb1ELb0EsNS0_19identity_decomposerEEEEE10hipError_tT0_T1_T2_jT3_P12ihipStream_tbPNSt15iterator_traitsISE_E10value_typeEPNSK_ISF_E10value_typeEPSG_NS1_7vsmem_tEENKUlT_SE_SF_SG_E_clIS8_S8_S9_S9_EESD_ST_SE_SF_SG_EUlST_E_NS1_11comp_targetILNS1_3genE4ELNS1_11target_archE910ELNS1_3gpuE8ELNS1_3repE0EEENS1_48merge_mergepath_partition_config_static_selectorELNS0_4arch9wavefront6targetE0EEEvSF_,"axG",@progbits,_ZN7rocprim17ROCPRIM_400000_NS6detail17trampoline_kernelINS0_14default_configENS1_38merge_sort_block_merge_config_selectorIsNS0_10empty_typeEEEZZNS1_27merge_sort_block_merge_implIS3_PsPS5_jNS1_19radix_merge_compareILb1ELb0EsNS0_19identity_decomposerEEEEE10hipError_tT0_T1_T2_jT3_P12ihipStream_tbPNSt15iterator_traitsISE_E10value_typeEPNSK_ISF_E10value_typeEPSG_NS1_7vsmem_tEENKUlT_SE_SF_SG_E_clIS8_S8_S9_S9_EESD_ST_SE_SF_SG_EUlST_E_NS1_11comp_targetILNS1_3genE4ELNS1_11target_archE910ELNS1_3gpuE8ELNS1_3repE0EEENS1_48merge_mergepath_partition_config_static_selectorELNS0_4arch9wavefront6targetE0EEEvSF_,comdat
.Lfunc_end523:
	.size	_ZN7rocprim17ROCPRIM_400000_NS6detail17trampoline_kernelINS0_14default_configENS1_38merge_sort_block_merge_config_selectorIsNS0_10empty_typeEEEZZNS1_27merge_sort_block_merge_implIS3_PsPS5_jNS1_19radix_merge_compareILb1ELb0EsNS0_19identity_decomposerEEEEE10hipError_tT0_T1_T2_jT3_P12ihipStream_tbPNSt15iterator_traitsISE_E10value_typeEPNSK_ISF_E10value_typeEPSG_NS1_7vsmem_tEENKUlT_SE_SF_SG_E_clIS8_S8_S9_S9_EESD_ST_SE_SF_SG_EUlST_E_NS1_11comp_targetILNS1_3genE4ELNS1_11target_archE910ELNS1_3gpuE8ELNS1_3repE0EEENS1_48merge_mergepath_partition_config_static_selectorELNS0_4arch9wavefront6targetE0EEEvSF_, .Lfunc_end523-_ZN7rocprim17ROCPRIM_400000_NS6detail17trampoline_kernelINS0_14default_configENS1_38merge_sort_block_merge_config_selectorIsNS0_10empty_typeEEEZZNS1_27merge_sort_block_merge_implIS3_PsPS5_jNS1_19radix_merge_compareILb1ELb0EsNS0_19identity_decomposerEEEEE10hipError_tT0_T1_T2_jT3_P12ihipStream_tbPNSt15iterator_traitsISE_E10value_typeEPNSK_ISF_E10value_typeEPSG_NS1_7vsmem_tEENKUlT_SE_SF_SG_E_clIS8_S8_S9_S9_EESD_ST_SE_SF_SG_EUlST_E_NS1_11comp_targetILNS1_3genE4ELNS1_11target_archE910ELNS1_3gpuE8ELNS1_3repE0EEENS1_48merge_mergepath_partition_config_static_selectorELNS0_4arch9wavefront6targetE0EEEvSF_
                                        ; -- End function
	.set _ZN7rocprim17ROCPRIM_400000_NS6detail17trampoline_kernelINS0_14default_configENS1_38merge_sort_block_merge_config_selectorIsNS0_10empty_typeEEEZZNS1_27merge_sort_block_merge_implIS3_PsPS5_jNS1_19radix_merge_compareILb1ELb0EsNS0_19identity_decomposerEEEEE10hipError_tT0_T1_T2_jT3_P12ihipStream_tbPNSt15iterator_traitsISE_E10value_typeEPNSK_ISF_E10value_typeEPSG_NS1_7vsmem_tEENKUlT_SE_SF_SG_E_clIS8_S8_S9_S9_EESD_ST_SE_SF_SG_EUlST_E_NS1_11comp_targetILNS1_3genE4ELNS1_11target_archE910ELNS1_3gpuE8ELNS1_3repE0EEENS1_48merge_mergepath_partition_config_static_selectorELNS0_4arch9wavefront6targetE0EEEvSF_.num_vgpr, 0
	.set _ZN7rocprim17ROCPRIM_400000_NS6detail17trampoline_kernelINS0_14default_configENS1_38merge_sort_block_merge_config_selectorIsNS0_10empty_typeEEEZZNS1_27merge_sort_block_merge_implIS3_PsPS5_jNS1_19radix_merge_compareILb1ELb0EsNS0_19identity_decomposerEEEEE10hipError_tT0_T1_T2_jT3_P12ihipStream_tbPNSt15iterator_traitsISE_E10value_typeEPNSK_ISF_E10value_typeEPSG_NS1_7vsmem_tEENKUlT_SE_SF_SG_E_clIS8_S8_S9_S9_EESD_ST_SE_SF_SG_EUlST_E_NS1_11comp_targetILNS1_3genE4ELNS1_11target_archE910ELNS1_3gpuE8ELNS1_3repE0EEENS1_48merge_mergepath_partition_config_static_selectorELNS0_4arch9wavefront6targetE0EEEvSF_.num_agpr, 0
	.set _ZN7rocprim17ROCPRIM_400000_NS6detail17trampoline_kernelINS0_14default_configENS1_38merge_sort_block_merge_config_selectorIsNS0_10empty_typeEEEZZNS1_27merge_sort_block_merge_implIS3_PsPS5_jNS1_19radix_merge_compareILb1ELb0EsNS0_19identity_decomposerEEEEE10hipError_tT0_T1_T2_jT3_P12ihipStream_tbPNSt15iterator_traitsISE_E10value_typeEPNSK_ISF_E10value_typeEPSG_NS1_7vsmem_tEENKUlT_SE_SF_SG_E_clIS8_S8_S9_S9_EESD_ST_SE_SF_SG_EUlST_E_NS1_11comp_targetILNS1_3genE4ELNS1_11target_archE910ELNS1_3gpuE8ELNS1_3repE0EEENS1_48merge_mergepath_partition_config_static_selectorELNS0_4arch9wavefront6targetE0EEEvSF_.numbered_sgpr, 0
	.set _ZN7rocprim17ROCPRIM_400000_NS6detail17trampoline_kernelINS0_14default_configENS1_38merge_sort_block_merge_config_selectorIsNS0_10empty_typeEEEZZNS1_27merge_sort_block_merge_implIS3_PsPS5_jNS1_19radix_merge_compareILb1ELb0EsNS0_19identity_decomposerEEEEE10hipError_tT0_T1_T2_jT3_P12ihipStream_tbPNSt15iterator_traitsISE_E10value_typeEPNSK_ISF_E10value_typeEPSG_NS1_7vsmem_tEENKUlT_SE_SF_SG_E_clIS8_S8_S9_S9_EESD_ST_SE_SF_SG_EUlST_E_NS1_11comp_targetILNS1_3genE4ELNS1_11target_archE910ELNS1_3gpuE8ELNS1_3repE0EEENS1_48merge_mergepath_partition_config_static_selectorELNS0_4arch9wavefront6targetE0EEEvSF_.num_named_barrier, 0
	.set _ZN7rocprim17ROCPRIM_400000_NS6detail17trampoline_kernelINS0_14default_configENS1_38merge_sort_block_merge_config_selectorIsNS0_10empty_typeEEEZZNS1_27merge_sort_block_merge_implIS3_PsPS5_jNS1_19radix_merge_compareILb1ELb0EsNS0_19identity_decomposerEEEEE10hipError_tT0_T1_T2_jT3_P12ihipStream_tbPNSt15iterator_traitsISE_E10value_typeEPNSK_ISF_E10value_typeEPSG_NS1_7vsmem_tEENKUlT_SE_SF_SG_E_clIS8_S8_S9_S9_EESD_ST_SE_SF_SG_EUlST_E_NS1_11comp_targetILNS1_3genE4ELNS1_11target_archE910ELNS1_3gpuE8ELNS1_3repE0EEENS1_48merge_mergepath_partition_config_static_selectorELNS0_4arch9wavefront6targetE0EEEvSF_.private_seg_size, 0
	.set _ZN7rocprim17ROCPRIM_400000_NS6detail17trampoline_kernelINS0_14default_configENS1_38merge_sort_block_merge_config_selectorIsNS0_10empty_typeEEEZZNS1_27merge_sort_block_merge_implIS3_PsPS5_jNS1_19radix_merge_compareILb1ELb0EsNS0_19identity_decomposerEEEEE10hipError_tT0_T1_T2_jT3_P12ihipStream_tbPNSt15iterator_traitsISE_E10value_typeEPNSK_ISF_E10value_typeEPSG_NS1_7vsmem_tEENKUlT_SE_SF_SG_E_clIS8_S8_S9_S9_EESD_ST_SE_SF_SG_EUlST_E_NS1_11comp_targetILNS1_3genE4ELNS1_11target_archE910ELNS1_3gpuE8ELNS1_3repE0EEENS1_48merge_mergepath_partition_config_static_selectorELNS0_4arch9wavefront6targetE0EEEvSF_.uses_vcc, 0
	.set _ZN7rocprim17ROCPRIM_400000_NS6detail17trampoline_kernelINS0_14default_configENS1_38merge_sort_block_merge_config_selectorIsNS0_10empty_typeEEEZZNS1_27merge_sort_block_merge_implIS3_PsPS5_jNS1_19radix_merge_compareILb1ELb0EsNS0_19identity_decomposerEEEEE10hipError_tT0_T1_T2_jT3_P12ihipStream_tbPNSt15iterator_traitsISE_E10value_typeEPNSK_ISF_E10value_typeEPSG_NS1_7vsmem_tEENKUlT_SE_SF_SG_E_clIS8_S8_S9_S9_EESD_ST_SE_SF_SG_EUlST_E_NS1_11comp_targetILNS1_3genE4ELNS1_11target_archE910ELNS1_3gpuE8ELNS1_3repE0EEENS1_48merge_mergepath_partition_config_static_selectorELNS0_4arch9wavefront6targetE0EEEvSF_.uses_flat_scratch, 0
	.set _ZN7rocprim17ROCPRIM_400000_NS6detail17trampoline_kernelINS0_14default_configENS1_38merge_sort_block_merge_config_selectorIsNS0_10empty_typeEEEZZNS1_27merge_sort_block_merge_implIS3_PsPS5_jNS1_19radix_merge_compareILb1ELb0EsNS0_19identity_decomposerEEEEE10hipError_tT0_T1_T2_jT3_P12ihipStream_tbPNSt15iterator_traitsISE_E10value_typeEPNSK_ISF_E10value_typeEPSG_NS1_7vsmem_tEENKUlT_SE_SF_SG_E_clIS8_S8_S9_S9_EESD_ST_SE_SF_SG_EUlST_E_NS1_11comp_targetILNS1_3genE4ELNS1_11target_archE910ELNS1_3gpuE8ELNS1_3repE0EEENS1_48merge_mergepath_partition_config_static_selectorELNS0_4arch9wavefront6targetE0EEEvSF_.has_dyn_sized_stack, 0
	.set _ZN7rocprim17ROCPRIM_400000_NS6detail17trampoline_kernelINS0_14default_configENS1_38merge_sort_block_merge_config_selectorIsNS0_10empty_typeEEEZZNS1_27merge_sort_block_merge_implIS3_PsPS5_jNS1_19radix_merge_compareILb1ELb0EsNS0_19identity_decomposerEEEEE10hipError_tT0_T1_T2_jT3_P12ihipStream_tbPNSt15iterator_traitsISE_E10value_typeEPNSK_ISF_E10value_typeEPSG_NS1_7vsmem_tEENKUlT_SE_SF_SG_E_clIS8_S8_S9_S9_EESD_ST_SE_SF_SG_EUlST_E_NS1_11comp_targetILNS1_3genE4ELNS1_11target_archE910ELNS1_3gpuE8ELNS1_3repE0EEENS1_48merge_mergepath_partition_config_static_selectorELNS0_4arch9wavefront6targetE0EEEvSF_.has_recursion, 0
	.set _ZN7rocprim17ROCPRIM_400000_NS6detail17trampoline_kernelINS0_14default_configENS1_38merge_sort_block_merge_config_selectorIsNS0_10empty_typeEEEZZNS1_27merge_sort_block_merge_implIS3_PsPS5_jNS1_19radix_merge_compareILb1ELb0EsNS0_19identity_decomposerEEEEE10hipError_tT0_T1_T2_jT3_P12ihipStream_tbPNSt15iterator_traitsISE_E10value_typeEPNSK_ISF_E10value_typeEPSG_NS1_7vsmem_tEENKUlT_SE_SF_SG_E_clIS8_S8_S9_S9_EESD_ST_SE_SF_SG_EUlST_E_NS1_11comp_targetILNS1_3genE4ELNS1_11target_archE910ELNS1_3gpuE8ELNS1_3repE0EEENS1_48merge_mergepath_partition_config_static_selectorELNS0_4arch9wavefront6targetE0EEEvSF_.has_indirect_call, 0
	.section	.AMDGPU.csdata,"",@progbits
; Kernel info:
; codeLenInByte = 0
; TotalNumSgprs: 0
; NumVgprs: 0
; ScratchSize: 0
; MemoryBound: 0
; FloatMode: 240
; IeeeMode: 1
; LDSByteSize: 0 bytes/workgroup (compile time only)
; SGPRBlocks: 0
; VGPRBlocks: 0
; NumSGPRsForWavesPerEU: 1
; NumVGPRsForWavesPerEU: 1
; NamedBarCnt: 0
; Occupancy: 16
; WaveLimiterHint : 0
; COMPUTE_PGM_RSRC2:SCRATCH_EN: 0
; COMPUTE_PGM_RSRC2:USER_SGPR: 2
; COMPUTE_PGM_RSRC2:TRAP_HANDLER: 0
; COMPUTE_PGM_RSRC2:TGID_X_EN: 1
; COMPUTE_PGM_RSRC2:TGID_Y_EN: 0
; COMPUTE_PGM_RSRC2:TGID_Z_EN: 0
; COMPUTE_PGM_RSRC2:TIDIG_COMP_CNT: 0
	.section	.text._ZN7rocprim17ROCPRIM_400000_NS6detail17trampoline_kernelINS0_14default_configENS1_38merge_sort_block_merge_config_selectorIsNS0_10empty_typeEEEZZNS1_27merge_sort_block_merge_implIS3_PsPS5_jNS1_19radix_merge_compareILb1ELb0EsNS0_19identity_decomposerEEEEE10hipError_tT0_T1_T2_jT3_P12ihipStream_tbPNSt15iterator_traitsISE_E10value_typeEPNSK_ISF_E10value_typeEPSG_NS1_7vsmem_tEENKUlT_SE_SF_SG_E_clIS8_S8_S9_S9_EESD_ST_SE_SF_SG_EUlST_E_NS1_11comp_targetILNS1_3genE3ELNS1_11target_archE908ELNS1_3gpuE7ELNS1_3repE0EEENS1_48merge_mergepath_partition_config_static_selectorELNS0_4arch9wavefront6targetE0EEEvSF_,"axG",@progbits,_ZN7rocprim17ROCPRIM_400000_NS6detail17trampoline_kernelINS0_14default_configENS1_38merge_sort_block_merge_config_selectorIsNS0_10empty_typeEEEZZNS1_27merge_sort_block_merge_implIS3_PsPS5_jNS1_19radix_merge_compareILb1ELb0EsNS0_19identity_decomposerEEEEE10hipError_tT0_T1_T2_jT3_P12ihipStream_tbPNSt15iterator_traitsISE_E10value_typeEPNSK_ISF_E10value_typeEPSG_NS1_7vsmem_tEENKUlT_SE_SF_SG_E_clIS8_S8_S9_S9_EESD_ST_SE_SF_SG_EUlST_E_NS1_11comp_targetILNS1_3genE3ELNS1_11target_archE908ELNS1_3gpuE7ELNS1_3repE0EEENS1_48merge_mergepath_partition_config_static_selectorELNS0_4arch9wavefront6targetE0EEEvSF_,comdat
	.protected	_ZN7rocprim17ROCPRIM_400000_NS6detail17trampoline_kernelINS0_14default_configENS1_38merge_sort_block_merge_config_selectorIsNS0_10empty_typeEEEZZNS1_27merge_sort_block_merge_implIS3_PsPS5_jNS1_19radix_merge_compareILb1ELb0EsNS0_19identity_decomposerEEEEE10hipError_tT0_T1_T2_jT3_P12ihipStream_tbPNSt15iterator_traitsISE_E10value_typeEPNSK_ISF_E10value_typeEPSG_NS1_7vsmem_tEENKUlT_SE_SF_SG_E_clIS8_S8_S9_S9_EESD_ST_SE_SF_SG_EUlST_E_NS1_11comp_targetILNS1_3genE3ELNS1_11target_archE908ELNS1_3gpuE7ELNS1_3repE0EEENS1_48merge_mergepath_partition_config_static_selectorELNS0_4arch9wavefront6targetE0EEEvSF_ ; -- Begin function _ZN7rocprim17ROCPRIM_400000_NS6detail17trampoline_kernelINS0_14default_configENS1_38merge_sort_block_merge_config_selectorIsNS0_10empty_typeEEEZZNS1_27merge_sort_block_merge_implIS3_PsPS5_jNS1_19radix_merge_compareILb1ELb0EsNS0_19identity_decomposerEEEEE10hipError_tT0_T1_T2_jT3_P12ihipStream_tbPNSt15iterator_traitsISE_E10value_typeEPNSK_ISF_E10value_typeEPSG_NS1_7vsmem_tEENKUlT_SE_SF_SG_E_clIS8_S8_S9_S9_EESD_ST_SE_SF_SG_EUlST_E_NS1_11comp_targetILNS1_3genE3ELNS1_11target_archE908ELNS1_3gpuE7ELNS1_3repE0EEENS1_48merge_mergepath_partition_config_static_selectorELNS0_4arch9wavefront6targetE0EEEvSF_
	.globl	_ZN7rocprim17ROCPRIM_400000_NS6detail17trampoline_kernelINS0_14default_configENS1_38merge_sort_block_merge_config_selectorIsNS0_10empty_typeEEEZZNS1_27merge_sort_block_merge_implIS3_PsPS5_jNS1_19radix_merge_compareILb1ELb0EsNS0_19identity_decomposerEEEEE10hipError_tT0_T1_T2_jT3_P12ihipStream_tbPNSt15iterator_traitsISE_E10value_typeEPNSK_ISF_E10value_typeEPSG_NS1_7vsmem_tEENKUlT_SE_SF_SG_E_clIS8_S8_S9_S9_EESD_ST_SE_SF_SG_EUlST_E_NS1_11comp_targetILNS1_3genE3ELNS1_11target_archE908ELNS1_3gpuE7ELNS1_3repE0EEENS1_48merge_mergepath_partition_config_static_selectorELNS0_4arch9wavefront6targetE0EEEvSF_
	.p2align	8
	.type	_ZN7rocprim17ROCPRIM_400000_NS6detail17trampoline_kernelINS0_14default_configENS1_38merge_sort_block_merge_config_selectorIsNS0_10empty_typeEEEZZNS1_27merge_sort_block_merge_implIS3_PsPS5_jNS1_19radix_merge_compareILb1ELb0EsNS0_19identity_decomposerEEEEE10hipError_tT0_T1_T2_jT3_P12ihipStream_tbPNSt15iterator_traitsISE_E10value_typeEPNSK_ISF_E10value_typeEPSG_NS1_7vsmem_tEENKUlT_SE_SF_SG_E_clIS8_S8_S9_S9_EESD_ST_SE_SF_SG_EUlST_E_NS1_11comp_targetILNS1_3genE3ELNS1_11target_archE908ELNS1_3gpuE7ELNS1_3repE0EEENS1_48merge_mergepath_partition_config_static_selectorELNS0_4arch9wavefront6targetE0EEEvSF_,@function
_ZN7rocprim17ROCPRIM_400000_NS6detail17trampoline_kernelINS0_14default_configENS1_38merge_sort_block_merge_config_selectorIsNS0_10empty_typeEEEZZNS1_27merge_sort_block_merge_implIS3_PsPS5_jNS1_19radix_merge_compareILb1ELb0EsNS0_19identity_decomposerEEEEE10hipError_tT0_T1_T2_jT3_P12ihipStream_tbPNSt15iterator_traitsISE_E10value_typeEPNSK_ISF_E10value_typeEPSG_NS1_7vsmem_tEENKUlT_SE_SF_SG_E_clIS8_S8_S9_S9_EESD_ST_SE_SF_SG_EUlST_E_NS1_11comp_targetILNS1_3genE3ELNS1_11target_archE908ELNS1_3gpuE7ELNS1_3repE0EEENS1_48merge_mergepath_partition_config_static_selectorELNS0_4arch9wavefront6targetE0EEEvSF_: ; @_ZN7rocprim17ROCPRIM_400000_NS6detail17trampoline_kernelINS0_14default_configENS1_38merge_sort_block_merge_config_selectorIsNS0_10empty_typeEEEZZNS1_27merge_sort_block_merge_implIS3_PsPS5_jNS1_19radix_merge_compareILb1ELb0EsNS0_19identity_decomposerEEEEE10hipError_tT0_T1_T2_jT3_P12ihipStream_tbPNSt15iterator_traitsISE_E10value_typeEPNSK_ISF_E10value_typeEPSG_NS1_7vsmem_tEENKUlT_SE_SF_SG_E_clIS8_S8_S9_S9_EESD_ST_SE_SF_SG_EUlST_E_NS1_11comp_targetILNS1_3genE3ELNS1_11target_archE908ELNS1_3gpuE7ELNS1_3repE0EEENS1_48merge_mergepath_partition_config_static_selectorELNS0_4arch9wavefront6targetE0EEEvSF_
; %bb.0:
	.section	.rodata,"a",@progbits
	.p2align	6, 0x0
	.amdhsa_kernel _ZN7rocprim17ROCPRIM_400000_NS6detail17trampoline_kernelINS0_14default_configENS1_38merge_sort_block_merge_config_selectorIsNS0_10empty_typeEEEZZNS1_27merge_sort_block_merge_implIS3_PsPS5_jNS1_19radix_merge_compareILb1ELb0EsNS0_19identity_decomposerEEEEE10hipError_tT0_T1_T2_jT3_P12ihipStream_tbPNSt15iterator_traitsISE_E10value_typeEPNSK_ISF_E10value_typeEPSG_NS1_7vsmem_tEENKUlT_SE_SF_SG_E_clIS8_S8_S9_S9_EESD_ST_SE_SF_SG_EUlST_E_NS1_11comp_targetILNS1_3genE3ELNS1_11target_archE908ELNS1_3gpuE7ELNS1_3repE0EEENS1_48merge_mergepath_partition_config_static_selectorELNS0_4arch9wavefront6targetE0EEEvSF_
		.amdhsa_group_segment_fixed_size 0
		.amdhsa_private_segment_fixed_size 0
		.amdhsa_kernarg_size 40
		.amdhsa_user_sgpr_count 2
		.amdhsa_user_sgpr_dispatch_ptr 0
		.amdhsa_user_sgpr_queue_ptr 0
		.amdhsa_user_sgpr_kernarg_segment_ptr 1
		.amdhsa_user_sgpr_dispatch_id 0
		.amdhsa_user_sgpr_kernarg_preload_length 0
		.amdhsa_user_sgpr_kernarg_preload_offset 0
		.amdhsa_user_sgpr_private_segment_size 0
		.amdhsa_wavefront_size32 1
		.amdhsa_uses_dynamic_stack 0
		.amdhsa_enable_private_segment 0
		.amdhsa_system_sgpr_workgroup_id_x 1
		.amdhsa_system_sgpr_workgroup_id_y 0
		.amdhsa_system_sgpr_workgroup_id_z 0
		.amdhsa_system_sgpr_workgroup_info 0
		.amdhsa_system_vgpr_workitem_id 0
		.amdhsa_next_free_vgpr 1
		.amdhsa_next_free_sgpr 1
		.amdhsa_named_barrier_count 0
		.amdhsa_reserve_vcc 0
		.amdhsa_float_round_mode_32 0
		.amdhsa_float_round_mode_16_64 0
		.amdhsa_float_denorm_mode_32 3
		.amdhsa_float_denorm_mode_16_64 3
		.amdhsa_fp16_overflow 0
		.amdhsa_memory_ordered 1
		.amdhsa_forward_progress 1
		.amdhsa_inst_pref_size 0
		.amdhsa_round_robin_scheduling 0
		.amdhsa_exception_fp_ieee_invalid_op 0
		.amdhsa_exception_fp_denorm_src 0
		.amdhsa_exception_fp_ieee_div_zero 0
		.amdhsa_exception_fp_ieee_overflow 0
		.amdhsa_exception_fp_ieee_underflow 0
		.amdhsa_exception_fp_ieee_inexact 0
		.amdhsa_exception_int_div_zero 0
	.end_amdhsa_kernel
	.section	.text._ZN7rocprim17ROCPRIM_400000_NS6detail17trampoline_kernelINS0_14default_configENS1_38merge_sort_block_merge_config_selectorIsNS0_10empty_typeEEEZZNS1_27merge_sort_block_merge_implIS3_PsPS5_jNS1_19radix_merge_compareILb1ELb0EsNS0_19identity_decomposerEEEEE10hipError_tT0_T1_T2_jT3_P12ihipStream_tbPNSt15iterator_traitsISE_E10value_typeEPNSK_ISF_E10value_typeEPSG_NS1_7vsmem_tEENKUlT_SE_SF_SG_E_clIS8_S8_S9_S9_EESD_ST_SE_SF_SG_EUlST_E_NS1_11comp_targetILNS1_3genE3ELNS1_11target_archE908ELNS1_3gpuE7ELNS1_3repE0EEENS1_48merge_mergepath_partition_config_static_selectorELNS0_4arch9wavefront6targetE0EEEvSF_,"axG",@progbits,_ZN7rocprim17ROCPRIM_400000_NS6detail17trampoline_kernelINS0_14default_configENS1_38merge_sort_block_merge_config_selectorIsNS0_10empty_typeEEEZZNS1_27merge_sort_block_merge_implIS3_PsPS5_jNS1_19radix_merge_compareILb1ELb0EsNS0_19identity_decomposerEEEEE10hipError_tT0_T1_T2_jT3_P12ihipStream_tbPNSt15iterator_traitsISE_E10value_typeEPNSK_ISF_E10value_typeEPSG_NS1_7vsmem_tEENKUlT_SE_SF_SG_E_clIS8_S8_S9_S9_EESD_ST_SE_SF_SG_EUlST_E_NS1_11comp_targetILNS1_3genE3ELNS1_11target_archE908ELNS1_3gpuE7ELNS1_3repE0EEENS1_48merge_mergepath_partition_config_static_selectorELNS0_4arch9wavefront6targetE0EEEvSF_,comdat
.Lfunc_end524:
	.size	_ZN7rocprim17ROCPRIM_400000_NS6detail17trampoline_kernelINS0_14default_configENS1_38merge_sort_block_merge_config_selectorIsNS0_10empty_typeEEEZZNS1_27merge_sort_block_merge_implIS3_PsPS5_jNS1_19radix_merge_compareILb1ELb0EsNS0_19identity_decomposerEEEEE10hipError_tT0_T1_T2_jT3_P12ihipStream_tbPNSt15iterator_traitsISE_E10value_typeEPNSK_ISF_E10value_typeEPSG_NS1_7vsmem_tEENKUlT_SE_SF_SG_E_clIS8_S8_S9_S9_EESD_ST_SE_SF_SG_EUlST_E_NS1_11comp_targetILNS1_3genE3ELNS1_11target_archE908ELNS1_3gpuE7ELNS1_3repE0EEENS1_48merge_mergepath_partition_config_static_selectorELNS0_4arch9wavefront6targetE0EEEvSF_, .Lfunc_end524-_ZN7rocprim17ROCPRIM_400000_NS6detail17trampoline_kernelINS0_14default_configENS1_38merge_sort_block_merge_config_selectorIsNS0_10empty_typeEEEZZNS1_27merge_sort_block_merge_implIS3_PsPS5_jNS1_19radix_merge_compareILb1ELb0EsNS0_19identity_decomposerEEEEE10hipError_tT0_T1_T2_jT3_P12ihipStream_tbPNSt15iterator_traitsISE_E10value_typeEPNSK_ISF_E10value_typeEPSG_NS1_7vsmem_tEENKUlT_SE_SF_SG_E_clIS8_S8_S9_S9_EESD_ST_SE_SF_SG_EUlST_E_NS1_11comp_targetILNS1_3genE3ELNS1_11target_archE908ELNS1_3gpuE7ELNS1_3repE0EEENS1_48merge_mergepath_partition_config_static_selectorELNS0_4arch9wavefront6targetE0EEEvSF_
                                        ; -- End function
	.set _ZN7rocprim17ROCPRIM_400000_NS6detail17trampoline_kernelINS0_14default_configENS1_38merge_sort_block_merge_config_selectorIsNS0_10empty_typeEEEZZNS1_27merge_sort_block_merge_implIS3_PsPS5_jNS1_19radix_merge_compareILb1ELb0EsNS0_19identity_decomposerEEEEE10hipError_tT0_T1_T2_jT3_P12ihipStream_tbPNSt15iterator_traitsISE_E10value_typeEPNSK_ISF_E10value_typeEPSG_NS1_7vsmem_tEENKUlT_SE_SF_SG_E_clIS8_S8_S9_S9_EESD_ST_SE_SF_SG_EUlST_E_NS1_11comp_targetILNS1_3genE3ELNS1_11target_archE908ELNS1_3gpuE7ELNS1_3repE0EEENS1_48merge_mergepath_partition_config_static_selectorELNS0_4arch9wavefront6targetE0EEEvSF_.num_vgpr, 0
	.set _ZN7rocprim17ROCPRIM_400000_NS6detail17trampoline_kernelINS0_14default_configENS1_38merge_sort_block_merge_config_selectorIsNS0_10empty_typeEEEZZNS1_27merge_sort_block_merge_implIS3_PsPS5_jNS1_19radix_merge_compareILb1ELb0EsNS0_19identity_decomposerEEEEE10hipError_tT0_T1_T2_jT3_P12ihipStream_tbPNSt15iterator_traitsISE_E10value_typeEPNSK_ISF_E10value_typeEPSG_NS1_7vsmem_tEENKUlT_SE_SF_SG_E_clIS8_S8_S9_S9_EESD_ST_SE_SF_SG_EUlST_E_NS1_11comp_targetILNS1_3genE3ELNS1_11target_archE908ELNS1_3gpuE7ELNS1_3repE0EEENS1_48merge_mergepath_partition_config_static_selectorELNS0_4arch9wavefront6targetE0EEEvSF_.num_agpr, 0
	.set _ZN7rocprim17ROCPRIM_400000_NS6detail17trampoline_kernelINS0_14default_configENS1_38merge_sort_block_merge_config_selectorIsNS0_10empty_typeEEEZZNS1_27merge_sort_block_merge_implIS3_PsPS5_jNS1_19radix_merge_compareILb1ELb0EsNS0_19identity_decomposerEEEEE10hipError_tT0_T1_T2_jT3_P12ihipStream_tbPNSt15iterator_traitsISE_E10value_typeEPNSK_ISF_E10value_typeEPSG_NS1_7vsmem_tEENKUlT_SE_SF_SG_E_clIS8_S8_S9_S9_EESD_ST_SE_SF_SG_EUlST_E_NS1_11comp_targetILNS1_3genE3ELNS1_11target_archE908ELNS1_3gpuE7ELNS1_3repE0EEENS1_48merge_mergepath_partition_config_static_selectorELNS0_4arch9wavefront6targetE0EEEvSF_.numbered_sgpr, 0
	.set _ZN7rocprim17ROCPRIM_400000_NS6detail17trampoline_kernelINS0_14default_configENS1_38merge_sort_block_merge_config_selectorIsNS0_10empty_typeEEEZZNS1_27merge_sort_block_merge_implIS3_PsPS5_jNS1_19radix_merge_compareILb1ELb0EsNS0_19identity_decomposerEEEEE10hipError_tT0_T1_T2_jT3_P12ihipStream_tbPNSt15iterator_traitsISE_E10value_typeEPNSK_ISF_E10value_typeEPSG_NS1_7vsmem_tEENKUlT_SE_SF_SG_E_clIS8_S8_S9_S9_EESD_ST_SE_SF_SG_EUlST_E_NS1_11comp_targetILNS1_3genE3ELNS1_11target_archE908ELNS1_3gpuE7ELNS1_3repE0EEENS1_48merge_mergepath_partition_config_static_selectorELNS0_4arch9wavefront6targetE0EEEvSF_.num_named_barrier, 0
	.set _ZN7rocprim17ROCPRIM_400000_NS6detail17trampoline_kernelINS0_14default_configENS1_38merge_sort_block_merge_config_selectorIsNS0_10empty_typeEEEZZNS1_27merge_sort_block_merge_implIS3_PsPS5_jNS1_19radix_merge_compareILb1ELb0EsNS0_19identity_decomposerEEEEE10hipError_tT0_T1_T2_jT3_P12ihipStream_tbPNSt15iterator_traitsISE_E10value_typeEPNSK_ISF_E10value_typeEPSG_NS1_7vsmem_tEENKUlT_SE_SF_SG_E_clIS8_S8_S9_S9_EESD_ST_SE_SF_SG_EUlST_E_NS1_11comp_targetILNS1_3genE3ELNS1_11target_archE908ELNS1_3gpuE7ELNS1_3repE0EEENS1_48merge_mergepath_partition_config_static_selectorELNS0_4arch9wavefront6targetE0EEEvSF_.private_seg_size, 0
	.set _ZN7rocprim17ROCPRIM_400000_NS6detail17trampoline_kernelINS0_14default_configENS1_38merge_sort_block_merge_config_selectorIsNS0_10empty_typeEEEZZNS1_27merge_sort_block_merge_implIS3_PsPS5_jNS1_19radix_merge_compareILb1ELb0EsNS0_19identity_decomposerEEEEE10hipError_tT0_T1_T2_jT3_P12ihipStream_tbPNSt15iterator_traitsISE_E10value_typeEPNSK_ISF_E10value_typeEPSG_NS1_7vsmem_tEENKUlT_SE_SF_SG_E_clIS8_S8_S9_S9_EESD_ST_SE_SF_SG_EUlST_E_NS1_11comp_targetILNS1_3genE3ELNS1_11target_archE908ELNS1_3gpuE7ELNS1_3repE0EEENS1_48merge_mergepath_partition_config_static_selectorELNS0_4arch9wavefront6targetE0EEEvSF_.uses_vcc, 0
	.set _ZN7rocprim17ROCPRIM_400000_NS6detail17trampoline_kernelINS0_14default_configENS1_38merge_sort_block_merge_config_selectorIsNS0_10empty_typeEEEZZNS1_27merge_sort_block_merge_implIS3_PsPS5_jNS1_19radix_merge_compareILb1ELb0EsNS0_19identity_decomposerEEEEE10hipError_tT0_T1_T2_jT3_P12ihipStream_tbPNSt15iterator_traitsISE_E10value_typeEPNSK_ISF_E10value_typeEPSG_NS1_7vsmem_tEENKUlT_SE_SF_SG_E_clIS8_S8_S9_S9_EESD_ST_SE_SF_SG_EUlST_E_NS1_11comp_targetILNS1_3genE3ELNS1_11target_archE908ELNS1_3gpuE7ELNS1_3repE0EEENS1_48merge_mergepath_partition_config_static_selectorELNS0_4arch9wavefront6targetE0EEEvSF_.uses_flat_scratch, 0
	.set _ZN7rocprim17ROCPRIM_400000_NS6detail17trampoline_kernelINS0_14default_configENS1_38merge_sort_block_merge_config_selectorIsNS0_10empty_typeEEEZZNS1_27merge_sort_block_merge_implIS3_PsPS5_jNS1_19radix_merge_compareILb1ELb0EsNS0_19identity_decomposerEEEEE10hipError_tT0_T1_T2_jT3_P12ihipStream_tbPNSt15iterator_traitsISE_E10value_typeEPNSK_ISF_E10value_typeEPSG_NS1_7vsmem_tEENKUlT_SE_SF_SG_E_clIS8_S8_S9_S9_EESD_ST_SE_SF_SG_EUlST_E_NS1_11comp_targetILNS1_3genE3ELNS1_11target_archE908ELNS1_3gpuE7ELNS1_3repE0EEENS1_48merge_mergepath_partition_config_static_selectorELNS0_4arch9wavefront6targetE0EEEvSF_.has_dyn_sized_stack, 0
	.set _ZN7rocprim17ROCPRIM_400000_NS6detail17trampoline_kernelINS0_14default_configENS1_38merge_sort_block_merge_config_selectorIsNS0_10empty_typeEEEZZNS1_27merge_sort_block_merge_implIS3_PsPS5_jNS1_19radix_merge_compareILb1ELb0EsNS0_19identity_decomposerEEEEE10hipError_tT0_T1_T2_jT3_P12ihipStream_tbPNSt15iterator_traitsISE_E10value_typeEPNSK_ISF_E10value_typeEPSG_NS1_7vsmem_tEENKUlT_SE_SF_SG_E_clIS8_S8_S9_S9_EESD_ST_SE_SF_SG_EUlST_E_NS1_11comp_targetILNS1_3genE3ELNS1_11target_archE908ELNS1_3gpuE7ELNS1_3repE0EEENS1_48merge_mergepath_partition_config_static_selectorELNS0_4arch9wavefront6targetE0EEEvSF_.has_recursion, 0
	.set _ZN7rocprim17ROCPRIM_400000_NS6detail17trampoline_kernelINS0_14default_configENS1_38merge_sort_block_merge_config_selectorIsNS0_10empty_typeEEEZZNS1_27merge_sort_block_merge_implIS3_PsPS5_jNS1_19radix_merge_compareILb1ELb0EsNS0_19identity_decomposerEEEEE10hipError_tT0_T1_T2_jT3_P12ihipStream_tbPNSt15iterator_traitsISE_E10value_typeEPNSK_ISF_E10value_typeEPSG_NS1_7vsmem_tEENKUlT_SE_SF_SG_E_clIS8_S8_S9_S9_EESD_ST_SE_SF_SG_EUlST_E_NS1_11comp_targetILNS1_3genE3ELNS1_11target_archE908ELNS1_3gpuE7ELNS1_3repE0EEENS1_48merge_mergepath_partition_config_static_selectorELNS0_4arch9wavefront6targetE0EEEvSF_.has_indirect_call, 0
	.section	.AMDGPU.csdata,"",@progbits
; Kernel info:
; codeLenInByte = 0
; TotalNumSgprs: 0
; NumVgprs: 0
; ScratchSize: 0
; MemoryBound: 0
; FloatMode: 240
; IeeeMode: 1
; LDSByteSize: 0 bytes/workgroup (compile time only)
; SGPRBlocks: 0
; VGPRBlocks: 0
; NumSGPRsForWavesPerEU: 1
; NumVGPRsForWavesPerEU: 1
; NamedBarCnt: 0
; Occupancy: 16
; WaveLimiterHint : 0
; COMPUTE_PGM_RSRC2:SCRATCH_EN: 0
; COMPUTE_PGM_RSRC2:USER_SGPR: 2
; COMPUTE_PGM_RSRC2:TRAP_HANDLER: 0
; COMPUTE_PGM_RSRC2:TGID_X_EN: 1
; COMPUTE_PGM_RSRC2:TGID_Y_EN: 0
; COMPUTE_PGM_RSRC2:TGID_Z_EN: 0
; COMPUTE_PGM_RSRC2:TIDIG_COMP_CNT: 0
	.section	.text._ZN7rocprim17ROCPRIM_400000_NS6detail17trampoline_kernelINS0_14default_configENS1_38merge_sort_block_merge_config_selectorIsNS0_10empty_typeEEEZZNS1_27merge_sort_block_merge_implIS3_PsPS5_jNS1_19radix_merge_compareILb1ELb0EsNS0_19identity_decomposerEEEEE10hipError_tT0_T1_T2_jT3_P12ihipStream_tbPNSt15iterator_traitsISE_E10value_typeEPNSK_ISF_E10value_typeEPSG_NS1_7vsmem_tEENKUlT_SE_SF_SG_E_clIS8_S8_S9_S9_EESD_ST_SE_SF_SG_EUlST_E_NS1_11comp_targetILNS1_3genE2ELNS1_11target_archE906ELNS1_3gpuE6ELNS1_3repE0EEENS1_48merge_mergepath_partition_config_static_selectorELNS0_4arch9wavefront6targetE0EEEvSF_,"axG",@progbits,_ZN7rocprim17ROCPRIM_400000_NS6detail17trampoline_kernelINS0_14default_configENS1_38merge_sort_block_merge_config_selectorIsNS0_10empty_typeEEEZZNS1_27merge_sort_block_merge_implIS3_PsPS5_jNS1_19radix_merge_compareILb1ELb0EsNS0_19identity_decomposerEEEEE10hipError_tT0_T1_T2_jT3_P12ihipStream_tbPNSt15iterator_traitsISE_E10value_typeEPNSK_ISF_E10value_typeEPSG_NS1_7vsmem_tEENKUlT_SE_SF_SG_E_clIS8_S8_S9_S9_EESD_ST_SE_SF_SG_EUlST_E_NS1_11comp_targetILNS1_3genE2ELNS1_11target_archE906ELNS1_3gpuE6ELNS1_3repE0EEENS1_48merge_mergepath_partition_config_static_selectorELNS0_4arch9wavefront6targetE0EEEvSF_,comdat
	.protected	_ZN7rocprim17ROCPRIM_400000_NS6detail17trampoline_kernelINS0_14default_configENS1_38merge_sort_block_merge_config_selectorIsNS0_10empty_typeEEEZZNS1_27merge_sort_block_merge_implIS3_PsPS5_jNS1_19radix_merge_compareILb1ELb0EsNS0_19identity_decomposerEEEEE10hipError_tT0_T1_T2_jT3_P12ihipStream_tbPNSt15iterator_traitsISE_E10value_typeEPNSK_ISF_E10value_typeEPSG_NS1_7vsmem_tEENKUlT_SE_SF_SG_E_clIS8_S8_S9_S9_EESD_ST_SE_SF_SG_EUlST_E_NS1_11comp_targetILNS1_3genE2ELNS1_11target_archE906ELNS1_3gpuE6ELNS1_3repE0EEENS1_48merge_mergepath_partition_config_static_selectorELNS0_4arch9wavefront6targetE0EEEvSF_ ; -- Begin function _ZN7rocprim17ROCPRIM_400000_NS6detail17trampoline_kernelINS0_14default_configENS1_38merge_sort_block_merge_config_selectorIsNS0_10empty_typeEEEZZNS1_27merge_sort_block_merge_implIS3_PsPS5_jNS1_19radix_merge_compareILb1ELb0EsNS0_19identity_decomposerEEEEE10hipError_tT0_T1_T2_jT3_P12ihipStream_tbPNSt15iterator_traitsISE_E10value_typeEPNSK_ISF_E10value_typeEPSG_NS1_7vsmem_tEENKUlT_SE_SF_SG_E_clIS8_S8_S9_S9_EESD_ST_SE_SF_SG_EUlST_E_NS1_11comp_targetILNS1_3genE2ELNS1_11target_archE906ELNS1_3gpuE6ELNS1_3repE0EEENS1_48merge_mergepath_partition_config_static_selectorELNS0_4arch9wavefront6targetE0EEEvSF_
	.globl	_ZN7rocprim17ROCPRIM_400000_NS6detail17trampoline_kernelINS0_14default_configENS1_38merge_sort_block_merge_config_selectorIsNS0_10empty_typeEEEZZNS1_27merge_sort_block_merge_implIS3_PsPS5_jNS1_19radix_merge_compareILb1ELb0EsNS0_19identity_decomposerEEEEE10hipError_tT0_T1_T2_jT3_P12ihipStream_tbPNSt15iterator_traitsISE_E10value_typeEPNSK_ISF_E10value_typeEPSG_NS1_7vsmem_tEENKUlT_SE_SF_SG_E_clIS8_S8_S9_S9_EESD_ST_SE_SF_SG_EUlST_E_NS1_11comp_targetILNS1_3genE2ELNS1_11target_archE906ELNS1_3gpuE6ELNS1_3repE0EEENS1_48merge_mergepath_partition_config_static_selectorELNS0_4arch9wavefront6targetE0EEEvSF_
	.p2align	8
	.type	_ZN7rocprim17ROCPRIM_400000_NS6detail17trampoline_kernelINS0_14default_configENS1_38merge_sort_block_merge_config_selectorIsNS0_10empty_typeEEEZZNS1_27merge_sort_block_merge_implIS3_PsPS5_jNS1_19radix_merge_compareILb1ELb0EsNS0_19identity_decomposerEEEEE10hipError_tT0_T1_T2_jT3_P12ihipStream_tbPNSt15iterator_traitsISE_E10value_typeEPNSK_ISF_E10value_typeEPSG_NS1_7vsmem_tEENKUlT_SE_SF_SG_E_clIS8_S8_S9_S9_EESD_ST_SE_SF_SG_EUlST_E_NS1_11comp_targetILNS1_3genE2ELNS1_11target_archE906ELNS1_3gpuE6ELNS1_3repE0EEENS1_48merge_mergepath_partition_config_static_selectorELNS0_4arch9wavefront6targetE0EEEvSF_,@function
_ZN7rocprim17ROCPRIM_400000_NS6detail17trampoline_kernelINS0_14default_configENS1_38merge_sort_block_merge_config_selectorIsNS0_10empty_typeEEEZZNS1_27merge_sort_block_merge_implIS3_PsPS5_jNS1_19radix_merge_compareILb1ELb0EsNS0_19identity_decomposerEEEEE10hipError_tT0_T1_T2_jT3_P12ihipStream_tbPNSt15iterator_traitsISE_E10value_typeEPNSK_ISF_E10value_typeEPSG_NS1_7vsmem_tEENKUlT_SE_SF_SG_E_clIS8_S8_S9_S9_EESD_ST_SE_SF_SG_EUlST_E_NS1_11comp_targetILNS1_3genE2ELNS1_11target_archE906ELNS1_3gpuE6ELNS1_3repE0EEENS1_48merge_mergepath_partition_config_static_selectorELNS0_4arch9wavefront6targetE0EEEvSF_: ; @_ZN7rocprim17ROCPRIM_400000_NS6detail17trampoline_kernelINS0_14default_configENS1_38merge_sort_block_merge_config_selectorIsNS0_10empty_typeEEEZZNS1_27merge_sort_block_merge_implIS3_PsPS5_jNS1_19radix_merge_compareILb1ELb0EsNS0_19identity_decomposerEEEEE10hipError_tT0_T1_T2_jT3_P12ihipStream_tbPNSt15iterator_traitsISE_E10value_typeEPNSK_ISF_E10value_typeEPSG_NS1_7vsmem_tEENKUlT_SE_SF_SG_E_clIS8_S8_S9_S9_EESD_ST_SE_SF_SG_EUlST_E_NS1_11comp_targetILNS1_3genE2ELNS1_11target_archE906ELNS1_3gpuE6ELNS1_3repE0EEENS1_48merge_mergepath_partition_config_static_selectorELNS0_4arch9wavefront6targetE0EEEvSF_
; %bb.0:
	.section	.rodata,"a",@progbits
	.p2align	6, 0x0
	.amdhsa_kernel _ZN7rocprim17ROCPRIM_400000_NS6detail17trampoline_kernelINS0_14default_configENS1_38merge_sort_block_merge_config_selectorIsNS0_10empty_typeEEEZZNS1_27merge_sort_block_merge_implIS3_PsPS5_jNS1_19radix_merge_compareILb1ELb0EsNS0_19identity_decomposerEEEEE10hipError_tT0_T1_T2_jT3_P12ihipStream_tbPNSt15iterator_traitsISE_E10value_typeEPNSK_ISF_E10value_typeEPSG_NS1_7vsmem_tEENKUlT_SE_SF_SG_E_clIS8_S8_S9_S9_EESD_ST_SE_SF_SG_EUlST_E_NS1_11comp_targetILNS1_3genE2ELNS1_11target_archE906ELNS1_3gpuE6ELNS1_3repE0EEENS1_48merge_mergepath_partition_config_static_selectorELNS0_4arch9wavefront6targetE0EEEvSF_
		.amdhsa_group_segment_fixed_size 0
		.amdhsa_private_segment_fixed_size 0
		.amdhsa_kernarg_size 40
		.amdhsa_user_sgpr_count 2
		.amdhsa_user_sgpr_dispatch_ptr 0
		.amdhsa_user_sgpr_queue_ptr 0
		.amdhsa_user_sgpr_kernarg_segment_ptr 1
		.amdhsa_user_sgpr_dispatch_id 0
		.amdhsa_user_sgpr_kernarg_preload_length 0
		.amdhsa_user_sgpr_kernarg_preload_offset 0
		.amdhsa_user_sgpr_private_segment_size 0
		.amdhsa_wavefront_size32 1
		.amdhsa_uses_dynamic_stack 0
		.amdhsa_enable_private_segment 0
		.amdhsa_system_sgpr_workgroup_id_x 1
		.amdhsa_system_sgpr_workgroup_id_y 0
		.amdhsa_system_sgpr_workgroup_id_z 0
		.amdhsa_system_sgpr_workgroup_info 0
		.amdhsa_system_vgpr_workitem_id 0
		.amdhsa_next_free_vgpr 1
		.amdhsa_next_free_sgpr 1
		.amdhsa_named_barrier_count 0
		.amdhsa_reserve_vcc 0
		.amdhsa_float_round_mode_32 0
		.amdhsa_float_round_mode_16_64 0
		.amdhsa_float_denorm_mode_32 3
		.amdhsa_float_denorm_mode_16_64 3
		.amdhsa_fp16_overflow 0
		.amdhsa_memory_ordered 1
		.amdhsa_forward_progress 1
		.amdhsa_inst_pref_size 0
		.amdhsa_round_robin_scheduling 0
		.amdhsa_exception_fp_ieee_invalid_op 0
		.amdhsa_exception_fp_denorm_src 0
		.amdhsa_exception_fp_ieee_div_zero 0
		.amdhsa_exception_fp_ieee_overflow 0
		.amdhsa_exception_fp_ieee_underflow 0
		.amdhsa_exception_fp_ieee_inexact 0
		.amdhsa_exception_int_div_zero 0
	.end_amdhsa_kernel
	.section	.text._ZN7rocprim17ROCPRIM_400000_NS6detail17trampoline_kernelINS0_14default_configENS1_38merge_sort_block_merge_config_selectorIsNS0_10empty_typeEEEZZNS1_27merge_sort_block_merge_implIS3_PsPS5_jNS1_19radix_merge_compareILb1ELb0EsNS0_19identity_decomposerEEEEE10hipError_tT0_T1_T2_jT3_P12ihipStream_tbPNSt15iterator_traitsISE_E10value_typeEPNSK_ISF_E10value_typeEPSG_NS1_7vsmem_tEENKUlT_SE_SF_SG_E_clIS8_S8_S9_S9_EESD_ST_SE_SF_SG_EUlST_E_NS1_11comp_targetILNS1_3genE2ELNS1_11target_archE906ELNS1_3gpuE6ELNS1_3repE0EEENS1_48merge_mergepath_partition_config_static_selectorELNS0_4arch9wavefront6targetE0EEEvSF_,"axG",@progbits,_ZN7rocprim17ROCPRIM_400000_NS6detail17trampoline_kernelINS0_14default_configENS1_38merge_sort_block_merge_config_selectorIsNS0_10empty_typeEEEZZNS1_27merge_sort_block_merge_implIS3_PsPS5_jNS1_19radix_merge_compareILb1ELb0EsNS0_19identity_decomposerEEEEE10hipError_tT0_T1_T2_jT3_P12ihipStream_tbPNSt15iterator_traitsISE_E10value_typeEPNSK_ISF_E10value_typeEPSG_NS1_7vsmem_tEENKUlT_SE_SF_SG_E_clIS8_S8_S9_S9_EESD_ST_SE_SF_SG_EUlST_E_NS1_11comp_targetILNS1_3genE2ELNS1_11target_archE906ELNS1_3gpuE6ELNS1_3repE0EEENS1_48merge_mergepath_partition_config_static_selectorELNS0_4arch9wavefront6targetE0EEEvSF_,comdat
.Lfunc_end525:
	.size	_ZN7rocprim17ROCPRIM_400000_NS6detail17trampoline_kernelINS0_14default_configENS1_38merge_sort_block_merge_config_selectorIsNS0_10empty_typeEEEZZNS1_27merge_sort_block_merge_implIS3_PsPS5_jNS1_19radix_merge_compareILb1ELb0EsNS0_19identity_decomposerEEEEE10hipError_tT0_T1_T2_jT3_P12ihipStream_tbPNSt15iterator_traitsISE_E10value_typeEPNSK_ISF_E10value_typeEPSG_NS1_7vsmem_tEENKUlT_SE_SF_SG_E_clIS8_S8_S9_S9_EESD_ST_SE_SF_SG_EUlST_E_NS1_11comp_targetILNS1_3genE2ELNS1_11target_archE906ELNS1_3gpuE6ELNS1_3repE0EEENS1_48merge_mergepath_partition_config_static_selectorELNS0_4arch9wavefront6targetE0EEEvSF_, .Lfunc_end525-_ZN7rocprim17ROCPRIM_400000_NS6detail17trampoline_kernelINS0_14default_configENS1_38merge_sort_block_merge_config_selectorIsNS0_10empty_typeEEEZZNS1_27merge_sort_block_merge_implIS3_PsPS5_jNS1_19radix_merge_compareILb1ELb0EsNS0_19identity_decomposerEEEEE10hipError_tT0_T1_T2_jT3_P12ihipStream_tbPNSt15iterator_traitsISE_E10value_typeEPNSK_ISF_E10value_typeEPSG_NS1_7vsmem_tEENKUlT_SE_SF_SG_E_clIS8_S8_S9_S9_EESD_ST_SE_SF_SG_EUlST_E_NS1_11comp_targetILNS1_3genE2ELNS1_11target_archE906ELNS1_3gpuE6ELNS1_3repE0EEENS1_48merge_mergepath_partition_config_static_selectorELNS0_4arch9wavefront6targetE0EEEvSF_
                                        ; -- End function
	.set _ZN7rocprim17ROCPRIM_400000_NS6detail17trampoline_kernelINS0_14default_configENS1_38merge_sort_block_merge_config_selectorIsNS0_10empty_typeEEEZZNS1_27merge_sort_block_merge_implIS3_PsPS5_jNS1_19radix_merge_compareILb1ELb0EsNS0_19identity_decomposerEEEEE10hipError_tT0_T1_T2_jT3_P12ihipStream_tbPNSt15iterator_traitsISE_E10value_typeEPNSK_ISF_E10value_typeEPSG_NS1_7vsmem_tEENKUlT_SE_SF_SG_E_clIS8_S8_S9_S9_EESD_ST_SE_SF_SG_EUlST_E_NS1_11comp_targetILNS1_3genE2ELNS1_11target_archE906ELNS1_3gpuE6ELNS1_3repE0EEENS1_48merge_mergepath_partition_config_static_selectorELNS0_4arch9wavefront6targetE0EEEvSF_.num_vgpr, 0
	.set _ZN7rocprim17ROCPRIM_400000_NS6detail17trampoline_kernelINS0_14default_configENS1_38merge_sort_block_merge_config_selectorIsNS0_10empty_typeEEEZZNS1_27merge_sort_block_merge_implIS3_PsPS5_jNS1_19radix_merge_compareILb1ELb0EsNS0_19identity_decomposerEEEEE10hipError_tT0_T1_T2_jT3_P12ihipStream_tbPNSt15iterator_traitsISE_E10value_typeEPNSK_ISF_E10value_typeEPSG_NS1_7vsmem_tEENKUlT_SE_SF_SG_E_clIS8_S8_S9_S9_EESD_ST_SE_SF_SG_EUlST_E_NS1_11comp_targetILNS1_3genE2ELNS1_11target_archE906ELNS1_3gpuE6ELNS1_3repE0EEENS1_48merge_mergepath_partition_config_static_selectorELNS0_4arch9wavefront6targetE0EEEvSF_.num_agpr, 0
	.set _ZN7rocprim17ROCPRIM_400000_NS6detail17trampoline_kernelINS0_14default_configENS1_38merge_sort_block_merge_config_selectorIsNS0_10empty_typeEEEZZNS1_27merge_sort_block_merge_implIS3_PsPS5_jNS1_19radix_merge_compareILb1ELb0EsNS0_19identity_decomposerEEEEE10hipError_tT0_T1_T2_jT3_P12ihipStream_tbPNSt15iterator_traitsISE_E10value_typeEPNSK_ISF_E10value_typeEPSG_NS1_7vsmem_tEENKUlT_SE_SF_SG_E_clIS8_S8_S9_S9_EESD_ST_SE_SF_SG_EUlST_E_NS1_11comp_targetILNS1_3genE2ELNS1_11target_archE906ELNS1_3gpuE6ELNS1_3repE0EEENS1_48merge_mergepath_partition_config_static_selectorELNS0_4arch9wavefront6targetE0EEEvSF_.numbered_sgpr, 0
	.set _ZN7rocprim17ROCPRIM_400000_NS6detail17trampoline_kernelINS0_14default_configENS1_38merge_sort_block_merge_config_selectorIsNS0_10empty_typeEEEZZNS1_27merge_sort_block_merge_implIS3_PsPS5_jNS1_19radix_merge_compareILb1ELb0EsNS0_19identity_decomposerEEEEE10hipError_tT0_T1_T2_jT3_P12ihipStream_tbPNSt15iterator_traitsISE_E10value_typeEPNSK_ISF_E10value_typeEPSG_NS1_7vsmem_tEENKUlT_SE_SF_SG_E_clIS8_S8_S9_S9_EESD_ST_SE_SF_SG_EUlST_E_NS1_11comp_targetILNS1_3genE2ELNS1_11target_archE906ELNS1_3gpuE6ELNS1_3repE0EEENS1_48merge_mergepath_partition_config_static_selectorELNS0_4arch9wavefront6targetE0EEEvSF_.num_named_barrier, 0
	.set _ZN7rocprim17ROCPRIM_400000_NS6detail17trampoline_kernelINS0_14default_configENS1_38merge_sort_block_merge_config_selectorIsNS0_10empty_typeEEEZZNS1_27merge_sort_block_merge_implIS3_PsPS5_jNS1_19radix_merge_compareILb1ELb0EsNS0_19identity_decomposerEEEEE10hipError_tT0_T1_T2_jT3_P12ihipStream_tbPNSt15iterator_traitsISE_E10value_typeEPNSK_ISF_E10value_typeEPSG_NS1_7vsmem_tEENKUlT_SE_SF_SG_E_clIS8_S8_S9_S9_EESD_ST_SE_SF_SG_EUlST_E_NS1_11comp_targetILNS1_3genE2ELNS1_11target_archE906ELNS1_3gpuE6ELNS1_3repE0EEENS1_48merge_mergepath_partition_config_static_selectorELNS0_4arch9wavefront6targetE0EEEvSF_.private_seg_size, 0
	.set _ZN7rocprim17ROCPRIM_400000_NS6detail17trampoline_kernelINS0_14default_configENS1_38merge_sort_block_merge_config_selectorIsNS0_10empty_typeEEEZZNS1_27merge_sort_block_merge_implIS3_PsPS5_jNS1_19radix_merge_compareILb1ELb0EsNS0_19identity_decomposerEEEEE10hipError_tT0_T1_T2_jT3_P12ihipStream_tbPNSt15iterator_traitsISE_E10value_typeEPNSK_ISF_E10value_typeEPSG_NS1_7vsmem_tEENKUlT_SE_SF_SG_E_clIS8_S8_S9_S9_EESD_ST_SE_SF_SG_EUlST_E_NS1_11comp_targetILNS1_3genE2ELNS1_11target_archE906ELNS1_3gpuE6ELNS1_3repE0EEENS1_48merge_mergepath_partition_config_static_selectorELNS0_4arch9wavefront6targetE0EEEvSF_.uses_vcc, 0
	.set _ZN7rocprim17ROCPRIM_400000_NS6detail17trampoline_kernelINS0_14default_configENS1_38merge_sort_block_merge_config_selectorIsNS0_10empty_typeEEEZZNS1_27merge_sort_block_merge_implIS3_PsPS5_jNS1_19radix_merge_compareILb1ELb0EsNS0_19identity_decomposerEEEEE10hipError_tT0_T1_T2_jT3_P12ihipStream_tbPNSt15iterator_traitsISE_E10value_typeEPNSK_ISF_E10value_typeEPSG_NS1_7vsmem_tEENKUlT_SE_SF_SG_E_clIS8_S8_S9_S9_EESD_ST_SE_SF_SG_EUlST_E_NS1_11comp_targetILNS1_3genE2ELNS1_11target_archE906ELNS1_3gpuE6ELNS1_3repE0EEENS1_48merge_mergepath_partition_config_static_selectorELNS0_4arch9wavefront6targetE0EEEvSF_.uses_flat_scratch, 0
	.set _ZN7rocprim17ROCPRIM_400000_NS6detail17trampoline_kernelINS0_14default_configENS1_38merge_sort_block_merge_config_selectorIsNS0_10empty_typeEEEZZNS1_27merge_sort_block_merge_implIS3_PsPS5_jNS1_19radix_merge_compareILb1ELb0EsNS0_19identity_decomposerEEEEE10hipError_tT0_T1_T2_jT3_P12ihipStream_tbPNSt15iterator_traitsISE_E10value_typeEPNSK_ISF_E10value_typeEPSG_NS1_7vsmem_tEENKUlT_SE_SF_SG_E_clIS8_S8_S9_S9_EESD_ST_SE_SF_SG_EUlST_E_NS1_11comp_targetILNS1_3genE2ELNS1_11target_archE906ELNS1_3gpuE6ELNS1_3repE0EEENS1_48merge_mergepath_partition_config_static_selectorELNS0_4arch9wavefront6targetE0EEEvSF_.has_dyn_sized_stack, 0
	.set _ZN7rocprim17ROCPRIM_400000_NS6detail17trampoline_kernelINS0_14default_configENS1_38merge_sort_block_merge_config_selectorIsNS0_10empty_typeEEEZZNS1_27merge_sort_block_merge_implIS3_PsPS5_jNS1_19radix_merge_compareILb1ELb0EsNS0_19identity_decomposerEEEEE10hipError_tT0_T1_T2_jT3_P12ihipStream_tbPNSt15iterator_traitsISE_E10value_typeEPNSK_ISF_E10value_typeEPSG_NS1_7vsmem_tEENKUlT_SE_SF_SG_E_clIS8_S8_S9_S9_EESD_ST_SE_SF_SG_EUlST_E_NS1_11comp_targetILNS1_3genE2ELNS1_11target_archE906ELNS1_3gpuE6ELNS1_3repE0EEENS1_48merge_mergepath_partition_config_static_selectorELNS0_4arch9wavefront6targetE0EEEvSF_.has_recursion, 0
	.set _ZN7rocprim17ROCPRIM_400000_NS6detail17trampoline_kernelINS0_14default_configENS1_38merge_sort_block_merge_config_selectorIsNS0_10empty_typeEEEZZNS1_27merge_sort_block_merge_implIS3_PsPS5_jNS1_19radix_merge_compareILb1ELb0EsNS0_19identity_decomposerEEEEE10hipError_tT0_T1_T2_jT3_P12ihipStream_tbPNSt15iterator_traitsISE_E10value_typeEPNSK_ISF_E10value_typeEPSG_NS1_7vsmem_tEENKUlT_SE_SF_SG_E_clIS8_S8_S9_S9_EESD_ST_SE_SF_SG_EUlST_E_NS1_11comp_targetILNS1_3genE2ELNS1_11target_archE906ELNS1_3gpuE6ELNS1_3repE0EEENS1_48merge_mergepath_partition_config_static_selectorELNS0_4arch9wavefront6targetE0EEEvSF_.has_indirect_call, 0
	.section	.AMDGPU.csdata,"",@progbits
; Kernel info:
; codeLenInByte = 0
; TotalNumSgprs: 0
; NumVgprs: 0
; ScratchSize: 0
; MemoryBound: 0
; FloatMode: 240
; IeeeMode: 1
; LDSByteSize: 0 bytes/workgroup (compile time only)
; SGPRBlocks: 0
; VGPRBlocks: 0
; NumSGPRsForWavesPerEU: 1
; NumVGPRsForWavesPerEU: 1
; NamedBarCnt: 0
; Occupancy: 16
; WaveLimiterHint : 0
; COMPUTE_PGM_RSRC2:SCRATCH_EN: 0
; COMPUTE_PGM_RSRC2:USER_SGPR: 2
; COMPUTE_PGM_RSRC2:TRAP_HANDLER: 0
; COMPUTE_PGM_RSRC2:TGID_X_EN: 1
; COMPUTE_PGM_RSRC2:TGID_Y_EN: 0
; COMPUTE_PGM_RSRC2:TGID_Z_EN: 0
; COMPUTE_PGM_RSRC2:TIDIG_COMP_CNT: 0
	.section	.text._ZN7rocprim17ROCPRIM_400000_NS6detail17trampoline_kernelINS0_14default_configENS1_38merge_sort_block_merge_config_selectorIsNS0_10empty_typeEEEZZNS1_27merge_sort_block_merge_implIS3_PsPS5_jNS1_19radix_merge_compareILb1ELb0EsNS0_19identity_decomposerEEEEE10hipError_tT0_T1_T2_jT3_P12ihipStream_tbPNSt15iterator_traitsISE_E10value_typeEPNSK_ISF_E10value_typeEPSG_NS1_7vsmem_tEENKUlT_SE_SF_SG_E_clIS8_S8_S9_S9_EESD_ST_SE_SF_SG_EUlST_E_NS1_11comp_targetILNS1_3genE9ELNS1_11target_archE1100ELNS1_3gpuE3ELNS1_3repE0EEENS1_48merge_mergepath_partition_config_static_selectorELNS0_4arch9wavefront6targetE0EEEvSF_,"axG",@progbits,_ZN7rocprim17ROCPRIM_400000_NS6detail17trampoline_kernelINS0_14default_configENS1_38merge_sort_block_merge_config_selectorIsNS0_10empty_typeEEEZZNS1_27merge_sort_block_merge_implIS3_PsPS5_jNS1_19radix_merge_compareILb1ELb0EsNS0_19identity_decomposerEEEEE10hipError_tT0_T1_T2_jT3_P12ihipStream_tbPNSt15iterator_traitsISE_E10value_typeEPNSK_ISF_E10value_typeEPSG_NS1_7vsmem_tEENKUlT_SE_SF_SG_E_clIS8_S8_S9_S9_EESD_ST_SE_SF_SG_EUlST_E_NS1_11comp_targetILNS1_3genE9ELNS1_11target_archE1100ELNS1_3gpuE3ELNS1_3repE0EEENS1_48merge_mergepath_partition_config_static_selectorELNS0_4arch9wavefront6targetE0EEEvSF_,comdat
	.protected	_ZN7rocprim17ROCPRIM_400000_NS6detail17trampoline_kernelINS0_14default_configENS1_38merge_sort_block_merge_config_selectorIsNS0_10empty_typeEEEZZNS1_27merge_sort_block_merge_implIS3_PsPS5_jNS1_19radix_merge_compareILb1ELb0EsNS0_19identity_decomposerEEEEE10hipError_tT0_T1_T2_jT3_P12ihipStream_tbPNSt15iterator_traitsISE_E10value_typeEPNSK_ISF_E10value_typeEPSG_NS1_7vsmem_tEENKUlT_SE_SF_SG_E_clIS8_S8_S9_S9_EESD_ST_SE_SF_SG_EUlST_E_NS1_11comp_targetILNS1_3genE9ELNS1_11target_archE1100ELNS1_3gpuE3ELNS1_3repE0EEENS1_48merge_mergepath_partition_config_static_selectorELNS0_4arch9wavefront6targetE0EEEvSF_ ; -- Begin function _ZN7rocprim17ROCPRIM_400000_NS6detail17trampoline_kernelINS0_14default_configENS1_38merge_sort_block_merge_config_selectorIsNS0_10empty_typeEEEZZNS1_27merge_sort_block_merge_implIS3_PsPS5_jNS1_19radix_merge_compareILb1ELb0EsNS0_19identity_decomposerEEEEE10hipError_tT0_T1_T2_jT3_P12ihipStream_tbPNSt15iterator_traitsISE_E10value_typeEPNSK_ISF_E10value_typeEPSG_NS1_7vsmem_tEENKUlT_SE_SF_SG_E_clIS8_S8_S9_S9_EESD_ST_SE_SF_SG_EUlST_E_NS1_11comp_targetILNS1_3genE9ELNS1_11target_archE1100ELNS1_3gpuE3ELNS1_3repE0EEENS1_48merge_mergepath_partition_config_static_selectorELNS0_4arch9wavefront6targetE0EEEvSF_
	.globl	_ZN7rocprim17ROCPRIM_400000_NS6detail17trampoline_kernelINS0_14default_configENS1_38merge_sort_block_merge_config_selectorIsNS0_10empty_typeEEEZZNS1_27merge_sort_block_merge_implIS3_PsPS5_jNS1_19radix_merge_compareILb1ELb0EsNS0_19identity_decomposerEEEEE10hipError_tT0_T1_T2_jT3_P12ihipStream_tbPNSt15iterator_traitsISE_E10value_typeEPNSK_ISF_E10value_typeEPSG_NS1_7vsmem_tEENKUlT_SE_SF_SG_E_clIS8_S8_S9_S9_EESD_ST_SE_SF_SG_EUlST_E_NS1_11comp_targetILNS1_3genE9ELNS1_11target_archE1100ELNS1_3gpuE3ELNS1_3repE0EEENS1_48merge_mergepath_partition_config_static_selectorELNS0_4arch9wavefront6targetE0EEEvSF_
	.p2align	8
	.type	_ZN7rocprim17ROCPRIM_400000_NS6detail17trampoline_kernelINS0_14default_configENS1_38merge_sort_block_merge_config_selectorIsNS0_10empty_typeEEEZZNS1_27merge_sort_block_merge_implIS3_PsPS5_jNS1_19radix_merge_compareILb1ELb0EsNS0_19identity_decomposerEEEEE10hipError_tT0_T1_T2_jT3_P12ihipStream_tbPNSt15iterator_traitsISE_E10value_typeEPNSK_ISF_E10value_typeEPSG_NS1_7vsmem_tEENKUlT_SE_SF_SG_E_clIS8_S8_S9_S9_EESD_ST_SE_SF_SG_EUlST_E_NS1_11comp_targetILNS1_3genE9ELNS1_11target_archE1100ELNS1_3gpuE3ELNS1_3repE0EEENS1_48merge_mergepath_partition_config_static_selectorELNS0_4arch9wavefront6targetE0EEEvSF_,@function
_ZN7rocprim17ROCPRIM_400000_NS6detail17trampoline_kernelINS0_14default_configENS1_38merge_sort_block_merge_config_selectorIsNS0_10empty_typeEEEZZNS1_27merge_sort_block_merge_implIS3_PsPS5_jNS1_19radix_merge_compareILb1ELb0EsNS0_19identity_decomposerEEEEE10hipError_tT0_T1_T2_jT3_P12ihipStream_tbPNSt15iterator_traitsISE_E10value_typeEPNSK_ISF_E10value_typeEPSG_NS1_7vsmem_tEENKUlT_SE_SF_SG_E_clIS8_S8_S9_S9_EESD_ST_SE_SF_SG_EUlST_E_NS1_11comp_targetILNS1_3genE9ELNS1_11target_archE1100ELNS1_3gpuE3ELNS1_3repE0EEENS1_48merge_mergepath_partition_config_static_selectorELNS0_4arch9wavefront6targetE0EEEvSF_: ; @_ZN7rocprim17ROCPRIM_400000_NS6detail17trampoline_kernelINS0_14default_configENS1_38merge_sort_block_merge_config_selectorIsNS0_10empty_typeEEEZZNS1_27merge_sort_block_merge_implIS3_PsPS5_jNS1_19radix_merge_compareILb1ELb0EsNS0_19identity_decomposerEEEEE10hipError_tT0_T1_T2_jT3_P12ihipStream_tbPNSt15iterator_traitsISE_E10value_typeEPNSK_ISF_E10value_typeEPSG_NS1_7vsmem_tEENKUlT_SE_SF_SG_E_clIS8_S8_S9_S9_EESD_ST_SE_SF_SG_EUlST_E_NS1_11comp_targetILNS1_3genE9ELNS1_11target_archE1100ELNS1_3gpuE3ELNS1_3repE0EEENS1_48merge_mergepath_partition_config_static_selectorELNS0_4arch9wavefront6targetE0EEEvSF_
; %bb.0:
	.section	.rodata,"a",@progbits
	.p2align	6, 0x0
	.amdhsa_kernel _ZN7rocprim17ROCPRIM_400000_NS6detail17trampoline_kernelINS0_14default_configENS1_38merge_sort_block_merge_config_selectorIsNS0_10empty_typeEEEZZNS1_27merge_sort_block_merge_implIS3_PsPS5_jNS1_19radix_merge_compareILb1ELb0EsNS0_19identity_decomposerEEEEE10hipError_tT0_T1_T2_jT3_P12ihipStream_tbPNSt15iterator_traitsISE_E10value_typeEPNSK_ISF_E10value_typeEPSG_NS1_7vsmem_tEENKUlT_SE_SF_SG_E_clIS8_S8_S9_S9_EESD_ST_SE_SF_SG_EUlST_E_NS1_11comp_targetILNS1_3genE9ELNS1_11target_archE1100ELNS1_3gpuE3ELNS1_3repE0EEENS1_48merge_mergepath_partition_config_static_selectorELNS0_4arch9wavefront6targetE0EEEvSF_
		.amdhsa_group_segment_fixed_size 0
		.amdhsa_private_segment_fixed_size 0
		.amdhsa_kernarg_size 40
		.amdhsa_user_sgpr_count 2
		.amdhsa_user_sgpr_dispatch_ptr 0
		.amdhsa_user_sgpr_queue_ptr 0
		.amdhsa_user_sgpr_kernarg_segment_ptr 1
		.amdhsa_user_sgpr_dispatch_id 0
		.amdhsa_user_sgpr_kernarg_preload_length 0
		.amdhsa_user_sgpr_kernarg_preload_offset 0
		.amdhsa_user_sgpr_private_segment_size 0
		.amdhsa_wavefront_size32 1
		.amdhsa_uses_dynamic_stack 0
		.amdhsa_enable_private_segment 0
		.amdhsa_system_sgpr_workgroup_id_x 1
		.amdhsa_system_sgpr_workgroup_id_y 0
		.amdhsa_system_sgpr_workgroup_id_z 0
		.amdhsa_system_sgpr_workgroup_info 0
		.amdhsa_system_vgpr_workitem_id 0
		.amdhsa_next_free_vgpr 1
		.amdhsa_next_free_sgpr 1
		.amdhsa_named_barrier_count 0
		.amdhsa_reserve_vcc 0
		.amdhsa_float_round_mode_32 0
		.amdhsa_float_round_mode_16_64 0
		.amdhsa_float_denorm_mode_32 3
		.amdhsa_float_denorm_mode_16_64 3
		.amdhsa_fp16_overflow 0
		.amdhsa_memory_ordered 1
		.amdhsa_forward_progress 1
		.amdhsa_inst_pref_size 0
		.amdhsa_round_robin_scheduling 0
		.amdhsa_exception_fp_ieee_invalid_op 0
		.amdhsa_exception_fp_denorm_src 0
		.amdhsa_exception_fp_ieee_div_zero 0
		.amdhsa_exception_fp_ieee_overflow 0
		.amdhsa_exception_fp_ieee_underflow 0
		.amdhsa_exception_fp_ieee_inexact 0
		.amdhsa_exception_int_div_zero 0
	.end_amdhsa_kernel
	.section	.text._ZN7rocprim17ROCPRIM_400000_NS6detail17trampoline_kernelINS0_14default_configENS1_38merge_sort_block_merge_config_selectorIsNS0_10empty_typeEEEZZNS1_27merge_sort_block_merge_implIS3_PsPS5_jNS1_19radix_merge_compareILb1ELb0EsNS0_19identity_decomposerEEEEE10hipError_tT0_T1_T2_jT3_P12ihipStream_tbPNSt15iterator_traitsISE_E10value_typeEPNSK_ISF_E10value_typeEPSG_NS1_7vsmem_tEENKUlT_SE_SF_SG_E_clIS8_S8_S9_S9_EESD_ST_SE_SF_SG_EUlST_E_NS1_11comp_targetILNS1_3genE9ELNS1_11target_archE1100ELNS1_3gpuE3ELNS1_3repE0EEENS1_48merge_mergepath_partition_config_static_selectorELNS0_4arch9wavefront6targetE0EEEvSF_,"axG",@progbits,_ZN7rocprim17ROCPRIM_400000_NS6detail17trampoline_kernelINS0_14default_configENS1_38merge_sort_block_merge_config_selectorIsNS0_10empty_typeEEEZZNS1_27merge_sort_block_merge_implIS3_PsPS5_jNS1_19radix_merge_compareILb1ELb0EsNS0_19identity_decomposerEEEEE10hipError_tT0_T1_T2_jT3_P12ihipStream_tbPNSt15iterator_traitsISE_E10value_typeEPNSK_ISF_E10value_typeEPSG_NS1_7vsmem_tEENKUlT_SE_SF_SG_E_clIS8_S8_S9_S9_EESD_ST_SE_SF_SG_EUlST_E_NS1_11comp_targetILNS1_3genE9ELNS1_11target_archE1100ELNS1_3gpuE3ELNS1_3repE0EEENS1_48merge_mergepath_partition_config_static_selectorELNS0_4arch9wavefront6targetE0EEEvSF_,comdat
.Lfunc_end526:
	.size	_ZN7rocprim17ROCPRIM_400000_NS6detail17trampoline_kernelINS0_14default_configENS1_38merge_sort_block_merge_config_selectorIsNS0_10empty_typeEEEZZNS1_27merge_sort_block_merge_implIS3_PsPS5_jNS1_19radix_merge_compareILb1ELb0EsNS0_19identity_decomposerEEEEE10hipError_tT0_T1_T2_jT3_P12ihipStream_tbPNSt15iterator_traitsISE_E10value_typeEPNSK_ISF_E10value_typeEPSG_NS1_7vsmem_tEENKUlT_SE_SF_SG_E_clIS8_S8_S9_S9_EESD_ST_SE_SF_SG_EUlST_E_NS1_11comp_targetILNS1_3genE9ELNS1_11target_archE1100ELNS1_3gpuE3ELNS1_3repE0EEENS1_48merge_mergepath_partition_config_static_selectorELNS0_4arch9wavefront6targetE0EEEvSF_, .Lfunc_end526-_ZN7rocprim17ROCPRIM_400000_NS6detail17trampoline_kernelINS0_14default_configENS1_38merge_sort_block_merge_config_selectorIsNS0_10empty_typeEEEZZNS1_27merge_sort_block_merge_implIS3_PsPS5_jNS1_19radix_merge_compareILb1ELb0EsNS0_19identity_decomposerEEEEE10hipError_tT0_T1_T2_jT3_P12ihipStream_tbPNSt15iterator_traitsISE_E10value_typeEPNSK_ISF_E10value_typeEPSG_NS1_7vsmem_tEENKUlT_SE_SF_SG_E_clIS8_S8_S9_S9_EESD_ST_SE_SF_SG_EUlST_E_NS1_11comp_targetILNS1_3genE9ELNS1_11target_archE1100ELNS1_3gpuE3ELNS1_3repE0EEENS1_48merge_mergepath_partition_config_static_selectorELNS0_4arch9wavefront6targetE0EEEvSF_
                                        ; -- End function
	.set _ZN7rocprim17ROCPRIM_400000_NS6detail17trampoline_kernelINS0_14default_configENS1_38merge_sort_block_merge_config_selectorIsNS0_10empty_typeEEEZZNS1_27merge_sort_block_merge_implIS3_PsPS5_jNS1_19radix_merge_compareILb1ELb0EsNS0_19identity_decomposerEEEEE10hipError_tT0_T1_T2_jT3_P12ihipStream_tbPNSt15iterator_traitsISE_E10value_typeEPNSK_ISF_E10value_typeEPSG_NS1_7vsmem_tEENKUlT_SE_SF_SG_E_clIS8_S8_S9_S9_EESD_ST_SE_SF_SG_EUlST_E_NS1_11comp_targetILNS1_3genE9ELNS1_11target_archE1100ELNS1_3gpuE3ELNS1_3repE0EEENS1_48merge_mergepath_partition_config_static_selectorELNS0_4arch9wavefront6targetE0EEEvSF_.num_vgpr, 0
	.set _ZN7rocprim17ROCPRIM_400000_NS6detail17trampoline_kernelINS0_14default_configENS1_38merge_sort_block_merge_config_selectorIsNS0_10empty_typeEEEZZNS1_27merge_sort_block_merge_implIS3_PsPS5_jNS1_19radix_merge_compareILb1ELb0EsNS0_19identity_decomposerEEEEE10hipError_tT0_T1_T2_jT3_P12ihipStream_tbPNSt15iterator_traitsISE_E10value_typeEPNSK_ISF_E10value_typeEPSG_NS1_7vsmem_tEENKUlT_SE_SF_SG_E_clIS8_S8_S9_S9_EESD_ST_SE_SF_SG_EUlST_E_NS1_11comp_targetILNS1_3genE9ELNS1_11target_archE1100ELNS1_3gpuE3ELNS1_3repE0EEENS1_48merge_mergepath_partition_config_static_selectorELNS0_4arch9wavefront6targetE0EEEvSF_.num_agpr, 0
	.set _ZN7rocprim17ROCPRIM_400000_NS6detail17trampoline_kernelINS0_14default_configENS1_38merge_sort_block_merge_config_selectorIsNS0_10empty_typeEEEZZNS1_27merge_sort_block_merge_implIS3_PsPS5_jNS1_19radix_merge_compareILb1ELb0EsNS0_19identity_decomposerEEEEE10hipError_tT0_T1_T2_jT3_P12ihipStream_tbPNSt15iterator_traitsISE_E10value_typeEPNSK_ISF_E10value_typeEPSG_NS1_7vsmem_tEENKUlT_SE_SF_SG_E_clIS8_S8_S9_S9_EESD_ST_SE_SF_SG_EUlST_E_NS1_11comp_targetILNS1_3genE9ELNS1_11target_archE1100ELNS1_3gpuE3ELNS1_3repE0EEENS1_48merge_mergepath_partition_config_static_selectorELNS0_4arch9wavefront6targetE0EEEvSF_.numbered_sgpr, 0
	.set _ZN7rocprim17ROCPRIM_400000_NS6detail17trampoline_kernelINS0_14default_configENS1_38merge_sort_block_merge_config_selectorIsNS0_10empty_typeEEEZZNS1_27merge_sort_block_merge_implIS3_PsPS5_jNS1_19radix_merge_compareILb1ELb0EsNS0_19identity_decomposerEEEEE10hipError_tT0_T1_T2_jT3_P12ihipStream_tbPNSt15iterator_traitsISE_E10value_typeEPNSK_ISF_E10value_typeEPSG_NS1_7vsmem_tEENKUlT_SE_SF_SG_E_clIS8_S8_S9_S9_EESD_ST_SE_SF_SG_EUlST_E_NS1_11comp_targetILNS1_3genE9ELNS1_11target_archE1100ELNS1_3gpuE3ELNS1_3repE0EEENS1_48merge_mergepath_partition_config_static_selectorELNS0_4arch9wavefront6targetE0EEEvSF_.num_named_barrier, 0
	.set _ZN7rocprim17ROCPRIM_400000_NS6detail17trampoline_kernelINS0_14default_configENS1_38merge_sort_block_merge_config_selectorIsNS0_10empty_typeEEEZZNS1_27merge_sort_block_merge_implIS3_PsPS5_jNS1_19radix_merge_compareILb1ELb0EsNS0_19identity_decomposerEEEEE10hipError_tT0_T1_T2_jT3_P12ihipStream_tbPNSt15iterator_traitsISE_E10value_typeEPNSK_ISF_E10value_typeEPSG_NS1_7vsmem_tEENKUlT_SE_SF_SG_E_clIS8_S8_S9_S9_EESD_ST_SE_SF_SG_EUlST_E_NS1_11comp_targetILNS1_3genE9ELNS1_11target_archE1100ELNS1_3gpuE3ELNS1_3repE0EEENS1_48merge_mergepath_partition_config_static_selectorELNS0_4arch9wavefront6targetE0EEEvSF_.private_seg_size, 0
	.set _ZN7rocprim17ROCPRIM_400000_NS6detail17trampoline_kernelINS0_14default_configENS1_38merge_sort_block_merge_config_selectorIsNS0_10empty_typeEEEZZNS1_27merge_sort_block_merge_implIS3_PsPS5_jNS1_19radix_merge_compareILb1ELb0EsNS0_19identity_decomposerEEEEE10hipError_tT0_T1_T2_jT3_P12ihipStream_tbPNSt15iterator_traitsISE_E10value_typeEPNSK_ISF_E10value_typeEPSG_NS1_7vsmem_tEENKUlT_SE_SF_SG_E_clIS8_S8_S9_S9_EESD_ST_SE_SF_SG_EUlST_E_NS1_11comp_targetILNS1_3genE9ELNS1_11target_archE1100ELNS1_3gpuE3ELNS1_3repE0EEENS1_48merge_mergepath_partition_config_static_selectorELNS0_4arch9wavefront6targetE0EEEvSF_.uses_vcc, 0
	.set _ZN7rocprim17ROCPRIM_400000_NS6detail17trampoline_kernelINS0_14default_configENS1_38merge_sort_block_merge_config_selectorIsNS0_10empty_typeEEEZZNS1_27merge_sort_block_merge_implIS3_PsPS5_jNS1_19radix_merge_compareILb1ELb0EsNS0_19identity_decomposerEEEEE10hipError_tT0_T1_T2_jT3_P12ihipStream_tbPNSt15iterator_traitsISE_E10value_typeEPNSK_ISF_E10value_typeEPSG_NS1_7vsmem_tEENKUlT_SE_SF_SG_E_clIS8_S8_S9_S9_EESD_ST_SE_SF_SG_EUlST_E_NS1_11comp_targetILNS1_3genE9ELNS1_11target_archE1100ELNS1_3gpuE3ELNS1_3repE0EEENS1_48merge_mergepath_partition_config_static_selectorELNS0_4arch9wavefront6targetE0EEEvSF_.uses_flat_scratch, 0
	.set _ZN7rocprim17ROCPRIM_400000_NS6detail17trampoline_kernelINS0_14default_configENS1_38merge_sort_block_merge_config_selectorIsNS0_10empty_typeEEEZZNS1_27merge_sort_block_merge_implIS3_PsPS5_jNS1_19radix_merge_compareILb1ELb0EsNS0_19identity_decomposerEEEEE10hipError_tT0_T1_T2_jT3_P12ihipStream_tbPNSt15iterator_traitsISE_E10value_typeEPNSK_ISF_E10value_typeEPSG_NS1_7vsmem_tEENKUlT_SE_SF_SG_E_clIS8_S8_S9_S9_EESD_ST_SE_SF_SG_EUlST_E_NS1_11comp_targetILNS1_3genE9ELNS1_11target_archE1100ELNS1_3gpuE3ELNS1_3repE0EEENS1_48merge_mergepath_partition_config_static_selectorELNS0_4arch9wavefront6targetE0EEEvSF_.has_dyn_sized_stack, 0
	.set _ZN7rocprim17ROCPRIM_400000_NS6detail17trampoline_kernelINS0_14default_configENS1_38merge_sort_block_merge_config_selectorIsNS0_10empty_typeEEEZZNS1_27merge_sort_block_merge_implIS3_PsPS5_jNS1_19radix_merge_compareILb1ELb0EsNS0_19identity_decomposerEEEEE10hipError_tT0_T1_T2_jT3_P12ihipStream_tbPNSt15iterator_traitsISE_E10value_typeEPNSK_ISF_E10value_typeEPSG_NS1_7vsmem_tEENKUlT_SE_SF_SG_E_clIS8_S8_S9_S9_EESD_ST_SE_SF_SG_EUlST_E_NS1_11comp_targetILNS1_3genE9ELNS1_11target_archE1100ELNS1_3gpuE3ELNS1_3repE0EEENS1_48merge_mergepath_partition_config_static_selectorELNS0_4arch9wavefront6targetE0EEEvSF_.has_recursion, 0
	.set _ZN7rocprim17ROCPRIM_400000_NS6detail17trampoline_kernelINS0_14default_configENS1_38merge_sort_block_merge_config_selectorIsNS0_10empty_typeEEEZZNS1_27merge_sort_block_merge_implIS3_PsPS5_jNS1_19radix_merge_compareILb1ELb0EsNS0_19identity_decomposerEEEEE10hipError_tT0_T1_T2_jT3_P12ihipStream_tbPNSt15iterator_traitsISE_E10value_typeEPNSK_ISF_E10value_typeEPSG_NS1_7vsmem_tEENKUlT_SE_SF_SG_E_clIS8_S8_S9_S9_EESD_ST_SE_SF_SG_EUlST_E_NS1_11comp_targetILNS1_3genE9ELNS1_11target_archE1100ELNS1_3gpuE3ELNS1_3repE0EEENS1_48merge_mergepath_partition_config_static_selectorELNS0_4arch9wavefront6targetE0EEEvSF_.has_indirect_call, 0
	.section	.AMDGPU.csdata,"",@progbits
; Kernel info:
; codeLenInByte = 0
; TotalNumSgprs: 0
; NumVgprs: 0
; ScratchSize: 0
; MemoryBound: 0
; FloatMode: 240
; IeeeMode: 1
; LDSByteSize: 0 bytes/workgroup (compile time only)
; SGPRBlocks: 0
; VGPRBlocks: 0
; NumSGPRsForWavesPerEU: 1
; NumVGPRsForWavesPerEU: 1
; NamedBarCnt: 0
; Occupancy: 16
; WaveLimiterHint : 0
; COMPUTE_PGM_RSRC2:SCRATCH_EN: 0
; COMPUTE_PGM_RSRC2:USER_SGPR: 2
; COMPUTE_PGM_RSRC2:TRAP_HANDLER: 0
; COMPUTE_PGM_RSRC2:TGID_X_EN: 1
; COMPUTE_PGM_RSRC2:TGID_Y_EN: 0
; COMPUTE_PGM_RSRC2:TGID_Z_EN: 0
; COMPUTE_PGM_RSRC2:TIDIG_COMP_CNT: 0
	.section	.text._ZN7rocprim17ROCPRIM_400000_NS6detail17trampoline_kernelINS0_14default_configENS1_38merge_sort_block_merge_config_selectorIsNS0_10empty_typeEEEZZNS1_27merge_sort_block_merge_implIS3_PsPS5_jNS1_19radix_merge_compareILb1ELb0EsNS0_19identity_decomposerEEEEE10hipError_tT0_T1_T2_jT3_P12ihipStream_tbPNSt15iterator_traitsISE_E10value_typeEPNSK_ISF_E10value_typeEPSG_NS1_7vsmem_tEENKUlT_SE_SF_SG_E_clIS8_S8_S9_S9_EESD_ST_SE_SF_SG_EUlST_E_NS1_11comp_targetILNS1_3genE8ELNS1_11target_archE1030ELNS1_3gpuE2ELNS1_3repE0EEENS1_48merge_mergepath_partition_config_static_selectorELNS0_4arch9wavefront6targetE0EEEvSF_,"axG",@progbits,_ZN7rocprim17ROCPRIM_400000_NS6detail17trampoline_kernelINS0_14default_configENS1_38merge_sort_block_merge_config_selectorIsNS0_10empty_typeEEEZZNS1_27merge_sort_block_merge_implIS3_PsPS5_jNS1_19radix_merge_compareILb1ELb0EsNS0_19identity_decomposerEEEEE10hipError_tT0_T1_T2_jT3_P12ihipStream_tbPNSt15iterator_traitsISE_E10value_typeEPNSK_ISF_E10value_typeEPSG_NS1_7vsmem_tEENKUlT_SE_SF_SG_E_clIS8_S8_S9_S9_EESD_ST_SE_SF_SG_EUlST_E_NS1_11comp_targetILNS1_3genE8ELNS1_11target_archE1030ELNS1_3gpuE2ELNS1_3repE0EEENS1_48merge_mergepath_partition_config_static_selectorELNS0_4arch9wavefront6targetE0EEEvSF_,comdat
	.protected	_ZN7rocprim17ROCPRIM_400000_NS6detail17trampoline_kernelINS0_14default_configENS1_38merge_sort_block_merge_config_selectorIsNS0_10empty_typeEEEZZNS1_27merge_sort_block_merge_implIS3_PsPS5_jNS1_19radix_merge_compareILb1ELb0EsNS0_19identity_decomposerEEEEE10hipError_tT0_T1_T2_jT3_P12ihipStream_tbPNSt15iterator_traitsISE_E10value_typeEPNSK_ISF_E10value_typeEPSG_NS1_7vsmem_tEENKUlT_SE_SF_SG_E_clIS8_S8_S9_S9_EESD_ST_SE_SF_SG_EUlST_E_NS1_11comp_targetILNS1_3genE8ELNS1_11target_archE1030ELNS1_3gpuE2ELNS1_3repE0EEENS1_48merge_mergepath_partition_config_static_selectorELNS0_4arch9wavefront6targetE0EEEvSF_ ; -- Begin function _ZN7rocprim17ROCPRIM_400000_NS6detail17trampoline_kernelINS0_14default_configENS1_38merge_sort_block_merge_config_selectorIsNS0_10empty_typeEEEZZNS1_27merge_sort_block_merge_implIS3_PsPS5_jNS1_19radix_merge_compareILb1ELb0EsNS0_19identity_decomposerEEEEE10hipError_tT0_T1_T2_jT3_P12ihipStream_tbPNSt15iterator_traitsISE_E10value_typeEPNSK_ISF_E10value_typeEPSG_NS1_7vsmem_tEENKUlT_SE_SF_SG_E_clIS8_S8_S9_S9_EESD_ST_SE_SF_SG_EUlST_E_NS1_11comp_targetILNS1_3genE8ELNS1_11target_archE1030ELNS1_3gpuE2ELNS1_3repE0EEENS1_48merge_mergepath_partition_config_static_selectorELNS0_4arch9wavefront6targetE0EEEvSF_
	.globl	_ZN7rocprim17ROCPRIM_400000_NS6detail17trampoline_kernelINS0_14default_configENS1_38merge_sort_block_merge_config_selectorIsNS0_10empty_typeEEEZZNS1_27merge_sort_block_merge_implIS3_PsPS5_jNS1_19radix_merge_compareILb1ELb0EsNS0_19identity_decomposerEEEEE10hipError_tT0_T1_T2_jT3_P12ihipStream_tbPNSt15iterator_traitsISE_E10value_typeEPNSK_ISF_E10value_typeEPSG_NS1_7vsmem_tEENKUlT_SE_SF_SG_E_clIS8_S8_S9_S9_EESD_ST_SE_SF_SG_EUlST_E_NS1_11comp_targetILNS1_3genE8ELNS1_11target_archE1030ELNS1_3gpuE2ELNS1_3repE0EEENS1_48merge_mergepath_partition_config_static_selectorELNS0_4arch9wavefront6targetE0EEEvSF_
	.p2align	8
	.type	_ZN7rocprim17ROCPRIM_400000_NS6detail17trampoline_kernelINS0_14default_configENS1_38merge_sort_block_merge_config_selectorIsNS0_10empty_typeEEEZZNS1_27merge_sort_block_merge_implIS3_PsPS5_jNS1_19radix_merge_compareILb1ELb0EsNS0_19identity_decomposerEEEEE10hipError_tT0_T1_T2_jT3_P12ihipStream_tbPNSt15iterator_traitsISE_E10value_typeEPNSK_ISF_E10value_typeEPSG_NS1_7vsmem_tEENKUlT_SE_SF_SG_E_clIS8_S8_S9_S9_EESD_ST_SE_SF_SG_EUlST_E_NS1_11comp_targetILNS1_3genE8ELNS1_11target_archE1030ELNS1_3gpuE2ELNS1_3repE0EEENS1_48merge_mergepath_partition_config_static_selectorELNS0_4arch9wavefront6targetE0EEEvSF_,@function
_ZN7rocprim17ROCPRIM_400000_NS6detail17trampoline_kernelINS0_14default_configENS1_38merge_sort_block_merge_config_selectorIsNS0_10empty_typeEEEZZNS1_27merge_sort_block_merge_implIS3_PsPS5_jNS1_19radix_merge_compareILb1ELb0EsNS0_19identity_decomposerEEEEE10hipError_tT0_T1_T2_jT3_P12ihipStream_tbPNSt15iterator_traitsISE_E10value_typeEPNSK_ISF_E10value_typeEPSG_NS1_7vsmem_tEENKUlT_SE_SF_SG_E_clIS8_S8_S9_S9_EESD_ST_SE_SF_SG_EUlST_E_NS1_11comp_targetILNS1_3genE8ELNS1_11target_archE1030ELNS1_3gpuE2ELNS1_3repE0EEENS1_48merge_mergepath_partition_config_static_selectorELNS0_4arch9wavefront6targetE0EEEvSF_: ; @_ZN7rocprim17ROCPRIM_400000_NS6detail17trampoline_kernelINS0_14default_configENS1_38merge_sort_block_merge_config_selectorIsNS0_10empty_typeEEEZZNS1_27merge_sort_block_merge_implIS3_PsPS5_jNS1_19radix_merge_compareILb1ELb0EsNS0_19identity_decomposerEEEEE10hipError_tT0_T1_T2_jT3_P12ihipStream_tbPNSt15iterator_traitsISE_E10value_typeEPNSK_ISF_E10value_typeEPSG_NS1_7vsmem_tEENKUlT_SE_SF_SG_E_clIS8_S8_S9_S9_EESD_ST_SE_SF_SG_EUlST_E_NS1_11comp_targetILNS1_3genE8ELNS1_11target_archE1030ELNS1_3gpuE2ELNS1_3repE0EEENS1_48merge_mergepath_partition_config_static_selectorELNS0_4arch9wavefront6targetE0EEEvSF_
; %bb.0:
	.section	.rodata,"a",@progbits
	.p2align	6, 0x0
	.amdhsa_kernel _ZN7rocprim17ROCPRIM_400000_NS6detail17trampoline_kernelINS0_14default_configENS1_38merge_sort_block_merge_config_selectorIsNS0_10empty_typeEEEZZNS1_27merge_sort_block_merge_implIS3_PsPS5_jNS1_19radix_merge_compareILb1ELb0EsNS0_19identity_decomposerEEEEE10hipError_tT0_T1_T2_jT3_P12ihipStream_tbPNSt15iterator_traitsISE_E10value_typeEPNSK_ISF_E10value_typeEPSG_NS1_7vsmem_tEENKUlT_SE_SF_SG_E_clIS8_S8_S9_S9_EESD_ST_SE_SF_SG_EUlST_E_NS1_11comp_targetILNS1_3genE8ELNS1_11target_archE1030ELNS1_3gpuE2ELNS1_3repE0EEENS1_48merge_mergepath_partition_config_static_selectorELNS0_4arch9wavefront6targetE0EEEvSF_
		.amdhsa_group_segment_fixed_size 0
		.amdhsa_private_segment_fixed_size 0
		.amdhsa_kernarg_size 40
		.amdhsa_user_sgpr_count 2
		.amdhsa_user_sgpr_dispatch_ptr 0
		.amdhsa_user_sgpr_queue_ptr 0
		.amdhsa_user_sgpr_kernarg_segment_ptr 1
		.amdhsa_user_sgpr_dispatch_id 0
		.amdhsa_user_sgpr_kernarg_preload_length 0
		.amdhsa_user_sgpr_kernarg_preload_offset 0
		.amdhsa_user_sgpr_private_segment_size 0
		.amdhsa_wavefront_size32 1
		.amdhsa_uses_dynamic_stack 0
		.amdhsa_enable_private_segment 0
		.amdhsa_system_sgpr_workgroup_id_x 1
		.amdhsa_system_sgpr_workgroup_id_y 0
		.amdhsa_system_sgpr_workgroup_id_z 0
		.amdhsa_system_sgpr_workgroup_info 0
		.amdhsa_system_vgpr_workitem_id 0
		.amdhsa_next_free_vgpr 1
		.amdhsa_next_free_sgpr 1
		.amdhsa_named_barrier_count 0
		.amdhsa_reserve_vcc 0
		.amdhsa_float_round_mode_32 0
		.amdhsa_float_round_mode_16_64 0
		.amdhsa_float_denorm_mode_32 3
		.amdhsa_float_denorm_mode_16_64 3
		.amdhsa_fp16_overflow 0
		.amdhsa_memory_ordered 1
		.amdhsa_forward_progress 1
		.amdhsa_inst_pref_size 0
		.amdhsa_round_robin_scheduling 0
		.amdhsa_exception_fp_ieee_invalid_op 0
		.amdhsa_exception_fp_denorm_src 0
		.amdhsa_exception_fp_ieee_div_zero 0
		.amdhsa_exception_fp_ieee_overflow 0
		.amdhsa_exception_fp_ieee_underflow 0
		.amdhsa_exception_fp_ieee_inexact 0
		.amdhsa_exception_int_div_zero 0
	.end_amdhsa_kernel
	.section	.text._ZN7rocprim17ROCPRIM_400000_NS6detail17trampoline_kernelINS0_14default_configENS1_38merge_sort_block_merge_config_selectorIsNS0_10empty_typeEEEZZNS1_27merge_sort_block_merge_implIS3_PsPS5_jNS1_19radix_merge_compareILb1ELb0EsNS0_19identity_decomposerEEEEE10hipError_tT0_T1_T2_jT3_P12ihipStream_tbPNSt15iterator_traitsISE_E10value_typeEPNSK_ISF_E10value_typeEPSG_NS1_7vsmem_tEENKUlT_SE_SF_SG_E_clIS8_S8_S9_S9_EESD_ST_SE_SF_SG_EUlST_E_NS1_11comp_targetILNS1_3genE8ELNS1_11target_archE1030ELNS1_3gpuE2ELNS1_3repE0EEENS1_48merge_mergepath_partition_config_static_selectorELNS0_4arch9wavefront6targetE0EEEvSF_,"axG",@progbits,_ZN7rocprim17ROCPRIM_400000_NS6detail17trampoline_kernelINS0_14default_configENS1_38merge_sort_block_merge_config_selectorIsNS0_10empty_typeEEEZZNS1_27merge_sort_block_merge_implIS3_PsPS5_jNS1_19radix_merge_compareILb1ELb0EsNS0_19identity_decomposerEEEEE10hipError_tT0_T1_T2_jT3_P12ihipStream_tbPNSt15iterator_traitsISE_E10value_typeEPNSK_ISF_E10value_typeEPSG_NS1_7vsmem_tEENKUlT_SE_SF_SG_E_clIS8_S8_S9_S9_EESD_ST_SE_SF_SG_EUlST_E_NS1_11comp_targetILNS1_3genE8ELNS1_11target_archE1030ELNS1_3gpuE2ELNS1_3repE0EEENS1_48merge_mergepath_partition_config_static_selectorELNS0_4arch9wavefront6targetE0EEEvSF_,comdat
.Lfunc_end527:
	.size	_ZN7rocprim17ROCPRIM_400000_NS6detail17trampoline_kernelINS0_14default_configENS1_38merge_sort_block_merge_config_selectorIsNS0_10empty_typeEEEZZNS1_27merge_sort_block_merge_implIS3_PsPS5_jNS1_19radix_merge_compareILb1ELb0EsNS0_19identity_decomposerEEEEE10hipError_tT0_T1_T2_jT3_P12ihipStream_tbPNSt15iterator_traitsISE_E10value_typeEPNSK_ISF_E10value_typeEPSG_NS1_7vsmem_tEENKUlT_SE_SF_SG_E_clIS8_S8_S9_S9_EESD_ST_SE_SF_SG_EUlST_E_NS1_11comp_targetILNS1_3genE8ELNS1_11target_archE1030ELNS1_3gpuE2ELNS1_3repE0EEENS1_48merge_mergepath_partition_config_static_selectorELNS0_4arch9wavefront6targetE0EEEvSF_, .Lfunc_end527-_ZN7rocprim17ROCPRIM_400000_NS6detail17trampoline_kernelINS0_14default_configENS1_38merge_sort_block_merge_config_selectorIsNS0_10empty_typeEEEZZNS1_27merge_sort_block_merge_implIS3_PsPS5_jNS1_19radix_merge_compareILb1ELb0EsNS0_19identity_decomposerEEEEE10hipError_tT0_T1_T2_jT3_P12ihipStream_tbPNSt15iterator_traitsISE_E10value_typeEPNSK_ISF_E10value_typeEPSG_NS1_7vsmem_tEENKUlT_SE_SF_SG_E_clIS8_S8_S9_S9_EESD_ST_SE_SF_SG_EUlST_E_NS1_11comp_targetILNS1_3genE8ELNS1_11target_archE1030ELNS1_3gpuE2ELNS1_3repE0EEENS1_48merge_mergepath_partition_config_static_selectorELNS0_4arch9wavefront6targetE0EEEvSF_
                                        ; -- End function
	.set _ZN7rocprim17ROCPRIM_400000_NS6detail17trampoline_kernelINS0_14default_configENS1_38merge_sort_block_merge_config_selectorIsNS0_10empty_typeEEEZZNS1_27merge_sort_block_merge_implIS3_PsPS5_jNS1_19radix_merge_compareILb1ELb0EsNS0_19identity_decomposerEEEEE10hipError_tT0_T1_T2_jT3_P12ihipStream_tbPNSt15iterator_traitsISE_E10value_typeEPNSK_ISF_E10value_typeEPSG_NS1_7vsmem_tEENKUlT_SE_SF_SG_E_clIS8_S8_S9_S9_EESD_ST_SE_SF_SG_EUlST_E_NS1_11comp_targetILNS1_3genE8ELNS1_11target_archE1030ELNS1_3gpuE2ELNS1_3repE0EEENS1_48merge_mergepath_partition_config_static_selectorELNS0_4arch9wavefront6targetE0EEEvSF_.num_vgpr, 0
	.set _ZN7rocprim17ROCPRIM_400000_NS6detail17trampoline_kernelINS0_14default_configENS1_38merge_sort_block_merge_config_selectorIsNS0_10empty_typeEEEZZNS1_27merge_sort_block_merge_implIS3_PsPS5_jNS1_19radix_merge_compareILb1ELb0EsNS0_19identity_decomposerEEEEE10hipError_tT0_T1_T2_jT3_P12ihipStream_tbPNSt15iterator_traitsISE_E10value_typeEPNSK_ISF_E10value_typeEPSG_NS1_7vsmem_tEENKUlT_SE_SF_SG_E_clIS8_S8_S9_S9_EESD_ST_SE_SF_SG_EUlST_E_NS1_11comp_targetILNS1_3genE8ELNS1_11target_archE1030ELNS1_3gpuE2ELNS1_3repE0EEENS1_48merge_mergepath_partition_config_static_selectorELNS0_4arch9wavefront6targetE0EEEvSF_.num_agpr, 0
	.set _ZN7rocprim17ROCPRIM_400000_NS6detail17trampoline_kernelINS0_14default_configENS1_38merge_sort_block_merge_config_selectorIsNS0_10empty_typeEEEZZNS1_27merge_sort_block_merge_implIS3_PsPS5_jNS1_19radix_merge_compareILb1ELb0EsNS0_19identity_decomposerEEEEE10hipError_tT0_T1_T2_jT3_P12ihipStream_tbPNSt15iterator_traitsISE_E10value_typeEPNSK_ISF_E10value_typeEPSG_NS1_7vsmem_tEENKUlT_SE_SF_SG_E_clIS8_S8_S9_S9_EESD_ST_SE_SF_SG_EUlST_E_NS1_11comp_targetILNS1_3genE8ELNS1_11target_archE1030ELNS1_3gpuE2ELNS1_3repE0EEENS1_48merge_mergepath_partition_config_static_selectorELNS0_4arch9wavefront6targetE0EEEvSF_.numbered_sgpr, 0
	.set _ZN7rocprim17ROCPRIM_400000_NS6detail17trampoline_kernelINS0_14default_configENS1_38merge_sort_block_merge_config_selectorIsNS0_10empty_typeEEEZZNS1_27merge_sort_block_merge_implIS3_PsPS5_jNS1_19radix_merge_compareILb1ELb0EsNS0_19identity_decomposerEEEEE10hipError_tT0_T1_T2_jT3_P12ihipStream_tbPNSt15iterator_traitsISE_E10value_typeEPNSK_ISF_E10value_typeEPSG_NS1_7vsmem_tEENKUlT_SE_SF_SG_E_clIS8_S8_S9_S9_EESD_ST_SE_SF_SG_EUlST_E_NS1_11comp_targetILNS1_3genE8ELNS1_11target_archE1030ELNS1_3gpuE2ELNS1_3repE0EEENS1_48merge_mergepath_partition_config_static_selectorELNS0_4arch9wavefront6targetE0EEEvSF_.num_named_barrier, 0
	.set _ZN7rocprim17ROCPRIM_400000_NS6detail17trampoline_kernelINS0_14default_configENS1_38merge_sort_block_merge_config_selectorIsNS0_10empty_typeEEEZZNS1_27merge_sort_block_merge_implIS3_PsPS5_jNS1_19radix_merge_compareILb1ELb0EsNS0_19identity_decomposerEEEEE10hipError_tT0_T1_T2_jT3_P12ihipStream_tbPNSt15iterator_traitsISE_E10value_typeEPNSK_ISF_E10value_typeEPSG_NS1_7vsmem_tEENKUlT_SE_SF_SG_E_clIS8_S8_S9_S9_EESD_ST_SE_SF_SG_EUlST_E_NS1_11comp_targetILNS1_3genE8ELNS1_11target_archE1030ELNS1_3gpuE2ELNS1_3repE0EEENS1_48merge_mergepath_partition_config_static_selectorELNS0_4arch9wavefront6targetE0EEEvSF_.private_seg_size, 0
	.set _ZN7rocprim17ROCPRIM_400000_NS6detail17trampoline_kernelINS0_14default_configENS1_38merge_sort_block_merge_config_selectorIsNS0_10empty_typeEEEZZNS1_27merge_sort_block_merge_implIS3_PsPS5_jNS1_19radix_merge_compareILb1ELb0EsNS0_19identity_decomposerEEEEE10hipError_tT0_T1_T2_jT3_P12ihipStream_tbPNSt15iterator_traitsISE_E10value_typeEPNSK_ISF_E10value_typeEPSG_NS1_7vsmem_tEENKUlT_SE_SF_SG_E_clIS8_S8_S9_S9_EESD_ST_SE_SF_SG_EUlST_E_NS1_11comp_targetILNS1_3genE8ELNS1_11target_archE1030ELNS1_3gpuE2ELNS1_3repE0EEENS1_48merge_mergepath_partition_config_static_selectorELNS0_4arch9wavefront6targetE0EEEvSF_.uses_vcc, 0
	.set _ZN7rocprim17ROCPRIM_400000_NS6detail17trampoline_kernelINS0_14default_configENS1_38merge_sort_block_merge_config_selectorIsNS0_10empty_typeEEEZZNS1_27merge_sort_block_merge_implIS3_PsPS5_jNS1_19radix_merge_compareILb1ELb0EsNS0_19identity_decomposerEEEEE10hipError_tT0_T1_T2_jT3_P12ihipStream_tbPNSt15iterator_traitsISE_E10value_typeEPNSK_ISF_E10value_typeEPSG_NS1_7vsmem_tEENKUlT_SE_SF_SG_E_clIS8_S8_S9_S9_EESD_ST_SE_SF_SG_EUlST_E_NS1_11comp_targetILNS1_3genE8ELNS1_11target_archE1030ELNS1_3gpuE2ELNS1_3repE0EEENS1_48merge_mergepath_partition_config_static_selectorELNS0_4arch9wavefront6targetE0EEEvSF_.uses_flat_scratch, 0
	.set _ZN7rocprim17ROCPRIM_400000_NS6detail17trampoline_kernelINS0_14default_configENS1_38merge_sort_block_merge_config_selectorIsNS0_10empty_typeEEEZZNS1_27merge_sort_block_merge_implIS3_PsPS5_jNS1_19radix_merge_compareILb1ELb0EsNS0_19identity_decomposerEEEEE10hipError_tT0_T1_T2_jT3_P12ihipStream_tbPNSt15iterator_traitsISE_E10value_typeEPNSK_ISF_E10value_typeEPSG_NS1_7vsmem_tEENKUlT_SE_SF_SG_E_clIS8_S8_S9_S9_EESD_ST_SE_SF_SG_EUlST_E_NS1_11comp_targetILNS1_3genE8ELNS1_11target_archE1030ELNS1_3gpuE2ELNS1_3repE0EEENS1_48merge_mergepath_partition_config_static_selectorELNS0_4arch9wavefront6targetE0EEEvSF_.has_dyn_sized_stack, 0
	.set _ZN7rocprim17ROCPRIM_400000_NS6detail17trampoline_kernelINS0_14default_configENS1_38merge_sort_block_merge_config_selectorIsNS0_10empty_typeEEEZZNS1_27merge_sort_block_merge_implIS3_PsPS5_jNS1_19radix_merge_compareILb1ELb0EsNS0_19identity_decomposerEEEEE10hipError_tT0_T1_T2_jT3_P12ihipStream_tbPNSt15iterator_traitsISE_E10value_typeEPNSK_ISF_E10value_typeEPSG_NS1_7vsmem_tEENKUlT_SE_SF_SG_E_clIS8_S8_S9_S9_EESD_ST_SE_SF_SG_EUlST_E_NS1_11comp_targetILNS1_3genE8ELNS1_11target_archE1030ELNS1_3gpuE2ELNS1_3repE0EEENS1_48merge_mergepath_partition_config_static_selectorELNS0_4arch9wavefront6targetE0EEEvSF_.has_recursion, 0
	.set _ZN7rocprim17ROCPRIM_400000_NS6detail17trampoline_kernelINS0_14default_configENS1_38merge_sort_block_merge_config_selectorIsNS0_10empty_typeEEEZZNS1_27merge_sort_block_merge_implIS3_PsPS5_jNS1_19radix_merge_compareILb1ELb0EsNS0_19identity_decomposerEEEEE10hipError_tT0_T1_T2_jT3_P12ihipStream_tbPNSt15iterator_traitsISE_E10value_typeEPNSK_ISF_E10value_typeEPSG_NS1_7vsmem_tEENKUlT_SE_SF_SG_E_clIS8_S8_S9_S9_EESD_ST_SE_SF_SG_EUlST_E_NS1_11comp_targetILNS1_3genE8ELNS1_11target_archE1030ELNS1_3gpuE2ELNS1_3repE0EEENS1_48merge_mergepath_partition_config_static_selectorELNS0_4arch9wavefront6targetE0EEEvSF_.has_indirect_call, 0
	.section	.AMDGPU.csdata,"",@progbits
; Kernel info:
; codeLenInByte = 0
; TotalNumSgprs: 0
; NumVgprs: 0
; ScratchSize: 0
; MemoryBound: 0
; FloatMode: 240
; IeeeMode: 1
; LDSByteSize: 0 bytes/workgroup (compile time only)
; SGPRBlocks: 0
; VGPRBlocks: 0
; NumSGPRsForWavesPerEU: 1
; NumVGPRsForWavesPerEU: 1
; NamedBarCnt: 0
; Occupancy: 16
; WaveLimiterHint : 0
; COMPUTE_PGM_RSRC2:SCRATCH_EN: 0
; COMPUTE_PGM_RSRC2:USER_SGPR: 2
; COMPUTE_PGM_RSRC2:TRAP_HANDLER: 0
; COMPUTE_PGM_RSRC2:TGID_X_EN: 1
; COMPUTE_PGM_RSRC2:TGID_Y_EN: 0
; COMPUTE_PGM_RSRC2:TGID_Z_EN: 0
; COMPUTE_PGM_RSRC2:TIDIG_COMP_CNT: 0
	.section	.text._ZN7rocprim17ROCPRIM_400000_NS6detail17trampoline_kernelINS0_14default_configENS1_38merge_sort_block_merge_config_selectorIsNS0_10empty_typeEEEZZNS1_27merge_sort_block_merge_implIS3_PsPS5_jNS1_19radix_merge_compareILb1ELb0EsNS0_19identity_decomposerEEEEE10hipError_tT0_T1_T2_jT3_P12ihipStream_tbPNSt15iterator_traitsISE_E10value_typeEPNSK_ISF_E10value_typeEPSG_NS1_7vsmem_tEENKUlT_SE_SF_SG_E_clIS8_S8_S9_S9_EESD_ST_SE_SF_SG_EUlST_E0_NS1_11comp_targetILNS1_3genE0ELNS1_11target_archE4294967295ELNS1_3gpuE0ELNS1_3repE0EEENS1_38merge_mergepath_config_static_selectorELNS0_4arch9wavefront6targetE0EEEvSF_,"axG",@progbits,_ZN7rocprim17ROCPRIM_400000_NS6detail17trampoline_kernelINS0_14default_configENS1_38merge_sort_block_merge_config_selectorIsNS0_10empty_typeEEEZZNS1_27merge_sort_block_merge_implIS3_PsPS5_jNS1_19radix_merge_compareILb1ELb0EsNS0_19identity_decomposerEEEEE10hipError_tT0_T1_T2_jT3_P12ihipStream_tbPNSt15iterator_traitsISE_E10value_typeEPNSK_ISF_E10value_typeEPSG_NS1_7vsmem_tEENKUlT_SE_SF_SG_E_clIS8_S8_S9_S9_EESD_ST_SE_SF_SG_EUlST_E0_NS1_11comp_targetILNS1_3genE0ELNS1_11target_archE4294967295ELNS1_3gpuE0ELNS1_3repE0EEENS1_38merge_mergepath_config_static_selectorELNS0_4arch9wavefront6targetE0EEEvSF_,comdat
	.protected	_ZN7rocprim17ROCPRIM_400000_NS6detail17trampoline_kernelINS0_14default_configENS1_38merge_sort_block_merge_config_selectorIsNS0_10empty_typeEEEZZNS1_27merge_sort_block_merge_implIS3_PsPS5_jNS1_19radix_merge_compareILb1ELb0EsNS0_19identity_decomposerEEEEE10hipError_tT0_T1_T2_jT3_P12ihipStream_tbPNSt15iterator_traitsISE_E10value_typeEPNSK_ISF_E10value_typeEPSG_NS1_7vsmem_tEENKUlT_SE_SF_SG_E_clIS8_S8_S9_S9_EESD_ST_SE_SF_SG_EUlST_E0_NS1_11comp_targetILNS1_3genE0ELNS1_11target_archE4294967295ELNS1_3gpuE0ELNS1_3repE0EEENS1_38merge_mergepath_config_static_selectorELNS0_4arch9wavefront6targetE0EEEvSF_ ; -- Begin function _ZN7rocprim17ROCPRIM_400000_NS6detail17trampoline_kernelINS0_14default_configENS1_38merge_sort_block_merge_config_selectorIsNS0_10empty_typeEEEZZNS1_27merge_sort_block_merge_implIS3_PsPS5_jNS1_19radix_merge_compareILb1ELb0EsNS0_19identity_decomposerEEEEE10hipError_tT0_T1_T2_jT3_P12ihipStream_tbPNSt15iterator_traitsISE_E10value_typeEPNSK_ISF_E10value_typeEPSG_NS1_7vsmem_tEENKUlT_SE_SF_SG_E_clIS8_S8_S9_S9_EESD_ST_SE_SF_SG_EUlST_E0_NS1_11comp_targetILNS1_3genE0ELNS1_11target_archE4294967295ELNS1_3gpuE0ELNS1_3repE0EEENS1_38merge_mergepath_config_static_selectorELNS0_4arch9wavefront6targetE0EEEvSF_
	.globl	_ZN7rocprim17ROCPRIM_400000_NS6detail17trampoline_kernelINS0_14default_configENS1_38merge_sort_block_merge_config_selectorIsNS0_10empty_typeEEEZZNS1_27merge_sort_block_merge_implIS3_PsPS5_jNS1_19radix_merge_compareILb1ELb0EsNS0_19identity_decomposerEEEEE10hipError_tT0_T1_T2_jT3_P12ihipStream_tbPNSt15iterator_traitsISE_E10value_typeEPNSK_ISF_E10value_typeEPSG_NS1_7vsmem_tEENKUlT_SE_SF_SG_E_clIS8_S8_S9_S9_EESD_ST_SE_SF_SG_EUlST_E0_NS1_11comp_targetILNS1_3genE0ELNS1_11target_archE4294967295ELNS1_3gpuE0ELNS1_3repE0EEENS1_38merge_mergepath_config_static_selectorELNS0_4arch9wavefront6targetE0EEEvSF_
	.p2align	8
	.type	_ZN7rocprim17ROCPRIM_400000_NS6detail17trampoline_kernelINS0_14default_configENS1_38merge_sort_block_merge_config_selectorIsNS0_10empty_typeEEEZZNS1_27merge_sort_block_merge_implIS3_PsPS5_jNS1_19radix_merge_compareILb1ELb0EsNS0_19identity_decomposerEEEEE10hipError_tT0_T1_T2_jT3_P12ihipStream_tbPNSt15iterator_traitsISE_E10value_typeEPNSK_ISF_E10value_typeEPSG_NS1_7vsmem_tEENKUlT_SE_SF_SG_E_clIS8_S8_S9_S9_EESD_ST_SE_SF_SG_EUlST_E0_NS1_11comp_targetILNS1_3genE0ELNS1_11target_archE4294967295ELNS1_3gpuE0ELNS1_3repE0EEENS1_38merge_mergepath_config_static_selectorELNS0_4arch9wavefront6targetE0EEEvSF_,@function
_ZN7rocprim17ROCPRIM_400000_NS6detail17trampoline_kernelINS0_14default_configENS1_38merge_sort_block_merge_config_selectorIsNS0_10empty_typeEEEZZNS1_27merge_sort_block_merge_implIS3_PsPS5_jNS1_19radix_merge_compareILb1ELb0EsNS0_19identity_decomposerEEEEE10hipError_tT0_T1_T2_jT3_P12ihipStream_tbPNSt15iterator_traitsISE_E10value_typeEPNSK_ISF_E10value_typeEPSG_NS1_7vsmem_tEENKUlT_SE_SF_SG_E_clIS8_S8_S9_S9_EESD_ST_SE_SF_SG_EUlST_E0_NS1_11comp_targetILNS1_3genE0ELNS1_11target_archE4294967295ELNS1_3gpuE0ELNS1_3repE0EEENS1_38merge_mergepath_config_static_selectorELNS0_4arch9wavefront6targetE0EEEvSF_: ; @_ZN7rocprim17ROCPRIM_400000_NS6detail17trampoline_kernelINS0_14default_configENS1_38merge_sort_block_merge_config_selectorIsNS0_10empty_typeEEEZZNS1_27merge_sort_block_merge_implIS3_PsPS5_jNS1_19radix_merge_compareILb1ELb0EsNS0_19identity_decomposerEEEEE10hipError_tT0_T1_T2_jT3_P12ihipStream_tbPNSt15iterator_traitsISE_E10value_typeEPNSK_ISF_E10value_typeEPSG_NS1_7vsmem_tEENKUlT_SE_SF_SG_E_clIS8_S8_S9_S9_EESD_ST_SE_SF_SG_EUlST_E0_NS1_11comp_targetILNS1_3genE0ELNS1_11target_archE4294967295ELNS1_3gpuE0ELNS1_3repE0EEENS1_38merge_mergepath_config_static_selectorELNS0_4arch9wavefront6targetE0EEEvSF_
; %bb.0:
	s_bfe_u32 s2, ttmp6, 0x40010
	s_and_b32 s4, ttmp7, 0xffff
	s_add_co_i32 s5, s2, 1
	s_clause 0x1
	s_load_b32 s6, s[0:1], 0x30
	s_load_b64 s[2:3], s[0:1], 0x40
	s_bfe_u32 s8, ttmp6, 0x4000c
	s_mul_i32 s5, s4, s5
	s_bfe_u32 s7, ttmp6, 0x40004
	s_add_co_i32 s8, s8, 1
	s_bfe_u32 s9, ttmp6, 0x40014
	s_add_co_i32 s7, s7, s5
	s_and_b32 s5, ttmp6, 15
	s_mul_i32 s8, ttmp9, s8
	s_lshr_b32 s10, ttmp7, 16
	s_add_co_i32 s9, s9, 1
	s_add_co_i32 s5, s5, s8
	s_mul_i32 s8, s10, s9
	s_bfe_u32 s9, ttmp6, 0x40008
	s_getreg_b32 s11, hwreg(HW_REG_IB_STS2, 6, 4)
	s_add_co_i32 s9, s9, s8
	s_cmp_eq_u32 s11, 0
	s_cselect_b32 s8, s10, s9
	s_cselect_b32 s4, s4, s7
	s_wait_kmcnt 0x0
	s_mul_i32 s8, s3, s8
	s_cselect_b32 s3, ttmp9, s5
	s_add_co_i32 s4, s8, s4
	s_mov_b32 s5, 0
	s_mul_i32 s4, s4, s2
	s_delay_alu instid0(SALU_CYCLE_1) | instskip(NEXT) | instid1(SALU_CYCLE_1)
	s_add_co_i32 s4, s4, s3
	s_cmp_ge_u32 s4, s6
	s_cbranch_scc1 .LBB528_43
; %bb.1:
	v_mov_b32_e32 v7, 0
	s_add_nc_u64 s[6:7], s[0:1], 64
	v_lshlrev_b32_e32 v6, 1, v0
	global_load_b32 v1, v7, s[6:7] offset:14
	s_clause 0x2
	s_load_b64 s[8:9], s[0:1], 0x28
	s_load_b64 s[10:11], s[0:1], 0x38
	;; [unrolled: 1-line block ×3, first 2 shown]
	s_wait_kmcnt 0x0
	s_lshr_b32 s22, s8, 10
	s_delay_alu instid0(SALU_CYCLE_1) | instskip(SKIP_2) | instid1(SALU_CYCLE_1)
	s_cmp_lg_u32 s4, s22
	s_cselect_b32 s14, -1, 0
	s_lshl_b64 s[12:13], s[4:5], 2
	s_add_nc_u64 s[10:11], s[10:11], s[12:13]
	s_load_b64 s[12:13], s[10:11], 0x0
	s_wait_xcnt 0x0
	s_lshr_b32 s10, s9, 9
	s_delay_alu instid0(SALU_CYCLE_1) | instskip(NEXT) | instid1(SALU_CYCLE_1)
	s_and_b32 s10, s10, 0x7ffffe
	s_sub_co_i32 s11, 0, s10
	s_lshl_b32 s10, s4, 10
	s_and_b32 s15, s4, s11
	s_or_b32 s11, s4, s11
	s_lshl_b32 s18, s15, 11
	s_lshl_b32 s15, s15, 10
	s_add_co_i32 s18, s18, s9
	s_sub_co_i32 s19, s10, s15
	s_sub_co_i32 s15, s18, s15
	s_add_co_i32 s18, s18, s19
	s_min_u32 s20, s8, s15
	s_add_co_i32 s15, s15, s9
	s_wait_kmcnt 0x0
	s_sub_co_i32 s9, s18, s12
	s_sub_co_i32 s19, s18, s13
	s_min_u32 s18, s8, s9
	s_add_co_i32 s9, s19, 0x400
	s_cmp_eq_u32 s11, -1
	s_mov_b32 s19, s5
	s_cselect_b32 s9, s15, s9
	s_cselect_b32 s11, s20, s13
	s_mov_b32 s13, s5
	s_min_u32 s15, s9, s8
	s_lshl_b64 s[20:21], s[18:19], 1
	s_sub_co_i32 s9, s11, s12
	s_lshl_b64 s[12:13], s[12:13], 1
	s_sub_co_i32 s15, s15, s18
	s_cmp_lt_u32 s3, s2
	s_mov_b32 s3, s5
	s_cselect_b32 s2, 12, 18
	s_add_nc_u64 s[12:13], s[16:17], s[12:13]
	s_add_nc_u64 s[2:3], s[6:7], s[2:3]
	s_cmp_eq_u32 s4, s22
	s_load_u16 s2, s[2:3], 0x0
	s_add_nc_u64 s[6:7], s[16:17], s[20:21]
	s_wait_loadcnt 0x0
	v_lshrrev_b32_e32 v2, 16, v1
	v_and_b32_e32 v1, 0xffff, v1
	s_delay_alu instid0(VALU_DEP_1) | instskip(SKIP_1) | instid1(VALU_DEP_1)
	v_mul_lo_u32 v1, v1, v2
	s_wait_kmcnt 0x0
	v_mul_lo_u32 v1, v1, s2
	s_mov_b32 s2, -1
	s_delay_alu instid0(VALU_DEP_1) | instskip(NEXT) | instid1(VALU_DEP_1)
	v_add_nc_u32_e32 v10, v1, v0
	v_add_nc_u32_e32 v8, v10, v1
	s_cbranch_scc1 .LBB528_3
; %bb.2:
	v_sub_co_u32 v4, vcc_lo, v0, s9
	v_dual_mov_b32 v5, v7 :: v_dual_mov_b32 v11, v7
	v_add_nc_u64_e32 v[2:3], s[12:13], v[6:7]
	v_sub_co_u32 v14, s2, v10, s9
	s_delay_alu instid0(VALU_DEP_3) | instskip(SKIP_3) | instid1(VALU_DEP_4)
	v_lshl_add_u64 v[4:5], v[4:5], 1, s[6:7]
	v_dual_mov_b32 v15, v7 :: v_dual_mov_b32 v9, v7
	v_lshl_add_u64 v[12:13], v[10:11], 1, s[12:13]
	v_dual_mov_b32 v17, v7 :: v_dual_add_nc_u32 v18, v8, v1
	v_dual_cndmask_b32 v3, v5, v3 :: v_dual_cndmask_b32 v2, v4, v2
	s_delay_alu instid0(VALU_DEP_4)
	v_lshl_add_u64 v[4:5], v[14:15], 1, s[6:7]
	v_sub_co_u32 v16, vcc_lo, v8, s9
	v_mov_b32_e32 v19, v7
	v_lshl_add_u64 v[14:15], v[8:9], 1, s[12:13]
	global_load_u16 v9, v[2:3], off
	s_wait_xcnt 0x0
	v_dual_cndmask_b32 v3, v5, v13, s2 :: v_dual_cndmask_b32 v2, v4, v12, s2
	v_lshl_add_u64 v[4:5], v[16:17], 1, s[6:7]
	v_lshl_add_u64 v[12:13], v[18:19], 1, s[12:13]
	v_sub_co_u32 v16, s2, v18, s9
	v_add_nc_u32_e32 v18, v18, v1
	global_load_u16 v11, v[2:3], off
	s_wait_xcnt 0x0
	v_dual_cndmask_b32 v3, v5, v15 :: v_dual_cndmask_b32 v2, v4, v14
	v_lshl_add_u64 v[4:5], v[16:17], 1, s[6:7]
	v_lshl_add_u64 v[14:15], v[18:19], 1, s[12:13]
	v_sub_co_u32 v16, vcc_lo, v18, s9
	v_add_nc_u32_e32 v18, v18, v1
	global_load_u16 v26, v[2:3], off
	s_wait_xcnt 0x0
	v_dual_cndmask_b32 v3, v5, v13, s2 :: v_dual_mov_b32 v21, v7
	v_cndmask_b32_e64 v2, v4, v12, s2
	v_lshl_add_u64 v[4:5], v[16:17], 1, s[6:7]
	v_lshl_add_u64 v[12:13], v[18:19], 1, s[12:13]
	v_add_nc_u32_e32 v16, v18, v1
	v_sub_co_u32 v18, s2, v18, s9
	s_delay_alu instid0(VALU_DEP_4) | instskip(SKIP_1) | instid1(VALU_DEP_3)
	v_cndmask_b32_e32 v5, v5, v15, vcc_lo
	s_add_co_i32 s11, s15, s9
	v_lshl_add_u64 v[22:23], v[16:17], 1, s[12:13]
	s_delay_alu instid0(VALU_DEP_3) | instskip(SKIP_2) | instid1(VALU_DEP_3)
	v_lshl_add_u64 v[18:19], v[18:19], 1, s[6:7]
	v_add_nc_u32_e32 v20, v16, v1
	v_sub_co_u32 v16, s3, v16, s9
	v_dual_cndmask_b32 v4, v4, v14, vcc_lo :: v_dual_cndmask_b32 v13, v19, v13, s2
	s_delay_alu instid0(VALU_DEP_4) | instskip(NEXT) | instid1(VALU_DEP_4)
	v_cndmask_b32_e64 v12, v18, v12, s2
	v_lshl_add_u64 v[24:25], v[20:21], 1, s[12:13]
	v_sub_co_u32 v20, s4, v20, s9
	v_lshl_add_u64 v[16:17], v[16:17], 1, s[6:7]
	s_delay_alu instid0(VALU_DEP_2) | instskip(NEXT) | instid1(VALU_DEP_2)
	v_lshl_add_u64 v[14:15], v[20:21], 1, s[6:7]
	v_dual_cndmask_b32 v17, v17, v23, s3 :: v_dual_cndmask_b32 v16, v16, v22, s3
	s_delay_alu instid0(VALU_DEP_2)
	v_dual_cndmask_b32 v15, v15, v25, s4 :: v_dual_cndmask_b32 v14, v14, v24, s4
	global_load_u16 v7, v[2:3], off
	global_load_u16 v18, v[4:5], off
	;; [unrolled: 1-line block ×5, first 2 shown]
	s_wait_loadcnt 0x6
	s_wait_xcnt 0x4
	v_perm_b32 v2, v11, v9, 0x5040100
	s_wait_loadcnt 0x4
	v_perm_b32 v3, v7, v26, 0x5040100
	s_wait_loadcnt 0x2
	s_wait_xcnt 0x3
	v_perm_b32 v4, v19, v18, 0x5040100
	s_wait_loadcnt 0x0
	v_perm_b32 v5, v21, v20, 0x5040100
	s_cbranch_execz .LBB528_4
	s_branch .LBB528_19
.LBB528_3:
                                        ; implicit-def: $vgpr2_vgpr3_vgpr4_vgpr5
                                        ; implicit-def: $sgpr11
	s_and_not1_b32 vcc_lo, exec_lo, s2
	s_cbranch_vccnz .LBB528_19
.LBB528_4:
	v_mov_b32_e32 v2, 0
	s_add_co_i32 s11, s15, s9
	s_mov_b32 s2, exec_lo
	s_delay_alu instid0(VALU_DEP_1)
	v_dual_mov_b32 v3, v2 :: v_dual_mov_b32 v4, v2
	v_mov_b32_e32 v5, v2
	v_cmpx_gt_u32_e64 s11, v0
	s_cbranch_execnz .LBB528_44
; %bb.5:
	s_or_b32 exec_lo, exec_lo, s2
	s_delay_alu instid0(SALU_CYCLE_1)
	s_mov_b32 s2, exec_lo
	v_cmpx_gt_u32_e64 s11, v10
	s_cbranch_execnz .LBB528_45
.LBB528_6:
	s_or_b32 exec_lo, exec_lo, s2
	s_delay_alu instid0(SALU_CYCLE_1)
	s_mov_b32 s2, exec_lo
	v_cmpx_gt_u32_e64 s11, v8
	s_cbranch_execz .LBB528_8
.LBB528_7:
	v_sub_co_u32 v12, vcc_lo, v8, s9
	v_mov_b32_e32 v9, 0
	s_delay_alu instid0(VALU_DEP_1) | instskip(SKIP_1) | instid1(VALU_DEP_1)
	v_lshl_add_u64 v[10:11], v[8:9], 1, s[12:13]
	v_mov_b32_e32 v13, v9
	v_lshl_add_u64 v[12:13], v[12:13], 1, s[6:7]
	s_delay_alu instid0(VALU_DEP_1)
	v_dual_cndmask_b32 v11, v13, v11 :: v_dual_cndmask_b32 v10, v12, v10
	global_load_u16 v7, v[10:11], off
	s_wait_loadcnt 0x0
	v_bfi_b32 v3, 0xffff, v7, v3
.LBB528_8:
	s_or_b32 exec_lo, exec_lo, s2
	v_add_nc_u32_e32 v8, v8, v1
	s_mov_b32 s2, exec_lo
	s_delay_alu instid0(VALU_DEP_1)
	v_cmpx_gt_u32_e64 s11, v8
	s_cbranch_execz .LBB528_10
; %bb.9:
	v_sub_co_u32 v12, vcc_lo, v8, s9
	v_mov_b32_e32 v9, 0
	s_delay_alu instid0(VALU_DEP_1) | instskip(SKIP_1) | instid1(VALU_DEP_1)
	v_lshl_add_u64 v[10:11], v[8:9], 1, s[12:13]
	v_mov_b32_e32 v13, v9
	v_lshl_add_u64 v[12:13], v[12:13], 1, s[6:7]
	s_delay_alu instid0(VALU_DEP_1)
	v_dual_cndmask_b32 v11, v13, v11 :: v_dual_cndmask_b32 v10, v12, v10
	global_load_u16 v7, v[10:11], off
	s_wait_loadcnt 0x0
	v_perm_b32 v3, v7, v3, 0x5040100
.LBB528_10:
	s_or_b32 exec_lo, exec_lo, s2
	v_add_nc_u32_e32 v8, v8, v1
	s_mov_b32 s2, exec_lo
	s_delay_alu instid0(VALU_DEP_1)
	v_cmpx_gt_u32_e64 s11, v8
	s_cbranch_execz .LBB528_12
; %bb.11:
	v_sub_co_u32 v12, vcc_lo, v8, s9
	v_mov_b32_e32 v9, 0
	s_delay_alu instid0(VALU_DEP_1) | instskip(SKIP_1) | instid1(VALU_DEP_1)
	v_lshl_add_u64 v[10:11], v[8:9], 1, s[12:13]
	v_mov_b32_e32 v13, v9
	v_lshl_add_u64 v[12:13], v[12:13], 1, s[6:7]
	s_delay_alu instid0(VALU_DEP_1)
	v_dual_cndmask_b32 v11, v13, v11 :: v_dual_cndmask_b32 v10, v12, v10
	global_load_u16 v7, v[10:11], off
	s_wait_loadcnt 0x0
	v_bfi_b32 v4, 0xffff, v7, v4
.LBB528_12:
	s_or_b32 exec_lo, exec_lo, s2
	v_add_nc_u32_e32 v8, v8, v1
	s_mov_b32 s2, exec_lo
	s_delay_alu instid0(VALU_DEP_1)
	v_cmpx_gt_u32_e64 s11, v8
	s_cbranch_execz .LBB528_14
; %bb.13:
	v_sub_co_u32 v12, vcc_lo, v8, s9
	v_mov_b32_e32 v9, 0
	s_delay_alu instid0(VALU_DEP_1) | instskip(SKIP_1) | instid1(VALU_DEP_1)
	v_lshl_add_u64 v[10:11], v[8:9], 1, s[12:13]
	v_mov_b32_e32 v13, v9
	v_lshl_add_u64 v[12:13], v[12:13], 1, s[6:7]
	s_delay_alu instid0(VALU_DEP_1)
	v_dual_cndmask_b32 v11, v13, v11 :: v_dual_cndmask_b32 v10, v12, v10
	global_load_u16 v7, v[10:11], off
	s_wait_loadcnt 0x0
	v_perm_b32 v4, v7, v4, 0x5040100
.LBB528_14:
	s_or_b32 exec_lo, exec_lo, s2
	v_add_nc_u32_e32 v8, v8, v1
	s_mov_b32 s2, exec_lo
	s_delay_alu instid0(VALU_DEP_1)
	v_cmpx_gt_u32_e64 s11, v8
	s_cbranch_execz .LBB528_16
; %bb.15:
	v_sub_co_u32 v12, vcc_lo, v8, s9
	v_mov_b32_e32 v9, 0
	s_delay_alu instid0(VALU_DEP_1) | instskip(SKIP_1) | instid1(VALU_DEP_1)
	v_lshl_add_u64 v[10:11], v[8:9], 1, s[12:13]
	v_mov_b32_e32 v13, v9
	v_lshl_add_u64 v[12:13], v[12:13], 1, s[6:7]
	s_delay_alu instid0(VALU_DEP_1)
	v_dual_cndmask_b32 v11, v13, v11 :: v_dual_cndmask_b32 v10, v12, v10
	global_load_u16 v7, v[10:11], off
	s_wait_loadcnt 0x0
	v_bfi_b32 v5, 0xffff, v7, v5
.LBB528_16:
	s_or_b32 exec_lo, exec_lo, s2
	v_add_nc_u32_e32 v8, v8, v1
	s_mov_b32 s2, exec_lo
	s_delay_alu instid0(VALU_DEP_1)
	v_cmpx_gt_u32_e64 s11, v8
	s_cbranch_execz .LBB528_18
; %bb.17:
	v_mov_b32_e32 v9, 0
	s_delay_alu instid0(VALU_DEP_1) | instskip(SKIP_1) | instid1(VALU_DEP_1)
	v_lshl_add_u64 v[10:11], v[8:9], 1, s[12:13]
	v_sub_co_u32 v8, vcc_lo, v8, s9
	v_lshl_add_u64 v[8:9], v[8:9], 1, s[6:7]
	s_delay_alu instid0(VALU_DEP_1)
	v_dual_cndmask_b32 v9, v9, v11 :: v_dual_cndmask_b32 v8, v8, v10
	global_load_u16 v1, v[8:9], off
	s_wait_loadcnt 0x0
	v_perm_b32 v5, v1, v5, 0x5040100
.LBB528_18:
	s_or_b32 exec_lo, exec_lo, s2
.LBB528_19:
	s_load_b64 s[12:13], s[0:1], 0x10
	v_dual_lshlrev_b32 v1, 3, v0 :: v_dual_lshrrev_b32 v7, 16, v2
	v_dual_lshrrev_b32 v9, 16, v3 :: v_dual_lshrrev_b32 v8, 16, v4
	v_lshrrev_b32_e32 v10, 16, v5
	s_delay_alu instid0(VALU_DEP_3)
	v_min_u32_e32 v12, s11, v1
	s_wait_xcnt 0x0
	s_mov_b32 s0, exec_lo
	ds_store_b16 v6, v2
	ds_store_b16 v6, v7 offset:256
	ds_store_b16 v6, v3 offset:512
	;; [unrolled: 1-line block ×7, first 2 shown]
	s_wait_dscnt 0x0
	s_barrier_signal -1
	v_sub_nc_u32_e64 v11, v12, s15 clamp
	v_min_u32_e32 v13, s9, v12
	s_barrier_wait -1
	s_delay_alu instid0(VALU_DEP_1)
	v_cmpx_lt_u32_e64 v11, v13
	s_cbranch_execz .LBB528_23
; %bb.20:
	v_lshlrev_b32_e32 v14, 1, v12
	s_mov_b32 s1, 0
	s_delay_alu instid0(VALU_DEP_1)
	v_lshl_add_u32 v14, s9, 1, v14
.LBB528_21:                             ; =>This Inner Loop Header: Depth=1
	v_add_nc_u32_e32 v15, v13, v11
	s_delay_alu instid0(VALU_DEP_1) | instskip(NEXT) | instid1(VALU_DEP_1)
	v_lshrrev_b32_e32 v16, 1, v15
	v_dual_add_nc_u32 v18, 1, v16 :: v_dual_bitop2_b32 v15, -2, v15 bitop3:0x40
	v_not_b32_e32 v17, v16
	s_delay_alu instid0(VALU_DEP_1)
	v_lshl_add_u32 v17, v17, 1, v14
	ds_load_u16 v15, v15
	ds_load_u16 v17, v17
	s_wait_dscnt 0x0
	v_cmp_gt_i16_e32 vcc_lo, v17, v15
	v_dual_cndmask_b32 v13, v13, v16, vcc_lo :: v_dual_cndmask_b32 v11, v18, v11, vcc_lo
	s_delay_alu instid0(VALU_DEP_1) | instskip(SKIP_1) | instid1(SALU_CYCLE_1)
	v_cmp_ge_u32_e32 vcc_lo, v11, v13
	s_or_b32 s1, vcc_lo, s1
	s_and_not1_b32 exec_lo, exec_lo, s1
	s_cbranch_execnz .LBB528_21
; %bb.22:
	s_or_b32 exec_lo, exec_lo, s1
.LBB528_23:
	s_delay_alu instid0(SALU_CYCLE_1) | instskip(SKIP_2) | instid1(VALU_DEP_2)
	s_or_b32 exec_lo, exec_lo, s0
	v_sub_nc_u32_e32 v12, v12, v11
	v_cmp_ge_u32_e32 vcc_lo, s9, v11
	v_add_nc_u32_e32 v12, s9, v12
	s_delay_alu instid0(VALU_DEP_1) | instskip(SKIP_1) | instid1(SALU_CYCLE_1)
	v_cmp_ge_u32_e64 s0, s11, v12
	s_or_b32 s0, vcc_lo, s0
	s_and_saveexec_b32 s15, s0
	s_cbranch_execz .LBB528_29
; %bb.24:
	v_cmp_gt_u32_e32 vcc_lo, s9, v11
                                        ; implicit-def: $vgpr2
	s_and_saveexec_b32 s0, vcc_lo
; %bb.25:
	v_lshlrev_b32_e32 v2, 1, v11
	ds_load_u16 v2, v2
; %bb.26:
	s_or_b32 exec_lo, exec_lo, s0
	v_cmp_le_u32_e64 s0, s11, v12
	s_mov_b32 s2, exec_lo
                                        ; implicit-def: $vgpr3
	v_cmpx_gt_u32_e64 s11, v12
; %bb.27:
	v_lshlrev_b32_e32 v3, 1, v12
	ds_load_u16 v3, v3
; %bb.28:
	s_or_b32 exec_lo, exec_lo, s2
	s_wait_dscnt 0x0
	v_cmp_le_i16_e64 s1, v3, v2
	s_and_b32 s1, vcc_lo, s1
	s_delay_alu instid0(SALU_CYCLE_1) | instskip(SKIP_1) | instid1(VALU_DEP_1)
	s_or_b32 vcc_lo, s0, s1
	v_dual_mov_b32 v4, s9 :: v_dual_cndmask_b32 v5, v12, v11
	v_dual_cndmask_b32 v7, s11, v4, vcc_lo :: v_dual_add_nc_u32 v5, 1, v5
	s_delay_alu instid0(VALU_DEP_1) | instskip(SKIP_1) | instid1(VALU_DEP_2)
	v_add_min_u32_e64 v7, v7, -1, v5
	v_dual_cndmask_b32 v8, v11, v5 :: v_dual_cndmask_b32 v5, v5, v12
	v_lshlrev_b32_e32 v7, 1, v7
	s_delay_alu instid0(VALU_DEP_2) | instskip(NEXT) | instid1(VALU_DEP_3)
	v_cmp_gt_u32_e64 s0, s9, v8
	v_cmp_le_u32_e64 s2, s11, v5
	ds_load_u16 v7, v7
	s_wait_dscnt 0x0
	v_cndmask_b32_e32 v9, v7, v3, vcc_lo
	v_dual_cndmask_b32 v7, v2, v7 :: v_dual_cndmask_b32 v2, v3, v2
	s_delay_alu instid0(VALU_DEP_1) | instskip(SKIP_1) | instid1(SALU_CYCLE_1)
	v_cmp_le_i16_e64 s1, v9, v7
	s_and_b32 s0, s0, s1
	s_or_b32 s0, s2, s0
	s_delay_alu instid0(SALU_CYCLE_1) | instskip(NEXT) | instid1(VALU_DEP_1)
	v_cndmask_b32_e64 v10, v5, v8, s0
	v_dual_cndmask_b32 v11, s11, v4, s0 :: v_dual_add_nc_u32 v10, 1, v10
	s_delay_alu instid0(VALU_DEP_1) | instskip(SKIP_1) | instid1(VALU_DEP_2)
	v_add_min_u32_e64 v11, v11, -1, v10
	v_dual_cndmask_b32 v8, v8, v10, s0 :: v_dual_cndmask_b32 v5, v10, v5, s0
	v_lshlrev_b32_e32 v11, 1, v11
	s_delay_alu instid0(VALU_DEP_2) | instskip(NEXT) | instid1(VALU_DEP_3)
	v_cmp_gt_u32_e64 s1, s9, v8
	v_cmp_le_u32_e64 s3, s11, v5
	ds_load_u16 v11, v11
	s_wait_dscnt 0x0
	v_cndmask_b32_e64 v12, v11, v9, s0
	v_cndmask_b32_e64 v11, v7, v11, s0
	;; [unrolled: 1-line block ×3, first 2 shown]
	s_delay_alu instid0(VALU_DEP_2) | instskip(SKIP_1) | instid1(SALU_CYCLE_1)
	v_cmp_le_i16_e64 s2, v12, v11
	s_and_b32 s1, s1, s2
	s_or_b32 s1, s3, s1
	s_delay_alu instid0(SALU_CYCLE_1) | instskip(NEXT) | instid1(VALU_DEP_1)
	v_cndmask_b32_e64 v10, v5, v8, s1
	v_dual_cndmask_b32 v13, s11, v4, s1 :: v_dual_add_nc_u32 v10, 1, v10
	s_delay_alu instid0(VALU_DEP_1) | instskip(SKIP_1) | instid1(VALU_DEP_2)
	v_add_min_u32_e64 v13, v13, -1, v10
	v_dual_cndmask_b32 v8, v8, v10, s1 :: v_dual_cndmask_b32 v5, v10, v5, s1
	v_lshlrev_b32_e32 v13, 1, v13
	s_delay_alu instid0(VALU_DEP_2) | instskip(NEXT) | instid1(VALU_DEP_3)
	v_cmp_gt_u32_e64 s2, s9, v8
	v_cmp_le_u32_e64 s4, s11, v5
	ds_load_u16 v13, v13
	s_wait_dscnt 0x0
	v_dual_cndmask_b32 v14, v13, v12, s1 :: v_dual_cndmask_b32 v13, v11, v13, s1
	s_delay_alu instid0(VALU_DEP_1) | instskip(SKIP_1) | instid1(SALU_CYCLE_1)
	v_cmp_le_i16_e64 s3, v14, v13
	s_and_b32 s2, s2, s3
	s_or_b32 s2, s4, s2
	s_delay_alu instid0(SALU_CYCLE_1) | instskip(SKIP_1) | instid1(VALU_DEP_1)
	v_dual_cndmask_b32 v3, v12, v11, s1 :: v_dual_cndmask_b32 v9, v14, v13, s2
	v_cndmask_b32_e64 v10, v5, v8, s2
	v_dual_cndmask_b32 v15, s11, v4, s2 :: v_dual_add_nc_u32 v10, 1, v10
	s_delay_alu instid0(VALU_DEP_1) | instskip(NEXT) | instid1(VALU_DEP_1)
	v_add_min_u32_e64 v15, v15, -1, v10
	v_dual_lshlrev_b32 v15, 1, v15 :: v_dual_cndmask_b32 v5, v10, v5, s2
	ds_load_u16 v15, v15
	v_cndmask_b32_e64 v8, v8, v10, s2
	v_cmp_le_u32_e64 s5, s11, v5
	s_wait_dscnt 0x0
	v_dual_cndmask_b32 v16, v15, v14, s2 :: v_dual_cndmask_b32 v15, v13, v15, s2
	s_delay_alu instid0(VALU_DEP_3) | instskip(NEXT) | instid1(VALU_DEP_2)
	v_cmp_gt_u32_e64 s3, s9, v8
	v_cmp_le_i16_e64 s4, v16, v15
	s_and_b32 s3, s3, s4
	s_delay_alu instid0(SALU_CYCLE_1) | instskip(NEXT) | instid1(SALU_CYCLE_1)
	s_or_b32 s3, s5, s3
	v_cndmask_b32_e64 v10, v5, v8, s3
	s_delay_alu instid0(VALU_DEP_1) | instskip(NEXT) | instid1(VALU_DEP_1)
	v_dual_cndmask_b32 v17, s11, v4, s3 :: v_dual_add_nc_u32 v10, 1, v10
	v_add_min_u32_e64 v17, v17, -1, v10
	v_cndmask_b32_e64 v5, v10, v5, s3
	s_delay_alu instid0(VALU_DEP_2) | instskip(NEXT) | instid1(VALU_DEP_2)
	v_lshlrev_b32_e32 v17, 1, v17
	v_cmp_le_u32_e64 s6, s11, v5
	ds_load_u16 v17, v17
	s_wait_dscnt 0x0
	v_dual_cndmask_b32 v8, v8, v10, s3 :: v_dual_cndmask_b32 v18, v17, v16, s3
	v_cndmask_b32_e64 v17, v15, v17, s3
	s_delay_alu instid0(VALU_DEP_2) | instskip(NEXT) | instid1(VALU_DEP_2)
	v_cmp_gt_u32_e64 s4, s9, v8
	v_cmp_le_i16_e64 s5, v18, v17
	s_and_b32 s4, s4, s5
	s_delay_alu instid0(SALU_CYCLE_1) | instskip(NEXT) | instid1(SALU_CYCLE_1)
	s_or_b32 s4, s6, s4
	v_cndmask_b32_e64 v10, v5, v8, s4
	s_delay_alu instid0(VALU_DEP_1) | instskip(NEXT) | instid1(VALU_DEP_1)
	v_dual_cndmask_b32 v19, s11, v4, s4 :: v_dual_add_nc_u32 v10, 1, v10
	v_add_min_u32_e64 v19, v19, -1, v10
	s_delay_alu instid0(VALU_DEP_1)
	v_dual_lshlrev_b32 v19, 1, v19 :: v_dual_cndmask_b32 v5, v10, v5, s4
	ds_load_u16 v19, v19
	v_cndmask_b32_e64 v8, v8, v10, s4
	v_cmp_le_u32_e64 s7, s11, v5
	s_wait_dscnt 0x0
	v_dual_cndmask_b32 v20, v19, v18, s4 :: v_dual_cndmask_b32 v19, v17, v19, s4
	s_delay_alu instid0(VALU_DEP_3) | instskip(NEXT) | instid1(VALU_DEP_2)
	v_cmp_gt_u32_e64 s5, s9, v8
	v_cmp_le_i16_e64 s6, v20, v19
	s_and_b32 s5, s5, s6
	s_delay_alu instid0(SALU_CYCLE_1) | instskip(NEXT) | instid1(SALU_CYCLE_1)
	s_or_b32 s5, s7, s5
	v_cndmask_b32_e64 v10, v5, v8, s5
	s_delay_alu instid0(VALU_DEP_1) | instskip(NEXT) | instid1(VALU_DEP_1)
	v_dual_cndmask_b32 v4, s11, v4, s5 :: v_dual_add_nc_u32 v10, 1, v10
	v_add_min_u32_e64 v4, v4, -1, v10
	s_delay_alu instid0(VALU_DEP_1) | instskip(NEXT) | instid1(VALU_DEP_1)
	v_dual_cndmask_b32 v8, v8, v10, s5 :: v_dual_lshlrev_b32 v4, 1, v4
	v_cmp_gt_u32_e32 vcc_lo, s9, v8
	v_cndmask_b32_e64 v8, v18, v17, s4
	ds_load_u16 v4, v4
	s_wait_dscnt 0x0
	v_cndmask_b32_e64 v21, v4, v20, s5
	v_dual_cndmask_b32 v22, v19, v4, s5 :: v_dual_cndmask_b32 v4, v10, v5, s5
	s_delay_alu instid0(VALU_DEP_1) | instskip(NEXT) | instid1(VALU_DEP_2)
	v_cmp_le_i16_e64 s0, v21, v22
	v_cmp_le_u32_e64 s1, s11, v4
	v_cndmask_b32_e64 v4, v16, v15, s3
	s_and_b32 s0, vcc_lo, s0
	s_delay_alu instid0(SALU_CYCLE_1) | instskip(NEXT) | instid1(SALU_CYCLE_1)
	s_or_b32 vcc_lo, s1, s0
	v_dual_cndmask_b32 v5, v20, v19, s5 :: v_dual_cndmask_b32 v10, v21, v22, vcc_lo
.LBB528_29:
	s_or_b32 exec_lo, exec_lo, s15
	v_lshrrev_b32_e32 v11, 1, v0
	v_or_b32_e32 v12, 0x80, v0
	v_perm_b32 v2, v7, v2, 0x5040100
	v_lshrrev_b32_e32 v7, 4, v0
	v_perm_b32 v3, v9, v3, 0x5040100
	s_delay_alu instid0(VALU_DEP_4) | instskip(SKIP_2) | instid1(VALU_DEP_3)
	v_dual_lshrrev_b32 v9, 4, v12 :: v_dual_bitop2_b32 v11, 60, v11 bitop3:0x40
	v_perm_b32 v4, v8, v4, 0x5040100
	v_perm_b32 v5, v10, v5, 0x5040100
	v_lshl_add_u32 v1, v1, 1, v11
	v_or_b32_e32 v11, 0x100, v0
	s_barrier_signal -1
	s_barrier_wait -1
	s_delay_alu instid0(VALU_DEP_1)
	v_dual_lshrrev_b32 v13, 4, v11 :: v_dual_bitop2_b32 v8, 12, v9 bitop3:0x40
	v_and_b32_e32 v7, 4, v7
	v_or_b32_e32 v9, 0x180, v0
	s_barrier_signal -1
	s_barrier_wait -1
	v_and_b32_e32 v14, 20, v13
	ds_store_2addr_b32 v1, v2, v3 offset1:1
	ds_store_2addr_b32 v1, v4, v5 offset0:2 offset1:3
	v_dual_add_nc_u32 v13, v8, v6 :: v_dual_add_nc_u32 v10, v7, v6
	v_dual_lshrrev_b32 v1, 4, v9 :: v_dual_add_nc_u32 v14, v14, v6
	v_or_b32_e32 v8, 0x200, v0
	v_or_b32_e32 v5, 0x280, v0
	;; [unrolled: 1-line block ×3, first 2 shown]
	s_delay_alu instid0(VALU_DEP_4) | instskip(SKIP_1) | instid1(VALU_DEP_4)
	v_and_b32_e32 v2, 28, v1
	v_or_b32_e32 v1, 0x380, v0
	v_dual_lshrrev_b32 v3, 4, v8 :: v_dual_lshrrev_b32 v7, 4, v5
	s_delay_alu instid0(VALU_DEP_3) | instskip(NEXT) | instid1(VALU_DEP_3)
	v_dual_lshrrev_b32 v16, 4, v4 :: v_dual_add_nc_u32 v15, v2, v6
	v_lshrrev_b32_e32 v2, 4, v1
	s_mov_b32 s11, 0
	s_delay_alu instid0(VALU_DEP_3)
	v_and_b32_e32 v3, 36, v3
	v_dual_mov_b32 v7, 0 :: v_dual_bitop2_b32 v17, 44, v7 bitop3:0x40
	s_lshl_b64 s[0:1], s[10:11], 1
	v_and_b32_e32 v18, 52, v16
	v_and_b32_e32 v19, 60, v2
	s_wait_kmcnt 0x0
	s_add_nc_u64 s[0:1], s[12:13], s[0:1]
	v_add_nc_u32_e32 v16, v3, v6
	v_add_nc_u64_e32 v[2:3], s[0:1], v[6:7]
	v_dual_add_nc_u32 v17, v17, v6 :: v_dual_add_nc_u32 v18, v18, v6
	v_add_nc_u32_e32 v19, v19, v6
	s_and_b32 vcc_lo, exec_lo, s14
	s_wait_dscnt 0x0
	s_cbranch_vccz .LBB528_31
; %bb.30:
	s_barrier_signal -1
	s_barrier_wait -1
	ds_load_u16 v7, v10
	ds_load_u16 v20, v13 offset:256
	ds_load_u16 v21, v14 offset:512
	;; [unrolled: 1-line block ×7, first 2 shown]
	s_mov_b32 s11, -1
	s_wait_dscnt 0x7
	global_store_b16 v[2:3], v7, off
	s_wait_dscnt 0x6
	global_store_b16 v[2:3], v20, off offset:256
	s_wait_dscnt 0x5
	global_store_b16 v[2:3], v21, off offset:512
	;; [unrolled: 2-line block ×6, first 2 shown]
	s_cbranch_execz .LBB528_32
	s_branch .LBB528_41
.LBB528_31:
                                        ; implicit-def: $vgpr6
.LBB528_32:
	s_barrier_signal -1
	s_barrier_wait -1
	s_wait_storecnt_dscnt 0x0
	s_wait_xcnt 0x4
	ds_load_u16 v21, v13 offset:256
	ds_load_u16 v20, v14 offset:512
	;; [unrolled: 1-line block ×7, first 2 shown]
	s_sub_co_i32 s0, s8, s10
	s_mov_b32 s1, exec_lo
	s_wait_xcnt 0x0
	v_cmpx_gt_u32_e64 s0, v0
	s_cbranch_execnz .LBB528_46
; %bb.33:
	s_or_b32 exec_lo, exec_lo, s1
	s_delay_alu instid0(SALU_CYCLE_1)
	s_mov_b32 s1, exec_lo
	v_cmpx_gt_u32_e64 s0, v12
	s_cbranch_execnz .LBB528_47
.LBB528_34:
	s_or_b32 exec_lo, exec_lo, s1
	s_delay_alu instid0(SALU_CYCLE_1)
	s_mov_b32 s1, exec_lo
	v_cmpx_gt_u32_e64 s0, v11
	s_cbranch_execnz .LBB528_48
.LBB528_35:
	s_or_b32 exec_lo, exec_lo, s1
	s_delay_alu instid0(SALU_CYCLE_1)
	s_mov_b32 s1, exec_lo
	v_cmpx_gt_u32_e64 s0, v9
	s_cbranch_execnz .LBB528_49
.LBB528_36:
	s_or_b32 exec_lo, exec_lo, s1
	s_delay_alu instid0(SALU_CYCLE_1)
	s_mov_b32 s1, exec_lo
	v_cmpx_gt_u32_e64 s0, v8
	s_cbranch_execnz .LBB528_50
.LBB528_37:
	s_or_b32 exec_lo, exec_lo, s1
	s_delay_alu instid0(SALU_CYCLE_1)
	s_mov_b32 s1, exec_lo
	v_cmpx_gt_u32_e64 s0, v5
	s_cbranch_execnz .LBB528_51
.LBB528_38:
	s_or_b32 exec_lo, exec_lo, s1
	s_delay_alu instid0(SALU_CYCLE_1)
	s_mov_b32 s1, exec_lo
	v_cmpx_gt_u32_e64 s0, v4
	s_cbranch_execz .LBB528_40
.LBB528_39:
	s_wait_dscnt 0x1
	global_store_b16 v[2:3], v7, off offset:1536
.LBB528_40:
	s_wait_xcnt 0x0
	s_or_b32 exec_lo, exec_lo, s1
	v_cmp_gt_u32_e64 s11, s0, v1
.LBB528_41:
	s_wait_xcnt 0x0
	s_delay_alu instid0(VALU_DEP_1)
	s_and_saveexec_b32 s0, s11
	s_cbranch_execz .LBB528_43
; %bb.42:
	s_wait_dscnt 0x0
	global_store_b16 v[2:3], v6, off offset:1792
.LBB528_43:
	s_endpgm
.LBB528_44:
	v_dual_mov_b32 v7, v2 :: v_dual_mov_b32 v5, v2
	v_sub_co_u32 v4, vcc_lo, v0, s9
	v_mov_b32_e32 v15, v2
	s_delay_alu instid0(VALU_DEP_3) | instskip(SKIP_1) | instid1(VALU_DEP_4)
	v_add_nc_u64_e32 v[12:13], s[12:13], v[6:7]
	v_mov_b32_e32 v14, v2
	v_lshl_add_u64 v[4:5], v[4:5], 1, s[6:7]
	s_delay_alu instid0(VALU_DEP_1) | instskip(SKIP_4) | instid1(VALU_DEP_1)
	v_dual_cndmask_b32 v5, v5, v13 :: v_dual_cndmask_b32 v4, v4, v12
	v_mov_b32_e32 v13, v2
	global_load_u16 v3, v[4:5], off
	s_wait_loadcnt 0x0
	v_and_b32_e32 v12, 0xffff, v3
	v_mov_b64_e32 v[2:3], v[12:13]
	v_mov_b64_e32 v[4:5], v[14:15]
	s_or_b32 exec_lo, exec_lo, s2
	s_delay_alu instid0(SALU_CYCLE_1)
	s_mov_b32 s2, exec_lo
	v_cmpx_gt_u32_e64 s11, v10
	s_cbranch_execz .LBB528_6
.LBB528_45:
	v_mov_b32_e32 v11, 0
	s_delay_alu instid0(VALU_DEP_1) | instskip(SKIP_1) | instid1(VALU_DEP_1)
	v_lshl_add_u64 v[12:13], v[10:11], 1, s[12:13]
	v_sub_co_u32 v10, vcc_lo, v10, s9
	v_lshl_add_u64 v[10:11], v[10:11], 1, s[6:7]
	s_delay_alu instid0(VALU_DEP_1) | instskip(SKIP_4) | instid1(SALU_CYCLE_1)
	v_dual_cndmask_b32 v11, v11, v13 :: v_dual_cndmask_b32 v10, v10, v12
	global_load_u16 v7, v[10:11], off
	s_wait_loadcnt 0x0
	v_perm_b32 v2, v7, v2, 0x5040100
	s_or_b32 exec_lo, exec_lo, s2
	s_mov_b32 s2, exec_lo
	v_cmpx_gt_u32_e64 s11, v8
	s_cbranch_execnz .LBB528_7
	s_branch .LBB528_8
.LBB528_46:
	ds_load_u16 v0, v10
	s_wait_dscnt 0x0
	global_store_b16 v[2:3], v0, off
	s_wait_xcnt 0x0
	s_or_b32 exec_lo, exec_lo, s1
	s_delay_alu instid0(SALU_CYCLE_1)
	s_mov_b32 s1, exec_lo
	v_cmpx_gt_u32_e64 s0, v12
	s_cbranch_execz .LBB528_34
.LBB528_47:
	s_wait_dscnt 0x6
	global_store_b16 v[2:3], v21, off offset:256
	s_wait_xcnt 0x0
	s_or_b32 exec_lo, exec_lo, s1
	s_delay_alu instid0(SALU_CYCLE_1)
	s_mov_b32 s1, exec_lo
	v_cmpx_gt_u32_e64 s0, v11
	s_cbranch_execz .LBB528_35
.LBB528_48:
	s_wait_dscnt 0x5
	global_store_b16 v[2:3], v20, off offset:512
	s_wait_xcnt 0x0
	s_or_b32 exec_lo, exec_lo, s1
	s_delay_alu instid0(SALU_CYCLE_1)
	s_mov_b32 s1, exec_lo
	v_cmpx_gt_u32_e64 s0, v9
	s_cbranch_execz .LBB528_36
.LBB528_49:
	s_wait_dscnt 0x4
	global_store_b16 v[2:3], v15, off offset:768
	s_wait_xcnt 0x0
	s_or_b32 exec_lo, exec_lo, s1
	s_delay_alu instid0(SALU_CYCLE_1)
	s_mov_b32 s1, exec_lo
	v_cmpx_gt_u32_e64 s0, v8
	s_cbranch_execz .LBB528_37
.LBB528_50:
	s_wait_dscnt 0x3
	global_store_b16 v[2:3], v14, off offset:1024
	s_wait_xcnt 0x0
	s_or_b32 exec_lo, exec_lo, s1
	s_delay_alu instid0(SALU_CYCLE_1)
	s_mov_b32 s1, exec_lo
	v_cmpx_gt_u32_e64 s0, v5
	s_cbranch_execz .LBB528_38
.LBB528_51:
	s_wait_dscnt 0x2
	global_store_b16 v[2:3], v13, off offset:1280
	s_wait_xcnt 0x0
	s_or_b32 exec_lo, exec_lo, s1
	s_delay_alu instid0(SALU_CYCLE_1)
	s_mov_b32 s1, exec_lo
	v_cmpx_gt_u32_e64 s0, v4
	s_cbranch_execnz .LBB528_39
	s_branch .LBB528_40
	.section	.rodata,"a",@progbits
	.p2align	6, 0x0
	.amdhsa_kernel _ZN7rocprim17ROCPRIM_400000_NS6detail17trampoline_kernelINS0_14default_configENS1_38merge_sort_block_merge_config_selectorIsNS0_10empty_typeEEEZZNS1_27merge_sort_block_merge_implIS3_PsPS5_jNS1_19radix_merge_compareILb1ELb0EsNS0_19identity_decomposerEEEEE10hipError_tT0_T1_T2_jT3_P12ihipStream_tbPNSt15iterator_traitsISE_E10value_typeEPNSK_ISF_E10value_typeEPSG_NS1_7vsmem_tEENKUlT_SE_SF_SG_E_clIS8_S8_S9_S9_EESD_ST_SE_SF_SG_EUlST_E0_NS1_11comp_targetILNS1_3genE0ELNS1_11target_archE4294967295ELNS1_3gpuE0ELNS1_3repE0EEENS1_38merge_mergepath_config_static_selectorELNS0_4arch9wavefront6targetE0EEEvSF_
		.amdhsa_group_segment_fixed_size 2112
		.amdhsa_private_segment_fixed_size 0
		.amdhsa_kernarg_size 320
		.amdhsa_user_sgpr_count 2
		.amdhsa_user_sgpr_dispatch_ptr 0
		.amdhsa_user_sgpr_queue_ptr 0
		.amdhsa_user_sgpr_kernarg_segment_ptr 1
		.amdhsa_user_sgpr_dispatch_id 0
		.amdhsa_user_sgpr_kernarg_preload_length 0
		.amdhsa_user_sgpr_kernarg_preload_offset 0
		.amdhsa_user_sgpr_private_segment_size 0
		.amdhsa_wavefront_size32 1
		.amdhsa_uses_dynamic_stack 0
		.amdhsa_enable_private_segment 0
		.amdhsa_system_sgpr_workgroup_id_x 1
		.amdhsa_system_sgpr_workgroup_id_y 1
		.amdhsa_system_sgpr_workgroup_id_z 1
		.amdhsa_system_sgpr_workgroup_info 0
		.amdhsa_system_vgpr_workitem_id 0
		.amdhsa_next_free_vgpr 27
		.amdhsa_next_free_sgpr 23
		.amdhsa_named_barrier_count 0
		.amdhsa_reserve_vcc 1
		.amdhsa_float_round_mode_32 0
		.amdhsa_float_round_mode_16_64 0
		.amdhsa_float_denorm_mode_32 3
		.amdhsa_float_denorm_mode_16_64 3
		.amdhsa_fp16_overflow 0
		.amdhsa_memory_ordered 1
		.amdhsa_forward_progress 1
		.amdhsa_inst_pref_size 34
		.amdhsa_round_robin_scheduling 0
		.amdhsa_exception_fp_ieee_invalid_op 0
		.amdhsa_exception_fp_denorm_src 0
		.amdhsa_exception_fp_ieee_div_zero 0
		.amdhsa_exception_fp_ieee_overflow 0
		.amdhsa_exception_fp_ieee_underflow 0
		.amdhsa_exception_fp_ieee_inexact 0
		.amdhsa_exception_int_div_zero 0
	.end_amdhsa_kernel
	.section	.text._ZN7rocprim17ROCPRIM_400000_NS6detail17trampoline_kernelINS0_14default_configENS1_38merge_sort_block_merge_config_selectorIsNS0_10empty_typeEEEZZNS1_27merge_sort_block_merge_implIS3_PsPS5_jNS1_19radix_merge_compareILb1ELb0EsNS0_19identity_decomposerEEEEE10hipError_tT0_T1_T2_jT3_P12ihipStream_tbPNSt15iterator_traitsISE_E10value_typeEPNSK_ISF_E10value_typeEPSG_NS1_7vsmem_tEENKUlT_SE_SF_SG_E_clIS8_S8_S9_S9_EESD_ST_SE_SF_SG_EUlST_E0_NS1_11comp_targetILNS1_3genE0ELNS1_11target_archE4294967295ELNS1_3gpuE0ELNS1_3repE0EEENS1_38merge_mergepath_config_static_selectorELNS0_4arch9wavefront6targetE0EEEvSF_,"axG",@progbits,_ZN7rocprim17ROCPRIM_400000_NS6detail17trampoline_kernelINS0_14default_configENS1_38merge_sort_block_merge_config_selectorIsNS0_10empty_typeEEEZZNS1_27merge_sort_block_merge_implIS3_PsPS5_jNS1_19radix_merge_compareILb1ELb0EsNS0_19identity_decomposerEEEEE10hipError_tT0_T1_T2_jT3_P12ihipStream_tbPNSt15iterator_traitsISE_E10value_typeEPNSK_ISF_E10value_typeEPSG_NS1_7vsmem_tEENKUlT_SE_SF_SG_E_clIS8_S8_S9_S9_EESD_ST_SE_SF_SG_EUlST_E0_NS1_11comp_targetILNS1_3genE0ELNS1_11target_archE4294967295ELNS1_3gpuE0ELNS1_3repE0EEENS1_38merge_mergepath_config_static_selectorELNS0_4arch9wavefront6targetE0EEEvSF_,comdat
.Lfunc_end528:
	.size	_ZN7rocprim17ROCPRIM_400000_NS6detail17trampoline_kernelINS0_14default_configENS1_38merge_sort_block_merge_config_selectorIsNS0_10empty_typeEEEZZNS1_27merge_sort_block_merge_implIS3_PsPS5_jNS1_19radix_merge_compareILb1ELb0EsNS0_19identity_decomposerEEEEE10hipError_tT0_T1_T2_jT3_P12ihipStream_tbPNSt15iterator_traitsISE_E10value_typeEPNSK_ISF_E10value_typeEPSG_NS1_7vsmem_tEENKUlT_SE_SF_SG_E_clIS8_S8_S9_S9_EESD_ST_SE_SF_SG_EUlST_E0_NS1_11comp_targetILNS1_3genE0ELNS1_11target_archE4294967295ELNS1_3gpuE0ELNS1_3repE0EEENS1_38merge_mergepath_config_static_selectorELNS0_4arch9wavefront6targetE0EEEvSF_, .Lfunc_end528-_ZN7rocprim17ROCPRIM_400000_NS6detail17trampoline_kernelINS0_14default_configENS1_38merge_sort_block_merge_config_selectorIsNS0_10empty_typeEEEZZNS1_27merge_sort_block_merge_implIS3_PsPS5_jNS1_19radix_merge_compareILb1ELb0EsNS0_19identity_decomposerEEEEE10hipError_tT0_T1_T2_jT3_P12ihipStream_tbPNSt15iterator_traitsISE_E10value_typeEPNSK_ISF_E10value_typeEPSG_NS1_7vsmem_tEENKUlT_SE_SF_SG_E_clIS8_S8_S9_S9_EESD_ST_SE_SF_SG_EUlST_E0_NS1_11comp_targetILNS1_3genE0ELNS1_11target_archE4294967295ELNS1_3gpuE0ELNS1_3repE0EEENS1_38merge_mergepath_config_static_selectorELNS0_4arch9wavefront6targetE0EEEvSF_
                                        ; -- End function
	.set _ZN7rocprim17ROCPRIM_400000_NS6detail17trampoline_kernelINS0_14default_configENS1_38merge_sort_block_merge_config_selectorIsNS0_10empty_typeEEEZZNS1_27merge_sort_block_merge_implIS3_PsPS5_jNS1_19radix_merge_compareILb1ELb0EsNS0_19identity_decomposerEEEEE10hipError_tT0_T1_T2_jT3_P12ihipStream_tbPNSt15iterator_traitsISE_E10value_typeEPNSK_ISF_E10value_typeEPSG_NS1_7vsmem_tEENKUlT_SE_SF_SG_E_clIS8_S8_S9_S9_EESD_ST_SE_SF_SG_EUlST_E0_NS1_11comp_targetILNS1_3genE0ELNS1_11target_archE4294967295ELNS1_3gpuE0ELNS1_3repE0EEENS1_38merge_mergepath_config_static_selectorELNS0_4arch9wavefront6targetE0EEEvSF_.num_vgpr, 27
	.set _ZN7rocprim17ROCPRIM_400000_NS6detail17trampoline_kernelINS0_14default_configENS1_38merge_sort_block_merge_config_selectorIsNS0_10empty_typeEEEZZNS1_27merge_sort_block_merge_implIS3_PsPS5_jNS1_19radix_merge_compareILb1ELb0EsNS0_19identity_decomposerEEEEE10hipError_tT0_T1_T2_jT3_P12ihipStream_tbPNSt15iterator_traitsISE_E10value_typeEPNSK_ISF_E10value_typeEPSG_NS1_7vsmem_tEENKUlT_SE_SF_SG_E_clIS8_S8_S9_S9_EESD_ST_SE_SF_SG_EUlST_E0_NS1_11comp_targetILNS1_3genE0ELNS1_11target_archE4294967295ELNS1_3gpuE0ELNS1_3repE0EEENS1_38merge_mergepath_config_static_selectorELNS0_4arch9wavefront6targetE0EEEvSF_.num_agpr, 0
	.set _ZN7rocprim17ROCPRIM_400000_NS6detail17trampoline_kernelINS0_14default_configENS1_38merge_sort_block_merge_config_selectorIsNS0_10empty_typeEEEZZNS1_27merge_sort_block_merge_implIS3_PsPS5_jNS1_19radix_merge_compareILb1ELb0EsNS0_19identity_decomposerEEEEE10hipError_tT0_T1_T2_jT3_P12ihipStream_tbPNSt15iterator_traitsISE_E10value_typeEPNSK_ISF_E10value_typeEPSG_NS1_7vsmem_tEENKUlT_SE_SF_SG_E_clIS8_S8_S9_S9_EESD_ST_SE_SF_SG_EUlST_E0_NS1_11comp_targetILNS1_3genE0ELNS1_11target_archE4294967295ELNS1_3gpuE0ELNS1_3repE0EEENS1_38merge_mergepath_config_static_selectorELNS0_4arch9wavefront6targetE0EEEvSF_.numbered_sgpr, 23
	.set _ZN7rocprim17ROCPRIM_400000_NS6detail17trampoline_kernelINS0_14default_configENS1_38merge_sort_block_merge_config_selectorIsNS0_10empty_typeEEEZZNS1_27merge_sort_block_merge_implIS3_PsPS5_jNS1_19radix_merge_compareILb1ELb0EsNS0_19identity_decomposerEEEEE10hipError_tT0_T1_T2_jT3_P12ihipStream_tbPNSt15iterator_traitsISE_E10value_typeEPNSK_ISF_E10value_typeEPSG_NS1_7vsmem_tEENKUlT_SE_SF_SG_E_clIS8_S8_S9_S9_EESD_ST_SE_SF_SG_EUlST_E0_NS1_11comp_targetILNS1_3genE0ELNS1_11target_archE4294967295ELNS1_3gpuE0ELNS1_3repE0EEENS1_38merge_mergepath_config_static_selectorELNS0_4arch9wavefront6targetE0EEEvSF_.num_named_barrier, 0
	.set _ZN7rocprim17ROCPRIM_400000_NS6detail17trampoline_kernelINS0_14default_configENS1_38merge_sort_block_merge_config_selectorIsNS0_10empty_typeEEEZZNS1_27merge_sort_block_merge_implIS3_PsPS5_jNS1_19radix_merge_compareILb1ELb0EsNS0_19identity_decomposerEEEEE10hipError_tT0_T1_T2_jT3_P12ihipStream_tbPNSt15iterator_traitsISE_E10value_typeEPNSK_ISF_E10value_typeEPSG_NS1_7vsmem_tEENKUlT_SE_SF_SG_E_clIS8_S8_S9_S9_EESD_ST_SE_SF_SG_EUlST_E0_NS1_11comp_targetILNS1_3genE0ELNS1_11target_archE4294967295ELNS1_3gpuE0ELNS1_3repE0EEENS1_38merge_mergepath_config_static_selectorELNS0_4arch9wavefront6targetE0EEEvSF_.private_seg_size, 0
	.set _ZN7rocprim17ROCPRIM_400000_NS6detail17trampoline_kernelINS0_14default_configENS1_38merge_sort_block_merge_config_selectorIsNS0_10empty_typeEEEZZNS1_27merge_sort_block_merge_implIS3_PsPS5_jNS1_19radix_merge_compareILb1ELb0EsNS0_19identity_decomposerEEEEE10hipError_tT0_T1_T2_jT3_P12ihipStream_tbPNSt15iterator_traitsISE_E10value_typeEPNSK_ISF_E10value_typeEPSG_NS1_7vsmem_tEENKUlT_SE_SF_SG_E_clIS8_S8_S9_S9_EESD_ST_SE_SF_SG_EUlST_E0_NS1_11comp_targetILNS1_3genE0ELNS1_11target_archE4294967295ELNS1_3gpuE0ELNS1_3repE0EEENS1_38merge_mergepath_config_static_selectorELNS0_4arch9wavefront6targetE0EEEvSF_.uses_vcc, 1
	.set _ZN7rocprim17ROCPRIM_400000_NS6detail17trampoline_kernelINS0_14default_configENS1_38merge_sort_block_merge_config_selectorIsNS0_10empty_typeEEEZZNS1_27merge_sort_block_merge_implIS3_PsPS5_jNS1_19radix_merge_compareILb1ELb0EsNS0_19identity_decomposerEEEEE10hipError_tT0_T1_T2_jT3_P12ihipStream_tbPNSt15iterator_traitsISE_E10value_typeEPNSK_ISF_E10value_typeEPSG_NS1_7vsmem_tEENKUlT_SE_SF_SG_E_clIS8_S8_S9_S9_EESD_ST_SE_SF_SG_EUlST_E0_NS1_11comp_targetILNS1_3genE0ELNS1_11target_archE4294967295ELNS1_3gpuE0ELNS1_3repE0EEENS1_38merge_mergepath_config_static_selectorELNS0_4arch9wavefront6targetE0EEEvSF_.uses_flat_scratch, 0
	.set _ZN7rocprim17ROCPRIM_400000_NS6detail17trampoline_kernelINS0_14default_configENS1_38merge_sort_block_merge_config_selectorIsNS0_10empty_typeEEEZZNS1_27merge_sort_block_merge_implIS3_PsPS5_jNS1_19radix_merge_compareILb1ELb0EsNS0_19identity_decomposerEEEEE10hipError_tT0_T1_T2_jT3_P12ihipStream_tbPNSt15iterator_traitsISE_E10value_typeEPNSK_ISF_E10value_typeEPSG_NS1_7vsmem_tEENKUlT_SE_SF_SG_E_clIS8_S8_S9_S9_EESD_ST_SE_SF_SG_EUlST_E0_NS1_11comp_targetILNS1_3genE0ELNS1_11target_archE4294967295ELNS1_3gpuE0ELNS1_3repE0EEENS1_38merge_mergepath_config_static_selectorELNS0_4arch9wavefront6targetE0EEEvSF_.has_dyn_sized_stack, 0
	.set _ZN7rocprim17ROCPRIM_400000_NS6detail17trampoline_kernelINS0_14default_configENS1_38merge_sort_block_merge_config_selectorIsNS0_10empty_typeEEEZZNS1_27merge_sort_block_merge_implIS3_PsPS5_jNS1_19radix_merge_compareILb1ELb0EsNS0_19identity_decomposerEEEEE10hipError_tT0_T1_T2_jT3_P12ihipStream_tbPNSt15iterator_traitsISE_E10value_typeEPNSK_ISF_E10value_typeEPSG_NS1_7vsmem_tEENKUlT_SE_SF_SG_E_clIS8_S8_S9_S9_EESD_ST_SE_SF_SG_EUlST_E0_NS1_11comp_targetILNS1_3genE0ELNS1_11target_archE4294967295ELNS1_3gpuE0ELNS1_3repE0EEENS1_38merge_mergepath_config_static_selectorELNS0_4arch9wavefront6targetE0EEEvSF_.has_recursion, 0
	.set _ZN7rocprim17ROCPRIM_400000_NS6detail17trampoline_kernelINS0_14default_configENS1_38merge_sort_block_merge_config_selectorIsNS0_10empty_typeEEEZZNS1_27merge_sort_block_merge_implIS3_PsPS5_jNS1_19radix_merge_compareILb1ELb0EsNS0_19identity_decomposerEEEEE10hipError_tT0_T1_T2_jT3_P12ihipStream_tbPNSt15iterator_traitsISE_E10value_typeEPNSK_ISF_E10value_typeEPSG_NS1_7vsmem_tEENKUlT_SE_SF_SG_E_clIS8_S8_S9_S9_EESD_ST_SE_SF_SG_EUlST_E0_NS1_11comp_targetILNS1_3genE0ELNS1_11target_archE4294967295ELNS1_3gpuE0ELNS1_3repE0EEENS1_38merge_mergepath_config_static_selectorELNS0_4arch9wavefront6targetE0EEEvSF_.has_indirect_call, 0
	.section	.AMDGPU.csdata,"",@progbits
; Kernel info:
; codeLenInByte = 4336
; TotalNumSgprs: 25
; NumVgprs: 27
; ScratchSize: 0
; MemoryBound: 0
; FloatMode: 240
; IeeeMode: 1
; LDSByteSize: 2112 bytes/workgroup (compile time only)
; SGPRBlocks: 0
; VGPRBlocks: 1
; NumSGPRsForWavesPerEU: 25
; NumVGPRsForWavesPerEU: 27
; NamedBarCnt: 0
; Occupancy: 16
; WaveLimiterHint : 1
; COMPUTE_PGM_RSRC2:SCRATCH_EN: 0
; COMPUTE_PGM_RSRC2:USER_SGPR: 2
; COMPUTE_PGM_RSRC2:TRAP_HANDLER: 0
; COMPUTE_PGM_RSRC2:TGID_X_EN: 1
; COMPUTE_PGM_RSRC2:TGID_Y_EN: 1
; COMPUTE_PGM_RSRC2:TGID_Z_EN: 1
; COMPUTE_PGM_RSRC2:TIDIG_COMP_CNT: 0
	.section	.text._ZN7rocprim17ROCPRIM_400000_NS6detail17trampoline_kernelINS0_14default_configENS1_38merge_sort_block_merge_config_selectorIsNS0_10empty_typeEEEZZNS1_27merge_sort_block_merge_implIS3_PsPS5_jNS1_19radix_merge_compareILb1ELb0EsNS0_19identity_decomposerEEEEE10hipError_tT0_T1_T2_jT3_P12ihipStream_tbPNSt15iterator_traitsISE_E10value_typeEPNSK_ISF_E10value_typeEPSG_NS1_7vsmem_tEENKUlT_SE_SF_SG_E_clIS8_S8_S9_S9_EESD_ST_SE_SF_SG_EUlST_E0_NS1_11comp_targetILNS1_3genE10ELNS1_11target_archE1201ELNS1_3gpuE5ELNS1_3repE0EEENS1_38merge_mergepath_config_static_selectorELNS0_4arch9wavefront6targetE0EEEvSF_,"axG",@progbits,_ZN7rocprim17ROCPRIM_400000_NS6detail17trampoline_kernelINS0_14default_configENS1_38merge_sort_block_merge_config_selectorIsNS0_10empty_typeEEEZZNS1_27merge_sort_block_merge_implIS3_PsPS5_jNS1_19radix_merge_compareILb1ELb0EsNS0_19identity_decomposerEEEEE10hipError_tT0_T1_T2_jT3_P12ihipStream_tbPNSt15iterator_traitsISE_E10value_typeEPNSK_ISF_E10value_typeEPSG_NS1_7vsmem_tEENKUlT_SE_SF_SG_E_clIS8_S8_S9_S9_EESD_ST_SE_SF_SG_EUlST_E0_NS1_11comp_targetILNS1_3genE10ELNS1_11target_archE1201ELNS1_3gpuE5ELNS1_3repE0EEENS1_38merge_mergepath_config_static_selectorELNS0_4arch9wavefront6targetE0EEEvSF_,comdat
	.protected	_ZN7rocprim17ROCPRIM_400000_NS6detail17trampoline_kernelINS0_14default_configENS1_38merge_sort_block_merge_config_selectorIsNS0_10empty_typeEEEZZNS1_27merge_sort_block_merge_implIS3_PsPS5_jNS1_19radix_merge_compareILb1ELb0EsNS0_19identity_decomposerEEEEE10hipError_tT0_T1_T2_jT3_P12ihipStream_tbPNSt15iterator_traitsISE_E10value_typeEPNSK_ISF_E10value_typeEPSG_NS1_7vsmem_tEENKUlT_SE_SF_SG_E_clIS8_S8_S9_S9_EESD_ST_SE_SF_SG_EUlST_E0_NS1_11comp_targetILNS1_3genE10ELNS1_11target_archE1201ELNS1_3gpuE5ELNS1_3repE0EEENS1_38merge_mergepath_config_static_selectorELNS0_4arch9wavefront6targetE0EEEvSF_ ; -- Begin function _ZN7rocprim17ROCPRIM_400000_NS6detail17trampoline_kernelINS0_14default_configENS1_38merge_sort_block_merge_config_selectorIsNS0_10empty_typeEEEZZNS1_27merge_sort_block_merge_implIS3_PsPS5_jNS1_19radix_merge_compareILb1ELb0EsNS0_19identity_decomposerEEEEE10hipError_tT0_T1_T2_jT3_P12ihipStream_tbPNSt15iterator_traitsISE_E10value_typeEPNSK_ISF_E10value_typeEPSG_NS1_7vsmem_tEENKUlT_SE_SF_SG_E_clIS8_S8_S9_S9_EESD_ST_SE_SF_SG_EUlST_E0_NS1_11comp_targetILNS1_3genE10ELNS1_11target_archE1201ELNS1_3gpuE5ELNS1_3repE0EEENS1_38merge_mergepath_config_static_selectorELNS0_4arch9wavefront6targetE0EEEvSF_
	.globl	_ZN7rocprim17ROCPRIM_400000_NS6detail17trampoline_kernelINS0_14default_configENS1_38merge_sort_block_merge_config_selectorIsNS0_10empty_typeEEEZZNS1_27merge_sort_block_merge_implIS3_PsPS5_jNS1_19radix_merge_compareILb1ELb0EsNS0_19identity_decomposerEEEEE10hipError_tT0_T1_T2_jT3_P12ihipStream_tbPNSt15iterator_traitsISE_E10value_typeEPNSK_ISF_E10value_typeEPSG_NS1_7vsmem_tEENKUlT_SE_SF_SG_E_clIS8_S8_S9_S9_EESD_ST_SE_SF_SG_EUlST_E0_NS1_11comp_targetILNS1_3genE10ELNS1_11target_archE1201ELNS1_3gpuE5ELNS1_3repE0EEENS1_38merge_mergepath_config_static_selectorELNS0_4arch9wavefront6targetE0EEEvSF_
	.p2align	8
	.type	_ZN7rocprim17ROCPRIM_400000_NS6detail17trampoline_kernelINS0_14default_configENS1_38merge_sort_block_merge_config_selectorIsNS0_10empty_typeEEEZZNS1_27merge_sort_block_merge_implIS3_PsPS5_jNS1_19radix_merge_compareILb1ELb0EsNS0_19identity_decomposerEEEEE10hipError_tT0_T1_T2_jT3_P12ihipStream_tbPNSt15iterator_traitsISE_E10value_typeEPNSK_ISF_E10value_typeEPSG_NS1_7vsmem_tEENKUlT_SE_SF_SG_E_clIS8_S8_S9_S9_EESD_ST_SE_SF_SG_EUlST_E0_NS1_11comp_targetILNS1_3genE10ELNS1_11target_archE1201ELNS1_3gpuE5ELNS1_3repE0EEENS1_38merge_mergepath_config_static_selectorELNS0_4arch9wavefront6targetE0EEEvSF_,@function
_ZN7rocprim17ROCPRIM_400000_NS6detail17trampoline_kernelINS0_14default_configENS1_38merge_sort_block_merge_config_selectorIsNS0_10empty_typeEEEZZNS1_27merge_sort_block_merge_implIS3_PsPS5_jNS1_19radix_merge_compareILb1ELb0EsNS0_19identity_decomposerEEEEE10hipError_tT0_T1_T2_jT3_P12ihipStream_tbPNSt15iterator_traitsISE_E10value_typeEPNSK_ISF_E10value_typeEPSG_NS1_7vsmem_tEENKUlT_SE_SF_SG_E_clIS8_S8_S9_S9_EESD_ST_SE_SF_SG_EUlST_E0_NS1_11comp_targetILNS1_3genE10ELNS1_11target_archE1201ELNS1_3gpuE5ELNS1_3repE0EEENS1_38merge_mergepath_config_static_selectorELNS0_4arch9wavefront6targetE0EEEvSF_: ; @_ZN7rocprim17ROCPRIM_400000_NS6detail17trampoline_kernelINS0_14default_configENS1_38merge_sort_block_merge_config_selectorIsNS0_10empty_typeEEEZZNS1_27merge_sort_block_merge_implIS3_PsPS5_jNS1_19radix_merge_compareILb1ELb0EsNS0_19identity_decomposerEEEEE10hipError_tT0_T1_T2_jT3_P12ihipStream_tbPNSt15iterator_traitsISE_E10value_typeEPNSK_ISF_E10value_typeEPSG_NS1_7vsmem_tEENKUlT_SE_SF_SG_E_clIS8_S8_S9_S9_EESD_ST_SE_SF_SG_EUlST_E0_NS1_11comp_targetILNS1_3genE10ELNS1_11target_archE1201ELNS1_3gpuE5ELNS1_3repE0EEENS1_38merge_mergepath_config_static_selectorELNS0_4arch9wavefront6targetE0EEEvSF_
; %bb.0:
	.section	.rodata,"a",@progbits
	.p2align	6, 0x0
	.amdhsa_kernel _ZN7rocprim17ROCPRIM_400000_NS6detail17trampoline_kernelINS0_14default_configENS1_38merge_sort_block_merge_config_selectorIsNS0_10empty_typeEEEZZNS1_27merge_sort_block_merge_implIS3_PsPS5_jNS1_19radix_merge_compareILb1ELb0EsNS0_19identity_decomposerEEEEE10hipError_tT0_T1_T2_jT3_P12ihipStream_tbPNSt15iterator_traitsISE_E10value_typeEPNSK_ISF_E10value_typeEPSG_NS1_7vsmem_tEENKUlT_SE_SF_SG_E_clIS8_S8_S9_S9_EESD_ST_SE_SF_SG_EUlST_E0_NS1_11comp_targetILNS1_3genE10ELNS1_11target_archE1201ELNS1_3gpuE5ELNS1_3repE0EEENS1_38merge_mergepath_config_static_selectorELNS0_4arch9wavefront6targetE0EEEvSF_
		.amdhsa_group_segment_fixed_size 0
		.amdhsa_private_segment_fixed_size 0
		.amdhsa_kernarg_size 64
		.amdhsa_user_sgpr_count 2
		.amdhsa_user_sgpr_dispatch_ptr 0
		.amdhsa_user_sgpr_queue_ptr 0
		.amdhsa_user_sgpr_kernarg_segment_ptr 1
		.amdhsa_user_sgpr_dispatch_id 0
		.amdhsa_user_sgpr_kernarg_preload_length 0
		.amdhsa_user_sgpr_kernarg_preload_offset 0
		.amdhsa_user_sgpr_private_segment_size 0
		.amdhsa_wavefront_size32 1
		.amdhsa_uses_dynamic_stack 0
		.amdhsa_enable_private_segment 0
		.amdhsa_system_sgpr_workgroup_id_x 1
		.amdhsa_system_sgpr_workgroup_id_y 0
		.amdhsa_system_sgpr_workgroup_id_z 0
		.amdhsa_system_sgpr_workgroup_info 0
		.amdhsa_system_vgpr_workitem_id 0
		.amdhsa_next_free_vgpr 1
		.amdhsa_next_free_sgpr 1
		.amdhsa_named_barrier_count 0
		.amdhsa_reserve_vcc 0
		.amdhsa_float_round_mode_32 0
		.amdhsa_float_round_mode_16_64 0
		.amdhsa_float_denorm_mode_32 3
		.amdhsa_float_denorm_mode_16_64 3
		.amdhsa_fp16_overflow 0
		.amdhsa_memory_ordered 1
		.amdhsa_forward_progress 1
		.amdhsa_inst_pref_size 0
		.amdhsa_round_robin_scheduling 0
		.amdhsa_exception_fp_ieee_invalid_op 0
		.amdhsa_exception_fp_denorm_src 0
		.amdhsa_exception_fp_ieee_div_zero 0
		.amdhsa_exception_fp_ieee_overflow 0
		.amdhsa_exception_fp_ieee_underflow 0
		.amdhsa_exception_fp_ieee_inexact 0
		.amdhsa_exception_int_div_zero 0
	.end_amdhsa_kernel
	.section	.text._ZN7rocprim17ROCPRIM_400000_NS6detail17trampoline_kernelINS0_14default_configENS1_38merge_sort_block_merge_config_selectorIsNS0_10empty_typeEEEZZNS1_27merge_sort_block_merge_implIS3_PsPS5_jNS1_19radix_merge_compareILb1ELb0EsNS0_19identity_decomposerEEEEE10hipError_tT0_T1_T2_jT3_P12ihipStream_tbPNSt15iterator_traitsISE_E10value_typeEPNSK_ISF_E10value_typeEPSG_NS1_7vsmem_tEENKUlT_SE_SF_SG_E_clIS8_S8_S9_S9_EESD_ST_SE_SF_SG_EUlST_E0_NS1_11comp_targetILNS1_3genE10ELNS1_11target_archE1201ELNS1_3gpuE5ELNS1_3repE0EEENS1_38merge_mergepath_config_static_selectorELNS0_4arch9wavefront6targetE0EEEvSF_,"axG",@progbits,_ZN7rocprim17ROCPRIM_400000_NS6detail17trampoline_kernelINS0_14default_configENS1_38merge_sort_block_merge_config_selectorIsNS0_10empty_typeEEEZZNS1_27merge_sort_block_merge_implIS3_PsPS5_jNS1_19radix_merge_compareILb1ELb0EsNS0_19identity_decomposerEEEEE10hipError_tT0_T1_T2_jT3_P12ihipStream_tbPNSt15iterator_traitsISE_E10value_typeEPNSK_ISF_E10value_typeEPSG_NS1_7vsmem_tEENKUlT_SE_SF_SG_E_clIS8_S8_S9_S9_EESD_ST_SE_SF_SG_EUlST_E0_NS1_11comp_targetILNS1_3genE10ELNS1_11target_archE1201ELNS1_3gpuE5ELNS1_3repE0EEENS1_38merge_mergepath_config_static_selectorELNS0_4arch9wavefront6targetE0EEEvSF_,comdat
.Lfunc_end529:
	.size	_ZN7rocprim17ROCPRIM_400000_NS6detail17trampoline_kernelINS0_14default_configENS1_38merge_sort_block_merge_config_selectorIsNS0_10empty_typeEEEZZNS1_27merge_sort_block_merge_implIS3_PsPS5_jNS1_19radix_merge_compareILb1ELb0EsNS0_19identity_decomposerEEEEE10hipError_tT0_T1_T2_jT3_P12ihipStream_tbPNSt15iterator_traitsISE_E10value_typeEPNSK_ISF_E10value_typeEPSG_NS1_7vsmem_tEENKUlT_SE_SF_SG_E_clIS8_S8_S9_S9_EESD_ST_SE_SF_SG_EUlST_E0_NS1_11comp_targetILNS1_3genE10ELNS1_11target_archE1201ELNS1_3gpuE5ELNS1_3repE0EEENS1_38merge_mergepath_config_static_selectorELNS0_4arch9wavefront6targetE0EEEvSF_, .Lfunc_end529-_ZN7rocprim17ROCPRIM_400000_NS6detail17trampoline_kernelINS0_14default_configENS1_38merge_sort_block_merge_config_selectorIsNS0_10empty_typeEEEZZNS1_27merge_sort_block_merge_implIS3_PsPS5_jNS1_19radix_merge_compareILb1ELb0EsNS0_19identity_decomposerEEEEE10hipError_tT0_T1_T2_jT3_P12ihipStream_tbPNSt15iterator_traitsISE_E10value_typeEPNSK_ISF_E10value_typeEPSG_NS1_7vsmem_tEENKUlT_SE_SF_SG_E_clIS8_S8_S9_S9_EESD_ST_SE_SF_SG_EUlST_E0_NS1_11comp_targetILNS1_3genE10ELNS1_11target_archE1201ELNS1_3gpuE5ELNS1_3repE0EEENS1_38merge_mergepath_config_static_selectorELNS0_4arch9wavefront6targetE0EEEvSF_
                                        ; -- End function
	.set _ZN7rocprim17ROCPRIM_400000_NS6detail17trampoline_kernelINS0_14default_configENS1_38merge_sort_block_merge_config_selectorIsNS0_10empty_typeEEEZZNS1_27merge_sort_block_merge_implIS3_PsPS5_jNS1_19radix_merge_compareILb1ELb0EsNS0_19identity_decomposerEEEEE10hipError_tT0_T1_T2_jT3_P12ihipStream_tbPNSt15iterator_traitsISE_E10value_typeEPNSK_ISF_E10value_typeEPSG_NS1_7vsmem_tEENKUlT_SE_SF_SG_E_clIS8_S8_S9_S9_EESD_ST_SE_SF_SG_EUlST_E0_NS1_11comp_targetILNS1_3genE10ELNS1_11target_archE1201ELNS1_3gpuE5ELNS1_3repE0EEENS1_38merge_mergepath_config_static_selectorELNS0_4arch9wavefront6targetE0EEEvSF_.num_vgpr, 0
	.set _ZN7rocprim17ROCPRIM_400000_NS6detail17trampoline_kernelINS0_14default_configENS1_38merge_sort_block_merge_config_selectorIsNS0_10empty_typeEEEZZNS1_27merge_sort_block_merge_implIS3_PsPS5_jNS1_19radix_merge_compareILb1ELb0EsNS0_19identity_decomposerEEEEE10hipError_tT0_T1_T2_jT3_P12ihipStream_tbPNSt15iterator_traitsISE_E10value_typeEPNSK_ISF_E10value_typeEPSG_NS1_7vsmem_tEENKUlT_SE_SF_SG_E_clIS8_S8_S9_S9_EESD_ST_SE_SF_SG_EUlST_E0_NS1_11comp_targetILNS1_3genE10ELNS1_11target_archE1201ELNS1_3gpuE5ELNS1_3repE0EEENS1_38merge_mergepath_config_static_selectorELNS0_4arch9wavefront6targetE0EEEvSF_.num_agpr, 0
	.set _ZN7rocprim17ROCPRIM_400000_NS6detail17trampoline_kernelINS0_14default_configENS1_38merge_sort_block_merge_config_selectorIsNS0_10empty_typeEEEZZNS1_27merge_sort_block_merge_implIS3_PsPS5_jNS1_19radix_merge_compareILb1ELb0EsNS0_19identity_decomposerEEEEE10hipError_tT0_T1_T2_jT3_P12ihipStream_tbPNSt15iterator_traitsISE_E10value_typeEPNSK_ISF_E10value_typeEPSG_NS1_7vsmem_tEENKUlT_SE_SF_SG_E_clIS8_S8_S9_S9_EESD_ST_SE_SF_SG_EUlST_E0_NS1_11comp_targetILNS1_3genE10ELNS1_11target_archE1201ELNS1_3gpuE5ELNS1_3repE0EEENS1_38merge_mergepath_config_static_selectorELNS0_4arch9wavefront6targetE0EEEvSF_.numbered_sgpr, 0
	.set _ZN7rocprim17ROCPRIM_400000_NS6detail17trampoline_kernelINS0_14default_configENS1_38merge_sort_block_merge_config_selectorIsNS0_10empty_typeEEEZZNS1_27merge_sort_block_merge_implIS3_PsPS5_jNS1_19radix_merge_compareILb1ELb0EsNS0_19identity_decomposerEEEEE10hipError_tT0_T1_T2_jT3_P12ihipStream_tbPNSt15iterator_traitsISE_E10value_typeEPNSK_ISF_E10value_typeEPSG_NS1_7vsmem_tEENKUlT_SE_SF_SG_E_clIS8_S8_S9_S9_EESD_ST_SE_SF_SG_EUlST_E0_NS1_11comp_targetILNS1_3genE10ELNS1_11target_archE1201ELNS1_3gpuE5ELNS1_3repE0EEENS1_38merge_mergepath_config_static_selectorELNS0_4arch9wavefront6targetE0EEEvSF_.num_named_barrier, 0
	.set _ZN7rocprim17ROCPRIM_400000_NS6detail17trampoline_kernelINS0_14default_configENS1_38merge_sort_block_merge_config_selectorIsNS0_10empty_typeEEEZZNS1_27merge_sort_block_merge_implIS3_PsPS5_jNS1_19radix_merge_compareILb1ELb0EsNS0_19identity_decomposerEEEEE10hipError_tT0_T1_T2_jT3_P12ihipStream_tbPNSt15iterator_traitsISE_E10value_typeEPNSK_ISF_E10value_typeEPSG_NS1_7vsmem_tEENKUlT_SE_SF_SG_E_clIS8_S8_S9_S9_EESD_ST_SE_SF_SG_EUlST_E0_NS1_11comp_targetILNS1_3genE10ELNS1_11target_archE1201ELNS1_3gpuE5ELNS1_3repE0EEENS1_38merge_mergepath_config_static_selectorELNS0_4arch9wavefront6targetE0EEEvSF_.private_seg_size, 0
	.set _ZN7rocprim17ROCPRIM_400000_NS6detail17trampoline_kernelINS0_14default_configENS1_38merge_sort_block_merge_config_selectorIsNS0_10empty_typeEEEZZNS1_27merge_sort_block_merge_implIS3_PsPS5_jNS1_19radix_merge_compareILb1ELb0EsNS0_19identity_decomposerEEEEE10hipError_tT0_T1_T2_jT3_P12ihipStream_tbPNSt15iterator_traitsISE_E10value_typeEPNSK_ISF_E10value_typeEPSG_NS1_7vsmem_tEENKUlT_SE_SF_SG_E_clIS8_S8_S9_S9_EESD_ST_SE_SF_SG_EUlST_E0_NS1_11comp_targetILNS1_3genE10ELNS1_11target_archE1201ELNS1_3gpuE5ELNS1_3repE0EEENS1_38merge_mergepath_config_static_selectorELNS0_4arch9wavefront6targetE0EEEvSF_.uses_vcc, 0
	.set _ZN7rocprim17ROCPRIM_400000_NS6detail17trampoline_kernelINS0_14default_configENS1_38merge_sort_block_merge_config_selectorIsNS0_10empty_typeEEEZZNS1_27merge_sort_block_merge_implIS3_PsPS5_jNS1_19radix_merge_compareILb1ELb0EsNS0_19identity_decomposerEEEEE10hipError_tT0_T1_T2_jT3_P12ihipStream_tbPNSt15iterator_traitsISE_E10value_typeEPNSK_ISF_E10value_typeEPSG_NS1_7vsmem_tEENKUlT_SE_SF_SG_E_clIS8_S8_S9_S9_EESD_ST_SE_SF_SG_EUlST_E0_NS1_11comp_targetILNS1_3genE10ELNS1_11target_archE1201ELNS1_3gpuE5ELNS1_3repE0EEENS1_38merge_mergepath_config_static_selectorELNS0_4arch9wavefront6targetE0EEEvSF_.uses_flat_scratch, 0
	.set _ZN7rocprim17ROCPRIM_400000_NS6detail17trampoline_kernelINS0_14default_configENS1_38merge_sort_block_merge_config_selectorIsNS0_10empty_typeEEEZZNS1_27merge_sort_block_merge_implIS3_PsPS5_jNS1_19radix_merge_compareILb1ELb0EsNS0_19identity_decomposerEEEEE10hipError_tT0_T1_T2_jT3_P12ihipStream_tbPNSt15iterator_traitsISE_E10value_typeEPNSK_ISF_E10value_typeEPSG_NS1_7vsmem_tEENKUlT_SE_SF_SG_E_clIS8_S8_S9_S9_EESD_ST_SE_SF_SG_EUlST_E0_NS1_11comp_targetILNS1_3genE10ELNS1_11target_archE1201ELNS1_3gpuE5ELNS1_3repE0EEENS1_38merge_mergepath_config_static_selectorELNS0_4arch9wavefront6targetE0EEEvSF_.has_dyn_sized_stack, 0
	.set _ZN7rocprim17ROCPRIM_400000_NS6detail17trampoline_kernelINS0_14default_configENS1_38merge_sort_block_merge_config_selectorIsNS0_10empty_typeEEEZZNS1_27merge_sort_block_merge_implIS3_PsPS5_jNS1_19radix_merge_compareILb1ELb0EsNS0_19identity_decomposerEEEEE10hipError_tT0_T1_T2_jT3_P12ihipStream_tbPNSt15iterator_traitsISE_E10value_typeEPNSK_ISF_E10value_typeEPSG_NS1_7vsmem_tEENKUlT_SE_SF_SG_E_clIS8_S8_S9_S9_EESD_ST_SE_SF_SG_EUlST_E0_NS1_11comp_targetILNS1_3genE10ELNS1_11target_archE1201ELNS1_3gpuE5ELNS1_3repE0EEENS1_38merge_mergepath_config_static_selectorELNS0_4arch9wavefront6targetE0EEEvSF_.has_recursion, 0
	.set _ZN7rocprim17ROCPRIM_400000_NS6detail17trampoline_kernelINS0_14default_configENS1_38merge_sort_block_merge_config_selectorIsNS0_10empty_typeEEEZZNS1_27merge_sort_block_merge_implIS3_PsPS5_jNS1_19radix_merge_compareILb1ELb0EsNS0_19identity_decomposerEEEEE10hipError_tT0_T1_T2_jT3_P12ihipStream_tbPNSt15iterator_traitsISE_E10value_typeEPNSK_ISF_E10value_typeEPSG_NS1_7vsmem_tEENKUlT_SE_SF_SG_E_clIS8_S8_S9_S9_EESD_ST_SE_SF_SG_EUlST_E0_NS1_11comp_targetILNS1_3genE10ELNS1_11target_archE1201ELNS1_3gpuE5ELNS1_3repE0EEENS1_38merge_mergepath_config_static_selectorELNS0_4arch9wavefront6targetE0EEEvSF_.has_indirect_call, 0
	.section	.AMDGPU.csdata,"",@progbits
; Kernel info:
; codeLenInByte = 0
; TotalNumSgprs: 0
; NumVgprs: 0
; ScratchSize: 0
; MemoryBound: 0
; FloatMode: 240
; IeeeMode: 1
; LDSByteSize: 0 bytes/workgroup (compile time only)
; SGPRBlocks: 0
; VGPRBlocks: 0
; NumSGPRsForWavesPerEU: 1
; NumVGPRsForWavesPerEU: 1
; NamedBarCnt: 0
; Occupancy: 16
; WaveLimiterHint : 0
; COMPUTE_PGM_RSRC2:SCRATCH_EN: 0
; COMPUTE_PGM_RSRC2:USER_SGPR: 2
; COMPUTE_PGM_RSRC2:TRAP_HANDLER: 0
; COMPUTE_PGM_RSRC2:TGID_X_EN: 1
; COMPUTE_PGM_RSRC2:TGID_Y_EN: 0
; COMPUTE_PGM_RSRC2:TGID_Z_EN: 0
; COMPUTE_PGM_RSRC2:TIDIG_COMP_CNT: 0
	.section	.text._ZN7rocprim17ROCPRIM_400000_NS6detail17trampoline_kernelINS0_14default_configENS1_38merge_sort_block_merge_config_selectorIsNS0_10empty_typeEEEZZNS1_27merge_sort_block_merge_implIS3_PsPS5_jNS1_19radix_merge_compareILb1ELb0EsNS0_19identity_decomposerEEEEE10hipError_tT0_T1_T2_jT3_P12ihipStream_tbPNSt15iterator_traitsISE_E10value_typeEPNSK_ISF_E10value_typeEPSG_NS1_7vsmem_tEENKUlT_SE_SF_SG_E_clIS8_S8_S9_S9_EESD_ST_SE_SF_SG_EUlST_E0_NS1_11comp_targetILNS1_3genE5ELNS1_11target_archE942ELNS1_3gpuE9ELNS1_3repE0EEENS1_38merge_mergepath_config_static_selectorELNS0_4arch9wavefront6targetE0EEEvSF_,"axG",@progbits,_ZN7rocprim17ROCPRIM_400000_NS6detail17trampoline_kernelINS0_14default_configENS1_38merge_sort_block_merge_config_selectorIsNS0_10empty_typeEEEZZNS1_27merge_sort_block_merge_implIS3_PsPS5_jNS1_19radix_merge_compareILb1ELb0EsNS0_19identity_decomposerEEEEE10hipError_tT0_T1_T2_jT3_P12ihipStream_tbPNSt15iterator_traitsISE_E10value_typeEPNSK_ISF_E10value_typeEPSG_NS1_7vsmem_tEENKUlT_SE_SF_SG_E_clIS8_S8_S9_S9_EESD_ST_SE_SF_SG_EUlST_E0_NS1_11comp_targetILNS1_3genE5ELNS1_11target_archE942ELNS1_3gpuE9ELNS1_3repE0EEENS1_38merge_mergepath_config_static_selectorELNS0_4arch9wavefront6targetE0EEEvSF_,comdat
	.protected	_ZN7rocprim17ROCPRIM_400000_NS6detail17trampoline_kernelINS0_14default_configENS1_38merge_sort_block_merge_config_selectorIsNS0_10empty_typeEEEZZNS1_27merge_sort_block_merge_implIS3_PsPS5_jNS1_19radix_merge_compareILb1ELb0EsNS0_19identity_decomposerEEEEE10hipError_tT0_T1_T2_jT3_P12ihipStream_tbPNSt15iterator_traitsISE_E10value_typeEPNSK_ISF_E10value_typeEPSG_NS1_7vsmem_tEENKUlT_SE_SF_SG_E_clIS8_S8_S9_S9_EESD_ST_SE_SF_SG_EUlST_E0_NS1_11comp_targetILNS1_3genE5ELNS1_11target_archE942ELNS1_3gpuE9ELNS1_3repE0EEENS1_38merge_mergepath_config_static_selectorELNS0_4arch9wavefront6targetE0EEEvSF_ ; -- Begin function _ZN7rocprim17ROCPRIM_400000_NS6detail17trampoline_kernelINS0_14default_configENS1_38merge_sort_block_merge_config_selectorIsNS0_10empty_typeEEEZZNS1_27merge_sort_block_merge_implIS3_PsPS5_jNS1_19radix_merge_compareILb1ELb0EsNS0_19identity_decomposerEEEEE10hipError_tT0_T1_T2_jT3_P12ihipStream_tbPNSt15iterator_traitsISE_E10value_typeEPNSK_ISF_E10value_typeEPSG_NS1_7vsmem_tEENKUlT_SE_SF_SG_E_clIS8_S8_S9_S9_EESD_ST_SE_SF_SG_EUlST_E0_NS1_11comp_targetILNS1_3genE5ELNS1_11target_archE942ELNS1_3gpuE9ELNS1_3repE0EEENS1_38merge_mergepath_config_static_selectorELNS0_4arch9wavefront6targetE0EEEvSF_
	.globl	_ZN7rocprim17ROCPRIM_400000_NS6detail17trampoline_kernelINS0_14default_configENS1_38merge_sort_block_merge_config_selectorIsNS0_10empty_typeEEEZZNS1_27merge_sort_block_merge_implIS3_PsPS5_jNS1_19radix_merge_compareILb1ELb0EsNS0_19identity_decomposerEEEEE10hipError_tT0_T1_T2_jT3_P12ihipStream_tbPNSt15iterator_traitsISE_E10value_typeEPNSK_ISF_E10value_typeEPSG_NS1_7vsmem_tEENKUlT_SE_SF_SG_E_clIS8_S8_S9_S9_EESD_ST_SE_SF_SG_EUlST_E0_NS1_11comp_targetILNS1_3genE5ELNS1_11target_archE942ELNS1_3gpuE9ELNS1_3repE0EEENS1_38merge_mergepath_config_static_selectorELNS0_4arch9wavefront6targetE0EEEvSF_
	.p2align	8
	.type	_ZN7rocprim17ROCPRIM_400000_NS6detail17trampoline_kernelINS0_14default_configENS1_38merge_sort_block_merge_config_selectorIsNS0_10empty_typeEEEZZNS1_27merge_sort_block_merge_implIS3_PsPS5_jNS1_19radix_merge_compareILb1ELb0EsNS0_19identity_decomposerEEEEE10hipError_tT0_T1_T2_jT3_P12ihipStream_tbPNSt15iterator_traitsISE_E10value_typeEPNSK_ISF_E10value_typeEPSG_NS1_7vsmem_tEENKUlT_SE_SF_SG_E_clIS8_S8_S9_S9_EESD_ST_SE_SF_SG_EUlST_E0_NS1_11comp_targetILNS1_3genE5ELNS1_11target_archE942ELNS1_3gpuE9ELNS1_3repE0EEENS1_38merge_mergepath_config_static_selectorELNS0_4arch9wavefront6targetE0EEEvSF_,@function
_ZN7rocprim17ROCPRIM_400000_NS6detail17trampoline_kernelINS0_14default_configENS1_38merge_sort_block_merge_config_selectorIsNS0_10empty_typeEEEZZNS1_27merge_sort_block_merge_implIS3_PsPS5_jNS1_19radix_merge_compareILb1ELb0EsNS0_19identity_decomposerEEEEE10hipError_tT0_T1_T2_jT3_P12ihipStream_tbPNSt15iterator_traitsISE_E10value_typeEPNSK_ISF_E10value_typeEPSG_NS1_7vsmem_tEENKUlT_SE_SF_SG_E_clIS8_S8_S9_S9_EESD_ST_SE_SF_SG_EUlST_E0_NS1_11comp_targetILNS1_3genE5ELNS1_11target_archE942ELNS1_3gpuE9ELNS1_3repE0EEENS1_38merge_mergepath_config_static_selectorELNS0_4arch9wavefront6targetE0EEEvSF_: ; @_ZN7rocprim17ROCPRIM_400000_NS6detail17trampoline_kernelINS0_14default_configENS1_38merge_sort_block_merge_config_selectorIsNS0_10empty_typeEEEZZNS1_27merge_sort_block_merge_implIS3_PsPS5_jNS1_19radix_merge_compareILb1ELb0EsNS0_19identity_decomposerEEEEE10hipError_tT0_T1_T2_jT3_P12ihipStream_tbPNSt15iterator_traitsISE_E10value_typeEPNSK_ISF_E10value_typeEPSG_NS1_7vsmem_tEENKUlT_SE_SF_SG_E_clIS8_S8_S9_S9_EESD_ST_SE_SF_SG_EUlST_E0_NS1_11comp_targetILNS1_3genE5ELNS1_11target_archE942ELNS1_3gpuE9ELNS1_3repE0EEENS1_38merge_mergepath_config_static_selectorELNS0_4arch9wavefront6targetE0EEEvSF_
; %bb.0:
	.section	.rodata,"a",@progbits
	.p2align	6, 0x0
	.amdhsa_kernel _ZN7rocprim17ROCPRIM_400000_NS6detail17trampoline_kernelINS0_14default_configENS1_38merge_sort_block_merge_config_selectorIsNS0_10empty_typeEEEZZNS1_27merge_sort_block_merge_implIS3_PsPS5_jNS1_19radix_merge_compareILb1ELb0EsNS0_19identity_decomposerEEEEE10hipError_tT0_T1_T2_jT3_P12ihipStream_tbPNSt15iterator_traitsISE_E10value_typeEPNSK_ISF_E10value_typeEPSG_NS1_7vsmem_tEENKUlT_SE_SF_SG_E_clIS8_S8_S9_S9_EESD_ST_SE_SF_SG_EUlST_E0_NS1_11comp_targetILNS1_3genE5ELNS1_11target_archE942ELNS1_3gpuE9ELNS1_3repE0EEENS1_38merge_mergepath_config_static_selectorELNS0_4arch9wavefront6targetE0EEEvSF_
		.amdhsa_group_segment_fixed_size 0
		.amdhsa_private_segment_fixed_size 0
		.amdhsa_kernarg_size 64
		.amdhsa_user_sgpr_count 2
		.amdhsa_user_sgpr_dispatch_ptr 0
		.amdhsa_user_sgpr_queue_ptr 0
		.amdhsa_user_sgpr_kernarg_segment_ptr 1
		.amdhsa_user_sgpr_dispatch_id 0
		.amdhsa_user_sgpr_kernarg_preload_length 0
		.amdhsa_user_sgpr_kernarg_preload_offset 0
		.amdhsa_user_sgpr_private_segment_size 0
		.amdhsa_wavefront_size32 1
		.amdhsa_uses_dynamic_stack 0
		.amdhsa_enable_private_segment 0
		.amdhsa_system_sgpr_workgroup_id_x 1
		.amdhsa_system_sgpr_workgroup_id_y 0
		.amdhsa_system_sgpr_workgroup_id_z 0
		.amdhsa_system_sgpr_workgroup_info 0
		.amdhsa_system_vgpr_workitem_id 0
		.amdhsa_next_free_vgpr 1
		.amdhsa_next_free_sgpr 1
		.amdhsa_named_barrier_count 0
		.amdhsa_reserve_vcc 0
		.amdhsa_float_round_mode_32 0
		.amdhsa_float_round_mode_16_64 0
		.amdhsa_float_denorm_mode_32 3
		.amdhsa_float_denorm_mode_16_64 3
		.amdhsa_fp16_overflow 0
		.amdhsa_memory_ordered 1
		.amdhsa_forward_progress 1
		.amdhsa_inst_pref_size 0
		.amdhsa_round_robin_scheduling 0
		.amdhsa_exception_fp_ieee_invalid_op 0
		.amdhsa_exception_fp_denorm_src 0
		.amdhsa_exception_fp_ieee_div_zero 0
		.amdhsa_exception_fp_ieee_overflow 0
		.amdhsa_exception_fp_ieee_underflow 0
		.amdhsa_exception_fp_ieee_inexact 0
		.amdhsa_exception_int_div_zero 0
	.end_amdhsa_kernel
	.section	.text._ZN7rocprim17ROCPRIM_400000_NS6detail17trampoline_kernelINS0_14default_configENS1_38merge_sort_block_merge_config_selectorIsNS0_10empty_typeEEEZZNS1_27merge_sort_block_merge_implIS3_PsPS5_jNS1_19radix_merge_compareILb1ELb0EsNS0_19identity_decomposerEEEEE10hipError_tT0_T1_T2_jT3_P12ihipStream_tbPNSt15iterator_traitsISE_E10value_typeEPNSK_ISF_E10value_typeEPSG_NS1_7vsmem_tEENKUlT_SE_SF_SG_E_clIS8_S8_S9_S9_EESD_ST_SE_SF_SG_EUlST_E0_NS1_11comp_targetILNS1_3genE5ELNS1_11target_archE942ELNS1_3gpuE9ELNS1_3repE0EEENS1_38merge_mergepath_config_static_selectorELNS0_4arch9wavefront6targetE0EEEvSF_,"axG",@progbits,_ZN7rocprim17ROCPRIM_400000_NS6detail17trampoline_kernelINS0_14default_configENS1_38merge_sort_block_merge_config_selectorIsNS0_10empty_typeEEEZZNS1_27merge_sort_block_merge_implIS3_PsPS5_jNS1_19radix_merge_compareILb1ELb0EsNS0_19identity_decomposerEEEEE10hipError_tT0_T1_T2_jT3_P12ihipStream_tbPNSt15iterator_traitsISE_E10value_typeEPNSK_ISF_E10value_typeEPSG_NS1_7vsmem_tEENKUlT_SE_SF_SG_E_clIS8_S8_S9_S9_EESD_ST_SE_SF_SG_EUlST_E0_NS1_11comp_targetILNS1_3genE5ELNS1_11target_archE942ELNS1_3gpuE9ELNS1_3repE0EEENS1_38merge_mergepath_config_static_selectorELNS0_4arch9wavefront6targetE0EEEvSF_,comdat
.Lfunc_end530:
	.size	_ZN7rocprim17ROCPRIM_400000_NS6detail17trampoline_kernelINS0_14default_configENS1_38merge_sort_block_merge_config_selectorIsNS0_10empty_typeEEEZZNS1_27merge_sort_block_merge_implIS3_PsPS5_jNS1_19radix_merge_compareILb1ELb0EsNS0_19identity_decomposerEEEEE10hipError_tT0_T1_T2_jT3_P12ihipStream_tbPNSt15iterator_traitsISE_E10value_typeEPNSK_ISF_E10value_typeEPSG_NS1_7vsmem_tEENKUlT_SE_SF_SG_E_clIS8_S8_S9_S9_EESD_ST_SE_SF_SG_EUlST_E0_NS1_11comp_targetILNS1_3genE5ELNS1_11target_archE942ELNS1_3gpuE9ELNS1_3repE0EEENS1_38merge_mergepath_config_static_selectorELNS0_4arch9wavefront6targetE0EEEvSF_, .Lfunc_end530-_ZN7rocprim17ROCPRIM_400000_NS6detail17trampoline_kernelINS0_14default_configENS1_38merge_sort_block_merge_config_selectorIsNS0_10empty_typeEEEZZNS1_27merge_sort_block_merge_implIS3_PsPS5_jNS1_19radix_merge_compareILb1ELb0EsNS0_19identity_decomposerEEEEE10hipError_tT0_T1_T2_jT3_P12ihipStream_tbPNSt15iterator_traitsISE_E10value_typeEPNSK_ISF_E10value_typeEPSG_NS1_7vsmem_tEENKUlT_SE_SF_SG_E_clIS8_S8_S9_S9_EESD_ST_SE_SF_SG_EUlST_E0_NS1_11comp_targetILNS1_3genE5ELNS1_11target_archE942ELNS1_3gpuE9ELNS1_3repE0EEENS1_38merge_mergepath_config_static_selectorELNS0_4arch9wavefront6targetE0EEEvSF_
                                        ; -- End function
	.set _ZN7rocprim17ROCPRIM_400000_NS6detail17trampoline_kernelINS0_14default_configENS1_38merge_sort_block_merge_config_selectorIsNS0_10empty_typeEEEZZNS1_27merge_sort_block_merge_implIS3_PsPS5_jNS1_19radix_merge_compareILb1ELb0EsNS0_19identity_decomposerEEEEE10hipError_tT0_T1_T2_jT3_P12ihipStream_tbPNSt15iterator_traitsISE_E10value_typeEPNSK_ISF_E10value_typeEPSG_NS1_7vsmem_tEENKUlT_SE_SF_SG_E_clIS8_S8_S9_S9_EESD_ST_SE_SF_SG_EUlST_E0_NS1_11comp_targetILNS1_3genE5ELNS1_11target_archE942ELNS1_3gpuE9ELNS1_3repE0EEENS1_38merge_mergepath_config_static_selectorELNS0_4arch9wavefront6targetE0EEEvSF_.num_vgpr, 0
	.set _ZN7rocprim17ROCPRIM_400000_NS6detail17trampoline_kernelINS0_14default_configENS1_38merge_sort_block_merge_config_selectorIsNS0_10empty_typeEEEZZNS1_27merge_sort_block_merge_implIS3_PsPS5_jNS1_19radix_merge_compareILb1ELb0EsNS0_19identity_decomposerEEEEE10hipError_tT0_T1_T2_jT3_P12ihipStream_tbPNSt15iterator_traitsISE_E10value_typeEPNSK_ISF_E10value_typeEPSG_NS1_7vsmem_tEENKUlT_SE_SF_SG_E_clIS8_S8_S9_S9_EESD_ST_SE_SF_SG_EUlST_E0_NS1_11comp_targetILNS1_3genE5ELNS1_11target_archE942ELNS1_3gpuE9ELNS1_3repE0EEENS1_38merge_mergepath_config_static_selectorELNS0_4arch9wavefront6targetE0EEEvSF_.num_agpr, 0
	.set _ZN7rocprim17ROCPRIM_400000_NS6detail17trampoline_kernelINS0_14default_configENS1_38merge_sort_block_merge_config_selectorIsNS0_10empty_typeEEEZZNS1_27merge_sort_block_merge_implIS3_PsPS5_jNS1_19radix_merge_compareILb1ELb0EsNS0_19identity_decomposerEEEEE10hipError_tT0_T1_T2_jT3_P12ihipStream_tbPNSt15iterator_traitsISE_E10value_typeEPNSK_ISF_E10value_typeEPSG_NS1_7vsmem_tEENKUlT_SE_SF_SG_E_clIS8_S8_S9_S9_EESD_ST_SE_SF_SG_EUlST_E0_NS1_11comp_targetILNS1_3genE5ELNS1_11target_archE942ELNS1_3gpuE9ELNS1_3repE0EEENS1_38merge_mergepath_config_static_selectorELNS0_4arch9wavefront6targetE0EEEvSF_.numbered_sgpr, 0
	.set _ZN7rocprim17ROCPRIM_400000_NS6detail17trampoline_kernelINS0_14default_configENS1_38merge_sort_block_merge_config_selectorIsNS0_10empty_typeEEEZZNS1_27merge_sort_block_merge_implIS3_PsPS5_jNS1_19radix_merge_compareILb1ELb0EsNS0_19identity_decomposerEEEEE10hipError_tT0_T1_T2_jT3_P12ihipStream_tbPNSt15iterator_traitsISE_E10value_typeEPNSK_ISF_E10value_typeEPSG_NS1_7vsmem_tEENKUlT_SE_SF_SG_E_clIS8_S8_S9_S9_EESD_ST_SE_SF_SG_EUlST_E0_NS1_11comp_targetILNS1_3genE5ELNS1_11target_archE942ELNS1_3gpuE9ELNS1_3repE0EEENS1_38merge_mergepath_config_static_selectorELNS0_4arch9wavefront6targetE0EEEvSF_.num_named_barrier, 0
	.set _ZN7rocprim17ROCPRIM_400000_NS6detail17trampoline_kernelINS0_14default_configENS1_38merge_sort_block_merge_config_selectorIsNS0_10empty_typeEEEZZNS1_27merge_sort_block_merge_implIS3_PsPS5_jNS1_19radix_merge_compareILb1ELb0EsNS0_19identity_decomposerEEEEE10hipError_tT0_T1_T2_jT3_P12ihipStream_tbPNSt15iterator_traitsISE_E10value_typeEPNSK_ISF_E10value_typeEPSG_NS1_7vsmem_tEENKUlT_SE_SF_SG_E_clIS8_S8_S9_S9_EESD_ST_SE_SF_SG_EUlST_E0_NS1_11comp_targetILNS1_3genE5ELNS1_11target_archE942ELNS1_3gpuE9ELNS1_3repE0EEENS1_38merge_mergepath_config_static_selectorELNS0_4arch9wavefront6targetE0EEEvSF_.private_seg_size, 0
	.set _ZN7rocprim17ROCPRIM_400000_NS6detail17trampoline_kernelINS0_14default_configENS1_38merge_sort_block_merge_config_selectorIsNS0_10empty_typeEEEZZNS1_27merge_sort_block_merge_implIS3_PsPS5_jNS1_19radix_merge_compareILb1ELb0EsNS0_19identity_decomposerEEEEE10hipError_tT0_T1_T2_jT3_P12ihipStream_tbPNSt15iterator_traitsISE_E10value_typeEPNSK_ISF_E10value_typeEPSG_NS1_7vsmem_tEENKUlT_SE_SF_SG_E_clIS8_S8_S9_S9_EESD_ST_SE_SF_SG_EUlST_E0_NS1_11comp_targetILNS1_3genE5ELNS1_11target_archE942ELNS1_3gpuE9ELNS1_3repE0EEENS1_38merge_mergepath_config_static_selectorELNS0_4arch9wavefront6targetE0EEEvSF_.uses_vcc, 0
	.set _ZN7rocprim17ROCPRIM_400000_NS6detail17trampoline_kernelINS0_14default_configENS1_38merge_sort_block_merge_config_selectorIsNS0_10empty_typeEEEZZNS1_27merge_sort_block_merge_implIS3_PsPS5_jNS1_19radix_merge_compareILb1ELb0EsNS0_19identity_decomposerEEEEE10hipError_tT0_T1_T2_jT3_P12ihipStream_tbPNSt15iterator_traitsISE_E10value_typeEPNSK_ISF_E10value_typeEPSG_NS1_7vsmem_tEENKUlT_SE_SF_SG_E_clIS8_S8_S9_S9_EESD_ST_SE_SF_SG_EUlST_E0_NS1_11comp_targetILNS1_3genE5ELNS1_11target_archE942ELNS1_3gpuE9ELNS1_3repE0EEENS1_38merge_mergepath_config_static_selectorELNS0_4arch9wavefront6targetE0EEEvSF_.uses_flat_scratch, 0
	.set _ZN7rocprim17ROCPRIM_400000_NS6detail17trampoline_kernelINS0_14default_configENS1_38merge_sort_block_merge_config_selectorIsNS0_10empty_typeEEEZZNS1_27merge_sort_block_merge_implIS3_PsPS5_jNS1_19radix_merge_compareILb1ELb0EsNS0_19identity_decomposerEEEEE10hipError_tT0_T1_T2_jT3_P12ihipStream_tbPNSt15iterator_traitsISE_E10value_typeEPNSK_ISF_E10value_typeEPSG_NS1_7vsmem_tEENKUlT_SE_SF_SG_E_clIS8_S8_S9_S9_EESD_ST_SE_SF_SG_EUlST_E0_NS1_11comp_targetILNS1_3genE5ELNS1_11target_archE942ELNS1_3gpuE9ELNS1_3repE0EEENS1_38merge_mergepath_config_static_selectorELNS0_4arch9wavefront6targetE0EEEvSF_.has_dyn_sized_stack, 0
	.set _ZN7rocprim17ROCPRIM_400000_NS6detail17trampoline_kernelINS0_14default_configENS1_38merge_sort_block_merge_config_selectorIsNS0_10empty_typeEEEZZNS1_27merge_sort_block_merge_implIS3_PsPS5_jNS1_19radix_merge_compareILb1ELb0EsNS0_19identity_decomposerEEEEE10hipError_tT0_T1_T2_jT3_P12ihipStream_tbPNSt15iterator_traitsISE_E10value_typeEPNSK_ISF_E10value_typeEPSG_NS1_7vsmem_tEENKUlT_SE_SF_SG_E_clIS8_S8_S9_S9_EESD_ST_SE_SF_SG_EUlST_E0_NS1_11comp_targetILNS1_3genE5ELNS1_11target_archE942ELNS1_3gpuE9ELNS1_3repE0EEENS1_38merge_mergepath_config_static_selectorELNS0_4arch9wavefront6targetE0EEEvSF_.has_recursion, 0
	.set _ZN7rocprim17ROCPRIM_400000_NS6detail17trampoline_kernelINS0_14default_configENS1_38merge_sort_block_merge_config_selectorIsNS0_10empty_typeEEEZZNS1_27merge_sort_block_merge_implIS3_PsPS5_jNS1_19radix_merge_compareILb1ELb0EsNS0_19identity_decomposerEEEEE10hipError_tT0_T1_T2_jT3_P12ihipStream_tbPNSt15iterator_traitsISE_E10value_typeEPNSK_ISF_E10value_typeEPSG_NS1_7vsmem_tEENKUlT_SE_SF_SG_E_clIS8_S8_S9_S9_EESD_ST_SE_SF_SG_EUlST_E0_NS1_11comp_targetILNS1_3genE5ELNS1_11target_archE942ELNS1_3gpuE9ELNS1_3repE0EEENS1_38merge_mergepath_config_static_selectorELNS0_4arch9wavefront6targetE0EEEvSF_.has_indirect_call, 0
	.section	.AMDGPU.csdata,"",@progbits
; Kernel info:
; codeLenInByte = 0
; TotalNumSgprs: 0
; NumVgprs: 0
; ScratchSize: 0
; MemoryBound: 0
; FloatMode: 240
; IeeeMode: 1
; LDSByteSize: 0 bytes/workgroup (compile time only)
; SGPRBlocks: 0
; VGPRBlocks: 0
; NumSGPRsForWavesPerEU: 1
; NumVGPRsForWavesPerEU: 1
; NamedBarCnt: 0
; Occupancy: 16
; WaveLimiterHint : 0
; COMPUTE_PGM_RSRC2:SCRATCH_EN: 0
; COMPUTE_PGM_RSRC2:USER_SGPR: 2
; COMPUTE_PGM_RSRC2:TRAP_HANDLER: 0
; COMPUTE_PGM_RSRC2:TGID_X_EN: 1
; COMPUTE_PGM_RSRC2:TGID_Y_EN: 0
; COMPUTE_PGM_RSRC2:TGID_Z_EN: 0
; COMPUTE_PGM_RSRC2:TIDIG_COMP_CNT: 0
	.section	.text._ZN7rocprim17ROCPRIM_400000_NS6detail17trampoline_kernelINS0_14default_configENS1_38merge_sort_block_merge_config_selectorIsNS0_10empty_typeEEEZZNS1_27merge_sort_block_merge_implIS3_PsPS5_jNS1_19radix_merge_compareILb1ELb0EsNS0_19identity_decomposerEEEEE10hipError_tT0_T1_T2_jT3_P12ihipStream_tbPNSt15iterator_traitsISE_E10value_typeEPNSK_ISF_E10value_typeEPSG_NS1_7vsmem_tEENKUlT_SE_SF_SG_E_clIS8_S8_S9_S9_EESD_ST_SE_SF_SG_EUlST_E0_NS1_11comp_targetILNS1_3genE4ELNS1_11target_archE910ELNS1_3gpuE8ELNS1_3repE0EEENS1_38merge_mergepath_config_static_selectorELNS0_4arch9wavefront6targetE0EEEvSF_,"axG",@progbits,_ZN7rocprim17ROCPRIM_400000_NS6detail17trampoline_kernelINS0_14default_configENS1_38merge_sort_block_merge_config_selectorIsNS0_10empty_typeEEEZZNS1_27merge_sort_block_merge_implIS3_PsPS5_jNS1_19radix_merge_compareILb1ELb0EsNS0_19identity_decomposerEEEEE10hipError_tT0_T1_T2_jT3_P12ihipStream_tbPNSt15iterator_traitsISE_E10value_typeEPNSK_ISF_E10value_typeEPSG_NS1_7vsmem_tEENKUlT_SE_SF_SG_E_clIS8_S8_S9_S9_EESD_ST_SE_SF_SG_EUlST_E0_NS1_11comp_targetILNS1_3genE4ELNS1_11target_archE910ELNS1_3gpuE8ELNS1_3repE0EEENS1_38merge_mergepath_config_static_selectorELNS0_4arch9wavefront6targetE0EEEvSF_,comdat
	.protected	_ZN7rocprim17ROCPRIM_400000_NS6detail17trampoline_kernelINS0_14default_configENS1_38merge_sort_block_merge_config_selectorIsNS0_10empty_typeEEEZZNS1_27merge_sort_block_merge_implIS3_PsPS5_jNS1_19radix_merge_compareILb1ELb0EsNS0_19identity_decomposerEEEEE10hipError_tT0_T1_T2_jT3_P12ihipStream_tbPNSt15iterator_traitsISE_E10value_typeEPNSK_ISF_E10value_typeEPSG_NS1_7vsmem_tEENKUlT_SE_SF_SG_E_clIS8_S8_S9_S9_EESD_ST_SE_SF_SG_EUlST_E0_NS1_11comp_targetILNS1_3genE4ELNS1_11target_archE910ELNS1_3gpuE8ELNS1_3repE0EEENS1_38merge_mergepath_config_static_selectorELNS0_4arch9wavefront6targetE0EEEvSF_ ; -- Begin function _ZN7rocprim17ROCPRIM_400000_NS6detail17trampoline_kernelINS0_14default_configENS1_38merge_sort_block_merge_config_selectorIsNS0_10empty_typeEEEZZNS1_27merge_sort_block_merge_implIS3_PsPS5_jNS1_19radix_merge_compareILb1ELb0EsNS0_19identity_decomposerEEEEE10hipError_tT0_T1_T2_jT3_P12ihipStream_tbPNSt15iterator_traitsISE_E10value_typeEPNSK_ISF_E10value_typeEPSG_NS1_7vsmem_tEENKUlT_SE_SF_SG_E_clIS8_S8_S9_S9_EESD_ST_SE_SF_SG_EUlST_E0_NS1_11comp_targetILNS1_3genE4ELNS1_11target_archE910ELNS1_3gpuE8ELNS1_3repE0EEENS1_38merge_mergepath_config_static_selectorELNS0_4arch9wavefront6targetE0EEEvSF_
	.globl	_ZN7rocprim17ROCPRIM_400000_NS6detail17trampoline_kernelINS0_14default_configENS1_38merge_sort_block_merge_config_selectorIsNS0_10empty_typeEEEZZNS1_27merge_sort_block_merge_implIS3_PsPS5_jNS1_19radix_merge_compareILb1ELb0EsNS0_19identity_decomposerEEEEE10hipError_tT0_T1_T2_jT3_P12ihipStream_tbPNSt15iterator_traitsISE_E10value_typeEPNSK_ISF_E10value_typeEPSG_NS1_7vsmem_tEENKUlT_SE_SF_SG_E_clIS8_S8_S9_S9_EESD_ST_SE_SF_SG_EUlST_E0_NS1_11comp_targetILNS1_3genE4ELNS1_11target_archE910ELNS1_3gpuE8ELNS1_3repE0EEENS1_38merge_mergepath_config_static_selectorELNS0_4arch9wavefront6targetE0EEEvSF_
	.p2align	8
	.type	_ZN7rocprim17ROCPRIM_400000_NS6detail17trampoline_kernelINS0_14default_configENS1_38merge_sort_block_merge_config_selectorIsNS0_10empty_typeEEEZZNS1_27merge_sort_block_merge_implIS3_PsPS5_jNS1_19radix_merge_compareILb1ELb0EsNS0_19identity_decomposerEEEEE10hipError_tT0_T1_T2_jT3_P12ihipStream_tbPNSt15iterator_traitsISE_E10value_typeEPNSK_ISF_E10value_typeEPSG_NS1_7vsmem_tEENKUlT_SE_SF_SG_E_clIS8_S8_S9_S9_EESD_ST_SE_SF_SG_EUlST_E0_NS1_11comp_targetILNS1_3genE4ELNS1_11target_archE910ELNS1_3gpuE8ELNS1_3repE0EEENS1_38merge_mergepath_config_static_selectorELNS0_4arch9wavefront6targetE0EEEvSF_,@function
_ZN7rocprim17ROCPRIM_400000_NS6detail17trampoline_kernelINS0_14default_configENS1_38merge_sort_block_merge_config_selectorIsNS0_10empty_typeEEEZZNS1_27merge_sort_block_merge_implIS3_PsPS5_jNS1_19radix_merge_compareILb1ELb0EsNS0_19identity_decomposerEEEEE10hipError_tT0_T1_T2_jT3_P12ihipStream_tbPNSt15iterator_traitsISE_E10value_typeEPNSK_ISF_E10value_typeEPSG_NS1_7vsmem_tEENKUlT_SE_SF_SG_E_clIS8_S8_S9_S9_EESD_ST_SE_SF_SG_EUlST_E0_NS1_11comp_targetILNS1_3genE4ELNS1_11target_archE910ELNS1_3gpuE8ELNS1_3repE0EEENS1_38merge_mergepath_config_static_selectorELNS0_4arch9wavefront6targetE0EEEvSF_: ; @_ZN7rocprim17ROCPRIM_400000_NS6detail17trampoline_kernelINS0_14default_configENS1_38merge_sort_block_merge_config_selectorIsNS0_10empty_typeEEEZZNS1_27merge_sort_block_merge_implIS3_PsPS5_jNS1_19radix_merge_compareILb1ELb0EsNS0_19identity_decomposerEEEEE10hipError_tT0_T1_T2_jT3_P12ihipStream_tbPNSt15iterator_traitsISE_E10value_typeEPNSK_ISF_E10value_typeEPSG_NS1_7vsmem_tEENKUlT_SE_SF_SG_E_clIS8_S8_S9_S9_EESD_ST_SE_SF_SG_EUlST_E0_NS1_11comp_targetILNS1_3genE4ELNS1_11target_archE910ELNS1_3gpuE8ELNS1_3repE0EEENS1_38merge_mergepath_config_static_selectorELNS0_4arch9wavefront6targetE0EEEvSF_
; %bb.0:
	.section	.rodata,"a",@progbits
	.p2align	6, 0x0
	.amdhsa_kernel _ZN7rocprim17ROCPRIM_400000_NS6detail17trampoline_kernelINS0_14default_configENS1_38merge_sort_block_merge_config_selectorIsNS0_10empty_typeEEEZZNS1_27merge_sort_block_merge_implIS3_PsPS5_jNS1_19radix_merge_compareILb1ELb0EsNS0_19identity_decomposerEEEEE10hipError_tT0_T1_T2_jT3_P12ihipStream_tbPNSt15iterator_traitsISE_E10value_typeEPNSK_ISF_E10value_typeEPSG_NS1_7vsmem_tEENKUlT_SE_SF_SG_E_clIS8_S8_S9_S9_EESD_ST_SE_SF_SG_EUlST_E0_NS1_11comp_targetILNS1_3genE4ELNS1_11target_archE910ELNS1_3gpuE8ELNS1_3repE0EEENS1_38merge_mergepath_config_static_selectorELNS0_4arch9wavefront6targetE0EEEvSF_
		.amdhsa_group_segment_fixed_size 0
		.amdhsa_private_segment_fixed_size 0
		.amdhsa_kernarg_size 64
		.amdhsa_user_sgpr_count 2
		.amdhsa_user_sgpr_dispatch_ptr 0
		.amdhsa_user_sgpr_queue_ptr 0
		.amdhsa_user_sgpr_kernarg_segment_ptr 1
		.amdhsa_user_sgpr_dispatch_id 0
		.amdhsa_user_sgpr_kernarg_preload_length 0
		.amdhsa_user_sgpr_kernarg_preload_offset 0
		.amdhsa_user_sgpr_private_segment_size 0
		.amdhsa_wavefront_size32 1
		.amdhsa_uses_dynamic_stack 0
		.amdhsa_enable_private_segment 0
		.amdhsa_system_sgpr_workgroup_id_x 1
		.amdhsa_system_sgpr_workgroup_id_y 0
		.amdhsa_system_sgpr_workgroup_id_z 0
		.amdhsa_system_sgpr_workgroup_info 0
		.amdhsa_system_vgpr_workitem_id 0
		.amdhsa_next_free_vgpr 1
		.amdhsa_next_free_sgpr 1
		.amdhsa_named_barrier_count 0
		.amdhsa_reserve_vcc 0
		.amdhsa_float_round_mode_32 0
		.amdhsa_float_round_mode_16_64 0
		.amdhsa_float_denorm_mode_32 3
		.amdhsa_float_denorm_mode_16_64 3
		.amdhsa_fp16_overflow 0
		.amdhsa_memory_ordered 1
		.amdhsa_forward_progress 1
		.amdhsa_inst_pref_size 0
		.amdhsa_round_robin_scheduling 0
		.amdhsa_exception_fp_ieee_invalid_op 0
		.amdhsa_exception_fp_denorm_src 0
		.amdhsa_exception_fp_ieee_div_zero 0
		.amdhsa_exception_fp_ieee_overflow 0
		.amdhsa_exception_fp_ieee_underflow 0
		.amdhsa_exception_fp_ieee_inexact 0
		.amdhsa_exception_int_div_zero 0
	.end_amdhsa_kernel
	.section	.text._ZN7rocprim17ROCPRIM_400000_NS6detail17trampoline_kernelINS0_14default_configENS1_38merge_sort_block_merge_config_selectorIsNS0_10empty_typeEEEZZNS1_27merge_sort_block_merge_implIS3_PsPS5_jNS1_19radix_merge_compareILb1ELb0EsNS0_19identity_decomposerEEEEE10hipError_tT0_T1_T2_jT3_P12ihipStream_tbPNSt15iterator_traitsISE_E10value_typeEPNSK_ISF_E10value_typeEPSG_NS1_7vsmem_tEENKUlT_SE_SF_SG_E_clIS8_S8_S9_S9_EESD_ST_SE_SF_SG_EUlST_E0_NS1_11comp_targetILNS1_3genE4ELNS1_11target_archE910ELNS1_3gpuE8ELNS1_3repE0EEENS1_38merge_mergepath_config_static_selectorELNS0_4arch9wavefront6targetE0EEEvSF_,"axG",@progbits,_ZN7rocprim17ROCPRIM_400000_NS6detail17trampoline_kernelINS0_14default_configENS1_38merge_sort_block_merge_config_selectorIsNS0_10empty_typeEEEZZNS1_27merge_sort_block_merge_implIS3_PsPS5_jNS1_19radix_merge_compareILb1ELb0EsNS0_19identity_decomposerEEEEE10hipError_tT0_T1_T2_jT3_P12ihipStream_tbPNSt15iterator_traitsISE_E10value_typeEPNSK_ISF_E10value_typeEPSG_NS1_7vsmem_tEENKUlT_SE_SF_SG_E_clIS8_S8_S9_S9_EESD_ST_SE_SF_SG_EUlST_E0_NS1_11comp_targetILNS1_3genE4ELNS1_11target_archE910ELNS1_3gpuE8ELNS1_3repE0EEENS1_38merge_mergepath_config_static_selectorELNS0_4arch9wavefront6targetE0EEEvSF_,comdat
.Lfunc_end531:
	.size	_ZN7rocprim17ROCPRIM_400000_NS6detail17trampoline_kernelINS0_14default_configENS1_38merge_sort_block_merge_config_selectorIsNS0_10empty_typeEEEZZNS1_27merge_sort_block_merge_implIS3_PsPS5_jNS1_19radix_merge_compareILb1ELb0EsNS0_19identity_decomposerEEEEE10hipError_tT0_T1_T2_jT3_P12ihipStream_tbPNSt15iterator_traitsISE_E10value_typeEPNSK_ISF_E10value_typeEPSG_NS1_7vsmem_tEENKUlT_SE_SF_SG_E_clIS8_S8_S9_S9_EESD_ST_SE_SF_SG_EUlST_E0_NS1_11comp_targetILNS1_3genE4ELNS1_11target_archE910ELNS1_3gpuE8ELNS1_3repE0EEENS1_38merge_mergepath_config_static_selectorELNS0_4arch9wavefront6targetE0EEEvSF_, .Lfunc_end531-_ZN7rocprim17ROCPRIM_400000_NS6detail17trampoline_kernelINS0_14default_configENS1_38merge_sort_block_merge_config_selectorIsNS0_10empty_typeEEEZZNS1_27merge_sort_block_merge_implIS3_PsPS5_jNS1_19radix_merge_compareILb1ELb0EsNS0_19identity_decomposerEEEEE10hipError_tT0_T1_T2_jT3_P12ihipStream_tbPNSt15iterator_traitsISE_E10value_typeEPNSK_ISF_E10value_typeEPSG_NS1_7vsmem_tEENKUlT_SE_SF_SG_E_clIS8_S8_S9_S9_EESD_ST_SE_SF_SG_EUlST_E0_NS1_11comp_targetILNS1_3genE4ELNS1_11target_archE910ELNS1_3gpuE8ELNS1_3repE0EEENS1_38merge_mergepath_config_static_selectorELNS0_4arch9wavefront6targetE0EEEvSF_
                                        ; -- End function
	.set _ZN7rocprim17ROCPRIM_400000_NS6detail17trampoline_kernelINS0_14default_configENS1_38merge_sort_block_merge_config_selectorIsNS0_10empty_typeEEEZZNS1_27merge_sort_block_merge_implIS3_PsPS5_jNS1_19radix_merge_compareILb1ELb0EsNS0_19identity_decomposerEEEEE10hipError_tT0_T1_T2_jT3_P12ihipStream_tbPNSt15iterator_traitsISE_E10value_typeEPNSK_ISF_E10value_typeEPSG_NS1_7vsmem_tEENKUlT_SE_SF_SG_E_clIS8_S8_S9_S9_EESD_ST_SE_SF_SG_EUlST_E0_NS1_11comp_targetILNS1_3genE4ELNS1_11target_archE910ELNS1_3gpuE8ELNS1_3repE0EEENS1_38merge_mergepath_config_static_selectorELNS0_4arch9wavefront6targetE0EEEvSF_.num_vgpr, 0
	.set _ZN7rocprim17ROCPRIM_400000_NS6detail17trampoline_kernelINS0_14default_configENS1_38merge_sort_block_merge_config_selectorIsNS0_10empty_typeEEEZZNS1_27merge_sort_block_merge_implIS3_PsPS5_jNS1_19radix_merge_compareILb1ELb0EsNS0_19identity_decomposerEEEEE10hipError_tT0_T1_T2_jT3_P12ihipStream_tbPNSt15iterator_traitsISE_E10value_typeEPNSK_ISF_E10value_typeEPSG_NS1_7vsmem_tEENKUlT_SE_SF_SG_E_clIS8_S8_S9_S9_EESD_ST_SE_SF_SG_EUlST_E0_NS1_11comp_targetILNS1_3genE4ELNS1_11target_archE910ELNS1_3gpuE8ELNS1_3repE0EEENS1_38merge_mergepath_config_static_selectorELNS0_4arch9wavefront6targetE0EEEvSF_.num_agpr, 0
	.set _ZN7rocprim17ROCPRIM_400000_NS6detail17trampoline_kernelINS0_14default_configENS1_38merge_sort_block_merge_config_selectorIsNS0_10empty_typeEEEZZNS1_27merge_sort_block_merge_implIS3_PsPS5_jNS1_19radix_merge_compareILb1ELb0EsNS0_19identity_decomposerEEEEE10hipError_tT0_T1_T2_jT3_P12ihipStream_tbPNSt15iterator_traitsISE_E10value_typeEPNSK_ISF_E10value_typeEPSG_NS1_7vsmem_tEENKUlT_SE_SF_SG_E_clIS8_S8_S9_S9_EESD_ST_SE_SF_SG_EUlST_E0_NS1_11comp_targetILNS1_3genE4ELNS1_11target_archE910ELNS1_3gpuE8ELNS1_3repE0EEENS1_38merge_mergepath_config_static_selectorELNS0_4arch9wavefront6targetE0EEEvSF_.numbered_sgpr, 0
	.set _ZN7rocprim17ROCPRIM_400000_NS6detail17trampoline_kernelINS0_14default_configENS1_38merge_sort_block_merge_config_selectorIsNS0_10empty_typeEEEZZNS1_27merge_sort_block_merge_implIS3_PsPS5_jNS1_19radix_merge_compareILb1ELb0EsNS0_19identity_decomposerEEEEE10hipError_tT0_T1_T2_jT3_P12ihipStream_tbPNSt15iterator_traitsISE_E10value_typeEPNSK_ISF_E10value_typeEPSG_NS1_7vsmem_tEENKUlT_SE_SF_SG_E_clIS8_S8_S9_S9_EESD_ST_SE_SF_SG_EUlST_E0_NS1_11comp_targetILNS1_3genE4ELNS1_11target_archE910ELNS1_3gpuE8ELNS1_3repE0EEENS1_38merge_mergepath_config_static_selectorELNS0_4arch9wavefront6targetE0EEEvSF_.num_named_barrier, 0
	.set _ZN7rocprim17ROCPRIM_400000_NS6detail17trampoline_kernelINS0_14default_configENS1_38merge_sort_block_merge_config_selectorIsNS0_10empty_typeEEEZZNS1_27merge_sort_block_merge_implIS3_PsPS5_jNS1_19radix_merge_compareILb1ELb0EsNS0_19identity_decomposerEEEEE10hipError_tT0_T1_T2_jT3_P12ihipStream_tbPNSt15iterator_traitsISE_E10value_typeEPNSK_ISF_E10value_typeEPSG_NS1_7vsmem_tEENKUlT_SE_SF_SG_E_clIS8_S8_S9_S9_EESD_ST_SE_SF_SG_EUlST_E0_NS1_11comp_targetILNS1_3genE4ELNS1_11target_archE910ELNS1_3gpuE8ELNS1_3repE0EEENS1_38merge_mergepath_config_static_selectorELNS0_4arch9wavefront6targetE0EEEvSF_.private_seg_size, 0
	.set _ZN7rocprim17ROCPRIM_400000_NS6detail17trampoline_kernelINS0_14default_configENS1_38merge_sort_block_merge_config_selectorIsNS0_10empty_typeEEEZZNS1_27merge_sort_block_merge_implIS3_PsPS5_jNS1_19radix_merge_compareILb1ELb0EsNS0_19identity_decomposerEEEEE10hipError_tT0_T1_T2_jT3_P12ihipStream_tbPNSt15iterator_traitsISE_E10value_typeEPNSK_ISF_E10value_typeEPSG_NS1_7vsmem_tEENKUlT_SE_SF_SG_E_clIS8_S8_S9_S9_EESD_ST_SE_SF_SG_EUlST_E0_NS1_11comp_targetILNS1_3genE4ELNS1_11target_archE910ELNS1_3gpuE8ELNS1_3repE0EEENS1_38merge_mergepath_config_static_selectorELNS0_4arch9wavefront6targetE0EEEvSF_.uses_vcc, 0
	.set _ZN7rocprim17ROCPRIM_400000_NS6detail17trampoline_kernelINS0_14default_configENS1_38merge_sort_block_merge_config_selectorIsNS0_10empty_typeEEEZZNS1_27merge_sort_block_merge_implIS3_PsPS5_jNS1_19radix_merge_compareILb1ELb0EsNS0_19identity_decomposerEEEEE10hipError_tT0_T1_T2_jT3_P12ihipStream_tbPNSt15iterator_traitsISE_E10value_typeEPNSK_ISF_E10value_typeEPSG_NS1_7vsmem_tEENKUlT_SE_SF_SG_E_clIS8_S8_S9_S9_EESD_ST_SE_SF_SG_EUlST_E0_NS1_11comp_targetILNS1_3genE4ELNS1_11target_archE910ELNS1_3gpuE8ELNS1_3repE0EEENS1_38merge_mergepath_config_static_selectorELNS0_4arch9wavefront6targetE0EEEvSF_.uses_flat_scratch, 0
	.set _ZN7rocprim17ROCPRIM_400000_NS6detail17trampoline_kernelINS0_14default_configENS1_38merge_sort_block_merge_config_selectorIsNS0_10empty_typeEEEZZNS1_27merge_sort_block_merge_implIS3_PsPS5_jNS1_19radix_merge_compareILb1ELb0EsNS0_19identity_decomposerEEEEE10hipError_tT0_T1_T2_jT3_P12ihipStream_tbPNSt15iterator_traitsISE_E10value_typeEPNSK_ISF_E10value_typeEPSG_NS1_7vsmem_tEENKUlT_SE_SF_SG_E_clIS8_S8_S9_S9_EESD_ST_SE_SF_SG_EUlST_E0_NS1_11comp_targetILNS1_3genE4ELNS1_11target_archE910ELNS1_3gpuE8ELNS1_3repE0EEENS1_38merge_mergepath_config_static_selectorELNS0_4arch9wavefront6targetE0EEEvSF_.has_dyn_sized_stack, 0
	.set _ZN7rocprim17ROCPRIM_400000_NS6detail17trampoline_kernelINS0_14default_configENS1_38merge_sort_block_merge_config_selectorIsNS0_10empty_typeEEEZZNS1_27merge_sort_block_merge_implIS3_PsPS5_jNS1_19radix_merge_compareILb1ELb0EsNS0_19identity_decomposerEEEEE10hipError_tT0_T1_T2_jT3_P12ihipStream_tbPNSt15iterator_traitsISE_E10value_typeEPNSK_ISF_E10value_typeEPSG_NS1_7vsmem_tEENKUlT_SE_SF_SG_E_clIS8_S8_S9_S9_EESD_ST_SE_SF_SG_EUlST_E0_NS1_11comp_targetILNS1_3genE4ELNS1_11target_archE910ELNS1_3gpuE8ELNS1_3repE0EEENS1_38merge_mergepath_config_static_selectorELNS0_4arch9wavefront6targetE0EEEvSF_.has_recursion, 0
	.set _ZN7rocprim17ROCPRIM_400000_NS6detail17trampoline_kernelINS0_14default_configENS1_38merge_sort_block_merge_config_selectorIsNS0_10empty_typeEEEZZNS1_27merge_sort_block_merge_implIS3_PsPS5_jNS1_19radix_merge_compareILb1ELb0EsNS0_19identity_decomposerEEEEE10hipError_tT0_T1_T2_jT3_P12ihipStream_tbPNSt15iterator_traitsISE_E10value_typeEPNSK_ISF_E10value_typeEPSG_NS1_7vsmem_tEENKUlT_SE_SF_SG_E_clIS8_S8_S9_S9_EESD_ST_SE_SF_SG_EUlST_E0_NS1_11comp_targetILNS1_3genE4ELNS1_11target_archE910ELNS1_3gpuE8ELNS1_3repE0EEENS1_38merge_mergepath_config_static_selectorELNS0_4arch9wavefront6targetE0EEEvSF_.has_indirect_call, 0
	.section	.AMDGPU.csdata,"",@progbits
; Kernel info:
; codeLenInByte = 0
; TotalNumSgprs: 0
; NumVgprs: 0
; ScratchSize: 0
; MemoryBound: 0
; FloatMode: 240
; IeeeMode: 1
; LDSByteSize: 0 bytes/workgroup (compile time only)
; SGPRBlocks: 0
; VGPRBlocks: 0
; NumSGPRsForWavesPerEU: 1
; NumVGPRsForWavesPerEU: 1
; NamedBarCnt: 0
; Occupancy: 16
; WaveLimiterHint : 0
; COMPUTE_PGM_RSRC2:SCRATCH_EN: 0
; COMPUTE_PGM_RSRC2:USER_SGPR: 2
; COMPUTE_PGM_RSRC2:TRAP_HANDLER: 0
; COMPUTE_PGM_RSRC2:TGID_X_EN: 1
; COMPUTE_PGM_RSRC2:TGID_Y_EN: 0
; COMPUTE_PGM_RSRC2:TGID_Z_EN: 0
; COMPUTE_PGM_RSRC2:TIDIG_COMP_CNT: 0
	.section	.text._ZN7rocprim17ROCPRIM_400000_NS6detail17trampoline_kernelINS0_14default_configENS1_38merge_sort_block_merge_config_selectorIsNS0_10empty_typeEEEZZNS1_27merge_sort_block_merge_implIS3_PsPS5_jNS1_19radix_merge_compareILb1ELb0EsNS0_19identity_decomposerEEEEE10hipError_tT0_T1_T2_jT3_P12ihipStream_tbPNSt15iterator_traitsISE_E10value_typeEPNSK_ISF_E10value_typeEPSG_NS1_7vsmem_tEENKUlT_SE_SF_SG_E_clIS8_S8_S9_S9_EESD_ST_SE_SF_SG_EUlST_E0_NS1_11comp_targetILNS1_3genE3ELNS1_11target_archE908ELNS1_3gpuE7ELNS1_3repE0EEENS1_38merge_mergepath_config_static_selectorELNS0_4arch9wavefront6targetE0EEEvSF_,"axG",@progbits,_ZN7rocprim17ROCPRIM_400000_NS6detail17trampoline_kernelINS0_14default_configENS1_38merge_sort_block_merge_config_selectorIsNS0_10empty_typeEEEZZNS1_27merge_sort_block_merge_implIS3_PsPS5_jNS1_19radix_merge_compareILb1ELb0EsNS0_19identity_decomposerEEEEE10hipError_tT0_T1_T2_jT3_P12ihipStream_tbPNSt15iterator_traitsISE_E10value_typeEPNSK_ISF_E10value_typeEPSG_NS1_7vsmem_tEENKUlT_SE_SF_SG_E_clIS8_S8_S9_S9_EESD_ST_SE_SF_SG_EUlST_E0_NS1_11comp_targetILNS1_3genE3ELNS1_11target_archE908ELNS1_3gpuE7ELNS1_3repE0EEENS1_38merge_mergepath_config_static_selectorELNS0_4arch9wavefront6targetE0EEEvSF_,comdat
	.protected	_ZN7rocprim17ROCPRIM_400000_NS6detail17trampoline_kernelINS0_14default_configENS1_38merge_sort_block_merge_config_selectorIsNS0_10empty_typeEEEZZNS1_27merge_sort_block_merge_implIS3_PsPS5_jNS1_19radix_merge_compareILb1ELb0EsNS0_19identity_decomposerEEEEE10hipError_tT0_T1_T2_jT3_P12ihipStream_tbPNSt15iterator_traitsISE_E10value_typeEPNSK_ISF_E10value_typeEPSG_NS1_7vsmem_tEENKUlT_SE_SF_SG_E_clIS8_S8_S9_S9_EESD_ST_SE_SF_SG_EUlST_E0_NS1_11comp_targetILNS1_3genE3ELNS1_11target_archE908ELNS1_3gpuE7ELNS1_3repE0EEENS1_38merge_mergepath_config_static_selectorELNS0_4arch9wavefront6targetE0EEEvSF_ ; -- Begin function _ZN7rocprim17ROCPRIM_400000_NS6detail17trampoline_kernelINS0_14default_configENS1_38merge_sort_block_merge_config_selectorIsNS0_10empty_typeEEEZZNS1_27merge_sort_block_merge_implIS3_PsPS5_jNS1_19radix_merge_compareILb1ELb0EsNS0_19identity_decomposerEEEEE10hipError_tT0_T1_T2_jT3_P12ihipStream_tbPNSt15iterator_traitsISE_E10value_typeEPNSK_ISF_E10value_typeEPSG_NS1_7vsmem_tEENKUlT_SE_SF_SG_E_clIS8_S8_S9_S9_EESD_ST_SE_SF_SG_EUlST_E0_NS1_11comp_targetILNS1_3genE3ELNS1_11target_archE908ELNS1_3gpuE7ELNS1_3repE0EEENS1_38merge_mergepath_config_static_selectorELNS0_4arch9wavefront6targetE0EEEvSF_
	.globl	_ZN7rocprim17ROCPRIM_400000_NS6detail17trampoline_kernelINS0_14default_configENS1_38merge_sort_block_merge_config_selectorIsNS0_10empty_typeEEEZZNS1_27merge_sort_block_merge_implIS3_PsPS5_jNS1_19radix_merge_compareILb1ELb0EsNS0_19identity_decomposerEEEEE10hipError_tT0_T1_T2_jT3_P12ihipStream_tbPNSt15iterator_traitsISE_E10value_typeEPNSK_ISF_E10value_typeEPSG_NS1_7vsmem_tEENKUlT_SE_SF_SG_E_clIS8_S8_S9_S9_EESD_ST_SE_SF_SG_EUlST_E0_NS1_11comp_targetILNS1_3genE3ELNS1_11target_archE908ELNS1_3gpuE7ELNS1_3repE0EEENS1_38merge_mergepath_config_static_selectorELNS0_4arch9wavefront6targetE0EEEvSF_
	.p2align	8
	.type	_ZN7rocprim17ROCPRIM_400000_NS6detail17trampoline_kernelINS0_14default_configENS1_38merge_sort_block_merge_config_selectorIsNS0_10empty_typeEEEZZNS1_27merge_sort_block_merge_implIS3_PsPS5_jNS1_19radix_merge_compareILb1ELb0EsNS0_19identity_decomposerEEEEE10hipError_tT0_T1_T2_jT3_P12ihipStream_tbPNSt15iterator_traitsISE_E10value_typeEPNSK_ISF_E10value_typeEPSG_NS1_7vsmem_tEENKUlT_SE_SF_SG_E_clIS8_S8_S9_S9_EESD_ST_SE_SF_SG_EUlST_E0_NS1_11comp_targetILNS1_3genE3ELNS1_11target_archE908ELNS1_3gpuE7ELNS1_3repE0EEENS1_38merge_mergepath_config_static_selectorELNS0_4arch9wavefront6targetE0EEEvSF_,@function
_ZN7rocprim17ROCPRIM_400000_NS6detail17trampoline_kernelINS0_14default_configENS1_38merge_sort_block_merge_config_selectorIsNS0_10empty_typeEEEZZNS1_27merge_sort_block_merge_implIS3_PsPS5_jNS1_19radix_merge_compareILb1ELb0EsNS0_19identity_decomposerEEEEE10hipError_tT0_T1_T2_jT3_P12ihipStream_tbPNSt15iterator_traitsISE_E10value_typeEPNSK_ISF_E10value_typeEPSG_NS1_7vsmem_tEENKUlT_SE_SF_SG_E_clIS8_S8_S9_S9_EESD_ST_SE_SF_SG_EUlST_E0_NS1_11comp_targetILNS1_3genE3ELNS1_11target_archE908ELNS1_3gpuE7ELNS1_3repE0EEENS1_38merge_mergepath_config_static_selectorELNS0_4arch9wavefront6targetE0EEEvSF_: ; @_ZN7rocprim17ROCPRIM_400000_NS6detail17trampoline_kernelINS0_14default_configENS1_38merge_sort_block_merge_config_selectorIsNS0_10empty_typeEEEZZNS1_27merge_sort_block_merge_implIS3_PsPS5_jNS1_19radix_merge_compareILb1ELb0EsNS0_19identity_decomposerEEEEE10hipError_tT0_T1_T2_jT3_P12ihipStream_tbPNSt15iterator_traitsISE_E10value_typeEPNSK_ISF_E10value_typeEPSG_NS1_7vsmem_tEENKUlT_SE_SF_SG_E_clIS8_S8_S9_S9_EESD_ST_SE_SF_SG_EUlST_E0_NS1_11comp_targetILNS1_3genE3ELNS1_11target_archE908ELNS1_3gpuE7ELNS1_3repE0EEENS1_38merge_mergepath_config_static_selectorELNS0_4arch9wavefront6targetE0EEEvSF_
; %bb.0:
	.section	.rodata,"a",@progbits
	.p2align	6, 0x0
	.amdhsa_kernel _ZN7rocprim17ROCPRIM_400000_NS6detail17trampoline_kernelINS0_14default_configENS1_38merge_sort_block_merge_config_selectorIsNS0_10empty_typeEEEZZNS1_27merge_sort_block_merge_implIS3_PsPS5_jNS1_19radix_merge_compareILb1ELb0EsNS0_19identity_decomposerEEEEE10hipError_tT0_T1_T2_jT3_P12ihipStream_tbPNSt15iterator_traitsISE_E10value_typeEPNSK_ISF_E10value_typeEPSG_NS1_7vsmem_tEENKUlT_SE_SF_SG_E_clIS8_S8_S9_S9_EESD_ST_SE_SF_SG_EUlST_E0_NS1_11comp_targetILNS1_3genE3ELNS1_11target_archE908ELNS1_3gpuE7ELNS1_3repE0EEENS1_38merge_mergepath_config_static_selectorELNS0_4arch9wavefront6targetE0EEEvSF_
		.amdhsa_group_segment_fixed_size 0
		.amdhsa_private_segment_fixed_size 0
		.amdhsa_kernarg_size 64
		.amdhsa_user_sgpr_count 2
		.amdhsa_user_sgpr_dispatch_ptr 0
		.amdhsa_user_sgpr_queue_ptr 0
		.amdhsa_user_sgpr_kernarg_segment_ptr 1
		.amdhsa_user_sgpr_dispatch_id 0
		.amdhsa_user_sgpr_kernarg_preload_length 0
		.amdhsa_user_sgpr_kernarg_preload_offset 0
		.amdhsa_user_sgpr_private_segment_size 0
		.amdhsa_wavefront_size32 1
		.amdhsa_uses_dynamic_stack 0
		.amdhsa_enable_private_segment 0
		.amdhsa_system_sgpr_workgroup_id_x 1
		.amdhsa_system_sgpr_workgroup_id_y 0
		.amdhsa_system_sgpr_workgroup_id_z 0
		.amdhsa_system_sgpr_workgroup_info 0
		.amdhsa_system_vgpr_workitem_id 0
		.amdhsa_next_free_vgpr 1
		.amdhsa_next_free_sgpr 1
		.amdhsa_named_barrier_count 0
		.amdhsa_reserve_vcc 0
		.amdhsa_float_round_mode_32 0
		.amdhsa_float_round_mode_16_64 0
		.amdhsa_float_denorm_mode_32 3
		.amdhsa_float_denorm_mode_16_64 3
		.amdhsa_fp16_overflow 0
		.amdhsa_memory_ordered 1
		.amdhsa_forward_progress 1
		.amdhsa_inst_pref_size 0
		.amdhsa_round_robin_scheduling 0
		.amdhsa_exception_fp_ieee_invalid_op 0
		.amdhsa_exception_fp_denorm_src 0
		.amdhsa_exception_fp_ieee_div_zero 0
		.amdhsa_exception_fp_ieee_overflow 0
		.amdhsa_exception_fp_ieee_underflow 0
		.amdhsa_exception_fp_ieee_inexact 0
		.amdhsa_exception_int_div_zero 0
	.end_amdhsa_kernel
	.section	.text._ZN7rocprim17ROCPRIM_400000_NS6detail17trampoline_kernelINS0_14default_configENS1_38merge_sort_block_merge_config_selectorIsNS0_10empty_typeEEEZZNS1_27merge_sort_block_merge_implIS3_PsPS5_jNS1_19radix_merge_compareILb1ELb0EsNS0_19identity_decomposerEEEEE10hipError_tT0_T1_T2_jT3_P12ihipStream_tbPNSt15iterator_traitsISE_E10value_typeEPNSK_ISF_E10value_typeEPSG_NS1_7vsmem_tEENKUlT_SE_SF_SG_E_clIS8_S8_S9_S9_EESD_ST_SE_SF_SG_EUlST_E0_NS1_11comp_targetILNS1_3genE3ELNS1_11target_archE908ELNS1_3gpuE7ELNS1_3repE0EEENS1_38merge_mergepath_config_static_selectorELNS0_4arch9wavefront6targetE0EEEvSF_,"axG",@progbits,_ZN7rocprim17ROCPRIM_400000_NS6detail17trampoline_kernelINS0_14default_configENS1_38merge_sort_block_merge_config_selectorIsNS0_10empty_typeEEEZZNS1_27merge_sort_block_merge_implIS3_PsPS5_jNS1_19radix_merge_compareILb1ELb0EsNS0_19identity_decomposerEEEEE10hipError_tT0_T1_T2_jT3_P12ihipStream_tbPNSt15iterator_traitsISE_E10value_typeEPNSK_ISF_E10value_typeEPSG_NS1_7vsmem_tEENKUlT_SE_SF_SG_E_clIS8_S8_S9_S9_EESD_ST_SE_SF_SG_EUlST_E0_NS1_11comp_targetILNS1_3genE3ELNS1_11target_archE908ELNS1_3gpuE7ELNS1_3repE0EEENS1_38merge_mergepath_config_static_selectorELNS0_4arch9wavefront6targetE0EEEvSF_,comdat
.Lfunc_end532:
	.size	_ZN7rocprim17ROCPRIM_400000_NS6detail17trampoline_kernelINS0_14default_configENS1_38merge_sort_block_merge_config_selectorIsNS0_10empty_typeEEEZZNS1_27merge_sort_block_merge_implIS3_PsPS5_jNS1_19radix_merge_compareILb1ELb0EsNS0_19identity_decomposerEEEEE10hipError_tT0_T1_T2_jT3_P12ihipStream_tbPNSt15iterator_traitsISE_E10value_typeEPNSK_ISF_E10value_typeEPSG_NS1_7vsmem_tEENKUlT_SE_SF_SG_E_clIS8_S8_S9_S9_EESD_ST_SE_SF_SG_EUlST_E0_NS1_11comp_targetILNS1_3genE3ELNS1_11target_archE908ELNS1_3gpuE7ELNS1_3repE0EEENS1_38merge_mergepath_config_static_selectorELNS0_4arch9wavefront6targetE0EEEvSF_, .Lfunc_end532-_ZN7rocprim17ROCPRIM_400000_NS6detail17trampoline_kernelINS0_14default_configENS1_38merge_sort_block_merge_config_selectorIsNS0_10empty_typeEEEZZNS1_27merge_sort_block_merge_implIS3_PsPS5_jNS1_19radix_merge_compareILb1ELb0EsNS0_19identity_decomposerEEEEE10hipError_tT0_T1_T2_jT3_P12ihipStream_tbPNSt15iterator_traitsISE_E10value_typeEPNSK_ISF_E10value_typeEPSG_NS1_7vsmem_tEENKUlT_SE_SF_SG_E_clIS8_S8_S9_S9_EESD_ST_SE_SF_SG_EUlST_E0_NS1_11comp_targetILNS1_3genE3ELNS1_11target_archE908ELNS1_3gpuE7ELNS1_3repE0EEENS1_38merge_mergepath_config_static_selectorELNS0_4arch9wavefront6targetE0EEEvSF_
                                        ; -- End function
	.set _ZN7rocprim17ROCPRIM_400000_NS6detail17trampoline_kernelINS0_14default_configENS1_38merge_sort_block_merge_config_selectorIsNS0_10empty_typeEEEZZNS1_27merge_sort_block_merge_implIS3_PsPS5_jNS1_19radix_merge_compareILb1ELb0EsNS0_19identity_decomposerEEEEE10hipError_tT0_T1_T2_jT3_P12ihipStream_tbPNSt15iterator_traitsISE_E10value_typeEPNSK_ISF_E10value_typeEPSG_NS1_7vsmem_tEENKUlT_SE_SF_SG_E_clIS8_S8_S9_S9_EESD_ST_SE_SF_SG_EUlST_E0_NS1_11comp_targetILNS1_3genE3ELNS1_11target_archE908ELNS1_3gpuE7ELNS1_3repE0EEENS1_38merge_mergepath_config_static_selectorELNS0_4arch9wavefront6targetE0EEEvSF_.num_vgpr, 0
	.set _ZN7rocprim17ROCPRIM_400000_NS6detail17trampoline_kernelINS0_14default_configENS1_38merge_sort_block_merge_config_selectorIsNS0_10empty_typeEEEZZNS1_27merge_sort_block_merge_implIS3_PsPS5_jNS1_19radix_merge_compareILb1ELb0EsNS0_19identity_decomposerEEEEE10hipError_tT0_T1_T2_jT3_P12ihipStream_tbPNSt15iterator_traitsISE_E10value_typeEPNSK_ISF_E10value_typeEPSG_NS1_7vsmem_tEENKUlT_SE_SF_SG_E_clIS8_S8_S9_S9_EESD_ST_SE_SF_SG_EUlST_E0_NS1_11comp_targetILNS1_3genE3ELNS1_11target_archE908ELNS1_3gpuE7ELNS1_3repE0EEENS1_38merge_mergepath_config_static_selectorELNS0_4arch9wavefront6targetE0EEEvSF_.num_agpr, 0
	.set _ZN7rocprim17ROCPRIM_400000_NS6detail17trampoline_kernelINS0_14default_configENS1_38merge_sort_block_merge_config_selectorIsNS0_10empty_typeEEEZZNS1_27merge_sort_block_merge_implIS3_PsPS5_jNS1_19radix_merge_compareILb1ELb0EsNS0_19identity_decomposerEEEEE10hipError_tT0_T1_T2_jT3_P12ihipStream_tbPNSt15iterator_traitsISE_E10value_typeEPNSK_ISF_E10value_typeEPSG_NS1_7vsmem_tEENKUlT_SE_SF_SG_E_clIS8_S8_S9_S9_EESD_ST_SE_SF_SG_EUlST_E0_NS1_11comp_targetILNS1_3genE3ELNS1_11target_archE908ELNS1_3gpuE7ELNS1_3repE0EEENS1_38merge_mergepath_config_static_selectorELNS0_4arch9wavefront6targetE0EEEvSF_.numbered_sgpr, 0
	.set _ZN7rocprim17ROCPRIM_400000_NS6detail17trampoline_kernelINS0_14default_configENS1_38merge_sort_block_merge_config_selectorIsNS0_10empty_typeEEEZZNS1_27merge_sort_block_merge_implIS3_PsPS5_jNS1_19radix_merge_compareILb1ELb0EsNS0_19identity_decomposerEEEEE10hipError_tT0_T1_T2_jT3_P12ihipStream_tbPNSt15iterator_traitsISE_E10value_typeEPNSK_ISF_E10value_typeEPSG_NS1_7vsmem_tEENKUlT_SE_SF_SG_E_clIS8_S8_S9_S9_EESD_ST_SE_SF_SG_EUlST_E0_NS1_11comp_targetILNS1_3genE3ELNS1_11target_archE908ELNS1_3gpuE7ELNS1_3repE0EEENS1_38merge_mergepath_config_static_selectorELNS0_4arch9wavefront6targetE0EEEvSF_.num_named_barrier, 0
	.set _ZN7rocprim17ROCPRIM_400000_NS6detail17trampoline_kernelINS0_14default_configENS1_38merge_sort_block_merge_config_selectorIsNS0_10empty_typeEEEZZNS1_27merge_sort_block_merge_implIS3_PsPS5_jNS1_19radix_merge_compareILb1ELb0EsNS0_19identity_decomposerEEEEE10hipError_tT0_T1_T2_jT3_P12ihipStream_tbPNSt15iterator_traitsISE_E10value_typeEPNSK_ISF_E10value_typeEPSG_NS1_7vsmem_tEENKUlT_SE_SF_SG_E_clIS8_S8_S9_S9_EESD_ST_SE_SF_SG_EUlST_E0_NS1_11comp_targetILNS1_3genE3ELNS1_11target_archE908ELNS1_3gpuE7ELNS1_3repE0EEENS1_38merge_mergepath_config_static_selectorELNS0_4arch9wavefront6targetE0EEEvSF_.private_seg_size, 0
	.set _ZN7rocprim17ROCPRIM_400000_NS6detail17trampoline_kernelINS0_14default_configENS1_38merge_sort_block_merge_config_selectorIsNS0_10empty_typeEEEZZNS1_27merge_sort_block_merge_implIS3_PsPS5_jNS1_19radix_merge_compareILb1ELb0EsNS0_19identity_decomposerEEEEE10hipError_tT0_T1_T2_jT3_P12ihipStream_tbPNSt15iterator_traitsISE_E10value_typeEPNSK_ISF_E10value_typeEPSG_NS1_7vsmem_tEENKUlT_SE_SF_SG_E_clIS8_S8_S9_S9_EESD_ST_SE_SF_SG_EUlST_E0_NS1_11comp_targetILNS1_3genE3ELNS1_11target_archE908ELNS1_3gpuE7ELNS1_3repE0EEENS1_38merge_mergepath_config_static_selectorELNS0_4arch9wavefront6targetE0EEEvSF_.uses_vcc, 0
	.set _ZN7rocprim17ROCPRIM_400000_NS6detail17trampoline_kernelINS0_14default_configENS1_38merge_sort_block_merge_config_selectorIsNS0_10empty_typeEEEZZNS1_27merge_sort_block_merge_implIS3_PsPS5_jNS1_19radix_merge_compareILb1ELb0EsNS0_19identity_decomposerEEEEE10hipError_tT0_T1_T2_jT3_P12ihipStream_tbPNSt15iterator_traitsISE_E10value_typeEPNSK_ISF_E10value_typeEPSG_NS1_7vsmem_tEENKUlT_SE_SF_SG_E_clIS8_S8_S9_S9_EESD_ST_SE_SF_SG_EUlST_E0_NS1_11comp_targetILNS1_3genE3ELNS1_11target_archE908ELNS1_3gpuE7ELNS1_3repE0EEENS1_38merge_mergepath_config_static_selectorELNS0_4arch9wavefront6targetE0EEEvSF_.uses_flat_scratch, 0
	.set _ZN7rocprim17ROCPRIM_400000_NS6detail17trampoline_kernelINS0_14default_configENS1_38merge_sort_block_merge_config_selectorIsNS0_10empty_typeEEEZZNS1_27merge_sort_block_merge_implIS3_PsPS5_jNS1_19radix_merge_compareILb1ELb0EsNS0_19identity_decomposerEEEEE10hipError_tT0_T1_T2_jT3_P12ihipStream_tbPNSt15iterator_traitsISE_E10value_typeEPNSK_ISF_E10value_typeEPSG_NS1_7vsmem_tEENKUlT_SE_SF_SG_E_clIS8_S8_S9_S9_EESD_ST_SE_SF_SG_EUlST_E0_NS1_11comp_targetILNS1_3genE3ELNS1_11target_archE908ELNS1_3gpuE7ELNS1_3repE0EEENS1_38merge_mergepath_config_static_selectorELNS0_4arch9wavefront6targetE0EEEvSF_.has_dyn_sized_stack, 0
	.set _ZN7rocprim17ROCPRIM_400000_NS6detail17trampoline_kernelINS0_14default_configENS1_38merge_sort_block_merge_config_selectorIsNS0_10empty_typeEEEZZNS1_27merge_sort_block_merge_implIS3_PsPS5_jNS1_19radix_merge_compareILb1ELb0EsNS0_19identity_decomposerEEEEE10hipError_tT0_T1_T2_jT3_P12ihipStream_tbPNSt15iterator_traitsISE_E10value_typeEPNSK_ISF_E10value_typeEPSG_NS1_7vsmem_tEENKUlT_SE_SF_SG_E_clIS8_S8_S9_S9_EESD_ST_SE_SF_SG_EUlST_E0_NS1_11comp_targetILNS1_3genE3ELNS1_11target_archE908ELNS1_3gpuE7ELNS1_3repE0EEENS1_38merge_mergepath_config_static_selectorELNS0_4arch9wavefront6targetE0EEEvSF_.has_recursion, 0
	.set _ZN7rocprim17ROCPRIM_400000_NS6detail17trampoline_kernelINS0_14default_configENS1_38merge_sort_block_merge_config_selectorIsNS0_10empty_typeEEEZZNS1_27merge_sort_block_merge_implIS3_PsPS5_jNS1_19radix_merge_compareILb1ELb0EsNS0_19identity_decomposerEEEEE10hipError_tT0_T1_T2_jT3_P12ihipStream_tbPNSt15iterator_traitsISE_E10value_typeEPNSK_ISF_E10value_typeEPSG_NS1_7vsmem_tEENKUlT_SE_SF_SG_E_clIS8_S8_S9_S9_EESD_ST_SE_SF_SG_EUlST_E0_NS1_11comp_targetILNS1_3genE3ELNS1_11target_archE908ELNS1_3gpuE7ELNS1_3repE0EEENS1_38merge_mergepath_config_static_selectorELNS0_4arch9wavefront6targetE0EEEvSF_.has_indirect_call, 0
	.section	.AMDGPU.csdata,"",@progbits
; Kernel info:
; codeLenInByte = 0
; TotalNumSgprs: 0
; NumVgprs: 0
; ScratchSize: 0
; MemoryBound: 0
; FloatMode: 240
; IeeeMode: 1
; LDSByteSize: 0 bytes/workgroup (compile time only)
; SGPRBlocks: 0
; VGPRBlocks: 0
; NumSGPRsForWavesPerEU: 1
; NumVGPRsForWavesPerEU: 1
; NamedBarCnt: 0
; Occupancy: 16
; WaveLimiterHint : 0
; COMPUTE_PGM_RSRC2:SCRATCH_EN: 0
; COMPUTE_PGM_RSRC2:USER_SGPR: 2
; COMPUTE_PGM_RSRC2:TRAP_HANDLER: 0
; COMPUTE_PGM_RSRC2:TGID_X_EN: 1
; COMPUTE_PGM_RSRC2:TGID_Y_EN: 0
; COMPUTE_PGM_RSRC2:TGID_Z_EN: 0
; COMPUTE_PGM_RSRC2:TIDIG_COMP_CNT: 0
	.section	.text._ZN7rocprim17ROCPRIM_400000_NS6detail17trampoline_kernelINS0_14default_configENS1_38merge_sort_block_merge_config_selectorIsNS0_10empty_typeEEEZZNS1_27merge_sort_block_merge_implIS3_PsPS5_jNS1_19radix_merge_compareILb1ELb0EsNS0_19identity_decomposerEEEEE10hipError_tT0_T1_T2_jT3_P12ihipStream_tbPNSt15iterator_traitsISE_E10value_typeEPNSK_ISF_E10value_typeEPSG_NS1_7vsmem_tEENKUlT_SE_SF_SG_E_clIS8_S8_S9_S9_EESD_ST_SE_SF_SG_EUlST_E0_NS1_11comp_targetILNS1_3genE2ELNS1_11target_archE906ELNS1_3gpuE6ELNS1_3repE0EEENS1_38merge_mergepath_config_static_selectorELNS0_4arch9wavefront6targetE0EEEvSF_,"axG",@progbits,_ZN7rocprim17ROCPRIM_400000_NS6detail17trampoline_kernelINS0_14default_configENS1_38merge_sort_block_merge_config_selectorIsNS0_10empty_typeEEEZZNS1_27merge_sort_block_merge_implIS3_PsPS5_jNS1_19radix_merge_compareILb1ELb0EsNS0_19identity_decomposerEEEEE10hipError_tT0_T1_T2_jT3_P12ihipStream_tbPNSt15iterator_traitsISE_E10value_typeEPNSK_ISF_E10value_typeEPSG_NS1_7vsmem_tEENKUlT_SE_SF_SG_E_clIS8_S8_S9_S9_EESD_ST_SE_SF_SG_EUlST_E0_NS1_11comp_targetILNS1_3genE2ELNS1_11target_archE906ELNS1_3gpuE6ELNS1_3repE0EEENS1_38merge_mergepath_config_static_selectorELNS0_4arch9wavefront6targetE0EEEvSF_,comdat
	.protected	_ZN7rocprim17ROCPRIM_400000_NS6detail17trampoline_kernelINS0_14default_configENS1_38merge_sort_block_merge_config_selectorIsNS0_10empty_typeEEEZZNS1_27merge_sort_block_merge_implIS3_PsPS5_jNS1_19radix_merge_compareILb1ELb0EsNS0_19identity_decomposerEEEEE10hipError_tT0_T1_T2_jT3_P12ihipStream_tbPNSt15iterator_traitsISE_E10value_typeEPNSK_ISF_E10value_typeEPSG_NS1_7vsmem_tEENKUlT_SE_SF_SG_E_clIS8_S8_S9_S9_EESD_ST_SE_SF_SG_EUlST_E0_NS1_11comp_targetILNS1_3genE2ELNS1_11target_archE906ELNS1_3gpuE6ELNS1_3repE0EEENS1_38merge_mergepath_config_static_selectorELNS0_4arch9wavefront6targetE0EEEvSF_ ; -- Begin function _ZN7rocprim17ROCPRIM_400000_NS6detail17trampoline_kernelINS0_14default_configENS1_38merge_sort_block_merge_config_selectorIsNS0_10empty_typeEEEZZNS1_27merge_sort_block_merge_implIS3_PsPS5_jNS1_19radix_merge_compareILb1ELb0EsNS0_19identity_decomposerEEEEE10hipError_tT0_T1_T2_jT3_P12ihipStream_tbPNSt15iterator_traitsISE_E10value_typeEPNSK_ISF_E10value_typeEPSG_NS1_7vsmem_tEENKUlT_SE_SF_SG_E_clIS8_S8_S9_S9_EESD_ST_SE_SF_SG_EUlST_E0_NS1_11comp_targetILNS1_3genE2ELNS1_11target_archE906ELNS1_3gpuE6ELNS1_3repE0EEENS1_38merge_mergepath_config_static_selectorELNS0_4arch9wavefront6targetE0EEEvSF_
	.globl	_ZN7rocprim17ROCPRIM_400000_NS6detail17trampoline_kernelINS0_14default_configENS1_38merge_sort_block_merge_config_selectorIsNS0_10empty_typeEEEZZNS1_27merge_sort_block_merge_implIS3_PsPS5_jNS1_19radix_merge_compareILb1ELb0EsNS0_19identity_decomposerEEEEE10hipError_tT0_T1_T2_jT3_P12ihipStream_tbPNSt15iterator_traitsISE_E10value_typeEPNSK_ISF_E10value_typeEPSG_NS1_7vsmem_tEENKUlT_SE_SF_SG_E_clIS8_S8_S9_S9_EESD_ST_SE_SF_SG_EUlST_E0_NS1_11comp_targetILNS1_3genE2ELNS1_11target_archE906ELNS1_3gpuE6ELNS1_3repE0EEENS1_38merge_mergepath_config_static_selectorELNS0_4arch9wavefront6targetE0EEEvSF_
	.p2align	8
	.type	_ZN7rocprim17ROCPRIM_400000_NS6detail17trampoline_kernelINS0_14default_configENS1_38merge_sort_block_merge_config_selectorIsNS0_10empty_typeEEEZZNS1_27merge_sort_block_merge_implIS3_PsPS5_jNS1_19radix_merge_compareILb1ELb0EsNS0_19identity_decomposerEEEEE10hipError_tT0_T1_T2_jT3_P12ihipStream_tbPNSt15iterator_traitsISE_E10value_typeEPNSK_ISF_E10value_typeEPSG_NS1_7vsmem_tEENKUlT_SE_SF_SG_E_clIS8_S8_S9_S9_EESD_ST_SE_SF_SG_EUlST_E0_NS1_11comp_targetILNS1_3genE2ELNS1_11target_archE906ELNS1_3gpuE6ELNS1_3repE0EEENS1_38merge_mergepath_config_static_selectorELNS0_4arch9wavefront6targetE0EEEvSF_,@function
_ZN7rocprim17ROCPRIM_400000_NS6detail17trampoline_kernelINS0_14default_configENS1_38merge_sort_block_merge_config_selectorIsNS0_10empty_typeEEEZZNS1_27merge_sort_block_merge_implIS3_PsPS5_jNS1_19radix_merge_compareILb1ELb0EsNS0_19identity_decomposerEEEEE10hipError_tT0_T1_T2_jT3_P12ihipStream_tbPNSt15iterator_traitsISE_E10value_typeEPNSK_ISF_E10value_typeEPSG_NS1_7vsmem_tEENKUlT_SE_SF_SG_E_clIS8_S8_S9_S9_EESD_ST_SE_SF_SG_EUlST_E0_NS1_11comp_targetILNS1_3genE2ELNS1_11target_archE906ELNS1_3gpuE6ELNS1_3repE0EEENS1_38merge_mergepath_config_static_selectorELNS0_4arch9wavefront6targetE0EEEvSF_: ; @_ZN7rocprim17ROCPRIM_400000_NS6detail17trampoline_kernelINS0_14default_configENS1_38merge_sort_block_merge_config_selectorIsNS0_10empty_typeEEEZZNS1_27merge_sort_block_merge_implIS3_PsPS5_jNS1_19radix_merge_compareILb1ELb0EsNS0_19identity_decomposerEEEEE10hipError_tT0_T1_T2_jT3_P12ihipStream_tbPNSt15iterator_traitsISE_E10value_typeEPNSK_ISF_E10value_typeEPSG_NS1_7vsmem_tEENKUlT_SE_SF_SG_E_clIS8_S8_S9_S9_EESD_ST_SE_SF_SG_EUlST_E0_NS1_11comp_targetILNS1_3genE2ELNS1_11target_archE906ELNS1_3gpuE6ELNS1_3repE0EEENS1_38merge_mergepath_config_static_selectorELNS0_4arch9wavefront6targetE0EEEvSF_
; %bb.0:
	.section	.rodata,"a",@progbits
	.p2align	6, 0x0
	.amdhsa_kernel _ZN7rocprim17ROCPRIM_400000_NS6detail17trampoline_kernelINS0_14default_configENS1_38merge_sort_block_merge_config_selectorIsNS0_10empty_typeEEEZZNS1_27merge_sort_block_merge_implIS3_PsPS5_jNS1_19radix_merge_compareILb1ELb0EsNS0_19identity_decomposerEEEEE10hipError_tT0_T1_T2_jT3_P12ihipStream_tbPNSt15iterator_traitsISE_E10value_typeEPNSK_ISF_E10value_typeEPSG_NS1_7vsmem_tEENKUlT_SE_SF_SG_E_clIS8_S8_S9_S9_EESD_ST_SE_SF_SG_EUlST_E0_NS1_11comp_targetILNS1_3genE2ELNS1_11target_archE906ELNS1_3gpuE6ELNS1_3repE0EEENS1_38merge_mergepath_config_static_selectorELNS0_4arch9wavefront6targetE0EEEvSF_
		.amdhsa_group_segment_fixed_size 0
		.amdhsa_private_segment_fixed_size 0
		.amdhsa_kernarg_size 64
		.amdhsa_user_sgpr_count 2
		.amdhsa_user_sgpr_dispatch_ptr 0
		.amdhsa_user_sgpr_queue_ptr 0
		.amdhsa_user_sgpr_kernarg_segment_ptr 1
		.amdhsa_user_sgpr_dispatch_id 0
		.amdhsa_user_sgpr_kernarg_preload_length 0
		.amdhsa_user_sgpr_kernarg_preload_offset 0
		.amdhsa_user_sgpr_private_segment_size 0
		.amdhsa_wavefront_size32 1
		.amdhsa_uses_dynamic_stack 0
		.amdhsa_enable_private_segment 0
		.amdhsa_system_sgpr_workgroup_id_x 1
		.amdhsa_system_sgpr_workgroup_id_y 0
		.amdhsa_system_sgpr_workgroup_id_z 0
		.amdhsa_system_sgpr_workgroup_info 0
		.amdhsa_system_vgpr_workitem_id 0
		.amdhsa_next_free_vgpr 1
		.amdhsa_next_free_sgpr 1
		.amdhsa_named_barrier_count 0
		.amdhsa_reserve_vcc 0
		.amdhsa_float_round_mode_32 0
		.amdhsa_float_round_mode_16_64 0
		.amdhsa_float_denorm_mode_32 3
		.amdhsa_float_denorm_mode_16_64 3
		.amdhsa_fp16_overflow 0
		.amdhsa_memory_ordered 1
		.amdhsa_forward_progress 1
		.amdhsa_inst_pref_size 0
		.amdhsa_round_robin_scheduling 0
		.amdhsa_exception_fp_ieee_invalid_op 0
		.amdhsa_exception_fp_denorm_src 0
		.amdhsa_exception_fp_ieee_div_zero 0
		.amdhsa_exception_fp_ieee_overflow 0
		.amdhsa_exception_fp_ieee_underflow 0
		.amdhsa_exception_fp_ieee_inexact 0
		.amdhsa_exception_int_div_zero 0
	.end_amdhsa_kernel
	.section	.text._ZN7rocprim17ROCPRIM_400000_NS6detail17trampoline_kernelINS0_14default_configENS1_38merge_sort_block_merge_config_selectorIsNS0_10empty_typeEEEZZNS1_27merge_sort_block_merge_implIS3_PsPS5_jNS1_19radix_merge_compareILb1ELb0EsNS0_19identity_decomposerEEEEE10hipError_tT0_T1_T2_jT3_P12ihipStream_tbPNSt15iterator_traitsISE_E10value_typeEPNSK_ISF_E10value_typeEPSG_NS1_7vsmem_tEENKUlT_SE_SF_SG_E_clIS8_S8_S9_S9_EESD_ST_SE_SF_SG_EUlST_E0_NS1_11comp_targetILNS1_3genE2ELNS1_11target_archE906ELNS1_3gpuE6ELNS1_3repE0EEENS1_38merge_mergepath_config_static_selectorELNS0_4arch9wavefront6targetE0EEEvSF_,"axG",@progbits,_ZN7rocprim17ROCPRIM_400000_NS6detail17trampoline_kernelINS0_14default_configENS1_38merge_sort_block_merge_config_selectorIsNS0_10empty_typeEEEZZNS1_27merge_sort_block_merge_implIS3_PsPS5_jNS1_19radix_merge_compareILb1ELb0EsNS0_19identity_decomposerEEEEE10hipError_tT0_T1_T2_jT3_P12ihipStream_tbPNSt15iterator_traitsISE_E10value_typeEPNSK_ISF_E10value_typeEPSG_NS1_7vsmem_tEENKUlT_SE_SF_SG_E_clIS8_S8_S9_S9_EESD_ST_SE_SF_SG_EUlST_E0_NS1_11comp_targetILNS1_3genE2ELNS1_11target_archE906ELNS1_3gpuE6ELNS1_3repE0EEENS1_38merge_mergepath_config_static_selectorELNS0_4arch9wavefront6targetE0EEEvSF_,comdat
.Lfunc_end533:
	.size	_ZN7rocprim17ROCPRIM_400000_NS6detail17trampoline_kernelINS0_14default_configENS1_38merge_sort_block_merge_config_selectorIsNS0_10empty_typeEEEZZNS1_27merge_sort_block_merge_implIS3_PsPS5_jNS1_19radix_merge_compareILb1ELb0EsNS0_19identity_decomposerEEEEE10hipError_tT0_T1_T2_jT3_P12ihipStream_tbPNSt15iterator_traitsISE_E10value_typeEPNSK_ISF_E10value_typeEPSG_NS1_7vsmem_tEENKUlT_SE_SF_SG_E_clIS8_S8_S9_S9_EESD_ST_SE_SF_SG_EUlST_E0_NS1_11comp_targetILNS1_3genE2ELNS1_11target_archE906ELNS1_3gpuE6ELNS1_3repE0EEENS1_38merge_mergepath_config_static_selectorELNS0_4arch9wavefront6targetE0EEEvSF_, .Lfunc_end533-_ZN7rocprim17ROCPRIM_400000_NS6detail17trampoline_kernelINS0_14default_configENS1_38merge_sort_block_merge_config_selectorIsNS0_10empty_typeEEEZZNS1_27merge_sort_block_merge_implIS3_PsPS5_jNS1_19radix_merge_compareILb1ELb0EsNS0_19identity_decomposerEEEEE10hipError_tT0_T1_T2_jT3_P12ihipStream_tbPNSt15iterator_traitsISE_E10value_typeEPNSK_ISF_E10value_typeEPSG_NS1_7vsmem_tEENKUlT_SE_SF_SG_E_clIS8_S8_S9_S9_EESD_ST_SE_SF_SG_EUlST_E0_NS1_11comp_targetILNS1_3genE2ELNS1_11target_archE906ELNS1_3gpuE6ELNS1_3repE0EEENS1_38merge_mergepath_config_static_selectorELNS0_4arch9wavefront6targetE0EEEvSF_
                                        ; -- End function
	.set _ZN7rocprim17ROCPRIM_400000_NS6detail17trampoline_kernelINS0_14default_configENS1_38merge_sort_block_merge_config_selectorIsNS0_10empty_typeEEEZZNS1_27merge_sort_block_merge_implIS3_PsPS5_jNS1_19radix_merge_compareILb1ELb0EsNS0_19identity_decomposerEEEEE10hipError_tT0_T1_T2_jT3_P12ihipStream_tbPNSt15iterator_traitsISE_E10value_typeEPNSK_ISF_E10value_typeEPSG_NS1_7vsmem_tEENKUlT_SE_SF_SG_E_clIS8_S8_S9_S9_EESD_ST_SE_SF_SG_EUlST_E0_NS1_11comp_targetILNS1_3genE2ELNS1_11target_archE906ELNS1_3gpuE6ELNS1_3repE0EEENS1_38merge_mergepath_config_static_selectorELNS0_4arch9wavefront6targetE0EEEvSF_.num_vgpr, 0
	.set _ZN7rocprim17ROCPRIM_400000_NS6detail17trampoline_kernelINS0_14default_configENS1_38merge_sort_block_merge_config_selectorIsNS0_10empty_typeEEEZZNS1_27merge_sort_block_merge_implIS3_PsPS5_jNS1_19radix_merge_compareILb1ELb0EsNS0_19identity_decomposerEEEEE10hipError_tT0_T1_T2_jT3_P12ihipStream_tbPNSt15iterator_traitsISE_E10value_typeEPNSK_ISF_E10value_typeEPSG_NS1_7vsmem_tEENKUlT_SE_SF_SG_E_clIS8_S8_S9_S9_EESD_ST_SE_SF_SG_EUlST_E0_NS1_11comp_targetILNS1_3genE2ELNS1_11target_archE906ELNS1_3gpuE6ELNS1_3repE0EEENS1_38merge_mergepath_config_static_selectorELNS0_4arch9wavefront6targetE0EEEvSF_.num_agpr, 0
	.set _ZN7rocprim17ROCPRIM_400000_NS6detail17trampoline_kernelINS0_14default_configENS1_38merge_sort_block_merge_config_selectorIsNS0_10empty_typeEEEZZNS1_27merge_sort_block_merge_implIS3_PsPS5_jNS1_19radix_merge_compareILb1ELb0EsNS0_19identity_decomposerEEEEE10hipError_tT0_T1_T2_jT3_P12ihipStream_tbPNSt15iterator_traitsISE_E10value_typeEPNSK_ISF_E10value_typeEPSG_NS1_7vsmem_tEENKUlT_SE_SF_SG_E_clIS8_S8_S9_S9_EESD_ST_SE_SF_SG_EUlST_E0_NS1_11comp_targetILNS1_3genE2ELNS1_11target_archE906ELNS1_3gpuE6ELNS1_3repE0EEENS1_38merge_mergepath_config_static_selectorELNS0_4arch9wavefront6targetE0EEEvSF_.numbered_sgpr, 0
	.set _ZN7rocprim17ROCPRIM_400000_NS6detail17trampoline_kernelINS0_14default_configENS1_38merge_sort_block_merge_config_selectorIsNS0_10empty_typeEEEZZNS1_27merge_sort_block_merge_implIS3_PsPS5_jNS1_19radix_merge_compareILb1ELb0EsNS0_19identity_decomposerEEEEE10hipError_tT0_T1_T2_jT3_P12ihipStream_tbPNSt15iterator_traitsISE_E10value_typeEPNSK_ISF_E10value_typeEPSG_NS1_7vsmem_tEENKUlT_SE_SF_SG_E_clIS8_S8_S9_S9_EESD_ST_SE_SF_SG_EUlST_E0_NS1_11comp_targetILNS1_3genE2ELNS1_11target_archE906ELNS1_3gpuE6ELNS1_3repE0EEENS1_38merge_mergepath_config_static_selectorELNS0_4arch9wavefront6targetE0EEEvSF_.num_named_barrier, 0
	.set _ZN7rocprim17ROCPRIM_400000_NS6detail17trampoline_kernelINS0_14default_configENS1_38merge_sort_block_merge_config_selectorIsNS0_10empty_typeEEEZZNS1_27merge_sort_block_merge_implIS3_PsPS5_jNS1_19radix_merge_compareILb1ELb0EsNS0_19identity_decomposerEEEEE10hipError_tT0_T1_T2_jT3_P12ihipStream_tbPNSt15iterator_traitsISE_E10value_typeEPNSK_ISF_E10value_typeEPSG_NS1_7vsmem_tEENKUlT_SE_SF_SG_E_clIS8_S8_S9_S9_EESD_ST_SE_SF_SG_EUlST_E0_NS1_11comp_targetILNS1_3genE2ELNS1_11target_archE906ELNS1_3gpuE6ELNS1_3repE0EEENS1_38merge_mergepath_config_static_selectorELNS0_4arch9wavefront6targetE0EEEvSF_.private_seg_size, 0
	.set _ZN7rocprim17ROCPRIM_400000_NS6detail17trampoline_kernelINS0_14default_configENS1_38merge_sort_block_merge_config_selectorIsNS0_10empty_typeEEEZZNS1_27merge_sort_block_merge_implIS3_PsPS5_jNS1_19radix_merge_compareILb1ELb0EsNS0_19identity_decomposerEEEEE10hipError_tT0_T1_T2_jT3_P12ihipStream_tbPNSt15iterator_traitsISE_E10value_typeEPNSK_ISF_E10value_typeEPSG_NS1_7vsmem_tEENKUlT_SE_SF_SG_E_clIS8_S8_S9_S9_EESD_ST_SE_SF_SG_EUlST_E0_NS1_11comp_targetILNS1_3genE2ELNS1_11target_archE906ELNS1_3gpuE6ELNS1_3repE0EEENS1_38merge_mergepath_config_static_selectorELNS0_4arch9wavefront6targetE0EEEvSF_.uses_vcc, 0
	.set _ZN7rocprim17ROCPRIM_400000_NS6detail17trampoline_kernelINS0_14default_configENS1_38merge_sort_block_merge_config_selectorIsNS0_10empty_typeEEEZZNS1_27merge_sort_block_merge_implIS3_PsPS5_jNS1_19radix_merge_compareILb1ELb0EsNS0_19identity_decomposerEEEEE10hipError_tT0_T1_T2_jT3_P12ihipStream_tbPNSt15iterator_traitsISE_E10value_typeEPNSK_ISF_E10value_typeEPSG_NS1_7vsmem_tEENKUlT_SE_SF_SG_E_clIS8_S8_S9_S9_EESD_ST_SE_SF_SG_EUlST_E0_NS1_11comp_targetILNS1_3genE2ELNS1_11target_archE906ELNS1_3gpuE6ELNS1_3repE0EEENS1_38merge_mergepath_config_static_selectorELNS0_4arch9wavefront6targetE0EEEvSF_.uses_flat_scratch, 0
	.set _ZN7rocprim17ROCPRIM_400000_NS6detail17trampoline_kernelINS0_14default_configENS1_38merge_sort_block_merge_config_selectorIsNS0_10empty_typeEEEZZNS1_27merge_sort_block_merge_implIS3_PsPS5_jNS1_19radix_merge_compareILb1ELb0EsNS0_19identity_decomposerEEEEE10hipError_tT0_T1_T2_jT3_P12ihipStream_tbPNSt15iterator_traitsISE_E10value_typeEPNSK_ISF_E10value_typeEPSG_NS1_7vsmem_tEENKUlT_SE_SF_SG_E_clIS8_S8_S9_S9_EESD_ST_SE_SF_SG_EUlST_E0_NS1_11comp_targetILNS1_3genE2ELNS1_11target_archE906ELNS1_3gpuE6ELNS1_3repE0EEENS1_38merge_mergepath_config_static_selectorELNS0_4arch9wavefront6targetE0EEEvSF_.has_dyn_sized_stack, 0
	.set _ZN7rocprim17ROCPRIM_400000_NS6detail17trampoline_kernelINS0_14default_configENS1_38merge_sort_block_merge_config_selectorIsNS0_10empty_typeEEEZZNS1_27merge_sort_block_merge_implIS3_PsPS5_jNS1_19radix_merge_compareILb1ELb0EsNS0_19identity_decomposerEEEEE10hipError_tT0_T1_T2_jT3_P12ihipStream_tbPNSt15iterator_traitsISE_E10value_typeEPNSK_ISF_E10value_typeEPSG_NS1_7vsmem_tEENKUlT_SE_SF_SG_E_clIS8_S8_S9_S9_EESD_ST_SE_SF_SG_EUlST_E0_NS1_11comp_targetILNS1_3genE2ELNS1_11target_archE906ELNS1_3gpuE6ELNS1_3repE0EEENS1_38merge_mergepath_config_static_selectorELNS0_4arch9wavefront6targetE0EEEvSF_.has_recursion, 0
	.set _ZN7rocprim17ROCPRIM_400000_NS6detail17trampoline_kernelINS0_14default_configENS1_38merge_sort_block_merge_config_selectorIsNS0_10empty_typeEEEZZNS1_27merge_sort_block_merge_implIS3_PsPS5_jNS1_19radix_merge_compareILb1ELb0EsNS0_19identity_decomposerEEEEE10hipError_tT0_T1_T2_jT3_P12ihipStream_tbPNSt15iterator_traitsISE_E10value_typeEPNSK_ISF_E10value_typeEPSG_NS1_7vsmem_tEENKUlT_SE_SF_SG_E_clIS8_S8_S9_S9_EESD_ST_SE_SF_SG_EUlST_E0_NS1_11comp_targetILNS1_3genE2ELNS1_11target_archE906ELNS1_3gpuE6ELNS1_3repE0EEENS1_38merge_mergepath_config_static_selectorELNS0_4arch9wavefront6targetE0EEEvSF_.has_indirect_call, 0
	.section	.AMDGPU.csdata,"",@progbits
; Kernel info:
; codeLenInByte = 0
; TotalNumSgprs: 0
; NumVgprs: 0
; ScratchSize: 0
; MemoryBound: 0
; FloatMode: 240
; IeeeMode: 1
; LDSByteSize: 0 bytes/workgroup (compile time only)
; SGPRBlocks: 0
; VGPRBlocks: 0
; NumSGPRsForWavesPerEU: 1
; NumVGPRsForWavesPerEU: 1
; NamedBarCnt: 0
; Occupancy: 16
; WaveLimiterHint : 0
; COMPUTE_PGM_RSRC2:SCRATCH_EN: 0
; COMPUTE_PGM_RSRC2:USER_SGPR: 2
; COMPUTE_PGM_RSRC2:TRAP_HANDLER: 0
; COMPUTE_PGM_RSRC2:TGID_X_EN: 1
; COMPUTE_PGM_RSRC2:TGID_Y_EN: 0
; COMPUTE_PGM_RSRC2:TGID_Z_EN: 0
; COMPUTE_PGM_RSRC2:TIDIG_COMP_CNT: 0
	.section	.text._ZN7rocprim17ROCPRIM_400000_NS6detail17trampoline_kernelINS0_14default_configENS1_38merge_sort_block_merge_config_selectorIsNS0_10empty_typeEEEZZNS1_27merge_sort_block_merge_implIS3_PsPS5_jNS1_19radix_merge_compareILb1ELb0EsNS0_19identity_decomposerEEEEE10hipError_tT0_T1_T2_jT3_P12ihipStream_tbPNSt15iterator_traitsISE_E10value_typeEPNSK_ISF_E10value_typeEPSG_NS1_7vsmem_tEENKUlT_SE_SF_SG_E_clIS8_S8_S9_S9_EESD_ST_SE_SF_SG_EUlST_E0_NS1_11comp_targetILNS1_3genE9ELNS1_11target_archE1100ELNS1_3gpuE3ELNS1_3repE0EEENS1_38merge_mergepath_config_static_selectorELNS0_4arch9wavefront6targetE0EEEvSF_,"axG",@progbits,_ZN7rocprim17ROCPRIM_400000_NS6detail17trampoline_kernelINS0_14default_configENS1_38merge_sort_block_merge_config_selectorIsNS0_10empty_typeEEEZZNS1_27merge_sort_block_merge_implIS3_PsPS5_jNS1_19radix_merge_compareILb1ELb0EsNS0_19identity_decomposerEEEEE10hipError_tT0_T1_T2_jT3_P12ihipStream_tbPNSt15iterator_traitsISE_E10value_typeEPNSK_ISF_E10value_typeEPSG_NS1_7vsmem_tEENKUlT_SE_SF_SG_E_clIS8_S8_S9_S9_EESD_ST_SE_SF_SG_EUlST_E0_NS1_11comp_targetILNS1_3genE9ELNS1_11target_archE1100ELNS1_3gpuE3ELNS1_3repE0EEENS1_38merge_mergepath_config_static_selectorELNS0_4arch9wavefront6targetE0EEEvSF_,comdat
	.protected	_ZN7rocprim17ROCPRIM_400000_NS6detail17trampoline_kernelINS0_14default_configENS1_38merge_sort_block_merge_config_selectorIsNS0_10empty_typeEEEZZNS1_27merge_sort_block_merge_implIS3_PsPS5_jNS1_19radix_merge_compareILb1ELb0EsNS0_19identity_decomposerEEEEE10hipError_tT0_T1_T2_jT3_P12ihipStream_tbPNSt15iterator_traitsISE_E10value_typeEPNSK_ISF_E10value_typeEPSG_NS1_7vsmem_tEENKUlT_SE_SF_SG_E_clIS8_S8_S9_S9_EESD_ST_SE_SF_SG_EUlST_E0_NS1_11comp_targetILNS1_3genE9ELNS1_11target_archE1100ELNS1_3gpuE3ELNS1_3repE0EEENS1_38merge_mergepath_config_static_selectorELNS0_4arch9wavefront6targetE0EEEvSF_ ; -- Begin function _ZN7rocprim17ROCPRIM_400000_NS6detail17trampoline_kernelINS0_14default_configENS1_38merge_sort_block_merge_config_selectorIsNS0_10empty_typeEEEZZNS1_27merge_sort_block_merge_implIS3_PsPS5_jNS1_19radix_merge_compareILb1ELb0EsNS0_19identity_decomposerEEEEE10hipError_tT0_T1_T2_jT3_P12ihipStream_tbPNSt15iterator_traitsISE_E10value_typeEPNSK_ISF_E10value_typeEPSG_NS1_7vsmem_tEENKUlT_SE_SF_SG_E_clIS8_S8_S9_S9_EESD_ST_SE_SF_SG_EUlST_E0_NS1_11comp_targetILNS1_3genE9ELNS1_11target_archE1100ELNS1_3gpuE3ELNS1_3repE0EEENS1_38merge_mergepath_config_static_selectorELNS0_4arch9wavefront6targetE0EEEvSF_
	.globl	_ZN7rocprim17ROCPRIM_400000_NS6detail17trampoline_kernelINS0_14default_configENS1_38merge_sort_block_merge_config_selectorIsNS0_10empty_typeEEEZZNS1_27merge_sort_block_merge_implIS3_PsPS5_jNS1_19radix_merge_compareILb1ELb0EsNS0_19identity_decomposerEEEEE10hipError_tT0_T1_T2_jT3_P12ihipStream_tbPNSt15iterator_traitsISE_E10value_typeEPNSK_ISF_E10value_typeEPSG_NS1_7vsmem_tEENKUlT_SE_SF_SG_E_clIS8_S8_S9_S9_EESD_ST_SE_SF_SG_EUlST_E0_NS1_11comp_targetILNS1_3genE9ELNS1_11target_archE1100ELNS1_3gpuE3ELNS1_3repE0EEENS1_38merge_mergepath_config_static_selectorELNS0_4arch9wavefront6targetE0EEEvSF_
	.p2align	8
	.type	_ZN7rocprim17ROCPRIM_400000_NS6detail17trampoline_kernelINS0_14default_configENS1_38merge_sort_block_merge_config_selectorIsNS0_10empty_typeEEEZZNS1_27merge_sort_block_merge_implIS3_PsPS5_jNS1_19radix_merge_compareILb1ELb0EsNS0_19identity_decomposerEEEEE10hipError_tT0_T1_T2_jT3_P12ihipStream_tbPNSt15iterator_traitsISE_E10value_typeEPNSK_ISF_E10value_typeEPSG_NS1_7vsmem_tEENKUlT_SE_SF_SG_E_clIS8_S8_S9_S9_EESD_ST_SE_SF_SG_EUlST_E0_NS1_11comp_targetILNS1_3genE9ELNS1_11target_archE1100ELNS1_3gpuE3ELNS1_3repE0EEENS1_38merge_mergepath_config_static_selectorELNS0_4arch9wavefront6targetE0EEEvSF_,@function
_ZN7rocprim17ROCPRIM_400000_NS6detail17trampoline_kernelINS0_14default_configENS1_38merge_sort_block_merge_config_selectorIsNS0_10empty_typeEEEZZNS1_27merge_sort_block_merge_implIS3_PsPS5_jNS1_19radix_merge_compareILb1ELb0EsNS0_19identity_decomposerEEEEE10hipError_tT0_T1_T2_jT3_P12ihipStream_tbPNSt15iterator_traitsISE_E10value_typeEPNSK_ISF_E10value_typeEPSG_NS1_7vsmem_tEENKUlT_SE_SF_SG_E_clIS8_S8_S9_S9_EESD_ST_SE_SF_SG_EUlST_E0_NS1_11comp_targetILNS1_3genE9ELNS1_11target_archE1100ELNS1_3gpuE3ELNS1_3repE0EEENS1_38merge_mergepath_config_static_selectorELNS0_4arch9wavefront6targetE0EEEvSF_: ; @_ZN7rocprim17ROCPRIM_400000_NS6detail17trampoline_kernelINS0_14default_configENS1_38merge_sort_block_merge_config_selectorIsNS0_10empty_typeEEEZZNS1_27merge_sort_block_merge_implIS3_PsPS5_jNS1_19radix_merge_compareILb1ELb0EsNS0_19identity_decomposerEEEEE10hipError_tT0_T1_T2_jT3_P12ihipStream_tbPNSt15iterator_traitsISE_E10value_typeEPNSK_ISF_E10value_typeEPSG_NS1_7vsmem_tEENKUlT_SE_SF_SG_E_clIS8_S8_S9_S9_EESD_ST_SE_SF_SG_EUlST_E0_NS1_11comp_targetILNS1_3genE9ELNS1_11target_archE1100ELNS1_3gpuE3ELNS1_3repE0EEENS1_38merge_mergepath_config_static_selectorELNS0_4arch9wavefront6targetE0EEEvSF_
; %bb.0:
	.section	.rodata,"a",@progbits
	.p2align	6, 0x0
	.amdhsa_kernel _ZN7rocprim17ROCPRIM_400000_NS6detail17trampoline_kernelINS0_14default_configENS1_38merge_sort_block_merge_config_selectorIsNS0_10empty_typeEEEZZNS1_27merge_sort_block_merge_implIS3_PsPS5_jNS1_19radix_merge_compareILb1ELb0EsNS0_19identity_decomposerEEEEE10hipError_tT0_T1_T2_jT3_P12ihipStream_tbPNSt15iterator_traitsISE_E10value_typeEPNSK_ISF_E10value_typeEPSG_NS1_7vsmem_tEENKUlT_SE_SF_SG_E_clIS8_S8_S9_S9_EESD_ST_SE_SF_SG_EUlST_E0_NS1_11comp_targetILNS1_3genE9ELNS1_11target_archE1100ELNS1_3gpuE3ELNS1_3repE0EEENS1_38merge_mergepath_config_static_selectorELNS0_4arch9wavefront6targetE0EEEvSF_
		.amdhsa_group_segment_fixed_size 0
		.amdhsa_private_segment_fixed_size 0
		.amdhsa_kernarg_size 64
		.amdhsa_user_sgpr_count 2
		.amdhsa_user_sgpr_dispatch_ptr 0
		.amdhsa_user_sgpr_queue_ptr 0
		.amdhsa_user_sgpr_kernarg_segment_ptr 1
		.amdhsa_user_sgpr_dispatch_id 0
		.amdhsa_user_sgpr_kernarg_preload_length 0
		.amdhsa_user_sgpr_kernarg_preload_offset 0
		.amdhsa_user_sgpr_private_segment_size 0
		.amdhsa_wavefront_size32 1
		.amdhsa_uses_dynamic_stack 0
		.amdhsa_enable_private_segment 0
		.amdhsa_system_sgpr_workgroup_id_x 1
		.amdhsa_system_sgpr_workgroup_id_y 0
		.amdhsa_system_sgpr_workgroup_id_z 0
		.amdhsa_system_sgpr_workgroup_info 0
		.amdhsa_system_vgpr_workitem_id 0
		.amdhsa_next_free_vgpr 1
		.amdhsa_next_free_sgpr 1
		.amdhsa_named_barrier_count 0
		.amdhsa_reserve_vcc 0
		.amdhsa_float_round_mode_32 0
		.amdhsa_float_round_mode_16_64 0
		.amdhsa_float_denorm_mode_32 3
		.amdhsa_float_denorm_mode_16_64 3
		.amdhsa_fp16_overflow 0
		.amdhsa_memory_ordered 1
		.amdhsa_forward_progress 1
		.amdhsa_inst_pref_size 0
		.amdhsa_round_robin_scheduling 0
		.amdhsa_exception_fp_ieee_invalid_op 0
		.amdhsa_exception_fp_denorm_src 0
		.amdhsa_exception_fp_ieee_div_zero 0
		.amdhsa_exception_fp_ieee_overflow 0
		.amdhsa_exception_fp_ieee_underflow 0
		.amdhsa_exception_fp_ieee_inexact 0
		.amdhsa_exception_int_div_zero 0
	.end_amdhsa_kernel
	.section	.text._ZN7rocprim17ROCPRIM_400000_NS6detail17trampoline_kernelINS0_14default_configENS1_38merge_sort_block_merge_config_selectorIsNS0_10empty_typeEEEZZNS1_27merge_sort_block_merge_implIS3_PsPS5_jNS1_19radix_merge_compareILb1ELb0EsNS0_19identity_decomposerEEEEE10hipError_tT0_T1_T2_jT3_P12ihipStream_tbPNSt15iterator_traitsISE_E10value_typeEPNSK_ISF_E10value_typeEPSG_NS1_7vsmem_tEENKUlT_SE_SF_SG_E_clIS8_S8_S9_S9_EESD_ST_SE_SF_SG_EUlST_E0_NS1_11comp_targetILNS1_3genE9ELNS1_11target_archE1100ELNS1_3gpuE3ELNS1_3repE0EEENS1_38merge_mergepath_config_static_selectorELNS0_4arch9wavefront6targetE0EEEvSF_,"axG",@progbits,_ZN7rocprim17ROCPRIM_400000_NS6detail17trampoline_kernelINS0_14default_configENS1_38merge_sort_block_merge_config_selectorIsNS0_10empty_typeEEEZZNS1_27merge_sort_block_merge_implIS3_PsPS5_jNS1_19radix_merge_compareILb1ELb0EsNS0_19identity_decomposerEEEEE10hipError_tT0_T1_T2_jT3_P12ihipStream_tbPNSt15iterator_traitsISE_E10value_typeEPNSK_ISF_E10value_typeEPSG_NS1_7vsmem_tEENKUlT_SE_SF_SG_E_clIS8_S8_S9_S9_EESD_ST_SE_SF_SG_EUlST_E0_NS1_11comp_targetILNS1_3genE9ELNS1_11target_archE1100ELNS1_3gpuE3ELNS1_3repE0EEENS1_38merge_mergepath_config_static_selectorELNS0_4arch9wavefront6targetE0EEEvSF_,comdat
.Lfunc_end534:
	.size	_ZN7rocprim17ROCPRIM_400000_NS6detail17trampoline_kernelINS0_14default_configENS1_38merge_sort_block_merge_config_selectorIsNS0_10empty_typeEEEZZNS1_27merge_sort_block_merge_implIS3_PsPS5_jNS1_19radix_merge_compareILb1ELb0EsNS0_19identity_decomposerEEEEE10hipError_tT0_T1_T2_jT3_P12ihipStream_tbPNSt15iterator_traitsISE_E10value_typeEPNSK_ISF_E10value_typeEPSG_NS1_7vsmem_tEENKUlT_SE_SF_SG_E_clIS8_S8_S9_S9_EESD_ST_SE_SF_SG_EUlST_E0_NS1_11comp_targetILNS1_3genE9ELNS1_11target_archE1100ELNS1_3gpuE3ELNS1_3repE0EEENS1_38merge_mergepath_config_static_selectorELNS0_4arch9wavefront6targetE0EEEvSF_, .Lfunc_end534-_ZN7rocprim17ROCPRIM_400000_NS6detail17trampoline_kernelINS0_14default_configENS1_38merge_sort_block_merge_config_selectorIsNS0_10empty_typeEEEZZNS1_27merge_sort_block_merge_implIS3_PsPS5_jNS1_19radix_merge_compareILb1ELb0EsNS0_19identity_decomposerEEEEE10hipError_tT0_T1_T2_jT3_P12ihipStream_tbPNSt15iterator_traitsISE_E10value_typeEPNSK_ISF_E10value_typeEPSG_NS1_7vsmem_tEENKUlT_SE_SF_SG_E_clIS8_S8_S9_S9_EESD_ST_SE_SF_SG_EUlST_E0_NS1_11comp_targetILNS1_3genE9ELNS1_11target_archE1100ELNS1_3gpuE3ELNS1_3repE0EEENS1_38merge_mergepath_config_static_selectorELNS0_4arch9wavefront6targetE0EEEvSF_
                                        ; -- End function
	.set _ZN7rocprim17ROCPRIM_400000_NS6detail17trampoline_kernelINS0_14default_configENS1_38merge_sort_block_merge_config_selectorIsNS0_10empty_typeEEEZZNS1_27merge_sort_block_merge_implIS3_PsPS5_jNS1_19radix_merge_compareILb1ELb0EsNS0_19identity_decomposerEEEEE10hipError_tT0_T1_T2_jT3_P12ihipStream_tbPNSt15iterator_traitsISE_E10value_typeEPNSK_ISF_E10value_typeEPSG_NS1_7vsmem_tEENKUlT_SE_SF_SG_E_clIS8_S8_S9_S9_EESD_ST_SE_SF_SG_EUlST_E0_NS1_11comp_targetILNS1_3genE9ELNS1_11target_archE1100ELNS1_3gpuE3ELNS1_3repE0EEENS1_38merge_mergepath_config_static_selectorELNS0_4arch9wavefront6targetE0EEEvSF_.num_vgpr, 0
	.set _ZN7rocprim17ROCPRIM_400000_NS6detail17trampoline_kernelINS0_14default_configENS1_38merge_sort_block_merge_config_selectorIsNS0_10empty_typeEEEZZNS1_27merge_sort_block_merge_implIS3_PsPS5_jNS1_19radix_merge_compareILb1ELb0EsNS0_19identity_decomposerEEEEE10hipError_tT0_T1_T2_jT3_P12ihipStream_tbPNSt15iterator_traitsISE_E10value_typeEPNSK_ISF_E10value_typeEPSG_NS1_7vsmem_tEENKUlT_SE_SF_SG_E_clIS8_S8_S9_S9_EESD_ST_SE_SF_SG_EUlST_E0_NS1_11comp_targetILNS1_3genE9ELNS1_11target_archE1100ELNS1_3gpuE3ELNS1_3repE0EEENS1_38merge_mergepath_config_static_selectorELNS0_4arch9wavefront6targetE0EEEvSF_.num_agpr, 0
	.set _ZN7rocprim17ROCPRIM_400000_NS6detail17trampoline_kernelINS0_14default_configENS1_38merge_sort_block_merge_config_selectorIsNS0_10empty_typeEEEZZNS1_27merge_sort_block_merge_implIS3_PsPS5_jNS1_19radix_merge_compareILb1ELb0EsNS0_19identity_decomposerEEEEE10hipError_tT0_T1_T2_jT3_P12ihipStream_tbPNSt15iterator_traitsISE_E10value_typeEPNSK_ISF_E10value_typeEPSG_NS1_7vsmem_tEENKUlT_SE_SF_SG_E_clIS8_S8_S9_S9_EESD_ST_SE_SF_SG_EUlST_E0_NS1_11comp_targetILNS1_3genE9ELNS1_11target_archE1100ELNS1_3gpuE3ELNS1_3repE0EEENS1_38merge_mergepath_config_static_selectorELNS0_4arch9wavefront6targetE0EEEvSF_.numbered_sgpr, 0
	.set _ZN7rocprim17ROCPRIM_400000_NS6detail17trampoline_kernelINS0_14default_configENS1_38merge_sort_block_merge_config_selectorIsNS0_10empty_typeEEEZZNS1_27merge_sort_block_merge_implIS3_PsPS5_jNS1_19radix_merge_compareILb1ELb0EsNS0_19identity_decomposerEEEEE10hipError_tT0_T1_T2_jT3_P12ihipStream_tbPNSt15iterator_traitsISE_E10value_typeEPNSK_ISF_E10value_typeEPSG_NS1_7vsmem_tEENKUlT_SE_SF_SG_E_clIS8_S8_S9_S9_EESD_ST_SE_SF_SG_EUlST_E0_NS1_11comp_targetILNS1_3genE9ELNS1_11target_archE1100ELNS1_3gpuE3ELNS1_3repE0EEENS1_38merge_mergepath_config_static_selectorELNS0_4arch9wavefront6targetE0EEEvSF_.num_named_barrier, 0
	.set _ZN7rocprim17ROCPRIM_400000_NS6detail17trampoline_kernelINS0_14default_configENS1_38merge_sort_block_merge_config_selectorIsNS0_10empty_typeEEEZZNS1_27merge_sort_block_merge_implIS3_PsPS5_jNS1_19radix_merge_compareILb1ELb0EsNS0_19identity_decomposerEEEEE10hipError_tT0_T1_T2_jT3_P12ihipStream_tbPNSt15iterator_traitsISE_E10value_typeEPNSK_ISF_E10value_typeEPSG_NS1_7vsmem_tEENKUlT_SE_SF_SG_E_clIS8_S8_S9_S9_EESD_ST_SE_SF_SG_EUlST_E0_NS1_11comp_targetILNS1_3genE9ELNS1_11target_archE1100ELNS1_3gpuE3ELNS1_3repE0EEENS1_38merge_mergepath_config_static_selectorELNS0_4arch9wavefront6targetE0EEEvSF_.private_seg_size, 0
	.set _ZN7rocprim17ROCPRIM_400000_NS6detail17trampoline_kernelINS0_14default_configENS1_38merge_sort_block_merge_config_selectorIsNS0_10empty_typeEEEZZNS1_27merge_sort_block_merge_implIS3_PsPS5_jNS1_19radix_merge_compareILb1ELb0EsNS0_19identity_decomposerEEEEE10hipError_tT0_T1_T2_jT3_P12ihipStream_tbPNSt15iterator_traitsISE_E10value_typeEPNSK_ISF_E10value_typeEPSG_NS1_7vsmem_tEENKUlT_SE_SF_SG_E_clIS8_S8_S9_S9_EESD_ST_SE_SF_SG_EUlST_E0_NS1_11comp_targetILNS1_3genE9ELNS1_11target_archE1100ELNS1_3gpuE3ELNS1_3repE0EEENS1_38merge_mergepath_config_static_selectorELNS0_4arch9wavefront6targetE0EEEvSF_.uses_vcc, 0
	.set _ZN7rocprim17ROCPRIM_400000_NS6detail17trampoline_kernelINS0_14default_configENS1_38merge_sort_block_merge_config_selectorIsNS0_10empty_typeEEEZZNS1_27merge_sort_block_merge_implIS3_PsPS5_jNS1_19radix_merge_compareILb1ELb0EsNS0_19identity_decomposerEEEEE10hipError_tT0_T1_T2_jT3_P12ihipStream_tbPNSt15iterator_traitsISE_E10value_typeEPNSK_ISF_E10value_typeEPSG_NS1_7vsmem_tEENKUlT_SE_SF_SG_E_clIS8_S8_S9_S9_EESD_ST_SE_SF_SG_EUlST_E0_NS1_11comp_targetILNS1_3genE9ELNS1_11target_archE1100ELNS1_3gpuE3ELNS1_3repE0EEENS1_38merge_mergepath_config_static_selectorELNS0_4arch9wavefront6targetE0EEEvSF_.uses_flat_scratch, 0
	.set _ZN7rocprim17ROCPRIM_400000_NS6detail17trampoline_kernelINS0_14default_configENS1_38merge_sort_block_merge_config_selectorIsNS0_10empty_typeEEEZZNS1_27merge_sort_block_merge_implIS3_PsPS5_jNS1_19radix_merge_compareILb1ELb0EsNS0_19identity_decomposerEEEEE10hipError_tT0_T1_T2_jT3_P12ihipStream_tbPNSt15iterator_traitsISE_E10value_typeEPNSK_ISF_E10value_typeEPSG_NS1_7vsmem_tEENKUlT_SE_SF_SG_E_clIS8_S8_S9_S9_EESD_ST_SE_SF_SG_EUlST_E0_NS1_11comp_targetILNS1_3genE9ELNS1_11target_archE1100ELNS1_3gpuE3ELNS1_3repE0EEENS1_38merge_mergepath_config_static_selectorELNS0_4arch9wavefront6targetE0EEEvSF_.has_dyn_sized_stack, 0
	.set _ZN7rocprim17ROCPRIM_400000_NS6detail17trampoline_kernelINS0_14default_configENS1_38merge_sort_block_merge_config_selectorIsNS0_10empty_typeEEEZZNS1_27merge_sort_block_merge_implIS3_PsPS5_jNS1_19radix_merge_compareILb1ELb0EsNS0_19identity_decomposerEEEEE10hipError_tT0_T1_T2_jT3_P12ihipStream_tbPNSt15iterator_traitsISE_E10value_typeEPNSK_ISF_E10value_typeEPSG_NS1_7vsmem_tEENKUlT_SE_SF_SG_E_clIS8_S8_S9_S9_EESD_ST_SE_SF_SG_EUlST_E0_NS1_11comp_targetILNS1_3genE9ELNS1_11target_archE1100ELNS1_3gpuE3ELNS1_3repE0EEENS1_38merge_mergepath_config_static_selectorELNS0_4arch9wavefront6targetE0EEEvSF_.has_recursion, 0
	.set _ZN7rocprim17ROCPRIM_400000_NS6detail17trampoline_kernelINS0_14default_configENS1_38merge_sort_block_merge_config_selectorIsNS0_10empty_typeEEEZZNS1_27merge_sort_block_merge_implIS3_PsPS5_jNS1_19radix_merge_compareILb1ELb0EsNS0_19identity_decomposerEEEEE10hipError_tT0_T1_T2_jT3_P12ihipStream_tbPNSt15iterator_traitsISE_E10value_typeEPNSK_ISF_E10value_typeEPSG_NS1_7vsmem_tEENKUlT_SE_SF_SG_E_clIS8_S8_S9_S9_EESD_ST_SE_SF_SG_EUlST_E0_NS1_11comp_targetILNS1_3genE9ELNS1_11target_archE1100ELNS1_3gpuE3ELNS1_3repE0EEENS1_38merge_mergepath_config_static_selectorELNS0_4arch9wavefront6targetE0EEEvSF_.has_indirect_call, 0
	.section	.AMDGPU.csdata,"",@progbits
; Kernel info:
; codeLenInByte = 0
; TotalNumSgprs: 0
; NumVgprs: 0
; ScratchSize: 0
; MemoryBound: 0
; FloatMode: 240
; IeeeMode: 1
; LDSByteSize: 0 bytes/workgroup (compile time only)
; SGPRBlocks: 0
; VGPRBlocks: 0
; NumSGPRsForWavesPerEU: 1
; NumVGPRsForWavesPerEU: 1
; NamedBarCnt: 0
; Occupancy: 16
; WaveLimiterHint : 0
; COMPUTE_PGM_RSRC2:SCRATCH_EN: 0
; COMPUTE_PGM_RSRC2:USER_SGPR: 2
; COMPUTE_PGM_RSRC2:TRAP_HANDLER: 0
; COMPUTE_PGM_RSRC2:TGID_X_EN: 1
; COMPUTE_PGM_RSRC2:TGID_Y_EN: 0
; COMPUTE_PGM_RSRC2:TGID_Z_EN: 0
; COMPUTE_PGM_RSRC2:TIDIG_COMP_CNT: 0
	.section	.text._ZN7rocprim17ROCPRIM_400000_NS6detail17trampoline_kernelINS0_14default_configENS1_38merge_sort_block_merge_config_selectorIsNS0_10empty_typeEEEZZNS1_27merge_sort_block_merge_implIS3_PsPS5_jNS1_19radix_merge_compareILb1ELb0EsNS0_19identity_decomposerEEEEE10hipError_tT0_T1_T2_jT3_P12ihipStream_tbPNSt15iterator_traitsISE_E10value_typeEPNSK_ISF_E10value_typeEPSG_NS1_7vsmem_tEENKUlT_SE_SF_SG_E_clIS8_S8_S9_S9_EESD_ST_SE_SF_SG_EUlST_E0_NS1_11comp_targetILNS1_3genE8ELNS1_11target_archE1030ELNS1_3gpuE2ELNS1_3repE0EEENS1_38merge_mergepath_config_static_selectorELNS0_4arch9wavefront6targetE0EEEvSF_,"axG",@progbits,_ZN7rocprim17ROCPRIM_400000_NS6detail17trampoline_kernelINS0_14default_configENS1_38merge_sort_block_merge_config_selectorIsNS0_10empty_typeEEEZZNS1_27merge_sort_block_merge_implIS3_PsPS5_jNS1_19radix_merge_compareILb1ELb0EsNS0_19identity_decomposerEEEEE10hipError_tT0_T1_T2_jT3_P12ihipStream_tbPNSt15iterator_traitsISE_E10value_typeEPNSK_ISF_E10value_typeEPSG_NS1_7vsmem_tEENKUlT_SE_SF_SG_E_clIS8_S8_S9_S9_EESD_ST_SE_SF_SG_EUlST_E0_NS1_11comp_targetILNS1_3genE8ELNS1_11target_archE1030ELNS1_3gpuE2ELNS1_3repE0EEENS1_38merge_mergepath_config_static_selectorELNS0_4arch9wavefront6targetE0EEEvSF_,comdat
	.protected	_ZN7rocprim17ROCPRIM_400000_NS6detail17trampoline_kernelINS0_14default_configENS1_38merge_sort_block_merge_config_selectorIsNS0_10empty_typeEEEZZNS1_27merge_sort_block_merge_implIS3_PsPS5_jNS1_19radix_merge_compareILb1ELb0EsNS0_19identity_decomposerEEEEE10hipError_tT0_T1_T2_jT3_P12ihipStream_tbPNSt15iterator_traitsISE_E10value_typeEPNSK_ISF_E10value_typeEPSG_NS1_7vsmem_tEENKUlT_SE_SF_SG_E_clIS8_S8_S9_S9_EESD_ST_SE_SF_SG_EUlST_E0_NS1_11comp_targetILNS1_3genE8ELNS1_11target_archE1030ELNS1_3gpuE2ELNS1_3repE0EEENS1_38merge_mergepath_config_static_selectorELNS0_4arch9wavefront6targetE0EEEvSF_ ; -- Begin function _ZN7rocprim17ROCPRIM_400000_NS6detail17trampoline_kernelINS0_14default_configENS1_38merge_sort_block_merge_config_selectorIsNS0_10empty_typeEEEZZNS1_27merge_sort_block_merge_implIS3_PsPS5_jNS1_19radix_merge_compareILb1ELb0EsNS0_19identity_decomposerEEEEE10hipError_tT0_T1_T2_jT3_P12ihipStream_tbPNSt15iterator_traitsISE_E10value_typeEPNSK_ISF_E10value_typeEPSG_NS1_7vsmem_tEENKUlT_SE_SF_SG_E_clIS8_S8_S9_S9_EESD_ST_SE_SF_SG_EUlST_E0_NS1_11comp_targetILNS1_3genE8ELNS1_11target_archE1030ELNS1_3gpuE2ELNS1_3repE0EEENS1_38merge_mergepath_config_static_selectorELNS0_4arch9wavefront6targetE0EEEvSF_
	.globl	_ZN7rocprim17ROCPRIM_400000_NS6detail17trampoline_kernelINS0_14default_configENS1_38merge_sort_block_merge_config_selectorIsNS0_10empty_typeEEEZZNS1_27merge_sort_block_merge_implIS3_PsPS5_jNS1_19radix_merge_compareILb1ELb0EsNS0_19identity_decomposerEEEEE10hipError_tT0_T1_T2_jT3_P12ihipStream_tbPNSt15iterator_traitsISE_E10value_typeEPNSK_ISF_E10value_typeEPSG_NS1_7vsmem_tEENKUlT_SE_SF_SG_E_clIS8_S8_S9_S9_EESD_ST_SE_SF_SG_EUlST_E0_NS1_11comp_targetILNS1_3genE8ELNS1_11target_archE1030ELNS1_3gpuE2ELNS1_3repE0EEENS1_38merge_mergepath_config_static_selectorELNS0_4arch9wavefront6targetE0EEEvSF_
	.p2align	8
	.type	_ZN7rocprim17ROCPRIM_400000_NS6detail17trampoline_kernelINS0_14default_configENS1_38merge_sort_block_merge_config_selectorIsNS0_10empty_typeEEEZZNS1_27merge_sort_block_merge_implIS3_PsPS5_jNS1_19radix_merge_compareILb1ELb0EsNS0_19identity_decomposerEEEEE10hipError_tT0_T1_T2_jT3_P12ihipStream_tbPNSt15iterator_traitsISE_E10value_typeEPNSK_ISF_E10value_typeEPSG_NS1_7vsmem_tEENKUlT_SE_SF_SG_E_clIS8_S8_S9_S9_EESD_ST_SE_SF_SG_EUlST_E0_NS1_11comp_targetILNS1_3genE8ELNS1_11target_archE1030ELNS1_3gpuE2ELNS1_3repE0EEENS1_38merge_mergepath_config_static_selectorELNS0_4arch9wavefront6targetE0EEEvSF_,@function
_ZN7rocprim17ROCPRIM_400000_NS6detail17trampoline_kernelINS0_14default_configENS1_38merge_sort_block_merge_config_selectorIsNS0_10empty_typeEEEZZNS1_27merge_sort_block_merge_implIS3_PsPS5_jNS1_19radix_merge_compareILb1ELb0EsNS0_19identity_decomposerEEEEE10hipError_tT0_T1_T2_jT3_P12ihipStream_tbPNSt15iterator_traitsISE_E10value_typeEPNSK_ISF_E10value_typeEPSG_NS1_7vsmem_tEENKUlT_SE_SF_SG_E_clIS8_S8_S9_S9_EESD_ST_SE_SF_SG_EUlST_E0_NS1_11comp_targetILNS1_3genE8ELNS1_11target_archE1030ELNS1_3gpuE2ELNS1_3repE0EEENS1_38merge_mergepath_config_static_selectorELNS0_4arch9wavefront6targetE0EEEvSF_: ; @_ZN7rocprim17ROCPRIM_400000_NS6detail17trampoline_kernelINS0_14default_configENS1_38merge_sort_block_merge_config_selectorIsNS0_10empty_typeEEEZZNS1_27merge_sort_block_merge_implIS3_PsPS5_jNS1_19radix_merge_compareILb1ELb0EsNS0_19identity_decomposerEEEEE10hipError_tT0_T1_T2_jT3_P12ihipStream_tbPNSt15iterator_traitsISE_E10value_typeEPNSK_ISF_E10value_typeEPSG_NS1_7vsmem_tEENKUlT_SE_SF_SG_E_clIS8_S8_S9_S9_EESD_ST_SE_SF_SG_EUlST_E0_NS1_11comp_targetILNS1_3genE8ELNS1_11target_archE1030ELNS1_3gpuE2ELNS1_3repE0EEENS1_38merge_mergepath_config_static_selectorELNS0_4arch9wavefront6targetE0EEEvSF_
; %bb.0:
	.section	.rodata,"a",@progbits
	.p2align	6, 0x0
	.amdhsa_kernel _ZN7rocprim17ROCPRIM_400000_NS6detail17trampoline_kernelINS0_14default_configENS1_38merge_sort_block_merge_config_selectorIsNS0_10empty_typeEEEZZNS1_27merge_sort_block_merge_implIS3_PsPS5_jNS1_19radix_merge_compareILb1ELb0EsNS0_19identity_decomposerEEEEE10hipError_tT0_T1_T2_jT3_P12ihipStream_tbPNSt15iterator_traitsISE_E10value_typeEPNSK_ISF_E10value_typeEPSG_NS1_7vsmem_tEENKUlT_SE_SF_SG_E_clIS8_S8_S9_S9_EESD_ST_SE_SF_SG_EUlST_E0_NS1_11comp_targetILNS1_3genE8ELNS1_11target_archE1030ELNS1_3gpuE2ELNS1_3repE0EEENS1_38merge_mergepath_config_static_selectorELNS0_4arch9wavefront6targetE0EEEvSF_
		.amdhsa_group_segment_fixed_size 0
		.amdhsa_private_segment_fixed_size 0
		.amdhsa_kernarg_size 64
		.amdhsa_user_sgpr_count 2
		.amdhsa_user_sgpr_dispatch_ptr 0
		.amdhsa_user_sgpr_queue_ptr 0
		.amdhsa_user_sgpr_kernarg_segment_ptr 1
		.amdhsa_user_sgpr_dispatch_id 0
		.amdhsa_user_sgpr_kernarg_preload_length 0
		.amdhsa_user_sgpr_kernarg_preload_offset 0
		.amdhsa_user_sgpr_private_segment_size 0
		.amdhsa_wavefront_size32 1
		.amdhsa_uses_dynamic_stack 0
		.amdhsa_enable_private_segment 0
		.amdhsa_system_sgpr_workgroup_id_x 1
		.amdhsa_system_sgpr_workgroup_id_y 0
		.amdhsa_system_sgpr_workgroup_id_z 0
		.amdhsa_system_sgpr_workgroup_info 0
		.amdhsa_system_vgpr_workitem_id 0
		.amdhsa_next_free_vgpr 1
		.amdhsa_next_free_sgpr 1
		.amdhsa_named_barrier_count 0
		.amdhsa_reserve_vcc 0
		.amdhsa_float_round_mode_32 0
		.amdhsa_float_round_mode_16_64 0
		.amdhsa_float_denorm_mode_32 3
		.amdhsa_float_denorm_mode_16_64 3
		.amdhsa_fp16_overflow 0
		.amdhsa_memory_ordered 1
		.amdhsa_forward_progress 1
		.amdhsa_inst_pref_size 0
		.amdhsa_round_robin_scheduling 0
		.amdhsa_exception_fp_ieee_invalid_op 0
		.amdhsa_exception_fp_denorm_src 0
		.amdhsa_exception_fp_ieee_div_zero 0
		.amdhsa_exception_fp_ieee_overflow 0
		.amdhsa_exception_fp_ieee_underflow 0
		.amdhsa_exception_fp_ieee_inexact 0
		.amdhsa_exception_int_div_zero 0
	.end_amdhsa_kernel
	.section	.text._ZN7rocprim17ROCPRIM_400000_NS6detail17trampoline_kernelINS0_14default_configENS1_38merge_sort_block_merge_config_selectorIsNS0_10empty_typeEEEZZNS1_27merge_sort_block_merge_implIS3_PsPS5_jNS1_19radix_merge_compareILb1ELb0EsNS0_19identity_decomposerEEEEE10hipError_tT0_T1_T2_jT3_P12ihipStream_tbPNSt15iterator_traitsISE_E10value_typeEPNSK_ISF_E10value_typeEPSG_NS1_7vsmem_tEENKUlT_SE_SF_SG_E_clIS8_S8_S9_S9_EESD_ST_SE_SF_SG_EUlST_E0_NS1_11comp_targetILNS1_3genE8ELNS1_11target_archE1030ELNS1_3gpuE2ELNS1_3repE0EEENS1_38merge_mergepath_config_static_selectorELNS0_4arch9wavefront6targetE0EEEvSF_,"axG",@progbits,_ZN7rocprim17ROCPRIM_400000_NS6detail17trampoline_kernelINS0_14default_configENS1_38merge_sort_block_merge_config_selectorIsNS0_10empty_typeEEEZZNS1_27merge_sort_block_merge_implIS3_PsPS5_jNS1_19radix_merge_compareILb1ELb0EsNS0_19identity_decomposerEEEEE10hipError_tT0_T1_T2_jT3_P12ihipStream_tbPNSt15iterator_traitsISE_E10value_typeEPNSK_ISF_E10value_typeEPSG_NS1_7vsmem_tEENKUlT_SE_SF_SG_E_clIS8_S8_S9_S9_EESD_ST_SE_SF_SG_EUlST_E0_NS1_11comp_targetILNS1_3genE8ELNS1_11target_archE1030ELNS1_3gpuE2ELNS1_3repE0EEENS1_38merge_mergepath_config_static_selectorELNS0_4arch9wavefront6targetE0EEEvSF_,comdat
.Lfunc_end535:
	.size	_ZN7rocprim17ROCPRIM_400000_NS6detail17trampoline_kernelINS0_14default_configENS1_38merge_sort_block_merge_config_selectorIsNS0_10empty_typeEEEZZNS1_27merge_sort_block_merge_implIS3_PsPS5_jNS1_19radix_merge_compareILb1ELb0EsNS0_19identity_decomposerEEEEE10hipError_tT0_T1_T2_jT3_P12ihipStream_tbPNSt15iterator_traitsISE_E10value_typeEPNSK_ISF_E10value_typeEPSG_NS1_7vsmem_tEENKUlT_SE_SF_SG_E_clIS8_S8_S9_S9_EESD_ST_SE_SF_SG_EUlST_E0_NS1_11comp_targetILNS1_3genE8ELNS1_11target_archE1030ELNS1_3gpuE2ELNS1_3repE0EEENS1_38merge_mergepath_config_static_selectorELNS0_4arch9wavefront6targetE0EEEvSF_, .Lfunc_end535-_ZN7rocprim17ROCPRIM_400000_NS6detail17trampoline_kernelINS0_14default_configENS1_38merge_sort_block_merge_config_selectorIsNS0_10empty_typeEEEZZNS1_27merge_sort_block_merge_implIS3_PsPS5_jNS1_19radix_merge_compareILb1ELb0EsNS0_19identity_decomposerEEEEE10hipError_tT0_T1_T2_jT3_P12ihipStream_tbPNSt15iterator_traitsISE_E10value_typeEPNSK_ISF_E10value_typeEPSG_NS1_7vsmem_tEENKUlT_SE_SF_SG_E_clIS8_S8_S9_S9_EESD_ST_SE_SF_SG_EUlST_E0_NS1_11comp_targetILNS1_3genE8ELNS1_11target_archE1030ELNS1_3gpuE2ELNS1_3repE0EEENS1_38merge_mergepath_config_static_selectorELNS0_4arch9wavefront6targetE0EEEvSF_
                                        ; -- End function
	.set _ZN7rocprim17ROCPRIM_400000_NS6detail17trampoline_kernelINS0_14default_configENS1_38merge_sort_block_merge_config_selectorIsNS0_10empty_typeEEEZZNS1_27merge_sort_block_merge_implIS3_PsPS5_jNS1_19radix_merge_compareILb1ELb0EsNS0_19identity_decomposerEEEEE10hipError_tT0_T1_T2_jT3_P12ihipStream_tbPNSt15iterator_traitsISE_E10value_typeEPNSK_ISF_E10value_typeEPSG_NS1_7vsmem_tEENKUlT_SE_SF_SG_E_clIS8_S8_S9_S9_EESD_ST_SE_SF_SG_EUlST_E0_NS1_11comp_targetILNS1_3genE8ELNS1_11target_archE1030ELNS1_3gpuE2ELNS1_3repE0EEENS1_38merge_mergepath_config_static_selectorELNS0_4arch9wavefront6targetE0EEEvSF_.num_vgpr, 0
	.set _ZN7rocprim17ROCPRIM_400000_NS6detail17trampoline_kernelINS0_14default_configENS1_38merge_sort_block_merge_config_selectorIsNS0_10empty_typeEEEZZNS1_27merge_sort_block_merge_implIS3_PsPS5_jNS1_19radix_merge_compareILb1ELb0EsNS0_19identity_decomposerEEEEE10hipError_tT0_T1_T2_jT3_P12ihipStream_tbPNSt15iterator_traitsISE_E10value_typeEPNSK_ISF_E10value_typeEPSG_NS1_7vsmem_tEENKUlT_SE_SF_SG_E_clIS8_S8_S9_S9_EESD_ST_SE_SF_SG_EUlST_E0_NS1_11comp_targetILNS1_3genE8ELNS1_11target_archE1030ELNS1_3gpuE2ELNS1_3repE0EEENS1_38merge_mergepath_config_static_selectorELNS0_4arch9wavefront6targetE0EEEvSF_.num_agpr, 0
	.set _ZN7rocprim17ROCPRIM_400000_NS6detail17trampoline_kernelINS0_14default_configENS1_38merge_sort_block_merge_config_selectorIsNS0_10empty_typeEEEZZNS1_27merge_sort_block_merge_implIS3_PsPS5_jNS1_19radix_merge_compareILb1ELb0EsNS0_19identity_decomposerEEEEE10hipError_tT0_T1_T2_jT3_P12ihipStream_tbPNSt15iterator_traitsISE_E10value_typeEPNSK_ISF_E10value_typeEPSG_NS1_7vsmem_tEENKUlT_SE_SF_SG_E_clIS8_S8_S9_S9_EESD_ST_SE_SF_SG_EUlST_E0_NS1_11comp_targetILNS1_3genE8ELNS1_11target_archE1030ELNS1_3gpuE2ELNS1_3repE0EEENS1_38merge_mergepath_config_static_selectorELNS0_4arch9wavefront6targetE0EEEvSF_.numbered_sgpr, 0
	.set _ZN7rocprim17ROCPRIM_400000_NS6detail17trampoline_kernelINS0_14default_configENS1_38merge_sort_block_merge_config_selectorIsNS0_10empty_typeEEEZZNS1_27merge_sort_block_merge_implIS3_PsPS5_jNS1_19radix_merge_compareILb1ELb0EsNS0_19identity_decomposerEEEEE10hipError_tT0_T1_T2_jT3_P12ihipStream_tbPNSt15iterator_traitsISE_E10value_typeEPNSK_ISF_E10value_typeEPSG_NS1_7vsmem_tEENKUlT_SE_SF_SG_E_clIS8_S8_S9_S9_EESD_ST_SE_SF_SG_EUlST_E0_NS1_11comp_targetILNS1_3genE8ELNS1_11target_archE1030ELNS1_3gpuE2ELNS1_3repE0EEENS1_38merge_mergepath_config_static_selectorELNS0_4arch9wavefront6targetE0EEEvSF_.num_named_barrier, 0
	.set _ZN7rocprim17ROCPRIM_400000_NS6detail17trampoline_kernelINS0_14default_configENS1_38merge_sort_block_merge_config_selectorIsNS0_10empty_typeEEEZZNS1_27merge_sort_block_merge_implIS3_PsPS5_jNS1_19radix_merge_compareILb1ELb0EsNS0_19identity_decomposerEEEEE10hipError_tT0_T1_T2_jT3_P12ihipStream_tbPNSt15iterator_traitsISE_E10value_typeEPNSK_ISF_E10value_typeEPSG_NS1_7vsmem_tEENKUlT_SE_SF_SG_E_clIS8_S8_S9_S9_EESD_ST_SE_SF_SG_EUlST_E0_NS1_11comp_targetILNS1_3genE8ELNS1_11target_archE1030ELNS1_3gpuE2ELNS1_3repE0EEENS1_38merge_mergepath_config_static_selectorELNS0_4arch9wavefront6targetE0EEEvSF_.private_seg_size, 0
	.set _ZN7rocprim17ROCPRIM_400000_NS6detail17trampoline_kernelINS0_14default_configENS1_38merge_sort_block_merge_config_selectorIsNS0_10empty_typeEEEZZNS1_27merge_sort_block_merge_implIS3_PsPS5_jNS1_19radix_merge_compareILb1ELb0EsNS0_19identity_decomposerEEEEE10hipError_tT0_T1_T2_jT3_P12ihipStream_tbPNSt15iterator_traitsISE_E10value_typeEPNSK_ISF_E10value_typeEPSG_NS1_7vsmem_tEENKUlT_SE_SF_SG_E_clIS8_S8_S9_S9_EESD_ST_SE_SF_SG_EUlST_E0_NS1_11comp_targetILNS1_3genE8ELNS1_11target_archE1030ELNS1_3gpuE2ELNS1_3repE0EEENS1_38merge_mergepath_config_static_selectorELNS0_4arch9wavefront6targetE0EEEvSF_.uses_vcc, 0
	.set _ZN7rocprim17ROCPRIM_400000_NS6detail17trampoline_kernelINS0_14default_configENS1_38merge_sort_block_merge_config_selectorIsNS0_10empty_typeEEEZZNS1_27merge_sort_block_merge_implIS3_PsPS5_jNS1_19radix_merge_compareILb1ELb0EsNS0_19identity_decomposerEEEEE10hipError_tT0_T1_T2_jT3_P12ihipStream_tbPNSt15iterator_traitsISE_E10value_typeEPNSK_ISF_E10value_typeEPSG_NS1_7vsmem_tEENKUlT_SE_SF_SG_E_clIS8_S8_S9_S9_EESD_ST_SE_SF_SG_EUlST_E0_NS1_11comp_targetILNS1_3genE8ELNS1_11target_archE1030ELNS1_3gpuE2ELNS1_3repE0EEENS1_38merge_mergepath_config_static_selectorELNS0_4arch9wavefront6targetE0EEEvSF_.uses_flat_scratch, 0
	.set _ZN7rocprim17ROCPRIM_400000_NS6detail17trampoline_kernelINS0_14default_configENS1_38merge_sort_block_merge_config_selectorIsNS0_10empty_typeEEEZZNS1_27merge_sort_block_merge_implIS3_PsPS5_jNS1_19radix_merge_compareILb1ELb0EsNS0_19identity_decomposerEEEEE10hipError_tT0_T1_T2_jT3_P12ihipStream_tbPNSt15iterator_traitsISE_E10value_typeEPNSK_ISF_E10value_typeEPSG_NS1_7vsmem_tEENKUlT_SE_SF_SG_E_clIS8_S8_S9_S9_EESD_ST_SE_SF_SG_EUlST_E0_NS1_11comp_targetILNS1_3genE8ELNS1_11target_archE1030ELNS1_3gpuE2ELNS1_3repE0EEENS1_38merge_mergepath_config_static_selectorELNS0_4arch9wavefront6targetE0EEEvSF_.has_dyn_sized_stack, 0
	.set _ZN7rocprim17ROCPRIM_400000_NS6detail17trampoline_kernelINS0_14default_configENS1_38merge_sort_block_merge_config_selectorIsNS0_10empty_typeEEEZZNS1_27merge_sort_block_merge_implIS3_PsPS5_jNS1_19radix_merge_compareILb1ELb0EsNS0_19identity_decomposerEEEEE10hipError_tT0_T1_T2_jT3_P12ihipStream_tbPNSt15iterator_traitsISE_E10value_typeEPNSK_ISF_E10value_typeEPSG_NS1_7vsmem_tEENKUlT_SE_SF_SG_E_clIS8_S8_S9_S9_EESD_ST_SE_SF_SG_EUlST_E0_NS1_11comp_targetILNS1_3genE8ELNS1_11target_archE1030ELNS1_3gpuE2ELNS1_3repE0EEENS1_38merge_mergepath_config_static_selectorELNS0_4arch9wavefront6targetE0EEEvSF_.has_recursion, 0
	.set _ZN7rocprim17ROCPRIM_400000_NS6detail17trampoline_kernelINS0_14default_configENS1_38merge_sort_block_merge_config_selectorIsNS0_10empty_typeEEEZZNS1_27merge_sort_block_merge_implIS3_PsPS5_jNS1_19radix_merge_compareILb1ELb0EsNS0_19identity_decomposerEEEEE10hipError_tT0_T1_T2_jT3_P12ihipStream_tbPNSt15iterator_traitsISE_E10value_typeEPNSK_ISF_E10value_typeEPSG_NS1_7vsmem_tEENKUlT_SE_SF_SG_E_clIS8_S8_S9_S9_EESD_ST_SE_SF_SG_EUlST_E0_NS1_11comp_targetILNS1_3genE8ELNS1_11target_archE1030ELNS1_3gpuE2ELNS1_3repE0EEENS1_38merge_mergepath_config_static_selectorELNS0_4arch9wavefront6targetE0EEEvSF_.has_indirect_call, 0
	.section	.AMDGPU.csdata,"",@progbits
; Kernel info:
; codeLenInByte = 0
; TotalNumSgprs: 0
; NumVgprs: 0
; ScratchSize: 0
; MemoryBound: 0
; FloatMode: 240
; IeeeMode: 1
; LDSByteSize: 0 bytes/workgroup (compile time only)
; SGPRBlocks: 0
; VGPRBlocks: 0
; NumSGPRsForWavesPerEU: 1
; NumVGPRsForWavesPerEU: 1
; NamedBarCnt: 0
; Occupancy: 16
; WaveLimiterHint : 0
; COMPUTE_PGM_RSRC2:SCRATCH_EN: 0
; COMPUTE_PGM_RSRC2:USER_SGPR: 2
; COMPUTE_PGM_RSRC2:TRAP_HANDLER: 0
; COMPUTE_PGM_RSRC2:TGID_X_EN: 1
; COMPUTE_PGM_RSRC2:TGID_Y_EN: 0
; COMPUTE_PGM_RSRC2:TGID_Z_EN: 0
; COMPUTE_PGM_RSRC2:TIDIG_COMP_CNT: 0
	.section	.text._ZN7rocprim17ROCPRIM_400000_NS6detail17trampoline_kernelINS0_14default_configENS1_38merge_sort_block_merge_config_selectorIsNS0_10empty_typeEEEZZNS1_27merge_sort_block_merge_implIS3_PsPS5_jNS1_19radix_merge_compareILb1ELb0EsNS0_19identity_decomposerEEEEE10hipError_tT0_T1_T2_jT3_P12ihipStream_tbPNSt15iterator_traitsISE_E10value_typeEPNSK_ISF_E10value_typeEPSG_NS1_7vsmem_tEENKUlT_SE_SF_SG_E_clIS8_S8_S9_S9_EESD_ST_SE_SF_SG_EUlST_E1_NS1_11comp_targetILNS1_3genE0ELNS1_11target_archE4294967295ELNS1_3gpuE0ELNS1_3repE0EEENS1_36merge_oddeven_config_static_selectorELNS0_4arch9wavefront6targetE0EEEvSF_,"axG",@progbits,_ZN7rocprim17ROCPRIM_400000_NS6detail17trampoline_kernelINS0_14default_configENS1_38merge_sort_block_merge_config_selectorIsNS0_10empty_typeEEEZZNS1_27merge_sort_block_merge_implIS3_PsPS5_jNS1_19radix_merge_compareILb1ELb0EsNS0_19identity_decomposerEEEEE10hipError_tT0_T1_T2_jT3_P12ihipStream_tbPNSt15iterator_traitsISE_E10value_typeEPNSK_ISF_E10value_typeEPSG_NS1_7vsmem_tEENKUlT_SE_SF_SG_E_clIS8_S8_S9_S9_EESD_ST_SE_SF_SG_EUlST_E1_NS1_11comp_targetILNS1_3genE0ELNS1_11target_archE4294967295ELNS1_3gpuE0ELNS1_3repE0EEENS1_36merge_oddeven_config_static_selectorELNS0_4arch9wavefront6targetE0EEEvSF_,comdat
	.protected	_ZN7rocprim17ROCPRIM_400000_NS6detail17trampoline_kernelINS0_14default_configENS1_38merge_sort_block_merge_config_selectorIsNS0_10empty_typeEEEZZNS1_27merge_sort_block_merge_implIS3_PsPS5_jNS1_19radix_merge_compareILb1ELb0EsNS0_19identity_decomposerEEEEE10hipError_tT0_T1_T2_jT3_P12ihipStream_tbPNSt15iterator_traitsISE_E10value_typeEPNSK_ISF_E10value_typeEPSG_NS1_7vsmem_tEENKUlT_SE_SF_SG_E_clIS8_S8_S9_S9_EESD_ST_SE_SF_SG_EUlST_E1_NS1_11comp_targetILNS1_3genE0ELNS1_11target_archE4294967295ELNS1_3gpuE0ELNS1_3repE0EEENS1_36merge_oddeven_config_static_selectorELNS0_4arch9wavefront6targetE0EEEvSF_ ; -- Begin function _ZN7rocprim17ROCPRIM_400000_NS6detail17trampoline_kernelINS0_14default_configENS1_38merge_sort_block_merge_config_selectorIsNS0_10empty_typeEEEZZNS1_27merge_sort_block_merge_implIS3_PsPS5_jNS1_19radix_merge_compareILb1ELb0EsNS0_19identity_decomposerEEEEE10hipError_tT0_T1_T2_jT3_P12ihipStream_tbPNSt15iterator_traitsISE_E10value_typeEPNSK_ISF_E10value_typeEPSG_NS1_7vsmem_tEENKUlT_SE_SF_SG_E_clIS8_S8_S9_S9_EESD_ST_SE_SF_SG_EUlST_E1_NS1_11comp_targetILNS1_3genE0ELNS1_11target_archE4294967295ELNS1_3gpuE0ELNS1_3repE0EEENS1_36merge_oddeven_config_static_selectorELNS0_4arch9wavefront6targetE0EEEvSF_
	.globl	_ZN7rocprim17ROCPRIM_400000_NS6detail17trampoline_kernelINS0_14default_configENS1_38merge_sort_block_merge_config_selectorIsNS0_10empty_typeEEEZZNS1_27merge_sort_block_merge_implIS3_PsPS5_jNS1_19radix_merge_compareILb1ELb0EsNS0_19identity_decomposerEEEEE10hipError_tT0_T1_T2_jT3_P12ihipStream_tbPNSt15iterator_traitsISE_E10value_typeEPNSK_ISF_E10value_typeEPSG_NS1_7vsmem_tEENKUlT_SE_SF_SG_E_clIS8_S8_S9_S9_EESD_ST_SE_SF_SG_EUlST_E1_NS1_11comp_targetILNS1_3genE0ELNS1_11target_archE4294967295ELNS1_3gpuE0ELNS1_3repE0EEENS1_36merge_oddeven_config_static_selectorELNS0_4arch9wavefront6targetE0EEEvSF_
	.p2align	8
	.type	_ZN7rocprim17ROCPRIM_400000_NS6detail17trampoline_kernelINS0_14default_configENS1_38merge_sort_block_merge_config_selectorIsNS0_10empty_typeEEEZZNS1_27merge_sort_block_merge_implIS3_PsPS5_jNS1_19radix_merge_compareILb1ELb0EsNS0_19identity_decomposerEEEEE10hipError_tT0_T1_T2_jT3_P12ihipStream_tbPNSt15iterator_traitsISE_E10value_typeEPNSK_ISF_E10value_typeEPSG_NS1_7vsmem_tEENKUlT_SE_SF_SG_E_clIS8_S8_S9_S9_EESD_ST_SE_SF_SG_EUlST_E1_NS1_11comp_targetILNS1_3genE0ELNS1_11target_archE4294967295ELNS1_3gpuE0ELNS1_3repE0EEENS1_36merge_oddeven_config_static_selectorELNS0_4arch9wavefront6targetE0EEEvSF_,@function
_ZN7rocprim17ROCPRIM_400000_NS6detail17trampoline_kernelINS0_14default_configENS1_38merge_sort_block_merge_config_selectorIsNS0_10empty_typeEEEZZNS1_27merge_sort_block_merge_implIS3_PsPS5_jNS1_19radix_merge_compareILb1ELb0EsNS0_19identity_decomposerEEEEE10hipError_tT0_T1_T2_jT3_P12ihipStream_tbPNSt15iterator_traitsISE_E10value_typeEPNSK_ISF_E10value_typeEPSG_NS1_7vsmem_tEENKUlT_SE_SF_SG_E_clIS8_S8_S9_S9_EESD_ST_SE_SF_SG_EUlST_E1_NS1_11comp_targetILNS1_3genE0ELNS1_11target_archE4294967295ELNS1_3gpuE0ELNS1_3repE0EEENS1_36merge_oddeven_config_static_selectorELNS0_4arch9wavefront6targetE0EEEvSF_: ; @_ZN7rocprim17ROCPRIM_400000_NS6detail17trampoline_kernelINS0_14default_configENS1_38merge_sort_block_merge_config_selectorIsNS0_10empty_typeEEEZZNS1_27merge_sort_block_merge_implIS3_PsPS5_jNS1_19radix_merge_compareILb1ELb0EsNS0_19identity_decomposerEEEEE10hipError_tT0_T1_T2_jT3_P12ihipStream_tbPNSt15iterator_traitsISE_E10value_typeEPNSK_ISF_E10value_typeEPSG_NS1_7vsmem_tEENKUlT_SE_SF_SG_E_clIS8_S8_S9_S9_EESD_ST_SE_SF_SG_EUlST_E1_NS1_11comp_targetILNS1_3genE0ELNS1_11target_archE4294967295ELNS1_3gpuE0ELNS1_3repE0EEENS1_36merge_oddeven_config_static_selectorELNS0_4arch9wavefront6targetE0EEEvSF_
; %bb.0:
	s_load_b32 s10, s[0:1], 0x20
	s_bfe_u32 s2, ttmp6, 0x4000c
	s_and_b32 s3, ttmp6, 15
	s_add_co_i32 s2, s2, 1
	s_getreg_b32 s4, hwreg(HW_REG_IB_STS2, 6, 4)
	s_mul_i32 s2, ttmp9, s2
	s_mov_b32 s9, 0
	s_add_co_i32 s3, s3, s2
	s_cmp_eq_u32 s4, 0
	s_cselect_b32 s13, ttmp9, s3
	s_wait_kmcnt 0x0
	s_lshr_b32 s2, s10, 8
	s_delay_alu instid0(SALU_CYCLE_1) | instskip(SKIP_4) | instid1(SALU_CYCLE_1)
	s_cmp_lg_u32 s13, s2
	s_cselect_b32 s3, -1, 0
	s_cmp_eq_u32 s13, s2
	s_cselect_b32 s11, -1, 0
	s_lshl_b32 s8, s13, 8
	s_sub_co_i32 s2, s10, s8
	s_delay_alu instid0(SALU_CYCLE_1) | instskip(SKIP_1) | instid1(SALU_CYCLE_1)
	v_cmp_gt_u32_e64 s2, s2, v0
	s_or_b32 s4, s3, s2
	s_and_saveexec_b32 s5, s4
	s_cbranch_execz .LBB536_20
; %bb.1:
	s_clause 0x1
	s_load_b128 s[4:7], s[0:1], 0x0
	s_load_b32 s12, s[0:1], 0x24
	s_lshl_b64 s[14:15], s[8:9], 1
	v_add_nc_u32_e32 v2, s8, v0
	s_wait_kmcnt 0x0
	s_add_nc_u64 s[0:1], s[4:5], s[14:15]
	global_load_u16 v1, v0, s[0:1] scale_offset
	s_wait_xcnt 0x0
	s_lshr_b32 s0, s12, 8
	s_delay_alu instid0(SALU_CYCLE_1) | instskip(NEXT) | instid1(SALU_CYCLE_1)
	s_sub_co_i32 s1, 0, s0
	s_and_b32 s1, s13, s1
	s_delay_alu instid0(SALU_CYCLE_1) | instskip(SKIP_4) | instid1(SALU_CYCLE_1)
	s_and_b32 s0, s1, s0
	s_lshl_b32 s13, s1, 8
	s_sub_co_i32 s1, 0, s12
	s_cmp_eq_u32 s0, 0
	s_cselect_b32 s0, -1, 0
	s_and_b32 s14, s0, exec_lo
	s_cselect_b32 s1, s12, s1
	s_delay_alu instid0(SALU_CYCLE_1) | instskip(NEXT) | instid1(SALU_CYCLE_1)
	s_add_co_i32 s1, s1, s13
	s_cmp_gt_u32 s10, s1
	s_cbranch_scc1 .LBB536_3
; %bb.2:
	v_cmp_gt_u32_e32 vcc_lo, s10, v2
	s_or_b32 s8, vcc_lo, s3
	s_delay_alu instid0(SALU_CYCLE_1)
	s_and_b32 s9, s8, exec_lo
	s_cbranch_execz .LBB536_4
	s_branch .LBB536_18
.LBB536_3:
.LBB536_4:
	s_min_u32 s3, s1, s10
	s_and_b32 vcc_lo, exec_lo, s11
	s_add_co_i32 s8, s13, s3
	s_add_co_i32 s12, s3, s12
	v_subrev_nc_u32_e32 v0, s8, v2
	s_min_u32 s8, s13, s3
	s_delay_alu instid0(VALU_DEP_1) | instid1(SALU_CYCLE_1)
	v_add_nc_u32_e32 v0, s8, v0
	s_min_u32 s8, s12, s10
	s_cbranch_vccz .LBB536_12
; %bb.5:
                                        ; implicit-def: $vgpr2
	s_and_saveexec_b32 s10, s2
	s_cbranch_execz .LBB536_11
; %bb.6:
	v_mov_b32_e32 v2, s3
	s_cmp_ge_u32 s1, s8
	s_cbranch_scc1 .LBB536_10
; %bb.7:
	v_dual_mov_b32 v3, s8 :: v_dual_mov_b32 v2, s3
	s_mov_b32 s2, 0
.LBB536_8:                              ; =>This Inner Loop Header: Depth=1
	s_delay_alu instid0(VALU_DEP_1) | instskip(NEXT) | instid1(VALU_DEP_1)
	v_add_nc_u32_e32 v4, v2, v3
	v_and_b32_e32 v5, -2, v4
	global_load_u16 v5, v5, s[4:5]
	s_wait_loadcnt 0x0
	v_cmp_gt_i16_e32 vcc_lo, v5, v1
	v_cndmask_b32_e64 v6, 0, 1, vcc_lo
	v_cmp_le_i16_e32 vcc_lo, v1, v5
	v_cndmask_b32_e64 v5, 0, 1, vcc_lo
	s_delay_alu instid0(VALU_DEP_1) | instskip(NEXT) | instid1(VALU_DEP_1)
	v_dual_cndmask_b32 v5, v5, v6, s0 :: v_dual_lshrrev_b32 v4, 1, v4
	v_dual_add_nc_u32 v6, 1, v4 :: v_dual_bitop2_b32 v5, 1, v5 bitop3:0x40
	s_delay_alu instid0(VALU_DEP_1) | instskip(NEXT) | instid1(VALU_DEP_2)
	v_cmp_eq_u32_e32 vcc_lo, 1, v5
	v_dual_cndmask_b32 v3, v4, v3 :: v_dual_cndmask_b32 v2, v2, v6
	s_delay_alu instid0(VALU_DEP_1) | instskip(SKIP_1) | instid1(SALU_CYCLE_1)
	v_cmp_ge_u32_e32 vcc_lo, v2, v3
	s_or_b32 s2, vcc_lo, s2
	s_and_not1_b32 exec_lo, exec_lo, s2
	s_cbranch_execnz .LBB536_8
; %bb.9:
	s_or_b32 exec_lo, exec_lo, s2
.LBB536_10:
	s_delay_alu instid0(VALU_DEP_1)
	v_add_nc_u32_e32 v2, v2, v0
	s_or_b32 s9, s9, exec_lo
.LBB536_11:
	s_or_b32 exec_lo, exec_lo, s10
	s_branch .LBB536_18
.LBB536_12:
                                        ; implicit-def: $vgpr2
	s_cbranch_execz .LBB536_18
; %bb.13:
	v_mov_b32_e32 v2, s3
	s_cmp_ge_u32 s1, s8
	s_cbranch_scc1 .LBB536_17
; %bb.14:
	v_dual_mov_b32 v3, s8 :: v_dual_mov_b32 v2, s3
	s_mov_b32 s1, 0
.LBB536_15:                             ; =>This Inner Loop Header: Depth=1
	s_delay_alu instid0(VALU_DEP_1) | instskip(NEXT) | instid1(VALU_DEP_1)
	v_add_nc_u32_e32 v4, v2, v3
	v_and_b32_e32 v5, -2, v4
	global_load_u16 v5, v5, s[4:5]
	s_wait_loadcnt 0x0
	v_cmp_gt_i16_e32 vcc_lo, v5, v1
	v_cndmask_b32_e64 v6, 0, 1, vcc_lo
	v_cmp_le_i16_e32 vcc_lo, v1, v5
	v_cndmask_b32_e64 v5, 0, 1, vcc_lo
	s_delay_alu instid0(VALU_DEP_1) | instskip(NEXT) | instid1(VALU_DEP_1)
	v_dual_cndmask_b32 v5, v5, v6, s0 :: v_dual_lshrrev_b32 v4, 1, v4
	v_dual_add_nc_u32 v6, 1, v4 :: v_dual_bitop2_b32 v5, 1, v5 bitop3:0x40
	s_delay_alu instid0(VALU_DEP_1) | instskip(NEXT) | instid1(VALU_DEP_2)
	v_cmp_eq_u32_e32 vcc_lo, 1, v5
	v_dual_cndmask_b32 v3, v4, v3 :: v_dual_cndmask_b32 v2, v2, v6
	s_delay_alu instid0(VALU_DEP_1) | instskip(SKIP_1) | instid1(SALU_CYCLE_1)
	v_cmp_ge_u32_e32 vcc_lo, v2, v3
	s_or_b32 s1, vcc_lo, s1
	s_and_not1_b32 exec_lo, exec_lo, s1
	s_cbranch_execnz .LBB536_15
; %bb.16:
	s_or_b32 exec_lo, exec_lo, s1
.LBB536_17:
	s_delay_alu instid0(VALU_DEP_1)
	v_add_nc_u32_e32 v2, v2, v0
	s_mov_b32 s9, -1
.LBB536_18:
	s_delay_alu instid0(SALU_CYCLE_1)
	s_and_b32 exec_lo, exec_lo, s9
	s_cbranch_execz .LBB536_20
; %bb.19:
	s_wait_loadcnt 0x0
	global_store_b16 v2, v1, s[6:7] scale_offset
.LBB536_20:
	s_endpgm
	.section	.rodata,"a",@progbits
	.p2align	6, 0x0
	.amdhsa_kernel _ZN7rocprim17ROCPRIM_400000_NS6detail17trampoline_kernelINS0_14default_configENS1_38merge_sort_block_merge_config_selectorIsNS0_10empty_typeEEEZZNS1_27merge_sort_block_merge_implIS3_PsPS5_jNS1_19radix_merge_compareILb1ELb0EsNS0_19identity_decomposerEEEEE10hipError_tT0_T1_T2_jT3_P12ihipStream_tbPNSt15iterator_traitsISE_E10value_typeEPNSK_ISF_E10value_typeEPSG_NS1_7vsmem_tEENKUlT_SE_SF_SG_E_clIS8_S8_S9_S9_EESD_ST_SE_SF_SG_EUlST_E1_NS1_11comp_targetILNS1_3genE0ELNS1_11target_archE4294967295ELNS1_3gpuE0ELNS1_3repE0EEENS1_36merge_oddeven_config_static_selectorELNS0_4arch9wavefront6targetE0EEEvSF_
		.amdhsa_group_segment_fixed_size 0
		.amdhsa_private_segment_fixed_size 0
		.amdhsa_kernarg_size 48
		.amdhsa_user_sgpr_count 2
		.amdhsa_user_sgpr_dispatch_ptr 0
		.amdhsa_user_sgpr_queue_ptr 0
		.amdhsa_user_sgpr_kernarg_segment_ptr 1
		.amdhsa_user_sgpr_dispatch_id 0
		.amdhsa_user_sgpr_kernarg_preload_length 0
		.amdhsa_user_sgpr_kernarg_preload_offset 0
		.amdhsa_user_sgpr_private_segment_size 0
		.amdhsa_wavefront_size32 1
		.amdhsa_uses_dynamic_stack 0
		.amdhsa_enable_private_segment 0
		.amdhsa_system_sgpr_workgroup_id_x 1
		.amdhsa_system_sgpr_workgroup_id_y 0
		.amdhsa_system_sgpr_workgroup_id_z 0
		.amdhsa_system_sgpr_workgroup_info 0
		.amdhsa_system_vgpr_workitem_id 0
		.amdhsa_next_free_vgpr 7
		.amdhsa_next_free_sgpr 16
		.amdhsa_named_barrier_count 0
		.amdhsa_reserve_vcc 1
		.amdhsa_float_round_mode_32 0
		.amdhsa_float_round_mode_16_64 0
		.amdhsa_float_denorm_mode_32 3
		.amdhsa_float_denorm_mode_16_64 3
		.amdhsa_fp16_overflow 0
		.amdhsa_memory_ordered 1
		.amdhsa_forward_progress 1
		.amdhsa_inst_pref_size 6
		.amdhsa_round_robin_scheduling 0
		.amdhsa_exception_fp_ieee_invalid_op 0
		.amdhsa_exception_fp_denorm_src 0
		.amdhsa_exception_fp_ieee_div_zero 0
		.amdhsa_exception_fp_ieee_overflow 0
		.amdhsa_exception_fp_ieee_underflow 0
		.amdhsa_exception_fp_ieee_inexact 0
		.amdhsa_exception_int_div_zero 0
	.end_amdhsa_kernel
	.section	.text._ZN7rocprim17ROCPRIM_400000_NS6detail17trampoline_kernelINS0_14default_configENS1_38merge_sort_block_merge_config_selectorIsNS0_10empty_typeEEEZZNS1_27merge_sort_block_merge_implIS3_PsPS5_jNS1_19radix_merge_compareILb1ELb0EsNS0_19identity_decomposerEEEEE10hipError_tT0_T1_T2_jT3_P12ihipStream_tbPNSt15iterator_traitsISE_E10value_typeEPNSK_ISF_E10value_typeEPSG_NS1_7vsmem_tEENKUlT_SE_SF_SG_E_clIS8_S8_S9_S9_EESD_ST_SE_SF_SG_EUlST_E1_NS1_11comp_targetILNS1_3genE0ELNS1_11target_archE4294967295ELNS1_3gpuE0ELNS1_3repE0EEENS1_36merge_oddeven_config_static_selectorELNS0_4arch9wavefront6targetE0EEEvSF_,"axG",@progbits,_ZN7rocprim17ROCPRIM_400000_NS6detail17trampoline_kernelINS0_14default_configENS1_38merge_sort_block_merge_config_selectorIsNS0_10empty_typeEEEZZNS1_27merge_sort_block_merge_implIS3_PsPS5_jNS1_19radix_merge_compareILb1ELb0EsNS0_19identity_decomposerEEEEE10hipError_tT0_T1_T2_jT3_P12ihipStream_tbPNSt15iterator_traitsISE_E10value_typeEPNSK_ISF_E10value_typeEPSG_NS1_7vsmem_tEENKUlT_SE_SF_SG_E_clIS8_S8_S9_S9_EESD_ST_SE_SF_SG_EUlST_E1_NS1_11comp_targetILNS1_3genE0ELNS1_11target_archE4294967295ELNS1_3gpuE0ELNS1_3repE0EEENS1_36merge_oddeven_config_static_selectorELNS0_4arch9wavefront6targetE0EEEvSF_,comdat
.Lfunc_end536:
	.size	_ZN7rocprim17ROCPRIM_400000_NS6detail17trampoline_kernelINS0_14default_configENS1_38merge_sort_block_merge_config_selectorIsNS0_10empty_typeEEEZZNS1_27merge_sort_block_merge_implIS3_PsPS5_jNS1_19radix_merge_compareILb1ELb0EsNS0_19identity_decomposerEEEEE10hipError_tT0_T1_T2_jT3_P12ihipStream_tbPNSt15iterator_traitsISE_E10value_typeEPNSK_ISF_E10value_typeEPSG_NS1_7vsmem_tEENKUlT_SE_SF_SG_E_clIS8_S8_S9_S9_EESD_ST_SE_SF_SG_EUlST_E1_NS1_11comp_targetILNS1_3genE0ELNS1_11target_archE4294967295ELNS1_3gpuE0ELNS1_3repE0EEENS1_36merge_oddeven_config_static_selectorELNS0_4arch9wavefront6targetE0EEEvSF_, .Lfunc_end536-_ZN7rocprim17ROCPRIM_400000_NS6detail17trampoline_kernelINS0_14default_configENS1_38merge_sort_block_merge_config_selectorIsNS0_10empty_typeEEEZZNS1_27merge_sort_block_merge_implIS3_PsPS5_jNS1_19radix_merge_compareILb1ELb0EsNS0_19identity_decomposerEEEEE10hipError_tT0_T1_T2_jT3_P12ihipStream_tbPNSt15iterator_traitsISE_E10value_typeEPNSK_ISF_E10value_typeEPSG_NS1_7vsmem_tEENKUlT_SE_SF_SG_E_clIS8_S8_S9_S9_EESD_ST_SE_SF_SG_EUlST_E1_NS1_11comp_targetILNS1_3genE0ELNS1_11target_archE4294967295ELNS1_3gpuE0ELNS1_3repE0EEENS1_36merge_oddeven_config_static_selectorELNS0_4arch9wavefront6targetE0EEEvSF_
                                        ; -- End function
	.set _ZN7rocprim17ROCPRIM_400000_NS6detail17trampoline_kernelINS0_14default_configENS1_38merge_sort_block_merge_config_selectorIsNS0_10empty_typeEEEZZNS1_27merge_sort_block_merge_implIS3_PsPS5_jNS1_19radix_merge_compareILb1ELb0EsNS0_19identity_decomposerEEEEE10hipError_tT0_T1_T2_jT3_P12ihipStream_tbPNSt15iterator_traitsISE_E10value_typeEPNSK_ISF_E10value_typeEPSG_NS1_7vsmem_tEENKUlT_SE_SF_SG_E_clIS8_S8_S9_S9_EESD_ST_SE_SF_SG_EUlST_E1_NS1_11comp_targetILNS1_3genE0ELNS1_11target_archE4294967295ELNS1_3gpuE0ELNS1_3repE0EEENS1_36merge_oddeven_config_static_selectorELNS0_4arch9wavefront6targetE0EEEvSF_.num_vgpr, 7
	.set _ZN7rocprim17ROCPRIM_400000_NS6detail17trampoline_kernelINS0_14default_configENS1_38merge_sort_block_merge_config_selectorIsNS0_10empty_typeEEEZZNS1_27merge_sort_block_merge_implIS3_PsPS5_jNS1_19radix_merge_compareILb1ELb0EsNS0_19identity_decomposerEEEEE10hipError_tT0_T1_T2_jT3_P12ihipStream_tbPNSt15iterator_traitsISE_E10value_typeEPNSK_ISF_E10value_typeEPSG_NS1_7vsmem_tEENKUlT_SE_SF_SG_E_clIS8_S8_S9_S9_EESD_ST_SE_SF_SG_EUlST_E1_NS1_11comp_targetILNS1_3genE0ELNS1_11target_archE4294967295ELNS1_3gpuE0ELNS1_3repE0EEENS1_36merge_oddeven_config_static_selectorELNS0_4arch9wavefront6targetE0EEEvSF_.num_agpr, 0
	.set _ZN7rocprim17ROCPRIM_400000_NS6detail17trampoline_kernelINS0_14default_configENS1_38merge_sort_block_merge_config_selectorIsNS0_10empty_typeEEEZZNS1_27merge_sort_block_merge_implIS3_PsPS5_jNS1_19radix_merge_compareILb1ELb0EsNS0_19identity_decomposerEEEEE10hipError_tT0_T1_T2_jT3_P12ihipStream_tbPNSt15iterator_traitsISE_E10value_typeEPNSK_ISF_E10value_typeEPSG_NS1_7vsmem_tEENKUlT_SE_SF_SG_E_clIS8_S8_S9_S9_EESD_ST_SE_SF_SG_EUlST_E1_NS1_11comp_targetILNS1_3genE0ELNS1_11target_archE4294967295ELNS1_3gpuE0ELNS1_3repE0EEENS1_36merge_oddeven_config_static_selectorELNS0_4arch9wavefront6targetE0EEEvSF_.numbered_sgpr, 16
	.set _ZN7rocprim17ROCPRIM_400000_NS6detail17trampoline_kernelINS0_14default_configENS1_38merge_sort_block_merge_config_selectorIsNS0_10empty_typeEEEZZNS1_27merge_sort_block_merge_implIS3_PsPS5_jNS1_19radix_merge_compareILb1ELb0EsNS0_19identity_decomposerEEEEE10hipError_tT0_T1_T2_jT3_P12ihipStream_tbPNSt15iterator_traitsISE_E10value_typeEPNSK_ISF_E10value_typeEPSG_NS1_7vsmem_tEENKUlT_SE_SF_SG_E_clIS8_S8_S9_S9_EESD_ST_SE_SF_SG_EUlST_E1_NS1_11comp_targetILNS1_3genE0ELNS1_11target_archE4294967295ELNS1_3gpuE0ELNS1_3repE0EEENS1_36merge_oddeven_config_static_selectorELNS0_4arch9wavefront6targetE0EEEvSF_.num_named_barrier, 0
	.set _ZN7rocprim17ROCPRIM_400000_NS6detail17trampoline_kernelINS0_14default_configENS1_38merge_sort_block_merge_config_selectorIsNS0_10empty_typeEEEZZNS1_27merge_sort_block_merge_implIS3_PsPS5_jNS1_19radix_merge_compareILb1ELb0EsNS0_19identity_decomposerEEEEE10hipError_tT0_T1_T2_jT3_P12ihipStream_tbPNSt15iterator_traitsISE_E10value_typeEPNSK_ISF_E10value_typeEPSG_NS1_7vsmem_tEENKUlT_SE_SF_SG_E_clIS8_S8_S9_S9_EESD_ST_SE_SF_SG_EUlST_E1_NS1_11comp_targetILNS1_3genE0ELNS1_11target_archE4294967295ELNS1_3gpuE0ELNS1_3repE0EEENS1_36merge_oddeven_config_static_selectorELNS0_4arch9wavefront6targetE0EEEvSF_.private_seg_size, 0
	.set _ZN7rocprim17ROCPRIM_400000_NS6detail17trampoline_kernelINS0_14default_configENS1_38merge_sort_block_merge_config_selectorIsNS0_10empty_typeEEEZZNS1_27merge_sort_block_merge_implIS3_PsPS5_jNS1_19radix_merge_compareILb1ELb0EsNS0_19identity_decomposerEEEEE10hipError_tT0_T1_T2_jT3_P12ihipStream_tbPNSt15iterator_traitsISE_E10value_typeEPNSK_ISF_E10value_typeEPSG_NS1_7vsmem_tEENKUlT_SE_SF_SG_E_clIS8_S8_S9_S9_EESD_ST_SE_SF_SG_EUlST_E1_NS1_11comp_targetILNS1_3genE0ELNS1_11target_archE4294967295ELNS1_3gpuE0ELNS1_3repE0EEENS1_36merge_oddeven_config_static_selectorELNS0_4arch9wavefront6targetE0EEEvSF_.uses_vcc, 1
	.set _ZN7rocprim17ROCPRIM_400000_NS6detail17trampoline_kernelINS0_14default_configENS1_38merge_sort_block_merge_config_selectorIsNS0_10empty_typeEEEZZNS1_27merge_sort_block_merge_implIS3_PsPS5_jNS1_19radix_merge_compareILb1ELb0EsNS0_19identity_decomposerEEEEE10hipError_tT0_T1_T2_jT3_P12ihipStream_tbPNSt15iterator_traitsISE_E10value_typeEPNSK_ISF_E10value_typeEPSG_NS1_7vsmem_tEENKUlT_SE_SF_SG_E_clIS8_S8_S9_S9_EESD_ST_SE_SF_SG_EUlST_E1_NS1_11comp_targetILNS1_3genE0ELNS1_11target_archE4294967295ELNS1_3gpuE0ELNS1_3repE0EEENS1_36merge_oddeven_config_static_selectorELNS0_4arch9wavefront6targetE0EEEvSF_.uses_flat_scratch, 0
	.set _ZN7rocprim17ROCPRIM_400000_NS6detail17trampoline_kernelINS0_14default_configENS1_38merge_sort_block_merge_config_selectorIsNS0_10empty_typeEEEZZNS1_27merge_sort_block_merge_implIS3_PsPS5_jNS1_19radix_merge_compareILb1ELb0EsNS0_19identity_decomposerEEEEE10hipError_tT0_T1_T2_jT3_P12ihipStream_tbPNSt15iterator_traitsISE_E10value_typeEPNSK_ISF_E10value_typeEPSG_NS1_7vsmem_tEENKUlT_SE_SF_SG_E_clIS8_S8_S9_S9_EESD_ST_SE_SF_SG_EUlST_E1_NS1_11comp_targetILNS1_3genE0ELNS1_11target_archE4294967295ELNS1_3gpuE0ELNS1_3repE0EEENS1_36merge_oddeven_config_static_selectorELNS0_4arch9wavefront6targetE0EEEvSF_.has_dyn_sized_stack, 0
	.set _ZN7rocprim17ROCPRIM_400000_NS6detail17trampoline_kernelINS0_14default_configENS1_38merge_sort_block_merge_config_selectorIsNS0_10empty_typeEEEZZNS1_27merge_sort_block_merge_implIS3_PsPS5_jNS1_19radix_merge_compareILb1ELb0EsNS0_19identity_decomposerEEEEE10hipError_tT0_T1_T2_jT3_P12ihipStream_tbPNSt15iterator_traitsISE_E10value_typeEPNSK_ISF_E10value_typeEPSG_NS1_7vsmem_tEENKUlT_SE_SF_SG_E_clIS8_S8_S9_S9_EESD_ST_SE_SF_SG_EUlST_E1_NS1_11comp_targetILNS1_3genE0ELNS1_11target_archE4294967295ELNS1_3gpuE0ELNS1_3repE0EEENS1_36merge_oddeven_config_static_selectorELNS0_4arch9wavefront6targetE0EEEvSF_.has_recursion, 0
	.set _ZN7rocprim17ROCPRIM_400000_NS6detail17trampoline_kernelINS0_14default_configENS1_38merge_sort_block_merge_config_selectorIsNS0_10empty_typeEEEZZNS1_27merge_sort_block_merge_implIS3_PsPS5_jNS1_19radix_merge_compareILb1ELb0EsNS0_19identity_decomposerEEEEE10hipError_tT0_T1_T2_jT3_P12ihipStream_tbPNSt15iterator_traitsISE_E10value_typeEPNSK_ISF_E10value_typeEPSG_NS1_7vsmem_tEENKUlT_SE_SF_SG_E_clIS8_S8_S9_S9_EESD_ST_SE_SF_SG_EUlST_E1_NS1_11comp_targetILNS1_3genE0ELNS1_11target_archE4294967295ELNS1_3gpuE0ELNS1_3repE0EEENS1_36merge_oddeven_config_static_selectorELNS0_4arch9wavefront6targetE0EEEvSF_.has_indirect_call, 0
	.section	.AMDGPU.csdata,"",@progbits
; Kernel info:
; codeLenInByte = 652
; TotalNumSgprs: 18
; NumVgprs: 7
; ScratchSize: 0
; MemoryBound: 0
; FloatMode: 240
; IeeeMode: 1
; LDSByteSize: 0 bytes/workgroup (compile time only)
; SGPRBlocks: 0
; VGPRBlocks: 0
; NumSGPRsForWavesPerEU: 18
; NumVGPRsForWavesPerEU: 7
; NamedBarCnt: 0
; Occupancy: 16
; WaveLimiterHint : 0
; COMPUTE_PGM_RSRC2:SCRATCH_EN: 0
; COMPUTE_PGM_RSRC2:USER_SGPR: 2
; COMPUTE_PGM_RSRC2:TRAP_HANDLER: 0
; COMPUTE_PGM_RSRC2:TGID_X_EN: 1
; COMPUTE_PGM_RSRC2:TGID_Y_EN: 0
; COMPUTE_PGM_RSRC2:TGID_Z_EN: 0
; COMPUTE_PGM_RSRC2:TIDIG_COMP_CNT: 0
	.section	.text._ZN7rocprim17ROCPRIM_400000_NS6detail17trampoline_kernelINS0_14default_configENS1_38merge_sort_block_merge_config_selectorIsNS0_10empty_typeEEEZZNS1_27merge_sort_block_merge_implIS3_PsPS5_jNS1_19radix_merge_compareILb1ELb0EsNS0_19identity_decomposerEEEEE10hipError_tT0_T1_T2_jT3_P12ihipStream_tbPNSt15iterator_traitsISE_E10value_typeEPNSK_ISF_E10value_typeEPSG_NS1_7vsmem_tEENKUlT_SE_SF_SG_E_clIS8_S8_S9_S9_EESD_ST_SE_SF_SG_EUlST_E1_NS1_11comp_targetILNS1_3genE10ELNS1_11target_archE1201ELNS1_3gpuE5ELNS1_3repE0EEENS1_36merge_oddeven_config_static_selectorELNS0_4arch9wavefront6targetE0EEEvSF_,"axG",@progbits,_ZN7rocprim17ROCPRIM_400000_NS6detail17trampoline_kernelINS0_14default_configENS1_38merge_sort_block_merge_config_selectorIsNS0_10empty_typeEEEZZNS1_27merge_sort_block_merge_implIS3_PsPS5_jNS1_19radix_merge_compareILb1ELb0EsNS0_19identity_decomposerEEEEE10hipError_tT0_T1_T2_jT3_P12ihipStream_tbPNSt15iterator_traitsISE_E10value_typeEPNSK_ISF_E10value_typeEPSG_NS1_7vsmem_tEENKUlT_SE_SF_SG_E_clIS8_S8_S9_S9_EESD_ST_SE_SF_SG_EUlST_E1_NS1_11comp_targetILNS1_3genE10ELNS1_11target_archE1201ELNS1_3gpuE5ELNS1_3repE0EEENS1_36merge_oddeven_config_static_selectorELNS0_4arch9wavefront6targetE0EEEvSF_,comdat
	.protected	_ZN7rocprim17ROCPRIM_400000_NS6detail17trampoline_kernelINS0_14default_configENS1_38merge_sort_block_merge_config_selectorIsNS0_10empty_typeEEEZZNS1_27merge_sort_block_merge_implIS3_PsPS5_jNS1_19radix_merge_compareILb1ELb0EsNS0_19identity_decomposerEEEEE10hipError_tT0_T1_T2_jT3_P12ihipStream_tbPNSt15iterator_traitsISE_E10value_typeEPNSK_ISF_E10value_typeEPSG_NS1_7vsmem_tEENKUlT_SE_SF_SG_E_clIS8_S8_S9_S9_EESD_ST_SE_SF_SG_EUlST_E1_NS1_11comp_targetILNS1_3genE10ELNS1_11target_archE1201ELNS1_3gpuE5ELNS1_3repE0EEENS1_36merge_oddeven_config_static_selectorELNS0_4arch9wavefront6targetE0EEEvSF_ ; -- Begin function _ZN7rocprim17ROCPRIM_400000_NS6detail17trampoline_kernelINS0_14default_configENS1_38merge_sort_block_merge_config_selectorIsNS0_10empty_typeEEEZZNS1_27merge_sort_block_merge_implIS3_PsPS5_jNS1_19radix_merge_compareILb1ELb0EsNS0_19identity_decomposerEEEEE10hipError_tT0_T1_T2_jT3_P12ihipStream_tbPNSt15iterator_traitsISE_E10value_typeEPNSK_ISF_E10value_typeEPSG_NS1_7vsmem_tEENKUlT_SE_SF_SG_E_clIS8_S8_S9_S9_EESD_ST_SE_SF_SG_EUlST_E1_NS1_11comp_targetILNS1_3genE10ELNS1_11target_archE1201ELNS1_3gpuE5ELNS1_3repE0EEENS1_36merge_oddeven_config_static_selectorELNS0_4arch9wavefront6targetE0EEEvSF_
	.globl	_ZN7rocprim17ROCPRIM_400000_NS6detail17trampoline_kernelINS0_14default_configENS1_38merge_sort_block_merge_config_selectorIsNS0_10empty_typeEEEZZNS1_27merge_sort_block_merge_implIS3_PsPS5_jNS1_19radix_merge_compareILb1ELb0EsNS0_19identity_decomposerEEEEE10hipError_tT0_T1_T2_jT3_P12ihipStream_tbPNSt15iterator_traitsISE_E10value_typeEPNSK_ISF_E10value_typeEPSG_NS1_7vsmem_tEENKUlT_SE_SF_SG_E_clIS8_S8_S9_S9_EESD_ST_SE_SF_SG_EUlST_E1_NS1_11comp_targetILNS1_3genE10ELNS1_11target_archE1201ELNS1_3gpuE5ELNS1_3repE0EEENS1_36merge_oddeven_config_static_selectorELNS0_4arch9wavefront6targetE0EEEvSF_
	.p2align	8
	.type	_ZN7rocprim17ROCPRIM_400000_NS6detail17trampoline_kernelINS0_14default_configENS1_38merge_sort_block_merge_config_selectorIsNS0_10empty_typeEEEZZNS1_27merge_sort_block_merge_implIS3_PsPS5_jNS1_19radix_merge_compareILb1ELb0EsNS0_19identity_decomposerEEEEE10hipError_tT0_T1_T2_jT3_P12ihipStream_tbPNSt15iterator_traitsISE_E10value_typeEPNSK_ISF_E10value_typeEPSG_NS1_7vsmem_tEENKUlT_SE_SF_SG_E_clIS8_S8_S9_S9_EESD_ST_SE_SF_SG_EUlST_E1_NS1_11comp_targetILNS1_3genE10ELNS1_11target_archE1201ELNS1_3gpuE5ELNS1_3repE0EEENS1_36merge_oddeven_config_static_selectorELNS0_4arch9wavefront6targetE0EEEvSF_,@function
_ZN7rocprim17ROCPRIM_400000_NS6detail17trampoline_kernelINS0_14default_configENS1_38merge_sort_block_merge_config_selectorIsNS0_10empty_typeEEEZZNS1_27merge_sort_block_merge_implIS3_PsPS5_jNS1_19radix_merge_compareILb1ELb0EsNS0_19identity_decomposerEEEEE10hipError_tT0_T1_T2_jT3_P12ihipStream_tbPNSt15iterator_traitsISE_E10value_typeEPNSK_ISF_E10value_typeEPSG_NS1_7vsmem_tEENKUlT_SE_SF_SG_E_clIS8_S8_S9_S9_EESD_ST_SE_SF_SG_EUlST_E1_NS1_11comp_targetILNS1_3genE10ELNS1_11target_archE1201ELNS1_3gpuE5ELNS1_3repE0EEENS1_36merge_oddeven_config_static_selectorELNS0_4arch9wavefront6targetE0EEEvSF_: ; @_ZN7rocprim17ROCPRIM_400000_NS6detail17trampoline_kernelINS0_14default_configENS1_38merge_sort_block_merge_config_selectorIsNS0_10empty_typeEEEZZNS1_27merge_sort_block_merge_implIS3_PsPS5_jNS1_19radix_merge_compareILb1ELb0EsNS0_19identity_decomposerEEEEE10hipError_tT0_T1_T2_jT3_P12ihipStream_tbPNSt15iterator_traitsISE_E10value_typeEPNSK_ISF_E10value_typeEPSG_NS1_7vsmem_tEENKUlT_SE_SF_SG_E_clIS8_S8_S9_S9_EESD_ST_SE_SF_SG_EUlST_E1_NS1_11comp_targetILNS1_3genE10ELNS1_11target_archE1201ELNS1_3gpuE5ELNS1_3repE0EEENS1_36merge_oddeven_config_static_selectorELNS0_4arch9wavefront6targetE0EEEvSF_
; %bb.0:
	.section	.rodata,"a",@progbits
	.p2align	6, 0x0
	.amdhsa_kernel _ZN7rocprim17ROCPRIM_400000_NS6detail17trampoline_kernelINS0_14default_configENS1_38merge_sort_block_merge_config_selectorIsNS0_10empty_typeEEEZZNS1_27merge_sort_block_merge_implIS3_PsPS5_jNS1_19radix_merge_compareILb1ELb0EsNS0_19identity_decomposerEEEEE10hipError_tT0_T1_T2_jT3_P12ihipStream_tbPNSt15iterator_traitsISE_E10value_typeEPNSK_ISF_E10value_typeEPSG_NS1_7vsmem_tEENKUlT_SE_SF_SG_E_clIS8_S8_S9_S9_EESD_ST_SE_SF_SG_EUlST_E1_NS1_11comp_targetILNS1_3genE10ELNS1_11target_archE1201ELNS1_3gpuE5ELNS1_3repE0EEENS1_36merge_oddeven_config_static_selectorELNS0_4arch9wavefront6targetE0EEEvSF_
		.amdhsa_group_segment_fixed_size 0
		.amdhsa_private_segment_fixed_size 0
		.amdhsa_kernarg_size 48
		.amdhsa_user_sgpr_count 2
		.amdhsa_user_sgpr_dispatch_ptr 0
		.amdhsa_user_sgpr_queue_ptr 0
		.amdhsa_user_sgpr_kernarg_segment_ptr 1
		.amdhsa_user_sgpr_dispatch_id 0
		.amdhsa_user_sgpr_kernarg_preload_length 0
		.amdhsa_user_sgpr_kernarg_preload_offset 0
		.amdhsa_user_sgpr_private_segment_size 0
		.amdhsa_wavefront_size32 1
		.amdhsa_uses_dynamic_stack 0
		.amdhsa_enable_private_segment 0
		.amdhsa_system_sgpr_workgroup_id_x 1
		.amdhsa_system_sgpr_workgroup_id_y 0
		.amdhsa_system_sgpr_workgroup_id_z 0
		.amdhsa_system_sgpr_workgroup_info 0
		.amdhsa_system_vgpr_workitem_id 0
		.amdhsa_next_free_vgpr 1
		.amdhsa_next_free_sgpr 1
		.amdhsa_named_barrier_count 0
		.amdhsa_reserve_vcc 0
		.amdhsa_float_round_mode_32 0
		.amdhsa_float_round_mode_16_64 0
		.amdhsa_float_denorm_mode_32 3
		.amdhsa_float_denorm_mode_16_64 3
		.amdhsa_fp16_overflow 0
		.amdhsa_memory_ordered 1
		.amdhsa_forward_progress 1
		.amdhsa_inst_pref_size 0
		.amdhsa_round_robin_scheduling 0
		.amdhsa_exception_fp_ieee_invalid_op 0
		.amdhsa_exception_fp_denorm_src 0
		.amdhsa_exception_fp_ieee_div_zero 0
		.amdhsa_exception_fp_ieee_overflow 0
		.amdhsa_exception_fp_ieee_underflow 0
		.amdhsa_exception_fp_ieee_inexact 0
		.amdhsa_exception_int_div_zero 0
	.end_amdhsa_kernel
	.section	.text._ZN7rocprim17ROCPRIM_400000_NS6detail17trampoline_kernelINS0_14default_configENS1_38merge_sort_block_merge_config_selectorIsNS0_10empty_typeEEEZZNS1_27merge_sort_block_merge_implIS3_PsPS5_jNS1_19radix_merge_compareILb1ELb0EsNS0_19identity_decomposerEEEEE10hipError_tT0_T1_T2_jT3_P12ihipStream_tbPNSt15iterator_traitsISE_E10value_typeEPNSK_ISF_E10value_typeEPSG_NS1_7vsmem_tEENKUlT_SE_SF_SG_E_clIS8_S8_S9_S9_EESD_ST_SE_SF_SG_EUlST_E1_NS1_11comp_targetILNS1_3genE10ELNS1_11target_archE1201ELNS1_3gpuE5ELNS1_3repE0EEENS1_36merge_oddeven_config_static_selectorELNS0_4arch9wavefront6targetE0EEEvSF_,"axG",@progbits,_ZN7rocprim17ROCPRIM_400000_NS6detail17trampoline_kernelINS0_14default_configENS1_38merge_sort_block_merge_config_selectorIsNS0_10empty_typeEEEZZNS1_27merge_sort_block_merge_implIS3_PsPS5_jNS1_19radix_merge_compareILb1ELb0EsNS0_19identity_decomposerEEEEE10hipError_tT0_T1_T2_jT3_P12ihipStream_tbPNSt15iterator_traitsISE_E10value_typeEPNSK_ISF_E10value_typeEPSG_NS1_7vsmem_tEENKUlT_SE_SF_SG_E_clIS8_S8_S9_S9_EESD_ST_SE_SF_SG_EUlST_E1_NS1_11comp_targetILNS1_3genE10ELNS1_11target_archE1201ELNS1_3gpuE5ELNS1_3repE0EEENS1_36merge_oddeven_config_static_selectorELNS0_4arch9wavefront6targetE0EEEvSF_,comdat
.Lfunc_end537:
	.size	_ZN7rocprim17ROCPRIM_400000_NS6detail17trampoline_kernelINS0_14default_configENS1_38merge_sort_block_merge_config_selectorIsNS0_10empty_typeEEEZZNS1_27merge_sort_block_merge_implIS3_PsPS5_jNS1_19radix_merge_compareILb1ELb0EsNS0_19identity_decomposerEEEEE10hipError_tT0_T1_T2_jT3_P12ihipStream_tbPNSt15iterator_traitsISE_E10value_typeEPNSK_ISF_E10value_typeEPSG_NS1_7vsmem_tEENKUlT_SE_SF_SG_E_clIS8_S8_S9_S9_EESD_ST_SE_SF_SG_EUlST_E1_NS1_11comp_targetILNS1_3genE10ELNS1_11target_archE1201ELNS1_3gpuE5ELNS1_3repE0EEENS1_36merge_oddeven_config_static_selectorELNS0_4arch9wavefront6targetE0EEEvSF_, .Lfunc_end537-_ZN7rocprim17ROCPRIM_400000_NS6detail17trampoline_kernelINS0_14default_configENS1_38merge_sort_block_merge_config_selectorIsNS0_10empty_typeEEEZZNS1_27merge_sort_block_merge_implIS3_PsPS5_jNS1_19radix_merge_compareILb1ELb0EsNS0_19identity_decomposerEEEEE10hipError_tT0_T1_T2_jT3_P12ihipStream_tbPNSt15iterator_traitsISE_E10value_typeEPNSK_ISF_E10value_typeEPSG_NS1_7vsmem_tEENKUlT_SE_SF_SG_E_clIS8_S8_S9_S9_EESD_ST_SE_SF_SG_EUlST_E1_NS1_11comp_targetILNS1_3genE10ELNS1_11target_archE1201ELNS1_3gpuE5ELNS1_3repE0EEENS1_36merge_oddeven_config_static_selectorELNS0_4arch9wavefront6targetE0EEEvSF_
                                        ; -- End function
	.set _ZN7rocprim17ROCPRIM_400000_NS6detail17trampoline_kernelINS0_14default_configENS1_38merge_sort_block_merge_config_selectorIsNS0_10empty_typeEEEZZNS1_27merge_sort_block_merge_implIS3_PsPS5_jNS1_19radix_merge_compareILb1ELb0EsNS0_19identity_decomposerEEEEE10hipError_tT0_T1_T2_jT3_P12ihipStream_tbPNSt15iterator_traitsISE_E10value_typeEPNSK_ISF_E10value_typeEPSG_NS1_7vsmem_tEENKUlT_SE_SF_SG_E_clIS8_S8_S9_S9_EESD_ST_SE_SF_SG_EUlST_E1_NS1_11comp_targetILNS1_3genE10ELNS1_11target_archE1201ELNS1_3gpuE5ELNS1_3repE0EEENS1_36merge_oddeven_config_static_selectorELNS0_4arch9wavefront6targetE0EEEvSF_.num_vgpr, 0
	.set _ZN7rocprim17ROCPRIM_400000_NS6detail17trampoline_kernelINS0_14default_configENS1_38merge_sort_block_merge_config_selectorIsNS0_10empty_typeEEEZZNS1_27merge_sort_block_merge_implIS3_PsPS5_jNS1_19radix_merge_compareILb1ELb0EsNS0_19identity_decomposerEEEEE10hipError_tT0_T1_T2_jT3_P12ihipStream_tbPNSt15iterator_traitsISE_E10value_typeEPNSK_ISF_E10value_typeEPSG_NS1_7vsmem_tEENKUlT_SE_SF_SG_E_clIS8_S8_S9_S9_EESD_ST_SE_SF_SG_EUlST_E1_NS1_11comp_targetILNS1_3genE10ELNS1_11target_archE1201ELNS1_3gpuE5ELNS1_3repE0EEENS1_36merge_oddeven_config_static_selectorELNS0_4arch9wavefront6targetE0EEEvSF_.num_agpr, 0
	.set _ZN7rocprim17ROCPRIM_400000_NS6detail17trampoline_kernelINS0_14default_configENS1_38merge_sort_block_merge_config_selectorIsNS0_10empty_typeEEEZZNS1_27merge_sort_block_merge_implIS3_PsPS5_jNS1_19radix_merge_compareILb1ELb0EsNS0_19identity_decomposerEEEEE10hipError_tT0_T1_T2_jT3_P12ihipStream_tbPNSt15iterator_traitsISE_E10value_typeEPNSK_ISF_E10value_typeEPSG_NS1_7vsmem_tEENKUlT_SE_SF_SG_E_clIS8_S8_S9_S9_EESD_ST_SE_SF_SG_EUlST_E1_NS1_11comp_targetILNS1_3genE10ELNS1_11target_archE1201ELNS1_3gpuE5ELNS1_3repE0EEENS1_36merge_oddeven_config_static_selectorELNS0_4arch9wavefront6targetE0EEEvSF_.numbered_sgpr, 0
	.set _ZN7rocprim17ROCPRIM_400000_NS6detail17trampoline_kernelINS0_14default_configENS1_38merge_sort_block_merge_config_selectorIsNS0_10empty_typeEEEZZNS1_27merge_sort_block_merge_implIS3_PsPS5_jNS1_19radix_merge_compareILb1ELb0EsNS0_19identity_decomposerEEEEE10hipError_tT0_T1_T2_jT3_P12ihipStream_tbPNSt15iterator_traitsISE_E10value_typeEPNSK_ISF_E10value_typeEPSG_NS1_7vsmem_tEENKUlT_SE_SF_SG_E_clIS8_S8_S9_S9_EESD_ST_SE_SF_SG_EUlST_E1_NS1_11comp_targetILNS1_3genE10ELNS1_11target_archE1201ELNS1_3gpuE5ELNS1_3repE0EEENS1_36merge_oddeven_config_static_selectorELNS0_4arch9wavefront6targetE0EEEvSF_.num_named_barrier, 0
	.set _ZN7rocprim17ROCPRIM_400000_NS6detail17trampoline_kernelINS0_14default_configENS1_38merge_sort_block_merge_config_selectorIsNS0_10empty_typeEEEZZNS1_27merge_sort_block_merge_implIS3_PsPS5_jNS1_19radix_merge_compareILb1ELb0EsNS0_19identity_decomposerEEEEE10hipError_tT0_T1_T2_jT3_P12ihipStream_tbPNSt15iterator_traitsISE_E10value_typeEPNSK_ISF_E10value_typeEPSG_NS1_7vsmem_tEENKUlT_SE_SF_SG_E_clIS8_S8_S9_S9_EESD_ST_SE_SF_SG_EUlST_E1_NS1_11comp_targetILNS1_3genE10ELNS1_11target_archE1201ELNS1_3gpuE5ELNS1_3repE0EEENS1_36merge_oddeven_config_static_selectorELNS0_4arch9wavefront6targetE0EEEvSF_.private_seg_size, 0
	.set _ZN7rocprim17ROCPRIM_400000_NS6detail17trampoline_kernelINS0_14default_configENS1_38merge_sort_block_merge_config_selectorIsNS0_10empty_typeEEEZZNS1_27merge_sort_block_merge_implIS3_PsPS5_jNS1_19radix_merge_compareILb1ELb0EsNS0_19identity_decomposerEEEEE10hipError_tT0_T1_T2_jT3_P12ihipStream_tbPNSt15iterator_traitsISE_E10value_typeEPNSK_ISF_E10value_typeEPSG_NS1_7vsmem_tEENKUlT_SE_SF_SG_E_clIS8_S8_S9_S9_EESD_ST_SE_SF_SG_EUlST_E1_NS1_11comp_targetILNS1_3genE10ELNS1_11target_archE1201ELNS1_3gpuE5ELNS1_3repE0EEENS1_36merge_oddeven_config_static_selectorELNS0_4arch9wavefront6targetE0EEEvSF_.uses_vcc, 0
	.set _ZN7rocprim17ROCPRIM_400000_NS6detail17trampoline_kernelINS0_14default_configENS1_38merge_sort_block_merge_config_selectorIsNS0_10empty_typeEEEZZNS1_27merge_sort_block_merge_implIS3_PsPS5_jNS1_19radix_merge_compareILb1ELb0EsNS0_19identity_decomposerEEEEE10hipError_tT0_T1_T2_jT3_P12ihipStream_tbPNSt15iterator_traitsISE_E10value_typeEPNSK_ISF_E10value_typeEPSG_NS1_7vsmem_tEENKUlT_SE_SF_SG_E_clIS8_S8_S9_S9_EESD_ST_SE_SF_SG_EUlST_E1_NS1_11comp_targetILNS1_3genE10ELNS1_11target_archE1201ELNS1_3gpuE5ELNS1_3repE0EEENS1_36merge_oddeven_config_static_selectorELNS0_4arch9wavefront6targetE0EEEvSF_.uses_flat_scratch, 0
	.set _ZN7rocprim17ROCPRIM_400000_NS6detail17trampoline_kernelINS0_14default_configENS1_38merge_sort_block_merge_config_selectorIsNS0_10empty_typeEEEZZNS1_27merge_sort_block_merge_implIS3_PsPS5_jNS1_19radix_merge_compareILb1ELb0EsNS0_19identity_decomposerEEEEE10hipError_tT0_T1_T2_jT3_P12ihipStream_tbPNSt15iterator_traitsISE_E10value_typeEPNSK_ISF_E10value_typeEPSG_NS1_7vsmem_tEENKUlT_SE_SF_SG_E_clIS8_S8_S9_S9_EESD_ST_SE_SF_SG_EUlST_E1_NS1_11comp_targetILNS1_3genE10ELNS1_11target_archE1201ELNS1_3gpuE5ELNS1_3repE0EEENS1_36merge_oddeven_config_static_selectorELNS0_4arch9wavefront6targetE0EEEvSF_.has_dyn_sized_stack, 0
	.set _ZN7rocprim17ROCPRIM_400000_NS6detail17trampoline_kernelINS0_14default_configENS1_38merge_sort_block_merge_config_selectorIsNS0_10empty_typeEEEZZNS1_27merge_sort_block_merge_implIS3_PsPS5_jNS1_19radix_merge_compareILb1ELb0EsNS0_19identity_decomposerEEEEE10hipError_tT0_T1_T2_jT3_P12ihipStream_tbPNSt15iterator_traitsISE_E10value_typeEPNSK_ISF_E10value_typeEPSG_NS1_7vsmem_tEENKUlT_SE_SF_SG_E_clIS8_S8_S9_S9_EESD_ST_SE_SF_SG_EUlST_E1_NS1_11comp_targetILNS1_3genE10ELNS1_11target_archE1201ELNS1_3gpuE5ELNS1_3repE0EEENS1_36merge_oddeven_config_static_selectorELNS0_4arch9wavefront6targetE0EEEvSF_.has_recursion, 0
	.set _ZN7rocprim17ROCPRIM_400000_NS6detail17trampoline_kernelINS0_14default_configENS1_38merge_sort_block_merge_config_selectorIsNS0_10empty_typeEEEZZNS1_27merge_sort_block_merge_implIS3_PsPS5_jNS1_19radix_merge_compareILb1ELb0EsNS0_19identity_decomposerEEEEE10hipError_tT0_T1_T2_jT3_P12ihipStream_tbPNSt15iterator_traitsISE_E10value_typeEPNSK_ISF_E10value_typeEPSG_NS1_7vsmem_tEENKUlT_SE_SF_SG_E_clIS8_S8_S9_S9_EESD_ST_SE_SF_SG_EUlST_E1_NS1_11comp_targetILNS1_3genE10ELNS1_11target_archE1201ELNS1_3gpuE5ELNS1_3repE0EEENS1_36merge_oddeven_config_static_selectorELNS0_4arch9wavefront6targetE0EEEvSF_.has_indirect_call, 0
	.section	.AMDGPU.csdata,"",@progbits
; Kernel info:
; codeLenInByte = 0
; TotalNumSgprs: 0
; NumVgprs: 0
; ScratchSize: 0
; MemoryBound: 0
; FloatMode: 240
; IeeeMode: 1
; LDSByteSize: 0 bytes/workgroup (compile time only)
; SGPRBlocks: 0
; VGPRBlocks: 0
; NumSGPRsForWavesPerEU: 1
; NumVGPRsForWavesPerEU: 1
; NamedBarCnt: 0
; Occupancy: 16
; WaveLimiterHint : 0
; COMPUTE_PGM_RSRC2:SCRATCH_EN: 0
; COMPUTE_PGM_RSRC2:USER_SGPR: 2
; COMPUTE_PGM_RSRC2:TRAP_HANDLER: 0
; COMPUTE_PGM_RSRC2:TGID_X_EN: 1
; COMPUTE_PGM_RSRC2:TGID_Y_EN: 0
; COMPUTE_PGM_RSRC2:TGID_Z_EN: 0
; COMPUTE_PGM_RSRC2:TIDIG_COMP_CNT: 0
	.section	.text._ZN7rocprim17ROCPRIM_400000_NS6detail17trampoline_kernelINS0_14default_configENS1_38merge_sort_block_merge_config_selectorIsNS0_10empty_typeEEEZZNS1_27merge_sort_block_merge_implIS3_PsPS5_jNS1_19radix_merge_compareILb1ELb0EsNS0_19identity_decomposerEEEEE10hipError_tT0_T1_T2_jT3_P12ihipStream_tbPNSt15iterator_traitsISE_E10value_typeEPNSK_ISF_E10value_typeEPSG_NS1_7vsmem_tEENKUlT_SE_SF_SG_E_clIS8_S8_S9_S9_EESD_ST_SE_SF_SG_EUlST_E1_NS1_11comp_targetILNS1_3genE5ELNS1_11target_archE942ELNS1_3gpuE9ELNS1_3repE0EEENS1_36merge_oddeven_config_static_selectorELNS0_4arch9wavefront6targetE0EEEvSF_,"axG",@progbits,_ZN7rocprim17ROCPRIM_400000_NS6detail17trampoline_kernelINS0_14default_configENS1_38merge_sort_block_merge_config_selectorIsNS0_10empty_typeEEEZZNS1_27merge_sort_block_merge_implIS3_PsPS5_jNS1_19radix_merge_compareILb1ELb0EsNS0_19identity_decomposerEEEEE10hipError_tT0_T1_T2_jT3_P12ihipStream_tbPNSt15iterator_traitsISE_E10value_typeEPNSK_ISF_E10value_typeEPSG_NS1_7vsmem_tEENKUlT_SE_SF_SG_E_clIS8_S8_S9_S9_EESD_ST_SE_SF_SG_EUlST_E1_NS1_11comp_targetILNS1_3genE5ELNS1_11target_archE942ELNS1_3gpuE9ELNS1_3repE0EEENS1_36merge_oddeven_config_static_selectorELNS0_4arch9wavefront6targetE0EEEvSF_,comdat
	.protected	_ZN7rocprim17ROCPRIM_400000_NS6detail17trampoline_kernelINS0_14default_configENS1_38merge_sort_block_merge_config_selectorIsNS0_10empty_typeEEEZZNS1_27merge_sort_block_merge_implIS3_PsPS5_jNS1_19radix_merge_compareILb1ELb0EsNS0_19identity_decomposerEEEEE10hipError_tT0_T1_T2_jT3_P12ihipStream_tbPNSt15iterator_traitsISE_E10value_typeEPNSK_ISF_E10value_typeEPSG_NS1_7vsmem_tEENKUlT_SE_SF_SG_E_clIS8_S8_S9_S9_EESD_ST_SE_SF_SG_EUlST_E1_NS1_11comp_targetILNS1_3genE5ELNS1_11target_archE942ELNS1_3gpuE9ELNS1_3repE0EEENS1_36merge_oddeven_config_static_selectorELNS0_4arch9wavefront6targetE0EEEvSF_ ; -- Begin function _ZN7rocprim17ROCPRIM_400000_NS6detail17trampoline_kernelINS0_14default_configENS1_38merge_sort_block_merge_config_selectorIsNS0_10empty_typeEEEZZNS1_27merge_sort_block_merge_implIS3_PsPS5_jNS1_19radix_merge_compareILb1ELb0EsNS0_19identity_decomposerEEEEE10hipError_tT0_T1_T2_jT3_P12ihipStream_tbPNSt15iterator_traitsISE_E10value_typeEPNSK_ISF_E10value_typeEPSG_NS1_7vsmem_tEENKUlT_SE_SF_SG_E_clIS8_S8_S9_S9_EESD_ST_SE_SF_SG_EUlST_E1_NS1_11comp_targetILNS1_3genE5ELNS1_11target_archE942ELNS1_3gpuE9ELNS1_3repE0EEENS1_36merge_oddeven_config_static_selectorELNS0_4arch9wavefront6targetE0EEEvSF_
	.globl	_ZN7rocprim17ROCPRIM_400000_NS6detail17trampoline_kernelINS0_14default_configENS1_38merge_sort_block_merge_config_selectorIsNS0_10empty_typeEEEZZNS1_27merge_sort_block_merge_implIS3_PsPS5_jNS1_19radix_merge_compareILb1ELb0EsNS0_19identity_decomposerEEEEE10hipError_tT0_T1_T2_jT3_P12ihipStream_tbPNSt15iterator_traitsISE_E10value_typeEPNSK_ISF_E10value_typeEPSG_NS1_7vsmem_tEENKUlT_SE_SF_SG_E_clIS8_S8_S9_S9_EESD_ST_SE_SF_SG_EUlST_E1_NS1_11comp_targetILNS1_3genE5ELNS1_11target_archE942ELNS1_3gpuE9ELNS1_3repE0EEENS1_36merge_oddeven_config_static_selectorELNS0_4arch9wavefront6targetE0EEEvSF_
	.p2align	8
	.type	_ZN7rocprim17ROCPRIM_400000_NS6detail17trampoline_kernelINS0_14default_configENS1_38merge_sort_block_merge_config_selectorIsNS0_10empty_typeEEEZZNS1_27merge_sort_block_merge_implIS3_PsPS5_jNS1_19radix_merge_compareILb1ELb0EsNS0_19identity_decomposerEEEEE10hipError_tT0_T1_T2_jT3_P12ihipStream_tbPNSt15iterator_traitsISE_E10value_typeEPNSK_ISF_E10value_typeEPSG_NS1_7vsmem_tEENKUlT_SE_SF_SG_E_clIS8_S8_S9_S9_EESD_ST_SE_SF_SG_EUlST_E1_NS1_11comp_targetILNS1_3genE5ELNS1_11target_archE942ELNS1_3gpuE9ELNS1_3repE0EEENS1_36merge_oddeven_config_static_selectorELNS0_4arch9wavefront6targetE0EEEvSF_,@function
_ZN7rocprim17ROCPRIM_400000_NS6detail17trampoline_kernelINS0_14default_configENS1_38merge_sort_block_merge_config_selectorIsNS0_10empty_typeEEEZZNS1_27merge_sort_block_merge_implIS3_PsPS5_jNS1_19radix_merge_compareILb1ELb0EsNS0_19identity_decomposerEEEEE10hipError_tT0_T1_T2_jT3_P12ihipStream_tbPNSt15iterator_traitsISE_E10value_typeEPNSK_ISF_E10value_typeEPSG_NS1_7vsmem_tEENKUlT_SE_SF_SG_E_clIS8_S8_S9_S9_EESD_ST_SE_SF_SG_EUlST_E1_NS1_11comp_targetILNS1_3genE5ELNS1_11target_archE942ELNS1_3gpuE9ELNS1_3repE0EEENS1_36merge_oddeven_config_static_selectorELNS0_4arch9wavefront6targetE0EEEvSF_: ; @_ZN7rocprim17ROCPRIM_400000_NS6detail17trampoline_kernelINS0_14default_configENS1_38merge_sort_block_merge_config_selectorIsNS0_10empty_typeEEEZZNS1_27merge_sort_block_merge_implIS3_PsPS5_jNS1_19radix_merge_compareILb1ELb0EsNS0_19identity_decomposerEEEEE10hipError_tT0_T1_T2_jT3_P12ihipStream_tbPNSt15iterator_traitsISE_E10value_typeEPNSK_ISF_E10value_typeEPSG_NS1_7vsmem_tEENKUlT_SE_SF_SG_E_clIS8_S8_S9_S9_EESD_ST_SE_SF_SG_EUlST_E1_NS1_11comp_targetILNS1_3genE5ELNS1_11target_archE942ELNS1_3gpuE9ELNS1_3repE0EEENS1_36merge_oddeven_config_static_selectorELNS0_4arch9wavefront6targetE0EEEvSF_
; %bb.0:
	.section	.rodata,"a",@progbits
	.p2align	6, 0x0
	.amdhsa_kernel _ZN7rocprim17ROCPRIM_400000_NS6detail17trampoline_kernelINS0_14default_configENS1_38merge_sort_block_merge_config_selectorIsNS0_10empty_typeEEEZZNS1_27merge_sort_block_merge_implIS3_PsPS5_jNS1_19radix_merge_compareILb1ELb0EsNS0_19identity_decomposerEEEEE10hipError_tT0_T1_T2_jT3_P12ihipStream_tbPNSt15iterator_traitsISE_E10value_typeEPNSK_ISF_E10value_typeEPSG_NS1_7vsmem_tEENKUlT_SE_SF_SG_E_clIS8_S8_S9_S9_EESD_ST_SE_SF_SG_EUlST_E1_NS1_11comp_targetILNS1_3genE5ELNS1_11target_archE942ELNS1_3gpuE9ELNS1_3repE0EEENS1_36merge_oddeven_config_static_selectorELNS0_4arch9wavefront6targetE0EEEvSF_
		.amdhsa_group_segment_fixed_size 0
		.amdhsa_private_segment_fixed_size 0
		.amdhsa_kernarg_size 48
		.amdhsa_user_sgpr_count 2
		.amdhsa_user_sgpr_dispatch_ptr 0
		.amdhsa_user_sgpr_queue_ptr 0
		.amdhsa_user_sgpr_kernarg_segment_ptr 1
		.amdhsa_user_sgpr_dispatch_id 0
		.amdhsa_user_sgpr_kernarg_preload_length 0
		.amdhsa_user_sgpr_kernarg_preload_offset 0
		.amdhsa_user_sgpr_private_segment_size 0
		.amdhsa_wavefront_size32 1
		.amdhsa_uses_dynamic_stack 0
		.amdhsa_enable_private_segment 0
		.amdhsa_system_sgpr_workgroup_id_x 1
		.amdhsa_system_sgpr_workgroup_id_y 0
		.amdhsa_system_sgpr_workgroup_id_z 0
		.amdhsa_system_sgpr_workgroup_info 0
		.amdhsa_system_vgpr_workitem_id 0
		.amdhsa_next_free_vgpr 1
		.amdhsa_next_free_sgpr 1
		.amdhsa_named_barrier_count 0
		.amdhsa_reserve_vcc 0
		.amdhsa_float_round_mode_32 0
		.amdhsa_float_round_mode_16_64 0
		.amdhsa_float_denorm_mode_32 3
		.amdhsa_float_denorm_mode_16_64 3
		.amdhsa_fp16_overflow 0
		.amdhsa_memory_ordered 1
		.amdhsa_forward_progress 1
		.amdhsa_inst_pref_size 0
		.amdhsa_round_robin_scheduling 0
		.amdhsa_exception_fp_ieee_invalid_op 0
		.amdhsa_exception_fp_denorm_src 0
		.amdhsa_exception_fp_ieee_div_zero 0
		.amdhsa_exception_fp_ieee_overflow 0
		.amdhsa_exception_fp_ieee_underflow 0
		.amdhsa_exception_fp_ieee_inexact 0
		.amdhsa_exception_int_div_zero 0
	.end_amdhsa_kernel
	.section	.text._ZN7rocprim17ROCPRIM_400000_NS6detail17trampoline_kernelINS0_14default_configENS1_38merge_sort_block_merge_config_selectorIsNS0_10empty_typeEEEZZNS1_27merge_sort_block_merge_implIS3_PsPS5_jNS1_19radix_merge_compareILb1ELb0EsNS0_19identity_decomposerEEEEE10hipError_tT0_T1_T2_jT3_P12ihipStream_tbPNSt15iterator_traitsISE_E10value_typeEPNSK_ISF_E10value_typeEPSG_NS1_7vsmem_tEENKUlT_SE_SF_SG_E_clIS8_S8_S9_S9_EESD_ST_SE_SF_SG_EUlST_E1_NS1_11comp_targetILNS1_3genE5ELNS1_11target_archE942ELNS1_3gpuE9ELNS1_3repE0EEENS1_36merge_oddeven_config_static_selectorELNS0_4arch9wavefront6targetE0EEEvSF_,"axG",@progbits,_ZN7rocprim17ROCPRIM_400000_NS6detail17trampoline_kernelINS0_14default_configENS1_38merge_sort_block_merge_config_selectorIsNS0_10empty_typeEEEZZNS1_27merge_sort_block_merge_implIS3_PsPS5_jNS1_19radix_merge_compareILb1ELb0EsNS0_19identity_decomposerEEEEE10hipError_tT0_T1_T2_jT3_P12ihipStream_tbPNSt15iterator_traitsISE_E10value_typeEPNSK_ISF_E10value_typeEPSG_NS1_7vsmem_tEENKUlT_SE_SF_SG_E_clIS8_S8_S9_S9_EESD_ST_SE_SF_SG_EUlST_E1_NS1_11comp_targetILNS1_3genE5ELNS1_11target_archE942ELNS1_3gpuE9ELNS1_3repE0EEENS1_36merge_oddeven_config_static_selectorELNS0_4arch9wavefront6targetE0EEEvSF_,comdat
.Lfunc_end538:
	.size	_ZN7rocprim17ROCPRIM_400000_NS6detail17trampoline_kernelINS0_14default_configENS1_38merge_sort_block_merge_config_selectorIsNS0_10empty_typeEEEZZNS1_27merge_sort_block_merge_implIS3_PsPS5_jNS1_19radix_merge_compareILb1ELb0EsNS0_19identity_decomposerEEEEE10hipError_tT0_T1_T2_jT3_P12ihipStream_tbPNSt15iterator_traitsISE_E10value_typeEPNSK_ISF_E10value_typeEPSG_NS1_7vsmem_tEENKUlT_SE_SF_SG_E_clIS8_S8_S9_S9_EESD_ST_SE_SF_SG_EUlST_E1_NS1_11comp_targetILNS1_3genE5ELNS1_11target_archE942ELNS1_3gpuE9ELNS1_3repE0EEENS1_36merge_oddeven_config_static_selectorELNS0_4arch9wavefront6targetE0EEEvSF_, .Lfunc_end538-_ZN7rocprim17ROCPRIM_400000_NS6detail17trampoline_kernelINS0_14default_configENS1_38merge_sort_block_merge_config_selectorIsNS0_10empty_typeEEEZZNS1_27merge_sort_block_merge_implIS3_PsPS5_jNS1_19radix_merge_compareILb1ELb0EsNS0_19identity_decomposerEEEEE10hipError_tT0_T1_T2_jT3_P12ihipStream_tbPNSt15iterator_traitsISE_E10value_typeEPNSK_ISF_E10value_typeEPSG_NS1_7vsmem_tEENKUlT_SE_SF_SG_E_clIS8_S8_S9_S9_EESD_ST_SE_SF_SG_EUlST_E1_NS1_11comp_targetILNS1_3genE5ELNS1_11target_archE942ELNS1_3gpuE9ELNS1_3repE0EEENS1_36merge_oddeven_config_static_selectorELNS0_4arch9wavefront6targetE0EEEvSF_
                                        ; -- End function
	.set _ZN7rocprim17ROCPRIM_400000_NS6detail17trampoline_kernelINS0_14default_configENS1_38merge_sort_block_merge_config_selectorIsNS0_10empty_typeEEEZZNS1_27merge_sort_block_merge_implIS3_PsPS5_jNS1_19radix_merge_compareILb1ELb0EsNS0_19identity_decomposerEEEEE10hipError_tT0_T1_T2_jT3_P12ihipStream_tbPNSt15iterator_traitsISE_E10value_typeEPNSK_ISF_E10value_typeEPSG_NS1_7vsmem_tEENKUlT_SE_SF_SG_E_clIS8_S8_S9_S9_EESD_ST_SE_SF_SG_EUlST_E1_NS1_11comp_targetILNS1_3genE5ELNS1_11target_archE942ELNS1_3gpuE9ELNS1_3repE0EEENS1_36merge_oddeven_config_static_selectorELNS0_4arch9wavefront6targetE0EEEvSF_.num_vgpr, 0
	.set _ZN7rocprim17ROCPRIM_400000_NS6detail17trampoline_kernelINS0_14default_configENS1_38merge_sort_block_merge_config_selectorIsNS0_10empty_typeEEEZZNS1_27merge_sort_block_merge_implIS3_PsPS5_jNS1_19radix_merge_compareILb1ELb0EsNS0_19identity_decomposerEEEEE10hipError_tT0_T1_T2_jT3_P12ihipStream_tbPNSt15iterator_traitsISE_E10value_typeEPNSK_ISF_E10value_typeEPSG_NS1_7vsmem_tEENKUlT_SE_SF_SG_E_clIS8_S8_S9_S9_EESD_ST_SE_SF_SG_EUlST_E1_NS1_11comp_targetILNS1_3genE5ELNS1_11target_archE942ELNS1_3gpuE9ELNS1_3repE0EEENS1_36merge_oddeven_config_static_selectorELNS0_4arch9wavefront6targetE0EEEvSF_.num_agpr, 0
	.set _ZN7rocprim17ROCPRIM_400000_NS6detail17trampoline_kernelINS0_14default_configENS1_38merge_sort_block_merge_config_selectorIsNS0_10empty_typeEEEZZNS1_27merge_sort_block_merge_implIS3_PsPS5_jNS1_19radix_merge_compareILb1ELb0EsNS0_19identity_decomposerEEEEE10hipError_tT0_T1_T2_jT3_P12ihipStream_tbPNSt15iterator_traitsISE_E10value_typeEPNSK_ISF_E10value_typeEPSG_NS1_7vsmem_tEENKUlT_SE_SF_SG_E_clIS8_S8_S9_S9_EESD_ST_SE_SF_SG_EUlST_E1_NS1_11comp_targetILNS1_3genE5ELNS1_11target_archE942ELNS1_3gpuE9ELNS1_3repE0EEENS1_36merge_oddeven_config_static_selectorELNS0_4arch9wavefront6targetE0EEEvSF_.numbered_sgpr, 0
	.set _ZN7rocprim17ROCPRIM_400000_NS6detail17trampoline_kernelINS0_14default_configENS1_38merge_sort_block_merge_config_selectorIsNS0_10empty_typeEEEZZNS1_27merge_sort_block_merge_implIS3_PsPS5_jNS1_19radix_merge_compareILb1ELb0EsNS0_19identity_decomposerEEEEE10hipError_tT0_T1_T2_jT3_P12ihipStream_tbPNSt15iterator_traitsISE_E10value_typeEPNSK_ISF_E10value_typeEPSG_NS1_7vsmem_tEENKUlT_SE_SF_SG_E_clIS8_S8_S9_S9_EESD_ST_SE_SF_SG_EUlST_E1_NS1_11comp_targetILNS1_3genE5ELNS1_11target_archE942ELNS1_3gpuE9ELNS1_3repE0EEENS1_36merge_oddeven_config_static_selectorELNS0_4arch9wavefront6targetE0EEEvSF_.num_named_barrier, 0
	.set _ZN7rocprim17ROCPRIM_400000_NS6detail17trampoline_kernelINS0_14default_configENS1_38merge_sort_block_merge_config_selectorIsNS0_10empty_typeEEEZZNS1_27merge_sort_block_merge_implIS3_PsPS5_jNS1_19radix_merge_compareILb1ELb0EsNS0_19identity_decomposerEEEEE10hipError_tT0_T1_T2_jT3_P12ihipStream_tbPNSt15iterator_traitsISE_E10value_typeEPNSK_ISF_E10value_typeEPSG_NS1_7vsmem_tEENKUlT_SE_SF_SG_E_clIS8_S8_S9_S9_EESD_ST_SE_SF_SG_EUlST_E1_NS1_11comp_targetILNS1_3genE5ELNS1_11target_archE942ELNS1_3gpuE9ELNS1_3repE0EEENS1_36merge_oddeven_config_static_selectorELNS0_4arch9wavefront6targetE0EEEvSF_.private_seg_size, 0
	.set _ZN7rocprim17ROCPRIM_400000_NS6detail17trampoline_kernelINS0_14default_configENS1_38merge_sort_block_merge_config_selectorIsNS0_10empty_typeEEEZZNS1_27merge_sort_block_merge_implIS3_PsPS5_jNS1_19radix_merge_compareILb1ELb0EsNS0_19identity_decomposerEEEEE10hipError_tT0_T1_T2_jT3_P12ihipStream_tbPNSt15iterator_traitsISE_E10value_typeEPNSK_ISF_E10value_typeEPSG_NS1_7vsmem_tEENKUlT_SE_SF_SG_E_clIS8_S8_S9_S9_EESD_ST_SE_SF_SG_EUlST_E1_NS1_11comp_targetILNS1_3genE5ELNS1_11target_archE942ELNS1_3gpuE9ELNS1_3repE0EEENS1_36merge_oddeven_config_static_selectorELNS0_4arch9wavefront6targetE0EEEvSF_.uses_vcc, 0
	.set _ZN7rocprim17ROCPRIM_400000_NS6detail17trampoline_kernelINS0_14default_configENS1_38merge_sort_block_merge_config_selectorIsNS0_10empty_typeEEEZZNS1_27merge_sort_block_merge_implIS3_PsPS5_jNS1_19radix_merge_compareILb1ELb0EsNS0_19identity_decomposerEEEEE10hipError_tT0_T1_T2_jT3_P12ihipStream_tbPNSt15iterator_traitsISE_E10value_typeEPNSK_ISF_E10value_typeEPSG_NS1_7vsmem_tEENKUlT_SE_SF_SG_E_clIS8_S8_S9_S9_EESD_ST_SE_SF_SG_EUlST_E1_NS1_11comp_targetILNS1_3genE5ELNS1_11target_archE942ELNS1_3gpuE9ELNS1_3repE0EEENS1_36merge_oddeven_config_static_selectorELNS0_4arch9wavefront6targetE0EEEvSF_.uses_flat_scratch, 0
	.set _ZN7rocprim17ROCPRIM_400000_NS6detail17trampoline_kernelINS0_14default_configENS1_38merge_sort_block_merge_config_selectorIsNS0_10empty_typeEEEZZNS1_27merge_sort_block_merge_implIS3_PsPS5_jNS1_19radix_merge_compareILb1ELb0EsNS0_19identity_decomposerEEEEE10hipError_tT0_T1_T2_jT3_P12ihipStream_tbPNSt15iterator_traitsISE_E10value_typeEPNSK_ISF_E10value_typeEPSG_NS1_7vsmem_tEENKUlT_SE_SF_SG_E_clIS8_S8_S9_S9_EESD_ST_SE_SF_SG_EUlST_E1_NS1_11comp_targetILNS1_3genE5ELNS1_11target_archE942ELNS1_3gpuE9ELNS1_3repE0EEENS1_36merge_oddeven_config_static_selectorELNS0_4arch9wavefront6targetE0EEEvSF_.has_dyn_sized_stack, 0
	.set _ZN7rocprim17ROCPRIM_400000_NS6detail17trampoline_kernelINS0_14default_configENS1_38merge_sort_block_merge_config_selectorIsNS0_10empty_typeEEEZZNS1_27merge_sort_block_merge_implIS3_PsPS5_jNS1_19radix_merge_compareILb1ELb0EsNS0_19identity_decomposerEEEEE10hipError_tT0_T1_T2_jT3_P12ihipStream_tbPNSt15iterator_traitsISE_E10value_typeEPNSK_ISF_E10value_typeEPSG_NS1_7vsmem_tEENKUlT_SE_SF_SG_E_clIS8_S8_S9_S9_EESD_ST_SE_SF_SG_EUlST_E1_NS1_11comp_targetILNS1_3genE5ELNS1_11target_archE942ELNS1_3gpuE9ELNS1_3repE0EEENS1_36merge_oddeven_config_static_selectorELNS0_4arch9wavefront6targetE0EEEvSF_.has_recursion, 0
	.set _ZN7rocprim17ROCPRIM_400000_NS6detail17trampoline_kernelINS0_14default_configENS1_38merge_sort_block_merge_config_selectorIsNS0_10empty_typeEEEZZNS1_27merge_sort_block_merge_implIS3_PsPS5_jNS1_19radix_merge_compareILb1ELb0EsNS0_19identity_decomposerEEEEE10hipError_tT0_T1_T2_jT3_P12ihipStream_tbPNSt15iterator_traitsISE_E10value_typeEPNSK_ISF_E10value_typeEPSG_NS1_7vsmem_tEENKUlT_SE_SF_SG_E_clIS8_S8_S9_S9_EESD_ST_SE_SF_SG_EUlST_E1_NS1_11comp_targetILNS1_3genE5ELNS1_11target_archE942ELNS1_3gpuE9ELNS1_3repE0EEENS1_36merge_oddeven_config_static_selectorELNS0_4arch9wavefront6targetE0EEEvSF_.has_indirect_call, 0
	.section	.AMDGPU.csdata,"",@progbits
; Kernel info:
; codeLenInByte = 0
; TotalNumSgprs: 0
; NumVgprs: 0
; ScratchSize: 0
; MemoryBound: 0
; FloatMode: 240
; IeeeMode: 1
; LDSByteSize: 0 bytes/workgroup (compile time only)
; SGPRBlocks: 0
; VGPRBlocks: 0
; NumSGPRsForWavesPerEU: 1
; NumVGPRsForWavesPerEU: 1
; NamedBarCnt: 0
; Occupancy: 16
; WaveLimiterHint : 0
; COMPUTE_PGM_RSRC2:SCRATCH_EN: 0
; COMPUTE_PGM_RSRC2:USER_SGPR: 2
; COMPUTE_PGM_RSRC2:TRAP_HANDLER: 0
; COMPUTE_PGM_RSRC2:TGID_X_EN: 1
; COMPUTE_PGM_RSRC2:TGID_Y_EN: 0
; COMPUTE_PGM_RSRC2:TGID_Z_EN: 0
; COMPUTE_PGM_RSRC2:TIDIG_COMP_CNT: 0
	.section	.text._ZN7rocprim17ROCPRIM_400000_NS6detail17trampoline_kernelINS0_14default_configENS1_38merge_sort_block_merge_config_selectorIsNS0_10empty_typeEEEZZNS1_27merge_sort_block_merge_implIS3_PsPS5_jNS1_19radix_merge_compareILb1ELb0EsNS0_19identity_decomposerEEEEE10hipError_tT0_T1_T2_jT3_P12ihipStream_tbPNSt15iterator_traitsISE_E10value_typeEPNSK_ISF_E10value_typeEPSG_NS1_7vsmem_tEENKUlT_SE_SF_SG_E_clIS8_S8_S9_S9_EESD_ST_SE_SF_SG_EUlST_E1_NS1_11comp_targetILNS1_3genE4ELNS1_11target_archE910ELNS1_3gpuE8ELNS1_3repE0EEENS1_36merge_oddeven_config_static_selectorELNS0_4arch9wavefront6targetE0EEEvSF_,"axG",@progbits,_ZN7rocprim17ROCPRIM_400000_NS6detail17trampoline_kernelINS0_14default_configENS1_38merge_sort_block_merge_config_selectorIsNS0_10empty_typeEEEZZNS1_27merge_sort_block_merge_implIS3_PsPS5_jNS1_19radix_merge_compareILb1ELb0EsNS0_19identity_decomposerEEEEE10hipError_tT0_T1_T2_jT3_P12ihipStream_tbPNSt15iterator_traitsISE_E10value_typeEPNSK_ISF_E10value_typeEPSG_NS1_7vsmem_tEENKUlT_SE_SF_SG_E_clIS8_S8_S9_S9_EESD_ST_SE_SF_SG_EUlST_E1_NS1_11comp_targetILNS1_3genE4ELNS1_11target_archE910ELNS1_3gpuE8ELNS1_3repE0EEENS1_36merge_oddeven_config_static_selectorELNS0_4arch9wavefront6targetE0EEEvSF_,comdat
	.protected	_ZN7rocprim17ROCPRIM_400000_NS6detail17trampoline_kernelINS0_14default_configENS1_38merge_sort_block_merge_config_selectorIsNS0_10empty_typeEEEZZNS1_27merge_sort_block_merge_implIS3_PsPS5_jNS1_19radix_merge_compareILb1ELb0EsNS0_19identity_decomposerEEEEE10hipError_tT0_T1_T2_jT3_P12ihipStream_tbPNSt15iterator_traitsISE_E10value_typeEPNSK_ISF_E10value_typeEPSG_NS1_7vsmem_tEENKUlT_SE_SF_SG_E_clIS8_S8_S9_S9_EESD_ST_SE_SF_SG_EUlST_E1_NS1_11comp_targetILNS1_3genE4ELNS1_11target_archE910ELNS1_3gpuE8ELNS1_3repE0EEENS1_36merge_oddeven_config_static_selectorELNS0_4arch9wavefront6targetE0EEEvSF_ ; -- Begin function _ZN7rocprim17ROCPRIM_400000_NS6detail17trampoline_kernelINS0_14default_configENS1_38merge_sort_block_merge_config_selectorIsNS0_10empty_typeEEEZZNS1_27merge_sort_block_merge_implIS3_PsPS5_jNS1_19radix_merge_compareILb1ELb0EsNS0_19identity_decomposerEEEEE10hipError_tT0_T1_T2_jT3_P12ihipStream_tbPNSt15iterator_traitsISE_E10value_typeEPNSK_ISF_E10value_typeEPSG_NS1_7vsmem_tEENKUlT_SE_SF_SG_E_clIS8_S8_S9_S9_EESD_ST_SE_SF_SG_EUlST_E1_NS1_11comp_targetILNS1_3genE4ELNS1_11target_archE910ELNS1_3gpuE8ELNS1_3repE0EEENS1_36merge_oddeven_config_static_selectorELNS0_4arch9wavefront6targetE0EEEvSF_
	.globl	_ZN7rocprim17ROCPRIM_400000_NS6detail17trampoline_kernelINS0_14default_configENS1_38merge_sort_block_merge_config_selectorIsNS0_10empty_typeEEEZZNS1_27merge_sort_block_merge_implIS3_PsPS5_jNS1_19radix_merge_compareILb1ELb0EsNS0_19identity_decomposerEEEEE10hipError_tT0_T1_T2_jT3_P12ihipStream_tbPNSt15iterator_traitsISE_E10value_typeEPNSK_ISF_E10value_typeEPSG_NS1_7vsmem_tEENKUlT_SE_SF_SG_E_clIS8_S8_S9_S9_EESD_ST_SE_SF_SG_EUlST_E1_NS1_11comp_targetILNS1_3genE4ELNS1_11target_archE910ELNS1_3gpuE8ELNS1_3repE0EEENS1_36merge_oddeven_config_static_selectorELNS0_4arch9wavefront6targetE0EEEvSF_
	.p2align	8
	.type	_ZN7rocprim17ROCPRIM_400000_NS6detail17trampoline_kernelINS0_14default_configENS1_38merge_sort_block_merge_config_selectorIsNS0_10empty_typeEEEZZNS1_27merge_sort_block_merge_implIS3_PsPS5_jNS1_19radix_merge_compareILb1ELb0EsNS0_19identity_decomposerEEEEE10hipError_tT0_T1_T2_jT3_P12ihipStream_tbPNSt15iterator_traitsISE_E10value_typeEPNSK_ISF_E10value_typeEPSG_NS1_7vsmem_tEENKUlT_SE_SF_SG_E_clIS8_S8_S9_S9_EESD_ST_SE_SF_SG_EUlST_E1_NS1_11comp_targetILNS1_3genE4ELNS1_11target_archE910ELNS1_3gpuE8ELNS1_3repE0EEENS1_36merge_oddeven_config_static_selectorELNS0_4arch9wavefront6targetE0EEEvSF_,@function
_ZN7rocprim17ROCPRIM_400000_NS6detail17trampoline_kernelINS0_14default_configENS1_38merge_sort_block_merge_config_selectorIsNS0_10empty_typeEEEZZNS1_27merge_sort_block_merge_implIS3_PsPS5_jNS1_19radix_merge_compareILb1ELb0EsNS0_19identity_decomposerEEEEE10hipError_tT0_T1_T2_jT3_P12ihipStream_tbPNSt15iterator_traitsISE_E10value_typeEPNSK_ISF_E10value_typeEPSG_NS1_7vsmem_tEENKUlT_SE_SF_SG_E_clIS8_S8_S9_S9_EESD_ST_SE_SF_SG_EUlST_E1_NS1_11comp_targetILNS1_3genE4ELNS1_11target_archE910ELNS1_3gpuE8ELNS1_3repE0EEENS1_36merge_oddeven_config_static_selectorELNS0_4arch9wavefront6targetE0EEEvSF_: ; @_ZN7rocprim17ROCPRIM_400000_NS6detail17trampoline_kernelINS0_14default_configENS1_38merge_sort_block_merge_config_selectorIsNS0_10empty_typeEEEZZNS1_27merge_sort_block_merge_implIS3_PsPS5_jNS1_19radix_merge_compareILb1ELb0EsNS0_19identity_decomposerEEEEE10hipError_tT0_T1_T2_jT3_P12ihipStream_tbPNSt15iterator_traitsISE_E10value_typeEPNSK_ISF_E10value_typeEPSG_NS1_7vsmem_tEENKUlT_SE_SF_SG_E_clIS8_S8_S9_S9_EESD_ST_SE_SF_SG_EUlST_E1_NS1_11comp_targetILNS1_3genE4ELNS1_11target_archE910ELNS1_3gpuE8ELNS1_3repE0EEENS1_36merge_oddeven_config_static_selectorELNS0_4arch9wavefront6targetE0EEEvSF_
; %bb.0:
	.section	.rodata,"a",@progbits
	.p2align	6, 0x0
	.amdhsa_kernel _ZN7rocprim17ROCPRIM_400000_NS6detail17trampoline_kernelINS0_14default_configENS1_38merge_sort_block_merge_config_selectorIsNS0_10empty_typeEEEZZNS1_27merge_sort_block_merge_implIS3_PsPS5_jNS1_19radix_merge_compareILb1ELb0EsNS0_19identity_decomposerEEEEE10hipError_tT0_T1_T2_jT3_P12ihipStream_tbPNSt15iterator_traitsISE_E10value_typeEPNSK_ISF_E10value_typeEPSG_NS1_7vsmem_tEENKUlT_SE_SF_SG_E_clIS8_S8_S9_S9_EESD_ST_SE_SF_SG_EUlST_E1_NS1_11comp_targetILNS1_3genE4ELNS1_11target_archE910ELNS1_3gpuE8ELNS1_3repE0EEENS1_36merge_oddeven_config_static_selectorELNS0_4arch9wavefront6targetE0EEEvSF_
		.amdhsa_group_segment_fixed_size 0
		.amdhsa_private_segment_fixed_size 0
		.amdhsa_kernarg_size 48
		.amdhsa_user_sgpr_count 2
		.amdhsa_user_sgpr_dispatch_ptr 0
		.amdhsa_user_sgpr_queue_ptr 0
		.amdhsa_user_sgpr_kernarg_segment_ptr 1
		.amdhsa_user_sgpr_dispatch_id 0
		.amdhsa_user_sgpr_kernarg_preload_length 0
		.amdhsa_user_sgpr_kernarg_preload_offset 0
		.amdhsa_user_sgpr_private_segment_size 0
		.amdhsa_wavefront_size32 1
		.amdhsa_uses_dynamic_stack 0
		.amdhsa_enable_private_segment 0
		.amdhsa_system_sgpr_workgroup_id_x 1
		.amdhsa_system_sgpr_workgroup_id_y 0
		.amdhsa_system_sgpr_workgroup_id_z 0
		.amdhsa_system_sgpr_workgroup_info 0
		.amdhsa_system_vgpr_workitem_id 0
		.amdhsa_next_free_vgpr 1
		.amdhsa_next_free_sgpr 1
		.amdhsa_named_barrier_count 0
		.amdhsa_reserve_vcc 0
		.amdhsa_float_round_mode_32 0
		.amdhsa_float_round_mode_16_64 0
		.amdhsa_float_denorm_mode_32 3
		.amdhsa_float_denorm_mode_16_64 3
		.amdhsa_fp16_overflow 0
		.amdhsa_memory_ordered 1
		.amdhsa_forward_progress 1
		.amdhsa_inst_pref_size 0
		.amdhsa_round_robin_scheduling 0
		.amdhsa_exception_fp_ieee_invalid_op 0
		.amdhsa_exception_fp_denorm_src 0
		.amdhsa_exception_fp_ieee_div_zero 0
		.amdhsa_exception_fp_ieee_overflow 0
		.amdhsa_exception_fp_ieee_underflow 0
		.amdhsa_exception_fp_ieee_inexact 0
		.amdhsa_exception_int_div_zero 0
	.end_amdhsa_kernel
	.section	.text._ZN7rocprim17ROCPRIM_400000_NS6detail17trampoline_kernelINS0_14default_configENS1_38merge_sort_block_merge_config_selectorIsNS0_10empty_typeEEEZZNS1_27merge_sort_block_merge_implIS3_PsPS5_jNS1_19radix_merge_compareILb1ELb0EsNS0_19identity_decomposerEEEEE10hipError_tT0_T1_T2_jT3_P12ihipStream_tbPNSt15iterator_traitsISE_E10value_typeEPNSK_ISF_E10value_typeEPSG_NS1_7vsmem_tEENKUlT_SE_SF_SG_E_clIS8_S8_S9_S9_EESD_ST_SE_SF_SG_EUlST_E1_NS1_11comp_targetILNS1_3genE4ELNS1_11target_archE910ELNS1_3gpuE8ELNS1_3repE0EEENS1_36merge_oddeven_config_static_selectorELNS0_4arch9wavefront6targetE0EEEvSF_,"axG",@progbits,_ZN7rocprim17ROCPRIM_400000_NS6detail17trampoline_kernelINS0_14default_configENS1_38merge_sort_block_merge_config_selectorIsNS0_10empty_typeEEEZZNS1_27merge_sort_block_merge_implIS3_PsPS5_jNS1_19radix_merge_compareILb1ELb0EsNS0_19identity_decomposerEEEEE10hipError_tT0_T1_T2_jT3_P12ihipStream_tbPNSt15iterator_traitsISE_E10value_typeEPNSK_ISF_E10value_typeEPSG_NS1_7vsmem_tEENKUlT_SE_SF_SG_E_clIS8_S8_S9_S9_EESD_ST_SE_SF_SG_EUlST_E1_NS1_11comp_targetILNS1_3genE4ELNS1_11target_archE910ELNS1_3gpuE8ELNS1_3repE0EEENS1_36merge_oddeven_config_static_selectorELNS0_4arch9wavefront6targetE0EEEvSF_,comdat
.Lfunc_end539:
	.size	_ZN7rocprim17ROCPRIM_400000_NS6detail17trampoline_kernelINS0_14default_configENS1_38merge_sort_block_merge_config_selectorIsNS0_10empty_typeEEEZZNS1_27merge_sort_block_merge_implIS3_PsPS5_jNS1_19radix_merge_compareILb1ELb0EsNS0_19identity_decomposerEEEEE10hipError_tT0_T1_T2_jT3_P12ihipStream_tbPNSt15iterator_traitsISE_E10value_typeEPNSK_ISF_E10value_typeEPSG_NS1_7vsmem_tEENKUlT_SE_SF_SG_E_clIS8_S8_S9_S9_EESD_ST_SE_SF_SG_EUlST_E1_NS1_11comp_targetILNS1_3genE4ELNS1_11target_archE910ELNS1_3gpuE8ELNS1_3repE0EEENS1_36merge_oddeven_config_static_selectorELNS0_4arch9wavefront6targetE0EEEvSF_, .Lfunc_end539-_ZN7rocprim17ROCPRIM_400000_NS6detail17trampoline_kernelINS0_14default_configENS1_38merge_sort_block_merge_config_selectorIsNS0_10empty_typeEEEZZNS1_27merge_sort_block_merge_implIS3_PsPS5_jNS1_19radix_merge_compareILb1ELb0EsNS0_19identity_decomposerEEEEE10hipError_tT0_T1_T2_jT3_P12ihipStream_tbPNSt15iterator_traitsISE_E10value_typeEPNSK_ISF_E10value_typeEPSG_NS1_7vsmem_tEENKUlT_SE_SF_SG_E_clIS8_S8_S9_S9_EESD_ST_SE_SF_SG_EUlST_E1_NS1_11comp_targetILNS1_3genE4ELNS1_11target_archE910ELNS1_3gpuE8ELNS1_3repE0EEENS1_36merge_oddeven_config_static_selectorELNS0_4arch9wavefront6targetE0EEEvSF_
                                        ; -- End function
	.set _ZN7rocprim17ROCPRIM_400000_NS6detail17trampoline_kernelINS0_14default_configENS1_38merge_sort_block_merge_config_selectorIsNS0_10empty_typeEEEZZNS1_27merge_sort_block_merge_implIS3_PsPS5_jNS1_19radix_merge_compareILb1ELb0EsNS0_19identity_decomposerEEEEE10hipError_tT0_T1_T2_jT3_P12ihipStream_tbPNSt15iterator_traitsISE_E10value_typeEPNSK_ISF_E10value_typeEPSG_NS1_7vsmem_tEENKUlT_SE_SF_SG_E_clIS8_S8_S9_S9_EESD_ST_SE_SF_SG_EUlST_E1_NS1_11comp_targetILNS1_3genE4ELNS1_11target_archE910ELNS1_3gpuE8ELNS1_3repE0EEENS1_36merge_oddeven_config_static_selectorELNS0_4arch9wavefront6targetE0EEEvSF_.num_vgpr, 0
	.set _ZN7rocprim17ROCPRIM_400000_NS6detail17trampoline_kernelINS0_14default_configENS1_38merge_sort_block_merge_config_selectorIsNS0_10empty_typeEEEZZNS1_27merge_sort_block_merge_implIS3_PsPS5_jNS1_19radix_merge_compareILb1ELb0EsNS0_19identity_decomposerEEEEE10hipError_tT0_T1_T2_jT3_P12ihipStream_tbPNSt15iterator_traitsISE_E10value_typeEPNSK_ISF_E10value_typeEPSG_NS1_7vsmem_tEENKUlT_SE_SF_SG_E_clIS8_S8_S9_S9_EESD_ST_SE_SF_SG_EUlST_E1_NS1_11comp_targetILNS1_3genE4ELNS1_11target_archE910ELNS1_3gpuE8ELNS1_3repE0EEENS1_36merge_oddeven_config_static_selectorELNS0_4arch9wavefront6targetE0EEEvSF_.num_agpr, 0
	.set _ZN7rocprim17ROCPRIM_400000_NS6detail17trampoline_kernelINS0_14default_configENS1_38merge_sort_block_merge_config_selectorIsNS0_10empty_typeEEEZZNS1_27merge_sort_block_merge_implIS3_PsPS5_jNS1_19radix_merge_compareILb1ELb0EsNS0_19identity_decomposerEEEEE10hipError_tT0_T1_T2_jT3_P12ihipStream_tbPNSt15iterator_traitsISE_E10value_typeEPNSK_ISF_E10value_typeEPSG_NS1_7vsmem_tEENKUlT_SE_SF_SG_E_clIS8_S8_S9_S9_EESD_ST_SE_SF_SG_EUlST_E1_NS1_11comp_targetILNS1_3genE4ELNS1_11target_archE910ELNS1_3gpuE8ELNS1_3repE0EEENS1_36merge_oddeven_config_static_selectorELNS0_4arch9wavefront6targetE0EEEvSF_.numbered_sgpr, 0
	.set _ZN7rocprim17ROCPRIM_400000_NS6detail17trampoline_kernelINS0_14default_configENS1_38merge_sort_block_merge_config_selectorIsNS0_10empty_typeEEEZZNS1_27merge_sort_block_merge_implIS3_PsPS5_jNS1_19radix_merge_compareILb1ELb0EsNS0_19identity_decomposerEEEEE10hipError_tT0_T1_T2_jT3_P12ihipStream_tbPNSt15iterator_traitsISE_E10value_typeEPNSK_ISF_E10value_typeEPSG_NS1_7vsmem_tEENKUlT_SE_SF_SG_E_clIS8_S8_S9_S9_EESD_ST_SE_SF_SG_EUlST_E1_NS1_11comp_targetILNS1_3genE4ELNS1_11target_archE910ELNS1_3gpuE8ELNS1_3repE0EEENS1_36merge_oddeven_config_static_selectorELNS0_4arch9wavefront6targetE0EEEvSF_.num_named_barrier, 0
	.set _ZN7rocprim17ROCPRIM_400000_NS6detail17trampoline_kernelINS0_14default_configENS1_38merge_sort_block_merge_config_selectorIsNS0_10empty_typeEEEZZNS1_27merge_sort_block_merge_implIS3_PsPS5_jNS1_19radix_merge_compareILb1ELb0EsNS0_19identity_decomposerEEEEE10hipError_tT0_T1_T2_jT3_P12ihipStream_tbPNSt15iterator_traitsISE_E10value_typeEPNSK_ISF_E10value_typeEPSG_NS1_7vsmem_tEENKUlT_SE_SF_SG_E_clIS8_S8_S9_S9_EESD_ST_SE_SF_SG_EUlST_E1_NS1_11comp_targetILNS1_3genE4ELNS1_11target_archE910ELNS1_3gpuE8ELNS1_3repE0EEENS1_36merge_oddeven_config_static_selectorELNS0_4arch9wavefront6targetE0EEEvSF_.private_seg_size, 0
	.set _ZN7rocprim17ROCPRIM_400000_NS6detail17trampoline_kernelINS0_14default_configENS1_38merge_sort_block_merge_config_selectorIsNS0_10empty_typeEEEZZNS1_27merge_sort_block_merge_implIS3_PsPS5_jNS1_19radix_merge_compareILb1ELb0EsNS0_19identity_decomposerEEEEE10hipError_tT0_T1_T2_jT3_P12ihipStream_tbPNSt15iterator_traitsISE_E10value_typeEPNSK_ISF_E10value_typeEPSG_NS1_7vsmem_tEENKUlT_SE_SF_SG_E_clIS8_S8_S9_S9_EESD_ST_SE_SF_SG_EUlST_E1_NS1_11comp_targetILNS1_3genE4ELNS1_11target_archE910ELNS1_3gpuE8ELNS1_3repE0EEENS1_36merge_oddeven_config_static_selectorELNS0_4arch9wavefront6targetE0EEEvSF_.uses_vcc, 0
	.set _ZN7rocprim17ROCPRIM_400000_NS6detail17trampoline_kernelINS0_14default_configENS1_38merge_sort_block_merge_config_selectorIsNS0_10empty_typeEEEZZNS1_27merge_sort_block_merge_implIS3_PsPS5_jNS1_19radix_merge_compareILb1ELb0EsNS0_19identity_decomposerEEEEE10hipError_tT0_T1_T2_jT3_P12ihipStream_tbPNSt15iterator_traitsISE_E10value_typeEPNSK_ISF_E10value_typeEPSG_NS1_7vsmem_tEENKUlT_SE_SF_SG_E_clIS8_S8_S9_S9_EESD_ST_SE_SF_SG_EUlST_E1_NS1_11comp_targetILNS1_3genE4ELNS1_11target_archE910ELNS1_3gpuE8ELNS1_3repE0EEENS1_36merge_oddeven_config_static_selectorELNS0_4arch9wavefront6targetE0EEEvSF_.uses_flat_scratch, 0
	.set _ZN7rocprim17ROCPRIM_400000_NS6detail17trampoline_kernelINS0_14default_configENS1_38merge_sort_block_merge_config_selectorIsNS0_10empty_typeEEEZZNS1_27merge_sort_block_merge_implIS3_PsPS5_jNS1_19radix_merge_compareILb1ELb0EsNS0_19identity_decomposerEEEEE10hipError_tT0_T1_T2_jT3_P12ihipStream_tbPNSt15iterator_traitsISE_E10value_typeEPNSK_ISF_E10value_typeEPSG_NS1_7vsmem_tEENKUlT_SE_SF_SG_E_clIS8_S8_S9_S9_EESD_ST_SE_SF_SG_EUlST_E1_NS1_11comp_targetILNS1_3genE4ELNS1_11target_archE910ELNS1_3gpuE8ELNS1_3repE0EEENS1_36merge_oddeven_config_static_selectorELNS0_4arch9wavefront6targetE0EEEvSF_.has_dyn_sized_stack, 0
	.set _ZN7rocprim17ROCPRIM_400000_NS6detail17trampoline_kernelINS0_14default_configENS1_38merge_sort_block_merge_config_selectorIsNS0_10empty_typeEEEZZNS1_27merge_sort_block_merge_implIS3_PsPS5_jNS1_19radix_merge_compareILb1ELb0EsNS0_19identity_decomposerEEEEE10hipError_tT0_T1_T2_jT3_P12ihipStream_tbPNSt15iterator_traitsISE_E10value_typeEPNSK_ISF_E10value_typeEPSG_NS1_7vsmem_tEENKUlT_SE_SF_SG_E_clIS8_S8_S9_S9_EESD_ST_SE_SF_SG_EUlST_E1_NS1_11comp_targetILNS1_3genE4ELNS1_11target_archE910ELNS1_3gpuE8ELNS1_3repE0EEENS1_36merge_oddeven_config_static_selectorELNS0_4arch9wavefront6targetE0EEEvSF_.has_recursion, 0
	.set _ZN7rocprim17ROCPRIM_400000_NS6detail17trampoline_kernelINS0_14default_configENS1_38merge_sort_block_merge_config_selectorIsNS0_10empty_typeEEEZZNS1_27merge_sort_block_merge_implIS3_PsPS5_jNS1_19radix_merge_compareILb1ELb0EsNS0_19identity_decomposerEEEEE10hipError_tT0_T1_T2_jT3_P12ihipStream_tbPNSt15iterator_traitsISE_E10value_typeEPNSK_ISF_E10value_typeEPSG_NS1_7vsmem_tEENKUlT_SE_SF_SG_E_clIS8_S8_S9_S9_EESD_ST_SE_SF_SG_EUlST_E1_NS1_11comp_targetILNS1_3genE4ELNS1_11target_archE910ELNS1_3gpuE8ELNS1_3repE0EEENS1_36merge_oddeven_config_static_selectorELNS0_4arch9wavefront6targetE0EEEvSF_.has_indirect_call, 0
	.section	.AMDGPU.csdata,"",@progbits
; Kernel info:
; codeLenInByte = 0
; TotalNumSgprs: 0
; NumVgprs: 0
; ScratchSize: 0
; MemoryBound: 0
; FloatMode: 240
; IeeeMode: 1
; LDSByteSize: 0 bytes/workgroup (compile time only)
; SGPRBlocks: 0
; VGPRBlocks: 0
; NumSGPRsForWavesPerEU: 1
; NumVGPRsForWavesPerEU: 1
; NamedBarCnt: 0
; Occupancy: 16
; WaveLimiterHint : 0
; COMPUTE_PGM_RSRC2:SCRATCH_EN: 0
; COMPUTE_PGM_RSRC2:USER_SGPR: 2
; COMPUTE_PGM_RSRC2:TRAP_HANDLER: 0
; COMPUTE_PGM_RSRC2:TGID_X_EN: 1
; COMPUTE_PGM_RSRC2:TGID_Y_EN: 0
; COMPUTE_PGM_RSRC2:TGID_Z_EN: 0
; COMPUTE_PGM_RSRC2:TIDIG_COMP_CNT: 0
	.section	.text._ZN7rocprim17ROCPRIM_400000_NS6detail17trampoline_kernelINS0_14default_configENS1_38merge_sort_block_merge_config_selectorIsNS0_10empty_typeEEEZZNS1_27merge_sort_block_merge_implIS3_PsPS5_jNS1_19radix_merge_compareILb1ELb0EsNS0_19identity_decomposerEEEEE10hipError_tT0_T1_T2_jT3_P12ihipStream_tbPNSt15iterator_traitsISE_E10value_typeEPNSK_ISF_E10value_typeEPSG_NS1_7vsmem_tEENKUlT_SE_SF_SG_E_clIS8_S8_S9_S9_EESD_ST_SE_SF_SG_EUlST_E1_NS1_11comp_targetILNS1_3genE3ELNS1_11target_archE908ELNS1_3gpuE7ELNS1_3repE0EEENS1_36merge_oddeven_config_static_selectorELNS0_4arch9wavefront6targetE0EEEvSF_,"axG",@progbits,_ZN7rocprim17ROCPRIM_400000_NS6detail17trampoline_kernelINS0_14default_configENS1_38merge_sort_block_merge_config_selectorIsNS0_10empty_typeEEEZZNS1_27merge_sort_block_merge_implIS3_PsPS5_jNS1_19radix_merge_compareILb1ELb0EsNS0_19identity_decomposerEEEEE10hipError_tT0_T1_T2_jT3_P12ihipStream_tbPNSt15iterator_traitsISE_E10value_typeEPNSK_ISF_E10value_typeEPSG_NS1_7vsmem_tEENKUlT_SE_SF_SG_E_clIS8_S8_S9_S9_EESD_ST_SE_SF_SG_EUlST_E1_NS1_11comp_targetILNS1_3genE3ELNS1_11target_archE908ELNS1_3gpuE7ELNS1_3repE0EEENS1_36merge_oddeven_config_static_selectorELNS0_4arch9wavefront6targetE0EEEvSF_,comdat
	.protected	_ZN7rocprim17ROCPRIM_400000_NS6detail17trampoline_kernelINS0_14default_configENS1_38merge_sort_block_merge_config_selectorIsNS0_10empty_typeEEEZZNS1_27merge_sort_block_merge_implIS3_PsPS5_jNS1_19radix_merge_compareILb1ELb0EsNS0_19identity_decomposerEEEEE10hipError_tT0_T1_T2_jT3_P12ihipStream_tbPNSt15iterator_traitsISE_E10value_typeEPNSK_ISF_E10value_typeEPSG_NS1_7vsmem_tEENKUlT_SE_SF_SG_E_clIS8_S8_S9_S9_EESD_ST_SE_SF_SG_EUlST_E1_NS1_11comp_targetILNS1_3genE3ELNS1_11target_archE908ELNS1_3gpuE7ELNS1_3repE0EEENS1_36merge_oddeven_config_static_selectorELNS0_4arch9wavefront6targetE0EEEvSF_ ; -- Begin function _ZN7rocprim17ROCPRIM_400000_NS6detail17trampoline_kernelINS0_14default_configENS1_38merge_sort_block_merge_config_selectorIsNS0_10empty_typeEEEZZNS1_27merge_sort_block_merge_implIS3_PsPS5_jNS1_19radix_merge_compareILb1ELb0EsNS0_19identity_decomposerEEEEE10hipError_tT0_T1_T2_jT3_P12ihipStream_tbPNSt15iterator_traitsISE_E10value_typeEPNSK_ISF_E10value_typeEPSG_NS1_7vsmem_tEENKUlT_SE_SF_SG_E_clIS8_S8_S9_S9_EESD_ST_SE_SF_SG_EUlST_E1_NS1_11comp_targetILNS1_3genE3ELNS1_11target_archE908ELNS1_3gpuE7ELNS1_3repE0EEENS1_36merge_oddeven_config_static_selectorELNS0_4arch9wavefront6targetE0EEEvSF_
	.globl	_ZN7rocprim17ROCPRIM_400000_NS6detail17trampoline_kernelINS0_14default_configENS1_38merge_sort_block_merge_config_selectorIsNS0_10empty_typeEEEZZNS1_27merge_sort_block_merge_implIS3_PsPS5_jNS1_19radix_merge_compareILb1ELb0EsNS0_19identity_decomposerEEEEE10hipError_tT0_T1_T2_jT3_P12ihipStream_tbPNSt15iterator_traitsISE_E10value_typeEPNSK_ISF_E10value_typeEPSG_NS1_7vsmem_tEENKUlT_SE_SF_SG_E_clIS8_S8_S9_S9_EESD_ST_SE_SF_SG_EUlST_E1_NS1_11comp_targetILNS1_3genE3ELNS1_11target_archE908ELNS1_3gpuE7ELNS1_3repE0EEENS1_36merge_oddeven_config_static_selectorELNS0_4arch9wavefront6targetE0EEEvSF_
	.p2align	8
	.type	_ZN7rocprim17ROCPRIM_400000_NS6detail17trampoline_kernelINS0_14default_configENS1_38merge_sort_block_merge_config_selectorIsNS0_10empty_typeEEEZZNS1_27merge_sort_block_merge_implIS3_PsPS5_jNS1_19radix_merge_compareILb1ELb0EsNS0_19identity_decomposerEEEEE10hipError_tT0_T1_T2_jT3_P12ihipStream_tbPNSt15iterator_traitsISE_E10value_typeEPNSK_ISF_E10value_typeEPSG_NS1_7vsmem_tEENKUlT_SE_SF_SG_E_clIS8_S8_S9_S9_EESD_ST_SE_SF_SG_EUlST_E1_NS1_11comp_targetILNS1_3genE3ELNS1_11target_archE908ELNS1_3gpuE7ELNS1_3repE0EEENS1_36merge_oddeven_config_static_selectorELNS0_4arch9wavefront6targetE0EEEvSF_,@function
_ZN7rocprim17ROCPRIM_400000_NS6detail17trampoline_kernelINS0_14default_configENS1_38merge_sort_block_merge_config_selectorIsNS0_10empty_typeEEEZZNS1_27merge_sort_block_merge_implIS3_PsPS5_jNS1_19radix_merge_compareILb1ELb0EsNS0_19identity_decomposerEEEEE10hipError_tT0_T1_T2_jT3_P12ihipStream_tbPNSt15iterator_traitsISE_E10value_typeEPNSK_ISF_E10value_typeEPSG_NS1_7vsmem_tEENKUlT_SE_SF_SG_E_clIS8_S8_S9_S9_EESD_ST_SE_SF_SG_EUlST_E1_NS1_11comp_targetILNS1_3genE3ELNS1_11target_archE908ELNS1_3gpuE7ELNS1_3repE0EEENS1_36merge_oddeven_config_static_selectorELNS0_4arch9wavefront6targetE0EEEvSF_: ; @_ZN7rocprim17ROCPRIM_400000_NS6detail17trampoline_kernelINS0_14default_configENS1_38merge_sort_block_merge_config_selectorIsNS0_10empty_typeEEEZZNS1_27merge_sort_block_merge_implIS3_PsPS5_jNS1_19radix_merge_compareILb1ELb0EsNS0_19identity_decomposerEEEEE10hipError_tT0_T1_T2_jT3_P12ihipStream_tbPNSt15iterator_traitsISE_E10value_typeEPNSK_ISF_E10value_typeEPSG_NS1_7vsmem_tEENKUlT_SE_SF_SG_E_clIS8_S8_S9_S9_EESD_ST_SE_SF_SG_EUlST_E1_NS1_11comp_targetILNS1_3genE3ELNS1_11target_archE908ELNS1_3gpuE7ELNS1_3repE0EEENS1_36merge_oddeven_config_static_selectorELNS0_4arch9wavefront6targetE0EEEvSF_
; %bb.0:
	.section	.rodata,"a",@progbits
	.p2align	6, 0x0
	.amdhsa_kernel _ZN7rocprim17ROCPRIM_400000_NS6detail17trampoline_kernelINS0_14default_configENS1_38merge_sort_block_merge_config_selectorIsNS0_10empty_typeEEEZZNS1_27merge_sort_block_merge_implIS3_PsPS5_jNS1_19radix_merge_compareILb1ELb0EsNS0_19identity_decomposerEEEEE10hipError_tT0_T1_T2_jT3_P12ihipStream_tbPNSt15iterator_traitsISE_E10value_typeEPNSK_ISF_E10value_typeEPSG_NS1_7vsmem_tEENKUlT_SE_SF_SG_E_clIS8_S8_S9_S9_EESD_ST_SE_SF_SG_EUlST_E1_NS1_11comp_targetILNS1_3genE3ELNS1_11target_archE908ELNS1_3gpuE7ELNS1_3repE0EEENS1_36merge_oddeven_config_static_selectorELNS0_4arch9wavefront6targetE0EEEvSF_
		.amdhsa_group_segment_fixed_size 0
		.amdhsa_private_segment_fixed_size 0
		.amdhsa_kernarg_size 48
		.amdhsa_user_sgpr_count 2
		.amdhsa_user_sgpr_dispatch_ptr 0
		.amdhsa_user_sgpr_queue_ptr 0
		.amdhsa_user_sgpr_kernarg_segment_ptr 1
		.amdhsa_user_sgpr_dispatch_id 0
		.amdhsa_user_sgpr_kernarg_preload_length 0
		.amdhsa_user_sgpr_kernarg_preload_offset 0
		.amdhsa_user_sgpr_private_segment_size 0
		.amdhsa_wavefront_size32 1
		.amdhsa_uses_dynamic_stack 0
		.amdhsa_enable_private_segment 0
		.amdhsa_system_sgpr_workgroup_id_x 1
		.amdhsa_system_sgpr_workgroup_id_y 0
		.amdhsa_system_sgpr_workgroup_id_z 0
		.amdhsa_system_sgpr_workgroup_info 0
		.amdhsa_system_vgpr_workitem_id 0
		.amdhsa_next_free_vgpr 1
		.amdhsa_next_free_sgpr 1
		.amdhsa_named_barrier_count 0
		.amdhsa_reserve_vcc 0
		.amdhsa_float_round_mode_32 0
		.amdhsa_float_round_mode_16_64 0
		.amdhsa_float_denorm_mode_32 3
		.amdhsa_float_denorm_mode_16_64 3
		.amdhsa_fp16_overflow 0
		.amdhsa_memory_ordered 1
		.amdhsa_forward_progress 1
		.amdhsa_inst_pref_size 0
		.amdhsa_round_robin_scheduling 0
		.amdhsa_exception_fp_ieee_invalid_op 0
		.amdhsa_exception_fp_denorm_src 0
		.amdhsa_exception_fp_ieee_div_zero 0
		.amdhsa_exception_fp_ieee_overflow 0
		.amdhsa_exception_fp_ieee_underflow 0
		.amdhsa_exception_fp_ieee_inexact 0
		.amdhsa_exception_int_div_zero 0
	.end_amdhsa_kernel
	.section	.text._ZN7rocprim17ROCPRIM_400000_NS6detail17trampoline_kernelINS0_14default_configENS1_38merge_sort_block_merge_config_selectorIsNS0_10empty_typeEEEZZNS1_27merge_sort_block_merge_implIS3_PsPS5_jNS1_19radix_merge_compareILb1ELb0EsNS0_19identity_decomposerEEEEE10hipError_tT0_T1_T2_jT3_P12ihipStream_tbPNSt15iterator_traitsISE_E10value_typeEPNSK_ISF_E10value_typeEPSG_NS1_7vsmem_tEENKUlT_SE_SF_SG_E_clIS8_S8_S9_S9_EESD_ST_SE_SF_SG_EUlST_E1_NS1_11comp_targetILNS1_3genE3ELNS1_11target_archE908ELNS1_3gpuE7ELNS1_3repE0EEENS1_36merge_oddeven_config_static_selectorELNS0_4arch9wavefront6targetE0EEEvSF_,"axG",@progbits,_ZN7rocprim17ROCPRIM_400000_NS6detail17trampoline_kernelINS0_14default_configENS1_38merge_sort_block_merge_config_selectorIsNS0_10empty_typeEEEZZNS1_27merge_sort_block_merge_implIS3_PsPS5_jNS1_19radix_merge_compareILb1ELb0EsNS0_19identity_decomposerEEEEE10hipError_tT0_T1_T2_jT3_P12ihipStream_tbPNSt15iterator_traitsISE_E10value_typeEPNSK_ISF_E10value_typeEPSG_NS1_7vsmem_tEENKUlT_SE_SF_SG_E_clIS8_S8_S9_S9_EESD_ST_SE_SF_SG_EUlST_E1_NS1_11comp_targetILNS1_3genE3ELNS1_11target_archE908ELNS1_3gpuE7ELNS1_3repE0EEENS1_36merge_oddeven_config_static_selectorELNS0_4arch9wavefront6targetE0EEEvSF_,comdat
.Lfunc_end540:
	.size	_ZN7rocprim17ROCPRIM_400000_NS6detail17trampoline_kernelINS0_14default_configENS1_38merge_sort_block_merge_config_selectorIsNS0_10empty_typeEEEZZNS1_27merge_sort_block_merge_implIS3_PsPS5_jNS1_19radix_merge_compareILb1ELb0EsNS0_19identity_decomposerEEEEE10hipError_tT0_T1_T2_jT3_P12ihipStream_tbPNSt15iterator_traitsISE_E10value_typeEPNSK_ISF_E10value_typeEPSG_NS1_7vsmem_tEENKUlT_SE_SF_SG_E_clIS8_S8_S9_S9_EESD_ST_SE_SF_SG_EUlST_E1_NS1_11comp_targetILNS1_3genE3ELNS1_11target_archE908ELNS1_3gpuE7ELNS1_3repE0EEENS1_36merge_oddeven_config_static_selectorELNS0_4arch9wavefront6targetE0EEEvSF_, .Lfunc_end540-_ZN7rocprim17ROCPRIM_400000_NS6detail17trampoline_kernelINS0_14default_configENS1_38merge_sort_block_merge_config_selectorIsNS0_10empty_typeEEEZZNS1_27merge_sort_block_merge_implIS3_PsPS5_jNS1_19radix_merge_compareILb1ELb0EsNS0_19identity_decomposerEEEEE10hipError_tT0_T1_T2_jT3_P12ihipStream_tbPNSt15iterator_traitsISE_E10value_typeEPNSK_ISF_E10value_typeEPSG_NS1_7vsmem_tEENKUlT_SE_SF_SG_E_clIS8_S8_S9_S9_EESD_ST_SE_SF_SG_EUlST_E1_NS1_11comp_targetILNS1_3genE3ELNS1_11target_archE908ELNS1_3gpuE7ELNS1_3repE0EEENS1_36merge_oddeven_config_static_selectorELNS0_4arch9wavefront6targetE0EEEvSF_
                                        ; -- End function
	.set _ZN7rocprim17ROCPRIM_400000_NS6detail17trampoline_kernelINS0_14default_configENS1_38merge_sort_block_merge_config_selectorIsNS0_10empty_typeEEEZZNS1_27merge_sort_block_merge_implIS3_PsPS5_jNS1_19radix_merge_compareILb1ELb0EsNS0_19identity_decomposerEEEEE10hipError_tT0_T1_T2_jT3_P12ihipStream_tbPNSt15iterator_traitsISE_E10value_typeEPNSK_ISF_E10value_typeEPSG_NS1_7vsmem_tEENKUlT_SE_SF_SG_E_clIS8_S8_S9_S9_EESD_ST_SE_SF_SG_EUlST_E1_NS1_11comp_targetILNS1_3genE3ELNS1_11target_archE908ELNS1_3gpuE7ELNS1_3repE0EEENS1_36merge_oddeven_config_static_selectorELNS0_4arch9wavefront6targetE0EEEvSF_.num_vgpr, 0
	.set _ZN7rocprim17ROCPRIM_400000_NS6detail17trampoline_kernelINS0_14default_configENS1_38merge_sort_block_merge_config_selectorIsNS0_10empty_typeEEEZZNS1_27merge_sort_block_merge_implIS3_PsPS5_jNS1_19radix_merge_compareILb1ELb0EsNS0_19identity_decomposerEEEEE10hipError_tT0_T1_T2_jT3_P12ihipStream_tbPNSt15iterator_traitsISE_E10value_typeEPNSK_ISF_E10value_typeEPSG_NS1_7vsmem_tEENKUlT_SE_SF_SG_E_clIS8_S8_S9_S9_EESD_ST_SE_SF_SG_EUlST_E1_NS1_11comp_targetILNS1_3genE3ELNS1_11target_archE908ELNS1_3gpuE7ELNS1_3repE0EEENS1_36merge_oddeven_config_static_selectorELNS0_4arch9wavefront6targetE0EEEvSF_.num_agpr, 0
	.set _ZN7rocprim17ROCPRIM_400000_NS6detail17trampoline_kernelINS0_14default_configENS1_38merge_sort_block_merge_config_selectorIsNS0_10empty_typeEEEZZNS1_27merge_sort_block_merge_implIS3_PsPS5_jNS1_19radix_merge_compareILb1ELb0EsNS0_19identity_decomposerEEEEE10hipError_tT0_T1_T2_jT3_P12ihipStream_tbPNSt15iterator_traitsISE_E10value_typeEPNSK_ISF_E10value_typeEPSG_NS1_7vsmem_tEENKUlT_SE_SF_SG_E_clIS8_S8_S9_S9_EESD_ST_SE_SF_SG_EUlST_E1_NS1_11comp_targetILNS1_3genE3ELNS1_11target_archE908ELNS1_3gpuE7ELNS1_3repE0EEENS1_36merge_oddeven_config_static_selectorELNS0_4arch9wavefront6targetE0EEEvSF_.numbered_sgpr, 0
	.set _ZN7rocprim17ROCPRIM_400000_NS6detail17trampoline_kernelINS0_14default_configENS1_38merge_sort_block_merge_config_selectorIsNS0_10empty_typeEEEZZNS1_27merge_sort_block_merge_implIS3_PsPS5_jNS1_19radix_merge_compareILb1ELb0EsNS0_19identity_decomposerEEEEE10hipError_tT0_T1_T2_jT3_P12ihipStream_tbPNSt15iterator_traitsISE_E10value_typeEPNSK_ISF_E10value_typeEPSG_NS1_7vsmem_tEENKUlT_SE_SF_SG_E_clIS8_S8_S9_S9_EESD_ST_SE_SF_SG_EUlST_E1_NS1_11comp_targetILNS1_3genE3ELNS1_11target_archE908ELNS1_3gpuE7ELNS1_3repE0EEENS1_36merge_oddeven_config_static_selectorELNS0_4arch9wavefront6targetE0EEEvSF_.num_named_barrier, 0
	.set _ZN7rocprim17ROCPRIM_400000_NS6detail17trampoline_kernelINS0_14default_configENS1_38merge_sort_block_merge_config_selectorIsNS0_10empty_typeEEEZZNS1_27merge_sort_block_merge_implIS3_PsPS5_jNS1_19radix_merge_compareILb1ELb0EsNS0_19identity_decomposerEEEEE10hipError_tT0_T1_T2_jT3_P12ihipStream_tbPNSt15iterator_traitsISE_E10value_typeEPNSK_ISF_E10value_typeEPSG_NS1_7vsmem_tEENKUlT_SE_SF_SG_E_clIS8_S8_S9_S9_EESD_ST_SE_SF_SG_EUlST_E1_NS1_11comp_targetILNS1_3genE3ELNS1_11target_archE908ELNS1_3gpuE7ELNS1_3repE0EEENS1_36merge_oddeven_config_static_selectorELNS0_4arch9wavefront6targetE0EEEvSF_.private_seg_size, 0
	.set _ZN7rocprim17ROCPRIM_400000_NS6detail17trampoline_kernelINS0_14default_configENS1_38merge_sort_block_merge_config_selectorIsNS0_10empty_typeEEEZZNS1_27merge_sort_block_merge_implIS3_PsPS5_jNS1_19radix_merge_compareILb1ELb0EsNS0_19identity_decomposerEEEEE10hipError_tT0_T1_T2_jT3_P12ihipStream_tbPNSt15iterator_traitsISE_E10value_typeEPNSK_ISF_E10value_typeEPSG_NS1_7vsmem_tEENKUlT_SE_SF_SG_E_clIS8_S8_S9_S9_EESD_ST_SE_SF_SG_EUlST_E1_NS1_11comp_targetILNS1_3genE3ELNS1_11target_archE908ELNS1_3gpuE7ELNS1_3repE0EEENS1_36merge_oddeven_config_static_selectorELNS0_4arch9wavefront6targetE0EEEvSF_.uses_vcc, 0
	.set _ZN7rocprim17ROCPRIM_400000_NS6detail17trampoline_kernelINS0_14default_configENS1_38merge_sort_block_merge_config_selectorIsNS0_10empty_typeEEEZZNS1_27merge_sort_block_merge_implIS3_PsPS5_jNS1_19radix_merge_compareILb1ELb0EsNS0_19identity_decomposerEEEEE10hipError_tT0_T1_T2_jT3_P12ihipStream_tbPNSt15iterator_traitsISE_E10value_typeEPNSK_ISF_E10value_typeEPSG_NS1_7vsmem_tEENKUlT_SE_SF_SG_E_clIS8_S8_S9_S9_EESD_ST_SE_SF_SG_EUlST_E1_NS1_11comp_targetILNS1_3genE3ELNS1_11target_archE908ELNS1_3gpuE7ELNS1_3repE0EEENS1_36merge_oddeven_config_static_selectorELNS0_4arch9wavefront6targetE0EEEvSF_.uses_flat_scratch, 0
	.set _ZN7rocprim17ROCPRIM_400000_NS6detail17trampoline_kernelINS0_14default_configENS1_38merge_sort_block_merge_config_selectorIsNS0_10empty_typeEEEZZNS1_27merge_sort_block_merge_implIS3_PsPS5_jNS1_19radix_merge_compareILb1ELb0EsNS0_19identity_decomposerEEEEE10hipError_tT0_T1_T2_jT3_P12ihipStream_tbPNSt15iterator_traitsISE_E10value_typeEPNSK_ISF_E10value_typeEPSG_NS1_7vsmem_tEENKUlT_SE_SF_SG_E_clIS8_S8_S9_S9_EESD_ST_SE_SF_SG_EUlST_E1_NS1_11comp_targetILNS1_3genE3ELNS1_11target_archE908ELNS1_3gpuE7ELNS1_3repE0EEENS1_36merge_oddeven_config_static_selectorELNS0_4arch9wavefront6targetE0EEEvSF_.has_dyn_sized_stack, 0
	.set _ZN7rocprim17ROCPRIM_400000_NS6detail17trampoline_kernelINS0_14default_configENS1_38merge_sort_block_merge_config_selectorIsNS0_10empty_typeEEEZZNS1_27merge_sort_block_merge_implIS3_PsPS5_jNS1_19radix_merge_compareILb1ELb0EsNS0_19identity_decomposerEEEEE10hipError_tT0_T1_T2_jT3_P12ihipStream_tbPNSt15iterator_traitsISE_E10value_typeEPNSK_ISF_E10value_typeEPSG_NS1_7vsmem_tEENKUlT_SE_SF_SG_E_clIS8_S8_S9_S9_EESD_ST_SE_SF_SG_EUlST_E1_NS1_11comp_targetILNS1_3genE3ELNS1_11target_archE908ELNS1_3gpuE7ELNS1_3repE0EEENS1_36merge_oddeven_config_static_selectorELNS0_4arch9wavefront6targetE0EEEvSF_.has_recursion, 0
	.set _ZN7rocprim17ROCPRIM_400000_NS6detail17trampoline_kernelINS0_14default_configENS1_38merge_sort_block_merge_config_selectorIsNS0_10empty_typeEEEZZNS1_27merge_sort_block_merge_implIS3_PsPS5_jNS1_19radix_merge_compareILb1ELb0EsNS0_19identity_decomposerEEEEE10hipError_tT0_T1_T2_jT3_P12ihipStream_tbPNSt15iterator_traitsISE_E10value_typeEPNSK_ISF_E10value_typeEPSG_NS1_7vsmem_tEENKUlT_SE_SF_SG_E_clIS8_S8_S9_S9_EESD_ST_SE_SF_SG_EUlST_E1_NS1_11comp_targetILNS1_3genE3ELNS1_11target_archE908ELNS1_3gpuE7ELNS1_3repE0EEENS1_36merge_oddeven_config_static_selectorELNS0_4arch9wavefront6targetE0EEEvSF_.has_indirect_call, 0
	.section	.AMDGPU.csdata,"",@progbits
; Kernel info:
; codeLenInByte = 0
; TotalNumSgprs: 0
; NumVgprs: 0
; ScratchSize: 0
; MemoryBound: 0
; FloatMode: 240
; IeeeMode: 1
; LDSByteSize: 0 bytes/workgroup (compile time only)
; SGPRBlocks: 0
; VGPRBlocks: 0
; NumSGPRsForWavesPerEU: 1
; NumVGPRsForWavesPerEU: 1
; NamedBarCnt: 0
; Occupancy: 16
; WaveLimiterHint : 0
; COMPUTE_PGM_RSRC2:SCRATCH_EN: 0
; COMPUTE_PGM_RSRC2:USER_SGPR: 2
; COMPUTE_PGM_RSRC2:TRAP_HANDLER: 0
; COMPUTE_PGM_RSRC2:TGID_X_EN: 1
; COMPUTE_PGM_RSRC2:TGID_Y_EN: 0
; COMPUTE_PGM_RSRC2:TGID_Z_EN: 0
; COMPUTE_PGM_RSRC2:TIDIG_COMP_CNT: 0
	.section	.text._ZN7rocprim17ROCPRIM_400000_NS6detail17trampoline_kernelINS0_14default_configENS1_38merge_sort_block_merge_config_selectorIsNS0_10empty_typeEEEZZNS1_27merge_sort_block_merge_implIS3_PsPS5_jNS1_19radix_merge_compareILb1ELb0EsNS0_19identity_decomposerEEEEE10hipError_tT0_T1_T2_jT3_P12ihipStream_tbPNSt15iterator_traitsISE_E10value_typeEPNSK_ISF_E10value_typeEPSG_NS1_7vsmem_tEENKUlT_SE_SF_SG_E_clIS8_S8_S9_S9_EESD_ST_SE_SF_SG_EUlST_E1_NS1_11comp_targetILNS1_3genE2ELNS1_11target_archE906ELNS1_3gpuE6ELNS1_3repE0EEENS1_36merge_oddeven_config_static_selectorELNS0_4arch9wavefront6targetE0EEEvSF_,"axG",@progbits,_ZN7rocprim17ROCPRIM_400000_NS6detail17trampoline_kernelINS0_14default_configENS1_38merge_sort_block_merge_config_selectorIsNS0_10empty_typeEEEZZNS1_27merge_sort_block_merge_implIS3_PsPS5_jNS1_19radix_merge_compareILb1ELb0EsNS0_19identity_decomposerEEEEE10hipError_tT0_T1_T2_jT3_P12ihipStream_tbPNSt15iterator_traitsISE_E10value_typeEPNSK_ISF_E10value_typeEPSG_NS1_7vsmem_tEENKUlT_SE_SF_SG_E_clIS8_S8_S9_S9_EESD_ST_SE_SF_SG_EUlST_E1_NS1_11comp_targetILNS1_3genE2ELNS1_11target_archE906ELNS1_3gpuE6ELNS1_3repE0EEENS1_36merge_oddeven_config_static_selectorELNS0_4arch9wavefront6targetE0EEEvSF_,comdat
	.protected	_ZN7rocprim17ROCPRIM_400000_NS6detail17trampoline_kernelINS0_14default_configENS1_38merge_sort_block_merge_config_selectorIsNS0_10empty_typeEEEZZNS1_27merge_sort_block_merge_implIS3_PsPS5_jNS1_19radix_merge_compareILb1ELb0EsNS0_19identity_decomposerEEEEE10hipError_tT0_T1_T2_jT3_P12ihipStream_tbPNSt15iterator_traitsISE_E10value_typeEPNSK_ISF_E10value_typeEPSG_NS1_7vsmem_tEENKUlT_SE_SF_SG_E_clIS8_S8_S9_S9_EESD_ST_SE_SF_SG_EUlST_E1_NS1_11comp_targetILNS1_3genE2ELNS1_11target_archE906ELNS1_3gpuE6ELNS1_3repE0EEENS1_36merge_oddeven_config_static_selectorELNS0_4arch9wavefront6targetE0EEEvSF_ ; -- Begin function _ZN7rocprim17ROCPRIM_400000_NS6detail17trampoline_kernelINS0_14default_configENS1_38merge_sort_block_merge_config_selectorIsNS0_10empty_typeEEEZZNS1_27merge_sort_block_merge_implIS3_PsPS5_jNS1_19radix_merge_compareILb1ELb0EsNS0_19identity_decomposerEEEEE10hipError_tT0_T1_T2_jT3_P12ihipStream_tbPNSt15iterator_traitsISE_E10value_typeEPNSK_ISF_E10value_typeEPSG_NS1_7vsmem_tEENKUlT_SE_SF_SG_E_clIS8_S8_S9_S9_EESD_ST_SE_SF_SG_EUlST_E1_NS1_11comp_targetILNS1_3genE2ELNS1_11target_archE906ELNS1_3gpuE6ELNS1_3repE0EEENS1_36merge_oddeven_config_static_selectorELNS0_4arch9wavefront6targetE0EEEvSF_
	.globl	_ZN7rocprim17ROCPRIM_400000_NS6detail17trampoline_kernelINS0_14default_configENS1_38merge_sort_block_merge_config_selectorIsNS0_10empty_typeEEEZZNS1_27merge_sort_block_merge_implIS3_PsPS5_jNS1_19radix_merge_compareILb1ELb0EsNS0_19identity_decomposerEEEEE10hipError_tT0_T1_T2_jT3_P12ihipStream_tbPNSt15iterator_traitsISE_E10value_typeEPNSK_ISF_E10value_typeEPSG_NS1_7vsmem_tEENKUlT_SE_SF_SG_E_clIS8_S8_S9_S9_EESD_ST_SE_SF_SG_EUlST_E1_NS1_11comp_targetILNS1_3genE2ELNS1_11target_archE906ELNS1_3gpuE6ELNS1_3repE0EEENS1_36merge_oddeven_config_static_selectorELNS0_4arch9wavefront6targetE0EEEvSF_
	.p2align	8
	.type	_ZN7rocprim17ROCPRIM_400000_NS6detail17trampoline_kernelINS0_14default_configENS1_38merge_sort_block_merge_config_selectorIsNS0_10empty_typeEEEZZNS1_27merge_sort_block_merge_implIS3_PsPS5_jNS1_19radix_merge_compareILb1ELb0EsNS0_19identity_decomposerEEEEE10hipError_tT0_T1_T2_jT3_P12ihipStream_tbPNSt15iterator_traitsISE_E10value_typeEPNSK_ISF_E10value_typeEPSG_NS1_7vsmem_tEENKUlT_SE_SF_SG_E_clIS8_S8_S9_S9_EESD_ST_SE_SF_SG_EUlST_E1_NS1_11comp_targetILNS1_3genE2ELNS1_11target_archE906ELNS1_3gpuE6ELNS1_3repE0EEENS1_36merge_oddeven_config_static_selectorELNS0_4arch9wavefront6targetE0EEEvSF_,@function
_ZN7rocprim17ROCPRIM_400000_NS6detail17trampoline_kernelINS0_14default_configENS1_38merge_sort_block_merge_config_selectorIsNS0_10empty_typeEEEZZNS1_27merge_sort_block_merge_implIS3_PsPS5_jNS1_19radix_merge_compareILb1ELb0EsNS0_19identity_decomposerEEEEE10hipError_tT0_T1_T2_jT3_P12ihipStream_tbPNSt15iterator_traitsISE_E10value_typeEPNSK_ISF_E10value_typeEPSG_NS1_7vsmem_tEENKUlT_SE_SF_SG_E_clIS8_S8_S9_S9_EESD_ST_SE_SF_SG_EUlST_E1_NS1_11comp_targetILNS1_3genE2ELNS1_11target_archE906ELNS1_3gpuE6ELNS1_3repE0EEENS1_36merge_oddeven_config_static_selectorELNS0_4arch9wavefront6targetE0EEEvSF_: ; @_ZN7rocprim17ROCPRIM_400000_NS6detail17trampoline_kernelINS0_14default_configENS1_38merge_sort_block_merge_config_selectorIsNS0_10empty_typeEEEZZNS1_27merge_sort_block_merge_implIS3_PsPS5_jNS1_19radix_merge_compareILb1ELb0EsNS0_19identity_decomposerEEEEE10hipError_tT0_T1_T2_jT3_P12ihipStream_tbPNSt15iterator_traitsISE_E10value_typeEPNSK_ISF_E10value_typeEPSG_NS1_7vsmem_tEENKUlT_SE_SF_SG_E_clIS8_S8_S9_S9_EESD_ST_SE_SF_SG_EUlST_E1_NS1_11comp_targetILNS1_3genE2ELNS1_11target_archE906ELNS1_3gpuE6ELNS1_3repE0EEENS1_36merge_oddeven_config_static_selectorELNS0_4arch9wavefront6targetE0EEEvSF_
; %bb.0:
	.section	.rodata,"a",@progbits
	.p2align	6, 0x0
	.amdhsa_kernel _ZN7rocprim17ROCPRIM_400000_NS6detail17trampoline_kernelINS0_14default_configENS1_38merge_sort_block_merge_config_selectorIsNS0_10empty_typeEEEZZNS1_27merge_sort_block_merge_implIS3_PsPS5_jNS1_19radix_merge_compareILb1ELb0EsNS0_19identity_decomposerEEEEE10hipError_tT0_T1_T2_jT3_P12ihipStream_tbPNSt15iterator_traitsISE_E10value_typeEPNSK_ISF_E10value_typeEPSG_NS1_7vsmem_tEENKUlT_SE_SF_SG_E_clIS8_S8_S9_S9_EESD_ST_SE_SF_SG_EUlST_E1_NS1_11comp_targetILNS1_3genE2ELNS1_11target_archE906ELNS1_3gpuE6ELNS1_3repE0EEENS1_36merge_oddeven_config_static_selectorELNS0_4arch9wavefront6targetE0EEEvSF_
		.amdhsa_group_segment_fixed_size 0
		.amdhsa_private_segment_fixed_size 0
		.amdhsa_kernarg_size 48
		.amdhsa_user_sgpr_count 2
		.amdhsa_user_sgpr_dispatch_ptr 0
		.amdhsa_user_sgpr_queue_ptr 0
		.amdhsa_user_sgpr_kernarg_segment_ptr 1
		.amdhsa_user_sgpr_dispatch_id 0
		.amdhsa_user_sgpr_kernarg_preload_length 0
		.amdhsa_user_sgpr_kernarg_preload_offset 0
		.amdhsa_user_sgpr_private_segment_size 0
		.amdhsa_wavefront_size32 1
		.amdhsa_uses_dynamic_stack 0
		.amdhsa_enable_private_segment 0
		.amdhsa_system_sgpr_workgroup_id_x 1
		.amdhsa_system_sgpr_workgroup_id_y 0
		.amdhsa_system_sgpr_workgroup_id_z 0
		.amdhsa_system_sgpr_workgroup_info 0
		.amdhsa_system_vgpr_workitem_id 0
		.amdhsa_next_free_vgpr 1
		.amdhsa_next_free_sgpr 1
		.amdhsa_named_barrier_count 0
		.amdhsa_reserve_vcc 0
		.amdhsa_float_round_mode_32 0
		.amdhsa_float_round_mode_16_64 0
		.amdhsa_float_denorm_mode_32 3
		.amdhsa_float_denorm_mode_16_64 3
		.amdhsa_fp16_overflow 0
		.amdhsa_memory_ordered 1
		.amdhsa_forward_progress 1
		.amdhsa_inst_pref_size 0
		.amdhsa_round_robin_scheduling 0
		.amdhsa_exception_fp_ieee_invalid_op 0
		.amdhsa_exception_fp_denorm_src 0
		.amdhsa_exception_fp_ieee_div_zero 0
		.amdhsa_exception_fp_ieee_overflow 0
		.amdhsa_exception_fp_ieee_underflow 0
		.amdhsa_exception_fp_ieee_inexact 0
		.amdhsa_exception_int_div_zero 0
	.end_amdhsa_kernel
	.section	.text._ZN7rocprim17ROCPRIM_400000_NS6detail17trampoline_kernelINS0_14default_configENS1_38merge_sort_block_merge_config_selectorIsNS0_10empty_typeEEEZZNS1_27merge_sort_block_merge_implIS3_PsPS5_jNS1_19radix_merge_compareILb1ELb0EsNS0_19identity_decomposerEEEEE10hipError_tT0_T1_T2_jT3_P12ihipStream_tbPNSt15iterator_traitsISE_E10value_typeEPNSK_ISF_E10value_typeEPSG_NS1_7vsmem_tEENKUlT_SE_SF_SG_E_clIS8_S8_S9_S9_EESD_ST_SE_SF_SG_EUlST_E1_NS1_11comp_targetILNS1_3genE2ELNS1_11target_archE906ELNS1_3gpuE6ELNS1_3repE0EEENS1_36merge_oddeven_config_static_selectorELNS0_4arch9wavefront6targetE0EEEvSF_,"axG",@progbits,_ZN7rocprim17ROCPRIM_400000_NS6detail17trampoline_kernelINS0_14default_configENS1_38merge_sort_block_merge_config_selectorIsNS0_10empty_typeEEEZZNS1_27merge_sort_block_merge_implIS3_PsPS5_jNS1_19radix_merge_compareILb1ELb0EsNS0_19identity_decomposerEEEEE10hipError_tT0_T1_T2_jT3_P12ihipStream_tbPNSt15iterator_traitsISE_E10value_typeEPNSK_ISF_E10value_typeEPSG_NS1_7vsmem_tEENKUlT_SE_SF_SG_E_clIS8_S8_S9_S9_EESD_ST_SE_SF_SG_EUlST_E1_NS1_11comp_targetILNS1_3genE2ELNS1_11target_archE906ELNS1_3gpuE6ELNS1_3repE0EEENS1_36merge_oddeven_config_static_selectorELNS0_4arch9wavefront6targetE0EEEvSF_,comdat
.Lfunc_end541:
	.size	_ZN7rocprim17ROCPRIM_400000_NS6detail17trampoline_kernelINS0_14default_configENS1_38merge_sort_block_merge_config_selectorIsNS0_10empty_typeEEEZZNS1_27merge_sort_block_merge_implIS3_PsPS5_jNS1_19radix_merge_compareILb1ELb0EsNS0_19identity_decomposerEEEEE10hipError_tT0_T1_T2_jT3_P12ihipStream_tbPNSt15iterator_traitsISE_E10value_typeEPNSK_ISF_E10value_typeEPSG_NS1_7vsmem_tEENKUlT_SE_SF_SG_E_clIS8_S8_S9_S9_EESD_ST_SE_SF_SG_EUlST_E1_NS1_11comp_targetILNS1_3genE2ELNS1_11target_archE906ELNS1_3gpuE6ELNS1_3repE0EEENS1_36merge_oddeven_config_static_selectorELNS0_4arch9wavefront6targetE0EEEvSF_, .Lfunc_end541-_ZN7rocprim17ROCPRIM_400000_NS6detail17trampoline_kernelINS0_14default_configENS1_38merge_sort_block_merge_config_selectorIsNS0_10empty_typeEEEZZNS1_27merge_sort_block_merge_implIS3_PsPS5_jNS1_19radix_merge_compareILb1ELb0EsNS0_19identity_decomposerEEEEE10hipError_tT0_T1_T2_jT3_P12ihipStream_tbPNSt15iterator_traitsISE_E10value_typeEPNSK_ISF_E10value_typeEPSG_NS1_7vsmem_tEENKUlT_SE_SF_SG_E_clIS8_S8_S9_S9_EESD_ST_SE_SF_SG_EUlST_E1_NS1_11comp_targetILNS1_3genE2ELNS1_11target_archE906ELNS1_3gpuE6ELNS1_3repE0EEENS1_36merge_oddeven_config_static_selectorELNS0_4arch9wavefront6targetE0EEEvSF_
                                        ; -- End function
	.set _ZN7rocprim17ROCPRIM_400000_NS6detail17trampoline_kernelINS0_14default_configENS1_38merge_sort_block_merge_config_selectorIsNS0_10empty_typeEEEZZNS1_27merge_sort_block_merge_implIS3_PsPS5_jNS1_19radix_merge_compareILb1ELb0EsNS0_19identity_decomposerEEEEE10hipError_tT0_T1_T2_jT3_P12ihipStream_tbPNSt15iterator_traitsISE_E10value_typeEPNSK_ISF_E10value_typeEPSG_NS1_7vsmem_tEENKUlT_SE_SF_SG_E_clIS8_S8_S9_S9_EESD_ST_SE_SF_SG_EUlST_E1_NS1_11comp_targetILNS1_3genE2ELNS1_11target_archE906ELNS1_3gpuE6ELNS1_3repE0EEENS1_36merge_oddeven_config_static_selectorELNS0_4arch9wavefront6targetE0EEEvSF_.num_vgpr, 0
	.set _ZN7rocprim17ROCPRIM_400000_NS6detail17trampoline_kernelINS0_14default_configENS1_38merge_sort_block_merge_config_selectorIsNS0_10empty_typeEEEZZNS1_27merge_sort_block_merge_implIS3_PsPS5_jNS1_19radix_merge_compareILb1ELb0EsNS0_19identity_decomposerEEEEE10hipError_tT0_T1_T2_jT3_P12ihipStream_tbPNSt15iterator_traitsISE_E10value_typeEPNSK_ISF_E10value_typeEPSG_NS1_7vsmem_tEENKUlT_SE_SF_SG_E_clIS8_S8_S9_S9_EESD_ST_SE_SF_SG_EUlST_E1_NS1_11comp_targetILNS1_3genE2ELNS1_11target_archE906ELNS1_3gpuE6ELNS1_3repE0EEENS1_36merge_oddeven_config_static_selectorELNS0_4arch9wavefront6targetE0EEEvSF_.num_agpr, 0
	.set _ZN7rocprim17ROCPRIM_400000_NS6detail17trampoline_kernelINS0_14default_configENS1_38merge_sort_block_merge_config_selectorIsNS0_10empty_typeEEEZZNS1_27merge_sort_block_merge_implIS3_PsPS5_jNS1_19radix_merge_compareILb1ELb0EsNS0_19identity_decomposerEEEEE10hipError_tT0_T1_T2_jT3_P12ihipStream_tbPNSt15iterator_traitsISE_E10value_typeEPNSK_ISF_E10value_typeEPSG_NS1_7vsmem_tEENKUlT_SE_SF_SG_E_clIS8_S8_S9_S9_EESD_ST_SE_SF_SG_EUlST_E1_NS1_11comp_targetILNS1_3genE2ELNS1_11target_archE906ELNS1_3gpuE6ELNS1_3repE0EEENS1_36merge_oddeven_config_static_selectorELNS0_4arch9wavefront6targetE0EEEvSF_.numbered_sgpr, 0
	.set _ZN7rocprim17ROCPRIM_400000_NS6detail17trampoline_kernelINS0_14default_configENS1_38merge_sort_block_merge_config_selectorIsNS0_10empty_typeEEEZZNS1_27merge_sort_block_merge_implIS3_PsPS5_jNS1_19radix_merge_compareILb1ELb0EsNS0_19identity_decomposerEEEEE10hipError_tT0_T1_T2_jT3_P12ihipStream_tbPNSt15iterator_traitsISE_E10value_typeEPNSK_ISF_E10value_typeEPSG_NS1_7vsmem_tEENKUlT_SE_SF_SG_E_clIS8_S8_S9_S9_EESD_ST_SE_SF_SG_EUlST_E1_NS1_11comp_targetILNS1_3genE2ELNS1_11target_archE906ELNS1_3gpuE6ELNS1_3repE0EEENS1_36merge_oddeven_config_static_selectorELNS0_4arch9wavefront6targetE0EEEvSF_.num_named_barrier, 0
	.set _ZN7rocprim17ROCPRIM_400000_NS6detail17trampoline_kernelINS0_14default_configENS1_38merge_sort_block_merge_config_selectorIsNS0_10empty_typeEEEZZNS1_27merge_sort_block_merge_implIS3_PsPS5_jNS1_19radix_merge_compareILb1ELb0EsNS0_19identity_decomposerEEEEE10hipError_tT0_T1_T2_jT3_P12ihipStream_tbPNSt15iterator_traitsISE_E10value_typeEPNSK_ISF_E10value_typeEPSG_NS1_7vsmem_tEENKUlT_SE_SF_SG_E_clIS8_S8_S9_S9_EESD_ST_SE_SF_SG_EUlST_E1_NS1_11comp_targetILNS1_3genE2ELNS1_11target_archE906ELNS1_3gpuE6ELNS1_3repE0EEENS1_36merge_oddeven_config_static_selectorELNS0_4arch9wavefront6targetE0EEEvSF_.private_seg_size, 0
	.set _ZN7rocprim17ROCPRIM_400000_NS6detail17trampoline_kernelINS0_14default_configENS1_38merge_sort_block_merge_config_selectorIsNS0_10empty_typeEEEZZNS1_27merge_sort_block_merge_implIS3_PsPS5_jNS1_19radix_merge_compareILb1ELb0EsNS0_19identity_decomposerEEEEE10hipError_tT0_T1_T2_jT3_P12ihipStream_tbPNSt15iterator_traitsISE_E10value_typeEPNSK_ISF_E10value_typeEPSG_NS1_7vsmem_tEENKUlT_SE_SF_SG_E_clIS8_S8_S9_S9_EESD_ST_SE_SF_SG_EUlST_E1_NS1_11comp_targetILNS1_3genE2ELNS1_11target_archE906ELNS1_3gpuE6ELNS1_3repE0EEENS1_36merge_oddeven_config_static_selectorELNS0_4arch9wavefront6targetE0EEEvSF_.uses_vcc, 0
	.set _ZN7rocprim17ROCPRIM_400000_NS6detail17trampoline_kernelINS0_14default_configENS1_38merge_sort_block_merge_config_selectorIsNS0_10empty_typeEEEZZNS1_27merge_sort_block_merge_implIS3_PsPS5_jNS1_19radix_merge_compareILb1ELb0EsNS0_19identity_decomposerEEEEE10hipError_tT0_T1_T2_jT3_P12ihipStream_tbPNSt15iterator_traitsISE_E10value_typeEPNSK_ISF_E10value_typeEPSG_NS1_7vsmem_tEENKUlT_SE_SF_SG_E_clIS8_S8_S9_S9_EESD_ST_SE_SF_SG_EUlST_E1_NS1_11comp_targetILNS1_3genE2ELNS1_11target_archE906ELNS1_3gpuE6ELNS1_3repE0EEENS1_36merge_oddeven_config_static_selectorELNS0_4arch9wavefront6targetE0EEEvSF_.uses_flat_scratch, 0
	.set _ZN7rocprim17ROCPRIM_400000_NS6detail17trampoline_kernelINS0_14default_configENS1_38merge_sort_block_merge_config_selectorIsNS0_10empty_typeEEEZZNS1_27merge_sort_block_merge_implIS3_PsPS5_jNS1_19radix_merge_compareILb1ELb0EsNS0_19identity_decomposerEEEEE10hipError_tT0_T1_T2_jT3_P12ihipStream_tbPNSt15iterator_traitsISE_E10value_typeEPNSK_ISF_E10value_typeEPSG_NS1_7vsmem_tEENKUlT_SE_SF_SG_E_clIS8_S8_S9_S9_EESD_ST_SE_SF_SG_EUlST_E1_NS1_11comp_targetILNS1_3genE2ELNS1_11target_archE906ELNS1_3gpuE6ELNS1_3repE0EEENS1_36merge_oddeven_config_static_selectorELNS0_4arch9wavefront6targetE0EEEvSF_.has_dyn_sized_stack, 0
	.set _ZN7rocprim17ROCPRIM_400000_NS6detail17trampoline_kernelINS0_14default_configENS1_38merge_sort_block_merge_config_selectorIsNS0_10empty_typeEEEZZNS1_27merge_sort_block_merge_implIS3_PsPS5_jNS1_19radix_merge_compareILb1ELb0EsNS0_19identity_decomposerEEEEE10hipError_tT0_T1_T2_jT3_P12ihipStream_tbPNSt15iterator_traitsISE_E10value_typeEPNSK_ISF_E10value_typeEPSG_NS1_7vsmem_tEENKUlT_SE_SF_SG_E_clIS8_S8_S9_S9_EESD_ST_SE_SF_SG_EUlST_E1_NS1_11comp_targetILNS1_3genE2ELNS1_11target_archE906ELNS1_3gpuE6ELNS1_3repE0EEENS1_36merge_oddeven_config_static_selectorELNS0_4arch9wavefront6targetE0EEEvSF_.has_recursion, 0
	.set _ZN7rocprim17ROCPRIM_400000_NS6detail17trampoline_kernelINS0_14default_configENS1_38merge_sort_block_merge_config_selectorIsNS0_10empty_typeEEEZZNS1_27merge_sort_block_merge_implIS3_PsPS5_jNS1_19radix_merge_compareILb1ELb0EsNS0_19identity_decomposerEEEEE10hipError_tT0_T1_T2_jT3_P12ihipStream_tbPNSt15iterator_traitsISE_E10value_typeEPNSK_ISF_E10value_typeEPSG_NS1_7vsmem_tEENKUlT_SE_SF_SG_E_clIS8_S8_S9_S9_EESD_ST_SE_SF_SG_EUlST_E1_NS1_11comp_targetILNS1_3genE2ELNS1_11target_archE906ELNS1_3gpuE6ELNS1_3repE0EEENS1_36merge_oddeven_config_static_selectorELNS0_4arch9wavefront6targetE0EEEvSF_.has_indirect_call, 0
	.section	.AMDGPU.csdata,"",@progbits
; Kernel info:
; codeLenInByte = 0
; TotalNumSgprs: 0
; NumVgprs: 0
; ScratchSize: 0
; MemoryBound: 0
; FloatMode: 240
; IeeeMode: 1
; LDSByteSize: 0 bytes/workgroup (compile time only)
; SGPRBlocks: 0
; VGPRBlocks: 0
; NumSGPRsForWavesPerEU: 1
; NumVGPRsForWavesPerEU: 1
; NamedBarCnt: 0
; Occupancy: 16
; WaveLimiterHint : 0
; COMPUTE_PGM_RSRC2:SCRATCH_EN: 0
; COMPUTE_PGM_RSRC2:USER_SGPR: 2
; COMPUTE_PGM_RSRC2:TRAP_HANDLER: 0
; COMPUTE_PGM_RSRC2:TGID_X_EN: 1
; COMPUTE_PGM_RSRC2:TGID_Y_EN: 0
; COMPUTE_PGM_RSRC2:TGID_Z_EN: 0
; COMPUTE_PGM_RSRC2:TIDIG_COMP_CNT: 0
	.section	.text._ZN7rocprim17ROCPRIM_400000_NS6detail17trampoline_kernelINS0_14default_configENS1_38merge_sort_block_merge_config_selectorIsNS0_10empty_typeEEEZZNS1_27merge_sort_block_merge_implIS3_PsPS5_jNS1_19radix_merge_compareILb1ELb0EsNS0_19identity_decomposerEEEEE10hipError_tT0_T1_T2_jT3_P12ihipStream_tbPNSt15iterator_traitsISE_E10value_typeEPNSK_ISF_E10value_typeEPSG_NS1_7vsmem_tEENKUlT_SE_SF_SG_E_clIS8_S8_S9_S9_EESD_ST_SE_SF_SG_EUlST_E1_NS1_11comp_targetILNS1_3genE9ELNS1_11target_archE1100ELNS1_3gpuE3ELNS1_3repE0EEENS1_36merge_oddeven_config_static_selectorELNS0_4arch9wavefront6targetE0EEEvSF_,"axG",@progbits,_ZN7rocprim17ROCPRIM_400000_NS6detail17trampoline_kernelINS0_14default_configENS1_38merge_sort_block_merge_config_selectorIsNS0_10empty_typeEEEZZNS1_27merge_sort_block_merge_implIS3_PsPS5_jNS1_19radix_merge_compareILb1ELb0EsNS0_19identity_decomposerEEEEE10hipError_tT0_T1_T2_jT3_P12ihipStream_tbPNSt15iterator_traitsISE_E10value_typeEPNSK_ISF_E10value_typeEPSG_NS1_7vsmem_tEENKUlT_SE_SF_SG_E_clIS8_S8_S9_S9_EESD_ST_SE_SF_SG_EUlST_E1_NS1_11comp_targetILNS1_3genE9ELNS1_11target_archE1100ELNS1_3gpuE3ELNS1_3repE0EEENS1_36merge_oddeven_config_static_selectorELNS0_4arch9wavefront6targetE0EEEvSF_,comdat
	.protected	_ZN7rocprim17ROCPRIM_400000_NS6detail17trampoline_kernelINS0_14default_configENS1_38merge_sort_block_merge_config_selectorIsNS0_10empty_typeEEEZZNS1_27merge_sort_block_merge_implIS3_PsPS5_jNS1_19radix_merge_compareILb1ELb0EsNS0_19identity_decomposerEEEEE10hipError_tT0_T1_T2_jT3_P12ihipStream_tbPNSt15iterator_traitsISE_E10value_typeEPNSK_ISF_E10value_typeEPSG_NS1_7vsmem_tEENKUlT_SE_SF_SG_E_clIS8_S8_S9_S9_EESD_ST_SE_SF_SG_EUlST_E1_NS1_11comp_targetILNS1_3genE9ELNS1_11target_archE1100ELNS1_3gpuE3ELNS1_3repE0EEENS1_36merge_oddeven_config_static_selectorELNS0_4arch9wavefront6targetE0EEEvSF_ ; -- Begin function _ZN7rocprim17ROCPRIM_400000_NS6detail17trampoline_kernelINS0_14default_configENS1_38merge_sort_block_merge_config_selectorIsNS0_10empty_typeEEEZZNS1_27merge_sort_block_merge_implIS3_PsPS5_jNS1_19radix_merge_compareILb1ELb0EsNS0_19identity_decomposerEEEEE10hipError_tT0_T1_T2_jT3_P12ihipStream_tbPNSt15iterator_traitsISE_E10value_typeEPNSK_ISF_E10value_typeEPSG_NS1_7vsmem_tEENKUlT_SE_SF_SG_E_clIS8_S8_S9_S9_EESD_ST_SE_SF_SG_EUlST_E1_NS1_11comp_targetILNS1_3genE9ELNS1_11target_archE1100ELNS1_3gpuE3ELNS1_3repE0EEENS1_36merge_oddeven_config_static_selectorELNS0_4arch9wavefront6targetE0EEEvSF_
	.globl	_ZN7rocprim17ROCPRIM_400000_NS6detail17trampoline_kernelINS0_14default_configENS1_38merge_sort_block_merge_config_selectorIsNS0_10empty_typeEEEZZNS1_27merge_sort_block_merge_implIS3_PsPS5_jNS1_19radix_merge_compareILb1ELb0EsNS0_19identity_decomposerEEEEE10hipError_tT0_T1_T2_jT3_P12ihipStream_tbPNSt15iterator_traitsISE_E10value_typeEPNSK_ISF_E10value_typeEPSG_NS1_7vsmem_tEENKUlT_SE_SF_SG_E_clIS8_S8_S9_S9_EESD_ST_SE_SF_SG_EUlST_E1_NS1_11comp_targetILNS1_3genE9ELNS1_11target_archE1100ELNS1_3gpuE3ELNS1_3repE0EEENS1_36merge_oddeven_config_static_selectorELNS0_4arch9wavefront6targetE0EEEvSF_
	.p2align	8
	.type	_ZN7rocprim17ROCPRIM_400000_NS6detail17trampoline_kernelINS0_14default_configENS1_38merge_sort_block_merge_config_selectorIsNS0_10empty_typeEEEZZNS1_27merge_sort_block_merge_implIS3_PsPS5_jNS1_19radix_merge_compareILb1ELb0EsNS0_19identity_decomposerEEEEE10hipError_tT0_T1_T2_jT3_P12ihipStream_tbPNSt15iterator_traitsISE_E10value_typeEPNSK_ISF_E10value_typeEPSG_NS1_7vsmem_tEENKUlT_SE_SF_SG_E_clIS8_S8_S9_S9_EESD_ST_SE_SF_SG_EUlST_E1_NS1_11comp_targetILNS1_3genE9ELNS1_11target_archE1100ELNS1_3gpuE3ELNS1_3repE0EEENS1_36merge_oddeven_config_static_selectorELNS0_4arch9wavefront6targetE0EEEvSF_,@function
_ZN7rocprim17ROCPRIM_400000_NS6detail17trampoline_kernelINS0_14default_configENS1_38merge_sort_block_merge_config_selectorIsNS0_10empty_typeEEEZZNS1_27merge_sort_block_merge_implIS3_PsPS5_jNS1_19radix_merge_compareILb1ELb0EsNS0_19identity_decomposerEEEEE10hipError_tT0_T1_T2_jT3_P12ihipStream_tbPNSt15iterator_traitsISE_E10value_typeEPNSK_ISF_E10value_typeEPSG_NS1_7vsmem_tEENKUlT_SE_SF_SG_E_clIS8_S8_S9_S9_EESD_ST_SE_SF_SG_EUlST_E1_NS1_11comp_targetILNS1_3genE9ELNS1_11target_archE1100ELNS1_3gpuE3ELNS1_3repE0EEENS1_36merge_oddeven_config_static_selectorELNS0_4arch9wavefront6targetE0EEEvSF_: ; @_ZN7rocprim17ROCPRIM_400000_NS6detail17trampoline_kernelINS0_14default_configENS1_38merge_sort_block_merge_config_selectorIsNS0_10empty_typeEEEZZNS1_27merge_sort_block_merge_implIS3_PsPS5_jNS1_19radix_merge_compareILb1ELb0EsNS0_19identity_decomposerEEEEE10hipError_tT0_T1_T2_jT3_P12ihipStream_tbPNSt15iterator_traitsISE_E10value_typeEPNSK_ISF_E10value_typeEPSG_NS1_7vsmem_tEENKUlT_SE_SF_SG_E_clIS8_S8_S9_S9_EESD_ST_SE_SF_SG_EUlST_E1_NS1_11comp_targetILNS1_3genE9ELNS1_11target_archE1100ELNS1_3gpuE3ELNS1_3repE0EEENS1_36merge_oddeven_config_static_selectorELNS0_4arch9wavefront6targetE0EEEvSF_
; %bb.0:
	.section	.rodata,"a",@progbits
	.p2align	6, 0x0
	.amdhsa_kernel _ZN7rocprim17ROCPRIM_400000_NS6detail17trampoline_kernelINS0_14default_configENS1_38merge_sort_block_merge_config_selectorIsNS0_10empty_typeEEEZZNS1_27merge_sort_block_merge_implIS3_PsPS5_jNS1_19radix_merge_compareILb1ELb0EsNS0_19identity_decomposerEEEEE10hipError_tT0_T1_T2_jT3_P12ihipStream_tbPNSt15iterator_traitsISE_E10value_typeEPNSK_ISF_E10value_typeEPSG_NS1_7vsmem_tEENKUlT_SE_SF_SG_E_clIS8_S8_S9_S9_EESD_ST_SE_SF_SG_EUlST_E1_NS1_11comp_targetILNS1_3genE9ELNS1_11target_archE1100ELNS1_3gpuE3ELNS1_3repE0EEENS1_36merge_oddeven_config_static_selectorELNS0_4arch9wavefront6targetE0EEEvSF_
		.amdhsa_group_segment_fixed_size 0
		.amdhsa_private_segment_fixed_size 0
		.amdhsa_kernarg_size 48
		.amdhsa_user_sgpr_count 2
		.amdhsa_user_sgpr_dispatch_ptr 0
		.amdhsa_user_sgpr_queue_ptr 0
		.amdhsa_user_sgpr_kernarg_segment_ptr 1
		.amdhsa_user_sgpr_dispatch_id 0
		.amdhsa_user_sgpr_kernarg_preload_length 0
		.amdhsa_user_sgpr_kernarg_preload_offset 0
		.amdhsa_user_sgpr_private_segment_size 0
		.amdhsa_wavefront_size32 1
		.amdhsa_uses_dynamic_stack 0
		.amdhsa_enable_private_segment 0
		.amdhsa_system_sgpr_workgroup_id_x 1
		.amdhsa_system_sgpr_workgroup_id_y 0
		.amdhsa_system_sgpr_workgroup_id_z 0
		.amdhsa_system_sgpr_workgroup_info 0
		.amdhsa_system_vgpr_workitem_id 0
		.amdhsa_next_free_vgpr 1
		.amdhsa_next_free_sgpr 1
		.amdhsa_named_barrier_count 0
		.amdhsa_reserve_vcc 0
		.amdhsa_float_round_mode_32 0
		.amdhsa_float_round_mode_16_64 0
		.amdhsa_float_denorm_mode_32 3
		.amdhsa_float_denorm_mode_16_64 3
		.amdhsa_fp16_overflow 0
		.amdhsa_memory_ordered 1
		.amdhsa_forward_progress 1
		.amdhsa_inst_pref_size 0
		.amdhsa_round_robin_scheduling 0
		.amdhsa_exception_fp_ieee_invalid_op 0
		.amdhsa_exception_fp_denorm_src 0
		.amdhsa_exception_fp_ieee_div_zero 0
		.amdhsa_exception_fp_ieee_overflow 0
		.amdhsa_exception_fp_ieee_underflow 0
		.amdhsa_exception_fp_ieee_inexact 0
		.amdhsa_exception_int_div_zero 0
	.end_amdhsa_kernel
	.section	.text._ZN7rocprim17ROCPRIM_400000_NS6detail17trampoline_kernelINS0_14default_configENS1_38merge_sort_block_merge_config_selectorIsNS0_10empty_typeEEEZZNS1_27merge_sort_block_merge_implIS3_PsPS5_jNS1_19radix_merge_compareILb1ELb0EsNS0_19identity_decomposerEEEEE10hipError_tT0_T1_T2_jT3_P12ihipStream_tbPNSt15iterator_traitsISE_E10value_typeEPNSK_ISF_E10value_typeEPSG_NS1_7vsmem_tEENKUlT_SE_SF_SG_E_clIS8_S8_S9_S9_EESD_ST_SE_SF_SG_EUlST_E1_NS1_11comp_targetILNS1_3genE9ELNS1_11target_archE1100ELNS1_3gpuE3ELNS1_3repE0EEENS1_36merge_oddeven_config_static_selectorELNS0_4arch9wavefront6targetE0EEEvSF_,"axG",@progbits,_ZN7rocprim17ROCPRIM_400000_NS6detail17trampoline_kernelINS0_14default_configENS1_38merge_sort_block_merge_config_selectorIsNS0_10empty_typeEEEZZNS1_27merge_sort_block_merge_implIS3_PsPS5_jNS1_19radix_merge_compareILb1ELb0EsNS0_19identity_decomposerEEEEE10hipError_tT0_T1_T2_jT3_P12ihipStream_tbPNSt15iterator_traitsISE_E10value_typeEPNSK_ISF_E10value_typeEPSG_NS1_7vsmem_tEENKUlT_SE_SF_SG_E_clIS8_S8_S9_S9_EESD_ST_SE_SF_SG_EUlST_E1_NS1_11comp_targetILNS1_3genE9ELNS1_11target_archE1100ELNS1_3gpuE3ELNS1_3repE0EEENS1_36merge_oddeven_config_static_selectorELNS0_4arch9wavefront6targetE0EEEvSF_,comdat
.Lfunc_end542:
	.size	_ZN7rocprim17ROCPRIM_400000_NS6detail17trampoline_kernelINS0_14default_configENS1_38merge_sort_block_merge_config_selectorIsNS0_10empty_typeEEEZZNS1_27merge_sort_block_merge_implIS3_PsPS5_jNS1_19radix_merge_compareILb1ELb0EsNS0_19identity_decomposerEEEEE10hipError_tT0_T1_T2_jT3_P12ihipStream_tbPNSt15iterator_traitsISE_E10value_typeEPNSK_ISF_E10value_typeEPSG_NS1_7vsmem_tEENKUlT_SE_SF_SG_E_clIS8_S8_S9_S9_EESD_ST_SE_SF_SG_EUlST_E1_NS1_11comp_targetILNS1_3genE9ELNS1_11target_archE1100ELNS1_3gpuE3ELNS1_3repE0EEENS1_36merge_oddeven_config_static_selectorELNS0_4arch9wavefront6targetE0EEEvSF_, .Lfunc_end542-_ZN7rocprim17ROCPRIM_400000_NS6detail17trampoline_kernelINS0_14default_configENS1_38merge_sort_block_merge_config_selectorIsNS0_10empty_typeEEEZZNS1_27merge_sort_block_merge_implIS3_PsPS5_jNS1_19radix_merge_compareILb1ELb0EsNS0_19identity_decomposerEEEEE10hipError_tT0_T1_T2_jT3_P12ihipStream_tbPNSt15iterator_traitsISE_E10value_typeEPNSK_ISF_E10value_typeEPSG_NS1_7vsmem_tEENKUlT_SE_SF_SG_E_clIS8_S8_S9_S9_EESD_ST_SE_SF_SG_EUlST_E1_NS1_11comp_targetILNS1_3genE9ELNS1_11target_archE1100ELNS1_3gpuE3ELNS1_3repE0EEENS1_36merge_oddeven_config_static_selectorELNS0_4arch9wavefront6targetE0EEEvSF_
                                        ; -- End function
	.set _ZN7rocprim17ROCPRIM_400000_NS6detail17trampoline_kernelINS0_14default_configENS1_38merge_sort_block_merge_config_selectorIsNS0_10empty_typeEEEZZNS1_27merge_sort_block_merge_implIS3_PsPS5_jNS1_19radix_merge_compareILb1ELb0EsNS0_19identity_decomposerEEEEE10hipError_tT0_T1_T2_jT3_P12ihipStream_tbPNSt15iterator_traitsISE_E10value_typeEPNSK_ISF_E10value_typeEPSG_NS1_7vsmem_tEENKUlT_SE_SF_SG_E_clIS8_S8_S9_S9_EESD_ST_SE_SF_SG_EUlST_E1_NS1_11comp_targetILNS1_3genE9ELNS1_11target_archE1100ELNS1_3gpuE3ELNS1_3repE0EEENS1_36merge_oddeven_config_static_selectorELNS0_4arch9wavefront6targetE0EEEvSF_.num_vgpr, 0
	.set _ZN7rocprim17ROCPRIM_400000_NS6detail17trampoline_kernelINS0_14default_configENS1_38merge_sort_block_merge_config_selectorIsNS0_10empty_typeEEEZZNS1_27merge_sort_block_merge_implIS3_PsPS5_jNS1_19radix_merge_compareILb1ELb0EsNS0_19identity_decomposerEEEEE10hipError_tT0_T1_T2_jT3_P12ihipStream_tbPNSt15iterator_traitsISE_E10value_typeEPNSK_ISF_E10value_typeEPSG_NS1_7vsmem_tEENKUlT_SE_SF_SG_E_clIS8_S8_S9_S9_EESD_ST_SE_SF_SG_EUlST_E1_NS1_11comp_targetILNS1_3genE9ELNS1_11target_archE1100ELNS1_3gpuE3ELNS1_3repE0EEENS1_36merge_oddeven_config_static_selectorELNS0_4arch9wavefront6targetE0EEEvSF_.num_agpr, 0
	.set _ZN7rocprim17ROCPRIM_400000_NS6detail17trampoline_kernelINS0_14default_configENS1_38merge_sort_block_merge_config_selectorIsNS0_10empty_typeEEEZZNS1_27merge_sort_block_merge_implIS3_PsPS5_jNS1_19radix_merge_compareILb1ELb0EsNS0_19identity_decomposerEEEEE10hipError_tT0_T1_T2_jT3_P12ihipStream_tbPNSt15iterator_traitsISE_E10value_typeEPNSK_ISF_E10value_typeEPSG_NS1_7vsmem_tEENKUlT_SE_SF_SG_E_clIS8_S8_S9_S9_EESD_ST_SE_SF_SG_EUlST_E1_NS1_11comp_targetILNS1_3genE9ELNS1_11target_archE1100ELNS1_3gpuE3ELNS1_3repE0EEENS1_36merge_oddeven_config_static_selectorELNS0_4arch9wavefront6targetE0EEEvSF_.numbered_sgpr, 0
	.set _ZN7rocprim17ROCPRIM_400000_NS6detail17trampoline_kernelINS0_14default_configENS1_38merge_sort_block_merge_config_selectorIsNS0_10empty_typeEEEZZNS1_27merge_sort_block_merge_implIS3_PsPS5_jNS1_19radix_merge_compareILb1ELb0EsNS0_19identity_decomposerEEEEE10hipError_tT0_T1_T2_jT3_P12ihipStream_tbPNSt15iterator_traitsISE_E10value_typeEPNSK_ISF_E10value_typeEPSG_NS1_7vsmem_tEENKUlT_SE_SF_SG_E_clIS8_S8_S9_S9_EESD_ST_SE_SF_SG_EUlST_E1_NS1_11comp_targetILNS1_3genE9ELNS1_11target_archE1100ELNS1_3gpuE3ELNS1_3repE0EEENS1_36merge_oddeven_config_static_selectorELNS0_4arch9wavefront6targetE0EEEvSF_.num_named_barrier, 0
	.set _ZN7rocprim17ROCPRIM_400000_NS6detail17trampoline_kernelINS0_14default_configENS1_38merge_sort_block_merge_config_selectorIsNS0_10empty_typeEEEZZNS1_27merge_sort_block_merge_implIS3_PsPS5_jNS1_19radix_merge_compareILb1ELb0EsNS0_19identity_decomposerEEEEE10hipError_tT0_T1_T2_jT3_P12ihipStream_tbPNSt15iterator_traitsISE_E10value_typeEPNSK_ISF_E10value_typeEPSG_NS1_7vsmem_tEENKUlT_SE_SF_SG_E_clIS8_S8_S9_S9_EESD_ST_SE_SF_SG_EUlST_E1_NS1_11comp_targetILNS1_3genE9ELNS1_11target_archE1100ELNS1_3gpuE3ELNS1_3repE0EEENS1_36merge_oddeven_config_static_selectorELNS0_4arch9wavefront6targetE0EEEvSF_.private_seg_size, 0
	.set _ZN7rocprim17ROCPRIM_400000_NS6detail17trampoline_kernelINS0_14default_configENS1_38merge_sort_block_merge_config_selectorIsNS0_10empty_typeEEEZZNS1_27merge_sort_block_merge_implIS3_PsPS5_jNS1_19radix_merge_compareILb1ELb0EsNS0_19identity_decomposerEEEEE10hipError_tT0_T1_T2_jT3_P12ihipStream_tbPNSt15iterator_traitsISE_E10value_typeEPNSK_ISF_E10value_typeEPSG_NS1_7vsmem_tEENKUlT_SE_SF_SG_E_clIS8_S8_S9_S9_EESD_ST_SE_SF_SG_EUlST_E1_NS1_11comp_targetILNS1_3genE9ELNS1_11target_archE1100ELNS1_3gpuE3ELNS1_3repE0EEENS1_36merge_oddeven_config_static_selectorELNS0_4arch9wavefront6targetE0EEEvSF_.uses_vcc, 0
	.set _ZN7rocprim17ROCPRIM_400000_NS6detail17trampoline_kernelINS0_14default_configENS1_38merge_sort_block_merge_config_selectorIsNS0_10empty_typeEEEZZNS1_27merge_sort_block_merge_implIS3_PsPS5_jNS1_19radix_merge_compareILb1ELb0EsNS0_19identity_decomposerEEEEE10hipError_tT0_T1_T2_jT3_P12ihipStream_tbPNSt15iterator_traitsISE_E10value_typeEPNSK_ISF_E10value_typeEPSG_NS1_7vsmem_tEENKUlT_SE_SF_SG_E_clIS8_S8_S9_S9_EESD_ST_SE_SF_SG_EUlST_E1_NS1_11comp_targetILNS1_3genE9ELNS1_11target_archE1100ELNS1_3gpuE3ELNS1_3repE0EEENS1_36merge_oddeven_config_static_selectorELNS0_4arch9wavefront6targetE0EEEvSF_.uses_flat_scratch, 0
	.set _ZN7rocprim17ROCPRIM_400000_NS6detail17trampoline_kernelINS0_14default_configENS1_38merge_sort_block_merge_config_selectorIsNS0_10empty_typeEEEZZNS1_27merge_sort_block_merge_implIS3_PsPS5_jNS1_19radix_merge_compareILb1ELb0EsNS0_19identity_decomposerEEEEE10hipError_tT0_T1_T2_jT3_P12ihipStream_tbPNSt15iterator_traitsISE_E10value_typeEPNSK_ISF_E10value_typeEPSG_NS1_7vsmem_tEENKUlT_SE_SF_SG_E_clIS8_S8_S9_S9_EESD_ST_SE_SF_SG_EUlST_E1_NS1_11comp_targetILNS1_3genE9ELNS1_11target_archE1100ELNS1_3gpuE3ELNS1_3repE0EEENS1_36merge_oddeven_config_static_selectorELNS0_4arch9wavefront6targetE0EEEvSF_.has_dyn_sized_stack, 0
	.set _ZN7rocprim17ROCPRIM_400000_NS6detail17trampoline_kernelINS0_14default_configENS1_38merge_sort_block_merge_config_selectorIsNS0_10empty_typeEEEZZNS1_27merge_sort_block_merge_implIS3_PsPS5_jNS1_19radix_merge_compareILb1ELb0EsNS0_19identity_decomposerEEEEE10hipError_tT0_T1_T2_jT3_P12ihipStream_tbPNSt15iterator_traitsISE_E10value_typeEPNSK_ISF_E10value_typeEPSG_NS1_7vsmem_tEENKUlT_SE_SF_SG_E_clIS8_S8_S9_S9_EESD_ST_SE_SF_SG_EUlST_E1_NS1_11comp_targetILNS1_3genE9ELNS1_11target_archE1100ELNS1_3gpuE3ELNS1_3repE0EEENS1_36merge_oddeven_config_static_selectorELNS0_4arch9wavefront6targetE0EEEvSF_.has_recursion, 0
	.set _ZN7rocprim17ROCPRIM_400000_NS6detail17trampoline_kernelINS0_14default_configENS1_38merge_sort_block_merge_config_selectorIsNS0_10empty_typeEEEZZNS1_27merge_sort_block_merge_implIS3_PsPS5_jNS1_19radix_merge_compareILb1ELb0EsNS0_19identity_decomposerEEEEE10hipError_tT0_T1_T2_jT3_P12ihipStream_tbPNSt15iterator_traitsISE_E10value_typeEPNSK_ISF_E10value_typeEPSG_NS1_7vsmem_tEENKUlT_SE_SF_SG_E_clIS8_S8_S9_S9_EESD_ST_SE_SF_SG_EUlST_E1_NS1_11comp_targetILNS1_3genE9ELNS1_11target_archE1100ELNS1_3gpuE3ELNS1_3repE0EEENS1_36merge_oddeven_config_static_selectorELNS0_4arch9wavefront6targetE0EEEvSF_.has_indirect_call, 0
	.section	.AMDGPU.csdata,"",@progbits
; Kernel info:
; codeLenInByte = 0
; TotalNumSgprs: 0
; NumVgprs: 0
; ScratchSize: 0
; MemoryBound: 0
; FloatMode: 240
; IeeeMode: 1
; LDSByteSize: 0 bytes/workgroup (compile time only)
; SGPRBlocks: 0
; VGPRBlocks: 0
; NumSGPRsForWavesPerEU: 1
; NumVGPRsForWavesPerEU: 1
; NamedBarCnt: 0
; Occupancy: 16
; WaveLimiterHint : 0
; COMPUTE_PGM_RSRC2:SCRATCH_EN: 0
; COMPUTE_PGM_RSRC2:USER_SGPR: 2
; COMPUTE_PGM_RSRC2:TRAP_HANDLER: 0
; COMPUTE_PGM_RSRC2:TGID_X_EN: 1
; COMPUTE_PGM_RSRC2:TGID_Y_EN: 0
; COMPUTE_PGM_RSRC2:TGID_Z_EN: 0
; COMPUTE_PGM_RSRC2:TIDIG_COMP_CNT: 0
	.section	.text._ZN7rocprim17ROCPRIM_400000_NS6detail17trampoline_kernelINS0_14default_configENS1_38merge_sort_block_merge_config_selectorIsNS0_10empty_typeEEEZZNS1_27merge_sort_block_merge_implIS3_PsPS5_jNS1_19radix_merge_compareILb1ELb0EsNS0_19identity_decomposerEEEEE10hipError_tT0_T1_T2_jT3_P12ihipStream_tbPNSt15iterator_traitsISE_E10value_typeEPNSK_ISF_E10value_typeEPSG_NS1_7vsmem_tEENKUlT_SE_SF_SG_E_clIS8_S8_S9_S9_EESD_ST_SE_SF_SG_EUlST_E1_NS1_11comp_targetILNS1_3genE8ELNS1_11target_archE1030ELNS1_3gpuE2ELNS1_3repE0EEENS1_36merge_oddeven_config_static_selectorELNS0_4arch9wavefront6targetE0EEEvSF_,"axG",@progbits,_ZN7rocprim17ROCPRIM_400000_NS6detail17trampoline_kernelINS0_14default_configENS1_38merge_sort_block_merge_config_selectorIsNS0_10empty_typeEEEZZNS1_27merge_sort_block_merge_implIS3_PsPS5_jNS1_19radix_merge_compareILb1ELb0EsNS0_19identity_decomposerEEEEE10hipError_tT0_T1_T2_jT3_P12ihipStream_tbPNSt15iterator_traitsISE_E10value_typeEPNSK_ISF_E10value_typeEPSG_NS1_7vsmem_tEENKUlT_SE_SF_SG_E_clIS8_S8_S9_S9_EESD_ST_SE_SF_SG_EUlST_E1_NS1_11comp_targetILNS1_3genE8ELNS1_11target_archE1030ELNS1_3gpuE2ELNS1_3repE0EEENS1_36merge_oddeven_config_static_selectorELNS0_4arch9wavefront6targetE0EEEvSF_,comdat
	.protected	_ZN7rocprim17ROCPRIM_400000_NS6detail17trampoline_kernelINS0_14default_configENS1_38merge_sort_block_merge_config_selectorIsNS0_10empty_typeEEEZZNS1_27merge_sort_block_merge_implIS3_PsPS5_jNS1_19radix_merge_compareILb1ELb0EsNS0_19identity_decomposerEEEEE10hipError_tT0_T1_T2_jT3_P12ihipStream_tbPNSt15iterator_traitsISE_E10value_typeEPNSK_ISF_E10value_typeEPSG_NS1_7vsmem_tEENKUlT_SE_SF_SG_E_clIS8_S8_S9_S9_EESD_ST_SE_SF_SG_EUlST_E1_NS1_11comp_targetILNS1_3genE8ELNS1_11target_archE1030ELNS1_3gpuE2ELNS1_3repE0EEENS1_36merge_oddeven_config_static_selectorELNS0_4arch9wavefront6targetE0EEEvSF_ ; -- Begin function _ZN7rocprim17ROCPRIM_400000_NS6detail17trampoline_kernelINS0_14default_configENS1_38merge_sort_block_merge_config_selectorIsNS0_10empty_typeEEEZZNS1_27merge_sort_block_merge_implIS3_PsPS5_jNS1_19radix_merge_compareILb1ELb0EsNS0_19identity_decomposerEEEEE10hipError_tT0_T1_T2_jT3_P12ihipStream_tbPNSt15iterator_traitsISE_E10value_typeEPNSK_ISF_E10value_typeEPSG_NS1_7vsmem_tEENKUlT_SE_SF_SG_E_clIS8_S8_S9_S9_EESD_ST_SE_SF_SG_EUlST_E1_NS1_11comp_targetILNS1_3genE8ELNS1_11target_archE1030ELNS1_3gpuE2ELNS1_3repE0EEENS1_36merge_oddeven_config_static_selectorELNS0_4arch9wavefront6targetE0EEEvSF_
	.globl	_ZN7rocprim17ROCPRIM_400000_NS6detail17trampoline_kernelINS0_14default_configENS1_38merge_sort_block_merge_config_selectorIsNS0_10empty_typeEEEZZNS1_27merge_sort_block_merge_implIS3_PsPS5_jNS1_19radix_merge_compareILb1ELb0EsNS0_19identity_decomposerEEEEE10hipError_tT0_T1_T2_jT3_P12ihipStream_tbPNSt15iterator_traitsISE_E10value_typeEPNSK_ISF_E10value_typeEPSG_NS1_7vsmem_tEENKUlT_SE_SF_SG_E_clIS8_S8_S9_S9_EESD_ST_SE_SF_SG_EUlST_E1_NS1_11comp_targetILNS1_3genE8ELNS1_11target_archE1030ELNS1_3gpuE2ELNS1_3repE0EEENS1_36merge_oddeven_config_static_selectorELNS0_4arch9wavefront6targetE0EEEvSF_
	.p2align	8
	.type	_ZN7rocprim17ROCPRIM_400000_NS6detail17trampoline_kernelINS0_14default_configENS1_38merge_sort_block_merge_config_selectorIsNS0_10empty_typeEEEZZNS1_27merge_sort_block_merge_implIS3_PsPS5_jNS1_19radix_merge_compareILb1ELb0EsNS0_19identity_decomposerEEEEE10hipError_tT0_T1_T2_jT3_P12ihipStream_tbPNSt15iterator_traitsISE_E10value_typeEPNSK_ISF_E10value_typeEPSG_NS1_7vsmem_tEENKUlT_SE_SF_SG_E_clIS8_S8_S9_S9_EESD_ST_SE_SF_SG_EUlST_E1_NS1_11comp_targetILNS1_3genE8ELNS1_11target_archE1030ELNS1_3gpuE2ELNS1_3repE0EEENS1_36merge_oddeven_config_static_selectorELNS0_4arch9wavefront6targetE0EEEvSF_,@function
_ZN7rocprim17ROCPRIM_400000_NS6detail17trampoline_kernelINS0_14default_configENS1_38merge_sort_block_merge_config_selectorIsNS0_10empty_typeEEEZZNS1_27merge_sort_block_merge_implIS3_PsPS5_jNS1_19radix_merge_compareILb1ELb0EsNS0_19identity_decomposerEEEEE10hipError_tT0_T1_T2_jT3_P12ihipStream_tbPNSt15iterator_traitsISE_E10value_typeEPNSK_ISF_E10value_typeEPSG_NS1_7vsmem_tEENKUlT_SE_SF_SG_E_clIS8_S8_S9_S9_EESD_ST_SE_SF_SG_EUlST_E1_NS1_11comp_targetILNS1_3genE8ELNS1_11target_archE1030ELNS1_3gpuE2ELNS1_3repE0EEENS1_36merge_oddeven_config_static_selectorELNS0_4arch9wavefront6targetE0EEEvSF_: ; @_ZN7rocprim17ROCPRIM_400000_NS6detail17trampoline_kernelINS0_14default_configENS1_38merge_sort_block_merge_config_selectorIsNS0_10empty_typeEEEZZNS1_27merge_sort_block_merge_implIS3_PsPS5_jNS1_19radix_merge_compareILb1ELb0EsNS0_19identity_decomposerEEEEE10hipError_tT0_T1_T2_jT3_P12ihipStream_tbPNSt15iterator_traitsISE_E10value_typeEPNSK_ISF_E10value_typeEPSG_NS1_7vsmem_tEENKUlT_SE_SF_SG_E_clIS8_S8_S9_S9_EESD_ST_SE_SF_SG_EUlST_E1_NS1_11comp_targetILNS1_3genE8ELNS1_11target_archE1030ELNS1_3gpuE2ELNS1_3repE0EEENS1_36merge_oddeven_config_static_selectorELNS0_4arch9wavefront6targetE0EEEvSF_
; %bb.0:
	.section	.rodata,"a",@progbits
	.p2align	6, 0x0
	.amdhsa_kernel _ZN7rocprim17ROCPRIM_400000_NS6detail17trampoline_kernelINS0_14default_configENS1_38merge_sort_block_merge_config_selectorIsNS0_10empty_typeEEEZZNS1_27merge_sort_block_merge_implIS3_PsPS5_jNS1_19radix_merge_compareILb1ELb0EsNS0_19identity_decomposerEEEEE10hipError_tT0_T1_T2_jT3_P12ihipStream_tbPNSt15iterator_traitsISE_E10value_typeEPNSK_ISF_E10value_typeEPSG_NS1_7vsmem_tEENKUlT_SE_SF_SG_E_clIS8_S8_S9_S9_EESD_ST_SE_SF_SG_EUlST_E1_NS1_11comp_targetILNS1_3genE8ELNS1_11target_archE1030ELNS1_3gpuE2ELNS1_3repE0EEENS1_36merge_oddeven_config_static_selectorELNS0_4arch9wavefront6targetE0EEEvSF_
		.amdhsa_group_segment_fixed_size 0
		.amdhsa_private_segment_fixed_size 0
		.amdhsa_kernarg_size 48
		.amdhsa_user_sgpr_count 2
		.amdhsa_user_sgpr_dispatch_ptr 0
		.amdhsa_user_sgpr_queue_ptr 0
		.amdhsa_user_sgpr_kernarg_segment_ptr 1
		.amdhsa_user_sgpr_dispatch_id 0
		.amdhsa_user_sgpr_kernarg_preload_length 0
		.amdhsa_user_sgpr_kernarg_preload_offset 0
		.amdhsa_user_sgpr_private_segment_size 0
		.amdhsa_wavefront_size32 1
		.amdhsa_uses_dynamic_stack 0
		.amdhsa_enable_private_segment 0
		.amdhsa_system_sgpr_workgroup_id_x 1
		.amdhsa_system_sgpr_workgroup_id_y 0
		.amdhsa_system_sgpr_workgroup_id_z 0
		.amdhsa_system_sgpr_workgroup_info 0
		.amdhsa_system_vgpr_workitem_id 0
		.amdhsa_next_free_vgpr 1
		.amdhsa_next_free_sgpr 1
		.amdhsa_named_barrier_count 0
		.amdhsa_reserve_vcc 0
		.amdhsa_float_round_mode_32 0
		.amdhsa_float_round_mode_16_64 0
		.amdhsa_float_denorm_mode_32 3
		.amdhsa_float_denorm_mode_16_64 3
		.amdhsa_fp16_overflow 0
		.amdhsa_memory_ordered 1
		.amdhsa_forward_progress 1
		.amdhsa_inst_pref_size 0
		.amdhsa_round_robin_scheduling 0
		.amdhsa_exception_fp_ieee_invalid_op 0
		.amdhsa_exception_fp_denorm_src 0
		.amdhsa_exception_fp_ieee_div_zero 0
		.amdhsa_exception_fp_ieee_overflow 0
		.amdhsa_exception_fp_ieee_underflow 0
		.amdhsa_exception_fp_ieee_inexact 0
		.amdhsa_exception_int_div_zero 0
	.end_amdhsa_kernel
	.section	.text._ZN7rocprim17ROCPRIM_400000_NS6detail17trampoline_kernelINS0_14default_configENS1_38merge_sort_block_merge_config_selectorIsNS0_10empty_typeEEEZZNS1_27merge_sort_block_merge_implIS3_PsPS5_jNS1_19radix_merge_compareILb1ELb0EsNS0_19identity_decomposerEEEEE10hipError_tT0_T1_T2_jT3_P12ihipStream_tbPNSt15iterator_traitsISE_E10value_typeEPNSK_ISF_E10value_typeEPSG_NS1_7vsmem_tEENKUlT_SE_SF_SG_E_clIS8_S8_S9_S9_EESD_ST_SE_SF_SG_EUlST_E1_NS1_11comp_targetILNS1_3genE8ELNS1_11target_archE1030ELNS1_3gpuE2ELNS1_3repE0EEENS1_36merge_oddeven_config_static_selectorELNS0_4arch9wavefront6targetE0EEEvSF_,"axG",@progbits,_ZN7rocprim17ROCPRIM_400000_NS6detail17trampoline_kernelINS0_14default_configENS1_38merge_sort_block_merge_config_selectorIsNS0_10empty_typeEEEZZNS1_27merge_sort_block_merge_implIS3_PsPS5_jNS1_19radix_merge_compareILb1ELb0EsNS0_19identity_decomposerEEEEE10hipError_tT0_T1_T2_jT3_P12ihipStream_tbPNSt15iterator_traitsISE_E10value_typeEPNSK_ISF_E10value_typeEPSG_NS1_7vsmem_tEENKUlT_SE_SF_SG_E_clIS8_S8_S9_S9_EESD_ST_SE_SF_SG_EUlST_E1_NS1_11comp_targetILNS1_3genE8ELNS1_11target_archE1030ELNS1_3gpuE2ELNS1_3repE0EEENS1_36merge_oddeven_config_static_selectorELNS0_4arch9wavefront6targetE0EEEvSF_,comdat
.Lfunc_end543:
	.size	_ZN7rocprim17ROCPRIM_400000_NS6detail17trampoline_kernelINS0_14default_configENS1_38merge_sort_block_merge_config_selectorIsNS0_10empty_typeEEEZZNS1_27merge_sort_block_merge_implIS3_PsPS5_jNS1_19radix_merge_compareILb1ELb0EsNS0_19identity_decomposerEEEEE10hipError_tT0_T1_T2_jT3_P12ihipStream_tbPNSt15iterator_traitsISE_E10value_typeEPNSK_ISF_E10value_typeEPSG_NS1_7vsmem_tEENKUlT_SE_SF_SG_E_clIS8_S8_S9_S9_EESD_ST_SE_SF_SG_EUlST_E1_NS1_11comp_targetILNS1_3genE8ELNS1_11target_archE1030ELNS1_3gpuE2ELNS1_3repE0EEENS1_36merge_oddeven_config_static_selectorELNS0_4arch9wavefront6targetE0EEEvSF_, .Lfunc_end543-_ZN7rocprim17ROCPRIM_400000_NS6detail17trampoline_kernelINS0_14default_configENS1_38merge_sort_block_merge_config_selectorIsNS0_10empty_typeEEEZZNS1_27merge_sort_block_merge_implIS3_PsPS5_jNS1_19radix_merge_compareILb1ELb0EsNS0_19identity_decomposerEEEEE10hipError_tT0_T1_T2_jT3_P12ihipStream_tbPNSt15iterator_traitsISE_E10value_typeEPNSK_ISF_E10value_typeEPSG_NS1_7vsmem_tEENKUlT_SE_SF_SG_E_clIS8_S8_S9_S9_EESD_ST_SE_SF_SG_EUlST_E1_NS1_11comp_targetILNS1_3genE8ELNS1_11target_archE1030ELNS1_3gpuE2ELNS1_3repE0EEENS1_36merge_oddeven_config_static_selectorELNS0_4arch9wavefront6targetE0EEEvSF_
                                        ; -- End function
	.set _ZN7rocprim17ROCPRIM_400000_NS6detail17trampoline_kernelINS0_14default_configENS1_38merge_sort_block_merge_config_selectorIsNS0_10empty_typeEEEZZNS1_27merge_sort_block_merge_implIS3_PsPS5_jNS1_19radix_merge_compareILb1ELb0EsNS0_19identity_decomposerEEEEE10hipError_tT0_T1_T2_jT3_P12ihipStream_tbPNSt15iterator_traitsISE_E10value_typeEPNSK_ISF_E10value_typeEPSG_NS1_7vsmem_tEENKUlT_SE_SF_SG_E_clIS8_S8_S9_S9_EESD_ST_SE_SF_SG_EUlST_E1_NS1_11comp_targetILNS1_3genE8ELNS1_11target_archE1030ELNS1_3gpuE2ELNS1_3repE0EEENS1_36merge_oddeven_config_static_selectorELNS0_4arch9wavefront6targetE0EEEvSF_.num_vgpr, 0
	.set _ZN7rocprim17ROCPRIM_400000_NS6detail17trampoline_kernelINS0_14default_configENS1_38merge_sort_block_merge_config_selectorIsNS0_10empty_typeEEEZZNS1_27merge_sort_block_merge_implIS3_PsPS5_jNS1_19radix_merge_compareILb1ELb0EsNS0_19identity_decomposerEEEEE10hipError_tT0_T1_T2_jT3_P12ihipStream_tbPNSt15iterator_traitsISE_E10value_typeEPNSK_ISF_E10value_typeEPSG_NS1_7vsmem_tEENKUlT_SE_SF_SG_E_clIS8_S8_S9_S9_EESD_ST_SE_SF_SG_EUlST_E1_NS1_11comp_targetILNS1_3genE8ELNS1_11target_archE1030ELNS1_3gpuE2ELNS1_3repE0EEENS1_36merge_oddeven_config_static_selectorELNS0_4arch9wavefront6targetE0EEEvSF_.num_agpr, 0
	.set _ZN7rocprim17ROCPRIM_400000_NS6detail17trampoline_kernelINS0_14default_configENS1_38merge_sort_block_merge_config_selectorIsNS0_10empty_typeEEEZZNS1_27merge_sort_block_merge_implIS3_PsPS5_jNS1_19radix_merge_compareILb1ELb0EsNS0_19identity_decomposerEEEEE10hipError_tT0_T1_T2_jT3_P12ihipStream_tbPNSt15iterator_traitsISE_E10value_typeEPNSK_ISF_E10value_typeEPSG_NS1_7vsmem_tEENKUlT_SE_SF_SG_E_clIS8_S8_S9_S9_EESD_ST_SE_SF_SG_EUlST_E1_NS1_11comp_targetILNS1_3genE8ELNS1_11target_archE1030ELNS1_3gpuE2ELNS1_3repE0EEENS1_36merge_oddeven_config_static_selectorELNS0_4arch9wavefront6targetE0EEEvSF_.numbered_sgpr, 0
	.set _ZN7rocprim17ROCPRIM_400000_NS6detail17trampoline_kernelINS0_14default_configENS1_38merge_sort_block_merge_config_selectorIsNS0_10empty_typeEEEZZNS1_27merge_sort_block_merge_implIS3_PsPS5_jNS1_19radix_merge_compareILb1ELb0EsNS0_19identity_decomposerEEEEE10hipError_tT0_T1_T2_jT3_P12ihipStream_tbPNSt15iterator_traitsISE_E10value_typeEPNSK_ISF_E10value_typeEPSG_NS1_7vsmem_tEENKUlT_SE_SF_SG_E_clIS8_S8_S9_S9_EESD_ST_SE_SF_SG_EUlST_E1_NS1_11comp_targetILNS1_3genE8ELNS1_11target_archE1030ELNS1_3gpuE2ELNS1_3repE0EEENS1_36merge_oddeven_config_static_selectorELNS0_4arch9wavefront6targetE0EEEvSF_.num_named_barrier, 0
	.set _ZN7rocprim17ROCPRIM_400000_NS6detail17trampoline_kernelINS0_14default_configENS1_38merge_sort_block_merge_config_selectorIsNS0_10empty_typeEEEZZNS1_27merge_sort_block_merge_implIS3_PsPS5_jNS1_19radix_merge_compareILb1ELb0EsNS0_19identity_decomposerEEEEE10hipError_tT0_T1_T2_jT3_P12ihipStream_tbPNSt15iterator_traitsISE_E10value_typeEPNSK_ISF_E10value_typeEPSG_NS1_7vsmem_tEENKUlT_SE_SF_SG_E_clIS8_S8_S9_S9_EESD_ST_SE_SF_SG_EUlST_E1_NS1_11comp_targetILNS1_3genE8ELNS1_11target_archE1030ELNS1_3gpuE2ELNS1_3repE0EEENS1_36merge_oddeven_config_static_selectorELNS0_4arch9wavefront6targetE0EEEvSF_.private_seg_size, 0
	.set _ZN7rocprim17ROCPRIM_400000_NS6detail17trampoline_kernelINS0_14default_configENS1_38merge_sort_block_merge_config_selectorIsNS0_10empty_typeEEEZZNS1_27merge_sort_block_merge_implIS3_PsPS5_jNS1_19radix_merge_compareILb1ELb0EsNS0_19identity_decomposerEEEEE10hipError_tT0_T1_T2_jT3_P12ihipStream_tbPNSt15iterator_traitsISE_E10value_typeEPNSK_ISF_E10value_typeEPSG_NS1_7vsmem_tEENKUlT_SE_SF_SG_E_clIS8_S8_S9_S9_EESD_ST_SE_SF_SG_EUlST_E1_NS1_11comp_targetILNS1_3genE8ELNS1_11target_archE1030ELNS1_3gpuE2ELNS1_3repE0EEENS1_36merge_oddeven_config_static_selectorELNS0_4arch9wavefront6targetE0EEEvSF_.uses_vcc, 0
	.set _ZN7rocprim17ROCPRIM_400000_NS6detail17trampoline_kernelINS0_14default_configENS1_38merge_sort_block_merge_config_selectorIsNS0_10empty_typeEEEZZNS1_27merge_sort_block_merge_implIS3_PsPS5_jNS1_19radix_merge_compareILb1ELb0EsNS0_19identity_decomposerEEEEE10hipError_tT0_T1_T2_jT3_P12ihipStream_tbPNSt15iterator_traitsISE_E10value_typeEPNSK_ISF_E10value_typeEPSG_NS1_7vsmem_tEENKUlT_SE_SF_SG_E_clIS8_S8_S9_S9_EESD_ST_SE_SF_SG_EUlST_E1_NS1_11comp_targetILNS1_3genE8ELNS1_11target_archE1030ELNS1_3gpuE2ELNS1_3repE0EEENS1_36merge_oddeven_config_static_selectorELNS0_4arch9wavefront6targetE0EEEvSF_.uses_flat_scratch, 0
	.set _ZN7rocprim17ROCPRIM_400000_NS6detail17trampoline_kernelINS0_14default_configENS1_38merge_sort_block_merge_config_selectorIsNS0_10empty_typeEEEZZNS1_27merge_sort_block_merge_implIS3_PsPS5_jNS1_19radix_merge_compareILb1ELb0EsNS0_19identity_decomposerEEEEE10hipError_tT0_T1_T2_jT3_P12ihipStream_tbPNSt15iterator_traitsISE_E10value_typeEPNSK_ISF_E10value_typeEPSG_NS1_7vsmem_tEENKUlT_SE_SF_SG_E_clIS8_S8_S9_S9_EESD_ST_SE_SF_SG_EUlST_E1_NS1_11comp_targetILNS1_3genE8ELNS1_11target_archE1030ELNS1_3gpuE2ELNS1_3repE0EEENS1_36merge_oddeven_config_static_selectorELNS0_4arch9wavefront6targetE0EEEvSF_.has_dyn_sized_stack, 0
	.set _ZN7rocprim17ROCPRIM_400000_NS6detail17trampoline_kernelINS0_14default_configENS1_38merge_sort_block_merge_config_selectorIsNS0_10empty_typeEEEZZNS1_27merge_sort_block_merge_implIS3_PsPS5_jNS1_19radix_merge_compareILb1ELb0EsNS0_19identity_decomposerEEEEE10hipError_tT0_T1_T2_jT3_P12ihipStream_tbPNSt15iterator_traitsISE_E10value_typeEPNSK_ISF_E10value_typeEPSG_NS1_7vsmem_tEENKUlT_SE_SF_SG_E_clIS8_S8_S9_S9_EESD_ST_SE_SF_SG_EUlST_E1_NS1_11comp_targetILNS1_3genE8ELNS1_11target_archE1030ELNS1_3gpuE2ELNS1_3repE0EEENS1_36merge_oddeven_config_static_selectorELNS0_4arch9wavefront6targetE0EEEvSF_.has_recursion, 0
	.set _ZN7rocprim17ROCPRIM_400000_NS6detail17trampoline_kernelINS0_14default_configENS1_38merge_sort_block_merge_config_selectorIsNS0_10empty_typeEEEZZNS1_27merge_sort_block_merge_implIS3_PsPS5_jNS1_19radix_merge_compareILb1ELb0EsNS0_19identity_decomposerEEEEE10hipError_tT0_T1_T2_jT3_P12ihipStream_tbPNSt15iterator_traitsISE_E10value_typeEPNSK_ISF_E10value_typeEPSG_NS1_7vsmem_tEENKUlT_SE_SF_SG_E_clIS8_S8_S9_S9_EESD_ST_SE_SF_SG_EUlST_E1_NS1_11comp_targetILNS1_3genE8ELNS1_11target_archE1030ELNS1_3gpuE2ELNS1_3repE0EEENS1_36merge_oddeven_config_static_selectorELNS0_4arch9wavefront6targetE0EEEvSF_.has_indirect_call, 0
	.section	.AMDGPU.csdata,"",@progbits
; Kernel info:
; codeLenInByte = 0
; TotalNumSgprs: 0
; NumVgprs: 0
; ScratchSize: 0
; MemoryBound: 0
; FloatMode: 240
; IeeeMode: 1
; LDSByteSize: 0 bytes/workgroup (compile time only)
; SGPRBlocks: 0
; VGPRBlocks: 0
; NumSGPRsForWavesPerEU: 1
; NumVGPRsForWavesPerEU: 1
; NamedBarCnt: 0
; Occupancy: 16
; WaveLimiterHint : 0
; COMPUTE_PGM_RSRC2:SCRATCH_EN: 0
; COMPUTE_PGM_RSRC2:USER_SGPR: 2
; COMPUTE_PGM_RSRC2:TRAP_HANDLER: 0
; COMPUTE_PGM_RSRC2:TGID_X_EN: 1
; COMPUTE_PGM_RSRC2:TGID_Y_EN: 0
; COMPUTE_PGM_RSRC2:TGID_Z_EN: 0
; COMPUTE_PGM_RSRC2:TIDIG_COMP_CNT: 0
	.section	.text._ZN7rocprim17ROCPRIM_400000_NS6detail17trampoline_kernelINS0_14default_configENS1_25transform_config_selectorIsLb1EEEZNS1_14transform_implILb1ES3_S5_PsS7_NS0_8identityIsEEEE10hipError_tT2_T3_mT4_P12ihipStream_tbEUlT_E_NS1_11comp_targetILNS1_3genE0ELNS1_11target_archE4294967295ELNS1_3gpuE0ELNS1_3repE0EEENS1_30default_config_static_selectorELNS0_4arch9wavefront6targetE0EEEvT1_,"axG",@progbits,_ZN7rocprim17ROCPRIM_400000_NS6detail17trampoline_kernelINS0_14default_configENS1_25transform_config_selectorIsLb1EEEZNS1_14transform_implILb1ES3_S5_PsS7_NS0_8identityIsEEEE10hipError_tT2_T3_mT4_P12ihipStream_tbEUlT_E_NS1_11comp_targetILNS1_3genE0ELNS1_11target_archE4294967295ELNS1_3gpuE0ELNS1_3repE0EEENS1_30default_config_static_selectorELNS0_4arch9wavefront6targetE0EEEvT1_,comdat
	.protected	_ZN7rocprim17ROCPRIM_400000_NS6detail17trampoline_kernelINS0_14default_configENS1_25transform_config_selectorIsLb1EEEZNS1_14transform_implILb1ES3_S5_PsS7_NS0_8identityIsEEEE10hipError_tT2_T3_mT4_P12ihipStream_tbEUlT_E_NS1_11comp_targetILNS1_3genE0ELNS1_11target_archE4294967295ELNS1_3gpuE0ELNS1_3repE0EEENS1_30default_config_static_selectorELNS0_4arch9wavefront6targetE0EEEvT1_ ; -- Begin function _ZN7rocprim17ROCPRIM_400000_NS6detail17trampoline_kernelINS0_14default_configENS1_25transform_config_selectorIsLb1EEEZNS1_14transform_implILb1ES3_S5_PsS7_NS0_8identityIsEEEE10hipError_tT2_T3_mT4_P12ihipStream_tbEUlT_E_NS1_11comp_targetILNS1_3genE0ELNS1_11target_archE4294967295ELNS1_3gpuE0ELNS1_3repE0EEENS1_30default_config_static_selectorELNS0_4arch9wavefront6targetE0EEEvT1_
	.globl	_ZN7rocprim17ROCPRIM_400000_NS6detail17trampoline_kernelINS0_14default_configENS1_25transform_config_selectorIsLb1EEEZNS1_14transform_implILb1ES3_S5_PsS7_NS0_8identityIsEEEE10hipError_tT2_T3_mT4_P12ihipStream_tbEUlT_E_NS1_11comp_targetILNS1_3genE0ELNS1_11target_archE4294967295ELNS1_3gpuE0ELNS1_3repE0EEENS1_30default_config_static_selectorELNS0_4arch9wavefront6targetE0EEEvT1_
	.p2align	8
	.type	_ZN7rocprim17ROCPRIM_400000_NS6detail17trampoline_kernelINS0_14default_configENS1_25transform_config_selectorIsLb1EEEZNS1_14transform_implILb1ES3_S5_PsS7_NS0_8identityIsEEEE10hipError_tT2_T3_mT4_P12ihipStream_tbEUlT_E_NS1_11comp_targetILNS1_3genE0ELNS1_11target_archE4294967295ELNS1_3gpuE0ELNS1_3repE0EEENS1_30default_config_static_selectorELNS0_4arch9wavefront6targetE0EEEvT1_,@function
_ZN7rocprim17ROCPRIM_400000_NS6detail17trampoline_kernelINS0_14default_configENS1_25transform_config_selectorIsLb1EEEZNS1_14transform_implILb1ES3_S5_PsS7_NS0_8identityIsEEEE10hipError_tT2_T3_mT4_P12ihipStream_tbEUlT_E_NS1_11comp_targetILNS1_3genE0ELNS1_11target_archE4294967295ELNS1_3gpuE0ELNS1_3repE0EEENS1_30default_config_static_selectorELNS0_4arch9wavefront6targetE0EEEvT1_: ; @_ZN7rocprim17ROCPRIM_400000_NS6detail17trampoline_kernelINS0_14default_configENS1_25transform_config_selectorIsLb1EEEZNS1_14transform_implILb1ES3_S5_PsS7_NS0_8identityIsEEEE10hipError_tT2_T3_mT4_P12ihipStream_tbEUlT_E_NS1_11comp_targetILNS1_3genE0ELNS1_11target_archE4294967295ELNS1_3gpuE0ELNS1_3repE0EEENS1_30default_config_static_selectorELNS0_4arch9wavefront6targetE0EEEvT1_
; %bb.0:
	s_load_b256 s[4:11], s[0:1], 0x0
	s_wait_kmcnt 0x0
	s_load_b32 s9, s[0:1], 0x28
                                        ; kill: killed $sgpr0_sgpr1
	s_wait_xcnt 0x0
	s_bfe_u32 s0, ttmp6, 0x4000c
	s_and_b32 s2, ttmp6, 15
	s_add_co_i32 s0, s0, 1
	s_getreg_b32 s12, hwreg(HW_REG_IB_STS2, 6, 4)
	s_mul_i32 s0, ttmp9, s0
	s_mov_b32 s1, 0
	s_add_co_i32 s0, s2, s0
	s_lshl_b64 s[2:3], s[6:7], 1
	s_cmp_eq_u32 s12, 0
	s_add_nc_u64 s[12:13], s[4:5], s[2:3]
	s_cselect_b32 s14, ttmp9, s0
	s_wait_kmcnt 0x0
	s_add_co_i32 s9, s9, -1
	s_lshl_b32 s0, s14, 9
	s_add_nc_u64 s[4:5], s[10:11], s[2:3]
	s_lshl_b64 s[6:7], s[0:1], 1
	s_mov_b32 s2, -1
	s_cmp_lg_u32 s14, s9
	s_add_nc_u64 s[10:11], s[12:13], s[6:7]
	s_cbranch_scc0 .LBB544_2
; %bb.1:
	global_load_b64 v[2:3], v0, s[10:11] scale_offset
	s_add_nc_u64 s[12:13], s[4:5], s[6:7]
	s_mov_b32 s2, 0
	s_wait_loadcnt 0x0
	global_store_b64 v0, v[2:3], s[12:13] scale_offset
.LBB544_2:
	s_and_not1_b32 vcc_lo, exec_lo, s2
	s_cbranch_vccnz .LBB544_16
; %bb.3:
	s_wait_xcnt 0x0
	v_mov_b32_e32 v2, 0
	s_sub_co_i32 s3, s8, s0
	s_delay_alu instid0(SALU_CYCLE_1) | instskip(NEXT) | instid1(VALU_DEP_2)
	v_cmp_gt_u32_e32 vcc_lo, s3, v0
	v_mov_b32_e32 v3, v2
	s_and_saveexec_b32 s0, vcc_lo
	s_cbranch_execz .LBB544_5
; %bb.4:
	global_load_u16 v1, v0, s[10:11] scale_offset
	v_mov_b32_e32 v5, v2
	s_wait_loadcnt 0x0
	v_and_b32_e32 v4, 0xffff, v1
	s_delay_alu instid0(VALU_DEP_1)
	v_mov_b64_e32 v[2:3], v[4:5]
.LBB544_5:
	s_wait_xcnt 0x0
	s_or_b32 exec_lo, exec_lo, s0
	v_or_b32_e32 v1, 0x80, v0
	s_delay_alu instid0(VALU_DEP_1)
	v_cmp_gt_u32_e64 s0, s3, v1
	s_and_saveexec_b32 s1, s0
	s_cbranch_execz .LBB544_7
; %bb.6:
	global_load_u16 v1, v0, s[10:11] offset:256 scale_offset
	s_wait_loadcnt 0x0
	v_perm_b32 v2, v1, v2, 0x5040100
.LBB544_7:
	s_wait_xcnt 0x0
	s_or_b32 exec_lo, exec_lo, s1
	v_or_b32_e32 v1, 0x100, v0
	s_delay_alu instid0(VALU_DEP_1)
	v_cmp_gt_u32_e64 s1, s3, v1
	s_and_saveexec_b32 s2, s1
	s_cbranch_execz .LBB544_9
; %bb.8:
	global_load_u16 v1, v0, s[10:11] offset:512 scale_offset
	s_wait_loadcnt 0x0
	v_bfi_b32 v3, 0xffff, v1, v3
.LBB544_9:
	s_wait_xcnt 0x0
	s_or_b32 exec_lo, exec_lo, s2
	v_or_b32_e32 v1, 0x180, v0
	s_delay_alu instid0(VALU_DEP_1) | instskip(SKIP_2) | instid1(SALU_CYCLE_1)
	v_cmp_gt_u32_e64 s2, s3, v1
	v_cmp_le_u32_e64 s3, s3, v1
	s_and_saveexec_b32 s8, s3
	s_xor_b32 s3, exec_lo, s8
	s_delay_alu instid0(SALU_CYCLE_1)
	s_and_not1_saveexec_b32 s3, s3
	s_cbranch_execz .LBB544_11
; %bb.10:
	global_load_u16 v1, v0, s[10:11] offset:768 scale_offset
	s_wait_loadcnt 0x0
	v_perm_b32 v3, v1, v3, 0x5040100
.LBB544_11:
	s_wait_xcnt 0x0
	s_or_b32 exec_lo, exec_lo, s3
	v_dual_mov_b32 v1, 0 :: v_dual_lshlrev_b32 v0, 1, v0
	v_and_b32_e32 v4, 0xffff, v2
	s_add_nc_u64 s[4:5], s[4:5], s[6:7]
	s_delay_alu instid0(VALU_DEP_2) | instid1(SALU_CYCLE_1)
	v_add_nc_u64_e32 v[0:1], s[4:5], v[0:1]
	s_delay_alu instid0(VALU_DEP_2)
	v_cndmask_b32_e32 v4, 0, v4, vcc_lo
	s_and_saveexec_b32 s3, vcc_lo
	s_cbranch_execnz .LBB544_17
; %bb.12:
	s_or_b32 exec_lo, exec_lo, s3
	s_delay_alu instid0(VALU_DEP_1)
	v_cndmask_b32_e64 v2, v4, v2, s0
	s_and_saveexec_b32 s3, s0
	s_cbranch_execnz .LBB544_18
.LBB544_13:
	s_or_b32 exec_lo, exec_lo, s3
	s_and_saveexec_b32 s0, s1
	s_cbranch_execnz .LBB544_19
.LBB544_14:
	s_or_b32 exec_lo, exec_lo, s0
	s_and_saveexec_b32 s0, s2
	s_cbranch_execz .LBB544_16
.LBB544_15:
	v_cndmask_b32_e64 v2, 0, v3, s2
	global_store_d16_hi_b16 v[0:1], v2, off offset:768
.LBB544_16:
	s_endpgm
.LBB544_17:
	global_store_b16 v[0:1], v4, off
	s_wait_xcnt 0x0
	s_or_b32 exec_lo, exec_lo, s3
	v_cndmask_b32_e64 v2, v4, v2, s0
	s_and_saveexec_b32 s3, s0
	s_cbranch_execz .LBB544_13
.LBB544_18:
	global_store_d16_hi_b16 v[0:1], v2, off offset:256
	s_wait_xcnt 0x0
	s_or_b32 exec_lo, exec_lo, s3
	s_and_saveexec_b32 s0, s1
	s_cbranch_execz .LBB544_14
.LBB544_19:
	v_cndmask_b32_e64 v2, 0, v3, s1
	global_store_b16 v[0:1], v2, off offset:512
	s_wait_xcnt 0x0
	s_or_b32 exec_lo, exec_lo, s0
	s_and_saveexec_b32 s0, s2
	s_cbranch_execnz .LBB544_15
	s_branch .LBB544_16
	.section	.rodata,"a",@progbits
	.p2align	6, 0x0
	.amdhsa_kernel _ZN7rocprim17ROCPRIM_400000_NS6detail17trampoline_kernelINS0_14default_configENS1_25transform_config_selectorIsLb1EEEZNS1_14transform_implILb1ES3_S5_PsS7_NS0_8identityIsEEEE10hipError_tT2_T3_mT4_P12ihipStream_tbEUlT_E_NS1_11comp_targetILNS1_3genE0ELNS1_11target_archE4294967295ELNS1_3gpuE0ELNS1_3repE0EEENS1_30default_config_static_selectorELNS0_4arch9wavefront6targetE0EEEvT1_
		.amdhsa_group_segment_fixed_size 0
		.amdhsa_private_segment_fixed_size 0
		.amdhsa_kernarg_size 296
		.amdhsa_user_sgpr_count 2
		.amdhsa_user_sgpr_dispatch_ptr 0
		.amdhsa_user_sgpr_queue_ptr 0
		.amdhsa_user_sgpr_kernarg_segment_ptr 1
		.amdhsa_user_sgpr_dispatch_id 0
		.amdhsa_user_sgpr_kernarg_preload_length 0
		.amdhsa_user_sgpr_kernarg_preload_offset 0
		.amdhsa_user_sgpr_private_segment_size 0
		.amdhsa_wavefront_size32 1
		.amdhsa_uses_dynamic_stack 0
		.amdhsa_enable_private_segment 0
		.amdhsa_system_sgpr_workgroup_id_x 1
		.amdhsa_system_sgpr_workgroup_id_y 0
		.amdhsa_system_sgpr_workgroup_id_z 0
		.amdhsa_system_sgpr_workgroup_info 0
		.amdhsa_system_vgpr_workitem_id 0
		.amdhsa_next_free_vgpr 6
		.amdhsa_next_free_sgpr 15
		.amdhsa_named_barrier_count 0
		.amdhsa_reserve_vcc 1
		.amdhsa_float_round_mode_32 0
		.amdhsa_float_round_mode_16_64 0
		.amdhsa_float_denorm_mode_32 3
		.amdhsa_float_denorm_mode_16_64 3
		.amdhsa_fp16_overflow 0
		.amdhsa_memory_ordered 1
		.amdhsa_forward_progress 1
		.amdhsa_inst_pref_size 6
		.amdhsa_round_robin_scheduling 0
		.amdhsa_exception_fp_ieee_invalid_op 0
		.amdhsa_exception_fp_denorm_src 0
		.amdhsa_exception_fp_ieee_div_zero 0
		.amdhsa_exception_fp_ieee_overflow 0
		.amdhsa_exception_fp_ieee_underflow 0
		.amdhsa_exception_fp_ieee_inexact 0
		.amdhsa_exception_int_div_zero 0
	.end_amdhsa_kernel
	.section	.text._ZN7rocprim17ROCPRIM_400000_NS6detail17trampoline_kernelINS0_14default_configENS1_25transform_config_selectorIsLb1EEEZNS1_14transform_implILb1ES3_S5_PsS7_NS0_8identityIsEEEE10hipError_tT2_T3_mT4_P12ihipStream_tbEUlT_E_NS1_11comp_targetILNS1_3genE0ELNS1_11target_archE4294967295ELNS1_3gpuE0ELNS1_3repE0EEENS1_30default_config_static_selectorELNS0_4arch9wavefront6targetE0EEEvT1_,"axG",@progbits,_ZN7rocprim17ROCPRIM_400000_NS6detail17trampoline_kernelINS0_14default_configENS1_25transform_config_selectorIsLb1EEEZNS1_14transform_implILb1ES3_S5_PsS7_NS0_8identityIsEEEE10hipError_tT2_T3_mT4_P12ihipStream_tbEUlT_E_NS1_11comp_targetILNS1_3genE0ELNS1_11target_archE4294967295ELNS1_3gpuE0ELNS1_3repE0EEENS1_30default_config_static_selectorELNS0_4arch9wavefront6targetE0EEEvT1_,comdat
.Lfunc_end544:
	.size	_ZN7rocprim17ROCPRIM_400000_NS6detail17trampoline_kernelINS0_14default_configENS1_25transform_config_selectorIsLb1EEEZNS1_14transform_implILb1ES3_S5_PsS7_NS0_8identityIsEEEE10hipError_tT2_T3_mT4_P12ihipStream_tbEUlT_E_NS1_11comp_targetILNS1_3genE0ELNS1_11target_archE4294967295ELNS1_3gpuE0ELNS1_3repE0EEENS1_30default_config_static_selectorELNS0_4arch9wavefront6targetE0EEEvT1_, .Lfunc_end544-_ZN7rocprim17ROCPRIM_400000_NS6detail17trampoline_kernelINS0_14default_configENS1_25transform_config_selectorIsLb1EEEZNS1_14transform_implILb1ES3_S5_PsS7_NS0_8identityIsEEEE10hipError_tT2_T3_mT4_P12ihipStream_tbEUlT_E_NS1_11comp_targetILNS1_3genE0ELNS1_11target_archE4294967295ELNS1_3gpuE0ELNS1_3repE0EEENS1_30default_config_static_selectorELNS0_4arch9wavefront6targetE0EEEvT1_
                                        ; -- End function
	.set _ZN7rocprim17ROCPRIM_400000_NS6detail17trampoline_kernelINS0_14default_configENS1_25transform_config_selectorIsLb1EEEZNS1_14transform_implILb1ES3_S5_PsS7_NS0_8identityIsEEEE10hipError_tT2_T3_mT4_P12ihipStream_tbEUlT_E_NS1_11comp_targetILNS1_3genE0ELNS1_11target_archE4294967295ELNS1_3gpuE0ELNS1_3repE0EEENS1_30default_config_static_selectorELNS0_4arch9wavefront6targetE0EEEvT1_.num_vgpr, 6
	.set _ZN7rocprim17ROCPRIM_400000_NS6detail17trampoline_kernelINS0_14default_configENS1_25transform_config_selectorIsLb1EEEZNS1_14transform_implILb1ES3_S5_PsS7_NS0_8identityIsEEEE10hipError_tT2_T3_mT4_P12ihipStream_tbEUlT_E_NS1_11comp_targetILNS1_3genE0ELNS1_11target_archE4294967295ELNS1_3gpuE0ELNS1_3repE0EEENS1_30default_config_static_selectorELNS0_4arch9wavefront6targetE0EEEvT1_.num_agpr, 0
	.set _ZN7rocprim17ROCPRIM_400000_NS6detail17trampoline_kernelINS0_14default_configENS1_25transform_config_selectorIsLb1EEEZNS1_14transform_implILb1ES3_S5_PsS7_NS0_8identityIsEEEE10hipError_tT2_T3_mT4_P12ihipStream_tbEUlT_E_NS1_11comp_targetILNS1_3genE0ELNS1_11target_archE4294967295ELNS1_3gpuE0ELNS1_3repE0EEENS1_30default_config_static_selectorELNS0_4arch9wavefront6targetE0EEEvT1_.numbered_sgpr, 15
	.set _ZN7rocprim17ROCPRIM_400000_NS6detail17trampoline_kernelINS0_14default_configENS1_25transform_config_selectorIsLb1EEEZNS1_14transform_implILb1ES3_S5_PsS7_NS0_8identityIsEEEE10hipError_tT2_T3_mT4_P12ihipStream_tbEUlT_E_NS1_11comp_targetILNS1_3genE0ELNS1_11target_archE4294967295ELNS1_3gpuE0ELNS1_3repE0EEENS1_30default_config_static_selectorELNS0_4arch9wavefront6targetE0EEEvT1_.num_named_barrier, 0
	.set _ZN7rocprim17ROCPRIM_400000_NS6detail17trampoline_kernelINS0_14default_configENS1_25transform_config_selectorIsLb1EEEZNS1_14transform_implILb1ES3_S5_PsS7_NS0_8identityIsEEEE10hipError_tT2_T3_mT4_P12ihipStream_tbEUlT_E_NS1_11comp_targetILNS1_3genE0ELNS1_11target_archE4294967295ELNS1_3gpuE0ELNS1_3repE0EEENS1_30default_config_static_selectorELNS0_4arch9wavefront6targetE0EEEvT1_.private_seg_size, 0
	.set _ZN7rocprim17ROCPRIM_400000_NS6detail17trampoline_kernelINS0_14default_configENS1_25transform_config_selectorIsLb1EEEZNS1_14transform_implILb1ES3_S5_PsS7_NS0_8identityIsEEEE10hipError_tT2_T3_mT4_P12ihipStream_tbEUlT_E_NS1_11comp_targetILNS1_3genE0ELNS1_11target_archE4294967295ELNS1_3gpuE0ELNS1_3repE0EEENS1_30default_config_static_selectorELNS0_4arch9wavefront6targetE0EEEvT1_.uses_vcc, 1
	.set _ZN7rocprim17ROCPRIM_400000_NS6detail17trampoline_kernelINS0_14default_configENS1_25transform_config_selectorIsLb1EEEZNS1_14transform_implILb1ES3_S5_PsS7_NS0_8identityIsEEEE10hipError_tT2_T3_mT4_P12ihipStream_tbEUlT_E_NS1_11comp_targetILNS1_3genE0ELNS1_11target_archE4294967295ELNS1_3gpuE0ELNS1_3repE0EEENS1_30default_config_static_selectorELNS0_4arch9wavefront6targetE0EEEvT1_.uses_flat_scratch, 0
	.set _ZN7rocprim17ROCPRIM_400000_NS6detail17trampoline_kernelINS0_14default_configENS1_25transform_config_selectorIsLb1EEEZNS1_14transform_implILb1ES3_S5_PsS7_NS0_8identityIsEEEE10hipError_tT2_T3_mT4_P12ihipStream_tbEUlT_E_NS1_11comp_targetILNS1_3genE0ELNS1_11target_archE4294967295ELNS1_3gpuE0ELNS1_3repE0EEENS1_30default_config_static_selectorELNS0_4arch9wavefront6targetE0EEEvT1_.has_dyn_sized_stack, 0
	.set _ZN7rocprim17ROCPRIM_400000_NS6detail17trampoline_kernelINS0_14default_configENS1_25transform_config_selectorIsLb1EEEZNS1_14transform_implILb1ES3_S5_PsS7_NS0_8identityIsEEEE10hipError_tT2_T3_mT4_P12ihipStream_tbEUlT_E_NS1_11comp_targetILNS1_3genE0ELNS1_11target_archE4294967295ELNS1_3gpuE0ELNS1_3repE0EEENS1_30default_config_static_selectorELNS0_4arch9wavefront6targetE0EEEvT1_.has_recursion, 0
	.set _ZN7rocprim17ROCPRIM_400000_NS6detail17trampoline_kernelINS0_14default_configENS1_25transform_config_selectorIsLb1EEEZNS1_14transform_implILb1ES3_S5_PsS7_NS0_8identityIsEEEE10hipError_tT2_T3_mT4_P12ihipStream_tbEUlT_E_NS1_11comp_targetILNS1_3genE0ELNS1_11target_archE4294967295ELNS1_3gpuE0ELNS1_3repE0EEENS1_30default_config_static_selectorELNS0_4arch9wavefront6targetE0EEEvT1_.has_indirect_call, 0
	.section	.AMDGPU.csdata,"",@progbits
; Kernel info:
; codeLenInByte = 660
; TotalNumSgprs: 17
; NumVgprs: 6
; ScratchSize: 0
; MemoryBound: 0
; FloatMode: 240
; IeeeMode: 1
; LDSByteSize: 0 bytes/workgroup (compile time only)
; SGPRBlocks: 0
; VGPRBlocks: 0
; NumSGPRsForWavesPerEU: 17
; NumVGPRsForWavesPerEU: 6
; NamedBarCnt: 0
; Occupancy: 16
; WaveLimiterHint : 0
; COMPUTE_PGM_RSRC2:SCRATCH_EN: 0
; COMPUTE_PGM_RSRC2:USER_SGPR: 2
; COMPUTE_PGM_RSRC2:TRAP_HANDLER: 0
; COMPUTE_PGM_RSRC2:TGID_X_EN: 1
; COMPUTE_PGM_RSRC2:TGID_Y_EN: 0
; COMPUTE_PGM_RSRC2:TGID_Z_EN: 0
; COMPUTE_PGM_RSRC2:TIDIG_COMP_CNT: 0
	.section	.text._ZN7rocprim17ROCPRIM_400000_NS6detail17trampoline_kernelINS0_14default_configENS1_25transform_config_selectorIsLb1EEEZNS1_14transform_implILb1ES3_S5_PsS7_NS0_8identityIsEEEE10hipError_tT2_T3_mT4_P12ihipStream_tbEUlT_E_NS1_11comp_targetILNS1_3genE10ELNS1_11target_archE1201ELNS1_3gpuE5ELNS1_3repE0EEENS1_30default_config_static_selectorELNS0_4arch9wavefront6targetE0EEEvT1_,"axG",@progbits,_ZN7rocprim17ROCPRIM_400000_NS6detail17trampoline_kernelINS0_14default_configENS1_25transform_config_selectorIsLb1EEEZNS1_14transform_implILb1ES3_S5_PsS7_NS0_8identityIsEEEE10hipError_tT2_T3_mT4_P12ihipStream_tbEUlT_E_NS1_11comp_targetILNS1_3genE10ELNS1_11target_archE1201ELNS1_3gpuE5ELNS1_3repE0EEENS1_30default_config_static_selectorELNS0_4arch9wavefront6targetE0EEEvT1_,comdat
	.protected	_ZN7rocprim17ROCPRIM_400000_NS6detail17trampoline_kernelINS0_14default_configENS1_25transform_config_selectorIsLb1EEEZNS1_14transform_implILb1ES3_S5_PsS7_NS0_8identityIsEEEE10hipError_tT2_T3_mT4_P12ihipStream_tbEUlT_E_NS1_11comp_targetILNS1_3genE10ELNS1_11target_archE1201ELNS1_3gpuE5ELNS1_3repE0EEENS1_30default_config_static_selectorELNS0_4arch9wavefront6targetE0EEEvT1_ ; -- Begin function _ZN7rocprim17ROCPRIM_400000_NS6detail17trampoline_kernelINS0_14default_configENS1_25transform_config_selectorIsLb1EEEZNS1_14transform_implILb1ES3_S5_PsS7_NS0_8identityIsEEEE10hipError_tT2_T3_mT4_P12ihipStream_tbEUlT_E_NS1_11comp_targetILNS1_3genE10ELNS1_11target_archE1201ELNS1_3gpuE5ELNS1_3repE0EEENS1_30default_config_static_selectorELNS0_4arch9wavefront6targetE0EEEvT1_
	.globl	_ZN7rocprim17ROCPRIM_400000_NS6detail17trampoline_kernelINS0_14default_configENS1_25transform_config_selectorIsLb1EEEZNS1_14transform_implILb1ES3_S5_PsS7_NS0_8identityIsEEEE10hipError_tT2_T3_mT4_P12ihipStream_tbEUlT_E_NS1_11comp_targetILNS1_3genE10ELNS1_11target_archE1201ELNS1_3gpuE5ELNS1_3repE0EEENS1_30default_config_static_selectorELNS0_4arch9wavefront6targetE0EEEvT1_
	.p2align	8
	.type	_ZN7rocprim17ROCPRIM_400000_NS6detail17trampoline_kernelINS0_14default_configENS1_25transform_config_selectorIsLb1EEEZNS1_14transform_implILb1ES3_S5_PsS7_NS0_8identityIsEEEE10hipError_tT2_T3_mT4_P12ihipStream_tbEUlT_E_NS1_11comp_targetILNS1_3genE10ELNS1_11target_archE1201ELNS1_3gpuE5ELNS1_3repE0EEENS1_30default_config_static_selectorELNS0_4arch9wavefront6targetE0EEEvT1_,@function
_ZN7rocprim17ROCPRIM_400000_NS6detail17trampoline_kernelINS0_14default_configENS1_25transform_config_selectorIsLb1EEEZNS1_14transform_implILb1ES3_S5_PsS7_NS0_8identityIsEEEE10hipError_tT2_T3_mT4_P12ihipStream_tbEUlT_E_NS1_11comp_targetILNS1_3genE10ELNS1_11target_archE1201ELNS1_3gpuE5ELNS1_3repE0EEENS1_30default_config_static_selectorELNS0_4arch9wavefront6targetE0EEEvT1_: ; @_ZN7rocprim17ROCPRIM_400000_NS6detail17trampoline_kernelINS0_14default_configENS1_25transform_config_selectorIsLb1EEEZNS1_14transform_implILb1ES3_S5_PsS7_NS0_8identityIsEEEE10hipError_tT2_T3_mT4_P12ihipStream_tbEUlT_E_NS1_11comp_targetILNS1_3genE10ELNS1_11target_archE1201ELNS1_3gpuE5ELNS1_3repE0EEENS1_30default_config_static_selectorELNS0_4arch9wavefront6targetE0EEEvT1_
; %bb.0:
	.section	.rodata,"a",@progbits
	.p2align	6, 0x0
	.amdhsa_kernel _ZN7rocprim17ROCPRIM_400000_NS6detail17trampoline_kernelINS0_14default_configENS1_25transform_config_selectorIsLb1EEEZNS1_14transform_implILb1ES3_S5_PsS7_NS0_8identityIsEEEE10hipError_tT2_T3_mT4_P12ihipStream_tbEUlT_E_NS1_11comp_targetILNS1_3genE10ELNS1_11target_archE1201ELNS1_3gpuE5ELNS1_3repE0EEENS1_30default_config_static_selectorELNS0_4arch9wavefront6targetE0EEEvT1_
		.amdhsa_group_segment_fixed_size 0
		.amdhsa_private_segment_fixed_size 0
		.amdhsa_kernarg_size 40
		.amdhsa_user_sgpr_count 2
		.amdhsa_user_sgpr_dispatch_ptr 0
		.amdhsa_user_sgpr_queue_ptr 0
		.amdhsa_user_sgpr_kernarg_segment_ptr 1
		.amdhsa_user_sgpr_dispatch_id 0
		.amdhsa_user_sgpr_kernarg_preload_length 0
		.amdhsa_user_sgpr_kernarg_preload_offset 0
		.amdhsa_user_sgpr_private_segment_size 0
		.amdhsa_wavefront_size32 1
		.amdhsa_uses_dynamic_stack 0
		.amdhsa_enable_private_segment 0
		.amdhsa_system_sgpr_workgroup_id_x 1
		.amdhsa_system_sgpr_workgroup_id_y 0
		.amdhsa_system_sgpr_workgroup_id_z 0
		.amdhsa_system_sgpr_workgroup_info 0
		.amdhsa_system_vgpr_workitem_id 0
		.amdhsa_next_free_vgpr 1
		.amdhsa_next_free_sgpr 1
		.amdhsa_named_barrier_count 0
		.amdhsa_reserve_vcc 0
		.amdhsa_float_round_mode_32 0
		.amdhsa_float_round_mode_16_64 0
		.amdhsa_float_denorm_mode_32 3
		.amdhsa_float_denorm_mode_16_64 3
		.amdhsa_fp16_overflow 0
		.amdhsa_memory_ordered 1
		.amdhsa_forward_progress 1
		.amdhsa_inst_pref_size 0
		.amdhsa_round_robin_scheduling 0
		.amdhsa_exception_fp_ieee_invalid_op 0
		.amdhsa_exception_fp_denorm_src 0
		.amdhsa_exception_fp_ieee_div_zero 0
		.amdhsa_exception_fp_ieee_overflow 0
		.amdhsa_exception_fp_ieee_underflow 0
		.amdhsa_exception_fp_ieee_inexact 0
		.amdhsa_exception_int_div_zero 0
	.end_amdhsa_kernel
	.section	.text._ZN7rocprim17ROCPRIM_400000_NS6detail17trampoline_kernelINS0_14default_configENS1_25transform_config_selectorIsLb1EEEZNS1_14transform_implILb1ES3_S5_PsS7_NS0_8identityIsEEEE10hipError_tT2_T3_mT4_P12ihipStream_tbEUlT_E_NS1_11comp_targetILNS1_3genE10ELNS1_11target_archE1201ELNS1_3gpuE5ELNS1_3repE0EEENS1_30default_config_static_selectorELNS0_4arch9wavefront6targetE0EEEvT1_,"axG",@progbits,_ZN7rocprim17ROCPRIM_400000_NS6detail17trampoline_kernelINS0_14default_configENS1_25transform_config_selectorIsLb1EEEZNS1_14transform_implILb1ES3_S5_PsS7_NS0_8identityIsEEEE10hipError_tT2_T3_mT4_P12ihipStream_tbEUlT_E_NS1_11comp_targetILNS1_3genE10ELNS1_11target_archE1201ELNS1_3gpuE5ELNS1_3repE0EEENS1_30default_config_static_selectorELNS0_4arch9wavefront6targetE0EEEvT1_,comdat
.Lfunc_end545:
	.size	_ZN7rocprim17ROCPRIM_400000_NS6detail17trampoline_kernelINS0_14default_configENS1_25transform_config_selectorIsLb1EEEZNS1_14transform_implILb1ES3_S5_PsS7_NS0_8identityIsEEEE10hipError_tT2_T3_mT4_P12ihipStream_tbEUlT_E_NS1_11comp_targetILNS1_3genE10ELNS1_11target_archE1201ELNS1_3gpuE5ELNS1_3repE0EEENS1_30default_config_static_selectorELNS0_4arch9wavefront6targetE0EEEvT1_, .Lfunc_end545-_ZN7rocprim17ROCPRIM_400000_NS6detail17trampoline_kernelINS0_14default_configENS1_25transform_config_selectorIsLb1EEEZNS1_14transform_implILb1ES3_S5_PsS7_NS0_8identityIsEEEE10hipError_tT2_T3_mT4_P12ihipStream_tbEUlT_E_NS1_11comp_targetILNS1_3genE10ELNS1_11target_archE1201ELNS1_3gpuE5ELNS1_3repE0EEENS1_30default_config_static_selectorELNS0_4arch9wavefront6targetE0EEEvT1_
                                        ; -- End function
	.set _ZN7rocprim17ROCPRIM_400000_NS6detail17trampoline_kernelINS0_14default_configENS1_25transform_config_selectorIsLb1EEEZNS1_14transform_implILb1ES3_S5_PsS7_NS0_8identityIsEEEE10hipError_tT2_T3_mT4_P12ihipStream_tbEUlT_E_NS1_11comp_targetILNS1_3genE10ELNS1_11target_archE1201ELNS1_3gpuE5ELNS1_3repE0EEENS1_30default_config_static_selectorELNS0_4arch9wavefront6targetE0EEEvT1_.num_vgpr, 0
	.set _ZN7rocprim17ROCPRIM_400000_NS6detail17trampoline_kernelINS0_14default_configENS1_25transform_config_selectorIsLb1EEEZNS1_14transform_implILb1ES3_S5_PsS7_NS0_8identityIsEEEE10hipError_tT2_T3_mT4_P12ihipStream_tbEUlT_E_NS1_11comp_targetILNS1_3genE10ELNS1_11target_archE1201ELNS1_3gpuE5ELNS1_3repE0EEENS1_30default_config_static_selectorELNS0_4arch9wavefront6targetE0EEEvT1_.num_agpr, 0
	.set _ZN7rocprim17ROCPRIM_400000_NS6detail17trampoline_kernelINS0_14default_configENS1_25transform_config_selectorIsLb1EEEZNS1_14transform_implILb1ES3_S5_PsS7_NS0_8identityIsEEEE10hipError_tT2_T3_mT4_P12ihipStream_tbEUlT_E_NS1_11comp_targetILNS1_3genE10ELNS1_11target_archE1201ELNS1_3gpuE5ELNS1_3repE0EEENS1_30default_config_static_selectorELNS0_4arch9wavefront6targetE0EEEvT1_.numbered_sgpr, 0
	.set _ZN7rocprim17ROCPRIM_400000_NS6detail17trampoline_kernelINS0_14default_configENS1_25transform_config_selectorIsLb1EEEZNS1_14transform_implILb1ES3_S5_PsS7_NS0_8identityIsEEEE10hipError_tT2_T3_mT4_P12ihipStream_tbEUlT_E_NS1_11comp_targetILNS1_3genE10ELNS1_11target_archE1201ELNS1_3gpuE5ELNS1_3repE0EEENS1_30default_config_static_selectorELNS0_4arch9wavefront6targetE0EEEvT1_.num_named_barrier, 0
	.set _ZN7rocprim17ROCPRIM_400000_NS6detail17trampoline_kernelINS0_14default_configENS1_25transform_config_selectorIsLb1EEEZNS1_14transform_implILb1ES3_S5_PsS7_NS0_8identityIsEEEE10hipError_tT2_T3_mT4_P12ihipStream_tbEUlT_E_NS1_11comp_targetILNS1_3genE10ELNS1_11target_archE1201ELNS1_3gpuE5ELNS1_3repE0EEENS1_30default_config_static_selectorELNS0_4arch9wavefront6targetE0EEEvT1_.private_seg_size, 0
	.set _ZN7rocprim17ROCPRIM_400000_NS6detail17trampoline_kernelINS0_14default_configENS1_25transform_config_selectorIsLb1EEEZNS1_14transform_implILb1ES3_S5_PsS7_NS0_8identityIsEEEE10hipError_tT2_T3_mT4_P12ihipStream_tbEUlT_E_NS1_11comp_targetILNS1_3genE10ELNS1_11target_archE1201ELNS1_3gpuE5ELNS1_3repE0EEENS1_30default_config_static_selectorELNS0_4arch9wavefront6targetE0EEEvT1_.uses_vcc, 0
	.set _ZN7rocprim17ROCPRIM_400000_NS6detail17trampoline_kernelINS0_14default_configENS1_25transform_config_selectorIsLb1EEEZNS1_14transform_implILb1ES3_S5_PsS7_NS0_8identityIsEEEE10hipError_tT2_T3_mT4_P12ihipStream_tbEUlT_E_NS1_11comp_targetILNS1_3genE10ELNS1_11target_archE1201ELNS1_3gpuE5ELNS1_3repE0EEENS1_30default_config_static_selectorELNS0_4arch9wavefront6targetE0EEEvT1_.uses_flat_scratch, 0
	.set _ZN7rocprim17ROCPRIM_400000_NS6detail17trampoline_kernelINS0_14default_configENS1_25transform_config_selectorIsLb1EEEZNS1_14transform_implILb1ES3_S5_PsS7_NS0_8identityIsEEEE10hipError_tT2_T3_mT4_P12ihipStream_tbEUlT_E_NS1_11comp_targetILNS1_3genE10ELNS1_11target_archE1201ELNS1_3gpuE5ELNS1_3repE0EEENS1_30default_config_static_selectorELNS0_4arch9wavefront6targetE0EEEvT1_.has_dyn_sized_stack, 0
	.set _ZN7rocprim17ROCPRIM_400000_NS6detail17trampoline_kernelINS0_14default_configENS1_25transform_config_selectorIsLb1EEEZNS1_14transform_implILb1ES3_S5_PsS7_NS0_8identityIsEEEE10hipError_tT2_T3_mT4_P12ihipStream_tbEUlT_E_NS1_11comp_targetILNS1_3genE10ELNS1_11target_archE1201ELNS1_3gpuE5ELNS1_3repE0EEENS1_30default_config_static_selectorELNS0_4arch9wavefront6targetE0EEEvT1_.has_recursion, 0
	.set _ZN7rocprim17ROCPRIM_400000_NS6detail17trampoline_kernelINS0_14default_configENS1_25transform_config_selectorIsLb1EEEZNS1_14transform_implILb1ES3_S5_PsS7_NS0_8identityIsEEEE10hipError_tT2_T3_mT4_P12ihipStream_tbEUlT_E_NS1_11comp_targetILNS1_3genE10ELNS1_11target_archE1201ELNS1_3gpuE5ELNS1_3repE0EEENS1_30default_config_static_selectorELNS0_4arch9wavefront6targetE0EEEvT1_.has_indirect_call, 0
	.section	.AMDGPU.csdata,"",@progbits
; Kernel info:
; codeLenInByte = 0
; TotalNumSgprs: 0
; NumVgprs: 0
; ScratchSize: 0
; MemoryBound: 0
; FloatMode: 240
; IeeeMode: 1
; LDSByteSize: 0 bytes/workgroup (compile time only)
; SGPRBlocks: 0
; VGPRBlocks: 0
; NumSGPRsForWavesPerEU: 1
; NumVGPRsForWavesPerEU: 1
; NamedBarCnt: 0
; Occupancy: 16
; WaveLimiterHint : 0
; COMPUTE_PGM_RSRC2:SCRATCH_EN: 0
; COMPUTE_PGM_RSRC2:USER_SGPR: 2
; COMPUTE_PGM_RSRC2:TRAP_HANDLER: 0
; COMPUTE_PGM_RSRC2:TGID_X_EN: 1
; COMPUTE_PGM_RSRC2:TGID_Y_EN: 0
; COMPUTE_PGM_RSRC2:TGID_Z_EN: 0
; COMPUTE_PGM_RSRC2:TIDIG_COMP_CNT: 0
	.section	.text._ZN7rocprim17ROCPRIM_400000_NS6detail17trampoline_kernelINS0_14default_configENS1_25transform_config_selectorIsLb1EEEZNS1_14transform_implILb1ES3_S5_PsS7_NS0_8identityIsEEEE10hipError_tT2_T3_mT4_P12ihipStream_tbEUlT_E_NS1_11comp_targetILNS1_3genE5ELNS1_11target_archE942ELNS1_3gpuE9ELNS1_3repE0EEENS1_30default_config_static_selectorELNS0_4arch9wavefront6targetE0EEEvT1_,"axG",@progbits,_ZN7rocprim17ROCPRIM_400000_NS6detail17trampoline_kernelINS0_14default_configENS1_25transform_config_selectorIsLb1EEEZNS1_14transform_implILb1ES3_S5_PsS7_NS0_8identityIsEEEE10hipError_tT2_T3_mT4_P12ihipStream_tbEUlT_E_NS1_11comp_targetILNS1_3genE5ELNS1_11target_archE942ELNS1_3gpuE9ELNS1_3repE0EEENS1_30default_config_static_selectorELNS0_4arch9wavefront6targetE0EEEvT1_,comdat
	.protected	_ZN7rocprim17ROCPRIM_400000_NS6detail17trampoline_kernelINS0_14default_configENS1_25transform_config_selectorIsLb1EEEZNS1_14transform_implILb1ES3_S5_PsS7_NS0_8identityIsEEEE10hipError_tT2_T3_mT4_P12ihipStream_tbEUlT_E_NS1_11comp_targetILNS1_3genE5ELNS1_11target_archE942ELNS1_3gpuE9ELNS1_3repE0EEENS1_30default_config_static_selectorELNS0_4arch9wavefront6targetE0EEEvT1_ ; -- Begin function _ZN7rocprim17ROCPRIM_400000_NS6detail17trampoline_kernelINS0_14default_configENS1_25transform_config_selectorIsLb1EEEZNS1_14transform_implILb1ES3_S5_PsS7_NS0_8identityIsEEEE10hipError_tT2_T3_mT4_P12ihipStream_tbEUlT_E_NS1_11comp_targetILNS1_3genE5ELNS1_11target_archE942ELNS1_3gpuE9ELNS1_3repE0EEENS1_30default_config_static_selectorELNS0_4arch9wavefront6targetE0EEEvT1_
	.globl	_ZN7rocprim17ROCPRIM_400000_NS6detail17trampoline_kernelINS0_14default_configENS1_25transform_config_selectorIsLb1EEEZNS1_14transform_implILb1ES3_S5_PsS7_NS0_8identityIsEEEE10hipError_tT2_T3_mT4_P12ihipStream_tbEUlT_E_NS1_11comp_targetILNS1_3genE5ELNS1_11target_archE942ELNS1_3gpuE9ELNS1_3repE0EEENS1_30default_config_static_selectorELNS0_4arch9wavefront6targetE0EEEvT1_
	.p2align	8
	.type	_ZN7rocprim17ROCPRIM_400000_NS6detail17trampoline_kernelINS0_14default_configENS1_25transform_config_selectorIsLb1EEEZNS1_14transform_implILb1ES3_S5_PsS7_NS0_8identityIsEEEE10hipError_tT2_T3_mT4_P12ihipStream_tbEUlT_E_NS1_11comp_targetILNS1_3genE5ELNS1_11target_archE942ELNS1_3gpuE9ELNS1_3repE0EEENS1_30default_config_static_selectorELNS0_4arch9wavefront6targetE0EEEvT1_,@function
_ZN7rocprim17ROCPRIM_400000_NS6detail17trampoline_kernelINS0_14default_configENS1_25transform_config_selectorIsLb1EEEZNS1_14transform_implILb1ES3_S5_PsS7_NS0_8identityIsEEEE10hipError_tT2_T3_mT4_P12ihipStream_tbEUlT_E_NS1_11comp_targetILNS1_3genE5ELNS1_11target_archE942ELNS1_3gpuE9ELNS1_3repE0EEENS1_30default_config_static_selectorELNS0_4arch9wavefront6targetE0EEEvT1_: ; @_ZN7rocprim17ROCPRIM_400000_NS6detail17trampoline_kernelINS0_14default_configENS1_25transform_config_selectorIsLb1EEEZNS1_14transform_implILb1ES3_S5_PsS7_NS0_8identityIsEEEE10hipError_tT2_T3_mT4_P12ihipStream_tbEUlT_E_NS1_11comp_targetILNS1_3genE5ELNS1_11target_archE942ELNS1_3gpuE9ELNS1_3repE0EEENS1_30default_config_static_selectorELNS0_4arch9wavefront6targetE0EEEvT1_
; %bb.0:
	.section	.rodata,"a",@progbits
	.p2align	6, 0x0
	.amdhsa_kernel _ZN7rocprim17ROCPRIM_400000_NS6detail17trampoline_kernelINS0_14default_configENS1_25transform_config_selectorIsLb1EEEZNS1_14transform_implILb1ES3_S5_PsS7_NS0_8identityIsEEEE10hipError_tT2_T3_mT4_P12ihipStream_tbEUlT_E_NS1_11comp_targetILNS1_3genE5ELNS1_11target_archE942ELNS1_3gpuE9ELNS1_3repE0EEENS1_30default_config_static_selectorELNS0_4arch9wavefront6targetE0EEEvT1_
		.amdhsa_group_segment_fixed_size 0
		.amdhsa_private_segment_fixed_size 0
		.amdhsa_kernarg_size 40
		.amdhsa_user_sgpr_count 2
		.amdhsa_user_sgpr_dispatch_ptr 0
		.amdhsa_user_sgpr_queue_ptr 0
		.amdhsa_user_sgpr_kernarg_segment_ptr 1
		.amdhsa_user_sgpr_dispatch_id 0
		.amdhsa_user_sgpr_kernarg_preload_length 0
		.amdhsa_user_sgpr_kernarg_preload_offset 0
		.amdhsa_user_sgpr_private_segment_size 0
		.amdhsa_wavefront_size32 1
		.amdhsa_uses_dynamic_stack 0
		.amdhsa_enable_private_segment 0
		.amdhsa_system_sgpr_workgroup_id_x 1
		.amdhsa_system_sgpr_workgroup_id_y 0
		.amdhsa_system_sgpr_workgroup_id_z 0
		.amdhsa_system_sgpr_workgroup_info 0
		.amdhsa_system_vgpr_workitem_id 0
		.amdhsa_next_free_vgpr 1
		.amdhsa_next_free_sgpr 1
		.amdhsa_named_barrier_count 0
		.amdhsa_reserve_vcc 0
		.amdhsa_float_round_mode_32 0
		.amdhsa_float_round_mode_16_64 0
		.amdhsa_float_denorm_mode_32 3
		.amdhsa_float_denorm_mode_16_64 3
		.amdhsa_fp16_overflow 0
		.amdhsa_memory_ordered 1
		.amdhsa_forward_progress 1
		.amdhsa_inst_pref_size 0
		.amdhsa_round_robin_scheduling 0
		.amdhsa_exception_fp_ieee_invalid_op 0
		.amdhsa_exception_fp_denorm_src 0
		.amdhsa_exception_fp_ieee_div_zero 0
		.amdhsa_exception_fp_ieee_overflow 0
		.amdhsa_exception_fp_ieee_underflow 0
		.amdhsa_exception_fp_ieee_inexact 0
		.amdhsa_exception_int_div_zero 0
	.end_amdhsa_kernel
	.section	.text._ZN7rocprim17ROCPRIM_400000_NS6detail17trampoline_kernelINS0_14default_configENS1_25transform_config_selectorIsLb1EEEZNS1_14transform_implILb1ES3_S5_PsS7_NS0_8identityIsEEEE10hipError_tT2_T3_mT4_P12ihipStream_tbEUlT_E_NS1_11comp_targetILNS1_3genE5ELNS1_11target_archE942ELNS1_3gpuE9ELNS1_3repE0EEENS1_30default_config_static_selectorELNS0_4arch9wavefront6targetE0EEEvT1_,"axG",@progbits,_ZN7rocprim17ROCPRIM_400000_NS6detail17trampoline_kernelINS0_14default_configENS1_25transform_config_selectorIsLb1EEEZNS1_14transform_implILb1ES3_S5_PsS7_NS0_8identityIsEEEE10hipError_tT2_T3_mT4_P12ihipStream_tbEUlT_E_NS1_11comp_targetILNS1_3genE5ELNS1_11target_archE942ELNS1_3gpuE9ELNS1_3repE0EEENS1_30default_config_static_selectorELNS0_4arch9wavefront6targetE0EEEvT1_,comdat
.Lfunc_end546:
	.size	_ZN7rocprim17ROCPRIM_400000_NS6detail17trampoline_kernelINS0_14default_configENS1_25transform_config_selectorIsLb1EEEZNS1_14transform_implILb1ES3_S5_PsS7_NS0_8identityIsEEEE10hipError_tT2_T3_mT4_P12ihipStream_tbEUlT_E_NS1_11comp_targetILNS1_3genE5ELNS1_11target_archE942ELNS1_3gpuE9ELNS1_3repE0EEENS1_30default_config_static_selectorELNS0_4arch9wavefront6targetE0EEEvT1_, .Lfunc_end546-_ZN7rocprim17ROCPRIM_400000_NS6detail17trampoline_kernelINS0_14default_configENS1_25transform_config_selectorIsLb1EEEZNS1_14transform_implILb1ES3_S5_PsS7_NS0_8identityIsEEEE10hipError_tT2_T3_mT4_P12ihipStream_tbEUlT_E_NS1_11comp_targetILNS1_3genE5ELNS1_11target_archE942ELNS1_3gpuE9ELNS1_3repE0EEENS1_30default_config_static_selectorELNS0_4arch9wavefront6targetE0EEEvT1_
                                        ; -- End function
	.set _ZN7rocprim17ROCPRIM_400000_NS6detail17trampoline_kernelINS0_14default_configENS1_25transform_config_selectorIsLb1EEEZNS1_14transform_implILb1ES3_S5_PsS7_NS0_8identityIsEEEE10hipError_tT2_T3_mT4_P12ihipStream_tbEUlT_E_NS1_11comp_targetILNS1_3genE5ELNS1_11target_archE942ELNS1_3gpuE9ELNS1_3repE0EEENS1_30default_config_static_selectorELNS0_4arch9wavefront6targetE0EEEvT1_.num_vgpr, 0
	.set _ZN7rocprim17ROCPRIM_400000_NS6detail17trampoline_kernelINS0_14default_configENS1_25transform_config_selectorIsLb1EEEZNS1_14transform_implILb1ES3_S5_PsS7_NS0_8identityIsEEEE10hipError_tT2_T3_mT4_P12ihipStream_tbEUlT_E_NS1_11comp_targetILNS1_3genE5ELNS1_11target_archE942ELNS1_3gpuE9ELNS1_3repE0EEENS1_30default_config_static_selectorELNS0_4arch9wavefront6targetE0EEEvT1_.num_agpr, 0
	.set _ZN7rocprim17ROCPRIM_400000_NS6detail17trampoline_kernelINS0_14default_configENS1_25transform_config_selectorIsLb1EEEZNS1_14transform_implILb1ES3_S5_PsS7_NS0_8identityIsEEEE10hipError_tT2_T3_mT4_P12ihipStream_tbEUlT_E_NS1_11comp_targetILNS1_3genE5ELNS1_11target_archE942ELNS1_3gpuE9ELNS1_3repE0EEENS1_30default_config_static_selectorELNS0_4arch9wavefront6targetE0EEEvT1_.numbered_sgpr, 0
	.set _ZN7rocprim17ROCPRIM_400000_NS6detail17trampoline_kernelINS0_14default_configENS1_25transform_config_selectorIsLb1EEEZNS1_14transform_implILb1ES3_S5_PsS7_NS0_8identityIsEEEE10hipError_tT2_T3_mT4_P12ihipStream_tbEUlT_E_NS1_11comp_targetILNS1_3genE5ELNS1_11target_archE942ELNS1_3gpuE9ELNS1_3repE0EEENS1_30default_config_static_selectorELNS0_4arch9wavefront6targetE0EEEvT1_.num_named_barrier, 0
	.set _ZN7rocprim17ROCPRIM_400000_NS6detail17trampoline_kernelINS0_14default_configENS1_25transform_config_selectorIsLb1EEEZNS1_14transform_implILb1ES3_S5_PsS7_NS0_8identityIsEEEE10hipError_tT2_T3_mT4_P12ihipStream_tbEUlT_E_NS1_11comp_targetILNS1_3genE5ELNS1_11target_archE942ELNS1_3gpuE9ELNS1_3repE0EEENS1_30default_config_static_selectorELNS0_4arch9wavefront6targetE0EEEvT1_.private_seg_size, 0
	.set _ZN7rocprim17ROCPRIM_400000_NS6detail17trampoline_kernelINS0_14default_configENS1_25transform_config_selectorIsLb1EEEZNS1_14transform_implILb1ES3_S5_PsS7_NS0_8identityIsEEEE10hipError_tT2_T3_mT4_P12ihipStream_tbEUlT_E_NS1_11comp_targetILNS1_3genE5ELNS1_11target_archE942ELNS1_3gpuE9ELNS1_3repE0EEENS1_30default_config_static_selectorELNS0_4arch9wavefront6targetE0EEEvT1_.uses_vcc, 0
	.set _ZN7rocprim17ROCPRIM_400000_NS6detail17trampoline_kernelINS0_14default_configENS1_25transform_config_selectorIsLb1EEEZNS1_14transform_implILb1ES3_S5_PsS7_NS0_8identityIsEEEE10hipError_tT2_T3_mT4_P12ihipStream_tbEUlT_E_NS1_11comp_targetILNS1_3genE5ELNS1_11target_archE942ELNS1_3gpuE9ELNS1_3repE0EEENS1_30default_config_static_selectorELNS0_4arch9wavefront6targetE0EEEvT1_.uses_flat_scratch, 0
	.set _ZN7rocprim17ROCPRIM_400000_NS6detail17trampoline_kernelINS0_14default_configENS1_25transform_config_selectorIsLb1EEEZNS1_14transform_implILb1ES3_S5_PsS7_NS0_8identityIsEEEE10hipError_tT2_T3_mT4_P12ihipStream_tbEUlT_E_NS1_11comp_targetILNS1_3genE5ELNS1_11target_archE942ELNS1_3gpuE9ELNS1_3repE0EEENS1_30default_config_static_selectorELNS0_4arch9wavefront6targetE0EEEvT1_.has_dyn_sized_stack, 0
	.set _ZN7rocprim17ROCPRIM_400000_NS6detail17trampoline_kernelINS0_14default_configENS1_25transform_config_selectorIsLb1EEEZNS1_14transform_implILb1ES3_S5_PsS7_NS0_8identityIsEEEE10hipError_tT2_T3_mT4_P12ihipStream_tbEUlT_E_NS1_11comp_targetILNS1_3genE5ELNS1_11target_archE942ELNS1_3gpuE9ELNS1_3repE0EEENS1_30default_config_static_selectorELNS0_4arch9wavefront6targetE0EEEvT1_.has_recursion, 0
	.set _ZN7rocprim17ROCPRIM_400000_NS6detail17trampoline_kernelINS0_14default_configENS1_25transform_config_selectorIsLb1EEEZNS1_14transform_implILb1ES3_S5_PsS7_NS0_8identityIsEEEE10hipError_tT2_T3_mT4_P12ihipStream_tbEUlT_E_NS1_11comp_targetILNS1_3genE5ELNS1_11target_archE942ELNS1_3gpuE9ELNS1_3repE0EEENS1_30default_config_static_selectorELNS0_4arch9wavefront6targetE0EEEvT1_.has_indirect_call, 0
	.section	.AMDGPU.csdata,"",@progbits
; Kernel info:
; codeLenInByte = 0
; TotalNumSgprs: 0
; NumVgprs: 0
; ScratchSize: 0
; MemoryBound: 0
; FloatMode: 240
; IeeeMode: 1
; LDSByteSize: 0 bytes/workgroup (compile time only)
; SGPRBlocks: 0
; VGPRBlocks: 0
; NumSGPRsForWavesPerEU: 1
; NumVGPRsForWavesPerEU: 1
; NamedBarCnt: 0
; Occupancy: 16
; WaveLimiterHint : 0
; COMPUTE_PGM_RSRC2:SCRATCH_EN: 0
; COMPUTE_PGM_RSRC2:USER_SGPR: 2
; COMPUTE_PGM_RSRC2:TRAP_HANDLER: 0
; COMPUTE_PGM_RSRC2:TGID_X_EN: 1
; COMPUTE_PGM_RSRC2:TGID_Y_EN: 0
; COMPUTE_PGM_RSRC2:TGID_Z_EN: 0
; COMPUTE_PGM_RSRC2:TIDIG_COMP_CNT: 0
	.section	.text._ZN7rocprim17ROCPRIM_400000_NS6detail17trampoline_kernelINS0_14default_configENS1_25transform_config_selectorIsLb1EEEZNS1_14transform_implILb1ES3_S5_PsS7_NS0_8identityIsEEEE10hipError_tT2_T3_mT4_P12ihipStream_tbEUlT_E_NS1_11comp_targetILNS1_3genE4ELNS1_11target_archE910ELNS1_3gpuE8ELNS1_3repE0EEENS1_30default_config_static_selectorELNS0_4arch9wavefront6targetE0EEEvT1_,"axG",@progbits,_ZN7rocprim17ROCPRIM_400000_NS6detail17trampoline_kernelINS0_14default_configENS1_25transform_config_selectorIsLb1EEEZNS1_14transform_implILb1ES3_S5_PsS7_NS0_8identityIsEEEE10hipError_tT2_T3_mT4_P12ihipStream_tbEUlT_E_NS1_11comp_targetILNS1_3genE4ELNS1_11target_archE910ELNS1_3gpuE8ELNS1_3repE0EEENS1_30default_config_static_selectorELNS0_4arch9wavefront6targetE0EEEvT1_,comdat
	.protected	_ZN7rocprim17ROCPRIM_400000_NS6detail17trampoline_kernelINS0_14default_configENS1_25transform_config_selectorIsLb1EEEZNS1_14transform_implILb1ES3_S5_PsS7_NS0_8identityIsEEEE10hipError_tT2_T3_mT4_P12ihipStream_tbEUlT_E_NS1_11comp_targetILNS1_3genE4ELNS1_11target_archE910ELNS1_3gpuE8ELNS1_3repE0EEENS1_30default_config_static_selectorELNS0_4arch9wavefront6targetE0EEEvT1_ ; -- Begin function _ZN7rocprim17ROCPRIM_400000_NS6detail17trampoline_kernelINS0_14default_configENS1_25transform_config_selectorIsLb1EEEZNS1_14transform_implILb1ES3_S5_PsS7_NS0_8identityIsEEEE10hipError_tT2_T3_mT4_P12ihipStream_tbEUlT_E_NS1_11comp_targetILNS1_3genE4ELNS1_11target_archE910ELNS1_3gpuE8ELNS1_3repE0EEENS1_30default_config_static_selectorELNS0_4arch9wavefront6targetE0EEEvT1_
	.globl	_ZN7rocprim17ROCPRIM_400000_NS6detail17trampoline_kernelINS0_14default_configENS1_25transform_config_selectorIsLb1EEEZNS1_14transform_implILb1ES3_S5_PsS7_NS0_8identityIsEEEE10hipError_tT2_T3_mT4_P12ihipStream_tbEUlT_E_NS1_11comp_targetILNS1_3genE4ELNS1_11target_archE910ELNS1_3gpuE8ELNS1_3repE0EEENS1_30default_config_static_selectorELNS0_4arch9wavefront6targetE0EEEvT1_
	.p2align	8
	.type	_ZN7rocprim17ROCPRIM_400000_NS6detail17trampoline_kernelINS0_14default_configENS1_25transform_config_selectorIsLb1EEEZNS1_14transform_implILb1ES3_S5_PsS7_NS0_8identityIsEEEE10hipError_tT2_T3_mT4_P12ihipStream_tbEUlT_E_NS1_11comp_targetILNS1_3genE4ELNS1_11target_archE910ELNS1_3gpuE8ELNS1_3repE0EEENS1_30default_config_static_selectorELNS0_4arch9wavefront6targetE0EEEvT1_,@function
_ZN7rocprim17ROCPRIM_400000_NS6detail17trampoline_kernelINS0_14default_configENS1_25transform_config_selectorIsLb1EEEZNS1_14transform_implILb1ES3_S5_PsS7_NS0_8identityIsEEEE10hipError_tT2_T3_mT4_P12ihipStream_tbEUlT_E_NS1_11comp_targetILNS1_3genE4ELNS1_11target_archE910ELNS1_3gpuE8ELNS1_3repE0EEENS1_30default_config_static_selectorELNS0_4arch9wavefront6targetE0EEEvT1_: ; @_ZN7rocprim17ROCPRIM_400000_NS6detail17trampoline_kernelINS0_14default_configENS1_25transform_config_selectorIsLb1EEEZNS1_14transform_implILb1ES3_S5_PsS7_NS0_8identityIsEEEE10hipError_tT2_T3_mT4_P12ihipStream_tbEUlT_E_NS1_11comp_targetILNS1_3genE4ELNS1_11target_archE910ELNS1_3gpuE8ELNS1_3repE0EEENS1_30default_config_static_selectorELNS0_4arch9wavefront6targetE0EEEvT1_
; %bb.0:
	.section	.rodata,"a",@progbits
	.p2align	6, 0x0
	.amdhsa_kernel _ZN7rocprim17ROCPRIM_400000_NS6detail17trampoline_kernelINS0_14default_configENS1_25transform_config_selectorIsLb1EEEZNS1_14transform_implILb1ES3_S5_PsS7_NS0_8identityIsEEEE10hipError_tT2_T3_mT4_P12ihipStream_tbEUlT_E_NS1_11comp_targetILNS1_3genE4ELNS1_11target_archE910ELNS1_3gpuE8ELNS1_3repE0EEENS1_30default_config_static_selectorELNS0_4arch9wavefront6targetE0EEEvT1_
		.amdhsa_group_segment_fixed_size 0
		.amdhsa_private_segment_fixed_size 0
		.amdhsa_kernarg_size 40
		.amdhsa_user_sgpr_count 2
		.amdhsa_user_sgpr_dispatch_ptr 0
		.amdhsa_user_sgpr_queue_ptr 0
		.amdhsa_user_sgpr_kernarg_segment_ptr 1
		.amdhsa_user_sgpr_dispatch_id 0
		.amdhsa_user_sgpr_kernarg_preload_length 0
		.amdhsa_user_sgpr_kernarg_preload_offset 0
		.amdhsa_user_sgpr_private_segment_size 0
		.amdhsa_wavefront_size32 1
		.amdhsa_uses_dynamic_stack 0
		.amdhsa_enable_private_segment 0
		.amdhsa_system_sgpr_workgroup_id_x 1
		.amdhsa_system_sgpr_workgroup_id_y 0
		.amdhsa_system_sgpr_workgroup_id_z 0
		.amdhsa_system_sgpr_workgroup_info 0
		.amdhsa_system_vgpr_workitem_id 0
		.amdhsa_next_free_vgpr 1
		.amdhsa_next_free_sgpr 1
		.amdhsa_named_barrier_count 0
		.amdhsa_reserve_vcc 0
		.amdhsa_float_round_mode_32 0
		.amdhsa_float_round_mode_16_64 0
		.amdhsa_float_denorm_mode_32 3
		.amdhsa_float_denorm_mode_16_64 3
		.amdhsa_fp16_overflow 0
		.amdhsa_memory_ordered 1
		.amdhsa_forward_progress 1
		.amdhsa_inst_pref_size 0
		.amdhsa_round_robin_scheduling 0
		.amdhsa_exception_fp_ieee_invalid_op 0
		.amdhsa_exception_fp_denorm_src 0
		.amdhsa_exception_fp_ieee_div_zero 0
		.amdhsa_exception_fp_ieee_overflow 0
		.amdhsa_exception_fp_ieee_underflow 0
		.amdhsa_exception_fp_ieee_inexact 0
		.amdhsa_exception_int_div_zero 0
	.end_amdhsa_kernel
	.section	.text._ZN7rocprim17ROCPRIM_400000_NS6detail17trampoline_kernelINS0_14default_configENS1_25transform_config_selectorIsLb1EEEZNS1_14transform_implILb1ES3_S5_PsS7_NS0_8identityIsEEEE10hipError_tT2_T3_mT4_P12ihipStream_tbEUlT_E_NS1_11comp_targetILNS1_3genE4ELNS1_11target_archE910ELNS1_3gpuE8ELNS1_3repE0EEENS1_30default_config_static_selectorELNS0_4arch9wavefront6targetE0EEEvT1_,"axG",@progbits,_ZN7rocprim17ROCPRIM_400000_NS6detail17trampoline_kernelINS0_14default_configENS1_25transform_config_selectorIsLb1EEEZNS1_14transform_implILb1ES3_S5_PsS7_NS0_8identityIsEEEE10hipError_tT2_T3_mT4_P12ihipStream_tbEUlT_E_NS1_11comp_targetILNS1_3genE4ELNS1_11target_archE910ELNS1_3gpuE8ELNS1_3repE0EEENS1_30default_config_static_selectorELNS0_4arch9wavefront6targetE0EEEvT1_,comdat
.Lfunc_end547:
	.size	_ZN7rocprim17ROCPRIM_400000_NS6detail17trampoline_kernelINS0_14default_configENS1_25transform_config_selectorIsLb1EEEZNS1_14transform_implILb1ES3_S5_PsS7_NS0_8identityIsEEEE10hipError_tT2_T3_mT4_P12ihipStream_tbEUlT_E_NS1_11comp_targetILNS1_3genE4ELNS1_11target_archE910ELNS1_3gpuE8ELNS1_3repE0EEENS1_30default_config_static_selectorELNS0_4arch9wavefront6targetE0EEEvT1_, .Lfunc_end547-_ZN7rocprim17ROCPRIM_400000_NS6detail17trampoline_kernelINS0_14default_configENS1_25transform_config_selectorIsLb1EEEZNS1_14transform_implILb1ES3_S5_PsS7_NS0_8identityIsEEEE10hipError_tT2_T3_mT4_P12ihipStream_tbEUlT_E_NS1_11comp_targetILNS1_3genE4ELNS1_11target_archE910ELNS1_3gpuE8ELNS1_3repE0EEENS1_30default_config_static_selectorELNS0_4arch9wavefront6targetE0EEEvT1_
                                        ; -- End function
	.set _ZN7rocprim17ROCPRIM_400000_NS6detail17trampoline_kernelINS0_14default_configENS1_25transform_config_selectorIsLb1EEEZNS1_14transform_implILb1ES3_S5_PsS7_NS0_8identityIsEEEE10hipError_tT2_T3_mT4_P12ihipStream_tbEUlT_E_NS1_11comp_targetILNS1_3genE4ELNS1_11target_archE910ELNS1_3gpuE8ELNS1_3repE0EEENS1_30default_config_static_selectorELNS0_4arch9wavefront6targetE0EEEvT1_.num_vgpr, 0
	.set _ZN7rocprim17ROCPRIM_400000_NS6detail17trampoline_kernelINS0_14default_configENS1_25transform_config_selectorIsLb1EEEZNS1_14transform_implILb1ES3_S5_PsS7_NS0_8identityIsEEEE10hipError_tT2_T3_mT4_P12ihipStream_tbEUlT_E_NS1_11comp_targetILNS1_3genE4ELNS1_11target_archE910ELNS1_3gpuE8ELNS1_3repE0EEENS1_30default_config_static_selectorELNS0_4arch9wavefront6targetE0EEEvT1_.num_agpr, 0
	.set _ZN7rocprim17ROCPRIM_400000_NS6detail17trampoline_kernelINS0_14default_configENS1_25transform_config_selectorIsLb1EEEZNS1_14transform_implILb1ES3_S5_PsS7_NS0_8identityIsEEEE10hipError_tT2_T3_mT4_P12ihipStream_tbEUlT_E_NS1_11comp_targetILNS1_3genE4ELNS1_11target_archE910ELNS1_3gpuE8ELNS1_3repE0EEENS1_30default_config_static_selectorELNS0_4arch9wavefront6targetE0EEEvT1_.numbered_sgpr, 0
	.set _ZN7rocprim17ROCPRIM_400000_NS6detail17trampoline_kernelINS0_14default_configENS1_25transform_config_selectorIsLb1EEEZNS1_14transform_implILb1ES3_S5_PsS7_NS0_8identityIsEEEE10hipError_tT2_T3_mT4_P12ihipStream_tbEUlT_E_NS1_11comp_targetILNS1_3genE4ELNS1_11target_archE910ELNS1_3gpuE8ELNS1_3repE0EEENS1_30default_config_static_selectorELNS0_4arch9wavefront6targetE0EEEvT1_.num_named_barrier, 0
	.set _ZN7rocprim17ROCPRIM_400000_NS6detail17trampoline_kernelINS0_14default_configENS1_25transform_config_selectorIsLb1EEEZNS1_14transform_implILb1ES3_S5_PsS7_NS0_8identityIsEEEE10hipError_tT2_T3_mT4_P12ihipStream_tbEUlT_E_NS1_11comp_targetILNS1_3genE4ELNS1_11target_archE910ELNS1_3gpuE8ELNS1_3repE0EEENS1_30default_config_static_selectorELNS0_4arch9wavefront6targetE0EEEvT1_.private_seg_size, 0
	.set _ZN7rocprim17ROCPRIM_400000_NS6detail17trampoline_kernelINS0_14default_configENS1_25transform_config_selectorIsLb1EEEZNS1_14transform_implILb1ES3_S5_PsS7_NS0_8identityIsEEEE10hipError_tT2_T3_mT4_P12ihipStream_tbEUlT_E_NS1_11comp_targetILNS1_3genE4ELNS1_11target_archE910ELNS1_3gpuE8ELNS1_3repE0EEENS1_30default_config_static_selectorELNS0_4arch9wavefront6targetE0EEEvT1_.uses_vcc, 0
	.set _ZN7rocprim17ROCPRIM_400000_NS6detail17trampoline_kernelINS0_14default_configENS1_25transform_config_selectorIsLb1EEEZNS1_14transform_implILb1ES3_S5_PsS7_NS0_8identityIsEEEE10hipError_tT2_T3_mT4_P12ihipStream_tbEUlT_E_NS1_11comp_targetILNS1_3genE4ELNS1_11target_archE910ELNS1_3gpuE8ELNS1_3repE0EEENS1_30default_config_static_selectorELNS0_4arch9wavefront6targetE0EEEvT1_.uses_flat_scratch, 0
	.set _ZN7rocprim17ROCPRIM_400000_NS6detail17trampoline_kernelINS0_14default_configENS1_25transform_config_selectorIsLb1EEEZNS1_14transform_implILb1ES3_S5_PsS7_NS0_8identityIsEEEE10hipError_tT2_T3_mT4_P12ihipStream_tbEUlT_E_NS1_11comp_targetILNS1_3genE4ELNS1_11target_archE910ELNS1_3gpuE8ELNS1_3repE0EEENS1_30default_config_static_selectorELNS0_4arch9wavefront6targetE0EEEvT1_.has_dyn_sized_stack, 0
	.set _ZN7rocprim17ROCPRIM_400000_NS6detail17trampoline_kernelINS0_14default_configENS1_25transform_config_selectorIsLb1EEEZNS1_14transform_implILb1ES3_S5_PsS7_NS0_8identityIsEEEE10hipError_tT2_T3_mT4_P12ihipStream_tbEUlT_E_NS1_11comp_targetILNS1_3genE4ELNS1_11target_archE910ELNS1_3gpuE8ELNS1_3repE0EEENS1_30default_config_static_selectorELNS0_4arch9wavefront6targetE0EEEvT1_.has_recursion, 0
	.set _ZN7rocprim17ROCPRIM_400000_NS6detail17trampoline_kernelINS0_14default_configENS1_25transform_config_selectorIsLb1EEEZNS1_14transform_implILb1ES3_S5_PsS7_NS0_8identityIsEEEE10hipError_tT2_T3_mT4_P12ihipStream_tbEUlT_E_NS1_11comp_targetILNS1_3genE4ELNS1_11target_archE910ELNS1_3gpuE8ELNS1_3repE0EEENS1_30default_config_static_selectorELNS0_4arch9wavefront6targetE0EEEvT1_.has_indirect_call, 0
	.section	.AMDGPU.csdata,"",@progbits
; Kernel info:
; codeLenInByte = 0
; TotalNumSgprs: 0
; NumVgprs: 0
; ScratchSize: 0
; MemoryBound: 0
; FloatMode: 240
; IeeeMode: 1
; LDSByteSize: 0 bytes/workgroup (compile time only)
; SGPRBlocks: 0
; VGPRBlocks: 0
; NumSGPRsForWavesPerEU: 1
; NumVGPRsForWavesPerEU: 1
; NamedBarCnt: 0
; Occupancy: 16
; WaveLimiterHint : 0
; COMPUTE_PGM_RSRC2:SCRATCH_EN: 0
; COMPUTE_PGM_RSRC2:USER_SGPR: 2
; COMPUTE_PGM_RSRC2:TRAP_HANDLER: 0
; COMPUTE_PGM_RSRC2:TGID_X_EN: 1
; COMPUTE_PGM_RSRC2:TGID_Y_EN: 0
; COMPUTE_PGM_RSRC2:TGID_Z_EN: 0
; COMPUTE_PGM_RSRC2:TIDIG_COMP_CNT: 0
	.section	.text._ZN7rocprim17ROCPRIM_400000_NS6detail17trampoline_kernelINS0_14default_configENS1_25transform_config_selectorIsLb1EEEZNS1_14transform_implILb1ES3_S5_PsS7_NS0_8identityIsEEEE10hipError_tT2_T3_mT4_P12ihipStream_tbEUlT_E_NS1_11comp_targetILNS1_3genE3ELNS1_11target_archE908ELNS1_3gpuE7ELNS1_3repE0EEENS1_30default_config_static_selectorELNS0_4arch9wavefront6targetE0EEEvT1_,"axG",@progbits,_ZN7rocprim17ROCPRIM_400000_NS6detail17trampoline_kernelINS0_14default_configENS1_25transform_config_selectorIsLb1EEEZNS1_14transform_implILb1ES3_S5_PsS7_NS0_8identityIsEEEE10hipError_tT2_T3_mT4_P12ihipStream_tbEUlT_E_NS1_11comp_targetILNS1_3genE3ELNS1_11target_archE908ELNS1_3gpuE7ELNS1_3repE0EEENS1_30default_config_static_selectorELNS0_4arch9wavefront6targetE0EEEvT1_,comdat
	.protected	_ZN7rocprim17ROCPRIM_400000_NS6detail17trampoline_kernelINS0_14default_configENS1_25transform_config_selectorIsLb1EEEZNS1_14transform_implILb1ES3_S5_PsS7_NS0_8identityIsEEEE10hipError_tT2_T3_mT4_P12ihipStream_tbEUlT_E_NS1_11comp_targetILNS1_3genE3ELNS1_11target_archE908ELNS1_3gpuE7ELNS1_3repE0EEENS1_30default_config_static_selectorELNS0_4arch9wavefront6targetE0EEEvT1_ ; -- Begin function _ZN7rocprim17ROCPRIM_400000_NS6detail17trampoline_kernelINS0_14default_configENS1_25transform_config_selectorIsLb1EEEZNS1_14transform_implILb1ES3_S5_PsS7_NS0_8identityIsEEEE10hipError_tT2_T3_mT4_P12ihipStream_tbEUlT_E_NS1_11comp_targetILNS1_3genE3ELNS1_11target_archE908ELNS1_3gpuE7ELNS1_3repE0EEENS1_30default_config_static_selectorELNS0_4arch9wavefront6targetE0EEEvT1_
	.globl	_ZN7rocprim17ROCPRIM_400000_NS6detail17trampoline_kernelINS0_14default_configENS1_25transform_config_selectorIsLb1EEEZNS1_14transform_implILb1ES3_S5_PsS7_NS0_8identityIsEEEE10hipError_tT2_T3_mT4_P12ihipStream_tbEUlT_E_NS1_11comp_targetILNS1_3genE3ELNS1_11target_archE908ELNS1_3gpuE7ELNS1_3repE0EEENS1_30default_config_static_selectorELNS0_4arch9wavefront6targetE0EEEvT1_
	.p2align	8
	.type	_ZN7rocprim17ROCPRIM_400000_NS6detail17trampoline_kernelINS0_14default_configENS1_25transform_config_selectorIsLb1EEEZNS1_14transform_implILb1ES3_S5_PsS7_NS0_8identityIsEEEE10hipError_tT2_T3_mT4_P12ihipStream_tbEUlT_E_NS1_11comp_targetILNS1_3genE3ELNS1_11target_archE908ELNS1_3gpuE7ELNS1_3repE0EEENS1_30default_config_static_selectorELNS0_4arch9wavefront6targetE0EEEvT1_,@function
_ZN7rocprim17ROCPRIM_400000_NS6detail17trampoline_kernelINS0_14default_configENS1_25transform_config_selectorIsLb1EEEZNS1_14transform_implILb1ES3_S5_PsS7_NS0_8identityIsEEEE10hipError_tT2_T3_mT4_P12ihipStream_tbEUlT_E_NS1_11comp_targetILNS1_3genE3ELNS1_11target_archE908ELNS1_3gpuE7ELNS1_3repE0EEENS1_30default_config_static_selectorELNS0_4arch9wavefront6targetE0EEEvT1_: ; @_ZN7rocprim17ROCPRIM_400000_NS6detail17trampoline_kernelINS0_14default_configENS1_25transform_config_selectorIsLb1EEEZNS1_14transform_implILb1ES3_S5_PsS7_NS0_8identityIsEEEE10hipError_tT2_T3_mT4_P12ihipStream_tbEUlT_E_NS1_11comp_targetILNS1_3genE3ELNS1_11target_archE908ELNS1_3gpuE7ELNS1_3repE0EEENS1_30default_config_static_selectorELNS0_4arch9wavefront6targetE0EEEvT1_
; %bb.0:
	.section	.rodata,"a",@progbits
	.p2align	6, 0x0
	.amdhsa_kernel _ZN7rocprim17ROCPRIM_400000_NS6detail17trampoline_kernelINS0_14default_configENS1_25transform_config_selectorIsLb1EEEZNS1_14transform_implILb1ES3_S5_PsS7_NS0_8identityIsEEEE10hipError_tT2_T3_mT4_P12ihipStream_tbEUlT_E_NS1_11comp_targetILNS1_3genE3ELNS1_11target_archE908ELNS1_3gpuE7ELNS1_3repE0EEENS1_30default_config_static_selectorELNS0_4arch9wavefront6targetE0EEEvT1_
		.amdhsa_group_segment_fixed_size 0
		.amdhsa_private_segment_fixed_size 0
		.amdhsa_kernarg_size 40
		.amdhsa_user_sgpr_count 2
		.amdhsa_user_sgpr_dispatch_ptr 0
		.amdhsa_user_sgpr_queue_ptr 0
		.amdhsa_user_sgpr_kernarg_segment_ptr 1
		.amdhsa_user_sgpr_dispatch_id 0
		.amdhsa_user_sgpr_kernarg_preload_length 0
		.amdhsa_user_sgpr_kernarg_preload_offset 0
		.amdhsa_user_sgpr_private_segment_size 0
		.amdhsa_wavefront_size32 1
		.amdhsa_uses_dynamic_stack 0
		.amdhsa_enable_private_segment 0
		.amdhsa_system_sgpr_workgroup_id_x 1
		.amdhsa_system_sgpr_workgroup_id_y 0
		.amdhsa_system_sgpr_workgroup_id_z 0
		.amdhsa_system_sgpr_workgroup_info 0
		.amdhsa_system_vgpr_workitem_id 0
		.amdhsa_next_free_vgpr 1
		.amdhsa_next_free_sgpr 1
		.amdhsa_named_barrier_count 0
		.amdhsa_reserve_vcc 0
		.amdhsa_float_round_mode_32 0
		.amdhsa_float_round_mode_16_64 0
		.amdhsa_float_denorm_mode_32 3
		.amdhsa_float_denorm_mode_16_64 3
		.amdhsa_fp16_overflow 0
		.amdhsa_memory_ordered 1
		.amdhsa_forward_progress 1
		.amdhsa_inst_pref_size 0
		.amdhsa_round_robin_scheduling 0
		.amdhsa_exception_fp_ieee_invalid_op 0
		.amdhsa_exception_fp_denorm_src 0
		.amdhsa_exception_fp_ieee_div_zero 0
		.amdhsa_exception_fp_ieee_overflow 0
		.amdhsa_exception_fp_ieee_underflow 0
		.amdhsa_exception_fp_ieee_inexact 0
		.amdhsa_exception_int_div_zero 0
	.end_amdhsa_kernel
	.section	.text._ZN7rocprim17ROCPRIM_400000_NS6detail17trampoline_kernelINS0_14default_configENS1_25transform_config_selectorIsLb1EEEZNS1_14transform_implILb1ES3_S5_PsS7_NS0_8identityIsEEEE10hipError_tT2_T3_mT4_P12ihipStream_tbEUlT_E_NS1_11comp_targetILNS1_3genE3ELNS1_11target_archE908ELNS1_3gpuE7ELNS1_3repE0EEENS1_30default_config_static_selectorELNS0_4arch9wavefront6targetE0EEEvT1_,"axG",@progbits,_ZN7rocprim17ROCPRIM_400000_NS6detail17trampoline_kernelINS0_14default_configENS1_25transform_config_selectorIsLb1EEEZNS1_14transform_implILb1ES3_S5_PsS7_NS0_8identityIsEEEE10hipError_tT2_T3_mT4_P12ihipStream_tbEUlT_E_NS1_11comp_targetILNS1_3genE3ELNS1_11target_archE908ELNS1_3gpuE7ELNS1_3repE0EEENS1_30default_config_static_selectorELNS0_4arch9wavefront6targetE0EEEvT1_,comdat
.Lfunc_end548:
	.size	_ZN7rocprim17ROCPRIM_400000_NS6detail17trampoline_kernelINS0_14default_configENS1_25transform_config_selectorIsLb1EEEZNS1_14transform_implILb1ES3_S5_PsS7_NS0_8identityIsEEEE10hipError_tT2_T3_mT4_P12ihipStream_tbEUlT_E_NS1_11comp_targetILNS1_3genE3ELNS1_11target_archE908ELNS1_3gpuE7ELNS1_3repE0EEENS1_30default_config_static_selectorELNS0_4arch9wavefront6targetE0EEEvT1_, .Lfunc_end548-_ZN7rocprim17ROCPRIM_400000_NS6detail17trampoline_kernelINS0_14default_configENS1_25transform_config_selectorIsLb1EEEZNS1_14transform_implILb1ES3_S5_PsS7_NS0_8identityIsEEEE10hipError_tT2_T3_mT4_P12ihipStream_tbEUlT_E_NS1_11comp_targetILNS1_3genE3ELNS1_11target_archE908ELNS1_3gpuE7ELNS1_3repE0EEENS1_30default_config_static_selectorELNS0_4arch9wavefront6targetE0EEEvT1_
                                        ; -- End function
	.set _ZN7rocprim17ROCPRIM_400000_NS6detail17trampoline_kernelINS0_14default_configENS1_25transform_config_selectorIsLb1EEEZNS1_14transform_implILb1ES3_S5_PsS7_NS0_8identityIsEEEE10hipError_tT2_T3_mT4_P12ihipStream_tbEUlT_E_NS1_11comp_targetILNS1_3genE3ELNS1_11target_archE908ELNS1_3gpuE7ELNS1_3repE0EEENS1_30default_config_static_selectorELNS0_4arch9wavefront6targetE0EEEvT1_.num_vgpr, 0
	.set _ZN7rocprim17ROCPRIM_400000_NS6detail17trampoline_kernelINS0_14default_configENS1_25transform_config_selectorIsLb1EEEZNS1_14transform_implILb1ES3_S5_PsS7_NS0_8identityIsEEEE10hipError_tT2_T3_mT4_P12ihipStream_tbEUlT_E_NS1_11comp_targetILNS1_3genE3ELNS1_11target_archE908ELNS1_3gpuE7ELNS1_3repE0EEENS1_30default_config_static_selectorELNS0_4arch9wavefront6targetE0EEEvT1_.num_agpr, 0
	.set _ZN7rocprim17ROCPRIM_400000_NS6detail17trampoline_kernelINS0_14default_configENS1_25transform_config_selectorIsLb1EEEZNS1_14transform_implILb1ES3_S5_PsS7_NS0_8identityIsEEEE10hipError_tT2_T3_mT4_P12ihipStream_tbEUlT_E_NS1_11comp_targetILNS1_3genE3ELNS1_11target_archE908ELNS1_3gpuE7ELNS1_3repE0EEENS1_30default_config_static_selectorELNS0_4arch9wavefront6targetE0EEEvT1_.numbered_sgpr, 0
	.set _ZN7rocprim17ROCPRIM_400000_NS6detail17trampoline_kernelINS0_14default_configENS1_25transform_config_selectorIsLb1EEEZNS1_14transform_implILb1ES3_S5_PsS7_NS0_8identityIsEEEE10hipError_tT2_T3_mT4_P12ihipStream_tbEUlT_E_NS1_11comp_targetILNS1_3genE3ELNS1_11target_archE908ELNS1_3gpuE7ELNS1_3repE0EEENS1_30default_config_static_selectorELNS0_4arch9wavefront6targetE0EEEvT1_.num_named_barrier, 0
	.set _ZN7rocprim17ROCPRIM_400000_NS6detail17trampoline_kernelINS0_14default_configENS1_25transform_config_selectorIsLb1EEEZNS1_14transform_implILb1ES3_S5_PsS7_NS0_8identityIsEEEE10hipError_tT2_T3_mT4_P12ihipStream_tbEUlT_E_NS1_11comp_targetILNS1_3genE3ELNS1_11target_archE908ELNS1_3gpuE7ELNS1_3repE0EEENS1_30default_config_static_selectorELNS0_4arch9wavefront6targetE0EEEvT1_.private_seg_size, 0
	.set _ZN7rocprim17ROCPRIM_400000_NS6detail17trampoline_kernelINS0_14default_configENS1_25transform_config_selectorIsLb1EEEZNS1_14transform_implILb1ES3_S5_PsS7_NS0_8identityIsEEEE10hipError_tT2_T3_mT4_P12ihipStream_tbEUlT_E_NS1_11comp_targetILNS1_3genE3ELNS1_11target_archE908ELNS1_3gpuE7ELNS1_3repE0EEENS1_30default_config_static_selectorELNS0_4arch9wavefront6targetE0EEEvT1_.uses_vcc, 0
	.set _ZN7rocprim17ROCPRIM_400000_NS6detail17trampoline_kernelINS0_14default_configENS1_25transform_config_selectorIsLb1EEEZNS1_14transform_implILb1ES3_S5_PsS7_NS0_8identityIsEEEE10hipError_tT2_T3_mT4_P12ihipStream_tbEUlT_E_NS1_11comp_targetILNS1_3genE3ELNS1_11target_archE908ELNS1_3gpuE7ELNS1_3repE0EEENS1_30default_config_static_selectorELNS0_4arch9wavefront6targetE0EEEvT1_.uses_flat_scratch, 0
	.set _ZN7rocprim17ROCPRIM_400000_NS6detail17trampoline_kernelINS0_14default_configENS1_25transform_config_selectorIsLb1EEEZNS1_14transform_implILb1ES3_S5_PsS7_NS0_8identityIsEEEE10hipError_tT2_T3_mT4_P12ihipStream_tbEUlT_E_NS1_11comp_targetILNS1_3genE3ELNS1_11target_archE908ELNS1_3gpuE7ELNS1_3repE0EEENS1_30default_config_static_selectorELNS0_4arch9wavefront6targetE0EEEvT1_.has_dyn_sized_stack, 0
	.set _ZN7rocprim17ROCPRIM_400000_NS6detail17trampoline_kernelINS0_14default_configENS1_25transform_config_selectorIsLb1EEEZNS1_14transform_implILb1ES3_S5_PsS7_NS0_8identityIsEEEE10hipError_tT2_T3_mT4_P12ihipStream_tbEUlT_E_NS1_11comp_targetILNS1_3genE3ELNS1_11target_archE908ELNS1_3gpuE7ELNS1_3repE0EEENS1_30default_config_static_selectorELNS0_4arch9wavefront6targetE0EEEvT1_.has_recursion, 0
	.set _ZN7rocprim17ROCPRIM_400000_NS6detail17trampoline_kernelINS0_14default_configENS1_25transform_config_selectorIsLb1EEEZNS1_14transform_implILb1ES3_S5_PsS7_NS0_8identityIsEEEE10hipError_tT2_T3_mT4_P12ihipStream_tbEUlT_E_NS1_11comp_targetILNS1_3genE3ELNS1_11target_archE908ELNS1_3gpuE7ELNS1_3repE0EEENS1_30default_config_static_selectorELNS0_4arch9wavefront6targetE0EEEvT1_.has_indirect_call, 0
	.section	.AMDGPU.csdata,"",@progbits
; Kernel info:
; codeLenInByte = 0
; TotalNumSgprs: 0
; NumVgprs: 0
; ScratchSize: 0
; MemoryBound: 0
; FloatMode: 240
; IeeeMode: 1
; LDSByteSize: 0 bytes/workgroup (compile time only)
; SGPRBlocks: 0
; VGPRBlocks: 0
; NumSGPRsForWavesPerEU: 1
; NumVGPRsForWavesPerEU: 1
; NamedBarCnt: 0
; Occupancy: 16
; WaveLimiterHint : 0
; COMPUTE_PGM_RSRC2:SCRATCH_EN: 0
; COMPUTE_PGM_RSRC2:USER_SGPR: 2
; COMPUTE_PGM_RSRC2:TRAP_HANDLER: 0
; COMPUTE_PGM_RSRC2:TGID_X_EN: 1
; COMPUTE_PGM_RSRC2:TGID_Y_EN: 0
; COMPUTE_PGM_RSRC2:TGID_Z_EN: 0
; COMPUTE_PGM_RSRC2:TIDIG_COMP_CNT: 0
	.section	.text._ZN7rocprim17ROCPRIM_400000_NS6detail17trampoline_kernelINS0_14default_configENS1_25transform_config_selectorIsLb1EEEZNS1_14transform_implILb1ES3_S5_PsS7_NS0_8identityIsEEEE10hipError_tT2_T3_mT4_P12ihipStream_tbEUlT_E_NS1_11comp_targetILNS1_3genE2ELNS1_11target_archE906ELNS1_3gpuE6ELNS1_3repE0EEENS1_30default_config_static_selectorELNS0_4arch9wavefront6targetE0EEEvT1_,"axG",@progbits,_ZN7rocprim17ROCPRIM_400000_NS6detail17trampoline_kernelINS0_14default_configENS1_25transform_config_selectorIsLb1EEEZNS1_14transform_implILb1ES3_S5_PsS7_NS0_8identityIsEEEE10hipError_tT2_T3_mT4_P12ihipStream_tbEUlT_E_NS1_11comp_targetILNS1_3genE2ELNS1_11target_archE906ELNS1_3gpuE6ELNS1_3repE0EEENS1_30default_config_static_selectorELNS0_4arch9wavefront6targetE0EEEvT1_,comdat
	.protected	_ZN7rocprim17ROCPRIM_400000_NS6detail17trampoline_kernelINS0_14default_configENS1_25transform_config_selectorIsLb1EEEZNS1_14transform_implILb1ES3_S5_PsS7_NS0_8identityIsEEEE10hipError_tT2_T3_mT4_P12ihipStream_tbEUlT_E_NS1_11comp_targetILNS1_3genE2ELNS1_11target_archE906ELNS1_3gpuE6ELNS1_3repE0EEENS1_30default_config_static_selectorELNS0_4arch9wavefront6targetE0EEEvT1_ ; -- Begin function _ZN7rocprim17ROCPRIM_400000_NS6detail17trampoline_kernelINS0_14default_configENS1_25transform_config_selectorIsLb1EEEZNS1_14transform_implILb1ES3_S5_PsS7_NS0_8identityIsEEEE10hipError_tT2_T3_mT4_P12ihipStream_tbEUlT_E_NS1_11comp_targetILNS1_3genE2ELNS1_11target_archE906ELNS1_3gpuE6ELNS1_3repE0EEENS1_30default_config_static_selectorELNS0_4arch9wavefront6targetE0EEEvT1_
	.globl	_ZN7rocprim17ROCPRIM_400000_NS6detail17trampoline_kernelINS0_14default_configENS1_25transform_config_selectorIsLb1EEEZNS1_14transform_implILb1ES3_S5_PsS7_NS0_8identityIsEEEE10hipError_tT2_T3_mT4_P12ihipStream_tbEUlT_E_NS1_11comp_targetILNS1_3genE2ELNS1_11target_archE906ELNS1_3gpuE6ELNS1_3repE0EEENS1_30default_config_static_selectorELNS0_4arch9wavefront6targetE0EEEvT1_
	.p2align	8
	.type	_ZN7rocprim17ROCPRIM_400000_NS6detail17trampoline_kernelINS0_14default_configENS1_25transform_config_selectorIsLb1EEEZNS1_14transform_implILb1ES3_S5_PsS7_NS0_8identityIsEEEE10hipError_tT2_T3_mT4_P12ihipStream_tbEUlT_E_NS1_11comp_targetILNS1_3genE2ELNS1_11target_archE906ELNS1_3gpuE6ELNS1_3repE0EEENS1_30default_config_static_selectorELNS0_4arch9wavefront6targetE0EEEvT1_,@function
_ZN7rocprim17ROCPRIM_400000_NS6detail17trampoline_kernelINS0_14default_configENS1_25transform_config_selectorIsLb1EEEZNS1_14transform_implILb1ES3_S5_PsS7_NS0_8identityIsEEEE10hipError_tT2_T3_mT4_P12ihipStream_tbEUlT_E_NS1_11comp_targetILNS1_3genE2ELNS1_11target_archE906ELNS1_3gpuE6ELNS1_3repE0EEENS1_30default_config_static_selectorELNS0_4arch9wavefront6targetE0EEEvT1_: ; @_ZN7rocprim17ROCPRIM_400000_NS6detail17trampoline_kernelINS0_14default_configENS1_25transform_config_selectorIsLb1EEEZNS1_14transform_implILb1ES3_S5_PsS7_NS0_8identityIsEEEE10hipError_tT2_T3_mT4_P12ihipStream_tbEUlT_E_NS1_11comp_targetILNS1_3genE2ELNS1_11target_archE906ELNS1_3gpuE6ELNS1_3repE0EEENS1_30default_config_static_selectorELNS0_4arch9wavefront6targetE0EEEvT1_
; %bb.0:
	.section	.rodata,"a",@progbits
	.p2align	6, 0x0
	.amdhsa_kernel _ZN7rocprim17ROCPRIM_400000_NS6detail17trampoline_kernelINS0_14default_configENS1_25transform_config_selectorIsLb1EEEZNS1_14transform_implILb1ES3_S5_PsS7_NS0_8identityIsEEEE10hipError_tT2_T3_mT4_P12ihipStream_tbEUlT_E_NS1_11comp_targetILNS1_3genE2ELNS1_11target_archE906ELNS1_3gpuE6ELNS1_3repE0EEENS1_30default_config_static_selectorELNS0_4arch9wavefront6targetE0EEEvT1_
		.amdhsa_group_segment_fixed_size 0
		.amdhsa_private_segment_fixed_size 0
		.amdhsa_kernarg_size 40
		.amdhsa_user_sgpr_count 2
		.amdhsa_user_sgpr_dispatch_ptr 0
		.amdhsa_user_sgpr_queue_ptr 0
		.amdhsa_user_sgpr_kernarg_segment_ptr 1
		.amdhsa_user_sgpr_dispatch_id 0
		.amdhsa_user_sgpr_kernarg_preload_length 0
		.amdhsa_user_sgpr_kernarg_preload_offset 0
		.amdhsa_user_sgpr_private_segment_size 0
		.amdhsa_wavefront_size32 1
		.amdhsa_uses_dynamic_stack 0
		.amdhsa_enable_private_segment 0
		.amdhsa_system_sgpr_workgroup_id_x 1
		.amdhsa_system_sgpr_workgroup_id_y 0
		.amdhsa_system_sgpr_workgroup_id_z 0
		.amdhsa_system_sgpr_workgroup_info 0
		.amdhsa_system_vgpr_workitem_id 0
		.amdhsa_next_free_vgpr 1
		.amdhsa_next_free_sgpr 1
		.amdhsa_named_barrier_count 0
		.amdhsa_reserve_vcc 0
		.amdhsa_float_round_mode_32 0
		.amdhsa_float_round_mode_16_64 0
		.amdhsa_float_denorm_mode_32 3
		.amdhsa_float_denorm_mode_16_64 3
		.amdhsa_fp16_overflow 0
		.amdhsa_memory_ordered 1
		.amdhsa_forward_progress 1
		.amdhsa_inst_pref_size 0
		.amdhsa_round_robin_scheduling 0
		.amdhsa_exception_fp_ieee_invalid_op 0
		.amdhsa_exception_fp_denorm_src 0
		.amdhsa_exception_fp_ieee_div_zero 0
		.amdhsa_exception_fp_ieee_overflow 0
		.amdhsa_exception_fp_ieee_underflow 0
		.amdhsa_exception_fp_ieee_inexact 0
		.amdhsa_exception_int_div_zero 0
	.end_amdhsa_kernel
	.section	.text._ZN7rocprim17ROCPRIM_400000_NS6detail17trampoline_kernelINS0_14default_configENS1_25transform_config_selectorIsLb1EEEZNS1_14transform_implILb1ES3_S5_PsS7_NS0_8identityIsEEEE10hipError_tT2_T3_mT4_P12ihipStream_tbEUlT_E_NS1_11comp_targetILNS1_3genE2ELNS1_11target_archE906ELNS1_3gpuE6ELNS1_3repE0EEENS1_30default_config_static_selectorELNS0_4arch9wavefront6targetE0EEEvT1_,"axG",@progbits,_ZN7rocprim17ROCPRIM_400000_NS6detail17trampoline_kernelINS0_14default_configENS1_25transform_config_selectorIsLb1EEEZNS1_14transform_implILb1ES3_S5_PsS7_NS0_8identityIsEEEE10hipError_tT2_T3_mT4_P12ihipStream_tbEUlT_E_NS1_11comp_targetILNS1_3genE2ELNS1_11target_archE906ELNS1_3gpuE6ELNS1_3repE0EEENS1_30default_config_static_selectorELNS0_4arch9wavefront6targetE0EEEvT1_,comdat
.Lfunc_end549:
	.size	_ZN7rocprim17ROCPRIM_400000_NS6detail17trampoline_kernelINS0_14default_configENS1_25transform_config_selectorIsLb1EEEZNS1_14transform_implILb1ES3_S5_PsS7_NS0_8identityIsEEEE10hipError_tT2_T3_mT4_P12ihipStream_tbEUlT_E_NS1_11comp_targetILNS1_3genE2ELNS1_11target_archE906ELNS1_3gpuE6ELNS1_3repE0EEENS1_30default_config_static_selectorELNS0_4arch9wavefront6targetE0EEEvT1_, .Lfunc_end549-_ZN7rocprim17ROCPRIM_400000_NS6detail17trampoline_kernelINS0_14default_configENS1_25transform_config_selectorIsLb1EEEZNS1_14transform_implILb1ES3_S5_PsS7_NS0_8identityIsEEEE10hipError_tT2_T3_mT4_P12ihipStream_tbEUlT_E_NS1_11comp_targetILNS1_3genE2ELNS1_11target_archE906ELNS1_3gpuE6ELNS1_3repE0EEENS1_30default_config_static_selectorELNS0_4arch9wavefront6targetE0EEEvT1_
                                        ; -- End function
	.set _ZN7rocprim17ROCPRIM_400000_NS6detail17trampoline_kernelINS0_14default_configENS1_25transform_config_selectorIsLb1EEEZNS1_14transform_implILb1ES3_S5_PsS7_NS0_8identityIsEEEE10hipError_tT2_T3_mT4_P12ihipStream_tbEUlT_E_NS1_11comp_targetILNS1_3genE2ELNS1_11target_archE906ELNS1_3gpuE6ELNS1_3repE0EEENS1_30default_config_static_selectorELNS0_4arch9wavefront6targetE0EEEvT1_.num_vgpr, 0
	.set _ZN7rocprim17ROCPRIM_400000_NS6detail17trampoline_kernelINS0_14default_configENS1_25transform_config_selectorIsLb1EEEZNS1_14transform_implILb1ES3_S5_PsS7_NS0_8identityIsEEEE10hipError_tT2_T3_mT4_P12ihipStream_tbEUlT_E_NS1_11comp_targetILNS1_3genE2ELNS1_11target_archE906ELNS1_3gpuE6ELNS1_3repE0EEENS1_30default_config_static_selectorELNS0_4arch9wavefront6targetE0EEEvT1_.num_agpr, 0
	.set _ZN7rocprim17ROCPRIM_400000_NS6detail17trampoline_kernelINS0_14default_configENS1_25transform_config_selectorIsLb1EEEZNS1_14transform_implILb1ES3_S5_PsS7_NS0_8identityIsEEEE10hipError_tT2_T3_mT4_P12ihipStream_tbEUlT_E_NS1_11comp_targetILNS1_3genE2ELNS1_11target_archE906ELNS1_3gpuE6ELNS1_3repE0EEENS1_30default_config_static_selectorELNS0_4arch9wavefront6targetE0EEEvT1_.numbered_sgpr, 0
	.set _ZN7rocprim17ROCPRIM_400000_NS6detail17trampoline_kernelINS0_14default_configENS1_25transform_config_selectorIsLb1EEEZNS1_14transform_implILb1ES3_S5_PsS7_NS0_8identityIsEEEE10hipError_tT2_T3_mT4_P12ihipStream_tbEUlT_E_NS1_11comp_targetILNS1_3genE2ELNS1_11target_archE906ELNS1_3gpuE6ELNS1_3repE0EEENS1_30default_config_static_selectorELNS0_4arch9wavefront6targetE0EEEvT1_.num_named_barrier, 0
	.set _ZN7rocprim17ROCPRIM_400000_NS6detail17trampoline_kernelINS0_14default_configENS1_25transform_config_selectorIsLb1EEEZNS1_14transform_implILb1ES3_S5_PsS7_NS0_8identityIsEEEE10hipError_tT2_T3_mT4_P12ihipStream_tbEUlT_E_NS1_11comp_targetILNS1_3genE2ELNS1_11target_archE906ELNS1_3gpuE6ELNS1_3repE0EEENS1_30default_config_static_selectorELNS0_4arch9wavefront6targetE0EEEvT1_.private_seg_size, 0
	.set _ZN7rocprim17ROCPRIM_400000_NS6detail17trampoline_kernelINS0_14default_configENS1_25transform_config_selectorIsLb1EEEZNS1_14transform_implILb1ES3_S5_PsS7_NS0_8identityIsEEEE10hipError_tT2_T3_mT4_P12ihipStream_tbEUlT_E_NS1_11comp_targetILNS1_3genE2ELNS1_11target_archE906ELNS1_3gpuE6ELNS1_3repE0EEENS1_30default_config_static_selectorELNS0_4arch9wavefront6targetE0EEEvT1_.uses_vcc, 0
	.set _ZN7rocprim17ROCPRIM_400000_NS6detail17trampoline_kernelINS0_14default_configENS1_25transform_config_selectorIsLb1EEEZNS1_14transform_implILb1ES3_S5_PsS7_NS0_8identityIsEEEE10hipError_tT2_T3_mT4_P12ihipStream_tbEUlT_E_NS1_11comp_targetILNS1_3genE2ELNS1_11target_archE906ELNS1_3gpuE6ELNS1_3repE0EEENS1_30default_config_static_selectorELNS0_4arch9wavefront6targetE0EEEvT1_.uses_flat_scratch, 0
	.set _ZN7rocprim17ROCPRIM_400000_NS6detail17trampoline_kernelINS0_14default_configENS1_25transform_config_selectorIsLb1EEEZNS1_14transform_implILb1ES3_S5_PsS7_NS0_8identityIsEEEE10hipError_tT2_T3_mT4_P12ihipStream_tbEUlT_E_NS1_11comp_targetILNS1_3genE2ELNS1_11target_archE906ELNS1_3gpuE6ELNS1_3repE0EEENS1_30default_config_static_selectorELNS0_4arch9wavefront6targetE0EEEvT1_.has_dyn_sized_stack, 0
	.set _ZN7rocprim17ROCPRIM_400000_NS6detail17trampoline_kernelINS0_14default_configENS1_25transform_config_selectorIsLb1EEEZNS1_14transform_implILb1ES3_S5_PsS7_NS0_8identityIsEEEE10hipError_tT2_T3_mT4_P12ihipStream_tbEUlT_E_NS1_11comp_targetILNS1_3genE2ELNS1_11target_archE906ELNS1_3gpuE6ELNS1_3repE0EEENS1_30default_config_static_selectorELNS0_4arch9wavefront6targetE0EEEvT1_.has_recursion, 0
	.set _ZN7rocprim17ROCPRIM_400000_NS6detail17trampoline_kernelINS0_14default_configENS1_25transform_config_selectorIsLb1EEEZNS1_14transform_implILb1ES3_S5_PsS7_NS0_8identityIsEEEE10hipError_tT2_T3_mT4_P12ihipStream_tbEUlT_E_NS1_11comp_targetILNS1_3genE2ELNS1_11target_archE906ELNS1_3gpuE6ELNS1_3repE0EEENS1_30default_config_static_selectorELNS0_4arch9wavefront6targetE0EEEvT1_.has_indirect_call, 0
	.section	.AMDGPU.csdata,"",@progbits
; Kernel info:
; codeLenInByte = 0
; TotalNumSgprs: 0
; NumVgprs: 0
; ScratchSize: 0
; MemoryBound: 0
; FloatMode: 240
; IeeeMode: 1
; LDSByteSize: 0 bytes/workgroup (compile time only)
; SGPRBlocks: 0
; VGPRBlocks: 0
; NumSGPRsForWavesPerEU: 1
; NumVGPRsForWavesPerEU: 1
; NamedBarCnt: 0
; Occupancy: 16
; WaveLimiterHint : 0
; COMPUTE_PGM_RSRC2:SCRATCH_EN: 0
; COMPUTE_PGM_RSRC2:USER_SGPR: 2
; COMPUTE_PGM_RSRC2:TRAP_HANDLER: 0
; COMPUTE_PGM_RSRC2:TGID_X_EN: 1
; COMPUTE_PGM_RSRC2:TGID_Y_EN: 0
; COMPUTE_PGM_RSRC2:TGID_Z_EN: 0
; COMPUTE_PGM_RSRC2:TIDIG_COMP_CNT: 0
	.section	.text._ZN7rocprim17ROCPRIM_400000_NS6detail17trampoline_kernelINS0_14default_configENS1_25transform_config_selectorIsLb1EEEZNS1_14transform_implILb1ES3_S5_PsS7_NS0_8identityIsEEEE10hipError_tT2_T3_mT4_P12ihipStream_tbEUlT_E_NS1_11comp_targetILNS1_3genE9ELNS1_11target_archE1100ELNS1_3gpuE3ELNS1_3repE0EEENS1_30default_config_static_selectorELNS0_4arch9wavefront6targetE0EEEvT1_,"axG",@progbits,_ZN7rocprim17ROCPRIM_400000_NS6detail17trampoline_kernelINS0_14default_configENS1_25transform_config_selectorIsLb1EEEZNS1_14transform_implILb1ES3_S5_PsS7_NS0_8identityIsEEEE10hipError_tT2_T3_mT4_P12ihipStream_tbEUlT_E_NS1_11comp_targetILNS1_3genE9ELNS1_11target_archE1100ELNS1_3gpuE3ELNS1_3repE0EEENS1_30default_config_static_selectorELNS0_4arch9wavefront6targetE0EEEvT1_,comdat
	.protected	_ZN7rocprim17ROCPRIM_400000_NS6detail17trampoline_kernelINS0_14default_configENS1_25transform_config_selectorIsLb1EEEZNS1_14transform_implILb1ES3_S5_PsS7_NS0_8identityIsEEEE10hipError_tT2_T3_mT4_P12ihipStream_tbEUlT_E_NS1_11comp_targetILNS1_3genE9ELNS1_11target_archE1100ELNS1_3gpuE3ELNS1_3repE0EEENS1_30default_config_static_selectorELNS0_4arch9wavefront6targetE0EEEvT1_ ; -- Begin function _ZN7rocprim17ROCPRIM_400000_NS6detail17trampoline_kernelINS0_14default_configENS1_25transform_config_selectorIsLb1EEEZNS1_14transform_implILb1ES3_S5_PsS7_NS0_8identityIsEEEE10hipError_tT2_T3_mT4_P12ihipStream_tbEUlT_E_NS1_11comp_targetILNS1_3genE9ELNS1_11target_archE1100ELNS1_3gpuE3ELNS1_3repE0EEENS1_30default_config_static_selectorELNS0_4arch9wavefront6targetE0EEEvT1_
	.globl	_ZN7rocprim17ROCPRIM_400000_NS6detail17trampoline_kernelINS0_14default_configENS1_25transform_config_selectorIsLb1EEEZNS1_14transform_implILb1ES3_S5_PsS7_NS0_8identityIsEEEE10hipError_tT2_T3_mT4_P12ihipStream_tbEUlT_E_NS1_11comp_targetILNS1_3genE9ELNS1_11target_archE1100ELNS1_3gpuE3ELNS1_3repE0EEENS1_30default_config_static_selectorELNS0_4arch9wavefront6targetE0EEEvT1_
	.p2align	8
	.type	_ZN7rocprim17ROCPRIM_400000_NS6detail17trampoline_kernelINS0_14default_configENS1_25transform_config_selectorIsLb1EEEZNS1_14transform_implILb1ES3_S5_PsS7_NS0_8identityIsEEEE10hipError_tT2_T3_mT4_P12ihipStream_tbEUlT_E_NS1_11comp_targetILNS1_3genE9ELNS1_11target_archE1100ELNS1_3gpuE3ELNS1_3repE0EEENS1_30default_config_static_selectorELNS0_4arch9wavefront6targetE0EEEvT1_,@function
_ZN7rocprim17ROCPRIM_400000_NS6detail17trampoline_kernelINS0_14default_configENS1_25transform_config_selectorIsLb1EEEZNS1_14transform_implILb1ES3_S5_PsS7_NS0_8identityIsEEEE10hipError_tT2_T3_mT4_P12ihipStream_tbEUlT_E_NS1_11comp_targetILNS1_3genE9ELNS1_11target_archE1100ELNS1_3gpuE3ELNS1_3repE0EEENS1_30default_config_static_selectorELNS0_4arch9wavefront6targetE0EEEvT1_: ; @_ZN7rocprim17ROCPRIM_400000_NS6detail17trampoline_kernelINS0_14default_configENS1_25transform_config_selectorIsLb1EEEZNS1_14transform_implILb1ES3_S5_PsS7_NS0_8identityIsEEEE10hipError_tT2_T3_mT4_P12ihipStream_tbEUlT_E_NS1_11comp_targetILNS1_3genE9ELNS1_11target_archE1100ELNS1_3gpuE3ELNS1_3repE0EEENS1_30default_config_static_selectorELNS0_4arch9wavefront6targetE0EEEvT1_
; %bb.0:
	.section	.rodata,"a",@progbits
	.p2align	6, 0x0
	.amdhsa_kernel _ZN7rocprim17ROCPRIM_400000_NS6detail17trampoline_kernelINS0_14default_configENS1_25transform_config_selectorIsLb1EEEZNS1_14transform_implILb1ES3_S5_PsS7_NS0_8identityIsEEEE10hipError_tT2_T3_mT4_P12ihipStream_tbEUlT_E_NS1_11comp_targetILNS1_3genE9ELNS1_11target_archE1100ELNS1_3gpuE3ELNS1_3repE0EEENS1_30default_config_static_selectorELNS0_4arch9wavefront6targetE0EEEvT1_
		.amdhsa_group_segment_fixed_size 0
		.amdhsa_private_segment_fixed_size 0
		.amdhsa_kernarg_size 40
		.amdhsa_user_sgpr_count 2
		.amdhsa_user_sgpr_dispatch_ptr 0
		.amdhsa_user_sgpr_queue_ptr 0
		.amdhsa_user_sgpr_kernarg_segment_ptr 1
		.amdhsa_user_sgpr_dispatch_id 0
		.amdhsa_user_sgpr_kernarg_preload_length 0
		.amdhsa_user_sgpr_kernarg_preload_offset 0
		.amdhsa_user_sgpr_private_segment_size 0
		.amdhsa_wavefront_size32 1
		.amdhsa_uses_dynamic_stack 0
		.amdhsa_enable_private_segment 0
		.amdhsa_system_sgpr_workgroup_id_x 1
		.amdhsa_system_sgpr_workgroup_id_y 0
		.amdhsa_system_sgpr_workgroup_id_z 0
		.amdhsa_system_sgpr_workgroup_info 0
		.amdhsa_system_vgpr_workitem_id 0
		.amdhsa_next_free_vgpr 1
		.amdhsa_next_free_sgpr 1
		.amdhsa_named_barrier_count 0
		.amdhsa_reserve_vcc 0
		.amdhsa_float_round_mode_32 0
		.amdhsa_float_round_mode_16_64 0
		.amdhsa_float_denorm_mode_32 3
		.amdhsa_float_denorm_mode_16_64 3
		.amdhsa_fp16_overflow 0
		.amdhsa_memory_ordered 1
		.amdhsa_forward_progress 1
		.amdhsa_inst_pref_size 0
		.amdhsa_round_robin_scheduling 0
		.amdhsa_exception_fp_ieee_invalid_op 0
		.amdhsa_exception_fp_denorm_src 0
		.amdhsa_exception_fp_ieee_div_zero 0
		.amdhsa_exception_fp_ieee_overflow 0
		.amdhsa_exception_fp_ieee_underflow 0
		.amdhsa_exception_fp_ieee_inexact 0
		.amdhsa_exception_int_div_zero 0
	.end_amdhsa_kernel
	.section	.text._ZN7rocprim17ROCPRIM_400000_NS6detail17trampoline_kernelINS0_14default_configENS1_25transform_config_selectorIsLb1EEEZNS1_14transform_implILb1ES3_S5_PsS7_NS0_8identityIsEEEE10hipError_tT2_T3_mT4_P12ihipStream_tbEUlT_E_NS1_11comp_targetILNS1_3genE9ELNS1_11target_archE1100ELNS1_3gpuE3ELNS1_3repE0EEENS1_30default_config_static_selectorELNS0_4arch9wavefront6targetE0EEEvT1_,"axG",@progbits,_ZN7rocprim17ROCPRIM_400000_NS6detail17trampoline_kernelINS0_14default_configENS1_25transform_config_selectorIsLb1EEEZNS1_14transform_implILb1ES3_S5_PsS7_NS0_8identityIsEEEE10hipError_tT2_T3_mT4_P12ihipStream_tbEUlT_E_NS1_11comp_targetILNS1_3genE9ELNS1_11target_archE1100ELNS1_3gpuE3ELNS1_3repE0EEENS1_30default_config_static_selectorELNS0_4arch9wavefront6targetE0EEEvT1_,comdat
.Lfunc_end550:
	.size	_ZN7rocprim17ROCPRIM_400000_NS6detail17trampoline_kernelINS0_14default_configENS1_25transform_config_selectorIsLb1EEEZNS1_14transform_implILb1ES3_S5_PsS7_NS0_8identityIsEEEE10hipError_tT2_T3_mT4_P12ihipStream_tbEUlT_E_NS1_11comp_targetILNS1_3genE9ELNS1_11target_archE1100ELNS1_3gpuE3ELNS1_3repE0EEENS1_30default_config_static_selectorELNS0_4arch9wavefront6targetE0EEEvT1_, .Lfunc_end550-_ZN7rocprim17ROCPRIM_400000_NS6detail17trampoline_kernelINS0_14default_configENS1_25transform_config_selectorIsLb1EEEZNS1_14transform_implILb1ES3_S5_PsS7_NS0_8identityIsEEEE10hipError_tT2_T3_mT4_P12ihipStream_tbEUlT_E_NS1_11comp_targetILNS1_3genE9ELNS1_11target_archE1100ELNS1_3gpuE3ELNS1_3repE0EEENS1_30default_config_static_selectorELNS0_4arch9wavefront6targetE0EEEvT1_
                                        ; -- End function
	.set _ZN7rocprim17ROCPRIM_400000_NS6detail17trampoline_kernelINS0_14default_configENS1_25transform_config_selectorIsLb1EEEZNS1_14transform_implILb1ES3_S5_PsS7_NS0_8identityIsEEEE10hipError_tT2_T3_mT4_P12ihipStream_tbEUlT_E_NS1_11comp_targetILNS1_3genE9ELNS1_11target_archE1100ELNS1_3gpuE3ELNS1_3repE0EEENS1_30default_config_static_selectorELNS0_4arch9wavefront6targetE0EEEvT1_.num_vgpr, 0
	.set _ZN7rocprim17ROCPRIM_400000_NS6detail17trampoline_kernelINS0_14default_configENS1_25transform_config_selectorIsLb1EEEZNS1_14transform_implILb1ES3_S5_PsS7_NS0_8identityIsEEEE10hipError_tT2_T3_mT4_P12ihipStream_tbEUlT_E_NS1_11comp_targetILNS1_3genE9ELNS1_11target_archE1100ELNS1_3gpuE3ELNS1_3repE0EEENS1_30default_config_static_selectorELNS0_4arch9wavefront6targetE0EEEvT1_.num_agpr, 0
	.set _ZN7rocprim17ROCPRIM_400000_NS6detail17trampoline_kernelINS0_14default_configENS1_25transform_config_selectorIsLb1EEEZNS1_14transform_implILb1ES3_S5_PsS7_NS0_8identityIsEEEE10hipError_tT2_T3_mT4_P12ihipStream_tbEUlT_E_NS1_11comp_targetILNS1_3genE9ELNS1_11target_archE1100ELNS1_3gpuE3ELNS1_3repE0EEENS1_30default_config_static_selectorELNS0_4arch9wavefront6targetE0EEEvT1_.numbered_sgpr, 0
	.set _ZN7rocprim17ROCPRIM_400000_NS6detail17trampoline_kernelINS0_14default_configENS1_25transform_config_selectorIsLb1EEEZNS1_14transform_implILb1ES3_S5_PsS7_NS0_8identityIsEEEE10hipError_tT2_T3_mT4_P12ihipStream_tbEUlT_E_NS1_11comp_targetILNS1_3genE9ELNS1_11target_archE1100ELNS1_3gpuE3ELNS1_3repE0EEENS1_30default_config_static_selectorELNS0_4arch9wavefront6targetE0EEEvT1_.num_named_barrier, 0
	.set _ZN7rocprim17ROCPRIM_400000_NS6detail17trampoline_kernelINS0_14default_configENS1_25transform_config_selectorIsLb1EEEZNS1_14transform_implILb1ES3_S5_PsS7_NS0_8identityIsEEEE10hipError_tT2_T3_mT4_P12ihipStream_tbEUlT_E_NS1_11comp_targetILNS1_3genE9ELNS1_11target_archE1100ELNS1_3gpuE3ELNS1_3repE0EEENS1_30default_config_static_selectorELNS0_4arch9wavefront6targetE0EEEvT1_.private_seg_size, 0
	.set _ZN7rocprim17ROCPRIM_400000_NS6detail17trampoline_kernelINS0_14default_configENS1_25transform_config_selectorIsLb1EEEZNS1_14transform_implILb1ES3_S5_PsS7_NS0_8identityIsEEEE10hipError_tT2_T3_mT4_P12ihipStream_tbEUlT_E_NS1_11comp_targetILNS1_3genE9ELNS1_11target_archE1100ELNS1_3gpuE3ELNS1_3repE0EEENS1_30default_config_static_selectorELNS0_4arch9wavefront6targetE0EEEvT1_.uses_vcc, 0
	.set _ZN7rocprim17ROCPRIM_400000_NS6detail17trampoline_kernelINS0_14default_configENS1_25transform_config_selectorIsLb1EEEZNS1_14transform_implILb1ES3_S5_PsS7_NS0_8identityIsEEEE10hipError_tT2_T3_mT4_P12ihipStream_tbEUlT_E_NS1_11comp_targetILNS1_3genE9ELNS1_11target_archE1100ELNS1_3gpuE3ELNS1_3repE0EEENS1_30default_config_static_selectorELNS0_4arch9wavefront6targetE0EEEvT1_.uses_flat_scratch, 0
	.set _ZN7rocprim17ROCPRIM_400000_NS6detail17trampoline_kernelINS0_14default_configENS1_25transform_config_selectorIsLb1EEEZNS1_14transform_implILb1ES3_S5_PsS7_NS0_8identityIsEEEE10hipError_tT2_T3_mT4_P12ihipStream_tbEUlT_E_NS1_11comp_targetILNS1_3genE9ELNS1_11target_archE1100ELNS1_3gpuE3ELNS1_3repE0EEENS1_30default_config_static_selectorELNS0_4arch9wavefront6targetE0EEEvT1_.has_dyn_sized_stack, 0
	.set _ZN7rocprim17ROCPRIM_400000_NS6detail17trampoline_kernelINS0_14default_configENS1_25transform_config_selectorIsLb1EEEZNS1_14transform_implILb1ES3_S5_PsS7_NS0_8identityIsEEEE10hipError_tT2_T3_mT4_P12ihipStream_tbEUlT_E_NS1_11comp_targetILNS1_3genE9ELNS1_11target_archE1100ELNS1_3gpuE3ELNS1_3repE0EEENS1_30default_config_static_selectorELNS0_4arch9wavefront6targetE0EEEvT1_.has_recursion, 0
	.set _ZN7rocprim17ROCPRIM_400000_NS6detail17trampoline_kernelINS0_14default_configENS1_25transform_config_selectorIsLb1EEEZNS1_14transform_implILb1ES3_S5_PsS7_NS0_8identityIsEEEE10hipError_tT2_T3_mT4_P12ihipStream_tbEUlT_E_NS1_11comp_targetILNS1_3genE9ELNS1_11target_archE1100ELNS1_3gpuE3ELNS1_3repE0EEENS1_30default_config_static_selectorELNS0_4arch9wavefront6targetE0EEEvT1_.has_indirect_call, 0
	.section	.AMDGPU.csdata,"",@progbits
; Kernel info:
; codeLenInByte = 0
; TotalNumSgprs: 0
; NumVgprs: 0
; ScratchSize: 0
; MemoryBound: 0
; FloatMode: 240
; IeeeMode: 1
; LDSByteSize: 0 bytes/workgroup (compile time only)
; SGPRBlocks: 0
; VGPRBlocks: 0
; NumSGPRsForWavesPerEU: 1
; NumVGPRsForWavesPerEU: 1
; NamedBarCnt: 0
; Occupancy: 16
; WaveLimiterHint : 0
; COMPUTE_PGM_RSRC2:SCRATCH_EN: 0
; COMPUTE_PGM_RSRC2:USER_SGPR: 2
; COMPUTE_PGM_RSRC2:TRAP_HANDLER: 0
; COMPUTE_PGM_RSRC2:TGID_X_EN: 1
; COMPUTE_PGM_RSRC2:TGID_Y_EN: 0
; COMPUTE_PGM_RSRC2:TGID_Z_EN: 0
; COMPUTE_PGM_RSRC2:TIDIG_COMP_CNT: 0
	.section	.text._ZN7rocprim17ROCPRIM_400000_NS6detail17trampoline_kernelINS0_14default_configENS1_25transform_config_selectorIsLb1EEEZNS1_14transform_implILb1ES3_S5_PsS7_NS0_8identityIsEEEE10hipError_tT2_T3_mT4_P12ihipStream_tbEUlT_E_NS1_11comp_targetILNS1_3genE8ELNS1_11target_archE1030ELNS1_3gpuE2ELNS1_3repE0EEENS1_30default_config_static_selectorELNS0_4arch9wavefront6targetE0EEEvT1_,"axG",@progbits,_ZN7rocprim17ROCPRIM_400000_NS6detail17trampoline_kernelINS0_14default_configENS1_25transform_config_selectorIsLb1EEEZNS1_14transform_implILb1ES3_S5_PsS7_NS0_8identityIsEEEE10hipError_tT2_T3_mT4_P12ihipStream_tbEUlT_E_NS1_11comp_targetILNS1_3genE8ELNS1_11target_archE1030ELNS1_3gpuE2ELNS1_3repE0EEENS1_30default_config_static_selectorELNS0_4arch9wavefront6targetE0EEEvT1_,comdat
	.protected	_ZN7rocprim17ROCPRIM_400000_NS6detail17trampoline_kernelINS0_14default_configENS1_25transform_config_selectorIsLb1EEEZNS1_14transform_implILb1ES3_S5_PsS7_NS0_8identityIsEEEE10hipError_tT2_T3_mT4_P12ihipStream_tbEUlT_E_NS1_11comp_targetILNS1_3genE8ELNS1_11target_archE1030ELNS1_3gpuE2ELNS1_3repE0EEENS1_30default_config_static_selectorELNS0_4arch9wavefront6targetE0EEEvT1_ ; -- Begin function _ZN7rocprim17ROCPRIM_400000_NS6detail17trampoline_kernelINS0_14default_configENS1_25transform_config_selectorIsLb1EEEZNS1_14transform_implILb1ES3_S5_PsS7_NS0_8identityIsEEEE10hipError_tT2_T3_mT4_P12ihipStream_tbEUlT_E_NS1_11comp_targetILNS1_3genE8ELNS1_11target_archE1030ELNS1_3gpuE2ELNS1_3repE0EEENS1_30default_config_static_selectorELNS0_4arch9wavefront6targetE0EEEvT1_
	.globl	_ZN7rocprim17ROCPRIM_400000_NS6detail17trampoline_kernelINS0_14default_configENS1_25transform_config_selectorIsLb1EEEZNS1_14transform_implILb1ES3_S5_PsS7_NS0_8identityIsEEEE10hipError_tT2_T3_mT4_P12ihipStream_tbEUlT_E_NS1_11comp_targetILNS1_3genE8ELNS1_11target_archE1030ELNS1_3gpuE2ELNS1_3repE0EEENS1_30default_config_static_selectorELNS0_4arch9wavefront6targetE0EEEvT1_
	.p2align	8
	.type	_ZN7rocprim17ROCPRIM_400000_NS6detail17trampoline_kernelINS0_14default_configENS1_25transform_config_selectorIsLb1EEEZNS1_14transform_implILb1ES3_S5_PsS7_NS0_8identityIsEEEE10hipError_tT2_T3_mT4_P12ihipStream_tbEUlT_E_NS1_11comp_targetILNS1_3genE8ELNS1_11target_archE1030ELNS1_3gpuE2ELNS1_3repE0EEENS1_30default_config_static_selectorELNS0_4arch9wavefront6targetE0EEEvT1_,@function
_ZN7rocprim17ROCPRIM_400000_NS6detail17trampoline_kernelINS0_14default_configENS1_25transform_config_selectorIsLb1EEEZNS1_14transform_implILb1ES3_S5_PsS7_NS0_8identityIsEEEE10hipError_tT2_T3_mT4_P12ihipStream_tbEUlT_E_NS1_11comp_targetILNS1_3genE8ELNS1_11target_archE1030ELNS1_3gpuE2ELNS1_3repE0EEENS1_30default_config_static_selectorELNS0_4arch9wavefront6targetE0EEEvT1_: ; @_ZN7rocprim17ROCPRIM_400000_NS6detail17trampoline_kernelINS0_14default_configENS1_25transform_config_selectorIsLb1EEEZNS1_14transform_implILb1ES3_S5_PsS7_NS0_8identityIsEEEE10hipError_tT2_T3_mT4_P12ihipStream_tbEUlT_E_NS1_11comp_targetILNS1_3genE8ELNS1_11target_archE1030ELNS1_3gpuE2ELNS1_3repE0EEENS1_30default_config_static_selectorELNS0_4arch9wavefront6targetE0EEEvT1_
; %bb.0:
	.section	.rodata,"a",@progbits
	.p2align	6, 0x0
	.amdhsa_kernel _ZN7rocprim17ROCPRIM_400000_NS6detail17trampoline_kernelINS0_14default_configENS1_25transform_config_selectorIsLb1EEEZNS1_14transform_implILb1ES3_S5_PsS7_NS0_8identityIsEEEE10hipError_tT2_T3_mT4_P12ihipStream_tbEUlT_E_NS1_11comp_targetILNS1_3genE8ELNS1_11target_archE1030ELNS1_3gpuE2ELNS1_3repE0EEENS1_30default_config_static_selectorELNS0_4arch9wavefront6targetE0EEEvT1_
		.amdhsa_group_segment_fixed_size 0
		.amdhsa_private_segment_fixed_size 0
		.amdhsa_kernarg_size 40
		.amdhsa_user_sgpr_count 2
		.amdhsa_user_sgpr_dispatch_ptr 0
		.amdhsa_user_sgpr_queue_ptr 0
		.amdhsa_user_sgpr_kernarg_segment_ptr 1
		.amdhsa_user_sgpr_dispatch_id 0
		.amdhsa_user_sgpr_kernarg_preload_length 0
		.amdhsa_user_sgpr_kernarg_preload_offset 0
		.amdhsa_user_sgpr_private_segment_size 0
		.amdhsa_wavefront_size32 1
		.amdhsa_uses_dynamic_stack 0
		.amdhsa_enable_private_segment 0
		.amdhsa_system_sgpr_workgroup_id_x 1
		.amdhsa_system_sgpr_workgroup_id_y 0
		.amdhsa_system_sgpr_workgroup_id_z 0
		.amdhsa_system_sgpr_workgroup_info 0
		.amdhsa_system_vgpr_workitem_id 0
		.amdhsa_next_free_vgpr 1
		.amdhsa_next_free_sgpr 1
		.amdhsa_named_barrier_count 0
		.amdhsa_reserve_vcc 0
		.amdhsa_float_round_mode_32 0
		.amdhsa_float_round_mode_16_64 0
		.amdhsa_float_denorm_mode_32 3
		.amdhsa_float_denorm_mode_16_64 3
		.amdhsa_fp16_overflow 0
		.amdhsa_memory_ordered 1
		.amdhsa_forward_progress 1
		.amdhsa_inst_pref_size 0
		.amdhsa_round_robin_scheduling 0
		.amdhsa_exception_fp_ieee_invalid_op 0
		.amdhsa_exception_fp_denorm_src 0
		.amdhsa_exception_fp_ieee_div_zero 0
		.amdhsa_exception_fp_ieee_overflow 0
		.amdhsa_exception_fp_ieee_underflow 0
		.amdhsa_exception_fp_ieee_inexact 0
		.amdhsa_exception_int_div_zero 0
	.end_amdhsa_kernel
	.section	.text._ZN7rocprim17ROCPRIM_400000_NS6detail17trampoline_kernelINS0_14default_configENS1_25transform_config_selectorIsLb1EEEZNS1_14transform_implILb1ES3_S5_PsS7_NS0_8identityIsEEEE10hipError_tT2_T3_mT4_P12ihipStream_tbEUlT_E_NS1_11comp_targetILNS1_3genE8ELNS1_11target_archE1030ELNS1_3gpuE2ELNS1_3repE0EEENS1_30default_config_static_selectorELNS0_4arch9wavefront6targetE0EEEvT1_,"axG",@progbits,_ZN7rocprim17ROCPRIM_400000_NS6detail17trampoline_kernelINS0_14default_configENS1_25transform_config_selectorIsLb1EEEZNS1_14transform_implILb1ES3_S5_PsS7_NS0_8identityIsEEEE10hipError_tT2_T3_mT4_P12ihipStream_tbEUlT_E_NS1_11comp_targetILNS1_3genE8ELNS1_11target_archE1030ELNS1_3gpuE2ELNS1_3repE0EEENS1_30default_config_static_selectorELNS0_4arch9wavefront6targetE0EEEvT1_,comdat
.Lfunc_end551:
	.size	_ZN7rocprim17ROCPRIM_400000_NS6detail17trampoline_kernelINS0_14default_configENS1_25transform_config_selectorIsLb1EEEZNS1_14transform_implILb1ES3_S5_PsS7_NS0_8identityIsEEEE10hipError_tT2_T3_mT4_P12ihipStream_tbEUlT_E_NS1_11comp_targetILNS1_3genE8ELNS1_11target_archE1030ELNS1_3gpuE2ELNS1_3repE0EEENS1_30default_config_static_selectorELNS0_4arch9wavefront6targetE0EEEvT1_, .Lfunc_end551-_ZN7rocprim17ROCPRIM_400000_NS6detail17trampoline_kernelINS0_14default_configENS1_25transform_config_selectorIsLb1EEEZNS1_14transform_implILb1ES3_S5_PsS7_NS0_8identityIsEEEE10hipError_tT2_T3_mT4_P12ihipStream_tbEUlT_E_NS1_11comp_targetILNS1_3genE8ELNS1_11target_archE1030ELNS1_3gpuE2ELNS1_3repE0EEENS1_30default_config_static_selectorELNS0_4arch9wavefront6targetE0EEEvT1_
                                        ; -- End function
	.set _ZN7rocprim17ROCPRIM_400000_NS6detail17trampoline_kernelINS0_14default_configENS1_25transform_config_selectorIsLb1EEEZNS1_14transform_implILb1ES3_S5_PsS7_NS0_8identityIsEEEE10hipError_tT2_T3_mT4_P12ihipStream_tbEUlT_E_NS1_11comp_targetILNS1_3genE8ELNS1_11target_archE1030ELNS1_3gpuE2ELNS1_3repE0EEENS1_30default_config_static_selectorELNS0_4arch9wavefront6targetE0EEEvT1_.num_vgpr, 0
	.set _ZN7rocprim17ROCPRIM_400000_NS6detail17trampoline_kernelINS0_14default_configENS1_25transform_config_selectorIsLb1EEEZNS1_14transform_implILb1ES3_S5_PsS7_NS0_8identityIsEEEE10hipError_tT2_T3_mT4_P12ihipStream_tbEUlT_E_NS1_11comp_targetILNS1_3genE8ELNS1_11target_archE1030ELNS1_3gpuE2ELNS1_3repE0EEENS1_30default_config_static_selectorELNS0_4arch9wavefront6targetE0EEEvT1_.num_agpr, 0
	.set _ZN7rocprim17ROCPRIM_400000_NS6detail17trampoline_kernelINS0_14default_configENS1_25transform_config_selectorIsLb1EEEZNS1_14transform_implILb1ES3_S5_PsS7_NS0_8identityIsEEEE10hipError_tT2_T3_mT4_P12ihipStream_tbEUlT_E_NS1_11comp_targetILNS1_3genE8ELNS1_11target_archE1030ELNS1_3gpuE2ELNS1_3repE0EEENS1_30default_config_static_selectorELNS0_4arch9wavefront6targetE0EEEvT1_.numbered_sgpr, 0
	.set _ZN7rocprim17ROCPRIM_400000_NS6detail17trampoline_kernelINS0_14default_configENS1_25transform_config_selectorIsLb1EEEZNS1_14transform_implILb1ES3_S5_PsS7_NS0_8identityIsEEEE10hipError_tT2_T3_mT4_P12ihipStream_tbEUlT_E_NS1_11comp_targetILNS1_3genE8ELNS1_11target_archE1030ELNS1_3gpuE2ELNS1_3repE0EEENS1_30default_config_static_selectorELNS0_4arch9wavefront6targetE0EEEvT1_.num_named_barrier, 0
	.set _ZN7rocprim17ROCPRIM_400000_NS6detail17trampoline_kernelINS0_14default_configENS1_25transform_config_selectorIsLb1EEEZNS1_14transform_implILb1ES3_S5_PsS7_NS0_8identityIsEEEE10hipError_tT2_T3_mT4_P12ihipStream_tbEUlT_E_NS1_11comp_targetILNS1_3genE8ELNS1_11target_archE1030ELNS1_3gpuE2ELNS1_3repE0EEENS1_30default_config_static_selectorELNS0_4arch9wavefront6targetE0EEEvT1_.private_seg_size, 0
	.set _ZN7rocprim17ROCPRIM_400000_NS6detail17trampoline_kernelINS0_14default_configENS1_25transform_config_selectorIsLb1EEEZNS1_14transform_implILb1ES3_S5_PsS7_NS0_8identityIsEEEE10hipError_tT2_T3_mT4_P12ihipStream_tbEUlT_E_NS1_11comp_targetILNS1_3genE8ELNS1_11target_archE1030ELNS1_3gpuE2ELNS1_3repE0EEENS1_30default_config_static_selectorELNS0_4arch9wavefront6targetE0EEEvT1_.uses_vcc, 0
	.set _ZN7rocprim17ROCPRIM_400000_NS6detail17trampoline_kernelINS0_14default_configENS1_25transform_config_selectorIsLb1EEEZNS1_14transform_implILb1ES3_S5_PsS7_NS0_8identityIsEEEE10hipError_tT2_T3_mT4_P12ihipStream_tbEUlT_E_NS1_11comp_targetILNS1_3genE8ELNS1_11target_archE1030ELNS1_3gpuE2ELNS1_3repE0EEENS1_30default_config_static_selectorELNS0_4arch9wavefront6targetE0EEEvT1_.uses_flat_scratch, 0
	.set _ZN7rocprim17ROCPRIM_400000_NS6detail17trampoline_kernelINS0_14default_configENS1_25transform_config_selectorIsLb1EEEZNS1_14transform_implILb1ES3_S5_PsS7_NS0_8identityIsEEEE10hipError_tT2_T3_mT4_P12ihipStream_tbEUlT_E_NS1_11comp_targetILNS1_3genE8ELNS1_11target_archE1030ELNS1_3gpuE2ELNS1_3repE0EEENS1_30default_config_static_selectorELNS0_4arch9wavefront6targetE0EEEvT1_.has_dyn_sized_stack, 0
	.set _ZN7rocprim17ROCPRIM_400000_NS6detail17trampoline_kernelINS0_14default_configENS1_25transform_config_selectorIsLb1EEEZNS1_14transform_implILb1ES3_S5_PsS7_NS0_8identityIsEEEE10hipError_tT2_T3_mT4_P12ihipStream_tbEUlT_E_NS1_11comp_targetILNS1_3genE8ELNS1_11target_archE1030ELNS1_3gpuE2ELNS1_3repE0EEENS1_30default_config_static_selectorELNS0_4arch9wavefront6targetE0EEEvT1_.has_recursion, 0
	.set _ZN7rocprim17ROCPRIM_400000_NS6detail17trampoline_kernelINS0_14default_configENS1_25transform_config_selectorIsLb1EEEZNS1_14transform_implILb1ES3_S5_PsS7_NS0_8identityIsEEEE10hipError_tT2_T3_mT4_P12ihipStream_tbEUlT_E_NS1_11comp_targetILNS1_3genE8ELNS1_11target_archE1030ELNS1_3gpuE2ELNS1_3repE0EEENS1_30default_config_static_selectorELNS0_4arch9wavefront6targetE0EEEvT1_.has_indirect_call, 0
	.section	.AMDGPU.csdata,"",@progbits
; Kernel info:
; codeLenInByte = 0
; TotalNumSgprs: 0
; NumVgprs: 0
; ScratchSize: 0
; MemoryBound: 0
; FloatMode: 240
; IeeeMode: 1
; LDSByteSize: 0 bytes/workgroup (compile time only)
; SGPRBlocks: 0
; VGPRBlocks: 0
; NumSGPRsForWavesPerEU: 1
; NumVGPRsForWavesPerEU: 1
; NamedBarCnt: 0
; Occupancy: 16
; WaveLimiterHint : 0
; COMPUTE_PGM_RSRC2:SCRATCH_EN: 0
; COMPUTE_PGM_RSRC2:USER_SGPR: 2
; COMPUTE_PGM_RSRC2:TRAP_HANDLER: 0
; COMPUTE_PGM_RSRC2:TGID_X_EN: 1
; COMPUTE_PGM_RSRC2:TGID_Y_EN: 0
; COMPUTE_PGM_RSRC2:TGID_Z_EN: 0
; COMPUTE_PGM_RSRC2:TIDIG_COMP_CNT: 0
	.section	.text._ZN7rocprim17ROCPRIM_400000_NS6detail17trampoline_kernelINS0_14default_configENS1_38merge_sort_block_merge_config_selectorIsNS0_10empty_typeEEEZZNS1_27merge_sort_block_merge_implIS3_PsPS5_jNS1_19radix_merge_compareILb1ELb1EsNS0_19identity_decomposerEEEEE10hipError_tT0_T1_T2_jT3_P12ihipStream_tbPNSt15iterator_traitsISE_E10value_typeEPNSK_ISF_E10value_typeEPSG_NS1_7vsmem_tEENKUlT_SE_SF_SG_E_clIS8_S8_S9_S9_EESD_ST_SE_SF_SG_EUlST_E_NS1_11comp_targetILNS1_3genE0ELNS1_11target_archE4294967295ELNS1_3gpuE0ELNS1_3repE0EEENS1_48merge_mergepath_partition_config_static_selectorELNS0_4arch9wavefront6targetE0EEEvSF_,"axG",@progbits,_ZN7rocprim17ROCPRIM_400000_NS6detail17trampoline_kernelINS0_14default_configENS1_38merge_sort_block_merge_config_selectorIsNS0_10empty_typeEEEZZNS1_27merge_sort_block_merge_implIS3_PsPS5_jNS1_19radix_merge_compareILb1ELb1EsNS0_19identity_decomposerEEEEE10hipError_tT0_T1_T2_jT3_P12ihipStream_tbPNSt15iterator_traitsISE_E10value_typeEPNSK_ISF_E10value_typeEPSG_NS1_7vsmem_tEENKUlT_SE_SF_SG_E_clIS8_S8_S9_S9_EESD_ST_SE_SF_SG_EUlST_E_NS1_11comp_targetILNS1_3genE0ELNS1_11target_archE4294967295ELNS1_3gpuE0ELNS1_3repE0EEENS1_48merge_mergepath_partition_config_static_selectorELNS0_4arch9wavefront6targetE0EEEvSF_,comdat
	.protected	_ZN7rocprim17ROCPRIM_400000_NS6detail17trampoline_kernelINS0_14default_configENS1_38merge_sort_block_merge_config_selectorIsNS0_10empty_typeEEEZZNS1_27merge_sort_block_merge_implIS3_PsPS5_jNS1_19radix_merge_compareILb1ELb1EsNS0_19identity_decomposerEEEEE10hipError_tT0_T1_T2_jT3_P12ihipStream_tbPNSt15iterator_traitsISE_E10value_typeEPNSK_ISF_E10value_typeEPSG_NS1_7vsmem_tEENKUlT_SE_SF_SG_E_clIS8_S8_S9_S9_EESD_ST_SE_SF_SG_EUlST_E_NS1_11comp_targetILNS1_3genE0ELNS1_11target_archE4294967295ELNS1_3gpuE0ELNS1_3repE0EEENS1_48merge_mergepath_partition_config_static_selectorELNS0_4arch9wavefront6targetE0EEEvSF_ ; -- Begin function _ZN7rocprim17ROCPRIM_400000_NS6detail17trampoline_kernelINS0_14default_configENS1_38merge_sort_block_merge_config_selectorIsNS0_10empty_typeEEEZZNS1_27merge_sort_block_merge_implIS3_PsPS5_jNS1_19radix_merge_compareILb1ELb1EsNS0_19identity_decomposerEEEEE10hipError_tT0_T1_T2_jT3_P12ihipStream_tbPNSt15iterator_traitsISE_E10value_typeEPNSK_ISF_E10value_typeEPSG_NS1_7vsmem_tEENKUlT_SE_SF_SG_E_clIS8_S8_S9_S9_EESD_ST_SE_SF_SG_EUlST_E_NS1_11comp_targetILNS1_3genE0ELNS1_11target_archE4294967295ELNS1_3gpuE0ELNS1_3repE0EEENS1_48merge_mergepath_partition_config_static_selectorELNS0_4arch9wavefront6targetE0EEEvSF_
	.globl	_ZN7rocprim17ROCPRIM_400000_NS6detail17trampoline_kernelINS0_14default_configENS1_38merge_sort_block_merge_config_selectorIsNS0_10empty_typeEEEZZNS1_27merge_sort_block_merge_implIS3_PsPS5_jNS1_19radix_merge_compareILb1ELb1EsNS0_19identity_decomposerEEEEE10hipError_tT0_T1_T2_jT3_P12ihipStream_tbPNSt15iterator_traitsISE_E10value_typeEPNSK_ISF_E10value_typeEPSG_NS1_7vsmem_tEENKUlT_SE_SF_SG_E_clIS8_S8_S9_S9_EESD_ST_SE_SF_SG_EUlST_E_NS1_11comp_targetILNS1_3genE0ELNS1_11target_archE4294967295ELNS1_3gpuE0ELNS1_3repE0EEENS1_48merge_mergepath_partition_config_static_selectorELNS0_4arch9wavefront6targetE0EEEvSF_
	.p2align	8
	.type	_ZN7rocprim17ROCPRIM_400000_NS6detail17trampoline_kernelINS0_14default_configENS1_38merge_sort_block_merge_config_selectorIsNS0_10empty_typeEEEZZNS1_27merge_sort_block_merge_implIS3_PsPS5_jNS1_19radix_merge_compareILb1ELb1EsNS0_19identity_decomposerEEEEE10hipError_tT0_T1_T2_jT3_P12ihipStream_tbPNSt15iterator_traitsISE_E10value_typeEPNSK_ISF_E10value_typeEPSG_NS1_7vsmem_tEENKUlT_SE_SF_SG_E_clIS8_S8_S9_S9_EESD_ST_SE_SF_SG_EUlST_E_NS1_11comp_targetILNS1_3genE0ELNS1_11target_archE4294967295ELNS1_3gpuE0ELNS1_3repE0EEENS1_48merge_mergepath_partition_config_static_selectorELNS0_4arch9wavefront6targetE0EEEvSF_,@function
_ZN7rocprim17ROCPRIM_400000_NS6detail17trampoline_kernelINS0_14default_configENS1_38merge_sort_block_merge_config_selectorIsNS0_10empty_typeEEEZZNS1_27merge_sort_block_merge_implIS3_PsPS5_jNS1_19radix_merge_compareILb1ELb1EsNS0_19identity_decomposerEEEEE10hipError_tT0_T1_T2_jT3_P12ihipStream_tbPNSt15iterator_traitsISE_E10value_typeEPNSK_ISF_E10value_typeEPSG_NS1_7vsmem_tEENKUlT_SE_SF_SG_E_clIS8_S8_S9_S9_EESD_ST_SE_SF_SG_EUlST_E_NS1_11comp_targetILNS1_3genE0ELNS1_11target_archE4294967295ELNS1_3gpuE0ELNS1_3repE0EEENS1_48merge_mergepath_partition_config_static_selectorELNS0_4arch9wavefront6targetE0EEEvSF_: ; @_ZN7rocprim17ROCPRIM_400000_NS6detail17trampoline_kernelINS0_14default_configENS1_38merge_sort_block_merge_config_selectorIsNS0_10empty_typeEEEZZNS1_27merge_sort_block_merge_implIS3_PsPS5_jNS1_19radix_merge_compareILb1ELb1EsNS0_19identity_decomposerEEEEE10hipError_tT0_T1_T2_jT3_P12ihipStream_tbPNSt15iterator_traitsISE_E10value_typeEPNSK_ISF_E10value_typeEPSG_NS1_7vsmem_tEENKUlT_SE_SF_SG_E_clIS8_S8_S9_S9_EESD_ST_SE_SF_SG_EUlST_E_NS1_11comp_targetILNS1_3genE0ELNS1_11target_archE4294967295ELNS1_3gpuE0ELNS1_3repE0EEENS1_48merge_mergepath_partition_config_static_selectorELNS0_4arch9wavefront6targetE0EEEvSF_
; %bb.0:
	s_load_b32 s2, s[0:1], 0x0
	s_bfe_u32 s3, ttmp6, 0x4000c
	s_and_b32 s4, ttmp6, 15
	s_add_co_i32 s3, s3, 1
	s_getreg_b32 s5, hwreg(HW_REG_IB_STS2, 6, 4)
	s_mul_i32 s3, ttmp9, s3
	s_delay_alu instid0(SALU_CYCLE_1) | instskip(SKIP_2) | instid1(SALU_CYCLE_1)
	s_add_co_i32 s4, s4, s3
	s_cmp_eq_u32 s5, 0
	s_cselect_b32 s3, ttmp9, s4
	v_lshl_or_b32 v8, s3, 7, v0
	s_wait_kmcnt 0x0
	s_delay_alu instid0(VALU_DEP_1)
	v_cmp_gt_u32_e32 vcc_lo, s2, v8
	s_and_saveexec_b32 s2, vcc_lo
	s_cbranch_execz .LBB552_6
; %bb.1:
	s_load_b64 s[2:3], s[0:1], 0x4
	s_mov_b32 s7, exec_lo
	s_wait_kmcnt 0x0
	s_lshr_b32 s4, s2, 9
	s_delay_alu instid0(SALU_CYCLE_1) | instskip(NEXT) | instid1(SALU_CYCLE_1)
	s_and_b32 s4, s4, 0x7ffffe
	s_sub_co_i32 s5, 0, s4
	s_add_co_i32 s4, s4, -1
	s_delay_alu instid0(SALU_CYCLE_1) | instskip(NEXT) | instid1(VALU_DEP_1)
	v_and_b32_e32 v1, s4, v8
	v_dual_lshlrev_b32 v1, 10, v1 :: v_dual_bitop2_b32 v0, s5, v8 bitop3:0x40
	s_delay_alu instid0(VALU_DEP_1) | instskip(NEXT) | instid1(VALU_DEP_1)
	v_lshlrev_b32_e32 v0, 10, v0
	v_add_min_u32_e64 v2, v0, s2, s3
	v_min_u32_e32 v0, s3, v0
	s_delay_alu instid0(VALU_DEP_2) | instskip(SKIP_1) | instid1(VALU_DEP_1)
	v_add_min_u32_e64 v3, v2, s2, s3
	s_load_b64 s[2:3], s[0:1], 0x20
	v_dual_sub_nc_u32 v4, v3, v0 :: v_dual_sub_nc_u32 v3, v3, v2
	s_delay_alu instid0(VALU_DEP_1) | instskip(SKIP_1) | instid1(VALU_DEP_2)
	v_min_u32_e32 v10, v4, v1
	v_sub_nc_u32_e32 v1, v2, v0
	v_sub_nc_u32_e64 v9, v10, v3 clamp
	s_delay_alu instid0(VALU_DEP_2) | instskip(NEXT) | instid1(VALU_DEP_1)
	v_min_u32_e32 v11, v10, v1
	v_cmpx_lt_u32_e64 v9, v11
	s_cbranch_execz .LBB552_5
; %bb.2:
	s_load_b96 s[4:6], s[0:1], 0x10
	v_mov_b32_e32 v3, 0
	s_wait_xcnt 0x0
	s_mov_b32 s0, 0
	s_delay_alu instid0(VALU_DEP_1) | instskip(SKIP_1) | instid1(VALU_DEP_1)
	v_mov_b32_e32 v1, v3
	s_wait_kmcnt 0x0
	v_lshl_add_u64 v[4:5], v[0:1], 1, s[4:5]
	v_lshl_add_u64 v[6:7], v[2:3], 1, s[4:5]
.LBB552_3:                              ; =>This Inner Loop Header: Depth=1
	v_add_nc_u32_e32 v1, v11, v9
	s_delay_alu instid0(VALU_DEP_1) | instskip(SKIP_1) | instid1(VALU_DEP_2)
	v_dual_mov_b32 v13, v3 :: v_dual_lshrrev_b32 v16, 1, v1
	v_and_b32_e32 v2, -2, v1
	v_xad_u32 v12, v16, -1, v10
	s_delay_alu instid0(VALU_DEP_2) | instskip(NEXT) | instid1(VALU_DEP_2)
	v_add_nc_u64_e32 v[14:15], v[4:5], v[2:3]
	v_lshl_add_u64 v[12:13], v[12:13], 1, v[6:7]
	s_clause 0x1
	global_load_u16 v1, v[14:15], off
	global_load_u16 v2, v[12:13], off
	s_wait_loadcnt 0x1
	v_and_b32_e32 v1, s6, v1
	s_wait_loadcnt 0x0
	v_and_b32_e32 v2, s6, v2
	s_delay_alu instid0(VALU_DEP_1) | instskip(SKIP_1) | instid1(VALU_DEP_1)
	v_cmp_gt_i16_e32 vcc_lo, v2, v1
	v_dual_cndmask_b32 v11, v11, v16 :: v_dual_add_nc_u32 v12, 1, v16
	v_cndmask_b32_e32 v9, v12, v9, vcc_lo
	s_delay_alu instid0(VALU_DEP_1) | instskip(SKIP_1) | instid1(SALU_CYCLE_1)
	v_cmp_ge_u32_e32 vcc_lo, v9, v11
	s_or_b32 s0, vcc_lo, s0
	s_and_not1_b32 exec_lo, exec_lo, s0
	s_cbranch_execnz .LBB552_3
; %bb.4:
	s_or_b32 exec_lo, exec_lo, s0
.LBB552_5:
	s_delay_alu instid0(SALU_CYCLE_1)
	s_or_b32 exec_lo, exec_lo, s7
	v_add_nc_u32_e32 v0, v9, v0
	s_wait_kmcnt 0x0
	global_store_b32 v8, v0, s[2:3] scale_offset
.LBB552_6:
	s_endpgm
	.section	.rodata,"a",@progbits
	.p2align	6, 0x0
	.amdhsa_kernel _ZN7rocprim17ROCPRIM_400000_NS6detail17trampoline_kernelINS0_14default_configENS1_38merge_sort_block_merge_config_selectorIsNS0_10empty_typeEEEZZNS1_27merge_sort_block_merge_implIS3_PsPS5_jNS1_19radix_merge_compareILb1ELb1EsNS0_19identity_decomposerEEEEE10hipError_tT0_T1_T2_jT3_P12ihipStream_tbPNSt15iterator_traitsISE_E10value_typeEPNSK_ISF_E10value_typeEPSG_NS1_7vsmem_tEENKUlT_SE_SF_SG_E_clIS8_S8_S9_S9_EESD_ST_SE_SF_SG_EUlST_E_NS1_11comp_targetILNS1_3genE0ELNS1_11target_archE4294967295ELNS1_3gpuE0ELNS1_3repE0EEENS1_48merge_mergepath_partition_config_static_selectorELNS0_4arch9wavefront6targetE0EEEvSF_
		.amdhsa_group_segment_fixed_size 0
		.amdhsa_private_segment_fixed_size 0
		.amdhsa_kernarg_size 40
		.amdhsa_user_sgpr_count 2
		.amdhsa_user_sgpr_dispatch_ptr 0
		.amdhsa_user_sgpr_queue_ptr 0
		.amdhsa_user_sgpr_kernarg_segment_ptr 1
		.amdhsa_user_sgpr_dispatch_id 0
		.amdhsa_user_sgpr_kernarg_preload_length 0
		.amdhsa_user_sgpr_kernarg_preload_offset 0
		.amdhsa_user_sgpr_private_segment_size 0
		.amdhsa_wavefront_size32 1
		.amdhsa_uses_dynamic_stack 0
		.amdhsa_enable_private_segment 0
		.amdhsa_system_sgpr_workgroup_id_x 1
		.amdhsa_system_sgpr_workgroup_id_y 0
		.amdhsa_system_sgpr_workgroup_id_z 0
		.amdhsa_system_sgpr_workgroup_info 0
		.amdhsa_system_vgpr_workitem_id 0
		.amdhsa_next_free_vgpr 17
		.amdhsa_next_free_sgpr 8
		.amdhsa_named_barrier_count 0
		.amdhsa_reserve_vcc 1
		.amdhsa_float_round_mode_32 0
		.amdhsa_float_round_mode_16_64 0
		.amdhsa_float_denorm_mode_32 3
		.amdhsa_float_denorm_mode_16_64 3
		.amdhsa_fp16_overflow 0
		.amdhsa_memory_ordered 1
		.amdhsa_forward_progress 1
		.amdhsa_inst_pref_size 4
		.amdhsa_round_robin_scheduling 0
		.amdhsa_exception_fp_ieee_invalid_op 0
		.amdhsa_exception_fp_denorm_src 0
		.amdhsa_exception_fp_ieee_div_zero 0
		.amdhsa_exception_fp_ieee_overflow 0
		.amdhsa_exception_fp_ieee_underflow 0
		.amdhsa_exception_fp_ieee_inexact 0
		.amdhsa_exception_int_div_zero 0
	.end_amdhsa_kernel
	.section	.text._ZN7rocprim17ROCPRIM_400000_NS6detail17trampoline_kernelINS0_14default_configENS1_38merge_sort_block_merge_config_selectorIsNS0_10empty_typeEEEZZNS1_27merge_sort_block_merge_implIS3_PsPS5_jNS1_19radix_merge_compareILb1ELb1EsNS0_19identity_decomposerEEEEE10hipError_tT0_T1_T2_jT3_P12ihipStream_tbPNSt15iterator_traitsISE_E10value_typeEPNSK_ISF_E10value_typeEPSG_NS1_7vsmem_tEENKUlT_SE_SF_SG_E_clIS8_S8_S9_S9_EESD_ST_SE_SF_SG_EUlST_E_NS1_11comp_targetILNS1_3genE0ELNS1_11target_archE4294967295ELNS1_3gpuE0ELNS1_3repE0EEENS1_48merge_mergepath_partition_config_static_selectorELNS0_4arch9wavefront6targetE0EEEvSF_,"axG",@progbits,_ZN7rocprim17ROCPRIM_400000_NS6detail17trampoline_kernelINS0_14default_configENS1_38merge_sort_block_merge_config_selectorIsNS0_10empty_typeEEEZZNS1_27merge_sort_block_merge_implIS3_PsPS5_jNS1_19radix_merge_compareILb1ELb1EsNS0_19identity_decomposerEEEEE10hipError_tT0_T1_T2_jT3_P12ihipStream_tbPNSt15iterator_traitsISE_E10value_typeEPNSK_ISF_E10value_typeEPSG_NS1_7vsmem_tEENKUlT_SE_SF_SG_E_clIS8_S8_S9_S9_EESD_ST_SE_SF_SG_EUlST_E_NS1_11comp_targetILNS1_3genE0ELNS1_11target_archE4294967295ELNS1_3gpuE0ELNS1_3repE0EEENS1_48merge_mergepath_partition_config_static_selectorELNS0_4arch9wavefront6targetE0EEEvSF_,comdat
.Lfunc_end552:
	.size	_ZN7rocprim17ROCPRIM_400000_NS6detail17trampoline_kernelINS0_14default_configENS1_38merge_sort_block_merge_config_selectorIsNS0_10empty_typeEEEZZNS1_27merge_sort_block_merge_implIS3_PsPS5_jNS1_19radix_merge_compareILb1ELb1EsNS0_19identity_decomposerEEEEE10hipError_tT0_T1_T2_jT3_P12ihipStream_tbPNSt15iterator_traitsISE_E10value_typeEPNSK_ISF_E10value_typeEPSG_NS1_7vsmem_tEENKUlT_SE_SF_SG_E_clIS8_S8_S9_S9_EESD_ST_SE_SF_SG_EUlST_E_NS1_11comp_targetILNS1_3genE0ELNS1_11target_archE4294967295ELNS1_3gpuE0ELNS1_3repE0EEENS1_48merge_mergepath_partition_config_static_selectorELNS0_4arch9wavefront6targetE0EEEvSF_, .Lfunc_end552-_ZN7rocprim17ROCPRIM_400000_NS6detail17trampoline_kernelINS0_14default_configENS1_38merge_sort_block_merge_config_selectorIsNS0_10empty_typeEEEZZNS1_27merge_sort_block_merge_implIS3_PsPS5_jNS1_19radix_merge_compareILb1ELb1EsNS0_19identity_decomposerEEEEE10hipError_tT0_T1_T2_jT3_P12ihipStream_tbPNSt15iterator_traitsISE_E10value_typeEPNSK_ISF_E10value_typeEPSG_NS1_7vsmem_tEENKUlT_SE_SF_SG_E_clIS8_S8_S9_S9_EESD_ST_SE_SF_SG_EUlST_E_NS1_11comp_targetILNS1_3genE0ELNS1_11target_archE4294967295ELNS1_3gpuE0ELNS1_3repE0EEENS1_48merge_mergepath_partition_config_static_selectorELNS0_4arch9wavefront6targetE0EEEvSF_
                                        ; -- End function
	.set _ZN7rocprim17ROCPRIM_400000_NS6detail17trampoline_kernelINS0_14default_configENS1_38merge_sort_block_merge_config_selectorIsNS0_10empty_typeEEEZZNS1_27merge_sort_block_merge_implIS3_PsPS5_jNS1_19radix_merge_compareILb1ELb1EsNS0_19identity_decomposerEEEEE10hipError_tT0_T1_T2_jT3_P12ihipStream_tbPNSt15iterator_traitsISE_E10value_typeEPNSK_ISF_E10value_typeEPSG_NS1_7vsmem_tEENKUlT_SE_SF_SG_E_clIS8_S8_S9_S9_EESD_ST_SE_SF_SG_EUlST_E_NS1_11comp_targetILNS1_3genE0ELNS1_11target_archE4294967295ELNS1_3gpuE0ELNS1_3repE0EEENS1_48merge_mergepath_partition_config_static_selectorELNS0_4arch9wavefront6targetE0EEEvSF_.num_vgpr, 17
	.set _ZN7rocprim17ROCPRIM_400000_NS6detail17trampoline_kernelINS0_14default_configENS1_38merge_sort_block_merge_config_selectorIsNS0_10empty_typeEEEZZNS1_27merge_sort_block_merge_implIS3_PsPS5_jNS1_19radix_merge_compareILb1ELb1EsNS0_19identity_decomposerEEEEE10hipError_tT0_T1_T2_jT3_P12ihipStream_tbPNSt15iterator_traitsISE_E10value_typeEPNSK_ISF_E10value_typeEPSG_NS1_7vsmem_tEENKUlT_SE_SF_SG_E_clIS8_S8_S9_S9_EESD_ST_SE_SF_SG_EUlST_E_NS1_11comp_targetILNS1_3genE0ELNS1_11target_archE4294967295ELNS1_3gpuE0ELNS1_3repE0EEENS1_48merge_mergepath_partition_config_static_selectorELNS0_4arch9wavefront6targetE0EEEvSF_.num_agpr, 0
	.set _ZN7rocprim17ROCPRIM_400000_NS6detail17trampoline_kernelINS0_14default_configENS1_38merge_sort_block_merge_config_selectorIsNS0_10empty_typeEEEZZNS1_27merge_sort_block_merge_implIS3_PsPS5_jNS1_19radix_merge_compareILb1ELb1EsNS0_19identity_decomposerEEEEE10hipError_tT0_T1_T2_jT3_P12ihipStream_tbPNSt15iterator_traitsISE_E10value_typeEPNSK_ISF_E10value_typeEPSG_NS1_7vsmem_tEENKUlT_SE_SF_SG_E_clIS8_S8_S9_S9_EESD_ST_SE_SF_SG_EUlST_E_NS1_11comp_targetILNS1_3genE0ELNS1_11target_archE4294967295ELNS1_3gpuE0ELNS1_3repE0EEENS1_48merge_mergepath_partition_config_static_selectorELNS0_4arch9wavefront6targetE0EEEvSF_.numbered_sgpr, 8
	.set _ZN7rocprim17ROCPRIM_400000_NS6detail17trampoline_kernelINS0_14default_configENS1_38merge_sort_block_merge_config_selectorIsNS0_10empty_typeEEEZZNS1_27merge_sort_block_merge_implIS3_PsPS5_jNS1_19radix_merge_compareILb1ELb1EsNS0_19identity_decomposerEEEEE10hipError_tT0_T1_T2_jT3_P12ihipStream_tbPNSt15iterator_traitsISE_E10value_typeEPNSK_ISF_E10value_typeEPSG_NS1_7vsmem_tEENKUlT_SE_SF_SG_E_clIS8_S8_S9_S9_EESD_ST_SE_SF_SG_EUlST_E_NS1_11comp_targetILNS1_3genE0ELNS1_11target_archE4294967295ELNS1_3gpuE0ELNS1_3repE0EEENS1_48merge_mergepath_partition_config_static_selectorELNS0_4arch9wavefront6targetE0EEEvSF_.num_named_barrier, 0
	.set _ZN7rocprim17ROCPRIM_400000_NS6detail17trampoline_kernelINS0_14default_configENS1_38merge_sort_block_merge_config_selectorIsNS0_10empty_typeEEEZZNS1_27merge_sort_block_merge_implIS3_PsPS5_jNS1_19radix_merge_compareILb1ELb1EsNS0_19identity_decomposerEEEEE10hipError_tT0_T1_T2_jT3_P12ihipStream_tbPNSt15iterator_traitsISE_E10value_typeEPNSK_ISF_E10value_typeEPSG_NS1_7vsmem_tEENKUlT_SE_SF_SG_E_clIS8_S8_S9_S9_EESD_ST_SE_SF_SG_EUlST_E_NS1_11comp_targetILNS1_3genE0ELNS1_11target_archE4294967295ELNS1_3gpuE0ELNS1_3repE0EEENS1_48merge_mergepath_partition_config_static_selectorELNS0_4arch9wavefront6targetE0EEEvSF_.private_seg_size, 0
	.set _ZN7rocprim17ROCPRIM_400000_NS6detail17trampoline_kernelINS0_14default_configENS1_38merge_sort_block_merge_config_selectorIsNS0_10empty_typeEEEZZNS1_27merge_sort_block_merge_implIS3_PsPS5_jNS1_19radix_merge_compareILb1ELb1EsNS0_19identity_decomposerEEEEE10hipError_tT0_T1_T2_jT3_P12ihipStream_tbPNSt15iterator_traitsISE_E10value_typeEPNSK_ISF_E10value_typeEPSG_NS1_7vsmem_tEENKUlT_SE_SF_SG_E_clIS8_S8_S9_S9_EESD_ST_SE_SF_SG_EUlST_E_NS1_11comp_targetILNS1_3genE0ELNS1_11target_archE4294967295ELNS1_3gpuE0ELNS1_3repE0EEENS1_48merge_mergepath_partition_config_static_selectorELNS0_4arch9wavefront6targetE0EEEvSF_.uses_vcc, 1
	.set _ZN7rocprim17ROCPRIM_400000_NS6detail17trampoline_kernelINS0_14default_configENS1_38merge_sort_block_merge_config_selectorIsNS0_10empty_typeEEEZZNS1_27merge_sort_block_merge_implIS3_PsPS5_jNS1_19radix_merge_compareILb1ELb1EsNS0_19identity_decomposerEEEEE10hipError_tT0_T1_T2_jT3_P12ihipStream_tbPNSt15iterator_traitsISE_E10value_typeEPNSK_ISF_E10value_typeEPSG_NS1_7vsmem_tEENKUlT_SE_SF_SG_E_clIS8_S8_S9_S9_EESD_ST_SE_SF_SG_EUlST_E_NS1_11comp_targetILNS1_3genE0ELNS1_11target_archE4294967295ELNS1_3gpuE0ELNS1_3repE0EEENS1_48merge_mergepath_partition_config_static_selectorELNS0_4arch9wavefront6targetE0EEEvSF_.uses_flat_scratch, 0
	.set _ZN7rocprim17ROCPRIM_400000_NS6detail17trampoline_kernelINS0_14default_configENS1_38merge_sort_block_merge_config_selectorIsNS0_10empty_typeEEEZZNS1_27merge_sort_block_merge_implIS3_PsPS5_jNS1_19radix_merge_compareILb1ELb1EsNS0_19identity_decomposerEEEEE10hipError_tT0_T1_T2_jT3_P12ihipStream_tbPNSt15iterator_traitsISE_E10value_typeEPNSK_ISF_E10value_typeEPSG_NS1_7vsmem_tEENKUlT_SE_SF_SG_E_clIS8_S8_S9_S9_EESD_ST_SE_SF_SG_EUlST_E_NS1_11comp_targetILNS1_3genE0ELNS1_11target_archE4294967295ELNS1_3gpuE0ELNS1_3repE0EEENS1_48merge_mergepath_partition_config_static_selectorELNS0_4arch9wavefront6targetE0EEEvSF_.has_dyn_sized_stack, 0
	.set _ZN7rocprim17ROCPRIM_400000_NS6detail17trampoline_kernelINS0_14default_configENS1_38merge_sort_block_merge_config_selectorIsNS0_10empty_typeEEEZZNS1_27merge_sort_block_merge_implIS3_PsPS5_jNS1_19radix_merge_compareILb1ELb1EsNS0_19identity_decomposerEEEEE10hipError_tT0_T1_T2_jT3_P12ihipStream_tbPNSt15iterator_traitsISE_E10value_typeEPNSK_ISF_E10value_typeEPSG_NS1_7vsmem_tEENKUlT_SE_SF_SG_E_clIS8_S8_S9_S9_EESD_ST_SE_SF_SG_EUlST_E_NS1_11comp_targetILNS1_3genE0ELNS1_11target_archE4294967295ELNS1_3gpuE0ELNS1_3repE0EEENS1_48merge_mergepath_partition_config_static_selectorELNS0_4arch9wavefront6targetE0EEEvSF_.has_recursion, 0
	.set _ZN7rocprim17ROCPRIM_400000_NS6detail17trampoline_kernelINS0_14default_configENS1_38merge_sort_block_merge_config_selectorIsNS0_10empty_typeEEEZZNS1_27merge_sort_block_merge_implIS3_PsPS5_jNS1_19radix_merge_compareILb1ELb1EsNS0_19identity_decomposerEEEEE10hipError_tT0_T1_T2_jT3_P12ihipStream_tbPNSt15iterator_traitsISE_E10value_typeEPNSK_ISF_E10value_typeEPSG_NS1_7vsmem_tEENKUlT_SE_SF_SG_E_clIS8_S8_S9_S9_EESD_ST_SE_SF_SG_EUlST_E_NS1_11comp_targetILNS1_3genE0ELNS1_11target_archE4294967295ELNS1_3gpuE0ELNS1_3repE0EEENS1_48merge_mergepath_partition_config_static_selectorELNS0_4arch9wavefront6targetE0EEEvSF_.has_indirect_call, 0
	.section	.AMDGPU.csdata,"",@progbits
; Kernel info:
; codeLenInByte = 440
; TotalNumSgprs: 10
; NumVgprs: 17
; ScratchSize: 0
; MemoryBound: 0
; FloatMode: 240
; IeeeMode: 1
; LDSByteSize: 0 bytes/workgroup (compile time only)
; SGPRBlocks: 0
; VGPRBlocks: 1
; NumSGPRsForWavesPerEU: 10
; NumVGPRsForWavesPerEU: 17
; NamedBarCnt: 0
; Occupancy: 16
; WaveLimiterHint : 0
; COMPUTE_PGM_RSRC2:SCRATCH_EN: 0
; COMPUTE_PGM_RSRC2:USER_SGPR: 2
; COMPUTE_PGM_RSRC2:TRAP_HANDLER: 0
; COMPUTE_PGM_RSRC2:TGID_X_EN: 1
; COMPUTE_PGM_RSRC2:TGID_Y_EN: 0
; COMPUTE_PGM_RSRC2:TGID_Z_EN: 0
; COMPUTE_PGM_RSRC2:TIDIG_COMP_CNT: 0
	.section	.text._ZN7rocprim17ROCPRIM_400000_NS6detail17trampoline_kernelINS0_14default_configENS1_38merge_sort_block_merge_config_selectorIsNS0_10empty_typeEEEZZNS1_27merge_sort_block_merge_implIS3_PsPS5_jNS1_19radix_merge_compareILb1ELb1EsNS0_19identity_decomposerEEEEE10hipError_tT0_T1_T2_jT3_P12ihipStream_tbPNSt15iterator_traitsISE_E10value_typeEPNSK_ISF_E10value_typeEPSG_NS1_7vsmem_tEENKUlT_SE_SF_SG_E_clIS8_S8_S9_S9_EESD_ST_SE_SF_SG_EUlST_E_NS1_11comp_targetILNS1_3genE10ELNS1_11target_archE1201ELNS1_3gpuE5ELNS1_3repE0EEENS1_48merge_mergepath_partition_config_static_selectorELNS0_4arch9wavefront6targetE0EEEvSF_,"axG",@progbits,_ZN7rocprim17ROCPRIM_400000_NS6detail17trampoline_kernelINS0_14default_configENS1_38merge_sort_block_merge_config_selectorIsNS0_10empty_typeEEEZZNS1_27merge_sort_block_merge_implIS3_PsPS5_jNS1_19radix_merge_compareILb1ELb1EsNS0_19identity_decomposerEEEEE10hipError_tT0_T1_T2_jT3_P12ihipStream_tbPNSt15iterator_traitsISE_E10value_typeEPNSK_ISF_E10value_typeEPSG_NS1_7vsmem_tEENKUlT_SE_SF_SG_E_clIS8_S8_S9_S9_EESD_ST_SE_SF_SG_EUlST_E_NS1_11comp_targetILNS1_3genE10ELNS1_11target_archE1201ELNS1_3gpuE5ELNS1_3repE0EEENS1_48merge_mergepath_partition_config_static_selectorELNS0_4arch9wavefront6targetE0EEEvSF_,comdat
	.protected	_ZN7rocprim17ROCPRIM_400000_NS6detail17trampoline_kernelINS0_14default_configENS1_38merge_sort_block_merge_config_selectorIsNS0_10empty_typeEEEZZNS1_27merge_sort_block_merge_implIS3_PsPS5_jNS1_19radix_merge_compareILb1ELb1EsNS0_19identity_decomposerEEEEE10hipError_tT0_T1_T2_jT3_P12ihipStream_tbPNSt15iterator_traitsISE_E10value_typeEPNSK_ISF_E10value_typeEPSG_NS1_7vsmem_tEENKUlT_SE_SF_SG_E_clIS8_S8_S9_S9_EESD_ST_SE_SF_SG_EUlST_E_NS1_11comp_targetILNS1_3genE10ELNS1_11target_archE1201ELNS1_3gpuE5ELNS1_3repE0EEENS1_48merge_mergepath_partition_config_static_selectorELNS0_4arch9wavefront6targetE0EEEvSF_ ; -- Begin function _ZN7rocprim17ROCPRIM_400000_NS6detail17trampoline_kernelINS0_14default_configENS1_38merge_sort_block_merge_config_selectorIsNS0_10empty_typeEEEZZNS1_27merge_sort_block_merge_implIS3_PsPS5_jNS1_19radix_merge_compareILb1ELb1EsNS0_19identity_decomposerEEEEE10hipError_tT0_T1_T2_jT3_P12ihipStream_tbPNSt15iterator_traitsISE_E10value_typeEPNSK_ISF_E10value_typeEPSG_NS1_7vsmem_tEENKUlT_SE_SF_SG_E_clIS8_S8_S9_S9_EESD_ST_SE_SF_SG_EUlST_E_NS1_11comp_targetILNS1_3genE10ELNS1_11target_archE1201ELNS1_3gpuE5ELNS1_3repE0EEENS1_48merge_mergepath_partition_config_static_selectorELNS0_4arch9wavefront6targetE0EEEvSF_
	.globl	_ZN7rocprim17ROCPRIM_400000_NS6detail17trampoline_kernelINS0_14default_configENS1_38merge_sort_block_merge_config_selectorIsNS0_10empty_typeEEEZZNS1_27merge_sort_block_merge_implIS3_PsPS5_jNS1_19radix_merge_compareILb1ELb1EsNS0_19identity_decomposerEEEEE10hipError_tT0_T1_T2_jT3_P12ihipStream_tbPNSt15iterator_traitsISE_E10value_typeEPNSK_ISF_E10value_typeEPSG_NS1_7vsmem_tEENKUlT_SE_SF_SG_E_clIS8_S8_S9_S9_EESD_ST_SE_SF_SG_EUlST_E_NS1_11comp_targetILNS1_3genE10ELNS1_11target_archE1201ELNS1_3gpuE5ELNS1_3repE0EEENS1_48merge_mergepath_partition_config_static_selectorELNS0_4arch9wavefront6targetE0EEEvSF_
	.p2align	8
	.type	_ZN7rocprim17ROCPRIM_400000_NS6detail17trampoline_kernelINS0_14default_configENS1_38merge_sort_block_merge_config_selectorIsNS0_10empty_typeEEEZZNS1_27merge_sort_block_merge_implIS3_PsPS5_jNS1_19radix_merge_compareILb1ELb1EsNS0_19identity_decomposerEEEEE10hipError_tT0_T1_T2_jT3_P12ihipStream_tbPNSt15iterator_traitsISE_E10value_typeEPNSK_ISF_E10value_typeEPSG_NS1_7vsmem_tEENKUlT_SE_SF_SG_E_clIS8_S8_S9_S9_EESD_ST_SE_SF_SG_EUlST_E_NS1_11comp_targetILNS1_3genE10ELNS1_11target_archE1201ELNS1_3gpuE5ELNS1_3repE0EEENS1_48merge_mergepath_partition_config_static_selectorELNS0_4arch9wavefront6targetE0EEEvSF_,@function
_ZN7rocprim17ROCPRIM_400000_NS6detail17trampoline_kernelINS0_14default_configENS1_38merge_sort_block_merge_config_selectorIsNS0_10empty_typeEEEZZNS1_27merge_sort_block_merge_implIS3_PsPS5_jNS1_19radix_merge_compareILb1ELb1EsNS0_19identity_decomposerEEEEE10hipError_tT0_T1_T2_jT3_P12ihipStream_tbPNSt15iterator_traitsISE_E10value_typeEPNSK_ISF_E10value_typeEPSG_NS1_7vsmem_tEENKUlT_SE_SF_SG_E_clIS8_S8_S9_S9_EESD_ST_SE_SF_SG_EUlST_E_NS1_11comp_targetILNS1_3genE10ELNS1_11target_archE1201ELNS1_3gpuE5ELNS1_3repE0EEENS1_48merge_mergepath_partition_config_static_selectorELNS0_4arch9wavefront6targetE0EEEvSF_: ; @_ZN7rocprim17ROCPRIM_400000_NS6detail17trampoline_kernelINS0_14default_configENS1_38merge_sort_block_merge_config_selectorIsNS0_10empty_typeEEEZZNS1_27merge_sort_block_merge_implIS3_PsPS5_jNS1_19radix_merge_compareILb1ELb1EsNS0_19identity_decomposerEEEEE10hipError_tT0_T1_T2_jT3_P12ihipStream_tbPNSt15iterator_traitsISE_E10value_typeEPNSK_ISF_E10value_typeEPSG_NS1_7vsmem_tEENKUlT_SE_SF_SG_E_clIS8_S8_S9_S9_EESD_ST_SE_SF_SG_EUlST_E_NS1_11comp_targetILNS1_3genE10ELNS1_11target_archE1201ELNS1_3gpuE5ELNS1_3repE0EEENS1_48merge_mergepath_partition_config_static_selectorELNS0_4arch9wavefront6targetE0EEEvSF_
; %bb.0:
	.section	.rodata,"a",@progbits
	.p2align	6, 0x0
	.amdhsa_kernel _ZN7rocprim17ROCPRIM_400000_NS6detail17trampoline_kernelINS0_14default_configENS1_38merge_sort_block_merge_config_selectorIsNS0_10empty_typeEEEZZNS1_27merge_sort_block_merge_implIS3_PsPS5_jNS1_19radix_merge_compareILb1ELb1EsNS0_19identity_decomposerEEEEE10hipError_tT0_T1_T2_jT3_P12ihipStream_tbPNSt15iterator_traitsISE_E10value_typeEPNSK_ISF_E10value_typeEPSG_NS1_7vsmem_tEENKUlT_SE_SF_SG_E_clIS8_S8_S9_S9_EESD_ST_SE_SF_SG_EUlST_E_NS1_11comp_targetILNS1_3genE10ELNS1_11target_archE1201ELNS1_3gpuE5ELNS1_3repE0EEENS1_48merge_mergepath_partition_config_static_selectorELNS0_4arch9wavefront6targetE0EEEvSF_
		.amdhsa_group_segment_fixed_size 0
		.amdhsa_private_segment_fixed_size 0
		.amdhsa_kernarg_size 40
		.amdhsa_user_sgpr_count 2
		.amdhsa_user_sgpr_dispatch_ptr 0
		.amdhsa_user_sgpr_queue_ptr 0
		.amdhsa_user_sgpr_kernarg_segment_ptr 1
		.amdhsa_user_sgpr_dispatch_id 0
		.amdhsa_user_sgpr_kernarg_preload_length 0
		.amdhsa_user_sgpr_kernarg_preload_offset 0
		.amdhsa_user_sgpr_private_segment_size 0
		.amdhsa_wavefront_size32 1
		.amdhsa_uses_dynamic_stack 0
		.amdhsa_enable_private_segment 0
		.amdhsa_system_sgpr_workgroup_id_x 1
		.amdhsa_system_sgpr_workgroup_id_y 0
		.amdhsa_system_sgpr_workgroup_id_z 0
		.amdhsa_system_sgpr_workgroup_info 0
		.amdhsa_system_vgpr_workitem_id 0
		.amdhsa_next_free_vgpr 1
		.amdhsa_next_free_sgpr 1
		.amdhsa_named_barrier_count 0
		.amdhsa_reserve_vcc 0
		.amdhsa_float_round_mode_32 0
		.amdhsa_float_round_mode_16_64 0
		.amdhsa_float_denorm_mode_32 3
		.amdhsa_float_denorm_mode_16_64 3
		.amdhsa_fp16_overflow 0
		.amdhsa_memory_ordered 1
		.amdhsa_forward_progress 1
		.amdhsa_inst_pref_size 0
		.amdhsa_round_robin_scheduling 0
		.amdhsa_exception_fp_ieee_invalid_op 0
		.amdhsa_exception_fp_denorm_src 0
		.amdhsa_exception_fp_ieee_div_zero 0
		.amdhsa_exception_fp_ieee_overflow 0
		.amdhsa_exception_fp_ieee_underflow 0
		.amdhsa_exception_fp_ieee_inexact 0
		.amdhsa_exception_int_div_zero 0
	.end_amdhsa_kernel
	.section	.text._ZN7rocprim17ROCPRIM_400000_NS6detail17trampoline_kernelINS0_14default_configENS1_38merge_sort_block_merge_config_selectorIsNS0_10empty_typeEEEZZNS1_27merge_sort_block_merge_implIS3_PsPS5_jNS1_19radix_merge_compareILb1ELb1EsNS0_19identity_decomposerEEEEE10hipError_tT0_T1_T2_jT3_P12ihipStream_tbPNSt15iterator_traitsISE_E10value_typeEPNSK_ISF_E10value_typeEPSG_NS1_7vsmem_tEENKUlT_SE_SF_SG_E_clIS8_S8_S9_S9_EESD_ST_SE_SF_SG_EUlST_E_NS1_11comp_targetILNS1_3genE10ELNS1_11target_archE1201ELNS1_3gpuE5ELNS1_3repE0EEENS1_48merge_mergepath_partition_config_static_selectorELNS0_4arch9wavefront6targetE0EEEvSF_,"axG",@progbits,_ZN7rocprim17ROCPRIM_400000_NS6detail17trampoline_kernelINS0_14default_configENS1_38merge_sort_block_merge_config_selectorIsNS0_10empty_typeEEEZZNS1_27merge_sort_block_merge_implIS3_PsPS5_jNS1_19radix_merge_compareILb1ELb1EsNS0_19identity_decomposerEEEEE10hipError_tT0_T1_T2_jT3_P12ihipStream_tbPNSt15iterator_traitsISE_E10value_typeEPNSK_ISF_E10value_typeEPSG_NS1_7vsmem_tEENKUlT_SE_SF_SG_E_clIS8_S8_S9_S9_EESD_ST_SE_SF_SG_EUlST_E_NS1_11comp_targetILNS1_3genE10ELNS1_11target_archE1201ELNS1_3gpuE5ELNS1_3repE0EEENS1_48merge_mergepath_partition_config_static_selectorELNS0_4arch9wavefront6targetE0EEEvSF_,comdat
.Lfunc_end553:
	.size	_ZN7rocprim17ROCPRIM_400000_NS6detail17trampoline_kernelINS0_14default_configENS1_38merge_sort_block_merge_config_selectorIsNS0_10empty_typeEEEZZNS1_27merge_sort_block_merge_implIS3_PsPS5_jNS1_19radix_merge_compareILb1ELb1EsNS0_19identity_decomposerEEEEE10hipError_tT0_T1_T2_jT3_P12ihipStream_tbPNSt15iterator_traitsISE_E10value_typeEPNSK_ISF_E10value_typeEPSG_NS1_7vsmem_tEENKUlT_SE_SF_SG_E_clIS8_S8_S9_S9_EESD_ST_SE_SF_SG_EUlST_E_NS1_11comp_targetILNS1_3genE10ELNS1_11target_archE1201ELNS1_3gpuE5ELNS1_3repE0EEENS1_48merge_mergepath_partition_config_static_selectorELNS0_4arch9wavefront6targetE0EEEvSF_, .Lfunc_end553-_ZN7rocprim17ROCPRIM_400000_NS6detail17trampoline_kernelINS0_14default_configENS1_38merge_sort_block_merge_config_selectorIsNS0_10empty_typeEEEZZNS1_27merge_sort_block_merge_implIS3_PsPS5_jNS1_19radix_merge_compareILb1ELb1EsNS0_19identity_decomposerEEEEE10hipError_tT0_T1_T2_jT3_P12ihipStream_tbPNSt15iterator_traitsISE_E10value_typeEPNSK_ISF_E10value_typeEPSG_NS1_7vsmem_tEENKUlT_SE_SF_SG_E_clIS8_S8_S9_S9_EESD_ST_SE_SF_SG_EUlST_E_NS1_11comp_targetILNS1_3genE10ELNS1_11target_archE1201ELNS1_3gpuE5ELNS1_3repE0EEENS1_48merge_mergepath_partition_config_static_selectorELNS0_4arch9wavefront6targetE0EEEvSF_
                                        ; -- End function
	.set _ZN7rocprim17ROCPRIM_400000_NS6detail17trampoline_kernelINS0_14default_configENS1_38merge_sort_block_merge_config_selectorIsNS0_10empty_typeEEEZZNS1_27merge_sort_block_merge_implIS3_PsPS5_jNS1_19radix_merge_compareILb1ELb1EsNS0_19identity_decomposerEEEEE10hipError_tT0_T1_T2_jT3_P12ihipStream_tbPNSt15iterator_traitsISE_E10value_typeEPNSK_ISF_E10value_typeEPSG_NS1_7vsmem_tEENKUlT_SE_SF_SG_E_clIS8_S8_S9_S9_EESD_ST_SE_SF_SG_EUlST_E_NS1_11comp_targetILNS1_3genE10ELNS1_11target_archE1201ELNS1_3gpuE5ELNS1_3repE0EEENS1_48merge_mergepath_partition_config_static_selectorELNS0_4arch9wavefront6targetE0EEEvSF_.num_vgpr, 0
	.set _ZN7rocprim17ROCPRIM_400000_NS6detail17trampoline_kernelINS0_14default_configENS1_38merge_sort_block_merge_config_selectorIsNS0_10empty_typeEEEZZNS1_27merge_sort_block_merge_implIS3_PsPS5_jNS1_19radix_merge_compareILb1ELb1EsNS0_19identity_decomposerEEEEE10hipError_tT0_T1_T2_jT3_P12ihipStream_tbPNSt15iterator_traitsISE_E10value_typeEPNSK_ISF_E10value_typeEPSG_NS1_7vsmem_tEENKUlT_SE_SF_SG_E_clIS8_S8_S9_S9_EESD_ST_SE_SF_SG_EUlST_E_NS1_11comp_targetILNS1_3genE10ELNS1_11target_archE1201ELNS1_3gpuE5ELNS1_3repE0EEENS1_48merge_mergepath_partition_config_static_selectorELNS0_4arch9wavefront6targetE0EEEvSF_.num_agpr, 0
	.set _ZN7rocprim17ROCPRIM_400000_NS6detail17trampoline_kernelINS0_14default_configENS1_38merge_sort_block_merge_config_selectorIsNS0_10empty_typeEEEZZNS1_27merge_sort_block_merge_implIS3_PsPS5_jNS1_19radix_merge_compareILb1ELb1EsNS0_19identity_decomposerEEEEE10hipError_tT0_T1_T2_jT3_P12ihipStream_tbPNSt15iterator_traitsISE_E10value_typeEPNSK_ISF_E10value_typeEPSG_NS1_7vsmem_tEENKUlT_SE_SF_SG_E_clIS8_S8_S9_S9_EESD_ST_SE_SF_SG_EUlST_E_NS1_11comp_targetILNS1_3genE10ELNS1_11target_archE1201ELNS1_3gpuE5ELNS1_3repE0EEENS1_48merge_mergepath_partition_config_static_selectorELNS0_4arch9wavefront6targetE0EEEvSF_.numbered_sgpr, 0
	.set _ZN7rocprim17ROCPRIM_400000_NS6detail17trampoline_kernelINS0_14default_configENS1_38merge_sort_block_merge_config_selectorIsNS0_10empty_typeEEEZZNS1_27merge_sort_block_merge_implIS3_PsPS5_jNS1_19radix_merge_compareILb1ELb1EsNS0_19identity_decomposerEEEEE10hipError_tT0_T1_T2_jT3_P12ihipStream_tbPNSt15iterator_traitsISE_E10value_typeEPNSK_ISF_E10value_typeEPSG_NS1_7vsmem_tEENKUlT_SE_SF_SG_E_clIS8_S8_S9_S9_EESD_ST_SE_SF_SG_EUlST_E_NS1_11comp_targetILNS1_3genE10ELNS1_11target_archE1201ELNS1_3gpuE5ELNS1_3repE0EEENS1_48merge_mergepath_partition_config_static_selectorELNS0_4arch9wavefront6targetE0EEEvSF_.num_named_barrier, 0
	.set _ZN7rocprim17ROCPRIM_400000_NS6detail17trampoline_kernelINS0_14default_configENS1_38merge_sort_block_merge_config_selectorIsNS0_10empty_typeEEEZZNS1_27merge_sort_block_merge_implIS3_PsPS5_jNS1_19radix_merge_compareILb1ELb1EsNS0_19identity_decomposerEEEEE10hipError_tT0_T1_T2_jT3_P12ihipStream_tbPNSt15iterator_traitsISE_E10value_typeEPNSK_ISF_E10value_typeEPSG_NS1_7vsmem_tEENKUlT_SE_SF_SG_E_clIS8_S8_S9_S9_EESD_ST_SE_SF_SG_EUlST_E_NS1_11comp_targetILNS1_3genE10ELNS1_11target_archE1201ELNS1_3gpuE5ELNS1_3repE0EEENS1_48merge_mergepath_partition_config_static_selectorELNS0_4arch9wavefront6targetE0EEEvSF_.private_seg_size, 0
	.set _ZN7rocprim17ROCPRIM_400000_NS6detail17trampoline_kernelINS0_14default_configENS1_38merge_sort_block_merge_config_selectorIsNS0_10empty_typeEEEZZNS1_27merge_sort_block_merge_implIS3_PsPS5_jNS1_19radix_merge_compareILb1ELb1EsNS0_19identity_decomposerEEEEE10hipError_tT0_T1_T2_jT3_P12ihipStream_tbPNSt15iterator_traitsISE_E10value_typeEPNSK_ISF_E10value_typeEPSG_NS1_7vsmem_tEENKUlT_SE_SF_SG_E_clIS8_S8_S9_S9_EESD_ST_SE_SF_SG_EUlST_E_NS1_11comp_targetILNS1_3genE10ELNS1_11target_archE1201ELNS1_3gpuE5ELNS1_3repE0EEENS1_48merge_mergepath_partition_config_static_selectorELNS0_4arch9wavefront6targetE0EEEvSF_.uses_vcc, 0
	.set _ZN7rocprim17ROCPRIM_400000_NS6detail17trampoline_kernelINS0_14default_configENS1_38merge_sort_block_merge_config_selectorIsNS0_10empty_typeEEEZZNS1_27merge_sort_block_merge_implIS3_PsPS5_jNS1_19radix_merge_compareILb1ELb1EsNS0_19identity_decomposerEEEEE10hipError_tT0_T1_T2_jT3_P12ihipStream_tbPNSt15iterator_traitsISE_E10value_typeEPNSK_ISF_E10value_typeEPSG_NS1_7vsmem_tEENKUlT_SE_SF_SG_E_clIS8_S8_S9_S9_EESD_ST_SE_SF_SG_EUlST_E_NS1_11comp_targetILNS1_3genE10ELNS1_11target_archE1201ELNS1_3gpuE5ELNS1_3repE0EEENS1_48merge_mergepath_partition_config_static_selectorELNS0_4arch9wavefront6targetE0EEEvSF_.uses_flat_scratch, 0
	.set _ZN7rocprim17ROCPRIM_400000_NS6detail17trampoline_kernelINS0_14default_configENS1_38merge_sort_block_merge_config_selectorIsNS0_10empty_typeEEEZZNS1_27merge_sort_block_merge_implIS3_PsPS5_jNS1_19radix_merge_compareILb1ELb1EsNS0_19identity_decomposerEEEEE10hipError_tT0_T1_T2_jT3_P12ihipStream_tbPNSt15iterator_traitsISE_E10value_typeEPNSK_ISF_E10value_typeEPSG_NS1_7vsmem_tEENKUlT_SE_SF_SG_E_clIS8_S8_S9_S9_EESD_ST_SE_SF_SG_EUlST_E_NS1_11comp_targetILNS1_3genE10ELNS1_11target_archE1201ELNS1_3gpuE5ELNS1_3repE0EEENS1_48merge_mergepath_partition_config_static_selectorELNS0_4arch9wavefront6targetE0EEEvSF_.has_dyn_sized_stack, 0
	.set _ZN7rocprim17ROCPRIM_400000_NS6detail17trampoline_kernelINS0_14default_configENS1_38merge_sort_block_merge_config_selectorIsNS0_10empty_typeEEEZZNS1_27merge_sort_block_merge_implIS3_PsPS5_jNS1_19radix_merge_compareILb1ELb1EsNS0_19identity_decomposerEEEEE10hipError_tT0_T1_T2_jT3_P12ihipStream_tbPNSt15iterator_traitsISE_E10value_typeEPNSK_ISF_E10value_typeEPSG_NS1_7vsmem_tEENKUlT_SE_SF_SG_E_clIS8_S8_S9_S9_EESD_ST_SE_SF_SG_EUlST_E_NS1_11comp_targetILNS1_3genE10ELNS1_11target_archE1201ELNS1_3gpuE5ELNS1_3repE0EEENS1_48merge_mergepath_partition_config_static_selectorELNS0_4arch9wavefront6targetE0EEEvSF_.has_recursion, 0
	.set _ZN7rocprim17ROCPRIM_400000_NS6detail17trampoline_kernelINS0_14default_configENS1_38merge_sort_block_merge_config_selectorIsNS0_10empty_typeEEEZZNS1_27merge_sort_block_merge_implIS3_PsPS5_jNS1_19radix_merge_compareILb1ELb1EsNS0_19identity_decomposerEEEEE10hipError_tT0_T1_T2_jT3_P12ihipStream_tbPNSt15iterator_traitsISE_E10value_typeEPNSK_ISF_E10value_typeEPSG_NS1_7vsmem_tEENKUlT_SE_SF_SG_E_clIS8_S8_S9_S9_EESD_ST_SE_SF_SG_EUlST_E_NS1_11comp_targetILNS1_3genE10ELNS1_11target_archE1201ELNS1_3gpuE5ELNS1_3repE0EEENS1_48merge_mergepath_partition_config_static_selectorELNS0_4arch9wavefront6targetE0EEEvSF_.has_indirect_call, 0
	.section	.AMDGPU.csdata,"",@progbits
; Kernel info:
; codeLenInByte = 0
; TotalNumSgprs: 0
; NumVgprs: 0
; ScratchSize: 0
; MemoryBound: 0
; FloatMode: 240
; IeeeMode: 1
; LDSByteSize: 0 bytes/workgroup (compile time only)
; SGPRBlocks: 0
; VGPRBlocks: 0
; NumSGPRsForWavesPerEU: 1
; NumVGPRsForWavesPerEU: 1
; NamedBarCnt: 0
; Occupancy: 16
; WaveLimiterHint : 0
; COMPUTE_PGM_RSRC2:SCRATCH_EN: 0
; COMPUTE_PGM_RSRC2:USER_SGPR: 2
; COMPUTE_PGM_RSRC2:TRAP_HANDLER: 0
; COMPUTE_PGM_RSRC2:TGID_X_EN: 1
; COMPUTE_PGM_RSRC2:TGID_Y_EN: 0
; COMPUTE_PGM_RSRC2:TGID_Z_EN: 0
; COMPUTE_PGM_RSRC2:TIDIG_COMP_CNT: 0
	.section	.text._ZN7rocprim17ROCPRIM_400000_NS6detail17trampoline_kernelINS0_14default_configENS1_38merge_sort_block_merge_config_selectorIsNS0_10empty_typeEEEZZNS1_27merge_sort_block_merge_implIS3_PsPS5_jNS1_19radix_merge_compareILb1ELb1EsNS0_19identity_decomposerEEEEE10hipError_tT0_T1_T2_jT3_P12ihipStream_tbPNSt15iterator_traitsISE_E10value_typeEPNSK_ISF_E10value_typeEPSG_NS1_7vsmem_tEENKUlT_SE_SF_SG_E_clIS8_S8_S9_S9_EESD_ST_SE_SF_SG_EUlST_E_NS1_11comp_targetILNS1_3genE5ELNS1_11target_archE942ELNS1_3gpuE9ELNS1_3repE0EEENS1_48merge_mergepath_partition_config_static_selectorELNS0_4arch9wavefront6targetE0EEEvSF_,"axG",@progbits,_ZN7rocprim17ROCPRIM_400000_NS6detail17trampoline_kernelINS0_14default_configENS1_38merge_sort_block_merge_config_selectorIsNS0_10empty_typeEEEZZNS1_27merge_sort_block_merge_implIS3_PsPS5_jNS1_19radix_merge_compareILb1ELb1EsNS0_19identity_decomposerEEEEE10hipError_tT0_T1_T2_jT3_P12ihipStream_tbPNSt15iterator_traitsISE_E10value_typeEPNSK_ISF_E10value_typeEPSG_NS1_7vsmem_tEENKUlT_SE_SF_SG_E_clIS8_S8_S9_S9_EESD_ST_SE_SF_SG_EUlST_E_NS1_11comp_targetILNS1_3genE5ELNS1_11target_archE942ELNS1_3gpuE9ELNS1_3repE0EEENS1_48merge_mergepath_partition_config_static_selectorELNS0_4arch9wavefront6targetE0EEEvSF_,comdat
	.protected	_ZN7rocprim17ROCPRIM_400000_NS6detail17trampoline_kernelINS0_14default_configENS1_38merge_sort_block_merge_config_selectorIsNS0_10empty_typeEEEZZNS1_27merge_sort_block_merge_implIS3_PsPS5_jNS1_19radix_merge_compareILb1ELb1EsNS0_19identity_decomposerEEEEE10hipError_tT0_T1_T2_jT3_P12ihipStream_tbPNSt15iterator_traitsISE_E10value_typeEPNSK_ISF_E10value_typeEPSG_NS1_7vsmem_tEENKUlT_SE_SF_SG_E_clIS8_S8_S9_S9_EESD_ST_SE_SF_SG_EUlST_E_NS1_11comp_targetILNS1_3genE5ELNS1_11target_archE942ELNS1_3gpuE9ELNS1_3repE0EEENS1_48merge_mergepath_partition_config_static_selectorELNS0_4arch9wavefront6targetE0EEEvSF_ ; -- Begin function _ZN7rocprim17ROCPRIM_400000_NS6detail17trampoline_kernelINS0_14default_configENS1_38merge_sort_block_merge_config_selectorIsNS0_10empty_typeEEEZZNS1_27merge_sort_block_merge_implIS3_PsPS5_jNS1_19radix_merge_compareILb1ELb1EsNS0_19identity_decomposerEEEEE10hipError_tT0_T1_T2_jT3_P12ihipStream_tbPNSt15iterator_traitsISE_E10value_typeEPNSK_ISF_E10value_typeEPSG_NS1_7vsmem_tEENKUlT_SE_SF_SG_E_clIS8_S8_S9_S9_EESD_ST_SE_SF_SG_EUlST_E_NS1_11comp_targetILNS1_3genE5ELNS1_11target_archE942ELNS1_3gpuE9ELNS1_3repE0EEENS1_48merge_mergepath_partition_config_static_selectorELNS0_4arch9wavefront6targetE0EEEvSF_
	.globl	_ZN7rocprim17ROCPRIM_400000_NS6detail17trampoline_kernelINS0_14default_configENS1_38merge_sort_block_merge_config_selectorIsNS0_10empty_typeEEEZZNS1_27merge_sort_block_merge_implIS3_PsPS5_jNS1_19radix_merge_compareILb1ELb1EsNS0_19identity_decomposerEEEEE10hipError_tT0_T1_T2_jT3_P12ihipStream_tbPNSt15iterator_traitsISE_E10value_typeEPNSK_ISF_E10value_typeEPSG_NS1_7vsmem_tEENKUlT_SE_SF_SG_E_clIS8_S8_S9_S9_EESD_ST_SE_SF_SG_EUlST_E_NS1_11comp_targetILNS1_3genE5ELNS1_11target_archE942ELNS1_3gpuE9ELNS1_3repE0EEENS1_48merge_mergepath_partition_config_static_selectorELNS0_4arch9wavefront6targetE0EEEvSF_
	.p2align	8
	.type	_ZN7rocprim17ROCPRIM_400000_NS6detail17trampoline_kernelINS0_14default_configENS1_38merge_sort_block_merge_config_selectorIsNS0_10empty_typeEEEZZNS1_27merge_sort_block_merge_implIS3_PsPS5_jNS1_19radix_merge_compareILb1ELb1EsNS0_19identity_decomposerEEEEE10hipError_tT0_T1_T2_jT3_P12ihipStream_tbPNSt15iterator_traitsISE_E10value_typeEPNSK_ISF_E10value_typeEPSG_NS1_7vsmem_tEENKUlT_SE_SF_SG_E_clIS8_S8_S9_S9_EESD_ST_SE_SF_SG_EUlST_E_NS1_11comp_targetILNS1_3genE5ELNS1_11target_archE942ELNS1_3gpuE9ELNS1_3repE0EEENS1_48merge_mergepath_partition_config_static_selectorELNS0_4arch9wavefront6targetE0EEEvSF_,@function
_ZN7rocprim17ROCPRIM_400000_NS6detail17trampoline_kernelINS0_14default_configENS1_38merge_sort_block_merge_config_selectorIsNS0_10empty_typeEEEZZNS1_27merge_sort_block_merge_implIS3_PsPS5_jNS1_19radix_merge_compareILb1ELb1EsNS0_19identity_decomposerEEEEE10hipError_tT0_T1_T2_jT3_P12ihipStream_tbPNSt15iterator_traitsISE_E10value_typeEPNSK_ISF_E10value_typeEPSG_NS1_7vsmem_tEENKUlT_SE_SF_SG_E_clIS8_S8_S9_S9_EESD_ST_SE_SF_SG_EUlST_E_NS1_11comp_targetILNS1_3genE5ELNS1_11target_archE942ELNS1_3gpuE9ELNS1_3repE0EEENS1_48merge_mergepath_partition_config_static_selectorELNS0_4arch9wavefront6targetE0EEEvSF_: ; @_ZN7rocprim17ROCPRIM_400000_NS6detail17trampoline_kernelINS0_14default_configENS1_38merge_sort_block_merge_config_selectorIsNS0_10empty_typeEEEZZNS1_27merge_sort_block_merge_implIS3_PsPS5_jNS1_19radix_merge_compareILb1ELb1EsNS0_19identity_decomposerEEEEE10hipError_tT0_T1_T2_jT3_P12ihipStream_tbPNSt15iterator_traitsISE_E10value_typeEPNSK_ISF_E10value_typeEPSG_NS1_7vsmem_tEENKUlT_SE_SF_SG_E_clIS8_S8_S9_S9_EESD_ST_SE_SF_SG_EUlST_E_NS1_11comp_targetILNS1_3genE5ELNS1_11target_archE942ELNS1_3gpuE9ELNS1_3repE0EEENS1_48merge_mergepath_partition_config_static_selectorELNS0_4arch9wavefront6targetE0EEEvSF_
; %bb.0:
	.section	.rodata,"a",@progbits
	.p2align	6, 0x0
	.amdhsa_kernel _ZN7rocprim17ROCPRIM_400000_NS6detail17trampoline_kernelINS0_14default_configENS1_38merge_sort_block_merge_config_selectorIsNS0_10empty_typeEEEZZNS1_27merge_sort_block_merge_implIS3_PsPS5_jNS1_19radix_merge_compareILb1ELb1EsNS0_19identity_decomposerEEEEE10hipError_tT0_T1_T2_jT3_P12ihipStream_tbPNSt15iterator_traitsISE_E10value_typeEPNSK_ISF_E10value_typeEPSG_NS1_7vsmem_tEENKUlT_SE_SF_SG_E_clIS8_S8_S9_S9_EESD_ST_SE_SF_SG_EUlST_E_NS1_11comp_targetILNS1_3genE5ELNS1_11target_archE942ELNS1_3gpuE9ELNS1_3repE0EEENS1_48merge_mergepath_partition_config_static_selectorELNS0_4arch9wavefront6targetE0EEEvSF_
		.amdhsa_group_segment_fixed_size 0
		.amdhsa_private_segment_fixed_size 0
		.amdhsa_kernarg_size 40
		.amdhsa_user_sgpr_count 2
		.amdhsa_user_sgpr_dispatch_ptr 0
		.amdhsa_user_sgpr_queue_ptr 0
		.amdhsa_user_sgpr_kernarg_segment_ptr 1
		.amdhsa_user_sgpr_dispatch_id 0
		.amdhsa_user_sgpr_kernarg_preload_length 0
		.amdhsa_user_sgpr_kernarg_preload_offset 0
		.amdhsa_user_sgpr_private_segment_size 0
		.amdhsa_wavefront_size32 1
		.amdhsa_uses_dynamic_stack 0
		.amdhsa_enable_private_segment 0
		.amdhsa_system_sgpr_workgroup_id_x 1
		.amdhsa_system_sgpr_workgroup_id_y 0
		.amdhsa_system_sgpr_workgroup_id_z 0
		.amdhsa_system_sgpr_workgroup_info 0
		.amdhsa_system_vgpr_workitem_id 0
		.amdhsa_next_free_vgpr 1
		.amdhsa_next_free_sgpr 1
		.amdhsa_named_barrier_count 0
		.amdhsa_reserve_vcc 0
		.amdhsa_float_round_mode_32 0
		.amdhsa_float_round_mode_16_64 0
		.amdhsa_float_denorm_mode_32 3
		.amdhsa_float_denorm_mode_16_64 3
		.amdhsa_fp16_overflow 0
		.amdhsa_memory_ordered 1
		.amdhsa_forward_progress 1
		.amdhsa_inst_pref_size 0
		.amdhsa_round_robin_scheduling 0
		.amdhsa_exception_fp_ieee_invalid_op 0
		.amdhsa_exception_fp_denorm_src 0
		.amdhsa_exception_fp_ieee_div_zero 0
		.amdhsa_exception_fp_ieee_overflow 0
		.amdhsa_exception_fp_ieee_underflow 0
		.amdhsa_exception_fp_ieee_inexact 0
		.amdhsa_exception_int_div_zero 0
	.end_amdhsa_kernel
	.section	.text._ZN7rocprim17ROCPRIM_400000_NS6detail17trampoline_kernelINS0_14default_configENS1_38merge_sort_block_merge_config_selectorIsNS0_10empty_typeEEEZZNS1_27merge_sort_block_merge_implIS3_PsPS5_jNS1_19radix_merge_compareILb1ELb1EsNS0_19identity_decomposerEEEEE10hipError_tT0_T1_T2_jT3_P12ihipStream_tbPNSt15iterator_traitsISE_E10value_typeEPNSK_ISF_E10value_typeEPSG_NS1_7vsmem_tEENKUlT_SE_SF_SG_E_clIS8_S8_S9_S9_EESD_ST_SE_SF_SG_EUlST_E_NS1_11comp_targetILNS1_3genE5ELNS1_11target_archE942ELNS1_3gpuE9ELNS1_3repE0EEENS1_48merge_mergepath_partition_config_static_selectorELNS0_4arch9wavefront6targetE0EEEvSF_,"axG",@progbits,_ZN7rocprim17ROCPRIM_400000_NS6detail17trampoline_kernelINS0_14default_configENS1_38merge_sort_block_merge_config_selectorIsNS0_10empty_typeEEEZZNS1_27merge_sort_block_merge_implIS3_PsPS5_jNS1_19radix_merge_compareILb1ELb1EsNS0_19identity_decomposerEEEEE10hipError_tT0_T1_T2_jT3_P12ihipStream_tbPNSt15iterator_traitsISE_E10value_typeEPNSK_ISF_E10value_typeEPSG_NS1_7vsmem_tEENKUlT_SE_SF_SG_E_clIS8_S8_S9_S9_EESD_ST_SE_SF_SG_EUlST_E_NS1_11comp_targetILNS1_3genE5ELNS1_11target_archE942ELNS1_3gpuE9ELNS1_3repE0EEENS1_48merge_mergepath_partition_config_static_selectorELNS0_4arch9wavefront6targetE0EEEvSF_,comdat
.Lfunc_end554:
	.size	_ZN7rocprim17ROCPRIM_400000_NS6detail17trampoline_kernelINS0_14default_configENS1_38merge_sort_block_merge_config_selectorIsNS0_10empty_typeEEEZZNS1_27merge_sort_block_merge_implIS3_PsPS5_jNS1_19radix_merge_compareILb1ELb1EsNS0_19identity_decomposerEEEEE10hipError_tT0_T1_T2_jT3_P12ihipStream_tbPNSt15iterator_traitsISE_E10value_typeEPNSK_ISF_E10value_typeEPSG_NS1_7vsmem_tEENKUlT_SE_SF_SG_E_clIS8_S8_S9_S9_EESD_ST_SE_SF_SG_EUlST_E_NS1_11comp_targetILNS1_3genE5ELNS1_11target_archE942ELNS1_3gpuE9ELNS1_3repE0EEENS1_48merge_mergepath_partition_config_static_selectorELNS0_4arch9wavefront6targetE0EEEvSF_, .Lfunc_end554-_ZN7rocprim17ROCPRIM_400000_NS6detail17trampoline_kernelINS0_14default_configENS1_38merge_sort_block_merge_config_selectorIsNS0_10empty_typeEEEZZNS1_27merge_sort_block_merge_implIS3_PsPS5_jNS1_19radix_merge_compareILb1ELb1EsNS0_19identity_decomposerEEEEE10hipError_tT0_T1_T2_jT3_P12ihipStream_tbPNSt15iterator_traitsISE_E10value_typeEPNSK_ISF_E10value_typeEPSG_NS1_7vsmem_tEENKUlT_SE_SF_SG_E_clIS8_S8_S9_S9_EESD_ST_SE_SF_SG_EUlST_E_NS1_11comp_targetILNS1_3genE5ELNS1_11target_archE942ELNS1_3gpuE9ELNS1_3repE0EEENS1_48merge_mergepath_partition_config_static_selectorELNS0_4arch9wavefront6targetE0EEEvSF_
                                        ; -- End function
	.set _ZN7rocprim17ROCPRIM_400000_NS6detail17trampoline_kernelINS0_14default_configENS1_38merge_sort_block_merge_config_selectorIsNS0_10empty_typeEEEZZNS1_27merge_sort_block_merge_implIS3_PsPS5_jNS1_19radix_merge_compareILb1ELb1EsNS0_19identity_decomposerEEEEE10hipError_tT0_T1_T2_jT3_P12ihipStream_tbPNSt15iterator_traitsISE_E10value_typeEPNSK_ISF_E10value_typeEPSG_NS1_7vsmem_tEENKUlT_SE_SF_SG_E_clIS8_S8_S9_S9_EESD_ST_SE_SF_SG_EUlST_E_NS1_11comp_targetILNS1_3genE5ELNS1_11target_archE942ELNS1_3gpuE9ELNS1_3repE0EEENS1_48merge_mergepath_partition_config_static_selectorELNS0_4arch9wavefront6targetE0EEEvSF_.num_vgpr, 0
	.set _ZN7rocprim17ROCPRIM_400000_NS6detail17trampoline_kernelINS0_14default_configENS1_38merge_sort_block_merge_config_selectorIsNS0_10empty_typeEEEZZNS1_27merge_sort_block_merge_implIS3_PsPS5_jNS1_19radix_merge_compareILb1ELb1EsNS0_19identity_decomposerEEEEE10hipError_tT0_T1_T2_jT3_P12ihipStream_tbPNSt15iterator_traitsISE_E10value_typeEPNSK_ISF_E10value_typeEPSG_NS1_7vsmem_tEENKUlT_SE_SF_SG_E_clIS8_S8_S9_S9_EESD_ST_SE_SF_SG_EUlST_E_NS1_11comp_targetILNS1_3genE5ELNS1_11target_archE942ELNS1_3gpuE9ELNS1_3repE0EEENS1_48merge_mergepath_partition_config_static_selectorELNS0_4arch9wavefront6targetE0EEEvSF_.num_agpr, 0
	.set _ZN7rocprim17ROCPRIM_400000_NS6detail17trampoline_kernelINS0_14default_configENS1_38merge_sort_block_merge_config_selectorIsNS0_10empty_typeEEEZZNS1_27merge_sort_block_merge_implIS3_PsPS5_jNS1_19radix_merge_compareILb1ELb1EsNS0_19identity_decomposerEEEEE10hipError_tT0_T1_T2_jT3_P12ihipStream_tbPNSt15iterator_traitsISE_E10value_typeEPNSK_ISF_E10value_typeEPSG_NS1_7vsmem_tEENKUlT_SE_SF_SG_E_clIS8_S8_S9_S9_EESD_ST_SE_SF_SG_EUlST_E_NS1_11comp_targetILNS1_3genE5ELNS1_11target_archE942ELNS1_3gpuE9ELNS1_3repE0EEENS1_48merge_mergepath_partition_config_static_selectorELNS0_4arch9wavefront6targetE0EEEvSF_.numbered_sgpr, 0
	.set _ZN7rocprim17ROCPRIM_400000_NS6detail17trampoline_kernelINS0_14default_configENS1_38merge_sort_block_merge_config_selectorIsNS0_10empty_typeEEEZZNS1_27merge_sort_block_merge_implIS3_PsPS5_jNS1_19radix_merge_compareILb1ELb1EsNS0_19identity_decomposerEEEEE10hipError_tT0_T1_T2_jT3_P12ihipStream_tbPNSt15iterator_traitsISE_E10value_typeEPNSK_ISF_E10value_typeEPSG_NS1_7vsmem_tEENKUlT_SE_SF_SG_E_clIS8_S8_S9_S9_EESD_ST_SE_SF_SG_EUlST_E_NS1_11comp_targetILNS1_3genE5ELNS1_11target_archE942ELNS1_3gpuE9ELNS1_3repE0EEENS1_48merge_mergepath_partition_config_static_selectorELNS0_4arch9wavefront6targetE0EEEvSF_.num_named_barrier, 0
	.set _ZN7rocprim17ROCPRIM_400000_NS6detail17trampoline_kernelINS0_14default_configENS1_38merge_sort_block_merge_config_selectorIsNS0_10empty_typeEEEZZNS1_27merge_sort_block_merge_implIS3_PsPS5_jNS1_19radix_merge_compareILb1ELb1EsNS0_19identity_decomposerEEEEE10hipError_tT0_T1_T2_jT3_P12ihipStream_tbPNSt15iterator_traitsISE_E10value_typeEPNSK_ISF_E10value_typeEPSG_NS1_7vsmem_tEENKUlT_SE_SF_SG_E_clIS8_S8_S9_S9_EESD_ST_SE_SF_SG_EUlST_E_NS1_11comp_targetILNS1_3genE5ELNS1_11target_archE942ELNS1_3gpuE9ELNS1_3repE0EEENS1_48merge_mergepath_partition_config_static_selectorELNS0_4arch9wavefront6targetE0EEEvSF_.private_seg_size, 0
	.set _ZN7rocprim17ROCPRIM_400000_NS6detail17trampoline_kernelINS0_14default_configENS1_38merge_sort_block_merge_config_selectorIsNS0_10empty_typeEEEZZNS1_27merge_sort_block_merge_implIS3_PsPS5_jNS1_19radix_merge_compareILb1ELb1EsNS0_19identity_decomposerEEEEE10hipError_tT0_T1_T2_jT3_P12ihipStream_tbPNSt15iterator_traitsISE_E10value_typeEPNSK_ISF_E10value_typeEPSG_NS1_7vsmem_tEENKUlT_SE_SF_SG_E_clIS8_S8_S9_S9_EESD_ST_SE_SF_SG_EUlST_E_NS1_11comp_targetILNS1_3genE5ELNS1_11target_archE942ELNS1_3gpuE9ELNS1_3repE0EEENS1_48merge_mergepath_partition_config_static_selectorELNS0_4arch9wavefront6targetE0EEEvSF_.uses_vcc, 0
	.set _ZN7rocprim17ROCPRIM_400000_NS6detail17trampoline_kernelINS0_14default_configENS1_38merge_sort_block_merge_config_selectorIsNS0_10empty_typeEEEZZNS1_27merge_sort_block_merge_implIS3_PsPS5_jNS1_19radix_merge_compareILb1ELb1EsNS0_19identity_decomposerEEEEE10hipError_tT0_T1_T2_jT3_P12ihipStream_tbPNSt15iterator_traitsISE_E10value_typeEPNSK_ISF_E10value_typeEPSG_NS1_7vsmem_tEENKUlT_SE_SF_SG_E_clIS8_S8_S9_S9_EESD_ST_SE_SF_SG_EUlST_E_NS1_11comp_targetILNS1_3genE5ELNS1_11target_archE942ELNS1_3gpuE9ELNS1_3repE0EEENS1_48merge_mergepath_partition_config_static_selectorELNS0_4arch9wavefront6targetE0EEEvSF_.uses_flat_scratch, 0
	.set _ZN7rocprim17ROCPRIM_400000_NS6detail17trampoline_kernelINS0_14default_configENS1_38merge_sort_block_merge_config_selectorIsNS0_10empty_typeEEEZZNS1_27merge_sort_block_merge_implIS3_PsPS5_jNS1_19radix_merge_compareILb1ELb1EsNS0_19identity_decomposerEEEEE10hipError_tT0_T1_T2_jT3_P12ihipStream_tbPNSt15iterator_traitsISE_E10value_typeEPNSK_ISF_E10value_typeEPSG_NS1_7vsmem_tEENKUlT_SE_SF_SG_E_clIS8_S8_S9_S9_EESD_ST_SE_SF_SG_EUlST_E_NS1_11comp_targetILNS1_3genE5ELNS1_11target_archE942ELNS1_3gpuE9ELNS1_3repE0EEENS1_48merge_mergepath_partition_config_static_selectorELNS0_4arch9wavefront6targetE0EEEvSF_.has_dyn_sized_stack, 0
	.set _ZN7rocprim17ROCPRIM_400000_NS6detail17trampoline_kernelINS0_14default_configENS1_38merge_sort_block_merge_config_selectorIsNS0_10empty_typeEEEZZNS1_27merge_sort_block_merge_implIS3_PsPS5_jNS1_19radix_merge_compareILb1ELb1EsNS0_19identity_decomposerEEEEE10hipError_tT0_T1_T2_jT3_P12ihipStream_tbPNSt15iterator_traitsISE_E10value_typeEPNSK_ISF_E10value_typeEPSG_NS1_7vsmem_tEENKUlT_SE_SF_SG_E_clIS8_S8_S9_S9_EESD_ST_SE_SF_SG_EUlST_E_NS1_11comp_targetILNS1_3genE5ELNS1_11target_archE942ELNS1_3gpuE9ELNS1_3repE0EEENS1_48merge_mergepath_partition_config_static_selectorELNS0_4arch9wavefront6targetE0EEEvSF_.has_recursion, 0
	.set _ZN7rocprim17ROCPRIM_400000_NS6detail17trampoline_kernelINS0_14default_configENS1_38merge_sort_block_merge_config_selectorIsNS0_10empty_typeEEEZZNS1_27merge_sort_block_merge_implIS3_PsPS5_jNS1_19radix_merge_compareILb1ELb1EsNS0_19identity_decomposerEEEEE10hipError_tT0_T1_T2_jT3_P12ihipStream_tbPNSt15iterator_traitsISE_E10value_typeEPNSK_ISF_E10value_typeEPSG_NS1_7vsmem_tEENKUlT_SE_SF_SG_E_clIS8_S8_S9_S9_EESD_ST_SE_SF_SG_EUlST_E_NS1_11comp_targetILNS1_3genE5ELNS1_11target_archE942ELNS1_3gpuE9ELNS1_3repE0EEENS1_48merge_mergepath_partition_config_static_selectorELNS0_4arch9wavefront6targetE0EEEvSF_.has_indirect_call, 0
	.section	.AMDGPU.csdata,"",@progbits
; Kernel info:
; codeLenInByte = 0
; TotalNumSgprs: 0
; NumVgprs: 0
; ScratchSize: 0
; MemoryBound: 0
; FloatMode: 240
; IeeeMode: 1
; LDSByteSize: 0 bytes/workgroup (compile time only)
; SGPRBlocks: 0
; VGPRBlocks: 0
; NumSGPRsForWavesPerEU: 1
; NumVGPRsForWavesPerEU: 1
; NamedBarCnt: 0
; Occupancy: 16
; WaveLimiterHint : 0
; COMPUTE_PGM_RSRC2:SCRATCH_EN: 0
; COMPUTE_PGM_RSRC2:USER_SGPR: 2
; COMPUTE_PGM_RSRC2:TRAP_HANDLER: 0
; COMPUTE_PGM_RSRC2:TGID_X_EN: 1
; COMPUTE_PGM_RSRC2:TGID_Y_EN: 0
; COMPUTE_PGM_RSRC2:TGID_Z_EN: 0
; COMPUTE_PGM_RSRC2:TIDIG_COMP_CNT: 0
	.section	.text._ZN7rocprim17ROCPRIM_400000_NS6detail17trampoline_kernelINS0_14default_configENS1_38merge_sort_block_merge_config_selectorIsNS0_10empty_typeEEEZZNS1_27merge_sort_block_merge_implIS3_PsPS5_jNS1_19radix_merge_compareILb1ELb1EsNS0_19identity_decomposerEEEEE10hipError_tT0_T1_T2_jT3_P12ihipStream_tbPNSt15iterator_traitsISE_E10value_typeEPNSK_ISF_E10value_typeEPSG_NS1_7vsmem_tEENKUlT_SE_SF_SG_E_clIS8_S8_S9_S9_EESD_ST_SE_SF_SG_EUlST_E_NS1_11comp_targetILNS1_3genE4ELNS1_11target_archE910ELNS1_3gpuE8ELNS1_3repE0EEENS1_48merge_mergepath_partition_config_static_selectorELNS0_4arch9wavefront6targetE0EEEvSF_,"axG",@progbits,_ZN7rocprim17ROCPRIM_400000_NS6detail17trampoline_kernelINS0_14default_configENS1_38merge_sort_block_merge_config_selectorIsNS0_10empty_typeEEEZZNS1_27merge_sort_block_merge_implIS3_PsPS5_jNS1_19radix_merge_compareILb1ELb1EsNS0_19identity_decomposerEEEEE10hipError_tT0_T1_T2_jT3_P12ihipStream_tbPNSt15iterator_traitsISE_E10value_typeEPNSK_ISF_E10value_typeEPSG_NS1_7vsmem_tEENKUlT_SE_SF_SG_E_clIS8_S8_S9_S9_EESD_ST_SE_SF_SG_EUlST_E_NS1_11comp_targetILNS1_3genE4ELNS1_11target_archE910ELNS1_3gpuE8ELNS1_3repE0EEENS1_48merge_mergepath_partition_config_static_selectorELNS0_4arch9wavefront6targetE0EEEvSF_,comdat
	.protected	_ZN7rocprim17ROCPRIM_400000_NS6detail17trampoline_kernelINS0_14default_configENS1_38merge_sort_block_merge_config_selectorIsNS0_10empty_typeEEEZZNS1_27merge_sort_block_merge_implIS3_PsPS5_jNS1_19radix_merge_compareILb1ELb1EsNS0_19identity_decomposerEEEEE10hipError_tT0_T1_T2_jT3_P12ihipStream_tbPNSt15iterator_traitsISE_E10value_typeEPNSK_ISF_E10value_typeEPSG_NS1_7vsmem_tEENKUlT_SE_SF_SG_E_clIS8_S8_S9_S9_EESD_ST_SE_SF_SG_EUlST_E_NS1_11comp_targetILNS1_3genE4ELNS1_11target_archE910ELNS1_3gpuE8ELNS1_3repE0EEENS1_48merge_mergepath_partition_config_static_selectorELNS0_4arch9wavefront6targetE0EEEvSF_ ; -- Begin function _ZN7rocprim17ROCPRIM_400000_NS6detail17trampoline_kernelINS0_14default_configENS1_38merge_sort_block_merge_config_selectorIsNS0_10empty_typeEEEZZNS1_27merge_sort_block_merge_implIS3_PsPS5_jNS1_19radix_merge_compareILb1ELb1EsNS0_19identity_decomposerEEEEE10hipError_tT0_T1_T2_jT3_P12ihipStream_tbPNSt15iterator_traitsISE_E10value_typeEPNSK_ISF_E10value_typeEPSG_NS1_7vsmem_tEENKUlT_SE_SF_SG_E_clIS8_S8_S9_S9_EESD_ST_SE_SF_SG_EUlST_E_NS1_11comp_targetILNS1_3genE4ELNS1_11target_archE910ELNS1_3gpuE8ELNS1_3repE0EEENS1_48merge_mergepath_partition_config_static_selectorELNS0_4arch9wavefront6targetE0EEEvSF_
	.globl	_ZN7rocprim17ROCPRIM_400000_NS6detail17trampoline_kernelINS0_14default_configENS1_38merge_sort_block_merge_config_selectorIsNS0_10empty_typeEEEZZNS1_27merge_sort_block_merge_implIS3_PsPS5_jNS1_19radix_merge_compareILb1ELb1EsNS0_19identity_decomposerEEEEE10hipError_tT0_T1_T2_jT3_P12ihipStream_tbPNSt15iterator_traitsISE_E10value_typeEPNSK_ISF_E10value_typeEPSG_NS1_7vsmem_tEENKUlT_SE_SF_SG_E_clIS8_S8_S9_S9_EESD_ST_SE_SF_SG_EUlST_E_NS1_11comp_targetILNS1_3genE4ELNS1_11target_archE910ELNS1_3gpuE8ELNS1_3repE0EEENS1_48merge_mergepath_partition_config_static_selectorELNS0_4arch9wavefront6targetE0EEEvSF_
	.p2align	8
	.type	_ZN7rocprim17ROCPRIM_400000_NS6detail17trampoline_kernelINS0_14default_configENS1_38merge_sort_block_merge_config_selectorIsNS0_10empty_typeEEEZZNS1_27merge_sort_block_merge_implIS3_PsPS5_jNS1_19radix_merge_compareILb1ELb1EsNS0_19identity_decomposerEEEEE10hipError_tT0_T1_T2_jT3_P12ihipStream_tbPNSt15iterator_traitsISE_E10value_typeEPNSK_ISF_E10value_typeEPSG_NS1_7vsmem_tEENKUlT_SE_SF_SG_E_clIS8_S8_S9_S9_EESD_ST_SE_SF_SG_EUlST_E_NS1_11comp_targetILNS1_3genE4ELNS1_11target_archE910ELNS1_3gpuE8ELNS1_3repE0EEENS1_48merge_mergepath_partition_config_static_selectorELNS0_4arch9wavefront6targetE0EEEvSF_,@function
_ZN7rocprim17ROCPRIM_400000_NS6detail17trampoline_kernelINS0_14default_configENS1_38merge_sort_block_merge_config_selectorIsNS0_10empty_typeEEEZZNS1_27merge_sort_block_merge_implIS3_PsPS5_jNS1_19radix_merge_compareILb1ELb1EsNS0_19identity_decomposerEEEEE10hipError_tT0_T1_T2_jT3_P12ihipStream_tbPNSt15iterator_traitsISE_E10value_typeEPNSK_ISF_E10value_typeEPSG_NS1_7vsmem_tEENKUlT_SE_SF_SG_E_clIS8_S8_S9_S9_EESD_ST_SE_SF_SG_EUlST_E_NS1_11comp_targetILNS1_3genE4ELNS1_11target_archE910ELNS1_3gpuE8ELNS1_3repE0EEENS1_48merge_mergepath_partition_config_static_selectorELNS0_4arch9wavefront6targetE0EEEvSF_: ; @_ZN7rocprim17ROCPRIM_400000_NS6detail17trampoline_kernelINS0_14default_configENS1_38merge_sort_block_merge_config_selectorIsNS0_10empty_typeEEEZZNS1_27merge_sort_block_merge_implIS3_PsPS5_jNS1_19radix_merge_compareILb1ELb1EsNS0_19identity_decomposerEEEEE10hipError_tT0_T1_T2_jT3_P12ihipStream_tbPNSt15iterator_traitsISE_E10value_typeEPNSK_ISF_E10value_typeEPSG_NS1_7vsmem_tEENKUlT_SE_SF_SG_E_clIS8_S8_S9_S9_EESD_ST_SE_SF_SG_EUlST_E_NS1_11comp_targetILNS1_3genE4ELNS1_11target_archE910ELNS1_3gpuE8ELNS1_3repE0EEENS1_48merge_mergepath_partition_config_static_selectorELNS0_4arch9wavefront6targetE0EEEvSF_
; %bb.0:
	.section	.rodata,"a",@progbits
	.p2align	6, 0x0
	.amdhsa_kernel _ZN7rocprim17ROCPRIM_400000_NS6detail17trampoline_kernelINS0_14default_configENS1_38merge_sort_block_merge_config_selectorIsNS0_10empty_typeEEEZZNS1_27merge_sort_block_merge_implIS3_PsPS5_jNS1_19radix_merge_compareILb1ELb1EsNS0_19identity_decomposerEEEEE10hipError_tT0_T1_T2_jT3_P12ihipStream_tbPNSt15iterator_traitsISE_E10value_typeEPNSK_ISF_E10value_typeEPSG_NS1_7vsmem_tEENKUlT_SE_SF_SG_E_clIS8_S8_S9_S9_EESD_ST_SE_SF_SG_EUlST_E_NS1_11comp_targetILNS1_3genE4ELNS1_11target_archE910ELNS1_3gpuE8ELNS1_3repE0EEENS1_48merge_mergepath_partition_config_static_selectorELNS0_4arch9wavefront6targetE0EEEvSF_
		.amdhsa_group_segment_fixed_size 0
		.amdhsa_private_segment_fixed_size 0
		.amdhsa_kernarg_size 40
		.amdhsa_user_sgpr_count 2
		.amdhsa_user_sgpr_dispatch_ptr 0
		.amdhsa_user_sgpr_queue_ptr 0
		.amdhsa_user_sgpr_kernarg_segment_ptr 1
		.amdhsa_user_sgpr_dispatch_id 0
		.amdhsa_user_sgpr_kernarg_preload_length 0
		.amdhsa_user_sgpr_kernarg_preload_offset 0
		.amdhsa_user_sgpr_private_segment_size 0
		.amdhsa_wavefront_size32 1
		.amdhsa_uses_dynamic_stack 0
		.amdhsa_enable_private_segment 0
		.amdhsa_system_sgpr_workgroup_id_x 1
		.amdhsa_system_sgpr_workgroup_id_y 0
		.amdhsa_system_sgpr_workgroup_id_z 0
		.amdhsa_system_sgpr_workgroup_info 0
		.amdhsa_system_vgpr_workitem_id 0
		.amdhsa_next_free_vgpr 1
		.amdhsa_next_free_sgpr 1
		.amdhsa_named_barrier_count 0
		.amdhsa_reserve_vcc 0
		.amdhsa_float_round_mode_32 0
		.amdhsa_float_round_mode_16_64 0
		.amdhsa_float_denorm_mode_32 3
		.amdhsa_float_denorm_mode_16_64 3
		.amdhsa_fp16_overflow 0
		.amdhsa_memory_ordered 1
		.amdhsa_forward_progress 1
		.amdhsa_inst_pref_size 0
		.amdhsa_round_robin_scheduling 0
		.amdhsa_exception_fp_ieee_invalid_op 0
		.amdhsa_exception_fp_denorm_src 0
		.amdhsa_exception_fp_ieee_div_zero 0
		.amdhsa_exception_fp_ieee_overflow 0
		.amdhsa_exception_fp_ieee_underflow 0
		.amdhsa_exception_fp_ieee_inexact 0
		.amdhsa_exception_int_div_zero 0
	.end_amdhsa_kernel
	.section	.text._ZN7rocprim17ROCPRIM_400000_NS6detail17trampoline_kernelINS0_14default_configENS1_38merge_sort_block_merge_config_selectorIsNS0_10empty_typeEEEZZNS1_27merge_sort_block_merge_implIS3_PsPS5_jNS1_19radix_merge_compareILb1ELb1EsNS0_19identity_decomposerEEEEE10hipError_tT0_T1_T2_jT3_P12ihipStream_tbPNSt15iterator_traitsISE_E10value_typeEPNSK_ISF_E10value_typeEPSG_NS1_7vsmem_tEENKUlT_SE_SF_SG_E_clIS8_S8_S9_S9_EESD_ST_SE_SF_SG_EUlST_E_NS1_11comp_targetILNS1_3genE4ELNS1_11target_archE910ELNS1_3gpuE8ELNS1_3repE0EEENS1_48merge_mergepath_partition_config_static_selectorELNS0_4arch9wavefront6targetE0EEEvSF_,"axG",@progbits,_ZN7rocprim17ROCPRIM_400000_NS6detail17trampoline_kernelINS0_14default_configENS1_38merge_sort_block_merge_config_selectorIsNS0_10empty_typeEEEZZNS1_27merge_sort_block_merge_implIS3_PsPS5_jNS1_19radix_merge_compareILb1ELb1EsNS0_19identity_decomposerEEEEE10hipError_tT0_T1_T2_jT3_P12ihipStream_tbPNSt15iterator_traitsISE_E10value_typeEPNSK_ISF_E10value_typeEPSG_NS1_7vsmem_tEENKUlT_SE_SF_SG_E_clIS8_S8_S9_S9_EESD_ST_SE_SF_SG_EUlST_E_NS1_11comp_targetILNS1_3genE4ELNS1_11target_archE910ELNS1_3gpuE8ELNS1_3repE0EEENS1_48merge_mergepath_partition_config_static_selectorELNS0_4arch9wavefront6targetE0EEEvSF_,comdat
.Lfunc_end555:
	.size	_ZN7rocprim17ROCPRIM_400000_NS6detail17trampoline_kernelINS0_14default_configENS1_38merge_sort_block_merge_config_selectorIsNS0_10empty_typeEEEZZNS1_27merge_sort_block_merge_implIS3_PsPS5_jNS1_19radix_merge_compareILb1ELb1EsNS0_19identity_decomposerEEEEE10hipError_tT0_T1_T2_jT3_P12ihipStream_tbPNSt15iterator_traitsISE_E10value_typeEPNSK_ISF_E10value_typeEPSG_NS1_7vsmem_tEENKUlT_SE_SF_SG_E_clIS8_S8_S9_S9_EESD_ST_SE_SF_SG_EUlST_E_NS1_11comp_targetILNS1_3genE4ELNS1_11target_archE910ELNS1_3gpuE8ELNS1_3repE0EEENS1_48merge_mergepath_partition_config_static_selectorELNS0_4arch9wavefront6targetE0EEEvSF_, .Lfunc_end555-_ZN7rocprim17ROCPRIM_400000_NS6detail17trampoline_kernelINS0_14default_configENS1_38merge_sort_block_merge_config_selectorIsNS0_10empty_typeEEEZZNS1_27merge_sort_block_merge_implIS3_PsPS5_jNS1_19radix_merge_compareILb1ELb1EsNS0_19identity_decomposerEEEEE10hipError_tT0_T1_T2_jT3_P12ihipStream_tbPNSt15iterator_traitsISE_E10value_typeEPNSK_ISF_E10value_typeEPSG_NS1_7vsmem_tEENKUlT_SE_SF_SG_E_clIS8_S8_S9_S9_EESD_ST_SE_SF_SG_EUlST_E_NS1_11comp_targetILNS1_3genE4ELNS1_11target_archE910ELNS1_3gpuE8ELNS1_3repE0EEENS1_48merge_mergepath_partition_config_static_selectorELNS0_4arch9wavefront6targetE0EEEvSF_
                                        ; -- End function
	.set _ZN7rocprim17ROCPRIM_400000_NS6detail17trampoline_kernelINS0_14default_configENS1_38merge_sort_block_merge_config_selectorIsNS0_10empty_typeEEEZZNS1_27merge_sort_block_merge_implIS3_PsPS5_jNS1_19radix_merge_compareILb1ELb1EsNS0_19identity_decomposerEEEEE10hipError_tT0_T1_T2_jT3_P12ihipStream_tbPNSt15iterator_traitsISE_E10value_typeEPNSK_ISF_E10value_typeEPSG_NS1_7vsmem_tEENKUlT_SE_SF_SG_E_clIS8_S8_S9_S9_EESD_ST_SE_SF_SG_EUlST_E_NS1_11comp_targetILNS1_3genE4ELNS1_11target_archE910ELNS1_3gpuE8ELNS1_3repE0EEENS1_48merge_mergepath_partition_config_static_selectorELNS0_4arch9wavefront6targetE0EEEvSF_.num_vgpr, 0
	.set _ZN7rocprim17ROCPRIM_400000_NS6detail17trampoline_kernelINS0_14default_configENS1_38merge_sort_block_merge_config_selectorIsNS0_10empty_typeEEEZZNS1_27merge_sort_block_merge_implIS3_PsPS5_jNS1_19radix_merge_compareILb1ELb1EsNS0_19identity_decomposerEEEEE10hipError_tT0_T1_T2_jT3_P12ihipStream_tbPNSt15iterator_traitsISE_E10value_typeEPNSK_ISF_E10value_typeEPSG_NS1_7vsmem_tEENKUlT_SE_SF_SG_E_clIS8_S8_S9_S9_EESD_ST_SE_SF_SG_EUlST_E_NS1_11comp_targetILNS1_3genE4ELNS1_11target_archE910ELNS1_3gpuE8ELNS1_3repE0EEENS1_48merge_mergepath_partition_config_static_selectorELNS0_4arch9wavefront6targetE0EEEvSF_.num_agpr, 0
	.set _ZN7rocprim17ROCPRIM_400000_NS6detail17trampoline_kernelINS0_14default_configENS1_38merge_sort_block_merge_config_selectorIsNS0_10empty_typeEEEZZNS1_27merge_sort_block_merge_implIS3_PsPS5_jNS1_19radix_merge_compareILb1ELb1EsNS0_19identity_decomposerEEEEE10hipError_tT0_T1_T2_jT3_P12ihipStream_tbPNSt15iterator_traitsISE_E10value_typeEPNSK_ISF_E10value_typeEPSG_NS1_7vsmem_tEENKUlT_SE_SF_SG_E_clIS8_S8_S9_S9_EESD_ST_SE_SF_SG_EUlST_E_NS1_11comp_targetILNS1_3genE4ELNS1_11target_archE910ELNS1_3gpuE8ELNS1_3repE0EEENS1_48merge_mergepath_partition_config_static_selectorELNS0_4arch9wavefront6targetE0EEEvSF_.numbered_sgpr, 0
	.set _ZN7rocprim17ROCPRIM_400000_NS6detail17trampoline_kernelINS0_14default_configENS1_38merge_sort_block_merge_config_selectorIsNS0_10empty_typeEEEZZNS1_27merge_sort_block_merge_implIS3_PsPS5_jNS1_19radix_merge_compareILb1ELb1EsNS0_19identity_decomposerEEEEE10hipError_tT0_T1_T2_jT3_P12ihipStream_tbPNSt15iterator_traitsISE_E10value_typeEPNSK_ISF_E10value_typeEPSG_NS1_7vsmem_tEENKUlT_SE_SF_SG_E_clIS8_S8_S9_S9_EESD_ST_SE_SF_SG_EUlST_E_NS1_11comp_targetILNS1_3genE4ELNS1_11target_archE910ELNS1_3gpuE8ELNS1_3repE0EEENS1_48merge_mergepath_partition_config_static_selectorELNS0_4arch9wavefront6targetE0EEEvSF_.num_named_barrier, 0
	.set _ZN7rocprim17ROCPRIM_400000_NS6detail17trampoline_kernelINS0_14default_configENS1_38merge_sort_block_merge_config_selectorIsNS0_10empty_typeEEEZZNS1_27merge_sort_block_merge_implIS3_PsPS5_jNS1_19radix_merge_compareILb1ELb1EsNS0_19identity_decomposerEEEEE10hipError_tT0_T1_T2_jT3_P12ihipStream_tbPNSt15iterator_traitsISE_E10value_typeEPNSK_ISF_E10value_typeEPSG_NS1_7vsmem_tEENKUlT_SE_SF_SG_E_clIS8_S8_S9_S9_EESD_ST_SE_SF_SG_EUlST_E_NS1_11comp_targetILNS1_3genE4ELNS1_11target_archE910ELNS1_3gpuE8ELNS1_3repE0EEENS1_48merge_mergepath_partition_config_static_selectorELNS0_4arch9wavefront6targetE0EEEvSF_.private_seg_size, 0
	.set _ZN7rocprim17ROCPRIM_400000_NS6detail17trampoline_kernelINS0_14default_configENS1_38merge_sort_block_merge_config_selectorIsNS0_10empty_typeEEEZZNS1_27merge_sort_block_merge_implIS3_PsPS5_jNS1_19radix_merge_compareILb1ELb1EsNS0_19identity_decomposerEEEEE10hipError_tT0_T1_T2_jT3_P12ihipStream_tbPNSt15iterator_traitsISE_E10value_typeEPNSK_ISF_E10value_typeEPSG_NS1_7vsmem_tEENKUlT_SE_SF_SG_E_clIS8_S8_S9_S9_EESD_ST_SE_SF_SG_EUlST_E_NS1_11comp_targetILNS1_3genE4ELNS1_11target_archE910ELNS1_3gpuE8ELNS1_3repE0EEENS1_48merge_mergepath_partition_config_static_selectorELNS0_4arch9wavefront6targetE0EEEvSF_.uses_vcc, 0
	.set _ZN7rocprim17ROCPRIM_400000_NS6detail17trampoline_kernelINS0_14default_configENS1_38merge_sort_block_merge_config_selectorIsNS0_10empty_typeEEEZZNS1_27merge_sort_block_merge_implIS3_PsPS5_jNS1_19radix_merge_compareILb1ELb1EsNS0_19identity_decomposerEEEEE10hipError_tT0_T1_T2_jT3_P12ihipStream_tbPNSt15iterator_traitsISE_E10value_typeEPNSK_ISF_E10value_typeEPSG_NS1_7vsmem_tEENKUlT_SE_SF_SG_E_clIS8_S8_S9_S9_EESD_ST_SE_SF_SG_EUlST_E_NS1_11comp_targetILNS1_3genE4ELNS1_11target_archE910ELNS1_3gpuE8ELNS1_3repE0EEENS1_48merge_mergepath_partition_config_static_selectorELNS0_4arch9wavefront6targetE0EEEvSF_.uses_flat_scratch, 0
	.set _ZN7rocprim17ROCPRIM_400000_NS6detail17trampoline_kernelINS0_14default_configENS1_38merge_sort_block_merge_config_selectorIsNS0_10empty_typeEEEZZNS1_27merge_sort_block_merge_implIS3_PsPS5_jNS1_19radix_merge_compareILb1ELb1EsNS0_19identity_decomposerEEEEE10hipError_tT0_T1_T2_jT3_P12ihipStream_tbPNSt15iterator_traitsISE_E10value_typeEPNSK_ISF_E10value_typeEPSG_NS1_7vsmem_tEENKUlT_SE_SF_SG_E_clIS8_S8_S9_S9_EESD_ST_SE_SF_SG_EUlST_E_NS1_11comp_targetILNS1_3genE4ELNS1_11target_archE910ELNS1_3gpuE8ELNS1_3repE0EEENS1_48merge_mergepath_partition_config_static_selectorELNS0_4arch9wavefront6targetE0EEEvSF_.has_dyn_sized_stack, 0
	.set _ZN7rocprim17ROCPRIM_400000_NS6detail17trampoline_kernelINS0_14default_configENS1_38merge_sort_block_merge_config_selectorIsNS0_10empty_typeEEEZZNS1_27merge_sort_block_merge_implIS3_PsPS5_jNS1_19radix_merge_compareILb1ELb1EsNS0_19identity_decomposerEEEEE10hipError_tT0_T1_T2_jT3_P12ihipStream_tbPNSt15iterator_traitsISE_E10value_typeEPNSK_ISF_E10value_typeEPSG_NS1_7vsmem_tEENKUlT_SE_SF_SG_E_clIS8_S8_S9_S9_EESD_ST_SE_SF_SG_EUlST_E_NS1_11comp_targetILNS1_3genE4ELNS1_11target_archE910ELNS1_3gpuE8ELNS1_3repE0EEENS1_48merge_mergepath_partition_config_static_selectorELNS0_4arch9wavefront6targetE0EEEvSF_.has_recursion, 0
	.set _ZN7rocprim17ROCPRIM_400000_NS6detail17trampoline_kernelINS0_14default_configENS1_38merge_sort_block_merge_config_selectorIsNS0_10empty_typeEEEZZNS1_27merge_sort_block_merge_implIS3_PsPS5_jNS1_19radix_merge_compareILb1ELb1EsNS0_19identity_decomposerEEEEE10hipError_tT0_T1_T2_jT3_P12ihipStream_tbPNSt15iterator_traitsISE_E10value_typeEPNSK_ISF_E10value_typeEPSG_NS1_7vsmem_tEENKUlT_SE_SF_SG_E_clIS8_S8_S9_S9_EESD_ST_SE_SF_SG_EUlST_E_NS1_11comp_targetILNS1_3genE4ELNS1_11target_archE910ELNS1_3gpuE8ELNS1_3repE0EEENS1_48merge_mergepath_partition_config_static_selectorELNS0_4arch9wavefront6targetE0EEEvSF_.has_indirect_call, 0
	.section	.AMDGPU.csdata,"",@progbits
; Kernel info:
; codeLenInByte = 0
; TotalNumSgprs: 0
; NumVgprs: 0
; ScratchSize: 0
; MemoryBound: 0
; FloatMode: 240
; IeeeMode: 1
; LDSByteSize: 0 bytes/workgroup (compile time only)
; SGPRBlocks: 0
; VGPRBlocks: 0
; NumSGPRsForWavesPerEU: 1
; NumVGPRsForWavesPerEU: 1
; NamedBarCnt: 0
; Occupancy: 16
; WaveLimiterHint : 0
; COMPUTE_PGM_RSRC2:SCRATCH_EN: 0
; COMPUTE_PGM_RSRC2:USER_SGPR: 2
; COMPUTE_PGM_RSRC2:TRAP_HANDLER: 0
; COMPUTE_PGM_RSRC2:TGID_X_EN: 1
; COMPUTE_PGM_RSRC2:TGID_Y_EN: 0
; COMPUTE_PGM_RSRC2:TGID_Z_EN: 0
; COMPUTE_PGM_RSRC2:TIDIG_COMP_CNT: 0
	.section	.text._ZN7rocprim17ROCPRIM_400000_NS6detail17trampoline_kernelINS0_14default_configENS1_38merge_sort_block_merge_config_selectorIsNS0_10empty_typeEEEZZNS1_27merge_sort_block_merge_implIS3_PsPS5_jNS1_19radix_merge_compareILb1ELb1EsNS0_19identity_decomposerEEEEE10hipError_tT0_T1_T2_jT3_P12ihipStream_tbPNSt15iterator_traitsISE_E10value_typeEPNSK_ISF_E10value_typeEPSG_NS1_7vsmem_tEENKUlT_SE_SF_SG_E_clIS8_S8_S9_S9_EESD_ST_SE_SF_SG_EUlST_E_NS1_11comp_targetILNS1_3genE3ELNS1_11target_archE908ELNS1_3gpuE7ELNS1_3repE0EEENS1_48merge_mergepath_partition_config_static_selectorELNS0_4arch9wavefront6targetE0EEEvSF_,"axG",@progbits,_ZN7rocprim17ROCPRIM_400000_NS6detail17trampoline_kernelINS0_14default_configENS1_38merge_sort_block_merge_config_selectorIsNS0_10empty_typeEEEZZNS1_27merge_sort_block_merge_implIS3_PsPS5_jNS1_19radix_merge_compareILb1ELb1EsNS0_19identity_decomposerEEEEE10hipError_tT0_T1_T2_jT3_P12ihipStream_tbPNSt15iterator_traitsISE_E10value_typeEPNSK_ISF_E10value_typeEPSG_NS1_7vsmem_tEENKUlT_SE_SF_SG_E_clIS8_S8_S9_S9_EESD_ST_SE_SF_SG_EUlST_E_NS1_11comp_targetILNS1_3genE3ELNS1_11target_archE908ELNS1_3gpuE7ELNS1_3repE0EEENS1_48merge_mergepath_partition_config_static_selectorELNS0_4arch9wavefront6targetE0EEEvSF_,comdat
	.protected	_ZN7rocprim17ROCPRIM_400000_NS6detail17trampoline_kernelINS0_14default_configENS1_38merge_sort_block_merge_config_selectorIsNS0_10empty_typeEEEZZNS1_27merge_sort_block_merge_implIS3_PsPS5_jNS1_19radix_merge_compareILb1ELb1EsNS0_19identity_decomposerEEEEE10hipError_tT0_T1_T2_jT3_P12ihipStream_tbPNSt15iterator_traitsISE_E10value_typeEPNSK_ISF_E10value_typeEPSG_NS1_7vsmem_tEENKUlT_SE_SF_SG_E_clIS8_S8_S9_S9_EESD_ST_SE_SF_SG_EUlST_E_NS1_11comp_targetILNS1_3genE3ELNS1_11target_archE908ELNS1_3gpuE7ELNS1_3repE0EEENS1_48merge_mergepath_partition_config_static_selectorELNS0_4arch9wavefront6targetE0EEEvSF_ ; -- Begin function _ZN7rocprim17ROCPRIM_400000_NS6detail17trampoline_kernelINS0_14default_configENS1_38merge_sort_block_merge_config_selectorIsNS0_10empty_typeEEEZZNS1_27merge_sort_block_merge_implIS3_PsPS5_jNS1_19radix_merge_compareILb1ELb1EsNS0_19identity_decomposerEEEEE10hipError_tT0_T1_T2_jT3_P12ihipStream_tbPNSt15iterator_traitsISE_E10value_typeEPNSK_ISF_E10value_typeEPSG_NS1_7vsmem_tEENKUlT_SE_SF_SG_E_clIS8_S8_S9_S9_EESD_ST_SE_SF_SG_EUlST_E_NS1_11comp_targetILNS1_3genE3ELNS1_11target_archE908ELNS1_3gpuE7ELNS1_3repE0EEENS1_48merge_mergepath_partition_config_static_selectorELNS0_4arch9wavefront6targetE0EEEvSF_
	.globl	_ZN7rocprim17ROCPRIM_400000_NS6detail17trampoline_kernelINS0_14default_configENS1_38merge_sort_block_merge_config_selectorIsNS0_10empty_typeEEEZZNS1_27merge_sort_block_merge_implIS3_PsPS5_jNS1_19radix_merge_compareILb1ELb1EsNS0_19identity_decomposerEEEEE10hipError_tT0_T1_T2_jT3_P12ihipStream_tbPNSt15iterator_traitsISE_E10value_typeEPNSK_ISF_E10value_typeEPSG_NS1_7vsmem_tEENKUlT_SE_SF_SG_E_clIS8_S8_S9_S9_EESD_ST_SE_SF_SG_EUlST_E_NS1_11comp_targetILNS1_3genE3ELNS1_11target_archE908ELNS1_3gpuE7ELNS1_3repE0EEENS1_48merge_mergepath_partition_config_static_selectorELNS0_4arch9wavefront6targetE0EEEvSF_
	.p2align	8
	.type	_ZN7rocprim17ROCPRIM_400000_NS6detail17trampoline_kernelINS0_14default_configENS1_38merge_sort_block_merge_config_selectorIsNS0_10empty_typeEEEZZNS1_27merge_sort_block_merge_implIS3_PsPS5_jNS1_19radix_merge_compareILb1ELb1EsNS0_19identity_decomposerEEEEE10hipError_tT0_T1_T2_jT3_P12ihipStream_tbPNSt15iterator_traitsISE_E10value_typeEPNSK_ISF_E10value_typeEPSG_NS1_7vsmem_tEENKUlT_SE_SF_SG_E_clIS8_S8_S9_S9_EESD_ST_SE_SF_SG_EUlST_E_NS1_11comp_targetILNS1_3genE3ELNS1_11target_archE908ELNS1_3gpuE7ELNS1_3repE0EEENS1_48merge_mergepath_partition_config_static_selectorELNS0_4arch9wavefront6targetE0EEEvSF_,@function
_ZN7rocprim17ROCPRIM_400000_NS6detail17trampoline_kernelINS0_14default_configENS1_38merge_sort_block_merge_config_selectorIsNS0_10empty_typeEEEZZNS1_27merge_sort_block_merge_implIS3_PsPS5_jNS1_19radix_merge_compareILb1ELb1EsNS0_19identity_decomposerEEEEE10hipError_tT0_T1_T2_jT3_P12ihipStream_tbPNSt15iterator_traitsISE_E10value_typeEPNSK_ISF_E10value_typeEPSG_NS1_7vsmem_tEENKUlT_SE_SF_SG_E_clIS8_S8_S9_S9_EESD_ST_SE_SF_SG_EUlST_E_NS1_11comp_targetILNS1_3genE3ELNS1_11target_archE908ELNS1_3gpuE7ELNS1_3repE0EEENS1_48merge_mergepath_partition_config_static_selectorELNS0_4arch9wavefront6targetE0EEEvSF_: ; @_ZN7rocprim17ROCPRIM_400000_NS6detail17trampoline_kernelINS0_14default_configENS1_38merge_sort_block_merge_config_selectorIsNS0_10empty_typeEEEZZNS1_27merge_sort_block_merge_implIS3_PsPS5_jNS1_19radix_merge_compareILb1ELb1EsNS0_19identity_decomposerEEEEE10hipError_tT0_T1_T2_jT3_P12ihipStream_tbPNSt15iterator_traitsISE_E10value_typeEPNSK_ISF_E10value_typeEPSG_NS1_7vsmem_tEENKUlT_SE_SF_SG_E_clIS8_S8_S9_S9_EESD_ST_SE_SF_SG_EUlST_E_NS1_11comp_targetILNS1_3genE3ELNS1_11target_archE908ELNS1_3gpuE7ELNS1_3repE0EEENS1_48merge_mergepath_partition_config_static_selectorELNS0_4arch9wavefront6targetE0EEEvSF_
; %bb.0:
	.section	.rodata,"a",@progbits
	.p2align	6, 0x0
	.amdhsa_kernel _ZN7rocprim17ROCPRIM_400000_NS6detail17trampoline_kernelINS0_14default_configENS1_38merge_sort_block_merge_config_selectorIsNS0_10empty_typeEEEZZNS1_27merge_sort_block_merge_implIS3_PsPS5_jNS1_19radix_merge_compareILb1ELb1EsNS0_19identity_decomposerEEEEE10hipError_tT0_T1_T2_jT3_P12ihipStream_tbPNSt15iterator_traitsISE_E10value_typeEPNSK_ISF_E10value_typeEPSG_NS1_7vsmem_tEENKUlT_SE_SF_SG_E_clIS8_S8_S9_S9_EESD_ST_SE_SF_SG_EUlST_E_NS1_11comp_targetILNS1_3genE3ELNS1_11target_archE908ELNS1_3gpuE7ELNS1_3repE0EEENS1_48merge_mergepath_partition_config_static_selectorELNS0_4arch9wavefront6targetE0EEEvSF_
		.amdhsa_group_segment_fixed_size 0
		.amdhsa_private_segment_fixed_size 0
		.amdhsa_kernarg_size 40
		.amdhsa_user_sgpr_count 2
		.amdhsa_user_sgpr_dispatch_ptr 0
		.amdhsa_user_sgpr_queue_ptr 0
		.amdhsa_user_sgpr_kernarg_segment_ptr 1
		.amdhsa_user_sgpr_dispatch_id 0
		.amdhsa_user_sgpr_kernarg_preload_length 0
		.amdhsa_user_sgpr_kernarg_preload_offset 0
		.amdhsa_user_sgpr_private_segment_size 0
		.amdhsa_wavefront_size32 1
		.amdhsa_uses_dynamic_stack 0
		.amdhsa_enable_private_segment 0
		.amdhsa_system_sgpr_workgroup_id_x 1
		.amdhsa_system_sgpr_workgroup_id_y 0
		.amdhsa_system_sgpr_workgroup_id_z 0
		.amdhsa_system_sgpr_workgroup_info 0
		.amdhsa_system_vgpr_workitem_id 0
		.amdhsa_next_free_vgpr 1
		.amdhsa_next_free_sgpr 1
		.amdhsa_named_barrier_count 0
		.amdhsa_reserve_vcc 0
		.amdhsa_float_round_mode_32 0
		.amdhsa_float_round_mode_16_64 0
		.amdhsa_float_denorm_mode_32 3
		.amdhsa_float_denorm_mode_16_64 3
		.amdhsa_fp16_overflow 0
		.amdhsa_memory_ordered 1
		.amdhsa_forward_progress 1
		.amdhsa_inst_pref_size 0
		.amdhsa_round_robin_scheduling 0
		.amdhsa_exception_fp_ieee_invalid_op 0
		.amdhsa_exception_fp_denorm_src 0
		.amdhsa_exception_fp_ieee_div_zero 0
		.amdhsa_exception_fp_ieee_overflow 0
		.amdhsa_exception_fp_ieee_underflow 0
		.amdhsa_exception_fp_ieee_inexact 0
		.amdhsa_exception_int_div_zero 0
	.end_amdhsa_kernel
	.section	.text._ZN7rocprim17ROCPRIM_400000_NS6detail17trampoline_kernelINS0_14default_configENS1_38merge_sort_block_merge_config_selectorIsNS0_10empty_typeEEEZZNS1_27merge_sort_block_merge_implIS3_PsPS5_jNS1_19radix_merge_compareILb1ELb1EsNS0_19identity_decomposerEEEEE10hipError_tT0_T1_T2_jT3_P12ihipStream_tbPNSt15iterator_traitsISE_E10value_typeEPNSK_ISF_E10value_typeEPSG_NS1_7vsmem_tEENKUlT_SE_SF_SG_E_clIS8_S8_S9_S9_EESD_ST_SE_SF_SG_EUlST_E_NS1_11comp_targetILNS1_3genE3ELNS1_11target_archE908ELNS1_3gpuE7ELNS1_3repE0EEENS1_48merge_mergepath_partition_config_static_selectorELNS0_4arch9wavefront6targetE0EEEvSF_,"axG",@progbits,_ZN7rocprim17ROCPRIM_400000_NS6detail17trampoline_kernelINS0_14default_configENS1_38merge_sort_block_merge_config_selectorIsNS0_10empty_typeEEEZZNS1_27merge_sort_block_merge_implIS3_PsPS5_jNS1_19radix_merge_compareILb1ELb1EsNS0_19identity_decomposerEEEEE10hipError_tT0_T1_T2_jT3_P12ihipStream_tbPNSt15iterator_traitsISE_E10value_typeEPNSK_ISF_E10value_typeEPSG_NS1_7vsmem_tEENKUlT_SE_SF_SG_E_clIS8_S8_S9_S9_EESD_ST_SE_SF_SG_EUlST_E_NS1_11comp_targetILNS1_3genE3ELNS1_11target_archE908ELNS1_3gpuE7ELNS1_3repE0EEENS1_48merge_mergepath_partition_config_static_selectorELNS0_4arch9wavefront6targetE0EEEvSF_,comdat
.Lfunc_end556:
	.size	_ZN7rocprim17ROCPRIM_400000_NS6detail17trampoline_kernelINS0_14default_configENS1_38merge_sort_block_merge_config_selectorIsNS0_10empty_typeEEEZZNS1_27merge_sort_block_merge_implIS3_PsPS5_jNS1_19radix_merge_compareILb1ELb1EsNS0_19identity_decomposerEEEEE10hipError_tT0_T1_T2_jT3_P12ihipStream_tbPNSt15iterator_traitsISE_E10value_typeEPNSK_ISF_E10value_typeEPSG_NS1_7vsmem_tEENKUlT_SE_SF_SG_E_clIS8_S8_S9_S9_EESD_ST_SE_SF_SG_EUlST_E_NS1_11comp_targetILNS1_3genE3ELNS1_11target_archE908ELNS1_3gpuE7ELNS1_3repE0EEENS1_48merge_mergepath_partition_config_static_selectorELNS0_4arch9wavefront6targetE0EEEvSF_, .Lfunc_end556-_ZN7rocprim17ROCPRIM_400000_NS6detail17trampoline_kernelINS0_14default_configENS1_38merge_sort_block_merge_config_selectorIsNS0_10empty_typeEEEZZNS1_27merge_sort_block_merge_implIS3_PsPS5_jNS1_19radix_merge_compareILb1ELb1EsNS0_19identity_decomposerEEEEE10hipError_tT0_T1_T2_jT3_P12ihipStream_tbPNSt15iterator_traitsISE_E10value_typeEPNSK_ISF_E10value_typeEPSG_NS1_7vsmem_tEENKUlT_SE_SF_SG_E_clIS8_S8_S9_S9_EESD_ST_SE_SF_SG_EUlST_E_NS1_11comp_targetILNS1_3genE3ELNS1_11target_archE908ELNS1_3gpuE7ELNS1_3repE0EEENS1_48merge_mergepath_partition_config_static_selectorELNS0_4arch9wavefront6targetE0EEEvSF_
                                        ; -- End function
	.set _ZN7rocprim17ROCPRIM_400000_NS6detail17trampoline_kernelINS0_14default_configENS1_38merge_sort_block_merge_config_selectorIsNS0_10empty_typeEEEZZNS1_27merge_sort_block_merge_implIS3_PsPS5_jNS1_19radix_merge_compareILb1ELb1EsNS0_19identity_decomposerEEEEE10hipError_tT0_T1_T2_jT3_P12ihipStream_tbPNSt15iterator_traitsISE_E10value_typeEPNSK_ISF_E10value_typeEPSG_NS1_7vsmem_tEENKUlT_SE_SF_SG_E_clIS8_S8_S9_S9_EESD_ST_SE_SF_SG_EUlST_E_NS1_11comp_targetILNS1_3genE3ELNS1_11target_archE908ELNS1_3gpuE7ELNS1_3repE0EEENS1_48merge_mergepath_partition_config_static_selectorELNS0_4arch9wavefront6targetE0EEEvSF_.num_vgpr, 0
	.set _ZN7rocprim17ROCPRIM_400000_NS6detail17trampoline_kernelINS0_14default_configENS1_38merge_sort_block_merge_config_selectorIsNS0_10empty_typeEEEZZNS1_27merge_sort_block_merge_implIS3_PsPS5_jNS1_19radix_merge_compareILb1ELb1EsNS0_19identity_decomposerEEEEE10hipError_tT0_T1_T2_jT3_P12ihipStream_tbPNSt15iterator_traitsISE_E10value_typeEPNSK_ISF_E10value_typeEPSG_NS1_7vsmem_tEENKUlT_SE_SF_SG_E_clIS8_S8_S9_S9_EESD_ST_SE_SF_SG_EUlST_E_NS1_11comp_targetILNS1_3genE3ELNS1_11target_archE908ELNS1_3gpuE7ELNS1_3repE0EEENS1_48merge_mergepath_partition_config_static_selectorELNS0_4arch9wavefront6targetE0EEEvSF_.num_agpr, 0
	.set _ZN7rocprim17ROCPRIM_400000_NS6detail17trampoline_kernelINS0_14default_configENS1_38merge_sort_block_merge_config_selectorIsNS0_10empty_typeEEEZZNS1_27merge_sort_block_merge_implIS3_PsPS5_jNS1_19radix_merge_compareILb1ELb1EsNS0_19identity_decomposerEEEEE10hipError_tT0_T1_T2_jT3_P12ihipStream_tbPNSt15iterator_traitsISE_E10value_typeEPNSK_ISF_E10value_typeEPSG_NS1_7vsmem_tEENKUlT_SE_SF_SG_E_clIS8_S8_S9_S9_EESD_ST_SE_SF_SG_EUlST_E_NS1_11comp_targetILNS1_3genE3ELNS1_11target_archE908ELNS1_3gpuE7ELNS1_3repE0EEENS1_48merge_mergepath_partition_config_static_selectorELNS0_4arch9wavefront6targetE0EEEvSF_.numbered_sgpr, 0
	.set _ZN7rocprim17ROCPRIM_400000_NS6detail17trampoline_kernelINS0_14default_configENS1_38merge_sort_block_merge_config_selectorIsNS0_10empty_typeEEEZZNS1_27merge_sort_block_merge_implIS3_PsPS5_jNS1_19radix_merge_compareILb1ELb1EsNS0_19identity_decomposerEEEEE10hipError_tT0_T1_T2_jT3_P12ihipStream_tbPNSt15iterator_traitsISE_E10value_typeEPNSK_ISF_E10value_typeEPSG_NS1_7vsmem_tEENKUlT_SE_SF_SG_E_clIS8_S8_S9_S9_EESD_ST_SE_SF_SG_EUlST_E_NS1_11comp_targetILNS1_3genE3ELNS1_11target_archE908ELNS1_3gpuE7ELNS1_3repE0EEENS1_48merge_mergepath_partition_config_static_selectorELNS0_4arch9wavefront6targetE0EEEvSF_.num_named_barrier, 0
	.set _ZN7rocprim17ROCPRIM_400000_NS6detail17trampoline_kernelINS0_14default_configENS1_38merge_sort_block_merge_config_selectorIsNS0_10empty_typeEEEZZNS1_27merge_sort_block_merge_implIS3_PsPS5_jNS1_19radix_merge_compareILb1ELb1EsNS0_19identity_decomposerEEEEE10hipError_tT0_T1_T2_jT3_P12ihipStream_tbPNSt15iterator_traitsISE_E10value_typeEPNSK_ISF_E10value_typeEPSG_NS1_7vsmem_tEENKUlT_SE_SF_SG_E_clIS8_S8_S9_S9_EESD_ST_SE_SF_SG_EUlST_E_NS1_11comp_targetILNS1_3genE3ELNS1_11target_archE908ELNS1_3gpuE7ELNS1_3repE0EEENS1_48merge_mergepath_partition_config_static_selectorELNS0_4arch9wavefront6targetE0EEEvSF_.private_seg_size, 0
	.set _ZN7rocprim17ROCPRIM_400000_NS6detail17trampoline_kernelINS0_14default_configENS1_38merge_sort_block_merge_config_selectorIsNS0_10empty_typeEEEZZNS1_27merge_sort_block_merge_implIS3_PsPS5_jNS1_19radix_merge_compareILb1ELb1EsNS0_19identity_decomposerEEEEE10hipError_tT0_T1_T2_jT3_P12ihipStream_tbPNSt15iterator_traitsISE_E10value_typeEPNSK_ISF_E10value_typeEPSG_NS1_7vsmem_tEENKUlT_SE_SF_SG_E_clIS8_S8_S9_S9_EESD_ST_SE_SF_SG_EUlST_E_NS1_11comp_targetILNS1_3genE3ELNS1_11target_archE908ELNS1_3gpuE7ELNS1_3repE0EEENS1_48merge_mergepath_partition_config_static_selectorELNS0_4arch9wavefront6targetE0EEEvSF_.uses_vcc, 0
	.set _ZN7rocprim17ROCPRIM_400000_NS6detail17trampoline_kernelINS0_14default_configENS1_38merge_sort_block_merge_config_selectorIsNS0_10empty_typeEEEZZNS1_27merge_sort_block_merge_implIS3_PsPS5_jNS1_19radix_merge_compareILb1ELb1EsNS0_19identity_decomposerEEEEE10hipError_tT0_T1_T2_jT3_P12ihipStream_tbPNSt15iterator_traitsISE_E10value_typeEPNSK_ISF_E10value_typeEPSG_NS1_7vsmem_tEENKUlT_SE_SF_SG_E_clIS8_S8_S9_S9_EESD_ST_SE_SF_SG_EUlST_E_NS1_11comp_targetILNS1_3genE3ELNS1_11target_archE908ELNS1_3gpuE7ELNS1_3repE0EEENS1_48merge_mergepath_partition_config_static_selectorELNS0_4arch9wavefront6targetE0EEEvSF_.uses_flat_scratch, 0
	.set _ZN7rocprim17ROCPRIM_400000_NS6detail17trampoline_kernelINS0_14default_configENS1_38merge_sort_block_merge_config_selectorIsNS0_10empty_typeEEEZZNS1_27merge_sort_block_merge_implIS3_PsPS5_jNS1_19radix_merge_compareILb1ELb1EsNS0_19identity_decomposerEEEEE10hipError_tT0_T1_T2_jT3_P12ihipStream_tbPNSt15iterator_traitsISE_E10value_typeEPNSK_ISF_E10value_typeEPSG_NS1_7vsmem_tEENKUlT_SE_SF_SG_E_clIS8_S8_S9_S9_EESD_ST_SE_SF_SG_EUlST_E_NS1_11comp_targetILNS1_3genE3ELNS1_11target_archE908ELNS1_3gpuE7ELNS1_3repE0EEENS1_48merge_mergepath_partition_config_static_selectorELNS0_4arch9wavefront6targetE0EEEvSF_.has_dyn_sized_stack, 0
	.set _ZN7rocprim17ROCPRIM_400000_NS6detail17trampoline_kernelINS0_14default_configENS1_38merge_sort_block_merge_config_selectorIsNS0_10empty_typeEEEZZNS1_27merge_sort_block_merge_implIS3_PsPS5_jNS1_19radix_merge_compareILb1ELb1EsNS0_19identity_decomposerEEEEE10hipError_tT0_T1_T2_jT3_P12ihipStream_tbPNSt15iterator_traitsISE_E10value_typeEPNSK_ISF_E10value_typeEPSG_NS1_7vsmem_tEENKUlT_SE_SF_SG_E_clIS8_S8_S9_S9_EESD_ST_SE_SF_SG_EUlST_E_NS1_11comp_targetILNS1_3genE3ELNS1_11target_archE908ELNS1_3gpuE7ELNS1_3repE0EEENS1_48merge_mergepath_partition_config_static_selectorELNS0_4arch9wavefront6targetE0EEEvSF_.has_recursion, 0
	.set _ZN7rocprim17ROCPRIM_400000_NS6detail17trampoline_kernelINS0_14default_configENS1_38merge_sort_block_merge_config_selectorIsNS0_10empty_typeEEEZZNS1_27merge_sort_block_merge_implIS3_PsPS5_jNS1_19radix_merge_compareILb1ELb1EsNS0_19identity_decomposerEEEEE10hipError_tT0_T1_T2_jT3_P12ihipStream_tbPNSt15iterator_traitsISE_E10value_typeEPNSK_ISF_E10value_typeEPSG_NS1_7vsmem_tEENKUlT_SE_SF_SG_E_clIS8_S8_S9_S9_EESD_ST_SE_SF_SG_EUlST_E_NS1_11comp_targetILNS1_3genE3ELNS1_11target_archE908ELNS1_3gpuE7ELNS1_3repE0EEENS1_48merge_mergepath_partition_config_static_selectorELNS0_4arch9wavefront6targetE0EEEvSF_.has_indirect_call, 0
	.section	.AMDGPU.csdata,"",@progbits
; Kernel info:
; codeLenInByte = 0
; TotalNumSgprs: 0
; NumVgprs: 0
; ScratchSize: 0
; MemoryBound: 0
; FloatMode: 240
; IeeeMode: 1
; LDSByteSize: 0 bytes/workgroup (compile time only)
; SGPRBlocks: 0
; VGPRBlocks: 0
; NumSGPRsForWavesPerEU: 1
; NumVGPRsForWavesPerEU: 1
; NamedBarCnt: 0
; Occupancy: 16
; WaveLimiterHint : 0
; COMPUTE_PGM_RSRC2:SCRATCH_EN: 0
; COMPUTE_PGM_RSRC2:USER_SGPR: 2
; COMPUTE_PGM_RSRC2:TRAP_HANDLER: 0
; COMPUTE_PGM_RSRC2:TGID_X_EN: 1
; COMPUTE_PGM_RSRC2:TGID_Y_EN: 0
; COMPUTE_PGM_RSRC2:TGID_Z_EN: 0
; COMPUTE_PGM_RSRC2:TIDIG_COMP_CNT: 0
	.section	.text._ZN7rocprim17ROCPRIM_400000_NS6detail17trampoline_kernelINS0_14default_configENS1_38merge_sort_block_merge_config_selectorIsNS0_10empty_typeEEEZZNS1_27merge_sort_block_merge_implIS3_PsPS5_jNS1_19radix_merge_compareILb1ELb1EsNS0_19identity_decomposerEEEEE10hipError_tT0_T1_T2_jT3_P12ihipStream_tbPNSt15iterator_traitsISE_E10value_typeEPNSK_ISF_E10value_typeEPSG_NS1_7vsmem_tEENKUlT_SE_SF_SG_E_clIS8_S8_S9_S9_EESD_ST_SE_SF_SG_EUlST_E_NS1_11comp_targetILNS1_3genE2ELNS1_11target_archE906ELNS1_3gpuE6ELNS1_3repE0EEENS1_48merge_mergepath_partition_config_static_selectorELNS0_4arch9wavefront6targetE0EEEvSF_,"axG",@progbits,_ZN7rocprim17ROCPRIM_400000_NS6detail17trampoline_kernelINS0_14default_configENS1_38merge_sort_block_merge_config_selectorIsNS0_10empty_typeEEEZZNS1_27merge_sort_block_merge_implIS3_PsPS5_jNS1_19radix_merge_compareILb1ELb1EsNS0_19identity_decomposerEEEEE10hipError_tT0_T1_T2_jT3_P12ihipStream_tbPNSt15iterator_traitsISE_E10value_typeEPNSK_ISF_E10value_typeEPSG_NS1_7vsmem_tEENKUlT_SE_SF_SG_E_clIS8_S8_S9_S9_EESD_ST_SE_SF_SG_EUlST_E_NS1_11comp_targetILNS1_3genE2ELNS1_11target_archE906ELNS1_3gpuE6ELNS1_3repE0EEENS1_48merge_mergepath_partition_config_static_selectorELNS0_4arch9wavefront6targetE0EEEvSF_,comdat
	.protected	_ZN7rocprim17ROCPRIM_400000_NS6detail17trampoline_kernelINS0_14default_configENS1_38merge_sort_block_merge_config_selectorIsNS0_10empty_typeEEEZZNS1_27merge_sort_block_merge_implIS3_PsPS5_jNS1_19radix_merge_compareILb1ELb1EsNS0_19identity_decomposerEEEEE10hipError_tT0_T1_T2_jT3_P12ihipStream_tbPNSt15iterator_traitsISE_E10value_typeEPNSK_ISF_E10value_typeEPSG_NS1_7vsmem_tEENKUlT_SE_SF_SG_E_clIS8_S8_S9_S9_EESD_ST_SE_SF_SG_EUlST_E_NS1_11comp_targetILNS1_3genE2ELNS1_11target_archE906ELNS1_3gpuE6ELNS1_3repE0EEENS1_48merge_mergepath_partition_config_static_selectorELNS0_4arch9wavefront6targetE0EEEvSF_ ; -- Begin function _ZN7rocprim17ROCPRIM_400000_NS6detail17trampoline_kernelINS0_14default_configENS1_38merge_sort_block_merge_config_selectorIsNS0_10empty_typeEEEZZNS1_27merge_sort_block_merge_implIS3_PsPS5_jNS1_19radix_merge_compareILb1ELb1EsNS0_19identity_decomposerEEEEE10hipError_tT0_T1_T2_jT3_P12ihipStream_tbPNSt15iterator_traitsISE_E10value_typeEPNSK_ISF_E10value_typeEPSG_NS1_7vsmem_tEENKUlT_SE_SF_SG_E_clIS8_S8_S9_S9_EESD_ST_SE_SF_SG_EUlST_E_NS1_11comp_targetILNS1_3genE2ELNS1_11target_archE906ELNS1_3gpuE6ELNS1_3repE0EEENS1_48merge_mergepath_partition_config_static_selectorELNS0_4arch9wavefront6targetE0EEEvSF_
	.globl	_ZN7rocprim17ROCPRIM_400000_NS6detail17trampoline_kernelINS0_14default_configENS1_38merge_sort_block_merge_config_selectorIsNS0_10empty_typeEEEZZNS1_27merge_sort_block_merge_implIS3_PsPS5_jNS1_19radix_merge_compareILb1ELb1EsNS0_19identity_decomposerEEEEE10hipError_tT0_T1_T2_jT3_P12ihipStream_tbPNSt15iterator_traitsISE_E10value_typeEPNSK_ISF_E10value_typeEPSG_NS1_7vsmem_tEENKUlT_SE_SF_SG_E_clIS8_S8_S9_S9_EESD_ST_SE_SF_SG_EUlST_E_NS1_11comp_targetILNS1_3genE2ELNS1_11target_archE906ELNS1_3gpuE6ELNS1_3repE0EEENS1_48merge_mergepath_partition_config_static_selectorELNS0_4arch9wavefront6targetE0EEEvSF_
	.p2align	8
	.type	_ZN7rocprim17ROCPRIM_400000_NS6detail17trampoline_kernelINS0_14default_configENS1_38merge_sort_block_merge_config_selectorIsNS0_10empty_typeEEEZZNS1_27merge_sort_block_merge_implIS3_PsPS5_jNS1_19radix_merge_compareILb1ELb1EsNS0_19identity_decomposerEEEEE10hipError_tT0_T1_T2_jT3_P12ihipStream_tbPNSt15iterator_traitsISE_E10value_typeEPNSK_ISF_E10value_typeEPSG_NS1_7vsmem_tEENKUlT_SE_SF_SG_E_clIS8_S8_S9_S9_EESD_ST_SE_SF_SG_EUlST_E_NS1_11comp_targetILNS1_3genE2ELNS1_11target_archE906ELNS1_3gpuE6ELNS1_3repE0EEENS1_48merge_mergepath_partition_config_static_selectorELNS0_4arch9wavefront6targetE0EEEvSF_,@function
_ZN7rocprim17ROCPRIM_400000_NS6detail17trampoline_kernelINS0_14default_configENS1_38merge_sort_block_merge_config_selectorIsNS0_10empty_typeEEEZZNS1_27merge_sort_block_merge_implIS3_PsPS5_jNS1_19radix_merge_compareILb1ELb1EsNS0_19identity_decomposerEEEEE10hipError_tT0_T1_T2_jT3_P12ihipStream_tbPNSt15iterator_traitsISE_E10value_typeEPNSK_ISF_E10value_typeEPSG_NS1_7vsmem_tEENKUlT_SE_SF_SG_E_clIS8_S8_S9_S9_EESD_ST_SE_SF_SG_EUlST_E_NS1_11comp_targetILNS1_3genE2ELNS1_11target_archE906ELNS1_3gpuE6ELNS1_3repE0EEENS1_48merge_mergepath_partition_config_static_selectorELNS0_4arch9wavefront6targetE0EEEvSF_: ; @_ZN7rocprim17ROCPRIM_400000_NS6detail17trampoline_kernelINS0_14default_configENS1_38merge_sort_block_merge_config_selectorIsNS0_10empty_typeEEEZZNS1_27merge_sort_block_merge_implIS3_PsPS5_jNS1_19radix_merge_compareILb1ELb1EsNS0_19identity_decomposerEEEEE10hipError_tT0_T1_T2_jT3_P12ihipStream_tbPNSt15iterator_traitsISE_E10value_typeEPNSK_ISF_E10value_typeEPSG_NS1_7vsmem_tEENKUlT_SE_SF_SG_E_clIS8_S8_S9_S9_EESD_ST_SE_SF_SG_EUlST_E_NS1_11comp_targetILNS1_3genE2ELNS1_11target_archE906ELNS1_3gpuE6ELNS1_3repE0EEENS1_48merge_mergepath_partition_config_static_selectorELNS0_4arch9wavefront6targetE0EEEvSF_
; %bb.0:
	.section	.rodata,"a",@progbits
	.p2align	6, 0x0
	.amdhsa_kernel _ZN7rocprim17ROCPRIM_400000_NS6detail17trampoline_kernelINS0_14default_configENS1_38merge_sort_block_merge_config_selectorIsNS0_10empty_typeEEEZZNS1_27merge_sort_block_merge_implIS3_PsPS5_jNS1_19radix_merge_compareILb1ELb1EsNS0_19identity_decomposerEEEEE10hipError_tT0_T1_T2_jT3_P12ihipStream_tbPNSt15iterator_traitsISE_E10value_typeEPNSK_ISF_E10value_typeEPSG_NS1_7vsmem_tEENKUlT_SE_SF_SG_E_clIS8_S8_S9_S9_EESD_ST_SE_SF_SG_EUlST_E_NS1_11comp_targetILNS1_3genE2ELNS1_11target_archE906ELNS1_3gpuE6ELNS1_3repE0EEENS1_48merge_mergepath_partition_config_static_selectorELNS0_4arch9wavefront6targetE0EEEvSF_
		.amdhsa_group_segment_fixed_size 0
		.amdhsa_private_segment_fixed_size 0
		.amdhsa_kernarg_size 40
		.amdhsa_user_sgpr_count 2
		.amdhsa_user_sgpr_dispatch_ptr 0
		.amdhsa_user_sgpr_queue_ptr 0
		.amdhsa_user_sgpr_kernarg_segment_ptr 1
		.amdhsa_user_sgpr_dispatch_id 0
		.amdhsa_user_sgpr_kernarg_preload_length 0
		.amdhsa_user_sgpr_kernarg_preload_offset 0
		.amdhsa_user_sgpr_private_segment_size 0
		.amdhsa_wavefront_size32 1
		.amdhsa_uses_dynamic_stack 0
		.amdhsa_enable_private_segment 0
		.amdhsa_system_sgpr_workgroup_id_x 1
		.amdhsa_system_sgpr_workgroup_id_y 0
		.amdhsa_system_sgpr_workgroup_id_z 0
		.amdhsa_system_sgpr_workgroup_info 0
		.amdhsa_system_vgpr_workitem_id 0
		.amdhsa_next_free_vgpr 1
		.amdhsa_next_free_sgpr 1
		.amdhsa_named_barrier_count 0
		.amdhsa_reserve_vcc 0
		.amdhsa_float_round_mode_32 0
		.amdhsa_float_round_mode_16_64 0
		.amdhsa_float_denorm_mode_32 3
		.amdhsa_float_denorm_mode_16_64 3
		.amdhsa_fp16_overflow 0
		.amdhsa_memory_ordered 1
		.amdhsa_forward_progress 1
		.amdhsa_inst_pref_size 0
		.amdhsa_round_robin_scheduling 0
		.amdhsa_exception_fp_ieee_invalid_op 0
		.amdhsa_exception_fp_denorm_src 0
		.amdhsa_exception_fp_ieee_div_zero 0
		.amdhsa_exception_fp_ieee_overflow 0
		.amdhsa_exception_fp_ieee_underflow 0
		.amdhsa_exception_fp_ieee_inexact 0
		.amdhsa_exception_int_div_zero 0
	.end_amdhsa_kernel
	.section	.text._ZN7rocprim17ROCPRIM_400000_NS6detail17trampoline_kernelINS0_14default_configENS1_38merge_sort_block_merge_config_selectorIsNS0_10empty_typeEEEZZNS1_27merge_sort_block_merge_implIS3_PsPS5_jNS1_19radix_merge_compareILb1ELb1EsNS0_19identity_decomposerEEEEE10hipError_tT0_T1_T2_jT3_P12ihipStream_tbPNSt15iterator_traitsISE_E10value_typeEPNSK_ISF_E10value_typeEPSG_NS1_7vsmem_tEENKUlT_SE_SF_SG_E_clIS8_S8_S9_S9_EESD_ST_SE_SF_SG_EUlST_E_NS1_11comp_targetILNS1_3genE2ELNS1_11target_archE906ELNS1_3gpuE6ELNS1_3repE0EEENS1_48merge_mergepath_partition_config_static_selectorELNS0_4arch9wavefront6targetE0EEEvSF_,"axG",@progbits,_ZN7rocprim17ROCPRIM_400000_NS6detail17trampoline_kernelINS0_14default_configENS1_38merge_sort_block_merge_config_selectorIsNS0_10empty_typeEEEZZNS1_27merge_sort_block_merge_implIS3_PsPS5_jNS1_19radix_merge_compareILb1ELb1EsNS0_19identity_decomposerEEEEE10hipError_tT0_T1_T2_jT3_P12ihipStream_tbPNSt15iterator_traitsISE_E10value_typeEPNSK_ISF_E10value_typeEPSG_NS1_7vsmem_tEENKUlT_SE_SF_SG_E_clIS8_S8_S9_S9_EESD_ST_SE_SF_SG_EUlST_E_NS1_11comp_targetILNS1_3genE2ELNS1_11target_archE906ELNS1_3gpuE6ELNS1_3repE0EEENS1_48merge_mergepath_partition_config_static_selectorELNS0_4arch9wavefront6targetE0EEEvSF_,comdat
.Lfunc_end557:
	.size	_ZN7rocprim17ROCPRIM_400000_NS6detail17trampoline_kernelINS0_14default_configENS1_38merge_sort_block_merge_config_selectorIsNS0_10empty_typeEEEZZNS1_27merge_sort_block_merge_implIS3_PsPS5_jNS1_19radix_merge_compareILb1ELb1EsNS0_19identity_decomposerEEEEE10hipError_tT0_T1_T2_jT3_P12ihipStream_tbPNSt15iterator_traitsISE_E10value_typeEPNSK_ISF_E10value_typeEPSG_NS1_7vsmem_tEENKUlT_SE_SF_SG_E_clIS8_S8_S9_S9_EESD_ST_SE_SF_SG_EUlST_E_NS1_11comp_targetILNS1_3genE2ELNS1_11target_archE906ELNS1_3gpuE6ELNS1_3repE0EEENS1_48merge_mergepath_partition_config_static_selectorELNS0_4arch9wavefront6targetE0EEEvSF_, .Lfunc_end557-_ZN7rocprim17ROCPRIM_400000_NS6detail17trampoline_kernelINS0_14default_configENS1_38merge_sort_block_merge_config_selectorIsNS0_10empty_typeEEEZZNS1_27merge_sort_block_merge_implIS3_PsPS5_jNS1_19radix_merge_compareILb1ELb1EsNS0_19identity_decomposerEEEEE10hipError_tT0_T1_T2_jT3_P12ihipStream_tbPNSt15iterator_traitsISE_E10value_typeEPNSK_ISF_E10value_typeEPSG_NS1_7vsmem_tEENKUlT_SE_SF_SG_E_clIS8_S8_S9_S9_EESD_ST_SE_SF_SG_EUlST_E_NS1_11comp_targetILNS1_3genE2ELNS1_11target_archE906ELNS1_3gpuE6ELNS1_3repE0EEENS1_48merge_mergepath_partition_config_static_selectorELNS0_4arch9wavefront6targetE0EEEvSF_
                                        ; -- End function
	.set _ZN7rocprim17ROCPRIM_400000_NS6detail17trampoline_kernelINS0_14default_configENS1_38merge_sort_block_merge_config_selectorIsNS0_10empty_typeEEEZZNS1_27merge_sort_block_merge_implIS3_PsPS5_jNS1_19radix_merge_compareILb1ELb1EsNS0_19identity_decomposerEEEEE10hipError_tT0_T1_T2_jT3_P12ihipStream_tbPNSt15iterator_traitsISE_E10value_typeEPNSK_ISF_E10value_typeEPSG_NS1_7vsmem_tEENKUlT_SE_SF_SG_E_clIS8_S8_S9_S9_EESD_ST_SE_SF_SG_EUlST_E_NS1_11comp_targetILNS1_3genE2ELNS1_11target_archE906ELNS1_3gpuE6ELNS1_3repE0EEENS1_48merge_mergepath_partition_config_static_selectorELNS0_4arch9wavefront6targetE0EEEvSF_.num_vgpr, 0
	.set _ZN7rocprim17ROCPRIM_400000_NS6detail17trampoline_kernelINS0_14default_configENS1_38merge_sort_block_merge_config_selectorIsNS0_10empty_typeEEEZZNS1_27merge_sort_block_merge_implIS3_PsPS5_jNS1_19radix_merge_compareILb1ELb1EsNS0_19identity_decomposerEEEEE10hipError_tT0_T1_T2_jT3_P12ihipStream_tbPNSt15iterator_traitsISE_E10value_typeEPNSK_ISF_E10value_typeEPSG_NS1_7vsmem_tEENKUlT_SE_SF_SG_E_clIS8_S8_S9_S9_EESD_ST_SE_SF_SG_EUlST_E_NS1_11comp_targetILNS1_3genE2ELNS1_11target_archE906ELNS1_3gpuE6ELNS1_3repE0EEENS1_48merge_mergepath_partition_config_static_selectorELNS0_4arch9wavefront6targetE0EEEvSF_.num_agpr, 0
	.set _ZN7rocprim17ROCPRIM_400000_NS6detail17trampoline_kernelINS0_14default_configENS1_38merge_sort_block_merge_config_selectorIsNS0_10empty_typeEEEZZNS1_27merge_sort_block_merge_implIS3_PsPS5_jNS1_19radix_merge_compareILb1ELb1EsNS0_19identity_decomposerEEEEE10hipError_tT0_T1_T2_jT3_P12ihipStream_tbPNSt15iterator_traitsISE_E10value_typeEPNSK_ISF_E10value_typeEPSG_NS1_7vsmem_tEENKUlT_SE_SF_SG_E_clIS8_S8_S9_S9_EESD_ST_SE_SF_SG_EUlST_E_NS1_11comp_targetILNS1_3genE2ELNS1_11target_archE906ELNS1_3gpuE6ELNS1_3repE0EEENS1_48merge_mergepath_partition_config_static_selectorELNS0_4arch9wavefront6targetE0EEEvSF_.numbered_sgpr, 0
	.set _ZN7rocprim17ROCPRIM_400000_NS6detail17trampoline_kernelINS0_14default_configENS1_38merge_sort_block_merge_config_selectorIsNS0_10empty_typeEEEZZNS1_27merge_sort_block_merge_implIS3_PsPS5_jNS1_19radix_merge_compareILb1ELb1EsNS0_19identity_decomposerEEEEE10hipError_tT0_T1_T2_jT3_P12ihipStream_tbPNSt15iterator_traitsISE_E10value_typeEPNSK_ISF_E10value_typeEPSG_NS1_7vsmem_tEENKUlT_SE_SF_SG_E_clIS8_S8_S9_S9_EESD_ST_SE_SF_SG_EUlST_E_NS1_11comp_targetILNS1_3genE2ELNS1_11target_archE906ELNS1_3gpuE6ELNS1_3repE0EEENS1_48merge_mergepath_partition_config_static_selectorELNS0_4arch9wavefront6targetE0EEEvSF_.num_named_barrier, 0
	.set _ZN7rocprim17ROCPRIM_400000_NS6detail17trampoline_kernelINS0_14default_configENS1_38merge_sort_block_merge_config_selectorIsNS0_10empty_typeEEEZZNS1_27merge_sort_block_merge_implIS3_PsPS5_jNS1_19radix_merge_compareILb1ELb1EsNS0_19identity_decomposerEEEEE10hipError_tT0_T1_T2_jT3_P12ihipStream_tbPNSt15iterator_traitsISE_E10value_typeEPNSK_ISF_E10value_typeEPSG_NS1_7vsmem_tEENKUlT_SE_SF_SG_E_clIS8_S8_S9_S9_EESD_ST_SE_SF_SG_EUlST_E_NS1_11comp_targetILNS1_3genE2ELNS1_11target_archE906ELNS1_3gpuE6ELNS1_3repE0EEENS1_48merge_mergepath_partition_config_static_selectorELNS0_4arch9wavefront6targetE0EEEvSF_.private_seg_size, 0
	.set _ZN7rocprim17ROCPRIM_400000_NS6detail17trampoline_kernelINS0_14default_configENS1_38merge_sort_block_merge_config_selectorIsNS0_10empty_typeEEEZZNS1_27merge_sort_block_merge_implIS3_PsPS5_jNS1_19radix_merge_compareILb1ELb1EsNS0_19identity_decomposerEEEEE10hipError_tT0_T1_T2_jT3_P12ihipStream_tbPNSt15iterator_traitsISE_E10value_typeEPNSK_ISF_E10value_typeEPSG_NS1_7vsmem_tEENKUlT_SE_SF_SG_E_clIS8_S8_S9_S9_EESD_ST_SE_SF_SG_EUlST_E_NS1_11comp_targetILNS1_3genE2ELNS1_11target_archE906ELNS1_3gpuE6ELNS1_3repE0EEENS1_48merge_mergepath_partition_config_static_selectorELNS0_4arch9wavefront6targetE0EEEvSF_.uses_vcc, 0
	.set _ZN7rocprim17ROCPRIM_400000_NS6detail17trampoline_kernelINS0_14default_configENS1_38merge_sort_block_merge_config_selectorIsNS0_10empty_typeEEEZZNS1_27merge_sort_block_merge_implIS3_PsPS5_jNS1_19radix_merge_compareILb1ELb1EsNS0_19identity_decomposerEEEEE10hipError_tT0_T1_T2_jT3_P12ihipStream_tbPNSt15iterator_traitsISE_E10value_typeEPNSK_ISF_E10value_typeEPSG_NS1_7vsmem_tEENKUlT_SE_SF_SG_E_clIS8_S8_S9_S9_EESD_ST_SE_SF_SG_EUlST_E_NS1_11comp_targetILNS1_3genE2ELNS1_11target_archE906ELNS1_3gpuE6ELNS1_3repE0EEENS1_48merge_mergepath_partition_config_static_selectorELNS0_4arch9wavefront6targetE0EEEvSF_.uses_flat_scratch, 0
	.set _ZN7rocprim17ROCPRIM_400000_NS6detail17trampoline_kernelINS0_14default_configENS1_38merge_sort_block_merge_config_selectorIsNS0_10empty_typeEEEZZNS1_27merge_sort_block_merge_implIS3_PsPS5_jNS1_19radix_merge_compareILb1ELb1EsNS0_19identity_decomposerEEEEE10hipError_tT0_T1_T2_jT3_P12ihipStream_tbPNSt15iterator_traitsISE_E10value_typeEPNSK_ISF_E10value_typeEPSG_NS1_7vsmem_tEENKUlT_SE_SF_SG_E_clIS8_S8_S9_S9_EESD_ST_SE_SF_SG_EUlST_E_NS1_11comp_targetILNS1_3genE2ELNS1_11target_archE906ELNS1_3gpuE6ELNS1_3repE0EEENS1_48merge_mergepath_partition_config_static_selectorELNS0_4arch9wavefront6targetE0EEEvSF_.has_dyn_sized_stack, 0
	.set _ZN7rocprim17ROCPRIM_400000_NS6detail17trampoline_kernelINS0_14default_configENS1_38merge_sort_block_merge_config_selectorIsNS0_10empty_typeEEEZZNS1_27merge_sort_block_merge_implIS3_PsPS5_jNS1_19radix_merge_compareILb1ELb1EsNS0_19identity_decomposerEEEEE10hipError_tT0_T1_T2_jT3_P12ihipStream_tbPNSt15iterator_traitsISE_E10value_typeEPNSK_ISF_E10value_typeEPSG_NS1_7vsmem_tEENKUlT_SE_SF_SG_E_clIS8_S8_S9_S9_EESD_ST_SE_SF_SG_EUlST_E_NS1_11comp_targetILNS1_3genE2ELNS1_11target_archE906ELNS1_3gpuE6ELNS1_3repE0EEENS1_48merge_mergepath_partition_config_static_selectorELNS0_4arch9wavefront6targetE0EEEvSF_.has_recursion, 0
	.set _ZN7rocprim17ROCPRIM_400000_NS6detail17trampoline_kernelINS0_14default_configENS1_38merge_sort_block_merge_config_selectorIsNS0_10empty_typeEEEZZNS1_27merge_sort_block_merge_implIS3_PsPS5_jNS1_19radix_merge_compareILb1ELb1EsNS0_19identity_decomposerEEEEE10hipError_tT0_T1_T2_jT3_P12ihipStream_tbPNSt15iterator_traitsISE_E10value_typeEPNSK_ISF_E10value_typeEPSG_NS1_7vsmem_tEENKUlT_SE_SF_SG_E_clIS8_S8_S9_S9_EESD_ST_SE_SF_SG_EUlST_E_NS1_11comp_targetILNS1_3genE2ELNS1_11target_archE906ELNS1_3gpuE6ELNS1_3repE0EEENS1_48merge_mergepath_partition_config_static_selectorELNS0_4arch9wavefront6targetE0EEEvSF_.has_indirect_call, 0
	.section	.AMDGPU.csdata,"",@progbits
; Kernel info:
; codeLenInByte = 0
; TotalNumSgprs: 0
; NumVgprs: 0
; ScratchSize: 0
; MemoryBound: 0
; FloatMode: 240
; IeeeMode: 1
; LDSByteSize: 0 bytes/workgroup (compile time only)
; SGPRBlocks: 0
; VGPRBlocks: 0
; NumSGPRsForWavesPerEU: 1
; NumVGPRsForWavesPerEU: 1
; NamedBarCnt: 0
; Occupancy: 16
; WaveLimiterHint : 0
; COMPUTE_PGM_RSRC2:SCRATCH_EN: 0
; COMPUTE_PGM_RSRC2:USER_SGPR: 2
; COMPUTE_PGM_RSRC2:TRAP_HANDLER: 0
; COMPUTE_PGM_RSRC2:TGID_X_EN: 1
; COMPUTE_PGM_RSRC2:TGID_Y_EN: 0
; COMPUTE_PGM_RSRC2:TGID_Z_EN: 0
; COMPUTE_PGM_RSRC2:TIDIG_COMP_CNT: 0
	.section	.text._ZN7rocprim17ROCPRIM_400000_NS6detail17trampoline_kernelINS0_14default_configENS1_38merge_sort_block_merge_config_selectorIsNS0_10empty_typeEEEZZNS1_27merge_sort_block_merge_implIS3_PsPS5_jNS1_19radix_merge_compareILb1ELb1EsNS0_19identity_decomposerEEEEE10hipError_tT0_T1_T2_jT3_P12ihipStream_tbPNSt15iterator_traitsISE_E10value_typeEPNSK_ISF_E10value_typeEPSG_NS1_7vsmem_tEENKUlT_SE_SF_SG_E_clIS8_S8_S9_S9_EESD_ST_SE_SF_SG_EUlST_E_NS1_11comp_targetILNS1_3genE9ELNS1_11target_archE1100ELNS1_3gpuE3ELNS1_3repE0EEENS1_48merge_mergepath_partition_config_static_selectorELNS0_4arch9wavefront6targetE0EEEvSF_,"axG",@progbits,_ZN7rocprim17ROCPRIM_400000_NS6detail17trampoline_kernelINS0_14default_configENS1_38merge_sort_block_merge_config_selectorIsNS0_10empty_typeEEEZZNS1_27merge_sort_block_merge_implIS3_PsPS5_jNS1_19radix_merge_compareILb1ELb1EsNS0_19identity_decomposerEEEEE10hipError_tT0_T1_T2_jT3_P12ihipStream_tbPNSt15iterator_traitsISE_E10value_typeEPNSK_ISF_E10value_typeEPSG_NS1_7vsmem_tEENKUlT_SE_SF_SG_E_clIS8_S8_S9_S9_EESD_ST_SE_SF_SG_EUlST_E_NS1_11comp_targetILNS1_3genE9ELNS1_11target_archE1100ELNS1_3gpuE3ELNS1_3repE0EEENS1_48merge_mergepath_partition_config_static_selectorELNS0_4arch9wavefront6targetE0EEEvSF_,comdat
	.protected	_ZN7rocprim17ROCPRIM_400000_NS6detail17trampoline_kernelINS0_14default_configENS1_38merge_sort_block_merge_config_selectorIsNS0_10empty_typeEEEZZNS1_27merge_sort_block_merge_implIS3_PsPS5_jNS1_19radix_merge_compareILb1ELb1EsNS0_19identity_decomposerEEEEE10hipError_tT0_T1_T2_jT3_P12ihipStream_tbPNSt15iterator_traitsISE_E10value_typeEPNSK_ISF_E10value_typeEPSG_NS1_7vsmem_tEENKUlT_SE_SF_SG_E_clIS8_S8_S9_S9_EESD_ST_SE_SF_SG_EUlST_E_NS1_11comp_targetILNS1_3genE9ELNS1_11target_archE1100ELNS1_3gpuE3ELNS1_3repE0EEENS1_48merge_mergepath_partition_config_static_selectorELNS0_4arch9wavefront6targetE0EEEvSF_ ; -- Begin function _ZN7rocprim17ROCPRIM_400000_NS6detail17trampoline_kernelINS0_14default_configENS1_38merge_sort_block_merge_config_selectorIsNS0_10empty_typeEEEZZNS1_27merge_sort_block_merge_implIS3_PsPS5_jNS1_19radix_merge_compareILb1ELb1EsNS0_19identity_decomposerEEEEE10hipError_tT0_T1_T2_jT3_P12ihipStream_tbPNSt15iterator_traitsISE_E10value_typeEPNSK_ISF_E10value_typeEPSG_NS1_7vsmem_tEENKUlT_SE_SF_SG_E_clIS8_S8_S9_S9_EESD_ST_SE_SF_SG_EUlST_E_NS1_11comp_targetILNS1_3genE9ELNS1_11target_archE1100ELNS1_3gpuE3ELNS1_3repE0EEENS1_48merge_mergepath_partition_config_static_selectorELNS0_4arch9wavefront6targetE0EEEvSF_
	.globl	_ZN7rocprim17ROCPRIM_400000_NS6detail17trampoline_kernelINS0_14default_configENS1_38merge_sort_block_merge_config_selectorIsNS0_10empty_typeEEEZZNS1_27merge_sort_block_merge_implIS3_PsPS5_jNS1_19radix_merge_compareILb1ELb1EsNS0_19identity_decomposerEEEEE10hipError_tT0_T1_T2_jT3_P12ihipStream_tbPNSt15iterator_traitsISE_E10value_typeEPNSK_ISF_E10value_typeEPSG_NS1_7vsmem_tEENKUlT_SE_SF_SG_E_clIS8_S8_S9_S9_EESD_ST_SE_SF_SG_EUlST_E_NS1_11comp_targetILNS1_3genE9ELNS1_11target_archE1100ELNS1_3gpuE3ELNS1_3repE0EEENS1_48merge_mergepath_partition_config_static_selectorELNS0_4arch9wavefront6targetE0EEEvSF_
	.p2align	8
	.type	_ZN7rocprim17ROCPRIM_400000_NS6detail17trampoline_kernelINS0_14default_configENS1_38merge_sort_block_merge_config_selectorIsNS0_10empty_typeEEEZZNS1_27merge_sort_block_merge_implIS3_PsPS5_jNS1_19radix_merge_compareILb1ELb1EsNS0_19identity_decomposerEEEEE10hipError_tT0_T1_T2_jT3_P12ihipStream_tbPNSt15iterator_traitsISE_E10value_typeEPNSK_ISF_E10value_typeEPSG_NS1_7vsmem_tEENKUlT_SE_SF_SG_E_clIS8_S8_S9_S9_EESD_ST_SE_SF_SG_EUlST_E_NS1_11comp_targetILNS1_3genE9ELNS1_11target_archE1100ELNS1_3gpuE3ELNS1_3repE0EEENS1_48merge_mergepath_partition_config_static_selectorELNS0_4arch9wavefront6targetE0EEEvSF_,@function
_ZN7rocprim17ROCPRIM_400000_NS6detail17trampoline_kernelINS0_14default_configENS1_38merge_sort_block_merge_config_selectorIsNS0_10empty_typeEEEZZNS1_27merge_sort_block_merge_implIS3_PsPS5_jNS1_19radix_merge_compareILb1ELb1EsNS0_19identity_decomposerEEEEE10hipError_tT0_T1_T2_jT3_P12ihipStream_tbPNSt15iterator_traitsISE_E10value_typeEPNSK_ISF_E10value_typeEPSG_NS1_7vsmem_tEENKUlT_SE_SF_SG_E_clIS8_S8_S9_S9_EESD_ST_SE_SF_SG_EUlST_E_NS1_11comp_targetILNS1_3genE9ELNS1_11target_archE1100ELNS1_3gpuE3ELNS1_3repE0EEENS1_48merge_mergepath_partition_config_static_selectorELNS0_4arch9wavefront6targetE0EEEvSF_: ; @_ZN7rocprim17ROCPRIM_400000_NS6detail17trampoline_kernelINS0_14default_configENS1_38merge_sort_block_merge_config_selectorIsNS0_10empty_typeEEEZZNS1_27merge_sort_block_merge_implIS3_PsPS5_jNS1_19radix_merge_compareILb1ELb1EsNS0_19identity_decomposerEEEEE10hipError_tT0_T1_T2_jT3_P12ihipStream_tbPNSt15iterator_traitsISE_E10value_typeEPNSK_ISF_E10value_typeEPSG_NS1_7vsmem_tEENKUlT_SE_SF_SG_E_clIS8_S8_S9_S9_EESD_ST_SE_SF_SG_EUlST_E_NS1_11comp_targetILNS1_3genE9ELNS1_11target_archE1100ELNS1_3gpuE3ELNS1_3repE0EEENS1_48merge_mergepath_partition_config_static_selectorELNS0_4arch9wavefront6targetE0EEEvSF_
; %bb.0:
	.section	.rodata,"a",@progbits
	.p2align	6, 0x0
	.amdhsa_kernel _ZN7rocprim17ROCPRIM_400000_NS6detail17trampoline_kernelINS0_14default_configENS1_38merge_sort_block_merge_config_selectorIsNS0_10empty_typeEEEZZNS1_27merge_sort_block_merge_implIS3_PsPS5_jNS1_19radix_merge_compareILb1ELb1EsNS0_19identity_decomposerEEEEE10hipError_tT0_T1_T2_jT3_P12ihipStream_tbPNSt15iterator_traitsISE_E10value_typeEPNSK_ISF_E10value_typeEPSG_NS1_7vsmem_tEENKUlT_SE_SF_SG_E_clIS8_S8_S9_S9_EESD_ST_SE_SF_SG_EUlST_E_NS1_11comp_targetILNS1_3genE9ELNS1_11target_archE1100ELNS1_3gpuE3ELNS1_3repE0EEENS1_48merge_mergepath_partition_config_static_selectorELNS0_4arch9wavefront6targetE0EEEvSF_
		.amdhsa_group_segment_fixed_size 0
		.amdhsa_private_segment_fixed_size 0
		.amdhsa_kernarg_size 40
		.amdhsa_user_sgpr_count 2
		.amdhsa_user_sgpr_dispatch_ptr 0
		.amdhsa_user_sgpr_queue_ptr 0
		.amdhsa_user_sgpr_kernarg_segment_ptr 1
		.amdhsa_user_sgpr_dispatch_id 0
		.amdhsa_user_sgpr_kernarg_preload_length 0
		.amdhsa_user_sgpr_kernarg_preload_offset 0
		.amdhsa_user_sgpr_private_segment_size 0
		.amdhsa_wavefront_size32 1
		.amdhsa_uses_dynamic_stack 0
		.amdhsa_enable_private_segment 0
		.amdhsa_system_sgpr_workgroup_id_x 1
		.amdhsa_system_sgpr_workgroup_id_y 0
		.amdhsa_system_sgpr_workgroup_id_z 0
		.amdhsa_system_sgpr_workgroup_info 0
		.amdhsa_system_vgpr_workitem_id 0
		.amdhsa_next_free_vgpr 1
		.amdhsa_next_free_sgpr 1
		.amdhsa_named_barrier_count 0
		.amdhsa_reserve_vcc 0
		.amdhsa_float_round_mode_32 0
		.amdhsa_float_round_mode_16_64 0
		.amdhsa_float_denorm_mode_32 3
		.amdhsa_float_denorm_mode_16_64 3
		.amdhsa_fp16_overflow 0
		.amdhsa_memory_ordered 1
		.amdhsa_forward_progress 1
		.amdhsa_inst_pref_size 0
		.amdhsa_round_robin_scheduling 0
		.amdhsa_exception_fp_ieee_invalid_op 0
		.amdhsa_exception_fp_denorm_src 0
		.amdhsa_exception_fp_ieee_div_zero 0
		.amdhsa_exception_fp_ieee_overflow 0
		.amdhsa_exception_fp_ieee_underflow 0
		.amdhsa_exception_fp_ieee_inexact 0
		.amdhsa_exception_int_div_zero 0
	.end_amdhsa_kernel
	.section	.text._ZN7rocprim17ROCPRIM_400000_NS6detail17trampoline_kernelINS0_14default_configENS1_38merge_sort_block_merge_config_selectorIsNS0_10empty_typeEEEZZNS1_27merge_sort_block_merge_implIS3_PsPS5_jNS1_19radix_merge_compareILb1ELb1EsNS0_19identity_decomposerEEEEE10hipError_tT0_T1_T2_jT3_P12ihipStream_tbPNSt15iterator_traitsISE_E10value_typeEPNSK_ISF_E10value_typeEPSG_NS1_7vsmem_tEENKUlT_SE_SF_SG_E_clIS8_S8_S9_S9_EESD_ST_SE_SF_SG_EUlST_E_NS1_11comp_targetILNS1_3genE9ELNS1_11target_archE1100ELNS1_3gpuE3ELNS1_3repE0EEENS1_48merge_mergepath_partition_config_static_selectorELNS0_4arch9wavefront6targetE0EEEvSF_,"axG",@progbits,_ZN7rocprim17ROCPRIM_400000_NS6detail17trampoline_kernelINS0_14default_configENS1_38merge_sort_block_merge_config_selectorIsNS0_10empty_typeEEEZZNS1_27merge_sort_block_merge_implIS3_PsPS5_jNS1_19radix_merge_compareILb1ELb1EsNS0_19identity_decomposerEEEEE10hipError_tT0_T1_T2_jT3_P12ihipStream_tbPNSt15iterator_traitsISE_E10value_typeEPNSK_ISF_E10value_typeEPSG_NS1_7vsmem_tEENKUlT_SE_SF_SG_E_clIS8_S8_S9_S9_EESD_ST_SE_SF_SG_EUlST_E_NS1_11comp_targetILNS1_3genE9ELNS1_11target_archE1100ELNS1_3gpuE3ELNS1_3repE0EEENS1_48merge_mergepath_partition_config_static_selectorELNS0_4arch9wavefront6targetE0EEEvSF_,comdat
.Lfunc_end558:
	.size	_ZN7rocprim17ROCPRIM_400000_NS6detail17trampoline_kernelINS0_14default_configENS1_38merge_sort_block_merge_config_selectorIsNS0_10empty_typeEEEZZNS1_27merge_sort_block_merge_implIS3_PsPS5_jNS1_19radix_merge_compareILb1ELb1EsNS0_19identity_decomposerEEEEE10hipError_tT0_T1_T2_jT3_P12ihipStream_tbPNSt15iterator_traitsISE_E10value_typeEPNSK_ISF_E10value_typeEPSG_NS1_7vsmem_tEENKUlT_SE_SF_SG_E_clIS8_S8_S9_S9_EESD_ST_SE_SF_SG_EUlST_E_NS1_11comp_targetILNS1_3genE9ELNS1_11target_archE1100ELNS1_3gpuE3ELNS1_3repE0EEENS1_48merge_mergepath_partition_config_static_selectorELNS0_4arch9wavefront6targetE0EEEvSF_, .Lfunc_end558-_ZN7rocprim17ROCPRIM_400000_NS6detail17trampoline_kernelINS0_14default_configENS1_38merge_sort_block_merge_config_selectorIsNS0_10empty_typeEEEZZNS1_27merge_sort_block_merge_implIS3_PsPS5_jNS1_19radix_merge_compareILb1ELb1EsNS0_19identity_decomposerEEEEE10hipError_tT0_T1_T2_jT3_P12ihipStream_tbPNSt15iterator_traitsISE_E10value_typeEPNSK_ISF_E10value_typeEPSG_NS1_7vsmem_tEENKUlT_SE_SF_SG_E_clIS8_S8_S9_S9_EESD_ST_SE_SF_SG_EUlST_E_NS1_11comp_targetILNS1_3genE9ELNS1_11target_archE1100ELNS1_3gpuE3ELNS1_3repE0EEENS1_48merge_mergepath_partition_config_static_selectorELNS0_4arch9wavefront6targetE0EEEvSF_
                                        ; -- End function
	.set _ZN7rocprim17ROCPRIM_400000_NS6detail17trampoline_kernelINS0_14default_configENS1_38merge_sort_block_merge_config_selectorIsNS0_10empty_typeEEEZZNS1_27merge_sort_block_merge_implIS3_PsPS5_jNS1_19radix_merge_compareILb1ELb1EsNS0_19identity_decomposerEEEEE10hipError_tT0_T1_T2_jT3_P12ihipStream_tbPNSt15iterator_traitsISE_E10value_typeEPNSK_ISF_E10value_typeEPSG_NS1_7vsmem_tEENKUlT_SE_SF_SG_E_clIS8_S8_S9_S9_EESD_ST_SE_SF_SG_EUlST_E_NS1_11comp_targetILNS1_3genE9ELNS1_11target_archE1100ELNS1_3gpuE3ELNS1_3repE0EEENS1_48merge_mergepath_partition_config_static_selectorELNS0_4arch9wavefront6targetE0EEEvSF_.num_vgpr, 0
	.set _ZN7rocprim17ROCPRIM_400000_NS6detail17trampoline_kernelINS0_14default_configENS1_38merge_sort_block_merge_config_selectorIsNS0_10empty_typeEEEZZNS1_27merge_sort_block_merge_implIS3_PsPS5_jNS1_19radix_merge_compareILb1ELb1EsNS0_19identity_decomposerEEEEE10hipError_tT0_T1_T2_jT3_P12ihipStream_tbPNSt15iterator_traitsISE_E10value_typeEPNSK_ISF_E10value_typeEPSG_NS1_7vsmem_tEENKUlT_SE_SF_SG_E_clIS8_S8_S9_S9_EESD_ST_SE_SF_SG_EUlST_E_NS1_11comp_targetILNS1_3genE9ELNS1_11target_archE1100ELNS1_3gpuE3ELNS1_3repE0EEENS1_48merge_mergepath_partition_config_static_selectorELNS0_4arch9wavefront6targetE0EEEvSF_.num_agpr, 0
	.set _ZN7rocprim17ROCPRIM_400000_NS6detail17trampoline_kernelINS0_14default_configENS1_38merge_sort_block_merge_config_selectorIsNS0_10empty_typeEEEZZNS1_27merge_sort_block_merge_implIS3_PsPS5_jNS1_19radix_merge_compareILb1ELb1EsNS0_19identity_decomposerEEEEE10hipError_tT0_T1_T2_jT3_P12ihipStream_tbPNSt15iterator_traitsISE_E10value_typeEPNSK_ISF_E10value_typeEPSG_NS1_7vsmem_tEENKUlT_SE_SF_SG_E_clIS8_S8_S9_S9_EESD_ST_SE_SF_SG_EUlST_E_NS1_11comp_targetILNS1_3genE9ELNS1_11target_archE1100ELNS1_3gpuE3ELNS1_3repE0EEENS1_48merge_mergepath_partition_config_static_selectorELNS0_4arch9wavefront6targetE0EEEvSF_.numbered_sgpr, 0
	.set _ZN7rocprim17ROCPRIM_400000_NS6detail17trampoline_kernelINS0_14default_configENS1_38merge_sort_block_merge_config_selectorIsNS0_10empty_typeEEEZZNS1_27merge_sort_block_merge_implIS3_PsPS5_jNS1_19radix_merge_compareILb1ELb1EsNS0_19identity_decomposerEEEEE10hipError_tT0_T1_T2_jT3_P12ihipStream_tbPNSt15iterator_traitsISE_E10value_typeEPNSK_ISF_E10value_typeEPSG_NS1_7vsmem_tEENKUlT_SE_SF_SG_E_clIS8_S8_S9_S9_EESD_ST_SE_SF_SG_EUlST_E_NS1_11comp_targetILNS1_3genE9ELNS1_11target_archE1100ELNS1_3gpuE3ELNS1_3repE0EEENS1_48merge_mergepath_partition_config_static_selectorELNS0_4arch9wavefront6targetE0EEEvSF_.num_named_barrier, 0
	.set _ZN7rocprim17ROCPRIM_400000_NS6detail17trampoline_kernelINS0_14default_configENS1_38merge_sort_block_merge_config_selectorIsNS0_10empty_typeEEEZZNS1_27merge_sort_block_merge_implIS3_PsPS5_jNS1_19radix_merge_compareILb1ELb1EsNS0_19identity_decomposerEEEEE10hipError_tT0_T1_T2_jT3_P12ihipStream_tbPNSt15iterator_traitsISE_E10value_typeEPNSK_ISF_E10value_typeEPSG_NS1_7vsmem_tEENKUlT_SE_SF_SG_E_clIS8_S8_S9_S9_EESD_ST_SE_SF_SG_EUlST_E_NS1_11comp_targetILNS1_3genE9ELNS1_11target_archE1100ELNS1_3gpuE3ELNS1_3repE0EEENS1_48merge_mergepath_partition_config_static_selectorELNS0_4arch9wavefront6targetE0EEEvSF_.private_seg_size, 0
	.set _ZN7rocprim17ROCPRIM_400000_NS6detail17trampoline_kernelINS0_14default_configENS1_38merge_sort_block_merge_config_selectorIsNS0_10empty_typeEEEZZNS1_27merge_sort_block_merge_implIS3_PsPS5_jNS1_19radix_merge_compareILb1ELb1EsNS0_19identity_decomposerEEEEE10hipError_tT0_T1_T2_jT3_P12ihipStream_tbPNSt15iterator_traitsISE_E10value_typeEPNSK_ISF_E10value_typeEPSG_NS1_7vsmem_tEENKUlT_SE_SF_SG_E_clIS8_S8_S9_S9_EESD_ST_SE_SF_SG_EUlST_E_NS1_11comp_targetILNS1_3genE9ELNS1_11target_archE1100ELNS1_3gpuE3ELNS1_3repE0EEENS1_48merge_mergepath_partition_config_static_selectorELNS0_4arch9wavefront6targetE0EEEvSF_.uses_vcc, 0
	.set _ZN7rocprim17ROCPRIM_400000_NS6detail17trampoline_kernelINS0_14default_configENS1_38merge_sort_block_merge_config_selectorIsNS0_10empty_typeEEEZZNS1_27merge_sort_block_merge_implIS3_PsPS5_jNS1_19radix_merge_compareILb1ELb1EsNS0_19identity_decomposerEEEEE10hipError_tT0_T1_T2_jT3_P12ihipStream_tbPNSt15iterator_traitsISE_E10value_typeEPNSK_ISF_E10value_typeEPSG_NS1_7vsmem_tEENKUlT_SE_SF_SG_E_clIS8_S8_S9_S9_EESD_ST_SE_SF_SG_EUlST_E_NS1_11comp_targetILNS1_3genE9ELNS1_11target_archE1100ELNS1_3gpuE3ELNS1_3repE0EEENS1_48merge_mergepath_partition_config_static_selectorELNS0_4arch9wavefront6targetE0EEEvSF_.uses_flat_scratch, 0
	.set _ZN7rocprim17ROCPRIM_400000_NS6detail17trampoline_kernelINS0_14default_configENS1_38merge_sort_block_merge_config_selectorIsNS0_10empty_typeEEEZZNS1_27merge_sort_block_merge_implIS3_PsPS5_jNS1_19radix_merge_compareILb1ELb1EsNS0_19identity_decomposerEEEEE10hipError_tT0_T1_T2_jT3_P12ihipStream_tbPNSt15iterator_traitsISE_E10value_typeEPNSK_ISF_E10value_typeEPSG_NS1_7vsmem_tEENKUlT_SE_SF_SG_E_clIS8_S8_S9_S9_EESD_ST_SE_SF_SG_EUlST_E_NS1_11comp_targetILNS1_3genE9ELNS1_11target_archE1100ELNS1_3gpuE3ELNS1_3repE0EEENS1_48merge_mergepath_partition_config_static_selectorELNS0_4arch9wavefront6targetE0EEEvSF_.has_dyn_sized_stack, 0
	.set _ZN7rocprim17ROCPRIM_400000_NS6detail17trampoline_kernelINS0_14default_configENS1_38merge_sort_block_merge_config_selectorIsNS0_10empty_typeEEEZZNS1_27merge_sort_block_merge_implIS3_PsPS5_jNS1_19radix_merge_compareILb1ELb1EsNS0_19identity_decomposerEEEEE10hipError_tT0_T1_T2_jT3_P12ihipStream_tbPNSt15iterator_traitsISE_E10value_typeEPNSK_ISF_E10value_typeEPSG_NS1_7vsmem_tEENKUlT_SE_SF_SG_E_clIS8_S8_S9_S9_EESD_ST_SE_SF_SG_EUlST_E_NS1_11comp_targetILNS1_3genE9ELNS1_11target_archE1100ELNS1_3gpuE3ELNS1_3repE0EEENS1_48merge_mergepath_partition_config_static_selectorELNS0_4arch9wavefront6targetE0EEEvSF_.has_recursion, 0
	.set _ZN7rocprim17ROCPRIM_400000_NS6detail17trampoline_kernelINS0_14default_configENS1_38merge_sort_block_merge_config_selectorIsNS0_10empty_typeEEEZZNS1_27merge_sort_block_merge_implIS3_PsPS5_jNS1_19radix_merge_compareILb1ELb1EsNS0_19identity_decomposerEEEEE10hipError_tT0_T1_T2_jT3_P12ihipStream_tbPNSt15iterator_traitsISE_E10value_typeEPNSK_ISF_E10value_typeEPSG_NS1_7vsmem_tEENKUlT_SE_SF_SG_E_clIS8_S8_S9_S9_EESD_ST_SE_SF_SG_EUlST_E_NS1_11comp_targetILNS1_3genE9ELNS1_11target_archE1100ELNS1_3gpuE3ELNS1_3repE0EEENS1_48merge_mergepath_partition_config_static_selectorELNS0_4arch9wavefront6targetE0EEEvSF_.has_indirect_call, 0
	.section	.AMDGPU.csdata,"",@progbits
; Kernel info:
; codeLenInByte = 0
; TotalNumSgprs: 0
; NumVgprs: 0
; ScratchSize: 0
; MemoryBound: 0
; FloatMode: 240
; IeeeMode: 1
; LDSByteSize: 0 bytes/workgroup (compile time only)
; SGPRBlocks: 0
; VGPRBlocks: 0
; NumSGPRsForWavesPerEU: 1
; NumVGPRsForWavesPerEU: 1
; NamedBarCnt: 0
; Occupancy: 16
; WaveLimiterHint : 0
; COMPUTE_PGM_RSRC2:SCRATCH_EN: 0
; COMPUTE_PGM_RSRC2:USER_SGPR: 2
; COMPUTE_PGM_RSRC2:TRAP_HANDLER: 0
; COMPUTE_PGM_RSRC2:TGID_X_EN: 1
; COMPUTE_PGM_RSRC2:TGID_Y_EN: 0
; COMPUTE_PGM_RSRC2:TGID_Z_EN: 0
; COMPUTE_PGM_RSRC2:TIDIG_COMP_CNT: 0
	.section	.text._ZN7rocprim17ROCPRIM_400000_NS6detail17trampoline_kernelINS0_14default_configENS1_38merge_sort_block_merge_config_selectorIsNS0_10empty_typeEEEZZNS1_27merge_sort_block_merge_implIS3_PsPS5_jNS1_19radix_merge_compareILb1ELb1EsNS0_19identity_decomposerEEEEE10hipError_tT0_T1_T2_jT3_P12ihipStream_tbPNSt15iterator_traitsISE_E10value_typeEPNSK_ISF_E10value_typeEPSG_NS1_7vsmem_tEENKUlT_SE_SF_SG_E_clIS8_S8_S9_S9_EESD_ST_SE_SF_SG_EUlST_E_NS1_11comp_targetILNS1_3genE8ELNS1_11target_archE1030ELNS1_3gpuE2ELNS1_3repE0EEENS1_48merge_mergepath_partition_config_static_selectorELNS0_4arch9wavefront6targetE0EEEvSF_,"axG",@progbits,_ZN7rocprim17ROCPRIM_400000_NS6detail17trampoline_kernelINS0_14default_configENS1_38merge_sort_block_merge_config_selectorIsNS0_10empty_typeEEEZZNS1_27merge_sort_block_merge_implIS3_PsPS5_jNS1_19radix_merge_compareILb1ELb1EsNS0_19identity_decomposerEEEEE10hipError_tT0_T1_T2_jT3_P12ihipStream_tbPNSt15iterator_traitsISE_E10value_typeEPNSK_ISF_E10value_typeEPSG_NS1_7vsmem_tEENKUlT_SE_SF_SG_E_clIS8_S8_S9_S9_EESD_ST_SE_SF_SG_EUlST_E_NS1_11comp_targetILNS1_3genE8ELNS1_11target_archE1030ELNS1_3gpuE2ELNS1_3repE0EEENS1_48merge_mergepath_partition_config_static_selectorELNS0_4arch9wavefront6targetE0EEEvSF_,comdat
	.protected	_ZN7rocprim17ROCPRIM_400000_NS6detail17trampoline_kernelINS0_14default_configENS1_38merge_sort_block_merge_config_selectorIsNS0_10empty_typeEEEZZNS1_27merge_sort_block_merge_implIS3_PsPS5_jNS1_19radix_merge_compareILb1ELb1EsNS0_19identity_decomposerEEEEE10hipError_tT0_T1_T2_jT3_P12ihipStream_tbPNSt15iterator_traitsISE_E10value_typeEPNSK_ISF_E10value_typeEPSG_NS1_7vsmem_tEENKUlT_SE_SF_SG_E_clIS8_S8_S9_S9_EESD_ST_SE_SF_SG_EUlST_E_NS1_11comp_targetILNS1_3genE8ELNS1_11target_archE1030ELNS1_3gpuE2ELNS1_3repE0EEENS1_48merge_mergepath_partition_config_static_selectorELNS0_4arch9wavefront6targetE0EEEvSF_ ; -- Begin function _ZN7rocprim17ROCPRIM_400000_NS6detail17trampoline_kernelINS0_14default_configENS1_38merge_sort_block_merge_config_selectorIsNS0_10empty_typeEEEZZNS1_27merge_sort_block_merge_implIS3_PsPS5_jNS1_19radix_merge_compareILb1ELb1EsNS0_19identity_decomposerEEEEE10hipError_tT0_T1_T2_jT3_P12ihipStream_tbPNSt15iterator_traitsISE_E10value_typeEPNSK_ISF_E10value_typeEPSG_NS1_7vsmem_tEENKUlT_SE_SF_SG_E_clIS8_S8_S9_S9_EESD_ST_SE_SF_SG_EUlST_E_NS1_11comp_targetILNS1_3genE8ELNS1_11target_archE1030ELNS1_3gpuE2ELNS1_3repE0EEENS1_48merge_mergepath_partition_config_static_selectorELNS0_4arch9wavefront6targetE0EEEvSF_
	.globl	_ZN7rocprim17ROCPRIM_400000_NS6detail17trampoline_kernelINS0_14default_configENS1_38merge_sort_block_merge_config_selectorIsNS0_10empty_typeEEEZZNS1_27merge_sort_block_merge_implIS3_PsPS5_jNS1_19radix_merge_compareILb1ELb1EsNS0_19identity_decomposerEEEEE10hipError_tT0_T1_T2_jT3_P12ihipStream_tbPNSt15iterator_traitsISE_E10value_typeEPNSK_ISF_E10value_typeEPSG_NS1_7vsmem_tEENKUlT_SE_SF_SG_E_clIS8_S8_S9_S9_EESD_ST_SE_SF_SG_EUlST_E_NS1_11comp_targetILNS1_3genE8ELNS1_11target_archE1030ELNS1_3gpuE2ELNS1_3repE0EEENS1_48merge_mergepath_partition_config_static_selectorELNS0_4arch9wavefront6targetE0EEEvSF_
	.p2align	8
	.type	_ZN7rocprim17ROCPRIM_400000_NS6detail17trampoline_kernelINS0_14default_configENS1_38merge_sort_block_merge_config_selectorIsNS0_10empty_typeEEEZZNS1_27merge_sort_block_merge_implIS3_PsPS5_jNS1_19radix_merge_compareILb1ELb1EsNS0_19identity_decomposerEEEEE10hipError_tT0_T1_T2_jT3_P12ihipStream_tbPNSt15iterator_traitsISE_E10value_typeEPNSK_ISF_E10value_typeEPSG_NS1_7vsmem_tEENKUlT_SE_SF_SG_E_clIS8_S8_S9_S9_EESD_ST_SE_SF_SG_EUlST_E_NS1_11comp_targetILNS1_3genE8ELNS1_11target_archE1030ELNS1_3gpuE2ELNS1_3repE0EEENS1_48merge_mergepath_partition_config_static_selectorELNS0_4arch9wavefront6targetE0EEEvSF_,@function
_ZN7rocprim17ROCPRIM_400000_NS6detail17trampoline_kernelINS0_14default_configENS1_38merge_sort_block_merge_config_selectorIsNS0_10empty_typeEEEZZNS1_27merge_sort_block_merge_implIS3_PsPS5_jNS1_19radix_merge_compareILb1ELb1EsNS0_19identity_decomposerEEEEE10hipError_tT0_T1_T2_jT3_P12ihipStream_tbPNSt15iterator_traitsISE_E10value_typeEPNSK_ISF_E10value_typeEPSG_NS1_7vsmem_tEENKUlT_SE_SF_SG_E_clIS8_S8_S9_S9_EESD_ST_SE_SF_SG_EUlST_E_NS1_11comp_targetILNS1_3genE8ELNS1_11target_archE1030ELNS1_3gpuE2ELNS1_3repE0EEENS1_48merge_mergepath_partition_config_static_selectorELNS0_4arch9wavefront6targetE0EEEvSF_: ; @_ZN7rocprim17ROCPRIM_400000_NS6detail17trampoline_kernelINS0_14default_configENS1_38merge_sort_block_merge_config_selectorIsNS0_10empty_typeEEEZZNS1_27merge_sort_block_merge_implIS3_PsPS5_jNS1_19radix_merge_compareILb1ELb1EsNS0_19identity_decomposerEEEEE10hipError_tT0_T1_T2_jT3_P12ihipStream_tbPNSt15iterator_traitsISE_E10value_typeEPNSK_ISF_E10value_typeEPSG_NS1_7vsmem_tEENKUlT_SE_SF_SG_E_clIS8_S8_S9_S9_EESD_ST_SE_SF_SG_EUlST_E_NS1_11comp_targetILNS1_3genE8ELNS1_11target_archE1030ELNS1_3gpuE2ELNS1_3repE0EEENS1_48merge_mergepath_partition_config_static_selectorELNS0_4arch9wavefront6targetE0EEEvSF_
; %bb.0:
	.section	.rodata,"a",@progbits
	.p2align	6, 0x0
	.amdhsa_kernel _ZN7rocprim17ROCPRIM_400000_NS6detail17trampoline_kernelINS0_14default_configENS1_38merge_sort_block_merge_config_selectorIsNS0_10empty_typeEEEZZNS1_27merge_sort_block_merge_implIS3_PsPS5_jNS1_19radix_merge_compareILb1ELb1EsNS0_19identity_decomposerEEEEE10hipError_tT0_T1_T2_jT3_P12ihipStream_tbPNSt15iterator_traitsISE_E10value_typeEPNSK_ISF_E10value_typeEPSG_NS1_7vsmem_tEENKUlT_SE_SF_SG_E_clIS8_S8_S9_S9_EESD_ST_SE_SF_SG_EUlST_E_NS1_11comp_targetILNS1_3genE8ELNS1_11target_archE1030ELNS1_3gpuE2ELNS1_3repE0EEENS1_48merge_mergepath_partition_config_static_selectorELNS0_4arch9wavefront6targetE0EEEvSF_
		.amdhsa_group_segment_fixed_size 0
		.amdhsa_private_segment_fixed_size 0
		.amdhsa_kernarg_size 40
		.amdhsa_user_sgpr_count 2
		.amdhsa_user_sgpr_dispatch_ptr 0
		.amdhsa_user_sgpr_queue_ptr 0
		.amdhsa_user_sgpr_kernarg_segment_ptr 1
		.amdhsa_user_sgpr_dispatch_id 0
		.amdhsa_user_sgpr_kernarg_preload_length 0
		.amdhsa_user_sgpr_kernarg_preload_offset 0
		.amdhsa_user_sgpr_private_segment_size 0
		.amdhsa_wavefront_size32 1
		.amdhsa_uses_dynamic_stack 0
		.amdhsa_enable_private_segment 0
		.amdhsa_system_sgpr_workgroup_id_x 1
		.amdhsa_system_sgpr_workgroup_id_y 0
		.amdhsa_system_sgpr_workgroup_id_z 0
		.amdhsa_system_sgpr_workgroup_info 0
		.amdhsa_system_vgpr_workitem_id 0
		.amdhsa_next_free_vgpr 1
		.amdhsa_next_free_sgpr 1
		.amdhsa_named_barrier_count 0
		.amdhsa_reserve_vcc 0
		.amdhsa_float_round_mode_32 0
		.amdhsa_float_round_mode_16_64 0
		.amdhsa_float_denorm_mode_32 3
		.amdhsa_float_denorm_mode_16_64 3
		.amdhsa_fp16_overflow 0
		.amdhsa_memory_ordered 1
		.amdhsa_forward_progress 1
		.amdhsa_inst_pref_size 0
		.amdhsa_round_robin_scheduling 0
		.amdhsa_exception_fp_ieee_invalid_op 0
		.amdhsa_exception_fp_denorm_src 0
		.amdhsa_exception_fp_ieee_div_zero 0
		.amdhsa_exception_fp_ieee_overflow 0
		.amdhsa_exception_fp_ieee_underflow 0
		.amdhsa_exception_fp_ieee_inexact 0
		.amdhsa_exception_int_div_zero 0
	.end_amdhsa_kernel
	.section	.text._ZN7rocprim17ROCPRIM_400000_NS6detail17trampoline_kernelINS0_14default_configENS1_38merge_sort_block_merge_config_selectorIsNS0_10empty_typeEEEZZNS1_27merge_sort_block_merge_implIS3_PsPS5_jNS1_19radix_merge_compareILb1ELb1EsNS0_19identity_decomposerEEEEE10hipError_tT0_T1_T2_jT3_P12ihipStream_tbPNSt15iterator_traitsISE_E10value_typeEPNSK_ISF_E10value_typeEPSG_NS1_7vsmem_tEENKUlT_SE_SF_SG_E_clIS8_S8_S9_S9_EESD_ST_SE_SF_SG_EUlST_E_NS1_11comp_targetILNS1_3genE8ELNS1_11target_archE1030ELNS1_3gpuE2ELNS1_3repE0EEENS1_48merge_mergepath_partition_config_static_selectorELNS0_4arch9wavefront6targetE0EEEvSF_,"axG",@progbits,_ZN7rocprim17ROCPRIM_400000_NS6detail17trampoline_kernelINS0_14default_configENS1_38merge_sort_block_merge_config_selectorIsNS0_10empty_typeEEEZZNS1_27merge_sort_block_merge_implIS3_PsPS5_jNS1_19radix_merge_compareILb1ELb1EsNS0_19identity_decomposerEEEEE10hipError_tT0_T1_T2_jT3_P12ihipStream_tbPNSt15iterator_traitsISE_E10value_typeEPNSK_ISF_E10value_typeEPSG_NS1_7vsmem_tEENKUlT_SE_SF_SG_E_clIS8_S8_S9_S9_EESD_ST_SE_SF_SG_EUlST_E_NS1_11comp_targetILNS1_3genE8ELNS1_11target_archE1030ELNS1_3gpuE2ELNS1_3repE0EEENS1_48merge_mergepath_partition_config_static_selectorELNS0_4arch9wavefront6targetE0EEEvSF_,comdat
.Lfunc_end559:
	.size	_ZN7rocprim17ROCPRIM_400000_NS6detail17trampoline_kernelINS0_14default_configENS1_38merge_sort_block_merge_config_selectorIsNS0_10empty_typeEEEZZNS1_27merge_sort_block_merge_implIS3_PsPS5_jNS1_19radix_merge_compareILb1ELb1EsNS0_19identity_decomposerEEEEE10hipError_tT0_T1_T2_jT3_P12ihipStream_tbPNSt15iterator_traitsISE_E10value_typeEPNSK_ISF_E10value_typeEPSG_NS1_7vsmem_tEENKUlT_SE_SF_SG_E_clIS8_S8_S9_S9_EESD_ST_SE_SF_SG_EUlST_E_NS1_11comp_targetILNS1_3genE8ELNS1_11target_archE1030ELNS1_3gpuE2ELNS1_3repE0EEENS1_48merge_mergepath_partition_config_static_selectorELNS0_4arch9wavefront6targetE0EEEvSF_, .Lfunc_end559-_ZN7rocprim17ROCPRIM_400000_NS6detail17trampoline_kernelINS0_14default_configENS1_38merge_sort_block_merge_config_selectorIsNS0_10empty_typeEEEZZNS1_27merge_sort_block_merge_implIS3_PsPS5_jNS1_19radix_merge_compareILb1ELb1EsNS0_19identity_decomposerEEEEE10hipError_tT0_T1_T2_jT3_P12ihipStream_tbPNSt15iterator_traitsISE_E10value_typeEPNSK_ISF_E10value_typeEPSG_NS1_7vsmem_tEENKUlT_SE_SF_SG_E_clIS8_S8_S9_S9_EESD_ST_SE_SF_SG_EUlST_E_NS1_11comp_targetILNS1_3genE8ELNS1_11target_archE1030ELNS1_3gpuE2ELNS1_3repE0EEENS1_48merge_mergepath_partition_config_static_selectorELNS0_4arch9wavefront6targetE0EEEvSF_
                                        ; -- End function
	.set _ZN7rocprim17ROCPRIM_400000_NS6detail17trampoline_kernelINS0_14default_configENS1_38merge_sort_block_merge_config_selectorIsNS0_10empty_typeEEEZZNS1_27merge_sort_block_merge_implIS3_PsPS5_jNS1_19radix_merge_compareILb1ELb1EsNS0_19identity_decomposerEEEEE10hipError_tT0_T1_T2_jT3_P12ihipStream_tbPNSt15iterator_traitsISE_E10value_typeEPNSK_ISF_E10value_typeEPSG_NS1_7vsmem_tEENKUlT_SE_SF_SG_E_clIS8_S8_S9_S9_EESD_ST_SE_SF_SG_EUlST_E_NS1_11comp_targetILNS1_3genE8ELNS1_11target_archE1030ELNS1_3gpuE2ELNS1_3repE0EEENS1_48merge_mergepath_partition_config_static_selectorELNS0_4arch9wavefront6targetE0EEEvSF_.num_vgpr, 0
	.set _ZN7rocprim17ROCPRIM_400000_NS6detail17trampoline_kernelINS0_14default_configENS1_38merge_sort_block_merge_config_selectorIsNS0_10empty_typeEEEZZNS1_27merge_sort_block_merge_implIS3_PsPS5_jNS1_19radix_merge_compareILb1ELb1EsNS0_19identity_decomposerEEEEE10hipError_tT0_T1_T2_jT3_P12ihipStream_tbPNSt15iterator_traitsISE_E10value_typeEPNSK_ISF_E10value_typeEPSG_NS1_7vsmem_tEENKUlT_SE_SF_SG_E_clIS8_S8_S9_S9_EESD_ST_SE_SF_SG_EUlST_E_NS1_11comp_targetILNS1_3genE8ELNS1_11target_archE1030ELNS1_3gpuE2ELNS1_3repE0EEENS1_48merge_mergepath_partition_config_static_selectorELNS0_4arch9wavefront6targetE0EEEvSF_.num_agpr, 0
	.set _ZN7rocprim17ROCPRIM_400000_NS6detail17trampoline_kernelINS0_14default_configENS1_38merge_sort_block_merge_config_selectorIsNS0_10empty_typeEEEZZNS1_27merge_sort_block_merge_implIS3_PsPS5_jNS1_19radix_merge_compareILb1ELb1EsNS0_19identity_decomposerEEEEE10hipError_tT0_T1_T2_jT3_P12ihipStream_tbPNSt15iterator_traitsISE_E10value_typeEPNSK_ISF_E10value_typeEPSG_NS1_7vsmem_tEENKUlT_SE_SF_SG_E_clIS8_S8_S9_S9_EESD_ST_SE_SF_SG_EUlST_E_NS1_11comp_targetILNS1_3genE8ELNS1_11target_archE1030ELNS1_3gpuE2ELNS1_3repE0EEENS1_48merge_mergepath_partition_config_static_selectorELNS0_4arch9wavefront6targetE0EEEvSF_.numbered_sgpr, 0
	.set _ZN7rocprim17ROCPRIM_400000_NS6detail17trampoline_kernelINS0_14default_configENS1_38merge_sort_block_merge_config_selectorIsNS0_10empty_typeEEEZZNS1_27merge_sort_block_merge_implIS3_PsPS5_jNS1_19radix_merge_compareILb1ELb1EsNS0_19identity_decomposerEEEEE10hipError_tT0_T1_T2_jT3_P12ihipStream_tbPNSt15iterator_traitsISE_E10value_typeEPNSK_ISF_E10value_typeEPSG_NS1_7vsmem_tEENKUlT_SE_SF_SG_E_clIS8_S8_S9_S9_EESD_ST_SE_SF_SG_EUlST_E_NS1_11comp_targetILNS1_3genE8ELNS1_11target_archE1030ELNS1_3gpuE2ELNS1_3repE0EEENS1_48merge_mergepath_partition_config_static_selectorELNS0_4arch9wavefront6targetE0EEEvSF_.num_named_barrier, 0
	.set _ZN7rocprim17ROCPRIM_400000_NS6detail17trampoline_kernelINS0_14default_configENS1_38merge_sort_block_merge_config_selectorIsNS0_10empty_typeEEEZZNS1_27merge_sort_block_merge_implIS3_PsPS5_jNS1_19radix_merge_compareILb1ELb1EsNS0_19identity_decomposerEEEEE10hipError_tT0_T1_T2_jT3_P12ihipStream_tbPNSt15iterator_traitsISE_E10value_typeEPNSK_ISF_E10value_typeEPSG_NS1_7vsmem_tEENKUlT_SE_SF_SG_E_clIS8_S8_S9_S9_EESD_ST_SE_SF_SG_EUlST_E_NS1_11comp_targetILNS1_3genE8ELNS1_11target_archE1030ELNS1_3gpuE2ELNS1_3repE0EEENS1_48merge_mergepath_partition_config_static_selectorELNS0_4arch9wavefront6targetE0EEEvSF_.private_seg_size, 0
	.set _ZN7rocprim17ROCPRIM_400000_NS6detail17trampoline_kernelINS0_14default_configENS1_38merge_sort_block_merge_config_selectorIsNS0_10empty_typeEEEZZNS1_27merge_sort_block_merge_implIS3_PsPS5_jNS1_19radix_merge_compareILb1ELb1EsNS0_19identity_decomposerEEEEE10hipError_tT0_T1_T2_jT3_P12ihipStream_tbPNSt15iterator_traitsISE_E10value_typeEPNSK_ISF_E10value_typeEPSG_NS1_7vsmem_tEENKUlT_SE_SF_SG_E_clIS8_S8_S9_S9_EESD_ST_SE_SF_SG_EUlST_E_NS1_11comp_targetILNS1_3genE8ELNS1_11target_archE1030ELNS1_3gpuE2ELNS1_3repE0EEENS1_48merge_mergepath_partition_config_static_selectorELNS0_4arch9wavefront6targetE0EEEvSF_.uses_vcc, 0
	.set _ZN7rocprim17ROCPRIM_400000_NS6detail17trampoline_kernelINS0_14default_configENS1_38merge_sort_block_merge_config_selectorIsNS0_10empty_typeEEEZZNS1_27merge_sort_block_merge_implIS3_PsPS5_jNS1_19radix_merge_compareILb1ELb1EsNS0_19identity_decomposerEEEEE10hipError_tT0_T1_T2_jT3_P12ihipStream_tbPNSt15iterator_traitsISE_E10value_typeEPNSK_ISF_E10value_typeEPSG_NS1_7vsmem_tEENKUlT_SE_SF_SG_E_clIS8_S8_S9_S9_EESD_ST_SE_SF_SG_EUlST_E_NS1_11comp_targetILNS1_3genE8ELNS1_11target_archE1030ELNS1_3gpuE2ELNS1_3repE0EEENS1_48merge_mergepath_partition_config_static_selectorELNS0_4arch9wavefront6targetE0EEEvSF_.uses_flat_scratch, 0
	.set _ZN7rocprim17ROCPRIM_400000_NS6detail17trampoline_kernelINS0_14default_configENS1_38merge_sort_block_merge_config_selectorIsNS0_10empty_typeEEEZZNS1_27merge_sort_block_merge_implIS3_PsPS5_jNS1_19radix_merge_compareILb1ELb1EsNS0_19identity_decomposerEEEEE10hipError_tT0_T1_T2_jT3_P12ihipStream_tbPNSt15iterator_traitsISE_E10value_typeEPNSK_ISF_E10value_typeEPSG_NS1_7vsmem_tEENKUlT_SE_SF_SG_E_clIS8_S8_S9_S9_EESD_ST_SE_SF_SG_EUlST_E_NS1_11comp_targetILNS1_3genE8ELNS1_11target_archE1030ELNS1_3gpuE2ELNS1_3repE0EEENS1_48merge_mergepath_partition_config_static_selectorELNS0_4arch9wavefront6targetE0EEEvSF_.has_dyn_sized_stack, 0
	.set _ZN7rocprim17ROCPRIM_400000_NS6detail17trampoline_kernelINS0_14default_configENS1_38merge_sort_block_merge_config_selectorIsNS0_10empty_typeEEEZZNS1_27merge_sort_block_merge_implIS3_PsPS5_jNS1_19radix_merge_compareILb1ELb1EsNS0_19identity_decomposerEEEEE10hipError_tT0_T1_T2_jT3_P12ihipStream_tbPNSt15iterator_traitsISE_E10value_typeEPNSK_ISF_E10value_typeEPSG_NS1_7vsmem_tEENKUlT_SE_SF_SG_E_clIS8_S8_S9_S9_EESD_ST_SE_SF_SG_EUlST_E_NS1_11comp_targetILNS1_3genE8ELNS1_11target_archE1030ELNS1_3gpuE2ELNS1_3repE0EEENS1_48merge_mergepath_partition_config_static_selectorELNS0_4arch9wavefront6targetE0EEEvSF_.has_recursion, 0
	.set _ZN7rocprim17ROCPRIM_400000_NS6detail17trampoline_kernelINS0_14default_configENS1_38merge_sort_block_merge_config_selectorIsNS0_10empty_typeEEEZZNS1_27merge_sort_block_merge_implIS3_PsPS5_jNS1_19radix_merge_compareILb1ELb1EsNS0_19identity_decomposerEEEEE10hipError_tT0_T1_T2_jT3_P12ihipStream_tbPNSt15iterator_traitsISE_E10value_typeEPNSK_ISF_E10value_typeEPSG_NS1_7vsmem_tEENKUlT_SE_SF_SG_E_clIS8_S8_S9_S9_EESD_ST_SE_SF_SG_EUlST_E_NS1_11comp_targetILNS1_3genE8ELNS1_11target_archE1030ELNS1_3gpuE2ELNS1_3repE0EEENS1_48merge_mergepath_partition_config_static_selectorELNS0_4arch9wavefront6targetE0EEEvSF_.has_indirect_call, 0
	.section	.AMDGPU.csdata,"",@progbits
; Kernel info:
; codeLenInByte = 0
; TotalNumSgprs: 0
; NumVgprs: 0
; ScratchSize: 0
; MemoryBound: 0
; FloatMode: 240
; IeeeMode: 1
; LDSByteSize: 0 bytes/workgroup (compile time only)
; SGPRBlocks: 0
; VGPRBlocks: 0
; NumSGPRsForWavesPerEU: 1
; NumVGPRsForWavesPerEU: 1
; NamedBarCnt: 0
; Occupancy: 16
; WaveLimiterHint : 0
; COMPUTE_PGM_RSRC2:SCRATCH_EN: 0
; COMPUTE_PGM_RSRC2:USER_SGPR: 2
; COMPUTE_PGM_RSRC2:TRAP_HANDLER: 0
; COMPUTE_PGM_RSRC2:TGID_X_EN: 1
; COMPUTE_PGM_RSRC2:TGID_Y_EN: 0
; COMPUTE_PGM_RSRC2:TGID_Z_EN: 0
; COMPUTE_PGM_RSRC2:TIDIG_COMP_CNT: 0
	.section	.text._ZN7rocprim17ROCPRIM_400000_NS6detail17trampoline_kernelINS0_14default_configENS1_38merge_sort_block_merge_config_selectorIsNS0_10empty_typeEEEZZNS1_27merge_sort_block_merge_implIS3_PsPS5_jNS1_19radix_merge_compareILb1ELb1EsNS0_19identity_decomposerEEEEE10hipError_tT0_T1_T2_jT3_P12ihipStream_tbPNSt15iterator_traitsISE_E10value_typeEPNSK_ISF_E10value_typeEPSG_NS1_7vsmem_tEENKUlT_SE_SF_SG_E_clIS8_S8_S9_S9_EESD_ST_SE_SF_SG_EUlST_E0_NS1_11comp_targetILNS1_3genE0ELNS1_11target_archE4294967295ELNS1_3gpuE0ELNS1_3repE0EEENS1_38merge_mergepath_config_static_selectorELNS0_4arch9wavefront6targetE0EEEvSF_,"axG",@progbits,_ZN7rocprim17ROCPRIM_400000_NS6detail17trampoline_kernelINS0_14default_configENS1_38merge_sort_block_merge_config_selectorIsNS0_10empty_typeEEEZZNS1_27merge_sort_block_merge_implIS3_PsPS5_jNS1_19radix_merge_compareILb1ELb1EsNS0_19identity_decomposerEEEEE10hipError_tT0_T1_T2_jT3_P12ihipStream_tbPNSt15iterator_traitsISE_E10value_typeEPNSK_ISF_E10value_typeEPSG_NS1_7vsmem_tEENKUlT_SE_SF_SG_E_clIS8_S8_S9_S9_EESD_ST_SE_SF_SG_EUlST_E0_NS1_11comp_targetILNS1_3genE0ELNS1_11target_archE4294967295ELNS1_3gpuE0ELNS1_3repE0EEENS1_38merge_mergepath_config_static_selectorELNS0_4arch9wavefront6targetE0EEEvSF_,comdat
	.protected	_ZN7rocprim17ROCPRIM_400000_NS6detail17trampoline_kernelINS0_14default_configENS1_38merge_sort_block_merge_config_selectorIsNS0_10empty_typeEEEZZNS1_27merge_sort_block_merge_implIS3_PsPS5_jNS1_19radix_merge_compareILb1ELb1EsNS0_19identity_decomposerEEEEE10hipError_tT0_T1_T2_jT3_P12ihipStream_tbPNSt15iterator_traitsISE_E10value_typeEPNSK_ISF_E10value_typeEPSG_NS1_7vsmem_tEENKUlT_SE_SF_SG_E_clIS8_S8_S9_S9_EESD_ST_SE_SF_SG_EUlST_E0_NS1_11comp_targetILNS1_3genE0ELNS1_11target_archE4294967295ELNS1_3gpuE0ELNS1_3repE0EEENS1_38merge_mergepath_config_static_selectorELNS0_4arch9wavefront6targetE0EEEvSF_ ; -- Begin function _ZN7rocprim17ROCPRIM_400000_NS6detail17trampoline_kernelINS0_14default_configENS1_38merge_sort_block_merge_config_selectorIsNS0_10empty_typeEEEZZNS1_27merge_sort_block_merge_implIS3_PsPS5_jNS1_19radix_merge_compareILb1ELb1EsNS0_19identity_decomposerEEEEE10hipError_tT0_T1_T2_jT3_P12ihipStream_tbPNSt15iterator_traitsISE_E10value_typeEPNSK_ISF_E10value_typeEPSG_NS1_7vsmem_tEENKUlT_SE_SF_SG_E_clIS8_S8_S9_S9_EESD_ST_SE_SF_SG_EUlST_E0_NS1_11comp_targetILNS1_3genE0ELNS1_11target_archE4294967295ELNS1_3gpuE0ELNS1_3repE0EEENS1_38merge_mergepath_config_static_selectorELNS0_4arch9wavefront6targetE0EEEvSF_
	.globl	_ZN7rocprim17ROCPRIM_400000_NS6detail17trampoline_kernelINS0_14default_configENS1_38merge_sort_block_merge_config_selectorIsNS0_10empty_typeEEEZZNS1_27merge_sort_block_merge_implIS3_PsPS5_jNS1_19radix_merge_compareILb1ELb1EsNS0_19identity_decomposerEEEEE10hipError_tT0_T1_T2_jT3_P12ihipStream_tbPNSt15iterator_traitsISE_E10value_typeEPNSK_ISF_E10value_typeEPSG_NS1_7vsmem_tEENKUlT_SE_SF_SG_E_clIS8_S8_S9_S9_EESD_ST_SE_SF_SG_EUlST_E0_NS1_11comp_targetILNS1_3genE0ELNS1_11target_archE4294967295ELNS1_3gpuE0ELNS1_3repE0EEENS1_38merge_mergepath_config_static_selectorELNS0_4arch9wavefront6targetE0EEEvSF_
	.p2align	8
	.type	_ZN7rocprim17ROCPRIM_400000_NS6detail17trampoline_kernelINS0_14default_configENS1_38merge_sort_block_merge_config_selectorIsNS0_10empty_typeEEEZZNS1_27merge_sort_block_merge_implIS3_PsPS5_jNS1_19radix_merge_compareILb1ELb1EsNS0_19identity_decomposerEEEEE10hipError_tT0_T1_T2_jT3_P12ihipStream_tbPNSt15iterator_traitsISE_E10value_typeEPNSK_ISF_E10value_typeEPSG_NS1_7vsmem_tEENKUlT_SE_SF_SG_E_clIS8_S8_S9_S9_EESD_ST_SE_SF_SG_EUlST_E0_NS1_11comp_targetILNS1_3genE0ELNS1_11target_archE4294967295ELNS1_3gpuE0ELNS1_3repE0EEENS1_38merge_mergepath_config_static_selectorELNS0_4arch9wavefront6targetE0EEEvSF_,@function
_ZN7rocprim17ROCPRIM_400000_NS6detail17trampoline_kernelINS0_14default_configENS1_38merge_sort_block_merge_config_selectorIsNS0_10empty_typeEEEZZNS1_27merge_sort_block_merge_implIS3_PsPS5_jNS1_19radix_merge_compareILb1ELb1EsNS0_19identity_decomposerEEEEE10hipError_tT0_T1_T2_jT3_P12ihipStream_tbPNSt15iterator_traitsISE_E10value_typeEPNSK_ISF_E10value_typeEPSG_NS1_7vsmem_tEENKUlT_SE_SF_SG_E_clIS8_S8_S9_S9_EESD_ST_SE_SF_SG_EUlST_E0_NS1_11comp_targetILNS1_3genE0ELNS1_11target_archE4294967295ELNS1_3gpuE0ELNS1_3repE0EEENS1_38merge_mergepath_config_static_selectorELNS0_4arch9wavefront6targetE0EEEvSF_: ; @_ZN7rocprim17ROCPRIM_400000_NS6detail17trampoline_kernelINS0_14default_configENS1_38merge_sort_block_merge_config_selectorIsNS0_10empty_typeEEEZZNS1_27merge_sort_block_merge_implIS3_PsPS5_jNS1_19radix_merge_compareILb1ELb1EsNS0_19identity_decomposerEEEEE10hipError_tT0_T1_T2_jT3_P12ihipStream_tbPNSt15iterator_traitsISE_E10value_typeEPNSK_ISF_E10value_typeEPSG_NS1_7vsmem_tEENKUlT_SE_SF_SG_E_clIS8_S8_S9_S9_EESD_ST_SE_SF_SG_EUlST_E0_NS1_11comp_targetILNS1_3genE0ELNS1_11target_archE4294967295ELNS1_3gpuE0ELNS1_3repE0EEENS1_38merge_mergepath_config_static_selectorELNS0_4arch9wavefront6targetE0EEEvSF_
; %bb.0:
	s_bfe_u32 s2, ttmp6, 0x40010
	s_and_b32 s4, ttmp7, 0xffff
	s_add_co_i32 s5, s2, 1
	s_clause 0x1
	s_load_b32 s6, s[0:1], 0x30
	s_load_b64 s[2:3], s[0:1], 0x40
	s_bfe_u32 s8, ttmp6, 0x4000c
	s_mul_i32 s5, s4, s5
	s_bfe_u32 s7, ttmp6, 0x40004
	s_add_co_i32 s8, s8, 1
	s_bfe_u32 s9, ttmp6, 0x40014
	s_add_co_i32 s7, s7, s5
	s_and_b32 s5, ttmp6, 15
	s_mul_i32 s8, ttmp9, s8
	s_lshr_b32 s10, ttmp7, 16
	s_add_co_i32 s9, s9, 1
	s_add_co_i32 s5, s5, s8
	s_mul_i32 s8, s10, s9
	s_bfe_u32 s9, ttmp6, 0x40008
	s_getreg_b32 s11, hwreg(HW_REG_IB_STS2, 6, 4)
	s_add_co_i32 s9, s9, s8
	s_cmp_eq_u32 s11, 0
	s_cselect_b32 s8, s10, s9
	s_cselect_b32 s4, s4, s7
	s_wait_kmcnt 0x0
	s_mul_i32 s8, s3, s8
	s_cselect_b32 s3, ttmp9, s5
	s_add_co_i32 s4, s8, s4
	s_mov_b32 s5, 0
	s_mul_i32 s4, s4, s2
	s_delay_alu instid0(SALU_CYCLE_1) | instskip(NEXT) | instid1(SALU_CYCLE_1)
	s_add_co_i32 s4, s4, s3
	s_cmp_ge_u32 s4, s6
	s_cbranch_scc1 .LBB560_43
; %bb.1:
	v_mov_b32_e32 v7, 0
	s_add_nc_u64 s[6:7], s[0:1], 64
	v_lshlrev_b32_e32 v6, 1, v0
	global_load_b32 v1, v7, s[6:7] offset:14
	s_clause 0x2
	s_load_b64 s[8:9], s[0:1], 0x28
	s_load_b64 s[10:11], s[0:1], 0x38
	;; [unrolled: 1-line block ×3, first 2 shown]
	s_wait_kmcnt 0x0
	s_lshr_b32 s22, s8, 10
	s_delay_alu instid0(SALU_CYCLE_1) | instskip(SKIP_2) | instid1(SALU_CYCLE_1)
	s_cmp_lg_u32 s4, s22
	s_cselect_b32 s14, -1, 0
	s_lshl_b64 s[12:13], s[4:5], 2
	s_add_nc_u64 s[10:11], s[10:11], s[12:13]
	s_load_b64 s[12:13], s[10:11], 0x0
	s_wait_xcnt 0x0
	s_lshr_b32 s10, s9, 9
	s_delay_alu instid0(SALU_CYCLE_1) | instskip(NEXT) | instid1(SALU_CYCLE_1)
	s_and_b32 s10, s10, 0x7ffffe
	s_sub_co_i32 s11, 0, s10
	s_lshl_b32 s10, s4, 10
	s_and_b32 s15, s4, s11
	s_or_b32 s11, s4, s11
	s_lshl_b32 s18, s15, 11
	s_lshl_b32 s15, s15, 10
	s_add_co_i32 s18, s18, s9
	s_sub_co_i32 s19, s10, s15
	s_sub_co_i32 s15, s18, s15
	s_add_co_i32 s18, s18, s19
	s_min_u32 s20, s8, s15
	s_add_co_i32 s15, s15, s9
	s_wait_kmcnt 0x0
	s_sub_co_i32 s9, s18, s12
	s_sub_co_i32 s19, s18, s13
	s_min_u32 s18, s8, s9
	s_add_co_i32 s9, s19, 0x400
	s_cmp_eq_u32 s11, -1
	s_mov_b32 s19, s5
	s_cselect_b32 s9, s15, s9
	s_cselect_b32 s11, s20, s13
	s_mov_b32 s13, s5
	s_min_u32 s15, s9, s8
	s_lshl_b64 s[20:21], s[18:19], 1
	s_sub_co_i32 s9, s11, s12
	s_lshl_b64 s[12:13], s[12:13], 1
	s_sub_co_i32 s15, s15, s18
	s_cmp_lt_u32 s3, s2
	s_mov_b32 s3, s5
	s_cselect_b32 s2, 12, 18
	s_add_nc_u64 s[12:13], s[16:17], s[12:13]
	s_add_nc_u64 s[2:3], s[6:7], s[2:3]
	s_cmp_eq_u32 s4, s22
	s_load_u16 s2, s[2:3], 0x0
	s_add_nc_u64 s[6:7], s[16:17], s[20:21]
	s_wait_loadcnt 0x0
	v_lshrrev_b32_e32 v2, 16, v1
	v_and_b32_e32 v1, 0xffff, v1
	s_delay_alu instid0(VALU_DEP_1) | instskip(SKIP_1) | instid1(VALU_DEP_1)
	v_mul_lo_u32 v1, v1, v2
	s_wait_kmcnt 0x0
	v_mul_lo_u32 v1, v1, s2
	s_mov_b32 s2, -1
	s_delay_alu instid0(VALU_DEP_1) | instskip(NEXT) | instid1(VALU_DEP_1)
	v_add_nc_u32_e32 v10, v1, v0
	v_add_nc_u32_e32 v8, v10, v1
	s_cbranch_scc1 .LBB560_3
; %bb.2:
	v_sub_co_u32 v4, vcc_lo, v0, s9
	v_dual_mov_b32 v5, v7 :: v_dual_mov_b32 v11, v7
	v_add_nc_u64_e32 v[2:3], s[12:13], v[6:7]
	v_sub_co_u32 v14, s2, v10, s9
	s_delay_alu instid0(VALU_DEP_3) | instskip(SKIP_3) | instid1(VALU_DEP_4)
	v_lshl_add_u64 v[4:5], v[4:5], 1, s[6:7]
	v_dual_mov_b32 v15, v7 :: v_dual_mov_b32 v9, v7
	v_lshl_add_u64 v[12:13], v[10:11], 1, s[12:13]
	v_dual_mov_b32 v17, v7 :: v_dual_add_nc_u32 v18, v8, v1
	v_dual_cndmask_b32 v3, v5, v3 :: v_dual_cndmask_b32 v2, v4, v2
	s_delay_alu instid0(VALU_DEP_4)
	v_lshl_add_u64 v[4:5], v[14:15], 1, s[6:7]
	v_sub_co_u32 v16, vcc_lo, v8, s9
	v_mov_b32_e32 v19, v7
	v_lshl_add_u64 v[14:15], v[8:9], 1, s[12:13]
	global_load_u16 v9, v[2:3], off
	s_wait_xcnt 0x0
	v_dual_cndmask_b32 v3, v5, v13, s2 :: v_dual_cndmask_b32 v2, v4, v12, s2
	v_lshl_add_u64 v[4:5], v[16:17], 1, s[6:7]
	v_lshl_add_u64 v[12:13], v[18:19], 1, s[12:13]
	v_sub_co_u32 v16, s2, v18, s9
	v_add_nc_u32_e32 v18, v18, v1
	global_load_u16 v11, v[2:3], off
	s_wait_xcnt 0x0
	v_dual_cndmask_b32 v3, v5, v15 :: v_dual_cndmask_b32 v2, v4, v14
	v_lshl_add_u64 v[4:5], v[16:17], 1, s[6:7]
	v_lshl_add_u64 v[14:15], v[18:19], 1, s[12:13]
	v_sub_co_u32 v16, vcc_lo, v18, s9
	v_add_nc_u32_e32 v18, v18, v1
	global_load_u16 v26, v[2:3], off
	s_wait_xcnt 0x0
	v_dual_cndmask_b32 v3, v5, v13, s2 :: v_dual_mov_b32 v21, v7
	v_cndmask_b32_e64 v2, v4, v12, s2
	v_lshl_add_u64 v[4:5], v[16:17], 1, s[6:7]
	v_lshl_add_u64 v[12:13], v[18:19], 1, s[12:13]
	v_add_nc_u32_e32 v16, v18, v1
	v_sub_co_u32 v18, s2, v18, s9
	s_delay_alu instid0(VALU_DEP_4) | instskip(SKIP_1) | instid1(VALU_DEP_3)
	v_cndmask_b32_e32 v5, v5, v15, vcc_lo
	s_add_co_i32 s11, s15, s9
	v_lshl_add_u64 v[22:23], v[16:17], 1, s[12:13]
	s_delay_alu instid0(VALU_DEP_3) | instskip(SKIP_2) | instid1(VALU_DEP_3)
	v_lshl_add_u64 v[18:19], v[18:19], 1, s[6:7]
	v_add_nc_u32_e32 v20, v16, v1
	v_sub_co_u32 v16, s3, v16, s9
	v_dual_cndmask_b32 v4, v4, v14, vcc_lo :: v_dual_cndmask_b32 v13, v19, v13, s2
	s_delay_alu instid0(VALU_DEP_4) | instskip(NEXT) | instid1(VALU_DEP_4)
	v_cndmask_b32_e64 v12, v18, v12, s2
	v_lshl_add_u64 v[24:25], v[20:21], 1, s[12:13]
	v_sub_co_u32 v20, s4, v20, s9
	v_lshl_add_u64 v[16:17], v[16:17], 1, s[6:7]
	s_delay_alu instid0(VALU_DEP_2) | instskip(NEXT) | instid1(VALU_DEP_2)
	v_lshl_add_u64 v[14:15], v[20:21], 1, s[6:7]
	v_dual_cndmask_b32 v17, v17, v23, s3 :: v_dual_cndmask_b32 v16, v16, v22, s3
	s_delay_alu instid0(VALU_DEP_2)
	v_dual_cndmask_b32 v15, v15, v25, s4 :: v_dual_cndmask_b32 v14, v14, v24, s4
	global_load_u16 v7, v[2:3], off
	global_load_u16 v18, v[4:5], off
	;; [unrolled: 1-line block ×5, first 2 shown]
	s_wait_loadcnt 0x6
	s_wait_xcnt 0x4
	v_perm_b32 v2, v11, v9, 0x5040100
	s_wait_loadcnt 0x4
	v_perm_b32 v3, v7, v26, 0x5040100
	s_wait_loadcnt 0x2
	s_wait_xcnt 0x3
	v_perm_b32 v4, v19, v18, 0x5040100
	s_wait_loadcnt 0x0
	v_perm_b32 v5, v21, v20, 0x5040100
	s_cbranch_execz .LBB560_4
	s_branch .LBB560_19
.LBB560_3:
                                        ; implicit-def: $vgpr2_vgpr3_vgpr4_vgpr5
                                        ; implicit-def: $sgpr11
	s_and_not1_b32 vcc_lo, exec_lo, s2
	s_cbranch_vccnz .LBB560_19
.LBB560_4:
	v_mov_b32_e32 v2, 0
	s_add_co_i32 s11, s15, s9
	s_mov_b32 s2, exec_lo
	s_delay_alu instid0(VALU_DEP_1)
	v_dual_mov_b32 v3, v2 :: v_dual_mov_b32 v4, v2
	v_mov_b32_e32 v5, v2
	v_cmpx_gt_u32_e64 s11, v0
	s_cbranch_execnz .LBB560_44
; %bb.5:
	s_or_b32 exec_lo, exec_lo, s2
	s_delay_alu instid0(SALU_CYCLE_1)
	s_mov_b32 s2, exec_lo
	v_cmpx_gt_u32_e64 s11, v10
	s_cbranch_execnz .LBB560_45
.LBB560_6:
	s_or_b32 exec_lo, exec_lo, s2
	s_delay_alu instid0(SALU_CYCLE_1)
	s_mov_b32 s2, exec_lo
	v_cmpx_gt_u32_e64 s11, v8
	s_cbranch_execz .LBB560_8
.LBB560_7:
	v_sub_co_u32 v12, vcc_lo, v8, s9
	v_mov_b32_e32 v9, 0
	s_delay_alu instid0(VALU_DEP_1) | instskip(SKIP_1) | instid1(VALU_DEP_1)
	v_lshl_add_u64 v[10:11], v[8:9], 1, s[12:13]
	v_mov_b32_e32 v13, v9
	v_lshl_add_u64 v[12:13], v[12:13], 1, s[6:7]
	s_delay_alu instid0(VALU_DEP_1)
	v_dual_cndmask_b32 v11, v13, v11 :: v_dual_cndmask_b32 v10, v12, v10
	global_load_u16 v7, v[10:11], off
	s_wait_loadcnt 0x0
	v_bfi_b32 v3, 0xffff, v7, v3
.LBB560_8:
	s_or_b32 exec_lo, exec_lo, s2
	v_add_nc_u32_e32 v8, v8, v1
	s_mov_b32 s2, exec_lo
	s_delay_alu instid0(VALU_DEP_1)
	v_cmpx_gt_u32_e64 s11, v8
	s_cbranch_execz .LBB560_10
; %bb.9:
	v_sub_co_u32 v12, vcc_lo, v8, s9
	v_mov_b32_e32 v9, 0
	s_delay_alu instid0(VALU_DEP_1) | instskip(SKIP_1) | instid1(VALU_DEP_1)
	v_lshl_add_u64 v[10:11], v[8:9], 1, s[12:13]
	v_mov_b32_e32 v13, v9
	v_lshl_add_u64 v[12:13], v[12:13], 1, s[6:7]
	s_delay_alu instid0(VALU_DEP_1)
	v_dual_cndmask_b32 v11, v13, v11 :: v_dual_cndmask_b32 v10, v12, v10
	global_load_u16 v7, v[10:11], off
	s_wait_loadcnt 0x0
	v_perm_b32 v3, v7, v3, 0x5040100
.LBB560_10:
	s_or_b32 exec_lo, exec_lo, s2
	v_add_nc_u32_e32 v8, v8, v1
	s_mov_b32 s2, exec_lo
	s_delay_alu instid0(VALU_DEP_1)
	v_cmpx_gt_u32_e64 s11, v8
	s_cbranch_execz .LBB560_12
; %bb.11:
	v_sub_co_u32 v12, vcc_lo, v8, s9
	v_mov_b32_e32 v9, 0
	s_delay_alu instid0(VALU_DEP_1) | instskip(SKIP_1) | instid1(VALU_DEP_1)
	v_lshl_add_u64 v[10:11], v[8:9], 1, s[12:13]
	v_mov_b32_e32 v13, v9
	v_lshl_add_u64 v[12:13], v[12:13], 1, s[6:7]
	s_delay_alu instid0(VALU_DEP_1)
	v_dual_cndmask_b32 v11, v13, v11 :: v_dual_cndmask_b32 v10, v12, v10
	global_load_u16 v7, v[10:11], off
	s_wait_loadcnt 0x0
	v_bfi_b32 v4, 0xffff, v7, v4
.LBB560_12:
	s_or_b32 exec_lo, exec_lo, s2
	v_add_nc_u32_e32 v8, v8, v1
	s_mov_b32 s2, exec_lo
	s_delay_alu instid0(VALU_DEP_1)
	v_cmpx_gt_u32_e64 s11, v8
	s_cbranch_execz .LBB560_14
; %bb.13:
	v_sub_co_u32 v12, vcc_lo, v8, s9
	v_mov_b32_e32 v9, 0
	s_delay_alu instid0(VALU_DEP_1) | instskip(SKIP_1) | instid1(VALU_DEP_1)
	v_lshl_add_u64 v[10:11], v[8:9], 1, s[12:13]
	v_mov_b32_e32 v13, v9
	v_lshl_add_u64 v[12:13], v[12:13], 1, s[6:7]
	s_delay_alu instid0(VALU_DEP_1)
	v_dual_cndmask_b32 v11, v13, v11 :: v_dual_cndmask_b32 v10, v12, v10
	global_load_u16 v7, v[10:11], off
	s_wait_loadcnt 0x0
	v_perm_b32 v4, v7, v4, 0x5040100
.LBB560_14:
	s_or_b32 exec_lo, exec_lo, s2
	v_add_nc_u32_e32 v8, v8, v1
	s_mov_b32 s2, exec_lo
	s_delay_alu instid0(VALU_DEP_1)
	v_cmpx_gt_u32_e64 s11, v8
	s_cbranch_execz .LBB560_16
; %bb.15:
	v_sub_co_u32 v12, vcc_lo, v8, s9
	v_mov_b32_e32 v9, 0
	s_delay_alu instid0(VALU_DEP_1) | instskip(SKIP_1) | instid1(VALU_DEP_1)
	v_lshl_add_u64 v[10:11], v[8:9], 1, s[12:13]
	v_mov_b32_e32 v13, v9
	v_lshl_add_u64 v[12:13], v[12:13], 1, s[6:7]
	s_delay_alu instid0(VALU_DEP_1)
	v_dual_cndmask_b32 v11, v13, v11 :: v_dual_cndmask_b32 v10, v12, v10
	global_load_u16 v7, v[10:11], off
	s_wait_loadcnt 0x0
	v_bfi_b32 v5, 0xffff, v7, v5
.LBB560_16:
	s_or_b32 exec_lo, exec_lo, s2
	v_add_nc_u32_e32 v8, v8, v1
	s_mov_b32 s2, exec_lo
	s_delay_alu instid0(VALU_DEP_1)
	v_cmpx_gt_u32_e64 s11, v8
	s_cbranch_execz .LBB560_18
; %bb.17:
	v_mov_b32_e32 v9, 0
	s_delay_alu instid0(VALU_DEP_1) | instskip(SKIP_1) | instid1(VALU_DEP_1)
	v_lshl_add_u64 v[10:11], v[8:9], 1, s[12:13]
	v_sub_co_u32 v8, vcc_lo, v8, s9
	v_lshl_add_u64 v[8:9], v[8:9], 1, s[6:7]
	s_delay_alu instid0(VALU_DEP_1)
	v_dual_cndmask_b32 v9, v9, v11 :: v_dual_cndmask_b32 v8, v8, v10
	global_load_u16 v1, v[8:9], off
	s_wait_loadcnt 0x0
	v_perm_b32 v5, v1, v5, 0x5040100
.LBB560_18:
	s_or_b32 exec_lo, exec_lo, s2
.LBB560_19:
	s_clause 0x1
	s_load_b64 s[12:13], s[0:1], 0x10
	s_load_b32 s16, s[0:1], 0x34
	v_dual_lshlrev_b32 v1, 3, v0 :: v_dual_lshrrev_b32 v7, 16, v2
	v_dual_lshrrev_b32 v9, 16, v3 :: v_dual_lshrrev_b32 v8, 16, v4
	v_lshrrev_b32_e32 v10, 16, v5
	s_delay_alu instid0(VALU_DEP_3)
	v_min_u32_e32 v12, s11, v1
	s_wait_xcnt 0x0
	s_mov_b32 s0, exec_lo
	ds_store_b16 v6, v2
	ds_store_b16 v6, v7 offset:256
	ds_store_b16 v6, v3 offset:512
	ds_store_b16 v6, v9 offset:768
	ds_store_b16 v6, v4 offset:1024
	ds_store_b16 v6, v8 offset:1280
	ds_store_b16 v6, v5 offset:1536
	ds_store_b16 v6, v10 offset:1792
	s_wait_dscnt 0x0
	s_barrier_signal -1
	v_sub_nc_u32_e64 v11, v12, s15 clamp
	v_min_u32_e32 v13, s9, v12
	s_barrier_wait -1
	s_delay_alu instid0(VALU_DEP_1)
	v_cmpx_lt_u32_e64 v11, v13
	s_cbranch_execz .LBB560_23
; %bb.20:
	v_lshlrev_b32_e32 v14, 1, v12
	s_mov_b32 s1, 0
	s_delay_alu instid0(VALU_DEP_1)
	v_lshl_add_u32 v14, s9, 1, v14
.LBB560_21:                             ; =>This Inner Loop Header: Depth=1
	v_add_nc_u32_e32 v15, v13, v11
	s_delay_alu instid0(VALU_DEP_1) | instskip(NEXT) | instid1(VALU_DEP_1)
	v_dual_lshrrev_b32 v16, 1, v15 :: v_dual_bitop2_b32 v15, -2, v15 bitop3:0x40
	v_not_b32_e32 v17, v16
	v_add_nc_u32_e32 v18, 1, v16
	s_delay_alu instid0(VALU_DEP_2)
	v_lshl_add_u32 v17, v17, 1, v14
	ds_load_u16 v15, v15
	ds_load_u16 v17, v17
	s_wait_dscnt 0x1
	s_wait_kmcnt 0x0
	v_and_b32_e32 v15, s16, v15
	s_wait_dscnt 0x0
	v_and_b32_e32 v17, s16, v17
	s_delay_alu instid0(VALU_DEP_1) | instskip(SKIP_1) | instid1(VALU_DEP_1)
	v_cmp_gt_i16_e32 vcc_lo, v17, v15
	v_dual_cndmask_b32 v13, v13, v16, vcc_lo :: v_dual_cndmask_b32 v11, v18, v11, vcc_lo
	v_cmp_ge_u32_e32 vcc_lo, v11, v13
	s_or_b32 s1, vcc_lo, s1
	s_delay_alu instid0(SALU_CYCLE_1)
	s_and_not1_b32 exec_lo, exec_lo, s1
	s_cbranch_execnz .LBB560_21
; %bb.22:
	s_or_b32 exec_lo, exec_lo, s1
.LBB560_23:
	s_delay_alu instid0(SALU_CYCLE_1) | instskip(SKIP_2) | instid1(VALU_DEP_2)
	s_or_b32 exec_lo, exec_lo, s0
	v_sub_nc_u32_e32 v12, v12, v11
	v_cmp_ge_u32_e32 vcc_lo, s9, v11
	v_add_nc_u32_e32 v12, s9, v12
	s_delay_alu instid0(VALU_DEP_1) | instskip(SKIP_1) | instid1(SALU_CYCLE_1)
	v_cmp_ge_u32_e64 s0, s11, v12
	s_or_b32 s0, vcc_lo, s0
	s_and_saveexec_b32 s15, s0
	s_cbranch_execz .LBB560_29
; %bb.24:
	v_cmp_gt_u32_e32 vcc_lo, s9, v11
                                        ; implicit-def: $vgpr2
	s_and_saveexec_b32 s0, vcc_lo
; %bb.25:
	v_lshlrev_b32_e32 v2, 1, v11
	ds_load_u16 v2, v2
; %bb.26:
	s_or_b32 exec_lo, exec_lo, s0
	v_cmp_le_u32_e64 s0, s11, v12
	s_mov_b32 s2, exec_lo
                                        ; implicit-def: $vgpr3
	v_cmpx_gt_u32_e64 s11, v12
; %bb.27:
	v_lshlrev_b32_e32 v3, 1, v12
	ds_load_u16 v3, v3
; %bb.28:
	s_or_b32 exec_lo, exec_lo, s2
	s_wait_dscnt 0x0
	s_wait_kmcnt 0x0
	v_and_b32_e32 v4, s16, v3
	v_and_b32_e32 v5, s16, v2
	s_delay_alu instid0(VALU_DEP_1) | instskip(SKIP_2) | instid1(SALU_CYCLE_1)
	v_cmp_le_i16_e64 s1, v4, v5
	v_mov_b32_e32 v4, s9
	s_and_b32 s1, vcc_lo, s1
	s_or_b32 vcc_lo, s0, s1
	v_cndmask_b32_e32 v5, v12, v11, vcc_lo
	s_delay_alu instid0(VALU_DEP_1) | instskip(NEXT) | instid1(VALU_DEP_1)
	v_dual_cndmask_b32 v7, s11, v4, vcc_lo :: v_dual_add_nc_u32 v5, 1, v5
	v_add_min_u32_e64 v7, v7, -1, v5
	v_dual_cndmask_b32 v9, v11, v5, vcc_lo :: v_dual_cndmask_b32 v5, v5, v12, vcc_lo
	s_delay_alu instid0(VALU_DEP_2) | instskip(NEXT) | instid1(VALU_DEP_2)
	v_lshlrev_b32_e32 v7, 1, v7
	v_cmp_gt_u32_e64 s0, s9, v9
	s_delay_alu instid0(VALU_DEP_3) | instskip(SKIP_4) | instid1(VALU_DEP_2)
	v_cmp_le_u32_e64 s2, s11, v5
	ds_load_u16 v7, v7
	s_wait_dscnt 0x0
	v_cndmask_b32_e32 v8, v7, v3, vcc_lo
	v_dual_cndmask_b32 v7, v2, v7 :: v_dual_cndmask_b32 v2, v3, v2
	v_and_b32_e32 v10, s16, v8
	s_delay_alu instid0(VALU_DEP_2) | instskip(NEXT) | instid1(VALU_DEP_1)
	v_and_b32_e32 v11, s16, v7
	v_cmp_le_i16_e64 s1, v10, v11
	s_and_b32 s0, s0, s1
	s_delay_alu instid0(SALU_CYCLE_1) | instskip(NEXT) | instid1(SALU_CYCLE_1)
	s_or_b32 s0, s2, s0
	v_cndmask_b32_e64 v10, v5, v9, s0
	s_delay_alu instid0(VALU_DEP_1) | instskip(NEXT) | instid1(VALU_DEP_1)
	v_dual_cndmask_b32 v11, s11, v4, s0 :: v_dual_add_nc_u32 v10, 1, v10
	v_add_min_u32_e64 v11, v11, -1, v10
	v_dual_cndmask_b32 v9, v9, v10, s0 :: v_dual_cndmask_b32 v5, v10, v5, s0
	s_delay_alu instid0(VALU_DEP_2) | instskip(NEXT) | instid1(VALU_DEP_2)
	v_lshlrev_b32_e32 v11, 1, v11
	v_cmp_gt_u32_e64 s1, s9, v9
	s_delay_alu instid0(VALU_DEP_3)
	v_cmp_le_u32_e64 s3, s11, v5
	ds_load_u16 v11, v11
	s_wait_dscnt 0x0
	v_cndmask_b32_e64 v12, v11, v8, s0
	v_cndmask_b32_e64 v11, v7, v11, s0
	;; [unrolled: 1-line block ×3, first 2 shown]
	s_delay_alu instid0(VALU_DEP_2) | instskip(NEXT) | instid1(VALU_DEP_4)
	v_and_b32_e32 v14, s16, v11
	v_and_b32_e32 v13, s16, v12
	s_delay_alu instid0(VALU_DEP_1) | instskip(SKIP_1) | instid1(SALU_CYCLE_1)
	v_cmp_le_i16_e64 s2, v13, v14
	s_and_b32 s1, s1, s2
	s_or_b32 s1, s3, s1
	s_delay_alu instid0(SALU_CYCLE_1) | instskip(NEXT) | instid1(VALU_DEP_1)
	v_cndmask_b32_e64 v10, v5, v9, s1
	v_dual_cndmask_b32 v13, s11, v4, s1 :: v_dual_add_nc_u32 v10, 1, v10
	s_delay_alu instid0(VALU_DEP_1) | instskip(NEXT) | instid1(VALU_DEP_1)
	v_add_min_u32_e64 v13, v13, -1, v10
	v_dual_cndmask_b32 v9, v9, v10, s1 :: v_dual_lshlrev_b32 v13, 1, v13
	s_delay_alu instid0(VALU_DEP_1) | instskip(SKIP_3) | instid1(VALU_DEP_1)
	v_cmp_gt_u32_e64 s2, s9, v9
	ds_load_u16 v13, v13
	s_wait_dscnt 0x0
	v_dual_cndmask_b32 v14, v13, v12, s1 :: v_dual_cndmask_b32 v13, v11, v13, s1
	v_dual_cndmask_b32 v5, v10, v5, s1 :: v_dual_bitop2_b32 v15, s16, v14 bitop3:0x40
	s_delay_alu instid0(VALU_DEP_2) | instskip(NEXT) | instid1(VALU_DEP_2)
	v_and_b32_e32 v16, s16, v13
	v_cmp_le_u32_e64 s4, s11, v5
	s_delay_alu instid0(VALU_DEP_2) | instskip(SKIP_1) | instid1(SALU_CYCLE_1)
	v_cmp_le_i16_e64 s3, v15, v16
	s_and_b32 s2, s2, s3
	s_or_b32 s2, s4, s2
	s_delay_alu instid0(SALU_CYCLE_1) | instskip(NEXT) | instid1(VALU_DEP_1)
	v_dual_cndmask_b32 v3, v12, v11, s1 :: v_dual_cndmask_b32 v10, v5, v9, s2
	v_dual_cndmask_b32 v15, s11, v4, s2 :: v_dual_add_nc_u32 v10, 1, v10
	s_delay_alu instid0(VALU_DEP_1) | instskip(NEXT) | instid1(VALU_DEP_1)
	v_add_min_u32_e64 v15, v15, -1, v10
	v_lshlrev_b32_e32 v15, 1, v15
	ds_load_u16 v15, v15
	s_wait_dscnt 0x0
	v_dual_cndmask_b32 v16, v15, v14, s2 :: v_dual_cndmask_b32 v15, v13, v15, s2
	v_dual_cndmask_b32 v5, v10, v5, s2 :: v_dual_cndmask_b32 v9, v9, v10, s2
	s_delay_alu instid0(VALU_DEP_2) | instskip(NEXT) | instid1(VALU_DEP_3)
	v_and_b32_e32 v17, s16, v16
	v_and_b32_e32 v18, s16, v15
	s_delay_alu instid0(VALU_DEP_3) | instskip(NEXT) | instid1(VALU_DEP_4)
	v_cmp_le_u32_e64 s5, s11, v5
	v_cmp_gt_u32_e64 s3, s9, v9
	s_delay_alu instid0(VALU_DEP_3) | instskip(SKIP_1) | instid1(SALU_CYCLE_1)
	v_cmp_le_i16_e64 s4, v17, v18
	s_and_b32 s3, s3, s4
	s_or_b32 s3, s5, s3
	s_delay_alu instid0(SALU_CYCLE_1) | instskip(NEXT) | instid1(VALU_DEP_1)
	v_cndmask_b32_e64 v10, v5, v9, s3
	v_dual_cndmask_b32 v17, s11, v4, s3 :: v_dual_add_nc_u32 v10, 1, v10
	s_delay_alu instid0(VALU_DEP_1) | instskip(NEXT) | instid1(VALU_DEP_1)
	v_add_min_u32_e64 v17, v17, -1, v10
	v_dual_cndmask_b32 v9, v9, v10, s3 :: v_dual_lshlrev_b32 v17, 1, v17
	s_delay_alu instid0(VALU_DEP_1) | instskip(SKIP_3) | instid1(VALU_DEP_1)
	v_cmp_gt_u32_e64 s4, s9, v9
	ds_load_u16 v17, v17
	s_wait_dscnt 0x0
	v_dual_cndmask_b32 v18, v17, v16, s3 :: v_dual_cndmask_b32 v17, v15, v17, s3
	v_dual_cndmask_b32 v5, v10, v5, s3 :: v_dual_bitop2_b32 v19, s16, v18 bitop3:0x40
	s_delay_alu instid0(VALU_DEP_2) | instskip(NEXT) | instid1(VALU_DEP_2)
	v_and_b32_e32 v20, s16, v17
	v_cmp_le_u32_e64 s6, s11, v5
	s_delay_alu instid0(VALU_DEP_2) | instskip(SKIP_1) | instid1(SALU_CYCLE_1)
	v_cmp_le_i16_e64 s5, v19, v20
	s_and_b32 s4, s4, s5
	s_or_b32 s4, s6, s4
	s_delay_alu instid0(SALU_CYCLE_1) | instskip(SKIP_1) | instid1(VALU_DEP_2)
	v_cndmask_b32_e64 v10, v5, v9, s4
	v_cndmask_b32_e64 v19, s11, v4, s4
	v_dual_cndmask_b32 v8, v18, v17, s4 :: v_dual_add_nc_u32 v10, 1, v10
	s_delay_alu instid0(VALU_DEP_1) | instskip(NEXT) | instid1(VALU_DEP_1)
	v_add_min_u32_e64 v19, v19, -1, v10
	v_lshlrev_b32_e32 v19, 1, v19
	ds_load_u16 v19, v19
	s_wait_dscnt 0x0
	v_dual_cndmask_b32 v20, v19, v18, s4 :: v_dual_cndmask_b32 v19, v17, v19, s4
	v_dual_cndmask_b32 v5, v10, v5, s4 :: v_dual_cndmask_b32 v9, v9, v10, s4
	s_delay_alu instid0(VALU_DEP_2) | instskip(NEXT) | instid1(VALU_DEP_3)
	v_and_b32_e32 v21, s16, v20
	v_and_b32_e32 v22, s16, v19
	s_delay_alu instid0(VALU_DEP_3) | instskip(NEXT) | instid1(VALU_DEP_4)
	v_cmp_le_u32_e64 s7, s11, v5
	v_cmp_gt_u32_e64 s5, s9, v9
	s_delay_alu instid0(VALU_DEP_3) | instskip(SKIP_1) | instid1(SALU_CYCLE_1)
	v_cmp_le_i16_e64 s6, v21, v22
	s_and_b32 s5, s5, s6
	s_or_b32 s5, s7, s5
	s_delay_alu instid0(SALU_CYCLE_1) | instskip(NEXT) | instid1(VALU_DEP_1)
	v_cndmask_b32_e64 v10, v5, v9, s5
	v_dual_cndmask_b32 v4, s11, v4, s5 :: v_dual_add_nc_u32 v10, 1, v10
	s_delay_alu instid0(VALU_DEP_1) | instskip(NEXT) | instid1(VALU_DEP_1)
	v_add_min_u32_e64 v4, v4, -1, v10
	v_dual_cndmask_b32 v5, v10, v5, s5 :: v_dual_lshlrev_b32 v4, 1, v4
	s_delay_alu instid0(VALU_DEP_1) | instskip(SKIP_4) | instid1(VALU_DEP_2)
	v_cmp_le_u32_e64 s1, s11, v5
	ds_load_u16 v4, v4
	s_wait_dscnt 0x0
	v_cndmask_b32_e64 v21, v4, v20, s5
	v_dual_cndmask_b32 v22, v19, v4, s5 :: v_dual_cndmask_b32 v4, v9, v10, s5
	v_and_b32_e32 v9, s16, v21
	s_delay_alu instid0(VALU_DEP_2) | instskip(NEXT) | instid1(VALU_DEP_3)
	v_and_b32_e32 v23, s16, v22
	v_cmp_gt_u32_e32 vcc_lo, s9, v4
	v_cndmask_b32_e64 v4, v16, v15, s3
	s_delay_alu instid0(VALU_DEP_3) | instskip(SKIP_2) | instid1(SALU_CYCLE_1)
	v_cmp_le_i16_e64 s0, v9, v23
	v_cndmask_b32_e64 v9, v14, v13, s2
	s_and_b32 s0, vcc_lo, s0
	s_or_b32 vcc_lo, s1, s0
	s_delay_alu instid0(SALU_CYCLE_1)
	v_dual_cndmask_b32 v5, v20, v19, s5 :: v_dual_cndmask_b32 v10, v21, v22, vcc_lo
.LBB560_29:
	s_or_b32 exec_lo, exec_lo, s15
	v_lshrrev_b32_e32 v11, 1, v0
	v_or_b32_e32 v12, 0x80, v0
	v_perm_b32 v2, v7, v2, 0x5040100
	v_lshrrev_b32_e32 v7, 4, v0
	v_perm_b32 v3, v9, v3, 0x5040100
	s_delay_alu instid0(VALU_DEP_4) | instskip(SKIP_2) | instid1(VALU_DEP_3)
	v_dual_lshrrev_b32 v9, 4, v12 :: v_dual_bitop2_b32 v11, 60, v11 bitop3:0x40
	v_perm_b32 v4, v8, v4, 0x5040100
	v_perm_b32 v5, v10, v5, 0x5040100
	v_lshl_add_u32 v1, v1, 1, v11
	v_or_b32_e32 v11, 0x100, v0
	s_barrier_signal -1
	s_barrier_wait -1
	s_delay_alu instid0(VALU_DEP_1)
	v_dual_lshrrev_b32 v13, 4, v11 :: v_dual_bitop2_b32 v8, 12, v9 bitop3:0x40
	v_and_b32_e32 v7, 4, v7
	v_or_b32_e32 v9, 0x180, v0
	s_barrier_signal -1
	s_barrier_wait -1
	v_and_b32_e32 v14, 20, v13
	ds_store_2addr_b32 v1, v2, v3 offset1:1
	ds_store_2addr_b32 v1, v4, v5 offset0:2 offset1:3
	v_dual_add_nc_u32 v13, v8, v6 :: v_dual_add_nc_u32 v10, v7, v6
	v_dual_lshrrev_b32 v1, 4, v9 :: v_dual_add_nc_u32 v14, v14, v6
	v_or_b32_e32 v8, 0x200, v0
	v_or_b32_e32 v5, 0x280, v0
	;; [unrolled: 1-line block ×3, first 2 shown]
	s_delay_alu instid0(VALU_DEP_4) | instskip(SKIP_1) | instid1(VALU_DEP_4)
	v_and_b32_e32 v2, 28, v1
	v_or_b32_e32 v1, 0x380, v0
	v_dual_lshrrev_b32 v3, 4, v8 :: v_dual_lshrrev_b32 v7, 4, v5
	s_delay_alu instid0(VALU_DEP_3) | instskip(NEXT) | instid1(VALU_DEP_3)
	v_dual_lshrrev_b32 v16, 4, v4 :: v_dual_add_nc_u32 v15, v2, v6
	v_lshrrev_b32_e32 v2, 4, v1
	s_mov_b32 s11, 0
	s_delay_alu instid0(VALU_DEP_3)
	v_and_b32_e32 v3, 36, v3
	v_dual_mov_b32 v7, 0 :: v_dual_bitop2_b32 v17, 44, v7 bitop3:0x40
	s_lshl_b64 s[0:1], s[10:11], 1
	v_and_b32_e32 v18, 52, v16
	v_and_b32_e32 v19, 60, v2
	s_wait_kmcnt 0x0
	s_add_nc_u64 s[0:1], s[12:13], s[0:1]
	v_add_nc_u32_e32 v16, v3, v6
	v_add_nc_u64_e32 v[2:3], s[0:1], v[6:7]
	v_dual_add_nc_u32 v17, v17, v6 :: v_dual_add_nc_u32 v18, v18, v6
	v_add_nc_u32_e32 v19, v19, v6
	s_and_b32 vcc_lo, exec_lo, s14
	s_wait_dscnt 0x0
	s_cbranch_vccz .LBB560_31
; %bb.30:
	s_barrier_signal -1
	s_barrier_wait -1
	ds_load_u16 v7, v10
	ds_load_u16 v20, v13 offset:256
	ds_load_u16 v21, v14 offset:512
	;; [unrolled: 1-line block ×7, first 2 shown]
	s_mov_b32 s11, -1
	s_wait_dscnt 0x7
	global_store_b16 v[2:3], v7, off
	s_wait_dscnt 0x6
	global_store_b16 v[2:3], v20, off offset:256
	s_wait_dscnt 0x5
	global_store_b16 v[2:3], v21, off offset:512
	;; [unrolled: 2-line block ×6, first 2 shown]
	s_cbranch_execz .LBB560_32
	s_branch .LBB560_41
.LBB560_31:
                                        ; implicit-def: $vgpr6
.LBB560_32:
	s_barrier_signal -1
	s_barrier_wait -1
	s_wait_storecnt_dscnt 0x0
	s_wait_xcnt 0x4
	ds_load_u16 v21, v13 offset:256
	ds_load_u16 v20, v14 offset:512
	ds_load_u16 v15, v15 offset:768
	ds_load_u16 v14, v16 offset:1024
	ds_load_u16 v13, v17 offset:1280
	ds_load_u16 v7, v18 offset:1536
	ds_load_u16 v6, v19 offset:1792
	s_sub_co_i32 s0, s8, s10
	s_mov_b32 s1, exec_lo
	s_wait_xcnt 0x0
	v_cmpx_gt_u32_e64 s0, v0
	s_cbranch_execnz .LBB560_46
; %bb.33:
	s_or_b32 exec_lo, exec_lo, s1
	s_delay_alu instid0(SALU_CYCLE_1)
	s_mov_b32 s1, exec_lo
	v_cmpx_gt_u32_e64 s0, v12
	s_cbranch_execnz .LBB560_47
.LBB560_34:
	s_or_b32 exec_lo, exec_lo, s1
	s_delay_alu instid0(SALU_CYCLE_1)
	s_mov_b32 s1, exec_lo
	v_cmpx_gt_u32_e64 s0, v11
	s_cbranch_execnz .LBB560_48
.LBB560_35:
	s_or_b32 exec_lo, exec_lo, s1
	s_delay_alu instid0(SALU_CYCLE_1)
	s_mov_b32 s1, exec_lo
	v_cmpx_gt_u32_e64 s0, v9
	s_cbranch_execnz .LBB560_49
.LBB560_36:
	s_or_b32 exec_lo, exec_lo, s1
	s_delay_alu instid0(SALU_CYCLE_1)
	s_mov_b32 s1, exec_lo
	v_cmpx_gt_u32_e64 s0, v8
	s_cbranch_execnz .LBB560_50
.LBB560_37:
	s_or_b32 exec_lo, exec_lo, s1
	s_delay_alu instid0(SALU_CYCLE_1)
	s_mov_b32 s1, exec_lo
	v_cmpx_gt_u32_e64 s0, v5
	s_cbranch_execnz .LBB560_51
.LBB560_38:
	s_or_b32 exec_lo, exec_lo, s1
	s_delay_alu instid0(SALU_CYCLE_1)
	s_mov_b32 s1, exec_lo
	v_cmpx_gt_u32_e64 s0, v4
	s_cbranch_execz .LBB560_40
.LBB560_39:
	s_wait_dscnt 0x1
	global_store_b16 v[2:3], v7, off offset:1536
.LBB560_40:
	s_wait_xcnt 0x0
	s_or_b32 exec_lo, exec_lo, s1
	v_cmp_gt_u32_e64 s11, s0, v1
.LBB560_41:
	s_wait_xcnt 0x0
	s_delay_alu instid0(VALU_DEP_1)
	s_and_saveexec_b32 s0, s11
	s_cbranch_execz .LBB560_43
; %bb.42:
	s_wait_dscnt 0x0
	global_store_b16 v[2:3], v6, off offset:1792
.LBB560_43:
	s_endpgm
.LBB560_44:
	v_dual_mov_b32 v7, v2 :: v_dual_mov_b32 v5, v2
	v_sub_co_u32 v4, vcc_lo, v0, s9
	v_mov_b32_e32 v15, v2
	s_delay_alu instid0(VALU_DEP_3) | instskip(SKIP_1) | instid1(VALU_DEP_4)
	v_add_nc_u64_e32 v[12:13], s[12:13], v[6:7]
	v_mov_b32_e32 v14, v2
	v_lshl_add_u64 v[4:5], v[4:5], 1, s[6:7]
	s_delay_alu instid0(VALU_DEP_1) | instskip(SKIP_4) | instid1(VALU_DEP_1)
	v_dual_cndmask_b32 v5, v5, v13 :: v_dual_cndmask_b32 v4, v4, v12
	v_mov_b32_e32 v13, v2
	global_load_u16 v3, v[4:5], off
	s_wait_loadcnt 0x0
	v_and_b32_e32 v12, 0xffff, v3
	v_mov_b64_e32 v[2:3], v[12:13]
	v_mov_b64_e32 v[4:5], v[14:15]
	s_or_b32 exec_lo, exec_lo, s2
	s_delay_alu instid0(SALU_CYCLE_1)
	s_mov_b32 s2, exec_lo
	v_cmpx_gt_u32_e64 s11, v10
	s_cbranch_execz .LBB560_6
.LBB560_45:
	v_mov_b32_e32 v11, 0
	s_delay_alu instid0(VALU_DEP_1) | instskip(SKIP_1) | instid1(VALU_DEP_1)
	v_lshl_add_u64 v[12:13], v[10:11], 1, s[12:13]
	v_sub_co_u32 v10, vcc_lo, v10, s9
	v_lshl_add_u64 v[10:11], v[10:11], 1, s[6:7]
	s_delay_alu instid0(VALU_DEP_1) | instskip(SKIP_4) | instid1(SALU_CYCLE_1)
	v_dual_cndmask_b32 v11, v11, v13 :: v_dual_cndmask_b32 v10, v10, v12
	global_load_u16 v7, v[10:11], off
	s_wait_loadcnt 0x0
	v_perm_b32 v2, v7, v2, 0x5040100
	s_or_b32 exec_lo, exec_lo, s2
	s_mov_b32 s2, exec_lo
	v_cmpx_gt_u32_e64 s11, v8
	s_cbranch_execnz .LBB560_7
	s_branch .LBB560_8
.LBB560_46:
	ds_load_u16 v0, v10
	s_wait_dscnt 0x0
	global_store_b16 v[2:3], v0, off
	s_wait_xcnt 0x0
	s_or_b32 exec_lo, exec_lo, s1
	s_delay_alu instid0(SALU_CYCLE_1)
	s_mov_b32 s1, exec_lo
	v_cmpx_gt_u32_e64 s0, v12
	s_cbranch_execz .LBB560_34
.LBB560_47:
	s_wait_dscnt 0x6
	global_store_b16 v[2:3], v21, off offset:256
	s_wait_xcnt 0x0
	s_or_b32 exec_lo, exec_lo, s1
	s_delay_alu instid0(SALU_CYCLE_1)
	s_mov_b32 s1, exec_lo
	v_cmpx_gt_u32_e64 s0, v11
	s_cbranch_execz .LBB560_35
.LBB560_48:
	s_wait_dscnt 0x5
	global_store_b16 v[2:3], v20, off offset:512
	s_wait_xcnt 0x0
	s_or_b32 exec_lo, exec_lo, s1
	s_delay_alu instid0(SALU_CYCLE_1)
	s_mov_b32 s1, exec_lo
	v_cmpx_gt_u32_e64 s0, v9
	s_cbranch_execz .LBB560_36
.LBB560_49:
	s_wait_dscnt 0x4
	global_store_b16 v[2:3], v15, off offset:768
	s_wait_xcnt 0x0
	s_or_b32 exec_lo, exec_lo, s1
	s_delay_alu instid0(SALU_CYCLE_1)
	s_mov_b32 s1, exec_lo
	v_cmpx_gt_u32_e64 s0, v8
	s_cbranch_execz .LBB560_37
.LBB560_50:
	s_wait_dscnt 0x3
	global_store_b16 v[2:3], v14, off offset:1024
	s_wait_xcnt 0x0
	s_or_b32 exec_lo, exec_lo, s1
	s_delay_alu instid0(SALU_CYCLE_1)
	s_mov_b32 s1, exec_lo
	v_cmpx_gt_u32_e64 s0, v5
	s_cbranch_execz .LBB560_38
.LBB560_51:
	s_wait_dscnt 0x2
	global_store_b16 v[2:3], v13, off offset:1280
	s_wait_xcnt 0x0
	s_or_b32 exec_lo, exec_lo, s1
	s_delay_alu instid0(SALU_CYCLE_1)
	s_mov_b32 s1, exec_lo
	v_cmpx_gt_u32_e64 s0, v4
	s_cbranch_execnz .LBB560_39
	s_branch .LBB560_40
	.section	.rodata,"a",@progbits
	.p2align	6, 0x0
	.amdhsa_kernel _ZN7rocprim17ROCPRIM_400000_NS6detail17trampoline_kernelINS0_14default_configENS1_38merge_sort_block_merge_config_selectorIsNS0_10empty_typeEEEZZNS1_27merge_sort_block_merge_implIS3_PsPS5_jNS1_19radix_merge_compareILb1ELb1EsNS0_19identity_decomposerEEEEE10hipError_tT0_T1_T2_jT3_P12ihipStream_tbPNSt15iterator_traitsISE_E10value_typeEPNSK_ISF_E10value_typeEPSG_NS1_7vsmem_tEENKUlT_SE_SF_SG_E_clIS8_S8_S9_S9_EESD_ST_SE_SF_SG_EUlST_E0_NS1_11comp_targetILNS1_3genE0ELNS1_11target_archE4294967295ELNS1_3gpuE0ELNS1_3repE0EEENS1_38merge_mergepath_config_static_selectorELNS0_4arch9wavefront6targetE0EEEvSF_
		.amdhsa_group_segment_fixed_size 2112
		.amdhsa_private_segment_fixed_size 0
		.amdhsa_kernarg_size 320
		.amdhsa_user_sgpr_count 2
		.amdhsa_user_sgpr_dispatch_ptr 0
		.amdhsa_user_sgpr_queue_ptr 0
		.amdhsa_user_sgpr_kernarg_segment_ptr 1
		.amdhsa_user_sgpr_dispatch_id 0
		.amdhsa_user_sgpr_kernarg_preload_length 0
		.amdhsa_user_sgpr_kernarg_preload_offset 0
		.amdhsa_user_sgpr_private_segment_size 0
		.amdhsa_wavefront_size32 1
		.amdhsa_uses_dynamic_stack 0
		.amdhsa_enable_private_segment 0
		.amdhsa_system_sgpr_workgroup_id_x 1
		.amdhsa_system_sgpr_workgroup_id_y 1
		.amdhsa_system_sgpr_workgroup_id_z 1
		.amdhsa_system_sgpr_workgroup_info 0
		.amdhsa_system_vgpr_workitem_id 0
		.amdhsa_next_free_vgpr 27
		.amdhsa_next_free_sgpr 23
		.amdhsa_named_barrier_count 0
		.amdhsa_reserve_vcc 1
		.amdhsa_float_round_mode_32 0
		.amdhsa_float_round_mode_16_64 0
		.amdhsa_float_denorm_mode_32 3
		.amdhsa_float_denorm_mode_16_64 3
		.amdhsa_fp16_overflow 0
		.amdhsa_memory_ordered 1
		.amdhsa_forward_progress 1
		.amdhsa_inst_pref_size 35
		.amdhsa_round_robin_scheduling 0
		.amdhsa_exception_fp_ieee_invalid_op 0
		.amdhsa_exception_fp_denorm_src 0
		.amdhsa_exception_fp_ieee_div_zero 0
		.amdhsa_exception_fp_ieee_overflow 0
		.amdhsa_exception_fp_ieee_underflow 0
		.amdhsa_exception_fp_ieee_inexact 0
		.amdhsa_exception_int_div_zero 0
	.end_amdhsa_kernel
	.section	.text._ZN7rocprim17ROCPRIM_400000_NS6detail17trampoline_kernelINS0_14default_configENS1_38merge_sort_block_merge_config_selectorIsNS0_10empty_typeEEEZZNS1_27merge_sort_block_merge_implIS3_PsPS5_jNS1_19radix_merge_compareILb1ELb1EsNS0_19identity_decomposerEEEEE10hipError_tT0_T1_T2_jT3_P12ihipStream_tbPNSt15iterator_traitsISE_E10value_typeEPNSK_ISF_E10value_typeEPSG_NS1_7vsmem_tEENKUlT_SE_SF_SG_E_clIS8_S8_S9_S9_EESD_ST_SE_SF_SG_EUlST_E0_NS1_11comp_targetILNS1_3genE0ELNS1_11target_archE4294967295ELNS1_3gpuE0ELNS1_3repE0EEENS1_38merge_mergepath_config_static_selectorELNS0_4arch9wavefront6targetE0EEEvSF_,"axG",@progbits,_ZN7rocprim17ROCPRIM_400000_NS6detail17trampoline_kernelINS0_14default_configENS1_38merge_sort_block_merge_config_selectorIsNS0_10empty_typeEEEZZNS1_27merge_sort_block_merge_implIS3_PsPS5_jNS1_19radix_merge_compareILb1ELb1EsNS0_19identity_decomposerEEEEE10hipError_tT0_T1_T2_jT3_P12ihipStream_tbPNSt15iterator_traitsISE_E10value_typeEPNSK_ISF_E10value_typeEPSG_NS1_7vsmem_tEENKUlT_SE_SF_SG_E_clIS8_S8_S9_S9_EESD_ST_SE_SF_SG_EUlST_E0_NS1_11comp_targetILNS1_3genE0ELNS1_11target_archE4294967295ELNS1_3gpuE0ELNS1_3repE0EEENS1_38merge_mergepath_config_static_selectorELNS0_4arch9wavefront6targetE0EEEvSF_,comdat
.Lfunc_end560:
	.size	_ZN7rocprim17ROCPRIM_400000_NS6detail17trampoline_kernelINS0_14default_configENS1_38merge_sort_block_merge_config_selectorIsNS0_10empty_typeEEEZZNS1_27merge_sort_block_merge_implIS3_PsPS5_jNS1_19radix_merge_compareILb1ELb1EsNS0_19identity_decomposerEEEEE10hipError_tT0_T1_T2_jT3_P12ihipStream_tbPNSt15iterator_traitsISE_E10value_typeEPNSK_ISF_E10value_typeEPSG_NS1_7vsmem_tEENKUlT_SE_SF_SG_E_clIS8_S8_S9_S9_EESD_ST_SE_SF_SG_EUlST_E0_NS1_11comp_targetILNS1_3genE0ELNS1_11target_archE4294967295ELNS1_3gpuE0ELNS1_3repE0EEENS1_38merge_mergepath_config_static_selectorELNS0_4arch9wavefront6targetE0EEEvSF_, .Lfunc_end560-_ZN7rocprim17ROCPRIM_400000_NS6detail17trampoline_kernelINS0_14default_configENS1_38merge_sort_block_merge_config_selectorIsNS0_10empty_typeEEEZZNS1_27merge_sort_block_merge_implIS3_PsPS5_jNS1_19radix_merge_compareILb1ELb1EsNS0_19identity_decomposerEEEEE10hipError_tT0_T1_T2_jT3_P12ihipStream_tbPNSt15iterator_traitsISE_E10value_typeEPNSK_ISF_E10value_typeEPSG_NS1_7vsmem_tEENKUlT_SE_SF_SG_E_clIS8_S8_S9_S9_EESD_ST_SE_SF_SG_EUlST_E0_NS1_11comp_targetILNS1_3genE0ELNS1_11target_archE4294967295ELNS1_3gpuE0ELNS1_3repE0EEENS1_38merge_mergepath_config_static_selectorELNS0_4arch9wavefront6targetE0EEEvSF_
                                        ; -- End function
	.set _ZN7rocprim17ROCPRIM_400000_NS6detail17trampoline_kernelINS0_14default_configENS1_38merge_sort_block_merge_config_selectorIsNS0_10empty_typeEEEZZNS1_27merge_sort_block_merge_implIS3_PsPS5_jNS1_19radix_merge_compareILb1ELb1EsNS0_19identity_decomposerEEEEE10hipError_tT0_T1_T2_jT3_P12ihipStream_tbPNSt15iterator_traitsISE_E10value_typeEPNSK_ISF_E10value_typeEPSG_NS1_7vsmem_tEENKUlT_SE_SF_SG_E_clIS8_S8_S9_S9_EESD_ST_SE_SF_SG_EUlST_E0_NS1_11comp_targetILNS1_3genE0ELNS1_11target_archE4294967295ELNS1_3gpuE0ELNS1_3repE0EEENS1_38merge_mergepath_config_static_selectorELNS0_4arch9wavefront6targetE0EEEvSF_.num_vgpr, 27
	.set _ZN7rocprim17ROCPRIM_400000_NS6detail17trampoline_kernelINS0_14default_configENS1_38merge_sort_block_merge_config_selectorIsNS0_10empty_typeEEEZZNS1_27merge_sort_block_merge_implIS3_PsPS5_jNS1_19radix_merge_compareILb1ELb1EsNS0_19identity_decomposerEEEEE10hipError_tT0_T1_T2_jT3_P12ihipStream_tbPNSt15iterator_traitsISE_E10value_typeEPNSK_ISF_E10value_typeEPSG_NS1_7vsmem_tEENKUlT_SE_SF_SG_E_clIS8_S8_S9_S9_EESD_ST_SE_SF_SG_EUlST_E0_NS1_11comp_targetILNS1_3genE0ELNS1_11target_archE4294967295ELNS1_3gpuE0ELNS1_3repE0EEENS1_38merge_mergepath_config_static_selectorELNS0_4arch9wavefront6targetE0EEEvSF_.num_agpr, 0
	.set _ZN7rocprim17ROCPRIM_400000_NS6detail17trampoline_kernelINS0_14default_configENS1_38merge_sort_block_merge_config_selectorIsNS0_10empty_typeEEEZZNS1_27merge_sort_block_merge_implIS3_PsPS5_jNS1_19radix_merge_compareILb1ELb1EsNS0_19identity_decomposerEEEEE10hipError_tT0_T1_T2_jT3_P12ihipStream_tbPNSt15iterator_traitsISE_E10value_typeEPNSK_ISF_E10value_typeEPSG_NS1_7vsmem_tEENKUlT_SE_SF_SG_E_clIS8_S8_S9_S9_EESD_ST_SE_SF_SG_EUlST_E0_NS1_11comp_targetILNS1_3genE0ELNS1_11target_archE4294967295ELNS1_3gpuE0ELNS1_3repE0EEENS1_38merge_mergepath_config_static_selectorELNS0_4arch9wavefront6targetE0EEEvSF_.numbered_sgpr, 23
	.set _ZN7rocprim17ROCPRIM_400000_NS6detail17trampoline_kernelINS0_14default_configENS1_38merge_sort_block_merge_config_selectorIsNS0_10empty_typeEEEZZNS1_27merge_sort_block_merge_implIS3_PsPS5_jNS1_19radix_merge_compareILb1ELb1EsNS0_19identity_decomposerEEEEE10hipError_tT0_T1_T2_jT3_P12ihipStream_tbPNSt15iterator_traitsISE_E10value_typeEPNSK_ISF_E10value_typeEPSG_NS1_7vsmem_tEENKUlT_SE_SF_SG_E_clIS8_S8_S9_S9_EESD_ST_SE_SF_SG_EUlST_E0_NS1_11comp_targetILNS1_3genE0ELNS1_11target_archE4294967295ELNS1_3gpuE0ELNS1_3repE0EEENS1_38merge_mergepath_config_static_selectorELNS0_4arch9wavefront6targetE0EEEvSF_.num_named_barrier, 0
	.set _ZN7rocprim17ROCPRIM_400000_NS6detail17trampoline_kernelINS0_14default_configENS1_38merge_sort_block_merge_config_selectorIsNS0_10empty_typeEEEZZNS1_27merge_sort_block_merge_implIS3_PsPS5_jNS1_19radix_merge_compareILb1ELb1EsNS0_19identity_decomposerEEEEE10hipError_tT0_T1_T2_jT3_P12ihipStream_tbPNSt15iterator_traitsISE_E10value_typeEPNSK_ISF_E10value_typeEPSG_NS1_7vsmem_tEENKUlT_SE_SF_SG_E_clIS8_S8_S9_S9_EESD_ST_SE_SF_SG_EUlST_E0_NS1_11comp_targetILNS1_3genE0ELNS1_11target_archE4294967295ELNS1_3gpuE0ELNS1_3repE0EEENS1_38merge_mergepath_config_static_selectorELNS0_4arch9wavefront6targetE0EEEvSF_.private_seg_size, 0
	.set _ZN7rocprim17ROCPRIM_400000_NS6detail17trampoline_kernelINS0_14default_configENS1_38merge_sort_block_merge_config_selectorIsNS0_10empty_typeEEEZZNS1_27merge_sort_block_merge_implIS3_PsPS5_jNS1_19radix_merge_compareILb1ELb1EsNS0_19identity_decomposerEEEEE10hipError_tT0_T1_T2_jT3_P12ihipStream_tbPNSt15iterator_traitsISE_E10value_typeEPNSK_ISF_E10value_typeEPSG_NS1_7vsmem_tEENKUlT_SE_SF_SG_E_clIS8_S8_S9_S9_EESD_ST_SE_SF_SG_EUlST_E0_NS1_11comp_targetILNS1_3genE0ELNS1_11target_archE4294967295ELNS1_3gpuE0ELNS1_3repE0EEENS1_38merge_mergepath_config_static_selectorELNS0_4arch9wavefront6targetE0EEEvSF_.uses_vcc, 1
	.set _ZN7rocprim17ROCPRIM_400000_NS6detail17trampoline_kernelINS0_14default_configENS1_38merge_sort_block_merge_config_selectorIsNS0_10empty_typeEEEZZNS1_27merge_sort_block_merge_implIS3_PsPS5_jNS1_19radix_merge_compareILb1ELb1EsNS0_19identity_decomposerEEEEE10hipError_tT0_T1_T2_jT3_P12ihipStream_tbPNSt15iterator_traitsISE_E10value_typeEPNSK_ISF_E10value_typeEPSG_NS1_7vsmem_tEENKUlT_SE_SF_SG_E_clIS8_S8_S9_S9_EESD_ST_SE_SF_SG_EUlST_E0_NS1_11comp_targetILNS1_3genE0ELNS1_11target_archE4294967295ELNS1_3gpuE0ELNS1_3repE0EEENS1_38merge_mergepath_config_static_selectorELNS0_4arch9wavefront6targetE0EEEvSF_.uses_flat_scratch, 0
	.set _ZN7rocprim17ROCPRIM_400000_NS6detail17trampoline_kernelINS0_14default_configENS1_38merge_sort_block_merge_config_selectorIsNS0_10empty_typeEEEZZNS1_27merge_sort_block_merge_implIS3_PsPS5_jNS1_19radix_merge_compareILb1ELb1EsNS0_19identity_decomposerEEEEE10hipError_tT0_T1_T2_jT3_P12ihipStream_tbPNSt15iterator_traitsISE_E10value_typeEPNSK_ISF_E10value_typeEPSG_NS1_7vsmem_tEENKUlT_SE_SF_SG_E_clIS8_S8_S9_S9_EESD_ST_SE_SF_SG_EUlST_E0_NS1_11comp_targetILNS1_3genE0ELNS1_11target_archE4294967295ELNS1_3gpuE0ELNS1_3repE0EEENS1_38merge_mergepath_config_static_selectorELNS0_4arch9wavefront6targetE0EEEvSF_.has_dyn_sized_stack, 0
	.set _ZN7rocprim17ROCPRIM_400000_NS6detail17trampoline_kernelINS0_14default_configENS1_38merge_sort_block_merge_config_selectorIsNS0_10empty_typeEEEZZNS1_27merge_sort_block_merge_implIS3_PsPS5_jNS1_19radix_merge_compareILb1ELb1EsNS0_19identity_decomposerEEEEE10hipError_tT0_T1_T2_jT3_P12ihipStream_tbPNSt15iterator_traitsISE_E10value_typeEPNSK_ISF_E10value_typeEPSG_NS1_7vsmem_tEENKUlT_SE_SF_SG_E_clIS8_S8_S9_S9_EESD_ST_SE_SF_SG_EUlST_E0_NS1_11comp_targetILNS1_3genE0ELNS1_11target_archE4294967295ELNS1_3gpuE0ELNS1_3repE0EEENS1_38merge_mergepath_config_static_selectorELNS0_4arch9wavefront6targetE0EEEvSF_.has_recursion, 0
	.set _ZN7rocprim17ROCPRIM_400000_NS6detail17trampoline_kernelINS0_14default_configENS1_38merge_sort_block_merge_config_selectorIsNS0_10empty_typeEEEZZNS1_27merge_sort_block_merge_implIS3_PsPS5_jNS1_19radix_merge_compareILb1ELb1EsNS0_19identity_decomposerEEEEE10hipError_tT0_T1_T2_jT3_P12ihipStream_tbPNSt15iterator_traitsISE_E10value_typeEPNSK_ISF_E10value_typeEPSG_NS1_7vsmem_tEENKUlT_SE_SF_SG_E_clIS8_S8_S9_S9_EESD_ST_SE_SF_SG_EUlST_E0_NS1_11comp_targetILNS1_3genE0ELNS1_11target_archE4294967295ELNS1_3gpuE0ELNS1_3repE0EEENS1_38merge_mergepath_config_static_selectorELNS0_4arch9wavefront6targetE0EEEvSF_.has_indirect_call, 0
	.section	.AMDGPU.csdata,"",@progbits
; Kernel info:
; codeLenInByte = 4472
; TotalNumSgprs: 25
; NumVgprs: 27
; ScratchSize: 0
; MemoryBound: 0
; FloatMode: 240
; IeeeMode: 1
; LDSByteSize: 2112 bytes/workgroup (compile time only)
; SGPRBlocks: 0
; VGPRBlocks: 1
; NumSGPRsForWavesPerEU: 25
; NumVGPRsForWavesPerEU: 27
; NamedBarCnt: 0
; Occupancy: 16
; WaveLimiterHint : 1
; COMPUTE_PGM_RSRC2:SCRATCH_EN: 0
; COMPUTE_PGM_RSRC2:USER_SGPR: 2
; COMPUTE_PGM_RSRC2:TRAP_HANDLER: 0
; COMPUTE_PGM_RSRC2:TGID_X_EN: 1
; COMPUTE_PGM_RSRC2:TGID_Y_EN: 1
; COMPUTE_PGM_RSRC2:TGID_Z_EN: 1
; COMPUTE_PGM_RSRC2:TIDIG_COMP_CNT: 0
	.section	.text._ZN7rocprim17ROCPRIM_400000_NS6detail17trampoline_kernelINS0_14default_configENS1_38merge_sort_block_merge_config_selectorIsNS0_10empty_typeEEEZZNS1_27merge_sort_block_merge_implIS3_PsPS5_jNS1_19radix_merge_compareILb1ELb1EsNS0_19identity_decomposerEEEEE10hipError_tT0_T1_T2_jT3_P12ihipStream_tbPNSt15iterator_traitsISE_E10value_typeEPNSK_ISF_E10value_typeEPSG_NS1_7vsmem_tEENKUlT_SE_SF_SG_E_clIS8_S8_S9_S9_EESD_ST_SE_SF_SG_EUlST_E0_NS1_11comp_targetILNS1_3genE10ELNS1_11target_archE1201ELNS1_3gpuE5ELNS1_3repE0EEENS1_38merge_mergepath_config_static_selectorELNS0_4arch9wavefront6targetE0EEEvSF_,"axG",@progbits,_ZN7rocprim17ROCPRIM_400000_NS6detail17trampoline_kernelINS0_14default_configENS1_38merge_sort_block_merge_config_selectorIsNS0_10empty_typeEEEZZNS1_27merge_sort_block_merge_implIS3_PsPS5_jNS1_19radix_merge_compareILb1ELb1EsNS0_19identity_decomposerEEEEE10hipError_tT0_T1_T2_jT3_P12ihipStream_tbPNSt15iterator_traitsISE_E10value_typeEPNSK_ISF_E10value_typeEPSG_NS1_7vsmem_tEENKUlT_SE_SF_SG_E_clIS8_S8_S9_S9_EESD_ST_SE_SF_SG_EUlST_E0_NS1_11comp_targetILNS1_3genE10ELNS1_11target_archE1201ELNS1_3gpuE5ELNS1_3repE0EEENS1_38merge_mergepath_config_static_selectorELNS0_4arch9wavefront6targetE0EEEvSF_,comdat
	.protected	_ZN7rocprim17ROCPRIM_400000_NS6detail17trampoline_kernelINS0_14default_configENS1_38merge_sort_block_merge_config_selectorIsNS0_10empty_typeEEEZZNS1_27merge_sort_block_merge_implIS3_PsPS5_jNS1_19radix_merge_compareILb1ELb1EsNS0_19identity_decomposerEEEEE10hipError_tT0_T1_T2_jT3_P12ihipStream_tbPNSt15iterator_traitsISE_E10value_typeEPNSK_ISF_E10value_typeEPSG_NS1_7vsmem_tEENKUlT_SE_SF_SG_E_clIS8_S8_S9_S9_EESD_ST_SE_SF_SG_EUlST_E0_NS1_11comp_targetILNS1_3genE10ELNS1_11target_archE1201ELNS1_3gpuE5ELNS1_3repE0EEENS1_38merge_mergepath_config_static_selectorELNS0_4arch9wavefront6targetE0EEEvSF_ ; -- Begin function _ZN7rocprim17ROCPRIM_400000_NS6detail17trampoline_kernelINS0_14default_configENS1_38merge_sort_block_merge_config_selectorIsNS0_10empty_typeEEEZZNS1_27merge_sort_block_merge_implIS3_PsPS5_jNS1_19radix_merge_compareILb1ELb1EsNS0_19identity_decomposerEEEEE10hipError_tT0_T1_T2_jT3_P12ihipStream_tbPNSt15iterator_traitsISE_E10value_typeEPNSK_ISF_E10value_typeEPSG_NS1_7vsmem_tEENKUlT_SE_SF_SG_E_clIS8_S8_S9_S9_EESD_ST_SE_SF_SG_EUlST_E0_NS1_11comp_targetILNS1_3genE10ELNS1_11target_archE1201ELNS1_3gpuE5ELNS1_3repE0EEENS1_38merge_mergepath_config_static_selectorELNS0_4arch9wavefront6targetE0EEEvSF_
	.globl	_ZN7rocprim17ROCPRIM_400000_NS6detail17trampoline_kernelINS0_14default_configENS1_38merge_sort_block_merge_config_selectorIsNS0_10empty_typeEEEZZNS1_27merge_sort_block_merge_implIS3_PsPS5_jNS1_19radix_merge_compareILb1ELb1EsNS0_19identity_decomposerEEEEE10hipError_tT0_T1_T2_jT3_P12ihipStream_tbPNSt15iterator_traitsISE_E10value_typeEPNSK_ISF_E10value_typeEPSG_NS1_7vsmem_tEENKUlT_SE_SF_SG_E_clIS8_S8_S9_S9_EESD_ST_SE_SF_SG_EUlST_E0_NS1_11comp_targetILNS1_3genE10ELNS1_11target_archE1201ELNS1_3gpuE5ELNS1_3repE0EEENS1_38merge_mergepath_config_static_selectorELNS0_4arch9wavefront6targetE0EEEvSF_
	.p2align	8
	.type	_ZN7rocprim17ROCPRIM_400000_NS6detail17trampoline_kernelINS0_14default_configENS1_38merge_sort_block_merge_config_selectorIsNS0_10empty_typeEEEZZNS1_27merge_sort_block_merge_implIS3_PsPS5_jNS1_19radix_merge_compareILb1ELb1EsNS0_19identity_decomposerEEEEE10hipError_tT0_T1_T2_jT3_P12ihipStream_tbPNSt15iterator_traitsISE_E10value_typeEPNSK_ISF_E10value_typeEPSG_NS1_7vsmem_tEENKUlT_SE_SF_SG_E_clIS8_S8_S9_S9_EESD_ST_SE_SF_SG_EUlST_E0_NS1_11comp_targetILNS1_3genE10ELNS1_11target_archE1201ELNS1_3gpuE5ELNS1_3repE0EEENS1_38merge_mergepath_config_static_selectorELNS0_4arch9wavefront6targetE0EEEvSF_,@function
_ZN7rocprim17ROCPRIM_400000_NS6detail17trampoline_kernelINS0_14default_configENS1_38merge_sort_block_merge_config_selectorIsNS0_10empty_typeEEEZZNS1_27merge_sort_block_merge_implIS3_PsPS5_jNS1_19radix_merge_compareILb1ELb1EsNS0_19identity_decomposerEEEEE10hipError_tT0_T1_T2_jT3_P12ihipStream_tbPNSt15iterator_traitsISE_E10value_typeEPNSK_ISF_E10value_typeEPSG_NS1_7vsmem_tEENKUlT_SE_SF_SG_E_clIS8_S8_S9_S9_EESD_ST_SE_SF_SG_EUlST_E0_NS1_11comp_targetILNS1_3genE10ELNS1_11target_archE1201ELNS1_3gpuE5ELNS1_3repE0EEENS1_38merge_mergepath_config_static_selectorELNS0_4arch9wavefront6targetE0EEEvSF_: ; @_ZN7rocprim17ROCPRIM_400000_NS6detail17trampoline_kernelINS0_14default_configENS1_38merge_sort_block_merge_config_selectorIsNS0_10empty_typeEEEZZNS1_27merge_sort_block_merge_implIS3_PsPS5_jNS1_19radix_merge_compareILb1ELb1EsNS0_19identity_decomposerEEEEE10hipError_tT0_T1_T2_jT3_P12ihipStream_tbPNSt15iterator_traitsISE_E10value_typeEPNSK_ISF_E10value_typeEPSG_NS1_7vsmem_tEENKUlT_SE_SF_SG_E_clIS8_S8_S9_S9_EESD_ST_SE_SF_SG_EUlST_E0_NS1_11comp_targetILNS1_3genE10ELNS1_11target_archE1201ELNS1_3gpuE5ELNS1_3repE0EEENS1_38merge_mergepath_config_static_selectorELNS0_4arch9wavefront6targetE0EEEvSF_
; %bb.0:
	.section	.rodata,"a",@progbits
	.p2align	6, 0x0
	.amdhsa_kernel _ZN7rocprim17ROCPRIM_400000_NS6detail17trampoline_kernelINS0_14default_configENS1_38merge_sort_block_merge_config_selectorIsNS0_10empty_typeEEEZZNS1_27merge_sort_block_merge_implIS3_PsPS5_jNS1_19radix_merge_compareILb1ELb1EsNS0_19identity_decomposerEEEEE10hipError_tT0_T1_T2_jT3_P12ihipStream_tbPNSt15iterator_traitsISE_E10value_typeEPNSK_ISF_E10value_typeEPSG_NS1_7vsmem_tEENKUlT_SE_SF_SG_E_clIS8_S8_S9_S9_EESD_ST_SE_SF_SG_EUlST_E0_NS1_11comp_targetILNS1_3genE10ELNS1_11target_archE1201ELNS1_3gpuE5ELNS1_3repE0EEENS1_38merge_mergepath_config_static_selectorELNS0_4arch9wavefront6targetE0EEEvSF_
		.amdhsa_group_segment_fixed_size 0
		.amdhsa_private_segment_fixed_size 0
		.amdhsa_kernarg_size 64
		.amdhsa_user_sgpr_count 2
		.amdhsa_user_sgpr_dispatch_ptr 0
		.amdhsa_user_sgpr_queue_ptr 0
		.amdhsa_user_sgpr_kernarg_segment_ptr 1
		.amdhsa_user_sgpr_dispatch_id 0
		.amdhsa_user_sgpr_kernarg_preload_length 0
		.amdhsa_user_sgpr_kernarg_preload_offset 0
		.amdhsa_user_sgpr_private_segment_size 0
		.amdhsa_wavefront_size32 1
		.amdhsa_uses_dynamic_stack 0
		.amdhsa_enable_private_segment 0
		.amdhsa_system_sgpr_workgroup_id_x 1
		.amdhsa_system_sgpr_workgroup_id_y 0
		.amdhsa_system_sgpr_workgroup_id_z 0
		.amdhsa_system_sgpr_workgroup_info 0
		.amdhsa_system_vgpr_workitem_id 0
		.amdhsa_next_free_vgpr 1
		.amdhsa_next_free_sgpr 1
		.amdhsa_named_barrier_count 0
		.amdhsa_reserve_vcc 0
		.amdhsa_float_round_mode_32 0
		.amdhsa_float_round_mode_16_64 0
		.amdhsa_float_denorm_mode_32 3
		.amdhsa_float_denorm_mode_16_64 3
		.amdhsa_fp16_overflow 0
		.amdhsa_memory_ordered 1
		.amdhsa_forward_progress 1
		.amdhsa_inst_pref_size 0
		.amdhsa_round_robin_scheduling 0
		.amdhsa_exception_fp_ieee_invalid_op 0
		.amdhsa_exception_fp_denorm_src 0
		.amdhsa_exception_fp_ieee_div_zero 0
		.amdhsa_exception_fp_ieee_overflow 0
		.amdhsa_exception_fp_ieee_underflow 0
		.amdhsa_exception_fp_ieee_inexact 0
		.amdhsa_exception_int_div_zero 0
	.end_amdhsa_kernel
	.section	.text._ZN7rocprim17ROCPRIM_400000_NS6detail17trampoline_kernelINS0_14default_configENS1_38merge_sort_block_merge_config_selectorIsNS0_10empty_typeEEEZZNS1_27merge_sort_block_merge_implIS3_PsPS5_jNS1_19radix_merge_compareILb1ELb1EsNS0_19identity_decomposerEEEEE10hipError_tT0_T1_T2_jT3_P12ihipStream_tbPNSt15iterator_traitsISE_E10value_typeEPNSK_ISF_E10value_typeEPSG_NS1_7vsmem_tEENKUlT_SE_SF_SG_E_clIS8_S8_S9_S9_EESD_ST_SE_SF_SG_EUlST_E0_NS1_11comp_targetILNS1_3genE10ELNS1_11target_archE1201ELNS1_3gpuE5ELNS1_3repE0EEENS1_38merge_mergepath_config_static_selectorELNS0_4arch9wavefront6targetE0EEEvSF_,"axG",@progbits,_ZN7rocprim17ROCPRIM_400000_NS6detail17trampoline_kernelINS0_14default_configENS1_38merge_sort_block_merge_config_selectorIsNS0_10empty_typeEEEZZNS1_27merge_sort_block_merge_implIS3_PsPS5_jNS1_19radix_merge_compareILb1ELb1EsNS0_19identity_decomposerEEEEE10hipError_tT0_T1_T2_jT3_P12ihipStream_tbPNSt15iterator_traitsISE_E10value_typeEPNSK_ISF_E10value_typeEPSG_NS1_7vsmem_tEENKUlT_SE_SF_SG_E_clIS8_S8_S9_S9_EESD_ST_SE_SF_SG_EUlST_E0_NS1_11comp_targetILNS1_3genE10ELNS1_11target_archE1201ELNS1_3gpuE5ELNS1_3repE0EEENS1_38merge_mergepath_config_static_selectorELNS0_4arch9wavefront6targetE0EEEvSF_,comdat
.Lfunc_end561:
	.size	_ZN7rocprim17ROCPRIM_400000_NS6detail17trampoline_kernelINS0_14default_configENS1_38merge_sort_block_merge_config_selectorIsNS0_10empty_typeEEEZZNS1_27merge_sort_block_merge_implIS3_PsPS5_jNS1_19radix_merge_compareILb1ELb1EsNS0_19identity_decomposerEEEEE10hipError_tT0_T1_T2_jT3_P12ihipStream_tbPNSt15iterator_traitsISE_E10value_typeEPNSK_ISF_E10value_typeEPSG_NS1_7vsmem_tEENKUlT_SE_SF_SG_E_clIS8_S8_S9_S9_EESD_ST_SE_SF_SG_EUlST_E0_NS1_11comp_targetILNS1_3genE10ELNS1_11target_archE1201ELNS1_3gpuE5ELNS1_3repE0EEENS1_38merge_mergepath_config_static_selectorELNS0_4arch9wavefront6targetE0EEEvSF_, .Lfunc_end561-_ZN7rocprim17ROCPRIM_400000_NS6detail17trampoline_kernelINS0_14default_configENS1_38merge_sort_block_merge_config_selectorIsNS0_10empty_typeEEEZZNS1_27merge_sort_block_merge_implIS3_PsPS5_jNS1_19radix_merge_compareILb1ELb1EsNS0_19identity_decomposerEEEEE10hipError_tT0_T1_T2_jT3_P12ihipStream_tbPNSt15iterator_traitsISE_E10value_typeEPNSK_ISF_E10value_typeEPSG_NS1_7vsmem_tEENKUlT_SE_SF_SG_E_clIS8_S8_S9_S9_EESD_ST_SE_SF_SG_EUlST_E0_NS1_11comp_targetILNS1_3genE10ELNS1_11target_archE1201ELNS1_3gpuE5ELNS1_3repE0EEENS1_38merge_mergepath_config_static_selectorELNS0_4arch9wavefront6targetE0EEEvSF_
                                        ; -- End function
	.set _ZN7rocprim17ROCPRIM_400000_NS6detail17trampoline_kernelINS0_14default_configENS1_38merge_sort_block_merge_config_selectorIsNS0_10empty_typeEEEZZNS1_27merge_sort_block_merge_implIS3_PsPS5_jNS1_19radix_merge_compareILb1ELb1EsNS0_19identity_decomposerEEEEE10hipError_tT0_T1_T2_jT3_P12ihipStream_tbPNSt15iterator_traitsISE_E10value_typeEPNSK_ISF_E10value_typeEPSG_NS1_7vsmem_tEENKUlT_SE_SF_SG_E_clIS8_S8_S9_S9_EESD_ST_SE_SF_SG_EUlST_E0_NS1_11comp_targetILNS1_3genE10ELNS1_11target_archE1201ELNS1_3gpuE5ELNS1_3repE0EEENS1_38merge_mergepath_config_static_selectorELNS0_4arch9wavefront6targetE0EEEvSF_.num_vgpr, 0
	.set _ZN7rocprim17ROCPRIM_400000_NS6detail17trampoline_kernelINS0_14default_configENS1_38merge_sort_block_merge_config_selectorIsNS0_10empty_typeEEEZZNS1_27merge_sort_block_merge_implIS3_PsPS5_jNS1_19radix_merge_compareILb1ELb1EsNS0_19identity_decomposerEEEEE10hipError_tT0_T1_T2_jT3_P12ihipStream_tbPNSt15iterator_traitsISE_E10value_typeEPNSK_ISF_E10value_typeEPSG_NS1_7vsmem_tEENKUlT_SE_SF_SG_E_clIS8_S8_S9_S9_EESD_ST_SE_SF_SG_EUlST_E0_NS1_11comp_targetILNS1_3genE10ELNS1_11target_archE1201ELNS1_3gpuE5ELNS1_3repE0EEENS1_38merge_mergepath_config_static_selectorELNS0_4arch9wavefront6targetE0EEEvSF_.num_agpr, 0
	.set _ZN7rocprim17ROCPRIM_400000_NS6detail17trampoline_kernelINS0_14default_configENS1_38merge_sort_block_merge_config_selectorIsNS0_10empty_typeEEEZZNS1_27merge_sort_block_merge_implIS3_PsPS5_jNS1_19radix_merge_compareILb1ELb1EsNS0_19identity_decomposerEEEEE10hipError_tT0_T1_T2_jT3_P12ihipStream_tbPNSt15iterator_traitsISE_E10value_typeEPNSK_ISF_E10value_typeEPSG_NS1_7vsmem_tEENKUlT_SE_SF_SG_E_clIS8_S8_S9_S9_EESD_ST_SE_SF_SG_EUlST_E0_NS1_11comp_targetILNS1_3genE10ELNS1_11target_archE1201ELNS1_3gpuE5ELNS1_3repE0EEENS1_38merge_mergepath_config_static_selectorELNS0_4arch9wavefront6targetE0EEEvSF_.numbered_sgpr, 0
	.set _ZN7rocprim17ROCPRIM_400000_NS6detail17trampoline_kernelINS0_14default_configENS1_38merge_sort_block_merge_config_selectorIsNS0_10empty_typeEEEZZNS1_27merge_sort_block_merge_implIS3_PsPS5_jNS1_19radix_merge_compareILb1ELb1EsNS0_19identity_decomposerEEEEE10hipError_tT0_T1_T2_jT3_P12ihipStream_tbPNSt15iterator_traitsISE_E10value_typeEPNSK_ISF_E10value_typeEPSG_NS1_7vsmem_tEENKUlT_SE_SF_SG_E_clIS8_S8_S9_S9_EESD_ST_SE_SF_SG_EUlST_E0_NS1_11comp_targetILNS1_3genE10ELNS1_11target_archE1201ELNS1_3gpuE5ELNS1_3repE0EEENS1_38merge_mergepath_config_static_selectorELNS0_4arch9wavefront6targetE0EEEvSF_.num_named_barrier, 0
	.set _ZN7rocprim17ROCPRIM_400000_NS6detail17trampoline_kernelINS0_14default_configENS1_38merge_sort_block_merge_config_selectorIsNS0_10empty_typeEEEZZNS1_27merge_sort_block_merge_implIS3_PsPS5_jNS1_19radix_merge_compareILb1ELb1EsNS0_19identity_decomposerEEEEE10hipError_tT0_T1_T2_jT3_P12ihipStream_tbPNSt15iterator_traitsISE_E10value_typeEPNSK_ISF_E10value_typeEPSG_NS1_7vsmem_tEENKUlT_SE_SF_SG_E_clIS8_S8_S9_S9_EESD_ST_SE_SF_SG_EUlST_E0_NS1_11comp_targetILNS1_3genE10ELNS1_11target_archE1201ELNS1_3gpuE5ELNS1_3repE0EEENS1_38merge_mergepath_config_static_selectorELNS0_4arch9wavefront6targetE0EEEvSF_.private_seg_size, 0
	.set _ZN7rocprim17ROCPRIM_400000_NS6detail17trampoline_kernelINS0_14default_configENS1_38merge_sort_block_merge_config_selectorIsNS0_10empty_typeEEEZZNS1_27merge_sort_block_merge_implIS3_PsPS5_jNS1_19radix_merge_compareILb1ELb1EsNS0_19identity_decomposerEEEEE10hipError_tT0_T1_T2_jT3_P12ihipStream_tbPNSt15iterator_traitsISE_E10value_typeEPNSK_ISF_E10value_typeEPSG_NS1_7vsmem_tEENKUlT_SE_SF_SG_E_clIS8_S8_S9_S9_EESD_ST_SE_SF_SG_EUlST_E0_NS1_11comp_targetILNS1_3genE10ELNS1_11target_archE1201ELNS1_3gpuE5ELNS1_3repE0EEENS1_38merge_mergepath_config_static_selectorELNS0_4arch9wavefront6targetE0EEEvSF_.uses_vcc, 0
	.set _ZN7rocprim17ROCPRIM_400000_NS6detail17trampoline_kernelINS0_14default_configENS1_38merge_sort_block_merge_config_selectorIsNS0_10empty_typeEEEZZNS1_27merge_sort_block_merge_implIS3_PsPS5_jNS1_19radix_merge_compareILb1ELb1EsNS0_19identity_decomposerEEEEE10hipError_tT0_T1_T2_jT3_P12ihipStream_tbPNSt15iterator_traitsISE_E10value_typeEPNSK_ISF_E10value_typeEPSG_NS1_7vsmem_tEENKUlT_SE_SF_SG_E_clIS8_S8_S9_S9_EESD_ST_SE_SF_SG_EUlST_E0_NS1_11comp_targetILNS1_3genE10ELNS1_11target_archE1201ELNS1_3gpuE5ELNS1_3repE0EEENS1_38merge_mergepath_config_static_selectorELNS0_4arch9wavefront6targetE0EEEvSF_.uses_flat_scratch, 0
	.set _ZN7rocprim17ROCPRIM_400000_NS6detail17trampoline_kernelINS0_14default_configENS1_38merge_sort_block_merge_config_selectorIsNS0_10empty_typeEEEZZNS1_27merge_sort_block_merge_implIS3_PsPS5_jNS1_19radix_merge_compareILb1ELb1EsNS0_19identity_decomposerEEEEE10hipError_tT0_T1_T2_jT3_P12ihipStream_tbPNSt15iterator_traitsISE_E10value_typeEPNSK_ISF_E10value_typeEPSG_NS1_7vsmem_tEENKUlT_SE_SF_SG_E_clIS8_S8_S9_S9_EESD_ST_SE_SF_SG_EUlST_E0_NS1_11comp_targetILNS1_3genE10ELNS1_11target_archE1201ELNS1_3gpuE5ELNS1_3repE0EEENS1_38merge_mergepath_config_static_selectorELNS0_4arch9wavefront6targetE0EEEvSF_.has_dyn_sized_stack, 0
	.set _ZN7rocprim17ROCPRIM_400000_NS6detail17trampoline_kernelINS0_14default_configENS1_38merge_sort_block_merge_config_selectorIsNS0_10empty_typeEEEZZNS1_27merge_sort_block_merge_implIS3_PsPS5_jNS1_19radix_merge_compareILb1ELb1EsNS0_19identity_decomposerEEEEE10hipError_tT0_T1_T2_jT3_P12ihipStream_tbPNSt15iterator_traitsISE_E10value_typeEPNSK_ISF_E10value_typeEPSG_NS1_7vsmem_tEENKUlT_SE_SF_SG_E_clIS8_S8_S9_S9_EESD_ST_SE_SF_SG_EUlST_E0_NS1_11comp_targetILNS1_3genE10ELNS1_11target_archE1201ELNS1_3gpuE5ELNS1_3repE0EEENS1_38merge_mergepath_config_static_selectorELNS0_4arch9wavefront6targetE0EEEvSF_.has_recursion, 0
	.set _ZN7rocprim17ROCPRIM_400000_NS6detail17trampoline_kernelINS0_14default_configENS1_38merge_sort_block_merge_config_selectorIsNS0_10empty_typeEEEZZNS1_27merge_sort_block_merge_implIS3_PsPS5_jNS1_19radix_merge_compareILb1ELb1EsNS0_19identity_decomposerEEEEE10hipError_tT0_T1_T2_jT3_P12ihipStream_tbPNSt15iterator_traitsISE_E10value_typeEPNSK_ISF_E10value_typeEPSG_NS1_7vsmem_tEENKUlT_SE_SF_SG_E_clIS8_S8_S9_S9_EESD_ST_SE_SF_SG_EUlST_E0_NS1_11comp_targetILNS1_3genE10ELNS1_11target_archE1201ELNS1_3gpuE5ELNS1_3repE0EEENS1_38merge_mergepath_config_static_selectorELNS0_4arch9wavefront6targetE0EEEvSF_.has_indirect_call, 0
	.section	.AMDGPU.csdata,"",@progbits
; Kernel info:
; codeLenInByte = 0
; TotalNumSgprs: 0
; NumVgprs: 0
; ScratchSize: 0
; MemoryBound: 0
; FloatMode: 240
; IeeeMode: 1
; LDSByteSize: 0 bytes/workgroup (compile time only)
; SGPRBlocks: 0
; VGPRBlocks: 0
; NumSGPRsForWavesPerEU: 1
; NumVGPRsForWavesPerEU: 1
; NamedBarCnt: 0
; Occupancy: 16
; WaveLimiterHint : 0
; COMPUTE_PGM_RSRC2:SCRATCH_EN: 0
; COMPUTE_PGM_RSRC2:USER_SGPR: 2
; COMPUTE_PGM_RSRC2:TRAP_HANDLER: 0
; COMPUTE_PGM_RSRC2:TGID_X_EN: 1
; COMPUTE_PGM_RSRC2:TGID_Y_EN: 0
; COMPUTE_PGM_RSRC2:TGID_Z_EN: 0
; COMPUTE_PGM_RSRC2:TIDIG_COMP_CNT: 0
	.section	.text._ZN7rocprim17ROCPRIM_400000_NS6detail17trampoline_kernelINS0_14default_configENS1_38merge_sort_block_merge_config_selectorIsNS0_10empty_typeEEEZZNS1_27merge_sort_block_merge_implIS3_PsPS5_jNS1_19radix_merge_compareILb1ELb1EsNS0_19identity_decomposerEEEEE10hipError_tT0_T1_T2_jT3_P12ihipStream_tbPNSt15iterator_traitsISE_E10value_typeEPNSK_ISF_E10value_typeEPSG_NS1_7vsmem_tEENKUlT_SE_SF_SG_E_clIS8_S8_S9_S9_EESD_ST_SE_SF_SG_EUlST_E0_NS1_11comp_targetILNS1_3genE5ELNS1_11target_archE942ELNS1_3gpuE9ELNS1_3repE0EEENS1_38merge_mergepath_config_static_selectorELNS0_4arch9wavefront6targetE0EEEvSF_,"axG",@progbits,_ZN7rocprim17ROCPRIM_400000_NS6detail17trampoline_kernelINS0_14default_configENS1_38merge_sort_block_merge_config_selectorIsNS0_10empty_typeEEEZZNS1_27merge_sort_block_merge_implIS3_PsPS5_jNS1_19radix_merge_compareILb1ELb1EsNS0_19identity_decomposerEEEEE10hipError_tT0_T1_T2_jT3_P12ihipStream_tbPNSt15iterator_traitsISE_E10value_typeEPNSK_ISF_E10value_typeEPSG_NS1_7vsmem_tEENKUlT_SE_SF_SG_E_clIS8_S8_S9_S9_EESD_ST_SE_SF_SG_EUlST_E0_NS1_11comp_targetILNS1_3genE5ELNS1_11target_archE942ELNS1_3gpuE9ELNS1_3repE0EEENS1_38merge_mergepath_config_static_selectorELNS0_4arch9wavefront6targetE0EEEvSF_,comdat
	.protected	_ZN7rocprim17ROCPRIM_400000_NS6detail17trampoline_kernelINS0_14default_configENS1_38merge_sort_block_merge_config_selectorIsNS0_10empty_typeEEEZZNS1_27merge_sort_block_merge_implIS3_PsPS5_jNS1_19radix_merge_compareILb1ELb1EsNS0_19identity_decomposerEEEEE10hipError_tT0_T1_T2_jT3_P12ihipStream_tbPNSt15iterator_traitsISE_E10value_typeEPNSK_ISF_E10value_typeEPSG_NS1_7vsmem_tEENKUlT_SE_SF_SG_E_clIS8_S8_S9_S9_EESD_ST_SE_SF_SG_EUlST_E0_NS1_11comp_targetILNS1_3genE5ELNS1_11target_archE942ELNS1_3gpuE9ELNS1_3repE0EEENS1_38merge_mergepath_config_static_selectorELNS0_4arch9wavefront6targetE0EEEvSF_ ; -- Begin function _ZN7rocprim17ROCPRIM_400000_NS6detail17trampoline_kernelINS0_14default_configENS1_38merge_sort_block_merge_config_selectorIsNS0_10empty_typeEEEZZNS1_27merge_sort_block_merge_implIS3_PsPS5_jNS1_19radix_merge_compareILb1ELb1EsNS0_19identity_decomposerEEEEE10hipError_tT0_T1_T2_jT3_P12ihipStream_tbPNSt15iterator_traitsISE_E10value_typeEPNSK_ISF_E10value_typeEPSG_NS1_7vsmem_tEENKUlT_SE_SF_SG_E_clIS8_S8_S9_S9_EESD_ST_SE_SF_SG_EUlST_E0_NS1_11comp_targetILNS1_3genE5ELNS1_11target_archE942ELNS1_3gpuE9ELNS1_3repE0EEENS1_38merge_mergepath_config_static_selectorELNS0_4arch9wavefront6targetE0EEEvSF_
	.globl	_ZN7rocprim17ROCPRIM_400000_NS6detail17trampoline_kernelINS0_14default_configENS1_38merge_sort_block_merge_config_selectorIsNS0_10empty_typeEEEZZNS1_27merge_sort_block_merge_implIS3_PsPS5_jNS1_19radix_merge_compareILb1ELb1EsNS0_19identity_decomposerEEEEE10hipError_tT0_T1_T2_jT3_P12ihipStream_tbPNSt15iterator_traitsISE_E10value_typeEPNSK_ISF_E10value_typeEPSG_NS1_7vsmem_tEENKUlT_SE_SF_SG_E_clIS8_S8_S9_S9_EESD_ST_SE_SF_SG_EUlST_E0_NS1_11comp_targetILNS1_3genE5ELNS1_11target_archE942ELNS1_3gpuE9ELNS1_3repE0EEENS1_38merge_mergepath_config_static_selectorELNS0_4arch9wavefront6targetE0EEEvSF_
	.p2align	8
	.type	_ZN7rocprim17ROCPRIM_400000_NS6detail17trampoline_kernelINS0_14default_configENS1_38merge_sort_block_merge_config_selectorIsNS0_10empty_typeEEEZZNS1_27merge_sort_block_merge_implIS3_PsPS5_jNS1_19radix_merge_compareILb1ELb1EsNS0_19identity_decomposerEEEEE10hipError_tT0_T1_T2_jT3_P12ihipStream_tbPNSt15iterator_traitsISE_E10value_typeEPNSK_ISF_E10value_typeEPSG_NS1_7vsmem_tEENKUlT_SE_SF_SG_E_clIS8_S8_S9_S9_EESD_ST_SE_SF_SG_EUlST_E0_NS1_11comp_targetILNS1_3genE5ELNS1_11target_archE942ELNS1_3gpuE9ELNS1_3repE0EEENS1_38merge_mergepath_config_static_selectorELNS0_4arch9wavefront6targetE0EEEvSF_,@function
_ZN7rocprim17ROCPRIM_400000_NS6detail17trampoline_kernelINS0_14default_configENS1_38merge_sort_block_merge_config_selectorIsNS0_10empty_typeEEEZZNS1_27merge_sort_block_merge_implIS3_PsPS5_jNS1_19radix_merge_compareILb1ELb1EsNS0_19identity_decomposerEEEEE10hipError_tT0_T1_T2_jT3_P12ihipStream_tbPNSt15iterator_traitsISE_E10value_typeEPNSK_ISF_E10value_typeEPSG_NS1_7vsmem_tEENKUlT_SE_SF_SG_E_clIS8_S8_S9_S9_EESD_ST_SE_SF_SG_EUlST_E0_NS1_11comp_targetILNS1_3genE5ELNS1_11target_archE942ELNS1_3gpuE9ELNS1_3repE0EEENS1_38merge_mergepath_config_static_selectorELNS0_4arch9wavefront6targetE0EEEvSF_: ; @_ZN7rocprim17ROCPRIM_400000_NS6detail17trampoline_kernelINS0_14default_configENS1_38merge_sort_block_merge_config_selectorIsNS0_10empty_typeEEEZZNS1_27merge_sort_block_merge_implIS3_PsPS5_jNS1_19radix_merge_compareILb1ELb1EsNS0_19identity_decomposerEEEEE10hipError_tT0_T1_T2_jT3_P12ihipStream_tbPNSt15iterator_traitsISE_E10value_typeEPNSK_ISF_E10value_typeEPSG_NS1_7vsmem_tEENKUlT_SE_SF_SG_E_clIS8_S8_S9_S9_EESD_ST_SE_SF_SG_EUlST_E0_NS1_11comp_targetILNS1_3genE5ELNS1_11target_archE942ELNS1_3gpuE9ELNS1_3repE0EEENS1_38merge_mergepath_config_static_selectorELNS0_4arch9wavefront6targetE0EEEvSF_
; %bb.0:
	.section	.rodata,"a",@progbits
	.p2align	6, 0x0
	.amdhsa_kernel _ZN7rocprim17ROCPRIM_400000_NS6detail17trampoline_kernelINS0_14default_configENS1_38merge_sort_block_merge_config_selectorIsNS0_10empty_typeEEEZZNS1_27merge_sort_block_merge_implIS3_PsPS5_jNS1_19radix_merge_compareILb1ELb1EsNS0_19identity_decomposerEEEEE10hipError_tT0_T1_T2_jT3_P12ihipStream_tbPNSt15iterator_traitsISE_E10value_typeEPNSK_ISF_E10value_typeEPSG_NS1_7vsmem_tEENKUlT_SE_SF_SG_E_clIS8_S8_S9_S9_EESD_ST_SE_SF_SG_EUlST_E0_NS1_11comp_targetILNS1_3genE5ELNS1_11target_archE942ELNS1_3gpuE9ELNS1_3repE0EEENS1_38merge_mergepath_config_static_selectorELNS0_4arch9wavefront6targetE0EEEvSF_
		.amdhsa_group_segment_fixed_size 0
		.amdhsa_private_segment_fixed_size 0
		.amdhsa_kernarg_size 64
		.amdhsa_user_sgpr_count 2
		.amdhsa_user_sgpr_dispatch_ptr 0
		.amdhsa_user_sgpr_queue_ptr 0
		.amdhsa_user_sgpr_kernarg_segment_ptr 1
		.amdhsa_user_sgpr_dispatch_id 0
		.amdhsa_user_sgpr_kernarg_preload_length 0
		.amdhsa_user_sgpr_kernarg_preload_offset 0
		.amdhsa_user_sgpr_private_segment_size 0
		.amdhsa_wavefront_size32 1
		.amdhsa_uses_dynamic_stack 0
		.amdhsa_enable_private_segment 0
		.amdhsa_system_sgpr_workgroup_id_x 1
		.amdhsa_system_sgpr_workgroup_id_y 0
		.amdhsa_system_sgpr_workgroup_id_z 0
		.amdhsa_system_sgpr_workgroup_info 0
		.amdhsa_system_vgpr_workitem_id 0
		.amdhsa_next_free_vgpr 1
		.amdhsa_next_free_sgpr 1
		.amdhsa_named_barrier_count 0
		.amdhsa_reserve_vcc 0
		.amdhsa_float_round_mode_32 0
		.amdhsa_float_round_mode_16_64 0
		.amdhsa_float_denorm_mode_32 3
		.amdhsa_float_denorm_mode_16_64 3
		.amdhsa_fp16_overflow 0
		.amdhsa_memory_ordered 1
		.amdhsa_forward_progress 1
		.amdhsa_inst_pref_size 0
		.amdhsa_round_robin_scheduling 0
		.amdhsa_exception_fp_ieee_invalid_op 0
		.amdhsa_exception_fp_denorm_src 0
		.amdhsa_exception_fp_ieee_div_zero 0
		.amdhsa_exception_fp_ieee_overflow 0
		.amdhsa_exception_fp_ieee_underflow 0
		.amdhsa_exception_fp_ieee_inexact 0
		.amdhsa_exception_int_div_zero 0
	.end_amdhsa_kernel
	.section	.text._ZN7rocprim17ROCPRIM_400000_NS6detail17trampoline_kernelINS0_14default_configENS1_38merge_sort_block_merge_config_selectorIsNS0_10empty_typeEEEZZNS1_27merge_sort_block_merge_implIS3_PsPS5_jNS1_19radix_merge_compareILb1ELb1EsNS0_19identity_decomposerEEEEE10hipError_tT0_T1_T2_jT3_P12ihipStream_tbPNSt15iterator_traitsISE_E10value_typeEPNSK_ISF_E10value_typeEPSG_NS1_7vsmem_tEENKUlT_SE_SF_SG_E_clIS8_S8_S9_S9_EESD_ST_SE_SF_SG_EUlST_E0_NS1_11comp_targetILNS1_3genE5ELNS1_11target_archE942ELNS1_3gpuE9ELNS1_3repE0EEENS1_38merge_mergepath_config_static_selectorELNS0_4arch9wavefront6targetE0EEEvSF_,"axG",@progbits,_ZN7rocprim17ROCPRIM_400000_NS6detail17trampoline_kernelINS0_14default_configENS1_38merge_sort_block_merge_config_selectorIsNS0_10empty_typeEEEZZNS1_27merge_sort_block_merge_implIS3_PsPS5_jNS1_19radix_merge_compareILb1ELb1EsNS0_19identity_decomposerEEEEE10hipError_tT0_T1_T2_jT3_P12ihipStream_tbPNSt15iterator_traitsISE_E10value_typeEPNSK_ISF_E10value_typeEPSG_NS1_7vsmem_tEENKUlT_SE_SF_SG_E_clIS8_S8_S9_S9_EESD_ST_SE_SF_SG_EUlST_E0_NS1_11comp_targetILNS1_3genE5ELNS1_11target_archE942ELNS1_3gpuE9ELNS1_3repE0EEENS1_38merge_mergepath_config_static_selectorELNS0_4arch9wavefront6targetE0EEEvSF_,comdat
.Lfunc_end562:
	.size	_ZN7rocprim17ROCPRIM_400000_NS6detail17trampoline_kernelINS0_14default_configENS1_38merge_sort_block_merge_config_selectorIsNS0_10empty_typeEEEZZNS1_27merge_sort_block_merge_implIS3_PsPS5_jNS1_19radix_merge_compareILb1ELb1EsNS0_19identity_decomposerEEEEE10hipError_tT0_T1_T2_jT3_P12ihipStream_tbPNSt15iterator_traitsISE_E10value_typeEPNSK_ISF_E10value_typeEPSG_NS1_7vsmem_tEENKUlT_SE_SF_SG_E_clIS8_S8_S9_S9_EESD_ST_SE_SF_SG_EUlST_E0_NS1_11comp_targetILNS1_3genE5ELNS1_11target_archE942ELNS1_3gpuE9ELNS1_3repE0EEENS1_38merge_mergepath_config_static_selectorELNS0_4arch9wavefront6targetE0EEEvSF_, .Lfunc_end562-_ZN7rocprim17ROCPRIM_400000_NS6detail17trampoline_kernelINS0_14default_configENS1_38merge_sort_block_merge_config_selectorIsNS0_10empty_typeEEEZZNS1_27merge_sort_block_merge_implIS3_PsPS5_jNS1_19radix_merge_compareILb1ELb1EsNS0_19identity_decomposerEEEEE10hipError_tT0_T1_T2_jT3_P12ihipStream_tbPNSt15iterator_traitsISE_E10value_typeEPNSK_ISF_E10value_typeEPSG_NS1_7vsmem_tEENKUlT_SE_SF_SG_E_clIS8_S8_S9_S9_EESD_ST_SE_SF_SG_EUlST_E0_NS1_11comp_targetILNS1_3genE5ELNS1_11target_archE942ELNS1_3gpuE9ELNS1_3repE0EEENS1_38merge_mergepath_config_static_selectorELNS0_4arch9wavefront6targetE0EEEvSF_
                                        ; -- End function
	.set _ZN7rocprim17ROCPRIM_400000_NS6detail17trampoline_kernelINS0_14default_configENS1_38merge_sort_block_merge_config_selectorIsNS0_10empty_typeEEEZZNS1_27merge_sort_block_merge_implIS3_PsPS5_jNS1_19radix_merge_compareILb1ELb1EsNS0_19identity_decomposerEEEEE10hipError_tT0_T1_T2_jT3_P12ihipStream_tbPNSt15iterator_traitsISE_E10value_typeEPNSK_ISF_E10value_typeEPSG_NS1_7vsmem_tEENKUlT_SE_SF_SG_E_clIS8_S8_S9_S9_EESD_ST_SE_SF_SG_EUlST_E0_NS1_11comp_targetILNS1_3genE5ELNS1_11target_archE942ELNS1_3gpuE9ELNS1_3repE0EEENS1_38merge_mergepath_config_static_selectorELNS0_4arch9wavefront6targetE0EEEvSF_.num_vgpr, 0
	.set _ZN7rocprim17ROCPRIM_400000_NS6detail17trampoline_kernelINS0_14default_configENS1_38merge_sort_block_merge_config_selectorIsNS0_10empty_typeEEEZZNS1_27merge_sort_block_merge_implIS3_PsPS5_jNS1_19radix_merge_compareILb1ELb1EsNS0_19identity_decomposerEEEEE10hipError_tT0_T1_T2_jT3_P12ihipStream_tbPNSt15iterator_traitsISE_E10value_typeEPNSK_ISF_E10value_typeEPSG_NS1_7vsmem_tEENKUlT_SE_SF_SG_E_clIS8_S8_S9_S9_EESD_ST_SE_SF_SG_EUlST_E0_NS1_11comp_targetILNS1_3genE5ELNS1_11target_archE942ELNS1_3gpuE9ELNS1_3repE0EEENS1_38merge_mergepath_config_static_selectorELNS0_4arch9wavefront6targetE0EEEvSF_.num_agpr, 0
	.set _ZN7rocprim17ROCPRIM_400000_NS6detail17trampoline_kernelINS0_14default_configENS1_38merge_sort_block_merge_config_selectorIsNS0_10empty_typeEEEZZNS1_27merge_sort_block_merge_implIS3_PsPS5_jNS1_19radix_merge_compareILb1ELb1EsNS0_19identity_decomposerEEEEE10hipError_tT0_T1_T2_jT3_P12ihipStream_tbPNSt15iterator_traitsISE_E10value_typeEPNSK_ISF_E10value_typeEPSG_NS1_7vsmem_tEENKUlT_SE_SF_SG_E_clIS8_S8_S9_S9_EESD_ST_SE_SF_SG_EUlST_E0_NS1_11comp_targetILNS1_3genE5ELNS1_11target_archE942ELNS1_3gpuE9ELNS1_3repE0EEENS1_38merge_mergepath_config_static_selectorELNS0_4arch9wavefront6targetE0EEEvSF_.numbered_sgpr, 0
	.set _ZN7rocprim17ROCPRIM_400000_NS6detail17trampoline_kernelINS0_14default_configENS1_38merge_sort_block_merge_config_selectorIsNS0_10empty_typeEEEZZNS1_27merge_sort_block_merge_implIS3_PsPS5_jNS1_19radix_merge_compareILb1ELb1EsNS0_19identity_decomposerEEEEE10hipError_tT0_T1_T2_jT3_P12ihipStream_tbPNSt15iterator_traitsISE_E10value_typeEPNSK_ISF_E10value_typeEPSG_NS1_7vsmem_tEENKUlT_SE_SF_SG_E_clIS8_S8_S9_S9_EESD_ST_SE_SF_SG_EUlST_E0_NS1_11comp_targetILNS1_3genE5ELNS1_11target_archE942ELNS1_3gpuE9ELNS1_3repE0EEENS1_38merge_mergepath_config_static_selectorELNS0_4arch9wavefront6targetE0EEEvSF_.num_named_barrier, 0
	.set _ZN7rocprim17ROCPRIM_400000_NS6detail17trampoline_kernelINS0_14default_configENS1_38merge_sort_block_merge_config_selectorIsNS0_10empty_typeEEEZZNS1_27merge_sort_block_merge_implIS3_PsPS5_jNS1_19radix_merge_compareILb1ELb1EsNS0_19identity_decomposerEEEEE10hipError_tT0_T1_T2_jT3_P12ihipStream_tbPNSt15iterator_traitsISE_E10value_typeEPNSK_ISF_E10value_typeEPSG_NS1_7vsmem_tEENKUlT_SE_SF_SG_E_clIS8_S8_S9_S9_EESD_ST_SE_SF_SG_EUlST_E0_NS1_11comp_targetILNS1_3genE5ELNS1_11target_archE942ELNS1_3gpuE9ELNS1_3repE0EEENS1_38merge_mergepath_config_static_selectorELNS0_4arch9wavefront6targetE0EEEvSF_.private_seg_size, 0
	.set _ZN7rocprim17ROCPRIM_400000_NS6detail17trampoline_kernelINS0_14default_configENS1_38merge_sort_block_merge_config_selectorIsNS0_10empty_typeEEEZZNS1_27merge_sort_block_merge_implIS3_PsPS5_jNS1_19radix_merge_compareILb1ELb1EsNS0_19identity_decomposerEEEEE10hipError_tT0_T1_T2_jT3_P12ihipStream_tbPNSt15iterator_traitsISE_E10value_typeEPNSK_ISF_E10value_typeEPSG_NS1_7vsmem_tEENKUlT_SE_SF_SG_E_clIS8_S8_S9_S9_EESD_ST_SE_SF_SG_EUlST_E0_NS1_11comp_targetILNS1_3genE5ELNS1_11target_archE942ELNS1_3gpuE9ELNS1_3repE0EEENS1_38merge_mergepath_config_static_selectorELNS0_4arch9wavefront6targetE0EEEvSF_.uses_vcc, 0
	.set _ZN7rocprim17ROCPRIM_400000_NS6detail17trampoline_kernelINS0_14default_configENS1_38merge_sort_block_merge_config_selectorIsNS0_10empty_typeEEEZZNS1_27merge_sort_block_merge_implIS3_PsPS5_jNS1_19radix_merge_compareILb1ELb1EsNS0_19identity_decomposerEEEEE10hipError_tT0_T1_T2_jT3_P12ihipStream_tbPNSt15iterator_traitsISE_E10value_typeEPNSK_ISF_E10value_typeEPSG_NS1_7vsmem_tEENKUlT_SE_SF_SG_E_clIS8_S8_S9_S9_EESD_ST_SE_SF_SG_EUlST_E0_NS1_11comp_targetILNS1_3genE5ELNS1_11target_archE942ELNS1_3gpuE9ELNS1_3repE0EEENS1_38merge_mergepath_config_static_selectorELNS0_4arch9wavefront6targetE0EEEvSF_.uses_flat_scratch, 0
	.set _ZN7rocprim17ROCPRIM_400000_NS6detail17trampoline_kernelINS0_14default_configENS1_38merge_sort_block_merge_config_selectorIsNS0_10empty_typeEEEZZNS1_27merge_sort_block_merge_implIS3_PsPS5_jNS1_19radix_merge_compareILb1ELb1EsNS0_19identity_decomposerEEEEE10hipError_tT0_T1_T2_jT3_P12ihipStream_tbPNSt15iterator_traitsISE_E10value_typeEPNSK_ISF_E10value_typeEPSG_NS1_7vsmem_tEENKUlT_SE_SF_SG_E_clIS8_S8_S9_S9_EESD_ST_SE_SF_SG_EUlST_E0_NS1_11comp_targetILNS1_3genE5ELNS1_11target_archE942ELNS1_3gpuE9ELNS1_3repE0EEENS1_38merge_mergepath_config_static_selectorELNS0_4arch9wavefront6targetE0EEEvSF_.has_dyn_sized_stack, 0
	.set _ZN7rocprim17ROCPRIM_400000_NS6detail17trampoline_kernelINS0_14default_configENS1_38merge_sort_block_merge_config_selectorIsNS0_10empty_typeEEEZZNS1_27merge_sort_block_merge_implIS3_PsPS5_jNS1_19radix_merge_compareILb1ELb1EsNS0_19identity_decomposerEEEEE10hipError_tT0_T1_T2_jT3_P12ihipStream_tbPNSt15iterator_traitsISE_E10value_typeEPNSK_ISF_E10value_typeEPSG_NS1_7vsmem_tEENKUlT_SE_SF_SG_E_clIS8_S8_S9_S9_EESD_ST_SE_SF_SG_EUlST_E0_NS1_11comp_targetILNS1_3genE5ELNS1_11target_archE942ELNS1_3gpuE9ELNS1_3repE0EEENS1_38merge_mergepath_config_static_selectorELNS0_4arch9wavefront6targetE0EEEvSF_.has_recursion, 0
	.set _ZN7rocprim17ROCPRIM_400000_NS6detail17trampoline_kernelINS0_14default_configENS1_38merge_sort_block_merge_config_selectorIsNS0_10empty_typeEEEZZNS1_27merge_sort_block_merge_implIS3_PsPS5_jNS1_19radix_merge_compareILb1ELb1EsNS0_19identity_decomposerEEEEE10hipError_tT0_T1_T2_jT3_P12ihipStream_tbPNSt15iterator_traitsISE_E10value_typeEPNSK_ISF_E10value_typeEPSG_NS1_7vsmem_tEENKUlT_SE_SF_SG_E_clIS8_S8_S9_S9_EESD_ST_SE_SF_SG_EUlST_E0_NS1_11comp_targetILNS1_3genE5ELNS1_11target_archE942ELNS1_3gpuE9ELNS1_3repE0EEENS1_38merge_mergepath_config_static_selectorELNS0_4arch9wavefront6targetE0EEEvSF_.has_indirect_call, 0
	.section	.AMDGPU.csdata,"",@progbits
; Kernel info:
; codeLenInByte = 0
; TotalNumSgprs: 0
; NumVgprs: 0
; ScratchSize: 0
; MemoryBound: 0
; FloatMode: 240
; IeeeMode: 1
; LDSByteSize: 0 bytes/workgroup (compile time only)
; SGPRBlocks: 0
; VGPRBlocks: 0
; NumSGPRsForWavesPerEU: 1
; NumVGPRsForWavesPerEU: 1
; NamedBarCnt: 0
; Occupancy: 16
; WaveLimiterHint : 0
; COMPUTE_PGM_RSRC2:SCRATCH_EN: 0
; COMPUTE_PGM_RSRC2:USER_SGPR: 2
; COMPUTE_PGM_RSRC2:TRAP_HANDLER: 0
; COMPUTE_PGM_RSRC2:TGID_X_EN: 1
; COMPUTE_PGM_RSRC2:TGID_Y_EN: 0
; COMPUTE_PGM_RSRC2:TGID_Z_EN: 0
; COMPUTE_PGM_RSRC2:TIDIG_COMP_CNT: 0
	.section	.text._ZN7rocprim17ROCPRIM_400000_NS6detail17trampoline_kernelINS0_14default_configENS1_38merge_sort_block_merge_config_selectorIsNS0_10empty_typeEEEZZNS1_27merge_sort_block_merge_implIS3_PsPS5_jNS1_19radix_merge_compareILb1ELb1EsNS0_19identity_decomposerEEEEE10hipError_tT0_T1_T2_jT3_P12ihipStream_tbPNSt15iterator_traitsISE_E10value_typeEPNSK_ISF_E10value_typeEPSG_NS1_7vsmem_tEENKUlT_SE_SF_SG_E_clIS8_S8_S9_S9_EESD_ST_SE_SF_SG_EUlST_E0_NS1_11comp_targetILNS1_3genE4ELNS1_11target_archE910ELNS1_3gpuE8ELNS1_3repE0EEENS1_38merge_mergepath_config_static_selectorELNS0_4arch9wavefront6targetE0EEEvSF_,"axG",@progbits,_ZN7rocprim17ROCPRIM_400000_NS6detail17trampoline_kernelINS0_14default_configENS1_38merge_sort_block_merge_config_selectorIsNS0_10empty_typeEEEZZNS1_27merge_sort_block_merge_implIS3_PsPS5_jNS1_19radix_merge_compareILb1ELb1EsNS0_19identity_decomposerEEEEE10hipError_tT0_T1_T2_jT3_P12ihipStream_tbPNSt15iterator_traitsISE_E10value_typeEPNSK_ISF_E10value_typeEPSG_NS1_7vsmem_tEENKUlT_SE_SF_SG_E_clIS8_S8_S9_S9_EESD_ST_SE_SF_SG_EUlST_E0_NS1_11comp_targetILNS1_3genE4ELNS1_11target_archE910ELNS1_3gpuE8ELNS1_3repE0EEENS1_38merge_mergepath_config_static_selectorELNS0_4arch9wavefront6targetE0EEEvSF_,comdat
	.protected	_ZN7rocprim17ROCPRIM_400000_NS6detail17trampoline_kernelINS0_14default_configENS1_38merge_sort_block_merge_config_selectorIsNS0_10empty_typeEEEZZNS1_27merge_sort_block_merge_implIS3_PsPS5_jNS1_19radix_merge_compareILb1ELb1EsNS0_19identity_decomposerEEEEE10hipError_tT0_T1_T2_jT3_P12ihipStream_tbPNSt15iterator_traitsISE_E10value_typeEPNSK_ISF_E10value_typeEPSG_NS1_7vsmem_tEENKUlT_SE_SF_SG_E_clIS8_S8_S9_S9_EESD_ST_SE_SF_SG_EUlST_E0_NS1_11comp_targetILNS1_3genE4ELNS1_11target_archE910ELNS1_3gpuE8ELNS1_3repE0EEENS1_38merge_mergepath_config_static_selectorELNS0_4arch9wavefront6targetE0EEEvSF_ ; -- Begin function _ZN7rocprim17ROCPRIM_400000_NS6detail17trampoline_kernelINS0_14default_configENS1_38merge_sort_block_merge_config_selectorIsNS0_10empty_typeEEEZZNS1_27merge_sort_block_merge_implIS3_PsPS5_jNS1_19radix_merge_compareILb1ELb1EsNS0_19identity_decomposerEEEEE10hipError_tT0_T1_T2_jT3_P12ihipStream_tbPNSt15iterator_traitsISE_E10value_typeEPNSK_ISF_E10value_typeEPSG_NS1_7vsmem_tEENKUlT_SE_SF_SG_E_clIS8_S8_S9_S9_EESD_ST_SE_SF_SG_EUlST_E0_NS1_11comp_targetILNS1_3genE4ELNS1_11target_archE910ELNS1_3gpuE8ELNS1_3repE0EEENS1_38merge_mergepath_config_static_selectorELNS0_4arch9wavefront6targetE0EEEvSF_
	.globl	_ZN7rocprim17ROCPRIM_400000_NS6detail17trampoline_kernelINS0_14default_configENS1_38merge_sort_block_merge_config_selectorIsNS0_10empty_typeEEEZZNS1_27merge_sort_block_merge_implIS3_PsPS5_jNS1_19radix_merge_compareILb1ELb1EsNS0_19identity_decomposerEEEEE10hipError_tT0_T1_T2_jT3_P12ihipStream_tbPNSt15iterator_traitsISE_E10value_typeEPNSK_ISF_E10value_typeEPSG_NS1_7vsmem_tEENKUlT_SE_SF_SG_E_clIS8_S8_S9_S9_EESD_ST_SE_SF_SG_EUlST_E0_NS1_11comp_targetILNS1_3genE4ELNS1_11target_archE910ELNS1_3gpuE8ELNS1_3repE0EEENS1_38merge_mergepath_config_static_selectorELNS0_4arch9wavefront6targetE0EEEvSF_
	.p2align	8
	.type	_ZN7rocprim17ROCPRIM_400000_NS6detail17trampoline_kernelINS0_14default_configENS1_38merge_sort_block_merge_config_selectorIsNS0_10empty_typeEEEZZNS1_27merge_sort_block_merge_implIS3_PsPS5_jNS1_19radix_merge_compareILb1ELb1EsNS0_19identity_decomposerEEEEE10hipError_tT0_T1_T2_jT3_P12ihipStream_tbPNSt15iterator_traitsISE_E10value_typeEPNSK_ISF_E10value_typeEPSG_NS1_7vsmem_tEENKUlT_SE_SF_SG_E_clIS8_S8_S9_S9_EESD_ST_SE_SF_SG_EUlST_E0_NS1_11comp_targetILNS1_3genE4ELNS1_11target_archE910ELNS1_3gpuE8ELNS1_3repE0EEENS1_38merge_mergepath_config_static_selectorELNS0_4arch9wavefront6targetE0EEEvSF_,@function
_ZN7rocprim17ROCPRIM_400000_NS6detail17trampoline_kernelINS0_14default_configENS1_38merge_sort_block_merge_config_selectorIsNS0_10empty_typeEEEZZNS1_27merge_sort_block_merge_implIS3_PsPS5_jNS1_19radix_merge_compareILb1ELb1EsNS0_19identity_decomposerEEEEE10hipError_tT0_T1_T2_jT3_P12ihipStream_tbPNSt15iterator_traitsISE_E10value_typeEPNSK_ISF_E10value_typeEPSG_NS1_7vsmem_tEENKUlT_SE_SF_SG_E_clIS8_S8_S9_S9_EESD_ST_SE_SF_SG_EUlST_E0_NS1_11comp_targetILNS1_3genE4ELNS1_11target_archE910ELNS1_3gpuE8ELNS1_3repE0EEENS1_38merge_mergepath_config_static_selectorELNS0_4arch9wavefront6targetE0EEEvSF_: ; @_ZN7rocprim17ROCPRIM_400000_NS6detail17trampoline_kernelINS0_14default_configENS1_38merge_sort_block_merge_config_selectorIsNS0_10empty_typeEEEZZNS1_27merge_sort_block_merge_implIS3_PsPS5_jNS1_19radix_merge_compareILb1ELb1EsNS0_19identity_decomposerEEEEE10hipError_tT0_T1_T2_jT3_P12ihipStream_tbPNSt15iterator_traitsISE_E10value_typeEPNSK_ISF_E10value_typeEPSG_NS1_7vsmem_tEENKUlT_SE_SF_SG_E_clIS8_S8_S9_S9_EESD_ST_SE_SF_SG_EUlST_E0_NS1_11comp_targetILNS1_3genE4ELNS1_11target_archE910ELNS1_3gpuE8ELNS1_3repE0EEENS1_38merge_mergepath_config_static_selectorELNS0_4arch9wavefront6targetE0EEEvSF_
; %bb.0:
	.section	.rodata,"a",@progbits
	.p2align	6, 0x0
	.amdhsa_kernel _ZN7rocprim17ROCPRIM_400000_NS6detail17trampoline_kernelINS0_14default_configENS1_38merge_sort_block_merge_config_selectorIsNS0_10empty_typeEEEZZNS1_27merge_sort_block_merge_implIS3_PsPS5_jNS1_19radix_merge_compareILb1ELb1EsNS0_19identity_decomposerEEEEE10hipError_tT0_T1_T2_jT3_P12ihipStream_tbPNSt15iterator_traitsISE_E10value_typeEPNSK_ISF_E10value_typeEPSG_NS1_7vsmem_tEENKUlT_SE_SF_SG_E_clIS8_S8_S9_S9_EESD_ST_SE_SF_SG_EUlST_E0_NS1_11comp_targetILNS1_3genE4ELNS1_11target_archE910ELNS1_3gpuE8ELNS1_3repE0EEENS1_38merge_mergepath_config_static_selectorELNS0_4arch9wavefront6targetE0EEEvSF_
		.amdhsa_group_segment_fixed_size 0
		.amdhsa_private_segment_fixed_size 0
		.amdhsa_kernarg_size 64
		.amdhsa_user_sgpr_count 2
		.amdhsa_user_sgpr_dispatch_ptr 0
		.amdhsa_user_sgpr_queue_ptr 0
		.amdhsa_user_sgpr_kernarg_segment_ptr 1
		.amdhsa_user_sgpr_dispatch_id 0
		.amdhsa_user_sgpr_kernarg_preload_length 0
		.amdhsa_user_sgpr_kernarg_preload_offset 0
		.amdhsa_user_sgpr_private_segment_size 0
		.amdhsa_wavefront_size32 1
		.amdhsa_uses_dynamic_stack 0
		.amdhsa_enable_private_segment 0
		.amdhsa_system_sgpr_workgroup_id_x 1
		.amdhsa_system_sgpr_workgroup_id_y 0
		.amdhsa_system_sgpr_workgroup_id_z 0
		.amdhsa_system_sgpr_workgroup_info 0
		.amdhsa_system_vgpr_workitem_id 0
		.amdhsa_next_free_vgpr 1
		.amdhsa_next_free_sgpr 1
		.amdhsa_named_barrier_count 0
		.amdhsa_reserve_vcc 0
		.amdhsa_float_round_mode_32 0
		.amdhsa_float_round_mode_16_64 0
		.amdhsa_float_denorm_mode_32 3
		.amdhsa_float_denorm_mode_16_64 3
		.amdhsa_fp16_overflow 0
		.amdhsa_memory_ordered 1
		.amdhsa_forward_progress 1
		.amdhsa_inst_pref_size 0
		.amdhsa_round_robin_scheduling 0
		.amdhsa_exception_fp_ieee_invalid_op 0
		.amdhsa_exception_fp_denorm_src 0
		.amdhsa_exception_fp_ieee_div_zero 0
		.amdhsa_exception_fp_ieee_overflow 0
		.amdhsa_exception_fp_ieee_underflow 0
		.amdhsa_exception_fp_ieee_inexact 0
		.amdhsa_exception_int_div_zero 0
	.end_amdhsa_kernel
	.section	.text._ZN7rocprim17ROCPRIM_400000_NS6detail17trampoline_kernelINS0_14default_configENS1_38merge_sort_block_merge_config_selectorIsNS0_10empty_typeEEEZZNS1_27merge_sort_block_merge_implIS3_PsPS5_jNS1_19radix_merge_compareILb1ELb1EsNS0_19identity_decomposerEEEEE10hipError_tT0_T1_T2_jT3_P12ihipStream_tbPNSt15iterator_traitsISE_E10value_typeEPNSK_ISF_E10value_typeEPSG_NS1_7vsmem_tEENKUlT_SE_SF_SG_E_clIS8_S8_S9_S9_EESD_ST_SE_SF_SG_EUlST_E0_NS1_11comp_targetILNS1_3genE4ELNS1_11target_archE910ELNS1_3gpuE8ELNS1_3repE0EEENS1_38merge_mergepath_config_static_selectorELNS0_4arch9wavefront6targetE0EEEvSF_,"axG",@progbits,_ZN7rocprim17ROCPRIM_400000_NS6detail17trampoline_kernelINS0_14default_configENS1_38merge_sort_block_merge_config_selectorIsNS0_10empty_typeEEEZZNS1_27merge_sort_block_merge_implIS3_PsPS5_jNS1_19radix_merge_compareILb1ELb1EsNS0_19identity_decomposerEEEEE10hipError_tT0_T1_T2_jT3_P12ihipStream_tbPNSt15iterator_traitsISE_E10value_typeEPNSK_ISF_E10value_typeEPSG_NS1_7vsmem_tEENKUlT_SE_SF_SG_E_clIS8_S8_S9_S9_EESD_ST_SE_SF_SG_EUlST_E0_NS1_11comp_targetILNS1_3genE4ELNS1_11target_archE910ELNS1_3gpuE8ELNS1_3repE0EEENS1_38merge_mergepath_config_static_selectorELNS0_4arch9wavefront6targetE0EEEvSF_,comdat
.Lfunc_end563:
	.size	_ZN7rocprim17ROCPRIM_400000_NS6detail17trampoline_kernelINS0_14default_configENS1_38merge_sort_block_merge_config_selectorIsNS0_10empty_typeEEEZZNS1_27merge_sort_block_merge_implIS3_PsPS5_jNS1_19radix_merge_compareILb1ELb1EsNS0_19identity_decomposerEEEEE10hipError_tT0_T1_T2_jT3_P12ihipStream_tbPNSt15iterator_traitsISE_E10value_typeEPNSK_ISF_E10value_typeEPSG_NS1_7vsmem_tEENKUlT_SE_SF_SG_E_clIS8_S8_S9_S9_EESD_ST_SE_SF_SG_EUlST_E0_NS1_11comp_targetILNS1_3genE4ELNS1_11target_archE910ELNS1_3gpuE8ELNS1_3repE0EEENS1_38merge_mergepath_config_static_selectorELNS0_4arch9wavefront6targetE0EEEvSF_, .Lfunc_end563-_ZN7rocprim17ROCPRIM_400000_NS6detail17trampoline_kernelINS0_14default_configENS1_38merge_sort_block_merge_config_selectorIsNS0_10empty_typeEEEZZNS1_27merge_sort_block_merge_implIS3_PsPS5_jNS1_19radix_merge_compareILb1ELb1EsNS0_19identity_decomposerEEEEE10hipError_tT0_T1_T2_jT3_P12ihipStream_tbPNSt15iterator_traitsISE_E10value_typeEPNSK_ISF_E10value_typeEPSG_NS1_7vsmem_tEENKUlT_SE_SF_SG_E_clIS8_S8_S9_S9_EESD_ST_SE_SF_SG_EUlST_E0_NS1_11comp_targetILNS1_3genE4ELNS1_11target_archE910ELNS1_3gpuE8ELNS1_3repE0EEENS1_38merge_mergepath_config_static_selectorELNS0_4arch9wavefront6targetE0EEEvSF_
                                        ; -- End function
	.set _ZN7rocprim17ROCPRIM_400000_NS6detail17trampoline_kernelINS0_14default_configENS1_38merge_sort_block_merge_config_selectorIsNS0_10empty_typeEEEZZNS1_27merge_sort_block_merge_implIS3_PsPS5_jNS1_19radix_merge_compareILb1ELb1EsNS0_19identity_decomposerEEEEE10hipError_tT0_T1_T2_jT3_P12ihipStream_tbPNSt15iterator_traitsISE_E10value_typeEPNSK_ISF_E10value_typeEPSG_NS1_7vsmem_tEENKUlT_SE_SF_SG_E_clIS8_S8_S9_S9_EESD_ST_SE_SF_SG_EUlST_E0_NS1_11comp_targetILNS1_3genE4ELNS1_11target_archE910ELNS1_3gpuE8ELNS1_3repE0EEENS1_38merge_mergepath_config_static_selectorELNS0_4arch9wavefront6targetE0EEEvSF_.num_vgpr, 0
	.set _ZN7rocprim17ROCPRIM_400000_NS6detail17trampoline_kernelINS0_14default_configENS1_38merge_sort_block_merge_config_selectorIsNS0_10empty_typeEEEZZNS1_27merge_sort_block_merge_implIS3_PsPS5_jNS1_19radix_merge_compareILb1ELb1EsNS0_19identity_decomposerEEEEE10hipError_tT0_T1_T2_jT3_P12ihipStream_tbPNSt15iterator_traitsISE_E10value_typeEPNSK_ISF_E10value_typeEPSG_NS1_7vsmem_tEENKUlT_SE_SF_SG_E_clIS8_S8_S9_S9_EESD_ST_SE_SF_SG_EUlST_E0_NS1_11comp_targetILNS1_3genE4ELNS1_11target_archE910ELNS1_3gpuE8ELNS1_3repE0EEENS1_38merge_mergepath_config_static_selectorELNS0_4arch9wavefront6targetE0EEEvSF_.num_agpr, 0
	.set _ZN7rocprim17ROCPRIM_400000_NS6detail17trampoline_kernelINS0_14default_configENS1_38merge_sort_block_merge_config_selectorIsNS0_10empty_typeEEEZZNS1_27merge_sort_block_merge_implIS3_PsPS5_jNS1_19radix_merge_compareILb1ELb1EsNS0_19identity_decomposerEEEEE10hipError_tT0_T1_T2_jT3_P12ihipStream_tbPNSt15iterator_traitsISE_E10value_typeEPNSK_ISF_E10value_typeEPSG_NS1_7vsmem_tEENKUlT_SE_SF_SG_E_clIS8_S8_S9_S9_EESD_ST_SE_SF_SG_EUlST_E0_NS1_11comp_targetILNS1_3genE4ELNS1_11target_archE910ELNS1_3gpuE8ELNS1_3repE0EEENS1_38merge_mergepath_config_static_selectorELNS0_4arch9wavefront6targetE0EEEvSF_.numbered_sgpr, 0
	.set _ZN7rocprim17ROCPRIM_400000_NS6detail17trampoline_kernelINS0_14default_configENS1_38merge_sort_block_merge_config_selectorIsNS0_10empty_typeEEEZZNS1_27merge_sort_block_merge_implIS3_PsPS5_jNS1_19radix_merge_compareILb1ELb1EsNS0_19identity_decomposerEEEEE10hipError_tT0_T1_T2_jT3_P12ihipStream_tbPNSt15iterator_traitsISE_E10value_typeEPNSK_ISF_E10value_typeEPSG_NS1_7vsmem_tEENKUlT_SE_SF_SG_E_clIS8_S8_S9_S9_EESD_ST_SE_SF_SG_EUlST_E0_NS1_11comp_targetILNS1_3genE4ELNS1_11target_archE910ELNS1_3gpuE8ELNS1_3repE0EEENS1_38merge_mergepath_config_static_selectorELNS0_4arch9wavefront6targetE0EEEvSF_.num_named_barrier, 0
	.set _ZN7rocprim17ROCPRIM_400000_NS6detail17trampoline_kernelINS0_14default_configENS1_38merge_sort_block_merge_config_selectorIsNS0_10empty_typeEEEZZNS1_27merge_sort_block_merge_implIS3_PsPS5_jNS1_19radix_merge_compareILb1ELb1EsNS0_19identity_decomposerEEEEE10hipError_tT0_T1_T2_jT3_P12ihipStream_tbPNSt15iterator_traitsISE_E10value_typeEPNSK_ISF_E10value_typeEPSG_NS1_7vsmem_tEENKUlT_SE_SF_SG_E_clIS8_S8_S9_S9_EESD_ST_SE_SF_SG_EUlST_E0_NS1_11comp_targetILNS1_3genE4ELNS1_11target_archE910ELNS1_3gpuE8ELNS1_3repE0EEENS1_38merge_mergepath_config_static_selectorELNS0_4arch9wavefront6targetE0EEEvSF_.private_seg_size, 0
	.set _ZN7rocprim17ROCPRIM_400000_NS6detail17trampoline_kernelINS0_14default_configENS1_38merge_sort_block_merge_config_selectorIsNS0_10empty_typeEEEZZNS1_27merge_sort_block_merge_implIS3_PsPS5_jNS1_19radix_merge_compareILb1ELb1EsNS0_19identity_decomposerEEEEE10hipError_tT0_T1_T2_jT3_P12ihipStream_tbPNSt15iterator_traitsISE_E10value_typeEPNSK_ISF_E10value_typeEPSG_NS1_7vsmem_tEENKUlT_SE_SF_SG_E_clIS8_S8_S9_S9_EESD_ST_SE_SF_SG_EUlST_E0_NS1_11comp_targetILNS1_3genE4ELNS1_11target_archE910ELNS1_3gpuE8ELNS1_3repE0EEENS1_38merge_mergepath_config_static_selectorELNS0_4arch9wavefront6targetE0EEEvSF_.uses_vcc, 0
	.set _ZN7rocprim17ROCPRIM_400000_NS6detail17trampoline_kernelINS0_14default_configENS1_38merge_sort_block_merge_config_selectorIsNS0_10empty_typeEEEZZNS1_27merge_sort_block_merge_implIS3_PsPS5_jNS1_19radix_merge_compareILb1ELb1EsNS0_19identity_decomposerEEEEE10hipError_tT0_T1_T2_jT3_P12ihipStream_tbPNSt15iterator_traitsISE_E10value_typeEPNSK_ISF_E10value_typeEPSG_NS1_7vsmem_tEENKUlT_SE_SF_SG_E_clIS8_S8_S9_S9_EESD_ST_SE_SF_SG_EUlST_E0_NS1_11comp_targetILNS1_3genE4ELNS1_11target_archE910ELNS1_3gpuE8ELNS1_3repE0EEENS1_38merge_mergepath_config_static_selectorELNS0_4arch9wavefront6targetE0EEEvSF_.uses_flat_scratch, 0
	.set _ZN7rocprim17ROCPRIM_400000_NS6detail17trampoline_kernelINS0_14default_configENS1_38merge_sort_block_merge_config_selectorIsNS0_10empty_typeEEEZZNS1_27merge_sort_block_merge_implIS3_PsPS5_jNS1_19radix_merge_compareILb1ELb1EsNS0_19identity_decomposerEEEEE10hipError_tT0_T1_T2_jT3_P12ihipStream_tbPNSt15iterator_traitsISE_E10value_typeEPNSK_ISF_E10value_typeEPSG_NS1_7vsmem_tEENKUlT_SE_SF_SG_E_clIS8_S8_S9_S9_EESD_ST_SE_SF_SG_EUlST_E0_NS1_11comp_targetILNS1_3genE4ELNS1_11target_archE910ELNS1_3gpuE8ELNS1_3repE0EEENS1_38merge_mergepath_config_static_selectorELNS0_4arch9wavefront6targetE0EEEvSF_.has_dyn_sized_stack, 0
	.set _ZN7rocprim17ROCPRIM_400000_NS6detail17trampoline_kernelINS0_14default_configENS1_38merge_sort_block_merge_config_selectorIsNS0_10empty_typeEEEZZNS1_27merge_sort_block_merge_implIS3_PsPS5_jNS1_19radix_merge_compareILb1ELb1EsNS0_19identity_decomposerEEEEE10hipError_tT0_T1_T2_jT3_P12ihipStream_tbPNSt15iterator_traitsISE_E10value_typeEPNSK_ISF_E10value_typeEPSG_NS1_7vsmem_tEENKUlT_SE_SF_SG_E_clIS8_S8_S9_S9_EESD_ST_SE_SF_SG_EUlST_E0_NS1_11comp_targetILNS1_3genE4ELNS1_11target_archE910ELNS1_3gpuE8ELNS1_3repE0EEENS1_38merge_mergepath_config_static_selectorELNS0_4arch9wavefront6targetE0EEEvSF_.has_recursion, 0
	.set _ZN7rocprim17ROCPRIM_400000_NS6detail17trampoline_kernelINS0_14default_configENS1_38merge_sort_block_merge_config_selectorIsNS0_10empty_typeEEEZZNS1_27merge_sort_block_merge_implIS3_PsPS5_jNS1_19radix_merge_compareILb1ELb1EsNS0_19identity_decomposerEEEEE10hipError_tT0_T1_T2_jT3_P12ihipStream_tbPNSt15iterator_traitsISE_E10value_typeEPNSK_ISF_E10value_typeEPSG_NS1_7vsmem_tEENKUlT_SE_SF_SG_E_clIS8_S8_S9_S9_EESD_ST_SE_SF_SG_EUlST_E0_NS1_11comp_targetILNS1_3genE4ELNS1_11target_archE910ELNS1_3gpuE8ELNS1_3repE0EEENS1_38merge_mergepath_config_static_selectorELNS0_4arch9wavefront6targetE0EEEvSF_.has_indirect_call, 0
	.section	.AMDGPU.csdata,"",@progbits
; Kernel info:
; codeLenInByte = 0
; TotalNumSgprs: 0
; NumVgprs: 0
; ScratchSize: 0
; MemoryBound: 0
; FloatMode: 240
; IeeeMode: 1
; LDSByteSize: 0 bytes/workgroup (compile time only)
; SGPRBlocks: 0
; VGPRBlocks: 0
; NumSGPRsForWavesPerEU: 1
; NumVGPRsForWavesPerEU: 1
; NamedBarCnt: 0
; Occupancy: 16
; WaveLimiterHint : 0
; COMPUTE_PGM_RSRC2:SCRATCH_EN: 0
; COMPUTE_PGM_RSRC2:USER_SGPR: 2
; COMPUTE_PGM_RSRC2:TRAP_HANDLER: 0
; COMPUTE_PGM_RSRC2:TGID_X_EN: 1
; COMPUTE_PGM_RSRC2:TGID_Y_EN: 0
; COMPUTE_PGM_RSRC2:TGID_Z_EN: 0
; COMPUTE_PGM_RSRC2:TIDIG_COMP_CNT: 0
	.section	.text._ZN7rocprim17ROCPRIM_400000_NS6detail17trampoline_kernelINS0_14default_configENS1_38merge_sort_block_merge_config_selectorIsNS0_10empty_typeEEEZZNS1_27merge_sort_block_merge_implIS3_PsPS5_jNS1_19radix_merge_compareILb1ELb1EsNS0_19identity_decomposerEEEEE10hipError_tT0_T1_T2_jT3_P12ihipStream_tbPNSt15iterator_traitsISE_E10value_typeEPNSK_ISF_E10value_typeEPSG_NS1_7vsmem_tEENKUlT_SE_SF_SG_E_clIS8_S8_S9_S9_EESD_ST_SE_SF_SG_EUlST_E0_NS1_11comp_targetILNS1_3genE3ELNS1_11target_archE908ELNS1_3gpuE7ELNS1_3repE0EEENS1_38merge_mergepath_config_static_selectorELNS0_4arch9wavefront6targetE0EEEvSF_,"axG",@progbits,_ZN7rocprim17ROCPRIM_400000_NS6detail17trampoline_kernelINS0_14default_configENS1_38merge_sort_block_merge_config_selectorIsNS0_10empty_typeEEEZZNS1_27merge_sort_block_merge_implIS3_PsPS5_jNS1_19radix_merge_compareILb1ELb1EsNS0_19identity_decomposerEEEEE10hipError_tT0_T1_T2_jT3_P12ihipStream_tbPNSt15iterator_traitsISE_E10value_typeEPNSK_ISF_E10value_typeEPSG_NS1_7vsmem_tEENKUlT_SE_SF_SG_E_clIS8_S8_S9_S9_EESD_ST_SE_SF_SG_EUlST_E0_NS1_11comp_targetILNS1_3genE3ELNS1_11target_archE908ELNS1_3gpuE7ELNS1_3repE0EEENS1_38merge_mergepath_config_static_selectorELNS0_4arch9wavefront6targetE0EEEvSF_,comdat
	.protected	_ZN7rocprim17ROCPRIM_400000_NS6detail17trampoline_kernelINS0_14default_configENS1_38merge_sort_block_merge_config_selectorIsNS0_10empty_typeEEEZZNS1_27merge_sort_block_merge_implIS3_PsPS5_jNS1_19radix_merge_compareILb1ELb1EsNS0_19identity_decomposerEEEEE10hipError_tT0_T1_T2_jT3_P12ihipStream_tbPNSt15iterator_traitsISE_E10value_typeEPNSK_ISF_E10value_typeEPSG_NS1_7vsmem_tEENKUlT_SE_SF_SG_E_clIS8_S8_S9_S9_EESD_ST_SE_SF_SG_EUlST_E0_NS1_11comp_targetILNS1_3genE3ELNS1_11target_archE908ELNS1_3gpuE7ELNS1_3repE0EEENS1_38merge_mergepath_config_static_selectorELNS0_4arch9wavefront6targetE0EEEvSF_ ; -- Begin function _ZN7rocprim17ROCPRIM_400000_NS6detail17trampoline_kernelINS0_14default_configENS1_38merge_sort_block_merge_config_selectorIsNS0_10empty_typeEEEZZNS1_27merge_sort_block_merge_implIS3_PsPS5_jNS1_19radix_merge_compareILb1ELb1EsNS0_19identity_decomposerEEEEE10hipError_tT0_T1_T2_jT3_P12ihipStream_tbPNSt15iterator_traitsISE_E10value_typeEPNSK_ISF_E10value_typeEPSG_NS1_7vsmem_tEENKUlT_SE_SF_SG_E_clIS8_S8_S9_S9_EESD_ST_SE_SF_SG_EUlST_E0_NS1_11comp_targetILNS1_3genE3ELNS1_11target_archE908ELNS1_3gpuE7ELNS1_3repE0EEENS1_38merge_mergepath_config_static_selectorELNS0_4arch9wavefront6targetE0EEEvSF_
	.globl	_ZN7rocprim17ROCPRIM_400000_NS6detail17trampoline_kernelINS0_14default_configENS1_38merge_sort_block_merge_config_selectorIsNS0_10empty_typeEEEZZNS1_27merge_sort_block_merge_implIS3_PsPS5_jNS1_19radix_merge_compareILb1ELb1EsNS0_19identity_decomposerEEEEE10hipError_tT0_T1_T2_jT3_P12ihipStream_tbPNSt15iterator_traitsISE_E10value_typeEPNSK_ISF_E10value_typeEPSG_NS1_7vsmem_tEENKUlT_SE_SF_SG_E_clIS8_S8_S9_S9_EESD_ST_SE_SF_SG_EUlST_E0_NS1_11comp_targetILNS1_3genE3ELNS1_11target_archE908ELNS1_3gpuE7ELNS1_3repE0EEENS1_38merge_mergepath_config_static_selectorELNS0_4arch9wavefront6targetE0EEEvSF_
	.p2align	8
	.type	_ZN7rocprim17ROCPRIM_400000_NS6detail17trampoline_kernelINS0_14default_configENS1_38merge_sort_block_merge_config_selectorIsNS0_10empty_typeEEEZZNS1_27merge_sort_block_merge_implIS3_PsPS5_jNS1_19radix_merge_compareILb1ELb1EsNS0_19identity_decomposerEEEEE10hipError_tT0_T1_T2_jT3_P12ihipStream_tbPNSt15iterator_traitsISE_E10value_typeEPNSK_ISF_E10value_typeEPSG_NS1_7vsmem_tEENKUlT_SE_SF_SG_E_clIS8_S8_S9_S9_EESD_ST_SE_SF_SG_EUlST_E0_NS1_11comp_targetILNS1_3genE3ELNS1_11target_archE908ELNS1_3gpuE7ELNS1_3repE0EEENS1_38merge_mergepath_config_static_selectorELNS0_4arch9wavefront6targetE0EEEvSF_,@function
_ZN7rocprim17ROCPRIM_400000_NS6detail17trampoline_kernelINS0_14default_configENS1_38merge_sort_block_merge_config_selectorIsNS0_10empty_typeEEEZZNS1_27merge_sort_block_merge_implIS3_PsPS5_jNS1_19radix_merge_compareILb1ELb1EsNS0_19identity_decomposerEEEEE10hipError_tT0_T1_T2_jT3_P12ihipStream_tbPNSt15iterator_traitsISE_E10value_typeEPNSK_ISF_E10value_typeEPSG_NS1_7vsmem_tEENKUlT_SE_SF_SG_E_clIS8_S8_S9_S9_EESD_ST_SE_SF_SG_EUlST_E0_NS1_11comp_targetILNS1_3genE3ELNS1_11target_archE908ELNS1_3gpuE7ELNS1_3repE0EEENS1_38merge_mergepath_config_static_selectorELNS0_4arch9wavefront6targetE0EEEvSF_: ; @_ZN7rocprim17ROCPRIM_400000_NS6detail17trampoline_kernelINS0_14default_configENS1_38merge_sort_block_merge_config_selectorIsNS0_10empty_typeEEEZZNS1_27merge_sort_block_merge_implIS3_PsPS5_jNS1_19radix_merge_compareILb1ELb1EsNS0_19identity_decomposerEEEEE10hipError_tT0_T1_T2_jT3_P12ihipStream_tbPNSt15iterator_traitsISE_E10value_typeEPNSK_ISF_E10value_typeEPSG_NS1_7vsmem_tEENKUlT_SE_SF_SG_E_clIS8_S8_S9_S9_EESD_ST_SE_SF_SG_EUlST_E0_NS1_11comp_targetILNS1_3genE3ELNS1_11target_archE908ELNS1_3gpuE7ELNS1_3repE0EEENS1_38merge_mergepath_config_static_selectorELNS0_4arch9wavefront6targetE0EEEvSF_
; %bb.0:
	.section	.rodata,"a",@progbits
	.p2align	6, 0x0
	.amdhsa_kernel _ZN7rocprim17ROCPRIM_400000_NS6detail17trampoline_kernelINS0_14default_configENS1_38merge_sort_block_merge_config_selectorIsNS0_10empty_typeEEEZZNS1_27merge_sort_block_merge_implIS3_PsPS5_jNS1_19radix_merge_compareILb1ELb1EsNS0_19identity_decomposerEEEEE10hipError_tT0_T1_T2_jT3_P12ihipStream_tbPNSt15iterator_traitsISE_E10value_typeEPNSK_ISF_E10value_typeEPSG_NS1_7vsmem_tEENKUlT_SE_SF_SG_E_clIS8_S8_S9_S9_EESD_ST_SE_SF_SG_EUlST_E0_NS1_11comp_targetILNS1_3genE3ELNS1_11target_archE908ELNS1_3gpuE7ELNS1_3repE0EEENS1_38merge_mergepath_config_static_selectorELNS0_4arch9wavefront6targetE0EEEvSF_
		.amdhsa_group_segment_fixed_size 0
		.amdhsa_private_segment_fixed_size 0
		.amdhsa_kernarg_size 64
		.amdhsa_user_sgpr_count 2
		.amdhsa_user_sgpr_dispatch_ptr 0
		.amdhsa_user_sgpr_queue_ptr 0
		.amdhsa_user_sgpr_kernarg_segment_ptr 1
		.amdhsa_user_sgpr_dispatch_id 0
		.amdhsa_user_sgpr_kernarg_preload_length 0
		.amdhsa_user_sgpr_kernarg_preload_offset 0
		.amdhsa_user_sgpr_private_segment_size 0
		.amdhsa_wavefront_size32 1
		.amdhsa_uses_dynamic_stack 0
		.amdhsa_enable_private_segment 0
		.amdhsa_system_sgpr_workgroup_id_x 1
		.amdhsa_system_sgpr_workgroup_id_y 0
		.amdhsa_system_sgpr_workgroup_id_z 0
		.amdhsa_system_sgpr_workgroup_info 0
		.amdhsa_system_vgpr_workitem_id 0
		.amdhsa_next_free_vgpr 1
		.amdhsa_next_free_sgpr 1
		.amdhsa_named_barrier_count 0
		.amdhsa_reserve_vcc 0
		.amdhsa_float_round_mode_32 0
		.amdhsa_float_round_mode_16_64 0
		.amdhsa_float_denorm_mode_32 3
		.amdhsa_float_denorm_mode_16_64 3
		.amdhsa_fp16_overflow 0
		.amdhsa_memory_ordered 1
		.amdhsa_forward_progress 1
		.amdhsa_inst_pref_size 0
		.amdhsa_round_robin_scheduling 0
		.amdhsa_exception_fp_ieee_invalid_op 0
		.amdhsa_exception_fp_denorm_src 0
		.amdhsa_exception_fp_ieee_div_zero 0
		.amdhsa_exception_fp_ieee_overflow 0
		.amdhsa_exception_fp_ieee_underflow 0
		.amdhsa_exception_fp_ieee_inexact 0
		.amdhsa_exception_int_div_zero 0
	.end_amdhsa_kernel
	.section	.text._ZN7rocprim17ROCPRIM_400000_NS6detail17trampoline_kernelINS0_14default_configENS1_38merge_sort_block_merge_config_selectorIsNS0_10empty_typeEEEZZNS1_27merge_sort_block_merge_implIS3_PsPS5_jNS1_19radix_merge_compareILb1ELb1EsNS0_19identity_decomposerEEEEE10hipError_tT0_T1_T2_jT3_P12ihipStream_tbPNSt15iterator_traitsISE_E10value_typeEPNSK_ISF_E10value_typeEPSG_NS1_7vsmem_tEENKUlT_SE_SF_SG_E_clIS8_S8_S9_S9_EESD_ST_SE_SF_SG_EUlST_E0_NS1_11comp_targetILNS1_3genE3ELNS1_11target_archE908ELNS1_3gpuE7ELNS1_3repE0EEENS1_38merge_mergepath_config_static_selectorELNS0_4arch9wavefront6targetE0EEEvSF_,"axG",@progbits,_ZN7rocprim17ROCPRIM_400000_NS6detail17trampoline_kernelINS0_14default_configENS1_38merge_sort_block_merge_config_selectorIsNS0_10empty_typeEEEZZNS1_27merge_sort_block_merge_implIS3_PsPS5_jNS1_19radix_merge_compareILb1ELb1EsNS0_19identity_decomposerEEEEE10hipError_tT0_T1_T2_jT3_P12ihipStream_tbPNSt15iterator_traitsISE_E10value_typeEPNSK_ISF_E10value_typeEPSG_NS1_7vsmem_tEENKUlT_SE_SF_SG_E_clIS8_S8_S9_S9_EESD_ST_SE_SF_SG_EUlST_E0_NS1_11comp_targetILNS1_3genE3ELNS1_11target_archE908ELNS1_3gpuE7ELNS1_3repE0EEENS1_38merge_mergepath_config_static_selectorELNS0_4arch9wavefront6targetE0EEEvSF_,comdat
.Lfunc_end564:
	.size	_ZN7rocprim17ROCPRIM_400000_NS6detail17trampoline_kernelINS0_14default_configENS1_38merge_sort_block_merge_config_selectorIsNS0_10empty_typeEEEZZNS1_27merge_sort_block_merge_implIS3_PsPS5_jNS1_19radix_merge_compareILb1ELb1EsNS0_19identity_decomposerEEEEE10hipError_tT0_T1_T2_jT3_P12ihipStream_tbPNSt15iterator_traitsISE_E10value_typeEPNSK_ISF_E10value_typeEPSG_NS1_7vsmem_tEENKUlT_SE_SF_SG_E_clIS8_S8_S9_S9_EESD_ST_SE_SF_SG_EUlST_E0_NS1_11comp_targetILNS1_3genE3ELNS1_11target_archE908ELNS1_3gpuE7ELNS1_3repE0EEENS1_38merge_mergepath_config_static_selectorELNS0_4arch9wavefront6targetE0EEEvSF_, .Lfunc_end564-_ZN7rocprim17ROCPRIM_400000_NS6detail17trampoline_kernelINS0_14default_configENS1_38merge_sort_block_merge_config_selectorIsNS0_10empty_typeEEEZZNS1_27merge_sort_block_merge_implIS3_PsPS5_jNS1_19radix_merge_compareILb1ELb1EsNS0_19identity_decomposerEEEEE10hipError_tT0_T1_T2_jT3_P12ihipStream_tbPNSt15iterator_traitsISE_E10value_typeEPNSK_ISF_E10value_typeEPSG_NS1_7vsmem_tEENKUlT_SE_SF_SG_E_clIS8_S8_S9_S9_EESD_ST_SE_SF_SG_EUlST_E0_NS1_11comp_targetILNS1_3genE3ELNS1_11target_archE908ELNS1_3gpuE7ELNS1_3repE0EEENS1_38merge_mergepath_config_static_selectorELNS0_4arch9wavefront6targetE0EEEvSF_
                                        ; -- End function
	.set _ZN7rocprim17ROCPRIM_400000_NS6detail17trampoline_kernelINS0_14default_configENS1_38merge_sort_block_merge_config_selectorIsNS0_10empty_typeEEEZZNS1_27merge_sort_block_merge_implIS3_PsPS5_jNS1_19radix_merge_compareILb1ELb1EsNS0_19identity_decomposerEEEEE10hipError_tT0_T1_T2_jT3_P12ihipStream_tbPNSt15iterator_traitsISE_E10value_typeEPNSK_ISF_E10value_typeEPSG_NS1_7vsmem_tEENKUlT_SE_SF_SG_E_clIS8_S8_S9_S9_EESD_ST_SE_SF_SG_EUlST_E0_NS1_11comp_targetILNS1_3genE3ELNS1_11target_archE908ELNS1_3gpuE7ELNS1_3repE0EEENS1_38merge_mergepath_config_static_selectorELNS0_4arch9wavefront6targetE0EEEvSF_.num_vgpr, 0
	.set _ZN7rocprim17ROCPRIM_400000_NS6detail17trampoline_kernelINS0_14default_configENS1_38merge_sort_block_merge_config_selectorIsNS0_10empty_typeEEEZZNS1_27merge_sort_block_merge_implIS3_PsPS5_jNS1_19radix_merge_compareILb1ELb1EsNS0_19identity_decomposerEEEEE10hipError_tT0_T1_T2_jT3_P12ihipStream_tbPNSt15iterator_traitsISE_E10value_typeEPNSK_ISF_E10value_typeEPSG_NS1_7vsmem_tEENKUlT_SE_SF_SG_E_clIS8_S8_S9_S9_EESD_ST_SE_SF_SG_EUlST_E0_NS1_11comp_targetILNS1_3genE3ELNS1_11target_archE908ELNS1_3gpuE7ELNS1_3repE0EEENS1_38merge_mergepath_config_static_selectorELNS0_4arch9wavefront6targetE0EEEvSF_.num_agpr, 0
	.set _ZN7rocprim17ROCPRIM_400000_NS6detail17trampoline_kernelINS0_14default_configENS1_38merge_sort_block_merge_config_selectorIsNS0_10empty_typeEEEZZNS1_27merge_sort_block_merge_implIS3_PsPS5_jNS1_19radix_merge_compareILb1ELb1EsNS0_19identity_decomposerEEEEE10hipError_tT0_T1_T2_jT3_P12ihipStream_tbPNSt15iterator_traitsISE_E10value_typeEPNSK_ISF_E10value_typeEPSG_NS1_7vsmem_tEENKUlT_SE_SF_SG_E_clIS8_S8_S9_S9_EESD_ST_SE_SF_SG_EUlST_E0_NS1_11comp_targetILNS1_3genE3ELNS1_11target_archE908ELNS1_3gpuE7ELNS1_3repE0EEENS1_38merge_mergepath_config_static_selectorELNS0_4arch9wavefront6targetE0EEEvSF_.numbered_sgpr, 0
	.set _ZN7rocprim17ROCPRIM_400000_NS6detail17trampoline_kernelINS0_14default_configENS1_38merge_sort_block_merge_config_selectorIsNS0_10empty_typeEEEZZNS1_27merge_sort_block_merge_implIS3_PsPS5_jNS1_19radix_merge_compareILb1ELb1EsNS0_19identity_decomposerEEEEE10hipError_tT0_T1_T2_jT3_P12ihipStream_tbPNSt15iterator_traitsISE_E10value_typeEPNSK_ISF_E10value_typeEPSG_NS1_7vsmem_tEENKUlT_SE_SF_SG_E_clIS8_S8_S9_S9_EESD_ST_SE_SF_SG_EUlST_E0_NS1_11comp_targetILNS1_3genE3ELNS1_11target_archE908ELNS1_3gpuE7ELNS1_3repE0EEENS1_38merge_mergepath_config_static_selectorELNS0_4arch9wavefront6targetE0EEEvSF_.num_named_barrier, 0
	.set _ZN7rocprim17ROCPRIM_400000_NS6detail17trampoline_kernelINS0_14default_configENS1_38merge_sort_block_merge_config_selectorIsNS0_10empty_typeEEEZZNS1_27merge_sort_block_merge_implIS3_PsPS5_jNS1_19radix_merge_compareILb1ELb1EsNS0_19identity_decomposerEEEEE10hipError_tT0_T1_T2_jT3_P12ihipStream_tbPNSt15iterator_traitsISE_E10value_typeEPNSK_ISF_E10value_typeEPSG_NS1_7vsmem_tEENKUlT_SE_SF_SG_E_clIS8_S8_S9_S9_EESD_ST_SE_SF_SG_EUlST_E0_NS1_11comp_targetILNS1_3genE3ELNS1_11target_archE908ELNS1_3gpuE7ELNS1_3repE0EEENS1_38merge_mergepath_config_static_selectorELNS0_4arch9wavefront6targetE0EEEvSF_.private_seg_size, 0
	.set _ZN7rocprim17ROCPRIM_400000_NS6detail17trampoline_kernelINS0_14default_configENS1_38merge_sort_block_merge_config_selectorIsNS0_10empty_typeEEEZZNS1_27merge_sort_block_merge_implIS3_PsPS5_jNS1_19radix_merge_compareILb1ELb1EsNS0_19identity_decomposerEEEEE10hipError_tT0_T1_T2_jT3_P12ihipStream_tbPNSt15iterator_traitsISE_E10value_typeEPNSK_ISF_E10value_typeEPSG_NS1_7vsmem_tEENKUlT_SE_SF_SG_E_clIS8_S8_S9_S9_EESD_ST_SE_SF_SG_EUlST_E0_NS1_11comp_targetILNS1_3genE3ELNS1_11target_archE908ELNS1_3gpuE7ELNS1_3repE0EEENS1_38merge_mergepath_config_static_selectorELNS0_4arch9wavefront6targetE0EEEvSF_.uses_vcc, 0
	.set _ZN7rocprim17ROCPRIM_400000_NS6detail17trampoline_kernelINS0_14default_configENS1_38merge_sort_block_merge_config_selectorIsNS0_10empty_typeEEEZZNS1_27merge_sort_block_merge_implIS3_PsPS5_jNS1_19radix_merge_compareILb1ELb1EsNS0_19identity_decomposerEEEEE10hipError_tT0_T1_T2_jT3_P12ihipStream_tbPNSt15iterator_traitsISE_E10value_typeEPNSK_ISF_E10value_typeEPSG_NS1_7vsmem_tEENKUlT_SE_SF_SG_E_clIS8_S8_S9_S9_EESD_ST_SE_SF_SG_EUlST_E0_NS1_11comp_targetILNS1_3genE3ELNS1_11target_archE908ELNS1_3gpuE7ELNS1_3repE0EEENS1_38merge_mergepath_config_static_selectorELNS0_4arch9wavefront6targetE0EEEvSF_.uses_flat_scratch, 0
	.set _ZN7rocprim17ROCPRIM_400000_NS6detail17trampoline_kernelINS0_14default_configENS1_38merge_sort_block_merge_config_selectorIsNS0_10empty_typeEEEZZNS1_27merge_sort_block_merge_implIS3_PsPS5_jNS1_19radix_merge_compareILb1ELb1EsNS0_19identity_decomposerEEEEE10hipError_tT0_T1_T2_jT3_P12ihipStream_tbPNSt15iterator_traitsISE_E10value_typeEPNSK_ISF_E10value_typeEPSG_NS1_7vsmem_tEENKUlT_SE_SF_SG_E_clIS8_S8_S9_S9_EESD_ST_SE_SF_SG_EUlST_E0_NS1_11comp_targetILNS1_3genE3ELNS1_11target_archE908ELNS1_3gpuE7ELNS1_3repE0EEENS1_38merge_mergepath_config_static_selectorELNS0_4arch9wavefront6targetE0EEEvSF_.has_dyn_sized_stack, 0
	.set _ZN7rocprim17ROCPRIM_400000_NS6detail17trampoline_kernelINS0_14default_configENS1_38merge_sort_block_merge_config_selectorIsNS0_10empty_typeEEEZZNS1_27merge_sort_block_merge_implIS3_PsPS5_jNS1_19radix_merge_compareILb1ELb1EsNS0_19identity_decomposerEEEEE10hipError_tT0_T1_T2_jT3_P12ihipStream_tbPNSt15iterator_traitsISE_E10value_typeEPNSK_ISF_E10value_typeEPSG_NS1_7vsmem_tEENKUlT_SE_SF_SG_E_clIS8_S8_S9_S9_EESD_ST_SE_SF_SG_EUlST_E0_NS1_11comp_targetILNS1_3genE3ELNS1_11target_archE908ELNS1_3gpuE7ELNS1_3repE0EEENS1_38merge_mergepath_config_static_selectorELNS0_4arch9wavefront6targetE0EEEvSF_.has_recursion, 0
	.set _ZN7rocprim17ROCPRIM_400000_NS6detail17trampoline_kernelINS0_14default_configENS1_38merge_sort_block_merge_config_selectorIsNS0_10empty_typeEEEZZNS1_27merge_sort_block_merge_implIS3_PsPS5_jNS1_19radix_merge_compareILb1ELb1EsNS0_19identity_decomposerEEEEE10hipError_tT0_T1_T2_jT3_P12ihipStream_tbPNSt15iterator_traitsISE_E10value_typeEPNSK_ISF_E10value_typeEPSG_NS1_7vsmem_tEENKUlT_SE_SF_SG_E_clIS8_S8_S9_S9_EESD_ST_SE_SF_SG_EUlST_E0_NS1_11comp_targetILNS1_3genE3ELNS1_11target_archE908ELNS1_3gpuE7ELNS1_3repE0EEENS1_38merge_mergepath_config_static_selectorELNS0_4arch9wavefront6targetE0EEEvSF_.has_indirect_call, 0
	.section	.AMDGPU.csdata,"",@progbits
; Kernel info:
; codeLenInByte = 0
; TotalNumSgprs: 0
; NumVgprs: 0
; ScratchSize: 0
; MemoryBound: 0
; FloatMode: 240
; IeeeMode: 1
; LDSByteSize: 0 bytes/workgroup (compile time only)
; SGPRBlocks: 0
; VGPRBlocks: 0
; NumSGPRsForWavesPerEU: 1
; NumVGPRsForWavesPerEU: 1
; NamedBarCnt: 0
; Occupancy: 16
; WaveLimiterHint : 0
; COMPUTE_PGM_RSRC2:SCRATCH_EN: 0
; COMPUTE_PGM_RSRC2:USER_SGPR: 2
; COMPUTE_PGM_RSRC2:TRAP_HANDLER: 0
; COMPUTE_PGM_RSRC2:TGID_X_EN: 1
; COMPUTE_PGM_RSRC2:TGID_Y_EN: 0
; COMPUTE_PGM_RSRC2:TGID_Z_EN: 0
; COMPUTE_PGM_RSRC2:TIDIG_COMP_CNT: 0
	.section	.text._ZN7rocprim17ROCPRIM_400000_NS6detail17trampoline_kernelINS0_14default_configENS1_38merge_sort_block_merge_config_selectorIsNS0_10empty_typeEEEZZNS1_27merge_sort_block_merge_implIS3_PsPS5_jNS1_19radix_merge_compareILb1ELb1EsNS0_19identity_decomposerEEEEE10hipError_tT0_T1_T2_jT3_P12ihipStream_tbPNSt15iterator_traitsISE_E10value_typeEPNSK_ISF_E10value_typeEPSG_NS1_7vsmem_tEENKUlT_SE_SF_SG_E_clIS8_S8_S9_S9_EESD_ST_SE_SF_SG_EUlST_E0_NS1_11comp_targetILNS1_3genE2ELNS1_11target_archE906ELNS1_3gpuE6ELNS1_3repE0EEENS1_38merge_mergepath_config_static_selectorELNS0_4arch9wavefront6targetE0EEEvSF_,"axG",@progbits,_ZN7rocprim17ROCPRIM_400000_NS6detail17trampoline_kernelINS0_14default_configENS1_38merge_sort_block_merge_config_selectorIsNS0_10empty_typeEEEZZNS1_27merge_sort_block_merge_implIS3_PsPS5_jNS1_19radix_merge_compareILb1ELb1EsNS0_19identity_decomposerEEEEE10hipError_tT0_T1_T2_jT3_P12ihipStream_tbPNSt15iterator_traitsISE_E10value_typeEPNSK_ISF_E10value_typeEPSG_NS1_7vsmem_tEENKUlT_SE_SF_SG_E_clIS8_S8_S9_S9_EESD_ST_SE_SF_SG_EUlST_E0_NS1_11comp_targetILNS1_3genE2ELNS1_11target_archE906ELNS1_3gpuE6ELNS1_3repE0EEENS1_38merge_mergepath_config_static_selectorELNS0_4arch9wavefront6targetE0EEEvSF_,comdat
	.protected	_ZN7rocprim17ROCPRIM_400000_NS6detail17trampoline_kernelINS0_14default_configENS1_38merge_sort_block_merge_config_selectorIsNS0_10empty_typeEEEZZNS1_27merge_sort_block_merge_implIS3_PsPS5_jNS1_19radix_merge_compareILb1ELb1EsNS0_19identity_decomposerEEEEE10hipError_tT0_T1_T2_jT3_P12ihipStream_tbPNSt15iterator_traitsISE_E10value_typeEPNSK_ISF_E10value_typeEPSG_NS1_7vsmem_tEENKUlT_SE_SF_SG_E_clIS8_S8_S9_S9_EESD_ST_SE_SF_SG_EUlST_E0_NS1_11comp_targetILNS1_3genE2ELNS1_11target_archE906ELNS1_3gpuE6ELNS1_3repE0EEENS1_38merge_mergepath_config_static_selectorELNS0_4arch9wavefront6targetE0EEEvSF_ ; -- Begin function _ZN7rocprim17ROCPRIM_400000_NS6detail17trampoline_kernelINS0_14default_configENS1_38merge_sort_block_merge_config_selectorIsNS0_10empty_typeEEEZZNS1_27merge_sort_block_merge_implIS3_PsPS5_jNS1_19radix_merge_compareILb1ELb1EsNS0_19identity_decomposerEEEEE10hipError_tT0_T1_T2_jT3_P12ihipStream_tbPNSt15iterator_traitsISE_E10value_typeEPNSK_ISF_E10value_typeEPSG_NS1_7vsmem_tEENKUlT_SE_SF_SG_E_clIS8_S8_S9_S9_EESD_ST_SE_SF_SG_EUlST_E0_NS1_11comp_targetILNS1_3genE2ELNS1_11target_archE906ELNS1_3gpuE6ELNS1_3repE0EEENS1_38merge_mergepath_config_static_selectorELNS0_4arch9wavefront6targetE0EEEvSF_
	.globl	_ZN7rocprim17ROCPRIM_400000_NS6detail17trampoline_kernelINS0_14default_configENS1_38merge_sort_block_merge_config_selectorIsNS0_10empty_typeEEEZZNS1_27merge_sort_block_merge_implIS3_PsPS5_jNS1_19radix_merge_compareILb1ELb1EsNS0_19identity_decomposerEEEEE10hipError_tT0_T1_T2_jT3_P12ihipStream_tbPNSt15iterator_traitsISE_E10value_typeEPNSK_ISF_E10value_typeEPSG_NS1_7vsmem_tEENKUlT_SE_SF_SG_E_clIS8_S8_S9_S9_EESD_ST_SE_SF_SG_EUlST_E0_NS1_11comp_targetILNS1_3genE2ELNS1_11target_archE906ELNS1_3gpuE6ELNS1_3repE0EEENS1_38merge_mergepath_config_static_selectorELNS0_4arch9wavefront6targetE0EEEvSF_
	.p2align	8
	.type	_ZN7rocprim17ROCPRIM_400000_NS6detail17trampoline_kernelINS0_14default_configENS1_38merge_sort_block_merge_config_selectorIsNS0_10empty_typeEEEZZNS1_27merge_sort_block_merge_implIS3_PsPS5_jNS1_19radix_merge_compareILb1ELb1EsNS0_19identity_decomposerEEEEE10hipError_tT0_T1_T2_jT3_P12ihipStream_tbPNSt15iterator_traitsISE_E10value_typeEPNSK_ISF_E10value_typeEPSG_NS1_7vsmem_tEENKUlT_SE_SF_SG_E_clIS8_S8_S9_S9_EESD_ST_SE_SF_SG_EUlST_E0_NS1_11comp_targetILNS1_3genE2ELNS1_11target_archE906ELNS1_3gpuE6ELNS1_3repE0EEENS1_38merge_mergepath_config_static_selectorELNS0_4arch9wavefront6targetE0EEEvSF_,@function
_ZN7rocprim17ROCPRIM_400000_NS6detail17trampoline_kernelINS0_14default_configENS1_38merge_sort_block_merge_config_selectorIsNS0_10empty_typeEEEZZNS1_27merge_sort_block_merge_implIS3_PsPS5_jNS1_19radix_merge_compareILb1ELb1EsNS0_19identity_decomposerEEEEE10hipError_tT0_T1_T2_jT3_P12ihipStream_tbPNSt15iterator_traitsISE_E10value_typeEPNSK_ISF_E10value_typeEPSG_NS1_7vsmem_tEENKUlT_SE_SF_SG_E_clIS8_S8_S9_S9_EESD_ST_SE_SF_SG_EUlST_E0_NS1_11comp_targetILNS1_3genE2ELNS1_11target_archE906ELNS1_3gpuE6ELNS1_3repE0EEENS1_38merge_mergepath_config_static_selectorELNS0_4arch9wavefront6targetE0EEEvSF_: ; @_ZN7rocprim17ROCPRIM_400000_NS6detail17trampoline_kernelINS0_14default_configENS1_38merge_sort_block_merge_config_selectorIsNS0_10empty_typeEEEZZNS1_27merge_sort_block_merge_implIS3_PsPS5_jNS1_19radix_merge_compareILb1ELb1EsNS0_19identity_decomposerEEEEE10hipError_tT0_T1_T2_jT3_P12ihipStream_tbPNSt15iterator_traitsISE_E10value_typeEPNSK_ISF_E10value_typeEPSG_NS1_7vsmem_tEENKUlT_SE_SF_SG_E_clIS8_S8_S9_S9_EESD_ST_SE_SF_SG_EUlST_E0_NS1_11comp_targetILNS1_3genE2ELNS1_11target_archE906ELNS1_3gpuE6ELNS1_3repE0EEENS1_38merge_mergepath_config_static_selectorELNS0_4arch9wavefront6targetE0EEEvSF_
; %bb.0:
	.section	.rodata,"a",@progbits
	.p2align	6, 0x0
	.amdhsa_kernel _ZN7rocprim17ROCPRIM_400000_NS6detail17trampoline_kernelINS0_14default_configENS1_38merge_sort_block_merge_config_selectorIsNS0_10empty_typeEEEZZNS1_27merge_sort_block_merge_implIS3_PsPS5_jNS1_19radix_merge_compareILb1ELb1EsNS0_19identity_decomposerEEEEE10hipError_tT0_T1_T2_jT3_P12ihipStream_tbPNSt15iterator_traitsISE_E10value_typeEPNSK_ISF_E10value_typeEPSG_NS1_7vsmem_tEENKUlT_SE_SF_SG_E_clIS8_S8_S9_S9_EESD_ST_SE_SF_SG_EUlST_E0_NS1_11comp_targetILNS1_3genE2ELNS1_11target_archE906ELNS1_3gpuE6ELNS1_3repE0EEENS1_38merge_mergepath_config_static_selectorELNS0_4arch9wavefront6targetE0EEEvSF_
		.amdhsa_group_segment_fixed_size 0
		.amdhsa_private_segment_fixed_size 0
		.amdhsa_kernarg_size 64
		.amdhsa_user_sgpr_count 2
		.amdhsa_user_sgpr_dispatch_ptr 0
		.amdhsa_user_sgpr_queue_ptr 0
		.amdhsa_user_sgpr_kernarg_segment_ptr 1
		.amdhsa_user_sgpr_dispatch_id 0
		.amdhsa_user_sgpr_kernarg_preload_length 0
		.amdhsa_user_sgpr_kernarg_preload_offset 0
		.amdhsa_user_sgpr_private_segment_size 0
		.amdhsa_wavefront_size32 1
		.amdhsa_uses_dynamic_stack 0
		.amdhsa_enable_private_segment 0
		.amdhsa_system_sgpr_workgroup_id_x 1
		.amdhsa_system_sgpr_workgroup_id_y 0
		.amdhsa_system_sgpr_workgroup_id_z 0
		.amdhsa_system_sgpr_workgroup_info 0
		.amdhsa_system_vgpr_workitem_id 0
		.amdhsa_next_free_vgpr 1
		.amdhsa_next_free_sgpr 1
		.amdhsa_named_barrier_count 0
		.amdhsa_reserve_vcc 0
		.amdhsa_float_round_mode_32 0
		.amdhsa_float_round_mode_16_64 0
		.amdhsa_float_denorm_mode_32 3
		.amdhsa_float_denorm_mode_16_64 3
		.amdhsa_fp16_overflow 0
		.amdhsa_memory_ordered 1
		.amdhsa_forward_progress 1
		.amdhsa_inst_pref_size 0
		.amdhsa_round_robin_scheduling 0
		.amdhsa_exception_fp_ieee_invalid_op 0
		.amdhsa_exception_fp_denorm_src 0
		.amdhsa_exception_fp_ieee_div_zero 0
		.amdhsa_exception_fp_ieee_overflow 0
		.amdhsa_exception_fp_ieee_underflow 0
		.amdhsa_exception_fp_ieee_inexact 0
		.amdhsa_exception_int_div_zero 0
	.end_amdhsa_kernel
	.section	.text._ZN7rocprim17ROCPRIM_400000_NS6detail17trampoline_kernelINS0_14default_configENS1_38merge_sort_block_merge_config_selectorIsNS0_10empty_typeEEEZZNS1_27merge_sort_block_merge_implIS3_PsPS5_jNS1_19radix_merge_compareILb1ELb1EsNS0_19identity_decomposerEEEEE10hipError_tT0_T1_T2_jT3_P12ihipStream_tbPNSt15iterator_traitsISE_E10value_typeEPNSK_ISF_E10value_typeEPSG_NS1_7vsmem_tEENKUlT_SE_SF_SG_E_clIS8_S8_S9_S9_EESD_ST_SE_SF_SG_EUlST_E0_NS1_11comp_targetILNS1_3genE2ELNS1_11target_archE906ELNS1_3gpuE6ELNS1_3repE0EEENS1_38merge_mergepath_config_static_selectorELNS0_4arch9wavefront6targetE0EEEvSF_,"axG",@progbits,_ZN7rocprim17ROCPRIM_400000_NS6detail17trampoline_kernelINS0_14default_configENS1_38merge_sort_block_merge_config_selectorIsNS0_10empty_typeEEEZZNS1_27merge_sort_block_merge_implIS3_PsPS5_jNS1_19radix_merge_compareILb1ELb1EsNS0_19identity_decomposerEEEEE10hipError_tT0_T1_T2_jT3_P12ihipStream_tbPNSt15iterator_traitsISE_E10value_typeEPNSK_ISF_E10value_typeEPSG_NS1_7vsmem_tEENKUlT_SE_SF_SG_E_clIS8_S8_S9_S9_EESD_ST_SE_SF_SG_EUlST_E0_NS1_11comp_targetILNS1_3genE2ELNS1_11target_archE906ELNS1_3gpuE6ELNS1_3repE0EEENS1_38merge_mergepath_config_static_selectorELNS0_4arch9wavefront6targetE0EEEvSF_,comdat
.Lfunc_end565:
	.size	_ZN7rocprim17ROCPRIM_400000_NS6detail17trampoline_kernelINS0_14default_configENS1_38merge_sort_block_merge_config_selectorIsNS0_10empty_typeEEEZZNS1_27merge_sort_block_merge_implIS3_PsPS5_jNS1_19radix_merge_compareILb1ELb1EsNS0_19identity_decomposerEEEEE10hipError_tT0_T1_T2_jT3_P12ihipStream_tbPNSt15iterator_traitsISE_E10value_typeEPNSK_ISF_E10value_typeEPSG_NS1_7vsmem_tEENKUlT_SE_SF_SG_E_clIS8_S8_S9_S9_EESD_ST_SE_SF_SG_EUlST_E0_NS1_11comp_targetILNS1_3genE2ELNS1_11target_archE906ELNS1_3gpuE6ELNS1_3repE0EEENS1_38merge_mergepath_config_static_selectorELNS0_4arch9wavefront6targetE0EEEvSF_, .Lfunc_end565-_ZN7rocprim17ROCPRIM_400000_NS6detail17trampoline_kernelINS0_14default_configENS1_38merge_sort_block_merge_config_selectorIsNS0_10empty_typeEEEZZNS1_27merge_sort_block_merge_implIS3_PsPS5_jNS1_19radix_merge_compareILb1ELb1EsNS0_19identity_decomposerEEEEE10hipError_tT0_T1_T2_jT3_P12ihipStream_tbPNSt15iterator_traitsISE_E10value_typeEPNSK_ISF_E10value_typeEPSG_NS1_7vsmem_tEENKUlT_SE_SF_SG_E_clIS8_S8_S9_S9_EESD_ST_SE_SF_SG_EUlST_E0_NS1_11comp_targetILNS1_3genE2ELNS1_11target_archE906ELNS1_3gpuE6ELNS1_3repE0EEENS1_38merge_mergepath_config_static_selectorELNS0_4arch9wavefront6targetE0EEEvSF_
                                        ; -- End function
	.set _ZN7rocprim17ROCPRIM_400000_NS6detail17trampoline_kernelINS0_14default_configENS1_38merge_sort_block_merge_config_selectorIsNS0_10empty_typeEEEZZNS1_27merge_sort_block_merge_implIS3_PsPS5_jNS1_19radix_merge_compareILb1ELb1EsNS0_19identity_decomposerEEEEE10hipError_tT0_T1_T2_jT3_P12ihipStream_tbPNSt15iterator_traitsISE_E10value_typeEPNSK_ISF_E10value_typeEPSG_NS1_7vsmem_tEENKUlT_SE_SF_SG_E_clIS8_S8_S9_S9_EESD_ST_SE_SF_SG_EUlST_E0_NS1_11comp_targetILNS1_3genE2ELNS1_11target_archE906ELNS1_3gpuE6ELNS1_3repE0EEENS1_38merge_mergepath_config_static_selectorELNS0_4arch9wavefront6targetE0EEEvSF_.num_vgpr, 0
	.set _ZN7rocprim17ROCPRIM_400000_NS6detail17trampoline_kernelINS0_14default_configENS1_38merge_sort_block_merge_config_selectorIsNS0_10empty_typeEEEZZNS1_27merge_sort_block_merge_implIS3_PsPS5_jNS1_19radix_merge_compareILb1ELb1EsNS0_19identity_decomposerEEEEE10hipError_tT0_T1_T2_jT3_P12ihipStream_tbPNSt15iterator_traitsISE_E10value_typeEPNSK_ISF_E10value_typeEPSG_NS1_7vsmem_tEENKUlT_SE_SF_SG_E_clIS8_S8_S9_S9_EESD_ST_SE_SF_SG_EUlST_E0_NS1_11comp_targetILNS1_3genE2ELNS1_11target_archE906ELNS1_3gpuE6ELNS1_3repE0EEENS1_38merge_mergepath_config_static_selectorELNS0_4arch9wavefront6targetE0EEEvSF_.num_agpr, 0
	.set _ZN7rocprim17ROCPRIM_400000_NS6detail17trampoline_kernelINS0_14default_configENS1_38merge_sort_block_merge_config_selectorIsNS0_10empty_typeEEEZZNS1_27merge_sort_block_merge_implIS3_PsPS5_jNS1_19radix_merge_compareILb1ELb1EsNS0_19identity_decomposerEEEEE10hipError_tT0_T1_T2_jT3_P12ihipStream_tbPNSt15iterator_traitsISE_E10value_typeEPNSK_ISF_E10value_typeEPSG_NS1_7vsmem_tEENKUlT_SE_SF_SG_E_clIS8_S8_S9_S9_EESD_ST_SE_SF_SG_EUlST_E0_NS1_11comp_targetILNS1_3genE2ELNS1_11target_archE906ELNS1_3gpuE6ELNS1_3repE0EEENS1_38merge_mergepath_config_static_selectorELNS0_4arch9wavefront6targetE0EEEvSF_.numbered_sgpr, 0
	.set _ZN7rocprim17ROCPRIM_400000_NS6detail17trampoline_kernelINS0_14default_configENS1_38merge_sort_block_merge_config_selectorIsNS0_10empty_typeEEEZZNS1_27merge_sort_block_merge_implIS3_PsPS5_jNS1_19radix_merge_compareILb1ELb1EsNS0_19identity_decomposerEEEEE10hipError_tT0_T1_T2_jT3_P12ihipStream_tbPNSt15iterator_traitsISE_E10value_typeEPNSK_ISF_E10value_typeEPSG_NS1_7vsmem_tEENKUlT_SE_SF_SG_E_clIS8_S8_S9_S9_EESD_ST_SE_SF_SG_EUlST_E0_NS1_11comp_targetILNS1_3genE2ELNS1_11target_archE906ELNS1_3gpuE6ELNS1_3repE0EEENS1_38merge_mergepath_config_static_selectorELNS0_4arch9wavefront6targetE0EEEvSF_.num_named_barrier, 0
	.set _ZN7rocprim17ROCPRIM_400000_NS6detail17trampoline_kernelINS0_14default_configENS1_38merge_sort_block_merge_config_selectorIsNS0_10empty_typeEEEZZNS1_27merge_sort_block_merge_implIS3_PsPS5_jNS1_19radix_merge_compareILb1ELb1EsNS0_19identity_decomposerEEEEE10hipError_tT0_T1_T2_jT3_P12ihipStream_tbPNSt15iterator_traitsISE_E10value_typeEPNSK_ISF_E10value_typeEPSG_NS1_7vsmem_tEENKUlT_SE_SF_SG_E_clIS8_S8_S9_S9_EESD_ST_SE_SF_SG_EUlST_E0_NS1_11comp_targetILNS1_3genE2ELNS1_11target_archE906ELNS1_3gpuE6ELNS1_3repE0EEENS1_38merge_mergepath_config_static_selectorELNS0_4arch9wavefront6targetE0EEEvSF_.private_seg_size, 0
	.set _ZN7rocprim17ROCPRIM_400000_NS6detail17trampoline_kernelINS0_14default_configENS1_38merge_sort_block_merge_config_selectorIsNS0_10empty_typeEEEZZNS1_27merge_sort_block_merge_implIS3_PsPS5_jNS1_19radix_merge_compareILb1ELb1EsNS0_19identity_decomposerEEEEE10hipError_tT0_T1_T2_jT3_P12ihipStream_tbPNSt15iterator_traitsISE_E10value_typeEPNSK_ISF_E10value_typeEPSG_NS1_7vsmem_tEENKUlT_SE_SF_SG_E_clIS8_S8_S9_S9_EESD_ST_SE_SF_SG_EUlST_E0_NS1_11comp_targetILNS1_3genE2ELNS1_11target_archE906ELNS1_3gpuE6ELNS1_3repE0EEENS1_38merge_mergepath_config_static_selectorELNS0_4arch9wavefront6targetE0EEEvSF_.uses_vcc, 0
	.set _ZN7rocprim17ROCPRIM_400000_NS6detail17trampoline_kernelINS0_14default_configENS1_38merge_sort_block_merge_config_selectorIsNS0_10empty_typeEEEZZNS1_27merge_sort_block_merge_implIS3_PsPS5_jNS1_19radix_merge_compareILb1ELb1EsNS0_19identity_decomposerEEEEE10hipError_tT0_T1_T2_jT3_P12ihipStream_tbPNSt15iterator_traitsISE_E10value_typeEPNSK_ISF_E10value_typeEPSG_NS1_7vsmem_tEENKUlT_SE_SF_SG_E_clIS8_S8_S9_S9_EESD_ST_SE_SF_SG_EUlST_E0_NS1_11comp_targetILNS1_3genE2ELNS1_11target_archE906ELNS1_3gpuE6ELNS1_3repE0EEENS1_38merge_mergepath_config_static_selectorELNS0_4arch9wavefront6targetE0EEEvSF_.uses_flat_scratch, 0
	.set _ZN7rocprim17ROCPRIM_400000_NS6detail17trampoline_kernelINS0_14default_configENS1_38merge_sort_block_merge_config_selectorIsNS0_10empty_typeEEEZZNS1_27merge_sort_block_merge_implIS3_PsPS5_jNS1_19radix_merge_compareILb1ELb1EsNS0_19identity_decomposerEEEEE10hipError_tT0_T1_T2_jT3_P12ihipStream_tbPNSt15iterator_traitsISE_E10value_typeEPNSK_ISF_E10value_typeEPSG_NS1_7vsmem_tEENKUlT_SE_SF_SG_E_clIS8_S8_S9_S9_EESD_ST_SE_SF_SG_EUlST_E0_NS1_11comp_targetILNS1_3genE2ELNS1_11target_archE906ELNS1_3gpuE6ELNS1_3repE0EEENS1_38merge_mergepath_config_static_selectorELNS0_4arch9wavefront6targetE0EEEvSF_.has_dyn_sized_stack, 0
	.set _ZN7rocprim17ROCPRIM_400000_NS6detail17trampoline_kernelINS0_14default_configENS1_38merge_sort_block_merge_config_selectorIsNS0_10empty_typeEEEZZNS1_27merge_sort_block_merge_implIS3_PsPS5_jNS1_19radix_merge_compareILb1ELb1EsNS0_19identity_decomposerEEEEE10hipError_tT0_T1_T2_jT3_P12ihipStream_tbPNSt15iterator_traitsISE_E10value_typeEPNSK_ISF_E10value_typeEPSG_NS1_7vsmem_tEENKUlT_SE_SF_SG_E_clIS8_S8_S9_S9_EESD_ST_SE_SF_SG_EUlST_E0_NS1_11comp_targetILNS1_3genE2ELNS1_11target_archE906ELNS1_3gpuE6ELNS1_3repE0EEENS1_38merge_mergepath_config_static_selectorELNS0_4arch9wavefront6targetE0EEEvSF_.has_recursion, 0
	.set _ZN7rocprim17ROCPRIM_400000_NS6detail17trampoline_kernelINS0_14default_configENS1_38merge_sort_block_merge_config_selectorIsNS0_10empty_typeEEEZZNS1_27merge_sort_block_merge_implIS3_PsPS5_jNS1_19radix_merge_compareILb1ELb1EsNS0_19identity_decomposerEEEEE10hipError_tT0_T1_T2_jT3_P12ihipStream_tbPNSt15iterator_traitsISE_E10value_typeEPNSK_ISF_E10value_typeEPSG_NS1_7vsmem_tEENKUlT_SE_SF_SG_E_clIS8_S8_S9_S9_EESD_ST_SE_SF_SG_EUlST_E0_NS1_11comp_targetILNS1_3genE2ELNS1_11target_archE906ELNS1_3gpuE6ELNS1_3repE0EEENS1_38merge_mergepath_config_static_selectorELNS0_4arch9wavefront6targetE0EEEvSF_.has_indirect_call, 0
	.section	.AMDGPU.csdata,"",@progbits
; Kernel info:
; codeLenInByte = 0
; TotalNumSgprs: 0
; NumVgprs: 0
; ScratchSize: 0
; MemoryBound: 0
; FloatMode: 240
; IeeeMode: 1
; LDSByteSize: 0 bytes/workgroup (compile time only)
; SGPRBlocks: 0
; VGPRBlocks: 0
; NumSGPRsForWavesPerEU: 1
; NumVGPRsForWavesPerEU: 1
; NamedBarCnt: 0
; Occupancy: 16
; WaveLimiterHint : 0
; COMPUTE_PGM_RSRC2:SCRATCH_EN: 0
; COMPUTE_PGM_RSRC2:USER_SGPR: 2
; COMPUTE_PGM_RSRC2:TRAP_HANDLER: 0
; COMPUTE_PGM_RSRC2:TGID_X_EN: 1
; COMPUTE_PGM_RSRC2:TGID_Y_EN: 0
; COMPUTE_PGM_RSRC2:TGID_Z_EN: 0
; COMPUTE_PGM_RSRC2:TIDIG_COMP_CNT: 0
	.section	.text._ZN7rocprim17ROCPRIM_400000_NS6detail17trampoline_kernelINS0_14default_configENS1_38merge_sort_block_merge_config_selectorIsNS0_10empty_typeEEEZZNS1_27merge_sort_block_merge_implIS3_PsPS5_jNS1_19radix_merge_compareILb1ELb1EsNS0_19identity_decomposerEEEEE10hipError_tT0_T1_T2_jT3_P12ihipStream_tbPNSt15iterator_traitsISE_E10value_typeEPNSK_ISF_E10value_typeEPSG_NS1_7vsmem_tEENKUlT_SE_SF_SG_E_clIS8_S8_S9_S9_EESD_ST_SE_SF_SG_EUlST_E0_NS1_11comp_targetILNS1_3genE9ELNS1_11target_archE1100ELNS1_3gpuE3ELNS1_3repE0EEENS1_38merge_mergepath_config_static_selectorELNS0_4arch9wavefront6targetE0EEEvSF_,"axG",@progbits,_ZN7rocprim17ROCPRIM_400000_NS6detail17trampoline_kernelINS0_14default_configENS1_38merge_sort_block_merge_config_selectorIsNS0_10empty_typeEEEZZNS1_27merge_sort_block_merge_implIS3_PsPS5_jNS1_19radix_merge_compareILb1ELb1EsNS0_19identity_decomposerEEEEE10hipError_tT0_T1_T2_jT3_P12ihipStream_tbPNSt15iterator_traitsISE_E10value_typeEPNSK_ISF_E10value_typeEPSG_NS1_7vsmem_tEENKUlT_SE_SF_SG_E_clIS8_S8_S9_S9_EESD_ST_SE_SF_SG_EUlST_E0_NS1_11comp_targetILNS1_3genE9ELNS1_11target_archE1100ELNS1_3gpuE3ELNS1_3repE0EEENS1_38merge_mergepath_config_static_selectorELNS0_4arch9wavefront6targetE0EEEvSF_,comdat
	.protected	_ZN7rocprim17ROCPRIM_400000_NS6detail17trampoline_kernelINS0_14default_configENS1_38merge_sort_block_merge_config_selectorIsNS0_10empty_typeEEEZZNS1_27merge_sort_block_merge_implIS3_PsPS5_jNS1_19radix_merge_compareILb1ELb1EsNS0_19identity_decomposerEEEEE10hipError_tT0_T1_T2_jT3_P12ihipStream_tbPNSt15iterator_traitsISE_E10value_typeEPNSK_ISF_E10value_typeEPSG_NS1_7vsmem_tEENKUlT_SE_SF_SG_E_clIS8_S8_S9_S9_EESD_ST_SE_SF_SG_EUlST_E0_NS1_11comp_targetILNS1_3genE9ELNS1_11target_archE1100ELNS1_3gpuE3ELNS1_3repE0EEENS1_38merge_mergepath_config_static_selectorELNS0_4arch9wavefront6targetE0EEEvSF_ ; -- Begin function _ZN7rocprim17ROCPRIM_400000_NS6detail17trampoline_kernelINS0_14default_configENS1_38merge_sort_block_merge_config_selectorIsNS0_10empty_typeEEEZZNS1_27merge_sort_block_merge_implIS3_PsPS5_jNS1_19radix_merge_compareILb1ELb1EsNS0_19identity_decomposerEEEEE10hipError_tT0_T1_T2_jT3_P12ihipStream_tbPNSt15iterator_traitsISE_E10value_typeEPNSK_ISF_E10value_typeEPSG_NS1_7vsmem_tEENKUlT_SE_SF_SG_E_clIS8_S8_S9_S9_EESD_ST_SE_SF_SG_EUlST_E0_NS1_11comp_targetILNS1_3genE9ELNS1_11target_archE1100ELNS1_3gpuE3ELNS1_3repE0EEENS1_38merge_mergepath_config_static_selectorELNS0_4arch9wavefront6targetE0EEEvSF_
	.globl	_ZN7rocprim17ROCPRIM_400000_NS6detail17trampoline_kernelINS0_14default_configENS1_38merge_sort_block_merge_config_selectorIsNS0_10empty_typeEEEZZNS1_27merge_sort_block_merge_implIS3_PsPS5_jNS1_19radix_merge_compareILb1ELb1EsNS0_19identity_decomposerEEEEE10hipError_tT0_T1_T2_jT3_P12ihipStream_tbPNSt15iterator_traitsISE_E10value_typeEPNSK_ISF_E10value_typeEPSG_NS1_7vsmem_tEENKUlT_SE_SF_SG_E_clIS8_S8_S9_S9_EESD_ST_SE_SF_SG_EUlST_E0_NS1_11comp_targetILNS1_3genE9ELNS1_11target_archE1100ELNS1_3gpuE3ELNS1_3repE0EEENS1_38merge_mergepath_config_static_selectorELNS0_4arch9wavefront6targetE0EEEvSF_
	.p2align	8
	.type	_ZN7rocprim17ROCPRIM_400000_NS6detail17trampoline_kernelINS0_14default_configENS1_38merge_sort_block_merge_config_selectorIsNS0_10empty_typeEEEZZNS1_27merge_sort_block_merge_implIS3_PsPS5_jNS1_19radix_merge_compareILb1ELb1EsNS0_19identity_decomposerEEEEE10hipError_tT0_T1_T2_jT3_P12ihipStream_tbPNSt15iterator_traitsISE_E10value_typeEPNSK_ISF_E10value_typeEPSG_NS1_7vsmem_tEENKUlT_SE_SF_SG_E_clIS8_S8_S9_S9_EESD_ST_SE_SF_SG_EUlST_E0_NS1_11comp_targetILNS1_3genE9ELNS1_11target_archE1100ELNS1_3gpuE3ELNS1_3repE0EEENS1_38merge_mergepath_config_static_selectorELNS0_4arch9wavefront6targetE0EEEvSF_,@function
_ZN7rocprim17ROCPRIM_400000_NS6detail17trampoline_kernelINS0_14default_configENS1_38merge_sort_block_merge_config_selectorIsNS0_10empty_typeEEEZZNS1_27merge_sort_block_merge_implIS3_PsPS5_jNS1_19radix_merge_compareILb1ELb1EsNS0_19identity_decomposerEEEEE10hipError_tT0_T1_T2_jT3_P12ihipStream_tbPNSt15iterator_traitsISE_E10value_typeEPNSK_ISF_E10value_typeEPSG_NS1_7vsmem_tEENKUlT_SE_SF_SG_E_clIS8_S8_S9_S9_EESD_ST_SE_SF_SG_EUlST_E0_NS1_11comp_targetILNS1_3genE9ELNS1_11target_archE1100ELNS1_3gpuE3ELNS1_3repE0EEENS1_38merge_mergepath_config_static_selectorELNS0_4arch9wavefront6targetE0EEEvSF_: ; @_ZN7rocprim17ROCPRIM_400000_NS6detail17trampoline_kernelINS0_14default_configENS1_38merge_sort_block_merge_config_selectorIsNS0_10empty_typeEEEZZNS1_27merge_sort_block_merge_implIS3_PsPS5_jNS1_19radix_merge_compareILb1ELb1EsNS0_19identity_decomposerEEEEE10hipError_tT0_T1_T2_jT3_P12ihipStream_tbPNSt15iterator_traitsISE_E10value_typeEPNSK_ISF_E10value_typeEPSG_NS1_7vsmem_tEENKUlT_SE_SF_SG_E_clIS8_S8_S9_S9_EESD_ST_SE_SF_SG_EUlST_E0_NS1_11comp_targetILNS1_3genE9ELNS1_11target_archE1100ELNS1_3gpuE3ELNS1_3repE0EEENS1_38merge_mergepath_config_static_selectorELNS0_4arch9wavefront6targetE0EEEvSF_
; %bb.0:
	.section	.rodata,"a",@progbits
	.p2align	6, 0x0
	.amdhsa_kernel _ZN7rocprim17ROCPRIM_400000_NS6detail17trampoline_kernelINS0_14default_configENS1_38merge_sort_block_merge_config_selectorIsNS0_10empty_typeEEEZZNS1_27merge_sort_block_merge_implIS3_PsPS5_jNS1_19radix_merge_compareILb1ELb1EsNS0_19identity_decomposerEEEEE10hipError_tT0_T1_T2_jT3_P12ihipStream_tbPNSt15iterator_traitsISE_E10value_typeEPNSK_ISF_E10value_typeEPSG_NS1_7vsmem_tEENKUlT_SE_SF_SG_E_clIS8_S8_S9_S9_EESD_ST_SE_SF_SG_EUlST_E0_NS1_11comp_targetILNS1_3genE9ELNS1_11target_archE1100ELNS1_3gpuE3ELNS1_3repE0EEENS1_38merge_mergepath_config_static_selectorELNS0_4arch9wavefront6targetE0EEEvSF_
		.amdhsa_group_segment_fixed_size 0
		.amdhsa_private_segment_fixed_size 0
		.amdhsa_kernarg_size 64
		.amdhsa_user_sgpr_count 2
		.amdhsa_user_sgpr_dispatch_ptr 0
		.amdhsa_user_sgpr_queue_ptr 0
		.amdhsa_user_sgpr_kernarg_segment_ptr 1
		.amdhsa_user_sgpr_dispatch_id 0
		.amdhsa_user_sgpr_kernarg_preload_length 0
		.amdhsa_user_sgpr_kernarg_preload_offset 0
		.amdhsa_user_sgpr_private_segment_size 0
		.amdhsa_wavefront_size32 1
		.amdhsa_uses_dynamic_stack 0
		.amdhsa_enable_private_segment 0
		.amdhsa_system_sgpr_workgroup_id_x 1
		.amdhsa_system_sgpr_workgroup_id_y 0
		.amdhsa_system_sgpr_workgroup_id_z 0
		.amdhsa_system_sgpr_workgroup_info 0
		.amdhsa_system_vgpr_workitem_id 0
		.amdhsa_next_free_vgpr 1
		.amdhsa_next_free_sgpr 1
		.amdhsa_named_barrier_count 0
		.amdhsa_reserve_vcc 0
		.amdhsa_float_round_mode_32 0
		.amdhsa_float_round_mode_16_64 0
		.amdhsa_float_denorm_mode_32 3
		.amdhsa_float_denorm_mode_16_64 3
		.amdhsa_fp16_overflow 0
		.amdhsa_memory_ordered 1
		.amdhsa_forward_progress 1
		.amdhsa_inst_pref_size 0
		.amdhsa_round_robin_scheduling 0
		.amdhsa_exception_fp_ieee_invalid_op 0
		.amdhsa_exception_fp_denorm_src 0
		.amdhsa_exception_fp_ieee_div_zero 0
		.amdhsa_exception_fp_ieee_overflow 0
		.amdhsa_exception_fp_ieee_underflow 0
		.amdhsa_exception_fp_ieee_inexact 0
		.amdhsa_exception_int_div_zero 0
	.end_amdhsa_kernel
	.section	.text._ZN7rocprim17ROCPRIM_400000_NS6detail17trampoline_kernelINS0_14default_configENS1_38merge_sort_block_merge_config_selectorIsNS0_10empty_typeEEEZZNS1_27merge_sort_block_merge_implIS3_PsPS5_jNS1_19radix_merge_compareILb1ELb1EsNS0_19identity_decomposerEEEEE10hipError_tT0_T1_T2_jT3_P12ihipStream_tbPNSt15iterator_traitsISE_E10value_typeEPNSK_ISF_E10value_typeEPSG_NS1_7vsmem_tEENKUlT_SE_SF_SG_E_clIS8_S8_S9_S9_EESD_ST_SE_SF_SG_EUlST_E0_NS1_11comp_targetILNS1_3genE9ELNS1_11target_archE1100ELNS1_3gpuE3ELNS1_3repE0EEENS1_38merge_mergepath_config_static_selectorELNS0_4arch9wavefront6targetE0EEEvSF_,"axG",@progbits,_ZN7rocprim17ROCPRIM_400000_NS6detail17trampoline_kernelINS0_14default_configENS1_38merge_sort_block_merge_config_selectorIsNS0_10empty_typeEEEZZNS1_27merge_sort_block_merge_implIS3_PsPS5_jNS1_19radix_merge_compareILb1ELb1EsNS0_19identity_decomposerEEEEE10hipError_tT0_T1_T2_jT3_P12ihipStream_tbPNSt15iterator_traitsISE_E10value_typeEPNSK_ISF_E10value_typeEPSG_NS1_7vsmem_tEENKUlT_SE_SF_SG_E_clIS8_S8_S9_S9_EESD_ST_SE_SF_SG_EUlST_E0_NS1_11comp_targetILNS1_3genE9ELNS1_11target_archE1100ELNS1_3gpuE3ELNS1_3repE0EEENS1_38merge_mergepath_config_static_selectorELNS0_4arch9wavefront6targetE0EEEvSF_,comdat
.Lfunc_end566:
	.size	_ZN7rocprim17ROCPRIM_400000_NS6detail17trampoline_kernelINS0_14default_configENS1_38merge_sort_block_merge_config_selectorIsNS0_10empty_typeEEEZZNS1_27merge_sort_block_merge_implIS3_PsPS5_jNS1_19radix_merge_compareILb1ELb1EsNS0_19identity_decomposerEEEEE10hipError_tT0_T1_T2_jT3_P12ihipStream_tbPNSt15iterator_traitsISE_E10value_typeEPNSK_ISF_E10value_typeEPSG_NS1_7vsmem_tEENKUlT_SE_SF_SG_E_clIS8_S8_S9_S9_EESD_ST_SE_SF_SG_EUlST_E0_NS1_11comp_targetILNS1_3genE9ELNS1_11target_archE1100ELNS1_3gpuE3ELNS1_3repE0EEENS1_38merge_mergepath_config_static_selectorELNS0_4arch9wavefront6targetE0EEEvSF_, .Lfunc_end566-_ZN7rocprim17ROCPRIM_400000_NS6detail17trampoline_kernelINS0_14default_configENS1_38merge_sort_block_merge_config_selectorIsNS0_10empty_typeEEEZZNS1_27merge_sort_block_merge_implIS3_PsPS5_jNS1_19radix_merge_compareILb1ELb1EsNS0_19identity_decomposerEEEEE10hipError_tT0_T1_T2_jT3_P12ihipStream_tbPNSt15iterator_traitsISE_E10value_typeEPNSK_ISF_E10value_typeEPSG_NS1_7vsmem_tEENKUlT_SE_SF_SG_E_clIS8_S8_S9_S9_EESD_ST_SE_SF_SG_EUlST_E0_NS1_11comp_targetILNS1_3genE9ELNS1_11target_archE1100ELNS1_3gpuE3ELNS1_3repE0EEENS1_38merge_mergepath_config_static_selectorELNS0_4arch9wavefront6targetE0EEEvSF_
                                        ; -- End function
	.set _ZN7rocprim17ROCPRIM_400000_NS6detail17trampoline_kernelINS0_14default_configENS1_38merge_sort_block_merge_config_selectorIsNS0_10empty_typeEEEZZNS1_27merge_sort_block_merge_implIS3_PsPS5_jNS1_19radix_merge_compareILb1ELb1EsNS0_19identity_decomposerEEEEE10hipError_tT0_T1_T2_jT3_P12ihipStream_tbPNSt15iterator_traitsISE_E10value_typeEPNSK_ISF_E10value_typeEPSG_NS1_7vsmem_tEENKUlT_SE_SF_SG_E_clIS8_S8_S9_S9_EESD_ST_SE_SF_SG_EUlST_E0_NS1_11comp_targetILNS1_3genE9ELNS1_11target_archE1100ELNS1_3gpuE3ELNS1_3repE0EEENS1_38merge_mergepath_config_static_selectorELNS0_4arch9wavefront6targetE0EEEvSF_.num_vgpr, 0
	.set _ZN7rocprim17ROCPRIM_400000_NS6detail17trampoline_kernelINS0_14default_configENS1_38merge_sort_block_merge_config_selectorIsNS0_10empty_typeEEEZZNS1_27merge_sort_block_merge_implIS3_PsPS5_jNS1_19radix_merge_compareILb1ELb1EsNS0_19identity_decomposerEEEEE10hipError_tT0_T1_T2_jT3_P12ihipStream_tbPNSt15iterator_traitsISE_E10value_typeEPNSK_ISF_E10value_typeEPSG_NS1_7vsmem_tEENKUlT_SE_SF_SG_E_clIS8_S8_S9_S9_EESD_ST_SE_SF_SG_EUlST_E0_NS1_11comp_targetILNS1_3genE9ELNS1_11target_archE1100ELNS1_3gpuE3ELNS1_3repE0EEENS1_38merge_mergepath_config_static_selectorELNS0_4arch9wavefront6targetE0EEEvSF_.num_agpr, 0
	.set _ZN7rocprim17ROCPRIM_400000_NS6detail17trampoline_kernelINS0_14default_configENS1_38merge_sort_block_merge_config_selectorIsNS0_10empty_typeEEEZZNS1_27merge_sort_block_merge_implIS3_PsPS5_jNS1_19radix_merge_compareILb1ELb1EsNS0_19identity_decomposerEEEEE10hipError_tT0_T1_T2_jT3_P12ihipStream_tbPNSt15iterator_traitsISE_E10value_typeEPNSK_ISF_E10value_typeEPSG_NS1_7vsmem_tEENKUlT_SE_SF_SG_E_clIS8_S8_S9_S9_EESD_ST_SE_SF_SG_EUlST_E0_NS1_11comp_targetILNS1_3genE9ELNS1_11target_archE1100ELNS1_3gpuE3ELNS1_3repE0EEENS1_38merge_mergepath_config_static_selectorELNS0_4arch9wavefront6targetE0EEEvSF_.numbered_sgpr, 0
	.set _ZN7rocprim17ROCPRIM_400000_NS6detail17trampoline_kernelINS0_14default_configENS1_38merge_sort_block_merge_config_selectorIsNS0_10empty_typeEEEZZNS1_27merge_sort_block_merge_implIS3_PsPS5_jNS1_19radix_merge_compareILb1ELb1EsNS0_19identity_decomposerEEEEE10hipError_tT0_T1_T2_jT3_P12ihipStream_tbPNSt15iterator_traitsISE_E10value_typeEPNSK_ISF_E10value_typeEPSG_NS1_7vsmem_tEENKUlT_SE_SF_SG_E_clIS8_S8_S9_S9_EESD_ST_SE_SF_SG_EUlST_E0_NS1_11comp_targetILNS1_3genE9ELNS1_11target_archE1100ELNS1_3gpuE3ELNS1_3repE0EEENS1_38merge_mergepath_config_static_selectorELNS0_4arch9wavefront6targetE0EEEvSF_.num_named_barrier, 0
	.set _ZN7rocprim17ROCPRIM_400000_NS6detail17trampoline_kernelINS0_14default_configENS1_38merge_sort_block_merge_config_selectorIsNS0_10empty_typeEEEZZNS1_27merge_sort_block_merge_implIS3_PsPS5_jNS1_19radix_merge_compareILb1ELb1EsNS0_19identity_decomposerEEEEE10hipError_tT0_T1_T2_jT3_P12ihipStream_tbPNSt15iterator_traitsISE_E10value_typeEPNSK_ISF_E10value_typeEPSG_NS1_7vsmem_tEENKUlT_SE_SF_SG_E_clIS8_S8_S9_S9_EESD_ST_SE_SF_SG_EUlST_E0_NS1_11comp_targetILNS1_3genE9ELNS1_11target_archE1100ELNS1_3gpuE3ELNS1_3repE0EEENS1_38merge_mergepath_config_static_selectorELNS0_4arch9wavefront6targetE0EEEvSF_.private_seg_size, 0
	.set _ZN7rocprim17ROCPRIM_400000_NS6detail17trampoline_kernelINS0_14default_configENS1_38merge_sort_block_merge_config_selectorIsNS0_10empty_typeEEEZZNS1_27merge_sort_block_merge_implIS3_PsPS5_jNS1_19radix_merge_compareILb1ELb1EsNS0_19identity_decomposerEEEEE10hipError_tT0_T1_T2_jT3_P12ihipStream_tbPNSt15iterator_traitsISE_E10value_typeEPNSK_ISF_E10value_typeEPSG_NS1_7vsmem_tEENKUlT_SE_SF_SG_E_clIS8_S8_S9_S9_EESD_ST_SE_SF_SG_EUlST_E0_NS1_11comp_targetILNS1_3genE9ELNS1_11target_archE1100ELNS1_3gpuE3ELNS1_3repE0EEENS1_38merge_mergepath_config_static_selectorELNS0_4arch9wavefront6targetE0EEEvSF_.uses_vcc, 0
	.set _ZN7rocprim17ROCPRIM_400000_NS6detail17trampoline_kernelINS0_14default_configENS1_38merge_sort_block_merge_config_selectorIsNS0_10empty_typeEEEZZNS1_27merge_sort_block_merge_implIS3_PsPS5_jNS1_19radix_merge_compareILb1ELb1EsNS0_19identity_decomposerEEEEE10hipError_tT0_T1_T2_jT3_P12ihipStream_tbPNSt15iterator_traitsISE_E10value_typeEPNSK_ISF_E10value_typeEPSG_NS1_7vsmem_tEENKUlT_SE_SF_SG_E_clIS8_S8_S9_S9_EESD_ST_SE_SF_SG_EUlST_E0_NS1_11comp_targetILNS1_3genE9ELNS1_11target_archE1100ELNS1_3gpuE3ELNS1_3repE0EEENS1_38merge_mergepath_config_static_selectorELNS0_4arch9wavefront6targetE0EEEvSF_.uses_flat_scratch, 0
	.set _ZN7rocprim17ROCPRIM_400000_NS6detail17trampoline_kernelINS0_14default_configENS1_38merge_sort_block_merge_config_selectorIsNS0_10empty_typeEEEZZNS1_27merge_sort_block_merge_implIS3_PsPS5_jNS1_19radix_merge_compareILb1ELb1EsNS0_19identity_decomposerEEEEE10hipError_tT0_T1_T2_jT3_P12ihipStream_tbPNSt15iterator_traitsISE_E10value_typeEPNSK_ISF_E10value_typeEPSG_NS1_7vsmem_tEENKUlT_SE_SF_SG_E_clIS8_S8_S9_S9_EESD_ST_SE_SF_SG_EUlST_E0_NS1_11comp_targetILNS1_3genE9ELNS1_11target_archE1100ELNS1_3gpuE3ELNS1_3repE0EEENS1_38merge_mergepath_config_static_selectorELNS0_4arch9wavefront6targetE0EEEvSF_.has_dyn_sized_stack, 0
	.set _ZN7rocprim17ROCPRIM_400000_NS6detail17trampoline_kernelINS0_14default_configENS1_38merge_sort_block_merge_config_selectorIsNS0_10empty_typeEEEZZNS1_27merge_sort_block_merge_implIS3_PsPS5_jNS1_19radix_merge_compareILb1ELb1EsNS0_19identity_decomposerEEEEE10hipError_tT0_T1_T2_jT3_P12ihipStream_tbPNSt15iterator_traitsISE_E10value_typeEPNSK_ISF_E10value_typeEPSG_NS1_7vsmem_tEENKUlT_SE_SF_SG_E_clIS8_S8_S9_S9_EESD_ST_SE_SF_SG_EUlST_E0_NS1_11comp_targetILNS1_3genE9ELNS1_11target_archE1100ELNS1_3gpuE3ELNS1_3repE0EEENS1_38merge_mergepath_config_static_selectorELNS0_4arch9wavefront6targetE0EEEvSF_.has_recursion, 0
	.set _ZN7rocprim17ROCPRIM_400000_NS6detail17trampoline_kernelINS0_14default_configENS1_38merge_sort_block_merge_config_selectorIsNS0_10empty_typeEEEZZNS1_27merge_sort_block_merge_implIS3_PsPS5_jNS1_19radix_merge_compareILb1ELb1EsNS0_19identity_decomposerEEEEE10hipError_tT0_T1_T2_jT3_P12ihipStream_tbPNSt15iterator_traitsISE_E10value_typeEPNSK_ISF_E10value_typeEPSG_NS1_7vsmem_tEENKUlT_SE_SF_SG_E_clIS8_S8_S9_S9_EESD_ST_SE_SF_SG_EUlST_E0_NS1_11comp_targetILNS1_3genE9ELNS1_11target_archE1100ELNS1_3gpuE3ELNS1_3repE0EEENS1_38merge_mergepath_config_static_selectorELNS0_4arch9wavefront6targetE0EEEvSF_.has_indirect_call, 0
	.section	.AMDGPU.csdata,"",@progbits
; Kernel info:
; codeLenInByte = 0
; TotalNumSgprs: 0
; NumVgprs: 0
; ScratchSize: 0
; MemoryBound: 0
; FloatMode: 240
; IeeeMode: 1
; LDSByteSize: 0 bytes/workgroup (compile time only)
; SGPRBlocks: 0
; VGPRBlocks: 0
; NumSGPRsForWavesPerEU: 1
; NumVGPRsForWavesPerEU: 1
; NamedBarCnt: 0
; Occupancy: 16
; WaveLimiterHint : 0
; COMPUTE_PGM_RSRC2:SCRATCH_EN: 0
; COMPUTE_PGM_RSRC2:USER_SGPR: 2
; COMPUTE_PGM_RSRC2:TRAP_HANDLER: 0
; COMPUTE_PGM_RSRC2:TGID_X_EN: 1
; COMPUTE_PGM_RSRC2:TGID_Y_EN: 0
; COMPUTE_PGM_RSRC2:TGID_Z_EN: 0
; COMPUTE_PGM_RSRC2:TIDIG_COMP_CNT: 0
	.section	.text._ZN7rocprim17ROCPRIM_400000_NS6detail17trampoline_kernelINS0_14default_configENS1_38merge_sort_block_merge_config_selectorIsNS0_10empty_typeEEEZZNS1_27merge_sort_block_merge_implIS3_PsPS5_jNS1_19radix_merge_compareILb1ELb1EsNS0_19identity_decomposerEEEEE10hipError_tT0_T1_T2_jT3_P12ihipStream_tbPNSt15iterator_traitsISE_E10value_typeEPNSK_ISF_E10value_typeEPSG_NS1_7vsmem_tEENKUlT_SE_SF_SG_E_clIS8_S8_S9_S9_EESD_ST_SE_SF_SG_EUlST_E0_NS1_11comp_targetILNS1_3genE8ELNS1_11target_archE1030ELNS1_3gpuE2ELNS1_3repE0EEENS1_38merge_mergepath_config_static_selectorELNS0_4arch9wavefront6targetE0EEEvSF_,"axG",@progbits,_ZN7rocprim17ROCPRIM_400000_NS6detail17trampoline_kernelINS0_14default_configENS1_38merge_sort_block_merge_config_selectorIsNS0_10empty_typeEEEZZNS1_27merge_sort_block_merge_implIS3_PsPS5_jNS1_19radix_merge_compareILb1ELb1EsNS0_19identity_decomposerEEEEE10hipError_tT0_T1_T2_jT3_P12ihipStream_tbPNSt15iterator_traitsISE_E10value_typeEPNSK_ISF_E10value_typeEPSG_NS1_7vsmem_tEENKUlT_SE_SF_SG_E_clIS8_S8_S9_S9_EESD_ST_SE_SF_SG_EUlST_E0_NS1_11comp_targetILNS1_3genE8ELNS1_11target_archE1030ELNS1_3gpuE2ELNS1_3repE0EEENS1_38merge_mergepath_config_static_selectorELNS0_4arch9wavefront6targetE0EEEvSF_,comdat
	.protected	_ZN7rocprim17ROCPRIM_400000_NS6detail17trampoline_kernelINS0_14default_configENS1_38merge_sort_block_merge_config_selectorIsNS0_10empty_typeEEEZZNS1_27merge_sort_block_merge_implIS3_PsPS5_jNS1_19radix_merge_compareILb1ELb1EsNS0_19identity_decomposerEEEEE10hipError_tT0_T1_T2_jT3_P12ihipStream_tbPNSt15iterator_traitsISE_E10value_typeEPNSK_ISF_E10value_typeEPSG_NS1_7vsmem_tEENKUlT_SE_SF_SG_E_clIS8_S8_S9_S9_EESD_ST_SE_SF_SG_EUlST_E0_NS1_11comp_targetILNS1_3genE8ELNS1_11target_archE1030ELNS1_3gpuE2ELNS1_3repE0EEENS1_38merge_mergepath_config_static_selectorELNS0_4arch9wavefront6targetE0EEEvSF_ ; -- Begin function _ZN7rocprim17ROCPRIM_400000_NS6detail17trampoline_kernelINS0_14default_configENS1_38merge_sort_block_merge_config_selectorIsNS0_10empty_typeEEEZZNS1_27merge_sort_block_merge_implIS3_PsPS5_jNS1_19radix_merge_compareILb1ELb1EsNS0_19identity_decomposerEEEEE10hipError_tT0_T1_T2_jT3_P12ihipStream_tbPNSt15iterator_traitsISE_E10value_typeEPNSK_ISF_E10value_typeEPSG_NS1_7vsmem_tEENKUlT_SE_SF_SG_E_clIS8_S8_S9_S9_EESD_ST_SE_SF_SG_EUlST_E0_NS1_11comp_targetILNS1_3genE8ELNS1_11target_archE1030ELNS1_3gpuE2ELNS1_3repE0EEENS1_38merge_mergepath_config_static_selectorELNS0_4arch9wavefront6targetE0EEEvSF_
	.globl	_ZN7rocprim17ROCPRIM_400000_NS6detail17trampoline_kernelINS0_14default_configENS1_38merge_sort_block_merge_config_selectorIsNS0_10empty_typeEEEZZNS1_27merge_sort_block_merge_implIS3_PsPS5_jNS1_19radix_merge_compareILb1ELb1EsNS0_19identity_decomposerEEEEE10hipError_tT0_T1_T2_jT3_P12ihipStream_tbPNSt15iterator_traitsISE_E10value_typeEPNSK_ISF_E10value_typeEPSG_NS1_7vsmem_tEENKUlT_SE_SF_SG_E_clIS8_S8_S9_S9_EESD_ST_SE_SF_SG_EUlST_E0_NS1_11comp_targetILNS1_3genE8ELNS1_11target_archE1030ELNS1_3gpuE2ELNS1_3repE0EEENS1_38merge_mergepath_config_static_selectorELNS0_4arch9wavefront6targetE0EEEvSF_
	.p2align	8
	.type	_ZN7rocprim17ROCPRIM_400000_NS6detail17trampoline_kernelINS0_14default_configENS1_38merge_sort_block_merge_config_selectorIsNS0_10empty_typeEEEZZNS1_27merge_sort_block_merge_implIS3_PsPS5_jNS1_19radix_merge_compareILb1ELb1EsNS0_19identity_decomposerEEEEE10hipError_tT0_T1_T2_jT3_P12ihipStream_tbPNSt15iterator_traitsISE_E10value_typeEPNSK_ISF_E10value_typeEPSG_NS1_7vsmem_tEENKUlT_SE_SF_SG_E_clIS8_S8_S9_S9_EESD_ST_SE_SF_SG_EUlST_E0_NS1_11comp_targetILNS1_3genE8ELNS1_11target_archE1030ELNS1_3gpuE2ELNS1_3repE0EEENS1_38merge_mergepath_config_static_selectorELNS0_4arch9wavefront6targetE0EEEvSF_,@function
_ZN7rocprim17ROCPRIM_400000_NS6detail17trampoline_kernelINS0_14default_configENS1_38merge_sort_block_merge_config_selectorIsNS0_10empty_typeEEEZZNS1_27merge_sort_block_merge_implIS3_PsPS5_jNS1_19radix_merge_compareILb1ELb1EsNS0_19identity_decomposerEEEEE10hipError_tT0_T1_T2_jT3_P12ihipStream_tbPNSt15iterator_traitsISE_E10value_typeEPNSK_ISF_E10value_typeEPSG_NS1_7vsmem_tEENKUlT_SE_SF_SG_E_clIS8_S8_S9_S9_EESD_ST_SE_SF_SG_EUlST_E0_NS1_11comp_targetILNS1_3genE8ELNS1_11target_archE1030ELNS1_3gpuE2ELNS1_3repE0EEENS1_38merge_mergepath_config_static_selectorELNS0_4arch9wavefront6targetE0EEEvSF_: ; @_ZN7rocprim17ROCPRIM_400000_NS6detail17trampoline_kernelINS0_14default_configENS1_38merge_sort_block_merge_config_selectorIsNS0_10empty_typeEEEZZNS1_27merge_sort_block_merge_implIS3_PsPS5_jNS1_19radix_merge_compareILb1ELb1EsNS0_19identity_decomposerEEEEE10hipError_tT0_T1_T2_jT3_P12ihipStream_tbPNSt15iterator_traitsISE_E10value_typeEPNSK_ISF_E10value_typeEPSG_NS1_7vsmem_tEENKUlT_SE_SF_SG_E_clIS8_S8_S9_S9_EESD_ST_SE_SF_SG_EUlST_E0_NS1_11comp_targetILNS1_3genE8ELNS1_11target_archE1030ELNS1_3gpuE2ELNS1_3repE0EEENS1_38merge_mergepath_config_static_selectorELNS0_4arch9wavefront6targetE0EEEvSF_
; %bb.0:
	.section	.rodata,"a",@progbits
	.p2align	6, 0x0
	.amdhsa_kernel _ZN7rocprim17ROCPRIM_400000_NS6detail17trampoline_kernelINS0_14default_configENS1_38merge_sort_block_merge_config_selectorIsNS0_10empty_typeEEEZZNS1_27merge_sort_block_merge_implIS3_PsPS5_jNS1_19radix_merge_compareILb1ELb1EsNS0_19identity_decomposerEEEEE10hipError_tT0_T1_T2_jT3_P12ihipStream_tbPNSt15iterator_traitsISE_E10value_typeEPNSK_ISF_E10value_typeEPSG_NS1_7vsmem_tEENKUlT_SE_SF_SG_E_clIS8_S8_S9_S9_EESD_ST_SE_SF_SG_EUlST_E0_NS1_11comp_targetILNS1_3genE8ELNS1_11target_archE1030ELNS1_3gpuE2ELNS1_3repE0EEENS1_38merge_mergepath_config_static_selectorELNS0_4arch9wavefront6targetE0EEEvSF_
		.amdhsa_group_segment_fixed_size 0
		.amdhsa_private_segment_fixed_size 0
		.amdhsa_kernarg_size 64
		.amdhsa_user_sgpr_count 2
		.amdhsa_user_sgpr_dispatch_ptr 0
		.amdhsa_user_sgpr_queue_ptr 0
		.amdhsa_user_sgpr_kernarg_segment_ptr 1
		.amdhsa_user_sgpr_dispatch_id 0
		.amdhsa_user_sgpr_kernarg_preload_length 0
		.amdhsa_user_sgpr_kernarg_preload_offset 0
		.amdhsa_user_sgpr_private_segment_size 0
		.amdhsa_wavefront_size32 1
		.amdhsa_uses_dynamic_stack 0
		.amdhsa_enable_private_segment 0
		.amdhsa_system_sgpr_workgroup_id_x 1
		.amdhsa_system_sgpr_workgroup_id_y 0
		.amdhsa_system_sgpr_workgroup_id_z 0
		.amdhsa_system_sgpr_workgroup_info 0
		.amdhsa_system_vgpr_workitem_id 0
		.amdhsa_next_free_vgpr 1
		.amdhsa_next_free_sgpr 1
		.amdhsa_named_barrier_count 0
		.amdhsa_reserve_vcc 0
		.amdhsa_float_round_mode_32 0
		.amdhsa_float_round_mode_16_64 0
		.amdhsa_float_denorm_mode_32 3
		.amdhsa_float_denorm_mode_16_64 3
		.amdhsa_fp16_overflow 0
		.amdhsa_memory_ordered 1
		.amdhsa_forward_progress 1
		.amdhsa_inst_pref_size 0
		.amdhsa_round_robin_scheduling 0
		.amdhsa_exception_fp_ieee_invalid_op 0
		.amdhsa_exception_fp_denorm_src 0
		.amdhsa_exception_fp_ieee_div_zero 0
		.amdhsa_exception_fp_ieee_overflow 0
		.amdhsa_exception_fp_ieee_underflow 0
		.amdhsa_exception_fp_ieee_inexact 0
		.amdhsa_exception_int_div_zero 0
	.end_amdhsa_kernel
	.section	.text._ZN7rocprim17ROCPRIM_400000_NS6detail17trampoline_kernelINS0_14default_configENS1_38merge_sort_block_merge_config_selectorIsNS0_10empty_typeEEEZZNS1_27merge_sort_block_merge_implIS3_PsPS5_jNS1_19radix_merge_compareILb1ELb1EsNS0_19identity_decomposerEEEEE10hipError_tT0_T1_T2_jT3_P12ihipStream_tbPNSt15iterator_traitsISE_E10value_typeEPNSK_ISF_E10value_typeEPSG_NS1_7vsmem_tEENKUlT_SE_SF_SG_E_clIS8_S8_S9_S9_EESD_ST_SE_SF_SG_EUlST_E0_NS1_11comp_targetILNS1_3genE8ELNS1_11target_archE1030ELNS1_3gpuE2ELNS1_3repE0EEENS1_38merge_mergepath_config_static_selectorELNS0_4arch9wavefront6targetE0EEEvSF_,"axG",@progbits,_ZN7rocprim17ROCPRIM_400000_NS6detail17trampoline_kernelINS0_14default_configENS1_38merge_sort_block_merge_config_selectorIsNS0_10empty_typeEEEZZNS1_27merge_sort_block_merge_implIS3_PsPS5_jNS1_19radix_merge_compareILb1ELb1EsNS0_19identity_decomposerEEEEE10hipError_tT0_T1_T2_jT3_P12ihipStream_tbPNSt15iterator_traitsISE_E10value_typeEPNSK_ISF_E10value_typeEPSG_NS1_7vsmem_tEENKUlT_SE_SF_SG_E_clIS8_S8_S9_S9_EESD_ST_SE_SF_SG_EUlST_E0_NS1_11comp_targetILNS1_3genE8ELNS1_11target_archE1030ELNS1_3gpuE2ELNS1_3repE0EEENS1_38merge_mergepath_config_static_selectorELNS0_4arch9wavefront6targetE0EEEvSF_,comdat
.Lfunc_end567:
	.size	_ZN7rocprim17ROCPRIM_400000_NS6detail17trampoline_kernelINS0_14default_configENS1_38merge_sort_block_merge_config_selectorIsNS0_10empty_typeEEEZZNS1_27merge_sort_block_merge_implIS3_PsPS5_jNS1_19radix_merge_compareILb1ELb1EsNS0_19identity_decomposerEEEEE10hipError_tT0_T1_T2_jT3_P12ihipStream_tbPNSt15iterator_traitsISE_E10value_typeEPNSK_ISF_E10value_typeEPSG_NS1_7vsmem_tEENKUlT_SE_SF_SG_E_clIS8_S8_S9_S9_EESD_ST_SE_SF_SG_EUlST_E0_NS1_11comp_targetILNS1_3genE8ELNS1_11target_archE1030ELNS1_3gpuE2ELNS1_3repE0EEENS1_38merge_mergepath_config_static_selectorELNS0_4arch9wavefront6targetE0EEEvSF_, .Lfunc_end567-_ZN7rocprim17ROCPRIM_400000_NS6detail17trampoline_kernelINS0_14default_configENS1_38merge_sort_block_merge_config_selectorIsNS0_10empty_typeEEEZZNS1_27merge_sort_block_merge_implIS3_PsPS5_jNS1_19radix_merge_compareILb1ELb1EsNS0_19identity_decomposerEEEEE10hipError_tT0_T1_T2_jT3_P12ihipStream_tbPNSt15iterator_traitsISE_E10value_typeEPNSK_ISF_E10value_typeEPSG_NS1_7vsmem_tEENKUlT_SE_SF_SG_E_clIS8_S8_S9_S9_EESD_ST_SE_SF_SG_EUlST_E0_NS1_11comp_targetILNS1_3genE8ELNS1_11target_archE1030ELNS1_3gpuE2ELNS1_3repE0EEENS1_38merge_mergepath_config_static_selectorELNS0_4arch9wavefront6targetE0EEEvSF_
                                        ; -- End function
	.set _ZN7rocprim17ROCPRIM_400000_NS6detail17trampoline_kernelINS0_14default_configENS1_38merge_sort_block_merge_config_selectorIsNS0_10empty_typeEEEZZNS1_27merge_sort_block_merge_implIS3_PsPS5_jNS1_19radix_merge_compareILb1ELb1EsNS0_19identity_decomposerEEEEE10hipError_tT0_T1_T2_jT3_P12ihipStream_tbPNSt15iterator_traitsISE_E10value_typeEPNSK_ISF_E10value_typeEPSG_NS1_7vsmem_tEENKUlT_SE_SF_SG_E_clIS8_S8_S9_S9_EESD_ST_SE_SF_SG_EUlST_E0_NS1_11comp_targetILNS1_3genE8ELNS1_11target_archE1030ELNS1_3gpuE2ELNS1_3repE0EEENS1_38merge_mergepath_config_static_selectorELNS0_4arch9wavefront6targetE0EEEvSF_.num_vgpr, 0
	.set _ZN7rocprim17ROCPRIM_400000_NS6detail17trampoline_kernelINS0_14default_configENS1_38merge_sort_block_merge_config_selectorIsNS0_10empty_typeEEEZZNS1_27merge_sort_block_merge_implIS3_PsPS5_jNS1_19radix_merge_compareILb1ELb1EsNS0_19identity_decomposerEEEEE10hipError_tT0_T1_T2_jT3_P12ihipStream_tbPNSt15iterator_traitsISE_E10value_typeEPNSK_ISF_E10value_typeEPSG_NS1_7vsmem_tEENKUlT_SE_SF_SG_E_clIS8_S8_S9_S9_EESD_ST_SE_SF_SG_EUlST_E0_NS1_11comp_targetILNS1_3genE8ELNS1_11target_archE1030ELNS1_3gpuE2ELNS1_3repE0EEENS1_38merge_mergepath_config_static_selectorELNS0_4arch9wavefront6targetE0EEEvSF_.num_agpr, 0
	.set _ZN7rocprim17ROCPRIM_400000_NS6detail17trampoline_kernelINS0_14default_configENS1_38merge_sort_block_merge_config_selectorIsNS0_10empty_typeEEEZZNS1_27merge_sort_block_merge_implIS3_PsPS5_jNS1_19radix_merge_compareILb1ELb1EsNS0_19identity_decomposerEEEEE10hipError_tT0_T1_T2_jT3_P12ihipStream_tbPNSt15iterator_traitsISE_E10value_typeEPNSK_ISF_E10value_typeEPSG_NS1_7vsmem_tEENKUlT_SE_SF_SG_E_clIS8_S8_S9_S9_EESD_ST_SE_SF_SG_EUlST_E0_NS1_11comp_targetILNS1_3genE8ELNS1_11target_archE1030ELNS1_3gpuE2ELNS1_3repE0EEENS1_38merge_mergepath_config_static_selectorELNS0_4arch9wavefront6targetE0EEEvSF_.numbered_sgpr, 0
	.set _ZN7rocprim17ROCPRIM_400000_NS6detail17trampoline_kernelINS0_14default_configENS1_38merge_sort_block_merge_config_selectorIsNS0_10empty_typeEEEZZNS1_27merge_sort_block_merge_implIS3_PsPS5_jNS1_19radix_merge_compareILb1ELb1EsNS0_19identity_decomposerEEEEE10hipError_tT0_T1_T2_jT3_P12ihipStream_tbPNSt15iterator_traitsISE_E10value_typeEPNSK_ISF_E10value_typeEPSG_NS1_7vsmem_tEENKUlT_SE_SF_SG_E_clIS8_S8_S9_S9_EESD_ST_SE_SF_SG_EUlST_E0_NS1_11comp_targetILNS1_3genE8ELNS1_11target_archE1030ELNS1_3gpuE2ELNS1_3repE0EEENS1_38merge_mergepath_config_static_selectorELNS0_4arch9wavefront6targetE0EEEvSF_.num_named_barrier, 0
	.set _ZN7rocprim17ROCPRIM_400000_NS6detail17trampoline_kernelINS0_14default_configENS1_38merge_sort_block_merge_config_selectorIsNS0_10empty_typeEEEZZNS1_27merge_sort_block_merge_implIS3_PsPS5_jNS1_19radix_merge_compareILb1ELb1EsNS0_19identity_decomposerEEEEE10hipError_tT0_T1_T2_jT3_P12ihipStream_tbPNSt15iterator_traitsISE_E10value_typeEPNSK_ISF_E10value_typeEPSG_NS1_7vsmem_tEENKUlT_SE_SF_SG_E_clIS8_S8_S9_S9_EESD_ST_SE_SF_SG_EUlST_E0_NS1_11comp_targetILNS1_3genE8ELNS1_11target_archE1030ELNS1_3gpuE2ELNS1_3repE0EEENS1_38merge_mergepath_config_static_selectorELNS0_4arch9wavefront6targetE0EEEvSF_.private_seg_size, 0
	.set _ZN7rocprim17ROCPRIM_400000_NS6detail17trampoline_kernelINS0_14default_configENS1_38merge_sort_block_merge_config_selectorIsNS0_10empty_typeEEEZZNS1_27merge_sort_block_merge_implIS3_PsPS5_jNS1_19radix_merge_compareILb1ELb1EsNS0_19identity_decomposerEEEEE10hipError_tT0_T1_T2_jT3_P12ihipStream_tbPNSt15iterator_traitsISE_E10value_typeEPNSK_ISF_E10value_typeEPSG_NS1_7vsmem_tEENKUlT_SE_SF_SG_E_clIS8_S8_S9_S9_EESD_ST_SE_SF_SG_EUlST_E0_NS1_11comp_targetILNS1_3genE8ELNS1_11target_archE1030ELNS1_3gpuE2ELNS1_3repE0EEENS1_38merge_mergepath_config_static_selectorELNS0_4arch9wavefront6targetE0EEEvSF_.uses_vcc, 0
	.set _ZN7rocprim17ROCPRIM_400000_NS6detail17trampoline_kernelINS0_14default_configENS1_38merge_sort_block_merge_config_selectorIsNS0_10empty_typeEEEZZNS1_27merge_sort_block_merge_implIS3_PsPS5_jNS1_19radix_merge_compareILb1ELb1EsNS0_19identity_decomposerEEEEE10hipError_tT0_T1_T2_jT3_P12ihipStream_tbPNSt15iterator_traitsISE_E10value_typeEPNSK_ISF_E10value_typeEPSG_NS1_7vsmem_tEENKUlT_SE_SF_SG_E_clIS8_S8_S9_S9_EESD_ST_SE_SF_SG_EUlST_E0_NS1_11comp_targetILNS1_3genE8ELNS1_11target_archE1030ELNS1_3gpuE2ELNS1_3repE0EEENS1_38merge_mergepath_config_static_selectorELNS0_4arch9wavefront6targetE0EEEvSF_.uses_flat_scratch, 0
	.set _ZN7rocprim17ROCPRIM_400000_NS6detail17trampoline_kernelINS0_14default_configENS1_38merge_sort_block_merge_config_selectorIsNS0_10empty_typeEEEZZNS1_27merge_sort_block_merge_implIS3_PsPS5_jNS1_19radix_merge_compareILb1ELb1EsNS0_19identity_decomposerEEEEE10hipError_tT0_T1_T2_jT3_P12ihipStream_tbPNSt15iterator_traitsISE_E10value_typeEPNSK_ISF_E10value_typeEPSG_NS1_7vsmem_tEENKUlT_SE_SF_SG_E_clIS8_S8_S9_S9_EESD_ST_SE_SF_SG_EUlST_E0_NS1_11comp_targetILNS1_3genE8ELNS1_11target_archE1030ELNS1_3gpuE2ELNS1_3repE0EEENS1_38merge_mergepath_config_static_selectorELNS0_4arch9wavefront6targetE0EEEvSF_.has_dyn_sized_stack, 0
	.set _ZN7rocprim17ROCPRIM_400000_NS6detail17trampoline_kernelINS0_14default_configENS1_38merge_sort_block_merge_config_selectorIsNS0_10empty_typeEEEZZNS1_27merge_sort_block_merge_implIS3_PsPS5_jNS1_19radix_merge_compareILb1ELb1EsNS0_19identity_decomposerEEEEE10hipError_tT0_T1_T2_jT3_P12ihipStream_tbPNSt15iterator_traitsISE_E10value_typeEPNSK_ISF_E10value_typeEPSG_NS1_7vsmem_tEENKUlT_SE_SF_SG_E_clIS8_S8_S9_S9_EESD_ST_SE_SF_SG_EUlST_E0_NS1_11comp_targetILNS1_3genE8ELNS1_11target_archE1030ELNS1_3gpuE2ELNS1_3repE0EEENS1_38merge_mergepath_config_static_selectorELNS0_4arch9wavefront6targetE0EEEvSF_.has_recursion, 0
	.set _ZN7rocprim17ROCPRIM_400000_NS6detail17trampoline_kernelINS0_14default_configENS1_38merge_sort_block_merge_config_selectorIsNS0_10empty_typeEEEZZNS1_27merge_sort_block_merge_implIS3_PsPS5_jNS1_19radix_merge_compareILb1ELb1EsNS0_19identity_decomposerEEEEE10hipError_tT0_T1_T2_jT3_P12ihipStream_tbPNSt15iterator_traitsISE_E10value_typeEPNSK_ISF_E10value_typeEPSG_NS1_7vsmem_tEENKUlT_SE_SF_SG_E_clIS8_S8_S9_S9_EESD_ST_SE_SF_SG_EUlST_E0_NS1_11comp_targetILNS1_3genE8ELNS1_11target_archE1030ELNS1_3gpuE2ELNS1_3repE0EEENS1_38merge_mergepath_config_static_selectorELNS0_4arch9wavefront6targetE0EEEvSF_.has_indirect_call, 0
	.section	.AMDGPU.csdata,"",@progbits
; Kernel info:
; codeLenInByte = 0
; TotalNumSgprs: 0
; NumVgprs: 0
; ScratchSize: 0
; MemoryBound: 0
; FloatMode: 240
; IeeeMode: 1
; LDSByteSize: 0 bytes/workgroup (compile time only)
; SGPRBlocks: 0
; VGPRBlocks: 0
; NumSGPRsForWavesPerEU: 1
; NumVGPRsForWavesPerEU: 1
; NamedBarCnt: 0
; Occupancy: 16
; WaveLimiterHint : 0
; COMPUTE_PGM_RSRC2:SCRATCH_EN: 0
; COMPUTE_PGM_RSRC2:USER_SGPR: 2
; COMPUTE_PGM_RSRC2:TRAP_HANDLER: 0
; COMPUTE_PGM_RSRC2:TGID_X_EN: 1
; COMPUTE_PGM_RSRC2:TGID_Y_EN: 0
; COMPUTE_PGM_RSRC2:TGID_Z_EN: 0
; COMPUTE_PGM_RSRC2:TIDIG_COMP_CNT: 0
	.section	.text._ZN7rocprim17ROCPRIM_400000_NS6detail17trampoline_kernelINS0_14default_configENS1_38merge_sort_block_merge_config_selectorIsNS0_10empty_typeEEEZZNS1_27merge_sort_block_merge_implIS3_PsPS5_jNS1_19radix_merge_compareILb1ELb1EsNS0_19identity_decomposerEEEEE10hipError_tT0_T1_T2_jT3_P12ihipStream_tbPNSt15iterator_traitsISE_E10value_typeEPNSK_ISF_E10value_typeEPSG_NS1_7vsmem_tEENKUlT_SE_SF_SG_E_clIS8_S8_S9_S9_EESD_ST_SE_SF_SG_EUlST_E1_NS1_11comp_targetILNS1_3genE0ELNS1_11target_archE4294967295ELNS1_3gpuE0ELNS1_3repE0EEENS1_36merge_oddeven_config_static_selectorELNS0_4arch9wavefront6targetE0EEEvSF_,"axG",@progbits,_ZN7rocprim17ROCPRIM_400000_NS6detail17trampoline_kernelINS0_14default_configENS1_38merge_sort_block_merge_config_selectorIsNS0_10empty_typeEEEZZNS1_27merge_sort_block_merge_implIS3_PsPS5_jNS1_19radix_merge_compareILb1ELb1EsNS0_19identity_decomposerEEEEE10hipError_tT0_T1_T2_jT3_P12ihipStream_tbPNSt15iterator_traitsISE_E10value_typeEPNSK_ISF_E10value_typeEPSG_NS1_7vsmem_tEENKUlT_SE_SF_SG_E_clIS8_S8_S9_S9_EESD_ST_SE_SF_SG_EUlST_E1_NS1_11comp_targetILNS1_3genE0ELNS1_11target_archE4294967295ELNS1_3gpuE0ELNS1_3repE0EEENS1_36merge_oddeven_config_static_selectorELNS0_4arch9wavefront6targetE0EEEvSF_,comdat
	.protected	_ZN7rocprim17ROCPRIM_400000_NS6detail17trampoline_kernelINS0_14default_configENS1_38merge_sort_block_merge_config_selectorIsNS0_10empty_typeEEEZZNS1_27merge_sort_block_merge_implIS3_PsPS5_jNS1_19radix_merge_compareILb1ELb1EsNS0_19identity_decomposerEEEEE10hipError_tT0_T1_T2_jT3_P12ihipStream_tbPNSt15iterator_traitsISE_E10value_typeEPNSK_ISF_E10value_typeEPSG_NS1_7vsmem_tEENKUlT_SE_SF_SG_E_clIS8_S8_S9_S9_EESD_ST_SE_SF_SG_EUlST_E1_NS1_11comp_targetILNS1_3genE0ELNS1_11target_archE4294967295ELNS1_3gpuE0ELNS1_3repE0EEENS1_36merge_oddeven_config_static_selectorELNS0_4arch9wavefront6targetE0EEEvSF_ ; -- Begin function _ZN7rocprim17ROCPRIM_400000_NS6detail17trampoline_kernelINS0_14default_configENS1_38merge_sort_block_merge_config_selectorIsNS0_10empty_typeEEEZZNS1_27merge_sort_block_merge_implIS3_PsPS5_jNS1_19radix_merge_compareILb1ELb1EsNS0_19identity_decomposerEEEEE10hipError_tT0_T1_T2_jT3_P12ihipStream_tbPNSt15iterator_traitsISE_E10value_typeEPNSK_ISF_E10value_typeEPSG_NS1_7vsmem_tEENKUlT_SE_SF_SG_E_clIS8_S8_S9_S9_EESD_ST_SE_SF_SG_EUlST_E1_NS1_11comp_targetILNS1_3genE0ELNS1_11target_archE4294967295ELNS1_3gpuE0ELNS1_3repE0EEENS1_36merge_oddeven_config_static_selectorELNS0_4arch9wavefront6targetE0EEEvSF_
	.globl	_ZN7rocprim17ROCPRIM_400000_NS6detail17trampoline_kernelINS0_14default_configENS1_38merge_sort_block_merge_config_selectorIsNS0_10empty_typeEEEZZNS1_27merge_sort_block_merge_implIS3_PsPS5_jNS1_19radix_merge_compareILb1ELb1EsNS0_19identity_decomposerEEEEE10hipError_tT0_T1_T2_jT3_P12ihipStream_tbPNSt15iterator_traitsISE_E10value_typeEPNSK_ISF_E10value_typeEPSG_NS1_7vsmem_tEENKUlT_SE_SF_SG_E_clIS8_S8_S9_S9_EESD_ST_SE_SF_SG_EUlST_E1_NS1_11comp_targetILNS1_3genE0ELNS1_11target_archE4294967295ELNS1_3gpuE0ELNS1_3repE0EEENS1_36merge_oddeven_config_static_selectorELNS0_4arch9wavefront6targetE0EEEvSF_
	.p2align	8
	.type	_ZN7rocprim17ROCPRIM_400000_NS6detail17trampoline_kernelINS0_14default_configENS1_38merge_sort_block_merge_config_selectorIsNS0_10empty_typeEEEZZNS1_27merge_sort_block_merge_implIS3_PsPS5_jNS1_19radix_merge_compareILb1ELb1EsNS0_19identity_decomposerEEEEE10hipError_tT0_T1_T2_jT3_P12ihipStream_tbPNSt15iterator_traitsISE_E10value_typeEPNSK_ISF_E10value_typeEPSG_NS1_7vsmem_tEENKUlT_SE_SF_SG_E_clIS8_S8_S9_S9_EESD_ST_SE_SF_SG_EUlST_E1_NS1_11comp_targetILNS1_3genE0ELNS1_11target_archE4294967295ELNS1_3gpuE0ELNS1_3repE0EEENS1_36merge_oddeven_config_static_selectorELNS0_4arch9wavefront6targetE0EEEvSF_,@function
_ZN7rocprim17ROCPRIM_400000_NS6detail17trampoline_kernelINS0_14default_configENS1_38merge_sort_block_merge_config_selectorIsNS0_10empty_typeEEEZZNS1_27merge_sort_block_merge_implIS3_PsPS5_jNS1_19radix_merge_compareILb1ELb1EsNS0_19identity_decomposerEEEEE10hipError_tT0_T1_T2_jT3_P12ihipStream_tbPNSt15iterator_traitsISE_E10value_typeEPNSK_ISF_E10value_typeEPSG_NS1_7vsmem_tEENKUlT_SE_SF_SG_E_clIS8_S8_S9_S9_EESD_ST_SE_SF_SG_EUlST_E1_NS1_11comp_targetILNS1_3genE0ELNS1_11target_archE4294967295ELNS1_3gpuE0ELNS1_3repE0EEENS1_36merge_oddeven_config_static_selectorELNS0_4arch9wavefront6targetE0EEEvSF_: ; @_ZN7rocprim17ROCPRIM_400000_NS6detail17trampoline_kernelINS0_14default_configENS1_38merge_sort_block_merge_config_selectorIsNS0_10empty_typeEEEZZNS1_27merge_sort_block_merge_implIS3_PsPS5_jNS1_19radix_merge_compareILb1ELb1EsNS0_19identity_decomposerEEEEE10hipError_tT0_T1_T2_jT3_P12ihipStream_tbPNSt15iterator_traitsISE_E10value_typeEPNSK_ISF_E10value_typeEPSG_NS1_7vsmem_tEENKUlT_SE_SF_SG_E_clIS8_S8_S9_S9_EESD_ST_SE_SF_SG_EUlST_E1_NS1_11comp_targetILNS1_3genE0ELNS1_11target_archE4294967295ELNS1_3gpuE0ELNS1_3repE0EEENS1_36merge_oddeven_config_static_selectorELNS0_4arch9wavefront6targetE0EEEvSF_
; %bb.0:
	s_load_b32 s11, s[0:1], 0x20
	s_bfe_u32 s2, ttmp6, 0x4000c
	s_and_b32 s3, ttmp6, 15
	s_add_co_i32 s2, s2, 1
	s_getreg_b32 s4, hwreg(HW_REG_IB_STS2, 6, 4)
	s_mul_i32 s2, ttmp9, s2
	s_mov_b32 s9, 0
	s_add_co_i32 s3, s3, s2
	s_cmp_eq_u32 s4, 0
	s_cselect_b32 s2, ttmp9, s3
	s_wait_kmcnt 0x0
	s_lshr_b32 s3, s11, 8
	s_delay_alu instid0(SALU_CYCLE_1) | instskip(SKIP_4) | instid1(SALU_CYCLE_1)
	s_cmp_lg_u32 s2, s3
	s_cselect_b32 s15, -1, 0
	s_cmp_eq_u32 s2, s3
	s_cselect_b32 s12, -1, 0
	s_lshl_b32 s8, s2, 8
	s_sub_co_i32 s3, s11, s8
	s_delay_alu instid0(SALU_CYCLE_1) | instskip(SKIP_1) | instid1(SALU_CYCLE_1)
	v_cmp_gt_u32_e64 s3, s3, v0
	s_or_b32 s4, s15, s3
	s_and_saveexec_b32 s5, s4
	s_cbranch_execz .LBB568_20
; %bb.1:
	s_clause 0x1
	s_load_b128 s[4:7], s[0:1], 0x0
	s_load_b32 s13, s[0:1], 0x24
	s_lshl_b64 s[16:17], s[8:9], 1
	v_add_nc_u32_e32 v3, s8, v0
	s_wait_kmcnt 0x0
	s_add_nc_u64 s[16:17], s[4:5], s[16:17]
	s_lshr_b32 s10, s13, 8
	global_load_u16 v1, v0, s[16:17] scale_offset
	s_sub_co_i32 s14, 0, s10
	s_wait_xcnt 0x0
	s_sub_co_i32 s16, 0, s13
	s_and_b32 s2, s2, s14
	s_delay_alu instid0(SALU_CYCLE_1) | instskip(SKIP_3) | instid1(SALU_CYCLE_1)
	s_and_b32 s10, s2, s10
	s_lshl_b32 s14, s2, 8
	s_cmp_eq_u32 s10, 0
	s_cselect_b32 s2, -1, 0
	s_and_b32 s10, s2, exec_lo
	s_cselect_b32 s10, s13, s16
	s_delay_alu instid0(SALU_CYCLE_1) | instskip(NEXT) | instid1(SALU_CYCLE_1)
	s_add_co_i32 s10, s10, s14
	s_cmp_gt_u32 s11, s10
	s_cbranch_scc1 .LBB568_3
; %bb.2:
	v_cmp_gt_u32_e32 vcc_lo, s11, v3
	s_or_b32 s9, vcc_lo, s15
	s_delay_alu instid0(SALU_CYCLE_1)
	s_and_b32 s9, s9, exec_lo
	s_cbranch_execz .LBB568_4
	s_branch .LBB568_18
.LBB568_3:
.LBB568_4:
	s_load_b32 s0, s[0:1], 0x28
	s_wait_xcnt 0x0
	s_min_u32 s1, s10, s11
	s_and_b32 vcc_lo, exec_lo, s12
	s_add_co_i32 s8, s14, s1
	s_add_co_i32 s13, s1, s13
	v_subrev_nc_u32_e32 v0, s8, v3
	s_min_u32 s8, s14, s1
	s_delay_alu instid0(VALU_DEP_1) | instid1(SALU_CYCLE_1)
	v_add_nc_u32_e32 v0, s8, v0
	s_min_u32 s8, s13, s11
	s_wait_loadcnt 0x0
	s_wait_kmcnt 0x0
	v_and_b32_e32 v2, s0, v1
	s_cbranch_vccz .LBB568_12
; %bb.5:
                                        ; implicit-def: $vgpr3
	s_and_saveexec_b32 s11, s3
	s_cbranch_execz .LBB568_11
; %bb.6:
	v_mov_b32_e32 v3, s1
	s_cmp_ge_u32 s10, s8
	s_cbranch_scc1 .LBB568_10
; %bb.7:
	v_dual_mov_b32 v4, s8 :: v_dual_mov_b32 v3, s1
	s_mov_b32 s3, 0
.LBB568_8:                              ; =>This Inner Loop Header: Depth=1
	s_delay_alu instid0(VALU_DEP_1) | instskip(NEXT) | instid1(VALU_DEP_1)
	v_add_nc_u32_e32 v5, v3, v4
	v_and_b32_e32 v6, -2, v5
	global_load_u16 v6, v6, s[4:5]
	s_wait_loadcnt 0x0
	v_dual_lshrrev_b32 v5, 1, v5 :: v_dual_bitop2_b32 v6, s0, v6 bitop3:0x40
	s_delay_alu instid0(VALU_DEP_1) | instskip(SKIP_3) | instid1(VALU_DEP_1)
	v_cmp_gt_i16_e32 vcc_lo, v6, v2
	v_cndmask_b32_e64 v7, 0, 1, vcc_lo
	v_cmp_le_i16_e32 vcc_lo, v2, v6
	v_cndmask_b32_e64 v6, 0, 1, vcc_lo
	v_dual_cndmask_b32 v6, v6, v7, s2 :: v_dual_add_nc_u32 v7, 1, v5
	s_delay_alu instid0(VALU_DEP_1) | instskip(NEXT) | instid1(VALU_DEP_1)
	v_and_b32_e32 v6, 1, v6
	v_cmp_eq_u32_e32 vcc_lo, 1, v6
	s_delay_alu instid0(VALU_DEP_3) | instskip(NEXT) | instid1(VALU_DEP_1)
	v_dual_cndmask_b32 v4, v5, v4 :: v_dual_cndmask_b32 v3, v3, v7
	v_cmp_ge_u32_e32 vcc_lo, v3, v4
	s_or_b32 s3, vcc_lo, s3
	s_delay_alu instid0(SALU_CYCLE_1)
	s_and_not1_b32 exec_lo, exec_lo, s3
	s_cbranch_execnz .LBB568_8
; %bb.9:
	s_or_b32 exec_lo, exec_lo, s3
.LBB568_10:
	s_delay_alu instid0(VALU_DEP_1)
	v_add_nc_u32_e32 v3, v3, v0
	s_or_b32 s9, s9, exec_lo
.LBB568_11:
	s_or_b32 exec_lo, exec_lo, s11
	s_branch .LBB568_18
.LBB568_12:
                                        ; implicit-def: $vgpr3
	s_cbranch_execz .LBB568_18
; %bb.13:
	v_mov_b32_e32 v3, s1
	s_cmp_ge_u32 s10, s8
	s_cbranch_scc1 .LBB568_17
; %bb.14:
	v_dual_mov_b32 v4, s8 :: v_dual_mov_b32 v3, s1
	s_mov_b32 s1, 0
.LBB568_15:                             ; =>This Inner Loop Header: Depth=1
	s_delay_alu instid0(VALU_DEP_1) | instskip(NEXT) | instid1(VALU_DEP_1)
	v_add_nc_u32_e32 v5, v3, v4
	v_and_b32_e32 v6, -2, v5
	global_load_u16 v6, v6, s[4:5]
	s_wait_loadcnt 0x0
	v_dual_lshrrev_b32 v5, 1, v5 :: v_dual_bitop2_b32 v6, s0, v6 bitop3:0x40
	s_delay_alu instid0(VALU_DEP_1) | instskip(SKIP_3) | instid1(VALU_DEP_1)
	v_cmp_gt_i16_e32 vcc_lo, v6, v2
	v_cndmask_b32_e64 v7, 0, 1, vcc_lo
	v_cmp_le_i16_e32 vcc_lo, v2, v6
	v_cndmask_b32_e64 v6, 0, 1, vcc_lo
	v_dual_cndmask_b32 v6, v6, v7, s2 :: v_dual_add_nc_u32 v7, 1, v5
	s_delay_alu instid0(VALU_DEP_1) | instskip(NEXT) | instid1(VALU_DEP_1)
	v_and_b32_e32 v6, 1, v6
	v_cmp_eq_u32_e32 vcc_lo, 1, v6
	s_delay_alu instid0(VALU_DEP_3) | instskip(NEXT) | instid1(VALU_DEP_1)
	v_dual_cndmask_b32 v4, v5, v4 :: v_dual_cndmask_b32 v3, v3, v7
	v_cmp_ge_u32_e32 vcc_lo, v3, v4
	s_or_b32 s1, vcc_lo, s1
	s_delay_alu instid0(SALU_CYCLE_1)
	s_and_not1_b32 exec_lo, exec_lo, s1
	s_cbranch_execnz .LBB568_15
; %bb.16:
	s_or_b32 exec_lo, exec_lo, s1
.LBB568_17:
	s_delay_alu instid0(VALU_DEP_1)
	v_add_nc_u32_e32 v3, v3, v0
	s_mov_b32 s9, -1
.LBB568_18:
	s_delay_alu instid0(SALU_CYCLE_1)
	s_and_b32 exec_lo, exec_lo, s9
	s_cbranch_execz .LBB568_20
; %bb.19:
	s_wait_loadcnt 0x0
	global_store_b16 v3, v1, s[6:7] scale_offset
.LBB568_20:
	s_endpgm
	.section	.rodata,"a",@progbits
	.p2align	6, 0x0
	.amdhsa_kernel _ZN7rocprim17ROCPRIM_400000_NS6detail17trampoline_kernelINS0_14default_configENS1_38merge_sort_block_merge_config_selectorIsNS0_10empty_typeEEEZZNS1_27merge_sort_block_merge_implIS3_PsPS5_jNS1_19radix_merge_compareILb1ELb1EsNS0_19identity_decomposerEEEEE10hipError_tT0_T1_T2_jT3_P12ihipStream_tbPNSt15iterator_traitsISE_E10value_typeEPNSK_ISF_E10value_typeEPSG_NS1_7vsmem_tEENKUlT_SE_SF_SG_E_clIS8_S8_S9_S9_EESD_ST_SE_SF_SG_EUlST_E1_NS1_11comp_targetILNS1_3genE0ELNS1_11target_archE4294967295ELNS1_3gpuE0ELNS1_3repE0EEENS1_36merge_oddeven_config_static_selectorELNS0_4arch9wavefront6targetE0EEEvSF_
		.amdhsa_group_segment_fixed_size 0
		.amdhsa_private_segment_fixed_size 0
		.amdhsa_kernarg_size 48
		.amdhsa_user_sgpr_count 2
		.amdhsa_user_sgpr_dispatch_ptr 0
		.amdhsa_user_sgpr_queue_ptr 0
		.amdhsa_user_sgpr_kernarg_segment_ptr 1
		.amdhsa_user_sgpr_dispatch_id 0
		.amdhsa_user_sgpr_kernarg_preload_length 0
		.amdhsa_user_sgpr_kernarg_preload_offset 0
		.amdhsa_user_sgpr_private_segment_size 0
		.amdhsa_wavefront_size32 1
		.amdhsa_uses_dynamic_stack 0
		.amdhsa_enable_private_segment 0
		.amdhsa_system_sgpr_workgroup_id_x 1
		.amdhsa_system_sgpr_workgroup_id_y 0
		.amdhsa_system_sgpr_workgroup_id_z 0
		.amdhsa_system_sgpr_workgroup_info 0
		.amdhsa_system_vgpr_workitem_id 0
		.amdhsa_next_free_vgpr 8
		.amdhsa_next_free_sgpr 18
		.amdhsa_named_barrier_count 0
		.amdhsa_reserve_vcc 1
		.amdhsa_float_round_mode_32 0
		.amdhsa_float_round_mode_16_64 0
		.amdhsa_float_denorm_mode_32 3
		.amdhsa_float_denorm_mode_16_64 3
		.amdhsa_fp16_overflow 0
		.amdhsa_memory_ordered 1
		.amdhsa_forward_progress 1
		.amdhsa_inst_pref_size 6
		.amdhsa_round_robin_scheduling 0
		.amdhsa_exception_fp_ieee_invalid_op 0
		.amdhsa_exception_fp_denorm_src 0
		.amdhsa_exception_fp_ieee_div_zero 0
		.amdhsa_exception_fp_ieee_overflow 0
		.amdhsa_exception_fp_ieee_underflow 0
		.amdhsa_exception_fp_ieee_inexact 0
		.amdhsa_exception_int_div_zero 0
	.end_amdhsa_kernel
	.section	.text._ZN7rocprim17ROCPRIM_400000_NS6detail17trampoline_kernelINS0_14default_configENS1_38merge_sort_block_merge_config_selectorIsNS0_10empty_typeEEEZZNS1_27merge_sort_block_merge_implIS3_PsPS5_jNS1_19radix_merge_compareILb1ELb1EsNS0_19identity_decomposerEEEEE10hipError_tT0_T1_T2_jT3_P12ihipStream_tbPNSt15iterator_traitsISE_E10value_typeEPNSK_ISF_E10value_typeEPSG_NS1_7vsmem_tEENKUlT_SE_SF_SG_E_clIS8_S8_S9_S9_EESD_ST_SE_SF_SG_EUlST_E1_NS1_11comp_targetILNS1_3genE0ELNS1_11target_archE4294967295ELNS1_3gpuE0ELNS1_3repE0EEENS1_36merge_oddeven_config_static_selectorELNS0_4arch9wavefront6targetE0EEEvSF_,"axG",@progbits,_ZN7rocprim17ROCPRIM_400000_NS6detail17trampoline_kernelINS0_14default_configENS1_38merge_sort_block_merge_config_selectorIsNS0_10empty_typeEEEZZNS1_27merge_sort_block_merge_implIS3_PsPS5_jNS1_19radix_merge_compareILb1ELb1EsNS0_19identity_decomposerEEEEE10hipError_tT0_T1_T2_jT3_P12ihipStream_tbPNSt15iterator_traitsISE_E10value_typeEPNSK_ISF_E10value_typeEPSG_NS1_7vsmem_tEENKUlT_SE_SF_SG_E_clIS8_S8_S9_S9_EESD_ST_SE_SF_SG_EUlST_E1_NS1_11comp_targetILNS1_3genE0ELNS1_11target_archE4294967295ELNS1_3gpuE0ELNS1_3repE0EEENS1_36merge_oddeven_config_static_selectorELNS0_4arch9wavefront6targetE0EEEvSF_,comdat
.Lfunc_end568:
	.size	_ZN7rocprim17ROCPRIM_400000_NS6detail17trampoline_kernelINS0_14default_configENS1_38merge_sort_block_merge_config_selectorIsNS0_10empty_typeEEEZZNS1_27merge_sort_block_merge_implIS3_PsPS5_jNS1_19radix_merge_compareILb1ELb1EsNS0_19identity_decomposerEEEEE10hipError_tT0_T1_T2_jT3_P12ihipStream_tbPNSt15iterator_traitsISE_E10value_typeEPNSK_ISF_E10value_typeEPSG_NS1_7vsmem_tEENKUlT_SE_SF_SG_E_clIS8_S8_S9_S9_EESD_ST_SE_SF_SG_EUlST_E1_NS1_11comp_targetILNS1_3genE0ELNS1_11target_archE4294967295ELNS1_3gpuE0ELNS1_3repE0EEENS1_36merge_oddeven_config_static_selectorELNS0_4arch9wavefront6targetE0EEEvSF_, .Lfunc_end568-_ZN7rocprim17ROCPRIM_400000_NS6detail17trampoline_kernelINS0_14default_configENS1_38merge_sort_block_merge_config_selectorIsNS0_10empty_typeEEEZZNS1_27merge_sort_block_merge_implIS3_PsPS5_jNS1_19radix_merge_compareILb1ELb1EsNS0_19identity_decomposerEEEEE10hipError_tT0_T1_T2_jT3_P12ihipStream_tbPNSt15iterator_traitsISE_E10value_typeEPNSK_ISF_E10value_typeEPSG_NS1_7vsmem_tEENKUlT_SE_SF_SG_E_clIS8_S8_S9_S9_EESD_ST_SE_SF_SG_EUlST_E1_NS1_11comp_targetILNS1_3genE0ELNS1_11target_archE4294967295ELNS1_3gpuE0ELNS1_3repE0EEENS1_36merge_oddeven_config_static_selectorELNS0_4arch9wavefront6targetE0EEEvSF_
                                        ; -- End function
	.set _ZN7rocprim17ROCPRIM_400000_NS6detail17trampoline_kernelINS0_14default_configENS1_38merge_sort_block_merge_config_selectorIsNS0_10empty_typeEEEZZNS1_27merge_sort_block_merge_implIS3_PsPS5_jNS1_19radix_merge_compareILb1ELb1EsNS0_19identity_decomposerEEEEE10hipError_tT0_T1_T2_jT3_P12ihipStream_tbPNSt15iterator_traitsISE_E10value_typeEPNSK_ISF_E10value_typeEPSG_NS1_7vsmem_tEENKUlT_SE_SF_SG_E_clIS8_S8_S9_S9_EESD_ST_SE_SF_SG_EUlST_E1_NS1_11comp_targetILNS1_3genE0ELNS1_11target_archE4294967295ELNS1_3gpuE0ELNS1_3repE0EEENS1_36merge_oddeven_config_static_selectorELNS0_4arch9wavefront6targetE0EEEvSF_.num_vgpr, 8
	.set _ZN7rocprim17ROCPRIM_400000_NS6detail17trampoline_kernelINS0_14default_configENS1_38merge_sort_block_merge_config_selectorIsNS0_10empty_typeEEEZZNS1_27merge_sort_block_merge_implIS3_PsPS5_jNS1_19radix_merge_compareILb1ELb1EsNS0_19identity_decomposerEEEEE10hipError_tT0_T1_T2_jT3_P12ihipStream_tbPNSt15iterator_traitsISE_E10value_typeEPNSK_ISF_E10value_typeEPSG_NS1_7vsmem_tEENKUlT_SE_SF_SG_E_clIS8_S8_S9_S9_EESD_ST_SE_SF_SG_EUlST_E1_NS1_11comp_targetILNS1_3genE0ELNS1_11target_archE4294967295ELNS1_3gpuE0ELNS1_3repE0EEENS1_36merge_oddeven_config_static_selectorELNS0_4arch9wavefront6targetE0EEEvSF_.num_agpr, 0
	.set _ZN7rocprim17ROCPRIM_400000_NS6detail17trampoline_kernelINS0_14default_configENS1_38merge_sort_block_merge_config_selectorIsNS0_10empty_typeEEEZZNS1_27merge_sort_block_merge_implIS3_PsPS5_jNS1_19radix_merge_compareILb1ELb1EsNS0_19identity_decomposerEEEEE10hipError_tT0_T1_T2_jT3_P12ihipStream_tbPNSt15iterator_traitsISE_E10value_typeEPNSK_ISF_E10value_typeEPSG_NS1_7vsmem_tEENKUlT_SE_SF_SG_E_clIS8_S8_S9_S9_EESD_ST_SE_SF_SG_EUlST_E1_NS1_11comp_targetILNS1_3genE0ELNS1_11target_archE4294967295ELNS1_3gpuE0ELNS1_3repE0EEENS1_36merge_oddeven_config_static_selectorELNS0_4arch9wavefront6targetE0EEEvSF_.numbered_sgpr, 18
	.set _ZN7rocprim17ROCPRIM_400000_NS6detail17trampoline_kernelINS0_14default_configENS1_38merge_sort_block_merge_config_selectorIsNS0_10empty_typeEEEZZNS1_27merge_sort_block_merge_implIS3_PsPS5_jNS1_19radix_merge_compareILb1ELb1EsNS0_19identity_decomposerEEEEE10hipError_tT0_T1_T2_jT3_P12ihipStream_tbPNSt15iterator_traitsISE_E10value_typeEPNSK_ISF_E10value_typeEPSG_NS1_7vsmem_tEENKUlT_SE_SF_SG_E_clIS8_S8_S9_S9_EESD_ST_SE_SF_SG_EUlST_E1_NS1_11comp_targetILNS1_3genE0ELNS1_11target_archE4294967295ELNS1_3gpuE0ELNS1_3repE0EEENS1_36merge_oddeven_config_static_selectorELNS0_4arch9wavefront6targetE0EEEvSF_.num_named_barrier, 0
	.set _ZN7rocprim17ROCPRIM_400000_NS6detail17trampoline_kernelINS0_14default_configENS1_38merge_sort_block_merge_config_selectorIsNS0_10empty_typeEEEZZNS1_27merge_sort_block_merge_implIS3_PsPS5_jNS1_19radix_merge_compareILb1ELb1EsNS0_19identity_decomposerEEEEE10hipError_tT0_T1_T2_jT3_P12ihipStream_tbPNSt15iterator_traitsISE_E10value_typeEPNSK_ISF_E10value_typeEPSG_NS1_7vsmem_tEENKUlT_SE_SF_SG_E_clIS8_S8_S9_S9_EESD_ST_SE_SF_SG_EUlST_E1_NS1_11comp_targetILNS1_3genE0ELNS1_11target_archE4294967295ELNS1_3gpuE0ELNS1_3repE0EEENS1_36merge_oddeven_config_static_selectorELNS0_4arch9wavefront6targetE0EEEvSF_.private_seg_size, 0
	.set _ZN7rocprim17ROCPRIM_400000_NS6detail17trampoline_kernelINS0_14default_configENS1_38merge_sort_block_merge_config_selectorIsNS0_10empty_typeEEEZZNS1_27merge_sort_block_merge_implIS3_PsPS5_jNS1_19radix_merge_compareILb1ELb1EsNS0_19identity_decomposerEEEEE10hipError_tT0_T1_T2_jT3_P12ihipStream_tbPNSt15iterator_traitsISE_E10value_typeEPNSK_ISF_E10value_typeEPSG_NS1_7vsmem_tEENKUlT_SE_SF_SG_E_clIS8_S8_S9_S9_EESD_ST_SE_SF_SG_EUlST_E1_NS1_11comp_targetILNS1_3genE0ELNS1_11target_archE4294967295ELNS1_3gpuE0ELNS1_3repE0EEENS1_36merge_oddeven_config_static_selectorELNS0_4arch9wavefront6targetE0EEEvSF_.uses_vcc, 1
	.set _ZN7rocprim17ROCPRIM_400000_NS6detail17trampoline_kernelINS0_14default_configENS1_38merge_sort_block_merge_config_selectorIsNS0_10empty_typeEEEZZNS1_27merge_sort_block_merge_implIS3_PsPS5_jNS1_19radix_merge_compareILb1ELb1EsNS0_19identity_decomposerEEEEE10hipError_tT0_T1_T2_jT3_P12ihipStream_tbPNSt15iterator_traitsISE_E10value_typeEPNSK_ISF_E10value_typeEPSG_NS1_7vsmem_tEENKUlT_SE_SF_SG_E_clIS8_S8_S9_S9_EESD_ST_SE_SF_SG_EUlST_E1_NS1_11comp_targetILNS1_3genE0ELNS1_11target_archE4294967295ELNS1_3gpuE0ELNS1_3repE0EEENS1_36merge_oddeven_config_static_selectorELNS0_4arch9wavefront6targetE0EEEvSF_.uses_flat_scratch, 0
	.set _ZN7rocprim17ROCPRIM_400000_NS6detail17trampoline_kernelINS0_14default_configENS1_38merge_sort_block_merge_config_selectorIsNS0_10empty_typeEEEZZNS1_27merge_sort_block_merge_implIS3_PsPS5_jNS1_19radix_merge_compareILb1ELb1EsNS0_19identity_decomposerEEEEE10hipError_tT0_T1_T2_jT3_P12ihipStream_tbPNSt15iterator_traitsISE_E10value_typeEPNSK_ISF_E10value_typeEPSG_NS1_7vsmem_tEENKUlT_SE_SF_SG_E_clIS8_S8_S9_S9_EESD_ST_SE_SF_SG_EUlST_E1_NS1_11comp_targetILNS1_3genE0ELNS1_11target_archE4294967295ELNS1_3gpuE0ELNS1_3repE0EEENS1_36merge_oddeven_config_static_selectorELNS0_4arch9wavefront6targetE0EEEvSF_.has_dyn_sized_stack, 0
	.set _ZN7rocprim17ROCPRIM_400000_NS6detail17trampoline_kernelINS0_14default_configENS1_38merge_sort_block_merge_config_selectorIsNS0_10empty_typeEEEZZNS1_27merge_sort_block_merge_implIS3_PsPS5_jNS1_19radix_merge_compareILb1ELb1EsNS0_19identity_decomposerEEEEE10hipError_tT0_T1_T2_jT3_P12ihipStream_tbPNSt15iterator_traitsISE_E10value_typeEPNSK_ISF_E10value_typeEPSG_NS1_7vsmem_tEENKUlT_SE_SF_SG_E_clIS8_S8_S9_S9_EESD_ST_SE_SF_SG_EUlST_E1_NS1_11comp_targetILNS1_3genE0ELNS1_11target_archE4294967295ELNS1_3gpuE0ELNS1_3repE0EEENS1_36merge_oddeven_config_static_selectorELNS0_4arch9wavefront6targetE0EEEvSF_.has_recursion, 0
	.set _ZN7rocprim17ROCPRIM_400000_NS6detail17trampoline_kernelINS0_14default_configENS1_38merge_sort_block_merge_config_selectorIsNS0_10empty_typeEEEZZNS1_27merge_sort_block_merge_implIS3_PsPS5_jNS1_19radix_merge_compareILb1ELb1EsNS0_19identity_decomposerEEEEE10hipError_tT0_T1_T2_jT3_P12ihipStream_tbPNSt15iterator_traitsISE_E10value_typeEPNSK_ISF_E10value_typeEPSG_NS1_7vsmem_tEENKUlT_SE_SF_SG_E_clIS8_S8_S9_S9_EESD_ST_SE_SF_SG_EUlST_E1_NS1_11comp_targetILNS1_3genE0ELNS1_11target_archE4294967295ELNS1_3gpuE0ELNS1_3repE0EEENS1_36merge_oddeven_config_static_selectorELNS0_4arch9wavefront6targetE0EEEvSF_.has_indirect_call, 0
	.section	.AMDGPU.csdata,"",@progbits
; Kernel info:
; codeLenInByte = 688
; TotalNumSgprs: 20
; NumVgprs: 8
; ScratchSize: 0
; MemoryBound: 0
; FloatMode: 240
; IeeeMode: 1
; LDSByteSize: 0 bytes/workgroup (compile time only)
; SGPRBlocks: 0
; VGPRBlocks: 0
; NumSGPRsForWavesPerEU: 20
; NumVGPRsForWavesPerEU: 8
; NamedBarCnt: 0
; Occupancy: 16
; WaveLimiterHint : 0
; COMPUTE_PGM_RSRC2:SCRATCH_EN: 0
; COMPUTE_PGM_RSRC2:USER_SGPR: 2
; COMPUTE_PGM_RSRC2:TRAP_HANDLER: 0
; COMPUTE_PGM_RSRC2:TGID_X_EN: 1
; COMPUTE_PGM_RSRC2:TGID_Y_EN: 0
; COMPUTE_PGM_RSRC2:TGID_Z_EN: 0
; COMPUTE_PGM_RSRC2:TIDIG_COMP_CNT: 0
	.section	.text._ZN7rocprim17ROCPRIM_400000_NS6detail17trampoline_kernelINS0_14default_configENS1_38merge_sort_block_merge_config_selectorIsNS0_10empty_typeEEEZZNS1_27merge_sort_block_merge_implIS3_PsPS5_jNS1_19radix_merge_compareILb1ELb1EsNS0_19identity_decomposerEEEEE10hipError_tT0_T1_T2_jT3_P12ihipStream_tbPNSt15iterator_traitsISE_E10value_typeEPNSK_ISF_E10value_typeEPSG_NS1_7vsmem_tEENKUlT_SE_SF_SG_E_clIS8_S8_S9_S9_EESD_ST_SE_SF_SG_EUlST_E1_NS1_11comp_targetILNS1_3genE10ELNS1_11target_archE1201ELNS1_3gpuE5ELNS1_3repE0EEENS1_36merge_oddeven_config_static_selectorELNS0_4arch9wavefront6targetE0EEEvSF_,"axG",@progbits,_ZN7rocprim17ROCPRIM_400000_NS6detail17trampoline_kernelINS0_14default_configENS1_38merge_sort_block_merge_config_selectorIsNS0_10empty_typeEEEZZNS1_27merge_sort_block_merge_implIS3_PsPS5_jNS1_19radix_merge_compareILb1ELb1EsNS0_19identity_decomposerEEEEE10hipError_tT0_T1_T2_jT3_P12ihipStream_tbPNSt15iterator_traitsISE_E10value_typeEPNSK_ISF_E10value_typeEPSG_NS1_7vsmem_tEENKUlT_SE_SF_SG_E_clIS8_S8_S9_S9_EESD_ST_SE_SF_SG_EUlST_E1_NS1_11comp_targetILNS1_3genE10ELNS1_11target_archE1201ELNS1_3gpuE5ELNS1_3repE0EEENS1_36merge_oddeven_config_static_selectorELNS0_4arch9wavefront6targetE0EEEvSF_,comdat
	.protected	_ZN7rocprim17ROCPRIM_400000_NS6detail17trampoline_kernelINS0_14default_configENS1_38merge_sort_block_merge_config_selectorIsNS0_10empty_typeEEEZZNS1_27merge_sort_block_merge_implIS3_PsPS5_jNS1_19radix_merge_compareILb1ELb1EsNS0_19identity_decomposerEEEEE10hipError_tT0_T1_T2_jT3_P12ihipStream_tbPNSt15iterator_traitsISE_E10value_typeEPNSK_ISF_E10value_typeEPSG_NS1_7vsmem_tEENKUlT_SE_SF_SG_E_clIS8_S8_S9_S9_EESD_ST_SE_SF_SG_EUlST_E1_NS1_11comp_targetILNS1_3genE10ELNS1_11target_archE1201ELNS1_3gpuE5ELNS1_3repE0EEENS1_36merge_oddeven_config_static_selectorELNS0_4arch9wavefront6targetE0EEEvSF_ ; -- Begin function _ZN7rocprim17ROCPRIM_400000_NS6detail17trampoline_kernelINS0_14default_configENS1_38merge_sort_block_merge_config_selectorIsNS0_10empty_typeEEEZZNS1_27merge_sort_block_merge_implIS3_PsPS5_jNS1_19radix_merge_compareILb1ELb1EsNS0_19identity_decomposerEEEEE10hipError_tT0_T1_T2_jT3_P12ihipStream_tbPNSt15iterator_traitsISE_E10value_typeEPNSK_ISF_E10value_typeEPSG_NS1_7vsmem_tEENKUlT_SE_SF_SG_E_clIS8_S8_S9_S9_EESD_ST_SE_SF_SG_EUlST_E1_NS1_11comp_targetILNS1_3genE10ELNS1_11target_archE1201ELNS1_3gpuE5ELNS1_3repE0EEENS1_36merge_oddeven_config_static_selectorELNS0_4arch9wavefront6targetE0EEEvSF_
	.globl	_ZN7rocprim17ROCPRIM_400000_NS6detail17trampoline_kernelINS0_14default_configENS1_38merge_sort_block_merge_config_selectorIsNS0_10empty_typeEEEZZNS1_27merge_sort_block_merge_implIS3_PsPS5_jNS1_19radix_merge_compareILb1ELb1EsNS0_19identity_decomposerEEEEE10hipError_tT0_T1_T2_jT3_P12ihipStream_tbPNSt15iterator_traitsISE_E10value_typeEPNSK_ISF_E10value_typeEPSG_NS1_7vsmem_tEENKUlT_SE_SF_SG_E_clIS8_S8_S9_S9_EESD_ST_SE_SF_SG_EUlST_E1_NS1_11comp_targetILNS1_3genE10ELNS1_11target_archE1201ELNS1_3gpuE5ELNS1_3repE0EEENS1_36merge_oddeven_config_static_selectorELNS0_4arch9wavefront6targetE0EEEvSF_
	.p2align	8
	.type	_ZN7rocprim17ROCPRIM_400000_NS6detail17trampoline_kernelINS0_14default_configENS1_38merge_sort_block_merge_config_selectorIsNS0_10empty_typeEEEZZNS1_27merge_sort_block_merge_implIS3_PsPS5_jNS1_19radix_merge_compareILb1ELb1EsNS0_19identity_decomposerEEEEE10hipError_tT0_T1_T2_jT3_P12ihipStream_tbPNSt15iterator_traitsISE_E10value_typeEPNSK_ISF_E10value_typeEPSG_NS1_7vsmem_tEENKUlT_SE_SF_SG_E_clIS8_S8_S9_S9_EESD_ST_SE_SF_SG_EUlST_E1_NS1_11comp_targetILNS1_3genE10ELNS1_11target_archE1201ELNS1_3gpuE5ELNS1_3repE0EEENS1_36merge_oddeven_config_static_selectorELNS0_4arch9wavefront6targetE0EEEvSF_,@function
_ZN7rocprim17ROCPRIM_400000_NS6detail17trampoline_kernelINS0_14default_configENS1_38merge_sort_block_merge_config_selectorIsNS0_10empty_typeEEEZZNS1_27merge_sort_block_merge_implIS3_PsPS5_jNS1_19radix_merge_compareILb1ELb1EsNS0_19identity_decomposerEEEEE10hipError_tT0_T1_T2_jT3_P12ihipStream_tbPNSt15iterator_traitsISE_E10value_typeEPNSK_ISF_E10value_typeEPSG_NS1_7vsmem_tEENKUlT_SE_SF_SG_E_clIS8_S8_S9_S9_EESD_ST_SE_SF_SG_EUlST_E1_NS1_11comp_targetILNS1_3genE10ELNS1_11target_archE1201ELNS1_3gpuE5ELNS1_3repE0EEENS1_36merge_oddeven_config_static_selectorELNS0_4arch9wavefront6targetE0EEEvSF_: ; @_ZN7rocprim17ROCPRIM_400000_NS6detail17trampoline_kernelINS0_14default_configENS1_38merge_sort_block_merge_config_selectorIsNS0_10empty_typeEEEZZNS1_27merge_sort_block_merge_implIS3_PsPS5_jNS1_19radix_merge_compareILb1ELb1EsNS0_19identity_decomposerEEEEE10hipError_tT0_T1_T2_jT3_P12ihipStream_tbPNSt15iterator_traitsISE_E10value_typeEPNSK_ISF_E10value_typeEPSG_NS1_7vsmem_tEENKUlT_SE_SF_SG_E_clIS8_S8_S9_S9_EESD_ST_SE_SF_SG_EUlST_E1_NS1_11comp_targetILNS1_3genE10ELNS1_11target_archE1201ELNS1_3gpuE5ELNS1_3repE0EEENS1_36merge_oddeven_config_static_selectorELNS0_4arch9wavefront6targetE0EEEvSF_
; %bb.0:
	.section	.rodata,"a",@progbits
	.p2align	6, 0x0
	.amdhsa_kernel _ZN7rocprim17ROCPRIM_400000_NS6detail17trampoline_kernelINS0_14default_configENS1_38merge_sort_block_merge_config_selectorIsNS0_10empty_typeEEEZZNS1_27merge_sort_block_merge_implIS3_PsPS5_jNS1_19radix_merge_compareILb1ELb1EsNS0_19identity_decomposerEEEEE10hipError_tT0_T1_T2_jT3_P12ihipStream_tbPNSt15iterator_traitsISE_E10value_typeEPNSK_ISF_E10value_typeEPSG_NS1_7vsmem_tEENKUlT_SE_SF_SG_E_clIS8_S8_S9_S9_EESD_ST_SE_SF_SG_EUlST_E1_NS1_11comp_targetILNS1_3genE10ELNS1_11target_archE1201ELNS1_3gpuE5ELNS1_3repE0EEENS1_36merge_oddeven_config_static_selectorELNS0_4arch9wavefront6targetE0EEEvSF_
		.amdhsa_group_segment_fixed_size 0
		.amdhsa_private_segment_fixed_size 0
		.amdhsa_kernarg_size 48
		.amdhsa_user_sgpr_count 2
		.amdhsa_user_sgpr_dispatch_ptr 0
		.amdhsa_user_sgpr_queue_ptr 0
		.amdhsa_user_sgpr_kernarg_segment_ptr 1
		.amdhsa_user_sgpr_dispatch_id 0
		.amdhsa_user_sgpr_kernarg_preload_length 0
		.amdhsa_user_sgpr_kernarg_preload_offset 0
		.amdhsa_user_sgpr_private_segment_size 0
		.amdhsa_wavefront_size32 1
		.amdhsa_uses_dynamic_stack 0
		.amdhsa_enable_private_segment 0
		.amdhsa_system_sgpr_workgroup_id_x 1
		.amdhsa_system_sgpr_workgroup_id_y 0
		.amdhsa_system_sgpr_workgroup_id_z 0
		.amdhsa_system_sgpr_workgroup_info 0
		.amdhsa_system_vgpr_workitem_id 0
		.amdhsa_next_free_vgpr 1
		.amdhsa_next_free_sgpr 1
		.amdhsa_named_barrier_count 0
		.amdhsa_reserve_vcc 0
		.amdhsa_float_round_mode_32 0
		.amdhsa_float_round_mode_16_64 0
		.amdhsa_float_denorm_mode_32 3
		.amdhsa_float_denorm_mode_16_64 3
		.amdhsa_fp16_overflow 0
		.amdhsa_memory_ordered 1
		.amdhsa_forward_progress 1
		.amdhsa_inst_pref_size 0
		.amdhsa_round_robin_scheduling 0
		.amdhsa_exception_fp_ieee_invalid_op 0
		.amdhsa_exception_fp_denorm_src 0
		.amdhsa_exception_fp_ieee_div_zero 0
		.amdhsa_exception_fp_ieee_overflow 0
		.amdhsa_exception_fp_ieee_underflow 0
		.amdhsa_exception_fp_ieee_inexact 0
		.amdhsa_exception_int_div_zero 0
	.end_amdhsa_kernel
	.section	.text._ZN7rocprim17ROCPRIM_400000_NS6detail17trampoline_kernelINS0_14default_configENS1_38merge_sort_block_merge_config_selectorIsNS0_10empty_typeEEEZZNS1_27merge_sort_block_merge_implIS3_PsPS5_jNS1_19radix_merge_compareILb1ELb1EsNS0_19identity_decomposerEEEEE10hipError_tT0_T1_T2_jT3_P12ihipStream_tbPNSt15iterator_traitsISE_E10value_typeEPNSK_ISF_E10value_typeEPSG_NS1_7vsmem_tEENKUlT_SE_SF_SG_E_clIS8_S8_S9_S9_EESD_ST_SE_SF_SG_EUlST_E1_NS1_11comp_targetILNS1_3genE10ELNS1_11target_archE1201ELNS1_3gpuE5ELNS1_3repE0EEENS1_36merge_oddeven_config_static_selectorELNS0_4arch9wavefront6targetE0EEEvSF_,"axG",@progbits,_ZN7rocprim17ROCPRIM_400000_NS6detail17trampoline_kernelINS0_14default_configENS1_38merge_sort_block_merge_config_selectorIsNS0_10empty_typeEEEZZNS1_27merge_sort_block_merge_implIS3_PsPS5_jNS1_19radix_merge_compareILb1ELb1EsNS0_19identity_decomposerEEEEE10hipError_tT0_T1_T2_jT3_P12ihipStream_tbPNSt15iterator_traitsISE_E10value_typeEPNSK_ISF_E10value_typeEPSG_NS1_7vsmem_tEENKUlT_SE_SF_SG_E_clIS8_S8_S9_S9_EESD_ST_SE_SF_SG_EUlST_E1_NS1_11comp_targetILNS1_3genE10ELNS1_11target_archE1201ELNS1_3gpuE5ELNS1_3repE0EEENS1_36merge_oddeven_config_static_selectorELNS0_4arch9wavefront6targetE0EEEvSF_,comdat
.Lfunc_end569:
	.size	_ZN7rocprim17ROCPRIM_400000_NS6detail17trampoline_kernelINS0_14default_configENS1_38merge_sort_block_merge_config_selectorIsNS0_10empty_typeEEEZZNS1_27merge_sort_block_merge_implIS3_PsPS5_jNS1_19radix_merge_compareILb1ELb1EsNS0_19identity_decomposerEEEEE10hipError_tT0_T1_T2_jT3_P12ihipStream_tbPNSt15iterator_traitsISE_E10value_typeEPNSK_ISF_E10value_typeEPSG_NS1_7vsmem_tEENKUlT_SE_SF_SG_E_clIS8_S8_S9_S9_EESD_ST_SE_SF_SG_EUlST_E1_NS1_11comp_targetILNS1_3genE10ELNS1_11target_archE1201ELNS1_3gpuE5ELNS1_3repE0EEENS1_36merge_oddeven_config_static_selectorELNS0_4arch9wavefront6targetE0EEEvSF_, .Lfunc_end569-_ZN7rocprim17ROCPRIM_400000_NS6detail17trampoline_kernelINS0_14default_configENS1_38merge_sort_block_merge_config_selectorIsNS0_10empty_typeEEEZZNS1_27merge_sort_block_merge_implIS3_PsPS5_jNS1_19radix_merge_compareILb1ELb1EsNS0_19identity_decomposerEEEEE10hipError_tT0_T1_T2_jT3_P12ihipStream_tbPNSt15iterator_traitsISE_E10value_typeEPNSK_ISF_E10value_typeEPSG_NS1_7vsmem_tEENKUlT_SE_SF_SG_E_clIS8_S8_S9_S9_EESD_ST_SE_SF_SG_EUlST_E1_NS1_11comp_targetILNS1_3genE10ELNS1_11target_archE1201ELNS1_3gpuE5ELNS1_3repE0EEENS1_36merge_oddeven_config_static_selectorELNS0_4arch9wavefront6targetE0EEEvSF_
                                        ; -- End function
	.set _ZN7rocprim17ROCPRIM_400000_NS6detail17trampoline_kernelINS0_14default_configENS1_38merge_sort_block_merge_config_selectorIsNS0_10empty_typeEEEZZNS1_27merge_sort_block_merge_implIS3_PsPS5_jNS1_19radix_merge_compareILb1ELb1EsNS0_19identity_decomposerEEEEE10hipError_tT0_T1_T2_jT3_P12ihipStream_tbPNSt15iterator_traitsISE_E10value_typeEPNSK_ISF_E10value_typeEPSG_NS1_7vsmem_tEENKUlT_SE_SF_SG_E_clIS8_S8_S9_S9_EESD_ST_SE_SF_SG_EUlST_E1_NS1_11comp_targetILNS1_3genE10ELNS1_11target_archE1201ELNS1_3gpuE5ELNS1_3repE0EEENS1_36merge_oddeven_config_static_selectorELNS0_4arch9wavefront6targetE0EEEvSF_.num_vgpr, 0
	.set _ZN7rocprim17ROCPRIM_400000_NS6detail17trampoline_kernelINS0_14default_configENS1_38merge_sort_block_merge_config_selectorIsNS0_10empty_typeEEEZZNS1_27merge_sort_block_merge_implIS3_PsPS5_jNS1_19radix_merge_compareILb1ELb1EsNS0_19identity_decomposerEEEEE10hipError_tT0_T1_T2_jT3_P12ihipStream_tbPNSt15iterator_traitsISE_E10value_typeEPNSK_ISF_E10value_typeEPSG_NS1_7vsmem_tEENKUlT_SE_SF_SG_E_clIS8_S8_S9_S9_EESD_ST_SE_SF_SG_EUlST_E1_NS1_11comp_targetILNS1_3genE10ELNS1_11target_archE1201ELNS1_3gpuE5ELNS1_3repE0EEENS1_36merge_oddeven_config_static_selectorELNS0_4arch9wavefront6targetE0EEEvSF_.num_agpr, 0
	.set _ZN7rocprim17ROCPRIM_400000_NS6detail17trampoline_kernelINS0_14default_configENS1_38merge_sort_block_merge_config_selectorIsNS0_10empty_typeEEEZZNS1_27merge_sort_block_merge_implIS3_PsPS5_jNS1_19radix_merge_compareILb1ELb1EsNS0_19identity_decomposerEEEEE10hipError_tT0_T1_T2_jT3_P12ihipStream_tbPNSt15iterator_traitsISE_E10value_typeEPNSK_ISF_E10value_typeEPSG_NS1_7vsmem_tEENKUlT_SE_SF_SG_E_clIS8_S8_S9_S9_EESD_ST_SE_SF_SG_EUlST_E1_NS1_11comp_targetILNS1_3genE10ELNS1_11target_archE1201ELNS1_3gpuE5ELNS1_3repE0EEENS1_36merge_oddeven_config_static_selectorELNS0_4arch9wavefront6targetE0EEEvSF_.numbered_sgpr, 0
	.set _ZN7rocprim17ROCPRIM_400000_NS6detail17trampoline_kernelINS0_14default_configENS1_38merge_sort_block_merge_config_selectorIsNS0_10empty_typeEEEZZNS1_27merge_sort_block_merge_implIS3_PsPS5_jNS1_19radix_merge_compareILb1ELb1EsNS0_19identity_decomposerEEEEE10hipError_tT0_T1_T2_jT3_P12ihipStream_tbPNSt15iterator_traitsISE_E10value_typeEPNSK_ISF_E10value_typeEPSG_NS1_7vsmem_tEENKUlT_SE_SF_SG_E_clIS8_S8_S9_S9_EESD_ST_SE_SF_SG_EUlST_E1_NS1_11comp_targetILNS1_3genE10ELNS1_11target_archE1201ELNS1_3gpuE5ELNS1_3repE0EEENS1_36merge_oddeven_config_static_selectorELNS0_4arch9wavefront6targetE0EEEvSF_.num_named_barrier, 0
	.set _ZN7rocprim17ROCPRIM_400000_NS6detail17trampoline_kernelINS0_14default_configENS1_38merge_sort_block_merge_config_selectorIsNS0_10empty_typeEEEZZNS1_27merge_sort_block_merge_implIS3_PsPS5_jNS1_19radix_merge_compareILb1ELb1EsNS0_19identity_decomposerEEEEE10hipError_tT0_T1_T2_jT3_P12ihipStream_tbPNSt15iterator_traitsISE_E10value_typeEPNSK_ISF_E10value_typeEPSG_NS1_7vsmem_tEENKUlT_SE_SF_SG_E_clIS8_S8_S9_S9_EESD_ST_SE_SF_SG_EUlST_E1_NS1_11comp_targetILNS1_3genE10ELNS1_11target_archE1201ELNS1_3gpuE5ELNS1_3repE0EEENS1_36merge_oddeven_config_static_selectorELNS0_4arch9wavefront6targetE0EEEvSF_.private_seg_size, 0
	.set _ZN7rocprim17ROCPRIM_400000_NS6detail17trampoline_kernelINS0_14default_configENS1_38merge_sort_block_merge_config_selectorIsNS0_10empty_typeEEEZZNS1_27merge_sort_block_merge_implIS3_PsPS5_jNS1_19radix_merge_compareILb1ELb1EsNS0_19identity_decomposerEEEEE10hipError_tT0_T1_T2_jT3_P12ihipStream_tbPNSt15iterator_traitsISE_E10value_typeEPNSK_ISF_E10value_typeEPSG_NS1_7vsmem_tEENKUlT_SE_SF_SG_E_clIS8_S8_S9_S9_EESD_ST_SE_SF_SG_EUlST_E1_NS1_11comp_targetILNS1_3genE10ELNS1_11target_archE1201ELNS1_3gpuE5ELNS1_3repE0EEENS1_36merge_oddeven_config_static_selectorELNS0_4arch9wavefront6targetE0EEEvSF_.uses_vcc, 0
	.set _ZN7rocprim17ROCPRIM_400000_NS6detail17trampoline_kernelINS0_14default_configENS1_38merge_sort_block_merge_config_selectorIsNS0_10empty_typeEEEZZNS1_27merge_sort_block_merge_implIS3_PsPS5_jNS1_19radix_merge_compareILb1ELb1EsNS0_19identity_decomposerEEEEE10hipError_tT0_T1_T2_jT3_P12ihipStream_tbPNSt15iterator_traitsISE_E10value_typeEPNSK_ISF_E10value_typeEPSG_NS1_7vsmem_tEENKUlT_SE_SF_SG_E_clIS8_S8_S9_S9_EESD_ST_SE_SF_SG_EUlST_E1_NS1_11comp_targetILNS1_3genE10ELNS1_11target_archE1201ELNS1_3gpuE5ELNS1_3repE0EEENS1_36merge_oddeven_config_static_selectorELNS0_4arch9wavefront6targetE0EEEvSF_.uses_flat_scratch, 0
	.set _ZN7rocprim17ROCPRIM_400000_NS6detail17trampoline_kernelINS0_14default_configENS1_38merge_sort_block_merge_config_selectorIsNS0_10empty_typeEEEZZNS1_27merge_sort_block_merge_implIS3_PsPS5_jNS1_19radix_merge_compareILb1ELb1EsNS0_19identity_decomposerEEEEE10hipError_tT0_T1_T2_jT3_P12ihipStream_tbPNSt15iterator_traitsISE_E10value_typeEPNSK_ISF_E10value_typeEPSG_NS1_7vsmem_tEENKUlT_SE_SF_SG_E_clIS8_S8_S9_S9_EESD_ST_SE_SF_SG_EUlST_E1_NS1_11comp_targetILNS1_3genE10ELNS1_11target_archE1201ELNS1_3gpuE5ELNS1_3repE0EEENS1_36merge_oddeven_config_static_selectorELNS0_4arch9wavefront6targetE0EEEvSF_.has_dyn_sized_stack, 0
	.set _ZN7rocprim17ROCPRIM_400000_NS6detail17trampoline_kernelINS0_14default_configENS1_38merge_sort_block_merge_config_selectorIsNS0_10empty_typeEEEZZNS1_27merge_sort_block_merge_implIS3_PsPS5_jNS1_19radix_merge_compareILb1ELb1EsNS0_19identity_decomposerEEEEE10hipError_tT0_T1_T2_jT3_P12ihipStream_tbPNSt15iterator_traitsISE_E10value_typeEPNSK_ISF_E10value_typeEPSG_NS1_7vsmem_tEENKUlT_SE_SF_SG_E_clIS8_S8_S9_S9_EESD_ST_SE_SF_SG_EUlST_E1_NS1_11comp_targetILNS1_3genE10ELNS1_11target_archE1201ELNS1_3gpuE5ELNS1_3repE0EEENS1_36merge_oddeven_config_static_selectorELNS0_4arch9wavefront6targetE0EEEvSF_.has_recursion, 0
	.set _ZN7rocprim17ROCPRIM_400000_NS6detail17trampoline_kernelINS0_14default_configENS1_38merge_sort_block_merge_config_selectorIsNS0_10empty_typeEEEZZNS1_27merge_sort_block_merge_implIS3_PsPS5_jNS1_19radix_merge_compareILb1ELb1EsNS0_19identity_decomposerEEEEE10hipError_tT0_T1_T2_jT3_P12ihipStream_tbPNSt15iterator_traitsISE_E10value_typeEPNSK_ISF_E10value_typeEPSG_NS1_7vsmem_tEENKUlT_SE_SF_SG_E_clIS8_S8_S9_S9_EESD_ST_SE_SF_SG_EUlST_E1_NS1_11comp_targetILNS1_3genE10ELNS1_11target_archE1201ELNS1_3gpuE5ELNS1_3repE0EEENS1_36merge_oddeven_config_static_selectorELNS0_4arch9wavefront6targetE0EEEvSF_.has_indirect_call, 0
	.section	.AMDGPU.csdata,"",@progbits
; Kernel info:
; codeLenInByte = 0
; TotalNumSgprs: 0
; NumVgprs: 0
; ScratchSize: 0
; MemoryBound: 0
; FloatMode: 240
; IeeeMode: 1
; LDSByteSize: 0 bytes/workgroup (compile time only)
; SGPRBlocks: 0
; VGPRBlocks: 0
; NumSGPRsForWavesPerEU: 1
; NumVGPRsForWavesPerEU: 1
; NamedBarCnt: 0
; Occupancy: 16
; WaveLimiterHint : 0
; COMPUTE_PGM_RSRC2:SCRATCH_EN: 0
; COMPUTE_PGM_RSRC2:USER_SGPR: 2
; COMPUTE_PGM_RSRC2:TRAP_HANDLER: 0
; COMPUTE_PGM_RSRC2:TGID_X_EN: 1
; COMPUTE_PGM_RSRC2:TGID_Y_EN: 0
; COMPUTE_PGM_RSRC2:TGID_Z_EN: 0
; COMPUTE_PGM_RSRC2:TIDIG_COMP_CNT: 0
	.section	.text._ZN7rocprim17ROCPRIM_400000_NS6detail17trampoline_kernelINS0_14default_configENS1_38merge_sort_block_merge_config_selectorIsNS0_10empty_typeEEEZZNS1_27merge_sort_block_merge_implIS3_PsPS5_jNS1_19radix_merge_compareILb1ELb1EsNS0_19identity_decomposerEEEEE10hipError_tT0_T1_T2_jT3_P12ihipStream_tbPNSt15iterator_traitsISE_E10value_typeEPNSK_ISF_E10value_typeEPSG_NS1_7vsmem_tEENKUlT_SE_SF_SG_E_clIS8_S8_S9_S9_EESD_ST_SE_SF_SG_EUlST_E1_NS1_11comp_targetILNS1_3genE5ELNS1_11target_archE942ELNS1_3gpuE9ELNS1_3repE0EEENS1_36merge_oddeven_config_static_selectorELNS0_4arch9wavefront6targetE0EEEvSF_,"axG",@progbits,_ZN7rocprim17ROCPRIM_400000_NS6detail17trampoline_kernelINS0_14default_configENS1_38merge_sort_block_merge_config_selectorIsNS0_10empty_typeEEEZZNS1_27merge_sort_block_merge_implIS3_PsPS5_jNS1_19radix_merge_compareILb1ELb1EsNS0_19identity_decomposerEEEEE10hipError_tT0_T1_T2_jT3_P12ihipStream_tbPNSt15iterator_traitsISE_E10value_typeEPNSK_ISF_E10value_typeEPSG_NS1_7vsmem_tEENKUlT_SE_SF_SG_E_clIS8_S8_S9_S9_EESD_ST_SE_SF_SG_EUlST_E1_NS1_11comp_targetILNS1_3genE5ELNS1_11target_archE942ELNS1_3gpuE9ELNS1_3repE0EEENS1_36merge_oddeven_config_static_selectorELNS0_4arch9wavefront6targetE0EEEvSF_,comdat
	.protected	_ZN7rocprim17ROCPRIM_400000_NS6detail17trampoline_kernelINS0_14default_configENS1_38merge_sort_block_merge_config_selectorIsNS0_10empty_typeEEEZZNS1_27merge_sort_block_merge_implIS3_PsPS5_jNS1_19radix_merge_compareILb1ELb1EsNS0_19identity_decomposerEEEEE10hipError_tT0_T1_T2_jT3_P12ihipStream_tbPNSt15iterator_traitsISE_E10value_typeEPNSK_ISF_E10value_typeEPSG_NS1_7vsmem_tEENKUlT_SE_SF_SG_E_clIS8_S8_S9_S9_EESD_ST_SE_SF_SG_EUlST_E1_NS1_11comp_targetILNS1_3genE5ELNS1_11target_archE942ELNS1_3gpuE9ELNS1_3repE0EEENS1_36merge_oddeven_config_static_selectorELNS0_4arch9wavefront6targetE0EEEvSF_ ; -- Begin function _ZN7rocprim17ROCPRIM_400000_NS6detail17trampoline_kernelINS0_14default_configENS1_38merge_sort_block_merge_config_selectorIsNS0_10empty_typeEEEZZNS1_27merge_sort_block_merge_implIS3_PsPS5_jNS1_19radix_merge_compareILb1ELb1EsNS0_19identity_decomposerEEEEE10hipError_tT0_T1_T2_jT3_P12ihipStream_tbPNSt15iterator_traitsISE_E10value_typeEPNSK_ISF_E10value_typeEPSG_NS1_7vsmem_tEENKUlT_SE_SF_SG_E_clIS8_S8_S9_S9_EESD_ST_SE_SF_SG_EUlST_E1_NS1_11comp_targetILNS1_3genE5ELNS1_11target_archE942ELNS1_3gpuE9ELNS1_3repE0EEENS1_36merge_oddeven_config_static_selectorELNS0_4arch9wavefront6targetE0EEEvSF_
	.globl	_ZN7rocprim17ROCPRIM_400000_NS6detail17trampoline_kernelINS0_14default_configENS1_38merge_sort_block_merge_config_selectorIsNS0_10empty_typeEEEZZNS1_27merge_sort_block_merge_implIS3_PsPS5_jNS1_19radix_merge_compareILb1ELb1EsNS0_19identity_decomposerEEEEE10hipError_tT0_T1_T2_jT3_P12ihipStream_tbPNSt15iterator_traitsISE_E10value_typeEPNSK_ISF_E10value_typeEPSG_NS1_7vsmem_tEENKUlT_SE_SF_SG_E_clIS8_S8_S9_S9_EESD_ST_SE_SF_SG_EUlST_E1_NS1_11comp_targetILNS1_3genE5ELNS1_11target_archE942ELNS1_3gpuE9ELNS1_3repE0EEENS1_36merge_oddeven_config_static_selectorELNS0_4arch9wavefront6targetE0EEEvSF_
	.p2align	8
	.type	_ZN7rocprim17ROCPRIM_400000_NS6detail17trampoline_kernelINS0_14default_configENS1_38merge_sort_block_merge_config_selectorIsNS0_10empty_typeEEEZZNS1_27merge_sort_block_merge_implIS3_PsPS5_jNS1_19radix_merge_compareILb1ELb1EsNS0_19identity_decomposerEEEEE10hipError_tT0_T1_T2_jT3_P12ihipStream_tbPNSt15iterator_traitsISE_E10value_typeEPNSK_ISF_E10value_typeEPSG_NS1_7vsmem_tEENKUlT_SE_SF_SG_E_clIS8_S8_S9_S9_EESD_ST_SE_SF_SG_EUlST_E1_NS1_11comp_targetILNS1_3genE5ELNS1_11target_archE942ELNS1_3gpuE9ELNS1_3repE0EEENS1_36merge_oddeven_config_static_selectorELNS0_4arch9wavefront6targetE0EEEvSF_,@function
_ZN7rocprim17ROCPRIM_400000_NS6detail17trampoline_kernelINS0_14default_configENS1_38merge_sort_block_merge_config_selectorIsNS0_10empty_typeEEEZZNS1_27merge_sort_block_merge_implIS3_PsPS5_jNS1_19radix_merge_compareILb1ELb1EsNS0_19identity_decomposerEEEEE10hipError_tT0_T1_T2_jT3_P12ihipStream_tbPNSt15iterator_traitsISE_E10value_typeEPNSK_ISF_E10value_typeEPSG_NS1_7vsmem_tEENKUlT_SE_SF_SG_E_clIS8_S8_S9_S9_EESD_ST_SE_SF_SG_EUlST_E1_NS1_11comp_targetILNS1_3genE5ELNS1_11target_archE942ELNS1_3gpuE9ELNS1_3repE0EEENS1_36merge_oddeven_config_static_selectorELNS0_4arch9wavefront6targetE0EEEvSF_: ; @_ZN7rocprim17ROCPRIM_400000_NS6detail17trampoline_kernelINS0_14default_configENS1_38merge_sort_block_merge_config_selectorIsNS0_10empty_typeEEEZZNS1_27merge_sort_block_merge_implIS3_PsPS5_jNS1_19radix_merge_compareILb1ELb1EsNS0_19identity_decomposerEEEEE10hipError_tT0_T1_T2_jT3_P12ihipStream_tbPNSt15iterator_traitsISE_E10value_typeEPNSK_ISF_E10value_typeEPSG_NS1_7vsmem_tEENKUlT_SE_SF_SG_E_clIS8_S8_S9_S9_EESD_ST_SE_SF_SG_EUlST_E1_NS1_11comp_targetILNS1_3genE5ELNS1_11target_archE942ELNS1_3gpuE9ELNS1_3repE0EEENS1_36merge_oddeven_config_static_selectorELNS0_4arch9wavefront6targetE0EEEvSF_
; %bb.0:
	.section	.rodata,"a",@progbits
	.p2align	6, 0x0
	.amdhsa_kernel _ZN7rocprim17ROCPRIM_400000_NS6detail17trampoline_kernelINS0_14default_configENS1_38merge_sort_block_merge_config_selectorIsNS0_10empty_typeEEEZZNS1_27merge_sort_block_merge_implIS3_PsPS5_jNS1_19radix_merge_compareILb1ELb1EsNS0_19identity_decomposerEEEEE10hipError_tT0_T1_T2_jT3_P12ihipStream_tbPNSt15iterator_traitsISE_E10value_typeEPNSK_ISF_E10value_typeEPSG_NS1_7vsmem_tEENKUlT_SE_SF_SG_E_clIS8_S8_S9_S9_EESD_ST_SE_SF_SG_EUlST_E1_NS1_11comp_targetILNS1_3genE5ELNS1_11target_archE942ELNS1_3gpuE9ELNS1_3repE0EEENS1_36merge_oddeven_config_static_selectorELNS0_4arch9wavefront6targetE0EEEvSF_
		.amdhsa_group_segment_fixed_size 0
		.amdhsa_private_segment_fixed_size 0
		.amdhsa_kernarg_size 48
		.amdhsa_user_sgpr_count 2
		.amdhsa_user_sgpr_dispatch_ptr 0
		.amdhsa_user_sgpr_queue_ptr 0
		.amdhsa_user_sgpr_kernarg_segment_ptr 1
		.amdhsa_user_sgpr_dispatch_id 0
		.amdhsa_user_sgpr_kernarg_preload_length 0
		.amdhsa_user_sgpr_kernarg_preload_offset 0
		.amdhsa_user_sgpr_private_segment_size 0
		.amdhsa_wavefront_size32 1
		.amdhsa_uses_dynamic_stack 0
		.amdhsa_enable_private_segment 0
		.amdhsa_system_sgpr_workgroup_id_x 1
		.amdhsa_system_sgpr_workgroup_id_y 0
		.amdhsa_system_sgpr_workgroup_id_z 0
		.amdhsa_system_sgpr_workgroup_info 0
		.amdhsa_system_vgpr_workitem_id 0
		.amdhsa_next_free_vgpr 1
		.amdhsa_next_free_sgpr 1
		.amdhsa_named_barrier_count 0
		.amdhsa_reserve_vcc 0
		.amdhsa_float_round_mode_32 0
		.amdhsa_float_round_mode_16_64 0
		.amdhsa_float_denorm_mode_32 3
		.amdhsa_float_denorm_mode_16_64 3
		.amdhsa_fp16_overflow 0
		.amdhsa_memory_ordered 1
		.amdhsa_forward_progress 1
		.amdhsa_inst_pref_size 0
		.amdhsa_round_robin_scheduling 0
		.amdhsa_exception_fp_ieee_invalid_op 0
		.amdhsa_exception_fp_denorm_src 0
		.amdhsa_exception_fp_ieee_div_zero 0
		.amdhsa_exception_fp_ieee_overflow 0
		.amdhsa_exception_fp_ieee_underflow 0
		.amdhsa_exception_fp_ieee_inexact 0
		.amdhsa_exception_int_div_zero 0
	.end_amdhsa_kernel
	.section	.text._ZN7rocprim17ROCPRIM_400000_NS6detail17trampoline_kernelINS0_14default_configENS1_38merge_sort_block_merge_config_selectorIsNS0_10empty_typeEEEZZNS1_27merge_sort_block_merge_implIS3_PsPS5_jNS1_19radix_merge_compareILb1ELb1EsNS0_19identity_decomposerEEEEE10hipError_tT0_T1_T2_jT3_P12ihipStream_tbPNSt15iterator_traitsISE_E10value_typeEPNSK_ISF_E10value_typeEPSG_NS1_7vsmem_tEENKUlT_SE_SF_SG_E_clIS8_S8_S9_S9_EESD_ST_SE_SF_SG_EUlST_E1_NS1_11comp_targetILNS1_3genE5ELNS1_11target_archE942ELNS1_3gpuE9ELNS1_3repE0EEENS1_36merge_oddeven_config_static_selectorELNS0_4arch9wavefront6targetE0EEEvSF_,"axG",@progbits,_ZN7rocprim17ROCPRIM_400000_NS6detail17trampoline_kernelINS0_14default_configENS1_38merge_sort_block_merge_config_selectorIsNS0_10empty_typeEEEZZNS1_27merge_sort_block_merge_implIS3_PsPS5_jNS1_19radix_merge_compareILb1ELb1EsNS0_19identity_decomposerEEEEE10hipError_tT0_T1_T2_jT3_P12ihipStream_tbPNSt15iterator_traitsISE_E10value_typeEPNSK_ISF_E10value_typeEPSG_NS1_7vsmem_tEENKUlT_SE_SF_SG_E_clIS8_S8_S9_S9_EESD_ST_SE_SF_SG_EUlST_E1_NS1_11comp_targetILNS1_3genE5ELNS1_11target_archE942ELNS1_3gpuE9ELNS1_3repE0EEENS1_36merge_oddeven_config_static_selectorELNS0_4arch9wavefront6targetE0EEEvSF_,comdat
.Lfunc_end570:
	.size	_ZN7rocprim17ROCPRIM_400000_NS6detail17trampoline_kernelINS0_14default_configENS1_38merge_sort_block_merge_config_selectorIsNS0_10empty_typeEEEZZNS1_27merge_sort_block_merge_implIS3_PsPS5_jNS1_19radix_merge_compareILb1ELb1EsNS0_19identity_decomposerEEEEE10hipError_tT0_T1_T2_jT3_P12ihipStream_tbPNSt15iterator_traitsISE_E10value_typeEPNSK_ISF_E10value_typeEPSG_NS1_7vsmem_tEENKUlT_SE_SF_SG_E_clIS8_S8_S9_S9_EESD_ST_SE_SF_SG_EUlST_E1_NS1_11comp_targetILNS1_3genE5ELNS1_11target_archE942ELNS1_3gpuE9ELNS1_3repE0EEENS1_36merge_oddeven_config_static_selectorELNS0_4arch9wavefront6targetE0EEEvSF_, .Lfunc_end570-_ZN7rocprim17ROCPRIM_400000_NS6detail17trampoline_kernelINS0_14default_configENS1_38merge_sort_block_merge_config_selectorIsNS0_10empty_typeEEEZZNS1_27merge_sort_block_merge_implIS3_PsPS5_jNS1_19radix_merge_compareILb1ELb1EsNS0_19identity_decomposerEEEEE10hipError_tT0_T1_T2_jT3_P12ihipStream_tbPNSt15iterator_traitsISE_E10value_typeEPNSK_ISF_E10value_typeEPSG_NS1_7vsmem_tEENKUlT_SE_SF_SG_E_clIS8_S8_S9_S9_EESD_ST_SE_SF_SG_EUlST_E1_NS1_11comp_targetILNS1_3genE5ELNS1_11target_archE942ELNS1_3gpuE9ELNS1_3repE0EEENS1_36merge_oddeven_config_static_selectorELNS0_4arch9wavefront6targetE0EEEvSF_
                                        ; -- End function
	.set _ZN7rocprim17ROCPRIM_400000_NS6detail17trampoline_kernelINS0_14default_configENS1_38merge_sort_block_merge_config_selectorIsNS0_10empty_typeEEEZZNS1_27merge_sort_block_merge_implIS3_PsPS5_jNS1_19radix_merge_compareILb1ELb1EsNS0_19identity_decomposerEEEEE10hipError_tT0_T1_T2_jT3_P12ihipStream_tbPNSt15iterator_traitsISE_E10value_typeEPNSK_ISF_E10value_typeEPSG_NS1_7vsmem_tEENKUlT_SE_SF_SG_E_clIS8_S8_S9_S9_EESD_ST_SE_SF_SG_EUlST_E1_NS1_11comp_targetILNS1_3genE5ELNS1_11target_archE942ELNS1_3gpuE9ELNS1_3repE0EEENS1_36merge_oddeven_config_static_selectorELNS0_4arch9wavefront6targetE0EEEvSF_.num_vgpr, 0
	.set _ZN7rocprim17ROCPRIM_400000_NS6detail17trampoline_kernelINS0_14default_configENS1_38merge_sort_block_merge_config_selectorIsNS0_10empty_typeEEEZZNS1_27merge_sort_block_merge_implIS3_PsPS5_jNS1_19radix_merge_compareILb1ELb1EsNS0_19identity_decomposerEEEEE10hipError_tT0_T1_T2_jT3_P12ihipStream_tbPNSt15iterator_traitsISE_E10value_typeEPNSK_ISF_E10value_typeEPSG_NS1_7vsmem_tEENKUlT_SE_SF_SG_E_clIS8_S8_S9_S9_EESD_ST_SE_SF_SG_EUlST_E1_NS1_11comp_targetILNS1_3genE5ELNS1_11target_archE942ELNS1_3gpuE9ELNS1_3repE0EEENS1_36merge_oddeven_config_static_selectorELNS0_4arch9wavefront6targetE0EEEvSF_.num_agpr, 0
	.set _ZN7rocprim17ROCPRIM_400000_NS6detail17trampoline_kernelINS0_14default_configENS1_38merge_sort_block_merge_config_selectorIsNS0_10empty_typeEEEZZNS1_27merge_sort_block_merge_implIS3_PsPS5_jNS1_19radix_merge_compareILb1ELb1EsNS0_19identity_decomposerEEEEE10hipError_tT0_T1_T2_jT3_P12ihipStream_tbPNSt15iterator_traitsISE_E10value_typeEPNSK_ISF_E10value_typeEPSG_NS1_7vsmem_tEENKUlT_SE_SF_SG_E_clIS8_S8_S9_S9_EESD_ST_SE_SF_SG_EUlST_E1_NS1_11comp_targetILNS1_3genE5ELNS1_11target_archE942ELNS1_3gpuE9ELNS1_3repE0EEENS1_36merge_oddeven_config_static_selectorELNS0_4arch9wavefront6targetE0EEEvSF_.numbered_sgpr, 0
	.set _ZN7rocprim17ROCPRIM_400000_NS6detail17trampoline_kernelINS0_14default_configENS1_38merge_sort_block_merge_config_selectorIsNS0_10empty_typeEEEZZNS1_27merge_sort_block_merge_implIS3_PsPS5_jNS1_19radix_merge_compareILb1ELb1EsNS0_19identity_decomposerEEEEE10hipError_tT0_T1_T2_jT3_P12ihipStream_tbPNSt15iterator_traitsISE_E10value_typeEPNSK_ISF_E10value_typeEPSG_NS1_7vsmem_tEENKUlT_SE_SF_SG_E_clIS8_S8_S9_S9_EESD_ST_SE_SF_SG_EUlST_E1_NS1_11comp_targetILNS1_3genE5ELNS1_11target_archE942ELNS1_3gpuE9ELNS1_3repE0EEENS1_36merge_oddeven_config_static_selectorELNS0_4arch9wavefront6targetE0EEEvSF_.num_named_barrier, 0
	.set _ZN7rocprim17ROCPRIM_400000_NS6detail17trampoline_kernelINS0_14default_configENS1_38merge_sort_block_merge_config_selectorIsNS0_10empty_typeEEEZZNS1_27merge_sort_block_merge_implIS3_PsPS5_jNS1_19radix_merge_compareILb1ELb1EsNS0_19identity_decomposerEEEEE10hipError_tT0_T1_T2_jT3_P12ihipStream_tbPNSt15iterator_traitsISE_E10value_typeEPNSK_ISF_E10value_typeEPSG_NS1_7vsmem_tEENKUlT_SE_SF_SG_E_clIS8_S8_S9_S9_EESD_ST_SE_SF_SG_EUlST_E1_NS1_11comp_targetILNS1_3genE5ELNS1_11target_archE942ELNS1_3gpuE9ELNS1_3repE0EEENS1_36merge_oddeven_config_static_selectorELNS0_4arch9wavefront6targetE0EEEvSF_.private_seg_size, 0
	.set _ZN7rocprim17ROCPRIM_400000_NS6detail17trampoline_kernelINS0_14default_configENS1_38merge_sort_block_merge_config_selectorIsNS0_10empty_typeEEEZZNS1_27merge_sort_block_merge_implIS3_PsPS5_jNS1_19radix_merge_compareILb1ELb1EsNS0_19identity_decomposerEEEEE10hipError_tT0_T1_T2_jT3_P12ihipStream_tbPNSt15iterator_traitsISE_E10value_typeEPNSK_ISF_E10value_typeEPSG_NS1_7vsmem_tEENKUlT_SE_SF_SG_E_clIS8_S8_S9_S9_EESD_ST_SE_SF_SG_EUlST_E1_NS1_11comp_targetILNS1_3genE5ELNS1_11target_archE942ELNS1_3gpuE9ELNS1_3repE0EEENS1_36merge_oddeven_config_static_selectorELNS0_4arch9wavefront6targetE0EEEvSF_.uses_vcc, 0
	.set _ZN7rocprim17ROCPRIM_400000_NS6detail17trampoline_kernelINS0_14default_configENS1_38merge_sort_block_merge_config_selectorIsNS0_10empty_typeEEEZZNS1_27merge_sort_block_merge_implIS3_PsPS5_jNS1_19radix_merge_compareILb1ELb1EsNS0_19identity_decomposerEEEEE10hipError_tT0_T1_T2_jT3_P12ihipStream_tbPNSt15iterator_traitsISE_E10value_typeEPNSK_ISF_E10value_typeEPSG_NS1_7vsmem_tEENKUlT_SE_SF_SG_E_clIS8_S8_S9_S9_EESD_ST_SE_SF_SG_EUlST_E1_NS1_11comp_targetILNS1_3genE5ELNS1_11target_archE942ELNS1_3gpuE9ELNS1_3repE0EEENS1_36merge_oddeven_config_static_selectorELNS0_4arch9wavefront6targetE0EEEvSF_.uses_flat_scratch, 0
	.set _ZN7rocprim17ROCPRIM_400000_NS6detail17trampoline_kernelINS0_14default_configENS1_38merge_sort_block_merge_config_selectorIsNS0_10empty_typeEEEZZNS1_27merge_sort_block_merge_implIS3_PsPS5_jNS1_19radix_merge_compareILb1ELb1EsNS0_19identity_decomposerEEEEE10hipError_tT0_T1_T2_jT3_P12ihipStream_tbPNSt15iterator_traitsISE_E10value_typeEPNSK_ISF_E10value_typeEPSG_NS1_7vsmem_tEENKUlT_SE_SF_SG_E_clIS8_S8_S9_S9_EESD_ST_SE_SF_SG_EUlST_E1_NS1_11comp_targetILNS1_3genE5ELNS1_11target_archE942ELNS1_3gpuE9ELNS1_3repE0EEENS1_36merge_oddeven_config_static_selectorELNS0_4arch9wavefront6targetE0EEEvSF_.has_dyn_sized_stack, 0
	.set _ZN7rocprim17ROCPRIM_400000_NS6detail17trampoline_kernelINS0_14default_configENS1_38merge_sort_block_merge_config_selectorIsNS0_10empty_typeEEEZZNS1_27merge_sort_block_merge_implIS3_PsPS5_jNS1_19radix_merge_compareILb1ELb1EsNS0_19identity_decomposerEEEEE10hipError_tT0_T1_T2_jT3_P12ihipStream_tbPNSt15iterator_traitsISE_E10value_typeEPNSK_ISF_E10value_typeEPSG_NS1_7vsmem_tEENKUlT_SE_SF_SG_E_clIS8_S8_S9_S9_EESD_ST_SE_SF_SG_EUlST_E1_NS1_11comp_targetILNS1_3genE5ELNS1_11target_archE942ELNS1_3gpuE9ELNS1_3repE0EEENS1_36merge_oddeven_config_static_selectorELNS0_4arch9wavefront6targetE0EEEvSF_.has_recursion, 0
	.set _ZN7rocprim17ROCPRIM_400000_NS6detail17trampoline_kernelINS0_14default_configENS1_38merge_sort_block_merge_config_selectorIsNS0_10empty_typeEEEZZNS1_27merge_sort_block_merge_implIS3_PsPS5_jNS1_19radix_merge_compareILb1ELb1EsNS0_19identity_decomposerEEEEE10hipError_tT0_T1_T2_jT3_P12ihipStream_tbPNSt15iterator_traitsISE_E10value_typeEPNSK_ISF_E10value_typeEPSG_NS1_7vsmem_tEENKUlT_SE_SF_SG_E_clIS8_S8_S9_S9_EESD_ST_SE_SF_SG_EUlST_E1_NS1_11comp_targetILNS1_3genE5ELNS1_11target_archE942ELNS1_3gpuE9ELNS1_3repE0EEENS1_36merge_oddeven_config_static_selectorELNS0_4arch9wavefront6targetE0EEEvSF_.has_indirect_call, 0
	.section	.AMDGPU.csdata,"",@progbits
; Kernel info:
; codeLenInByte = 0
; TotalNumSgprs: 0
; NumVgprs: 0
; ScratchSize: 0
; MemoryBound: 0
; FloatMode: 240
; IeeeMode: 1
; LDSByteSize: 0 bytes/workgroup (compile time only)
; SGPRBlocks: 0
; VGPRBlocks: 0
; NumSGPRsForWavesPerEU: 1
; NumVGPRsForWavesPerEU: 1
; NamedBarCnt: 0
; Occupancy: 16
; WaveLimiterHint : 0
; COMPUTE_PGM_RSRC2:SCRATCH_EN: 0
; COMPUTE_PGM_RSRC2:USER_SGPR: 2
; COMPUTE_PGM_RSRC2:TRAP_HANDLER: 0
; COMPUTE_PGM_RSRC2:TGID_X_EN: 1
; COMPUTE_PGM_RSRC2:TGID_Y_EN: 0
; COMPUTE_PGM_RSRC2:TGID_Z_EN: 0
; COMPUTE_PGM_RSRC2:TIDIG_COMP_CNT: 0
	.section	.text._ZN7rocprim17ROCPRIM_400000_NS6detail17trampoline_kernelINS0_14default_configENS1_38merge_sort_block_merge_config_selectorIsNS0_10empty_typeEEEZZNS1_27merge_sort_block_merge_implIS3_PsPS5_jNS1_19radix_merge_compareILb1ELb1EsNS0_19identity_decomposerEEEEE10hipError_tT0_T1_T2_jT3_P12ihipStream_tbPNSt15iterator_traitsISE_E10value_typeEPNSK_ISF_E10value_typeEPSG_NS1_7vsmem_tEENKUlT_SE_SF_SG_E_clIS8_S8_S9_S9_EESD_ST_SE_SF_SG_EUlST_E1_NS1_11comp_targetILNS1_3genE4ELNS1_11target_archE910ELNS1_3gpuE8ELNS1_3repE0EEENS1_36merge_oddeven_config_static_selectorELNS0_4arch9wavefront6targetE0EEEvSF_,"axG",@progbits,_ZN7rocprim17ROCPRIM_400000_NS6detail17trampoline_kernelINS0_14default_configENS1_38merge_sort_block_merge_config_selectorIsNS0_10empty_typeEEEZZNS1_27merge_sort_block_merge_implIS3_PsPS5_jNS1_19radix_merge_compareILb1ELb1EsNS0_19identity_decomposerEEEEE10hipError_tT0_T1_T2_jT3_P12ihipStream_tbPNSt15iterator_traitsISE_E10value_typeEPNSK_ISF_E10value_typeEPSG_NS1_7vsmem_tEENKUlT_SE_SF_SG_E_clIS8_S8_S9_S9_EESD_ST_SE_SF_SG_EUlST_E1_NS1_11comp_targetILNS1_3genE4ELNS1_11target_archE910ELNS1_3gpuE8ELNS1_3repE0EEENS1_36merge_oddeven_config_static_selectorELNS0_4arch9wavefront6targetE0EEEvSF_,comdat
	.protected	_ZN7rocprim17ROCPRIM_400000_NS6detail17trampoline_kernelINS0_14default_configENS1_38merge_sort_block_merge_config_selectorIsNS0_10empty_typeEEEZZNS1_27merge_sort_block_merge_implIS3_PsPS5_jNS1_19radix_merge_compareILb1ELb1EsNS0_19identity_decomposerEEEEE10hipError_tT0_T1_T2_jT3_P12ihipStream_tbPNSt15iterator_traitsISE_E10value_typeEPNSK_ISF_E10value_typeEPSG_NS1_7vsmem_tEENKUlT_SE_SF_SG_E_clIS8_S8_S9_S9_EESD_ST_SE_SF_SG_EUlST_E1_NS1_11comp_targetILNS1_3genE4ELNS1_11target_archE910ELNS1_3gpuE8ELNS1_3repE0EEENS1_36merge_oddeven_config_static_selectorELNS0_4arch9wavefront6targetE0EEEvSF_ ; -- Begin function _ZN7rocprim17ROCPRIM_400000_NS6detail17trampoline_kernelINS0_14default_configENS1_38merge_sort_block_merge_config_selectorIsNS0_10empty_typeEEEZZNS1_27merge_sort_block_merge_implIS3_PsPS5_jNS1_19radix_merge_compareILb1ELb1EsNS0_19identity_decomposerEEEEE10hipError_tT0_T1_T2_jT3_P12ihipStream_tbPNSt15iterator_traitsISE_E10value_typeEPNSK_ISF_E10value_typeEPSG_NS1_7vsmem_tEENKUlT_SE_SF_SG_E_clIS8_S8_S9_S9_EESD_ST_SE_SF_SG_EUlST_E1_NS1_11comp_targetILNS1_3genE4ELNS1_11target_archE910ELNS1_3gpuE8ELNS1_3repE0EEENS1_36merge_oddeven_config_static_selectorELNS0_4arch9wavefront6targetE0EEEvSF_
	.globl	_ZN7rocprim17ROCPRIM_400000_NS6detail17trampoline_kernelINS0_14default_configENS1_38merge_sort_block_merge_config_selectorIsNS0_10empty_typeEEEZZNS1_27merge_sort_block_merge_implIS3_PsPS5_jNS1_19radix_merge_compareILb1ELb1EsNS0_19identity_decomposerEEEEE10hipError_tT0_T1_T2_jT3_P12ihipStream_tbPNSt15iterator_traitsISE_E10value_typeEPNSK_ISF_E10value_typeEPSG_NS1_7vsmem_tEENKUlT_SE_SF_SG_E_clIS8_S8_S9_S9_EESD_ST_SE_SF_SG_EUlST_E1_NS1_11comp_targetILNS1_3genE4ELNS1_11target_archE910ELNS1_3gpuE8ELNS1_3repE0EEENS1_36merge_oddeven_config_static_selectorELNS0_4arch9wavefront6targetE0EEEvSF_
	.p2align	8
	.type	_ZN7rocprim17ROCPRIM_400000_NS6detail17trampoline_kernelINS0_14default_configENS1_38merge_sort_block_merge_config_selectorIsNS0_10empty_typeEEEZZNS1_27merge_sort_block_merge_implIS3_PsPS5_jNS1_19radix_merge_compareILb1ELb1EsNS0_19identity_decomposerEEEEE10hipError_tT0_T1_T2_jT3_P12ihipStream_tbPNSt15iterator_traitsISE_E10value_typeEPNSK_ISF_E10value_typeEPSG_NS1_7vsmem_tEENKUlT_SE_SF_SG_E_clIS8_S8_S9_S9_EESD_ST_SE_SF_SG_EUlST_E1_NS1_11comp_targetILNS1_3genE4ELNS1_11target_archE910ELNS1_3gpuE8ELNS1_3repE0EEENS1_36merge_oddeven_config_static_selectorELNS0_4arch9wavefront6targetE0EEEvSF_,@function
_ZN7rocprim17ROCPRIM_400000_NS6detail17trampoline_kernelINS0_14default_configENS1_38merge_sort_block_merge_config_selectorIsNS0_10empty_typeEEEZZNS1_27merge_sort_block_merge_implIS3_PsPS5_jNS1_19radix_merge_compareILb1ELb1EsNS0_19identity_decomposerEEEEE10hipError_tT0_T1_T2_jT3_P12ihipStream_tbPNSt15iterator_traitsISE_E10value_typeEPNSK_ISF_E10value_typeEPSG_NS1_7vsmem_tEENKUlT_SE_SF_SG_E_clIS8_S8_S9_S9_EESD_ST_SE_SF_SG_EUlST_E1_NS1_11comp_targetILNS1_3genE4ELNS1_11target_archE910ELNS1_3gpuE8ELNS1_3repE0EEENS1_36merge_oddeven_config_static_selectorELNS0_4arch9wavefront6targetE0EEEvSF_: ; @_ZN7rocprim17ROCPRIM_400000_NS6detail17trampoline_kernelINS0_14default_configENS1_38merge_sort_block_merge_config_selectorIsNS0_10empty_typeEEEZZNS1_27merge_sort_block_merge_implIS3_PsPS5_jNS1_19radix_merge_compareILb1ELb1EsNS0_19identity_decomposerEEEEE10hipError_tT0_T1_T2_jT3_P12ihipStream_tbPNSt15iterator_traitsISE_E10value_typeEPNSK_ISF_E10value_typeEPSG_NS1_7vsmem_tEENKUlT_SE_SF_SG_E_clIS8_S8_S9_S9_EESD_ST_SE_SF_SG_EUlST_E1_NS1_11comp_targetILNS1_3genE4ELNS1_11target_archE910ELNS1_3gpuE8ELNS1_3repE0EEENS1_36merge_oddeven_config_static_selectorELNS0_4arch9wavefront6targetE0EEEvSF_
; %bb.0:
	.section	.rodata,"a",@progbits
	.p2align	6, 0x0
	.amdhsa_kernel _ZN7rocprim17ROCPRIM_400000_NS6detail17trampoline_kernelINS0_14default_configENS1_38merge_sort_block_merge_config_selectorIsNS0_10empty_typeEEEZZNS1_27merge_sort_block_merge_implIS3_PsPS5_jNS1_19radix_merge_compareILb1ELb1EsNS0_19identity_decomposerEEEEE10hipError_tT0_T1_T2_jT3_P12ihipStream_tbPNSt15iterator_traitsISE_E10value_typeEPNSK_ISF_E10value_typeEPSG_NS1_7vsmem_tEENKUlT_SE_SF_SG_E_clIS8_S8_S9_S9_EESD_ST_SE_SF_SG_EUlST_E1_NS1_11comp_targetILNS1_3genE4ELNS1_11target_archE910ELNS1_3gpuE8ELNS1_3repE0EEENS1_36merge_oddeven_config_static_selectorELNS0_4arch9wavefront6targetE0EEEvSF_
		.amdhsa_group_segment_fixed_size 0
		.amdhsa_private_segment_fixed_size 0
		.amdhsa_kernarg_size 48
		.amdhsa_user_sgpr_count 2
		.amdhsa_user_sgpr_dispatch_ptr 0
		.amdhsa_user_sgpr_queue_ptr 0
		.amdhsa_user_sgpr_kernarg_segment_ptr 1
		.amdhsa_user_sgpr_dispatch_id 0
		.amdhsa_user_sgpr_kernarg_preload_length 0
		.amdhsa_user_sgpr_kernarg_preload_offset 0
		.amdhsa_user_sgpr_private_segment_size 0
		.amdhsa_wavefront_size32 1
		.amdhsa_uses_dynamic_stack 0
		.amdhsa_enable_private_segment 0
		.amdhsa_system_sgpr_workgroup_id_x 1
		.amdhsa_system_sgpr_workgroup_id_y 0
		.amdhsa_system_sgpr_workgroup_id_z 0
		.amdhsa_system_sgpr_workgroup_info 0
		.amdhsa_system_vgpr_workitem_id 0
		.amdhsa_next_free_vgpr 1
		.amdhsa_next_free_sgpr 1
		.amdhsa_named_barrier_count 0
		.amdhsa_reserve_vcc 0
		.amdhsa_float_round_mode_32 0
		.amdhsa_float_round_mode_16_64 0
		.amdhsa_float_denorm_mode_32 3
		.amdhsa_float_denorm_mode_16_64 3
		.amdhsa_fp16_overflow 0
		.amdhsa_memory_ordered 1
		.amdhsa_forward_progress 1
		.amdhsa_inst_pref_size 0
		.amdhsa_round_robin_scheduling 0
		.amdhsa_exception_fp_ieee_invalid_op 0
		.amdhsa_exception_fp_denorm_src 0
		.amdhsa_exception_fp_ieee_div_zero 0
		.amdhsa_exception_fp_ieee_overflow 0
		.amdhsa_exception_fp_ieee_underflow 0
		.amdhsa_exception_fp_ieee_inexact 0
		.amdhsa_exception_int_div_zero 0
	.end_amdhsa_kernel
	.section	.text._ZN7rocprim17ROCPRIM_400000_NS6detail17trampoline_kernelINS0_14default_configENS1_38merge_sort_block_merge_config_selectorIsNS0_10empty_typeEEEZZNS1_27merge_sort_block_merge_implIS3_PsPS5_jNS1_19radix_merge_compareILb1ELb1EsNS0_19identity_decomposerEEEEE10hipError_tT0_T1_T2_jT3_P12ihipStream_tbPNSt15iterator_traitsISE_E10value_typeEPNSK_ISF_E10value_typeEPSG_NS1_7vsmem_tEENKUlT_SE_SF_SG_E_clIS8_S8_S9_S9_EESD_ST_SE_SF_SG_EUlST_E1_NS1_11comp_targetILNS1_3genE4ELNS1_11target_archE910ELNS1_3gpuE8ELNS1_3repE0EEENS1_36merge_oddeven_config_static_selectorELNS0_4arch9wavefront6targetE0EEEvSF_,"axG",@progbits,_ZN7rocprim17ROCPRIM_400000_NS6detail17trampoline_kernelINS0_14default_configENS1_38merge_sort_block_merge_config_selectorIsNS0_10empty_typeEEEZZNS1_27merge_sort_block_merge_implIS3_PsPS5_jNS1_19radix_merge_compareILb1ELb1EsNS0_19identity_decomposerEEEEE10hipError_tT0_T1_T2_jT3_P12ihipStream_tbPNSt15iterator_traitsISE_E10value_typeEPNSK_ISF_E10value_typeEPSG_NS1_7vsmem_tEENKUlT_SE_SF_SG_E_clIS8_S8_S9_S9_EESD_ST_SE_SF_SG_EUlST_E1_NS1_11comp_targetILNS1_3genE4ELNS1_11target_archE910ELNS1_3gpuE8ELNS1_3repE0EEENS1_36merge_oddeven_config_static_selectorELNS0_4arch9wavefront6targetE0EEEvSF_,comdat
.Lfunc_end571:
	.size	_ZN7rocprim17ROCPRIM_400000_NS6detail17trampoline_kernelINS0_14default_configENS1_38merge_sort_block_merge_config_selectorIsNS0_10empty_typeEEEZZNS1_27merge_sort_block_merge_implIS3_PsPS5_jNS1_19radix_merge_compareILb1ELb1EsNS0_19identity_decomposerEEEEE10hipError_tT0_T1_T2_jT3_P12ihipStream_tbPNSt15iterator_traitsISE_E10value_typeEPNSK_ISF_E10value_typeEPSG_NS1_7vsmem_tEENKUlT_SE_SF_SG_E_clIS8_S8_S9_S9_EESD_ST_SE_SF_SG_EUlST_E1_NS1_11comp_targetILNS1_3genE4ELNS1_11target_archE910ELNS1_3gpuE8ELNS1_3repE0EEENS1_36merge_oddeven_config_static_selectorELNS0_4arch9wavefront6targetE0EEEvSF_, .Lfunc_end571-_ZN7rocprim17ROCPRIM_400000_NS6detail17trampoline_kernelINS0_14default_configENS1_38merge_sort_block_merge_config_selectorIsNS0_10empty_typeEEEZZNS1_27merge_sort_block_merge_implIS3_PsPS5_jNS1_19radix_merge_compareILb1ELb1EsNS0_19identity_decomposerEEEEE10hipError_tT0_T1_T2_jT3_P12ihipStream_tbPNSt15iterator_traitsISE_E10value_typeEPNSK_ISF_E10value_typeEPSG_NS1_7vsmem_tEENKUlT_SE_SF_SG_E_clIS8_S8_S9_S9_EESD_ST_SE_SF_SG_EUlST_E1_NS1_11comp_targetILNS1_3genE4ELNS1_11target_archE910ELNS1_3gpuE8ELNS1_3repE0EEENS1_36merge_oddeven_config_static_selectorELNS0_4arch9wavefront6targetE0EEEvSF_
                                        ; -- End function
	.set _ZN7rocprim17ROCPRIM_400000_NS6detail17trampoline_kernelINS0_14default_configENS1_38merge_sort_block_merge_config_selectorIsNS0_10empty_typeEEEZZNS1_27merge_sort_block_merge_implIS3_PsPS5_jNS1_19radix_merge_compareILb1ELb1EsNS0_19identity_decomposerEEEEE10hipError_tT0_T1_T2_jT3_P12ihipStream_tbPNSt15iterator_traitsISE_E10value_typeEPNSK_ISF_E10value_typeEPSG_NS1_7vsmem_tEENKUlT_SE_SF_SG_E_clIS8_S8_S9_S9_EESD_ST_SE_SF_SG_EUlST_E1_NS1_11comp_targetILNS1_3genE4ELNS1_11target_archE910ELNS1_3gpuE8ELNS1_3repE0EEENS1_36merge_oddeven_config_static_selectorELNS0_4arch9wavefront6targetE0EEEvSF_.num_vgpr, 0
	.set _ZN7rocprim17ROCPRIM_400000_NS6detail17trampoline_kernelINS0_14default_configENS1_38merge_sort_block_merge_config_selectorIsNS0_10empty_typeEEEZZNS1_27merge_sort_block_merge_implIS3_PsPS5_jNS1_19radix_merge_compareILb1ELb1EsNS0_19identity_decomposerEEEEE10hipError_tT0_T1_T2_jT3_P12ihipStream_tbPNSt15iterator_traitsISE_E10value_typeEPNSK_ISF_E10value_typeEPSG_NS1_7vsmem_tEENKUlT_SE_SF_SG_E_clIS8_S8_S9_S9_EESD_ST_SE_SF_SG_EUlST_E1_NS1_11comp_targetILNS1_3genE4ELNS1_11target_archE910ELNS1_3gpuE8ELNS1_3repE0EEENS1_36merge_oddeven_config_static_selectorELNS0_4arch9wavefront6targetE0EEEvSF_.num_agpr, 0
	.set _ZN7rocprim17ROCPRIM_400000_NS6detail17trampoline_kernelINS0_14default_configENS1_38merge_sort_block_merge_config_selectorIsNS0_10empty_typeEEEZZNS1_27merge_sort_block_merge_implIS3_PsPS5_jNS1_19radix_merge_compareILb1ELb1EsNS0_19identity_decomposerEEEEE10hipError_tT0_T1_T2_jT3_P12ihipStream_tbPNSt15iterator_traitsISE_E10value_typeEPNSK_ISF_E10value_typeEPSG_NS1_7vsmem_tEENKUlT_SE_SF_SG_E_clIS8_S8_S9_S9_EESD_ST_SE_SF_SG_EUlST_E1_NS1_11comp_targetILNS1_3genE4ELNS1_11target_archE910ELNS1_3gpuE8ELNS1_3repE0EEENS1_36merge_oddeven_config_static_selectorELNS0_4arch9wavefront6targetE0EEEvSF_.numbered_sgpr, 0
	.set _ZN7rocprim17ROCPRIM_400000_NS6detail17trampoline_kernelINS0_14default_configENS1_38merge_sort_block_merge_config_selectorIsNS0_10empty_typeEEEZZNS1_27merge_sort_block_merge_implIS3_PsPS5_jNS1_19radix_merge_compareILb1ELb1EsNS0_19identity_decomposerEEEEE10hipError_tT0_T1_T2_jT3_P12ihipStream_tbPNSt15iterator_traitsISE_E10value_typeEPNSK_ISF_E10value_typeEPSG_NS1_7vsmem_tEENKUlT_SE_SF_SG_E_clIS8_S8_S9_S9_EESD_ST_SE_SF_SG_EUlST_E1_NS1_11comp_targetILNS1_3genE4ELNS1_11target_archE910ELNS1_3gpuE8ELNS1_3repE0EEENS1_36merge_oddeven_config_static_selectorELNS0_4arch9wavefront6targetE0EEEvSF_.num_named_barrier, 0
	.set _ZN7rocprim17ROCPRIM_400000_NS6detail17trampoline_kernelINS0_14default_configENS1_38merge_sort_block_merge_config_selectorIsNS0_10empty_typeEEEZZNS1_27merge_sort_block_merge_implIS3_PsPS5_jNS1_19radix_merge_compareILb1ELb1EsNS0_19identity_decomposerEEEEE10hipError_tT0_T1_T2_jT3_P12ihipStream_tbPNSt15iterator_traitsISE_E10value_typeEPNSK_ISF_E10value_typeEPSG_NS1_7vsmem_tEENKUlT_SE_SF_SG_E_clIS8_S8_S9_S9_EESD_ST_SE_SF_SG_EUlST_E1_NS1_11comp_targetILNS1_3genE4ELNS1_11target_archE910ELNS1_3gpuE8ELNS1_3repE0EEENS1_36merge_oddeven_config_static_selectorELNS0_4arch9wavefront6targetE0EEEvSF_.private_seg_size, 0
	.set _ZN7rocprim17ROCPRIM_400000_NS6detail17trampoline_kernelINS0_14default_configENS1_38merge_sort_block_merge_config_selectorIsNS0_10empty_typeEEEZZNS1_27merge_sort_block_merge_implIS3_PsPS5_jNS1_19radix_merge_compareILb1ELb1EsNS0_19identity_decomposerEEEEE10hipError_tT0_T1_T2_jT3_P12ihipStream_tbPNSt15iterator_traitsISE_E10value_typeEPNSK_ISF_E10value_typeEPSG_NS1_7vsmem_tEENKUlT_SE_SF_SG_E_clIS8_S8_S9_S9_EESD_ST_SE_SF_SG_EUlST_E1_NS1_11comp_targetILNS1_3genE4ELNS1_11target_archE910ELNS1_3gpuE8ELNS1_3repE0EEENS1_36merge_oddeven_config_static_selectorELNS0_4arch9wavefront6targetE0EEEvSF_.uses_vcc, 0
	.set _ZN7rocprim17ROCPRIM_400000_NS6detail17trampoline_kernelINS0_14default_configENS1_38merge_sort_block_merge_config_selectorIsNS0_10empty_typeEEEZZNS1_27merge_sort_block_merge_implIS3_PsPS5_jNS1_19radix_merge_compareILb1ELb1EsNS0_19identity_decomposerEEEEE10hipError_tT0_T1_T2_jT3_P12ihipStream_tbPNSt15iterator_traitsISE_E10value_typeEPNSK_ISF_E10value_typeEPSG_NS1_7vsmem_tEENKUlT_SE_SF_SG_E_clIS8_S8_S9_S9_EESD_ST_SE_SF_SG_EUlST_E1_NS1_11comp_targetILNS1_3genE4ELNS1_11target_archE910ELNS1_3gpuE8ELNS1_3repE0EEENS1_36merge_oddeven_config_static_selectorELNS0_4arch9wavefront6targetE0EEEvSF_.uses_flat_scratch, 0
	.set _ZN7rocprim17ROCPRIM_400000_NS6detail17trampoline_kernelINS0_14default_configENS1_38merge_sort_block_merge_config_selectorIsNS0_10empty_typeEEEZZNS1_27merge_sort_block_merge_implIS3_PsPS5_jNS1_19radix_merge_compareILb1ELb1EsNS0_19identity_decomposerEEEEE10hipError_tT0_T1_T2_jT3_P12ihipStream_tbPNSt15iterator_traitsISE_E10value_typeEPNSK_ISF_E10value_typeEPSG_NS1_7vsmem_tEENKUlT_SE_SF_SG_E_clIS8_S8_S9_S9_EESD_ST_SE_SF_SG_EUlST_E1_NS1_11comp_targetILNS1_3genE4ELNS1_11target_archE910ELNS1_3gpuE8ELNS1_3repE0EEENS1_36merge_oddeven_config_static_selectorELNS0_4arch9wavefront6targetE0EEEvSF_.has_dyn_sized_stack, 0
	.set _ZN7rocprim17ROCPRIM_400000_NS6detail17trampoline_kernelINS0_14default_configENS1_38merge_sort_block_merge_config_selectorIsNS0_10empty_typeEEEZZNS1_27merge_sort_block_merge_implIS3_PsPS5_jNS1_19radix_merge_compareILb1ELb1EsNS0_19identity_decomposerEEEEE10hipError_tT0_T1_T2_jT3_P12ihipStream_tbPNSt15iterator_traitsISE_E10value_typeEPNSK_ISF_E10value_typeEPSG_NS1_7vsmem_tEENKUlT_SE_SF_SG_E_clIS8_S8_S9_S9_EESD_ST_SE_SF_SG_EUlST_E1_NS1_11comp_targetILNS1_3genE4ELNS1_11target_archE910ELNS1_3gpuE8ELNS1_3repE0EEENS1_36merge_oddeven_config_static_selectorELNS0_4arch9wavefront6targetE0EEEvSF_.has_recursion, 0
	.set _ZN7rocprim17ROCPRIM_400000_NS6detail17trampoline_kernelINS0_14default_configENS1_38merge_sort_block_merge_config_selectorIsNS0_10empty_typeEEEZZNS1_27merge_sort_block_merge_implIS3_PsPS5_jNS1_19radix_merge_compareILb1ELb1EsNS0_19identity_decomposerEEEEE10hipError_tT0_T1_T2_jT3_P12ihipStream_tbPNSt15iterator_traitsISE_E10value_typeEPNSK_ISF_E10value_typeEPSG_NS1_7vsmem_tEENKUlT_SE_SF_SG_E_clIS8_S8_S9_S9_EESD_ST_SE_SF_SG_EUlST_E1_NS1_11comp_targetILNS1_3genE4ELNS1_11target_archE910ELNS1_3gpuE8ELNS1_3repE0EEENS1_36merge_oddeven_config_static_selectorELNS0_4arch9wavefront6targetE0EEEvSF_.has_indirect_call, 0
	.section	.AMDGPU.csdata,"",@progbits
; Kernel info:
; codeLenInByte = 0
; TotalNumSgprs: 0
; NumVgprs: 0
; ScratchSize: 0
; MemoryBound: 0
; FloatMode: 240
; IeeeMode: 1
; LDSByteSize: 0 bytes/workgroup (compile time only)
; SGPRBlocks: 0
; VGPRBlocks: 0
; NumSGPRsForWavesPerEU: 1
; NumVGPRsForWavesPerEU: 1
; NamedBarCnt: 0
; Occupancy: 16
; WaveLimiterHint : 0
; COMPUTE_PGM_RSRC2:SCRATCH_EN: 0
; COMPUTE_PGM_RSRC2:USER_SGPR: 2
; COMPUTE_PGM_RSRC2:TRAP_HANDLER: 0
; COMPUTE_PGM_RSRC2:TGID_X_EN: 1
; COMPUTE_PGM_RSRC2:TGID_Y_EN: 0
; COMPUTE_PGM_RSRC2:TGID_Z_EN: 0
; COMPUTE_PGM_RSRC2:TIDIG_COMP_CNT: 0
	.section	.text._ZN7rocprim17ROCPRIM_400000_NS6detail17trampoline_kernelINS0_14default_configENS1_38merge_sort_block_merge_config_selectorIsNS0_10empty_typeEEEZZNS1_27merge_sort_block_merge_implIS3_PsPS5_jNS1_19radix_merge_compareILb1ELb1EsNS0_19identity_decomposerEEEEE10hipError_tT0_T1_T2_jT3_P12ihipStream_tbPNSt15iterator_traitsISE_E10value_typeEPNSK_ISF_E10value_typeEPSG_NS1_7vsmem_tEENKUlT_SE_SF_SG_E_clIS8_S8_S9_S9_EESD_ST_SE_SF_SG_EUlST_E1_NS1_11comp_targetILNS1_3genE3ELNS1_11target_archE908ELNS1_3gpuE7ELNS1_3repE0EEENS1_36merge_oddeven_config_static_selectorELNS0_4arch9wavefront6targetE0EEEvSF_,"axG",@progbits,_ZN7rocprim17ROCPRIM_400000_NS6detail17trampoline_kernelINS0_14default_configENS1_38merge_sort_block_merge_config_selectorIsNS0_10empty_typeEEEZZNS1_27merge_sort_block_merge_implIS3_PsPS5_jNS1_19radix_merge_compareILb1ELb1EsNS0_19identity_decomposerEEEEE10hipError_tT0_T1_T2_jT3_P12ihipStream_tbPNSt15iterator_traitsISE_E10value_typeEPNSK_ISF_E10value_typeEPSG_NS1_7vsmem_tEENKUlT_SE_SF_SG_E_clIS8_S8_S9_S9_EESD_ST_SE_SF_SG_EUlST_E1_NS1_11comp_targetILNS1_3genE3ELNS1_11target_archE908ELNS1_3gpuE7ELNS1_3repE0EEENS1_36merge_oddeven_config_static_selectorELNS0_4arch9wavefront6targetE0EEEvSF_,comdat
	.protected	_ZN7rocprim17ROCPRIM_400000_NS6detail17trampoline_kernelINS0_14default_configENS1_38merge_sort_block_merge_config_selectorIsNS0_10empty_typeEEEZZNS1_27merge_sort_block_merge_implIS3_PsPS5_jNS1_19radix_merge_compareILb1ELb1EsNS0_19identity_decomposerEEEEE10hipError_tT0_T1_T2_jT3_P12ihipStream_tbPNSt15iterator_traitsISE_E10value_typeEPNSK_ISF_E10value_typeEPSG_NS1_7vsmem_tEENKUlT_SE_SF_SG_E_clIS8_S8_S9_S9_EESD_ST_SE_SF_SG_EUlST_E1_NS1_11comp_targetILNS1_3genE3ELNS1_11target_archE908ELNS1_3gpuE7ELNS1_3repE0EEENS1_36merge_oddeven_config_static_selectorELNS0_4arch9wavefront6targetE0EEEvSF_ ; -- Begin function _ZN7rocprim17ROCPRIM_400000_NS6detail17trampoline_kernelINS0_14default_configENS1_38merge_sort_block_merge_config_selectorIsNS0_10empty_typeEEEZZNS1_27merge_sort_block_merge_implIS3_PsPS5_jNS1_19radix_merge_compareILb1ELb1EsNS0_19identity_decomposerEEEEE10hipError_tT0_T1_T2_jT3_P12ihipStream_tbPNSt15iterator_traitsISE_E10value_typeEPNSK_ISF_E10value_typeEPSG_NS1_7vsmem_tEENKUlT_SE_SF_SG_E_clIS8_S8_S9_S9_EESD_ST_SE_SF_SG_EUlST_E1_NS1_11comp_targetILNS1_3genE3ELNS1_11target_archE908ELNS1_3gpuE7ELNS1_3repE0EEENS1_36merge_oddeven_config_static_selectorELNS0_4arch9wavefront6targetE0EEEvSF_
	.globl	_ZN7rocprim17ROCPRIM_400000_NS6detail17trampoline_kernelINS0_14default_configENS1_38merge_sort_block_merge_config_selectorIsNS0_10empty_typeEEEZZNS1_27merge_sort_block_merge_implIS3_PsPS5_jNS1_19radix_merge_compareILb1ELb1EsNS0_19identity_decomposerEEEEE10hipError_tT0_T1_T2_jT3_P12ihipStream_tbPNSt15iterator_traitsISE_E10value_typeEPNSK_ISF_E10value_typeEPSG_NS1_7vsmem_tEENKUlT_SE_SF_SG_E_clIS8_S8_S9_S9_EESD_ST_SE_SF_SG_EUlST_E1_NS1_11comp_targetILNS1_3genE3ELNS1_11target_archE908ELNS1_3gpuE7ELNS1_3repE0EEENS1_36merge_oddeven_config_static_selectorELNS0_4arch9wavefront6targetE0EEEvSF_
	.p2align	8
	.type	_ZN7rocprim17ROCPRIM_400000_NS6detail17trampoline_kernelINS0_14default_configENS1_38merge_sort_block_merge_config_selectorIsNS0_10empty_typeEEEZZNS1_27merge_sort_block_merge_implIS3_PsPS5_jNS1_19radix_merge_compareILb1ELb1EsNS0_19identity_decomposerEEEEE10hipError_tT0_T1_T2_jT3_P12ihipStream_tbPNSt15iterator_traitsISE_E10value_typeEPNSK_ISF_E10value_typeEPSG_NS1_7vsmem_tEENKUlT_SE_SF_SG_E_clIS8_S8_S9_S9_EESD_ST_SE_SF_SG_EUlST_E1_NS1_11comp_targetILNS1_3genE3ELNS1_11target_archE908ELNS1_3gpuE7ELNS1_3repE0EEENS1_36merge_oddeven_config_static_selectorELNS0_4arch9wavefront6targetE0EEEvSF_,@function
_ZN7rocprim17ROCPRIM_400000_NS6detail17trampoline_kernelINS0_14default_configENS1_38merge_sort_block_merge_config_selectorIsNS0_10empty_typeEEEZZNS1_27merge_sort_block_merge_implIS3_PsPS5_jNS1_19radix_merge_compareILb1ELb1EsNS0_19identity_decomposerEEEEE10hipError_tT0_T1_T2_jT3_P12ihipStream_tbPNSt15iterator_traitsISE_E10value_typeEPNSK_ISF_E10value_typeEPSG_NS1_7vsmem_tEENKUlT_SE_SF_SG_E_clIS8_S8_S9_S9_EESD_ST_SE_SF_SG_EUlST_E1_NS1_11comp_targetILNS1_3genE3ELNS1_11target_archE908ELNS1_3gpuE7ELNS1_3repE0EEENS1_36merge_oddeven_config_static_selectorELNS0_4arch9wavefront6targetE0EEEvSF_: ; @_ZN7rocprim17ROCPRIM_400000_NS6detail17trampoline_kernelINS0_14default_configENS1_38merge_sort_block_merge_config_selectorIsNS0_10empty_typeEEEZZNS1_27merge_sort_block_merge_implIS3_PsPS5_jNS1_19radix_merge_compareILb1ELb1EsNS0_19identity_decomposerEEEEE10hipError_tT0_T1_T2_jT3_P12ihipStream_tbPNSt15iterator_traitsISE_E10value_typeEPNSK_ISF_E10value_typeEPSG_NS1_7vsmem_tEENKUlT_SE_SF_SG_E_clIS8_S8_S9_S9_EESD_ST_SE_SF_SG_EUlST_E1_NS1_11comp_targetILNS1_3genE3ELNS1_11target_archE908ELNS1_3gpuE7ELNS1_3repE0EEENS1_36merge_oddeven_config_static_selectorELNS0_4arch9wavefront6targetE0EEEvSF_
; %bb.0:
	.section	.rodata,"a",@progbits
	.p2align	6, 0x0
	.amdhsa_kernel _ZN7rocprim17ROCPRIM_400000_NS6detail17trampoline_kernelINS0_14default_configENS1_38merge_sort_block_merge_config_selectorIsNS0_10empty_typeEEEZZNS1_27merge_sort_block_merge_implIS3_PsPS5_jNS1_19radix_merge_compareILb1ELb1EsNS0_19identity_decomposerEEEEE10hipError_tT0_T1_T2_jT3_P12ihipStream_tbPNSt15iterator_traitsISE_E10value_typeEPNSK_ISF_E10value_typeEPSG_NS1_7vsmem_tEENKUlT_SE_SF_SG_E_clIS8_S8_S9_S9_EESD_ST_SE_SF_SG_EUlST_E1_NS1_11comp_targetILNS1_3genE3ELNS1_11target_archE908ELNS1_3gpuE7ELNS1_3repE0EEENS1_36merge_oddeven_config_static_selectorELNS0_4arch9wavefront6targetE0EEEvSF_
		.amdhsa_group_segment_fixed_size 0
		.amdhsa_private_segment_fixed_size 0
		.amdhsa_kernarg_size 48
		.amdhsa_user_sgpr_count 2
		.amdhsa_user_sgpr_dispatch_ptr 0
		.amdhsa_user_sgpr_queue_ptr 0
		.amdhsa_user_sgpr_kernarg_segment_ptr 1
		.amdhsa_user_sgpr_dispatch_id 0
		.amdhsa_user_sgpr_kernarg_preload_length 0
		.amdhsa_user_sgpr_kernarg_preload_offset 0
		.amdhsa_user_sgpr_private_segment_size 0
		.amdhsa_wavefront_size32 1
		.amdhsa_uses_dynamic_stack 0
		.amdhsa_enable_private_segment 0
		.amdhsa_system_sgpr_workgroup_id_x 1
		.amdhsa_system_sgpr_workgroup_id_y 0
		.amdhsa_system_sgpr_workgroup_id_z 0
		.amdhsa_system_sgpr_workgroup_info 0
		.amdhsa_system_vgpr_workitem_id 0
		.amdhsa_next_free_vgpr 1
		.amdhsa_next_free_sgpr 1
		.amdhsa_named_barrier_count 0
		.amdhsa_reserve_vcc 0
		.amdhsa_float_round_mode_32 0
		.amdhsa_float_round_mode_16_64 0
		.amdhsa_float_denorm_mode_32 3
		.amdhsa_float_denorm_mode_16_64 3
		.amdhsa_fp16_overflow 0
		.amdhsa_memory_ordered 1
		.amdhsa_forward_progress 1
		.amdhsa_inst_pref_size 0
		.amdhsa_round_robin_scheduling 0
		.amdhsa_exception_fp_ieee_invalid_op 0
		.amdhsa_exception_fp_denorm_src 0
		.amdhsa_exception_fp_ieee_div_zero 0
		.amdhsa_exception_fp_ieee_overflow 0
		.amdhsa_exception_fp_ieee_underflow 0
		.amdhsa_exception_fp_ieee_inexact 0
		.amdhsa_exception_int_div_zero 0
	.end_amdhsa_kernel
	.section	.text._ZN7rocprim17ROCPRIM_400000_NS6detail17trampoline_kernelINS0_14default_configENS1_38merge_sort_block_merge_config_selectorIsNS0_10empty_typeEEEZZNS1_27merge_sort_block_merge_implIS3_PsPS5_jNS1_19radix_merge_compareILb1ELb1EsNS0_19identity_decomposerEEEEE10hipError_tT0_T1_T2_jT3_P12ihipStream_tbPNSt15iterator_traitsISE_E10value_typeEPNSK_ISF_E10value_typeEPSG_NS1_7vsmem_tEENKUlT_SE_SF_SG_E_clIS8_S8_S9_S9_EESD_ST_SE_SF_SG_EUlST_E1_NS1_11comp_targetILNS1_3genE3ELNS1_11target_archE908ELNS1_3gpuE7ELNS1_3repE0EEENS1_36merge_oddeven_config_static_selectorELNS0_4arch9wavefront6targetE0EEEvSF_,"axG",@progbits,_ZN7rocprim17ROCPRIM_400000_NS6detail17trampoline_kernelINS0_14default_configENS1_38merge_sort_block_merge_config_selectorIsNS0_10empty_typeEEEZZNS1_27merge_sort_block_merge_implIS3_PsPS5_jNS1_19radix_merge_compareILb1ELb1EsNS0_19identity_decomposerEEEEE10hipError_tT0_T1_T2_jT3_P12ihipStream_tbPNSt15iterator_traitsISE_E10value_typeEPNSK_ISF_E10value_typeEPSG_NS1_7vsmem_tEENKUlT_SE_SF_SG_E_clIS8_S8_S9_S9_EESD_ST_SE_SF_SG_EUlST_E1_NS1_11comp_targetILNS1_3genE3ELNS1_11target_archE908ELNS1_3gpuE7ELNS1_3repE0EEENS1_36merge_oddeven_config_static_selectorELNS0_4arch9wavefront6targetE0EEEvSF_,comdat
.Lfunc_end572:
	.size	_ZN7rocprim17ROCPRIM_400000_NS6detail17trampoline_kernelINS0_14default_configENS1_38merge_sort_block_merge_config_selectorIsNS0_10empty_typeEEEZZNS1_27merge_sort_block_merge_implIS3_PsPS5_jNS1_19radix_merge_compareILb1ELb1EsNS0_19identity_decomposerEEEEE10hipError_tT0_T1_T2_jT3_P12ihipStream_tbPNSt15iterator_traitsISE_E10value_typeEPNSK_ISF_E10value_typeEPSG_NS1_7vsmem_tEENKUlT_SE_SF_SG_E_clIS8_S8_S9_S9_EESD_ST_SE_SF_SG_EUlST_E1_NS1_11comp_targetILNS1_3genE3ELNS1_11target_archE908ELNS1_3gpuE7ELNS1_3repE0EEENS1_36merge_oddeven_config_static_selectorELNS0_4arch9wavefront6targetE0EEEvSF_, .Lfunc_end572-_ZN7rocprim17ROCPRIM_400000_NS6detail17trampoline_kernelINS0_14default_configENS1_38merge_sort_block_merge_config_selectorIsNS0_10empty_typeEEEZZNS1_27merge_sort_block_merge_implIS3_PsPS5_jNS1_19radix_merge_compareILb1ELb1EsNS0_19identity_decomposerEEEEE10hipError_tT0_T1_T2_jT3_P12ihipStream_tbPNSt15iterator_traitsISE_E10value_typeEPNSK_ISF_E10value_typeEPSG_NS1_7vsmem_tEENKUlT_SE_SF_SG_E_clIS8_S8_S9_S9_EESD_ST_SE_SF_SG_EUlST_E1_NS1_11comp_targetILNS1_3genE3ELNS1_11target_archE908ELNS1_3gpuE7ELNS1_3repE0EEENS1_36merge_oddeven_config_static_selectorELNS0_4arch9wavefront6targetE0EEEvSF_
                                        ; -- End function
	.set _ZN7rocprim17ROCPRIM_400000_NS6detail17trampoline_kernelINS0_14default_configENS1_38merge_sort_block_merge_config_selectorIsNS0_10empty_typeEEEZZNS1_27merge_sort_block_merge_implIS3_PsPS5_jNS1_19radix_merge_compareILb1ELb1EsNS0_19identity_decomposerEEEEE10hipError_tT0_T1_T2_jT3_P12ihipStream_tbPNSt15iterator_traitsISE_E10value_typeEPNSK_ISF_E10value_typeEPSG_NS1_7vsmem_tEENKUlT_SE_SF_SG_E_clIS8_S8_S9_S9_EESD_ST_SE_SF_SG_EUlST_E1_NS1_11comp_targetILNS1_3genE3ELNS1_11target_archE908ELNS1_3gpuE7ELNS1_3repE0EEENS1_36merge_oddeven_config_static_selectorELNS0_4arch9wavefront6targetE0EEEvSF_.num_vgpr, 0
	.set _ZN7rocprim17ROCPRIM_400000_NS6detail17trampoline_kernelINS0_14default_configENS1_38merge_sort_block_merge_config_selectorIsNS0_10empty_typeEEEZZNS1_27merge_sort_block_merge_implIS3_PsPS5_jNS1_19radix_merge_compareILb1ELb1EsNS0_19identity_decomposerEEEEE10hipError_tT0_T1_T2_jT3_P12ihipStream_tbPNSt15iterator_traitsISE_E10value_typeEPNSK_ISF_E10value_typeEPSG_NS1_7vsmem_tEENKUlT_SE_SF_SG_E_clIS8_S8_S9_S9_EESD_ST_SE_SF_SG_EUlST_E1_NS1_11comp_targetILNS1_3genE3ELNS1_11target_archE908ELNS1_3gpuE7ELNS1_3repE0EEENS1_36merge_oddeven_config_static_selectorELNS0_4arch9wavefront6targetE0EEEvSF_.num_agpr, 0
	.set _ZN7rocprim17ROCPRIM_400000_NS6detail17trampoline_kernelINS0_14default_configENS1_38merge_sort_block_merge_config_selectorIsNS0_10empty_typeEEEZZNS1_27merge_sort_block_merge_implIS3_PsPS5_jNS1_19radix_merge_compareILb1ELb1EsNS0_19identity_decomposerEEEEE10hipError_tT0_T1_T2_jT3_P12ihipStream_tbPNSt15iterator_traitsISE_E10value_typeEPNSK_ISF_E10value_typeEPSG_NS1_7vsmem_tEENKUlT_SE_SF_SG_E_clIS8_S8_S9_S9_EESD_ST_SE_SF_SG_EUlST_E1_NS1_11comp_targetILNS1_3genE3ELNS1_11target_archE908ELNS1_3gpuE7ELNS1_3repE0EEENS1_36merge_oddeven_config_static_selectorELNS0_4arch9wavefront6targetE0EEEvSF_.numbered_sgpr, 0
	.set _ZN7rocprim17ROCPRIM_400000_NS6detail17trampoline_kernelINS0_14default_configENS1_38merge_sort_block_merge_config_selectorIsNS0_10empty_typeEEEZZNS1_27merge_sort_block_merge_implIS3_PsPS5_jNS1_19radix_merge_compareILb1ELb1EsNS0_19identity_decomposerEEEEE10hipError_tT0_T1_T2_jT3_P12ihipStream_tbPNSt15iterator_traitsISE_E10value_typeEPNSK_ISF_E10value_typeEPSG_NS1_7vsmem_tEENKUlT_SE_SF_SG_E_clIS8_S8_S9_S9_EESD_ST_SE_SF_SG_EUlST_E1_NS1_11comp_targetILNS1_3genE3ELNS1_11target_archE908ELNS1_3gpuE7ELNS1_3repE0EEENS1_36merge_oddeven_config_static_selectorELNS0_4arch9wavefront6targetE0EEEvSF_.num_named_barrier, 0
	.set _ZN7rocprim17ROCPRIM_400000_NS6detail17trampoline_kernelINS0_14default_configENS1_38merge_sort_block_merge_config_selectorIsNS0_10empty_typeEEEZZNS1_27merge_sort_block_merge_implIS3_PsPS5_jNS1_19radix_merge_compareILb1ELb1EsNS0_19identity_decomposerEEEEE10hipError_tT0_T1_T2_jT3_P12ihipStream_tbPNSt15iterator_traitsISE_E10value_typeEPNSK_ISF_E10value_typeEPSG_NS1_7vsmem_tEENKUlT_SE_SF_SG_E_clIS8_S8_S9_S9_EESD_ST_SE_SF_SG_EUlST_E1_NS1_11comp_targetILNS1_3genE3ELNS1_11target_archE908ELNS1_3gpuE7ELNS1_3repE0EEENS1_36merge_oddeven_config_static_selectorELNS0_4arch9wavefront6targetE0EEEvSF_.private_seg_size, 0
	.set _ZN7rocprim17ROCPRIM_400000_NS6detail17trampoline_kernelINS0_14default_configENS1_38merge_sort_block_merge_config_selectorIsNS0_10empty_typeEEEZZNS1_27merge_sort_block_merge_implIS3_PsPS5_jNS1_19radix_merge_compareILb1ELb1EsNS0_19identity_decomposerEEEEE10hipError_tT0_T1_T2_jT3_P12ihipStream_tbPNSt15iterator_traitsISE_E10value_typeEPNSK_ISF_E10value_typeEPSG_NS1_7vsmem_tEENKUlT_SE_SF_SG_E_clIS8_S8_S9_S9_EESD_ST_SE_SF_SG_EUlST_E1_NS1_11comp_targetILNS1_3genE3ELNS1_11target_archE908ELNS1_3gpuE7ELNS1_3repE0EEENS1_36merge_oddeven_config_static_selectorELNS0_4arch9wavefront6targetE0EEEvSF_.uses_vcc, 0
	.set _ZN7rocprim17ROCPRIM_400000_NS6detail17trampoline_kernelINS0_14default_configENS1_38merge_sort_block_merge_config_selectorIsNS0_10empty_typeEEEZZNS1_27merge_sort_block_merge_implIS3_PsPS5_jNS1_19radix_merge_compareILb1ELb1EsNS0_19identity_decomposerEEEEE10hipError_tT0_T1_T2_jT3_P12ihipStream_tbPNSt15iterator_traitsISE_E10value_typeEPNSK_ISF_E10value_typeEPSG_NS1_7vsmem_tEENKUlT_SE_SF_SG_E_clIS8_S8_S9_S9_EESD_ST_SE_SF_SG_EUlST_E1_NS1_11comp_targetILNS1_3genE3ELNS1_11target_archE908ELNS1_3gpuE7ELNS1_3repE0EEENS1_36merge_oddeven_config_static_selectorELNS0_4arch9wavefront6targetE0EEEvSF_.uses_flat_scratch, 0
	.set _ZN7rocprim17ROCPRIM_400000_NS6detail17trampoline_kernelINS0_14default_configENS1_38merge_sort_block_merge_config_selectorIsNS0_10empty_typeEEEZZNS1_27merge_sort_block_merge_implIS3_PsPS5_jNS1_19radix_merge_compareILb1ELb1EsNS0_19identity_decomposerEEEEE10hipError_tT0_T1_T2_jT3_P12ihipStream_tbPNSt15iterator_traitsISE_E10value_typeEPNSK_ISF_E10value_typeEPSG_NS1_7vsmem_tEENKUlT_SE_SF_SG_E_clIS8_S8_S9_S9_EESD_ST_SE_SF_SG_EUlST_E1_NS1_11comp_targetILNS1_3genE3ELNS1_11target_archE908ELNS1_3gpuE7ELNS1_3repE0EEENS1_36merge_oddeven_config_static_selectorELNS0_4arch9wavefront6targetE0EEEvSF_.has_dyn_sized_stack, 0
	.set _ZN7rocprim17ROCPRIM_400000_NS6detail17trampoline_kernelINS0_14default_configENS1_38merge_sort_block_merge_config_selectorIsNS0_10empty_typeEEEZZNS1_27merge_sort_block_merge_implIS3_PsPS5_jNS1_19radix_merge_compareILb1ELb1EsNS0_19identity_decomposerEEEEE10hipError_tT0_T1_T2_jT3_P12ihipStream_tbPNSt15iterator_traitsISE_E10value_typeEPNSK_ISF_E10value_typeEPSG_NS1_7vsmem_tEENKUlT_SE_SF_SG_E_clIS8_S8_S9_S9_EESD_ST_SE_SF_SG_EUlST_E1_NS1_11comp_targetILNS1_3genE3ELNS1_11target_archE908ELNS1_3gpuE7ELNS1_3repE0EEENS1_36merge_oddeven_config_static_selectorELNS0_4arch9wavefront6targetE0EEEvSF_.has_recursion, 0
	.set _ZN7rocprim17ROCPRIM_400000_NS6detail17trampoline_kernelINS0_14default_configENS1_38merge_sort_block_merge_config_selectorIsNS0_10empty_typeEEEZZNS1_27merge_sort_block_merge_implIS3_PsPS5_jNS1_19radix_merge_compareILb1ELb1EsNS0_19identity_decomposerEEEEE10hipError_tT0_T1_T2_jT3_P12ihipStream_tbPNSt15iterator_traitsISE_E10value_typeEPNSK_ISF_E10value_typeEPSG_NS1_7vsmem_tEENKUlT_SE_SF_SG_E_clIS8_S8_S9_S9_EESD_ST_SE_SF_SG_EUlST_E1_NS1_11comp_targetILNS1_3genE3ELNS1_11target_archE908ELNS1_3gpuE7ELNS1_3repE0EEENS1_36merge_oddeven_config_static_selectorELNS0_4arch9wavefront6targetE0EEEvSF_.has_indirect_call, 0
	.section	.AMDGPU.csdata,"",@progbits
; Kernel info:
; codeLenInByte = 0
; TotalNumSgprs: 0
; NumVgprs: 0
; ScratchSize: 0
; MemoryBound: 0
; FloatMode: 240
; IeeeMode: 1
; LDSByteSize: 0 bytes/workgroup (compile time only)
; SGPRBlocks: 0
; VGPRBlocks: 0
; NumSGPRsForWavesPerEU: 1
; NumVGPRsForWavesPerEU: 1
; NamedBarCnt: 0
; Occupancy: 16
; WaveLimiterHint : 0
; COMPUTE_PGM_RSRC2:SCRATCH_EN: 0
; COMPUTE_PGM_RSRC2:USER_SGPR: 2
; COMPUTE_PGM_RSRC2:TRAP_HANDLER: 0
; COMPUTE_PGM_RSRC2:TGID_X_EN: 1
; COMPUTE_PGM_RSRC2:TGID_Y_EN: 0
; COMPUTE_PGM_RSRC2:TGID_Z_EN: 0
; COMPUTE_PGM_RSRC2:TIDIG_COMP_CNT: 0
	.section	.text._ZN7rocprim17ROCPRIM_400000_NS6detail17trampoline_kernelINS0_14default_configENS1_38merge_sort_block_merge_config_selectorIsNS0_10empty_typeEEEZZNS1_27merge_sort_block_merge_implIS3_PsPS5_jNS1_19radix_merge_compareILb1ELb1EsNS0_19identity_decomposerEEEEE10hipError_tT0_T1_T2_jT3_P12ihipStream_tbPNSt15iterator_traitsISE_E10value_typeEPNSK_ISF_E10value_typeEPSG_NS1_7vsmem_tEENKUlT_SE_SF_SG_E_clIS8_S8_S9_S9_EESD_ST_SE_SF_SG_EUlST_E1_NS1_11comp_targetILNS1_3genE2ELNS1_11target_archE906ELNS1_3gpuE6ELNS1_3repE0EEENS1_36merge_oddeven_config_static_selectorELNS0_4arch9wavefront6targetE0EEEvSF_,"axG",@progbits,_ZN7rocprim17ROCPRIM_400000_NS6detail17trampoline_kernelINS0_14default_configENS1_38merge_sort_block_merge_config_selectorIsNS0_10empty_typeEEEZZNS1_27merge_sort_block_merge_implIS3_PsPS5_jNS1_19radix_merge_compareILb1ELb1EsNS0_19identity_decomposerEEEEE10hipError_tT0_T1_T2_jT3_P12ihipStream_tbPNSt15iterator_traitsISE_E10value_typeEPNSK_ISF_E10value_typeEPSG_NS1_7vsmem_tEENKUlT_SE_SF_SG_E_clIS8_S8_S9_S9_EESD_ST_SE_SF_SG_EUlST_E1_NS1_11comp_targetILNS1_3genE2ELNS1_11target_archE906ELNS1_3gpuE6ELNS1_3repE0EEENS1_36merge_oddeven_config_static_selectorELNS0_4arch9wavefront6targetE0EEEvSF_,comdat
	.protected	_ZN7rocprim17ROCPRIM_400000_NS6detail17trampoline_kernelINS0_14default_configENS1_38merge_sort_block_merge_config_selectorIsNS0_10empty_typeEEEZZNS1_27merge_sort_block_merge_implIS3_PsPS5_jNS1_19radix_merge_compareILb1ELb1EsNS0_19identity_decomposerEEEEE10hipError_tT0_T1_T2_jT3_P12ihipStream_tbPNSt15iterator_traitsISE_E10value_typeEPNSK_ISF_E10value_typeEPSG_NS1_7vsmem_tEENKUlT_SE_SF_SG_E_clIS8_S8_S9_S9_EESD_ST_SE_SF_SG_EUlST_E1_NS1_11comp_targetILNS1_3genE2ELNS1_11target_archE906ELNS1_3gpuE6ELNS1_3repE0EEENS1_36merge_oddeven_config_static_selectorELNS0_4arch9wavefront6targetE0EEEvSF_ ; -- Begin function _ZN7rocprim17ROCPRIM_400000_NS6detail17trampoline_kernelINS0_14default_configENS1_38merge_sort_block_merge_config_selectorIsNS0_10empty_typeEEEZZNS1_27merge_sort_block_merge_implIS3_PsPS5_jNS1_19radix_merge_compareILb1ELb1EsNS0_19identity_decomposerEEEEE10hipError_tT0_T1_T2_jT3_P12ihipStream_tbPNSt15iterator_traitsISE_E10value_typeEPNSK_ISF_E10value_typeEPSG_NS1_7vsmem_tEENKUlT_SE_SF_SG_E_clIS8_S8_S9_S9_EESD_ST_SE_SF_SG_EUlST_E1_NS1_11comp_targetILNS1_3genE2ELNS1_11target_archE906ELNS1_3gpuE6ELNS1_3repE0EEENS1_36merge_oddeven_config_static_selectorELNS0_4arch9wavefront6targetE0EEEvSF_
	.globl	_ZN7rocprim17ROCPRIM_400000_NS6detail17trampoline_kernelINS0_14default_configENS1_38merge_sort_block_merge_config_selectorIsNS0_10empty_typeEEEZZNS1_27merge_sort_block_merge_implIS3_PsPS5_jNS1_19radix_merge_compareILb1ELb1EsNS0_19identity_decomposerEEEEE10hipError_tT0_T1_T2_jT3_P12ihipStream_tbPNSt15iterator_traitsISE_E10value_typeEPNSK_ISF_E10value_typeEPSG_NS1_7vsmem_tEENKUlT_SE_SF_SG_E_clIS8_S8_S9_S9_EESD_ST_SE_SF_SG_EUlST_E1_NS1_11comp_targetILNS1_3genE2ELNS1_11target_archE906ELNS1_3gpuE6ELNS1_3repE0EEENS1_36merge_oddeven_config_static_selectorELNS0_4arch9wavefront6targetE0EEEvSF_
	.p2align	8
	.type	_ZN7rocprim17ROCPRIM_400000_NS6detail17trampoline_kernelINS0_14default_configENS1_38merge_sort_block_merge_config_selectorIsNS0_10empty_typeEEEZZNS1_27merge_sort_block_merge_implIS3_PsPS5_jNS1_19radix_merge_compareILb1ELb1EsNS0_19identity_decomposerEEEEE10hipError_tT0_T1_T2_jT3_P12ihipStream_tbPNSt15iterator_traitsISE_E10value_typeEPNSK_ISF_E10value_typeEPSG_NS1_7vsmem_tEENKUlT_SE_SF_SG_E_clIS8_S8_S9_S9_EESD_ST_SE_SF_SG_EUlST_E1_NS1_11comp_targetILNS1_3genE2ELNS1_11target_archE906ELNS1_3gpuE6ELNS1_3repE0EEENS1_36merge_oddeven_config_static_selectorELNS0_4arch9wavefront6targetE0EEEvSF_,@function
_ZN7rocprim17ROCPRIM_400000_NS6detail17trampoline_kernelINS0_14default_configENS1_38merge_sort_block_merge_config_selectorIsNS0_10empty_typeEEEZZNS1_27merge_sort_block_merge_implIS3_PsPS5_jNS1_19radix_merge_compareILb1ELb1EsNS0_19identity_decomposerEEEEE10hipError_tT0_T1_T2_jT3_P12ihipStream_tbPNSt15iterator_traitsISE_E10value_typeEPNSK_ISF_E10value_typeEPSG_NS1_7vsmem_tEENKUlT_SE_SF_SG_E_clIS8_S8_S9_S9_EESD_ST_SE_SF_SG_EUlST_E1_NS1_11comp_targetILNS1_3genE2ELNS1_11target_archE906ELNS1_3gpuE6ELNS1_3repE0EEENS1_36merge_oddeven_config_static_selectorELNS0_4arch9wavefront6targetE0EEEvSF_: ; @_ZN7rocprim17ROCPRIM_400000_NS6detail17trampoline_kernelINS0_14default_configENS1_38merge_sort_block_merge_config_selectorIsNS0_10empty_typeEEEZZNS1_27merge_sort_block_merge_implIS3_PsPS5_jNS1_19radix_merge_compareILb1ELb1EsNS0_19identity_decomposerEEEEE10hipError_tT0_T1_T2_jT3_P12ihipStream_tbPNSt15iterator_traitsISE_E10value_typeEPNSK_ISF_E10value_typeEPSG_NS1_7vsmem_tEENKUlT_SE_SF_SG_E_clIS8_S8_S9_S9_EESD_ST_SE_SF_SG_EUlST_E1_NS1_11comp_targetILNS1_3genE2ELNS1_11target_archE906ELNS1_3gpuE6ELNS1_3repE0EEENS1_36merge_oddeven_config_static_selectorELNS0_4arch9wavefront6targetE0EEEvSF_
; %bb.0:
	.section	.rodata,"a",@progbits
	.p2align	6, 0x0
	.amdhsa_kernel _ZN7rocprim17ROCPRIM_400000_NS6detail17trampoline_kernelINS0_14default_configENS1_38merge_sort_block_merge_config_selectorIsNS0_10empty_typeEEEZZNS1_27merge_sort_block_merge_implIS3_PsPS5_jNS1_19radix_merge_compareILb1ELb1EsNS0_19identity_decomposerEEEEE10hipError_tT0_T1_T2_jT3_P12ihipStream_tbPNSt15iterator_traitsISE_E10value_typeEPNSK_ISF_E10value_typeEPSG_NS1_7vsmem_tEENKUlT_SE_SF_SG_E_clIS8_S8_S9_S9_EESD_ST_SE_SF_SG_EUlST_E1_NS1_11comp_targetILNS1_3genE2ELNS1_11target_archE906ELNS1_3gpuE6ELNS1_3repE0EEENS1_36merge_oddeven_config_static_selectorELNS0_4arch9wavefront6targetE0EEEvSF_
		.amdhsa_group_segment_fixed_size 0
		.amdhsa_private_segment_fixed_size 0
		.amdhsa_kernarg_size 48
		.amdhsa_user_sgpr_count 2
		.amdhsa_user_sgpr_dispatch_ptr 0
		.amdhsa_user_sgpr_queue_ptr 0
		.amdhsa_user_sgpr_kernarg_segment_ptr 1
		.amdhsa_user_sgpr_dispatch_id 0
		.amdhsa_user_sgpr_kernarg_preload_length 0
		.amdhsa_user_sgpr_kernarg_preload_offset 0
		.amdhsa_user_sgpr_private_segment_size 0
		.amdhsa_wavefront_size32 1
		.amdhsa_uses_dynamic_stack 0
		.amdhsa_enable_private_segment 0
		.amdhsa_system_sgpr_workgroup_id_x 1
		.amdhsa_system_sgpr_workgroup_id_y 0
		.amdhsa_system_sgpr_workgroup_id_z 0
		.amdhsa_system_sgpr_workgroup_info 0
		.amdhsa_system_vgpr_workitem_id 0
		.amdhsa_next_free_vgpr 1
		.amdhsa_next_free_sgpr 1
		.amdhsa_named_barrier_count 0
		.amdhsa_reserve_vcc 0
		.amdhsa_float_round_mode_32 0
		.amdhsa_float_round_mode_16_64 0
		.amdhsa_float_denorm_mode_32 3
		.amdhsa_float_denorm_mode_16_64 3
		.amdhsa_fp16_overflow 0
		.amdhsa_memory_ordered 1
		.amdhsa_forward_progress 1
		.amdhsa_inst_pref_size 0
		.amdhsa_round_robin_scheduling 0
		.amdhsa_exception_fp_ieee_invalid_op 0
		.amdhsa_exception_fp_denorm_src 0
		.amdhsa_exception_fp_ieee_div_zero 0
		.amdhsa_exception_fp_ieee_overflow 0
		.amdhsa_exception_fp_ieee_underflow 0
		.amdhsa_exception_fp_ieee_inexact 0
		.amdhsa_exception_int_div_zero 0
	.end_amdhsa_kernel
	.section	.text._ZN7rocprim17ROCPRIM_400000_NS6detail17trampoline_kernelINS0_14default_configENS1_38merge_sort_block_merge_config_selectorIsNS0_10empty_typeEEEZZNS1_27merge_sort_block_merge_implIS3_PsPS5_jNS1_19radix_merge_compareILb1ELb1EsNS0_19identity_decomposerEEEEE10hipError_tT0_T1_T2_jT3_P12ihipStream_tbPNSt15iterator_traitsISE_E10value_typeEPNSK_ISF_E10value_typeEPSG_NS1_7vsmem_tEENKUlT_SE_SF_SG_E_clIS8_S8_S9_S9_EESD_ST_SE_SF_SG_EUlST_E1_NS1_11comp_targetILNS1_3genE2ELNS1_11target_archE906ELNS1_3gpuE6ELNS1_3repE0EEENS1_36merge_oddeven_config_static_selectorELNS0_4arch9wavefront6targetE0EEEvSF_,"axG",@progbits,_ZN7rocprim17ROCPRIM_400000_NS6detail17trampoline_kernelINS0_14default_configENS1_38merge_sort_block_merge_config_selectorIsNS0_10empty_typeEEEZZNS1_27merge_sort_block_merge_implIS3_PsPS5_jNS1_19radix_merge_compareILb1ELb1EsNS0_19identity_decomposerEEEEE10hipError_tT0_T1_T2_jT3_P12ihipStream_tbPNSt15iterator_traitsISE_E10value_typeEPNSK_ISF_E10value_typeEPSG_NS1_7vsmem_tEENKUlT_SE_SF_SG_E_clIS8_S8_S9_S9_EESD_ST_SE_SF_SG_EUlST_E1_NS1_11comp_targetILNS1_3genE2ELNS1_11target_archE906ELNS1_3gpuE6ELNS1_3repE0EEENS1_36merge_oddeven_config_static_selectorELNS0_4arch9wavefront6targetE0EEEvSF_,comdat
.Lfunc_end573:
	.size	_ZN7rocprim17ROCPRIM_400000_NS6detail17trampoline_kernelINS0_14default_configENS1_38merge_sort_block_merge_config_selectorIsNS0_10empty_typeEEEZZNS1_27merge_sort_block_merge_implIS3_PsPS5_jNS1_19radix_merge_compareILb1ELb1EsNS0_19identity_decomposerEEEEE10hipError_tT0_T1_T2_jT3_P12ihipStream_tbPNSt15iterator_traitsISE_E10value_typeEPNSK_ISF_E10value_typeEPSG_NS1_7vsmem_tEENKUlT_SE_SF_SG_E_clIS8_S8_S9_S9_EESD_ST_SE_SF_SG_EUlST_E1_NS1_11comp_targetILNS1_3genE2ELNS1_11target_archE906ELNS1_3gpuE6ELNS1_3repE0EEENS1_36merge_oddeven_config_static_selectorELNS0_4arch9wavefront6targetE0EEEvSF_, .Lfunc_end573-_ZN7rocprim17ROCPRIM_400000_NS6detail17trampoline_kernelINS0_14default_configENS1_38merge_sort_block_merge_config_selectorIsNS0_10empty_typeEEEZZNS1_27merge_sort_block_merge_implIS3_PsPS5_jNS1_19radix_merge_compareILb1ELb1EsNS0_19identity_decomposerEEEEE10hipError_tT0_T1_T2_jT3_P12ihipStream_tbPNSt15iterator_traitsISE_E10value_typeEPNSK_ISF_E10value_typeEPSG_NS1_7vsmem_tEENKUlT_SE_SF_SG_E_clIS8_S8_S9_S9_EESD_ST_SE_SF_SG_EUlST_E1_NS1_11comp_targetILNS1_3genE2ELNS1_11target_archE906ELNS1_3gpuE6ELNS1_3repE0EEENS1_36merge_oddeven_config_static_selectorELNS0_4arch9wavefront6targetE0EEEvSF_
                                        ; -- End function
	.set _ZN7rocprim17ROCPRIM_400000_NS6detail17trampoline_kernelINS0_14default_configENS1_38merge_sort_block_merge_config_selectorIsNS0_10empty_typeEEEZZNS1_27merge_sort_block_merge_implIS3_PsPS5_jNS1_19radix_merge_compareILb1ELb1EsNS0_19identity_decomposerEEEEE10hipError_tT0_T1_T2_jT3_P12ihipStream_tbPNSt15iterator_traitsISE_E10value_typeEPNSK_ISF_E10value_typeEPSG_NS1_7vsmem_tEENKUlT_SE_SF_SG_E_clIS8_S8_S9_S9_EESD_ST_SE_SF_SG_EUlST_E1_NS1_11comp_targetILNS1_3genE2ELNS1_11target_archE906ELNS1_3gpuE6ELNS1_3repE0EEENS1_36merge_oddeven_config_static_selectorELNS0_4arch9wavefront6targetE0EEEvSF_.num_vgpr, 0
	.set _ZN7rocprim17ROCPRIM_400000_NS6detail17trampoline_kernelINS0_14default_configENS1_38merge_sort_block_merge_config_selectorIsNS0_10empty_typeEEEZZNS1_27merge_sort_block_merge_implIS3_PsPS5_jNS1_19radix_merge_compareILb1ELb1EsNS0_19identity_decomposerEEEEE10hipError_tT0_T1_T2_jT3_P12ihipStream_tbPNSt15iterator_traitsISE_E10value_typeEPNSK_ISF_E10value_typeEPSG_NS1_7vsmem_tEENKUlT_SE_SF_SG_E_clIS8_S8_S9_S9_EESD_ST_SE_SF_SG_EUlST_E1_NS1_11comp_targetILNS1_3genE2ELNS1_11target_archE906ELNS1_3gpuE6ELNS1_3repE0EEENS1_36merge_oddeven_config_static_selectorELNS0_4arch9wavefront6targetE0EEEvSF_.num_agpr, 0
	.set _ZN7rocprim17ROCPRIM_400000_NS6detail17trampoline_kernelINS0_14default_configENS1_38merge_sort_block_merge_config_selectorIsNS0_10empty_typeEEEZZNS1_27merge_sort_block_merge_implIS3_PsPS5_jNS1_19radix_merge_compareILb1ELb1EsNS0_19identity_decomposerEEEEE10hipError_tT0_T1_T2_jT3_P12ihipStream_tbPNSt15iterator_traitsISE_E10value_typeEPNSK_ISF_E10value_typeEPSG_NS1_7vsmem_tEENKUlT_SE_SF_SG_E_clIS8_S8_S9_S9_EESD_ST_SE_SF_SG_EUlST_E1_NS1_11comp_targetILNS1_3genE2ELNS1_11target_archE906ELNS1_3gpuE6ELNS1_3repE0EEENS1_36merge_oddeven_config_static_selectorELNS0_4arch9wavefront6targetE0EEEvSF_.numbered_sgpr, 0
	.set _ZN7rocprim17ROCPRIM_400000_NS6detail17trampoline_kernelINS0_14default_configENS1_38merge_sort_block_merge_config_selectorIsNS0_10empty_typeEEEZZNS1_27merge_sort_block_merge_implIS3_PsPS5_jNS1_19radix_merge_compareILb1ELb1EsNS0_19identity_decomposerEEEEE10hipError_tT0_T1_T2_jT3_P12ihipStream_tbPNSt15iterator_traitsISE_E10value_typeEPNSK_ISF_E10value_typeEPSG_NS1_7vsmem_tEENKUlT_SE_SF_SG_E_clIS8_S8_S9_S9_EESD_ST_SE_SF_SG_EUlST_E1_NS1_11comp_targetILNS1_3genE2ELNS1_11target_archE906ELNS1_3gpuE6ELNS1_3repE0EEENS1_36merge_oddeven_config_static_selectorELNS0_4arch9wavefront6targetE0EEEvSF_.num_named_barrier, 0
	.set _ZN7rocprim17ROCPRIM_400000_NS6detail17trampoline_kernelINS0_14default_configENS1_38merge_sort_block_merge_config_selectorIsNS0_10empty_typeEEEZZNS1_27merge_sort_block_merge_implIS3_PsPS5_jNS1_19radix_merge_compareILb1ELb1EsNS0_19identity_decomposerEEEEE10hipError_tT0_T1_T2_jT3_P12ihipStream_tbPNSt15iterator_traitsISE_E10value_typeEPNSK_ISF_E10value_typeEPSG_NS1_7vsmem_tEENKUlT_SE_SF_SG_E_clIS8_S8_S9_S9_EESD_ST_SE_SF_SG_EUlST_E1_NS1_11comp_targetILNS1_3genE2ELNS1_11target_archE906ELNS1_3gpuE6ELNS1_3repE0EEENS1_36merge_oddeven_config_static_selectorELNS0_4arch9wavefront6targetE0EEEvSF_.private_seg_size, 0
	.set _ZN7rocprim17ROCPRIM_400000_NS6detail17trampoline_kernelINS0_14default_configENS1_38merge_sort_block_merge_config_selectorIsNS0_10empty_typeEEEZZNS1_27merge_sort_block_merge_implIS3_PsPS5_jNS1_19radix_merge_compareILb1ELb1EsNS0_19identity_decomposerEEEEE10hipError_tT0_T1_T2_jT3_P12ihipStream_tbPNSt15iterator_traitsISE_E10value_typeEPNSK_ISF_E10value_typeEPSG_NS1_7vsmem_tEENKUlT_SE_SF_SG_E_clIS8_S8_S9_S9_EESD_ST_SE_SF_SG_EUlST_E1_NS1_11comp_targetILNS1_3genE2ELNS1_11target_archE906ELNS1_3gpuE6ELNS1_3repE0EEENS1_36merge_oddeven_config_static_selectorELNS0_4arch9wavefront6targetE0EEEvSF_.uses_vcc, 0
	.set _ZN7rocprim17ROCPRIM_400000_NS6detail17trampoline_kernelINS0_14default_configENS1_38merge_sort_block_merge_config_selectorIsNS0_10empty_typeEEEZZNS1_27merge_sort_block_merge_implIS3_PsPS5_jNS1_19radix_merge_compareILb1ELb1EsNS0_19identity_decomposerEEEEE10hipError_tT0_T1_T2_jT3_P12ihipStream_tbPNSt15iterator_traitsISE_E10value_typeEPNSK_ISF_E10value_typeEPSG_NS1_7vsmem_tEENKUlT_SE_SF_SG_E_clIS8_S8_S9_S9_EESD_ST_SE_SF_SG_EUlST_E1_NS1_11comp_targetILNS1_3genE2ELNS1_11target_archE906ELNS1_3gpuE6ELNS1_3repE0EEENS1_36merge_oddeven_config_static_selectorELNS0_4arch9wavefront6targetE0EEEvSF_.uses_flat_scratch, 0
	.set _ZN7rocprim17ROCPRIM_400000_NS6detail17trampoline_kernelINS0_14default_configENS1_38merge_sort_block_merge_config_selectorIsNS0_10empty_typeEEEZZNS1_27merge_sort_block_merge_implIS3_PsPS5_jNS1_19radix_merge_compareILb1ELb1EsNS0_19identity_decomposerEEEEE10hipError_tT0_T1_T2_jT3_P12ihipStream_tbPNSt15iterator_traitsISE_E10value_typeEPNSK_ISF_E10value_typeEPSG_NS1_7vsmem_tEENKUlT_SE_SF_SG_E_clIS8_S8_S9_S9_EESD_ST_SE_SF_SG_EUlST_E1_NS1_11comp_targetILNS1_3genE2ELNS1_11target_archE906ELNS1_3gpuE6ELNS1_3repE0EEENS1_36merge_oddeven_config_static_selectorELNS0_4arch9wavefront6targetE0EEEvSF_.has_dyn_sized_stack, 0
	.set _ZN7rocprim17ROCPRIM_400000_NS6detail17trampoline_kernelINS0_14default_configENS1_38merge_sort_block_merge_config_selectorIsNS0_10empty_typeEEEZZNS1_27merge_sort_block_merge_implIS3_PsPS5_jNS1_19radix_merge_compareILb1ELb1EsNS0_19identity_decomposerEEEEE10hipError_tT0_T1_T2_jT3_P12ihipStream_tbPNSt15iterator_traitsISE_E10value_typeEPNSK_ISF_E10value_typeEPSG_NS1_7vsmem_tEENKUlT_SE_SF_SG_E_clIS8_S8_S9_S9_EESD_ST_SE_SF_SG_EUlST_E1_NS1_11comp_targetILNS1_3genE2ELNS1_11target_archE906ELNS1_3gpuE6ELNS1_3repE0EEENS1_36merge_oddeven_config_static_selectorELNS0_4arch9wavefront6targetE0EEEvSF_.has_recursion, 0
	.set _ZN7rocprim17ROCPRIM_400000_NS6detail17trampoline_kernelINS0_14default_configENS1_38merge_sort_block_merge_config_selectorIsNS0_10empty_typeEEEZZNS1_27merge_sort_block_merge_implIS3_PsPS5_jNS1_19radix_merge_compareILb1ELb1EsNS0_19identity_decomposerEEEEE10hipError_tT0_T1_T2_jT3_P12ihipStream_tbPNSt15iterator_traitsISE_E10value_typeEPNSK_ISF_E10value_typeEPSG_NS1_7vsmem_tEENKUlT_SE_SF_SG_E_clIS8_S8_S9_S9_EESD_ST_SE_SF_SG_EUlST_E1_NS1_11comp_targetILNS1_3genE2ELNS1_11target_archE906ELNS1_3gpuE6ELNS1_3repE0EEENS1_36merge_oddeven_config_static_selectorELNS0_4arch9wavefront6targetE0EEEvSF_.has_indirect_call, 0
	.section	.AMDGPU.csdata,"",@progbits
; Kernel info:
; codeLenInByte = 0
; TotalNumSgprs: 0
; NumVgprs: 0
; ScratchSize: 0
; MemoryBound: 0
; FloatMode: 240
; IeeeMode: 1
; LDSByteSize: 0 bytes/workgroup (compile time only)
; SGPRBlocks: 0
; VGPRBlocks: 0
; NumSGPRsForWavesPerEU: 1
; NumVGPRsForWavesPerEU: 1
; NamedBarCnt: 0
; Occupancy: 16
; WaveLimiterHint : 0
; COMPUTE_PGM_RSRC2:SCRATCH_EN: 0
; COMPUTE_PGM_RSRC2:USER_SGPR: 2
; COMPUTE_PGM_RSRC2:TRAP_HANDLER: 0
; COMPUTE_PGM_RSRC2:TGID_X_EN: 1
; COMPUTE_PGM_RSRC2:TGID_Y_EN: 0
; COMPUTE_PGM_RSRC2:TGID_Z_EN: 0
; COMPUTE_PGM_RSRC2:TIDIG_COMP_CNT: 0
	.section	.text._ZN7rocprim17ROCPRIM_400000_NS6detail17trampoline_kernelINS0_14default_configENS1_38merge_sort_block_merge_config_selectorIsNS0_10empty_typeEEEZZNS1_27merge_sort_block_merge_implIS3_PsPS5_jNS1_19radix_merge_compareILb1ELb1EsNS0_19identity_decomposerEEEEE10hipError_tT0_T1_T2_jT3_P12ihipStream_tbPNSt15iterator_traitsISE_E10value_typeEPNSK_ISF_E10value_typeEPSG_NS1_7vsmem_tEENKUlT_SE_SF_SG_E_clIS8_S8_S9_S9_EESD_ST_SE_SF_SG_EUlST_E1_NS1_11comp_targetILNS1_3genE9ELNS1_11target_archE1100ELNS1_3gpuE3ELNS1_3repE0EEENS1_36merge_oddeven_config_static_selectorELNS0_4arch9wavefront6targetE0EEEvSF_,"axG",@progbits,_ZN7rocprim17ROCPRIM_400000_NS6detail17trampoline_kernelINS0_14default_configENS1_38merge_sort_block_merge_config_selectorIsNS0_10empty_typeEEEZZNS1_27merge_sort_block_merge_implIS3_PsPS5_jNS1_19radix_merge_compareILb1ELb1EsNS0_19identity_decomposerEEEEE10hipError_tT0_T1_T2_jT3_P12ihipStream_tbPNSt15iterator_traitsISE_E10value_typeEPNSK_ISF_E10value_typeEPSG_NS1_7vsmem_tEENKUlT_SE_SF_SG_E_clIS8_S8_S9_S9_EESD_ST_SE_SF_SG_EUlST_E1_NS1_11comp_targetILNS1_3genE9ELNS1_11target_archE1100ELNS1_3gpuE3ELNS1_3repE0EEENS1_36merge_oddeven_config_static_selectorELNS0_4arch9wavefront6targetE0EEEvSF_,comdat
	.protected	_ZN7rocprim17ROCPRIM_400000_NS6detail17trampoline_kernelINS0_14default_configENS1_38merge_sort_block_merge_config_selectorIsNS0_10empty_typeEEEZZNS1_27merge_sort_block_merge_implIS3_PsPS5_jNS1_19radix_merge_compareILb1ELb1EsNS0_19identity_decomposerEEEEE10hipError_tT0_T1_T2_jT3_P12ihipStream_tbPNSt15iterator_traitsISE_E10value_typeEPNSK_ISF_E10value_typeEPSG_NS1_7vsmem_tEENKUlT_SE_SF_SG_E_clIS8_S8_S9_S9_EESD_ST_SE_SF_SG_EUlST_E1_NS1_11comp_targetILNS1_3genE9ELNS1_11target_archE1100ELNS1_3gpuE3ELNS1_3repE0EEENS1_36merge_oddeven_config_static_selectorELNS0_4arch9wavefront6targetE0EEEvSF_ ; -- Begin function _ZN7rocprim17ROCPRIM_400000_NS6detail17trampoline_kernelINS0_14default_configENS1_38merge_sort_block_merge_config_selectorIsNS0_10empty_typeEEEZZNS1_27merge_sort_block_merge_implIS3_PsPS5_jNS1_19radix_merge_compareILb1ELb1EsNS0_19identity_decomposerEEEEE10hipError_tT0_T1_T2_jT3_P12ihipStream_tbPNSt15iterator_traitsISE_E10value_typeEPNSK_ISF_E10value_typeEPSG_NS1_7vsmem_tEENKUlT_SE_SF_SG_E_clIS8_S8_S9_S9_EESD_ST_SE_SF_SG_EUlST_E1_NS1_11comp_targetILNS1_3genE9ELNS1_11target_archE1100ELNS1_3gpuE3ELNS1_3repE0EEENS1_36merge_oddeven_config_static_selectorELNS0_4arch9wavefront6targetE0EEEvSF_
	.globl	_ZN7rocprim17ROCPRIM_400000_NS6detail17trampoline_kernelINS0_14default_configENS1_38merge_sort_block_merge_config_selectorIsNS0_10empty_typeEEEZZNS1_27merge_sort_block_merge_implIS3_PsPS5_jNS1_19radix_merge_compareILb1ELb1EsNS0_19identity_decomposerEEEEE10hipError_tT0_T1_T2_jT3_P12ihipStream_tbPNSt15iterator_traitsISE_E10value_typeEPNSK_ISF_E10value_typeEPSG_NS1_7vsmem_tEENKUlT_SE_SF_SG_E_clIS8_S8_S9_S9_EESD_ST_SE_SF_SG_EUlST_E1_NS1_11comp_targetILNS1_3genE9ELNS1_11target_archE1100ELNS1_3gpuE3ELNS1_3repE0EEENS1_36merge_oddeven_config_static_selectorELNS0_4arch9wavefront6targetE0EEEvSF_
	.p2align	8
	.type	_ZN7rocprim17ROCPRIM_400000_NS6detail17trampoline_kernelINS0_14default_configENS1_38merge_sort_block_merge_config_selectorIsNS0_10empty_typeEEEZZNS1_27merge_sort_block_merge_implIS3_PsPS5_jNS1_19radix_merge_compareILb1ELb1EsNS0_19identity_decomposerEEEEE10hipError_tT0_T1_T2_jT3_P12ihipStream_tbPNSt15iterator_traitsISE_E10value_typeEPNSK_ISF_E10value_typeEPSG_NS1_7vsmem_tEENKUlT_SE_SF_SG_E_clIS8_S8_S9_S9_EESD_ST_SE_SF_SG_EUlST_E1_NS1_11comp_targetILNS1_3genE9ELNS1_11target_archE1100ELNS1_3gpuE3ELNS1_3repE0EEENS1_36merge_oddeven_config_static_selectorELNS0_4arch9wavefront6targetE0EEEvSF_,@function
_ZN7rocprim17ROCPRIM_400000_NS6detail17trampoline_kernelINS0_14default_configENS1_38merge_sort_block_merge_config_selectorIsNS0_10empty_typeEEEZZNS1_27merge_sort_block_merge_implIS3_PsPS5_jNS1_19radix_merge_compareILb1ELb1EsNS0_19identity_decomposerEEEEE10hipError_tT0_T1_T2_jT3_P12ihipStream_tbPNSt15iterator_traitsISE_E10value_typeEPNSK_ISF_E10value_typeEPSG_NS1_7vsmem_tEENKUlT_SE_SF_SG_E_clIS8_S8_S9_S9_EESD_ST_SE_SF_SG_EUlST_E1_NS1_11comp_targetILNS1_3genE9ELNS1_11target_archE1100ELNS1_3gpuE3ELNS1_3repE0EEENS1_36merge_oddeven_config_static_selectorELNS0_4arch9wavefront6targetE0EEEvSF_: ; @_ZN7rocprim17ROCPRIM_400000_NS6detail17trampoline_kernelINS0_14default_configENS1_38merge_sort_block_merge_config_selectorIsNS0_10empty_typeEEEZZNS1_27merge_sort_block_merge_implIS3_PsPS5_jNS1_19radix_merge_compareILb1ELb1EsNS0_19identity_decomposerEEEEE10hipError_tT0_T1_T2_jT3_P12ihipStream_tbPNSt15iterator_traitsISE_E10value_typeEPNSK_ISF_E10value_typeEPSG_NS1_7vsmem_tEENKUlT_SE_SF_SG_E_clIS8_S8_S9_S9_EESD_ST_SE_SF_SG_EUlST_E1_NS1_11comp_targetILNS1_3genE9ELNS1_11target_archE1100ELNS1_3gpuE3ELNS1_3repE0EEENS1_36merge_oddeven_config_static_selectorELNS0_4arch9wavefront6targetE0EEEvSF_
; %bb.0:
	.section	.rodata,"a",@progbits
	.p2align	6, 0x0
	.amdhsa_kernel _ZN7rocprim17ROCPRIM_400000_NS6detail17trampoline_kernelINS0_14default_configENS1_38merge_sort_block_merge_config_selectorIsNS0_10empty_typeEEEZZNS1_27merge_sort_block_merge_implIS3_PsPS5_jNS1_19radix_merge_compareILb1ELb1EsNS0_19identity_decomposerEEEEE10hipError_tT0_T1_T2_jT3_P12ihipStream_tbPNSt15iterator_traitsISE_E10value_typeEPNSK_ISF_E10value_typeEPSG_NS1_7vsmem_tEENKUlT_SE_SF_SG_E_clIS8_S8_S9_S9_EESD_ST_SE_SF_SG_EUlST_E1_NS1_11comp_targetILNS1_3genE9ELNS1_11target_archE1100ELNS1_3gpuE3ELNS1_3repE0EEENS1_36merge_oddeven_config_static_selectorELNS0_4arch9wavefront6targetE0EEEvSF_
		.amdhsa_group_segment_fixed_size 0
		.amdhsa_private_segment_fixed_size 0
		.amdhsa_kernarg_size 48
		.amdhsa_user_sgpr_count 2
		.amdhsa_user_sgpr_dispatch_ptr 0
		.amdhsa_user_sgpr_queue_ptr 0
		.amdhsa_user_sgpr_kernarg_segment_ptr 1
		.amdhsa_user_sgpr_dispatch_id 0
		.amdhsa_user_sgpr_kernarg_preload_length 0
		.amdhsa_user_sgpr_kernarg_preload_offset 0
		.amdhsa_user_sgpr_private_segment_size 0
		.amdhsa_wavefront_size32 1
		.amdhsa_uses_dynamic_stack 0
		.amdhsa_enable_private_segment 0
		.amdhsa_system_sgpr_workgroup_id_x 1
		.amdhsa_system_sgpr_workgroup_id_y 0
		.amdhsa_system_sgpr_workgroup_id_z 0
		.amdhsa_system_sgpr_workgroup_info 0
		.amdhsa_system_vgpr_workitem_id 0
		.amdhsa_next_free_vgpr 1
		.amdhsa_next_free_sgpr 1
		.amdhsa_named_barrier_count 0
		.amdhsa_reserve_vcc 0
		.amdhsa_float_round_mode_32 0
		.amdhsa_float_round_mode_16_64 0
		.amdhsa_float_denorm_mode_32 3
		.amdhsa_float_denorm_mode_16_64 3
		.amdhsa_fp16_overflow 0
		.amdhsa_memory_ordered 1
		.amdhsa_forward_progress 1
		.amdhsa_inst_pref_size 0
		.amdhsa_round_robin_scheduling 0
		.amdhsa_exception_fp_ieee_invalid_op 0
		.amdhsa_exception_fp_denorm_src 0
		.amdhsa_exception_fp_ieee_div_zero 0
		.amdhsa_exception_fp_ieee_overflow 0
		.amdhsa_exception_fp_ieee_underflow 0
		.amdhsa_exception_fp_ieee_inexact 0
		.amdhsa_exception_int_div_zero 0
	.end_amdhsa_kernel
	.section	.text._ZN7rocprim17ROCPRIM_400000_NS6detail17trampoline_kernelINS0_14default_configENS1_38merge_sort_block_merge_config_selectorIsNS0_10empty_typeEEEZZNS1_27merge_sort_block_merge_implIS3_PsPS5_jNS1_19radix_merge_compareILb1ELb1EsNS0_19identity_decomposerEEEEE10hipError_tT0_T1_T2_jT3_P12ihipStream_tbPNSt15iterator_traitsISE_E10value_typeEPNSK_ISF_E10value_typeEPSG_NS1_7vsmem_tEENKUlT_SE_SF_SG_E_clIS8_S8_S9_S9_EESD_ST_SE_SF_SG_EUlST_E1_NS1_11comp_targetILNS1_3genE9ELNS1_11target_archE1100ELNS1_3gpuE3ELNS1_3repE0EEENS1_36merge_oddeven_config_static_selectorELNS0_4arch9wavefront6targetE0EEEvSF_,"axG",@progbits,_ZN7rocprim17ROCPRIM_400000_NS6detail17trampoline_kernelINS0_14default_configENS1_38merge_sort_block_merge_config_selectorIsNS0_10empty_typeEEEZZNS1_27merge_sort_block_merge_implIS3_PsPS5_jNS1_19radix_merge_compareILb1ELb1EsNS0_19identity_decomposerEEEEE10hipError_tT0_T1_T2_jT3_P12ihipStream_tbPNSt15iterator_traitsISE_E10value_typeEPNSK_ISF_E10value_typeEPSG_NS1_7vsmem_tEENKUlT_SE_SF_SG_E_clIS8_S8_S9_S9_EESD_ST_SE_SF_SG_EUlST_E1_NS1_11comp_targetILNS1_3genE9ELNS1_11target_archE1100ELNS1_3gpuE3ELNS1_3repE0EEENS1_36merge_oddeven_config_static_selectorELNS0_4arch9wavefront6targetE0EEEvSF_,comdat
.Lfunc_end574:
	.size	_ZN7rocprim17ROCPRIM_400000_NS6detail17trampoline_kernelINS0_14default_configENS1_38merge_sort_block_merge_config_selectorIsNS0_10empty_typeEEEZZNS1_27merge_sort_block_merge_implIS3_PsPS5_jNS1_19radix_merge_compareILb1ELb1EsNS0_19identity_decomposerEEEEE10hipError_tT0_T1_T2_jT3_P12ihipStream_tbPNSt15iterator_traitsISE_E10value_typeEPNSK_ISF_E10value_typeEPSG_NS1_7vsmem_tEENKUlT_SE_SF_SG_E_clIS8_S8_S9_S9_EESD_ST_SE_SF_SG_EUlST_E1_NS1_11comp_targetILNS1_3genE9ELNS1_11target_archE1100ELNS1_3gpuE3ELNS1_3repE0EEENS1_36merge_oddeven_config_static_selectorELNS0_4arch9wavefront6targetE0EEEvSF_, .Lfunc_end574-_ZN7rocprim17ROCPRIM_400000_NS6detail17trampoline_kernelINS0_14default_configENS1_38merge_sort_block_merge_config_selectorIsNS0_10empty_typeEEEZZNS1_27merge_sort_block_merge_implIS3_PsPS5_jNS1_19radix_merge_compareILb1ELb1EsNS0_19identity_decomposerEEEEE10hipError_tT0_T1_T2_jT3_P12ihipStream_tbPNSt15iterator_traitsISE_E10value_typeEPNSK_ISF_E10value_typeEPSG_NS1_7vsmem_tEENKUlT_SE_SF_SG_E_clIS8_S8_S9_S9_EESD_ST_SE_SF_SG_EUlST_E1_NS1_11comp_targetILNS1_3genE9ELNS1_11target_archE1100ELNS1_3gpuE3ELNS1_3repE0EEENS1_36merge_oddeven_config_static_selectorELNS0_4arch9wavefront6targetE0EEEvSF_
                                        ; -- End function
	.set _ZN7rocprim17ROCPRIM_400000_NS6detail17trampoline_kernelINS0_14default_configENS1_38merge_sort_block_merge_config_selectorIsNS0_10empty_typeEEEZZNS1_27merge_sort_block_merge_implIS3_PsPS5_jNS1_19radix_merge_compareILb1ELb1EsNS0_19identity_decomposerEEEEE10hipError_tT0_T1_T2_jT3_P12ihipStream_tbPNSt15iterator_traitsISE_E10value_typeEPNSK_ISF_E10value_typeEPSG_NS1_7vsmem_tEENKUlT_SE_SF_SG_E_clIS8_S8_S9_S9_EESD_ST_SE_SF_SG_EUlST_E1_NS1_11comp_targetILNS1_3genE9ELNS1_11target_archE1100ELNS1_3gpuE3ELNS1_3repE0EEENS1_36merge_oddeven_config_static_selectorELNS0_4arch9wavefront6targetE0EEEvSF_.num_vgpr, 0
	.set _ZN7rocprim17ROCPRIM_400000_NS6detail17trampoline_kernelINS0_14default_configENS1_38merge_sort_block_merge_config_selectorIsNS0_10empty_typeEEEZZNS1_27merge_sort_block_merge_implIS3_PsPS5_jNS1_19radix_merge_compareILb1ELb1EsNS0_19identity_decomposerEEEEE10hipError_tT0_T1_T2_jT3_P12ihipStream_tbPNSt15iterator_traitsISE_E10value_typeEPNSK_ISF_E10value_typeEPSG_NS1_7vsmem_tEENKUlT_SE_SF_SG_E_clIS8_S8_S9_S9_EESD_ST_SE_SF_SG_EUlST_E1_NS1_11comp_targetILNS1_3genE9ELNS1_11target_archE1100ELNS1_3gpuE3ELNS1_3repE0EEENS1_36merge_oddeven_config_static_selectorELNS0_4arch9wavefront6targetE0EEEvSF_.num_agpr, 0
	.set _ZN7rocprim17ROCPRIM_400000_NS6detail17trampoline_kernelINS0_14default_configENS1_38merge_sort_block_merge_config_selectorIsNS0_10empty_typeEEEZZNS1_27merge_sort_block_merge_implIS3_PsPS5_jNS1_19radix_merge_compareILb1ELb1EsNS0_19identity_decomposerEEEEE10hipError_tT0_T1_T2_jT3_P12ihipStream_tbPNSt15iterator_traitsISE_E10value_typeEPNSK_ISF_E10value_typeEPSG_NS1_7vsmem_tEENKUlT_SE_SF_SG_E_clIS8_S8_S9_S9_EESD_ST_SE_SF_SG_EUlST_E1_NS1_11comp_targetILNS1_3genE9ELNS1_11target_archE1100ELNS1_3gpuE3ELNS1_3repE0EEENS1_36merge_oddeven_config_static_selectorELNS0_4arch9wavefront6targetE0EEEvSF_.numbered_sgpr, 0
	.set _ZN7rocprim17ROCPRIM_400000_NS6detail17trampoline_kernelINS0_14default_configENS1_38merge_sort_block_merge_config_selectorIsNS0_10empty_typeEEEZZNS1_27merge_sort_block_merge_implIS3_PsPS5_jNS1_19radix_merge_compareILb1ELb1EsNS0_19identity_decomposerEEEEE10hipError_tT0_T1_T2_jT3_P12ihipStream_tbPNSt15iterator_traitsISE_E10value_typeEPNSK_ISF_E10value_typeEPSG_NS1_7vsmem_tEENKUlT_SE_SF_SG_E_clIS8_S8_S9_S9_EESD_ST_SE_SF_SG_EUlST_E1_NS1_11comp_targetILNS1_3genE9ELNS1_11target_archE1100ELNS1_3gpuE3ELNS1_3repE0EEENS1_36merge_oddeven_config_static_selectorELNS0_4arch9wavefront6targetE0EEEvSF_.num_named_barrier, 0
	.set _ZN7rocprim17ROCPRIM_400000_NS6detail17trampoline_kernelINS0_14default_configENS1_38merge_sort_block_merge_config_selectorIsNS0_10empty_typeEEEZZNS1_27merge_sort_block_merge_implIS3_PsPS5_jNS1_19radix_merge_compareILb1ELb1EsNS0_19identity_decomposerEEEEE10hipError_tT0_T1_T2_jT3_P12ihipStream_tbPNSt15iterator_traitsISE_E10value_typeEPNSK_ISF_E10value_typeEPSG_NS1_7vsmem_tEENKUlT_SE_SF_SG_E_clIS8_S8_S9_S9_EESD_ST_SE_SF_SG_EUlST_E1_NS1_11comp_targetILNS1_3genE9ELNS1_11target_archE1100ELNS1_3gpuE3ELNS1_3repE0EEENS1_36merge_oddeven_config_static_selectorELNS0_4arch9wavefront6targetE0EEEvSF_.private_seg_size, 0
	.set _ZN7rocprim17ROCPRIM_400000_NS6detail17trampoline_kernelINS0_14default_configENS1_38merge_sort_block_merge_config_selectorIsNS0_10empty_typeEEEZZNS1_27merge_sort_block_merge_implIS3_PsPS5_jNS1_19radix_merge_compareILb1ELb1EsNS0_19identity_decomposerEEEEE10hipError_tT0_T1_T2_jT3_P12ihipStream_tbPNSt15iterator_traitsISE_E10value_typeEPNSK_ISF_E10value_typeEPSG_NS1_7vsmem_tEENKUlT_SE_SF_SG_E_clIS8_S8_S9_S9_EESD_ST_SE_SF_SG_EUlST_E1_NS1_11comp_targetILNS1_3genE9ELNS1_11target_archE1100ELNS1_3gpuE3ELNS1_3repE0EEENS1_36merge_oddeven_config_static_selectorELNS0_4arch9wavefront6targetE0EEEvSF_.uses_vcc, 0
	.set _ZN7rocprim17ROCPRIM_400000_NS6detail17trampoline_kernelINS0_14default_configENS1_38merge_sort_block_merge_config_selectorIsNS0_10empty_typeEEEZZNS1_27merge_sort_block_merge_implIS3_PsPS5_jNS1_19radix_merge_compareILb1ELb1EsNS0_19identity_decomposerEEEEE10hipError_tT0_T1_T2_jT3_P12ihipStream_tbPNSt15iterator_traitsISE_E10value_typeEPNSK_ISF_E10value_typeEPSG_NS1_7vsmem_tEENKUlT_SE_SF_SG_E_clIS8_S8_S9_S9_EESD_ST_SE_SF_SG_EUlST_E1_NS1_11comp_targetILNS1_3genE9ELNS1_11target_archE1100ELNS1_3gpuE3ELNS1_3repE0EEENS1_36merge_oddeven_config_static_selectorELNS0_4arch9wavefront6targetE0EEEvSF_.uses_flat_scratch, 0
	.set _ZN7rocprim17ROCPRIM_400000_NS6detail17trampoline_kernelINS0_14default_configENS1_38merge_sort_block_merge_config_selectorIsNS0_10empty_typeEEEZZNS1_27merge_sort_block_merge_implIS3_PsPS5_jNS1_19radix_merge_compareILb1ELb1EsNS0_19identity_decomposerEEEEE10hipError_tT0_T1_T2_jT3_P12ihipStream_tbPNSt15iterator_traitsISE_E10value_typeEPNSK_ISF_E10value_typeEPSG_NS1_7vsmem_tEENKUlT_SE_SF_SG_E_clIS8_S8_S9_S9_EESD_ST_SE_SF_SG_EUlST_E1_NS1_11comp_targetILNS1_3genE9ELNS1_11target_archE1100ELNS1_3gpuE3ELNS1_3repE0EEENS1_36merge_oddeven_config_static_selectorELNS0_4arch9wavefront6targetE0EEEvSF_.has_dyn_sized_stack, 0
	.set _ZN7rocprim17ROCPRIM_400000_NS6detail17trampoline_kernelINS0_14default_configENS1_38merge_sort_block_merge_config_selectorIsNS0_10empty_typeEEEZZNS1_27merge_sort_block_merge_implIS3_PsPS5_jNS1_19radix_merge_compareILb1ELb1EsNS0_19identity_decomposerEEEEE10hipError_tT0_T1_T2_jT3_P12ihipStream_tbPNSt15iterator_traitsISE_E10value_typeEPNSK_ISF_E10value_typeEPSG_NS1_7vsmem_tEENKUlT_SE_SF_SG_E_clIS8_S8_S9_S9_EESD_ST_SE_SF_SG_EUlST_E1_NS1_11comp_targetILNS1_3genE9ELNS1_11target_archE1100ELNS1_3gpuE3ELNS1_3repE0EEENS1_36merge_oddeven_config_static_selectorELNS0_4arch9wavefront6targetE0EEEvSF_.has_recursion, 0
	.set _ZN7rocprim17ROCPRIM_400000_NS6detail17trampoline_kernelINS0_14default_configENS1_38merge_sort_block_merge_config_selectorIsNS0_10empty_typeEEEZZNS1_27merge_sort_block_merge_implIS3_PsPS5_jNS1_19radix_merge_compareILb1ELb1EsNS0_19identity_decomposerEEEEE10hipError_tT0_T1_T2_jT3_P12ihipStream_tbPNSt15iterator_traitsISE_E10value_typeEPNSK_ISF_E10value_typeEPSG_NS1_7vsmem_tEENKUlT_SE_SF_SG_E_clIS8_S8_S9_S9_EESD_ST_SE_SF_SG_EUlST_E1_NS1_11comp_targetILNS1_3genE9ELNS1_11target_archE1100ELNS1_3gpuE3ELNS1_3repE0EEENS1_36merge_oddeven_config_static_selectorELNS0_4arch9wavefront6targetE0EEEvSF_.has_indirect_call, 0
	.section	.AMDGPU.csdata,"",@progbits
; Kernel info:
; codeLenInByte = 0
; TotalNumSgprs: 0
; NumVgprs: 0
; ScratchSize: 0
; MemoryBound: 0
; FloatMode: 240
; IeeeMode: 1
; LDSByteSize: 0 bytes/workgroup (compile time only)
; SGPRBlocks: 0
; VGPRBlocks: 0
; NumSGPRsForWavesPerEU: 1
; NumVGPRsForWavesPerEU: 1
; NamedBarCnt: 0
; Occupancy: 16
; WaveLimiterHint : 0
; COMPUTE_PGM_RSRC2:SCRATCH_EN: 0
; COMPUTE_PGM_RSRC2:USER_SGPR: 2
; COMPUTE_PGM_RSRC2:TRAP_HANDLER: 0
; COMPUTE_PGM_RSRC2:TGID_X_EN: 1
; COMPUTE_PGM_RSRC2:TGID_Y_EN: 0
; COMPUTE_PGM_RSRC2:TGID_Z_EN: 0
; COMPUTE_PGM_RSRC2:TIDIG_COMP_CNT: 0
	.section	.text._ZN7rocprim17ROCPRIM_400000_NS6detail17trampoline_kernelINS0_14default_configENS1_38merge_sort_block_merge_config_selectorIsNS0_10empty_typeEEEZZNS1_27merge_sort_block_merge_implIS3_PsPS5_jNS1_19radix_merge_compareILb1ELb1EsNS0_19identity_decomposerEEEEE10hipError_tT0_T1_T2_jT3_P12ihipStream_tbPNSt15iterator_traitsISE_E10value_typeEPNSK_ISF_E10value_typeEPSG_NS1_7vsmem_tEENKUlT_SE_SF_SG_E_clIS8_S8_S9_S9_EESD_ST_SE_SF_SG_EUlST_E1_NS1_11comp_targetILNS1_3genE8ELNS1_11target_archE1030ELNS1_3gpuE2ELNS1_3repE0EEENS1_36merge_oddeven_config_static_selectorELNS0_4arch9wavefront6targetE0EEEvSF_,"axG",@progbits,_ZN7rocprim17ROCPRIM_400000_NS6detail17trampoline_kernelINS0_14default_configENS1_38merge_sort_block_merge_config_selectorIsNS0_10empty_typeEEEZZNS1_27merge_sort_block_merge_implIS3_PsPS5_jNS1_19radix_merge_compareILb1ELb1EsNS0_19identity_decomposerEEEEE10hipError_tT0_T1_T2_jT3_P12ihipStream_tbPNSt15iterator_traitsISE_E10value_typeEPNSK_ISF_E10value_typeEPSG_NS1_7vsmem_tEENKUlT_SE_SF_SG_E_clIS8_S8_S9_S9_EESD_ST_SE_SF_SG_EUlST_E1_NS1_11comp_targetILNS1_3genE8ELNS1_11target_archE1030ELNS1_3gpuE2ELNS1_3repE0EEENS1_36merge_oddeven_config_static_selectorELNS0_4arch9wavefront6targetE0EEEvSF_,comdat
	.protected	_ZN7rocprim17ROCPRIM_400000_NS6detail17trampoline_kernelINS0_14default_configENS1_38merge_sort_block_merge_config_selectorIsNS0_10empty_typeEEEZZNS1_27merge_sort_block_merge_implIS3_PsPS5_jNS1_19radix_merge_compareILb1ELb1EsNS0_19identity_decomposerEEEEE10hipError_tT0_T1_T2_jT3_P12ihipStream_tbPNSt15iterator_traitsISE_E10value_typeEPNSK_ISF_E10value_typeEPSG_NS1_7vsmem_tEENKUlT_SE_SF_SG_E_clIS8_S8_S9_S9_EESD_ST_SE_SF_SG_EUlST_E1_NS1_11comp_targetILNS1_3genE8ELNS1_11target_archE1030ELNS1_3gpuE2ELNS1_3repE0EEENS1_36merge_oddeven_config_static_selectorELNS0_4arch9wavefront6targetE0EEEvSF_ ; -- Begin function _ZN7rocprim17ROCPRIM_400000_NS6detail17trampoline_kernelINS0_14default_configENS1_38merge_sort_block_merge_config_selectorIsNS0_10empty_typeEEEZZNS1_27merge_sort_block_merge_implIS3_PsPS5_jNS1_19radix_merge_compareILb1ELb1EsNS0_19identity_decomposerEEEEE10hipError_tT0_T1_T2_jT3_P12ihipStream_tbPNSt15iterator_traitsISE_E10value_typeEPNSK_ISF_E10value_typeEPSG_NS1_7vsmem_tEENKUlT_SE_SF_SG_E_clIS8_S8_S9_S9_EESD_ST_SE_SF_SG_EUlST_E1_NS1_11comp_targetILNS1_3genE8ELNS1_11target_archE1030ELNS1_3gpuE2ELNS1_3repE0EEENS1_36merge_oddeven_config_static_selectorELNS0_4arch9wavefront6targetE0EEEvSF_
	.globl	_ZN7rocprim17ROCPRIM_400000_NS6detail17trampoline_kernelINS0_14default_configENS1_38merge_sort_block_merge_config_selectorIsNS0_10empty_typeEEEZZNS1_27merge_sort_block_merge_implIS3_PsPS5_jNS1_19radix_merge_compareILb1ELb1EsNS0_19identity_decomposerEEEEE10hipError_tT0_T1_T2_jT3_P12ihipStream_tbPNSt15iterator_traitsISE_E10value_typeEPNSK_ISF_E10value_typeEPSG_NS1_7vsmem_tEENKUlT_SE_SF_SG_E_clIS8_S8_S9_S9_EESD_ST_SE_SF_SG_EUlST_E1_NS1_11comp_targetILNS1_3genE8ELNS1_11target_archE1030ELNS1_3gpuE2ELNS1_3repE0EEENS1_36merge_oddeven_config_static_selectorELNS0_4arch9wavefront6targetE0EEEvSF_
	.p2align	8
	.type	_ZN7rocprim17ROCPRIM_400000_NS6detail17trampoline_kernelINS0_14default_configENS1_38merge_sort_block_merge_config_selectorIsNS0_10empty_typeEEEZZNS1_27merge_sort_block_merge_implIS3_PsPS5_jNS1_19radix_merge_compareILb1ELb1EsNS0_19identity_decomposerEEEEE10hipError_tT0_T1_T2_jT3_P12ihipStream_tbPNSt15iterator_traitsISE_E10value_typeEPNSK_ISF_E10value_typeEPSG_NS1_7vsmem_tEENKUlT_SE_SF_SG_E_clIS8_S8_S9_S9_EESD_ST_SE_SF_SG_EUlST_E1_NS1_11comp_targetILNS1_3genE8ELNS1_11target_archE1030ELNS1_3gpuE2ELNS1_3repE0EEENS1_36merge_oddeven_config_static_selectorELNS0_4arch9wavefront6targetE0EEEvSF_,@function
_ZN7rocprim17ROCPRIM_400000_NS6detail17trampoline_kernelINS0_14default_configENS1_38merge_sort_block_merge_config_selectorIsNS0_10empty_typeEEEZZNS1_27merge_sort_block_merge_implIS3_PsPS5_jNS1_19radix_merge_compareILb1ELb1EsNS0_19identity_decomposerEEEEE10hipError_tT0_T1_T2_jT3_P12ihipStream_tbPNSt15iterator_traitsISE_E10value_typeEPNSK_ISF_E10value_typeEPSG_NS1_7vsmem_tEENKUlT_SE_SF_SG_E_clIS8_S8_S9_S9_EESD_ST_SE_SF_SG_EUlST_E1_NS1_11comp_targetILNS1_3genE8ELNS1_11target_archE1030ELNS1_3gpuE2ELNS1_3repE0EEENS1_36merge_oddeven_config_static_selectorELNS0_4arch9wavefront6targetE0EEEvSF_: ; @_ZN7rocprim17ROCPRIM_400000_NS6detail17trampoline_kernelINS0_14default_configENS1_38merge_sort_block_merge_config_selectorIsNS0_10empty_typeEEEZZNS1_27merge_sort_block_merge_implIS3_PsPS5_jNS1_19radix_merge_compareILb1ELb1EsNS0_19identity_decomposerEEEEE10hipError_tT0_T1_T2_jT3_P12ihipStream_tbPNSt15iterator_traitsISE_E10value_typeEPNSK_ISF_E10value_typeEPSG_NS1_7vsmem_tEENKUlT_SE_SF_SG_E_clIS8_S8_S9_S9_EESD_ST_SE_SF_SG_EUlST_E1_NS1_11comp_targetILNS1_3genE8ELNS1_11target_archE1030ELNS1_3gpuE2ELNS1_3repE0EEENS1_36merge_oddeven_config_static_selectorELNS0_4arch9wavefront6targetE0EEEvSF_
; %bb.0:
	.section	.rodata,"a",@progbits
	.p2align	6, 0x0
	.amdhsa_kernel _ZN7rocprim17ROCPRIM_400000_NS6detail17trampoline_kernelINS0_14default_configENS1_38merge_sort_block_merge_config_selectorIsNS0_10empty_typeEEEZZNS1_27merge_sort_block_merge_implIS3_PsPS5_jNS1_19radix_merge_compareILb1ELb1EsNS0_19identity_decomposerEEEEE10hipError_tT0_T1_T2_jT3_P12ihipStream_tbPNSt15iterator_traitsISE_E10value_typeEPNSK_ISF_E10value_typeEPSG_NS1_7vsmem_tEENKUlT_SE_SF_SG_E_clIS8_S8_S9_S9_EESD_ST_SE_SF_SG_EUlST_E1_NS1_11comp_targetILNS1_3genE8ELNS1_11target_archE1030ELNS1_3gpuE2ELNS1_3repE0EEENS1_36merge_oddeven_config_static_selectorELNS0_4arch9wavefront6targetE0EEEvSF_
		.amdhsa_group_segment_fixed_size 0
		.amdhsa_private_segment_fixed_size 0
		.amdhsa_kernarg_size 48
		.amdhsa_user_sgpr_count 2
		.amdhsa_user_sgpr_dispatch_ptr 0
		.amdhsa_user_sgpr_queue_ptr 0
		.amdhsa_user_sgpr_kernarg_segment_ptr 1
		.amdhsa_user_sgpr_dispatch_id 0
		.amdhsa_user_sgpr_kernarg_preload_length 0
		.amdhsa_user_sgpr_kernarg_preload_offset 0
		.amdhsa_user_sgpr_private_segment_size 0
		.amdhsa_wavefront_size32 1
		.amdhsa_uses_dynamic_stack 0
		.amdhsa_enable_private_segment 0
		.amdhsa_system_sgpr_workgroup_id_x 1
		.amdhsa_system_sgpr_workgroup_id_y 0
		.amdhsa_system_sgpr_workgroup_id_z 0
		.amdhsa_system_sgpr_workgroup_info 0
		.amdhsa_system_vgpr_workitem_id 0
		.amdhsa_next_free_vgpr 1
		.amdhsa_next_free_sgpr 1
		.amdhsa_named_barrier_count 0
		.amdhsa_reserve_vcc 0
		.amdhsa_float_round_mode_32 0
		.amdhsa_float_round_mode_16_64 0
		.amdhsa_float_denorm_mode_32 3
		.amdhsa_float_denorm_mode_16_64 3
		.amdhsa_fp16_overflow 0
		.amdhsa_memory_ordered 1
		.amdhsa_forward_progress 1
		.amdhsa_inst_pref_size 0
		.amdhsa_round_robin_scheduling 0
		.amdhsa_exception_fp_ieee_invalid_op 0
		.amdhsa_exception_fp_denorm_src 0
		.amdhsa_exception_fp_ieee_div_zero 0
		.amdhsa_exception_fp_ieee_overflow 0
		.amdhsa_exception_fp_ieee_underflow 0
		.amdhsa_exception_fp_ieee_inexact 0
		.amdhsa_exception_int_div_zero 0
	.end_amdhsa_kernel
	.section	.text._ZN7rocprim17ROCPRIM_400000_NS6detail17trampoline_kernelINS0_14default_configENS1_38merge_sort_block_merge_config_selectorIsNS0_10empty_typeEEEZZNS1_27merge_sort_block_merge_implIS3_PsPS5_jNS1_19radix_merge_compareILb1ELb1EsNS0_19identity_decomposerEEEEE10hipError_tT0_T1_T2_jT3_P12ihipStream_tbPNSt15iterator_traitsISE_E10value_typeEPNSK_ISF_E10value_typeEPSG_NS1_7vsmem_tEENKUlT_SE_SF_SG_E_clIS8_S8_S9_S9_EESD_ST_SE_SF_SG_EUlST_E1_NS1_11comp_targetILNS1_3genE8ELNS1_11target_archE1030ELNS1_3gpuE2ELNS1_3repE0EEENS1_36merge_oddeven_config_static_selectorELNS0_4arch9wavefront6targetE0EEEvSF_,"axG",@progbits,_ZN7rocprim17ROCPRIM_400000_NS6detail17trampoline_kernelINS0_14default_configENS1_38merge_sort_block_merge_config_selectorIsNS0_10empty_typeEEEZZNS1_27merge_sort_block_merge_implIS3_PsPS5_jNS1_19radix_merge_compareILb1ELb1EsNS0_19identity_decomposerEEEEE10hipError_tT0_T1_T2_jT3_P12ihipStream_tbPNSt15iterator_traitsISE_E10value_typeEPNSK_ISF_E10value_typeEPSG_NS1_7vsmem_tEENKUlT_SE_SF_SG_E_clIS8_S8_S9_S9_EESD_ST_SE_SF_SG_EUlST_E1_NS1_11comp_targetILNS1_3genE8ELNS1_11target_archE1030ELNS1_3gpuE2ELNS1_3repE0EEENS1_36merge_oddeven_config_static_selectorELNS0_4arch9wavefront6targetE0EEEvSF_,comdat
.Lfunc_end575:
	.size	_ZN7rocprim17ROCPRIM_400000_NS6detail17trampoline_kernelINS0_14default_configENS1_38merge_sort_block_merge_config_selectorIsNS0_10empty_typeEEEZZNS1_27merge_sort_block_merge_implIS3_PsPS5_jNS1_19radix_merge_compareILb1ELb1EsNS0_19identity_decomposerEEEEE10hipError_tT0_T1_T2_jT3_P12ihipStream_tbPNSt15iterator_traitsISE_E10value_typeEPNSK_ISF_E10value_typeEPSG_NS1_7vsmem_tEENKUlT_SE_SF_SG_E_clIS8_S8_S9_S9_EESD_ST_SE_SF_SG_EUlST_E1_NS1_11comp_targetILNS1_3genE8ELNS1_11target_archE1030ELNS1_3gpuE2ELNS1_3repE0EEENS1_36merge_oddeven_config_static_selectorELNS0_4arch9wavefront6targetE0EEEvSF_, .Lfunc_end575-_ZN7rocprim17ROCPRIM_400000_NS6detail17trampoline_kernelINS0_14default_configENS1_38merge_sort_block_merge_config_selectorIsNS0_10empty_typeEEEZZNS1_27merge_sort_block_merge_implIS3_PsPS5_jNS1_19radix_merge_compareILb1ELb1EsNS0_19identity_decomposerEEEEE10hipError_tT0_T1_T2_jT3_P12ihipStream_tbPNSt15iterator_traitsISE_E10value_typeEPNSK_ISF_E10value_typeEPSG_NS1_7vsmem_tEENKUlT_SE_SF_SG_E_clIS8_S8_S9_S9_EESD_ST_SE_SF_SG_EUlST_E1_NS1_11comp_targetILNS1_3genE8ELNS1_11target_archE1030ELNS1_3gpuE2ELNS1_3repE0EEENS1_36merge_oddeven_config_static_selectorELNS0_4arch9wavefront6targetE0EEEvSF_
                                        ; -- End function
	.set _ZN7rocprim17ROCPRIM_400000_NS6detail17trampoline_kernelINS0_14default_configENS1_38merge_sort_block_merge_config_selectorIsNS0_10empty_typeEEEZZNS1_27merge_sort_block_merge_implIS3_PsPS5_jNS1_19radix_merge_compareILb1ELb1EsNS0_19identity_decomposerEEEEE10hipError_tT0_T1_T2_jT3_P12ihipStream_tbPNSt15iterator_traitsISE_E10value_typeEPNSK_ISF_E10value_typeEPSG_NS1_7vsmem_tEENKUlT_SE_SF_SG_E_clIS8_S8_S9_S9_EESD_ST_SE_SF_SG_EUlST_E1_NS1_11comp_targetILNS1_3genE8ELNS1_11target_archE1030ELNS1_3gpuE2ELNS1_3repE0EEENS1_36merge_oddeven_config_static_selectorELNS0_4arch9wavefront6targetE0EEEvSF_.num_vgpr, 0
	.set _ZN7rocprim17ROCPRIM_400000_NS6detail17trampoline_kernelINS0_14default_configENS1_38merge_sort_block_merge_config_selectorIsNS0_10empty_typeEEEZZNS1_27merge_sort_block_merge_implIS3_PsPS5_jNS1_19radix_merge_compareILb1ELb1EsNS0_19identity_decomposerEEEEE10hipError_tT0_T1_T2_jT3_P12ihipStream_tbPNSt15iterator_traitsISE_E10value_typeEPNSK_ISF_E10value_typeEPSG_NS1_7vsmem_tEENKUlT_SE_SF_SG_E_clIS8_S8_S9_S9_EESD_ST_SE_SF_SG_EUlST_E1_NS1_11comp_targetILNS1_3genE8ELNS1_11target_archE1030ELNS1_3gpuE2ELNS1_3repE0EEENS1_36merge_oddeven_config_static_selectorELNS0_4arch9wavefront6targetE0EEEvSF_.num_agpr, 0
	.set _ZN7rocprim17ROCPRIM_400000_NS6detail17trampoline_kernelINS0_14default_configENS1_38merge_sort_block_merge_config_selectorIsNS0_10empty_typeEEEZZNS1_27merge_sort_block_merge_implIS3_PsPS5_jNS1_19radix_merge_compareILb1ELb1EsNS0_19identity_decomposerEEEEE10hipError_tT0_T1_T2_jT3_P12ihipStream_tbPNSt15iterator_traitsISE_E10value_typeEPNSK_ISF_E10value_typeEPSG_NS1_7vsmem_tEENKUlT_SE_SF_SG_E_clIS8_S8_S9_S9_EESD_ST_SE_SF_SG_EUlST_E1_NS1_11comp_targetILNS1_3genE8ELNS1_11target_archE1030ELNS1_3gpuE2ELNS1_3repE0EEENS1_36merge_oddeven_config_static_selectorELNS0_4arch9wavefront6targetE0EEEvSF_.numbered_sgpr, 0
	.set _ZN7rocprim17ROCPRIM_400000_NS6detail17trampoline_kernelINS0_14default_configENS1_38merge_sort_block_merge_config_selectorIsNS0_10empty_typeEEEZZNS1_27merge_sort_block_merge_implIS3_PsPS5_jNS1_19radix_merge_compareILb1ELb1EsNS0_19identity_decomposerEEEEE10hipError_tT0_T1_T2_jT3_P12ihipStream_tbPNSt15iterator_traitsISE_E10value_typeEPNSK_ISF_E10value_typeEPSG_NS1_7vsmem_tEENKUlT_SE_SF_SG_E_clIS8_S8_S9_S9_EESD_ST_SE_SF_SG_EUlST_E1_NS1_11comp_targetILNS1_3genE8ELNS1_11target_archE1030ELNS1_3gpuE2ELNS1_3repE0EEENS1_36merge_oddeven_config_static_selectorELNS0_4arch9wavefront6targetE0EEEvSF_.num_named_barrier, 0
	.set _ZN7rocprim17ROCPRIM_400000_NS6detail17trampoline_kernelINS0_14default_configENS1_38merge_sort_block_merge_config_selectorIsNS0_10empty_typeEEEZZNS1_27merge_sort_block_merge_implIS3_PsPS5_jNS1_19radix_merge_compareILb1ELb1EsNS0_19identity_decomposerEEEEE10hipError_tT0_T1_T2_jT3_P12ihipStream_tbPNSt15iterator_traitsISE_E10value_typeEPNSK_ISF_E10value_typeEPSG_NS1_7vsmem_tEENKUlT_SE_SF_SG_E_clIS8_S8_S9_S9_EESD_ST_SE_SF_SG_EUlST_E1_NS1_11comp_targetILNS1_3genE8ELNS1_11target_archE1030ELNS1_3gpuE2ELNS1_3repE0EEENS1_36merge_oddeven_config_static_selectorELNS0_4arch9wavefront6targetE0EEEvSF_.private_seg_size, 0
	.set _ZN7rocprim17ROCPRIM_400000_NS6detail17trampoline_kernelINS0_14default_configENS1_38merge_sort_block_merge_config_selectorIsNS0_10empty_typeEEEZZNS1_27merge_sort_block_merge_implIS3_PsPS5_jNS1_19radix_merge_compareILb1ELb1EsNS0_19identity_decomposerEEEEE10hipError_tT0_T1_T2_jT3_P12ihipStream_tbPNSt15iterator_traitsISE_E10value_typeEPNSK_ISF_E10value_typeEPSG_NS1_7vsmem_tEENKUlT_SE_SF_SG_E_clIS8_S8_S9_S9_EESD_ST_SE_SF_SG_EUlST_E1_NS1_11comp_targetILNS1_3genE8ELNS1_11target_archE1030ELNS1_3gpuE2ELNS1_3repE0EEENS1_36merge_oddeven_config_static_selectorELNS0_4arch9wavefront6targetE0EEEvSF_.uses_vcc, 0
	.set _ZN7rocprim17ROCPRIM_400000_NS6detail17trampoline_kernelINS0_14default_configENS1_38merge_sort_block_merge_config_selectorIsNS0_10empty_typeEEEZZNS1_27merge_sort_block_merge_implIS3_PsPS5_jNS1_19radix_merge_compareILb1ELb1EsNS0_19identity_decomposerEEEEE10hipError_tT0_T1_T2_jT3_P12ihipStream_tbPNSt15iterator_traitsISE_E10value_typeEPNSK_ISF_E10value_typeEPSG_NS1_7vsmem_tEENKUlT_SE_SF_SG_E_clIS8_S8_S9_S9_EESD_ST_SE_SF_SG_EUlST_E1_NS1_11comp_targetILNS1_3genE8ELNS1_11target_archE1030ELNS1_3gpuE2ELNS1_3repE0EEENS1_36merge_oddeven_config_static_selectorELNS0_4arch9wavefront6targetE0EEEvSF_.uses_flat_scratch, 0
	.set _ZN7rocprim17ROCPRIM_400000_NS6detail17trampoline_kernelINS0_14default_configENS1_38merge_sort_block_merge_config_selectorIsNS0_10empty_typeEEEZZNS1_27merge_sort_block_merge_implIS3_PsPS5_jNS1_19radix_merge_compareILb1ELb1EsNS0_19identity_decomposerEEEEE10hipError_tT0_T1_T2_jT3_P12ihipStream_tbPNSt15iterator_traitsISE_E10value_typeEPNSK_ISF_E10value_typeEPSG_NS1_7vsmem_tEENKUlT_SE_SF_SG_E_clIS8_S8_S9_S9_EESD_ST_SE_SF_SG_EUlST_E1_NS1_11comp_targetILNS1_3genE8ELNS1_11target_archE1030ELNS1_3gpuE2ELNS1_3repE0EEENS1_36merge_oddeven_config_static_selectorELNS0_4arch9wavefront6targetE0EEEvSF_.has_dyn_sized_stack, 0
	.set _ZN7rocprim17ROCPRIM_400000_NS6detail17trampoline_kernelINS0_14default_configENS1_38merge_sort_block_merge_config_selectorIsNS0_10empty_typeEEEZZNS1_27merge_sort_block_merge_implIS3_PsPS5_jNS1_19radix_merge_compareILb1ELb1EsNS0_19identity_decomposerEEEEE10hipError_tT0_T1_T2_jT3_P12ihipStream_tbPNSt15iterator_traitsISE_E10value_typeEPNSK_ISF_E10value_typeEPSG_NS1_7vsmem_tEENKUlT_SE_SF_SG_E_clIS8_S8_S9_S9_EESD_ST_SE_SF_SG_EUlST_E1_NS1_11comp_targetILNS1_3genE8ELNS1_11target_archE1030ELNS1_3gpuE2ELNS1_3repE0EEENS1_36merge_oddeven_config_static_selectorELNS0_4arch9wavefront6targetE0EEEvSF_.has_recursion, 0
	.set _ZN7rocprim17ROCPRIM_400000_NS6detail17trampoline_kernelINS0_14default_configENS1_38merge_sort_block_merge_config_selectorIsNS0_10empty_typeEEEZZNS1_27merge_sort_block_merge_implIS3_PsPS5_jNS1_19radix_merge_compareILb1ELb1EsNS0_19identity_decomposerEEEEE10hipError_tT0_T1_T2_jT3_P12ihipStream_tbPNSt15iterator_traitsISE_E10value_typeEPNSK_ISF_E10value_typeEPSG_NS1_7vsmem_tEENKUlT_SE_SF_SG_E_clIS8_S8_S9_S9_EESD_ST_SE_SF_SG_EUlST_E1_NS1_11comp_targetILNS1_3genE8ELNS1_11target_archE1030ELNS1_3gpuE2ELNS1_3repE0EEENS1_36merge_oddeven_config_static_selectorELNS0_4arch9wavefront6targetE0EEEvSF_.has_indirect_call, 0
	.section	.AMDGPU.csdata,"",@progbits
; Kernel info:
; codeLenInByte = 0
; TotalNumSgprs: 0
; NumVgprs: 0
; ScratchSize: 0
; MemoryBound: 0
; FloatMode: 240
; IeeeMode: 1
; LDSByteSize: 0 bytes/workgroup (compile time only)
; SGPRBlocks: 0
; VGPRBlocks: 0
; NumSGPRsForWavesPerEU: 1
; NumVGPRsForWavesPerEU: 1
; NamedBarCnt: 0
; Occupancy: 16
; WaveLimiterHint : 0
; COMPUTE_PGM_RSRC2:SCRATCH_EN: 0
; COMPUTE_PGM_RSRC2:USER_SGPR: 2
; COMPUTE_PGM_RSRC2:TRAP_HANDLER: 0
; COMPUTE_PGM_RSRC2:TGID_X_EN: 1
; COMPUTE_PGM_RSRC2:TGID_Y_EN: 0
; COMPUTE_PGM_RSRC2:TGID_Z_EN: 0
; COMPUTE_PGM_RSRC2:TIDIG_COMP_CNT: 0
	.section	.text._ZN7rocprim17ROCPRIM_400000_NS6detail17trampoline_kernelINS0_14default_configENS1_35radix_sort_onesweep_config_selectorIsNS0_10empty_typeEEEZNS1_34radix_sort_onesweep_global_offsetsIS3_Lb1EPKsPS5_mNS0_19identity_decomposerEEE10hipError_tT1_T2_PT3_SF_jT4_jjP12ihipStream_tbEUlT_E_NS1_11comp_targetILNS1_3genE0ELNS1_11target_archE4294967295ELNS1_3gpuE0ELNS1_3repE0EEENS1_52radix_sort_onesweep_histogram_config_static_selectorELNS0_4arch9wavefront6targetE0EEEvSD_,"axG",@progbits,_ZN7rocprim17ROCPRIM_400000_NS6detail17trampoline_kernelINS0_14default_configENS1_35radix_sort_onesweep_config_selectorIsNS0_10empty_typeEEEZNS1_34radix_sort_onesweep_global_offsetsIS3_Lb1EPKsPS5_mNS0_19identity_decomposerEEE10hipError_tT1_T2_PT3_SF_jT4_jjP12ihipStream_tbEUlT_E_NS1_11comp_targetILNS1_3genE0ELNS1_11target_archE4294967295ELNS1_3gpuE0ELNS1_3repE0EEENS1_52radix_sort_onesweep_histogram_config_static_selectorELNS0_4arch9wavefront6targetE0EEEvSD_,comdat
	.protected	_ZN7rocprim17ROCPRIM_400000_NS6detail17trampoline_kernelINS0_14default_configENS1_35radix_sort_onesweep_config_selectorIsNS0_10empty_typeEEEZNS1_34radix_sort_onesweep_global_offsetsIS3_Lb1EPKsPS5_mNS0_19identity_decomposerEEE10hipError_tT1_T2_PT3_SF_jT4_jjP12ihipStream_tbEUlT_E_NS1_11comp_targetILNS1_3genE0ELNS1_11target_archE4294967295ELNS1_3gpuE0ELNS1_3repE0EEENS1_52radix_sort_onesweep_histogram_config_static_selectorELNS0_4arch9wavefront6targetE0EEEvSD_ ; -- Begin function _ZN7rocprim17ROCPRIM_400000_NS6detail17trampoline_kernelINS0_14default_configENS1_35radix_sort_onesweep_config_selectorIsNS0_10empty_typeEEEZNS1_34radix_sort_onesweep_global_offsetsIS3_Lb1EPKsPS5_mNS0_19identity_decomposerEEE10hipError_tT1_T2_PT3_SF_jT4_jjP12ihipStream_tbEUlT_E_NS1_11comp_targetILNS1_3genE0ELNS1_11target_archE4294967295ELNS1_3gpuE0ELNS1_3repE0EEENS1_52radix_sort_onesweep_histogram_config_static_selectorELNS0_4arch9wavefront6targetE0EEEvSD_
	.globl	_ZN7rocprim17ROCPRIM_400000_NS6detail17trampoline_kernelINS0_14default_configENS1_35radix_sort_onesweep_config_selectorIsNS0_10empty_typeEEEZNS1_34radix_sort_onesweep_global_offsetsIS3_Lb1EPKsPS5_mNS0_19identity_decomposerEEE10hipError_tT1_T2_PT3_SF_jT4_jjP12ihipStream_tbEUlT_E_NS1_11comp_targetILNS1_3genE0ELNS1_11target_archE4294967295ELNS1_3gpuE0ELNS1_3repE0EEENS1_52radix_sort_onesweep_histogram_config_static_selectorELNS0_4arch9wavefront6targetE0EEEvSD_
	.p2align	8
	.type	_ZN7rocprim17ROCPRIM_400000_NS6detail17trampoline_kernelINS0_14default_configENS1_35radix_sort_onesweep_config_selectorIsNS0_10empty_typeEEEZNS1_34radix_sort_onesweep_global_offsetsIS3_Lb1EPKsPS5_mNS0_19identity_decomposerEEE10hipError_tT1_T2_PT3_SF_jT4_jjP12ihipStream_tbEUlT_E_NS1_11comp_targetILNS1_3genE0ELNS1_11target_archE4294967295ELNS1_3gpuE0ELNS1_3repE0EEENS1_52radix_sort_onesweep_histogram_config_static_selectorELNS0_4arch9wavefront6targetE0EEEvSD_,@function
_ZN7rocprim17ROCPRIM_400000_NS6detail17trampoline_kernelINS0_14default_configENS1_35radix_sort_onesweep_config_selectorIsNS0_10empty_typeEEEZNS1_34radix_sort_onesweep_global_offsetsIS3_Lb1EPKsPS5_mNS0_19identity_decomposerEEE10hipError_tT1_T2_PT3_SF_jT4_jjP12ihipStream_tbEUlT_E_NS1_11comp_targetILNS1_3genE0ELNS1_11target_archE4294967295ELNS1_3gpuE0ELNS1_3repE0EEENS1_52radix_sort_onesweep_histogram_config_static_selectorELNS0_4arch9wavefront6targetE0EEEvSD_: ; @_ZN7rocprim17ROCPRIM_400000_NS6detail17trampoline_kernelINS0_14default_configENS1_35radix_sort_onesweep_config_selectorIsNS0_10empty_typeEEEZNS1_34radix_sort_onesweep_global_offsetsIS3_Lb1EPKsPS5_mNS0_19identity_decomposerEEE10hipError_tT1_T2_PT3_SF_jT4_jjP12ihipStream_tbEUlT_E_NS1_11comp_targetILNS1_3genE0ELNS1_11target_archE4294967295ELNS1_3gpuE0ELNS1_3repE0EEENS1_52radix_sort_onesweep_histogram_config_static_selectorELNS0_4arch9wavefront6targetE0EEEvSD_
; %bb.0:
	s_clause 0x1
	s_load_b64 s[8:9], s[0:1], 0x18
	s_load_b128 s[4:7], s[0:1], 0x0
	s_bfe_u32 s10, ttmp6, 0x4000c
	s_load_b64 s[2:3], s[0:1], 0x24
	s_add_co_i32 s10, s10, 1
	s_and_b32 s11, ttmp6, 15
	s_mul_i32 s10, ttmp9, s10
	s_getreg_b32 s12, hwreg(HW_REG_IB_STS2, 6, 4)
	s_add_co_i32 s10, s11, s10
	s_cmp_eq_u32 s12, 0
	s_mov_b32 s11, 0
	s_cselect_b32 s10, ttmp9, s10
	s_wait_kmcnt 0x0
	v_cmp_le_u64_e64 s9, s[8:9], s[10:11]
	s_mul_u64 s[10:11], s[10:11], 0x3000
	s_delay_alu instid0(SALU_CYCLE_1)
	s_add_nc_u64 s[4:5], s[4:5], s[10:11]
	s_and_b32 vcc_lo, exec_lo, s9
	s_mov_b32 s9, -1
	s_cbranch_vccz .LBB576_119
; %bb.1:
	s_load_b32 s1, s[0:1], 0x10
	v_mov_b32_e32 v2, 0
	s_wait_xcnt 0x0
	s_mul_i32 s0, s8, 0xffffe800
	s_delay_alu instid0(VALU_DEP_1)
	v_dual_mov_b32 v3, v2 :: v_dual_mov_b32 v4, v2
	v_dual_mov_b32 v5, v2 :: v_dual_mov_b32 v6, v2
	v_mov_b32_e32 v7, v2
	s_wait_kmcnt 0x0
	s_add_co_i32 s1, s1, s0
	s_mov_b32 s0, exec_lo
	v_cmpx_gt_u32_e64 s1, v0
	s_cbranch_execz .LBB576_3
; %bb.2:
	global_load_u16 v1, v0, s[4:5] scale_offset
	v_dual_mov_b32 v5, v2 :: v_dual_mov_b32 v6, v2
	v_dual_mov_b32 v7, v2 :: v_dual_mov_b32 v8, v2
	v_mov_b32_e32 v9, v2
	s_wait_loadcnt 0x0
	v_and_b32_e32 v4, 0xffff, v1
	s_delay_alu instid0(VALU_DEP_1)
	v_mov_b64_e32 v[2:3], v[4:5]
	v_mov_b64_e32 v[4:5], v[6:7]
	;; [unrolled: 1-line block ×4, first 2 shown]
.LBB576_3:
	s_or_b32 exec_lo, exec_lo, s0
	v_or_b32_e32 v19, 0x200, v0
	s_mov_b32 s0, exec_lo
	s_delay_alu instid0(VALU_DEP_1)
	v_cmpx_gt_u32_e64 s1, v19
	s_cbranch_execz .LBB576_5
; %bb.4:
	global_load_u16 v1, v0, s[4:5] offset:1024 scale_offset
	s_wait_loadcnt 0x0
	v_perm_b32 v2, v1, v2, 0x5040100
.LBB576_5:
	s_or_b32 exec_lo, exec_lo, s0
	v_or_b32_e32 v18, 0x400, v0
	s_mov_b32 s0, exec_lo
	s_delay_alu instid0(VALU_DEP_1)
	v_cmpx_gt_u32_e64 s1, v18
	s_cbranch_execz .LBB576_7
; %bb.6:
	global_load_u16 v1, v0, s[4:5] offset:2048 scale_offset
	s_wait_loadcnt 0x0
	v_bfi_b32 v3, 0xffff, v1, v3
.LBB576_7:
	s_or_b32 exec_lo, exec_lo, s0
	v_or_b32_e32 v17, 0x600, v0
	s_mov_b32 s0, exec_lo
	s_delay_alu instid0(VALU_DEP_1)
	v_cmpx_gt_u32_e64 s1, v17
	s_cbranch_execz .LBB576_9
; %bb.8:
	global_load_u16 v1, v0, s[4:5] offset:3072 scale_offset
	s_wait_loadcnt 0x0
	v_perm_b32 v3, v1, v3, 0x5040100
.LBB576_9:
	s_or_b32 exec_lo, exec_lo, s0
	v_or_b32_e32 v16, 0x800, v0
	s_mov_b32 s0, exec_lo
	s_delay_alu instid0(VALU_DEP_1)
	v_cmpx_gt_u32_e64 s1, v16
	s_cbranch_execz .LBB576_11
; %bb.10:
	global_load_u16 v1, v0, s[4:5] offset:4096 scale_offset
	s_wait_loadcnt 0x0
	v_bfi_b32 v4, 0xffff, v1, v4
.LBB576_11:
	;; [unrolled: 22-line block ×5, first 2 shown]
	s_or_b32 exec_lo, exec_lo, s0
	v_or_b32_e32 v9, 0x1600, v0
	s_mov_b32 s0, exec_lo
	s_delay_alu instid0(VALU_DEP_1)
	v_cmpx_gt_u32_e64 s1, v9
	s_cbranch_execz .LBB576_25
; %bb.24:
	global_load_u16 v1, v0, s[4:5] offset:11264 scale_offset
	s_wait_loadcnt 0x0
	v_perm_b32 v7, v1, v7, 0x5040100
.LBB576_25:
	s_or_b32 exec_lo, exec_lo, s0
	v_dual_mov_b32 v8, 0 :: v_dual_lshlrev_b32 v1, 2, v0
	s_mov_b32 s0, -1
	ds_store_2addr_stride64_b32 v1, v8, v8 offset1:8
	s_and_saveexec_b32 s8, s0
; %bb.26:
	ds_store_b32 v1, v8 offset:4096
; %bb.27:
	s_or_b32 exec_lo, exec_lo, s8
	s_and_saveexec_b32 s8, s0
; %bb.28:
	v_mov_b32_e32 v8, 0
	ds_store_b32 v1, v8 offset:6144
; %bb.29:
	s_or_b32 exec_lo, exec_lo, s8
	s_cmp_le_u32 s3, s2
	v_xor_b32_e32 v20, 0x7fff, v2
	s_cselect_b32 s8, -1, 0
	v_cmp_le_u32_e32 vcc_lo, s1, v0
	s_and_b32 s0, s8, exec_lo
	s_cselect_b32 s9, 8, 10
	s_delay_alu instid0(SALU_CYCLE_1)
	v_dual_mov_b32 v21, s9 :: v_dual_bitop2_b32 v8, 3, v0 bitop3:0x40
	v_and_b32_e32 v20, 0xffff, v20
	s_nor_b32 s10, s8, vcc_lo
	s_wait_dscnt 0x0
	s_barrier_signal -1
	s_barrier_wait -1
	s_and_saveexec_b32 s0, s10
	s_cbranch_execz .LBB576_31
; %bb.30:
	v_lshrrev_b32_e32 v21, s2, v20
	s_sub_co_i32 s10, s3, s2
	v_lshlrev_b32_e32 v22, 2, v8
	s_min_u32 s10, s10, 8
	s_delay_alu instid0(VALU_DEP_2) | instid1(SALU_CYCLE_1)
	v_bfe_u32 v21, v21, 0, s10
	s_delay_alu instid0(VALU_DEP_1)
	v_lshl_or_b32 v21, v21, 4, v22
	v_mov_b32_e32 v22, 1
	ds_add_u32 v21, v22
	v_mov_b32_e32 v21, 0
.LBB576_31:
	s_or_b32 exec_lo, exec_lo, s0
	s_mov_b32 s10, -1
	s_mov_b32 s11, exec_lo
	s_delay_alu instid0(VALU_DEP_1)
	v_cmpx_gt_i32_e32 10, v21
; %bb.32:
	v_cmp_eq_u32_e64 s0, 0, v21
	s_or_not1_b32 s10, s0, exec_lo
; %bb.33:
	s_or_b32 exec_lo, exec_lo, s11
	s_and_saveexec_b32 s0, s10
	s_cbranch_execz .LBB576_36
; %bb.34:
	s_add_co_i32 s10, s2, 8
	s_delay_alu instid0(SALU_CYCLE_1) | instskip(SKIP_2) | instid1(SALU_CYCLE_1)
	s_cmp_gt_u32 s3, s10
	s_cselect_b32 s11, -1, 0
	s_xor_b32 s12, vcc_lo, -1
	s_and_b32 s11, s11, s12
	s_delay_alu instid0(SALU_CYCLE_1)
	s_and_b32 exec_lo, exec_lo, s11
	s_cbranch_execz .LBB576_36
; %bb.35:
	v_lshrrev_b32_e32 v20, s10, v20
	s_sub_co_i32 s10, s3, s10
	v_lshlrev_b32_e32 v21, 2, v8
	s_min_u32 s10, s10, 8
	s_delay_alu instid0(VALU_DEP_2) | instid1(SALU_CYCLE_1)
	v_bfe_u32 v20, v20, 0, s10
	s_delay_alu instid0(VALU_DEP_1)
	v_lshl_or_b32 v20, v20, 4, v21
	v_mov_b32_e32 v21, 1
	ds_add_u32 v20, v21 offset:4096
.LBB576_36:
	s_or_b32 exec_lo, exec_lo, s0
	v_lshrrev_b32_e32 v2, 16, v2
	v_cmp_le_u32_e32 vcc_lo, s1, v19
	v_mov_b32_e32 v19, s9
	s_delay_alu instid0(VALU_DEP_3) | instskip(SKIP_1) | instid1(VALU_DEP_1)
	v_xor_b32_e32 v2, 0x7fff, v2
	s_nor_b32 s10, s8, vcc_lo
	v_and_b32_e32 v2, 0xffff, v2
	s_and_saveexec_b32 s0, s10
	s_cbranch_execz .LBB576_38
; %bb.37:
	s_delay_alu instid0(VALU_DEP_1) | instskip(SKIP_1) | instid1(SALU_CYCLE_1)
	v_dual_lshrrev_b32 v19, s2, v2 :: v_dual_lshlrev_b32 v20, 2, v8
	s_sub_co_i32 s10, s3, s2
	s_min_u32 s10, s10, 8
	s_delay_alu instid0(VALU_DEP_1) | instid1(SALU_CYCLE_1)
	v_bfe_u32 v19, v19, 0, s10
	s_delay_alu instid0(VALU_DEP_1)
	v_lshl_or_b32 v19, v19, 4, v20
	v_mov_b32_e32 v20, 1
	ds_add_u32 v19, v20
	v_mov_b32_e32 v19, 0
.LBB576_38:
	s_or_b32 exec_lo, exec_lo, s0
	s_mov_b32 s10, -1
	s_mov_b32 s11, exec_lo
	s_delay_alu instid0(VALU_DEP_1)
	v_cmpx_gt_i32_e32 10, v19
; %bb.39:
	v_cmp_eq_u32_e64 s0, 0, v19
	s_or_not1_b32 s10, s0, exec_lo
; %bb.40:
	s_or_b32 exec_lo, exec_lo, s11
	s_and_saveexec_b32 s0, s10
	s_cbranch_execz .LBB576_43
; %bb.41:
	s_add_co_i32 s10, s2, 8
	s_delay_alu instid0(SALU_CYCLE_1) | instskip(SKIP_2) | instid1(SALU_CYCLE_1)
	s_cmp_gt_u32 s3, s10
	s_cselect_b32 s11, -1, 0
	s_xor_b32 s12, vcc_lo, -1
	s_and_b32 s11, s11, s12
	s_delay_alu instid0(SALU_CYCLE_1)
	s_and_b32 exec_lo, exec_lo, s11
	s_cbranch_execz .LBB576_43
; %bb.42:
	v_dual_lshrrev_b32 v2, s10, v2 :: v_dual_lshlrev_b32 v19, 2, v8
	s_sub_co_i32 s10, s3, s10
	s_delay_alu instid0(SALU_CYCLE_1)
	s_min_u32 s10, s10, 8
	s_delay_alu instid0(VALU_DEP_1) | instid1(SALU_CYCLE_1)
	v_bfe_u32 v2, v2, 0, s10
	s_delay_alu instid0(VALU_DEP_1)
	v_lshl_or_b32 v2, v2, 4, v19
	v_mov_b32_e32 v19, 1
	ds_add_u32 v2, v19 offset:4096
.LBB576_43:
	s_or_b32 exec_lo, exec_lo, s0
	v_xor_b32_e32 v2, 0x7fff, v3
	v_cmp_le_u32_e32 vcc_lo, s1, v18
	v_mov_b32_e32 v18, s9
	s_delay_alu instid0(VALU_DEP_3) | instskip(SKIP_1) | instid1(SALU_CYCLE_1)
	v_and_b32_e32 v2, 0xffff, v2
	s_nor_b32 s10, s8, vcc_lo
	s_and_saveexec_b32 s0, s10
	s_cbranch_execz .LBB576_45
; %bb.44:
	s_delay_alu instid0(VALU_DEP_1) | instskip(SKIP_1) | instid1(SALU_CYCLE_1)
	v_dual_lshrrev_b32 v18, s2, v2 :: v_dual_lshlrev_b32 v19, 2, v8
	s_sub_co_i32 s10, s3, s2
	s_min_u32 s10, s10, 8
	s_delay_alu instid0(VALU_DEP_1) | instid1(SALU_CYCLE_1)
	v_bfe_u32 v18, v18, 0, s10
	s_delay_alu instid0(VALU_DEP_1)
	v_lshl_or_b32 v18, v18, 4, v19
	v_mov_b32_e32 v19, 1
	ds_add_u32 v18, v19
	v_mov_b32_e32 v18, 0
.LBB576_45:
	s_or_b32 exec_lo, exec_lo, s0
	s_mov_b32 s10, -1
	s_mov_b32 s11, exec_lo
	s_delay_alu instid0(VALU_DEP_1)
	v_cmpx_gt_i32_e32 10, v18
; %bb.46:
	v_cmp_eq_u32_e64 s0, 0, v18
	s_or_not1_b32 s10, s0, exec_lo
; %bb.47:
	s_or_b32 exec_lo, exec_lo, s11
	s_and_saveexec_b32 s0, s10
	s_cbranch_execz .LBB576_50
; %bb.48:
	s_add_co_i32 s10, s2, 8
	s_delay_alu instid0(SALU_CYCLE_1) | instskip(SKIP_2) | instid1(SALU_CYCLE_1)
	s_cmp_gt_u32 s3, s10
	s_cselect_b32 s11, -1, 0
	s_xor_b32 s12, vcc_lo, -1
	s_and_b32 s11, s11, s12
	s_delay_alu instid0(SALU_CYCLE_1)
	s_and_b32 exec_lo, exec_lo, s11
	s_cbranch_execz .LBB576_50
; %bb.49:
	v_dual_lshrrev_b32 v2, s10, v2 :: v_dual_lshlrev_b32 v18, 2, v8
	s_sub_co_i32 s10, s3, s10
	s_delay_alu instid0(SALU_CYCLE_1)
	s_min_u32 s10, s10, 8
	s_delay_alu instid0(VALU_DEP_1) | instid1(SALU_CYCLE_1)
	v_bfe_u32 v2, v2, 0, s10
	s_delay_alu instid0(VALU_DEP_1)
	v_lshl_or_b32 v2, v2, 4, v18
	v_mov_b32_e32 v18, 1
	ds_add_u32 v2, v18 offset:4096
.LBB576_50:
	s_or_b32 exec_lo, exec_lo, s0
	v_dual_mov_b32 v3, s9 :: v_dual_lshrrev_b32 v2, 16, v3
	v_cmp_le_u32_e32 vcc_lo, s1, v17
	s_delay_alu instid0(VALU_DEP_2) | instskip(SKIP_1) | instid1(VALU_DEP_1)
	v_xor_b32_e32 v2, 0x7fff, v2
	s_nor_b32 s10, s8, vcc_lo
	v_and_b32_e32 v2, 0xffff, v2
	s_and_saveexec_b32 s0, s10
	s_cbranch_execz .LBB576_52
; %bb.51:
	s_delay_alu instid0(VALU_DEP_1) | instskip(SKIP_1) | instid1(SALU_CYCLE_1)
	v_dual_lshrrev_b32 v3, s2, v2 :: v_dual_lshlrev_b32 v17, 2, v8
	s_sub_co_i32 s10, s3, s2
	s_min_u32 s10, s10, 8
	s_delay_alu instid0(VALU_DEP_1) | instid1(SALU_CYCLE_1)
	v_bfe_u32 v3, v3, 0, s10
	s_delay_alu instid0(VALU_DEP_1)
	v_lshl_or_b32 v3, v3, 4, v17
	v_mov_b32_e32 v17, 1
	ds_add_u32 v3, v17
	v_mov_b32_e32 v3, 0
.LBB576_52:
	s_or_b32 exec_lo, exec_lo, s0
	s_mov_b32 s10, -1
	s_mov_b32 s11, exec_lo
	s_delay_alu instid0(VALU_DEP_1)
	v_cmpx_gt_i32_e32 10, v3
; %bb.53:
	v_cmp_eq_u32_e64 s0, 0, v3
	s_or_not1_b32 s10, s0, exec_lo
; %bb.54:
	s_or_b32 exec_lo, exec_lo, s11
	s_and_saveexec_b32 s0, s10
	s_cbranch_execz .LBB576_57
; %bb.55:
	s_add_co_i32 s10, s2, 8
	s_delay_alu instid0(SALU_CYCLE_1) | instskip(SKIP_2) | instid1(SALU_CYCLE_1)
	s_cmp_gt_u32 s3, s10
	s_cselect_b32 s11, -1, 0
	s_xor_b32 s12, vcc_lo, -1
	s_and_b32 s11, s11, s12
	s_delay_alu instid0(SALU_CYCLE_1)
	s_and_b32 exec_lo, exec_lo, s11
	s_cbranch_execz .LBB576_57
; %bb.56:
	v_dual_lshrrev_b32 v2, s10, v2 :: v_dual_lshlrev_b32 v3, 2, v8
	s_sub_co_i32 s10, s3, s10
	s_delay_alu instid0(SALU_CYCLE_1)
	s_min_u32 s10, s10, 8
	s_delay_alu instid0(VALU_DEP_1) | instid1(SALU_CYCLE_1)
	v_bfe_u32 v2, v2, 0, s10
	s_delay_alu instid0(VALU_DEP_1)
	v_lshl_or_b32 v2, v2, 4, v3
	v_mov_b32_e32 v3, 1
	ds_add_u32 v2, v3 offset:4096
.LBB576_57:
	s_or_b32 exec_lo, exec_lo, s0
	v_xor_b32_e32 v2, 0x7fff, v4
	v_cmp_le_u32_e32 vcc_lo, s1, v16
	v_mov_b32_e32 v3, s9
	s_delay_alu instid0(VALU_DEP_3) | instskip(SKIP_1) | instid1(SALU_CYCLE_1)
	v_and_b32_e32 v2, 0xffff, v2
	s_nor_b32 s10, s8, vcc_lo
	s_and_saveexec_b32 s0, s10
	s_cbranch_execz .LBB576_59
; %bb.58:
	s_delay_alu instid0(VALU_DEP_1) | instskip(SKIP_1) | instid1(SALU_CYCLE_1)
	v_dual_lshrrev_b32 v3, s2, v2 :: v_dual_lshlrev_b32 v16, 2, v8
	s_sub_co_i32 s10, s3, s2
	s_min_u32 s10, s10, 8
	s_delay_alu instid0(VALU_DEP_1) | instid1(SALU_CYCLE_1)
	v_bfe_u32 v3, v3, 0, s10
	s_delay_alu instid0(VALU_DEP_1)
	v_lshl_or_b32 v3, v3, 4, v16
	v_mov_b32_e32 v16, 1
	ds_add_u32 v3, v16
	v_mov_b32_e32 v3, 0
.LBB576_59:
	s_or_b32 exec_lo, exec_lo, s0
	s_mov_b32 s10, -1
	s_mov_b32 s11, exec_lo
	s_delay_alu instid0(VALU_DEP_1)
	v_cmpx_gt_i32_e32 10, v3
; %bb.60:
	v_cmp_eq_u32_e64 s0, 0, v3
	s_or_not1_b32 s10, s0, exec_lo
; %bb.61:
	s_or_b32 exec_lo, exec_lo, s11
	s_and_saveexec_b32 s0, s10
	s_cbranch_execz .LBB576_64
; %bb.62:
	s_add_co_i32 s10, s2, 8
	s_delay_alu instid0(SALU_CYCLE_1) | instskip(SKIP_2) | instid1(SALU_CYCLE_1)
	s_cmp_gt_u32 s3, s10
	s_cselect_b32 s11, -1, 0
	s_xor_b32 s12, vcc_lo, -1
	s_and_b32 s11, s11, s12
	s_delay_alu instid0(SALU_CYCLE_1)
	s_and_b32 exec_lo, exec_lo, s11
	s_cbranch_execz .LBB576_64
; %bb.63:
	v_dual_lshrrev_b32 v2, s10, v2 :: v_dual_lshlrev_b32 v3, 2, v8
	s_sub_co_i32 s10, s3, s10
	s_delay_alu instid0(SALU_CYCLE_1)
	s_min_u32 s10, s10, 8
	s_delay_alu instid0(VALU_DEP_1) | instid1(SALU_CYCLE_1)
	v_bfe_u32 v2, v2, 0, s10
	s_delay_alu instid0(VALU_DEP_1)
	v_lshl_or_b32 v2, v2, 4, v3
	v_mov_b32_e32 v3, 1
	ds_add_u32 v2, v3 offset:4096
.LBB576_64:
	s_or_b32 exec_lo, exec_lo, s0
	v_dual_mov_b32 v3, s9 :: v_dual_lshrrev_b32 v2, 16, v4
	v_cmp_le_u32_e32 vcc_lo, s1, v15
	s_delay_alu instid0(VALU_DEP_2) | instskip(SKIP_1) | instid1(VALU_DEP_1)
	v_xor_b32_e32 v2, 0x7fff, v2
	s_nor_b32 s10, s8, vcc_lo
	v_and_b32_e32 v2, 0xffff, v2
	s_and_saveexec_b32 s0, s10
	s_cbranch_execz .LBB576_66
; %bb.65:
	s_delay_alu instid0(VALU_DEP_1) | instskip(SKIP_1) | instid1(SALU_CYCLE_1)
	v_dual_lshrrev_b32 v3, s2, v2 :: v_dual_lshlrev_b32 v4, 2, v8
	s_sub_co_i32 s10, s3, s2
	s_min_u32 s10, s10, 8
	s_delay_alu instid0(VALU_DEP_1) | instid1(SALU_CYCLE_1)
	v_bfe_u32 v3, v3, 0, s10
	s_delay_alu instid0(VALU_DEP_1)
	v_lshl_or_b32 v3, v3, 4, v4
	v_mov_b32_e32 v4, 1
	ds_add_u32 v3, v4
	v_mov_b32_e32 v3, 0
.LBB576_66:
	s_or_b32 exec_lo, exec_lo, s0
	s_mov_b32 s10, -1
	s_mov_b32 s11, exec_lo
	s_delay_alu instid0(VALU_DEP_1)
	v_cmpx_gt_i32_e32 10, v3
; %bb.67:
	v_cmp_eq_u32_e64 s0, 0, v3
	s_or_not1_b32 s10, s0, exec_lo
; %bb.68:
	s_or_b32 exec_lo, exec_lo, s11
	s_and_saveexec_b32 s0, s10
	s_cbranch_execz .LBB576_71
; %bb.69:
	s_add_co_i32 s10, s2, 8
	s_delay_alu instid0(SALU_CYCLE_1) | instskip(SKIP_2) | instid1(SALU_CYCLE_1)
	s_cmp_gt_u32 s3, s10
	s_cselect_b32 s11, -1, 0
	s_xor_b32 s12, vcc_lo, -1
	s_and_b32 s11, s11, s12
	s_delay_alu instid0(SALU_CYCLE_1)
	s_and_b32 exec_lo, exec_lo, s11
	s_cbranch_execz .LBB576_71
; %bb.70:
	v_dual_lshrrev_b32 v2, s10, v2 :: v_dual_lshlrev_b32 v3, 2, v8
	s_sub_co_i32 s10, s3, s10
	s_delay_alu instid0(SALU_CYCLE_1)
	s_min_u32 s10, s10, 8
	s_delay_alu instid0(VALU_DEP_1) | instid1(SALU_CYCLE_1)
	v_bfe_u32 v2, v2, 0, s10
	s_delay_alu instid0(VALU_DEP_1)
	v_lshl_or_b32 v2, v2, 4, v3
	v_mov_b32_e32 v3, 1
	ds_add_u32 v2, v3 offset:4096
.LBB576_71:
	s_or_b32 exec_lo, exec_lo, s0
	v_xor_b32_e32 v2, 0x7fff, v5
	v_cmp_le_u32_e32 vcc_lo, s1, v14
	v_mov_b32_e32 v3, s9
	s_delay_alu instid0(VALU_DEP_3) | instskip(SKIP_1) | instid1(SALU_CYCLE_1)
	v_and_b32_e32 v2, 0xffff, v2
	s_nor_b32 s10, s8, vcc_lo
	s_and_saveexec_b32 s0, s10
	s_cbranch_execz .LBB576_73
; %bb.72:
	s_delay_alu instid0(VALU_DEP_1) | instskip(SKIP_1) | instid1(SALU_CYCLE_1)
	v_dual_lshrrev_b32 v3, s2, v2 :: v_dual_lshlrev_b32 v4, 2, v8
	s_sub_co_i32 s10, s3, s2
	s_min_u32 s10, s10, 8
	s_delay_alu instid0(VALU_DEP_1) | instid1(SALU_CYCLE_1)
	v_bfe_u32 v3, v3, 0, s10
	s_delay_alu instid0(VALU_DEP_1)
	v_lshl_or_b32 v3, v3, 4, v4
	v_mov_b32_e32 v4, 1
	ds_add_u32 v3, v4
	v_mov_b32_e32 v3, 0
.LBB576_73:
	s_or_b32 exec_lo, exec_lo, s0
	s_mov_b32 s10, -1
	s_mov_b32 s11, exec_lo
	s_delay_alu instid0(VALU_DEP_1)
	v_cmpx_gt_i32_e32 10, v3
; %bb.74:
	v_cmp_eq_u32_e64 s0, 0, v3
	s_or_not1_b32 s10, s0, exec_lo
; %bb.75:
	s_or_b32 exec_lo, exec_lo, s11
	s_and_saveexec_b32 s0, s10
	s_cbranch_execz .LBB576_78
; %bb.76:
	s_add_co_i32 s10, s2, 8
	s_delay_alu instid0(SALU_CYCLE_1) | instskip(SKIP_2) | instid1(SALU_CYCLE_1)
	s_cmp_gt_u32 s3, s10
	s_cselect_b32 s11, -1, 0
	s_xor_b32 s12, vcc_lo, -1
	s_and_b32 s11, s11, s12
	s_delay_alu instid0(SALU_CYCLE_1)
	s_and_b32 exec_lo, exec_lo, s11
	s_cbranch_execz .LBB576_78
; %bb.77:
	v_dual_lshrrev_b32 v2, s10, v2 :: v_dual_lshlrev_b32 v3, 2, v8
	s_sub_co_i32 s10, s3, s10
	s_delay_alu instid0(SALU_CYCLE_1)
	s_min_u32 s10, s10, 8
	s_delay_alu instid0(VALU_DEP_1) | instid1(SALU_CYCLE_1)
	v_bfe_u32 v2, v2, 0, s10
	s_delay_alu instid0(VALU_DEP_1)
	v_lshl_or_b32 v2, v2, 4, v3
	v_mov_b32_e32 v3, 1
	ds_add_u32 v2, v3 offset:4096
.LBB576_78:
	s_or_b32 exec_lo, exec_lo, s0
	v_dual_mov_b32 v3, s9 :: v_dual_lshrrev_b32 v2, 16, v5
	v_cmp_le_u32_e32 vcc_lo, s1, v13
	s_delay_alu instid0(VALU_DEP_2) | instskip(SKIP_1) | instid1(VALU_DEP_1)
	v_xor_b32_e32 v2, 0x7fff, v2
	s_nor_b32 s10, s8, vcc_lo
	v_and_b32_e32 v2, 0xffff, v2
	s_and_saveexec_b32 s0, s10
	s_cbranch_execz .LBB576_80
; %bb.79:
	s_delay_alu instid0(VALU_DEP_1) | instskip(SKIP_1) | instid1(SALU_CYCLE_1)
	v_dual_lshrrev_b32 v3, s2, v2 :: v_dual_lshlrev_b32 v4, 2, v8
	s_sub_co_i32 s10, s3, s2
	s_min_u32 s10, s10, 8
	s_delay_alu instid0(VALU_DEP_1) | instid1(SALU_CYCLE_1)
	v_bfe_u32 v3, v3, 0, s10
	s_delay_alu instid0(VALU_DEP_1)
	v_lshl_or_b32 v3, v3, 4, v4
	v_mov_b32_e32 v4, 1
	ds_add_u32 v3, v4
	v_mov_b32_e32 v3, 0
.LBB576_80:
	s_or_b32 exec_lo, exec_lo, s0
	s_mov_b32 s10, -1
	s_mov_b32 s11, exec_lo
	s_delay_alu instid0(VALU_DEP_1)
	v_cmpx_gt_i32_e32 10, v3
; %bb.81:
	v_cmp_eq_u32_e64 s0, 0, v3
	s_or_not1_b32 s10, s0, exec_lo
; %bb.82:
	s_or_b32 exec_lo, exec_lo, s11
	s_and_saveexec_b32 s0, s10
	s_cbranch_execz .LBB576_85
; %bb.83:
	s_add_co_i32 s10, s2, 8
	s_delay_alu instid0(SALU_CYCLE_1) | instskip(SKIP_2) | instid1(SALU_CYCLE_1)
	s_cmp_gt_u32 s3, s10
	s_cselect_b32 s11, -1, 0
	s_xor_b32 s12, vcc_lo, -1
	s_and_b32 s11, s11, s12
	s_delay_alu instid0(SALU_CYCLE_1)
	s_and_b32 exec_lo, exec_lo, s11
	s_cbranch_execz .LBB576_85
; %bb.84:
	v_dual_lshrrev_b32 v2, s10, v2 :: v_dual_lshlrev_b32 v3, 2, v8
	s_sub_co_i32 s10, s3, s10
	s_delay_alu instid0(SALU_CYCLE_1)
	s_min_u32 s10, s10, 8
	s_delay_alu instid0(VALU_DEP_1) | instid1(SALU_CYCLE_1)
	v_bfe_u32 v2, v2, 0, s10
	s_delay_alu instid0(VALU_DEP_1)
	v_lshl_or_b32 v2, v2, 4, v3
	v_mov_b32_e32 v3, 1
	ds_add_u32 v2, v3 offset:4096
.LBB576_85:
	s_or_b32 exec_lo, exec_lo, s0
	v_xor_b32_e32 v2, 0x7fff, v6
	v_cmp_le_u32_e32 vcc_lo, s1, v12
	v_mov_b32_e32 v3, s9
	s_delay_alu instid0(VALU_DEP_3) | instskip(SKIP_1) | instid1(SALU_CYCLE_1)
	v_and_b32_e32 v2, 0xffff, v2
	s_nor_b32 s10, s8, vcc_lo
	s_and_saveexec_b32 s0, s10
	s_cbranch_execz .LBB576_87
; %bb.86:
	s_delay_alu instid0(VALU_DEP_1) | instskip(SKIP_1) | instid1(SALU_CYCLE_1)
	v_dual_lshrrev_b32 v3, s2, v2 :: v_dual_lshlrev_b32 v4, 2, v8
	s_sub_co_i32 s10, s3, s2
	s_min_u32 s10, s10, 8
	s_delay_alu instid0(VALU_DEP_1) | instid1(SALU_CYCLE_1)
	v_bfe_u32 v3, v3, 0, s10
	s_delay_alu instid0(VALU_DEP_1)
	v_lshl_or_b32 v3, v3, 4, v4
	v_mov_b32_e32 v4, 1
	ds_add_u32 v3, v4
	v_mov_b32_e32 v3, 0
.LBB576_87:
	s_or_b32 exec_lo, exec_lo, s0
	s_mov_b32 s10, -1
	s_mov_b32 s11, exec_lo
	s_delay_alu instid0(VALU_DEP_1)
	v_cmpx_gt_i32_e32 10, v3
; %bb.88:
	v_cmp_eq_u32_e64 s0, 0, v3
	s_or_not1_b32 s10, s0, exec_lo
; %bb.89:
	s_or_b32 exec_lo, exec_lo, s11
	s_and_saveexec_b32 s0, s10
	s_cbranch_execz .LBB576_92
; %bb.90:
	s_add_co_i32 s10, s2, 8
	s_delay_alu instid0(SALU_CYCLE_1) | instskip(SKIP_2) | instid1(SALU_CYCLE_1)
	s_cmp_gt_u32 s3, s10
	s_cselect_b32 s11, -1, 0
	s_xor_b32 s12, vcc_lo, -1
	s_and_b32 s11, s11, s12
	s_delay_alu instid0(SALU_CYCLE_1)
	s_and_b32 exec_lo, exec_lo, s11
	s_cbranch_execz .LBB576_92
; %bb.91:
	v_dual_lshrrev_b32 v2, s10, v2 :: v_dual_lshlrev_b32 v3, 2, v8
	s_sub_co_i32 s10, s3, s10
	s_delay_alu instid0(SALU_CYCLE_1)
	s_min_u32 s10, s10, 8
	s_delay_alu instid0(VALU_DEP_1) | instid1(SALU_CYCLE_1)
	v_bfe_u32 v2, v2, 0, s10
	s_delay_alu instid0(VALU_DEP_1)
	v_lshl_or_b32 v2, v2, 4, v3
	v_mov_b32_e32 v3, 1
	ds_add_u32 v2, v3 offset:4096
.LBB576_92:
	s_or_b32 exec_lo, exec_lo, s0
	v_dual_mov_b32 v3, s9 :: v_dual_lshrrev_b32 v2, 16, v6
	v_cmp_le_u32_e32 vcc_lo, s1, v11
	s_delay_alu instid0(VALU_DEP_2) | instskip(SKIP_1) | instid1(VALU_DEP_1)
	v_xor_b32_e32 v2, 0x7fff, v2
	s_nor_b32 s10, s8, vcc_lo
	v_and_b32_e32 v2, 0xffff, v2
	s_and_saveexec_b32 s0, s10
	s_cbranch_execz .LBB576_94
; %bb.93:
	s_delay_alu instid0(VALU_DEP_1) | instskip(SKIP_1) | instid1(SALU_CYCLE_1)
	v_dual_lshrrev_b32 v3, s2, v2 :: v_dual_lshlrev_b32 v4, 2, v8
	s_sub_co_i32 s10, s3, s2
	s_min_u32 s10, s10, 8
	s_delay_alu instid0(VALU_DEP_1) | instid1(SALU_CYCLE_1)
	v_bfe_u32 v3, v3, 0, s10
	s_delay_alu instid0(VALU_DEP_1)
	v_lshl_or_b32 v3, v3, 4, v4
	v_mov_b32_e32 v4, 1
	ds_add_u32 v3, v4
	v_mov_b32_e32 v3, 0
.LBB576_94:
	s_or_b32 exec_lo, exec_lo, s0
	s_mov_b32 s10, -1
	s_mov_b32 s11, exec_lo
	s_delay_alu instid0(VALU_DEP_1)
	v_cmpx_gt_i32_e32 10, v3
; %bb.95:
	v_cmp_eq_u32_e64 s0, 0, v3
	s_or_not1_b32 s10, s0, exec_lo
; %bb.96:
	s_or_b32 exec_lo, exec_lo, s11
	s_and_saveexec_b32 s0, s10
	s_cbranch_execz .LBB576_99
; %bb.97:
	s_add_co_i32 s10, s2, 8
	s_delay_alu instid0(SALU_CYCLE_1) | instskip(SKIP_2) | instid1(SALU_CYCLE_1)
	s_cmp_gt_u32 s3, s10
	s_cselect_b32 s11, -1, 0
	s_xor_b32 s12, vcc_lo, -1
	s_and_b32 s11, s11, s12
	s_delay_alu instid0(SALU_CYCLE_1)
	s_and_b32 exec_lo, exec_lo, s11
	s_cbranch_execz .LBB576_99
; %bb.98:
	v_dual_lshrrev_b32 v2, s10, v2 :: v_dual_lshlrev_b32 v3, 2, v8
	s_sub_co_i32 s10, s3, s10
	s_delay_alu instid0(SALU_CYCLE_1)
	s_min_u32 s10, s10, 8
	s_delay_alu instid0(VALU_DEP_1) | instid1(SALU_CYCLE_1)
	v_bfe_u32 v2, v2, 0, s10
	s_delay_alu instid0(VALU_DEP_1)
	v_lshl_or_b32 v2, v2, 4, v3
	v_mov_b32_e32 v3, 1
	ds_add_u32 v2, v3 offset:4096
.LBB576_99:
	s_or_b32 exec_lo, exec_lo, s0
	v_xor_b32_e32 v2, 0x7fff, v7
	v_cmp_le_u32_e32 vcc_lo, s1, v10
	v_mov_b32_e32 v3, s9
	s_delay_alu instid0(VALU_DEP_3) | instskip(SKIP_1) | instid1(SALU_CYCLE_1)
	v_and_b32_e32 v2, 0xffff, v2
	s_nor_b32 s10, s8, vcc_lo
	s_and_saveexec_b32 s0, s10
	s_cbranch_execz .LBB576_101
; %bb.100:
	s_delay_alu instid0(VALU_DEP_1) | instskip(SKIP_1) | instid1(SALU_CYCLE_1)
	v_dual_lshrrev_b32 v3, s2, v2 :: v_dual_lshlrev_b32 v4, 2, v8
	s_sub_co_i32 s10, s3, s2
	s_min_u32 s10, s10, 8
	s_delay_alu instid0(VALU_DEP_1) | instid1(SALU_CYCLE_1)
	v_bfe_u32 v3, v3, 0, s10
	s_delay_alu instid0(VALU_DEP_1)
	v_lshl_or_b32 v3, v3, 4, v4
	v_mov_b32_e32 v4, 1
	ds_add_u32 v3, v4
	v_mov_b32_e32 v3, 0
.LBB576_101:
	s_or_b32 exec_lo, exec_lo, s0
	s_mov_b32 s10, -1
	s_mov_b32 s11, exec_lo
	s_delay_alu instid0(VALU_DEP_1)
	v_cmpx_gt_i32_e32 10, v3
; %bb.102:
	v_cmp_eq_u32_e64 s0, 0, v3
	s_or_not1_b32 s10, s0, exec_lo
; %bb.103:
	s_or_b32 exec_lo, exec_lo, s11
	s_and_saveexec_b32 s0, s10
	s_cbranch_execz .LBB576_106
; %bb.104:
	s_add_co_i32 s10, s2, 8
	s_delay_alu instid0(SALU_CYCLE_1) | instskip(SKIP_2) | instid1(SALU_CYCLE_1)
	s_cmp_gt_u32 s3, s10
	s_cselect_b32 s11, -1, 0
	s_xor_b32 s12, vcc_lo, -1
	s_and_b32 s11, s11, s12
	s_delay_alu instid0(SALU_CYCLE_1)
	s_and_b32 exec_lo, exec_lo, s11
	s_cbranch_execz .LBB576_106
; %bb.105:
	v_dual_lshrrev_b32 v2, s10, v2 :: v_dual_lshlrev_b32 v3, 2, v8
	s_sub_co_i32 s10, s3, s10
	s_delay_alu instid0(SALU_CYCLE_1)
	s_min_u32 s10, s10, 8
	s_delay_alu instid0(VALU_DEP_1) | instid1(SALU_CYCLE_1)
	v_bfe_u32 v2, v2, 0, s10
	s_delay_alu instid0(VALU_DEP_1)
	v_lshl_or_b32 v2, v2, 4, v3
	v_mov_b32_e32 v3, 1
	ds_add_u32 v2, v3 offset:4096
.LBB576_106:
	s_or_b32 exec_lo, exec_lo, s0
	v_dual_mov_b32 v3, s9 :: v_dual_lshrrev_b32 v2, 16, v7
	v_cmp_le_u32_e32 vcc_lo, s1, v9
	s_delay_alu instid0(VALU_DEP_2) | instskip(SKIP_1) | instid1(VALU_DEP_1)
	v_xor_b32_e32 v2, 0x7fff, v2
	s_nor_b32 s1, s8, vcc_lo
	v_and_b32_e32 v2, 0xffff, v2
	s_and_saveexec_b32 s0, s1
	s_cbranch_execz .LBB576_108
; %bb.107:
	s_delay_alu instid0(VALU_DEP_1) | instskip(SKIP_1) | instid1(SALU_CYCLE_1)
	v_dual_lshrrev_b32 v3, s2, v2 :: v_dual_lshlrev_b32 v4, 2, v8
	s_sub_co_i32 s1, s3, s2
	s_min_u32 s1, s1, 8
	s_delay_alu instid0(VALU_DEP_1) | instid1(SALU_CYCLE_1)
	v_bfe_u32 v3, v3, 0, s1
	s_delay_alu instid0(VALU_DEP_1)
	v_lshl_or_b32 v3, v3, 4, v4
	v_mov_b32_e32 v4, 1
	ds_add_u32 v3, v4
	v_mov_b32_e32 v3, 0
.LBB576_108:
	s_or_b32 exec_lo, exec_lo, s0
	s_mov_b32 s1, -1
	s_mov_b32 s8, exec_lo
	s_delay_alu instid0(VALU_DEP_1)
	v_cmpx_gt_i32_e32 10, v3
; %bb.109:
	v_cmp_eq_u32_e64 s0, 0, v3
	s_or_not1_b32 s1, s0, exec_lo
; %bb.110:
	s_or_b32 exec_lo, exec_lo, s8
	s_and_saveexec_b32 s0, s1
	s_cbranch_execz .LBB576_113
; %bb.111:
	s_add_co_i32 s1, s2, 8
	s_delay_alu instid0(SALU_CYCLE_1) | instskip(SKIP_2) | instid1(SALU_CYCLE_1)
	s_cmp_gt_u32 s3, s1
	s_cselect_b32 s8, -1, 0
	s_xor_b32 s9, vcc_lo, -1
	s_and_b32 s8, s8, s9
	s_delay_alu instid0(SALU_CYCLE_1)
	s_and_b32 exec_lo, exec_lo, s8
	s_cbranch_execz .LBB576_113
; %bb.112:
	v_dual_lshrrev_b32 v2, s1, v2 :: v_dual_lshlrev_b32 v3, 2, v8
	s_sub_co_i32 s1, s3, s1
	s_delay_alu instid0(SALU_CYCLE_1)
	s_min_u32 s1, s1, 8
	s_delay_alu instid0(VALU_DEP_1) | instid1(SALU_CYCLE_1)
	v_bfe_u32 v2, v2, 0, s1
	s_delay_alu instid0(VALU_DEP_1)
	v_lshl_or_b32 v2, v2, 4, v3
	v_mov_b32_e32 v3, 1
	ds_add_u32 v2, v3 offset:4096
.LBB576_113:
	s_or_b32 exec_lo, exec_lo, s0
	s_cmp_gt_u32 s3, s2
	s_wait_dscnt 0x0
	s_barrier_signal -1
	s_barrier_wait -1
	s_cbranch_scc0 .LBB576_118
; %bb.114:
	v_mad_u32_u24 v1, v0, 12, v1
	v_dual_mov_b32 v3, 0 :: v_dual_mov_b32 v4, v0
	s_mov_b32 s0, s2
	v_cmp_gt_u32_e32 vcc_lo, 0x100, v0
	s_branch .LBB576_116
.LBB576_115:                            ;   in Loop: Header=BB576_116 Depth=1
	s_wait_xcnt 0x0
	s_or_b32 exec_lo, exec_lo, s1
	v_add_nc_u32_e32 v4, 0x100, v4
	v_add_nc_u32_e32 v1, 0x1000, v1
	s_add_co_i32 s0, s0, 8
	s_delay_alu instid0(SALU_CYCLE_1)
	s_cmp_lt_u32 s0, s3
	s_cbranch_scc0 .LBB576_118
.LBB576_116:                            ; =>This Inner Loop Header: Depth=1
	s_and_saveexec_b32 s1, vcc_lo
	s_cbranch_execz .LBB576_115
; %bb.117:                              ;   in Loop: Header=BB576_116 Depth=1
	ds_load_2addr_b32 v[6:7], v1 offset1:1
	ds_load_2addr_b32 v[8:9], v1 offset0:2 offset1:3
	s_wait_dscnt 0x1
	v_add_nc_u32_e32 v2, v7, v6
	s_wait_dscnt 0x0
	s_delay_alu instid0(VALU_DEP_1)
	v_add3_u32 v2, v2, v8, v9
	global_atomic_add_u64 v4, v[2:3], s[6:7] scale_offset scope:SCOPE_DEV
	s_branch .LBB576_115
.LBB576_118:
	s_mov_b32 s9, 0
.LBB576_119:
	s_delay_alu instid0(SALU_CYCLE_1)
	s_and_b32 vcc_lo, exec_lo, s9
	s_cbranch_vccz .LBB576_164
; %bb.120:
	s_clause 0xb
	global_load_u16 v9, v0, s[4:5] scale_offset
	global_load_u16 v10, v0, s[4:5] offset:1024 scale_offset
	global_load_u16 v11, v0, s[4:5] offset:2048 scale_offset
	;; [unrolled: 1-line block ×11, first 2 shown]
	s_cmp_eq_u32 s2, 0
	v_dual_mov_b32 v2, 0 :: v_dual_lshlrev_b32 v15, 2, v0
	s_cselect_b32 s0, -1, 0
	s_cmp_eq_u32 s3, 16
	s_wait_xcnt 0x0
	v_cmp_gt_u32_e64 s4, 3, 1
	s_cselect_b32 s1, -1, 0
	s_delay_alu instid0(SALU_CYCLE_1)
	s_and_b32 s0, s0, s1
	s_mov_b32 s1, -1
	s_and_b32 vcc_lo, exec_lo, s0
	v_cmp_gt_u32_e64 s0, 3, 2
	s_cbranch_vccnz .LBB576_157
; %bb.121:
	ds_store_2addr_stride64_b32 v15, v2, v2 offset1:8
	s_and_saveexec_b32 s1, s4
; %bb.122:
	v_mov_b32_e32 v2, 0
	ds_store_b32 v15, v2 offset:4096
; %bb.123:
	s_or_b32 exec_lo, exec_lo, s1
	s_and_saveexec_b32 s1, s0
; %bb.124:
	v_mov_b32_e32 v2, 0
	ds_store_b32 v15, v2 offset:6144
; %bb.125:
	s_or_b32 exec_lo, exec_lo, s1
	s_cmp_gt_u32 s3, s2
	s_wait_storecnt 0x0
	s_wait_loadcnt_dscnt 0x0
	s_cselect_b32 s0, -1, 0
	s_barrier_signal -1
	s_and_b32 vcc_lo, exec_lo, s0
	s_barrier_wait -1
	s_cbranch_vccz .LBB576_151
; %bb.126:
	v_xor_b32_e32 v2, 0x7fff, v9
	s_sub_co_i32 s1, s3, s2
	s_mov_b32 s8, -1
	s_min_u32 s1, s1, 8
	v_mov_b32_e32 v18, 1
	v_and_b32_e32 v16, 0xffff, v2
	v_and_b32_e32 v2, 3, v0
	s_lshl_b32 s4, -1, s1
	s_add_co_i32 s1, s2, 8
	s_delay_alu instid0(VALU_DEP_1) | instskip(NEXT) | instid1(VALU_DEP_1)
	v_dual_lshrrev_b32 v17, s2, v16 :: v_dual_lshlrev_b32 v3, 2, v2
	v_bitop3_b32 v17, v17, s4, v17 bitop3:0x30
	s_not_b32 s4, s4
	s_cmp_le_u32 s3, s1
	s_cselect_b32 s5, -1, 0
	s_delay_alu instid0(VALU_DEP_1) | instskip(SKIP_3) | instid1(VALU_DEP_1)
	v_lshl_or_b32 v17, v17, 4, v3
	s_and_b32 vcc_lo, exec_lo, s5
	ds_add_u32 v17, v18
	v_xor_b32_e32 v17, 0x7fff, v10
                                        ; implicit-def: $vgpr18
	v_and_b32_e32 v17, 0xffff, v17
	s_cbranch_vccz .LBB576_128
; %bb.127:
	s_delay_alu instid0(VALU_DEP_1) | instskip(SKIP_1) | instid1(VALU_DEP_1)
	v_lshrrev_b32_e32 v18, s2, v17
	s_mov_b32 s8, 0
	v_and_b32_e32 v18, s4, v18
	s_delay_alu instid0(VALU_DEP_1)
	v_lshlrev_b32_e32 v18, 4, v18
.LBB576_128:
	s_and_not1_b32 vcc_lo, exec_lo, s8
	s_cbranch_vccnz .LBB576_130
; %bb.129:
	s_sub_co_i32 s8, s3, s1
	v_dual_lshrrev_b32 v16, s1, v16 :: v_dual_lshrrev_b32 v18, s2, v17
	s_min_u32 s8, s8, 8
	v_mov_b32_e32 v19, 1
	s_lshl_b32 s8, -1, s8
	s_delay_alu instid0(VALU_DEP_2) | instid1(SALU_CYCLE_1)
	v_bitop3_b32 v16, v16, s8, v16 bitop3:0x30
	v_and_b32_e32 v18, s4, v18
	s_delay_alu instid0(VALU_DEP_2) | instskip(NEXT) | instid1(VALU_DEP_2)
	v_lshl_or_b32 v16, v16, 4, v3
	v_lshl_or_b32 v18, v18, 4, v3
	ds_add_u32 v16, v19 offset:4096
	ds_add_u32 v18, v19
	v_lshrrev_b32_e32 v16, s1, v17
	s_delay_alu instid0(VALU_DEP_1) | instskip(NEXT) | instid1(VALU_DEP_1)
	v_bitop3_b32 v16, v16, s8, v16 bitop3:0x30
	v_lshl_add_u32 v18, v16, 4, 0x1000
.LBB576_130:
	v_xor_b32_e32 v16, 0x7fff, v11
	s_and_b32 vcc_lo, exec_lo, s5
	s_delay_alu instid0(VALU_DEP_2) | instskip(NEXT) | instid1(VALU_DEP_2)
	v_dual_mov_b32 v19, 1 :: v_dual_add_nc_u32 v18, v18, v3
	v_and_b32_e32 v17, 0xffff, v16
	s_delay_alu instid0(VALU_DEP_1) | instskip(NEXT) | instid1(VALU_DEP_1)
	v_lshrrev_b32_e32 v16, s2, v17
	v_and_b32_e32 v16, s4, v16
	s_delay_alu instid0(VALU_DEP_1) | instskip(SKIP_3) | instid1(VALU_DEP_1)
	v_lshl_or_b32 v16, v16, 4, v3
	ds_add_u32 v18, v19
	ds_add_u32 v16, v19
	v_xor_b32_e32 v16, 0x7fff, v12
	v_and_b32_e32 v16, 0xffff, v16
	s_cbranch_vccz .LBB576_132
; %bb.131:
	s_delay_alu instid0(VALU_DEP_1) | instskip(NEXT) | instid1(VALU_DEP_1)
	v_lshrrev_b32_e32 v18, s2, v16
	v_and_b32_e32 v18, s4, v18
	s_delay_alu instid0(VALU_DEP_1)
	v_lshlrev_b32_e32 v18, 4, v18
	s_cbranch_execz .LBB576_133
	s_branch .LBB576_134
.LBB576_132:
                                        ; implicit-def: $vgpr18
.LBB576_133:
	s_sub_co_i32 s8, s3, s1
	s_delay_alu instid0(VALU_DEP_1) | instskip(SKIP_3) | instid1(VALU_DEP_2)
	v_dual_lshrrev_b32 v17, s1, v17 :: v_dual_lshrrev_b32 v18, s2, v16
	s_min_u32 s8, s8, 8
	v_lshrrev_b32_e32 v16, s1, v16
	s_lshl_b32 s8, -1, s8
	v_dual_mov_b32 v19, 1 :: v_dual_bitop2_b32 v18, s4, v18 bitop3:0x40
	v_bitop3_b32 v17, v17, s8, v17 bitop3:0x30
	s_delay_alu instid0(VALU_DEP_3) | instskip(NEXT) | instid1(VALU_DEP_3)
	v_bitop3_b32 v16, v16, s8, v16 bitop3:0x30
	v_lshl_or_b32 v18, v18, 4, v3
	s_delay_alu instid0(VALU_DEP_3)
	v_lshl_or_b32 v17, v17, 4, v3
	ds_add_u32 v17, v19 offset:4096
	ds_add_u32 v18, v19
	v_lshl_add_u32 v18, v16, 4, 0x1000
.LBB576_134:
	v_xor_b32_e32 v16, 0x7fff, v13
	s_and_b32 vcc_lo, exec_lo, s5
	s_delay_alu instid0(VALU_DEP_2) | instskip(NEXT) | instid1(VALU_DEP_2)
	v_dual_mov_b32 v19, 1 :: v_dual_add_nc_u32 v18, v18, v3
	v_and_b32_e32 v17, 0xffff, v16
	s_delay_alu instid0(VALU_DEP_1) | instskip(NEXT) | instid1(VALU_DEP_1)
	v_lshrrev_b32_e32 v16, s2, v17
	v_and_b32_e32 v16, s4, v16
	s_delay_alu instid0(VALU_DEP_1) | instskip(SKIP_3) | instid1(VALU_DEP_1)
	v_lshl_or_b32 v16, v16, 4, v3
	ds_add_u32 v18, v19
	ds_add_u32 v16, v19
	v_xor_b32_e32 v16, 0x7fff, v14
	v_and_b32_e32 v16, 0xffff, v16
	s_cbranch_vccz .LBB576_136
; %bb.135:
	s_delay_alu instid0(VALU_DEP_1) | instskip(NEXT) | instid1(VALU_DEP_1)
	v_lshrrev_b32_e32 v18, s2, v16
	v_and_b32_e32 v18, s4, v18
	s_delay_alu instid0(VALU_DEP_1)
	v_lshlrev_b32_e32 v18, 4, v18
	s_cbranch_execz .LBB576_137
	s_branch .LBB576_138
.LBB576_136:
                                        ; implicit-def: $vgpr18
.LBB576_137:
	s_sub_co_i32 s8, s3, s1
	s_delay_alu instid0(VALU_DEP_1) | instskip(SKIP_3) | instid1(VALU_DEP_2)
	v_dual_lshrrev_b32 v17, s1, v17 :: v_dual_lshrrev_b32 v18, s2, v16
	s_min_u32 s8, s8, 8
	v_lshrrev_b32_e32 v16, s1, v16
	s_lshl_b32 s8, -1, s8
	v_dual_mov_b32 v19, 1 :: v_dual_bitop2_b32 v18, s4, v18 bitop3:0x40
	v_bitop3_b32 v17, v17, s8, v17 bitop3:0x30
	s_delay_alu instid0(VALU_DEP_3) | instskip(NEXT) | instid1(VALU_DEP_3)
	v_bitop3_b32 v16, v16, s8, v16 bitop3:0x30
	v_lshl_or_b32 v18, v18, 4, v3
	s_delay_alu instid0(VALU_DEP_3)
	v_lshl_or_b32 v17, v17, 4, v3
	ds_add_u32 v17, v19 offset:4096
	ds_add_u32 v18, v19
	v_lshl_add_u32 v18, v16, 4, 0x1000
.LBB576_138:
	;; [unrolled: 43-line block ×4, first 2 shown]
	v_xor_b32_e32 v16, 0x7fff, v5
	s_and_b32 vcc_lo, exec_lo, s5
	s_delay_alu instid0(VALU_DEP_2) | instskip(NEXT) | instid1(VALU_DEP_2)
	v_dual_mov_b32 v19, 1 :: v_dual_add_nc_u32 v18, v18, v3
	v_and_b32_e32 v17, 0xffff, v16
	s_delay_alu instid0(VALU_DEP_1) | instskip(NEXT) | instid1(VALU_DEP_1)
	v_lshrrev_b32_e32 v16, s2, v17
	v_and_b32_e32 v16, s4, v16
	s_delay_alu instid0(VALU_DEP_1) | instskip(SKIP_3) | instid1(VALU_DEP_1)
	v_lshl_or_b32 v16, v16, 4, v3
	ds_add_u32 v18, v19
	ds_add_u32 v16, v19
	v_xor_b32_e32 v16, 0x7fff, v1
	v_and_b32_e32 v16, 0xffff, v16
	s_cbranch_vccz .LBB576_148
; %bb.147:
	s_delay_alu instid0(VALU_DEP_1) | instskip(NEXT) | instid1(VALU_DEP_1)
	v_lshrrev_b32_e32 v18, s2, v16
	v_and_b32_e32 v18, s4, v18
	s_delay_alu instid0(VALU_DEP_1)
	v_lshlrev_b32_e32 v18, 4, v18
	s_cbranch_execz .LBB576_149
	s_branch .LBB576_150
.LBB576_148:
                                        ; implicit-def: $vgpr18
.LBB576_149:
	s_sub_co_i32 s5, s3, s1
	s_delay_alu instid0(VALU_DEP_1)
	v_dual_lshrrev_b32 v17, s1, v17 :: v_dual_lshrrev_b32 v18, s2, v16
	s_min_u32 s5, s5, 8
	v_mov_b32_e32 v19, 1
	s_lshl_b32 s5, -1, s5
	s_delay_alu instid0(VALU_DEP_2) | instid1(SALU_CYCLE_1)
	v_bitop3_b32 v17, v17, s5, v17 bitop3:0x30
	v_and_b32_e32 v18, s4, v18
	s_delay_alu instid0(VALU_DEP_2) | instskip(NEXT) | instid1(VALU_DEP_2)
	v_lshl_or_b32 v17, v17, 4, v3
	v_lshl_or_b32 v3, v18, 4, v3
	ds_add_u32 v17, v19 offset:4096
	ds_add_u32 v3, v19
	v_lshrrev_b32_e32 v3, s1, v16
	s_delay_alu instid0(VALU_DEP_1) | instskip(NEXT) | instid1(VALU_DEP_1)
	v_bitop3_b32 v3, v3, s5, v3 bitop3:0x30
	v_lshl_add_u32 v18, v3, 4, 0x1000
.LBB576_150:
	s_delay_alu instid0(VALU_DEP_1)
	v_lshl_add_u32 v2, v2, 2, v18
	v_mov_b32_e32 v3, 1
	ds_add_u32 v2, v3
.LBB576_151:
	s_and_b32 vcc_lo, exec_lo, s0
	s_wait_dscnt 0x0
	s_barrier_signal -1
	s_barrier_wait -1
	s_cbranch_vccz .LBB576_156
; %bb.152:
	v_dual_mov_b32 v3, 0 :: v_dual_lshlrev_b32 v16, 4, v0
	v_mov_b32_e32 v17, v0
	v_cmp_gt_u32_e32 vcc_lo, 0x100, v0
	s_branch .LBB576_154
.LBB576_153:                            ;   in Loop: Header=BB576_154 Depth=1
	s_wait_xcnt 0x0
	s_or_b32 exec_lo, exec_lo, s0
	v_add_nc_u32_e32 v17, 0x100, v17
	v_add_nc_u32_e32 v16, 0x1000, v16
	s_add_co_i32 s2, s2, 8
	s_delay_alu instid0(SALU_CYCLE_1)
	s_cmp_ge_u32 s2, s3
	s_cbranch_scc1 .LBB576_156
.LBB576_154:                            ; =>This Inner Loop Header: Depth=1
	s_and_saveexec_b32 s0, vcc_lo
	s_cbranch_execz .LBB576_153
; %bb.155:                              ;   in Loop: Header=BB576_154 Depth=1
	ds_load_2addr_b32 v[18:19], v16 offset1:1
	ds_load_2addr_b32 v[20:21], v16 offset0:2 offset1:3
	s_wait_dscnt 0x1
	v_add_nc_u32_e32 v2, v19, v18
	s_wait_dscnt 0x0
	s_delay_alu instid0(VALU_DEP_1)
	v_add3_u32 v2, v2, v20, v21
	global_atomic_add_u64 v17, v[2:3], s[6:7] scale_offset scope:SCOPE_DEV
	s_branch .LBB576_153
.LBB576_156:
	s_mov_b32 s1, 0
.LBB576_157:
	s_delay_alu instid0(SALU_CYCLE_1)
	s_and_b32 vcc_lo, exec_lo, s1
	s_cbranch_vccz .LBB576_164
; %bb.158:
	v_mov_b32_e32 v2, 0
	v_cmp_gt_u32_e64 s0, 3, 2
	s_mov_b32 s1, exec_lo
	ds_store_2addr_stride64_b32 v15, v2, v2 offset1:8
	v_cmpx_gt_u32_e64 3, 1
; %bb.159:
	ds_store_b32 v15, v2 offset:4096
; %bb.160:
	s_or_b32 exec_lo, exec_lo, s1
	s_and_saveexec_b32 s1, s0
; %bb.161:
	v_mov_b32_e32 v2, 0
	ds_store_b32 v15, v2 offset:6144
; %bb.162:
	s_or_b32 exec_lo, exec_lo, s1
	s_wait_loadcnt 0xb
	v_xor_b32_e32 v2, 0x7fff, v9
	s_wait_loadcnt 0x9
	v_xor_b32_e32 v9, 0x7fff, v11
	;; [unrolled: 2-line block ×3, first 2 shown]
	v_xor_b32_e32 v3, 0x7fff, v10
	v_xor_b32_e32 v10, 0x7fff, v12
	v_and_b32_e32 v2, 0xffff, v2
	v_and_b32_e32 v13, 3, v0
	s_wait_loadcnt 0x6
	v_xor_b32_e32 v12, 0x7fff, v14
	v_and_b32_e32 v3, 0xffff, v3
	v_dual_mov_b32 v15, 1 :: v_dual_lshlrev_b32 v14, 4, v2
	v_dual_lshlrev_b32 v13, 2, v13 :: v_dual_lshrrev_b32 v2, 4, v2
	s_delay_alu instid0(VALU_DEP_3) | instskip(SKIP_2) | instid1(VALU_DEP_4)
	v_lshlrev_b32_e32 v16, 4, v3
	v_and_b32_e32 v9, 0xffff, v9
	v_lshrrev_b32_e32 v3, 4, v3
	v_and_or_b32 v14, 0xff0, v14, v13
	v_and_or_b32 v2, 0xff0, v2, v13
	s_wait_storecnt 0x0
	s_wait_loadcnt_dscnt 0x0
	s_barrier_signal -1
	s_barrier_wait -1
	ds_add_u32 v14, v15
	ds_add_u32 v2, v15 offset:4096
	v_and_or_b32 v2, 0xff0, v16, v13
	v_and_b32_e32 v10, 0xffff, v10
	v_lshlrev_b32_e32 v14, 4, v9
	v_and_or_b32 v3, 0xff0, v3, v13
	v_lshrrev_b32_e32 v9, 4, v9
	ds_add_u32 v2, v15
	ds_add_u32 v3, v15 offset:4096
	v_lshlrev_b32_e32 v2, 4, v10
	v_and_or_b32 v3, 0xff0, v14, v13
	v_and_b32_e32 v11, 0xffff, v11
	v_and_or_b32 v9, 0xff0, v9, v13
	v_lshrrev_b32_e32 v10, 4, v10
	v_and_or_b32 v2, 0xff0, v2, v13
	v_xor_b32_e32 v6, 0x7fff, v6
	ds_add_u32 v3, v15
	ds_add_u32 v9, v15 offset:4096
	v_lshlrev_b32_e32 v3, 4, v11
	v_and_or_b32 v9, 0xff0, v10, v13
	ds_add_u32 v2, v15
	v_and_b32_e32 v2, 0xffff, v12
	v_xor_b32_e32 v7, 0x7fff, v7
	v_and_or_b32 v3, 0xff0, v3, v13
	v_and_b32_e32 v6, 0xffff, v6
	v_lshrrev_b32_e32 v10, 4, v11
	ds_add_u32 v9, v15 offset:4096
	v_lshlrev_b32_e32 v9, 4, v2
	v_and_b32_e32 v7, 0xffff, v7
	v_lshrrev_b32_e32 v2, 4, v2
	ds_add_u32 v3, v15
	v_dual_lshlrev_b32 v3, 4, v6 :: v_dual_lshrrev_b32 v6, 4, v6
	v_and_or_b32 v10, 0xff0, v10, v13
	v_and_or_b32 v9, 0xff0, v9, v13
	v_xor_b32_e32 v8, 0x7fff, v8
	v_and_or_b32 v2, 0xff0, v2, v13
	v_and_or_b32 v3, 0xff0, v3, v13
	v_xor_b32_e32 v4, 0x7fff, v4
	ds_add_u32 v10, v15 offset:4096
	ds_add_u32 v9, v15
	v_and_or_b32 v6, 0xff0, v6, v13
	ds_add_u32 v2, v15 offset:4096
	ds_add_u32 v3, v15
	v_and_b32_e32 v2, 0xffff, v8
	v_lshlrev_b32_e32 v3, 4, v7
	v_and_b32_e32 v4, 0xffff, v4
	ds_add_u32 v6, v15 offset:4096
	v_dual_lshrrev_b32 v6, 4, v7 :: v_dual_lshlrev_b32 v7, 4, v2
	v_dual_lshrrev_b32 v2, 4, v2 :: v_dual_lshlrev_b32 v8, 4, v4
	v_xor_b32_e32 v5, 0x7fff, v5
	v_and_or_b32 v3, 0xff0, v3, v13
	v_xor_b32_e32 v1, 0x7fff, v1
	v_and_or_b32 v6, 0xff0, v6, v13
	v_and_or_b32 v7, 0xff0, v7, v13
	;; [unrolled: 1-line block ×3, first 2 shown]
	ds_add_u32 v3, v15
	v_and_or_b32 v3, 0xff0, v8, v13
	v_and_b32_e32 v5, 0xffff, v5
	ds_add_u32 v6, v15 offset:4096
	v_and_b32_e32 v1, 0xffff, v1
	ds_add_u32 v7, v15
	ds_add_u32 v2, v15 offset:4096
	v_lshrrev_b32_e32 v2, 4, v4
	ds_add_u32 v3, v15
	v_dual_lshlrev_b32 v3, 4, v5 :: v_dual_lshrrev_b32 v4, 4, v5
	v_dual_lshlrev_b32 v5, 4, v1 :: v_dual_lshrrev_b32 v1, 4, v1
	v_and_or_b32 v2, 0xff0, v2, v13
	s_delay_alu instid0(VALU_DEP_3) | instskip(NEXT) | instid1(VALU_DEP_4)
	v_and_or_b32 v3, 0xff0, v3, v13
	v_and_or_b32 v4, 0xff0, v4, v13
	s_delay_alu instid0(VALU_DEP_4)
	v_and_or_b32 v5, 0xff0, v5, v13
	v_and_or_b32 v1, 0xff0, v1, v13
	ds_add_u32 v2, v15 offset:4096
	ds_add_u32 v3, v15
	ds_add_u32 v4, v15 offset:4096
	ds_add_u32 v5, v15
	ds_add_u32 v1, v15 offset:4096
	s_wait_dscnt 0x0
	s_barrier_signal -1
	s_barrier_wait -1
	s_mov_b32 s0, exec_lo
	v_cmpx_gt_u32_e32 0x100, v0
	s_cbranch_execz .LBB576_164
; %bb.163:
	v_lshlrev_b32_e32 v1, 4, v0
	ds_load_2addr_b32 v[2:3], v1 offset1:1
	ds_load_2addr_b32 v[4:5], v1 offset0:2 offset1:3
	s_wait_dscnt 0x1
	v_dual_mov_b32 v3, 0 :: v_dual_add_nc_u32 v2, v3, v2
	s_wait_dscnt 0x0
	s_delay_alu instid0(VALU_DEP_1)
	v_add3_u32 v2, v2, v4, v5
	v_add_nc_u32_e32 v4, 0x1000, v1
	v_add_nc_u32_e32 v1, 0x1008, v1
	global_atomic_add_u64 v0, v[2:3], s[6:7] scale_offset scope:SCOPE_DEV
	ds_load_2addr_b32 v[4:5], v4 offset1:1
	ds_load_2addr_b32 v[6:7], v1 offset1:1
	s_wait_dscnt 0x1
	v_add_nc_u32_e32 v1, v5, v4
	s_wait_dscnt 0x0
	s_wait_xcnt 0x0
	s_delay_alu instid0(VALU_DEP_1)
	v_add3_u32 v2, v1, v6, v7
	global_atomic_add_u64 v0, v[2:3], s[6:7] offset:2048 scale_offset scope:SCOPE_DEV
.LBB576_164:
	s_endpgm
	.section	.rodata,"a",@progbits
	.p2align	6, 0x0
	.amdhsa_kernel _ZN7rocprim17ROCPRIM_400000_NS6detail17trampoline_kernelINS0_14default_configENS1_35radix_sort_onesweep_config_selectorIsNS0_10empty_typeEEEZNS1_34radix_sort_onesweep_global_offsetsIS3_Lb1EPKsPS5_mNS0_19identity_decomposerEEE10hipError_tT1_T2_PT3_SF_jT4_jjP12ihipStream_tbEUlT_E_NS1_11comp_targetILNS1_3genE0ELNS1_11target_archE4294967295ELNS1_3gpuE0ELNS1_3repE0EEENS1_52radix_sort_onesweep_histogram_config_static_selectorELNS0_4arch9wavefront6targetE0EEEvSD_
		.amdhsa_group_segment_fixed_size 8192
		.amdhsa_private_segment_fixed_size 0
		.amdhsa_kernarg_size 48
		.amdhsa_user_sgpr_count 2
		.amdhsa_user_sgpr_dispatch_ptr 0
		.amdhsa_user_sgpr_queue_ptr 0
		.amdhsa_user_sgpr_kernarg_segment_ptr 1
		.amdhsa_user_sgpr_dispatch_id 0
		.amdhsa_user_sgpr_kernarg_preload_length 0
		.amdhsa_user_sgpr_kernarg_preload_offset 0
		.amdhsa_user_sgpr_private_segment_size 0
		.amdhsa_wavefront_size32 1
		.amdhsa_uses_dynamic_stack 0
		.amdhsa_enable_private_segment 0
		.amdhsa_system_sgpr_workgroup_id_x 1
		.amdhsa_system_sgpr_workgroup_id_y 0
		.amdhsa_system_sgpr_workgroup_id_z 0
		.amdhsa_system_sgpr_workgroup_info 0
		.amdhsa_system_vgpr_workitem_id 0
		.amdhsa_next_free_vgpr 23
		.amdhsa_next_free_sgpr 13
		.amdhsa_named_barrier_count 0
		.amdhsa_reserve_vcc 1
		.amdhsa_float_round_mode_32 0
		.amdhsa_float_round_mode_16_64 0
		.amdhsa_float_denorm_mode_32 3
		.amdhsa_float_denorm_mode_16_64 3
		.amdhsa_fp16_overflow 0
		.amdhsa_memory_ordered 1
		.amdhsa_forward_progress 1
		.amdhsa_inst_pref_size 56
		.amdhsa_round_robin_scheduling 0
		.amdhsa_exception_fp_ieee_invalid_op 0
		.amdhsa_exception_fp_denorm_src 0
		.amdhsa_exception_fp_ieee_div_zero 0
		.amdhsa_exception_fp_ieee_overflow 0
		.amdhsa_exception_fp_ieee_underflow 0
		.amdhsa_exception_fp_ieee_inexact 0
		.amdhsa_exception_int_div_zero 0
	.end_amdhsa_kernel
	.section	.text._ZN7rocprim17ROCPRIM_400000_NS6detail17trampoline_kernelINS0_14default_configENS1_35radix_sort_onesweep_config_selectorIsNS0_10empty_typeEEEZNS1_34radix_sort_onesweep_global_offsetsIS3_Lb1EPKsPS5_mNS0_19identity_decomposerEEE10hipError_tT1_T2_PT3_SF_jT4_jjP12ihipStream_tbEUlT_E_NS1_11comp_targetILNS1_3genE0ELNS1_11target_archE4294967295ELNS1_3gpuE0ELNS1_3repE0EEENS1_52radix_sort_onesweep_histogram_config_static_selectorELNS0_4arch9wavefront6targetE0EEEvSD_,"axG",@progbits,_ZN7rocprim17ROCPRIM_400000_NS6detail17trampoline_kernelINS0_14default_configENS1_35radix_sort_onesweep_config_selectorIsNS0_10empty_typeEEEZNS1_34radix_sort_onesweep_global_offsetsIS3_Lb1EPKsPS5_mNS0_19identity_decomposerEEE10hipError_tT1_T2_PT3_SF_jT4_jjP12ihipStream_tbEUlT_E_NS1_11comp_targetILNS1_3genE0ELNS1_11target_archE4294967295ELNS1_3gpuE0ELNS1_3repE0EEENS1_52radix_sort_onesweep_histogram_config_static_selectorELNS0_4arch9wavefront6targetE0EEEvSD_,comdat
.Lfunc_end576:
	.size	_ZN7rocprim17ROCPRIM_400000_NS6detail17trampoline_kernelINS0_14default_configENS1_35radix_sort_onesweep_config_selectorIsNS0_10empty_typeEEEZNS1_34radix_sort_onesweep_global_offsetsIS3_Lb1EPKsPS5_mNS0_19identity_decomposerEEE10hipError_tT1_T2_PT3_SF_jT4_jjP12ihipStream_tbEUlT_E_NS1_11comp_targetILNS1_3genE0ELNS1_11target_archE4294967295ELNS1_3gpuE0ELNS1_3repE0EEENS1_52radix_sort_onesweep_histogram_config_static_selectorELNS0_4arch9wavefront6targetE0EEEvSD_, .Lfunc_end576-_ZN7rocprim17ROCPRIM_400000_NS6detail17trampoline_kernelINS0_14default_configENS1_35radix_sort_onesweep_config_selectorIsNS0_10empty_typeEEEZNS1_34radix_sort_onesweep_global_offsetsIS3_Lb1EPKsPS5_mNS0_19identity_decomposerEEE10hipError_tT1_T2_PT3_SF_jT4_jjP12ihipStream_tbEUlT_E_NS1_11comp_targetILNS1_3genE0ELNS1_11target_archE4294967295ELNS1_3gpuE0ELNS1_3repE0EEENS1_52radix_sort_onesweep_histogram_config_static_selectorELNS0_4arch9wavefront6targetE0EEEvSD_
                                        ; -- End function
	.set _ZN7rocprim17ROCPRIM_400000_NS6detail17trampoline_kernelINS0_14default_configENS1_35radix_sort_onesweep_config_selectorIsNS0_10empty_typeEEEZNS1_34radix_sort_onesweep_global_offsetsIS3_Lb1EPKsPS5_mNS0_19identity_decomposerEEE10hipError_tT1_T2_PT3_SF_jT4_jjP12ihipStream_tbEUlT_E_NS1_11comp_targetILNS1_3genE0ELNS1_11target_archE4294967295ELNS1_3gpuE0ELNS1_3repE0EEENS1_52radix_sort_onesweep_histogram_config_static_selectorELNS0_4arch9wavefront6targetE0EEEvSD_.num_vgpr, 23
	.set _ZN7rocprim17ROCPRIM_400000_NS6detail17trampoline_kernelINS0_14default_configENS1_35radix_sort_onesweep_config_selectorIsNS0_10empty_typeEEEZNS1_34radix_sort_onesweep_global_offsetsIS3_Lb1EPKsPS5_mNS0_19identity_decomposerEEE10hipError_tT1_T2_PT3_SF_jT4_jjP12ihipStream_tbEUlT_E_NS1_11comp_targetILNS1_3genE0ELNS1_11target_archE4294967295ELNS1_3gpuE0ELNS1_3repE0EEENS1_52radix_sort_onesweep_histogram_config_static_selectorELNS0_4arch9wavefront6targetE0EEEvSD_.num_agpr, 0
	.set _ZN7rocprim17ROCPRIM_400000_NS6detail17trampoline_kernelINS0_14default_configENS1_35radix_sort_onesweep_config_selectorIsNS0_10empty_typeEEEZNS1_34radix_sort_onesweep_global_offsetsIS3_Lb1EPKsPS5_mNS0_19identity_decomposerEEE10hipError_tT1_T2_PT3_SF_jT4_jjP12ihipStream_tbEUlT_E_NS1_11comp_targetILNS1_3genE0ELNS1_11target_archE4294967295ELNS1_3gpuE0ELNS1_3repE0EEENS1_52radix_sort_onesweep_histogram_config_static_selectorELNS0_4arch9wavefront6targetE0EEEvSD_.numbered_sgpr, 13
	.set _ZN7rocprim17ROCPRIM_400000_NS6detail17trampoline_kernelINS0_14default_configENS1_35radix_sort_onesweep_config_selectorIsNS0_10empty_typeEEEZNS1_34radix_sort_onesweep_global_offsetsIS3_Lb1EPKsPS5_mNS0_19identity_decomposerEEE10hipError_tT1_T2_PT3_SF_jT4_jjP12ihipStream_tbEUlT_E_NS1_11comp_targetILNS1_3genE0ELNS1_11target_archE4294967295ELNS1_3gpuE0ELNS1_3repE0EEENS1_52radix_sort_onesweep_histogram_config_static_selectorELNS0_4arch9wavefront6targetE0EEEvSD_.num_named_barrier, 0
	.set _ZN7rocprim17ROCPRIM_400000_NS6detail17trampoline_kernelINS0_14default_configENS1_35radix_sort_onesweep_config_selectorIsNS0_10empty_typeEEEZNS1_34radix_sort_onesweep_global_offsetsIS3_Lb1EPKsPS5_mNS0_19identity_decomposerEEE10hipError_tT1_T2_PT3_SF_jT4_jjP12ihipStream_tbEUlT_E_NS1_11comp_targetILNS1_3genE0ELNS1_11target_archE4294967295ELNS1_3gpuE0ELNS1_3repE0EEENS1_52radix_sort_onesweep_histogram_config_static_selectorELNS0_4arch9wavefront6targetE0EEEvSD_.private_seg_size, 0
	.set _ZN7rocprim17ROCPRIM_400000_NS6detail17trampoline_kernelINS0_14default_configENS1_35radix_sort_onesweep_config_selectorIsNS0_10empty_typeEEEZNS1_34radix_sort_onesweep_global_offsetsIS3_Lb1EPKsPS5_mNS0_19identity_decomposerEEE10hipError_tT1_T2_PT3_SF_jT4_jjP12ihipStream_tbEUlT_E_NS1_11comp_targetILNS1_3genE0ELNS1_11target_archE4294967295ELNS1_3gpuE0ELNS1_3repE0EEENS1_52radix_sort_onesweep_histogram_config_static_selectorELNS0_4arch9wavefront6targetE0EEEvSD_.uses_vcc, 1
	.set _ZN7rocprim17ROCPRIM_400000_NS6detail17trampoline_kernelINS0_14default_configENS1_35radix_sort_onesweep_config_selectorIsNS0_10empty_typeEEEZNS1_34radix_sort_onesweep_global_offsetsIS3_Lb1EPKsPS5_mNS0_19identity_decomposerEEE10hipError_tT1_T2_PT3_SF_jT4_jjP12ihipStream_tbEUlT_E_NS1_11comp_targetILNS1_3genE0ELNS1_11target_archE4294967295ELNS1_3gpuE0ELNS1_3repE0EEENS1_52radix_sort_onesweep_histogram_config_static_selectorELNS0_4arch9wavefront6targetE0EEEvSD_.uses_flat_scratch, 0
	.set _ZN7rocprim17ROCPRIM_400000_NS6detail17trampoline_kernelINS0_14default_configENS1_35radix_sort_onesweep_config_selectorIsNS0_10empty_typeEEEZNS1_34radix_sort_onesweep_global_offsetsIS3_Lb1EPKsPS5_mNS0_19identity_decomposerEEE10hipError_tT1_T2_PT3_SF_jT4_jjP12ihipStream_tbEUlT_E_NS1_11comp_targetILNS1_3genE0ELNS1_11target_archE4294967295ELNS1_3gpuE0ELNS1_3repE0EEENS1_52radix_sort_onesweep_histogram_config_static_selectorELNS0_4arch9wavefront6targetE0EEEvSD_.has_dyn_sized_stack, 0
	.set _ZN7rocprim17ROCPRIM_400000_NS6detail17trampoline_kernelINS0_14default_configENS1_35radix_sort_onesweep_config_selectorIsNS0_10empty_typeEEEZNS1_34radix_sort_onesweep_global_offsetsIS3_Lb1EPKsPS5_mNS0_19identity_decomposerEEE10hipError_tT1_T2_PT3_SF_jT4_jjP12ihipStream_tbEUlT_E_NS1_11comp_targetILNS1_3genE0ELNS1_11target_archE4294967295ELNS1_3gpuE0ELNS1_3repE0EEENS1_52radix_sort_onesweep_histogram_config_static_selectorELNS0_4arch9wavefront6targetE0EEEvSD_.has_recursion, 0
	.set _ZN7rocprim17ROCPRIM_400000_NS6detail17trampoline_kernelINS0_14default_configENS1_35radix_sort_onesweep_config_selectorIsNS0_10empty_typeEEEZNS1_34radix_sort_onesweep_global_offsetsIS3_Lb1EPKsPS5_mNS0_19identity_decomposerEEE10hipError_tT1_T2_PT3_SF_jT4_jjP12ihipStream_tbEUlT_E_NS1_11comp_targetILNS1_3genE0ELNS1_11target_archE4294967295ELNS1_3gpuE0ELNS1_3repE0EEENS1_52radix_sort_onesweep_histogram_config_static_selectorELNS0_4arch9wavefront6targetE0EEEvSD_.has_indirect_call, 0
	.section	.AMDGPU.csdata,"",@progbits
; Kernel info:
; codeLenInByte = 7136
; TotalNumSgprs: 15
; NumVgprs: 23
; ScratchSize: 0
; MemoryBound: 0
; FloatMode: 240
; IeeeMode: 1
; LDSByteSize: 8192 bytes/workgroup (compile time only)
; SGPRBlocks: 0
; VGPRBlocks: 1
; NumSGPRsForWavesPerEU: 15
; NumVGPRsForWavesPerEU: 23
; NamedBarCnt: 0
; Occupancy: 16
; WaveLimiterHint : 1
; COMPUTE_PGM_RSRC2:SCRATCH_EN: 0
; COMPUTE_PGM_RSRC2:USER_SGPR: 2
; COMPUTE_PGM_RSRC2:TRAP_HANDLER: 0
; COMPUTE_PGM_RSRC2:TGID_X_EN: 1
; COMPUTE_PGM_RSRC2:TGID_Y_EN: 0
; COMPUTE_PGM_RSRC2:TGID_Z_EN: 0
; COMPUTE_PGM_RSRC2:TIDIG_COMP_CNT: 0
	.section	.text._ZN7rocprim17ROCPRIM_400000_NS6detail17trampoline_kernelINS0_14default_configENS1_35radix_sort_onesweep_config_selectorIsNS0_10empty_typeEEEZNS1_34radix_sort_onesweep_global_offsetsIS3_Lb1EPKsPS5_mNS0_19identity_decomposerEEE10hipError_tT1_T2_PT3_SF_jT4_jjP12ihipStream_tbEUlT_E_NS1_11comp_targetILNS1_3genE6ELNS1_11target_archE950ELNS1_3gpuE13ELNS1_3repE0EEENS1_52radix_sort_onesweep_histogram_config_static_selectorELNS0_4arch9wavefront6targetE0EEEvSD_,"axG",@progbits,_ZN7rocprim17ROCPRIM_400000_NS6detail17trampoline_kernelINS0_14default_configENS1_35radix_sort_onesweep_config_selectorIsNS0_10empty_typeEEEZNS1_34radix_sort_onesweep_global_offsetsIS3_Lb1EPKsPS5_mNS0_19identity_decomposerEEE10hipError_tT1_T2_PT3_SF_jT4_jjP12ihipStream_tbEUlT_E_NS1_11comp_targetILNS1_3genE6ELNS1_11target_archE950ELNS1_3gpuE13ELNS1_3repE0EEENS1_52radix_sort_onesweep_histogram_config_static_selectorELNS0_4arch9wavefront6targetE0EEEvSD_,comdat
	.protected	_ZN7rocprim17ROCPRIM_400000_NS6detail17trampoline_kernelINS0_14default_configENS1_35radix_sort_onesweep_config_selectorIsNS0_10empty_typeEEEZNS1_34radix_sort_onesweep_global_offsetsIS3_Lb1EPKsPS5_mNS0_19identity_decomposerEEE10hipError_tT1_T2_PT3_SF_jT4_jjP12ihipStream_tbEUlT_E_NS1_11comp_targetILNS1_3genE6ELNS1_11target_archE950ELNS1_3gpuE13ELNS1_3repE0EEENS1_52radix_sort_onesweep_histogram_config_static_selectorELNS0_4arch9wavefront6targetE0EEEvSD_ ; -- Begin function _ZN7rocprim17ROCPRIM_400000_NS6detail17trampoline_kernelINS0_14default_configENS1_35radix_sort_onesweep_config_selectorIsNS0_10empty_typeEEEZNS1_34radix_sort_onesweep_global_offsetsIS3_Lb1EPKsPS5_mNS0_19identity_decomposerEEE10hipError_tT1_T2_PT3_SF_jT4_jjP12ihipStream_tbEUlT_E_NS1_11comp_targetILNS1_3genE6ELNS1_11target_archE950ELNS1_3gpuE13ELNS1_3repE0EEENS1_52radix_sort_onesweep_histogram_config_static_selectorELNS0_4arch9wavefront6targetE0EEEvSD_
	.globl	_ZN7rocprim17ROCPRIM_400000_NS6detail17trampoline_kernelINS0_14default_configENS1_35radix_sort_onesweep_config_selectorIsNS0_10empty_typeEEEZNS1_34radix_sort_onesweep_global_offsetsIS3_Lb1EPKsPS5_mNS0_19identity_decomposerEEE10hipError_tT1_T2_PT3_SF_jT4_jjP12ihipStream_tbEUlT_E_NS1_11comp_targetILNS1_3genE6ELNS1_11target_archE950ELNS1_3gpuE13ELNS1_3repE0EEENS1_52radix_sort_onesweep_histogram_config_static_selectorELNS0_4arch9wavefront6targetE0EEEvSD_
	.p2align	8
	.type	_ZN7rocprim17ROCPRIM_400000_NS6detail17trampoline_kernelINS0_14default_configENS1_35radix_sort_onesweep_config_selectorIsNS0_10empty_typeEEEZNS1_34radix_sort_onesweep_global_offsetsIS3_Lb1EPKsPS5_mNS0_19identity_decomposerEEE10hipError_tT1_T2_PT3_SF_jT4_jjP12ihipStream_tbEUlT_E_NS1_11comp_targetILNS1_3genE6ELNS1_11target_archE950ELNS1_3gpuE13ELNS1_3repE0EEENS1_52radix_sort_onesweep_histogram_config_static_selectorELNS0_4arch9wavefront6targetE0EEEvSD_,@function
_ZN7rocprim17ROCPRIM_400000_NS6detail17trampoline_kernelINS0_14default_configENS1_35radix_sort_onesweep_config_selectorIsNS0_10empty_typeEEEZNS1_34radix_sort_onesweep_global_offsetsIS3_Lb1EPKsPS5_mNS0_19identity_decomposerEEE10hipError_tT1_T2_PT3_SF_jT4_jjP12ihipStream_tbEUlT_E_NS1_11comp_targetILNS1_3genE6ELNS1_11target_archE950ELNS1_3gpuE13ELNS1_3repE0EEENS1_52radix_sort_onesweep_histogram_config_static_selectorELNS0_4arch9wavefront6targetE0EEEvSD_: ; @_ZN7rocprim17ROCPRIM_400000_NS6detail17trampoline_kernelINS0_14default_configENS1_35radix_sort_onesweep_config_selectorIsNS0_10empty_typeEEEZNS1_34radix_sort_onesweep_global_offsetsIS3_Lb1EPKsPS5_mNS0_19identity_decomposerEEE10hipError_tT1_T2_PT3_SF_jT4_jjP12ihipStream_tbEUlT_E_NS1_11comp_targetILNS1_3genE6ELNS1_11target_archE950ELNS1_3gpuE13ELNS1_3repE0EEENS1_52radix_sort_onesweep_histogram_config_static_selectorELNS0_4arch9wavefront6targetE0EEEvSD_
; %bb.0:
	.section	.rodata,"a",@progbits
	.p2align	6, 0x0
	.amdhsa_kernel _ZN7rocprim17ROCPRIM_400000_NS6detail17trampoline_kernelINS0_14default_configENS1_35radix_sort_onesweep_config_selectorIsNS0_10empty_typeEEEZNS1_34radix_sort_onesweep_global_offsetsIS3_Lb1EPKsPS5_mNS0_19identity_decomposerEEE10hipError_tT1_T2_PT3_SF_jT4_jjP12ihipStream_tbEUlT_E_NS1_11comp_targetILNS1_3genE6ELNS1_11target_archE950ELNS1_3gpuE13ELNS1_3repE0EEENS1_52radix_sort_onesweep_histogram_config_static_selectorELNS0_4arch9wavefront6targetE0EEEvSD_
		.amdhsa_group_segment_fixed_size 0
		.amdhsa_private_segment_fixed_size 0
		.amdhsa_kernarg_size 48
		.amdhsa_user_sgpr_count 2
		.amdhsa_user_sgpr_dispatch_ptr 0
		.amdhsa_user_sgpr_queue_ptr 0
		.amdhsa_user_sgpr_kernarg_segment_ptr 1
		.amdhsa_user_sgpr_dispatch_id 0
		.amdhsa_user_sgpr_kernarg_preload_length 0
		.amdhsa_user_sgpr_kernarg_preload_offset 0
		.amdhsa_user_sgpr_private_segment_size 0
		.amdhsa_wavefront_size32 1
		.amdhsa_uses_dynamic_stack 0
		.amdhsa_enable_private_segment 0
		.amdhsa_system_sgpr_workgroup_id_x 1
		.amdhsa_system_sgpr_workgroup_id_y 0
		.amdhsa_system_sgpr_workgroup_id_z 0
		.amdhsa_system_sgpr_workgroup_info 0
		.amdhsa_system_vgpr_workitem_id 0
		.amdhsa_next_free_vgpr 1
		.amdhsa_next_free_sgpr 1
		.amdhsa_named_barrier_count 0
		.amdhsa_reserve_vcc 0
		.amdhsa_float_round_mode_32 0
		.amdhsa_float_round_mode_16_64 0
		.amdhsa_float_denorm_mode_32 3
		.amdhsa_float_denorm_mode_16_64 3
		.amdhsa_fp16_overflow 0
		.amdhsa_memory_ordered 1
		.amdhsa_forward_progress 1
		.amdhsa_inst_pref_size 0
		.amdhsa_round_robin_scheduling 0
		.amdhsa_exception_fp_ieee_invalid_op 0
		.amdhsa_exception_fp_denorm_src 0
		.amdhsa_exception_fp_ieee_div_zero 0
		.amdhsa_exception_fp_ieee_overflow 0
		.amdhsa_exception_fp_ieee_underflow 0
		.amdhsa_exception_fp_ieee_inexact 0
		.amdhsa_exception_int_div_zero 0
	.end_amdhsa_kernel
	.section	.text._ZN7rocprim17ROCPRIM_400000_NS6detail17trampoline_kernelINS0_14default_configENS1_35radix_sort_onesweep_config_selectorIsNS0_10empty_typeEEEZNS1_34radix_sort_onesweep_global_offsetsIS3_Lb1EPKsPS5_mNS0_19identity_decomposerEEE10hipError_tT1_T2_PT3_SF_jT4_jjP12ihipStream_tbEUlT_E_NS1_11comp_targetILNS1_3genE6ELNS1_11target_archE950ELNS1_3gpuE13ELNS1_3repE0EEENS1_52radix_sort_onesweep_histogram_config_static_selectorELNS0_4arch9wavefront6targetE0EEEvSD_,"axG",@progbits,_ZN7rocprim17ROCPRIM_400000_NS6detail17trampoline_kernelINS0_14default_configENS1_35radix_sort_onesweep_config_selectorIsNS0_10empty_typeEEEZNS1_34radix_sort_onesweep_global_offsetsIS3_Lb1EPKsPS5_mNS0_19identity_decomposerEEE10hipError_tT1_T2_PT3_SF_jT4_jjP12ihipStream_tbEUlT_E_NS1_11comp_targetILNS1_3genE6ELNS1_11target_archE950ELNS1_3gpuE13ELNS1_3repE0EEENS1_52radix_sort_onesweep_histogram_config_static_selectorELNS0_4arch9wavefront6targetE0EEEvSD_,comdat
.Lfunc_end577:
	.size	_ZN7rocprim17ROCPRIM_400000_NS6detail17trampoline_kernelINS0_14default_configENS1_35radix_sort_onesweep_config_selectorIsNS0_10empty_typeEEEZNS1_34radix_sort_onesweep_global_offsetsIS3_Lb1EPKsPS5_mNS0_19identity_decomposerEEE10hipError_tT1_T2_PT3_SF_jT4_jjP12ihipStream_tbEUlT_E_NS1_11comp_targetILNS1_3genE6ELNS1_11target_archE950ELNS1_3gpuE13ELNS1_3repE0EEENS1_52radix_sort_onesweep_histogram_config_static_selectorELNS0_4arch9wavefront6targetE0EEEvSD_, .Lfunc_end577-_ZN7rocprim17ROCPRIM_400000_NS6detail17trampoline_kernelINS0_14default_configENS1_35radix_sort_onesweep_config_selectorIsNS0_10empty_typeEEEZNS1_34radix_sort_onesweep_global_offsetsIS3_Lb1EPKsPS5_mNS0_19identity_decomposerEEE10hipError_tT1_T2_PT3_SF_jT4_jjP12ihipStream_tbEUlT_E_NS1_11comp_targetILNS1_3genE6ELNS1_11target_archE950ELNS1_3gpuE13ELNS1_3repE0EEENS1_52radix_sort_onesweep_histogram_config_static_selectorELNS0_4arch9wavefront6targetE0EEEvSD_
                                        ; -- End function
	.set _ZN7rocprim17ROCPRIM_400000_NS6detail17trampoline_kernelINS0_14default_configENS1_35radix_sort_onesweep_config_selectorIsNS0_10empty_typeEEEZNS1_34radix_sort_onesweep_global_offsetsIS3_Lb1EPKsPS5_mNS0_19identity_decomposerEEE10hipError_tT1_T2_PT3_SF_jT4_jjP12ihipStream_tbEUlT_E_NS1_11comp_targetILNS1_3genE6ELNS1_11target_archE950ELNS1_3gpuE13ELNS1_3repE0EEENS1_52radix_sort_onesweep_histogram_config_static_selectorELNS0_4arch9wavefront6targetE0EEEvSD_.num_vgpr, 0
	.set _ZN7rocprim17ROCPRIM_400000_NS6detail17trampoline_kernelINS0_14default_configENS1_35radix_sort_onesweep_config_selectorIsNS0_10empty_typeEEEZNS1_34radix_sort_onesweep_global_offsetsIS3_Lb1EPKsPS5_mNS0_19identity_decomposerEEE10hipError_tT1_T2_PT3_SF_jT4_jjP12ihipStream_tbEUlT_E_NS1_11comp_targetILNS1_3genE6ELNS1_11target_archE950ELNS1_3gpuE13ELNS1_3repE0EEENS1_52radix_sort_onesweep_histogram_config_static_selectorELNS0_4arch9wavefront6targetE0EEEvSD_.num_agpr, 0
	.set _ZN7rocprim17ROCPRIM_400000_NS6detail17trampoline_kernelINS0_14default_configENS1_35radix_sort_onesweep_config_selectorIsNS0_10empty_typeEEEZNS1_34radix_sort_onesweep_global_offsetsIS3_Lb1EPKsPS5_mNS0_19identity_decomposerEEE10hipError_tT1_T2_PT3_SF_jT4_jjP12ihipStream_tbEUlT_E_NS1_11comp_targetILNS1_3genE6ELNS1_11target_archE950ELNS1_3gpuE13ELNS1_3repE0EEENS1_52radix_sort_onesweep_histogram_config_static_selectorELNS0_4arch9wavefront6targetE0EEEvSD_.numbered_sgpr, 0
	.set _ZN7rocprim17ROCPRIM_400000_NS6detail17trampoline_kernelINS0_14default_configENS1_35radix_sort_onesweep_config_selectorIsNS0_10empty_typeEEEZNS1_34radix_sort_onesweep_global_offsetsIS3_Lb1EPKsPS5_mNS0_19identity_decomposerEEE10hipError_tT1_T2_PT3_SF_jT4_jjP12ihipStream_tbEUlT_E_NS1_11comp_targetILNS1_3genE6ELNS1_11target_archE950ELNS1_3gpuE13ELNS1_3repE0EEENS1_52radix_sort_onesweep_histogram_config_static_selectorELNS0_4arch9wavefront6targetE0EEEvSD_.num_named_barrier, 0
	.set _ZN7rocprim17ROCPRIM_400000_NS6detail17trampoline_kernelINS0_14default_configENS1_35radix_sort_onesweep_config_selectorIsNS0_10empty_typeEEEZNS1_34radix_sort_onesweep_global_offsetsIS3_Lb1EPKsPS5_mNS0_19identity_decomposerEEE10hipError_tT1_T2_PT3_SF_jT4_jjP12ihipStream_tbEUlT_E_NS1_11comp_targetILNS1_3genE6ELNS1_11target_archE950ELNS1_3gpuE13ELNS1_3repE0EEENS1_52radix_sort_onesweep_histogram_config_static_selectorELNS0_4arch9wavefront6targetE0EEEvSD_.private_seg_size, 0
	.set _ZN7rocprim17ROCPRIM_400000_NS6detail17trampoline_kernelINS0_14default_configENS1_35radix_sort_onesweep_config_selectorIsNS0_10empty_typeEEEZNS1_34radix_sort_onesweep_global_offsetsIS3_Lb1EPKsPS5_mNS0_19identity_decomposerEEE10hipError_tT1_T2_PT3_SF_jT4_jjP12ihipStream_tbEUlT_E_NS1_11comp_targetILNS1_3genE6ELNS1_11target_archE950ELNS1_3gpuE13ELNS1_3repE0EEENS1_52radix_sort_onesweep_histogram_config_static_selectorELNS0_4arch9wavefront6targetE0EEEvSD_.uses_vcc, 0
	.set _ZN7rocprim17ROCPRIM_400000_NS6detail17trampoline_kernelINS0_14default_configENS1_35radix_sort_onesweep_config_selectorIsNS0_10empty_typeEEEZNS1_34radix_sort_onesweep_global_offsetsIS3_Lb1EPKsPS5_mNS0_19identity_decomposerEEE10hipError_tT1_T2_PT3_SF_jT4_jjP12ihipStream_tbEUlT_E_NS1_11comp_targetILNS1_3genE6ELNS1_11target_archE950ELNS1_3gpuE13ELNS1_3repE0EEENS1_52radix_sort_onesweep_histogram_config_static_selectorELNS0_4arch9wavefront6targetE0EEEvSD_.uses_flat_scratch, 0
	.set _ZN7rocprim17ROCPRIM_400000_NS6detail17trampoline_kernelINS0_14default_configENS1_35radix_sort_onesweep_config_selectorIsNS0_10empty_typeEEEZNS1_34radix_sort_onesweep_global_offsetsIS3_Lb1EPKsPS5_mNS0_19identity_decomposerEEE10hipError_tT1_T2_PT3_SF_jT4_jjP12ihipStream_tbEUlT_E_NS1_11comp_targetILNS1_3genE6ELNS1_11target_archE950ELNS1_3gpuE13ELNS1_3repE0EEENS1_52radix_sort_onesweep_histogram_config_static_selectorELNS0_4arch9wavefront6targetE0EEEvSD_.has_dyn_sized_stack, 0
	.set _ZN7rocprim17ROCPRIM_400000_NS6detail17trampoline_kernelINS0_14default_configENS1_35radix_sort_onesweep_config_selectorIsNS0_10empty_typeEEEZNS1_34radix_sort_onesweep_global_offsetsIS3_Lb1EPKsPS5_mNS0_19identity_decomposerEEE10hipError_tT1_T2_PT3_SF_jT4_jjP12ihipStream_tbEUlT_E_NS1_11comp_targetILNS1_3genE6ELNS1_11target_archE950ELNS1_3gpuE13ELNS1_3repE0EEENS1_52radix_sort_onesweep_histogram_config_static_selectorELNS0_4arch9wavefront6targetE0EEEvSD_.has_recursion, 0
	.set _ZN7rocprim17ROCPRIM_400000_NS6detail17trampoline_kernelINS0_14default_configENS1_35radix_sort_onesweep_config_selectorIsNS0_10empty_typeEEEZNS1_34radix_sort_onesweep_global_offsetsIS3_Lb1EPKsPS5_mNS0_19identity_decomposerEEE10hipError_tT1_T2_PT3_SF_jT4_jjP12ihipStream_tbEUlT_E_NS1_11comp_targetILNS1_3genE6ELNS1_11target_archE950ELNS1_3gpuE13ELNS1_3repE0EEENS1_52radix_sort_onesweep_histogram_config_static_selectorELNS0_4arch9wavefront6targetE0EEEvSD_.has_indirect_call, 0
	.section	.AMDGPU.csdata,"",@progbits
; Kernel info:
; codeLenInByte = 0
; TotalNumSgprs: 0
; NumVgprs: 0
; ScratchSize: 0
; MemoryBound: 0
; FloatMode: 240
; IeeeMode: 1
; LDSByteSize: 0 bytes/workgroup (compile time only)
; SGPRBlocks: 0
; VGPRBlocks: 0
; NumSGPRsForWavesPerEU: 1
; NumVGPRsForWavesPerEU: 1
; NamedBarCnt: 0
; Occupancy: 16
; WaveLimiterHint : 0
; COMPUTE_PGM_RSRC2:SCRATCH_EN: 0
; COMPUTE_PGM_RSRC2:USER_SGPR: 2
; COMPUTE_PGM_RSRC2:TRAP_HANDLER: 0
; COMPUTE_PGM_RSRC2:TGID_X_EN: 1
; COMPUTE_PGM_RSRC2:TGID_Y_EN: 0
; COMPUTE_PGM_RSRC2:TGID_Z_EN: 0
; COMPUTE_PGM_RSRC2:TIDIG_COMP_CNT: 0
	.section	.text._ZN7rocprim17ROCPRIM_400000_NS6detail17trampoline_kernelINS0_14default_configENS1_35radix_sort_onesweep_config_selectorIsNS0_10empty_typeEEEZNS1_34radix_sort_onesweep_global_offsetsIS3_Lb1EPKsPS5_mNS0_19identity_decomposerEEE10hipError_tT1_T2_PT3_SF_jT4_jjP12ihipStream_tbEUlT_E_NS1_11comp_targetILNS1_3genE5ELNS1_11target_archE942ELNS1_3gpuE9ELNS1_3repE0EEENS1_52radix_sort_onesweep_histogram_config_static_selectorELNS0_4arch9wavefront6targetE0EEEvSD_,"axG",@progbits,_ZN7rocprim17ROCPRIM_400000_NS6detail17trampoline_kernelINS0_14default_configENS1_35radix_sort_onesweep_config_selectorIsNS0_10empty_typeEEEZNS1_34radix_sort_onesweep_global_offsetsIS3_Lb1EPKsPS5_mNS0_19identity_decomposerEEE10hipError_tT1_T2_PT3_SF_jT4_jjP12ihipStream_tbEUlT_E_NS1_11comp_targetILNS1_3genE5ELNS1_11target_archE942ELNS1_3gpuE9ELNS1_3repE0EEENS1_52radix_sort_onesweep_histogram_config_static_selectorELNS0_4arch9wavefront6targetE0EEEvSD_,comdat
	.protected	_ZN7rocprim17ROCPRIM_400000_NS6detail17trampoline_kernelINS0_14default_configENS1_35radix_sort_onesweep_config_selectorIsNS0_10empty_typeEEEZNS1_34radix_sort_onesweep_global_offsetsIS3_Lb1EPKsPS5_mNS0_19identity_decomposerEEE10hipError_tT1_T2_PT3_SF_jT4_jjP12ihipStream_tbEUlT_E_NS1_11comp_targetILNS1_3genE5ELNS1_11target_archE942ELNS1_3gpuE9ELNS1_3repE0EEENS1_52radix_sort_onesweep_histogram_config_static_selectorELNS0_4arch9wavefront6targetE0EEEvSD_ ; -- Begin function _ZN7rocprim17ROCPRIM_400000_NS6detail17trampoline_kernelINS0_14default_configENS1_35radix_sort_onesweep_config_selectorIsNS0_10empty_typeEEEZNS1_34radix_sort_onesweep_global_offsetsIS3_Lb1EPKsPS5_mNS0_19identity_decomposerEEE10hipError_tT1_T2_PT3_SF_jT4_jjP12ihipStream_tbEUlT_E_NS1_11comp_targetILNS1_3genE5ELNS1_11target_archE942ELNS1_3gpuE9ELNS1_3repE0EEENS1_52radix_sort_onesweep_histogram_config_static_selectorELNS0_4arch9wavefront6targetE0EEEvSD_
	.globl	_ZN7rocprim17ROCPRIM_400000_NS6detail17trampoline_kernelINS0_14default_configENS1_35radix_sort_onesweep_config_selectorIsNS0_10empty_typeEEEZNS1_34radix_sort_onesweep_global_offsetsIS3_Lb1EPKsPS5_mNS0_19identity_decomposerEEE10hipError_tT1_T2_PT3_SF_jT4_jjP12ihipStream_tbEUlT_E_NS1_11comp_targetILNS1_3genE5ELNS1_11target_archE942ELNS1_3gpuE9ELNS1_3repE0EEENS1_52radix_sort_onesweep_histogram_config_static_selectorELNS0_4arch9wavefront6targetE0EEEvSD_
	.p2align	8
	.type	_ZN7rocprim17ROCPRIM_400000_NS6detail17trampoline_kernelINS0_14default_configENS1_35radix_sort_onesweep_config_selectorIsNS0_10empty_typeEEEZNS1_34radix_sort_onesweep_global_offsetsIS3_Lb1EPKsPS5_mNS0_19identity_decomposerEEE10hipError_tT1_T2_PT3_SF_jT4_jjP12ihipStream_tbEUlT_E_NS1_11comp_targetILNS1_3genE5ELNS1_11target_archE942ELNS1_3gpuE9ELNS1_3repE0EEENS1_52radix_sort_onesweep_histogram_config_static_selectorELNS0_4arch9wavefront6targetE0EEEvSD_,@function
_ZN7rocprim17ROCPRIM_400000_NS6detail17trampoline_kernelINS0_14default_configENS1_35radix_sort_onesweep_config_selectorIsNS0_10empty_typeEEEZNS1_34radix_sort_onesweep_global_offsetsIS3_Lb1EPKsPS5_mNS0_19identity_decomposerEEE10hipError_tT1_T2_PT3_SF_jT4_jjP12ihipStream_tbEUlT_E_NS1_11comp_targetILNS1_3genE5ELNS1_11target_archE942ELNS1_3gpuE9ELNS1_3repE0EEENS1_52radix_sort_onesweep_histogram_config_static_selectorELNS0_4arch9wavefront6targetE0EEEvSD_: ; @_ZN7rocprim17ROCPRIM_400000_NS6detail17trampoline_kernelINS0_14default_configENS1_35radix_sort_onesweep_config_selectorIsNS0_10empty_typeEEEZNS1_34radix_sort_onesweep_global_offsetsIS3_Lb1EPKsPS5_mNS0_19identity_decomposerEEE10hipError_tT1_T2_PT3_SF_jT4_jjP12ihipStream_tbEUlT_E_NS1_11comp_targetILNS1_3genE5ELNS1_11target_archE942ELNS1_3gpuE9ELNS1_3repE0EEENS1_52radix_sort_onesweep_histogram_config_static_selectorELNS0_4arch9wavefront6targetE0EEEvSD_
; %bb.0:
	.section	.rodata,"a",@progbits
	.p2align	6, 0x0
	.amdhsa_kernel _ZN7rocprim17ROCPRIM_400000_NS6detail17trampoline_kernelINS0_14default_configENS1_35radix_sort_onesweep_config_selectorIsNS0_10empty_typeEEEZNS1_34radix_sort_onesweep_global_offsetsIS3_Lb1EPKsPS5_mNS0_19identity_decomposerEEE10hipError_tT1_T2_PT3_SF_jT4_jjP12ihipStream_tbEUlT_E_NS1_11comp_targetILNS1_3genE5ELNS1_11target_archE942ELNS1_3gpuE9ELNS1_3repE0EEENS1_52radix_sort_onesweep_histogram_config_static_selectorELNS0_4arch9wavefront6targetE0EEEvSD_
		.amdhsa_group_segment_fixed_size 0
		.amdhsa_private_segment_fixed_size 0
		.amdhsa_kernarg_size 48
		.amdhsa_user_sgpr_count 2
		.amdhsa_user_sgpr_dispatch_ptr 0
		.amdhsa_user_sgpr_queue_ptr 0
		.amdhsa_user_sgpr_kernarg_segment_ptr 1
		.amdhsa_user_sgpr_dispatch_id 0
		.amdhsa_user_sgpr_kernarg_preload_length 0
		.amdhsa_user_sgpr_kernarg_preload_offset 0
		.amdhsa_user_sgpr_private_segment_size 0
		.amdhsa_wavefront_size32 1
		.amdhsa_uses_dynamic_stack 0
		.amdhsa_enable_private_segment 0
		.amdhsa_system_sgpr_workgroup_id_x 1
		.amdhsa_system_sgpr_workgroup_id_y 0
		.amdhsa_system_sgpr_workgroup_id_z 0
		.amdhsa_system_sgpr_workgroup_info 0
		.amdhsa_system_vgpr_workitem_id 0
		.amdhsa_next_free_vgpr 1
		.amdhsa_next_free_sgpr 1
		.amdhsa_named_barrier_count 0
		.amdhsa_reserve_vcc 0
		.amdhsa_float_round_mode_32 0
		.amdhsa_float_round_mode_16_64 0
		.amdhsa_float_denorm_mode_32 3
		.amdhsa_float_denorm_mode_16_64 3
		.amdhsa_fp16_overflow 0
		.amdhsa_memory_ordered 1
		.amdhsa_forward_progress 1
		.amdhsa_inst_pref_size 0
		.amdhsa_round_robin_scheduling 0
		.amdhsa_exception_fp_ieee_invalid_op 0
		.amdhsa_exception_fp_denorm_src 0
		.amdhsa_exception_fp_ieee_div_zero 0
		.amdhsa_exception_fp_ieee_overflow 0
		.amdhsa_exception_fp_ieee_underflow 0
		.amdhsa_exception_fp_ieee_inexact 0
		.amdhsa_exception_int_div_zero 0
	.end_amdhsa_kernel
	.section	.text._ZN7rocprim17ROCPRIM_400000_NS6detail17trampoline_kernelINS0_14default_configENS1_35radix_sort_onesweep_config_selectorIsNS0_10empty_typeEEEZNS1_34radix_sort_onesweep_global_offsetsIS3_Lb1EPKsPS5_mNS0_19identity_decomposerEEE10hipError_tT1_T2_PT3_SF_jT4_jjP12ihipStream_tbEUlT_E_NS1_11comp_targetILNS1_3genE5ELNS1_11target_archE942ELNS1_3gpuE9ELNS1_3repE0EEENS1_52radix_sort_onesweep_histogram_config_static_selectorELNS0_4arch9wavefront6targetE0EEEvSD_,"axG",@progbits,_ZN7rocprim17ROCPRIM_400000_NS6detail17trampoline_kernelINS0_14default_configENS1_35radix_sort_onesweep_config_selectorIsNS0_10empty_typeEEEZNS1_34radix_sort_onesweep_global_offsetsIS3_Lb1EPKsPS5_mNS0_19identity_decomposerEEE10hipError_tT1_T2_PT3_SF_jT4_jjP12ihipStream_tbEUlT_E_NS1_11comp_targetILNS1_3genE5ELNS1_11target_archE942ELNS1_3gpuE9ELNS1_3repE0EEENS1_52radix_sort_onesweep_histogram_config_static_selectorELNS0_4arch9wavefront6targetE0EEEvSD_,comdat
.Lfunc_end578:
	.size	_ZN7rocprim17ROCPRIM_400000_NS6detail17trampoline_kernelINS0_14default_configENS1_35radix_sort_onesweep_config_selectorIsNS0_10empty_typeEEEZNS1_34radix_sort_onesweep_global_offsetsIS3_Lb1EPKsPS5_mNS0_19identity_decomposerEEE10hipError_tT1_T2_PT3_SF_jT4_jjP12ihipStream_tbEUlT_E_NS1_11comp_targetILNS1_3genE5ELNS1_11target_archE942ELNS1_3gpuE9ELNS1_3repE0EEENS1_52radix_sort_onesweep_histogram_config_static_selectorELNS0_4arch9wavefront6targetE0EEEvSD_, .Lfunc_end578-_ZN7rocprim17ROCPRIM_400000_NS6detail17trampoline_kernelINS0_14default_configENS1_35radix_sort_onesweep_config_selectorIsNS0_10empty_typeEEEZNS1_34radix_sort_onesweep_global_offsetsIS3_Lb1EPKsPS5_mNS0_19identity_decomposerEEE10hipError_tT1_T2_PT3_SF_jT4_jjP12ihipStream_tbEUlT_E_NS1_11comp_targetILNS1_3genE5ELNS1_11target_archE942ELNS1_3gpuE9ELNS1_3repE0EEENS1_52radix_sort_onesweep_histogram_config_static_selectorELNS0_4arch9wavefront6targetE0EEEvSD_
                                        ; -- End function
	.set _ZN7rocprim17ROCPRIM_400000_NS6detail17trampoline_kernelINS0_14default_configENS1_35radix_sort_onesweep_config_selectorIsNS0_10empty_typeEEEZNS1_34radix_sort_onesweep_global_offsetsIS3_Lb1EPKsPS5_mNS0_19identity_decomposerEEE10hipError_tT1_T2_PT3_SF_jT4_jjP12ihipStream_tbEUlT_E_NS1_11comp_targetILNS1_3genE5ELNS1_11target_archE942ELNS1_3gpuE9ELNS1_3repE0EEENS1_52radix_sort_onesweep_histogram_config_static_selectorELNS0_4arch9wavefront6targetE0EEEvSD_.num_vgpr, 0
	.set _ZN7rocprim17ROCPRIM_400000_NS6detail17trampoline_kernelINS0_14default_configENS1_35radix_sort_onesweep_config_selectorIsNS0_10empty_typeEEEZNS1_34radix_sort_onesweep_global_offsetsIS3_Lb1EPKsPS5_mNS0_19identity_decomposerEEE10hipError_tT1_T2_PT3_SF_jT4_jjP12ihipStream_tbEUlT_E_NS1_11comp_targetILNS1_3genE5ELNS1_11target_archE942ELNS1_3gpuE9ELNS1_3repE0EEENS1_52radix_sort_onesweep_histogram_config_static_selectorELNS0_4arch9wavefront6targetE0EEEvSD_.num_agpr, 0
	.set _ZN7rocprim17ROCPRIM_400000_NS6detail17trampoline_kernelINS0_14default_configENS1_35radix_sort_onesweep_config_selectorIsNS0_10empty_typeEEEZNS1_34radix_sort_onesweep_global_offsetsIS3_Lb1EPKsPS5_mNS0_19identity_decomposerEEE10hipError_tT1_T2_PT3_SF_jT4_jjP12ihipStream_tbEUlT_E_NS1_11comp_targetILNS1_3genE5ELNS1_11target_archE942ELNS1_3gpuE9ELNS1_3repE0EEENS1_52radix_sort_onesweep_histogram_config_static_selectorELNS0_4arch9wavefront6targetE0EEEvSD_.numbered_sgpr, 0
	.set _ZN7rocprim17ROCPRIM_400000_NS6detail17trampoline_kernelINS0_14default_configENS1_35radix_sort_onesweep_config_selectorIsNS0_10empty_typeEEEZNS1_34radix_sort_onesweep_global_offsetsIS3_Lb1EPKsPS5_mNS0_19identity_decomposerEEE10hipError_tT1_T2_PT3_SF_jT4_jjP12ihipStream_tbEUlT_E_NS1_11comp_targetILNS1_3genE5ELNS1_11target_archE942ELNS1_3gpuE9ELNS1_3repE0EEENS1_52radix_sort_onesweep_histogram_config_static_selectorELNS0_4arch9wavefront6targetE0EEEvSD_.num_named_barrier, 0
	.set _ZN7rocprim17ROCPRIM_400000_NS6detail17trampoline_kernelINS0_14default_configENS1_35radix_sort_onesweep_config_selectorIsNS0_10empty_typeEEEZNS1_34radix_sort_onesweep_global_offsetsIS3_Lb1EPKsPS5_mNS0_19identity_decomposerEEE10hipError_tT1_T2_PT3_SF_jT4_jjP12ihipStream_tbEUlT_E_NS1_11comp_targetILNS1_3genE5ELNS1_11target_archE942ELNS1_3gpuE9ELNS1_3repE0EEENS1_52radix_sort_onesweep_histogram_config_static_selectorELNS0_4arch9wavefront6targetE0EEEvSD_.private_seg_size, 0
	.set _ZN7rocprim17ROCPRIM_400000_NS6detail17trampoline_kernelINS0_14default_configENS1_35radix_sort_onesweep_config_selectorIsNS0_10empty_typeEEEZNS1_34radix_sort_onesweep_global_offsetsIS3_Lb1EPKsPS5_mNS0_19identity_decomposerEEE10hipError_tT1_T2_PT3_SF_jT4_jjP12ihipStream_tbEUlT_E_NS1_11comp_targetILNS1_3genE5ELNS1_11target_archE942ELNS1_3gpuE9ELNS1_3repE0EEENS1_52radix_sort_onesweep_histogram_config_static_selectorELNS0_4arch9wavefront6targetE0EEEvSD_.uses_vcc, 0
	.set _ZN7rocprim17ROCPRIM_400000_NS6detail17trampoline_kernelINS0_14default_configENS1_35radix_sort_onesweep_config_selectorIsNS0_10empty_typeEEEZNS1_34radix_sort_onesweep_global_offsetsIS3_Lb1EPKsPS5_mNS0_19identity_decomposerEEE10hipError_tT1_T2_PT3_SF_jT4_jjP12ihipStream_tbEUlT_E_NS1_11comp_targetILNS1_3genE5ELNS1_11target_archE942ELNS1_3gpuE9ELNS1_3repE0EEENS1_52radix_sort_onesweep_histogram_config_static_selectorELNS0_4arch9wavefront6targetE0EEEvSD_.uses_flat_scratch, 0
	.set _ZN7rocprim17ROCPRIM_400000_NS6detail17trampoline_kernelINS0_14default_configENS1_35radix_sort_onesweep_config_selectorIsNS0_10empty_typeEEEZNS1_34radix_sort_onesweep_global_offsetsIS3_Lb1EPKsPS5_mNS0_19identity_decomposerEEE10hipError_tT1_T2_PT3_SF_jT4_jjP12ihipStream_tbEUlT_E_NS1_11comp_targetILNS1_3genE5ELNS1_11target_archE942ELNS1_3gpuE9ELNS1_3repE0EEENS1_52radix_sort_onesweep_histogram_config_static_selectorELNS0_4arch9wavefront6targetE0EEEvSD_.has_dyn_sized_stack, 0
	.set _ZN7rocprim17ROCPRIM_400000_NS6detail17trampoline_kernelINS0_14default_configENS1_35radix_sort_onesweep_config_selectorIsNS0_10empty_typeEEEZNS1_34radix_sort_onesweep_global_offsetsIS3_Lb1EPKsPS5_mNS0_19identity_decomposerEEE10hipError_tT1_T2_PT3_SF_jT4_jjP12ihipStream_tbEUlT_E_NS1_11comp_targetILNS1_3genE5ELNS1_11target_archE942ELNS1_3gpuE9ELNS1_3repE0EEENS1_52radix_sort_onesweep_histogram_config_static_selectorELNS0_4arch9wavefront6targetE0EEEvSD_.has_recursion, 0
	.set _ZN7rocprim17ROCPRIM_400000_NS6detail17trampoline_kernelINS0_14default_configENS1_35radix_sort_onesweep_config_selectorIsNS0_10empty_typeEEEZNS1_34radix_sort_onesweep_global_offsetsIS3_Lb1EPKsPS5_mNS0_19identity_decomposerEEE10hipError_tT1_T2_PT3_SF_jT4_jjP12ihipStream_tbEUlT_E_NS1_11comp_targetILNS1_3genE5ELNS1_11target_archE942ELNS1_3gpuE9ELNS1_3repE0EEENS1_52radix_sort_onesweep_histogram_config_static_selectorELNS0_4arch9wavefront6targetE0EEEvSD_.has_indirect_call, 0
	.section	.AMDGPU.csdata,"",@progbits
; Kernel info:
; codeLenInByte = 0
; TotalNumSgprs: 0
; NumVgprs: 0
; ScratchSize: 0
; MemoryBound: 0
; FloatMode: 240
; IeeeMode: 1
; LDSByteSize: 0 bytes/workgroup (compile time only)
; SGPRBlocks: 0
; VGPRBlocks: 0
; NumSGPRsForWavesPerEU: 1
; NumVGPRsForWavesPerEU: 1
; NamedBarCnt: 0
; Occupancy: 16
; WaveLimiterHint : 0
; COMPUTE_PGM_RSRC2:SCRATCH_EN: 0
; COMPUTE_PGM_RSRC2:USER_SGPR: 2
; COMPUTE_PGM_RSRC2:TRAP_HANDLER: 0
; COMPUTE_PGM_RSRC2:TGID_X_EN: 1
; COMPUTE_PGM_RSRC2:TGID_Y_EN: 0
; COMPUTE_PGM_RSRC2:TGID_Z_EN: 0
; COMPUTE_PGM_RSRC2:TIDIG_COMP_CNT: 0
	.section	.text._ZN7rocprim17ROCPRIM_400000_NS6detail17trampoline_kernelINS0_14default_configENS1_35radix_sort_onesweep_config_selectorIsNS0_10empty_typeEEEZNS1_34radix_sort_onesweep_global_offsetsIS3_Lb1EPKsPS5_mNS0_19identity_decomposerEEE10hipError_tT1_T2_PT3_SF_jT4_jjP12ihipStream_tbEUlT_E_NS1_11comp_targetILNS1_3genE2ELNS1_11target_archE906ELNS1_3gpuE6ELNS1_3repE0EEENS1_52radix_sort_onesweep_histogram_config_static_selectorELNS0_4arch9wavefront6targetE0EEEvSD_,"axG",@progbits,_ZN7rocprim17ROCPRIM_400000_NS6detail17trampoline_kernelINS0_14default_configENS1_35radix_sort_onesweep_config_selectorIsNS0_10empty_typeEEEZNS1_34radix_sort_onesweep_global_offsetsIS3_Lb1EPKsPS5_mNS0_19identity_decomposerEEE10hipError_tT1_T2_PT3_SF_jT4_jjP12ihipStream_tbEUlT_E_NS1_11comp_targetILNS1_3genE2ELNS1_11target_archE906ELNS1_3gpuE6ELNS1_3repE0EEENS1_52radix_sort_onesweep_histogram_config_static_selectorELNS0_4arch9wavefront6targetE0EEEvSD_,comdat
	.protected	_ZN7rocprim17ROCPRIM_400000_NS6detail17trampoline_kernelINS0_14default_configENS1_35radix_sort_onesweep_config_selectorIsNS0_10empty_typeEEEZNS1_34radix_sort_onesweep_global_offsetsIS3_Lb1EPKsPS5_mNS0_19identity_decomposerEEE10hipError_tT1_T2_PT3_SF_jT4_jjP12ihipStream_tbEUlT_E_NS1_11comp_targetILNS1_3genE2ELNS1_11target_archE906ELNS1_3gpuE6ELNS1_3repE0EEENS1_52radix_sort_onesweep_histogram_config_static_selectorELNS0_4arch9wavefront6targetE0EEEvSD_ ; -- Begin function _ZN7rocprim17ROCPRIM_400000_NS6detail17trampoline_kernelINS0_14default_configENS1_35radix_sort_onesweep_config_selectorIsNS0_10empty_typeEEEZNS1_34radix_sort_onesweep_global_offsetsIS3_Lb1EPKsPS5_mNS0_19identity_decomposerEEE10hipError_tT1_T2_PT3_SF_jT4_jjP12ihipStream_tbEUlT_E_NS1_11comp_targetILNS1_3genE2ELNS1_11target_archE906ELNS1_3gpuE6ELNS1_3repE0EEENS1_52radix_sort_onesweep_histogram_config_static_selectorELNS0_4arch9wavefront6targetE0EEEvSD_
	.globl	_ZN7rocprim17ROCPRIM_400000_NS6detail17trampoline_kernelINS0_14default_configENS1_35radix_sort_onesweep_config_selectorIsNS0_10empty_typeEEEZNS1_34radix_sort_onesweep_global_offsetsIS3_Lb1EPKsPS5_mNS0_19identity_decomposerEEE10hipError_tT1_T2_PT3_SF_jT4_jjP12ihipStream_tbEUlT_E_NS1_11comp_targetILNS1_3genE2ELNS1_11target_archE906ELNS1_3gpuE6ELNS1_3repE0EEENS1_52radix_sort_onesweep_histogram_config_static_selectorELNS0_4arch9wavefront6targetE0EEEvSD_
	.p2align	8
	.type	_ZN7rocprim17ROCPRIM_400000_NS6detail17trampoline_kernelINS0_14default_configENS1_35radix_sort_onesweep_config_selectorIsNS0_10empty_typeEEEZNS1_34radix_sort_onesweep_global_offsetsIS3_Lb1EPKsPS5_mNS0_19identity_decomposerEEE10hipError_tT1_T2_PT3_SF_jT4_jjP12ihipStream_tbEUlT_E_NS1_11comp_targetILNS1_3genE2ELNS1_11target_archE906ELNS1_3gpuE6ELNS1_3repE0EEENS1_52radix_sort_onesweep_histogram_config_static_selectorELNS0_4arch9wavefront6targetE0EEEvSD_,@function
_ZN7rocprim17ROCPRIM_400000_NS6detail17trampoline_kernelINS0_14default_configENS1_35radix_sort_onesweep_config_selectorIsNS0_10empty_typeEEEZNS1_34radix_sort_onesweep_global_offsetsIS3_Lb1EPKsPS5_mNS0_19identity_decomposerEEE10hipError_tT1_T2_PT3_SF_jT4_jjP12ihipStream_tbEUlT_E_NS1_11comp_targetILNS1_3genE2ELNS1_11target_archE906ELNS1_3gpuE6ELNS1_3repE0EEENS1_52radix_sort_onesweep_histogram_config_static_selectorELNS0_4arch9wavefront6targetE0EEEvSD_: ; @_ZN7rocprim17ROCPRIM_400000_NS6detail17trampoline_kernelINS0_14default_configENS1_35radix_sort_onesweep_config_selectorIsNS0_10empty_typeEEEZNS1_34radix_sort_onesweep_global_offsetsIS3_Lb1EPKsPS5_mNS0_19identity_decomposerEEE10hipError_tT1_T2_PT3_SF_jT4_jjP12ihipStream_tbEUlT_E_NS1_11comp_targetILNS1_3genE2ELNS1_11target_archE906ELNS1_3gpuE6ELNS1_3repE0EEENS1_52radix_sort_onesweep_histogram_config_static_selectorELNS0_4arch9wavefront6targetE0EEEvSD_
; %bb.0:
	.section	.rodata,"a",@progbits
	.p2align	6, 0x0
	.amdhsa_kernel _ZN7rocprim17ROCPRIM_400000_NS6detail17trampoline_kernelINS0_14default_configENS1_35radix_sort_onesweep_config_selectorIsNS0_10empty_typeEEEZNS1_34radix_sort_onesweep_global_offsetsIS3_Lb1EPKsPS5_mNS0_19identity_decomposerEEE10hipError_tT1_T2_PT3_SF_jT4_jjP12ihipStream_tbEUlT_E_NS1_11comp_targetILNS1_3genE2ELNS1_11target_archE906ELNS1_3gpuE6ELNS1_3repE0EEENS1_52radix_sort_onesweep_histogram_config_static_selectorELNS0_4arch9wavefront6targetE0EEEvSD_
		.amdhsa_group_segment_fixed_size 0
		.amdhsa_private_segment_fixed_size 0
		.amdhsa_kernarg_size 48
		.amdhsa_user_sgpr_count 2
		.amdhsa_user_sgpr_dispatch_ptr 0
		.amdhsa_user_sgpr_queue_ptr 0
		.amdhsa_user_sgpr_kernarg_segment_ptr 1
		.amdhsa_user_sgpr_dispatch_id 0
		.amdhsa_user_sgpr_kernarg_preload_length 0
		.amdhsa_user_sgpr_kernarg_preload_offset 0
		.amdhsa_user_sgpr_private_segment_size 0
		.amdhsa_wavefront_size32 1
		.amdhsa_uses_dynamic_stack 0
		.amdhsa_enable_private_segment 0
		.amdhsa_system_sgpr_workgroup_id_x 1
		.amdhsa_system_sgpr_workgroup_id_y 0
		.amdhsa_system_sgpr_workgroup_id_z 0
		.amdhsa_system_sgpr_workgroup_info 0
		.amdhsa_system_vgpr_workitem_id 0
		.amdhsa_next_free_vgpr 1
		.amdhsa_next_free_sgpr 1
		.amdhsa_named_barrier_count 0
		.amdhsa_reserve_vcc 0
		.amdhsa_float_round_mode_32 0
		.amdhsa_float_round_mode_16_64 0
		.amdhsa_float_denorm_mode_32 3
		.amdhsa_float_denorm_mode_16_64 3
		.amdhsa_fp16_overflow 0
		.amdhsa_memory_ordered 1
		.amdhsa_forward_progress 1
		.amdhsa_inst_pref_size 0
		.amdhsa_round_robin_scheduling 0
		.amdhsa_exception_fp_ieee_invalid_op 0
		.amdhsa_exception_fp_denorm_src 0
		.amdhsa_exception_fp_ieee_div_zero 0
		.amdhsa_exception_fp_ieee_overflow 0
		.amdhsa_exception_fp_ieee_underflow 0
		.amdhsa_exception_fp_ieee_inexact 0
		.amdhsa_exception_int_div_zero 0
	.end_amdhsa_kernel
	.section	.text._ZN7rocprim17ROCPRIM_400000_NS6detail17trampoline_kernelINS0_14default_configENS1_35radix_sort_onesweep_config_selectorIsNS0_10empty_typeEEEZNS1_34radix_sort_onesweep_global_offsetsIS3_Lb1EPKsPS5_mNS0_19identity_decomposerEEE10hipError_tT1_T2_PT3_SF_jT4_jjP12ihipStream_tbEUlT_E_NS1_11comp_targetILNS1_3genE2ELNS1_11target_archE906ELNS1_3gpuE6ELNS1_3repE0EEENS1_52radix_sort_onesweep_histogram_config_static_selectorELNS0_4arch9wavefront6targetE0EEEvSD_,"axG",@progbits,_ZN7rocprim17ROCPRIM_400000_NS6detail17trampoline_kernelINS0_14default_configENS1_35radix_sort_onesweep_config_selectorIsNS0_10empty_typeEEEZNS1_34radix_sort_onesweep_global_offsetsIS3_Lb1EPKsPS5_mNS0_19identity_decomposerEEE10hipError_tT1_T2_PT3_SF_jT4_jjP12ihipStream_tbEUlT_E_NS1_11comp_targetILNS1_3genE2ELNS1_11target_archE906ELNS1_3gpuE6ELNS1_3repE0EEENS1_52radix_sort_onesweep_histogram_config_static_selectorELNS0_4arch9wavefront6targetE0EEEvSD_,comdat
.Lfunc_end579:
	.size	_ZN7rocprim17ROCPRIM_400000_NS6detail17trampoline_kernelINS0_14default_configENS1_35radix_sort_onesweep_config_selectorIsNS0_10empty_typeEEEZNS1_34radix_sort_onesweep_global_offsetsIS3_Lb1EPKsPS5_mNS0_19identity_decomposerEEE10hipError_tT1_T2_PT3_SF_jT4_jjP12ihipStream_tbEUlT_E_NS1_11comp_targetILNS1_3genE2ELNS1_11target_archE906ELNS1_3gpuE6ELNS1_3repE0EEENS1_52radix_sort_onesweep_histogram_config_static_selectorELNS0_4arch9wavefront6targetE0EEEvSD_, .Lfunc_end579-_ZN7rocprim17ROCPRIM_400000_NS6detail17trampoline_kernelINS0_14default_configENS1_35radix_sort_onesweep_config_selectorIsNS0_10empty_typeEEEZNS1_34radix_sort_onesweep_global_offsetsIS3_Lb1EPKsPS5_mNS0_19identity_decomposerEEE10hipError_tT1_T2_PT3_SF_jT4_jjP12ihipStream_tbEUlT_E_NS1_11comp_targetILNS1_3genE2ELNS1_11target_archE906ELNS1_3gpuE6ELNS1_3repE0EEENS1_52radix_sort_onesweep_histogram_config_static_selectorELNS0_4arch9wavefront6targetE0EEEvSD_
                                        ; -- End function
	.set _ZN7rocprim17ROCPRIM_400000_NS6detail17trampoline_kernelINS0_14default_configENS1_35radix_sort_onesweep_config_selectorIsNS0_10empty_typeEEEZNS1_34radix_sort_onesweep_global_offsetsIS3_Lb1EPKsPS5_mNS0_19identity_decomposerEEE10hipError_tT1_T2_PT3_SF_jT4_jjP12ihipStream_tbEUlT_E_NS1_11comp_targetILNS1_3genE2ELNS1_11target_archE906ELNS1_3gpuE6ELNS1_3repE0EEENS1_52radix_sort_onesweep_histogram_config_static_selectorELNS0_4arch9wavefront6targetE0EEEvSD_.num_vgpr, 0
	.set _ZN7rocprim17ROCPRIM_400000_NS6detail17trampoline_kernelINS0_14default_configENS1_35radix_sort_onesweep_config_selectorIsNS0_10empty_typeEEEZNS1_34radix_sort_onesweep_global_offsetsIS3_Lb1EPKsPS5_mNS0_19identity_decomposerEEE10hipError_tT1_T2_PT3_SF_jT4_jjP12ihipStream_tbEUlT_E_NS1_11comp_targetILNS1_3genE2ELNS1_11target_archE906ELNS1_3gpuE6ELNS1_3repE0EEENS1_52radix_sort_onesweep_histogram_config_static_selectorELNS0_4arch9wavefront6targetE0EEEvSD_.num_agpr, 0
	.set _ZN7rocprim17ROCPRIM_400000_NS6detail17trampoline_kernelINS0_14default_configENS1_35radix_sort_onesweep_config_selectorIsNS0_10empty_typeEEEZNS1_34radix_sort_onesweep_global_offsetsIS3_Lb1EPKsPS5_mNS0_19identity_decomposerEEE10hipError_tT1_T2_PT3_SF_jT4_jjP12ihipStream_tbEUlT_E_NS1_11comp_targetILNS1_3genE2ELNS1_11target_archE906ELNS1_3gpuE6ELNS1_3repE0EEENS1_52radix_sort_onesweep_histogram_config_static_selectorELNS0_4arch9wavefront6targetE0EEEvSD_.numbered_sgpr, 0
	.set _ZN7rocprim17ROCPRIM_400000_NS6detail17trampoline_kernelINS0_14default_configENS1_35radix_sort_onesweep_config_selectorIsNS0_10empty_typeEEEZNS1_34radix_sort_onesweep_global_offsetsIS3_Lb1EPKsPS5_mNS0_19identity_decomposerEEE10hipError_tT1_T2_PT3_SF_jT4_jjP12ihipStream_tbEUlT_E_NS1_11comp_targetILNS1_3genE2ELNS1_11target_archE906ELNS1_3gpuE6ELNS1_3repE0EEENS1_52radix_sort_onesweep_histogram_config_static_selectorELNS0_4arch9wavefront6targetE0EEEvSD_.num_named_barrier, 0
	.set _ZN7rocprim17ROCPRIM_400000_NS6detail17trampoline_kernelINS0_14default_configENS1_35radix_sort_onesweep_config_selectorIsNS0_10empty_typeEEEZNS1_34radix_sort_onesweep_global_offsetsIS3_Lb1EPKsPS5_mNS0_19identity_decomposerEEE10hipError_tT1_T2_PT3_SF_jT4_jjP12ihipStream_tbEUlT_E_NS1_11comp_targetILNS1_3genE2ELNS1_11target_archE906ELNS1_3gpuE6ELNS1_3repE0EEENS1_52radix_sort_onesweep_histogram_config_static_selectorELNS0_4arch9wavefront6targetE0EEEvSD_.private_seg_size, 0
	.set _ZN7rocprim17ROCPRIM_400000_NS6detail17trampoline_kernelINS0_14default_configENS1_35radix_sort_onesweep_config_selectorIsNS0_10empty_typeEEEZNS1_34radix_sort_onesweep_global_offsetsIS3_Lb1EPKsPS5_mNS0_19identity_decomposerEEE10hipError_tT1_T2_PT3_SF_jT4_jjP12ihipStream_tbEUlT_E_NS1_11comp_targetILNS1_3genE2ELNS1_11target_archE906ELNS1_3gpuE6ELNS1_3repE0EEENS1_52radix_sort_onesweep_histogram_config_static_selectorELNS0_4arch9wavefront6targetE0EEEvSD_.uses_vcc, 0
	.set _ZN7rocprim17ROCPRIM_400000_NS6detail17trampoline_kernelINS0_14default_configENS1_35radix_sort_onesweep_config_selectorIsNS0_10empty_typeEEEZNS1_34radix_sort_onesweep_global_offsetsIS3_Lb1EPKsPS5_mNS0_19identity_decomposerEEE10hipError_tT1_T2_PT3_SF_jT4_jjP12ihipStream_tbEUlT_E_NS1_11comp_targetILNS1_3genE2ELNS1_11target_archE906ELNS1_3gpuE6ELNS1_3repE0EEENS1_52radix_sort_onesweep_histogram_config_static_selectorELNS0_4arch9wavefront6targetE0EEEvSD_.uses_flat_scratch, 0
	.set _ZN7rocprim17ROCPRIM_400000_NS6detail17trampoline_kernelINS0_14default_configENS1_35radix_sort_onesweep_config_selectorIsNS0_10empty_typeEEEZNS1_34radix_sort_onesweep_global_offsetsIS3_Lb1EPKsPS5_mNS0_19identity_decomposerEEE10hipError_tT1_T2_PT3_SF_jT4_jjP12ihipStream_tbEUlT_E_NS1_11comp_targetILNS1_3genE2ELNS1_11target_archE906ELNS1_3gpuE6ELNS1_3repE0EEENS1_52radix_sort_onesweep_histogram_config_static_selectorELNS0_4arch9wavefront6targetE0EEEvSD_.has_dyn_sized_stack, 0
	.set _ZN7rocprim17ROCPRIM_400000_NS6detail17trampoline_kernelINS0_14default_configENS1_35radix_sort_onesweep_config_selectorIsNS0_10empty_typeEEEZNS1_34radix_sort_onesweep_global_offsetsIS3_Lb1EPKsPS5_mNS0_19identity_decomposerEEE10hipError_tT1_T2_PT3_SF_jT4_jjP12ihipStream_tbEUlT_E_NS1_11comp_targetILNS1_3genE2ELNS1_11target_archE906ELNS1_3gpuE6ELNS1_3repE0EEENS1_52radix_sort_onesweep_histogram_config_static_selectorELNS0_4arch9wavefront6targetE0EEEvSD_.has_recursion, 0
	.set _ZN7rocprim17ROCPRIM_400000_NS6detail17trampoline_kernelINS0_14default_configENS1_35radix_sort_onesweep_config_selectorIsNS0_10empty_typeEEEZNS1_34radix_sort_onesweep_global_offsetsIS3_Lb1EPKsPS5_mNS0_19identity_decomposerEEE10hipError_tT1_T2_PT3_SF_jT4_jjP12ihipStream_tbEUlT_E_NS1_11comp_targetILNS1_3genE2ELNS1_11target_archE906ELNS1_3gpuE6ELNS1_3repE0EEENS1_52radix_sort_onesweep_histogram_config_static_selectorELNS0_4arch9wavefront6targetE0EEEvSD_.has_indirect_call, 0
	.section	.AMDGPU.csdata,"",@progbits
; Kernel info:
; codeLenInByte = 0
; TotalNumSgprs: 0
; NumVgprs: 0
; ScratchSize: 0
; MemoryBound: 0
; FloatMode: 240
; IeeeMode: 1
; LDSByteSize: 0 bytes/workgroup (compile time only)
; SGPRBlocks: 0
; VGPRBlocks: 0
; NumSGPRsForWavesPerEU: 1
; NumVGPRsForWavesPerEU: 1
; NamedBarCnt: 0
; Occupancy: 16
; WaveLimiterHint : 0
; COMPUTE_PGM_RSRC2:SCRATCH_EN: 0
; COMPUTE_PGM_RSRC2:USER_SGPR: 2
; COMPUTE_PGM_RSRC2:TRAP_HANDLER: 0
; COMPUTE_PGM_RSRC2:TGID_X_EN: 1
; COMPUTE_PGM_RSRC2:TGID_Y_EN: 0
; COMPUTE_PGM_RSRC2:TGID_Z_EN: 0
; COMPUTE_PGM_RSRC2:TIDIG_COMP_CNT: 0
	.section	.text._ZN7rocprim17ROCPRIM_400000_NS6detail17trampoline_kernelINS0_14default_configENS1_35radix_sort_onesweep_config_selectorIsNS0_10empty_typeEEEZNS1_34radix_sort_onesweep_global_offsetsIS3_Lb1EPKsPS5_mNS0_19identity_decomposerEEE10hipError_tT1_T2_PT3_SF_jT4_jjP12ihipStream_tbEUlT_E_NS1_11comp_targetILNS1_3genE4ELNS1_11target_archE910ELNS1_3gpuE8ELNS1_3repE0EEENS1_52radix_sort_onesweep_histogram_config_static_selectorELNS0_4arch9wavefront6targetE0EEEvSD_,"axG",@progbits,_ZN7rocprim17ROCPRIM_400000_NS6detail17trampoline_kernelINS0_14default_configENS1_35radix_sort_onesweep_config_selectorIsNS0_10empty_typeEEEZNS1_34radix_sort_onesweep_global_offsetsIS3_Lb1EPKsPS5_mNS0_19identity_decomposerEEE10hipError_tT1_T2_PT3_SF_jT4_jjP12ihipStream_tbEUlT_E_NS1_11comp_targetILNS1_3genE4ELNS1_11target_archE910ELNS1_3gpuE8ELNS1_3repE0EEENS1_52radix_sort_onesweep_histogram_config_static_selectorELNS0_4arch9wavefront6targetE0EEEvSD_,comdat
	.protected	_ZN7rocprim17ROCPRIM_400000_NS6detail17trampoline_kernelINS0_14default_configENS1_35radix_sort_onesweep_config_selectorIsNS0_10empty_typeEEEZNS1_34radix_sort_onesweep_global_offsetsIS3_Lb1EPKsPS5_mNS0_19identity_decomposerEEE10hipError_tT1_T2_PT3_SF_jT4_jjP12ihipStream_tbEUlT_E_NS1_11comp_targetILNS1_3genE4ELNS1_11target_archE910ELNS1_3gpuE8ELNS1_3repE0EEENS1_52radix_sort_onesweep_histogram_config_static_selectorELNS0_4arch9wavefront6targetE0EEEvSD_ ; -- Begin function _ZN7rocprim17ROCPRIM_400000_NS6detail17trampoline_kernelINS0_14default_configENS1_35radix_sort_onesweep_config_selectorIsNS0_10empty_typeEEEZNS1_34radix_sort_onesweep_global_offsetsIS3_Lb1EPKsPS5_mNS0_19identity_decomposerEEE10hipError_tT1_T2_PT3_SF_jT4_jjP12ihipStream_tbEUlT_E_NS1_11comp_targetILNS1_3genE4ELNS1_11target_archE910ELNS1_3gpuE8ELNS1_3repE0EEENS1_52radix_sort_onesweep_histogram_config_static_selectorELNS0_4arch9wavefront6targetE0EEEvSD_
	.globl	_ZN7rocprim17ROCPRIM_400000_NS6detail17trampoline_kernelINS0_14default_configENS1_35radix_sort_onesweep_config_selectorIsNS0_10empty_typeEEEZNS1_34radix_sort_onesweep_global_offsetsIS3_Lb1EPKsPS5_mNS0_19identity_decomposerEEE10hipError_tT1_T2_PT3_SF_jT4_jjP12ihipStream_tbEUlT_E_NS1_11comp_targetILNS1_3genE4ELNS1_11target_archE910ELNS1_3gpuE8ELNS1_3repE0EEENS1_52radix_sort_onesweep_histogram_config_static_selectorELNS0_4arch9wavefront6targetE0EEEvSD_
	.p2align	8
	.type	_ZN7rocprim17ROCPRIM_400000_NS6detail17trampoline_kernelINS0_14default_configENS1_35radix_sort_onesweep_config_selectorIsNS0_10empty_typeEEEZNS1_34radix_sort_onesweep_global_offsetsIS3_Lb1EPKsPS5_mNS0_19identity_decomposerEEE10hipError_tT1_T2_PT3_SF_jT4_jjP12ihipStream_tbEUlT_E_NS1_11comp_targetILNS1_3genE4ELNS1_11target_archE910ELNS1_3gpuE8ELNS1_3repE0EEENS1_52radix_sort_onesweep_histogram_config_static_selectorELNS0_4arch9wavefront6targetE0EEEvSD_,@function
_ZN7rocprim17ROCPRIM_400000_NS6detail17trampoline_kernelINS0_14default_configENS1_35radix_sort_onesweep_config_selectorIsNS0_10empty_typeEEEZNS1_34radix_sort_onesweep_global_offsetsIS3_Lb1EPKsPS5_mNS0_19identity_decomposerEEE10hipError_tT1_T2_PT3_SF_jT4_jjP12ihipStream_tbEUlT_E_NS1_11comp_targetILNS1_3genE4ELNS1_11target_archE910ELNS1_3gpuE8ELNS1_3repE0EEENS1_52radix_sort_onesweep_histogram_config_static_selectorELNS0_4arch9wavefront6targetE0EEEvSD_: ; @_ZN7rocprim17ROCPRIM_400000_NS6detail17trampoline_kernelINS0_14default_configENS1_35radix_sort_onesweep_config_selectorIsNS0_10empty_typeEEEZNS1_34radix_sort_onesweep_global_offsetsIS3_Lb1EPKsPS5_mNS0_19identity_decomposerEEE10hipError_tT1_T2_PT3_SF_jT4_jjP12ihipStream_tbEUlT_E_NS1_11comp_targetILNS1_3genE4ELNS1_11target_archE910ELNS1_3gpuE8ELNS1_3repE0EEENS1_52radix_sort_onesweep_histogram_config_static_selectorELNS0_4arch9wavefront6targetE0EEEvSD_
; %bb.0:
	.section	.rodata,"a",@progbits
	.p2align	6, 0x0
	.amdhsa_kernel _ZN7rocprim17ROCPRIM_400000_NS6detail17trampoline_kernelINS0_14default_configENS1_35radix_sort_onesweep_config_selectorIsNS0_10empty_typeEEEZNS1_34radix_sort_onesweep_global_offsetsIS3_Lb1EPKsPS5_mNS0_19identity_decomposerEEE10hipError_tT1_T2_PT3_SF_jT4_jjP12ihipStream_tbEUlT_E_NS1_11comp_targetILNS1_3genE4ELNS1_11target_archE910ELNS1_3gpuE8ELNS1_3repE0EEENS1_52radix_sort_onesweep_histogram_config_static_selectorELNS0_4arch9wavefront6targetE0EEEvSD_
		.amdhsa_group_segment_fixed_size 0
		.amdhsa_private_segment_fixed_size 0
		.amdhsa_kernarg_size 48
		.amdhsa_user_sgpr_count 2
		.amdhsa_user_sgpr_dispatch_ptr 0
		.amdhsa_user_sgpr_queue_ptr 0
		.amdhsa_user_sgpr_kernarg_segment_ptr 1
		.amdhsa_user_sgpr_dispatch_id 0
		.amdhsa_user_sgpr_kernarg_preload_length 0
		.amdhsa_user_sgpr_kernarg_preload_offset 0
		.amdhsa_user_sgpr_private_segment_size 0
		.amdhsa_wavefront_size32 1
		.amdhsa_uses_dynamic_stack 0
		.amdhsa_enable_private_segment 0
		.amdhsa_system_sgpr_workgroup_id_x 1
		.amdhsa_system_sgpr_workgroup_id_y 0
		.amdhsa_system_sgpr_workgroup_id_z 0
		.amdhsa_system_sgpr_workgroup_info 0
		.amdhsa_system_vgpr_workitem_id 0
		.amdhsa_next_free_vgpr 1
		.amdhsa_next_free_sgpr 1
		.amdhsa_named_barrier_count 0
		.amdhsa_reserve_vcc 0
		.amdhsa_float_round_mode_32 0
		.amdhsa_float_round_mode_16_64 0
		.amdhsa_float_denorm_mode_32 3
		.amdhsa_float_denorm_mode_16_64 3
		.amdhsa_fp16_overflow 0
		.amdhsa_memory_ordered 1
		.amdhsa_forward_progress 1
		.amdhsa_inst_pref_size 0
		.amdhsa_round_robin_scheduling 0
		.amdhsa_exception_fp_ieee_invalid_op 0
		.amdhsa_exception_fp_denorm_src 0
		.amdhsa_exception_fp_ieee_div_zero 0
		.amdhsa_exception_fp_ieee_overflow 0
		.amdhsa_exception_fp_ieee_underflow 0
		.amdhsa_exception_fp_ieee_inexact 0
		.amdhsa_exception_int_div_zero 0
	.end_amdhsa_kernel
	.section	.text._ZN7rocprim17ROCPRIM_400000_NS6detail17trampoline_kernelINS0_14default_configENS1_35radix_sort_onesweep_config_selectorIsNS0_10empty_typeEEEZNS1_34radix_sort_onesweep_global_offsetsIS3_Lb1EPKsPS5_mNS0_19identity_decomposerEEE10hipError_tT1_T2_PT3_SF_jT4_jjP12ihipStream_tbEUlT_E_NS1_11comp_targetILNS1_3genE4ELNS1_11target_archE910ELNS1_3gpuE8ELNS1_3repE0EEENS1_52radix_sort_onesweep_histogram_config_static_selectorELNS0_4arch9wavefront6targetE0EEEvSD_,"axG",@progbits,_ZN7rocprim17ROCPRIM_400000_NS6detail17trampoline_kernelINS0_14default_configENS1_35radix_sort_onesweep_config_selectorIsNS0_10empty_typeEEEZNS1_34radix_sort_onesweep_global_offsetsIS3_Lb1EPKsPS5_mNS0_19identity_decomposerEEE10hipError_tT1_T2_PT3_SF_jT4_jjP12ihipStream_tbEUlT_E_NS1_11comp_targetILNS1_3genE4ELNS1_11target_archE910ELNS1_3gpuE8ELNS1_3repE0EEENS1_52radix_sort_onesweep_histogram_config_static_selectorELNS0_4arch9wavefront6targetE0EEEvSD_,comdat
.Lfunc_end580:
	.size	_ZN7rocprim17ROCPRIM_400000_NS6detail17trampoline_kernelINS0_14default_configENS1_35radix_sort_onesweep_config_selectorIsNS0_10empty_typeEEEZNS1_34radix_sort_onesweep_global_offsetsIS3_Lb1EPKsPS5_mNS0_19identity_decomposerEEE10hipError_tT1_T2_PT3_SF_jT4_jjP12ihipStream_tbEUlT_E_NS1_11comp_targetILNS1_3genE4ELNS1_11target_archE910ELNS1_3gpuE8ELNS1_3repE0EEENS1_52radix_sort_onesweep_histogram_config_static_selectorELNS0_4arch9wavefront6targetE0EEEvSD_, .Lfunc_end580-_ZN7rocprim17ROCPRIM_400000_NS6detail17trampoline_kernelINS0_14default_configENS1_35radix_sort_onesweep_config_selectorIsNS0_10empty_typeEEEZNS1_34radix_sort_onesweep_global_offsetsIS3_Lb1EPKsPS5_mNS0_19identity_decomposerEEE10hipError_tT1_T2_PT3_SF_jT4_jjP12ihipStream_tbEUlT_E_NS1_11comp_targetILNS1_3genE4ELNS1_11target_archE910ELNS1_3gpuE8ELNS1_3repE0EEENS1_52radix_sort_onesweep_histogram_config_static_selectorELNS0_4arch9wavefront6targetE0EEEvSD_
                                        ; -- End function
	.set _ZN7rocprim17ROCPRIM_400000_NS6detail17trampoline_kernelINS0_14default_configENS1_35radix_sort_onesweep_config_selectorIsNS0_10empty_typeEEEZNS1_34radix_sort_onesweep_global_offsetsIS3_Lb1EPKsPS5_mNS0_19identity_decomposerEEE10hipError_tT1_T2_PT3_SF_jT4_jjP12ihipStream_tbEUlT_E_NS1_11comp_targetILNS1_3genE4ELNS1_11target_archE910ELNS1_3gpuE8ELNS1_3repE0EEENS1_52radix_sort_onesweep_histogram_config_static_selectorELNS0_4arch9wavefront6targetE0EEEvSD_.num_vgpr, 0
	.set _ZN7rocprim17ROCPRIM_400000_NS6detail17trampoline_kernelINS0_14default_configENS1_35radix_sort_onesweep_config_selectorIsNS0_10empty_typeEEEZNS1_34radix_sort_onesweep_global_offsetsIS3_Lb1EPKsPS5_mNS0_19identity_decomposerEEE10hipError_tT1_T2_PT3_SF_jT4_jjP12ihipStream_tbEUlT_E_NS1_11comp_targetILNS1_3genE4ELNS1_11target_archE910ELNS1_3gpuE8ELNS1_3repE0EEENS1_52radix_sort_onesweep_histogram_config_static_selectorELNS0_4arch9wavefront6targetE0EEEvSD_.num_agpr, 0
	.set _ZN7rocprim17ROCPRIM_400000_NS6detail17trampoline_kernelINS0_14default_configENS1_35radix_sort_onesweep_config_selectorIsNS0_10empty_typeEEEZNS1_34radix_sort_onesweep_global_offsetsIS3_Lb1EPKsPS5_mNS0_19identity_decomposerEEE10hipError_tT1_T2_PT3_SF_jT4_jjP12ihipStream_tbEUlT_E_NS1_11comp_targetILNS1_3genE4ELNS1_11target_archE910ELNS1_3gpuE8ELNS1_3repE0EEENS1_52radix_sort_onesweep_histogram_config_static_selectorELNS0_4arch9wavefront6targetE0EEEvSD_.numbered_sgpr, 0
	.set _ZN7rocprim17ROCPRIM_400000_NS6detail17trampoline_kernelINS0_14default_configENS1_35radix_sort_onesweep_config_selectorIsNS0_10empty_typeEEEZNS1_34radix_sort_onesweep_global_offsetsIS3_Lb1EPKsPS5_mNS0_19identity_decomposerEEE10hipError_tT1_T2_PT3_SF_jT4_jjP12ihipStream_tbEUlT_E_NS1_11comp_targetILNS1_3genE4ELNS1_11target_archE910ELNS1_3gpuE8ELNS1_3repE0EEENS1_52radix_sort_onesweep_histogram_config_static_selectorELNS0_4arch9wavefront6targetE0EEEvSD_.num_named_barrier, 0
	.set _ZN7rocprim17ROCPRIM_400000_NS6detail17trampoline_kernelINS0_14default_configENS1_35radix_sort_onesweep_config_selectorIsNS0_10empty_typeEEEZNS1_34radix_sort_onesweep_global_offsetsIS3_Lb1EPKsPS5_mNS0_19identity_decomposerEEE10hipError_tT1_T2_PT3_SF_jT4_jjP12ihipStream_tbEUlT_E_NS1_11comp_targetILNS1_3genE4ELNS1_11target_archE910ELNS1_3gpuE8ELNS1_3repE0EEENS1_52radix_sort_onesweep_histogram_config_static_selectorELNS0_4arch9wavefront6targetE0EEEvSD_.private_seg_size, 0
	.set _ZN7rocprim17ROCPRIM_400000_NS6detail17trampoline_kernelINS0_14default_configENS1_35radix_sort_onesweep_config_selectorIsNS0_10empty_typeEEEZNS1_34radix_sort_onesweep_global_offsetsIS3_Lb1EPKsPS5_mNS0_19identity_decomposerEEE10hipError_tT1_T2_PT3_SF_jT4_jjP12ihipStream_tbEUlT_E_NS1_11comp_targetILNS1_3genE4ELNS1_11target_archE910ELNS1_3gpuE8ELNS1_3repE0EEENS1_52radix_sort_onesweep_histogram_config_static_selectorELNS0_4arch9wavefront6targetE0EEEvSD_.uses_vcc, 0
	.set _ZN7rocprim17ROCPRIM_400000_NS6detail17trampoline_kernelINS0_14default_configENS1_35radix_sort_onesweep_config_selectorIsNS0_10empty_typeEEEZNS1_34radix_sort_onesweep_global_offsetsIS3_Lb1EPKsPS5_mNS0_19identity_decomposerEEE10hipError_tT1_T2_PT3_SF_jT4_jjP12ihipStream_tbEUlT_E_NS1_11comp_targetILNS1_3genE4ELNS1_11target_archE910ELNS1_3gpuE8ELNS1_3repE0EEENS1_52radix_sort_onesweep_histogram_config_static_selectorELNS0_4arch9wavefront6targetE0EEEvSD_.uses_flat_scratch, 0
	.set _ZN7rocprim17ROCPRIM_400000_NS6detail17trampoline_kernelINS0_14default_configENS1_35radix_sort_onesweep_config_selectorIsNS0_10empty_typeEEEZNS1_34radix_sort_onesweep_global_offsetsIS3_Lb1EPKsPS5_mNS0_19identity_decomposerEEE10hipError_tT1_T2_PT3_SF_jT4_jjP12ihipStream_tbEUlT_E_NS1_11comp_targetILNS1_3genE4ELNS1_11target_archE910ELNS1_3gpuE8ELNS1_3repE0EEENS1_52radix_sort_onesweep_histogram_config_static_selectorELNS0_4arch9wavefront6targetE0EEEvSD_.has_dyn_sized_stack, 0
	.set _ZN7rocprim17ROCPRIM_400000_NS6detail17trampoline_kernelINS0_14default_configENS1_35radix_sort_onesweep_config_selectorIsNS0_10empty_typeEEEZNS1_34radix_sort_onesweep_global_offsetsIS3_Lb1EPKsPS5_mNS0_19identity_decomposerEEE10hipError_tT1_T2_PT3_SF_jT4_jjP12ihipStream_tbEUlT_E_NS1_11comp_targetILNS1_3genE4ELNS1_11target_archE910ELNS1_3gpuE8ELNS1_3repE0EEENS1_52radix_sort_onesweep_histogram_config_static_selectorELNS0_4arch9wavefront6targetE0EEEvSD_.has_recursion, 0
	.set _ZN7rocprim17ROCPRIM_400000_NS6detail17trampoline_kernelINS0_14default_configENS1_35radix_sort_onesweep_config_selectorIsNS0_10empty_typeEEEZNS1_34radix_sort_onesweep_global_offsetsIS3_Lb1EPKsPS5_mNS0_19identity_decomposerEEE10hipError_tT1_T2_PT3_SF_jT4_jjP12ihipStream_tbEUlT_E_NS1_11comp_targetILNS1_3genE4ELNS1_11target_archE910ELNS1_3gpuE8ELNS1_3repE0EEENS1_52radix_sort_onesweep_histogram_config_static_selectorELNS0_4arch9wavefront6targetE0EEEvSD_.has_indirect_call, 0
	.section	.AMDGPU.csdata,"",@progbits
; Kernel info:
; codeLenInByte = 0
; TotalNumSgprs: 0
; NumVgprs: 0
; ScratchSize: 0
; MemoryBound: 0
; FloatMode: 240
; IeeeMode: 1
; LDSByteSize: 0 bytes/workgroup (compile time only)
; SGPRBlocks: 0
; VGPRBlocks: 0
; NumSGPRsForWavesPerEU: 1
; NumVGPRsForWavesPerEU: 1
; NamedBarCnt: 0
; Occupancy: 16
; WaveLimiterHint : 0
; COMPUTE_PGM_RSRC2:SCRATCH_EN: 0
; COMPUTE_PGM_RSRC2:USER_SGPR: 2
; COMPUTE_PGM_RSRC2:TRAP_HANDLER: 0
; COMPUTE_PGM_RSRC2:TGID_X_EN: 1
; COMPUTE_PGM_RSRC2:TGID_Y_EN: 0
; COMPUTE_PGM_RSRC2:TGID_Z_EN: 0
; COMPUTE_PGM_RSRC2:TIDIG_COMP_CNT: 0
	.section	.text._ZN7rocprim17ROCPRIM_400000_NS6detail17trampoline_kernelINS0_14default_configENS1_35radix_sort_onesweep_config_selectorIsNS0_10empty_typeEEEZNS1_34radix_sort_onesweep_global_offsetsIS3_Lb1EPKsPS5_mNS0_19identity_decomposerEEE10hipError_tT1_T2_PT3_SF_jT4_jjP12ihipStream_tbEUlT_E_NS1_11comp_targetILNS1_3genE3ELNS1_11target_archE908ELNS1_3gpuE7ELNS1_3repE0EEENS1_52radix_sort_onesweep_histogram_config_static_selectorELNS0_4arch9wavefront6targetE0EEEvSD_,"axG",@progbits,_ZN7rocprim17ROCPRIM_400000_NS6detail17trampoline_kernelINS0_14default_configENS1_35radix_sort_onesweep_config_selectorIsNS0_10empty_typeEEEZNS1_34radix_sort_onesweep_global_offsetsIS3_Lb1EPKsPS5_mNS0_19identity_decomposerEEE10hipError_tT1_T2_PT3_SF_jT4_jjP12ihipStream_tbEUlT_E_NS1_11comp_targetILNS1_3genE3ELNS1_11target_archE908ELNS1_3gpuE7ELNS1_3repE0EEENS1_52radix_sort_onesweep_histogram_config_static_selectorELNS0_4arch9wavefront6targetE0EEEvSD_,comdat
	.protected	_ZN7rocprim17ROCPRIM_400000_NS6detail17trampoline_kernelINS0_14default_configENS1_35radix_sort_onesweep_config_selectorIsNS0_10empty_typeEEEZNS1_34radix_sort_onesweep_global_offsetsIS3_Lb1EPKsPS5_mNS0_19identity_decomposerEEE10hipError_tT1_T2_PT3_SF_jT4_jjP12ihipStream_tbEUlT_E_NS1_11comp_targetILNS1_3genE3ELNS1_11target_archE908ELNS1_3gpuE7ELNS1_3repE0EEENS1_52radix_sort_onesweep_histogram_config_static_selectorELNS0_4arch9wavefront6targetE0EEEvSD_ ; -- Begin function _ZN7rocprim17ROCPRIM_400000_NS6detail17trampoline_kernelINS0_14default_configENS1_35radix_sort_onesweep_config_selectorIsNS0_10empty_typeEEEZNS1_34radix_sort_onesweep_global_offsetsIS3_Lb1EPKsPS5_mNS0_19identity_decomposerEEE10hipError_tT1_T2_PT3_SF_jT4_jjP12ihipStream_tbEUlT_E_NS1_11comp_targetILNS1_3genE3ELNS1_11target_archE908ELNS1_3gpuE7ELNS1_3repE0EEENS1_52radix_sort_onesweep_histogram_config_static_selectorELNS0_4arch9wavefront6targetE0EEEvSD_
	.globl	_ZN7rocprim17ROCPRIM_400000_NS6detail17trampoline_kernelINS0_14default_configENS1_35radix_sort_onesweep_config_selectorIsNS0_10empty_typeEEEZNS1_34radix_sort_onesweep_global_offsetsIS3_Lb1EPKsPS5_mNS0_19identity_decomposerEEE10hipError_tT1_T2_PT3_SF_jT4_jjP12ihipStream_tbEUlT_E_NS1_11comp_targetILNS1_3genE3ELNS1_11target_archE908ELNS1_3gpuE7ELNS1_3repE0EEENS1_52radix_sort_onesweep_histogram_config_static_selectorELNS0_4arch9wavefront6targetE0EEEvSD_
	.p2align	8
	.type	_ZN7rocprim17ROCPRIM_400000_NS6detail17trampoline_kernelINS0_14default_configENS1_35radix_sort_onesweep_config_selectorIsNS0_10empty_typeEEEZNS1_34radix_sort_onesweep_global_offsetsIS3_Lb1EPKsPS5_mNS0_19identity_decomposerEEE10hipError_tT1_T2_PT3_SF_jT4_jjP12ihipStream_tbEUlT_E_NS1_11comp_targetILNS1_3genE3ELNS1_11target_archE908ELNS1_3gpuE7ELNS1_3repE0EEENS1_52radix_sort_onesweep_histogram_config_static_selectorELNS0_4arch9wavefront6targetE0EEEvSD_,@function
_ZN7rocprim17ROCPRIM_400000_NS6detail17trampoline_kernelINS0_14default_configENS1_35radix_sort_onesweep_config_selectorIsNS0_10empty_typeEEEZNS1_34radix_sort_onesweep_global_offsetsIS3_Lb1EPKsPS5_mNS0_19identity_decomposerEEE10hipError_tT1_T2_PT3_SF_jT4_jjP12ihipStream_tbEUlT_E_NS1_11comp_targetILNS1_3genE3ELNS1_11target_archE908ELNS1_3gpuE7ELNS1_3repE0EEENS1_52radix_sort_onesweep_histogram_config_static_selectorELNS0_4arch9wavefront6targetE0EEEvSD_: ; @_ZN7rocprim17ROCPRIM_400000_NS6detail17trampoline_kernelINS0_14default_configENS1_35radix_sort_onesweep_config_selectorIsNS0_10empty_typeEEEZNS1_34radix_sort_onesweep_global_offsetsIS3_Lb1EPKsPS5_mNS0_19identity_decomposerEEE10hipError_tT1_T2_PT3_SF_jT4_jjP12ihipStream_tbEUlT_E_NS1_11comp_targetILNS1_3genE3ELNS1_11target_archE908ELNS1_3gpuE7ELNS1_3repE0EEENS1_52radix_sort_onesweep_histogram_config_static_selectorELNS0_4arch9wavefront6targetE0EEEvSD_
; %bb.0:
	.section	.rodata,"a",@progbits
	.p2align	6, 0x0
	.amdhsa_kernel _ZN7rocprim17ROCPRIM_400000_NS6detail17trampoline_kernelINS0_14default_configENS1_35radix_sort_onesweep_config_selectorIsNS0_10empty_typeEEEZNS1_34radix_sort_onesweep_global_offsetsIS3_Lb1EPKsPS5_mNS0_19identity_decomposerEEE10hipError_tT1_T2_PT3_SF_jT4_jjP12ihipStream_tbEUlT_E_NS1_11comp_targetILNS1_3genE3ELNS1_11target_archE908ELNS1_3gpuE7ELNS1_3repE0EEENS1_52radix_sort_onesweep_histogram_config_static_selectorELNS0_4arch9wavefront6targetE0EEEvSD_
		.amdhsa_group_segment_fixed_size 0
		.amdhsa_private_segment_fixed_size 0
		.amdhsa_kernarg_size 48
		.amdhsa_user_sgpr_count 2
		.amdhsa_user_sgpr_dispatch_ptr 0
		.amdhsa_user_sgpr_queue_ptr 0
		.amdhsa_user_sgpr_kernarg_segment_ptr 1
		.amdhsa_user_sgpr_dispatch_id 0
		.amdhsa_user_sgpr_kernarg_preload_length 0
		.amdhsa_user_sgpr_kernarg_preload_offset 0
		.amdhsa_user_sgpr_private_segment_size 0
		.amdhsa_wavefront_size32 1
		.amdhsa_uses_dynamic_stack 0
		.amdhsa_enable_private_segment 0
		.amdhsa_system_sgpr_workgroup_id_x 1
		.amdhsa_system_sgpr_workgroup_id_y 0
		.amdhsa_system_sgpr_workgroup_id_z 0
		.amdhsa_system_sgpr_workgroup_info 0
		.amdhsa_system_vgpr_workitem_id 0
		.amdhsa_next_free_vgpr 1
		.amdhsa_next_free_sgpr 1
		.amdhsa_named_barrier_count 0
		.amdhsa_reserve_vcc 0
		.amdhsa_float_round_mode_32 0
		.amdhsa_float_round_mode_16_64 0
		.amdhsa_float_denorm_mode_32 3
		.amdhsa_float_denorm_mode_16_64 3
		.amdhsa_fp16_overflow 0
		.amdhsa_memory_ordered 1
		.amdhsa_forward_progress 1
		.amdhsa_inst_pref_size 0
		.amdhsa_round_robin_scheduling 0
		.amdhsa_exception_fp_ieee_invalid_op 0
		.amdhsa_exception_fp_denorm_src 0
		.amdhsa_exception_fp_ieee_div_zero 0
		.amdhsa_exception_fp_ieee_overflow 0
		.amdhsa_exception_fp_ieee_underflow 0
		.amdhsa_exception_fp_ieee_inexact 0
		.amdhsa_exception_int_div_zero 0
	.end_amdhsa_kernel
	.section	.text._ZN7rocprim17ROCPRIM_400000_NS6detail17trampoline_kernelINS0_14default_configENS1_35radix_sort_onesweep_config_selectorIsNS0_10empty_typeEEEZNS1_34radix_sort_onesweep_global_offsetsIS3_Lb1EPKsPS5_mNS0_19identity_decomposerEEE10hipError_tT1_T2_PT3_SF_jT4_jjP12ihipStream_tbEUlT_E_NS1_11comp_targetILNS1_3genE3ELNS1_11target_archE908ELNS1_3gpuE7ELNS1_3repE0EEENS1_52radix_sort_onesweep_histogram_config_static_selectorELNS0_4arch9wavefront6targetE0EEEvSD_,"axG",@progbits,_ZN7rocprim17ROCPRIM_400000_NS6detail17trampoline_kernelINS0_14default_configENS1_35radix_sort_onesweep_config_selectorIsNS0_10empty_typeEEEZNS1_34radix_sort_onesweep_global_offsetsIS3_Lb1EPKsPS5_mNS0_19identity_decomposerEEE10hipError_tT1_T2_PT3_SF_jT4_jjP12ihipStream_tbEUlT_E_NS1_11comp_targetILNS1_3genE3ELNS1_11target_archE908ELNS1_3gpuE7ELNS1_3repE0EEENS1_52radix_sort_onesweep_histogram_config_static_selectorELNS0_4arch9wavefront6targetE0EEEvSD_,comdat
.Lfunc_end581:
	.size	_ZN7rocprim17ROCPRIM_400000_NS6detail17trampoline_kernelINS0_14default_configENS1_35radix_sort_onesweep_config_selectorIsNS0_10empty_typeEEEZNS1_34radix_sort_onesweep_global_offsetsIS3_Lb1EPKsPS5_mNS0_19identity_decomposerEEE10hipError_tT1_T2_PT3_SF_jT4_jjP12ihipStream_tbEUlT_E_NS1_11comp_targetILNS1_3genE3ELNS1_11target_archE908ELNS1_3gpuE7ELNS1_3repE0EEENS1_52radix_sort_onesweep_histogram_config_static_selectorELNS0_4arch9wavefront6targetE0EEEvSD_, .Lfunc_end581-_ZN7rocprim17ROCPRIM_400000_NS6detail17trampoline_kernelINS0_14default_configENS1_35radix_sort_onesweep_config_selectorIsNS0_10empty_typeEEEZNS1_34radix_sort_onesweep_global_offsetsIS3_Lb1EPKsPS5_mNS0_19identity_decomposerEEE10hipError_tT1_T2_PT3_SF_jT4_jjP12ihipStream_tbEUlT_E_NS1_11comp_targetILNS1_3genE3ELNS1_11target_archE908ELNS1_3gpuE7ELNS1_3repE0EEENS1_52radix_sort_onesweep_histogram_config_static_selectorELNS0_4arch9wavefront6targetE0EEEvSD_
                                        ; -- End function
	.set _ZN7rocprim17ROCPRIM_400000_NS6detail17trampoline_kernelINS0_14default_configENS1_35radix_sort_onesweep_config_selectorIsNS0_10empty_typeEEEZNS1_34radix_sort_onesweep_global_offsetsIS3_Lb1EPKsPS5_mNS0_19identity_decomposerEEE10hipError_tT1_T2_PT3_SF_jT4_jjP12ihipStream_tbEUlT_E_NS1_11comp_targetILNS1_3genE3ELNS1_11target_archE908ELNS1_3gpuE7ELNS1_3repE0EEENS1_52radix_sort_onesweep_histogram_config_static_selectorELNS0_4arch9wavefront6targetE0EEEvSD_.num_vgpr, 0
	.set _ZN7rocprim17ROCPRIM_400000_NS6detail17trampoline_kernelINS0_14default_configENS1_35radix_sort_onesweep_config_selectorIsNS0_10empty_typeEEEZNS1_34radix_sort_onesweep_global_offsetsIS3_Lb1EPKsPS5_mNS0_19identity_decomposerEEE10hipError_tT1_T2_PT3_SF_jT4_jjP12ihipStream_tbEUlT_E_NS1_11comp_targetILNS1_3genE3ELNS1_11target_archE908ELNS1_3gpuE7ELNS1_3repE0EEENS1_52radix_sort_onesweep_histogram_config_static_selectorELNS0_4arch9wavefront6targetE0EEEvSD_.num_agpr, 0
	.set _ZN7rocprim17ROCPRIM_400000_NS6detail17trampoline_kernelINS0_14default_configENS1_35radix_sort_onesweep_config_selectorIsNS0_10empty_typeEEEZNS1_34radix_sort_onesweep_global_offsetsIS3_Lb1EPKsPS5_mNS0_19identity_decomposerEEE10hipError_tT1_T2_PT3_SF_jT4_jjP12ihipStream_tbEUlT_E_NS1_11comp_targetILNS1_3genE3ELNS1_11target_archE908ELNS1_3gpuE7ELNS1_3repE0EEENS1_52radix_sort_onesweep_histogram_config_static_selectorELNS0_4arch9wavefront6targetE0EEEvSD_.numbered_sgpr, 0
	.set _ZN7rocprim17ROCPRIM_400000_NS6detail17trampoline_kernelINS0_14default_configENS1_35radix_sort_onesweep_config_selectorIsNS0_10empty_typeEEEZNS1_34radix_sort_onesweep_global_offsetsIS3_Lb1EPKsPS5_mNS0_19identity_decomposerEEE10hipError_tT1_T2_PT3_SF_jT4_jjP12ihipStream_tbEUlT_E_NS1_11comp_targetILNS1_3genE3ELNS1_11target_archE908ELNS1_3gpuE7ELNS1_3repE0EEENS1_52radix_sort_onesweep_histogram_config_static_selectorELNS0_4arch9wavefront6targetE0EEEvSD_.num_named_barrier, 0
	.set _ZN7rocprim17ROCPRIM_400000_NS6detail17trampoline_kernelINS0_14default_configENS1_35radix_sort_onesweep_config_selectorIsNS0_10empty_typeEEEZNS1_34radix_sort_onesweep_global_offsetsIS3_Lb1EPKsPS5_mNS0_19identity_decomposerEEE10hipError_tT1_T2_PT3_SF_jT4_jjP12ihipStream_tbEUlT_E_NS1_11comp_targetILNS1_3genE3ELNS1_11target_archE908ELNS1_3gpuE7ELNS1_3repE0EEENS1_52radix_sort_onesweep_histogram_config_static_selectorELNS0_4arch9wavefront6targetE0EEEvSD_.private_seg_size, 0
	.set _ZN7rocprim17ROCPRIM_400000_NS6detail17trampoline_kernelINS0_14default_configENS1_35radix_sort_onesweep_config_selectorIsNS0_10empty_typeEEEZNS1_34radix_sort_onesweep_global_offsetsIS3_Lb1EPKsPS5_mNS0_19identity_decomposerEEE10hipError_tT1_T2_PT3_SF_jT4_jjP12ihipStream_tbEUlT_E_NS1_11comp_targetILNS1_3genE3ELNS1_11target_archE908ELNS1_3gpuE7ELNS1_3repE0EEENS1_52radix_sort_onesweep_histogram_config_static_selectorELNS0_4arch9wavefront6targetE0EEEvSD_.uses_vcc, 0
	.set _ZN7rocprim17ROCPRIM_400000_NS6detail17trampoline_kernelINS0_14default_configENS1_35radix_sort_onesweep_config_selectorIsNS0_10empty_typeEEEZNS1_34radix_sort_onesweep_global_offsetsIS3_Lb1EPKsPS5_mNS0_19identity_decomposerEEE10hipError_tT1_T2_PT3_SF_jT4_jjP12ihipStream_tbEUlT_E_NS1_11comp_targetILNS1_3genE3ELNS1_11target_archE908ELNS1_3gpuE7ELNS1_3repE0EEENS1_52radix_sort_onesweep_histogram_config_static_selectorELNS0_4arch9wavefront6targetE0EEEvSD_.uses_flat_scratch, 0
	.set _ZN7rocprim17ROCPRIM_400000_NS6detail17trampoline_kernelINS0_14default_configENS1_35radix_sort_onesweep_config_selectorIsNS0_10empty_typeEEEZNS1_34radix_sort_onesweep_global_offsetsIS3_Lb1EPKsPS5_mNS0_19identity_decomposerEEE10hipError_tT1_T2_PT3_SF_jT4_jjP12ihipStream_tbEUlT_E_NS1_11comp_targetILNS1_3genE3ELNS1_11target_archE908ELNS1_3gpuE7ELNS1_3repE0EEENS1_52radix_sort_onesweep_histogram_config_static_selectorELNS0_4arch9wavefront6targetE0EEEvSD_.has_dyn_sized_stack, 0
	.set _ZN7rocprim17ROCPRIM_400000_NS6detail17trampoline_kernelINS0_14default_configENS1_35radix_sort_onesweep_config_selectorIsNS0_10empty_typeEEEZNS1_34radix_sort_onesweep_global_offsetsIS3_Lb1EPKsPS5_mNS0_19identity_decomposerEEE10hipError_tT1_T2_PT3_SF_jT4_jjP12ihipStream_tbEUlT_E_NS1_11comp_targetILNS1_3genE3ELNS1_11target_archE908ELNS1_3gpuE7ELNS1_3repE0EEENS1_52radix_sort_onesweep_histogram_config_static_selectorELNS0_4arch9wavefront6targetE0EEEvSD_.has_recursion, 0
	.set _ZN7rocprim17ROCPRIM_400000_NS6detail17trampoline_kernelINS0_14default_configENS1_35radix_sort_onesweep_config_selectorIsNS0_10empty_typeEEEZNS1_34radix_sort_onesweep_global_offsetsIS3_Lb1EPKsPS5_mNS0_19identity_decomposerEEE10hipError_tT1_T2_PT3_SF_jT4_jjP12ihipStream_tbEUlT_E_NS1_11comp_targetILNS1_3genE3ELNS1_11target_archE908ELNS1_3gpuE7ELNS1_3repE0EEENS1_52radix_sort_onesweep_histogram_config_static_selectorELNS0_4arch9wavefront6targetE0EEEvSD_.has_indirect_call, 0
	.section	.AMDGPU.csdata,"",@progbits
; Kernel info:
; codeLenInByte = 0
; TotalNumSgprs: 0
; NumVgprs: 0
; ScratchSize: 0
; MemoryBound: 0
; FloatMode: 240
; IeeeMode: 1
; LDSByteSize: 0 bytes/workgroup (compile time only)
; SGPRBlocks: 0
; VGPRBlocks: 0
; NumSGPRsForWavesPerEU: 1
; NumVGPRsForWavesPerEU: 1
; NamedBarCnt: 0
; Occupancy: 16
; WaveLimiterHint : 0
; COMPUTE_PGM_RSRC2:SCRATCH_EN: 0
; COMPUTE_PGM_RSRC2:USER_SGPR: 2
; COMPUTE_PGM_RSRC2:TRAP_HANDLER: 0
; COMPUTE_PGM_RSRC2:TGID_X_EN: 1
; COMPUTE_PGM_RSRC2:TGID_Y_EN: 0
; COMPUTE_PGM_RSRC2:TGID_Z_EN: 0
; COMPUTE_PGM_RSRC2:TIDIG_COMP_CNT: 0
	.section	.text._ZN7rocprim17ROCPRIM_400000_NS6detail17trampoline_kernelINS0_14default_configENS1_35radix_sort_onesweep_config_selectorIsNS0_10empty_typeEEEZNS1_34radix_sort_onesweep_global_offsetsIS3_Lb1EPKsPS5_mNS0_19identity_decomposerEEE10hipError_tT1_T2_PT3_SF_jT4_jjP12ihipStream_tbEUlT_E_NS1_11comp_targetILNS1_3genE10ELNS1_11target_archE1201ELNS1_3gpuE5ELNS1_3repE0EEENS1_52radix_sort_onesweep_histogram_config_static_selectorELNS0_4arch9wavefront6targetE0EEEvSD_,"axG",@progbits,_ZN7rocprim17ROCPRIM_400000_NS6detail17trampoline_kernelINS0_14default_configENS1_35radix_sort_onesweep_config_selectorIsNS0_10empty_typeEEEZNS1_34radix_sort_onesweep_global_offsetsIS3_Lb1EPKsPS5_mNS0_19identity_decomposerEEE10hipError_tT1_T2_PT3_SF_jT4_jjP12ihipStream_tbEUlT_E_NS1_11comp_targetILNS1_3genE10ELNS1_11target_archE1201ELNS1_3gpuE5ELNS1_3repE0EEENS1_52radix_sort_onesweep_histogram_config_static_selectorELNS0_4arch9wavefront6targetE0EEEvSD_,comdat
	.protected	_ZN7rocprim17ROCPRIM_400000_NS6detail17trampoline_kernelINS0_14default_configENS1_35radix_sort_onesweep_config_selectorIsNS0_10empty_typeEEEZNS1_34radix_sort_onesweep_global_offsetsIS3_Lb1EPKsPS5_mNS0_19identity_decomposerEEE10hipError_tT1_T2_PT3_SF_jT4_jjP12ihipStream_tbEUlT_E_NS1_11comp_targetILNS1_3genE10ELNS1_11target_archE1201ELNS1_3gpuE5ELNS1_3repE0EEENS1_52radix_sort_onesweep_histogram_config_static_selectorELNS0_4arch9wavefront6targetE0EEEvSD_ ; -- Begin function _ZN7rocprim17ROCPRIM_400000_NS6detail17trampoline_kernelINS0_14default_configENS1_35radix_sort_onesweep_config_selectorIsNS0_10empty_typeEEEZNS1_34radix_sort_onesweep_global_offsetsIS3_Lb1EPKsPS5_mNS0_19identity_decomposerEEE10hipError_tT1_T2_PT3_SF_jT4_jjP12ihipStream_tbEUlT_E_NS1_11comp_targetILNS1_3genE10ELNS1_11target_archE1201ELNS1_3gpuE5ELNS1_3repE0EEENS1_52radix_sort_onesweep_histogram_config_static_selectorELNS0_4arch9wavefront6targetE0EEEvSD_
	.globl	_ZN7rocprim17ROCPRIM_400000_NS6detail17trampoline_kernelINS0_14default_configENS1_35radix_sort_onesweep_config_selectorIsNS0_10empty_typeEEEZNS1_34radix_sort_onesweep_global_offsetsIS3_Lb1EPKsPS5_mNS0_19identity_decomposerEEE10hipError_tT1_T2_PT3_SF_jT4_jjP12ihipStream_tbEUlT_E_NS1_11comp_targetILNS1_3genE10ELNS1_11target_archE1201ELNS1_3gpuE5ELNS1_3repE0EEENS1_52radix_sort_onesweep_histogram_config_static_selectorELNS0_4arch9wavefront6targetE0EEEvSD_
	.p2align	8
	.type	_ZN7rocprim17ROCPRIM_400000_NS6detail17trampoline_kernelINS0_14default_configENS1_35radix_sort_onesweep_config_selectorIsNS0_10empty_typeEEEZNS1_34radix_sort_onesweep_global_offsetsIS3_Lb1EPKsPS5_mNS0_19identity_decomposerEEE10hipError_tT1_T2_PT3_SF_jT4_jjP12ihipStream_tbEUlT_E_NS1_11comp_targetILNS1_3genE10ELNS1_11target_archE1201ELNS1_3gpuE5ELNS1_3repE0EEENS1_52radix_sort_onesweep_histogram_config_static_selectorELNS0_4arch9wavefront6targetE0EEEvSD_,@function
_ZN7rocprim17ROCPRIM_400000_NS6detail17trampoline_kernelINS0_14default_configENS1_35radix_sort_onesweep_config_selectorIsNS0_10empty_typeEEEZNS1_34radix_sort_onesweep_global_offsetsIS3_Lb1EPKsPS5_mNS0_19identity_decomposerEEE10hipError_tT1_T2_PT3_SF_jT4_jjP12ihipStream_tbEUlT_E_NS1_11comp_targetILNS1_3genE10ELNS1_11target_archE1201ELNS1_3gpuE5ELNS1_3repE0EEENS1_52radix_sort_onesweep_histogram_config_static_selectorELNS0_4arch9wavefront6targetE0EEEvSD_: ; @_ZN7rocprim17ROCPRIM_400000_NS6detail17trampoline_kernelINS0_14default_configENS1_35radix_sort_onesweep_config_selectorIsNS0_10empty_typeEEEZNS1_34radix_sort_onesweep_global_offsetsIS3_Lb1EPKsPS5_mNS0_19identity_decomposerEEE10hipError_tT1_T2_PT3_SF_jT4_jjP12ihipStream_tbEUlT_E_NS1_11comp_targetILNS1_3genE10ELNS1_11target_archE1201ELNS1_3gpuE5ELNS1_3repE0EEENS1_52radix_sort_onesweep_histogram_config_static_selectorELNS0_4arch9wavefront6targetE0EEEvSD_
; %bb.0:
	.section	.rodata,"a",@progbits
	.p2align	6, 0x0
	.amdhsa_kernel _ZN7rocprim17ROCPRIM_400000_NS6detail17trampoline_kernelINS0_14default_configENS1_35radix_sort_onesweep_config_selectorIsNS0_10empty_typeEEEZNS1_34radix_sort_onesweep_global_offsetsIS3_Lb1EPKsPS5_mNS0_19identity_decomposerEEE10hipError_tT1_T2_PT3_SF_jT4_jjP12ihipStream_tbEUlT_E_NS1_11comp_targetILNS1_3genE10ELNS1_11target_archE1201ELNS1_3gpuE5ELNS1_3repE0EEENS1_52radix_sort_onesweep_histogram_config_static_selectorELNS0_4arch9wavefront6targetE0EEEvSD_
		.amdhsa_group_segment_fixed_size 0
		.amdhsa_private_segment_fixed_size 0
		.amdhsa_kernarg_size 48
		.amdhsa_user_sgpr_count 2
		.amdhsa_user_sgpr_dispatch_ptr 0
		.amdhsa_user_sgpr_queue_ptr 0
		.amdhsa_user_sgpr_kernarg_segment_ptr 1
		.amdhsa_user_sgpr_dispatch_id 0
		.amdhsa_user_sgpr_kernarg_preload_length 0
		.amdhsa_user_sgpr_kernarg_preload_offset 0
		.amdhsa_user_sgpr_private_segment_size 0
		.amdhsa_wavefront_size32 1
		.amdhsa_uses_dynamic_stack 0
		.amdhsa_enable_private_segment 0
		.amdhsa_system_sgpr_workgroup_id_x 1
		.amdhsa_system_sgpr_workgroup_id_y 0
		.amdhsa_system_sgpr_workgroup_id_z 0
		.amdhsa_system_sgpr_workgroup_info 0
		.amdhsa_system_vgpr_workitem_id 0
		.amdhsa_next_free_vgpr 1
		.amdhsa_next_free_sgpr 1
		.amdhsa_named_barrier_count 0
		.amdhsa_reserve_vcc 0
		.amdhsa_float_round_mode_32 0
		.amdhsa_float_round_mode_16_64 0
		.amdhsa_float_denorm_mode_32 3
		.amdhsa_float_denorm_mode_16_64 3
		.amdhsa_fp16_overflow 0
		.amdhsa_memory_ordered 1
		.amdhsa_forward_progress 1
		.amdhsa_inst_pref_size 0
		.amdhsa_round_robin_scheduling 0
		.amdhsa_exception_fp_ieee_invalid_op 0
		.amdhsa_exception_fp_denorm_src 0
		.amdhsa_exception_fp_ieee_div_zero 0
		.amdhsa_exception_fp_ieee_overflow 0
		.amdhsa_exception_fp_ieee_underflow 0
		.amdhsa_exception_fp_ieee_inexact 0
		.amdhsa_exception_int_div_zero 0
	.end_amdhsa_kernel
	.section	.text._ZN7rocprim17ROCPRIM_400000_NS6detail17trampoline_kernelINS0_14default_configENS1_35radix_sort_onesweep_config_selectorIsNS0_10empty_typeEEEZNS1_34radix_sort_onesweep_global_offsetsIS3_Lb1EPKsPS5_mNS0_19identity_decomposerEEE10hipError_tT1_T2_PT3_SF_jT4_jjP12ihipStream_tbEUlT_E_NS1_11comp_targetILNS1_3genE10ELNS1_11target_archE1201ELNS1_3gpuE5ELNS1_3repE0EEENS1_52radix_sort_onesweep_histogram_config_static_selectorELNS0_4arch9wavefront6targetE0EEEvSD_,"axG",@progbits,_ZN7rocprim17ROCPRIM_400000_NS6detail17trampoline_kernelINS0_14default_configENS1_35radix_sort_onesweep_config_selectorIsNS0_10empty_typeEEEZNS1_34radix_sort_onesweep_global_offsetsIS3_Lb1EPKsPS5_mNS0_19identity_decomposerEEE10hipError_tT1_T2_PT3_SF_jT4_jjP12ihipStream_tbEUlT_E_NS1_11comp_targetILNS1_3genE10ELNS1_11target_archE1201ELNS1_3gpuE5ELNS1_3repE0EEENS1_52radix_sort_onesweep_histogram_config_static_selectorELNS0_4arch9wavefront6targetE0EEEvSD_,comdat
.Lfunc_end582:
	.size	_ZN7rocprim17ROCPRIM_400000_NS6detail17trampoline_kernelINS0_14default_configENS1_35radix_sort_onesweep_config_selectorIsNS0_10empty_typeEEEZNS1_34radix_sort_onesweep_global_offsetsIS3_Lb1EPKsPS5_mNS0_19identity_decomposerEEE10hipError_tT1_T2_PT3_SF_jT4_jjP12ihipStream_tbEUlT_E_NS1_11comp_targetILNS1_3genE10ELNS1_11target_archE1201ELNS1_3gpuE5ELNS1_3repE0EEENS1_52radix_sort_onesweep_histogram_config_static_selectorELNS0_4arch9wavefront6targetE0EEEvSD_, .Lfunc_end582-_ZN7rocprim17ROCPRIM_400000_NS6detail17trampoline_kernelINS0_14default_configENS1_35radix_sort_onesweep_config_selectorIsNS0_10empty_typeEEEZNS1_34radix_sort_onesweep_global_offsetsIS3_Lb1EPKsPS5_mNS0_19identity_decomposerEEE10hipError_tT1_T2_PT3_SF_jT4_jjP12ihipStream_tbEUlT_E_NS1_11comp_targetILNS1_3genE10ELNS1_11target_archE1201ELNS1_3gpuE5ELNS1_3repE0EEENS1_52radix_sort_onesweep_histogram_config_static_selectorELNS0_4arch9wavefront6targetE0EEEvSD_
                                        ; -- End function
	.set _ZN7rocprim17ROCPRIM_400000_NS6detail17trampoline_kernelINS0_14default_configENS1_35radix_sort_onesweep_config_selectorIsNS0_10empty_typeEEEZNS1_34radix_sort_onesweep_global_offsetsIS3_Lb1EPKsPS5_mNS0_19identity_decomposerEEE10hipError_tT1_T2_PT3_SF_jT4_jjP12ihipStream_tbEUlT_E_NS1_11comp_targetILNS1_3genE10ELNS1_11target_archE1201ELNS1_3gpuE5ELNS1_3repE0EEENS1_52radix_sort_onesweep_histogram_config_static_selectorELNS0_4arch9wavefront6targetE0EEEvSD_.num_vgpr, 0
	.set _ZN7rocprim17ROCPRIM_400000_NS6detail17trampoline_kernelINS0_14default_configENS1_35radix_sort_onesweep_config_selectorIsNS0_10empty_typeEEEZNS1_34radix_sort_onesweep_global_offsetsIS3_Lb1EPKsPS5_mNS0_19identity_decomposerEEE10hipError_tT1_T2_PT3_SF_jT4_jjP12ihipStream_tbEUlT_E_NS1_11comp_targetILNS1_3genE10ELNS1_11target_archE1201ELNS1_3gpuE5ELNS1_3repE0EEENS1_52radix_sort_onesweep_histogram_config_static_selectorELNS0_4arch9wavefront6targetE0EEEvSD_.num_agpr, 0
	.set _ZN7rocprim17ROCPRIM_400000_NS6detail17trampoline_kernelINS0_14default_configENS1_35radix_sort_onesweep_config_selectorIsNS0_10empty_typeEEEZNS1_34radix_sort_onesweep_global_offsetsIS3_Lb1EPKsPS5_mNS0_19identity_decomposerEEE10hipError_tT1_T2_PT3_SF_jT4_jjP12ihipStream_tbEUlT_E_NS1_11comp_targetILNS1_3genE10ELNS1_11target_archE1201ELNS1_3gpuE5ELNS1_3repE0EEENS1_52radix_sort_onesweep_histogram_config_static_selectorELNS0_4arch9wavefront6targetE0EEEvSD_.numbered_sgpr, 0
	.set _ZN7rocprim17ROCPRIM_400000_NS6detail17trampoline_kernelINS0_14default_configENS1_35radix_sort_onesweep_config_selectorIsNS0_10empty_typeEEEZNS1_34radix_sort_onesweep_global_offsetsIS3_Lb1EPKsPS5_mNS0_19identity_decomposerEEE10hipError_tT1_T2_PT3_SF_jT4_jjP12ihipStream_tbEUlT_E_NS1_11comp_targetILNS1_3genE10ELNS1_11target_archE1201ELNS1_3gpuE5ELNS1_3repE0EEENS1_52radix_sort_onesweep_histogram_config_static_selectorELNS0_4arch9wavefront6targetE0EEEvSD_.num_named_barrier, 0
	.set _ZN7rocprim17ROCPRIM_400000_NS6detail17trampoline_kernelINS0_14default_configENS1_35radix_sort_onesweep_config_selectorIsNS0_10empty_typeEEEZNS1_34radix_sort_onesweep_global_offsetsIS3_Lb1EPKsPS5_mNS0_19identity_decomposerEEE10hipError_tT1_T2_PT3_SF_jT4_jjP12ihipStream_tbEUlT_E_NS1_11comp_targetILNS1_3genE10ELNS1_11target_archE1201ELNS1_3gpuE5ELNS1_3repE0EEENS1_52radix_sort_onesweep_histogram_config_static_selectorELNS0_4arch9wavefront6targetE0EEEvSD_.private_seg_size, 0
	.set _ZN7rocprim17ROCPRIM_400000_NS6detail17trampoline_kernelINS0_14default_configENS1_35radix_sort_onesweep_config_selectorIsNS0_10empty_typeEEEZNS1_34radix_sort_onesweep_global_offsetsIS3_Lb1EPKsPS5_mNS0_19identity_decomposerEEE10hipError_tT1_T2_PT3_SF_jT4_jjP12ihipStream_tbEUlT_E_NS1_11comp_targetILNS1_3genE10ELNS1_11target_archE1201ELNS1_3gpuE5ELNS1_3repE0EEENS1_52radix_sort_onesweep_histogram_config_static_selectorELNS0_4arch9wavefront6targetE0EEEvSD_.uses_vcc, 0
	.set _ZN7rocprim17ROCPRIM_400000_NS6detail17trampoline_kernelINS0_14default_configENS1_35radix_sort_onesweep_config_selectorIsNS0_10empty_typeEEEZNS1_34radix_sort_onesweep_global_offsetsIS3_Lb1EPKsPS5_mNS0_19identity_decomposerEEE10hipError_tT1_T2_PT3_SF_jT4_jjP12ihipStream_tbEUlT_E_NS1_11comp_targetILNS1_3genE10ELNS1_11target_archE1201ELNS1_3gpuE5ELNS1_3repE0EEENS1_52radix_sort_onesweep_histogram_config_static_selectorELNS0_4arch9wavefront6targetE0EEEvSD_.uses_flat_scratch, 0
	.set _ZN7rocprim17ROCPRIM_400000_NS6detail17trampoline_kernelINS0_14default_configENS1_35radix_sort_onesweep_config_selectorIsNS0_10empty_typeEEEZNS1_34radix_sort_onesweep_global_offsetsIS3_Lb1EPKsPS5_mNS0_19identity_decomposerEEE10hipError_tT1_T2_PT3_SF_jT4_jjP12ihipStream_tbEUlT_E_NS1_11comp_targetILNS1_3genE10ELNS1_11target_archE1201ELNS1_3gpuE5ELNS1_3repE0EEENS1_52radix_sort_onesweep_histogram_config_static_selectorELNS0_4arch9wavefront6targetE0EEEvSD_.has_dyn_sized_stack, 0
	.set _ZN7rocprim17ROCPRIM_400000_NS6detail17trampoline_kernelINS0_14default_configENS1_35radix_sort_onesweep_config_selectorIsNS0_10empty_typeEEEZNS1_34radix_sort_onesweep_global_offsetsIS3_Lb1EPKsPS5_mNS0_19identity_decomposerEEE10hipError_tT1_T2_PT3_SF_jT4_jjP12ihipStream_tbEUlT_E_NS1_11comp_targetILNS1_3genE10ELNS1_11target_archE1201ELNS1_3gpuE5ELNS1_3repE0EEENS1_52radix_sort_onesweep_histogram_config_static_selectorELNS0_4arch9wavefront6targetE0EEEvSD_.has_recursion, 0
	.set _ZN7rocprim17ROCPRIM_400000_NS6detail17trampoline_kernelINS0_14default_configENS1_35radix_sort_onesweep_config_selectorIsNS0_10empty_typeEEEZNS1_34radix_sort_onesweep_global_offsetsIS3_Lb1EPKsPS5_mNS0_19identity_decomposerEEE10hipError_tT1_T2_PT3_SF_jT4_jjP12ihipStream_tbEUlT_E_NS1_11comp_targetILNS1_3genE10ELNS1_11target_archE1201ELNS1_3gpuE5ELNS1_3repE0EEENS1_52radix_sort_onesweep_histogram_config_static_selectorELNS0_4arch9wavefront6targetE0EEEvSD_.has_indirect_call, 0
	.section	.AMDGPU.csdata,"",@progbits
; Kernel info:
; codeLenInByte = 0
; TotalNumSgprs: 0
; NumVgprs: 0
; ScratchSize: 0
; MemoryBound: 0
; FloatMode: 240
; IeeeMode: 1
; LDSByteSize: 0 bytes/workgroup (compile time only)
; SGPRBlocks: 0
; VGPRBlocks: 0
; NumSGPRsForWavesPerEU: 1
; NumVGPRsForWavesPerEU: 1
; NamedBarCnt: 0
; Occupancy: 16
; WaveLimiterHint : 0
; COMPUTE_PGM_RSRC2:SCRATCH_EN: 0
; COMPUTE_PGM_RSRC2:USER_SGPR: 2
; COMPUTE_PGM_RSRC2:TRAP_HANDLER: 0
; COMPUTE_PGM_RSRC2:TGID_X_EN: 1
; COMPUTE_PGM_RSRC2:TGID_Y_EN: 0
; COMPUTE_PGM_RSRC2:TGID_Z_EN: 0
; COMPUTE_PGM_RSRC2:TIDIG_COMP_CNT: 0
	.section	.text._ZN7rocprim17ROCPRIM_400000_NS6detail17trampoline_kernelINS0_14default_configENS1_35radix_sort_onesweep_config_selectorIsNS0_10empty_typeEEEZNS1_34radix_sort_onesweep_global_offsetsIS3_Lb1EPKsPS5_mNS0_19identity_decomposerEEE10hipError_tT1_T2_PT3_SF_jT4_jjP12ihipStream_tbEUlT_E_NS1_11comp_targetILNS1_3genE9ELNS1_11target_archE1100ELNS1_3gpuE3ELNS1_3repE0EEENS1_52radix_sort_onesweep_histogram_config_static_selectorELNS0_4arch9wavefront6targetE0EEEvSD_,"axG",@progbits,_ZN7rocprim17ROCPRIM_400000_NS6detail17trampoline_kernelINS0_14default_configENS1_35radix_sort_onesweep_config_selectorIsNS0_10empty_typeEEEZNS1_34radix_sort_onesweep_global_offsetsIS3_Lb1EPKsPS5_mNS0_19identity_decomposerEEE10hipError_tT1_T2_PT3_SF_jT4_jjP12ihipStream_tbEUlT_E_NS1_11comp_targetILNS1_3genE9ELNS1_11target_archE1100ELNS1_3gpuE3ELNS1_3repE0EEENS1_52radix_sort_onesweep_histogram_config_static_selectorELNS0_4arch9wavefront6targetE0EEEvSD_,comdat
	.protected	_ZN7rocprim17ROCPRIM_400000_NS6detail17trampoline_kernelINS0_14default_configENS1_35radix_sort_onesweep_config_selectorIsNS0_10empty_typeEEEZNS1_34radix_sort_onesweep_global_offsetsIS3_Lb1EPKsPS5_mNS0_19identity_decomposerEEE10hipError_tT1_T2_PT3_SF_jT4_jjP12ihipStream_tbEUlT_E_NS1_11comp_targetILNS1_3genE9ELNS1_11target_archE1100ELNS1_3gpuE3ELNS1_3repE0EEENS1_52radix_sort_onesweep_histogram_config_static_selectorELNS0_4arch9wavefront6targetE0EEEvSD_ ; -- Begin function _ZN7rocprim17ROCPRIM_400000_NS6detail17trampoline_kernelINS0_14default_configENS1_35radix_sort_onesweep_config_selectorIsNS0_10empty_typeEEEZNS1_34radix_sort_onesweep_global_offsetsIS3_Lb1EPKsPS5_mNS0_19identity_decomposerEEE10hipError_tT1_T2_PT3_SF_jT4_jjP12ihipStream_tbEUlT_E_NS1_11comp_targetILNS1_3genE9ELNS1_11target_archE1100ELNS1_3gpuE3ELNS1_3repE0EEENS1_52radix_sort_onesweep_histogram_config_static_selectorELNS0_4arch9wavefront6targetE0EEEvSD_
	.globl	_ZN7rocprim17ROCPRIM_400000_NS6detail17trampoline_kernelINS0_14default_configENS1_35radix_sort_onesweep_config_selectorIsNS0_10empty_typeEEEZNS1_34radix_sort_onesweep_global_offsetsIS3_Lb1EPKsPS5_mNS0_19identity_decomposerEEE10hipError_tT1_T2_PT3_SF_jT4_jjP12ihipStream_tbEUlT_E_NS1_11comp_targetILNS1_3genE9ELNS1_11target_archE1100ELNS1_3gpuE3ELNS1_3repE0EEENS1_52radix_sort_onesweep_histogram_config_static_selectorELNS0_4arch9wavefront6targetE0EEEvSD_
	.p2align	8
	.type	_ZN7rocprim17ROCPRIM_400000_NS6detail17trampoline_kernelINS0_14default_configENS1_35radix_sort_onesweep_config_selectorIsNS0_10empty_typeEEEZNS1_34radix_sort_onesweep_global_offsetsIS3_Lb1EPKsPS5_mNS0_19identity_decomposerEEE10hipError_tT1_T2_PT3_SF_jT4_jjP12ihipStream_tbEUlT_E_NS1_11comp_targetILNS1_3genE9ELNS1_11target_archE1100ELNS1_3gpuE3ELNS1_3repE0EEENS1_52radix_sort_onesweep_histogram_config_static_selectorELNS0_4arch9wavefront6targetE0EEEvSD_,@function
_ZN7rocprim17ROCPRIM_400000_NS6detail17trampoline_kernelINS0_14default_configENS1_35radix_sort_onesweep_config_selectorIsNS0_10empty_typeEEEZNS1_34radix_sort_onesweep_global_offsetsIS3_Lb1EPKsPS5_mNS0_19identity_decomposerEEE10hipError_tT1_T2_PT3_SF_jT4_jjP12ihipStream_tbEUlT_E_NS1_11comp_targetILNS1_3genE9ELNS1_11target_archE1100ELNS1_3gpuE3ELNS1_3repE0EEENS1_52radix_sort_onesweep_histogram_config_static_selectorELNS0_4arch9wavefront6targetE0EEEvSD_: ; @_ZN7rocprim17ROCPRIM_400000_NS6detail17trampoline_kernelINS0_14default_configENS1_35radix_sort_onesweep_config_selectorIsNS0_10empty_typeEEEZNS1_34radix_sort_onesweep_global_offsetsIS3_Lb1EPKsPS5_mNS0_19identity_decomposerEEE10hipError_tT1_T2_PT3_SF_jT4_jjP12ihipStream_tbEUlT_E_NS1_11comp_targetILNS1_3genE9ELNS1_11target_archE1100ELNS1_3gpuE3ELNS1_3repE0EEENS1_52radix_sort_onesweep_histogram_config_static_selectorELNS0_4arch9wavefront6targetE0EEEvSD_
; %bb.0:
	.section	.rodata,"a",@progbits
	.p2align	6, 0x0
	.amdhsa_kernel _ZN7rocprim17ROCPRIM_400000_NS6detail17trampoline_kernelINS0_14default_configENS1_35radix_sort_onesweep_config_selectorIsNS0_10empty_typeEEEZNS1_34radix_sort_onesweep_global_offsetsIS3_Lb1EPKsPS5_mNS0_19identity_decomposerEEE10hipError_tT1_T2_PT3_SF_jT4_jjP12ihipStream_tbEUlT_E_NS1_11comp_targetILNS1_3genE9ELNS1_11target_archE1100ELNS1_3gpuE3ELNS1_3repE0EEENS1_52radix_sort_onesweep_histogram_config_static_selectorELNS0_4arch9wavefront6targetE0EEEvSD_
		.amdhsa_group_segment_fixed_size 0
		.amdhsa_private_segment_fixed_size 0
		.amdhsa_kernarg_size 48
		.amdhsa_user_sgpr_count 2
		.amdhsa_user_sgpr_dispatch_ptr 0
		.amdhsa_user_sgpr_queue_ptr 0
		.amdhsa_user_sgpr_kernarg_segment_ptr 1
		.amdhsa_user_sgpr_dispatch_id 0
		.amdhsa_user_sgpr_kernarg_preload_length 0
		.amdhsa_user_sgpr_kernarg_preload_offset 0
		.amdhsa_user_sgpr_private_segment_size 0
		.amdhsa_wavefront_size32 1
		.amdhsa_uses_dynamic_stack 0
		.amdhsa_enable_private_segment 0
		.amdhsa_system_sgpr_workgroup_id_x 1
		.amdhsa_system_sgpr_workgroup_id_y 0
		.amdhsa_system_sgpr_workgroup_id_z 0
		.amdhsa_system_sgpr_workgroup_info 0
		.amdhsa_system_vgpr_workitem_id 0
		.amdhsa_next_free_vgpr 1
		.amdhsa_next_free_sgpr 1
		.amdhsa_named_barrier_count 0
		.amdhsa_reserve_vcc 0
		.amdhsa_float_round_mode_32 0
		.amdhsa_float_round_mode_16_64 0
		.amdhsa_float_denorm_mode_32 3
		.amdhsa_float_denorm_mode_16_64 3
		.amdhsa_fp16_overflow 0
		.amdhsa_memory_ordered 1
		.amdhsa_forward_progress 1
		.amdhsa_inst_pref_size 0
		.amdhsa_round_robin_scheduling 0
		.amdhsa_exception_fp_ieee_invalid_op 0
		.amdhsa_exception_fp_denorm_src 0
		.amdhsa_exception_fp_ieee_div_zero 0
		.amdhsa_exception_fp_ieee_overflow 0
		.amdhsa_exception_fp_ieee_underflow 0
		.amdhsa_exception_fp_ieee_inexact 0
		.amdhsa_exception_int_div_zero 0
	.end_amdhsa_kernel
	.section	.text._ZN7rocprim17ROCPRIM_400000_NS6detail17trampoline_kernelINS0_14default_configENS1_35radix_sort_onesweep_config_selectorIsNS0_10empty_typeEEEZNS1_34radix_sort_onesweep_global_offsetsIS3_Lb1EPKsPS5_mNS0_19identity_decomposerEEE10hipError_tT1_T2_PT3_SF_jT4_jjP12ihipStream_tbEUlT_E_NS1_11comp_targetILNS1_3genE9ELNS1_11target_archE1100ELNS1_3gpuE3ELNS1_3repE0EEENS1_52radix_sort_onesweep_histogram_config_static_selectorELNS0_4arch9wavefront6targetE0EEEvSD_,"axG",@progbits,_ZN7rocprim17ROCPRIM_400000_NS6detail17trampoline_kernelINS0_14default_configENS1_35radix_sort_onesweep_config_selectorIsNS0_10empty_typeEEEZNS1_34radix_sort_onesweep_global_offsetsIS3_Lb1EPKsPS5_mNS0_19identity_decomposerEEE10hipError_tT1_T2_PT3_SF_jT4_jjP12ihipStream_tbEUlT_E_NS1_11comp_targetILNS1_3genE9ELNS1_11target_archE1100ELNS1_3gpuE3ELNS1_3repE0EEENS1_52radix_sort_onesweep_histogram_config_static_selectorELNS0_4arch9wavefront6targetE0EEEvSD_,comdat
.Lfunc_end583:
	.size	_ZN7rocprim17ROCPRIM_400000_NS6detail17trampoline_kernelINS0_14default_configENS1_35radix_sort_onesweep_config_selectorIsNS0_10empty_typeEEEZNS1_34radix_sort_onesweep_global_offsetsIS3_Lb1EPKsPS5_mNS0_19identity_decomposerEEE10hipError_tT1_T2_PT3_SF_jT4_jjP12ihipStream_tbEUlT_E_NS1_11comp_targetILNS1_3genE9ELNS1_11target_archE1100ELNS1_3gpuE3ELNS1_3repE0EEENS1_52radix_sort_onesweep_histogram_config_static_selectorELNS0_4arch9wavefront6targetE0EEEvSD_, .Lfunc_end583-_ZN7rocprim17ROCPRIM_400000_NS6detail17trampoline_kernelINS0_14default_configENS1_35radix_sort_onesweep_config_selectorIsNS0_10empty_typeEEEZNS1_34radix_sort_onesweep_global_offsetsIS3_Lb1EPKsPS5_mNS0_19identity_decomposerEEE10hipError_tT1_T2_PT3_SF_jT4_jjP12ihipStream_tbEUlT_E_NS1_11comp_targetILNS1_3genE9ELNS1_11target_archE1100ELNS1_3gpuE3ELNS1_3repE0EEENS1_52radix_sort_onesweep_histogram_config_static_selectorELNS0_4arch9wavefront6targetE0EEEvSD_
                                        ; -- End function
	.set _ZN7rocprim17ROCPRIM_400000_NS6detail17trampoline_kernelINS0_14default_configENS1_35radix_sort_onesweep_config_selectorIsNS0_10empty_typeEEEZNS1_34radix_sort_onesweep_global_offsetsIS3_Lb1EPKsPS5_mNS0_19identity_decomposerEEE10hipError_tT1_T2_PT3_SF_jT4_jjP12ihipStream_tbEUlT_E_NS1_11comp_targetILNS1_3genE9ELNS1_11target_archE1100ELNS1_3gpuE3ELNS1_3repE0EEENS1_52radix_sort_onesweep_histogram_config_static_selectorELNS0_4arch9wavefront6targetE0EEEvSD_.num_vgpr, 0
	.set _ZN7rocprim17ROCPRIM_400000_NS6detail17trampoline_kernelINS0_14default_configENS1_35radix_sort_onesweep_config_selectorIsNS0_10empty_typeEEEZNS1_34radix_sort_onesweep_global_offsetsIS3_Lb1EPKsPS5_mNS0_19identity_decomposerEEE10hipError_tT1_T2_PT3_SF_jT4_jjP12ihipStream_tbEUlT_E_NS1_11comp_targetILNS1_3genE9ELNS1_11target_archE1100ELNS1_3gpuE3ELNS1_3repE0EEENS1_52radix_sort_onesweep_histogram_config_static_selectorELNS0_4arch9wavefront6targetE0EEEvSD_.num_agpr, 0
	.set _ZN7rocprim17ROCPRIM_400000_NS6detail17trampoline_kernelINS0_14default_configENS1_35radix_sort_onesweep_config_selectorIsNS0_10empty_typeEEEZNS1_34radix_sort_onesweep_global_offsetsIS3_Lb1EPKsPS5_mNS0_19identity_decomposerEEE10hipError_tT1_T2_PT3_SF_jT4_jjP12ihipStream_tbEUlT_E_NS1_11comp_targetILNS1_3genE9ELNS1_11target_archE1100ELNS1_3gpuE3ELNS1_3repE0EEENS1_52radix_sort_onesweep_histogram_config_static_selectorELNS0_4arch9wavefront6targetE0EEEvSD_.numbered_sgpr, 0
	.set _ZN7rocprim17ROCPRIM_400000_NS6detail17trampoline_kernelINS0_14default_configENS1_35radix_sort_onesweep_config_selectorIsNS0_10empty_typeEEEZNS1_34radix_sort_onesweep_global_offsetsIS3_Lb1EPKsPS5_mNS0_19identity_decomposerEEE10hipError_tT1_T2_PT3_SF_jT4_jjP12ihipStream_tbEUlT_E_NS1_11comp_targetILNS1_3genE9ELNS1_11target_archE1100ELNS1_3gpuE3ELNS1_3repE0EEENS1_52radix_sort_onesweep_histogram_config_static_selectorELNS0_4arch9wavefront6targetE0EEEvSD_.num_named_barrier, 0
	.set _ZN7rocprim17ROCPRIM_400000_NS6detail17trampoline_kernelINS0_14default_configENS1_35radix_sort_onesweep_config_selectorIsNS0_10empty_typeEEEZNS1_34radix_sort_onesweep_global_offsetsIS3_Lb1EPKsPS5_mNS0_19identity_decomposerEEE10hipError_tT1_T2_PT3_SF_jT4_jjP12ihipStream_tbEUlT_E_NS1_11comp_targetILNS1_3genE9ELNS1_11target_archE1100ELNS1_3gpuE3ELNS1_3repE0EEENS1_52radix_sort_onesweep_histogram_config_static_selectorELNS0_4arch9wavefront6targetE0EEEvSD_.private_seg_size, 0
	.set _ZN7rocprim17ROCPRIM_400000_NS6detail17trampoline_kernelINS0_14default_configENS1_35radix_sort_onesweep_config_selectorIsNS0_10empty_typeEEEZNS1_34radix_sort_onesweep_global_offsetsIS3_Lb1EPKsPS5_mNS0_19identity_decomposerEEE10hipError_tT1_T2_PT3_SF_jT4_jjP12ihipStream_tbEUlT_E_NS1_11comp_targetILNS1_3genE9ELNS1_11target_archE1100ELNS1_3gpuE3ELNS1_3repE0EEENS1_52radix_sort_onesweep_histogram_config_static_selectorELNS0_4arch9wavefront6targetE0EEEvSD_.uses_vcc, 0
	.set _ZN7rocprim17ROCPRIM_400000_NS6detail17trampoline_kernelINS0_14default_configENS1_35radix_sort_onesweep_config_selectorIsNS0_10empty_typeEEEZNS1_34radix_sort_onesweep_global_offsetsIS3_Lb1EPKsPS5_mNS0_19identity_decomposerEEE10hipError_tT1_T2_PT3_SF_jT4_jjP12ihipStream_tbEUlT_E_NS1_11comp_targetILNS1_3genE9ELNS1_11target_archE1100ELNS1_3gpuE3ELNS1_3repE0EEENS1_52radix_sort_onesweep_histogram_config_static_selectorELNS0_4arch9wavefront6targetE0EEEvSD_.uses_flat_scratch, 0
	.set _ZN7rocprim17ROCPRIM_400000_NS6detail17trampoline_kernelINS0_14default_configENS1_35radix_sort_onesweep_config_selectorIsNS0_10empty_typeEEEZNS1_34radix_sort_onesweep_global_offsetsIS3_Lb1EPKsPS5_mNS0_19identity_decomposerEEE10hipError_tT1_T2_PT3_SF_jT4_jjP12ihipStream_tbEUlT_E_NS1_11comp_targetILNS1_3genE9ELNS1_11target_archE1100ELNS1_3gpuE3ELNS1_3repE0EEENS1_52radix_sort_onesweep_histogram_config_static_selectorELNS0_4arch9wavefront6targetE0EEEvSD_.has_dyn_sized_stack, 0
	.set _ZN7rocprim17ROCPRIM_400000_NS6detail17trampoline_kernelINS0_14default_configENS1_35radix_sort_onesweep_config_selectorIsNS0_10empty_typeEEEZNS1_34radix_sort_onesweep_global_offsetsIS3_Lb1EPKsPS5_mNS0_19identity_decomposerEEE10hipError_tT1_T2_PT3_SF_jT4_jjP12ihipStream_tbEUlT_E_NS1_11comp_targetILNS1_3genE9ELNS1_11target_archE1100ELNS1_3gpuE3ELNS1_3repE0EEENS1_52radix_sort_onesweep_histogram_config_static_selectorELNS0_4arch9wavefront6targetE0EEEvSD_.has_recursion, 0
	.set _ZN7rocprim17ROCPRIM_400000_NS6detail17trampoline_kernelINS0_14default_configENS1_35radix_sort_onesweep_config_selectorIsNS0_10empty_typeEEEZNS1_34radix_sort_onesweep_global_offsetsIS3_Lb1EPKsPS5_mNS0_19identity_decomposerEEE10hipError_tT1_T2_PT3_SF_jT4_jjP12ihipStream_tbEUlT_E_NS1_11comp_targetILNS1_3genE9ELNS1_11target_archE1100ELNS1_3gpuE3ELNS1_3repE0EEENS1_52radix_sort_onesweep_histogram_config_static_selectorELNS0_4arch9wavefront6targetE0EEEvSD_.has_indirect_call, 0
	.section	.AMDGPU.csdata,"",@progbits
; Kernel info:
; codeLenInByte = 0
; TotalNumSgprs: 0
; NumVgprs: 0
; ScratchSize: 0
; MemoryBound: 0
; FloatMode: 240
; IeeeMode: 1
; LDSByteSize: 0 bytes/workgroup (compile time only)
; SGPRBlocks: 0
; VGPRBlocks: 0
; NumSGPRsForWavesPerEU: 1
; NumVGPRsForWavesPerEU: 1
; NamedBarCnt: 0
; Occupancy: 16
; WaveLimiterHint : 0
; COMPUTE_PGM_RSRC2:SCRATCH_EN: 0
; COMPUTE_PGM_RSRC2:USER_SGPR: 2
; COMPUTE_PGM_RSRC2:TRAP_HANDLER: 0
; COMPUTE_PGM_RSRC2:TGID_X_EN: 1
; COMPUTE_PGM_RSRC2:TGID_Y_EN: 0
; COMPUTE_PGM_RSRC2:TGID_Z_EN: 0
; COMPUTE_PGM_RSRC2:TIDIG_COMP_CNT: 0
	.section	.text._ZN7rocprim17ROCPRIM_400000_NS6detail17trampoline_kernelINS0_14default_configENS1_35radix_sort_onesweep_config_selectorIsNS0_10empty_typeEEEZNS1_34radix_sort_onesweep_global_offsetsIS3_Lb1EPKsPS5_mNS0_19identity_decomposerEEE10hipError_tT1_T2_PT3_SF_jT4_jjP12ihipStream_tbEUlT_E_NS1_11comp_targetILNS1_3genE8ELNS1_11target_archE1030ELNS1_3gpuE2ELNS1_3repE0EEENS1_52radix_sort_onesweep_histogram_config_static_selectorELNS0_4arch9wavefront6targetE0EEEvSD_,"axG",@progbits,_ZN7rocprim17ROCPRIM_400000_NS6detail17trampoline_kernelINS0_14default_configENS1_35radix_sort_onesweep_config_selectorIsNS0_10empty_typeEEEZNS1_34radix_sort_onesweep_global_offsetsIS3_Lb1EPKsPS5_mNS0_19identity_decomposerEEE10hipError_tT1_T2_PT3_SF_jT4_jjP12ihipStream_tbEUlT_E_NS1_11comp_targetILNS1_3genE8ELNS1_11target_archE1030ELNS1_3gpuE2ELNS1_3repE0EEENS1_52radix_sort_onesweep_histogram_config_static_selectorELNS0_4arch9wavefront6targetE0EEEvSD_,comdat
	.protected	_ZN7rocprim17ROCPRIM_400000_NS6detail17trampoline_kernelINS0_14default_configENS1_35radix_sort_onesweep_config_selectorIsNS0_10empty_typeEEEZNS1_34radix_sort_onesweep_global_offsetsIS3_Lb1EPKsPS5_mNS0_19identity_decomposerEEE10hipError_tT1_T2_PT3_SF_jT4_jjP12ihipStream_tbEUlT_E_NS1_11comp_targetILNS1_3genE8ELNS1_11target_archE1030ELNS1_3gpuE2ELNS1_3repE0EEENS1_52radix_sort_onesweep_histogram_config_static_selectorELNS0_4arch9wavefront6targetE0EEEvSD_ ; -- Begin function _ZN7rocprim17ROCPRIM_400000_NS6detail17trampoline_kernelINS0_14default_configENS1_35radix_sort_onesweep_config_selectorIsNS0_10empty_typeEEEZNS1_34radix_sort_onesweep_global_offsetsIS3_Lb1EPKsPS5_mNS0_19identity_decomposerEEE10hipError_tT1_T2_PT3_SF_jT4_jjP12ihipStream_tbEUlT_E_NS1_11comp_targetILNS1_3genE8ELNS1_11target_archE1030ELNS1_3gpuE2ELNS1_3repE0EEENS1_52radix_sort_onesweep_histogram_config_static_selectorELNS0_4arch9wavefront6targetE0EEEvSD_
	.globl	_ZN7rocprim17ROCPRIM_400000_NS6detail17trampoline_kernelINS0_14default_configENS1_35radix_sort_onesweep_config_selectorIsNS0_10empty_typeEEEZNS1_34radix_sort_onesweep_global_offsetsIS3_Lb1EPKsPS5_mNS0_19identity_decomposerEEE10hipError_tT1_T2_PT3_SF_jT4_jjP12ihipStream_tbEUlT_E_NS1_11comp_targetILNS1_3genE8ELNS1_11target_archE1030ELNS1_3gpuE2ELNS1_3repE0EEENS1_52radix_sort_onesweep_histogram_config_static_selectorELNS0_4arch9wavefront6targetE0EEEvSD_
	.p2align	8
	.type	_ZN7rocprim17ROCPRIM_400000_NS6detail17trampoline_kernelINS0_14default_configENS1_35radix_sort_onesweep_config_selectorIsNS0_10empty_typeEEEZNS1_34radix_sort_onesweep_global_offsetsIS3_Lb1EPKsPS5_mNS0_19identity_decomposerEEE10hipError_tT1_T2_PT3_SF_jT4_jjP12ihipStream_tbEUlT_E_NS1_11comp_targetILNS1_3genE8ELNS1_11target_archE1030ELNS1_3gpuE2ELNS1_3repE0EEENS1_52radix_sort_onesweep_histogram_config_static_selectorELNS0_4arch9wavefront6targetE0EEEvSD_,@function
_ZN7rocprim17ROCPRIM_400000_NS6detail17trampoline_kernelINS0_14default_configENS1_35radix_sort_onesweep_config_selectorIsNS0_10empty_typeEEEZNS1_34radix_sort_onesweep_global_offsetsIS3_Lb1EPKsPS5_mNS0_19identity_decomposerEEE10hipError_tT1_T2_PT3_SF_jT4_jjP12ihipStream_tbEUlT_E_NS1_11comp_targetILNS1_3genE8ELNS1_11target_archE1030ELNS1_3gpuE2ELNS1_3repE0EEENS1_52radix_sort_onesweep_histogram_config_static_selectorELNS0_4arch9wavefront6targetE0EEEvSD_: ; @_ZN7rocprim17ROCPRIM_400000_NS6detail17trampoline_kernelINS0_14default_configENS1_35radix_sort_onesweep_config_selectorIsNS0_10empty_typeEEEZNS1_34radix_sort_onesweep_global_offsetsIS3_Lb1EPKsPS5_mNS0_19identity_decomposerEEE10hipError_tT1_T2_PT3_SF_jT4_jjP12ihipStream_tbEUlT_E_NS1_11comp_targetILNS1_3genE8ELNS1_11target_archE1030ELNS1_3gpuE2ELNS1_3repE0EEENS1_52radix_sort_onesweep_histogram_config_static_selectorELNS0_4arch9wavefront6targetE0EEEvSD_
; %bb.0:
	.section	.rodata,"a",@progbits
	.p2align	6, 0x0
	.amdhsa_kernel _ZN7rocprim17ROCPRIM_400000_NS6detail17trampoline_kernelINS0_14default_configENS1_35radix_sort_onesweep_config_selectorIsNS0_10empty_typeEEEZNS1_34radix_sort_onesweep_global_offsetsIS3_Lb1EPKsPS5_mNS0_19identity_decomposerEEE10hipError_tT1_T2_PT3_SF_jT4_jjP12ihipStream_tbEUlT_E_NS1_11comp_targetILNS1_3genE8ELNS1_11target_archE1030ELNS1_3gpuE2ELNS1_3repE0EEENS1_52radix_sort_onesweep_histogram_config_static_selectorELNS0_4arch9wavefront6targetE0EEEvSD_
		.amdhsa_group_segment_fixed_size 0
		.amdhsa_private_segment_fixed_size 0
		.amdhsa_kernarg_size 48
		.amdhsa_user_sgpr_count 2
		.amdhsa_user_sgpr_dispatch_ptr 0
		.amdhsa_user_sgpr_queue_ptr 0
		.amdhsa_user_sgpr_kernarg_segment_ptr 1
		.amdhsa_user_sgpr_dispatch_id 0
		.amdhsa_user_sgpr_kernarg_preload_length 0
		.amdhsa_user_sgpr_kernarg_preload_offset 0
		.amdhsa_user_sgpr_private_segment_size 0
		.amdhsa_wavefront_size32 1
		.amdhsa_uses_dynamic_stack 0
		.amdhsa_enable_private_segment 0
		.amdhsa_system_sgpr_workgroup_id_x 1
		.amdhsa_system_sgpr_workgroup_id_y 0
		.amdhsa_system_sgpr_workgroup_id_z 0
		.amdhsa_system_sgpr_workgroup_info 0
		.amdhsa_system_vgpr_workitem_id 0
		.amdhsa_next_free_vgpr 1
		.amdhsa_next_free_sgpr 1
		.amdhsa_named_barrier_count 0
		.amdhsa_reserve_vcc 0
		.amdhsa_float_round_mode_32 0
		.amdhsa_float_round_mode_16_64 0
		.amdhsa_float_denorm_mode_32 3
		.amdhsa_float_denorm_mode_16_64 3
		.amdhsa_fp16_overflow 0
		.amdhsa_memory_ordered 1
		.amdhsa_forward_progress 1
		.amdhsa_inst_pref_size 0
		.amdhsa_round_robin_scheduling 0
		.amdhsa_exception_fp_ieee_invalid_op 0
		.amdhsa_exception_fp_denorm_src 0
		.amdhsa_exception_fp_ieee_div_zero 0
		.amdhsa_exception_fp_ieee_overflow 0
		.amdhsa_exception_fp_ieee_underflow 0
		.amdhsa_exception_fp_ieee_inexact 0
		.amdhsa_exception_int_div_zero 0
	.end_amdhsa_kernel
	.section	.text._ZN7rocprim17ROCPRIM_400000_NS6detail17trampoline_kernelINS0_14default_configENS1_35radix_sort_onesweep_config_selectorIsNS0_10empty_typeEEEZNS1_34radix_sort_onesweep_global_offsetsIS3_Lb1EPKsPS5_mNS0_19identity_decomposerEEE10hipError_tT1_T2_PT3_SF_jT4_jjP12ihipStream_tbEUlT_E_NS1_11comp_targetILNS1_3genE8ELNS1_11target_archE1030ELNS1_3gpuE2ELNS1_3repE0EEENS1_52radix_sort_onesweep_histogram_config_static_selectorELNS0_4arch9wavefront6targetE0EEEvSD_,"axG",@progbits,_ZN7rocprim17ROCPRIM_400000_NS6detail17trampoline_kernelINS0_14default_configENS1_35radix_sort_onesweep_config_selectorIsNS0_10empty_typeEEEZNS1_34radix_sort_onesweep_global_offsetsIS3_Lb1EPKsPS5_mNS0_19identity_decomposerEEE10hipError_tT1_T2_PT3_SF_jT4_jjP12ihipStream_tbEUlT_E_NS1_11comp_targetILNS1_3genE8ELNS1_11target_archE1030ELNS1_3gpuE2ELNS1_3repE0EEENS1_52radix_sort_onesweep_histogram_config_static_selectorELNS0_4arch9wavefront6targetE0EEEvSD_,comdat
.Lfunc_end584:
	.size	_ZN7rocprim17ROCPRIM_400000_NS6detail17trampoline_kernelINS0_14default_configENS1_35radix_sort_onesweep_config_selectorIsNS0_10empty_typeEEEZNS1_34radix_sort_onesweep_global_offsetsIS3_Lb1EPKsPS5_mNS0_19identity_decomposerEEE10hipError_tT1_T2_PT3_SF_jT4_jjP12ihipStream_tbEUlT_E_NS1_11comp_targetILNS1_3genE8ELNS1_11target_archE1030ELNS1_3gpuE2ELNS1_3repE0EEENS1_52radix_sort_onesweep_histogram_config_static_selectorELNS0_4arch9wavefront6targetE0EEEvSD_, .Lfunc_end584-_ZN7rocprim17ROCPRIM_400000_NS6detail17trampoline_kernelINS0_14default_configENS1_35radix_sort_onesweep_config_selectorIsNS0_10empty_typeEEEZNS1_34radix_sort_onesweep_global_offsetsIS3_Lb1EPKsPS5_mNS0_19identity_decomposerEEE10hipError_tT1_T2_PT3_SF_jT4_jjP12ihipStream_tbEUlT_E_NS1_11comp_targetILNS1_3genE8ELNS1_11target_archE1030ELNS1_3gpuE2ELNS1_3repE0EEENS1_52radix_sort_onesweep_histogram_config_static_selectorELNS0_4arch9wavefront6targetE0EEEvSD_
                                        ; -- End function
	.set _ZN7rocprim17ROCPRIM_400000_NS6detail17trampoline_kernelINS0_14default_configENS1_35radix_sort_onesweep_config_selectorIsNS0_10empty_typeEEEZNS1_34radix_sort_onesweep_global_offsetsIS3_Lb1EPKsPS5_mNS0_19identity_decomposerEEE10hipError_tT1_T2_PT3_SF_jT4_jjP12ihipStream_tbEUlT_E_NS1_11comp_targetILNS1_3genE8ELNS1_11target_archE1030ELNS1_3gpuE2ELNS1_3repE0EEENS1_52radix_sort_onesweep_histogram_config_static_selectorELNS0_4arch9wavefront6targetE0EEEvSD_.num_vgpr, 0
	.set _ZN7rocprim17ROCPRIM_400000_NS6detail17trampoline_kernelINS0_14default_configENS1_35radix_sort_onesweep_config_selectorIsNS0_10empty_typeEEEZNS1_34radix_sort_onesweep_global_offsetsIS3_Lb1EPKsPS5_mNS0_19identity_decomposerEEE10hipError_tT1_T2_PT3_SF_jT4_jjP12ihipStream_tbEUlT_E_NS1_11comp_targetILNS1_3genE8ELNS1_11target_archE1030ELNS1_3gpuE2ELNS1_3repE0EEENS1_52radix_sort_onesweep_histogram_config_static_selectorELNS0_4arch9wavefront6targetE0EEEvSD_.num_agpr, 0
	.set _ZN7rocprim17ROCPRIM_400000_NS6detail17trampoline_kernelINS0_14default_configENS1_35radix_sort_onesweep_config_selectorIsNS0_10empty_typeEEEZNS1_34radix_sort_onesweep_global_offsetsIS3_Lb1EPKsPS5_mNS0_19identity_decomposerEEE10hipError_tT1_T2_PT3_SF_jT4_jjP12ihipStream_tbEUlT_E_NS1_11comp_targetILNS1_3genE8ELNS1_11target_archE1030ELNS1_3gpuE2ELNS1_3repE0EEENS1_52radix_sort_onesweep_histogram_config_static_selectorELNS0_4arch9wavefront6targetE0EEEvSD_.numbered_sgpr, 0
	.set _ZN7rocprim17ROCPRIM_400000_NS6detail17trampoline_kernelINS0_14default_configENS1_35radix_sort_onesweep_config_selectorIsNS0_10empty_typeEEEZNS1_34radix_sort_onesweep_global_offsetsIS3_Lb1EPKsPS5_mNS0_19identity_decomposerEEE10hipError_tT1_T2_PT3_SF_jT4_jjP12ihipStream_tbEUlT_E_NS1_11comp_targetILNS1_3genE8ELNS1_11target_archE1030ELNS1_3gpuE2ELNS1_3repE0EEENS1_52radix_sort_onesweep_histogram_config_static_selectorELNS0_4arch9wavefront6targetE0EEEvSD_.num_named_barrier, 0
	.set _ZN7rocprim17ROCPRIM_400000_NS6detail17trampoline_kernelINS0_14default_configENS1_35radix_sort_onesweep_config_selectorIsNS0_10empty_typeEEEZNS1_34radix_sort_onesweep_global_offsetsIS3_Lb1EPKsPS5_mNS0_19identity_decomposerEEE10hipError_tT1_T2_PT3_SF_jT4_jjP12ihipStream_tbEUlT_E_NS1_11comp_targetILNS1_3genE8ELNS1_11target_archE1030ELNS1_3gpuE2ELNS1_3repE0EEENS1_52radix_sort_onesweep_histogram_config_static_selectorELNS0_4arch9wavefront6targetE0EEEvSD_.private_seg_size, 0
	.set _ZN7rocprim17ROCPRIM_400000_NS6detail17trampoline_kernelINS0_14default_configENS1_35radix_sort_onesweep_config_selectorIsNS0_10empty_typeEEEZNS1_34radix_sort_onesweep_global_offsetsIS3_Lb1EPKsPS5_mNS0_19identity_decomposerEEE10hipError_tT1_T2_PT3_SF_jT4_jjP12ihipStream_tbEUlT_E_NS1_11comp_targetILNS1_3genE8ELNS1_11target_archE1030ELNS1_3gpuE2ELNS1_3repE0EEENS1_52radix_sort_onesweep_histogram_config_static_selectorELNS0_4arch9wavefront6targetE0EEEvSD_.uses_vcc, 0
	.set _ZN7rocprim17ROCPRIM_400000_NS6detail17trampoline_kernelINS0_14default_configENS1_35radix_sort_onesweep_config_selectorIsNS0_10empty_typeEEEZNS1_34radix_sort_onesweep_global_offsetsIS3_Lb1EPKsPS5_mNS0_19identity_decomposerEEE10hipError_tT1_T2_PT3_SF_jT4_jjP12ihipStream_tbEUlT_E_NS1_11comp_targetILNS1_3genE8ELNS1_11target_archE1030ELNS1_3gpuE2ELNS1_3repE0EEENS1_52radix_sort_onesweep_histogram_config_static_selectorELNS0_4arch9wavefront6targetE0EEEvSD_.uses_flat_scratch, 0
	.set _ZN7rocprim17ROCPRIM_400000_NS6detail17trampoline_kernelINS0_14default_configENS1_35radix_sort_onesweep_config_selectorIsNS0_10empty_typeEEEZNS1_34radix_sort_onesweep_global_offsetsIS3_Lb1EPKsPS5_mNS0_19identity_decomposerEEE10hipError_tT1_T2_PT3_SF_jT4_jjP12ihipStream_tbEUlT_E_NS1_11comp_targetILNS1_3genE8ELNS1_11target_archE1030ELNS1_3gpuE2ELNS1_3repE0EEENS1_52radix_sort_onesweep_histogram_config_static_selectorELNS0_4arch9wavefront6targetE0EEEvSD_.has_dyn_sized_stack, 0
	.set _ZN7rocprim17ROCPRIM_400000_NS6detail17trampoline_kernelINS0_14default_configENS1_35radix_sort_onesweep_config_selectorIsNS0_10empty_typeEEEZNS1_34radix_sort_onesweep_global_offsetsIS3_Lb1EPKsPS5_mNS0_19identity_decomposerEEE10hipError_tT1_T2_PT3_SF_jT4_jjP12ihipStream_tbEUlT_E_NS1_11comp_targetILNS1_3genE8ELNS1_11target_archE1030ELNS1_3gpuE2ELNS1_3repE0EEENS1_52radix_sort_onesweep_histogram_config_static_selectorELNS0_4arch9wavefront6targetE0EEEvSD_.has_recursion, 0
	.set _ZN7rocprim17ROCPRIM_400000_NS6detail17trampoline_kernelINS0_14default_configENS1_35radix_sort_onesweep_config_selectorIsNS0_10empty_typeEEEZNS1_34radix_sort_onesweep_global_offsetsIS3_Lb1EPKsPS5_mNS0_19identity_decomposerEEE10hipError_tT1_T2_PT3_SF_jT4_jjP12ihipStream_tbEUlT_E_NS1_11comp_targetILNS1_3genE8ELNS1_11target_archE1030ELNS1_3gpuE2ELNS1_3repE0EEENS1_52radix_sort_onesweep_histogram_config_static_selectorELNS0_4arch9wavefront6targetE0EEEvSD_.has_indirect_call, 0
	.section	.AMDGPU.csdata,"",@progbits
; Kernel info:
; codeLenInByte = 0
; TotalNumSgprs: 0
; NumVgprs: 0
; ScratchSize: 0
; MemoryBound: 0
; FloatMode: 240
; IeeeMode: 1
; LDSByteSize: 0 bytes/workgroup (compile time only)
; SGPRBlocks: 0
; VGPRBlocks: 0
; NumSGPRsForWavesPerEU: 1
; NumVGPRsForWavesPerEU: 1
; NamedBarCnt: 0
; Occupancy: 16
; WaveLimiterHint : 0
; COMPUTE_PGM_RSRC2:SCRATCH_EN: 0
; COMPUTE_PGM_RSRC2:USER_SGPR: 2
; COMPUTE_PGM_RSRC2:TRAP_HANDLER: 0
; COMPUTE_PGM_RSRC2:TGID_X_EN: 1
; COMPUTE_PGM_RSRC2:TGID_Y_EN: 0
; COMPUTE_PGM_RSRC2:TGID_Z_EN: 0
; COMPUTE_PGM_RSRC2:TIDIG_COMP_CNT: 0
	.section	.text._ZN7rocprim17ROCPRIM_400000_NS6detail17trampoline_kernelINS0_14default_configENS1_35radix_sort_onesweep_config_selectorIsNS0_10empty_typeEEEZNS1_34radix_sort_onesweep_global_offsetsIS3_Lb1EPKsPS5_mNS0_19identity_decomposerEEE10hipError_tT1_T2_PT3_SF_jT4_jjP12ihipStream_tbEUlT_E0_NS1_11comp_targetILNS1_3genE0ELNS1_11target_archE4294967295ELNS1_3gpuE0ELNS1_3repE0EEENS1_52radix_sort_onesweep_histogram_config_static_selectorELNS0_4arch9wavefront6targetE0EEEvSD_,"axG",@progbits,_ZN7rocprim17ROCPRIM_400000_NS6detail17trampoline_kernelINS0_14default_configENS1_35radix_sort_onesweep_config_selectorIsNS0_10empty_typeEEEZNS1_34radix_sort_onesweep_global_offsetsIS3_Lb1EPKsPS5_mNS0_19identity_decomposerEEE10hipError_tT1_T2_PT3_SF_jT4_jjP12ihipStream_tbEUlT_E0_NS1_11comp_targetILNS1_3genE0ELNS1_11target_archE4294967295ELNS1_3gpuE0ELNS1_3repE0EEENS1_52radix_sort_onesweep_histogram_config_static_selectorELNS0_4arch9wavefront6targetE0EEEvSD_,comdat
	.protected	_ZN7rocprim17ROCPRIM_400000_NS6detail17trampoline_kernelINS0_14default_configENS1_35radix_sort_onesweep_config_selectorIsNS0_10empty_typeEEEZNS1_34radix_sort_onesweep_global_offsetsIS3_Lb1EPKsPS5_mNS0_19identity_decomposerEEE10hipError_tT1_T2_PT3_SF_jT4_jjP12ihipStream_tbEUlT_E0_NS1_11comp_targetILNS1_3genE0ELNS1_11target_archE4294967295ELNS1_3gpuE0ELNS1_3repE0EEENS1_52radix_sort_onesweep_histogram_config_static_selectorELNS0_4arch9wavefront6targetE0EEEvSD_ ; -- Begin function _ZN7rocprim17ROCPRIM_400000_NS6detail17trampoline_kernelINS0_14default_configENS1_35radix_sort_onesweep_config_selectorIsNS0_10empty_typeEEEZNS1_34radix_sort_onesweep_global_offsetsIS3_Lb1EPKsPS5_mNS0_19identity_decomposerEEE10hipError_tT1_T2_PT3_SF_jT4_jjP12ihipStream_tbEUlT_E0_NS1_11comp_targetILNS1_3genE0ELNS1_11target_archE4294967295ELNS1_3gpuE0ELNS1_3repE0EEENS1_52radix_sort_onesweep_histogram_config_static_selectorELNS0_4arch9wavefront6targetE0EEEvSD_
	.globl	_ZN7rocprim17ROCPRIM_400000_NS6detail17trampoline_kernelINS0_14default_configENS1_35radix_sort_onesweep_config_selectorIsNS0_10empty_typeEEEZNS1_34radix_sort_onesweep_global_offsetsIS3_Lb1EPKsPS5_mNS0_19identity_decomposerEEE10hipError_tT1_T2_PT3_SF_jT4_jjP12ihipStream_tbEUlT_E0_NS1_11comp_targetILNS1_3genE0ELNS1_11target_archE4294967295ELNS1_3gpuE0ELNS1_3repE0EEENS1_52radix_sort_onesweep_histogram_config_static_selectorELNS0_4arch9wavefront6targetE0EEEvSD_
	.p2align	8
	.type	_ZN7rocprim17ROCPRIM_400000_NS6detail17trampoline_kernelINS0_14default_configENS1_35radix_sort_onesweep_config_selectorIsNS0_10empty_typeEEEZNS1_34radix_sort_onesweep_global_offsetsIS3_Lb1EPKsPS5_mNS0_19identity_decomposerEEE10hipError_tT1_T2_PT3_SF_jT4_jjP12ihipStream_tbEUlT_E0_NS1_11comp_targetILNS1_3genE0ELNS1_11target_archE4294967295ELNS1_3gpuE0ELNS1_3repE0EEENS1_52radix_sort_onesweep_histogram_config_static_selectorELNS0_4arch9wavefront6targetE0EEEvSD_,@function
_ZN7rocprim17ROCPRIM_400000_NS6detail17trampoline_kernelINS0_14default_configENS1_35radix_sort_onesweep_config_selectorIsNS0_10empty_typeEEEZNS1_34radix_sort_onesweep_global_offsetsIS3_Lb1EPKsPS5_mNS0_19identity_decomposerEEE10hipError_tT1_T2_PT3_SF_jT4_jjP12ihipStream_tbEUlT_E0_NS1_11comp_targetILNS1_3genE0ELNS1_11target_archE4294967295ELNS1_3gpuE0ELNS1_3repE0EEENS1_52radix_sort_onesweep_histogram_config_static_selectorELNS0_4arch9wavefront6targetE0EEEvSD_: ; @_ZN7rocprim17ROCPRIM_400000_NS6detail17trampoline_kernelINS0_14default_configENS1_35radix_sort_onesweep_config_selectorIsNS0_10empty_typeEEEZNS1_34radix_sort_onesweep_global_offsetsIS3_Lb1EPKsPS5_mNS0_19identity_decomposerEEE10hipError_tT1_T2_PT3_SF_jT4_jjP12ihipStream_tbEUlT_E0_NS1_11comp_targetILNS1_3genE0ELNS1_11target_archE4294967295ELNS1_3gpuE0ELNS1_3repE0EEENS1_52radix_sort_onesweep_histogram_config_static_selectorELNS0_4arch9wavefront6targetE0EEEvSD_
; %bb.0:
	s_load_b64 s[0:1], s[0:1], 0x0
	s_bfe_u32 s2, ttmp6, 0x4000c
	s_and_b32 s3, ttmp6, 15
	s_add_co_i32 s2, s2, 1
	s_getreg_b32 s4, hwreg(HW_REG_IB_STS2, 6, 4)
	s_mul_i32 s2, ttmp9, s2
	v_cmp_gt_u32_e32 vcc_lo, 0x100, v0
	s_add_co_i32 s3, s3, s2
	s_cmp_eq_u32 s4, 0
                                        ; implicit-def: $vgpr2_vgpr3
	s_cselect_b32 s2, ttmp9, s3
	s_mov_b32 s3, 0
	s_lshl_b32 s2, s2, 8
	s_delay_alu instid0(SALU_CYCLE_1)
	s_lshl_b64 s[2:3], s[2:3], 3
	s_wait_kmcnt 0x0
	s_add_nc_u64 s[6:7], s[0:1], s[2:3]
	s_and_saveexec_b32 s0, vcc_lo
	s_cbranch_execz .LBB585_2
; %bb.1:
	global_load_b64 v[2:3], v0, s[6:7] scale_offset
.LBB585_2:
	s_wait_xcnt 0x0
	s_or_b32 exec_lo, exec_lo, s0
	v_mbcnt_lo_u32_b32 v1, -1, 0
	s_wait_loadcnt 0x0
	v_mov_b32_dpp v6, v2 row_shr:1 row_mask:0xf bank_mask:0xf
	v_mov_b32_dpp v9, v3 row_shr:1 row_mask:0xf bank_mask:0xf
	s_delay_alu instid0(VALU_DEP_3) | instskip(NEXT) | instid1(VALU_DEP_1)
	v_dual_mov_b32 v4, v2 :: v_dual_bitop2_b32 v10, 15, v1 bitop3:0x40
	v_cmp_ne_u32_e64 s0, 0, v10
	s_and_saveexec_b32 s1, s0
; %bb.3:
	v_mov_b32_e32 v8, 0
	s_delay_alu instid0(VALU_DEP_1) | instskip(NEXT) | instid1(VALU_DEP_1)
	v_mov_b32_e32 v7, v8
	v_add_nc_u64_e32 v[4:5], v[2:3], v[6:7]
	s_delay_alu instid0(VALU_DEP_1)
	v_add_nc_u64_e32 v[2:3], v[8:9], v[4:5]
; %bb.4:
	s_or_b32 exec_lo, exec_lo, s1
	v_mov_b32_dpp v6, v4 row_shr:2 row_mask:0xf bank_mask:0xf
	s_delay_alu instid0(VALU_DEP_2)
	v_mov_b32_dpp v9, v3 row_shr:2 row_mask:0xf bank_mask:0xf
	v_cmp_lt_u32_e64 s1, 1, v10
	s_and_saveexec_b32 s2, s1
; %bb.5:
	v_mov_b32_e32 v8, 0
	s_delay_alu instid0(VALU_DEP_1) | instskip(NEXT) | instid1(VALU_DEP_1)
	v_mov_b32_e32 v7, v8
	v_add_nc_u64_e32 v[4:5], v[2:3], v[6:7]
	s_delay_alu instid0(VALU_DEP_1)
	v_add_nc_u64_e32 v[2:3], v[8:9], v[4:5]
; %bb.6:
	s_or_b32 exec_lo, exec_lo, s2
	v_mov_b32_dpp v6, v4 row_shr:4 row_mask:0xf bank_mask:0xf
	s_delay_alu instid0(VALU_DEP_2)
	v_mov_b32_dpp v9, v3 row_shr:4 row_mask:0xf bank_mask:0xf
	v_cmp_lt_u32_e64 s2, 3, v10
	;; [unrolled: 14-line block ×3, first 2 shown]
	s_and_saveexec_b32 s4, s3
; %bb.9:
	v_mov_b32_e32 v8, 0
	s_delay_alu instid0(VALU_DEP_1) | instskip(NEXT) | instid1(VALU_DEP_1)
	v_mov_b32_e32 v7, v8
	v_add_nc_u64_e32 v[4:5], v[2:3], v[6:7]
	s_delay_alu instid0(VALU_DEP_1)
	v_add_nc_u64_e32 v[2:3], v[8:9], v[4:5]
; %bb.10:
	s_or_b32 exec_lo, exec_lo, s4
	ds_swizzle_b32 v4, v4 offset:swizzle(BROADCAST,32,15)
	ds_swizzle_b32 v7, v3 offset:swizzle(BROADCAST,32,15)
	v_and_b32_e32 v5, 16, v1
	s_mov_b32 s5, exec_lo
	s_delay_alu instid0(VALU_DEP_1)
	v_cmpx_ne_u32_e32 0, v5
	s_cbranch_execz .LBB585_12
; %bb.11:
	v_mov_b32_e32 v6, 0
	s_delay_alu instid0(VALU_DEP_1) | instskip(SKIP_1) | instid1(VALU_DEP_1)
	v_mov_b32_e32 v5, v6
	s_wait_dscnt 0x1
	v_add_nc_u64_e32 v[2:3], v[2:3], v[4:5]
	s_wait_dscnt 0x0
	s_delay_alu instid0(VALU_DEP_1)
	v_add_nc_u64_e32 v[2:3], v[2:3], v[6:7]
.LBB585_12:
	s_or_b32 exec_lo, exec_lo, s5
	s_wait_dscnt 0x1
	v_dual_lshrrev_b32 v12, 5, v0 :: v_dual_bitop2_b32 v4, 31, v0 bitop3:0x54
	s_mov_b32 s5, exec_lo
	s_delay_alu instid0(VALU_DEP_1)
	v_cmpx_eq_u32_e64 v0, v4
; %bb.13:
	s_delay_alu instid0(VALU_DEP_2)
	v_lshlrev_b32_e32 v4, 3, v12
	ds_store_b64 v4, v[2:3]
; %bb.14:
	s_or_b32 exec_lo, exec_lo, s5
	s_delay_alu instid0(SALU_CYCLE_1)
	s_mov_b32 s5, exec_lo
	s_wait_dscnt 0x0
	s_barrier_signal -1
	s_barrier_wait -1
	v_cmpx_gt_u32_e32 16, v0
	s_cbranch_execz .LBB585_24
; %bb.15:
	v_lshlrev_b32_e32 v13, 3, v0
	ds_load_b64 v[4:5], v13
	s_wait_dscnt 0x0
	v_mov_b32_dpp v8, v4 row_shr:1 row_mask:0xf bank_mask:0xf
	v_mov_b32_dpp v11, v5 row_shr:1 row_mask:0xf bank_mask:0xf
	v_mov_b32_e32 v6, v4
	s_and_saveexec_b32 s4, s0
; %bb.16:
	v_mov_b32_e32 v10, 0
	s_delay_alu instid0(VALU_DEP_1) | instskip(NEXT) | instid1(VALU_DEP_1)
	v_mov_b32_e32 v9, v10
	v_add_nc_u64_e32 v[6:7], v[4:5], v[8:9]
	s_delay_alu instid0(VALU_DEP_1)
	v_add_nc_u64_e32 v[4:5], v[10:11], v[6:7]
; %bb.17:
	s_or_b32 exec_lo, exec_lo, s4
	v_mov_b32_dpp v8, v6 row_shr:2 row_mask:0xf bank_mask:0xf
	s_delay_alu instid0(VALU_DEP_2)
	v_mov_b32_dpp v11, v5 row_shr:2 row_mask:0xf bank_mask:0xf
	s_and_saveexec_b32 s0, s1
; %bb.18:
	v_mov_b32_e32 v10, 0
	s_delay_alu instid0(VALU_DEP_1) | instskip(NEXT) | instid1(VALU_DEP_1)
	v_mov_b32_e32 v9, v10
	v_add_nc_u64_e32 v[6:7], v[4:5], v[8:9]
	s_delay_alu instid0(VALU_DEP_1)
	v_add_nc_u64_e32 v[4:5], v[10:11], v[6:7]
; %bb.19:
	s_or_b32 exec_lo, exec_lo, s0
	v_mov_b32_dpp v8, v6 row_shr:4 row_mask:0xf bank_mask:0xf
	s_delay_alu instid0(VALU_DEP_2)
	v_mov_b32_dpp v11, v5 row_shr:4 row_mask:0xf bank_mask:0xf
	;; [unrolled: 13-line block ×3, first 2 shown]
	s_and_saveexec_b32 s0, s3
; %bb.22:
	v_mov_b32_e32 v8, 0
	s_delay_alu instid0(VALU_DEP_1) | instskip(NEXT) | instid1(VALU_DEP_1)
	v_mov_b32_e32 v7, v8
	v_add_nc_u64_e32 v[4:5], v[4:5], v[6:7]
	s_delay_alu instid0(VALU_DEP_1)
	v_add_nc_u64_e32 v[4:5], v[4:5], v[8:9]
; %bb.23:
	s_or_b32 exec_lo, exec_lo, s0
	ds_store_b64 v13, v[4:5]
.LBB585_24:
	s_or_b32 exec_lo, exec_lo, s5
	v_mov_b64_e32 v[4:5], 0
	s_mov_b32 s1, exec_lo
	s_wait_dscnt 0x0
	s_barrier_signal -1
	s_barrier_wait -1
	v_cmpx_lt_u32_e32 31, v0
; %bb.25:
	v_lshl_add_u32 v4, v12, 3, -8
	ds_load_b64 v[4:5], v4
; %bb.26:
	s_or_b32 exec_lo, exec_lo, s1
	v_add_nc_u32_e32 v6, -1, v1
	s_wait_dscnt 0x0
	v_add_nc_u64_e32 v[2:3], v[4:5], v[2:3]
	s_delay_alu instid0(VALU_DEP_2) | instskip(NEXT) | instid1(VALU_DEP_1)
	v_cmp_gt_i32_e64 s0, 0, v6
	v_cndmask_b32_e64 v6, v6, v1, s0
	s_delay_alu instid0(VALU_DEP_1)
	v_lshlrev_b32_e32 v6, 2, v6
	ds_bpermute_b32 v2, v6, v2
	ds_bpermute_b32 v3, v6, v3
	s_and_saveexec_b32 s0, vcc_lo
	s_cbranch_execz .LBB585_28
; %bb.27:
	v_cmp_eq_u32_e32 vcc_lo, 0, v1
	s_wait_dscnt 0x0
	v_dual_cndmask_b32 v3, v3, v5 :: v_dual_cndmask_b32 v2, v2, v4
	global_store_b64 v0, v[2:3], s[6:7] scale_offset
.LBB585_28:
	s_endpgm
	.section	.rodata,"a",@progbits
	.p2align	6, 0x0
	.amdhsa_kernel _ZN7rocprim17ROCPRIM_400000_NS6detail17trampoline_kernelINS0_14default_configENS1_35radix_sort_onesweep_config_selectorIsNS0_10empty_typeEEEZNS1_34radix_sort_onesweep_global_offsetsIS3_Lb1EPKsPS5_mNS0_19identity_decomposerEEE10hipError_tT1_T2_PT3_SF_jT4_jjP12ihipStream_tbEUlT_E0_NS1_11comp_targetILNS1_3genE0ELNS1_11target_archE4294967295ELNS1_3gpuE0ELNS1_3repE0EEENS1_52radix_sort_onesweep_histogram_config_static_selectorELNS0_4arch9wavefront6targetE0EEEvSD_
		.amdhsa_group_segment_fixed_size 128
		.amdhsa_private_segment_fixed_size 0
		.amdhsa_kernarg_size 8
		.amdhsa_user_sgpr_count 2
		.amdhsa_user_sgpr_dispatch_ptr 0
		.amdhsa_user_sgpr_queue_ptr 0
		.amdhsa_user_sgpr_kernarg_segment_ptr 1
		.amdhsa_user_sgpr_dispatch_id 0
		.amdhsa_user_sgpr_kernarg_preload_length 0
		.amdhsa_user_sgpr_kernarg_preload_offset 0
		.amdhsa_user_sgpr_private_segment_size 0
		.amdhsa_wavefront_size32 1
		.amdhsa_uses_dynamic_stack 0
		.amdhsa_enable_private_segment 0
		.amdhsa_system_sgpr_workgroup_id_x 1
		.amdhsa_system_sgpr_workgroup_id_y 0
		.amdhsa_system_sgpr_workgroup_id_z 0
		.amdhsa_system_sgpr_workgroup_info 0
		.amdhsa_system_vgpr_workitem_id 0
		.amdhsa_next_free_vgpr 14
		.amdhsa_next_free_sgpr 8
		.amdhsa_named_barrier_count 0
		.amdhsa_reserve_vcc 1
		.amdhsa_float_round_mode_32 0
		.amdhsa_float_round_mode_16_64 0
		.amdhsa_float_denorm_mode_32 3
		.amdhsa_float_denorm_mode_16_64 3
		.amdhsa_fp16_overflow 0
		.amdhsa_memory_ordered 1
		.amdhsa_forward_progress 1
		.amdhsa_inst_pref_size 7
		.amdhsa_round_robin_scheduling 0
		.amdhsa_exception_fp_ieee_invalid_op 0
		.amdhsa_exception_fp_denorm_src 0
		.amdhsa_exception_fp_ieee_div_zero 0
		.amdhsa_exception_fp_ieee_overflow 0
		.amdhsa_exception_fp_ieee_underflow 0
		.amdhsa_exception_fp_ieee_inexact 0
		.amdhsa_exception_int_div_zero 0
	.end_amdhsa_kernel
	.section	.text._ZN7rocprim17ROCPRIM_400000_NS6detail17trampoline_kernelINS0_14default_configENS1_35radix_sort_onesweep_config_selectorIsNS0_10empty_typeEEEZNS1_34radix_sort_onesweep_global_offsetsIS3_Lb1EPKsPS5_mNS0_19identity_decomposerEEE10hipError_tT1_T2_PT3_SF_jT4_jjP12ihipStream_tbEUlT_E0_NS1_11comp_targetILNS1_3genE0ELNS1_11target_archE4294967295ELNS1_3gpuE0ELNS1_3repE0EEENS1_52radix_sort_onesweep_histogram_config_static_selectorELNS0_4arch9wavefront6targetE0EEEvSD_,"axG",@progbits,_ZN7rocprim17ROCPRIM_400000_NS6detail17trampoline_kernelINS0_14default_configENS1_35radix_sort_onesweep_config_selectorIsNS0_10empty_typeEEEZNS1_34radix_sort_onesweep_global_offsetsIS3_Lb1EPKsPS5_mNS0_19identity_decomposerEEE10hipError_tT1_T2_PT3_SF_jT4_jjP12ihipStream_tbEUlT_E0_NS1_11comp_targetILNS1_3genE0ELNS1_11target_archE4294967295ELNS1_3gpuE0ELNS1_3repE0EEENS1_52radix_sort_onesweep_histogram_config_static_selectorELNS0_4arch9wavefront6targetE0EEEvSD_,comdat
.Lfunc_end585:
	.size	_ZN7rocprim17ROCPRIM_400000_NS6detail17trampoline_kernelINS0_14default_configENS1_35radix_sort_onesweep_config_selectorIsNS0_10empty_typeEEEZNS1_34radix_sort_onesweep_global_offsetsIS3_Lb1EPKsPS5_mNS0_19identity_decomposerEEE10hipError_tT1_T2_PT3_SF_jT4_jjP12ihipStream_tbEUlT_E0_NS1_11comp_targetILNS1_3genE0ELNS1_11target_archE4294967295ELNS1_3gpuE0ELNS1_3repE0EEENS1_52radix_sort_onesweep_histogram_config_static_selectorELNS0_4arch9wavefront6targetE0EEEvSD_, .Lfunc_end585-_ZN7rocprim17ROCPRIM_400000_NS6detail17trampoline_kernelINS0_14default_configENS1_35radix_sort_onesweep_config_selectorIsNS0_10empty_typeEEEZNS1_34radix_sort_onesweep_global_offsetsIS3_Lb1EPKsPS5_mNS0_19identity_decomposerEEE10hipError_tT1_T2_PT3_SF_jT4_jjP12ihipStream_tbEUlT_E0_NS1_11comp_targetILNS1_3genE0ELNS1_11target_archE4294967295ELNS1_3gpuE0ELNS1_3repE0EEENS1_52radix_sort_onesweep_histogram_config_static_selectorELNS0_4arch9wavefront6targetE0EEEvSD_
                                        ; -- End function
	.set _ZN7rocprim17ROCPRIM_400000_NS6detail17trampoline_kernelINS0_14default_configENS1_35radix_sort_onesweep_config_selectorIsNS0_10empty_typeEEEZNS1_34radix_sort_onesweep_global_offsetsIS3_Lb1EPKsPS5_mNS0_19identity_decomposerEEE10hipError_tT1_T2_PT3_SF_jT4_jjP12ihipStream_tbEUlT_E0_NS1_11comp_targetILNS1_3genE0ELNS1_11target_archE4294967295ELNS1_3gpuE0ELNS1_3repE0EEENS1_52radix_sort_onesweep_histogram_config_static_selectorELNS0_4arch9wavefront6targetE0EEEvSD_.num_vgpr, 14
	.set _ZN7rocprim17ROCPRIM_400000_NS6detail17trampoline_kernelINS0_14default_configENS1_35radix_sort_onesweep_config_selectorIsNS0_10empty_typeEEEZNS1_34radix_sort_onesweep_global_offsetsIS3_Lb1EPKsPS5_mNS0_19identity_decomposerEEE10hipError_tT1_T2_PT3_SF_jT4_jjP12ihipStream_tbEUlT_E0_NS1_11comp_targetILNS1_3genE0ELNS1_11target_archE4294967295ELNS1_3gpuE0ELNS1_3repE0EEENS1_52radix_sort_onesweep_histogram_config_static_selectorELNS0_4arch9wavefront6targetE0EEEvSD_.num_agpr, 0
	.set _ZN7rocprim17ROCPRIM_400000_NS6detail17trampoline_kernelINS0_14default_configENS1_35radix_sort_onesweep_config_selectorIsNS0_10empty_typeEEEZNS1_34radix_sort_onesweep_global_offsetsIS3_Lb1EPKsPS5_mNS0_19identity_decomposerEEE10hipError_tT1_T2_PT3_SF_jT4_jjP12ihipStream_tbEUlT_E0_NS1_11comp_targetILNS1_3genE0ELNS1_11target_archE4294967295ELNS1_3gpuE0ELNS1_3repE0EEENS1_52radix_sort_onesweep_histogram_config_static_selectorELNS0_4arch9wavefront6targetE0EEEvSD_.numbered_sgpr, 8
	.set _ZN7rocprim17ROCPRIM_400000_NS6detail17trampoline_kernelINS0_14default_configENS1_35radix_sort_onesweep_config_selectorIsNS0_10empty_typeEEEZNS1_34radix_sort_onesweep_global_offsetsIS3_Lb1EPKsPS5_mNS0_19identity_decomposerEEE10hipError_tT1_T2_PT3_SF_jT4_jjP12ihipStream_tbEUlT_E0_NS1_11comp_targetILNS1_3genE0ELNS1_11target_archE4294967295ELNS1_3gpuE0ELNS1_3repE0EEENS1_52radix_sort_onesweep_histogram_config_static_selectorELNS0_4arch9wavefront6targetE0EEEvSD_.num_named_barrier, 0
	.set _ZN7rocprim17ROCPRIM_400000_NS6detail17trampoline_kernelINS0_14default_configENS1_35radix_sort_onesweep_config_selectorIsNS0_10empty_typeEEEZNS1_34radix_sort_onesweep_global_offsetsIS3_Lb1EPKsPS5_mNS0_19identity_decomposerEEE10hipError_tT1_T2_PT3_SF_jT4_jjP12ihipStream_tbEUlT_E0_NS1_11comp_targetILNS1_3genE0ELNS1_11target_archE4294967295ELNS1_3gpuE0ELNS1_3repE0EEENS1_52radix_sort_onesweep_histogram_config_static_selectorELNS0_4arch9wavefront6targetE0EEEvSD_.private_seg_size, 0
	.set _ZN7rocprim17ROCPRIM_400000_NS6detail17trampoline_kernelINS0_14default_configENS1_35radix_sort_onesweep_config_selectorIsNS0_10empty_typeEEEZNS1_34radix_sort_onesweep_global_offsetsIS3_Lb1EPKsPS5_mNS0_19identity_decomposerEEE10hipError_tT1_T2_PT3_SF_jT4_jjP12ihipStream_tbEUlT_E0_NS1_11comp_targetILNS1_3genE0ELNS1_11target_archE4294967295ELNS1_3gpuE0ELNS1_3repE0EEENS1_52radix_sort_onesweep_histogram_config_static_selectorELNS0_4arch9wavefront6targetE0EEEvSD_.uses_vcc, 1
	.set _ZN7rocprim17ROCPRIM_400000_NS6detail17trampoline_kernelINS0_14default_configENS1_35radix_sort_onesweep_config_selectorIsNS0_10empty_typeEEEZNS1_34radix_sort_onesweep_global_offsetsIS3_Lb1EPKsPS5_mNS0_19identity_decomposerEEE10hipError_tT1_T2_PT3_SF_jT4_jjP12ihipStream_tbEUlT_E0_NS1_11comp_targetILNS1_3genE0ELNS1_11target_archE4294967295ELNS1_3gpuE0ELNS1_3repE0EEENS1_52radix_sort_onesweep_histogram_config_static_selectorELNS0_4arch9wavefront6targetE0EEEvSD_.uses_flat_scratch, 0
	.set _ZN7rocprim17ROCPRIM_400000_NS6detail17trampoline_kernelINS0_14default_configENS1_35radix_sort_onesweep_config_selectorIsNS0_10empty_typeEEEZNS1_34radix_sort_onesweep_global_offsetsIS3_Lb1EPKsPS5_mNS0_19identity_decomposerEEE10hipError_tT1_T2_PT3_SF_jT4_jjP12ihipStream_tbEUlT_E0_NS1_11comp_targetILNS1_3genE0ELNS1_11target_archE4294967295ELNS1_3gpuE0ELNS1_3repE0EEENS1_52radix_sort_onesweep_histogram_config_static_selectorELNS0_4arch9wavefront6targetE0EEEvSD_.has_dyn_sized_stack, 0
	.set _ZN7rocprim17ROCPRIM_400000_NS6detail17trampoline_kernelINS0_14default_configENS1_35radix_sort_onesweep_config_selectorIsNS0_10empty_typeEEEZNS1_34radix_sort_onesweep_global_offsetsIS3_Lb1EPKsPS5_mNS0_19identity_decomposerEEE10hipError_tT1_T2_PT3_SF_jT4_jjP12ihipStream_tbEUlT_E0_NS1_11comp_targetILNS1_3genE0ELNS1_11target_archE4294967295ELNS1_3gpuE0ELNS1_3repE0EEENS1_52radix_sort_onesweep_histogram_config_static_selectorELNS0_4arch9wavefront6targetE0EEEvSD_.has_recursion, 0
	.set _ZN7rocprim17ROCPRIM_400000_NS6detail17trampoline_kernelINS0_14default_configENS1_35radix_sort_onesweep_config_selectorIsNS0_10empty_typeEEEZNS1_34radix_sort_onesweep_global_offsetsIS3_Lb1EPKsPS5_mNS0_19identity_decomposerEEE10hipError_tT1_T2_PT3_SF_jT4_jjP12ihipStream_tbEUlT_E0_NS1_11comp_targetILNS1_3genE0ELNS1_11target_archE4294967295ELNS1_3gpuE0ELNS1_3repE0EEENS1_52radix_sort_onesweep_histogram_config_static_selectorELNS0_4arch9wavefront6targetE0EEEvSD_.has_indirect_call, 0
	.section	.AMDGPU.csdata,"",@progbits
; Kernel info:
; codeLenInByte = 896
; TotalNumSgprs: 10
; NumVgprs: 14
; ScratchSize: 0
; MemoryBound: 0
; FloatMode: 240
; IeeeMode: 1
; LDSByteSize: 128 bytes/workgroup (compile time only)
; SGPRBlocks: 0
; VGPRBlocks: 0
; NumSGPRsForWavesPerEU: 10
; NumVGPRsForWavesPerEU: 14
; NamedBarCnt: 0
; Occupancy: 16
; WaveLimiterHint : 0
; COMPUTE_PGM_RSRC2:SCRATCH_EN: 0
; COMPUTE_PGM_RSRC2:USER_SGPR: 2
; COMPUTE_PGM_RSRC2:TRAP_HANDLER: 0
; COMPUTE_PGM_RSRC2:TGID_X_EN: 1
; COMPUTE_PGM_RSRC2:TGID_Y_EN: 0
; COMPUTE_PGM_RSRC2:TGID_Z_EN: 0
; COMPUTE_PGM_RSRC2:TIDIG_COMP_CNT: 0
	.section	.text._ZN7rocprim17ROCPRIM_400000_NS6detail17trampoline_kernelINS0_14default_configENS1_35radix_sort_onesweep_config_selectorIsNS0_10empty_typeEEEZNS1_34radix_sort_onesweep_global_offsetsIS3_Lb1EPKsPS5_mNS0_19identity_decomposerEEE10hipError_tT1_T2_PT3_SF_jT4_jjP12ihipStream_tbEUlT_E0_NS1_11comp_targetILNS1_3genE6ELNS1_11target_archE950ELNS1_3gpuE13ELNS1_3repE0EEENS1_52radix_sort_onesweep_histogram_config_static_selectorELNS0_4arch9wavefront6targetE0EEEvSD_,"axG",@progbits,_ZN7rocprim17ROCPRIM_400000_NS6detail17trampoline_kernelINS0_14default_configENS1_35radix_sort_onesweep_config_selectorIsNS0_10empty_typeEEEZNS1_34radix_sort_onesweep_global_offsetsIS3_Lb1EPKsPS5_mNS0_19identity_decomposerEEE10hipError_tT1_T2_PT3_SF_jT4_jjP12ihipStream_tbEUlT_E0_NS1_11comp_targetILNS1_3genE6ELNS1_11target_archE950ELNS1_3gpuE13ELNS1_3repE0EEENS1_52radix_sort_onesweep_histogram_config_static_selectorELNS0_4arch9wavefront6targetE0EEEvSD_,comdat
	.protected	_ZN7rocprim17ROCPRIM_400000_NS6detail17trampoline_kernelINS0_14default_configENS1_35radix_sort_onesweep_config_selectorIsNS0_10empty_typeEEEZNS1_34radix_sort_onesweep_global_offsetsIS3_Lb1EPKsPS5_mNS0_19identity_decomposerEEE10hipError_tT1_T2_PT3_SF_jT4_jjP12ihipStream_tbEUlT_E0_NS1_11comp_targetILNS1_3genE6ELNS1_11target_archE950ELNS1_3gpuE13ELNS1_3repE0EEENS1_52radix_sort_onesweep_histogram_config_static_selectorELNS0_4arch9wavefront6targetE0EEEvSD_ ; -- Begin function _ZN7rocprim17ROCPRIM_400000_NS6detail17trampoline_kernelINS0_14default_configENS1_35radix_sort_onesweep_config_selectorIsNS0_10empty_typeEEEZNS1_34radix_sort_onesweep_global_offsetsIS3_Lb1EPKsPS5_mNS0_19identity_decomposerEEE10hipError_tT1_T2_PT3_SF_jT4_jjP12ihipStream_tbEUlT_E0_NS1_11comp_targetILNS1_3genE6ELNS1_11target_archE950ELNS1_3gpuE13ELNS1_3repE0EEENS1_52radix_sort_onesweep_histogram_config_static_selectorELNS0_4arch9wavefront6targetE0EEEvSD_
	.globl	_ZN7rocprim17ROCPRIM_400000_NS6detail17trampoline_kernelINS0_14default_configENS1_35radix_sort_onesweep_config_selectorIsNS0_10empty_typeEEEZNS1_34radix_sort_onesweep_global_offsetsIS3_Lb1EPKsPS5_mNS0_19identity_decomposerEEE10hipError_tT1_T2_PT3_SF_jT4_jjP12ihipStream_tbEUlT_E0_NS1_11comp_targetILNS1_3genE6ELNS1_11target_archE950ELNS1_3gpuE13ELNS1_3repE0EEENS1_52radix_sort_onesweep_histogram_config_static_selectorELNS0_4arch9wavefront6targetE0EEEvSD_
	.p2align	8
	.type	_ZN7rocprim17ROCPRIM_400000_NS6detail17trampoline_kernelINS0_14default_configENS1_35radix_sort_onesweep_config_selectorIsNS0_10empty_typeEEEZNS1_34radix_sort_onesweep_global_offsetsIS3_Lb1EPKsPS5_mNS0_19identity_decomposerEEE10hipError_tT1_T2_PT3_SF_jT4_jjP12ihipStream_tbEUlT_E0_NS1_11comp_targetILNS1_3genE6ELNS1_11target_archE950ELNS1_3gpuE13ELNS1_3repE0EEENS1_52radix_sort_onesweep_histogram_config_static_selectorELNS0_4arch9wavefront6targetE0EEEvSD_,@function
_ZN7rocprim17ROCPRIM_400000_NS6detail17trampoline_kernelINS0_14default_configENS1_35radix_sort_onesweep_config_selectorIsNS0_10empty_typeEEEZNS1_34radix_sort_onesweep_global_offsetsIS3_Lb1EPKsPS5_mNS0_19identity_decomposerEEE10hipError_tT1_T2_PT3_SF_jT4_jjP12ihipStream_tbEUlT_E0_NS1_11comp_targetILNS1_3genE6ELNS1_11target_archE950ELNS1_3gpuE13ELNS1_3repE0EEENS1_52radix_sort_onesweep_histogram_config_static_selectorELNS0_4arch9wavefront6targetE0EEEvSD_: ; @_ZN7rocprim17ROCPRIM_400000_NS6detail17trampoline_kernelINS0_14default_configENS1_35radix_sort_onesweep_config_selectorIsNS0_10empty_typeEEEZNS1_34radix_sort_onesweep_global_offsetsIS3_Lb1EPKsPS5_mNS0_19identity_decomposerEEE10hipError_tT1_T2_PT3_SF_jT4_jjP12ihipStream_tbEUlT_E0_NS1_11comp_targetILNS1_3genE6ELNS1_11target_archE950ELNS1_3gpuE13ELNS1_3repE0EEENS1_52radix_sort_onesweep_histogram_config_static_selectorELNS0_4arch9wavefront6targetE0EEEvSD_
; %bb.0:
	.section	.rodata,"a",@progbits
	.p2align	6, 0x0
	.amdhsa_kernel _ZN7rocprim17ROCPRIM_400000_NS6detail17trampoline_kernelINS0_14default_configENS1_35radix_sort_onesweep_config_selectorIsNS0_10empty_typeEEEZNS1_34radix_sort_onesweep_global_offsetsIS3_Lb1EPKsPS5_mNS0_19identity_decomposerEEE10hipError_tT1_T2_PT3_SF_jT4_jjP12ihipStream_tbEUlT_E0_NS1_11comp_targetILNS1_3genE6ELNS1_11target_archE950ELNS1_3gpuE13ELNS1_3repE0EEENS1_52radix_sort_onesweep_histogram_config_static_selectorELNS0_4arch9wavefront6targetE0EEEvSD_
		.amdhsa_group_segment_fixed_size 0
		.amdhsa_private_segment_fixed_size 0
		.amdhsa_kernarg_size 8
		.amdhsa_user_sgpr_count 2
		.amdhsa_user_sgpr_dispatch_ptr 0
		.amdhsa_user_sgpr_queue_ptr 0
		.amdhsa_user_sgpr_kernarg_segment_ptr 1
		.amdhsa_user_sgpr_dispatch_id 0
		.amdhsa_user_sgpr_kernarg_preload_length 0
		.amdhsa_user_sgpr_kernarg_preload_offset 0
		.amdhsa_user_sgpr_private_segment_size 0
		.amdhsa_wavefront_size32 1
		.amdhsa_uses_dynamic_stack 0
		.amdhsa_enable_private_segment 0
		.amdhsa_system_sgpr_workgroup_id_x 1
		.amdhsa_system_sgpr_workgroup_id_y 0
		.amdhsa_system_sgpr_workgroup_id_z 0
		.amdhsa_system_sgpr_workgroup_info 0
		.amdhsa_system_vgpr_workitem_id 0
		.amdhsa_next_free_vgpr 1
		.amdhsa_next_free_sgpr 1
		.amdhsa_named_barrier_count 0
		.amdhsa_reserve_vcc 0
		.amdhsa_float_round_mode_32 0
		.amdhsa_float_round_mode_16_64 0
		.amdhsa_float_denorm_mode_32 3
		.amdhsa_float_denorm_mode_16_64 3
		.amdhsa_fp16_overflow 0
		.amdhsa_memory_ordered 1
		.amdhsa_forward_progress 1
		.amdhsa_inst_pref_size 0
		.amdhsa_round_robin_scheduling 0
		.amdhsa_exception_fp_ieee_invalid_op 0
		.amdhsa_exception_fp_denorm_src 0
		.amdhsa_exception_fp_ieee_div_zero 0
		.amdhsa_exception_fp_ieee_overflow 0
		.amdhsa_exception_fp_ieee_underflow 0
		.amdhsa_exception_fp_ieee_inexact 0
		.amdhsa_exception_int_div_zero 0
	.end_amdhsa_kernel
	.section	.text._ZN7rocprim17ROCPRIM_400000_NS6detail17trampoline_kernelINS0_14default_configENS1_35radix_sort_onesweep_config_selectorIsNS0_10empty_typeEEEZNS1_34radix_sort_onesweep_global_offsetsIS3_Lb1EPKsPS5_mNS0_19identity_decomposerEEE10hipError_tT1_T2_PT3_SF_jT4_jjP12ihipStream_tbEUlT_E0_NS1_11comp_targetILNS1_3genE6ELNS1_11target_archE950ELNS1_3gpuE13ELNS1_3repE0EEENS1_52radix_sort_onesweep_histogram_config_static_selectorELNS0_4arch9wavefront6targetE0EEEvSD_,"axG",@progbits,_ZN7rocprim17ROCPRIM_400000_NS6detail17trampoline_kernelINS0_14default_configENS1_35radix_sort_onesweep_config_selectorIsNS0_10empty_typeEEEZNS1_34radix_sort_onesweep_global_offsetsIS3_Lb1EPKsPS5_mNS0_19identity_decomposerEEE10hipError_tT1_T2_PT3_SF_jT4_jjP12ihipStream_tbEUlT_E0_NS1_11comp_targetILNS1_3genE6ELNS1_11target_archE950ELNS1_3gpuE13ELNS1_3repE0EEENS1_52radix_sort_onesweep_histogram_config_static_selectorELNS0_4arch9wavefront6targetE0EEEvSD_,comdat
.Lfunc_end586:
	.size	_ZN7rocprim17ROCPRIM_400000_NS6detail17trampoline_kernelINS0_14default_configENS1_35radix_sort_onesweep_config_selectorIsNS0_10empty_typeEEEZNS1_34radix_sort_onesweep_global_offsetsIS3_Lb1EPKsPS5_mNS0_19identity_decomposerEEE10hipError_tT1_T2_PT3_SF_jT4_jjP12ihipStream_tbEUlT_E0_NS1_11comp_targetILNS1_3genE6ELNS1_11target_archE950ELNS1_3gpuE13ELNS1_3repE0EEENS1_52radix_sort_onesweep_histogram_config_static_selectorELNS0_4arch9wavefront6targetE0EEEvSD_, .Lfunc_end586-_ZN7rocprim17ROCPRIM_400000_NS6detail17trampoline_kernelINS0_14default_configENS1_35radix_sort_onesweep_config_selectorIsNS0_10empty_typeEEEZNS1_34radix_sort_onesweep_global_offsetsIS3_Lb1EPKsPS5_mNS0_19identity_decomposerEEE10hipError_tT1_T2_PT3_SF_jT4_jjP12ihipStream_tbEUlT_E0_NS1_11comp_targetILNS1_3genE6ELNS1_11target_archE950ELNS1_3gpuE13ELNS1_3repE0EEENS1_52radix_sort_onesweep_histogram_config_static_selectorELNS0_4arch9wavefront6targetE0EEEvSD_
                                        ; -- End function
	.set _ZN7rocprim17ROCPRIM_400000_NS6detail17trampoline_kernelINS0_14default_configENS1_35radix_sort_onesweep_config_selectorIsNS0_10empty_typeEEEZNS1_34radix_sort_onesweep_global_offsetsIS3_Lb1EPKsPS5_mNS0_19identity_decomposerEEE10hipError_tT1_T2_PT3_SF_jT4_jjP12ihipStream_tbEUlT_E0_NS1_11comp_targetILNS1_3genE6ELNS1_11target_archE950ELNS1_3gpuE13ELNS1_3repE0EEENS1_52radix_sort_onesweep_histogram_config_static_selectorELNS0_4arch9wavefront6targetE0EEEvSD_.num_vgpr, 0
	.set _ZN7rocprim17ROCPRIM_400000_NS6detail17trampoline_kernelINS0_14default_configENS1_35radix_sort_onesweep_config_selectorIsNS0_10empty_typeEEEZNS1_34radix_sort_onesweep_global_offsetsIS3_Lb1EPKsPS5_mNS0_19identity_decomposerEEE10hipError_tT1_T2_PT3_SF_jT4_jjP12ihipStream_tbEUlT_E0_NS1_11comp_targetILNS1_3genE6ELNS1_11target_archE950ELNS1_3gpuE13ELNS1_3repE0EEENS1_52radix_sort_onesweep_histogram_config_static_selectorELNS0_4arch9wavefront6targetE0EEEvSD_.num_agpr, 0
	.set _ZN7rocprim17ROCPRIM_400000_NS6detail17trampoline_kernelINS0_14default_configENS1_35radix_sort_onesweep_config_selectorIsNS0_10empty_typeEEEZNS1_34radix_sort_onesweep_global_offsetsIS3_Lb1EPKsPS5_mNS0_19identity_decomposerEEE10hipError_tT1_T2_PT3_SF_jT4_jjP12ihipStream_tbEUlT_E0_NS1_11comp_targetILNS1_3genE6ELNS1_11target_archE950ELNS1_3gpuE13ELNS1_3repE0EEENS1_52radix_sort_onesweep_histogram_config_static_selectorELNS0_4arch9wavefront6targetE0EEEvSD_.numbered_sgpr, 0
	.set _ZN7rocprim17ROCPRIM_400000_NS6detail17trampoline_kernelINS0_14default_configENS1_35radix_sort_onesweep_config_selectorIsNS0_10empty_typeEEEZNS1_34radix_sort_onesweep_global_offsetsIS3_Lb1EPKsPS5_mNS0_19identity_decomposerEEE10hipError_tT1_T2_PT3_SF_jT4_jjP12ihipStream_tbEUlT_E0_NS1_11comp_targetILNS1_3genE6ELNS1_11target_archE950ELNS1_3gpuE13ELNS1_3repE0EEENS1_52radix_sort_onesweep_histogram_config_static_selectorELNS0_4arch9wavefront6targetE0EEEvSD_.num_named_barrier, 0
	.set _ZN7rocprim17ROCPRIM_400000_NS6detail17trampoline_kernelINS0_14default_configENS1_35radix_sort_onesweep_config_selectorIsNS0_10empty_typeEEEZNS1_34radix_sort_onesweep_global_offsetsIS3_Lb1EPKsPS5_mNS0_19identity_decomposerEEE10hipError_tT1_T2_PT3_SF_jT4_jjP12ihipStream_tbEUlT_E0_NS1_11comp_targetILNS1_3genE6ELNS1_11target_archE950ELNS1_3gpuE13ELNS1_3repE0EEENS1_52radix_sort_onesweep_histogram_config_static_selectorELNS0_4arch9wavefront6targetE0EEEvSD_.private_seg_size, 0
	.set _ZN7rocprim17ROCPRIM_400000_NS6detail17trampoline_kernelINS0_14default_configENS1_35radix_sort_onesweep_config_selectorIsNS0_10empty_typeEEEZNS1_34radix_sort_onesweep_global_offsetsIS3_Lb1EPKsPS5_mNS0_19identity_decomposerEEE10hipError_tT1_T2_PT3_SF_jT4_jjP12ihipStream_tbEUlT_E0_NS1_11comp_targetILNS1_3genE6ELNS1_11target_archE950ELNS1_3gpuE13ELNS1_3repE0EEENS1_52radix_sort_onesweep_histogram_config_static_selectorELNS0_4arch9wavefront6targetE0EEEvSD_.uses_vcc, 0
	.set _ZN7rocprim17ROCPRIM_400000_NS6detail17trampoline_kernelINS0_14default_configENS1_35radix_sort_onesweep_config_selectorIsNS0_10empty_typeEEEZNS1_34radix_sort_onesweep_global_offsetsIS3_Lb1EPKsPS5_mNS0_19identity_decomposerEEE10hipError_tT1_T2_PT3_SF_jT4_jjP12ihipStream_tbEUlT_E0_NS1_11comp_targetILNS1_3genE6ELNS1_11target_archE950ELNS1_3gpuE13ELNS1_3repE0EEENS1_52radix_sort_onesweep_histogram_config_static_selectorELNS0_4arch9wavefront6targetE0EEEvSD_.uses_flat_scratch, 0
	.set _ZN7rocprim17ROCPRIM_400000_NS6detail17trampoline_kernelINS0_14default_configENS1_35radix_sort_onesweep_config_selectorIsNS0_10empty_typeEEEZNS1_34radix_sort_onesweep_global_offsetsIS3_Lb1EPKsPS5_mNS0_19identity_decomposerEEE10hipError_tT1_T2_PT3_SF_jT4_jjP12ihipStream_tbEUlT_E0_NS1_11comp_targetILNS1_3genE6ELNS1_11target_archE950ELNS1_3gpuE13ELNS1_3repE0EEENS1_52radix_sort_onesweep_histogram_config_static_selectorELNS0_4arch9wavefront6targetE0EEEvSD_.has_dyn_sized_stack, 0
	.set _ZN7rocprim17ROCPRIM_400000_NS6detail17trampoline_kernelINS0_14default_configENS1_35radix_sort_onesweep_config_selectorIsNS0_10empty_typeEEEZNS1_34radix_sort_onesweep_global_offsetsIS3_Lb1EPKsPS5_mNS0_19identity_decomposerEEE10hipError_tT1_T2_PT3_SF_jT4_jjP12ihipStream_tbEUlT_E0_NS1_11comp_targetILNS1_3genE6ELNS1_11target_archE950ELNS1_3gpuE13ELNS1_3repE0EEENS1_52radix_sort_onesweep_histogram_config_static_selectorELNS0_4arch9wavefront6targetE0EEEvSD_.has_recursion, 0
	.set _ZN7rocprim17ROCPRIM_400000_NS6detail17trampoline_kernelINS0_14default_configENS1_35radix_sort_onesweep_config_selectorIsNS0_10empty_typeEEEZNS1_34radix_sort_onesweep_global_offsetsIS3_Lb1EPKsPS5_mNS0_19identity_decomposerEEE10hipError_tT1_T2_PT3_SF_jT4_jjP12ihipStream_tbEUlT_E0_NS1_11comp_targetILNS1_3genE6ELNS1_11target_archE950ELNS1_3gpuE13ELNS1_3repE0EEENS1_52radix_sort_onesweep_histogram_config_static_selectorELNS0_4arch9wavefront6targetE0EEEvSD_.has_indirect_call, 0
	.section	.AMDGPU.csdata,"",@progbits
; Kernel info:
; codeLenInByte = 0
; TotalNumSgprs: 0
; NumVgprs: 0
; ScratchSize: 0
; MemoryBound: 0
; FloatMode: 240
; IeeeMode: 1
; LDSByteSize: 0 bytes/workgroup (compile time only)
; SGPRBlocks: 0
; VGPRBlocks: 0
; NumSGPRsForWavesPerEU: 1
; NumVGPRsForWavesPerEU: 1
; NamedBarCnt: 0
; Occupancy: 16
; WaveLimiterHint : 0
; COMPUTE_PGM_RSRC2:SCRATCH_EN: 0
; COMPUTE_PGM_RSRC2:USER_SGPR: 2
; COMPUTE_PGM_RSRC2:TRAP_HANDLER: 0
; COMPUTE_PGM_RSRC2:TGID_X_EN: 1
; COMPUTE_PGM_RSRC2:TGID_Y_EN: 0
; COMPUTE_PGM_RSRC2:TGID_Z_EN: 0
; COMPUTE_PGM_RSRC2:TIDIG_COMP_CNT: 0
	.section	.text._ZN7rocprim17ROCPRIM_400000_NS6detail17trampoline_kernelINS0_14default_configENS1_35radix_sort_onesweep_config_selectorIsNS0_10empty_typeEEEZNS1_34radix_sort_onesweep_global_offsetsIS3_Lb1EPKsPS5_mNS0_19identity_decomposerEEE10hipError_tT1_T2_PT3_SF_jT4_jjP12ihipStream_tbEUlT_E0_NS1_11comp_targetILNS1_3genE5ELNS1_11target_archE942ELNS1_3gpuE9ELNS1_3repE0EEENS1_52radix_sort_onesweep_histogram_config_static_selectorELNS0_4arch9wavefront6targetE0EEEvSD_,"axG",@progbits,_ZN7rocprim17ROCPRIM_400000_NS6detail17trampoline_kernelINS0_14default_configENS1_35radix_sort_onesweep_config_selectorIsNS0_10empty_typeEEEZNS1_34radix_sort_onesweep_global_offsetsIS3_Lb1EPKsPS5_mNS0_19identity_decomposerEEE10hipError_tT1_T2_PT3_SF_jT4_jjP12ihipStream_tbEUlT_E0_NS1_11comp_targetILNS1_3genE5ELNS1_11target_archE942ELNS1_3gpuE9ELNS1_3repE0EEENS1_52radix_sort_onesweep_histogram_config_static_selectorELNS0_4arch9wavefront6targetE0EEEvSD_,comdat
	.protected	_ZN7rocprim17ROCPRIM_400000_NS6detail17trampoline_kernelINS0_14default_configENS1_35radix_sort_onesweep_config_selectorIsNS0_10empty_typeEEEZNS1_34radix_sort_onesweep_global_offsetsIS3_Lb1EPKsPS5_mNS0_19identity_decomposerEEE10hipError_tT1_T2_PT3_SF_jT4_jjP12ihipStream_tbEUlT_E0_NS1_11comp_targetILNS1_3genE5ELNS1_11target_archE942ELNS1_3gpuE9ELNS1_3repE0EEENS1_52radix_sort_onesweep_histogram_config_static_selectorELNS0_4arch9wavefront6targetE0EEEvSD_ ; -- Begin function _ZN7rocprim17ROCPRIM_400000_NS6detail17trampoline_kernelINS0_14default_configENS1_35radix_sort_onesweep_config_selectorIsNS0_10empty_typeEEEZNS1_34radix_sort_onesweep_global_offsetsIS3_Lb1EPKsPS5_mNS0_19identity_decomposerEEE10hipError_tT1_T2_PT3_SF_jT4_jjP12ihipStream_tbEUlT_E0_NS1_11comp_targetILNS1_3genE5ELNS1_11target_archE942ELNS1_3gpuE9ELNS1_3repE0EEENS1_52radix_sort_onesweep_histogram_config_static_selectorELNS0_4arch9wavefront6targetE0EEEvSD_
	.globl	_ZN7rocprim17ROCPRIM_400000_NS6detail17trampoline_kernelINS0_14default_configENS1_35radix_sort_onesweep_config_selectorIsNS0_10empty_typeEEEZNS1_34radix_sort_onesweep_global_offsetsIS3_Lb1EPKsPS5_mNS0_19identity_decomposerEEE10hipError_tT1_T2_PT3_SF_jT4_jjP12ihipStream_tbEUlT_E0_NS1_11comp_targetILNS1_3genE5ELNS1_11target_archE942ELNS1_3gpuE9ELNS1_3repE0EEENS1_52radix_sort_onesweep_histogram_config_static_selectorELNS0_4arch9wavefront6targetE0EEEvSD_
	.p2align	8
	.type	_ZN7rocprim17ROCPRIM_400000_NS6detail17trampoline_kernelINS0_14default_configENS1_35radix_sort_onesweep_config_selectorIsNS0_10empty_typeEEEZNS1_34radix_sort_onesweep_global_offsetsIS3_Lb1EPKsPS5_mNS0_19identity_decomposerEEE10hipError_tT1_T2_PT3_SF_jT4_jjP12ihipStream_tbEUlT_E0_NS1_11comp_targetILNS1_3genE5ELNS1_11target_archE942ELNS1_3gpuE9ELNS1_3repE0EEENS1_52radix_sort_onesweep_histogram_config_static_selectorELNS0_4arch9wavefront6targetE0EEEvSD_,@function
_ZN7rocprim17ROCPRIM_400000_NS6detail17trampoline_kernelINS0_14default_configENS1_35radix_sort_onesweep_config_selectorIsNS0_10empty_typeEEEZNS1_34radix_sort_onesweep_global_offsetsIS3_Lb1EPKsPS5_mNS0_19identity_decomposerEEE10hipError_tT1_T2_PT3_SF_jT4_jjP12ihipStream_tbEUlT_E0_NS1_11comp_targetILNS1_3genE5ELNS1_11target_archE942ELNS1_3gpuE9ELNS1_3repE0EEENS1_52radix_sort_onesweep_histogram_config_static_selectorELNS0_4arch9wavefront6targetE0EEEvSD_: ; @_ZN7rocprim17ROCPRIM_400000_NS6detail17trampoline_kernelINS0_14default_configENS1_35radix_sort_onesweep_config_selectorIsNS0_10empty_typeEEEZNS1_34radix_sort_onesweep_global_offsetsIS3_Lb1EPKsPS5_mNS0_19identity_decomposerEEE10hipError_tT1_T2_PT3_SF_jT4_jjP12ihipStream_tbEUlT_E0_NS1_11comp_targetILNS1_3genE5ELNS1_11target_archE942ELNS1_3gpuE9ELNS1_3repE0EEENS1_52radix_sort_onesweep_histogram_config_static_selectorELNS0_4arch9wavefront6targetE0EEEvSD_
; %bb.0:
	.section	.rodata,"a",@progbits
	.p2align	6, 0x0
	.amdhsa_kernel _ZN7rocprim17ROCPRIM_400000_NS6detail17trampoline_kernelINS0_14default_configENS1_35radix_sort_onesweep_config_selectorIsNS0_10empty_typeEEEZNS1_34radix_sort_onesweep_global_offsetsIS3_Lb1EPKsPS5_mNS0_19identity_decomposerEEE10hipError_tT1_T2_PT3_SF_jT4_jjP12ihipStream_tbEUlT_E0_NS1_11comp_targetILNS1_3genE5ELNS1_11target_archE942ELNS1_3gpuE9ELNS1_3repE0EEENS1_52radix_sort_onesweep_histogram_config_static_selectorELNS0_4arch9wavefront6targetE0EEEvSD_
		.amdhsa_group_segment_fixed_size 0
		.amdhsa_private_segment_fixed_size 0
		.amdhsa_kernarg_size 8
		.amdhsa_user_sgpr_count 2
		.amdhsa_user_sgpr_dispatch_ptr 0
		.amdhsa_user_sgpr_queue_ptr 0
		.amdhsa_user_sgpr_kernarg_segment_ptr 1
		.amdhsa_user_sgpr_dispatch_id 0
		.amdhsa_user_sgpr_kernarg_preload_length 0
		.amdhsa_user_sgpr_kernarg_preload_offset 0
		.amdhsa_user_sgpr_private_segment_size 0
		.amdhsa_wavefront_size32 1
		.amdhsa_uses_dynamic_stack 0
		.amdhsa_enable_private_segment 0
		.amdhsa_system_sgpr_workgroup_id_x 1
		.amdhsa_system_sgpr_workgroup_id_y 0
		.amdhsa_system_sgpr_workgroup_id_z 0
		.amdhsa_system_sgpr_workgroup_info 0
		.amdhsa_system_vgpr_workitem_id 0
		.amdhsa_next_free_vgpr 1
		.amdhsa_next_free_sgpr 1
		.amdhsa_named_barrier_count 0
		.amdhsa_reserve_vcc 0
		.amdhsa_float_round_mode_32 0
		.amdhsa_float_round_mode_16_64 0
		.amdhsa_float_denorm_mode_32 3
		.amdhsa_float_denorm_mode_16_64 3
		.amdhsa_fp16_overflow 0
		.amdhsa_memory_ordered 1
		.amdhsa_forward_progress 1
		.amdhsa_inst_pref_size 0
		.amdhsa_round_robin_scheduling 0
		.amdhsa_exception_fp_ieee_invalid_op 0
		.amdhsa_exception_fp_denorm_src 0
		.amdhsa_exception_fp_ieee_div_zero 0
		.amdhsa_exception_fp_ieee_overflow 0
		.amdhsa_exception_fp_ieee_underflow 0
		.amdhsa_exception_fp_ieee_inexact 0
		.amdhsa_exception_int_div_zero 0
	.end_amdhsa_kernel
	.section	.text._ZN7rocprim17ROCPRIM_400000_NS6detail17trampoline_kernelINS0_14default_configENS1_35radix_sort_onesweep_config_selectorIsNS0_10empty_typeEEEZNS1_34radix_sort_onesweep_global_offsetsIS3_Lb1EPKsPS5_mNS0_19identity_decomposerEEE10hipError_tT1_T2_PT3_SF_jT4_jjP12ihipStream_tbEUlT_E0_NS1_11comp_targetILNS1_3genE5ELNS1_11target_archE942ELNS1_3gpuE9ELNS1_3repE0EEENS1_52radix_sort_onesweep_histogram_config_static_selectorELNS0_4arch9wavefront6targetE0EEEvSD_,"axG",@progbits,_ZN7rocprim17ROCPRIM_400000_NS6detail17trampoline_kernelINS0_14default_configENS1_35radix_sort_onesweep_config_selectorIsNS0_10empty_typeEEEZNS1_34radix_sort_onesweep_global_offsetsIS3_Lb1EPKsPS5_mNS0_19identity_decomposerEEE10hipError_tT1_T2_PT3_SF_jT4_jjP12ihipStream_tbEUlT_E0_NS1_11comp_targetILNS1_3genE5ELNS1_11target_archE942ELNS1_3gpuE9ELNS1_3repE0EEENS1_52radix_sort_onesweep_histogram_config_static_selectorELNS0_4arch9wavefront6targetE0EEEvSD_,comdat
.Lfunc_end587:
	.size	_ZN7rocprim17ROCPRIM_400000_NS6detail17trampoline_kernelINS0_14default_configENS1_35radix_sort_onesweep_config_selectorIsNS0_10empty_typeEEEZNS1_34radix_sort_onesweep_global_offsetsIS3_Lb1EPKsPS5_mNS0_19identity_decomposerEEE10hipError_tT1_T2_PT3_SF_jT4_jjP12ihipStream_tbEUlT_E0_NS1_11comp_targetILNS1_3genE5ELNS1_11target_archE942ELNS1_3gpuE9ELNS1_3repE0EEENS1_52radix_sort_onesweep_histogram_config_static_selectorELNS0_4arch9wavefront6targetE0EEEvSD_, .Lfunc_end587-_ZN7rocprim17ROCPRIM_400000_NS6detail17trampoline_kernelINS0_14default_configENS1_35radix_sort_onesweep_config_selectorIsNS0_10empty_typeEEEZNS1_34radix_sort_onesweep_global_offsetsIS3_Lb1EPKsPS5_mNS0_19identity_decomposerEEE10hipError_tT1_T2_PT3_SF_jT4_jjP12ihipStream_tbEUlT_E0_NS1_11comp_targetILNS1_3genE5ELNS1_11target_archE942ELNS1_3gpuE9ELNS1_3repE0EEENS1_52radix_sort_onesweep_histogram_config_static_selectorELNS0_4arch9wavefront6targetE0EEEvSD_
                                        ; -- End function
	.set _ZN7rocprim17ROCPRIM_400000_NS6detail17trampoline_kernelINS0_14default_configENS1_35radix_sort_onesweep_config_selectorIsNS0_10empty_typeEEEZNS1_34radix_sort_onesweep_global_offsetsIS3_Lb1EPKsPS5_mNS0_19identity_decomposerEEE10hipError_tT1_T2_PT3_SF_jT4_jjP12ihipStream_tbEUlT_E0_NS1_11comp_targetILNS1_3genE5ELNS1_11target_archE942ELNS1_3gpuE9ELNS1_3repE0EEENS1_52radix_sort_onesweep_histogram_config_static_selectorELNS0_4arch9wavefront6targetE0EEEvSD_.num_vgpr, 0
	.set _ZN7rocprim17ROCPRIM_400000_NS6detail17trampoline_kernelINS0_14default_configENS1_35radix_sort_onesweep_config_selectorIsNS0_10empty_typeEEEZNS1_34radix_sort_onesweep_global_offsetsIS3_Lb1EPKsPS5_mNS0_19identity_decomposerEEE10hipError_tT1_T2_PT3_SF_jT4_jjP12ihipStream_tbEUlT_E0_NS1_11comp_targetILNS1_3genE5ELNS1_11target_archE942ELNS1_3gpuE9ELNS1_3repE0EEENS1_52radix_sort_onesweep_histogram_config_static_selectorELNS0_4arch9wavefront6targetE0EEEvSD_.num_agpr, 0
	.set _ZN7rocprim17ROCPRIM_400000_NS6detail17trampoline_kernelINS0_14default_configENS1_35radix_sort_onesweep_config_selectorIsNS0_10empty_typeEEEZNS1_34radix_sort_onesweep_global_offsetsIS3_Lb1EPKsPS5_mNS0_19identity_decomposerEEE10hipError_tT1_T2_PT3_SF_jT4_jjP12ihipStream_tbEUlT_E0_NS1_11comp_targetILNS1_3genE5ELNS1_11target_archE942ELNS1_3gpuE9ELNS1_3repE0EEENS1_52radix_sort_onesweep_histogram_config_static_selectorELNS0_4arch9wavefront6targetE0EEEvSD_.numbered_sgpr, 0
	.set _ZN7rocprim17ROCPRIM_400000_NS6detail17trampoline_kernelINS0_14default_configENS1_35radix_sort_onesweep_config_selectorIsNS0_10empty_typeEEEZNS1_34radix_sort_onesweep_global_offsetsIS3_Lb1EPKsPS5_mNS0_19identity_decomposerEEE10hipError_tT1_T2_PT3_SF_jT4_jjP12ihipStream_tbEUlT_E0_NS1_11comp_targetILNS1_3genE5ELNS1_11target_archE942ELNS1_3gpuE9ELNS1_3repE0EEENS1_52radix_sort_onesweep_histogram_config_static_selectorELNS0_4arch9wavefront6targetE0EEEvSD_.num_named_barrier, 0
	.set _ZN7rocprim17ROCPRIM_400000_NS6detail17trampoline_kernelINS0_14default_configENS1_35radix_sort_onesweep_config_selectorIsNS0_10empty_typeEEEZNS1_34radix_sort_onesweep_global_offsetsIS3_Lb1EPKsPS5_mNS0_19identity_decomposerEEE10hipError_tT1_T2_PT3_SF_jT4_jjP12ihipStream_tbEUlT_E0_NS1_11comp_targetILNS1_3genE5ELNS1_11target_archE942ELNS1_3gpuE9ELNS1_3repE0EEENS1_52radix_sort_onesweep_histogram_config_static_selectorELNS0_4arch9wavefront6targetE0EEEvSD_.private_seg_size, 0
	.set _ZN7rocprim17ROCPRIM_400000_NS6detail17trampoline_kernelINS0_14default_configENS1_35radix_sort_onesweep_config_selectorIsNS0_10empty_typeEEEZNS1_34radix_sort_onesweep_global_offsetsIS3_Lb1EPKsPS5_mNS0_19identity_decomposerEEE10hipError_tT1_T2_PT3_SF_jT4_jjP12ihipStream_tbEUlT_E0_NS1_11comp_targetILNS1_3genE5ELNS1_11target_archE942ELNS1_3gpuE9ELNS1_3repE0EEENS1_52radix_sort_onesweep_histogram_config_static_selectorELNS0_4arch9wavefront6targetE0EEEvSD_.uses_vcc, 0
	.set _ZN7rocprim17ROCPRIM_400000_NS6detail17trampoline_kernelINS0_14default_configENS1_35radix_sort_onesweep_config_selectorIsNS0_10empty_typeEEEZNS1_34radix_sort_onesweep_global_offsetsIS3_Lb1EPKsPS5_mNS0_19identity_decomposerEEE10hipError_tT1_T2_PT3_SF_jT4_jjP12ihipStream_tbEUlT_E0_NS1_11comp_targetILNS1_3genE5ELNS1_11target_archE942ELNS1_3gpuE9ELNS1_3repE0EEENS1_52radix_sort_onesweep_histogram_config_static_selectorELNS0_4arch9wavefront6targetE0EEEvSD_.uses_flat_scratch, 0
	.set _ZN7rocprim17ROCPRIM_400000_NS6detail17trampoline_kernelINS0_14default_configENS1_35radix_sort_onesweep_config_selectorIsNS0_10empty_typeEEEZNS1_34radix_sort_onesweep_global_offsetsIS3_Lb1EPKsPS5_mNS0_19identity_decomposerEEE10hipError_tT1_T2_PT3_SF_jT4_jjP12ihipStream_tbEUlT_E0_NS1_11comp_targetILNS1_3genE5ELNS1_11target_archE942ELNS1_3gpuE9ELNS1_3repE0EEENS1_52radix_sort_onesweep_histogram_config_static_selectorELNS0_4arch9wavefront6targetE0EEEvSD_.has_dyn_sized_stack, 0
	.set _ZN7rocprim17ROCPRIM_400000_NS6detail17trampoline_kernelINS0_14default_configENS1_35radix_sort_onesweep_config_selectorIsNS0_10empty_typeEEEZNS1_34radix_sort_onesweep_global_offsetsIS3_Lb1EPKsPS5_mNS0_19identity_decomposerEEE10hipError_tT1_T2_PT3_SF_jT4_jjP12ihipStream_tbEUlT_E0_NS1_11comp_targetILNS1_3genE5ELNS1_11target_archE942ELNS1_3gpuE9ELNS1_3repE0EEENS1_52radix_sort_onesweep_histogram_config_static_selectorELNS0_4arch9wavefront6targetE0EEEvSD_.has_recursion, 0
	.set _ZN7rocprim17ROCPRIM_400000_NS6detail17trampoline_kernelINS0_14default_configENS1_35radix_sort_onesweep_config_selectorIsNS0_10empty_typeEEEZNS1_34radix_sort_onesweep_global_offsetsIS3_Lb1EPKsPS5_mNS0_19identity_decomposerEEE10hipError_tT1_T2_PT3_SF_jT4_jjP12ihipStream_tbEUlT_E0_NS1_11comp_targetILNS1_3genE5ELNS1_11target_archE942ELNS1_3gpuE9ELNS1_3repE0EEENS1_52radix_sort_onesweep_histogram_config_static_selectorELNS0_4arch9wavefront6targetE0EEEvSD_.has_indirect_call, 0
	.section	.AMDGPU.csdata,"",@progbits
; Kernel info:
; codeLenInByte = 0
; TotalNumSgprs: 0
; NumVgprs: 0
; ScratchSize: 0
; MemoryBound: 0
; FloatMode: 240
; IeeeMode: 1
; LDSByteSize: 0 bytes/workgroup (compile time only)
; SGPRBlocks: 0
; VGPRBlocks: 0
; NumSGPRsForWavesPerEU: 1
; NumVGPRsForWavesPerEU: 1
; NamedBarCnt: 0
; Occupancy: 16
; WaveLimiterHint : 0
; COMPUTE_PGM_RSRC2:SCRATCH_EN: 0
; COMPUTE_PGM_RSRC2:USER_SGPR: 2
; COMPUTE_PGM_RSRC2:TRAP_HANDLER: 0
; COMPUTE_PGM_RSRC2:TGID_X_EN: 1
; COMPUTE_PGM_RSRC2:TGID_Y_EN: 0
; COMPUTE_PGM_RSRC2:TGID_Z_EN: 0
; COMPUTE_PGM_RSRC2:TIDIG_COMP_CNT: 0
	.section	.text._ZN7rocprim17ROCPRIM_400000_NS6detail17trampoline_kernelINS0_14default_configENS1_35radix_sort_onesweep_config_selectorIsNS0_10empty_typeEEEZNS1_34radix_sort_onesweep_global_offsetsIS3_Lb1EPKsPS5_mNS0_19identity_decomposerEEE10hipError_tT1_T2_PT3_SF_jT4_jjP12ihipStream_tbEUlT_E0_NS1_11comp_targetILNS1_3genE2ELNS1_11target_archE906ELNS1_3gpuE6ELNS1_3repE0EEENS1_52radix_sort_onesweep_histogram_config_static_selectorELNS0_4arch9wavefront6targetE0EEEvSD_,"axG",@progbits,_ZN7rocprim17ROCPRIM_400000_NS6detail17trampoline_kernelINS0_14default_configENS1_35radix_sort_onesweep_config_selectorIsNS0_10empty_typeEEEZNS1_34radix_sort_onesweep_global_offsetsIS3_Lb1EPKsPS5_mNS0_19identity_decomposerEEE10hipError_tT1_T2_PT3_SF_jT4_jjP12ihipStream_tbEUlT_E0_NS1_11comp_targetILNS1_3genE2ELNS1_11target_archE906ELNS1_3gpuE6ELNS1_3repE0EEENS1_52radix_sort_onesweep_histogram_config_static_selectorELNS0_4arch9wavefront6targetE0EEEvSD_,comdat
	.protected	_ZN7rocprim17ROCPRIM_400000_NS6detail17trampoline_kernelINS0_14default_configENS1_35radix_sort_onesweep_config_selectorIsNS0_10empty_typeEEEZNS1_34radix_sort_onesweep_global_offsetsIS3_Lb1EPKsPS5_mNS0_19identity_decomposerEEE10hipError_tT1_T2_PT3_SF_jT4_jjP12ihipStream_tbEUlT_E0_NS1_11comp_targetILNS1_3genE2ELNS1_11target_archE906ELNS1_3gpuE6ELNS1_3repE0EEENS1_52radix_sort_onesweep_histogram_config_static_selectorELNS0_4arch9wavefront6targetE0EEEvSD_ ; -- Begin function _ZN7rocprim17ROCPRIM_400000_NS6detail17trampoline_kernelINS0_14default_configENS1_35radix_sort_onesweep_config_selectorIsNS0_10empty_typeEEEZNS1_34radix_sort_onesweep_global_offsetsIS3_Lb1EPKsPS5_mNS0_19identity_decomposerEEE10hipError_tT1_T2_PT3_SF_jT4_jjP12ihipStream_tbEUlT_E0_NS1_11comp_targetILNS1_3genE2ELNS1_11target_archE906ELNS1_3gpuE6ELNS1_3repE0EEENS1_52radix_sort_onesweep_histogram_config_static_selectorELNS0_4arch9wavefront6targetE0EEEvSD_
	.globl	_ZN7rocprim17ROCPRIM_400000_NS6detail17trampoline_kernelINS0_14default_configENS1_35radix_sort_onesweep_config_selectorIsNS0_10empty_typeEEEZNS1_34radix_sort_onesweep_global_offsetsIS3_Lb1EPKsPS5_mNS0_19identity_decomposerEEE10hipError_tT1_T2_PT3_SF_jT4_jjP12ihipStream_tbEUlT_E0_NS1_11comp_targetILNS1_3genE2ELNS1_11target_archE906ELNS1_3gpuE6ELNS1_3repE0EEENS1_52radix_sort_onesweep_histogram_config_static_selectorELNS0_4arch9wavefront6targetE0EEEvSD_
	.p2align	8
	.type	_ZN7rocprim17ROCPRIM_400000_NS6detail17trampoline_kernelINS0_14default_configENS1_35radix_sort_onesweep_config_selectorIsNS0_10empty_typeEEEZNS1_34radix_sort_onesweep_global_offsetsIS3_Lb1EPKsPS5_mNS0_19identity_decomposerEEE10hipError_tT1_T2_PT3_SF_jT4_jjP12ihipStream_tbEUlT_E0_NS1_11comp_targetILNS1_3genE2ELNS1_11target_archE906ELNS1_3gpuE6ELNS1_3repE0EEENS1_52radix_sort_onesweep_histogram_config_static_selectorELNS0_4arch9wavefront6targetE0EEEvSD_,@function
_ZN7rocprim17ROCPRIM_400000_NS6detail17trampoline_kernelINS0_14default_configENS1_35radix_sort_onesweep_config_selectorIsNS0_10empty_typeEEEZNS1_34radix_sort_onesweep_global_offsetsIS3_Lb1EPKsPS5_mNS0_19identity_decomposerEEE10hipError_tT1_T2_PT3_SF_jT4_jjP12ihipStream_tbEUlT_E0_NS1_11comp_targetILNS1_3genE2ELNS1_11target_archE906ELNS1_3gpuE6ELNS1_3repE0EEENS1_52radix_sort_onesweep_histogram_config_static_selectorELNS0_4arch9wavefront6targetE0EEEvSD_: ; @_ZN7rocprim17ROCPRIM_400000_NS6detail17trampoline_kernelINS0_14default_configENS1_35radix_sort_onesweep_config_selectorIsNS0_10empty_typeEEEZNS1_34radix_sort_onesweep_global_offsetsIS3_Lb1EPKsPS5_mNS0_19identity_decomposerEEE10hipError_tT1_T2_PT3_SF_jT4_jjP12ihipStream_tbEUlT_E0_NS1_11comp_targetILNS1_3genE2ELNS1_11target_archE906ELNS1_3gpuE6ELNS1_3repE0EEENS1_52radix_sort_onesweep_histogram_config_static_selectorELNS0_4arch9wavefront6targetE0EEEvSD_
; %bb.0:
	.section	.rodata,"a",@progbits
	.p2align	6, 0x0
	.amdhsa_kernel _ZN7rocprim17ROCPRIM_400000_NS6detail17trampoline_kernelINS0_14default_configENS1_35radix_sort_onesweep_config_selectorIsNS0_10empty_typeEEEZNS1_34radix_sort_onesweep_global_offsetsIS3_Lb1EPKsPS5_mNS0_19identity_decomposerEEE10hipError_tT1_T2_PT3_SF_jT4_jjP12ihipStream_tbEUlT_E0_NS1_11comp_targetILNS1_3genE2ELNS1_11target_archE906ELNS1_3gpuE6ELNS1_3repE0EEENS1_52radix_sort_onesweep_histogram_config_static_selectorELNS0_4arch9wavefront6targetE0EEEvSD_
		.amdhsa_group_segment_fixed_size 0
		.amdhsa_private_segment_fixed_size 0
		.amdhsa_kernarg_size 8
		.amdhsa_user_sgpr_count 2
		.amdhsa_user_sgpr_dispatch_ptr 0
		.amdhsa_user_sgpr_queue_ptr 0
		.amdhsa_user_sgpr_kernarg_segment_ptr 1
		.amdhsa_user_sgpr_dispatch_id 0
		.amdhsa_user_sgpr_kernarg_preload_length 0
		.amdhsa_user_sgpr_kernarg_preload_offset 0
		.amdhsa_user_sgpr_private_segment_size 0
		.amdhsa_wavefront_size32 1
		.amdhsa_uses_dynamic_stack 0
		.amdhsa_enable_private_segment 0
		.amdhsa_system_sgpr_workgroup_id_x 1
		.amdhsa_system_sgpr_workgroup_id_y 0
		.amdhsa_system_sgpr_workgroup_id_z 0
		.amdhsa_system_sgpr_workgroup_info 0
		.amdhsa_system_vgpr_workitem_id 0
		.amdhsa_next_free_vgpr 1
		.amdhsa_next_free_sgpr 1
		.amdhsa_named_barrier_count 0
		.amdhsa_reserve_vcc 0
		.amdhsa_float_round_mode_32 0
		.amdhsa_float_round_mode_16_64 0
		.amdhsa_float_denorm_mode_32 3
		.amdhsa_float_denorm_mode_16_64 3
		.amdhsa_fp16_overflow 0
		.amdhsa_memory_ordered 1
		.amdhsa_forward_progress 1
		.amdhsa_inst_pref_size 0
		.amdhsa_round_robin_scheduling 0
		.amdhsa_exception_fp_ieee_invalid_op 0
		.amdhsa_exception_fp_denorm_src 0
		.amdhsa_exception_fp_ieee_div_zero 0
		.amdhsa_exception_fp_ieee_overflow 0
		.amdhsa_exception_fp_ieee_underflow 0
		.amdhsa_exception_fp_ieee_inexact 0
		.amdhsa_exception_int_div_zero 0
	.end_amdhsa_kernel
	.section	.text._ZN7rocprim17ROCPRIM_400000_NS6detail17trampoline_kernelINS0_14default_configENS1_35radix_sort_onesweep_config_selectorIsNS0_10empty_typeEEEZNS1_34radix_sort_onesweep_global_offsetsIS3_Lb1EPKsPS5_mNS0_19identity_decomposerEEE10hipError_tT1_T2_PT3_SF_jT4_jjP12ihipStream_tbEUlT_E0_NS1_11comp_targetILNS1_3genE2ELNS1_11target_archE906ELNS1_3gpuE6ELNS1_3repE0EEENS1_52radix_sort_onesweep_histogram_config_static_selectorELNS0_4arch9wavefront6targetE0EEEvSD_,"axG",@progbits,_ZN7rocprim17ROCPRIM_400000_NS6detail17trampoline_kernelINS0_14default_configENS1_35radix_sort_onesweep_config_selectorIsNS0_10empty_typeEEEZNS1_34radix_sort_onesweep_global_offsetsIS3_Lb1EPKsPS5_mNS0_19identity_decomposerEEE10hipError_tT1_T2_PT3_SF_jT4_jjP12ihipStream_tbEUlT_E0_NS1_11comp_targetILNS1_3genE2ELNS1_11target_archE906ELNS1_3gpuE6ELNS1_3repE0EEENS1_52radix_sort_onesweep_histogram_config_static_selectorELNS0_4arch9wavefront6targetE0EEEvSD_,comdat
.Lfunc_end588:
	.size	_ZN7rocprim17ROCPRIM_400000_NS6detail17trampoline_kernelINS0_14default_configENS1_35radix_sort_onesweep_config_selectorIsNS0_10empty_typeEEEZNS1_34radix_sort_onesweep_global_offsetsIS3_Lb1EPKsPS5_mNS0_19identity_decomposerEEE10hipError_tT1_T2_PT3_SF_jT4_jjP12ihipStream_tbEUlT_E0_NS1_11comp_targetILNS1_3genE2ELNS1_11target_archE906ELNS1_3gpuE6ELNS1_3repE0EEENS1_52radix_sort_onesweep_histogram_config_static_selectorELNS0_4arch9wavefront6targetE0EEEvSD_, .Lfunc_end588-_ZN7rocprim17ROCPRIM_400000_NS6detail17trampoline_kernelINS0_14default_configENS1_35radix_sort_onesweep_config_selectorIsNS0_10empty_typeEEEZNS1_34radix_sort_onesweep_global_offsetsIS3_Lb1EPKsPS5_mNS0_19identity_decomposerEEE10hipError_tT1_T2_PT3_SF_jT4_jjP12ihipStream_tbEUlT_E0_NS1_11comp_targetILNS1_3genE2ELNS1_11target_archE906ELNS1_3gpuE6ELNS1_3repE0EEENS1_52radix_sort_onesweep_histogram_config_static_selectorELNS0_4arch9wavefront6targetE0EEEvSD_
                                        ; -- End function
	.set _ZN7rocprim17ROCPRIM_400000_NS6detail17trampoline_kernelINS0_14default_configENS1_35radix_sort_onesweep_config_selectorIsNS0_10empty_typeEEEZNS1_34radix_sort_onesweep_global_offsetsIS3_Lb1EPKsPS5_mNS0_19identity_decomposerEEE10hipError_tT1_T2_PT3_SF_jT4_jjP12ihipStream_tbEUlT_E0_NS1_11comp_targetILNS1_3genE2ELNS1_11target_archE906ELNS1_3gpuE6ELNS1_3repE0EEENS1_52radix_sort_onesweep_histogram_config_static_selectorELNS0_4arch9wavefront6targetE0EEEvSD_.num_vgpr, 0
	.set _ZN7rocprim17ROCPRIM_400000_NS6detail17trampoline_kernelINS0_14default_configENS1_35radix_sort_onesweep_config_selectorIsNS0_10empty_typeEEEZNS1_34radix_sort_onesweep_global_offsetsIS3_Lb1EPKsPS5_mNS0_19identity_decomposerEEE10hipError_tT1_T2_PT3_SF_jT4_jjP12ihipStream_tbEUlT_E0_NS1_11comp_targetILNS1_3genE2ELNS1_11target_archE906ELNS1_3gpuE6ELNS1_3repE0EEENS1_52radix_sort_onesweep_histogram_config_static_selectorELNS0_4arch9wavefront6targetE0EEEvSD_.num_agpr, 0
	.set _ZN7rocprim17ROCPRIM_400000_NS6detail17trampoline_kernelINS0_14default_configENS1_35radix_sort_onesweep_config_selectorIsNS0_10empty_typeEEEZNS1_34radix_sort_onesweep_global_offsetsIS3_Lb1EPKsPS5_mNS0_19identity_decomposerEEE10hipError_tT1_T2_PT3_SF_jT4_jjP12ihipStream_tbEUlT_E0_NS1_11comp_targetILNS1_3genE2ELNS1_11target_archE906ELNS1_3gpuE6ELNS1_3repE0EEENS1_52radix_sort_onesweep_histogram_config_static_selectorELNS0_4arch9wavefront6targetE0EEEvSD_.numbered_sgpr, 0
	.set _ZN7rocprim17ROCPRIM_400000_NS6detail17trampoline_kernelINS0_14default_configENS1_35radix_sort_onesweep_config_selectorIsNS0_10empty_typeEEEZNS1_34radix_sort_onesweep_global_offsetsIS3_Lb1EPKsPS5_mNS0_19identity_decomposerEEE10hipError_tT1_T2_PT3_SF_jT4_jjP12ihipStream_tbEUlT_E0_NS1_11comp_targetILNS1_3genE2ELNS1_11target_archE906ELNS1_3gpuE6ELNS1_3repE0EEENS1_52radix_sort_onesweep_histogram_config_static_selectorELNS0_4arch9wavefront6targetE0EEEvSD_.num_named_barrier, 0
	.set _ZN7rocprim17ROCPRIM_400000_NS6detail17trampoline_kernelINS0_14default_configENS1_35radix_sort_onesweep_config_selectorIsNS0_10empty_typeEEEZNS1_34radix_sort_onesweep_global_offsetsIS3_Lb1EPKsPS5_mNS0_19identity_decomposerEEE10hipError_tT1_T2_PT3_SF_jT4_jjP12ihipStream_tbEUlT_E0_NS1_11comp_targetILNS1_3genE2ELNS1_11target_archE906ELNS1_3gpuE6ELNS1_3repE0EEENS1_52radix_sort_onesweep_histogram_config_static_selectorELNS0_4arch9wavefront6targetE0EEEvSD_.private_seg_size, 0
	.set _ZN7rocprim17ROCPRIM_400000_NS6detail17trampoline_kernelINS0_14default_configENS1_35radix_sort_onesweep_config_selectorIsNS0_10empty_typeEEEZNS1_34radix_sort_onesweep_global_offsetsIS3_Lb1EPKsPS5_mNS0_19identity_decomposerEEE10hipError_tT1_T2_PT3_SF_jT4_jjP12ihipStream_tbEUlT_E0_NS1_11comp_targetILNS1_3genE2ELNS1_11target_archE906ELNS1_3gpuE6ELNS1_3repE0EEENS1_52radix_sort_onesweep_histogram_config_static_selectorELNS0_4arch9wavefront6targetE0EEEvSD_.uses_vcc, 0
	.set _ZN7rocprim17ROCPRIM_400000_NS6detail17trampoline_kernelINS0_14default_configENS1_35radix_sort_onesweep_config_selectorIsNS0_10empty_typeEEEZNS1_34radix_sort_onesweep_global_offsetsIS3_Lb1EPKsPS5_mNS0_19identity_decomposerEEE10hipError_tT1_T2_PT3_SF_jT4_jjP12ihipStream_tbEUlT_E0_NS1_11comp_targetILNS1_3genE2ELNS1_11target_archE906ELNS1_3gpuE6ELNS1_3repE0EEENS1_52radix_sort_onesweep_histogram_config_static_selectorELNS0_4arch9wavefront6targetE0EEEvSD_.uses_flat_scratch, 0
	.set _ZN7rocprim17ROCPRIM_400000_NS6detail17trampoline_kernelINS0_14default_configENS1_35radix_sort_onesweep_config_selectorIsNS0_10empty_typeEEEZNS1_34radix_sort_onesweep_global_offsetsIS3_Lb1EPKsPS5_mNS0_19identity_decomposerEEE10hipError_tT1_T2_PT3_SF_jT4_jjP12ihipStream_tbEUlT_E0_NS1_11comp_targetILNS1_3genE2ELNS1_11target_archE906ELNS1_3gpuE6ELNS1_3repE0EEENS1_52radix_sort_onesweep_histogram_config_static_selectorELNS0_4arch9wavefront6targetE0EEEvSD_.has_dyn_sized_stack, 0
	.set _ZN7rocprim17ROCPRIM_400000_NS6detail17trampoline_kernelINS0_14default_configENS1_35radix_sort_onesweep_config_selectorIsNS0_10empty_typeEEEZNS1_34radix_sort_onesweep_global_offsetsIS3_Lb1EPKsPS5_mNS0_19identity_decomposerEEE10hipError_tT1_T2_PT3_SF_jT4_jjP12ihipStream_tbEUlT_E0_NS1_11comp_targetILNS1_3genE2ELNS1_11target_archE906ELNS1_3gpuE6ELNS1_3repE0EEENS1_52radix_sort_onesweep_histogram_config_static_selectorELNS0_4arch9wavefront6targetE0EEEvSD_.has_recursion, 0
	.set _ZN7rocprim17ROCPRIM_400000_NS6detail17trampoline_kernelINS0_14default_configENS1_35radix_sort_onesweep_config_selectorIsNS0_10empty_typeEEEZNS1_34radix_sort_onesweep_global_offsetsIS3_Lb1EPKsPS5_mNS0_19identity_decomposerEEE10hipError_tT1_T2_PT3_SF_jT4_jjP12ihipStream_tbEUlT_E0_NS1_11comp_targetILNS1_3genE2ELNS1_11target_archE906ELNS1_3gpuE6ELNS1_3repE0EEENS1_52radix_sort_onesweep_histogram_config_static_selectorELNS0_4arch9wavefront6targetE0EEEvSD_.has_indirect_call, 0
	.section	.AMDGPU.csdata,"",@progbits
; Kernel info:
; codeLenInByte = 0
; TotalNumSgprs: 0
; NumVgprs: 0
; ScratchSize: 0
; MemoryBound: 0
; FloatMode: 240
; IeeeMode: 1
; LDSByteSize: 0 bytes/workgroup (compile time only)
; SGPRBlocks: 0
; VGPRBlocks: 0
; NumSGPRsForWavesPerEU: 1
; NumVGPRsForWavesPerEU: 1
; NamedBarCnt: 0
; Occupancy: 16
; WaveLimiterHint : 0
; COMPUTE_PGM_RSRC2:SCRATCH_EN: 0
; COMPUTE_PGM_RSRC2:USER_SGPR: 2
; COMPUTE_PGM_RSRC2:TRAP_HANDLER: 0
; COMPUTE_PGM_RSRC2:TGID_X_EN: 1
; COMPUTE_PGM_RSRC2:TGID_Y_EN: 0
; COMPUTE_PGM_RSRC2:TGID_Z_EN: 0
; COMPUTE_PGM_RSRC2:TIDIG_COMP_CNT: 0
	.section	.text._ZN7rocprim17ROCPRIM_400000_NS6detail17trampoline_kernelINS0_14default_configENS1_35radix_sort_onesweep_config_selectorIsNS0_10empty_typeEEEZNS1_34radix_sort_onesweep_global_offsetsIS3_Lb1EPKsPS5_mNS0_19identity_decomposerEEE10hipError_tT1_T2_PT3_SF_jT4_jjP12ihipStream_tbEUlT_E0_NS1_11comp_targetILNS1_3genE4ELNS1_11target_archE910ELNS1_3gpuE8ELNS1_3repE0EEENS1_52radix_sort_onesweep_histogram_config_static_selectorELNS0_4arch9wavefront6targetE0EEEvSD_,"axG",@progbits,_ZN7rocprim17ROCPRIM_400000_NS6detail17trampoline_kernelINS0_14default_configENS1_35radix_sort_onesweep_config_selectorIsNS0_10empty_typeEEEZNS1_34radix_sort_onesweep_global_offsetsIS3_Lb1EPKsPS5_mNS0_19identity_decomposerEEE10hipError_tT1_T2_PT3_SF_jT4_jjP12ihipStream_tbEUlT_E0_NS1_11comp_targetILNS1_3genE4ELNS1_11target_archE910ELNS1_3gpuE8ELNS1_3repE0EEENS1_52radix_sort_onesweep_histogram_config_static_selectorELNS0_4arch9wavefront6targetE0EEEvSD_,comdat
	.protected	_ZN7rocprim17ROCPRIM_400000_NS6detail17trampoline_kernelINS0_14default_configENS1_35radix_sort_onesweep_config_selectorIsNS0_10empty_typeEEEZNS1_34radix_sort_onesweep_global_offsetsIS3_Lb1EPKsPS5_mNS0_19identity_decomposerEEE10hipError_tT1_T2_PT3_SF_jT4_jjP12ihipStream_tbEUlT_E0_NS1_11comp_targetILNS1_3genE4ELNS1_11target_archE910ELNS1_3gpuE8ELNS1_3repE0EEENS1_52radix_sort_onesweep_histogram_config_static_selectorELNS0_4arch9wavefront6targetE0EEEvSD_ ; -- Begin function _ZN7rocprim17ROCPRIM_400000_NS6detail17trampoline_kernelINS0_14default_configENS1_35radix_sort_onesweep_config_selectorIsNS0_10empty_typeEEEZNS1_34radix_sort_onesweep_global_offsetsIS3_Lb1EPKsPS5_mNS0_19identity_decomposerEEE10hipError_tT1_T2_PT3_SF_jT4_jjP12ihipStream_tbEUlT_E0_NS1_11comp_targetILNS1_3genE4ELNS1_11target_archE910ELNS1_3gpuE8ELNS1_3repE0EEENS1_52radix_sort_onesweep_histogram_config_static_selectorELNS0_4arch9wavefront6targetE0EEEvSD_
	.globl	_ZN7rocprim17ROCPRIM_400000_NS6detail17trampoline_kernelINS0_14default_configENS1_35radix_sort_onesweep_config_selectorIsNS0_10empty_typeEEEZNS1_34radix_sort_onesweep_global_offsetsIS3_Lb1EPKsPS5_mNS0_19identity_decomposerEEE10hipError_tT1_T2_PT3_SF_jT4_jjP12ihipStream_tbEUlT_E0_NS1_11comp_targetILNS1_3genE4ELNS1_11target_archE910ELNS1_3gpuE8ELNS1_3repE0EEENS1_52radix_sort_onesweep_histogram_config_static_selectorELNS0_4arch9wavefront6targetE0EEEvSD_
	.p2align	8
	.type	_ZN7rocprim17ROCPRIM_400000_NS6detail17trampoline_kernelINS0_14default_configENS1_35radix_sort_onesweep_config_selectorIsNS0_10empty_typeEEEZNS1_34radix_sort_onesweep_global_offsetsIS3_Lb1EPKsPS5_mNS0_19identity_decomposerEEE10hipError_tT1_T2_PT3_SF_jT4_jjP12ihipStream_tbEUlT_E0_NS1_11comp_targetILNS1_3genE4ELNS1_11target_archE910ELNS1_3gpuE8ELNS1_3repE0EEENS1_52radix_sort_onesweep_histogram_config_static_selectorELNS0_4arch9wavefront6targetE0EEEvSD_,@function
_ZN7rocprim17ROCPRIM_400000_NS6detail17trampoline_kernelINS0_14default_configENS1_35radix_sort_onesweep_config_selectorIsNS0_10empty_typeEEEZNS1_34radix_sort_onesweep_global_offsetsIS3_Lb1EPKsPS5_mNS0_19identity_decomposerEEE10hipError_tT1_T2_PT3_SF_jT4_jjP12ihipStream_tbEUlT_E0_NS1_11comp_targetILNS1_3genE4ELNS1_11target_archE910ELNS1_3gpuE8ELNS1_3repE0EEENS1_52radix_sort_onesweep_histogram_config_static_selectorELNS0_4arch9wavefront6targetE0EEEvSD_: ; @_ZN7rocprim17ROCPRIM_400000_NS6detail17trampoline_kernelINS0_14default_configENS1_35radix_sort_onesweep_config_selectorIsNS0_10empty_typeEEEZNS1_34radix_sort_onesweep_global_offsetsIS3_Lb1EPKsPS5_mNS0_19identity_decomposerEEE10hipError_tT1_T2_PT3_SF_jT4_jjP12ihipStream_tbEUlT_E0_NS1_11comp_targetILNS1_3genE4ELNS1_11target_archE910ELNS1_3gpuE8ELNS1_3repE0EEENS1_52radix_sort_onesweep_histogram_config_static_selectorELNS0_4arch9wavefront6targetE0EEEvSD_
; %bb.0:
	.section	.rodata,"a",@progbits
	.p2align	6, 0x0
	.amdhsa_kernel _ZN7rocprim17ROCPRIM_400000_NS6detail17trampoline_kernelINS0_14default_configENS1_35radix_sort_onesweep_config_selectorIsNS0_10empty_typeEEEZNS1_34radix_sort_onesweep_global_offsetsIS3_Lb1EPKsPS5_mNS0_19identity_decomposerEEE10hipError_tT1_T2_PT3_SF_jT4_jjP12ihipStream_tbEUlT_E0_NS1_11comp_targetILNS1_3genE4ELNS1_11target_archE910ELNS1_3gpuE8ELNS1_3repE0EEENS1_52radix_sort_onesweep_histogram_config_static_selectorELNS0_4arch9wavefront6targetE0EEEvSD_
		.amdhsa_group_segment_fixed_size 0
		.amdhsa_private_segment_fixed_size 0
		.amdhsa_kernarg_size 8
		.amdhsa_user_sgpr_count 2
		.amdhsa_user_sgpr_dispatch_ptr 0
		.amdhsa_user_sgpr_queue_ptr 0
		.amdhsa_user_sgpr_kernarg_segment_ptr 1
		.amdhsa_user_sgpr_dispatch_id 0
		.amdhsa_user_sgpr_kernarg_preload_length 0
		.amdhsa_user_sgpr_kernarg_preload_offset 0
		.amdhsa_user_sgpr_private_segment_size 0
		.amdhsa_wavefront_size32 1
		.amdhsa_uses_dynamic_stack 0
		.amdhsa_enable_private_segment 0
		.amdhsa_system_sgpr_workgroup_id_x 1
		.amdhsa_system_sgpr_workgroup_id_y 0
		.amdhsa_system_sgpr_workgroup_id_z 0
		.amdhsa_system_sgpr_workgroup_info 0
		.amdhsa_system_vgpr_workitem_id 0
		.amdhsa_next_free_vgpr 1
		.amdhsa_next_free_sgpr 1
		.amdhsa_named_barrier_count 0
		.amdhsa_reserve_vcc 0
		.amdhsa_float_round_mode_32 0
		.amdhsa_float_round_mode_16_64 0
		.amdhsa_float_denorm_mode_32 3
		.amdhsa_float_denorm_mode_16_64 3
		.amdhsa_fp16_overflow 0
		.amdhsa_memory_ordered 1
		.amdhsa_forward_progress 1
		.amdhsa_inst_pref_size 0
		.amdhsa_round_robin_scheduling 0
		.amdhsa_exception_fp_ieee_invalid_op 0
		.amdhsa_exception_fp_denorm_src 0
		.amdhsa_exception_fp_ieee_div_zero 0
		.amdhsa_exception_fp_ieee_overflow 0
		.amdhsa_exception_fp_ieee_underflow 0
		.amdhsa_exception_fp_ieee_inexact 0
		.amdhsa_exception_int_div_zero 0
	.end_amdhsa_kernel
	.section	.text._ZN7rocprim17ROCPRIM_400000_NS6detail17trampoline_kernelINS0_14default_configENS1_35radix_sort_onesweep_config_selectorIsNS0_10empty_typeEEEZNS1_34radix_sort_onesweep_global_offsetsIS3_Lb1EPKsPS5_mNS0_19identity_decomposerEEE10hipError_tT1_T2_PT3_SF_jT4_jjP12ihipStream_tbEUlT_E0_NS1_11comp_targetILNS1_3genE4ELNS1_11target_archE910ELNS1_3gpuE8ELNS1_3repE0EEENS1_52radix_sort_onesweep_histogram_config_static_selectorELNS0_4arch9wavefront6targetE0EEEvSD_,"axG",@progbits,_ZN7rocprim17ROCPRIM_400000_NS6detail17trampoline_kernelINS0_14default_configENS1_35radix_sort_onesweep_config_selectorIsNS0_10empty_typeEEEZNS1_34radix_sort_onesweep_global_offsetsIS3_Lb1EPKsPS5_mNS0_19identity_decomposerEEE10hipError_tT1_T2_PT3_SF_jT4_jjP12ihipStream_tbEUlT_E0_NS1_11comp_targetILNS1_3genE4ELNS1_11target_archE910ELNS1_3gpuE8ELNS1_3repE0EEENS1_52radix_sort_onesweep_histogram_config_static_selectorELNS0_4arch9wavefront6targetE0EEEvSD_,comdat
.Lfunc_end589:
	.size	_ZN7rocprim17ROCPRIM_400000_NS6detail17trampoline_kernelINS0_14default_configENS1_35radix_sort_onesweep_config_selectorIsNS0_10empty_typeEEEZNS1_34radix_sort_onesweep_global_offsetsIS3_Lb1EPKsPS5_mNS0_19identity_decomposerEEE10hipError_tT1_T2_PT3_SF_jT4_jjP12ihipStream_tbEUlT_E0_NS1_11comp_targetILNS1_3genE4ELNS1_11target_archE910ELNS1_3gpuE8ELNS1_3repE0EEENS1_52radix_sort_onesweep_histogram_config_static_selectorELNS0_4arch9wavefront6targetE0EEEvSD_, .Lfunc_end589-_ZN7rocprim17ROCPRIM_400000_NS6detail17trampoline_kernelINS0_14default_configENS1_35radix_sort_onesweep_config_selectorIsNS0_10empty_typeEEEZNS1_34radix_sort_onesweep_global_offsetsIS3_Lb1EPKsPS5_mNS0_19identity_decomposerEEE10hipError_tT1_T2_PT3_SF_jT4_jjP12ihipStream_tbEUlT_E0_NS1_11comp_targetILNS1_3genE4ELNS1_11target_archE910ELNS1_3gpuE8ELNS1_3repE0EEENS1_52radix_sort_onesweep_histogram_config_static_selectorELNS0_4arch9wavefront6targetE0EEEvSD_
                                        ; -- End function
	.set _ZN7rocprim17ROCPRIM_400000_NS6detail17trampoline_kernelINS0_14default_configENS1_35radix_sort_onesweep_config_selectorIsNS0_10empty_typeEEEZNS1_34radix_sort_onesweep_global_offsetsIS3_Lb1EPKsPS5_mNS0_19identity_decomposerEEE10hipError_tT1_T2_PT3_SF_jT4_jjP12ihipStream_tbEUlT_E0_NS1_11comp_targetILNS1_3genE4ELNS1_11target_archE910ELNS1_3gpuE8ELNS1_3repE0EEENS1_52radix_sort_onesweep_histogram_config_static_selectorELNS0_4arch9wavefront6targetE0EEEvSD_.num_vgpr, 0
	.set _ZN7rocprim17ROCPRIM_400000_NS6detail17trampoline_kernelINS0_14default_configENS1_35radix_sort_onesweep_config_selectorIsNS0_10empty_typeEEEZNS1_34radix_sort_onesweep_global_offsetsIS3_Lb1EPKsPS5_mNS0_19identity_decomposerEEE10hipError_tT1_T2_PT3_SF_jT4_jjP12ihipStream_tbEUlT_E0_NS1_11comp_targetILNS1_3genE4ELNS1_11target_archE910ELNS1_3gpuE8ELNS1_3repE0EEENS1_52radix_sort_onesweep_histogram_config_static_selectorELNS0_4arch9wavefront6targetE0EEEvSD_.num_agpr, 0
	.set _ZN7rocprim17ROCPRIM_400000_NS6detail17trampoline_kernelINS0_14default_configENS1_35radix_sort_onesweep_config_selectorIsNS0_10empty_typeEEEZNS1_34radix_sort_onesweep_global_offsetsIS3_Lb1EPKsPS5_mNS0_19identity_decomposerEEE10hipError_tT1_T2_PT3_SF_jT4_jjP12ihipStream_tbEUlT_E0_NS1_11comp_targetILNS1_3genE4ELNS1_11target_archE910ELNS1_3gpuE8ELNS1_3repE0EEENS1_52radix_sort_onesweep_histogram_config_static_selectorELNS0_4arch9wavefront6targetE0EEEvSD_.numbered_sgpr, 0
	.set _ZN7rocprim17ROCPRIM_400000_NS6detail17trampoline_kernelINS0_14default_configENS1_35radix_sort_onesweep_config_selectorIsNS0_10empty_typeEEEZNS1_34radix_sort_onesweep_global_offsetsIS3_Lb1EPKsPS5_mNS0_19identity_decomposerEEE10hipError_tT1_T2_PT3_SF_jT4_jjP12ihipStream_tbEUlT_E0_NS1_11comp_targetILNS1_3genE4ELNS1_11target_archE910ELNS1_3gpuE8ELNS1_3repE0EEENS1_52radix_sort_onesweep_histogram_config_static_selectorELNS0_4arch9wavefront6targetE0EEEvSD_.num_named_barrier, 0
	.set _ZN7rocprim17ROCPRIM_400000_NS6detail17trampoline_kernelINS0_14default_configENS1_35radix_sort_onesweep_config_selectorIsNS0_10empty_typeEEEZNS1_34radix_sort_onesweep_global_offsetsIS3_Lb1EPKsPS5_mNS0_19identity_decomposerEEE10hipError_tT1_T2_PT3_SF_jT4_jjP12ihipStream_tbEUlT_E0_NS1_11comp_targetILNS1_3genE4ELNS1_11target_archE910ELNS1_3gpuE8ELNS1_3repE0EEENS1_52radix_sort_onesweep_histogram_config_static_selectorELNS0_4arch9wavefront6targetE0EEEvSD_.private_seg_size, 0
	.set _ZN7rocprim17ROCPRIM_400000_NS6detail17trampoline_kernelINS0_14default_configENS1_35radix_sort_onesweep_config_selectorIsNS0_10empty_typeEEEZNS1_34radix_sort_onesweep_global_offsetsIS3_Lb1EPKsPS5_mNS0_19identity_decomposerEEE10hipError_tT1_T2_PT3_SF_jT4_jjP12ihipStream_tbEUlT_E0_NS1_11comp_targetILNS1_3genE4ELNS1_11target_archE910ELNS1_3gpuE8ELNS1_3repE0EEENS1_52radix_sort_onesweep_histogram_config_static_selectorELNS0_4arch9wavefront6targetE0EEEvSD_.uses_vcc, 0
	.set _ZN7rocprim17ROCPRIM_400000_NS6detail17trampoline_kernelINS0_14default_configENS1_35radix_sort_onesweep_config_selectorIsNS0_10empty_typeEEEZNS1_34radix_sort_onesweep_global_offsetsIS3_Lb1EPKsPS5_mNS0_19identity_decomposerEEE10hipError_tT1_T2_PT3_SF_jT4_jjP12ihipStream_tbEUlT_E0_NS1_11comp_targetILNS1_3genE4ELNS1_11target_archE910ELNS1_3gpuE8ELNS1_3repE0EEENS1_52radix_sort_onesweep_histogram_config_static_selectorELNS0_4arch9wavefront6targetE0EEEvSD_.uses_flat_scratch, 0
	.set _ZN7rocprim17ROCPRIM_400000_NS6detail17trampoline_kernelINS0_14default_configENS1_35radix_sort_onesweep_config_selectorIsNS0_10empty_typeEEEZNS1_34radix_sort_onesweep_global_offsetsIS3_Lb1EPKsPS5_mNS0_19identity_decomposerEEE10hipError_tT1_T2_PT3_SF_jT4_jjP12ihipStream_tbEUlT_E0_NS1_11comp_targetILNS1_3genE4ELNS1_11target_archE910ELNS1_3gpuE8ELNS1_3repE0EEENS1_52radix_sort_onesweep_histogram_config_static_selectorELNS0_4arch9wavefront6targetE0EEEvSD_.has_dyn_sized_stack, 0
	.set _ZN7rocprim17ROCPRIM_400000_NS6detail17trampoline_kernelINS0_14default_configENS1_35radix_sort_onesweep_config_selectorIsNS0_10empty_typeEEEZNS1_34radix_sort_onesweep_global_offsetsIS3_Lb1EPKsPS5_mNS0_19identity_decomposerEEE10hipError_tT1_T2_PT3_SF_jT4_jjP12ihipStream_tbEUlT_E0_NS1_11comp_targetILNS1_3genE4ELNS1_11target_archE910ELNS1_3gpuE8ELNS1_3repE0EEENS1_52radix_sort_onesweep_histogram_config_static_selectorELNS0_4arch9wavefront6targetE0EEEvSD_.has_recursion, 0
	.set _ZN7rocprim17ROCPRIM_400000_NS6detail17trampoline_kernelINS0_14default_configENS1_35radix_sort_onesweep_config_selectorIsNS0_10empty_typeEEEZNS1_34radix_sort_onesweep_global_offsetsIS3_Lb1EPKsPS5_mNS0_19identity_decomposerEEE10hipError_tT1_T2_PT3_SF_jT4_jjP12ihipStream_tbEUlT_E0_NS1_11comp_targetILNS1_3genE4ELNS1_11target_archE910ELNS1_3gpuE8ELNS1_3repE0EEENS1_52radix_sort_onesweep_histogram_config_static_selectorELNS0_4arch9wavefront6targetE0EEEvSD_.has_indirect_call, 0
	.section	.AMDGPU.csdata,"",@progbits
; Kernel info:
; codeLenInByte = 0
; TotalNumSgprs: 0
; NumVgprs: 0
; ScratchSize: 0
; MemoryBound: 0
; FloatMode: 240
; IeeeMode: 1
; LDSByteSize: 0 bytes/workgroup (compile time only)
; SGPRBlocks: 0
; VGPRBlocks: 0
; NumSGPRsForWavesPerEU: 1
; NumVGPRsForWavesPerEU: 1
; NamedBarCnt: 0
; Occupancy: 16
; WaveLimiterHint : 0
; COMPUTE_PGM_RSRC2:SCRATCH_EN: 0
; COMPUTE_PGM_RSRC2:USER_SGPR: 2
; COMPUTE_PGM_RSRC2:TRAP_HANDLER: 0
; COMPUTE_PGM_RSRC2:TGID_X_EN: 1
; COMPUTE_PGM_RSRC2:TGID_Y_EN: 0
; COMPUTE_PGM_RSRC2:TGID_Z_EN: 0
; COMPUTE_PGM_RSRC2:TIDIG_COMP_CNT: 0
	.section	.text._ZN7rocprim17ROCPRIM_400000_NS6detail17trampoline_kernelINS0_14default_configENS1_35radix_sort_onesweep_config_selectorIsNS0_10empty_typeEEEZNS1_34radix_sort_onesweep_global_offsetsIS3_Lb1EPKsPS5_mNS0_19identity_decomposerEEE10hipError_tT1_T2_PT3_SF_jT4_jjP12ihipStream_tbEUlT_E0_NS1_11comp_targetILNS1_3genE3ELNS1_11target_archE908ELNS1_3gpuE7ELNS1_3repE0EEENS1_52radix_sort_onesweep_histogram_config_static_selectorELNS0_4arch9wavefront6targetE0EEEvSD_,"axG",@progbits,_ZN7rocprim17ROCPRIM_400000_NS6detail17trampoline_kernelINS0_14default_configENS1_35radix_sort_onesweep_config_selectorIsNS0_10empty_typeEEEZNS1_34radix_sort_onesweep_global_offsetsIS3_Lb1EPKsPS5_mNS0_19identity_decomposerEEE10hipError_tT1_T2_PT3_SF_jT4_jjP12ihipStream_tbEUlT_E0_NS1_11comp_targetILNS1_3genE3ELNS1_11target_archE908ELNS1_3gpuE7ELNS1_3repE0EEENS1_52radix_sort_onesweep_histogram_config_static_selectorELNS0_4arch9wavefront6targetE0EEEvSD_,comdat
	.protected	_ZN7rocprim17ROCPRIM_400000_NS6detail17trampoline_kernelINS0_14default_configENS1_35radix_sort_onesweep_config_selectorIsNS0_10empty_typeEEEZNS1_34radix_sort_onesweep_global_offsetsIS3_Lb1EPKsPS5_mNS0_19identity_decomposerEEE10hipError_tT1_T2_PT3_SF_jT4_jjP12ihipStream_tbEUlT_E0_NS1_11comp_targetILNS1_3genE3ELNS1_11target_archE908ELNS1_3gpuE7ELNS1_3repE0EEENS1_52radix_sort_onesweep_histogram_config_static_selectorELNS0_4arch9wavefront6targetE0EEEvSD_ ; -- Begin function _ZN7rocprim17ROCPRIM_400000_NS6detail17trampoline_kernelINS0_14default_configENS1_35radix_sort_onesweep_config_selectorIsNS0_10empty_typeEEEZNS1_34radix_sort_onesweep_global_offsetsIS3_Lb1EPKsPS5_mNS0_19identity_decomposerEEE10hipError_tT1_T2_PT3_SF_jT4_jjP12ihipStream_tbEUlT_E0_NS1_11comp_targetILNS1_3genE3ELNS1_11target_archE908ELNS1_3gpuE7ELNS1_3repE0EEENS1_52radix_sort_onesweep_histogram_config_static_selectorELNS0_4arch9wavefront6targetE0EEEvSD_
	.globl	_ZN7rocprim17ROCPRIM_400000_NS6detail17trampoline_kernelINS0_14default_configENS1_35radix_sort_onesweep_config_selectorIsNS0_10empty_typeEEEZNS1_34radix_sort_onesweep_global_offsetsIS3_Lb1EPKsPS5_mNS0_19identity_decomposerEEE10hipError_tT1_T2_PT3_SF_jT4_jjP12ihipStream_tbEUlT_E0_NS1_11comp_targetILNS1_3genE3ELNS1_11target_archE908ELNS1_3gpuE7ELNS1_3repE0EEENS1_52radix_sort_onesweep_histogram_config_static_selectorELNS0_4arch9wavefront6targetE0EEEvSD_
	.p2align	8
	.type	_ZN7rocprim17ROCPRIM_400000_NS6detail17trampoline_kernelINS0_14default_configENS1_35radix_sort_onesweep_config_selectorIsNS0_10empty_typeEEEZNS1_34radix_sort_onesweep_global_offsetsIS3_Lb1EPKsPS5_mNS0_19identity_decomposerEEE10hipError_tT1_T2_PT3_SF_jT4_jjP12ihipStream_tbEUlT_E0_NS1_11comp_targetILNS1_3genE3ELNS1_11target_archE908ELNS1_3gpuE7ELNS1_3repE0EEENS1_52radix_sort_onesweep_histogram_config_static_selectorELNS0_4arch9wavefront6targetE0EEEvSD_,@function
_ZN7rocprim17ROCPRIM_400000_NS6detail17trampoline_kernelINS0_14default_configENS1_35radix_sort_onesweep_config_selectorIsNS0_10empty_typeEEEZNS1_34radix_sort_onesweep_global_offsetsIS3_Lb1EPKsPS5_mNS0_19identity_decomposerEEE10hipError_tT1_T2_PT3_SF_jT4_jjP12ihipStream_tbEUlT_E0_NS1_11comp_targetILNS1_3genE3ELNS1_11target_archE908ELNS1_3gpuE7ELNS1_3repE0EEENS1_52radix_sort_onesweep_histogram_config_static_selectorELNS0_4arch9wavefront6targetE0EEEvSD_: ; @_ZN7rocprim17ROCPRIM_400000_NS6detail17trampoline_kernelINS0_14default_configENS1_35radix_sort_onesweep_config_selectorIsNS0_10empty_typeEEEZNS1_34radix_sort_onesweep_global_offsetsIS3_Lb1EPKsPS5_mNS0_19identity_decomposerEEE10hipError_tT1_T2_PT3_SF_jT4_jjP12ihipStream_tbEUlT_E0_NS1_11comp_targetILNS1_3genE3ELNS1_11target_archE908ELNS1_3gpuE7ELNS1_3repE0EEENS1_52radix_sort_onesweep_histogram_config_static_selectorELNS0_4arch9wavefront6targetE0EEEvSD_
; %bb.0:
	.section	.rodata,"a",@progbits
	.p2align	6, 0x0
	.amdhsa_kernel _ZN7rocprim17ROCPRIM_400000_NS6detail17trampoline_kernelINS0_14default_configENS1_35radix_sort_onesweep_config_selectorIsNS0_10empty_typeEEEZNS1_34radix_sort_onesweep_global_offsetsIS3_Lb1EPKsPS5_mNS0_19identity_decomposerEEE10hipError_tT1_T2_PT3_SF_jT4_jjP12ihipStream_tbEUlT_E0_NS1_11comp_targetILNS1_3genE3ELNS1_11target_archE908ELNS1_3gpuE7ELNS1_3repE0EEENS1_52radix_sort_onesweep_histogram_config_static_selectorELNS0_4arch9wavefront6targetE0EEEvSD_
		.amdhsa_group_segment_fixed_size 0
		.amdhsa_private_segment_fixed_size 0
		.amdhsa_kernarg_size 8
		.amdhsa_user_sgpr_count 2
		.amdhsa_user_sgpr_dispatch_ptr 0
		.amdhsa_user_sgpr_queue_ptr 0
		.amdhsa_user_sgpr_kernarg_segment_ptr 1
		.amdhsa_user_sgpr_dispatch_id 0
		.amdhsa_user_sgpr_kernarg_preload_length 0
		.amdhsa_user_sgpr_kernarg_preload_offset 0
		.amdhsa_user_sgpr_private_segment_size 0
		.amdhsa_wavefront_size32 1
		.amdhsa_uses_dynamic_stack 0
		.amdhsa_enable_private_segment 0
		.amdhsa_system_sgpr_workgroup_id_x 1
		.amdhsa_system_sgpr_workgroup_id_y 0
		.amdhsa_system_sgpr_workgroup_id_z 0
		.amdhsa_system_sgpr_workgroup_info 0
		.amdhsa_system_vgpr_workitem_id 0
		.amdhsa_next_free_vgpr 1
		.amdhsa_next_free_sgpr 1
		.amdhsa_named_barrier_count 0
		.amdhsa_reserve_vcc 0
		.amdhsa_float_round_mode_32 0
		.amdhsa_float_round_mode_16_64 0
		.amdhsa_float_denorm_mode_32 3
		.amdhsa_float_denorm_mode_16_64 3
		.amdhsa_fp16_overflow 0
		.amdhsa_memory_ordered 1
		.amdhsa_forward_progress 1
		.amdhsa_inst_pref_size 0
		.amdhsa_round_robin_scheduling 0
		.amdhsa_exception_fp_ieee_invalid_op 0
		.amdhsa_exception_fp_denorm_src 0
		.amdhsa_exception_fp_ieee_div_zero 0
		.amdhsa_exception_fp_ieee_overflow 0
		.amdhsa_exception_fp_ieee_underflow 0
		.amdhsa_exception_fp_ieee_inexact 0
		.amdhsa_exception_int_div_zero 0
	.end_amdhsa_kernel
	.section	.text._ZN7rocprim17ROCPRIM_400000_NS6detail17trampoline_kernelINS0_14default_configENS1_35radix_sort_onesweep_config_selectorIsNS0_10empty_typeEEEZNS1_34radix_sort_onesweep_global_offsetsIS3_Lb1EPKsPS5_mNS0_19identity_decomposerEEE10hipError_tT1_T2_PT3_SF_jT4_jjP12ihipStream_tbEUlT_E0_NS1_11comp_targetILNS1_3genE3ELNS1_11target_archE908ELNS1_3gpuE7ELNS1_3repE0EEENS1_52radix_sort_onesweep_histogram_config_static_selectorELNS0_4arch9wavefront6targetE0EEEvSD_,"axG",@progbits,_ZN7rocprim17ROCPRIM_400000_NS6detail17trampoline_kernelINS0_14default_configENS1_35radix_sort_onesweep_config_selectorIsNS0_10empty_typeEEEZNS1_34radix_sort_onesweep_global_offsetsIS3_Lb1EPKsPS5_mNS0_19identity_decomposerEEE10hipError_tT1_T2_PT3_SF_jT4_jjP12ihipStream_tbEUlT_E0_NS1_11comp_targetILNS1_3genE3ELNS1_11target_archE908ELNS1_3gpuE7ELNS1_3repE0EEENS1_52radix_sort_onesweep_histogram_config_static_selectorELNS0_4arch9wavefront6targetE0EEEvSD_,comdat
.Lfunc_end590:
	.size	_ZN7rocprim17ROCPRIM_400000_NS6detail17trampoline_kernelINS0_14default_configENS1_35radix_sort_onesweep_config_selectorIsNS0_10empty_typeEEEZNS1_34radix_sort_onesweep_global_offsetsIS3_Lb1EPKsPS5_mNS0_19identity_decomposerEEE10hipError_tT1_T2_PT3_SF_jT4_jjP12ihipStream_tbEUlT_E0_NS1_11comp_targetILNS1_3genE3ELNS1_11target_archE908ELNS1_3gpuE7ELNS1_3repE0EEENS1_52radix_sort_onesweep_histogram_config_static_selectorELNS0_4arch9wavefront6targetE0EEEvSD_, .Lfunc_end590-_ZN7rocprim17ROCPRIM_400000_NS6detail17trampoline_kernelINS0_14default_configENS1_35radix_sort_onesweep_config_selectorIsNS0_10empty_typeEEEZNS1_34radix_sort_onesweep_global_offsetsIS3_Lb1EPKsPS5_mNS0_19identity_decomposerEEE10hipError_tT1_T2_PT3_SF_jT4_jjP12ihipStream_tbEUlT_E0_NS1_11comp_targetILNS1_3genE3ELNS1_11target_archE908ELNS1_3gpuE7ELNS1_3repE0EEENS1_52radix_sort_onesweep_histogram_config_static_selectorELNS0_4arch9wavefront6targetE0EEEvSD_
                                        ; -- End function
	.set _ZN7rocprim17ROCPRIM_400000_NS6detail17trampoline_kernelINS0_14default_configENS1_35radix_sort_onesweep_config_selectorIsNS0_10empty_typeEEEZNS1_34radix_sort_onesweep_global_offsetsIS3_Lb1EPKsPS5_mNS0_19identity_decomposerEEE10hipError_tT1_T2_PT3_SF_jT4_jjP12ihipStream_tbEUlT_E0_NS1_11comp_targetILNS1_3genE3ELNS1_11target_archE908ELNS1_3gpuE7ELNS1_3repE0EEENS1_52radix_sort_onesweep_histogram_config_static_selectorELNS0_4arch9wavefront6targetE0EEEvSD_.num_vgpr, 0
	.set _ZN7rocprim17ROCPRIM_400000_NS6detail17trampoline_kernelINS0_14default_configENS1_35radix_sort_onesweep_config_selectorIsNS0_10empty_typeEEEZNS1_34radix_sort_onesweep_global_offsetsIS3_Lb1EPKsPS5_mNS0_19identity_decomposerEEE10hipError_tT1_T2_PT3_SF_jT4_jjP12ihipStream_tbEUlT_E0_NS1_11comp_targetILNS1_3genE3ELNS1_11target_archE908ELNS1_3gpuE7ELNS1_3repE0EEENS1_52radix_sort_onesweep_histogram_config_static_selectorELNS0_4arch9wavefront6targetE0EEEvSD_.num_agpr, 0
	.set _ZN7rocprim17ROCPRIM_400000_NS6detail17trampoline_kernelINS0_14default_configENS1_35radix_sort_onesweep_config_selectorIsNS0_10empty_typeEEEZNS1_34radix_sort_onesweep_global_offsetsIS3_Lb1EPKsPS5_mNS0_19identity_decomposerEEE10hipError_tT1_T2_PT3_SF_jT4_jjP12ihipStream_tbEUlT_E0_NS1_11comp_targetILNS1_3genE3ELNS1_11target_archE908ELNS1_3gpuE7ELNS1_3repE0EEENS1_52radix_sort_onesweep_histogram_config_static_selectorELNS0_4arch9wavefront6targetE0EEEvSD_.numbered_sgpr, 0
	.set _ZN7rocprim17ROCPRIM_400000_NS6detail17trampoline_kernelINS0_14default_configENS1_35radix_sort_onesweep_config_selectorIsNS0_10empty_typeEEEZNS1_34radix_sort_onesweep_global_offsetsIS3_Lb1EPKsPS5_mNS0_19identity_decomposerEEE10hipError_tT1_T2_PT3_SF_jT4_jjP12ihipStream_tbEUlT_E0_NS1_11comp_targetILNS1_3genE3ELNS1_11target_archE908ELNS1_3gpuE7ELNS1_3repE0EEENS1_52radix_sort_onesweep_histogram_config_static_selectorELNS0_4arch9wavefront6targetE0EEEvSD_.num_named_barrier, 0
	.set _ZN7rocprim17ROCPRIM_400000_NS6detail17trampoline_kernelINS0_14default_configENS1_35radix_sort_onesweep_config_selectorIsNS0_10empty_typeEEEZNS1_34radix_sort_onesweep_global_offsetsIS3_Lb1EPKsPS5_mNS0_19identity_decomposerEEE10hipError_tT1_T2_PT3_SF_jT4_jjP12ihipStream_tbEUlT_E0_NS1_11comp_targetILNS1_3genE3ELNS1_11target_archE908ELNS1_3gpuE7ELNS1_3repE0EEENS1_52radix_sort_onesweep_histogram_config_static_selectorELNS0_4arch9wavefront6targetE0EEEvSD_.private_seg_size, 0
	.set _ZN7rocprim17ROCPRIM_400000_NS6detail17trampoline_kernelINS0_14default_configENS1_35radix_sort_onesweep_config_selectorIsNS0_10empty_typeEEEZNS1_34radix_sort_onesweep_global_offsetsIS3_Lb1EPKsPS5_mNS0_19identity_decomposerEEE10hipError_tT1_T2_PT3_SF_jT4_jjP12ihipStream_tbEUlT_E0_NS1_11comp_targetILNS1_3genE3ELNS1_11target_archE908ELNS1_3gpuE7ELNS1_3repE0EEENS1_52radix_sort_onesweep_histogram_config_static_selectorELNS0_4arch9wavefront6targetE0EEEvSD_.uses_vcc, 0
	.set _ZN7rocprim17ROCPRIM_400000_NS6detail17trampoline_kernelINS0_14default_configENS1_35radix_sort_onesweep_config_selectorIsNS0_10empty_typeEEEZNS1_34radix_sort_onesweep_global_offsetsIS3_Lb1EPKsPS5_mNS0_19identity_decomposerEEE10hipError_tT1_T2_PT3_SF_jT4_jjP12ihipStream_tbEUlT_E0_NS1_11comp_targetILNS1_3genE3ELNS1_11target_archE908ELNS1_3gpuE7ELNS1_3repE0EEENS1_52radix_sort_onesweep_histogram_config_static_selectorELNS0_4arch9wavefront6targetE0EEEvSD_.uses_flat_scratch, 0
	.set _ZN7rocprim17ROCPRIM_400000_NS6detail17trampoline_kernelINS0_14default_configENS1_35radix_sort_onesweep_config_selectorIsNS0_10empty_typeEEEZNS1_34radix_sort_onesweep_global_offsetsIS3_Lb1EPKsPS5_mNS0_19identity_decomposerEEE10hipError_tT1_T2_PT3_SF_jT4_jjP12ihipStream_tbEUlT_E0_NS1_11comp_targetILNS1_3genE3ELNS1_11target_archE908ELNS1_3gpuE7ELNS1_3repE0EEENS1_52radix_sort_onesweep_histogram_config_static_selectorELNS0_4arch9wavefront6targetE0EEEvSD_.has_dyn_sized_stack, 0
	.set _ZN7rocprim17ROCPRIM_400000_NS6detail17trampoline_kernelINS0_14default_configENS1_35radix_sort_onesweep_config_selectorIsNS0_10empty_typeEEEZNS1_34radix_sort_onesweep_global_offsetsIS3_Lb1EPKsPS5_mNS0_19identity_decomposerEEE10hipError_tT1_T2_PT3_SF_jT4_jjP12ihipStream_tbEUlT_E0_NS1_11comp_targetILNS1_3genE3ELNS1_11target_archE908ELNS1_3gpuE7ELNS1_3repE0EEENS1_52radix_sort_onesweep_histogram_config_static_selectorELNS0_4arch9wavefront6targetE0EEEvSD_.has_recursion, 0
	.set _ZN7rocprim17ROCPRIM_400000_NS6detail17trampoline_kernelINS0_14default_configENS1_35radix_sort_onesweep_config_selectorIsNS0_10empty_typeEEEZNS1_34radix_sort_onesweep_global_offsetsIS3_Lb1EPKsPS5_mNS0_19identity_decomposerEEE10hipError_tT1_T2_PT3_SF_jT4_jjP12ihipStream_tbEUlT_E0_NS1_11comp_targetILNS1_3genE3ELNS1_11target_archE908ELNS1_3gpuE7ELNS1_3repE0EEENS1_52radix_sort_onesweep_histogram_config_static_selectorELNS0_4arch9wavefront6targetE0EEEvSD_.has_indirect_call, 0
	.section	.AMDGPU.csdata,"",@progbits
; Kernel info:
; codeLenInByte = 0
; TotalNumSgprs: 0
; NumVgprs: 0
; ScratchSize: 0
; MemoryBound: 0
; FloatMode: 240
; IeeeMode: 1
; LDSByteSize: 0 bytes/workgroup (compile time only)
; SGPRBlocks: 0
; VGPRBlocks: 0
; NumSGPRsForWavesPerEU: 1
; NumVGPRsForWavesPerEU: 1
; NamedBarCnt: 0
; Occupancy: 16
; WaveLimiterHint : 0
; COMPUTE_PGM_RSRC2:SCRATCH_EN: 0
; COMPUTE_PGM_RSRC2:USER_SGPR: 2
; COMPUTE_PGM_RSRC2:TRAP_HANDLER: 0
; COMPUTE_PGM_RSRC2:TGID_X_EN: 1
; COMPUTE_PGM_RSRC2:TGID_Y_EN: 0
; COMPUTE_PGM_RSRC2:TGID_Z_EN: 0
; COMPUTE_PGM_RSRC2:TIDIG_COMP_CNT: 0
	.section	.text._ZN7rocprim17ROCPRIM_400000_NS6detail17trampoline_kernelINS0_14default_configENS1_35radix_sort_onesweep_config_selectorIsNS0_10empty_typeEEEZNS1_34radix_sort_onesweep_global_offsetsIS3_Lb1EPKsPS5_mNS0_19identity_decomposerEEE10hipError_tT1_T2_PT3_SF_jT4_jjP12ihipStream_tbEUlT_E0_NS1_11comp_targetILNS1_3genE10ELNS1_11target_archE1201ELNS1_3gpuE5ELNS1_3repE0EEENS1_52radix_sort_onesweep_histogram_config_static_selectorELNS0_4arch9wavefront6targetE0EEEvSD_,"axG",@progbits,_ZN7rocprim17ROCPRIM_400000_NS6detail17trampoline_kernelINS0_14default_configENS1_35radix_sort_onesweep_config_selectorIsNS0_10empty_typeEEEZNS1_34radix_sort_onesweep_global_offsetsIS3_Lb1EPKsPS5_mNS0_19identity_decomposerEEE10hipError_tT1_T2_PT3_SF_jT4_jjP12ihipStream_tbEUlT_E0_NS1_11comp_targetILNS1_3genE10ELNS1_11target_archE1201ELNS1_3gpuE5ELNS1_3repE0EEENS1_52radix_sort_onesweep_histogram_config_static_selectorELNS0_4arch9wavefront6targetE0EEEvSD_,comdat
	.protected	_ZN7rocprim17ROCPRIM_400000_NS6detail17trampoline_kernelINS0_14default_configENS1_35radix_sort_onesweep_config_selectorIsNS0_10empty_typeEEEZNS1_34radix_sort_onesweep_global_offsetsIS3_Lb1EPKsPS5_mNS0_19identity_decomposerEEE10hipError_tT1_T2_PT3_SF_jT4_jjP12ihipStream_tbEUlT_E0_NS1_11comp_targetILNS1_3genE10ELNS1_11target_archE1201ELNS1_3gpuE5ELNS1_3repE0EEENS1_52radix_sort_onesweep_histogram_config_static_selectorELNS0_4arch9wavefront6targetE0EEEvSD_ ; -- Begin function _ZN7rocprim17ROCPRIM_400000_NS6detail17trampoline_kernelINS0_14default_configENS1_35radix_sort_onesweep_config_selectorIsNS0_10empty_typeEEEZNS1_34radix_sort_onesweep_global_offsetsIS3_Lb1EPKsPS5_mNS0_19identity_decomposerEEE10hipError_tT1_T2_PT3_SF_jT4_jjP12ihipStream_tbEUlT_E0_NS1_11comp_targetILNS1_3genE10ELNS1_11target_archE1201ELNS1_3gpuE5ELNS1_3repE0EEENS1_52radix_sort_onesweep_histogram_config_static_selectorELNS0_4arch9wavefront6targetE0EEEvSD_
	.globl	_ZN7rocprim17ROCPRIM_400000_NS6detail17trampoline_kernelINS0_14default_configENS1_35radix_sort_onesweep_config_selectorIsNS0_10empty_typeEEEZNS1_34radix_sort_onesweep_global_offsetsIS3_Lb1EPKsPS5_mNS0_19identity_decomposerEEE10hipError_tT1_T2_PT3_SF_jT4_jjP12ihipStream_tbEUlT_E0_NS1_11comp_targetILNS1_3genE10ELNS1_11target_archE1201ELNS1_3gpuE5ELNS1_3repE0EEENS1_52radix_sort_onesweep_histogram_config_static_selectorELNS0_4arch9wavefront6targetE0EEEvSD_
	.p2align	8
	.type	_ZN7rocprim17ROCPRIM_400000_NS6detail17trampoline_kernelINS0_14default_configENS1_35radix_sort_onesweep_config_selectorIsNS0_10empty_typeEEEZNS1_34radix_sort_onesweep_global_offsetsIS3_Lb1EPKsPS5_mNS0_19identity_decomposerEEE10hipError_tT1_T2_PT3_SF_jT4_jjP12ihipStream_tbEUlT_E0_NS1_11comp_targetILNS1_3genE10ELNS1_11target_archE1201ELNS1_3gpuE5ELNS1_3repE0EEENS1_52radix_sort_onesweep_histogram_config_static_selectorELNS0_4arch9wavefront6targetE0EEEvSD_,@function
_ZN7rocprim17ROCPRIM_400000_NS6detail17trampoline_kernelINS0_14default_configENS1_35radix_sort_onesweep_config_selectorIsNS0_10empty_typeEEEZNS1_34radix_sort_onesweep_global_offsetsIS3_Lb1EPKsPS5_mNS0_19identity_decomposerEEE10hipError_tT1_T2_PT3_SF_jT4_jjP12ihipStream_tbEUlT_E0_NS1_11comp_targetILNS1_3genE10ELNS1_11target_archE1201ELNS1_3gpuE5ELNS1_3repE0EEENS1_52radix_sort_onesweep_histogram_config_static_selectorELNS0_4arch9wavefront6targetE0EEEvSD_: ; @_ZN7rocprim17ROCPRIM_400000_NS6detail17trampoline_kernelINS0_14default_configENS1_35radix_sort_onesweep_config_selectorIsNS0_10empty_typeEEEZNS1_34radix_sort_onesweep_global_offsetsIS3_Lb1EPKsPS5_mNS0_19identity_decomposerEEE10hipError_tT1_T2_PT3_SF_jT4_jjP12ihipStream_tbEUlT_E0_NS1_11comp_targetILNS1_3genE10ELNS1_11target_archE1201ELNS1_3gpuE5ELNS1_3repE0EEENS1_52radix_sort_onesweep_histogram_config_static_selectorELNS0_4arch9wavefront6targetE0EEEvSD_
; %bb.0:
	.section	.rodata,"a",@progbits
	.p2align	6, 0x0
	.amdhsa_kernel _ZN7rocprim17ROCPRIM_400000_NS6detail17trampoline_kernelINS0_14default_configENS1_35radix_sort_onesweep_config_selectorIsNS0_10empty_typeEEEZNS1_34radix_sort_onesweep_global_offsetsIS3_Lb1EPKsPS5_mNS0_19identity_decomposerEEE10hipError_tT1_T2_PT3_SF_jT4_jjP12ihipStream_tbEUlT_E0_NS1_11comp_targetILNS1_3genE10ELNS1_11target_archE1201ELNS1_3gpuE5ELNS1_3repE0EEENS1_52radix_sort_onesweep_histogram_config_static_selectorELNS0_4arch9wavefront6targetE0EEEvSD_
		.amdhsa_group_segment_fixed_size 0
		.amdhsa_private_segment_fixed_size 0
		.amdhsa_kernarg_size 8
		.amdhsa_user_sgpr_count 2
		.amdhsa_user_sgpr_dispatch_ptr 0
		.amdhsa_user_sgpr_queue_ptr 0
		.amdhsa_user_sgpr_kernarg_segment_ptr 1
		.amdhsa_user_sgpr_dispatch_id 0
		.amdhsa_user_sgpr_kernarg_preload_length 0
		.amdhsa_user_sgpr_kernarg_preload_offset 0
		.amdhsa_user_sgpr_private_segment_size 0
		.amdhsa_wavefront_size32 1
		.amdhsa_uses_dynamic_stack 0
		.amdhsa_enable_private_segment 0
		.amdhsa_system_sgpr_workgroup_id_x 1
		.amdhsa_system_sgpr_workgroup_id_y 0
		.amdhsa_system_sgpr_workgroup_id_z 0
		.amdhsa_system_sgpr_workgroup_info 0
		.amdhsa_system_vgpr_workitem_id 0
		.amdhsa_next_free_vgpr 1
		.amdhsa_next_free_sgpr 1
		.amdhsa_named_barrier_count 0
		.amdhsa_reserve_vcc 0
		.amdhsa_float_round_mode_32 0
		.amdhsa_float_round_mode_16_64 0
		.amdhsa_float_denorm_mode_32 3
		.amdhsa_float_denorm_mode_16_64 3
		.amdhsa_fp16_overflow 0
		.amdhsa_memory_ordered 1
		.amdhsa_forward_progress 1
		.amdhsa_inst_pref_size 0
		.amdhsa_round_robin_scheduling 0
		.amdhsa_exception_fp_ieee_invalid_op 0
		.amdhsa_exception_fp_denorm_src 0
		.amdhsa_exception_fp_ieee_div_zero 0
		.amdhsa_exception_fp_ieee_overflow 0
		.amdhsa_exception_fp_ieee_underflow 0
		.amdhsa_exception_fp_ieee_inexact 0
		.amdhsa_exception_int_div_zero 0
	.end_amdhsa_kernel
	.section	.text._ZN7rocprim17ROCPRIM_400000_NS6detail17trampoline_kernelINS0_14default_configENS1_35radix_sort_onesweep_config_selectorIsNS0_10empty_typeEEEZNS1_34radix_sort_onesweep_global_offsetsIS3_Lb1EPKsPS5_mNS0_19identity_decomposerEEE10hipError_tT1_T2_PT3_SF_jT4_jjP12ihipStream_tbEUlT_E0_NS1_11comp_targetILNS1_3genE10ELNS1_11target_archE1201ELNS1_3gpuE5ELNS1_3repE0EEENS1_52radix_sort_onesweep_histogram_config_static_selectorELNS0_4arch9wavefront6targetE0EEEvSD_,"axG",@progbits,_ZN7rocprim17ROCPRIM_400000_NS6detail17trampoline_kernelINS0_14default_configENS1_35radix_sort_onesweep_config_selectorIsNS0_10empty_typeEEEZNS1_34radix_sort_onesweep_global_offsetsIS3_Lb1EPKsPS5_mNS0_19identity_decomposerEEE10hipError_tT1_T2_PT3_SF_jT4_jjP12ihipStream_tbEUlT_E0_NS1_11comp_targetILNS1_3genE10ELNS1_11target_archE1201ELNS1_3gpuE5ELNS1_3repE0EEENS1_52radix_sort_onesweep_histogram_config_static_selectorELNS0_4arch9wavefront6targetE0EEEvSD_,comdat
.Lfunc_end591:
	.size	_ZN7rocprim17ROCPRIM_400000_NS6detail17trampoline_kernelINS0_14default_configENS1_35radix_sort_onesweep_config_selectorIsNS0_10empty_typeEEEZNS1_34radix_sort_onesweep_global_offsetsIS3_Lb1EPKsPS5_mNS0_19identity_decomposerEEE10hipError_tT1_T2_PT3_SF_jT4_jjP12ihipStream_tbEUlT_E0_NS1_11comp_targetILNS1_3genE10ELNS1_11target_archE1201ELNS1_3gpuE5ELNS1_3repE0EEENS1_52radix_sort_onesweep_histogram_config_static_selectorELNS0_4arch9wavefront6targetE0EEEvSD_, .Lfunc_end591-_ZN7rocprim17ROCPRIM_400000_NS6detail17trampoline_kernelINS0_14default_configENS1_35radix_sort_onesweep_config_selectorIsNS0_10empty_typeEEEZNS1_34radix_sort_onesweep_global_offsetsIS3_Lb1EPKsPS5_mNS0_19identity_decomposerEEE10hipError_tT1_T2_PT3_SF_jT4_jjP12ihipStream_tbEUlT_E0_NS1_11comp_targetILNS1_3genE10ELNS1_11target_archE1201ELNS1_3gpuE5ELNS1_3repE0EEENS1_52radix_sort_onesweep_histogram_config_static_selectorELNS0_4arch9wavefront6targetE0EEEvSD_
                                        ; -- End function
	.set _ZN7rocprim17ROCPRIM_400000_NS6detail17trampoline_kernelINS0_14default_configENS1_35radix_sort_onesweep_config_selectorIsNS0_10empty_typeEEEZNS1_34radix_sort_onesweep_global_offsetsIS3_Lb1EPKsPS5_mNS0_19identity_decomposerEEE10hipError_tT1_T2_PT3_SF_jT4_jjP12ihipStream_tbEUlT_E0_NS1_11comp_targetILNS1_3genE10ELNS1_11target_archE1201ELNS1_3gpuE5ELNS1_3repE0EEENS1_52radix_sort_onesweep_histogram_config_static_selectorELNS0_4arch9wavefront6targetE0EEEvSD_.num_vgpr, 0
	.set _ZN7rocprim17ROCPRIM_400000_NS6detail17trampoline_kernelINS0_14default_configENS1_35radix_sort_onesweep_config_selectorIsNS0_10empty_typeEEEZNS1_34radix_sort_onesweep_global_offsetsIS3_Lb1EPKsPS5_mNS0_19identity_decomposerEEE10hipError_tT1_T2_PT3_SF_jT4_jjP12ihipStream_tbEUlT_E0_NS1_11comp_targetILNS1_3genE10ELNS1_11target_archE1201ELNS1_3gpuE5ELNS1_3repE0EEENS1_52radix_sort_onesweep_histogram_config_static_selectorELNS0_4arch9wavefront6targetE0EEEvSD_.num_agpr, 0
	.set _ZN7rocprim17ROCPRIM_400000_NS6detail17trampoline_kernelINS0_14default_configENS1_35radix_sort_onesweep_config_selectorIsNS0_10empty_typeEEEZNS1_34radix_sort_onesweep_global_offsetsIS3_Lb1EPKsPS5_mNS0_19identity_decomposerEEE10hipError_tT1_T2_PT3_SF_jT4_jjP12ihipStream_tbEUlT_E0_NS1_11comp_targetILNS1_3genE10ELNS1_11target_archE1201ELNS1_3gpuE5ELNS1_3repE0EEENS1_52radix_sort_onesweep_histogram_config_static_selectorELNS0_4arch9wavefront6targetE0EEEvSD_.numbered_sgpr, 0
	.set _ZN7rocprim17ROCPRIM_400000_NS6detail17trampoline_kernelINS0_14default_configENS1_35radix_sort_onesweep_config_selectorIsNS0_10empty_typeEEEZNS1_34radix_sort_onesweep_global_offsetsIS3_Lb1EPKsPS5_mNS0_19identity_decomposerEEE10hipError_tT1_T2_PT3_SF_jT4_jjP12ihipStream_tbEUlT_E0_NS1_11comp_targetILNS1_3genE10ELNS1_11target_archE1201ELNS1_3gpuE5ELNS1_3repE0EEENS1_52radix_sort_onesweep_histogram_config_static_selectorELNS0_4arch9wavefront6targetE0EEEvSD_.num_named_barrier, 0
	.set _ZN7rocprim17ROCPRIM_400000_NS6detail17trampoline_kernelINS0_14default_configENS1_35radix_sort_onesweep_config_selectorIsNS0_10empty_typeEEEZNS1_34radix_sort_onesweep_global_offsetsIS3_Lb1EPKsPS5_mNS0_19identity_decomposerEEE10hipError_tT1_T2_PT3_SF_jT4_jjP12ihipStream_tbEUlT_E0_NS1_11comp_targetILNS1_3genE10ELNS1_11target_archE1201ELNS1_3gpuE5ELNS1_3repE0EEENS1_52radix_sort_onesweep_histogram_config_static_selectorELNS0_4arch9wavefront6targetE0EEEvSD_.private_seg_size, 0
	.set _ZN7rocprim17ROCPRIM_400000_NS6detail17trampoline_kernelINS0_14default_configENS1_35radix_sort_onesweep_config_selectorIsNS0_10empty_typeEEEZNS1_34radix_sort_onesweep_global_offsetsIS3_Lb1EPKsPS5_mNS0_19identity_decomposerEEE10hipError_tT1_T2_PT3_SF_jT4_jjP12ihipStream_tbEUlT_E0_NS1_11comp_targetILNS1_3genE10ELNS1_11target_archE1201ELNS1_3gpuE5ELNS1_3repE0EEENS1_52radix_sort_onesweep_histogram_config_static_selectorELNS0_4arch9wavefront6targetE0EEEvSD_.uses_vcc, 0
	.set _ZN7rocprim17ROCPRIM_400000_NS6detail17trampoline_kernelINS0_14default_configENS1_35radix_sort_onesweep_config_selectorIsNS0_10empty_typeEEEZNS1_34radix_sort_onesweep_global_offsetsIS3_Lb1EPKsPS5_mNS0_19identity_decomposerEEE10hipError_tT1_T2_PT3_SF_jT4_jjP12ihipStream_tbEUlT_E0_NS1_11comp_targetILNS1_3genE10ELNS1_11target_archE1201ELNS1_3gpuE5ELNS1_3repE0EEENS1_52radix_sort_onesweep_histogram_config_static_selectorELNS0_4arch9wavefront6targetE0EEEvSD_.uses_flat_scratch, 0
	.set _ZN7rocprim17ROCPRIM_400000_NS6detail17trampoline_kernelINS0_14default_configENS1_35radix_sort_onesweep_config_selectorIsNS0_10empty_typeEEEZNS1_34radix_sort_onesweep_global_offsetsIS3_Lb1EPKsPS5_mNS0_19identity_decomposerEEE10hipError_tT1_T2_PT3_SF_jT4_jjP12ihipStream_tbEUlT_E0_NS1_11comp_targetILNS1_3genE10ELNS1_11target_archE1201ELNS1_3gpuE5ELNS1_3repE0EEENS1_52radix_sort_onesweep_histogram_config_static_selectorELNS0_4arch9wavefront6targetE0EEEvSD_.has_dyn_sized_stack, 0
	.set _ZN7rocprim17ROCPRIM_400000_NS6detail17trampoline_kernelINS0_14default_configENS1_35radix_sort_onesweep_config_selectorIsNS0_10empty_typeEEEZNS1_34radix_sort_onesweep_global_offsetsIS3_Lb1EPKsPS5_mNS0_19identity_decomposerEEE10hipError_tT1_T2_PT3_SF_jT4_jjP12ihipStream_tbEUlT_E0_NS1_11comp_targetILNS1_3genE10ELNS1_11target_archE1201ELNS1_3gpuE5ELNS1_3repE0EEENS1_52radix_sort_onesweep_histogram_config_static_selectorELNS0_4arch9wavefront6targetE0EEEvSD_.has_recursion, 0
	.set _ZN7rocprim17ROCPRIM_400000_NS6detail17trampoline_kernelINS0_14default_configENS1_35radix_sort_onesweep_config_selectorIsNS0_10empty_typeEEEZNS1_34radix_sort_onesweep_global_offsetsIS3_Lb1EPKsPS5_mNS0_19identity_decomposerEEE10hipError_tT1_T2_PT3_SF_jT4_jjP12ihipStream_tbEUlT_E0_NS1_11comp_targetILNS1_3genE10ELNS1_11target_archE1201ELNS1_3gpuE5ELNS1_3repE0EEENS1_52radix_sort_onesweep_histogram_config_static_selectorELNS0_4arch9wavefront6targetE0EEEvSD_.has_indirect_call, 0
	.section	.AMDGPU.csdata,"",@progbits
; Kernel info:
; codeLenInByte = 0
; TotalNumSgprs: 0
; NumVgprs: 0
; ScratchSize: 0
; MemoryBound: 0
; FloatMode: 240
; IeeeMode: 1
; LDSByteSize: 0 bytes/workgroup (compile time only)
; SGPRBlocks: 0
; VGPRBlocks: 0
; NumSGPRsForWavesPerEU: 1
; NumVGPRsForWavesPerEU: 1
; NamedBarCnt: 0
; Occupancy: 16
; WaveLimiterHint : 0
; COMPUTE_PGM_RSRC2:SCRATCH_EN: 0
; COMPUTE_PGM_RSRC2:USER_SGPR: 2
; COMPUTE_PGM_RSRC2:TRAP_HANDLER: 0
; COMPUTE_PGM_RSRC2:TGID_X_EN: 1
; COMPUTE_PGM_RSRC2:TGID_Y_EN: 0
; COMPUTE_PGM_RSRC2:TGID_Z_EN: 0
; COMPUTE_PGM_RSRC2:TIDIG_COMP_CNT: 0
	.section	.text._ZN7rocprim17ROCPRIM_400000_NS6detail17trampoline_kernelINS0_14default_configENS1_35radix_sort_onesweep_config_selectorIsNS0_10empty_typeEEEZNS1_34radix_sort_onesweep_global_offsetsIS3_Lb1EPKsPS5_mNS0_19identity_decomposerEEE10hipError_tT1_T2_PT3_SF_jT4_jjP12ihipStream_tbEUlT_E0_NS1_11comp_targetILNS1_3genE9ELNS1_11target_archE1100ELNS1_3gpuE3ELNS1_3repE0EEENS1_52radix_sort_onesweep_histogram_config_static_selectorELNS0_4arch9wavefront6targetE0EEEvSD_,"axG",@progbits,_ZN7rocprim17ROCPRIM_400000_NS6detail17trampoline_kernelINS0_14default_configENS1_35radix_sort_onesweep_config_selectorIsNS0_10empty_typeEEEZNS1_34radix_sort_onesweep_global_offsetsIS3_Lb1EPKsPS5_mNS0_19identity_decomposerEEE10hipError_tT1_T2_PT3_SF_jT4_jjP12ihipStream_tbEUlT_E0_NS1_11comp_targetILNS1_3genE9ELNS1_11target_archE1100ELNS1_3gpuE3ELNS1_3repE0EEENS1_52radix_sort_onesweep_histogram_config_static_selectorELNS0_4arch9wavefront6targetE0EEEvSD_,comdat
	.protected	_ZN7rocprim17ROCPRIM_400000_NS6detail17trampoline_kernelINS0_14default_configENS1_35radix_sort_onesweep_config_selectorIsNS0_10empty_typeEEEZNS1_34radix_sort_onesweep_global_offsetsIS3_Lb1EPKsPS5_mNS0_19identity_decomposerEEE10hipError_tT1_T2_PT3_SF_jT4_jjP12ihipStream_tbEUlT_E0_NS1_11comp_targetILNS1_3genE9ELNS1_11target_archE1100ELNS1_3gpuE3ELNS1_3repE0EEENS1_52radix_sort_onesweep_histogram_config_static_selectorELNS0_4arch9wavefront6targetE0EEEvSD_ ; -- Begin function _ZN7rocprim17ROCPRIM_400000_NS6detail17trampoline_kernelINS0_14default_configENS1_35radix_sort_onesweep_config_selectorIsNS0_10empty_typeEEEZNS1_34radix_sort_onesweep_global_offsetsIS3_Lb1EPKsPS5_mNS0_19identity_decomposerEEE10hipError_tT1_T2_PT3_SF_jT4_jjP12ihipStream_tbEUlT_E0_NS1_11comp_targetILNS1_3genE9ELNS1_11target_archE1100ELNS1_3gpuE3ELNS1_3repE0EEENS1_52radix_sort_onesweep_histogram_config_static_selectorELNS0_4arch9wavefront6targetE0EEEvSD_
	.globl	_ZN7rocprim17ROCPRIM_400000_NS6detail17trampoline_kernelINS0_14default_configENS1_35radix_sort_onesweep_config_selectorIsNS0_10empty_typeEEEZNS1_34radix_sort_onesweep_global_offsetsIS3_Lb1EPKsPS5_mNS0_19identity_decomposerEEE10hipError_tT1_T2_PT3_SF_jT4_jjP12ihipStream_tbEUlT_E0_NS1_11comp_targetILNS1_3genE9ELNS1_11target_archE1100ELNS1_3gpuE3ELNS1_3repE0EEENS1_52radix_sort_onesweep_histogram_config_static_selectorELNS0_4arch9wavefront6targetE0EEEvSD_
	.p2align	8
	.type	_ZN7rocprim17ROCPRIM_400000_NS6detail17trampoline_kernelINS0_14default_configENS1_35radix_sort_onesweep_config_selectorIsNS0_10empty_typeEEEZNS1_34radix_sort_onesweep_global_offsetsIS3_Lb1EPKsPS5_mNS0_19identity_decomposerEEE10hipError_tT1_T2_PT3_SF_jT4_jjP12ihipStream_tbEUlT_E0_NS1_11comp_targetILNS1_3genE9ELNS1_11target_archE1100ELNS1_3gpuE3ELNS1_3repE0EEENS1_52radix_sort_onesweep_histogram_config_static_selectorELNS0_4arch9wavefront6targetE0EEEvSD_,@function
_ZN7rocprim17ROCPRIM_400000_NS6detail17trampoline_kernelINS0_14default_configENS1_35radix_sort_onesweep_config_selectorIsNS0_10empty_typeEEEZNS1_34radix_sort_onesweep_global_offsetsIS3_Lb1EPKsPS5_mNS0_19identity_decomposerEEE10hipError_tT1_T2_PT3_SF_jT4_jjP12ihipStream_tbEUlT_E0_NS1_11comp_targetILNS1_3genE9ELNS1_11target_archE1100ELNS1_3gpuE3ELNS1_3repE0EEENS1_52radix_sort_onesweep_histogram_config_static_selectorELNS0_4arch9wavefront6targetE0EEEvSD_: ; @_ZN7rocprim17ROCPRIM_400000_NS6detail17trampoline_kernelINS0_14default_configENS1_35radix_sort_onesweep_config_selectorIsNS0_10empty_typeEEEZNS1_34radix_sort_onesweep_global_offsetsIS3_Lb1EPKsPS5_mNS0_19identity_decomposerEEE10hipError_tT1_T2_PT3_SF_jT4_jjP12ihipStream_tbEUlT_E0_NS1_11comp_targetILNS1_3genE9ELNS1_11target_archE1100ELNS1_3gpuE3ELNS1_3repE0EEENS1_52radix_sort_onesweep_histogram_config_static_selectorELNS0_4arch9wavefront6targetE0EEEvSD_
; %bb.0:
	.section	.rodata,"a",@progbits
	.p2align	6, 0x0
	.amdhsa_kernel _ZN7rocprim17ROCPRIM_400000_NS6detail17trampoline_kernelINS0_14default_configENS1_35radix_sort_onesweep_config_selectorIsNS0_10empty_typeEEEZNS1_34radix_sort_onesweep_global_offsetsIS3_Lb1EPKsPS5_mNS0_19identity_decomposerEEE10hipError_tT1_T2_PT3_SF_jT4_jjP12ihipStream_tbEUlT_E0_NS1_11comp_targetILNS1_3genE9ELNS1_11target_archE1100ELNS1_3gpuE3ELNS1_3repE0EEENS1_52radix_sort_onesweep_histogram_config_static_selectorELNS0_4arch9wavefront6targetE0EEEvSD_
		.amdhsa_group_segment_fixed_size 0
		.amdhsa_private_segment_fixed_size 0
		.amdhsa_kernarg_size 8
		.amdhsa_user_sgpr_count 2
		.amdhsa_user_sgpr_dispatch_ptr 0
		.amdhsa_user_sgpr_queue_ptr 0
		.amdhsa_user_sgpr_kernarg_segment_ptr 1
		.amdhsa_user_sgpr_dispatch_id 0
		.amdhsa_user_sgpr_kernarg_preload_length 0
		.amdhsa_user_sgpr_kernarg_preload_offset 0
		.amdhsa_user_sgpr_private_segment_size 0
		.amdhsa_wavefront_size32 1
		.amdhsa_uses_dynamic_stack 0
		.amdhsa_enable_private_segment 0
		.amdhsa_system_sgpr_workgroup_id_x 1
		.amdhsa_system_sgpr_workgroup_id_y 0
		.amdhsa_system_sgpr_workgroup_id_z 0
		.amdhsa_system_sgpr_workgroup_info 0
		.amdhsa_system_vgpr_workitem_id 0
		.amdhsa_next_free_vgpr 1
		.amdhsa_next_free_sgpr 1
		.amdhsa_named_barrier_count 0
		.amdhsa_reserve_vcc 0
		.amdhsa_float_round_mode_32 0
		.amdhsa_float_round_mode_16_64 0
		.amdhsa_float_denorm_mode_32 3
		.amdhsa_float_denorm_mode_16_64 3
		.amdhsa_fp16_overflow 0
		.amdhsa_memory_ordered 1
		.amdhsa_forward_progress 1
		.amdhsa_inst_pref_size 0
		.amdhsa_round_robin_scheduling 0
		.amdhsa_exception_fp_ieee_invalid_op 0
		.amdhsa_exception_fp_denorm_src 0
		.amdhsa_exception_fp_ieee_div_zero 0
		.amdhsa_exception_fp_ieee_overflow 0
		.amdhsa_exception_fp_ieee_underflow 0
		.amdhsa_exception_fp_ieee_inexact 0
		.amdhsa_exception_int_div_zero 0
	.end_amdhsa_kernel
	.section	.text._ZN7rocprim17ROCPRIM_400000_NS6detail17trampoline_kernelINS0_14default_configENS1_35radix_sort_onesweep_config_selectorIsNS0_10empty_typeEEEZNS1_34radix_sort_onesweep_global_offsetsIS3_Lb1EPKsPS5_mNS0_19identity_decomposerEEE10hipError_tT1_T2_PT3_SF_jT4_jjP12ihipStream_tbEUlT_E0_NS1_11comp_targetILNS1_3genE9ELNS1_11target_archE1100ELNS1_3gpuE3ELNS1_3repE0EEENS1_52radix_sort_onesweep_histogram_config_static_selectorELNS0_4arch9wavefront6targetE0EEEvSD_,"axG",@progbits,_ZN7rocprim17ROCPRIM_400000_NS6detail17trampoline_kernelINS0_14default_configENS1_35radix_sort_onesweep_config_selectorIsNS0_10empty_typeEEEZNS1_34radix_sort_onesweep_global_offsetsIS3_Lb1EPKsPS5_mNS0_19identity_decomposerEEE10hipError_tT1_T2_PT3_SF_jT4_jjP12ihipStream_tbEUlT_E0_NS1_11comp_targetILNS1_3genE9ELNS1_11target_archE1100ELNS1_3gpuE3ELNS1_3repE0EEENS1_52radix_sort_onesweep_histogram_config_static_selectorELNS0_4arch9wavefront6targetE0EEEvSD_,comdat
.Lfunc_end592:
	.size	_ZN7rocprim17ROCPRIM_400000_NS6detail17trampoline_kernelINS0_14default_configENS1_35radix_sort_onesweep_config_selectorIsNS0_10empty_typeEEEZNS1_34radix_sort_onesweep_global_offsetsIS3_Lb1EPKsPS5_mNS0_19identity_decomposerEEE10hipError_tT1_T2_PT3_SF_jT4_jjP12ihipStream_tbEUlT_E0_NS1_11comp_targetILNS1_3genE9ELNS1_11target_archE1100ELNS1_3gpuE3ELNS1_3repE0EEENS1_52radix_sort_onesweep_histogram_config_static_selectorELNS0_4arch9wavefront6targetE0EEEvSD_, .Lfunc_end592-_ZN7rocprim17ROCPRIM_400000_NS6detail17trampoline_kernelINS0_14default_configENS1_35radix_sort_onesweep_config_selectorIsNS0_10empty_typeEEEZNS1_34radix_sort_onesweep_global_offsetsIS3_Lb1EPKsPS5_mNS0_19identity_decomposerEEE10hipError_tT1_T2_PT3_SF_jT4_jjP12ihipStream_tbEUlT_E0_NS1_11comp_targetILNS1_3genE9ELNS1_11target_archE1100ELNS1_3gpuE3ELNS1_3repE0EEENS1_52radix_sort_onesweep_histogram_config_static_selectorELNS0_4arch9wavefront6targetE0EEEvSD_
                                        ; -- End function
	.set _ZN7rocprim17ROCPRIM_400000_NS6detail17trampoline_kernelINS0_14default_configENS1_35radix_sort_onesweep_config_selectorIsNS0_10empty_typeEEEZNS1_34radix_sort_onesweep_global_offsetsIS3_Lb1EPKsPS5_mNS0_19identity_decomposerEEE10hipError_tT1_T2_PT3_SF_jT4_jjP12ihipStream_tbEUlT_E0_NS1_11comp_targetILNS1_3genE9ELNS1_11target_archE1100ELNS1_3gpuE3ELNS1_3repE0EEENS1_52radix_sort_onesweep_histogram_config_static_selectorELNS0_4arch9wavefront6targetE0EEEvSD_.num_vgpr, 0
	.set _ZN7rocprim17ROCPRIM_400000_NS6detail17trampoline_kernelINS0_14default_configENS1_35radix_sort_onesweep_config_selectorIsNS0_10empty_typeEEEZNS1_34radix_sort_onesweep_global_offsetsIS3_Lb1EPKsPS5_mNS0_19identity_decomposerEEE10hipError_tT1_T2_PT3_SF_jT4_jjP12ihipStream_tbEUlT_E0_NS1_11comp_targetILNS1_3genE9ELNS1_11target_archE1100ELNS1_3gpuE3ELNS1_3repE0EEENS1_52radix_sort_onesweep_histogram_config_static_selectorELNS0_4arch9wavefront6targetE0EEEvSD_.num_agpr, 0
	.set _ZN7rocprim17ROCPRIM_400000_NS6detail17trampoline_kernelINS0_14default_configENS1_35radix_sort_onesweep_config_selectorIsNS0_10empty_typeEEEZNS1_34radix_sort_onesweep_global_offsetsIS3_Lb1EPKsPS5_mNS0_19identity_decomposerEEE10hipError_tT1_T2_PT3_SF_jT4_jjP12ihipStream_tbEUlT_E0_NS1_11comp_targetILNS1_3genE9ELNS1_11target_archE1100ELNS1_3gpuE3ELNS1_3repE0EEENS1_52radix_sort_onesweep_histogram_config_static_selectorELNS0_4arch9wavefront6targetE0EEEvSD_.numbered_sgpr, 0
	.set _ZN7rocprim17ROCPRIM_400000_NS6detail17trampoline_kernelINS0_14default_configENS1_35radix_sort_onesweep_config_selectorIsNS0_10empty_typeEEEZNS1_34radix_sort_onesweep_global_offsetsIS3_Lb1EPKsPS5_mNS0_19identity_decomposerEEE10hipError_tT1_T2_PT3_SF_jT4_jjP12ihipStream_tbEUlT_E0_NS1_11comp_targetILNS1_3genE9ELNS1_11target_archE1100ELNS1_3gpuE3ELNS1_3repE0EEENS1_52radix_sort_onesweep_histogram_config_static_selectorELNS0_4arch9wavefront6targetE0EEEvSD_.num_named_barrier, 0
	.set _ZN7rocprim17ROCPRIM_400000_NS6detail17trampoline_kernelINS0_14default_configENS1_35radix_sort_onesweep_config_selectorIsNS0_10empty_typeEEEZNS1_34radix_sort_onesweep_global_offsetsIS3_Lb1EPKsPS5_mNS0_19identity_decomposerEEE10hipError_tT1_T2_PT3_SF_jT4_jjP12ihipStream_tbEUlT_E0_NS1_11comp_targetILNS1_3genE9ELNS1_11target_archE1100ELNS1_3gpuE3ELNS1_3repE0EEENS1_52radix_sort_onesweep_histogram_config_static_selectorELNS0_4arch9wavefront6targetE0EEEvSD_.private_seg_size, 0
	.set _ZN7rocprim17ROCPRIM_400000_NS6detail17trampoline_kernelINS0_14default_configENS1_35radix_sort_onesweep_config_selectorIsNS0_10empty_typeEEEZNS1_34radix_sort_onesweep_global_offsetsIS3_Lb1EPKsPS5_mNS0_19identity_decomposerEEE10hipError_tT1_T2_PT3_SF_jT4_jjP12ihipStream_tbEUlT_E0_NS1_11comp_targetILNS1_3genE9ELNS1_11target_archE1100ELNS1_3gpuE3ELNS1_3repE0EEENS1_52radix_sort_onesweep_histogram_config_static_selectorELNS0_4arch9wavefront6targetE0EEEvSD_.uses_vcc, 0
	.set _ZN7rocprim17ROCPRIM_400000_NS6detail17trampoline_kernelINS0_14default_configENS1_35radix_sort_onesweep_config_selectorIsNS0_10empty_typeEEEZNS1_34radix_sort_onesweep_global_offsetsIS3_Lb1EPKsPS5_mNS0_19identity_decomposerEEE10hipError_tT1_T2_PT3_SF_jT4_jjP12ihipStream_tbEUlT_E0_NS1_11comp_targetILNS1_3genE9ELNS1_11target_archE1100ELNS1_3gpuE3ELNS1_3repE0EEENS1_52radix_sort_onesweep_histogram_config_static_selectorELNS0_4arch9wavefront6targetE0EEEvSD_.uses_flat_scratch, 0
	.set _ZN7rocprim17ROCPRIM_400000_NS6detail17trampoline_kernelINS0_14default_configENS1_35radix_sort_onesweep_config_selectorIsNS0_10empty_typeEEEZNS1_34radix_sort_onesweep_global_offsetsIS3_Lb1EPKsPS5_mNS0_19identity_decomposerEEE10hipError_tT1_T2_PT3_SF_jT4_jjP12ihipStream_tbEUlT_E0_NS1_11comp_targetILNS1_3genE9ELNS1_11target_archE1100ELNS1_3gpuE3ELNS1_3repE0EEENS1_52radix_sort_onesweep_histogram_config_static_selectorELNS0_4arch9wavefront6targetE0EEEvSD_.has_dyn_sized_stack, 0
	.set _ZN7rocprim17ROCPRIM_400000_NS6detail17trampoline_kernelINS0_14default_configENS1_35radix_sort_onesweep_config_selectorIsNS0_10empty_typeEEEZNS1_34radix_sort_onesweep_global_offsetsIS3_Lb1EPKsPS5_mNS0_19identity_decomposerEEE10hipError_tT1_T2_PT3_SF_jT4_jjP12ihipStream_tbEUlT_E0_NS1_11comp_targetILNS1_3genE9ELNS1_11target_archE1100ELNS1_3gpuE3ELNS1_3repE0EEENS1_52radix_sort_onesweep_histogram_config_static_selectorELNS0_4arch9wavefront6targetE0EEEvSD_.has_recursion, 0
	.set _ZN7rocprim17ROCPRIM_400000_NS6detail17trampoline_kernelINS0_14default_configENS1_35radix_sort_onesweep_config_selectorIsNS0_10empty_typeEEEZNS1_34radix_sort_onesweep_global_offsetsIS3_Lb1EPKsPS5_mNS0_19identity_decomposerEEE10hipError_tT1_T2_PT3_SF_jT4_jjP12ihipStream_tbEUlT_E0_NS1_11comp_targetILNS1_3genE9ELNS1_11target_archE1100ELNS1_3gpuE3ELNS1_3repE0EEENS1_52radix_sort_onesweep_histogram_config_static_selectorELNS0_4arch9wavefront6targetE0EEEvSD_.has_indirect_call, 0
	.section	.AMDGPU.csdata,"",@progbits
; Kernel info:
; codeLenInByte = 0
; TotalNumSgprs: 0
; NumVgprs: 0
; ScratchSize: 0
; MemoryBound: 0
; FloatMode: 240
; IeeeMode: 1
; LDSByteSize: 0 bytes/workgroup (compile time only)
; SGPRBlocks: 0
; VGPRBlocks: 0
; NumSGPRsForWavesPerEU: 1
; NumVGPRsForWavesPerEU: 1
; NamedBarCnt: 0
; Occupancy: 16
; WaveLimiterHint : 0
; COMPUTE_PGM_RSRC2:SCRATCH_EN: 0
; COMPUTE_PGM_RSRC2:USER_SGPR: 2
; COMPUTE_PGM_RSRC2:TRAP_HANDLER: 0
; COMPUTE_PGM_RSRC2:TGID_X_EN: 1
; COMPUTE_PGM_RSRC2:TGID_Y_EN: 0
; COMPUTE_PGM_RSRC2:TGID_Z_EN: 0
; COMPUTE_PGM_RSRC2:TIDIG_COMP_CNT: 0
	.section	.text._ZN7rocprim17ROCPRIM_400000_NS6detail17trampoline_kernelINS0_14default_configENS1_35radix_sort_onesweep_config_selectorIsNS0_10empty_typeEEEZNS1_34radix_sort_onesweep_global_offsetsIS3_Lb1EPKsPS5_mNS0_19identity_decomposerEEE10hipError_tT1_T2_PT3_SF_jT4_jjP12ihipStream_tbEUlT_E0_NS1_11comp_targetILNS1_3genE8ELNS1_11target_archE1030ELNS1_3gpuE2ELNS1_3repE0EEENS1_52radix_sort_onesweep_histogram_config_static_selectorELNS0_4arch9wavefront6targetE0EEEvSD_,"axG",@progbits,_ZN7rocprim17ROCPRIM_400000_NS6detail17trampoline_kernelINS0_14default_configENS1_35radix_sort_onesweep_config_selectorIsNS0_10empty_typeEEEZNS1_34radix_sort_onesweep_global_offsetsIS3_Lb1EPKsPS5_mNS0_19identity_decomposerEEE10hipError_tT1_T2_PT3_SF_jT4_jjP12ihipStream_tbEUlT_E0_NS1_11comp_targetILNS1_3genE8ELNS1_11target_archE1030ELNS1_3gpuE2ELNS1_3repE0EEENS1_52radix_sort_onesweep_histogram_config_static_selectorELNS0_4arch9wavefront6targetE0EEEvSD_,comdat
	.protected	_ZN7rocprim17ROCPRIM_400000_NS6detail17trampoline_kernelINS0_14default_configENS1_35radix_sort_onesweep_config_selectorIsNS0_10empty_typeEEEZNS1_34radix_sort_onesweep_global_offsetsIS3_Lb1EPKsPS5_mNS0_19identity_decomposerEEE10hipError_tT1_T2_PT3_SF_jT4_jjP12ihipStream_tbEUlT_E0_NS1_11comp_targetILNS1_3genE8ELNS1_11target_archE1030ELNS1_3gpuE2ELNS1_3repE0EEENS1_52radix_sort_onesweep_histogram_config_static_selectorELNS0_4arch9wavefront6targetE0EEEvSD_ ; -- Begin function _ZN7rocprim17ROCPRIM_400000_NS6detail17trampoline_kernelINS0_14default_configENS1_35radix_sort_onesweep_config_selectorIsNS0_10empty_typeEEEZNS1_34radix_sort_onesweep_global_offsetsIS3_Lb1EPKsPS5_mNS0_19identity_decomposerEEE10hipError_tT1_T2_PT3_SF_jT4_jjP12ihipStream_tbEUlT_E0_NS1_11comp_targetILNS1_3genE8ELNS1_11target_archE1030ELNS1_3gpuE2ELNS1_3repE0EEENS1_52radix_sort_onesweep_histogram_config_static_selectorELNS0_4arch9wavefront6targetE0EEEvSD_
	.globl	_ZN7rocprim17ROCPRIM_400000_NS6detail17trampoline_kernelINS0_14default_configENS1_35radix_sort_onesweep_config_selectorIsNS0_10empty_typeEEEZNS1_34radix_sort_onesweep_global_offsetsIS3_Lb1EPKsPS5_mNS0_19identity_decomposerEEE10hipError_tT1_T2_PT3_SF_jT4_jjP12ihipStream_tbEUlT_E0_NS1_11comp_targetILNS1_3genE8ELNS1_11target_archE1030ELNS1_3gpuE2ELNS1_3repE0EEENS1_52radix_sort_onesweep_histogram_config_static_selectorELNS0_4arch9wavefront6targetE0EEEvSD_
	.p2align	8
	.type	_ZN7rocprim17ROCPRIM_400000_NS6detail17trampoline_kernelINS0_14default_configENS1_35radix_sort_onesweep_config_selectorIsNS0_10empty_typeEEEZNS1_34radix_sort_onesweep_global_offsetsIS3_Lb1EPKsPS5_mNS0_19identity_decomposerEEE10hipError_tT1_T2_PT3_SF_jT4_jjP12ihipStream_tbEUlT_E0_NS1_11comp_targetILNS1_3genE8ELNS1_11target_archE1030ELNS1_3gpuE2ELNS1_3repE0EEENS1_52radix_sort_onesweep_histogram_config_static_selectorELNS0_4arch9wavefront6targetE0EEEvSD_,@function
_ZN7rocprim17ROCPRIM_400000_NS6detail17trampoline_kernelINS0_14default_configENS1_35radix_sort_onesweep_config_selectorIsNS0_10empty_typeEEEZNS1_34radix_sort_onesweep_global_offsetsIS3_Lb1EPKsPS5_mNS0_19identity_decomposerEEE10hipError_tT1_T2_PT3_SF_jT4_jjP12ihipStream_tbEUlT_E0_NS1_11comp_targetILNS1_3genE8ELNS1_11target_archE1030ELNS1_3gpuE2ELNS1_3repE0EEENS1_52radix_sort_onesweep_histogram_config_static_selectorELNS0_4arch9wavefront6targetE0EEEvSD_: ; @_ZN7rocprim17ROCPRIM_400000_NS6detail17trampoline_kernelINS0_14default_configENS1_35radix_sort_onesweep_config_selectorIsNS0_10empty_typeEEEZNS1_34radix_sort_onesweep_global_offsetsIS3_Lb1EPKsPS5_mNS0_19identity_decomposerEEE10hipError_tT1_T2_PT3_SF_jT4_jjP12ihipStream_tbEUlT_E0_NS1_11comp_targetILNS1_3genE8ELNS1_11target_archE1030ELNS1_3gpuE2ELNS1_3repE0EEENS1_52radix_sort_onesweep_histogram_config_static_selectorELNS0_4arch9wavefront6targetE0EEEvSD_
; %bb.0:
	.section	.rodata,"a",@progbits
	.p2align	6, 0x0
	.amdhsa_kernel _ZN7rocprim17ROCPRIM_400000_NS6detail17trampoline_kernelINS0_14default_configENS1_35radix_sort_onesweep_config_selectorIsNS0_10empty_typeEEEZNS1_34radix_sort_onesweep_global_offsetsIS3_Lb1EPKsPS5_mNS0_19identity_decomposerEEE10hipError_tT1_T2_PT3_SF_jT4_jjP12ihipStream_tbEUlT_E0_NS1_11comp_targetILNS1_3genE8ELNS1_11target_archE1030ELNS1_3gpuE2ELNS1_3repE0EEENS1_52radix_sort_onesweep_histogram_config_static_selectorELNS0_4arch9wavefront6targetE0EEEvSD_
		.amdhsa_group_segment_fixed_size 0
		.amdhsa_private_segment_fixed_size 0
		.amdhsa_kernarg_size 8
		.amdhsa_user_sgpr_count 2
		.amdhsa_user_sgpr_dispatch_ptr 0
		.amdhsa_user_sgpr_queue_ptr 0
		.amdhsa_user_sgpr_kernarg_segment_ptr 1
		.amdhsa_user_sgpr_dispatch_id 0
		.amdhsa_user_sgpr_kernarg_preload_length 0
		.amdhsa_user_sgpr_kernarg_preload_offset 0
		.amdhsa_user_sgpr_private_segment_size 0
		.amdhsa_wavefront_size32 1
		.amdhsa_uses_dynamic_stack 0
		.amdhsa_enable_private_segment 0
		.amdhsa_system_sgpr_workgroup_id_x 1
		.amdhsa_system_sgpr_workgroup_id_y 0
		.amdhsa_system_sgpr_workgroup_id_z 0
		.amdhsa_system_sgpr_workgroup_info 0
		.amdhsa_system_vgpr_workitem_id 0
		.amdhsa_next_free_vgpr 1
		.amdhsa_next_free_sgpr 1
		.amdhsa_named_barrier_count 0
		.amdhsa_reserve_vcc 0
		.amdhsa_float_round_mode_32 0
		.amdhsa_float_round_mode_16_64 0
		.amdhsa_float_denorm_mode_32 3
		.amdhsa_float_denorm_mode_16_64 3
		.amdhsa_fp16_overflow 0
		.amdhsa_memory_ordered 1
		.amdhsa_forward_progress 1
		.amdhsa_inst_pref_size 0
		.amdhsa_round_robin_scheduling 0
		.amdhsa_exception_fp_ieee_invalid_op 0
		.amdhsa_exception_fp_denorm_src 0
		.amdhsa_exception_fp_ieee_div_zero 0
		.amdhsa_exception_fp_ieee_overflow 0
		.amdhsa_exception_fp_ieee_underflow 0
		.amdhsa_exception_fp_ieee_inexact 0
		.amdhsa_exception_int_div_zero 0
	.end_amdhsa_kernel
	.section	.text._ZN7rocprim17ROCPRIM_400000_NS6detail17trampoline_kernelINS0_14default_configENS1_35radix_sort_onesweep_config_selectorIsNS0_10empty_typeEEEZNS1_34radix_sort_onesweep_global_offsetsIS3_Lb1EPKsPS5_mNS0_19identity_decomposerEEE10hipError_tT1_T2_PT3_SF_jT4_jjP12ihipStream_tbEUlT_E0_NS1_11comp_targetILNS1_3genE8ELNS1_11target_archE1030ELNS1_3gpuE2ELNS1_3repE0EEENS1_52radix_sort_onesweep_histogram_config_static_selectorELNS0_4arch9wavefront6targetE0EEEvSD_,"axG",@progbits,_ZN7rocprim17ROCPRIM_400000_NS6detail17trampoline_kernelINS0_14default_configENS1_35radix_sort_onesweep_config_selectorIsNS0_10empty_typeEEEZNS1_34radix_sort_onesweep_global_offsetsIS3_Lb1EPKsPS5_mNS0_19identity_decomposerEEE10hipError_tT1_T2_PT3_SF_jT4_jjP12ihipStream_tbEUlT_E0_NS1_11comp_targetILNS1_3genE8ELNS1_11target_archE1030ELNS1_3gpuE2ELNS1_3repE0EEENS1_52radix_sort_onesweep_histogram_config_static_selectorELNS0_4arch9wavefront6targetE0EEEvSD_,comdat
.Lfunc_end593:
	.size	_ZN7rocprim17ROCPRIM_400000_NS6detail17trampoline_kernelINS0_14default_configENS1_35radix_sort_onesweep_config_selectorIsNS0_10empty_typeEEEZNS1_34radix_sort_onesweep_global_offsetsIS3_Lb1EPKsPS5_mNS0_19identity_decomposerEEE10hipError_tT1_T2_PT3_SF_jT4_jjP12ihipStream_tbEUlT_E0_NS1_11comp_targetILNS1_3genE8ELNS1_11target_archE1030ELNS1_3gpuE2ELNS1_3repE0EEENS1_52radix_sort_onesweep_histogram_config_static_selectorELNS0_4arch9wavefront6targetE0EEEvSD_, .Lfunc_end593-_ZN7rocprim17ROCPRIM_400000_NS6detail17trampoline_kernelINS0_14default_configENS1_35radix_sort_onesweep_config_selectorIsNS0_10empty_typeEEEZNS1_34radix_sort_onesweep_global_offsetsIS3_Lb1EPKsPS5_mNS0_19identity_decomposerEEE10hipError_tT1_T2_PT3_SF_jT4_jjP12ihipStream_tbEUlT_E0_NS1_11comp_targetILNS1_3genE8ELNS1_11target_archE1030ELNS1_3gpuE2ELNS1_3repE0EEENS1_52radix_sort_onesweep_histogram_config_static_selectorELNS0_4arch9wavefront6targetE0EEEvSD_
                                        ; -- End function
	.set _ZN7rocprim17ROCPRIM_400000_NS6detail17trampoline_kernelINS0_14default_configENS1_35radix_sort_onesweep_config_selectorIsNS0_10empty_typeEEEZNS1_34radix_sort_onesweep_global_offsetsIS3_Lb1EPKsPS5_mNS0_19identity_decomposerEEE10hipError_tT1_T2_PT3_SF_jT4_jjP12ihipStream_tbEUlT_E0_NS1_11comp_targetILNS1_3genE8ELNS1_11target_archE1030ELNS1_3gpuE2ELNS1_3repE0EEENS1_52radix_sort_onesweep_histogram_config_static_selectorELNS0_4arch9wavefront6targetE0EEEvSD_.num_vgpr, 0
	.set _ZN7rocprim17ROCPRIM_400000_NS6detail17trampoline_kernelINS0_14default_configENS1_35radix_sort_onesweep_config_selectorIsNS0_10empty_typeEEEZNS1_34radix_sort_onesweep_global_offsetsIS3_Lb1EPKsPS5_mNS0_19identity_decomposerEEE10hipError_tT1_T2_PT3_SF_jT4_jjP12ihipStream_tbEUlT_E0_NS1_11comp_targetILNS1_3genE8ELNS1_11target_archE1030ELNS1_3gpuE2ELNS1_3repE0EEENS1_52radix_sort_onesweep_histogram_config_static_selectorELNS0_4arch9wavefront6targetE0EEEvSD_.num_agpr, 0
	.set _ZN7rocprim17ROCPRIM_400000_NS6detail17trampoline_kernelINS0_14default_configENS1_35radix_sort_onesweep_config_selectorIsNS0_10empty_typeEEEZNS1_34radix_sort_onesweep_global_offsetsIS3_Lb1EPKsPS5_mNS0_19identity_decomposerEEE10hipError_tT1_T2_PT3_SF_jT4_jjP12ihipStream_tbEUlT_E0_NS1_11comp_targetILNS1_3genE8ELNS1_11target_archE1030ELNS1_3gpuE2ELNS1_3repE0EEENS1_52radix_sort_onesweep_histogram_config_static_selectorELNS0_4arch9wavefront6targetE0EEEvSD_.numbered_sgpr, 0
	.set _ZN7rocprim17ROCPRIM_400000_NS6detail17trampoline_kernelINS0_14default_configENS1_35radix_sort_onesweep_config_selectorIsNS0_10empty_typeEEEZNS1_34radix_sort_onesweep_global_offsetsIS3_Lb1EPKsPS5_mNS0_19identity_decomposerEEE10hipError_tT1_T2_PT3_SF_jT4_jjP12ihipStream_tbEUlT_E0_NS1_11comp_targetILNS1_3genE8ELNS1_11target_archE1030ELNS1_3gpuE2ELNS1_3repE0EEENS1_52radix_sort_onesweep_histogram_config_static_selectorELNS0_4arch9wavefront6targetE0EEEvSD_.num_named_barrier, 0
	.set _ZN7rocprim17ROCPRIM_400000_NS6detail17trampoline_kernelINS0_14default_configENS1_35radix_sort_onesweep_config_selectorIsNS0_10empty_typeEEEZNS1_34radix_sort_onesweep_global_offsetsIS3_Lb1EPKsPS5_mNS0_19identity_decomposerEEE10hipError_tT1_T2_PT3_SF_jT4_jjP12ihipStream_tbEUlT_E0_NS1_11comp_targetILNS1_3genE8ELNS1_11target_archE1030ELNS1_3gpuE2ELNS1_3repE0EEENS1_52radix_sort_onesweep_histogram_config_static_selectorELNS0_4arch9wavefront6targetE0EEEvSD_.private_seg_size, 0
	.set _ZN7rocprim17ROCPRIM_400000_NS6detail17trampoline_kernelINS0_14default_configENS1_35radix_sort_onesweep_config_selectorIsNS0_10empty_typeEEEZNS1_34radix_sort_onesweep_global_offsetsIS3_Lb1EPKsPS5_mNS0_19identity_decomposerEEE10hipError_tT1_T2_PT3_SF_jT4_jjP12ihipStream_tbEUlT_E0_NS1_11comp_targetILNS1_3genE8ELNS1_11target_archE1030ELNS1_3gpuE2ELNS1_3repE0EEENS1_52radix_sort_onesweep_histogram_config_static_selectorELNS0_4arch9wavefront6targetE0EEEvSD_.uses_vcc, 0
	.set _ZN7rocprim17ROCPRIM_400000_NS6detail17trampoline_kernelINS0_14default_configENS1_35radix_sort_onesweep_config_selectorIsNS0_10empty_typeEEEZNS1_34radix_sort_onesweep_global_offsetsIS3_Lb1EPKsPS5_mNS0_19identity_decomposerEEE10hipError_tT1_T2_PT3_SF_jT4_jjP12ihipStream_tbEUlT_E0_NS1_11comp_targetILNS1_3genE8ELNS1_11target_archE1030ELNS1_3gpuE2ELNS1_3repE0EEENS1_52radix_sort_onesweep_histogram_config_static_selectorELNS0_4arch9wavefront6targetE0EEEvSD_.uses_flat_scratch, 0
	.set _ZN7rocprim17ROCPRIM_400000_NS6detail17trampoline_kernelINS0_14default_configENS1_35radix_sort_onesweep_config_selectorIsNS0_10empty_typeEEEZNS1_34radix_sort_onesweep_global_offsetsIS3_Lb1EPKsPS5_mNS0_19identity_decomposerEEE10hipError_tT1_T2_PT3_SF_jT4_jjP12ihipStream_tbEUlT_E0_NS1_11comp_targetILNS1_3genE8ELNS1_11target_archE1030ELNS1_3gpuE2ELNS1_3repE0EEENS1_52radix_sort_onesweep_histogram_config_static_selectorELNS0_4arch9wavefront6targetE0EEEvSD_.has_dyn_sized_stack, 0
	.set _ZN7rocprim17ROCPRIM_400000_NS6detail17trampoline_kernelINS0_14default_configENS1_35radix_sort_onesweep_config_selectorIsNS0_10empty_typeEEEZNS1_34radix_sort_onesweep_global_offsetsIS3_Lb1EPKsPS5_mNS0_19identity_decomposerEEE10hipError_tT1_T2_PT3_SF_jT4_jjP12ihipStream_tbEUlT_E0_NS1_11comp_targetILNS1_3genE8ELNS1_11target_archE1030ELNS1_3gpuE2ELNS1_3repE0EEENS1_52radix_sort_onesweep_histogram_config_static_selectorELNS0_4arch9wavefront6targetE0EEEvSD_.has_recursion, 0
	.set _ZN7rocprim17ROCPRIM_400000_NS6detail17trampoline_kernelINS0_14default_configENS1_35radix_sort_onesweep_config_selectorIsNS0_10empty_typeEEEZNS1_34radix_sort_onesweep_global_offsetsIS3_Lb1EPKsPS5_mNS0_19identity_decomposerEEE10hipError_tT1_T2_PT3_SF_jT4_jjP12ihipStream_tbEUlT_E0_NS1_11comp_targetILNS1_3genE8ELNS1_11target_archE1030ELNS1_3gpuE2ELNS1_3repE0EEENS1_52radix_sort_onesweep_histogram_config_static_selectorELNS0_4arch9wavefront6targetE0EEEvSD_.has_indirect_call, 0
	.section	.AMDGPU.csdata,"",@progbits
; Kernel info:
; codeLenInByte = 0
; TotalNumSgprs: 0
; NumVgprs: 0
; ScratchSize: 0
; MemoryBound: 0
; FloatMode: 240
; IeeeMode: 1
; LDSByteSize: 0 bytes/workgroup (compile time only)
; SGPRBlocks: 0
; VGPRBlocks: 0
; NumSGPRsForWavesPerEU: 1
; NumVGPRsForWavesPerEU: 1
; NamedBarCnt: 0
; Occupancy: 16
; WaveLimiterHint : 0
; COMPUTE_PGM_RSRC2:SCRATCH_EN: 0
; COMPUTE_PGM_RSRC2:USER_SGPR: 2
; COMPUTE_PGM_RSRC2:TRAP_HANDLER: 0
; COMPUTE_PGM_RSRC2:TGID_X_EN: 1
; COMPUTE_PGM_RSRC2:TGID_Y_EN: 0
; COMPUTE_PGM_RSRC2:TGID_Z_EN: 0
; COMPUTE_PGM_RSRC2:TIDIG_COMP_CNT: 0
	.section	.text._ZN7rocprim17ROCPRIM_400000_NS6detail17trampoline_kernelINS0_14default_configENS1_25transform_config_selectorIsLb1EEEZNS1_14transform_implILb1ES3_S5_PKsPsNS0_8identityIsEEEE10hipError_tT2_T3_mT4_P12ihipStream_tbEUlT_E_NS1_11comp_targetILNS1_3genE0ELNS1_11target_archE4294967295ELNS1_3gpuE0ELNS1_3repE0EEENS1_30default_config_static_selectorELNS0_4arch9wavefront6targetE0EEEvT1_,"axG",@progbits,_ZN7rocprim17ROCPRIM_400000_NS6detail17trampoline_kernelINS0_14default_configENS1_25transform_config_selectorIsLb1EEEZNS1_14transform_implILb1ES3_S5_PKsPsNS0_8identityIsEEEE10hipError_tT2_T3_mT4_P12ihipStream_tbEUlT_E_NS1_11comp_targetILNS1_3genE0ELNS1_11target_archE4294967295ELNS1_3gpuE0ELNS1_3repE0EEENS1_30default_config_static_selectorELNS0_4arch9wavefront6targetE0EEEvT1_,comdat
	.protected	_ZN7rocprim17ROCPRIM_400000_NS6detail17trampoline_kernelINS0_14default_configENS1_25transform_config_selectorIsLb1EEEZNS1_14transform_implILb1ES3_S5_PKsPsNS0_8identityIsEEEE10hipError_tT2_T3_mT4_P12ihipStream_tbEUlT_E_NS1_11comp_targetILNS1_3genE0ELNS1_11target_archE4294967295ELNS1_3gpuE0ELNS1_3repE0EEENS1_30default_config_static_selectorELNS0_4arch9wavefront6targetE0EEEvT1_ ; -- Begin function _ZN7rocprim17ROCPRIM_400000_NS6detail17trampoline_kernelINS0_14default_configENS1_25transform_config_selectorIsLb1EEEZNS1_14transform_implILb1ES3_S5_PKsPsNS0_8identityIsEEEE10hipError_tT2_T3_mT4_P12ihipStream_tbEUlT_E_NS1_11comp_targetILNS1_3genE0ELNS1_11target_archE4294967295ELNS1_3gpuE0ELNS1_3repE0EEENS1_30default_config_static_selectorELNS0_4arch9wavefront6targetE0EEEvT1_
	.globl	_ZN7rocprim17ROCPRIM_400000_NS6detail17trampoline_kernelINS0_14default_configENS1_25transform_config_selectorIsLb1EEEZNS1_14transform_implILb1ES3_S5_PKsPsNS0_8identityIsEEEE10hipError_tT2_T3_mT4_P12ihipStream_tbEUlT_E_NS1_11comp_targetILNS1_3genE0ELNS1_11target_archE4294967295ELNS1_3gpuE0ELNS1_3repE0EEENS1_30default_config_static_selectorELNS0_4arch9wavefront6targetE0EEEvT1_
	.p2align	8
	.type	_ZN7rocprim17ROCPRIM_400000_NS6detail17trampoline_kernelINS0_14default_configENS1_25transform_config_selectorIsLb1EEEZNS1_14transform_implILb1ES3_S5_PKsPsNS0_8identityIsEEEE10hipError_tT2_T3_mT4_P12ihipStream_tbEUlT_E_NS1_11comp_targetILNS1_3genE0ELNS1_11target_archE4294967295ELNS1_3gpuE0ELNS1_3repE0EEENS1_30default_config_static_selectorELNS0_4arch9wavefront6targetE0EEEvT1_,@function
_ZN7rocprim17ROCPRIM_400000_NS6detail17trampoline_kernelINS0_14default_configENS1_25transform_config_selectorIsLb1EEEZNS1_14transform_implILb1ES3_S5_PKsPsNS0_8identityIsEEEE10hipError_tT2_T3_mT4_P12ihipStream_tbEUlT_E_NS1_11comp_targetILNS1_3genE0ELNS1_11target_archE4294967295ELNS1_3gpuE0ELNS1_3repE0EEENS1_30default_config_static_selectorELNS0_4arch9wavefront6targetE0EEEvT1_: ; @_ZN7rocprim17ROCPRIM_400000_NS6detail17trampoline_kernelINS0_14default_configENS1_25transform_config_selectorIsLb1EEEZNS1_14transform_implILb1ES3_S5_PKsPsNS0_8identityIsEEEE10hipError_tT2_T3_mT4_P12ihipStream_tbEUlT_E_NS1_11comp_targetILNS1_3genE0ELNS1_11target_archE4294967295ELNS1_3gpuE0ELNS1_3repE0EEENS1_30default_config_static_selectorELNS0_4arch9wavefront6targetE0EEEvT1_
; %bb.0:
	s_load_b256 s[4:11], s[0:1], 0x0
	s_wait_kmcnt 0x0
	s_load_b32 s9, s[0:1], 0x28
                                        ; kill: killed $sgpr0_sgpr1
	s_wait_xcnt 0x0
	s_bfe_u32 s0, ttmp6, 0x4000c
	s_and_b32 s2, ttmp6, 15
	s_add_co_i32 s0, s0, 1
	s_getreg_b32 s12, hwreg(HW_REG_IB_STS2, 6, 4)
	s_mul_i32 s0, ttmp9, s0
	s_mov_b32 s1, 0
	s_add_co_i32 s0, s2, s0
	s_lshl_b64 s[2:3], s[6:7], 1
	s_cmp_eq_u32 s12, 0
	s_add_nc_u64 s[12:13], s[4:5], s[2:3]
	s_cselect_b32 s14, ttmp9, s0
	s_wait_kmcnt 0x0
	s_add_co_i32 s9, s9, -1
	s_lshl_b32 s0, s14, 9
	s_add_nc_u64 s[4:5], s[10:11], s[2:3]
	s_lshl_b64 s[6:7], s[0:1], 1
	s_mov_b32 s2, -1
	s_cmp_lg_u32 s14, s9
	s_add_nc_u64 s[10:11], s[12:13], s[6:7]
	s_cbranch_scc0 .LBB594_2
; %bb.1:
	global_load_b64 v[2:3], v0, s[10:11] scale_offset
	s_add_nc_u64 s[12:13], s[4:5], s[6:7]
	s_mov_b32 s2, 0
	s_wait_loadcnt 0x0
	global_store_b64 v0, v[2:3], s[12:13] scale_offset
.LBB594_2:
	s_and_not1_b32 vcc_lo, exec_lo, s2
	s_cbranch_vccnz .LBB594_16
; %bb.3:
	s_wait_xcnt 0x0
	v_mov_b32_e32 v2, 0
	s_sub_co_i32 s3, s8, s0
	s_delay_alu instid0(SALU_CYCLE_1) | instskip(NEXT) | instid1(VALU_DEP_2)
	v_cmp_gt_u32_e32 vcc_lo, s3, v0
	v_mov_b32_e32 v3, v2
	s_and_saveexec_b32 s0, vcc_lo
	s_cbranch_execz .LBB594_5
; %bb.4:
	global_load_u16 v1, v0, s[10:11] scale_offset
	v_mov_b32_e32 v5, v2
	s_wait_loadcnt 0x0
	v_and_b32_e32 v4, 0xffff, v1
	s_delay_alu instid0(VALU_DEP_1)
	v_mov_b64_e32 v[2:3], v[4:5]
.LBB594_5:
	s_wait_xcnt 0x0
	s_or_b32 exec_lo, exec_lo, s0
	v_or_b32_e32 v1, 0x80, v0
	s_delay_alu instid0(VALU_DEP_1)
	v_cmp_gt_u32_e64 s0, s3, v1
	s_and_saveexec_b32 s1, s0
	s_cbranch_execz .LBB594_7
; %bb.6:
	global_load_u16 v1, v0, s[10:11] offset:256 scale_offset
	s_wait_loadcnt 0x0
	v_perm_b32 v2, v1, v2, 0x5040100
.LBB594_7:
	s_wait_xcnt 0x0
	s_or_b32 exec_lo, exec_lo, s1
	v_or_b32_e32 v1, 0x100, v0
	s_delay_alu instid0(VALU_DEP_1)
	v_cmp_gt_u32_e64 s1, s3, v1
	s_and_saveexec_b32 s2, s1
	s_cbranch_execz .LBB594_9
; %bb.8:
	global_load_u16 v1, v0, s[10:11] offset:512 scale_offset
	s_wait_loadcnt 0x0
	v_bfi_b32 v3, 0xffff, v1, v3
.LBB594_9:
	s_wait_xcnt 0x0
	s_or_b32 exec_lo, exec_lo, s2
	v_or_b32_e32 v1, 0x180, v0
	s_delay_alu instid0(VALU_DEP_1) | instskip(SKIP_2) | instid1(SALU_CYCLE_1)
	v_cmp_gt_u32_e64 s2, s3, v1
	v_cmp_le_u32_e64 s3, s3, v1
	s_and_saveexec_b32 s8, s3
	s_xor_b32 s3, exec_lo, s8
	s_delay_alu instid0(SALU_CYCLE_1)
	s_and_not1_saveexec_b32 s3, s3
	s_cbranch_execz .LBB594_11
; %bb.10:
	global_load_u16 v1, v0, s[10:11] offset:768 scale_offset
	s_wait_loadcnt 0x0
	v_perm_b32 v3, v1, v3, 0x5040100
.LBB594_11:
	s_wait_xcnt 0x0
	s_or_b32 exec_lo, exec_lo, s3
	v_dual_mov_b32 v1, 0 :: v_dual_lshlrev_b32 v0, 1, v0
	v_and_b32_e32 v4, 0xffff, v2
	s_add_nc_u64 s[4:5], s[4:5], s[6:7]
	s_delay_alu instid0(VALU_DEP_2) | instid1(SALU_CYCLE_1)
	v_add_nc_u64_e32 v[0:1], s[4:5], v[0:1]
	s_delay_alu instid0(VALU_DEP_2)
	v_cndmask_b32_e32 v4, 0, v4, vcc_lo
	s_and_saveexec_b32 s3, vcc_lo
	s_cbranch_execnz .LBB594_17
; %bb.12:
	s_or_b32 exec_lo, exec_lo, s3
	s_delay_alu instid0(VALU_DEP_1)
	v_cndmask_b32_e64 v2, v4, v2, s0
	s_and_saveexec_b32 s3, s0
	s_cbranch_execnz .LBB594_18
.LBB594_13:
	s_or_b32 exec_lo, exec_lo, s3
	s_and_saveexec_b32 s0, s1
	s_cbranch_execnz .LBB594_19
.LBB594_14:
	s_or_b32 exec_lo, exec_lo, s0
	s_and_saveexec_b32 s0, s2
	s_cbranch_execz .LBB594_16
.LBB594_15:
	v_cndmask_b32_e64 v2, 0, v3, s2
	global_store_d16_hi_b16 v[0:1], v2, off offset:768
.LBB594_16:
	s_endpgm
.LBB594_17:
	global_store_b16 v[0:1], v4, off
	s_wait_xcnt 0x0
	s_or_b32 exec_lo, exec_lo, s3
	v_cndmask_b32_e64 v2, v4, v2, s0
	s_and_saveexec_b32 s3, s0
	s_cbranch_execz .LBB594_13
.LBB594_18:
	global_store_d16_hi_b16 v[0:1], v2, off offset:256
	s_wait_xcnt 0x0
	s_or_b32 exec_lo, exec_lo, s3
	s_and_saveexec_b32 s0, s1
	s_cbranch_execz .LBB594_14
.LBB594_19:
	v_cndmask_b32_e64 v2, 0, v3, s1
	global_store_b16 v[0:1], v2, off offset:512
	s_wait_xcnt 0x0
	s_or_b32 exec_lo, exec_lo, s0
	s_and_saveexec_b32 s0, s2
	s_cbranch_execnz .LBB594_15
	s_branch .LBB594_16
	.section	.rodata,"a",@progbits
	.p2align	6, 0x0
	.amdhsa_kernel _ZN7rocprim17ROCPRIM_400000_NS6detail17trampoline_kernelINS0_14default_configENS1_25transform_config_selectorIsLb1EEEZNS1_14transform_implILb1ES3_S5_PKsPsNS0_8identityIsEEEE10hipError_tT2_T3_mT4_P12ihipStream_tbEUlT_E_NS1_11comp_targetILNS1_3genE0ELNS1_11target_archE4294967295ELNS1_3gpuE0ELNS1_3repE0EEENS1_30default_config_static_selectorELNS0_4arch9wavefront6targetE0EEEvT1_
		.amdhsa_group_segment_fixed_size 0
		.amdhsa_private_segment_fixed_size 0
		.amdhsa_kernarg_size 296
		.amdhsa_user_sgpr_count 2
		.amdhsa_user_sgpr_dispatch_ptr 0
		.amdhsa_user_sgpr_queue_ptr 0
		.amdhsa_user_sgpr_kernarg_segment_ptr 1
		.amdhsa_user_sgpr_dispatch_id 0
		.amdhsa_user_sgpr_kernarg_preload_length 0
		.amdhsa_user_sgpr_kernarg_preload_offset 0
		.amdhsa_user_sgpr_private_segment_size 0
		.amdhsa_wavefront_size32 1
		.amdhsa_uses_dynamic_stack 0
		.amdhsa_enable_private_segment 0
		.amdhsa_system_sgpr_workgroup_id_x 1
		.amdhsa_system_sgpr_workgroup_id_y 0
		.amdhsa_system_sgpr_workgroup_id_z 0
		.amdhsa_system_sgpr_workgroup_info 0
		.amdhsa_system_vgpr_workitem_id 0
		.amdhsa_next_free_vgpr 6
		.amdhsa_next_free_sgpr 15
		.amdhsa_named_barrier_count 0
		.amdhsa_reserve_vcc 1
		.amdhsa_float_round_mode_32 0
		.amdhsa_float_round_mode_16_64 0
		.amdhsa_float_denorm_mode_32 3
		.amdhsa_float_denorm_mode_16_64 3
		.amdhsa_fp16_overflow 0
		.amdhsa_memory_ordered 1
		.amdhsa_forward_progress 1
		.amdhsa_inst_pref_size 6
		.amdhsa_round_robin_scheduling 0
		.amdhsa_exception_fp_ieee_invalid_op 0
		.amdhsa_exception_fp_denorm_src 0
		.amdhsa_exception_fp_ieee_div_zero 0
		.amdhsa_exception_fp_ieee_overflow 0
		.amdhsa_exception_fp_ieee_underflow 0
		.amdhsa_exception_fp_ieee_inexact 0
		.amdhsa_exception_int_div_zero 0
	.end_amdhsa_kernel
	.section	.text._ZN7rocprim17ROCPRIM_400000_NS6detail17trampoline_kernelINS0_14default_configENS1_25transform_config_selectorIsLb1EEEZNS1_14transform_implILb1ES3_S5_PKsPsNS0_8identityIsEEEE10hipError_tT2_T3_mT4_P12ihipStream_tbEUlT_E_NS1_11comp_targetILNS1_3genE0ELNS1_11target_archE4294967295ELNS1_3gpuE0ELNS1_3repE0EEENS1_30default_config_static_selectorELNS0_4arch9wavefront6targetE0EEEvT1_,"axG",@progbits,_ZN7rocprim17ROCPRIM_400000_NS6detail17trampoline_kernelINS0_14default_configENS1_25transform_config_selectorIsLb1EEEZNS1_14transform_implILb1ES3_S5_PKsPsNS0_8identityIsEEEE10hipError_tT2_T3_mT4_P12ihipStream_tbEUlT_E_NS1_11comp_targetILNS1_3genE0ELNS1_11target_archE4294967295ELNS1_3gpuE0ELNS1_3repE0EEENS1_30default_config_static_selectorELNS0_4arch9wavefront6targetE0EEEvT1_,comdat
.Lfunc_end594:
	.size	_ZN7rocprim17ROCPRIM_400000_NS6detail17trampoline_kernelINS0_14default_configENS1_25transform_config_selectorIsLb1EEEZNS1_14transform_implILb1ES3_S5_PKsPsNS0_8identityIsEEEE10hipError_tT2_T3_mT4_P12ihipStream_tbEUlT_E_NS1_11comp_targetILNS1_3genE0ELNS1_11target_archE4294967295ELNS1_3gpuE0ELNS1_3repE0EEENS1_30default_config_static_selectorELNS0_4arch9wavefront6targetE0EEEvT1_, .Lfunc_end594-_ZN7rocprim17ROCPRIM_400000_NS6detail17trampoline_kernelINS0_14default_configENS1_25transform_config_selectorIsLb1EEEZNS1_14transform_implILb1ES3_S5_PKsPsNS0_8identityIsEEEE10hipError_tT2_T3_mT4_P12ihipStream_tbEUlT_E_NS1_11comp_targetILNS1_3genE0ELNS1_11target_archE4294967295ELNS1_3gpuE0ELNS1_3repE0EEENS1_30default_config_static_selectorELNS0_4arch9wavefront6targetE0EEEvT1_
                                        ; -- End function
	.set _ZN7rocprim17ROCPRIM_400000_NS6detail17trampoline_kernelINS0_14default_configENS1_25transform_config_selectorIsLb1EEEZNS1_14transform_implILb1ES3_S5_PKsPsNS0_8identityIsEEEE10hipError_tT2_T3_mT4_P12ihipStream_tbEUlT_E_NS1_11comp_targetILNS1_3genE0ELNS1_11target_archE4294967295ELNS1_3gpuE0ELNS1_3repE0EEENS1_30default_config_static_selectorELNS0_4arch9wavefront6targetE0EEEvT1_.num_vgpr, 6
	.set _ZN7rocprim17ROCPRIM_400000_NS6detail17trampoline_kernelINS0_14default_configENS1_25transform_config_selectorIsLb1EEEZNS1_14transform_implILb1ES3_S5_PKsPsNS0_8identityIsEEEE10hipError_tT2_T3_mT4_P12ihipStream_tbEUlT_E_NS1_11comp_targetILNS1_3genE0ELNS1_11target_archE4294967295ELNS1_3gpuE0ELNS1_3repE0EEENS1_30default_config_static_selectorELNS0_4arch9wavefront6targetE0EEEvT1_.num_agpr, 0
	.set _ZN7rocprim17ROCPRIM_400000_NS6detail17trampoline_kernelINS0_14default_configENS1_25transform_config_selectorIsLb1EEEZNS1_14transform_implILb1ES3_S5_PKsPsNS0_8identityIsEEEE10hipError_tT2_T3_mT4_P12ihipStream_tbEUlT_E_NS1_11comp_targetILNS1_3genE0ELNS1_11target_archE4294967295ELNS1_3gpuE0ELNS1_3repE0EEENS1_30default_config_static_selectorELNS0_4arch9wavefront6targetE0EEEvT1_.numbered_sgpr, 15
	.set _ZN7rocprim17ROCPRIM_400000_NS6detail17trampoline_kernelINS0_14default_configENS1_25transform_config_selectorIsLb1EEEZNS1_14transform_implILb1ES3_S5_PKsPsNS0_8identityIsEEEE10hipError_tT2_T3_mT4_P12ihipStream_tbEUlT_E_NS1_11comp_targetILNS1_3genE0ELNS1_11target_archE4294967295ELNS1_3gpuE0ELNS1_3repE0EEENS1_30default_config_static_selectorELNS0_4arch9wavefront6targetE0EEEvT1_.num_named_barrier, 0
	.set _ZN7rocprim17ROCPRIM_400000_NS6detail17trampoline_kernelINS0_14default_configENS1_25transform_config_selectorIsLb1EEEZNS1_14transform_implILb1ES3_S5_PKsPsNS0_8identityIsEEEE10hipError_tT2_T3_mT4_P12ihipStream_tbEUlT_E_NS1_11comp_targetILNS1_3genE0ELNS1_11target_archE4294967295ELNS1_3gpuE0ELNS1_3repE0EEENS1_30default_config_static_selectorELNS0_4arch9wavefront6targetE0EEEvT1_.private_seg_size, 0
	.set _ZN7rocprim17ROCPRIM_400000_NS6detail17trampoline_kernelINS0_14default_configENS1_25transform_config_selectorIsLb1EEEZNS1_14transform_implILb1ES3_S5_PKsPsNS0_8identityIsEEEE10hipError_tT2_T3_mT4_P12ihipStream_tbEUlT_E_NS1_11comp_targetILNS1_3genE0ELNS1_11target_archE4294967295ELNS1_3gpuE0ELNS1_3repE0EEENS1_30default_config_static_selectorELNS0_4arch9wavefront6targetE0EEEvT1_.uses_vcc, 1
	.set _ZN7rocprim17ROCPRIM_400000_NS6detail17trampoline_kernelINS0_14default_configENS1_25transform_config_selectorIsLb1EEEZNS1_14transform_implILb1ES3_S5_PKsPsNS0_8identityIsEEEE10hipError_tT2_T3_mT4_P12ihipStream_tbEUlT_E_NS1_11comp_targetILNS1_3genE0ELNS1_11target_archE4294967295ELNS1_3gpuE0ELNS1_3repE0EEENS1_30default_config_static_selectorELNS0_4arch9wavefront6targetE0EEEvT1_.uses_flat_scratch, 0
	.set _ZN7rocprim17ROCPRIM_400000_NS6detail17trampoline_kernelINS0_14default_configENS1_25transform_config_selectorIsLb1EEEZNS1_14transform_implILb1ES3_S5_PKsPsNS0_8identityIsEEEE10hipError_tT2_T3_mT4_P12ihipStream_tbEUlT_E_NS1_11comp_targetILNS1_3genE0ELNS1_11target_archE4294967295ELNS1_3gpuE0ELNS1_3repE0EEENS1_30default_config_static_selectorELNS0_4arch9wavefront6targetE0EEEvT1_.has_dyn_sized_stack, 0
	.set _ZN7rocprim17ROCPRIM_400000_NS6detail17trampoline_kernelINS0_14default_configENS1_25transform_config_selectorIsLb1EEEZNS1_14transform_implILb1ES3_S5_PKsPsNS0_8identityIsEEEE10hipError_tT2_T3_mT4_P12ihipStream_tbEUlT_E_NS1_11comp_targetILNS1_3genE0ELNS1_11target_archE4294967295ELNS1_3gpuE0ELNS1_3repE0EEENS1_30default_config_static_selectorELNS0_4arch9wavefront6targetE0EEEvT1_.has_recursion, 0
	.set _ZN7rocprim17ROCPRIM_400000_NS6detail17trampoline_kernelINS0_14default_configENS1_25transform_config_selectorIsLb1EEEZNS1_14transform_implILb1ES3_S5_PKsPsNS0_8identityIsEEEE10hipError_tT2_T3_mT4_P12ihipStream_tbEUlT_E_NS1_11comp_targetILNS1_3genE0ELNS1_11target_archE4294967295ELNS1_3gpuE0ELNS1_3repE0EEENS1_30default_config_static_selectorELNS0_4arch9wavefront6targetE0EEEvT1_.has_indirect_call, 0
	.section	.AMDGPU.csdata,"",@progbits
; Kernel info:
; codeLenInByte = 660
; TotalNumSgprs: 17
; NumVgprs: 6
; ScratchSize: 0
; MemoryBound: 0
; FloatMode: 240
; IeeeMode: 1
; LDSByteSize: 0 bytes/workgroup (compile time only)
; SGPRBlocks: 0
; VGPRBlocks: 0
; NumSGPRsForWavesPerEU: 17
; NumVGPRsForWavesPerEU: 6
; NamedBarCnt: 0
; Occupancy: 16
; WaveLimiterHint : 0
; COMPUTE_PGM_RSRC2:SCRATCH_EN: 0
; COMPUTE_PGM_RSRC2:USER_SGPR: 2
; COMPUTE_PGM_RSRC2:TRAP_HANDLER: 0
; COMPUTE_PGM_RSRC2:TGID_X_EN: 1
; COMPUTE_PGM_RSRC2:TGID_Y_EN: 0
; COMPUTE_PGM_RSRC2:TGID_Z_EN: 0
; COMPUTE_PGM_RSRC2:TIDIG_COMP_CNT: 0
	.section	.text._ZN7rocprim17ROCPRIM_400000_NS6detail17trampoline_kernelINS0_14default_configENS1_25transform_config_selectorIsLb1EEEZNS1_14transform_implILb1ES3_S5_PKsPsNS0_8identityIsEEEE10hipError_tT2_T3_mT4_P12ihipStream_tbEUlT_E_NS1_11comp_targetILNS1_3genE10ELNS1_11target_archE1201ELNS1_3gpuE5ELNS1_3repE0EEENS1_30default_config_static_selectorELNS0_4arch9wavefront6targetE0EEEvT1_,"axG",@progbits,_ZN7rocprim17ROCPRIM_400000_NS6detail17trampoline_kernelINS0_14default_configENS1_25transform_config_selectorIsLb1EEEZNS1_14transform_implILb1ES3_S5_PKsPsNS0_8identityIsEEEE10hipError_tT2_T3_mT4_P12ihipStream_tbEUlT_E_NS1_11comp_targetILNS1_3genE10ELNS1_11target_archE1201ELNS1_3gpuE5ELNS1_3repE0EEENS1_30default_config_static_selectorELNS0_4arch9wavefront6targetE0EEEvT1_,comdat
	.protected	_ZN7rocprim17ROCPRIM_400000_NS6detail17trampoline_kernelINS0_14default_configENS1_25transform_config_selectorIsLb1EEEZNS1_14transform_implILb1ES3_S5_PKsPsNS0_8identityIsEEEE10hipError_tT2_T3_mT4_P12ihipStream_tbEUlT_E_NS1_11comp_targetILNS1_3genE10ELNS1_11target_archE1201ELNS1_3gpuE5ELNS1_3repE0EEENS1_30default_config_static_selectorELNS0_4arch9wavefront6targetE0EEEvT1_ ; -- Begin function _ZN7rocprim17ROCPRIM_400000_NS6detail17trampoline_kernelINS0_14default_configENS1_25transform_config_selectorIsLb1EEEZNS1_14transform_implILb1ES3_S5_PKsPsNS0_8identityIsEEEE10hipError_tT2_T3_mT4_P12ihipStream_tbEUlT_E_NS1_11comp_targetILNS1_3genE10ELNS1_11target_archE1201ELNS1_3gpuE5ELNS1_3repE0EEENS1_30default_config_static_selectorELNS0_4arch9wavefront6targetE0EEEvT1_
	.globl	_ZN7rocprim17ROCPRIM_400000_NS6detail17trampoline_kernelINS0_14default_configENS1_25transform_config_selectorIsLb1EEEZNS1_14transform_implILb1ES3_S5_PKsPsNS0_8identityIsEEEE10hipError_tT2_T3_mT4_P12ihipStream_tbEUlT_E_NS1_11comp_targetILNS1_3genE10ELNS1_11target_archE1201ELNS1_3gpuE5ELNS1_3repE0EEENS1_30default_config_static_selectorELNS0_4arch9wavefront6targetE0EEEvT1_
	.p2align	8
	.type	_ZN7rocprim17ROCPRIM_400000_NS6detail17trampoline_kernelINS0_14default_configENS1_25transform_config_selectorIsLb1EEEZNS1_14transform_implILb1ES3_S5_PKsPsNS0_8identityIsEEEE10hipError_tT2_T3_mT4_P12ihipStream_tbEUlT_E_NS1_11comp_targetILNS1_3genE10ELNS1_11target_archE1201ELNS1_3gpuE5ELNS1_3repE0EEENS1_30default_config_static_selectorELNS0_4arch9wavefront6targetE0EEEvT1_,@function
_ZN7rocprim17ROCPRIM_400000_NS6detail17trampoline_kernelINS0_14default_configENS1_25transform_config_selectorIsLb1EEEZNS1_14transform_implILb1ES3_S5_PKsPsNS0_8identityIsEEEE10hipError_tT2_T3_mT4_P12ihipStream_tbEUlT_E_NS1_11comp_targetILNS1_3genE10ELNS1_11target_archE1201ELNS1_3gpuE5ELNS1_3repE0EEENS1_30default_config_static_selectorELNS0_4arch9wavefront6targetE0EEEvT1_: ; @_ZN7rocprim17ROCPRIM_400000_NS6detail17trampoline_kernelINS0_14default_configENS1_25transform_config_selectorIsLb1EEEZNS1_14transform_implILb1ES3_S5_PKsPsNS0_8identityIsEEEE10hipError_tT2_T3_mT4_P12ihipStream_tbEUlT_E_NS1_11comp_targetILNS1_3genE10ELNS1_11target_archE1201ELNS1_3gpuE5ELNS1_3repE0EEENS1_30default_config_static_selectorELNS0_4arch9wavefront6targetE0EEEvT1_
; %bb.0:
	.section	.rodata,"a",@progbits
	.p2align	6, 0x0
	.amdhsa_kernel _ZN7rocprim17ROCPRIM_400000_NS6detail17trampoline_kernelINS0_14default_configENS1_25transform_config_selectorIsLb1EEEZNS1_14transform_implILb1ES3_S5_PKsPsNS0_8identityIsEEEE10hipError_tT2_T3_mT4_P12ihipStream_tbEUlT_E_NS1_11comp_targetILNS1_3genE10ELNS1_11target_archE1201ELNS1_3gpuE5ELNS1_3repE0EEENS1_30default_config_static_selectorELNS0_4arch9wavefront6targetE0EEEvT1_
		.amdhsa_group_segment_fixed_size 0
		.amdhsa_private_segment_fixed_size 0
		.amdhsa_kernarg_size 40
		.amdhsa_user_sgpr_count 2
		.amdhsa_user_sgpr_dispatch_ptr 0
		.amdhsa_user_sgpr_queue_ptr 0
		.amdhsa_user_sgpr_kernarg_segment_ptr 1
		.amdhsa_user_sgpr_dispatch_id 0
		.amdhsa_user_sgpr_kernarg_preload_length 0
		.amdhsa_user_sgpr_kernarg_preload_offset 0
		.amdhsa_user_sgpr_private_segment_size 0
		.amdhsa_wavefront_size32 1
		.amdhsa_uses_dynamic_stack 0
		.amdhsa_enable_private_segment 0
		.amdhsa_system_sgpr_workgroup_id_x 1
		.amdhsa_system_sgpr_workgroup_id_y 0
		.amdhsa_system_sgpr_workgroup_id_z 0
		.amdhsa_system_sgpr_workgroup_info 0
		.amdhsa_system_vgpr_workitem_id 0
		.amdhsa_next_free_vgpr 1
		.amdhsa_next_free_sgpr 1
		.amdhsa_named_barrier_count 0
		.amdhsa_reserve_vcc 0
		.amdhsa_float_round_mode_32 0
		.amdhsa_float_round_mode_16_64 0
		.amdhsa_float_denorm_mode_32 3
		.amdhsa_float_denorm_mode_16_64 3
		.amdhsa_fp16_overflow 0
		.amdhsa_memory_ordered 1
		.amdhsa_forward_progress 1
		.amdhsa_inst_pref_size 0
		.amdhsa_round_robin_scheduling 0
		.amdhsa_exception_fp_ieee_invalid_op 0
		.amdhsa_exception_fp_denorm_src 0
		.amdhsa_exception_fp_ieee_div_zero 0
		.amdhsa_exception_fp_ieee_overflow 0
		.amdhsa_exception_fp_ieee_underflow 0
		.amdhsa_exception_fp_ieee_inexact 0
		.amdhsa_exception_int_div_zero 0
	.end_amdhsa_kernel
	.section	.text._ZN7rocprim17ROCPRIM_400000_NS6detail17trampoline_kernelINS0_14default_configENS1_25transform_config_selectorIsLb1EEEZNS1_14transform_implILb1ES3_S5_PKsPsNS0_8identityIsEEEE10hipError_tT2_T3_mT4_P12ihipStream_tbEUlT_E_NS1_11comp_targetILNS1_3genE10ELNS1_11target_archE1201ELNS1_3gpuE5ELNS1_3repE0EEENS1_30default_config_static_selectorELNS0_4arch9wavefront6targetE0EEEvT1_,"axG",@progbits,_ZN7rocprim17ROCPRIM_400000_NS6detail17trampoline_kernelINS0_14default_configENS1_25transform_config_selectorIsLb1EEEZNS1_14transform_implILb1ES3_S5_PKsPsNS0_8identityIsEEEE10hipError_tT2_T3_mT4_P12ihipStream_tbEUlT_E_NS1_11comp_targetILNS1_3genE10ELNS1_11target_archE1201ELNS1_3gpuE5ELNS1_3repE0EEENS1_30default_config_static_selectorELNS0_4arch9wavefront6targetE0EEEvT1_,comdat
.Lfunc_end595:
	.size	_ZN7rocprim17ROCPRIM_400000_NS6detail17trampoline_kernelINS0_14default_configENS1_25transform_config_selectorIsLb1EEEZNS1_14transform_implILb1ES3_S5_PKsPsNS0_8identityIsEEEE10hipError_tT2_T3_mT4_P12ihipStream_tbEUlT_E_NS1_11comp_targetILNS1_3genE10ELNS1_11target_archE1201ELNS1_3gpuE5ELNS1_3repE0EEENS1_30default_config_static_selectorELNS0_4arch9wavefront6targetE0EEEvT1_, .Lfunc_end595-_ZN7rocprim17ROCPRIM_400000_NS6detail17trampoline_kernelINS0_14default_configENS1_25transform_config_selectorIsLb1EEEZNS1_14transform_implILb1ES3_S5_PKsPsNS0_8identityIsEEEE10hipError_tT2_T3_mT4_P12ihipStream_tbEUlT_E_NS1_11comp_targetILNS1_3genE10ELNS1_11target_archE1201ELNS1_3gpuE5ELNS1_3repE0EEENS1_30default_config_static_selectorELNS0_4arch9wavefront6targetE0EEEvT1_
                                        ; -- End function
	.set _ZN7rocprim17ROCPRIM_400000_NS6detail17trampoline_kernelINS0_14default_configENS1_25transform_config_selectorIsLb1EEEZNS1_14transform_implILb1ES3_S5_PKsPsNS0_8identityIsEEEE10hipError_tT2_T3_mT4_P12ihipStream_tbEUlT_E_NS1_11comp_targetILNS1_3genE10ELNS1_11target_archE1201ELNS1_3gpuE5ELNS1_3repE0EEENS1_30default_config_static_selectorELNS0_4arch9wavefront6targetE0EEEvT1_.num_vgpr, 0
	.set _ZN7rocprim17ROCPRIM_400000_NS6detail17trampoline_kernelINS0_14default_configENS1_25transform_config_selectorIsLb1EEEZNS1_14transform_implILb1ES3_S5_PKsPsNS0_8identityIsEEEE10hipError_tT2_T3_mT4_P12ihipStream_tbEUlT_E_NS1_11comp_targetILNS1_3genE10ELNS1_11target_archE1201ELNS1_3gpuE5ELNS1_3repE0EEENS1_30default_config_static_selectorELNS0_4arch9wavefront6targetE0EEEvT1_.num_agpr, 0
	.set _ZN7rocprim17ROCPRIM_400000_NS6detail17trampoline_kernelINS0_14default_configENS1_25transform_config_selectorIsLb1EEEZNS1_14transform_implILb1ES3_S5_PKsPsNS0_8identityIsEEEE10hipError_tT2_T3_mT4_P12ihipStream_tbEUlT_E_NS1_11comp_targetILNS1_3genE10ELNS1_11target_archE1201ELNS1_3gpuE5ELNS1_3repE0EEENS1_30default_config_static_selectorELNS0_4arch9wavefront6targetE0EEEvT1_.numbered_sgpr, 0
	.set _ZN7rocprim17ROCPRIM_400000_NS6detail17trampoline_kernelINS0_14default_configENS1_25transform_config_selectorIsLb1EEEZNS1_14transform_implILb1ES3_S5_PKsPsNS0_8identityIsEEEE10hipError_tT2_T3_mT4_P12ihipStream_tbEUlT_E_NS1_11comp_targetILNS1_3genE10ELNS1_11target_archE1201ELNS1_3gpuE5ELNS1_3repE0EEENS1_30default_config_static_selectorELNS0_4arch9wavefront6targetE0EEEvT1_.num_named_barrier, 0
	.set _ZN7rocprim17ROCPRIM_400000_NS6detail17trampoline_kernelINS0_14default_configENS1_25transform_config_selectorIsLb1EEEZNS1_14transform_implILb1ES3_S5_PKsPsNS0_8identityIsEEEE10hipError_tT2_T3_mT4_P12ihipStream_tbEUlT_E_NS1_11comp_targetILNS1_3genE10ELNS1_11target_archE1201ELNS1_3gpuE5ELNS1_3repE0EEENS1_30default_config_static_selectorELNS0_4arch9wavefront6targetE0EEEvT1_.private_seg_size, 0
	.set _ZN7rocprim17ROCPRIM_400000_NS6detail17trampoline_kernelINS0_14default_configENS1_25transform_config_selectorIsLb1EEEZNS1_14transform_implILb1ES3_S5_PKsPsNS0_8identityIsEEEE10hipError_tT2_T3_mT4_P12ihipStream_tbEUlT_E_NS1_11comp_targetILNS1_3genE10ELNS1_11target_archE1201ELNS1_3gpuE5ELNS1_3repE0EEENS1_30default_config_static_selectorELNS0_4arch9wavefront6targetE0EEEvT1_.uses_vcc, 0
	.set _ZN7rocprim17ROCPRIM_400000_NS6detail17trampoline_kernelINS0_14default_configENS1_25transform_config_selectorIsLb1EEEZNS1_14transform_implILb1ES3_S5_PKsPsNS0_8identityIsEEEE10hipError_tT2_T3_mT4_P12ihipStream_tbEUlT_E_NS1_11comp_targetILNS1_3genE10ELNS1_11target_archE1201ELNS1_3gpuE5ELNS1_3repE0EEENS1_30default_config_static_selectorELNS0_4arch9wavefront6targetE0EEEvT1_.uses_flat_scratch, 0
	.set _ZN7rocprim17ROCPRIM_400000_NS6detail17trampoline_kernelINS0_14default_configENS1_25transform_config_selectorIsLb1EEEZNS1_14transform_implILb1ES3_S5_PKsPsNS0_8identityIsEEEE10hipError_tT2_T3_mT4_P12ihipStream_tbEUlT_E_NS1_11comp_targetILNS1_3genE10ELNS1_11target_archE1201ELNS1_3gpuE5ELNS1_3repE0EEENS1_30default_config_static_selectorELNS0_4arch9wavefront6targetE0EEEvT1_.has_dyn_sized_stack, 0
	.set _ZN7rocprim17ROCPRIM_400000_NS6detail17trampoline_kernelINS0_14default_configENS1_25transform_config_selectorIsLb1EEEZNS1_14transform_implILb1ES3_S5_PKsPsNS0_8identityIsEEEE10hipError_tT2_T3_mT4_P12ihipStream_tbEUlT_E_NS1_11comp_targetILNS1_3genE10ELNS1_11target_archE1201ELNS1_3gpuE5ELNS1_3repE0EEENS1_30default_config_static_selectorELNS0_4arch9wavefront6targetE0EEEvT1_.has_recursion, 0
	.set _ZN7rocprim17ROCPRIM_400000_NS6detail17trampoline_kernelINS0_14default_configENS1_25transform_config_selectorIsLb1EEEZNS1_14transform_implILb1ES3_S5_PKsPsNS0_8identityIsEEEE10hipError_tT2_T3_mT4_P12ihipStream_tbEUlT_E_NS1_11comp_targetILNS1_3genE10ELNS1_11target_archE1201ELNS1_3gpuE5ELNS1_3repE0EEENS1_30default_config_static_selectorELNS0_4arch9wavefront6targetE0EEEvT1_.has_indirect_call, 0
	.section	.AMDGPU.csdata,"",@progbits
; Kernel info:
; codeLenInByte = 0
; TotalNumSgprs: 0
; NumVgprs: 0
; ScratchSize: 0
; MemoryBound: 0
; FloatMode: 240
; IeeeMode: 1
; LDSByteSize: 0 bytes/workgroup (compile time only)
; SGPRBlocks: 0
; VGPRBlocks: 0
; NumSGPRsForWavesPerEU: 1
; NumVGPRsForWavesPerEU: 1
; NamedBarCnt: 0
; Occupancy: 16
; WaveLimiterHint : 0
; COMPUTE_PGM_RSRC2:SCRATCH_EN: 0
; COMPUTE_PGM_RSRC2:USER_SGPR: 2
; COMPUTE_PGM_RSRC2:TRAP_HANDLER: 0
; COMPUTE_PGM_RSRC2:TGID_X_EN: 1
; COMPUTE_PGM_RSRC2:TGID_Y_EN: 0
; COMPUTE_PGM_RSRC2:TGID_Z_EN: 0
; COMPUTE_PGM_RSRC2:TIDIG_COMP_CNT: 0
	.section	.text._ZN7rocprim17ROCPRIM_400000_NS6detail17trampoline_kernelINS0_14default_configENS1_25transform_config_selectorIsLb1EEEZNS1_14transform_implILb1ES3_S5_PKsPsNS0_8identityIsEEEE10hipError_tT2_T3_mT4_P12ihipStream_tbEUlT_E_NS1_11comp_targetILNS1_3genE5ELNS1_11target_archE942ELNS1_3gpuE9ELNS1_3repE0EEENS1_30default_config_static_selectorELNS0_4arch9wavefront6targetE0EEEvT1_,"axG",@progbits,_ZN7rocprim17ROCPRIM_400000_NS6detail17trampoline_kernelINS0_14default_configENS1_25transform_config_selectorIsLb1EEEZNS1_14transform_implILb1ES3_S5_PKsPsNS0_8identityIsEEEE10hipError_tT2_T3_mT4_P12ihipStream_tbEUlT_E_NS1_11comp_targetILNS1_3genE5ELNS1_11target_archE942ELNS1_3gpuE9ELNS1_3repE0EEENS1_30default_config_static_selectorELNS0_4arch9wavefront6targetE0EEEvT1_,comdat
	.protected	_ZN7rocprim17ROCPRIM_400000_NS6detail17trampoline_kernelINS0_14default_configENS1_25transform_config_selectorIsLb1EEEZNS1_14transform_implILb1ES3_S5_PKsPsNS0_8identityIsEEEE10hipError_tT2_T3_mT4_P12ihipStream_tbEUlT_E_NS1_11comp_targetILNS1_3genE5ELNS1_11target_archE942ELNS1_3gpuE9ELNS1_3repE0EEENS1_30default_config_static_selectorELNS0_4arch9wavefront6targetE0EEEvT1_ ; -- Begin function _ZN7rocprim17ROCPRIM_400000_NS6detail17trampoline_kernelINS0_14default_configENS1_25transform_config_selectorIsLb1EEEZNS1_14transform_implILb1ES3_S5_PKsPsNS0_8identityIsEEEE10hipError_tT2_T3_mT4_P12ihipStream_tbEUlT_E_NS1_11comp_targetILNS1_3genE5ELNS1_11target_archE942ELNS1_3gpuE9ELNS1_3repE0EEENS1_30default_config_static_selectorELNS0_4arch9wavefront6targetE0EEEvT1_
	.globl	_ZN7rocprim17ROCPRIM_400000_NS6detail17trampoline_kernelINS0_14default_configENS1_25transform_config_selectorIsLb1EEEZNS1_14transform_implILb1ES3_S5_PKsPsNS0_8identityIsEEEE10hipError_tT2_T3_mT4_P12ihipStream_tbEUlT_E_NS1_11comp_targetILNS1_3genE5ELNS1_11target_archE942ELNS1_3gpuE9ELNS1_3repE0EEENS1_30default_config_static_selectorELNS0_4arch9wavefront6targetE0EEEvT1_
	.p2align	8
	.type	_ZN7rocprim17ROCPRIM_400000_NS6detail17trampoline_kernelINS0_14default_configENS1_25transform_config_selectorIsLb1EEEZNS1_14transform_implILb1ES3_S5_PKsPsNS0_8identityIsEEEE10hipError_tT2_T3_mT4_P12ihipStream_tbEUlT_E_NS1_11comp_targetILNS1_3genE5ELNS1_11target_archE942ELNS1_3gpuE9ELNS1_3repE0EEENS1_30default_config_static_selectorELNS0_4arch9wavefront6targetE0EEEvT1_,@function
_ZN7rocprim17ROCPRIM_400000_NS6detail17trampoline_kernelINS0_14default_configENS1_25transform_config_selectorIsLb1EEEZNS1_14transform_implILb1ES3_S5_PKsPsNS0_8identityIsEEEE10hipError_tT2_T3_mT4_P12ihipStream_tbEUlT_E_NS1_11comp_targetILNS1_3genE5ELNS1_11target_archE942ELNS1_3gpuE9ELNS1_3repE0EEENS1_30default_config_static_selectorELNS0_4arch9wavefront6targetE0EEEvT1_: ; @_ZN7rocprim17ROCPRIM_400000_NS6detail17trampoline_kernelINS0_14default_configENS1_25transform_config_selectorIsLb1EEEZNS1_14transform_implILb1ES3_S5_PKsPsNS0_8identityIsEEEE10hipError_tT2_T3_mT4_P12ihipStream_tbEUlT_E_NS1_11comp_targetILNS1_3genE5ELNS1_11target_archE942ELNS1_3gpuE9ELNS1_3repE0EEENS1_30default_config_static_selectorELNS0_4arch9wavefront6targetE0EEEvT1_
; %bb.0:
	.section	.rodata,"a",@progbits
	.p2align	6, 0x0
	.amdhsa_kernel _ZN7rocprim17ROCPRIM_400000_NS6detail17trampoline_kernelINS0_14default_configENS1_25transform_config_selectorIsLb1EEEZNS1_14transform_implILb1ES3_S5_PKsPsNS0_8identityIsEEEE10hipError_tT2_T3_mT4_P12ihipStream_tbEUlT_E_NS1_11comp_targetILNS1_3genE5ELNS1_11target_archE942ELNS1_3gpuE9ELNS1_3repE0EEENS1_30default_config_static_selectorELNS0_4arch9wavefront6targetE0EEEvT1_
		.amdhsa_group_segment_fixed_size 0
		.amdhsa_private_segment_fixed_size 0
		.amdhsa_kernarg_size 40
		.amdhsa_user_sgpr_count 2
		.amdhsa_user_sgpr_dispatch_ptr 0
		.amdhsa_user_sgpr_queue_ptr 0
		.amdhsa_user_sgpr_kernarg_segment_ptr 1
		.amdhsa_user_sgpr_dispatch_id 0
		.amdhsa_user_sgpr_kernarg_preload_length 0
		.amdhsa_user_sgpr_kernarg_preload_offset 0
		.amdhsa_user_sgpr_private_segment_size 0
		.amdhsa_wavefront_size32 1
		.amdhsa_uses_dynamic_stack 0
		.amdhsa_enable_private_segment 0
		.amdhsa_system_sgpr_workgroup_id_x 1
		.amdhsa_system_sgpr_workgroup_id_y 0
		.amdhsa_system_sgpr_workgroup_id_z 0
		.amdhsa_system_sgpr_workgroup_info 0
		.amdhsa_system_vgpr_workitem_id 0
		.amdhsa_next_free_vgpr 1
		.amdhsa_next_free_sgpr 1
		.amdhsa_named_barrier_count 0
		.amdhsa_reserve_vcc 0
		.amdhsa_float_round_mode_32 0
		.amdhsa_float_round_mode_16_64 0
		.amdhsa_float_denorm_mode_32 3
		.amdhsa_float_denorm_mode_16_64 3
		.amdhsa_fp16_overflow 0
		.amdhsa_memory_ordered 1
		.amdhsa_forward_progress 1
		.amdhsa_inst_pref_size 0
		.amdhsa_round_robin_scheduling 0
		.amdhsa_exception_fp_ieee_invalid_op 0
		.amdhsa_exception_fp_denorm_src 0
		.amdhsa_exception_fp_ieee_div_zero 0
		.amdhsa_exception_fp_ieee_overflow 0
		.amdhsa_exception_fp_ieee_underflow 0
		.amdhsa_exception_fp_ieee_inexact 0
		.amdhsa_exception_int_div_zero 0
	.end_amdhsa_kernel
	.section	.text._ZN7rocprim17ROCPRIM_400000_NS6detail17trampoline_kernelINS0_14default_configENS1_25transform_config_selectorIsLb1EEEZNS1_14transform_implILb1ES3_S5_PKsPsNS0_8identityIsEEEE10hipError_tT2_T3_mT4_P12ihipStream_tbEUlT_E_NS1_11comp_targetILNS1_3genE5ELNS1_11target_archE942ELNS1_3gpuE9ELNS1_3repE0EEENS1_30default_config_static_selectorELNS0_4arch9wavefront6targetE0EEEvT1_,"axG",@progbits,_ZN7rocprim17ROCPRIM_400000_NS6detail17trampoline_kernelINS0_14default_configENS1_25transform_config_selectorIsLb1EEEZNS1_14transform_implILb1ES3_S5_PKsPsNS0_8identityIsEEEE10hipError_tT2_T3_mT4_P12ihipStream_tbEUlT_E_NS1_11comp_targetILNS1_3genE5ELNS1_11target_archE942ELNS1_3gpuE9ELNS1_3repE0EEENS1_30default_config_static_selectorELNS0_4arch9wavefront6targetE0EEEvT1_,comdat
.Lfunc_end596:
	.size	_ZN7rocprim17ROCPRIM_400000_NS6detail17trampoline_kernelINS0_14default_configENS1_25transform_config_selectorIsLb1EEEZNS1_14transform_implILb1ES3_S5_PKsPsNS0_8identityIsEEEE10hipError_tT2_T3_mT4_P12ihipStream_tbEUlT_E_NS1_11comp_targetILNS1_3genE5ELNS1_11target_archE942ELNS1_3gpuE9ELNS1_3repE0EEENS1_30default_config_static_selectorELNS0_4arch9wavefront6targetE0EEEvT1_, .Lfunc_end596-_ZN7rocprim17ROCPRIM_400000_NS6detail17trampoline_kernelINS0_14default_configENS1_25transform_config_selectorIsLb1EEEZNS1_14transform_implILb1ES3_S5_PKsPsNS0_8identityIsEEEE10hipError_tT2_T3_mT4_P12ihipStream_tbEUlT_E_NS1_11comp_targetILNS1_3genE5ELNS1_11target_archE942ELNS1_3gpuE9ELNS1_3repE0EEENS1_30default_config_static_selectorELNS0_4arch9wavefront6targetE0EEEvT1_
                                        ; -- End function
	.set _ZN7rocprim17ROCPRIM_400000_NS6detail17trampoline_kernelINS0_14default_configENS1_25transform_config_selectorIsLb1EEEZNS1_14transform_implILb1ES3_S5_PKsPsNS0_8identityIsEEEE10hipError_tT2_T3_mT4_P12ihipStream_tbEUlT_E_NS1_11comp_targetILNS1_3genE5ELNS1_11target_archE942ELNS1_3gpuE9ELNS1_3repE0EEENS1_30default_config_static_selectorELNS0_4arch9wavefront6targetE0EEEvT1_.num_vgpr, 0
	.set _ZN7rocprim17ROCPRIM_400000_NS6detail17trampoline_kernelINS0_14default_configENS1_25transform_config_selectorIsLb1EEEZNS1_14transform_implILb1ES3_S5_PKsPsNS0_8identityIsEEEE10hipError_tT2_T3_mT4_P12ihipStream_tbEUlT_E_NS1_11comp_targetILNS1_3genE5ELNS1_11target_archE942ELNS1_3gpuE9ELNS1_3repE0EEENS1_30default_config_static_selectorELNS0_4arch9wavefront6targetE0EEEvT1_.num_agpr, 0
	.set _ZN7rocprim17ROCPRIM_400000_NS6detail17trampoline_kernelINS0_14default_configENS1_25transform_config_selectorIsLb1EEEZNS1_14transform_implILb1ES3_S5_PKsPsNS0_8identityIsEEEE10hipError_tT2_T3_mT4_P12ihipStream_tbEUlT_E_NS1_11comp_targetILNS1_3genE5ELNS1_11target_archE942ELNS1_3gpuE9ELNS1_3repE0EEENS1_30default_config_static_selectorELNS0_4arch9wavefront6targetE0EEEvT1_.numbered_sgpr, 0
	.set _ZN7rocprim17ROCPRIM_400000_NS6detail17trampoline_kernelINS0_14default_configENS1_25transform_config_selectorIsLb1EEEZNS1_14transform_implILb1ES3_S5_PKsPsNS0_8identityIsEEEE10hipError_tT2_T3_mT4_P12ihipStream_tbEUlT_E_NS1_11comp_targetILNS1_3genE5ELNS1_11target_archE942ELNS1_3gpuE9ELNS1_3repE0EEENS1_30default_config_static_selectorELNS0_4arch9wavefront6targetE0EEEvT1_.num_named_barrier, 0
	.set _ZN7rocprim17ROCPRIM_400000_NS6detail17trampoline_kernelINS0_14default_configENS1_25transform_config_selectorIsLb1EEEZNS1_14transform_implILb1ES3_S5_PKsPsNS0_8identityIsEEEE10hipError_tT2_T3_mT4_P12ihipStream_tbEUlT_E_NS1_11comp_targetILNS1_3genE5ELNS1_11target_archE942ELNS1_3gpuE9ELNS1_3repE0EEENS1_30default_config_static_selectorELNS0_4arch9wavefront6targetE0EEEvT1_.private_seg_size, 0
	.set _ZN7rocprim17ROCPRIM_400000_NS6detail17trampoline_kernelINS0_14default_configENS1_25transform_config_selectorIsLb1EEEZNS1_14transform_implILb1ES3_S5_PKsPsNS0_8identityIsEEEE10hipError_tT2_T3_mT4_P12ihipStream_tbEUlT_E_NS1_11comp_targetILNS1_3genE5ELNS1_11target_archE942ELNS1_3gpuE9ELNS1_3repE0EEENS1_30default_config_static_selectorELNS0_4arch9wavefront6targetE0EEEvT1_.uses_vcc, 0
	.set _ZN7rocprim17ROCPRIM_400000_NS6detail17trampoline_kernelINS0_14default_configENS1_25transform_config_selectorIsLb1EEEZNS1_14transform_implILb1ES3_S5_PKsPsNS0_8identityIsEEEE10hipError_tT2_T3_mT4_P12ihipStream_tbEUlT_E_NS1_11comp_targetILNS1_3genE5ELNS1_11target_archE942ELNS1_3gpuE9ELNS1_3repE0EEENS1_30default_config_static_selectorELNS0_4arch9wavefront6targetE0EEEvT1_.uses_flat_scratch, 0
	.set _ZN7rocprim17ROCPRIM_400000_NS6detail17trampoline_kernelINS0_14default_configENS1_25transform_config_selectorIsLb1EEEZNS1_14transform_implILb1ES3_S5_PKsPsNS0_8identityIsEEEE10hipError_tT2_T3_mT4_P12ihipStream_tbEUlT_E_NS1_11comp_targetILNS1_3genE5ELNS1_11target_archE942ELNS1_3gpuE9ELNS1_3repE0EEENS1_30default_config_static_selectorELNS0_4arch9wavefront6targetE0EEEvT1_.has_dyn_sized_stack, 0
	.set _ZN7rocprim17ROCPRIM_400000_NS6detail17trampoline_kernelINS0_14default_configENS1_25transform_config_selectorIsLb1EEEZNS1_14transform_implILb1ES3_S5_PKsPsNS0_8identityIsEEEE10hipError_tT2_T3_mT4_P12ihipStream_tbEUlT_E_NS1_11comp_targetILNS1_3genE5ELNS1_11target_archE942ELNS1_3gpuE9ELNS1_3repE0EEENS1_30default_config_static_selectorELNS0_4arch9wavefront6targetE0EEEvT1_.has_recursion, 0
	.set _ZN7rocprim17ROCPRIM_400000_NS6detail17trampoline_kernelINS0_14default_configENS1_25transform_config_selectorIsLb1EEEZNS1_14transform_implILb1ES3_S5_PKsPsNS0_8identityIsEEEE10hipError_tT2_T3_mT4_P12ihipStream_tbEUlT_E_NS1_11comp_targetILNS1_3genE5ELNS1_11target_archE942ELNS1_3gpuE9ELNS1_3repE0EEENS1_30default_config_static_selectorELNS0_4arch9wavefront6targetE0EEEvT1_.has_indirect_call, 0
	.section	.AMDGPU.csdata,"",@progbits
; Kernel info:
; codeLenInByte = 0
; TotalNumSgprs: 0
; NumVgprs: 0
; ScratchSize: 0
; MemoryBound: 0
; FloatMode: 240
; IeeeMode: 1
; LDSByteSize: 0 bytes/workgroup (compile time only)
; SGPRBlocks: 0
; VGPRBlocks: 0
; NumSGPRsForWavesPerEU: 1
; NumVGPRsForWavesPerEU: 1
; NamedBarCnt: 0
; Occupancy: 16
; WaveLimiterHint : 0
; COMPUTE_PGM_RSRC2:SCRATCH_EN: 0
; COMPUTE_PGM_RSRC2:USER_SGPR: 2
; COMPUTE_PGM_RSRC2:TRAP_HANDLER: 0
; COMPUTE_PGM_RSRC2:TGID_X_EN: 1
; COMPUTE_PGM_RSRC2:TGID_Y_EN: 0
; COMPUTE_PGM_RSRC2:TGID_Z_EN: 0
; COMPUTE_PGM_RSRC2:TIDIG_COMP_CNT: 0
	.section	.text._ZN7rocprim17ROCPRIM_400000_NS6detail17trampoline_kernelINS0_14default_configENS1_25transform_config_selectorIsLb1EEEZNS1_14transform_implILb1ES3_S5_PKsPsNS0_8identityIsEEEE10hipError_tT2_T3_mT4_P12ihipStream_tbEUlT_E_NS1_11comp_targetILNS1_3genE4ELNS1_11target_archE910ELNS1_3gpuE8ELNS1_3repE0EEENS1_30default_config_static_selectorELNS0_4arch9wavefront6targetE0EEEvT1_,"axG",@progbits,_ZN7rocprim17ROCPRIM_400000_NS6detail17trampoline_kernelINS0_14default_configENS1_25transform_config_selectorIsLb1EEEZNS1_14transform_implILb1ES3_S5_PKsPsNS0_8identityIsEEEE10hipError_tT2_T3_mT4_P12ihipStream_tbEUlT_E_NS1_11comp_targetILNS1_3genE4ELNS1_11target_archE910ELNS1_3gpuE8ELNS1_3repE0EEENS1_30default_config_static_selectorELNS0_4arch9wavefront6targetE0EEEvT1_,comdat
	.protected	_ZN7rocprim17ROCPRIM_400000_NS6detail17trampoline_kernelINS0_14default_configENS1_25transform_config_selectorIsLb1EEEZNS1_14transform_implILb1ES3_S5_PKsPsNS0_8identityIsEEEE10hipError_tT2_T3_mT4_P12ihipStream_tbEUlT_E_NS1_11comp_targetILNS1_3genE4ELNS1_11target_archE910ELNS1_3gpuE8ELNS1_3repE0EEENS1_30default_config_static_selectorELNS0_4arch9wavefront6targetE0EEEvT1_ ; -- Begin function _ZN7rocprim17ROCPRIM_400000_NS6detail17trampoline_kernelINS0_14default_configENS1_25transform_config_selectorIsLb1EEEZNS1_14transform_implILb1ES3_S5_PKsPsNS0_8identityIsEEEE10hipError_tT2_T3_mT4_P12ihipStream_tbEUlT_E_NS1_11comp_targetILNS1_3genE4ELNS1_11target_archE910ELNS1_3gpuE8ELNS1_3repE0EEENS1_30default_config_static_selectorELNS0_4arch9wavefront6targetE0EEEvT1_
	.globl	_ZN7rocprim17ROCPRIM_400000_NS6detail17trampoline_kernelINS0_14default_configENS1_25transform_config_selectorIsLb1EEEZNS1_14transform_implILb1ES3_S5_PKsPsNS0_8identityIsEEEE10hipError_tT2_T3_mT4_P12ihipStream_tbEUlT_E_NS1_11comp_targetILNS1_3genE4ELNS1_11target_archE910ELNS1_3gpuE8ELNS1_3repE0EEENS1_30default_config_static_selectorELNS0_4arch9wavefront6targetE0EEEvT1_
	.p2align	8
	.type	_ZN7rocprim17ROCPRIM_400000_NS6detail17trampoline_kernelINS0_14default_configENS1_25transform_config_selectorIsLb1EEEZNS1_14transform_implILb1ES3_S5_PKsPsNS0_8identityIsEEEE10hipError_tT2_T3_mT4_P12ihipStream_tbEUlT_E_NS1_11comp_targetILNS1_3genE4ELNS1_11target_archE910ELNS1_3gpuE8ELNS1_3repE0EEENS1_30default_config_static_selectorELNS0_4arch9wavefront6targetE0EEEvT1_,@function
_ZN7rocprim17ROCPRIM_400000_NS6detail17trampoline_kernelINS0_14default_configENS1_25transform_config_selectorIsLb1EEEZNS1_14transform_implILb1ES3_S5_PKsPsNS0_8identityIsEEEE10hipError_tT2_T3_mT4_P12ihipStream_tbEUlT_E_NS1_11comp_targetILNS1_3genE4ELNS1_11target_archE910ELNS1_3gpuE8ELNS1_3repE0EEENS1_30default_config_static_selectorELNS0_4arch9wavefront6targetE0EEEvT1_: ; @_ZN7rocprim17ROCPRIM_400000_NS6detail17trampoline_kernelINS0_14default_configENS1_25transform_config_selectorIsLb1EEEZNS1_14transform_implILb1ES3_S5_PKsPsNS0_8identityIsEEEE10hipError_tT2_T3_mT4_P12ihipStream_tbEUlT_E_NS1_11comp_targetILNS1_3genE4ELNS1_11target_archE910ELNS1_3gpuE8ELNS1_3repE0EEENS1_30default_config_static_selectorELNS0_4arch9wavefront6targetE0EEEvT1_
; %bb.0:
	.section	.rodata,"a",@progbits
	.p2align	6, 0x0
	.amdhsa_kernel _ZN7rocprim17ROCPRIM_400000_NS6detail17trampoline_kernelINS0_14default_configENS1_25transform_config_selectorIsLb1EEEZNS1_14transform_implILb1ES3_S5_PKsPsNS0_8identityIsEEEE10hipError_tT2_T3_mT4_P12ihipStream_tbEUlT_E_NS1_11comp_targetILNS1_3genE4ELNS1_11target_archE910ELNS1_3gpuE8ELNS1_3repE0EEENS1_30default_config_static_selectorELNS0_4arch9wavefront6targetE0EEEvT1_
		.amdhsa_group_segment_fixed_size 0
		.amdhsa_private_segment_fixed_size 0
		.amdhsa_kernarg_size 40
		.amdhsa_user_sgpr_count 2
		.amdhsa_user_sgpr_dispatch_ptr 0
		.amdhsa_user_sgpr_queue_ptr 0
		.amdhsa_user_sgpr_kernarg_segment_ptr 1
		.amdhsa_user_sgpr_dispatch_id 0
		.amdhsa_user_sgpr_kernarg_preload_length 0
		.amdhsa_user_sgpr_kernarg_preload_offset 0
		.amdhsa_user_sgpr_private_segment_size 0
		.amdhsa_wavefront_size32 1
		.amdhsa_uses_dynamic_stack 0
		.amdhsa_enable_private_segment 0
		.amdhsa_system_sgpr_workgroup_id_x 1
		.amdhsa_system_sgpr_workgroup_id_y 0
		.amdhsa_system_sgpr_workgroup_id_z 0
		.amdhsa_system_sgpr_workgroup_info 0
		.amdhsa_system_vgpr_workitem_id 0
		.amdhsa_next_free_vgpr 1
		.amdhsa_next_free_sgpr 1
		.amdhsa_named_barrier_count 0
		.amdhsa_reserve_vcc 0
		.amdhsa_float_round_mode_32 0
		.amdhsa_float_round_mode_16_64 0
		.amdhsa_float_denorm_mode_32 3
		.amdhsa_float_denorm_mode_16_64 3
		.amdhsa_fp16_overflow 0
		.amdhsa_memory_ordered 1
		.amdhsa_forward_progress 1
		.amdhsa_inst_pref_size 0
		.amdhsa_round_robin_scheduling 0
		.amdhsa_exception_fp_ieee_invalid_op 0
		.amdhsa_exception_fp_denorm_src 0
		.amdhsa_exception_fp_ieee_div_zero 0
		.amdhsa_exception_fp_ieee_overflow 0
		.amdhsa_exception_fp_ieee_underflow 0
		.amdhsa_exception_fp_ieee_inexact 0
		.amdhsa_exception_int_div_zero 0
	.end_amdhsa_kernel
	.section	.text._ZN7rocprim17ROCPRIM_400000_NS6detail17trampoline_kernelINS0_14default_configENS1_25transform_config_selectorIsLb1EEEZNS1_14transform_implILb1ES3_S5_PKsPsNS0_8identityIsEEEE10hipError_tT2_T3_mT4_P12ihipStream_tbEUlT_E_NS1_11comp_targetILNS1_3genE4ELNS1_11target_archE910ELNS1_3gpuE8ELNS1_3repE0EEENS1_30default_config_static_selectorELNS0_4arch9wavefront6targetE0EEEvT1_,"axG",@progbits,_ZN7rocprim17ROCPRIM_400000_NS6detail17trampoline_kernelINS0_14default_configENS1_25transform_config_selectorIsLb1EEEZNS1_14transform_implILb1ES3_S5_PKsPsNS0_8identityIsEEEE10hipError_tT2_T3_mT4_P12ihipStream_tbEUlT_E_NS1_11comp_targetILNS1_3genE4ELNS1_11target_archE910ELNS1_3gpuE8ELNS1_3repE0EEENS1_30default_config_static_selectorELNS0_4arch9wavefront6targetE0EEEvT1_,comdat
.Lfunc_end597:
	.size	_ZN7rocprim17ROCPRIM_400000_NS6detail17trampoline_kernelINS0_14default_configENS1_25transform_config_selectorIsLb1EEEZNS1_14transform_implILb1ES3_S5_PKsPsNS0_8identityIsEEEE10hipError_tT2_T3_mT4_P12ihipStream_tbEUlT_E_NS1_11comp_targetILNS1_3genE4ELNS1_11target_archE910ELNS1_3gpuE8ELNS1_3repE0EEENS1_30default_config_static_selectorELNS0_4arch9wavefront6targetE0EEEvT1_, .Lfunc_end597-_ZN7rocprim17ROCPRIM_400000_NS6detail17trampoline_kernelINS0_14default_configENS1_25transform_config_selectorIsLb1EEEZNS1_14transform_implILb1ES3_S5_PKsPsNS0_8identityIsEEEE10hipError_tT2_T3_mT4_P12ihipStream_tbEUlT_E_NS1_11comp_targetILNS1_3genE4ELNS1_11target_archE910ELNS1_3gpuE8ELNS1_3repE0EEENS1_30default_config_static_selectorELNS0_4arch9wavefront6targetE0EEEvT1_
                                        ; -- End function
	.set _ZN7rocprim17ROCPRIM_400000_NS6detail17trampoline_kernelINS0_14default_configENS1_25transform_config_selectorIsLb1EEEZNS1_14transform_implILb1ES3_S5_PKsPsNS0_8identityIsEEEE10hipError_tT2_T3_mT4_P12ihipStream_tbEUlT_E_NS1_11comp_targetILNS1_3genE4ELNS1_11target_archE910ELNS1_3gpuE8ELNS1_3repE0EEENS1_30default_config_static_selectorELNS0_4arch9wavefront6targetE0EEEvT1_.num_vgpr, 0
	.set _ZN7rocprim17ROCPRIM_400000_NS6detail17trampoline_kernelINS0_14default_configENS1_25transform_config_selectorIsLb1EEEZNS1_14transform_implILb1ES3_S5_PKsPsNS0_8identityIsEEEE10hipError_tT2_T3_mT4_P12ihipStream_tbEUlT_E_NS1_11comp_targetILNS1_3genE4ELNS1_11target_archE910ELNS1_3gpuE8ELNS1_3repE0EEENS1_30default_config_static_selectorELNS0_4arch9wavefront6targetE0EEEvT1_.num_agpr, 0
	.set _ZN7rocprim17ROCPRIM_400000_NS6detail17trampoline_kernelINS0_14default_configENS1_25transform_config_selectorIsLb1EEEZNS1_14transform_implILb1ES3_S5_PKsPsNS0_8identityIsEEEE10hipError_tT2_T3_mT4_P12ihipStream_tbEUlT_E_NS1_11comp_targetILNS1_3genE4ELNS1_11target_archE910ELNS1_3gpuE8ELNS1_3repE0EEENS1_30default_config_static_selectorELNS0_4arch9wavefront6targetE0EEEvT1_.numbered_sgpr, 0
	.set _ZN7rocprim17ROCPRIM_400000_NS6detail17trampoline_kernelINS0_14default_configENS1_25transform_config_selectorIsLb1EEEZNS1_14transform_implILb1ES3_S5_PKsPsNS0_8identityIsEEEE10hipError_tT2_T3_mT4_P12ihipStream_tbEUlT_E_NS1_11comp_targetILNS1_3genE4ELNS1_11target_archE910ELNS1_3gpuE8ELNS1_3repE0EEENS1_30default_config_static_selectorELNS0_4arch9wavefront6targetE0EEEvT1_.num_named_barrier, 0
	.set _ZN7rocprim17ROCPRIM_400000_NS6detail17trampoline_kernelINS0_14default_configENS1_25transform_config_selectorIsLb1EEEZNS1_14transform_implILb1ES3_S5_PKsPsNS0_8identityIsEEEE10hipError_tT2_T3_mT4_P12ihipStream_tbEUlT_E_NS1_11comp_targetILNS1_3genE4ELNS1_11target_archE910ELNS1_3gpuE8ELNS1_3repE0EEENS1_30default_config_static_selectorELNS0_4arch9wavefront6targetE0EEEvT1_.private_seg_size, 0
	.set _ZN7rocprim17ROCPRIM_400000_NS6detail17trampoline_kernelINS0_14default_configENS1_25transform_config_selectorIsLb1EEEZNS1_14transform_implILb1ES3_S5_PKsPsNS0_8identityIsEEEE10hipError_tT2_T3_mT4_P12ihipStream_tbEUlT_E_NS1_11comp_targetILNS1_3genE4ELNS1_11target_archE910ELNS1_3gpuE8ELNS1_3repE0EEENS1_30default_config_static_selectorELNS0_4arch9wavefront6targetE0EEEvT1_.uses_vcc, 0
	.set _ZN7rocprim17ROCPRIM_400000_NS6detail17trampoline_kernelINS0_14default_configENS1_25transform_config_selectorIsLb1EEEZNS1_14transform_implILb1ES3_S5_PKsPsNS0_8identityIsEEEE10hipError_tT2_T3_mT4_P12ihipStream_tbEUlT_E_NS1_11comp_targetILNS1_3genE4ELNS1_11target_archE910ELNS1_3gpuE8ELNS1_3repE0EEENS1_30default_config_static_selectorELNS0_4arch9wavefront6targetE0EEEvT1_.uses_flat_scratch, 0
	.set _ZN7rocprim17ROCPRIM_400000_NS6detail17trampoline_kernelINS0_14default_configENS1_25transform_config_selectorIsLb1EEEZNS1_14transform_implILb1ES3_S5_PKsPsNS0_8identityIsEEEE10hipError_tT2_T3_mT4_P12ihipStream_tbEUlT_E_NS1_11comp_targetILNS1_3genE4ELNS1_11target_archE910ELNS1_3gpuE8ELNS1_3repE0EEENS1_30default_config_static_selectorELNS0_4arch9wavefront6targetE0EEEvT1_.has_dyn_sized_stack, 0
	.set _ZN7rocprim17ROCPRIM_400000_NS6detail17trampoline_kernelINS0_14default_configENS1_25transform_config_selectorIsLb1EEEZNS1_14transform_implILb1ES3_S5_PKsPsNS0_8identityIsEEEE10hipError_tT2_T3_mT4_P12ihipStream_tbEUlT_E_NS1_11comp_targetILNS1_3genE4ELNS1_11target_archE910ELNS1_3gpuE8ELNS1_3repE0EEENS1_30default_config_static_selectorELNS0_4arch9wavefront6targetE0EEEvT1_.has_recursion, 0
	.set _ZN7rocprim17ROCPRIM_400000_NS6detail17trampoline_kernelINS0_14default_configENS1_25transform_config_selectorIsLb1EEEZNS1_14transform_implILb1ES3_S5_PKsPsNS0_8identityIsEEEE10hipError_tT2_T3_mT4_P12ihipStream_tbEUlT_E_NS1_11comp_targetILNS1_3genE4ELNS1_11target_archE910ELNS1_3gpuE8ELNS1_3repE0EEENS1_30default_config_static_selectorELNS0_4arch9wavefront6targetE0EEEvT1_.has_indirect_call, 0
	.section	.AMDGPU.csdata,"",@progbits
; Kernel info:
; codeLenInByte = 0
; TotalNumSgprs: 0
; NumVgprs: 0
; ScratchSize: 0
; MemoryBound: 0
; FloatMode: 240
; IeeeMode: 1
; LDSByteSize: 0 bytes/workgroup (compile time only)
; SGPRBlocks: 0
; VGPRBlocks: 0
; NumSGPRsForWavesPerEU: 1
; NumVGPRsForWavesPerEU: 1
; NamedBarCnt: 0
; Occupancy: 16
; WaveLimiterHint : 0
; COMPUTE_PGM_RSRC2:SCRATCH_EN: 0
; COMPUTE_PGM_RSRC2:USER_SGPR: 2
; COMPUTE_PGM_RSRC2:TRAP_HANDLER: 0
; COMPUTE_PGM_RSRC2:TGID_X_EN: 1
; COMPUTE_PGM_RSRC2:TGID_Y_EN: 0
; COMPUTE_PGM_RSRC2:TGID_Z_EN: 0
; COMPUTE_PGM_RSRC2:TIDIG_COMP_CNT: 0
	.section	.text._ZN7rocprim17ROCPRIM_400000_NS6detail17trampoline_kernelINS0_14default_configENS1_25transform_config_selectorIsLb1EEEZNS1_14transform_implILb1ES3_S5_PKsPsNS0_8identityIsEEEE10hipError_tT2_T3_mT4_P12ihipStream_tbEUlT_E_NS1_11comp_targetILNS1_3genE3ELNS1_11target_archE908ELNS1_3gpuE7ELNS1_3repE0EEENS1_30default_config_static_selectorELNS0_4arch9wavefront6targetE0EEEvT1_,"axG",@progbits,_ZN7rocprim17ROCPRIM_400000_NS6detail17trampoline_kernelINS0_14default_configENS1_25transform_config_selectorIsLb1EEEZNS1_14transform_implILb1ES3_S5_PKsPsNS0_8identityIsEEEE10hipError_tT2_T3_mT4_P12ihipStream_tbEUlT_E_NS1_11comp_targetILNS1_3genE3ELNS1_11target_archE908ELNS1_3gpuE7ELNS1_3repE0EEENS1_30default_config_static_selectorELNS0_4arch9wavefront6targetE0EEEvT1_,comdat
	.protected	_ZN7rocprim17ROCPRIM_400000_NS6detail17trampoline_kernelINS0_14default_configENS1_25transform_config_selectorIsLb1EEEZNS1_14transform_implILb1ES3_S5_PKsPsNS0_8identityIsEEEE10hipError_tT2_T3_mT4_P12ihipStream_tbEUlT_E_NS1_11comp_targetILNS1_3genE3ELNS1_11target_archE908ELNS1_3gpuE7ELNS1_3repE0EEENS1_30default_config_static_selectorELNS0_4arch9wavefront6targetE0EEEvT1_ ; -- Begin function _ZN7rocprim17ROCPRIM_400000_NS6detail17trampoline_kernelINS0_14default_configENS1_25transform_config_selectorIsLb1EEEZNS1_14transform_implILb1ES3_S5_PKsPsNS0_8identityIsEEEE10hipError_tT2_T3_mT4_P12ihipStream_tbEUlT_E_NS1_11comp_targetILNS1_3genE3ELNS1_11target_archE908ELNS1_3gpuE7ELNS1_3repE0EEENS1_30default_config_static_selectorELNS0_4arch9wavefront6targetE0EEEvT1_
	.globl	_ZN7rocprim17ROCPRIM_400000_NS6detail17trampoline_kernelINS0_14default_configENS1_25transform_config_selectorIsLb1EEEZNS1_14transform_implILb1ES3_S5_PKsPsNS0_8identityIsEEEE10hipError_tT2_T3_mT4_P12ihipStream_tbEUlT_E_NS1_11comp_targetILNS1_3genE3ELNS1_11target_archE908ELNS1_3gpuE7ELNS1_3repE0EEENS1_30default_config_static_selectorELNS0_4arch9wavefront6targetE0EEEvT1_
	.p2align	8
	.type	_ZN7rocprim17ROCPRIM_400000_NS6detail17trampoline_kernelINS0_14default_configENS1_25transform_config_selectorIsLb1EEEZNS1_14transform_implILb1ES3_S5_PKsPsNS0_8identityIsEEEE10hipError_tT2_T3_mT4_P12ihipStream_tbEUlT_E_NS1_11comp_targetILNS1_3genE3ELNS1_11target_archE908ELNS1_3gpuE7ELNS1_3repE0EEENS1_30default_config_static_selectorELNS0_4arch9wavefront6targetE0EEEvT1_,@function
_ZN7rocprim17ROCPRIM_400000_NS6detail17trampoline_kernelINS0_14default_configENS1_25transform_config_selectorIsLb1EEEZNS1_14transform_implILb1ES3_S5_PKsPsNS0_8identityIsEEEE10hipError_tT2_T3_mT4_P12ihipStream_tbEUlT_E_NS1_11comp_targetILNS1_3genE3ELNS1_11target_archE908ELNS1_3gpuE7ELNS1_3repE0EEENS1_30default_config_static_selectorELNS0_4arch9wavefront6targetE0EEEvT1_: ; @_ZN7rocprim17ROCPRIM_400000_NS6detail17trampoline_kernelINS0_14default_configENS1_25transform_config_selectorIsLb1EEEZNS1_14transform_implILb1ES3_S5_PKsPsNS0_8identityIsEEEE10hipError_tT2_T3_mT4_P12ihipStream_tbEUlT_E_NS1_11comp_targetILNS1_3genE3ELNS1_11target_archE908ELNS1_3gpuE7ELNS1_3repE0EEENS1_30default_config_static_selectorELNS0_4arch9wavefront6targetE0EEEvT1_
; %bb.0:
	.section	.rodata,"a",@progbits
	.p2align	6, 0x0
	.amdhsa_kernel _ZN7rocprim17ROCPRIM_400000_NS6detail17trampoline_kernelINS0_14default_configENS1_25transform_config_selectorIsLb1EEEZNS1_14transform_implILb1ES3_S5_PKsPsNS0_8identityIsEEEE10hipError_tT2_T3_mT4_P12ihipStream_tbEUlT_E_NS1_11comp_targetILNS1_3genE3ELNS1_11target_archE908ELNS1_3gpuE7ELNS1_3repE0EEENS1_30default_config_static_selectorELNS0_4arch9wavefront6targetE0EEEvT1_
		.amdhsa_group_segment_fixed_size 0
		.amdhsa_private_segment_fixed_size 0
		.amdhsa_kernarg_size 40
		.amdhsa_user_sgpr_count 2
		.amdhsa_user_sgpr_dispatch_ptr 0
		.amdhsa_user_sgpr_queue_ptr 0
		.amdhsa_user_sgpr_kernarg_segment_ptr 1
		.amdhsa_user_sgpr_dispatch_id 0
		.amdhsa_user_sgpr_kernarg_preload_length 0
		.amdhsa_user_sgpr_kernarg_preload_offset 0
		.amdhsa_user_sgpr_private_segment_size 0
		.amdhsa_wavefront_size32 1
		.amdhsa_uses_dynamic_stack 0
		.amdhsa_enable_private_segment 0
		.amdhsa_system_sgpr_workgroup_id_x 1
		.amdhsa_system_sgpr_workgroup_id_y 0
		.amdhsa_system_sgpr_workgroup_id_z 0
		.amdhsa_system_sgpr_workgroup_info 0
		.amdhsa_system_vgpr_workitem_id 0
		.amdhsa_next_free_vgpr 1
		.amdhsa_next_free_sgpr 1
		.amdhsa_named_barrier_count 0
		.amdhsa_reserve_vcc 0
		.amdhsa_float_round_mode_32 0
		.amdhsa_float_round_mode_16_64 0
		.amdhsa_float_denorm_mode_32 3
		.amdhsa_float_denorm_mode_16_64 3
		.amdhsa_fp16_overflow 0
		.amdhsa_memory_ordered 1
		.amdhsa_forward_progress 1
		.amdhsa_inst_pref_size 0
		.amdhsa_round_robin_scheduling 0
		.amdhsa_exception_fp_ieee_invalid_op 0
		.amdhsa_exception_fp_denorm_src 0
		.amdhsa_exception_fp_ieee_div_zero 0
		.amdhsa_exception_fp_ieee_overflow 0
		.amdhsa_exception_fp_ieee_underflow 0
		.amdhsa_exception_fp_ieee_inexact 0
		.amdhsa_exception_int_div_zero 0
	.end_amdhsa_kernel
	.section	.text._ZN7rocprim17ROCPRIM_400000_NS6detail17trampoline_kernelINS0_14default_configENS1_25transform_config_selectorIsLb1EEEZNS1_14transform_implILb1ES3_S5_PKsPsNS0_8identityIsEEEE10hipError_tT2_T3_mT4_P12ihipStream_tbEUlT_E_NS1_11comp_targetILNS1_3genE3ELNS1_11target_archE908ELNS1_3gpuE7ELNS1_3repE0EEENS1_30default_config_static_selectorELNS0_4arch9wavefront6targetE0EEEvT1_,"axG",@progbits,_ZN7rocprim17ROCPRIM_400000_NS6detail17trampoline_kernelINS0_14default_configENS1_25transform_config_selectorIsLb1EEEZNS1_14transform_implILb1ES3_S5_PKsPsNS0_8identityIsEEEE10hipError_tT2_T3_mT4_P12ihipStream_tbEUlT_E_NS1_11comp_targetILNS1_3genE3ELNS1_11target_archE908ELNS1_3gpuE7ELNS1_3repE0EEENS1_30default_config_static_selectorELNS0_4arch9wavefront6targetE0EEEvT1_,comdat
.Lfunc_end598:
	.size	_ZN7rocprim17ROCPRIM_400000_NS6detail17trampoline_kernelINS0_14default_configENS1_25transform_config_selectorIsLb1EEEZNS1_14transform_implILb1ES3_S5_PKsPsNS0_8identityIsEEEE10hipError_tT2_T3_mT4_P12ihipStream_tbEUlT_E_NS1_11comp_targetILNS1_3genE3ELNS1_11target_archE908ELNS1_3gpuE7ELNS1_3repE0EEENS1_30default_config_static_selectorELNS0_4arch9wavefront6targetE0EEEvT1_, .Lfunc_end598-_ZN7rocprim17ROCPRIM_400000_NS6detail17trampoline_kernelINS0_14default_configENS1_25transform_config_selectorIsLb1EEEZNS1_14transform_implILb1ES3_S5_PKsPsNS0_8identityIsEEEE10hipError_tT2_T3_mT4_P12ihipStream_tbEUlT_E_NS1_11comp_targetILNS1_3genE3ELNS1_11target_archE908ELNS1_3gpuE7ELNS1_3repE0EEENS1_30default_config_static_selectorELNS0_4arch9wavefront6targetE0EEEvT1_
                                        ; -- End function
	.set _ZN7rocprim17ROCPRIM_400000_NS6detail17trampoline_kernelINS0_14default_configENS1_25transform_config_selectorIsLb1EEEZNS1_14transform_implILb1ES3_S5_PKsPsNS0_8identityIsEEEE10hipError_tT2_T3_mT4_P12ihipStream_tbEUlT_E_NS1_11comp_targetILNS1_3genE3ELNS1_11target_archE908ELNS1_3gpuE7ELNS1_3repE0EEENS1_30default_config_static_selectorELNS0_4arch9wavefront6targetE0EEEvT1_.num_vgpr, 0
	.set _ZN7rocprim17ROCPRIM_400000_NS6detail17trampoline_kernelINS0_14default_configENS1_25transform_config_selectorIsLb1EEEZNS1_14transform_implILb1ES3_S5_PKsPsNS0_8identityIsEEEE10hipError_tT2_T3_mT4_P12ihipStream_tbEUlT_E_NS1_11comp_targetILNS1_3genE3ELNS1_11target_archE908ELNS1_3gpuE7ELNS1_3repE0EEENS1_30default_config_static_selectorELNS0_4arch9wavefront6targetE0EEEvT1_.num_agpr, 0
	.set _ZN7rocprim17ROCPRIM_400000_NS6detail17trampoline_kernelINS0_14default_configENS1_25transform_config_selectorIsLb1EEEZNS1_14transform_implILb1ES3_S5_PKsPsNS0_8identityIsEEEE10hipError_tT2_T3_mT4_P12ihipStream_tbEUlT_E_NS1_11comp_targetILNS1_3genE3ELNS1_11target_archE908ELNS1_3gpuE7ELNS1_3repE0EEENS1_30default_config_static_selectorELNS0_4arch9wavefront6targetE0EEEvT1_.numbered_sgpr, 0
	.set _ZN7rocprim17ROCPRIM_400000_NS6detail17trampoline_kernelINS0_14default_configENS1_25transform_config_selectorIsLb1EEEZNS1_14transform_implILb1ES3_S5_PKsPsNS0_8identityIsEEEE10hipError_tT2_T3_mT4_P12ihipStream_tbEUlT_E_NS1_11comp_targetILNS1_3genE3ELNS1_11target_archE908ELNS1_3gpuE7ELNS1_3repE0EEENS1_30default_config_static_selectorELNS0_4arch9wavefront6targetE0EEEvT1_.num_named_barrier, 0
	.set _ZN7rocprim17ROCPRIM_400000_NS6detail17trampoline_kernelINS0_14default_configENS1_25transform_config_selectorIsLb1EEEZNS1_14transform_implILb1ES3_S5_PKsPsNS0_8identityIsEEEE10hipError_tT2_T3_mT4_P12ihipStream_tbEUlT_E_NS1_11comp_targetILNS1_3genE3ELNS1_11target_archE908ELNS1_3gpuE7ELNS1_3repE0EEENS1_30default_config_static_selectorELNS0_4arch9wavefront6targetE0EEEvT1_.private_seg_size, 0
	.set _ZN7rocprim17ROCPRIM_400000_NS6detail17trampoline_kernelINS0_14default_configENS1_25transform_config_selectorIsLb1EEEZNS1_14transform_implILb1ES3_S5_PKsPsNS0_8identityIsEEEE10hipError_tT2_T3_mT4_P12ihipStream_tbEUlT_E_NS1_11comp_targetILNS1_3genE3ELNS1_11target_archE908ELNS1_3gpuE7ELNS1_3repE0EEENS1_30default_config_static_selectorELNS0_4arch9wavefront6targetE0EEEvT1_.uses_vcc, 0
	.set _ZN7rocprim17ROCPRIM_400000_NS6detail17trampoline_kernelINS0_14default_configENS1_25transform_config_selectorIsLb1EEEZNS1_14transform_implILb1ES3_S5_PKsPsNS0_8identityIsEEEE10hipError_tT2_T3_mT4_P12ihipStream_tbEUlT_E_NS1_11comp_targetILNS1_3genE3ELNS1_11target_archE908ELNS1_3gpuE7ELNS1_3repE0EEENS1_30default_config_static_selectorELNS0_4arch9wavefront6targetE0EEEvT1_.uses_flat_scratch, 0
	.set _ZN7rocprim17ROCPRIM_400000_NS6detail17trampoline_kernelINS0_14default_configENS1_25transform_config_selectorIsLb1EEEZNS1_14transform_implILb1ES3_S5_PKsPsNS0_8identityIsEEEE10hipError_tT2_T3_mT4_P12ihipStream_tbEUlT_E_NS1_11comp_targetILNS1_3genE3ELNS1_11target_archE908ELNS1_3gpuE7ELNS1_3repE0EEENS1_30default_config_static_selectorELNS0_4arch9wavefront6targetE0EEEvT1_.has_dyn_sized_stack, 0
	.set _ZN7rocprim17ROCPRIM_400000_NS6detail17trampoline_kernelINS0_14default_configENS1_25transform_config_selectorIsLb1EEEZNS1_14transform_implILb1ES3_S5_PKsPsNS0_8identityIsEEEE10hipError_tT2_T3_mT4_P12ihipStream_tbEUlT_E_NS1_11comp_targetILNS1_3genE3ELNS1_11target_archE908ELNS1_3gpuE7ELNS1_3repE0EEENS1_30default_config_static_selectorELNS0_4arch9wavefront6targetE0EEEvT1_.has_recursion, 0
	.set _ZN7rocprim17ROCPRIM_400000_NS6detail17trampoline_kernelINS0_14default_configENS1_25transform_config_selectorIsLb1EEEZNS1_14transform_implILb1ES3_S5_PKsPsNS0_8identityIsEEEE10hipError_tT2_T3_mT4_P12ihipStream_tbEUlT_E_NS1_11comp_targetILNS1_3genE3ELNS1_11target_archE908ELNS1_3gpuE7ELNS1_3repE0EEENS1_30default_config_static_selectorELNS0_4arch9wavefront6targetE0EEEvT1_.has_indirect_call, 0
	.section	.AMDGPU.csdata,"",@progbits
; Kernel info:
; codeLenInByte = 0
; TotalNumSgprs: 0
; NumVgprs: 0
; ScratchSize: 0
; MemoryBound: 0
; FloatMode: 240
; IeeeMode: 1
; LDSByteSize: 0 bytes/workgroup (compile time only)
; SGPRBlocks: 0
; VGPRBlocks: 0
; NumSGPRsForWavesPerEU: 1
; NumVGPRsForWavesPerEU: 1
; NamedBarCnt: 0
; Occupancy: 16
; WaveLimiterHint : 0
; COMPUTE_PGM_RSRC2:SCRATCH_EN: 0
; COMPUTE_PGM_RSRC2:USER_SGPR: 2
; COMPUTE_PGM_RSRC2:TRAP_HANDLER: 0
; COMPUTE_PGM_RSRC2:TGID_X_EN: 1
; COMPUTE_PGM_RSRC2:TGID_Y_EN: 0
; COMPUTE_PGM_RSRC2:TGID_Z_EN: 0
; COMPUTE_PGM_RSRC2:TIDIG_COMP_CNT: 0
	.section	.text._ZN7rocprim17ROCPRIM_400000_NS6detail17trampoline_kernelINS0_14default_configENS1_25transform_config_selectorIsLb1EEEZNS1_14transform_implILb1ES3_S5_PKsPsNS0_8identityIsEEEE10hipError_tT2_T3_mT4_P12ihipStream_tbEUlT_E_NS1_11comp_targetILNS1_3genE2ELNS1_11target_archE906ELNS1_3gpuE6ELNS1_3repE0EEENS1_30default_config_static_selectorELNS0_4arch9wavefront6targetE0EEEvT1_,"axG",@progbits,_ZN7rocprim17ROCPRIM_400000_NS6detail17trampoline_kernelINS0_14default_configENS1_25transform_config_selectorIsLb1EEEZNS1_14transform_implILb1ES3_S5_PKsPsNS0_8identityIsEEEE10hipError_tT2_T3_mT4_P12ihipStream_tbEUlT_E_NS1_11comp_targetILNS1_3genE2ELNS1_11target_archE906ELNS1_3gpuE6ELNS1_3repE0EEENS1_30default_config_static_selectorELNS0_4arch9wavefront6targetE0EEEvT1_,comdat
	.protected	_ZN7rocprim17ROCPRIM_400000_NS6detail17trampoline_kernelINS0_14default_configENS1_25transform_config_selectorIsLb1EEEZNS1_14transform_implILb1ES3_S5_PKsPsNS0_8identityIsEEEE10hipError_tT2_T3_mT4_P12ihipStream_tbEUlT_E_NS1_11comp_targetILNS1_3genE2ELNS1_11target_archE906ELNS1_3gpuE6ELNS1_3repE0EEENS1_30default_config_static_selectorELNS0_4arch9wavefront6targetE0EEEvT1_ ; -- Begin function _ZN7rocprim17ROCPRIM_400000_NS6detail17trampoline_kernelINS0_14default_configENS1_25transform_config_selectorIsLb1EEEZNS1_14transform_implILb1ES3_S5_PKsPsNS0_8identityIsEEEE10hipError_tT2_T3_mT4_P12ihipStream_tbEUlT_E_NS1_11comp_targetILNS1_3genE2ELNS1_11target_archE906ELNS1_3gpuE6ELNS1_3repE0EEENS1_30default_config_static_selectorELNS0_4arch9wavefront6targetE0EEEvT1_
	.globl	_ZN7rocprim17ROCPRIM_400000_NS6detail17trampoline_kernelINS0_14default_configENS1_25transform_config_selectorIsLb1EEEZNS1_14transform_implILb1ES3_S5_PKsPsNS0_8identityIsEEEE10hipError_tT2_T3_mT4_P12ihipStream_tbEUlT_E_NS1_11comp_targetILNS1_3genE2ELNS1_11target_archE906ELNS1_3gpuE6ELNS1_3repE0EEENS1_30default_config_static_selectorELNS0_4arch9wavefront6targetE0EEEvT1_
	.p2align	8
	.type	_ZN7rocprim17ROCPRIM_400000_NS6detail17trampoline_kernelINS0_14default_configENS1_25transform_config_selectorIsLb1EEEZNS1_14transform_implILb1ES3_S5_PKsPsNS0_8identityIsEEEE10hipError_tT2_T3_mT4_P12ihipStream_tbEUlT_E_NS1_11comp_targetILNS1_3genE2ELNS1_11target_archE906ELNS1_3gpuE6ELNS1_3repE0EEENS1_30default_config_static_selectorELNS0_4arch9wavefront6targetE0EEEvT1_,@function
_ZN7rocprim17ROCPRIM_400000_NS6detail17trampoline_kernelINS0_14default_configENS1_25transform_config_selectorIsLb1EEEZNS1_14transform_implILb1ES3_S5_PKsPsNS0_8identityIsEEEE10hipError_tT2_T3_mT4_P12ihipStream_tbEUlT_E_NS1_11comp_targetILNS1_3genE2ELNS1_11target_archE906ELNS1_3gpuE6ELNS1_3repE0EEENS1_30default_config_static_selectorELNS0_4arch9wavefront6targetE0EEEvT1_: ; @_ZN7rocprim17ROCPRIM_400000_NS6detail17trampoline_kernelINS0_14default_configENS1_25transform_config_selectorIsLb1EEEZNS1_14transform_implILb1ES3_S5_PKsPsNS0_8identityIsEEEE10hipError_tT2_T3_mT4_P12ihipStream_tbEUlT_E_NS1_11comp_targetILNS1_3genE2ELNS1_11target_archE906ELNS1_3gpuE6ELNS1_3repE0EEENS1_30default_config_static_selectorELNS0_4arch9wavefront6targetE0EEEvT1_
; %bb.0:
	.section	.rodata,"a",@progbits
	.p2align	6, 0x0
	.amdhsa_kernel _ZN7rocprim17ROCPRIM_400000_NS6detail17trampoline_kernelINS0_14default_configENS1_25transform_config_selectorIsLb1EEEZNS1_14transform_implILb1ES3_S5_PKsPsNS0_8identityIsEEEE10hipError_tT2_T3_mT4_P12ihipStream_tbEUlT_E_NS1_11comp_targetILNS1_3genE2ELNS1_11target_archE906ELNS1_3gpuE6ELNS1_3repE0EEENS1_30default_config_static_selectorELNS0_4arch9wavefront6targetE0EEEvT1_
		.amdhsa_group_segment_fixed_size 0
		.amdhsa_private_segment_fixed_size 0
		.amdhsa_kernarg_size 40
		.amdhsa_user_sgpr_count 2
		.amdhsa_user_sgpr_dispatch_ptr 0
		.amdhsa_user_sgpr_queue_ptr 0
		.amdhsa_user_sgpr_kernarg_segment_ptr 1
		.amdhsa_user_sgpr_dispatch_id 0
		.amdhsa_user_sgpr_kernarg_preload_length 0
		.amdhsa_user_sgpr_kernarg_preload_offset 0
		.amdhsa_user_sgpr_private_segment_size 0
		.amdhsa_wavefront_size32 1
		.amdhsa_uses_dynamic_stack 0
		.amdhsa_enable_private_segment 0
		.amdhsa_system_sgpr_workgroup_id_x 1
		.amdhsa_system_sgpr_workgroup_id_y 0
		.amdhsa_system_sgpr_workgroup_id_z 0
		.amdhsa_system_sgpr_workgroup_info 0
		.amdhsa_system_vgpr_workitem_id 0
		.amdhsa_next_free_vgpr 1
		.amdhsa_next_free_sgpr 1
		.amdhsa_named_barrier_count 0
		.amdhsa_reserve_vcc 0
		.amdhsa_float_round_mode_32 0
		.amdhsa_float_round_mode_16_64 0
		.amdhsa_float_denorm_mode_32 3
		.amdhsa_float_denorm_mode_16_64 3
		.amdhsa_fp16_overflow 0
		.amdhsa_memory_ordered 1
		.amdhsa_forward_progress 1
		.amdhsa_inst_pref_size 0
		.amdhsa_round_robin_scheduling 0
		.amdhsa_exception_fp_ieee_invalid_op 0
		.amdhsa_exception_fp_denorm_src 0
		.amdhsa_exception_fp_ieee_div_zero 0
		.amdhsa_exception_fp_ieee_overflow 0
		.amdhsa_exception_fp_ieee_underflow 0
		.amdhsa_exception_fp_ieee_inexact 0
		.amdhsa_exception_int_div_zero 0
	.end_amdhsa_kernel
	.section	.text._ZN7rocprim17ROCPRIM_400000_NS6detail17trampoline_kernelINS0_14default_configENS1_25transform_config_selectorIsLb1EEEZNS1_14transform_implILb1ES3_S5_PKsPsNS0_8identityIsEEEE10hipError_tT2_T3_mT4_P12ihipStream_tbEUlT_E_NS1_11comp_targetILNS1_3genE2ELNS1_11target_archE906ELNS1_3gpuE6ELNS1_3repE0EEENS1_30default_config_static_selectorELNS0_4arch9wavefront6targetE0EEEvT1_,"axG",@progbits,_ZN7rocprim17ROCPRIM_400000_NS6detail17trampoline_kernelINS0_14default_configENS1_25transform_config_selectorIsLb1EEEZNS1_14transform_implILb1ES3_S5_PKsPsNS0_8identityIsEEEE10hipError_tT2_T3_mT4_P12ihipStream_tbEUlT_E_NS1_11comp_targetILNS1_3genE2ELNS1_11target_archE906ELNS1_3gpuE6ELNS1_3repE0EEENS1_30default_config_static_selectorELNS0_4arch9wavefront6targetE0EEEvT1_,comdat
.Lfunc_end599:
	.size	_ZN7rocprim17ROCPRIM_400000_NS6detail17trampoline_kernelINS0_14default_configENS1_25transform_config_selectorIsLb1EEEZNS1_14transform_implILb1ES3_S5_PKsPsNS0_8identityIsEEEE10hipError_tT2_T3_mT4_P12ihipStream_tbEUlT_E_NS1_11comp_targetILNS1_3genE2ELNS1_11target_archE906ELNS1_3gpuE6ELNS1_3repE0EEENS1_30default_config_static_selectorELNS0_4arch9wavefront6targetE0EEEvT1_, .Lfunc_end599-_ZN7rocprim17ROCPRIM_400000_NS6detail17trampoline_kernelINS0_14default_configENS1_25transform_config_selectorIsLb1EEEZNS1_14transform_implILb1ES3_S5_PKsPsNS0_8identityIsEEEE10hipError_tT2_T3_mT4_P12ihipStream_tbEUlT_E_NS1_11comp_targetILNS1_3genE2ELNS1_11target_archE906ELNS1_3gpuE6ELNS1_3repE0EEENS1_30default_config_static_selectorELNS0_4arch9wavefront6targetE0EEEvT1_
                                        ; -- End function
	.set _ZN7rocprim17ROCPRIM_400000_NS6detail17trampoline_kernelINS0_14default_configENS1_25transform_config_selectorIsLb1EEEZNS1_14transform_implILb1ES3_S5_PKsPsNS0_8identityIsEEEE10hipError_tT2_T3_mT4_P12ihipStream_tbEUlT_E_NS1_11comp_targetILNS1_3genE2ELNS1_11target_archE906ELNS1_3gpuE6ELNS1_3repE0EEENS1_30default_config_static_selectorELNS0_4arch9wavefront6targetE0EEEvT1_.num_vgpr, 0
	.set _ZN7rocprim17ROCPRIM_400000_NS6detail17trampoline_kernelINS0_14default_configENS1_25transform_config_selectorIsLb1EEEZNS1_14transform_implILb1ES3_S5_PKsPsNS0_8identityIsEEEE10hipError_tT2_T3_mT4_P12ihipStream_tbEUlT_E_NS1_11comp_targetILNS1_3genE2ELNS1_11target_archE906ELNS1_3gpuE6ELNS1_3repE0EEENS1_30default_config_static_selectorELNS0_4arch9wavefront6targetE0EEEvT1_.num_agpr, 0
	.set _ZN7rocprim17ROCPRIM_400000_NS6detail17trampoline_kernelINS0_14default_configENS1_25transform_config_selectorIsLb1EEEZNS1_14transform_implILb1ES3_S5_PKsPsNS0_8identityIsEEEE10hipError_tT2_T3_mT4_P12ihipStream_tbEUlT_E_NS1_11comp_targetILNS1_3genE2ELNS1_11target_archE906ELNS1_3gpuE6ELNS1_3repE0EEENS1_30default_config_static_selectorELNS0_4arch9wavefront6targetE0EEEvT1_.numbered_sgpr, 0
	.set _ZN7rocprim17ROCPRIM_400000_NS6detail17trampoline_kernelINS0_14default_configENS1_25transform_config_selectorIsLb1EEEZNS1_14transform_implILb1ES3_S5_PKsPsNS0_8identityIsEEEE10hipError_tT2_T3_mT4_P12ihipStream_tbEUlT_E_NS1_11comp_targetILNS1_3genE2ELNS1_11target_archE906ELNS1_3gpuE6ELNS1_3repE0EEENS1_30default_config_static_selectorELNS0_4arch9wavefront6targetE0EEEvT1_.num_named_barrier, 0
	.set _ZN7rocprim17ROCPRIM_400000_NS6detail17trampoline_kernelINS0_14default_configENS1_25transform_config_selectorIsLb1EEEZNS1_14transform_implILb1ES3_S5_PKsPsNS0_8identityIsEEEE10hipError_tT2_T3_mT4_P12ihipStream_tbEUlT_E_NS1_11comp_targetILNS1_3genE2ELNS1_11target_archE906ELNS1_3gpuE6ELNS1_3repE0EEENS1_30default_config_static_selectorELNS0_4arch9wavefront6targetE0EEEvT1_.private_seg_size, 0
	.set _ZN7rocprim17ROCPRIM_400000_NS6detail17trampoline_kernelINS0_14default_configENS1_25transform_config_selectorIsLb1EEEZNS1_14transform_implILb1ES3_S5_PKsPsNS0_8identityIsEEEE10hipError_tT2_T3_mT4_P12ihipStream_tbEUlT_E_NS1_11comp_targetILNS1_3genE2ELNS1_11target_archE906ELNS1_3gpuE6ELNS1_3repE0EEENS1_30default_config_static_selectorELNS0_4arch9wavefront6targetE0EEEvT1_.uses_vcc, 0
	.set _ZN7rocprim17ROCPRIM_400000_NS6detail17trampoline_kernelINS0_14default_configENS1_25transform_config_selectorIsLb1EEEZNS1_14transform_implILb1ES3_S5_PKsPsNS0_8identityIsEEEE10hipError_tT2_T3_mT4_P12ihipStream_tbEUlT_E_NS1_11comp_targetILNS1_3genE2ELNS1_11target_archE906ELNS1_3gpuE6ELNS1_3repE0EEENS1_30default_config_static_selectorELNS0_4arch9wavefront6targetE0EEEvT1_.uses_flat_scratch, 0
	.set _ZN7rocprim17ROCPRIM_400000_NS6detail17trampoline_kernelINS0_14default_configENS1_25transform_config_selectorIsLb1EEEZNS1_14transform_implILb1ES3_S5_PKsPsNS0_8identityIsEEEE10hipError_tT2_T3_mT4_P12ihipStream_tbEUlT_E_NS1_11comp_targetILNS1_3genE2ELNS1_11target_archE906ELNS1_3gpuE6ELNS1_3repE0EEENS1_30default_config_static_selectorELNS0_4arch9wavefront6targetE0EEEvT1_.has_dyn_sized_stack, 0
	.set _ZN7rocprim17ROCPRIM_400000_NS6detail17trampoline_kernelINS0_14default_configENS1_25transform_config_selectorIsLb1EEEZNS1_14transform_implILb1ES3_S5_PKsPsNS0_8identityIsEEEE10hipError_tT2_T3_mT4_P12ihipStream_tbEUlT_E_NS1_11comp_targetILNS1_3genE2ELNS1_11target_archE906ELNS1_3gpuE6ELNS1_3repE0EEENS1_30default_config_static_selectorELNS0_4arch9wavefront6targetE0EEEvT1_.has_recursion, 0
	.set _ZN7rocprim17ROCPRIM_400000_NS6detail17trampoline_kernelINS0_14default_configENS1_25transform_config_selectorIsLb1EEEZNS1_14transform_implILb1ES3_S5_PKsPsNS0_8identityIsEEEE10hipError_tT2_T3_mT4_P12ihipStream_tbEUlT_E_NS1_11comp_targetILNS1_3genE2ELNS1_11target_archE906ELNS1_3gpuE6ELNS1_3repE0EEENS1_30default_config_static_selectorELNS0_4arch9wavefront6targetE0EEEvT1_.has_indirect_call, 0
	.section	.AMDGPU.csdata,"",@progbits
; Kernel info:
; codeLenInByte = 0
; TotalNumSgprs: 0
; NumVgprs: 0
; ScratchSize: 0
; MemoryBound: 0
; FloatMode: 240
; IeeeMode: 1
; LDSByteSize: 0 bytes/workgroup (compile time only)
; SGPRBlocks: 0
; VGPRBlocks: 0
; NumSGPRsForWavesPerEU: 1
; NumVGPRsForWavesPerEU: 1
; NamedBarCnt: 0
; Occupancy: 16
; WaveLimiterHint : 0
; COMPUTE_PGM_RSRC2:SCRATCH_EN: 0
; COMPUTE_PGM_RSRC2:USER_SGPR: 2
; COMPUTE_PGM_RSRC2:TRAP_HANDLER: 0
; COMPUTE_PGM_RSRC2:TGID_X_EN: 1
; COMPUTE_PGM_RSRC2:TGID_Y_EN: 0
; COMPUTE_PGM_RSRC2:TGID_Z_EN: 0
; COMPUTE_PGM_RSRC2:TIDIG_COMP_CNT: 0
	.section	.text._ZN7rocprim17ROCPRIM_400000_NS6detail17trampoline_kernelINS0_14default_configENS1_25transform_config_selectorIsLb1EEEZNS1_14transform_implILb1ES3_S5_PKsPsNS0_8identityIsEEEE10hipError_tT2_T3_mT4_P12ihipStream_tbEUlT_E_NS1_11comp_targetILNS1_3genE9ELNS1_11target_archE1100ELNS1_3gpuE3ELNS1_3repE0EEENS1_30default_config_static_selectorELNS0_4arch9wavefront6targetE0EEEvT1_,"axG",@progbits,_ZN7rocprim17ROCPRIM_400000_NS6detail17trampoline_kernelINS0_14default_configENS1_25transform_config_selectorIsLb1EEEZNS1_14transform_implILb1ES3_S5_PKsPsNS0_8identityIsEEEE10hipError_tT2_T3_mT4_P12ihipStream_tbEUlT_E_NS1_11comp_targetILNS1_3genE9ELNS1_11target_archE1100ELNS1_3gpuE3ELNS1_3repE0EEENS1_30default_config_static_selectorELNS0_4arch9wavefront6targetE0EEEvT1_,comdat
	.protected	_ZN7rocprim17ROCPRIM_400000_NS6detail17trampoline_kernelINS0_14default_configENS1_25transform_config_selectorIsLb1EEEZNS1_14transform_implILb1ES3_S5_PKsPsNS0_8identityIsEEEE10hipError_tT2_T3_mT4_P12ihipStream_tbEUlT_E_NS1_11comp_targetILNS1_3genE9ELNS1_11target_archE1100ELNS1_3gpuE3ELNS1_3repE0EEENS1_30default_config_static_selectorELNS0_4arch9wavefront6targetE0EEEvT1_ ; -- Begin function _ZN7rocprim17ROCPRIM_400000_NS6detail17trampoline_kernelINS0_14default_configENS1_25transform_config_selectorIsLb1EEEZNS1_14transform_implILb1ES3_S5_PKsPsNS0_8identityIsEEEE10hipError_tT2_T3_mT4_P12ihipStream_tbEUlT_E_NS1_11comp_targetILNS1_3genE9ELNS1_11target_archE1100ELNS1_3gpuE3ELNS1_3repE0EEENS1_30default_config_static_selectorELNS0_4arch9wavefront6targetE0EEEvT1_
	.globl	_ZN7rocprim17ROCPRIM_400000_NS6detail17trampoline_kernelINS0_14default_configENS1_25transform_config_selectorIsLb1EEEZNS1_14transform_implILb1ES3_S5_PKsPsNS0_8identityIsEEEE10hipError_tT2_T3_mT4_P12ihipStream_tbEUlT_E_NS1_11comp_targetILNS1_3genE9ELNS1_11target_archE1100ELNS1_3gpuE3ELNS1_3repE0EEENS1_30default_config_static_selectorELNS0_4arch9wavefront6targetE0EEEvT1_
	.p2align	8
	.type	_ZN7rocprim17ROCPRIM_400000_NS6detail17trampoline_kernelINS0_14default_configENS1_25transform_config_selectorIsLb1EEEZNS1_14transform_implILb1ES3_S5_PKsPsNS0_8identityIsEEEE10hipError_tT2_T3_mT4_P12ihipStream_tbEUlT_E_NS1_11comp_targetILNS1_3genE9ELNS1_11target_archE1100ELNS1_3gpuE3ELNS1_3repE0EEENS1_30default_config_static_selectorELNS0_4arch9wavefront6targetE0EEEvT1_,@function
_ZN7rocprim17ROCPRIM_400000_NS6detail17trampoline_kernelINS0_14default_configENS1_25transform_config_selectorIsLb1EEEZNS1_14transform_implILb1ES3_S5_PKsPsNS0_8identityIsEEEE10hipError_tT2_T3_mT4_P12ihipStream_tbEUlT_E_NS1_11comp_targetILNS1_3genE9ELNS1_11target_archE1100ELNS1_3gpuE3ELNS1_3repE0EEENS1_30default_config_static_selectorELNS0_4arch9wavefront6targetE0EEEvT1_: ; @_ZN7rocprim17ROCPRIM_400000_NS6detail17trampoline_kernelINS0_14default_configENS1_25transform_config_selectorIsLb1EEEZNS1_14transform_implILb1ES3_S5_PKsPsNS0_8identityIsEEEE10hipError_tT2_T3_mT4_P12ihipStream_tbEUlT_E_NS1_11comp_targetILNS1_3genE9ELNS1_11target_archE1100ELNS1_3gpuE3ELNS1_3repE0EEENS1_30default_config_static_selectorELNS0_4arch9wavefront6targetE0EEEvT1_
; %bb.0:
	.section	.rodata,"a",@progbits
	.p2align	6, 0x0
	.amdhsa_kernel _ZN7rocprim17ROCPRIM_400000_NS6detail17trampoline_kernelINS0_14default_configENS1_25transform_config_selectorIsLb1EEEZNS1_14transform_implILb1ES3_S5_PKsPsNS0_8identityIsEEEE10hipError_tT2_T3_mT4_P12ihipStream_tbEUlT_E_NS1_11comp_targetILNS1_3genE9ELNS1_11target_archE1100ELNS1_3gpuE3ELNS1_3repE0EEENS1_30default_config_static_selectorELNS0_4arch9wavefront6targetE0EEEvT1_
		.amdhsa_group_segment_fixed_size 0
		.amdhsa_private_segment_fixed_size 0
		.amdhsa_kernarg_size 40
		.amdhsa_user_sgpr_count 2
		.amdhsa_user_sgpr_dispatch_ptr 0
		.amdhsa_user_sgpr_queue_ptr 0
		.amdhsa_user_sgpr_kernarg_segment_ptr 1
		.amdhsa_user_sgpr_dispatch_id 0
		.amdhsa_user_sgpr_kernarg_preload_length 0
		.amdhsa_user_sgpr_kernarg_preload_offset 0
		.amdhsa_user_sgpr_private_segment_size 0
		.amdhsa_wavefront_size32 1
		.amdhsa_uses_dynamic_stack 0
		.amdhsa_enable_private_segment 0
		.amdhsa_system_sgpr_workgroup_id_x 1
		.amdhsa_system_sgpr_workgroup_id_y 0
		.amdhsa_system_sgpr_workgroup_id_z 0
		.amdhsa_system_sgpr_workgroup_info 0
		.amdhsa_system_vgpr_workitem_id 0
		.amdhsa_next_free_vgpr 1
		.amdhsa_next_free_sgpr 1
		.amdhsa_named_barrier_count 0
		.amdhsa_reserve_vcc 0
		.amdhsa_float_round_mode_32 0
		.amdhsa_float_round_mode_16_64 0
		.amdhsa_float_denorm_mode_32 3
		.amdhsa_float_denorm_mode_16_64 3
		.amdhsa_fp16_overflow 0
		.amdhsa_memory_ordered 1
		.amdhsa_forward_progress 1
		.amdhsa_inst_pref_size 0
		.amdhsa_round_robin_scheduling 0
		.amdhsa_exception_fp_ieee_invalid_op 0
		.amdhsa_exception_fp_denorm_src 0
		.amdhsa_exception_fp_ieee_div_zero 0
		.amdhsa_exception_fp_ieee_overflow 0
		.amdhsa_exception_fp_ieee_underflow 0
		.amdhsa_exception_fp_ieee_inexact 0
		.amdhsa_exception_int_div_zero 0
	.end_amdhsa_kernel
	.section	.text._ZN7rocprim17ROCPRIM_400000_NS6detail17trampoline_kernelINS0_14default_configENS1_25transform_config_selectorIsLb1EEEZNS1_14transform_implILb1ES3_S5_PKsPsNS0_8identityIsEEEE10hipError_tT2_T3_mT4_P12ihipStream_tbEUlT_E_NS1_11comp_targetILNS1_3genE9ELNS1_11target_archE1100ELNS1_3gpuE3ELNS1_3repE0EEENS1_30default_config_static_selectorELNS0_4arch9wavefront6targetE0EEEvT1_,"axG",@progbits,_ZN7rocprim17ROCPRIM_400000_NS6detail17trampoline_kernelINS0_14default_configENS1_25transform_config_selectorIsLb1EEEZNS1_14transform_implILb1ES3_S5_PKsPsNS0_8identityIsEEEE10hipError_tT2_T3_mT4_P12ihipStream_tbEUlT_E_NS1_11comp_targetILNS1_3genE9ELNS1_11target_archE1100ELNS1_3gpuE3ELNS1_3repE0EEENS1_30default_config_static_selectorELNS0_4arch9wavefront6targetE0EEEvT1_,comdat
.Lfunc_end600:
	.size	_ZN7rocprim17ROCPRIM_400000_NS6detail17trampoline_kernelINS0_14default_configENS1_25transform_config_selectorIsLb1EEEZNS1_14transform_implILb1ES3_S5_PKsPsNS0_8identityIsEEEE10hipError_tT2_T3_mT4_P12ihipStream_tbEUlT_E_NS1_11comp_targetILNS1_3genE9ELNS1_11target_archE1100ELNS1_3gpuE3ELNS1_3repE0EEENS1_30default_config_static_selectorELNS0_4arch9wavefront6targetE0EEEvT1_, .Lfunc_end600-_ZN7rocprim17ROCPRIM_400000_NS6detail17trampoline_kernelINS0_14default_configENS1_25transform_config_selectorIsLb1EEEZNS1_14transform_implILb1ES3_S5_PKsPsNS0_8identityIsEEEE10hipError_tT2_T3_mT4_P12ihipStream_tbEUlT_E_NS1_11comp_targetILNS1_3genE9ELNS1_11target_archE1100ELNS1_3gpuE3ELNS1_3repE0EEENS1_30default_config_static_selectorELNS0_4arch9wavefront6targetE0EEEvT1_
                                        ; -- End function
	.set _ZN7rocprim17ROCPRIM_400000_NS6detail17trampoline_kernelINS0_14default_configENS1_25transform_config_selectorIsLb1EEEZNS1_14transform_implILb1ES3_S5_PKsPsNS0_8identityIsEEEE10hipError_tT2_T3_mT4_P12ihipStream_tbEUlT_E_NS1_11comp_targetILNS1_3genE9ELNS1_11target_archE1100ELNS1_3gpuE3ELNS1_3repE0EEENS1_30default_config_static_selectorELNS0_4arch9wavefront6targetE0EEEvT1_.num_vgpr, 0
	.set _ZN7rocprim17ROCPRIM_400000_NS6detail17trampoline_kernelINS0_14default_configENS1_25transform_config_selectorIsLb1EEEZNS1_14transform_implILb1ES3_S5_PKsPsNS0_8identityIsEEEE10hipError_tT2_T3_mT4_P12ihipStream_tbEUlT_E_NS1_11comp_targetILNS1_3genE9ELNS1_11target_archE1100ELNS1_3gpuE3ELNS1_3repE0EEENS1_30default_config_static_selectorELNS0_4arch9wavefront6targetE0EEEvT1_.num_agpr, 0
	.set _ZN7rocprim17ROCPRIM_400000_NS6detail17trampoline_kernelINS0_14default_configENS1_25transform_config_selectorIsLb1EEEZNS1_14transform_implILb1ES3_S5_PKsPsNS0_8identityIsEEEE10hipError_tT2_T3_mT4_P12ihipStream_tbEUlT_E_NS1_11comp_targetILNS1_3genE9ELNS1_11target_archE1100ELNS1_3gpuE3ELNS1_3repE0EEENS1_30default_config_static_selectorELNS0_4arch9wavefront6targetE0EEEvT1_.numbered_sgpr, 0
	.set _ZN7rocprim17ROCPRIM_400000_NS6detail17trampoline_kernelINS0_14default_configENS1_25transform_config_selectorIsLb1EEEZNS1_14transform_implILb1ES3_S5_PKsPsNS0_8identityIsEEEE10hipError_tT2_T3_mT4_P12ihipStream_tbEUlT_E_NS1_11comp_targetILNS1_3genE9ELNS1_11target_archE1100ELNS1_3gpuE3ELNS1_3repE0EEENS1_30default_config_static_selectorELNS0_4arch9wavefront6targetE0EEEvT1_.num_named_barrier, 0
	.set _ZN7rocprim17ROCPRIM_400000_NS6detail17trampoline_kernelINS0_14default_configENS1_25transform_config_selectorIsLb1EEEZNS1_14transform_implILb1ES3_S5_PKsPsNS0_8identityIsEEEE10hipError_tT2_T3_mT4_P12ihipStream_tbEUlT_E_NS1_11comp_targetILNS1_3genE9ELNS1_11target_archE1100ELNS1_3gpuE3ELNS1_3repE0EEENS1_30default_config_static_selectorELNS0_4arch9wavefront6targetE0EEEvT1_.private_seg_size, 0
	.set _ZN7rocprim17ROCPRIM_400000_NS6detail17trampoline_kernelINS0_14default_configENS1_25transform_config_selectorIsLb1EEEZNS1_14transform_implILb1ES3_S5_PKsPsNS0_8identityIsEEEE10hipError_tT2_T3_mT4_P12ihipStream_tbEUlT_E_NS1_11comp_targetILNS1_3genE9ELNS1_11target_archE1100ELNS1_3gpuE3ELNS1_3repE0EEENS1_30default_config_static_selectorELNS0_4arch9wavefront6targetE0EEEvT1_.uses_vcc, 0
	.set _ZN7rocprim17ROCPRIM_400000_NS6detail17trampoline_kernelINS0_14default_configENS1_25transform_config_selectorIsLb1EEEZNS1_14transform_implILb1ES3_S5_PKsPsNS0_8identityIsEEEE10hipError_tT2_T3_mT4_P12ihipStream_tbEUlT_E_NS1_11comp_targetILNS1_3genE9ELNS1_11target_archE1100ELNS1_3gpuE3ELNS1_3repE0EEENS1_30default_config_static_selectorELNS0_4arch9wavefront6targetE0EEEvT1_.uses_flat_scratch, 0
	.set _ZN7rocprim17ROCPRIM_400000_NS6detail17trampoline_kernelINS0_14default_configENS1_25transform_config_selectorIsLb1EEEZNS1_14transform_implILb1ES3_S5_PKsPsNS0_8identityIsEEEE10hipError_tT2_T3_mT4_P12ihipStream_tbEUlT_E_NS1_11comp_targetILNS1_3genE9ELNS1_11target_archE1100ELNS1_3gpuE3ELNS1_3repE0EEENS1_30default_config_static_selectorELNS0_4arch9wavefront6targetE0EEEvT1_.has_dyn_sized_stack, 0
	.set _ZN7rocprim17ROCPRIM_400000_NS6detail17trampoline_kernelINS0_14default_configENS1_25transform_config_selectorIsLb1EEEZNS1_14transform_implILb1ES3_S5_PKsPsNS0_8identityIsEEEE10hipError_tT2_T3_mT4_P12ihipStream_tbEUlT_E_NS1_11comp_targetILNS1_3genE9ELNS1_11target_archE1100ELNS1_3gpuE3ELNS1_3repE0EEENS1_30default_config_static_selectorELNS0_4arch9wavefront6targetE0EEEvT1_.has_recursion, 0
	.set _ZN7rocprim17ROCPRIM_400000_NS6detail17trampoline_kernelINS0_14default_configENS1_25transform_config_selectorIsLb1EEEZNS1_14transform_implILb1ES3_S5_PKsPsNS0_8identityIsEEEE10hipError_tT2_T3_mT4_P12ihipStream_tbEUlT_E_NS1_11comp_targetILNS1_3genE9ELNS1_11target_archE1100ELNS1_3gpuE3ELNS1_3repE0EEENS1_30default_config_static_selectorELNS0_4arch9wavefront6targetE0EEEvT1_.has_indirect_call, 0
	.section	.AMDGPU.csdata,"",@progbits
; Kernel info:
; codeLenInByte = 0
; TotalNumSgprs: 0
; NumVgprs: 0
; ScratchSize: 0
; MemoryBound: 0
; FloatMode: 240
; IeeeMode: 1
; LDSByteSize: 0 bytes/workgroup (compile time only)
; SGPRBlocks: 0
; VGPRBlocks: 0
; NumSGPRsForWavesPerEU: 1
; NumVGPRsForWavesPerEU: 1
; NamedBarCnt: 0
; Occupancy: 16
; WaveLimiterHint : 0
; COMPUTE_PGM_RSRC2:SCRATCH_EN: 0
; COMPUTE_PGM_RSRC2:USER_SGPR: 2
; COMPUTE_PGM_RSRC2:TRAP_HANDLER: 0
; COMPUTE_PGM_RSRC2:TGID_X_EN: 1
; COMPUTE_PGM_RSRC2:TGID_Y_EN: 0
; COMPUTE_PGM_RSRC2:TGID_Z_EN: 0
; COMPUTE_PGM_RSRC2:TIDIG_COMP_CNT: 0
	.section	.text._ZN7rocprim17ROCPRIM_400000_NS6detail17trampoline_kernelINS0_14default_configENS1_25transform_config_selectorIsLb1EEEZNS1_14transform_implILb1ES3_S5_PKsPsNS0_8identityIsEEEE10hipError_tT2_T3_mT4_P12ihipStream_tbEUlT_E_NS1_11comp_targetILNS1_3genE8ELNS1_11target_archE1030ELNS1_3gpuE2ELNS1_3repE0EEENS1_30default_config_static_selectorELNS0_4arch9wavefront6targetE0EEEvT1_,"axG",@progbits,_ZN7rocprim17ROCPRIM_400000_NS6detail17trampoline_kernelINS0_14default_configENS1_25transform_config_selectorIsLb1EEEZNS1_14transform_implILb1ES3_S5_PKsPsNS0_8identityIsEEEE10hipError_tT2_T3_mT4_P12ihipStream_tbEUlT_E_NS1_11comp_targetILNS1_3genE8ELNS1_11target_archE1030ELNS1_3gpuE2ELNS1_3repE0EEENS1_30default_config_static_selectorELNS0_4arch9wavefront6targetE0EEEvT1_,comdat
	.protected	_ZN7rocprim17ROCPRIM_400000_NS6detail17trampoline_kernelINS0_14default_configENS1_25transform_config_selectorIsLb1EEEZNS1_14transform_implILb1ES3_S5_PKsPsNS0_8identityIsEEEE10hipError_tT2_T3_mT4_P12ihipStream_tbEUlT_E_NS1_11comp_targetILNS1_3genE8ELNS1_11target_archE1030ELNS1_3gpuE2ELNS1_3repE0EEENS1_30default_config_static_selectorELNS0_4arch9wavefront6targetE0EEEvT1_ ; -- Begin function _ZN7rocprim17ROCPRIM_400000_NS6detail17trampoline_kernelINS0_14default_configENS1_25transform_config_selectorIsLb1EEEZNS1_14transform_implILb1ES3_S5_PKsPsNS0_8identityIsEEEE10hipError_tT2_T3_mT4_P12ihipStream_tbEUlT_E_NS1_11comp_targetILNS1_3genE8ELNS1_11target_archE1030ELNS1_3gpuE2ELNS1_3repE0EEENS1_30default_config_static_selectorELNS0_4arch9wavefront6targetE0EEEvT1_
	.globl	_ZN7rocprim17ROCPRIM_400000_NS6detail17trampoline_kernelINS0_14default_configENS1_25transform_config_selectorIsLb1EEEZNS1_14transform_implILb1ES3_S5_PKsPsNS0_8identityIsEEEE10hipError_tT2_T3_mT4_P12ihipStream_tbEUlT_E_NS1_11comp_targetILNS1_3genE8ELNS1_11target_archE1030ELNS1_3gpuE2ELNS1_3repE0EEENS1_30default_config_static_selectorELNS0_4arch9wavefront6targetE0EEEvT1_
	.p2align	8
	.type	_ZN7rocprim17ROCPRIM_400000_NS6detail17trampoline_kernelINS0_14default_configENS1_25transform_config_selectorIsLb1EEEZNS1_14transform_implILb1ES3_S5_PKsPsNS0_8identityIsEEEE10hipError_tT2_T3_mT4_P12ihipStream_tbEUlT_E_NS1_11comp_targetILNS1_3genE8ELNS1_11target_archE1030ELNS1_3gpuE2ELNS1_3repE0EEENS1_30default_config_static_selectorELNS0_4arch9wavefront6targetE0EEEvT1_,@function
_ZN7rocprim17ROCPRIM_400000_NS6detail17trampoline_kernelINS0_14default_configENS1_25transform_config_selectorIsLb1EEEZNS1_14transform_implILb1ES3_S5_PKsPsNS0_8identityIsEEEE10hipError_tT2_T3_mT4_P12ihipStream_tbEUlT_E_NS1_11comp_targetILNS1_3genE8ELNS1_11target_archE1030ELNS1_3gpuE2ELNS1_3repE0EEENS1_30default_config_static_selectorELNS0_4arch9wavefront6targetE0EEEvT1_: ; @_ZN7rocprim17ROCPRIM_400000_NS6detail17trampoline_kernelINS0_14default_configENS1_25transform_config_selectorIsLb1EEEZNS1_14transform_implILb1ES3_S5_PKsPsNS0_8identityIsEEEE10hipError_tT2_T3_mT4_P12ihipStream_tbEUlT_E_NS1_11comp_targetILNS1_3genE8ELNS1_11target_archE1030ELNS1_3gpuE2ELNS1_3repE0EEENS1_30default_config_static_selectorELNS0_4arch9wavefront6targetE0EEEvT1_
; %bb.0:
	.section	.rodata,"a",@progbits
	.p2align	6, 0x0
	.amdhsa_kernel _ZN7rocprim17ROCPRIM_400000_NS6detail17trampoline_kernelINS0_14default_configENS1_25transform_config_selectorIsLb1EEEZNS1_14transform_implILb1ES3_S5_PKsPsNS0_8identityIsEEEE10hipError_tT2_T3_mT4_P12ihipStream_tbEUlT_E_NS1_11comp_targetILNS1_3genE8ELNS1_11target_archE1030ELNS1_3gpuE2ELNS1_3repE0EEENS1_30default_config_static_selectorELNS0_4arch9wavefront6targetE0EEEvT1_
		.amdhsa_group_segment_fixed_size 0
		.amdhsa_private_segment_fixed_size 0
		.amdhsa_kernarg_size 40
		.amdhsa_user_sgpr_count 2
		.amdhsa_user_sgpr_dispatch_ptr 0
		.amdhsa_user_sgpr_queue_ptr 0
		.amdhsa_user_sgpr_kernarg_segment_ptr 1
		.amdhsa_user_sgpr_dispatch_id 0
		.amdhsa_user_sgpr_kernarg_preload_length 0
		.amdhsa_user_sgpr_kernarg_preload_offset 0
		.amdhsa_user_sgpr_private_segment_size 0
		.amdhsa_wavefront_size32 1
		.amdhsa_uses_dynamic_stack 0
		.amdhsa_enable_private_segment 0
		.amdhsa_system_sgpr_workgroup_id_x 1
		.amdhsa_system_sgpr_workgroup_id_y 0
		.amdhsa_system_sgpr_workgroup_id_z 0
		.amdhsa_system_sgpr_workgroup_info 0
		.amdhsa_system_vgpr_workitem_id 0
		.amdhsa_next_free_vgpr 1
		.amdhsa_next_free_sgpr 1
		.amdhsa_named_barrier_count 0
		.amdhsa_reserve_vcc 0
		.amdhsa_float_round_mode_32 0
		.amdhsa_float_round_mode_16_64 0
		.amdhsa_float_denorm_mode_32 3
		.amdhsa_float_denorm_mode_16_64 3
		.amdhsa_fp16_overflow 0
		.amdhsa_memory_ordered 1
		.amdhsa_forward_progress 1
		.amdhsa_inst_pref_size 0
		.amdhsa_round_robin_scheduling 0
		.amdhsa_exception_fp_ieee_invalid_op 0
		.amdhsa_exception_fp_denorm_src 0
		.amdhsa_exception_fp_ieee_div_zero 0
		.amdhsa_exception_fp_ieee_overflow 0
		.amdhsa_exception_fp_ieee_underflow 0
		.amdhsa_exception_fp_ieee_inexact 0
		.amdhsa_exception_int_div_zero 0
	.end_amdhsa_kernel
	.section	.text._ZN7rocprim17ROCPRIM_400000_NS6detail17trampoline_kernelINS0_14default_configENS1_25transform_config_selectorIsLb1EEEZNS1_14transform_implILb1ES3_S5_PKsPsNS0_8identityIsEEEE10hipError_tT2_T3_mT4_P12ihipStream_tbEUlT_E_NS1_11comp_targetILNS1_3genE8ELNS1_11target_archE1030ELNS1_3gpuE2ELNS1_3repE0EEENS1_30default_config_static_selectorELNS0_4arch9wavefront6targetE0EEEvT1_,"axG",@progbits,_ZN7rocprim17ROCPRIM_400000_NS6detail17trampoline_kernelINS0_14default_configENS1_25transform_config_selectorIsLb1EEEZNS1_14transform_implILb1ES3_S5_PKsPsNS0_8identityIsEEEE10hipError_tT2_T3_mT4_P12ihipStream_tbEUlT_E_NS1_11comp_targetILNS1_3genE8ELNS1_11target_archE1030ELNS1_3gpuE2ELNS1_3repE0EEENS1_30default_config_static_selectorELNS0_4arch9wavefront6targetE0EEEvT1_,comdat
.Lfunc_end601:
	.size	_ZN7rocprim17ROCPRIM_400000_NS6detail17trampoline_kernelINS0_14default_configENS1_25transform_config_selectorIsLb1EEEZNS1_14transform_implILb1ES3_S5_PKsPsNS0_8identityIsEEEE10hipError_tT2_T3_mT4_P12ihipStream_tbEUlT_E_NS1_11comp_targetILNS1_3genE8ELNS1_11target_archE1030ELNS1_3gpuE2ELNS1_3repE0EEENS1_30default_config_static_selectorELNS0_4arch9wavefront6targetE0EEEvT1_, .Lfunc_end601-_ZN7rocprim17ROCPRIM_400000_NS6detail17trampoline_kernelINS0_14default_configENS1_25transform_config_selectorIsLb1EEEZNS1_14transform_implILb1ES3_S5_PKsPsNS0_8identityIsEEEE10hipError_tT2_T3_mT4_P12ihipStream_tbEUlT_E_NS1_11comp_targetILNS1_3genE8ELNS1_11target_archE1030ELNS1_3gpuE2ELNS1_3repE0EEENS1_30default_config_static_selectorELNS0_4arch9wavefront6targetE0EEEvT1_
                                        ; -- End function
	.set _ZN7rocprim17ROCPRIM_400000_NS6detail17trampoline_kernelINS0_14default_configENS1_25transform_config_selectorIsLb1EEEZNS1_14transform_implILb1ES3_S5_PKsPsNS0_8identityIsEEEE10hipError_tT2_T3_mT4_P12ihipStream_tbEUlT_E_NS1_11comp_targetILNS1_3genE8ELNS1_11target_archE1030ELNS1_3gpuE2ELNS1_3repE0EEENS1_30default_config_static_selectorELNS0_4arch9wavefront6targetE0EEEvT1_.num_vgpr, 0
	.set _ZN7rocprim17ROCPRIM_400000_NS6detail17trampoline_kernelINS0_14default_configENS1_25transform_config_selectorIsLb1EEEZNS1_14transform_implILb1ES3_S5_PKsPsNS0_8identityIsEEEE10hipError_tT2_T3_mT4_P12ihipStream_tbEUlT_E_NS1_11comp_targetILNS1_3genE8ELNS1_11target_archE1030ELNS1_3gpuE2ELNS1_3repE0EEENS1_30default_config_static_selectorELNS0_4arch9wavefront6targetE0EEEvT1_.num_agpr, 0
	.set _ZN7rocprim17ROCPRIM_400000_NS6detail17trampoline_kernelINS0_14default_configENS1_25transform_config_selectorIsLb1EEEZNS1_14transform_implILb1ES3_S5_PKsPsNS0_8identityIsEEEE10hipError_tT2_T3_mT4_P12ihipStream_tbEUlT_E_NS1_11comp_targetILNS1_3genE8ELNS1_11target_archE1030ELNS1_3gpuE2ELNS1_3repE0EEENS1_30default_config_static_selectorELNS0_4arch9wavefront6targetE0EEEvT1_.numbered_sgpr, 0
	.set _ZN7rocprim17ROCPRIM_400000_NS6detail17trampoline_kernelINS0_14default_configENS1_25transform_config_selectorIsLb1EEEZNS1_14transform_implILb1ES3_S5_PKsPsNS0_8identityIsEEEE10hipError_tT2_T3_mT4_P12ihipStream_tbEUlT_E_NS1_11comp_targetILNS1_3genE8ELNS1_11target_archE1030ELNS1_3gpuE2ELNS1_3repE0EEENS1_30default_config_static_selectorELNS0_4arch9wavefront6targetE0EEEvT1_.num_named_barrier, 0
	.set _ZN7rocprim17ROCPRIM_400000_NS6detail17trampoline_kernelINS0_14default_configENS1_25transform_config_selectorIsLb1EEEZNS1_14transform_implILb1ES3_S5_PKsPsNS0_8identityIsEEEE10hipError_tT2_T3_mT4_P12ihipStream_tbEUlT_E_NS1_11comp_targetILNS1_3genE8ELNS1_11target_archE1030ELNS1_3gpuE2ELNS1_3repE0EEENS1_30default_config_static_selectorELNS0_4arch9wavefront6targetE0EEEvT1_.private_seg_size, 0
	.set _ZN7rocprim17ROCPRIM_400000_NS6detail17trampoline_kernelINS0_14default_configENS1_25transform_config_selectorIsLb1EEEZNS1_14transform_implILb1ES3_S5_PKsPsNS0_8identityIsEEEE10hipError_tT2_T3_mT4_P12ihipStream_tbEUlT_E_NS1_11comp_targetILNS1_3genE8ELNS1_11target_archE1030ELNS1_3gpuE2ELNS1_3repE0EEENS1_30default_config_static_selectorELNS0_4arch9wavefront6targetE0EEEvT1_.uses_vcc, 0
	.set _ZN7rocprim17ROCPRIM_400000_NS6detail17trampoline_kernelINS0_14default_configENS1_25transform_config_selectorIsLb1EEEZNS1_14transform_implILb1ES3_S5_PKsPsNS0_8identityIsEEEE10hipError_tT2_T3_mT4_P12ihipStream_tbEUlT_E_NS1_11comp_targetILNS1_3genE8ELNS1_11target_archE1030ELNS1_3gpuE2ELNS1_3repE0EEENS1_30default_config_static_selectorELNS0_4arch9wavefront6targetE0EEEvT1_.uses_flat_scratch, 0
	.set _ZN7rocprim17ROCPRIM_400000_NS6detail17trampoline_kernelINS0_14default_configENS1_25transform_config_selectorIsLb1EEEZNS1_14transform_implILb1ES3_S5_PKsPsNS0_8identityIsEEEE10hipError_tT2_T3_mT4_P12ihipStream_tbEUlT_E_NS1_11comp_targetILNS1_3genE8ELNS1_11target_archE1030ELNS1_3gpuE2ELNS1_3repE0EEENS1_30default_config_static_selectorELNS0_4arch9wavefront6targetE0EEEvT1_.has_dyn_sized_stack, 0
	.set _ZN7rocprim17ROCPRIM_400000_NS6detail17trampoline_kernelINS0_14default_configENS1_25transform_config_selectorIsLb1EEEZNS1_14transform_implILb1ES3_S5_PKsPsNS0_8identityIsEEEE10hipError_tT2_T3_mT4_P12ihipStream_tbEUlT_E_NS1_11comp_targetILNS1_3genE8ELNS1_11target_archE1030ELNS1_3gpuE2ELNS1_3repE0EEENS1_30default_config_static_selectorELNS0_4arch9wavefront6targetE0EEEvT1_.has_recursion, 0
	.set _ZN7rocprim17ROCPRIM_400000_NS6detail17trampoline_kernelINS0_14default_configENS1_25transform_config_selectorIsLb1EEEZNS1_14transform_implILb1ES3_S5_PKsPsNS0_8identityIsEEEE10hipError_tT2_T3_mT4_P12ihipStream_tbEUlT_E_NS1_11comp_targetILNS1_3genE8ELNS1_11target_archE1030ELNS1_3gpuE2ELNS1_3repE0EEENS1_30default_config_static_selectorELNS0_4arch9wavefront6targetE0EEEvT1_.has_indirect_call, 0
	.section	.AMDGPU.csdata,"",@progbits
; Kernel info:
; codeLenInByte = 0
; TotalNumSgprs: 0
; NumVgprs: 0
; ScratchSize: 0
; MemoryBound: 0
; FloatMode: 240
; IeeeMode: 1
; LDSByteSize: 0 bytes/workgroup (compile time only)
; SGPRBlocks: 0
; VGPRBlocks: 0
; NumSGPRsForWavesPerEU: 1
; NumVGPRsForWavesPerEU: 1
; NamedBarCnt: 0
; Occupancy: 16
; WaveLimiterHint : 0
; COMPUTE_PGM_RSRC2:SCRATCH_EN: 0
; COMPUTE_PGM_RSRC2:USER_SGPR: 2
; COMPUTE_PGM_RSRC2:TRAP_HANDLER: 0
; COMPUTE_PGM_RSRC2:TGID_X_EN: 1
; COMPUTE_PGM_RSRC2:TGID_Y_EN: 0
; COMPUTE_PGM_RSRC2:TGID_Z_EN: 0
; COMPUTE_PGM_RSRC2:TIDIG_COMP_CNT: 0
	.section	.text._ZN7rocprim17ROCPRIM_400000_NS6detail17trampoline_kernelINS0_14default_configENS1_35radix_sort_onesweep_config_selectorIsNS0_10empty_typeEEEZZNS1_29radix_sort_onesweep_iterationIS3_Lb1EPKsPsPS5_SB_mNS0_19identity_decomposerENS1_16block_id_wrapperIjLb1EEEEE10hipError_tT1_PNSt15iterator_traitsISG_E10value_typeET2_T3_PNSH_ISM_E10value_typeET4_T5_PSR_SS_PNS1_23onesweep_lookback_stateEbbT6_jjT7_P12ihipStream_tbENKUlT_T0_SG_SL_E_clIS9_SA_SB_SB_EEDaSZ_S10_SG_SL_EUlSZ_E_NS1_11comp_targetILNS1_3genE0ELNS1_11target_archE4294967295ELNS1_3gpuE0ELNS1_3repE0EEENS1_47radix_sort_onesweep_sort_config_static_selectorELNS0_4arch9wavefront6targetE0EEEvSG_,"axG",@progbits,_ZN7rocprim17ROCPRIM_400000_NS6detail17trampoline_kernelINS0_14default_configENS1_35radix_sort_onesweep_config_selectorIsNS0_10empty_typeEEEZZNS1_29radix_sort_onesweep_iterationIS3_Lb1EPKsPsPS5_SB_mNS0_19identity_decomposerENS1_16block_id_wrapperIjLb1EEEEE10hipError_tT1_PNSt15iterator_traitsISG_E10value_typeET2_T3_PNSH_ISM_E10value_typeET4_T5_PSR_SS_PNS1_23onesweep_lookback_stateEbbT6_jjT7_P12ihipStream_tbENKUlT_T0_SG_SL_E_clIS9_SA_SB_SB_EEDaSZ_S10_SG_SL_EUlSZ_E_NS1_11comp_targetILNS1_3genE0ELNS1_11target_archE4294967295ELNS1_3gpuE0ELNS1_3repE0EEENS1_47radix_sort_onesweep_sort_config_static_selectorELNS0_4arch9wavefront6targetE0EEEvSG_,comdat
	.protected	_ZN7rocprim17ROCPRIM_400000_NS6detail17trampoline_kernelINS0_14default_configENS1_35radix_sort_onesweep_config_selectorIsNS0_10empty_typeEEEZZNS1_29radix_sort_onesweep_iterationIS3_Lb1EPKsPsPS5_SB_mNS0_19identity_decomposerENS1_16block_id_wrapperIjLb1EEEEE10hipError_tT1_PNSt15iterator_traitsISG_E10value_typeET2_T3_PNSH_ISM_E10value_typeET4_T5_PSR_SS_PNS1_23onesweep_lookback_stateEbbT6_jjT7_P12ihipStream_tbENKUlT_T0_SG_SL_E_clIS9_SA_SB_SB_EEDaSZ_S10_SG_SL_EUlSZ_E_NS1_11comp_targetILNS1_3genE0ELNS1_11target_archE4294967295ELNS1_3gpuE0ELNS1_3repE0EEENS1_47radix_sort_onesweep_sort_config_static_selectorELNS0_4arch9wavefront6targetE0EEEvSG_ ; -- Begin function _ZN7rocprim17ROCPRIM_400000_NS6detail17trampoline_kernelINS0_14default_configENS1_35radix_sort_onesweep_config_selectorIsNS0_10empty_typeEEEZZNS1_29radix_sort_onesweep_iterationIS3_Lb1EPKsPsPS5_SB_mNS0_19identity_decomposerENS1_16block_id_wrapperIjLb1EEEEE10hipError_tT1_PNSt15iterator_traitsISG_E10value_typeET2_T3_PNSH_ISM_E10value_typeET4_T5_PSR_SS_PNS1_23onesweep_lookback_stateEbbT6_jjT7_P12ihipStream_tbENKUlT_T0_SG_SL_E_clIS9_SA_SB_SB_EEDaSZ_S10_SG_SL_EUlSZ_E_NS1_11comp_targetILNS1_3genE0ELNS1_11target_archE4294967295ELNS1_3gpuE0ELNS1_3repE0EEENS1_47radix_sort_onesweep_sort_config_static_selectorELNS0_4arch9wavefront6targetE0EEEvSG_
	.globl	_ZN7rocprim17ROCPRIM_400000_NS6detail17trampoline_kernelINS0_14default_configENS1_35radix_sort_onesweep_config_selectorIsNS0_10empty_typeEEEZZNS1_29radix_sort_onesweep_iterationIS3_Lb1EPKsPsPS5_SB_mNS0_19identity_decomposerENS1_16block_id_wrapperIjLb1EEEEE10hipError_tT1_PNSt15iterator_traitsISG_E10value_typeET2_T3_PNSH_ISM_E10value_typeET4_T5_PSR_SS_PNS1_23onesweep_lookback_stateEbbT6_jjT7_P12ihipStream_tbENKUlT_T0_SG_SL_E_clIS9_SA_SB_SB_EEDaSZ_S10_SG_SL_EUlSZ_E_NS1_11comp_targetILNS1_3genE0ELNS1_11target_archE4294967295ELNS1_3gpuE0ELNS1_3repE0EEENS1_47radix_sort_onesweep_sort_config_static_selectorELNS0_4arch9wavefront6targetE0EEEvSG_
	.p2align	8
	.type	_ZN7rocprim17ROCPRIM_400000_NS6detail17trampoline_kernelINS0_14default_configENS1_35radix_sort_onesweep_config_selectorIsNS0_10empty_typeEEEZZNS1_29radix_sort_onesweep_iterationIS3_Lb1EPKsPsPS5_SB_mNS0_19identity_decomposerENS1_16block_id_wrapperIjLb1EEEEE10hipError_tT1_PNSt15iterator_traitsISG_E10value_typeET2_T3_PNSH_ISM_E10value_typeET4_T5_PSR_SS_PNS1_23onesweep_lookback_stateEbbT6_jjT7_P12ihipStream_tbENKUlT_T0_SG_SL_E_clIS9_SA_SB_SB_EEDaSZ_S10_SG_SL_EUlSZ_E_NS1_11comp_targetILNS1_3genE0ELNS1_11target_archE4294967295ELNS1_3gpuE0ELNS1_3repE0EEENS1_47radix_sort_onesweep_sort_config_static_selectorELNS0_4arch9wavefront6targetE0EEEvSG_,@function
_ZN7rocprim17ROCPRIM_400000_NS6detail17trampoline_kernelINS0_14default_configENS1_35radix_sort_onesweep_config_selectorIsNS0_10empty_typeEEEZZNS1_29radix_sort_onesweep_iterationIS3_Lb1EPKsPsPS5_SB_mNS0_19identity_decomposerENS1_16block_id_wrapperIjLb1EEEEE10hipError_tT1_PNSt15iterator_traitsISG_E10value_typeET2_T3_PNSH_ISM_E10value_typeET4_T5_PSR_SS_PNS1_23onesweep_lookback_stateEbbT6_jjT7_P12ihipStream_tbENKUlT_T0_SG_SL_E_clIS9_SA_SB_SB_EEDaSZ_S10_SG_SL_EUlSZ_E_NS1_11comp_targetILNS1_3genE0ELNS1_11target_archE4294967295ELNS1_3gpuE0ELNS1_3repE0EEENS1_47radix_sort_onesweep_sort_config_static_selectorELNS0_4arch9wavefront6targetE0EEEvSG_: ; @_ZN7rocprim17ROCPRIM_400000_NS6detail17trampoline_kernelINS0_14default_configENS1_35radix_sort_onesweep_config_selectorIsNS0_10empty_typeEEEZZNS1_29radix_sort_onesweep_iterationIS3_Lb1EPKsPsPS5_SB_mNS0_19identity_decomposerENS1_16block_id_wrapperIjLb1EEEEE10hipError_tT1_PNSt15iterator_traitsISG_E10value_typeET2_T3_PNSH_ISM_E10value_typeET4_T5_PSR_SS_PNS1_23onesweep_lookback_stateEbbT6_jjT7_P12ihipStream_tbENKUlT_T0_SG_SL_E_clIS9_SA_SB_SB_EEDaSZ_S10_SG_SL_EUlSZ_E_NS1_11comp_targetILNS1_3genE0ELNS1_11target_archE4294967295ELNS1_3gpuE0ELNS1_3repE0EEENS1_47radix_sort_onesweep_sort_config_static_selectorELNS0_4arch9wavefront6targetE0EEEvSG_
; %bb.0:
	s_clause 0x1
	s_load_b128 s[12:15], s[0:1], 0x28
	s_load_b64 s[10:11], s[0:1], 0x38
	v_and_b32_e32 v14, 0x3ff, v0
	s_delay_alu instid0(VALU_DEP_1)
	v_cmp_eq_u32_e64 s2, 0, v14
	s_and_saveexec_b32 s3, s2
	s_cbranch_execz .LBB602_4
; %bb.1:
	s_mov_b32 s5, exec_lo
	s_mov_b32 s4, exec_lo
	v_mbcnt_lo_u32_b32 v1, s5, 0
                                        ; implicit-def: $vgpr2
	s_delay_alu instid0(VALU_DEP_1)
	v_cmpx_eq_u32_e32 0, v1
	s_cbranch_execz .LBB602_3
; %bb.2:
	s_load_b64 s[6:7], s[0:1], 0x50
	s_bcnt1_i32_b32 s5, s5
	s_delay_alu instid0(SALU_CYCLE_1)
	v_dual_mov_b32 v2, 0 :: v_dual_mov_b32 v3, s5
	s_wait_xcnt 0x0
	s_wait_kmcnt 0x0
	global_atomic_add_u32 v2, v2, v3, s[6:7] th:TH_ATOMIC_RETURN scope:SCOPE_DEV
.LBB602_3:
	s_wait_xcnt 0x0
	s_or_b32 exec_lo, exec_lo, s4
	s_wait_loadcnt 0x0
	v_readfirstlane_b32 s4, v2
	s_delay_alu instid0(VALU_DEP_1)
	v_dual_mov_b32 v2, 0 :: v_dual_add_nc_u32 v1, s4, v1
	ds_store_b32 v2, v1 offset:18496
.LBB602_4:
	s_or_b32 exec_lo, exec_lo, s3
	v_mov_b32_e32 v5, 0
	s_clause 0x2
	s_load_b128 s[16:19], s[0:1], 0x0
	s_load_b32 s3, s[0:1], 0x20
	s_load_b96 s[20:22], s[0:1], 0x44
	s_wait_dscnt 0x0
	s_barrier_signal -1
	s_barrier_wait -1
	ds_load_b32 v1, v5 offset:18496
	v_mbcnt_lo_u32_b32 v15, -1, 0
	v_and_b32_e32 v16, 0x3e0, v14
	s_mov_b32 s4, -1
	s_add_nc_u64 s[26:27], s[0:1], 0x58
	s_getreg_b32 s28, hwreg(HW_REG_IB_STS2, 6, 4)
	s_wait_dscnt 0x0
	s_barrier_signal -1
	s_barrier_wait -1
	s_wait_kmcnt 0x0
	v_cmp_le_u32_e32 vcc_lo, s22, v1
	v_readfirstlane_b32 s23, v1
	s_mul_i32 s24, s23, 0x1800
	s_cbranch_vccz .LBB602_100
; %bb.5:
	s_mov_b32 s25, 0
	v_mov_b32_e32 v2, 0x80008000
	v_lshlrev_b32_e32 v4, 1, v15
	s_lshl_b64 s[4:5], s[24:25], 1
	v_mul_u32_u24_e32 v3, 12, v16
	s_add_nc_u64 s[4:5], s[16:17], s[4:5]
	s_mulk_i32 s22, 0xe800
	v_add_nc_u64_e32 v[6:7], s[4:5], v[4:5]
	s_add_co_i32 s22, s22, s3
	v_dual_lshlrev_b32 v4, 1, v3 :: v_dual_bitop2_b32 v1, v15, v3 bitop3:0x54
	v_mov_b32_e32 v3, v2
	s_mov_b32 s3, exec_lo
	s_delay_alu instid0(VALU_DEP_2)
	v_add_nc_u64_e32 v[10:11], v[6:7], v[4:5]
	v_dual_mov_b32 v4, v2 :: v_dual_mov_b32 v5, v2
	v_dual_mov_b32 v6, v2 :: v_dual_mov_b32 v7, v2
	v_cmpx_gt_u32_e64 s22, v1
	s_cbranch_execz .LBB602_7
; %bb.6:
	global_load_u16 v3, v[10:11], off
	s_movk_i32 s4, 0x8000
	v_dual_mov_b32 v5, v2 :: v_dual_mov_b32 v6, v2
	v_dual_mov_b32 v7, v2 :: v_dual_mov_b32 v8, v2
	v_mov_b32_e32 v9, v2
	s_wait_loadcnt 0x0
	v_perm_b32 v4, s4, v3, 0x5040100
	s_delay_alu instid0(VALU_DEP_1)
	v_mov_b64_e32 v[2:3], v[4:5]
	v_mov_b64_e32 v[4:5], v[6:7]
	;; [unrolled: 1-line block ×4, first 2 shown]
.LBB602_7:
	s_or_b32 exec_lo, exec_lo, s3
	v_or_b32_e32 v8, 32, v1
	s_mov_b32 s3, exec_lo
	s_delay_alu instid0(VALU_DEP_1)
	v_cmpx_gt_u32_e64 s22, v8
	s_cbranch_execz .LBB602_9
; %bb.8:
	global_load_u16 v8, v[10:11], off offset:64
	s_wait_loadcnt 0x0
	v_perm_b32 v2, v8, v2, 0x5040100
.LBB602_9:
	s_or_b32 exec_lo, exec_lo, s3
	v_or_b32_e32 v8, 64, v1
	s_mov_b32 s3, exec_lo
	s_delay_alu instid0(VALU_DEP_1)
	v_cmpx_gt_u32_e64 s22, v8
	s_cbranch_execz .LBB602_11
; %bb.10:
	global_load_u16 v8, v[10:11], off offset:128
	s_wait_loadcnt 0x0
	v_bfi_b32 v3, 0xffff, v8, v3
.LBB602_11:
	s_or_b32 exec_lo, exec_lo, s3
	v_or_b32_e32 v8, 0x60, v1
	s_mov_b32 s3, exec_lo
	s_delay_alu instid0(VALU_DEP_1)
	v_cmpx_gt_u32_e64 s22, v8
	s_cbranch_execz .LBB602_13
; %bb.12:
	global_load_u16 v8, v[10:11], off offset:192
	s_wait_loadcnt 0x0
	v_perm_b32 v3, v8, v3, 0x5040100
.LBB602_13:
	s_or_b32 exec_lo, exec_lo, s3
	v_add_nc_u32_e32 v8, 0x80, v1
	s_mov_b32 s3, exec_lo
	s_delay_alu instid0(VALU_DEP_1)
	v_cmpx_gt_u32_e64 s22, v8
	s_cbranch_execz .LBB602_15
; %bb.14:
	global_load_u16 v8, v[10:11], off offset:256
	s_wait_loadcnt 0x0
	v_bfi_b32 v4, 0xffff, v8, v4
.LBB602_15:
	s_or_b32 exec_lo, exec_lo, s3
	v_add_nc_u32_e32 v8, 0xa0, v1
	s_mov_b32 s3, exec_lo
	s_delay_alu instid0(VALU_DEP_1)
	v_cmpx_gt_u32_e64 s22, v8
	s_cbranch_execz .LBB602_17
; %bb.16:
	global_load_u16 v8, v[10:11], off offset:320
	s_wait_loadcnt 0x0
	v_perm_b32 v4, v8, v4, 0x5040100
.LBB602_17:
	s_or_b32 exec_lo, exec_lo, s3
	v_add_nc_u32_e32 v8, 0xc0, v1
	s_mov_b32 s3, exec_lo
	s_delay_alu instid0(VALU_DEP_1)
	v_cmpx_gt_u32_e64 s22, v8
	s_cbranch_execz .LBB602_19
; %bb.18:
	global_load_u16 v8, v[10:11], off offset:384
	s_wait_loadcnt 0x0
	v_bfi_b32 v5, 0xffff, v8, v5
.LBB602_19:
	s_or_b32 exec_lo, exec_lo, s3
	v_add_nc_u32_e32 v8, 0xe0, v1
	;; [unrolled: 22-line block ×4, first 2 shown]
	s_mov_b32 s3, exec_lo
	s_delay_alu instid0(VALU_DEP_1)
	v_cmpx_gt_u32_e64 s22, v1
	s_cbranch_execz .LBB602_29
; %bb.28:
	global_load_u16 v1, v[10:11], off offset:704
	s_wait_loadcnt 0x0
	v_perm_b32 v7, v1, v7, 0x5040100
.LBB602_29:
	s_or_b32 exec_lo, exec_lo, s3
	s_clause 0x1
	s_load_b32 s25, s[0:1], 0x58
	s_load_u16 s3, s[0:1], 0x66
	v_xor_b32_e32 v1, 0x7fff, v2
	s_bfe_u32 s4, ttmp6, 0x4000c
	s_and_b32 s5, ttmp6, 15
	s_add_co_i32 s4, s4, 1
	v_bfe_u32 v8, v0, 10, 10
	s_mul_i32 s4, ttmp9, s4
	v_and_b32_e32 v9, 0xffff, v1
	s_add_co_i32 s5, s5, s4
	s_cmp_eq_u32 s28, 0
	v_bfe_u32 v10, v0, 20, 10
	s_cselect_b32 s4, ttmp9, s5
	v_lshrrev_b32_e32 v9, s20, v9
	s_mov_b32 s5, 0
	s_wait_kmcnt 0x0
	s_cmp_lt_u32 s4, s25
	v_mad_u32_u24 v8, v10, s3, v8
	s_cselect_b32 s4, 12, 18
	s_lshl_b32 s6, -1, s21
	s_add_nc_u64 s[4:5], s[26:27], s[4:5]
	v_bitop3_b32 v11, v9, s6, v9 bitop3:0x30
	s_load_u16 s7, s[4:5], 0x0
	s_not_b32 s29, s6
	s_delay_alu instid0(VALU_DEP_1) | instskip(SKIP_3) | instid1(VALU_DEP_3)
	v_lshlrev_b32_e32 v12, 30, v11
	v_bitop3_b32 v10, v9, 1, s6 bitop3:0x40
	v_dual_lshlrev_b32 v13, 29, v11 :: v_dual_lshlrev_b32 v17, 28, v11
	v_dual_lshlrev_b32 v18, 27, v11 :: v_dual_lshlrev_b32 v19, 26, v11
	v_add_co_u32 v9, s3, v10, -1
	s_delay_alu instid0(VALU_DEP_1)
	v_cndmask_b32_e64 v10, 0, 1, s3
	v_cmp_gt_i32_e64 s3, 0, v12
	s_wait_xcnt 0x0
	v_cmp_gt_i32_e64 s4, 0, v13
	v_cmp_gt_i32_e64 s5, 0, v17
	v_dual_lshlrev_b32 v20, 25, v11 :: v_dual_lshlrev_b32 v21, 24, v11
	v_cmp_ne_u32_e32 vcc_lo, 0, v10
	v_not_b32_e32 v10, v12
	v_not_b32_e32 v12, v13
	;; [unrolled: 1-line block ×4, first 2 shown]
	s_delay_alu instid0(VALU_DEP_4) | instskip(NEXT) | instid1(VALU_DEP_3)
	v_dual_ashrrev_i32 v10, 31, v10 :: v_dual_bitop2_b32 v9, vcc_lo, v9 bitop3:0x14
	v_dual_ashrrev_i32 v12, 31, v12 :: v_dual_ashrrev_i32 v13, 31, v13
	v_not_b32_e32 v22, v19
	s_wait_kmcnt 0x0
	v_mad_u32 v8, v8, s7, v14
	v_xor_b32_e32 v10, s3, v10
	v_xor_b32_e32 v12, s4, v12
	;; [unrolled: 1-line block ×3, first 2 shown]
	v_cmp_gt_i32_e32 vcc_lo, 0, v18
	v_cmp_gt_i32_e64 s3, 0, v19
	v_bitop3_b32 v9, v9, v10, exec_lo bitop3:0x80
	v_dual_ashrrev_i32 v10, 31, v17 :: v_dual_ashrrev_i32 v17, 31, v22
	v_mul_u32_u24_e32 v11, 0x44, v11
	s_delay_alu instid0(VALU_DEP_3)
	v_bitop3_b32 v9, v9, v13, v12 bitop3:0x80
	v_not_b32_e32 v12, v20
	v_not_b32_e32 v13, v21
	v_xor_b32_e32 v10, vcc_lo, v10
	v_dual_lshrrev_b32 v8, 3, v8 :: v_dual_bitop2_b32 v17, s3, v17 bitop3:0x14
	v_cmp_gt_i32_e32 vcc_lo, 0, v20
	v_ashrrev_i32_e32 v18, 31, v12
	v_cmp_gt_i32_e64 s3, 0, v21
	v_ashrrev_i32_e32 v13, 31, v13
	v_bitop3_b32 v9, v9, v17, v10 bitop3:0x80
	s_delay_alu instid0(VALU_DEP_4) | instskip(SKIP_1) | instid1(VALU_DEP_4)
	v_dual_mov_b32 v17, 0 :: v_dual_bitop2_b32 v10, vcc_lo, v18 bitop3:0x14
	v_and_b32_e32 v8, 0x1ffffffc, v8
	v_xor_b32_e32 v13, s3, v13
	v_mul_u32_u24_e32 v12, 36, v14
	ds_store_2addr_b32 v12, v17, v17 offset0:16 offset1:17
	ds_store_2addr_b32 v12, v17, v17 offset0:18 offset1:19
	;; [unrolled: 1-line block ×4, first 2 shown]
	v_bitop3_b32 v9, v9, v13, v10 bitop3:0x80
	v_add_nc_u32_e32 v13, v8, v11
	ds_store_b32 v12, v17 offset:96
	s_wait_dscnt 0x0
	s_barrier_signal -1
	v_mbcnt_lo_u32_b32 v10, v9, 0
	v_cmp_ne_u32_e64 s3, 0, v9
	s_barrier_wait -1
	s_delay_alu instid0(VALU_DEP_2) | instskip(SKIP_1) | instid1(SALU_CYCLE_1)
	v_cmp_eq_u32_e32 vcc_lo, 0, v10
	; wave barrier
	s_and_b32 s4, s3, vcc_lo
	s_and_saveexec_b32 s3, s4
; %bb.30:
	v_bcnt_u32_b32 v9, v9, 0
	ds_store_b32 v13, v9 offset:64
; %bb.31:
	s_or_b32 exec_lo, exec_lo, s3
	v_lshrrev_b32_e32 v2, 16, v2
	; wave barrier
	s_delay_alu instid0(VALU_DEP_1) | instskip(NEXT) | instid1(VALU_DEP_1)
	v_xor_b32_e32 v11, 0x7fff, v2
	v_and_b32_e32 v2, 0xffff, v11
	s_delay_alu instid0(VALU_DEP_1) | instskip(NEXT) | instid1(VALU_DEP_1)
	v_lshrrev_b32_e32 v2, s20, v2
	v_and_b32_e32 v17, s29, v2
	s_delay_alu instid0(VALU_DEP_1) | instskip(SKIP_2) | instid1(VALU_DEP_3)
	v_lshlrev_b32_e32 v19, 29, v17
	v_bitop3_b32 v9, v2, 1, s29 bitop3:0x80
	v_lshlrev_b32_e32 v18, 30, v17
	v_cmp_gt_i32_e64 s4, 0, v19
	s_delay_alu instid0(VALU_DEP_3) | instskip(NEXT) | instid1(VALU_DEP_1)
	v_add_co_u32 v2, s3, v9, -1
	v_cndmask_b32_e64 v9, 0, 1, s3
	s_delay_alu instid0(VALU_DEP_4) | instskip(NEXT) | instid1(VALU_DEP_2)
	v_cmp_gt_i32_e64 s3, 0, v18
	v_cmp_ne_u32_e32 vcc_lo, 0, v9
	v_not_b32_e32 v9, v18
	v_not_b32_e32 v18, v19
	s_delay_alu instid0(VALU_DEP_2) | instskip(SKIP_3) | instid1(VALU_DEP_3)
	v_dual_ashrrev_i32 v9, 31, v9 :: v_dual_bitop2_b32 v2, vcc_lo, v2 bitop3:0x14
	v_dual_lshlrev_b32 v20, 28, v17 :: v_dual_lshlrev_b32 v21, 27, v17
	v_dual_lshlrev_b32 v22, 26, v17 :: v_dual_lshlrev_b32 v23, 25, v17
	v_lshlrev_b32_e32 v24, 24, v17
	v_not_b32_e32 v19, v20
	v_cmp_gt_i32_e64 s5, 0, v20
	v_cmp_gt_i32_e64 s6, 0, v21
	v_not_b32_e32 v20, v21
	v_not_b32_e32 v21, v22
	v_dual_ashrrev_i32 v18, 31, v18 :: v_dual_ashrrev_i32 v19, 31, v19
	s_delay_alu instid0(VALU_DEP_3)
	v_dual_ashrrev_i32 v20, 31, v20 :: v_dual_bitop2_b32 v9, s3, v9 bitop3:0x14
	v_cmp_gt_i32_e64 s7, 0, v22
	v_cmp_gt_i32_e64 s8, 0, v23
	v_not_b32_e32 v22, v23
	v_not_b32_e32 v23, v24
	v_dual_ashrrev_i32 v21, 31, v21 :: v_dual_bitop2_b32 v18, s4, v18 bitop3:0x14
	v_xor_b32_e32 v19, s5, v19
	v_bitop3_b32 v2, v2, v9, exec_lo bitop3:0x80
	v_cmp_gt_i32_e64 s9, 0, v24
	v_dual_ashrrev_i32 v9, 31, v22 :: v_dual_ashrrev_i32 v22, 31, v23
	v_xor_b32_e32 v20, s6, v20
	v_xor_b32_e32 v21, s7, v21
	v_bitop3_b32 v2, v2, v19, v18 bitop3:0x80
	v_mad_u32_u24 v18, 0x44, v17, v8
	v_xor_b32_e32 v9, s8, v9
	v_xor_b32_e32 v19, s9, v22
	s_delay_alu instid0(VALU_DEP_4) | instskip(SKIP_3) | instid1(VALU_DEP_2)
	v_bitop3_b32 v2, v2, v21, v20 bitop3:0x80
	ds_load_b32 v18, v18 offset:64
	; wave barrier
	v_bitop3_b32 v2, v2, v19, v9 bitop3:0x80
	v_mul_u32_u24_e32 v9, 0x44, v17
	v_mbcnt_lo_u32_b32 v19, v2, 0
	v_cmp_ne_u32_e64 s3, 0, v2
	s_delay_alu instid0(VALU_DEP_3) | instskip(NEXT) | instid1(VALU_DEP_3)
	v_add_nc_u32_e32 v20, v8, v9
	v_cmp_eq_u32_e32 vcc_lo, 0, v19
	s_and_b32 s4, s3, vcc_lo
	s_delay_alu instid0(SALU_CYCLE_1)
	s_and_saveexec_b32 s3, s4
	s_cbranch_execz .LBB602_33
; %bb.32:
	s_wait_dscnt 0x0
	v_bcnt_u32_b32 v2, v2, v18
	ds_store_b32 v20, v2 offset:64
.LBB602_33:
	s_or_b32 exec_lo, exec_lo, s3
	v_xor_b32_e32 v17, 0x7fff, v3
	; wave barrier
	s_delay_alu instid0(VALU_DEP_1) | instskip(NEXT) | instid1(VALU_DEP_1)
	v_and_b32_e32 v2, 0xffff, v17
	v_lshrrev_b32_e32 v2, s20, v2
	s_delay_alu instid0(VALU_DEP_1) | instskip(NEXT) | instid1(VALU_DEP_1)
	v_and_b32_e32 v21, s29, v2
	v_lshlrev_b32_e32 v22, 30, v21
	v_bitop3_b32 v9, v2, 1, s29 bitop3:0x80
	s_delay_alu instid0(VALU_DEP_1) | instskip(NEXT) | instid1(VALU_DEP_1)
	v_add_co_u32 v2, s3, v9, -1
	v_cndmask_b32_e64 v9, 0, 1, s3
	s_delay_alu instid0(VALU_DEP_4) | instskip(NEXT) | instid1(VALU_DEP_2)
	v_cmp_gt_i32_e64 s3, 0, v22
	v_cmp_ne_u32_e32 vcc_lo, 0, v9
	v_not_b32_e32 v9, v22
	s_delay_alu instid0(VALU_DEP_1) | instskip(SKIP_3) | instid1(VALU_DEP_3)
	v_ashrrev_i32_e32 v9, 31, v9
	v_dual_lshlrev_b32 v23, 29, v21 :: v_dual_lshlrev_b32 v24, 28, v21
	v_dual_lshlrev_b32 v25, 27, v21 :: v_dual_lshlrev_b32 v26, 26, v21
	;; [unrolled: 1-line block ×3, first 2 shown]
	v_cmp_gt_i32_e64 s4, 0, v23
	v_not_b32_e32 v22, v23
	v_not_b32_e32 v23, v24
	v_cmp_gt_i32_e64 s5, 0, v24
	v_cmp_gt_i32_e64 s6, 0, v25
	v_not_b32_e32 v24, v25
	v_not_b32_e32 v25, v26
	v_dual_ashrrev_i32 v23, 31, v23 :: v_dual_bitop2_b32 v2, vcc_lo, v2 bitop3:0x14
	v_dual_ashrrev_i32 v22, 31, v22 :: v_dual_bitop2_b32 v9, s3, v9 bitop3:0x14
	v_cmp_gt_i32_e64 s7, 0, v26
	v_cmp_gt_i32_e64 s8, 0, v27
	v_not_b32_e32 v26, v27
	v_not_b32_e32 v27, v28
	v_dual_ashrrev_i32 v24, 31, v24 :: v_dual_ashrrev_i32 v25, 31, v25
	v_xor_b32_e32 v22, s4, v22
	v_xor_b32_e32 v23, s5, v23
	v_bitop3_b32 v2, v2, v9, exec_lo bitop3:0x80
	v_cmp_gt_i32_e64 s9, 0, v28
	v_dual_ashrrev_i32 v9, 31, v26 :: v_dual_ashrrev_i32 v26, 31, v27
	v_xor_b32_e32 v24, s6, v24
	v_xor_b32_e32 v25, s7, v25
	v_bitop3_b32 v2, v2, v23, v22 bitop3:0x80
	v_mad_u32_u24 v22, 0x44, v21, v8
	v_xor_b32_e32 v9, s8, v9
	v_xor_b32_e32 v23, s9, v26
	s_delay_alu instid0(VALU_DEP_4) | instskip(SKIP_3) | instid1(VALU_DEP_2)
	v_bitop3_b32 v2, v2, v25, v24 bitop3:0x80
	ds_load_b32 v22, v22 offset:64
	; wave barrier
	v_bitop3_b32 v2, v2, v23, v9 bitop3:0x80
	v_mul_u32_u24_e32 v9, 0x44, v21
	v_mbcnt_lo_u32_b32 v23, v2, 0
	v_cmp_ne_u32_e64 s3, 0, v2
	s_delay_alu instid0(VALU_DEP_3) | instskip(NEXT) | instid1(VALU_DEP_3)
	v_add_nc_u32_e32 v24, v8, v9
	v_cmp_eq_u32_e32 vcc_lo, 0, v23
	s_and_b32 s4, s3, vcc_lo
	s_delay_alu instid0(SALU_CYCLE_1)
	s_and_saveexec_b32 s3, s4
	s_cbranch_execz .LBB602_35
; %bb.34:
	s_wait_dscnt 0x0
	v_bcnt_u32_b32 v2, v2, v22
	ds_store_b32 v24, v2 offset:64
.LBB602_35:
	s_or_b32 exec_lo, exec_lo, s3
	v_lshrrev_b32_e32 v2, 16, v3
	; wave barrier
	s_delay_alu instid0(VALU_DEP_1) | instskip(NEXT) | instid1(VALU_DEP_1)
	v_xor_b32_e32 v21, 0x7fff, v2
	v_and_b32_e32 v2, 0xffff, v21
	s_delay_alu instid0(VALU_DEP_1) | instskip(NEXT) | instid1(VALU_DEP_1)
	v_lshrrev_b32_e32 v2, s20, v2
	v_and_b32_e32 v9, s29, v2
	s_delay_alu instid0(VALU_DEP_1) | instskip(SKIP_2) | instid1(VALU_DEP_3)
	v_lshlrev_b32_e32 v26, 29, v9
	v_bitop3_b32 v3, v2, 1, s29 bitop3:0x80
	v_lshlrev_b32_e32 v25, 30, v9
	v_cmp_gt_i32_e64 s4, 0, v26
	s_delay_alu instid0(VALU_DEP_3) | instskip(NEXT) | instid1(VALU_DEP_1)
	v_add_co_u32 v2, s3, v3, -1
	v_cndmask_b32_e64 v3, 0, 1, s3
	s_delay_alu instid0(VALU_DEP_4) | instskip(NEXT) | instid1(VALU_DEP_2)
	v_cmp_gt_i32_e64 s3, 0, v25
	v_cmp_ne_u32_e32 vcc_lo, 0, v3
	v_not_b32_e32 v3, v25
	v_not_b32_e32 v25, v26
	s_delay_alu instid0(VALU_DEP_2) | instskip(SKIP_3) | instid1(VALU_DEP_3)
	v_dual_ashrrev_i32 v3, 31, v3 :: v_dual_bitop2_b32 v2, vcc_lo, v2 bitop3:0x14
	v_dual_lshlrev_b32 v27, 28, v9 :: v_dual_lshlrev_b32 v28, 27, v9
	v_dual_lshlrev_b32 v29, 26, v9 :: v_dual_lshlrev_b32 v30, 25, v9
	v_lshlrev_b32_e32 v31, 24, v9
	v_not_b32_e32 v26, v27
	v_cmp_gt_i32_e64 s5, 0, v27
	v_cmp_gt_i32_e64 s6, 0, v28
	v_not_b32_e32 v27, v28
	v_not_b32_e32 v28, v29
	v_dual_ashrrev_i32 v25, 31, v25 :: v_dual_ashrrev_i32 v26, 31, v26
	v_xor_b32_e32 v3, s3, v3
	v_cmp_gt_i32_e64 s7, 0, v29
	v_cmp_gt_i32_e64 s8, 0, v30
	v_not_b32_e32 v29, v30
	v_not_b32_e32 v30, v31
	v_dual_ashrrev_i32 v27, 31, v27 :: v_dual_bitop2_b32 v25, s4, v25 bitop3:0x14
	v_dual_ashrrev_i32 v28, 31, v28 :: v_dual_bitop2_b32 v26, s5, v26 bitop3:0x14
	v_bitop3_b32 v2, v2, v3, exec_lo bitop3:0x80
	v_cmp_gt_i32_e64 s9, 0, v31
	v_dual_ashrrev_i32 v3, 31, v29 :: v_dual_ashrrev_i32 v29, 31, v30
	v_xor_b32_e32 v27, s6, v27
	v_xor_b32_e32 v28, s7, v28
	v_bitop3_b32 v2, v2, v26, v25 bitop3:0x80
	v_mad_u32_u24 v25, 0x44, v9, v8
	v_xor_b32_e32 v3, s8, v3
	v_xor_b32_e32 v29, s9, v29
	s_delay_alu instid0(VALU_DEP_4) | instskip(SKIP_3) | instid1(VALU_DEP_2)
	v_bitop3_b32 v2, v2, v28, v27 bitop3:0x80
	ds_load_b32 v26, v25 offset:64
	; wave barrier
	v_bitop3_b32 v2, v2, v29, v3 bitop3:0x80
	v_mul_u32_u24_e32 v3, 0x44, v9
	v_mbcnt_lo_u32_b32 v27, v2, 0
	v_cmp_ne_u32_e64 s3, 0, v2
	s_delay_alu instid0(VALU_DEP_3) | instskip(NEXT) | instid1(VALU_DEP_3)
	v_add_nc_u32_e32 v28, v8, v3
	v_cmp_eq_u32_e32 vcc_lo, 0, v27
	s_and_b32 s4, s3, vcc_lo
	s_delay_alu instid0(SALU_CYCLE_1)
	s_and_saveexec_b32 s3, s4
	s_cbranch_execz .LBB602_37
; %bb.36:
	s_wait_dscnt 0x0
	v_bcnt_u32_b32 v2, v2, v26
	ds_store_b32 v28, v2 offset:64
.LBB602_37:
	s_or_b32 exec_lo, exec_lo, s3
	v_xor_b32_e32 v25, 0x7fff, v4
	; wave barrier
	s_delay_alu instid0(VALU_DEP_1) | instskip(NEXT) | instid1(VALU_DEP_1)
	v_and_b32_e32 v2, 0xffff, v25
	v_lshrrev_b32_e32 v2, s20, v2
	s_delay_alu instid0(VALU_DEP_1) | instskip(NEXT) | instid1(VALU_DEP_1)
	v_and_b32_e32 v9, s29, v2
	v_lshlrev_b32_e32 v29, 30, v9
	v_bitop3_b32 v3, v2, 1, s29 bitop3:0x80
	s_delay_alu instid0(VALU_DEP_1) | instskip(NEXT) | instid1(VALU_DEP_1)
	v_add_co_u32 v2, s3, v3, -1
	v_cndmask_b32_e64 v3, 0, 1, s3
	s_delay_alu instid0(VALU_DEP_4) | instskip(NEXT) | instid1(VALU_DEP_2)
	v_cmp_gt_i32_e64 s3, 0, v29
	v_cmp_ne_u32_e32 vcc_lo, 0, v3
	v_not_b32_e32 v3, v29
	s_delay_alu instid0(VALU_DEP_1) | instskip(SKIP_3) | instid1(VALU_DEP_4)
	v_dual_ashrrev_i32 v3, 31, v3 :: v_dual_lshlrev_b32 v30, 29, v9
	v_dual_lshlrev_b32 v31, 28, v9 :: v_dual_lshlrev_b32 v32, 27, v9
	v_dual_lshlrev_b32 v33, 26, v9 :: v_dual_lshlrev_b32 v34, 25, v9
	v_lshlrev_b32_e32 v35, 24, v9
	v_cmp_gt_i32_e64 s4, 0, v30
	v_not_b32_e32 v29, v30
	v_not_b32_e32 v30, v31
	v_cmp_gt_i32_e64 s5, 0, v31
	v_cmp_gt_i32_e64 s6, 0, v32
	v_not_b32_e32 v31, v32
	v_not_b32_e32 v32, v33
	v_dual_ashrrev_i32 v29, 31, v29 :: v_dual_bitop2_b32 v2, vcc_lo, v2 bitop3:0x14
	v_dual_ashrrev_i32 v30, 31, v30 :: v_dual_bitop2_b32 v3, s3, v3 bitop3:0x14
	v_cmp_gt_i32_e64 s7, 0, v33
	v_cmp_gt_i32_e64 s8, 0, v34
	v_not_b32_e32 v33, v34
	v_not_b32_e32 v34, v35
	v_dual_ashrrev_i32 v31, 31, v31 :: v_dual_ashrrev_i32 v32, 31, v32
	v_xor_b32_e32 v29, s4, v29
	v_xor_b32_e32 v30, s5, v30
	v_bitop3_b32 v2, v2, v3, exec_lo bitop3:0x80
	v_cmp_gt_i32_e64 s9, 0, v35
	v_dual_ashrrev_i32 v3, 31, v33 :: v_dual_ashrrev_i32 v33, 31, v34
	v_xor_b32_e32 v31, s6, v31
	v_xor_b32_e32 v32, s7, v32
	v_bitop3_b32 v2, v2, v30, v29 bitop3:0x80
	v_mad_u32_u24 v29, 0x44, v9, v8
	v_xor_b32_e32 v3, s8, v3
	v_xor_b32_e32 v30, s9, v33
	s_delay_alu instid0(VALU_DEP_4) | instskip(SKIP_3) | instid1(VALU_DEP_2)
	v_bitop3_b32 v2, v2, v32, v31 bitop3:0x80
	ds_load_b32 v29, v29 offset:64
	; wave barrier
	v_bitop3_b32 v2, v2, v30, v3 bitop3:0x80
	v_mul_u32_u24_e32 v3, 0x44, v9
	v_mbcnt_lo_u32_b32 v31, v2, 0
	v_cmp_ne_u32_e64 s3, 0, v2
	s_delay_alu instid0(VALU_DEP_3) | instskip(NEXT) | instid1(VALU_DEP_3)
	v_add_nc_u32_e32 v32, v8, v3
	v_cmp_eq_u32_e32 vcc_lo, 0, v31
	s_and_b32 s4, s3, vcc_lo
	s_delay_alu instid0(SALU_CYCLE_1)
	s_and_saveexec_b32 s3, s4
	s_cbranch_execz .LBB602_39
; %bb.38:
	s_wait_dscnt 0x0
	v_bcnt_u32_b32 v2, v2, v29
	ds_store_b32 v32, v2 offset:64
.LBB602_39:
	s_or_b32 exec_lo, exec_lo, s3
	v_lshrrev_b32_e32 v2, 16, v4
	; wave barrier
	s_delay_alu instid0(VALU_DEP_1) | instskip(NEXT) | instid1(VALU_DEP_1)
	v_xor_b32_e32 v30, 0x7fff, v2
	v_and_b32_e32 v2, 0xffff, v30
	s_delay_alu instid0(VALU_DEP_1) | instskip(NEXT) | instid1(VALU_DEP_1)
	v_lshrrev_b32_e32 v2, s20, v2
	v_and_b32_e32 v4, s29, v2
	s_delay_alu instid0(VALU_DEP_1) | instskip(SKIP_2) | instid1(VALU_DEP_3)
	v_lshlrev_b32_e32 v33, 29, v4
	v_bitop3_b32 v3, v2, 1, s29 bitop3:0x80
	v_lshlrev_b32_e32 v9, 30, v4
	v_cmp_gt_i32_e64 s4, 0, v33
	s_delay_alu instid0(VALU_DEP_3) | instskip(NEXT) | instid1(VALU_DEP_1)
	v_add_co_u32 v2, s3, v3, -1
	v_cndmask_b32_e64 v3, 0, 1, s3
	s_delay_alu instid0(VALU_DEP_4) | instskip(NEXT) | instid1(VALU_DEP_2)
	v_cmp_gt_i32_e64 s3, 0, v9
	v_cmp_ne_u32_e32 vcc_lo, 0, v3
	v_not_b32_e32 v3, v9
	v_not_b32_e32 v9, v33
	s_delay_alu instid0(VALU_DEP_2) | instskip(SKIP_3) | instid1(VALU_DEP_3)
	v_dual_ashrrev_i32 v3, 31, v3 :: v_dual_bitop2_b32 v2, vcc_lo, v2 bitop3:0x14
	v_dual_lshlrev_b32 v34, 28, v4 :: v_dual_lshlrev_b32 v35, 27, v4
	v_dual_lshlrev_b32 v36, 26, v4 :: v_dual_lshlrev_b32 v37, 25, v4
	v_lshlrev_b32_e32 v38, 24, v4
	v_not_b32_e32 v33, v34
	v_cmp_gt_i32_e64 s5, 0, v34
	v_cmp_gt_i32_e64 s6, 0, v35
	v_not_b32_e32 v34, v35
	v_not_b32_e32 v35, v36
	v_dual_ashrrev_i32 v9, 31, v9 :: v_dual_bitop2_b32 v3, s3, v3 bitop3:0x14
	s_delay_alu instid0(VALU_DEP_3)
	v_dual_ashrrev_i32 v33, 31, v33 :: v_dual_ashrrev_i32 v34, 31, v34
	v_cmp_gt_i32_e64 s7, 0, v36
	v_cmp_gt_i32_e64 s8, 0, v37
	v_not_b32_e32 v36, v37
	v_not_b32_e32 v37, v38
	v_dual_ashrrev_i32 v35, 31, v35 :: v_dual_bitop2_b32 v9, s4, v9 bitop3:0x14
	v_xor_b32_e32 v33, s5, v33
	v_bitop3_b32 v2, v2, v3, exec_lo bitop3:0x80
	v_cmp_gt_i32_e64 s9, 0, v38
	v_dual_ashrrev_i32 v3, 31, v36 :: v_dual_ashrrev_i32 v36, 31, v37
	v_xor_b32_e32 v34, s6, v34
	v_xor_b32_e32 v35, s7, v35
	v_bitop3_b32 v2, v2, v33, v9 bitop3:0x80
	v_mad_u32_u24 v9, 0x44, v4, v8
	v_xor_b32_e32 v3, s8, v3
	v_xor_b32_e32 v36, s9, v36
	s_delay_alu instid0(VALU_DEP_4) | instskip(SKIP_3) | instid1(VALU_DEP_2)
	v_bitop3_b32 v2, v2, v35, v34 bitop3:0x80
	ds_load_b32 v33, v9 offset:64
	; wave barrier
	v_bitop3_b32 v2, v2, v36, v3 bitop3:0x80
	v_mul_u32_u24_e32 v3, 0x44, v4
	v_mbcnt_lo_u32_b32 v34, v2, 0
	v_cmp_ne_u32_e64 s3, 0, v2
	s_delay_alu instid0(VALU_DEP_3) | instskip(NEXT) | instid1(VALU_DEP_3)
	v_add_nc_u32_e32 v37, v8, v3
	v_cmp_eq_u32_e32 vcc_lo, 0, v34
	s_and_b32 s4, s3, vcc_lo
	s_delay_alu instid0(SALU_CYCLE_1)
	s_and_saveexec_b32 s3, s4
	s_cbranch_execz .LBB602_41
; %bb.40:
	s_wait_dscnt 0x0
	v_bcnt_u32_b32 v2, v2, v33
	ds_store_b32 v37, v2 offset:64
.LBB602_41:
	s_or_b32 exec_lo, exec_lo, s3
	v_xor_b32_e32 v35, 0x7fff, v5
	; wave barrier
	s_delay_alu instid0(VALU_DEP_1) | instskip(NEXT) | instid1(VALU_DEP_1)
	v_and_b32_e32 v2, 0xffff, v35
	v_lshrrev_b32_e32 v2, s20, v2
	s_delay_alu instid0(VALU_DEP_1) | instskip(NEXT) | instid1(VALU_DEP_1)
	v_and_b32_e32 v4, s29, v2
	v_lshlrev_b32_e32 v9, 30, v4
	v_bitop3_b32 v3, v2, 1, s29 bitop3:0x80
	s_delay_alu instid0(VALU_DEP_1) | instskip(NEXT) | instid1(VALU_DEP_1)
	v_add_co_u32 v2, s3, v3, -1
	v_cndmask_b32_e64 v3, 0, 1, s3
	s_delay_alu instid0(VALU_DEP_4) | instskip(NEXT) | instid1(VALU_DEP_2)
	v_cmp_gt_i32_e64 s3, 0, v9
	v_cmp_ne_u32_e32 vcc_lo, 0, v3
	v_not_b32_e32 v3, v9
	s_delay_alu instid0(VALU_DEP_1) | instskip(SKIP_3) | instid1(VALU_DEP_4)
	v_dual_ashrrev_i32 v3, 31, v3 :: v_dual_lshlrev_b32 v36, 29, v4
	v_dual_lshlrev_b32 v38, 28, v4 :: v_dual_lshlrev_b32 v39, 27, v4
	v_dual_lshlrev_b32 v40, 26, v4 :: v_dual_lshlrev_b32 v41, 25, v4
	v_lshlrev_b32_e32 v42, 24, v4
	v_cmp_gt_i32_e64 s4, 0, v36
	v_not_b32_e32 v9, v36
	v_not_b32_e32 v36, v38
	v_cmp_gt_i32_e64 s5, 0, v38
	v_cmp_gt_i32_e64 s6, 0, v39
	v_not_b32_e32 v38, v39
	v_not_b32_e32 v39, v40
	v_dual_ashrrev_i32 v9, 31, v9 :: v_dual_bitop2_b32 v2, vcc_lo, v2 bitop3:0x14
	v_dual_ashrrev_i32 v36, 31, v36 :: v_dual_bitop2_b32 v3, s3, v3 bitop3:0x14
	v_cmp_gt_i32_e64 s7, 0, v40
	v_cmp_gt_i32_e64 s8, 0, v41
	v_not_b32_e32 v40, v41
	v_not_b32_e32 v41, v42
	v_dual_ashrrev_i32 v38, 31, v38 :: v_dual_ashrrev_i32 v39, 31, v39
	v_xor_b32_e32 v9, s4, v9
	v_xor_b32_e32 v36, s5, v36
	v_bitop3_b32 v2, v2, v3, exec_lo bitop3:0x80
	v_cmp_gt_i32_e64 s9, 0, v42
	v_dual_ashrrev_i32 v3, 31, v40 :: v_dual_ashrrev_i32 v40, 31, v41
	v_xor_b32_e32 v38, s6, v38
	v_xor_b32_e32 v39, s7, v39
	v_bitop3_b32 v2, v2, v36, v9 bitop3:0x80
	v_mad_u32_u24 v9, 0x44, v4, v8
	v_xor_b32_e32 v3, s8, v3
	v_xor_b32_e32 v36, s9, v40
	s_delay_alu instid0(VALU_DEP_4) | instskip(SKIP_3) | instid1(VALU_DEP_2)
	v_bitop3_b32 v2, v2, v39, v38 bitop3:0x80
	ds_load_b32 v38, v9 offset:64
	; wave barrier
	v_bitop3_b32 v2, v2, v36, v3 bitop3:0x80
	v_mul_u32_u24_e32 v3, 0x44, v4
	v_mbcnt_lo_u32_b32 v39, v2, 0
	v_cmp_ne_u32_e64 s3, 0, v2
	s_delay_alu instid0(VALU_DEP_3) | instskip(NEXT) | instid1(VALU_DEP_3)
	v_add_nc_u32_e32 v42, v8, v3
	v_cmp_eq_u32_e32 vcc_lo, 0, v39
	s_and_b32 s4, s3, vcc_lo
	s_delay_alu instid0(SALU_CYCLE_1)
	s_and_saveexec_b32 s3, s4
	s_cbranch_execz .LBB602_43
; %bb.42:
	s_wait_dscnt 0x0
	v_bcnt_u32_b32 v2, v2, v38
	ds_store_b32 v42, v2 offset:64
.LBB602_43:
	s_or_b32 exec_lo, exec_lo, s3
	v_lshrrev_b32_e32 v2, 16, v5
	; wave barrier
	s_delay_alu instid0(VALU_DEP_1) | instskip(NEXT) | instid1(VALU_DEP_1)
	v_xor_b32_e32 v36, 0x7fff, v2
	v_and_b32_e32 v2, 0xffff, v36
	s_delay_alu instid0(VALU_DEP_1) | instskip(NEXT) | instid1(VALU_DEP_1)
	v_lshrrev_b32_e32 v2, s20, v2
	v_and_b32_e32 v4, s29, v2
	s_delay_alu instid0(VALU_DEP_1) | instskip(SKIP_2) | instid1(VALU_DEP_3)
	v_lshlrev_b32_e32 v9, 29, v4
	v_bitop3_b32 v3, v2, 1, s29 bitop3:0x80
	v_lshlrev_b32_e32 v5, 30, v4
	v_cmp_gt_i32_e64 s4, 0, v9
	s_delay_alu instid0(VALU_DEP_3) | instskip(NEXT) | instid1(VALU_DEP_1)
	v_add_co_u32 v2, s3, v3, -1
	v_cndmask_b32_e64 v3, 0, 1, s3
	s_delay_alu instid0(VALU_DEP_4) | instskip(NEXT) | instid1(VALU_DEP_2)
	v_cmp_gt_i32_e64 s3, 0, v5
	v_cmp_ne_u32_e32 vcc_lo, 0, v3
	v_not_b32_e32 v3, v5
	v_not_b32_e32 v5, v9
	s_delay_alu instid0(VALU_DEP_2) | instskip(SKIP_3) | instid1(VALU_DEP_3)
	v_dual_ashrrev_i32 v3, 31, v3 :: v_dual_bitop2_b32 v2, vcc_lo, v2 bitop3:0x14
	v_dual_lshlrev_b32 v40, 28, v4 :: v_dual_lshlrev_b32 v41, 27, v4
	v_dual_lshlrev_b32 v43, 26, v4 :: v_dual_lshlrev_b32 v44, 25, v4
	v_lshlrev_b32_e32 v45, 24, v4
	v_not_b32_e32 v9, v40
	v_cmp_gt_i32_e64 s5, 0, v40
	v_cmp_gt_i32_e64 s6, 0, v41
	v_not_b32_e32 v40, v41
	v_not_b32_e32 v41, v43
	v_dual_ashrrev_i32 v5, 31, v5 :: v_dual_bitop2_b32 v3, s3, v3 bitop3:0x14
	s_delay_alu instid0(VALU_DEP_3)
	v_dual_ashrrev_i32 v9, 31, v9 :: v_dual_ashrrev_i32 v40, 31, v40
	v_cmp_gt_i32_e64 s7, 0, v43
	v_cmp_gt_i32_e64 s8, 0, v44
	v_not_b32_e32 v43, v44
	v_not_b32_e32 v44, v45
	v_ashrrev_i32_e32 v41, 31, v41
	v_xor_b32_e32 v5, s4, v5
	v_xor_b32_e32 v9, s5, v9
	v_bitop3_b32 v2, v2, v3, exec_lo bitop3:0x80
	v_cmp_gt_i32_e64 s9, 0, v45
	v_dual_ashrrev_i32 v3, 31, v43 :: v_dual_ashrrev_i32 v43, 31, v44
	v_xor_b32_e32 v40, s6, v40
	v_xor_b32_e32 v41, s7, v41
	v_bitop3_b32 v2, v2, v9, v5 bitop3:0x80
	v_mad_u32_u24 v5, 0x44, v4, v8
	v_xor_b32_e32 v3, s8, v3
	v_xor_b32_e32 v9, s9, v43
	s_delay_alu instid0(VALU_DEP_4) | instskip(SKIP_3) | instid1(VALU_DEP_2)
	v_bitop3_b32 v2, v2, v41, v40 bitop3:0x80
	ds_load_b32 v41, v5 offset:64
	; wave barrier
	v_bitop3_b32 v2, v2, v9, v3 bitop3:0x80
	v_mul_u32_u24_e32 v3, 0x44, v4
	v_mbcnt_lo_u32_b32 v43, v2, 0
	v_cmp_ne_u32_e64 s3, 0, v2
	s_delay_alu instid0(VALU_DEP_3) | instskip(NEXT) | instid1(VALU_DEP_3)
	v_add_nc_u32_e32 v47, v8, v3
	v_cmp_eq_u32_e32 vcc_lo, 0, v43
	s_and_b32 s4, s3, vcc_lo
	s_delay_alu instid0(SALU_CYCLE_1)
	s_and_saveexec_b32 s3, s4
	s_cbranch_execz .LBB602_45
; %bb.44:
	s_wait_dscnt 0x0
	v_bcnt_u32_b32 v2, v2, v41
	ds_store_b32 v47, v2 offset:64
.LBB602_45:
	s_or_b32 exec_lo, exec_lo, s3
	v_xor_b32_e32 v40, 0x7fff, v6
	; wave barrier
	s_delay_alu instid0(VALU_DEP_1) | instskip(NEXT) | instid1(VALU_DEP_1)
	v_and_b32_e32 v2, 0xffff, v40
	v_lshrrev_b32_e32 v2, s20, v2
	s_delay_alu instid0(VALU_DEP_1) | instskip(NEXT) | instid1(VALU_DEP_1)
	v_and_b32_e32 v4, s29, v2
	v_lshlrev_b32_e32 v5, 30, v4
	v_bitop3_b32 v3, v2, 1, s29 bitop3:0x80
	s_delay_alu instid0(VALU_DEP_1) | instskip(NEXT) | instid1(VALU_DEP_1)
	v_add_co_u32 v2, s3, v3, -1
	v_cndmask_b32_e64 v3, 0, 1, s3
	s_delay_alu instid0(VALU_DEP_4) | instskip(NEXT) | instid1(VALU_DEP_2)
	v_cmp_gt_i32_e64 s3, 0, v5
	v_cmp_ne_u32_e32 vcc_lo, 0, v3
	v_not_b32_e32 v3, v5
	s_delay_alu instid0(VALU_DEP_1) | instskip(SKIP_3) | instid1(VALU_DEP_4)
	v_dual_ashrrev_i32 v3, 31, v3 :: v_dual_lshlrev_b32 v9, 29, v4
	v_dual_lshlrev_b32 v44, 28, v4 :: v_dual_lshlrev_b32 v45, 27, v4
	v_dual_lshlrev_b32 v46, 26, v4 :: v_dual_lshlrev_b32 v48, 25, v4
	v_lshlrev_b32_e32 v49, 24, v4
	v_cmp_gt_i32_e64 s4, 0, v9
	v_not_b32_e32 v5, v9
	v_not_b32_e32 v9, v44
	v_cmp_gt_i32_e64 s5, 0, v44
	v_cmp_gt_i32_e64 s6, 0, v45
	v_not_b32_e32 v44, v45
	v_not_b32_e32 v45, v46
	v_dual_ashrrev_i32 v5, 31, v5 :: v_dual_bitop2_b32 v2, vcc_lo, v2 bitop3:0x14
	v_dual_ashrrev_i32 v9, 31, v9 :: v_dual_bitop2_b32 v3, s3, v3 bitop3:0x14
	v_cmp_gt_i32_e64 s7, 0, v46
	v_cmp_gt_i32_e64 s8, 0, v48
	v_not_b32_e32 v46, v48
	v_not_b32_e32 v48, v49
	v_dual_ashrrev_i32 v44, 31, v44 :: v_dual_ashrrev_i32 v45, 31, v45
	v_xor_b32_e32 v5, s4, v5
	v_xor_b32_e32 v9, s5, v9
	v_bitop3_b32 v2, v2, v3, exec_lo bitop3:0x80
	v_cmp_gt_i32_e64 s9, 0, v49
	v_dual_ashrrev_i32 v3, 31, v46 :: v_dual_ashrrev_i32 v46, 31, v48
	v_xor_b32_e32 v44, s6, v44
	v_xor_b32_e32 v45, s7, v45
	v_bitop3_b32 v2, v2, v9, v5 bitop3:0x80
	v_mad_u32_u24 v5, 0x44, v4, v8
	v_xor_b32_e32 v3, s8, v3
	v_xor_b32_e32 v9, s9, v46
	s_delay_alu instid0(VALU_DEP_4) | instskip(SKIP_3) | instid1(VALU_DEP_2)
	v_bitop3_b32 v2, v2, v45, v44 bitop3:0x80
	ds_load_b32 v44, v5 offset:64
	; wave barrier
	v_bitop3_b32 v2, v2, v9, v3 bitop3:0x80
	v_mul_u32_u24_e32 v3, 0x44, v4
	v_mbcnt_lo_u32_b32 v46, v2, 0
	v_cmp_ne_u32_e64 s3, 0, v2
	s_delay_alu instid0(VALU_DEP_3) | instskip(NEXT) | instid1(VALU_DEP_3)
	v_add_nc_u32_e32 v51, v8, v3
	v_cmp_eq_u32_e32 vcc_lo, 0, v46
	s_and_b32 s4, s3, vcc_lo
	s_delay_alu instid0(SALU_CYCLE_1)
	s_and_saveexec_b32 s3, s4
	s_cbranch_execz .LBB602_47
; %bb.46:
	s_wait_dscnt 0x0
	v_bcnt_u32_b32 v2, v2, v44
	ds_store_b32 v51, v2 offset:64
.LBB602_47:
	s_or_b32 exec_lo, exec_lo, s3
	v_lshrrev_b32_e32 v2, 16, v6
	; wave barrier
	s_delay_alu instid0(VALU_DEP_1) | instskip(NEXT) | instid1(VALU_DEP_1)
	v_xor_b32_e32 v45, 0x7fff, v2
	v_and_b32_e32 v2, 0xffff, v45
	s_delay_alu instid0(VALU_DEP_1) | instskip(NEXT) | instid1(VALU_DEP_1)
	v_lshrrev_b32_e32 v2, s20, v2
	v_and_b32_e32 v4, s29, v2
	s_delay_alu instid0(VALU_DEP_1) | instskip(SKIP_2) | instid1(VALU_DEP_3)
	v_lshlrev_b32_e32 v6, 29, v4
	v_bitop3_b32 v3, v2, 1, s29 bitop3:0x80
	v_lshlrev_b32_e32 v5, 30, v4
	v_cmp_gt_i32_e64 s4, 0, v6
	s_delay_alu instid0(VALU_DEP_3) | instskip(NEXT) | instid1(VALU_DEP_1)
	v_add_co_u32 v2, s3, v3, -1
	v_cndmask_b32_e64 v3, 0, 1, s3
	s_delay_alu instid0(VALU_DEP_4) | instskip(NEXT) | instid1(VALU_DEP_2)
	v_cmp_gt_i32_e64 s3, 0, v5
	v_cmp_ne_u32_e32 vcc_lo, 0, v3
	v_not_b32_e32 v3, v5
	v_not_b32_e32 v5, v6
	s_delay_alu instid0(VALU_DEP_2) | instskip(SKIP_3) | instid1(VALU_DEP_3)
	v_dual_ashrrev_i32 v3, 31, v3 :: v_dual_bitop2_b32 v2, vcc_lo, v2 bitop3:0x14
	v_dual_lshlrev_b32 v9, 28, v4 :: v_dual_lshlrev_b32 v48, 27, v4
	v_dual_lshlrev_b32 v49, 26, v4 :: v_dual_lshlrev_b32 v50, 25, v4
	v_lshlrev_b32_e32 v52, 24, v4
	v_not_b32_e32 v6, v9
	v_cmp_gt_i32_e64 s5, 0, v9
	v_cmp_gt_i32_e64 s6, 0, v48
	v_not_b32_e32 v9, v48
	v_not_b32_e32 v48, v49
	v_dual_ashrrev_i32 v5, 31, v5 :: v_dual_ashrrev_i32 v6, 31, v6
	s_delay_alu instid0(VALU_DEP_3)
	v_dual_ashrrev_i32 v9, 31, v9 :: v_dual_bitop2_b32 v3, s3, v3 bitop3:0x14
	v_cmp_gt_i32_e64 s7, 0, v49
	v_cmp_gt_i32_e64 s8, 0, v50
	v_not_b32_e32 v49, v50
	v_not_b32_e32 v50, v52
	v_dual_ashrrev_i32 v48, 31, v48 :: v_dual_bitop2_b32 v5, s4, v5 bitop3:0x14
	v_xor_b32_e32 v6, s5, v6
	v_bitop3_b32 v2, v2, v3, exec_lo bitop3:0x80
	v_cmp_gt_i32_e64 s9, 0, v52
	v_dual_ashrrev_i32 v3, 31, v49 :: v_dual_ashrrev_i32 v49, 31, v50
	v_xor_b32_e32 v9, s6, v9
	v_xor_b32_e32 v48, s7, v48
	v_bitop3_b32 v2, v2, v6, v5 bitop3:0x80
	v_mad_u32_u24 v5, 0x44, v4, v8
	v_xor_b32_e32 v3, s8, v3
	v_xor_b32_e32 v6, s9, v49
	s_delay_alu instid0(VALU_DEP_4) | instskip(SKIP_3) | instid1(VALU_DEP_2)
	v_bitop3_b32 v2, v2, v48, v9 bitop3:0x80
	ds_load_b32 v48, v5 offset:64
	; wave barrier
	v_bitop3_b32 v2, v2, v6, v3 bitop3:0x80
	v_mul_u32_u24_e32 v3, 0x44, v4
	v_mbcnt_lo_u32_b32 v50, v2, 0
	v_cmp_ne_u32_e64 s3, 0, v2
	s_delay_alu instid0(VALU_DEP_3) | instskip(NEXT) | instid1(VALU_DEP_3)
	v_add_nc_u32_e32 v55, v8, v3
	v_cmp_eq_u32_e32 vcc_lo, 0, v50
	s_and_b32 s4, s3, vcc_lo
	s_delay_alu instid0(SALU_CYCLE_1)
	s_and_saveexec_b32 s3, s4
	s_cbranch_execz .LBB602_49
; %bb.48:
	s_wait_dscnt 0x0
	v_bcnt_u32_b32 v2, v2, v48
	ds_store_b32 v55, v2 offset:64
.LBB602_49:
	s_or_b32 exec_lo, exec_lo, s3
	v_xor_b32_e32 v49, 0x7fff, v7
	; wave barrier
	s_delay_alu instid0(VALU_DEP_1) | instskip(NEXT) | instid1(VALU_DEP_1)
	v_and_b32_e32 v2, 0xffff, v49
	v_lshrrev_b32_e32 v2, s20, v2
	s_delay_alu instid0(VALU_DEP_1) | instskip(NEXT) | instid1(VALU_DEP_1)
	v_and_b32_e32 v4, s29, v2
	v_lshlrev_b32_e32 v5, 30, v4
	v_bitop3_b32 v3, v2, 1, s29 bitop3:0x80
	s_delay_alu instid0(VALU_DEP_1) | instskip(NEXT) | instid1(VALU_DEP_1)
	v_add_co_u32 v2, s3, v3, -1
	v_cndmask_b32_e64 v3, 0, 1, s3
	s_delay_alu instid0(VALU_DEP_4) | instskip(NEXT) | instid1(VALU_DEP_2)
	v_cmp_gt_i32_e64 s3, 0, v5
	v_cmp_ne_u32_e32 vcc_lo, 0, v3
	v_not_b32_e32 v3, v5
	s_delay_alu instid0(VALU_DEP_1) | instskip(SKIP_3) | instid1(VALU_DEP_4)
	v_dual_ashrrev_i32 v3, 31, v3 :: v_dual_lshlrev_b32 v6, 29, v4
	v_dual_lshlrev_b32 v9, 28, v4 :: v_dual_lshlrev_b32 v52, 27, v4
	v_dual_lshlrev_b32 v53, 26, v4 :: v_dual_lshlrev_b32 v54, 25, v4
	v_lshlrev_b32_e32 v56, 24, v4
	v_cmp_gt_i32_e64 s4, 0, v6
	v_not_b32_e32 v5, v6
	v_not_b32_e32 v6, v9
	v_cmp_gt_i32_e64 s5, 0, v9
	v_cmp_gt_i32_e64 s6, 0, v52
	v_not_b32_e32 v9, v52
	v_not_b32_e32 v52, v53
	v_dual_ashrrev_i32 v5, 31, v5 :: v_dual_bitop2_b32 v2, vcc_lo, v2 bitop3:0x14
	v_dual_ashrrev_i32 v6, 31, v6 :: v_dual_bitop2_b32 v3, s3, v3 bitop3:0x14
	v_cmp_gt_i32_e64 s7, 0, v53
	v_cmp_gt_i32_e64 s8, 0, v54
	v_not_b32_e32 v53, v54
	v_not_b32_e32 v54, v56
	v_dual_ashrrev_i32 v9, 31, v9 :: v_dual_ashrrev_i32 v52, 31, v52
	v_xor_b32_e32 v5, s4, v5
	v_xor_b32_e32 v6, s5, v6
	v_bitop3_b32 v2, v2, v3, exec_lo bitop3:0x80
	v_cmp_gt_i32_e64 s9, 0, v56
	v_dual_ashrrev_i32 v3, 31, v53 :: v_dual_ashrrev_i32 v53, 31, v54
	v_xor_b32_e32 v9, s6, v9
	v_xor_b32_e32 v52, s7, v52
	v_bitop3_b32 v2, v2, v6, v5 bitop3:0x80
	v_mad_u32_u24 v5, 0x44, v4, v8
	v_xor_b32_e32 v3, s8, v3
	v_xor_b32_e32 v6, s9, v53
	s_delay_alu instid0(VALU_DEP_4) | instskip(SKIP_3) | instid1(VALU_DEP_2)
	v_bitop3_b32 v2, v2, v52, v9 bitop3:0x80
	ds_load_b32 v52, v5 offset:64
	; wave barrier
	v_bitop3_b32 v2, v2, v6, v3 bitop3:0x80
	v_mul_u32_u24_e32 v3, 0x44, v4
	v_mbcnt_lo_u32_b32 v53, v2, 0
	v_cmp_ne_u32_e64 s3, 0, v2
	s_delay_alu instid0(VALU_DEP_3) | instskip(NEXT) | instid1(VALU_DEP_3)
	v_add_nc_u32_e32 v58, v8, v3
	v_cmp_eq_u32_e32 vcc_lo, 0, v53
	s_and_b32 s4, s3, vcc_lo
	s_delay_alu instid0(SALU_CYCLE_1)
	s_and_saveexec_b32 s3, s4
	s_cbranch_execz .LBB602_51
; %bb.50:
	s_wait_dscnt 0x0
	v_bcnt_u32_b32 v2, v2, v52
	ds_store_b32 v58, v2 offset:64
.LBB602_51:
	s_or_b32 exec_lo, exec_lo, s3
	v_lshrrev_b32_e32 v2, 16, v7
	; wave barrier
	s_delay_alu instid0(VALU_DEP_1) | instskip(NEXT) | instid1(VALU_DEP_1)
	v_xor_b32_e32 v54, 0x7fff, v2
	v_and_b32_e32 v2, 0xffff, v54
	s_delay_alu instid0(VALU_DEP_1) | instskip(NEXT) | instid1(VALU_DEP_1)
	v_lshrrev_b32_e32 v2, s20, v2
	v_and_b32_e32 v4, s29, v2
	s_delay_alu instid0(VALU_DEP_1) | instskip(SKIP_2) | instid1(VALU_DEP_3)
	v_lshlrev_b32_e32 v6, 29, v4
	v_bitop3_b32 v3, v2, 1, s29 bitop3:0x80
	v_lshlrev_b32_e32 v5, 30, v4
	v_cmp_gt_i32_e64 s4, 0, v6
	s_delay_alu instid0(VALU_DEP_3) | instskip(NEXT) | instid1(VALU_DEP_1)
	v_add_co_u32 v2, s3, v3, -1
	v_cndmask_b32_e64 v3, 0, 1, s3
	s_delay_alu instid0(VALU_DEP_4) | instskip(NEXT) | instid1(VALU_DEP_2)
	v_cmp_gt_i32_e64 s3, 0, v5
	v_cmp_ne_u32_e32 vcc_lo, 0, v3
	v_not_b32_e32 v3, v5
	v_not_b32_e32 v5, v6
	s_delay_alu instid0(VALU_DEP_2) | instskip(SKIP_3) | instid1(VALU_DEP_3)
	v_dual_ashrrev_i32 v3, 31, v3 :: v_dual_bitop2_b32 v2, vcc_lo, v2 bitop3:0x14
	v_dual_lshlrev_b32 v7, 28, v4 :: v_dual_lshlrev_b32 v9, 27, v4
	v_dual_lshlrev_b32 v56, 26, v4 :: v_dual_lshlrev_b32 v57, 25, v4
	v_lshlrev_b32_e32 v59, 24, v4
	v_not_b32_e32 v6, v7
	v_cmp_gt_i32_e64 s5, 0, v7
	v_cmp_gt_i32_e64 s6, 0, v9
	v_not_b32_e32 v7, v9
	v_not_b32_e32 v9, v56
	v_dual_ashrrev_i32 v5, 31, v5 :: v_dual_ashrrev_i32 v6, 31, v6
	v_xor_b32_e32 v3, s3, v3
	v_cmp_gt_i32_e64 s7, 0, v56
	v_cmp_gt_i32_e64 s8, 0, v57
	v_not_b32_e32 v56, v57
	v_not_b32_e32 v57, v59
	v_dual_ashrrev_i32 v7, 31, v7 :: v_dual_bitop2_b32 v5, s4, v5 bitop3:0x14
	v_dual_ashrrev_i32 v9, 31, v9 :: v_dual_bitop2_b32 v6, s5, v6 bitop3:0x14
	v_bitop3_b32 v2, v2, v3, exec_lo bitop3:0x80
	v_cmp_gt_i32_e64 s9, 0, v59
	v_dual_ashrrev_i32 v3, 31, v56 :: v_dual_ashrrev_i32 v56, 31, v57
	v_xor_b32_e32 v7, s6, v7
	v_xor_b32_e32 v9, s7, v9
	v_bitop3_b32 v2, v2, v6, v5 bitop3:0x80
	v_mad_u32_u24 v5, 0x44, v4, v8
	v_xor_b32_e32 v3, s8, v3
	v_xor_b32_e32 v6, s9, v56
	s_delay_alu instid0(VALU_DEP_4) | instskip(SKIP_3) | instid1(VALU_DEP_2)
	v_bitop3_b32 v2, v2, v9, v7 bitop3:0x80
	ds_load_b32 v56, v5 offset:64
	; wave barrier
	v_bitop3_b32 v2, v2, v6, v3 bitop3:0x80
	v_mul_u32_u24_e32 v3, 0x44, v4
	v_mbcnt_lo_u32_b32 v57, v2, 0
	v_cmp_ne_u32_e64 s3, 0, v2
	s_delay_alu instid0(VALU_DEP_3) | instskip(NEXT) | instid1(VALU_DEP_3)
	v_add_nc_u32_e32 v59, v8, v3
	v_cmp_eq_u32_e32 vcc_lo, 0, v57
	s_and_b32 s4, s3, vcc_lo
	s_delay_alu instid0(SALU_CYCLE_1)
	s_and_saveexec_b32 s3, s4
	s_cbranch_execz .LBB602_53
; %bb.52:
	s_wait_dscnt 0x0
	v_bcnt_u32_b32 v2, v2, v56
	ds_store_b32 v59, v2 offset:64
.LBB602_53:
	s_or_b32 exec_lo, exec_lo, s3
	; wave barrier
	s_wait_dscnt 0x0
	s_barrier_signal -1
	s_barrier_wait -1
	ds_load_2addr_b32 v[8:9], v12 offset0:16 offset1:17
	ds_load_2addr_b32 v[6:7], v12 offset0:18 offset1:19
	;; [unrolled: 1-line block ×4, first 2 shown]
	ds_load_b32 v60, v12 offset:96
	s_mov_b32 s7, exec_lo
	s_wait_dscnt 0x3
	v_add3_u32 v61, v9, v8, v6
	s_wait_dscnt 0x2
	s_delay_alu instid0(VALU_DEP_1) | instskip(SKIP_1) | instid1(VALU_DEP_1)
	v_add3_u32 v61, v61, v7, v4
	s_wait_dscnt 0x1
	v_add3_u32 v61, v61, v5, v2
	s_wait_dscnt 0x0
	s_delay_alu instid0(VALU_DEP_1) | instskip(SKIP_1) | instid1(VALU_DEP_2)
	v_add3_u32 v60, v61, v3, v60
	v_and_b32_e32 v61, 15, v15
	v_mov_b32_dpp v62, v60 row_shr:1 row_mask:0xf bank_mask:0xf
	s_delay_alu instid0(VALU_DEP_2) | instskip(NEXT) | instid1(VALU_DEP_2)
	v_cmp_eq_u32_e32 vcc_lo, 0, v61
	v_cndmask_b32_e64 v62, v62, 0, vcc_lo
	s_delay_alu instid0(VALU_DEP_1) | instskip(SKIP_3) | instid1(VALU_DEP_4)
	v_add_nc_u32_e32 v60, v62, v60
	v_cmp_lt_u32_e64 s3, 1, v61
	v_cmp_lt_u32_e64 s4, 3, v61
	v_cmp_lt_u32_e64 s5, 7, v61
	v_mov_b32_dpp v62, v60 row_shr:2 row_mask:0xf bank_mask:0xf
	s_delay_alu instid0(VALU_DEP_1) | instskip(NEXT) | instid1(VALU_DEP_1)
	v_cndmask_b32_e64 v62, 0, v62, s3
	v_add_nc_u32_e32 v60, v60, v62
	s_delay_alu instid0(VALU_DEP_1) | instskip(NEXT) | instid1(VALU_DEP_1)
	v_mov_b32_dpp v62, v60 row_shr:4 row_mask:0xf bank_mask:0xf
	v_cndmask_b32_e64 v62, 0, v62, s4
	s_delay_alu instid0(VALU_DEP_1) | instskip(NEXT) | instid1(VALU_DEP_1)
	v_add_nc_u32_e32 v60, v60, v62
	v_mov_b32_dpp v62, v60 row_shr:8 row_mask:0xf bank_mask:0xf
	s_delay_alu instid0(VALU_DEP_1) | instskip(SKIP_1) | instid1(VALU_DEP_2)
	v_cndmask_b32_e64 v61, 0, v62, s5
	v_bfe_i32 v62, v15, 4, 1
	v_add_nc_u32_e32 v60, v60, v61
	ds_swizzle_b32 v61, v60 offset:swizzle(BROADCAST,32,15)
	s_wait_dscnt 0x0
	v_and_b32_e32 v61, v62, v61
	v_min_u32_e32 v62, 0x1e0, v16
	s_delay_alu instid0(VALU_DEP_2) | instskip(NEXT) | instid1(VALU_DEP_2)
	v_dual_add_nc_u32 v60, v60, v61 :: v_dual_lshrrev_b32 v61, 5, v14
	v_or_b32_e32 v62, 31, v62
	s_delay_alu instid0(VALU_DEP_1)
	v_cmpx_eq_u32_e64 v14, v62
; %bb.54:
	s_delay_alu instid0(VALU_DEP_3)
	v_lshlrev_b32_e32 v62, 2, v61
	ds_store_b32 v62, v60
; %bb.55:
	s_or_b32 exec_lo, exec_lo, s7
	s_delay_alu instid0(SALU_CYCLE_1)
	s_mov_b32 s7, exec_lo
	s_wait_dscnt 0x0
	s_barrier_signal -1
	s_barrier_wait -1
	v_cmpx_gt_u32_e32 16, v14
	s_cbranch_execz .LBB602_57
; %bb.56:
	v_lshlrev_b32_e32 v62, 2, v14
	ds_load_b32 v63, v62
	s_wait_dscnt 0x0
	v_mov_b32_dpp v64, v63 row_shr:1 row_mask:0xf bank_mask:0xf
	s_delay_alu instid0(VALU_DEP_1) | instskip(NEXT) | instid1(VALU_DEP_1)
	v_cndmask_b32_e64 v64, v64, 0, vcc_lo
	v_add_nc_u32_e32 v63, v64, v63
	s_delay_alu instid0(VALU_DEP_1) | instskip(NEXT) | instid1(VALU_DEP_1)
	v_mov_b32_dpp v64, v63 row_shr:2 row_mask:0xf bank_mask:0xf
	v_cndmask_b32_e64 v64, 0, v64, s3
	s_delay_alu instid0(VALU_DEP_1) | instskip(NEXT) | instid1(VALU_DEP_1)
	v_add_nc_u32_e32 v63, v63, v64
	v_mov_b32_dpp v64, v63 row_shr:4 row_mask:0xf bank_mask:0xf
	s_delay_alu instid0(VALU_DEP_1) | instskip(NEXT) | instid1(VALU_DEP_1)
	v_cndmask_b32_e64 v64, 0, v64, s4
	v_add_nc_u32_e32 v63, v63, v64
	s_delay_alu instid0(VALU_DEP_1) | instskip(NEXT) | instid1(VALU_DEP_1)
	v_mov_b32_dpp v64, v63 row_shr:8 row_mask:0xf bank_mask:0xf
	v_cndmask_b32_e64 v64, 0, v64, s5
	s_delay_alu instid0(VALU_DEP_1)
	v_add_nc_u32_e32 v63, v63, v64
	ds_store_b32 v62, v63
.LBB602_57:
	s_or_b32 exec_lo, exec_lo, s7
	v_mov_b32_e32 v62, 0
	s_mov_b32 s3, exec_lo
	s_wait_dscnt 0x0
	s_barrier_signal -1
	s_barrier_wait -1
	v_cmpx_lt_u32_e32 31, v14
; %bb.58:
	v_lshl_add_u32 v61, v61, 2, -4
	ds_load_b32 v62, v61
; %bb.59:
	s_or_b32 exec_lo, exec_lo, s3
	v_sub_co_u32 v61, vcc_lo, v15, 1
	s_wait_dscnt 0x0
	v_add_nc_u32_e32 v60, v62, v60
	s_delay_alu instid0(VALU_DEP_2) | instskip(NEXT) | instid1(VALU_DEP_1)
	v_cmp_gt_i32_e64 s3, 0, v61
	v_cndmask_b32_e64 v61, v61, v15, s3
	v_cmp_gt_u32_e64 s3, 0x100, v14
	s_delay_alu instid0(VALU_DEP_2) | instskip(SKIP_4) | instid1(VALU_DEP_2)
	v_lshlrev_b32_e32 v61, 2, v61
	ds_bpermute_b32 v60, v61, v60
	s_wait_dscnt 0x0
	v_cndmask_b32_e32 v60, v60, v62, vcc_lo
	v_cmp_lt_u32_e32 vcc_lo, 0xff, v14
	v_cndmask_b32_e64 v60, v60, 0, s2
	s_delay_alu instid0(VALU_DEP_1) | instskip(NEXT) | instid1(VALU_DEP_1)
	v_add_nc_u32_e32 v8, v60, v8
	v_add_nc_u32_e32 v9, v8, v9
	s_delay_alu instid0(VALU_DEP_1) | instskip(NEXT) | instid1(VALU_DEP_1)
	v_add_nc_u32_e32 v6, v9, v6
	v_add_nc_u32_e32 v7, v6, v7
	;; [unrolled: 3-line block ×4, first 2 shown]
	ds_store_2addr_b32 v12, v60, v8 offset0:16 offset1:17
	ds_store_2addr_b32 v12, v9, v6 offset0:18 offset1:19
	;; [unrolled: 1-line block ×4, first 2 shown]
	ds_store_b32 v12, v3 offset:96
	s_wait_dscnt 0x0
	s_barrier_signal -1
	s_barrier_wait -1
	ds_load_b32 v61, v13 offset:64
	ds_load_b32 v62, v20 offset:64
	;; [unrolled: 1-line block ×12, first 2 shown]
	v_mov_b64_e32 v[2:3], 0
                                        ; implicit-def: $vgpr4
	s_and_saveexec_b32 s5, s3
	s_cbranch_execz .LBB602_63
; %bb.60:
	v_mul_u32_u24_e32 v2, 0x44, v14
	v_dual_mov_b32 v3, 0x1800 :: v_dual_add_nc_u32 v4, 1, v14
	s_mov_b32 s6, exec_lo
	ds_load_b32 v2, v2 offset:64
	v_cmpx_ne_u32_e32 0x100, v4
; %bb.61:
	v_mul_u32_u24_e32 v3, 0x44, v4
	ds_load_b32 v3, v3 offset:64
; %bb.62:
	s_or_b32 exec_lo, exec_lo, s6
	s_wait_dscnt 0x0
	v_dual_mov_b32 v3, 0 :: v_dual_sub_nc_u32 v4, v3, v2
.LBB602_63:
	s_or_b32 exec_lo, exec_lo, s5
	v_dual_lshlrev_b32 v10, 1, v10 :: v_dual_lshlrev_b32 v19, 1, v19
	s_wait_dscnt 0xa
	v_lshlrev_b32_e32 v28, 1, v62
	v_dual_lshlrev_b32 v18, 1, v18 :: v_dual_lshlrev_b32 v23, 1, v23
	s_delay_alu instid0(VALU_DEP_3) | instskip(SKIP_2) | instid1(VALU_DEP_3)
	v_lshl_add_u32 v10, v61, 1, v10
	v_lshlrev_b32_e32 v22, 1, v22
	s_wait_dscnt 0x0
	v_add3_u32 v18, v28, v19, v18
	v_lshlrev_b32_e32 v19, 1, v60
	s_barrier_signal -1
	s_barrier_wait -1
	ds_store_b16 v10, v1 offset:2048
	ds_store_b16 v18, v11 offset:2048
	v_lshlrev_b32_e32 v10, 1, v24
	v_add3_u32 v1, v19, v23, v22
	v_dual_lshlrev_b32 v11, 1, v27 :: v_dual_lshlrev_b32 v18, 1, v26
	v_dual_lshlrev_b32 v22, 1, v29 :: v_dual_lshlrev_b32 v23, 1, v34
	v_dual_lshlrev_b32 v13, 1, v13 :: v_dual_lshlrev_b32 v12, 1, v12
	v_dual_lshlrev_b32 v24, 1, v33 :: v_dual_lshlrev_b32 v26, 1, v39
	v_dual_lshlrev_b32 v19, 1, v20 :: v_dual_lshlrev_b32 v20, 1, v31
	v_dual_lshlrev_b32 v27, 1, v38 :: v_dual_lshlrev_b32 v9, 1, v9
	ds_store_b16 v1, v17 offset:2048
	v_add3_u32 v1, v10, v11, v18
	v_add3_u32 v11, v13, v23, v24
	v_dual_lshlrev_b32 v13, 1, v43 :: v_dual_lshlrev_b32 v17, 1, v41
	v_add3_u32 v10, v19, v20, v22
	v_add3_u32 v12, v12, v26, v27
	ds_store_b16 v1, v21 offset:2048
	ds_store_b16 v10, v25 offset:2048
	;; [unrolled: 1-line block ×4, first 2 shown]
	v_add3_u32 v1, v9, v13, v17
	v_dual_lshlrev_b32 v8, 1, v8 :: v_dual_lshlrev_b32 v9, 1, v46
	v_dual_lshlrev_b32 v10, 1, v44 :: v_dual_lshlrev_b32 v7, 1, v7
	;; [unrolled: 1-line block ×6, first 2 shown]
	ds_store_b16 v1, v36 offset:2048
	v_add3_u32 v8, v8, v9, v10
	v_add3_u32 v9, v7, v11, v12
	v_dual_mov_b32 v7, 0 :: v_dual_lshlrev_b32 v1, 3, v14
	v_add3_u32 v6, v6, v13, v17
	v_add3_u32 v5, v5, v18, v19
	ds_store_b16 v8, v40 offset:2048
	ds_store_b16 v9, v45 offset:2048
	;; [unrolled: 1-line block ×4, first 2 shown]
	s_and_saveexec_b32 s4, s3
	s_cbranch_execz .LBB602_73
; %bb.64:
	v_lshl_add_u32 v6, s23, 8, v14
	v_dual_mov_b32 v10, 0 :: v_dual_bitop2_b32 v5, 2.0, v4 bitop3:0x54
	s_mov_b32 s5, 0
	s_mov_b32 s6, s23
	s_delay_alu instid0(VALU_DEP_2)
	v_lshl_add_u64 v[8:9], v[6:7], 2, s[10:11]
	global_store_b32 v6, v5, s[10:11] scale_offset scope:SCOPE_DEV
                                        ; implicit-def: $sgpr3
	s_branch .LBB602_67
.LBB602_65:                             ;   in Loop: Header=BB602_67 Depth=1
	s_or_b32 exec_lo, exec_lo, s8
.LBB602_66:                             ;   in Loop: Header=BB602_67 Depth=1
	s_delay_alu instid0(SALU_CYCLE_1) | instskip(SKIP_2) | instid1(VALU_DEP_2)
	s_or_b32 exec_lo, exec_lo, s7
	v_and_b32_e32 v6, 0x3fffffff, v5
	v_cmp_gt_i32_e64 s3, -2.0, v5
	v_add_nc_u32_e32 v10, v6, v10
	s_and_b32 s7, exec_lo, s3
	s_delay_alu instid0(SALU_CYCLE_1) | instskip(NEXT) | instid1(SALU_CYCLE_1)
	s_or_b32 s5, s7, s5
	s_and_not1_b32 exec_lo, exec_lo, s5
	s_cbranch_execz .LBB602_72
.LBB602_67:                             ; =>This Loop Header: Depth=1
                                        ;     Child Loop BB602_70 Depth 2
	s_or_b32 s3, s3, exec_lo
	s_cmp_eq_u32 s6, 0
	s_cbranch_scc1 .LBB602_71
; %bb.68:                               ;   in Loop: Header=BB602_67 Depth=1
	s_add_co_i32 s6, s6, -1
	s_mov_b32 s7, exec_lo
	s_wait_xcnt 0x0
	v_lshl_or_b32 v6, s6, 8, v14
	global_load_b32 v5, v6, s[10:11] scale_offset scope:SCOPE_DEV
	s_wait_loadcnt 0x0
	v_cmpx_gt_u32_e32 2.0, v5
	s_cbranch_execz .LBB602_66
; %bb.69:                               ;   in Loop: Header=BB602_67 Depth=1
	v_lshl_add_u64 v[12:13], v[6:7], 2, s[10:11]
	s_mov_b32 s8, 0
.LBB602_70:                             ;   Parent Loop BB602_67 Depth=1
                                        ; =>  This Inner Loop Header: Depth=2
	global_load_b32 v5, v[12:13], off scope:SCOPE_DEV
	s_wait_loadcnt 0x0
	v_cmp_lt_u32_e64 s3, 0x3fffffff, v5
	s_or_b32 s8, s3, s8
	s_wait_xcnt 0x0
	s_and_not1_b32 exec_lo, exec_lo, s8
	s_cbranch_execnz .LBB602_70
	s_branch .LBB602_65
.LBB602_71:                             ;   in Loop: Header=BB602_67 Depth=1
                                        ; implicit-def: $sgpr6
	s_and_b32 s7, exec_lo, s3
	s_delay_alu instid0(SALU_CYCLE_1)
	s_or_b32 s5, s7, s5
	s_wait_xcnt 0x0
	s_and_not1_b32 exec_lo, exec_lo, s5
	s_cbranch_execnz .LBB602_67
.LBB602_72:
	s_or_b32 exec_lo, exec_lo, s5
	v_dual_add_nc_u32 v5, v10, v4 :: v_dual_mov_b32 v11, 0
	s_delay_alu instid0(VALU_DEP_1)
	v_or_b32_e32 v5, 0x80000000, v5
	global_store_b32 v[8:9], v5, off scope:SCOPE_DEV
	global_load_b64 v[6:7], v14, s[12:13] scale_offset
	s_wait_xcnt 0x1
	v_sub_nc_u64_e32 v[8:9], v[10:11], v[2:3]
	s_wait_loadcnt 0x0
	s_delay_alu instid0(VALU_DEP_1)
	v_add_nc_u64_e32 v[6:7], v[8:9], v[6:7]
	ds_store_b64 v1, v[6:7]
.LBB602_73:
	s_wait_xcnt 0x0
	s_or_b32 exec_lo, exec_lo, s4
	v_mad_i32_i24 v5, v14, -6, v1
	s_mov_b32 s4, exec_lo
	s_wait_storecnt_dscnt 0x0
	s_barrier_signal -1
	s_barrier_wait -1
	v_cmpx_gt_u32_e64 s22, v14
	s_cbranch_execz .LBB602_75
; %bb.74:
	ds_load_u16 v10, v5 offset:2048
	v_dual_mov_b32 v9, 0 :: v_dual_lshlrev_b32 v8, 1, v14
	s_wait_dscnt 0x0
	v_and_b32_e32 v6, 0xffff, v10
	s_delay_alu instid0(VALU_DEP_1) | instskip(NEXT) | instid1(VALU_DEP_1)
	v_lshrrev_b32_e32 v6, s20, v6
	v_and_b32_e32 v6, s29, v6
	s_delay_alu instid0(VALU_DEP_1) | instskip(SKIP_3) | instid1(VALU_DEP_1)
	v_lshlrev_b32_e32 v6, 3, v6
	ds_load_b64 v[6:7], v6
	s_wait_dscnt 0x0
	v_lshl_add_u64 v[6:7], v[6:7], 1, s[18:19]
	v_add_nc_u64_e32 v[6:7], v[6:7], v[8:9]
	v_xor_b32_e32 v8, 0x7fff, v10
	global_store_b16 v[6:7], v8, off
.LBB602_75:
	s_wait_xcnt 0x0
	s_or_b32 exec_lo, exec_lo, s4
	v_add_nc_u32_e32 v6, 0x200, v14
	s_mov_b32 s4, exec_lo
	s_delay_alu instid0(VALU_DEP_1)
	v_cmpx_gt_u32_e64 s22, v6
	s_cbranch_execz .LBB602_77
; %bb.76:
	ds_load_u16 v10, v5 offset:3072
	v_dual_mov_b32 v9, 0 :: v_dual_lshlrev_b32 v8, 1, v14
	s_wait_dscnt 0x0
	v_and_b32_e32 v6, 0xffff, v10
	s_delay_alu instid0(VALU_DEP_1) | instskip(NEXT) | instid1(VALU_DEP_1)
	v_lshrrev_b32_e32 v6, s20, v6
	v_and_b32_e32 v6, s29, v6
	s_delay_alu instid0(VALU_DEP_1) | instskip(SKIP_3) | instid1(VALU_DEP_1)
	v_lshlrev_b32_e32 v6, 3, v6
	ds_load_b64 v[6:7], v6
	s_wait_dscnt 0x0
	v_lshl_add_u64 v[6:7], v[6:7], 1, s[18:19]
	v_add_nc_u64_e32 v[6:7], v[6:7], v[8:9]
	v_xor_b32_e32 v8, 0x7fff, v10
	global_store_b16 v[6:7], v8, off offset:1024
.LBB602_77:
	s_wait_xcnt 0x0
	s_or_b32 exec_lo, exec_lo, s4
	v_or_b32_e32 v6, 0x400, v14
	s_mov_b32 s4, exec_lo
	s_delay_alu instid0(VALU_DEP_1)
	v_cmpx_gt_u32_e64 s22, v6
	s_cbranch_execz .LBB602_79
; %bb.78:
	ds_load_u16 v10, v5 offset:4096
	v_dual_mov_b32 v9, 0 :: v_dual_lshlrev_b32 v8, 1, v14
	s_wait_dscnt 0x0
	v_and_b32_e32 v6, 0xffff, v10
	s_delay_alu instid0(VALU_DEP_1) | instskip(NEXT) | instid1(VALU_DEP_1)
	v_lshrrev_b32_e32 v6, s20, v6
	v_and_b32_e32 v6, s29, v6
	s_delay_alu instid0(VALU_DEP_1) | instskip(SKIP_3) | instid1(VALU_DEP_1)
	v_lshlrev_b32_e32 v6, 3, v6
	ds_load_b64 v[6:7], v6
	s_wait_dscnt 0x0
	v_lshl_add_u64 v[6:7], v[6:7], 1, s[18:19]
	v_add_nc_u64_e32 v[6:7], v[6:7], v[8:9]
	v_xor_b32_e32 v8, 0x7fff, v10
	global_store_b16 v[6:7], v8, off offset:2048
.LBB602_79:
	s_wait_xcnt 0x0
	s_or_b32 exec_lo, exec_lo, s4
	v_add_nc_u32_e32 v6, 0x600, v14
	s_mov_b32 s4, exec_lo
	s_delay_alu instid0(VALU_DEP_1)
	v_cmpx_gt_u32_e64 s22, v6
	s_cbranch_execz .LBB602_81
; %bb.80:
	ds_load_u16 v10, v5 offset:5120
	v_dual_mov_b32 v9, 0 :: v_dual_lshlrev_b32 v8, 1, v14
	s_wait_dscnt 0x0
	v_and_b32_e32 v6, 0xffff, v10
	s_delay_alu instid0(VALU_DEP_1) | instskip(NEXT) | instid1(VALU_DEP_1)
	v_lshrrev_b32_e32 v6, s20, v6
	v_and_b32_e32 v6, s29, v6
	s_delay_alu instid0(VALU_DEP_1) | instskip(SKIP_3) | instid1(VALU_DEP_1)
	v_lshlrev_b32_e32 v6, 3, v6
	ds_load_b64 v[6:7], v6
	s_wait_dscnt 0x0
	v_lshl_add_u64 v[6:7], v[6:7], 1, s[18:19]
	v_add_nc_u64_e32 v[6:7], v[6:7], v[8:9]
	v_xor_b32_e32 v8, 0x7fff, v10
	global_store_b16 v[6:7], v8, off offset:3072
.LBB602_81:
	s_wait_xcnt 0x0
	s_or_b32 exec_lo, exec_lo, s4
	v_or_b32_e32 v6, 0x800, v14
	s_mov_b32 s4, exec_lo
	s_delay_alu instid0(VALU_DEP_1)
	v_cmpx_gt_u32_e64 s22, v6
	s_cbranch_execz .LBB602_83
; %bb.82:
	ds_load_u16 v10, v5 offset:6144
	v_dual_mov_b32 v9, 0 :: v_dual_lshlrev_b32 v8, 1, v14
	s_wait_dscnt 0x0
	v_and_b32_e32 v6, 0xffff, v10
	s_delay_alu instid0(VALU_DEP_1) | instskip(NEXT) | instid1(VALU_DEP_1)
	v_lshrrev_b32_e32 v6, s20, v6
	v_and_b32_e32 v6, s29, v6
	s_delay_alu instid0(VALU_DEP_1) | instskip(SKIP_3) | instid1(VALU_DEP_1)
	v_lshlrev_b32_e32 v6, 3, v6
	ds_load_b64 v[6:7], v6
	s_wait_dscnt 0x0
	v_lshl_add_u64 v[6:7], v[6:7], 1, s[18:19]
	v_add_nc_u64_e32 v[6:7], v[6:7], v[8:9]
	v_xor_b32_e32 v8, 0x7fff, v10
	global_store_b16 v[6:7], v8, off offset:4096
.LBB602_83:
	;; [unrolled: 48-line block ×3, first 2 shown]
	s_wait_xcnt 0x0
	s_or_b32 exec_lo, exec_lo, s4
	v_add_nc_u32_e32 v6, 0xe00, v14
	s_mov_b32 s4, exec_lo
	s_delay_alu instid0(VALU_DEP_1)
	v_cmpx_gt_u32_e64 s22, v6
	s_cbranch_execz .LBB602_89
; %bb.88:
	ds_load_u16 v5, v5 offset:9216
	v_dual_mov_b32 v9, 0 :: v_dual_lshlrev_b32 v8, 1, v14
	s_wait_dscnt 0x0
	v_and_b32_e32 v6, 0xffff, v5
	v_xor_b32_e32 v5, 0x7fff, v5
	s_delay_alu instid0(VALU_DEP_2) | instskip(NEXT) | instid1(VALU_DEP_1)
	v_lshrrev_b32_e32 v6, s20, v6
	v_and_b32_e32 v6, s29, v6
	s_delay_alu instid0(VALU_DEP_1) | instskip(SKIP_3) | instid1(VALU_DEP_1)
	v_lshlrev_b32_e32 v6, 3, v6
	ds_load_b64 v[6:7], v6
	s_wait_dscnt 0x0
	v_lshl_add_u64 v[6:7], v[6:7], 1, s[18:19]
	v_add_nc_u64_e32 v[6:7], v[6:7], v[8:9]
	global_store_b16 v[6:7], v5, off offset:7168
.LBB602_89:
	s_wait_xcnt 0x0
	s_or_b32 exec_lo, exec_lo, s4
	v_or_b32_e32 v5, 0x1000, v14
	s_mov_b32 s4, exec_lo
	s_delay_alu instid0(VALU_DEP_1)
	v_cmpx_gt_u32_e64 s22, v5
	s_cbranch_execz .LBB602_91
; %bb.90:
	v_lshlrev_b32_e32 v6, 1, v14
	ds_load_u16 v5, v6 offset:10240
	s_wait_dscnt 0x0
	v_and_b32_e32 v7, 0xffff, v5
	v_xor_b32_e32 v5, 0x7fff, v5
	s_delay_alu instid0(VALU_DEP_2) | instskip(NEXT) | instid1(VALU_DEP_1)
	v_lshrrev_b32_e32 v7, s20, v7
	v_and_b32_e32 v7, s29, v7
	s_delay_alu instid0(VALU_DEP_1) | instskip(SKIP_4) | instid1(VALU_DEP_1)
	v_lshlrev_b32_e32 v7, 3, v7
	ds_load_b64 v[8:9], v7
	v_mov_b32_e32 v7, 0
	s_wait_dscnt 0x0
	v_lshl_add_u64 v[8:9], v[8:9], 1, s[18:19]
	v_add_nc_u64_e32 v[6:7], v[8:9], v[6:7]
	global_store_b16 v[6:7], v5, off offset:8192
.LBB602_91:
	s_wait_xcnt 0x0
	s_or_b32 exec_lo, exec_lo, s4
	v_add_nc_u32_e32 v5, 0x1200, v14
	s_mov_b32 s4, exec_lo
	s_delay_alu instid0(VALU_DEP_1)
	v_cmpx_gt_u32_e64 s22, v5
	s_cbranch_execz .LBB602_93
; %bb.92:
	v_lshlrev_b32_e32 v6, 1, v14
	ds_load_u16 v5, v6 offset:11264
	s_wait_dscnt 0x0
	v_and_b32_e32 v7, 0xffff, v5
	v_xor_b32_e32 v5, 0x7fff, v5
	s_delay_alu instid0(VALU_DEP_2) | instskip(NEXT) | instid1(VALU_DEP_1)
	v_lshrrev_b32_e32 v7, s20, v7
	v_and_b32_e32 v7, s29, v7
	s_delay_alu instid0(VALU_DEP_1) | instskip(SKIP_4) | instid1(VALU_DEP_1)
	v_lshlrev_b32_e32 v7, 3, v7
	ds_load_b64 v[8:9], v7
	v_mov_b32_e32 v7, 0
	s_wait_dscnt 0x0
	v_lshl_add_u64 v[8:9], v[8:9], 1, s[18:19]
	v_add_nc_u64_e32 v[6:7], v[8:9], v[6:7]
	global_store_b16 v[6:7], v5, off offset:9216
.LBB602_93:
	s_wait_xcnt 0x0
	s_or_b32 exec_lo, exec_lo, s4
	v_or_b32_e32 v5, 0x1400, v14
	s_mov_b32 s4, exec_lo
	s_delay_alu instid0(VALU_DEP_1)
	v_cmpx_gt_u32_e64 s22, v5
	s_cbranch_execz .LBB602_95
; %bb.94:
	v_lshlrev_b32_e32 v6, 1, v14
	ds_load_u16 v5, v6 offset:12288
	s_wait_dscnt 0x0
	v_and_b32_e32 v7, 0xffff, v5
	v_xor_b32_e32 v5, 0x7fff, v5
	s_delay_alu instid0(VALU_DEP_2) | instskip(NEXT) | instid1(VALU_DEP_1)
	v_lshrrev_b32_e32 v7, s20, v7
	v_and_b32_e32 v7, s29, v7
	s_delay_alu instid0(VALU_DEP_1) | instskip(SKIP_4) | instid1(VALU_DEP_1)
	v_lshlrev_b32_e32 v7, 3, v7
	ds_load_b64 v[8:9], v7
	v_mov_b32_e32 v7, 0
	s_wait_dscnt 0x0
	v_lshl_add_u64 v[8:9], v[8:9], 1, s[18:19]
	v_add_nc_u64_e32 v[6:7], v[8:9], v[6:7]
	global_store_b16 v[6:7], v5, off offset:10240
.LBB602_95:
	s_wait_xcnt 0x0
	s_or_b32 exec_lo, exec_lo, s4
	v_add_nc_u32_e32 v5, 0x1600, v14
	s_mov_b32 s4, exec_lo
	s_delay_alu instid0(VALU_DEP_1)
	v_cmpx_gt_u32_e64 s22, v5
	s_cbranch_execz .LBB602_97
; %bb.96:
	v_lshlrev_b32_e32 v6, 1, v14
	ds_load_u16 v5, v6 offset:13312
	s_wait_dscnt 0x0
	v_and_b32_e32 v7, 0xffff, v5
	v_xor_b32_e32 v5, 0x7fff, v5
	s_delay_alu instid0(VALU_DEP_2) | instskip(NEXT) | instid1(VALU_DEP_1)
	v_lshrrev_b32_e32 v7, s20, v7
	v_and_b32_e32 v7, s29, v7
	s_delay_alu instid0(VALU_DEP_1) | instskip(SKIP_4) | instid1(VALU_DEP_1)
	v_lshlrev_b32_e32 v7, 3, v7
	ds_load_b64 v[8:9], v7
	v_mov_b32_e32 v7, 0
	s_wait_dscnt 0x0
	v_lshl_add_u64 v[8:9], v[8:9], 1, s[18:19]
	v_add_nc_u64_e32 v[6:7], v[8:9], v[6:7]
	global_store_b16 v[6:7], v5, off offset:11264
.LBB602_97:
	s_wait_xcnt 0x0
	s_or_b32 exec_lo, exec_lo, s4
	s_add_co_i32 s25, s25, -1
	s_delay_alu instid0(SALU_CYCLE_1) | instskip(SKIP_2) | instid1(SALU_CYCLE_1)
	s_cmp_eq_u32 s23, s25
	s_cselect_b32 s3, -1, 0
	s_xor_b32 s4, vcc_lo, -1
	s_and_b32 s4, s4, s3
	s_delay_alu instid0(SALU_CYCLE_1)
	s_and_saveexec_b32 s3, s4
	s_cbranch_execz .LBB602_99
; %bb.98:
	ds_load_b64 v[6:7], v1
	v_mov_b32_e32 v5, 0
	s_delay_alu instid0(VALU_DEP_1) | instskip(SKIP_1) | instid1(VALU_DEP_1)
	v_add_nc_u64_e32 v[2:3], v[2:3], v[4:5]
	s_wait_dscnt 0x0
	v_add_nc_u64_e32 v[2:3], v[2:3], v[6:7]
	global_store_b64 v14, v[2:3], s[14:15] scale_offset
.LBB602_99:
	s_wait_xcnt 0x0
	s_or_b32 exec_lo, exec_lo, s3
	s_mov_b32 s4, 0
.LBB602_100:
	s_delay_alu instid0(SALU_CYCLE_1)
	s_and_b32 vcc_lo, exec_lo, s4
	s_cbranch_vccz .LBB602_147
; %bb.101:
	s_mov_b32 s25, 0
	v_dual_mov_b32 v9, 0 :: v_dual_lshlrev_b32 v8, 1, v15
	s_lshl_b64 s[4:5], s[24:25], 1
	v_mul_u32_u24_e32 v1, 12, v16
	s_add_nc_u64 s[4:5], s[16:17], s[4:5]
	v_bfe_u32 v12, v0, 10, 10
	v_add_nc_u64_e32 v[2:3], s[4:5], v[8:9]
	v_bfe_u32 v0, v0, 20, 10
	v_lshlrev_b32_e32 v8, 1, v1
	s_delay_alu instid0(VALU_DEP_1)
	v_add_nc_u64_e32 v[18:19], v[2:3], v[8:9]
	s_clause 0xb
	global_load_u16 v8, v[18:19], off
	global_load_u16 v10, v[18:19], off offset:64
	global_load_u16 v13, v[18:19], off offset:128
	;; [unrolled: 1-line block ×11, first 2 shown]
	s_clause 0x1
	s_load_b32 s8, s[0:1], 0x58
	s_load_u16 s3, s[0:1], 0x66
	s_wait_xcnt 0x0
	s_bfe_u32 s0, ttmp6, 0x4000c
	s_and_b32 s1, ttmp6, 15
	s_add_co_i32 s0, s0, 1
	s_delay_alu instid0(SALU_CYCLE_1) | instskip(NEXT) | instid1(SALU_CYCLE_1)
	s_mul_i32 s0, ttmp9, s0
	s_add_co_i32 s1, s1, s0
	s_cmp_eq_u32 s28, 0
	s_cselect_b32 s0, ttmp9, s1
	s_wait_kmcnt 0x0
	s_cmp_lt_u32 s0, s8
	v_mad_u32_u24 v0, v0, s3, v12
	s_cselect_b32 s24, 12, 18
	s_lshl_b32 s9, -1, s21
	s_add_nc_u64 s[0:1], s[26:27], s[24:25]
	s_load_u16 s16, s[0:1], 0x0
	s_wait_kmcnt 0x0
	v_mad_u32 v0, v0, s16, v14
	s_delay_alu instid0(VALU_DEP_1) | instskip(NEXT) | instid1(VALU_DEP_1)
	v_lshrrev_b32_e32 v0, 5, v0
	v_lshlrev_b32_e32 v0, 2, v0
	s_wait_loadcnt 0xb
	v_xor_b32_e32 v8, 0x7fff, v8
	s_delay_alu instid0(VALU_DEP_1) | instskip(NEXT) | instid1(VALU_DEP_1)
	v_and_b32_e32 v11, 0xffff, v8
	v_lshrrev_b32_e32 v11, s20, v11
	s_delay_alu instid0(VALU_DEP_1) | instskip(SKIP_2) | instid1(VALU_DEP_2)
	v_bitop3_b32 v12, v11, 1, s9 bitop3:0x40
	v_bitop3_b32 v18, v11, s9, v11 bitop3:0x30
	s_not_b32 s9, s9
	v_add_co_u32 v11, s0, v12, -1
	s_delay_alu instid0(VALU_DEP_1) | instskip(NEXT) | instid1(VALU_DEP_3)
	v_cndmask_b32_e64 v12, 0, 1, s0
	v_dual_lshlrev_b32 v17, 30, v18 :: v_dual_lshlrev_b32 v19, 29, v18
	v_dual_lshlrev_b32 v21, 28, v18 :: v_dual_lshlrev_b32 v22, 27, v18
	s_delay_alu instid0(VALU_DEP_3) | instskip(NEXT) | instid1(VALU_DEP_3)
	v_cmp_ne_u32_e32 vcc_lo, 0, v12
	v_not_b32_e32 v12, v17
	v_dual_lshlrev_b32 v23, 26, v18 :: v_dual_lshlrev_b32 v25, 25, v18
	v_lshlrev_b32_e32 v26, 24, v18
	v_cmp_gt_i32_e64 s0, 0, v17
	v_cmp_gt_i32_e64 s1, 0, v19
	v_not_b32_e32 v17, v19
	v_not_b32_e32 v19, v21
	v_ashrrev_i32_e32 v12, 31, v12
	v_cmp_gt_i32_e64 s3, 0, v21
	v_cmp_gt_i32_e64 s4, 0, v22
	v_not_b32_e32 v21, v22
	v_not_b32_e32 v22, v23
	v_dual_ashrrev_i32 v17, 31, v17 :: v_dual_bitop2_b32 v11, vcc_lo, v11 bitop3:0x14
	v_dual_ashrrev_i32 v19, 31, v19 :: v_dual_bitop2_b32 v12, s0, v12 bitop3:0x14
	v_cmp_gt_i32_e64 s5, 0, v23
	v_cmp_gt_i32_e64 s6, 0, v25
	v_not_b32_e32 v23, v25
	v_not_b32_e32 v25, v26
	v_dual_ashrrev_i32 v21, 31, v21 :: v_dual_ashrrev_i32 v22, 31, v22
	v_xor_b32_e32 v17, s1, v17
	v_xor_b32_e32 v19, s3, v19
	v_bitop3_b32 v11, v11, v12, exec_lo bitop3:0x80
	v_cmp_gt_i32_e64 s7, 0, v26
	v_dual_ashrrev_i32 v12, 31, v23 :: v_dual_ashrrev_i32 v23, 31, v25
	v_xor_b32_e32 v21, s4, v21
	v_xor_b32_e32 v22, s5, v22
	v_bitop3_b32 v11, v11, v19, v17 bitop3:0x80
	s_delay_alu instid0(VALU_DEP_4) | instskip(SKIP_1) | instid1(VALU_DEP_3)
	v_xor_b32_e32 v12, s6, v12
	v_xor_b32_e32 v17, s7, v23
	v_bitop3_b32 v19, v11, v22, v21 bitop3:0x80
	v_mul_u32_u24_e32 v11, 36, v14
	ds_store_2addr_b32 v11, v9, v9 offset0:16 offset1:17
	ds_store_2addr_b32 v11, v9, v9 offset0:18 offset1:19
	ds_store_2addr_b32 v11, v9, v9 offset0:20 offset1:21
	ds_store_2addr_b32 v11, v9, v9 offset0:22 offset1:23
	v_bitop3_b32 v17, v19, v17, v12 bitop3:0x80
	ds_store_b32 v11, v9 offset:96
	v_mad_u32_u24 v12, 0x44, v18, v0
	s_wait_storecnt 0x0
	s_wait_loadcnt_dscnt 0x0
	s_barrier_signal -1
	v_mbcnt_lo_u32_b32 v9, v17, 0
	v_cmp_ne_u32_e64 s0, 0, v17
	s_barrier_wait -1
	s_delay_alu instid0(VALU_DEP_2) | instskip(SKIP_1) | instid1(SALU_CYCLE_1)
	v_cmp_eq_u32_e32 vcc_lo, 0, v9
	; wave barrier
	s_and_b32 s1, s0, vcc_lo
	s_and_saveexec_b32 s0, s1
; %bb.102:
	v_bcnt_u32_b32 v17, v17, 0
	ds_store_b32 v12, v17 offset:64
; %bb.103:
	s_or_b32 exec_lo, exec_lo, s0
	v_xor_b32_e32 v10, 0x7fff, v10
	; wave barrier
	s_delay_alu instid0(VALU_DEP_1) | instskip(NEXT) | instid1(VALU_DEP_1)
	v_and_b32_e32 v17, 0xffff, v10
	v_lshrrev_b32_e32 v17, s20, v17
	s_delay_alu instid0(VALU_DEP_1) | instskip(SKIP_1) | instid1(VALU_DEP_2)
	v_bitop3_b32 v18, v17, 1, s9 bitop3:0x80
	v_and_b32_e32 v17, s9, v17
	v_add_co_u32 v18, s0, v18, -1
	s_delay_alu instid0(VALU_DEP_1) | instskip(NEXT) | instid1(VALU_DEP_3)
	v_cndmask_b32_e64 v19, 0, 1, s0
	v_dual_lshlrev_b32 v21, 30, v17 :: v_dual_lshlrev_b32 v22, 29, v17
	v_lshlrev_b32_e32 v23, 28, v17
	s_delay_alu instid0(VALU_DEP_3) | instskip(NEXT) | instid1(VALU_DEP_3)
	v_cmp_ne_u32_e32 vcc_lo, 0, v19
	v_cmp_gt_i32_e64 s0, 0, v21
	v_not_b32_e32 v19, v21
	v_cmp_gt_i32_e64 s1, 0, v22
	v_not_b32_e32 v21, v22
	v_not_b32_e32 v22, v23
	s_delay_alu instid0(VALU_DEP_4) | instskip(NEXT) | instid1(VALU_DEP_2)
	v_dual_ashrrev_i32 v19, 31, v19 :: v_dual_bitop2_b32 v18, vcc_lo, v18 bitop3:0x14
	v_dual_ashrrev_i32 v21, 31, v21 :: v_dual_ashrrev_i32 v22, 31, v22
	v_dual_lshlrev_b32 v25, 27, v17 :: v_dual_lshlrev_b32 v26, 26, v17
	v_dual_lshlrev_b32 v27, 25, v17 :: v_dual_lshlrev_b32 v28, 24, v17
	v_cmp_gt_i32_e64 s3, 0, v23
	s_delay_alu instid0(VALU_DEP_3)
	v_cmp_gt_i32_e64 s4, 0, v25
	v_not_b32_e32 v23, v25
	v_not_b32_e32 v25, v26
	v_xor_b32_e32 v19, s0, v19
	v_cmp_gt_i32_e64 s5, 0, v26
	v_cmp_gt_i32_e64 s6, 0, v27
	v_not_b32_e32 v26, v27
	v_not_b32_e32 v27, v28
	v_dual_ashrrev_i32 v23, 31, v23 :: v_dual_ashrrev_i32 v25, 31, v25
	s_delay_alu instid0(VALU_DEP_3) | instskip(NEXT) | instid1(VALU_DEP_3)
	v_dual_ashrrev_i32 v26, 31, v26 :: v_dual_bitop2_b32 v21, s1, v21 bitop3:0x14
	v_dual_ashrrev_i32 v27, 31, v27 :: v_dual_bitop2_b32 v22, s3, v22 bitop3:0x14
	v_bitop3_b32 v18, v18, v19, exec_lo bitop3:0x80
	v_cmp_gt_i32_e64 s7, 0, v28
	v_xor_b32_e32 v23, s4, v23
	v_xor_b32_e32 v25, s5, v25
	v_mad_u32_u24 v19, 0x44, v17, v0
	v_bitop3_b32 v18, v18, v22, v21 bitop3:0x80
	v_xor_b32_e32 v21, s6, v26
	v_xor_b32_e32 v22, s7, v27
	ds_load_b32 v17, v19 offset:64
	v_bitop3_b32 v18, v18, v25, v23 bitop3:0x80
	; wave barrier
	s_delay_alu instid0(VALU_DEP_1) | instskip(NEXT) | instid1(VALU_DEP_1)
	v_bitop3_b32 v21, v18, v22, v21 bitop3:0x80
	v_mbcnt_lo_u32_b32 v18, v21, 0
	v_cmp_ne_u32_e64 s0, 0, v21
	s_delay_alu instid0(VALU_DEP_2) | instskip(SKIP_1) | instid1(SALU_CYCLE_1)
	v_cmp_eq_u32_e32 vcc_lo, 0, v18
	s_and_b32 s1, s0, vcc_lo
	s_and_saveexec_b32 s0, s1
	s_cbranch_execz .LBB602_105
; %bb.104:
	s_wait_dscnt 0x0
	v_bcnt_u32_b32 v21, v21, v17
	ds_store_b32 v19, v21 offset:64
.LBB602_105:
	s_or_b32 exec_lo, exec_lo, s0
	v_xor_b32_e32 v13, 0x7fff, v13
	; wave barrier
	s_delay_alu instid0(VALU_DEP_1) | instskip(NEXT) | instid1(VALU_DEP_1)
	v_and_b32_e32 v21, 0xffff, v13
	v_lshrrev_b32_e32 v21, s20, v21
	s_delay_alu instid0(VALU_DEP_1) | instskip(SKIP_1) | instid1(VALU_DEP_2)
	v_bitop3_b32 v22, v21, 1, s9 bitop3:0x80
	v_and_b32_e32 v21, s9, v21
	v_add_co_u32 v22, s0, v22, -1
	s_delay_alu instid0(VALU_DEP_1) | instskip(NEXT) | instid1(VALU_DEP_3)
	v_cndmask_b32_e64 v23, 0, 1, s0
	v_dual_lshlrev_b32 v25, 30, v21 :: v_dual_lshlrev_b32 v26, 29, v21
	v_lshlrev_b32_e32 v27, 28, v21
	s_delay_alu instid0(VALU_DEP_3) | instskip(NEXT) | instid1(VALU_DEP_3)
	v_cmp_ne_u32_e32 vcc_lo, 0, v23
	v_cmp_gt_i32_e64 s0, 0, v25
	v_not_b32_e32 v23, v25
	v_cmp_gt_i32_e64 s1, 0, v26
	v_not_b32_e32 v25, v26
	v_not_b32_e32 v26, v27
	s_delay_alu instid0(VALU_DEP_4) | instskip(NEXT) | instid1(VALU_DEP_2)
	v_dual_ashrrev_i32 v23, 31, v23 :: v_dual_bitop2_b32 v22, vcc_lo, v22 bitop3:0x14
	v_dual_ashrrev_i32 v25, 31, v25 :: v_dual_ashrrev_i32 v26, 31, v26
	v_dual_lshlrev_b32 v28, 27, v21 :: v_dual_lshlrev_b32 v29, 26, v21
	v_dual_lshlrev_b32 v30, 25, v21 :: v_dual_lshlrev_b32 v31, 24, v21
	v_cmp_gt_i32_e64 s3, 0, v27
	s_delay_alu instid0(VALU_DEP_3)
	v_cmp_gt_i32_e64 s4, 0, v28
	v_not_b32_e32 v27, v28
	v_not_b32_e32 v28, v29
	v_xor_b32_e32 v23, s0, v23
	v_cmp_gt_i32_e64 s5, 0, v29
	v_cmp_gt_i32_e64 s6, 0, v30
	v_not_b32_e32 v29, v30
	v_not_b32_e32 v30, v31
	v_dual_ashrrev_i32 v27, 31, v27 :: v_dual_ashrrev_i32 v28, 31, v28
	v_xor_b32_e32 v25, s1, v25
	s_delay_alu instid0(VALU_DEP_4) | instskip(SKIP_4) | instid1(VALU_DEP_4)
	v_dual_ashrrev_i32 v29, 31, v29 :: v_dual_bitop2_b32 v26, s3, v26 bitop3:0x14
	v_bitop3_b32 v22, v22, v23, exec_lo bitop3:0x80
	v_cmp_gt_i32_e64 s7, 0, v31
	v_dual_ashrrev_i32 v30, 31, v30 :: v_dual_bitop2_b32 v27, s4, v27 bitop3:0x14
	v_xor_b32_e32 v28, s5, v28
	v_bitop3_b32 v22, v22, v26, v25 bitop3:0x80
	v_mad_u32_u24 v23, 0x44, v21, v0
	v_xor_b32_e32 v25, s6, v29
	v_xor_b32_e32 v26, s7, v30
	s_delay_alu instid0(VALU_DEP_4) | instskip(SKIP_2) | instid1(VALU_DEP_1)
	v_bitop3_b32 v22, v22, v28, v27 bitop3:0x80
	ds_load_b32 v21, v23 offset:64
	; wave barrier
	v_bitop3_b32 v25, v22, v26, v25 bitop3:0x80
	v_mbcnt_lo_u32_b32 v22, v25, 0
	v_cmp_ne_u32_e64 s0, 0, v25
	s_delay_alu instid0(VALU_DEP_2) | instskip(SKIP_1) | instid1(SALU_CYCLE_1)
	v_cmp_eq_u32_e32 vcc_lo, 0, v22
	s_and_b32 s1, s0, vcc_lo
	s_and_saveexec_b32 s0, s1
	s_cbranch_execz .LBB602_107
; %bb.106:
	s_wait_dscnt 0x0
	v_bcnt_u32_b32 v25, v25, v21
	ds_store_b32 v23, v25 offset:64
.LBB602_107:
	s_or_b32 exec_lo, exec_lo, s0
	v_xor_b32_e32 v20, 0x7fff, v20
	; wave barrier
	s_delay_alu instid0(VALU_DEP_1) | instskip(NEXT) | instid1(VALU_DEP_1)
	v_and_b32_e32 v25, 0xffff, v20
	v_lshrrev_b32_e32 v25, s20, v25
	s_delay_alu instid0(VALU_DEP_1) | instskip(SKIP_1) | instid1(VALU_DEP_2)
	v_bitop3_b32 v26, v25, 1, s9 bitop3:0x80
	v_and_b32_e32 v25, s9, v25
	v_add_co_u32 v26, s0, v26, -1
	s_delay_alu instid0(VALU_DEP_1) | instskip(NEXT) | instid1(VALU_DEP_3)
	v_cndmask_b32_e64 v27, 0, 1, s0
	v_dual_lshlrev_b32 v28, 30, v25 :: v_dual_lshlrev_b32 v29, 29, v25
	s_delay_alu instid0(VALU_DEP_2) | instskip(NEXT) | instid1(VALU_DEP_2)
	v_cmp_ne_u32_e32 vcc_lo, 0, v27
	v_cmp_gt_i32_e64 s0, 0, v28
	v_not_b32_e32 v27, v28
	s_delay_alu instid0(VALU_DEP_4) | instskip(SKIP_1) | instid1(VALU_DEP_3)
	v_not_b32_e32 v28, v29
	v_cmp_gt_i32_e64 s1, 0, v29
	v_dual_ashrrev_i32 v27, 31, v27 :: v_dual_bitop2_b32 v26, vcc_lo, v26 bitop3:0x14
	s_delay_alu instid0(VALU_DEP_3) | instskip(SKIP_2) | instid1(VALU_DEP_3)
	v_dual_ashrrev_i32 v28, 31, v28 :: v_dual_lshlrev_b32 v30, 28, v25
	v_dual_lshlrev_b32 v31, 27, v25 :: v_dual_lshlrev_b32 v32, 26, v25
	v_dual_lshlrev_b32 v33, 25, v25 :: v_dual_lshlrev_b32 v34, 24, v25
	v_not_b32_e32 v29, v30
	v_cmp_gt_i32_e64 s3, 0, v30
	s_delay_alu instid0(VALU_DEP_4)
	v_cmp_gt_i32_e64 s4, 0, v31
	v_not_b32_e32 v30, v31
	v_not_b32_e32 v31, v32
	v_dual_ashrrev_i32 v29, 31, v29 :: v_dual_bitop2_b32 v27, s0, v27 bitop3:0x14
	v_cmp_gt_i32_e64 s5, 0, v32
	v_cmp_gt_i32_e64 s6, 0, v33
	v_not_b32_e32 v32, v33
	v_not_b32_e32 v33, v34
	v_dual_ashrrev_i32 v30, 31, v30 :: v_dual_ashrrev_i32 v31, 31, v31
	v_xor_b32_e32 v28, s1, v28
	s_delay_alu instid0(VALU_DEP_4) | instskip(SKIP_4) | instid1(VALU_DEP_4)
	v_dual_ashrrev_i32 v32, 31, v32 :: v_dual_bitop2_b32 v29, s3, v29 bitop3:0x14
	v_bitop3_b32 v26, v26, v27, exec_lo bitop3:0x80
	v_cmp_gt_i32_e64 s7, 0, v34
	v_dual_ashrrev_i32 v33, 31, v33 :: v_dual_bitop2_b32 v30, s4, v30 bitop3:0x14
	v_xor_b32_e32 v31, s5, v31
	v_bitop3_b32 v26, v26, v29, v28 bitop3:0x80
	v_mad_u32_u24 v27, 0x44, v25, v0
	v_xor_b32_e32 v28, s6, v32
	v_xor_b32_e32 v29, s7, v33
	s_delay_alu instid0(VALU_DEP_4) | instskip(SKIP_2) | instid1(VALU_DEP_1)
	v_bitop3_b32 v26, v26, v31, v30 bitop3:0x80
	ds_load_b32 v25, v27 offset:64
	; wave barrier
	v_bitop3_b32 v28, v26, v29, v28 bitop3:0x80
	v_mbcnt_lo_u32_b32 v26, v28, 0
	v_cmp_ne_u32_e64 s0, 0, v28
	s_delay_alu instid0(VALU_DEP_2) | instskip(SKIP_1) | instid1(SALU_CYCLE_1)
	v_cmp_eq_u32_e32 vcc_lo, 0, v26
	s_and_b32 s1, s0, vcc_lo
	s_and_saveexec_b32 s0, s1
	s_cbranch_execz .LBB602_109
; %bb.108:
	s_wait_dscnt 0x0
	v_bcnt_u32_b32 v28, v28, v25
	ds_store_b32 v27, v28 offset:64
.LBB602_109:
	s_or_b32 exec_lo, exec_lo, s0
	v_xor_b32_e32 v24, 0x7fff, v24
	; wave barrier
	s_delay_alu instid0(VALU_DEP_1) | instskip(NEXT) | instid1(VALU_DEP_1)
	v_and_b32_e32 v28, 0xffff, v24
	v_lshrrev_b32_e32 v28, s20, v28
	s_delay_alu instid0(VALU_DEP_1) | instskip(SKIP_1) | instid1(VALU_DEP_2)
	v_bitop3_b32 v29, v28, 1, s9 bitop3:0x80
	v_and_b32_e32 v28, s9, v28
	v_add_co_u32 v29, s0, v29, -1
	s_delay_alu instid0(VALU_DEP_1) | instskip(NEXT) | instid1(VALU_DEP_3)
	v_cndmask_b32_e64 v30, 0, 1, s0
	v_dual_lshlrev_b32 v31, 30, v28 :: v_dual_lshlrev_b32 v32, 29, v28
	s_delay_alu instid0(VALU_DEP_2) | instskip(NEXT) | instid1(VALU_DEP_2)
	v_cmp_ne_u32_e32 vcc_lo, 0, v30
	v_cmp_gt_i32_e64 s0, 0, v31
	v_not_b32_e32 v30, v31
	s_delay_alu instid0(VALU_DEP_4) | instskip(SKIP_1) | instid1(VALU_DEP_3)
	v_not_b32_e32 v31, v32
	v_cmp_gt_i32_e64 s1, 0, v32
	v_dual_ashrrev_i32 v30, 31, v30 :: v_dual_bitop2_b32 v29, vcc_lo, v29 bitop3:0x14
	s_delay_alu instid0(VALU_DEP_3) | instskip(SKIP_2) | instid1(VALU_DEP_3)
	v_dual_ashrrev_i32 v31, 31, v31 :: v_dual_lshlrev_b32 v33, 28, v28
	v_dual_lshlrev_b32 v34, 27, v28 :: v_dual_lshlrev_b32 v35, 26, v28
	v_dual_lshlrev_b32 v36, 25, v28 :: v_dual_lshlrev_b32 v37, 24, v28
	v_not_b32_e32 v32, v33
	v_cmp_gt_i32_e64 s3, 0, v33
	s_delay_alu instid0(VALU_DEP_4)
	v_cmp_gt_i32_e64 s4, 0, v34
	v_not_b32_e32 v33, v34
	v_not_b32_e32 v34, v35
	v_dual_ashrrev_i32 v32, 31, v32 :: v_dual_bitop2_b32 v30, s0, v30 bitop3:0x14
	v_cmp_gt_i32_e64 s5, 0, v35
	v_cmp_gt_i32_e64 s6, 0, v36
	v_not_b32_e32 v35, v36
	v_not_b32_e32 v36, v37
	v_dual_ashrrev_i32 v33, 31, v33 :: v_dual_ashrrev_i32 v34, 31, v34
	v_xor_b32_e32 v31, s1, v31
	v_xor_b32_e32 v32, s3, v32
	v_bitop3_b32 v29, v29, v30, exec_lo bitop3:0x80
	v_cmp_gt_i32_e64 s7, 0, v37
	v_dual_ashrrev_i32 v30, 31, v35 :: v_dual_ashrrev_i32 v35, 31, v36
	v_xor_b32_e32 v33, s4, v33
	v_xor_b32_e32 v34, s5, v34
	v_bitop3_b32 v29, v29, v32, v31 bitop3:0x80
	v_mad_u32_u24 v31, 0x44, v28, v0
	v_xor_b32_e32 v30, s6, v30
	v_xor_b32_e32 v32, s7, v35
	s_delay_alu instid0(VALU_DEP_4) | instskip(SKIP_2) | instid1(VALU_DEP_1)
	v_bitop3_b32 v29, v29, v34, v33 bitop3:0x80
	ds_load_b32 v28, v31 offset:64
	; wave barrier
	v_bitop3_b32 v29, v29, v32, v30 bitop3:0x80
	v_mbcnt_lo_u32_b32 v30, v29, 0
	v_cmp_ne_u32_e64 s0, 0, v29
	s_delay_alu instid0(VALU_DEP_2) | instskip(SKIP_1) | instid1(SALU_CYCLE_1)
	v_cmp_eq_u32_e32 vcc_lo, 0, v30
	s_and_b32 s1, s0, vcc_lo
	s_and_saveexec_b32 s0, s1
	s_cbranch_execz .LBB602_111
; %bb.110:
	s_wait_dscnt 0x0
	v_bcnt_u32_b32 v29, v29, v28
	ds_store_b32 v31, v29 offset:64
.LBB602_111:
	s_or_b32 exec_lo, exec_lo, s0
	v_xor_b32_e32 v29, 0x7fff, v7
	; wave barrier
	s_delay_alu instid0(VALU_DEP_1) | instskip(NEXT) | instid1(VALU_DEP_1)
	v_and_b32_e32 v7, 0xffff, v29
	v_lshrrev_b32_e32 v7, s20, v7
	s_delay_alu instid0(VALU_DEP_1) | instskip(SKIP_1) | instid1(VALU_DEP_2)
	v_bitop3_b32 v32, v7, 1, s9 bitop3:0x80
	v_and_b32_e32 v7, s9, v7
	v_add_co_u32 v32, s0, v32, -1
	s_delay_alu instid0(VALU_DEP_1) | instskip(NEXT) | instid1(VALU_DEP_3)
	v_cndmask_b32_e64 v33, 0, 1, s0
	v_dual_lshlrev_b32 v34, 30, v7 :: v_dual_lshlrev_b32 v35, 29, v7
	s_delay_alu instid0(VALU_DEP_2) | instskip(NEXT) | instid1(VALU_DEP_2)
	v_cmp_ne_u32_e32 vcc_lo, 0, v33
	v_cmp_gt_i32_e64 s0, 0, v34
	v_not_b32_e32 v33, v34
	s_delay_alu instid0(VALU_DEP_4) | instskip(SKIP_1) | instid1(VALU_DEP_3)
	v_not_b32_e32 v34, v35
	v_cmp_gt_i32_e64 s1, 0, v35
	v_dual_ashrrev_i32 v33, 31, v33 :: v_dual_bitop2_b32 v32, vcc_lo, v32 bitop3:0x14
	s_delay_alu instid0(VALU_DEP_3) | instskip(SKIP_2) | instid1(VALU_DEP_3)
	v_dual_ashrrev_i32 v34, 31, v34 :: v_dual_lshlrev_b32 v36, 28, v7
	v_dual_lshlrev_b32 v37, 27, v7 :: v_dual_lshlrev_b32 v38, 26, v7
	v_dual_lshlrev_b32 v39, 25, v7 :: v_dual_lshlrev_b32 v40, 24, v7
	v_not_b32_e32 v35, v36
	v_cmp_gt_i32_e64 s3, 0, v36
	s_delay_alu instid0(VALU_DEP_4)
	v_cmp_gt_i32_e64 s4, 0, v37
	v_not_b32_e32 v36, v37
	v_not_b32_e32 v37, v38
	v_dual_ashrrev_i32 v35, 31, v35 :: v_dual_bitop2_b32 v33, s0, v33 bitop3:0x14
	v_cmp_gt_i32_e64 s5, 0, v38
	v_cmp_gt_i32_e64 s6, 0, v39
	v_not_b32_e32 v38, v39
	v_not_b32_e32 v39, v40
	v_dual_ashrrev_i32 v36, 31, v36 :: v_dual_ashrrev_i32 v37, 31, v37
	v_xor_b32_e32 v34, s1, v34
	v_xor_b32_e32 v35, s3, v35
	v_bitop3_b32 v32, v32, v33, exec_lo bitop3:0x80
	v_cmp_gt_i32_e64 s7, 0, v40
	v_dual_ashrrev_i32 v33, 31, v38 :: v_dual_ashrrev_i32 v38, 31, v39
	v_xor_b32_e32 v36, s4, v36
	v_xor_b32_e32 v37, s5, v37
	v_bitop3_b32 v32, v32, v35, v34 bitop3:0x80
	v_mad_u32_u24 v35, 0x44, v7, v0
	v_xor_b32_e32 v7, s6, v33
	v_xor_b32_e32 v33, s7, v38
	s_delay_alu instid0(VALU_DEP_4) | instskip(SKIP_2) | instid1(VALU_DEP_1)
	v_bitop3_b32 v34, v32, v37, v36 bitop3:0x80
	ds_load_b32 v32, v35 offset:64
	; wave barrier
	v_bitop3_b32 v7, v34, v33, v7 bitop3:0x80
	v_mbcnt_lo_u32_b32 v34, v7, 0
	v_cmp_ne_u32_e64 s0, 0, v7
	s_delay_alu instid0(VALU_DEP_2) | instskip(SKIP_1) | instid1(SALU_CYCLE_1)
	v_cmp_eq_u32_e32 vcc_lo, 0, v34
	s_and_b32 s1, s0, vcc_lo
	s_and_saveexec_b32 s0, s1
	s_cbranch_execz .LBB602_113
; %bb.112:
	s_wait_dscnt 0x0
	v_bcnt_u32_b32 v7, v7, v32
	ds_store_b32 v35, v7 offset:64
.LBB602_113:
	s_or_b32 exec_lo, exec_lo, s0
	v_xor_b32_e32 v33, 0x7fff, v6
	; wave barrier
	s_delay_alu instid0(VALU_DEP_1) | instskip(NEXT) | instid1(VALU_DEP_1)
	v_and_b32_e32 v6, 0xffff, v33
	v_lshrrev_b32_e32 v6, s20, v6
	s_delay_alu instid0(VALU_DEP_1) | instskip(SKIP_1) | instid1(VALU_DEP_2)
	v_bitop3_b32 v7, v6, 1, s9 bitop3:0x80
	v_and_b32_e32 v6, s9, v6
	v_add_co_u32 v7, s0, v7, -1
	s_delay_alu instid0(VALU_DEP_1) | instskip(NEXT) | instid1(VALU_DEP_3)
	v_cndmask_b32_e64 v36, 0, 1, s0
	v_dual_lshlrev_b32 v37, 30, v6 :: v_dual_lshlrev_b32 v38, 29, v6
	s_delay_alu instid0(VALU_DEP_2) | instskip(NEXT) | instid1(VALU_DEP_2)
	v_cmp_ne_u32_e32 vcc_lo, 0, v36
	v_cmp_gt_i32_e64 s0, 0, v37
	v_not_b32_e32 v36, v37
	s_delay_alu instid0(VALU_DEP_4) | instskip(SKIP_1) | instid1(VALU_DEP_3)
	v_not_b32_e32 v37, v38
	v_cmp_gt_i32_e64 s1, 0, v38
	v_dual_ashrrev_i32 v36, 31, v36 :: v_dual_bitop2_b32 v7, vcc_lo, v7 bitop3:0x14
	s_delay_alu instid0(VALU_DEP_3) | instskip(SKIP_2) | instid1(VALU_DEP_3)
	v_dual_ashrrev_i32 v37, 31, v37 :: v_dual_lshlrev_b32 v39, 28, v6
	v_dual_lshlrev_b32 v40, 27, v6 :: v_dual_lshlrev_b32 v41, 26, v6
	v_dual_lshlrev_b32 v42, 25, v6 :: v_dual_lshlrev_b32 v43, 24, v6
	v_not_b32_e32 v38, v39
	v_cmp_gt_i32_e64 s3, 0, v39
	s_delay_alu instid0(VALU_DEP_4)
	v_cmp_gt_i32_e64 s4, 0, v40
	v_not_b32_e32 v39, v40
	v_not_b32_e32 v40, v41
	v_dual_ashrrev_i32 v38, 31, v38 :: v_dual_bitop2_b32 v36, s0, v36 bitop3:0x14
	v_cmp_gt_i32_e64 s5, 0, v41
	v_cmp_gt_i32_e64 s6, 0, v42
	v_not_b32_e32 v41, v42
	v_not_b32_e32 v42, v43
	v_dual_ashrrev_i32 v39, 31, v39 :: v_dual_ashrrev_i32 v40, 31, v40
	v_xor_b32_e32 v37, s1, v37
	v_xor_b32_e32 v38, s3, v38
	v_bitop3_b32 v7, v7, v36, exec_lo bitop3:0x80
	v_cmp_gt_i32_e64 s7, 0, v43
	v_dual_ashrrev_i32 v36, 31, v41 :: v_dual_ashrrev_i32 v41, 31, v42
	v_xor_b32_e32 v42, s4, v39
	v_xor_b32_e32 v40, s5, v40
	v_bitop3_b32 v7, v7, v38, v37 bitop3:0x80
	v_mad_u32_u24 v39, 0x44, v6, v0
	v_xor_b32_e32 v6, s6, v36
	v_xor_b32_e32 v36, s7, v41
	s_delay_alu instid0(VALU_DEP_4) | instskip(SKIP_2) | instid1(VALU_DEP_1)
	v_bitop3_b32 v7, v7, v40, v42 bitop3:0x80
	ds_load_b32 v37, v39 offset:64
	; wave barrier
	v_bitop3_b32 v6, v7, v36, v6 bitop3:0x80
	v_mbcnt_lo_u32_b32 v38, v6, 0
	v_cmp_ne_u32_e64 s0, 0, v6
	s_delay_alu instid0(VALU_DEP_2) | instskip(SKIP_1) | instid1(SALU_CYCLE_1)
	v_cmp_eq_u32_e32 vcc_lo, 0, v38
	s_and_b32 s1, s0, vcc_lo
	s_and_saveexec_b32 s0, s1
	s_cbranch_execz .LBB602_115
; %bb.114:
	s_wait_dscnt 0x0
	v_bcnt_u32_b32 v6, v6, v37
	ds_store_b32 v39, v6 offset:64
.LBB602_115:
	s_or_b32 exec_lo, exec_lo, s0
	v_xor_b32_e32 v36, 0x7fff, v5
	; wave barrier
	s_delay_alu instid0(VALU_DEP_1) | instskip(NEXT) | instid1(VALU_DEP_1)
	v_and_b32_e32 v5, 0xffff, v36
	v_lshrrev_b32_e32 v5, s20, v5
	s_delay_alu instid0(VALU_DEP_1) | instskip(SKIP_1) | instid1(VALU_DEP_2)
	v_bitop3_b32 v6, v5, 1, s9 bitop3:0x80
	v_and_b32_e32 v5, s9, v5
	v_add_co_u32 v6, s0, v6, -1
	s_delay_alu instid0(VALU_DEP_1) | instskip(NEXT) | instid1(VALU_DEP_3)
	v_cndmask_b32_e64 v7, 0, 1, s0
	v_dual_lshlrev_b32 v40, 30, v5 :: v_dual_lshlrev_b32 v41, 29, v5
	s_delay_alu instid0(VALU_DEP_2) | instskip(NEXT) | instid1(VALU_DEP_2)
	v_cmp_ne_u32_e32 vcc_lo, 0, v7
	v_cmp_gt_i32_e64 s0, 0, v40
	v_not_b32_e32 v7, v40
	s_delay_alu instid0(VALU_DEP_4) | instskip(SKIP_1) | instid1(VALU_DEP_3)
	v_not_b32_e32 v40, v41
	v_cmp_gt_i32_e64 s1, 0, v41
	v_dual_ashrrev_i32 v7, 31, v7 :: v_dual_bitop2_b32 v6, vcc_lo, v6 bitop3:0x14
	s_delay_alu instid0(VALU_DEP_3) | instskip(SKIP_2) | instid1(VALU_DEP_3)
	v_dual_ashrrev_i32 v40, 31, v40 :: v_dual_lshlrev_b32 v42, 28, v5
	v_dual_lshlrev_b32 v43, 27, v5 :: v_dual_lshlrev_b32 v44, 26, v5
	v_dual_lshlrev_b32 v45, 25, v5 :: v_dual_lshlrev_b32 v46, 24, v5
	v_not_b32_e32 v41, v42
	v_cmp_gt_i32_e64 s3, 0, v42
	s_delay_alu instid0(VALU_DEP_4)
	v_cmp_gt_i32_e64 s4, 0, v43
	v_not_b32_e32 v42, v43
	v_not_b32_e32 v43, v44
	v_dual_ashrrev_i32 v41, 31, v41 :: v_dual_bitop2_b32 v7, s0, v7 bitop3:0x14
	v_cmp_gt_i32_e64 s5, 0, v44
	v_cmp_gt_i32_e64 s6, 0, v45
	v_not_b32_e32 v44, v45
	v_not_b32_e32 v45, v46
	v_dual_ashrrev_i32 v42, 31, v42 :: v_dual_ashrrev_i32 v43, 31, v43
	v_xor_b32_e32 v40, s1, v40
	v_xor_b32_e32 v41, s3, v41
	v_bitop3_b32 v6, v6, v7, exec_lo bitop3:0x80
	v_cmp_gt_i32_e64 s7, 0, v46
	v_dual_ashrrev_i32 v7, 31, v44 :: v_dual_ashrrev_i32 v44, 31, v45
	v_xor_b32_e32 v42, s4, v42
	v_xor_b32_e32 v45, s5, v43
	v_bitop3_b32 v6, v6, v41, v40 bitop3:0x80
	v_mad_u32_u24 v43, 0x44, v5, v0
	v_xor_b32_e32 v5, s6, v7
	v_xor_b32_e32 v7, s7, v44
	s_delay_alu instid0(VALU_DEP_4) | instskip(SKIP_2) | instid1(VALU_DEP_1)
	v_bitop3_b32 v6, v6, v45, v42 bitop3:0x80
	ds_load_b32 v41, v43 offset:64
	; wave barrier
	v_bitop3_b32 v5, v6, v7, v5 bitop3:0x80
	v_mbcnt_lo_u32_b32 v42, v5, 0
	v_cmp_ne_u32_e64 s0, 0, v5
	s_delay_alu instid0(VALU_DEP_2) | instskip(SKIP_1) | instid1(SALU_CYCLE_1)
	v_cmp_eq_u32_e32 vcc_lo, 0, v42
	s_and_b32 s1, s0, vcc_lo
	s_and_saveexec_b32 s0, s1
	s_cbranch_execz .LBB602_117
; %bb.116:
	s_wait_dscnt 0x0
	v_bcnt_u32_b32 v5, v5, v41
	ds_store_b32 v43, v5 offset:64
.LBB602_117:
	s_or_b32 exec_lo, exec_lo, s0
	v_xor_b32_e32 v40, 0x7fff, v4
	; wave barrier
	s_delay_alu instid0(VALU_DEP_1) | instskip(NEXT) | instid1(VALU_DEP_1)
	v_and_b32_e32 v4, 0xffff, v40
	v_lshrrev_b32_e32 v4, s20, v4
	s_delay_alu instid0(VALU_DEP_1) | instskip(SKIP_1) | instid1(VALU_DEP_2)
	v_bitop3_b32 v5, v4, 1, s9 bitop3:0x80
	v_and_b32_e32 v4, s9, v4
	v_add_co_u32 v5, s0, v5, -1
	s_delay_alu instid0(VALU_DEP_1) | instskip(NEXT) | instid1(VALU_DEP_3)
	v_cndmask_b32_e64 v6, 0, 1, s0
	v_dual_lshlrev_b32 v7, 30, v4 :: v_dual_lshlrev_b32 v44, 29, v4
	s_delay_alu instid0(VALU_DEP_2) | instskip(NEXT) | instid1(VALU_DEP_2)
	v_cmp_ne_u32_e32 vcc_lo, 0, v6
	v_cmp_gt_i32_e64 s0, 0, v7
	v_not_b32_e32 v6, v7
	s_delay_alu instid0(VALU_DEP_4) | instskip(SKIP_1) | instid1(VALU_DEP_3)
	v_not_b32_e32 v7, v44
	v_cmp_gt_i32_e64 s1, 0, v44
	v_dual_ashrrev_i32 v6, 31, v6 :: v_dual_bitop2_b32 v5, vcc_lo, v5 bitop3:0x14
	s_delay_alu instid0(VALU_DEP_3) | instskip(SKIP_2) | instid1(VALU_DEP_3)
	v_dual_ashrrev_i32 v7, 31, v7 :: v_dual_lshlrev_b32 v45, 28, v4
	v_dual_lshlrev_b32 v46, 27, v4 :: v_dual_lshlrev_b32 v47, 26, v4
	v_dual_lshlrev_b32 v48, 25, v4 :: v_dual_lshlrev_b32 v49, 24, v4
	v_not_b32_e32 v44, v45
	v_cmp_gt_i32_e64 s3, 0, v45
	s_delay_alu instid0(VALU_DEP_4)
	v_cmp_gt_i32_e64 s4, 0, v46
	v_not_b32_e32 v45, v46
	v_not_b32_e32 v46, v47
	v_dual_ashrrev_i32 v44, 31, v44 :: v_dual_bitop2_b32 v6, s0, v6 bitop3:0x14
	v_cmp_gt_i32_e64 s5, 0, v47
	v_cmp_gt_i32_e64 s6, 0, v48
	v_not_b32_e32 v47, v48
	v_not_b32_e32 v48, v49
	v_dual_ashrrev_i32 v45, 31, v45 :: v_dual_ashrrev_i32 v46, 31, v46
	v_xor_b32_e32 v7, s1, v7
	v_xor_b32_e32 v44, s3, v44
	v_bitop3_b32 v5, v5, v6, exec_lo bitop3:0x80
	v_cmp_gt_i32_e64 s7, 0, v49
	v_dual_ashrrev_i32 v6, 31, v47 :: v_dual_ashrrev_i32 v48, 31, v48
	v_xor_b32_e32 v45, s4, v45
	v_xor_b32_e32 v46, s5, v46
	v_bitop3_b32 v5, v5, v44, v7 bitop3:0x80
	v_mad_u32_u24 v47, 0x44, v4, v0
	v_xor_b32_e32 v4, s6, v6
	v_xor_b32_e32 v6, s7, v48
	s_delay_alu instid0(VALU_DEP_4) | instskip(SKIP_2) | instid1(VALU_DEP_1)
	v_bitop3_b32 v5, v5, v46, v45 bitop3:0x80
	ds_load_b32 v45, v47 offset:64
	; wave barrier
	v_bitop3_b32 v4, v5, v6, v4 bitop3:0x80
	v_mbcnt_lo_u32_b32 v46, v4, 0
	v_cmp_ne_u32_e64 s0, 0, v4
	s_delay_alu instid0(VALU_DEP_2) | instskip(SKIP_1) | instid1(SALU_CYCLE_1)
	v_cmp_eq_u32_e32 vcc_lo, 0, v46
	s_and_b32 s1, s0, vcc_lo
	s_and_saveexec_b32 s0, s1
	s_cbranch_execz .LBB602_119
; %bb.118:
	s_wait_dscnt 0x0
	v_bcnt_u32_b32 v4, v4, v45
	ds_store_b32 v47, v4 offset:64
.LBB602_119:
	s_or_b32 exec_lo, exec_lo, s0
	v_xor_b32_e32 v44, 0x7fff, v3
	; wave barrier
	s_delay_alu instid0(VALU_DEP_1) | instskip(NEXT) | instid1(VALU_DEP_1)
	v_and_b32_e32 v3, 0xffff, v44
	v_lshrrev_b32_e32 v3, s20, v3
	s_delay_alu instid0(VALU_DEP_1) | instskip(SKIP_1) | instid1(VALU_DEP_2)
	v_bitop3_b32 v4, v3, 1, s9 bitop3:0x80
	v_and_b32_e32 v3, s9, v3
	v_add_co_u32 v4, s0, v4, -1
	s_delay_alu instid0(VALU_DEP_1) | instskip(NEXT) | instid1(VALU_DEP_3)
	v_cndmask_b32_e64 v5, 0, 1, s0
	v_dual_lshlrev_b32 v6, 30, v3 :: v_dual_lshlrev_b32 v7, 29, v3
	s_delay_alu instid0(VALU_DEP_2) | instskip(NEXT) | instid1(VALU_DEP_2)
	v_cmp_ne_u32_e32 vcc_lo, 0, v5
	v_cmp_gt_i32_e64 s0, 0, v6
	v_not_b32_e32 v5, v6
	s_delay_alu instid0(VALU_DEP_4) | instskip(SKIP_1) | instid1(VALU_DEP_3)
	v_not_b32_e32 v6, v7
	v_cmp_gt_i32_e64 s1, 0, v7
	v_dual_ashrrev_i32 v5, 31, v5 :: v_dual_bitop2_b32 v4, vcc_lo, v4 bitop3:0x14
	s_delay_alu instid0(VALU_DEP_3) | instskip(SKIP_2) | instid1(VALU_DEP_3)
	v_dual_ashrrev_i32 v6, 31, v6 :: v_dual_lshlrev_b32 v48, 28, v3
	v_dual_lshlrev_b32 v49, 27, v3 :: v_dual_lshlrev_b32 v50, 26, v3
	v_dual_lshlrev_b32 v51, 25, v3 :: v_dual_lshlrev_b32 v52, 24, v3
	v_not_b32_e32 v7, v48
	v_cmp_gt_i32_e64 s3, 0, v48
	s_delay_alu instid0(VALU_DEP_4)
	v_cmp_gt_i32_e64 s4, 0, v49
	v_not_b32_e32 v48, v49
	v_not_b32_e32 v49, v50
	v_dual_ashrrev_i32 v7, 31, v7 :: v_dual_bitop2_b32 v5, s0, v5 bitop3:0x14
	v_cmp_gt_i32_e64 s5, 0, v50
	v_cmp_gt_i32_e64 s6, 0, v51
	v_not_b32_e32 v50, v51
	v_not_b32_e32 v51, v52
	v_dual_ashrrev_i32 v48, 31, v48 :: v_dual_ashrrev_i32 v49, 31, v49
	v_xor_b32_e32 v6, s1, v6
	v_xor_b32_e32 v7, s3, v7
	v_bitop3_b32 v4, v4, v5, exec_lo bitop3:0x80
	v_cmp_gt_i32_e64 s7, 0, v52
	v_dual_ashrrev_i32 v5, 31, v50 :: v_dual_ashrrev_i32 v50, 31, v51
	v_xor_b32_e32 v48, s4, v48
	v_xor_b32_e32 v49, s5, v49
	v_bitop3_b32 v4, v4, v7, v6 bitop3:0x80
	v_mad_u32_u24 v52, 0x44, v3, v0
	v_xor_b32_e32 v3, s6, v5
	v_xor_b32_e32 v5, s7, v50
	s_delay_alu instid0(VALU_DEP_4) | instskip(SKIP_2) | instid1(VALU_DEP_1)
	v_bitop3_b32 v4, v4, v49, v48 bitop3:0x80
	ds_load_b32 v48, v52 offset:64
	; wave barrier
	v_bitop3_b32 v3, v4, v5, v3 bitop3:0x80
	v_mbcnt_lo_u32_b32 v50, v3, 0
	v_cmp_ne_u32_e64 s0, 0, v3
	s_delay_alu instid0(VALU_DEP_2) | instskip(SKIP_1) | instid1(SALU_CYCLE_1)
	v_cmp_eq_u32_e32 vcc_lo, 0, v50
	s_and_b32 s1, s0, vcc_lo
	s_and_saveexec_b32 s0, s1
	s_cbranch_execz .LBB602_121
; %bb.120:
	s_wait_dscnt 0x0
	v_bcnt_u32_b32 v3, v3, v48
	ds_store_b32 v52, v3 offset:64
.LBB602_121:
	s_or_b32 exec_lo, exec_lo, s0
	v_xor_b32_e32 v49, 0x7fff, v2
	; wave barrier
	s_delay_alu instid0(VALU_DEP_1) | instskip(NEXT) | instid1(VALU_DEP_1)
	v_and_b32_e32 v2, 0xffff, v49
	v_lshrrev_b32_e32 v2, s20, v2
	s_delay_alu instid0(VALU_DEP_1) | instskip(SKIP_1) | instid1(VALU_DEP_2)
	v_bitop3_b32 v3, v2, 1, s9 bitop3:0x80
	v_and_b32_e32 v2, s9, v2
	v_add_co_u32 v3, s0, v3, -1
	s_delay_alu instid0(VALU_DEP_1) | instskip(NEXT) | instid1(VALU_DEP_3)
	v_cndmask_b32_e64 v4, 0, 1, s0
	v_dual_lshlrev_b32 v5, 30, v2 :: v_dual_lshlrev_b32 v6, 29, v2
	s_delay_alu instid0(VALU_DEP_2) | instskip(NEXT) | instid1(VALU_DEP_2)
	v_cmp_ne_u32_e32 vcc_lo, 0, v4
	v_cmp_gt_i32_e64 s0, 0, v5
	v_not_b32_e32 v4, v5
	s_delay_alu instid0(VALU_DEP_4) | instskip(SKIP_1) | instid1(VALU_DEP_3)
	v_not_b32_e32 v5, v6
	v_cmp_gt_i32_e64 s1, 0, v6
	v_dual_ashrrev_i32 v4, 31, v4 :: v_dual_bitop2_b32 v3, vcc_lo, v3 bitop3:0x14
	s_delay_alu instid0(VALU_DEP_3) | instskip(SKIP_2) | instid1(VALU_DEP_3)
	v_dual_ashrrev_i32 v5, 31, v5 :: v_dual_lshlrev_b32 v7, 28, v2
	v_dual_lshlrev_b32 v51, 27, v2 :: v_dual_lshlrev_b32 v53, 26, v2
	v_dual_lshlrev_b32 v54, 25, v2 :: v_dual_lshlrev_b32 v55, 24, v2
	v_not_b32_e32 v6, v7
	v_cmp_gt_i32_e64 s3, 0, v7
	s_delay_alu instid0(VALU_DEP_4)
	v_cmp_gt_i32_e64 s4, 0, v51
	v_not_b32_e32 v7, v51
	v_not_b32_e32 v51, v53
	v_dual_ashrrev_i32 v6, 31, v6 :: v_dual_bitop2_b32 v4, s0, v4 bitop3:0x14
	v_cmp_gt_i32_e64 s5, 0, v53
	v_cmp_gt_i32_e64 s6, 0, v54
	v_not_b32_e32 v53, v54
	v_not_b32_e32 v54, v55
	v_dual_ashrrev_i32 v7, 31, v7 :: v_dual_bitop2_b32 v5, s1, v5 bitop3:0x14
	v_dual_ashrrev_i32 v51, 31, v51 :: v_dual_bitop2_b32 v6, s3, v6 bitop3:0x14
	v_bitop3_b32 v3, v3, v4, exec_lo bitop3:0x80
	v_cmp_gt_i32_e64 s7, 0, v55
	v_dual_ashrrev_i32 v4, 31, v53 :: v_dual_ashrrev_i32 v53, 31, v54
	v_xor_b32_e32 v7, s4, v7
	v_xor_b32_e32 v51, s5, v51
	v_bitop3_b32 v3, v3, v6, v5 bitop3:0x80
	v_mad_u32_u24 v57, 0x44, v2, v0
	v_xor_b32_e32 v2, s6, v4
	v_xor_b32_e32 v4, s7, v53
	s_delay_alu instid0(VALU_DEP_4) | instskip(SKIP_2) | instid1(VALU_DEP_1)
	v_bitop3_b32 v3, v3, v51, v7 bitop3:0x80
	ds_load_b32 v51, v57 offset:64
	; wave barrier
	v_bitop3_b32 v2, v3, v4, v2 bitop3:0x80
	v_mbcnt_lo_u32_b32 v54, v2, 0
	v_cmp_ne_u32_e64 s0, 0, v2
	s_delay_alu instid0(VALU_DEP_2) | instskip(SKIP_1) | instid1(SALU_CYCLE_1)
	v_cmp_eq_u32_e32 vcc_lo, 0, v54
	s_and_b32 s1, s0, vcc_lo
	s_and_saveexec_b32 s0, s1
	s_cbranch_execz .LBB602_123
; %bb.122:
	s_wait_dscnt 0x0
	v_bcnt_u32_b32 v2, v2, v51
	ds_store_b32 v57, v2 offset:64
.LBB602_123:
	s_or_b32 exec_lo, exec_lo, s0
	v_xor_b32_e32 v53, 0x7fff, v1
	; wave barrier
	s_delay_alu instid0(VALU_DEP_1) | instskip(NEXT) | instid1(VALU_DEP_1)
	v_and_b32_e32 v1, 0xffff, v53
	v_lshrrev_b32_e32 v1, s20, v1
	s_delay_alu instid0(VALU_DEP_1) | instskip(SKIP_1) | instid1(VALU_DEP_2)
	v_bitop3_b32 v2, v1, 1, s9 bitop3:0x80
	v_and_b32_e32 v1, s9, v1
	v_add_co_u32 v2, s0, v2, -1
	s_delay_alu instid0(VALU_DEP_1) | instskip(NEXT) | instid1(VALU_DEP_3)
	v_cndmask_b32_e64 v3, 0, 1, s0
	v_dual_lshlrev_b32 v4, 30, v1 :: v_dual_lshlrev_b32 v5, 29, v1
	s_delay_alu instid0(VALU_DEP_2) | instskip(NEXT) | instid1(VALU_DEP_2)
	v_cmp_ne_u32_e32 vcc_lo, 0, v3
	v_cmp_gt_i32_e64 s0, 0, v4
	v_not_b32_e32 v3, v4
	s_delay_alu instid0(VALU_DEP_4) | instskip(SKIP_1) | instid1(VALU_DEP_3)
	v_not_b32_e32 v4, v5
	v_cmp_gt_i32_e64 s1, 0, v5
	v_dual_ashrrev_i32 v3, 31, v3 :: v_dual_bitop2_b32 v2, vcc_lo, v2 bitop3:0x14
	s_delay_alu instid0(VALU_DEP_3) | instskip(SKIP_2) | instid1(VALU_DEP_3)
	v_dual_ashrrev_i32 v4, 31, v4 :: v_dual_lshlrev_b32 v6, 28, v1
	v_dual_lshlrev_b32 v7, 27, v1 :: v_dual_lshlrev_b32 v55, 26, v1
	v_dual_lshlrev_b32 v56, 25, v1 :: v_dual_lshlrev_b32 v58, 24, v1
	v_not_b32_e32 v5, v6
	v_cmp_gt_i32_e64 s3, 0, v6
	s_delay_alu instid0(VALU_DEP_4)
	v_cmp_gt_i32_e64 s4, 0, v7
	v_not_b32_e32 v6, v7
	v_not_b32_e32 v7, v55
	v_dual_ashrrev_i32 v5, 31, v5 :: v_dual_bitop2_b32 v3, s0, v3 bitop3:0x14
	v_cmp_gt_i32_e64 s5, 0, v55
	v_cmp_gt_i32_e64 s6, 0, v56
	v_not_b32_e32 v55, v56
	v_not_b32_e32 v56, v58
	v_dual_ashrrev_i32 v6, 31, v6 :: v_dual_ashrrev_i32 v7, 31, v7
	v_xor_b32_e32 v4, s1, v4
	v_xor_b32_e32 v5, s3, v5
	v_bitop3_b32 v2, v2, v3, exec_lo bitop3:0x80
	v_cmp_gt_i32_e64 s7, 0, v58
	v_dual_ashrrev_i32 v3, 31, v55 :: v_dual_ashrrev_i32 v55, 31, v56
	v_xor_b32_e32 v6, s4, v6
	v_xor_b32_e32 v7, s5, v7
	v_bitop3_b32 v2, v2, v5, v4 bitop3:0x80
	v_mad_u32_u24 v58, 0x44, v1, v0
	v_xor_b32_e32 v0, s6, v3
	v_xor_b32_e32 v1, s7, v55
	s_delay_alu instid0(VALU_DEP_4) | instskip(SKIP_2) | instid1(VALU_DEP_1)
	v_bitop3_b32 v2, v2, v7, v6 bitop3:0x80
	ds_load_b32 v55, v58 offset:64
	; wave barrier
	v_bitop3_b32 v0, v2, v1, v0 bitop3:0x80
	v_mbcnt_lo_u32_b32 v56, v0, 0
	v_cmp_ne_u32_e64 s0, 0, v0
	s_delay_alu instid0(VALU_DEP_2) | instskip(SKIP_1) | instid1(SALU_CYCLE_1)
	v_cmp_eq_u32_e32 vcc_lo, 0, v56
	s_and_b32 s1, s0, vcc_lo
	s_and_saveexec_b32 s0, s1
	s_cbranch_execz .LBB602_125
; %bb.124:
	s_wait_dscnt 0x0
	v_bcnt_u32_b32 v0, v0, v55
	ds_store_b32 v58, v0 offset:64
.LBB602_125:
	s_or_b32 exec_lo, exec_lo, s0
	; wave barrier
	s_wait_dscnt 0x0
	s_barrier_signal -1
	s_barrier_wait -1
	ds_load_2addr_b32 v[6:7], v11 offset0:16 offset1:17
	ds_load_2addr_b32 v[4:5], v11 offset0:18 offset1:19
	;; [unrolled: 1-line block ×4, first 2 shown]
	ds_load_b32 v59, v11 offset:96
	v_min_u32_e32 v16, 0x1e0, v16
	s_mov_b32 s5, exec_lo
	s_delay_alu instid0(VALU_DEP_1) | instskip(SKIP_3) | instid1(VALU_DEP_1)
	v_or_b32_e32 v62, 31, v16
	s_wait_dscnt 0x3
	v_add3_u32 v60, v7, v6, v4
	s_wait_dscnt 0x2
	v_add3_u32 v60, v60, v5, v2
	s_wait_dscnt 0x1
	s_delay_alu instid0(VALU_DEP_1) | instskip(SKIP_1) | instid1(VALU_DEP_1)
	v_add3_u32 v60, v60, v3, v0
	s_wait_dscnt 0x0
	v_add3_u32 v59, v60, v1, v59
	v_and_b32_e32 v60, 15, v15
	s_delay_alu instid0(VALU_DEP_2) | instskip(NEXT) | instid1(VALU_DEP_2)
	v_mov_b32_dpp v61, v59 row_shr:1 row_mask:0xf bank_mask:0xf
	v_cmp_eq_u32_e32 vcc_lo, 0, v60
	v_cmp_lt_u32_e64 s0, 1, v60
	s_delay_alu instid0(VALU_DEP_3) | instskip(NEXT) | instid1(VALU_DEP_1)
	v_cndmask_b32_e64 v61, v61, 0, vcc_lo
	v_add_nc_u32_e32 v59, v61, v59
	s_delay_alu instid0(VALU_DEP_1) | instskip(NEXT) | instid1(VALU_DEP_1)
	v_mov_b32_dpp v61, v59 row_shr:2 row_mask:0xf bank_mask:0xf
	v_cndmask_b32_e64 v61, 0, v61, s0
	v_cmp_lt_u32_e64 s3, 7, v60
	v_cmp_lt_u32_e64 s1, 3, v60
	s_delay_alu instid0(VALU_DEP_3) | instskip(NEXT) | instid1(VALU_DEP_1)
	v_add_nc_u32_e32 v59, v59, v61
	v_mov_b32_dpp v61, v59 row_shr:4 row_mask:0xf bank_mask:0xf
	s_delay_alu instid0(VALU_DEP_1) | instskip(NEXT) | instid1(VALU_DEP_1)
	v_cndmask_b32_e64 v61, 0, v61, s1
	v_add_nc_u32_e32 v59, v59, v61
	s_delay_alu instid0(VALU_DEP_1) | instskip(NEXT) | instid1(VALU_DEP_1)
	v_mov_b32_dpp v61, v59 row_shr:8 row_mask:0xf bank_mask:0xf
	v_cndmask_b32_e64 v60, 0, v61, s3
	v_bfe_i32 v61, v15, 4, 1
	s_delay_alu instid0(VALU_DEP_2) | instskip(SKIP_3) | instid1(VALU_DEP_1)
	v_add_nc_u32_e32 v60, v59, v60
	ds_swizzle_b32 v59, v60 offset:swizzle(BROADCAST,32,15)
	s_wait_dscnt 0x0
	v_dual_lshrrev_b32 v59, 5, v14 :: v_dual_bitop2_b32 v61, v61, v59 bitop3:0x40
	v_add_nc_u32_e32 v16, v60, v61
	v_cmpx_eq_u32_e64 v14, v62
; %bb.126:
	s_delay_alu instid0(VALU_DEP_3)
	v_lshlrev_b32_e32 v60, 2, v59
	ds_store_b32 v60, v16
; %bb.127:
	s_or_b32 exec_lo, exec_lo, s5
	s_delay_alu instid0(SALU_CYCLE_1)
	s_mov_b32 s5, exec_lo
	s_wait_dscnt 0x0
	s_barrier_signal -1
	s_barrier_wait -1
	v_cmpx_gt_u32_e32 16, v14
	s_cbranch_execz .LBB602_129
; %bb.128:
	v_lshlrev_b32_e32 v60, 2, v14
	ds_load_b32 v61, v60
	s_wait_dscnt 0x0
	v_mov_b32_dpp v62, v61 row_shr:1 row_mask:0xf bank_mask:0xf
	s_delay_alu instid0(VALU_DEP_1) | instskip(NEXT) | instid1(VALU_DEP_1)
	v_cndmask_b32_e64 v62, v62, 0, vcc_lo
	v_add_nc_u32_e32 v61, v62, v61
	s_delay_alu instid0(VALU_DEP_1) | instskip(NEXT) | instid1(VALU_DEP_1)
	v_mov_b32_dpp v62, v61 row_shr:2 row_mask:0xf bank_mask:0xf
	v_cndmask_b32_e64 v62, 0, v62, s0
	s_delay_alu instid0(VALU_DEP_1) | instskip(NEXT) | instid1(VALU_DEP_1)
	v_add_nc_u32_e32 v61, v61, v62
	v_mov_b32_dpp v62, v61 row_shr:4 row_mask:0xf bank_mask:0xf
	s_delay_alu instid0(VALU_DEP_1) | instskip(NEXT) | instid1(VALU_DEP_1)
	v_cndmask_b32_e64 v62, 0, v62, s1
	v_add_nc_u32_e32 v61, v61, v62
	s_delay_alu instid0(VALU_DEP_1) | instskip(NEXT) | instid1(VALU_DEP_1)
	v_mov_b32_dpp v62, v61 row_shr:8 row_mask:0xf bank_mask:0xf
	v_cndmask_b32_e64 v62, 0, v62, s3
	s_delay_alu instid0(VALU_DEP_1)
	v_add_nc_u32_e32 v61, v61, v62
	ds_store_b32 v60, v61
.LBB602_129:
	s_or_b32 exec_lo, exec_lo, s5
	v_mov_b32_e32 v60, 0
	s_mov_b32 s0, exec_lo
	s_wait_dscnt 0x0
	s_barrier_signal -1
	s_barrier_wait -1
	v_cmpx_lt_u32_e32 31, v14
; %bb.130:
	v_lshl_add_u32 v59, v59, 2, -4
	ds_load_b32 v60, v59
; %bb.131:
	s_or_b32 exec_lo, exec_lo, s0
	v_sub_co_u32 v59, vcc_lo, v15, 1
	s_wait_dscnt 0x0
	v_add_nc_u32_e32 v16, v60, v16
	s_delay_alu instid0(VALU_DEP_2) | instskip(NEXT) | instid1(VALU_DEP_1)
	v_cmp_gt_i32_e64 s0, 0, v59
	v_cndmask_b32_e64 v15, v59, v15, s0
	v_cmp_gt_u32_e64 s0, 0x100, v14
	s_delay_alu instid0(VALU_DEP_2) | instskip(SKIP_4) | instid1(VALU_DEP_2)
	v_lshlrev_b32_e32 v15, 2, v15
	ds_bpermute_b32 v15, v15, v16
	s_wait_dscnt 0x0
	v_cndmask_b32_e32 v15, v15, v60, vcc_lo
	v_cmp_lt_u32_e32 vcc_lo, 0xff, v14
	v_cndmask_b32_e64 v15, v15, 0, s2
	s_delay_alu instid0(VALU_DEP_1) | instskip(NEXT) | instid1(VALU_DEP_1)
	v_add_nc_u32_e32 v6, v15, v6
	v_add_nc_u32_e32 v7, v6, v7
	s_delay_alu instid0(VALU_DEP_1) | instskip(NEXT) | instid1(VALU_DEP_1)
	v_add_nc_u32_e32 v4, v7, v4
	v_add_nc_u32_e32 v5, v4, v5
	;; [unrolled: 3-line block ×4, first 2 shown]
	ds_store_2addr_b32 v11, v15, v6 offset0:16 offset1:17
	ds_store_2addr_b32 v11, v7, v4 offset0:18 offset1:19
	;; [unrolled: 1-line block ×4, first 2 shown]
	ds_store_b32 v11, v1 offset:96
	s_wait_dscnt 0x0
	s_barrier_signal -1
	s_barrier_wait -1
	ds_load_b32 v59, v12 offset:64
	ds_load_b32 v60, v19 offset:64
	;; [unrolled: 1-line block ×12, first 2 shown]
	v_mov_b64_e32 v[0:1], 0
                                        ; implicit-def: $vgpr2
	s_and_saveexec_b32 s2, s0
	s_cbranch_execz .LBB602_135
; %bb.132:
	v_mul_u32_u24_e32 v0, 0x44, v14
	v_dual_mov_b32 v1, 0x1800 :: v_dual_add_nc_u32 v2, 1, v14
	s_mov_b32 s3, exec_lo
	ds_load_b32 v0, v0 offset:64
	v_cmpx_ne_u32_e32 0x100, v2
; %bb.133:
	v_mul_u32_u24_e32 v1, 0x44, v2
	ds_load_b32 v1, v1 offset:64
; %bb.134:
	s_or_b32 exec_lo, exec_lo, s3
	s_wait_dscnt 0x0
	v_dual_mov_b32 v1, 0 :: v_dual_sub_nc_u32 v2, v1, v0
.LBB602_135:
	s_or_b32 exec_lo, exec_lo, s2
	s_wait_dscnt 0xa
	v_dual_lshlrev_b32 v9, 1, v9 :: v_dual_lshlrev_b32 v23, 1, v60
	v_dual_lshlrev_b32 v18, 1, v18 :: v_dual_lshlrev_b32 v17, 1, v17
	v_lshlrev_b32_e32 v21, 1, v21
	s_delay_alu instid0(VALU_DEP_3)
	v_lshl_add_u32 v9, v59, 1, v9
	s_wait_dscnt 0x0
	s_barrier_signal -1
	v_add3_u32 v17, v23, v18, v17
	v_dual_lshlrev_b32 v18, 1, v19 :: v_dual_lshlrev_b32 v19, 1, v22
	s_barrier_wait -1
	ds_store_b16 v9, v8 offset:2048
	ds_store_b16 v17, v10 offset:2048
	v_lshlrev_b32_e32 v9, 1, v16
	v_add3_u32 v8, v18, v19, v21
	v_dual_lshlrev_b32 v10, 1, v26 :: v_dual_lshlrev_b32 v16, 1, v25
	v_dual_lshlrev_b32 v18, 1, v28 :: v_dual_lshlrev_b32 v19, 1, v34
	v_dual_lshlrev_b32 v12, 1, v12 :: v_dual_lshlrev_b32 v11, 1, v11
	v_dual_lshlrev_b32 v21, 1, v32 :: v_dual_lshlrev_b32 v22, 1, v38
	v_dual_lshlrev_b32 v15, 1, v15 :: v_dual_lshlrev_b32 v17, 1, v30
	v_dual_lshlrev_b32 v23, 1, v37 :: v_dual_lshlrev_b32 v7, 1, v7
	ds_store_b16 v8, v13 offset:2048
	v_add3_u32 v8, v9, v10, v16
	v_add3_u32 v10, v12, v19, v21
	v_dual_lshlrev_b32 v12, 1, v42 :: v_dual_lshlrev_b32 v13, 1, v41
	v_add3_u32 v9, v15, v17, v18
	v_add3_u32 v11, v11, v22, v23
	ds_store_b16 v8, v20 offset:2048
	ds_store_b16 v9, v24 offset:2048
	;; [unrolled: 1-line block ×4, first 2 shown]
	v_add3_u32 v7, v7, v12, v13
	v_dual_lshlrev_b32 v6, 1, v6 :: v_dual_lshlrev_b32 v9, 1, v45
	v_dual_lshlrev_b32 v8, 1, v46 :: v_dual_lshlrev_b32 v5, 1, v5
	;; [unrolled: 1-line block ×4, first 2 shown]
	v_lshlrev_b32_e32 v3, 1, v3
	v_dual_lshlrev_b32 v16, 1, v55 :: v_dual_lshlrev_b32 v4, 1, v4
	v_lshlrev_b32_e32 v12, 1, v54
	ds_store_b16 v7, v36 offset:2048
	v_add3_u32 v6, v6, v8, v9
	v_add3_u32 v7, v5, v10, v11
	v_mov_b32_e32 v5, 0
	v_add3_u32 v8, v3, v15, v16
	v_lshlrev_b32_e32 v3, 3, v14
	v_add3_u32 v4, v4, v12, v13
	ds_store_b16 v6, v40 offset:2048
	ds_store_b16 v7, v44 offset:2048
	;; [unrolled: 1-line block ×4, first 2 shown]
	s_and_saveexec_b32 s1, s0
	s_cbranch_execz .LBB602_145
; %bb.136:
	v_lshl_add_u32 v4, s23, 8, v14
	v_dual_mov_b32 v8, 0 :: v_dual_bitop2_b32 v9, 2.0, v2 bitop3:0x54
	s_mov_b32 s2, 0
	s_mov_b32 s3, s23
	s_delay_alu instid0(VALU_DEP_2)
	v_lshl_add_u64 v[6:7], v[4:5], 2, s[10:11]
	global_store_b32 v4, v9, s[10:11] scale_offset scope:SCOPE_DEV
                                        ; implicit-def: $sgpr0
	s_branch .LBB602_139
.LBB602_137:                            ;   in Loop: Header=BB602_139 Depth=1
	s_or_b32 exec_lo, exec_lo, s5
.LBB602_138:                            ;   in Loop: Header=BB602_139 Depth=1
	s_delay_alu instid0(SALU_CYCLE_1) | instskip(SKIP_2) | instid1(VALU_DEP_2)
	s_or_b32 exec_lo, exec_lo, s4
	v_and_b32_e32 v4, 0x3fffffff, v9
	v_cmp_gt_i32_e64 s0, -2.0, v9
	v_add_nc_u32_e32 v8, v4, v8
	s_and_b32 s4, exec_lo, s0
	s_delay_alu instid0(SALU_CYCLE_1) | instskip(NEXT) | instid1(SALU_CYCLE_1)
	s_or_b32 s2, s4, s2
	s_and_not1_b32 exec_lo, exec_lo, s2
	s_cbranch_execz .LBB602_144
.LBB602_139:                            ; =>This Loop Header: Depth=1
                                        ;     Child Loop BB602_142 Depth 2
	s_or_b32 s0, s0, exec_lo
	s_cmp_eq_u32 s3, 0
	s_cbranch_scc1 .LBB602_143
; %bb.140:                              ;   in Loop: Header=BB602_139 Depth=1
	s_add_co_i32 s3, s3, -1
	s_mov_b32 s4, exec_lo
	s_wait_xcnt 0x0
	v_lshl_or_b32 v4, s3, 8, v14
	global_load_b32 v9, v4, s[10:11] scale_offset scope:SCOPE_DEV
	s_wait_loadcnt 0x0
	v_cmpx_gt_u32_e32 2.0, v9
	s_cbranch_execz .LBB602_138
; %bb.141:                              ;   in Loop: Header=BB602_139 Depth=1
	v_lshl_add_u64 v[10:11], v[4:5], 2, s[10:11]
	s_mov_b32 s5, 0
.LBB602_142:                            ;   Parent Loop BB602_139 Depth=1
                                        ; =>  This Inner Loop Header: Depth=2
	global_load_b32 v9, v[10:11], off scope:SCOPE_DEV
	s_wait_loadcnt 0x0
	v_cmp_lt_u32_e64 s0, 0x3fffffff, v9
	s_or_b32 s5, s0, s5
	s_wait_xcnt 0x0
	s_and_not1_b32 exec_lo, exec_lo, s5
	s_cbranch_execnz .LBB602_142
	s_branch .LBB602_137
.LBB602_143:                            ;   in Loop: Header=BB602_139 Depth=1
                                        ; implicit-def: $sgpr3
	s_and_b32 s4, exec_lo, s0
	s_delay_alu instid0(SALU_CYCLE_1)
	s_or_b32 s2, s4, s2
	s_wait_xcnt 0x0
	s_and_not1_b32 exec_lo, exec_lo, s2
	s_cbranch_execnz .LBB602_139
.LBB602_144:
	s_or_b32 exec_lo, exec_lo, s2
	v_dual_mov_b32 v9, 0 :: v_dual_add_nc_u32 v4, v8, v2
	s_delay_alu instid0(VALU_DEP_1) | instskip(SKIP_4) | instid1(VALU_DEP_1)
	v_or_b32_e32 v4, 0x80000000, v4
	global_store_b32 v[6:7], v4, off scope:SCOPE_DEV
	global_load_b64 v[4:5], v14, s[12:13] scale_offset
	v_sub_nc_u64_e32 v[6:7], v[8:9], v[0:1]
	s_wait_loadcnt 0x0
	v_add_nc_u64_e32 v[4:5], v[6:7], v[4:5]
	ds_store_b64 v3, v[4:5]
.LBB602_145:
	s_wait_xcnt 0x0
	s_or_b32 exec_lo, exec_lo, s1
	v_mad_i32_i24 v15, v14, -6, v3
	s_wait_storecnt_dscnt 0x0
	s_barrier_signal -1
	s_barrier_wait -1
	ds_load_u16 v6, v15 offset:2048
	ds_load_u16 v7, v15 offset:3072
	;; [unrolled: 1-line block ×8, first 2 shown]
	v_dual_mov_b32 v5, 0 :: v_dual_lshlrev_b32 v4, 1, v14
	s_add_co_i32 s8, s8, -1
	s_delay_alu instid0(SALU_CYCLE_1) | instskip(SKIP_2) | instid1(SALU_CYCLE_1)
	s_cmp_eq_u32 s23, s8
	s_cselect_b32 s0, -1, 0
	s_xor_b32 s1, vcc_lo, -1
	s_and_b32 s0, s1, s0
	s_wait_dscnt 0x7
	v_and_b32_e32 v10, 0xffff, v6
	v_xor_b32_e32 v20, 0x7fff, v6
	s_wait_dscnt 0x6
	v_and_b32_e32 v6, 0xffff, v7
	v_xor_b32_e32 v21, 0x7fff, v7
	;; [unrolled: 3-line block ×4, first 2 shown]
	s_wait_dscnt 0x3
	v_and_b32_e32 v9, 0xffff, v22
	v_dual_lshrrev_b32 v10, s20, v10 :: v_dual_lshrrev_b32 v7, s20, v7
	v_dual_lshrrev_b32 v6, s20, v6 :: v_dual_lshrrev_b32 v8, s20, v8
	s_wait_dscnt 0x2
	v_and_b32_e32 v11, 0xffff, v24
	s_delay_alu instid0(VALU_DEP_3) | instskip(NEXT) | instid1(VALU_DEP_3)
	v_dual_lshrrev_b32 v16, s20, v9 :: v_dual_bitop2_b32 v9, s9, v10 bitop3:0x40
	v_and_b32_e32 v6, s9, v6
	v_and_b32_e32 v7, s9, v7
	s_wait_dscnt 0x1
	v_and_b32_e32 v12, 0xffff, v26
	s_wait_dscnt 0x0
	v_and_b32_e32 v13, 0xffff, v27
	v_dual_lshrrev_b32 v17, s20, v11 :: v_dual_bitop2_b32 v18, s9, v8 bitop3:0x40
	v_dual_lshlrev_b32 v8, 3, v9 :: v_dual_lshlrev_b32 v9, 3, v6
	v_dual_lshlrev_b32 v10, 3, v7 :: v_dual_lshrrev_b32 v12, s20, v12
	ds_load_u16 v29, v15 offset:10240
	ds_load_u16 v30, v15 offset:11264
	;; [unrolled: 1-line block ×3, first 2 shown]
	ds_load_b64 v[6:7], v8
	ds_load_b64 v[8:9], v9
	;; [unrolled: 1-line block ×3, first 2 shown]
	v_dual_lshrrev_b32 v13, s20, v13 :: v_dual_bitop2_b32 v16, s9, v16 bitop3:0x40
	v_dual_lshlrev_b32 v18, 3, v18 :: v_dual_bitop2_b32 v17, s9, v17 bitop3:0x40
	v_and_b32_e32 v19, s9, v12
	s_delay_alu instid0(VALU_DEP_3)
	v_dual_lshlrev_b32 v16, 3, v16 :: v_dual_bitop2_b32 v25, s9, v13 bitop3:0x40
	ds_load_b64 v[12:13], v18
	v_dual_lshlrev_b32 v18, 3, v17 :: v_dual_lshlrev_b32 v32, 3, v19
	v_lshlrev_b32_e32 v25, 3, v25
	ds_load_u16 v15, v15 offset:13312
	ds_load_b64 v[16:17], v16
	ds_load_b64 v[18:19], v18
	s_wait_dscnt 0x9
	v_and_b32_e32 v33, 0xffff, v29
	s_wait_dscnt 0x8
	v_and_b32_e32 v34, 0xffff, v30
	;; [unrolled: 2-line block ×3, first 2 shown]
	s_wait_dscnt 0x6
	v_lshl_add_u64 v[6:7], v[6:7], 1, s[18:19]
	s_wait_dscnt 0x5
	v_lshl_add_u64 v[8:9], v[8:9], 1, s[18:19]
	;; [unrolled: 2-line block ×3, first 2 shown]
	v_dual_lshrrev_b32 v33, s20, v33 :: v_dual_lshrrev_b32 v34, s20, v34
	v_add_nc_u64_e32 v[6:7], v[6:7], v[4:5]
	v_add_nc_u64_e32 v[8:9], v[8:9], v[4:5]
	s_delay_alu instid0(VALU_DEP_4) | instskip(NEXT) | instid1(VALU_DEP_4)
	v_add_nc_u64_e32 v[10:11], v[10:11], v[4:5]
	v_and_b32_e32 v33, s9, v33
	s_clause 0x2
	global_store_b16 v[6:7], v20, off
	global_store_b16 v[8:9], v21, off offset:1024
	global_store_b16 v[10:11], v23, off offset:2048
	s_wait_dscnt 0x2
	s_wait_xcnt 0x0
	v_and_b32_e32 v10, 0xffff, v15
	v_dual_lshrrev_b32 v21, s20, v35 :: v_dual_bitop2_b32 v34, s9, v34 bitop3:0x40
	v_lshlrev_b32_e32 v20, 3, v33
	ds_load_b64 v[6:7], v32
	ds_load_b64 v[8:9], v25
	v_lshrrev_b32_e32 v25, s20, v10
	s_wait_dscnt 0x3
	v_lshl_add_u64 v[10:11], v[16:17], 1, s[18:19]
	v_dual_lshlrev_b32 v23, 3, v34 :: v_dual_bitop2_b32 v32, s9, v21 bitop3:0x40
	ds_load_b64 v[16:17], v20
	v_xor_b32_e32 v33, 0x7fff, v22
	v_xor_b32_e32 v34, 0x7fff, v24
	ds_load_b64 v[20:21], v23
	v_dual_lshlrev_b32 v25, 3, v32 :: v_dual_bitop2_b32 v23, s9, v25 bitop3:0x40
	v_lshl_add_u64 v[12:13], v[12:13], 1, s[18:19]
	s_wait_dscnt 0x4
	v_lshl_add_u64 v[18:19], v[18:19], 1, s[18:19]
	v_add_nc_u64_e32 v[10:11], v[10:11], v[4:5]
	v_lshlrev_b32_e32 v32, 3, v23
	ds_load_b64 v[22:23], v25
	v_add_nc_u64_e32 v[12:13], v[12:13], v[4:5]
	v_add_nc_u64_e32 v[18:19], v[18:19], v[4:5]
	ds_load_b64 v[24:25], v32
	s_wait_dscnt 0x5
	v_lshl_add_u64 v[6:7], v[6:7], 1, s[18:19]
	s_wait_dscnt 0x4
	v_lshl_add_u64 v[8:9], v[8:9], 1, s[18:19]
	s_clause 0x2
	global_store_b16 v[12:13], v28, off offset:3072
	global_store_b16 v[10:11], v33, off offset:4096
	;; [unrolled: 1-line block ×3, first 2 shown]
	v_add_nc_u64_e32 v[6:7], v[6:7], v[4:5]
	v_add_nc_u64_e32 v[8:9], v[8:9], v[4:5]
	s_wait_xcnt 0x0
	v_xor_b32_e32 v18, 0x7fff, v26
	s_wait_dscnt 0x3
	v_lshl_add_u64 v[10:11], v[16:17], 1, s[18:19]
	v_xor_b32_e32 v16, 0x7fff, v27
	s_wait_dscnt 0x2
	v_lshl_add_u64 v[12:13], v[20:21], 1, s[18:19]
	v_xor_b32_e32 v17, 0x7fff, v29
	global_store_b16 v[6:7], v18, off offset:6144
	v_add_nc_u64_e32 v[10:11], v[10:11], v[4:5]
	global_store_b16 v[8:9], v16, off offset:7168
	s_wait_dscnt 0x1
	s_wait_xcnt 0x1
	v_lshl_add_u64 v[6:7], v[22:23], 1, s[18:19]
	v_add_nc_u64_e32 v[12:13], v[12:13], v[4:5]
	v_xor_b32_e32 v18, 0x7fff, v30
	s_wait_dscnt 0x0
	s_wait_xcnt 0x0
	v_lshl_add_u64 v[8:9], v[24:25], 1, s[18:19]
	v_add_nc_u64_e32 v[6:7], v[6:7], v[4:5]
	global_store_b16 v[10:11], v17, off offset:8192
	s_wait_xcnt 0x0
	v_xor_b32_e32 v10, 0x7fff, v31
	global_store_b16 v[12:13], v18, off offset:9216
	v_add_nc_u64_e32 v[8:9], v[8:9], v[4:5]
	v_xor_b32_e32 v4, 0x7fff, v15
	s_clause 0x1
	global_store_b16 v[6:7], v10, off offset:10240
	global_store_b16 v[8:9], v4, off offset:11264
	s_wait_xcnt 0x0
	s_and_saveexec_b32 s1, s0
	s_cbranch_execz .LBB602_147
; %bb.146:
	ds_load_b64 v[6:7], v3
	v_mov_b32_e32 v3, v5
	s_delay_alu instid0(VALU_DEP_1) | instskip(SKIP_1) | instid1(VALU_DEP_1)
	v_add_nc_u64_e32 v[0:1], v[0:1], v[2:3]
	s_wait_dscnt 0x0
	v_add_nc_u64_e32 v[0:1], v[0:1], v[6:7]
	global_store_b64 v14, v[0:1], s[14:15] scale_offset
.LBB602_147:
	s_sendmsg sendmsg(MSG_DEALLOC_VGPRS)
	s_endpgm
	.section	.rodata,"a",@progbits
	.p2align	6, 0x0
	.amdhsa_kernel _ZN7rocprim17ROCPRIM_400000_NS6detail17trampoline_kernelINS0_14default_configENS1_35radix_sort_onesweep_config_selectorIsNS0_10empty_typeEEEZZNS1_29radix_sort_onesweep_iterationIS3_Lb1EPKsPsPS5_SB_mNS0_19identity_decomposerENS1_16block_id_wrapperIjLb1EEEEE10hipError_tT1_PNSt15iterator_traitsISG_E10value_typeET2_T3_PNSH_ISM_E10value_typeET4_T5_PSR_SS_PNS1_23onesweep_lookback_stateEbbT6_jjT7_P12ihipStream_tbENKUlT_T0_SG_SL_E_clIS9_SA_SB_SB_EEDaSZ_S10_SG_SL_EUlSZ_E_NS1_11comp_targetILNS1_3genE0ELNS1_11target_archE4294967295ELNS1_3gpuE0ELNS1_3repE0EEENS1_47radix_sort_onesweep_sort_config_static_selectorELNS0_4arch9wavefront6targetE0EEEvSG_
		.amdhsa_group_segment_fixed_size 18504
		.amdhsa_private_segment_fixed_size 0
		.amdhsa_kernarg_size 344
		.amdhsa_user_sgpr_count 2
		.amdhsa_user_sgpr_dispatch_ptr 0
		.amdhsa_user_sgpr_queue_ptr 0
		.amdhsa_user_sgpr_kernarg_segment_ptr 1
		.amdhsa_user_sgpr_dispatch_id 0
		.amdhsa_user_sgpr_kernarg_preload_length 0
		.amdhsa_user_sgpr_kernarg_preload_offset 0
		.amdhsa_user_sgpr_private_segment_size 0
		.amdhsa_wavefront_size32 1
		.amdhsa_uses_dynamic_stack 0
		.amdhsa_enable_private_segment 0
		.amdhsa_system_sgpr_workgroup_id_x 1
		.amdhsa_system_sgpr_workgroup_id_y 0
		.amdhsa_system_sgpr_workgroup_id_z 0
		.amdhsa_system_sgpr_workgroup_info 0
		.amdhsa_system_vgpr_workitem_id 2
		.amdhsa_next_free_vgpr 65
		.amdhsa_next_free_sgpr 30
		.amdhsa_named_barrier_count 0
		.amdhsa_reserve_vcc 1
		.amdhsa_float_round_mode_32 0
		.amdhsa_float_round_mode_16_64 0
		.amdhsa_float_denorm_mode_32 3
		.amdhsa_float_denorm_mode_16_64 3
		.amdhsa_fp16_overflow 0
		.amdhsa_memory_ordered 1
		.amdhsa_forward_progress 1
		.amdhsa_inst_pref_size 137
		.amdhsa_round_robin_scheduling 0
		.amdhsa_exception_fp_ieee_invalid_op 0
		.amdhsa_exception_fp_denorm_src 0
		.amdhsa_exception_fp_ieee_div_zero 0
		.amdhsa_exception_fp_ieee_overflow 0
		.amdhsa_exception_fp_ieee_underflow 0
		.amdhsa_exception_fp_ieee_inexact 0
		.amdhsa_exception_int_div_zero 0
	.end_amdhsa_kernel
	.section	.text._ZN7rocprim17ROCPRIM_400000_NS6detail17trampoline_kernelINS0_14default_configENS1_35radix_sort_onesweep_config_selectorIsNS0_10empty_typeEEEZZNS1_29radix_sort_onesweep_iterationIS3_Lb1EPKsPsPS5_SB_mNS0_19identity_decomposerENS1_16block_id_wrapperIjLb1EEEEE10hipError_tT1_PNSt15iterator_traitsISG_E10value_typeET2_T3_PNSH_ISM_E10value_typeET4_T5_PSR_SS_PNS1_23onesweep_lookback_stateEbbT6_jjT7_P12ihipStream_tbENKUlT_T0_SG_SL_E_clIS9_SA_SB_SB_EEDaSZ_S10_SG_SL_EUlSZ_E_NS1_11comp_targetILNS1_3genE0ELNS1_11target_archE4294967295ELNS1_3gpuE0ELNS1_3repE0EEENS1_47radix_sort_onesweep_sort_config_static_selectorELNS0_4arch9wavefront6targetE0EEEvSG_,"axG",@progbits,_ZN7rocprim17ROCPRIM_400000_NS6detail17trampoline_kernelINS0_14default_configENS1_35radix_sort_onesweep_config_selectorIsNS0_10empty_typeEEEZZNS1_29radix_sort_onesweep_iterationIS3_Lb1EPKsPsPS5_SB_mNS0_19identity_decomposerENS1_16block_id_wrapperIjLb1EEEEE10hipError_tT1_PNSt15iterator_traitsISG_E10value_typeET2_T3_PNSH_ISM_E10value_typeET4_T5_PSR_SS_PNS1_23onesweep_lookback_stateEbbT6_jjT7_P12ihipStream_tbENKUlT_T0_SG_SL_E_clIS9_SA_SB_SB_EEDaSZ_S10_SG_SL_EUlSZ_E_NS1_11comp_targetILNS1_3genE0ELNS1_11target_archE4294967295ELNS1_3gpuE0ELNS1_3repE0EEENS1_47radix_sort_onesweep_sort_config_static_selectorELNS0_4arch9wavefront6targetE0EEEvSG_,comdat
.Lfunc_end602:
	.size	_ZN7rocprim17ROCPRIM_400000_NS6detail17trampoline_kernelINS0_14default_configENS1_35radix_sort_onesweep_config_selectorIsNS0_10empty_typeEEEZZNS1_29radix_sort_onesweep_iterationIS3_Lb1EPKsPsPS5_SB_mNS0_19identity_decomposerENS1_16block_id_wrapperIjLb1EEEEE10hipError_tT1_PNSt15iterator_traitsISG_E10value_typeET2_T3_PNSH_ISM_E10value_typeET4_T5_PSR_SS_PNS1_23onesweep_lookback_stateEbbT6_jjT7_P12ihipStream_tbENKUlT_T0_SG_SL_E_clIS9_SA_SB_SB_EEDaSZ_S10_SG_SL_EUlSZ_E_NS1_11comp_targetILNS1_3genE0ELNS1_11target_archE4294967295ELNS1_3gpuE0ELNS1_3repE0EEENS1_47radix_sort_onesweep_sort_config_static_selectorELNS0_4arch9wavefront6targetE0EEEvSG_, .Lfunc_end602-_ZN7rocprim17ROCPRIM_400000_NS6detail17trampoline_kernelINS0_14default_configENS1_35radix_sort_onesweep_config_selectorIsNS0_10empty_typeEEEZZNS1_29radix_sort_onesweep_iterationIS3_Lb1EPKsPsPS5_SB_mNS0_19identity_decomposerENS1_16block_id_wrapperIjLb1EEEEE10hipError_tT1_PNSt15iterator_traitsISG_E10value_typeET2_T3_PNSH_ISM_E10value_typeET4_T5_PSR_SS_PNS1_23onesweep_lookback_stateEbbT6_jjT7_P12ihipStream_tbENKUlT_T0_SG_SL_E_clIS9_SA_SB_SB_EEDaSZ_S10_SG_SL_EUlSZ_E_NS1_11comp_targetILNS1_3genE0ELNS1_11target_archE4294967295ELNS1_3gpuE0ELNS1_3repE0EEENS1_47radix_sort_onesweep_sort_config_static_selectorELNS0_4arch9wavefront6targetE0EEEvSG_
                                        ; -- End function
	.set _ZN7rocprim17ROCPRIM_400000_NS6detail17trampoline_kernelINS0_14default_configENS1_35radix_sort_onesweep_config_selectorIsNS0_10empty_typeEEEZZNS1_29radix_sort_onesweep_iterationIS3_Lb1EPKsPsPS5_SB_mNS0_19identity_decomposerENS1_16block_id_wrapperIjLb1EEEEE10hipError_tT1_PNSt15iterator_traitsISG_E10value_typeET2_T3_PNSH_ISM_E10value_typeET4_T5_PSR_SS_PNS1_23onesweep_lookback_stateEbbT6_jjT7_P12ihipStream_tbENKUlT_T0_SG_SL_E_clIS9_SA_SB_SB_EEDaSZ_S10_SG_SL_EUlSZ_E_NS1_11comp_targetILNS1_3genE0ELNS1_11target_archE4294967295ELNS1_3gpuE0ELNS1_3repE0EEENS1_47radix_sort_onesweep_sort_config_static_selectorELNS0_4arch9wavefront6targetE0EEEvSG_.num_vgpr, 65
	.set _ZN7rocprim17ROCPRIM_400000_NS6detail17trampoline_kernelINS0_14default_configENS1_35radix_sort_onesweep_config_selectorIsNS0_10empty_typeEEEZZNS1_29radix_sort_onesweep_iterationIS3_Lb1EPKsPsPS5_SB_mNS0_19identity_decomposerENS1_16block_id_wrapperIjLb1EEEEE10hipError_tT1_PNSt15iterator_traitsISG_E10value_typeET2_T3_PNSH_ISM_E10value_typeET4_T5_PSR_SS_PNS1_23onesweep_lookback_stateEbbT6_jjT7_P12ihipStream_tbENKUlT_T0_SG_SL_E_clIS9_SA_SB_SB_EEDaSZ_S10_SG_SL_EUlSZ_E_NS1_11comp_targetILNS1_3genE0ELNS1_11target_archE4294967295ELNS1_3gpuE0ELNS1_3repE0EEENS1_47radix_sort_onesweep_sort_config_static_selectorELNS0_4arch9wavefront6targetE0EEEvSG_.num_agpr, 0
	.set _ZN7rocprim17ROCPRIM_400000_NS6detail17trampoline_kernelINS0_14default_configENS1_35radix_sort_onesweep_config_selectorIsNS0_10empty_typeEEEZZNS1_29radix_sort_onesweep_iterationIS3_Lb1EPKsPsPS5_SB_mNS0_19identity_decomposerENS1_16block_id_wrapperIjLb1EEEEE10hipError_tT1_PNSt15iterator_traitsISG_E10value_typeET2_T3_PNSH_ISM_E10value_typeET4_T5_PSR_SS_PNS1_23onesweep_lookback_stateEbbT6_jjT7_P12ihipStream_tbENKUlT_T0_SG_SL_E_clIS9_SA_SB_SB_EEDaSZ_S10_SG_SL_EUlSZ_E_NS1_11comp_targetILNS1_3genE0ELNS1_11target_archE4294967295ELNS1_3gpuE0ELNS1_3repE0EEENS1_47radix_sort_onesweep_sort_config_static_selectorELNS0_4arch9wavefront6targetE0EEEvSG_.numbered_sgpr, 30
	.set _ZN7rocprim17ROCPRIM_400000_NS6detail17trampoline_kernelINS0_14default_configENS1_35radix_sort_onesweep_config_selectorIsNS0_10empty_typeEEEZZNS1_29radix_sort_onesweep_iterationIS3_Lb1EPKsPsPS5_SB_mNS0_19identity_decomposerENS1_16block_id_wrapperIjLb1EEEEE10hipError_tT1_PNSt15iterator_traitsISG_E10value_typeET2_T3_PNSH_ISM_E10value_typeET4_T5_PSR_SS_PNS1_23onesweep_lookback_stateEbbT6_jjT7_P12ihipStream_tbENKUlT_T0_SG_SL_E_clIS9_SA_SB_SB_EEDaSZ_S10_SG_SL_EUlSZ_E_NS1_11comp_targetILNS1_3genE0ELNS1_11target_archE4294967295ELNS1_3gpuE0ELNS1_3repE0EEENS1_47radix_sort_onesweep_sort_config_static_selectorELNS0_4arch9wavefront6targetE0EEEvSG_.num_named_barrier, 0
	.set _ZN7rocprim17ROCPRIM_400000_NS6detail17trampoline_kernelINS0_14default_configENS1_35radix_sort_onesweep_config_selectorIsNS0_10empty_typeEEEZZNS1_29radix_sort_onesweep_iterationIS3_Lb1EPKsPsPS5_SB_mNS0_19identity_decomposerENS1_16block_id_wrapperIjLb1EEEEE10hipError_tT1_PNSt15iterator_traitsISG_E10value_typeET2_T3_PNSH_ISM_E10value_typeET4_T5_PSR_SS_PNS1_23onesweep_lookback_stateEbbT6_jjT7_P12ihipStream_tbENKUlT_T0_SG_SL_E_clIS9_SA_SB_SB_EEDaSZ_S10_SG_SL_EUlSZ_E_NS1_11comp_targetILNS1_3genE0ELNS1_11target_archE4294967295ELNS1_3gpuE0ELNS1_3repE0EEENS1_47radix_sort_onesweep_sort_config_static_selectorELNS0_4arch9wavefront6targetE0EEEvSG_.private_seg_size, 0
	.set _ZN7rocprim17ROCPRIM_400000_NS6detail17trampoline_kernelINS0_14default_configENS1_35radix_sort_onesweep_config_selectorIsNS0_10empty_typeEEEZZNS1_29radix_sort_onesweep_iterationIS3_Lb1EPKsPsPS5_SB_mNS0_19identity_decomposerENS1_16block_id_wrapperIjLb1EEEEE10hipError_tT1_PNSt15iterator_traitsISG_E10value_typeET2_T3_PNSH_ISM_E10value_typeET4_T5_PSR_SS_PNS1_23onesweep_lookback_stateEbbT6_jjT7_P12ihipStream_tbENKUlT_T0_SG_SL_E_clIS9_SA_SB_SB_EEDaSZ_S10_SG_SL_EUlSZ_E_NS1_11comp_targetILNS1_3genE0ELNS1_11target_archE4294967295ELNS1_3gpuE0ELNS1_3repE0EEENS1_47radix_sort_onesweep_sort_config_static_selectorELNS0_4arch9wavefront6targetE0EEEvSG_.uses_vcc, 1
	.set _ZN7rocprim17ROCPRIM_400000_NS6detail17trampoline_kernelINS0_14default_configENS1_35radix_sort_onesweep_config_selectorIsNS0_10empty_typeEEEZZNS1_29radix_sort_onesweep_iterationIS3_Lb1EPKsPsPS5_SB_mNS0_19identity_decomposerENS1_16block_id_wrapperIjLb1EEEEE10hipError_tT1_PNSt15iterator_traitsISG_E10value_typeET2_T3_PNSH_ISM_E10value_typeET4_T5_PSR_SS_PNS1_23onesweep_lookback_stateEbbT6_jjT7_P12ihipStream_tbENKUlT_T0_SG_SL_E_clIS9_SA_SB_SB_EEDaSZ_S10_SG_SL_EUlSZ_E_NS1_11comp_targetILNS1_3genE0ELNS1_11target_archE4294967295ELNS1_3gpuE0ELNS1_3repE0EEENS1_47radix_sort_onesweep_sort_config_static_selectorELNS0_4arch9wavefront6targetE0EEEvSG_.uses_flat_scratch, 0
	.set _ZN7rocprim17ROCPRIM_400000_NS6detail17trampoline_kernelINS0_14default_configENS1_35radix_sort_onesweep_config_selectorIsNS0_10empty_typeEEEZZNS1_29radix_sort_onesweep_iterationIS3_Lb1EPKsPsPS5_SB_mNS0_19identity_decomposerENS1_16block_id_wrapperIjLb1EEEEE10hipError_tT1_PNSt15iterator_traitsISG_E10value_typeET2_T3_PNSH_ISM_E10value_typeET4_T5_PSR_SS_PNS1_23onesweep_lookback_stateEbbT6_jjT7_P12ihipStream_tbENKUlT_T0_SG_SL_E_clIS9_SA_SB_SB_EEDaSZ_S10_SG_SL_EUlSZ_E_NS1_11comp_targetILNS1_3genE0ELNS1_11target_archE4294967295ELNS1_3gpuE0ELNS1_3repE0EEENS1_47radix_sort_onesweep_sort_config_static_selectorELNS0_4arch9wavefront6targetE0EEEvSG_.has_dyn_sized_stack, 0
	.set _ZN7rocprim17ROCPRIM_400000_NS6detail17trampoline_kernelINS0_14default_configENS1_35radix_sort_onesweep_config_selectorIsNS0_10empty_typeEEEZZNS1_29radix_sort_onesweep_iterationIS3_Lb1EPKsPsPS5_SB_mNS0_19identity_decomposerENS1_16block_id_wrapperIjLb1EEEEE10hipError_tT1_PNSt15iterator_traitsISG_E10value_typeET2_T3_PNSH_ISM_E10value_typeET4_T5_PSR_SS_PNS1_23onesweep_lookback_stateEbbT6_jjT7_P12ihipStream_tbENKUlT_T0_SG_SL_E_clIS9_SA_SB_SB_EEDaSZ_S10_SG_SL_EUlSZ_E_NS1_11comp_targetILNS1_3genE0ELNS1_11target_archE4294967295ELNS1_3gpuE0ELNS1_3repE0EEENS1_47radix_sort_onesweep_sort_config_static_selectorELNS0_4arch9wavefront6targetE0EEEvSG_.has_recursion, 0
	.set _ZN7rocprim17ROCPRIM_400000_NS6detail17trampoline_kernelINS0_14default_configENS1_35radix_sort_onesweep_config_selectorIsNS0_10empty_typeEEEZZNS1_29radix_sort_onesweep_iterationIS3_Lb1EPKsPsPS5_SB_mNS0_19identity_decomposerENS1_16block_id_wrapperIjLb1EEEEE10hipError_tT1_PNSt15iterator_traitsISG_E10value_typeET2_T3_PNSH_ISM_E10value_typeET4_T5_PSR_SS_PNS1_23onesweep_lookback_stateEbbT6_jjT7_P12ihipStream_tbENKUlT_T0_SG_SL_E_clIS9_SA_SB_SB_EEDaSZ_S10_SG_SL_EUlSZ_E_NS1_11comp_targetILNS1_3genE0ELNS1_11target_archE4294967295ELNS1_3gpuE0ELNS1_3repE0EEENS1_47radix_sort_onesweep_sort_config_static_selectorELNS0_4arch9wavefront6targetE0EEEvSG_.has_indirect_call, 0
	.section	.AMDGPU.csdata,"",@progbits
; Kernel info:
; codeLenInByte = 17440
; TotalNumSgprs: 32
; NumVgprs: 65
; ScratchSize: 0
; MemoryBound: 0
; FloatMode: 240
; IeeeMode: 1
; LDSByteSize: 18504 bytes/workgroup (compile time only)
; SGPRBlocks: 0
; VGPRBlocks: 4
; NumSGPRsForWavesPerEU: 32
; NumVGPRsForWavesPerEU: 65
; NamedBarCnt: 0
; Occupancy: 12
; WaveLimiterHint : 0
; COMPUTE_PGM_RSRC2:SCRATCH_EN: 0
; COMPUTE_PGM_RSRC2:USER_SGPR: 2
; COMPUTE_PGM_RSRC2:TRAP_HANDLER: 0
; COMPUTE_PGM_RSRC2:TGID_X_EN: 1
; COMPUTE_PGM_RSRC2:TGID_Y_EN: 0
; COMPUTE_PGM_RSRC2:TGID_Z_EN: 0
; COMPUTE_PGM_RSRC2:TIDIG_COMP_CNT: 2
	.section	.text._ZN7rocprim17ROCPRIM_400000_NS6detail17trampoline_kernelINS0_14default_configENS1_35radix_sort_onesweep_config_selectorIsNS0_10empty_typeEEEZZNS1_29radix_sort_onesweep_iterationIS3_Lb1EPKsPsPS5_SB_mNS0_19identity_decomposerENS1_16block_id_wrapperIjLb1EEEEE10hipError_tT1_PNSt15iterator_traitsISG_E10value_typeET2_T3_PNSH_ISM_E10value_typeET4_T5_PSR_SS_PNS1_23onesweep_lookback_stateEbbT6_jjT7_P12ihipStream_tbENKUlT_T0_SG_SL_E_clIS9_SA_SB_SB_EEDaSZ_S10_SG_SL_EUlSZ_E_NS1_11comp_targetILNS1_3genE6ELNS1_11target_archE950ELNS1_3gpuE13ELNS1_3repE0EEENS1_47radix_sort_onesweep_sort_config_static_selectorELNS0_4arch9wavefront6targetE0EEEvSG_,"axG",@progbits,_ZN7rocprim17ROCPRIM_400000_NS6detail17trampoline_kernelINS0_14default_configENS1_35radix_sort_onesweep_config_selectorIsNS0_10empty_typeEEEZZNS1_29radix_sort_onesweep_iterationIS3_Lb1EPKsPsPS5_SB_mNS0_19identity_decomposerENS1_16block_id_wrapperIjLb1EEEEE10hipError_tT1_PNSt15iterator_traitsISG_E10value_typeET2_T3_PNSH_ISM_E10value_typeET4_T5_PSR_SS_PNS1_23onesweep_lookback_stateEbbT6_jjT7_P12ihipStream_tbENKUlT_T0_SG_SL_E_clIS9_SA_SB_SB_EEDaSZ_S10_SG_SL_EUlSZ_E_NS1_11comp_targetILNS1_3genE6ELNS1_11target_archE950ELNS1_3gpuE13ELNS1_3repE0EEENS1_47radix_sort_onesweep_sort_config_static_selectorELNS0_4arch9wavefront6targetE0EEEvSG_,comdat
	.protected	_ZN7rocprim17ROCPRIM_400000_NS6detail17trampoline_kernelINS0_14default_configENS1_35radix_sort_onesweep_config_selectorIsNS0_10empty_typeEEEZZNS1_29radix_sort_onesweep_iterationIS3_Lb1EPKsPsPS5_SB_mNS0_19identity_decomposerENS1_16block_id_wrapperIjLb1EEEEE10hipError_tT1_PNSt15iterator_traitsISG_E10value_typeET2_T3_PNSH_ISM_E10value_typeET4_T5_PSR_SS_PNS1_23onesweep_lookback_stateEbbT6_jjT7_P12ihipStream_tbENKUlT_T0_SG_SL_E_clIS9_SA_SB_SB_EEDaSZ_S10_SG_SL_EUlSZ_E_NS1_11comp_targetILNS1_3genE6ELNS1_11target_archE950ELNS1_3gpuE13ELNS1_3repE0EEENS1_47radix_sort_onesweep_sort_config_static_selectorELNS0_4arch9wavefront6targetE0EEEvSG_ ; -- Begin function _ZN7rocprim17ROCPRIM_400000_NS6detail17trampoline_kernelINS0_14default_configENS1_35radix_sort_onesweep_config_selectorIsNS0_10empty_typeEEEZZNS1_29radix_sort_onesweep_iterationIS3_Lb1EPKsPsPS5_SB_mNS0_19identity_decomposerENS1_16block_id_wrapperIjLb1EEEEE10hipError_tT1_PNSt15iterator_traitsISG_E10value_typeET2_T3_PNSH_ISM_E10value_typeET4_T5_PSR_SS_PNS1_23onesweep_lookback_stateEbbT6_jjT7_P12ihipStream_tbENKUlT_T0_SG_SL_E_clIS9_SA_SB_SB_EEDaSZ_S10_SG_SL_EUlSZ_E_NS1_11comp_targetILNS1_3genE6ELNS1_11target_archE950ELNS1_3gpuE13ELNS1_3repE0EEENS1_47radix_sort_onesweep_sort_config_static_selectorELNS0_4arch9wavefront6targetE0EEEvSG_
	.globl	_ZN7rocprim17ROCPRIM_400000_NS6detail17trampoline_kernelINS0_14default_configENS1_35radix_sort_onesweep_config_selectorIsNS0_10empty_typeEEEZZNS1_29radix_sort_onesweep_iterationIS3_Lb1EPKsPsPS5_SB_mNS0_19identity_decomposerENS1_16block_id_wrapperIjLb1EEEEE10hipError_tT1_PNSt15iterator_traitsISG_E10value_typeET2_T3_PNSH_ISM_E10value_typeET4_T5_PSR_SS_PNS1_23onesweep_lookback_stateEbbT6_jjT7_P12ihipStream_tbENKUlT_T0_SG_SL_E_clIS9_SA_SB_SB_EEDaSZ_S10_SG_SL_EUlSZ_E_NS1_11comp_targetILNS1_3genE6ELNS1_11target_archE950ELNS1_3gpuE13ELNS1_3repE0EEENS1_47radix_sort_onesweep_sort_config_static_selectorELNS0_4arch9wavefront6targetE0EEEvSG_
	.p2align	8
	.type	_ZN7rocprim17ROCPRIM_400000_NS6detail17trampoline_kernelINS0_14default_configENS1_35radix_sort_onesweep_config_selectorIsNS0_10empty_typeEEEZZNS1_29radix_sort_onesweep_iterationIS3_Lb1EPKsPsPS5_SB_mNS0_19identity_decomposerENS1_16block_id_wrapperIjLb1EEEEE10hipError_tT1_PNSt15iterator_traitsISG_E10value_typeET2_T3_PNSH_ISM_E10value_typeET4_T5_PSR_SS_PNS1_23onesweep_lookback_stateEbbT6_jjT7_P12ihipStream_tbENKUlT_T0_SG_SL_E_clIS9_SA_SB_SB_EEDaSZ_S10_SG_SL_EUlSZ_E_NS1_11comp_targetILNS1_3genE6ELNS1_11target_archE950ELNS1_3gpuE13ELNS1_3repE0EEENS1_47radix_sort_onesweep_sort_config_static_selectorELNS0_4arch9wavefront6targetE0EEEvSG_,@function
_ZN7rocprim17ROCPRIM_400000_NS6detail17trampoline_kernelINS0_14default_configENS1_35radix_sort_onesweep_config_selectorIsNS0_10empty_typeEEEZZNS1_29radix_sort_onesweep_iterationIS3_Lb1EPKsPsPS5_SB_mNS0_19identity_decomposerENS1_16block_id_wrapperIjLb1EEEEE10hipError_tT1_PNSt15iterator_traitsISG_E10value_typeET2_T3_PNSH_ISM_E10value_typeET4_T5_PSR_SS_PNS1_23onesweep_lookback_stateEbbT6_jjT7_P12ihipStream_tbENKUlT_T0_SG_SL_E_clIS9_SA_SB_SB_EEDaSZ_S10_SG_SL_EUlSZ_E_NS1_11comp_targetILNS1_3genE6ELNS1_11target_archE950ELNS1_3gpuE13ELNS1_3repE0EEENS1_47radix_sort_onesweep_sort_config_static_selectorELNS0_4arch9wavefront6targetE0EEEvSG_: ; @_ZN7rocprim17ROCPRIM_400000_NS6detail17trampoline_kernelINS0_14default_configENS1_35radix_sort_onesweep_config_selectorIsNS0_10empty_typeEEEZZNS1_29radix_sort_onesweep_iterationIS3_Lb1EPKsPsPS5_SB_mNS0_19identity_decomposerENS1_16block_id_wrapperIjLb1EEEEE10hipError_tT1_PNSt15iterator_traitsISG_E10value_typeET2_T3_PNSH_ISM_E10value_typeET4_T5_PSR_SS_PNS1_23onesweep_lookback_stateEbbT6_jjT7_P12ihipStream_tbENKUlT_T0_SG_SL_E_clIS9_SA_SB_SB_EEDaSZ_S10_SG_SL_EUlSZ_E_NS1_11comp_targetILNS1_3genE6ELNS1_11target_archE950ELNS1_3gpuE13ELNS1_3repE0EEENS1_47radix_sort_onesweep_sort_config_static_selectorELNS0_4arch9wavefront6targetE0EEEvSG_
; %bb.0:
	.section	.rodata,"a",@progbits
	.p2align	6, 0x0
	.amdhsa_kernel _ZN7rocprim17ROCPRIM_400000_NS6detail17trampoline_kernelINS0_14default_configENS1_35radix_sort_onesweep_config_selectorIsNS0_10empty_typeEEEZZNS1_29radix_sort_onesweep_iterationIS3_Lb1EPKsPsPS5_SB_mNS0_19identity_decomposerENS1_16block_id_wrapperIjLb1EEEEE10hipError_tT1_PNSt15iterator_traitsISG_E10value_typeET2_T3_PNSH_ISM_E10value_typeET4_T5_PSR_SS_PNS1_23onesweep_lookback_stateEbbT6_jjT7_P12ihipStream_tbENKUlT_T0_SG_SL_E_clIS9_SA_SB_SB_EEDaSZ_S10_SG_SL_EUlSZ_E_NS1_11comp_targetILNS1_3genE6ELNS1_11target_archE950ELNS1_3gpuE13ELNS1_3repE0EEENS1_47radix_sort_onesweep_sort_config_static_selectorELNS0_4arch9wavefront6targetE0EEEvSG_
		.amdhsa_group_segment_fixed_size 0
		.amdhsa_private_segment_fixed_size 0
		.amdhsa_kernarg_size 88
		.amdhsa_user_sgpr_count 2
		.amdhsa_user_sgpr_dispatch_ptr 0
		.amdhsa_user_sgpr_queue_ptr 0
		.amdhsa_user_sgpr_kernarg_segment_ptr 1
		.amdhsa_user_sgpr_dispatch_id 0
		.amdhsa_user_sgpr_kernarg_preload_length 0
		.amdhsa_user_sgpr_kernarg_preload_offset 0
		.amdhsa_user_sgpr_private_segment_size 0
		.amdhsa_wavefront_size32 1
		.amdhsa_uses_dynamic_stack 0
		.amdhsa_enable_private_segment 0
		.amdhsa_system_sgpr_workgroup_id_x 1
		.amdhsa_system_sgpr_workgroup_id_y 0
		.amdhsa_system_sgpr_workgroup_id_z 0
		.amdhsa_system_sgpr_workgroup_info 0
		.amdhsa_system_vgpr_workitem_id 0
		.amdhsa_next_free_vgpr 1
		.amdhsa_next_free_sgpr 1
		.amdhsa_named_barrier_count 0
		.amdhsa_reserve_vcc 0
		.amdhsa_float_round_mode_32 0
		.amdhsa_float_round_mode_16_64 0
		.amdhsa_float_denorm_mode_32 3
		.amdhsa_float_denorm_mode_16_64 3
		.amdhsa_fp16_overflow 0
		.amdhsa_memory_ordered 1
		.amdhsa_forward_progress 1
		.amdhsa_inst_pref_size 0
		.amdhsa_round_robin_scheduling 0
		.amdhsa_exception_fp_ieee_invalid_op 0
		.amdhsa_exception_fp_denorm_src 0
		.amdhsa_exception_fp_ieee_div_zero 0
		.amdhsa_exception_fp_ieee_overflow 0
		.amdhsa_exception_fp_ieee_underflow 0
		.amdhsa_exception_fp_ieee_inexact 0
		.amdhsa_exception_int_div_zero 0
	.end_amdhsa_kernel
	.section	.text._ZN7rocprim17ROCPRIM_400000_NS6detail17trampoline_kernelINS0_14default_configENS1_35radix_sort_onesweep_config_selectorIsNS0_10empty_typeEEEZZNS1_29radix_sort_onesweep_iterationIS3_Lb1EPKsPsPS5_SB_mNS0_19identity_decomposerENS1_16block_id_wrapperIjLb1EEEEE10hipError_tT1_PNSt15iterator_traitsISG_E10value_typeET2_T3_PNSH_ISM_E10value_typeET4_T5_PSR_SS_PNS1_23onesweep_lookback_stateEbbT6_jjT7_P12ihipStream_tbENKUlT_T0_SG_SL_E_clIS9_SA_SB_SB_EEDaSZ_S10_SG_SL_EUlSZ_E_NS1_11comp_targetILNS1_3genE6ELNS1_11target_archE950ELNS1_3gpuE13ELNS1_3repE0EEENS1_47radix_sort_onesweep_sort_config_static_selectorELNS0_4arch9wavefront6targetE0EEEvSG_,"axG",@progbits,_ZN7rocprim17ROCPRIM_400000_NS6detail17trampoline_kernelINS0_14default_configENS1_35radix_sort_onesweep_config_selectorIsNS0_10empty_typeEEEZZNS1_29radix_sort_onesweep_iterationIS3_Lb1EPKsPsPS5_SB_mNS0_19identity_decomposerENS1_16block_id_wrapperIjLb1EEEEE10hipError_tT1_PNSt15iterator_traitsISG_E10value_typeET2_T3_PNSH_ISM_E10value_typeET4_T5_PSR_SS_PNS1_23onesweep_lookback_stateEbbT6_jjT7_P12ihipStream_tbENKUlT_T0_SG_SL_E_clIS9_SA_SB_SB_EEDaSZ_S10_SG_SL_EUlSZ_E_NS1_11comp_targetILNS1_3genE6ELNS1_11target_archE950ELNS1_3gpuE13ELNS1_3repE0EEENS1_47radix_sort_onesweep_sort_config_static_selectorELNS0_4arch9wavefront6targetE0EEEvSG_,comdat
.Lfunc_end603:
	.size	_ZN7rocprim17ROCPRIM_400000_NS6detail17trampoline_kernelINS0_14default_configENS1_35radix_sort_onesweep_config_selectorIsNS0_10empty_typeEEEZZNS1_29radix_sort_onesweep_iterationIS3_Lb1EPKsPsPS5_SB_mNS0_19identity_decomposerENS1_16block_id_wrapperIjLb1EEEEE10hipError_tT1_PNSt15iterator_traitsISG_E10value_typeET2_T3_PNSH_ISM_E10value_typeET4_T5_PSR_SS_PNS1_23onesweep_lookback_stateEbbT6_jjT7_P12ihipStream_tbENKUlT_T0_SG_SL_E_clIS9_SA_SB_SB_EEDaSZ_S10_SG_SL_EUlSZ_E_NS1_11comp_targetILNS1_3genE6ELNS1_11target_archE950ELNS1_3gpuE13ELNS1_3repE0EEENS1_47radix_sort_onesweep_sort_config_static_selectorELNS0_4arch9wavefront6targetE0EEEvSG_, .Lfunc_end603-_ZN7rocprim17ROCPRIM_400000_NS6detail17trampoline_kernelINS0_14default_configENS1_35radix_sort_onesweep_config_selectorIsNS0_10empty_typeEEEZZNS1_29radix_sort_onesweep_iterationIS3_Lb1EPKsPsPS5_SB_mNS0_19identity_decomposerENS1_16block_id_wrapperIjLb1EEEEE10hipError_tT1_PNSt15iterator_traitsISG_E10value_typeET2_T3_PNSH_ISM_E10value_typeET4_T5_PSR_SS_PNS1_23onesweep_lookback_stateEbbT6_jjT7_P12ihipStream_tbENKUlT_T0_SG_SL_E_clIS9_SA_SB_SB_EEDaSZ_S10_SG_SL_EUlSZ_E_NS1_11comp_targetILNS1_3genE6ELNS1_11target_archE950ELNS1_3gpuE13ELNS1_3repE0EEENS1_47radix_sort_onesweep_sort_config_static_selectorELNS0_4arch9wavefront6targetE0EEEvSG_
                                        ; -- End function
	.set _ZN7rocprim17ROCPRIM_400000_NS6detail17trampoline_kernelINS0_14default_configENS1_35radix_sort_onesweep_config_selectorIsNS0_10empty_typeEEEZZNS1_29radix_sort_onesweep_iterationIS3_Lb1EPKsPsPS5_SB_mNS0_19identity_decomposerENS1_16block_id_wrapperIjLb1EEEEE10hipError_tT1_PNSt15iterator_traitsISG_E10value_typeET2_T3_PNSH_ISM_E10value_typeET4_T5_PSR_SS_PNS1_23onesweep_lookback_stateEbbT6_jjT7_P12ihipStream_tbENKUlT_T0_SG_SL_E_clIS9_SA_SB_SB_EEDaSZ_S10_SG_SL_EUlSZ_E_NS1_11comp_targetILNS1_3genE6ELNS1_11target_archE950ELNS1_3gpuE13ELNS1_3repE0EEENS1_47radix_sort_onesweep_sort_config_static_selectorELNS0_4arch9wavefront6targetE0EEEvSG_.num_vgpr, 0
	.set _ZN7rocprim17ROCPRIM_400000_NS6detail17trampoline_kernelINS0_14default_configENS1_35radix_sort_onesweep_config_selectorIsNS0_10empty_typeEEEZZNS1_29radix_sort_onesweep_iterationIS3_Lb1EPKsPsPS5_SB_mNS0_19identity_decomposerENS1_16block_id_wrapperIjLb1EEEEE10hipError_tT1_PNSt15iterator_traitsISG_E10value_typeET2_T3_PNSH_ISM_E10value_typeET4_T5_PSR_SS_PNS1_23onesweep_lookback_stateEbbT6_jjT7_P12ihipStream_tbENKUlT_T0_SG_SL_E_clIS9_SA_SB_SB_EEDaSZ_S10_SG_SL_EUlSZ_E_NS1_11comp_targetILNS1_3genE6ELNS1_11target_archE950ELNS1_3gpuE13ELNS1_3repE0EEENS1_47radix_sort_onesweep_sort_config_static_selectorELNS0_4arch9wavefront6targetE0EEEvSG_.num_agpr, 0
	.set _ZN7rocprim17ROCPRIM_400000_NS6detail17trampoline_kernelINS0_14default_configENS1_35radix_sort_onesweep_config_selectorIsNS0_10empty_typeEEEZZNS1_29radix_sort_onesweep_iterationIS3_Lb1EPKsPsPS5_SB_mNS0_19identity_decomposerENS1_16block_id_wrapperIjLb1EEEEE10hipError_tT1_PNSt15iterator_traitsISG_E10value_typeET2_T3_PNSH_ISM_E10value_typeET4_T5_PSR_SS_PNS1_23onesweep_lookback_stateEbbT6_jjT7_P12ihipStream_tbENKUlT_T0_SG_SL_E_clIS9_SA_SB_SB_EEDaSZ_S10_SG_SL_EUlSZ_E_NS1_11comp_targetILNS1_3genE6ELNS1_11target_archE950ELNS1_3gpuE13ELNS1_3repE0EEENS1_47radix_sort_onesweep_sort_config_static_selectorELNS0_4arch9wavefront6targetE0EEEvSG_.numbered_sgpr, 0
	.set _ZN7rocprim17ROCPRIM_400000_NS6detail17trampoline_kernelINS0_14default_configENS1_35radix_sort_onesweep_config_selectorIsNS0_10empty_typeEEEZZNS1_29radix_sort_onesweep_iterationIS3_Lb1EPKsPsPS5_SB_mNS0_19identity_decomposerENS1_16block_id_wrapperIjLb1EEEEE10hipError_tT1_PNSt15iterator_traitsISG_E10value_typeET2_T3_PNSH_ISM_E10value_typeET4_T5_PSR_SS_PNS1_23onesweep_lookback_stateEbbT6_jjT7_P12ihipStream_tbENKUlT_T0_SG_SL_E_clIS9_SA_SB_SB_EEDaSZ_S10_SG_SL_EUlSZ_E_NS1_11comp_targetILNS1_3genE6ELNS1_11target_archE950ELNS1_3gpuE13ELNS1_3repE0EEENS1_47radix_sort_onesweep_sort_config_static_selectorELNS0_4arch9wavefront6targetE0EEEvSG_.num_named_barrier, 0
	.set _ZN7rocprim17ROCPRIM_400000_NS6detail17trampoline_kernelINS0_14default_configENS1_35radix_sort_onesweep_config_selectorIsNS0_10empty_typeEEEZZNS1_29radix_sort_onesweep_iterationIS3_Lb1EPKsPsPS5_SB_mNS0_19identity_decomposerENS1_16block_id_wrapperIjLb1EEEEE10hipError_tT1_PNSt15iterator_traitsISG_E10value_typeET2_T3_PNSH_ISM_E10value_typeET4_T5_PSR_SS_PNS1_23onesweep_lookback_stateEbbT6_jjT7_P12ihipStream_tbENKUlT_T0_SG_SL_E_clIS9_SA_SB_SB_EEDaSZ_S10_SG_SL_EUlSZ_E_NS1_11comp_targetILNS1_3genE6ELNS1_11target_archE950ELNS1_3gpuE13ELNS1_3repE0EEENS1_47radix_sort_onesweep_sort_config_static_selectorELNS0_4arch9wavefront6targetE0EEEvSG_.private_seg_size, 0
	.set _ZN7rocprim17ROCPRIM_400000_NS6detail17trampoline_kernelINS0_14default_configENS1_35radix_sort_onesweep_config_selectorIsNS0_10empty_typeEEEZZNS1_29radix_sort_onesweep_iterationIS3_Lb1EPKsPsPS5_SB_mNS0_19identity_decomposerENS1_16block_id_wrapperIjLb1EEEEE10hipError_tT1_PNSt15iterator_traitsISG_E10value_typeET2_T3_PNSH_ISM_E10value_typeET4_T5_PSR_SS_PNS1_23onesweep_lookback_stateEbbT6_jjT7_P12ihipStream_tbENKUlT_T0_SG_SL_E_clIS9_SA_SB_SB_EEDaSZ_S10_SG_SL_EUlSZ_E_NS1_11comp_targetILNS1_3genE6ELNS1_11target_archE950ELNS1_3gpuE13ELNS1_3repE0EEENS1_47radix_sort_onesweep_sort_config_static_selectorELNS0_4arch9wavefront6targetE0EEEvSG_.uses_vcc, 0
	.set _ZN7rocprim17ROCPRIM_400000_NS6detail17trampoline_kernelINS0_14default_configENS1_35radix_sort_onesweep_config_selectorIsNS0_10empty_typeEEEZZNS1_29radix_sort_onesweep_iterationIS3_Lb1EPKsPsPS5_SB_mNS0_19identity_decomposerENS1_16block_id_wrapperIjLb1EEEEE10hipError_tT1_PNSt15iterator_traitsISG_E10value_typeET2_T3_PNSH_ISM_E10value_typeET4_T5_PSR_SS_PNS1_23onesweep_lookback_stateEbbT6_jjT7_P12ihipStream_tbENKUlT_T0_SG_SL_E_clIS9_SA_SB_SB_EEDaSZ_S10_SG_SL_EUlSZ_E_NS1_11comp_targetILNS1_3genE6ELNS1_11target_archE950ELNS1_3gpuE13ELNS1_3repE0EEENS1_47radix_sort_onesweep_sort_config_static_selectorELNS0_4arch9wavefront6targetE0EEEvSG_.uses_flat_scratch, 0
	.set _ZN7rocprim17ROCPRIM_400000_NS6detail17trampoline_kernelINS0_14default_configENS1_35radix_sort_onesweep_config_selectorIsNS0_10empty_typeEEEZZNS1_29radix_sort_onesweep_iterationIS3_Lb1EPKsPsPS5_SB_mNS0_19identity_decomposerENS1_16block_id_wrapperIjLb1EEEEE10hipError_tT1_PNSt15iterator_traitsISG_E10value_typeET2_T3_PNSH_ISM_E10value_typeET4_T5_PSR_SS_PNS1_23onesweep_lookback_stateEbbT6_jjT7_P12ihipStream_tbENKUlT_T0_SG_SL_E_clIS9_SA_SB_SB_EEDaSZ_S10_SG_SL_EUlSZ_E_NS1_11comp_targetILNS1_3genE6ELNS1_11target_archE950ELNS1_3gpuE13ELNS1_3repE0EEENS1_47radix_sort_onesweep_sort_config_static_selectorELNS0_4arch9wavefront6targetE0EEEvSG_.has_dyn_sized_stack, 0
	.set _ZN7rocprim17ROCPRIM_400000_NS6detail17trampoline_kernelINS0_14default_configENS1_35radix_sort_onesweep_config_selectorIsNS0_10empty_typeEEEZZNS1_29radix_sort_onesweep_iterationIS3_Lb1EPKsPsPS5_SB_mNS0_19identity_decomposerENS1_16block_id_wrapperIjLb1EEEEE10hipError_tT1_PNSt15iterator_traitsISG_E10value_typeET2_T3_PNSH_ISM_E10value_typeET4_T5_PSR_SS_PNS1_23onesweep_lookback_stateEbbT6_jjT7_P12ihipStream_tbENKUlT_T0_SG_SL_E_clIS9_SA_SB_SB_EEDaSZ_S10_SG_SL_EUlSZ_E_NS1_11comp_targetILNS1_3genE6ELNS1_11target_archE950ELNS1_3gpuE13ELNS1_3repE0EEENS1_47radix_sort_onesweep_sort_config_static_selectorELNS0_4arch9wavefront6targetE0EEEvSG_.has_recursion, 0
	.set _ZN7rocprim17ROCPRIM_400000_NS6detail17trampoline_kernelINS0_14default_configENS1_35radix_sort_onesweep_config_selectorIsNS0_10empty_typeEEEZZNS1_29radix_sort_onesweep_iterationIS3_Lb1EPKsPsPS5_SB_mNS0_19identity_decomposerENS1_16block_id_wrapperIjLb1EEEEE10hipError_tT1_PNSt15iterator_traitsISG_E10value_typeET2_T3_PNSH_ISM_E10value_typeET4_T5_PSR_SS_PNS1_23onesweep_lookback_stateEbbT6_jjT7_P12ihipStream_tbENKUlT_T0_SG_SL_E_clIS9_SA_SB_SB_EEDaSZ_S10_SG_SL_EUlSZ_E_NS1_11comp_targetILNS1_3genE6ELNS1_11target_archE950ELNS1_3gpuE13ELNS1_3repE0EEENS1_47radix_sort_onesweep_sort_config_static_selectorELNS0_4arch9wavefront6targetE0EEEvSG_.has_indirect_call, 0
	.section	.AMDGPU.csdata,"",@progbits
; Kernel info:
; codeLenInByte = 0
; TotalNumSgprs: 0
; NumVgprs: 0
; ScratchSize: 0
; MemoryBound: 0
; FloatMode: 240
; IeeeMode: 1
; LDSByteSize: 0 bytes/workgroup (compile time only)
; SGPRBlocks: 0
; VGPRBlocks: 0
; NumSGPRsForWavesPerEU: 1
; NumVGPRsForWavesPerEU: 1
; NamedBarCnt: 0
; Occupancy: 16
; WaveLimiterHint : 0
; COMPUTE_PGM_RSRC2:SCRATCH_EN: 0
; COMPUTE_PGM_RSRC2:USER_SGPR: 2
; COMPUTE_PGM_RSRC2:TRAP_HANDLER: 0
; COMPUTE_PGM_RSRC2:TGID_X_EN: 1
; COMPUTE_PGM_RSRC2:TGID_Y_EN: 0
; COMPUTE_PGM_RSRC2:TGID_Z_EN: 0
; COMPUTE_PGM_RSRC2:TIDIG_COMP_CNT: 0
	.section	.text._ZN7rocprim17ROCPRIM_400000_NS6detail17trampoline_kernelINS0_14default_configENS1_35radix_sort_onesweep_config_selectorIsNS0_10empty_typeEEEZZNS1_29radix_sort_onesweep_iterationIS3_Lb1EPKsPsPS5_SB_mNS0_19identity_decomposerENS1_16block_id_wrapperIjLb1EEEEE10hipError_tT1_PNSt15iterator_traitsISG_E10value_typeET2_T3_PNSH_ISM_E10value_typeET4_T5_PSR_SS_PNS1_23onesweep_lookback_stateEbbT6_jjT7_P12ihipStream_tbENKUlT_T0_SG_SL_E_clIS9_SA_SB_SB_EEDaSZ_S10_SG_SL_EUlSZ_E_NS1_11comp_targetILNS1_3genE5ELNS1_11target_archE942ELNS1_3gpuE9ELNS1_3repE0EEENS1_47radix_sort_onesweep_sort_config_static_selectorELNS0_4arch9wavefront6targetE0EEEvSG_,"axG",@progbits,_ZN7rocprim17ROCPRIM_400000_NS6detail17trampoline_kernelINS0_14default_configENS1_35radix_sort_onesweep_config_selectorIsNS0_10empty_typeEEEZZNS1_29radix_sort_onesweep_iterationIS3_Lb1EPKsPsPS5_SB_mNS0_19identity_decomposerENS1_16block_id_wrapperIjLb1EEEEE10hipError_tT1_PNSt15iterator_traitsISG_E10value_typeET2_T3_PNSH_ISM_E10value_typeET4_T5_PSR_SS_PNS1_23onesweep_lookback_stateEbbT6_jjT7_P12ihipStream_tbENKUlT_T0_SG_SL_E_clIS9_SA_SB_SB_EEDaSZ_S10_SG_SL_EUlSZ_E_NS1_11comp_targetILNS1_3genE5ELNS1_11target_archE942ELNS1_3gpuE9ELNS1_3repE0EEENS1_47radix_sort_onesweep_sort_config_static_selectorELNS0_4arch9wavefront6targetE0EEEvSG_,comdat
	.protected	_ZN7rocprim17ROCPRIM_400000_NS6detail17trampoline_kernelINS0_14default_configENS1_35radix_sort_onesweep_config_selectorIsNS0_10empty_typeEEEZZNS1_29radix_sort_onesweep_iterationIS3_Lb1EPKsPsPS5_SB_mNS0_19identity_decomposerENS1_16block_id_wrapperIjLb1EEEEE10hipError_tT1_PNSt15iterator_traitsISG_E10value_typeET2_T3_PNSH_ISM_E10value_typeET4_T5_PSR_SS_PNS1_23onesweep_lookback_stateEbbT6_jjT7_P12ihipStream_tbENKUlT_T0_SG_SL_E_clIS9_SA_SB_SB_EEDaSZ_S10_SG_SL_EUlSZ_E_NS1_11comp_targetILNS1_3genE5ELNS1_11target_archE942ELNS1_3gpuE9ELNS1_3repE0EEENS1_47radix_sort_onesweep_sort_config_static_selectorELNS0_4arch9wavefront6targetE0EEEvSG_ ; -- Begin function _ZN7rocprim17ROCPRIM_400000_NS6detail17trampoline_kernelINS0_14default_configENS1_35radix_sort_onesweep_config_selectorIsNS0_10empty_typeEEEZZNS1_29radix_sort_onesweep_iterationIS3_Lb1EPKsPsPS5_SB_mNS0_19identity_decomposerENS1_16block_id_wrapperIjLb1EEEEE10hipError_tT1_PNSt15iterator_traitsISG_E10value_typeET2_T3_PNSH_ISM_E10value_typeET4_T5_PSR_SS_PNS1_23onesweep_lookback_stateEbbT6_jjT7_P12ihipStream_tbENKUlT_T0_SG_SL_E_clIS9_SA_SB_SB_EEDaSZ_S10_SG_SL_EUlSZ_E_NS1_11comp_targetILNS1_3genE5ELNS1_11target_archE942ELNS1_3gpuE9ELNS1_3repE0EEENS1_47radix_sort_onesweep_sort_config_static_selectorELNS0_4arch9wavefront6targetE0EEEvSG_
	.globl	_ZN7rocprim17ROCPRIM_400000_NS6detail17trampoline_kernelINS0_14default_configENS1_35radix_sort_onesweep_config_selectorIsNS0_10empty_typeEEEZZNS1_29radix_sort_onesweep_iterationIS3_Lb1EPKsPsPS5_SB_mNS0_19identity_decomposerENS1_16block_id_wrapperIjLb1EEEEE10hipError_tT1_PNSt15iterator_traitsISG_E10value_typeET2_T3_PNSH_ISM_E10value_typeET4_T5_PSR_SS_PNS1_23onesweep_lookback_stateEbbT6_jjT7_P12ihipStream_tbENKUlT_T0_SG_SL_E_clIS9_SA_SB_SB_EEDaSZ_S10_SG_SL_EUlSZ_E_NS1_11comp_targetILNS1_3genE5ELNS1_11target_archE942ELNS1_3gpuE9ELNS1_3repE0EEENS1_47radix_sort_onesweep_sort_config_static_selectorELNS0_4arch9wavefront6targetE0EEEvSG_
	.p2align	8
	.type	_ZN7rocprim17ROCPRIM_400000_NS6detail17trampoline_kernelINS0_14default_configENS1_35radix_sort_onesweep_config_selectorIsNS0_10empty_typeEEEZZNS1_29radix_sort_onesweep_iterationIS3_Lb1EPKsPsPS5_SB_mNS0_19identity_decomposerENS1_16block_id_wrapperIjLb1EEEEE10hipError_tT1_PNSt15iterator_traitsISG_E10value_typeET2_T3_PNSH_ISM_E10value_typeET4_T5_PSR_SS_PNS1_23onesweep_lookback_stateEbbT6_jjT7_P12ihipStream_tbENKUlT_T0_SG_SL_E_clIS9_SA_SB_SB_EEDaSZ_S10_SG_SL_EUlSZ_E_NS1_11comp_targetILNS1_3genE5ELNS1_11target_archE942ELNS1_3gpuE9ELNS1_3repE0EEENS1_47radix_sort_onesweep_sort_config_static_selectorELNS0_4arch9wavefront6targetE0EEEvSG_,@function
_ZN7rocprim17ROCPRIM_400000_NS6detail17trampoline_kernelINS0_14default_configENS1_35radix_sort_onesweep_config_selectorIsNS0_10empty_typeEEEZZNS1_29radix_sort_onesweep_iterationIS3_Lb1EPKsPsPS5_SB_mNS0_19identity_decomposerENS1_16block_id_wrapperIjLb1EEEEE10hipError_tT1_PNSt15iterator_traitsISG_E10value_typeET2_T3_PNSH_ISM_E10value_typeET4_T5_PSR_SS_PNS1_23onesweep_lookback_stateEbbT6_jjT7_P12ihipStream_tbENKUlT_T0_SG_SL_E_clIS9_SA_SB_SB_EEDaSZ_S10_SG_SL_EUlSZ_E_NS1_11comp_targetILNS1_3genE5ELNS1_11target_archE942ELNS1_3gpuE9ELNS1_3repE0EEENS1_47radix_sort_onesweep_sort_config_static_selectorELNS0_4arch9wavefront6targetE0EEEvSG_: ; @_ZN7rocprim17ROCPRIM_400000_NS6detail17trampoline_kernelINS0_14default_configENS1_35radix_sort_onesweep_config_selectorIsNS0_10empty_typeEEEZZNS1_29radix_sort_onesweep_iterationIS3_Lb1EPKsPsPS5_SB_mNS0_19identity_decomposerENS1_16block_id_wrapperIjLb1EEEEE10hipError_tT1_PNSt15iterator_traitsISG_E10value_typeET2_T3_PNSH_ISM_E10value_typeET4_T5_PSR_SS_PNS1_23onesweep_lookback_stateEbbT6_jjT7_P12ihipStream_tbENKUlT_T0_SG_SL_E_clIS9_SA_SB_SB_EEDaSZ_S10_SG_SL_EUlSZ_E_NS1_11comp_targetILNS1_3genE5ELNS1_11target_archE942ELNS1_3gpuE9ELNS1_3repE0EEENS1_47radix_sort_onesweep_sort_config_static_selectorELNS0_4arch9wavefront6targetE0EEEvSG_
; %bb.0:
	.section	.rodata,"a",@progbits
	.p2align	6, 0x0
	.amdhsa_kernel _ZN7rocprim17ROCPRIM_400000_NS6detail17trampoline_kernelINS0_14default_configENS1_35radix_sort_onesweep_config_selectorIsNS0_10empty_typeEEEZZNS1_29radix_sort_onesweep_iterationIS3_Lb1EPKsPsPS5_SB_mNS0_19identity_decomposerENS1_16block_id_wrapperIjLb1EEEEE10hipError_tT1_PNSt15iterator_traitsISG_E10value_typeET2_T3_PNSH_ISM_E10value_typeET4_T5_PSR_SS_PNS1_23onesweep_lookback_stateEbbT6_jjT7_P12ihipStream_tbENKUlT_T0_SG_SL_E_clIS9_SA_SB_SB_EEDaSZ_S10_SG_SL_EUlSZ_E_NS1_11comp_targetILNS1_3genE5ELNS1_11target_archE942ELNS1_3gpuE9ELNS1_3repE0EEENS1_47radix_sort_onesweep_sort_config_static_selectorELNS0_4arch9wavefront6targetE0EEEvSG_
		.amdhsa_group_segment_fixed_size 0
		.amdhsa_private_segment_fixed_size 0
		.amdhsa_kernarg_size 88
		.amdhsa_user_sgpr_count 2
		.amdhsa_user_sgpr_dispatch_ptr 0
		.amdhsa_user_sgpr_queue_ptr 0
		.amdhsa_user_sgpr_kernarg_segment_ptr 1
		.amdhsa_user_sgpr_dispatch_id 0
		.amdhsa_user_sgpr_kernarg_preload_length 0
		.amdhsa_user_sgpr_kernarg_preload_offset 0
		.amdhsa_user_sgpr_private_segment_size 0
		.amdhsa_wavefront_size32 1
		.amdhsa_uses_dynamic_stack 0
		.amdhsa_enable_private_segment 0
		.amdhsa_system_sgpr_workgroup_id_x 1
		.amdhsa_system_sgpr_workgroup_id_y 0
		.amdhsa_system_sgpr_workgroup_id_z 0
		.amdhsa_system_sgpr_workgroup_info 0
		.amdhsa_system_vgpr_workitem_id 0
		.amdhsa_next_free_vgpr 1
		.amdhsa_next_free_sgpr 1
		.amdhsa_named_barrier_count 0
		.amdhsa_reserve_vcc 0
		.amdhsa_float_round_mode_32 0
		.amdhsa_float_round_mode_16_64 0
		.amdhsa_float_denorm_mode_32 3
		.amdhsa_float_denorm_mode_16_64 3
		.amdhsa_fp16_overflow 0
		.amdhsa_memory_ordered 1
		.amdhsa_forward_progress 1
		.amdhsa_inst_pref_size 0
		.amdhsa_round_robin_scheduling 0
		.amdhsa_exception_fp_ieee_invalid_op 0
		.amdhsa_exception_fp_denorm_src 0
		.amdhsa_exception_fp_ieee_div_zero 0
		.amdhsa_exception_fp_ieee_overflow 0
		.amdhsa_exception_fp_ieee_underflow 0
		.amdhsa_exception_fp_ieee_inexact 0
		.amdhsa_exception_int_div_zero 0
	.end_amdhsa_kernel
	.section	.text._ZN7rocprim17ROCPRIM_400000_NS6detail17trampoline_kernelINS0_14default_configENS1_35radix_sort_onesweep_config_selectorIsNS0_10empty_typeEEEZZNS1_29radix_sort_onesweep_iterationIS3_Lb1EPKsPsPS5_SB_mNS0_19identity_decomposerENS1_16block_id_wrapperIjLb1EEEEE10hipError_tT1_PNSt15iterator_traitsISG_E10value_typeET2_T3_PNSH_ISM_E10value_typeET4_T5_PSR_SS_PNS1_23onesweep_lookback_stateEbbT6_jjT7_P12ihipStream_tbENKUlT_T0_SG_SL_E_clIS9_SA_SB_SB_EEDaSZ_S10_SG_SL_EUlSZ_E_NS1_11comp_targetILNS1_3genE5ELNS1_11target_archE942ELNS1_3gpuE9ELNS1_3repE0EEENS1_47radix_sort_onesweep_sort_config_static_selectorELNS0_4arch9wavefront6targetE0EEEvSG_,"axG",@progbits,_ZN7rocprim17ROCPRIM_400000_NS6detail17trampoline_kernelINS0_14default_configENS1_35radix_sort_onesweep_config_selectorIsNS0_10empty_typeEEEZZNS1_29radix_sort_onesweep_iterationIS3_Lb1EPKsPsPS5_SB_mNS0_19identity_decomposerENS1_16block_id_wrapperIjLb1EEEEE10hipError_tT1_PNSt15iterator_traitsISG_E10value_typeET2_T3_PNSH_ISM_E10value_typeET4_T5_PSR_SS_PNS1_23onesweep_lookback_stateEbbT6_jjT7_P12ihipStream_tbENKUlT_T0_SG_SL_E_clIS9_SA_SB_SB_EEDaSZ_S10_SG_SL_EUlSZ_E_NS1_11comp_targetILNS1_3genE5ELNS1_11target_archE942ELNS1_3gpuE9ELNS1_3repE0EEENS1_47radix_sort_onesweep_sort_config_static_selectorELNS0_4arch9wavefront6targetE0EEEvSG_,comdat
.Lfunc_end604:
	.size	_ZN7rocprim17ROCPRIM_400000_NS6detail17trampoline_kernelINS0_14default_configENS1_35radix_sort_onesweep_config_selectorIsNS0_10empty_typeEEEZZNS1_29radix_sort_onesweep_iterationIS3_Lb1EPKsPsPS5_SB_mNS0_19identity_decomposerENS1_16block_id_wrapperIjLb1EEEEE10hipError_tT1_PNSt15iterator_traitsISG_E10value_typeET2_T3_PNSH_ISM_E10value_typeET4_T5_PSR_SS_PNS1_23onesweep_lookback_stateEbbT6_jjT7_P12ihipStream_tbENKUlT_T0_SG_SL_E_clIS9_SA_SB_SB_EEDaSZ_S10_SG_SL_EUlSZ_E_NS1_11comp_targetILNS1_3genE5ELNS1_11target_archE942ELNS1_3gpuE9ELNS1_3repE0EEENS1_47radix_sort_onesweep_sort_config_static_selectorELNS0_4arch9wavefront6targetE0EEEvSG_, .Lfunc_end604-_ZN7rocprim17ROCPRIM_400000_NS6detail17trampoline_kernelINS0_14default_configENS1_35radix_sort_onesweep_config_selectorIsNS0_10empty_typeEEEZZNS1_29radix_sort_onesweep_iterationIS3_Lb1EPKsPsPS5_SB_mNS0_19identity_decomposerENS1_16block_id_wrapperIjLb1EEEEE10hipError_tT1_PNSt15iterator_traitsISG_E10value_typeET2_T3_PNSH_ISM_E10value_typeET4_T5_PSR_SS_PNS1_23onesweep_lookback_stateEbbT6_jjT7_P12ihipStream_tbENKUlT_T0_SG_SL_E_clIS9_SA_SB_SB_EEDaSZ_S10_SG_SL_EUlSZ_E_NS1_11comp_targetILNS1_3genE5ELNS1_11target_archE942ELNS1_3gpuE9ELNS1_3repE0EEENS1_47radix_sort_onesweep_sort_config_static_selectorELNS0_4arch9wavefront6targetE0EEEvSG_
                                        ; -- End function
	.set _ZN7rocprim17ROCPRIM_400000_NS6detail17trampoline_kernelINS0_14default_configENS1_35radix_sort_onesweep_config_selectorIsNS0_10empty_typeEEEZZNS1_29radix_sort_onesweep_iterationIS3_Lb1EPKsPsPS5_SB_mNS0_19identity_decomposerENS1_16block_id_wrapperIjLb1EEEEE10hipError_tT1_PNSt15iterator_traitsISG_E10value_typeET2_T3_PNSH_ISM_E10value_typeET4_T5_PSR_SS_PNS1_23onesweep_lookback_stateEbbT6_jjT7_P12ihipStream_tbENKUlT_T0_SG_SL_E_clIS9_SA_SB_SB_EEDaSZ_S10_SG_SL_EUlSZ_E_NS1_11comp_targetILNS1_3genE5ELNS1_11target_archE942ELNS1_3gpuE9ELNS1_3repE0EEENS1_47radix_sort_onesweep_sort_config_static_selectorELNS0_4arch9wavefront6targetE0EEEvSG_.num_vgpr, 0
	.set _ZN7rocprim17ROCPRIM_400000_NS6detail17trampoline_kernelINS0_14default_configENS1_35radix_sort_onesweep_config_selectorIsNS0_10empty_typeEEEZZNS1_29radix_sort_onesweep_iterationIS3_Lb1EPKsPsPS5_SB_mNS0_19identity_decomposerENS1_16block_id_wrapperIjLb1EEEEE10hipError_tT1_PNSt15iterator_traitsISG_E10value_typeET2_T3_PNSH_ISM_E10value_typeET4_T5_PSR_SS_PNS1_23onesweep_lookback_stateEbbT6_jjT7_P12ihipStream_tbENKUlT_T0_SG_SL_E_clIS9_SA_SB_SB_EEDaSZ_S10_SG_SL_EUlSZ_E_NS1_11comp_targetILNS1_3genE5ELNS1_11target_archE942ELNS1_3gpuE9ELNS1_3repE0EEENS1_47radix_sort_onesweep_sort_config_static_selectorELNS0_4arch9wavefront6targetE0EEEvSG_.num_agpr, 0
	.set _ZN7rocprim17ROCPRIM_400000_NS6detail17trampoline_kernelINS0_14default_configENS1_35radix_sort_onesweep_config_selectorIsNS0_10empty_typeEEEZZNS1_29radix_sort_onesweep_iterationIS3_Lb1EPKsPsPS5_SB_mNS0_19identity_decomposerENS1_16block_id_wrapperIjLb1EEEEE10hipError_tT1_PNSt15iterator_traitsISG_E10value_typeET2_T3_PNSH_ISM_E10value_typeET4_T5_PSR_SS_PNS1_23onesweep_lookback_stateEbbT6_jjT7_P12ihipStream_tbENKUlT_T0_SG_SL_E_clIS9_SA_SB_SB_EEDaSZ_S10_SG_SL_EUlSZ_E_NS1_11comp_targetILNS1_3genE5ELNS1_11target_archE942ELNS1_3gpuE9ELNS1_3repE0EEENS1_47radix_sort_onesweep_sort_config_static_selectorELNS0_4arch9wavefront6targetE0EEEvSG_.numbered_sgpr, 0
	.set _ZN7rocprim17ROCPRIM_400000_NS6detail17trampoline_kernelINS0_14default_configENS1_35radix_sort_onesweep_config_selectorIsNS0_10empty_typeEEEZZNS1_29radix_sort_onesweep_iterationIS3_Lb1EPKsPsPS5_SB_mNS0_19identity_decomposerENS1_16block_id_wrapperIjLb1EEEEE10hipError_tT1_PNSt15iterator_traitsISG_E10value_typeET2_T3_PNSH_ISM_E10value_typeET4_T5_PSR_SS_PNS1_23onesweep_lookback_stateEbbT6_jjT7_P12ihipStream_tbENKUlT_T0_SG_SL_E_clIS9_SA_SB_SB_EEDaSZ_S10_SG_SL_EUlSZ_E_NS1_11comp_targetILNS1_3genE5ELNS1_11target_archE942ELNS1_3gpuE9ELNS1_3repE0EEENS1_47radix_sort_onesweep_sort_config_static_selectorELNS0_4arch9wavefront6targetE0EEEvSG_.num_named_barrier, 0
	.set _ZN7rocprim17ROCPRIM_400000_NS6detail17trampoline_kernelINS0_14default_configENS1_35radix_sort_onesweep_config_selectorIsNS0_10empty_typeEEEZZNS1_29radix_sort_onesweep_iterationIS3_Lb1EPKsPsPS5_SB_mNS0_19identity_decomposerENS1_16block_id_wrapperIjLb1EEEEE10hipError_tT1_PNSt15iterator_traitsISG_E10value_typeET2_T3_PNSH_ISM_E10value_typeET4_T5_PSR_SS_PNS1_23onesweep_lookback_stateEbbT6_jjT7_P12ihipStream_tbENKUlT_T0_SG_SL_E_clIS9_SA_SB_SB_EEDaSZ_S10_SG_SL_EUlSZ_E_NS1_11comp_targetILNS1_3genE5ELNS1_11target_archE942ELNS1_3gpuE9ELNS1_3repE0EEENS1_47radix_sort_onesweep_sort_config_static_selectorELNS0_4arch9wavefront6targetE0EEEvSG_.private_seg_size, 0
	.set _ZN7rocprim17ROCPRIM_400000_NS6detail17trampoline_kernelINS0_14default_configENS1_35radix_sort_onesweep_config_selectorIsNS0_10empty_typeEEEZZNS1_29radix_sort_onesweep_iterationIS3_Lb1EPKsPsPS5_SB_mNS0_19identity_decomposerENS1_16block_id_wrapperIjLb1EEEEE10hipError_tT1_PNSt15iterator_traitsISG_E10value_typeET2_T3_PNSH_ISM_E10value_typeET4_T5_PSR_SS_PNS1_23onesweep_lookback_stateEbbT6_jjT7_P12ihipStream_tbENKUlT_T0_SG_SL_E_clIS9_SA_SB_SB_EEDaSZ_S10_SG_SL_EUlSZ_E_NS1_11comp_targetILNS1_3genE5ELNS1_11target_archE942ELNS1_3gpuE9ELNS1_3repE0EEENS1_47radix_sort_onesweep_sort_config_static_selectorELNS0_4arch9wavefront6targetE0EEEvSG_.uses_vcc, 0
	.set _ZN7rocprim17ROCPRIM_400000_NS6detail17trampoline_kernelINS0_14default_configENS1_35radix_sort_onesweep_config_selectorIsNS0_10empty_typeEEEZZNS1_29radix_sort_onesweep_iterationIS3_Lb1EPKsPsPS5_SB_mNS0_19identity_decomposerENS1_16block_id_wrapperIjLb1EEEEE10hipError_tT1_PNSt15iterator_traitsISG_E10value_typeET2_T3_PNSH_ISM_E10value_typeET4_T5_PSR_SS_PNS1_23onesweep_lookback_stateEbbT6_jjT7_P12ihipStream_tbENKUlT_T0_SG_SL_E_clIS9_SA_SB_SB_EEDaSZ_S10_SG_SL_EUlSZ_E_NS1_11comp_targetILNS1_3genE5ELNS1_11target_archE942ELNS1_3gpuE9ELNS1_3repE0EEENS1_47radix_sort_onesweep_sort_config_static_selectorELNS0_4arch9wavefront6targetE0EEEvSG_.uses_flat_scratch, 0
	.set _ZN7rocprim17ROCPRIM_400000_NS6detail17trampoline_kernelINS0_14default_configENS1_35radix_sort_onesweep_config_selectorIsNS0_10empty_typeEEEZZNS1_29radix_sort_onesweep_iterationIS3_Lb1EPKsPsPS5_SB_mNS0_19identity_decomposerENS1_16block_id_wrapperIjLb1EEEEE10hipError_tT1_PNSt15iterator_traitsISG_E10value_typeET2_T3_PNSH_ISM_E10value_typeET4_T5_PSR_SS_PNS1_23onesweep_lookback_stateEbbT6_jjT7_P12ihipStream_tbENKUlT_T0_SG_SL_E_clIS9_SA_SB_SB_EEDaSZ_S10_SG_SL_EUlSZ_E_NS1_11comp_targetILNS1_3genE5ELNS1_11target_archE942ELNS1_3gpuE9ELNS1_3repE0EEENS1_47radix_sort_onesweep_sort_config_static_selectorELNS0_4arch9wavefront6targetE0EEEvSG_.has_dyn_sized_stack, 0
	.set _ZN7rocprim17ROCPRIM_400000_NS6detail17trampoline_kernelINS0_14default_configENS1_35radix_sort_onesweep_config_selectorIsNS0_10empty_typeEEEZZNS1_29radix_sort_onesweep_iterationIS3_Lb1EPKsPsPS5_SB_mNS0_19identity_decomposerENS1_16block_id_wrapperIjLb1EEEEE10hipError_tT1_PNSt15iterator_traitsISG_E10value_typeET2_T3_PNSH_ISM_E10value_typeET4_T5_PSR_SS_PNS1_23onesweep_lookback_stateEbbT6_jjT7_P12ihipStream_tbENKUlT_T0_SG_SL_E_clIS9_SA_SB_SB_EEDaSZ_S10_SG_SL_EUlSZ_E_NS1_11comp_targetILNS1_3genE5ELNS1_11target_archE942ELNS1_3gpuE9ELNS1_3repE0EEENS1_47radix_sort_onesweep_sort_config_static_selectorELNS0_4arch9wavefront6targetE0EEEvSG_.has_recursion, 0
	.set _ZN7rocprim17ROCPRIM_400000_NS6detail17trampoline_kernelINS0_14default_configENS1_35radix_sort_onesweep_config_selectorIsNS0_10empty_typeEEEZZNS1_29radix_sort_onesweep_iterationIS3_Lb1EPKsPsPS5_SB_mNS0_19identity_decomposerENS1_16block_id_wrapperIjLb1EEEEE10hipError_tT1_PNSt15iterator_traitsISG_E10value_typeET2_T3_PNSH_ISM_E10value_typeET4_T5_PSR_SS_PNS1_23onesweep_lookback_stateEbbT6_jjT7_P12ihipStream_tbENKUlT_T0_SG_SL_E_clIS9_SA_SB_SB_EEDaSZ_S10_SG_SL_EUlSZ_E_NS1_11comp_targetILNS1_3genE5ELNS1_11target_archE942ELNS1_3gpuE9ELNS1_3repE0EEENS1_47radix_sort_onesweep_sort_config_static_selectorELNS0_4arch9wavefront6targetE0EEEvSG_.has_indirect_call, 0
	.section	.AMDGPU.csdata,"",@progbits
; Kernel info:
; codeLenInByte = 0
; TotalNumSgprs: 0
; NumVgprs: 0
; ScratchSize: 0
; MemoryBound: 0
; FloatMode: 240
; IeeeMode: 1
; LDSByteSize: 0 bytes/workgroup (compile time only)
; SGPRBlocks: 0
; VGPRBlocks: 0
; NumSGPRsForWavesPerEU: 1
; NumVGPRsForWavesPerEU: 1
; NamedBarCnt: 0
; Occupancy: 16
; WaveLimiterHint : 0
; COMPUTE_PGM_RSRC2:SCRATCH_EN: 0
; COMPUTE_PGM_RSRC2:USER_SGPR: 2
; COMPUTE_PGM_RSRC2:TRAP_HANDLER: 0
; COMPUTE_PGM_RSRC2:TGID_X_EN: 1
; COMPUTE_PGM_RSRC2:TGID_Y_EN: 0
; COMPUTE_PGM_RSRC2:TGID_Z_EN: 0
; COMPUTE_PGM_RSRC2:TIDIG_COMP_CNT: 0
	.section	.text._ZN7rocprim17ROCPRIM_400000_NS6detail17trampoline_kernelINS0_14default_configENS1_35radix_sort_onesweep_config_selectorIsNS0_10empty_typeEEEZZNS1_29radix_sort_onesweep_iterationIS3_Lb1EPKsPsPS5_SB_mNS0_19identity_decomposerENS1_16block_id_wrapperIjLb1EEEEE10hipError_tT1_PNSt15iterator_traitsISG_E10value_typeET2_T3_PNSH_ISM_E10value_typeET4_T5_PSR_SS_PNS1_23onesweep_lookback_stateEbbT6_jjT7_P12ihipStream_tbENKUlT_T0_SG_SL_E_clIS9_SA_SB_SB_EEDaSZ_S10_SG_SL_EUlSZ_E_NS1_11comp_targetILNS1_3genE2ELNS1_11target_archE906ELNS1_3gpuE6ELNS1_3repE0EEENS1_47radix_sort_onesweep_sort_config_static_selectorELNS0_4arch9wavefront6targetE0EEEvSG_,"axG",@progbits,_ZN7rocprim17ROCPRIM_400000_NS6detail17trampoline_kernelINS0_14default_configENS1_35radix_sort_onesweep_config_selectorIsNS0_10empty_typeEEEZZNS1_29radix_sort_onesweep_iterationIS3_Lb1EPKsPsPS5_SB_mNS0_19identity_decomposerENS1_16block_id_wrapperIjLb1EEEEE10hipError_tT1_PNSt15iterator_traitsISG_E10value_typeET2_T3_PNSH_ISM_E10value_typeET4_T5_PSR_SS_PNS1_23onesweep_lookback_stateEbbT6_jjT7_P12ihipStream_tbENKUlT_T0_SG_SL_E_clIS9_SA_SB_SB_EEDaSZ_S10_SG_SL_EUlSZ_E_NS1_11comp_targetILNS1_3genE2ELNS1_11target_archE906ELNS1_3gpuE6ELNS1_3repE0EEENS1_47radix_sort_onesweep_sort_config_static_selectorELNS0_4arch9wavefront6targetE0EEEvSG_,comdat
	.protected	_ZN7rocprim17ROCPRIM_400000_NS6detail17trampoline_kernelINS0_14default_configENS1_35radix_sort_onesweep_config_selectorIsNS0_10empty_typeEEEZZNS1_29radix_sort_onesweep_iterationIS3_Lb1EPKsPsPS5_SB_mNS0_19identity_decomposerENS1_16block_id_wrapperIjLb1EEEEE10hipError_tT1_PNSt15iterator_traitsISG_E10value_typeET2_T3_PNSH_ISM_E10value_typeET4_T5_PSR_SS_PNS1_23onesweep_lookback_stateEbbT6_jjT7_P12ihipStream_tbENKUlT_T0_SG_SL_E_clIS9_SA_SB_SB_EEDaSZ_S10_SG_SL_EUlSZ_E_NS1_11comp_targetILNS1_3genE2ELNS1_11target_archE906ELNS1_3gpuE6ELNS1_3repE0EEENS1_47radix_sort_onesweep_sort_config_static_selectorELNS0_4arch9wavefront6targetE0EEEvSG_ ; -- Begin function _ZN7rocprim17ROCPRIM_400000_NS6detail17trampoline_kernelINS0_14default_configENS1_35radix_sort_onesweep_config_selectorIsNS0_10empty_typeEEEZZNS1_29radix_sort_onesweep_iterationIS3_Lb1EPKsPsPS5_SB_mNS0_19identity_decomposerENS1_16block_id_wrapperIjLb1EEEEE10hipError_tT1_PNSt15iterator_traitsISG_E10value_typeET2_T3_PNSH_ISM_E10value_typeET4_T5_PSR_SS_PNS1_23onesweep_lookback_stateEbbT6_jjT7_P12ihipStream_tbENKUlT_T0_SG_SL_E_clIS9_SA_SB_SB_EEDaSZ_S10_SG_SL_EUlSZ_E_NS1_11comp_targetILNS1_3genE2ELNS1_11target_archE906ELNS1_3gpuE6ELNS1_3repE0EEENS1_47radix_sort_onesweep_sort_config_static_selectorELNS0_4arch9wavefront6targetE0EEEvSG_
	.globl	_ZN7rocprim17ROCPRIM_400000_NS6detail17trampoline_kernelINS0_14default_configENS1_35radix_sort_onesweep_config_selectorIsNS0_10empty_typeEEEZZNS1_29radix_sort_onesweep_iterationIS3_Lb1EPKsPsPS5_SB_mNS0_19identity_decomposerENS1_16block_id_wrapperIjLb1EEEEE10hipError_tT1_PNSt15iterator_traitsISG_E10value_typeET2_T3_PNSH_ISM_E10value_typeET4_T5_PSR_SS_PNS1_23onesweep_lookback_stateEbbT6_jjT7_P12ihipStream_tbENKUlT_T0_SG_SL_E_clIS9_SA_SB_SB_EEDaSZ_S10_SG_SL_EUlSZ_E_NS1_11comp_targetILNS1_3genE2ELNS1_11target_archE906ELNS1_3gpuE6ELNS1_3repE0EEENS1_47radix_sort_onesweep_sort_config_static_selectorELNS0_4arch9wavefront6targetE0EEEvSG_
	.p2align	8
	.type	_ZN7rocprim17ROCPRIM_400000_NS6detail17trampoline_kernelINS0_14default_configENS1_35radix_sort_onesweep_config_selectorIsNS0_10empty_typeEEEZZNS1_29radix_sort_onesweep_iterationIS3_Lb1EPKsPsPS5_SB_mNS0_19identity_decomposerENS1_16block_id_wrapperIjLb1EEEEE10hipError_tT1_PNSt15iterator_traitsISG_E10value_typeET2_T3_PNSH_ISM_E10value_typeET4_T5_PSR_SS_PNS1_23onesweep_lookback_stateEbbT6_jjT7_P12ihipStream_tbENKUlT_T0_SG_SL_E_clIS9_SA_SB_SB_EEDaSZ_S10_SG_SL_EUlSZ_E_NS1_11comp_targetILNS1_3genE2ELNS1_11target_archE906ELNS1_3gpuE6ELNS1_3repE0EEENS1_47radix_sort_onesweep_sort_config_static_selectorELNS0_4arch9wavefront6targetE0EEEvSG_,@function
_ZN7rocprim17ROCPRIM_400000_NS6detail17trampoline_kernelINS0_14default_configENS1_35radix_sort_onesweep_config_selectorIsNS0_10empty_typeEEEZZNS1_29radix_sort_onesweep_iterationIS3_Lb1EPKsPsPS5_SB_mNS0_19identity_decomposerENS1_16block_id_wrapperIjLb1EEEEE10hipError_tT1_PNSt15iterator_traitsISG_E10value_typeET2_T3_PNSH_ISM_E10value_typeET4_T5_PSR_SS_PNS1_23onesweep_lookback_stateEbbT6_jjT7_P12ihipStream_tbENKUlT_T0_SG_SL_E_clIS9_SA_SB_SB_EEDaSZ_S10_SG_SL_EUlSZ_E_NS1_11comp_targetILNS1_3genE2ELNS1_11target_archE906ELNS1_3gpuE6ELNS1_3repE0EEENS1_47radix_sort_onesweep_sort_config_static_selectorELNS0_4arch9wavefront6targetE0EEEvSG_: ; @_ZN7rocprim17ROCPRIM_400000_NS6detail17trampoline_kernelINS0_14default_configENS1_35radix_sort_onesweep_config_selectorIsNS0_10empty_typeEEEZZNS1_29radix_sort_onesweep_iterationIS3_Lb1EPKsPsPS5_SB_mNS0_19identity_decomposerENS1_16block_id_wrapperIjLb1EEEEE10hipError_tT1_PNSt15iterator_traitsISG_E10value_typeET2_T3_PNSH_ISM_E10value_typeET4_T5_PSR_SS_PNS1_23onesweep_lookback_stateEbbT6_jjT7_P12ihipStream_tbENKUlT_T0_SG_SL_E_clIS9_SA_SB_SB_EEDaSZ_S10_SG_SL_EUlSZ_E_NS1_11comp_targetILNS1_3genE2ELNS1_11target_archE906ELNS1_3gpuE6ELNS1_3repE0EEENS1_47radix_sort_onesweep_sort_config_static_selectorELNS0_4arch9wavefront6targetE0EEEvSG_
; %bb.0:
	.section	.rodata,"a",@progbits
	.p2align	6, 0x0
	.amdhsa_kernel _ZN7rocprim17ROCPRIM_400000_NS6detail17trampoline_kernelINS0_14default_configENS1_35radix_sort_onesweep_config_selectorIsNS0_10empty_typeEEEZZNS1_29radix_sort_onesweep_iterationIS3_Lb1EPKsPsPS5_SB_mNS0_19identity_decomposerENS1_16block_id_wrapperIjLb1EEEEE10hipError_tT1_PNSt15iterator_traitsISG_E10value_typeET2_T3_PNSH_ISM_E10value_typeET4_T5_PSR_SS_PNS1_23onesweep_lookback_stateEbbT6_jjT7_P12ihipStream_tbENKUlT_T0_SG_SL_E_clIS9_SA_SB_SB_EEDaSZ_S10_SG_SL_EUlSZ_E_NS1_11comp_targetILNS1_3genE2ELNS1_11target_archE906ELNS1_3gpuE6ELNS1_3repE0EEENS1_47radix_sort_onesweep_sort_config_static_selectorELNS0_4arch9wavefront6targetE0EEEvSG_
		.amdhsa_group_segment_fixed_size 0
		.amdhsa_private_segment_fixed_size 0
		.amdhsa_kernarg_size 88
		.amdhsa_user_sgpr_count 2
		.amdhsa_user_sgpr_dispatch_ptr 0
		.amdhsa_user_sgpr_queue_ptr 0
		.amdhsa_user_sgpr_kernarg_segment_ptr 1
		.amdhsa_user_sgpr_dispatch_id 0
		.amdhsa_user_sgpr_kernarg_preload_length 0
		.amdhsa_user_sgpr_kernarg_preload_offset 0
		.amdhsa_user_sgpr_private_segment_size 0
		.amdhsa_wavefront_size32 1
		.amdhsa_uses_dynamic_stack 0
		.amdhsa_enable_private_segment 0
		.amdhsa_system_sgpr_workgroup_id_x 1
		.amdhsa_system_sgpr_workgroup_id_y 0
		.amdhsa_system_sgpr_workgroup_id_z 0
		.amdhsa_system_sgpr_workgroup_info 0
		.amdhsa_system_vgpr_workitem_id 0
		.amdhsa_next_free_vgpr 1
		.amdhsa_next_free_sgpr 1
		.amdhsa_named_barrier_count 0
		.amdhsa_reserve_vcc 0
		.amdhsa_float_round_mode_32 0
		.amdhsa_float_round_mode_16_64 0
		.amdhsa_float_denorm_mode_32 3
		.amdhsa_float_denorm_mode_16_64 3
		.amdhsa_fp16_overflow 0
		.amdhsa_memory_ordered 1
		.amdhsa_forward_progress 1
		.amdhsa_inst_pref_size 0
		.amdhsa_round_robin_scheduling 0
		.amdhsa_exception_fp_ieee_invalid_op 0
		.amdhsa_exception_fp_denorm_src 0
		.amdhsa_exception_fp_ieee_div_zero 0
		.amdhsa_exception_fp_ieee_overflow 0
		.amdhsa_exception_fp_ieee_underflow 0
		.amdhsa_exception_fp_ieee_inexact 0
		.amdhsa_exception_int_div_zero 0
	.end_amdhsa_kernel
	.section	.text._ZN7rocprim17ROCPRIM_400000_NS6detail17trampoline_kernelINS0_14default_configENS1_35radix_sort_onesweep_config_selectorIsNS0_10empty_typeEEEZZNS1_29radix_sort_onesweep_iterationIS3_Lb1EPKsPsPS5_SB_mNS0_19identity_decomposerENS1_16block_id_wrapperIjLb1EEEEE10hipError_tT1_PNSt15iterator_traitsISG_E10value_typeET2_T3_PNSH_ISM_E10value_typeET4_T5_PSR_SS_PNS1_23onesweep_lookback_stateEbbT6_jjT7_P12ihipStream_tbENKUlT_T0_SG_SL_E_clIS9_SA_SB_SB_EEDaSZ_S10_SG_SL_EUlSZ_E_NS1_11comp_targetILNS1_3genE2ELNS1_11target_archE906ELNS1_3gpuE6ELNS1_3repE0EEENS1_47radix_sort_onesweep_sort_config_static_selectorELNS0_4arch9wavefront6targetE0EEEvSG_,"axG",@progbits,_ZN7rocprim17ROCPRIM_400000_NS6detail17trampoline_kernelINS0_14default_configENS1_35radix_sort_onesweep_config_selectorIsNS0_10empty_typeEEEZZNS1_29radix_sort_onesweep_iterationIS3_Lb1EPKsPsPS5_SB_mNS0_19identity_decomposerENS1_16block_id_wrapperIjLb1EEEEE10hipError_tT1_PNSt15iterator_traitsISG_E10value_typeET2_T3_PNSH_ISM_E10value_typeET4_T5_PSR_SS_PNS1_23onesweep_lookback_stateEbbT6_jjT7_P12ihipStream_tbENKUlT_T0_SG_SL_E_clIS9_SA_SB_SB_EEDaSZ_S10_SG_SL_EUlSZ_E_NS1_11comp_targetILNS1_3genE2ELNS1_11target_archE906ELNS1_3gpuE6ELNS1_3repE0EEENS1_47radix_sort_onesweep_sort_config_static_selectorELNS0_4arch9wavefront6targetE0EEEvSG_,comdat
.Lfunc_end605:
	.size	_ZN7rocprim17ROCPRIM_400000_NS6detail17trampoline_kernelINS0_14default_configENS1_35radix_sort_onesweep_config_selectorIsNS0_10empty_typeEEEZZNS1_29radix_sort_onesweep_iterationIS3_Lb1EPKsPsPS5_SB_mNS0_19identity_decomposerENS1_16block_id_wrapperIjLb1EEEEE10hipError_tT1_PNSt15iterator_traitsISG_E10value_typeET2_T3_PNSH_ISM_E10value_typeET4_T5_PSR_SS_PNS1_23onesweep_lookback_stateEbbT6_jjT7_P12ihipStream_tbENKUlT_T0_SG_SL_E_clIS9_SA_SB_SB_EEDaSZ_S10_SG_SL_EUlSZ_E_NS1_11comp_targetILNS1_3genE2ELNS1_11target_archE906ELNS1_3gpuE6ELNS1_3repE0EEENS1_47radix_sort_onesweep_sort_config_static_selectorELNS0_4arch9wavefront6targetE0EEEvSG_, .Lfunc_end605-_ZN7rocprim17ROCPRIM_400000_NS6detail17trampoline_kernelINS0_14default_configENS1_35radix_sort_onesweep_config_selectorIsNS0_10empty_typeEEEZZNS1_29radix_sort_onesweep_iterationIS3_Lb1EPKsPsPS5_SB_mNS0_19identity_decomposerENS1_16block_id_wrapperIjLb1EEEEE10hipError_tT1_PNSt15iterator_traitsISG_E10value_typeET2_T3_PNSH_ISM_E10value_typeET4_T5_PSR_SS_PNS1_23onesweep_lookback_stateEbbT6_jjT7_P12ihipStream_tbENKUlT_T0_SG_SL_E_clIS9_SA_SB_SB_EEDaSZ_S10_SG_SL_EUlSZ_E_NS1_11comp_targetILNS1_3genE2ELNS1_11target_archE906ELNS1_3gpuE6ELNS1_3repE0EEENS1_47radix_sort_onesweep_sort_config_static_selectorELNS0_4arch9wavefront6targetE0EEEvSG_
                                        ; -- End function
	.set _ZN7rocprim17ROCPRIM_400000_NS6detail17trampoline_kernelINS0_14default_configENS1_35radix_sort_onesweep_config_selectorIsNS0_10empty_typeEEEZZNS1_29radix_sort_onesweep_iterationIS3_Lb1EPKsPsPS5_SB_mNS0_19identity_decomposerENS1_16block_id_wrapperIjLb1EEEEE10hipError_tT1_PNSt15iterator_traitsISG_E10value_typeET2_T3_PNSH_ISM_E10value_typeET4_T5_PSR_SS_PNS1_23onesweep_lookback_stateEbbT6_jjT7_P12ihipStream_tbENKUlT_T0_SG_SL_E_clIS9_SA_SB_SB_EEDaSZ_S10_SG_SL_EUlSZ_E_NS1_11comp_targetILNS1_3genE2ELNS1_11target_archE906ELNS1_3gpuE6ELNS1_3repE0EEENS1_47radix_sort_onesweep_sort_config_static_selectorELNS0_4arch9wavefront6targetE0EEEvSG_.num_vgpr, 0
	.set _ZN7rocprim17ROCPRIM_400000_NS6detail17trampoline_kernelINS0_14default_configENS1_35radix_sort_onesweep_config_selectorIsNS0_10empty_typeEEEZZNS1_29radix_sort_onesweep_iterationIS3_Lb1EPKsPsPS5_SB_mNS0_19identity_decomposerENS1_16block_id_wrapperIjLb1EEEEE10hipError_tT1_PNSt15iterator_traitsISG_E10value_typeET2_T3_PNSH_ISM_E10value_typeET4_T5_PSR_SS_PNS1_23onesweep_lookback_stateEbbT6_jjT7_P12ihipStream_tbENKUlT_T0_SG_SL_E_clIS9_SA_SB_SB_EEDaSZ_S10_SG_SL_EUlSZ_E_NS1_11comp_targetILNS1_3genE2ELNS1_11target_archE906ELNS1_3gpuE6ELNS1_3repE0EEENS1_47radix_sort_onesweep_sort_config_static_selectorELNS0_4arch9wavefront6targetE0EEEvSG_.num_agpr, 0
	.set _ZN7rocprim17ROCPRIM_400000_NS6detail17trampoline_kernelINS0_14default_configENS1_35radix_sort_onesweep_config_selectorIsNS0_10empty_typeEEEZZNS1_29radix_sort_onesweep_iterationIS3_Lb1EPKsPsPS5_SB_mNS0_19identity_decomposerENS1_16block_id_wrapperIjLb1EEEEE10hipError_tT1_PNSt15iterator_traitsISG_E10value_typeET2_T3_PNSH_ISM_E10value_typeET4_T5_PSR_SS_PNS1_23onesweep_lookback_stateEbbT6_jjT7_P12ihipStream_tbENKUlT_T0_SG_SL_E_clIS9_SA_SB_SB_EEDaSZ_S10_SG_SL_EUlSZ_E_NS1_11comp_targetILNS1_3genE2ELNS1_11target_archE906ELNS1_3gpuE6ELNS1_3repE0EEENS1_47radix_sort_onesweep_sort_config_static_selectorELNS0_4arch9wavefront6targetE0EEEvSG_.numbered_sgpr, 0
	.set _ZN7rocprim17ROCPRIM_400000_NS6detail17trampoline_kernelINS0_14default_configENS1_35radix_sort_onesweep_config_selectorIsNS0_10empty_typeEEEZZNS1_29radix_sort_onesweep_iterationIS3_Lb1EPKsPsPS5_SB_mNS0_19identity_decomposerENS1_16block_id_wrapperIjLb1EEEEE10hipError_tT1_PNSt15iterator_traitsISG_E10value_typeET2_T3_PNSH_ISM_E10value_typeET4_T5_PSR_SS_PNS1_23onesweep_lookback_stateEbbT6_jjT7_P12ihipStream_tbENKUlT_T0_SG_SL_E_clIS9_SA_SB_SB_EEDaSZ_S10_SG_SL_EUlSZ_E_NS1_11comp_targetILNS1_3genE2ELNS1_11target_archE906ELNS1_3gpuE6ELNS1_3repE0EEENS1_47radix_sort_onesweep_sort_config_static_selectorELNS0_4arch9wavefront6targetE0EEEvSG_.num_named_barrier, 0
	.set _ZN7rocprim17ROCPRIM_400000_NS6detail17trampoline_kernelINS0_14default_configENS1_35radix_sort_onesweep_config_selectorIsNS0_10empty_typeEEEZZNS1_29radix_sort_onesweep_iterationIS3_Lb1EPKsPsPS5_SB_mNS0_19identity_decomposerENS1_16block_id_wrapperIjLb1EEEEE10hipError_tT1_PNSt15iterator_traitsISG_E10value_typeET2_T3_PNSH_ISM_E10value_typeET4_T5_PSR_SS_PNS1_23onesweep_lookback_stateEbbT6_jjT7_P12ihipStream_tbENKUlT_T0_SG_SL_E_clIS9_SA_SB_SB_EEDaSZ_S10_SG_SL_EUlSZ_E_NS1_11comp_targetILNS1_3genE2ELNS1_11target_archE906ELNS1_3gpuE6ELNS1_3repE0EEENS1_47radix_sort_onesweep_sort_config_static_selectorELNS0_4arch9wavefront6targetE0EEEvSG_.private_seg_size, 0
	.set _ZN7rocprim17ROCPRIM_400000_NS6detail17trampoline_kernelINS0_14default_configENS1_35radix_sort_onesweep_config_selectorIsNS0_10empty_typeEEEZZNS1_29radix_sort_onesweep_iterationIS3_Lb1EPKsPsPS5_SB_mNS0_19identity_decomposerENS1_16block_id_wrapperIjLb1EEEEE10hipError_tT1_PNSt15iterator_traitsISG_E10value_typeET2_T3_PNSH_ISM_E10value_typeET4_T5_PSR_SS_PNS1_23onesweep_lookback_stateEbbT6_jjT7_P12ihipStream_tbENKUlT_T0_SG_SL_E_clIS9_SA_SB_SB_EEDaSZ_S10_SG_SL_EUlSZ_E_NS1_11comp_targetILNS1_3genE2ELNS1_11target_archE906ELNS1_3gpuE6ELNS1_3repE0EEENS1_47radix_sort_onesweep_sort_config_static_selectorELNS0_4arch9wavefront6targetE0EEEvSG_.uses_vcc, 0
	.set _ZN7rocprim17ROCPRIM_400000_NS6detail17trampoline_kernelINS0_14default_configENS1_35radix_sort_onesweep_config_selectorIsNS0_10empty_typeEEEZZNS1_29radix_sort_onesweep_iterationIS3_Lb1EPKsPsPS5_SB_mNS0_19identity_decomposerENS1_16block_id_wrapperIjLb1EEEEE10hipError_tT1_PNSt15iterator_traitsISG_E10value_typeET2_T3_PNSH_ISM_E10value_typeET4_T5_PSR_SS_PNS1_23onesweep_lookback_stateEbbT6_jjT7_P12ihipStream_tbENKUlT_T0_SG_SL_E_clIS9_SA_SB_SB_EEDaSZ_S10_SG_SL_EUlSZ_E_NS1_11comp_targetILNS1_3genE2ELNS1_11target_archE906ELNS1_3gpuE6ELNS1_3repE0EEENS1_47radix_sort_onesweep_sort_config_static_selectorELNS0_4arch9wavefront6targetE0EEEvSG_.uses_flat_scratch, 0
	.set _ZN7rocprim17ROCPRIM_400000_NS6detail17trampoline_kernelINS0_14default_configENS1_35radix_sort_onesweep_config_selectorIsNS0_10empty_typeEEEZZNS1_29radix_sort_onesweep_iterationIS3_Lb1EPKsPsPS5_SB_mNS0_19identity_decomposerENS1_16block_id_wrapperIjLb1EEEEE10hipError_tT1_PNSt15iterator_traitsISG_E10value_typeET2_T3_PNSH_ISM_E10value_typeET4_T5_PSR_SS_PNS1_23onesweep_lookback_stateEbbT6_jjT7_P12ihipStream_tbENKUlT_T0_SG_SL_E_clIS9_SA_SB_SB_EEDaSZ_S10_SG_SL_EUlSZ_E_NS1_11comp_targetILNS1_3genE2ELNS1_11target_archE906ELNS1_3gpuE6ELNS1_3repE0EEENS1_47radix_sort_onesweep_sort_config_static_selectorELNS0_4arch9wavefront6targetE0EEEvSG_.has_dyn_sized_stack, 0
	.set _ZN7rocprim17ROCPRIM_400000_NS6detail17trampoline_kernelINS0_14default_configENS1_35radix_sort_onesweep_config_selectorIsNS0_10empty_typeEEEZZNS1_29radix_sort_onesweep_iterationIS3_Lb1EPKsPsPS5_SB_mNS0_19identity_decomposerENS1_16block_id_wrapperIjLb1EEEEE10hipError_tT1_PNSt15iterator_traitsISG_E10value_typeET2_T3_PNSH_ISM_E10value_typeET4_T5_PSR_SS_PNS1_23onesweep_lookback_stateEbbT6_jjT7_P12ihipStream_tbENKUlT_T0_SG_SL_E_clIS9_SA_SB_SB_EEDaSZ_S10_SG_SL_EUlSZ_E_NS1_11comp_targetILNS1_3genE2ELNS1_11target_archE906ELNS1_3gpuE6ELNS1_3repE0EEENS1_47radix_sort_onesweep_sort_config_static_selectorELNS0_4arch9wavefront6targetE0EEEvSG_.has_recursion, 0
	.set _ZN7rocprim17ROCPRIM_400000_NS6detail17trampoline_kernelINS0_14default_configENS1_35radix_sort_onesweep_config_selectorIsNS0_10empty_typeEEEZZNS1_29radix_sort_onesweep_iterationIS3_Lb1EPKsPsPS5_SB_mNS0_19identity_decomposerENS1_16block_id_wrapperIjLb1EEEEE10hipError_tT1_PNSt15iterator_traitsISG_E10value_typeET2_T3_PNSH_ISM_E10value_typeET4_T5_PSR_SS_PNS1_23onesweep_lookback_stateEbbT6_jjT7_P12ihipStream_tbENKUlT_T0_SG_SL_E_clIS9_SA_SB_SB_EEDaSZ_S10_SG_SL_EUlSZ_E_NS1_11comp_targetILNS1_3genE2ELNS1_11target_archE906ELNS1_3gpuE6ELNS1_3repE0EEENS1_47radix_sort_onesweep_sort_config_static_selectorELNS0_4arch9wavefront6targetE0EEEvSG_.has_indirect_call, 0
	.section	.AMDGPU.csdata,"",@progbits
; Kernel info:
; codeLenInByte = 0
; TotalNumSgprs: 0
; NumVgprs: 0
; ScratchSize: 0
; MemoryBound: 0
; FloatMode: 240
; IeeeMode: 1
; LDSByteSize: 0 bytes/workgroup (compile time only)
; SGPRBlocks: 0
; VGPRBlocks: 0
; NumSGPRsForWavesPerEU: 1
; NumVGPRsForWavesPerEU: 1
; NamedBarCnt: 0
; Occupancy: 16
; WaveLimiterHint : 0
; COMPUTE_PGM_RSRC2:SCRATCH_EN: 0
; COMPUTE_PGM_RSRC2:USER_SGPR: 2
; COMPUTE_PGM_RSRC2:TRAP_HANDLER: 0
; COMPUTE_PGM_RSRC2:TGID_X_EN: 1
; COMPUTE_PGM_RSRC2:TGID_Y_EN: 0
; COMPUTE_PGM_RSRC2:TGID_Z_EN: 0
; COMPUTE_PGM_RSRC2:TIDIG_COMP_CNT: 0
	.section	.text._ZN7rocprim17ROCPRIM_400000_NS6detail17trampoline_kernelINS0_14default_configENS1_35radix_sort_onesweep_config_selectorIsNS0_10empty_typeEEEZZNS1_29radix_sort_onesweep_iterationIS3_Lb1EPKsPsPS5_SB_mNS0_19identity_decomposerENS1_16block_id_wrapperIjLb1EEEEE10hipError_tT1_PNSt15iterator_traitsISG_E10value_typeET2_T3_PNSH_ISM_E10value_typeET4_T5_PSR_SS_PNS1_23onesweep_lookback_stateEbbT6_jjT7_P12ihipStream_tbENKUlT_T0_SG_SL_E_clIS9_SA_SB_SB_EEDaSZ_S10_SG_SL_EUlSZ_E_NS1_11comp_targetILNS1_3genE4ELNS1_11target_archE910ELNS1_3gpuE8ELNS1_3repE0EEENS1_47radix_sort_onesweep_sort_config_static_selectorELNS0_4arch9wavefront6targetE0EEEvSG_,"axG",@progbits,_ZN7rocprim17ROCPRIM_400000_NS6detail17trampoline_kernelINS0_14default_configENS1_35radix_sort_onesweep_config_selectorIsNS0_10empty_typeEEEZZNS1_29radix_sort_onesweep_iterationIS3_Lb1EPKsPsPS5_SB_mNS0_19identity_decomposerENS1_16block_id_wrapperIjLb1EEEEE10hipError_tT1_PNSt15iterator_traitsISG_E10value_typeET2_T3_PNSH_ISM_E10value_typeET4_T5_PSR_SS_PNS1_23onesweep_lookback_stateEbbT6_jjT7_P12ihipStream_tbENKUlT_T0_SG_SL_E_clIS9_SA_SB_SB_EEDaSZ_S10_SG_SL_EUlSZ_E_NS1_11comp_targetILNS1_3genE4ELNS1_11target_archE910ELNS1_3gpuE8ELNS1_3repE0EEENS1_47radix_sort_onesweep_sort_config_static_selectorELNS0_4arch9wavefront6targetE0EEEvSG_,comdat
	.protected	_ZN7rocprim17ROCPRIM_400000_NS6detail17trampoline_kernelINS0_14default_configENS1_35radix_sort_onesweep_config_selectorIsNS0_10empty_typeEEEZZNS1_29radix_sort_onesweep_iterationIS3_Lb1EPKsPsPS5_SB_mNS0_19identity_decomposerENS1_16block_id_wrapperIjLb1EEEEE10hipError_tT1_PNSt15iterator_traitsISG_E10value_typeET2_T3_PNSH_ISM_E10value_typeET4_T5_PSR_SS_PNS1_23onesweep_lookback_stateEbbT6_jjT7_P12ihipStream_tbENKUlT_T0_SG_SL_E_clIS9_SA_SB_SB_EEDaSZ_S10_SG_SL_EUlSZ_E_NS1_11comp_targetILNS1_3genE4ELNS1_11target_archE910ELNS1_3gpuE8ELNS1_3repE0EEENS1_47radix_sort_onesweep_sort_config_static_selectorELNS0_4arch9wavefront6targetE0EEEvSG_ ; -- Begin function _ZN7rocprim17ROCPRIM_400000_NS6detail17trampoline_kernelINS0_14default_configENS1_35radix_sort_onesweep_config_selectorIsNS0_10empty_typeEEEZZNS1_29radix_sort_onesweep_iterationIS3_Lb1EPKsPsPS5_SB_mNS0_19identity_decomposerENS1_16block_id_wrapperIjLb1EEEEE10hipError_tT1_PNSt15iterator_traitsISG_E10value_typeET2_T3_PNSH_ISM_E10value_typeET4_T5_PSR_SS_PNS1_23onesweep_lookback_stateEbbT6_jjT7_P12ihipStream_tbENKUlT_T0_SG_SL_E_clIS9_SA_SB_SB_EEDaSZ_S10_SG_SL_EUlSZ_E_NS1_11comp_targetILNS1_3genE4ELNS1_11target_archE910ELNS1_3gpuE8ELNS1_3repE0EEENS1_47radix_sort_onesweep_sort_config_static_selectorELNS0_4arch9wavefront6targetE0EEEvSG_
	.globl	_ZN7rocprim17ROCPRIM_400000_NS6detail17trampoline_kernelINS0_14default_configENS1_35radix_sort_onesweep_config_selectorIsNS0_10empty_typeEEEZZNS1_29radix_sort_onesweep_iterationIS3_Lb1EPKsPsPS5_SB_mNS0_19identity_decomposerENS1_16block_id_wrapperIjLb1EEEEE10hipError_tT1_PNSt15iterator_traitsISG_E10value_typeET2_T3_PNSH_ISM_E10value_typeET4_T5_PSR_SS_PNS1_23onesweep_lookback_stateEbbT6_jjT7_P12ihipStream_tbENKUlT_T0_SG_SL_E_clIS9_SA_SB_SB_EEDaSZ_S10_SG_SL_EUlSZ_E_NS1_11comp_targetILNS1_3genE4ELNS1_11target_archE910ELNS1_3gpuE8ELNS1_3repE0EEENS1_47radix_sort_onesweep_sort_config_static_selectorELNS0_4arch9wavefront6targetE0EEEvSG_
	.p2align	8
	.type	_ZN7rocprim17ROCPRIM_400000_NS6detail17trampoline_kernelINS0_14default_configENS1_35radix_sort_onesweep_config_selectorIsNS0_10empty_typeEEEZZNS1_29radix_sort_onesweep_iterationIS3_Lb1EPKsPsPS5_SB_mNS0_19identity_decomposerENS1_16block_id_wrapperIjLb1EEEEE10hipError_tT1_PNSt15iterator_traitsISG_E10value_typeET2_T3_PNSH_ISM_E10value_typeET4_T5_PSR_SS_PNS1_23onesweep_lookback_stateEbbT6_jjT7_P12ihipStream_tbENKUlT_T0_SG_SL_E_clIS9_SA_SB_SB_EEDaSZ_S10_SG_SL_EUlSZ_E_NS1_11comp_targetILNS1_3genE4ELNS1_11target_archE910ELNS1_3gpuE8ELNS1_3repE0EEENS1_47radix_sort_onesweep_sort_config_static_selectorELNS0_4arch9wavefront6targetE0EEEvSG_,@function
_ZN7rocprim17ROCPRIM_400000_NS6detail17trampoline_kernelINS0_14default_configENS1_35radix_sort_onesweep_config_selectorIsNS0_10empty_typeEEEZZNS1_29radix_sort_onesweep_iterationIS3_Lb1EPKsPsPS5_SB_mNS0_19identity_decomposerENS1_16block_id_wrapperIjLb1EEEEE10hipError_tT1_PNSt15iterator_traitsISG_E10value_typeET2_T3_PNSH_ISM_E10value_typeET4_T5_PSR_SS_PNS1_23onesweep_lookback_stateEbbT6_jjT7_P12ihipStream_tbENKUlT_T0_SG_SL_E_clIS9_SA_SB_SB_EEDaSZ_S10_SG_SL_EUlSZ_E_NS1_11comp_targetILNS1_3genE4ELNS1_11target_archE910ELNS1_3gpuE8ELNS1_3repE0EEENS1_47radix_sort_onesweep_sort_config_static_selectorELNS0_4arch9wavefront6targetE0EEEvSG_: ; @_ZN7rocprim17ROCPRIM_400000_NS6detail17trampoline_kernelINS0_14default_configENS1_35radix_sort_onesweep_config_selectorIsNS0_10empty_typeEEEZZNS1_29radix_sort_onesweep_iterationIS3_Lb1EPKsPsPS5_SB_mNS0_19identity_decomposerENS1_16block_id_wrapperIjLb1EEEEE10hipError_tT1_PNSt15iterator_traitsISG_E10value_typeET2_T3_PNSH_ISM_E10value_typeET4_T5_PSR_SS_PNS1_23onesweep_lookback_stateEbbT6_jjT7_P12ihipStream_tbENKUlT_T0_SG_SL_E_clIS9_SA_SB_SB_EEDaSZ_S10_SG_SL_EUlSZ_E_NS1_11comp_targetILNS1_3genE4ELNS1_11target_archE910ELNS1_3gpuE8ELNS1_3repE0EEENS1_47radix_sort_onesweep_sort_config_static_selectorELNS0_4arch9wavefront6targetE0EEEvSG_
; %bb.0:
	.section	.rodata,"a",@progbits
	.p2align	6, 0x0
	.amdhsa_kernel _ZN7rocprim17ROCPRIM_400000_NS6detail17trampoline_kernelINS0_14default_configENS1_35radix_sort_onesweep_config_selectorIsNS0_10empty_typeEEEZZNS1_29radix_sort_onesweep_iterationIS3_Lb1EPKsPsPS5_SB_mNS0_19identity_decomposerENS1_16block_id_wrapperIjLb1EEEEE10hipError_tT1_PNSt15iterator_traitsISG_E10value_typeET2_T3_PNSH_ISM_E10value_typeET4_T5_PSR_SS_PNS1_23onesweep_lookback_stateEbbT6_jjT7_P12ihipStream_tbENKUlT_T0_SG_SL_E_clIS9_SA_SB_SB_EEDaSZ_S10_SG_SL_EUlSZ_E_NS1_11comp_targetILNS1_3genE4ELNS1_11target_archE910ELNS1_3gpuE8ELNS1_3repE0EEENS1_47radix_sort_onesweep_sort_config_static_selectorELNS0_4arch9wavefront6targetE0EEEvSG_
		.amdhsa_group_segment_fixed_size 0
		.amdhsa_private_segment_fixed_size 0
		.amdhsa_kernarg_size 88
		.amdhsa_user_sgpr_count 2
		.amdhsa_user_sgpr_dispatch_ptr 0
		.amdhsa_user_sgpr_queue_ptr 0
		.amdhsa_user_sgpr_kernarg_segment_ptr 1
		.amdhsa_user_sgpr_dispatch_id 0
		.amdhsa_user_sgpr_kernarg_preload_length 0
		.amdhsa_user_sgpr_kernarg_preload_offset 0
		.amdhsa_user_sgpr_private_segment_size 0
		.amdhsa_wavefront_size32 1
		.amdhsa_uses_dynamic_stack 0
		.amdhsa_enable_private_segment 0
		.amdhsa_system_sgpr_workgroup_id_x 1
		.amdhsa_system_sgpr_workgroup_id_y 0
		.amdhsa_system_sgpr_workgroup_id_z 0
		.amdhsa_system_sgpr_workgroup_info 0
		.amdhsa_system_vgpr_workitem_id 0
		.amdhsa_next_free_vgpr 1
		.amdhsa_next_free_sgpr 1
		.amdhsa_named_barrier_count 0
		.amdhsa_reserve_vcc 0
		.amdhsa_float_round_mode_32 0
		.amdhsa_float_round_mode_16_64 0
		.amdhsa_float_denorm_mode_32 3
		.amdhsa_float_denorm_mode_16_64 3
		.amdhsa_fp16_overflow 0
		.amdhsa_memory_ordered 1
		.amdhsa_forward_progress 1
		.amdhsa_inst_pref_size 0
		.amdhsa_round_robin_scheduling 0
		.amdhsa_exception_fp_ieee_invalid_op 0
		.amdhsa_exception_fp_denorm_src 0
		.amdhsa_exception_fp_ieee_div_zero 0
		.amdhsa_exception_fp_ieee_overflow 0
		.amdhsa_exception_fp_ieee_underflow 0
		.amdhsa_exception_fp_ieee_inexact 0
		.amdhsa_exception_int_div_zero 0
	.end_amdhsa_kernel
	.section	.text._ZN7rocprim17ROCPRIM_400000_NS6detail17trampoline_kernelINS0_14default_configENS1_35radix_sort_onesweep_config_selectorIsNS0_10empty_typeEEEZZNS1_29radix_sort_onesweep_iterationIS3_Lb1EPKsPsPS5_SB_mNS0_19identity_decomposerENS1_16block_id_wrapperIjLb1EEEEE10hipError_tT1_PNSt15iterator_traitsISG_E10value_typeET2_T3_PNSH_ISM_E10value_typeET4_T5_PSR_SS_PNS1_23onesweep_lookback_stateEbbT6_jjT7_P12ihipStream_tbENKUlT_T0_SG_SL_E_clIS9_SA_SB_SB_EEDaSZ_S10_SG_SL_EUlSZ_E_NS1_11comp_targetILNS1_3genE4ELNS1_11target_archE910ELNS1_3gpuE8ELNS1_3repE0EEENS1_47radix_sort_onesweep_sort_config_static_selectorELNS0_4arch9wavefront6targetE0EEEvSG_,"axG",@progbits,_ZN7rocprim17ROCPRIM_400000_NS6detail17trampoline_kernelINS0_14default_configENS1_35radix_sort_onesweep_config_selectorIsNS0_10empty_typeEEEZZNS1_29radix_sort_onesweep_iterationIS3_Lb1EPKsPsPS5_SB_mNS0_19identity_decomposerENS1_16block_id_wrapperIjLb1EEEEE10hipError_tT1_PNSt15iterator_traitsISG_E10value_typeET2_T3_PNSH_ISM_E10value_typeET4_T5_PSR_SS_PNS1_23onesweep_lookback_stateEbbT6_jjT7_P12ihipStream_tbENKUlT_T0_SG_SL_E_clIS9_SA_SB_SB_EEDaSZ_S10_SG_SL_EUlSZ_E_NS1_11comp_targetILNS1_3genE4ELNS1_11target_archE910ELNS1_3gpuE8ELNS1_3repE0EEENS1_47radix_sort_onesweep_sort_config_static_selectorELNS0_4arch9wavefront6targetE0EEEvSG_,comdat
.Lfunc_end606:
	.size	_ZN7rocprim17ROCPRIM_400000_NS6detail17trampoline_kernelINS0_14default_configENS1_35radix_sort_onesweep_config_selectorIsNS0_10empty_typeEEEZZNS1_29radix_sort_onesweep_iterationIS3_Lb1EPKsPsPS5_SB_mNS0_19identity_decomposerENS1_16block_id_wrapperIjLb1EEEEE10hipError_tT1_PNSt15iterator_traitsISG_E10value_typeET2_T3_PNSH_ISM_E10value_typeET4_T5_PSR_SS_PNS1_23onesweep_lookback_stateEbbT6_jjT7_P12ihipStream_tbENKUlT_T0_SG_SL_E_clIS9_SA_SB_SB_EEDaSZ_S10_SG_SL_EUlSZ_E_NS1_11comp_targetILNS1_3genE4ELNS1_11target_archE910ELNS1_3gpuE8ELNS1_3repE0EEENS1_47radix_sort_onesweep_sort_config_static_selectorELNS0_4arch9wavefront6targetE0EEEvSG_, .Lfunc_end606-_ZN7rocprim17ROCPRIM_400000_NS6detail17trampoline_kernelINS0_14default_configENS1_35radix_sort_onesweep_config_selectorIsNS0_10empty_typeEEEZZNS1_29radix_sort_onesweep_iterationIS3_Lb1EPKsPsPS5_SB_mNS0_19identity_decomposerENS1_16block_id_wrapperIjLb1EEEEE10hipError_tT1_PNSt15iterator_traitsISG_E10value_typeET2_T3_PNSH_ISM_E10value_typeET4_T5_PSR_SS_PNS1_23onesweep_lookback_stateEbbT6_jjT7_P12ihipStream_tbENKUlT_T0_SG_SL_E_clIS9_SA_SB_SB_EEDaSZ_S10_SG_SL_EUlSZ_E_NS1_11comp_targetILNS1_3genE4ELNS1_11target_archE910ELNS1_3gpuE8ELNS1_3repE0EEENS1_47radix_sort_onesweep_sort_config_static_selectorELNS0_4arch9wavefront6targetE0EEEvSG_
                                        ; -- End function
	.set _ZN7rocprim17ROCPRIM_400000_NS6detail17trampoline_kernelINS0_14default_configENS1_35radix_sort_onesweep_config_selectorIsNS0_10empty_typeEEEZZNS1_29radix_sort_onesweep_iterationIS3_Lb1EPKsPsPS5_SB_mNS0_19identity_decomposerENS1_16block_id_wrapperIjLb1EEEEE10hipError_tT1_PNSt15iterator_traitsISG_E10value_typeET2_T3_PNSH_ISM_E10value_typeET4_T5_PSR_SS_PNS1_23onesweep_lookback_stateEbbT6_jjT7_P12ihipStream_tbENKUlT_T0_SG_SL_E_clIS9_SA_SB_SB_EEDaSZ_S10_SG_SL_EUlSZ_E_NS1_11comp_targetILNS1_3genE4ELNS1_11target_archE910ELNS1_3gpuE8ELNS1_3repE0EEENS1_47radix_sort_onesweep_sort_config_static_selectorELNS0_4arch9wavefront6targetE0EEEvSG_.num_vgpr, 0
	.set _ZN7rocprim17ROCPRIM_400000_NS6detail17trampoline_kernelINS0_14default_configENS1_35radix_sort_onesweep_config_selectorIsNS0_10empty_typeEEEZZNS1_29radix_sort_onesweep_iterationIS3_Lb1EPKsPsPS5_SB_mNS0_19identity_decomposerENS1_16block_id_wrapperIjLb1EEEEE10hipError_tT1_PNSt15iterator_traitsISG_E10value_typeET2_T3_PNSH_ISM_E10value_typeET4_T5_PSR_SS_PNS1_23onesweep_lookback_stateEbbT6_jjT7_P12ihipStream_tbENKUlT_T0_SG_SL_E_clIS9_SA_SB_SB_EEDaSZ_S10_SG_SL_EUlSZ_E_NS1_11comp_targetILNS1_3genE4ELNS1_11target_archE910ELNS1_3gpuE8ELNS1_3repE0EEENS1_47radix_sort_onesweep_sort_config_static_selectorELNS0_4arch9wavefront6targetE0EEEvSG_.num_agpr, 0
	.set _ZN7rocprim17ROCPRIM_400000_NS6detail17trampoline_kernelINS0_14default_configENS1_35radix_sort_onesweep_config_selectorIsNS0_10empty_typeEEEZZNS1_29radix_sort_onesweep_iterationIS3_Lb1EPKsPsPS5_SB_mNS0_19identity_decomposerENS1_16block_id_wrapperIjLb1EEEEE10hipError_tT1_PNSt15iterator_traitsISG_E10value_typeET2_T3_PNSH_ISM_E10value_typeET4_T5_PSR_SS_PNS1_23onesweep_lookback_stateEbbT6_jjT7_P12ihipStream_tbENKUlT_T0_SG_SL_E_clIS9_SA_SB_SB_EEDaSZ_S10_SG_SL_EUlSZ_E_NS1_11comp_targetILNS1_3genE4ELNS1_11target_archE910ELNS1_3gpuE8ELNS1_3repE0EEENS1_47radix_sort_onesweep_sort_config_static_selectorELNS0_4arch9wavefront6targetE0EEEvSG_.numbered_sgpr, 0
	.set _ZN7rocprim17ROCPRIM_400000_NS6detail17trampoline_kernelINS0_14default_configENS1_35radix_sort_onesweep_config_selectorIsNS0_10empty_typeEEEZZNS1_29radix_sort_onesweep_iterationIS3_Lb1EPKsPsPS5_SB_mNS0_19identity_decomposerENS1_16block_id_wrapperIjLb1EEEEE10hipError_tT1_PNSt15iterator_traitsISG_E10value_typeET2_T3_PNSH_ISM_E10value_typeET4_T5_PSR_SS_PNS1_23onesweep_lookback_stateEbbT6_jjT7_P12ihipStream_tbENKUlT_T0_SG_SL_E_clIS9_SA_SB_SB_EEDaSZ_S10_SG_SL_EUlSZ_E_NS1_11comp_targetILNS1_3genE4ELNS1_11target_archE910ELNS1_3gpuE8ELNS1_3repE0EEENS1_47radix_sort_onesweep_sort_config_static_selectorELNS0_4arch9wavefront6targetE0EEEvSG_.num_named_barrier, 0
	.set _ZN7rocprim17ROCPRIM_400000_NS6detail17trampoline_kernelINS0_14default_configENS1_35radix_sort_onesweep_config_selectorIsNS0_10empty_typeEEEZZNS1_29radix_sort_onesweep_iterationIS3_Lb1EPKsPsPS5_SB_mNS0_19identity_decomposerENS1_16block_id_wrapperIjLb1EEEEE10hipError_tT1_PNSt15iterator_traitsISG_E10value_typeET2_T3_PNSH_ISM_E10value_typeET4_T5_PSR_SS_PNS1_23onesweep_lookback_stateEbbT6_jjT7_P12ihipStream_tbENKUlT_T0_SG_SL_E_clIS9_SA_SB_SB_EEDaSZ_S10_SG_SL_EUlSZ_E_NS1_11comp_targetILNS1_3genE4ELNS1_11target_archE910ELNS1_3gpuE8ELNS1_3repE0EEENS1_47radix_sort_onesweep_sort_config_static_selectorELNS0_4arch9wavefront6targetE0EEEvSG_.private_seg_size, 0
	.set _ZN7rocprim17ROCPRIM_400000_NS6detail17trampoline_kernelINS0_14default_configENS1_35radix_sort_onesweep_config_selectorIsNS0_10empty_typeEEEZZNS1_29radix_sort_onesweep_iterationIS3_Lb1EPKsPsPS5_SB_mNS0_19identity_decomposerENS1_16block_id_wrapperIjLb1EEEEE10hipError_tT1_PNSt15iterator_traitsISG_E10value_typeET2_T3_PNSH_ISM_E10value_typeET4_T5_PSR_SS_PNS1_23onesweep_lookback_stateEbbT6_jjT7_P12ihipStream_tbENKUlT_T0_SG_SL_E_clIS9_SA_SB_SB_EEDaSZ_S10_SG_SL_EUlSZ_E_NS1_11comp_targetILNS1_3genE4ELNS1_11target_archE910ELNS1_3gpuE8ELNS1_3repE0EEENS1_47radix_sort_onesweep_sort_config_static_selectorELNS0_4arch9wavefront6targetE0EEEvSG_.uses_vcc, 0
	.set _ZN7rocprim17ROCPRIM_400000_NS6detail17trampoline_kernelINS0_14default_configENS1_35radix_sort_onesweep_config_selectorIsNS0_10empty_typeEEEZZNS1_29radix_sort_onesweep_iterationIS3_Lb1EPKsPsPS5_SB_mNS0_19identity_decomposerENS1_16block_id_wrapperIjLb1EEEEE10hipError_tT1_PNSt15iterator_traitsISG_E10value_typeET2_T3_PNSH_ISM_E10value_typeET4_T5_PSR_SS_PNS1_23onesweep_lookback_stateEbbT6_jjT7_P12ihipStream_tbENKUlT_T0_SG_SL_E_clIS9_SA_SB_SB_EEDaSZ_S10_SG_SL_EUlSZ_E_NS1_11comp_targetILNS1_3genE4ELNS1_11target_archE910ELNS1_3gpuE8ELNS1_3repE0EEENS1_47radix_sort_onesweep_sort_config_static_selectorELNS0_4arch9wavefront6targetE0EEEvSG_.uses_flat_scratch, 0
	.set _ZN7rocprim17ROCPRIM_400000_NS6detail17trampoline_kernelINS0_14default_configENS1_35radix_sort_onesweep_config_selectorIsNS0_10empty_typeEEEZZNS1_29radix_sort_onesweep_iterationIS3_Lb1EPKsPsPS5_SB_mNS0_19identity_decomposerENS1_16block_id_wrapperIjLb1EEEEE10hipError_tT1_PNSt15iterator_traitsISG_E10value_typeET2_T3_PNSH_ISM_E10value_typeET4_T5_PSR_SS_PNS1_23onesweep_lookback_stateEbbT6_jjT7_P12ihipStream_tbENKUlT_T0_SG_SL_E_clIS9_SA_SB_SB_EEDaSZ_S10_SG_SL_EUlSZ_E_NS1_11comp_targetILNS1_3genE4ELNS1_11target_archE910ELNS1_3gpuE8ELNS1_3repE0EEENS1_47radix_sort_onesweep_sort_config_static_selectorELNS0_4arch9wavefront6targetE0EEEvSG_.has_dyn_sized_stack, 0
	.set _ZN7rocprim17ROCPRIM_400000_NS6detail17trampoline_kernelINS0_14default_configENS1_35radix_sort_onesweep_config_selectorIsNS0_10empty_typeEEEZZNS1_29radix_sort_onesweep_iterationIS3_Lb1EPKsPsPS5_SB_mNS0_19identity_decomposerENS1_16block_id_wrapperIjLb1EEEEE10hipError_tT1_PNSt15iterator_traitsISG_E10value_typeET2_T3_PNSH_ISM_E10value_typeET4_T5_PSR_SS_PNS1_23onesweep_lookback_stateEbbT6_jjT7_P12ihipStream_tbENKUlT_T0_SG_SL_E_clIS9_SA_SB_SB_EEDaSZ_S10_SG_SL_EUlSZ_E_NS1_11comp_targetILNS1_3genE4ELNS1_11target_archE910ELNS1_3gpuE8ELNS1_3repE0EEENS1_47radix_sort_onesweep_sort_config_static_selectorELNS0_4arch9wavefront6targetE0EEEvSG_.has_recursion, 0
	.set _ZN7rocprim17ROCPRIM_400000_NS6detail17trampoline_kernelINS0_14default_configENS1_35radix_sort_onesweep_config_selectorIsNS0_10empty_typeEEEZZNS1_29radix_sort_onesweep_iterationIS3_Lb1EPKsPsPS5_SB_mNS0_19identity_decomposerENS1_16block_id_wrapperIjLb1EEEEE10hipError_tT1_PNSt15iterator_traitsISG_E10value_typeET2_T3_PNSH_ISM_E10value_typeET4_T5_PSR_SS_PNS1_23onesweep_lookback_stateEbbT6_jjT7_P12ihipStream_tbENKUlT_T0_SG_SL_E_clIS9_SA_SB_SB_EEDaSZ_S10_SG_SL_EUlSZ_E_NS1_11comp_targetILNS1_3genE4ELNS1_11target_archE910ELNS1_3gpuE8ELNS1_3repE0EEENS1_47radix_sort_onesweep_sort_config_static_selectorELNS0_4arch9wavefront6targetE0EEEvSG_.has_indirect_call, 0
	.section	.AMDGPU.csdata,"",@progbits
; Kernel info:
; codeLenInByte = 0
; TotalNumSgprs: 0
; NumVgprs: 0
; ScratchSize: 0
; MemoryBound: 0
; FloatMode: 240
; IeeeMode: 1
; LDSByteSize: 0 bytes/workgroup (compile time only)
; SGPRBlocks: 0
; VGPRBlocks: 0
; NumSGPRsForWavesPerEU: 1
; NumVGPRsForWavesPerEU: 1
; NamedBarCnt: 0
; Occupancy: 16
; WaveLimiterHint : 0
; COMPUTE_PGM_RSRC2:SCRATCH_EN: 0
; COMPUTE_PGM_RSRC2:USER_SGPR: 2
; COMPUTE_PGM_RSRC2:TRAP_HANDLER: 0
; COMPUTE_PGM_RSRC2:TGID_X_EN: 1
; COMPUTE_PGM_RSRC2:TGID_Y_EN: 0
; COMPUTE_PGM_RSRC2:TGID_Z_EN: 0
; COMPUTE_PGM_RSRC2:TIDIG_COMP_CNT: 0
	.section	.text._ZN7rocprim17ROCPRIM_400000_NS6detail17trampoline_kernelINS0_14default_configENS1_35radix_sort_onesweep_config_selectorIsNS0_10empty_typeEEEZZNS1_29radix_sort_onesweep_iterationIS3_Lb1EPKsPsPS5_SB_mNS0_19identity_decomposerENS1_16block_id_wrapperIjLb1EEEEE10hipError_tT1_PNSt15iterator_traitsISG_E10value_typeET2_T3_PNSH_ISM_E10value_typeET4_T5_PSR_SS_PNS1_23onesweep_lookback_stateEbbT6_jjT7_P12ihipStream_tbENKUlT_T0_SG_SL_E_clIS9_SA_SB_SB_EEDaSZ_S10_SG_SL_EUlSZ_E_NS1_11comp_targetILNS1_3genE3ELNS1_11target_archE908ELNS1_3gpuE7ELNS1_3repE0EEENS1_47radix_sort_onesweep_sort_config_static_selectorELNS0_4arch9wavefront6targetE0EEEvSG_,"axG",@progbits,_ZN7rocprim17ROCPRIM_400000_NS6detail17trampoline_kernelINS0_14default_configENS1_35radix_sort_onesweep_config_selectorIsNS0_10empty_typeEEEZZNS1_29radix_sort_onesweep_iterationIS3_Lb1EPKsPsPS5_SB_mNS0_19identity_decomposerENS1_16block_id_wrapperIjLb1EEEEE10hipError_tT1_PNSt15iterator_traitsISG_E10value_typeET2_T3_PNSH_ISM_E10value_typeET4_T5_PSR_SS_PNS1_23onesweep_lookback_stateEbbT6_jjT7_P12ihipStream_tbENKUlT_T0_SG_SL_E_clIS9_SA_SB_SB_EEDaSZ_S10_SG_SL_EUlSZ_E_NS1_11comp_targetILNS1_3genE3ELNS1_11target_archE908ELNS1_3gpuE7ELNS1_3repE0EEENS1_47radix_sort_onesweep_sort_config_static_selectorELNS0_4arch9wavefront6targetE0EEEvSG_,comdat
	.protected	_ZN7rocprim17ROCPRIM_400000_NS6detail17trampoline_kernelINS0_14default_configENS1_35radix_sort_onesweep_config_selectorIsNS0_10empty_typeEEEZZNS1_29radix_sort_onesweep_iterationIS3_Lb1EPKsPsPS5_SB_mNS0_19identity_decomposerENS1_16block_id_wrapperIjLb1EEEEE10hipError_tT1_PNSt15iterator_traitsISG_E10value_typeET2_T3_PNSH_ISM_E10value_typeET4_T5_PSR_SS_PNS1_23onesweep_lookback_stateEbbT6_jjT7_P12ihipStream_tbENKUlT_T0_SG_SL_E_clIS9_SA_SB_SB_EEDaSZ_S10_SG_SL_EUlSZ_E_NS1_11comp_targetILNS1_3genE3ELNS1_11target_archE908ELNS1_3gpuE7ELNS1_3repE0EEENS1_47radix_sort_onesweep_sort_config_static_selectorELNS0_4arch9wavefront6targetE0EEEvSG_ ; -- Begin function _ZN7rocprim17ROCPRIM_400000_NS6detail17trampoline_kernelINS0_14default_configENS1_35radix_sort_onesweep_config_selectorIsNS0_10empty_typeEEEZZNS1_29radix_sort_onesweep_iterationIS3_Lb1EPKsPsPS5_SB_mNS0_19identity_decomposerENS1_16block_id_wrapperIjLb1EEEEE10hipError_tT1_PNSt15iterator_traitsISG_E10value_typeET2_T3_PNSH_ISM_E10value_typeET4_T5_PSR_SS_PNS1_23onesweep_lookback_stateEbbT6_jjT7_P12ihipStream_tbENKUlT_T0_SG_SL_E_clIS9_SA_SB_SB_EEDaSZ_S10_SG_SL_EUlSZ_E_NS1_11comp_targetILNS1_3genE3ELNS1_11target_archE908ELNS1_3gpuE7ELNS1_3repE0EEENS1_47radix_sort_onesweep_sort_config_static_selectorELNS0_4arch9wavefront6targetE0EEEvSG_
	.globl	_ZN7rocprim17ROCPRIM_400000_NS6detail17trampoline_kernelINS0_14default_configENS1_35radix_sort_onesweep_config_selectorIsNS0_10empty_typeEEEZZNS1_29radix_sort_onesweep_iterationIS3_Lb1EPKsPsPS5_SB_mNS0_19identity_decomposerENS1_16block_id_wrapperIjLb1EEEEE10hipError_tT1_PNSt15iterator_traitsISG_E10value_typeET2_T3_PNSH_ISM_E10value_typeET4_T5_PSR_SS_PNS1_23onesweep_lookback_stateEbbT6_jjT7_P12ihipStream_tbENKUlT_T0_SG_SL_E_clIS9_SA_SB_SB_EEDaSZ_S10_SG_SL_EUlSZ_E_NS1_11comp_targetILNS1_3genE3ELNS1_11target_archE908ELNS1_3gpuE7ELNS1_3repE0EEENS1_47radix_sort_onesweep_sort_config_static_selectorELNS0_4arch9wavefront6targetE0EEEvSG_
	.p2align	8
	.type	_ZN7rocprim17ROCPRIM_400000_NS6detail17trampoline_kernelINS0_14default_configENS1_35radix_sort_onesweep_config_selectorIsNS0_10empty_typeEEEZZNS1_29radix_sort_onesweep_iterationIS3_Lb1EPKsPsPS5_SB_mNS0_19identity_decomposerENS1_16block_id_wrapperIjLb1EEEEE10hipError_tT1_PNSt15iterator_traitsISG_E10value_typeET2_T3_PNSH_ISM_E10value_typeET4_T5_PSR_SS_PNS1_23onesweep_lookback_stateEbbT6_jjT7_P12ihipStream_tbENKUlT_T0_SG_SL_E_clIS9_SA_SB_SB_EEDaSZ_S10_SG_SL_EUlSZ_E_NS1_11comp_targetILNS1_3genE3ELNS1_11target_archE908ELNS1_3gpuE7ELNS1_3repE0EEENS1_47radix_sort_onesweep_sort_config_static_selectorELNS0_4arch9wavefront6targetE0EEEvSG_,@function
_ZN7rocprim17ROCPRIM_400000_NS6detail17trampoline_kernelINS0_14default_configENS1_35radix_sort_onesweep_config_selectorIsNS0_10empty_typeEEEZZNS1_29radix_sort_onesweep_iterationIS3_Lb1EPKsPsPS5_SB_mNS0_19identity_decomposerENS1_16block_id_wrapperIjLb1EEEEE10hipError_tT1_PNSt15iterator_traitsISG_E10value_typeET2_T3_PNSH_ISM_E10value_typeET4_T5_PSR_SS_PNS1_23onesweep_lookback_stateEbbT6_jjT7_P12ihipStream_tbENKUlT_T0_SG_SL_E_clIS9_SA_SB_SB_EEDaSZ_S10_SG_SL_EUlSZ_E_NS1_11comp_targetILNS1_3genE3ELNS1_11target_archE908ELNS1_3gpuE7ELNS1_3repE0EEENS1_47radix_sort_onesweep_sort_config_static_selectorELNS0_4arch9wavefront6targetE0EEEvSG_: ; @_ZN7rocprim17ROCPRIM_400000_NS6detail17trampoline_kernelINS0_14default_configENS1_35radix_sort_onesweep_config_selectorIsNS0_10empty_typeEEEZZNS1_29radix_sort_onesweep_iterationIS3_Lb1EPKsPsPS5_SB_mNS0_19identity_decomposerENS1_16block_id_wrapperIjLb1EEEEE10hipError_tT1_PNSt15iterator_traitsISG_E10value_typeET2_T3_PNSH_ISM_E10value_typeET4_T5_PSR_SS_PNS1_23onesweep_lookback_stateEbbT6_jjT7_P12ihipStream_tbENKUlT_T0_SG_SL_E_clIS9_SA_SB_SB_EEDaSZ_S10_SG_SL_EUlSZ_E_NS1_11comp_targetILNS1_3genE3ELNS1_11target_archE908ELNS1_3gpuE7ELNS1_3repE0EEENS1_47radix_sort_onesweep_sort_config_static_selectorELNS0_4arch9wavefront6targetE0EEEvSG_
; %bb.0:
	.section	.rodata,"a",@progbits
	.p2align	6, 0x0
	.amdhsa_kernel _ZN7rocprim17ROCPRIM_400000_NS6detail17trampoline_kernelINS0_14default_configENS1_35radix_sort_onesweep_config_selectorIsNS0_10empty_typeEEEZZNS1_29radix_sort_onesweep_iterationIS3_Lb1EPKsPsPS5_SB_mNS0_19identity_decomposerENS1_16block_id_wrapperIjLb1EEEEE10hipError_tT1_PNSt15iterator_traitsISG_E10value_typeET2_T3_PNSH_ISM_E10value_typeET4_T5_PSR_SS_PNS1_23onesweep_lookback_stateEbbT6_jjT7_P12ihipStream_tbENKUlT_T0_SG_SL_E_clIS9_SA_SB_SB_EEDaSZ_S10_SG_SL_EUlSZ_E_NS1_11comp_targetILNS1_3genE3ELNS1_11target_archE908ELNS1_3gpuE7ELNS1_3repE0EEENS1_47radix_sort_onesweep_sort_config_static_selectorELNS0_4arch9wavefront6targetE0EEEvSG_
		.amdhsa_group_segment_fixed_size 0
		.amdhsa_private_segment_fixed_size 0
		.amdhsa_kernarg_size 88
		.amdhsa_user_sgpr_count 2
		.amdhsa_user_sgpr_dispatch_ptr 0
		.amdhsa_user_sgpr_queue_ptr 0
		.amdhsa_user_sgpr_kernarg_segment_ptr 1
		.amdhsa_user_sgpr_dispatch_id 0
		.amdhsa_user_sgpr_kernarg_preload_length 0
		.amdhsa_user_sgpr_kernarg_preload_offset 0
		.amdhsa_user_sgpr_private_segment_size 0
		.amdhsa_wavefront_size32 1
		.amdhsa_uses_dynamic_stack 0
		.amdhsa_enable_private_segment 0
		.amdhsa_system_sgpr_workgroup_id_x 1
		.amdhsa_system_sgpr_workgroup_id_y 0
		.amdhsa_system_sgpr_workgroup_id_z 0
		.amdhsa_system_sgpr_workgroup_info 0
		.amdhsa_system_vgpr_workitem_id 0
		.amdhsa_next_free_vgpr 1
		.amdhsa_next_free_sgpr 1
		.amdhsa_named_barrier_count 0
		.amdhsa_reserve_vcc 0
		.amdhsa_float_round_mode_32 0
		.amdhsa_float_round_mode_16_64 0
		.amdhsa_float_denorm_mode_32 3
		.amdhsa_float_denorm_mode_16_64 3
		.amdhsa_fp16_overflow 0
		.amdhsa_memory_ordered 1
		.amdhsa_forward_progress 1
		.amdhsa_inst_pref_size 0
		.amdhsa_round_robin_scheduling 0
		.amdhsa_exception_fp_ieee_invalid_op 0
		.amdhsa_exception_fp_denorm_src 0
		.amdhsa_exception_fp_ieee_div_zero 0
		.amdhsa_exception_fp_ieee_overflow 0
		.amdhsa_exception_fp_ieee_underflow 0
		.amdhsa_exception_fp_ieee_inexact 0
		.amdhsa_exception_int_div_zero 0
	.end_amdhsa_kernel
	.section	.text._ZN7rocprim17ROCPRIM_400000_NS6detail17trampoline_kernelINS0_14default_configENS1_35radix_sort_onesweep_config_selectorIsNS0_10empty_typeEEEZZNS1_29radix_sort_onesweep_iterationIS3_Lb1EPKsPsPS5_SB_mNS0_19identity_decomposerENS1_16block_id_wrapperIjLb1EEEEE10hipError_tT1_PNSt15iterator_traitsISG_E10value_typeET2_T3_PNSH_ISM_E10value_typeET4_T5_PSR_SS_PNS1_23onesweep_lookback_stateEbbT6_jjT7_P12ihipStream_tbENKUlT_T0_SG_SL_E_clIS9_SA_SB_SB_EEDaSZ_S10_SG_SL_EUlSZ_E_NS1_11comp_targetILNS1_3genE3ELNS1_11target_archE908ELNS1_3gpuE7ELNS1_3repE0EEENS1_47radix_sort_onesweep_sort_config_static_selectorELNS0_4arch9wavefront6targetE0EEEvSG_,"axG",@progbits,_ZN7rocprim17ROCPRIM_400000_NS6detail17trampoline_kernelINS0_14default_configENS1_35radix_sort_onesweep_config_selectorIsNS0_10empty_typeEEEZZNS1_29radix_sort_onesweep_iterationIS3_Lb1EPKsPsPS5_SB_mNS0_19identity_decomposerENS1_16block_id_wrapperIjLb1EEEEE10hipError_tT1_PNSt15iterator_traitsISG_E10value_typeET2_T3_PNSH_ISM_E10value_typeET4_T5_PSR_SS_PNS1_23onesweep_lookback_stateEbbT6_jjT7_P12ihipStream_tbENKUlT_T0_SG_SL_E_clIS9_SA_SB_SB_EEDaSZ_S10_SG_SL_EUlSZ_E_NS1_11comp_targetILNS1_3genE3ELNS1_11target_archE908ELNS1_3gpuE7ELNS1_3repE0EEENS1_47radix_sort_onesweep_sort_config_static_selectorELNS0_4arch9wavefront6targetE0EEEvSG_,comdat
.Lfunc_end607:
	.size	_ZN7rocprim17ROCPRIM_400000_NS6detail17trampoline_kernelINS0_14default_configENS1_35radix_sort_onesweep_config_selectorIsNS0_10empty_typeEEEZZNS1_29radix_sort_onesweep_iterationIS3_Lb1EPKsPsPS5_SB_mNS0_19identity_decomposerENS1_16block_id_wrapperIjLb1EEEEE10hipError_tT1_PNSt15iterator_traitsISG_E10value_typeET2_T3_PNSH_ISM_E10value_typeET4_T5_PSR_SS_PNS1_23onesweep_lookback_stateEbbT6_jjT7_P12ihipStream_tbENKUlT_T0_SG_SL_E_clIS9_SA_SB_SB_EEDaSZ_S10_SG_SL_EUlSZ_E_NS1_11comp_targetILNS1_3genE3ELNS1_11target_archE908ELNS1_3gpuE7ELNS1_3repE0EEENS1_47radix_sort_onesweep_sort_config_static_selectorELNS0_4arch9wavefront6targetE0EEEvSG_, .Lfunc_end607-_ZN7rocprim17ROCPRIM_400000_NS6detail17trampoline_kernelINS0_14default_configENS1_35radix_sort_onesweep_config_selectorIsNS0_10empty_typeEEEZZNS1_29radix_sort_onesweep_iterationIS3_Lb1EPKsPsPS5_SB_mNS0_19identity_decomposerENS1_16block_id_wrapperIjLb1EEEEE10hipError_tT1_PNSt15iterator_traitsISG_E10value_typeET2_T3_PNSH_ISM_E10value_typeET4_T5_PSR_SS_PNS1_23onesweep_lookback_stateEbbT6_jjT7_P12ihipStream_tbENKUlT_T0_SG_SL_E_clIS9_SA_SB_SB_EEDaSZ_S10_SG_SL_EUlSZ_E_NS1_11comp_targetILNS1_3genE3ELNS1_11target_archE908ELNS1_3gpuE7ELNS1_3repE0EEENS1_47radix_sort_onesweep_sort_config_static_selectorELNS0_4arch9wavefront6targetE0EEEvSG_
                                        ; -- End function
	.set _ZN7rocprim17ROCPRIM_400000_NS6detail17trampoline_kernelINS0_14default_configENS1_35radix_sort_onesweep_config_selectorIsNS0_10empty_typeEEEZZNS1_29radix_sort_onesweep_iterationIS3_Lb1EPKsPsPS5_SB_mNS0_19identity_decomposerENS1_16block_id_wrapperIjLb1EEEEE10hipError_tT1_PNSt15iterator_traitsISG_E10value_typeET2_T3_PNSH_ISM_E10value_typeET4_T5_PSR_SS_PNS1_23onesweep_lookback_stateEbbT6_jjT7_P12ihipStream_tbENKUlT_T0_SG_SL_E_clIS9_SA_SB_SB_EEDaSZ_S10_SG_SL_EUlSZ_E_NS1_11comp_targetILNS1_3genE3ELNS1_11target_archE908ELNS1_3gpuE7ELNS1_3repE0EEENS1_47radix_sort_onesweep_sort_config_static_selectorELNS0_4arch9wavefront6targetE0EEEvSG_.num_vgpr, 0
	.set _ZN7rocprim17ROCPRIM_400000_NS6detail17trampoline_kernelINS0_14default_configENS1_35radix_sort_onesweep_config_selectorIsNS0_10empty_typeEEEZZNS1_29radix_sort_onesweep_iterationIS3_Lb1EPKsPsPS5_SB_mNS0_19identity_decomposerENS1_16block_id_wrapperIjLb1EEEEE10hipError_tT1_PNSt15iterator_traitsISG_E10value_typeET2_T3_PNSH_ISM_E10value_typeET4_T5_PSR_SS_PNS1_23onesweep_lookback_stateEbbT6_jjT7_P12ihipStream_tbENKUlT_T0_SG_SL_E_clIS9_SA_SB_SB_EEDaSZ_S10_SG_SL_EUlSZ_E_NS1_11comp_targetILNS1_3genE3ELNS1_11target_archE908ELNS1_3gpuE7ELNS1_3repE0EEENS1_47radix_sort_onesweep_sort_config_static_selectorELNS0_4arch9wavefront6targetE0EEEvSG_.num_agpr, 0
	.set _ZN7rocprim17ROCPRIM_400000_NS6detail17trampoline_kernelINS0_14default_configENS1_35radix_sort_onesweep_config_selectorIsNS0_10empty_typeEEEZZNS1_29radix_sort_onesweep_iterationIS3_Lb1EPKsPsPS5_SB_mNS0_19identity_decomposerENS1_16block_id_wrapperIjLb1EEEEE10hipError_tT1_PNSt15iterator_traitsISG_E10value_typeET2_T3_PNSH_ISM_E10value_typeET4_T5_PSR_SS_PNS1_23onesweep_lookback_stateEbbT6_jjT7_P12ihipStream_tbENKUlT_T0_SG_SL_E_clIS9_SA_SB_SB_EEDaSZ_S10_SG_SL_EUlSZ_E_NS1_11comp_targetILNS1_3genE3ELNS1_11target_archE908ELNS1_3gpuE7ELNS1_3repE0EEENS1_47radix_sort_onesweep_sort_config_static_selectorELNS0_4arch9wavefront6targetE0EEEvSG_.numbered_sgpr, 0
	.set _ZN7rocprim17ROCPRIM_400000_NS6detail17trampoline_kernelINS0_14default_configENS1_35radix_sort_onesweep_config_selectorIsNS0_10empty_typeEEEZZNS1_29radix_sort_onesweep_iterationIS3_Lb1EPKsPsPS5_SB_mNS0_19identity_decomposerENS1_16block_id_wrapperIjLb1EEEEE10hipError_tT1_PNSt15iterator_traitsISG_E10value_typeET2_T3_PNSH_ISM_E10value_typeET4_T5_PSR_SS_PNS1_23onesweep_lookback_stateEbbT6_jjT7_P12ihipStream_tbENKUlT_T0_SG_SL_E_clIS9_SA_SB_SB_EEDaSZ_S10_SG_SL_EUlSZ_E_NS1_11comp_targetILNS1_3genE3ELNS1_11target_archE908ELNS1_3gpuE7ELNS1_3repE0EEENS1_47radix_sort_onesweep_sort_config_static_selectorELNS0_4arch9wavefront6targetE0EEEvSG_.num_named_barrier, 0
	.set _ZN7rocprim17ROCPRIM_400000_NS6detail17trampoline_kernelINS0_14default_configENS1_35radix_sort_onesweep_config_selectorIsNS0_10empty_typeEEEZZNS1_29radix_sort_onesweep_iterationIS3_Lb1EPKsPsPS5_SB_mNS0_19identity_decomposerENS1_16block_id_wrapperIjLb1EEEEE10hipError_tT1_PNSt15iterator_traitsISG_E10value_typeET2_T3_PNSH_ISM_E10value_typeET4_T5_PSR_SS_PNS1_23onesweep_lookback_stateEbbT6_jjT7_P12ihipStream_tbENKUlT_T0_SG_SL_E_clIS9_SA_SB_SB_EEDaSZ_S10_SG_SL_EUlSZ_E_NS1_11comp_targetILNS1_3genE3ELNS1_11target_archE908ELNS1_3gpuE7ELNS1_3repE0EEENS1_47radix_sort_onesweep_sort_config_static_selectorELNS0_4arch9wavefront6targetE0EEEvSG_.private_seg_size, 0
	.set _ZN7rocprim17ROCPRIM_400000_NS6detail17trampoline_kernelINS0_14default_configENS1_35radix_sort_onesweep_config_selectorIsNS0_10empty_typeEEEZZNS1_29radix_sort_onesweep_iterationIS3_Lb1EPKsPsPS5_SB_mNS0_19identity_decomposerENS1_16block_id_wrapperIjLb1EEEEE10hipError_tT1_PNSt15iterator_traitsISG_E10value_typeET2_T3_PNSH_ISM_E10value_typeET4_T5_PSR_SS_PNS1_23onesweep_lookback_stateEbbT6_jjT7_P12ihipStream_tbENKUlT_T0_SG_SL_E_clIS9_SA_SB_SB_EEDaSZ_S10_SG_SL_EUlSZ_E_NS1_11comp_targetILNS1_3genE3ELNS1_11target_archE908ELNS1_3gpuE7ELNS1_3repE0EEENS1_47radix_sort_onesweep_sort_config_static_selectorELNS0_4arch9wavefront6targetE0EEEvSG_.uses_vcc, 0
	.set _ZN7rocprim17ROCPRIM_400000_NS6detail17trampoline_kernelINS0_14default_configENS1_35radix_sort_onesweep_config_selectorIsNS0_10empty_typeEEEZZNS1_29radix_sort_onesweep_iterationIS3_Lb1EPKsPsPS5_SB_mNS0_19identity_decomposerENS1_16block_id_wrapperIjLb1EEEEE10hipError_tT1_PNSt15iterator_traitsISG_E10value_typeET2_T3_PNSH_ISM_E10value_typeET4_T5_PSR_SS_PNS1_23onesweep_lookback_stateEbbT6_jjT7_P12ihipStream_tbENKUlT_T0_SG_SL_E_clIS9_SA_SB_SB_EEDaSZ_S10_SG_SL_EUlSZ_E_NS1_11comp_targetILNS1_3genE3ELNS1_11target_archE908ELNS1_3gpuE7ELNS1_3repE0EEENS1_47radix_sort_onesweep_sort_config_static_selectorELNS0_4arch9wavefront6targetE0EEEvSG_.uses_flat_scratch, 0
	.set _ZN7rocprim17ROCPRIM_400000_NS6detail17trampoline_kernelINS0_14default_configENS1_35radix_sort_onesweep_config_selectorIsNS0_10empty_typeEEEZZNS1_29radix_sort_onesweep_iterationIS3_Lb1EPKsPsPS5_SB_mNS0_19identity_decomposerENS1_16block_id_wrapperIjLb1EEEEE10hipError_tT1_PNSt15iterator_traitsISG_E10value_typeET2_T3_PNSH_ISM_E10value_typeET4_T5_PSR_SS_PNS1_23onesweep_lookback_stateEbbT6_jjT7_P12ihipStream_tbENKUlT_T0_SG_SL_E_clIS9_SA_SB_SB_EEDaSZ_S10_SG_SL_EUlSZ_E_NS1_11comp_targetILNS1_3genE3ELNS1_11target_archE908ELNS1_3gpuE7ELNS1_3repE0EEENS1_47radix_sort_onesweep_sort_config_static_selectorELNS0_4arch9wavefront6targetE0EEEvSG_.has_dyn_sized_stack, 0
	.set _ZN7rocprim17ROCPRIM_400000_NS6detail17trampoline_kernelINS0_14default_configENS1_35radix_sort_onesweep_config_selectorIsNS0_10empty_typeEEEZZNS1_29radix_sort_onesweep_iterationIS3_Lb1EPKsPsPS5_SB_mNS0_19identity_decomposerENS1_16block_id_wrapperIjLb1EEEEE10hipError_tT1_PNSt15iterator_traitsISG_E10value_typeET2_T3_PNSH_ISM_E10value_typeET4_T5_PSR_SS_PNS1_23onesweep_lookback_stateEbbT6_jjT7_P12ihipStream_tbENKUlT_T0_SG_SL_E_clIS9_SA_SB_SB_EEDaSZ_S10_SG_SL_EUlSZ_E_NS1_11comp_targetILNS1_3genE3ELNS1_11target_archE908ELNS1_3gpuE7ELNS1_3repE0EEENS1_47radix_sort_onesweep_sort_config_static_selectorELNS0_4arch9wavefront6targetE0EEEvSG_.has_recursion, 0
	.set _ZN7rocprim17ROCPRIM_400000_NS6detail17trampoline_kernelINS0_14default_configENS1_35radix_sort_onesweep_config_selectorIsNS0_10empty_typeEEEZZNS1_29radix_sort_onesweep_iterationIS3_Lb1EPKsPsPS5_SB_mNS0_19identity_decomposerENS1_16block_id_wrapperIjLb1EEEEE10hipError_tT1_PNSt15iterator_traitsISG_E10value_typeET2_T3_PNSH_ISM_E10value_typeET4_T5_PSR_SS_PNS1_23onesweep_lookback_stateEbbT6_jjT7_P12ihipStream_tbENKUlT_T0_SG_SL_E_clIS9_SA_SB_SB_EEDaSZ_S10_SG_SL_EUlSZ_E_NS1_11comp_targetILNS1_3genE3ELNS1_11target_archE908ELNS1_3gpuE7ELNS1_3repE0EEENS1_47radix_sort_onesweep_sort_config_static_selectorELNS0_4arch9wavefront6targetE0EEEvSG_.has_indirect_call, 0
	.section	.AMDGPU.csdata,"",@progbits
; Kernel info:
; codeLenInByte = 0
; TotalNumSgprs: 0
; NumVgprs: 0
; ScratchSize: 0
; MemoryBound: 0
; FloatMode: 240
; IeeeMode: 1
; LDSByteSize: 0 bytes/workgroup (compile time only)
; SGPRBlocks: 0
; VGPRBlocks: 0
; NumSGPRsForWavesPerEU: 1
; NumVGPRsForWavesPerEU: 1
; NamedBarCnt: 0
; Occupancy: 16
; WaveLimiterHint : 0
; COMPUTE_PGM_RSRC2:SCRATCH_EN: 0
; COMPUTE_PGM_RSRC2:USER_SGPR: 2
; COMPUTE_PGM_RSRC2:TRAP_HANDLER: 0
; COMPUTE_PGM_RSRC2:TGID_X_EN: 1
; COMPUTE_PGM_RSRC2:TGID_Y_EN: 0
; COMPUTE_PGM_RSRC2:TGID_Z_EN: 0
; COMPUTE_PGM_RSRC2:TIDIG_COMP_CNT: 0
	.section	.text._ZN7rocprim17ROCPRIM_400000_NS6detail17trampoline_kernelINS0_14default_configENS1_35radix_sort_onesweep_config_selectorIsNS0_10empty_typeEEEZZNS1_29radix_sort_onesweep_iterationIS3_Lb1EPKsPsPS5_SB_mNS0_19identity_decomposerENS1_16block_id_wrapperIjLb1EEEEE10hipError_tT1_PNSt15iterator_traitsISG_E10value_typeET2_T3_PNSH_ISM_E10value_typeET4_T5_PSR_SS_PNS1_23onesweep_lookback_stateEbbT6_jjT7_P12ihipStream_tbENKUlT_T0_SG_SL_E_clIS9_SA_SB_SB_EEDaSZ_S10_SG_SL_EUlSZ_E_NS1_11comp_targetILNS1_3genE10ELNS1_11target_archE1201ELNS1_3gpuE5ELNS1_3repE0EEENS1_47radix_sort_onesweep_sort_config_static_selectorELNS0_4arch9wavefront6targetE0EEEvSG_,"axG",@progbits,_ZN7rocprim17ROCPRIM_400000_NS6detail17trampoline_kernelINS0_14default_configENS1_35radix_sort_onesweep_config_selectorIsNS0_10empty_typeEEEZZNS1_29radix_sort_onesweep_iterationIS3_Lb1EPKsPsPS5_SB_mNS0_19identity_decomposerENS1_16block_id_wrapperIjLb1EEEEE10hipError_tT1_PNSt15iterator_traitsISG_E10value_typeET2_T3_PNSH_ISM_E10value_typeET4_T5_PSR_SS_PNS1_23onesweep_lookback_stateEbbT6_jjT7_P12ihipStream_tbENKUlT_T0_SG_SL_E_clIS9_SA_SB_SB_EEDaSZ_S10_SG_SL_EUlSZ_E_NS1_11comp_targetILNS1_3genE10ELNS1_11target_archE1201ELNS1_3gpuE5ELNS1_3repE0EEENS1_47radix_sort_onesweep_sort_config_static_selectorELNS0_4arch9wavefront6targetE0EEEvSG_,comdat
	.protected	_ZN7rocprim17ROCPRIM_400000_NS6detail17trampoline_kernelINS0_14default_configENS1_35radix_sort_onesweep_config_selectorIsNS0_10empty_typeEEEZZNS1_29radix_sort_onesweep_iterationIS3_Lb1EPKsPsPS5_SB_mNS0_19identity_decomposerENS1_16block_id_wrapperIjLb1EEEEE10hipError_tT1_PNSt15iterator_traitsISG_E10value_typeET2_T3_PNSH_ISM_E10value_typeET4_T5_PSR_SS_PNS1_23onesweep_lookback_stateEbbT6_jjT7_P12ihipStream_tbENKUlT_T0_SG_SL_E_clIS9_SA_SB_SB_EEDaSZ_S10_SG_SL_EUlSZ_E_NS1_11comp_targetILNS1_3genE10ELNS1_11target_archE1201ELNS1_3gpuE5ELNS1_3repE0EEENS1_47radix_sort_onesweep_sort_config_static_selectorELNS0_4arch9wavefront6targetE0EEEvSG_ ; -- Begin function _ZN7rocprim17ROCPRIM_400000_NS6detail17trampoline_kernelINS0_14default_configENS1_35radix_sort_onesweep_config_selectorIsNS0_10empty_typeEEEZZNS1_29radix_sort_onesweep_iterationIS3_Lb1EPKsPsPS5_SB_mNS0_19identity_decomposerENS1_16block_id_wrapperIjLb1EEEEE10hipError_tT1_PNSt15iterator_traitsISG_E10value_typeET2_T3_PNSH_ISM_E10value_typeET4_T5_PSR_SS_PNS1_23onesweep_lookback_stateEbbT6_jjT7_P12ihipStream_tbENKUlT_T0_SG_SL_E_clIS9_SA_SB_SB_EEDaSZ_S10_SG_SL_EUlSZ_E_NS1_11comp_targetILNS1_3genE10ELNS1_11target_archE1201ELNS1_3gpuE5ELNS1_3repE0EEENS1_47radix_sort_onesweep_sort_config_static_selectorELNS0_4arch9wavefront6targetE0EEEvSG_
	.globl	_ZN7rocprim17ROCPRIM_400000_NS6detail17trampoline_kernelINS0_14default_configENS1_35radix_sort_onesweep_config_selectorIsNS0_10empty_typeEEEZZNS1_29radix_sort_onesweep_iterationIS3_Lb1EPKsPsPS5_SB_mNS0_19identity_decomposerENS1_16block_id_wrapperIjLb1EEEEE10hipError_tT1_PNSt15iterator_traitsISG_E10value_typeET2_T3_PNSH_ISM_E10value_typeET4_T5_PSR_SS_PNS1_23onesweep_lookback_stateEbbT6_jjT7_P12ihipStream_tbENKUlT_T0_SG_SL_E_clIS9_SA_SB_SB_EEDaSZ_S10_SG_SL_EUlSZ_E_NS1_11comp_targetILNS1_3genE10ELNS1_11target_archE1201ELNS1_3gpuE5ELNS1_3repE0EEENS1_47radix_sort_onesweep_sort_config_static_selectorELNS0_4arch9wavefront6targetE0EEEvSG_
	.p2align	8
	.type	_ZN7rocprim17ROCPRIM_400000_NS6detail17trampoline_kernelINS0_14default_configENS1_35radix_sort_onesweep_config_selectorIsNS0_10empty_typeEEEZZNS1_29radix_sort_onesweep_iterationIS3_Lb1EPKsPsPS5_SB_mNS0_19identity_decomposerENS1_16block_id_wrapperIjLb1EEEEE10hipError_tT1_PNSt15iterator_traitsISG_E10value_typeET2_T3_PNSH_ISM_E10value_typeET4_T5_PSR_SS_PNS1_23onesweep_lookback_stateEbbT6_jjT7_P12ihipStream_tbENKUlT_T0_SG_SL_E_clIS9_SA_SB_SB_EEDaSZ_S10_SG_SL_EUlSZ_E_NS1_11comp_targetILNS1_3genE10ELNS1_11target_archE1201ELNS1_3gpuE5ELNS1_3repE0EEENS1_47radix_sort_onesweep_sort_config_static_selectorELNS0_4arch9wavefront6targetE0EEEvSG_,@function
_ZN7rocprim17ROCPRIM_400000_NS6detail17trampoline_kernelINS0_14default_configENS1_35radix_sort_onesweep_config_selectorIsNS0_10empty_typeEEEZZNS1_29radix_sort_onesweep_iterationIS3_Lb1EPKsPsPS5_SB_mNS0_19identity_decomposerENS1_16block_id_wrapperIjLb1EEEEE10hipError_tT1_PNSt15iterator_traitsISG_E10value_typeET2_T3_PNSH_ISM_E10value_typeET4_T5_PSR_SS_PNS1_23onesweep_lookback_stateEbbT6_jjT7_P12ihipStream_tbENKUlT_T0_SG_SL_E_clIS9_SA_SB_SB_EEDaSZ_S10_SG_SL_EUlSZ_E_NS1_11comp_targetILNS1_3genE10ELNS1_11target_archE1201ELNS1_3gpuE5ELNS1_3repE0EEENS1_47radix_sort_onesweep_sort_config_static_selectorELNS0_4arch9wavefront6targetE0EEEvSG_: ; @_ZN7rocprim17ROCPRIM_400000_NS6detail17trampoline_kernelINS0_14default_configENS1_35radix_sort_onesweep_config_selectorIsNS0_10empty_typeEEEZZNS1_29radix_sort_onesweep_iterationIS3_Lb1EPKsPsPS5_SB_mNS0_19identity_decomposerENS1_16block_id_wrapperIjLb1EEEEE10hipError_tT1_PNSt15iterator_traitsISG_E10value_typeET2_T3_PNSH_ISM_E10value_typeET4_T5_PSR_SS_PNS1_23onesweep_lookback_stateEbbT6_jjT7_P12ihipStream_tbENKUlT_T0_SG_SL_E_clIS9_SA_SB_SB_EEDaSZ_S10_SG_SL_EUlSZ_E_NS1_11comp_targetILNS1_3genE10ELNS1_11target_archE1201ELNS1_3gpuE5ELNS1_3repE0EEENS1_47radix_sort_onesweep_sort_config_static_selectorELNS0_4arch9wavefront6targetE0EEEvSG_
; %bb.0:
	.section	.rodata,"a",@progbits
	.p2align	6, 0x0
	.amdhsa_kernel _ZN7rocprim17ROCPRIM_400000_NS6detail17trampoline_kernelINS0_14default_configENS1_35radix_sort_onesweep_config_selectorIsNS0_10empty_typeEEEZZNS1_29radix_sort_onesweep_iterationIS3_Lb1EPKsPsPS5_SB_mNS0_19identity_decomposerENS1_16block_id_wrapperIjLb1EEEEE10hipError_tT1_PNSt15iterator_traitsISG_E10value_typeET2_T3_PNSH_ISM_E10value_typeET4_T5_PSR_SS_PNS1_23onesweep_lookback_stateEbbT6_jjT7_P12ihipStream_tbENKUlT_T0_SG_SL_E_clIS9_SA_SB_SB_EEDaSZ_S10_SG_SL_EUlSZ_E_NS1_11comp_targetILNS1_3genE10ELNS1_11target_archE1201ELNS1_3gpuE5ELNS1_3repE0EEENS1_47radix_sort_onesweep_sort_config_static_selectorELNS0_4arch9wavefront6targetE0EEEvSG_
		.amdhsa_group_segment_fixed_size 0
		.amdhsa_private_segment_fixed_size 0
		.amdhsa_kernarg_size 88
		.amdhsa_user_sgpr_count 2
		.amdhsa_user_sgpr_dispatch_ptr 0
		.amdhsa_user_sgpr_queue_ptr 0
		.amdhsa_user_sgpr_kernarg_segment_ptr 1
		.amdhsa_user_sgpr_dispatch_id 0
		.amdhsa_user_sgpr_kernarg_preload_length 0
		.amdhsa_user_sgpr_kernarg_preload_offset 0
		.amdhsa_user_sgpr_private_segment_size 0
		.amdhsa_wavefront_size32 1
		.amdhsa_uses_dynamic_stack 0
		.amdhsa_enable_private_segment 0
		.amdhsa_system_sgpr_workgroup_id_x 1
		.amdhsa_system_sgpr_workgroup_id_y 0
		.amdhsa_system_sgpr_workgroup_id_z 0
		.amdhsa_system_sgpr_workgroup_info 0
		.amdhsa_system_vgpr_workitem_id 0
		.amdhsa_next_free_vgpr 1
		.amdhsa_next_free_sgpr 1
		.amdhsa_named_barrier_count 0
		.amdhsa_reserve_vcc 0
		.amdhsa_float_round_mode_32 0
		.amdhsa_float_round_mode_16_64 0
		.amdhsa_float_denorm_mode_32 3
		.amdhsa_float_denorm_mode_16_64 3
		.amdhsa_fp16_overflow 0
		.amdhsa_memory_ordered 1
		.amdhsa_forward_progress 1
		.amdhsa_inst_pref_size 0
		.amdhsa_round_robin_scheduling 0
		.amdhsa_exception_fp_ieee_invalid_op 0
		.amdhsa_exception_fp_denorm_src 0
		.amdhsa_exception_fp_ieee_div_zero 0
		.amdhsa_exception_fp_ieee_overflow 0
		.amdhsa_exception_fp_ieee_underflow 0
		.amdhsa_exception_fp_ieee_inexact 0
		.amdhsa_exception_int_div_zero 0
	.end_amdhsa_kernel
	.section	.text._ZN7rocprim17ROCPRIM_400000_NS6detail17trampoline_kernelINS0_14default_configENS1_35radix_sort_onesweep_config_selectorIsNS0_10empty_typeEEEZZNS1_29radix_sort_onesweep_iterationIS3_Lb1EPKsPsPS5_SB_mNS0_19identity_decomposerENS1_16block_id_wrapperIjLb1EEEEE10hipError_tT1_PNSt15iterator_traitsISG_E10value_typeET2_T3_PNSH_ISM_E10value_typeET4_T5_PSR_SS_PNS1_23onesweep_lookback_stateEbbT6_jjT7_P12ihipStream_tbENKUlT_T0_SG_SL_E_clIS9_SA_SB_SB_EEDaSZ_S10_SG_SL_EUlSZ_E_NS1_11comp_targetILNS1_3genE10ELNS1_11target_archE1201ELNS1_3gpuE5ELNS1_3repE0EEENS1_47radix_sort_onesweep_sort_config_static_selectorELNS0_4arch9wavefront6targetE0EEEvSG_,"axG",@progbits,_ZN7rocprim17ROCPRIM_400000_NS6detail17trampoline_kernelINS0_14default_configENS1_35radix_sort_onesweep_config_selectorIsNS0_10empty_typeEEEZZNS1_29radix_sort_onesweep_iterationIS3_Lb1EPKsPsPS5_SB_mNS0_19identity_decomposerENS1_16block_id_wrapperIjLb1EEEEE10hipError_tT1_PNSt15iterator_traitsISG_E10value_typeET2_T3_PNSH_ISM_E10value_typeET4_T5_PSR_SS_PNS1_23onesweep_lookback_stateEbbT6_jjT7_P12ihipStream_tbENKUlT_T0_SG_SL_E_clIS9_SA_SB_SB_EEDaSZ_S10_SG_SL_EUlSZ_E_NS1_11comp_targetILNS1_3genE10ELNS1_11target_archE1201ELNS1_3gpuE5ELNS1_3repE0EEENS1_47radix_sort_onesweep_sort_config_static_selectorELNS0_4arch9wavefront6targetE0EEEvSG_,comdat
.Lfunc_end608:
	.size	_ZN7rocprim17ROCPRIM_400000_NS6detail17trampoline_kernelINS0_14default_configENS1_35radix_sort_onesweep_config_selectorIsNS0_10empty_typeEEEZZNS1_29radix_sort_onesweep_iterationIS3_Lb1EPKsPsPS5_SB_mNS0_19identity_decomposerENS1_16block_id_wrapperIjLb1EEEEE10hipError_tT1_PNSt15iterator_traitsISG_E10value_typeET2_T3_PNSH_ISM_E10value_typeET4_T5_PSR_SS_PNS1_23onesweep_lookback_stateEbbT6_jjT7_P12ihipStream_tbENKUlT_T0_SG_SL_E_clIS9_SA_SB_SB_EEDaSZ_S10_SG_SL_EUlSZ_E_NS1_11comp_targetILNS1_3genE10ELNS1_11target_archE1201ELNS1_3gpuE5ELNS1_3repE0EEENS1_47radix_sort_onesweep_sort_config_static_selectorELNS0_4arch9wavefront6targetE0EEEvSG_, .Lfunc_end608-_ZN7rocprim17ROCPRIM_400000_NS6detail17trampoline_kernelINS0_14default_configENS1_35radix_sort_onesweep_config_selectorIsNS0_10empty_typeEEEZZNS1_29radix_sort_onesweep_iterationIS3_Lb1EPKsPsPS5_SB_mNS0_19identity_decomposerENS1_16block_id_wrapperIjLb1EEEEE10hipError_tT1_PNSt15iterator_traitsISG_E10value_typeET2_T3_PNSH_ISM_E10value_typeET4_T5_PSR_SS_PNS1_23onesweep_lookback_stateEbbT6_jjT7_P12ihipStream_tbENKUlT_T0_SG_SL_E_clIS9_SA_SB_SB_EEDaSZ_S10_SG_SL_EUlSZ_E_NS1_11comp_targetILNS1_3genE10ELNS1_11target_archE1201ELNS1_3gpuE5ELNS1_3repE0EEENS1_47radix_sort_onesweep_sort_config_static_selectorELNS0_4arch9wavefront6targetE0EEEvSG_
                                        ; -- End function
	.set _ZN7rocprim17ROCPRIM_400000_NS6detail17trampoline_kernelINS0_14default_configENS1_35radix_sort_onesweep_config_selectorIsNS0_10empty_typeEEEZZNS1_29radix_sort_onesweep_iterationIS3_Lb1EPKsPsPS5_SB_mNS0_19identity_decomposerENS1_16block_id_wrapperIjLb1EEEEE10hipError_tT1_PNSt15iterator_traitsISG_E10value_typeET2_T3_PNSH_ISM_E10value_typeET4_T5_PSR_SS_PNS1_23onesweep_lookback_stateEbbT6_jjT7_P12ihipStream_tbENKUlT_T0_SG_SL_E_clIS9_SA_SB_SB_EEDaSZ_S10_SG_SL_EUlSZ_E_NS1_11comp_targetILNS1_3genE10ELNS1_11target_archE1201ELNS1_3gpuE5ELNS1_3repE0EEENS1_47radix_sort_onesweep_sort_config_static_selectorELNS0_4arch9wavefront6targetE0EEEvSG_.num_vgpr, 0
	.set _ZN7rocprim17ROCPRIM_400000_NS6detail17trampoline_kernelINS0_14default_configENS1_35radix_sort_onesweep_config_selectorIsNS0_10empty_typeEEEZZNS1_29radix_sort_onesweep_iterationIS3_Lb1EPKsPsPS5_SB_mNS0_19identity_decomposerENS1_16block_id_wrapperIjLb1EEEEE10hipError_tT1_PNSt15iterator_traitsISG_E10value_typeET2_T3_PNSH_ISM_E10value_typeET4_T5_PSR_SS_PNS1_23onesweep_lookback_stateEbbT6_jjT7_P12ihipStream_tbENKUlT_T0_SG_SL_E_clIS9_SA_SB_SB_EEDaSZ_S10_SG_SL_EUlSZ_E_NS1_11comp_targetILNS1_3genE10ELNS1_11target_archE1201ELNS1_3gpuE5ELNS1_3repE0EEENS1_47radix_sort_onesweep_sort_config_static_selectorELNS0_4arch9wavefront6targetE0EEEvSG_.num_agpr, 0
	.set _ZN7rocprim17ROCPRIM_400000_NS6detail17trampoline_kernelINS0_14default_configENS1_35radix_sort_onesweep_config_selectorIsNS0_10empty_typeEEEZZNS1_29radix_sort_onesweep_iterationIS3_Lb1EPKsPsPS5_SB_mNS0_19identity_decomposerENS1_16block_id_wrapperIjLb1EEEEE10hipError_tT1_PNSt15iterator_traitsISG_E10value_typeET2_T3_PNSH_ISM_E10value_typeET4_T5_PSR_SS_PNS1_23onesweep_lookback_stateEbbT6_jjT7_P12ihipStream_tbENKUlT_T0_SG_SL_E_clIS9_SA_SB_SB_EEDaSZ_S10_SG_SL_EUlSZ_E_NS1_11comp_targetILNS1_3genE10ELNS1_11target_archE1201ELNS1_3gpuE5ELNS1_3repE0EEENS1_47radix_sort_onesweep_sort_config_static_selectorELNS0_4arch9wavefront6targetE0EEEvSG_.numbered_sgpr, 0
	.set _ZN7rocprim17ROCPRIM_400000_NS6detail17trampoline_kernelINS0_14default_configENS1_35radix_sort_onesweep_config_selectorIsNS0_10empty_typeEEEZZNS1_29radix_sort_onesweep_iterationIS3_Lb1EPKsPsPS5_SB_mNS0_19identity_decomposerENS1_16block_id_wrapperIjLb1EEEEE10hipError_tT1_PNSt15iterator_traitsISG_E10value_typeET2_T3_PNSH_ISM_E10value_typeET4_T5_PSR_SS_PNS1_23onesweep_lookback_stateEbbT6_jjT7_P12ihipStream_tbENKUlT_T0_SG_SL_E_clIS9_SA_SB_SB_EEDaSZ_S10_SG_SL_EUlSZ_E_NS1_11comp_targetILNS1_3genE10ELNS1_11target_archE1201ELNS1_3gpuE5ELNS1_3repE0EEENS1_47radix_sort_onesweep_sort_config_static_selectorELNS0_4arch9wavefront6targetE0EEEvSG_.num_named_barrier, 0
	.set _ZN7rocprim17ROCPRIM_400000_NS6detail17trampoline_kernelINS0_14default_configENS1_35radix_sort_onesweep_config_selectorIsNS0_10empty_typeEEEZZNS1_29radix_sort_onesweep_iterationIS3_Lb1EPKsPsPS5_SB_mNS0_19identity_decomposerENS1_16block_id_wrapperIjLb1EEEEE10hipError_tT1_PNSt15iterator_traitsISG_E10value_typeET2_T3_PNSH_ISM_E10value_typeET4_T5_PSR_SS_PNS1_23onesweep_lookback_stateEbbT6_jjT7_P12ihipStream_tbENKUlT_T0_SG_SL_E_clIS9_SA_SB_SB_EEDaSZ_S10_SG_SL_EUlSZ_E_NS1_11comp_targetILNS1_3genE10ELNS1_11target_archE1201ELNS1_3gpuE5ELNS1_3repE0EEENS1_47radix_sort_onesweep_sort_config_static_selectorELNS0_4arch9wavefront6targetE0EEEvSG_.private_seg_size, 0
	.set _ZN7rocprim17ROCPRIM_400000_NS6detail17trampoline_kernelINS0_14default_configENS1_35radix_sort_onesweep_config_selectorIsNS0_10empty_typeEEEZZNS1_29radix_sort_onesweep_iterationIS3_Lb1EPKsPsPS5_SB_mNS0_19identity_decomposerENS1_16block_id_wrapperIjLb1EEEEE10hipError_tT1_PNSt15iterator_traitsISG_E10value_typeET2_T3_PNSH_ISM_E10value_typeET4_T5_PSR_SS_PNS1_23onesweep_lookback_stateEbbT6_jjT7_P12ihipStream_tbENKUlT_T0_SG_SL_E_clIS9_SA_SB_SB_EEDaSZ_S10_SG_SL_EUlSZ_E_NS1_11comp_targetILNS1_3genE10ELNS1_11target_archE1201ELNS1_3gpuE5ELNS1_3repE0EEENS1_47radix_sort_onesweep_sort_config_static_selectorELNS0_4arch9wavefront6targetE0EEEvSG_.uses_vcc, 0
	.set _ZN7rocprim17ROCPRIM_400000_NS6detail17trampoline_kernelINS0_14default_configENS1_35radix_sort_onesweep_config_selectorIsNS0_10empty_typeEEEZZNS1_29radix_sort_onesweep_iterationIS3_Lb1EPKsPsPS5_SB_mNS0_19identity_decomposerENS1_16block_id_wrapperIjLb1EEEEE10hipError_tT1_PNSt15iterator_traitsISG_E10value_typeET2_T3_PNSH_ISM_E10value_typeET4_T5_PSR_SS_PNS1_23onesweep_lookback_stateEbbT6_jjT7_P12ihipStream_tbENKUlT_T0_SG_SL_E_clIS9_SA_SB_SB_EEDaSZ_S10_SG_SL_EUlSZ_E_NS1_11comp_targetILNS1_3genE10ELNS1_11target_archE1201ELNS1_3gpuE5ELNS1_3repE0EEENS1_47radix_sort_onesweep_sort_config_static_selectorELNS0_4arch9wavefront6targetE0EEEvSG_.uses_flat_scratch, 0
	.set _ZN7rocprim17ROCPRIM_400000_NS6detail17trampoline_kernelINS0_14default_configENS1_35radix_sort_onesweep_config_selectorIsNS0_10empty_typeEEEZZNS1_29radix_sort_onesweep_iterationIS3_Lb1EPKsPsPS5_SB_mNS0_19identity_decomposerENS1_16block_id_wrapperIjLb1EEEEE10hipError_tT1_PNSt15iterator_traitsISG_E10value_typeET2_T3_PNSH_ISM_E10value_typeET4_T5_PSR_SS_PNS1_23onesweep_lookback_stateEbbT6_jjT7_P12ihipStream_tbENKUlT_T0_SG_SL_E_clIS9_SA_SB_SB_EEDaSZ_S10_SG_SL_EUlSZ_E_NS1_11comp_targetILNS1_3genE10ELNS1_11target_archE1201ELNS1_3gpuE5ELNS1_3repE0EEENS1_47radix_sort_onesweep_sort_config_static_selectorELNS0_4arch9wavefront6targetE0EEEvSG_.has_dyn_sized_stack, 0
	.set _ZN7rocprim17ROCPRIM_400000_NS6detail17trampoline_kernelINS0_14default_configENS1_35radix_sort_onesweep_config_selectorIsNS0_10empty_typeEEEZZNS1_29radix_sort_onesweep_iterationIS3_Lb1EPKsPsPS5_SB_mNS0_19identity_decomposerENS1_16block_id_wrapperIjLb1EEEEE10hipError_tT1_PNSt15iterator_traitsISG_E10value_typeET2_T3_PNSH_ISM_E10value_typeET4_T5_PSR_SS_PNS1_23onesweep_lookback_stateEbbT6_jjT7_P12ihipStream_tbENKUlT_T0_SG_SL_E_clIS9_SA_SB_SB_EEDaSZ_S10_SG_SL_EUlSZ_E_NS1_11comp_targetILNS1_3genE10ELNS1_11target_archE1201ELNS1_3gpuE5ELNS1_3repE0EEENS1_47radix_sort_onesweep_sort_config_static_selectorELNS0_4arch9wavefront6targetE0EEEvSG_.has_recursion, 0
	.set _ZN7rocprim17ROCPRIM_400000_NS6detail17trampoline_kernelINS0_14default_configENS1_35radix_sort_onesweep_config_selectorIsNS0_10empty_typeEEEZZNS1_29radix_sort_onesweep_iterationIS3_Lb1EPKsPsPS5_SB_mNS0_19identity_decomposerENS1_16block_id_wrapperIjLb1EEEEE10hipError_tT1_PNSt15iterator_traitsISG_E10value_typeET2_T3_PNSH_ISM_E10value_typeET4_T5_PSR_SS_PNS1_23onesweep_lookback_stateEbbT6_jjT7_P12ihipStream_tbENKUlT_T0_SG_SL_E_clIS9_SA_SB_SB_EEDaSZ_S10_SG_SL_EUlSZ_E_NS1_11comp_targetILNS1_3genE10ELNS1_11target_archE1201ELNS1_3gpuE5ELNS1_3repE0EEENS1_47radix_sort_onesweep_sort_config_static_selectorELNS0_4arch9wavefront6targetE0EEEvSG_.has_indirect_call, 0
	.section	.AMDGPU.csdata,"",@progbits
; Kernel info:
; codeLenInByte = 0
; TotalNumSgprs: 0
; NumVgprs: 0
; ScratchSize: 0
; MemoryBound: 0
; FloatMode: 240
; IeeeMode: 1
; LDSByteSize: 0 bytes/workgroup (compile time only)
; SGPRBlocks: 0
; VGPRBlocks: 0
; NumSGPRsForWavesPerEU: 1
; NumVGPRsForWavesPerEU: 1
; NamedBarCnt: 0
; Occupancy: 16
; WaveLimiterHint : 0
; COMPUTE_PGM_RSRC2:SCRATCH_EN: 0
; COMPUTE_PGM_RSRC2:USER_SGPR: 2
; COMPUTE_PGM_RSRC2:TRAP_HANDLER: 0
; COMPUTE_PGM_RSRC2:TGID_X_EN: 1
; COMPUTE_PGM_RSRC2:TGID_Y_EN: 0
; COMPUTE_PGM_RSRC2:TGID_Z_EN: 0
; COMPUTE_PGM_RSRC2:TIDIG_COMP_CNT: 0
	.section	.text._ZN7rocprim17ROCPRIM_400000_NS6detail17trampoline_kernelINS0_14default_configENS1_35radix_sort_onesweep_config_selectorIsNS0_10empty_typeEEEZZNS1_29radix_sort_onesweep_iterationIS3_Lb1EPKsPsPS5_SB_mNS0_19identity_decomposerENS1_16block_id_wrapperIjLb1EEEEE10hipError_tT1_PNSt15iterator_traitsISG_E10value_typeET2_T3_PNSH_ISM_E10value_typeET4_T5_PSR_SS_PNS1_23onesweep_lookback_stateEbbT6_jjT7_P12ihipStream_tbENKUlT_T0_SG_SL_E_clIS9_SA_SB_SB_EEDaSZ_S10_SG_SL_EUlSZ_E_NS1_11comp_targetILNS1_3genE9ELNS1_11target_archE1100ELNS1_3gpuE3ELNS1_3repE0EEENS1_47radix_sort_onesweep_sort_config_static_selectorELNS0_4arch9wavefront6targetE0EEEvSG_,"axG",@progbits,_ZN7rocprim17ROCPRIM_400000_NS6detail17trampoline_kernelINS0_14default_configENS1_35radix_sort_onesweep_config_selectorIsNS0_10empty_typeEEEZZNS1_29radix_sort_onesweep_iterationIS3_Lb1EPKsPsPS5_SB_mNS0_19identity_decomposerENS1_16block_id_wrapperIjLb1EEEEE10hipError_tT1_PNSt15iterator_traitsISG_E10value_typeET2_T3_PNSH_ISM_E10value_typeET4_T5_PSR_SS_PNS1_23onesweep_lookback_stateEbbT6_jjT7_P12ihipStream_tbENKUlT_T0_SG_SL_E_clIS9_SA_SB_SB_EEDaSZ_S10_SG_SL_EUlSZ_E_NS1_11comp_targetILNS1_3genE9ELNS1_11target_archE1100ELNS1_3gpuE3ELNS1_3repE0EEENS1_47radix_sort_onesweep_sort_config_static_selectorELNS0_4arch9wavefront6targetE0EEEvSG_,comdat
	.protected	_ZN7rocprim17ROCPRIM_400000_NS6detail17trampoline_kernelINS0_14default_configENS1_35radix_sort_onesweep_config_selectorIsNS0_10empty_typeEEEZZNS1_29radix_sort_onesweep_iterationIS3_Lb1EPKsPsPS5_SB_mNS0_19identity_decomposerENS1_16block_id_wrapperIjLb1EEEEE10hipError_tT1_PNSt15iterator_traitsISG_E10value_typeET2_T3_PNSH_ISM_E10value_typeET4_T5_PSR_SS_PNS1_23onesweep_lookback_stateEbbT6_jjT7_P12ihipStream_tbENKUlT_T0_SG_SL_E_clIS9_SA_SB_SB_EEDaSZ_S10_SG_SL_EUlSZ_E_NS1_11comp_targetILNS1_3genE9ELNS1_11target_archE1100ELNS1_3gpuE3ELNS1_3repE0EEENS1_47radix_sort_onesweep_sort_config_static_selectorELNS0_4arch9wavefront6targetE0EEEvSG_ ; -- Begin function _ZN7rocprim17ROCPRIM_400000_NS6detail17trampoline_kernelINS0_14default_configENS1_35radix_sort_onesweep_config_selectorIsNS0_10empty_typeEEEZZNS1_29radix_sort_onesweep_iterationIS3_Lb1EPKsPsPS5_SB_mNS0_19identity_decomposerENS1_16block_id_wrapperIjLb1EEEEE10hipError_tT1_PNSt15iterator_traitsISG_E10value_typeET2_T3_PNSH_ISM_E10value_typeET4_T5_PSR_SS_PNS1_23onesweep_lookback_stateEbbT6_jjT7_P12ihipStream_tbENKUlT_T0_SG_SL_E_clIS9_SA_SB_SB_EEDaSZ_S10_SG_SL_EUlSZ_E_NS1_11comp_targetILNS1_3genE9ELNS1_11target_archE1100ELNS1_3gpuE3ELNS1_3repE0EEENS1_47radix_sort_onesweep_sort_config_static_selectorELNS0_4arch9wavefront6targetE0EEEvSG_
	.globl	_ZN7rocprim17ROCPRIM_400000_NS6detail17trampoline_kernelINS0_14default_configENS1_35radix_sort_onesweep_config_selectorIsNS0_10empty_typeEEEZZNS1_29radix_sort_onesweep_iterationIS3_Lb1EPKsPsPS5_SB_mNS0_19identity_decomposerENS1_16block_id_wrapperIjLb1EEEEE10hipError_tT1_PNSt15iterator_traitsISG_E10value_typeET2_T3_PNSH_ISM_E10value_typeET4_T5_PSR_SS_PNS1_23onesweep_lookback_stateEbbT6_jjT7_P12ihipStream_tbENKUlT_T0_SG_SL_E_clIS9_SA_SB_SB_EEDaSZ_S10_SG_SL_EUlSZ_E_NS1_11comp_targetILNS1_3genE9ELNS1_11target_archE1100ELNS1_3gpuE3ELNS1_3repE0EEENS1_47radix_sort_onesweep_sort_config_static_selectorELNS0_4arch9wavefront6targetE0EEEvSG_
	.p2align	8
	.type	_ZN7rocprim17ROCPRIM_400000_NS6detail17trampoline_kernelINS0_14default_configENS1_35radix_sort_onesweep_config_selectorIsNS0_10empty_typeEEEZZNS1_29radix_sort_onesweep_iterationIS3_Lb1EPKsPsPS5_SB_mNS0_19identity_decomposerENS1_16block_id_wrapperIjLb1EEEEE10hipError_tT1_PNSt15iterator_traitsISG_E10value_typeET2_T3_PNSH_ISM_E10value_typeET4_T5_PSR_SS_PNS1_23onesweep_lookback_stateEbbT6_jjT7_P12ihipStream_tbENKUlT_T0_SG_SL_E_clIS9_SA_SB_SB_EEDaSZ_S10_SG_SL_EUlSZ_E_NS1_11comp_targetILNS1_3genE9ELNS1_11target_archE1100ELNS1_3gpuE3ELNS1_3repE0EEENS1_47radix_sort_onesweep_sort_config_static_selectorELNS0_4arch9wavefront6targetE0EEEvSG_,@function
_ZN7rocprim17ROCPRIM_400000_NS6detail17trampoline_kernelINS0_14default_configENS1_35radix_sort_onesweep_config_selectorIsNS0_10empty_typeEEEZZNS1_29radix_sort_onesweep_iterationIS3_Lb1EPKsPsPS5_SB_mNS0_19identity_decomposerENS1_16block_id_wrapperIjLb1EEEEE10hipError_tT1_PNSt15iterator_traitsISG_E10value_typeET2_T3_PNSH_ISM_E10value_typeET4_T5_PSR_SS_PNS1_23onesweep_lookback_stateEbbT6_jjT7_P12ihipStream_tbENKUlT_T0_SG_SL_E_clIS9_SA_SB_SB_EEDaSZ_S10_SG_SL_EUlSZ_E_NS1_11comp_targetILNS1_3genE9ELNS1_11target_archE1100ELNS1_3gpuE3ELNS1_3repE0EEENS1_47radix_sort_onesweep_sort_config_static_selectorELNS0_4arch9wavefront6targetE0EEEvSG_: ; @_ZN7rocprim17ROCPRIM_400000_NS6detail17trampoline_kernelINS0_14default_configENS1_35radix_sort_onesweep_config_selectorIsNS0_10empty_typeEEEZZNS1_29radix_sort_onesweep_iterationIS3_Lb1EPKsPsPS5_SB_mNS0_19identity_decomposerENS1_16block_id_wrapperIjLb1EEEEE10hipError_tT1_PNSt15iterator_traitsISG_E10value_typeET2_T3_PNSH_ISM_E10value_typeET4_T5_PSR_SS_PNS1_23onesweep_lookback_stateEbbT6_jjT7_P12ihipStream_tbENKUlT_T0_SG_SL_E_clIS9_SA_SB_SB_EEDaSZ_S10_SG_SL_EUlSZ_E_NS1_11comp_targetILNS1_3genE9ELNS1_11target_archE1100ELNS1_3gpuE3ELNS1_3repE0EEENS1_47radix_sort_onesweep_sort_config_static_selectorELNS0_4arch9wavefront6targetE0EEEvSG_
; %bb.0:
	.section	.rodata,"a",@progbits
	.p2align	6, 0x0
	.amdhsa_kernel _ZN7rocprim17ROCPRIM_400000_NS6detail17trampoline_kernelINS0_14default_configENS1_35radix_sort_onesweep_config_selectorIsNS0_10empty_typeEEEZZNS1_29radix_sort_onesweep_iterationIS3_Lb1EPKsPsPS5_SB_mNS0_19identity_decomposerENS1_16block_id_wrapperIjLb1EEEEE10hipError_tT1_PNSt15iterator_traitsISG_E10value_typeET2_T3_PNSH_ISM_E10value_typeET4_T5_PSR_SS_PNS1_23onesweep_lookback_stateEbbT6_jjT7_P12ihipStream_tbENKUlT_T0_SG_SL_E_clIS9_SA_SB_SB_EEDaSZ_S10_SG_SL_EUlSZ_E_NS1_11comp_targetILNS1_3genE9ELNS1_11target_archE1100ELNS1_3gpuE3ELNS1_3repE0EEENS1_47radix_sort_onesweep_sort_config_static_selectorELNS0_4arch9wavefront6targetE0EEEvSG_
		.amdhsa_group_segment_fixed_size 0
		.amdhsa_private_segment_fixed_size 0
		.amdhsa_kernarg_size 88
		.amdhsa_user_sgpr_count 2
		.amdhsa_user_sgpr_dispatch_ptr 0
		.amdhsa_user_sgpr_queue_ptr 0
		.amdhsa_user_sgpr_kernarg_segment_ptr 1
		.amdhsa_user_sgpr_dispatch_id 0
		.amdhsa_user_sgpr_kernarg_preload_length 0
		.amdhsa_user_sgpr_kernarg_preload_offset 0
		.amdhsa_user_sgpr_private_segment_size 0
		.amdhsa_wavefront_size32 1
		.amdhsa_uses_dynamic_stack 0
		.amdhsa_enable_private_segment 0
		.amdhsa_system_sgpr_workgroup_id_x 1
		.amdhsa_system_sgpr_workgroup_id_y 0
		.amdhsa_system_sgpr_workgroup_id_z 0
		.amdhsa_system_sgpr_workgroup_info 0
		.amdhsa_system_vgpr_workitem_id 0
		.amdhsa_next_free_vgpr 1
		.amdhsa_next_free_sgpr 1
		.amdhsa_named_barrier_count 0
		.amdhsa_reserve_vcc 0
		.amdhsa_float_round_mode_32 0
		.amdhsa_float_round_mode_16_64 0
		.amdhsa_float_denorm_mode_32 3
		.amdhsa_float_denorm_mode_16_64 3
		.amdhsa_fp16_overflow 0
		.amdhsa_memory_ordered 1
		.amdhsa_forward_progress 1
		.amdhsa_inst_pref_size 0
		.amdhsa_round_robin_scheduling 0
		.amdhsa_exception_fp_ieee_invalid_op 0
		.amdhsa_exception_fp_denorm_src 0
		.amdhsa_exception_fp_ieee_div_zero 0
		.amdhsa_exception_fp_ieee_overflow 0
		.amdhsa_exception_fp_ieee_underflow 0
		.amdhsa_exception_fp_ieee_inexact 0
		.amdhsa_exception_int_div_zero 0
	.end_amdhsa_kernel
	.section	.text._ZN7rocprim17ROCPRIM_400000_NS6detail17trampoline_kernelINS0_14default_configENS1_35radix_sort_onesweep_config_selectorIsNS0_10empty_typeEEEZZNS1_29radix_sort_onesweep_iterationIS3_Lb1EPKsPsPS5_SB_mNS0_19identity_decomposerENS1_16block_id_wrapperIjLb1EEEEE10hipError_tT1_PNSt15iterator_traitsISG_E10value_typeET2_T3_PNSH_ISM_E10value_typeET4_T5_PSR_SS_PNS1_23onesweep_lookback_stateEbbT6_jjT7_P12ihipStream_tbENKUlT_T0_SG_SL_E_clIS9_SA_SB_SB_EEDaSZ_S10_SG_SL_EUlSZ_E_NS1_11comp_targetILNS1_3genE9ELNS1_11target_archE1100ELNS1_3gpuE3ELNS1_3repE0EEENS1_47radix_sort_onesweep_sort_config_static_selectorELNS0_4arch9wavefront6targetE0EEEvSG_,"axG",@progbits,_ZN7rocprim17ROCPRIM_400000_NS6detail17trampoline_kernelINS0_14default_configENS1_35radix_sort_onesweep_config_selectorIsNS0_10empty_typeEEEZZNS1_29radix_sort_onesweep_iterationIS3_Lb1EPKsPsPS5_SB_mNS0_19identity_decomposerENS1_16block_id_wrapperIjLb1EEEEE10hipError_tT1_PNSt15iterator_traitsISG_E10value_typeET2_T3_PNSH_ISM_E10value_typeET4_T5_PSR_SS_PNS1_23onesweep_lookback_stateEbbT6_jjT7_P12ihipStream_tbENKUlT_T0_SG_SL_E_clIS9_SA_SB_SB_EEDaSZ_S10_SG_SL_EUlSZ_E_NS1_11comp_targetILNS1_3genE9ELNS1_11target_archE1100ELNS1_3gpuE3ELNS1_3repE0EEENS1_47radix_sort_onesweep_sort_config_static_selectorELNS0_4arch9wavefront6targetE0EEEvSG_,comdat
.Lfunc_end609:
	.size	_ZN7rocprim17ROCPRIM_400000_NS6detail17trampoline_kernelINS0_14default_configENS1_35radix_sort_onesweep_config_selectorIsNS0_10empty_typeEEEZZNS1_29radix_sort_onesweep_iterationIS3_Lb1EPKsPsPS5_SB_mNS0_19identity_decomposerENS1_16block_id_wrapperIjLb1EEEEE10hipError_tT1_PNSt15iterator_traitsISG_E10value_typeET2_T3_PNSH_ISM_E10value_typeET4_T5_PSR_SS_PNS1_23onesweep_lookback_stateEbbT6_jjT7_P12ihipStream_tbENKUlT_T0_SG_SL_E_clIS9_SA_SB_SB_EEDaSZ_S10_SG_SL_EUlSZ_E_NS1_11comp_targetILNS1_3genE9ELNS1_11target_archE1100ELNS1_3gpuE3ELNS1_3repE0EEENS1_47radix_sort_onesweep_sort_config_static_selectorELNS0_4arch9wavefront6targetE0EEEvSG_, .Lfunc_end609-_ZN7rocprim17ROCPRIM_400000_NS6detail17trampoline_kernelINS0_14default_configENS1_35radix_sort_onesweep_config_selectorIsNS0_10empty_typeEEEZZNS1_29radix_sort_onesweep_iterationIS3_Lb1EPKsPsPS5_SB_mNS0_19identity_decomposerENS1_16block_id_wrapperIjLb1EEEEE10hipError_tT1_PNSt15iterator_traitsISG_E10value_typeET2_T3_PNSH_ISM_E10value_typeET4_T5_PSR_SS_PNS1_23onesweep_lookback_stateEbbT6_jjT7_P12ihipStream_tbENKUlT_T0_SG_SL_E_clIS9_SA_SB_SB_EEDaSZ_S10_SG_SL_EUlSZ_E_NS1_11comp_targetILNS1_3genE9ELNS1_11target_archE1100ELNS1_3gpuE3ELNS1_3repE0EEENS1_47radix_sort_onesweep_sort_config_static_selectorELNS0_4arch9wavefront6targetE0EEEvSG_
                                        ; -- End function
	.set _ZN7rocprim17ROCPRIM_400000_NS6detail17trampoline_kernelINS0_14default_configENS1_35radix_sort_onesweep_config_selectorIsNS0_10empty_typeEEEZZNS1_29radix_sort_onesweep_iterationIS3_Lb1EPKsPsPS5_SB_mNS0_19identity_decomposerENS1_16block_id_wrapperIjLb1EEEEE10hipError_tT1_PNSt15iterator_traitsISG_E10value_typeET2_T3_PNSH_ISM_E10value_typeET4_T5_PSR_SS_PNS1_23onesweep_lookback_stateEbbT6_jjT7_P12ihipStream_tbENKUlT_T0_SG_SL_E_clIS9_SA_SB_SB_EEDaSZ_S10_SG_SL_EUlSZ_E_NS1_11comp_targetILNS1_3genE9ELNS1_11target_archE1100ELNS1_3gpuE3ELNS1_3repE0EEENS1_47radix_sort_onesweep_sort_config_static_selectorELNS0_4arch9wavefront6targetE0EEEvSG_.num_vgpr, 0
	.set _ZN7rocprim17ROCPRIM_400000_NS6detail17trampoline_kernelINS0_14default_configENS1_35radix_sort_onesweep_config_selectorIsNS0_10empty_typeEEEZZNS1_29radix_sort_onesweep_iterationIS3_Lb1EPKsPsPS5_SB_mNS0_19identity_decomposerENS1_16block_id_wrapperIjLb1EEEEE10hipError_tT1_PNSt15iterator_traitsISG_E10value_typeET2_T3_PNSH_ISM_E10value_typeET4_T5_PSR_SS_PNS1_23onesweep_lookback_stateEbbT6_jjT7_P12ihipStream_tbENKUlT_T0_SG_SL_E_clIS9_SA_SB_SB_EEDaSZ_S10_SG_SL_EUlSZ_E_NS1_11comp_targetILNS1_3genE9ELNS1_11target_archE1100ELNS1_3gpuE3ELNS1_3repE0EEENS1_47radix_sort_onesweep_sort_config_static_selectorELNS0_4arch9wavefront6targetE0EEEvSG_.num_agpr, 0
	.set _ZN7rocprim17ROCPRIM_400000_NS6detail17trampoline_kernelINS0_14default_configENS1_35radix_sort_onesweep_config_selectorIsNS0_10empty_typeEEEZZNS1_29radix_sort_onesweep_iterationIS3_Lb1EPKsPsPS5_SB_mNS0_19identity_decomposerENS1_16block_id_wrapperIjLb1EEEEE10hipError_tT1_PNSt15iterator_traitsISG_E10value_typeET2_T3_PNSH_ISM_E10value_typeET4_T5_PSR_SS_PNS1_23onesweep_lookback_stateEbbT6_jjT7_P12ihipStream_tbENKUlT_T0_SG_SL_E_clIS9_SA_SB_SB_EEDaSZ_S10_SG_SL_EUlSZ_E_NS1_11comp_targetILNS1_3genE9ELNS1_11target_archE1100ELNS1_3gpuE3ELNS1_3repE0EEENS1_47radix_sort_onesweep_sort_config_static_selectorELNS0_4arch9wavefront6targetE0EEEvSG_.numbered_sgpr, 0
	.set _ZN7rocprim17ROCPRIM_400000_NS6detail17trampoline_kernelINS0_14default_configENS1_35radix_sort_onesweep_config_selectorIsNS0_10empty_typeEEEZZNS1_29radix_sort_onesweep_iterationIS3_Lb1EPKsPsPS5_SB_mNS0_19identity_decomposerENS1_16block_id_wrapperIjLb1EEEEE10hipError_tT1_PNSt15iterator_traitsISG_E10value_typeET2_T3_PNSH_ISM_E10value_typeET4_T5_PSR_SS_PNS1_23onesweep_lookback_stateEbbT6_jjT7_P12ihipStream_tbENKUlT_T0_SG_SL_E_clIS9_SA_SB_SB_EEDaSZ_S10_SG_SL_EUlSZ_E_NS1_11comp_targetILNS1_3genE9ELNS1_11target_archE1100ELNS1_3gpuE3ELNS1_3repE0EEENS1_47radix_sort_onesweep_sort_config_static_selectorELNS0_4arch9wavefront6targetE0EEEvSG_.num_named_barrier, 0
	.set _ZN7rocprim17ROCPRIM_400000_NS6detail17trampoline_kernelINS0_14default_configENS1_35radix_sort_onesweep_config_selectorIsNS0_10empty_typeEEEZZNS1_29radix_sort_onesweep_iterationIS3_Lb1EPKsPsPS5_SB_mNS0_19identity_decomposerENS1_16block_id_wrapperIjLb1EEEEE10hipError_tT1_PNSt15iterator_traitsISG_E10value_typeET2_T3_PNSH_ISM_E10value_typeET4_T5_PSR_SS_PNS1_23onesweep_lookback_stateEbbT6_jjT7_P12ihipStream_tbENKUlT_T0_SG_SL_E_clIS9_SA_SB_SB_EEDaSZ_S10_SG_SL_EUlSZ_E_NS1_11comp_targetILNS1_3genE9ELNS1_11target_archE1100ELNS1_3gpuE3ELNS1_3repE0EEENS1_47radix_sort_onesweep_sort_config_static_selectorELNS0_4arch9wavefront6targetE0EEEvSG_.private_seg_size, 0
	.set _ZN7rocprim17ROCPRIM_400000_NS6detail17trampoline_kernelINS0_14default_configENS1_35radix_sort_onesweep_config_selectorIsNS0_10empty_typeEEEZZNS1_29radix_sort_onesweep_iterationIS3_Lb1EPKsPsPS5_SB_mNS0_19identity_decomposerENS1_16block_id_wrapperIjLb1EEEEE10hipError_tT1_PNSt15iterator_traitsISG_E10value_typeET2_T3_PNSH_ISM_E10value_typeET4_T5_PSR_SS_PNS1_23onesweep_lookback_stateEbbT6_jjT7_P12ihipStream_tbENKUlT_T0_SG_SL_E_clIS9_SA_SB_SB_EEDaSZ_S10_SG_SL_EUlSZ_E_NS1_11comp_targetILNS1_3genE9ELNS1_11target_archE1100ELNS1_3gpuE3ELNS1_3repE0EEENS1_47radix_sort_onesweep_sort_config_static_selectorELNS0_4arch9wavefront6targetE0EEEvSG_.uses_vcc, 0
	.set _ZN7rocprim17ROCPRIM_400000_NS6detail17trampoline_kernelINS0_14default_configENS1_35radix_sort_onesweep_config_selectorIsNS0_10empty_typeEEEZZNS1_29radix_sort_onesweep_iterationIS3_Lb1EPKsPsPS5_SB_mNS0_19identity_decomposerENS1_16block_id_wrapperIjLb1EEEEE10hipError_tT1_PNSt15iterator_traitsISG_E10value_typeET2_T3_PNSH_ISM_E10value_typeET4_T5_PSR_SS_PNS1_23onesweep_lookback_stateEbbT6_jjT7_P12ihipStream_tbENKUlT_T0_SG_SL_E_clIS9_SA_SB_SB_EEDaSZ_S10_SG_SL_EUlSZ_E_NS1_11comp_targetILNS1_3genE9ELNS1_11target_archE1100ELNS1_3gpuE3ELNS1_3repE0EEENS1_47radix_sort_onesweep_sort_config_static_selectorELNS0_4arch9wavefront6targetE0EEEvSG_.uses_flat_scratch, 0
	.set _ZN7rocprim17ROCPRIM_400000_NS6detail17trampoline_kernelINS0_14default_configENS1_35radix_sort_onesweep_config_selectorIsNS0_10empty_typeEEEZZNS1_29radix_sort_onesweep_iterationIS3_Lb1EPKsPsPS5_SB_mNS0_19identity_decomposerENS1_16block_id_wrapperIjLb1EEEEE10hipError_tT1_PNSt15iterator_traitsISG_E10value_typeET2_T3_PNSH_ISM_E10value_typeET4_T5_PSR_SS_PNS1_23onesweep_lookback_stateEbbT6_jjT7_P12ihipStream_tbENKUlT_T0_SG_SL_E_clIS9_SA_SB_SB_EEDaSZ_S10_SG_SL_EUlSZ_E_NS1_11comp_targetILNS1_3genE9ELNS1_11target_archE1100ELNS1_3gpuE3ELNS1_3repE0EEENS1_47radix_sort_onesweep_sort_config_static_selectorELNS0_4arch9wavefront6targetE0EEEvSG_.has_dyn_sized_stack, 0
	.set _ZN7rocprim17ROCPRIM_400000_NS6detail17trampoline_kernelINS0_14default_configENS1_35radix_sort_onesweep_config_selectorIsNS0_10empty_typeEEEZZNS1_29radix_sort_onesweep_iterationIS3_Lb1EPKsPsPS5_SB_mNS0_19identity_decomposerENS1_16block_id_wrapperIjLb1EEEEE10hipError_tT1_PNSt15iterator_traitsISG_E10value_typeET2_T3_PNSH_ISM_E10value_typeET4_T5_PSR_SS_PNS1_23onesweep_lookback_stateEbbT6_jjT7_P12ihipStream_tbENKUlT_T0_SG_SL_E_clIS9_SA_SB_SB_EEDaSZ_S10_SG_SL_EUlSZ_E_NS1_11comp_targetILNS1_3genE9ELNS1_11target_archE1100ELNS1_3gpuE3ELNS1_3repE0EEENS1_47radix_sort_onesweep_sort_config_static_selectorELNS0_4arch9wavefront6targetE0EEEvSG_.has_recursion, 0
	.set _ZN7rocprim17ROCPRIM_400000_NS6detail17trampoline_kernelINS0_14default_configENS1_35radix_sort_onesweep_config_selectorIsNS0_10empty_typeEEEZZNS1_29radix_sort_onesweep_iterationIS3_Lb1EPKsPsPS5_SB_mNS0_19identity_decomposerENS1_16block_id_wrapperIjLb1EEEEE10hipError_tT1_PNSt15iterator_traitsISG_E10value_typeET2_T3_PNSH_ISM_E10value_typeET4_T5_PSR_SS_PNS1_23onesweep_lookback_stateEbbT6_jjT7_P12ihipStream_tbENKUlT_T0_SG_SL_E_clIS9_SA_SB_SB_EEDaSZ_S10_SG_SL_EUlSZ_E_NS1_11comp_targetILNS1_3genE9ELNS1_11target_archE1100ELNS1_3gpuE3ELNS1_3repE0EEENS1_47radix_sort_onesweep_sort_config_static_selectorELNS0_4arch9wavefront6targetE0EEEvSG_.has_indirect_call, 0
	.section	.AMDGPU.csdata,"",@progbits
; Kernel info:
; codeLenInByte = 0
; TotalNumSgprs: 0
; NumVgprs: 0
; ScratchSize: 0
; MemoryBound: 0
; FloatMode: 240
; IeeeMode: 1
; LDSByteSize: 0 bytes/workgroup (compile time only)
; SGPRBlocks: 0
; VGPRBlocks: 0
; NumSGPRsForWavesPerEU: 1
; NumVGPRsForWavesPerEU: 1
; NamedBarCnt: 0
; Occupancy: 16
; WaveLimiterHint : 0
; COMPUTE_PGM_RSRC2:SCRATCH_EN: 0
; COMPUTE_PGM_RSRC2:USER_SGPR: 2
; COMPUTE_PGM_RSRC2:TRAP_HANDLER: 0
; COMPUTE_PGM_RSRC2:TGID_X_EN: 1
; COMPUTE_PGM_RSRC2:TGID_Y_EN: 0
; COMPUTE_PGM_RSRC2:TGID_Z_EN: 0
; COMPUTE_PGM_RSRC2:TIDIG_COMP_CNT: 0
	.section	.text._ZN7rocprim17ROCPRIM_400000_NS6detail17trampoline_kernelINS0_14default_configENS1_35radix_sort_onesweep_config_selectorIsNS0_10empty_typeEEEZZNS1_29radix_sort_onesweep_iterationIS3_Lb1EPKsPsPS5_SB_mNS0_19identity_decomposerENS1_16block_id_wrapperIjLb1EEEEE10hipError_tT1_PNSt15iterator_traitsISG_E10value_typeET2_T3_PNSH_ISM_E10value_typeET4_T5_PSR_SS_PNS1_23onesweep_lookback_stateEbbT6_jjT7_P12ihipStream_tbENKUlT_T0_SG_SL_E_clIS9_SA_SB_SB_EEDaSZ_S10_SG_SL_EUlSZ_E_NS1_11comp_targetILNS1_3genE8ELNS1_11target_archE1030ELNS1_3gpuE2ELNS1_3repE0EEENS1_47radix_sort_onesweep_sort_config_static_selectorELNS0_4arch9wavefront6targetE0EEEvSG_,"axG",@progbits,_ZN7rocprim17ROCPRIM_400000_NS6detail17trampoline_kernelINS0_14default_configENS1_35radix_sort_onesweep_config_selectorIsNS0_10empty_typeEEEZZNS1_29radix_sort_onesweep_iterationIS3_Lb1EPKsPsPS5_SB_mNS0_19identity_decomposerENS1_16block_id_wrapperIjLb1EEEEE10hipError_tT1_PNSt15iterator_traitsISG_E10value_typeET2_T3_PNSH_ISM_E10value_typeET4_T5_PSR_SS_PNS1_23onesweep_lookback_stateEbbT6_jjT7_P12ihipStream_tbENKUlT_T0_SG_SL_E_clIS9_SA_SB_SB_EEDaSZ_S10_SG_SL_EUlSZ_E_NS1_11comp_targetILNS1_3genE8ELNS1_11target_archE1030ELNS1_3gpuE2ELNS1_3repE0EEENS1_47radix_sort_onesweep_sort_config_static_selectorELNS0_4arch9wavefront6targetE0EEEvSG_,comdat
	.protected	_ZN7rocprim17ROCPRIM_400000_NS6detail17trampoline_kernelINS0_14default_configENS1_35radix_sort_onesweep_config_selectorIsNS0_10empty_typeEEEZZNS1_29radix_sort_onesweep_iterationIS3_Lb1EPKsPsPS5_SB_mNS0_19identity_decomposerENS1_16block_id_wrapperIjLb1EEEEE10hipError_tT1_PNSt15iterator_traitsISG_E10value_typeET2_T3_PNSH_ISM_E10value_typeET4_T5_PSR_SS_PNS1_23onesweep_lookback_stateEbbT6_jjT7_P12ihipStream_tbENKUlT_T0_SG_SL_E_clIS9_SA_SB_SB_EEDaSZ_S10_SG_SL_EUlSZ_E_NS1_11comp_targetILNS1_3genE8ELNS1_11target_archE1030ELNS1_3gpuE2ELNS1_3repE0EEENS1_47radix_sort_onesweep_sort_config_static_selectorELNS0_4arch9wavefront6targetE0EEEvSG_ ; -- Begin function _ZN7rocprim17ROCPRIM_400000_NS6detail17trampoline_kernelINS0_14default_configENS1_35radix_sort_onesweep_config_selectorIsNS0_10empty_typeEEEZZNS1_29radix_sort_onesweep_iterationIS3_Lb1EPKsPsPS5_SB_mNS0_19identity_decomposerENS1_16block_id_wrapperIjLb1EEEEE10hipError_tT1_PNSt15iterator_traitsISG_E10value_typeET2_T3_PNSH_ISM_E10value_typeET4_T5_PSR_SS_PNS1_23onesweep_lookback_stateEbbT6_jjT7_P12ihipStream_tbENKUlT_T0_SG_SL_E_clIS9_SA_SB_SB_EEDaSZ_S10_SG_SL_EUlSZ_E_NS1_11comp_targetILNS1_3genE8ELNS1_11target_archE1030ELNS1_3gpuE2ELNS1_3repE0EEENS1_47radix_sort_onesweep_sort_config_static_selectorELNS0_4arch9wavefront6targetE0EEEvSG_
	.globl	_ZN7rocprim17ROCPRIM_400000_NS6detail17trampoline_kernelINS0_14default_configENS1_35radix_sort_onesweep_config_selectorIsNS0_10empty_typeEEEZZNS1_29radix_sort_onesweep_iterationIS3_Lb1EPKsPsPS5_SB_mNS0_19identity_decomposerENS1_16block_id_wrapperIjLb1EEEEE10hipError_tT1_PNSt15iterator_traitsISG_E10value_typeET2_T3_PNSH_ISM_E10value_typeET4_T5_PSR_SS_PNS1_23onesweep_lookback_stateEbbT6_jjT7_P12ihipStream_tbENKUlT_T0_SG_SL_E_clIS9_SA_SB_SB_EEDaSZ_S10_SG_SL_EUlSZ_E_NS1_11comp_targetILNS1_3genE8ELNS1_11target_archE1030ELNS1_3gpuE2ELNS1_3repE0EEENS1_47radix_sort_onesweep_sort_config_static_selectorELNS0_4arch9wavefront6targetE0EEEvSG_
	.p2align	8
	.type	_ZN7rocprim17ROCPRIM_400000_NS6detail17trampoline_kernelINS0_14default_configENS1_35radix_sort_onesweep_config_selectorIsNS0_10empty_typeEEEZZNS1_29radix_sort_onesweep_iterationIS3_Lb1EPKsPsPS5_SB_mNS0_19identity_decomposerENS1_16block_id_wrapperIjLb1EEEEE10hipError_tT1_PNSt15iterator_traitsISG_E10value_typeET2_T3_PNSH_ISM_E10value_typeET4_T5_PSR_SS_PNS1_23onesweep_lookback_stateEbbT6_jjT7_P12ihipStream_tbENKUlT_T0_SG_SL_E_clIS9_SA_SB_SB_EEDaSZ_S10_SG_SL_EUlSZ_E_NS1_11comp_targetILNS1_3genE8ELNS1_11target_archE1030ELNS1_3gpuE2ELNS1_3repE0EEENS1_47radix_sort_onesweep_sort_config_static_selectorELNS0_4arch9wavefront6targetE0EEEvSG_,@function
_ZN7rocprim17ROCPRIM_400000_NS6detail17trampoline_kernelINS0_14default_configENS1_35radix_sort_onesweep_config_selectorIsNS0_10empty_typeEEEZZNS1_29radix_sort_onesweep_iterationIS3_Lb1EPKsPsPS5_SB_mNS0_19identity_decomposerENS1_16block_id_wrapperIjLb1EEEEE10hipError_tT1_PNSt15iterator_traitsISG_E10value_typeET2_T3_PNSH_ISM_E10value_typeET4_T5_PSR_SS_PNS1_23onesweep_lookback_stateEbbT6_jjT7_P12ihipStream_tbENKUlT_T0_SG_SL_E_clIS9_SA_SB_SB_EEDaSZ_S10_SG_SL_EUlSZ_E_NS1_11comp_targetILNS1_3genE8ELNS1_11target_archE1030ELNS1_3gpuE2ELNS1_3repE0EEENS1_47radix_sort_onesweep_sort_config_static_selectorELNS0_4arch9wavefront6targetE0EEEvSG_: ; @_ZN7rocprim17ROCPRIM_400000_NS6detail17trampoline_kernelINS0_14default_configENS1_35radix_sort_onesweep_config_selectorIsNS0_10empty_typeEEEZZNS1_29radix_sort_onesweep_iterationIS3_Lb1EPKsPsPS5_SB_mNS0_19identity_decomposerENS1_16block_id_wrapperIjLb1EEEEE10hipError_tT1_PNSt15iterator_traitsISG_E10value_typeET2_T3_PNSH_ISM_E10value_typeET4_T5_PSR_SS_PNS1_23onesweep_lookback_stateEbbT6_jjT7_P12ihipStream_tbENKUlT_T0_SG_SL_E_clIS9_SA_SB_SB_EEDaSZ_S10_SG_SL_EUlSZ_E_NS1_11comp_targetILNS1_3genE8ELNS1_11target_archE1030ELNS1_3gpuE2ELNS1_3repE0EEENS1_47radix_sort_onesweep_sort_config_static_selectorELNS0_4arch9wavefront6targetE0EEEvSG_
; %bb.0:
	.section	.rodata,"a",@progbits
	.p2align	6, 0x0
	.amdhsa_kernel _ZN7rocprim17ROCPRIM_400000_NS6detail17trampoline_kernelINS0_14default_configENS1_35radix_sort_onesweep_config_selectorIsNS0_10empty_typeEEEZZNS1_29radix_sort_onesweep_iterationIS3_Lb1EPKsPsPS5_SB_mNS0_19identity_decomposerENS1_16block_id_wrapperIjLb1EEEEE10hipError_tT1_PNSt15iterator_traitsISG_E10value_typeET2_T3_PNSH_ISM_E10value_typeET4_T5_PSR_SS_PNS1_23onesweep_lookback_stateEbbT6_jjT7_P12ihipStream_tbENKUlT_T0_SG_SL_E_clIS9_SA_SB_SB_EEDaSZ_S10_SG_SL_EUlSZ_E_NS1_11comp_targetILNS1_3genE8ELNS1_11target_archE1030ELNS1_3gpuE2ELNS1_3repE0EEENS1_47radix_sort_onesweep_sort_config_static_selectorELNS0_4arch9wavefront6targetE0EEEvSG_
		.amdhsa_group_segment_fixed_size 0
		.amdhsa_private_segment_fixed_size 0
		.amdhsa_kernarg_size 88
		.amdhsa_user_sgpr_count 2
		.amdhsa_user_sgpr_dispatch_ptr 0
		.amdhsa_user_sgpr_queue_ptr 0
		.amdhsa_user_sgpr_kernarg_segment_ptr 1
		.amdhsa_user_sgpr_dispatch_id 0
		.amdhsa_user_sgpr_kernarg_preload_length 0
		.amdhsa_user_sgpr_kernarg_preload_offset 0
		.amdhsa_user_sgpr_private_segment_size 0
		.amdhsa_wavefront_size32 1
		.amdhsa_uses_dynamic_stack 0
		.amdhsa_enable_private_segment 0
		.amdhsa_system_sgpr_workgroup_id_x 1
		.amdhsa_system_sgpr_workgroup_id_y 0
		.amdhsa_system_sgpr_workgroup_id_z 0
		.amdhsa_system_sgpr_workgroup_info 0
		.amdhsa_system_vgpr_workitem_id 0
		.amdhsa_next_free_vgpr 1
		.amdhsa_next_free_sgpr 1
		.amdhsa_named_barrier_count 0
		.amdhsa_reserve_vcc 0
		.amdhsa_float_round_mode_32 0
		.amdhsa_float_round_mode_16_64 0
		.amdhsa_float_denorm_mode_32 3
		.amdhsa_float_denorm_mode_16_64 3
		.amdhsa_fp16_overflow 0
		.amdhsa_memory_ordered 1
		.amdhsa_forward_progress 1
		.amdhsa_inst_pref_size 0
		.amdhsa_round_robin_scheduling 0
		.amdhsa_exception_fp_ieee_invalid_op 0
		.amdhsa_exception_fp_denorm_src 0
		.amdhsa_exception_fp_ieee_div_zero 0
		.amdhsa_exception_fp_ieee_overflow 0
		.amdhsa_exception_fp_ieee_underflow 0
		.amdhsa_exception_fp_ieee_inexact 0
		.amdhsa_exception_int_div_zero 0
	.end_amdhsa_kernel
	.section	.text._ZN7rocprim17ROCPRIM_400000_NS6detail17trampoline_kernelINS0_14default_configENS1_35radix_sort_onesweep_config_selectorIsNS0_10empty_typeEEEZZNS1_29radix_sort_onesweep_iterationIS3_Lb1EPKsPsPS5_SB_mNS0_19identity_decomposerENS1_16block_id_wrapperIjLb1EEEEE10hipError_tT1_PNSt15iterator_traitsISG_E10value_typeET2_T3_PNSH_ISM_E10value_typeET4_T5_PSR_SS_PNS1_23onesweep_lookback_stateEbbT6_jjT7_P12ihipStream_tbENKUlT_T0_SG_SL_E_clIS9_SA_SB_SB_EEDaSZ_S10_SG_SL_EUlSZ_E_NS1_11comp_targetILNS1_3genE8ELNS1_11target_archE1030ELNS1_3gpuE2ELNS1_3repE0EEENS1_47radix_sort_onesweep_sort_config_static_selectorELNS0_4arch9wavefront6targetE0EEEvSG_,"axG",@progbits,_ZN7rocprim17ROCPRIM_400000_NS6detail17trampoline_kernelINS0_14default_configENS1_35radix_sort_onesweep_config_selectorIsNS0_10empty_typeEEEZZNS1_29radix_sort_onesweep_iterationIS3_Lb1EPKsPsPS5_SB_mNS0_19identity_decomposerENS1_16block_id_wrapperIjLb1EEEEE10hipError_tT1_PNSt15iterator_traitsISG_E10value_typeET2_T3_PNSH_ISM_E10value_typeET4_T5_PSR_SS_PNS1_23onesweep_lookback_stateEbbT6_jjT7_P12ihipStream_tbENKUlT_T0_SG_SL_E_clIS9_SA_SB_SB_EEDaSZ_S10_SG_SL_EUlSZ_E_NS1_11comp_targetILNS1_3genE8ELNS1_11target_archE1030ELNS1_3gpuE2ELNS1_3repE0EEENS1_47radix_sort_onesweep_sort_config_static_selectorELNS0_4arch9wavefront6targetE0EEEvSG_,comdat
.Lfunc_end610:
	.size	_ZN7rocprim17ROCPRIM_400000_NS6detail17trampoline_kernelINS0_14default_configENS1_35radix_sort_onesweep_config_selectorIsNS0_10empty_typeEEEZZNS1_29radix_sort_onesweep_iterationIS3_Lb1EPKsPsPS5_SB_mNS0_19identity_decomposerENS1_16block_id_wrapperIjLb1EEEEE10hipError_tT1_PNSt15iterator_traitsISG_E10value_typeET2_T3_PNSH_ISM_E10value_typeET4_T5_PSR_SS_PNS1_23onesweep_lookback_stateEbbT6_jjT7_P12ihipStream_tbENKUlT_T0_SG_SL_E_clIS9_SA_SB_SB_EEDaSZ_S10_SG_SL_EUlSZ_E_NS1_11comp_targetILNS1_3genE8ELNS1_11target_archE1030ELNS1_3gpuE2ELNS1_3repE0EEENS1_47radix_sort_onesweep_sort_config_static_selectorELNS0_4arch9wavefront6targetE0EEEvSG_, .Lfunc_end610-_ZN7rocprim17ROCPRIM_400000_NS6detail17trampoline_kernelINS0_14default_configENS1_35radix_sort_onesweep_config_selectorIsNS0_10empty_typeEEEZZNS1_29radix_sort_onesweep_iterationIS3_Lb1EPKsPsPS5_SB_mNS0_19identity_decomposerENS1_16block_id_wrapperIjLb1EEEEE10hipError_tT1_PNSt15iterator_traitsISG_E10value_typeET2_T3_PNSH_ISM_E10value_typeET4_T5_PSR_SS_PNS1_23onesweep_lookback_stateEbbT6_jjT7_P12ihipStream_tbENKUlT_T0_SG_SL_E_clIS9_SA_SB_SB_EEDaSZ_S10_SG_SL_EUlSZ_E_NS1_11comp_targetILNS1_3genE8ELNS1_11target_archE1030ELNS1_3gpuE2ELNS1_3repE0EEENS1_47radix_sort_onesweep_sort_config_static_selectorELNS0_4arch9wavefront6targetE0EEEvSG_
                                        ; -- End function
	.set _ZN7rocprim17ROCPRIM_400000_NS6detail17trampoline_kernelINS0_14default_configENS1_35radix_sort_onesweep_config_selectorIsNS0_10empty_typeEEEZZNS1_29radix_sort_onesweep_iterationIS3_Lb1EPKsPsPS5_SB_mNS0_19identity_decomposerENS1_16block_id_wrapperIjLb1EEEEE10hipError_tT1_PNSt15iterator_traitsISG_E10value_typeET2_T3_PNSH_ISM_E10value_typeET4_T5_PSR_SS_PNS1_23onesweep_lookback_stateEbbT6_jjT7_P12ihipStream_tbENKUlT_T0_SG_SL_E_clIS9_SA_SB_SB_EEDaSZ_S10_SG_SL_EUlSZ_E_NS1_11comp_targetILNS1_3genE8ELNS1_11target_archE1030ELNS1_3gpuE2ELNS1_3repE0EEENS1_47radix_sort_onesweep_sort_config_static_selectorELNS0_4arch9wavefront6targetE0EEEvSG_.num_vgpr, 0
	.set _ZN7rocprim17ROCPRIM_400000_NS6detail17trampoline_kernelINS0_14default_configENS1_35radix_sort_onesweep_config_selectorIsNS0_10empty_typeEEEZZNS1_29radix_sort_onesweep_iterationIS3_Lb1EPKsPsPS5_SB_mNS0_19identity_decomposerENS1_16block_id_wrapperIjLb1EEEEE10hipError_tT1_PNSt15iterator_traitsISG_E10value_typeET2_T3_PNSH_ISM_E10value_typeET4_T5_PSR_SS_PNS1_23onesweep_lookback_stateEbbT6_jjT7_P12ihipStream_tbENKUlT_T0_SG_SL_E_clIS9_SA_SB_SB_EEDaSZ_S10_SG_SL_EUlSZ_E_NS1_11comp_targetILNS1_3genE8ELNS1_11target_archE1030ELNS1_3gpuE2ELNS1_3repE0EEENS1_47radix_sort_onesweep_sort_config_static_selectorELNS0_4arch9wavefront6targetE0EEEvSG_.num_agpr, 0
	.set _ZN7rocprim17ROCPRIM_400000_NS6detail17trampoline_kernelINS0_14default_configENS1_35radix_sort_onesweep_config_selectorIsNS0_10empty_typeEEEZZNS1_29radix_sort_onesweep_iterationIS3_Lb1EPKsPsPS5_SB_mNS0_19identity_decomposerENS1_16block_id_wrapperIjLb1EEEEE10hipError_tT1_PNSt15iterator_traitsISG_E10value_typeET2_T3_PNSH_ISM_E10value_typeET4_T5_PSR_SS_PNS1_23onesweep_lookback_stateEbbT6_jjT7_P12ihipStream_tbENKUlT_T0_SG_SL_E_clIS9_SA_SB_SB_EEDaSZ_S10_SG_SL_EUlSZ_E_NS1_11comp_targetILNS1_3genE8ELNS1_11target_archE1030ELNS1_3gpuE2ELNS1_3repE0EEENS1_47radix_sort_onesweep_sort_config_static_selectorELNS0_4arch9wavefront6targetE0EEEvSG_.numbered_sgpr, 0
	.set _ZN7rocprim17ROCPRIM_400000_NS6detail17trampoline_kernelINS0_14default_configENS1_35radix_sort_onesweep_config_selectorIsNS0_10empty_typeEEEZZNS1_29radix_sort_onesweep_iterationIS3_Lb1EPKsPsPS5_SB_mNS0_19identity_decomposerENS1_16block_id_wrapperIjLb1EEEEE10hipError_tT1_PNSt15iterator_traitsISG_E10value_typeET2_T3_PNSH_ISM_E10value_typeET4_T5_PSR_SS_PNS1_23onesweep_lookback_stateEbbT6_jjT7_P12ihipStream_tbENKUlT_T0_SG_SL_E_clIS9_SA_SB_SB_EEDaSZ_S10_SG_SL_EUlSZ_E_NS1_11comp_targetILNS1_3genE8ELNS1_11target_archE1030ELNS1_3gpuE2ELNS1_3repE0EEENS1_47radix_sort_onesweep_sort_config_static_selectorELNS0_4arch9wavefront6targetE0EEEvSG_.num_named_barrier, 0
	.set _ZN7rocprim17ROCPRIM_400000_NS6detail17trampoline_kernelINS0_14default_configENS1_35radix_sort_onesweep_config_selectorIsNS0_10empty_typeEEEZZNS1_29radix_sort_onesweep_iterationIS3_Lb1EPKsPsPS5_SB_mNS0_19identity_decomposerENS1_16block_id_wrapperIjLb1EEEEE10hipError_tT1_PNSt15iterator_traitsISG_E10value_typeET2_T3_PNSH_ISM_E10value_typeET4_T5_PSR_SS_PNS1_23onesweep_lookback_stateEbbT6_jjT7_P12ihipStream_tbENKUlT_T0_SG_SL_E_clIS9_SA_SB_SB_EEDaSZ_S10_SG_SL_EUlSZ_E_NS1_11comp_targetILNS1_3genE8ELNS1_11target_archE1030ELNS1_3gpuE2ELNS1_3repE0EEENS1_47radix_sort_onesweep_sort_config_static_selectorELNS0_4arch9wavefront6targetE0EEEvSG_.private_seg_size, 0
	.set _ZN7rocprim17ROCPRIM_400000_NS6detail17trampoline_kernelINS0_14default_configENS1_35radix_sort_onesweep_config_selectorIsNS0_10empty_typeEEEZZNS1_29radix_sort_onesweep_iterationIS3_Lb1EPKsPsPS5_SB_mNS0_19identity_decomposerENS1_16block_id_wrapperIjLb1EEEEE10hipError_tT1_PNSt15iterator_traitsISG_E10value_typeET2_T3_PNSH_ISM_E10value_typeET4_T5_PSR_SS_PNS1_23onesweep_lookback_stateEbbT6_jjT7_P12ihipStream_tbENKUlT_T0_SG_SL_E_clIS9_SA_SB_SB_EEDaSZ_S10_SG_SL_EUlSZ_E_NS1_11comp_targetILNS1_3genE8ELNS1_11target_archE1030ELNS1_3gpuE2ELNS1_3repE0EEENS1_47radix_sort_onesweep_sort_config_static_selectorELNS0_4arch9wavefront6targetE0EEEvSG_.uses_vcc, 0
	.set _ZN7rocprim17ROCPRIM_400000_NS6detail17trampoline_kernelINS0_14default_configENS1_35radix_sort_onesweep_config_selectorIsNS0_10empty_typeEEEZZNS1_29radix_sort_onesweep_iterationIS3_Lb1EPKsPsPS5_SB_mNS0_19identity_decomposerENS1_16block_id_wrapperIjLb1EEEEE10hipError_tT1_PNSt15iterator_traitsISG_E10value_typeET2_T3_PNSH_ISM_E10value_typeET4_T5_PSR_SS_PNS1_23onesweep_lookback_stateEbbT6_jjT7_P12ihipStream_tbENKUlT_T0_SG_SL_E_clIS9_SA_SB_SB_EEDaSZ_S10_SG_SL_EUlSZ_E_NS1_11comp_targetILNS1_3genE8ELNS1_11target_archE1030ELNS1_3gpuE2ELNS1_3repE0EEENS1_47radix_sort_onesweep_sort_config_static_selectorELNS0_4arch9wavefront6targetE0EEEvSG_.uses_flat_scratch, 0
	.set _ZN7rocprim17ROCPRIM_400000_NS6detail17trampoline_kernelINS0_14default_configENS1_35radix_sort_onesweep_config_selectorIsNS0_10empty_typeEEEZZNS1_29radix_sort_onesweep_iterationIS3_Lb1EPKsPsPS5_SB_mNS0_19identity_decomposerENS1_16block_id_wrapperIjLb1EEEEE10hipError_tT1_PNSt15iterator_traitsISG_E10value_typeET2_T3_PNSH_ISM_E10value_typeET4_T5_PSR_SS_PNS1_23onesweep_lookback_stateEbbT6_jjT7_P12ihipStream_tbENKUlT_T0_SG_SL_E_clIS9_SA_SB_SB_EEDaSZ_S10_SG_SL_EUlSZ_E_NS1_11comp_targetILNS1_3genE8ELNS1_11target_archE1030ELNS1_3gpuE2ELNS1_3repE0EEENS1_47radix_sort_onesweep_sort_config_static_selectorELNS0_4arch9wavefront6targetE0EEEvSG_.has_dyn_sized_stack, 0
	.set _ZN7rocprim17ROCPRIM_400000_NS6detail17trampoline_kernelINS0_14default_configENS1_35radix_sort_onesweep_config_selectorIsNS0_10empty_typeEEEZZNS1_29radix_sort_onesweep_iterationIS3_Lb1EPKsPsPS5_SB_mNS0_19identity_decomposerENS1_16block_id_wrapperIjLb1EEEEE10hipError_tT1_PNSt15iterator_traitsISG_E10value_typeET2_T3_PNSH_ISM_E10value_typeET4_T5_PSR_SS_PNS1_23onesweep_lookback_stateEbbT6_jjT7_P12ihipStream_tbENKUlT_T0_SG_SL_E_clIS9_SA_SB_SB_EEDaSZ_S10_SG_SL_EUlSZ_E_NS1_11comp_targetILNS1_3genE8ELNS1_11target_archE1030ELNS1_3gpuE2ELNS1_3repE0EEENS1_47radix_sort_onesweep_sort_config_static_selectorELNS0_4arch9wavefront6targetE0EEEvSG_.has_recursion, 0
	.set _ZN7rocprim17ROCPRIM_400000_NS6detail17trampoline_kernelINS0_14default_configENS1_35radix_sort_onesweep_config_selectorIsNS0_10empty_typeEEEZZNS1_29radix_sort_onesweep_iterationIS3_Lb1EPKsPsPS5_SB_mNS0_19identity_decomposerENS1_16block_id_wrapperIjLb1EEEEE10hipError_tT1_PNSt15iterator_traitsISG_E10value_typeET2_T3_PNSH_ISM_E10value_typeET4_T5_PSR_SS_PNS1_23onesweep_lookback_stateEbbT6_jjT7_P12ihipStream_tbENKUlT_T0_SG_SL_E_clIS9_SA_SB_SB_EEDaSZ_S10_SG_SL_EUlSZ_E_NS1_11comp_targetILNS1_3genE8ELNS1_11target_archE1030ELNS1_3gpuE2ELNS1_3repE0EEENS1_47radix_sort_onesweep_sort_config_static_selectorELNS0_4arch9wavefront6targetE0EEEvSG_.has_indirect_call, 0
	.section	.AMDGPU.csdata,"",@progbits
; Kernel info:
; codeLenInByte = 0
; TotalNumSgprs: 0
; NumVgprs: 0
; ScratchSize: 0
; MemoryBound: 0
; FloatMode: 240
; IeeeMode: 1
; LDSByteSize: 0 bytes/workgroup (compile time only)
; SGPRBlocks: 0
; VGPRBlocks: 0
; NumSGPRsForWavesPerEU: 1
; NumVGPRsForWavesPerEU: 1
; NamedBarCnt: 0
; Occupancy: 16
; WaveLimiterHint : 0
; COMPUTE_PGM_RSRC2:SCRATCH_EN: 0
; COMPUTE_PGM_RSRC2:USER_SGPR: 2
; COMPUTE_PGM_RSRC2:TRAP_HANDLER: 0
; COMPUTE_PGM_RSRC2:TGID_X_EN: 1
; COMPUTE_PGM_RSRC2:TGID_Y_EN: 0
; COMPUTE_PGM_RSRC2:TGID_Z_EN: 0
; COMPUTE_PGM_RSRC2:TIDIG_COMP_CNT: 0
	.section	.text._ZN7rocprim17ROCPRIM_400000_NS6detail17trampoline_kernelINS0_14default_configENS1_35radix_sort_onesweep_config_selectorIsNS0_10empty_typeEEEZZNS1_29radix_sort_onesweep_iterationIS3_Lb1EPKsPsPS5_SB_mNS0_19identity_decomposerENS1_16block_id_wrapperIjLb1EEEEE10hipError_tT1_PNSt15iterator_traitsISG_E10value_typeET2_T3_PNSH_ISM_E10value_typeET4_T5_PSR_SS_PNS1_23onesweep_lookback_stateEbbT6_jjT7_P12ihipStream_tbENKUlT_T0_SG_SL_E_clISA_SA_SB_SB_EEDaSZ_S10_SG_SL_EUlSZ_E_NS1_11comp_targetILNS1_3genE0ELNS1_11target_archE4294967295ELNS1_3gpuE0ELNS1_3repE0EEENS1_47radix_sort_onesweep_sort_config_static_selectorELNS0_4arch9wavefront6targetE0EEEvSG_,"axG",@progbits,_ZN7rocprim17ROCPRIM_400000_NS6detail17trampoline_kernelINS0_14default_configENS1_35radix_sort_onesweep_config_selectorIsNS0_10empty_typeEEEZZNS1_29radix_sort_onesweep_iterationIS3_Lb1EPKsPsPS5_SB_mNS0_19identity_decomposerENS1_16block_id_wrapperIjLb1EEEEE10hipError_tT1_PNSt15iterator_traitsISG_E10value_typeET2_T3_PNSH_ISM_E10value_typeET4_T5_PSR_SS_PNS1_23onesweep_lookback_stateEbbT6_jjT7_P12ihipStream_tbENKUlT_T0_SG_SL_E_clISA_SA_SB_SB_EEDaSZ_S10_SG_SL_EUlSZ_E_NS1_11comp_targetILNS1_3genE0ELNS1_11target_archE4294967295ELNS1_3gpuE0ELNS1_3repE0EEENS1_47radix_sort_onesweep_sort_config_static_selectorELNS0_4arch9wavefront6targetE0EEEvSG_,comdat
	.protected	_ZN7rocprim17ROCPRIM_400000_NS6detail17trampoline_kernelINS0_14default_configENS1_35radix_sort_onesweep_config_selectorIsNS0_10empty_typeEEEZZNS1_29radix_sort_onesweep_iterationIS3_Lb1EPKsPsPS5_SB_mNS0_19identity_decomposerENS1_16block_id_wrapperIjLb1EEEEE10hipError_tT1_PNSt15iterator_traitsISG_E10value_typeET2_T3_PNSH_ISM_E10value_typeET4_T5_PSR_SS_PNS1_23onesweep_lookback_stateEbbT6_jjT7_P12ihipStream_tbENKUlT_T0_SG_SL_E_clISA_SA_SB_SB_EEDaSZ_S10_SG_SL_EUlSZ_E_NS1_11comp_targetILNS1_3genE0ELNS1_11target_archE4294967295ELNS1_3gpuE0ELNS1_3repE0EEENS1_47radix_sort_onesweep_sort_config_static_selectorELNS0_4arch9wavefront6targetE0EEEvSG_ ; -- Begin function _ZN7rocprim17ROCPRIM_400000_NS6detail17trampoline_kernelINS0_14default_configENS1_35radix_sort_onesweep_config_selectorIsNS0_10empty_typeEEEZZNS1_29radix_sort_onesweep_iterationIS3_Lb1EPKsPsPS5_SB_mNS0_19identity_decomposerENS1_16block_id_wrapperIjLb1EEEEE10hipError_tT1_PNSt15iterator_traitsISG_E10value_typeET2_T3_PNSH_ISM_E10value_typeET4_T5_PSR_SS_PNS1_23onesweep_lookback_stateEbbT6_jjT7_P12ihipStream_tbENKUlT_T0_SG_SL_E_clISA_SA_SB_SB_EEDaSZ_S10_SG_SL_EUlSZ_E_NS1_11comp_targetILNS1_3genE0ELNS1_11target_archE4294967295ELNS1_3gpuE0ELNS1_3repE0EEENS1_47radix_sort_onesweep_sort_config_static_selectorELNS0_4arch9wavefront6targetE0EEEvSG_
	.globl	_ZN7rocprim17ROCPRIM_400000_NS6detail17trampoline_kernelINS0_14default_configENS1_35radix_sort_onesweep_config_selectorIsNS0_10empty_typeEEEZZNS1_29radix_sort_onesweep_iterationIS3_Lb1EPKsPsPS5_SB_mNS0_19identity_decomposerENS1_16block_id_wrapperIjLb1EEEEE10hipError_tT1_PNSt15iterator_traitsISG_E10value_typeET2_T3_PNSH_ISM_E10value_typeET4_T5_PSR_SS_PNS1_23onesweep_lookback_stateEbbT6_jjT7_P12ihipStream_tbENKUlT_T0_SG_SL_E_clISA_SA_SB_SB_EEDaSZ_S10_SG_SL_EUlSZ_E_NS1_11comp_targetILNS1_3genE0ELNS1_11target_archE4294967295ELNS1_3gpuE0ELNS1_3repE0EEENS1_47radix_sort_onesweep_sort_config_static_selectorELNS0_4arch9wavefront6targetE0EEEvSG_
	.p2align	8
	.type	_ZN7rocprim17ROCPRIM_400000_NS6detail17trampoline_kernelINS0_14default_configENS1_35radix_sort_onesweep_config_selectorIsNS0_10empty_typeEEEZZNS1_29radix_sort_onesweep_iterationIS3_Lb1EPKsPsPS5_SB_mNS0_19identity_decomposerENS1_16block_id_wrapperIjLb1EEEEE10hipError_tT1_PNSt15iterator_traitsISG_E10value_typeET2_T3_PNSH_ISM_E10value_typeET4_T5_PSR_SS_PNS1_23onesweep_lookback_stateEbbT6_jjT7_P12ihipStream_tbENKUlT_T0_SG_SL_E_clISA_SA_SB_SB_EEDaSZ_S10_SG_SL_EUlSZ_E_NS1_11comp_targetILNS1_3genE0ELNS1_11target_archE4294967295ELNS1_3gpuE0ELNS1_3repE0EEENS1_47radix_sort_onesweep_sort_config_static_selectorELNS0_4arch9wavefront6targetE0EEEvSG_,@function
_ZN7rocprim17ROCPRIM_400000_NS6detail17trampoline_kernelINS0_14default_configENS1_35radix_sort_onesweep_config_selectorIsNS0_10empty_typeEEEZZNS1_29radix_sort_onesweep_iterationIS3_Lb1EPKsPsPS5_SB_mNS0_19identity_decomposerENS1_16block_id_wrapperIjLb1EEEEE10hipError_tT1_PNSt15iterator_traitsISG_E10value_typeET2_T3_PNSH_ISM_E10value_typeET4_T5_PSR_SS_PNS1_23onesweep_lookback_stateEbbT6_jjT7_P12ihipStream_tbENKUlT_T0_SG_SL_E_clISA_SA_SB_SB_EEDaSZ_S10_SG_SL_EUlSZ_E_NS1_11comp_targetILNS1_3genE0ELNS1_11target_archE4294967295ELNS1_3gpuE0ELNS1_3repE0EEENS1_47radix_sort_onesweep_sort_config_static_selectorELNS0_4arch9wavefront6targetE0EEEvSG_: ; @_ZN7rocprim17ROCPRIM_400000_NS6detail17trampoline_kernelINS0_14default_configENS1_35radix_sort_onesweep_config_selectorIsNS0_10empty_typeEEEZZNS1_29radix_sort_onesweep_iterationIS3_Lb1EPKsPsPS5_SB_mNS0_19identity_decomposerENS1_16block_id_wrapperIjLb1EEEEE10hipError_tT1_PNSt15iterator_traitsISG_E10value_typeET2_T3_PNSH_ISM_E10value_typeET4_T5_PSR_SS_PNS1_23onesweep_lookback_stateEbbT6_jjT7_P12ihipStream_tbENKUlT_T0_SG_SL_E_clISA_SA_SB_SB_EEDaSZ_S10_SG_SL_EUlSZ_E_NS1_11comp_targetILNS1_3genE0ELNS1_11target_archE4294967295ELNS1_3gpuE0ELNS1_3repE0EEENS1_47radix_sort_onesweep_sort_config_static_selectorELNS0_4arch9wavefront6targetE0EEEvSG_
; %bb.0:
	s_clause 0x1
	s_load_b128 s[12:15], s[0:1], 0x28
	s_load_b64 s[10:11], s[0:1], 0x38
	v_and_b32_e32 v14, 0x3ff, v0
	s_delay_alu instid0(VALU_DEP_1)
	v_cmp_eq_u32_e64 s2, 0, v14
	s_and_saveexec_b32 s3, s2
	s_cbranch_execz .LBB611_4
; %bb.1:
	s_mov_b32 s5, exec_lo
	s_mov_b32 s4, exec_lo
	v_mbcnt_lo_u32_b32 v1, s5, 0
                                        ; implicit-def: $vgpr2
	s_delay_alu instid0(VALU_DEP_1)
	v_cmpx_eq_u32_e32 0, v1
	s_cbranch_execz .LBB611_3
; %bb.2:
	s_load_b64 s[6:7], s[0:1], 0x50
	s_bcnt1_i32_b32 s5, s5
	s_delay_alu instid0(SALU_CYCLE_1)
	v_dual_mov_b32 v2, 0 :: v_dual_mov_b32 v3, s5
	s_wait_xcnt 0x0
	s_wait_kmcnt 0x0
	global_atomic_add_u32 v2, v2, v3, s[6:7] th:TH_ATOMIC_RETURN scope:SCOPE_DEV
.LBB611_3:
	s_wait_xcnt 0x0
	s_or_b32 exec_lo, exec_lo, s4
	s_wait_loadcnt 0x0
	v_readfirstlane_b32 s4, v2
	s_delay_alu instid0(VALU_DEP_1)
	v_dual_mov_b32 v2, 0 :: v_dual_add_nc_u32 v1, s4, v1
	ds_store_b32 v2, v1 offset:18496
.LBB611_4:
	s_or_b32 exec_lo, exec_lo, s3
	v_mov_b32_e32 v5, 0
	s_clause 0x2
	s_load_b128 s[16:19], s[0:1], 0x0
	s_load_b32 s3, s[0:1], 0x20
	s_load_b96 s[20:22], s[0:1], 0x44
	s_wait_dscnt 0x0
	s_barrier_signal -1
	s_barrier_wait -1
	ds_load_b32 v1, v5 offset:18496
	v_mbcnt_lo_u32_b32 v15, -1, 0
	v_and_b32_e32 v16, 0x3e0, v14
	s_mov_b32 s4, -1
	s_add_nc_u64 s[26:27], s[0:1], 0x58
	s_getreg_b32 s28, hwreg(HW_REG_IB_STS2, 6, 4)
	s_wait_dscnt 0x0
	s_barrier_signal -1
	s_barrier_wait -1
	s_wait_kmcnt 0x0
	v_cmp_le_u32_e32 vcc_lo, s22, v1
	v_readfirstlane_b32 s23, v1
	s_mul_i32 s24, s23, 0x1800
	s_cbranch_vccz .LBB611_100
; %bb.5:
	s_mov_b32 s25, 0
	v_mov_b32_e32 v2, 0x80008000
	v_lshlrev_b32_e32 v4, 1, v15
	s_lshl_b64 s[4:5], s[24:25], 1
	v_mul_u32_u24_e32 v3, 12, v16
	s_add_nc_u64 s[4:5], s[16:17], s[4:5]
	s_mulk_i32 s22, 0xe800
	v_add_nc_u64_e32 v[6:7], s[4:5], v[4:5]
	s_add_co_i32 s22, s22, s3
	v_dual_lshlrev_b32 v4, 1, v3 :: v_dual_bitop2_b32 v1, v15, v3 bitop3:0x54
	v_mov_b32_e32 v3, v2
	s_mov_b32 s3, exec_lo
	s_delay_alu instid0(VALU_DEP_2)
	v_add_nc_u64_e32 v[10:11], v[6:7], v[4:5]
	v_dual_mov_b32 v4, v2 :: v_dual_mov_b32 v5, v2
	v_dual_mov_b32 v6, v2 :: v_dual_mov_b32 v7, v2
	v_cmpx_gt_u32_e64 s22, v1
	s_cbranch_execz .LBB611_7
; %bb.6:
	global_load_u16 v3, v[10:11], off
	s_movk_i32 s4, 0x8000
	v_dual_mov_b32 v5, v2 :: v_dual_mov_b32 v6, v2
	v_dual_mov_b32 v7, v2 :: v_dual_mov_b32 v8, v2
	v_mov_b32_e32 v9, v2
	s_wait_loadcnt 0x0
	v_perm_b32 v4, s4, v3, 0x5040100
	s_delay_alu instid0(VALU_DEP_1)
	v_mov_b64_e32 v[2:3], v[4:5]
	v_mov_b64_e32 v[4:5], v[6:7]
	;; [unrolled: 1-line block ×4, first 2 shown]
.LBB611_7:
	s_or_b32 exec_lo, exec_lo, s3
	v_or_b32_e32 v8, 32, v1
	s_mov_b32 s3, exec_lo
	s_delay_alu instid0(VALU_DEP_1)
	v_cmpx_gt_u32_e64 s22, v8
	s_cbranch_execz .LBB611_9
; %bb.8:
	global_load_u16 v8, v[10:11], off offset:64
	s_wait_loadcnt 0x0
	v_perm_b32 v2, v8, v2, 0x5040100
.LBB611_9:
	s_or_b32 exec_lo, exec_lo, s3
	v_or_b32_e32 v8, 64, v1
	s_mov_b32 s3, exec_lo
	s_delay_alu instid0(VALU_DEP_1)
	v_cmpx_gt_u32_e64 s22, v8
	s_cbranch_execz .LBB611_11
; %bb.10:
	global_load_u16 v8, v[10:11], off offset:128
	s_wait_loadcnt 0x0
	v_bfi_b32 v3, 0xffff, v8, v3
.LBB611_11:
	s_or_b32 exec_lo, exec_lo, s3
	v_or_b32_e32 v8, 0x60, v1
	s_mov_b32 s3, exec_lo
	s_delay_alu instid0(VALU_DEP_1)
	v_cmpx_gt_u32_e64 s22, v8
	s_cbranch_execz .LBB611_13
; %bb.12:
	global_load_u16 v8, v[10:11], off offset:192
	s_wait_loadcnt 0x0
	v_perm_b32 v3, v8, v3, 0x5040100
.LBB611_13:
	s_or_b32 exec_lo, exec_lo, s3
	v_add_nc_u32_e32 v8, 0x80, v1
	s_mov_b32 s3, exec_lo
	s_delay_alu instid0(VALU_DEP_1)
	v_cmpx_gt_u32_e64 s22, v8
	s_cbranch_execz .LBB611_15
; %bb.14:
	global_load_u16 v8, v[10:11], off offset:256
	s_wait_loadcnt 0x0
	v_bfi_b32 v4, 0xffff, v8, v4
.LBB611_15:
	s_or_b32 exec_lo, exec_lo, s3
	v_add_nc_u32_e32 v8, 0xa0, v1
	s_mov_b32 s3, exec_lo
	s_delay_alu instid0(VALU_DEP_1)
	v_cmpx_gt_u32_e64 s22, v8
	s_cbranch_execz .LBB611_17
; %bb.16:
	global_load_u16 v8, v[10:11], off offset:320
	s_wait_loadcnt 0x0
	v_perm_b32 v4, v8, v4, 0x5040100
.LBB611_17:
	s_or_b32 exec_lo, exec_lo, s3
	v_add_nc_u32_e32 v8, 0xc0, v1
	s_mov_b32 s3, exec_lo
	s_delay_alu instid0(VALU_DEP_1)
	v_cmpx_gt_u32_e64 s22, v8
	s_cbranch_execz .LBB611_19
; %bb.18:
	global_load_u16 v8, v[10:11], off offset:384
	s_wait_loadcnt 0x0
	v_bfi_b32 v5, 0xffff, v8, v5
.LBB611_19:
	s_or_b32 exec_lo, exec_lo, s3
	v_add_nc_u32_e32 v8, 0xe0, v1
	;; [unrolled: 22-line block ×4, first 2 shown]
	s_mov_b32 s3, exec_lo
	s_delay_alu instid0(VALU_DEP_1)
	v_cmpx_gt_u32_e64 s22, v1
	s_cbranch_execz .LBB611_29
; %bb.28:
	global_load_u16 v1, v[10:11], off offset:704
	s_wait_loadcnt 0x0
	v_perm_b32 v7, v1, v7, 0x5040100
.LBB611_29:
	s_or_b32 exec_lo, exec_lo, s3
	s_clause 0x1
	s_load_b32 s25, s[0:1], 0x58
	s_load_u16 s3, s[0:1], 0x66
	v_xor_b32_e32 v1, 0x7fff, v2
	s_bfe_u32 s4, ttmp6, 0x4000c
	s_and_b32 s5, ttmp6, 15
	s_add_co_i32 s4, s4, 1
	v_bfe_u32 v8, v0, 10, 10
	s_mul_i32 s4, ttmp9, s4
	v_and_b32_e32 v9, 0xffff, v1
	s_add_co_i32 s5, s5, s4
	s_cmp_eq_u32 s28, 0
	v_bfe_u32 v10, v0, 20, 10
	s_cselect_b32 s4, ttmp9, s5
	v_lshrrev_b32_e32 v9, s20, v9
	s_mov_b32 s5, 0
	s_wait_kmcnt 0x0
	s_cmp_lt_u32 s4, s25
	v_mad_u32_u24 v8, v10, s3, v8
	s_cselect_b32 s4, 12, 18
	s_lshl_b32 s6, -1, s21
	s_add_nc_u64 s[4:5], s[26:27], s[4:5]
	v_bitop3_b32 v11, v9, s6, v9 bitop3:0x30
	s_load_u16 s7, s[4:5], 0x0
	s_not_b32 s29, s6
	s_delay_alu instid0(VALU_DEP_1) | instskip(SKIP_3) | instid1(VALU_DEP_3)
	v_lshlrev_b32_e32 v12, 30, v11
	v_bitop3_b32 v10, v9, 1, s6 bitop3:0x40
	v_dual_lshlrev_b32 v13, 29, v11 :: v_dual_lshlrev_b32 v17, 28, v11
	v_dual_lshlrev_b32 v18, 27, v11 :: v_dual_lshlrev_b32 v19, 26, v11
	v_add_co_u32 v9, s3, v10, -1
	s_delay_alu instid0(VALU_DEP_1)
	v_cndmask_b32_e64 v10, 0, 1, s3
	v_cmp_gt_i32_e64 s3, 0, v12
	s_wait_xcnt 0x0
	v_cmp_gt_i32_e64 s4, 0, v13
	v_cmp_gt_i32_e64 s5, 0, v17
	v_dual_lshlrev_b32 v20, 25, v11 :: v_dual_lshlrev_b32 v21, 24, v11
	v_cmp_ne_u32_e32 vcc_lo, 0, v10
	v_not_b32_e32 v10, v12
	v_not_b32_e32 v12, v13
	;; [unrolled: 1-line block ×4, first 2 shown]
	s_delay_alu instid0(VALU_DEP_4) | instskip(NEXT) | instid1(VALU_DEP_3)
	v_dual_ashrrev_i32 v10, 31, v10 :: v_dual_bitop2_b32 v9, vcc_lo, v9 bitop3:0x14
	v_dual_ashrrev_i32 v12, 31, v12 :: v_dual_ashrrev_i32 v13, 31, v13
	v_not_b32_e32 v22, v19
	s_wait_kmcnt 0x0
	v_mad_u32 v8, v8, s7, v14
	v_xor_b32_e32 v10, s3, v10
	v_xor_b32_e32 v12, s4, v12
	;; [unrolled: 1-line block ×3, first 2 shown]
	v_cmp_gt_i32_e32 vcc_lo, 0, v18
	v_cmp_gt_i32_e64 s3, 0, v19
	v_bitop3_b32 v9, v9, v10, exec_lo bitop3:0x80
	v_dual_ashrrev_i32 v10, 31, v17 :: v_dual_ashrrev_i32 v17, 31, v22
	v_mul_u32_u24_e32 v11, 0x44, v11
	s_delay_alu instid0(VALU_DEP_3)
	v_bitop3_b32 v9, v9, v13, v12 bitop3:0x80
	v_not_b32_e32 v12, v20
	v_not_b32_e32 v13, v21
	v_xor_b32_e32 v10, vcc_lo, v10
	v_dual_lshrrev_b32 v8, 3, v8 :: v_dual_bitop2_b32 v17, s3, v17 bitop3:0x14
	v_cmp_gt_i32_e32 vcc_lo, 0, v20
	v_ashrrev_i32_e32 v18, 31, v12
	v_cmp_gt_i32_e64 s3, 0, v21
	v_ashrrev_i32_e32 v13, 31, v13
	v_bitop3_b32 v9, v9, v17, v10 bitop3:0x80
	s_delay_alu instid0(VALU_DEP_4) | instskip(SKIP_1) | instid1(VALU_DEP_4)
	v_dual_mov_b32 v17, 0 :: v_dual_bitop2_b32 v10, vcc_lo, v18 bitop3:0x14
	v_and_b32_e32 v8, 0x1ffffffc, v8
	v_xor_b32_e32 v13, s3, v13
	v_mul_u32_u24_e32 v12, 36, v14
	ds_store_2addr_b32 v12, v17, v17 offset0:16 offset1:17
	ds_store_2addr_b32 v12, v17, v17 offset0:18 offset1:19
	;; [unrolled: 1-line block ×4, first 2 shown]
	v_bitop3_b32 v9, v9, v13, v10 bitop3:0x80
	v_add_nc_u32_e32 v13, v8, v11
	ds_store_b32 v12, v17 offset:96
	s_wait_dscnt 0x0
	s_barrier_signal -1
	v_mbcnt_lo_u32_b32 v10, v9, 0
	v_cmp_ne_u32_e64 s3, 0, v9
	s_barrier_wait -1
	s_delay_alu instid0(VALU_DEP_2) | instskip(SKIP_1) | instid1(SALU_CYCLE_1)
	v_cmp_eq_u32_e32 vcc_lo, 0, v10
	; wave barrier
	s_and_b32 s4, s3, vcc_lo
	s_and_saveexec_b32 s3, s4
; %bb.30:
	v_bcnt_u32_b32 v9, v9, 0
	ds_store_b32 v13, v9 offset:64
; %bb.31:
	s_or_b32 exec_lo, exec_lo, s3
	v_lshrrev_b32_e32 v2, 16, v2
	; wave barrier
	s_delay_alu instid0(VALU_DEP_1) | instskip(NEXT) | instid1(VALU_DEP_1)
	v_xor_b32_e32 v11, 0x7fff, v2
	v_and_b32_e32 v2, 0xffff, v11
	s_delay_alu instid0(VALU_DEP_1) | instskip(NEXT) | instid1(VALU_DEP_1)
	v_lshrrev_b32_e32 v2, s20, v2
	v_and_b32_e32 v17, s29, v2
	s_delay_alu instid0(VALU_DEP_1) | instskip(SKIP_2) | instid1(VALU_DEP_3)
	v_lshlrev_b32_e32 v19, 29, v17
	v_bitop3_b32 v9, v2, 1, s29 bitop3:0x80
	v_lshlrev_b32_e32 v18, 30, v17
	v_cmp_gt_i32_e64 s4, 0, v19
	s_delay_alu instid0(VALU_DEP_3) | instskip(NEXT) | instid1(VALU_DEP_1)
	v_add_co_u32 v2, s3, v9, -1
	v_cndmask_b32_e64 v9, 0, 1, s3
	s_delay_alu instid0(VALU_DEP_4) | instskip(NEXT) | instid1(VALU_DEP_2)
	v_cmp_gt_i32_e64 s3, 0, v18
	v_cmp_ne_u32_e32 vcc_lo, 0, v9
	v_not_b32_e32 v9, v18
	v_not_b32_e32 v18, v19
	s_delay_alu instid0(VALU_DEP_2) | instskip(SKIP_3) | instid1(VALU_DEP_3)
	v_dual_ashrrev_i32 v9, 31, v9 :: v_dual_bitop2_b32 v2, vcc_lo, v2 bitop3:0x14
	v_dual_lshlrev_b32 v20, 28, v17 :: v_dual_lshlrev_b32 v21, 27, v17
	v_dual_lshlrev_b32 v22, 26, v17 :: v_dual_lshlrev_b32 v23, 25, v17
	v_lshlrev_b32_e32 v24, 24, v17
	v_not_b32_e32 v19, v20
	v_cmp_gt_i32_e64 s5, 0, v20
	v_cmp_gt_i32_e64 s6, 0, v21
	v_not_b32_e32 v20, v21
	v_not_b32_e32 v21, v22
	v_dual_ashrrev_i32 v18, 31, v18 :: v_dual_ashrrev_i32 v19, 31, v19
	s_delay_alu instid0(VALU_DEP_3)
	v_dual_ashrrev_i32 v20, 31, v20 :: v_dual_bitop2_b32 v9, s3, v9 bitop3:0x14
	v_cmp_gt_i32_e64 s7, 0, v22
	v_cmp_gt_i32_e64 s8, 0, v23
	v_not_b32_e32 v22, v23
	v_not_b32_e32 v23, v24
	v_dual_ashrrev_i32 v21, 31, v21 :: v_dual_bitop2_b32 v18, s4, v18 bitop3:0x14
	v_xor_b32_e32 v19, s5, v19
	v_bitop3_b32 v2, v2, v9, exec_lo bitop3:0x80
	v_cmp_gt_i32_e64 s9, 0, v24
	v_dual_ashrrev_i32 v9, 31, v22 :: v_dual_ashrrev_i32 v22, 31, v23
	v_xor_b32_e32 v20, s6, v20
	v_xor_b32_e32 v21, s7, v21
	v_bitop3_b32 v2, v2, v19, v18 bitop3:0x80
	v_mad_u32_u24 v18, 0x44, v17, v8
	v_xor_b32_e32 v9, s8, v9
	v_xor_b32_e32 v19, s9, v22
	s_delay_alu instid0(VALU_DEP_4) | instskip(SKIP_3) | instid1(VALU_DEP_2)
	v_bitop3_b32 v2, v2, v21, v20 bitop3:0x80
	ds_load_b32 v18, v18 offset:64
	; wave barrier
	v_bitop3_b32 v2, v2, v19, v9 bitop3:0x80
	v_mul_u32_u24_e32 v9, 0x44, v17
	v_mbcnt_lo_u32_b32 v19, v2, 0
	v_cmp_ne_u32_e64 s3, 0, v2
	s_delay_alu instid0(VALU_DEP_3) | instskip(NEXT) | instid1(VALU_DEP_3)
	v_add_nc_u32_e32 v20, v8, v9
	v_cmp_eq_u32_e32 vcc_lo, 0, v19
	s_and_b32 s4, s3, vcc_lo
	s_delay_alu instid0(SALU_CYCLE_1)
	s_and_saveexec_b32 s3, s4
	s_cbranch_execz .LBB611_33
; %bb.32:
	s_wait_dscnt 0x0
	v_bcnt_u32_b32 v2, v2, v18
	ds_store_b32 v20, v2 offset:64
.LBB611_33:
	s_or_b32 exec_lo, exec_lo, s3
	v_xor_b32_e32 v17, 0x7fff, v3
	; wave barrier
	s_delay_alu instid0(VALU_DEP_1) | instskip(NEXT) | instid1(VALU_DEP_1)
	v_and_b32_e32 v2, 0xffff, v17
	v_lshrrev_b32_e32 v2, s20, v2
	s_delay_alu instid0(VALU_DEP_1) | instskip(NEXT) | instid1(VALU_DEP_1)
	v_and_b32_e32 v21, s29, v2
	v_lshlrev_b32_e32 v22, 30, v21
	v_bitop3_b32 v9, v2, 1, s29 bitop3:0x80
	s_delay_alu instid0(VALU_DEP_1) | instskip(NEXT) | instid1(VALU_DEP_1)
	v_add_co_u32 v2, s3, v9, -1
	v_cndmask_b32_e64 v9, 0, 1, s3
	s_delay_alu instid0(VALU_DEP_4) | instskip(NEXT) | instid1(VALU_DEP_2)
	v_cmp_gt_i32_e64 s3, 0, v22
	v_cmp_ne_u32_e32 vcc_lo, 0, v9
	v_not_b32_e32 v9, v22
	s_delay_alu instid0(VALU_DEP_1) | instskip(SKIP_3) | instid1(VALU_DEP_3)
	v_ashrrev_i32_e32 v9, 31, v9
	v_dual_lshlrev_b32 v23, 29, v21 :: v_dual_lshlrev_b32 v24, 28, v21
	v_dual_lshlrev_b32 v25, 27, v21 :: v_dual_lshlrev_b32 v26, 26, v21
	;; [unrolled: 1-line block ×3, first 2 shown]
	v_cmp_gt_i32_e64 s4, 0, v23
	v_not_b32_e32 v22, v23
	v_not_b32_e32 v23, v24
	v_cmp_gt_i32_e64 s5, 0, v24
	v_cmp_gt_i32_e64 s6, 0, v25
	v_not_b32_e32 v24, v25
	v_not_b32_e32 v25, v26
	v_dual_ashrrev_i32 v23, 31, v23 :: v_dual_bitop2_b32 v2, vcc_lo, v2 bitop3:0x14
	v_dual_ashrrev_i32 v22, 31, v22 :: v_dual_bitop2_b32 v9, s3, v9 bitop3:0x14
	v_cmp_gt_i32_e64 s7, 0, v26
	v_cmp_gt_i32_e64 s8, 0, v27
	v_not_b32_e32 v26, v27
	v_not_b32_e32 v27, v28
	v_dual_ashrrev_i32 v24, 31, v24 :: v_dual_ashrrev_i32 v25, 31, v25
	v_xor_b32_e32 v22, s4, v22
	v_xor_b32_e32 v23, s5, v23
	v_bitop3_b32 v2, v2, v9, exec_lo bitop3:0x80
	v_cmp_gt_i32_e64 s9, 0, v28
	v_dual_ashrrev_i32 v9, 31, v26 :: v_dual_ashrrev_i32 v26, 31, v27
	v_xor_b32_e32 v24, s6, v24
	v_xor_b32_e32 v25, s7, v25
	v_bitop3_b32 v2, v2, v23, v22 bitop3:0x80
	v_mad_u32_u24 v22, 0x44, v21, v8
	v_xor_b32_e32 v9, s8, v9
	v_xor_b32_e32 v23, s9, v26
	s_delay_alu instid0(VALU_DEP_4) | instskip(SKIP_3) | instid1(VALU_DEP_2)
	v_bitop3_b32 v2, v2, v25, v24 bitop3:0x80
	ds_load_b32 v22, v22 offset:64
	; wave barrier
	v_bitop3_b32 v2, v2, v23, v9 bitop3:0x80
	v_mul_u32_u24_e32 v9, 0x44, v21
	v_mbcnt_lo_u32_b32 v23, v2, 0
	v_cmp_ne_u32_e64 s3, 0, v2
	s_delay_alu instid0(VALU_DEP_3) | instskip(NEXT) | instid1(VALU_DEP_3)
	v_add_nc_u32_e32 v24, v8, v9
	v_cmp_eq_u32_e32 vcc_lo, 0, v23
	s_and_b32 s4, s3, vcc_lo
	s_delay_alu instid0(SALU_CYCLE_1)
	s_and_saveexec_b32 s3, s4
	s_cbranch_execz .LBB611_35
; %bb.34:
	s_wait_dscnt 0x0
	v_bcnt_u32_b32 v2, v2, v22
	ds_store_b32 v24, v2 offset:64
.LBB611_35:
	s_or_b32 exec_lo, exec_lo, s3
	v_lshrrev_b32_e32 v2, 16, v3
	; wave barrier
	s_delay_alu instid0(VALU_DEP_1) | instskip(NEXT) | instid1(VALU_DEP_1)
	v_xor_b32_e32 v21, 0x7fff, v2
	v_and_b32_e32 v2, 0xffff, v21
	s_delay_alu instid0(VALU_DEP_1) | instskip(NEXT) | instid1(VALU_DEP_1)
	v_lshrrev_b32_e32 v2, s20, v2
	v_and_b32_e32 v9, s29, v2
	s_delay_alu instid0(VALU_DEP_1) | instskip(SKIP_2) | instid1(VALU_DEP_3)
	v_lshlrev_b32_e32 v26, 29, v9
	v_bitop3_b32 v3, v2, 1, s29 bitop3:0x80
	v_lshlrev_b32_e32 v25, 30, v9
	v_cmp_gt_i32_e64 s4, 0, v26
	s_delay_alu instid0(VALU_DEP_3) | instskip(NEXT) | instid1(VALU_DEP_1)
	v_add_co_u32 v2, s3, v3, -1
	v_cndmask_b32_e64 v3, 0, 1, s3
	s_delay_alu instid0(VALU_DEP_4) | instskip(NEXT) | instid1(VALU_DEP_2)
	v_cmp_gt_i32_e64 s3, 0, v25
	v_cmp_ne_u32_e32 vcc_lo, 0, v3
	v_not_b32_e32 v3, v25
	v_not_b32_e32 v25, v26
	s_delay_alu instid0(VALU_DEP_2) | instskip(SKIP_3) | instid1(VALU_DEP_3)
	v_dual_ashrrev_i32 v3, 31, v3 :: v_dual_bitop2_b32 v2, vcc_lo, v2 bitop3:0x14
	v_dual_lshlrev_b32 v27, 28, v9 :: v_dual_lshlrev_b32 v28, 27, v9
	v_dual_lshlrev_b32 v29, 26, v9 :: v_dual_lshlrev_b32 v30, 25, v9
	v_lshlrev_b32_e32 v31, 24, v9
	v_not_b32_e32 v26, v27
	v_cmp_gt_i32_e64 s5, 0, v27
	v_cmp_gt_i32_e64 s6, 0, v28
	v_not_b32_e32 v27, v28
	v_not_b32_e32 v28, v29
	v_dual_ashrrev_i32 v25, 31, v25 :: v_dual_ashrrev_i32 v26, 31, v26
	v_xor_b32_e32 v3, s3, v3
	v_cmp_gt_i32_e64 s7, 0, v29
	v_cmp_gt_i32_e64 s8, 0, v30
	v_not_b32_e32 v29, v30
	v_not_b32_e32 v30, v31
	v_dual_ashrrev_i32 v27, 31, v27 :: v_dual_bitop2_b32 v25, s4, v25 bitop3:0x14
	v_dual_ashrrev_i32 v28, 31, v28 :: v_dual_bitop2_b32 v26, s5, v26 bitop3:0x14
	v_bitop3_b32 v2, v2, v3, exec_lo bitop3:0x80
	v_cmp_gt_i32_e64 s9, 0, v31
	v_dual_ashrrev_i32 v3, 31, v29 :: v_dual_ashrrev_i32 v29, 31, v30
	v_xor_b32_e32 v27, s6, v27
	v_xor_b32_e32 v28, s7, v28
	v_bitop3_b32 v2, v2, v26, v25 bitop3:0x80
	v_mad_u32_u24 v25, 0x44, v9, v8
	v_xor_b32_e32 v3, s8, v3
	v_xor_b32_e32 v29, s9, v29
	s_delay_alu instid0(VALU_DEP_4) | instskip(SKIP_3) | instid1(VALU_DEP_2)
	v_bitop3_b32 v2, v2, v28, v27 bitop3:0x80
	ds_load_b32 v26, v25 offset:64
	; wave barrier
	v_bitop3_b32 v2, v2, v29, v3 bitop3:0x80
	v_mul_u32_u24_e32 v3, 0x44, v9
	v_mbcnt_lo_u32_b32 v27, v2, 0
	v_cmp_ne_u32_e64 s3, 0, v2
	s_delay_alu instid0(VALU_DEP_3) | instskip(NEXT) | instid1(VALU_DEP_3)
	v_add_nc_u32_e32 v28, v8, v3
	v_cmp_eq_u32_e32 vcc_lo, 0, v27
	s_and_b32 s4, s3, vcc_lo
	s_delay_alu instid0(SALU_CYCLE_1)
	s_and_saveexec_b32 s3, s4
	s_cbranch_execz .LBB611_37
; %bb.36:
	s_wait_dscnt 0x0
	v_bcnt_u32_b32 v2, v2, v26
	ds_store_b32 v28, v2 offset:64
.LBB611_37:
	s_or_b32 exec_lo, exec_lo, s3
	v_xor_b32_e32 v25, 0x7fff, v4
	; wave barrier
	s_delay_alu instid0(VALU_DEP_1) | instskip(NEXT) | instid1(VALU_DEP_1)
	v_and_b32_e32 v2, 0xffff, v25
	v_lshrrev_b32_e32 v2, s20, v2
	s_delay_alu instid0(VALU_DEP_1) | instskip(NEXT) | instid1(VALU_DEP_1)
	v_and_b32_e32 v9, s29, v2
	v_lshlrev_b32_e32 v29, 30, v9
	v_bitop3_b32 v3, v2, 1, s29 bitop3:0x80
	s_delay_alu instid0(VALU_DEP_1) | instskip(NEXT) | instid1(VALU_DEP_1)
	v_add_co_u32 v2, s3, v3, -1
	v_cndmask_b32_e64 v3, 0, 1, s3
	s_delay_alu instid0(VALU_DEP_4) | instskip(NEXT) | instid1(VALU_DEP_2)
	v_cmp_gt_i32_e64 s3, 0, v29
	v_cmp_ne_u32_e32 vcc_lo, 0, v3
	v_not_b32_e32 v3, v29
	s_delay_alu instid0(VALU_DEP_1) | instskip(SKIP_3) | instid1(VALU_DEP_4)
	v_dual_ashrrev_i32 v3, 31, v3 :: v_dual_lshlrev_b32 v30, 29, v9
	v_dual_lshlrev_b32 v31, 28, v9 :: v_dual_lshlrev_b32 v32, 27, v9
	v_dual_lshlrev_b32 v33, 26, v9 :: v_dual_lshlrev_b32 v34, 25, v9
	v_lshlrev_b32_e32 v35, 24, v9
	v_cmp_gt_i32_e64 s4, 0, v30
	v_not_b32_e32 v29, v30
	v_not_b32_e32 v30, v31
	v_cmp_gt_i32_e64 s5, 0, v31
	v_cmp_gt_i32_e64 s6, 0, v32
	v_not_b32_e32 v31, v32
	v_not_b32_e32 v32, v33
	v_dual_ashrrev_i32 v29, 31, v29 :: v_dual_bitop2_b32 v2, vcc_lo, v2 bitop3:0x14
	v_dual_ashrrev_i32 v30, 31, v30 :: v_dual_bitop2_b32 v3, s3, v3 bitop3:0x14
	v_cmp_gt_i32_e64 s7, 0, v33
	v_cmp_gt_i32_e64 s8, 0, v34
	v_not_b32_e32 v33, v34
	v_not_b32_e32 v34, v35
	v_dual_ashrrev_i32 v31, 31, v31 :: v_dual_ashrrev_i32 v32, 31, v32
	v_xor_b32_e32 v29, s4, v29
	v_xor_b32_e32 v30, s5, v30
	v_bitop3_b32 v2, v2, v3, exec_lo bitop3:0x80
	v_cmp_gt_i32_e64 s9, 0, v35
	v_dual_ashrrev_i32 v3, 31, v33 :: v_dual_ashrrev_i32 v33, 31, v34
	v_xor_b32_e32 v31, s6, v31
	v_xor_b32_e32 v32, s7, v32
	v_bitop3_b32 v2, v2, v30, v29 bitop3:0x80
	v_mad_u32_u24 v29, 0x44, v9, v8
	v_xor_b32_e32 v3, s8, v3
	v_xor_b32_e32 v30, s9, v33
	s_delay_alu instid0(VALU_DEP_4) | instskip(SKIP_3) | instid1(VALU_DEP_2)
	v_bitop3_b32 v2, v2, v32, v31 bitop3:0x80
	ds_load_b32 v29, v29 offset:64
	; wave barrier
	v_bitop3_b32 v2, v2, v30, v3 bitop3:0x80
	v_mul_u32_u24_e32 v3, 0x44, v9
	v_mbcnt_lo_u32_b32 v31, v2, 0
	v_cmp_ne_u32_e64 s3, 0, v2
	s_delay_alu instid0(VALU_DEP_3) | instskip(NEXT) | instid1(VALU_DEP_3)
	v_add_nc_u32_e32 v32, v8, v3
	v_cmp_eq_u32_e32 vcc_lo, 0, v31
	s_and_b32 s4, s3, vcc_lo
	s_delay_alu instid0(SALU_CYCLE_1)
	s_and_saveexec_b32 s3, s4
	s_cbranch_execz .LBB611_39
; %bb.38:
	s_wait_dscnt 0x0
	v_bcnt_u32_b32 v2, v2, v29
	ds_store_b32 v32, v2 offset:64
.LBB611_39:
	s_or_b32 exec_lo, exec_lo, s3
	v_lshrrev_b32_e32 v2, 16, v4
	; wave barrier
	s_delay_alu instid0(VALU_DEP_1) | instskip(NEXT) | instid1(VALU_DEP_1)
	v_xor_b32_e32 v30, 0x7fff, v2
	v_and_b32_e32 v2, 0xffff, v30
	s_delay_alu instid0(VALU_DEP_1) | instskip(NEXT) | instid1(VALU_DEP_1)
	v_lshrrev_b32_e32 v2, s20, v2
	v_and_b32_e32 v4, s29, v2
	s_delay_alu instid0(VALU_DEP_1) | instskip(SKIP_2) | instid1(VALU_DEP_3)
	v_lshlrev_b32_e32 v33, 29, v4
	v_bitop3_b32 v3, v2, 1, s29 bitop3:0x80
	v_lshlrev_b32_e32 v9, 30, v4
	v_cmp_gt_i32_e64 s4, 0, v33
	s_delay_alu instid0(VALU_DEP_3) | instskip(NEXT) | instid1(VALU_DEP_1)
	v_add_co_u32 v2, s3, v3, -1
	v_cndmask_b32_e64 v3, 0, 1, s3
	s_delay_alu instid0(VALU_DEP_4) | instskip(NEXT) | instid1(VALU_DEP_2)
	v_cmp_gt_i32_e64 s3, 0, v9
	v_cmp_ne_u32_e32 vcc_lo, 0, v3
	v_not_b32_e32 v3, v9
	v_not_b32_e32 v9, v33
	s_delay_alu instid0(VALU_DEP_2) | instskip(SKIP_3) | instid1(VALU_DEP_3)
	v_dual_ashrrev_i32 v3, 31, v3 :: v_dual_bitop2_b32 v2, vcc_lo, v2 bitop3:0x14
	v_dual_lshlrev_b32 v34, 28, v4 :: v_dual_lshlrev_b32 v35, 27, v4
	v_dual_lshlrev_b32 v36, 26, v4 :: v_dual_lshlrev_b32 v37, 25, v4
	v_lshlrev_b32_e32 v38, 24, v4
	v_not_b32_e32 v33, v34
	v_cmp_gt_i32_e64 s5, 0, v34
	v_cmp_gt_i32_e64 s6, 0, v35
	v_not_b32_e32 v34, v35
	v_not_b32_e32 v35, v36
	v_dual_ashrrev_i32 v9, 31, v9 :: v_dual_bitop2_b32 v3, s3, v3 bitop3:0x14
	s_delay_alu instid0(VALU_DEP_3)
	v_dual_ashrrev_i32 v33, 31, v33 :: v_dual_ashrrev_i32 v34, 31, v34
	v_cmp_gt_i32_e64 s7, 0, v36
	v_cmp_gt_i32_e64 s8, 0, v37
	v_not_b32_e32 v36, v37
	v_not_b32_e32 v37, v38
	v_dual_ashrrev_i32 v35, 31, v35 :: v_dual_bitop2_b32 v9, s4, v9 bitop3:0x14
	v_xor_b32_e32 v33, s5, v33
	v_bitop3_b32 v2, v2, v3, exec_lo bitop3:0x80
	v_cmp_gt_i32_e64 s9, 0, v38
	v_dual_ashrrev_i32 v3, 31, v36 :: v_dual_ashrrev_i32 v36, 31, v37
	v_xor_b32_e32 v34, s6, v34
	v_xor_b32_e32 v35, s7, v35
	v_bitop3_b32 v2, v2, v33, v9 bitop3:0x80
	v_mad_u32_u24 v9, 0x44, v4, v8
	v_xor_b32_e32 v3, s8, v3
	v_xor_b32_e32 v36, s9, v36
	s_delay_alu instid0(VALU_DEP_4) | instskip(SKIP_3) | instid1(VALU_DEP_2)
	v_bitop3_b32 v2, v2, v35, v34 bitop3:0x80
	ds_load_b32 v33, v9 offset:64
	; wave barrier
	v_bitop3_b32 v2, v2, v36, v3 bitop3:0x80
	v_mul_u32_u24_e32 v3, 0x44, v4
	v_mbcnt_lo_u32_b32 v34, v2, 0
	v_cmp_ne_u32_e64 s3, 0, v2
	s_delay_alu instid0(VALU_DEP_3) | instskip(NEXT) | instid1(VALU_DEP_3)
	v_add_nc_u32_e32 v37, v8, v3
	v_cmp_eq_u32_e32 vcc_lo, 0, v34
	s_and_b32 s4, s3, vcc_lo
	s_delay_alu instid0(SALU_CYCLE_1)
	s_and_saveexec_b32 s3, s4
	s_cbranch_execz .LBB611_41
; %bb.40:
	s_wait_dscnt 0x0
	v_bcnt_u32_b32 v2, v2, v33
	ds_store_b32 v37, v2 offset:64
.LBB611_41:
	s_or_b32 exec_lo, exec_lo, s3
	v_xor_b32_e32 v35, 0x7fff, v5
	; wave barrier
	s_delay_alu instid0(VALU_DEP_1) | instskip(NEXT) | instid1(VALU_DEP_1)
	v_and_b32_e32 v2, 0xffff, v35
	v_lshrrev_b32_e32 v2, s20, v2
	s_delay_alu instid0(VALU_DEP_1) | instskip(NEXT) | instid1(VALU_DEP_1)
	v_and_b32_e32 v4, s29, v2
	v_lshlrev_b32_e32 v9, 30, v4
	v_bitop3_b32 v3, v2, 1, s29 bitop3:0x80
	s_delay_alu instid0(VALU_DEP_1) | instskip(NEXT) | instid1(VALU_DEP_1)
	v_add_co_u32 v2, s3, v3, -1
	v_cndmask_b32_e64 v3, 0, 1, s3
	s_delay_alu instid0(VALU_DEP_4) | instskip(NEXT) | instid1(VALU_DEP_2)
	v_cmp_gt_i32_e64 s3, 0, v9
	v_cmp_ne_u32_e32 vcc_lo, 0, v3
	v_not_b32_e32 v3, v9
	s_delay_alu instid0(VALU_DEP_1) | instskip(SKIP_3) | instid1(VALU_DEP_4)
	v_dual_ashrrev_i32 v3, 31, v3 :: v_dual_lshlrev_b32 v36, 29, v4
	v_dual_lshlrev_b32 v38, 28, v4 :: v_dual_lshlrev_b32 v39, 27, v4
	v_dual_lshlrev_b32 v40, 26, v4 :: v_dual_lshlrev_b32 v41, 25, v4
	v_lshlrev_b32_e32 v42, 24, v4
	v_cmp_gt_i32_e64 s4, 0, v36
	v_not_b32_e32 v9, v36
	v_not_b32_e32 v36, v38
	v_cmp_gt_i32_e64 s5, 0, v38
	v_cmp_gt_i32_e64 s6, 0, v39
	v_not_b32_e32 v38, v39
	v_not_b32_e32 v39, v40
	v_dual_ashrrev_i32 v9, 31, v9 :: v_dual_bitop2_b32 v2, vcc_lo, v2 bitop3:0x14
	v_dual_ashrrev_i32 v36, 31, v36 :: v_dual_bitop2_b32 v3, s3, v3 bitop3:0x14
	v_cmp_gt_i32_e64 s7, 0, v40
	v_cmp_gt_i32_e64 s8, 0, v41
	v_not_b32_e32 v40, v41
	v_not_b32_e32 v41, v42
	v_dual_ashrrev_i32 v38, 31, v38 :: v_dual_ashrrev_i32 v39, 31, v39
	v_xor_b32_e32 v9, s4, v9
	v_xor_b32_e32 v36, s5, v36
	v_bitop3_b32 v2, v2, v3, exec_lo bitop3:0x80
	v_cmp_gt_i32_e64 s9, 0, v42
	v_dual_ashrrev_i32 v3, 31, v40 :: v_dual_ashrrev_i32 v40, 31, v41
	v_xor_b32_e32 v38, s6, v38
	v_xor_b32_e32 v39, s7, v39
	v_bitop3_b32 v2, v2, v36, v9 bitop3:0x80
	v_mad_u32_u24 v9, 0x44, v4, v8
	v_xor_b32_e32 v3, s8, v3
	v_xor_b32_e32 v36, s9, v40
	s_delay_alu instid0(VALU_DEP_4) | instskip(SKIP_3) | instid1(VALU_DEP_2)
	v_bitop3_b32 v2, v2, v39, v38 bitop3:0x80
	ds_load_b32 v38, v9 offset:64
	; wave barrier
	v_bitop3_b32 v2, v2, v36, v3 bitop3:0x80
	v_mul_u32_u24_e32 v3, 0x44, v4
	v_mbcnt_lo_u32_b32 v39, v2, 0
	v_cmp_ne_u32_e64 s3, 0, v2
	s_delay_alu instid0(VALU_DEP_3) | instskip(NEXT) | instid1(VALU_DEP_3)
	v_add_nc_u32_e32 v42, v8, v3
	v_cmp_eq_u32_e32 vcc_lo, 0, v39
	s_and_b32 s4, s3, vcc_lo
	s_delay_alu instid0(SALU_CYCLE_1)
	s_and_saveexec_b32 s3, s4
	s_cbranch_execz .LBB611_43
; %bb.42:
	s_wait_dscnt 0x0
	v_bcnt_u32_b32 v2, v2, v38
	ds_store_b32 v42, v2 offset:64
.LBB611_43:
	s_or_b32 exec_lo, exec_lo, s3
	v_lshrrev_b32_e32 v2, 16, v5
	; wave barrier
	s_delay_alu instid0(VALU_DEP_1) | instskip(NEXT) | instid1(VALU_DEP_1)
	v_xor_b32_e32 v36, 0x7fff, v2
	v_and_b32_e32 v2, 0xffff, v36
	s_delay_alu instid0(VALU_DEP_1) | instskip(NEXT) | instid1(VALU_DEP_1)
	v_lshrrev_b32_e32 v2, s20, v2
	v_and_b32_e32 v4, s29, v2
	s_delay_alu instid0(VALU_DEP_1) | instskip(SKIP_2) | instid1(VALU_DEP_3)
	v_lshlrev_b32_e32 v9, 29, v4
	v_bitop3_b32 v3, v2, 1, s29 bitop3:0x80
	v_lshlrev_b32_e32 v5, 30, v4
	v_cmp_gt_i32_e64 s4, 0, v9
	s_delay_alu instid0(VALU_DEP_3) | instskip(NEXT) | instid1(VALU_DEP_1)
	v_add_co_u32 v2, s3, v3, -1
	v_cndmask_b32_e64 v3, 0, 1, s3
	s_delay_alu instid0(VALU_DEP_4) | instskip(NEXT) | instid1(VALU_DEP_2)
	v_cmp_gt_i32_e64 s3, 0, v5
	v_cmp_ne_u32_e32 vcc_lo, 0, v3
	v_not_b32_e32 v3, v5
	v_not_b32_e32 v5, v9
	s_delay_alu instid0(VALU_DEP_2) | instskip(SKIP_3) | instid1(VALU_DEP_3)
	v_dual_ashrrev_i32 v3, 31, v3 :: v_dual_bitop2_b32 v2, vcc_lo, v2 bitop3:0x14
	v_dual_lshlrev_b32 v40, 28, v4 :: v_dual_lshlrev_b32 v41, 27, v4
	v_dual_lshlrev_b32 v43, 26, v4 :: v_dual_lshlrev_b32 v44, 25, v4
	v_lshlrev_b32_e32 v45, 24, v4
	v_not_b32_e32 v9, v40
	v_cmp_gt_i32_e64 s5, 0, v40
	v_cmp_gt_i32_e64 s6, 0, v41
	v_not_b32_e32 v40, v41
	v_not_b32_e32 v41, v43
	v_dual_ashrrev_i32 v5, 31, v5 :: v_dual_bitop2_b32 v3, s3, v3 bitop3:0x14
	s_delay_alu instid0(VALU_DEP_3)
	v_dual_ashrrev_i32 v9, 31, v9 :: v_dual_ashrrev_i32 v40, 31, v40
	v_cmp_gt_i32_e64 s7, 0, v43
	v_cmp_gt_i32_e64 s8, 0, v44
	v_not_b32_e32 v43, v44
	v_not_b32_e32 v44, v45
	v_ashrrev_i32_e32 v41, 31, v41
	v_xor_b32_e32 v5, s4, v5
	v_xor_b32_e32 v9, s5, v9
	v_bitop3_b32 v2, v2, v3, exec_lo bitop3:0x80
	v_cmp_gt_i32_e64 s9, 0, v45
	v_dual_ashrrev_i32 v3, 31, v43 :: v_dual_ashrrev_i32 v43, 31, v44
	v_xor_b32_e32 v40, s6, v40
	v_xor_b32_e32 v41, s7, v41
	v_bitop3_b32 v2, v2, v9, v5 bitop3:0x80
	v_mad_u32_u24 v5, 0x44, v4, v8
	v_xor_b32_e32 v3, s8, v3
	v_xor_b32_e32 v9, s9, v43
	s_delay_alu instid0(VALU_DEP_4) | instskip(SKIP_3) | instid1(VALU_DEP_2)
	v_bitop3_b32 v2, v2, v41, v40 bitop3:0x80
	ds_load_b32 v41, v5 offset:64
	; wave barrier
	v_bitop3_b32 v2, v2, v9, v3 bitop3:0x80
	v_mul_u32_u24_e32 v3, 0x44, v4
	v_mbcnt_lo_u32_b32 v43, v2, 0
	v_cmp_ne_u32_e64 s3, 0, v2
	s_delay_alu instid0(VALU_DEP_3) | instskip(NEXT) | instid1(VALU_DEP_3)
	v_add_nc_u32_e32 v47, v8, v3
	v_cmp_eq_u32_e32 vcc_lo, 0, v43
	s_and_b32 s4, s3, vcc_lo
	s_delay_alu instid0(SALU_CYCLE_1)
	s_and_saveexec_b32 s3, s4
	s_cbranch_execz .LBB611_45
; %bb.44:
	s_wait_dscnt 0x0
	v_bcnt_u32_b32 v2, v2, v41
	ds_store_b32 v47, v2 offset:64
.LBB611_45:
	s_or_b32 exec_lo, exec_lo, s3
	v_xor_b32_e32 v40, 0x7fff, v6
	; wave barrier
	s_delay_alu instid0(VALU_DEP_1) | instskip(NEXT) | instid1(VALU_DEP_1)
	v_and_b32_e32 v2, 0xffff, v40
	v_lshrrev_b32_e32 v2, s20, v2
	s_delay_alu instid0(VALU_DEP_1) | instskip(NEXT) | instid1(VALU_DEP_1)
	v_and_b32_e32 v4, s29, v2
	v_lshlrev_b32_e32 v5, 30, v4
	v_bitop3_b32 v3, v2, 1, s29 bitop3:0x80
	s_delay_alu instid0(VALU_DEP_1) | instskip(NEXT) | instid1(VALU_DEP_1)
	v_add_co_u32 v2, s3, v3, -1
	v_cndmask_b32_e64 v3, 0, 1, s3
	s_delay_alu instid0(VALU_DEP_4) | instskip(NEXT) | instid1(VALU_DEP_2)
	v_cmp_gt_i32_e64 s3, 0, v5
	v_cmp_ne_u32_e32 vcc_lo, 0, v3
	v_not_b32_e32 v3, v5
	s_delay_alu instid0(VALU_DEP_1) | instskip(SKIP_3) | instid1(VALU_DEP_4)
	v_dual_ashrrev_i32 v3, 31, v3 :: v_dual_lshlrev_b32 v9, 29, v4
	v_dual_lshlrev_b32 v44, 28, v4 :: v_dual_lshlrev_b32 v45, 27, v4
	v_dual_lshlrev_b32 v46, 26, v4 :: v_dual_lshlrev_b32 v48, 25, v4
	v_lshlrev_b32_e32 v49, 24, v4
	v_cmp_gt_i32_e64 s4, 0, v9
	v_not_b32_e32 v5, v9
	v_not_b32_e32 v9, v44
	v_cmp_gt_i32_e64 s5, 0, v44
	v_cmp_gt_i32_e64 s6, 0, v45
	v_not_b32_e32 v44, v45
	v_not_b32_e32 v45, v46
	v_dual_ashrrev_i32 v5, 31, v5 :: v_dual_bitop2_b32 v2, vcc_lo, v2 bitop3:0x14
	v_dual_ashrrev_i32 v9, 31, v9 :: v_dual_bitop2_b32 v3, s3, v3 bitop3:0x14
	v_cmp_gt_i32_e64 s7, 0, v46
	v_cmp_gt_i32_e64 s8, 0, v48
	v_not_b32_e32 v46, v48
	v_not_b32_e32 v48, v49
	v_dual_ashrrev_i32 v44, 31, v44 :: v_dual_ashrrev_i32 v45, 31, v45
	v_xor_b32_e32 v5, s4, v5
	v_xor_b32_e32 v9, s5, v9
	v_bitop3_b32 v2, v2, v3, exec_lo bitop3:0x80
	v_cmp_gt_i32_e64 s9, 0, v49
	v_dual_ashrrev_i32 v3, 31, v46 :: v_dual_ashrrev_i32 v46, 31, v48
	v_xor_b32_e32 v44, s6, v44
	v_xor_b32_e32 v45, s7, v45
	v_bitop3_b32 v2, v2, v9, v5 bitop3:0x80
	v_mad_u32_u24 v5, 0x44, v4, v8
	v_xor_b32_e32 v3, s8, v3
	v_xor_b32_e32 v9, s9, v46
	s_delay_alu instid0(VALU_DEP_4) | instskip(SKIP_3) | instid1(VALU_DEP_2)
	v_bitop3_b32 v2, v2, v45, v44 bitop3:0x80
	ds_load_b32 v44, v5 offset:64
	; wave barrier
	v_bitop3_b32 v2, v2, v9, v3 bitop3:0x80
	v_mul_u32_u24_e32 v3, 0x44, v4
	v_mbcnt_lo_u32_b32 v46, v2, 0
	v_cmp_ne_u32_e64 s3, 0, v2
	s_delay_alu instid0(VALU_DEP_3) | instskip(NEXT) | instid1(VALU_DEP_3)
	v_add_nc_u32_e32 v51, v8, v3
	v_cmp_eq_u32_e32 vcc_lo, 0, v46
	s_and_b32 s4, s3, vcc_lo
	s_delay_alu instid0(SALU_CYCLE_1)
	s_and_saveexec_b32 s3, s4
	s_cbranch_execz .LBB611_47
; %bb.46:
	s_wait_dscnt 0x0
	v_bcnt_u32_b32 v2, v2, v44
	ds_store_b32 v51, v2 offset:64
.LBB611_47:
	s_or_b32 exec_lo, exec_lo, s3
	v_lshrrev_b32_e32 v2, 16, v6
	; wave barrier
	s_delay_alu instid0(VALU_DEP_1) | instskip(NEXT) | instid1(VALU_DEP_1)
	v_xor_b32_e32 v45, 0x7fff, v2
	v_and_b32_e32 v2, 0xffff, v45
	s_delay_alu instid0(VALU_DEP_1) | instskip(NEXT) | instid1(VALU_DEP_1)
	v_lshrrev_b32_e32 v2, s20, v2
	v_and_b32_e32 v4, s29, v2
	s_delay_alu instid0(VALU_DEP_1) | instskip(SKIP_2) | instid1(VALU_DEP_3)
	v_lshlrev_b32_e32 v6, 29, v4
	v_bitop3_b32 v3, v2, 1, s29 bitop3:0x80
	v_lshlrev_b32_e32 v5, 30, v4
	v_cmp_gt_i32_e64 s4, 0, v6
	s_delay_alu instid0(VALU_DEP_3) | instskip(NEXT) | instid1(VALU_DEP_1)
	v_add_co_u32 v2, s3, v3, -1
	v_cndmask_b32_e64 v3, 0, 1, s3
	s_delay_alu instid0(VALU_DEP_4) | instskip(NEXT) | instid1(VALU_DEP_2)
	v_cmp_gt_i32_e64 s3, 0, v5
	v_cmp_ne_u32_e32 vcc_lo, 0, v3
	v_not_b32_e32 v3, v5
	v_not_b32_e32 v5, v6
	s_delay_alu instid0(VALU_DEP_2) | instskip(SKIP_3) | instid1(VALU_DEP_3)
	v_dual_ashrrev_i32 v3, 31, v3 :: v_dual_bitop2_b32 v2, vcc_lo, v2 bitop3:0x14
	v_dual_lshlrev_b32 v9, 28, v4 :: v_dual_lshlrev_b32 v48, 27, v4
	v_dual_lshlrev_b32 v49, 26, v4 :: v_dual_lshlrev_b32 v50, 25, v4
	v_lshlrev_b32_e32 v52, 24, v4
	v_not_b32_e32 v6, v9
	v_cmp_gt_i32_e64 s5, 0, v9
	v_cmp_gt_i32_e64 s6, 0, v48
	v_not_b32_e32 v9, v48
	v_not_b32_e32 v48, v49
	v_dual_ashrrev_i32 v5, 31, v5 :: v_dual_ashrrev_i32 v6, 31, v6
	s_delay_alu instid0(VALU_DEP_3)
	v_dual_ashrrev_i32 v9, 31, v9 :: v_dual_bitop2_b32 v3, s3, v3 bitop3:0x14
	v_cmp_gt_i32_e64 s7, 0, v49
	v_cmp_gt_i32_e64 s8, 0, v50
	v_not_b32_e32 v49, v50
	v_not_b32_e32 v50, v52
	v_dual_ashrrev_i32 v48, 31, v48 :: v_dual_bitop2_b32 v5, s4, v5 bitop3:0x14
	v_xor_b32_e32 v6, s5, v6
	v_bitop3_b32 v2, v2, v3, exec_lo bitop3:0x80
	v_cmp_gt_i32_e64 s9, 0, v52
	v_dual_ashrrev_i32 v3, 31, v49 :: v_dual_ashrrev_i32 v49, 31, v50
	v_xor_b32_e32 v9, s6, v9
	v_xor_b32_e32 v48, s7, v48
	v_bitop3_b32 v2, v2, v6, v5 bitop3:0x80
	v_mad_u32_u24 v5, 0x44, v4, v8
	v_xor_b32_e32 v3, s8, v3
	v_xor_b32_e32 v6, s9, v49
	s_delay_alu instid0(VALU_DEP_4) | instskip(SKIP_3) | instid1(VALU_DEP_2)
	v_bitop3_b32 v2, v2, v48, v9 bitop3:0x80
	ds_load_b32 v48, v5 offset:64
	; wave barrier
	v_bitop3_b32 v2, v2, v6, v3 bitop3:0x80
	v_mul_u32_u24_e32 v3, 0x44, v4
	v_mbcnt_lo_u32_b32 v50, v2, 0
	v_cmp_ne_u32_e64 s3, 0, v2
	s_delay_alu instid0(VALU_DEP_3) | instskip(NEXT) | instid1(VALU_DEP_3)
	v_add_nc_u32_e32 v55, v8, v3
	v_cmp_eq_u32_e32 vcc_lo, 0, v50
	s_and_b32 s4, s3, vcc_lo
	s_delay_alu instid0(SALU_CYCLE_1)
	s_and_saveexec_b32 s3, s4
	s_cbranch_execz .LBB611_49
; %bb.48:
	s_wait_dscnt 0x0
	v_bcnt_u32_b32 v2, v2, v48
	ds_store_b32 v55, v2 offset:64
.LBB611_49:
	s_or_b32 exec_lo, exec_lo, s3
	v_xor_b32_e32 v49, 0x7fff, v7
	; wave barrier
	s_delay_alu instid0(VALU_DEP_1) | instskip(NEXT) | instid1(VALU_DEP_1)
	v_and_b32_e32 v2, 0xffff, v49
	v_lshrrev_b32_e32 v2, s20, v2
	s_delay_alu instid0(VALU_DEP_1) | instskip(NEXT) | instid1(VALU_DEP_1)
	v_and_b32_e32 v4, s29, v2
	v_lshlrev_b32_e32 v5, 30, v4
	v_bitop3_b32 v3, v2, 1, s29 bitop3:0x80
	s_delay_alu instid0(VALU_DEP_1) | instskip(NEXT) | instid1(VALU_DEP_1)
	v_add_co_u32 v2, s3, v3, -1
	v_cndmask_b32_e64 v3, 0, 1, s3
	s_delay_alu instid0(VALU_DEP_4) | instskip(NEXT) | instid1(VALU_DEP_2)
	v_cmp_gt_i32_e64 s3, 0, v5
	v_cmp_ne_u32_e32 vcc_lo, 0, v3
	v_not_b32_e32 v3, v5
	s_delay_alu instid0(VALU_DEP_1) | instskip(SKIP_3) | instid1(VALU_DEP_4)
	v_dual_ashrrev_i32 v3, 31, v3 :: v_dual_lshlrev_b32 v6, 29, v4
	v_dual_lshlrev_b32 v9, 28, v4 :: v_dual_lshlrev_b32 v52, 27, v4
	v_dual_lshlrev_b32 v53, 26, v4 :: v_dual_lshlrev_b32 v54, 25, v4
	v_lshlrev_b32_e32 v56, 24, v4
	v_cmp_gt_i32_e64 s4, 0, v6
	v_not_b32_e32 v5, v6
	v_not_b32_e32 v6, v9
	v_cmp_gt_i32_e64 s5, 0, v9
	v_cmp_gt_i32_e64 s6, 0, v52
	v_not_b32_e32 v9, v52
	v_not_b32_e32 v52, v53
	v_dual_ashrrev_i32 v5, 31, v5 :: v_dual_bitop2_b32 v2, vcc_lo, v2 bitop3:0x14
	v_dual_ashrrev_i32 v6, 31, v6 :: v_dual_bitop2_b32 v3, s3, v3 bitop3:0x14
	v_cmp_gt_i32_e64 s7, 0, v53
	v_cmp_gt_i32_e64 s8, 0, v54
	v_not_b32_e32 v53, v54
	v_not_b32_e32 v54, v56
	v_dual_ashrrev_i32 v9, 31, v9 :: v_dual_ashrrev_i32 v52, 31, v52
	v_xor_b32_e32 v5, s4, v5
	v_xor_b32_e32 v6, s5, v6
	v_bitop3_b32 v2, v2, v3, exec_lo bitop3:0x80
	v_cmp_gt_i32_e64 s9, 0, v56
	v_dual_ashrrev_i32 v3, 31, v53 :: v_dual_ashrrev_i32 v53, 31, v54
	v_xor_b32_e32 v9, s6, v9
	v_xor_b32_e32 v52, s7, v52
	v_bitop3_b32 v2, v2, v6, v5 bitop3:0x80
	v_mad_u32_u24 v5, 0x44, v4, v8
	v_xor_b32_e32 v3, s8, v3
	v_xor_b32_e32 v6, s9, v53
	s_delay_alu instid0(VALU_DEP_4) | instskip(SKIP_3) | instid1(VALU_DEP_2)
	v_bitop3_b32 v2, v2, v52, v9 bitop3:0x80
	ds_load_b32 v52, v5 offset:64
	; wave barrier
	v_bitop3_b32 v2, v2, v6, v3 bitop3:0x80
	v_mul_u32_u24_e32 v3, 0x44, v4
	v_mbcnt_lo_u32_b32 v53, v2, 0
	v_cmp_ne_u32_e64 s3, 0, v2
	s_delay_alu instid0(VALU_DEP_3) | instskip(NEXT) | instid1(VALU_DEP_3)
	v_add_nc_u32_e32 v58, v8, v3
	v_cmp_eq_u32_e32 vcc_lo, 0, v53
	s_and_b32 s4, s3, vcc_lo
	s_delay_alu instid0(SALU_CYCLE_1)
	s_and_saveexec_b32 s3, s4
	s_cbranch_execz .LBB611_51
; %bb.50:
	s_wait_dscnt 0x0
	v_bcnt_u32_b32 v2, v2, v52
	ds_store_b32 v58, v2 offset:64
.LBB611_51:
	s_or_b32 exec_lo, exec_lo, s3
	v_lshrrev_b32_e32 v2, 16, v7
	; wave barrier
	s_delay_alu instid0(VALU_DEP_1) | instskip(NEXT) | instid1(VALU_DEP_1)
	v_xor_b32_e32 v54, 0x7fff, v2
	v_and_b32_e32 v2, 0xffff, v54
	s_delay_alu instid0(VALU_DEP_1) | instskip(NEXT) | instid1(VALU_DEP_1)
	v_lshrrev_b32_e32 v2, s20, v2
	v_and_b32_e32 v4, s29, v2
	s_delay_alu instid0(VALU_DEP_1) | instskip(SKIP_2) | instid1(VALU_DEP_3)
	v_lshlrev_b32_e32 v6, 29, v4
	v_bitop3_b32 v3, v2, 1, s29 bitop3:0x80
	v_lshlrev_b32_e32 v5, 30, v4
	v_cmp_gt_i32_e64 s4, 0, v6
	s_delay_alu instid0(VALU_DEP_3) | instskip(NEXT) | instid1(VALU_DEP_1)
	v_add_co_u32 v2, s3, v3, -1
	v_cndmask_b32_e64 v3, 0, 1, s3
	s_delay_alu instid0(VALU_DEP_4) | instskip(NEXT) | instid1(VALU_DEP_2)
	v_cmp_gt_i32_e64 s3, 0, v5
	v_cmp_ne_u32_e32 vcc_lo, 0, v3
	v_not_b32_e32 v3, v5
	v_not_b32_e32 v5, v6
	s_delay_alu instid0(VALU_DEP_2) | instskip(SKIP_3) | instid1(VALU_DEP_3)
	v_dual_ashrrev_i32 v3, 31, v3 :: v_dual_bitop2_b32 v2, vcc_lo, v2 bitop3:0x14
	v_dual_lshlrev_b32 v7, 28, v4 :: v_dual_lshlrev_b32 v9, 27, v4
	v_dual_lshlrev_b32 v56, 26, v4 :: v_dual_lshlrev_b32 v57, 25, v4
	v_lshlrev_b32_e32 v59, 24, v4
	v_not_b32_e32 v6, v7
	v_cmp_gt_i32_e64 s5, 0, v7
	v_cmp_gt_i32_e64 s6, 0, v9
	v_not_b32_e32 v7, v9
	v_not_b32_e32 v9, v56
	v_dual_ashrrev_i32 v5, 31, v5 :: v_dual_ashrrev_i32 v6, 31, v6
	v_xor_b32_e32 v3, s3, v3
	v_cmp_gt_i32_e64 s7, 0, v56
	v_cmp_gt_i32_e64 s8, 0, v57
	v_not_b32_e32 v56, v57
	v_not_b32_e32 v57, v59
	v_dual_ashrrev_i32 v7, 31, v7 :: v_dual_bitop2_b32 v5, s4, v5 bitop3:0x14
	v_dual_ashrrev_i32 v9, 31, v9 :: v_dual_bitop2_b32 v6, s5, v6 bitop3:0x14
	v_bitop3_b32 v2, v2, v3, exec_lo bitop3:0x80
	v_cmp_gt_i32_e64 s9, 0, v59
	v_dual_ashrrev_i32 v3, 31, v56 :: v_dual_ashrrev_i32 v56, 31, v57
	v_xor_b32_e32 v7, s6, v7
	v_xor_b32_e32 v9, s7, v9
	v_bitop3_b32 v2, v2, v6, v5 bitop3:0x80
	v_mad_u32_u24 v5, 0x44, v4, v8
	v_xor_b32_e32 v3, s8, v3
	v_xor_b32_e32 v6, s9, v56
	s_delay_alu instid0(VALU_DEP_4) | instskip(SKIP_3) | instid1(VALU_DEP_2)
	v_bitop3_b32 v2, v2, v9, v7 bitop3:0x80
	ds_load_b32 v56, v5 offset:64
	; wave barrier
	v_bitop3_b32 v2, v2, v6, v3 bitop3:0x80
	v_mul_u32_u24_e32 v3, 0x44, v4
	v_mbcnt_lo_u32_b32 v57, v2, 0
	v_cmp_ne_u32_e64 s3, 0, v2
	s_delay_alu instid0(VALU_DEP_3) | instskip(NEXT) | instid1(VALU_DEP_3)
	v_add_nc_u32_e32 v59, v8, v3
	v_cmp_eq_u32_e32 vcc_lo, 0, v57
	s_and_b32 s4, s3, vcc_lo
	s_delay_alu instid0(SALU_CYCLE_1)
	s_and_saveexec_b32 s3, s4
	s_cbranch_execz .LBB611_53
; %bb.52:
	s_wait_dscnt 0x0
	v_bcnt_u32_b32 v2, v2, v56
	ds_store_b32 v59, v2 offset:64
.LBB611_53:
	s_or_b32 exec_lo, exec_lo, s3
	; wave barrier
	s_wait_dscnt 0x0
	s_barrier_signal -1
	s_barrier_wait -1
	ds_load_2addr_b32 v[8:9], v12 offset0:16 offset1:17
	ds_load_2addr_b32 v[6:7], v12 offset0:18 offset1:19
	;; [unrolled: 1-line block ×4, first 2 shown]
	ds_load_b32 v60, v12 offset:96
	s_mov_b32 s7, exec_lo
	s_wait_dscnt 0x3
	v_add3_u32 v61, v9, v8, v6
	s_wait_dscnt 0x2
	s_delay_alu instid0(VALU_DEP_1) | instskip(SKIP_1) | instid1(VALU_DEP_1)
	v_add3_u32 v61, v61, v7, v4
	s_wait_dscnt 0x1
	v_add3_u32 v61, v61, v5, v2
	s_wait_dscnt 0x0
	s_delay_alu instid0(VALU_DEP_1) | instskip(SKIP_1) | instid1(VALU_DEP_2)
	v_add3_u32 v60, v61, v3, v60
	v_and_b32_e32 v61, 15, v15
	v_mov_b32_dpp v62, v60 row_shr:1 row_mask:0xf bank_mask:0xf
	s_delay_alu instid0(VALU_DEP_2) | instskip(NEXT) | instid1(VALU_DEP_2)
	v_cmp_eq_u32_e32 vcc_lo, 0, v61
	v_cndmask_b32_e64 v62, v62, 0, vcc_lo
	s_delay_alu instid0(VALU_DEP_1) | instskip(SKIP_3) | instid1(VALU_DEP_4)
	v_add_nc_u32_e32 v60, v62, v60
	v_cmp_lt_u32_e64 s3, 1, v61
	v_cmp_lt_u32_e64 s4, 3, v61
	;; [unrolled: 1-line block ×3, first 2 shown]
	v_mov_b32_dpp v62, v60 row_shr:2 row_mask:0xf bank_mask:0xf
	s_delay_alu instid0(VALU_DEP_1) | instskip(NEXT) | instid1(VALU_DEP_1)
	v_cndmask_b32_e64 v62, 0, v62, s3
	v_add_nc_u32_e32 v60, v60, v62
	s_delay_alu instid0(VALU_DEP_1) | instskip(NEXT) | instid1(VALU_DEP_1)
	v_mov_b32_dpp v62, v60 row_shr:4 row_mask:0xf bank_mask:0xf
	v_cndmask_b32_e64 v62, 0, v62, s4
	s_delay_alu instid0(VALU_DEP_1) | instskip(NEXT) | instid1(VALU_DEP_1)
	v_add_nc_u32_e32 v60, v60, v62
	v_mov_b32_dpp v62, v60 row_shr:8 row_mask:0xf bank_mask:0xf
	s_delay_alu instid0(VALU_DEP_1) | instskip(SKIP_1) | instid1(VALU_DEP_2)
	v_cndmask_b32_e64 v61, 0, v62, s5
	v_bfe_i32 v62, v15, 4, 1
	v_add_nc_u32_e32 v60, v60, v61
	ds_swizzle_b32 v61, v60 offset:swizzle(BROADCAST,32,15)
	s_wait_dscnt 0x0
	v_and_b32_e32 v61, v62, v61
	v_min_u32_e32 v62, 0x1e0, v16
	s_delay_alu instid0(VALU_DEP_2) | instskip(NEXT) | instid1(VALU_DEP_2)
	v_dual_add_nc_u32 v60, v60, v61 :: v_dual_lshrrev_b32 v61, 5, v14
	v_or_b32_e32 v62, 31, v62
	s_delay_alu instid0(VALU_DEP_1)
	v_cmpx_eq_u32_e64 v14, v62
; %bb.54:
	s_delay_alu instid0(VALU_DEP_3)
	v_lshlrev_b32_e32 v62, 2, v61
	ds_store_b32 v62, v60
; %bb.55:
	s_or_b32 exec_lo, exec_lo, s7
	s_delay_alu instid0(SALU_CYCLE_1)
	s_mov_b32 s7, exec_lo
	s_wait_dscnt 0x0
	s_barrier_signal -1
	s_barrier_wait -1
	v_cmpx_gt_u32_e32 16, v14
	s_cbranch_execz .LBB611_57
; %bb.56:
	v_lshlrev_b32_e32 v62, 2, v14
	ds_load_b32 v63, v62
	s_wait_dscnt 0x0
	v_mov_b32_dpp v64, v63 row_shr:1 row_mask:0xf bank_mask:0xf
	s_delay_alu instid0(VALU_DEP_1) | instskip(NEXT) | instid1(VALU_DEP_1)
	v_cndmask_b32_e64 v64, v64, 0, vcc_lo
	v_add_nc_u32_e32 v63, v64, v63
	s_delay_alu instid0(VALU_DEP_1) | instskip(NEXT) | instid1(VALU_DEP_1)
	v_mov_b32_dpp v64, v63 row_shr:2 row_mask:0xf bank_mask:0xf
	v_cndmask_b32_e64 v64, 0, v64, s3
	s_delay_alu instid0(VALU_DEP_1) | instskip(NEXT) | instid1(VALU_DEP_1)
	v_add_nc_u32_e32 v63, v63, v64
	v_mov_b32_dpp v64, v63 row_shr:4 row_mask:0xf bank_mask:0xf
	s_delay_alu instid0(VALU_DEP_1) | instskip(NEXT) | instid1(VALU_DEP_1)
	v_cndmask_b32_e64 v64, 0, v64, s4
	v_add_nc_u32_e32 v63, v63, v64
	s_delay_alu instid0(VALU_DEP_1) | instskip(NEXT) | instid1(VALU_DEP_1)
	v_mov_b32_dpp v64, v63 row_shr:8 row_mask:0xf bank_mask:0xf
	v_cndmask_b32_e64 v64, 0, v64, s5
	s_delay_alu instid0(VALU_DEP_1)
	v_add_nc_u32_e32 v63, v63, v64
	ds_store_b32 v62, v63
.LBB611_57:
	s_or_b32 exec_lo, exec_lo, s7
	v_mov_b32_e32 v62, 0
	s_mov_b32 s3, exec_lo
	s_wait_dscnt 0x0
	s_barrier_signal -1
	s_barrier_wait -1
	v_cmpx_lt_u32_e32 31, v14
; %bb.58:
	v_lshl_add_u32 v61, v61, 2, -4
	ds_load_b32 v62, v61
; %bb.59:
	s_or_b32 exec_lo, exec_lo, s3
	v_sub_co_u32 v61, vcc_lo, v15, 1
	s_wait_dscnt 0x0
	v_add_nc_u32_e32 v60, v62, v60
	s_delay_alu instid0(VALU_DEP_2) | instskip(NEXT) | instid1(VALU_DEP_1)
	v_cmp_gt_i32_e64 s3, 0, v61
	v_cndmask_b32_e64 v61, v61, v15, s3
	v_cmp_gt_u32_e64 s3, 0x100, v14
	s_delay_alu instid0(VALU_DEP_2) | instskip(SKIP_4) | instid1(VALU_DEP_2)
	v_lshlrev_b32_e32 v61, 2, v61
	ds_bpermute_b32 v60, v61, v60
	s_wait_dscnt 0x0
	v_cndmask_b32_e32 v60, v60, v62, vcc_lo
	v_cmp_lt_u32_e32 vcc_lo, 0xff, v14
	v_cndmask_b32_e64 v60, v60, 0, s2
	s_delay_alu instid0(VALU_DEP_1) | instskip(NEXT) | instid1(VALU_DEP_1)
	v_add_nc_u32_e32 v8, v60, v8
	v_add_nc_u32_e32 v9, v8, v9
	s_delay_alu instid0(VALU_DEP_1) | instskip(NEXT) | instid1(VALU_DEP_1)
	v_add_nc_u32_e32 v6, v9, v6
	v_add_nc_u32_e32 v7, v6, v7
	s_delay_alu instid0(VALU_DEP_1) | instskip(NEXT) | instid1(VALU_DEP_1)
	v_add_nc_u32_e32 v4, v7, v4
	v_add_nc_u32_e32 v5, v4, v5
	s_delay_alu instid0(VALU_DEP_1) | instskip(NEXT) | instid1(VALU_DEP_1)
	v_add_nc_u32_e32 v2, v5, v2
	v_add_nc_u32_e32 v3, v2, v3
	ds_store_2addr_b32 v12, v60, v8 offset0:16 offset1:17
	ds_store_2addr_b32 v12, v9, v6 offset0:18 offset1:19
	;; [unrolled: 1-line block ×4, first 2 shown]
	ds_store_b32 v12, v3 offset:96
	s_wait_dscnt 0x0
	s_barrier_signal -1
	s_barrier_wait -1
	ds_load_b32 v61, v13 offset:64
	ds_load_b32 v62, v20 offset:64
	;; [unrolled: 1-line block ×12, first 2 shown]
	v_mov_b64_e32 v[2:3], 0
                                        ; implicit-def: $vgpr4
	s_and_saveexec_b32 s5, s3
	s_cbranch_execz .LBB611_63
; %bb.60:
	v_mul_u32_u24_e32 v2, 0x44, v14
	v_dual_mov_b32 v3, 0x1800 :: v_dual_add_nc_u32 v4, 1, v14
	s_mov_b32 s6, exec_lo
	ds_load_b32 v2, v2 offset:64
	v_cmpx_ne_u32_e32 0x100, v4
; %bb.61:
	v_mul_u32_u24_e32 v3, 0x44, v4
	ds_load_b32 v3, v3 offset:64
; %bb.62:
	s_or_b32 exec_lo, exec_lo, s6
	s_wait_dscnt 0x0
	v_dual_mov_b32 v3, 0 :: v_dual_sub_nc_u32 v4, v3, v2
.LBB611_63:
	s_or_b32 exec_lo, exec_lo, s5
	v_dual_lshlrev_b32 v10, 1, v10 :: v_dual_lshlrev_b32 v19, 1, v19
	s_wait_dscnt 0xa
	v_lshlrev_b32_e32 v28, 1, v62
	v_dual_lshlrev_b32 v18, 1, v18 :: v_dual_lshlrev_b32 v23, 1, v23
	s_delay_alu instid0(VALU_DEP_3) | instskip(SKIP_2) | instid1(VALU_DEP_3)
	v_lshl_add_u32 v10, v61, 1, v10
	v_lshlrev_b32_e32 v22, 1, v22
	s_wait_dscnt 0x0
	v_add3_u32 v18, v28, v19, v18
	v_lshlrev_b32_e32 v19, 1, v60
	s_barrier_signal -1
	s_barrier_wait -1
	ds_store_b16 v10, v1 offset:2048
	ds_store_b16 v18, v11 offset:2048
	v_lshlrev_b32_e32 v10, 1, v24
	v_add3_u32 v1, v19, v23, v22
	v_dual_lshlrev_b32 v11, 1, v27 :: v_dual_lshlrev_b32 v18, 1, v26
	v_dual_lshlrev_b32 v22, 1, v29 :: v_dual_lshlrev_b32 v23, 1, v34
	v_dual_lshlrev_b32 v13, 1, v13 :: v_dual_lshlrev_b32 v12, 1, v12
	v_dual_lshlrev_b32 v24, 1, v33 :: v_dual_lshlrev_b32 v26, 1, v39
	v_dual_lshlrev_b32 v19, 1, v20 :: v_dual_lshlrev_b32 v20, 1, v31
	v_dual_lshlrev_b32 v27, 1, v38 :: v_dual_lshlrev_b32 v9, 1, v9
	ds_store_b16 v1, v17 offset:2048
	v_add3_u32 v1, v10, v11, v18
	v_add3_u32 v11, v13, v23, v24
	v_dual_lshlrev_b32 v13, 1, v43 :: v_dual_lshlrev_b32 v17, 1, v41
	v_add3_u32 v10, v19, v20, v22
	v_add3_u32 v12, v12, v26, v27
	ds_store_b16 v1, v21 offset:2048
	ds_store_b16 v10, v25 offset:2048
	;; [unrolled: 1-line block ×4, first 2 shown]
	v_add3_u32 v1, v9, v13, v17
	v_dual_lshlrev_b32 v8, 1, v8 :: v_dual_lshlrev_b32 v9, 1, v46
	v_dual_lshlrev_b32 v10, 1, v44 :: v_dual_lshlrev_b32 v7, 1, v7
	;; [unrolled: 1-line block ×6, first 2 shown]
	ds_store_b16 v1, v36 offset:2048
	v_add3_u32 v8, v8, v9, v10
	v_add3_u32 v9, v7, v11, v12
	v_dual_mov_b32 v7, 0 :: v_dual_lshlrev_b32 v1, 3, v14
	v_add3_u32 v6, v6, v13, v17
	v_add3_u32 v5, v5, v18, v19
	ds_store_b16 v8, v40 offset:2048
	ds_store_b16 v9, v45 offset:2048
	;; [unrolled: 1-line block ×4, first 2 shown]
	s_and_saveexec_b32 s4, s3
	s_cbranch_execz .LBB611_73
; %bb.64:
	v_lshl_add_u32 v6, s23, 8, v14
	v_dual_mov_b32 v10, 0 :: v_dual_bitop2_b32 v5, 2.0, v4 bitop3:0x54
	s_mov_b32 s5, 0
	s_mov_b32 s6, s23
	s_delay_alu instid0(VALU_DEP_2)
	v_lshl_add_u64 v[8:9], v[6:7], 2, s[10:11]
	global_store_b32 v6, v5, s[10:11] scale_offset scope:SCOPE_DEV
                                        ; implicit-def: $sgpr3
	s_branch .LBB611_67
.LBB611_65:                             ;   in Loop: Header=BB611_67 Depth=1
	s_or_b32 exec_lo, exec_lo, s8
.LBB611_66:                             ;   in Loop: Header=BB611_67 Depth=1
	s_delay_alu instid0(SALU_CYCLE_1) | instskip(SKIP_2) | instid1(VALU_DEP_2)
	s_or_b32 exec_lo, exec_lo, s7
	v_and_b32_e32 v6, 0x3fffffff, v5
	v_cmp_gt_i32_e64 s3, -2.0, v5
	v_add_nc_u32_e32 v10, v6, v10
	s_and_b32 s7, exec_lo, s3
	s_delay_alu instid0(SALU_CYCLE_1) | instskip(NEXT) | instid1(SALU_CYCLE_1)
	s_or_b32 s5, s7, s5
	s_and_not1_b32 exec_lo, exec_lo, s5
	s_cbranch_execz .LBB611_72
.LBB611_67:                             ; =>This Loop Header: Depth=1
                                        ;     Child Loop BB611_70 Depth 2
	s_or_b32 s3, s3, exec_lo
	s_cmp_eq_u32 s6, 0
	s_cbranch_scc1 .LBB611_71
; %bb.68:                               ;   in Loop: Header=BB611_67 Depth=1
	s_add_co_i32 s6, s6, -1
	s_mov_b32 s7, exec_lo
	s_wait_xcnt 0x0
	v_lshl_or_b32 v6, s6, 8, v14
	global_load_b32 v5, v6, s[10:11] scale_offset scope:SCOPE_DEV
	s_wait_loadcnt 0x0
	v_cmpx_gt_u32_e32 2.0, v5
	s_cbranch_execz .LBB611_66
; %bb.69:                               ;   in Loop: Header=BB611_67 Depth=1
	v_lshl_add_u64 v[12:13], v[6:7], 2, s[10:11]
	s_mov_b32 s8, 0
.LBB611_70:                             ;   Parent Loop BB611_67 Depth=1
                                        ; =>  This Inner Loop Header: Depth=2
	global_load_b32 v5, v[12:13], off scope:SCOPE_DEV
	s_wait_loadcnt 0x0
	v_cmp_lt_u32_e64 s3, 0x3fffffff, v5
	s_or_b32 s8, s3, s8
	s_wait_xcnt 0x0
	s_and_not1_b32 exec_lo, exec_lo, s8
	s_cbranch_execnz .LBB611_70
	s_branch .LBB611_65
.LBB611_71:                             ;   in Loop: Header=BB611_67 Depth=1
                                        ; implicit-def: $sgpr6
	s_and_b32 s7, exec_lo, s3
	s_delay_alu instid0(SALU_CYCLE_1)
	s_or_b32 s5, s7, s5
	s_wait_xcnt 0x0
	s_and_not1_b32 exec_lo, exec_lo, s5
	s_cbranch_execnz .LBB611_67
.LBB611_72:
	s_or_b32 exec_lo, exec_lo, s5
	v_dual_add_nc_u32 v5, v10, v4 :: v_dual_mov_b32 v11, 0
	s_delay_alu instid0(VALU_DEP_1)
	v_or_b32_e32 v5, 0x80000000, v5
	global_store_b32 v[8:9], v5, off scope:SCOPE_DEV
	global_load_b64 v[6:7], v14, s[12:13] scale_offset
	s_wait_xcnt 0x1
	v_sub_nc_u64_e32 v[8:9], v[10:11], v[2:3]
	s_wait_loadcnt 0x0
	s_delay_alu instid0(VALU_DEP_1)
	v_add_nc_u64_e32 v[6:7], v[8:9], v[6:7]
	ds_store_b64 v1, v[6:7]
.LBB611_73:
	s_wait_xcnt 0x0
	s_or_b32 exec_lo, exec_lo, s4
	v_mad_i32_i24 v5, v14, -6, v1
	s_mov_b32 s4, exec_lo
	s_wait_storecnt_dscnt 0x0
	s_barrier_signal -1
	s_barrier_wait -1
	v_cmpx_gt_u32_e64 s22, v14
	s_cbranch_execz .LBB611_75
; %bb.74:
	ds_load_u16 v10, v5 offset:2048
	v_dual_mov_b32 v9, 0 :: v_dual_lshlrev_b32 v8, 1, v14
	s_wait_dscnt 0x0
	v_and_b32_e32 v6, 0xffff, v10
	s_delay_alu instid0(VALU_DEP_1) | instskip(NEXT) | instid1(VALU_DEP_1)
	v_lshrrev_b32_e32 v6, s20, v6
	v_and_b32_e32 v6, s29, v6
	s_delay_alu instid0(VALU_DEP_1) | instskip(SKIP_3) | instid1(VALU_DEP_1)
	v_lshlrev_b32_e32 v6, 3, v6
	ds_load_b64 v[6:7], v6
	s_wait_dscnt 0x0
	v_lshl_add_u64 v[6:7], v[6:7], 1, s[18:19]
	v_add_nc_u64_e32 v[6:7], v[6:7], v[8:9]
	v_xor_b32_e32 v8, 0x7fff, v10
	global_store_b16 v[6:7], v8, off
.LBB611_75:
	s_wait_xcnt 0x0
	s_or_b32 exec_lo, exec_lo, s4
	v_add_nc_u32_e32 v6, 0x200, v14
	s_mov_b32 s4, exec_lo
	s_delay_alu instid0(VALU_DEP_1)
	v_cmpx_gt_u32_e64 s22, v6
	s_cbranch_execz .LBB611_77
; %bb.76:
	ds_load_u16 v10, v5 offset:3072
	v_dual_mov_b32 v9, 0 :: v_dual_lshlrev_b32 v8, 1, v14
	s_wait_dscnt 0x0
	v_and_b32_e32 v6, 0xffff, v10
	s_delay_alu instid0(VALU_DEP_1) | instskip(NEXT) | instid1(VALU_DEP_1)
	v_lshrrev_b32_e32 v6, s20, v6
	v_and_b32_e32 v6, s29, v6
	s_delay_alu instid0(VALU_DEP_1) | instskip(SKIP_3) | instid1(VALU_DEP_1)
	v_lshlrev_b32_e32 v6, 3, v6
	ds_load_b64 v[6:7], v6
	s_wait_dscnt 0x0
	v_lshl_add_u64 v[6:7], v[6:7], 1, s[18:19]
	v_add_nc_u64_e32 v[6:7], v[6:7], v[8:9]
	v_xor_b32_e32 v8, 0x7fff, v10
	global_store_b16 v[6:7], v8, off offset:1024
.LBB611_77:
	s_wait_xcnt 0x0
	s_or_b32 exec_lo, exec_lo, s4
	v_or_b32_e32 v6, 0x400, v14
	s_mov_b32 s4, exec_lo
	s_delay_alu instid0(VALU_DEP_1)
	v_cmpx_gt_u32_e64 s22, v6
	s_cbranch_execz .LBB611_79
; %bb.78:
	ds_load_u16 v10, v5 offset:4096
	v_dual_mov_b32 v9, 0 :: v_dual_lshlrev_b32 v8, 1, v14
	s_wait_dscnt 0x0
	v_and_b32_e32 v6, 0xffff, v10
	s_delay_alu instid0(VALU_DEP_1) | instskip(NEXT) | instid1(VALU_DEP_1)
	v_lshrrev_b32_e32 v6, s20, v6
	v_and_b32_e32 v6, s29, v6
	s_delay_alu instid0(VALU_DEP_1) | instskip(SKIP_3) | instid1(VALU_DEP_1)
	v_lshlrev_b32_e32 v6, 3, v6
	ds_load_b64 v[6:7], v6
	s_wait_dscnt 0x0
	v_lshl_add_u64 v[6:7], v[6:7], 1, s[18:19]
	v_add_nc_u64_e32 v[6:7], v[6:7], v[8:9]
	v_xor_b32_e32 v8, 0x7fff, v10
	global_store_b16 v[6:7], v8, off offset:2048
.LBB611_79:
	s_wait_xcnt 0x0
	s_or_b32 exec_lo, exec_lo, s4
	v_add_nc_u32_e32 v6, 0x600, v14
	s_mov_b32 s4, exec_lo
	s_delay_alu instid0(VALU_DEP_1)
	v_cmpx_gt_u32_e64 s22, v6
	s_cbranch_execz .LBB611_81
; %bb.80:
	ds_load_u16 v10, v5 offset:5120
	v_dual_mov_b32 v9, 0 :: v_dual_lshlrev_b32 v8, 1, v14
	s_wait_dscnt 0x0
	v_and_b32_e32 v6, 0xffff, v10
	s_delay_alu instid0(VALU_DEP_1) | instskip(NEXT) | instid1(VALU_DEP_1)
	v_lshrrev_b32_e32 v6, s20, v6
	v_and_b32_e32 v6, s29, v6
	s_delay_alu instid0(VALU_DEP_1) | instskip(SKIP_3) | instid1(VALU_DEP_1)
	v_lshlrev_b32_e32 v6, 3, v6
	ds_load_b64 v[6:7], v6
	s_wait_dscnt 0x0
	v_lshl_add_u64 v[6:7], v[6:7], 1, s[18:19]
	v_add_nc_u64_e32 v[6:7], v[6:7], v[8:9]
	v_xor_b32_e32 v8, 0x7fff, v10
	global_store_b16 v[6:7], v8, off offset:3072
.LBB611_81:
	s_wait_xcnt 0x0
	s_or_b32 exec_lo, exec_lo, s4
	v_or_b32_e32 v6, 0x800, v14
	s_mov_b32 s4, exec_lo
	s_delay_alu instid0(VALU_DEP_1)
	v_cmpx_gt_u32_e64 s22, v6
	s_cbranch_execz .LBB611_83
; %bb.82:
	ds_load_u16 v10, v5 offset:6144
	v_dual_mov_b32 v9, 0 :: v_dual_lshlrev_b32 v8, 1, v14
	s_wait_dscnt 0x0
	v_and_b32_e32 v6, 0xffff, v10
	s_delay_alu instid0(VALU_DEP_1) | instskip(NEXT) | instid1(VALU_DEP_1)
	v_lshrrev_b32_e32 v6, s20, v6
	v_and_b32_e32 v6, s29, v6
	s_delay_alu instid0(VALU_DEP_1) | instskip(SKIP_3) | instid1(VALU_DEP_1)
	v_lshlrev_b32_e32 v6, 3, v6
	ds_load_b64 v[6:7], v6
	s_wait_dscnt 0x0
	v_lshl_add_u64 v[6:7], v[6:7], 1, s[18:19]
	v_add_nc_u64_e32 v[6:7], v[6:7], v[8:9]
	v_xor_b32_e32 v8, 0x7fff, v10
	global_store_b16 v[6:7], v8, off offset:4096
.LBB611_83:
	;; [unrolled: 48-line block ×3, first 2 shown]
	s_wait_xcnt 0x0
	s_or_b32 exec_lo, exec_lo, s4
	v_add_nc_u32_e32 v6, 0xe00, v14
	s_mov_b32 s4, exec_lo
	s_delay_alu instid0(VALU_DEP_1)
	v_cmpx_gt_u32_e64 s22, v6
	s_cbranch_execz .LBB611_89
; %bb.88:
	ds_load_u16 v5, v5 offset:9216
	v_dual_mov_b32 v9, 0 :: v_dual_lshlrev_b32 v8, 1, v14
	s_wait_dscnt 0x0
	v_and_b32_e32 v6, 0xffff, v5
	v_xor_b32_e32 v5, 0x7fff, v5
	s_delay_alu instid0(VALU_DEP_2) | instskip(NEXT) | instid1(VALU_DEP_1)
	v_lshrrev_b32_e32 v6, s20, v6
	v_and_b32_e32 v6, s29, v6
	s_delay_alu instid0(VALU_DEP_1) | instskip(SKIP_3) | instid1(VALU_DEP_1)
	v_lshlrev_b32_e32 v6, 3, v6
	ds_load_b64 v[6:7], v6
	s_wait_dscnt 0x0
	v_lshl_add_u64 v[6:7], v[6:7], 1, s[18:19]
	v_add_nc_u64_e32 v[6:7], v[6:7], v[8:9]
	global_store_b16 v[6:7], v5, off offset:7168
.LBB611_89:
	s_wait_xcnt 0x0
	s_or_b32 exec_lo, exec_lo, s4
	v_or_b32_e32 v5, 0x1000, v14
	s_mov_b32 s4, exec_lo
	s_delay_alu instid0(VALU_DEP_1)
	v_cmpx_gt_u32_e64 s22, v5
	s_cbranch_execz .LBB611_91
; %bb.90:
	v_lshlrev_b32_e32 v6, 1, v14
	ds_load_u16 v5, v6 offset:10240
	s_wait_dscnt 0x0
	v_and_b32_e32 v7, 0xffff, v5
	v_xor_b32_e32 v5, 0x7fff, v5
	s_delay_alu instid0(VALU_DEP_2) | instskip(NEXT) | instid1(VALU_DEP_1)
	v_lshrrev_b32_e32 v7, s20, v7
	v_and_b32_e32 v7, s29, v7
	s_delay_alu instid0(VALU_DEP_1) | instskip(SKIP_4) | instid1(VALU_DEP_1)
	v_lshlrev_b32_e32 v7, 3, v7
	ds_load_b64 v[8:9], v7
	v_mov_b32_e32 v7, 0
	s_wait_dscnt 0x0
	v_lshl_add_u64 v[8:9], v[8:9], 1, s[18:19]
	v_add_nc_u64_e32 v[6:7], v[8:9], v[6:7]
	global_store_b16 v[6:7], v5, off offset:8192
.LBB611_91:
	s_wait_xcnt 0x0
	s_or_b32 exec_lo, exec_lo, s4
	v_add_nc_u32_e32 v5, 0x1200, v14
	s_mov_b32 s4, exec_lo
	s_delay_alu instid0(VALU_DEP_1)
	v_cmpx_gt_u32_e64 s22, v5
	s_cbranch_execz .LBB611_93
; %bb.92:
	v_lshlrev_b32_e32 v6, 1, v14
	ds_load_u16 v5, v6 offset:11264
	s_wait_dscnt 0x0
	v_and_b32_e32 v7, 0xffff, v5
	v_xor_b32_e32 v5, 0x7fff, v5
	s_delay_alu instid0(VALU_DEP_2) | instskip(NEXT) | instid1(VALU_DEP_1)
	v_lshrrev_b32_e32 v7, s20, v7
	v_and_b32_e32 v7, s29, v7
	s_delay_alu instid0(VALU_DEP_1) | instskip(SKIP_4) | instid1(VALU_DEP_1)
	v_lshlrev_b32_e32 v7, 3, v7
	ds_load_b64 v[8:9], v7
	v_mov_b32_e32 v7, 0
	s_wait_dscnt 0x0
	v_lshl_add_u64 v[8:9], v[8:9], 1, s[18:19]
	v_add_nc_u64_e32 v[6:7], v[8:9], v[6:7]
	global_store_b16 v[6:7], v5, off offset:9216
.LBB611_93:
	s_wait_xcnt 0x0
	s_or_b32 exec_lo, exec_lo, s4
	v_or_b32_e32 v5, 0x1400, v14
	s_mov_b32 s4, exec_lo
	s_delay_alu instid0(VALU_DEP_1)
	v_cmpx_gt_u32_e64 s22, v5
	s_cbranch_execz .LBB611_95
; %bb.94:
	v_lshlrev_b32_e32 v6, 1, v14
	ds_load_u16 v5, v6 offset:12288
	s_wait_dscnt 0x0
	v_and_b32_e32 v7, 0xffff, v5
	v_xor_b32_e32 v5, 0x7fff, v5
	s_delay_alu instid0(VALU_DEP_2) | instskip(NEXT) | instid1(VALU_DEP_1)
	v_lshrrev_b32_e32 v7, s20, v7
	v_and_b32_e32 v7, s29, v7
	s_delay_alu instid0(VALU_DEP_1) | instskip(SKIP_4) | instid1(VALU_DEP_1)
	v_lshlrev_b32_e32 v7, 3, v7
	ds_load_b64 v[8:9], v7
	v_mov_b32_e32 v7, 0
	s_wait_dscnt 0x0
	v_lshl_add_u64 v[8:9], v[8:9], 1, s[18:19]
	v_add_nc_u64_e32 v[6:7], v[8:9], v[6:7]
	global_store_b16 v[6:7], v5, off offset:10240
.LBB611_95:
	s_wait_xcnt 0x0
	s_or_b32 exec_lo, exec_lo, s4
	v_add_nc_u32_e32 v5, 0x1600, v14
	s_mov_b32 s4, exec_lo
	s_delay_alu instid0(VALU_DEP_1)
	v_cmpx_gt_u32_e64 s22, v5
	s_cbranch_execz .LBB611_97
; %bb.96:
	v_lshlrev_b32_e32 v6, 1, v14
	ds_load_u16 v5, v6 offset:13312
	s_wait_dscnt 0x0
	v_and_b32_e32 v7, 0xffff, v5
	v_xor_b32_e32 v5, 0x7fff, v5
	s_delay_alu instid0(VALU_DEP_2) | instskip(NEXT) | instid1(VALU_DEP_1)
	v_lshrrev_b32_e32 v7, s20, v7
	v_and_b32_e32 v7, s29, v7
	s_delay_alu instid0(VALU_DEP_1) | instskip(SKIP_4) | instid1(VALU_DEP_1)
	v_lshlrev_b32_e32 v7, 3, v7
	ds_load_b64 v[8:9], v7
	v_mov_b32_e32 v7, 0
	s_wait_dscnt 0x0
	v_lshl_add_u64 v[8:9], v[8:9], 1, s[18:19]
	v_add_nc_u64_e32 v[6:7], v[8:9], v[6:7]
	global_store_b16 v[6:7], v5, off offset:11264
.LBB611_97:
	s_wait_xcnt 0x0
	s_or_b32 exec_lo, exec_lo, s4
	s_add_co_i32 s25, s25, -1
	s_delay_alu instid0(SALU_CYCLE_1) | instskip(SKIP_2) | instid1(SALU_CYCLE_1)
	s_cmp_eq_u32 s23, s25
	s_cselect_b32 s3, -1, 0
	s_xor_b32 s4, vcc_lo, -1
	s_and_b32 s4, s4, s3
	s_delay_alu instid0(SALU_CYCLE_1)
	s_and_saveexec_b32 s3, s4
	s_cbranch_execz .LBB611_99
; %bb.98:
	ds_load_b64 v[6:7], v1
	v_mov_b32_e32 v5, 0
	s_delay_alu instid0(VALU_DEP_1) | instskip(SKIP_1) | instid1(VALU_DEP_1)
	v_add_nc_u64_e32 v[2:3], v[2:3], v[4:5]
	s_wait_dscnt 0x0
	v_add_nc_u64_e32 v[2:3], v[2:3], v[6:7]
	global_store_b64 v14, v[2:3], s[14:15] scale_offset
.LBB611_99:
	s_wait_xcnt 0x0
	s_or_b32 exec_lo, exec_lo, s3
	s_mov_b32 s4, 0
.LBB611_100:
	s_delay_alu instid0(SALU_CYCLE_1)
	s_and_b32 vcc_lo, exec_lo, s4
	s_cbranch_vccz .LBB611_147
; %bb.101:
	s_mov_b32 s25, 0
	v_dual_mov_b32 v9, 0 :: v_dual_lshlrev_b32 v8, 1, v15
	s_lshl_b64 s[4:5], s[24:25], 1
	v_mul_u32_u24_e32 v1, 12, v16
	s_add_nc_u64 s[4:5], s[16:17], s[4:5]
	v_bfe_u32 v12, v0, 10, 10
	v_add_nc_u64_e32 v[2:3], s[4:5], v[8:9]
	v_bfe_u32 v0, v0, 20, 10
	v_lshlrev_b32_e32 v8, 1, v1
	s_delay_alu instid0(VALU_DEP_1)
	v_add_nc_u64_e32 v[18:19], v[2:3], v[8:9]
	s_clause 0xb
	global_load_u16 v8, v[18:19], off
	global_load_u16 v10, v[18:19], off offset:64
	global_load_u16 v13, v[18:19], off offset:128
	;; [unrolled: 1-line block ×11, first 2 shown]
	s_clause 0x1
	s_load_b32 s8, s[0:1], 0x58
	s_load_u16 s3, s[0:1], 0x66
	s_wait_xcnt 0x0
	s_bfe_u32 s0, ttmp6, 0x4000c
	s_and_b32 s1, ttmp6, 15
	s_add_co_i32 s0, s0, 1
	s_delay_alu instid0(SALU_CYCLE_1) | instskip(NEXT) | instid1(SALU_CYCLE_1)
	s_mul_i32 s0, ttmp9, s0
	s_add_co_i32 s1, s1, s0
	s_cmp_eq_u32 s28, 0
	s_cselect_b32 s0, ttmp9, s1
	s_wait_kmcnt 0x0
	s_cmp_lt_u32 s0, s8
	v_mad_u32_u24 v0, v0, s3, v12
	s_cselect_b32 s24, 12, 18
	s_lshl_b32 s9, -1, s21
	s_add_nc_u64 s[0:1], s[26:27], s[24:25]
	s_load_u16 s16, s[0:1], 0x0
	s_wait_kmcnt 0x0
	v_mad_u32 v0, v0, s16, v14
	s_delay_alu instid0(VALU_DEP_1) | instskip(NEXT) | instid1(VALU_DEP_1)
	v_lshrrev_b32_e32 v0, 5, v0
	v_lshlrev_b32_e32 v0, 2, v0
	s_wait_loadcnt 0xb
	v_xor_b32_e32 v8, 0x7fff, v8
	s_delay_alu instid0(VALU_DEP_1) | instskip(NEXT) | instid1(VALU_DEP_1)
	v_and_b32_e32 v11, 0xffff, v8
	v_lshrrev_b32_e32 v11, s20, v11
	s_delay_alu instid0(VALU_DEP_1) | instskip(SKIP_2) | instid1(VALU_DEP_2)
	v_bitop3_b32 v12, v11, 1, s9 bitop3:0x40
	v_bitop3_b32 v18, v11, s9, v11 bitop3:0x30
	s_not_b32 s9, s9
	v_add_co_u32 v11, s0, v12, -1
	s_delay_alu instid0(VALU_DEP_1) | instskip(NEXT) | instid1(VALU_DEP_3)
	v_cndmask_b32_e64 v12, 0, 1, s0
	v_dual_lshlrev_b32 v17, 30, v18 :: v_dual_lshlrev_b32 v19, 29, v18
	v_dual_lshlrev_b32 v21, 28, v18 :: v_dual_lshlrev_b32 v22, 27, v18
	s_delay_alu instid0(VALU_DEP_3) | instskip(NEXT) | instid1(VALU_DEP_3)
	v_cmp_ne_u32_e32 vcc_lo, 0, v12
	v_not_b32_e32 v12, v17
	v_dual_lshlrev_b32 v23, 26, v18 :: v_dual_lshlrev_b32 v25, 25, v18
	v_lshlrev_b32_e32 v26, 24, v18
	v_cmp_gt_i32_e64 s0, 0, v17
	v_cmp_gt_i32_e64 s1, 0, v19
	v_not_b32_e32 v17, v19
	v_not_b32_e32 v19, v21
	v_ashrrev_i32_e32 v12, 31, v12
	v_cmp_gt_i32_e64 s3, 0, v21
	v_cmp_gt_i32_e64 s4, 0, v22
	v_not_b32_e32 v21, v22
	v_not_b32_e32 v22, v23
	v_dual_ashrrev_i32 v17, 31, v17 :: v_dual_bitop2_b32 v11, vcc_lo, v11 bitop3:0x14
	v_dual_ashrrev_i32 v19, 31, v19 :: v_dual_bitop2_b32 v12, s0, v12 bitop3:0x14
	v_cmp_gt_i32_e64 s5, 0, v23
	v_cmp_gt_i32_e64 s6, 0, v25
	v_not_b32_e32 v23, v25
	v_not_b32_e32 v25, v26
	v_dual_ashrrev_i32 v21, 31, v21 :: v_dual_ashrrev_i32 v22, 31, v22
	v_xor_b32_e32 v17, s1, v17
	v_xor_b32_e32 v19, s3, v19
	v_bitop3_b32 v11, v11, v12, exec_lo bitop3:0x80
	v_cmp_gt_i32_e64 s7, 0, v26
	v_dual_ashrrev_i32 v12, 31, v23 :: v_dual_ashrrev_i32 v23, 31, v25
	v_xor_b32_e32 v21, s4, v21
	v_xor_b32_e32 v22, s5, v22
	v_bitop3_b32 v11, v11, v19, v17 bitop3:0x80
	s_delay_alu instid0(VALU_DEP_4) | instskip(SKIP_1) | instid1(VALU_DEP_3)
	v_xor_b32_e32 v12, s6, v12
	v_xor_b32_e32 v17, s7, v23
	v_bitop3_b32 v19, v11, v22, v21 bitop3:0x80
	v_mul_u32_u24_e32 v11, 36, v14
	ds_store_2addr_b32 v11, v9, v9 offset0:16 offset1:17
	ds_store_2addr_b32 v11, v9, v9 offset0:18 offset1:19
	;; [unrolled: 1-line block ×4, first 2 shown]
	v_bitop3_b32 v17, v19, v17, v12 bitop3:0x80
	ds_store_b32 v11, v9 offset:96
	v_mad_u32_u24 v12, 0x44, v18, v0
	s_wait_storecnt 0x0
	s_wait_loadcnt_dscnt 0x0
	s_barrier_signal -1
	v_mbcnt_lo_u32_b32 v9, v17, 0
	v_cmp_ne_u32_e64 s0, 0, v17
	s_barrier_wait -1
	s_delay_alu instid0(VALU_DEP_2) | instskip(SKIP_1) | instid1(SALU_CYCLE_1)
	v_cmp_eq_u32_e32 vcc_lo, 0, v9
	; wave barrier
	s_and_b32 s1, s0, vcc_lo
	s_and_saveexec_b32 s0, s1
; %bb.102:
	v_bcnt_u32_b32 v17, v17, 0
	ds_store_b32 v12, v17 offset:64
; %bb.103:
	s_or_b32 exec_lo, exec_lo, s0
	v_xor_b32_e32 v10, 0x7fff, v10
	; wave barrier
	s_delay_alu instid0(VALU_DEP_1) | instskip(NEXT) | instid1(VALU_DEP_1)
	v_and_b32_e32 v17, 0xffff, v10
	v_lshrrev_b32_e32 v17, s20, v17
	s_delay_alu instid0(VALU_DEP_1) | instskip(SKIP_1) | instid1(VALU_DEP_2)
	v_bitop3_b32 v18, v17, 1, s9 bitop3:0x80
	v_and_b32_e32 v17, s9, v17
	v_add_co_u32 v18, s0, v18, -1
	s_delay_alu instid0(VALU_DEP_1) | instskip(NEXT) | instid1(VALU_DEP_3)
	v_cndmask_b32_e64 v19, 0, 1, s0
	v_dual_lshlrev_b32 v21, 30, v17 :: v_dual_lshlrev_b32 v22, 29, v17
	v_lshlrev_b32_e32 v23, 28, v17
	s_delay_alu instid0(VALU_DEP_3) | instskip(NEXT) | instid1(VALU_DEP_3)
	v_cmp_ne_u32_e32 vcc_lo, 0, v19
	v_cmp_gt_i32_e64 s0, 0, v21
	v_not_b32_e32 v19, v21
	v_cmp_gt_i32_e64 s1, 0, v22
	v_not_b32_e32 v21, v22
	v_not_b32_e32 v22, v23
	s_delay_alu instid0(VALU_DEP_4) | instskip(NEXT) | instid1(VALU_DEP_2)
	v_dual_ashrrev_i32 v19, 31, v19 :: v_dual_bitop2_b32 v18, vcc_lo, v18 bitop3:0x14
	v_dual_ashrrev_i32 v21, 31, v21 :: v_dual_ashrrev_i32 v22, 31, v22
	v_dual_lshlrev_b32 v25, 27, v17 :: v_dual_lshlrev_b32 v26, 26, v17
	v_dual_lshlrev_b32 v27, 25, v17 :: v_dual_lshlrev_b32 v28, 24, v17
	v_cmp_gt_i32_e64 s3, 0, v23
	s_delay_alu instid0(VALU_DEP_3)
	v_cmp_gt_i32_e64 s4, 0, v25
	v_not_b32_e32 v23, v25
	v_not_b32_e32 v25, v26
	v_xor_b32_e32 v19, s0, v19
	v_cmp_gt_i32_e64 s5, 0, v26
	v_cmp_gt_i32_e64 s6, 0, v27
	v_not_b32_e32 v26, v27
	v_not_b32_e32 v27, v28
	v_dual_ashrrev_i32 v23, 31, v23 :: v_dual_ashrrev_i32 v25, 31, v25
	s_delay_alu instid0(VALU_DEP_3) | instskip(NEXT) | instid1(VALU_DEP_3)
	v_dual_ashrrev_i32 v26, 31, v26 :: v_dual_bitop2_b32 v21, s1, v21 bitop3:0x14
	v_dual_ashrrev_i32 v27, 31, v27 :: v_dual_bitop2_b32 v22, s3, v22 bitop3:0x14
	v_bitop3_b32 v18, v18, v19, exec_lo bitop3:0x80
	v_cmp_gt_i32_e64 s7, 0, v28
	v_xor_b32_e32 v23, s4, v23
	v_xor_b32_e32 v25, s5, v25
	v_mad_u32_u24 v19, 0x44, v17, v0
	v_bitop3_b32 v18, v18, v22, v21 bitop3:0x80
	v_xor_b32_e32 v21, s6, v26
	v_xor_b32_e32 v22, s7, v27
	ds_load_b32 v17, v19 offset:64
	v_bitop3_b32 v18, v18, v25, v23 bitop3:0x80
	; wave barrier
	s_delay_alu instid0(VALU_DEP_1) | instskip(NEXT) | instid1(VALU_DEP_1)
	v_bitop3_b32 v21, v18, v22, v21 bitop3:0x80
	v_mbcnt_lo_u32_b32 v18, v21, 0
	v_cmp_ne_u32_e64 s0, 0, v21
	s_delay_alu instid0(VALU_DEP_2) | instskip(SKIP_1) | instid1(SALU_CYCLE_1)
	v_cmp_eq_u32_e32 vcc_lo, 0, v18
	s_and_b32 s1, s0, vcc_lo
	s_and_saveexec_b32 s0, s1
	s_cbranch_execz .LBB611_105
; %bb.104:
	s_wait_dscnt 0x0
	v_bcnt_u32_b32 v21, v21, v17
	ds_store_b32 v19, v21 offset:64
.LBB611_105:
	s_or_b32 exec_lo, exec_lo, s0
	v_xor_b32_e32 v13, 0x7fff, v13
	; wave barrier
	s_delay_alu instid0(VALU_DEP_1) | instskip(NEXT) | instid1(VALU_DEP_1)
	v_and_b32_e32 v21, 0xffff, v13
	v_lshrrev_b32_e32 v21, s20, v21
	s_delay_alu instid0(VALU_DEP_1) | instskip(SKIP_1) | instid1(VALU_DEP_2)
	v_bitop3_b32 v22, v21, 1, s9 bitop3:0x80
	v_and_b32_e32 v21, s9, v21
	v_add_co_u32 v22, s0, v22, -1
	s_delay_alu instid0(VALU_DEP_1) | instskip(NEXT) | instid1(VALU_DEP_3)
	v_cndmask_b32_e64 v23, 0, 1, s0
	v_dual_lshlrev_b32 v25, 30, v21 :: v_dual_lshlrev_b32 v26, 29, v21
	v_lshlrev_b32_e32 v27, 28, v21
	s_delay_alu instid0(VALU_DEP_3) | instskip(NEXT) | instid1(VALU_DEP_3)
	v_cmp_ne_u32_e32 vcc_lo, 0, v23
	v_cmp_gt_i32_e64 s0, 0, v25
	v_not_b32_e32 v23, v25
	v_cmp_gt_i32_e64 s1, 0, v26
	v_not_b32_e32 v25, v26
	v_not_b32_e32 v26, v27
	s_delay_alu instid0(VALU_DEP_4) | instskip(NEXT) | instid1(VALU_DEP_2)
	v_dual_ashrrev_i32 v23, 31, v23 :: v_dual_bitop2_b32 v22, vcc_lo, v22 bitop3:0x14
	v_dual_ashrrev_i32 v25, 31, v25 :: v_dual_ashrrev_i32 v26, 31, v26
	v_dual_lshlrev_b32 v28, 27, v21 :: v_dual_lshlrev_b32 v29, 26, v21
	v_dual_lshlrev_b32 v30, 25, v21 :: v_dual_lshlrev_b32 v31, 24, v21
	v_cmp_gt_i32_e64 s3, 0, v27
	s_delay_alu instid0(VALU_DEP_3)
	v_cmp_gt_i32_e64 s4, 0, v28
	v_not_b32_e32 v27, v28
	v_not_b32_e32 v28, v29
	v_xor_b32_e32 v23, s0, v23
	v_cmp_gt_i32_e64 s5, 0, v29
	v_cmp_gt_i32_e64 s6, 0, v30
	v_not_b32_e32 v29, v30
	v_not_b32_e32 v30, v31
	v_dual_ashrrev_i32 v27, 31, v27 :: v_dual_ashrrev_i32 v28, 31, v28
	v_xor_b32_e32 v25, s1, v25
	s_delay_alu instid0(VALU_DEP_4) | instskip(SKIP_4) | instid1(VALU_DEP_4)
	v_dual_ashrrev_i32 v29, 31, v29 :: v_dual_bitop2_b32 v26, s3, v26 bitop3:0x14
	v_bitop3_b32 v22, v22, v23, exec_lo bitop3:0x80
	v_cmp_gt_i32_e64 s7, 0, v31
	v_dual_ashrrev_i32 v30, 31, v30 :: v_dual_bitop2_b32 v27, s4, v27 bitop3:0x14
	v_xor_b32_e32 v28, s5, v28
	v_bitop3_b32 v22, v22, v26, v25 bitop3:0x80
	v_mad_u32_u24 v23, 0x44, v21, v0
	v_xor_b32_e32 v25, s6, v29
	v_xor_b32_e32 v26, s7, v30
	s_delay_alu instid0(VALU_DEP_4) | instskip(SKIP_2) | instid1(VALU_DEP_1)
	v_bitop3_b32 v22, v22, v28, v27 bitop3:0x80
	ds_load_b32 v21, v23 offset:64
	; wave barrier
	v_bitop3_b32 v25, v22, v26, v25 bitop3:0x80
	v_mbcnt_lo_u32_b32 v22, v25, 0
	v_cmp_ne_u32_e64 s0, 0, v25
	s_delay_alu instid0(VALU_DEP_2) | instskip(SKIP_1) | instid1(SALU_CYCLE_1)
	v_cmp_eq_u32_e32 vcc_lo, 0, v22
	s_and_b32 s1, s0, vcc_lo
	s_and_saveexec_b32 s0, s1
	s_cbranch_execz .LBB611_107
; %bb.106:
	s_wait_dscnt 0x0
	v_bcnt_u32_b32 v25, v25, v21
	ds_store_b32 v23, v25 offset:64
.LBB611_107:
	s_or_b32 exec_lo, exec_lo, s0
	v_xor_b32_e32 v20, 0x7fff, v20
	; wave barrier
	s_delay_alu instid0(VALU_DEP_1) | instskip(NEXT) | instid1(VALU_DEP_1)
	v_and_b32_e32 v25, 0xffff, v20
	v_lshrrev_b32_e32 v25, s20, v25
	s_delay_alu instid0(VALU_DEP_1) | instskip(SKIP_1) | instid1(VALU_DEP_2)
	v_bitop3_b32 v26, v25, 1, s9 bitop3:0x80
	v_and_b32_e32 v25, s9, v25
	v_add_co_u32 v26, s0, v26, -1
	s_delay_alu instid0(VALU_DEP_1) | instskip(NEXT) | instid1(VALU_DEP_3)
	v_cndmask_b32_e64 v27, 0, 1, s0
	v_dual_lshlrev_b32 v28, 30, v25 :: v_dual_lshlrev_b32 v29, 29, v25
	s_delay_alu instid0(VALU_DEP_2) | instskip(NEXT) | instid1(VALU_DEP_2)
	v_cmp_ne_u32_e32 vcc_lo, 0, v27
	v_cmp_gt_i32_e64 s0, 0, v28
	v_not_b32_e32 v27, v28
	s_delay_alu instid0(VALU_DEP_4) | instskip(SKIP_1) | instid1(VALU_DEP_3)
	v_not_b32_e32 v28, v29
	v_cmp_gt_i32_e64 s1, 0, v29
	v_dual_ashrrev_i32 v27, 31, v27 :: v_dual_bitop2_b32 v26, vcc_lo, v26 bitop3:0x14
	s_delay_alu instid0(VALU_DEP_3) | instskip(SKIP_2) | instid1(VALU_DEP_3)
	v_dual_ashrrev_i32 v28, 31, v28 :: v_dual_lshlrev_b32 v30, 28, v25
	v_dual_lshlrev_b32 v31, 27, v25 :: v_dual_lshlrev_b32 v32, 26, v25
	v_dual_lshlrev_b32 v33, 25, v25 :: v_dual_lshlrev_b32 v34, 24, v25
	v_not_b32_e32 v29, v30
	v_cmp_gt_i32_e64 s3, 0, v30
	s_delay_alu instid0(VALU_DEP_4)
	v_cmp_gt_i32_e64 s4, 0, v31
	v_not_b32_e32 v30, v31
	v_not_b32_e32 v31, v32
	v_dual_ashrrev_i32 v29, 31, v29 :: v_dual_bitop2_b32 v27, s0, v27 bitop3:0x14
	v_cmp_gt_i32_e64 s5, 0, v32
	v_cmp_gt_i32_e64 s6, 0, v33
	v_not_b32_e32 v32, v33
	v_not_b32_e32 v33, v34
	v_dual_ashrrev_i32 v30, 31, v30 :: v_dual_ashrrev_i32 v31, 31, v31
	v_xor_b32_e32 v28, s1, v28
	s_delay_alu instid0(VALU_DEP_4) | instskip(SKIP_4) | instid1(VALU_DEP_4)
	v_dual_ashrrev_i32 v32, 31, v32 :: v_dual_bitop2_b32 v29, s3, v29 bitop3:0x14
	v_bitop3_b32 v26, v26, v27, exec_lo bitop3:0x80
	v_cmp_gt_i32_e64 s7, 0, v34
	v_dual_ashrrev_i32 v33, 31, v33 :: v_dual_bitop2_b32 v30, s4, v30 bitop3:0x14
	v_xor_b32_e32 v31, s5, v31
	v_bitop3_b32 v26, v26, v29, v28 bitop3:0x80
	v_mad_u32_u24 v27, 0x44, v25, v0
	v_xor_b32_e32 v28, s6, v32
	v_xor_b32_e32 v29, s7, v33
	s_delay_alu instid0(VALU_DEP_4) | instskip(SKIP_2) | instid1(VALU_DEP_1)
	v_bitop3_b32 v26, v26, v31, v30 bitop3:0x80
	ds_load_b32 v25, v27 offset:64
	; wave barrier
	v_bitop3_b32 v28, v26, v29, v28 bitop3:0x80
	v_mbcnt_lo_u32_b32 v26, v28, 0
	v_cmp_ne_u32_e64 s0, 0, v28
	s_delay_alu instid0(VALU_DEP_2) | instskip(SKIP_1) | instid1(SALU_CYCLE_1)
	v_cmp_eq_u32_e32 vcc_lo, 0, v26
	s_and_b32 s1, s0, vcc_lo
	s_and_saveexec_b32 s0, s1
	s_cbranch_execz .LBB611_109
; %bb.108:
	s_wait_dscnt 0x0
	v_bcnt_u32_b32 v28, v28, v25
	ds_store_b32 v27, v28 offset:64
.LBB611_109:
	s_or_b32 exec_lo, exec_lo, s0
	v_xor_b32_e32 v24, 0x7fff, v24
	; wave barrier
	s_delay_alu instid0(VALU_DEP_1) | instskip(NEXT) | instid1(VALU_DEP_1)
	v_and_b32_e32 v28, 0xffff, v24
	v_lshrrev_b32_e32 v28, s20, v28
	s_delay_alu instid0(VALU_DEP_1) | instskip(SKIP_1) | instid1(VALU_DEP_2)
	v_bitop3_b32 v29, v28, 1, s9 bitop3:0x80
	v_and_b32_e32 v28, s9, v28
	v_add_co_u32 v29, s0, v29, -1
	s_delay_alu instid0(VALU_DEP_1) | instskip(NEXT) | instid1(VALU_DEP_3)
	v_cndmask_b32_e64 v30, 0, 1, s0
	v_dual_lshlrev_b32 v31, 30, v28 :: v_dual_lshlrev_b32 v32, 29, v28
	s_delay_alu instid0(VALU_DEP_2) | instskip(NEXT) | instid1(VALU_DEP_2)
	v_cmp_ne_u32_e32 vcc_lo, 0, v30
	v_cmp_gt_i32_e64 s0, 0, v31
	v_not_b32_e32 v30, v31
	s_delay_alu instid0(VALU_DEP_4) | instskip(SKIP_1) | instid1(VALU_DEP_3)
	v_not_b32_e32 v31, v32
	v_cmp_gt_i32_e64 s1, 0, v32
	v_dual_ashrrev_i32 v30, 31, v30 :: v_dual_bitop2_b32 v29, vcc_lo, v29 bitop3:0x14
	s_delay_alu instid0(VALU_DEP_3) | instskip(SKIP_2) | instid1(VALU_DEP_3)
	v_dual_ashrrev_i32 v31, 31, v31 :: v_dual_lshlrev_b32 v33, 28, v28
	v_dual_lshlrev_b32 v34, 27, v28 :: v_dual_lshlrev_b32 v35, 26, v28
	v_dual_lshlrev_b32 v36, 25, v28 :: v_dual_lshlrev_b32 v37, 24, v28
	v_not_b32_e32 v32, v33
	v_cmp_gt_i32_e64 s3, 0, v33
	s_delay_alu instid0(VALU_DEP_4)
	v_cmp_gt_i32_e64 s4, 0, v34
	v_not_b32_e32 v33, v34
	v_not_b32_e32 v34, v35
	v_dual_ashrrev_i32 v32, 31, v32 :: v_dual_bitop2_b32 v30, s0, v30 bitop3:0x14
	v_cmp_gt_i32_e64 s5, 0, v35
	v_cmp_gt_i32_e64 s6, 0, v36
	v_not_b32_e32 v35, v36
	v_not_b32_e32 v36, v37
	v_dual_ashrrev_i32 v33, 31, v33 :: v_dual_ashrrev_i32 v34, 31, v34
	v_xor_b32_e32 v31, s1, v31
	v_xor_b32_e32 v32, s3, v32
	v_bitop3_b32 v29, v29, v30, exec_lo bitop3:0x80
	v_cmp_gt_i32_e64 s7, 0, v37
	v_dual_ashrrev_i32 v30, 31, v35 :: v_dual_ashrrev_i32 v35, 31, v36
	v_xor_b32_e32 v33, s4, v33
	v_xor_b32_e32 v34, s5, v34
	v_bitop3_b32 v29, v29, v32, v31 bitop3:0x80
	v_mad_u32_u24 v31, 0x44, v28, v0
	v_xor_b32_e32 v30, s6, v30
	v_xor_b32_e32 v32, s7, v35
	s_delay_alu instid0(VALU_DEP_4) | instskip(SKIP_2) | instid1(VALU_DEP_1)
	v_bitop3_b32 v29, v29, v34, v33 bitop3:0x80
	ds_load_b32 v28, v31 offset:64
	; wave barrier
	v_bitop3_b32 v29, v29, v32, v30 bitop3:0x80
	v_mbcnt_lo_u32_b32 v30, v29, 0
	v_cmp_ne_u32_e64 s0, 0, v29
	s_delay_alu instid0(VALU_DEP_2) | instskip(SKIP_1) | instid1(SALU_CYCLE_1)
	v_cmp_eq_u32_e32 vcc_lo, 0, v30
	s_and_b32 s1, s0, vcc_lo
	s_and_saveexec_b32 s0, s1
	s_cbranch_execz .LBB611_111
; %bb.110:
	s_wait_dscnt 0x0
	v_bcnt_u32_b32 v29, v29, v28
	ds_store_b32 v31, v29 offset:64
.LBB611_111:
	s_or_b32 exec_lo, exec_lo, s0
	v_xor_b32_e32 v29, 0x7fff, v7
	; wave barrier
	s_delay_alu instid0(VALU_DEP_1) | instskip(NEXT) | instid1(VALU_DEP_1)
	v_and_b32_e32 v7, 0xffff, v29
	v_lshrrev_b32_e32 v7, s20, v7
	s_delay_alu instid0(VALU_DEP_1) | instskip(SKIP_1) | instid1(VALU_DEP_2)
	v_bitop3_b32 v32, v7, 1, s9 bitop3:0x80
	v_and_b32_e32 v7, s9, v7
	v_add_co_u32 v32, s0, v32, -1
	s_delay_alu instid0(VALU_DEP_1) | instskip(NEXT) | instid1(VALU_DEP_3)
	v_cndmask_b32_e64 v33, 0, 1, s0
	v_dual_lshlrev_b32 v34, 30, v7 :: v_dual_lshlrev_b32 v35, 29, v7
	s_delay_alu instid0(VALU_DEP_2) | instskip(NEXT) | instid1(VALU_DEP_2)
	v_cmp_ne_u32_e32 vcc_lo, 0, v33
	v_cmp_gt_i32_e64 s0, 0, v34
	v_not_b32_e32 v33, v34
	s_delay_alu instid0(VALU_DEP_4) | instskip(SKIP_1) | instid1(VALU_DEP_3)
	v_not_b32_e32 v34, v35
	v_cmp_gt_i32_e64 s1, 0, v35
	v_dual_ashrrev_i32 v33, 31, v33 :: v_dual_bitop2_b32 v32, vcc_lo, v32 bitop3:0x14
	s_delay_alu instid0(VALU_DEP_3) | instskip(SKIP_2) | instid1(VALU_DEP_3)
	v_dual_ashrrev_i32 v34, 31, v34 :: v_dual_lshlrev_b32 v36, 28, v7
	v_dual_lshlrev_b32 v37, 27, v7 :: v_dual_lshlrev_b32 v38, 26, v7
	v_dual_lshlrev_b32 v39, 25, v7 :: v_dual_lshlrev_b32 v40, 24, v7
	v_not_b32_e32 v35, v36
	v_cmp_gt_i32_e64 s3, 0, v36
	s_delay_alu instid0(VALU_DEP_4)
	v_cmp_gt_i32_e64 s4, 0, v37
	v_not_b32_e32 v36, v37
	v_not_b32_e32 v37, v38
	v_dual_ashrrev_i32 v35, 31, v35 :: v_dual_bitop2_b32 v33, s0, v33 bitop3:0x14
	v_cmp_gt_i32_e64 s5, 0, v38
	v_cmp_gt_i32_e64 s6, 0, v39
	v_not_b32_e32 v38, v39
	v_not_b32_e32 v39, v40
	v_dual_ashrrev_i32 v36, 31, v36 :: v_dual_ashrrev_i32 v37, 31, v37
	v_xor_b32_e32 v34, s1, v34
	v_xor_b32_e32 v35, s3, v35
	v_bitop3_b32 v32, v32, v33, exec_lo bitop3:0x80
	v_cmp_gt_i32_e64 s7, 0, v40
	v_dual_ashrrev_i32 v33, 31, v38 :: v_dual_ashrrev_i32 v38, 31, v39
	v_xor_b32_e32 v36, s4, v36
	v_xor_b32_e32 v37, s5, v37
	v_bitop3_b32 v32, v32, v35, v34 bitop3:0x80
	v_mad_u32_u24 v35, 0x44, v7, v0
	v_xor_b32_e32 v7, s6, v33
	v_xor_b32_e32 v33, s7, v38
	s_delay_alu instid0(VALU_DEP_4) | instskip(SKIP_2) | instid1(VALU_DEP_1)
	v_bitop3_b32 v34, v32, v37, v36 bitop3:0x80
	ds_load_b32 v32, v35 offset:64
	; wave barrier
	v_bitop3_b32 v7, v34, v33, v7 bitop3:0x80
	v_mbcnt_lo_u32_b32 v34, v7, 0
	v_cmp_ne_u32_e64 s0, 0, v7
	s_delay_alu instid0(VALU_DEP_2) | instskip(SKIP_1) | instid1(SALU_CYCLE_1)
	v_cmp_eq_u32_e32 vcc_lo, 0, v34
	s_and_b32 s1, s0, vcc_lo
	s_and_saveexec_b32 s0, s1
	s_cbranch_execz .LBB611_113
; %bb.112:
	s_wait_dscnt 0x0
	v_bcnt_u32_b32 v7, v7, v32
	ds_store_b32 v35, v7 offset:64
.LBB611_113:
	s_or_b32 exec_lo, exec_lo, s0
	v_xor_b32_e32 v33, 0x7fff, v6
	; wave barrier
	s_delay_alu instid0(VALU_DEP_1) | instskip(NEXT) | instid1(VALU_DEP_1)
	v_and_b32_e32 v6, 0xffff, v33
	v_lshrrev_b32_e32 v6, s20, v6
	s_delay_alu instid0(VALU_DEP_1) | instskip(SKIP_1) | instid1(VALU_DEP_2)
	v_bitop3_b32 v7, v6, 1, s9 bitop3:0x80
	v_and_b32_e32 v6, s9, v6
	v_add_co_u32 v7, s0, v7, -1
	s_delay_alu instid0(VALU_DEP_1) | instskip(NEXT) | instid1(VALU_DEP_3)
	v_cndmask_b32_e64 v36, 0, 1, s0
	v_dual_lshlrev_b32 v37, 30, v6 :: v_dual_lshlrev_b32 v38, 29, v6
	s_delay_alu instid0(VALU_DEP_2) | instskip(NEXT) | instid1(VALU_DEP_2)
	v_cmp_ne_u32_e32 vcc_lo, 0, v36
	v_cmp_gt_i32_e64 s0, 0, v37
	v_not_b32_e32 v36, v37
	s_delay_alu instid0(VALU_DEP_4) | instskip(SKIP_1) | instid1(VALU_DEP_3)
	v_not_b32_e32 v37, v38
	v_cmp_gt_i32_e64 s1, 0, v38
	v_dual_ashrrev_i32 v36, 31, v36 :: v_dual_bitop2_b32 v7, vcc_lo, v7 bitop3:0x14
	s_delay_alu instid0(VALU_DEP_3) | instskip(SKIP_2) | instid1(VALU_DEP_3)
	v_dual_ashrrev_i32 v37, 31, v37 :: v_dual_lshlrev_b32 v39, 28, v6
	v_dual_lshlrev_b32 v40, 27, v6 :: v_dual_lshlrev_b32 v41, 26, v6
	v_dual_lshlrev_b32 v42, 25, v6 :: v_dual_lshlrev_b32 v43, 24, v6
	v_not_b32_e32 v38, v39
	v_cmp_gt_i32_e64 s3, 0, v39
	s_delay_alu instid0(VALU_DEP_4)
	v_cmp_gt_i32_e64 s4, 0, v40
	v_not_b32_e32 v39, v40
	v_not_b32_e32 v40, v41
	v_dual_ashrrev_i32 v38, 31, v38 :: v_dual_bitop2_b32 v36, s0, v36 bitop3:0x14
	v_cmp_gt_i32_e64 s5, 0, v41
	v_cmp_gt_i32_e64 s6, 0, v42
	v_not_b32_e32 v41, v42
	v_not_b32_e32 v42, v43
	v_dual_ashrrev_i32 v39, 31, v39 :: v_dual_ashrrev_i32 v40, 31, v40
	v_xor_b32_e32 v37, s1, v37
	v_xor_b32_e32 v38, s3, v38
	v_bitop3_b32 v7, v7, v36, exec_lo bitop3:0x80
	v_cmp_gt_i32_e64 s7, 0, v43
	v_dual_ashrrev_i32 v36, 31, v41 :: v_dual_ashrrev_i32 v41, 31, v42
	v_xor_b32_e32 v42, s4, v39
	v_xor_b32_e32 v40, s5, v40
	v_bitop3_b32 v7, v7, v38, v37 bitop3:0x80
	v_mad_u32_u24 v39, 0x44, v6, v0
	v_xor_b32_e32 v6, s6, v36
	v_xor_b32_e32 v36, s7, v41
	s_delay_alu instid0(VALU_DEP_4) | instskip(SKIP_2) | instid1(VALU_DEP_1)
	v_bitop3_b32 v7, v7, v40, v42 bitop3:0x80
	ds_load_b32 v37, v39 offset:64
	; wave barrier
	v_bitop3_b32 v6, v7, v36, v6 bitop3:0x80
	v_mbcnt_lo_u32_b32 v38, v6, 0
	v_cmp_ne_u32_e64 s0, 0, v6
	s_delay_alu instid0(VALU_DEP_2) | instskip(SKIP_1) | instid1(SALU_CYCLE_1)
	v_cmp_eq_u32_e32 vcc_lo, 0, v38
	s_and_b32 s1, s0, vcc_lo
	s_and_saveexec_b32 s0, s1
	s_cbranch_execz .LBB611_115
; %bb.114:
	s_wait_dscnt 0x0
	v_bcnt_u32_b32 v6, v6, v37
	ds_store_b32 v39, v6 offset:64
.LBB611_115:
	s_or_b32 exec_lo, exec_lo, s0
	v_xor_b32_e32 v36, 0x7fff, v5
	; wave barrier
	s_delay_alu instid0(VALU_DEP_1) | instskip(NEXT) | instid1(VALU_DEP_1)
	v_and_b32_e32 v5, 0xffff, v36
	v_lshrrev_b32_e32 v5, s20, v5
	s_delay_alu instid0(VALU_DEP_1) | instskip(SKIP_1) | instid1(VALU_DEP_2)
	v_bitop3_b32 v6, v5, 1, s9 bitop3:0x80
	v_and_b32_e32 v5, s9, v5
	v_add_co_u32 v6, s0, v6, -1
	s_delay_alu instid0(VALU_DEP_1) | instskip(NEXT) | instid1(VALU_DEP_3)
	v_cndmask_b32_e64 v7, 0, 1, s0
	v_dual_lshlrev_b32 v40, 30, v5 :: v_dual_lshlrev_b32 v41, 29, v5
	s_delay_alu instid0(VALU_DEP_2) | instskip(NEXT) | instid1(VALU_DEP_2)
	v_cmp_ne_u32_e32 vcc_lo, 0, v7
	v_cmp_gt_i32_e64 s0, 0, v40
	v_not_b32_e32 v7, v40
	s_delay_alu instid0(VALU_DEP_4) | instskip(SKIP_1) | instid1(VALU_DEP_3)
	v_not_b32_e32 v40, v41
	v_cmp_gt_i32_e64 s1, 0, v41
	v_dual_ashrrev_i32 v7, 31, v7 :: v_dual_bitop2_b32 v6, vcc_lo, v6 bitop3:0x14
	s_delay_alu instid0(VALU_DEP_3) | instskip(SKIP_2) | instid1(VALU_DEP_3)
	v_dual_ashrrev_i32 v40, 31, v40 :: v_dual_lshlrev_b32 v42, 28, v5
	v_dual_lshlrev_b32 v43, 27, v5 :: v_dual_lshlrev_b32 v44, 26, v5
	v_dual_lshlrev_b32 v45, 25, v5 :: v_dual_lshlrev_b32 v46, 24, v5
	v_not_b32_e32 v41, v42
	v_cmp_gt_i32_e64 s3, 0, v42
	s_delay_alu instid0(VALU_DEP_4)
	v_cmp_gt_i32_e64 s4, 0, v43
	v_not_b32_e32 v42, v43
	v_not_b32_e32 v43, v44
	v_dual_ashrrev_i32 v41, 31, v41 :: v_dual_bitop2_b32 v7, s0, v7 bitop3:0x14
	v_cmp_gt_i32_e64 s5, 0, v44
	v_cmp_gt_i32_e64 s6, 0, v45
	v_not_b32_e32 v44, v45
	v_not_b32_e32 v45, v46
	v_dual_ashrrev_i32 v42, 31, v42 :: v_dual_ashrrev_i32 v43, 31, v43
	v_xor_b32_e32 v40, s1, v40
	v_xor_b32_e32 v41, s3, v41
	v_bitop3_b32 v6, v6, v7, exec_lo bitop3:0x80
	v_cmp_gt_i32_e64 s7, 0, v46
	v_dual_ashrrev_i32 v7, 31, v44 :: v_dual_ashrrev_i32 v44, 31, v45
	v_xor_b32_e32 v42, s4, v42
	v_xor_b32_e32 v45, s5, v43
	v_bitop3_b32 v6, v6, v41, v40 bitop3:0x80
	v_mad_u32_u24 v43, 0x44, v5, v0
	v_xor_b32_e32 v5, s6, v7
	v_xor_b32_e32 v7, s7, v44
	s_delay_alu instid0(VALU_DEP_4) | instskip(SKIP_2) | instid1(VALU_DEP_1)
	v_bitop3_b32 v6, v6, v45, v42 bitop3:0x80
	ds_load_b32 v41, v43 offset:64
	; wave barrier
	v_bitop3_b32 v5, v6, v7, v5 bitop3:0x80
	v_mbcnt_lo_u32_b32 v42, v5, 0
	v_cmp_ne_u32_e64 s0, 0, v5
	s_delay_alu instid0(VALU_DEP_2) | instskip(SKIP_1) | instid1(SALU_CYCLE_1)
	v_cmp_eq_u32_e32 vcc_lo, 0, v42
	s_and_b32 s1, s0, vcc_lo
	s_and_saveexec_b32 s0, s1
	s_cbranch_execz .LBB611_117
; %bb.116:
	s_wait_dscnt 0x0
	v_bcnt_u32_b32 v5, v5, v41
	ds_store_b32 v43, v5 offset:64
.LBB611_117:
	s_or_b32 exec_lo, exec_lo, s0
	v_xor_b32_e32 v40, 0x7fff, v4
	; wave barrier
	s_delay_alu instid0(VALU_DEP_1) | instskip(NEXT) | instid1(VALU_DEP_1)
	v_and_b32_e32 v4, 0xffff, v40
	v_lshrrev_b32_e32 v4, s20, v4
	s_delay_alu instid0(VALU_DEP_1) | instskip(SKIP_1) | instid1(VALU_DEP_2)
	v_bitop3_b32 v5, v4, 1, s9 bitop3:0x80
	v_and_b32_e32 v4, s9, v4
	v_add_co_u32 v5, s0, v5, -1
	s_delay_alu instid0(VALU_DEP_1) | instskip(NEXT) | instid1(VALU_DEP_3)
	v_cndmask_b32_e64 v6, 0, 1, s0
	v_dual_lshlrev_b32 v7, 30, v4 :: v_dual_lshlrev_b32 v44, 29, v4
	s_delay_alu instid0(VALU_DEP_2) | instskip(NEXT) | instid1(VALU_DEP_2)
	v_cmp_ne_u32_e32 vcc_lo, 0, v6
	v_cmp_gt_i32_e64 s0, 0, v7
	v_not_b32_e32 v6, v7
	s_delay_alu instid0(VALU_DEP_4) | instskip(SKIP_1) | instid1(VALU_DEP_3)
	v_not_b32_e32 v7, v44
	v_cmp_gt_i32_e64 s1, 0, v44
	v_dual_ashrrev_i32 v6, 31, v6 :: v_dual_bitop2_b32 v5, vcc_lo, v5 bitop3:0x14
	s_delay_alu instid0(VALU_DEP_3) | instskip(SKIP_2) | instid1(VALU_DEP_3)
	v_dual_ashrrev_i32 v7, 31, v7 :: v_dual_lshlrev_b32 v45, 28, v4
	v_dual_lshlrev_b32 v46, 27, v4 :: v_dual_lshlrev_b32 v47, 26, v4
	v_dual_lshlrev_b32 v48, 25, v4 :: v_dual_lshlrev_b32 v49, 24, v4
	v_not_b32_e32 v44, v45
	v_cmp_gt_i32_e64 s3, 0, v45
	s_delay_alu instid0(VALU_DEP_4)
	v_cmp_gt_i32_e64 s4, 0, v46
	v_not_b32_e32 v45, v46
	v_not_b32_e32 v46, v47
	v_dual_ashrrev_i32 v44, 31, v44 :: v_dual_bitop2_b32 v6, s0, v6 bitop3:0x14
	v_cmp_gt_i32_e64 s5, 0, v47
	v_cmp_gt_i32_e64 s6, 0, v48
	v_not_b32_e32 v47, v48
	v_not_b32_e32 v48, v49
	v_dual_ashrrev_i32 v45, 31, v45 :: v_dual_ashrrev_i32 v46, 31, v46
	v_xor_b32_e32 v7, s1, v7
	v_xor_b32_e32 v44, s3, v44
	v_bitop3_b32 v5, v5, v6, exec_lo bitop3:0x80
	v_cmp_gt_i32_e64 s7, 0, v49
	v_dual_ashrrev_i32 v6, 31, v47 :: v_dual_ashrrev_i32 v48, 31, v48
	v_xor_b32_e32 v45, s4, v45
	v_xor_b32_e32 v46, s5, v46
	v_bitop3_b32 v5, v5, v44, v7 bitop3:0x80
	v_mad_u32_u24 v47, 0x44, v4, v0
	v_xor_b32_e32 v4, s6, v6
	v_xor_b32_e32 v6, s7, v48
	s_delay_alu instid0(VALU_DEP_4) | instskip(SKIP_2) | instid1(VALU_DEP_1)
	v_bitop3_b32 v5, v5, v46, v45 bitop3:0x80
	ds_load_b32 v45, v47 offset:64
	; wave barrier
	v_bitop3_b32 v4, v5, v6, v4 bitop3:0x80
	v_mbcnt_lo_u32_b32 v46, v4, 0
	v_cmp_ne_u32_e64 s0, 0, v4
	s_delay_alu instid0(VALU_DEP_2) | instskip(SKIP_1) | instid1(SALU_CYCLE_1)
	v_cmp_eq_u32_e32 vcc_lo, 0, v46
	s_and_b32 s1, s0, vcc_lo
	s_and_saveexec_b32 s0, s1
	s_cbranch_execz .LBB611_119
; %bb.118:
	s_wait_dscnt 0x0
	v_bcnt_u32_b32 v4, v4, v45
	ds_store_b32 v47, v4 offset:64
.LBB611_119:
	s_or_b32 exec_lo, exec_lo, s0
	v_xor_b32_e32 v44, 0x7fff, v3
	; wave barrier
	s_delay_alu instid0(VALU_DEP_1) | instskip(NEXT) | instid1(VALU_DEP_1)
	v_and_b32_e32 v3, 0xffff, v44
	v_lshrrev_b32_e32 v3, s20, v3
	s_delay_alu instid0(VALU_DEP_1) | instskip(SKIP_1) | instid1(VALU_DEP_2)
	v_bitop3_b32 v4, v3, 1, s9 bitop3:0x80
	v_and_b32_e32 v3, s9, v3
	v_add_co_u32 v4, s0, v4, -1
	s_delay_alu instid0(VALU_DEP_1) | instskip(NEXT) | instid1(VALU_DEP_3)
	v_cndmask_b32_e64 v5, 0, 1, s0
	v_dual_lshlrev_b32 v6, 30, v3 :: v_dual_lshlrev_b32 v7, 29, v3
	s_delay_alu instid0(VALU_DEP_2) | instskip(NEXT) | instid1(VALU_DEP_2)
	v_cmp_ne_u32_e32 vcc_lo, 0, v5
	v_cmp_gt_i32_e64 s0, 0, v6
	v_not_b32_e32 v5, v6
	s_delay_alu instid0(VALU_DEP_4) | instskip(SKIP_1) | instid1(VALU_DEP_3)
	v_not_b32_e32 v6, v7
	v_cmp_gt_i32_e64 s1, 0, v7
	v_dual_ashrrev_i32 v5, 31, v5 :: v_dual_bitop2_b32 v4, vcc_lo, v4 bitop3:0x14
	s_delay_alu instid0(VALU_DEP_3) | instskip(SKIP_2) | instid1(VALU_DEP_3)
	v_dual_ashrrev_i32 v6, 31, v6 :: v_dual_lshlrev_b32 v48, 28, v3
	v_dual_lshlrev_b32 v49, 27, v3 :: v_dual_lshlrev_b32 v50, 26, v3
	v_dual_lshlrev_b32 v51, 25, v3 :: v_dual_lshlrev_b32 v52, 24, v3
	v_not_b32_e32 v7, v48
	v_cmp_gt_i32_e64 s3, 0, v48
	s_delay_alu instid0(VALU_DEP_4)
	v_cmp_gt_i32_e64 s4, 0, v49
	v_not_b32_e32 v48, v49
	v_not_b32_e32 v49, v50
	v_dual_ashrrev_i32 v7, 31, v7 :: v_dual_bitop2_b32 v5, s0, v5 bitop3:0x14
	v_cmp_gt_i32_e64 s5, 0, v50
	v_cmp_gt_i32_e64 s6, 0, v51
	v_not_b32_e32 v50, v51
	v_not_b32_e32 v51, v52
	v_dual_ashrrev_i32 v48, 31, v48 :: v_dual_ashrrev_i32 v49, 31, v49
	v_xor_b32_e32 v6, s1, v6
	v_xor_b32_e32 v7, s3, v7
	v_bitop3_b32 v4, v4, v5, exec_lo bitop3:0x80
	v_cmp_gt_i32_e64 s7, 0, v52
	v_dual_ashrrev_i32 v5, 31, v50 :: v_dual_ashrrev_i32 v50, 31, v51
	v_xor_b32_e32 v48, s4, v48
	v_xor_b32_e32 v49, s5, v49
	v_bitop3_b32 v4, v4, v7, v6 bitop3:0x80
	v_mad_u32_u24 v52, 0x44, v3, v0
	v_xor_b32_e32 v3, s6, v5
	v_xor_b32_e32 v5, s7, v50
	s_delay_alu instid0(VALU_DEP_4) | instskip(SKIP_2) | instid1(VALU_DEP_1)
	v_bitop3_b32 v4, v4, v49, v48 bitop3:0x80
	ds_load_b32 v48, v52 offset:64
	; wave barrier
	v_bitop3_b32 v3, v4, v5, v3 bitop3:0x80
	v_mbcnt_lo_u32_b32 v50, v3, 0
	v_cmp_ne_u32_e64 s0, 0, v3
	s_delay_alu instid0(VALU_DEP_2) | instskip(SKIP_1) | instid1(SALU_CYCLE_1)
	v_cmp_eq_u32_e32 vcc_lo, 0, v50
	s_and_b32 s1, s0, vcc_lo
	s_and_saveexec_b32 s0, s1
	s_cbranch_execz .LBB611_121
; %bb.120:
	s_wait_dscnt 0x0
	v_bcnt_u32_b32 v3, v3, v48
	ds_store_b32 v52, v3 offset:64
.LBB611_121:
	s_or_b32 exec_lo, exec_lo, s0
	v_xor_b32_e32 v49, 0x7fff, v2
	; wave barrier
	s_delay_alu instid0(VALU_DEP_1) | instskip(NEXT) | instid1(VALU_DEP_1)
	v_and_b32_e32 v2, 0xffff, v49
	v_lshrrev_b32_e32 v2, s20, v2
	s_delay_alu instid0(VALU_DEP_1) | instskip(SKIP_1) | instid1(VALU_DEP_2)
	v_bitop3_b32 v3, v2, 1, s9 bitop3:0x80
	v_and_b32_e32 v2, s9, v2
	v_add_co_u32 v3, s0, v3, -1
	s_delay_alu instid0(VALU_DEP_1) | instskip(NEXT) | instid1(VALU_DEP_3)
	v_cndmask_b32_e64 v4, 0, 1, s0
	v_dual_lshlrev_b32 v5, 30, v2 :: v_dual_lshlrev_b32 v6, 29, v2
	s_delay_alu instid0(VALU_DEP_2) | instskip(NEXT) | instid1(VALU_DEP_2)
	v_cmp_ne_u32_e32 vcc_lo, 0, v4
	v_cmp_gt_i32_e64 s0, 0, v5
	v_not_b32_e32 v4, v5
	s_delay_alu instid0(VALU_DEP_4) | instskip(SKIP_1) | instid1(VALU_DEP_3)
	v_not_b32_e32 v5, v6
	v_cmp_gt_i32_e64 s1, 0, v6
	v_dual_ashrrev_i32 v4, 31, v4 :: v_dual_bitop2_b32 v3, vcc_lo, v3 bitop3:0x14
	s_delay_alu instid0(VALU_DEP_3) | instskip(SKIP_2) | instid1(VALU_DEP_3)
	v_dual_ashrrev_i32 v5, 31, v5 :: v_dual_lshlrev_b32 v7, 28, v2
	v_dual_lshlrev_b32 v51, 27, v2 :: v_dual_lshlrev_b32 v53, 26, v2
	v_dual_lshlrev_b32 v54, 25, v2 :: v_dual_lshlrev_b32 v55, 24, v2
	v_not_b32_e32 v6, v7
	v_cmp_gt_i32_e64 s3, 0, v7
	s_delay_alu instid0(VALU_DEP_4)
	v_cmp_gt_i32_e64 s4, 0, v51
	v_not_b32_e32 v7, v51
	v_not_b32_e32 v51, v53
	v_dual_ashrrev_i32 v6, 31, v6 :: v_dual_bitop2_b32 v4, s0, v4 bitop3:0x14
	v_cmp_gt_i32_e64 s5, 0, v53
	v_cmp_gt_i32_e64 s6, 0, v54
	v_not_b32_e32 v53, v54
	v_not_b32_e32 v54, v55
	v_dual_ashrrev_i32 v7, 31, v7 :: v_dual_bitop2_b32 v5, s1, v5 bitop3:0x14
	v_dual_ashrrev_i32 v51, 31, v51 :: v_dual_bitop2_b32 v6, s3, v6 bitop3:0x14
	v_bitop3_b32 v3, v3, v4, exec_lo bitop3:0x80
	v_cmp_gt_i32_e64 s7, 0, v55
	v_dual_ashrrev_i32 v4, 31, v53 :: v_dual_ashrrev_i32 v53, 31, v54
	v_xor_b32_e32 v7, s4, v7
	v_xor_b32_e32 v51, s5, v51
	v_bitop3_b32 v3, v3, v6, v5 bitop3:0x80
	v_mad_u32_u24 v57, 0x44, v2, v0
	v_xor_b32_e32 v2, s6, v4
	v_xor_b32_e32 v4, s7, v53
	s_delay_alu instid0(VALU_DEP_4) | instskip(SKIP_2) | instid1(VALU_DEP_1)
	v_bitop3_b32 v3, v3, v51, v7 bitop3:0x80
	ds_load_b32 v51, v57 offset:64
	; wave barrier
	v_bitop3_b32 v2, v3, v4, v2 bitop3:0x80
	v_mbcnt_lo_u32_b32 v54, v2, 0
	v_cmp_ne_u32_e64 s0, 0, v2
	s_delay_alu instid0(VALU_DEP_2) | instskip(SKIP_1) | instid1(SALU_CYCLE_1)
	v_cmp_eq_u32_e32 vcc_lo, 0, v54
	s_and_b32 s1, s0, vcc_lo
	s_and_saveexec_b32 s0, s1
	s_cbranch_execz .LBB611_123
; %bb.122:
	s_wait_dscnt 0x0
	v_bcnt_u32_b32 v2, v2, v51
	ds_store_b32 v57, v2 offset:64
.LBB611_123:
	s_or_b32 exec_lo, exec_lo, s0
	v_xor_b32_e32 v53, 0x7fff, v1
	; wave barrier
	s_delay_alu instid0(VALU_DEP_1) | instskip(NEXT) | instid1(VALU_DEP_1)
	v_and_b32_e32 v1, 0xffff, v53
	v_lshrrev_b32_e32 v1, s20, v1
	s_delay_alu instid0(VALU_DEP_1) | instskip(SKIP_1) | instid1(VALU_DEP_2)
	v_bitop3_b32 v2, v1, 1, s9 bitop3:0x80
	v_and_b32_e32 v1, s9, v1
	v_add_co_u32 v2, s0, v2, -1
	s_delay_alu instid0(VALU_DEP_1) | instskip(NEXT) | instid1(VALU_DEP_3)
	v_cndmask_b32_e64 v3, 0, 1, s0
	v_dual_lshlrev_b32 v4, 30, v1 :: v_dual_lshlrev_b32 v5, 29, v1
	s_delay_alu instid0(VALU_DEP_2) | instskip(NEXT) | instid1(VALU_DEP_2)
	v_cmp_ne_u32_e32 vcc_lo, 0, v3
	v_cmp_gt_i32_e64 s0, 0, v4
	v_not_b32_e32 v3, v4
	s_delay_alu instid0(VALU_DEP_4) | instskip(SKIP_1) | instid1(VALU_DEP_3)
	v_not_b32_e32 v4, v5
	v_cmp_gt_i32_e64 s1, 0, v5
	v_dual_ashrrev_i32 v3, 31, v3 :: v_dual_bitop2_b32 v2, vcc_lo, v2 bitop3:0x14
	s_delay_alu instid0(VALU_DEP_3) | instskip(SKIP_2) | instid1(VALU_DEP_3)
	v_dual_ashrrev_i32 v4, 31, v4 :: v_dual_lshlrev_b32 v6, 28, v1
	v_dual_lshlrev_b32 v7, 27, v1 :: v_dual_lshlrev_b32 v55, 26, v1
	v_dual_lshlrev_b32 v56, 25, v1 :: v_dual_lshlrev_b32 v58, 24, v1
	v_not_b32_e32 v5, v6
	v_cmp_gt_i32_e64 s3, 0, v6
	s_delay_alu instid0(VALU_DEP_4)
	v_cmp_gt_i32_e64 s4, 0, v7
	v_not_b32_e32 v6, v7
	v_not_b32_e32 v7, v55
	v_dual_ashrrev_i32 v5, 31, v5 :: v_dual_bitop2_b32 v3, s0, v3 bitop3:0x14
	v_cmp_gt_i32_e64 s5, 0, v55
	v_cmp_gt_i32_e64 s6, 0, v56
	v_not_b32_e32 v55, v56
	v_not_b32_e32 v56, v58
	v_dual_ashrrev_i32 v6, 31, v6 :: v_dual_ashrrev_i32 v7, 31, v7
	v_xor_b32_e32 v4, s1, v4
	v_xor_b32_e32 v5, s3, v5
	v_bitop3_b32 v2, v2, v3, exec_lo bitop3:0x80
	v_cmp_gt_i32_e64 s7, 0, v58
	v_dual_ashrrev_i32 v3, 31, v55 :: v_dual_ashrrev_i32 v55, 31, v56
	v_xor_b32_e32 v6, s4, v6
	v_xor_b32_e32 v7, s5, v7
	v_bitop3_b32 v2, v2, v5, v4 bitop3:0x80
	v_mad_u32_u24 v58, 0x44, v1, v0
	v_xor_b32_e32 v0, s6, v3
	v_xor_b32_e32 v1, s7, v55
	s_delay_alu instid0(VALU_DEP_4) | instskip(SKIP_2) | instid1(VALU_DEP_1)
	v_bitop3_b32 v2, v2, v7, v6 bitop3:0x80
	ds_load_b32 v55, v58 offset:64
	; wave barrier
	v_bitop3_b32 v0, v2, v1, v0 bitop3:0x80
	v_mbcnt_lo_u32_b32 v56, v0, 0
	v_cmp_ne_u32_e64 s0, 0, v0
	s_delay_alu instid0(VALU_DEP_2) | instskip(SKIP_1) | instid1(SALU_CYCLE_1)
	v_cmp_eq_u32_e32 vcc_lo, 0, v56
	s_and_b32 s1, s0, vcc_lo
	s_and_saveexec_b32 s0, s1
	s_cbranch_execz .LBB611_125
; %bb.124:
	s_wait_dscnt 0x0
	v_bcnt_u32_b32 v0, v0, v55
	ds_store_b32 v58, v0 offset:64
.LBB611_125:
	s_or_b32 exec_lo, exec_lo, s0
	; wave barrier
	s_wait_dscnt 0x0
	s_barrier_signal -1
	s_barrier_wait -1
	ds_load_2addr_b32 v[6:7], v11 offset0:16 offset1:17
	ds_load_2addr_b32 v[4:5], v11 offset0:18 offset1:19
	;; [unrolled: 1-line block ×4, first 2 shown]
	ds_load_b32 v59, v11 offset:96
	v_min_u32_e32 v16, 0x1e0, v16
	s_mov_b32 s5, exec_lo
	s_delay_alu instid0(VALU_DEP_1) | instskip(SKIP_3) | instid1(VALU_DEP_1)
	v_or_b32_e32 v62, 31, v16
	s_wait_dscnt 0x3
	v_add3_u32 v60, v7, v6, v4
	s_wait_dscnt 0x2
	v_add3_u32 v60, v60, v5, v2
	s_wait_dscnt 0x1
	s_delay_alu instid0(VALU_DEP_1) | instskip(SKIP_1) | instid1(VALU_DEP_1)
	v_add3_u32 v60, v60, v3, v0
	s_wait_dscnt 0x0
	v_add3_u32 v59, v60, v1, v59
	v_and_b32_e32 v60, 15, v15
	s_delay_alu instid0(VALU_DEP_2) | instskip(NEXT) | instid1(VALU_DEP_2)
	v_mov_b32_dpp v61, v59 row_shr:1 row_mask:0xf bank_mask:0xf
	v_cmp_eq_u32_e32 vcc_lo, 0, v60
	v_cmp_lt_u32_e64 s0, 1, v60
	s_delay_alu instid0(VALU_DEP_3) | instskip(NEXT) | instid1(VALU_DEP_1)
	v_cndmask_b32_e64 v61, v61, 0, vcc_lo
	v_add_nc_u32_e32 v59, v61, v59
	s_delay_alu instid0(VALU_DEP_1) | instskip(NEXT) | instid1(VALU_DEP_1)
	v_mov_b32_dpp v61, v59 row_shr:2 row_mask:0xf bank_mask:0xf
	v_cndmask_b32_e64 v61, 0, v61, s0
	v_cmp_lt_u32_e64 s3, 7, v60
	v_cmp_lt_u32_e64 s1, 3, v60
	s_delay_alu instid0(VALU_DEP_3) | instskip(NEXT) | instid1(VALU_DEP_1)
	v_add_nc_u32_e32 v59, v59, v61
	v_mov_b32_dpp v61, v59 row_shr:4 row_mask:0xf bank_mask:0xf
	s_delay_alu instid0(VALU_DEP_1) | instskip(NEXT) | instid1(VALU_DEP_1)
	v_cndmask_b32_e64 v61, 0, v61, s1
	v_add_nc_u32_e32 v59, v59, v61
	s_delay_alu instid0(VALU_DEP_1) | instskip(NEXT) | instid1(VALU_DEP_1)
	v_mov_b32_dpp v61, v59 row_shr:8 row_mask:0xf bank_mask:0xf
	v_cndmask_b32_e64 v60, 0, v61, s3
	v_bfe_i32 v61, v15, 4, 1
	s_delay_alu instid0(VALU_DEP_2) | instskip(SKIP_3) | instid1(VALU_DEP_1)
	v_add_nc_u32_e32 v60, v59, v60
	ds_swizzle_b32 v59, v60 offset:swizzle(BROADCAST,32,15)
	s_wait_dscnt 0x0
	v_dual_lshrrev_b32 v59, 5, v14 :: v_dual_bitop2_b32 v61, v61, v59 bitop3:0x40
	v_add_nc_u32_e32 v16, v60, v61
	v_cmpx_eq_u32_e64 v14, v62
; %bb.126:
	s_delay_alu instid0(VALU_DEP_3)
	v_lshlrev_b32_e32 v60, 2, v59
	ds_store_b32 v60, v16
; %bb.127:
	s_or_b32 exec_lo, exec_lo, s5
	s_delay_alu instid0(SALU_CYCLE_1)
	s_mov_b32 s5, exec_lo
	s_wait_dscnt 0x0
	s_barrier_signal -1
	s_barrier_wait -1
	v_cmpx_gt_u32_e32 16, v14
	s_cbranch_execz .LBB611_129
; %bb.128:
	v_lshlrev_b32_e32 v60, 2, v14
	ds_load_b32 v61, v60
	s_wait_dscnt 0x0
	v_mov_b32_dpp v62, v61 row_shr:1 row_mask:0xf bank_mask:0xf
	s_delay_alu instid0(VALU_DEP_1) | instskip(NEXT) | instid1(VALU_DEP_1)
	v_cndmask_b32_e64 v62, v62, 0, vcc_lo
	v_add_nc_u32_e32 v61, v62, v61
	s_delay_alu instid0(VALU_DEP_1) | instskip(NEXT) | instid1(VALU_DEP_1)
	v_mov_b32_dpp v62, v61 row_shr:2 row_mask:0xf bank_mask:0xf
	v_cndmask_b32_e64 v62, 0, v62, s0
	s_delay_alu instid0(VALU_DEP_1) | instskip(NEXT) | instid1(VALU_DEP_1)
	v_add_nc_u32_e32 v61, v61, v62
	v_mov_b32_dpp v62, v61 row_shr:4 row_mask:0xf bank_mask:0xf
	s_delay_alu instid0(VALU_DEP_1) | instskip(NEXT) | instid1(VALU_DEP_1)
	v_cndmask_b32_e64 v62, 0, v62, s1
	v_add_nc_u32_e32 v61, v61, v62
	s_delay_alu instid0(VALU_DEP_1) | instskip(NEXT) | instid1(VALU_DEP_1)
	v_mov_b32_dpp v62, v61 row_shr:8 row_mask:0xf bank_mask:0xf
	v_cndmask_b32_e64 v62, 0, v62, s3
	s_delay_alu instid0(VALU_DEP_1)
	v_add_nc_u32_e32 v61, v61, v62
	ds_store_b32 v60, v61
.LBB611_129:
	s_or_b32 exec_lo, exec_lo, s5
	v_mov_b32_e32 v60, 0
	s_mov_b32 s0, exec_lo
	s_wait_dscnt 0x0
	s_barrier_signal -1
	s_barrier_wait -1
	v_cmpx_lt_u32_e32 31, v14
; %bb.130:
	v_lshl_add_u32 v59, v59, 2, -4
	ds_load_b32 v60, v59
; %bb.131:
	s_or_b32 exec_lo, exec_lo, s0
	v_sub_co_u32 v59, vcc_lo, v15, 1
	s_wait_dscnt 0x0
	v_add_nc_u32_e32 v16, v60, v16
	s_delay_alu instid0(VALU_DEP_2) | instskip(NEXT) | instid1(VALU_DEP_1)
	v_cmp_gt_i32_e64 s0, 0, v59
	v_cndmask_b32_e64 v15, v59, v15, s0
	v_cmp_gt_u32_e64 s0, 0x100, v14
	s_delay_alu instid0(VALU_DEP_2) | instskip(SKIP_4) | instid1(VALU_DEP_2)
	v_lshlrev_b32_e32 v15, 2, v15
	ds_bpermute_b32 v15, v15, v16
	s_wait_dscnt 0x0
	v_cndmask_b32_e32 v15, v15, v60, vcc_lo
	v_cmp_lt_u32_e32 vcc_lo, 0xff, v14
	v_cndmask_b32_e64 v15, v15, 0, s2
	s_delay_alu instid0(VALU_DEP_1) | instskip(NEXT) | instid1(VALU_DEP_1)
	v_add_nc_u32_e32 v6, v15, v6
	v_add_nc_u32_e32 v7, v6, v7
	s_delay_alu instid0(VALU_DEP_1) | instskip(NEXT) | instid1(VALU_DEP_1)
	v_add_nc_u32_e32 v4, v7, v4
	v_add_nc_u32_e32 v5, v4, v5
	s_delay_alu instid0(VALU_DEP_1) | instskip(NEXT) | instid1(VALU_DEP_1)
	v_add_nc_u32_e32 v2, v5, v2
	v_add_nc_u32_e32 v3, v2, v3
	s_delay_alu instid0(VALU_DEP_1) | instskip(NEXT) | instid1(VALU_DEP_1)
	v_add_nc_u32_e32 v0, v3, v0
	v_add_nc_u32_e32 v1, v0, v1
	ds_store_2addr_b32 v11, v15, v6 offset0:16 offset1:17
	ds_store_2addr_b32 v11, v7, v4 offset0:18 offset1:19
	ds_store_2addr_b32 v11, v5, v2 offset0:20 offset1:21
	ds_store_2addr_b32 v11, v3, v0 offset0:22 offset1:23
	ds_store_b32 v11, v1 offset:96
	s_wait_dscnt 0x0
	s_barrier_signal -1
	s_barrier_wait -1
	ds_load_b32 v59, v12 offset:64
	ds_load_b32 v60, v19 offset:64
	;; [unrolled: 1-line block ×12, first 2 shown]
	v_mov_b64_e32 v[0:1], 0
                                        ; implicit-def: $vgpr2
	s_and_saveexec_b32 s2, s0
	s_cbranch_execz .LBB611_135
; %bb.132:
	v_mul_u32_u24_e32 v0, 0x44, v14
	v_dual_mov_b32 v1, 0x1800 :: v_dual_add_nc_u32 v2, 1, v14
	s_mov_b32 s3, exec_lo
	ds_load_b32 v0, v0 offset:64
	v_cmpx_ne_u32_e32 0x100, v2
; %bb.133:
	v_mul_u32_u24_e32 v1, 0x44, v2
	ds_load_b32 v1, v1 offset:64
; %bb.134:
	s_or_b32 exec_lo, exec_lo, s3
	s_wait_dscnt 0x0
	v_dual_mov_b32 v1, 0 :: v_dual_sub_nc_u32 v2, v1, v0
.LBB611_135:
	s_or_b32 exec_lo, exec_lo, s2
	s_wait_dscnt 0xa
	v_dual_lshlrev_b32 v9, 1, v9 :: v_dual_lshlrev_b32 v23, 1, v60
	v_dual_lshlrev_b32 v18, 1, v18 :: v_dual_lshlrev_b32 v17, 1, v17
	v_lshlrev_b32_e32 v21, 1, v21
	s_delay_alu instid0(VALU_DEP_3)
	v_lshl_add_u32 v9, v59, 1, v9
	s_wait_dscnt 0x0
	s_barrier_signal -1
	v_add3_u32 v17, v23, v18, v17
	v_dual_lshlrev_b32 v18, 1, v19 :: v_dual_lshlrev_b32 v19, 1, v22
	s_barrier_wait -1
	ds_store_b16 v9, v8 offset:2048
	ds_store_b16 v17, v10 offset:2048
	v_lshlrev_b32_e32 v9, 1, v16
	v_add3_u32 v8, v18, v19, v21
	v_dual_lshlrev_b32 v10, 1, v26 :: v_dual_lshlrev_b32 v16, 1, v25
	v_dual_lshlrev_b32 v18, 1, v28 :: v_dual_lshlrev_b32 v19, 1, v34
	;; [unrolled: 1-line block ×6, first 2 shown]
	ds_store_b16 v8, v13 offset:2048
	v_add3_u32 v8, v9, v10, v16
	v_add3_u32 v10, v12, v19, v21
	v_dual_lshlrev_b32 v12, 1, v42 :: v_dual_lshlrev_b32 v13, 1, v41
	v_add3_u32 v9, v15, v17, v18
	v_add3_u32 v11, v11, v22, v23
	ds_store_b16 v8, v20 offset:2048
	ds_store_b16 v9, v24 offset:2048
	;; [unrolled: 1-line block ×4, first 2 shown]
	v_add3_u32 v7, v7, v12, v13
	v_dual_lshlrev_b32 v6, 1, v6 :: v_dual_lshlrev_b32 v9, 1, v45
	v_dual_lshlrev_b32 v8, 1, v46 :: v_dual_lshlrev_b32 v5, 1, v5
	;; [unrolled: 1-line block ×4, first 2 shown]
	v_lshlrev_b32_e32 v3, 1, v3
	v_dual_lshlrev_b32 v16, 1, v55 :: v_dual_lshlrev_b32 v4, 1, v4
	v_lshlrev_b32_e32 v12, 1, v54
	ds_store_b16 v7, v36 offset:2048
	v_add3_u32 v6, v6, v8, v9
	v_add3_u32 v7, v5, v10, v11
	v_mov_b32_e32 v5, 0
	v_add3_u32 v8, v3, v15, v16
	v_lshlrev_b32_e32 v3, 3, v14
	v_add3_u32 v4, v4, v12, v13
	ds_store_b16 v6, v40 offset:2048
	ds_store_b16 v7, v44 offset:2048
	;; [unrolled: 1-line block ×4, first 2 shown]
	s_and_saveexec_b32 s1, s0
	s_cbranch_execz .LBB611_145
; %bb.136:
	v_lshl_add_u32 v4, s23, 8, v14
	v_dual_mov_b32 v8, 0 :: v_dual_bitop2_b32 v9, 2.0, v2 bitop3:0x54
	s_mov_b32 s2, 0
	s_mov_b32 s3, s23
	s_delay_alu instid0(VALU_DEP_2)
	v_lshl_add_u64 v[6:7], v[4:5], 2, s[10:11]
	global_store_b32 v4, v9, s[10:11] scale_offset scope:SCOPE_DEV
                                        ; implicit-def: $sgpr0
	s_branch .LBB611_139
.LBB611_137:                            ;   in Loop: Header=BB611_139 Depth=1
	s_or_b32 exec_lo, exec_lo, s5
.LBB611_138:                            ;   in Loop: Header=BB611_139 Depth=1
	s_delay_alu instid0(SALU_CYCLE_1) | instskip(SKIP_2) | instid1(VALU_DEP_2)
	s_or_b32 exec_lo, exec_lo, s4
	v_and_b32_e32 v4, 0x3fffffff, v9
	v_cmp_gt_i32_e64 s0, -2.0, v9
	v_add_nc_u32_e32 v8, v4, v8
	s_and_b32 s4, exec_lo, s0
	s_delay_alu instid0(SALU_CYCLE_1) | instskip(NEXT) | instid1(SALU_CYCLE_1)
	s_or_b32 s2, s4, s2
	s_and_not1_b32 exec_lo, exec_lo, s2
	s_cbranch_execz .LBB611_144
.LBB611_139:                            ; =>This Loop Header: Depth=1
                                        ;     Child Loop BB611_142 Depth 2
	s_or_b32 s0, s0, exec_lo
	s_cmp_eq_u32 s3, 0
	s_cbranch_scc1 .LBB611_143
; %bb.140:                              ;   in Loop: Header=BB611_139 Depth=1
	s_add_co_i32 s3, s3, -1
	s_mov_b32 s4, exec_lo
	s_wait_xcnt 0x0
	v_lshl_or_b32 v4, s3, 8, v14
	global_load_b32 v9, v4, s[10:11] scale_offset scope:SCOPE_DEV
	s_wait_loadcnt 0x0
	v_cmpx_gt_u32_e32 2.0, v9
	s_cbranch_execz .LBB611_138
; %bb.141:                              ;   in Loop: Header=BB611_139 Depth=1
	v_lshl_add_u64 v[10:11], v[4:5], 2, s[10:11]
	s_mov_b32 s5, 0
.LBB611_142:                            ;   Parent Loop BB611_139 Depth=1
                                        ; =>  This Inner Loop Header: Depth=2
	global_load_b32 v9, v[10:11], off scope:SCOPE_DEV
	s_wait_loadcnt 0x0
	v_cmp_lt_u32_e64 s0, 0x3fffffff, v9
	s_or_b32 s5, s0, s5
	s_wait_xcnt 0x0
	s_and_not1_b32 exec_lo, exec_lo, s5
	s_cbranch_execnz .LBB611_142
	s_branch .LBB611_137
.LBB611_143:                            ;   in Loop: Header=BB611_139 Depth=1
                                        ; implicit-def: $sgpr3
	s_and_b32 s4, exec_lo, s0
	s_delay_alu instid0(SALU_CYCLE_1)
	s_or_b32 s2, s4, s2
	s_wait_xcnt 0x0
	s_and_not1_b32 exec_lo, exec_lo, s2
	s_cbranch_execnz .LBB611_139
.LBB611_144:
	s_or_b32 exec_lo, exec_lo, s2
	v_dual_mov_b32 v9, 0 :: v_dual_add_nc_u32 v4, v8, v2
	s_delay_alu instid0(VALU_DEP_1) | instskip(SKIP_4) | instid1(VALU_DEP_1)
	v_or_b32_e32 v4, 0x80000000, v4
	global_store_b32 v[6:7], v4, off scope:SCOPE_DEV
	global_load_b64 v[4:5], v14, s[12:13] scale_offset
	v_sub_nc_u64_e32 v[6:7], v[8:9], v[0:1]
	s_wait_loadcnt 0x0
	v_add_nc_u64_e32 v[4:5], v[6:7], v[4:5]
	ds_store_b64 v3, v[4:5]
.LBB611_145:
	s_wait_xcnt 0x0
	s_or_b32 exec_lo, exec_lo, s1
	v_mad_i32_i24 v15, v14, -6, v3
	s_wait_storecnt_dscnt 0x0
	s_barrier_signal -1
	s_barrier_wait -1
	ds_load_u16 v6, v15 offset:2048
	ds_load_u16 v7, v15 offset:3072
	;; [unrolled: 1-line block ×8, first 2 shown]
	v_dual_mov_b32 v5, 0 :: v_dual_lshlrev_b32 v4, 1, v14
	s_add_co_i32 s8, s8, -1
	s_delay_alu instid0(SALU_CYCLE_1) | instskip(SKIP_2) | instid1(SALU_CYCLE_1)
	s_cmp_eq_u32 s23, s8
	s_cselect_b32 s0, -1, 0
	s_xor_b32 s1, vcc_lo, -1
	s_and_b32 s0, s1, s0
	s_wait_dscnt 0x7
	v_and_b32_e32 v10, 0xffff, v6
	v_xor_b32_e32 v20, 0x7fff, v6
	s_wait_dscnt 0x6
	v_and_b32_e32 v6, 0xffff, v7
	v_xor_b32_e32 v21, 0x7fff, v7
	;; [unrolled: 3-line block ×4, first 2 shown]
	s_wait_dscnt 0x3
	v_and_b32_e32 v9, 0xffff, v22
	v_dual_lshrrev_b32 v10, s20, v10 :: v_dual_lshrrev_b32 v7, s20, v7
	v_dual_lshrrev_b32 v6, s20, v6 :: v_dual_lshrrev_b32 v8, s20, v8
	s_wait_dscnt 0x2
	v_and_b32_e32 v11, 0xffff, v24
	s_delay_alu instid0(VALU_DEP_3) | instskip(NEXT) | instid1(VALU_DEP_3)
	v_dual_lshrrev_b32 v16, s20, v9 :: v_dual_bitop2_b32 v9, s9, v10 bitop3:0x40
	v_and_b32_e32 v6, s9, v6
	v_and_b32_e32 v7, s9, v7
	s_wait_dscnt 0x1
	v_and_b32_e32 v12, 0xffff, v26
	s_wait_dscnt 0x0
	v_and_b32_e32 v13, 0xffff, v27
	v_dual_lshrrev_b32 v17, s20, v11 :: v_dual_bitop2_b32 v18, s9, v8 bitop3:0x40
	v_dual_lshlrev_b32 v8, 3, v9 :: v_dual_lshlrev_b32 v9, 3, v6
	v_dual_lshlrev_b32 v10, 3, v7 :: v_dual_lshrrev_b32 v12, s20, v12
	ds_load_u16 v29, v15 offset:10240
	ds_load_u16 v30, v15 offset:11264
	;; [unrolled: 1-line block ×3, first 2 shown]
	ds_load_b64 v[6:7], v8
	ds_load_b64 v[8:9], v9
	;; [unrolled: 1-line block ×3, first 2 shown]
	v_dual_lshrrev_b32 v13, s20, v13 :: v_dual_bitop2_b32 v16, s9, v16 bitop3:0x40
	v_dual_lshlrev_b32 v18, 3, v18 :: v_dual_bitop2_b32 v17, s9, v17 bitop3:0x40
	v_and_b32_e32 v19, s9, v12
	s_delay_alu instid0(VALU_DEP_3)
	v_dual_lshlrev_b32 v16, 3, v16 :: v_dual_bitop2_b32 v25, s9, v13 bitop3:0x40
	ds_load_b64 v[12:13], v18
	v_dual_lshlrev_b32 v18, 3, v17 :: v_dual_lshlrev_b32 v32, 3, v19
	v_lshlrev_b32_e32 v25, 3, v25
	ds_load_u16 v15, v15 offset:13312
	ds_load_b64 v[16:17], v16
	ds_load_b64 v[18:19], v18
	s_wait_dscnt 0x9
	v_and_b32_e32 v33, 0xffff, v29
	s_wait_dscnt 0x8
	v_and_b32_e32 v34, 0xffff, v30
	;; [unrolled: 2-line block ×3, first 2 shown]
	s_wait_dscnt 0x6
	v_lshl_add_u64 v[6:7], v[6:7], 1, s[18:19]
	s_wait_dscnt 0x5
	v_lshl_add_u64 v[8:9], v[8:9], 1, s[18:19]
	;; [unrolled: 2-line block ×3, first 2 shown]
	v_dual_lshrrev_b32 v33, s20, v33 :: v_dual_lshrrev_b32 v34, s20, v34
	v_add_nc_u64_e32 v[6:7], v[6:7], v[4:5]
	v_add_nc_u64_e32 v[8:9], v[8:9], v[4:5]
	s_delay_alu instid0(VALU_DEP_4) | instskip(NEXT) | instid1(VALU_DEP_4)
	v_add_nc_u64_e32 v[10:11], v[10:11], v[4:5]
	v_and_b32_e32 v33, s9, v33
	s_clause 0x2
	global_store_b16 v[6:7], v20, off
	global_store_b16 v[8:9], v21, off offset:1024
	global_store_b16 v[10:11], v23, off offset:2048
	s_wait_dscnt 0x2
	s_wait_xcnt 0x0
	v_and_b32_e32 v10, 0xffff, v15
	v_dual_lshrrev_b32 v21, s20, v35 :: v_dual_bitop2_b32 v34, s9, v34 bitop3:0x40
	v_lshlrev_b32_e32 v20, 3, v33
	ds_load_b64 v[6:7], v32
	ds_load_b64 v[8:9], v25
	v_lshrrev_b32_e32 v25, s20, v10
	s_wait_dscnt 0x3
	v_lshl_add_u64 v[10:11], v[16:17], 1, s[18:19]
	v_dual_lshlrev_b32 v23, 3, v34 :: v_dual_bitop2_b32 v32, s9, v21 bitop3:0x40
	ds_load_b64 v[16:17], v20
	v_xor_b32_e32 v33, 0x7fff, v22
	v_xor_b32_e32 v34, 0x7fff, v24
	ds_load_b64 v[20:21], v23
	v_dual_lshlrev_b32 v25, 3, v32 :: v_dual_bitop2_b32 v23, s9, v25 bitop3:0x40
	v_lshl_add_u64 v[12:13], v[12:13], 1, s[18:19]
	s_wait_dscnt 0x4
	v_lshl_add_u64 v[18:19], v[18:19], 1, s[18:19]
	v_add_nc_u64_e32 v[10:11], v[10:11], v[4:5]
	v_lshlrev_b32_e32 v32, 3, v23
	ds_load_b64 v[22:23], v25
	v_add_nc_u64_e32 v[12:13], v[12:13], v[4:5]
	v_add_nc_u64_e32 v[18:19], v[18:19], v[4:5]
	ds_load_b64 v[24:25], v32
	s_wait_dscnt 0x5
	v_lshl_add_u64 v[6:7], v[6:7], 1, s[18:19]
	s_wait_dscnt 0x4
	v_lshl_add_u64 v[8:9], v[8:9], 1, s[18:19]
	s_clause 0x2
	global_store_b16 v[12:13], v28, off offset:3072
	global_store_b16 v[10:11], v33, off offset:4096
	;; [unrolled: 1-line block ×3, first 2 shown]
	v_add_nc_u64_e32 v[6:7], v[6:7], v[4:5]
	v_add_nc_u64_e32 v[8:9], v[8:9], v[4:5]
	s_wait_xcnt 0x0
	v_xor_b32_e32 v18, 0x7fff, v26
	s_wait_dscnt 0x3
	v_lshl_add_u64 v[10:11], v[16:17], 1, s[18:19]
	v_xor_b32_e32 v16, 0x7fff, v27
	s_wait_dscnt 0x2
	v_lshl_add_u64 v[12:13], v[20:21], 1, s[18:19]
	v_xor_b32_e32 v17, 0x7fff, v29
	global_store_b16 v[6:7], v18, off offset:6144
	v_add_nc_u64_e32 v[10:11], v[10:11], v[4:5]
	global_store_b16 v[8:9], v16, off offset:7168
	s_wait_dscnt 0x1
	s_wait_xcnt 0x1
	v_lshl_add_u64 v[6:7], v[22:23], 1, s[18:19]
	v_add_nc_u64_e32 v[12:13], v[12:13], v[4:5]
	v_xor_b32_e32 v18, 0x7fff, v30
	s_wait_dscnt 0x0
	s_wait_xcnt 0x0
	v_lshl_add_u64 v[8:9], v[24:25], 1, s[18:19]
	v_add_nc_u64_e32 v[6:7], v[6:7], v[4:5]
	global_store_b16 v[10:11], v17, off offset:8192
	s_wait_xcnt 0x0
	v_xor_b32_e32 v10, 0x7fff, v31
	global_store_b16 v[12:13], v18, off offset:9216
	v_add_nc_u64_e32 v[8:9], v[8:9], v[4:5]
	v_xor_b32_e32 v4, 0x7fff, v15
	s_clause 0x1
	global_store_b16 v[6:7], v10, off offset:10240
	global_store_b16 v[8:9], v4, off offset:11264
	s_wait_xcnt 0x0
	s_and_saveexec_b32 s1, s0
	s_cbranch_execz .LBB611_147
; %bb.146:
	ds_load_b64 v[6:7], v3
	v_mov_b32_e32 v3, v5
	s_delay_alu instid0(VALU_DEP_1) | instskip(SKIP_1) | instid1(VALU_DEP_1)
	v_add_nc_u64_e32 v[0:1], v[0:1], v[2:3]
	s_wait_dscnt 0x0
	v_add_nc_u64_e32 v[0:1], v[0:1], v[6:7]
	global_store_b64 v14, v[0:1], s[14:15] scale_offset
.LBB611_147:
	s_sendmsg sendmsg(MSG_DEALLOC_VGPRS)
	s_endpgm
	.section	.rodata,"a",@progbits
	.p2align	6, 0x0
	.amdhsa_kernel _ZN7rocprim17ROCPRIM_400000_NS6detail17trampoline_kernelINS0_14default_configENS1_35radix_sort_onesweep_config_selectorIsNS0_10empty_typeEEEZZNS1_29radix_sort_onesweep_iterationIS3_Lb1EPKsPsPS5_SB_mNS0_19identity_decomposerENS1_16block_id_wrapperIjLb1EEEEE10hipError_tT1_PNSt15iterator_traitsISG_E10value_typeET2_T3_PNSH_ISM_E10value_typeET4_T5_PSR_SS_PNS1_23onesweep_lookback_stateEbbT6_jjT7_P12ihipStream_tbENKUlT_T0_SG_SL_E_clISA_SA_SB_SB_EEDaSZ_S10_SG_SL_EUlSZ_E_NS1_11comp_targetILNS1_3genE0ELNS1_11target_archE4294967295ELNS1_3gpuE0ELNS1_3repE0EEENS1_47radix_sort_onesweep_sort_config_static_selectorELNS0_4arch9wavefront6targetE0EEEvSG_
		.amdhsa_group_segment_fixed_size 18504
		.amdhsa_private_segment_fixed_size 0
		.amdhsa_kernarg_size 344
		.amdhsa_user_sgpr_count 2
		.amdhsa_user_sgpr_dispatch_ptr 0
		.amdhsa_user_sgpr_queue_ptr 0
		.amdhsa_user_sgpr_kernarg_segment_ptr 1
		.amdhsa_user_sgpr_dispatch_id 0
		.amdhsa_user_sgpr_kernarg_preload_length 0
		.amdhsa_user_sgpr_kernarg_preload_offset 0
		.amdhsa_user_sgpr_private_segment_size 0
		.amdhsa_wavefront_size32 1
		.amdhsa_uses_dynamic_stack 0
		.amdhsa_enable_private_segment 0
		.amdhsa_system_sgpr_workgroup_id_x 1
		.amdhsa_system_sgpr_workgroup_id_y 0
		.amdhsa_system_sgpr_workgroup_id_z 0
		.amdhsa_system_sgpr_workgroup_info 0
		.amdhsa_system_vgpr_workitem_id 2
		.amdhsa_next_free_vgpr 65
		.amdhsa_next_free_sgpr 30
		.amdhsa_named_barrier_count 0
		.amdhsa_reserve_vcc 1
		.amdhsa_float_round_mode_32 0
		.amdhsa_float_round_mode_16_64 0
		.amdhsa_float_denorm_mode_32 3
		.amdhsa_float_denorm_mode_16_64 3
		.amdhsa_fp16_overflow 0
		.amdhsa_memory_ordered 1
		.amdhsa_forward_progress 1
		.amdhsa_inst_pref_size 137
		.amdhsa_round_robin_scheduling 0
		.amdhsa_exception_fp_ieee_invalid_op 0
		.amdhsa_exception_fp_denorm_src 0
		.amdhsa_exception_fp_ieee_div_zero 0
		.amdhsa_exception_fp_ieee_overflow 0
		.amdhsa_exception_fp_ieee_underflow 0
		.amdhsa_exception_fp_ieee_inexact 0
		.amdhsa_exception_int_div_zero 0
	.end_amdhsa_kernel
	.section	.text._ZN7rocprim17ROCPRIM_400000_NS6detail17trampoline_kernelINS0_14default_configENS1_35radix_sort_onesweep_config_selectorIsNS0_10empty_typeEEEZZNS1_29radix_sort_onesweep_iterationIS3_Lb1EPKsPsPS5_SB_mNS0_19identity_decomposerENS1_16block_id_wrapperIjLb1EEEEE10hipError_tT1_PNSt15iterator_traitsISG_E10value_typeET2_T3_PNSH_ISM_E10value_typeET4_T5_PSR_SS_PNS1_23onesweep_lookback_stateEbbT6_jjT7_P12ihipStream_tbENKUlT_T0_SG_SL_E_clISA_SA_SB_SB_EEDaSZ_S10_SG_SL_EUlSZ_E_NS1_11comp_targetILNS1_3genE0ELNS1_11target_archE4294967295ELNS1_3gpuE0ELNS1_3repE0EEENS1_47radix_sort_onesweep_sort_config_static_selectorELNS0_4arch9wavefront6targetE0EEEvSG_,"axG",@progbits,_ZN7rocprim17ROCPRIM_400000_NS6detail17trampoline_kernelINS0_14default_configENS1_35radix_sort_onesweep_config_selectorIsNS0_10empty_typeEEEZZNS1_29radix_sort_onesweep_iterationIS3_Lb1EPKsPsPS5_SB_mNS0_19identity_decomposerENS1_16block_id_wrapperIjLb1EEEEE10hipError_tT1_PNSt15iterator_traitsISG_E10value_typeET2_T3_PNSH_ISM_E10value_typeET4_T5_PSR_SS_PNS1_23onesweep_lookback_stateEbbT6_jjT7_P12ihipStream_tbENKUlT_T0_SG_SL_E_clISA_SA_SB_SB_EEDaSZ_S10_SG_SL_EUlSZ_E_NS1_11comp_targetILNS1_3genE0ELNS1_11target_archE4294967295ELNS1_3gpuE0ELNS1_3repE0EEENS1_47radix_sort_onesweep_sort_config_static_selectorELNS0_4arch9wavefront6targetE0EEEvSG_,comdat
.Lfunc_end611:
	.size	_ZN7rocprim17ROCPRIM_400000_NS6detail17trampoline_kernelINS0_14default_configENS1_35radix_sort_onesweep_config_selectorIsNS0_10empty_typeEEEZZNS1_29radix_sort_onesweep_iterationIS3_Lb1EPKsPsPS5_SB_mNS0_19identity_decomposerENS1_16block_id_wrapperIjLb1EEEEE10hipError_tT1_PNSt15iterator_traitsISG_E10value_typeET2_T3_PNSH_ISM_E10value_typeET4_T5_PSR_SS_PNS1_23onesweep_lookback_stateEbbT6_jjT7_P12ihipStream_tbENKUlT_T0_SG_SL_E_clISA_SA_SB_SB_EEDaSZ_S10_SG_SL_EUlSZ_E_NS1_11comp_targetILNS1_3genE0ELNS1_11target_archE4294967295ELNS1_3gpuE0ELNS1_3repE0EEENS1_47radix_sort_onesweep_sort_config_static_selectorELNS0_4arch9wavefront6targetE0EEEvSG_, .Lfunc_end611-_ZN7rocprim17ROCPRIM_400000_NS6detail17trampoline_kernelINS0_14default_configENS1_35radix_sort_onesweep_config_selectorIsNS0_10empty_typeEEEZZNS1_29radix_sort_onesweep_iterationIS3_Lb1EPKsPsPS5_SB_mNS0_19identity_decomposerENS1_16block_id_wrapperIjLb1EEEEE10hipError_tT1_PNSt15iterator_traitsISG_E10value_typeET2_T3_PNSH_ISM_E10value_typeET4_T5_PSR_SS_PNS1_23onesweep_lookback_stateEbbT6_jjT7_P12ihipStream_tbENKUlT_T0_SG_SL_E_clISA_SA_SB_SB_EEDaSZ_S10_SG_SL_EUlSZ_E_NS1_11comp_targetILNS1_3genE0ELNS1_11target_archE4294967295ELNS1_3gpuE0ELNS1_3repE0EEENS1_47radix_sort_onesweep_sort_config_static_selectorELNS0_4arch9wavefront6targetE0EEEvSG_
                                        ; -- End function
	.set _ZN7rocprim17ROCPRIM_400000_NS6detail17trampoline_kernelINS0_14default_configENS1_35radix_sort_onesweep_config_selectorIsNS0_10empty_typeEEEZZNS1_29radix_sort_onesweep_iterationIS3_Lb1EPKsPsPS5_SB_mNS0_19identity_decomposerENS1_16block_id_wrapperIjLb1EEEEE10hipError_tT1_PNSt15iterator_traitsISG_E10value_typeET2_T3_PNSH_ISM_E10value_typeET4_T5_PSR_SS_PNS1_23onesweep_lookback_stateEbbT6_jjT7_P12ihipStream_tbENKUlT_T0_SG_SL_E_clISA_SA_SB_SB_EEDaSZ_S10_SG_SL_EUlSZ_E_NS1_11comp_targetILNS1_3genE0ELNS1_11target_archE4294967295ELNS1_3gpuE0ELNS1_3repE0EEENS1_47radix_sort_onesweep_sort_config_static_selectorELNS0_4arch9wavefront6targetE0EEEvSG_.num_vgpr, 65
	.set _ZN7rocprim17ROCPRIM_400000_NS6detail17trampoline_kernelINS0_14default_configENS1_35radix_sort_onesweep_config_selectorIsNS0_10empty_typeEEEZZNS1_29radix_sort_onesweep_iterationIS3_Lb1EPKsPsPS5_SB_mNS0_19identity_decomposerENS1_16block_id_wrapperIjLb1EEEEE10hipError_tT1_PNSt15iterator_traitsISG_E10value_typeET2_T3_PNSH_ISM_E10value_typeET4_T5_PSR_SS_PNS1_23onesweep_lookback_stateEbbT6_jjT7_P12ihipStream_tbENKUlT_T0_SG_SL_E_clISA_SA_SB_SB_EEDaSZ_S10_SG_SL_EUlSZ_E_NS1_11comp_targetILNS1_3genE0ELNS1_11target_archE4294967295ELNS1_3gpuE0ELNS1_3repE0EEENS1_47radix_sort_onesweep_sort_config_static_selectorELNS0_4arch9wavefront6targetE0EEEvSG_.num_agpr, 0
	.set _ZN7rocprim17ROCPRIM_400000_NS6detail17trampoline_kernelINS0_14default_configENS1_35radix_sort_onesweep_config_selectorIsNS0_10empty_typeEEEZZNS1_29radix_sort_onesweep_iterationIS3_Lb1EPKsPsPS5_SB_mNS0_19identity_decomposerENS1_16block_id_wrapperIjLb1EEEEE10hipError_tT1_PNSt15iterator_traitsISG_E10value_typeET2_T3_PNSH_ISM_E10value_typeET4_T5_PSR_SS_PNS1_23onesweep_lookback_stateEbbT6_jjT7_P12ihipStream_tbENKUlT_T0_SG_SL_E_clISA_SA_SB_SB_EEDaSZ_S10_SG_SL_EUlSZ_E_NS1_11comp_targetILNS1_3genE0ELNS1_11target_archE4294967295ELNS1_3gpuE0ELNS1_3repE0EEENS1_47radix_sort_onesweep_sort_config_static_selectorELNS0_4arch9wavefront6targetE0EEEvSG_.numbered_sgpr, 30
	.set _ZN7rocprim17ROCPRIM_400000_NS6detail17trampoline_kernelINS0_14default_configENS1_35radix_sort_onesweep_config_selectorIsNS0_10empty_typeEEEZZNS1_29radix_sort_onesweep_iterationIS3_Lb1EPKsPsPS5_SB_mNS0_19identity_decomposerENS1_16block_id_wrapperIjLb1EEEEE10hipError_tT1_PNSt15iterator_traitsISG_E10value_typeET2_T3_PNSH_ISM_E10value_typeET4_T5_PSR_SS_PNS1_23onesweep_lookback_stateEbbT6_jjT7_P12ihipStream_tbENKUlT_T0_SG_SL_E_clISA_SA_SB_SB_EEDaSZ_S10_SG_SL_EUlSZ_E_NS1_11comp_targetILNS1_3genE0ELNS1_11target_archE4294967295ELNS1_3gpuE0ELNS1_3repE0EEENS1_47radix_sort_onesweep_sort_config_static_selectorELNS0_4arch9wavefront6targetE0EEEvSG_.num_named_barrier, 0
	.set _ZN7rocprim17ROCPRIM_400000_NS6detail17trampoline_kernelINS0_14default_configENS1_35radix_sort_onesweep_config_selectorIsNS0_10empty_typeEEEZZNS1_29radix_sort_onesweep_iterationIS3_Lb1EPKsPsPS5_SB_mNS0_19identity_decomposerENS1_16block_id_wrapperIjLb1EEEEE10hipError_tT1_PNSt15iterator_traitsISG_E10value_typeET2_T3_PNSH_ISM_E10value_typeET4_T5_PSR_SS_PNS1_23onesweep_lookback_stateEbbT6_jjT7_P12ihipStream_tbENKUlT_T0_SG_SL_E_clISA_SA_SB_SB_EEDaSZ_S10_SG_SL_EUlSZ_E_NS1_11comp_targetILNS1_3genE0ELNS1_11target_archE4294967295ELNS1_3gpuE0ELNS1_3repE0EEENS1_47radix_sort_onesweep_sort_config_static_selectorELNS0_4arch9wavefront6targetE0EEEvSG_.private_seg_size, 0
	.set _ZN7rocprim17ROCPRIM_400000_NS6detail17trampoline_kernelINS0_14default_configENS1_35radix_sort_onesweep_config_selectorIsNS0_10empty_typeEEEZZNS1_29radix_sort_onesweep_iterationIS3_Lb1EPKsPsPS5_SB_mNS0_19identity_decomposerENS1_16block_id_wrapperIjLb1EEEEE10hipError_tT1_PNSt15iterator_traitsISG_E10value_typeET2_T3_PNSH_ISM_E10value_typeET4_T5_PSR_SS_PNS1_23onesweep_lookback_stateEbbT6_jjT7_P12ihipStream_tbENKUlT_T0_SG_SL_E_clISA_SA_SB_SB_EEDaSZ_S10_SG_SL_EUlSZ_E_NS1_11comp_targetILNS1_3genE0ELNS1_11target_archE4294967295ELNS1_3gpuE0ELNS1_3repE0EEENS1_47radix_sort_onesweep_sort_config_static_selectorELNS0_4arch9wavefront6targetE0EEEvSG_.uses_vcc, 1
	.set _ZN7rocprim17ROCPRIM_400000_NS6detail17trampoline_kernelINS0_14default_configENS1_35radix_sort_onesweep_config_selectorIsNS0_10empty_typeEEEZZNS1_29radix_sort_onesweep_iterationIS3_Lb1EPKsPsPS5_SB_mNS0_19identity_decomposerENS1_16block_id_wrapperIjLb1EEEEE10hipError_tT1_PNSt15iterator_traitsISG_E10value_typeET2_T3_PNSH_ISM_E10value_typeET4_T5_PSR_SS_PNS1_23onesweep_lookback_stateEbbT6_jjT7_P12ihipStream_tbENKUlT_T0_SG_SL_E_clISA_SA_SB_SB_EEDaSZ_S10_SG_SL_EUlSZ_E_NS1_11comp_targetILNS1_3genE0ELNS1_11target_archE4294967295ELNS1_3gpuE0ELNS1_3repE0EEENS1_47radix_sort_onesweep_sort_config_static_selectorELNS0_4arch9wavefront6targetE0EEEvSG_.uses_flat_scratch, 0
	.set _ZN7rocprim17ROCPRIM_400000_NS6detail17trampoline_kernelINS0_14default_configENS1_35radix_sort_onesweep_config_selectorIsNS0_10empty_typeEEEZZNS1_29radix_sort_onesweep_iterationIS3_Lb1EPKsPsPS5_SB_mNS0_19identity_decomposerENS1_16block_id_wrapperIjLb1EEEEE10hipError_tT1_PNSt15iterator_traitsISG_E10value_typeET2_T3_PNSH_ISM_E10value_typeET4_T5_PSR_SS_PNS1_23onesweep_lookback_stateEbbT6_jjT7_P12ihipStream_tbENKUlT_T0_SG_SL_E_clISA_SA_SB_SB_EEDaSZ_S10_SG_SL_EUlSZ_E_NS1_11comp_targetILNS1_3genE0ELNS1_11target_archE4294967295ELNS1_3gpuE0ELNS1_3repE0EEENS1_47radix_sort_onesweep_sort_config_static_selectorELNS0_4arch9wavefront6targetE0EEEvSG_.has_dyn_sized_stack, 0
	.set _ZN7rocprim17ROCPRIM_400000_NS6detail17trampoline_kernelINS0_14default_configENS1_35radix_sort_onesweep_config_selectorIsNS0_10empty_typeEEEZZNS1_29radix_sort_onesweep_iterationIS3_Lb1EPKsPsPS5_SB_mNS0_19identity_decomposerENS1_16block_id_wrapperIjLb1EEEEE10hipError_tT1_PNSt15iterator_traitsISG_E10value_typeET2_T3_PNSH_ISM_E10value_typeET4_T5_PSR_SS_PNS1_23onesweep_lookback_stateEbbT6_jjT7_P12ihipStream_tbENKUlT_T0_SG_SL_E_clISA_SA_SB_SB_EEDaSZ_S10_SG_SL_EUlSZ_E_NS1_11comp_targetILNS1_3genE0ELNS1_11target_archE4294967295ELNS1_3gpuE0ELNS1_3repE0EEENS1_47radix_sort_onesweep_sort_config_static_selectorELNS0_4arch9wavefront6targetE0EEEvSG_.has_recursion, 0
	.set _ZN7rocprim17ROCPRIM_400000_NS6detail17trampoline_kernelINS0_14default_configENS1_35radix_sort_onesweep_config_selectorIsNS0_10empty_typeEEEZZNS1_29radix_sort_onesweep_iterationIS3_Lb1EPKsPsPS5_SB_mNS0_19identity_decomposerENS1_16block_id_wrapperIjLb1EEEEE10hipError_tT1_PNSt15iterator_traitsISG_E10value_typeET2_T3_PNSH_ISM_E10value_typeET4_T5_PSR_SS_PNS1_23onesweep_lookback_stateEbbT6_jjT7_P12ihipStream_tbENKUlT_T0_SG_SL_E_clISA_SA_SB_SB_EEDaSZ_S10_SG_SL_EUlSZ_E_NS1_11comp_targetILNS1_3genE0ELNS1_11target_archE4294967295ELNS1_3gpuE0ELNS1_3repE0EEENS1_47radix_sort_onesweep_sort_config_static_selectorELNS0_4arch9wavefront6targetE0EEEvSG_.has_indirect_call, 0
	.section	.AMDGPU.csdata,"",@progbits
; Kernel info:
; codeLenInByte = 17440
; TotalNumSgprs: 32
; NumVgprs: 65
; ScratchSize: 0
; MemoryBound: 0
; FloatMode: 240
; IeeeMode: 1
; LDSByteSize: 18504 bytes/workgroup (compile time only)
; SGPRBlocks: 0
; VGPRBlocks: 4
; NumSGPRsForWavesPerEU: 32
; NumVGPRsForWavesPerEU: 65
; NamedBarCnt: 0
; Occupancy: 12
; WaveLimiterHint : 0
; COMPUTE_PGM_RSRC2:SCRATCH_EN: 0
; COMPUTE_PGM_RSRC2:USER_SGPR: 2
; COMPUTE_PGM_RSRC2:TRAP_HANDLER: 0
; COMPUTE_PGM_RSRC2:TGID_X_EN: 1
; COMPUTE_PGM_RSRC2:TGID_Y_EN: 0
; COMPUTE_PGM_RSRC2:TGID_Z_EN: 0
; COMPUTE_PGM_RSRC2:TIDIG_COMP_CNT: 2
	.section	.text._ZN7rocprim17ROCPRIM_400000_NS6detail17trampoline_kernelINS0_14default_configENS1_35radix_sort_onesweep_config_selectorIsNS0_10empty_typeEEEZZNS1_29radix_sort_onesweep_iterationIS3_Lb1EPKsPsPS5_SB_mNS0_19identity_decomposerENS1_16block_id_wrapperIjLb1EEEEE10hipError_tT1_PNSt15iterator_traitsISG_E10value_typeET2_T3_PNSH_ISM_E10value_typeET4_T5_PSR_SS_PNS1_23onesweep_lookback_stateEbbT6_jjT7_P12ihipStream_tbENKUlT_T0_SG_SL_E_clISA_SA_SB_SB_EEDaSZ_S10_SG_SL_EUlSZ_E_NS1_11comp_targetILNS1_3genE6ELNS1_11target_archE950ELNS1_3gpuE13ELNS1_3repE0EEENS1_47radix_sort_onesweep_sort_config_static_selectorELNS0_4arch9wavefront6targetE0EEEvSG_,"axG",@progbits,_ZN7rocprim17ROCPRIM_400000_NS6detail17trampoline_kernelINS0_14default_configENS1_35radix_sort_onesweep_config_selectorIsNS0_10empty_typeEEEZZNS1_29radix_sort_onesweep_iterationIS3_Lb1EPKsPsPS5_SB_mNS0_19identity_decomposerENS1_16block_id_wrapperIjLb1EEEEE10hipError_tT1_PNSt15iterator_traitsISG_E10value_typeET2_T3_PNSH_ISM_E10value_typeET4_T5_PSR_SS_PNS1_23onesweep_lookback_stateEbbT6_jjT7_P12ihipStream_tbENKUlT_T0_SG_SL_E_clISA_SA_SB_SB_EEDaSZ_S10_SG_SL_EUlSZ_E_NS1_11comp_targetILNS1_3genE6ELNS1_11target_archE950ELNS1_3gpuE13ELNS1_3repE0EEENS1_47radix_sort_onesweep_sort_config_static_selectorELNS0_4arch9wavefront6targetE0EEEvSG_,comdat
	.protected	_ZN7rocprim17ROCPRIM_400000_NS6detail17trampoline_kernelINS0_14default_configENS1_35radix_sort_onesweep_config_selectorIsNS0_10empty_typeEEEZZNS1_29radix_sort_onesweep_iterationIS3_Lb1EPKsPsPS5_SB_mNS0_19identity_decomposerENS1_16block_id_wrapperIjLb1EEEEE10hipError_tT1_PNSt15iterator_traitsISG_E10value_typeET2_T3_PNSH_ISM_E10value_typeET4_T5_PSR_SS_PNS1_23onesweep_lookback_stateEbbT6_jjT7_P12ihipStream_tbENKUlT_T0_SG_SL_E_clISA_SA_SB_SB_EEDaSZ_S10_SG_SL_EUlSZ_E_NS1_11comp_targetILNS1_3genE6ELNS1_11target_archE950ELNS1_3gpuE13ELNS1_3repE0EEENS1_47radix_sort_onesweep_sort_config_static_selectorELNS0_4arch9wavefront6targetE0EEEvSG_ ; -- Begin function _ZN7rocprim17ROCPRIM_400000_NS6detail17trampoline_kernelINS0_14default_configENS1_35radix_sort_onesweep_config_selectorIsNS0_10empty_typeEEEZZNS1_29radix_sort_onesweep_iterationIS3_Lb1EPKsPsPS5_SB_mNS0_19identity_decomposerENS1_16block_id_wrapperIjLb1EEEEE10hipError_tT1_PNSt15iterator_traitsISG_E10value_typeET2_T3_PNSH_ISM_E10value_typeET4_T5_PSR_SS_PNS1_23onesweep_lookback_stateEbbT6_jjT7_P12ihipStream_tbENKUlT_T0_SG_SL_E_clISA_SA_SB_SB_EEDaSZ_S10_SG_SL_EUlSZ_E_NS1_11comp_targetILNS1_3genE6ELNS1_11target_archE950ELNS1_3gpuE13ELNS1_3repE0EEENS1_47radix_sort_onesweep_sort_config_static_selectorELNS0_4arch9wavefront6targetE0EEEvSG_
	.globl	_ZN7rocprim17ROCPRIM_400000_NS6detail17trampoline_kernelINS0_14default_configENS1_35radix_sort_onesweep_config_selectorIsNS0_10empty_typeEEEZZNS1_29radix_sort_onesweep_iterationIS3_Lb1EPKsPsPS5_SB_mNS0_19identity_decomposerENS1_16block_id_wrapperIjLb1EEEEE10hipError_tT1_PNSt15iterator_traitsISG_E10value_typeET2_T3_PNSH_ISM_E10value_typeET4_T5_PSR_SS_PNS1_23onesweep_lookback_stateEbbT6_jjT7_P12ihipStream_tbENKUlT_T0_SG_SL_E_clISA_SA_SB_SB_EEDaSZ_S10_SG_SL_EUlSZ_E_NS1_11comp_targetILNS1_3genE6ELNS1_11target_archE950ELNS1_3gpuE13ELNS1_3repE0EEENS1_47radix_sort_onesweep_sort_config_static_selectorELNS0_4arch9wavefront6targetE0EEEvSG_
	.p2align	8
	.type	_ZN7rocprim17ROCPRIM_400000_NS6detail17trampoline_kernelINS0_14default_configENS1_35radix_sort_onesweep_config_selectorIsNS0_10empty_typeEEEZZNS1_29radix_sort_onesweep_iterationIS3_Lb1EPKsPsPS5_SB_mNS0_19identity_decomposerENS1_16block_id_wrapperIjLb1EEEEE10hipError_tT1_PNSt15iterator_traitsISG_E10value_typeET2_T3_PNSH_ISM_E10value_typeET4_T5_PSR_SS_PNS1_23onesweep_lookback_stateEbbT6_jjT7_P12ihipStream_tbENKUlT_T0_SG_SL_E_clISA_SA_SB_SB_EEDaSZ_S10_SG_SL_EUlSZ_E_NS1_11comp_targetILNS1_3genE6ELNS1_11target_archE950ELNS1_3gpuE13ELNS1_3repE0EEENS1_47radix_sort_onesweep_sort_config_static_selectorELNS0_4arch9wavefront6targetE0EEEvSG_,@function
_ZN7rocprim17ROCPRIM_400000_NS6detail17trampoline_kernelINS0_14default_configENS1_35radix_sort_onesweep_config_selectorIsNS0_10empty_typeEEEZZNS1_29radix_sort_onesweep_iterationIS3_Lb1EPKsPsPS5_SB_mNS0_19identity_decomposerENS1_16block_id_wrapperIjLb1EEEEE10hipError_tT1_PNSt15iterator_traitsISG_E10value_typeET2_T3_PNSH_ISM_E10value_typeET4_T5_PSR_SS_PNS1_23onesweep_lookback_stateEbbT6_jjT7_P12ihipStream_tbENKUlT_T0_SG_SL_E_clISA_SA_SB_SB_EEDaSZ_S10_SG_SL_EUlSZ_E_NS1_11comp_targetILNS1_3genE6ELNS1_11target_archE950ELNS1_3gpuE13ELNS1_3repE0EEENS1_47radix_sort_onesweep_sort_config_static_selectorELNS0_4arch9wavefront6targetE0EEEvSG_: ; @_ZN7rocprim17ROCPRIM_400000_NS6detail17trampoline_kernelINS0_14default_configENS1_35radix_sort_onesweep_config_selectorIsNS0_10empty_typeEEEZZNS1_29radix_sort_onesweep_iterationIS3_Lb1EPKsPsPS5_SB_mNS0_19identity_decomposerENS1_16block_id_wrapperIjLb1EEEEE10hipError_tT1_PNSt15iterator_traitsISG_E10value_typeET2_T3_PNSH_ISM_E10value_typeET4_T5_PSR_SS_PNS1_23onesweep_lookback_stateEbbT6_jjT7_P12ihipStream_tbENKUlT_T0_SG_SL_E_clISA_SA_SB_SB_EEDaSZ_S10_SG_SL_EUlSZ_E_NS1_11comp_targetILNS1_3genE6ELNS1_11target_archE950ELNS1_3gpuE13ELNS1_3repE0EEENS1_47radix_sort_onesweep_sort_config_static_selectorELNS0_4arch9wavefront6targetE0EEEvSG_
; %bb.0:
	.section	.rodata,"a",@progbits
	.p2align	6, 0x0
	.amdhsa_kernel _ZN7rocprim17ROCPRIM_400000_NS6detail17trampoline_kernelINS0_14default_configENS1_35radix_sort_onesweep_config_selectorIsNS0_10empty_typeEEEZZNS1_29radix_sort_onesweep_iterationIS3_Lb1EPKsPsPS5_SB_mNS0_19identity_decomposerENS1_16block_id_wrapperIjLb1EEEEE10hipError_tT1_PNSt15iterator_traitsISG_E10value_typeET2_T3_PNSH_ISM_E10value_typeET4_T5_PSR_SS_PNS1_23onesweep_lookback_stateEbbT6_jjT7_P12ihipStream_tbENKUlT_T0_SG_SL_E_clISA_SA_SB_SB_EEDaSZ_S10_SG_SL_EUlSZ_E_NS1_11comp_targetILNS1_3genE6ELNS1_11target_archE950ELNS1_3gpuE13ELNS1_3repE0EEENS1_47radix_sort_onesweep_sort_config_static_selectorELNS0_4arch9wavefront6targetE0EEEvSG_
		.amdhsa_group_segment_fixed_size 0
		.amdhsa_private_segment_fixed_size 0
		.amdhsa_kernarg_size 88
		.amdhsa_user_sgpr_count 2
		.amdhsa_user_sgpr_dispatch_ptr 0
		.amdhsa_user_sgpr_queue_ptr 0
		.amdhsa_user_sgpr_kernarg_segment_ptr 1
		.amdhsa_user_sgpr_dispatch_id 0
		.amdhsa_user_sgpr_kernarg_preload_length 0
		.amdhsa_user_sgpr_kernarg_preload_offset 0
		.amdhsa_user_sgpr_private_segment_size 0
		.amdhsa_wavefront_size32 1
		.amdhsa_uses_dynamic_stack 0
		.amdhsa_enable_private_segment 0
		.amdhsa_system_sgpr_workgroup_id_x 1
		.amdhsa_system_sgpr_workgroup_id_y 0
		.amdhsa_system_sgpr_workgroup_id_z 0
		.amdhsa_system_sgpr_workgroup_info 0
		.amdhsa_system_vgpr_workitem_id 0
		.amdhsa_next_free_vgpr 1
		.amdhsa_next_free_sgpr 1
		.amdhsa_named_barrier_count 0
		.amdhsa_reserve_vcc 0
		.amdhsa_float_round_mode_32 0
		.amdhsa_float_round_mode_16_64 0
		.amdhsa_float_denorm_mode_32 3
		.amdhsa_float_denorm_mode_16_64 3
		.amdhsa_fp16_overflow 0
		.amdhsa_memory_ordered 1
		.amdhsa_forward_progress 1
		.amdhsa_inst_pref_size 0
		.amdhsa_round_robin_scheduling 0
		.amdhsa_exception_fp_ieee_invalid_op 0
		.amdhsa_exception_fp_denorm_src 0
		.amdhsa_exception_fp_ieee_div_zero 0
		.amdhsa_exception_fp_ieee_overflow 0
		.amdhsa_exception_fp_ieee_underflow 0
		.amdhsa_exception_fp_ieee_inexact 0
		.amdhsa_exception_int_div_zero 0
	.end_amdhsa_kernel
	.section	.text._ZN7rocprim17ROCPRIM_400000_NS6detail17trampoline_kernelINS0_14default_configENS1_35radix_sort_onesweep_config_selectorIsNS0_10empty_typeEEEZZNS1_29radix_sort_onesweep_iterationIS3_Lb1EPKsPsPS5_SB_mNS0_19identity_decomposerENS1_16block_id_wrapperIjLb1EEEEE10hipError_tT1_PNSt15iterator_traitsISG_E10value_typeET2_T3_PNSH_ISM_E10value_typeET4_T5_PSR_SS_PNS1_23onesweep_lookback_stateEbbT6_jjT7_P12ihipStream_tbENKUlT_T0_SG_SL_E_clISA_SA_SB_SB_EEDaSZ_S10_SG_SL_EUlSZ_E_NS1_11comp_targetILNS1_3genE6ELNS1_11target_archE950ELNS1_3gpuE13ELNS1_3repE0EEENS1_47radix_sort_onesweep_sort_config_static_selectorELNS0_4arch9wavefront6targetE0EEEvSG_,"axG",@progbits,_ZN7rocprim17ROCPRIM_400000_NS6detail17trampoline_kernelINS0_14default_configENS1_35radix_sort_onesweep_config_selectorIsNS0_10empty_typeEEEZZNS1_29radix_sort_onesweep_iterationIS3_Lb1EPKsPsPS5_SB_mNS0_19identity_decomposerENS1_16block_id_wrapperIjLb1EEEEE10hipError_tT1_PNSt15iterator_traitsISG_E10value_typeET2_T3_PNSH_ISM_E10value_typeET4_T5_PSR_SS_PNS1_23onesweep_lookback_stateEbbT6_jjT7_P12ihipStream_tbENKUlT_T0_SG_SL_E_clISA_SA_SB_SB_EEDaSZ_S10_SG_SL_EUlSZ_E_NS1_11comp_targetILNS1_3genE6ELNS1_11target_archE950ELNS1_3gpuE13ELNS1_3repE0EEENS1_47radix_sort_onesweep_sort_config_static_selectorELNS0_4arch9wavefront6targetE0EEEvSG_,comdat
.Lfunc_end612:
	.size	_ZN7rocprim17ROCPRIM_400000_NS6detail17trampoline_kernelINS0_14default_configENS1_35radix_sort_onesweep_config_selectorIsNS0_10empty_typeEEEZZNS1_29radix_sort_onesweep_iterationIS3_Lb1EPKsPsPS5_SB_mNS0_19identity_decomposerENS1_16block_id_wrapperIjLb1EEEEE10hipError_tT1_PNSt15iterator_traitsISG_E10value_typeET2_T3_PNSH_ISM_E10value_typeET4_T5_PSR_SS_PNS1_23onesweep_lookback_stateEbbT6_jjT7_P12ihipStream_tbENKUlT_T0_SG_SL_E_clISA_SA_SB_SB_EEDaSZ_S10_SG_SL_EUlSZ_E_NS1_11comp_targetILNS1_3genE6ELNS1_11target_archE950ELNS1_3gpuE13ELNS1_3repE0EEENS1_47radix_sort_onesweep_sort_config_static_selectorELNS0_4arch9wavefront6targetE0EEEvSG_, .Lfunc_end612-_ZN7rocprim17ROCPRIM_400000_NS6detail17trampoline_kernelINS0_14default_configENS1_35radix_sort_onesweep_config_selectorIsNS0_10empty_typeEEEZZNS1_29radix_sort_onesweep_iterationIS3_Lb1EPKsPsPS5_SB_mNS0_19identity_decomposerENS1_16block_id_wrapperIjLb1EEEEE10hipError_tT1_PNSt15iterator_traitsISG_E10value_typeET2_T3_PNSH_ISM_E10value_typeET4_T5_PSR_SS_PNS1_23onesweep_lookback_stateEbbT6_jjT7_P12ihipStream_tbENKUlT_T0_SG_SL_E_clISA_SA_SB_SB_EEDaSZ_S10_SG_SL_EUlSZ_E_NS1_11comp_targetILNS1_3genE6ELNS1_11target_archE950ELNS1_3gpuE13ELNS1_3repE0EEENS1_47radix_sort_onesweep_sort_config_static_selectorELNS0_4arch9wavefront6targetE0EEEvSG_
                                        ; -- End function
	.set _ZN7rocprim17ROCPRIM_400000_NS6detail17trampoline_kernelINS0_14default_configENS1_35radix_sort_onesweep_config_selectorIsNS0_10empty_typeEEEZZNS1_29radix_sort_onesweep_iterationIS3_Lb1EPKsPsPS5_SB_mNS0_19identity_decomposerENS1_16block_id_wrapperIjLb1EEEEE10hipError_tT1_PNSt15iterator_traitsISG_E10value_typeET2_T3_PNSH_ISM_E10value_typeET4_T5_PSR_SS_PNS1_23onesweep_lookback_stateEbbT6_jjT7_P12ihipStream_tbENKUlT_T0_SG_SL_E_clISA_SA_SB_SB_EEDaSZ_S10_SG_SL_EUlSZ_E_NS1_11comp_targetILNS1_3genE6ELNS1_11target_archE950ELNS1_3gpuE13ELNS1_3repE0EEENS1_47radix_sort_onesweep_sort_config_static_selectorELNS0_4arch9wavefront6targetE0EEEvSG_.num_vgpr, 0
	.set _ZN7rocprim17ROCPRIM_400000_NS6detail17trampoline_kernelINS0_14default_configENS1_35radix_sort_onesweep_config_selectorIsNS0_10empty_typeEEEZZNS1_29radix_sort_onesweep_iterationIS3_Lb1EPKsPsPS5_SB_mNS0_19identity_decomposerENS1_16block_id_wrapperIjLb1EEEEE10hipError_tT1_PNSt15iterator_traitsISG_E10value_typeET2_T3_PNSH_ISM_E10value_typeET4_T5_PSR_SS_PNS1_23onesweep_lookback_stateEbbT6_jjT7_P12ihipStream_tbENKUlT_T0_SG_SL_E_clISA_SA_SB_SB_EEDaSZ_S10_SG_SL_EUlSZ_E_NS1_11comp_targetILNS1_3genE6ELNS1_11target_archE950ELNS1_3gpuE13ELNS1_3repE0EEENS1_47radix_sort_onesweep_sort_config_static_selectorELNS0_4arch9wavefront6targetE0EEEvSG_.num_agpr, 0
	.set _ZN7rocprim17ROCPRIM_400000_NS6detail17trampoline_kernelINS0_14default_configENS1_35radix_sort_onesweep_config_selectorIsNS0_10empty_typeEEEZZNS1_29radix_sort_onesweep_iterationIS3_Lb1EPKsPsPS5_SB_mNS0_19identity_decomposerENS1_16block_id_wrapperIjLb1EEEEE10hipError_tT1_PNSt15iterator_traitsISG_E10value_typeET2_T3_PNSH_ISM_E10value_typeET4_T5_PSR_SS_PNS1_23onesweep_lookback_stateEbbT6_jjT7_P12ihipStream_tbENKUlT_T0_SG_SL_E_clISA_SA_SB_SB_EEDaSZ_S10_SG_SL_EUlSZ_E_NS1_11comp_targetILNS1_3genE6ELNS1_11target_archE950ELNS1_3gpuE13ELNS1_3repE0EEENS1_47radix_sort_onesweep_sort_config_static_selectorELNS0_4arch9wavefront6targetE0EEEvSG_.numbered_sgpr, 0
	.set _ZN7rocprim17ROCPRIM_400000_NS6detail17trampoline_kernelINS0_14default_configENS1_35radix_sort_onesweep_config_selectorIsNS0_10empty_typeEEEZZNS1_29radix_sort_onesweep_iterationIS3_Lb1EPKsPsPS5_SB_mNS0_19identity_decomposerENS1_16block_id_wrapperIjLb1EEEEE10hipError_tT1_PNSt15iterator_traitsISG_E10value_typeET2_T3_PNSH_ISM_E10value_typeET4_T5_PSR_SS_PNS1_23onesweep_lookback_stateEbbT6_jjT7_P12ihipStream_tbENKUlT_T0_SG_SL_E_clISA_SA_SB_SB_EEDaSZ_S10_SG_SL_EUlSZ_E_NS1_11comp_targetILNS1_3genE6ELNS1_11target_archE950ELNS1_3gpuE13ELNS1_3repE0EEENS1_47radix_sort_onesweep_sort_config_static_selectorELNS0_4arch9wavefront6targetE0EEEvSG_.num_named_barrier, 0
	.set _ZN7rocprim17ROCPRIM_400000_NS6detail17trampoline_kernelINS0_14default_configENS1_35radix_sort_onesweep_config_selectorIsNS0_10empty_typeEEEZZNS1_29radix_sort_onesweep_iterationIS3_Lb1EPKsPsPS5_SB_mNS0_19identity_decomposerENS1_16block_id_wrapperIjLb1EEEEE10hipError_tT1_PNSt15iterator_traitsISG_E10value_typeET2_T3_PNSH_ISM_E10value_typeET4_T5_PSR_SS_PNS1_23onesweep_lookback_stateEbbT6_jjT7_P12ihipStream_tbENKUlT_T0_SG_SL_E_clISA_SA_SB_SB_EEDaSZ_S10_SG_SL_EUlSZ_E_NS1_11comp_targetILNS1_3genE6ELNS1_11target_archE950ELNS1_3gpuE13ELNS1_3repE0EEENS1_47radix_sort_onesweep_sort_config_static_selectorELNS0_4arch9wavefront6targetE0EEEvSG_.private_seg_size, 0
	.set _ZN7rocprim17ROCPRIM_400000_NS6detail17trampoline_kernelINS0_14default_configENS1_35radix_sort_onesweep_config_selectorIsNS0_10empty_typeEEEZZNS1_29radix_sort_onesweep_iterationIS3_Lb1EPKsPsPS5_SB_mNS0_19identity_decomposerENS1_16block_id_wrapperIjLb1EEEEE10hipError_tT1_PNSt15iterator_traitsISG_E10value_typeET2_T3_PNSH_ISM_E10value_typeET4_T5_PSR_SS_PNS1_23onesweep_lookback_stateEbbT6_jjT7_P12ihipStream_tbENKUlT_T0_SG_SL_E_clISA_SA_SB_SB_EEDaSZ_S10_SG_SL_EUlSZ_E_NS1_11comp_targetILNS1_3genE6ELNS1_11target_archE950ELNS1_3gpuE13ELNS1_3repE0EEENS1_47radix_sort_onesweep_sort_config_static_selectorELNS0_4arch9wavefront6targetE0EEEvSG_.uses_vcc, 0
	.set _ZN7rocprim17ROCPRIM_400000_NS6detail17trampoline_kernelINS0_14default_configENS1_35radix_sort_onesweep_config_selectorIsNS0_10empty_typeEEEZZNS1_29radix_sort_onesweep_iterationIS3_Lb1EPKsPsPS5_SB_mNS0_19identity_decomposerENS1_16block_id_wrapperIjLb1EEEEE10hipError_tT1_PNSt15iterator_traitsISG_E10value_typeET2_T3_PNSH_ISM_E10value_typeET4_T5_PSR_SS_PNS1_23onesweep_lookback_stateEbbT6_jjT7_P12ihipStream_tbENKUlT_T0_SG_SL_E_clISA_SA_SB_SB_EEDaSZ_S10_SG_SL_EUlSZ_E_NS1_11comp_targetILNS1_3genE6ELNS1_11target_archE950ELNS1_3gpuE13ELNS1_3repE0EEENS1_47radix_sort_onesweep_sort_config_static_selectorELNS0_4arch9wavefront6targetE0EEEvSG_.uses_flat_scratch, 0
	.set _ZN7rocprim17ROCPRIM_400000_NS6detail17trampoline_kernelINS0_14default_configENS1_35radix_sort_onesweep_config_selectorIsNS0_10empty_typeEEEZZNS1_29radix_sort_onesweep_iterationIS3_Lb1EPKsPsPS5_SB_mNS0_19identity_decomposerENS1_16block_id_wrapperIjLb1EEEEE10hipError_tT1_PNSt15iterator_traitsISG_E10value_typeET2_T3_PNSH_ISM_E10value_typeET4_T5_PSR_SS_PNS1_23onesweep_lookback_stateEbbT6_jjT7_P12ihipStream_tbENKUlT_T0_SG_SL_E_clISA_SA_SB_SB_EEDaSZ_S10_SG_SL_EUlSZ_E_NS1_11comp_targetILNS1_3genE6ELNS1_11target_archE950ELNS1_3gpuE13ELNS1_3repE0EEENS1_47radix_sort_onesweep_sort_config_static_selectorELNS0_4arch9wavefront6targetE0EEEvSG_.has_dyn_sized_stack, 0
	.set _ZN7rocprim17ROCPRIM_400000_NS6detail17trampoline_kernelINS0_14default_configENS1_35radix_sort_onesweep_config_selectorIsNS0_10empty_typeEEEZZNS1_29radix_sort_onesweep_iterationIS3_Lb1EPKsPsPS5_SB_mNS0_19identity_decomposerENS1_16block_id_wrapperIjLb1EEEEE10hipError_tT1_PNSt15iterator_traitsISG_E10value_typeET2_T3_PNSH_ISM_E10value_typeET4_T5_PSR_SS_PNS1_23onesweep_lookback_stateEbbT6_jjT7_P12ihipStream_tbENKUlT_T0_SG_SL_E_clISA_SA_SB_SB_EEDaSZ_S10_SG_SL_EUlSZ_E_NS1_11comp_targetILNS1_3genE6ELNS1_11target_archE950ELNS1_3gpuE13ELNS1_3repE0EEENS1_47radix_sort_onesweep_sort_config_static_selectorELNS0_4arch9wavefront6targetE0EEEvSG_.has_recursion, 0
	.set _ZN7rocprim17ROCPRIM_400000_NS6detail17trampoline_kernelINS0_14default_configENS1_35radix_sort_onesweep_config_selectorIsNS0_10empty_typeEEEZZNS1_29radix_sort_onesweep_iterationIS3_Lb1EPKsPsPS5_SB_mNS0_19identity_decomposerENS1_16block_id_wrapperIjLb1EEEEE10hipError_tT1_PNSt15iterator_traitsISG_E10value_typeET2_T3_PNSH_ISM_E10value_typeET4_T5_PSR_SS_PNS1_23onesweep_lookback_stateEbbT6_jjT7_P12ihipStream_tbENKUlT_T0_SG_SL_E_clISA_SA_SB_SB_EEDaSZ_S10_SG_SL_EUlSZ_E_NS1_11comp_targetILNS1_3genE6ELNS1_11target_archE950ELNS1_3gpuE13ELNS1_3repE0EEENS1_47radix_sort_onesweep_sort_config_static_selectorELNS0_4arch9wavefront6targetE0EEEvSG_.has_indirect_call, 0
	.section	.AMDGPU.csdata,"",@progbits
; Kernel info:
; codeLenInByte = 0
; TotalNumSgprs: 0
; NumVgprs: 0
; ScratchSize: 0
; MemoryBound: 0
; FloatMode: 240
; IeeeMode: 1
; LDSByteSize: 0 bytes/workgroup (compile time only)
; SGPRBlocks: 0
; VGPRBlocks: 0
; NumSGPRsForWavesPerEU: 1
; NumVGPRsForWavesPerEU: 1
; NamedBarCnt: 0
; Occupancy: 16
; WaveLimiterHint : 0
; COMPUTE_PGM_RSRC2:SCRATCH_EN: 0
; COMPUTE_PGM_RSRC2:USER_SGPR: 2
; COMPUTE_PGM_RSRC2:TRAP_HANDLER: 0
; COMPUTE_PGM_RSRC2:TGID_X_EN: 1
; COMPUTE_PGM_RSRC2:TGID_Y_EN: 0
; COMPUTE_PGM_RSRC2:TGID_Z_EN: 0
; COMPUTE_PGM_RSRC2:TIDIG_COMP_CNT: 0
	.section	.text._ZN7rocprim17ROCPRIM_400000_NS6detail17trampoline_kernelINS0_14default_configENS1_35radix_sort_onesweep_config_selectorIsNS0_10empty_typeEEEZZNS1_29radix_sort_onesweep_iterationIS3_Lb1EPKsPsPS5_SB_mNS0_19identity_decomposerENS1_16block_id_wrapperIjLb1EEEEE10hipError_tT1_PNSt15iterator_traitsISG_E10value_typeET2_T3_PNSH_ISM_E10value_typeET4_T5_PSR_SS_PNS1_23onesweep_lookback_stateEbbT6_jjT7_P12ihipStream_tbENKUlT_T0_SG_SL_E_clISA_SA_SB_SB_EEDaSZ_S10_SG_SL_EUlSZ_E_NS1_11comp_targetILNS1_3genE5ELNS1_11target_archE942ELNS1_3gpuE9ELNS1_3repE0EEENS1_47radix_sort_onesweep_sort_config_static_selectorELNS0_4arch9wavefront6targetE0EEEvSG_,"axG",@progbits,_ZN7rocprim17ROCPRIM_400000_NS6detail17trampoline_kernelINS0_14default_configENS1_35radix_sort_onesweep_config_selectorIsNS0_10empty_typeEEEZZNS1_29radix_sort_onesweep_iterationIS3_Lb1EPKsPsPS5_SB_mNS0_19identity_decomposerENS1_16block_id_wrapperIjLb1EEEEE10hipError_tT1_PNSt15iterator_traitsISG_E10value_typeET2_T3_PNSH_ISM_E10value_typeET4_T5_PSR_SS_PNS1_23onesweep_lookback_stateEbbT6_jjT7_P12ihipStream_tbENKUlT_T0_SG_SL_E_clISA_SA_SB_SB_EEDaSZ_S10_SG_SL_EUlSZ_E_NS1_11comp_targetILNS1_3genE5ELNS1_11target_archE942ELNS1_3gpuE9ELNS1_3repE0EEENS1_47radix_sort_onesweep_sort_config_static_selectorELNS0_4arch9wavefront6targetE0EEEvSG_,comdat
	.protected	_ZN7rocprim17ROCPRIM_400000_NS6detail17trampoline_kernelINS0_14default_configENS1_35radix_sort_onesweep_config_selectorIsNS0_10empty_typeEEEZZNS1_29radix_sort_onesweep_iterationIS3_Lb1EPKsPsPS5_SB_mNS0_19identity_decomposerENS1_16block_id_wrapperIjLb1EEEEE10hipError_tT1_PNSt15iterator_traitsISG_E10value_typeET2_T3_PNSH_ISM_E10value_typeET4_T5_PSR_SS_PNS1_23onesweep_lookback_stateEbbT6_jjT7_P12ihipStream_tbENKUlT_T0_SG_SL_E_clISA_SA_SB_SB_EEDaSZ_S10_SG_SL_EUlSZ_E_NS1_11comp_targetILNS1_3genE5ELNS1_11target_archE942ELNS1_3gpuE9ELNS1_3repE0EEENS1_47radix_sort_onesweep_sort_config_static_selectorELNS0_4arch9wavefront6targetE0EEEvSG_ ; -- Begin function _ZN7rocprim17ROCPRIM_400000_NS6detail17trampoline_kernelINS0_14default_configENS1_35radix_sort_onesweep_config_selectorIsNS0_10empty_typeEEEZZNS1_29radix_sort_onesweep_iterationIS3_Lb1EPKsPsPS5_SB_mNS0_19identity_decomposerENS1_16block_id_wrapperIjLb1EEEEE10hipError_tT1_PNSt15iterator_traitsISG_E10value_typeET2_T3_PNSH_ISM_E10value_typeET4_T5_PSR_SS_PNS1_23onesweep_lookback_stateEbbT6_jjT7_P12ihipStream_tbENKUlT_T0_SG_SL_E_clISA_SA_SB_SB_EEDaSZ_S10_SG_SL_EUlSZ_E_NS1_11comp_targetILNS1_3genE5ELNS1_11target_archE942ELNS1_3gpuE9ELNS1_3repE0EEENS1_47radix_sort_onesweep_sort_config_static_selectorELNS0_4arch9wavefront6targetE0EEEvSG_
	.globl	_ZN7rocprim17ROCPRIM_400000_NS6detail17trampoline_kernelINS0_14default_configENS1_35radix_sort_onesweep_config_selectorIsNS0_10empty_typeEEEZZNS1_29radix_sort_onesweep_iterationIS3_Lb1EPKsPsPS5_SB_mNS0_19identity_decomposerENS1_16block_id_wrapperIjLb1EEEEE10hipError_tT1_PNSt15iterator_traitsISG_E10value_typeET2_T3_PNSH_ISM_E10value_typeET4_T5_PSR_SS_PNS1_23onesweep_lookback_stateEbbT6_jjT7_P12ihipStream_tbENKUlT_T0_SG_SL_E_clISA_SA_SB_SB_EEDaSZ_S10_SG_SL_EUlSZ_E_NS1_11comp_targetILNS1_3genE5ELNS1_11target_archE942ELNS1_3gpuE9ELNS1_3repE0EEENS1_47radix_sort_onesweep_sort_config_static_selectorELNS0_4arch9wavefront6targetE0EEEvSG_
	.p2align	8
	.type	_ZN7rocprim17ROCPRIM_400000_NS6detail17trampoline_kernelINS0_14default_configENS1_35radix_sort_onesweep_config_selectorIsNS0_10empty_typeEEEZZNS1_29radix_sort_onesweep_iterationIS3_Lb1EPKsPsPS5_SB_mNS0_19identity_decomposerENS1_16block_id_wrapperIjLb1EEEEE10hipError_tT1_PNSt15iterator_traitsISG_E10value_typeET2_T3_PNSH_ISM_E10value_typeET4_T5_PSR_SS_PNS1_23onesweep_lookback_stateEbbT6_jjT7_P12ihipStream_tbENKUlT_T0_SG_SL_E_clISA_SA_SB_SB_EEDaSZ_S10_SG_SL_EUlSZ_E_NS1_11comp_targetILNS1_3genE5ELNS1_11target_archE942ELNS1_3gpuE9ELNS1_3repE0EEENS1_47radix_sort_onesweep_sort_config_static_selectorELNS0_4arch9wavefront6targetE0EEEvSG_,@function
_ZN7rocprim17ROCPRIM_400000_NS6detail17trampoline_kernelINS0_14default_configENS1_35radix_sort_onesweep_config_selectorIsNS0_10empty_typeEEEZZNS1_29radix_sort_onesweep_iterationIS3_Lb1EPKsPsPS5_SB_mNS0_19identity_decomposerENS1_16block_id_wrapperIjLb1EEEEE10hipError_tT1_PNSt15iterator_traitsISG_E10value_typeET2_T3_PNSH_ISM_E10value_typeET4_T5_PSR_SS_PNS1_23onesweep_lookback_stateEbbT6_jjT7_P12ihipStream_tbENKUlT_T0_SG_SL_E_clISA_SA_SB_SB_EEDaSZ_S10_SG_SL_EUlSZ_E_NS1_11comp_targetILNS1_3genE5ELNS1_11target_archE942ELNS1_3gpuE9ELNS1_3repE0EEENS1_47radix_sort_onesweep_sort_config_static_selectorELNS0_4arch9wavefront6targetE0EEEvSG_: ; @_ZN7rocprim17ROCPRIM_400000_NS6detail17trampoline_kernelINS0_14default_configENS1_35radix_sort_onesweep_config_selectorIsNS0_10empty_typeEEEZZNS1_29radix_sort_onesweep_iterationIS3_Lb1EPKsPsPS5_SB_mNS0_19identity_decomposerENS1_16block_id_wrapperIjLb1EEEEE10hipError_tT1_PNSt15iterator_traitsISG_E10value_typeET2_T3_PNSH_ISM_E10value_typeET4_T5_PSR_SS_PNS1_23onesweep_lookback_stateEbbT6_jjT7_P12ihipStream_tbENKUlT_T0_SG_SL_E_clISA_SA_SB_SB_EEDaSZ_S10_SG_SL_EUlSZ_E_NS1_11comp_targetILNS1_3genE5ELNS1_11target_archE942ELNS1_3gpuE9ELNS1_3repE0EEENS1_47radix_sort_onesweep_sort_config_static_selectorELNS0_4arch9wavefront6targetE0EEEvSG_
; %bb.0:
	.section	.rodata,"a",@progbits
	.p2align	6, 0x0
	.amdhsa_kernel _ZN7rocprim17ROCPRIM_400000_NS6detail17trampoline_kernelINS0_14default_configENS1_35radix_sort_onesweep_config_selectorIsNS0_10empty_typeEEEZZNS1_29radix_sort_onesweep_iterationIS3_Lb1EPKsPsPS5_SB_mNS0_19identity_decomposerENS1_16block_id_wrapperIjLb1EEEEE10hipError_tT1_PNSt15iterator_traitsISG_E10value_typeET2_T3_PNSH_ISM_E10value_typeET4_T5_PSR_SS_PNS1_23onesweep_lookback_stateEbbT6_jjT7_P12ihipStream_tbENKUlT_T0_SG_SL_E_clISA_SA_SB_SB_EEDaSZ_S10_SG_SL_EUlSZ_E_NS1_11comp_targetILNS1_3genE5ELNS1_11target_archE942ELNS1_3gpuE9ELNS1_3repE0EEENS1_47radix_sort_onesweep_sort_config_static_selectorELNS0_4arch9wavefront6targetE0EEEvSG_
		.amdhsa_group_segment_fixed_size 0
		.amdhsa_private_segment_fixed_size 0
		.amdhsa_kernarg_size 88
		.amdhsa_user_sgpr_count 2
		.amdhsa_user_sgpr_dispatch_ptr 0
		.amdhsa_user_sgpr_queue_ptr 0
		.amdhsa_user_sgpr_kernarg_segment_ptr 1
		.amdhsa_user_sgpr_dispatch_id 0
		.amdhsa_user_sgpr_kernarg_preload_length 0
		.amdhsa_user_sgpr_kernarg_preload_offset 0
		.amdhsa_user_sgpr_private_segment_size 0
		.amdhsa_wavefront_size32 1
		.amdhsa_uses_dynamic_stack 0
		.amdhsa_enable_private_segment 0
		.amdhsa_system_sgpr_workgroup_id_x 1
		.amdhsa_system_sgpr_workgroup_id_y 0
		.amdhsa_system_sgpr_workgroup_id_z 0
		.amdhsa_system_sgpr_workgroup_info 0
		.amdhsa_system_vgpr_workitem_id 0
		.amdhsa_next_free_vgpr 1
		.amdhsa_next_free_sgpr 1
		.amdhsa_named_barrier_count 0
		.amdhsa_reserve_vcc 0
		.amdhsa_float_round_mode_32 0
		.amdhsa_float_round_mode_16_64 0
		.amdhsa_float_denorm_mode_32 3
		.amdhsa_float_denorm_mode_16_64 3
		.amdhsa_fp16_overflow 0
		.amdhsa_memory_ordered 1
		.amdhsa_forward_progress 1
		.amdhsa_inst_pref_size 0
		.amdhsa_round_robin_scheduling 0
		.amdhsa_exception_fp_ieee_invalid_op 0
		.amdhsa_exception_fp_denorm_src 0
		.amdhsa_exception_fp_ieee_div_zero 0
		.amdhsa_exception_fp_ieee_overflow 0
		.amdhsa_exception_fp_ieee_underflow 0
		.amdhsa_exception_fp_ieee_inexact 0
		.amdhsa_exception_int_div_zero 0
	.end_amdhsa_kernel
	.section	.text._ZN7rocprim17ROCPRIM_400000_NS6detail17trampoline_kernelINS0_14default_configENS1_35radix_sort_onesweep_config_selectorIsNS0_10empty_typeEEEZZNS1_29radix_sort_onesweep_iterationIS3_Lb1EPKsPsPS5_SB_mNS0_19identity_decomposerENS1_16block_id_wrapperIjLb1EEEEE10hipError_tT1_PNSt15iterator_traitsISG_E10value_typeET2_T3_PNSH_ISM_E10value_typeET4_T5_PSR_SS_PNS1_23onesweep_lookback_stateEbbT6_jjT7_P12ihipStream_tbENKUlT_T0_SG_SL_E_clISA_SA_SB_SB_EEDaSZ_S10_SG_SL_EUlSZ_E_NS1_11comp_targetILNS1_3genE5ELNS1_11target_archE942ELNS1_3gpuE9ELNS1_3repE0EEENS1_47radix_sort_onesweep_sort_config_static_selectorELNS0_4arch9wavefront6targetE0EEEvSG_,"axG",@progbits,_ZN7rocprim17ROCPRIM_400000_NS6detail17trampoline_kernelINS0_14default_configENS1_35radix_sort_onesweep_config_selectorIsNS0_10empty_typeEEEZZNS1_29radix_sort_onesweep_iterationIS3_Lb1EPKsPsPS5_SB_mNS0_19identity_decomposerENS1_16block_id_wrapperIjLb1EEEEE10hipError_tT1_PNSt15iterator_traitsISG_E10value_typeET2_T3_PNSH_ISM_E10value_typeET4_T5_PSR_SS_PNS1_23onesweep_lookback_stateEbbT6_jjT7_P12ihipStream_tbENKUlT_T0_SG_SL_E_clISA_SA_SB_SB_EEDaSZ_S10_SG_SL_EUlSZ_E_NS1_11comp_targetILNS1_3genE5ELNS1_11target_archE942ELNS1_3gpuE9ELNS1_3repE0EEENS1_47radix_sort_onesweep_sort_config_static_selectorELNS0_4arch9wavefront6targetE0EEEvSG_,comdat
.Lfunc_end613:
	.size	_ZN7rocprim17ROCPRIM_400000_NS6detail17trampoline_kernelINS0_14default_configENS1_35radix_sort_onesweep_config_selectorIsNS0_10empty_typeEEEZZNS1_29radix_sort_onesweep_iterationIS3_Lb1EPKsPsPS5_SB_mNS0_19identity_decomposerENS1_16block_id_wrapperIjLb1EEEEE10hipError_tT1_PNSt15iterator_traitsISG_E10value_typeET2_T3_PNSH_ISM_E10value_typeET4_T5_PSR_SS_PNS1_23onesweep_lookback_stateEbbT6_jjT7_P12ihipStream_tbENKUlT_T0_SG_SL_E_clISA_SA_SB_SB_EEDaSZ_S10_SG_SL_EUlSZ_E_NS1_11comp_targetILNS1_3genE5ELNS1_11target_archE942ELNS1_3gpuE9ELNS1_3repE0EEENS1_47radix_sort_onesweep_sort_config_static_selectorELNS0_4arch9wavefront6targetE0EEEvSG_, .Lfunc_end613-_ZN7rocprim17ROCPRIM_400000_NS6detail17trampoline_kernelINS0_14default_configENS1_35radix_sort_onesweep_config_selectorIsNS0_10empty_typeEEEZZNS1_29radix_sort_onesweep_iterationIS3_Lb1EPKsPsPS5_SB_mNS0_19identity_decomposerENS1_16block_id_wrapperIjLb1EEEEE10hipError_tT1_PNSt15iterator_traitsISG_E10value_typeET2_T3_PNSH_ISM_E10value_typeET4_T5_PSR_SS_PNS1_23onesweep_lookback_stateEbbT6_jjT7_P12ihipStream_tbENKUlT_T0_SG_SL_E_clISA_SA_SB_SB_EEDaSZ_S10_SG_SL_EUlSZ_E_NS1_11comp_targetILNS1_3genE5ELNS1_11target_archE942ELNS1_3gpuE9ELNS1_3repE0EEENS1_47radix_sort_onesweep_sort_config_static_selectorELNS0_4arch9wavefront6targetE0EEEvSG_
                                        ; -- End function
	.set _ZN7rocprim17ROCPRIM_400000_NS6detail17trampoline_kernelINS0_14default_configENS1_35radix_sort_onesweep_config_selectorIsNS0_10empty_typeEEEZZNS1_29radix_sort_onesweep_iterationIS3_Lb1EPKsPsPS5_SB_mNS0_19identity_decomposerENS1_16block_id_wrapperIjLb1EEEEE10hipError_tT1_PNSt15iterator_traitsISG_E10value_typeET2_T3_PNSH_ISM_E10value_typeET4_T5_PSR_SS_PNS1_23onesweep_lookback_stateEbbT6_jjT7_P12ihipStream_tbENKUlT_T0_SG_SL_E_clISA_SA_SB_SB_EEDaSZ_S10_SG_SL_EUlSZ_E_NS1_11comp_targetILNS1_3genE5ELNS1_11target_archE942ELNS1_3gpuE9ELNS1_3repE0EEENS1_47radix_sort_onesweep_sort_config_static_selectorELNS0_4arch9wavefront6targetE0EEEvSG_.num_vgpr, 0
	.set _ZN7rocprim17ROCPRIM_400000_NS6detail17trampoline_kernelINS0_14default_configENS1_35radix_sort_onesweep_config_selectorIsNS0_10empty_typeEEEZZNS1_29radix_sort_onesweep_iterationIS3_Lb1EPKsPsPS5_SB_mNS0_19identity_decomposerENS1_16block_id_wrapperIjLb1EEEEE10hipError_tT1_PNSt15iterator_traitsISG_E10value_typeET2_T3_PNSH_ISM_E10value_typeET4_T5_PSR_SS_PNS1_23onesweep_lookback_stateEbbT6_jjT7_P12ihipStream_tbENKUlT_T0_SG_SL_E_clISA_SA_SB_SB_EEDaSZ_S10_SG_SL_EUlSZ_E_NS1_11comp_targetILNS1_3genE5ELNS1_11target_archE942ELNS1_3gpuE9ELNS1_3repE0EEENS1_47radix_sort_onesweep_sort_config_static_selectorELNS0_4arch9wavefront6targetE0EEEvSG_.num_agpr, 0
	.set _ZN7rocprim17ROCPRIM_400000_NS6detail17trampoline_kernelINS0_14default_configENS1_35radix_sort_onesweep_config_selectorIsNS0_10empty_typeEEEZZNS1_29radix_sort_onesweep_iterationIS3_Lb1EPKsPsPS5_SB_mNS0_19identity_decomposerENS1_16block_id_wrapperIjLb1EEEEE10hipError_tT1_PNSt15iterator_traitsISG_E10value_typeET2_T3_PNSH_ISM_E10value_typeET4_T5_PSR_SS_PNS1_23onesweep_lookback_stateEbbT6_jjT7_P12ihipStream_tbENKUlT_T0_SG_SL_E_clISA_SA_SB_SB_EEDaSZ_S10_SG_SL_EUlSZ_E_NS1_11comp_targetILNS1_3genE5ELNS1_11target_archE942ELNS1_3gpuE9ELNS1_3repE0EEENS1_47radix_sort_onesweep_sort_config_static_selectorELNS0_4arch9wavefront6targetE0EEEvSG_.numbered_sgpr, 0
	.set _ZN7rocprim17ROCPRIM_400000_NS6detail17trampoline_kernelINS0_14default_configENS1_35radix_sort_onesweep_config_selectorIsNS0_10empty_typeEEEZZNS1_29radix_sort_onesweep_iterationIS3_Lb1EPKsPsPS5_SB_mNS0_19identity_decomposerENS1_16block_id_wrapperIjLb1EEEEE10hipError_tT1_PNSt15iterator_traitsISG_E10value_typeET2_T3_PNSH_ISM_E10value_typeET4_T5_PSR_SS_PNS1_23onesweep_lookback_stateEbbT6_jjT7_P12ihipStream_tbENKUlT_T0_SG_SL_E_clISA_SA_SB_SB_EEDaSZ_S10_SG_SL_EUlSZ_E_NS1_11comp_targetILNS1_3genE5ELNS1_11target_archE942ELNS1_3gpuE9ELNS1_3repE0EEENS1_47radix_sort_onesweep_sort_config_static_selectorELNS0_4arch9wavefront6targetE0EEEvSG_.num_named_barrier, 0
	.set _ZN7rocprim17ROCPRIM_400000_NS6detail17trampoline_kernelINS0_14default_configENS1_35radix_sort_onesweep_config_selectorIsNS0_10empty_typeEEEZZNS1_29radix_sort_onesweep_iterationIS3_Lb1EPKsPsPS5_SB_mNS0_19identity_decomposerENS1_16block_id_wrapperIjLb1EEEEE10hipError_tT1_PNSt15iterator_traitsISG_E10value_typeET2_T3_PNSH_ISM_E10value_typeET4_T5_PSR_SS_PNS1_23onesweep_lookback_stateEbbT6_jjT7_P12ihipStream_tbENKUlT_T0_SG_SL_E_clISA_SA_SB_SB_EEDaSZ_S10_SG_SL_EUlSZ_E_NS1_11comp_targetILNS1_3genE5ELNS1_11target_archE942ELNS1_3gpuE9ELNS1_3repE0EEENS1_47radix_sort_onesweep_sort_config_static_selectorELNS0_4arch9wavefront6targetE0EEEvSG_.private_seg_size, 0
	.set _ZN7rocprim17ROCPRIM_400000_NS6detail17trampoline_kernelINS0_14default_configENS1_35radix_sort_onesweep_config_selectorIsNS0_10empty_typeEEEZZNS1_29radix_sort_onesweep_iterationIS3_Lb1EPKsPsPS5_SB_mNS0_19identity_decomposerENS1_16block_id_wrapperIjLb1EEEEE10hipError_tT1_PNSt15iterator_traitsISG_E10value_typeET2_T3_PNSH_ISM_E10value_typeET4_T5_PSR_SS_PNS1_23onesweep_lookback_stateEbbT6_jjT7_P12ihipStream_tbENKUlT_T0_SG_SL_E_clISA_SA_SB_SB_EEDaSZ_S10_SG_SL_EUlSZ_E_NS1_11comp_targetILNS1_3genE5ELNS1_11target_archE942ELNS1_3gpuE9ELNS1_3repE0EEENS1_47radix_sort_onesweep_sort_config_static_selectorELNS0_4arch9wavefront6targetE0EEEvSG_.uses_vcc, 0
	.set _ZN7rocprim17ROCPRIM_400000_NS6detail17trampoline_kernelINS0_14default_configENS1_35radix_sort_onesweep_config_selectorIsNS0_10empty_typeEEEZZNS1_29radix_sort_onesweep_iterationIS3_Lb1EPKsPsPS5_SB_mNS0_19identity_decomposerENS1_16block_id_wrapperIjLb1EEEEE10hipError_tT1_PNSt15iterator_traitsISG_E10value_typeET2_T3_PNSH_ISM_E10value_typeET4_T5_PSR_SS_PNS1_23onesweep_lookback_stateEbbT6_jjT7_P12ihipStream_tbENKUlT_T0_SG_SL_E_clISA_SA_SB_SB_EEDaSZ_S10_SG_SL_EUlSZ_E_NS1_11comp_targetILNS1_3genE5ELNS1_11target_archE942ELNS1_3gpuE9ELNS1_3repE0EEENS1_47radix_sort_onesweep_sort_config_static_selectorELNS0_4arch9wavefront6targetE0EEEvSG_.uses_flat_scratch, 0
	.set _ZN7rocprim17ROCPRIM_400000_NS6detail17trampoline_kernelINS0_14default_configENS1_35radix_sort_onesweep_config_selectorIsNS0_10empty_typeEEEZZNS1_29radix_sort_onesweep_iterationIS3_Lb1EPKsPsPS5_SB_mNS0_19identity_decomposerENS1_16block_id_wrapperIjLb1EEEEE10hipError_tT1_PNSt15iterator_traitsISG_E10value_typeET2_T3_PNSH_ISM_E10value_typeET4_T5_PSR_SS_PNS1_23onesweep_lookback_stateEbbT6_jjT7_P12ihipStream_tbENKUlT_T0_SG_SL_E_clISA_SA_SB_SB_EEDaSZ_S10_SG_SL_EUlSZ_E_NS1_11comp_targetILNS1_3genE5ELNS1_11target_archE942ELNS1_3gpuE9ELNS1_3repE0EEENS1_47radix_sort_onesweep_sort_config_static_selectorELNS0_4arch9wavefront6targetE0EEEvSG_.has_dyn_sized_stack, 0
	.set _ZN7rocprim17ROCPRIM_400000_NS6detail17trampoline_kernelINS0_14default_configENS1_35radix_sort_onesweep_config_selectorIsNS0_10empty_typeEEEZZNS1_29radix_sort_onesweep_iterationIS3_Lb1EPKsPsPS5_SB_mNS0_19identity_decomposerENS1_16block_id_wrapperIjLb1EEEEE10hipError_tT1_PNSt15iterator_traitsISG_E10value_typeET2_T3_PNSH_ISM_E10value_typeET4_T5_PSR_SS_PNS1_23onesweep_lookback_stateEbbT6_jjT7_P12ihipStream_tbENKUlT_T0_SG_SL_E_clISA_SA_SB_SB_EEDaSZ_S10_SG_SL_EUlSZ_E_NS1_11comp_targetILNS1_3genE5ELNS1_11target_archE942ELNS1_3gpuE9ELNS1_3repE0EEENS1_47radix_sort_onesweep_sort_config_static_selectorELNS0_4arch9wavefront6targetE0EEEvSG_.has_recursion, 0
	.set _ZN7rocprim17ROCPRIM_400000_NS6detail17trampoline_kernelINS0_14default_configENS1_35radix_sort_onesweep_config_selectorIsNS0_10empty_typeEEEZZNS1_29radix_sort_onesweep_iterationIS3_Lb1EPKsPsPS5_SB_mNS0_19identity_decomposerENS1_16block_id_wrapperIjLb1EEEEE10hipError_tT1_PNSt15iterator_traitsISG_E10value_typeET2_T3_PNSH_ISM_E10value_typeET4_T5_PSR_SS_PNS1_23onesweep_lookback_stateEbbT6_jjT7_P12ihipStream_tbENKUlT_T0_SG_SL_E_clISA_SA_SB_SB_EEDaSZ_S10_SG_SL_EUlSZ_E_NS1_11comp_targetILNS1_3genE5ELNS1_11target_archE942ELNS1_3gpuE9ELNS1_3repE0EEENS1_47radix_sort_onesweep_sort_config_static_selectorELNS0_4arch9wavefront6targetE0EEEvSG_.has_indirect_call, 0
	.section	.AMDGPU.csdata,"",@progbits
; Kernel info:
; codeLenInByte = 0
; TotalNumSgprs: 0
; NumVgprs: 0
; ScratchSize: 0
; MemoryBound: 0
; FloatMode: 240
; IeeeMode: 1
; LDSByteSize: 0 bytes/workgroup (compile time only)
; SGPRBlocks: 0
; VGPRBlocks: 0
; NumSGPRsForWavesPerEU: 1
; NumVGPRsForWavesPerEU: 1
; NamedBarCnt: 0
; Occupancy: 16
; WaveLimiterHint : 0
; COMPUTE_PGM_RSRC2:SCRATCH_EN: 0
; COMPUTE_PGM_RSRC2:USER_SGPR: 2
; COMPUTE_PGM_RSRC2:TRAP_HANDLER: 0
; COMPUTE_PGM_RSRC2:TGID_X_EN: 1
; COMPUTE_PGM_RSRC2:TGID_Y_EN: 0
; COMPUTE_PGM_RSRC2:TGID_Z_EN: 0
; COMPUTE_PGM_RSRC2:TIDIG_COMP_CNT: 0
	.section	.text._ZN7rocprim17ROCPRIM_400000_NS6detail17trampoline_kernelINS0_14default_configENS1_35radix_sort_onesweep_config_selectorIsNS0_10empty_typeEEEZZNS1_29radix_sort_onesweep_iterationIS3_Lb1EPKsPsPS5_SB_mNS0_19identity_decomposerENS1_16block_id_wrapperIjLb1EEEEE10hipError_tT1_PNSt15iterator_traitsISG_E10value_typeET2_T3_PNSH_ISM_E10value_typeET4_T5_PSR_SS_PNS1_23onesweep_lookback_stateEbbT6_jjT7_P12ihipStream_tbENKUlT_T0_SG_SL_E_clISA_SA_SB_SB_EEDaSZ_S10_SG_SL_EUlSZ_E_NS1_11comp_targetILNS1_3genE2ELNS1_11target_archE906ELNS1_3gpuE6ELNS1_3repE0EEENS1_47radix_sort_onesweep_sort_config_static_selectorELNS0_4arch9wavefront6targetE0EEEvSG_,"axG",@progbits,_ZN7rocprim17ROCPRIM_400000_NS6detail17trampoline_kernelINS0_14default_configENS1_35radix_sort_onesweep_config_selectorIsNS0_10empty_typeEEEZZNS1_29radix_sort_onesweep_iterationIS3_Lb1EPKsPsPS5_SB_mNS0_19identity_decomposerENS1_16block_id_wrapperIjLb1EEEEE10hipError_tT1_PNSt15iterator_traitsISG_E10value_typeET2_T3_PNSH_ISM_E10value_typeET4_T5_PSR_SS_PNS1_23onesweep_lookback_stateEbbT6_jjT7_P12ihipStream_tbENKUlT_T0_SG_SL_E_clISA_SA_SB_SB_EEDaSZ_S10_SG_SL_EUlSZ_E_NS1_11comp_targetILNS1_3genE2ELNS1_11target_archE906ELNS1_3gpuE6ELNS1_3repE0EEENS1_47radix_sort_onesweep_sort_config_static_selectorELNS0_4arch9wavefront6targetE0EEEvSG_,comdat
	.protected	_ZN7rocprim17ROCPRIM_400000_NS6detail17trampoline_kernelINS0_14default_configENS1_35radix_sort_onesweep_config_selectorIsNS0_10empty_typeEEEZZNS1_29radix_sort_onesweep_iterationIS3_Lb1EPKsPsPS5_SB_mNS0_19identity_decomposerENS1_16block_id_wrapperIjLb1EEEEE10hipError_tT1_PNSt15iterator_traitsISG_E10value_typeET2_T3_PNSH_ISM_E10value_typeET4_T5_PSR_SS_PNS1_23onesweep_lookback_stateEbbT6_jjT7_P12ihipStream_tbENKUlT_T0_SG_SL_E_clISA_SA_SB_SB_EEDaSZ_S10_SG_SL_EUlSZ_E_NS1_11comp_targetILNS1_3genE2ELNS1_11target_archE906ELNS1_3gpuE6ELNS1_3repE0EEENS1_47radix_sort_onesweep_sort_config_static_selectorELNS0_4arch9wavefront6targetE0EEEvSG_ ; -- Begin function _ZN7rocprim17ROCPRIM_400000_NS6detail17trampoline_kernelINS0_14default_configENS1_35radix_sort_onesweep_config_selectorIsNS0_10empty_typeEEEZZNS1_29radix_sort_onesweep_iterationIS3_Lb1EPKsPsPS5_SB_mNS0_19identity_decomposerENS1_16block_id_wrapperIjLb1EEEEE10hipError_tT1_PNSt15iterator_traitsISG_E10value_typeET2_T3_PNSH_ISM_E10value_typeET4_T5_PSR_SS_PNS1_23onesweep_lookback_stateEbbT6_jjT7_P12ihipStream_tbENKUlT_T0_SG_SL_E_clISA_SA_SB_SB_EEDaSZ_S10_SG_SL_EUlSZ_E_NS1_11comp_targetILNS1_3genE2ELNS1_11target_archE906ELNS1_3gpuE6ELNS1_3repE0EEENS1_47radix_sort_onesweep_sort_config_static_selectorELNS0_4arch9wavefront6targetE0EEEvSG_
	.globl	_ZN7rocprim17ROCPRIM_400000_NS6detail17trampoline_kernelINS0_14default_configENS1_35radix_sort_onesweep_config_selectorIsNS0_10empty_typeEEEZZNS1_29radix_sort_onesweep_iterationIS3_Lb1EPKsPsPS5_SB_mNS0_19identity_decomposerENS1_16block_id_wrapperIjLb1EEEEE10hipError_tT1_PNSt15iterator_traitsISG_E10value_typeET2_T3_PNSH_ISM_E10value_typeET4_T5_PSR_SS_PNS1_23onesweep_lookback_stateEbbT6_jjT7_P12ihipStream_tbENKUlT_T0_SG_SL_E_clISA_SA_SB_SB_EEDaSZ_S10_SG_SL_EUlSZ_E_NS1_11comp_targetILNS1_3genE2ELNS1_11target_archE906ELNS1_3gpuE6ELNS1_3repE0EEENS1_47radix_sort_onesweep_sort_config_static_selectorELNS0_4arch9wavefront6targetE0EEEvSG_
	.p2align	8
	.type	_ZN7rocprim17ROCPRIM_400000_NS6detail17trampoline_kernelINS0_14default_configENS1_35radix_sort_onesweep_config_selectorIsNS0_10empty_typeEEEZZNS1_29radix_sort_onesweep_iterationIS3_Lb1EPKsPsPS5_SB_mNS0_19identity_decomposerENS1_16block_id_wrapperIjLb1EEEEE10hipError_tT1_PNSt15iterator_traitsISG_E10value_typeET2_T3_PNSH_ISM_E10value_typeET4_T5_PSR_SS_PNS1_23onesweep_lookback_stateEbbT6_jjT7_P12ihipStream_tbENKUlT_T0_SG_SL_E_clISA_SA_SB_SB_EEDaSZ_S10_SG_SL_EUlSZ_E_NS1_11comp_targetILNS1_3genE2ELNS1_11target_archE906ELNS1_3gpuE6ELNS1_3repE0EEENS1_47radix_sort_onesweep_sort_config_static_selectorELNS0_4arch9wavefront6targetE0EEEvSG_,@function
_ZN7rocprim17ROCPRIM_400000_NS6detail17trampoline_kernelINS0_14default_configENS1_35radix_sort_onesweep_config_selectorIsNS0_10empty_typeEEEZZNS1_29radix_sort_onesweep_iterationIS3_Lb1EPKsPsPS5_SB_mNS0_19identity_decomposerENS1_16block_id_wrapperIjLb1EEEEE10hipError_tT1_PNSt15iterator_traitsISG_E10value_typeET2_T3_PNSH_ISM_E10value_typeET4_T5_PSR_SS_PNS1_23onesweep_lookback_stateEbbT6_jjT7_P12ihipStream_tbENKUlT_T0_SG_SL_E_clISA_SA_SB_SB_EEDaSZ_S10_SG_SL_EUlSZ_E_NS1_11comp_targetILNS1_3genE2ELNS1_11target_archE906ELNS1_3gpuE6ELNS1_3repE0EEENS1_47radix_sort_onesweep_sort_config_static_selectorELNS0_4arch9wavefront6targetE0EEEvSG_: ; @_ZN7rocprim17ROCPRIM_400000_NS6detail17trampoline_kernelINS0_14default_configENS1_35radix_sort_onesweep_config_selectorIsNS0_10empty_typeEEEZZNS1_29radix_sort_onesweep_iterationIS3_Lb1EPKsPsPS5_SB_mNS0_19identity_decomposerENS1_16block_id_wrapperIjLb1EEEEE10hipError_tT1_PNSt15iterator_traitsISG_E10value_typeET2_T3_PNSH_ISM_E10value_typeET4_T5_PSR_SS_PNS1_23onesweep_lookback_stateEbbT6_jjT7_P12ihipStream_tbENKUlT_T0_SG_SL_E_clISA_SA_SB_SB_EEDaSZ_S10_SG_SL_EUlSZ_E_NS1_11comp_targetILNS1_3genE2ELNS1_11target_archE906ELNS1_3gpuE6ELNS1_3repE0EEENS1_47radix_sort_onesweep_sort_config_static_selectorELNS0_4arch9wavefront6targetE0EEEvSG_
; %bb.0:
	.section	.rodata,"a",@progbits
	.p2align	6, 0x0
	.amdhsa_kernel _ZN7rocprim17ROCPRIM_400000_NS6detail17trampoline_kernelINS0_14default_configENS1_35radix_sort_onesweep_config_selectorIsNS0_10empty_typeEEEZZNS1_29radix_sort_onesweep_iterationIS3_Lb1EPKsPsPS5_SB_mNS0_19identity_decomposerENS1_16block_id_wrapperIjLb1EEEEE10hipError_tT1_PNSt15iterator_traitsISG_E10value_typeET2_T3_PNSH_ISM_E10value_typeET4_T5_PSR_SS_PNS1_23onesweep_lookback_stateEbbT6_jjT7_P12ihipStream_tbENKUlT_T0_SG_SL_E_clISA_SA_SB_SB_EEDaSZ_S10_SG_SL_EUlSZ_E_NS1_11comp_targetILNS1_3genE2ELNS1_11target_archE906ELNS1_3gpuE6ELNS1_3repE0EEENS1_47radix_sort_onesweep_sort_config_static_selectorELNS0_4arch9wavefront6targetE0EEEvSG_
		.amdhsa_group_segment_fixed_size 0
		.amdhsa_private_segment_fixed_size 0
		.amdhsa_kernarg_size 88
		.amdhsa_user_sgpr_count 2
		.amdhsa_user_sgpr_dispatch_ptr 0
		.amdhsa_user_sgpr_queue_ptr 0
		.amdhsa_user_sgpr_kernarg_segment_ptr 1
		.amdhsa_user_sgpr_dispatch_id 0
		.amdhsa_user_sgpr_kernarg_preload_length 0
		.amdhsa_user_sgpr_kernarg_preload_offset 0
		.amdhsa_user_sgpr_private_segment_size 0
		.amdhsa_wavefront_size32 1
		.amdhsa_uses_dynamic_stack 0
		.amdhsa_enable_private_segment 0
		.amdhsa_system_sgpr_workgroup_id_x 1
		.amdhsa_system_sgpr_workgroup_id_y 0
		.amdhsa_system_sgpr_workgroup_id_z 0
		.amdhsa_system_sgpr_workgroup_info 0
		.amdhsa_system_vgpr_workitem_id 0
		.amdhsa_next_free_vgpr 1
		.amdhsa_next_free_sgpr 1
		.amdhsa_named_barrier_count 0
		.amdhsa_reserve_vcc 0
		.amdhsa_float_round_mode_32 0
		.amdhsa_float_round_mode_16_64 0
		.amdhsa_float_denorm_mode_32 3
		.amdhsa_float_denorm_mode_16_64 3
		.amdhsa_fp16_overflow 0
		.amdhsa_memory_ordered 1
		.amdhsa_forward_progress 1
		.amdhsa_inst_pref_size 0
		.amdhsa_round_robin_scheduling 0
		.amdhsa_exception_fp_ieee_invalid_op 0
		.amdhsa_exception_fp_denorm_src 0
		.amdhsa_exception_fp_ieee_div_zero 0
		.amdhsa_exception_fp_ieee_overflow 0
		.amdhsa_exception_fp_ieee_underflow 0
		.amdhsa_exception_fp_ieee_inexact 0
		.amdhsa_exception_int_div_zero 0
	.end_amdhsa_kernel
	.section	.text._ZN7rocprim17ROCPRIM_400000_NS6detail17trampoline_kernelINS0_14default_configENS1_35radix_sort_onesweep_config_selectorIsNS0_10empty_typeEEEZZNS1_29radix_sort_onesweep_iterationIS3_Lb1EPKsPsPS5_SB_mNS0_19identity_decomposerENS1_16block_id_wrapperIjLb1EEEEE10hipError_tT1_PNSt15iterator_traitsISG_E10value_typeET2_T3_PNSH_ISM_E10value_typeET4_T5_PSR_SS_PNS1_23onesweep_lookback_stateEbbT6_jjT7_P12ihipStream_tbENKUlT_T0_SG_SL_E_clISA_SA_SB_SB_EEDaSZ_S10_SG_SL_EUlSZ_E_NS1_11comp_targetILNS1_3genE2ELNS1_11target_archE906ELNS1_3gpuE6ELNS1_3repE0EEENS1_47radix_sort_onesweep_sort_config_static_selectorELNS0_4arch9wavefront6targetE0EEEvSG_,"axG",@progbits,_ZN7rocprim17ROCPRIM_400000_NS6detail17trampoline_kernelINS0_14default_configENS1_35radix_sort_onesweep_config_selectorIsNS0_10empty_typeEEEZZNS1_29radix_sort_onesweep_iterationIS3_Lb1EPKsPsPS5_SB_mNS0_19identity_decomposerENS1_16block_id_wrapperIjLb1EEEEE10hipError_tT1_PNSt15iterator_traitsISG_E10value_typeET2_T3_PNSH_ISM_E10value_typeET4_T5_PSR_SS_PNS1_23onesweep_lookback_stateEbbT6_jjT7_P12ihipStream_tbENKUlT_T0_SG_SL_E_clISA_SA_SB_SB_EEDaSZ_S10_SG_SL_EUlSZ_E_NS1_11comp_targetILNS1_3genE2ELNS1_11target_archE906ELNS1_3gpuE6ELNS1_3repE0EEENS1_47radix_sort_onesweep_sort_config_static_selectorELNS0_4arch9wavefront6targetE0EEEvSG_,comdat
.Lfunc_end614:
	.size	_ZN7rocprim17ROCPRIM_400000_NS6detail17trampoline_kernelINS0_14default_configENS1_35radix_sort_onesweep_config_selectorIsNS0_10empty_typeEEEZZNS1_29radix_sort_onesweep_iterationIS3_Lb1EPKsPsPS5_SB_mNS0_19identity_decomposerENS1_16block_id_wrapperIjLb1EEEEE10hipError_tT1_PNSt15iterator_traitsISG_E10value_typeET2_T3_PNSH_ISM_E10value_typeET4_T5_PSR_SS_PNS1_23onesweep_lookback_stateEbbT6_jjT7_P12ihipStream_tbENKUlT_T0_SG_SL_E_clISA_SA_SB_SB_EEDaSZ_S10_SG_SL_EUlSZ_E_NS1_11comp_targetILNS1_3genE2ELNS1_11target_archE906ELNS1_3gpuE6ELNS1_3repE0EEENS1_47radix_sort_onesweep_sort_config_static_selectorELNS0_4arch9wavefront6targetE0EEEvSG_, .Lfunc_end614-_ZN7rocprim17ROCPRIM_400000_NS6detail17trampoline_kernelINS0_14default_configENS1_35radix_sort_onesweep_config_selectorIsNS0_10empty_typeEEEZZNS1_29radix_sort_onesweep_iterationIS3_Lb1EPKsPsPS5_SB_mNS0_19identity_decomposerENS1_16block_id_wrapperIjLb1EEEEE10hipError_tT1_PNSt15iterator_traitsISG_E10value_typeET2_T3_PNSH_ISM_E10value_typeET4_T5_PSR_SS_PNS1_23onesweep_lookback_stateEbbT6_jjT7_P12ihipStream_tbENKUlT_T0_SG_SL_E_clISA_SA_SB_SB_EEDaSZ_S10_SG_SL_EUlSZ_E_NS1_11comp_targetILNS1_3genE2ELNS1_11target_archE906ELNS1_3gpuE6ELNS1_3repE0EEENS1_47radix_sort_onesweep_sort_config_static_selectorELNS0_4arch9wavefront6targetE0EEEvSG_
                                        ; -- End function
	.set _ZN7rocprim17ROCPRIM_400000_NS6detail17trampoline_kernelINS0_14default_configENS1_35radix_sort_onesweep_config_selectorIsNS0_10empty_typeEEEZZNS1_29radix_sort_onesweep_iterationIS3_Lb1EPKsPsPS5_SB_mNS0_19identity_decomposerENS1_16block_id_wrapperIjLb1EEEEE10hipError_tT1_PNSt15iterator_traitsISG_E10value_typeET2_T3_PNSH_ISM_E10value_typeET4_T5_PSR_SS_PNS1_23onesweep_lookback_stateEbbT6_jjT7_P12ihipStream_tbENKUlT_T0_SG_SL_E_clISA_SA_SB_SB_EEDaSZ_S10_SG_SL_EUlSZ_E_NS1_11comp_targetILNS1_3genE2ELNS1_11target_archE906ELNS1_3gpuE6ELNS1_3repE0EEENS1_47radix_sort_onesweep_sort_config_static_selectorELNS0_4arch9wavefront6targetE0EEEvSG_.num_vgpr, 0
	.set _ZN7rocprim17ROCPRIM_400000_NS6detail17trampoline_kernelINS0_14default_configENS1_35radix_sort_onesweep_config_selectorIsNS0_10empty_typeEEEZZNS1_29radix_sort_onesweep_iterationIS3_Lb1EPKsPsPS5_SB_mNS0_19identity_decomposerENS1_16block_id_wrapperIjLb1EEEEE10hipError_tT1_PNSt15iterator_traitsISG_E10value_typeET2_T3_PNSH_ISM_E10value_typeET4_T5_PSR_SS_PNS1_23onesweep_lookback_stateEbbT6_jjT7_P12ihipStream_tbENKUlT_T0_SG_SL_E_clISA_SA_SB_SB_EEDaSZ_S10_SG_SL_EUlSZ_E_NS1_11comp_targetILNS1_3genE2ELNS1_11target_archE906ELNS1_3gpuE6ELNS1_3repE0EEENS1_47radix_sort_onesweep_sort_config_static_selectorELNS0_4arch9wavefront6targetE0EEEvSG_.num_agpr, 0
	.set _ZN7rocprim17ROCPRIM_400000_NS6detail17trampoline_kernelINS0_14default_configENS1_35radix_sort_onesweep_config_selectorIsNS0_10empty_typeEEEZZNS1_29radix_sort_onesweep_iterationIS3_Lb1EPKsPsPS5_SB_mNS0_19identity_decomposerENS1_16block_id_wrapperIjLb1EEEEE10hipError_tT1_PNSt15iterator_traitsISG_E10value_typeET2_T3_PNSH_ISM_E10value_typeET4_T5_PSR_SS_PNS1_23onesweep_lookback_stateEbbT6_jjT7_P12ihipStream_tbENKUlT_T0_SG_SL_E_clISA_SA_SB_SB_EEDaSZ_S10_SG_SL_EUlSZ_E_NS1_11comp_targetILNS1_3genE2ELNS1_11target_archE906ELNS1_3gpuE6ELNS1_3repE0EEENS1_47radix_sort_onesweep_sort_config_static_selectorELNS0_4arch9wavefront6targetE0EEEvSG_.numbered_sgpr, 0
	.set _ZN7rocprim17ROCPRIM_400000_NS6detail17trampoline_kernelINS0_14default_configENS1_35radix_sort_onesweep_config_selectorIsNS0_10empty_typeEEEZZNS1_29radix_sort_onesweep_iterationIS3_Lb1EPKsPsPS5_SB_mNS0_19identity_decomposerENS1_16block_id_wrapperIjLb1EEEEE10hipError_tT1_PNSt15iterator_traitsISG_E10value_typeET2_T3_PNSH_ISM_E10value_typeET4_T5_PSR_SS_PNS1_23onesweep_lookback_stateEbbT6_jjT7_P12ihipStream_tbENKUlT_T0_SG_SL_E_clISA_SA_SB_SB_EEDaSZ_S10_SG_SL_EUlSZ_E_NS1_11comp_targetILNS1_3genE2ELNS1_11target_archE906ELNS1_3gpuE6ELNS1_3repE0EEENS1_47radix_sort_onesweep_sort_config_static_selectorELNS0_4arch9wavefront6targetE0EEEvSG_.num_named_barrier, 0
	.set _ZN7rocprim17ROCPRIM_400000_NS6detail17trampoline_kernelINS0_14default_configENS1_35radix_sort_onesweep_config_selectorIsNS0_10empty_typeEEEZZNS1_29radix_sort_onesweep_iterationIS3_Lb1EPKsPsPS5_SB_mNS0_19identity_decomposerENS1_16block_id_wrapperIjLb1EEEEE10hipError_tT1_PNSt15iterator_traitsISG_E10value_typeET2_T3_PNSH_ISM_E10value_typeET4_T5_PSR_SS_PNS1_23onesweep_lookback_stateEbbT6_jjT7_P12ihipStream_tbENKUlT_T0_SG_SL_E_clISA_SA_SB_SB_EEDaSZ_S10_SG_SL_EUlSZ_E_NS1_11comp_targetILNS1_3genE2ELNS1_11target_archE906ELNS1_3gpuE6ELNS1_3repE0EEENS1_47radix_sort_onesweep_sort_config_static_selectorELNS0_4arch9wavefront6targetE0EEEvSG_.private_seg_size, 0
	.set _ZN7rocprim17ROCPRIM_400000_NS6detail17trampoline_kernelINS0_14default_configENS1_35radix_sort_onesweep_config_selectorIsNS0_10empty_typeEEEZZNS1_29radix_sort_onesweep_iterationIS3_Lb1EPKsPsPS5_SB_mNS0_19identity_decomposerENS1_16block_id_wrapperIjLb1EEEEE10hipError_tT1_PNSt15iterator_traitsISG_E10value_typeET2_T3_PNSH_ISM_E10value_typeET4_T5_PSR_SS_PNS1_23onesweep_lookback_stateEbbT6_jjT7_P12ihipStream_tbENKUlT_T0_SG_SL_E_clISA_SA_SB_SB_EEDaSZ_S10_SG_SL_EUlSZ_E_NS1_11comp_targetILNS1_3genE2ELNS1_11target_archE906ELNS1_3gpuE6ELNS1_3repE0EEENS1_47radix_sort_onesweep_sort_config_static_selectorELNS0_4arch9wavefront6targetE0EEEvSG_.uses_vcc, 0
	.set _ZN7rocprim17ROCPRIM_400000_NS6detail17trampoline_kernelINS0_14default_configENS1_35radix_sort_onesweep_config_selectorIsNS0_10empty_typeEEEZZNS1_29radix_sort_onesweep_iterationIS3_Lb1EPKsPsPS5_SB_mNS0_19identity_decomposerENS1_16block_id_wrapperIjLb1EEEEE10hipError_tT1_PNSt15iterator_traitsISG_E10value_typeET2_T3_PNSH_ISM_E10value_typeET4_T5_PSR_SS_PNS1_23onesweep_lookback_stateEbbT6_jjT7_P12ihipStream_tbENKUlT_T0_SG_SL_E_clISA_SA_SB_SB_EEDaSZ_S10_SG_SL_EUlSZ_E_NS1_11comp_targetILNS1_3genE2ELNS1_11target_archE906ELNS1_3gpuE6ELNS1_3repE0EEENS1_47radix_sort_onesweep_sort_config_static_selectorELNS0_4arch9wavefront6targetE0EEEvSG_.uses_flat_scratch, 0
	.set _ZN7rocprim17ROCPRIM_400000_NS6detail17trampoline_kernelINS0_14default_configENS1_35radix_sort_onesweep_config_selectorIsNS0_10empty_typeEEEZZNS1_29radix_sort_onesweep_iterationIS3_Lb1EPKsPsPS5_SB_mNS0_19identity_decomposerENS1_16block_id_wrapperIjLb1EEEEE10hipError_tT1_PNSt15iterator_traitsISG_E10value_typeET2_T3_PNSH_ISM_E10value_typeET4_T5_PSR_SS_PNS1_23onesweep_lookback_stateEbbT6_jjT7_P12ihipStream_tbENKUlT_T0_SG_SL_E_clISA_SA_SB_SB_EEDaSZ_S10_SG_SL_EUlSZ_E_NS1_11comp_targetILNS1_3genE2ELNS1_11target_archE906ELNS1_3gpuE6ELNS1_3repE0EEENS1_47radix_sort_onesweep_sort_config_static_selectorELNS0_4arch9wavefront6targetE0EEEvSG_.has_dyn_sized_stack, 0
	.set _ZN7rocprim17ROCPRIM_400000_NS6detail17trampoline_kernelINS0_14default_configENS1_35radix_sort_onesweep_config_selectorIsNS0_10empty_typeEEEZZNS1_29radix_sort_onesweep_iterationIS3_Lb1EPKsPsPS5_SB_mNS0_19identity_decomposerENS1_16block_id_wrapperIjLb1EEEEE10hipError_tT1_PNSt15iterator_traitsISG_E10value_typeET2_T3_PNSH_ISM_E10value_typeET4_T5_PSR_SS_PNS1_23onesweep_lookback_stateEbbT6_jjT7_P12ihipStream_tbENKUlT_T0_SG_SL_E_clISA_SA_SB_SB_EEDaSZ_S10_SG_SL_EUlSZ_E_NS1_11comp_targetILNS1_3genE2ELNS1_11target_archE906ELNS1_3gpuE6ELNS1_3repE0EEENS1_47radix_sort_onesweep_sort_config_static_selectorELNS0_4arch9wavefront6targetE0EEEvSG_.has_recursion, 0
	.set _ZN7rocprim17ROCPRIM_400000_NS6detail17trampoline_kernelINS0_14default_configENS1_35radix_sort_onesweep_config_selectorIsNS0_10empty_typeEEEZZNS1_29radix_sort_onesweep_iterationIS3_Lb1EPKsPsPS5_SB_mNS0_19identity_decomposerENS1_16block_id_wrapperIjLb1EEEEE10hipError_tT1_PNSt15iterator_traitsISG_E10value_typeET2_T3_PNSH_ISM_E10value_typeET4_T5_PSR_SS_PNS1_23onesweep_lookback_stateEbbT6_jjT7_P12ihipStream_tbENKUlT_T0_SG_SL_E_clISA_SA_SB_SB_EEDaSZ_S10_SG_SL_EUlSZ_E_NS1_11comp_targetILNS1_3genE2ELNS1_11target_archE906ELNS1_3gpuE6ELNS1_3repE0EEENS1_47radix_sort_onesweep_sort_config_static_selectorELNS0_4arch9wavefront6targetE0EEEvSG_.has_indirect_call, 0
	.section	.AMDGPU.csdata,"",@progbits
; Kernel info:
; codeLenInByte = 0
; TotalNumSgprs: 0
; NumVgprs: 0
; ScratchSize: 0
; MemoryBound: 0
; FloatMode: 240
; IeeeMode: 1
; LDSByteSize: 0 bytes/workgroup (compile time only)
; SGPRBlocks: 0
; VGPRBlocks: 0
; NumSGPRsForWavesPerEU: 1
; NumVGPRsForWavesPerEU: 1
; NamedBarCnt: 0
; Occupancy: 16
; WaveLimiterHint : 0
; COMPUTE_PGM_RSRC2:SCRATCH_EN: 0
; COMPUTE_PGM_RSRC2:USER_SGPR: 2
; COMPUTE_PGM_RSRC2:TRAP_HANDLER: 0
; COMPUTE_PGM_RSRC2:TGID_X_EN: 1
; COMPUTE_PGM_RSRC2:TGID_Y_EN: 0
; COMPUTE_PGM_RSRC2:TGID_Z_EN: 0
; COMPUTE_PGM_RSRC2:TIDIG_COMP_CNT: 0
	.section	.text._ZN7rocprim17ROCPRIM_400000_NS6detail17trampoline_kernelINS0_14default_configENS1_35radix_sort_onesweep_config_selectorIsNS0_10empty_typeEEEZZNS1_29radix_sort_onesweep_iterationIS3_Lb1EPKsPsPS5_SB_mNS0_19identity_decomposerENS1_16block_id_wrapperIjLb1EEEEE10hipError_tT1_PNSt15iterator_traitsISG_E10value_typeET2_T3_PNSH_ISM_E10value_typeET4_T5_PSR_SS_PNS1_23onesweep_lookback_stateEbbT6_jjT7_P12ihipStream_tbENKUlT_T0_SG_SL_E_clISA_SA_SB_SB_EEDaSZ_S10_SG_SL_EUlSZ_E_NS1_11comp_targetILNS1_3genE4ELNS1_11target_archE910ELNS1_3gpuE8ELNS1_3repE0EEENS1_47radix_sort_onesweep_sort_config_static_selectorELNS0_4arch9wavefront6targetE0EEEvSG_,"axG",@progbits,_ZN7rocprim17ROCPRIM_400000_NS6detail17trampoline_kernelINS0_14default_configENS1_35radix_sort_onesweep_config_selectorIsNS0_10empty_typeEEEZZNS1_29radix_sort_onesweep_iterationIS3_Lb1EPKsPsPS5_SB_mNS0_19identity_decomposerENS1_16block_id_wrapperIjLb1EEEEE10hipError_tT1_PNSt15iterator_traitsISG_E10value_typeET2_T3_PNSH_ISM_E10value_typeET4_T5_PSR_SS_PNS1_23onesweep_lookback_stateEbbT6_jjT7_P12ihipStream_tbENKUlT_T0_SG_SL_E_clISA_SA_SB_SB_EEDaSZ_S10_SG_SL_EUlSZ_E_NS1_11comp_targetILNS1_3genE4ELNS1_11target_archE910ELNS1_3gpuE8ELNS1_3repE0EEENS1_47radix_sort_onesweep_sort_config_static_selectorELNS0_4arch9wavefront6targetE0EEEvSG_,comdat
	.protected	_ZN7rocprim17ROCPRIM_400000_NS6detail17trampoline_kernelINS0_14default_configENS1_35radix_sort_onesweep_config_selectorIsNS0_10empty_typeEEEZZNS1_29radix_sort_onesweep_iterationIS3_Lb1EPKsPsPS5_SB_mNS0_19identity_decomposerENS1_16block_id_wrapperIjLb1EEEEE10hipError_tT1_PNSt15iterator_traitsISG_E10value_typeET2_T3_PNSH_ISM_E10value_typeET4_T5_PSR_SS_PNS1_23onesweep_lookback_stateEbbT6_jjT7_P12ihipStream_tbENKUlT_T0_SG_SL_E_clISA_SA_SB_SB_EEDaSZ_S10_SG_SL_EUlSZ_E_NS1_11comp_targetILNS1_3genE4ELNS1_11target_archE910ELNS1_3gpuE8ELNS1_3repE0EEENS1_47radix_sort_onesweep_sort_config_static_selectorELNS0_4arch9wavefront6targetE0EEEvSG_ ; -- Begin function _ZN7rocprim17ROCPRIM_400000_NS6detail17trampoline_kernelINS0_14default_configENS1_35radix_sort_onesweep_config_selectorIsNS0_10empty_typeEEEZZNS1_29radix_sort_onesweep_iterationIS3_Lb1EPKsPsPS5_SB_mNS0_19identity_decomposerENS1_16block_id_wrapperIjLb1EEEEE10hipError_tT1_PNSt15iterator_traitsISG_E10value_typeET2_T3_PNSH_ISM_E10value_typeET4_T5_PSR_SS_PNS1_23onesweep_lookback_stateEbbT6_jjT7_P12ihipStream_tbENKUlT_T0_SG_SL_E_clISA_SA_SB_SB_EEDaSZ_S10_SG_SL_EUlSZ_E_NS1_11comp_targetILNS1_3genE4ELNS1_11target_archE910ELNS1_3gpuE8ELNS1_3repE0EEENS1_47radix_sort_onesweep_sort_config_static_selectorELNS0_4arch9wavefront6targetE0EEEvSG_
	.globl	_ZN7rocprim17ROCPRIM_400000_NS6detail17trampoline_kernelINS0_14default_configENS1_35radix_sort_onesweep_config_selectorIsNS0_10empty_typeEEEZZNS1_29radix_sort_onesweep_iterationIS3_Lb1EPKsPsPS5_SB_mNS0_19identity_decomposerENS1_16block_id_wrapperIjLb1EEEEE10hipError_tT1_PNSt15iterator_traitsISG_E10value_typeET2_T3_PNSH_ISM_E10value_typeET4_T5_PSR_SS_PNS1_23onesweep_lookback_stateEbbT6_jjT7_P12ihipStream_tbENKUlT_T0_SG_SL_E_clISA_SA_SB_SB_EEDaSZ_S10_SG_SL_EUlSZ_E_NS1_11comp_targetILNS1_3genE4ELNS1_11target_archE910ELNS1_3gpuE8ELNS1_3repE0EEENS1_47radix_sort_onesweep_sort_config_static_selectorELNS0_4arch9wavefront6targetE0EEEvSG_
	.p2align	8
	.type	_ZN7rocprim17ROCPRIM_400000_NS6detail17trampoline_kernelINS0_14default_configENS1_35radix_sort_onesweep_config_selectorIsNS0_10empty_typeEEEZZNS1_29radix_sort_onesweep_iterationIS3_Lb1EPKsPsPS5_SB_mNS0_19identity_decomposerENS1_16block_id_wrapperIjLb1EEEEE10hipError_tT1_PNSt15iterator_traitsISG_E10value_typeET2_T3_PNSH_ISM_E10value_typeET4_T5_PSR_SS_PNS1_23onesweep_lookback_stateEbbT6_jjT7_P12ihipStream_tbENKUlT_T0_SG_SL_E_clISA_SA_SB_SB_EEDaSZ_S10_SG_SL_EUlSZ_E_NS1_11comp_targetILNS1_3genE4ELNS1_11target_archE910ELNS1_3gpuE8ELNS1_3repE0EEENS1_47radix_sort_onesweep_sort_config_static_selectorELNS0_4arch9wavefront6targetE0EEEvSG_,@function
_ZN7rocprim17ROCPRIM_400000_NS6detail17trampoline_kernelINS0_14default_configENS1_35radix_sort_onesweep_config_selectorIsNS0_10empty_typeEEEZZNS1_29radix_sort_onesweep_iterationIS3_Lb1EPKsPsPS5_SB_mNS0_19identity_decomposerENS1_16block_id_wrapperIjLb1EEEEE10hipError_tT1_PNSt15iterator_traitsISG_E10value_typeET2_T3_PNSH_ISM_E10value_typeET4_T5_PSR_SS_PNS1_23onesweep_lookback_stateEbbT6_jjT7_P12ihipStream_tbENKUlT_T0_SG_SL_E_clISA_SA_SB_SB_EEDaSZ_S10_SG_SL_EUlSZ_E_NS1_11comp_targetILNS1_3genE4ELNS1_11target_archE910ELNS1_3gpuE8ELNS1_3repE0EEENS1_47radix_sort_onesweep_sort_config_static_selectorELNS0_4arch9wavefront6targetE0EEEvSG_: ; @_ZN7rocprim17ROCPRIM_400000_NS6detail17trampoline_kernelINS0_14default_configENS1_35radix_sort_onesweep_config_selectorIsNS0_10empty_typeEEEZZNS1_29radix_sort_onesweep_iterationIS3_Lb1EPKsPsPS5_SB_mNS0_19identity_decomposerENS1_16block_id_wrapperIjLb1EEEEE10hipError_tT1_PNSt15iterator_traitsISG_E10value_typeET2_T3_PNSH_ISM_E10value_typeET4_T5_PSR_SS_PNS1_23onesweep_lookback_stateEbbT6_jjT7_P12ihipStream_tbENKUlT_T0_SG_SL_E_clISA_SA_SB_SB_EEDaSZ_S10_SG_SL_EUlSZ_E_NS1_11comp_targetILNS1_3genE4ELNS1_11target_archE910ELNS1_3gpuE8ELNS1_3repE0EEENS1_47radix_sort_onesweep_sort_config_static_selectorELNS0_4arch9wavefront6targetE0EEEvSG_
; %bb.0:
	.section	.rodata,"a",@progbits
	.p2align	6, 0x0
	.amdhsa_kernel _ZN7rocprim17ROCPRIM_400000_NS6detail17trampoline_kernelINS0_14default_configENS1_35radix_sort_onesweep_config_selectorIsNS0_10empty_typeEEEZZNS1_29radix_sort_onesweep_iterationIS3_Lb1EPKsPsPS5_SB_mNS0_19identity_decomposerENS1_16block_id_wrapperIjLb1EEEEE10hipError_tT1_PNSt15iterator_traitsISG_E10value_typeET2_T3_PNSH_ISM_E10value_typeET4_T5_PSR_SS_PNS1_23onesweep_lookback_stateEbbT6_jjT7_P12ihipStream_tbENKUlT_T0_SG_SL_E_clISA_SA_SB_SB_EEDaSZ_S10_SG_SL_EUlSZ_E_NS1_11comp_targetILNS1_3genE4ELNS1_11target_archE910ELNS1_3gpuE8ELNS1_3repE0EEENS1_47radix_sort_onesweep_sort_config_static_selectorELNS0_4arch9wavefront6targetE0EEEvSG_
		.amdhsa_group_segment_fixed_size 0
		.amdhsa_private_segment_fixed_size 0
		.amdhsa_kernarg_size 88
		.amdhsa_user_sgpr_count 2
		.amdhsa_user_sgpr_dispatch_ptr 0
		.amdhsa_user_sgpr_queue_ptr 0
		.amdhsa_user_sgpr_kernarg_segment_ptr 1
		.amdhsa_user_sgpr_dispatch_id 0
		.amdhsa_user_sgpr_kernarg_preload_length 0
		.amdhsa_user_sgpr_kernarg_preload_offset 0
		.amdhsa_user_sgpr_private_segment_size 0
		.amdhsa_wavefront_size32 1
		.amdhsa_uses_dynamic_stack 0
		.amdhsa_enable_private_segment 0
		.amdhsa_system_sgpr_workgroup_id_x 1
		.amdhsa_system_sgpr_workgroup_id_y 0
		.amdhsa_system_sgpr_workgroup_id_z 0
		.amdhsa_system_sgpr_workgroup_info 0
		.amdhsa_system_vgpr_workitem_id 0
		.amdhsa_next_free_vgpr 1
		.amdhsa_next_free_sgpr 1
		.amdhsa_named_barrier_count 0
		.amdhsa_reserve_vcc 0
		.amdhsa_float_round_mode_32 0
		.amdhsa_float_round_mode_16_64 0
		.amdhsa_float_denorm_mode_32 3
		.amdhsa_float_denorm_mode_16_64 3
		.amdhsa_fp16_overflow 0
		.amdhsa_memory_ordered 1
		.amdhsa_forward_progress 1
		.amdhsa_inst_pref_size 0
		.amdhsa_round_robin_scheduling 0
		.amdhsa_exception_fp_ieee_invalid_op 0
		.amdhsa_exception_fp_denorm_src 0
		.amdhsa_exception_fp_ieee_div_zero 0
		.amdhsa_exception_fp_ieee_overflow 0
		.amdhsa_exception_fp_ieee_underflow 0
		.amdhsa_exception_fp_ieee_inexact 0
		.amdhsa_exception_int_div_zero 0
	.end_amdhsa_kernel
	.section	.text._ZN7rocprim17ROCPRIM_400000_NS6detail17trampoline_kernelINS0_14default_configENS1_35radix_sort_onesweep_config_selectorIsNS0_10empty_typeEEEZZNS1_29radix_sort_onesweep_iterationIS3_Lb1EPKsPsPS5_SB_mNS0_19identity_decomposerENS1_16block_id_wrapperIjLb1EEEEE10hipError_tT1_PNSt15iterator_traitsISG_E10value_typeET2_T3_PNSH_ISM_E10value_typeET4_T5_PSR_SS_PNS1_23onesweep_lookback_stateEbbT6_jjT7_P12ihipStream_tbENKUlT_T0_SG_SL_E_clISA_SA_SB_SB_EEDaSZ_S10_SG_SL_EUlSZ_E_NS1_11comp_targetILNS1_3genE4ELNS1_11target_archE910ELNS1_3gpuE8ELNS1_3repE0EEENS1_47radix_sort_onesweep_sort_config_static_selectorELNS0_4arch9wavefront6targetE0EEEvSG_,"axG",@progbits,_ZN7rocprim17ROCPRIM_400000_NS6detail17trampoline_kernelINS0_14default_configENS1_35radix_sort_onesweep_config_selectorIsNS0_10empty_typeEEEZZNS1_29radix_sort_onesweep_iterationIS3_Lb1EPKsPsPS5_SB_mNS0_19identity_decomposerENS1_16block_id_wrapperIjLb1EEEEE10hipError_tT1_PNSt15iterator_traitsISG_E10value_typeET2_T3_PNSH_ISM_E10value_typeET4_T5_PSR_SS_PNS1_23onesweep_lookback_stateEbbT6_jjT7_P12ihipStream_tbENKUlT_T0_SG_SL_E_clISA_SA_SB_SB_EEDaSZ_S10_SG_SL_EUlSZ_E_NS1_11comp_targetILNS1_3genE4ELNS1_11target_archE910ELNS1_3gpuE8ELNS1_3repE0EEENS1_47radix_sort_onesweep_sort_config_static_selectorELNS0_4arch9wavefront6targetE0EEEvSG_,comdat
.Lfunc_end615:
	.size	_ZN7rocprim17ROCPRIM_400000_NS6detail17trampoline_kernelINS0_14default_configENS1_35radix_sort_onesweep_config_selectorIsNS0_10empty_typeEEEZZNS1_29radix_sort_onesweep_iterationIS3_Lb1EPKsPsPS5_SB_mNS0_19identity_decomposerENS1_16block_id_wrapperIjLb1EEEEE10hipError_tT1_PNSt15iterator_traitsISG_E10value_typeET2_T3_PNSH_ISM_E10value_typeET4_T5_PSR_SS_PNS1_23onesweep_lookback_stateEbbT6_jjT7_P12ihipStream_tbENKUlT_T0_SG_SL_E_clISA_SA_SB_SB_EEDaSZ_S10_SG_SL_EUlSZ_E_NS1_11comp_targetILNS1_3genE4ELNS1_11target_archE910ELNS1_3gpuE8ELNS1_3repE0EEENS1_47radix_sort_onesweep_sort_config_static_selectorELNS0_4arch9wavefront6targetE0EEEvSG_, .Lfunc_end615-_ZN7rocprim17ROCPRIM_400000_NS6detail17trampoline_kernelINS0_14default_configENS1_35radix_sort_onesweep_config_selectorIsNS0_10empty_typeEEEZZNS1_29radix_sort_onesweep_iterationIS3_Lb1EPKsPsPS5_SB_mNS0_19identity_decomposerENS1_16block_id_wrapperIjLb1EEEEE10hipError_tT1_PNSt15iterator_traitsISG_E10value_typeET2_T3_PNSH_ISM_E10value_typeET4_T5_PSR_SS_PNS1_23onesweep_lookback_stateEbbT6_jjT7_P12ihipStream_tbENKUlT_T0_SG_SL_E_clISA_SA_SB_SB_EEDaSZ_S10_SG_SL_EUlSZ_E_NS1_11comp_targetILNS1_3genE4ELNS1_11target_archE910ELNS1_3gpuE8ELNS1_3repE0EEENS1_47radix_sort_onesweep_sort_config_static_selectorELNS0_4arch9wavefront6targetE0EEEvSG_
                                        ; -- End function
	.set _ZN7rocprim17ROCPRIM_400000_NS6detail17trampoline_kernelINS0_14default_configENS1_35radix_sort_onesweep_config_selectorIsNS0_10empty_typeEEEZZNS1_29radix_sort_onesweep_iterationIS3_Lb1EPKsPsPS5_SB_mNS0_19identity_decomposerENS1_16block_id_wrapperIjLb1EEEEE10hipError_tT1_PNSt15iterator_traitsISG_E10value_typeET2_T3_PNSH_ISM_E10value_typeET4_T5_PSR_SS_PNS1_23onesweep_lookback_stateEbbT6_jjT7_P12ihipStream_tbENKUlT_T0_SG_SL_E_clISA_SA_SB_SB_EEDaSZ_S10_SG_SL_EUlSZ_E_NS1_11comp_targetILNS1_3genE4ELNS1_11target_archE910ELNS1_3gpuE8ELNS1_3repE0EEENS1_47radix_sort_onesweep_sort_config_static_selectorELNS0_4arch9wavefront6targetE0EEEvSG_.num_vgpr, 0
	.set _ZN7rocprim17ROCPRIM_400000_NS6detail17trampoline_kernelINS0_14default_configENS1_35radix_sort_onesweep_config_selectorIsNS0_10empty_typeEEEZZNS1_29radix_sort_onesweep_iterationIS3_Lb1EPKsPsPS5_SB_mNS0_19identity_decomposerENS1_16block_id_wrapperIjLb1EEEEE10hipError_tT1_PNSt15iterator_traitsISG_E10value_typeET2_T3_PNSH_ISM_E10value_typeET4_T5_PSR_SS_PNS1_23onesweep_lookback_stateEbbT6_jjT7_P12ihipStream_tbENKUlT_T0_SG_SL_E_clISA_SA_SB_SB_EEDaSZ_S10_SG_SL_EUlSZ_E_NS1_11comp_targetILNS1_3genE4ELNS1_11target_archE910ELNS1_3gpuE8ELNS1_3repE0EEENS1_47radix_sort_onesweep_sort_config_static_selectorELNS0_4arch9wavefront6targetE0EEEvSG_.num_agpr, 0
	.set _ZN7rocprim17ROCPRIM_400000_NS6detail17trampoline_kernelINS0_14default_configENS1_35radix_sort_onesweep_config_selectorIsNS0_10empty_typeEEEZZNS1_29radix_sort_onesweep_iterationIS3_Lb1EPKsPsPS5_SB_mNS0_19identity_decomposerENS1_16block_id_wrapperIjLb1EEEEE10hipError_tT1_PNSt15iterator_traitsISG_E10value_typeET2_T3_PNSH_ISM_E10value_typeET4_T5_PSR_SS_PNS1_23onesweep_lookback_stateEbbT6_jjT7_P12ihipStream_tbENKUlT_T0_SG_SL_E_clISA_SA_SB_SB_EEDaSZ_S10_SG_SL_EUlSZ_E_NS1_11comp_targetILNS1_3genE4ELNS1_11target_archE910ELNS1_3gpuE8ELNS1_3repE0EEENS1_47radix_sort_onesweep_sort_config_static_selectorELNS0_4arch9wavefront6targetE0EEEvSG_.numbered_sgpr, 0
	.set _ZN7rocprim17ROCPRIM_400000_NS6detail17trampoline_kernelINS0_14default_configENS1_35radix_sort_onesweep_config_selectorIsNS0_10empty_typeEEEZZNS1_29radix_sort_onesweep_iterationIS3_Lb1EPKsPsPS5_SB_mNS0_19identity_decomposerENS1_16block_id_wrapperIjLb1EEEEE10hipError_tT1_PNSt15iterator_traitsISG_E10value_typeET2_T3_PNSH_ISM_E10value_typeET4_T5_PSR_SS_PNS1_23onesweep_lookback_stateEbbT6_jjT7_P12ihipStream_tbENKUlT_T0_SG_SL_E_clISA_SA_SB_SB_EEDaSZ_S10_SG_SL_EUlSZ_E_NS1_11comp_targetILNS1_3genE4ELNS1_11target_archE910ELNS1_3gpuE8ELNS1_3repE0EEENS1_47radix_sort_onesweep_sort_config_static_selectorELNS0_4arch9wavefront6targetE0EEEvSG_.num_named_barrier, 0
	.set _ZN7rocprim17ROCPRIM_400000_NS6detail17trampoline_kernelINS0_14default_configENS1_35radix_sort_onesweep_config_selectorIsNS0_10empty_typeEEEZZNS1_29radix_sort_onesweep_iterationIS3_Lb1EPKsPsPS5_SB_mNS0_19identity_decomposerENS1_16block_id_wrapperIjLb1EEEEE10hipError_tT1_PNSt15iterator_traitsISG_E10value_typeET2_T3_PNSH_ISM_E10value_typeET4_T5_PSR_SS_PNS1_23onesweep_lookback_stateEbbT6_jjT7_P12ihipStream_tbENKUlT_T0_SG_SL_E_clISA_SA_SB_SB_EEDaSZ_S10_SG_SL_EUlSZ_E_NS1_11comp_targetILNS1_3genE4ELNS1_11target_archE910ELNS1_3gpuE8ELNS1_3repE0EEENS1_47radix_sort_onesweep_sort_config_static_selectorELNS0_4arch9wavefront6targetE0EEEvSG_.private_seg_size, 0
	.set _ZN7rocprim17ROCPRIM_400000_NS6detail17trampoline_kernelINS0_14default_configENS1_35radix_sort_onesweep_config_selectorIsNS0_10empty_typeEEEZZNS1_29radix_sort_onesweep_iterationIS3_Lb1EPKsPsPS5_SB_mNS0_19identity_decomposerENS1_16block_id_wrapperIjLb1EEEEE10hipError_tT1_PNSt15iterator_traitsISG_E10value_typeET2_T3_PNSH_ISM_E10value_typeET4_T5_PSR_SS_PNS1_23onesweep_lookback_stateEbbT6_jjT7_P12ihipStream_tbENKUlT_T0_SG_SL_E_clISA_SA_SB_SB_EEDaSZ_S10_SG_SL_EUlSZ_E_NS1_11comp_targetILNS1_3genE4ELNS1_11target_archE910ELNS1_3gpuE8ELNS1_3repE0EEENS1_47radix_sort_onesweep_sort_config_static_selectorELNS0_4arch9wavefront6targetE0EEEvSG_.uses_vcc, 0
	.set _ZN7rocprim17ROCPRIM_400000_NS6detail17trampoline_kernelINS0_14default_configENS1_35radix_sort_onesweep_config_selectorIsNS0_10empty_typeEEEZZNS1_29radix_sort_onesweep_iterationIS3_Lb1EPKsPsPS5_SB_mNS0_19identity_decomposerENS1_16block_id_wrapperIjLb1EEEEE10hipError_tT1_PNSt15iterator_traitsISG_E10value_typeET2_T3_PNSH_ISM_E10value_typeET4_T5_PSR_SS_PNS1_23onesweep_lookback_stateEbbT6_jjT7_P12ihipStream_tbENKUlT_T0_SG_SL_E_clISA_SA_SB_SB_EEDaSZ_S10_SG_SL_EUlSZ_E_NS1_11comp_targetILNS1_3genE4ELNS1_11target_archE910ELNS1_3gpuE8ELNS1_3repE0EEENS1_47radix_sort_onesweep_sort_config_static_selectorELNS0_4arch9wavefront6targetE0EEEvSG_.uses_flat_scratch, 0
	.set _ZN7rocprim17ROCPRIM_400000_NS6detail17trampoline_kernelINS0_14default_configENS1_35radix_sort_onesweep_config_selectorIsNS0_10empty_typeEEEZZNS1_29radix_sort_onesweep_iterationIS3_Lb1EPKsPsPS5_SB_mNS0_19identity_decomposerENS1_16block_id_wrapperIjLb1EEEEE10hipError_tT1_PNSt15iterator_traitsISG_E10value_typeET2_T3_PNSH_ISM_E10value_typeET4_T5_PSR_SS_PNS1_23onesweep_lookback_stateEbbT6_jjT7_P12ihipStream_tbENKUlT_T0_SG_SL_E_clISA_SA_SB_SB_EEDaSZ_S10_SG_SL_EUlSZ_E_NS1_11comp_targetILNS1_3genE4ELNS1_11target_archE910ELNS1_3gpuE8ELNS1_3repE0EEENS1_47radix_sort_onesweep_sort_config_static_selectorELNS0_4arch9wavefront6targetE0EEEvSG_.has_dyn_sized_stack, 0
	.set _ZN7rocprim17ROCPRIM_400000_NS6detail17trampoline_kernelINS0_14default_configENS1_35radix_sort_onesweep_config_selectorIsNS0_10empty_typeEEEZZNS1_29radix_sort_onesweep_iterationIS3_Lb1EPKsPsPS5_SB_mNS0_19identity_decomposerENS1_16block_id_wrapperIjLb1EEEEE10hipError_tT1_PNSt15iterator_traitsISG_E10value_typeET2_T3_PNSH_ISM_E10value_typeET4_T5_PSR_SS_PNS1_23onesweep_lookback_stateEbbT6_jjT7_P12ihipStream_tbENKUlT_T0_SG_SL_E_clISA_SA_SB_SB_EEDaSZ_S10_SG_SL_EUlSZ_E_NS1_11comp_targetILNS1_3genE4ELNS1_11target_archE910ELNS1_3gpuE8ELNS1_3repE0EEENS1_47radix_sort_onesweep_sort_config_static_selectorELNS0_4arch9wavefront6targetE0EEEvSG_.has_recursion, 0
	.set _ZN7rocprim17ROCPRIM_400000_NS6detail17trampoline_kernelINS0_14default_configENS1_35radix_sort_onesweep_config_selectorIsNS0_10empty_typeEEEZZNS1_29radix_sort_onesweep_iterationIS3_Lb1EPKsPsPS5_SB_mNS0_19identity_decomposerENS1_16block_id_wrapperIjLb1EEEEE10hipError_tT1_PNSt15iterator_traitsISG_E10value_typeET2_T3_PNSH_ISM_E10value_typeET4_T5_PSR_SS_PNS1_23onesweep_lookback_stateEbbT6_jjT7_P12ihipStream_tbENKUlT_T0_SG_SL_E_clISA_SA_SB_SB_EEDaSZ_S10_SG_SL_EUlSZ_E_NS1_11comp_targetILNS1_3genE4ELNS1_11target_archE910ELNS1_3gpuE8ELNS1_3repE0EEENS1_47radix_sort_onesweep_sort_config_static_selectorELNS0_4arch9wavefront6targetE0EEEvSG_.has_indirect_call, 0
	.section	.AMDGPU.csdata,"",@progbits
; Kernel info:
; codeLenInByte = 0
; TotalNumSgprs: 0
; NumVgprs: 0
; ScratchSize: 0
; MemoryBound: 0
; FloatMode: 240
; IeeeMode: 1
; LDSByteSize: 0 bytes/workgroup (compile time only)
; SGPRBlocks: 0
; VGPRBlocks: 0
; NumSGPRsForWavesPerEU: 1
; NumVGPRsForWavesPerEU: 1
; NamedBarCnt: 0
; Occupancy: 16
; WaveLimiterHint : 0
; COMPUTE_PGM_RSRC2:SCRATCH_EN: 0
; COMPUTE_PGM_RSRC2:USER_SGPR: 2
; COMPUTE_PGM_RSRC2:TRAP_HANDLER: 0
; COMPUTE_PGM_RSRC2:TGID_X_EN: 1
; COMPUTE_PGM_RSRC2:TGID_Y_EN: 0
; COMPUTE_PGM_RSRC2:TGID_Z_EN: 0
; COMPUTE_PGM_RSRC2:TIDIG_COMP_CNT: 0
	.section	.text._ZN7rocprim17ROCPRIM_400000_NS6detail17trampoline_kernelINS0_14default_configENS1_35radix_sort_onesweep_config_selectorIsNS0_10empty_typeEEEZZNS1_29radix_sort_onesweep_iterationIS3_Lb1EPKsPsPS5_SB_mNS0_19identity_decomposerENS1_16block_id_wrapperIjLb1EEEEE10hipError_tT1_PNSt15iterator_traitsISG_E10value_typeET2_T3_PNSH_ISM_E10value_typeET4_T5_PSR_SS_PNS1_23onesweep_lookback_stateEbbT6_jjT7_P12ihipStream_tbENKUlT_T0_SG_SL_E_clISA_SA_SB_SB_EEDaSZ_S10_SG_SL_EUlSZ_E_NS1_11comp_targetILNS1_3genE3ELNS1_11target_archE908ELNS1_3gpuE7ELNS1_3repE0EEENS1_47radix_sort_onesweep_sort_config_static_selectorELNS0_4arch9wavefront6targetE0EEEvSG_,"axG",@progbits,_ZN7rocprim17ROCPRIM_400000_NS6detail17trampoline_kernelINS0_14default_configENS1_35radix_sort_onesweep_config_selectorIsNS0_10empty_typeEEEZZNS1_29radix_sort_onesweep_iterationIS3_Lb1EPKsPsPS5_SB_mNS0_19identity_decomposerENS1_16block_id_wrapperIjLb1EEEEE10hipError_tT1_PNSt15iterator_traitsISG_E10value_typeET2_T3_PNSH_ISM_E10value_typeET4_T5_PSR_SS_PNS1_23onesweep_lookback_stateEbbT6_jjT7_P12ihipStream_tbENKUlT_T0_SG_SL_E_clISA_SA_SB_SB_EEDaSZ_S10_SG_SL_EUlSZ_E_NS1_11comp_targetILNS1_3genE3ELNS1_11target_archE908ELNS1_3gpuE7ELNS1_3repE0EEENS1_47radix_sort_onesweep_sort_config_static_selectorELNS0_4arch9wavefront6targetE0EEEvSG_,comdat
	.protected	_ZN7rocprim17ROCPRIM_400000_NS6detail17trampoline_kernelINS0_14default_configENS1_35radix_sort_onesweep_config_selectorIsNS0_10empty_typeEEEZZNS1_29radix_sort_onesweep_iterationIS3_Lb1EPKsPsPS5_SB_mNS0_19identity_decomposerENS1_16block_id_wrapperIjLb1EEEEE10hipError_tT1_PNSt15iterator_traitsISG_E10value_typeET2_T3_PNSH_ISM_E10value_typeET4_T5_PSR_SS_PNS1_23onesweep_lookback_stateEbbT6_jjT7_P12ihipStream_tbENKUlT_T0_SG_SL_E_clISA_SA_SB_SB_EEDaSZ_S10_SG_SL_EUlSZ_E_NS1_11comp_targetILNS1_3genE3ELNS1_11target_archE908ELNS1_3gpuE7ELNS1_3repE0EEENS1_47radix_sort_onesweep_sort_config_static_selectorELNS0_4arch9wavefront6targetE0EEEvSG_ ; -- Begin function _ZN7rocprim17ROCPRIM_400000_NS6detail17trampoline_kernelINS0_14default_configENS1_35radix_sort_onesweep_config_selectorIsNS0_10empty_typeEEEZZNS1_29radix_sort_onesweep_iterationIS3_Lb1EPKsPsPS5_SB_mNS0_19identity_decomposerENS1_16block_id_wrapperIjLb1EEEEE10hipError_tT1_PNSt15iterator_traitsISG_E10value_typeET2_T3_PNSH_ISM_E10value_typeET4_T5_PSR_SS_PNS1_23onesweep_lookback_stateEbbT6_jjT7_P12ihipStream_tbENKUlT_T0_SG_SL_E_clISA_SA_SB_SB_EEDaSZ_S10_SG_SL_EUlSZ_E_NS1_11comp_targetILNS1_3genE3ELNS1_11target_archE908ELNS1_3gpuE7ELNS1_3repE0EEENS1_47radix_sort_onesweep_sort_config_static_selectorELNS0_4arch9wavefront6targetE0EEEvSG_
	.globl	_ZN7rocprim17ROCPRIM_400000_NS6detail17trampoline_kernelINS0_14default_configENS1_35radix_sort_onesweep_config_selectorIsNS0_10empty_typeEEEZZNS1_29radix_sort_onesweep_iterationIS3_Lb1EPKsPsPS5_SB_mNS0_19identity_decomposerENS1_16block_id_wrapperIjLb1EEEEE10hipError_tT1_PNSt15iterator_traitsISG_E10value_typeET2_T3_PNSH_ISM_E10value_typeET4_T5_PSR_SS_PNS1_23onesweep_lookback_stateEbbT6_jjT7_P12ihipStream_tbENKUlT_T0_SG_SL_E_clISA_SA_SB_SB_EEDaSZ_S10_SG_SL_EUlSZ_E_NS1_11comp_targetILNS1_3genE3ELNS1_11target_archE908ELNS1_3gpuE7ELNS1_3repE0EEENS1_47radix_sort_onesweep_sort_config_static_selectorELNS0_4arch9wavefront6targetE0EEEvSG_
	.p2align	8
	.type	_ZN7rocprim17ROCPRIM_400000_NS6detail17trampoline_kernelINS0_14default_configENS1_35radix_sort_onesweep_config_selectorIsNS0_10empty_typeEEEZZNS1_29radix_sort_onesweep_iterationIS3_Lb1EPKsPsPS5_SB_mNS0_19identity_decomposerENS1_16block_id_wrapperIjLb1EEEEE10hipError_tT1_PNSt15iterator_traitsISG_E10value_typeET2_T3_PNSH_ISM_E10value_typeET4_T5_PSR_SS_PNS1_23onesweep_lookback_stateEbbT6_jjT7_P12ihipStream_tbENKUlT_T0_SG_SL_E_clISA_SA_SB_SB_EEDaSZ_S10_SG_SL_EUlSZ_E_NS1_11comp_targetILNS1_3genE3ELNS1_11target_archE908ELNS1_3gpuE7ELNS1_3repE0EEENS1_47radix_sort_onesweep_sort_config_static_selectorELNS0_4arch9wavefront6targetE0EEEvSG_,@function
_ZN7rocprim17ROCPRIM_400000_NS6detail17trampoline_kernelINS0_14default_configENS1_35radix_sort_onesweep_config_selectorIsNS0_10empty_typeEEEZZNS1_29radix_sort_onesweep_iterationIS3_Lb1EPKsPsPS5_SB_mNS0_19identity_decomposerENS1_16block_id_wrapperIjLb1EEEEE10hipError_tT1_PNSt15iterator_traitsISG_E10value_typeET2_T3_PNSH_ISM_E10value_typeET4_T5_PSR_SS_PNS1_23onesweep_lookback_stateEbbT6_jjT7_P12ihipStream_tbENKUlT_T0_SG_SL_E_clISA_SA_SB_SB_EEDaSZ_S10_SG_SL_EUlSZ_E_NS1_11comp_targetILNS1_3genE3ELNS1_11target_archE908ELNS1_3gpuE7ELNS1_3repE0EEENS1_47radix_sort_onesweep_sort_config_static_selectorELNS0_4arch9wavefront6targetE0EEEvSG_: ; @_ZN7rocprim17ROCPRIM_400000_NS6detail17trampoline_kernelINS0_14default_configENS1_35radix_sort_onesweep_config_selectorIsNS0_10empty_typeEEEZZNS1_29radix_sort_onesweep_iterationIS3_Lb1EPKsPsPS5_SB_mNS0_19identity_decomposerENS1_16block_id_wrapperIjLb1EEEEE10hipError_tT1_PNSt15iterator_traitsISG_E10value_typeET2_T3_PNSH_ISM_E10value_typeET4_T5_PSR_SS_PNS1_23onesweep_lookback_stateEbbT6_jjT7_P12ihipStream_tbENKUlT_T0_SG_SL_E_clISA_SA_SB_SB_EEDaSZ_S10_SG_SL_EUlSZ_E_NS1_11comp_targetILNS1_3genE3ELNS1_11target_archE908ELNS1_3gpuE7ELNS1_3repE0EEENS1_47radix_sort_onesweep_sort_config_static_selectorELNS0_4arch9wavefront6targetE0EEEvSG_
; %bb.0:
	.section	.rodata,"a",@progbits
	.p2align	6, 0x0
	.amdhsa_kernel _ZN7rocprim17ROCPRIM_400000_NS6detail17trampoline_kernelINS0_14default_configENS1_35radix_sort_onesweep_config_selectorIsNS0_10empty_typeEEEZZNS1_29radix_sort_onesweep_iterationIS3_Lb1EPKsPsPS5_SB_mNS0_19identity_decomposerENS1_16block_id_wrapperIjLb1EEEEE10hipError_tT1_PNSt15iterator_traitsISG_E10value_typeET2_T3_PNSH_ISM_E10value_typeET4_T5_PSR_SS_PNS1_23onesweep_lookback_stateEbbT6_jjT7_P12ihipStream_tbENKUlT_T0_SG_SL_E_clISA_SA_SB_SB_EEDaSZ_S10_SG_SL_EUlSZ_E_NS1_11comp_targetILNS1_3genE3ELNS1_11target_archE908ELNS1_3gpuE7ELNS1_3repE0EEENS1_47radix_sort_onesweep_sort_config_static_selectorELNS0_4arch9wavefront6targetE0EEEvSG_
		.amdhsa_group_segment_fixed_size 0
		.amdhsa_private_segment_fixed_size 0
		.amdhsa_kernarg_size 88
		.amdhsa_user_sgpr_count 2
		.amdhsa_user_sgpr_dispatch_ptr 0
		.amdhsa_user_sgpr_queue_ptr 0
		.amdhsa_user_sgpr_kernarg_segment_ptr 1
		.amdhsa_user_sgpr_dispatch_id 0
		.amdhsa_user_sgpr_kernarg_preload_length 0
		.amdhsa_user_sgpr_kernarg_preload_offset 0
		.amdhsa_user_sgpr_private_segment_size 0
		.amdhsa_wavefront_size32 1
		.amdhsa_uses_dynamic_stack 0
		.amdhsa_enable_private_segment 0
		.amdhsa_system_sgpr_workgroup_id_x 1
		.amdhsa_system_sgpr_workgroup_id_y 0
		.amdhsa_system_sgpr_workgroup_id_z 0
		.amdhsa_system_sgpr_workgroup_info 0
		.amdhsa_system_vgpr_workitem_id 0
		.amdhsa_next_free_vgpr 1
		.amdhsa_next_free_sgpr 1
		.amdhsa_named_barrier_count 0
		.amdhsa_reserve_vcc 0
		.amdhsa_float_round_mode_32 0
		.amdhsa_float_round_mode_16_64 0
		.amdhsa_float_denorm_mode_32 3
		.amdhsa_float_denorm_mode_16_64 3
		.amdhsa_fp16_overflow 0
		.amdhsa_memory_ordered 1
		.amdhsa_forward_progress 1
		.amdhsa_inst_pref_size 0
		.amdhsa_round_robin_scheduling 0
		.amdhsa_exception_fp_ieee_invalid_op 0
		.amdhsa_exception_fp_denorm_src 0
		.amdhsa_exception_fp_ieee_div_zero 0
		.amdhsa_exception_fp_ieee_overflow 0
		.amdhsa_exception_fp_ieee_underflow 0
		.amdhsa_exception_fp_ieee_inexact 0
		.amdhsa_exception_int_div_zero 0
	.end_amdhsa_kernel
	.section	.text._ZN7rocprim17ROCPRIM_400000_NS6detail17trampoline_kernelINS0_14default_configENS1_35radix_sort_onesweep_config_selectorIsNS0_10empty_typeEEEZZNS1_29radix_sort_onesweep_iterationIS3_Lb1EPKsPsPS5_SB_mNS0_19identity_decomposerENS1_16block_id_wrapperIjLb1EEEEE10hipError_tT1_PNSt15iterator_traitsISG_E10value_typeET2_T3_PNSH_ISM_E10value_typeET4_T5_PSR_SS_PNS1_23onesweep_lookback_stateEbbT6_jjT7_P12ihipStream_tbENKUlT_T0_SG_SL_E_clISA_SA_SB_SB_EEDaSZ_S10_SG_SL_EUlSZ_E_NS1_11comp_targetILNS1_3genE3ELNS1_11target_archE908ELNS1_3gpuE7ELNS1_3repE0EEENS1_47radix_sort_onesweep_sort_config_static_selectorELNS0_4arch9wavefront6targetE0EEEvSG_,"axG",@progbits,_ZN7rocprim17ROCPRIM_400000_NS6detail17trampoline_kernelINS0_14default_configENS1_35radix_sort_onesweep_config_selectorIsNS0_10empty_typeEEEZZNS1_29radix_sort_onesweep_iterationIS3_Lb1EPKsPsPS5_SB_mNS0_19identity_decomposerENS1_16block_id_wrapperIjLb1EEEEE10hipError_tT1_PNSt15iterator_traitsISG_E10value_typeET2_T3_PNSH_ISM_E10value_typeET4_T5_PSR_SS_PNS1_23onesweep_lookback_stateEbbT6_jjT7_P12ihipStream_tbENKUlT_T0_SG_SL_E_clISA_SA_SB_SB_EEDaSZ_S10_SG_SL_EUlSZ_E_NS1_11comp_targetILNS1_3genE3ELNS1_11target_archE908ELNS1_3gpuE7ELNS1_3repE0EEENS1_47radix_sort_onesweep_sort_config_static_selectorELNS0_4arch9wavefront6targetE0EEEvSG_,comdat
.Lfunc_end616:
	.size	_ZN7rocprim17ROCPRIM_400000_NS6detail17trampoline_kernelINS0_14default_configENS1_35radix_sort_onesweep_config_selectorIsNS0_10empty_typeEEEZZNS1_29radix_sort_onesweep_iterationIS3_Lb1EPKsPsPS5_SB_mNS0_19identity_decomposerENS1_16block_id_wrapperIjLb1EEEEE10hipError_tT1_PNSt15iterator_traitsISG_E10value_typeET2_T3_PNSH_ISM_E10value_typeET4_T5_PSR_SS_PNS1_23onesweep_lookback_stateEbbT6_jjT7_P12ihipStream_tbENKUlT_T0_SG_SL_E_clISA_SA_SB_SB_EEDaSZ_S10_SG_SL_EUlSZ_E_NS1_11comp_targetILNS1_3genE3ELNS1_11target_archE908ELNS1_3gpuE7ELNS1_3repE0EEENS1_47radix_sort_onesweep_sort_config_static_selectorELNS0_4arch9wavefront6targetE0EEEvSG_, .Lfunc_end616-_ZN7rocprim17ROCPRIM_400000_NS6detail17trampoline_kernelINS0_14default_configENS1_35radix_sort_onesweep_config_selectorIsNS0_10empty_typeEEEZZNS1_29radix_sort_onesweep_iterationIS3_Lb1EPKsPsPS5_SB_mNS0_19identity_decomposerENS1_16block_id_wrapperIjLb1EEEEE10hipError_tT1_PNSt15iterator_traitsISG_E10value_typeET2_T3_PNSH_ISM_E10value_typeET4_T5_PSR_SS_PNS1_23onesweep_lookback_stateEbbT6_jjT7_P12ihipStream_tbENKUlT_T0_SG_SL_E_clISA_SA_SB_SB_EEDaSZ_S10_SG_SL_EUlSZ_E_NS1_11comp_targetILNS1_3genE3ELNS1_11target_archE908ELNS1_3gpuE7ELNS1_3repE0EEENS1_47radix_sort_onesweep_sort_config_static_selectorELNS0_4arch9wavefront6targetE0EEEvSG_
                                        ; -- End function
	.set _ZN7rocprim17ROCPRIM_400000_NS6detail17trampoline_kernelINS0_14default_configENS1_35radix_sort_onesweep_config_selectorIsNS0_10empty_typeEEEZZNS1_29radix_sort_onesweep_iterationIS3_Lb1EPKsPsPS5_SB_mNS0_19identity_decomposerENS1_16block_id_wrapperIjLb1EEEEE10hipError_tT1_PNSt15iterator_traitsISG_E10value_typeET2_T3_PNSH_ISM_E10value_typeET4_T5_PSR_SS_PNS1_23onesweep_lookback_stateEbbT6_jjT7_P12ihipStream_tbENKUlT_T0_SG_SL_E_clISA_SA_SB_SB_EEDaSZ_S10_SG_SL_EUlSZ_E_NS1_11comp_targetILNS1_3genE3ELNS1_11target_archE908ELNS1_3gpuE7ELNS1_3repE0EEENS1_47radix_sort_onesweep_sort_config_static_selectorELNS0_4arch9wavefront6targetE0EEEvSG_.num_vgpr, 0
	.set _ZN7rocprim17ROCPRIM_400000_NS6detail17trampoline_kernelINS0_14default_configENS1_35radix_sort_onesweep_config_selectorIsNS0_10empty_typeEEEZZNS1_29radix_sort_onesweep_iterationIS3_Lb1EPKsPsPS5_SB_mNS0_19identity_decomposerENS1_16block_id_wrapperIjLb1EEEEE10hipError_tT1_PNSt15iterator_traitsISG_E10value_typeET2_T3_PNSH_ISM_E10value_typeET4_T5_PSR_SS_PNS1_23onesweep_lookback_stateEbbT6_jjT7_P12ihipStream_tbENKUlT_T0_SG_SL_E_clISA_SA_SB_SB_EEDaSZ_S10_SG_SL_EUlSZ_E_NS1_11comp_targetILNS1_3genE3ELNS1_11target_archE908ELNS1_3gpuE7ELNS1_3repE0EEENS1_47radix_sort_onesweep_sort_config_static_selectorELNS0_4arch9wavefront6targetE0EEEvSG_.num_agpr, 0
	.set _ZN7rocprim17ROCPRIM_400000_NS6detail17trampoline_kernelINS0_14default_configENS1_35radix_sort_onesweep_config_selectorIsNS0_10empty_typeEEEZZNS1_29radix_sort_onesweep_iterationIS3_Lb1EPKsPsPS5_SB_mNS0_19identity_decomposerENS1_16block_id_wrapperIjLb1EEEEE10hipError_tT1_PNSt15iterator_traitsISG_E10value_typeET2_T3_PNSH_ISM_E10value_typeET4_T5_PSR_SS_PNS1_23onesweep_lookback_stateEbbT6_jjT7_P12ihipStream_tbENKUlT_T0_SG_SL_E_clISA_SA_SB_SB_EEDaSZ_S10_SG_SL_EUlSZ_E_NS1_11comp_targetILNS1_3genE3ELNS1_11target_archE908ELNS1_3gpuE7ELNS1_3repE0EEENS1_47radix_sort_onesweep_sort_config_static_selectorELNS0_4arch9wavefront6targetE0EEEvSG_.numbered_sgpr, 0
	.set _ZN7rocprim17ROCPRIM_400000_NS6detail17trampoline_kernelINS0_14default_configENS1_35radix_sort_onesweep_config_selectorIsNS0_10empty_typeEEEZZNS1_29radix_sort_onesweep_iterationIS3_Lb1EPKsPsPS5_SB_mNS0_19identity_decomposerENS1_16block_id_wrapperIjLb1EEEEE10hipError_tT1_PNSt15iterator_traitsISG_E10value_typeET2_T3_PNSH_ISM_E10value_typeET4_T5_PSR_SS_PNS1_23onesweep_lookback_stateEbbT6_jjT7_P12ihipStream_tbENKUlT_T0_SG_SL_E_clISA_SA_SB_SB_EEDaSZ_S10_SG_SL_EUlSZ_E_NS1_11comp_targetILNS1_3genE3ELNS1_11target_archE908ELNS1_3gpuE7ELNS1_3repE0EEENS1_47radix_sort_onesweep_sort_config_static_selectorELNS0_4arch9wavefront6targetE0EEEvSG_.num_named_barrier, 0
	.set _ZN7rocprim17ROCPRIM_400000_NS6detail17trampoline_kernelINS0_14default_configENS1_35radix_sort_onesweep_config_selectorIsNS0_10empty_typeEEEZZNS1_29radix_sort_onesweep_iterationIS3_Lb1EPKsPsPS5_SB_mNS0_19identity_decomposerENS1_16block_id_wrapperIjLb1EEEEE10hipError_tT1_PNSt15iterator_traitsISG_E10value_typeET2_T3_PNSH_ISM_E10value_typeET4_T5_PSR_SS_PNS1_23onesweep_lookback_stateEbbT6_jjT7_P12ihipStream_tbENKUlT_T0_SG_SL_E_clISA_SA_SB_SB_EEDaSZ_S10_SG_SL_EUlSZ_E_NS1_11comp_targetILNS1_3genE3ELNS1_11target_archE908ELNS1_3gpuE7ELNS1_3repE0EEENS1_47radix_sort_onesweep_sort_config_static_selectorELNS0_4arch9wavefront6targetE0EEEvSG_.private_seg_size, 0
	.set _ZN7rocprim17ROCPRIM_400000_NS6detail17trampoline_kernelINS0_14default_configENS1_35radix_sort_onesweep_config_selectorIsNS0_10empty_typeEEEZZNS1_29radix_sort_onesweep_iterationIS3_Lb1EPKsPsPS5_SB_mNS0_19identity_decomposerENS1_16block_id_wrapperIjLb1EEEEE10hipError_tT1_PNSt15iterator_traitsISG_E10value_typeET2_T3_PNSH_ISM_E10value_typeET4_T5_PSR_SS_PNS1_23onesweep_lookback_stateEbbT6_jjT7_P12ihipStream_tbENKUlT_T0_SG_SL_E_clISA_SA_SB_SB_EEDaSZ_S10_SG_SL_EUlSZ_E_NS1_11comp_targetILNS1_3genE3ELNS1_11target_archE908ELNS1_3gpuE7ELNS1_3repE0EEENS1_47radix_sort_onesweep_sort_config_static_selectorELNS0_4arch9wavefront6targetE0EEEvSG_.uses_vcc, 0
	.set _ZN7rocprim17ROCPRIM_400000_NS6detail17trampoline_kernelINS0_14default_configENS1_35radix_sort_onesweep_config_selectorIsNS0_10empty_typeEEEZZNS1_29radix_sort_onesweep_iterationIS3_Lb1EPKsPsPS5_SB_mNS0_19identity_decomposerENS1_16block_id_wrapperIjLb1EEEEE10hipError_tT1_PNSt15iterator_traitsISG_E10value_typeET2_T3_PNSH_ISM_E10value_typeET4_T5_PSR_SS_PNS1_23onesweep_lookback_stateEbbT6_jjT7_P12ihipStream_tbENKUlT_T0_SG_SL_E_clISA_SA_SB_SB_EEDaSZ_S10_SG_SL_EUlSZ_E_NS1_11comp_targetILNS1_3genE3ELNS1_11target_archE908ELNS1_3gpuE7ELNS1_3repE0EEENS1_47radix_sort_onesweep_sort_config_static_selectorELNS0_4arch9wavefront6targetE0EEEvSG_.uses_flat_scratch, 0
	.set _ZN7rocprim17ROCPRIM_400000_NS6detail17trampoline_kernelINS0_14default_configENS1_35radix_sort_onesweep_config_selectorIsNS0_10empty_typeEEEZZNS1_29radix_sort_onesweep_iterationIS3_Lb1EPKsPsPS5_SB_mNS0_19identity_decomposerENS1_16block_id_wrapperIjLb1EEEEE10hipError_tT1_PNSt15iterator_traitsISG_E10value_typeET2_T3_PNSH_ISM_E10value_typeET4_T5_PSR_SS_PNS1_23onesweep_lookback_stateEbbT6_jjT7_P12ihipStream_tbENKUlT_T0_SG_SL_E_clISA_SA_SB_SB_EEDaSZ_S10_SG_SL_EUlSZ_E_NS1_11comp_targetILNS1_3genE3ELNS1_11target_archE908ELNS1_3gpuE7ELNS1_3repE0EEENS1_47radix_sort_onesweep_sort_config_static_selectorELNS0_4arch9wavefront6targetE0EEEvSG_.has_dyn_sized_stack, 0
	.set _ZN7rocprim17ROCPRIM_400000_NS6detail17trampoline_kernelINS0_14default_configENS1_35radix_sort_onesweep_config_selectorIsNS0_10empty_typeEEEZZNS1_29radix_sort_onesweep_iterationIS3_Lb1EPKsPsPS5_SB_mNS0_19identity_decomposerENS1_16block_id_wrapperIjLb1EEEEE10hipError_tT1_PNSt15iterator_traitsISG_E10value_typeET2_T3_PNSH_ISM_E10value_typeET4_T5_PSR_SS_PNS1_23onesweep_lookback_stateEbbT6_jjT7_P12ihipStream_tbENKUlT_T0_SG_SL_E_clISA_SA_SB_SB_EEDaSZ_S10_SG_SL_EUlSZ_E_NS1_11comp_targetILNS1_3genE3ELNS1_11target_archE908ELNS1_3gpuE7ELNS1_3repE0EEENS1_47radix_sort_onesweep_sort_config_static_selectorELNS0_4arch9wavefront6targetE0EEEvSG_.has_recursion, 0
	.set _ZN7rocprim17ROCPRIM_400000_NS6detail17trampoline_kernelINS0_14default_configENS1_35radix_sort_onesweep_config_selectorIsNS0_10empty_typeEEEZZNS1_29radix_sort_onesweep_iterationIS3_Lb1EPKsPsPS5_SB_mNS0_19identity_decomposerENS1_16block_id_wrapperIjLb1EEEEE10hipError_tT1_PNSt15iterator_traitsISG_E10value_typeET2_T3_PNSH_ISM_E10value_typeET4_T5_PSR_SS_PNS1_23onesweep_lookback_stateEbbT6_jjT7_P12ihipStream_tbENKUlT_T0_SG_SL_E_clISA_SA_SB_SB_EEDaSZ_S10_SG_SL_EUlSZ_E_NS1_11comp_targetILNS1_3genE3ELNS1_11target_archE908ELNS1_3gpuE7ELNS1_3repE0EEENS1_47radix_sort_onesweep_sort_config_static_selectorELNS0_4arch9wavefront6targetE0EEEvSG_.has_indirect_call, 0
	.section	.AMDGPU.csdata,"",@progbits
; Kernel info:
; codeLenInByte = 0
; TotalNumSgprs: 0
; NumVgprs: 0
; ScratchSize: 0
; MemoryBound: 0
; FloatMode: 240
; IeeeMode: 1
; LDSByteSize: 0 bytes/workgroup (compile time only)
; SGPRBlocks: 0
; VGPRBlocks: 0
; NumSGPRsForWavesPerEU: 1
; NumVGPRsForWavesPerEU: 1
; NamedBarCnt: 0
; Occupancy: 16
; WaveLimiterHint : 0
; COMPUTE_PGM_RSRC2:SCRATCH_EN: 0
; COMPUTE_PGM_RSRC2:USER_SGPR: 2
; COMPUTE_PGM_RSRC2:TRAP_HANDLER: 0
; COMPUTE_PGM_RSRC2:TGID_X_EN: 1
; COMPUTE_PGM_RSRC2:TGID_Y_EN: 0
; COMPUTE_PGM_RSRC2:TGID_Z_EN: 0
; COMPUTE_PGM_RSRC2:TIDIG_COMP_CNT: 0
	.section	.text._ZN7rocprim17ROCPRIM_400000_NS6detail17trampoline_kernelINS0_14default_configENS1_35radix_sort_onesweep_config_selectorIsNS0_10empty_typeEEEZZNS1_29radix_sort_onesweep_iterationIS3_Lb1EPKsPsPS5_SB_mNS0_19identity_decomposerENS1_16block_id_wrapperIjLb1EEEEE10hipError_tT1_PNSt15iterator_traitsISG_E10value_typeET2_T3_PNSH_ISM_E10value_typeET4_T5_PSR_SS_PNS1_23onesweep_lookback_stateEbbT6_jjT7_P12ihipStream_tbENKUlT_T0_SG_SL_E_clISA_SA_SB_SB_EEDaSZ_S10_SG_SL_EUlSZ_E_NS1_11comp_targetILNS1_3genE10ELNS1_11target_archE1201ELNS1_3gpuE5ELNS1_3repE0EEENS1_47radix_sort_onesweep_sort_config_static_selectorELNS0_4arch9wavefront6targetE0EEEvSG_,"axG",@progbits,_ZN7rocprim17ROCPRIM_400000_NS6detail17trampoline_kernelINS0_14default_configENS1_35radix_sort_onesweep_config_selectorIsNS0_10empty_typeEEEZZNS1_29radix_sort_onesweep_iterationIS3_Lb1EPKsPsPS5_SB_mNS0_19identity_decomposerENS1_16block_id_wrapperIjLb1EEEEE10hipError_tT1_PNSt15iterator_traitsISG_E10value_typeET2_T3_PNSH_ISM_E10value_typeET4_T5_PSR_SS_PNS1_23onesweep_lookback_stateEbbT6_jjT7_P12ihipStream_tbENKUlT_T0_SG_SL_E_clISA_SA_SB_SB_EEDaSZ_S10_SG_SL_EUlSZ_E_NS1_11comp_targetILNS1_3genE10ELNS1_11target_archE1201ELNS1_3gpuE5ELNS1_3repE0EEENS1_47radix_sort_onesweep_sort_config_static_selectorELNS0_4arch9wavefront6targetE0EEEvSG_,comdat
	.protected	_ZN7rocprim17ROCPRIM_400000_NS6detail17trampoline_kernelINS0_14default_configENS1_35radix_sort_onesweep_config_selectorIsNS0_10empty_typeEEEZZNS1_29radix_sort_onesweep_iterationIS3_Lb1EPKsPsPS5_SB_mNS0_19identity_decomposerENS1_16block_id_wrapperIjLb1EEEEE10hipError_tT1_PNSt15iterator_traitsISG_E10value_typeET2_T3_PNSH_ISM_E10value_typeET4_T5_PSR_SS_PNS1_23onesweep_lookback_stateEbbT6_jjT7_P12ihipStream_tbENKUlT_T0_SG_SL_E_clISA_SA_SB_SB_EEDaSZ_S10_SG_SL_EUlSZ_E_NS1_11comp_targetILNS1_3genE10ELNS1_11target_archE1201ELNS1_3gpuE5ELNS1_3repE0EEENS1_47radix_sort_onesweep_sort_config_static_selectorELNS0_4arch9wavefront6targetE0EEEvSG_ ; -- Begin function _ZN7rocprim17ROCPRIM_400000_NS6detail17trampoline_kernelINS0_14default_configENS1_35radix_sort_onesweep_config_selectorIsNS0_10empty_typeEEEZZNS1_29radix_sort_onesweep_iterationIS3_Lb1EPKsPsPS5_SB_mNS0_19identity_decomposerENS1_16block_id_wrapperIjLb1EEEEE10hipError_tT1_PNSt15iterator_traitsISG_E10value_typeET2_T3_PNSH_ISM_E10value_typeET4_T5_PSR_SS_PNS1_23onesweep_lookback_stateEbbT6_jjT7_P12ihipStream_tbENKUlT_T0_SG_SL_E_clISA_SA_SB_SB_EEDaSZ_S10_SG_SL_EUlSZ_E_NS1_11comp_targetILNS1_3genE10ELNS1_11target_archE1201ELNS1_3gpuE5ELNS1_3repE0EEENS1_47radix_sort_onesweep_sort_config_static_selectorELNS0_4arch9wavefront6targetE0EEEvSG_
	.globl	_ZN7rocprim17ROCPRIM_400000_NS6detail17trampoline_kernelINS0_14default_configENS1_35radix_sort_onesweep_config_selectorIsNS0_10empty_typeEEEZZNS1_29radix_sort_onesweep_iterationIS3_Lb1EPKsPsPS5_SB_mNS0_19identity_decomposerENS1_16block_id_wrapperIjLb1EEEEE10hipError_tT1_PNSt15iterator_traitsISG_E10value_typeET2_T3_PNSH_ISM_E10value_typeET4_T5_PSR_SS_PNS1_23onesweep_lookback_stateEbbT6_jjT7_P12ihipStream_tbENKUlT_T0_SG_SL_E_clISA_SA_SB_SB_EEDaSZ_S10_SG_SL_EUlSZ_E_NS1_11comp_targetILNS1_3genE10ELNS1_11target_archE1201ELNS1_3gpuE5ELNS1_3repE0EEENS1_47radix_sort_onesweep_sort_config_static_selectorELNS0_4arch9wavefront6targetE0EEEvSG_
	.p2align	8
	.type	_ZN7rocprim17ROCPRIM_400000_NS6detail17trampoline_kernelINS0_14default_configENS1_35radix_sort_onesweep_config_selectorIsNS0_10empty_typeEEEZZNS1_29radix_sort_onesweep_iterationIS3_Lb1EPKsPsPS5_SB_mNS0_19identity_decomposerENS1_16block_id_wrapperIjLb1EEEEE10hipError_tT1_PNSt15iterator_traitsISG_E10value_typeET2_T3_PNSH_ISM_E10value_typeET4_T5_PSR_SS_PNS1_23onesweep_lookback_stateEbbT6_jjT7_P12ihipStream_tbENKUlT_T0_SG_SL_E_clISA_SA_SB_SB_EEDaSZ_S10_SG_SL_EUlSZ_E_NS1_11comp_targetILNS1_3genE10ELNS1_11target_archE1201ELNS1_3gpuE5ELNS1_3repE0EEENS1_47radix_sort_onesweep_sort_config_static_selectorELNS0_4arch9wavefront6targetE0EEEvSG_,@function
_ZN7rocprim17ROCPRIM_400000_NS6detail17trampoline_kernelINS0_14default_configENS1_35radix_sort_onesweep_config_selectorIsNS0_10empty_typeEEEZZNS1_29radix_sort_onesweep_iterationIS3_Lb1EPKsPsPS5_SB_mNS0_19identity_decomposerENS1_16block_id_wrapperIjLb1EEEEE10hipError_tT1_PNSt15iterator_traitsISG_E10value_typeET2_T3_PNSH_ISM_E10value_typeET4_T5_PSR_SS_PNS1_23onesweep_lookback_stateEbbT6_jjT7_P12ihipStream_tbENKUlT_T0_SG_SL_E_clISA_SA_SB_SB_EEDaSZ_S10_SG_SL_EUlSZ_E_NS1_11comp_targetILNS1_3genE10ELNS1_11target_archE1201ELNS1_3gpuE5ELNS1_3repE0EEENS1_47radix_sort_onesweep_sort_config_static_selectorELNS0_4arch9wavefront6targetE0EEEvSG_: ; @_ZN7rocprim17ROCPRIM_400000_NS6detail17trampoline_kernelINS0_14default_configENS1_35radix_sort_onesweep_config_selectorIsNS0_10empty_typeEEEZZNS1_29radix_sort_onesweep_iterationIS3_Lb1EPKsPsPS5_SB_mNS0_19identity_decomposerENS1_16block_id_wrapperIjLb1EEEEE10hipError_tT1_PNSt15iterator_traitsISG_E10value_typeET2_T3_PNSH_ISM_E10value_typeET4_T5_PSR_SS_PNS1_23onesweep_lookback_stateEbbT6_jjT7_P12ihipStream_tbENKUlT_T0_SG_SL_E_clISA_SA_SB_SB_EEDaSZ_S10_SG_SL_EUlSZ_E_NS1_11comp_targetILNS1_3genE10ELNS1_11target_archE1201ELNS1_3gpuE5ELNS1_3repE0EEENS1_47radix_sort_onesweep_sort_config_static_selectorELNS0_4arch9wavefront6targetE0EEEvSG_
; %bb.0:
	.section	.rodata,"a",@progbits
	.p2align	6, 0x0
	.amdhsa_kernel _ZN7rocprim17ROCPRIM_400000_NS6detail17trampoline_kernelINS0_14default_configENS1_35radix_sort_onesweep_config_selectorIsNS0_10empty_typeEEEZZNS1_29radix_sort_onesweep_iterationIS3_Lb1EPKsPsPS5_SB_mNS0_19identity_decomposerENS1_16block_id_wrapperIjLb1EEEEE10hipError_tT1_PNSt15iterator_traitsISG_E10value_typeET2_T3_PNSH_ISM_E10value_typeET4_T5_PSR_SS_PNS1_23onesweep_lookback_stateEbbT6_jjT7_P12ihipStream_tbENKUlT_T0_SG_SL_E_clISA_SA_SB_SB_EEDaSZ_S10_SG_SL_EUlSZ_E_NS1_11comp_targetILNS1_3genE10ELNS1_11target_archE1201ELNS1_3gpuE5ELNS1_3repE0EEENS1_47radix_sort_onesweep_sort_config_static_selectorELNS0_4arch9wavefront6targetE0EEEvSG_
		.amdhsa_group_segment_fixed_size 0
		.amdhsa_private_segment_fixed_size 0
		.amdhsa_kernarg_size 88
		.amdhsa_user_sgpr_count 2
		.amdhsa_user_sgpr_dispatch_ptr 0
		.amdhsa_user_sgpr_queue_ptr 0
		.amdhsa_user_sgpr_kernarg_segment_ptr 1
		.amdhsa_user_sgpr_dispatch_id 0
		.amdhsa_user_sgpr_kernarg_preload_length 0
		.amdhsa_user_sgpr_kernarg_preload_offset 0
		.amdhsa_user_sgpr_private_segment_size 0
		.amdhsa_wavefront_size32 1
		.amdhsa_uses_dynamic_stack 0
		.amdhsa_enable_private_segment 0
		.amdhsa_system_sgpr_workgroup_id_x 1
		.amdhsa_system_sgpr_workgroup_id_y 0
		.amdhsa_system_sgpr_workgroup_id_z 0
		.amdhsa_system_sgpr_workgroup_info 0
		.amdhsa_system_vgpr_workitem_id 0
		.amdhsa_next_free_vgpr 1
		.amdhsa_next_free_sgpr 1
		.amdhsa_named_barrier_count 0
		.amdhsa_reserve_vcc 0
		.amdhsa_float_round_mode_32 0
		.amdhsa_float_round_mode_16_64 0
		.amdhsa_float_denorm_mode_32 3
		.amdhsa_float_denorm_mode_16_64 3
		.amdhsa_fp16_overflow 0
		.amdhsa_memory_ordered 1
		.amdhsa_forward_progress 1
		.amdhsa_inst_pref_size 0
		.amdhsa_round_robin_scheduling 0
		.amdhsa_exception_fp_ieee_invalid_op 0
		.amdhsa_exception_fp_denorm_src 0
		.amdhsa_exception_fp_ieee_div_zero 0
		.amdhsa_exception_fp_ieee_overflow 0
		.amdhsa_exception_fp_ieee_underflow 0
		.amdhsa_exception_fp_ieee_inexact 0
		.amdhsa_exception_int_div_zero 0
	.end_amdhsa_kernel
	.section	.text._ZN7rocprim17ROCPRIM_400000_NS6detail17trampoline_kernelINS0_14default_configENS1_35radix_sort_onesweep_config_selectorIsNS0_10empty_typeEEEZZNS1_29radix_sort_onesweep_iterationIS3_Lb1EPKsPsPS5_SB_mNS0_19identity_decomposerENS1_16block_id_wrapperIjLb1EEEEE10hipError_tT1_PNSt15iterator_traitsISG_E10value_typeET2_T3_PNSH_ISM_E10value_typeET4_T5_PSR_SS_PNS1_23onesweep_lookback_stateEbbT6_jjT7_P12ihipStream_tbENKUlT_T0_SG_SL_E_clISA_SA_SB_SB_EEDaSZ_S10_SG_SL_EUlSZ_E_NS1_11comp_targetILNS1_3genE10ELNS1_11target_archE1201ELNS1_3gpuE5ELNS1_3repE0EEENS1_47radix_sort_onesweep_sort_config_static_selectorELNS0_4arch9wavefront6targetE0EEEvSG_,"axG",@progbits,_ZN7rocprim17ROCPRIM_400000_NS6detail17trampoline_kernelINS0_14default_configENS1_35radix_sort_onesweep_config_selectorIsNS0_10empty_typeEEEZZNS1_29radix_sort_onesweep_iterationIS3_Lb1EPKsPsPS5_SB_mNS0_19identity_decomposerENS1_16block_id_wrapperIjLb1EEEEE10hipError_tT1_PNSt15iterator_traitsISG_E10value_typeET2_T3_PNSH_ISM_E10value_typeET4_T5_PSR_SS_PNS1_23onesweep_lookback_stateEbbT6_jjT7_P12ihipStream_tbENKUlT_T0_SG_SL_E_clISA_SA_SB_SB_EEDaSZ_S10_SG_SL_EUlSZ_E_NS1_11comp_targetILNS1_3genE10ELNS1_11target_archE1201ELNS1_3gpuE5ELNS1_3repE0EEENS1_47radix_sort_onesweep_sort_config_static_selectorELNS0_4arch9wavefront6targetE0EEEvSG_,comdat
.Lfunc_end617:
	.size	_ZN7rocprim17ROCPRIM_400000_NS6detail17trampoline_kernelINS0_14default_configENS1_35radix_sort_onesweep_config_selectorIsNS0_10empty_typeEEEZZNS1_29radix_sort_onesweep_iterationIS3_Lb1EPKsPsPS5_SB_mNS0_19identity_decomposerENS1_16block_id_wrapperIjLb1EEEEE10hipError_tT1_PNSt15iterator_traitsISG_E10value_typeET2_T3_PNSH_ISM_E10value_typeET4_T5_PSR_SS_PNS1_23onesweep_lookback_stateEbbT6_jjT7_P12ihipStream_tbENKUlT_T0_SG_SL_E_clISA_SA_SB_SB_EEDaSZ_S10_SG_SL_EUlSZ_E_NS1_11comp_targetILNS1_3genE10ELNS1_11target_archE1201ELNS1_3gpuE5ELNS1_3repE0EEENS1_47radix_sort_onesweep_sort_config_static_selectorELNS0_4arch9wavefront6targetE0EEEvSG_, .Lfunc_end617-_ZN7rocprim17ROCPRIM_400000_NS6detail17trampoline_kernelINS0_14default_configENS1_35radix_sort_onesweep_config_selectorIsNS0_10empty_typeEEEZZNS1_29radix_sort_onesweep_iterationIS3_Lb1EPKsPsPS5_SB_mNS0_19identity_decomposerENS1_16block_id_wrapperIjLb1EEEEE10hipError_tT1_PNSt15iterator_traitsISG_E10value_typeET2_T3_PNSH_ISM_E10value_typeET4_T5_PSR_SS_PNS1_23onesweep_lookback_stateEbbT6_jjT7_P12ihipStream_tbENKUlT_T0_SG_SL_E_clISA_SA_SB_SB_EEDaSZ_S10_SG_SL_EUlSZ_E_NS1_11comp_targetILNS1_3genE10ELNS1_11target_archE1201ELNS1_3gpuE5ELNS1_3repE0EEENS1_47radix_sort_onesweep_sort_config_static_selectorELNS0_4arch9wavefront6targetE0EEEvSG_
                                        ; -- End function
	.set _ZN7rocprim17ROCPRIM_400000_NS6detail17trampoline_kernelINS0_14default_configENS1_35radix_sort_onesweep_config_selectorIsNS0_10empty_typeEEEZZNS1_29radix_sort_onesweep_iterationIS3_Lb1EPKsPsPS5_SB_mNS0_19identity_decomposerENS1_16block_id_wrapperIjLb1EEEEE10hipError_tT1_PNSt15iterator_traitsISG_E10value_typeET2_T3_PNSH_ISM_E10value_typeET4_T5_PSR_SS_PNS1_23onesweep_lookback_stateEbbT6_jjT7_P12ihipStream_tbENKUlT_T0_SG_SL_E_clISA_SA_SB_SB_EEDaSZ_S10_SG_SL_EUlSZ_E_NS1_11comp_targetILNS1_3genE10ELNS1_11target_archE1201ELNS1_3gpuE5ELNS1_3repE0EEENS1_47radix_sort_onesweep_sort_config_static_selectorELNS0_4arch9wavefront6targetE0EEEvSG_.num_vgpr, 0
	.set _ZN7rocprim17ROCPRIM_400000_NS6detail17trampoline_kernelINS0_14default_configENS1_35radix_sort_onesweep_config_selectorIsNS0_10empty_typeEEEZZNS1_29radix_sort_onesweep_iterationIS3_Lb1EPKsPsPS5_SB_mNS0_19identity_decomposerENS1_16block_id_wrapperIjLb1EEEEE10hipError_tT1_PNSt15iterator_traitsISG_E10value_typeET2_T3_PNSH_ISM_E10value_typeET4_T5_PSR_SS_PNS1_23onesweep_lookback_stateEbbT6_jjT7_P12ihipStream_tbENKUlT_T0_SG_SL_E_clISA_SA_SB_SB_EEDaSZ_S10_SG_SL_EUlSZ_E_NS1_11comp_targetILNS1_3genE10ELNS1_11target_archE1201ELNS1_3gpuE5ELNS1_3repE0EEENS1_47radix_sort_onesweep_sort_config_static_selectorELNS0_4arch9wavefront6targetE0EEEvSG_.num_agpr, 0
	.set _ZN7rocprim17ROCPRIM_400000_NS6detail17trampoline_kernelINS0_14default_configENS1_35radix_sort_onesweep_config_selectorIsNS0_10empty_typeEEEZZNS1_29radix_sort_onesweep_iterationIS3_Lb1EPKsPsPS5_SB_mNS0_19identity_decomposerENS1_16block_id_wrapperIjLb1EEEEE10hipError_tT1_PNSt15iterator_traitsISG_E10value_typeET2_T3_PNSH_ISM_E10value_typeET4_T5_PSR_SS_PNS1_23onesweep_lookback_stateEbbT6_jjT7_P12ihipStream_tbENKUlT_T0_SG_SL_E_clISA_SA_SB_SB_EEDaSZ_S10_SG_SL_EUlSZ_E_NS1_11comp_targetILNS1_3genE10ELNS1_11target_archE1201ELNS1_3gpuE5ELNS1_3repE0EEENS1_47radix_sort_onesweep_sort_config_static_selectorELNS0_4arch9wavefront6targetE0EEEvSG_.numbered_sgpr, 0
	.set _ZN7rocprim17ROCPRIM_400000_NS6detail17trampoline_kernelINS0_14default_configENS1_35radix_sort_onesweep_config_selectorIsNS0_10empty_typeEEEZZNS1_29radix_sort_onesweep_iterationIS3_Lb1EPKsPsPS5_SB_mNS0_19identity_decomposerENS1_16block_id_wrapperIjLb1EEEEE10hipError_tT1_PNSt15iterator_traitsISG_E10value_typeET2_T3_PNSH_ISM_E10value_typeET4_T5_PSR_SS_PNS1_23onesweep_lookback_stateEbbT6_jjT7_P12ihipStream_tbENKUlT_T0_SG_SL_E_clISA_SA_SB_SB_EEDaSZ_S10_SG_SL_EUlSZ_E_NS1_11comp_targetILNS1_3genE10ELNS1_11target_archE1201ELNS1_3gpuE5ELNS1_3repE0EEENS1_47radix_sort_onesweep_sort_config_static_selectorELNS0_4arch9wavefront6targetE0EEEvSG_.num_named_barrier, 0
	.set _ZN7rocprim17ROCPRIM_400000_NS6detail17trampoline_kernelINS0_14default_configENS1_35radix_sort_onesweep_config_selectorIsNS0_10empty_typeEEEZZNS1_29radix_sort_onesweep_iterationIS3_Lb1EPKsPsPS5_SB_mNS0_19identity_decomposerENS1_16block_id_wrapperIjLb1EEEEE10hipError_tT1_PNSt15iterator_traitsISG_E10value_typeET2_T3_PNSH_ISM_E10value_typeET4_T5_PSR_SS_PNS1_23onesweep_lookback_stateEbbT6_jjT7_P12ihipStream_tbENKUlT_T0_SG_SL_E_clISA_SA_SB_SB_EEDaSZ_S10_SG_SL_EUlSZ_E_NS1_11comp_targetILNS1_3genE10ELNS1_11target_archE1201ELNS1_3gpuE5ELNS1_3repE0EEENS1_47radix_sort_onesweep_sort_config_static_selectorELNS0_4arch9wavefront6targetE0EEEvSG_.private_seg_size, 0
	.set _ZN7rocprim17ROCPRIM_400000_NS6detail17trampoline_kernelINS0_14default_configENS1_35radix_sort_onesweep_config_selectorIsNS0_10empty_typeEEEZZNS1_29radix_sort_onesweep_iterationIS3_Lb1EPKsPsPS5_SB_mNS0_19identity_decomposerENS1_16block_id_wrapperIjLb1EEEEE10hipError_tT1_PNSt15iterator_traitsISG_E10value_typeET2_T3_PNSH_ISM_E10value_typeET4_T5_PSR_SS_PNS1_23onesweep_lookback_stateEbbT6_jjT7_P12ihipStream_tbENKUlT_T0_SG_SL_E_clISA_SA_SB_SB_EEDaSZ_S10_SG_SL_EUlSZ_E_NS1_11comp_targetILNS1_3genE10ELNS1_11target_archE1201ELNS1_3gpuE5ELNS1_3repE0EEENS1_47radix_sort_onesweep_sort_config_static_selectorELNS0_4arch9wavefront6targetE0EEEvSG_.uses_vcc, 0
	.set _ZN7rocprim17ROCPRIM_400000_NS6detail17trampoline_kernelINS0_14default_configENS1_35radix_sort_onesweep_config_selectorIsNS0_10empty_typeEEEZZNS1_29radix_sort_onesweep_iterationIS3_Lb1EPKsPsPS5_SB_mNS0_19identity_decomposerENS1_16block_id_wrapperIjLb1EEEEE10hipError_tT1_PNSt15iterator_traitsISG_E10value_typeET2_T3_PNSH_ISM_E10value_typeET4_T5_PSR_SS_PNS1_23onesweep_lookback_stateEbbT6_jjT7_P12ihipStream_tbENKUlT_T0_SG_SL_E_clISA_SA_SB_SB_EEDaSZ_S10_SG_SL_EUlSZ_E_NS1_11comp_targetILNS1_3genE10ELNS1_11target_archE1201ELNS1_3gpuE5ELNS1_3repE0EEENS1_47radix_sort_onesweep_sort_config_static_selectorELNS0_4arch9wavefront6targetE0EEEvSG_.uses_flat_scratch, 0
	.set _ZN7rocprim17ROCPRIM_400000_NS6detail17trampoline_kernelINS0_14default_configENS1_35radix_sort_onesweep_config_selectorIsNS0_10empty_typeEEEZZNS1_29radix_sort_onesweep_iterationIS3_Lb1EPKsPsPS5_SB_mNS0_19identity_decomposerENS1_16block_id_wrapperIjLb1EEEEE10hipError_tT1_PNSt15iterator_traitsISG_E10value_typeET2_T3_PNSH_ISM_E10value_typeET4_T5_PSR_SS_PNS1_23onesweep_lookback_stateEbbT6_jjT7_P12ihipStream_tbENKUlT_T0_SG_SL_E_clISA_SA_SB_SB_EEDaSZ_S10_SG_SL_EUlSZ_E_NS1_11comp_targetILNS1_3genE10ELNS1_11target_archE1201ELNS1_3gpuE5ELNS1_3repE0EEENS1_47radix_sort_onesweep_sort_config_static_selectorELNS0_4arch9wavefront6targetE0EEEvSG_.has_dyn_sized_stack, 0
	.set _ZN7rocprim17ROCPRIM_400000_NS6detail17trampoline_kernelINS0_14default_configENS1_35radix_sort_onesweep_config_selectorIsNS0_10empty_typeEEEZZNS1_29radix_sort_onesweep_iterationIS3_Lb1EPKsPsPS5_SB_mNS0_19identity_decomposerENS1_16block_id_wrapperIjLb1EEEEE10hipError_tT1_PNSt15iterator_traitsISG_E10value_typeET2_T3_PNSH_ISM_E10value_typeET4_T5_PSR_SS_PNS1_23onesweep_lookback_stateEbbT6_jjT7_P12ihipStream_tbENKUlT_T0_SG_SL_E_clISA_SA_SB_SB_EEDaSZ_S10_SG_SL_EUlSZ_E_NS1_11comp_targetILNS1_3genE10ELNS1_11target_archE1201ELNS1_3gpuE5ELNS1_3repE0EEENS1_47radix_sort_onesweep_sort_config_static_selectorELNS0_4arch9wavefront6targetE0EEEvSG_.has_recursion, 0
	.set _ZN7rocprim17ROCPRIM_400000_NS6detail17trampoline_kernelINS0_14default_configENS1_35radix_sort_onesweep_config_selectorIsNS0_10empty_typeEEEZZNS1_29radix_sort_onesweep_iterationIS3_Lb1EPKsPsPS5_SB_mNS0_19identity_decomposerENS1_16block_id_wrapperIjLb1EEEEE10hipError_tT1_PNSt15iterator_traitsISG_E10value_typeET2_T3_PNSH_ISM_E10value_typeET4_T5_PSR_SS_PNS1_23onesweep_lookback_stateEbbT6_jjT7_P12ihipStream_tbENKUlT_T0_SG_SL_E_clISA_SA_SB_SB_EEDaSZ_S10_SG_SL_EUlSZ_E_NS1_11comp_targetILNS1_3genE10ELNS1_11target_archE1201ELNS1_3gpuE5ELNS1_3repE0EEENS1_47radix_sort_onesweep_sort_config_static_selectorELNS0_4arch9wavefront6targetE0EEEvSG_.has_indirect_call, 0
	.section	.AMDGPU.csdata,"",@progbits
; Kernel info:
; codeLenInByte = 0
; TotalNumSgprs: 0
; NumVgprs: 0
; ScratchSize: 0
; MemoryBound: 0
; FloatMode: 240
; IeeeMode: 1
; LDSByteSize: 0 bytes/workgroup (compile time only)
; SGPRBlocks: 0
; VGPRBlocks: 0
; NumSGPRsForWavesPerEU: 1
; NumVGPRsForWavesPerEU: 1
; NamedBarCnt: 0
; Occupancy: 16
; WaveLimiterHint : 0
; COMPUTE_PGM_RSRC2:SCRATCH_EN: 0
; COMPUTE_PGM_RSRC2:USER_SGPR: 2
; COMPUTE_PGM_RSRC2:TRAP_HANDLER: 0
; COMPUTE_PGM_RSRC2:TGID_X_EN: 1
; COMPUTE_PGM_RSRC2:TGID_Y_EN: 0
; COMPUTE_PGM_RSRC2:TGID_Z_EN: 0
; COMPUTE_PGM_RSRC2:TIDIG_COMP_CNT: 0
	.section	.text._ZN7rocprim17ROCPRIM_400000_NS6detail17trampoline_kernelINS0_14default_configENS1_35radix_sort_onesweep_config_selectorIsNS0_10empty_typeEEEZZNS1_29radix_sort_onesweep_iterationIS3_Lb1EPKsPsPS5_SB_mNS0_19identity_decomposerENS1_16block_id_wrapperIjLb1EEEEE10hipError_tT1_PNSt15iterator_traitsISG_E10value_typeET2_T3_PNSH_ISM_E10value_typeET4_T5_PSR_SS_PNS1_23onesweep_lookback_stateEbbT6_jjT7_P12ihipStream_tbENKUlT_T0_SG_SL_E_clISA_SA_SB_SB_EEDaSZ_S10_SG_SL_EUlSZ_E_NS1_11comp_targetILNS1_3genE9ELNS1_11target_archE1100ELNS1_3gpuE3ELNS1_3repE0EEENS1_47radix_sort_onesweep_sort_config_static_selectorELNS0_4arch9wavefront6targetE0EEEvSG_,"axG",@progbits,_ZN7rocprim17ROCPRIM_400000_NS6detail17trampoline_kernelINS0_14default_configENS1_35radix_sort_onesweep_config_selectorIsNS0_10empty_typeEEEZZNS1_29radix_sort_onesweep_iterationIS3_Lb1EPKsPsPS5_SB_mNS0_19identity_decomposerENS1_16block_id_wrapperIjLb1EEEEE10hipError_tT1_PNSt15iterator_traitsISG_E10value_typeET2_T3_PNSH_ISM_E10value_typeET4_T5_PSR_SS_PNS1_23onesweep_lookback_stateEbbT6_jjT7_P12ihipStream_tbENKUlT_T0_SG_SL_E_clISA_SA_SB_SB_EEDaSZ_S10_SG_SL_EUlSZ_E_NS1_11comp_targetILNS1_3genE9ELNS1_11target_archE1100ELNS1_3gpuE3ELNS1_3repE0EEENS1_47radix_sort_onesweep_sort_config_static_selectorELNS0_4arch9wavefront6targetE0EEEvSG_,comdat
	.protected	_ZN7rocprim17ROCPRIM_400000_NS6detail17trampoline_kernelINS0_14default_configENS1_35radix_sort_onesweep_config_selectorIsNS0_10empty_typeEEEZZNS1_29radix_sort_onesweep_iterationIS3_Lb1EPKsPsPS5_SB_mNS0_19identity_decomposerENS1_16block_id_wrapperIjLb1EEEEE10hipError_tT1_PNSt15iterator_traitsISG_E10value_typeET2_T3_PNSH_ISM_E10value_typeET4_T5_PSR_SS_PNS1_23onesweep_lookback_stateEbbT6_jjT7_P12ihipStream_tbENKUlT_T0_SG_SL_E_clISA_SA_SB_SB_EEDaSZ_S10_SG_SL_EUlSZ_E_NS1_11comp_targetILNS1_3genE9ELNS1_11target_archE1100ELNS1_3gpuE3ELNS1_3repE0EEENS1_47radix_sort_onesweep_sort_config_static_selectorELNS0_4arch9wavefront6targetE0EEEvSG_ ; -- Begin function _ZN7rocprim17ROCPRIM_400000_NS6detail17trampoline_kernelINS0_14default_configENS1_35radix_sort_onesweep_config_selectorIsNS0_10empty_typeEEEZZNS1_29radix_sort_onesweep_iterationIS3_Lb1EPKsPsPS5_SB_mNS0_19identity_decomposerENS1_16block_id_wrapperIjLb1EEEEE10hipError_tT1_PNSt15iterator_traitsISG_E10value_typeET2_T3_PNSH_ISM_E10value_typeET4_T5_PSR_SS_PNS1_23onesweep_lookback_stateEbbT6_jjT7_P12ihipStream_tbENKUlT_T0_SG_SL_E_clISA_SA_SB_SB_EEDaSZ_S10_SG_SL_EUlSZ_E_NS1_11comp_targetILNS1_3genE9ELNS1_11target_archE1100ELNS1_3gpuE3ELNS1_3repE0EEENS1_47radix_sort_onesweep_sort_config_static_selectorELNS0_4arch9wavefront6targetE0EEEvSG_
	.globl	_ZN7rocprim17ROCPRIM_400000_NS6detail17trampoline_kernelINS0_14default_configENS1_35radix_sort_onesweep_config_selectorIsNS0_10empty_typeEEEZZNS1_29radix_sort_onesweep_iterationIS3_Lb1EPKsPsPS5_SB_mNS0_19identity_decomposerENS1_16block_id_wrapperIjLb1EEEEE10hipError_tT1_PNSt15iterator_traitsISG_E10value_typeET2_T3_PNSH_ISM_E10value_typeET4_T5_PSR_SS_PNS1_23onesweep_lookback_stateEbbT6_jjT7_P12ihipStream_tbENKUlT_T0_SG_SL_E_clISA_SA_SB_SB_EEDaSZ_S10_SG_SL_EUlSZ_E_NS1_11comp_targetILNS1_3genE9ELNS1_11target_archE1100ELNS1_3gpuE3ELNS1_3repE0EEENS1_47radix_sort_onesweep_sort_config_static_selectorELNS0_4arch9wavefront6targetE0EEEvSG_
	.p2align	8
	.type	_ZN7rocprim17ROCPRIM_400000_NS6detail17trampoline_kernelINS0_14default_configENS1_35radix_sort_onesweep_config_selectorIsNS0_10empty_typeEEEZZNS1_29radix_sort_onesweep_iterationIS3_Lb1EPKsPsPS5_SB_mNS0_19identity_decomposerENS1_16block_id_wrapperIjLb1EEEEE10hipError_tT1_PNSt15iterator_traitsISG_E10value_typeET2_T3_PNSH_ISM_E10value_typeET4_T5_PSR_SS_PNS1_23onesweep_lookback_stateEbbT6_jjT7_P12ihipStream_tbENKUlT_T0_SG_SL_E_clISA_SA_SB_SB_EEDaSZ_S10_SG_SL_EUlSZ_E_NS1_11comp_targetILNS1_3genE9ELNS1_11target_archE1100ELNS1_3gpuE3ELNS1_3repE0EEENS1_47radix_sort_onesweep_sort_config_static_selectorELNS0_4arch9wavefront6targetE0EEEvSG_,@function
_ZN7rocprim17ROCPRIM_400000_NS6detail17trampoline_kernelINS0_14default_configENS1_35radix_sort_onesweep_config_selectorIsNS0_10empty_typeEEEZZNS1_29radix_sort_onesweep_iterationIS3_Lb1EPKsPsPS5_SB_mNS0_19identity_decomposerENS1_16block_id_wrapperIjLb1EEEEE10hipError_tT1_PNSt15iterator_traitsISG_E10value_typeET2_T3_PNSH_ISM_E10value_typeET4_T5_PSR_SS_PNS1_23onesweep_lookback_stateEbbT6_jjT7_P12ihipStream_tbENKUlT_T0_SG_SL_E_clISA_SA_SB_SB_EEDaSZ_S10_SG_SL_EUlSZ_E_NS1_11comp_targetILNS1_3genE9ELNS1_11target_archE1100ELNS1_3gpuE3ELNS1_3repE0EEENS1_47radix_sort_onesweep_sort_config_static_selectorELNS0_4arch9wavefront6targetE0EEEvSG_: ; @_ZN7rocprim17ROCPRIM_400000_NS6detail17trampoline_kernelINS0_14default_configENS1_35radix_sort_onesweep_config_selectorIsNS0_10empty_typeEEEZZNS1_29radix_sort_onesweep_iterationIS3_Lb1EPKsPsPS5_SB_mNS0_19identity_decomposerENS1_16block_id_wrapperIjLb1EEEEE10hipError_tT1_PNSt15iterator_traitsISG_E10value_typeET2_T3_PNSH_ISM_E10value_typeET4_T5_PSR_SS_PNS1_23onesweep_lookback_stateEbbT6_jjT7_P12ihipStream_tbENKUlT_T0_SG_SL_E_clISA_SA_SB_SB_EEDaSZ_S10_SG_SL_EUlSZ_E_NS1_11comp_targetILNS1_3genE9ELNS1_11target_archE1100ELNS1_3gpuE3ELNS1_3repE0EEENS1_47radix_sort_onesweep_sort_config_static_selectorELNS0_4arch9wavefront6targetE0EEEvSG_
; %bb.0:
	.section	.rodata,"a",@progbits
	.p2align	6, 0x0
	.amdhsa_kernel _ZN7rocprim17ROCPRIM_400000_NS6detail17trampoline_kernelINS0_14default_configENS1_35radix_sort_onesweep_config_selectorIsNS0_10empty_typeEEEZZNS1_29radix_sort_onesweep_iterationIS3_Lb1EPKsPsPS5_SB_mNS0_19identity_decomposerENS1_16block_id_wrapperIjLb1EEEEE10hipError_tT1_PNSt15iterator_traitsISG_E10value_typeET2_T3_PNSH_ISM_E10value_typeET4_T5_PSR_SS_PNS1_23onesweep_lookback_stateEbbT6_jjT7_P12ihipStream_tbENKUlT_T0_SG_SL_E_clISA_SA_SB_SB_EEDaSZ_S10_SG_SL_EUlSZ_E_NS1_11comp_targetILNS1_3genE9ELNS1_11target_archE1100ELNS1_3gpuE3ELNS1_3repE0EEENS1_47radix_sort_onesweep_sort_config_static_selectorELNS0_4arch9wavefront6targetE0EEEvSG_
		.amdhsa_group_segment_fixed_size 0
		.amdhsa_private_segment_fixed_size 0
		.amdhsa_kernarg_size 88
		.amdhsa_user_sgpr_count 2
		.amdhsa_user_sgpr_dispatch_ptr 0
		.amdhsa_user_sgpr_queue_ptr 0
		.amdhsa_user_sgpr_kernarg_segment_ptr 1
		.amdhsa_user_sgpr_dispatch_id 0
		.amdhsa_user_sgpr_kernarg_preload_length 0
		.amdhsa_user_sgpr_kernarg_preload_offset 0
		.amdhsa_user_sgpr_private_segment_size 0
		.amdhsa_wavefront_size32 1
		.amdhsa_uses_dynamic_stack 0
		.amdhsa_enable_private_segment 0
		.amdhsa_system_sgpr_workgroup_id_x 1
		.amdhsa_system_sgpr_workgroup_id_y 0
		.amdhsa_system_sgpr_workgroup_id_z 0
		.amdhsa_system_sgpr_workgroup_info 0
		.amdhsa_system_vgpr_workitem_id 0
		.amdhsa_next_free_vgpr 1
		.amdhsa_next_free_sgpr 1
		.amdhsa_named_barrier_count 0
		.amdhsa_reserve_vcc 0
		.amdhsa_float_round_mode_32 0
		.amdhsa_float_round_mode_16_64 0
		.amdhsa_float_denorm_mode_32 3
		.amdhsa_float_denorm_mode_16_64 3
		.amdhsa_fp16_overflow 0
		.amdhsa_memory_ordered 1
		.amdhsa_forward_progress 1
		.amdhsa_inst_pref_size 0
		.amdhsa_round_robin_scheduling 0
		.amdhsa_exception_fp_ieee_invalid_op 0
		.amdhsa_exception_fp_denorm_src 0
		.amdhsa_exception_fp_ieee_div_zero 0
		.amdhsa_exception_fp_ieee_overflow 0
		.amdhsa_exception_fp_ieee_underflow 0
		.amdhsa_exception_fp_ieee_inexact 0
		.amdhsa_exception_int_div_zero 0
	.end_amdhsa_kernel
	.section	.text._ZN7rocprim17ROCPRIM_400000_NS6detail17trampoline_kernelINS0_14default_configENS1_35radix_sort_onesweep_config_selectorIsNS0_10empty_typeEEEZZNS1_29radix_sort_onesweep_iterationIS3_Lb1EPKsPsPS5_SB_mNS0_19identity_decomposerENS1_16block_id_wrapperIjLb1EEEEE10hipError_tT1_PNSt15iterator_traitsISG_E10value_typeET2_T3_PNSH_ISM_E10value_typeET4_T5_PSR_SS_PNS1_23onesweep_lookback_stateEbbT6_jjT7_P12ihipStream_tbENKUlT_T0_SG_SL_E_clISA_SA_SB_SB_EEDaSZ_S10_SG_SL_EUlSZ_E_NS1_11comp_targetILNS1_3genE9ELNS1_11target_archE1100ELNS1_3gpuE3ELNS1_3repE0EEENS1_47radix_sort_onesweep_sort_config_static_selectorELNS0_4arch9wavefront6targetE0EEEvSG_,"axG",@progbits,_ZN7rocprim17ROCPRIM_400000_NS6detail17trampoline_kernelINS0_14default_configENS1_35radix_sort_onesweep_config_selectorIsNS0_10empty_typeEEEZZNS1_29radix_sort_onesweep_iterationIS3_Lb1EPKsPsPS5_SB_mNS0_19identity_decomposerENS1_16block_id_wrapperIjLb1EEEEE10hipError_tT1_PNSt15iterator_traitsISG_E10value_typeET2_T3_PNSH_ISM_E10value_typeET4_T5_PSR_SS_PNS1_23onesweep_lookback_stateEbbT6_jjT7_P12ihipStream_tbENKUlT_T0_SG_SL_E_clISA_SA_SB_SB_EEDaSZ_S10_SG_SL_EUlSZ_E_NS1_11comp_targetILNS1_3genE9ELNS1_11target_archE1100ELNS1_3gpuE3ELNS1_3repE0EEENS1_47radix_sort_onesweep_sort_config_static_selectorELNS0_4arch9wavefront6targetE0EEEvSG_,comdat
.Lfunc_end618:
	.size	_ZN7rocprim17ROCPRIM_400000_NS6detail17trampoline_kernelINS0_14default_configENS1_35radix_sort_onesweep_config_selectorIsNS0_10empty_typeEEEZZNS1_29radix_sort_onesweep_iterationIS3_Lb1EPKsPsPS5_SB_mNS0_19identity_decomposerENS1_16block_id_wrapperIjLb1EEEEE10hipError_tT1_PNSt15iterator_traitsISG_E10value_typeET2_T3_PNSH_ISM_E10value_typeET4_T5_PSR_SS_PNS1_23onesweep_lookback_stateEbbT6_jjT7_P12ihipStream_tbENKUlT_T0_SG_SL_E_clISA_SA_SB_SB_EEDaSZ_S10_SG_SL_EUlSZ_E_NS1_11comp_targetILNS1_3genE9ELNS1_11target_archE1100ELNS1_3gpuE3ELNS1_3repE0EEENS1_47radix_sort_onesweep_sort_config_static_selectorELNS0_4arch9wavefront6targetE0EEEvSG_, .Lfunc_end618-_ZN7rocprim17ROCPRIM_400000_NS6detail17trampoline_kernelINS0_14default_configENS1_35radix_sort_onesweep_config_selectorIsNS0_10empty_typeEEEZZNS1_29radix_sort_onesweep_iterationIS3_Lb1EPKsPsPS5_SB_mNS0_19identity_decomposerENS1_16block_id_wrapperIjLb1EEEEE10hipError_tT1_PNSt15iterator_traitsISG_E10value_typeET2_T3_PNSH_ISM_E10value_typeET4_T5_PSR_SS_PNS1_23onesweep_lookback_stateEbbT6_jjT7_P12ihipStream_tbENKUlT_T0_SG_SL_E_clISA_SA_SB_SB_EEDaSZ_S10_SG_SL_EUlSZ_E_NS1_11comp_targetILNS1_3genE9ELNS1_11target_archE1100ELNS1_3gpuE3ELNS1_3repE0EEENS1_47radix_sort_onesweep_sort_config_static_selectorELNS0_4arch9wavefront6targetE0EEEvSG_
                                        ; -- End function
	.set _ZN7rocprim17ROCPRIM_400000_NS6detail17trampoline_kernelINS0_14default_configENS1_35radix_sort_onesweep_config_selectorIsNS0_10empty_typeEEEZZNS1_29radix_sort_onesweep_iterationIS3_Lb1EPKsPsPS5_SB_mNS0_19identity_decomposerENS1_16block_id_wrapperIjLb1EEEEE10hipError_tT1_PNSt15iterator_traitsISG_E10value_typeET2_T3_PNSH_ISM_E10value_typeET4_T5_PSR_SS_PNS1_23onesweep_lookback_stateEbbT6_jjT7_P12ihipStream_tbENKUlT_T0_SG_SL_E_clISA_SA_SB_SB_EEDaSZ_S10_SG_SL_EUlSZ_E_NS1_11comp_targetILNS1_3genE9ELNS1_11target_archE1100ELNS1_3gpuE3ELNS1_3repE0EEENS1_47radix_sort_onesweep_sort_config_static_selectorELNS0_4arch9wavefront6targetE0EEEvSG_.num_vgpr, 0
	.set _ZN7rocprim17ROCPRIM_400000_NS6detail17trampoline_kernelINS0_14default_configENS1_35radix_sort_onesweep_config_selectorIsNS0_10empty_typeEEEZZNS1_29radix_sort_onesweep_iterationIS3_Lb1EPKsPsPS5_SB_mNS0_19identity_decomposerENS1_16block_id_wrapperIjLb1EEEEE10hipError_tT1_PNSt15iterator_traitsISG_E10value_typeET2_T3_PNSH_ISM_E10value_typeET4_T5_PSR_SS_PNS1_23onesweep_lookback_stateEbbT6_jjT7_P12ihipStream_tbENKUlT_T0_SG_SL_E_clISA_SA_SB_SB_EEDaSZ_S10_SG_SL_EUlSZ_E_NS1_11comp_targetILNS1_3genE9ELNS1_11target_archE1100ELNS1_3gpuE3ELNS1_3repE0EEENS1_47radix_sort_onesweep_sort_config_static_selectorELNS0_4arch9wavefront6targetE0EEEvSG_.num_agpr, 0
	.set _ZN7rocprim17ROCPRIM_400000_NS6detail17trampoline_kernelINS0_14default_configENS1_35radix_sort_onesweep_config_selectorIsNS0_10empty_typeEEEZZNS1_29radix_sort_onesweep_iterationIS3_Lb1EPKsPsPS5_SB_mNS0_19identity_decomposerENS1_16block_id_wrapperIjLb1EEEEE10hipError_tT1_PNSt15iterator_traitsISG_E10value_typeET2_T3_PNSH_ISM_E10value_typeET4_T5_PSR_SS_PNS1_23onesweep_lookback_stateEbbT6_jjT7_P12ihipStream_tbENKUlT_T0_SG_SL_E_clISA_SA_SB_SB_EEDaSZ_S10_SG_SL_EUlSZ_E_NS1_11comp_targetILNS1_3genE9ELNS1_11target_archE1100ELNS1_3gpuE3ELNS1_3repE0EEENS1_47radix_sort_onesweep_sort_config_static_selectorELNS0_4arch9wavefront6targetE0EEEvSG_.numbered_sgpr, 0
	.set _ZN7rocprim17ROCPRIM_400000_NS6detail17trampoline_kernelINS0_14default_configENS1_35radix_sort_onesweep_config_selectorIsNS0_10empty_typeEEEZZNS1_29radix_sort_onesweep_iterationIS3_Lb1EPKsPsPS5_SB_mNS0_19identity_decomposerENS1_16block_id_wrapperIjLb1EEEEE10hipError_tT1_PNSt15iterator_traitsISG_E10value_typeET2_T3_PNSH_ISM_E10value_typeET4_T5_PSR_SS_PNS1_23onesweep_lookback_stateEbbT6_jjT7_P12ihipStream_tbENKUlT_T0_SG_SL_E_clISA_SA_SB_SB_EEDaSZ_S10_SG_SL_EUlSZ_E_NS1_11comp_targetILNS1_3genE9ELNS1_11target_archE1100ELNS1_3gpuE3ELNS1_3repE0EEENS1_47radix_sort_onesweep_sort_config_static_selectorELNS0_4arch9wavefront6targetE0EEEvSG_.num_named_barrier, 0
	.set _ZN7rocprim17ROCPRIM_400000_NS6detail17trampoline_kernelINS0_14default_configENS1_35radix_sort_onesweep_config_selectorIsNS0_10empty_typeEEEZZNS1_29radix_sort_onesweep_iterationIS3_Lb1EPKsPsPS5_SB_mNS0_19identity_decomposerENS1_16block_id_wrapperIjLb1EEEEE10hipError_tT1_PNSt15iterator_traitsISG_E10value_typeET2_T3_PNSH_ISM_E10value_typeET4_T5_PSR_SS_PNS1_23onesweep_lookback_stateEbbT6_jjT7_P12ihipStream_tbENKUlT_T0_SG_SL_E_clISA_SA_SB_SB_EEDaSZ_S10_SG_SL_EUlSZ_E_NS1_11comp_targetILNS1_3genE9ELNS1_11target_archE1100ELNS1_3gpuE3ELNS1_3repE0EEENS1_47radix_sort_onesweep_sort_config_static_selectorELNS0_4arch9wavefront6targetE0EEEvSG_.private_seg_size, 0
	.set _ZN7rocprim17ROCPRIM_400000_NS6detail17trampoline_kernelINS0_14default_configENS1_35radix_sort_onesweep_config_selectorIsNS0_10empty_typeEEEZZNS1_29radix_sort_onesweep_iterationIS3_Lb1EPKsPsPS5_SB_mNS0_19identity_decomposerENS1_16block_id_wrapperIjLb1EEEEE10hipError_tT1_PNSt15iterator_traitsISG_E10value_typeET2_T3_PNSH_ISM_E10value_typeET4_T5_PSR_SS_PNS1_23onesweep_lookback_stateEbbT6_jjT7_P12ihipStream_tbENKUlT_T0_SG_SL_E_clISA_SA_SB_SB_EEDaSZ_S10_SG_SL_EUlSZ_E_NS1_11comp_targetILNS1_3genE9ELNS1_11target_archE1100ELNS1_3gpuE3ELNS1_3repE0EEENS1_47radix_sort_onesweep_sort_config_static_selectorELNS0_4arch9wavefront6targetE0EEEvSG_.uses_vcc, 0
	.set _ZN7rocprim17ROCPRIM_400000_NS6detail17trampoline_kernelINS0_14default_configENS1_35radix_sort_onesweep_config_selectorIsNS0_10empty_typeEEEZZNS1_29radix_sort_onesweep_iterationIS3_Lb1EPKsPsPS5_SB_mNS0_19identity_decomposerENS1_16block_id_wrapperIjLb1EEEEE10hipError_tT1_PNSt15iterator_traitsISG_E10value_typeET2_T3_PNSH_ISM_E10value_typeET4_T5_PSR_SS_PNS1_23onesweep_lookback_stateEbbT6_jjT7_P12ihipStream_tbENKUlT_T0_SG_SL_E_clISA_SA_SB_SB_EEDaSZ_S10_SG_SL_EUlSZ_E_NS1_11comp_targetILNS1_3genE9ELNS1_11target_archE1100ELNS1_3gpuE3ELNS1_3repE0EEENS1_47radix_sort_onesweep_sort_config_static_selectorELNS0_4arch9wavefront6targetE0EEEvSG_.uses_flat_scratch, 0
	.set _ZN7rocprim17ROCPRIM_400000_NS6detail17trampoline_kernelINS0_14default_configENS1_35radix_sort_onesweep_config_selectorIsNS0_10empty_typeEEEZZNS1_29radix_sort_onesweep_iterationIS3_Lb1EPKsPsPS5_SB_mNS0_19identity_decomposerENS1_16block_id_wrapperIjLb1EEEEE10hipError_tT1_PNSt15iterator_traitsISG_E10value_typeET2_T3_PNSH_ISM_E10value_typeET4_T5_PSR_SS_PNS1_23onesweep_lookback_stateEbbT6_jjT7_P12ihipStream_tbENKUlT_T0_SG_SL_E_clISA_SA_SB_SB_EEDaSZ_S10_SG_SL_EUlSZ_E_NS1_11comp_targetILNS1_3genE9ELNS1_11target_archE1100ELNS1_3gpuE3ELNS1_3repE0EEENS1_47radix_sort_onesweep_sort_config_static_selectorELNS0_4arch9wavefront6targetE0EEEvSG_.has_dyn_sized_stack, 0
	.set _ZN7rocprim17ROCPRIM_400000_NS6detail17trampoline_kernelINS0_14default_configENS1_35radix_sort_onesweep_config_selectorIsNS0_10empty_typeEEEZZNS1_29radix_sort_onesweep_iterationIS3_Lb1EPKsPsPS5_SB_mNS0_19identity_decomposerENS1_16block_id_wrapperIjLb1EEEEE10hipError_tT1_PNSt15iterator_traitsISG_E10value_typeET2_T3_PNSH_ISM_E10value_typeET4_T5_PSR_SS_PNS1_23onesweep_lookback_stateEbbT6_jjT7_P12ihipStream_tbENKUlT_T0_SG_SL_E_clISA_SA_SB_SB_EEDaSZ_S10_SG_SL_EUlSZ_E_NS1_11comp_targetILNS1_3genE9ELNS1_11target_archE1100ELNS1_3gpuE3ELNS1_3repE0EEENS1_47radix_sort_onesweep_sort_config_static_selectorELNS0_4arch9wavefront6targetE0EEEvSG_.has_recursion, 0
	.set _ZN7rocprim17ROCPRIM_400000_NS6detail17trampoline_kernelINS0_14default_configENS1_35radix_sort_onesweep_config_selectorIsNS0_10empty_typeEEEZZNS1_29radix_sort_onesweep_iterationIS3_Lb1EPKsPsPS5_SB_mNS0_19identity_decomposerENS1_16block_id_wrapperIjLb1EEEEE10hipError_tT1_PNSt15iterator_traitsISG_E10value_typeET2_T3_PNSH_ISM_E10value_typeET4_T5_PSR_SS_PNS1_23onesweep_lookback_stateEbbT6_jjT7_P12ihipStream_tbENKUlT_T0_SG_SL_E_clISA_SA_SB_SB_EEDaSZ_S10_SG_SL_EUlSZ_E_NS1_11comp_targetILNS1_3genE9ELNS1_11target_archE1100ELNS1_3gpuE3ELNS1_3repE0EEENS1_47radix_sort_onesweep_sort_config_static_selectorELNS0_4arch9wavefront6targetE0EEEvSG_.has_indirect_call, 0
	.section	.AMDGPU.csdata,"",@progbits
; Kernel info:
; codeLenInByte = 0
; TotalNumSgprs: 0
; NumVgprs: 0
; ScratchSize: 0
; MemoryBound: 0
; FloatMode: 240
; IeeeMode: 1
; LDSByteSize: 0 bytes/workgroup (compile time only)
; SGPRBlocks: 0
; VGPRBlocks: 0
; NumSGPRsForWavesPerEU: 1
; NumVGPRsForWavesPerEU: 1
; NamedBarCnt: 0
; Occupancy: 16
; WaveLimiterHint : 0
; COMPUTE_PGM_RSRC2:SCRATCH_EN: 0
; COMPUTE_PGM_RSRC2:USER_SGPR: 2
; COMPUTE_PGM_RSRC2:TRAP_HANDLER: 0
; COMPUTE_PGM_RSRC2:TGID_X_EN: 1
; COMPUTE_PGM_RSRC2:TGID_Y_EN: 0
; COMPUTE_PGM_RSRC2:TGID_Z_EN: 0
; COMPUTE_PGM_RSRC2:TIDIG_COMP_CNT: 0
	.section	.text._ZN7rocprim17ROCPRIM_400000_NS6detail17trampoline_kernelINS0_14default_configENS1_35radix_sort_onesweep_config_selectorIsNS0_10empty_typeEEEZZNS1_29radix_sort_onesweep_iterationIS3_Lb1EPKsPsPS5_SB_mNS0_19identity_decomposerENS1_16block_id_wrapperIjLb1EEEEE10hipError_tT1_PNSt15iterator_traitsISG_E10value_typeET2_T3_PNSH_ISM_E10value_typeET4_T5_PSR_SS_PNS1_23onesweep_lookback_stateEbbT6_jjT7_P12ihipStream_tbENKUlT_T0_SG_SL_E_clISA_SA_SB_SB_EEDaSZ_S10_SG_SL_EUlSZ_E_NS1_11comp_targetILNS1_3genE8ELNS1_11target_archE1030ELNS1_3gpuE2ELNS1_3repE0EEENS1_47radix_sort_onesweep_sort_config_static_selectorELNS0_4arch9wavefront6targetE0EEEvSG_,"axG",@progbits,_ZN7rocprim17ROCPRIM_400000_NS6detail17trampoline_kernelINS0_14default_configENS1_35radix_sort_onesweep_config_selectorIsNS0_10empty_typeEEEZZNS1_29radix_sort_onesweep_iterationIS3_Lb1EPKsPsPS5_SB_mNS0_19identity_decomposerENS1_16block_id_wrapperIjLb1EEEEE10hipError_tT1_PNSt15iterator_traitsISG_E10value_typeET2_T3_PNSH_ISM_E10value_typeET4_T5_PSR_SS_PNS1_23onesweep_lookback_stateEbbT6_jjT7_P12ihipStream_tbENKUlT_T0_SG_SL_E_clISA_SA_SB_SB_EEDaSZ_S10_SG_SL_EUlSZ_E_NS1_11comp_targetILNS1_3genE8ELNS1_11target_archE1030ELNS1_3gpuE2ELNS1_3repE0EEENS1_47radix_sort_onesweep_sort_config_static_selectorELNS0_4arch9wavefront6targetE0EEEvSG_,comdat
	.protected	_ZN7rocprim17ROCPRIM_400000_NS6detail17trampoline_kernelINS0_14default_configENS1_35radix_sort_onesweep_config_selectorIsNS0_10empty_typeEEEZZNS1_29radix_sort_onesweep_iterationIS3_Lb1EPKsPsPS5_SB_mNS0_19identity_decomposerENS1_16block_id_wrapperIjLb1EEEEE10hipError_tT1_PNSt15iterator_traitsISG_E10value_typeET2_T3_PNSH_ISM_E10value_typeET4_T5_PSR_SS_PNS1_23onesweep_lookback_stateEbbT6_jjT7_P12ihipStream_tbENKUlT_T0_SG_SL_E_clISA_SA_SB_SB_EEDaSZ_S10_SG_SL_EUlSZ_E_NS1_11comp_targetILNS1_3genE8ELNS1_11target_archE1030ELNS1_3gpuE2ELNS1_3repE0EEENS1_47radix_sort_onesweep_sort_config_static_selectorELNS0_4arch9wavefront6targetE0EEEvSG_ ; -- Begin function _ZN7rocprim17ROCPRIM_400000_NS6detail17trampoline_kernelINS0_14default_configENS1_35radix_sort_onesweep_config_selectorIsNS0_10empty_typeEEEZZNS1_29radix_sort_onesweep_iterationIS3_Lb1EPKsPsPS5_SB_mNS0_19identity_decomposerENS1_16block_id_wrapperIjLb1EEEEE10hipError_tT1_PNSt15iterator_traitsISG_E10value_typeET2_T3_PNSH_ISM_E10value_typeET4_T5_PSR_SS_PNS1_23onesweep_lookback_stateEbbT6_jjT7_P12ihipStream_tbENKUlT_T0_SG_SL_E_clISA_SA_SB_SB_EEDaSZ_S10_SG_SL_EUlSZ_E_NS1_11comp_targetILNS1_3genE8ELNS1_11target_archE1030ELNS1_3gpuE2ELNS1_3repE0EEENS1_47radix_sort_onesweep_sort_config_static_selectorELNS0_4arch9wavefront6targetE0EEEvSG_
	.globl	_ZN7rocprim17ROCPRIM_400000_NS6detail17trampoline_kernelINS0_14default_configENS1_35radix_sort_onesweep_config_selectorIsNS0_10empty_typeEEEZZNS1_29radix_sort_onesweep_iterationIS3_Lb1EPKsPsPS5_SB_mNS0_19identity_decomposerENS1_16block_id_wrapperIjLb1EEEEE10hipError_tT1_PNSt15iterator_traitsISG_E10value_typeET2_T3_PNSH_ISM_E10value_typeET4_T5_PSR_SS_PNS1_23onesweep_lookback_stateEbbT6_jjT7_P12ihipStream_tbENKUlT_T0_SG_SL_E_clISA_SA_SB_SB_EEDaSZ_S10_SG_SL_EUlSZ_E_NS1_11comp_targetILNS1_3genE8ELNS1_11target_archE1030ELNS1_3gpuE2ELNS1_3repE0EEENS1_47radix_sort_onesweep_sort_config_static_selectorELNS0_4arch9wavefront6targetE0EEEvSG_
	.p2align	8
	.type	_ZN7rocprim17ROCPRIM_400000_NS6detail17trampoline_kernelINS0_14default_configENS1_35radix_sort_onesweep_config_selectorIsNS0_10empty_typeEEEZZNS1_29radix_sort_onesweep_iterationIS3_Lb1EPKsPsPS5_SB_mNS0_19identity_decomposerENS1_16block_id_wrapperIjLb1EEEEE10hipError_tT1_PNSt15iterator_traitsISG_E10value_typeET2_T3_PNSH_ISM_E10value_typeET4_T5_PSR_SS_PNS1_23onesweep_lookback_stateEbbT6_jjT7_P12ihipStream_tbENKUlT_T0_SG_SL_E_clISA_SA_SB_SB_EEDaSZ_S10_SG_SL_EUlSZ_E_NS1_11comp_targetILNS1_3genE8ELNS1_11target_archE1030ELNS1_3gpuE2ELNS1_3repE0EEENS1_47radix_sort_onesweep_sort_config_static_selectorELNS0_4arch9wavefront6targetE0EEEvSG_,@function
_ZN7rocprim17ROCPRIM_400000_NS6detail17trampoline_kernelINS0_14default_configENS1_35radix_sort_onesweep_config_selectorIsNS0_10empty_typeEEEZZNS1_29radix_sort_onesweep_iterationIS3_Lb1EPKsPsPS5_SB_mNS0_19identity_decomposerENS1_16block_id_wrapperIjLb1EEEEE10hipError_tT1_PNSt15iterator_traitsISG_E10value_typeET2_T3_PNSH_ISM_E10value_typeET4_T5_PSR_SS_PNS1_23onesweep_lookback_stateEbbT6_jjT7_P12ihipStream_tbENKUlT_T0_SG_SL_E_clISA_SA_SB_SB_EEDaSZ_S10_SG_SL_EUlSZ_E_NS1_11comp_targetILNS1_3genE8ELNS1_11target_archE1030ELNS1_3gpuE2ELNS1_3repE0EEENS1_47radix_sort_onesweep_sort_config_static_selectorELNS0_4arch9wavefront6targetE0EEEvSG_: ; @_ZN7rocprim17ROCPRIM_400000_NS6detail17trampoline_kernelINS0_14default_configENS1_35radix_sort_onesweep_config_selectorIsNS0_10empty_typeEEEZZNS1_29radix_sort_onesweep_iterationIS3_Lb1EPKsPsPS5_SB_mNS0_19identity_decomposerENS1_16block_id_wrapperIjLb1EEEEE10hipError_tT1_PNSt15iterator_traitsISG_E10value_typeET2_T3_PNSH_ISM_E10value_typeET4_T5_PSR_SS_PNS1_23onesweep_lookback_stateEbbT6_jjT7_P12ihipStream_tbENKUlT_T0_SG_SL_E_clISA_SA_SB_SB_EEDaSZ_S10_SG_SL_EUlSZ_E_NS1_11comp_targetILNS1_3genE8ELNS1_11target_archE1030ELNS1_3gpuE2ELNS1_3repE0EEENS1_47radix_sort_onesweep_sort_config_static_selectorELNS0_4arch9wavefront6targetE0EEEvSG_
; %bb.0:
	.section	.rodata,"a",@progbits
	.p2align	6, 0x0
	.amdhsa_kernel _ZN7rocprim17ROCPRIM_400000_NS6detail17trampoline_kernelINS0_14default_configENS1_35radix_sort_onesweep_config_selectorIsNS0_10empty_typeEEEZZNS1_29radix_sort_onesweep_iterationIS3_Lb1EPKsPsPS5_SB_mNS0_19identity_decomposerENS1_16block_id_wrapperIjLb1EEEEE10hipError_tT1_PNSt15iterator_traitsISG_E10value_typeET2_T3_PNSH_ISM_E10value_typeET4_T5_PSR_SS_PNS1_23onesweep_lookback_stateEbbT6_jjT7_P12ihipStream_tbENKUlT_T0_SG_SL_E_clISA_SA_SB_SB_EEDaSZ_S10_SG_SL_EUlSZ_E_NS1_11comp_targetILNS1_3genE8ELNS1_11target_archE1030ELNS1_3gpuE2ELNS1_3repE0EEENS1_47radix_sort_onesweep_sort_config_static_selectorELNS0_4arch9wavefront6targetE0EEEvSG_
		.amdhsa_group_segment_fixed_size 0
		.amdhsa_private_segment_fixed_size 0
		.amdhsa_kernarg_size 88
		.amdhsa_user_sgpr_count 2
		.amdhsa_user_sgpr_dispatch_ptr 0
		.amdhsa_user_sgpr_queue_ptr 0
		.amdhsa_user_sgpr_kernarg_segment_ptr 1
		.amdhsa_user_sgpr_dispatch_id 0
		.amdhsa_user_sgpr_kernarg_preload_length 0
		.amdhsa_user_sgpr_kernarg_preload_offset 0
		.amdhsa_user_sgpr_private_segment_size 0
		.amdhsa_wavefront_size32 1
		.amdhsa_uses_dynamic_stack 0
		.amdhsa_enable_private_segment 0
		.amdhsa_system_sgpr_workgroup_id_x 1
		.amdhsa_system_sgpr_workgroup_id_y 0
		.amdhsa_system_sgpr_workgroup_id_z 0
		.amdhsa_system_sgpr_workgroup_info 0
		.amdhsa_system_vgpr_workitem_id 0
		.amdhsa_next_free_vgpr 1
		.amdhsa_next_free_sgpr 1
		.amdhsa_named_barrier_count 0
		.amdhsa_reserve_vcc 0
		.amdhsa_float_round_mode_32 0
		.amdhsa_float_round_mode_16_64 0
		.amdhsa_float_denorm_mode_32 3
		.amdhsa_float_denorm_mode_16_64 3
		.amdhsa_fp16_overflow 0
		.amdhsa_memory_ordered 1
		.amdhsa_forward_progress 1
		.amdhsa_inst_pref_size 0
		.amdhsa_round_robin_scheduling 0
		.amdhsa_exception_fp_ieee_invalid_op 0
		.amdhsa_exception_fp_denorm_src 0
		.amdhsa_exception_fp_ieee_div_zero 0
		.amdhsa_exception_fp_ieee_overflow 0
		.amdhsa_exception_fp_ieee_underflow 0
		.amdhsa_exception_fp_ieee_inexact 0
		.amdhsa_exception_int_div_zero 0
	.end_amdhsa_kernel
	.section	.text._ZN7rocprim17ROCPRIM_400000_NS6detail17trampoline_kernelINS0_14default_configENS1_35radix_sort_onesweep_config_selectorIsNS0_10empty_typeEEEZZNS1_29radix_sort_onesweep_iterationIS3_Lb1EPKsPsPS5_SB_mNS0_19identity_decomposerENS1_16block_id_wrapperIjLb1EEEEE10hipError_tT1_PNSt15iterator_traitsISG_E10value_typeET2_T3_PNSH_ISM_E10value_typeET4_T5_PSR_SS_PNS1_23onesweep_lookback_stateEbbT6_jjT7_P12ihipStream_tbENKUlT_T0_SG_SL_E_clISA_SA_SB_SB_EEDaSZ_S10_SG_SL_EUlSZ_E_NS1_11comp_targetILNS1_3genE8ELNS1_11target_archE1030ELNS1_3gpuE2ELNS1_3repE0EEENS1_47radix_sort_onesweep_sort_config_static_selectorELNS0_4arch9wavefront6targetE0EEEvSG_,"axG",@progbits,_ZN7rocprim17ROCPRIM_400000_NS6detail17trampoline_kernelINS0_14default_configENS1_35radix_sort_onesweep_config_selectorIsNS0_10empty_typeEEEZZNS1_29radix_sort_onesweep_iterationIS3_Lb1EPKsPsPS5_SB_mNS0_19identity_decomposerENS1_16block_id_wrapperIjLb1EEEEE10hipError_tT1_PNSt15iterator_traitsISG_E10value_typeET2_T3_PNSH_ISM_E10value_typeET4_T5_PSR_SS_PNS1_23onesweep_lookback_stateEbbT6_jjT7_P12ihipStream_tbENKUlT_T0_SG_SL_E_clISA_SA_SB_SB_EEDaSZ_S10_SG_SL_EUlSZ_E_NS1_11comp_targetILNS1_3genE8ELNS1_11target_archE1030ELNS1_3gpuE2ELNS1_3repE0EEENS1_47radix_sort_onesweep_sort_config_static_selectorELNS0_4arch9wavefront6targetE0EEEvSG_,comdat
.Lfunc_end619:
	.size	_ZN7rocprim17ROCPRIM_400000_NS6detail17trampoline_kernelINS0_14default_configENS1_35radix_sort_onesweep_config_selectorIsNS0_10empty_typeEEEZZNS1_29radix_sort_onesweep_iterationIS3_Lb1EPKsPsPS5_SB_mNS0_19identity_decomposerENS1_16block_id_wrapperIjLb1EEEEE10hipError_tT1_PNSt15iterator_traitsISG_E10value_typeET2_T3_PNSH_ISM_E10value_typeET4_T5_PSR_SS_PNS1_23onesweep_lookback_stateEbbT6_jjT7_P12ihipStream_tbENKUlT_T0_SG_SL_E_clISA_SA_SB_SB_EEDaSZ_S10_SG_SL_EUlSZ_E_NS1_11comp_targetILNS1_3genE8ELNS1_11target_archE1030ELNS1_3gpuE2ELNS1_3repE0EEENS1_47radix_sort_onesweep_sort_config_static_selectorELNS0_4arch9wavefront6targetE0EEEvSG_, .Lfunc_end619-_ZN7rocprim17ROCPRIM_400000_NS6detail17trampoline_kernelINS0_14default_configENS1_35radix_sort_onesweep_config_selectorIsNS0_10empty_typeEEEZZNS1_29radix_sort_onesweep_iterationIS3_Lb1EPKsPsPS5_SB_mNS0_19identity_decomposerENS1_16block_id_wrapperIjLb1EEEEE10hipError_tT1_PNSt15iterator_traitsISG_E10value_typeET2_T3_PNSH_ISM_E10value_typeET4_T5_PSR_SS_PNS1_23onesweep_lookback_stateEbbT6_jjT7_P12ihipStream_tbENKUlT_T0_SG_SL_E_clISA_SA_SB_SB_EEDaSZ_S10_SG_SL_EUlSZ_E_NS1_11comp_targetILNS1_3genE8ELNS1_11target_archE1030ELNS1_3gpuE2ELNS1_3repE0EEENS1_47radix_sort_onesweep_sort_config_static_selectorELNS0_4arch9wavefront6targetE0EEEvSG_
                                        ; -- End function
	.set _ZN7rocprim17ROCPRIM_400000_NS6detail17trampoline_kernelINS0_14default_configENS1_35radix_sort_onesweep_config_selectorIsNS0_10empty_typeEEEZZNS1_29radix_sort_onesweep_iterationIS3_Lb1EPKsPsPS5_SB_mNS0_19identity_decomposerENS1_16block_id_wrapperIjLb1EEEEE10hipError_tT1_PNSt15iterator_traitsISG_E10value_typeET2_T3_PNSH_ISM_E10value_typeET4_T5_PSR_SS_PNS1_23onesweep_lookback_stateEbbT6_jjT7_P12ihipStream_tbENKUlT_T0_SG_SL_E_clISA_SA_SB_SB_EEDaSZ_S10_SG_SL_EUlSZ_E_NS1_11comp_targetILNS1_3genE8ELNS1_11target_archE1030ELNS1_3gpuE2ELNS1_3repE0EEENS1_47radix_sort_onesweep_sort_config_static_selectorELNS0_4arch9wavefront6targetE0EEEvSG_.num_vgpr, 0
	.set _ZN7rocprim17ROCPRIM_400000_NS6detail17trampoline_kernelINS0_14default_configENS1_35radix_sort_onesweep_config_selectorIsNS0_10empty_typeEEEZZNS1_29radix_sort_onesweep_iterationIS3_Lb1EPKsPsPS5_SB_mNS0_19identity_decomposerENS1_16block_id_wrapperIjLb1EEEEE10hipError_tT1_PNSt15iterator_traitsISG_E10value_typeET2_T3_PNSH_ISM_E10value_typeET4_T5_PSR_SS_PNS1_23onesweep_lookback_stateEbbT6_jjT7_P12ihipStream_tbENKUlT_T0_SG_SL_E_clISA_SA_SB_SB_EEDaSZ_S10_SG_SL_EUlSZ_E_NS1_11comp_targetILNS1_3genE8ELNS1_11target_archE1030ELNS1_3gpuE2ELNS1_3repE0EEENS1_47radix_sort_onesweep_sort_config_static_selectorELNS0_4arch9wavefront6targetE0EEEvSG_.num_agpr, 0
	.set _ZN7rocprim17ROCPRIM_400000_NS6detail17trampoline_kernelINS0_14default_configENS1_35radix_sort_onesweep_config_selectorIsNS0_10empty_typeEEEZZNS1_29radix_sort_onesweep_iterationIS3_Lb1EPKsPsPS5_SB_mNS0_19identity_decomposerENS1_16block_id_wrapperIjLb1EEEEE10hipError_tT1_PNSt15iterator_traitsISG_E10value_typeET2_T3_PNSH_ISM_E10value_typeET4_T5_PSR_SS_PNS1_23onesweep_lookback_stateEbbT6_jjT7_P12ihipStream_tbENKUlT_T0_SG_SL_E_clISA_SA_SB_SB_EEDaSZ_S10_SG_SL_EUlSZ_E_NS1_11comp_targetILNS1_3genE8ELNS1_11target_archE1030ELNS1_3gpuE2ELNS1_3repE0EEENS1_47radix_sort_onesweep_sort_config_static_selectorELNS0_4arch9wavefront6targetE0EEEvSG_.numbered_sgpr, 0
	.set _ZN7rocprim17ROCPRIM_400000_NS6detail17trampoline_kernelINS0_14default_configENS1_35radix_sort_onesweep_config_selectorIsNS0_10empty_typeEEEZZNS1_29radix_sort_onesweep_iterationIS3_Lb1EPKsPsPS5_SB_mNS0_19identity_decomposerENS1_16block_id_wrapperIjLb1EEEEE10hipError_tT1_PNSt15iterator_traitsISG_E10value_typeET2_T3_PNSH_ISM_E10value_typeET4_T5_PSR_SS_PNS1_23onesweep_lookback_stateEbbT6_jjT7_P12ihipStream_tbENKUlT_T0_SG_SL_E_clISA_SA_SB_SB_EEDaSZ_S10_SG_SL_EUlSZ_E_NS1_11comp_targetILNS1_3genE8ELNS1_11target_archE1030ELNS1_3gpuE2ELNS1_3repE0EEENS1_47radix_sort_onesweep_sort_config_static_selectorELNS0_4arch9wavefront6targetE0EEEvSG_.num_named_barrier, 0
	.set _ZN7rocprim17ROCPRIM_400000_NS6detail17trampoline_kernelINS0_14default_configENS1_35radix_sort_onesweep_config_selectorIsNS0_10empty_typeEEEZZNS1_29radix_sort_onesweep_iterationIS3_Lb1EPKsPsPS5_SB_mNS0_19identity_decomposerENS1_16block_id_wrapperIjLb1EEEEE10hipError_tT1_PNSt15iterator_traitsISG_E10value_typeET2_T3_PNSH_ISM_E10value_typeET4_T5_PSR_SS_PNS1_23onesweep_lookback_stateEbbT6_jjT7_P12ihipStream_tbENKUlT_T0_SG_SL_E_clISA_SA_SB_SB_EEDaSZ_S10_SG_SL_EUlSZ_E_NS1_11comp_targetILNS1_3genE8ELNS1_11target_archE1030ELNS1_3gpuE2ELNS1_3repE0EEENS1_47radix_sort_onesweep_sort_config_static_selectorELNS0_4arch9wavefront6targetE0EEEvSG_.private_seg_size, 0
	.set _ZN7rocprim17ROCPRIM_400000_NS6detail17trampoline_kernelINS0_14default_configENS1_35radix_sort_onesweep_config_selectorIsNS0_10empty_typeEEEZZNS1_29radix_sort_onesweep_iterationIS3_Lb1EPKsPsPS5_SB_mNS0_19identity_decomposerENS1_16block_id_wrapperIjLb1EEEEE10hipError_tT1_PNSt15iterator_traitsISG_E10value_typeET2_T3_PNSH_ISM_E10value_typeET4_T5_PSR_SS_PNS1_23onesweep_lookback_stateEbbT6_jjT7_P12ihipStream_tbENKUlT_T0_SG_SL_E_clISA_SA_SB_SB_EEDaSZ_S10_SG_SL_EUlSZ_E_NS1_11comp_targetILNS1_3genE8ELNS1_11target_archE1030ELNS1_3gpuE2ELNS1_3repE0EEENS1_47radix_sort_onesweep_sort_config_static_selectorELNS0_4arch9wavefront6targetE0EEEvSG_.uses_vcc, 0
	.set _ZN7rocprim17ROCPRIM_400000_NS6detail17trampoline_kernelINS0_14default_configENS1_35radix_sort_onesweep_config_selectorIsNS0_10empty_typeEEEZZNS1_29radix_sort_onesweep_iterationIS3_Lb1EPKsPsPS5_SB_mNS0_19identity_decomposerENS1_16block_id_wrapperIjLb1EEEEE10hipError_tT1_PNSt15iterator_traitsISG_E10value_typeET2_T3_PNSH_ISM_E10value_typeET4_T5_PSR_SS_PNS1_23onesweep_lookback_stateEbbT6_jjT7_P12ihipStream_tbENKUlT_T0_SG_SL_E_clISA_SA_SB_SB_EEDaSZ_S10_SG_SL_EUlSZ_E_NS1_11comp_targetILNS1_3genE8ELNS1_11target_archE1030ELNS1_3gpuE2ELNS1_3repE0EEENS1_47radix_sort_onesweep_sort_config_static_selectorELNS0_4arch9wavefront6targetE0EEEvSG_.uses_flat_scratch, 0
	.set _ZN7rocprim17ROCPRIM_400000_NS6detail17trampoline_kernelINS0_14default_configENS1_35radix_sort_onesweep_config_selectorIsNS0_10empty_typeEEEZZNS1_29radix_sort_onesweep_iterationIS3_Lb1EPKsPsPS5_SB_mNS0_19identity_decomposerENS1_16block_id_wrapperIjLb1EEEEE10hipError_tT1_PNSt15iterator_traitsISG_E10value_typeET2_T3_PNSH_ISM_E10value_typeET4_T5_PSR_SS_PNS1_23onesweep_lookback_stateEbbT6_jjT7_P12ihipStream_tbENKUlT_T0_SG_SL_E_clISA_SA_SB_SB_EEDaSZ_S10_SG_SL_EUlSZ_E_NS1_11comp_targetILNS1_3genE8ELNS1_11target_archE1030ELNS1_3gpuE2ELNS1_3repE0EEENS1_47radix_sort_onesweep_sort_config_static_selectorELNS0_4arch9wavefront6targetE0EEEvSG_.has_dyn_sized_stack, 0
	.set _ZN7rocprim17ROCPRIM_400000_NS6detail17trampoline_kernelINS0_14default_configENS1_35radix_sort_onesweep_config_selectorIsNS0_10empty_typeEEEZZNS1_29radix_sort_onesweep_iterationIS3_Lb1EPKsPsPS5_SB_mNS0_19identity_decomposerENS1_16block_id_wrapperIjLb1EEEEE10hipError_tT1_PNSt15iterator_traitsISG_E10value_typeET2_T3_PNSH_ISM_E10value_typeET4_T5_PSR_SS_PNS1_23onesweep_lookback_stateEbbT6_jjT7_P12ihipStream_tbENKUlT_T0_SG_SL_E_clISA_SA_SB_SB_EEDaSZ_S10_SG_SL_EUlSZ_E_NS1_11comp_targetILNS1_3genE8ELNS1_11target_archE1030ELNS1_3gpuE2ELNS1_3repE0EEENS1_47radix_sort_onesweep_sort_config_static_selectorELNS0_4arch9wavefront6targetE0EEEvSG_.has_recursion, 0
	.set _ZN7rocprim17ROCPRIM_400000_NS6detail17trampoline_kernelINS0_14default_configENS1_35radix_sort_onesweep_config_selectorIsNS0_10empty_typeEEEZZNS1_29radix_sort_onesweep_iterationIS3_Lb1EPKsPsPS5_SB_mNS0_19identity_decomposerENS1_16block_id_wrapperIjLb1EEEEE10hipError_tT1_PNSt15iterator_traitsISG_E10value_typeET2_T3_PNSH_ISM_E10value_typeET4_T5_PSR_SS_PNS1_23onesweep_lookback_stateEbbT6_jjT7_P12ihipStream_tbENKUlT_T0_SG_SL_E_clISA_SA_SB_SB_EEDaSZ_S10_SG_SL_EUlSZ_E_NS1_11comp_targetILNS1_3genE8ELNS1_11target_archE1030ELNS1_3gpuE2ELNS1_3repE0EEENS1_47radix_sort_onesweep_sort_config_static_selectorELNS0_4arch9wavefront6targetE0EEEvSG_.has_indirect_call, 0
	.section	.AMDGPU.csdata,"",@progbits
; Kernel info:
; codeLenInByte = 0
; TotalNumSgprs: 0
; NumVgprs: 0
; ScratchSize: 0
; MemoryBound: 0
; FloatMode: 240
; IeeeMode: 1
; LDSByteSize: 0 bytes/workgroup (compile time only)
; SGPRBlocks: 0
; VGPRBlocks: 0
; NumSGPRsForWavesPerEU: 1
; NumVGPRsForWavesPerEU: 1
; NamedBarCnt: 0
; Occupancy: 16
; WaveLimiterHint : 0
; COMPUTE_PGM_RSRC2:SCRATCH_EN: 0
; COMPUTE_PGM_RSRC2:USER_SGPR: 2
; COMPUTE_PGM_RSRC2:TRAP_HANDLER: 0
; COMPUTE_PGM_RSRC2:TGID_X_EN: 1
; COMPUTE_PGM_RSRC2:TGID_Y_EN: 0
; COMPUTE_PGM_RSRC2:TGID_Z_EN: 0
; COMPUTE_PGM_RSRC2:TIDIG_COMP_CNT: 0
	.section	.text._ZN7rocprim17ROCPRIM_400000_NS6detail17trampoline_kernelINS0_14default_configENS1_35radix_sort_onesweep_config_selectorIsNS0_10empty_typeEEEZZNS1_29radix_sort_onesweep_iterationIS3_Lb1EPKsPsPS5_SB_mNS0_19identity_decomposerENS1_16block_id_wrapperIjLb0EEEEE10hipError_tT1_PNSt15iterator_traitsISG_E10value_typeET2_T3_PNSH_ISM_E10value_typeET4_T5_PSR_SS_PNS1_23onesweep_lookback_stateEbbT6_jjT7_P12ihipStream_tbENKUlT_T0_SG_SL_E_clIS9_SA_SB_SB_EEDaSZ_S10_SG_SL_EUlSZ_E_NS1_11comp_targetILNS1_3genE0ELNS1_11target_archE4294967295ELNS1_3gpuE0ELNS1_3repE0EEENS1_47radix_sort_onesweep_sort_config_static_selectorELNS0_4arch9wavefront6targetE0EEEvSG_,"axG",@progbits,_ZN7rocprim17ROCPRIM_400000_NS6detail17trampoline_kernelINS0_14default_configENS1_35radix_sort_onesweep_config_selectorIsNS0_10empty_typeEEEZZNS1_29radix_sort_onesweep_iterationIS3_Lb1EPKsPsPS5_SB_mNS0_19identity_decomposerENS1_16block_id_wrapperIjLb0EEEEE10hipError_tT1_PNSt15iterator_traitsISG_E10value_typeET2_T3_PNSH_ISM_E10value_typeET4_T5_PSR_SS_PNS1_23onesweep_lookback_stateEbbT6_jjT7_P12ihipStream_tbENKUlT_T0_SG_SL_E_clIS9_SA_SB_SB_EEDaSZ_S10_SG_SL_EUlSZ_E_NS1_11comp_targetILNS1_3genE0ELNS1_11target_archE4294967295ELNS1_3gpuE0ELNS1_3repE0EEENS1_47radix_sort_onesweep_sort_config_static_selectorELNS0_4arch9wavefront6targetE0EEEvSG_,comdat
	.protected	_ZN7rocprim17ROCPRIM_400000_NS6detail17trampoline_kernelINS0_14default_configENS1_35radix_sort_onesweep_config_selectorIsNS0_10empty_typeEEEZZNS1_29radix_sort_onesweep_iterationIS3_Lb1EPKsPsPS5_SB_mNS0_19identity_decomposerENS1_16block_id_wrapperIjLb0EEEEE10hipError_tT1_PNSt15iterator_traitsISG_E10value_typeET2_T3_PNSH_ISM_E10value_typeET4_T5_PSR_SS_PNS1_23onesweep_lookback_stateEbbT6_jjT7_P12ihipStream_tbENKUlT_T0_SG_SL_E_clIS9_SA_SB_SB_EEDaSZ_S10_SG_SL_EUlSZ_E_NS1_11comp_targetILNS1_3genE0ELNS1_11target_archE4294967295ELNS1_3gpuE0ELNS1_3repE0EEENS1_47radix_sort_onesweep_sort_config_static_selectorELNS0_4arch9wavefront6targetE0EEEvSG_ ; -- Begin function _ZN7rocprim17ROCPRIM_400000_NS6detail17trampoline_kernelINS0_14default_configENS1_35radix_sort_onesweep_config_selectorIsNS0_10empty_typeEEEZZNS1_29radix_sort_onesweep_iterationIS3_Lb1EPKsPsPS5_SB_mNS0_19identity_decomposerENS1_16block_id_wrapperIjLb0EEEEE10hipError_tT1_PNSt15iterator_traitsISG_E10value_typeET2_T3_PNSH_ISM_E10value_typeET4_T5_PSR_SS_PNS1_23onesweep_lookback_stateEbbT6_jjT7_P12ihipStream_tbENKUlT_T0_SG_SL_E_clIS9_SA_SB_SB_EEDaSZ_S10_SG_SL_EUlSZ_E_NS1_11comp_targetILNS1_3genE0ELNS1_11target_archE4294967295ELNS1_3gpuE0ELNS1_3repE0EEENS1_47radix_sort_onesweep_sort_config_static_selectorELNS0_4arch9wavefront6targetE0EEEvSG_
	.globl	_ZN7rocprim17ROCPRIM_400000_NS6detail17trampoline_kernelINS0_14default_configENS1_35radix_sort_onesweep_config_selectorIsNS0_10empty_typeEEEZZNS1_29radix_sort_onesweep_iterationIS3_Lb1EPKsPsPS5_SB_mNS0_19identity_decomposerENS1_16block_id_wrapperIjLb0EEEEE10hipError_tT1_PNSt15iterator_traitsISG_E10value_typeET2_T3_PNSH_ISM_E10value_typeET4_T5_PSR_SS_PNS1_23onesweep_lookback_stateEbbT6_jjT7_P12ihipStream_tbENKUlT_T0_SG_SL_E_clIS9_SA_SB_SB_EEDaSZ_S10_SG_SL_EUlSZ_E_NS1_11comp_targetILNS1_3genE0ELNS1_11target_archE4294967295ELNS1_3gpuE0ELNS1_3repE0EEENS1_47radix_sort_onesweep_sort_config_static_selectorELNS0_4arch9wavefront6targetE0EEEvSG_
	.p2align	8
	.type	_ZN7rocprim17ROCPRIM_400000_NS6detail17trampoline_kernelINS0_14default_configENS1_35radix_sort_onesweep_config_selectorIsNS0_10empty_typeEEEZZNS1_29radix_sort_onesweep_iterationIS3_Lb1EPKsPsPS5_SB_mNS0_19identity_decomposerENS1_16block_id_wrapperIjLb0EEEEE10hipError_tT1_PNSt15iterator_traitsISG_E10value_typeET2_T3_PNSH_ISM_E10value_typeET4_T5_PSR_SS_PNS1_23onesweep_lookback_stateEbbT6_jjT7_P12ihipStream_tbENKUlT_T0_SG_SL_E_clIS9_SA_SB_SB_EEDaSZ_S10_SG_SL_EUlSZ_E_NS1_11comp_targetILNS1_3genE0ELNS1_11target_archE4294967295ELNS1_3gpuE0ELNS1_3repE0EEENS1_47radix_sort_onesweep_sort_config_static_selectorELNS0_4arch9wavefront6targetE0EEEvSG_,@function
_ZN7rocprim17ROCPRIM_400000_NS6detail17trampoline_kernelINS0_14default_configENS1_35radix_sort_onesweep_config_selectorIsNS0_10empty_typeEEEZZNS1_29radix_sort_onesweep_iterationIS3_Lb1EPKsPsPS5_SB_mNS0_19identity_decomposerENS1_16block_id_wrapperIjLb0EEEEE10hipError_tT1_PNSt15iterator_traitsISG_E10value_typeET2_T3_PNSH_ISM_E10value_typeET4_T5_PSR_SS_PNS1_23onesweep_lookback_stateEbbT6_jjT7_P12ihipStream_tbENKUlT_T0_SG_SL_E_clIS9_SA_SB_SB_EEDaSZ_S10_SG_SL_EUlSZ_E_NS1_11comp_targetILNS1_3genE0ELNS1_11target_archE4294967295ELNS1_3gpuE0ELNS1_3repE0EEENS1_47radix_sort_onesweep_sort_config_static_selectorELNS0_4arch9wavefront6targetE0EEEvSG_: ; @_ZN7rocprim17ROCPRIM_400000_NS6detail17trampoline_kernelINS0_14default_configENS1_35radix_sort_onesweep_config_selectorIsNS0_10empty_typeEEEZZNS1_29radix_sort_onesweep_iterationIS3_Lb1EPKsPsPS5_SB_mNS0_19identity_decomposerENS1_16block_id_wrapperIjLb0EEEEE10hipError_tT1_PNSt15iterator_traitsISG_E10value_typeET2_T3_PNSH_ISM_E10value_typeET4_T5_PSR_SS_PNS1_23onesweep_lookback_stateEbbT6_jjT7_P12ihipStream_tbENKUlT_T0_SG_SL_E_clIS9_SA_SB_SB_EEDaSZ_S10_SG_SL_EUlSZ_E_NS1_11comp_targetILNS1_3genE0ELNS1_11target_archE4294967295ELNS1_3gpuE0ELNS1_3repE0EEENS1_47radix_sort_onesweep_sort_config_static_selectorELNS0_4arch9wavefront6targetE0EEEvSG_
; %bb.0:
	s_clause 0x3
	s_load_b96 s[20:22], s[0:1], 0x44
	s_load_b64 s[10:11], s[0:1], 0x38
	s_load_b128 s[16:19], s[0:1], 0x0
	s_load_b128 s[12:15], s[0:1], 0x28
	s_bfe_u32 s2, ttmp6, 0x4000c
	s_and_b32 s3, ttmp6, 15
	s_add_co_i32 s2, s2, 1
	s_getreg_b32 s4, hwreg(HW_REG_IB_STS2, 6, 4)
	s_mul_i32 s5, ttmp9, s2
	v_mbcnt_lo_u32_b32 v14, -1, 0
	s_add_co_i32 s3, s3, s5
	s_cmp_eq_u32 s4, 0
	v_and_b32_e32 v15, 0x1e0, v0
	s_cselect_b32 s9, ttmp9, s3
	s_mov_b32 s25, 0
	s_mov_b32 s2, -1
	s_mul_i32 s24, s9, 0x1800
	s_add_nc_u64 s[26:27], s[0:1], 0x58
	s_wait_kmcnt 0x0
	s_cmp_ge_u32 s9, s22
	s_cbranch_scc0 .LBB620_96
; %bb.1:
	s_load_b32 s4, s[0:1], 0x20
	v_dual_mov_b32 v9, 0 :: v_dual_lshlrev_b32 v8, 1, v14
	s_lshl_b64 s[2:3], s[24:25], 1
	v_mul_u32_u24_e32 v1, 12, v15
	s_add_nc_u64 s[2:3], s[16:17], s[2:3]
	v_mov_b32_e32 v2, 0x80008000
	v_add_nc_u64_e32 v[10:11], s[2:3], v[8:9]
	s_mul_i32 s5, s22, 0xffffe800
	v_dual_lshlrev_b32 v8, 1, v1 :: v_dual_bitop2_b32 v1, v14, v1 bitop3:0x54
	s_delay_alu instid0(VALU_DEP_3) | instskip(SKIP_1) | instid1(VALU_DEP_3)
	v_dual_mov_b32 v3, v2 :: v_dual_mov_b32 v4, v2
	v_dual_mov_b32 v5, v2 :: v_dual_mov_b32 v6, v2
	v_add_nc_u64_e32 v[10:11], v[10:11], v[8:9]
	v_mov_b32_e32 v7, v2
	s_mov_b32 s2, exec_lo
	s_wait_kmcnt 0x0
	s_add_co_i32 s22, s4, s5
	s_delay_alu instid0(SALU_CYCLE_1)
	v_cmpx_gt_u32_e64 s22, v1
	s_cbranch_execz .LBB620_3
; %bb.2:
	global_load_u16 v3, v[10:11], off
	s_movk_i32 s3, 0x8000
	v_dual_mov_b32 v5, v2 :: v_dual_mov_b32 v6, v2
	v_dual_mov_b32 v7, v2 :: v_dual_mov_b32 v8, v2
	v_mov_b32_e32 v9, v2
	s_wait_loadcnt 0x0
	v_perm_b32 v4, s3, v3, 0x5040100
	s_delay_alu instid0(VALU_DEP_1)
	v_mov_b64_e32 v[2:3], v[4:5]
	v_mov_b64_e32 v[4:5], v[6:7]
	;; [unrolled: 1-line block ×4, first 2 shown]
.LBB620_3:
	s_or_b32 exec_lo, exec_lo, s2
	v_or_b32_e32 v8, 32, v1
	s_mov_b32 s2, exec_lo
	s_delay_alu instid0(VALU_DEP_1)
	v_cmpx_gt_u32_e64 s22, v8
	s_cbranch_execz .LBB620_5
; %bb.4:
	global_load_u16 v8, v[10:11], off offset:64
	s_wait_loadcnt 0x0
	v_perm_b32 v2, v8, v2, 0x5040100
.LBB620_5:
	s_or_b32 exec_lo, exec_lo, s2
	v_or_b32_e32 v8, 64, v1
	s_mov_b32 s2, exec_lo
	s_delay_alu instid0(VALU_DEP_1)
	v_cmpx_gt_u32_e64 s22, v8
	s_cbranch_execz .LBB620_7
; %bb.6:
	global_load_u16 v8, v[10:11], off offset:128
	s_wait_loadcnt 0x0
	v_bfi_b32 v3, 0xffff, v8, v3
.LBB620_7:
	s_or_b32 exec_lo, exec_lo, s2
	v_or_b32_e32 v8, 0x60, v1
	s_mov_b32 s2, exec_lo
	s_delay_alu instid0(VALU_DEP_1)
	v_cmpx_gt_u32_e64 s22, v8
	s_cbranch_execz .LBB620_9
; %bb.8:
	global_load_u16 v8, v[10:11], off offset:192
	s_wait_loadcnt 0x0
	v_perm_b32 v3, v8, v3, 0x5040100
.LBB620_9:
	s_or_b32 exec_lo, exec_lo, s2
	v_add_nc_u32_e32 v8, 0x80, v1
	s_mov_b32 s2, exec_lo
	s_delay_alu instid0(VALU_DEP_1)
	v_cmpx_gt_u32_e64 s22, v8
	s_cbranch_execz .LBB620_11
; %bb.10:
	global_load_u16 v8, v[10:11], off offset:256
	s_wait_loadcnt 0x0
	v_bfi_b32 v4, 0xffff, v8, v4
.LBB620_11:
	s_or_b32 exec_lo, exec_lo, s2
	v_add_nc_u32_e32 v8, 0xa0, v1
	s_mov_b32 s2, exec_lo
	s_delay_alu instid0(VALU_DEP_1)
	v_cmpx_gt_u32_e64 s22, v8
	s_cbranch_execz .LBB620_13
; %bb.12:
	global_load_u16 v8, v[10:11], off offset:320
	s_wait_loadcnt 0x0
	v_perm_b32 v4, v8, v4, 0x5040100
.LBB620_13:
	s_or_b32 exec_lo, exec_lo, s2
	v_add_nc_u32_e32 v8, 0xc0, v1
	s_mov_b32 s2, exec_lo
	s_delay_alu instid0(VALU_DEP_1)
	v_cmpx_gt_u32_e64 s22, v8
	s_cbranch_execz .LBB620_15
; %bb.14:
	global_load_u16 v8, v[10:11], off offset:384
	s_wait_loadcnt 0x0
	v_bfi_b32 v5, 0xffff, v8, v5
.LBB620_15:
	s_or_b32 exec_lo, exec_lo, s2
	v_add_nc_u32_e32 v8, 0xe0, v1
	;; [unrolled: 22-line block ×4, first 2 shown]
	v_and_b32_e32 v1, 0x3ff, v0
	s_mov_b32 s2, exec_lo
	s_delay_alu instid0(VALU_DEP_2)
	v_cmpx_gt_u32_e64 s22, v8
	s_cbranch_execz .LBB620_25
; %bb.24:
	global_load_u16 v8, v[10:11], off offset:704
	s_wait_loadcnt 0x0
	v_perm_b32 v7, v8, v7, 0x5040100
.LBB620_25:
	s_or_b32 exec_lo, exec_lo, s2
	s_clause 0x1
	s_load_b32 s23, s[0:1], 0x58
	s_load_u16 s4, s[0:1], 0x66
	v_xor_b32_e32 v10, 0x7fff, v2
	v_bfe_u32 v9, v0, 10, 10
	v_bfe_u32 v11, v0, 20, 10
	s_mov_b32 s3, 0
	s_delay_alu instid0(VALU_DEP_3) | instskip(NEXT) | instid1(VALU_DEP_1)
	v_and_b32_e32 v8, 0xffff, v10
	v_lshrrev_b32_e32 v8, s20, v8
	s_wait_kmcnt 0x0
	s_cmp_lt_u32 s9, s23
	v_mad_u32_u24 v9, v11, s4, v9
	s_cselect_b32 s2, 12, 18
	s_lshl_b32 s25, -1, s21
	s_add_nc_u64 s[2:3], s[26:27], s[2:3]
	v_bitop3_b32 v11, v8, 1, s25 bitop3:0x40
	v_bitop3_b32 v12, v8, s25, v8 bitop3:0x30
	s_load_u16 s28, s[2:3], 0x0
	s_not_b32 s25, s25
	s_wait_xcnt 0x0
	v_add_co_u32 v8, s2, v11, -1
	s_delay_alu instid0(VALU_DEP_1) | instskip(SKIP_2) | instid1(VALU_DEP_3)
	v_cndmask_b32_e64 v11, 0, 1, s2
	v_dual_lshlrev_b32 v13, 30, v12 :: v_dual_lshlrev_b32 v16, 29, v12
	v_dual_lshlrev_b32 v17, 28, v12 :: v_dual_lshlrev_b32 v18, 27, v12
	v_cmp_ne_u32_e32 vcc_lo, 0, v11
	s_delay_alu instid0(VALU_DEP_3)
	v_not_b32_e32 v11, v13
	v_dual_lshlrev_b32 v19, 26, v12 :: v_dual_lshlrev_b32 v20, 25, v12
	v_cmp_gt_i32_e64 s2, 0, v13
	v_cmp_gt_i32_e64 s3, 0, v16
	v_not_b32_e32 v13, v16
	v_not_b32_e32 v16, v17
	v_dual_ashrrev_i32 v11, 31, v11 :: v_dual_lshlrev_b32 v21, 24, v12
	v_cmp_gt_i32_e64 s4, 0, v17
	v_cmp_gt_i32_e64 s5, 0, v18
	v_not_b32_e32 v17, v18
	v_not_b32_e32 v18, v19
	v_dual_ashrrev_i32 v13, 31, v13 :: v_dual_bitop2_b32 v8, vcc_lo, v8 bitop3:0x14
	v_dual_ashrrev_i32 v16, 31, v16 :: v_dual_bitop2_b32 v11, s2, v11 bitop3:0x14
	v_cmp_gt_i32_e64 s6, 0, v19
	v_not_b32_e32 v19, v20
	v_dual_ashrrev_i32 v17, 31, v17 :: v_dual_ashrrev_i32 v18, 31, v18
	v_xor_b32_e32 v13, s3, v13
	s_delay_alu instid0(VALU_DEP_3)
	v_dual_ashrrev_i32 v19, 31, v19 :: v_dual_bitop2_b32 v16, s4, v16 bitop3:0x14
	v_bitop3_b32 v8, v8, v11, exec_lo bitop3:0x80
	v_not_b32_e32 v11, v21
	v_cmp_gt_i32_e64 s7, 0, v20
	v_cmp_gt_i32_e64 s8, 0, v21
	v_xor_b32_e32 v17, s5, v17
	v_xor_b32_e32 v18, s6, v18
	v_bitop3_b32 v8, v8, v16, v13 bitop3:0x80
	v_ashrrev_i32_e32 v11, 31, v11
	s_wait_kmcnt 0x0
	v_mad_u32 v20, v9, s28, v1
	v_dual_mov_b32 v16, 0 :: v_dual_bitop2_b32 v19, s7, v19 bitop3:0x14
	v_bitop3_b32 v8, v8, v18, v17 bitop3:0x80
	v_mul_u32_u24_e32 v12, 0x44, v12
	v_xor_b32_e32 v9, s8, v11
	v_mul_u32_u24_e32 v13, 36, v1
	ds_store_2addr_b32 v13, v16, v16 offset0:16 offset1:17
	ds_store_2addr_b32 v13, v16, v16 offset0:18 offset1:19
	;; [unrolled: 1-line block ×4, first 2 shown]
	v_bitop3_b32 v9, v8, v9, v19 bitop3:0x80
	v_lshrrev_b32_e32 v8, 3, v20
	ds_store_b32 v13, v16 offset:96
	s_wait_dscnt 0x0
	s_barrier_signal -1
	v_mbcnt_lo_u32_b32 v11, v9, 0
	v_and_b32_e32 v8, 0x1ffffffc, v8
	v_cmp_ne_u32_e64 s2, 0, v9
	s_barrier_wait -1
	s_delay_alu instid0(VALU_DEP_3) | instskip(NEXT) | instid1(VALU_DEP_3)
	v_cmp_eq_u32_e32 vcc_lo, 0, v11
	v_add_nc_u32_e32 v16, v8, v12
	; wave barrier
	s_and_b32 s3, s2, vcc_lo
	s_delay_alu instid0(SALU_CYCLE_1)
	s_and_saveexec_b32 s2, s3
; %bb.26:
	v_bcnt_u32_b32 v9, v9, 0
	ds_store_b32 v16, v9 offset:64
; %bb.27:
	s_or_b32 exec_lo, exec_lo, s2
	v_lshrrev_b32_e32 v2, 16, v2
	; wave barrier
	s_delay_alu instid0(VALU_DEP_1) | instskip(NEXT) | instid1(VALU_DEP_1)
	v_xor_b32_e32 v12, 0x7fff, v2
	v_and_b32_e32 v2, 0xffff, v12
	s_delay_alu instid0(VALU_DEP_1) | instskip(NEXT) | instid1(VALU_DEP_1)
	v_lshrrev_b32_e32 v2, s20, v2
	v_and_b32_e32 v17, s25, v2
	s_delay_alu instid0(VALU_DEP_1) | instskip(SKIP_2) | instid1(VALU_DEP_3)
	v_lshlrev_b32_e32 v19, 29, v17
	v_bitop3_b32 v9, v2, 1, s25 bitop3:0x80
	v_lshlrev_b32_e32 v18, 30, v17
	v_cmp_gt_i32_e64 s3, 0, v19
	s_delay_alu instid0(VALU_DEP_3) | instskip(NEXT) | instid1(VALU_DEP_1)
	v_add_co_u32 v2, s2, v9, -1
	v_cndmask_b32_e64 v9, 0, 1, s2
	s_delay_alu instid0(VALU_DEP_4) | instskip(NEXT) | instid1(VALU_DEP_2)
	v_cmp_gt_i32_e64 s2, 0, v18
	v_cmp_ne_u32_e32 vcc_lo, 0, v9
	v_not_b32_e32 v9, v18
	v_not_b32_e32 v18, v19
	s_delay_alu instid0(VALU_DEP_2) | instskip(SKIP_3) | instid1(VALU_DEP_3)
	v_dual_ashrrev_i32 v9, 31, v9 :: v_dual_bitop2_b32 v2, vcc_lo, v2 bitop3:0x14
	v_dual_lshlrev_b32 v20, 28, v17 :: v_dual_lshlrev_b32 v21, 27, v17
	v_dual_lshlrev_b32 v22, 26, v17 :: v_dual_lshlrev_b32 v23, 25, v17
	v_lshlrev_b32_e32 v24, 24, v17
	v_not_b32_e32 v19, v20
	v_cmp_gt_i32_e64 s4, 0, v20
	v_cmp_gt_i32_e64 s5, 0, v21
	v_not_b32_e32 v20, v21
	v_not_b32_e32 v21, v22
	v_dual_ashrrev_i32 v18, 31, v18 :: v_dual_ashrrev_i32 v19, 31, v19
	s_delay_alu instid0(VALU_DEP_3)
	v_dual_ashrrev_i32 v20, 31, v20 :: v_dual_bitop2_b32 v9, s2, v9 bitop3:0x14
	v_cmp_gt_i32_e64 s6, 0, v22
	v_cmp_gt_i32_e64 s7, 0, v23
	v_not_b32_e32 v22, v23
	v_not_b32_e32 v23, v24
	v_dual_ashrrev_i32 v21, 31, v21 :: v_dual_bitop2_b32 v18, s3, v18 bitop3:0x14
	v_xor_b32_e32 v19, s4, v19
	v_bitop3_b32 v2, v2, v9, exec_lo bitop3:0x80
	v_cmp_gt_i32_e64 s8, 0, v24
	v_dual_ashrrev_i32 v9, 31, v22 :: v_dual_ashrrev_i32 v22, 31, v23
	v_xor_b32_e32 v20, s5, v20
	v_xor_b32_e32 v21, s6, v21
	v_bitop3_b32 v2, v2, v19, v18 bitop3:0x80
	v_mad_u32_u24 v18, 0x44, v17, v8
	v_xor_b32_e32 v9, s7, v9
	v_xor_b32_e32 v19, s8, v22
	s_delay_alu instid0(VALU_DEP_4) | instskip(SKIP_3) | instid1(VALU_DEP_2)
	v_bitop3_b32 v2, v2, v21, v20 bitop3:0x80
	ds_load_b32 v18, v18 offset:64
	; wave barrier
	v_bitop3_b32 v2, v2, v19, v9 bitop3:0x80
	v_mul_u32_u24_e32 v9, 0x44, v17
	v_mbcnt_lo_u32_b32 v19, v2, 0
	v_cmp_ne_u32_e64 s2, 0, v2
	s_delay_alu instid0(VALU_DEP_3) | instskip(NEXT) | instid1(VALU_DEP_3)
	v_add_nc_u32_e32 v20, v8, v9
	v_cmp_eq_u32_e32 vcc_lo, 0, v19
	s_and_b32 s3, s2, vcc_lo
	s_delay_alu instid0(SALU_CYCLE_1)
	s_and_saveexec_b32 s2, s3
	s_cbranch_execz .LBB620_29
; %bb.28:
	s_wait_dscnt 0x0
	v_bcnt_u32_b32 v2, v2, v18
	ds_store_b32 v20, v2 offset:64
.LBB620_29:
	s_or_b32 exec_lo, exec_lo, s2
	v_xor_b32_e32 v17, 0x7fff, v3
	; wave barrier
	s_delay_alu instid0(VALU_DEP_1) | instskip(NEXT) | instid1(VALU_DEP_1)
	v_and_b32_e32 v2, 0xffff, v17
	v_lshrrev_b32_e32 v2, s20, v2
	s_delay_alu instid0(VALU_DEP_1) | instskip(NEXT) | instid1(VALU_DEP_1)
	v_and_b32_e32 v21, s25, v2
	v_lshlrev_b32_e32 v22, 30, v21
	v_bitop3_b32 v9, v2, 1, s25 bitop3:0x80
	s_delay_alu instid0(VALU_DEP_1) | instskip(NEXT) | instid1(VALU_DEP_1)
	v_add_co_u32 v2, s2, v9, -1
	v_cndmask_b32_e64 v9, 0, 1, s2
	s_delay_alu instid0(VALU_DEP_4) | instskip(NEXT) | instid1(VALU_DEP_2)
	v_cmp_gt_i32_e64 s2, 0, v22
	v_cmp_ne_u32_e32 vcc_lo, 0, v9
	v_not_b32_e32 v9, v22
	s_delay_alu instid0(VALU_DEP_1) | instskip(SKIP_3) | instid1(VALU_DEP_3)
	v_ashrrev_i32_e32 v9, 31, v9
	v_dual_lshlrev_b32 v23, 29, v21 :: v_dual_lshlrev_b32 v24, 28, v21
	v_dual_lshlrev_b32 v25, 27, v21 :: v_dual_lshlrev_b32 v26, 26, v21
	;; [unrolled: 1-line block ×3, first 2 shown]
	v_cmp_gt_i32_e64 s3, 0, v23
	v_not_b32_e32 v22, v23
	v_not_b32_e32 v23, v24
	v_cmp_gt_i32_e64 s4, 0, v24
	v_cmp_gt_i32_e64 s5, 0, v25
	v_not_b32_e32 v24, v25
	v_not_b32_e32 v25, v26
	v_dual_ashrrev_i32 v23, 31, v23 :: v_dual_bitop2_b32 v2, vcc_lo, v2 bitop3:0x14
	v_dual_ashrrev_i32 v22, 31, v22 :: v_dual_bitop2_b32 v9, s2, v9 bitop3:0x14
	v_cmp_gt_i32_e64 s6, 0, v26
	v_cmp_gt_i32_e64 s7, 0, v27
	v_not_b32_e32 v26, v27
	v_not_b32_e32 v27, v28
	v_dual_ashrrev_i32 v24, 31, v24 :: v_dual_ashrrev_i32 v25, 31, v25
	v_xor_b32_e32 v22, s3, v22
	v_xor_b32_e32 v23, s4, v23
	v_bitop3_b32 v2, v2, v9, exec_lo bitop3:0x80
	v_cmp_gt_i32_e64 s8, 0, v28
	v_dual_ashrrev_i32 v9, 31, v26 :: v_dual_ashrrev_i32 v26, 31, v27
	v_xor_b32_e32 v24, s5, v24
	v_xor_b32_e32 v25, s6, v25
	v_bitop3_b32 v2, v2, v23, v22 bitop3:0x80
	v_mad_u32_u24 v22, 0x44, v21, v8
	v_xor_b32_e32 v9, s7, v9
	v_xor_b32_e32 v23, s8, v26
	s_delay_alu instid0(VALU_DEP_4) | instskip(SKIP_3) | instid1(VALU_DEP_2)
	v_bitop3_b32 v2, v2, v25, v24 bitop3:0x80
	ds_load_b32 v22, v22 offset:64
	; wave barrier
	v_bitop3_b32 v2, v2, v23, v9 bitop3:0x80
	v_mul_u32_u24_e32 v9, 0x44, v21
	v_mbcnt_lo_u32_b32 v23, v2, 0
	v_cmp_ne_u32_e64 s2, 0, v2
	s_delay_alu instid0(VALU_DEP_3) | instskip(NEXT) | instid1(VALU_DEP_3)
	v_add_nc_u32_e32 v24, v8, v9
	v_cmp_eq_u32_e32 vcc_lo, 0, v23
	s_and_b32 s3, s2, vcc_lo
	s_delay_alu instid0(SALU_CYCLE_1)
	s_and_saveexec_b32 s2, s3
	s_cbranch_execz .LBB620_31
; %bb.30:
	s_wait_dscnt 0x0
	v_bcnt_u32_b32 v2, v2, v22
	ds_store_b32 v24, v2 offset:64
.LBB620_31:
	s_or_b32 exec_lo, exec_lo, s2
	v_lshrrev_b32_e32 v2, 16, v3
	; wave barrier
	s_delay_alu instid0(VALU_DEP_1) | instskip(NEXT) | instid1(VALU_DEP_1)
	v_xor_b32_e32 v21, 0x7fff, v2
	v_and_b32_e32 v2, 0xffff, v21
	s_delay_alu instid0(VALU_DEP_1) | instskip(NEXT) | instid1(VALU_DEP_1)
	v_lshrrev_b32_e32 v2, s20, v2
	v_and_b32_e32 v9, s25, v2
	s_delay_alu instid0(VALU_DEP_1) | instskip(SKIP_2) | instid1(VALU_DEP_3)
	v_lshlrev_b32_e32 v26, 29, v9
	v_bitop3_b32 v3, v2, 1, s25 bitop3:0x80
	v_lshlrev_b32_e32 v25, 30, v9
	v_cmp_gt_i32_e64 s3, 0, v26
	s_delay_alu instid0(VALU_DEP_3) | instskip(NEXT) | instid1(VALU_DEP_1)
	v_add_co_u32 v2, s2, v3, -1
	v_cndmask_b32_e64 v3, 0, 1, s2
	s_delay_alu instid0(VALU_DEP_4) | instskip(NEXT) | instid1(VALU_DEP_2)
	v_cmp_gt_i32_e64 s2, 0, v25
	v_cmp_ne_u32_e32 vcc_lo, 0, v3
	v_not_b32_e32 v3, v25
	v_not_b32_e32 v25, v26
	s_delay_alu instid0(VALU_DEP_2) | instskip(SKIP_3) | instid1(VALU_DEP_3)
	v_dual_ashrrev_i32 v3, 31, v3 :: v_dual_bitop2_b32 v2, vcc_lo, v2 bitop3:0x14
	v_dual_lshlrev_b32 v27, 28, v9 :: v_dual_lshlrev_b32 v28, 27, v9
	v_dual_lshlrev_b32 v29, 26, v9 :: v_dual_lshlrev_b32 v30, 25, v9
	v_lshlrev_b32_e32 v31, 24, v9
	v_not_b32_e32 v26, v27
	v_cmp_gt_i32_e64 s4, 0, v27
	v_cmp_gt_i32_e64 s5, 0, v28
	v_not_b32_e32 v27, v28
	v_not_b32_e32 v28, v29
	v_dual_ashrrev_i32 v25, 31, v25 :: v_dual_ashrrev_i32 v26, 31, v26
	v_xor_b32_e32 v3, s2, v3
	v_cmp_gt_i32_e64 s6, 0, v29
	v_cmp_gt_i32_e64 s7, 0, v30
	v_not_b32_e32 v29, v30
	v_not_b32_e32 v30, v31
	v_dual_ashrrev_i32 v27, 31, v27 :: v_dual_bitop2_b32 v25, s3, v25 bitop3:0x14
	v_dual_ashrrev_i32 v28, 31, v28 :: v_dual_bitop2_b32 v26, s4, v26 bitop3:0x14
	v_bitop3_b32 v2, v2, v3, exec_lo bitop3:0x80
	v_cmp_gt_i32_e64 s8, 0, v31
	v_dual_ashrrev_i32 v3, 31, v29 :: v_dual_ashrrev_i32 v29, 31, v30
	v_xor_b32_e32 v27, s5, v27
	v_xor_b32_e32 v28, s6, v28
	v_bitop3_b32 v2, v2, v26, v25 bitop3:0x80
	v_mad_u32_u24 v25, 0x44, v9, v8
	v_xor_b32_e32 v3, s7, v3
	v_xor_b32_e32 v29, s8, v29
	s_delay_alu instid0(VALU_DEP_4) | instskip(SKIP_3) | instid1(VALU_DEP_2)
	v_bitop3_b32 v2, v2, v28, v27 bitop3:0x80
	ds_load_b32 v26, v25 offset:64
	; wave barrier
	v_bitop3_b32 v2, v2, v29, v3 bitop3:0x80
	v_mul_u32_u24_e32 v3, 0x44, v9
	v_mbcnt_lo_u32_b32 v27, v2, 0
	v_cmp_ne_u32_e64 s2, 0, v2
	s_delay_alu instid0(VALU_DEP_3) | instskip(NEXT) | instid1(VALU_DEP_3)
	v_add_nc_u32_e32 v28, v8, v3
	v_cmp_eq_u32_e32 vcc_lo, 0, v27
	s_and_b32 s3, s2, vcc_lo
	s_delay_alu instid0(SALU_CYCLE_1)
	s_and_saveexec_b32 s2, s3
	s_cbranch_execz .LBB620_33
; %bb.32:
	s_wait_dscnt 0x0
	v_bcnt_u32_b32 v2, v2, v26
	ds_store_b32 v28, v2 offset:64
.LBB620_33:
	s_or_b32 exec_lo, exec_lo, s2
	v_xor_b32_e32 v25, 0x7fff, v4
	; wave barrier
	s_delay_alu instid0(VALU_DEP_1) | instskip(NEXT) | instid1(VALU_DEP_1)
	v_and_b32_e32 v2, 0xffff, v25
	v_lshrrev_b32_e32 v2, s20, v2
	s_delay_alu instid0(VALU_DEP_1) | instskip(NEXT) | instid1(VALU_DEP_1)
	v_and_b32_e32 v9, s25, v2
	v_lshlrev_b32_e32 v29, 30, v9
	v_bitop3_b32 v3, v2, 1, s25 bitop3:0x80
	s_delay_alu instid0(VALU_DEP_1) | instskip(NEXT) | instid1(VALU_DEP_1)
	v_add_co_u32 v2, s2, v3, -1
	v_cndmask_b32_e64 v3, 0, 1, s2
	s_delay_alu instid0(VALU_DEP_4) | instskip(NEXT) | instid1(VALU_DEP_2)
	v_cmp_gt_i32_e64 s2, 0, v29
	v_cmp_ne_u32_e32 vcc_lo, 0, v3
	v_not_b32_e32 v3, v29
	s_delay_alu instid0(VALU_DEP_1) | instskip(SKIP_3) | instid1(VALU_DEP_4)
	v_dual_ashrrev_i32 v3, 31, v3 :: v_dual_lshlrev_b32 v30, 29, v9
	v_dual_lshlrev_b32 v31, 28, v9 :: v_dual_lshlrev_b32 v32, 27, v9
	v_dual_lshlrev_b32 v33, 26, v9 :: v_dual_lshlrev_b32 v34, 25, v9
	v_lshlrev_b32_e32 v35, 24, v9
	v_cmp_gt_i32_e64 s3, 0, v30
	v_not_b32_e32 v29, v30
	v_not_b32_e32 v30, v31
	v_cmp_gt_i32_e64 s4, 0, v31
	v_cmp_gt_i32_e64 s5, 0, v32
	v_not_b32_e32 v31, v32
	v_not_b32_e32 v32, v33
	v_dual_ashrrev_i32 v29, 31, v29 :: v_dual_bitop2_b32 v2, vcc_lo, v2 bitop3:0x14
	v_dual_ashrrev_i32 v30, 31, v30 :: v_dual_bitop2_b32 v3, s2, v3 bitop3:0x14
	v_cmp_gt_i32_e64 s6, 0, v33
	v_cmp_gt_i32_e64 s7, 0, v34
	v_not_b32_e32 v33, v34
	v_not_b32_e32 v34, v35
	v_dual_ashrrev_i32 v31, 31, v31 :: v_dual_ashrrev_i32 v32, 31, v32
	v_xor_b32_e32 v29, s3, v29
	v_xor_b32_e32 v30, s4, v30
	v_bitop3_b32 v2, v2, v3, exec_lo bitop3:0x80
	v_cmp_gt_i32_e64 s8, 0, v35
	v_dual_ashrrev_i32 v3, 31, v33 :: v_dual_ashrrev_i32 v33, 31, v34
	v_xor_b32_e32 v31, s5, v31
	v_xor_b32_e32 v32, s6, v32
	v_bitop3_b32 v2, v2, v30, v29 bitop3:0x80
	v_mad_u32_u24 v29, 0x44, v9, v8
	v_xor_b32_e32 v3, s7, v3
	v_xor_b32_e32 v30, s8, v33
	s_delay_alu instid0(VALU_DEP_4) | instskip(SKIP_3) | instid1(VALU_DEP_2)
	v_bitop3_b32 v2, v2, v32, v31 bitop3:0x80
	ds_load_b32 v29, v29 offset:64
	; wave barrier
	v_bitop3_b32 v2, v2, v30, v3 bitop3:0x80
	v_mul_u32_u24_e32 v3, 0x44, v9
	v_mbcnt_lo_u32_b32 v31, v2, 0
	v_cmp_ne_u32_e64 s2, 0, v2
	s_delay_alu instid0(VALU_DEP_3) | instskip(NEXT) | instid1(VALU_DEP_3)
	v_add_nc_u32_e32 v32, v8, v3
	v_cmp_eq_u32_e32 vcc_lo, 0, v31
	s_and_b32 s3, s2, vcc_lo
	s_delay_alu instid0(SALU_CYCLE_1)
	s_and_saveexec_b32 s2, s3
	s_cbranch_execz .LBB620_35
; %bb.34:
	s_wait_dscnt 0x0
	v_bcnt_u32_b32 v2, v2, v29
	ds_store_b32 v32, v2 offset:64
.LBB620_35:
	s_or_b32 exec_lo, exec_lo, s2
	v_lshrrev_b32_e32 v2, 16, v4
	; wave barrier
	s_delay_alu instid0(VALU_DEP_1) | instskip(NEXT) | instid1(VALU_DEP_1)
	v_xor_b32_e32 v30, 0x7fff, v2
	v_and_b32_e32 v2, 0xffff, v30
	s_delay_alu instid0(VALU_DEP_1) | instskip(NEXT) | instid1(VALU_DEP_1)
	v_lshrrev_b32_e32 v2, s20, v2
	v_and_b32_e32 v4, s25, v2
	s_delay_alu instid0(VALU_DEP_1) | instskip(SKIP_2) | instid1(VALU_DEP_3)
	v_lshlrev_b32_e32 v33, 29, v4
	v_bitop3_b32 v3, v2, 1, s25 bitop3:0x80
	v_lshlrev_b32_e32 v9, 30, v4
	v_cmp_gt_i32_e64 s3, 0, v33
	s_delay_alu instid0(VALU_DEP_3) | instskip(NEXT) | instid1(VALU_DEP_1)
	v_add_co_u32 v2, s2, v3, -1
	v_cndmask_b32_e64 v3, 0, 1, s2
	s_delay_alu instid0(VALU_DEP_4) | instskip(NEXT) | instid1(VALU_DEP_2)
	v_cmp_gt_i32_e64 s2, 0, v9
	v_cmp_ne_u32_e32 vcc_lo, 0, v3
	v_not_b32_e32 v3, v9
	v_not_b32_e32 v9, v33
	s_delay_alu instid0(VALU_DEP_2) | instskip(SKIP_3) | instid1(VALU_DEP_3)
	v_dual_ashrrev_i32 v3, 31, v3 :: v_dual_bitop2_b32 v2, vcc_lo, v2 bitop3:0x14
	v_dual_lshlrev_b32 v34, 28, v4 :: v_dual_lshlrev_b32 v35, 27, v4
	v_dual_lshlrev_b32 v36, 26, v4 :: v_dual_lshlrev_b32 v37, 25, v4
	v_lshlrev_b32_e32 v38, 24, v4
	v_not_b32_e32 v33, v34
	v_cmp_gt_i32_e64 s4, 0, v34
	v_cmp_gt_i32_e64 s5, 0, v35
	v_not_b32_e32 v34, v35
	v_not_b32_e32 v35, v36
	v_dual_ashrrev_i32 v9, 31, v9 :: v_dual_bitop2_b32 v3, s2, v3 bitop3:0x14
	s_delay_alu instid0(VALU_DEP_3)
	v_dual_ashrrev_i32 v33, 31, v33 :: v_dual_ashrrev_i32 v34, 31, v34
	v_cmp_gt_i32_e64 s6, 0, v36
	v_cmp_gt_i32_e64 s7, 0, v37
	v_not_b32_e32 v36, v37
	v_not_b32_e32 v37, v38
	v_dual_ashrrev_i32 v35, 31, v35 :: v_dual_bitop2_b32 v9, s3, v9 bitop3:0x14
	v_xor_b32_e32 v33, s4, v33
	v_bitop3_b32 v2, v2, v3, exec_lo bitop3:0x80
	v_cmp_gt_i32_e64 s8, 0, v38
	v_dual_ashrrev_i32 v3, 31, v36 :: v_dual_ashrrev_i32 v36, 31, v37
	v_xor_b32_e32 v34, s5, v34
	v_xor_b32_e32 v35, s6, v35
	v_bitop3_b32 v2, v2, v33, v9 bitop3:0x80
	v_mad_u32_u24 v9, 0x44, v4, v8
	v_xor_b32_e32 v3, s7, v3
	v_xor_b32_e32 v36, s8, v36
	s_delay_alu instid0(VALU_DEP_4) | instskip(SKIP_3) | instid1(VALU_DEP_2)
	v_bitop3_b32 v2, v2, v35, v34 bitop3:0x80
	ds_load_b32 v33, v9 offset:64
	; wave barrier
	v_bitop3_b32 v2, v2, v36, v3 bitop3:0x80
	v_mul_u32_u24_e32 v3, 0x44, v4
	v_mbcnt_lo_u32_b32 v34, v2, 0
	v_cmp_ne_u32_e64 s2, 0, v2
	s_delay_alu instid0(VALU_DEP_3) | instskip(NEXT) | instid1(VALU_DEP_3)
	v_add_nc_u32_e32 v37, v8, v3
	v_cmp_eq_u32_e32 vcc_lo, 0, v34
	s_and_b32 s3, s2, vcc_lo
	s_delay_alu instid0(SALU_CYCLE_1)
	s_and_saveexec_b32 s2, s3
	s_cbranch_execz .LBB620_37
; %bb.36:
	s_wait_dscnt 0x0
	v_bcnt_u32_b32 v2, v2, v33
	ds_store_b32 v37, v2 offset:64
.LBB620_37:
	s_or_b32 exec_lo, exec_lo, s2
	v_xor_b32_e32 v35, 0x7fff, v5
	; wave barrier
	s_delay_alu instid0(VALU_DEP_1) | instskip(NEXT) | instid1(VALU_DEP_1)
	v_and_b32_e32 v2, 0xffff, v35
	v_lshrrev_b32_e32 v2, s20, v2
	s_delay_alu instid0(VALU_DEP_1) | instskip(NEXT) | instid1(VALU_DEP_1)
	v_and_b32_e32 v4, s25, v2
	v_lshlrev_b32_e32 v9, 30, v4
	v_bitop3_b32 v3, v2, 1, s25 bitop3:0x80
	s_delay_alu instid0(VALU_DEP_1) | instskip(NEXT) | instid1(VALU_DEP_1)
	v_add_co_u32 v2, s2, v3, -1
	v_cndmask_b32_e64 v3, 0, 1, s2
	s_delay_alu instid0(VALU_DEP_4) | instskip(NEXT) | instid1(VALU_DEP_2)
	v_cmp_gt_i32_e64 s2, 0, v9
	v_cmp_ne_u32_e32 vcc_lo, 0, v3
	v_not_b32_e32 v3, v9
	s_delay_alu instid0(VALU_DEP_1) | instskip(SKIP_3) | instid1(VALU_DEP_4)
	v_dual_ashrrev_i32 v3, 31, v3 :: v_dual_lshlrev_b32 v36, 29, v4
	v_dual_lshlrev_b32 v38, 28, v4 :: v_dual_lshlrev_b32 v39, 27, v4
	v_dual_lshlrev_b32 v40, 26, v4 :: v_dual_lshlrev_b32 v41, 25, v4
	v_lshlrev_b32_e32 v42, 24, v4
	v_cmp_gt_i32_e64 s3, 0, v36
	v_not_b32_e32 v9, v36
	v_not_b32_e32 v36, v38
	v_cmp_gt_i32_e64 s4, 0, v38
	v_cmp_gt_i32_e64 s5, 0, v39
	v_not_b32_e32 v38, v39
	v_not_b32_e32 v39, v40
	v_dual_ashrrev_i32 v9, 31, v9 :: v_dual_bitop2_b32 v2, vcc_lo, v2 bitop3:0x14
	v_dual_ashrrev_i32 v36, 31, v36 :: v_dual_bitop2_b32 v3, s2, v3 bitop3:0x14
	v_cmp_gt_i32_e64 s6, 0, v40
	v_cmp_gt_i32_e64 s7, 0, v41
	v_not_b32_e32 v40, v41
	v_not_b32_e32 v41, v42
	v_dual_ashrrev_i32 v38, 31, v38 :: v_dual_ashrrev_i32 v39, 31, v39
	v_xor_b32_e32 v9, s3, v9
	v_xor_b32_e32 v36, s4, v36
	v_bitop3_b32 v2, v2, v3, exec_lo bitop3:0x80
	v_cmp_gt_i32_e64 s8, 0, v42
	v_dual_ashrrev_i32 v3, 31, v40 :: v_dual_ashrrev_i32 v40, 31, v41
	v_xor_b32_e32 v38, s5, v38
	v_xor_b32_e32 v39, s6, v39
	v_bitop3_b32 v2, v2, v36, v9 bitop3:0x80
	v_mad_u32_u24 v9, 0x44, v4, v8
	v_xor_b32_e32 v3, s7, v3
	v_xor_b32_e32 v36, s8, v40
	s_delay_alu instid0(VALU_DEP_4) | instskip(SKIP_3) | instid1(VALU_DEP_2)
	v_bitop3_b32 v2, v2, v39, v38 bitop3:0x80
	ds_load_b32 v38, v9 offset:64
	; wave barrier
	v_bitop3_b32 v2, v2, v36, v3 bitop3:0x80
	v_mul_u32_u24_e32 v3, 0x44, v4
	v_mbcnt_lo_u32_b32 v39, v2, 0
	v_cmp_ne_u32_e64 s2, 0, v2
	s_delay_alu instid0(VALU_DEP_3) | instskip(NEXT) | instid1(VALU_DEP_3)
	v_add_nc_u32_e32 v42, v8, v3
	v_cmp_eq_u32_e32 vcc_lo, 0, v39
	s_and_b32 s3, s2, vcc_lo
	s_delay_alu instid0(SALU_CYCLE_1)
	s_and_saveexec_b32 s2, s3
	s_cbranch_execz .LBB620_39
; %bb.38:
	s_wait_dscnt 0x0
	v_bcnt_u32_b32 v2, v2, v38
	ds_store_b32 v42, v2 offset:64
.LBB620_39:
	s_or_b32 exec_lo, exec_lo, s2
	v_lshrrev_b32_e32 v2, 16, v5
	; wave barrier
	s_delay_alu instid0(VALU_DEP_1) | instskip(NEXT) | instid1(VALU_DEP_1)
	v_xor_b32_e32 v36, 0x7fff, v2
	v_and_b32_e32 v2, 0xffff, v36
	s_delay_alu instid0(VALU_DEP_1) | instskip(NEXT) | instid1(VALU_DEP_1)
	v_lshrrev_b32_e32 v2, s20, v2
	v_and_b32_e32 v4, s25, v2
	s_delay_alu instid0(VALU_DEP_1) | instskip(SKIP_2) | instid1(VALU_DEP_3)
	v_lshlrev_b32_e32 v9, 29, v4
	v_bitop3_b32 v3, v2, 1, s25 bitop3:0x80
	v_lshlrev_b32_e32 v5, 30, v4
	v_cmp_gt_i32_e64 s3, 0, v9
	s_delay_alu instid0(VALU_DEP_3) | instskip(NEXT) | instid1(VALU_DEP_1)
	v_add_co_u32 v2, s2, v3, -1
	v_cndmask_b32_e64 v3, 0, 1, s2
	s_delay_alu instid0(VALU_DEP_4) | instskip(NEXT) | instid1(VALU_DEP_2)
	v_cmp_gt_i32_e64 s2, 0, v5
	v_cmp_ne_u32_e32 vcc_lo, 0, v3
	v_not_b32_e32 v3, v5
	v_not_b32_e32 v5, v9
	s_delay_alu instid0(VALU_DEP_2) | instskip(SKIP_3) | instid1(VALU_DEP_3)
	v_dual_ashrrev_i32 v3, 31, v3 :: v_dual_bitop2_b32 v2, vcc_lo, v2 bitop3:0x14
	v_dual_lshlrev_b32 v40, 28, v4 :: v_dual_lshlrev_b32 v41, 27, v4
	v_dual_lshlrev_b32 v43, 26, v4 :: v_dual_lshlrev_b32 v44, 25, v4
	v_lshlrev_b32_e32 v45, 24, v4
	v_not_b32_e32 v9, v40
	v_cmp_gt_i32_e64 s4, 0, v40
	v_cmp_gt_i32_e64 s5, 0, v41
	v_not_b32_e32 v40, v41
	v_not_b32_e32 v41, v43
	v_dual_ashrrev_i32 v5, 31, v5 :: v_dual_bitop2_b32 v3, s2, v3 bitop3:0x14
	s_delay_alu instid0(VALU_DEP_3)
	v_dual_ashrrev_i32 v9, 31, v9 :: v_dual_ashrrev_i32 v40, 31, v40
	v_cmp_gt_i32_e64 s6, 0, v43
	v_cmp_gt_i32_e64 s7, 0, v44
	v_not_b32_e32 v43, v44
	v_not_b32_e32 v44, v45
	v_ashrrev_i32_e32 v41, 31, v41
	v_xor_b32_e32 v5, s3, v5
	v_xor_b32_e32 v9, s4, v9
	v_bitop3_b32 v2, v2, v3, exec_lo bitop3:0x80
	v_cmp_gt_i32_e64 s8, 0, v45
	v_dual_ashrrev_i32 v3, 31, v43 :: v_dual_ashrrev_i32 v43, 31, v44
	v_xor_b32_e32 v40, s5, v40
	v_xor_b32_e32 v41, s6, v41
	v_bitop3_b32 v2, v2, v9, v5 bitop3:0x80
	v_mad_u32_u24 v5, 0x44, v4, v8
	v_xor_b32_e32 v3, s7, v3
	v_xor_b32_e32 v9, s8, v43
	s_delay_alu instid0(VALU_DEP_4) | instskip(SKIP_3) | instid1(VALU_DEP_2)
	v_bitop3_b32 v2, v2, v41, v40 bitop3:0x80
	ds_load_b32 v41, v5 offset:64
	; wave barrier
	v_bitop3_b32 v2, v2, v9, v3 bitop3:0x80
	v_mul_u32_u24_e32 v3, 0x44, v4
	v_mbcnt_lo_u32_b32 v43, v2, 0
	v_cmp_ne_u32_e64 s2, 0, v2
	s_delay_alu instid0(VALU_DEP_3) | instskip(NEXT) | instid1(VALU_DEP_3)
	v_add_nc_u32_e32 v47, v8, v3
	v_cmp_eq_u32_e32 vcc_lo, 0, v43
	s_and_b32 s3, s2, vcc_lo
	s_delay_alu instid0(SALU_CYCLE_1)
	s_and_saveexec_b32 s2, s3
	s_cbranch_execz .LBB620_41
; %bb.40:
	s_wait_dscnt 0x0
	v_bcnt_u32_b32 v2, v2, v41
	ds_store_b32 v47, v2 offset:64
.LBB620_41:
	s_or_b32 exec_lo, exec_lo, s2
	v_xor_b32_e32 v40, 0x7fff, v6
	; wave barrier
	s_delay_alu instid0(VALU_DEP_1) | instskip(NEXT) | instid1(VALU_DEP_1)
	v_and_b32_e32 v2, 0xffff, v40
	v_lshrrev_b32_e32 v2, s20, v2
	s_delay_alu instid0(VALU_DEP_1) | instskip(NEXT) | instid1(VALU_DEP_1)
	v_and_b32_e32 v4, s25, v2
	v_lshlrev_b32_e32 v5, 30, v4
	v_bitop3_b32 v3, v2, 1, s25 bitop3:0x80
	s_delay_alu instid0(VALU_DEP_1) | instskip(NEXT) | instid1(VALU_DEP_1)
	v_add_co_u32 v2, s2, v3, -1
	v_cndmask_b32_e64 v3, 0, 1, s2
	s_delay_alu instid0(VALU_DEP_4) | instskip(NEXT) | instid1(VALU_DEP_2)
	v_cmp_gt_i32_e64 s2, 0, v5
	v_cmp_ne_u32_e32 vcc_lo, 0, v3
	v_not_b32_e32 v3, v5
	s_delay_alu instid0(VALU_DEP_1) | instskip(SKIP_3) | instid1(VALU_DEP_4)
	v_dual_ashrrev_i32 v3, 31, v3 :: v_dual_lshlrev_b32 v9, 29, v4
	v_dual_lshlrev_b32 v44, 28, v4 :: v_dual_lshlrev_b32 v45, 27, v4
	v_dual_lshlrev_b32 v46, 26, v4 :: v_dual_lshlrev_b32 v48, 25, v4
	v_lshlrev_b32_e32 v49, 24, v4
	v_cmp_gt_i32_e64 s3, 0, v9
	v_not_b32_e32 v5, v9
	v_not_b32_e32 v9, v44
	v_cmp_gt_i32_e64 s4, 0, v44
	v_cmp_gt_i32_e64 s5, 0, v45
	v_not_b32_e32 v44, v45
	v_not_b32_e32 v45, v46
	v_dual_ashrrev_i32 v5, 31, v5 :: v_dual_bitop2_b32 v2, vcc_lo, v2 bitop3:0x14
	v_dual_ashrrev_i32 v9, 31, v9 :: v_dual_bitop2_b32 v3, s2, v3 bitop3:0x14
	v_cmp_gt_i32_e64 s6, 0, v46
	v_cmp_gt_i32_e64 s7, 0, v48
	v_not_b32_e32 v46, v48
	v_not_b32_e32 v48, v49
	v_dual_ashrrev_i32 v44, 31, v44 :: v_dual_ashrrev_i32 v45, 31, v45
	v_xor_b32_e32 v5, s3, v5
	v_xor_b32_e32 v9, s4, v9
	v_bitop3_b32 v2, v2, v3, exec_lo bitop3:0x80
	v_cmp_gt_i32_e64 s8, 0, v49
	v_dual_ashrrev_i32 v3, 31, v46 :: v_dual_ashrrev_i32 v46, 31, v48
	v_xor_b32_e32 v44, s5, v44
	v_xor_b32_e32 v45, s6, v45
	v_bitop3_b32 v2, v2, v9, v5 bitop3:0x80
	v_mad_u32_u24 v5, 0x44, v4, v8
	v_xor_b32_e32 v3, s7, v3
	v_xor_b32_e32 v9, s8, v46
	s_delay_alu instid0(VALU_DEP_4) | instskip(SKIP_3) | instid1(VALU_DEP_2)
	v_bitop3_b32 v2, v2, v45, v44 bitop3:0x80
	ds_load_b32 v44, v5 offset:64
	; wave barrier
	v_bitop3_b32 v2, v2, v9, v3 bitop3:0x80
	v_mul_u32_u24_e32 v3, 0x44, v4
	v_mbcnt_lo_u32_b32 v46, v2, 0
	v_cmp_ne_u32_e64 s2, 0, v2
	s_delay_alu instid0(VALU_DEP_3) | instskip(NEXT) | instid1(VALU_DEP_3)
	v_add_nc_u32_e32 v51, v8, v3
	v_cmp_eq_u32_e32 vcc_lo, 0, v46
	s_and_b32 s3, s2, vcc_lo
	s_delay_alu instid0(SALU_CYCLE_1)
	s_and_saveexec_b32 s2, s3
	s_cbranch_execz .LBB620_43
; %bb.42:
	s_wait_dscnt 0x0
	v_bcnt_u32_b32 v2, v2, v44
	ds_store_b32 v51, v2 offset:64
.LBB620_43:
	s_or_b32 exec_lo, exec_lo, s2
	v_lshrrev_b32_e32 v2, 16, v6
	; wave barrier
	s_delay_alu instid0(VALU_DEP_1) | instskip(NEXT) | instid1(VALU_DEP_1)
	v_xor_b32_e32 v45, 0x7fff, v2
	v_and_b32_e32 v2, 0xffff, v45
	s_delay_alu instid0(VALU_DEP_1) | instskip(NEXT) | instid1(VALU_DEP_1)
	v_lshrrev_b32_e32 v2, s20, v2
	v_and_b32_e32 v4, s25, v2
	s_delay_alu instid0(VALU_DEP_1) | instskip(SKIP_2) | instid1(VALU_DEP_3)
	v_lshlrev_b32_e32 v6, 29, v4
	v_bitop3_b32 v3, v2, 1, s25 bitop3:0x80
	v_lshlrev_b32_e32 v5, 30, v4
	v_cmp_gt_i32_e64 s3, 0, v6
	s_delay_alu instid0(VALU_DEP_3) | instskip(NEXT) | instid1(VALU_DEP_1)
	v_add_co_u32 v2, s2, v3, -1
	v_cndmask_b32_e64 v3, 0, 1, s2
	s_delay_alu instid0(VALU_DEP_4) | instskip(NEXT) | instid1(VALU_DEP_2)
	v_cmp_gt_i32_e64 s2, 0, v5
	v_cmp_ne_u32_e32 vcc_lo, 0, v3
	v_not_b32_e32 v3, v5
	v_not_b32_e32 v5, v6
	s_delay_alu instid0(VALU_DEP_2) | instskip(SKIP_3) | instid1(VALU_DEP_3)
	v_dual_ashrrev_i32 v3, 31, v3 :: v_dual_bitop2_b32 v2, vcc_lo, v2 bitop3:0x14
	v_dual_lshlrev_b32 v9, 28, v4 :: v_dual_lshlrev_b32 v48, 27, v4
	v_dual_lshlrev_b32 v49, 26, v4 :: v_dual_lshlrev_b32 v50, 25, v4
	v_lshlrev_b32_e32 v52, 24, v4
	v_not_b32_e32 v6, v9
	v_cmp_gt_i32_e64 s4, 0, v9
	v_cmp_gt_i32_e64 s5, 0, v48
	v_not_b32_e32 v9, v48
	v_not_b32_e32 v48, v49
	v_dual_ashrrev_i32 v5, 31, v5 :: v_dual_ashrrev_i32 v6, 31, v6
	s_delay_alu instid0(VALU_DEP_3)
	v_dual_ashrrev_i32 v9, 31, v9 :: v_dual_bitop2_b32 v3, s2, v3 bitop3:0x14
	v_cmp_gt_i32_e64 s6, 0, v49
	v_cmp_gt_i32_e64 s7, 0, v50
	v_not_b32_e32 v49, v50
	v_not_b32_e32 v50, v52
	v_dual_ashrrev_i32 v48, 31, v48 :: v_dual_bitop2_b32 v5, s3, v5 bitop3:0x14
	v_xor_b32_e32 v6, s4, v6
	v_bitop3_b32 v2, v2, v3, exec_lo bitop3:0x80
	v_cmp_gt_i32_e64 s8, 0, v52
	v_dual_ashrrev_i32 v3, 31, v49 :: v_dual_ashrrev_i32 v49, 31, v50
	v_xor_b32_e32 v9, s5, v9
	v_xor_b32_e32 v48, s6, v48
	v_bitop3_b32 v2, v2, v6, v5 bitop3:0x80
	v_mad_u32_u24 v5, 0x44, v4, v8
	v_xor_b32_e32 v3, s7, v3
	v_xor_b32_e32 v6, s8, v49
	s_delay_alu instid0(VALU_DEP_4) | instskip(SKIP_3) | instid1(VALU_DEP_2)
	v_bitop3_b32 v2, v2, v48, v9 bitop3:0x80
	ds_load_b32 v48, v5 offset:64
	; wave barrier
	v_bitop3_b32 v2, v2, v6, v3 bitop3:0x80
	v_mul_u32_u24_e32 v3, 0x44, v4
	v_mbcnt_lo_u32_b32 v50, v2, 0
	v_cmp_ne_u32_e64 s2, 0, v2
	s_delay_alu instid0(VALU_DEP_3) | instskip(NEXT) | instid1(VALU_DEP_3)
	v_add_nc_u32_e32 v55, v8, v3
	v_cmp_eq_u32_e32 vcc_lo, 0, v50
	s_and_b32 s3, s2, vcc_lo
	s_delay_alu instid0(SALU_CYCLE_1)
	s_and_saveexec_b32 s2, s3
	s_cbranch_execz .LBB620_45
; %bb.44:
	s_wait_dscnt 0x0
	v_bcnt_u32_b32 v2, v2, v48
	ds_store_b32 v55, v2 offset:64
.LBB620_45:
	s_or_b32 exec_lo, exec_lo, s2
	v_xor_b32_e32 v49, 0x7fff, v7
	; wave barrier
	s_delay_alu instid0(VALU_DEP_1) | instskip(NEXT) | instid1(VALU_DEP_1)
	v_and_b32_e32 v2, 0xffff, v49
	v_lshrrev_b32_e32 v2, s20, v2
	s_delay_alu instid0(VALU_DEP_1) | instskip(NEXT) | instid1(VALU_DEP_1)
	v_and_b32_e32 v4, s25, v2
	v_lshlrev_b32_e32 v5, 30, v4
	v_bitop3_b32 v3, v2, 1, s25 bitop3:0x80
	s_delay_alu instid0(VALU_DEP_1) | instskip(NEXT) | instid1(VALU_DEP_1)
	v_add_co_u32 v2, s2, v3, -1
	v_cndmask_b32_e64 v3, 0, 1, s2
	s_delay_alu instid0(VALU_DEP_4) | instskip(NEXT) | instid1(VALU_DEP_2)
	v_cmp_gt_i32_e64 s2, 0, v5
	v_cmp_ne_u32_e32 vcc_lo, 0, v3
	v_not_b32_e32 v3, v5
	s_delay_alu instid0(VALU_DEP_1) | instskip(SKIP_3) | instid1(VALU_DEP_4)
	v_dual_ashrrev_i32 v3, 31, v3 :: v_dual_lshlrev_b32 v6, 29, v4
	v_dual_lshlrev_b32 v9, 28, v4 :: v_dual_lshlrev_b32 v52, 27, v4
	v_dual_lshlrev_b32 v53, 26, v4 :: v_dual_lshlrev_b32 v54, 25, v4
	v_lshlrev_b32_e32 v56, 24, v4
	v_cmp_gt_i32_e64 s3, 0, v6
	v_not_b32_e32 v5, v6
	v_not_b32_e32 v6, v9
	v_cmp_gt_i32_e64 s4, 0, v9
	v_cmp_gt_i32_e64 s5, 0, v52
	v_not_b32_e32 v9, v52
	v_not_b32_e32 v52, v53
	v_dual_ashrrev_i32 v5, 31, v5 :: v_dual_bitop2_b32 v2, vcc_lo, v2 bitop3:0x14
	v_dual_ashrrev_i32 v6, 31, v6 :: v_dual_bitop2_b32 v3, s2, v3 bitop3:0x14
	v_cmp_gt_i32_e64 s6, 0, v53
	v_cmp_gt_i32_e64 s7, 0, v54
	v_not_b32_e32 v53, v54
	v_not_b32_e32 v54, v56
	v_dual_ashrrev_i32 v9, 31, v9 :: v_dual_ashrrev_i32 v52, 31, v52
	v_xor_b32_e32 v5, s3, v5
	v_xor_b32_e32 v6, s4, v6
	v_bitop3_b32 v2, v2, v3, exec_lo bitop3:0x80
	v_cmp_gt_i32_e64 s8, 0, v56
	v_dual_ashrrev_i32 v3, 31, v53 :: v_dual_ashrrev_i32 v53, 31, v54
	v_xor_b32_e32 v9, s5, v9
	v_xor_b32_e32 v52, s6, v52
	v_bitop3_b32 v2, v2, v6, v5 bitop3:0x80
	v_mad_u32_u24 v5, 0x44, v4, v8
	v_xor_b32_e32 v3, s7, v3
	v_xor_b32_e32 v6, s8, v53
	s_delay_alu instid0(VALU_DEP_4) | instskip(SKIP_3) | instid1(VALU_DEP_2)
	v_bitop3_b32 v2, v2, v52, v9 bitop3:0x80
	ds_load_b32 v52, v5 offset:64
	; wave barrier
	v_bitop3_b32 v2, v2, v6, v3 bitop3:0x80
	v_mul_u32_u24_e32 v3, 0x44, v4
	v_mbcnt_lo_u32_b32 v53, v2, 0
	v_cmp_ne_u32_e64 s2, 0, v2
	s_delay_alu instid0(VALU_DEP_3) | instskip(NEXT) | instid1(VALU_DEP_3)
	v_add_nc_u32_e32 v58, v8, v3
	v_cmp_eq_u32_e32 vcc_lo, 0, v53
	s_and_b32 s3, s2, vcc_lo
	s_delay_alu instid0(SALU_CYCLE_1)
	s_and_saveexec_b32 s2, s3
	s_cbranch_execz .LBB620_47
; %bb.46:
	s_wait_dscnt 0x0
	v_bcnt_u32_b32 v2, v2, v52
	ds_store_b32 v58, v2 offset:64
.LBB620_47:
	s_or_b32 exec_lo, exec_lo, s2
	v_lshrrev_b32_e32 v2, 16, v7
	; wave barrier
	s_delay_alu instid0(VALU_DEP_1) | instskip(NEXT) | instid1(VALU_DEP_1)
	v_xor_b32_e32 v54, 0x7fff, v2
	v_and_b32_e32 v2, 0xffff, v54
	s_delay_alu instid0(VALU_DEP_1) | instskip(NEXT) | instid1(VALU_DEP_1)
	v_lshrrev_b32_e32 v2, s20, v2
	v_and_b32_e32 v4, s25, v2
	s_delay_alu instid0(VALU_DEP_1) | instskip(SKIP_2) | instid1(VALU_DEP_3)
	v_lshlrev_b32_e32 v6, 29, v4
	v_bitop3_b32 v3, v2, 1, s25 bitop3:0x80
	v_lshlrev_b32_e32 v5, 30, v4
	v_cmp_gt_i32_e64 s3, 0, v6
	s_delay_alu instid0(VALU_DEP_3) | instskip(NEXT) | instid1(VALU_DEP_1)
	v_add_co_u32 v2, s2, v3, -1
	v_cndmask_b32_e64 v3, 0, 1, s2
	s_delay_alu instid0(VALU_DEP_4) | instskip(NEXT) | instid1(VALU_DEP_2)
	v_cmp_gt_i32_e64 s2, 0, v5
	v_cmp_ne_u32_e32 vcc_lo, 0, v3
	v_not_b32_e32 v3, v5
	v_not_b32_e32 v5, v6
	s_delay_alu instid0(VALU_DEP_2) | instskip(SKIP_3) | instid1(VALU_DEP_3)
	v_dual_ashrrev_i32 v3, 31, v3 :: v_dual_bitop2_b32 v2, vcc_lo, v2 bitop3:0x14
	v_dual_lshlrev_b32 v7, 28, v4 :: v_dual_lshlrev_b32 v9, 27, v4
	v_dual_lshlrev_b32 v56, 26, v4 :: v_dual_lshlrev_b32 v57, 25, v4
	v_lshlrev_b32_e32 v59, 24, v4
	v_not_b32_e32 v6, v7
	v_cmp_gt_i32_e64 s4, 0, v7
	v_cmp_gt_i32_e64 s5, 0, v9
	v_not_b32_e32 v7, v9
	v_not_b32_e32 v9, v56
	v_dual_ashrrev_i32 v5, 31, v5 :: v_dual_ashrrev_i32 v6, 31, v6
	v_xor_b32_e32 v3, s2, v3
	v_cmp_gt_i32_e64 s6, 0, v56
	v_cmp_gt_i32_e64 s7, 0, v57
	v_not_b32_e32 v56, v57
	v_not_b32_e32 v57, v59
	v_dual_ashrrev_i32 v7, 31, v7 :: v_dual_bitop2_b32 v5, s3, v5 bitop3:0x14
	v_dual_ashrrev_i32 v9, 31, v9 :: v_dual_bitop2_b32 v6, s4, v6 bitop3:0x14
	v_bitop3_b32 v2, v2, v3, exec_lo bitop3:0x80
	v_cmp_gt_i32_e64 s8, 0, v59
	v_dual_ashrrev_i32 v3, 31, v56 :: v_dual_ashrrev_i32 v56, 31, v57
	v_xor_b32_e32 v7, s5, v7
	v_xor_b32_e32 v9, s6, v9
	v_bitop3_b32 v2, v2, v6, v5 bitop3:0x80
	v_mad_u32_u24 v5, 0x44, v4, v8
	v_xor_b32_e32 v3, s7, v3
	v_xor_b32_e32 v6, s8, v56
	s_delay_alu instid0(VALU_DEP_4) | instskip(SKIP_3) | instid1(VALU_DEP_2)
	v_bitop3_b32 v2, v2, v9, v7 bitop3:0x80
	ds_load_b32 v56, v5 offset:64
	; wave barrier
	v_bitop3_b32 v2, v2, v6, v3 bitop3:0x80
	v_mul_u32_u24_e32 v3, 0x44, v4
	v_mbcnt_lo_u32_b32 v57, v2, 0
	v_cmp_ne_u32_e64 s2, 0, v2
	s_delay_alu instid0(VALU_DEP_3) | instskip(NEXT) | instid1(VALU_DEP_3)
	v_add_nc_u32_e32 v59, v8, v3
	v_cmp_eq_u32_e32 vcc_lo, 0, v57
	s_and_b32 s3, s2, vcc_lo
	s_delay_alu instid0(SALU_CYCLE_1)
	s_and_saveexec_b32 s2, s3
	s_cbranch_execz .LBB620_49
; %bb.48:
	s_wait_dscnt 0x0
	v_bcnt_u32_b32 v2, v2, v56
	ds_store_b32 v59, v2 offset:64
.LBB620_49:
	s_or_b32 exec_lo, exec_lo, s2
	; wave barrier
	s_wait_dscnt 0x0
	s_barrier_signal -1
	s_barrier_wait -1
	ds_load_2addr_b32 v[8:9], v13 offset0:16 offset1:17
	ds_load_2addr_b32 v[6:7], v13 offset0:18 offset1:19
	;; [unrolled: 1-line block ×4, first 2 shown]
	ds_load_b32 v60, v13 offset:96
	s_mov_b32 s6, exec_lo
	s_wait_dscnt 0x3
	v_add3_u32 v61, v9, v8, v6
	s_wait_dscnt 0x2
	s_delay_alu instid0(VALU_DEP_1) | instskip(SKIP_1) | instid1(VALU_DEP_1)
	v_add3_u32 v61, v61, v7, v4
	s_wait_dscnt 0x1
	v_add3_u32 v61, v61, v5, v2
	s_wait_dscnt 0x0
	s_delay_alu instid0(VALU_DEP_1) | instskip(SKIP_1) | instid1(VALU_DEP_2)
	v_add3_u32 v60, v61, v3, v60
	v_and_b32_e32 v61, 15, v14
	v_mov_b32_dpp v62, v60 row_shr:1 row_mask:0xf bank_mask:0xf
	s_delay_alu instid0(VALU_DEP_2) | instskip(NEXT) | instid1(VALU_DEP_2)
	v_cmp_eq_u32_e32 vcc_lo, 0, v61
	v_cndmask_b32_e64 v62, v62, 0, vcc_lo
	s_delay_alu instid0(VALU_DEP_1) | instskip(SKIP_3) | instid1(VALU_DEP_4)
	v_add_nc_u32_e32 v60, v62, v60
	v_cmp_lt_u32_e64 s2, 1, v61
	v_cmp_lt_u32_e64 s3, 3, v61
	;; [unrolled: 1-line block ×3, first 2 shown]
	v_mov_b32_dpp v62, v60 row_shr:2 row_mask:0xf bank_mask:0xf
	s_delay_alu instid0(VALU_DEP_1) | instskip(NEXT) | instid1(VALU_DEP_1)
	v_cndmask_b32_e64 v62, 0, v62, s2
	v_add_nc_u32_e32 v60, v60, v62
	s_delay_alu instid0(VALU_DEP_1) | instskip(NEXT) | instid1(VALU_DEP_1)
	v_mov_b32_dpp v62, v60 row_shr:4 row_mask:0xf bank_mask:0xf
	v_cndmask_b32_e64 v62, 0, v62, s3
	s_delay_alu instid0(VALU_DEP_1) | instskip(NEXT) | instid1(VALU_DEP_1)
	v_add_nc_u32_e32 v60, v60, v62
	v_mov_b32_dpp v62, v60 row_shr:8 row_mask:0xf bank_mask:0xf
	s_delay_alu instid0(VALU_DEP_1) | instskip(SKIP_1) | instid1(VALU_DEP_2)
	v_cndmask_b32_e64 v61, 0, v62, s4
	v_bfe_i32 v62, v14, 4, 1
	v_add_nc_u32_e32 v60, v60, v61
	ds_swizzle_b32 v61, v60 offset:swizzle(BROADCAST,32,15)
	s_wait_dscnt 0x0
	v_and_b32_e32 v61, v62, v61
	v_min_u32_e32 v62, 0x1e0, v15
	s_delay_alu instid0(VALU_DEP_1) | instskip(SKIP_1) | instid1(VALU_DEP_2)
	v_dual_add_nc_u32 v60, v60, v61 :: v_dual_bitop2_b32 v62, 31, v62 bitop3:0x54
	v_lshrrev_b32_e32 v61, 5, v1
	v_cmpx_eq_u32_e64 v1, v62
; %bb.50:
	s_delay_alu instid0(VALU_DEP_2)
	v_lshlrev_b32_e32 v62, 2, v61
	ds_store_b32 v62, v60
; %bb.51:
	s_or_b32 exec_lo, exec_lo, s6
	s_delay_alu instid0(SALU_CYCLE_1)
	s_mov_b32 s6, exec_lo
	s_wait_dscnt 0x0
	s_barrier_signal -1
	s_barrier_wait -1
	v_cmpx_gt_u32_e32 16, v1
	s_cbranch_execz .LBB620_53
; %bb.52:
	v_lshlrev_b32_e32 v62, 2, v1
	ds_load_b32 v63, v62
	s_wait_dscnt 0x0
	v_mov_b32_dpp v64, v63 row_shr:1 row_mask:0xf bank_mask:0xf
	s_delay_alu instid0(VALU_DEP_1) | instskip(NEXT) | instid1(VALU_DEP_1)
	v_cndmask_b32_e64 v64, v64, 0, vcc_lo
	v_add_nc_u32_e32 v63, v64, v63
	s_delay_alu instid0(VALU_DEP_1) | instskip(NEXT) | instid1(VALU_DEP_1)
	v_mov_b32_dpp v64, v63 row_shr:2 row_mask:0xf bank_mask:0xf
	v_cndmask_b32_e64 v64, 0, v64, s2
	s_delay_alu instid0(VALU_DEP_1) | instskip(NEXT) | instid1(VALU_DEP_1)
	v_add_nc_u32_e32 v63, v63, v64
	v_mov_b32_dpp v64, v63 row_shr:4 row_mask:0xf bank_mask:0xf
	s_delay_alu instid0(VALU_DEP_1) | instskip(NEXT) | instid1(VALU_DEP_1)
	v_cndmask_b32_e64 v64, 0, v64, s3
	v_add_nc_u32_e32 v63, v63, v64
	s_delay_alu instid0(VALU_DEP_1) | instskip(NEXT) | instid1(VALU_DEP_1)
	v_mov_b32_dpp v64, v63 row_shr:8 row_mask:0xf bank_mask:0xf
	v_cndmask_b32_e64 v64, 0, v64, s4
	s_delay_alu instid0(VALU_DEP_1)
	v_add_nc_u32_e32 v63, v63, v64
	ds_store_b32 v62, v63
.LBB620_53:
	s_or_b32 exec_lo, exec_lo, s6
	v_mov_b32_e32 v62, 0
	s_mov_b32 s2, exec_lo
	s_wait_dscnt 0x0
	s_barrier_signal -1
	s_barrier_wait -1
	v_cmpx_lt_u32_e32 31, v1
; %bb.54:
	v_lshl_add_u32 v61, v61, 2, -4
	ds_load_b32 v62, v61
; %bb.55:
	s_or_b32 exec_lo, exec_lo, s2
	v_sub_co_u32 v61, vcc_lo, v14, 1
	s_wait_dscnt 0x0
	v_add_nc_u32_e32 v60, v62, v60
	s_delay_alu instid0(VALU_DEP_2) | instskip(NEXT) | instid1(VALU_DEP_1)
	v_cmp_gt_i32_e64 s2, 0, v61
	v_cndmask_b32_e64 v61, v61, v14, s2
	v_cmp_gt_u32_e64 s2, 0x100, v1
	s_delay_alu instid0(VALU_DEP_2) | instskip(SKIP_4) | instid1(VALU_DEP_2)
	v_lshlrev_b32_e32 v61, 2, v61
	ds_bpermute_b32 v60, v61, v60
	s_wait_dscnt 0x0
	v_cndmask_b32_e32 v60, v60, v62, vcc_lo
	v_cmp_ne_u32_e32 vcc_lo, 0, v1
	v_cndmask_b32_e32 v60, 0, v60, vcc_lo
	v_cmp_lt_u32_e32 vcc_lo, 0xff, v1
	s_delay_alu instid0(VALU_DEP_2) | instskip(NEXT) | instid1(VALU_DEP_1)
	v_add_nc_u32_e32 v8, v60, v8
	v_add_nc_u32_e32 v9, v8, v9
	s_delay_alu instid0(VALU_DEP_1) | instskip(NEXT) | instid1(VALU_DEP_1)
	v_add_nc_u32_e32 v6, v9, v6
	v_add_nc_u32_e32 v7, v6, v7
	s_delay_alu instid0(VALU_DEP_1) | instskip(NEXT) | instid1(VALU_DEP_1)
	;; [unrolled: 3-line block ×3, first 2 shown]
	v_add_nc_u32_e32 v2, v5, v2
	v_add_nc_u32_e32 v3, v2, v3
	ds_store_2addr_b32 v13, v60, v8 offset0:16 offset1:17
	ds_store_2addr_b32 v13, v9, v6 offset0:18 offset1:19
	;; [unrolled: 1-line block ×4, first 2 shown]
	ds_store_b32 v13, v3 offset:96
	s_wait_dscnt 0x0
	s_barrier_signal -1
	s_barrier_wait -1
	ds_load_b32 v61, v16 offset:64
	ds_load_b32 v62, v20 offset:64
	ds_load_b32 v60, v24 offset:64
	ds_load_b32 v24, v28 offset:64
	ds_load_b32 v20, v32 offset:64
	ds_load_b32 v16, v37 offset:64
	ds_load_b32 v13, v42 offset:64
	ds_load_b32 v9, v47 offset:64
	ds_load_b32 v8, v51 offset:64
	ds_load_b32 v7, v55 offset:64
	ds_load_b32 v6, v58 offset:64
	ds_load_b32 v5, v59 offset:64
	v_mov_b64_e32 v[2:3], 0
                                        ; implicit-def: $vgpr4
	s_and_saveexec_b32 s4, s2
	s_cbranch_execz .LBB620_59
; %bb.56:
	v_mul_u32_u24_e32 v2, 0x44, v1
	v_dual_mov_b32 v3, 0x1800 :: v_dual_add_nc_u32 v4, 1, v1
	s_mov_b32 s5, exec_lo
	ds_load_b32 v2, v2 offset:64
	v_cmpx_ne_u32_e32 0x100, v4
; %bb.57:
	v_mul_u32_u24_e32 v3, 0x44, v4
	ds_load_b32 v3, v3 offset:64
; %bb.58:
	s_or_b32 exec_lo, exec_lo, s5
	s_wait_dscnt 0x0
	v_dual_mov_b32 v3, 0 :: v_dual_sub_nc_u32 v4, v3, v2
.LBB620_59:
	s_or_b32 exec_lo, exec_lo, s4
	s_wait_dscnt 0xa
	v_dual_lshlrev_b32 v11, 1, v11 :: v_dual_lshlrev_b32 v28, 1, v62
	v_dual_lshlrev_b32 v19, 1, v19 :: v_dual_lshlrev_b32 v18, 1, v18
	v_lshlrev_b32_e32 v22, 1, v22
	s_delay_alu instid0(VALU_DEP_3)
	v_lshl_add_u32 v11, v61, 1, v11
	v_lshlrev_b32_e32 v23, 1, v23
	s_wait_dscnt 0x0
	v_add3_u32 v18, v28, v19, v18
	v_lshlrev_b32_e32 v19, 1, v60
	s_barrier_signal -1
	s_barrier_wait -1
	ds_store_b16 v11, v10 offset:2048
	ds_store_b16 v18, v12 offset:2048
	v_lshlrev_b32_e32 v11, 1, v24
	v_add3_u32 v10, v19, v23, v22
	v_dual_lshlrev_b32 v12, 1, v27 :: v_dual_lshlrev_b32 v18, 1, v26
	v_dual_lshlrev_b32 v22, 1, v29 :: v_dual_lshlrev_b32 v16, 1, v16
	;; [unrolled: 1-line block ×6, first 2 shown]
	ds_store_b16 v10, v17 offset:2048
	v_add3_u32 v10, v11, v12, v18
	v_add3_u32 v12, v16, v23, v24
	v_dual_lshlrev_b32 v16, 1, v43 :: v_dual_lshlrev_b32 v17, 1, v41
	v_add3_u32 v11, v19, v20, v22
	v_add3_u32 v13, v13, v26, v27
	ds_store_b16 v10, v21 offset:2048
	ds_store_b16 v11, v25 offset:2048
	;; [unrolled: 1-line block ×4, first 2 shown]
	v_add3_u32 v9, v9, v16, v17
	v_dual_lshlrev_b32 v8, 1, v8 :: v_dual_lshlrev_b32 v10, 1, v46
	v_dual_lshlrev_b32 v11, 1, v44 :: v_dual_lshlrev_b32 v7, 1, v7
	;; [unrolled: 1-line block ×6, first 2 shown]
	ds_store_b16 v9, v36 offset:2048
	v_add3_u32 v8, v8, v10, v11
	v_add3_u32 v9, v7, v12, v13
	;; [unrolled: 1-line block ×3, first 2 shown]
	v_dual_mov_b32 v7, 0 :: v_dual_lshlrev_b32 v5, 3, v1
	v_add3_u32 v6, v6, v16, v17
	ds_store_b16 v8, v40 offset:2048
	ds_store_b16 v9, v45 offset:2048
	;; [unrolled: 1-line block ×4, first 2 shown]
	s_and_saveexec_b32 s3, s2
	s_cbranch_execz .LBB620_69
; %bb.60:
	v_lshl_add_u32 v6, s9, 8, v1
	v_dual_mov_b32 v10, 0 :: v_dual_bitop2_b32 v11, 2.0, v4 bitop3:0x54
	s_mov_b32 s4, 0
	s_mov_b32 s5, s9
	s_delay_alu instid0(VALU_DEP_2)
	v_lshl_add_u64 v[8:9], v[6:7], 2, s[10:11]
	global_store_b32 v6, v11, s[10:11] scale_offset scope:SCOPE_DEV
                                        ; implicit-def: $sgpr2
	s_branch .LBB620_63
.LBB620_61:                             ;   in Loop: Header=BB620_63 Depth=1
	s_or_b32 exec_lo, exec_lo, s7
.LBB620_62:                             ;   in Loop: Header=BB620_63 Depth=1
	s_delay_alu instid0(SALU_CYCLE_1) | instskip(SKIP_2) | instid1(VALU_DEP_2)
	s_or_b32 exec_lo, exec_lo, s6
	v_and_b32_e32 v6, 0x3fffffff, v11
	v_cmp_gt_i32_e64 s2, -2.0, v11
	v_add_nc_u32_e32 v10, v6, v10
	s_and_b32 s6, exec_lo, s2
	s_delay_alu instid0(SALU_CYCLE_1) | instskip(NEXT) | instid1(SALU_CYCLE_1)
	s_or_b32 s4, s6, s4
	s_and_not1_b32 exec_lo, exec_lo, s4
	s_cbranch_execz .LBB620_68
.LBB620_63:                             ; =>This Loop Header: Depth=1
                                        ;     Child Loop BB620_66 Depth 2
	s_or_b32 s2, s2, exec_lo
	s_cmp_eq_u32 s5, 0
	s_cbranch_scc1 .LBB620_67
; %bb.64:                               ;   in Loop: Header=BB620_63 Depth=1
	s_add_co_i32 s5, s5, -1
	s_mov_b32 s6, exec_lo
	s_wait_xcnt 0x0
	v_lshl_or_b32 v6, s5, 8, v1
	global_load_b32 v11, v6, s[10:11] scale_offset scope:SCOPE_DEV
	s_wait_loadcnt 0x0
	v_cmpx_gt_u32_e32 2.0, v11
	s_cbranch_execz .LBB620_62
; %bb.65:                               ;   in Loop: Header=BB620_63 Depth=1
	v_lshl_add_u64 v[12:13], v[6:7], 2, s[10:11]
	s_mov_b32 s7, 0
.LBB620_66:                             ;   Parent Loop BB620_63 Depth=1
                                        ; =>  This Inner Loop Header: Depth=2
	global_load_b32 v11, v[12:13], off scope:SCOPE_DEV
	s_wait_loadcnt 0x0
	v_cmp_lt_u32_e64 s2, 0x3fffffff, v11
	s_or_b32 s7, s2, s7
	s_wait_xcnt 0x0
	s_and_not1_b32 exec_lo, exec_lo, s7
	s_cbranch_execnz .LBB620_66
	s_branch .LBB620_61
.LBB620_67:                             ;   in Loop: Header=BB620_63 Depth=1
                                        ; implicit-def: $sgpr5
	s_and_b32 s6, exec_lo, s2
	s_delay_alu instid0(SALU_CYCLE_1)
	s_or_b32 s4, s6, s4
	s_wait_xcnt 0x0
	s_and_not1_b32 exec_lo, exec_lo, s4
	s_cbranch_execnz .LBB620_63
.LBB620_68:
	s_or_b32 exec_lo, exec_lo, s4
	v_dual_mov_b32 v11, 0 :: v_dual_add_nc_u32 v6, v10, v4
	s_delay_alu instid0(VALU_DEP_1) | instskip(SKIP_4) | instid1(VALU_DEP_1)
	v_or_b32_e32 v6, 0x80000000, v6
	global_store_b32 v[8:9], v6, off scope:SCOPE_DEV
	global_load_b64 v[6:7], v1, s[12:13] scale_offset
	v_sub_nc_u64_e32 v[8:9], v[10:11], v[2:3]
	s_wait_loadcnt 0x0
	v_add_nc_u64_e32 v[6:7], v[8:9], v[6:7]
	ds_store_b64 v5, v[6:7]
.LBB620_69:
	s_wait_xcnt 0x0
	s_or_b32 exec_lo, exec_lo, s3
	v_mad_i32_i24 v8, v1, -6, v5
	v_lshlrev_b32_e32 v6, 1, v1
	s_mov_b32 s3, exec_lo
	s_wait_storecnt_dscnt 0x0
	s_barrier_signal -1
	s_barrier_wait -1
	v_cmpx_gt_u32_e64 s22, v1
	s_cbranch_execz .LBB620_71
; %bb.70:
	ds_load_u16 v9, v8 offset:2048
	s_wait_dscnt 0x0
	v_and_b32_e32 v7, 0xffff, v9
	s_delay_alu instid0(VALU_DEP_1) | instskip(NEXT) | instid1(VALU_DEP_1)
	v_lshrrev_b32_e32 v7, s20, v7
	v_and_b32_e32 v7, s25, v7
	s_delay_alu instid0(VALU_DEP_1) | instskip(SKIP_4) | instid1(VALU_DEP_1)
	v_lshlrev_b32_e32 v7, 3, v7
	ds_load_b64 v[10:11], v7
	v_mov_b32_e32 v7, 0
	s_wait_dscnt 0x0
	v_lshl_add_u64 v[10:11], v[10:11], 1, s[18:19]
	v_add_nc_u64_e32 v[10:11], v[10:11], v[6:7]
	v_xor_b32_e32 v7, 0x7fff, v9
	global_store_b16 v[10:11], v7, off
.LBB620_71:
	s_wait_xcnt 0x0
	s_or_b32 exec_lo, exec_lo, s3
	v_add_nc_u32_e32 v7, 0x200, v1
	s_mov_b32 s3, exec_lo
	s_delay_alu instid0(VALU_DEP_1)
	v_cmpx_gt_u32_e64 s22, v7
	s_cbranch_execz .LBB620_73
; %bb.72:
	ds_load_u16 v9, v8 offset:3072
	s_wait_dscnt 0x0
	v_and_b32_e32 v7, 0xffff, v9
	s_delay_alu instid0(VALU_DEP_1) | instskip(NEXT) | instid1(VALU_DEP_1)
	v_lshrrev_b32_e32 v7, s20, v7
	v_and_b32_e32 v7, s25, v7
	s_delay_alu instid0(VALU_DEP_1) | instskip(SKIP_4) | instid1(VALU_DEP_1)
	v_lshlrev_b32_e32 v7, 3, v7
	ds_load_b64 v[10:11], v7
	v_mov_b32_e32 v7, 0
	s_wait_dscnt 0x0
	v_lshl_add_u64 v[10:11], v[10:11], 1, s[18:19]
	v_add_nc_u64_e32 v[10:11], v[10:11], v[6:7]
	v_xor_b32_e32 v7, 0x7fff, v9
	global_store_b16 v[10:11], v7, off offset:1024
.LBB620_73:
	s_wait_xcnt 0x0
	s_or_b32 exec_lo, exec_lo, s3
	v_or_b32_e32 v7, 0x400, v1
	s_mov_b32 s3, exec_lo
	s_delay_alu instid0(VALU_DEP_1)
	v_cmpx_gt_u32_e64 s22, v7
	s_cbranch_execz .LBB620_75
; %bb.74:
	ds_load_u16 v9, v8 offset:4096
	s_wait_dscnt 0x0
	v_and_b32_e32 v7, 0xffff, v9
	s_delay_alu instid0(VALU_DEP_1) | instskip(NEXT) | instid1(VALU_DEP_1)
	v_lshrrev_b32_e32 v7, s20, v7
	v_and_b32_e32 v7, s25, v7
	s_delay_alu instid0(VALU_DEP_1) | instskip(SKIP_4) | instid1(VALU_DEP_1)
	v_lshlrev_b32_e32 v7, 3, v7
	ds_load_b64 v[10:11], v7
	v_mov_b32_e32 v7, 0
	s_wait_dscnt 0x0
	v_lshl_add_u64 v[10:11], v[10:11], 1, s[18:19]
	v_add_nc_u64_e32 v[10:11], v[10:11], v[6:7]
	v_xor_b32_e32 v7, 0x7fff, v9
	global_store_b16 v[10:11], v7, off offset:2048
.LBB620_75:
	s_wait_xcnt 0x0
	s_or_b32 exec_lo, exec_lo, s3
	v_add_nc_u32_e32 v7, 0x600, v1
	s_mov_b32 s3, exec_lo
	s_delay_alu instid0(VALU_DEP_1)
	v_cmpx_gt_u32_e64 s22, v7
	s_cbranch_execz .LBB620_77
; %bb.76:
	ds_load_u16 v9, v8 offset:5120
	s_wait_dscnt 0x0
	v_and_b32_e32 v7, 0xffff, v9
	s_delay_alu instid0(VALU_DEP_1) | instskip(NEXT) | instid1(VALU_DEP_1)
	v_lshrrev_b32_e32 v7, s20, v7
	v_and_b32_e32 v7, s25, v7
	s_delay_alu instid0(VALU_DEP_1) | instskip(SKIP_4) | instid1(VALU_DEP_1)
	v_lshlrev_b32_e32 v7, 3, v7
	ds_load_b64 v[10:11], v7
	v_mov_b32_e32 v7, 0
	s_wait_dscnt 0x0
	v_lshl_add_u64 v[10:11], v[10:11], 1, s[18:19]
	v_add_nc_u64_e32 v[10:11], v[10:11], v[6:7]
	v_xor_b32_e32 v7, 0x7fff, v9
	global_store_b16 v[10:11], v7, off offset:3072
.LBB620_77:
	s_wait_xcnt 0x0
	s_or_b32 exec_lo, exec_lo, s3
	v_or_b32_e32 v7, 0x800, v1
	s_mov_b32 s3, exec_lo
	s_delay_alu instid0(VALU_DEP_1)
	v_cmpx_gt_u32_e64 s22, v7
	s_cbranch_execz .LBB620_79
; %bb.78:
	ds_load_u16 v9, v8 offset:6144
	s_wait_dscnt 0x0
	v_and_b32_e32 v7, 0xffff, v9
	s_delay_alu instid0(VALU_DEP_1) | instskip(NEXT) | instid1(VALU_DEP_1)
	v_lshrrev_b32_e32 v7, s20, v7
	v_and_b32_e32 v7, s25, v7
	s_delay_alu instid0(VALU_DEP_1) | instskip(SKIP_4) | instid1(VALU_DEP_1)
	v_lshlrev_b32_e32 v7, 3, v7
	ds_load_b64 v[10:11], v7
	v_mov_b32_e32 v7, 0
	s_wait_dscnt 0x0
	v_lshl_add_u64 v[10:11], v[10:11], 1, s[18:19]
	v_add_nc_u64_e32 v[10:11], v[10:11], v[6:7]
	v_xor_b32_e32 v7, 0x7fff, v9
	global_store_b16 v[10:11], v7, off offset:4096
.LBB620_79:
	;; [unrolled: 48-line block ×5, first 2 shown]
	s_wait_xcnt 0x0
	s_or_b32 exec_lo, exec_lo, s3
	v_add_nc_u32_e32 v7, 0x1600, v1
	s_mov_b32 s3, exec_lo
	s_delay_alu instid0(VALU_DEP_1)
	v_cmpx_gt_u32_e64 s22, v7
	s_cbranch_execz .LBB620_93
; %bb.92:
	ds_load_u16 v10, v6 offset:13312
	s_wait_dscnt 0x0
	v_and_b32_e32 v7, 0xffff, v10
	s_delay_alu instid0(VALU_DEP_1) | instskip(NEXT) | instid1(VALU_DEP_1)
	v_lshrrev_b32_e32 v7, s20, v7
	v_and_b32_e32 v7, s25, v7
	s_delay_alu instid0(VALU_DEP_1) | instskip(SKIP_4) | instid1(VALU_DEP_1)
	v_lshlrev_b32_e32 v7, 3, v7
	ds_load_b64 v[8:9], v7
	v_mov_b32_e32 v7, 0
	s_wait_dscnt 0x0
	v_lshl_add_u64 v[8:9], v[8:9], 1, s[18:19]
	v_add_nc_u64_e32 v[6:7], v[8:9], v[6:7]
	v_xor_b32_e32 v8, 0x7fff, v10
	global_store_b16 v[6:7], v8, off offset:11264
.LBB620_93:
	s_wait_xcnt 0x0
	s_or_b32 exec_lo, exec_lo, s3
	s_add_co_i32 s23, s23, -1
	s_delay_alu instid0(SALU_CYCLE_1) | instskip(SKIP_2) | instid1(SALU_CYCLE_1)
	s_cmp_eq_u32 s9, s23
	s_cselect_b32 s2, -1, 0
	s_xor_b32 s3, vcc_lo, -1
	s_and_b32 s3, s3, s2
	s_delay_alu instid0(SALU_CYCLE_1)
	s_and_saveexec_b32 s2, s3
	s_cbranch_execz .LBB620_95
; %bb.94:
	ds_load_b64 v[6:7], v5
	v_mov_b32_e32 v5, 0
	s_delay_alu instid0(VALU_DEP_1) | instskip(SKIP_1) | instid1(VALU_DEP_1)
	v_add_nc_u64_e32 v[2:3], v[2:3], v[4:5]
	s_wait_dscnt 0x0
	v_add_nc_u64_e32 v[2:3], v[2:3], v[6:7]
	global_store_b64 v1, v[2:3], s[14:15] scale_offset
.LBB620_95:
	s_wait_xcnt 0x0
	s_or_b32 exec_lo, exec_lo, s2
	s_mov_b32 s2, 0
.LBB620_96:
	s_delay_alu instid0(SALU_CYCLE_1)
	s_and_b32 vcc_lo, exec_lo, s2
	s_cbranch_vccz .LBB620_143
; %bb.97:
	s_mov_b32 s25, 0
	v_dual_mov_b32 v9, 0 :: v_dual_lshlrev_b32 v8, 1, v14
	s_lshl_b64 s[2:3], s[24:25], 1
	v_mul_u32_u24_e32 v1, 12, v15
	s_add_nc_u64 s[2:3], s[16:17], s[2:3]
	v_bfe_u32 v17, v0, 20, 10
	v_add_nc_u64_e32 v[2:3], s[2:3], v[8:9]
	s_delay_alu instid0(VALU_DEP_3) | instskip(NEXT) | instid1(VALU_DEP_1)
	v_lshlrev_b32_e32 v8, 1, v1
	v_add_nc_u64_e32 v[12:13], v[2:3], v[8:9]
	s_clause 0xb
	global_load_u16 v8, v[12:13], off
	global_load_u16 v10, v[12:13], off offset:64
	global_load_u16 v16, v[12:13], off offset:128
	;; [unrolled: 1-line block ×11, first 2 shown]
	s_clause 0x1
	s_load_b32 s7, s[0:1], 0x58
	s_load_u16 s2, s[0:1], 0x66
	v_bfe_u32 v13, v0, 10, 10
	v_and_b32_e32 v12, 0x3ff, v0
	s_wait_kmcnt 0x0
	s_cmp_lt_u32 s9, s7
	s_delay_alu instid0(VALU_DEP_2)
	v_mad_u32_u24 v0, v17, s2, v13
	s_cselect_b32 s24, 12, 18
	s_lshl_b32 s8, -1, s21
	s_add_nc_u64 s[0:1], s[26:27], s[24:25]
	s_load_u16 s16, s[0:1], 0x0
	s_wait_kmcnt 0x0
	v_mad_u32 v0, v0, s16, v12
	s_delay_alu instid0(VALU_DEP_1) | instskip(NEXT) | instid1(VALU_DEP_1)
	v_lshrrev_b32_e32 v0, 5, v0
	v_lshlrev_b32_e32 v0, 2, v0
	s_wait_loadcnt 0xb
	v_xor_b32_e32 v8, 0x7fff, v8
	s_delay_alu instid0(VALU_DEP_1) | instskip(NEXT) | instid1(VALU_DEP_1)
	v_and_b32_e32 v11, 0xffff, v8
	v_lshrrev_b32_e32 v11, s20, v11
	s_delay_alu instid0(VALU_DEP_1) | instskip(SKIP_2) | instid1(VALU_DEP_2)
	v_bitop3_b32 v13, v11, 1, s8 bitop3:0x40
	v_bitop3_b32 v18, v11, s8, v11 bitop3:0x30
	s_not_b32 s8, s8
	v_add_co_u32 v11, s0, v13, -1
	s_delay_alu instid0(VALU_DEP_1) | instskip(NEXT) | instid1(VALU_DEP_3)
	v_cndmask_b32_e64 v13, 0, 1, s0
	v_dual_lshlrev_b32 v17, 30, v18 :: v_dual_lshlrev_b32 v19, 29, v18
	v_dual_lshlrev_b32 v21, 28, v18 :: v_dual_lshlrev_b32 v22, 27, v18
	s_delay_alu instid0(VALU_DEP_3) | instskip(NEXT) | instid1(VALU_DEP_3)
	v_cmp_ne_u32_e32 vcc_lo, 0, v13
	v_not_b32_e32 v13, v17
	v_dual_lshlrev_b32 v23, 26, v18 :: v_dual_lshlrev_b32 v25, 25, v18
	v_lshlrev_b32_e32 v26, 24, v18
	v_cmp_gt_i32_e64 s0, 0, v17
	v_cmp_gt_i32_e64 s1, 0, v19
	v_not_b32_e32 v17, v19
	v_not_b32_e32 v19, v21
	v_ashrrev_i32_e32 v13, 31, v13
	v_cmp_gt_i32_e64 s2, 0, v21
	v_cmp_gt_i32_e64 s3, 0, v22
	v_not_b32_e32 v21, v22
	v_not_b32_e32 v22, v23
	v_dual_ashrrev_i32 v17, 31, v17 :: v_dual_bitop2_b32 v11, vcc_lo, v11 bitop3:0x14
	v_dual_ashrrev_i32 v19, 31, v19 :: v_dual_bitop2_b32 v13, s0, v13 bitop3:0x14
	v_cmp_gt_i32_e64 s4, 0, v23
	v_cmp_gt_i32_e64 s5, 0, v25
	v_not_b32_e32 v23, v25
	v_not_b32_e32 v25, v26
	v_dual_ashrrev_i32 v21, 31, v21 :: v_dual_ashrrev_i32 v22, 31, v22
	v_xor_b32_e32 v17, s1, v17
	v_xor_b32_e32 v19, s2, v19
	v_bitop3_b32 v11, v11, v13, exec_lo bitop3:0x80
	v_cmp_gt_i32_e64 s6, 0, v26
	v_dual_ashrrev_i32 v13, 31, v23 :: v_dual_ashrrev_i32 v23, 31, v25
	v_xor_b32_e32 v21, s3, v21
	v_xor_b32_e32 v22, s4, v22
	v_bitop3_b32 v11, v11, v19, v17 bitop3:0x80
	s_delay_alu instid0(VALU_DEP_4) | instskip(SKIP_1) | instid1(VALU_DEP_3)
	v_xor_b32_e32 v13, s5, v13
	v_xor_b32_e32 v17, s6, v23
	v_bitop3_b32 v19, v11, v22, v21 bitop3:0x80
	v_mul_u32_u24_e32 v11, 36, v12
	ds_store_2addr_b32 v11, v9, v9 offset0:16 offset1:17
	ds_store_2addr_b32 v11, v9, v9 offset0:18 offset1:19
	;; [unrolled: 1-line block ×4, first 2 shown]
	v_bitop3_b32 v17, v19, v17, v13 bitop3:0x80
	ds_store_b32 v11, v9 offset:96
	v_mad_u32_u24 v13, 0x44, v18, v0
	s_wait_storecnt 0x0
	s_wait_loadcnt_dscnt 0x0
	s_barrier_signal -1
	v_mbcnt_lo_u32_b32 v9, v17, 0
	v_cmp_ne_u32_e64 s0, 0, v17
	s_barrier_wait -1
	s_delay_alu instid0(VALU_DEP_2) | instskip(SKIP_1) | instid1(SALU_CYCLE_1)
	v_cmp_eq_u32_e32 vcc_lo, 0, v9
	; wave barrier
	s_and_b32 s1, s0, vcc_lo
	s_and_saveexec_b32 s0, s1
; %bb.98:
	v_bcnt_u32_b32 v17, v17, 0
	ds_store_b32 v13, v17 offset:64
; %bb.99:
	s_or_b32 exec_lo, exec_lo, s0
	v_xor_b32_e32 v10, 0x7fff, v10
	; wave barrier
	s_delay_alu instid0(VALU_DEP_1) | instskip(NEXT) | instid1(VALU_DEP_1)
	v_and_b32_e32 v17, 0xffff, v10
	v_lshrrev_b32_e32 v17, s20, v17
	s_delay_alu instid0(VALU_DEP_1) | instskip(SKIP_1) | instid1(VALU_DEP_2)
	v_bitop3_b32 v18, v17, 1, s8 bitop3:0x80
	v_and_b32_e32 v17, s8, v17
	v_add_co_u32 v18, s0, v18, -1
	s_delay_alu instid0(VALU_DEP_1) | instskip(NEXT) | instid1(VALU_DEP_3)
	v_cndmask_b32_e64 v19, 0, 1, s0
	v_dual_lshlrev_b32 v21, 30, v17 :: v_dual_lshlrev_b32 v22, 29, v17
	v_lshlrev_b32_e32 v23, 28, v17
	s_delay_alu instid0(VALU_DEP_3) | instskip(NEXT) | instid1(VALU_DEP_3)
	v_cmp_ne_u32_e32 vcc_lo, 0, v19
	v_cmp_gt_i32_e64 s0, 0, v21
	v_not_b32_e32 v19, v21
	v_cmp_gt_i32_e64 s1, 0, v22
	v_not_b32_e32 v21, v22
	v_not_b32_e32 v22, v23
	s_delay_alu instid0(VALU_DEP_4) | instskip(NEXT) | instid1(VALU_DEP_2)
	v_dual_ashrrev_i32 v19, 31, v19 :: v_dual_bitop2_b32 v18, vcc_lo, v18 bitop3:0x14
	v_dual_ashrrev_i32 v21, 31, v21 :: v_dual_ashrrev_i32 v22, 31, v22
	v_dual_lshlrev_b32 v25, 27, v17 :: v_dual_lshlrev_b32 v26, 26, v17
	v_dual_lshlrev_b32 v27, 25, v17 :: v_dual_lshlrev_b32 v28, 24, v17
	v_cmp_gt_i32_e64 s2, 0, v23
	s_delay_alu instid0(VALU_DEP_3)
	v_cmp_gt_i32_e64 s3, 0, v25
	v_not_b32_e32 v23, v25
	v_not_b32_e32 v25, v26
	v_xor_b32_e32 v19, s0, v19
	v_cmp_gt_i32_e64 s4, 0, v26
	v_cmp_gt_i32_e64 s5, 0, v27
	v_not_b32_e32 v26, v27
	v_not_b32_e32 v27, v28
	v_dual_ashrrev_i32 v23, 31, v23 :: v_dual_ashrrev_i32 v25, 31, v25
	s_delay_alu instid0(VALU_DEP_3) | instskip(NEXT) | instid1(VALU_DEP_3)
	v_dual_ashrrev_i32 v26, 31, v26 :: v_dual_bitop2_b32 v21, s1, v21 bitop3:0x14
	v_dual_ashrrev_i32 v27, 31, v27 :: v_dual_bitop2_b32 v22, s2, v22 bitop3:0x14
	v_bitop3_b32 v18, v18, v19, exec_lo bitop3:0x80
	v_cmp_gt_i32_e64 s6, 0, v28
	v_xor_b32_e32 v23, s3, v23
	v_xor_b32_e32 v25, s4, v25
	v_mad_u32_u24 v19, 0x44, v17, v0
	v_bitop3_b32 v18, v18, v22, v21 bitop3:0x80
	v_xor_b32_e32 v21, s5, v26
	v_xor_b32_e32 v22, s6, v27
	ds_load_b32 v17, v19 offset:64
	v_bitop3_b32 v18, v18, v25, v23 bitop3:0x80
	; wave barrier
	s_delay_alu instid0(VALU_DEP_1) | instskip(NEXT) | instid1(VALU_DEP_1)
	v_bitop3_b32 v21, v18, v22, v21 bitop3:0x80
	v_mbcnt_lo_u32_b32 v18, v21, 0
	v_cmp_ne_u32_e64 s0, 0, v21
	s_delay_alu instid0(VALU_DEP_2) | instskip(SKIP_1) | instid1(SALU_CYCLE_1)
	v_cmp_eq_u32_e32 vcc_lo, 0, v18
	s_and_b32 s1, s0, vcc_lo
	s_and_saveexec_b32 s0, s1
	s_cbranch_execz .LBB620_101
; %bb.100:
	s_wait_dscnt 0x0
	v_bcnt_u32_b32 v21, v21, v17
	ds_store_b32 v19, v21 offset:64
.LBB620_101:
	s_or_b32 exec_lo, exec_lo, s0
	v_xor_b32_e32 v16, 0x7fff, v16
	; wave barrier
	s_delay_alu instid0(VALU_DEP_1) | instskip(NEXT) | instid1(VALU_DEP_1)
	v_and_b32_e32 v21, 0xffff, v16
	v_lshrrev_b32_e32 v21, s20, v21
	s_delay_alu instid0(VALU_DEP_1) | instskip(SKIP_1) | instid1(VALU_DEP_2)
	v_bitop3_b32 v22, v21, 1, s8 bitop3:0x80
	v_and_b32_e32 v21, s8, v21
	v_add_co_u32 v22, s0, v22, -1
	s_delay_alu instid0(VALU_DEP_1) | instskip(NEXT) | instid1(VALU_DEP_3)
	v_cndmask_b32_e64 v23, 0, 1, s0
	v_dual_lshlrev_b32 v25, 30, v21 :: v_dual_lshlrev_b32 v26, 29, v21
	v_lshlrev_b32_e32 v27, 28, v21
	s_delay_alu instid0(VALU_DEP_3) | instskip(NEXT) | instid1(VALU_DEP_3)
	v_cmp_ne_u32_e32 vcc_lo, 0, v23
	v_cmp_gt_i32_e64 s0, 0, v25
	v_not_b32_e32 v23, v25
	v_cmp_gt_i32_e64 s1, 0, v26
	v_not_b32_e32 v25, v26
	v_not_b32_e32 v26, v27
	s_delay_alu instid0(VALU_DEP_4) | instskip(NEXT) | instid1(VALU_DEP_2)
	v_dual_ashrrev_i32 v23, 31, v23 :: v_dual_bitop2_b32 v22, vcc_lo, v22 bitop3:0x14
	v_dual_ashrrev_i32 v25, 31, v25 :: v_dual_ashrrev_i32 v26, 31, v26
	v_dual_lshlrev_b32 v28, 27, v21 :: v_dual_lshlrev_b32 v29, 26, v21
	v_dual_lshlrev_b32 v30, 25, v21 :: v_dual_lshlrev_b32 v31, 24, v21
	v_cmp_gt_i32_e64 s2, 0, v27
	s_delay_alu instid0(VALU_DEP_3)
	v_cmp_gt_i32_e64 s3, 0, v28
	v_not_b32_e32 v27, v28
	v_not_b32_e32 v28, v29
	v_xor_b32_e32 v23, s0, v23
	v_cmp_gt_i32_e64 s4, 0, v29
	v_cmp_gt_i32_e64 s5, 0, v30
	v_not_b32_e32 v29, v30
	v_not_b32_e32 v30, v31
	v_dual_ashrrev_i32 v27, 31, v27 :: v_dual_ashrrev_i32 v28, 31, v28
	v_xor_b32_e32 v25, s1, v25
	s_delay_alu instid0(VALU_DEP_4) | instskip(SKIP_4) | instid1(VALU_DEP_4)
	v_dual_ashrrev_i32 v29, 31, v29 :: v_dual_bitop2_b32 v26, s2, v26 bitop3:0x14
	v_bitop3_b32 v22, v22, v23, exec_lo bitop3:0x80
	v_cmp_gt_i32_e64 s6, 0, v31
	v_dual_ashrrev_i32 v30, 31, v30 :: v_dual_bitop2_b32 v27, s3, v27 bitop3:0x14
	v_xor_b32_e32 v28, s4, v28
	v_bitop3_b32 v22, v22, v26, v25 bitop3:0x80
	v_mad_u32_u24 v23, 0x44, v21, v0
	v_xor_b32_e32 v25, s5, v29
	v_xor_b32_e32 v26, s6, v30
	s_delay_alu instid0(VALU_DEP_4) | instskip(SKIP_2) | instid1(VALU_DEP_1)
	v_bitop3_b32 v22, v22, v28, v27 bitop3:0x80
	ds_load_b32 v21, v23 offset:64
	; wave barrier
	v_bitop3_b32 v25, v22, v26, v25 bitop3:0x80
	v_mbcnt_lo_u32_b32 v22, v25, 0
	v_cmp_ne_u32_e64 s0, 0, v25
	s_delay_alu instid0(VALU_DEP_2) | instskip(SKIP_1) | instid1(SALU_CYCLE_1)
	v_cmp_eq_u32_e32 vcc_lo, 0, v22
	s_and_b32 s1, s0, vcc_lo
	s_and_saveexec_b32 s0, s1
	s_cbranch_execz .LBB620_103
; %bb.102:
	s_wait_dscnt 0x0
	v_bcnt_u32_b32 v25, v25, v21
	ds_store_b32 v23, v25 offset:64
.LBB620_103:
	s_or_b32 exec_lo, exec_lo, s0
	v_xor_b32_e32 v20, 0x7fff, v20
	; wave barrier
	s_delay_alu instid0(VALU_DEP_1) | instskip(NEXT) | instid1(VALU_DEP_1)
	v_and_b32_e32 v25, 0xffff, v20
	v_lshrrev_b32_e32 v25, s20, v25
	s_delay_alu instid0(VALU_DEP_1) | instskip(SKIP_1) | instid1(VALU_DEP_2)
	v_bitop3_b32 v26, v25, 1, s8 bitop3:0x80
	v_and_b32_e32 v25, s8, v25
	v_add_co_u32 v26, s0, v26, -1
	s_delay_alu instid0(VALU_DEP_1) | instskip(NEXT) | instid1(VALU_DEP_3)
	v_cndmask_b32_e64 v27, 0, 1, s0
	v_dual_lshlrev_b32 v28, 30, v25 :: v_dual_lshlrev_b32 v29, 29, v25
	s_delay_alu instid0(VALU_DEP_2) | instskip(NEXT) | instid1(VALU_DEP_2)
	v_cmp_ne_u32_e32 vcc_lo, 0, v27
	v_cmp_gt_i32_e64 s0, 0, v28
	v_not_b32_e32 v27, v28
	s_delay_alu instid0(VALU_DEP_4) | instskip(SKIP_1) | instid1(VALU_DEP_3)
	v_not_b32_e32 v28, v29
	v_cmp_gt_i32_e64 s1, 0, v29
	v_dual_ashrrev_i32 v27, 31, v27 :: v_dual_bitop2_b32 v26, vcc_lo, v26 bitop3:0x14
	s_delay_alu instid0(VALU_DEP_3) | instskip(SKIP_2) | instid1(VALU_DEP_3)
	v_dual_ashrrev_i32 v28, 31, v28 :: v_dual_lshlrev_b32 v30, 28, v25
	v_dual_lshlrev_b32 v31, 27, v25 :: v_dual_lshlrev_b32 v32, 26, v25
	v_dual_lshlrev_b32 v33, 25, v25 :: v_dual_lshlrev_b32 v34, 24, v25
	v_not_b32_e32 v29, v30
	v_cmp_gt_i32_e64 s2, 0, v30
	s_delay_alu instid0(VALU_DEP_4)
	v_cmp_gt_i32_e64 s3, 0, v31
	v_not_b32_e32 v30, v31
	v_not_b32_e32 v31, v32
	v_dual_ashrrev_i32 v29, 31, v29 :: v_dual_bitop2_b32 v27, s0, v27 bitop3:0x14
	v_cmp_gt_i32_e64 s4, 0, v32
	v_cmp_gt_i32_e64 s5, 0, v33
	v_not_b32_e32 v32, v33
	v_not_b32_e32 v33, v34
	v_dual_ashrrev_i32 v30, 31, v30 :: v_dual_ashrrev_i32 v31, 31, v31
	v_xor_b32_e32 v28, s1, v28
	s_delay_alu instid0(VALU_DEP_4) | instskip(SKIP_4) | instid1(VALU_DEP_4)
	v_dual_ashrrev_i32 v32, 31, v32 :: v_dual_bitop2_b32 v29, s2, v29 bitop3:0x14
	v_bitop3_b32 v26, v26, v27, exec_lo bitop3:0x80
	v_cmp_gt_i32_e64 s6, 0, v34
	v_dual_ashrrev_i32 v33, 31, v33 :: v_dual_bitop2_b32 v30, s3, v30 bitop3:0x14
	v_xor_b32_e32 v31, s4, v31
	v_bitop3_b32 v26, v26, v29, v28 bitop3:0x80
	v_mad_u32_u24 v27, 0x44, v25, v0
	v_xor_b32_e32 v28, s5, v32
	v_xor_b32_e32 v29, s6, v33
	s_delay_alu instid0(VALU_DEP_4) | instskip(SKIP_2) | instid1(VALU_DEP_1)
	v_bitop3_b32 v26, v26, v31, v30 bitop3:0x80
	ds_load_b32 v25, v27 offset:64
	; wave barrier
	v_bitop3_b32 v28, v26, v29, v28 bitop3:0x80
	v_mbcnt_lo_u32_b32 v26, v28, 0
	v_cmp_ne_u32_e64 s0, 0, v28
	s_delay_alu instid0(VALU_DEP_2) | instskip(SKIP_1) | instid1(SALU_CYCLE_1)
	v_cmp_eq_u32_e32 vcc_lo, 0, v26
	s_and_b32 s1, s0, vcc_lo
	s_and_saveexec_b32 s0, s1
	s_cbranch_execz .LBB620_105
; %bb.104:
	s_wait_dscnt 0x0
	v_bcnt_u32_b32 v28, v28, v25
	ds_store_b32 v27, v28 offset:64
.LBB620_105:
	s_or_b32 exec_lo, exec_lo, s0
	v_xor_b32_e32 v24, 0x7fff, v24
	; wave barrier
	s_delay_alu instid0(VALU_DEP_1) | instskip(NEXT) | instid1(VALU_DEP_1)
	v_and_b32_e32 v28, 0xffff, v24
	v_lshrrev_b32_e32 v28, s20, v28
	s_delay_alu instid0(VALU_DEP_1) | instskip(SKIP_1) | instid1(VALU_DEP_2)
	v_bitop3_b32 v29, v28, 1, s8 bitop3:0x80
	v_and_b32_e32 v28, s8, v28
	v_add_co_u32 v29, s0, v29, -1
	s_delay_alu instid0(VALU_DEP_1) | instskip(NEXT) | instid1(VALU_DEP_3)
	v_cndmask_b32_e64 v30, 0, 1, s0
	v_dual_lshlrev_b32 v31, 30, v28 :: v_dual_lshlrev_b32 v32, 29, v28
	s_delay_alu instid0(VALU_DEP_2) | instskip(NEXT) | instid1(VALU_DEP_2)
	v_cmp_ne_u32_e32 vcc_lo, 0, v30
	v_cmp_gt_i32_e64 s0, 0, v31
	v_not_b32_e32 v30, v31
	s_delay_alu instid0(VALU_DEP_4) | instskip(SKIP_1) | instid1(VALU_DEP_3)
	v_not_b32_e32 v31, v32
	v_cmp_gt_i32_e64 s1, 0, v32
	v_dual_ashrrev_i32 v30, 31, v30 :: v_dual_bitop2_b32 v29, vcc_lo, v29 bitop3:0x14
	s_delay_alu instid0(VALU_DEP_3) | instskip(SKIP_2) | instid1(VALU_DEP_3)
	v_dual_ashrrev_i32 v31, 31, v31 :: v_dual_lshlrev_b32 v33, 28, v28
	v_dual_lshlrev_b32 v34, 27, v28 :: v_dual_lshlrev_b32 v35, 26, v28
	v_dual_lshlrev_b32 v36, 25, v28 :: v_dual_lshlrev_b32 v37, 24, v28
	v_not_b32_e32 v32, v33
	v_cmp_gt_i32_e64 s2, 0, v33
	s_delay_alu instid0(VALU_DEP_4)
	v_cmp_gt_i32_e64 s3, 0, v34
	v_not_b32_e32 v33, v34
	v_not_b32_e32 v34, v35
	v_dual_ashrrev_i32 v32, 31, v32 :: v_dual_bitop2_b32 v30, s0, v30 bitop3:0x14
	v_cmp_gt_i32_e64 s4, 0, v35
	v_cmp_gt_i32_e64 s5, 0, v36
	v_not_b32_e32 v35, v36
	v_not_b32_e32 v36, v37
	v_dual_ashrrev_i32 v33, 31, v33 :: v_dual_ashrrev_i32 v34, 31, v34
	v_xor_b32_e32 v31, s1, v31
	v_xor_b32_e32 v32, s2, v32
	v_bitop3_b32 v29, v29, v30, exec_lo bitop3:0x80
	v_cmp_gt_i32_e64 s6, 0, v37
	v_dual_ashrrev_i32 v30, 31, v35 :: v_dual_ashrrev_i32 v35, 31, v36
	v_xor_b32_e32 v33, s3, v33
	v_xor_b32_e32 v34, s4, v34
	v_bitop3_b32 v29, v29, v32, v31 bitop3:0x80
	v_mad_u32_u24 v31, 0x44, v28, v0
	v_xor_b32_e32 v30, s5, v30
	v_xor_b32_e32 v32, s6, v35
	s_delay_alu instid0(VALU_DEP_4) | instskip(SKIP_2) | instid1(VALU_DEP_1)
	v_bitop3_b32 v29, v29, v34, v33 bitop3:0x80
	ds_load_b32 v28, v31 offset:64
	; wave barrier
	v_bitop3_b32 v29, v29, v32, v30 bitop3:0x80
	v_mbcnt_lo_u32_b32 v30, v29, 0
	v_cmp_ne_u32_e64 s0, 0, v29
	s_delay_alu instid0(VALU_DEP_2) | instskip(SKIP_1) | instid1(SALU_CYCLE_1)
	v_cmp_eq_u32_e32 vcc_lo, 0, v30
	s_and_b32 s1, s0, vcc_lo
	s_and_saveexec_b32 s0, s1
	s_cbranch_execz .LBB620_107
; %bb.106:
	s_wait_dscnt 0x0
	v_bcnt_u32_b32 v29, v29, v28
	ds_store_b32 v31, v29 offset:64
.LBB620_107:
	s_or_b32 exec_lo, exec_lo, s0
	v_xor_b32_e32 v29, 0x7fff, v7
	; wave barrier
	s_delay_alu instid0(VALU_DEP_1) | instskip(NEXT) | instid1(VALU_DEP_1)
	v_and_b32_e32 v7, 0xffff, v29
	v_lshrrev_b32_e32 v7, s20, v7
	s_delay_alu instid0(VALU_DEP_1) | instskip(SKIP_1) | instid1(VALU_DEP_2)
	v_bitop3_b32 v32, v7, 1, s8 bitop3:0x80
	v_and_b32_e32 v7, s8, v7
	v_add_co_u32 v32, s0, v32, -1
	s_delay_alu instid0(VALU_DEP_1) | instskip(NEXT) | instid1(VALU_DEP_3)
	v_cndmask_b32_e64 v33, 0, 1, s0
	v_dual_lshlrev_b32 v34, 30, v7 :: v_dual_lshlrev_b32 v35, 29, v7
	s_delay_alu instid0(VALU_DEP_2) | instskip(NEXT) | instid1(VALU_DEP_2)
	v_cmp_ne_u32_e32 vcc_lo, 0, v33
	v_cmp_gt_i32_e64 s0, 0, v34
	v_not_b32_e32 v33, v34
	s_delay_alu instid0(VALU_DEP_4) | instskip(SKIP_1) | instid1(VALU_DEP_3)
	v_not_b32_e32 v34, v35
	v_cmp_gt_i32_e64 s1, 0, v35
	v_dual_ashrrev_i32 v33, 31, v33 :: v_dual_bitop2_b32 v32, vcc_lo, v32 bitop3:0x14
	s_delay_alu instid0(VALU_DEP_3) | instskip(SKIP_2) | instid1(VALU_DEP_3)
	v_dual_ashrrev_i32 v34, 31, v34 :: v_dual_lshlrev_b32 v36, 28, v7
	v_dual_lshlrev_b32 v37, 27, v7 :: v_dual_lshlrev_b32 v38, 26, v7
	v_dual_lshlrev_b32 v39, 25, v7 :: v_dual_lshlrev_b32 v40, 24, v7
	v_not_b32_e32 v35, v36
	v_cmp_gt_i32_e64 s2, 0, v36
	s_delay_alu instid0(VALU_DEP_4)
	v_cmp_gt_i32_e64 s3, 0, v37
	v_not_b32_e32 v36, v37
	v_not_b32_e32 v37, v38
	v_dual_ashrrev_i32 v35, 31, v35 :: v_dual_bitop2_b32 v33, s0, v33 bitop3:0x14
	v_cmp_gt_i32_e64 s4, 0, v38
	v_cmp_gt_i32_e64 s5, 0, v39
	v_not_b32_e32 v38, v39
	v_not_b32_e32 v39, v40
	v_dual_ashrrev_i32 v36, 31, v36 :: v_dual_ashrrev_i32 v37, 31, v37
	v_xor_b32_e32 v34, s1, v34
	v_xor_b32_e32 v35, s2, v35
	v_bitop3_b32 v32, v32, v33, exec_lo bitop3:0x80
	v_cmp_gt_i32_e64 s6, 0, v40
	v_dual_ashrrev_i32 v33, 31, v38 :: v_dual_ashrrev_i32 v38, 31, v39
	v_xor_b32_e32 v36, s3, v36
	v_xor_b32_e32 v37, s4, v37
	v_bitop3_b32 v32, v32, v35, v34 bitop3:0x80
	v_mad_u32_u24 v35, 0x44, v7, v0
	v_xor_b32_e32 v7, s5, v33
	v_xor_b32_e32 v33, s6, v38
	s_delay_alu instid0(VALU_DEP_4) | instskip(SKIP_2) | instid1(VALU_DEP_1)
	v_bitop3_b32 v34, v32, v37, v36 bitop3:0x80
	ds_load_b32 v32, v35 offset:64
	; wave barrier
	v_bitop3_b32 v7, v34, v33, v7 bitop3:0x80
	v_mbcnt_lo_u32_b32 v34, v7, 0
	v_cmp_ne_u32_e64 s0, 0, v7
	s_delay_alu instid0(VALU_DEP_2) | instskip(SKIP_1) | instid1(SALU_CYCLE_1)
	v_cmp_eq_u32_e32 vcc_lo, 0, v34
	s_and_b32 s1, s0, vcc_lo
	s_and_saveexec_b32 s0, s1
	s_cbranch_execz .LBB620_109
; %bb.108:
	s_wait_dscnt 0x0
	v_bcnt_u32_b32 v7, v7, v32
	ds_store_b32 v35, v7 offset:64
.LBB620_109:
	s_or_b32 exec_lo, exec_lo, s0
	v_xor_b32_e32 v33, 0x7fff, v6
	; wave barrier
	s_delay_alu instid0(VALU_DEP_1) | instskip(NEXT) | instid1(VALU_DEP_1)
	v_and_b32_e32 v6, 0xffff, v33
	v_lshrrev_b32_e32 v6, s20, v6
	s_delay_alu instid0(VALU_DEP_1) | instskip(SKIP_1) | instid1(VALU_DEP_2)
	v_bitop3_b32 v7, v6, 1, s8 bitop3:0x80
	v_and_b32_e32 v6, s8, v6
	v_add_co_u32 v7, s0, v7, -1
	s_delay_alu instid0(VALU_DEP_1) | instskip(NEXT) | instid1(VALU_DEP_3)
	v_cndmask_b32_e64 v36, 0, 1, s0
	v_dual_lshlrev_b32 v37, 30, v6 :: v_dual_lshlrev_b32 v38, 29, v6
	s_delay_alu instid0(VALU_DEP_2) | instskip(NEXT) | instid1(VALU_DEP_2)
	v_cmp_ne_u32_e32 vcc_lo, 0, v36
	v_cmp_gt_i32_e64 s0, 0, v37
	v_not_b32_e32 v36, v37
	s_delay_alu instid0(VALU_DEP_4) | instskip(SKIP_1) | instid1(VALU_DEP_3)
	v_not_b32_e32 v37, v38
	v_cmp_gt_i32_e64 s1, 0, v38
	v_dual_ashrrev_i32 v36, 31, v36 :: v_dual_bitop2_b32 v7, vcc_lo, v7 bitop3:0x14
	s_delay_alu instid0(VALU_DEP_3) | instskip(SKIP_2) | instid1(VALU_DEP_3)
	v_dual_ashrrev_i32 v37, 31, v37 :: v_dual_lshlrev_b32 v39, 28, v6
	v_dual_lshlrev_b32 v40, 27, v6 :: v_dual_lshlrev_b32 v41, 26, v6
	v_dual_lshlrev_b32 v42, 25, v6 :: v_dual_lshlrev_b32 v43, 24, v6
	v_not_b32_e32 v38, v39
	v_cmp_gt_i32_e64 s2, 0, v39
	s_delay_alu instid0(VALU_DEP_4)
	v_cmp_gt_i32_e64 s3, 0, v40
	v_not_b32_e32 v39, v40
	v_not_b32_e32 v40, v41
	v_dual_ashrrev_i32 v38, 31, v38 :: v_dual_bitop2_b32 v36, s0, v36 bitop3:0x14
	v_cmp_gt_i32_e64 s4, 0, v41
	v_cmp_gt_i32_e64 s5, 0, v42
	v_not_b32_e32 v41, v42
	v_not_b32_e32 v42, v43
	v_dual_ashrrev_i32 v39, 31, v39 :: v_dual_ashrrev_i32 v40, 31, v40
	v_xor_b32_e32 v37, s1, v37
	v_xor_b32_e32 v38, s2, v38
	v_bitop3_b32 v7, v7, v36, exec_lo bitop3:0x80
	v_cmp_gt_i32_e64 s6, 0, v43
	v_dual_ashrrev_i32 v36, 31, v41 :: v_dual_ashrrev_i32 v41, 31, v42
	v_xor_b32_e32 v42, s3, v39
	v_xor_b32_e32 v40, s4, v40
	v_bitop3_b32 v7, v7, v38, v37 bitop3:0x80
	v_mad_u32_u24 v39, 0x44, v6, v0
	v_xor_b32_e32 v6, s5, v36
	v_xor_b32_e32 v36, s6, v41
	s_delay_alu instid0(VALU_DEP_4) | instskip(SKIP_2) | instid1(VALU_DEP_1)
	v_bitop3_b32 v7, v7, v40, v42 bitop3:0x80
	ds_load_b32 v37, v39 offset:64
	; wave barrier
	v_bitop3_b32 v6, v7, v36, v6 bitop3:0x80
	v_mbcnt_lo_u32_b32 v38, v6, 0
	v_cmp_ne_u32_e64 s0, 0, v6
	s_delay_alu instid0(VALU_DEP_2) | instskip(SKIP_1) | instid1(SALU_CYCLE_1)
	v_cmp_eq_u32_e32 vcc_lo, 0, v38
	s_and_b32 s1, s0, vcc_lo
	s_and_saveexec_b32 s0, s1
	s_cbranch_execz .LBB620_111
; %bb.110:
	s_wait_dscnt 0x0
	v_bcnt_u32_b32 v6, v6, v37
	ds_store_b32 v39, v6 offset:64
.LBB620_111:
	s_or_b32 exec_lo, exec_lo, s0
	v_xor_b32_e32 v36, 0x7fff, v5
	; wave barrier
	s_delay_alu instid0(VALU_DEP_1) | instskip(NEXT) | instid1(VALU_DEP_1)
	v_and_b32_e32 v5, 0xffff, v36
	v_lshrrev_b32_e32 v5, s20, v5
	s_delay_alu instid0(VALU_DEP_1) | instskip(SKIP_1) | instid1(VALU_DEP_2)
	v_bitop3_b32 v6, v5, 1, s8 bitop3:0x80
	v_and_b32_e32 v5, s8, v5
	v_add_co_u32 v6, s0, v6, -1
	s_delay_alu instid0(VALU_DEP_1) | instskip(NEXT) | instid1(VALU_DEP_3)
	v_cndmask_b32_e64 v7, 0, 1, s0
	v_dual_lshlrev_b32 v40, 30, v5 :: v_dual_lshlrev_b32 v41, 29, v5
	s_delay_alu instid0(VALU_DEP_2) | instskip(NEXT) | instid1(VALU_DEP_2)
	v_cmp_ne_u32_e32 vcc_lo, 0, v7
	v_cmp_gt_i32_e64 s0, 0, v40
	v_not_b32_e32 v7, v40
	s_delay_alu instid0(VALU_DEP_4) | instskip(SKIP_1) | instid1(VALU_DEP_3)
	v_not_b32_e32 v40, v41
	v_cmp_gt_i32_e64 s1, 0, v41
	v_dual_ashrrev_i32 v7, 31, v7 :: v_dual_bitop2_b32 v6, vcc_lo, v6 bitop3:0x14
	s_delay_alu instid0(VALU_DEP_3) | instskip(SKIP_2) | instid1(VALU_DEP_3)
	v_dual_ashrrev_i32 v40, 31, v40 :: v_dual_lshlrev_b32 v42, 28, v5
	v_dual_lshlrev_b32 v43, 27, v5 :: v_dual_lshlrev_b32 v44, 26, v5
	v_dual_lshlrev_b32 v45, 25, v5 :: v_dual_lshlrev_b32 v46, 24, v5
	v_not_b32_e32 v41, v42
	v_cmp_gt_i32_e64 s2, 0, v42
	s_delay_alu instid0(VALU_DEP_4)
	v_cmp_gt_i32_e64 s3, 0, v43
	v_not_b32_e32 v42, v43
	v_not_b32_e32 v43, v44
	v_dual_ashrrev_i32 v41, 31, v41 :: v_dual_bitop2_b32 v7, s0, v7 bitop3:0x14
	v_cmp_gt_i32_e64 s4, 0, v44
	v_cmp_gt_i32_e64 s5, 0, v45
	v_not_b32_e32 v44, v45
	v_not_b32_e32 v45, v46
	v_dual_ashrrev_i32 v42, 31, v42 :: v_dual_ashrrev_i32 v43, 31, v43
	v_xor_b32_e32 v40, s1, v40
	v_xor_b32_e32 v41, s2, v41
	v_bitop3_b32 v6, v6, v7, exec_lo bitop3:0x80
	v_cmp_gt_i32_e64 s6, 0, v46
	v_dual_ashrrev_i32 v7, 31, v44 :: v_dual_ashrrev_i32 v44, 31, v45
	v_xor_b32_e32 v42, s3, v42
	v_xor_b32_e32 v45, s4, v43
	v_bitop3_b32 v6, v6, v41, v40 bitop3:0x80
	v_mad_u32_u24 v43, 0x44, v5, v0
	v_xor_b32_e32 v5, s5, v7
	v_xor_b32_e32 v7, s6, v44
	s_delay_alu instid0(VALU_DEP_4) | instskip(SKIP_2) | instid1(VALU_DEP_1)
	v_bitop3_b32 v6, v6, v45, v42 bitop3:0x80
	ds_load_b32 v41, v43 offset:64
	; wave barrier
	v_bitop3_b32 v5, v6, v7, v5 bitop3:0x80
	v_mbcnt_lo_u32_b32 v42, v5, 0
	v_cmp_ne_u32_e64 s0, 0, v5
	s_delay_alu instid0(VALU_DEP_2) | instskip(SKIP_1) | instid1(SALU_CYCLE_1)
	v_cmp_eq_u32_e32 vcc_lo, 0, v42
	s_and_b32 s1, s0, vcc_lo
	s_and_saveexec_b32 s0, s1
	s_cbranch_execz .LBB620_113
; %bb.112:
	s_wait_dscnt 0x0
	v_bcnt_u32_b32 v5, v5, v41
	ds_store_b32 v43, v5 offset:64
.LBB620_113:
	s_or_b32 exec_lo, exec_lo, s0
	v_xor_b32_e32 v40, 0x7fff, v4
	; wave barrier
	s_delay_alu instid0(VALU_DEP_1) | instskip(NEXT) | instid1(VALU_DEP_1)
	v_and_b32_e32 v4, 0xffff, v40
	v_lshrrev_b32_e32 v4, s20, v4
	s_delay_alu instid0(VALU_DEP_1) | instskip(SKIP_1) | instid1(VALU_DEP_2)
	v_bitop3_b32 v5, v4, 1, s8 bitop3:0x80
	v_and_b32_e32 v4, s8, v4
	v_add_co_u32 v5, s0, v5, -1
	s_delay_alu instid0(VALU_DEP_1) | instskip(NEXT) | instid1(VALU_DEP_3)
	v_cndmask_b32_e64 v6, 0, 1, s0
	v_dual_lshlrev_b32 v7, 30, v4 :: v_dual_lshlrev_b32 v44, 29, v4
	s_delay_alu instid0(VALU_DEP_2) | instskip(NEXT) | instid1(VALU_DEP_2)
	v_cmp_ne_u32_e32 vcc_lo, 0, v6
	v_cmp_gt_i32_e64 s0, 0, v7
	v_not_b32_e32 v6, v7
	s_delay_alu instid0(VALU_DEP_4) | instskip(SKIP_1) | instid1(VALU_DEP_3)
	v_not_b32_e32 v7, v44
	v_cmp_gt_i32_e64 s1, 0, v44
	v_dual_ashrrev_i32 v6, 31, v6 :: v_dual_bitop2_b32 v5, vcc_lo, v5 bitop3:0x14
	s_delay_alu instid0(VALU_DEP_3) | instskip(SKIP_2) | instid1(VALU_DEP_3)
	v_dual_ashrrev_i32 v7, 31, v7 :: v_dual_lshlrev_b32 v45, 28, v4
	v_dual_lshlrev_b32 v46, 27, v4 :: v_dual_lshlrev_b32 v47, 26, v4
	v_dual_lshlrev_b32 v48, 25, v4 :: v_dual_lshlrev_b32 v49, 24, v4
	v_not_b32_e32 v44, v45
	v_cmp_gt_i32_e64 s2, 0, v45
	s_delay_alu instid0(VALU_DEP_4)
	v_cmp_gt_i32_e64 s3, 0, v46
	v_not_b32_e32 v45, v46
	v_not_b32_e32 v46, v47
	v_dual_ashrrev_i32 v44, 31, v44 :: v_dual_bitop2_b32 v6, s0, v6 bitop3:0x14
	v_cmp_gt_i32_e64 s4, 0, v47
	v_cmp_gt_i32_e64 s5, 0, v48
	v_not_b32_e32 v47, v48
	v_not_b32_e32 v48, v49
	v_dual_ashrrev_i32 v45, 31, v45 :: v_dual_ashrrev_i32 v46, 31, v46
	v_xor_b32_e32 v7, s1, v7
	v_xor_b32_e32 v44, s2, v44
	v_bitop3_b32 v5, v5, v6, exec_lo bitop3:0x80
	v_cmp_gt_i32_e64 s6, 0, v49
	v_dual_ashrrev_i32 v6, 31, v47 :: v_dual_ashrrev_i32 v48, 31, v48
	v_xor_b32_e32 v45, s3, v45
	v_xor_b32_e32 v46, s4, v46
	v_bitop3_b32 v5, v5, v44, v7 bitop3:0x80
	v_mad_u32_u24 v47, 0x44, v4, v0
	v_xor_b32_e32 v4, s5, v6
	v_xor_b32_e32 v6, s6, v48
	s_delay_alu instid0(VALU_DEP_4) | instskip(SKIP_2) | instid1(VALU_DEP_1)
	v_bitop3_b32 v5, v5, v46, v45 bitop3:0x80
	ds_load_b32 v45, v47 offset:64
	; wave barrier
	v_bitop3_b32 v4, v5, v6, v4 bitop3:0x80
	v_mbcnt_lo_u32_b32 v46, v4, 0
	v_cmp_ne_u32_e64 s0, 0, v4
	s_delay_alu instid0(VALU_DEP_2) | instskip(SKIP_1) | instid1(SALU_CYCLE_1)
	v_cmp_eq_u32_e32 vcc_lo, 0, v46
	s_and_b32 s1, s0, vcc_lo
	s_and_saveexec_b32 s0, s1
	s_cbranch_execz .LBB620_115
; %bb.114:
	s_wait_dscnt 0x0
	v_bcnt_u32_b32 v4, v4, v45
	ds_store_b32 v47, v4 offset:64
.LBB620_115:
	s_or_b32 exec_lo, exec_lo, s0
	v_xor_b32_e32 v44, 0x7fff, v3
	; wave barrier
	s_delay_alu instid0(VALU_DEP_1) | instskip(NEXT) | instid1(VALU_DEP_1)
	v_and_b32_e32 v3, 0xffff, v44
	v_lshrrev_b32_e32 v3, s20, v3
	s_delay_alu instid0(VALU_DEP_1) | instskip(SKIP_1) | instid1(VALU_DEP_2)
	v_bitop3_b32 v4, v3, 1, s8 bitop3:0x80
	v_and_b32_e32 v3, s8, v3
	v_add_co_u32 v4, s0, v4, -1
	s_delay_alu instid0(VALU_DEP_1) | instskip(NEXT) | instid1(VALU_DEP_3)
	v_cndmask_b32_e64 v5, 0, 1, s0
	v_dual_lshlrev_b32 v6, 30, v3 :: v_dual_lshlrev_b32 v7, 29, v3
	s_delay_alu instid0(VALU_DEP_2) | instskip(NEXT) | instid1(VALU_DEP_2)
	v_cmp_ne_u32_e32 vcc_lo, 0, v5
	v_cmp_gt_i32_e64 s0, 0, v6
	v_not_b32_e32 v5, v6
	s_delay_alu instid0(VALU_DEP_4) | instskip(SKIP_1) | instid1(VALU_DEP_3)
	v_not_b32_e32 v6, v7
	v_cmp_gt_i32_e64 s1, 0, v7
	v_dual_ashrrev_i32 v5, 31, v5 :: v_dual_bitop2_b32 v4, vcc_lo, v4 bitop3:0x14
	s_delay_alu instid0(VALU_DEP_3) | instskip(SKIP_2) | instid1(VALU_DEP_3)
	v_dual_ashrrev_i32 v6, 31, v6 :: v_dual_lshlrev_b32 v48, 28, v3
	v_dual_lshlrev_b32 v49, 27, v3 :: v_dual_lshlrev_b32 v50, 26, v3
	v_dual_lshlrev_b32 v51, 25, v3 :: v_dual_lshlrev_b32 v52, 24, v3
	v_not_b32_e32 v7, v48
	v_cmp_gt_i32_e64 s2, 0, v48
	s_delay_alu instid0(VALU_DEP_4)
	v_cmp_gt_i32_e64 s3, 0, v49
	v_not_b32_e32 v48, v49
	v_not_b32_e32 v49, v50
	v_dual_ashrrev_i32 v7, 31, v7 :: v_dual_bitop2_b32 v5, s0, v5 bitop3:0x14
	v_cmp_gt_i32_e64 s4, 0, v50
	v_cmp_gt_i32_e64 s5, 0, v51
	v_not_b32_e32 v50, v51
	v_not_b32_e32 v51, v52
	v_dual_ashrrev_i32 v48, 31, v48 :: v_dual_ashrrev_i32 v49, 31, v49
	v_xor_b32_e32 v6, s1, v6
	v_xor_b32_e32 v7, s2, v7
	v_bitop3_b32 v4, v4, v5, exec_lo bitop3:0x80
	v_cmp_gt_i32_e64 s6, 0, v52
	v_dual_ashrrev_i32 v5, 31, v50 :: v_dual_ashrrev_i32 v50, 31, v51
	v_xor_b32_e32 v48, s3, v48
	v_xor_b32_e32 v49, s4, v49
	v_bitop3_b32 v4, v4, v7, v6 bitop3:0x80
	v_mad_u32_u24 v52, 0x44, v3, v0
	v_xor_b32_e32 v3, s5, v5
	v_xor_b32_e32 v5, s6, v50
	s_delay_alu instid0(VALU_DEP_4) | instskip(SKIP_2) | instid1(VALU_DEP_1)
	v_bitop3_b32 v4, v4, v49, v48 bitop3:0x80
	ds_load_b32 v48, v52 offset:64
	; wave barrier
	v_bitop3_b32 v3, v4, v5, v3 bitop3:0x80
	v_mbcnt_lo_u32_b32 v50, v3, 0
	v_cmp_ne_u32_e64 s0, 0, v3
	s_delay_alu instid0(VALU_DEP_2) | instskip(SKIP_1) | instid1(SALU_CYCLE_1)
	v_cmp_eq_u32_e32 vcc_lo, 0, v50
	s_and_b32 s1, s0, vcc_lo
	s_and_saveexec_b32 s0, s1
	s_cbranch_execz .LBB620_117
; %bb.116:
	s_wait_dscnt 0x0
	v_bcnt_u32_b32 v3, v3, v48
	ds_store_b32 v52, v3 offset:64
.LBB620_117:
	s_or_b32 exec_lo, exec_lo, s0
	v_xor_b32_e32 v49, 0x7fff, v2
	; wave barrier
	s_delay_alu instid0(VALU_DEP_1) | instskip(NEXT) | instid1(VALU_DEP_1)
	v_and_b32_e32 v2, 0xffff, v49
	v_lshrrev_b32_e32 v2, s20, v2
	s_delay_alu instid0(VALU_DEP_1) | instskip(SKIP_1) | instid1(VALU_DEP_2)
	v_bitop3_b32 v3, v2, 1, s8 bitop3:0x80
	v_and_b32_e32 v2, s8, v2
	v_add_co_u32 v3, s0, v3, -1
	s_delay_alu instid0(VALU_DEP_1) | instskip(NEXT) | instid1(VALU_DEP_3)
	v_cndmask_b32_e64 v4, 0, 1, s0
	v_dual_lshlrev_b32 v5, 30, v2 :: v_dual_lshlrev_b32 v6, 29, v2
	s_delay_alu instid0(VALU_DEP_2) | instskip(NEXT) | instid1(VALU_DEP_2)
	v_cmp_ne_u32_e32 vcc_lo, 0, v4
	v_cmp_gt_i32_e64 s0, 0, v5
	v_not_b32_e32 v4, v5
	s_delay_alu instid0(VALU_DEP_4) | instskip(SKIP_1) | instid1(VALU_DEP_3)
	v_not_b32_e32 v5, v6
	v_cmp_gt_i32_e64 s1, 0, v6
	v_dual_ashrrev_i32 v4, 31, v4 :: v_dual_bitop2_b32 v3, vcc_lo, v3 bitop3:0x14
	s_delay_alu instid0(VALU_DEP_3) | instskip(SKIP_2) | instid1(VALU_DEP_3)
	v_dual_ashrrev_i32 v5, 31, v5 :: v_dual_lshlrev_b32 v7, 28, v2
	v_dual_lshlrev_b32 v51, 27, v2 :: v_dual_lshlrev_b32 v53, 26, v2
	v_dual_lshlrev_b32 v54, 25, v2 :: v_dual_lshlrev_b32 v55, 24, v2
	v_not_b32_e32 v6, v7
	v_cmp_gt_i32_e64 s2, 0, v7
	s_delay_alu instid0(VALU_DEP_4)
	v_cmp_gt_i32_e64 s3, 0, v51
	v_not_b32_e32 v7, v51
	v_not_b32_e32 v51, v53
	v_dual_ashrrev_i32 v6, 31, v6 :: v_dual_bitop2_b32 v4, s0, v4 bitop3:0x14
	v_cmp_gt_i32_e64 s4, 0, v53
	v_cmp_gt_i32_e64 s5, 0, v54
	v_not_b32_e32 v53, v54
	v_not_b32_e32 v54, v55
	v_dual_ashrrev_i32 v7, 31, v7 :: v_dual_bitop2_b32 v5, s1, v5 bitop3:0x14
	v_dual_ashrrev_i32 v51, 31, v51 :: v_dual_bitop2_b32 v6, s2, v6 bitop3:0x14
	v_bitop3_b32 v3, v3, v4, exec_lo bitop3:0x80
	v_cmp_gt_i32_e64 s6, 0, v55
	v_dual_ashrrev_i32 v4, 31, v53 :: v_dual_ashrrev_i32 v53, 31, v54
	v_xor_b32_e32 v7, s3, v7
	v_xor_b32_e32 v51, s4, v51
	v_bitop3_b32 v3, v3, v6, v5 bitop3:0x80
	v_mad_u32_u24 v57, 0x44, v2, v0
	v_xor_b32_e32 v2, s5, v4
	v_xor_b32_e32 v4, s6, v53
	s_delay_alu instid0(VALU_DEP_4) | instskip(SKIP_2) | instid1(VALU_DEP_1)
	v_bitop3_b32 v3, v3, v51, v7 bitop3:0x80
	ds_load_b32 v51, v57 offset:64
	; wave barrier
	v_bitop3_b32 v2, v3, v4, v2 bitop3:0x80
	v_mbcnt_lo_u32_b32 v54, v2, 0
	v_cmp_ne_u32_e64 s0, 0, v2
	s_delay_alu instid0(VALU_DEP_2) | instskip(SKIP_1) | instid1(SALU_CYCLE_1)
	v_cmp_eq_u32_e32 vcc_lo, 0, v54
	s_and_b32 s1, s0, vcc_lo
	s_and_saveexec_b32 s0, s1
	s_cbranch_execz .LBB620_119
; %bb.118:
	s_wait_dscnt 0x0
	v_bcnt_u32_b32 v2, v2, v51
	ds_store_b32 v57, v2 offset:64
.LBB620_119:
	s_or_b32 exec_lo, exec_lo, s0
	v_xor_b32_e32 v53, 0x7fff, v1
	; wave barrier
	s_delay_alu instid0(VALU_DEP_1) | instskip(NEXT) | instid1(VALU_DEP_1)
	v_and_b32_e32 v1, 0xffff, v53
	v_lshrrev_b32_e32 v1, s20, v1
	s_delay_alu instid0(VALU_DEP_1) | instskip(SKIP_1) | instid1(VALU_DEP_2)
	v_bitop3_b32 v2, v1, 1, s8 bitop3:0x80
	v_and_b32_e32 v1, s8, v1
	v_add_co_u32 v2, s0, v2, -1
	s_delay_alu instid0(VALU_DEP_1) | instskip(NEXT) | instid1(VALU_DEP_3)
	v_cndmask_b32_e64 v3, 0, 1, s0
	v_dual_lshlrev_b32 v4, 30, v1 :: v_dual_lshlrev_b32 v5, 29, v1
	s_delay_alu instid0(VALU_DEP_2) | instskip(NEXT) | instid1(VALU_DEP_2)
	v_cmp_ne_u32_e32 vcc_lo, 0, v3
	v_cmp_gt_i32_e64 s0, 0, v4
	v_not_b32_e32 v3, v4
	s_delay_alu instid0(VALU_DEP_4) | instskip(SKIP_1) | instid1(VALU_DEP_3)
	v_not_b32_e32 v4, v5
	v_cmp_gt_i32_e64 s1, 0, v5
	v_dual_ashrrev_i32 v3, 31, v3 :: v_dual_bitop2_b32 v2, vcc_lo, v2 bitop3:0x14
	s_delay_alu instid0(VALU_DEP_3) | instskip(SKIP_2) | instid1(VALU_DEP_3)
	v_dual_ashrrev_i32 v4, 31, v4 :: v_dual_lshlrev_b32 v6, 28, v1
	v_dual_lshlrev_b32 v7, 27, v1 :: v_dual_lshlrev_b32 v55, 26, v1
	v_dual_lshlrev_b32 v56, 25, v1 :: v_dual_lshlrev_b32 v58, 24, v1
	v_not_b32_e32 v5, v6
	v_cmp_gt_i32_e64 s2, 0, v6
	s_delay_alu instid0(VALU_DEP_4)
	v_cmp_gt_i32_e64 s3, 0, v7
	v_not_b32_e32 v6, v7
	v_not_b32_e32 v7, v55
	v_dual_ashrrev_i32 v5, 31, v5 :: v_dual_bitop2_b32 v3, s0, v3 bitop3:0x14
	v_cmp_gt_i32_e64 s4, 0, v55
	v_cmp_gt_i32_e64 s5, 0, v56
	v_not_b32_e32 v55, v56
	v_not_b32_e32 v56, v58
	v_dual_ashrrev_i32 v6, 31, v6 :: v_dual_ashrrev_i32 v7, 31, v7
	v_xor_b32_e32 v4, s1, v4
	v_xor_b32_e32 v5, s2, v5
	v_bitop3_b32 v2, v2, v3, exec_lo bitop3:0x80
	v_cmp_gt_i32_e64 s6, 0, v58
	v_dual_ashrrev_i32 v3, 31, v55 :: v_dual_ashrrev_i32 v55, 31, v56
	v_xor_b32_e32 v6, s3, v6
	v_xor_b32_e32 v7, s4, v7
	v_bitop3_b32 v2, v2, v5, v4 bitop3:0x80
	v_mad_u32_u24 v58, 0x44, v1, v0
	v_xor_b32_e32 v0, s5, v3
	v_xor_b32_e32 v1, s6, v55
	s_delay_alu instid0(VALU_DEP_4) | instskip(SKIP_2) | instid1(VALU_DEP_1)
	v_bitop3_b32 v2, v2, v7, v6 bitop3:0x80
	ds_load_b32 v55, v58 offset:64
	; wave barrier
	v_bitop3_b32 v0, v2, v1, v0 bitop3:0x80
	v_mbcnt_lo_u32_b32 v56, v0, 0
	v_cmp_ne_u32_e64 s0, 0, v0
	s_delay_alu instid0(VALU_DEP_2) | instskip(SKIP_1) | instid1(SALU_CYCLE_1)
	v_cmp_eq_u32_e32 vcc_lo, 0, v56
	s_and_b32 s1, s0, vcc_lo
	s_and_saveexec_b32 s0, s1
	s_cbranch_execz .LBB620_121
; %bb.120:
	s_wait_dscnt 0x0
	v_bcnt_u32_b32 v0, v0, v55
	ds_store_b32 v58, v0 offset:64
.LBB620_121:
	s_or_b32 exec_lo, exec_lo, s0
	; wave barrier
	s_wait_dscnt 0x0
	s_barrier_signal -1
	s_barrier_wait -1
	ds_load_2addr_b32 v[6:7], v11 offset0:16 offset1:17
	ds_load_2addr_b32 v[4:5], v11 offset0:18 offset1:19
	ds_load_2addr_b32 v[2:3], v11 offset0:20 offset1:21
	ds_load_2addr_b32 v[0:1], v11 offset0:22 offset1:23
	ds_load_b32 v59, v11 offset:96
	v_min_u32_e32 v15, 0x1e0, v15
	s_mov_b32 s4, exec_lo
	s_wait_dscnt 0x3
	v_add3_u32 v60, v7, v6, v4
	s_wait_dscnt 0x2
	s_delay_alu instid0(VALU_DEP_1) | instskip(SKIP_1) | instid1(VALU_DEP_1)
	v_add3_u32 v60, v60, v5, v2
	s_wait_dscnt 0x1
	v_add3_u32 v60, v60, v3, v0
	s_wait_dscnt 0x0
	s_delay_alu instid0(VALU_DEP_1) | instskip(SKIP_1) | instid1(VALU_DEP_2)
	v_add3_u32 v59, v60, v1, v59
	v_and_b32_e32 v60, 15, v14
	v_mov_b32_dpp v61, v59 row_shr:1 row_mask:0xf bank_mask:0xf
	s_delay_alu instid0(VALU_DEP_2) | instskip(NEXT) | instid1(VALU_DEP_2)
	v_cmp_eq_u32_e32 vcc_lo, 0, v60
	v_cndmask_b32_e64 v61, v61, 0, vcc_lo
	s_delay_alu instid0(VALU_DEP_1) | instskip(SKIP_3) | instid1(VALU_DEP_4)
	v_add_nc_u32_e32 v59, v61, v59
	v_cmp_lt_u32_e64 s0, 1, v60
	v_cmp_lt_u32_e64 s1, 3, v60
	;; [unrolled: 1-line block ×3, first 2 shown]
	v_mov_b32_dpp v61, v59 row_shr:2 row_mask:0xf bank_mask:0xf
	s_delay_alu instid0(VALU_DEP_1) | instskip(NEXT) | instid1(VALU_DEP_1)
	v_cndmask_b32_e64 v61, 0, v61, s0
	v_add_nc_u32_e32 v59, v59, v61
	s_delay_alu instid0(VALU_DEP_1) | instskip(NEXT) | instid1(VALU_DEP_1)
	v_mov_b32_dpp v61, v59 row_shr:4 row_mask:0xf bank_mask:0xf
	v_cndmask_b32_e64 v61, 0, v61, s1
	s_delay_alu instid0(VALU_DEP_1) | instskip(NEXT) | instid1(VALU_DEP_1)
	v_add_nc_u32_e32 v59, v59, v61
	v_mov_b32_dpp v61, v59 row_shr:8 row_mask:0xf bank_mask:0xf
	s_delay_alu instid0(VALU_DEP_1) | instskip(SKIP_1) | instid1(VALU_DEP_2)
	v_cndmask_b32_e64 v60, 0, v61, s2
	v_bfe_i32 v61, v14, 4, 1
	v_add_nc_u32_e32 v60, v59, v60
	ds_swizzle_b32 v59, v60 offset:swizzle(BROADCAST,32,15)
	s_wait_dscnt 0x0
	v_dual_lshrrev_b32 v59, 5, v12 :: v_dual_bitop2_b32 v61, v61, v59 bitop3:0x40
	s_delay_alu instid0(VALU_DEP_1) | instskip(NEXT) | instid1(VALU_DEP_1)
	v_dual_add_nc_u32 v15, v60, v61 :: v_dual_bitop2_b32 v62, 31, v15 bitop3:0x54
	v_cmpx_eq_u32_e64 v12, v62
; %bb.122:
	s_delay_alu instid0(VALU_DEP_3)
	v_lshlrev_b32_e32 v60, 2, v59
	ds_store_b32 v60, v15
; %bb.123:
	s_or_b32 exec_lo, exec_lo, s4
	s_delay_alu instid0(SALU_CYCLE_1)
	s_mov_b32 s4, exec_lo
	s_wait_dscnt 0x0
	s_barrier_signal -1
	s_barrier_wait -1
	v_cmpx_gt_u32_e32 16, v12
	s_cbranch_execz .LBB620_125
; %bb.124:
	v_lshlrev_b32_e32 v60, 2, v12
	ds_load_b32 v61, v60
	s_wait_dscnt 0x0
	v_mov_b32_dpp v62, v61 row_shr:1 row_mask:0xf bank_mask:0xf
	s_delay_alu instid0(VALU_DEP_1) | instskip(NEXT) | instid1(VALU_DEP_1)
	v_cndmask_b32_e64 v62, v62, 0, vcc_lo
	v_add_nc_u32_e32 v61, v62, v61
	s_delay_alu instid0(VALU_DEP_1) | instskip(NEXT) | instid1(VALU_DEP_1)
	v_mov_b32_dpp v62, v61 row_shr:2 row_mask:0xf bank_mask:0xf
	v_cndmask_b32_e64 v62, 0, v62, s0
	s_delay_alu instid0(VALU_DEP_1) | instskip(NEXT) | instid1(VALU_DEP_1)
	v_add_nc_u32_e32 v61, v61, v62
	v_mov_b32_dpp v62, v61 row_shr:4 row_mask:0xf bank_mask:0xf
	s_delay_alu instid0(VALU_DEP_1) | instskip(NEXT) | instid1(VALU_DEP_1)
	v_cndmask_b32_e64 v62, 0, v62, s1
	v_add_nc_u32_e32 v61, v61, v62
	s_delay_alu instid0(VALU_DEP_1) | instskip(NEXT) | instid1(VALU_DEP_1)
	v_mov_b32_dpp v62, v61 row_shr:8 row_mask:0xf bank_mask:0xf
	v_cndmask_b32_e64 v62, 0, v62, s2
	s_delay_alu instid0(VALU_DEP_1)
	v_add_nc_u32_e32 v61, v61, v62
	ds_store_b32 v60, v61
.LBB620_125:
	s_or_b32 exec_lo, exec_lo, s4
	v_mov_b32_e32 v60, 0
	s_mov_b32 s0, exec_lo
	s_wait_dscnt 0x0
	s_barrier_signal -1
	s_barrier_wait -1
	v_cmpx_lt_u32_e32 31, v12
; %bb.126:
	v_lshl_add_u32 v59, v59, 2, -4
	ds_load_b32 v60, v59
; %bb.127:
	s_or_b32 exec_lo, exec_lo, s0
	v_sub_co_u32 v59, vcc_lo, v14, 1
	s_wait_dscnt 0x0
	v_add_nc_u32_e32 v15, v60, v15
	s_delay_alu instid0(VALU_DEP_2) | instskip(NEXT) | instid1(VALU_DEP_1)
	v_cmp_gt_i32_e64 s0, 0, v59
	v_cndmask_b32_e64 v14, v59, v14, s0
	v_cmp_gt_u32_e64 s0, 0x100, v12
	s_delay_alu instid0(VALU_DEP_2) | instskip(SKIP_4) | instid1(VALU_DEP_2)
	v_lshlrev_b32_e32 v14, 2, v14
	ds_bpermute_b32 v14, v14, v15
	s_wait_dscnt 0x0
	v_cndmask_b32_e32 v14, v14, v60, vcc_lo
	v_cmp_ne_u32_e32 vcc_lo, 0, v12
	v_cndmask_b32_e32 v14, 0, v14, vcc_lo
	v_cmp_lt_u32_e32 vcc_lo, 0xff, v12
	s_delay_alu instid0(VALU_DEP_2) | instskip(NEXT) | instid1(VALU_DEP_1)
	v_add_nc_u32_e32 v6, v14, v6
	v_add_nc_u32_e32 v7, v6, v7
	s_delay_alu instid0(VALU_DEP_1) | instskip(NEXT) | instid1(VALU_DEP_1)
	v_add_nc_u32_e32 v4, v7, v4
	v_add_nc_u32_e32 v5, v4, v5
	s_delay_alu instid0(VALU_DEP_1) | instskip(NEXT) | instid1(VALU_DEP_1)
	;; [unrolled: 3-line block ×3, first 2 shown]
	v_add_nc_u32_e32 v0, v3, v0
	v_add_nc_u32_e32 v1, v0, v1
	ds_store_2addr_b32 v11, v14, v6 offset0:16 offset1:17
	ds_store_2addr_b32 v11, v7, v4 offset0:18 offset1:19
	;; [unrolled: 1-line block ×4, first 2 shown]
	ds_store_b32 v11, v1 offset:96
	s_wait_dscnt 0x0
	s_barrier_signal -1
	s_barrier_wait -1
	ds_load_b32 v59, v13 offset:64
	ds_load_b32 v60, v19 offset:64
	;; [unrolled: 1-line block ×12, first 2 shown]
	v_mov_b64_e32 v[0:1], 0
                                        ; implicit-def: $vgpr2
	s_and_saveexec_b32 s2, s0
	s_cbranch_execz .LBB620_131
; %bb.128:
	v_mul_u32_u24_e32 v0, 0x44, v12
	v_dual_mov_b32 v1, 0x1800 :: v_dual_add_nc_u32 v2, 1, v12
	s_mov_b32 s3, exec_lo
	ds_load_b32 v0, v0 offset:64
	v_cmpx_ne_u32_e32 0x100, v2
; %bb.129:
	v_mul_u32_u24_e32 v1, 0x44, v2
	ds_load_b32 v1, v1 offset:64
; %bb.130:
	s_or_b32 exec_lo, exec_lo, s3
	s_wait_dscnt 0x0
	v_dual_mov_b32 v1, 0 :: v_dual_sub_nc_u32 v2, v1, v0
.LBB620_131:
	s_or_b32 exec_lo, exec_lo, s2
	s_wait_dscnt 0xa
	v_dual_lshlrev_b32 v9, 1, v9 :: v_dual_lshlrev_b32 v23, 1, v60
	v_dual_lshlrev_b32 v18, 1, v18 :: v_dual_lshlrev_b32 v17, 1, v17
	v_lshlrev_b32_e32 v21, 1, v21
	s_delay_alu instid0(VALU_DEP_3)
	v_lshl_add_u32 v9, v59, 1, v9
	s_wait_dscnt 0x0
	s_barrier_signal -1
	v_add3_u32 v17, v23, v18, v17
	v_dual_lshlrev_b32 v18, 1, v19 :: v_dual_lshlrev_b32 v19, 1, v22
	s_barrier_wait -1
	ds_store_b16 v9, v8 offset:2048
	ds_store_b16 v17, v10 offset:2048
	v_lshlrev_b32_e32 v9, 1, v15
	v_add3_u32 v8, v18, v19, v21
	v_dual_lshlrev_b32 v10, 1, v26 :: v_dual_lshlrev_b32 v15, 1, v25
	v_dual_lshlrev_b32 v14, 1, v14 :: v_dual_lshlrev_b32 v18, 1, v28
	;; [unrolled: 1-line block ×6, first 2 shown]
	ds_store_b16 v8, v16 offset:2048
	v_add3_u32 v8, v9, v10, v15
	v_add3_u32 v9, v14, v17, v18
	;; [unrolled: 1-line block ×3, first 2 shown]
	v_dual_lshlrev_b32 v13, 1, v42 :: v_dual_lshlrev_b32 v14, 1, v41
	v_add3_u32 v11, v11, v22, v23
	ds_store_b16 v8, v20 offset:2048
	ds_store_b16 v9, v24 offset:2048
	;; [unrolled: 1-line block ×4, first 2 shown]
	v_dual_lshlrev_b32 v6, 1, v6 :: v_dual_lshlrev_b32 v9, 1, v45
	v_add3_u32 v7, v7, v13, v14
	v_dual_lshlrev_b32 v8, 1, v46 :: v_dual_lshlrev_b32 v5, 1, v5
	v_dual_lshlrev_b32 v10, 1, v50 :: v_dual_lshlrev_b32 v11, 1, v48
	;; [unrolled: 1-line block ×3, first 2 shown]
	v_lshlrev_b32_e32 v3, 1, v3
	v_dual_lshlrev_b32 v16, 1, v55 :: v_dual_lshlrev_b32 v4, 1, v4
	v_lshlrev_b32_e32 v13, 1, v54
	ds_store_b16 v7, v36 offset:2048
	v_add3_u32 v6, v6, v8, v9
	v_add3_u32 v7, v5, v10, v11
	v_mov_b32_e32 v5, 0
	v_add3_u32 v8, v3, v15, v16
	v_lshlrev_b32_e32 v3, 3, v12
	v_add3_u32 v4, v4, v13, v14
	ds_store_b16 v6, v40 offset:2048
	ds_store_b16 v7, v44 offset:2048
	;; [unrolled: 1-line block ×4, first 2 shown]
	s_and_saveexec_b32 s1, s0
	s_cbranch_execz .LBB620_141
; %bb.132:
	v_lshl_add_u32 v4, s9, 8, v12
	v_dual_mov_b32 v8, 0 :: v_dual_bitop2_b32 v9, 2.0, v2 bitop3:0x54
	s_mov_b32 s2, 0
	s_mov_b32 s3, s9
	s_delay_alu instid0(VALU_DEP_2)
	v_lshl_add_u64 v[6:7], v[4:5], 2, s[10:11]
	global_store_b32 v4, v9, s[10:11] scale_offset scope:SCOPE_DEV
                                        ; implicit-def: $sgpr0
	s_branch .LBB620_135
.LBB620_133:                            ;   in Loop: Header=BB620_135 Depth=1
	s_or_b32 exec_lo, exec_lo, s5
.LBB620_134:                            ;   in Loop: Header=BB620_135 Depth=1
	s_delay_alu instid0(SALU_CYCLE_1) | instskip(SKIP_2) | instid1(VALU_DEP_2)
	s_or_b32 exec_lo, exec_lo, s4
	v_and_b32_e32 v4, 0x3fffffff, v9
	v_cmp_gt_i32_e64 s0, -2.0, v9
	v_add_nc_u32_e32 v8, v4, v8
	s_and_b32 s4, exec_lo, s0
	s_delay_alu instid0(SALU_CYCLE_1) | instskip(NEXT) | instid1(SALU_CYCLE_1)
	s_or_b32 s2, s4, s2
	s_and_not1_b32 exec_lo, exec_lo, s2
	s_cbranch_execz .LBB620_140
.LBB620_135:                            ; =>This Loop Header: Depth=1
                                        ;     Child Loop BB620_138 Depth 2
	s_or_b32 s0, s0, exec_lo
	s_cmp_eq_u32 s3, 0
	s_cbranch_scc1 .LBB620_139
; %bb.136:                              ;   in Loop: Header=BB620_135 Depth=1
	s_add_co_i32 s3, s3, -1
	s_mov_b32 s4, exec_lo
	s_wait_xcnt 0x0
	v_lshl_or_b32 v4, s3, 8, v12
	global_load_b32 v9, v4, s[10:11] scale_offset scope:SCOPE_DEV
	s_wait_loadcnt 0x0
	v_cmpx_gt_u32_e32 2.0, v9
	s_cbranch_execz .LBB620_134
; %bb.137:                              ;   in Loop: Header=BB620_135 Depth=1
	v_lshl_add_u64 v[10:11], v[4:5], 2, s[10:11]
	s_mov_b32 s5, 0
.LBB620_138:                            ;   Parent Loop BB620_135 Depth=1
                                        ; =>  This Inner Loop Header: Depth=2
	global_load_b32 v9, v[10:11], off scope:SCOPE_DEV
	s_wait_loadcnt 0x0
	v_cmp_lt_u32_e64 s0, 0x3fffffff, v9
	s_or_b32 s5, s0, s5
	s_wait_xcnt 0x0
	s_and_not1_b32 exec_lo, exec_lo, s5
	s_cbranch_execnz .LBB620_138
	s_branch .LBB620_133
.LBB620_139:                            ;   in Loop: Header=BB620_135 Depth=1
                                        ; implicit-def: $sgpr3
	s_and_b32 s4, exec_lo, s0
	s_delay_alu instid0(SALU_CYCLE_1)
	s_or_b32 s2, s4, s2
	s_wait_xcnt 0x0
	s_and_not1_b32 exec_lo, exec_lo, s2
	s_cbranch_execnz .LBB620_135
.LBB620_140:
	s_or_b32 exec_lo, exec_lo, s2
	v_dual_mov_b32 v9, 0 :: v_dual_add_nc_u32 v4, v8, v2
	s_delay_alu instid0(VALU_DEP_1) | instskip(SKIP_4) | instid1(VALU_DEP_1)
	v_or_b32_e32 v4, 0x80000000, v4
	global_store_b32 v[6:7], v4, off scope:SCOPE_DEV
	global_load_b64 v[4:5], v12, s[12:13] scale_offset
	v_sub_nc_u64_e32 v[6:7], v[8:9], v[0:1]
	s_wait_loadcnt 0x0
	v_add_nc_u64_e32 v[4:5], v[6:7], v[4:5]
	ds_store_b64 v3, v[4:5]
.LBB620_141:
	s_wait_xcnt 0x0
	s_or_b32 exec_lo, exec_lo, s1
	v_mad_i32_i24 v13, v12, -6, v3
	s_wait_storecnt_dscnt 0x0
	s_barrier_signal -1
	s_barrier_wait -1
	ds_load_u16 v6, v13 offset:2048
	ds_load_u16 v7, v13 offset:3072
	;; [unrolled: 1-line block ×8, first 2 shown]
	v_dual_mov_b32 v5, 0 :: v_dual_lshlrev_b32 v4, 1, v12
	s_add_co_i32 s7, s7, -1
	s_delay_alu instid0(SALU_CYCLE_1) | instskip(SKIP_2) | instid1(SALU_CYCLE_1)
	s_cmp_eq_u32 s9, s7
	s_cselect_b32 s0, -1, 0
	s_xor_b32 s1, vcc_lo, -1
	s_and_b32 s0, s1, s0
	s_wait_dscnt 0x7
	v_and_b32_e32 v10, 0xffff, v6
	v_xor_b32_e32 v20, 0x7fff, v6
	s_wait_dscnt 0x6
	v_and_b32_e32 v6, 0xffff, v7
	v_xor_b32_e32 v21, 0x7fff, v7
	s_wait_dscnt 0x5
	v_and_b32_e32 v7, 0xffff, v8
	v_xor_b32_e32 v23, 0x7fff, v8
	s_wait_dscnt 0x4
	v_and_b32_e32 v8, 0xffff, v9
	v_xor_b32_e32 v28, 0x7fff, v9
	s_wait_dscnt 0x3
	v_and_b32_e32 v9, 0xffff, v22
	v_dual_lshrrev_b32 v10, s20, v10 :: v_dual_lshrrev_b32 v7, s20, v7
	v_dual_lshrrev_b32 v6, s20, v6 :: v_dual_lshrrev_b32 v8, s20, v8
	s_wait_dscnt 0x2
	v_and_b32_e32 v11, 0xffff, v24
	s_delay_alu instid0(VALU_DEP_3) | instskip(NEXT) | instid1(VALU_DEP_3)
	v_dual_lshrrev_b32 v16, s20, v9 :: v_dual_bitop2_b32 v9, s8, v10 bitop3:0x40
	v_and_b32_e32 v6, s8, v6
	v_and_b32_e32 v7, s8, v7
	s_wait_dscnt 0x1
	v_and_b32_e32 v14, 0xffff, v26
	s_wait_dscnt 0x0
	v_and_b32_e32 v15, 0xffff, v27
	v_dual_lshrrev_b32 v17, s20, v11 :: v_dual_bitop2_b32 v18, s8, v8 bitop3:0x40
	v_dual_lshlrev_b32 v8, 3, v9 :: v_dual_lshlrev_b32 v9, 3, v6
	v_dual_lshlrev_b32 v10, 3, v7 :: v_dual_lshrrev_b32 v14, s20, v14
	ds_load_u16 v29, v13 offset:10240
	ds_load_u16 v30, v13 offset:11264
	;; [unrolled: 1-line block ×3, first 2 shown]
	ds_load_b64 v[6:7], v8
	ds_load_b64 v[8:9], v9
	;; [unrolled: 1-line block ×3, first 2 shown]
	v_dual_lshrrev_b32 v15, s20, v15 :: v_dual_bitop2_b32 v16, s8, v16 bitop3:0x40
	v_dual_lshlrev_b32 v18, 3, v18 :: v_dual_bitop2_b32 v17, s8, v17 bitop3:0x40
	v_and_b32_e32 v19, s8, v14
	s_delay_alu instid0(VALU_DEP_3)
	v_dual_lshlrev_b32 v16, 3, v16 :: v_dual_bitop2_b32 v25, s8, v15 bitop3:0x40
	ds_load_b64 v[14:15], v18
	v_dual_lshlrev_b32 v18, 3, v17 :: v_dual_lshlrev_b32 v32, 3, v19
	v_lshlrev_b32_e32 v25, 3, v25
	ds_load_u16 v13, v13 offset:13312
	ds_load_b64 v[16:17], v16
	ds_load_b64 v[18:19], v18
	s_wait_dscnt 0x9
	v_and_b32_e32 v33, 0xffff, v29
	s_wait_dscnt 0x8
	v_and_b32_e32 v34, 0xffff, v30
	s_wait_dscnt 0x7
	v_and_b32_e32 v35, 0xffff, v31
	s_wait_dscnt 0x6
	v_lshl_add_u64 v[6:7], v[6:7], 1, s[18:19]
	s_wait_dscnt 0x5
	v_lshl_add_u64 v[8:9], v[8:9], 1, s[18:19]
	;; [unrolled: 2-line block ×3, first 2 shown]
	v_dual_lshrrev_b32 v33, s20, v33 :: v_dual_lshrrev_b32 v34, s20, v34
	v_add_nc_u64_e32 v[6:7], v[6:7], v[4:5]
	v_add_nc_u64_e32 v[8:9], v[8:9], v[4:5]
	s_delay_alu instid0(VALU_DEP_4) | instskip(NEXT) | instid1(VALU_DEP_4)
	v_add_nc_u64_e32 v[10:11], v[10:11], v[4:5]
	v_and_b32_e32 v33, s8, v33
	s_clause 0x2
	global_store_b16 v[6:7], v20, off
	global_store_b16 v[8:9], v21, off offset:1024
	global_store_b16 v[10:11], v23, off offset:2048
	s_wait_dscnt 0x2
	s_wait_xcnt 0x0
	v_and_b32_e32 v10, 0xffff, v13
	v_dual_lshrrev_b32 v21, s20, v35 :: v_dual_bitop2_b32 v34, s8, v34 bitop3:0x40
	v_lshlrev_b32_e32 v20, 3, v33
	ds_load_b64 v[6:7], v32
	ds_load_b64 v[8:9], v25
	v_lshrrev_b32_e32 v25, s20, v10
	s_wait_dscnt 0x3
	v_lshl_add_u64 v[10:11], v[16:17], 1, s[18:19]
	v_dual_lshlrev_b32 v23, 3, v34 :: v_dual_bitop2_b32 v32, s8, v21 bitop3:0x40
	ds_load_b64 v[16:17], v20
	v_xor_b32_e32 v33, 0x7fff, v22
	v_xor_b32_e32 v34, 0x7fff, v24
	ds_load_b64 v[20:21], v23
	v_dual_lshlrev_b32 v25, 3, v32 :: v_dual_bitop2_b32 v23, s8, v25 bitop3:0x40
	v_lshl_add_u64 v[14:15], v[14:15], 1, s[18:19]
	s_wait_dscnt 0x4
	v_lshl_add_u64 v[18:19], v[18:19], 1, s[18:19]
	v_add_nc_u64_e32 v[10:11], v[10:11], v[4:5]
	v_lshlrev_b32_e32 v32, 3, v23
	ds_load_b64 v[22:23], v25
	v_add_nc_u64_e32 v[14:15], v[14:15], v[4:5]
	v_add_nc_u64_e32 v[18:19], v[18:19], v[4:5]
	ds_load_b64 v[24:25], v32
	s_wait_dscnt 0x5
	v_lshl_add_u64 v[6:7], v[6:7], 1, s[18:19]
	s_wait_dscnt 0x4
	v_lshl_add_u64 v[8:9], v[8:9], 1, s[18:19]
	s_clause 0x2
	global_store_b16 v[14:15], v28, off offset:3072
	global_store_b16 v[10:11], v33, off offset:4096
	;; [unrolled: 1-line block ×3, first 2 shown]
	v_add_nc_u64_e32 v[6:7], v[6:7], v[4:5]
	v_add_nc_u64_e32 v[8:9], v[8:9], v[4:5]
	s_wait_xcnt 0x0
	v_xor_b32_e32 v18, 0x7fff, v26
	s_wait_dscnt 0x3
	v_lshl_add_u64 v[10:11], v[16:17], 1, s[18:19]
	v_xor_b32_e32 v16, 0x7fff, v27
	s_wait_dscnt 0x2
	v_lshl_add_u64 v[14:15], v[20:21], 1, s[18:19]
	v_xor_b32_e32 v17, 0x7fff, v29
	global_store_b16 v[6:7], v18, off offset:6144
	v_add_nc_u64_e32 v[10:11], v[10:11], v[4:5]
	global_store_b16 v[8:9], v16, off offset:7168
	s_wait_dscnt 0x1
	s_wait_xcnt 0x1
	v_lshl_add_u64 v[6:7], v[22:23], 1, s[18:19]
	v_add_nc_u64_e32 v[14:15], v[14:15], v[4:5]
	v_xor_b32_e32 v18, 0x7fff, v30
	s_wait_dscnt 0x0
	s_wait_xcnt 0x0
	v_lshl_add_u64 v[8:9], v[24:25], 1, s[18:19]
	v_add_nc_u64_e32 v[6:7], v[6:7], v[4:5]
	global_store_b16 v[10:11], v17, off offset:8192
	s_wait_xcnt 0x0
	v_xor_b32_e32 v10, 0x7fff, v31
	global_store_b16 v[14:15], v18, off offset:9216
	v_add_nc_u64_e32 v[8:9], v[8:9], v[4:5]
	v_xor_b32_e32 v4, 0x7fff, v13
	s_clause 0x1
	global_store_b16 v[6:7], v10, off offset:10240
	global_store_b16 v[8:9], v4, off offset:11264
	s_wait_xcnt 0x0
	s_and_saveexec_b32 s1, s0
	s_cbranch_execz .LBB620_143
; %bb.142:
	ds_load_b64 v[6:7], v3
	v_mov_b32_e32 v3, v5
	s_delay_alu instid0(VALU_DEP_1) | instskip(SKIP_1) | instid1(VALU_DEP_1)
	v_add_nc_u64_e32 v[0:1], v[0:1], v[2:3]
	s_wait_dscnt 0x0
	v_add_nc_u64_e32 v[0:1], v[0:1], v[6:7]
	global_store_b64 v12, v[0:1], s[14:15] scale_offset
.LBB620_143:
	s_sendmsg sendmsg(MSG_DEALLOC_VGPRS)
	s_endpgm
	.section	.rodata,"a",@progbits
	.p2align	6, 0x0
	.amdhsa_kernel _ZN7rocprim17ROCPRIM_400000_NS6detail17trampoline_kernelINS0_14default_configENS1_35radix_sort_onesweep_config_selectorIsNS0_10empty_typeEEEZZNS1_29radix_sort_onesweep_iterationIS3_Lb1EPKsPsPS5_SB_mNS0_19identity_decomposerENS1_16block_id_wrapperIjLb0EEEEE10hipError_tT1_PNSt15iterator_traitsISG_E10value_typeET2_T3_PNSH_ISM_E10value_typeET4_T5_PSR_SS_PNS1_23onesweep_lookback_stateEbbT6_jjT7_P12ihipStream_tbENKUlT_T0_SG_SL_E_clIS9_SA_SB_SB_EEDaSZ_S10_SG_SL_EUlSZ_E_NS1_11comp_targetILNS1_3genE0ELNS1_11target_archE4294967295ELNS1_3gpuE0ELNS1_3repE0EEENS1_47radix_sort_onesweep_sort_config_static_selectorELNS0_4arch9wavefront6targetE0EEEvSG_
		.amdhsa_group_segment_fixed_size 18504
		.amdhsa_private_segment_fixed_size 0
		.amdhsa_kernarg_size 344
		.amdhsa_user_sgpr_count 2
		.amdhsa_user_sgpr_dispatch_ptr 0
		.amdhsa_user_sgpr_queue_ptr 0
		.amdhsa_user_sgpr_kernarg_segment_ptr 1
		.amdhsa_user_sgpr_dispatch_id 0
		.amdhsa_user_sgpr_kernarg_preload_length 0
		.amdhsa_user_sgpr_kernarg_preload_offset 0
		.amdhsa_user_sgpr_private_segment_size 0
		.amdhsa_wavefront_size32 1
		.amdhsa_uses_dynamic_stack 0
		.amdhsa_enable_private_segment 0
		.amdhsa_system_sgpr_workgroup_id_x 1
		.amdhsa_system_sgpr_workgroup_id_y 0
		.amdhsa_system_sgpr_workgroup_id_z 0
		.amdhsa_system_sgpr_workgroup_info 0
		.amdhsa_system_vgpr_workitem_id 2
		.amdhsa_next_free_vgpr 65
		.amdhsa_next_free_sgpr 29
		.amdhsa_named_barrier_count 0
		.amdhsa_reserve_vcc 1
		.amdhsa_float_round_mode_32 0
		.amdhsa_float_round_mode_16_64 0
		.amdhsa_float_denorm_mode_32 3
		.amdhsa_float_denorm_mode_16_64 3
		.amdhsa_fp16_overflow 0
		.amdhsa_memory_ordered 1
		.amdhsa_forward_progress 1
		.amdhsa_inst_pref_size 135
		.amdhsa_round_robin_scheduling 0
		.amdhsa_exception_fp_ieee_invalid_op 0
		.amdhsa_exception_fp_denorm_src 0
		.amdhsa_exception_fp_ieee_div_zero 0
		.amdhsa_exception_fp_ieee_overflow 0
		.amdhsa_exception_fp_ieee_underflow 0
		.amdhsa_exception_fp_ieee_inexact 0
		.amdhsa_exception_int_div_zero 0
	.end_amdhsa_kernel
	.section	.text._ZN7rocprim17ROCPRIM_400000_NS6detail17trampoline_kernelINS0_14default_configENS1_35radix_sort_onesweep_config_selectorIsNS0_10empty_typeEEEZZNS1_29radix_sort_onesweep_iterationIS3_Lb1EPKsPsPS5_SB_mNS0_19identity_decomposerENS1_16block_id_wrapperIjLb0EEEEE10hipError_tT1_PNSt15iterator_traitsISG_E10value_typeET2_T3_PNSH_ISM_E10value_typeET4_T5_PSR_SS_PNS1_23onesweep_lookback_stateEbbT6_jjT7_P12ihipStream_tbENKUlT_T0_SG_SL_E_clIS9_SA_SB_SB_EEDaSZ_S10_SG_SL_EUlSZ_E_NS1_11comp_targetILNS1_3genE0ELNS1_11target_archE4294967295ELNS1_3gpuE0ELNS1_3repE0EEENS1_47radix_sort_onesweep_sort_config_static_selectorELNS0_4arch9wavefront6targetE0EEEvSG_,"axG",@progbits,_ZN7rocprim17ROCPRIM_400000_NS6detail17trampoline_kernelINS0_14default_configENS1_35radix_sort_onesweep_config_selectorIsNS0_10empty_typeEEEZZNS1_29radix_sort_onesweep_iterationIS3_Lb1EPKsPsPS5_SB_mNS0_19identity_decomposerENS1_16block_id_wrapperIjLb0EEEEE10hipError_tT1_PNSt15iterator_traitsISG_E10value_typeET2_T3_PNSH_ISM_E10value_typeET4_T5_PSR_SS_PNS1_23onesweep_lookback_stateEbbT6_jjT7_P12ihipStream_tbENKUlT_T0_SG_SL_E_clIS9_SA_SB_SB_EEDaSZ_S10_SG_SL_EUlSZ_E_NS1_11comp_targetILNS1_3genE0ELNS1_11target_archE4294967295ELNS1_3gpuE0ELNS1_3repE0EEENS1_47radix_sort_onesweep_sort_config_static_selectorELNS0_4arch9wavefront6targetE0EEEvSG_,comdat
.Lfunc_end620:
	.size	_ZN7rocprim17ROCPRIM_400000_NS6detail17trampoline_kernelINS0_14default_configENS1_35radix_sort_onesweep_config_selectorIsNS0_10empty_typeEEEZZNS1_29radix_sort_onesweep_iterationIS3_Lb1EPKsPsPS5_SB_mNS0_19identity_decomposerENS1_16block_id_wrapperIjLb0EEEEE10hipError_tT1_PNSt15iterator_traitsISG_E10value_typeET2_T3_PNSH_ISM_E10value_typeET4_T5_PSR_SS_PNS1_23onesweep_lookback_stateEbbT6_jjT7_P12ihipStream_tbENKUlT_T0_SG_SL_E_clIS9_SA_SB_SB_EEDaSZ_S10_SG_SL_EUlSZ_E_NS1_11comp_targetILNS1_3genE0ELNS1_11target_archE4294967295ELNS1_3gpuE0ELNS1_3repE0EEENS1_47radix_sort_onesweep_sort_config_static_selectorELNS0_4arch9wavefront6targetE0EEEvSG_, .Lfunc_end620-_ZN7rocprim17ROCPRIM_400000_NS6detail17trampoline_kernelINS0_14default_configENS1_35radix_sort_onesweep_config_selectorIsNS0_10empty_typeEEEZZNS1_29radix_sort_onesweep_iterationIS3_Lb1EPKsPsPS5_SB_mNS0_19identity_decomposerENS1_16block_id_wrapperIjLb0EEEEE10hipError_tT1_PNSt15iterator_traitsISG_E10value_typeET2_T3_PNSH_ISM_E10value_typeET4_T5_PSR_SS_PNS1_23onesweep_lookback_stateEbbT6_jjT7_P12ihipStream_tbENKUlT_T0_SG_SL_E_clIS9_SA_SB_SB_EEDaSZ_S10_SG_SL_EUlSZ_E_NS1_11comp_targetILNS1_3genE0ELNS1_11target_archE4294967295ELNS1_3gpuE0ELNS1_3repE0EEENS1_47radix_sort_onesweep_sort_config_static_selectorELNS0_4arch9wavefront6targetE0EEEvSG_
                                        ; -- End function
	.set _ZN7rocprim17ROCPRIM_400000_NS6detail17trampoline_kernelINS0_14default_configENS1_35radix_sort_onesweep_config_selectorIsNS0_10empty_typeEEEZZNS1_29radix_sort_onesweep_iterationIS3_Lb1EPKsPsPS5_SB_mNS0_19identity_decomposerENS1_16block_id_wrapperIjLb0EEEEE10hipError_tT1_PNSt15iterator_traitsISG_E10value_typeET2_T3_PNSH_ISM_E10value_typeET4_T5_PSR_SS_PNS1_23onesweep_lookback_stateEbbT6_jjT7_P12ihipStream_tbENKUlT_T0_SG_SL_E_clIS9_SA_SB_SB_EEDaSZ_S10_SG_SL_EUlSZ_E_NS1_11comp_targetILNS1_3genE0ELNS1_11target_archE4294967295ELNS1_3gpuE0ELNS1_3repE0EEENS1_47radix_sort_onesweep_sort_config_static_selectorELNS0_4arch9wavefront6targetE0EEEvSG_.num_vgpr, 65
	.set _ZN7rocprim17ROCPRIM_400000_NS6detail17trampoline_kernelINS0_14default_configENS1_35radix_sort_onesweep_config_selectorIsNS0_10empty_typeEEEZZNS1_29radix_sort_onesweep_iterationIS3_Lb1EPKsPsPS5_SB_mNS0_19identity_decomposerENS1_16block_id_wrapperIjLb0EEEEE10hipError_tT1_PNSt15iterator_traitsISG_E10value_typeET2_T3_PNSH_ISM_E10value_typeET4_T5_PSR_SS_PNS1_23onesweep_lookback_stateEbbT6_jjT7_P12ihipStream_tbENKUlT_T0_SG_SL_E_clIS9_SA_SB_SB_EEDaSZ_S10_SG_SL_EUlSZ_E_NS1_11comp_targetILNS1_3genE0ELNS1_11target_archE4294967295ELNS1_3gpuE0ELNS1_3repE0EEENS1_47radix_sort_onesweep_sort_config_static_selectorELNS0_4arch9wavefront6targetE0EEEvSG_.num_agpr, 0
	.set _ZN7rocprim17ROCPRIM_400000_NS6detail17trampoline_kernelINS0_14default_configENS1_35radix_sort_onesweep_config_selectorIsNS0_10empty_typeEEEZZNS1_29radix_sort_onesweep_iterationIS3_Lb1EPKsPsPS5_SB_mNS0_19identity_decomposerENS1_16block_id_wrapperIjLb0EEEEE10hipError_tT1_PNSt15iterator_traitsISG_E10value_typeET2_T3_PNSH_ISM_E10value_typeET4_T5_PSR_SS_PNS1_23onesweep_lookback_stateEbbT6_jjT7_P12ihipStream_tbENKUlT_T0_SG_SL_E_clIS9_SA_SB_SB_EEDaSZ_S10_SG_SL_EUlSZ_E_NS1_11comp_targetILNS1_3genE0ELNS1_11target_archE4294967295ELNS1_3gpuE0ELNS1_3repE0EEENS1_47radix_sort_onesweep_sort_config_static_selectorELNS0_4arch9wavefront6targetE0EEEvSG_.numbered_sgpr, 29
	.set _ZN7rocprim17ROCPRIM_400000_NS6detail17trampoline_kernelINS0_14default_configENS1_35radix_sort_onesweep_config_selectorIsNS0_10empty_typeEEEZZNS1_29radix_sort_onesweep_iterationIS3_Lb1EPKsPsPS5_SB_mNS0_19identity_decomposerENS1_16block_id_wrapperIjLb0EEEEE10hipError_tT1_PNSt15iterator_traitsISG_E10value_typeET2_T3_PNSH_ISM_E10value_typeET4_T5_PSR_SS_PNS1_23onesweep_lookback_stateEbbT6_jjT7_P12ihipStream_tbENKUlT_T0_SG_SL_E_clIS9_SA_SB_SB_EEDaSZ_S10_SG_SL_EUlSZ_E_NS1_11comp_targetILNS1_3genE0ELNS1_11target_archE4294967295ELNS1_3gpuE0ELNS1_3repE0EEENS1_47radix_sort_onesweep_sort_config_static_selectorELNS0_4arch9wavefront6targetE0EEEvSG_.num_named_barrier, 0
	.set _ZN7rocprim17ROCPRIM_400000_NS6detail17trampoline_kernelINS0_14default_configENS1_35radix_sort_onesweep_config_selectorIsNS0_10empty_typeEEEZZNS1_29radix_sort_onesweep_iterationIS3_Lb1EPKsPsPS5_SB_mNS0_19identity_decomposerENS1_16block_id_wrapperIjLb0EEEEE10hipError_tT1_PNSt15iterator_traitsISG_E10value_typeET2_T3_PNSH_ISM_E10value_typeET4_T5_PSR_SS_PNS1_23onesweep_lookback_stateEbbT6_jjT7_P12ihipStream_tbENKUlT_T0_SG_SL_E_clIS9_SA_SB_SB_EEDaSZ_S10_SG_SL_EUlSZ_E_NS1_11comp_targetILNS1_3genE0ELNS1_11target_archE4294967295ELNS1_3gpuE0ELNS1_3repE0EEENS1_47radix_sort_onesweep_sort_config_static_selectorELNS0_4arch9wavefront6targetE0EEEvSG_.private_seg_size, 0
	.set _ZN7rocprim17ROCPRIM_400000_NS6detail17trampoline_kernelINS0_14default_configENS1_35radix_sort_onesweep_config_selectorIsNS0_10empty_typeEEEZZNS1_29radix_sort_onesweep_iterationIS3_Lb1EPKsPsPS5_SB_mNS0_19identity_decomposerENS1_16block_id_wrapperIjLb0EEEEE10hipError_tT1_PNSt15iterator_traitsISG_E10value_typeET2_T3_PNSH_ISM_E10value_typeET4_T5_PSR_SS_PNS1_23onesweep_lookback_stateEbbT6_jjT7_P12ihipStream_tbENKUlT_T0_SG_SL_E_clIS9_SA_SB_SB_EEDaSZ_S10_SG_SL_EUlSZ_E_NS1_11comp_targetILNS1_3genE0ELNS1_11target_archE4294967295ELNS1_3gpuE0ELNS1_3repE0EEENS1_47radix_sort_onesweep_sort_config_static_selectorELNS0_4arch9wavefront6targetE0EEEvSG_.uses_vcc, 1
	.set _ZN7rocprim17ROCPRIM_400000_NS6detail17trampoline_kernelINS0_14default_configENS1_35radix_sort_onesweep_config_selectorIsNS0_10empty_typeEEEZZNS1_29radix_sort_onesweep_iterationIS3_Lb1EPKsPsPS5_SB_mNS0_19identity_decomposerENS1_16block_id_wrapperIjLb0EEEEE10hipError_tT1_PNSt15iterator_traitsISG_E10value_typeET2_T3_PNSH_ISM_E10value_typeET4_T5_PSR_SS_PNS1_23onesweep_lookback_stateEbbT6_jjT7_P12ihipStream_tbENKUlT_T0_SG_SL_E_clIS9_SA_SB_SB_EEDaSZ_S10_SG_SL_EUlSZ_E_NS1_11comp_targetILNS1_3genE0ELNS1_11target_archE4294967295ELNS1_3gpuE0ELNS1_3repE0EEENS1_47radix_sort_onesweep_sort_config_static_selectorELNS0_4arch9wavefront6targetE0EEEvSG_.uses_flat_scratch, 0
	.set _ZN7rocprim17ROCPRIM_400000_NS6detail17trampoline_kernelINS0_14default_configENS1_35radix_sort_onesweep_config_selectorIsNS0_10empty_typeEEEZZNS1_29radix_sort_onesweep_iterationIS3_Lb1EPKsPsPS5_SB_mNS0_19identity_decomposerENS1_16block_id_wrapperIjLb0EEEEE10hipError_tT1_PNSt15iterator_traitsISG_E10value_typeET2_T3_PNSH_ISM_E10value_typeET4_T5_PSR_SS_PNS1_23onesweep_lookback_stateEbbT6_jjT7_P12ihipStream_tbENKUlT_T0_SG_SL_E_clIS9_SA_SB_SB_EEDaSZ_S10_SG_SL_EUlSZ_E_NS1_11comp_targetILNS1_3genE0ELNS1_11target_archE4294967295ELNS1_3gpuE0ELNS1_3repE0EEENS1_47radix_sort_onesweep_sort_config_static_selectorELNS0_4arch9wavefront6targetE0EEEvSG_.has_dyn_sized_stack, 0
	.set _ZN7rocprim17ROCPRIM_400000_NS6detail17trampoline_kernelINS0_14default_configENS1_35radix_sort_onesweep_config_selectorIsNS0_10empty_typeEEEZZNS1_29radix_sort_onesweep_iterationIS3_Lb1EPKsPsPS5_SB_mNS0_19identity_decomposerENS1_16block_id_wrapperIjLb0EEEEE10hipError_tT1_PNSt15iterator_traitsISG_E10value_typeET2_T3_PNSH_ISM_E10value_typeET4_T5_PSR_SS_PNS1_23onesweep_lookback_stateEbbT6_jjT7_P12ihipStream_tbENKUlT_T0_SG_SL_E_clIS9_SA_SB_SB_EEDaSZ_S10_SG_SL_EUlSZ_E_NS1_11comp_targetILNS1_3genE0ELNS1_11target_archE4294967295ELNS1_3gpuE0ELNS1_3repE0EEENS1_47radix_sort_onesweep_sort_config_static_selectorELNS0_4arch9wavefront6targetE0EEEvSG_.has_recursion, 0
	.set _ZN7rocprim17ROCPRIM_400000_NS6detail17trampoline_kernelINS0_14default_configENS1_35radix_sort_onesweep_config_selectorIsNS0_10empty_typeEEEZZNS1_29radix_sort_onesweep_iterationIS3_Lb1EPKsPsPS5_SB_mNS0_19identity_decomposerENS1_16block_id_wrapperIjLb0EEEEE10hipError_tT1_PNSt15iterator_traitsISG_E10value_typeET2_T3_PNSH_ISM_E10value_typeET4_T5_PSR_SS_PNS1_23onesweep_lookback_stateEbbT6_jjT7_P12ihipStream_tbENKUlT_T0_SG_SL_E_clIS9_SA_SB_SB_EEDaSZ_S10_SG_SL_EUlSZ_E_NS1_11comp_targetILNS1_3genE0ELNS1_11target_archE4294967295ELNS1_3gpuE0ELNS1_3repE0EEENS1_47radix_sort_onesweep_sort_config_static_selectorELNS0_4arch9wavefront6targetE0EEEvSG_.has_indirect_call, 0
	.section	.AMDGPU.csdata,"",@progbits
; Kernel info:
; codeLenInByte = 17208
; TotalNumSgprs: 31
; NumVgprs: 65
; ScratchSize: 0
; MemoryBound: 0
; FloatMode: 240
; IeeeMode: 1
; LDSByteSize: 18504 bytes/workgroup (compile time only)
; SGPRBlocks: 0
; VGPRBlocks: 4
; NumSGPRsForWavesPerEU: 31
; NumVGPRsForWavesPerEU: 65
; NamedBarCnt: 0
; Occupancy: 12
; WaveLimiterHint : 0
; COMPUTE_PGM_RSRC2:SCRATCH_EN: 0
; COMPUTE_PGM_RSRC2:USER_SGPR: 2
; COMPUTE_PGM_RSRC2:TRAP_HANDLER: 0
; COMPUTE_PGM_RSRC2:TGID_X_EN: 1
; COMPUTE_PGM_RSRC2:TGID_Y_EN: 0
; COMPUTE_PGM_RSRC2:TGID_Z_EN: 0
; COMPUTE_PGM_RSRC2:TIDIG_COMP_CNT: 2
	.section	.text._ZN7rocprim17ROCPRIM_400000_NS6detail17trampoline_kernelINS0_14default_configENS1_35radix_sort_onesweep_config_selectorIsNS0_10empty_typeEEEZZNS1_29radix_sort_onesweep_iterationIS3_Lb1EPKsPsPS5_SB_mNS0_19identity_decomposerENS1_16block_id_wrapperIjLb0EEEEE10hipError_tT1_PNSt15iterator_traitsISG_E10value_typeET2_T3_PNSH_ISM_E10value_typeET4_T5_PSR_SS_PNS1_23onesweep_lookback_stateEbbT6_jjT7_P12ihipStream_tbENKUlT_T0_SG_SL_E_clIS9_SA_SB_SB_EEDaSZ_S10_SG_SL_EUlSZ_E_NS1_11comp_targetILNS1_3genE6ELNS1_11target_archE950ELNS1_3gpuE13ELNS1_3repE0EEENS1_47radix_sort_onesweep_sort_config_static_selectorELNS0_4arch9wavefront6targetE0EEEvSG_,"axG",@progbits,_ZN7rocprim17ROCPRIM_400000_NS6detail17trampoline_kernelINS0_14default_configENS1_35radix_sort_onesweep_config_selectorIsNS0_10empty_typeEEEZZNS1_29radix_sort_onesweep_iterationIS3_Lb1EPKsPsPS5_SB_mNS0_19identity_decomposerENS1_16block_id_wrapperIjLb0EEEEE10hipError_tT1_PNSt15iterator_traitsISG_E10value_typeET2_T3_PNSH_ISM_E10value_typeET4_T5_PSR_SS_PNS1_23onesweep_lookback_stateEbbT6_jjT7_P12ihipStream_tbENKUlT_T0_SG_SL_E_clIS9_SA_SB_SB_EEDaSZ_S10_SG_SL_EUlSZ_E_NS1_11comp_targetILNS1_3genE6ELNS1_11target_archE950ELNS1_3gpuE13ELNS1_3repE0EEENS1_47radix_sort_onesweep_sort_config_static_selectorELNS0_4arch9wavefront6targetE0EEEvSG_,comdat
	.protected	_ZN7rocprim17ROCPRIM_400000_NS6detail17trampoline_kernelINS0_14default_configENS1_35radix_sort_onesweep_config_selectorIsNS0_10empty_typeEEEZZNS1_29radix_sort_onesweep_iterationIS3_Lb1EPKsPsPS5_SB_mNS0_19identity_decomposerENS1_16block_id_wrapperIjLb0EEEEE10hipError_tT1_PNSt15iterator_traitsISG_E10value_typeET2_T3_PNSH_ISM_E10value_typeET4_T5_PSR_SS_PNS1_23onesweep_lookback_stateEbbT6_jjT7_P12ihipStream_tbENKUlT_T0_SG_SL_E_clIS9_SA_SB_SB_EEDaSZ_S10_SG_SL_EUlSZ_E_NS1_11comp_targetILNS1_3genE6ELNS1_11target_archE950ELNS1_3gpuE13ELNS1_3repE0EEENS1_47radix_sort_onesweep_sort_config_static_selectorELNS0_4arch9wavefront6targetE0EEEvSG_ ; -- Begin function _ZN7rocprim17ROCPRIM_400000_NS6detail17trampoline_kernelINS0_14default_configENS1_35radix_sort_onesweep_config_selectorIsNS0_10empty_typeEEEZZNS1_29radix_sort_onesweep_iterationIS3_Lb1EPKsPsPS5_SB_mNS0_19identity_decomposerENS1_16block_id_wrapperIjLb0EEEEE10hipError_tT1_PNSt15iterator_traitsISG_E10value_typeET2_T3_PNSH_ISM_E10value_typeET4_T5_PSR_SS_PNS1_23onesweep_lookback_stateEbbT6_jjT7_P12ihipStream_tbENKUlT_T0_SG_SL_E_clIS9_SA_SB_SB_EEDaSZ_S10_SG_SL_EUlSZ_E_NS1_11comp_targetILNS1_3genE6ELNS1_11target_archE950ELNS1_3gpuE13ELNS1_3repE0EEENS1_47radix_sort_onesweep_sort_config_static_selectorELNS0_4arch9wavefront6targetE0EEEvSG_
	.globl	_ZN7rocprim17ROCPRIM_400000_NS6detail17trampoline_kernelINS0_14default_configENS1_35radix_sort_onesweep_config_selectorIsNS0_10empty_typeEEEZZNS1_29radix_sort_onesweep_iterationIS3_Lb1EPKsPsPS5_SB_mNS0_19identity_decomposerENS1_16block_id_wrapperIjLb0EEEEE10hipError_tT1_PNSt15iterator_traitsISG_E10value_typeET2_T3_PNSH_ISM_E10value_typeET4_T5_PSR_SS_PNS1_23onesweep_lookback_stateEbbT6_jjT7_P12ihipStream_tbENKUlT_T0_SG_SL_E_clIS9_SA_SB_SB_EEDaSZ_S10_SG_SL_EUlSZ_E_NS1_11comp_targetILNS1_3genE6ELNS1_11target_archE950ELNS1_3gpuE13ELNS1_3repE0EEENS1_47radix_sort_onesweep_sort_config_static_selectorELNS0_4arch9wavefront6targetE0EEEvSG_
	.p2align	8
	.type	_ZN7rocprim17ROCPRIM_400000_NS6detail17trampoline_kernelINS0_14default_configENS1_35radix_sort_onesweep_config_selectorIsNS0_10empty_typeEEEZZNS1_29radix_sort_onesweep_iterationIS3_Lb1EPKsPsPS5_SB_mNS0_19identity_decomposerENS1_16block_id_wrapperIjLb0EEEEE10hipError_tT1_PNSt15iterator_traitsISG_E10value_typeET2_T3_PNSH_ISM_E10value_typeET4_T5_PSR_SS_PNS1_23onesweep_lookback_stateEbbT6_jjT7_P12ihipStream_tbENKUlT_T0_SG_SL_E_clIS9_SA_SB_SB_EEDaSZ_S10_SG_SL_EUlSZ_E_NS1_11comp_targetILNS1_3genE6ELNS1_11target_archE950ELNS1_3gpuE13ELNS1_3repE0EEENS1_47radix_sort_onesweep_sort_config_static_selectorELNS0_4arch9wavefront6targetE0EEEvSG_,@function
_ZN7rocprim17ROCPRIM_400000_NS6detail17trampoline_kernelINS0_14default_configENS1_35radix_sort_onesweep_config_selectorIsNS0_10empty_typeEEEZZNS1_29radix_sort_onesweep_iterationIS3_Lb1EPKsPsPS5_SB_mNS0_19identity_decomposerENS1_16block_id_wrapperIjLb0EEEEE10hipError_tT1_PNSt15iterator_traitsISG_E10value_typeET2_T3_PNSH_ISM_E10value_typeET4_T5_PSR_SS_PNS1_23onesweep_lookback_stateEbbT6_jjT7_P12ihipStream_tbENKUlT_T0_SG_SL_E_clIS9_SA_SB_SB_EEDaSZ_S10_SG_SL_EUlSZ_E_NS1_11comp_targetILNS1_3genE6ELNS1_11target_archE950ELNS1_3gpuE13ELNS1_3repE0EEENS1_47radix_sort_onesweep_sort_config_static_selectorELNS0_4arch9wavefront6targetE0EEEvSG_: ; @_ZN7rocprim17ROCPRIM_400000_NS6detail17trampoline_kernelINS0_14default_configENS1_35radix_sort_onesweep_config_selectorIsNS0_10empty_typeEEEZZNS1_29radix_sort_onesweep_iterationIS3_Lb1EPKsPsPS5_SB_mNS0_19identity_decomposerENS1_16block_id_wrapperIjLb0EEEEE10hipError_tT1_PNSt15iterator_traitsISG_E10value_typeET2_T3_PNSH_ISM_E10value_typeET4_T5_PSR_SS_PNS1_23onesweep_lookback_stateEbbT6_jjT7_P12ihipStream_tbENKUlT_T0_SG_SL_E_clIS9_SA_SB_SB_EEDaSZ_S10_SG_SL_EUlSZ_E_NS1_11comp_targetILNS1_3genE6ELNS1_11target_archE950ELNS1_3gpuE13ELNS1_3repE0EEENS1_47radix_sort_onesweep_sort_config_static_selectorELNS0_4arch9wavefront6targetE0EEEvSG_
; %bb.0:
	.section	.rodata,"a",@progbits
	.p2align	6, 0x0
	.amdhsa_kernel _ZN7rocprim17ROCPRIM_400000_NS6detail17trampoline_kernelINS0_14default_configENS1_35radix_sort_onesweep_config_selectorIsNS0_10empty_typeEEEZZNS1_29radix_sort_onesweep_iterationIS3_Lb1EPKsPsPS5_SB_mNS0_19identity_decomposerENS1_16block_id_wrapperIjLb0EEEEE10hipError_tT1_PNSt15iterator_traitsISG_E10value_typeET2_T3_PNSH_ISM_E10value_typeET4_T5_PSR_SS_PNS1_23onesweep_lookback_stateEbbT6_jjT7_P12ihipStream_tbENKUlT_T0_SG_SL_E_clIS9_SA_SB_SB_EEDaSZ_S10_SG_SL_EUlSZ_E_NS1_11comp_targetILNS1_3genE6ELNS1_11target_archE950ELNS1_3gpuE13ELNS1_3repE0EEENS1_47radix_sort_onesweep_sort_config_static_selectorELNS0_4arch9wavefront6targetE0EEEvSG_
		.amdhsa_group_segment_fixed_size 0
		.amdhsa_private_segment_fixed_size 0
		.amdhsa_kernarg_size 88
		.amdhsa_user_sgpr_count 2
		.amdhsa_user_sgpr_dispatch_ptr 0
		.amdhsa_user_sgpr_queue_ptr 0
		.amdhsa_user_sgpr_kernarg_segment_ptr 1
		.amdhsa_user_sgpr_dispatch_id 0
		.amdhsa_user_sgpr_kernarg_preload_length 0
		.amdhsa_user_sgpr_kernarg_preload_offset 0
		.amdhsa_user_sgpr_private_segment_size 0
		.amdhsa_wavefront_size32 1
		.amdhsa_uses_dynamic_stack 0
		.amdhsa_enable_private_segment 0
		.amdhsa_system_sgpr_workgroup_id_x 1
		.amdhsa_system_sgpr_workgroup_id_y 0
		.amdhsa_system_sgpr_workgroup_id_z 0
		.amdhsa_system_sgpr_workgroup_info 0
		.amdhsa_system_vgpr_workitem_id 0
		.amdhsa_next_free_vgpr 1
		.amdhsa_next_free_sgpr 1
		.amdhsa_named_barrier_count 0
		.amdhsa_reserve_vcc 0
		.amdhsa_float_round_mode_32 0
		.amdhsa_float_round_mode_16_64 0
		.amdhsa_float_denorm_mode_32 3
		.amdhsa_float_denorm_mode_16_64 3
		.amdhsa_fp16_overflow 0
		.amdhsa_memory_ordered 1
		.amdhsa_forward_progress 1
		.amdhsa_inst_pref_size 0
		.amdhsa_round_robin_scheduling 0
		.amdhsa_exception_fp_ieee_invalid_op 0
		.amdhsa_exception_fp_denorm_src 0
		.amdhsa_exception_fp_ieee_div_zero 0
		.amdhsa_exception_fp_ieee_overflow 0
		.amdhsa_exception_fp_ieee_underflow 0
		.amdhsa_exception_fp_ieee_inexact 0
		.amdhsa_exception_int_div_zero 0
	.end_amdhsa_kernel
	.section	.text._ZN7rocprim17ROCPRIM_400000_NS6detail17trampoline_kernelINS0_14default_configENS1_35radix_sort_onesweep_config_selectorIsNS0_10empty_typeEEEZZNS1_29radix_sort_onesweep_iterationIS3_Lb1EPKsPsPS5_SB_mNS0_19identity_decomposerENS1_16block_id_wrapperIjLb0EEEEE10hipError_tT1_PNSt15iterator_traitsISG_E10value_typeET2_T3_PNSH_ISM_E10value_typeET4_T5_PSR_SS_PNS1_23onesweep_lookback_stateEbbT6_jjT7_P12ihipStream_tbENKUlT_T0_SG_SL_E_clIS9_SA_SB_SB_EEDaSZ_S10_SG_SL_EUlSZ_E_NS1_11comp_targetILNS1_3genE6ELNS1_11target_archE950ELNS1_3gpuE13ELNS1_3repE0EEENS1_47radix_sort_onesweep_sort_config_static_selectorELNS0_4arch9wavefront6targetE0EEEvSG_,"axG",@progbits,_ZN7rocprim17ROCPRIM_400000_NS6detail17trampoline_kernelINS0_14default_configENS1_35radix_sort_onesweep_config_selectorIsNS0_10empty_typeEEEZZNS1_29radix_sort_onesweep_iterationIS3_Lb1EPKsPsPS5_SB_mNS0_19identity_decomposerENS1_16block_id_wrapperIjLb0EEEEE10hipError_tT1_PNSt15iterator_traitsISG_E10value_typeET2_T3_PNSH_ISM_E10value_typeET4_T5_PSR_SS_PNS1_23onesweep_lookback_stateEbbT6_jjT7_P12ihipStream_tbENKUlT_T0_SG_SL_E_clIS9_SA_SB_SB_EEDaSZ_S10_SG_SL_EUlSZ_E_NS1_11comp_targetILNS1_3genE6ELNS1_11target_archE950ELNS1_3gpuE13ELNS1_3repE0EEENS1_47radix_sort_onesweep_sort_config_static_selectorELNS0_4arch9wavefront6targetE0EEEvSG_,comdat
.Lfunc_end621:
	.size	_ZN7rocprim17ROCPRIM_400000_NS6detail17trampoline_kernelINS0_14default_configENS1_35radix_sort_onesweep_config_selectorIsNS0_10empty_typeEEEZZNS1_29radix_sort_onesweep_iterationIS3_Lb1EPKsPsPS5_SB_mNS0_19identity_decomposerENS1_16block_id_wrapperIjLb0EEEEE10hipError_tT1_PNSt15iterator_traitsISG_E10value_typeET2_T3_PNSH_ISM_E10value_typeET4_T5_PSR_SS_PNS1_23onesweep_lookback_stateEbbT6_jjT7_P12ihipStream_tbENKUlT_T0_SG_SL_E_clIS9_SA_SB_SB_EEDaSZ_S10_SG_SL_EUlSZ_E_NS1_11comp_targetILNS1_3genE6ELNS1_11target_archE950ELNS1_3gpuE13ELNS1_3repE0EEENS1_47radix_sort_onesweep_sort_config_static_selectorELNS0_4arch9wavefront6targetE0EEEvSG_, .Lfunc_end621-_ZN7rocprim17ROCPRIM_400000_NS6detail17trampoline_kernelINS0_14default_configENS1_35radix_sort_onesweep_config_selectorIsNS0_10empty_typeEEEZZNS1_29radix_sort_onesweep_iterationIS3_Lb1EPKsPsPS5_SB_mNS0_19identity_decomposerENS1_16block_id_wrapperIjLb0EEEEE10hipError_tT1_PNSt15iterator_traitsISG_E10value_typeET2_T3_PNSH_ISM_E10value_typeET4_T5_PSR_SS_PNS1_23onesweep_lookback_stateEbbT6_jjT7_P12ihipStream_tbENKUlT_T0_SG_SL_E_clIS9_SA_SB_SB_EEDaSZ_S10_SG_SL_EUlSZ_E_NS1_11comp_targetILNS1_3genE6ELNS1_11target_archE950ELNS1_3gpuE13ELNS1_3repE0EEENS1_47radix_sort_onesweep_sort_config_static_selectorELNS0_4arch9wavefront6targetE0EEEvSG_
                                        ; -- End function
	.set _ZN7rocprim17ROCPRIM_400000_NS6detail17trampoline_kernelINS0_14default_configENS1_35radix_sort_onesweep_config_selectorIsNS0_10empty_typeEEEZZNS1_29radix_sort_onesweep_iterationIS3_Lb1EPKsPsPS5_SB_mNS0_19identity_decomposerENS1_16block_id_wrapperIjLb0EEEEE10hipError_tT1_PNSt15iterator_traitsISG_E10value_typeET2_T3_PNSH_ISM_E10value_typeET4_T5_PSR_SS_PNS1_23onesweep_lookback_stateEbbT6_jjT7_P12ihipStream_tbENKUlT_T0_SG_SL_E_clIS9_SA_SB_SB_EEDaSZ_S10_SG_SL_EUlSZ_E_NS1_11comp_targetILNS1_3genE6ELNS1_11target_archE950ELNS1_3gpuE13ELNS1_3repE0EEENS1_47radix_sort_onesweep_sort_config_static_selectorELNS0_4arch9wavefront6targetE0EEEvSG_.num_vgpr, 0
	.set _ZN7rocprim17ROCPRIM_400000_NS6detail17trampoline_kernelINS0_14default_configENS1_35radix_sort_onesweep_config_selectorIsNS0_10empty_typeEEEZZNS1_29radix_sort_onesweep_iterationIS3_Lb1EPKsPsPS5_SB_mNS0_19identity_decomposerENS1_16block_id_wrapperIjLb0EEEEE10hipError_tT1_PNSt15iterator_traitsISG_E10value_typeET2_T3_PNSH_ISM_E10value_typeET4_T5_PSR_SS_PNS1_23onesweep_lookback_stateEbbT6_jjT7_P12ihipStream_tbENKUlT_T0_SG_SL_E_clIS9_SA_SB_SB_EEDaSZ_S10_SG_SL_EUlSZ_E_NS1_11comp_targetILNS1_3genE6ELNS1_11target_archE950ELNS1_3gpuE13ELNS1_3repE0EEENS1_47radix_sort_onesweep_sort_config_static_selectorELNS0_4arch9wavefront6targetE0EEEvSG_.num_agpr, 0
	.set _ZN7rocprim17ROCPRIM_400000_NS6detail17trampoline_kernelINS0_14default_configENS1_35radix_sort_onesweep_config_selectorIsNS0_10empty_typeEEEZZNS1_29radix_sort_onesweep_iterationIS3_Lb1EPKsPsPS5_SB_mNS0_19identity_decomposerENS1_16block_id_wrapperIjLb0EEEEE10hipError_tT1_PNSt15iterator_traitsISG_E10value_typeET2_T3_PNSH_ISM_E10value_typeET4_T5_PSR_SS_PNS1_23onesweep_lookback_stateEbbT6_jjT7_P12ihipStream_tbENKUlT_T0_SG_SL_E_clIS9_SA_SB_SB_EEDaSZ_S10_SG_SL_EUlSZ_E_NS1_11comp_targetILNS1_3genE6ELNS1_11target_archE950ELNS1_3gpuE13ELNS1_3repE0EEENS1_47radix_sort_onesweep_sort_config_static_selectorELNS0_4arch9wavefront6targetE0EEEvSG_.numbered_sgpr, 0
	.set _ZN7rocprim17ROCPRIM_400000_NS6detail17trampoline_kernelINS0_14default_configENS1_35radix_sort_onesweep_config_selectorIsNS0_10empty_typeEEEZZNS1_29radix_sort_onesweep_iterationIS3_Lb1EPKsPsPS5_SB_mNS0_19identity_decomposerENS1_16block_id_wrapperIjLb0EEEEE10hipError_tT1_PNSt15iterator_traitsISG_E10value_typeET2_T3_PNSH_ISM_E10value_typeET4_T5_PSR_SS_PNS1_23onesweep_lookback_stateEbbT6_jjT7_P12ihipStream_tbENKUlT_T0_SG_SL_E_clIS9_SA_SB_SB_EEDaSZ_S10_SG_SL_EUlSZ_E_NS1_11comp_targetILNS1_3genE6ELNS1_11target_archE950ELNS1_3gpuE13ELNS1_3repE0EEENS1_47radix_sort_onesweep_sort_config_static_selectorELNS0_4arch9wavefront6targetE0EEEvSG_.num_named_barrier, 0
	.set _ZN7rocprim17ROCPRIM_400000_NS6detail17trampoline_kernelINS0_14default_configENS1_35radix_sort_onesweep_config_selectorIsNS0_10empty_typeEEEZZNS1_29radix_sort_onesweep_iterationIS3_Lb1EPKsPsPS5_SB_mNS0_19identity_decomposerENS1_16block_id_wrapperIjLb0EEEEE10hipError_tT1_PNSt15iterator_traitsISG_E10value_typeET2_T3_PNSH_ISM_E10value_typeET4_T5_PSR_SS_PNS1_23onesweep_lookback_stateEbbT6_jjT7_P12ihipStream_tbENKUlT_T0_SG_SL_E_clIS9_SA_SB_SB_EEDaSZ_S10_SG_SL_EUlSZ_E_NS1_11comp_targetILNS1_3genE6ELNS1_11target_archE950ELNS1_3gpuE13ELNS1_3repE0EEENS1_47radix_sort_onesweep_sort_config_static_selectorELNS0_4arch9wavefront6targetE0EEEvSG_.private_seg_size, 0
	.set _ZN7rocprim17ROCPRIM_400000_NS6detail17trampoline_kernelINS0_14default_configENS1_35radix_sort_onesweep_config_selectorIsNS0_10empty_typeEEEZZNS1_29radix_sort_onesweep_iterationIS3_Lb1EPKsPsPS5_SB_mNS0_19identity_decomposerENS1_16block_id_wrapperIjLb0EEEEE10hipError_tT1_PNSt15iterator_traitsISG_E10value_typeET2_T3_PNSH_ISM_E10value_typeET4_T5_PSR_SS_PNS1_23onesweep_lookback_stateEbbT6_jjT7_P12ihipStream_tbENKUlT_T0_SG_SL_E_clIS9_SA_SB_SB_EEDaSZ_S10_SG_SL_EUlSZ_E_NS1_11comp_targetILNS1_3genE6ELNS1_11target_archE950ELNS1_3gpuE13ELNS1_3repE0EEENS1_47radix_sort_onesweep_sort_config_static_selectorELNS0_4arch9wavefront6targetE0EEEvSG_.uses_vcc, 0
	.set _ZN7rocprim17ROCPRIM_400000_NS6detail17trampoline_kernelINS0_14default_configENS1_35radix_sort_onesweep_config_selectorIsNS0_10empty_typeEEEZZNS1_29radix_sort_onesweep_iterationIS3_Lb1EPKsPsPS5_SB_mNS0_19identity_decomposerENS1_16block_id_wrapperIjLb0EEEEE10hipError_tT1_PNSt15iterator_traitsISG_E10value_typeET2_T3_PNSH_ISM_E10value_typeET4_T5_PSR_SS_PNS1_23onesweep_lookback_stateEbbT6_jjT7_P12ihipStream_tbENKUlT_T0_SG_SL_E_clIS9_SA_SB_SB_EEDaSZ_S10_SG_SL_EUlSZ_E_NS1_11comp_targetILNS1_3genE6ELNS1_11target_archE950ELNS1_3gpuE13ELNS1_3repE0EEENS1_47radix_sort_onesweep_sort_config_static_selectorELNS0_4arch9wavefront6targetE0EEEvSG_.uses_flat_scratch, 0
	.set _ZN7rocprim17ROCPRIM_400000_NS6detail17trampoline_kernelINS0_14default_configENS1_35radix_sort_onesweep_config_selectorIsNS0_10empty_typeEEEZZNS1_29radix_sort_onesweep_iterationIS3_Lb1EPKsPsPS5_SB_mNS0_19identity_decomposerENS1_16block_id_wrapperIjLb0EEEEE10hipError_tT1_PNSt15iterator_traitsISG_E10value_typeET2_T3_PNSH_ISM_E10value_typeET4_T5_PSR_SS_PNS1_23onesweep_lookback_stateEbbT6_jjT7_P12ihipStream_tbENKUlT_T0_SG_SL_E_clIS9_SA_SB_SB_EEDaSZ_S10_SG_SL_EUlSZ_E_NS1_11comp_targetILNS1_3genE6ELNS1_11target_archE950ELNS1_3gpuE13ELNS1_3repE0EEENS1_47radix_sort_onesweep_sort_config_static_selectorELNS0_4arch9wavefront6targetE0EEEvSG_.has_dyn_sized_stack, 0
	.set _ZN7rocprim17ROCPRIM_400000_NS6detail17trampoline_kernelINS0_14default_configENS1_35radix_sort_onesweep_config_selectorIsNS0_10empty_typeEEEZZNS1_29radix_sort_onesweep_iterationIS3_Lb1EPKsPsPS5_SB_mNS0_19identity_decomposerENS1_16block_id_wrapperIjLb0EEEEE10hipError_tT1_PNSt15iterator_traitsISG_E10value_typeET2_T3_PNSH_ISM_E10value_typeET4_T5_PSR_SS_PNS1_23onesweep_lookback_stateEbbT6_jjT7_P12ihipStream_tbENKUlT_T0_SG_SL_E_clIS9_SA_SB_SB_EEDaSZ_S10_SG_SL_EUlSZ_E_NS1_11comp_targetILNS1_3genE6ELNS1_11target_archE950ELNS1_3gpuE13ELNS1_3repE0EEENS1_47radix_sort_onesweep_sort_config_static_selectorELNS0_4arch9wavefront6targetE0EEEvSG_.has_recursion, 0
	.set _ZN7rocprim17ROCPRIM_400000_NS6detail17trampoline_kernelINS0_14default_configENS1_35radix_sort_onesweep_config_selectorIsNS0_10empty_typeEEEZZNS1_29radix_sort_onesweep_iterationIS3_Lb1EPKsPsPS5_SB_mNS0_19identity_decomposerENS1_16block_id_wrapperIjLb0EEEEE10hipError_tT1_PNSt15iterator_traitsISG_E10value_typeET2_T3_PNSH_ISM_E10value_typeET4_T5_PSR_SS_PNS1_23onesweep_lookback_stateEbbT6_jjT7_P12ihipStream_tbENKUlT_T0_SG_SL_E_clIS9_SA_SB_SB_EEDaSZ_S10_SG_SL_EUlSZ_E_NS1_11comp_targetILNS1_3genE6ELNS1_11target_archE950ELNS1_3gpuE13ELNS1_3repE0EEENS1_47radix_sort_onesweep_sort_config_static_selectorELNS0_4arch9wavefront6targetE0EEEvSG_.has_indirect_call, 0
	.section	.AMDGPU.csdata,"",@progbits
; Kernel info:
; codeLenInByte = 0
; TotalNumSgprs: 0
; NumVgprs: 0
; ScratchSize: 0
; MemoryBound: 0
; FloatMode: 240
; IeeeMode: 1
; LDSByteSize: 0 bytes/workgroup (compile time only)
; SGPRBlocks: 0
; VGPRBlocks: 0
; NumSGPRsForWavesPerEU: 1
; NumVGPRsForWavesPerEU: 1
; NamedBarCnt: 0
; Occupancy: 16
; WaveLimiterHint : 0
; COMPUTE_PGM_RSRC2:SCRATCH_EN: 0
; COMPUTE_PGM_RSRC2:USER_SGPR: 2
; COMPUTE_PGM_RSRC2:TRAP_HANDLER: 0
; COMPUTE_PGM_RSRC2:TGID_X_EN: 1
; COMPUTE_PGM_RSRC2:TGID_Y_EN: 0
; COMPUTE_PGM_RSRC2:TGID_Z_EN: 0
; COMPUTE_PGM_RSRC2:TIDIG_COMP_CNT: 0
	.section	.text._ZN7rocprim17ROCPRIM_400000_NS6detail17trampoline_kernelINS0_14default_configENS1_35radix_sort_onesweep_config_selectorIsNS0_10empty_typeEEEZZNS1_29radix_sort_onesweep_iterationIS3_Lb1EPKsPsPS5_SB_mNS0_19identity_decomposerENS1_16block_id_wrapperIjLb0EEEEE10hipError_tT1_PNSt15iterator_traitsISG_E10value_typeET2_T3_PNSH_ISM_E10value_typeET4_T5_PSR_SS_PNS1_23onesweep_lookback_stateEbbT6_jjT7_P12ihipStream_tbENKUlT_T0_SG_SL_E_clIS9_SA_SB_SB_EEDaSZ_S10_SG_SL_EUlSZ_E_NS1_11comp_targetILNS1_3genE5ELNS1_11target_archE942ELNS1_3gpuE9ELNS1_3repE0EEENS1_47radix_sort_onesweep_sort_config_static_selectorELNS0_4arch9wavefront6targetE0EEEvSG_,"axG",@progbits,_ZN7rocprim17ROCPRIM_400000_NS6detail17trampoline_kernelINS0_14default_configENS1_35radix_sort_onesweep_config_selectorIsNS0_10empty_typeEEEZZNS1_29radix_sort_onesweep_iterationIS3_Lb1EPKsPsPS5_SB_mNS0_19identity_decomposerENS1_16block_id_wrapperIjLb0EEEEE10hipError_tT1_PNSt15iterator_traitsISG_E10value_typeET2_T3_PNSH_ISM_E10value_typeET4_T5_PSR_SS_PNS1_23onesweep_lookback_stateEbbT6_jjT7_P12ihipStream_tbENKUlT_T0_SG_SL_E_clIS9_SA_SB_SB_EEDaSZ_S10_SG_SL_EUlSZ_E_NS1_11comp_targetILNS1_3genE5ELNS1_11target_archE942ELNS1_3gpuE9ELNS1_3repE0EEENS1_47radix_sort_onesweep_sort_config_static_selectorELNS0_4arch9wavefront6targetE0EEEvSG_,comdat
	.protected	_ZN7rocprim17ROCPRIM_400000_NS6detail17trampoline_kernelINS0_14default_configENS1_35radix_sort_onesweep_config_selectorIsNS0_10empty_typeEEEZZNS1_29radix_sort_onesweep_iterationIS3_Lb1EPKsPsPS5_SB_mNS0_19identity_decomposerENS1_16block_id_wrapperIjLb0EEEEE10hipError_tT1_PNSt15iterator_traitsISG_E10value_typeET2_T3_PNSH_ISM_E10value_typeET4_T5_PSR_SS_PNS1_23onesweep_lookback_stateEbbT6_jjT7_P12ihipStream_tbENKUlT_T0_SG_SL_E_clIS9_SA_SB_SB_EEDaSZ_S10_SG_SL_EUlSZ_E_NS1_11comp_targetILNS1_3genE5ELNS1_11target_archE942ELNS1_3gpuE9ELNS1_3repE0EEENS1_47radix_sort_onesweep_sort_config_static_selectorELNS0_4arch9wavefront6targetE0EEEvSG_ ; -- Begin function _ZN7rocprim17ROCPRIM_400000_NS6detail17trampoline_kernelINS0_14default_configENS1_35radix_sort_onesweep_config_selectorIsNS0_10empty_typeEEEZZNS1_29radix_sort_onesweep_iterationIS3_Lb1EPKsPsPS5_SB_mNS0_19identity_decomposerENS1_16block_id_wrapperIjLb0EEEEE10hipError_tT1_PNSt15iterator_traitsISG_E10value_typeET2_T3_PNSH_ISM_E10value_typeET4_T5_PSR_SS_PNS1_23onesweep_lookback_stateEbbT6_jjT7_P12ihipStream_tbENKUlT_T0_SG_SL_E_clIS9_SA_SB_SB_EEDaSZ_S10_SG_SL_EUlSZ_E_NS1_11comp_targetILNS1_3genE5ELNS1_11target_archE942ELNS1_3gpuE9ELNS1_3repE0EEENS1_47radix_sort_onesweep_sort_config_static_selectorELNS0_4arch9wavefront6targetE0EEEvSG_
	.globl	_ZN7rocprim17ROCPRIM_400000_NS6detail17trampoline_kernelINS0_14default_configENS1_35radix_sort_onesweep_config_selectorIsNS0_10empty_typeEEEZZNS1_29radix_sort_onesweep_iterationIS3_Lb1EPKsPsPS5_SB_mNS0_19identity_decomposerENS1_16block_id_wrapperIjLb0EEEEE10hipError_tT1_PNSt15iterator_traitsISG_E10value_typeET2_T3_PNSH_ISM_E10value_typeET4_T5_PSR_SS_PNS1_23onesweep_lookback_stateEbbT6_jjT7_P12ihipStream_tbENKUlT_T0_SG_SL_E_clIS9_SA_SB_SB_EEDaSZ_S10_SG_SL_EUlSZ_E_NS1_11comp_targetILNS1_3genE5ELNS1_11target_archE942ELNS1_3gpuE9ELNS1_3repE0EEENS1_47radix_sort_onesweep_sort_config_static_selectorELNS0_4arch9wavefront6targetE0EEEvSG_
	.p2align	8
	.type	_ZN7rocprim17ROCPRIM_400000_NS6detail17trampoline_kernelINS0_14default_configENS1_35radix_sort_onesweep_config_selectorIsNS0_10empty_typeEEEZZNS1_29radix_sort_onesweep_iterationIS3_Lb1EPKsPsPS5_SB_mNS0_19identity_decomposerENS1_16block_id_wrapperIjLb0EEEEE10hipError_tT1_PNSt15iterator_traitsISG_E10value_typeET2_T3_PNSH_ISM_E10value_typeET4_T5_PSR_SS_PNS1_23onesweep_lookback_stateEbbT6_jjT7_P12ihipStream_tbENKUlT_T0_SG_SL_E_clIS9_SA_SB_SB_EEDaSZ_S10_SG_SL_EUlSZ_E_NS1_11comp_targetILNS1_3genE5ELNS1_11target_archE942ELNS1_3gpuE9ELNS1_3repE0EEENS1_47radix_sort_onesweep_sort_config_static_selectorELNS0_4arch9wavefront6targetE0EEEvSG_,@function
_ZN7rocprim17ROCPRIM_400000_NS6detail17trampoline_kernelINS0_14default_configENS1_35radix_sort_onesweep_config_selectorIsNS0_10empty_typeEEEZZNS1_29radix_sort_onesweep_iterationIS3_Lb1EPKsPsPS5_SB_mNS0_19identity_decomposerENS1_16block_id_wrapperIjLb0EEEEE10hipError_tT1_PNSt15iterator_traitsISG_E10value_typeET2_T3_PNSH_ISM_E10value_typeET4_T5_PSR_SS_PNS1_23onesweep_lookback_stateEbbT6_jjT7_P12ihipStream_tbENKUlT_T0_SG_SL_E_clIS9_SA_SB_SB_EEDaSZ_S10_SG_SL_EUlSZ_E_NS1_11comp_targetILNS1_3genE5ELNS1_11target_archE942ELNS1_3gpuE9ELNS1_3repE0EEENS1_47radix_sort_onesweep_sort_config_static_selectorELNS0_4arch9wavefront6targetE0EEEvSG_: ; @_ZN7rocprim17ROCPRIM_400000_NS6detail17trampoline_kernelINS0_14default_configENS1_35radix_sort_onesweep_config_selectorIsNS0_10empty_typeEEEZZNS1_29radix_sort_onesweep_iterationIS3_Lb1EPKsPsPS5_SB_mNS0_19identity_decomposerENS1_16block_id_wrapperIjLb0EEEEE10hipError_tT1_PNSt15iterator_traitsISG_E10value_typeET2_T3_PNSH_ISM_E10value_typeET4_T5_PSR_SS_PNS1_23onesweep_lookback_stateEbbT6_jjT7_P12ihipStream_tbENKUlT_T0_SG_SL_E_clIS9_SA_SB_SB_EEDaSZ_S10_SG_SL_EUlSZ_E_NS1_11comp_targetILNS1_3genE5ELNS1_11target_archE942ELNS1_3gpuE9ELNS1_3repE0EEENS1_47radix_sort_onesweep_sort_config_static_selectorELNS0_4arch9wavefront6targetE0EEEvSG_
; %bb.0:
	.section	.rodata,"a",@progbits
	.p2align	6, 0x0
	.amdhsa_kernel _ZN7rocprim17ROCPRIM_400000_NS6detail17trampoline_kernelINS0_14default_configENS1_35radix_sort_onesweep_config_selectorIsNS0_10empty_typeEEEZZNS1_29radix_sort_onesweep_iterationIS3_Lb1EPKsPsPS5_SB_mNS0_19identity_decomposerENS1_16block_id_wrapperIjLb0EEEEE10hipError_tT1_PNSt15iterator_traitsISG_E10value_typeET2_T3_PNSH_ISM_E10value_typeET4_T5_PSR_SS_PNS1_23onesweep_lookback_stateEbbT6_jjT7_P12ihipStream_tbENKUlT_T0_SG_SL_E_clIS9_SA_SB_SB_EEDaSZ_S10_SG_SL_EUlSZ_E_NS1_11comp_targetILNS1_3genE5ELNS1_11target_archE942ELNS1_3gpuE9ELNS1_3repE0EEENS1_47radix_sort_onesweep_sort_config_static_selectorELNS0_4arch9wavefront6targetE0EEEvSG_
		.amdhsa_group_segment_fixed_size 0
		.amdhsa_private_segment_fixed_size 0
		.amdhsa_kernarg_size 88
		.amdhsa_user_sgpr_count 2
		.amdhsa_user_sgpr_dispatch_ptr 0
		.amdhsa_user_sgpr_queue_ptr 0
		.amdhsa_user_sgpr_kernarg_segment_ptr 1
		.amdhsa_user_sgpr_dispatch_id 0
		.amdhsa_user_sgpr_kernarg_preload_length 0
		.amdhsa_user_sgpr_kernarg_preload_offset 0
		.amdhsa_user_sgpr_private_segment_size 0
		.amdhsa_wavefront_size32 1
		.amdhsa_uses_dynamic_stack 0
		.amdhsa_enable_private_segment 0
		.amdhsa_system_sgpr_workgroup_id_x 1
		.amdhsa_system_sgpr_workgroup_id_y 0
		.amdhsa_system_sgpr_workgroup_id_z 0
		.amdhsa_system_sgpr_workgroup_info 0
		.amdhsa_system_vgpr_workitem_id 0
		.amdhsa_next_free_vgpr 1
		.amdhsa_next_free_sgpr 1
		.amdhsa_named_barrier_count 0
		.amdhsa_reserve_vcc 0
		.amdhsa_float_round_mode_32 0
		.amdhsa_float_round_mode_16_64 0
		.amdhsa_float_denorm_mode_32 3
		.amdhsa_float_denorm_mode_16_64 3
		.amdhsa_fp16_overflow 0
		.amdhsa_memory_ordered 1
		.amdhsa_forward_progress 1
		.amdhsa_inst_pref_size 0
		.amdhsa_round_robin_scheduling 0
		.amdhsa_exception_fp_ieee_invalid_op 0
		.amdhsa_exception_fp_denorm_src 0
		.amdhsa_exception_fp_ieee_div_zero 0
		.amdhsa_exception_fp_ieee_overflow 0
		.amdhsa_exception_fp_ieee_underflow 0
		.amdhsa_exception_fp_ieee_inexact 0
		.amdhsa_exception_int_div_zero 0
	.end_amdhsa_kernel
	.section	.text._ZN7rocprim17ROCPRIM_400000_NS6detail17trampoline_kernelINS0_14default_configENS1_35radix_sort_onesweep_config_selectorIsNS0_10empty_typeEEEZZNS1_29radix_sort_onesweep_iterationIS3_Lb1EPKsPsPS5_SB_mNS0_19identity_decomposerENS1_16block_id_wrapperIjLb0EEEEE10hipError_tT1_PNSt15iterator_traitsISG_E10value_typeET2_T3_PNSH_ISM_E10value_typeET4_T5_PSR_SS_PNS1_23onesweep_lookback_stateEbbT6_jjT7_P12ihipStream_tbENKUlT_T0_SG_SL_E_clIS9_SA_SB_SB_EEDaSZ_S10_SG_SL_EUlSZ_E_NS1_11comp_targetILNS1_3genE5ELNS1_11target_archE942ELNS1_3gpuE9ELNS1_3repE0EEENS1_47radix_sort_onesweep_sort_config_static_selectorELNS0_4arch9wavefront6targetE0EEEvSG_,"axG",@progbits,_ZN7rocprim17ROCPRIM_400000_NS6detail17trampoline_kernelINS0_14default_configENS1_35radix_sort_onesweep_config_selectorIsNS0_10empty_typeEEEZZNS1_29radix_sort_onesweep_iterationIS3_Lb1EPKsPsPS5_SB_mNS0_19identity_decomposerENS1_16block_id_wrapperIjLb0EEEEE10hipError_tT1_PNSt15iterator_traitsISG_E10value_typeET2_T3_PNSH_ISM_E10value_typeET4_T5_PSR_SS_PNS1_23onesweep_lookback_stateEbbT6_jjT7_P12ihipStream_tbENKUlT_T0_SG_SL_E_clIS9_SA_SB_SB_EEDaSZ_S10_SG_SL_EUlSZ_E_NS1_11comp_targetILNS1_3genE5ELNS1_11target_archE942ELNS1_3gpuE9ELNS1_3repE0EEENS1_47radix_sort_onesweep_sort_config_static_selectorELNS0_4arch9wavefront6targetE0EEEvSG_,comdat
.Lfunc_end622:
	.size	_ZN7rocprim17ROCPRIM_400000_NS6detail17trampoline_kernelINS0_14default_configENS1_35radix_sort_onesweep_config_selectorIsNS0_10empty_typeEEEZZNS1_29radix_sort_onesweep_iterationIS3_Lb1EPKsPsPS5_SB_mNS0_19identity_decomposerENS1_16block_id_wrapperIjLb0EEEEE10hipError_tT1_PNSt15iterator_traitsISG_E10value_typeET2_T3_PNSH_ISM_E10value_typeET4_T5_PSR_SS_PNS1_23onesweep_lookback_stateEbbT6_jjT7_P12ihipStream_tbENKUlT_T0_SG_SL_E_clIS9_SA_SB_SB_EEDaSZ_S10_SG_SL_EUlSZ_E_NS1_11comp_targetILNS1_3genE5ELNS1_11target_archE942ELNS1_3gpuE9ELNS1_3repE0EEENS1_47radix_sort_onesweep_sort_config_static_selectorELNS0_4arch9wavefront6targetE0EEEvSG_, .Lfunc_end622-_ZN7rocprim17ROCPRIM_400000_NS6detail17trampoline_kernelINS0_14default_configENS1_35radix_sort_onesweep_config_selectorIsNS0_10empty_typeEEEZZNS1_29radix_sort_onesweep_iterationIS3_Lb1EPKsPsPS5_SB_mNS0_19identity_decomposerENS1_16block_id_wrapperIjLb0EEEEE10hipError_tT1_PNSt15iterator_traitsISG_E10value_typeET2_T3_PNSH_ISM_E10value_typeET4_T5_PSR_SS_PNS1_23onesweep_lookback_stateEbbT6_jjT7_P12ihipStream_tbENKUlT_T0_SG_SL_E_clIS9_SA_SB_SB_EEDaSZ_S10_SG_SL_EUlSZ_E_NS1_11comp_targetILNS1_3genE5ELNS1_11target_archE942ELNS1_3gpuE9ELNS1_3repE0EEENS1_47radix_sort_onesweep_sort_config_static_selectorELNS0_4arch9wavefront6targetE0EEEvSG_
                                        ; -- End function
	.set _ZN7rocprim17ROCPRIM_400000_NS6detail17trampoline_kernelINS0_14default_configENS1_35radix_sort_onesweep_config_selectorIsNS0_10empty_typeEEEZZNS1_29radix_sort_onesweep_iterationIS3_Lb1EPKsPsPS5_SB_mNS0_19identity_decomposerENS1_16block_id_wrapperIjLb0EEEEE10hipError_tT1_PNSt15iterator_traitsISG_E10value_typeET2_T3_PNSH_ISM_E10value_typeET4_T5_PSR_SS_PNS1_23onesweep_lookback_stateEbbT6_jjT7_P12ihipStream_tbENKUlT_T0_SG_SL_E_clIS9_SA_SB_SB_EEDaSZ_S10_SG_SL_EUlSZ_E_NS1_11comp_targetILNS1_3genE5ELNS1_11target_archE942ELNS1_3gpuE9ELNS1_3repE0EEENS1_47radix_sort_onesweep_sort_config_static_selectorELNS0_4arch9wavefront6targetE0EEEvSG_.num_vgpr, 0
	.set _ZN7rocprim17ROCPRIM_400000_NS6detail17trampoline_kernelINS0_14default_configENS1_35radix_sort_onesweep_config_selectorIsNS0_10empty_typeEEEZZNS1_29radix_sort_onesweep_iterationIS3_Lb1EPKsPsPS5_SB_mNS0_19identity_decomposerENS1_16block_id_wrapperIjLb0EEEEE10hipError_tT1_PNSt15iterator_traitsISG_E10value_typeET2_T3_PNSH_ISM_E10value_typeET4_T5_PSR_SS_PNS1_23onesweep_lookback_stateEbbT6_jjT7_P12ihipStream_tbENKUlT_T0_SG_SL_E_clIS9_SA_SB_SB_EEDaSZ_S10_SG_SL_EUlSZ_E_NS1_11comp_targetILNS1_3genE5ELNS1_11target_archE942ELNS1_3gpuE9ELNS1_3repE0EEENS1_47radix_sort_onesweep_sort_config_static_selectorELNS0_4arch9wavefront6targetE0EEEvSG_.num_agpr, 0
	.set _ZN7rocprim17ROCPRIM_400000_NS6detail17trampoline_kernelINS0_14default_configENS1_35radix_sort_onesweep_config_selectorIsNS0_10empty_typeEEEZZNS1_29radix_sort_onesweep_iterationIS3_Lb1EPKsPsPS5_SB_mNS0_19identity_decomposerENS1_16block_id_wrapperIjLb0EEEEE10hipError_tT1_PNSt15iterator_traitsISG_E10value_typeET2_T3_PNSH_ISM_E10value_typeET4_T5_PSR_SS_PNS1_23onesweep_lookback_stateEbbT6_jjT7_P12ihipStream_tbENKUlT_T0_SG_SL_E_clIS9_SA_SB_SB_EEDaSZ_S10_SG_SL_EUlSZ_E_NS1_11comp_targetILNS1_3genE5ELNS1_11target_archE942ELNS1_3gpuE9ELNS1_3repE0EEENS1_47radix_sort_onesweep_sort_config_static_selectorELNS0_4arch9wavefront6targetE0EEEvSG_.numbered_sgpr, 0
	.set _ZN7rocprim17ROCPRIM_400000_NS6detail17trampoline_kernelINS0_14default_configENS1_35radix_sort_onesweep_config_selectorIsNS0_10empty_typeEEEZZNS1_29radix_sort_onesweep_iterationIS3_Lb1EPKsPsPS5_SB_mNS0_19identity_decomposerENS1_16block_id_wrapperIjLb0EEEEE10hipError_tT1_PNSt15iterator_traitsISG_E10value_typeET2_T3_PNSH_ISM_E10value_typeET4_T5_PSR_SS_PNS1_23onesweep_lookback_stateEbbT6_jjT7_P12ihipStream_tbENKUlT_T0_SG_SL_E_clIS9_SA_SB_SB_EEDaSZ_S10_SG_SL_EUlSZ_E_NS1_11comp_targetILNS1_3genE5ELNS1_11target_archE942ELNS1_3gpuE9ELNS1_3repE0EEENS1_47radix_sort_onesweep_sort_config_static_selectorELNS0_4arch9wavefront6targetE0EEEvSG_.num_named_barrier, 0
	.set _ZN7rocprim17ROCPRIM_400000_NS6detail17trampoline_kernelINS0_14default_configENS1_35radix_sort_onesweep_config_selectorIsNS0_10empty_typeEEEZZNS1_29radix_sort_onesweep_iterationIS3_Lb1EPKsPsPS5_SB_mNS0_19identity_decomposerENS1_16block_id_wrapperIjLb0EEEEE10hipError_tT1_PNSt15iterator_traitsISG_E10value_typeET2_T3_PNSH_ISM_E10value_typeET4_T5_PSR_SS_PNS1_23onesweep_lookback_stateEbbT6_jjT7_P12ihipStream_tbENKUlT_T0_SG_SL_E_clIS9_SA_SB_SB_EEDaSZ_S10_SG_SL_EUlSZ_E_NS1_11comp_targetILNS1_3genE5ELNS1_11target_archE942ELNS1_3gpuE9ELNS1_3repE0EEENS1_47radix_sort_onesweep_sort_config_static_selectorELNS0_4arch9wavefront6targetE0EEEvSG_.private_seg_size, 0
	.set _ZN7rocprim17ROCPRIM_400000_NS6detail17trampoline_kernelINS0_14default_configENS1_35radix_sort_onesweep_config_selectorIsNS0_10empty_typeEEEZZNS1_29radix_sort_onesweep_iterationIS3_Lb1EPKsPsPS5_SB_mNS0_19identity_decomposerENS1_16block_id_wrapperIjLb0EEEEE10hipError_tT1_PNSt15iterator_traitsISG_E10value_typeET2_T3_PNSH_ISM_E10value_typeET4_T5_PSR_SS_PNS1_23onesweep_lookback_stateEbbT6_jjT7_P12ihipStream_tbENKUlT_T0_SG_SL_E_clIS9_SA_SB_SB_EEDaSZ_S10_SG_SL_EUlSZ_E_NS1_11comp_targetILNS1_3genE5ELNS1_11target_archE942ELNS1_3gpuE9ELNS1_3repE0EEENS1_47radix_sort_onesweep_sort_config_static_selectorELNS0_4arch9wavefront6targetE0EEEvSG_.uses_vcc, 0
	.set _ZN7rocprim17ROCPRIM_400000_NS6detail17trampoline_kernelINS0_14default_configENS1_35radix_sort_onesweep_config_selectorIsNS0_10empty_typeEEEZZNS1_29radix_sort_onesweep_iterationIS3_Lb1EPKsPsPS5_SB_mNS0_19identity_decomposerENS1_16block_id_wrapperIjLb0EEEEE10hipError_tT1_PNSt15iterator_traitsISG_E10value_typeET2_T3_PNSH_ISM_E10value_typeET4_T5_PSR_SS_PNS1_23onesweep_lookback_stateEbbT6_jjT7_P12ihipStream_tbENKUlT_T0_SG_SL_E_clIS9_SA_SB_SB_EEDaSZ_S10_SG_SL_EUlSZ_E_NS1_11comp_targetILNS1_3genE5ELNS1_11target_archE942ELNS1_3gpuE9ELNS1_3repE0EEENS1_47radix_sort_onesweep_sort_config_static_selectorELNS0_4arch9wavefront6targetE0EEEvSG_.uses_flat_scratch, 0
	.set _ZN7rocprim17ROCPRIM_400000_NS6detail17trampoline_kernelINS0_14default_configENS1_35radix_sort_onesweep_config_selectorIsNS0_10empty_typeEEEZZNS1_29radix_sort_onesweep_iterationIS3_Lb1EPKsPsPS5_SB_mNS0_19identity_decomposerENS1_16block_id_wrapperIjLb0EEEEE10hipError_tT1_PNSt15iterator_traitsISG_E10value_typeET2_T3_PNSH_ISM_E10value_typeET4_T5_PSR_SS_PNS1_23onesweep_lookback_stateEbbT6_jjT7_P12ihipStream_tbENKUlT_T0_SG_SL_E_clIS9_SA_SB_SB_EEDaSZ_S10_SG_SL_EUlSZ_E_NS1_11comp_targetILNS1_3genE5ELNS1_11target_archE942ELNS1_3gpuE9ELNS1_3repE0EEENS1_47radix_sort_onesweep_sort_config_static_selectorELNS0_4arch9wavefront6targetE0EEEvSG_.has_dyn_sized_stack, 0
	.set _ZN7rocprim17ROCPRIM_400000_NS6detail17trampoline_kernelINS0_14default_configENS1_35radix_sort_onesweep_config_selectorIsNS0_10empty_typeEEEZZNS1_29radix_sort_onesweep_iterationIS3_Lb1EPKsPsPS5_SB_mNS0_19identity_decomposerENS1_16block_id_wrapperIjLb0EEEEE10hipError_tT1_PNSt15iterator_traitsISG_E10value_typeET2_T3_PNSH_ISM_E10value_typeET4_T5_PSR_SS_PNS1_23onesweep_lookback_stateEbbT6_jjT7_P12ihipStream_tbENKUlT_T0_SG_SL_E_clIS9_SA_SB_SB_EEDaSZ_S10_SG_SL_EUlSZ_E_NS1_11comp_targetILNS1_3genE5ELNS1_11target_archE942ELNS1_3gpuE9ELNS1_3repE0EEENS1_47radix_sort_onesweep_sort_config_static_selectorELNS0_4arch9wavefront6targetE0EEEvSG_.has_recursion, 0
	.set _ZN7rocprim17ROCPRIM_400000_NS6detail17trampoline_kernelINS0_14default_configENS1_35radix_sort_onesweep_config_selectorIsNS0_10empty_typeEEEZZNS1_29radix_sort_onesweep_iterationIS3_Lb1EPKsPsPS5_SB_mNS0_19identity_decomposerENS1_16block_id_wrapperIjLb0EEEEE10hipError_tT1_PNSt15iterator_traitsISG_E10value_typeET2_T3_PNSH_ISM_E10value_typeET4_T5_PSR_SS_PNS1_23onesweep_lookback_stateEbbT6_jjT7_P12ihipStream_tbENKUlT_T0_SG_SL_E_clIS9_SA_SB_SB_EEDaSZ_S10_SG_SL_EUlSZ_E_NS1_11comp_targetILNS1_3genE5ELNS1_11target_archE942ELNS1_3gpuE9ELNS1_3repE0EEENS1_47radix_sort_onesweep_sort_config_static_selectorELNS0_4arch9wavefront6targetE0EEEvSG_.has_indirect_call, 0
	.section	.AMDGPU.csdata,"",@progbits
; Kernel info:
; codeLenInByte = 0
; TotalNumSgprs: 0
; NumVgprs: 0
; ScratchSize: 0
; MemoryBound: 0
; FloatMode: 240
; IeeeMode: 1
; LDSByteSize: 0 bytes/workgroup (compile time only)
; SGPRBlocks: 0
; VGPRBlocks: 0
; NumSGPRsForWavesPerEU: 1
; NumVGPRsForWavesPerEU: 1
; NamedBarCnt: 0
; Occupancy: 16
; WaveLimiterHint : 0
; COMPUTE_PGM_RSRC2:SCRATCH_EN: 0
; COMPUTE_PGM_RSRC2:USER_SGPR: 2
; COMPUTE_PGM_RSRC2:TRAP_HANDLER: 0
; COMPUTE_PGM_RSRC2:TGID_X_EN: 1
; COMPUTE_PGM_RSRC2:TGID_Y_EN: 0
; COMPUTE_PGM_RSRC2:TGID_Z_EN: 0
; COMPUTE_PGM_RSRC2:TIDIG_COMP_CNT: 0
	.section	.text._ZN7rocprim17ROCPRIM_400000_NS6detail17trampoline_kernelINS0_14default_configENS1_35radix_sort_onesweep_config_selectorIsNS0_10empty_typeEEEZZNS1_29radix_sort_onesweep_iterationIS3_Lb1EPKsPsPS5_SB_mNS0_19identity_decomposerENS1_16block_id_wrapperIjLb0EEEEE10hipError_tT1_PNSt15iterator_traitsISG_E10value_typeET2_T3_PNSH_ISM_E10value_typeET4_T5_PSR_SS_PNS1_23onesweep_lookback_stateEbbT6_jjT7_P12ihipStream_tbENKUlT_T0_SG_SL_E_clIS9_SA_SB_SB_EEDaSZ_S10_SG_SL_EUlSZ_E_NS1_11comp_targetILNS1_3genE2ELNS1_11target_archE906ELNS1_3gpuE6ELNS1_3repE0EEENS1_47radix_sort_onesweep_sort_config_static_selectorELNS0_4arch9wavefront6targetE0EEEvSG_,"axG",@progbits,_ZN7rocprim17ROCPRIM_400000_NS6detail17trampoline_kernelINS0_14default_configENS1_35radix_sort_onesweep_config_selectorIsNS0_10empty_typeEEEZZNS1_29radix_sort_onesweep_iterationIS3_Lb1EPKsPsPS5_SB_mNS0_19identity_decomposerENS1_16block_id_wrapperIjLb0EEEEE10hipError_tT1_PNSt15iterator_traitsISG_E10value_typeET2_T3_PNSH_ISM_E10value_typeET4_T5_PSR_SS_PNS1_23onesweep_lookback_stateEbbT6_jjT7_P12ihipStream_tbENKUlT_T0_SG_SL_E_clIS9_SA_SB_SB_EEDaSZ_S10_SG_SL_EUlSZ_E_NS1_11comp_targetILNS1_3genE2ELNS1_11target_archE906ELNS1_3gpuE6ELNS1_3repE0EEENS1_47radix_sort_onesweep_sort_config_static_selectorELNS0_4arch9wavefront6targetE0EEEvSG_,comdat
	.protected	_ZN7rocprim17ROCPRIM_400000_NS6detail17trampoline_kernelINS0_14default_configENS1_35radix_sort_onesweep_config_selectorIsNS0_10empty_typeEEEZZNS1_29radix_sort_onesweep_iterationIS3_Lb1EPKsPsPS5_SB_mNS0_19identity_decomposerENS1_16block_id_wrapperIjLb0EEEEE10hipError_tT1_PNSt15iterator_traitsISG_E10value_typeET2_T3_PNSH_ISM_E10value_typeET4_T5_PSR_SS_PNS1_23onesweep_lookback_stateEbbT6_jjT7_P12ihipStream_tbENKUlT_T0_SG_SL_E_clIS9_SA_SB_SB_EEDaSZ_S10_SG_SL_EUlSZ_E_NS1_11comp_targetILNS1_3genE2ELNS1_11target_archE906ELNS1_3gpuE6ELNS1_3repE0EEENS1_47radix_sort_onesweep_sort_config_static_selectorELNS0_4arch9wavefront6targetE0EEEvSG_ ; -- Begin function _ZN7rocprim17ROCPRIM_400000_NS6detail17trampoline_kernelINS0_14default_configENS1_35radix_sort_onesweep_config_selectorIsNS0_10empty_typeEEEZZNS1_29radix_sort_onesweep_iterationIS3_Lb1EPKsPsPS5_SB_mNS0_19identity_decomposerENS1_16block_id_wrapperIjLb0EEEEE10hipError_tT1_PNSt15iterator_traitsISG_E10value_typeET2_T3_PNSH_ISM_E10value_typeET4_T5_PSR_SS_PNS1_23onesweep_lookback_stateEbbT6_jjT7_P12ihipStream_tbENKUlT_T0_SG_SL_E_clIS9_SA_SB_SB_EEDaSZ_S10_SG_SL_EUlSZ_E_NS1_11comp_targetILNS1_3genE2ELNS1_11target_archE906ELNS1_3gpuE6ELNS1_3repE0EEENS1_47radix_sort_onesweep_sort_config_static_selectorELNS0_4arch9wavefront6targetE0EEEvSG_
	.globl	_ZN7rocprim17ROCPRIM_400000_NS6detail17trampoline_kernelINS0_14default_configENS1_35radix_sort_onesweep_config_selectorIsNS0_10empty_typeEEEZZNS1_29radix_sort_onesweep_iterationIS3_Lb1EPKsPsPS5_SB_mNS0_19identity_decomposerENS1_16block_id_wrapperIjLb0EEEEE10hipError_tT1_PNSt15iterator_traitsISG_E10value_typeET2_T3_PNSH_ISM_E10value_typeET4_T5_PSR_SS_PNS1_23onesweep_lookback_stateEbbT6_jjT7_P12ihipStream_tbENKUlT_T0_SG_SL_E_clIS9_SA_SB_SB_EEDaSZ_S10_SG_SL_EUlSZ_E_NS1_11comp_targetILNS1_3genE2ELNS1_11target_archE906ELNS1_3gpuE6ELNS1_3repE0EEENS1_47radix_sort_onesweep_sort_config_static_selectorELNS0_4arch9wavefront6targetE0EEEvSG_
	.p2align	8
	.type	_ZN7rocprim17ROCPRIM_400000_NS6detail17trampoline_kernelINS0_14default_configENS1_35radix_sort_onesweep_config_selectorIsNS0_10empty_typeEEEZZNS1_29radix_sort_onesweep_iterationIS3_Lb1EPKsPsPS5_SB_mNS0_19identity_decomposerENS1_16block_id_wrapperIjLb0EEEEE10hipError_tT1_PNSt15iterator_traitsISG_E10value_typeET2_T3_PNSH_ISM_E10value_typeET4_T5_PSR_SS_PNS1_23onesweep_lookback_stateEbbT6_jjT7_P12ihipStream_tbENKUlT_T0_SG_SL_E_clIS9_SA_SB_SB_EEDaSZ_S10_SG_SL_EUlSZ_E_NS1_11comp_targetILNS1_3genE2ELNS1_11target_archE906ELNS1_3gpuE6ELNS1_3repE0EEENS1_47radix_sort_onesweep_sort_config_static_selectorELNS0_4arch9wavefront6targetE0EEEvSG_,@function
_ZN7rocprim17ROCPRIM_400000_NS6detail17trampoline_kernelINS0_14default_configENS1_35radix_sort_onesweep_config_selectorIsNS0_10empty_typeEEEZZNS1_29radix_sort_onesweep_iterationIS3_Lb1EPKsPsPS5_SB_mNS0_19identity_decomposerENS1_16block_id_wrapperIjLb0EEEEE10hipError_tT1_PNSt15iterator_traitsISG_E10value_typeET2_T3_PNSH_ISM_E10value_typeET4_T5_PSR_SS_PNS1_23onesweep_lookback_stateEbbT6_jjT7_P12ihipStream_tbENKUlT_T0_SG_SL_E_clIS9_SA_SB_SB_EEDaSZ_S10_SG_SL_EUlSZ_E_NS1_11comp_targetILNS1_3genE2ELNS1_11target_archE906ELNS1_3gpuE6ELNS1_3repE0EEENS1_47radix_sort_onesweep_sort_config_static_selectorELNS0_4arch9wavefront6targetE0EEEvSG_: ; @_ZN7rocprim17ROCPRIM_400000_NS6detail17trampoline_kernelINS0_14default_configENS1_35radix_sort_onesweep_config_selectorIsNS0_10empty_typeEEEZZNS1_29radix_sort_onesweep_iterationIS3_Lb1EPKsPsPS5_SB_mNS0_19identity_decomposerENS1_16block_id_wrapperIjLb0EEEEE10hipError_tT1_PNSt15iterator_traitsISG_E10value_typeET2_T3_PNSH_ISM_E10value_typeET4_T5_PSR_SS_PNS1_23onesweep_lookback_stateEbbT6_jjT7_P12ihipStream_tbENKUlT_T0_SG_SL_E_clIS9_SA_SB_SB_EEDaSZ_S10_SG_SL_EUlSZ_E_NS1_11comp_targetILNS1_3genE2ELNS1_11target_archE906ELNS1_3gpuE6ELNS1_3repE0EEENS1_47radix_sort_onesweep_sort_config_static_selectorELNS0_4arch9wavefront6targetE0EEEvSG_
; %bb.0:
	.section	.rodata,"a",@progbits
	.p2align	6, 0x0
	.amdhsa_kernel _ZN7rocprim17ROCPRIM_400000_NS6detail17trampoline_kernelINS0_14default_configENS1_35radix_sort_onesweep_config_selectorIsNS0_10empty_typeEEEZZNS1_29radix_sort_onesweep_iterationIS3_Lb1EPKsPsPS5_SB_mNS0_19identity_decomposerENS1_16block_id_wrapperIjLb0EEEEE10hipError_tT1_PNSt15iterator_traitsISG_E10value_typeET2_T3_PNSH_ISM_E10value_typeET4_T5_PSR_SS_PNS1_23onesweep_lookback_stateEbbT6_jjT7_P12ihipStream_tbENKUlT_T0_SG_SL_E_clIS9_SA_SB_SB_EEDaSZ_S10_SG_SL_EUlSZ_E_NS1_11comp_targetILNS1_3genE2ELNS1_11target_archE906ELNS1_3gpuE6ELNS1_3repE0EEENS1_47radix_sort_onesweep_sort_config_static_selectorELNS0_4arch9wavefront6targetE0EEEvSG_
		.amdhsa_group_segment_fixed_size 0
		.amdhsa_private_segment_fixed_size 0
		.amdhsa_kernarg_size 88
		.amdhsa_user_sgpr_count 2
		.amdhsa_user_sgpr_dispatch_ptr 0
		.amdhsa_user_sgpr_queue_ptr 0
		.amdhsa_user_sgpr_kernarg_segment_ptr 1
		.amdhsa_user_sgpr_dispatch_id 0
		.amdhsa_user_sgpr_kernarg_preload_length 0
		.amdhsa_user_sgpr_kernarg_preload_offset 0
		.amdhsa_user_sgpr_private_segment_size 0
		.amdhsa_wavefront_size32 1
		.amdhsa_uses_dynamic_stack 0
		.amdhsa_enable_private_segment 0
		.amdhsa_system_sgpr_workgroup_id_x 1
		.amdhsa_system_sgpr_workgroup_id_y 0
		.amdhsa_system_sgpr_workgroup_id_z 0
		.amdhsa_system_sgpr_workgroup_info 0
		.amdhsa_system_vgpr_workitem_id 0
		.amdhsa_next_free_vgpr 1
		.amdhsa_next_free_sgpr 1
		.amdhsa_named_barrier_count 0
		.amdhsa_reserve_vcc 0
		.amdhsa_float_round_mode_32 0
		.amdhsa_float_round_mode_16_64 0
		.amdhsa_float_denorm_mode_32 3
		.amdhsa_float_denorm_mode_16_64 3
		.amdhsa_fp16_overflow 0
		.amdhsa_memory_ordered 1
		.amdhsa_forward_progress 1
		.amdhsa_inst_pref_size 0
		.amdhsa_round_robin_scheduling 0
		.amdhsa_exception_fp_ieee_invalid_op 0
		.amdhsa_exception_fp_denorm_src 0
		.amdhsa_exception_fp_ieee_div_zero 0
		.amdhsa_exception_fp_ieee_overflow 0
		.amdhsa_exception_fp_ieee_underflow 0
		.amdhsa_exception_fp_ieee_inexact 0
		.amdhsa_exception_int_div_zero 0
	.end_amdhsa_kernel
	.section	.text._ZN7rocprim17ROCPRIM_400000_NS6detail17trampoline_kernelINS0_14default_configENS1_35radix_sort_onesweep_config_selectorIsNS0_10empty_typeEEEZZNS1_29radix_sort_onesweep_iterationIS3_Lb1EPKsPsPS5_SB_mNS0_19identity_decomposerENS1_16block_id_wrapperIjLb0EEEEE10hipError_tT1_PNSt15iterator_traitsISG_E10value_typeET2_T3_PNSH_ISM_E10value_typeET4_T5_PSR_SS_PNS1_23onesweep_lookback_stateEbbT6_jjT7_P12ihipStream_tbENKUlT_T0_SG_SL_E_clIS9_SA_SB_SB_EEDaSZ_S10_SG_SL_EUlSZ_E_NS1_11comp_targetILNS1_3genE2ELNS1_11target_archE906ELNS1_3gpuE6ELNS1_3repE0EEENS1_47radix_sort_onesweep_sort_config_static_selectorELNS0_4arch9wavefront6targetE0EEEvSG_,"axG",@progbits,_ZN7rocprim17ROCPRIM_400000_NS6detail17trampoline_kernelINS0_14default_configENS1_35radix_sort_onesweep_config_selectorIsNS0_10empty_typeEEEZZNS1_29radix_sort_onesweep_iterationIS3_Lb1EPKsPsPS5_SB_mNS0_19identity_decomposerENS1_16block_id_wrapperIjLb0EEEEE10hipError_tT1_PNSt15iterator_traitsISG_E10value_typeET2_T3_PNSH_ISM_E10value_typeET4_T5_PSR_SS_PNS1_23onesweep_lookback_stateEbbT6_jjT7_P12ihipStream_tbENKUlT_T0_SG_SL_E_clIS9_SA_SB_SB_EEDaSZ_S10_SG_SL_EUlSZ_E_NS1_11comp_targetILNS1_3genE2ELNS1_11target_archE906ELNS1_3gpuE6ELNS1_3repE0EEENS1_47radix_sort_onesweep_sort_config_static_selectorELNS0_4arch9wavefront6targetE0EEEvSG_,comdat
.Lfunc_end623:
	.size	_ZN7rocprim17ROCPRIM_400000_NS6detail17trampoline_kernelINS0_14default_configENS1_35radix_sort_onesweep_config_selectorIsNS0_10empty_typeEEEZZNS1_29radix_sort_onesweep_iterationIS3_Lb1EPKsPsPS5_SB_mNS0_19identity_decomposerENS1_16block_id_wrapperIjLb0EEEEE10hipError_tT1_PNSt15iterator_traitsISG_E10value_typeET2_T3_PNSH_ISM_E10value_typeET4_T5_PSR_SS_PNS1_23onesweep_lookback_stateEbbT6_jjT7_P12ihipStream_tbENKUlT_T0_SG_SL_E_clIS9_SA_SB_SB_EEDaSZ_S10_SG_SL_EUlSZ_E_NS1_11comp_targetILNS1_3genE2ELNS1_11target_archE906ELNS1_3gpuE6ELNS1_3repE0EEENS1_47radix_sort_onesweep_sort_config_static_selectorELNS0_4arch9wavefront6targetE0EEEvSG_, .Lfunc_end623-_ZN7rocprim17ROCPRIM_400000_NS6detail17trampoline_kernelINS0_14default_configENS1_35radix_sort_onesweep_config_selectorIsNS0_10empty_typeEEEZZNS1_29radix_sort_onesweep_iterationIS3_Lb1EPKsPsPS5_SB_mNS0_19identity_decomposerENS1_16block_id_wrapperIjLb0EEEEE10hipError_tT1_PNSt15iterator_traitsISG_E10value_typeET2_T3_PNSH_ISM_E10value_typeET4_T5_PSR_SS_PNS1_23onesweep_lookback_stateEbbT6_jjT7_P12ihipStream_tbENKUlT_T0_SG_SL_E_clIS9_SA_SB_SB_EEDaSZ_S10_SG_SL_EUlSZ_E_NS1_11comp_targetILNS1_3genE2ELNS1_11target_archE906ELNS1_3gpuE6ELNS1_3repE0EEENS1_47radix_sort_onesweep_sort_config_static_selectorELNS0_4arch9wavefront6targetE0EEEvSG_
                                        ; -- End function
	.set _ZN7rocprim17ROCPRIM_400000_NS6detail17trampoline_kernelINS0_14default_configENS1_35radix_sort_onesweep_config_selectorIsNS0_10empty_typeEEEZZNS1_29radix_sort_onesweep_iterationIS3_Lb1EPKsPsPS5_SB_mNS0_19identity_decomposerENS1_16block_id_wrapperIjLb0EEEEE10hipError_tT1_PNSt15iterator_traitsISG_E10value_typeET2_T3_PNSH_ISM_E10value_typeET4_T5_PSR_SS_PNS1_23onesweep_lookback_stateEbbT6_jjT7_P12ihipStream_tbENKUlT_T0_SG_SL_E_clIS9_SA_SB_SB_EEDaSZ_S10_SG_SL_EUlSZ_E_NS1_11comp_targetILNS1_3genE2ELNS1_11target_archE906ELNS1_3gpuE6ELNS1_3repE0EEENS1_47radix_sort_onesweep_sort_config_static_selectorELNS0_4arch9wavefront6targetE0EEEvSG_.num_vgpr, 0
	.set _ZN7rocprim17ROCPRIM_400000_NS6detail17trampoline_kernelINS0_14default_configENS1_35radix_sort_onesweep_config_selectorIsNS0_10empty_typeEEEZZNS1_29radix_sort_onesweep_iterationIS3_Lb1EPKsPsPS5_SB_mNS0_19identity_decomposerENS1_16block_id_wrapperIjLb0EEEEE10hipError_tT1_PNSt15iterator_traitsISG_E10value_typeET2_T3_PNSH_ISM_E10value_typeET4_T5_PSR_SS_PNS1_23onesweep_lookback_stateEbbT6_jjT7_P12ihipStream_tbENKUlT_T0_SG_SL_E_clIS9_SA_SB_SB_EEDaSZ_S10_SG_SL_EUlSZ_E_NS1_11comp_targetILNS1_3genE2ELNS1_11target_archE906ELNS1_3gpuE6ELNS1_3repE0EEENS1_47radix_sort_onesweep_sort_config_static_selectorELNS0_4arch9wavefront6targetE0EEEvSG_.num_agpr, 0
	.set _ZN7rocprim17ROCPRIM_400000_NS6detail17trampoline_kernelINS0_14default_configENS1_35radix_sort_onesweep_config_selectorIsNS0_10empty_typeEEEZZNS1_29radix_sort_onesweep_iterationIS3_Lb1EPKsPsPS5_SB_mNS0_19identity_decomposerENS1_16block_id_wrapperIjLb0EEEEE10hipError_tT1_PNSt15iterator_traitsISG_E10value_typeET2_T3_PNSH_ISM_E10value_typeET4_T5_PSR_SS_PNS1_23onesweep_lookback_stateEbbT6_jjT7_P12ihipStream_tbENKUlT_T0_SG_SL_E_clIS9_SA_SB_SB_EEDaSZ_S10_SG_SL_EUlSZ_E_NS1_11comp_targetILNS1_3genE2ELNS1_11target_archE906ELNS1_3gpuE6ELNS1_3repE0EEENS1_47radix_sort_onesweep_sort_config_static_selectorELNS0_4arch9wavefront6targetE0EEEvSG_.numbered_sgpr, 0
	.set _ZN7rocprim17ROCPRIM_400000_NS6detail17trampoline_kernelINS0_14default_configENS1_35radix_sort_onesweep_config_selectorIsNS0_10empty_typeEEEZZNS1_29radix_sort_onesweep_iterationIS3_Lb1EPKsPsPS5_SB_mNS0_19identity_decomposerENS1_16block_id_wrapperIjLb0EEEEE10hipError_tT1_PNSt15iterator_traitsISG_E10value_typeET2_T3_PNSH_ISM_E10value_typeET4_T5_PSR_SS_PNS1_23onesweep_lookback_stateEbbT6_jjT7_P12ihipStream_tbENKUlT_T0_SG_SL_E_clIS9_SA_SB_SB_EEDaSZ_S10_SG_SL_EUlSZ_E_NS1_11comp_targetILNS1_3genE2ELNS1_11target_archE906ELNS1_3gpuE6ELNS1_3repE0EEENS1_47radix_sort_onesweep_sort_config_static_selectorELNS0_4arch9wavefront6targetE0EEEvSG_.num_named_barrier, 0
	.set _ZN7rocprim17ROCPRIM_400000_NS6detail17trampoline_kernelINS0_14default_configENS1_35radix_sort_onesweep_config_selectorIsNS0_10empty_typeEEEZZNS1_29radix_sort_onesweep_iterationIS3_Lb1EPKsPsPS5_SB_mNS0_19identity_decomposerENS1_16block_id_wrapperIjLb0EEEEE10hipError_tT1_PNSt15iterator_traitsISG_E10value_typeET2_T3_PNSH_ISM_E10value_typeET4_T5_PSR_SS_PNS1_23onesweep_lookback_stateEbbT6_jjT7_P12ihipStream_tbENKUlT_T0_SG_SL_E_clIS9_SA_SB_SB_EEDaSZ_S10_SG_SL_EUlSZ_E_NS1_11comp_targetILNS1_3genE2ELNS1_11target_archE906ELNS1_3gpuE6ELNS1_3repE0EEENS1_47radix_sort_onesweep_sort_config_static_selectorELNS0_4arch9wavefront6targetE0EEEvSG_.private_seg_size, 0
	.set _ZN7rocprim17ROCPRIM_400000_NS6detail17trampoline_kernelINS0_14default_configENS1_35radix_sort_onesweep_config_selectorIsNS0_10empty_typeEEEZZNS1_29radix_sort_onesweep_iterationIS3_Lb1EPKsPsPS5_SB_mNS0_19identity_decomposerENS1_16block_id_wrapperIjLb0EEEEE10hipError_tT1_PNSt15iterator_traitsISG_E10value_typeET2_T3_PNSH_ISM_E10value_typeET4_T5_PSR_SS_PNS1_23onesweep_lookback_stateEbbT6_jjT7_P12ihipStream_tbENKUlT_T0_SG_SL_E_clIS9_SA_SB_SB_EEDaSZ_S10_SG_SL_EUlSZ_E_NS1_11comp_targetILNS1_3genE2ELNS1_11target_archE906ELNS1_3gpuE6ELNS1_3repE0EEENS1_47radix_sort_onesweep_sort_config_static_selectorELNS0_4arch9wavefront6targetE0EEEvSG_.uses_vcc, 0
	.set _ZN7rocprim17ROCPRIM_400000_NS6detail17trampoline_kernelINS0_14default_configENS1_35radix_sort_onesweep_config_selectorIsNS0_10empty_typeEEEZZNS1_29radix_sort_onesweep_iterationIS3_Lb1EPKsPsPS5_SB_mNS0_19identity_decomposerENS1_16block_id_wrapperIjLb0EEEEE10hipError_tT1_PNSt15iterator_traitsISG_E10value_typeET2_T3_PNSH_ISM_E10value_typeET4_T5_PSR_SS_PNS1_23onesweep_lookback_stateEbbT6_jjT7_P12ihipStream_tbENKUlT_T0_SG_SL_E_clIS9_SA_SB_SB_EEDaSZ_S10_SG_SL_EUlSZ_E_NS1_11comp_targetILNS1_3genE2ELNS1_11target_archE906ELNS1_3gpuE6ELNS1_3repE0EEENS1_47radix_sort_onesweep_sort_config_static_selectorELNS0_4arch9wavefront6targetE0EEEvSG_.uses_flat_scratch, 0
	.set _ZN7rocprim17ROCPRIM_400000_NS6detail17trampoline_kernelINS0_14default_configENS1_35radix_sort_onesweep_config_selectorIsNS0_10empty_typeEEEZZNS1_29radix_sort_onesweep_iterationIS3_Lb1EPKsPsPS5_SB_mNS0_19identity_decomposerENS1_16block_id_wrapperIjLb0EEEEE10hipError_tT1_PNSt15iterator_traitsISG_E10value_typeET2_T3_PNSH_ISM_E10value_typeET4_T5_PSR_SS_PNS1_23onesweep_lookback_stateEbbT6_jjT7_P12ihipStream_tbENKUlT_T0_SG_SL_E_clIS9_SA_SB_SB_EEDaSZ_S10_SG_SL_EUlSZ_E_NS1_11comp_targetILNS1_3genE2ELNS1_11target_archE906ELNS1_3gpuE6ELNS1_3repE0EEENS1_47radix_sort_onesweep_sort_config_static_selectorELNS0_4arch9wavefront6targetE0EEEvSG_.has_dyn_sized_stack, 0
	.set _ZN7rocprim17ROCPRIM_400000_NS6detail17trampoline_kernelINS0_14default_configENS1_35radix_sort_onesweep_config_selectorIsNS0_10empty_typeEEEZZNS1_29radix_sort_onesweep_iterationIS3_Lb1EPKsPsPS5_SB_mNS0_19identity_decomposerENS1_16block_id_wrapperIjLb0EEEEE10hipError_tT1_PNSt15iterator_traitsISG_E10value_typeET2_T3_PNSH_ISM_E10value_typeET4_T5_PSR_SS_PNS1_23onesweep_lookback_stateEbbT6_jjT7_P12ihipStream_tbENKUlT_T0_SG_SL_E_clIS9_SA_SB_SB_EEDaSZ_S10_SG_SL_EUlSZ_E_NS1_11comp_targetILNS1_3genE2ELNS1_11target_archE906ELNS1_3gpuE6ELNS1_3repE0EEENS1_47radix_sort_onesweep_sort_config_static_selectorELNS0_4arch9wavefront6targetE0EEEvSG_.has_recursion, 0
	.set _ZN7rocprim17ROCPRIM_400000_NS6detail17trampoline_kernelINS0_14default_configENS1_35radix_sort_onesweep_config_selectorIsNS0_10empty_typeEEEZZNS1_29radix_sort_onesweep_iterationIS3_Lb1EPKsPsPS5_SB_mNS0_19identity_decomposerENS1_16block_id_wrapperIjLb0EEEEE10hipError_tT1_PNSt15iterator_traitsISG_E10value_typeET2_T3_PNSH_ISM_E10value_typeET4_T5_PSR_SS_PNS1_23onesweep_lookback_stateEbbT6_jjT7_P12ihipStream_tbENKUlT_T0_SG_SL_E_clIS9_SA_SB_SB_EEDaSZ_S10_SG_SL_EUlSZ_E_NS1_11comp_targetILNS1_3genE2ELNS1_11target_archE906ELNS1_3gpuE6ELNS1_3repE0EEENS1_47radix_sort_onesweep_sort_config_static_selectorELNS0_4arch9wavefront6targetE0EEEvSG_.has_indirect_call, 0
	.section	.AMDGPU.csdata,"",@progbits
; Kernel info:
; codeLenInByte = 0
; TotalNumSgprs: 0
; NumVgprs: 0
; ScratchSize: 0
; MemoryBound: 0
; FloatMode: 240
; IeeeMode: 1
; LDSByteSize: 0 bytes/workgroup (compile time only)
; SGPRBlocks: 0
; VGPRBlocks: 0
; NumSGPRsForWavesPerEU: 1
; NumVGPRsForWavesPerEU: 1
; NamedBarCnt: 0
; Occupancy: 16
; WaveLimiterHint : 0
; COMPUTE_PGM_RSRC2:SCRATCH_EN: 0
; COMPUTE_PGM_RSRC2:USER_SGPR: 2
; COMPUTE_PGM_RSRC2:TRAP_HANDLER: 0
; COMPUTE_PGM_RSRC2:TGID_X_EN: 1
; COMPUTE_PGM_RSRC2:TGID_Y_EN: 0
; COMPUTE_PGM_RSRC2:TGID_Z_EN: 0
; COMPUTE_PGM_RSRC2:TIDIG_COMP_CNT: 0
	.section	.text._ZN7rocprim17ROCPRIM_400000_NS6detail17trampoline_kernelINS0_14default_configENS1_35radix_sort_onesweep_config_selectorIsNS0_10empty_typeEEEZZNS1_29radix_sort_onesweep_iterationIS3_Lb1EPKsPsPS5_SB_mNS0_19identity_decomposerENS1_16block_id_wrapperIjLb0EEEEE10hipError_tT1_PNSt15iterator_traitsISG_E10value_typeET2_T3_PNSH_ISM_E10value_typeET4_T5_PSR_SS_PNS1_23onesweep_lookback_stateEbbT6_jjT7_P12ihipStream_tbENKUlT_T0_SG_SL_E_clIS9_SA_SB_SB_EEDaSZ_S10_SG_SL_EUlSZ_E_NS1_11comp_targetILNS1_3genE4ELNS1_11target_archE910ELNS1_3gpuE8ELNS1_3repE0EEENS1_47radix_sort_onesweep_sort_config_static_selectorELNS0_4arch9wavefront6targetE0EEEvSG_,"axG",@progbits,_ZN7rocprim17ROCPRIM_400000_NS6detail17trampoline_kernelINS0_14default_configENS1_35radix_sort_onesweep_config_selectorIsNS0_10empty_typeEEEZZNS1_29radix_sort_onesweep_iterationIS3_Lb1EPKsPsPS5_SB_mNS0_19identity_decomposerENS1_16block_id_wrapperIjLb0EEEEE10hipError_tT1_PNSt15iterator_traitsISG_E10value_typeET2_T3_PNSH_ISM_E10value_typeET4_T5_PSR_SS_PNS1_23onesweep_lookback_stateEbbT6_jjT7_P12ihipStream_tbENKUlT_T0_SG_SL_E_clIS9_SA_SB_SB_EEDaSZ_S10_SG_SL_EUlSZ_E_NS1_11comp_targetILNS1_3genE4ELNS1_11target_archE910ELNS1_3gpuE8ELNS1_3repE0EEENS1_47radix_sort_onesweep_sort_config_static_selectorELNS0_4arch9wavefront6targetE0EEEvSG_,comdat
	.protected	_ZN7rocprim17ROCPRIM_400000_NS6detail17trampoline_kernelINS0_14default_configENS1_35radix_sort_onesweep_config_selectorIsNS0_10empty_typeEEEZZNS1_29radix_sort_onesweep_iterationIS3_Lb1EPKsPsPS5_SB_mNS0_19identity_decomposerENS1_16block_id_wrapperIjLb0EEEEE10hipError_tT1_PNSt15iterator_traitsISG_E10value_typeET2_T3_PNSH_ISM_E10value_typeET4_T5_PSR_SS_PNS1_23onesweep_lookback_stateEbbT6_jjT7_P12ihipStream_tbENKUlT_T0_SG_SL_E_clIS9_SA_SB_SB_EEDaSZ_S10_SG_SL_EUlSZ_E_NS1_11comp_targetILNS1_3genE4ELNS1_11target_archE910ELNS1_3gpuE8ELNS1_3repE0EEENS1_47radix_sort_onesweep_sort_config_static_selectorELNS0_4arch9wavefront6targetE0EEEvSG_ ; -- Begin function _ZN7rocprim17ROCPRIM_400000_NS6detail17trampoline_kernelINS0_14default_configENS1_35radix_sort_onesweep_config_selectorIsNS0_10empty_typeEEEZZNS1_29radix_sort_onesweep_iterationIS3_Lb1EPKsPsPS5_SB_mNS0_19identity_decomposerENS1_16block_id_wrapperIjLb0EEEEE10hipError_tT1_PNSt15iterator_traitsISG_E10value_typeET2_T3_PNSH_ISM_E10value_typeET4_T5_PSR_SS_PNS1_23onesweep_lookback_stateEbbT6_jjT7_P12ihipStream_tbENKUlT_T0_SG_SL_E_clIS9_SA_SB_SB_EEDaSZ_S10_SG_SL_EUlSZ_E_NS1_11comp_targetILNS1_3genE4ELNS1_11target_archE910ELNS1_3gpuE8ELNS1_3repE0EEENS1_47radix_sort_onesweep_sort_config_static_selectorELNS0_4arch9wavefront6targetE0EEEvSG_
	.globl	_ZN7rocprim17ROCPRIM_400000_NS6detail17trampoline_kernelINS0_14default_configENS1_35radix_sort_onesweep_config_selectorIsNS0_10empty_typeEEEZZNS1_29radix_sort_onesweep_iterationIS3_Lb1EPKsPsPS5_SB_mNS0_19identity_decomposerENS1_16block_id_wrapperIjLb0EEEEE10hipError_tT1_PNSt15iterator_traitsISG_E10value_typeET2_T3_PNSH_ISM_E10value_typeET4_T5_PSR_SS_PNS1_23onesweep_lookback_stateEbbT6_jjT7_P12ihipStream_tbENKUlT_T0_SG_SL_E_clIS9_SA_SB_SB_EEDaSZ_S10_SG_SL_EUlSZ_E_NS1_11comp_targetILNS1_3genE4ELNS1_11target_archE910ELNS1_3gpuE8ELNS1_3repE0EEENS1_47radix_sort_onesweep_sort_config_static_selectorELNS0_4arch9wavefront6targetE0EEEvSG_
	.p2align	8
	.type	_ZN7rocprim17ROCPRIM_400000_NS6detail17trampoline_kernelINS0_14default_configENS1_35radix_sort_onesweep_config_selectorIsNS0_10empty_typeEEEZZNS1_29radix_sort_onesweep_iterationIS3_Lb1EPKsPsPS5_SB_mNS0_19identity_decomposerENS1_16block_id_wrapperIjLb0EEEEE10hipError_tT1_PNSt15iterator_traitsISG_E10value_typeET2_T3_PNSH_ISM_E10value_typeET4_T5_PSR_SS_PNS1_23onesweep_lookback_stateEbbT6_jjT7_P12ihipStream_tbENKUlT_T0_SG_SL_E_clIS9_SA_SB_SB_EEDaSZ_S10_SG_SL_EUlSZ_E_NS1_11comp_targetILNS1_3genE4ELNS1_11target_archE910ELNS1_3gpuE8ELNS1_3repE0EEENS1_47radix_sort_onesweep_sort_config_static_selectorELNS0_4arch9wavefront6targetE0EEEvSG_,@function
_ZN7rocprim17ROCPRIM_400000_NS6detail17trampoline_kernelINS0_14default_configENS1_35radix_sort_onesweep_config_selectorIsNS0_10empty_typeEEEZZNS1_29radix_sort_onesweep_iterationIS3_Lb1EPKsPsPS5_SB_mNS0_19identity_decomposerENS1_16block_id_wrapperIjLb0EEEEE10hipError_tT1_PNSt15iterator_traitsISG_E10value_typeET2_T3_PNSH_ISM_E10value_typeET4_T5_PSR_SS_PNS1_23onesweep_lookback_stateEbbT6_jjT7_P12ihipStream_tbENKUlT_T0_SG_SL_E_clIS9_SA_SB_SB_EEDaSZ_S10_SG_SL_EUlSZ_E_NS1_11comp_targetILNS1_3genE4ELNS1_11target_archE910ELNS1_3gpuE8ELNS1_3repE0EEENS1_47radix_sort_onesweep_sort_config_static_selectorELNS0_4arch9wavefront6targetE0EEEvSG_: ; @_ZN7rocprim17ROCPRIM_400000_NS6detail17trampoline_kernelINS0_14default_configENS1_35radix_sort_onesweep_config_selectorIsNS0_10empty_typeEEEZZNS1_29radix_sort_onesweep_iterationIS3_Lb1EPKsPsPS5_SB_mNS0_19identity_decomposerENS1_16block_id_wrapperIjLb0EEEEE10hipError_tT1_PNSt15iterator_traitsISG_E10value_typeET2_T3_PNSH_ISM_E10value_typeET4_T5_PSR_SS_PNS1_23onesweep_lookback_stateEbbT6_jjT7_P12ihipStream_tbENKUlT_T0_SG_SL_E_clIS9_SA_SB_SB_EEDaSZ_S10_SG_SL_EUlSZ_E_NS1_11comp_targetILNS1_3genE4ELNS1_11target_archE910ELNS1_3gpuE8ELNS1_3repE0EEENS1_47radix_sort_onesweep_sort_config_static_selectorELNS0_4arch9wavefront6targetE0EEEvSG_
; %bb.0:
	.section	.rodata,"a",@progbits
	.p2align	6, 0x0
	.amdhsa_kernel _ZN7rocprim17ROCPRIM_400000_NS6detail17trampoline_kernelINS0_14default_configENS1_35radix_sort_onesweep_config_selectorIsNS0_10empty_typeEEEZZNS1_29radix_sort_onesweep_iterationIS3_Lb1EPKsPsPS5_SB_mNS0_19identity_decomposerENS1_16block_id_wrapperIjLb0EEEEE10hipError_tT1_PNSt15iterator_traitsISG_E10value_typeET2_T3_PNSH_ISM_E10value_typeET4_T5_PSR_SS_PNS1_23onesweep_lookback_stateEbbT6_jjT7_P12ihipStream_tbENKUlT_T0_SG_SL_E_clIS9_SA_SB_SB_EEDaSZ_S10_SG_SL_EUlSZ_E_NS1_11comp_targetILNS1_3genE4ELNS1_11target_archE910ELNS1_3gpuE8ELNS1_3repE0EEENS1_47radix_sort_onesweep_sort_config_static_selectorELNS0_4arch9wavefront6targetE0EEEvSG_
		.amdhsa_group_segment_fixed_size 0
		.amdhsa_private_segment_fixed_size 0
		.amdhsa_kernarg_size 88
		.amdhsa_user_sgpr_count 2
		.amdhsa_user_sgpr_dispatch_ptr 0
		.amdhsa_user_sgpr_queue_ptr 0
		.amdhsa_user_sgpr_kernarg_segment_ptr 1
		.amdhsa_user_sgpr_dispatch_id 0
		.amdhsa_user_sgpr_kernarg_preload_length 0
		.amdhsa_user_sgpr_kernarg_preload_offset 0
		.amdhsa_user_sgpr_private_segment_size 0
		.amdhsa_wavefront_size32 1
		.amdhsa_uses_dynamic_stack 0
		.amdhsa_enable_private_segment 0
		.amdhsa_system_sgpr_workgroup_id_x 1
		.amdhsa_system_sgpr_workgroup_id_y 0
		.amdhsa_system_sgpr_workgroup_id_z 0
		.amdhsa_system_sgpr_workgroup_info 0
		.amdhsa_system_vgpr_workitem_id 0
		.amdhsa_next_free_vgpr 1
		.amdhsa_next_free_sgpr 1
		.amdhsa_named_barrier_count 0
		.amdhsa_reserve_vcc 0
		.amdhsa_float_round_mode_32 0
		.amdhsa_float_round_mode_16_64 0
		.amdhsa_float_denorm_mode_32 3
		.amdhsa_float_denorm_mode_16_64 3
		.amdhsa_fp16_overflow 0
		.amdhsa_memory_ordered 1
		.amdhsa_forward_progress 1
		.amdhsa_inst_pref_size 0
		.amdhsa_round_robin_scheduling 0
		.amdhsa_exception_fp_ieee_invalid_op 0
		.amdhsa_exception_fp_denorm_src 0
		.amdhsa_exception_fp_ieee_div_zero 0
		.amdhsa_exception_fp_ieee_overflow 0
		.amdhsa_exception_fp_ieee_underflow 0
		.amdhsa_exception_fp_ieee_inexact 0
		.amdhsa_exception_int_div_zero 0
	.end_amdhsa_kernel
	.section	.text._ZN7rocprim17ROCPRIM_400000_NS6detail17trampoline_kernelINS0_14default_configENS1_35radix_sort_onesweep_config_selectorIsNS0_10empty_typeEEEZZNS1_29radix_sort_onesweep_iterationIS3_Lb1EPKsPsPS5_SB_mNS0_19identity_decomposerENS1_16block_id_wrapperIjLb0EEEEE10hipError_tT1_PNSt15iterator_traitsISG_E10value_typeET2_T3_PNSH_ISM_E10value_typeET4_T5_PSR_SS_PNS1_23onesweep_lookback_stateEbbT6_jjT7_P12ihipStream_tbENKUlT_T0_SG_SL_E_clIS9_SA_SB_SB_EEDaSZ_S10_SG_SL_EUlSZ_E_NS1_11comp_targetILNS1_3genE4ELNS1_11target_archE910ELNS1_3gpuE8ELNS1_3repE0EEENS1_47radix_sort_onesweep_sort_config_static_selectorELNS0_4arch9wavefront6targetE0EEEvSG_,"axG",@progbits,_ZN7rocprim17ROCPRIM_400000_NS6detail17trampoline_kernelINS0_14default_configENS1_35radix_sort_onesweep_config_selectorIsNS0_10empty_typeEEEZZNS1_29radix_sort_onesweep_iterationIS3_Lb1EPKsPsPS5_SB_mNS0_19identity_decomposerENS1_16block_id_wrapperIjLb0EEEEE10hipError_tT1_PNSt15iterator_traitsISG_E10value_typeET2_T3_PNSH_ISM_E10value_typeET4_T5_PSR_SS_PNS1_23onesweep_lookback_stateEbbT6_jjT7_P12ihipStream_tbENKUlT_T0_SG_SL_E_clIS9_SA_SB_SB_EEDaSZ_S10_SG_SL_EUlSZ_E_NS1_11comp_targetILNS1_3genE4ELNS1_11target_archE910ELNS1_3gpuE8ELNS1_3repE0EEENS1_47radix_sort_onesweep_sort_config_static_selectorELNS0_4arch9wavefront6targetE0EEEvSG_,comdat
.Lfunc_end624:
	.size	_ZN7rocprim17ROCPRIM_400000_NS6detail17trampoline_kernelINS0_14default_configENS1_35radix_sort_onesweep_config_selectorIsNS0_10empty_typeEEEZZNS1_29radix_sort_onesweep_iterationIS3_Lb1EPKsPsPS5_SB_mNS0_19identity_decomposerENS1_16block_id_wrapperIjLb0EEEEE10hipError_tT1_PNSt15iterator_traitsISG_E10value_typeET2_T3_PNSH_ISM_E10value_typeET4_T5_PSR_SS_PNS1_23onesweep_lookback_stateEbbT6_jjT7_P12ihipStream_tbENKUlT_T0_SG_SL_E_clIS9_SA_SB_SB_EEDaSZ_S10_SG_SL_EUlSZ_E_NS1_11comp_targetILNS1_3genE4ELNS1_11target_archE910ELNS1_3gpuE8ELNS1_3repE0EEENS1_47radix_sort_onesweep_sort_config_static_selectorELNS0_4arch9wavefront6targetE0EEEvSG_, .Lfunc_end624-_ZN7rocprim17ROCPRIM_400000_NS6detail17trampoline_kernelINS0_14default_configENS1_35radix_sort_onesweep_config_selectorIsNS0_10empty_typeEEEZZNS1_29radix_sort_onesweep_iterationIS3_Lb1EPKsPsPS5_SB_mNS0_19identity_decomposerENS1_16block_id_wrapperIjLb0EEEEE10hipError_tT1_PNSt15iterator_traitsISG_E10value_typeET2_T3_PNSH_ISM_E10value_typeET4_T5_PSR_SS_PNS1_23onesweep_lookback_stateEbbT6_jjT7_P12ihipStream_tbENKUlT_T0_SG_SL_E_clIS9_SA_SB_SB_EEDaSZ_S10_SG_SL_EUlSZ_E_NS1_11comp_targetILNS1_3genE4ELNS1_11target_archE910ELNS1_3gpuE8ELNS1_3repE0EEENS1_47radix_sort_onesweep_sort_config_static_selectorELNS0_4arch9wavefront6targetE0EEEvSG_
                                        ; -- End function
	.set _ZN7rocprim17ROCPRIM_400000_NS6detail17trampoline_kernelINS0_14default_configENS1_35radix_sort_onesweep_config_selectorIsNS0_10empty_typeEEEZZNS1_29radix_sort_onesweep_iterationIS3_Lb1EPKsPsPS5_SB_mNS0_19identity_decomposerENS1_16block_id_wrapperIjLb0EEEEE10hipError_tT1_PNSt15iterator_traitsISG_E10value_typeET2_T3_PNSH_ISM_E10value_typeET4_T5_PSR_SS_PNS1_23onesweep_lookback_stateEbbT6_jjT7_P12ihipStream_tbENKUlT_T0_SG_SL_E_clIS9_SA_SB_SB_EEDaSZ_S10_SG_SL_EUlSZ_E_NS1_11comp_targetILNS1_3genE4ELNS1_11target_archE910ELNS1_3gpuE8ELNS1_3repE0EEENS1_47radix_sort_onesweep_sort_config_static_selectorELNS0_4arch9wavefront6targetE0EEEvSG_.num_vgpr, 0
	.set _ZN7rocprim17ROCPRIM_400000_NS6detail17trampoline_kernelINS0_14default_configENS1_35radix_sort_onesweep_config_selectorIsNS0_10empty_typeEEEZZNS1_29radix_sort_onesweep_iterationIS3_Lb1EPKsPsPS5_SB_mNS0_19identity_decomposerENS1_16block_id_wrapperIjLb0EEEEE10hipError_tT1_PNSt15iterator_traitsISG_E10value_typeET2_T3_PNSH_ISM_E10value_typeET4_T5_PSR_SS_PNS1_23onesweep_lookback_stateEbbT6_jjT7_P12ihipStream_tbENKUlT_T0_SG_SL_E_clIS9_SA_SB_SB_EEDaSZ_S10_SG_SL_EUlSZ_E_NS1_11comp_targetILNS1_3genE4ELNS1_11target_archE910ELNS1_3gpuE8ELNS1_3repE0EEENS1_47radix_sort_onesweep_sort_config_static_selectorELNS0_4arch9wavefront6targetE0EEEvSG_.num_agpr, 0
	.set _ZN7rocprim17ROCPRIM_400000_NS6detail17trampoline_kernelINS0_14default_configENS1_35radix_sort_onesweep_config_selectorIsNS0_10empty_typeEEEZZNS1_29radix_sort_onesweep_iterationIS3_Lb1EPKsPsPS5_SB_mNS0_19identity_decomposerENS1_16block_id_wrapperIjLb0EEEEE10hipError_tT1_PNSt15iterator_traitsISG_E10value_typeET2_T3_PNSH_ISM_E10value_typeET4_T5_PSR_SS_PNS1_23onesweep_lookback_stateEbbT6_jjT7_P12ihipStream_tbENKUlT_T0_SG_SL_E_clIS9_SA_SB_SB_EEDaSZ_S10_SG_SL_EUlSZ_E_NS1_11comp_targetILNS1_3genE4ELNS1_11target_archE910ELNS1_3gpuE8ELNS1_3repE0EEENS1_47radix_sort_onesweep_sort_config_static_selectorELNS0_4arch9wavefront6targetE0EEEvSG_.numbered_sgpr, 0
	.set _ZN7rocprim17ROCPRIM_400000_NS6detail17trampoline_kernelINS0_14default_configENS1_35radix_sort_onesweep_config_selectorIsNS0_10empty_typeEEEZZNS1_29radix_sort_onesweep_iterationIS3_Lb1EPKsPsPS5_SB_mNS0_19identity_decomposerENS1_16block_id_wrapperIjLb0EEEEE10hipError_tT1_PNSt15iterator_traitsISG_E10value_typeET2_T3_PNSH_ISM_E10value_typeET4_T5_PSR_SS_PNS1_23onesweep_lookback_stateEbbT6_jjT7_P12ihipStream_tbENKUlT_T0_SG_SL_E_clIS9_SA_SB_SB_EEDaSZ_S10_SG_SL_EUlSZ_E_NS1_11comp_targetILNS1_3genE4ELNS1_11target_archE910ELNS1_3gpuE8ELNS1_3repE0EEENS1_47radix_sort_onesweep_sort_config_static_selectorELNS0_4arch9wavefront6targetE0EEEvSG_.num_named_barrier, 0
	.set _ZN7rocprim17ROCPRIM_400000_NS6detail17trampoline_kernelINS0_14default_configENS1_35radix_sort_onesweep_config_selectorIsNS0_10empty_typeEEEZZNS1_29radix_sort_onesweep_iterationIS3_Lb1EPKsPsPS5_SB_mNS0_19identity_decomposerENS1_16block_id_wrapperIjLb0EEEEE10hipError_tT1_PNSt15iterator_traitsISG_E10value_typeET2_T3_PNSH_ISM_E10value_typeET4_T5_PSR_SS_PNS1_23onesweep_lookback_stateEbbT6_jjT7_P12ihipStream_tbENKUlT_T0_SG_SL_E_clIS9_SA_SB_SB_EEDaSZ_S10_SG_SL_EUlSZ_E_NS1_11comp_targetILNS1_3genE4ELNS1_11target_archE910ELNS1_3gpuE8ELNS1_3repE0EEENS1_47radix_sort_onesweep_sort_config_static_selectorELNS0_4arch9wavefront6targetE0EEEvSG_.private_seg_size, 0
	.set _ZN7rocprim17ROCPRIM_400000_NS6detail17trampoline_kernelINS0_14default_configENS1_35radix_sort_onesweep_config_selectorIsNS0_10empty_typeEEEZZNS1_29radix_sort_onesweep_iterationIS3_Lb1EPKsPsPS5_SB_mNS0_19identity_decomposerENS1_16block_id_wrapperIjLb0EEEEE10hipError_tT1_PNSt15iterator_traitsISG_E10value_typeET2_T3_PNSH_ISM_E10value_typeET4_T5_PSR_SS_PNS1_23onesweep_lookback_stateEbbT6_jjT7_P12ihipStream_tbENKUlT_T0_SG_SL_E_clIS9_SA_SB_SB_EEDaSZ_S10_SG_SL_EUlSZ_E_NS1_11comp_targetILNS1_3genE4ELNS1_11target_archE910ELNS1_3gpuE8ELNS1_3repE0EEENS1_47radix_sort_onesweep_sort_config_static_selectorELNS0_4arch9wavefront6targetE0EEEvSG_.uses_vcc, 0
	.set _ZN7rocprim17ROCPRIM_400000_NS6detail17trampoline_kernelINS0_14default_configENS1_35radix_sort_onesweep_config_selectorIsNS0_10empty_typeEEEZZNS1_29radix_sort_onesweep_iterationIS3_Lb1EPKsPsPS5_SB_mNS0_19identity_decomposerENS1_16block_id_wrapperIjLb0EEEEE10hipError_tT1_PNSt15iterator_traitsISG_E10value_typeET2_T3_PNSH_ISM_E10value_typeET4_T5_PSR_SS_PNS1_23onesweep_lookback_stateEbbT6_jjT7_P12ihipStream_tbENKUlT_T0_SG_SL_E_clIS9_SA_SB_SB_EEDaSZ_S10_SG_SL_EUlSZ_E_NS1_11comp_targetILNS1_3genE4ELNS1_11target_archE910ELNS1_3gpuE8ELNS1_3repE0EEENS1_47radix_sort_onesweep_sort_config_static_selectorELNS0_4arch9wavefront6targetE0EEEvSG_.uses_flat_scratch, 0
	.set _ZN7rocprim17ROCPRIM_400000_NS6detail17trampoline_kernelINS0_14default_configENS1_35radix_sort_onesweep_config_selectorIsNS0_10empty_typeEEEZZNS1_29radix_sort_onesweep_iterationIS3_Lb1EPKsPsPS5_SB_mNS0_19identity_decomposerENS1_16block_id_wrapperIjLb0EEEEE10hipError_tT1_PNSt15iterator_traitsISG_E10value_typeET2_T3_PNSH_ISM_E10value_typeET4_T5_PSR_SS_PNS1_23onesweep_lookback_stateEbbT6_jjT7_P12ihipStream_tbENKUlT_T0_SG_SL_E_clIS9_SA_SB_SB_EEDaSZ_S10_SG_SL_EUlSZ_E_NS1_11comp_targetILNS1_3genE4ELNS1_11target_archE910ELNS1_3gpuE8ELNS1_3repE0EEENS1_47radix_sort_onesweep_sort_config_static_selectorELNS0_4arch9wavefront6targetE0EEEvSG_.has_dyn_sized_stack, 0
	.set _ZN7rocprim17ROCPRIM_400000_NS6detail17trampoline_kernelINS0_14default_configENS1_35radix_sort_onesweep_config_selectorIsNS0_10empty_typeEEEZZNS1_29radix_sort_onesweep_iterationIS3_Lb1EPKsPsPS5_SB_mNS0_19identity_decomposerENS1_16block_id_wrapperIjLb0EEEEE10hipError_tT1_PNSt15iterator_traitsISG_E10value_typeET2_T3_PNSH_ISM_E10value_typeET4_T5_PSR_SS_PNS1_23onesweep_lookback_stateEbbT6_jjT7_P12ihipStream_tbENKUlT_T0_SG_SL_E_clIS9_SA_SB_SB_EEDaSZ_S10_SG_SL_EUlSZ_E_NS1_11comp_targetILNS1_3genE4ELNS1_11target_archE910ELNS1_3gpuE8ELNS1_3repE0EEENS1_47radix_sort_onesweep_sort_config_static_selectorELNS0_4arch9wavefront6targetE0EEEvSG_.has_recursion, 0
	.set _ZN7rocprim17ROCPRIM_400000_NS6detail17trampoline_kernelINS0_14default_configENS1_35radix_sort_onesweep_config_selectorIsNS0_10empty_typeEEEZZNS1_29radix_sort_onesweep_iterationIS3_Lb1EPKsPsPS5_SB_mNS0_19identity_decomposerENS1_16block_id_wrapperIjLb0EEEEE10hipError_tT1_PNSt15iterator_traitsISG_E10value_typeET2_T3_PNSH_ISM_E10value_typeET4_T5_PSR_SS_PNS1_23onesweep_lookback_stateEbbT6_jjT7_P12ihipStream_tbENKUlT_T0_SG_SL_E_clIS9_SA_SB_SB_EEDaSZ_S10_SG_SL_EUlSZ_E_NS1_11comp_targetILNS1_3genE4ELNS1_11target_archE910ELNS1_3gpuE8ELNS1_3repE0EEENS1_47radix_sort_onesweep_sort_config_static_selectorELNS0_4arch9wavefront6targetE0EEEvSG_.has_indirect_call, 0
	.section	.AMDGPU.csdata,"",@progbits
; Kernel info:
; codeLenInByte = 0
; TotalNumSgprs: 0
; NumVgprs: 0
; ScratchSize: 0
; MemoryBound: 0
; FloatMode: 240
; IeeeMode: 1
; LDSByteSize: 0 bytes/workgroup (compile time only)
; SGPRBlocks: 0
; VGPRBlocks: 0
; NumSGPRsForWavesPerEU: 1
; NumVGPRsForWavesPerEU: 1
; NamedBarCnt: 0
; Occupancy: 16
; WaveLimiterHint : 0
; COMPUTE_PGM_RSRC2:SCRATCH_EN: 0
; COMPUTE_PGM_RSRC2:USER_SGPR: 2
; COMPUTE_PGM_RSRC2:TRAP_HANDLER: 0
; COMPUTE_PGM_RSRC2:TGID_X_EN: 1
; COMPUTE_PGM_RSRC2:TGID_Y_EN: 0
; COMPUTE_PGM_RSRC2:TGID_Z_EN: 0
; COMPUTE_PGM_RSRC2:TIDIG_COMP_CNT: 0
	.section	.text._ZN7rocprim17ROCPRIM_400000_NS6detail17trampoline_kernelINS0_14default_configENS1_35radix_sort_onesweep_config_selectorIsNS0_10empty_typeEEEZZNS1_29radix_sort_onesweep_iterationIS3_Lb1EPKsPsPS5_SB_mNS0_19identity_decomposerENS1_16block_id_wrapperIjLb0EEEEE10hipError_tT1_PNSt15iterator_traitsISG_E10value_typeET2_T3_PNSH_ISM_E10value_typeET4_T5_PSR_SS_PNS1_23onesweep_lookback_stateEbbT6_jjT7_P12ihipStream_tbENKUlT_T0_SG_SL_E_clIS9_SA_SB_SB_EEDaSZ_S10_SG_SL_EUlSZ_E_NS1_11comp_targetILNS1_3genE3ELNS1_11target_archE908ELNS1_3gpuE7ELNS1_3repE0EEENS1_47radix_sort_onesweep_sort_config_static_selectorELNS0_4arch9wavefront6targetE0EEEvSG_,"axG",@progbits,_ZN7rocprim17ROCPRIM_400000_NS6detail17trampoline_kernelINS0_14default_configENS1_35radix_sort_onesweep_config_selectorIsNS0_10empty_typeEEEZZNS1_29radix_sort_onesweep_iterationIS3_Lb1EPKsPsPS5_SB_mNS0_19identity_decomposerENS1_16block_id_wrapperIjLb0EEEEE10hipError_tT1_PNSt15iterator_traitsISG_E10value_typeET2_T3_PNSH_ISM_E10value_typeET4_T5_PSR_SS_PNS1_23onesweep_lookback_stateEbbT6_jjT7_P12ihipStream_tbENKUlT_T0_SG_SL_E_clIS9_SA_SB_SB_EEDaSZ_S10_SG_SL_EUlSZ_E_NS1_11comp_targetILNS1_3genE3ELNS1_11target_archE908ELNS1_3gpuE7ELNS1_3repE0EEENS1_47radix_sort_onesweep_sort_config_static_selectorELNS0_4arch9wavefront6targetE0EEEvSG_,comdat
	.protected	_ZN7rocprim17ROCPRIM_400000_NS6detail17trampoline_kernelINS0_14default_configENS1_35radix_sort_onesweep_config_selectorIsNS0_10empty_typeEEEZZNS1_29radix_sort_onesweep_iterationIS3_Lb1EPKsPsPS5_SB_mNS0_19identity_decomposerENS1_16block_id_wrapperIjLb0EEEEE10hipError_tT1_PNSt15iterator_traitsISG_E10value_typeET2_T3_PNSH_ISM_E10value_typeET4_T5_PSR_SS_PNS1_23onesweep_lookback_stateEbbT6_jjT7_P12ihipStream_tbENKUlT_T0_SG_SL_E_clIS9_SA_SB_SB_EEDaSZ_S10_SG_SL_EUlSZ_E_NS1_11comp_targetILNS1_3genE3ELNS1_11target_archE908ELNS1_3gpuE7ELNS1_3repE0EEENS1_47radix_sort_onesweep_sort_config_static_selectorELNS0_4arch9wavefront6targetE0EEEvSG_ ; -- Begin function _ZN7rocprim17ROCPRIM_400000_NS6detail17trampoline_kernelINS0_14default_configENS1_35radix_sort_onesweep_config_selectorIsNS0_10empty_typeEEEZZNS1_29radix_sort_onesweep_iterationIS3_Lb1EPKsPsPS5_SB_mNS0_19identity_decomposerENS1_16block_id_wrapperIjLb0EEEEE10hipError_tT1_PNSt15iterator_traitsISG_E10value_typeET2_T3_PNSH_ISM_E10value_typeET4_T5_PSR_SS_PNS1_23onesweep_lookback_stateEbbT6_jjT7_P12ihipStream_tbENKUlT_T0_SG_SL_E_clIS9_SA_SB_SB_EEDaSZ_S10_SG_SL_EUlSZ_E_NS1_11comp_targetILNS1_3genE3ELNS1_11target_archE908ELNS1_3gpuE7ELNS1_3repE0EEENS1_47radix_sort_onesweep_sort_config_static_selectorELNS0_4arch9wavefront6targetE0EEEvSG_
	.globl	_ZN7rocprim17ROCPRIM_400000_NS6detail17trampoline_kernelINS0_14default_configENS1_35radix_sort_onesweep_config_selectorIsNS0_10empty_typeEEEZZNS1_29radix_sort_onesweep_iterationIS3_Lb1EPKsPsPS5_SB_mNS0_19identity_decomposerENS1_16block_id_wrapperIjLb0EEEEE10hipError_tT1_PNSt15iterator_traitsISG_E10value_typeET2_T3_PNSH_ISM_E10value_typeET4_T5_PSR_SS_PNS1_23onesweep_lookback_stateEbbT6_jjT7_P12ihipStream_tbENKUlT_T0_SG_SL_E_clIS9_SA_SB_SB_EEDaSZ_S10_SG_SL_EUlSZ_E_NS1_11comp_targetILNS1_3genE3ELNS1_11target_archE908ELNS1_3gpuE7ELNS1_3repE0EEENS1_47radix_sort_onesweep_sort_config_static_selectorELNS0_4arch9wavefront6targetE0EEEvSG_
	.p2align	8
	.type	_ZN7rocprim17ROCPRIM_400000_NS6detail17trampoline_kernelINS0_14default_configENS1_35radix_sort_onesweep_config_selectorIsNS0_10empty_typeEEEZZNS1_29radix_sort_onesweep_iterationIS3_Lb1EPKsPsPS5_SB_mNS0_19identity_decomposerENS1_16block_id_wrapperIjLb0EEEEE10hipError_tT1_PNSt15iterator_traitsISG_E10value_typeET2_T3_PNSH_ISM_E10value_typeET4_T5_PSR_SS_PNS1_23onesweep_lookback_stateEbbT6_jjT7_P12ihipStream_tbENKUlT_T0_SG_SL_E_clIS9_SA_SB_SB_EEDaSZ_S10_SG_SL_EUlSZ_E_NS1_11comp_targetILNS1_3genE3ELNS1_11target_archE908ELNS1_3gpuE7ELNS1_3repE0EEENS1_47radix_sort_onesweep_sort_config_static_selectorELNS0_4arch9wavefront6targetE0EEEvSG_,@function
_ZN7rocprim17ROCPRIM_400000_NS6detail17trampoline_kernelINS0_14default_configENS1_35radix_sort_onesweep_config_selectorIsNS0_10empty_typeEEEZZNS1_29radix_sort_onesweep_iterationIS3_Lb1EPKsPsPS5_SB_mNS0_19identity_decomposerENS1_16block_id_wrapperIjLb0EEEEE10hipError_tT1_PNSt15iterator_traitsISG_E10value_typeET2_T3_PNSH_ISM_E10value_typeET4_T5_PSR_SS_PNS1_23onesweep_lookback_stateEbbT6_jjT7_P12ihipStream_tbENKUlT_T0_SG_SL_E_clIS9_SA_SB_SB_EEDaSZ_S10_SG_SL_EUlSZ_E_NS1_11comp_targetILNS1_3genE3ELNS1_11target_archE908ELNS1_3gpuE7ELNS1_3repE0EEENS1_47radix_sort_onesweep_sort_config_static_selectorELNS0_4arch9wavefront6targetE0EEEvSG_: ; @_ZN7rocprim17ROCPRIM_400000_NS6detail17trampoline_kernelINS0_14default_configENS1_35radix_sort_onesweep_config_selectorIsNS0_10empty_typeEEEZZNS1_29radix_sort_onesweep_iterationIS3_Lb1EPKsPsPS5_SB_mNS0_19identity_decomposerENS1_16block_id_wrapperIjLb0EEEEE10hipError_tT1_PNSt15iterator_traitsISG_E10value_typeET2_T3_PNSH_ISM_E10value_typeET4_T5_PSR_SS_PNS1_23onesweep_lookback_stateEbbT6_jjT7_P12ihipStream_tbENKUlT_T0_SG_SL_E_clIS9_SA_SB_SB_EEDaSZ_S10_SG_SL_EUlSZ_E_NS1_11comp_targetILNS1_3genE3ELNS1_11target_archE908ELNS1_3gpuE7ELNS1_3repE0EEENS1_47radix_sort_onesweep_sort_config_static_selectorELNS0_4arch9wavefront6targetE0EEEvSG_
; %bb.0:
	.section	.rodata,"a",@progbits
	.p2align	6, 0x0
	.amdhsa_kernel _ZN7rocprim17ROCPRIM_400000_NS6detail17trampoline_kernelINS0_14default_configENS1_35radix_sort_onesweep_config_selectorIsNS0_10empty_typeEEEZZNS1_29radix_sort_onesweep_iterationIS3_Lb1EPKsPsPS5_SB_mNS0_19identity_decomposerENS1_16block_id_wrapperIjLb0EEEEE10hipError_tT1_PNSt15iterator_traitsISG_E10value_typeET2_T3_PNSH_ISM_E10value_typeET4_T5_PSR_SS_PNS1_23onesweep_lookback_stateEbbT6_jjT7_P12ihipStream_tbENKUlT_T0_SG_SL_E_clIS9_SA_SB_SB_EEDaSZ_S10_SG_SL_EUlSZ_E_NS1_11comp_targetILNS1_3genE3ELNS1_11target_archE908ELNS1_3gpuE7ELNS1_3repE0EEENS1_47radix_sort_onesweep_sort_config_static_selectorELNS0_4arch9wavefront6targetE0EEEvSG_
		.amdhsa_group_segment_fixed_size 0
		.amdhsa_private_segment_fixed_size 0
		.amdhsa_kernarg_size 88
		.amdhsa_user_sgpr_count 2
		.amdhsa_user_sgpr_dispatch_ptr 0
		.amdhsa_user_sgpr_queue_ptr 0
		.amdhsa_user_sgpr_kernarg_segment_ptr 1
		.amdhsa_user_sgpr_dispatch_id 0
		.amdhsa_user_sgpr_kernarg_preload_length 0
		.amdhsa_user_sgpr_kernarg_preload_offset 0
		.amdhsa_user_sgpr_private_segment_size 0
		.amdhsa_wavefront_size32 1
		.amdhsa_uses_dynamic_stack 0
		.amdhsa_enable_private_segment 0
		.amdhsa_system_sgpr_workgroup_id_x 1
		.amdhsa_system_sgpr_workgroup_id_y 0
		.amdhsa_system_sgpr_workgroup_id_z 0
		.amdhsa_system_sgpr_workgroup_info 0
		.amdhsa_system_vgpr_workitem_id 0
		.amdhsa_next_free_vgpr 1
		.amdhsa_next_free_sgpr 1
		.amdhsa_named_barrier_count 0
		.amdhsa_reserve_vcc 0
		.amdhsa_float_round_mode_32 0
		.amdhsa_float_round_mode_16_64 0
		.amdhsa_float_denorm_mode_32 3
		.amdhsa_float_denorm_mode_16_64 3
		.amdhsa_fp16_overflow 0
		.amdhsa_memory_ordered 1
		.amdhsa_forward_progress 1
		.amdhsa_inst_pref_size 0
		.amdhsa_round_robin_scheduling 0
		.amdhsa_exception_fp_ieee_invalid_op 0
		.amdhsa_exception_fp_denorm_src 0
		.amdhsa_exception_fp_ieee_div_zero 0
		.amdhsa_exception_fp_ieee_overflow 0
		.amdhsa_exception_fp_ieee_underflow 0
		.amdhsa_exception_fp_ieee_inexact 0
		.amdhsa_exception_int_div_zero 0
	.end_amdhsa_kernel
	.section	.text._ZN7rocprim17ROCPRIM_400000_NS6detail17trampoline_kernelINS0_14default_configENS1_35radix_sort_onesweep_config_selectorIsNS0_10empty_typeEEEZZNS1_29radix_sort_onesweep_iterationIS3_Lb1EPKsPsPS5_SB_mNS0_19identity_decomposerENS1_16block_id_wrapperIjLb0EEEEE10hipError_tT1_PNSt15iterator_traitsISG_E10value_typeET2_T3_PNSH_ISM_E10value_typeET4_T5_PSR_SS_PNS1_23onesweep_lookback_stateEbbT6_jjT7_P12ihipStream_tbENKUlT_T0_SG_SL_E_clIS9_SA_SB_SB_EEDaSZ_S10_SG_SL_EUlSZ_E_NS1_11comp_targetILNS1_3genE3ELNS1_11target_archE908ELNS1_3gpuE7ELNS1_3repE0EEENS1_47radix_sort_onesweep_sort_config_static_selectorELNS0_4arch9wavefront6targetE0EEEvSG_,"axG",@progbits,_ZN7rocprim17ROCPRIM_400000_NS6detail17trampoline_kernelINS0_14default_configENS1_35radix_sort_onesweep_config_selectorIsNS0_10empty_typeEEEZZNS1_29radix_sort_onesweep_iterationIS3_Lb1EPKsPsPS5_SB_mNS0_19identity_decomposerENS1_16block_id_wrapperIjLb0EEEEE10hipError_tT1_PNSt15iterator_traitsISG_E10value_typeET2_T3_PNSH_ISM_E10value_typeET4_T5_PSR_SS_PNS1_23onesweep_lookback_stateEbbT6_jjT7_P12ihipStream_tbENKUlT_T0_SG_SL_E_clIS9_SA_SB_SB_EEDaSZ_S10_SG_SL_EUlSZ_E_NS1_11comp_targetILNS1_3genE3ELNS1_11target_archE908ELNS1_3gpuE7ELNS1_3repE0EEENS1_47radix_sort_onesweep_sort_config_static_selectorELNS0_4arch9wavefront6targetE0EEEvSG_,comdat
.Lfunc_end625:
	.size	_ZN7rocprim17ROCPRIM_400000_NS6detail17trampoline_kernelINS0_14default_configENS1_35radix_sort_onesweep_config_selectorIsNS0_10empty_typeEEEZZNS1_29radix_sort_onesweep_iterationIS3_Lb1EPKsPsPS5_SB_mNS0_19identity_decomposerENS1_16block_id_wrapperIjLb0EEEEE10hipError_tT1_PNSt15iterator_traitsISG_E10value_typeET2_T3_PNSH_ISM_E10value_typeET4_T5_PSR_SS_PNS1_23onesweep_lookback_stateEbbT6_jjT7_P12ihipStream_tbENKUlT_T0_SG_SL_E_clIS9_SA_SB_SB_EEDaSZ_S10_SG_SL_EUlSZ_E_NS1_11comp_targetILNS1_3genE3ELNS1_11target_archE908ELNS1_3gpuE7ELNS1_3repE0EEENS1_47radix_sort_onesweep_sort_config_static_selectorELNS0_4arch9wavefront6targetE0EEEvSG_, .Lfunc_end625-_ZN7rocprim17ROCPRIM_400000_NS6detail17trampoline_kernelINS0_14default_configENS1_35radix_sort_onesweep_config_selectorIsNS0_10empty_typeEEEZZNS1_29radix_sort_onesweep_iterationIS3_Lb1EPKsPsPS5_SB_mNS0_19identity_decomposerENS1_16block_id_wrapperIjLb0EEEEE10hipError_tT1_PNSt15iterator_traitsISG_E10value_typeET2_T3_PNSH_ISM_E10value_typeET4_T5_PSR_SS_PNS1_23onesweep_lookback_stateEbbT6_jjT7_P12ihipStream_tbENKUlT_T0_SG_SL_E_clIS9_SA_SB_SB_EEDaSZ_S10_SG_SL_EUlSZ_E_NS1_11comp_targetILNS1_3genE3ELNS1_11target_archE908ELNS1_3gpuE7ELNS1_3repE0EEENS1_47radix_sort_onesweep_sort_config_static_selectorELNS0_4arch9wavefront6targetE0EEEvSG_
                                        ; -- End function
	.set _ZN7rocprim17ROCPRIM_400000_NS6detail17trampoline_kernelINS0_14default_configENS1_35radix_sort_onesweep_config_selectorIsNS0_10empty_typeEEEZZNS1_29radix_sort_onesweep_iterationIS3_Lb1EPKsPsPS5_SB_mNS0_19identity_decomposerENS1_16block_id_wrapperIjLb0EEEEE10hipError_tT1_PNSt15iterator_traitsISG_E10value_typeET2_T3_PNSH_ISM_E10value_typeET4_T5_PSR_SS_PNS1_23onesweep_lookback_stateEbbT6_jjT7_P12ihipStream_tbENKUlT_T0_SG_SL_E_clIS9_SA_SB_SB_EEDaSZ_S10_SG_SL_EUlSZ_E_NS1_11comp_targetILNS1_3genE3ELNS1_11target_archE908ELNS1_3gpuE7ELNS1_3repE0EEENS1_47radix_sort_onesweep_sort_config_static_selectorELNS0_4arch9wavefront6targetE0EEEvSG_.num_vgpr, 0
	.set _ZN7rocprim17ROCPRIM_400000_NS6detail17trampoline_kernelINS0_14default_configENS1_35radix_sort_onesweep_config_selectorIsNS0_10empty_typeEEEZZNS1_29radix_sort_onesweep_iterationIS3_Lb1EPKsPsPS5_SB_mNS0_19identity_decomposerENS1_16block_id_wrapperIjLb0EEEEE10hipError_tT1_PNSt15iterator_traitsISG_E10value_typeET2_T3_PNSH_ISM_E10value_typeET4_T5_PSR_SS_PNS1_23onesweep_lookback_stateEbbT6_jjT7_P12ihipStream_tbENKUlT_T0_SG_SL_E_clIS9_SA_SB_SB_EEDaSZ_S10_SG_SL_EUlSZ_E_NS1_11comp_targetILNS1_3genE3ELNS1_11target_archE908ELNS1_3gpuE7ELNS1_3repE0EEENS1_47radix_sort_onesweep_sort_config_static_selectorELNS0_4arch9wavefront6targetE0EEEvSG_.num_agpr, 0
	.set _ZN7rocprim17ROCPRIM_400000_NS6detail17trampoline_kernelINS0_14default_configENS1_35radix_sort_onesweep_config_selectorIsNS0_10empty_typeEEEZZNS1_29radix_sort_onesweep_iterationIS3_Lb1EPKsPsPS5_SB_mNS0_19identity_decomposerENS1_16block_id_wrapperIjLb0EEEEE10hipError_tT1_PNSt15iterator_traitsISG_E10value_typeET2_T3_PNSH_ISM_E10value_typeET4_T5_PSR_SS_PNS1_23onesweep_lookback_stateEbbT6_jjT7_P12ihipStream_tbENKUlT_T0_SG_SL_E_clIS9_SA_SB_SB_EEDaSZ_S10_SG_SL_EUlSZ_E_NS1_11comp_targetILNS1_3genE3ELNS1_11target_archE908ELNS1_3gpuE7ELNS1_3repE0EEENS1_47radix_sort_onesweep_sort_config_static_selectorELNS0_4arch9wavefront6targetE0EEEvSG_.numbered_sgpr, 0
	.set _ZN7rocprim17ROCPRIM_400000_NS6detail17trampoline_kernelINS0_14default_configENS1_35radix_sort_onesweep_config_selectorIsNS0_10empty_typeEEEZZNS1_29radix_sort_onesweep_iterationIS3_Lb1EPKsPsPS5_SB_mNS0_19identity_decomposerENS1_16block_id_wrapperIjLb0EEEEE10hipError_tT1_PNSt15iterator_traitsISG_E10value_typeET2_T3_PNSH_ISM_E10value_typeET4_T5_PSR_SS_PNS1_23onesweep_lookback_stateEbbT6_jjT7_P12ihipStream_tbENKUlT_T0_SG_SL_E_clIS9_SA_SB_SB_EEDaSZ_S10_SG_SL_EUlSZ_E_NS1_11comp_targetILNS1_3genE3ELNS1_11target_archE908ELNS1_3gpuE7ELNS1_3repE0EEENS1_47radix_sort_onesweep_sort_config_static_selectorELNS0_4arch9wavefront6targetE0EEEvSG_.num_named_barrier, 0
	.set _ZN7rocprim17ROCPRIM_400000_NS6detail17trampoline_kernelINS0_14default_configENS1_35radix_sort_onesweep_config_selectorIsNS0_10empty_typeEEEZZNS1_29radix_sort_onesweep_iterationIS3_Lb1EPKsPsPS5_SB_mNS0_19identity_decomposerENS1_16block_id_wrapperIjLb0EEEEE10hipError_tT1_PNSt15iterator_traitsISG_E10value_typeET2_T3_PNSH_ISM_E10value_typeET4_T5_PSR_SS_PNS1_23onesweep_lookback_stateEbbT6_jjT7_P12ihipStream_tbENKUlT_T0_SG_SL_E_clIS9_SA_SB_SB_EEDaSZ_S10_SG_SL_EUlSZ_E_NS1_11comp_targetILNS1_3genE3ELNS1_11target_archE908ELNS1_3gpuE7ELNS1_3repE0EEENS1_47radix_sort_onesweep_sort_config_static_selectorELNS0_4arch9wavefront6targetE0EEEvSG_.private_seg_size, 0
	.set _ZN7rocprim17ROCPRIM_400000_NS6detail17trampoline_kernelINS0_14default_configENS1_35radix_sort_onesweep_config_selectorIsNS0_10empty_typeEEEZZNS1_29radix_sort_onesweep_iterationIS3_Lb1EPKsPsPS5_SB_mNS0_19identity_decomposerENS1_16block_id_wrapperIjLb0EEEEE10hipError_tT1_PNSt15iterator_traitsISG_E10value_typeET2_T3_PNSH_ISM_E10value_typeET4_T5_PSR_SS_PNS1_23onesweep_lookback_stateEbbT6_jjT7_P12ihipStream_tbENKUlT_T0_SG_SL_E_clIS9_SA_SB_SB_EEDaSZ_S10_SG_SL_EUlSZ_E_NS1_11comp_targetILNS1_3genE3ELNS1_11target_archE908ELNS1_3gpuE7ELNS1_3repE0EEENS1_47radix_sort_onesweep_sort_config_static_selectorELNS0_4arch9wavefront6targetE0EEEvSG_.uses_vcc, 0
	.set _ZN7rocprim17ROCPRIM_400000_NS6detail17trampoline_kernelINS0_14default_configENS1_35radix_sort_onesweep_config_selectorIsNS0_10empty_typeEEEZZNS1_29radix_sort_onesweep_iterationIS3_Lb1EPKsPsPS5_SB_mNS0_19identity_decomposerENS1_16block_id_wrapperIjLb0EEEEE10hipError_tT1_PNSt15iterator_traitsISG_E10value_typeET2_T3_PNSH_ISM_E10value_typeET4_T5_PSR_SS_PNS1_23onesweep_lookback_stateEbbT6_jjT7_P12ihipStream_tbENKUlT_T0_SG_SL_E_clIS9_SA_SB_SB_EEDaSZ_S10_SG_SL_EUlSZ_E_NS1_11comp_targetILNS1_3genE3ELNS1_11target_archE908ELNS1_3gpuE7ELNS1_3repE0EEENS1_47radix_sort_onesweep_sort_config_static_selectorELNS0_4arch9wavefront6targetE0EEEvSG_.uses_flat_scratch, 0
	.set _ZN7rocprim17ROCPRIM_400000_NS6detail17trampoline_kernelINS0_14default_configENS1_35radix_sort_onesweep_config_selectorIsNS0_10empty_typeEEEZZNS1_29radix_sort_onesweep_iterationIS3_Lb1EPKsPsPS5_SB_mNS0_19identity_decomposerENS1_16block_id_wrapperIjLb0EEEEE10hipError_tT1_PNSt15iterator_traitsISG_E10value_typeET2_T3_PNSH_ISM_E10value_typeET4_T5_PSR_SS_PNS1_23onesweep_lookback_stateEbbT6_jjT7_P12ihipStream_tbENKUlT_T0_SG_SL_E_clIS9_SA_SB_SB_EEDaSZ_S10_SG_SL_EUlSZ_E_NS1_11comp_targetILNS1_3genE3ELNS1_11target_archE908ELNS1_3gpuE7ELNS1_3repE0EEENS1_47radix_sort_onesweep_sort_config_static_selectorELNS0_4arch9wavefront6targetE0EEEvSG_.has_dyn_sized_stack, 0
	.set _ZN7rocprim17ROCPRIM_400000_NS6detail17trampoline_kernelINS0_14default_configENS1_35radix_sort_onesweep_config_selectorIsNS0_10empty_typeEEEZZNS1_29radix_sort_onesweep_iterationIS3_Lb1EPKsPsPS5_SB_mNS0_19identity_decomposerENS1_16block_id_wrapperIjLb0EEEEE10hipError_tT1_PNSt15iterator_traitsISG_E10value_typeET2_T3_PNSH_ISM_E10value_typeET4_T5_PSR_SS_PNS1_23onesweep_lookback_stateEbbT6_jjT7_P12ihipStream_tbENKUlT_T0_SG_SL_E_clIS9_SA_SB_SB_EEDaSZ_S10_SG_SL_EUlSZ_E_NS1_11comp_targetILNS1_3genE3ELNS1_11target_archE908ELNS1_3gpuE7ELNS1_3repE0EEENS1_47radix_sort_onesweep_sort_config_static_selectorELNS0_4arch9wavefront6targetE0EEEvSG_.has_recursion, 0
	.set _ZN7rocprim17ROCPRIM_400000_NS6detail17trampoline_kernelINS0_14default_configENS1_35radix_sort_onesweep_config_selectorIsNS0_10empty_typeEEEZZNS1_29radix_sort_onesweep_iterationIS3_Lb1EPKsPsPS5_SB_mNS0_19identity_decomposerENS1_16block_id_wrapperIjLb0EEEEE10hipError_tT1_PNSt15iterator_traitsISG_E10value_typeET2_T3_PNSH_ISM_E10value_typeET4_T5_PSR_SS_PNS1_23onesweep_lookback_stateEbbT6_jjT7_P12ihipStream_tbENKUlT_T0_SG_SL_E_clIS9_SA_SB_SB_EEDaSZ_S10_SG_SL_EUlSZ_E_NS1_11comp_targetILNS1_3genE3ELNS1_11target_archE908ELNS1_3gpuE7ELNS1_3repE0EEENS1_47radix_sort_onesweep_sort_config_static_selectorELNS0_4arch9wavefront6targetE0EEEvSG_.has_indirect_call, 0
	.section	.AMDGPU.csdata,"",@progbits
; Kernel info:
; codeLenInByte = 0
; TotalNumSgprs: 0
; NumVgprs: 0
; ScratchSize: 0
; MemoryBound: 0
; FloatMode: 240
; IeeeMode: 1
; LDSByteSize: 0 bytes/workgroup (compile time only)
; SGPRBlocks: 0
; VGPRBlocks: 0
; NumSGPRsForWavesPerEU: 1
; NumVGPRsForWavesPerEU: 1
; NamedBarCnt: 0
; Occupancy: 16
; WaveLimiterHint : 0
; COMPUTE_PGM_RSRC2:SCRATCH_EN: 0
; COMPUTE_PGM_RSRC2:USER_SGPR: 2
; COMPUTE_PGM_RSRC2:TRAP_HANDLER: 0
; COMPUTE_PGM_RSRC2:TGID_X_EN: 1
; COMPUTE_PGM_RSRC2:TGID_Y_EN: 0
; COMPUTE_PGM_RSRC2:TGID_Z_EN: 0
; COMPUTE_PGM_RSRC2:TIDIG_COMP_CNT: 0
	.section	.text._ZN7rocprim17ROCPRIM_400000_NS6detail17trampoline_kernelINS0_14default_configENS1_35radix_sort_onesweep_config_selectorIsNS0_10empty_typeEEEZZNS1_29radix_sort_onesweep_iterationIS3_Lb1EPKsPsPS5_SB_mNS0_19identity_decomposerENS1_16block_id_wrapperIjLb0EEEEE10hipError_tT1_PNSt15iterator_traitsISG_E10value_typeET2_T3_PNSH_ISM_E10value_typeET4_T5_PSR_SS_PNS1_23onesweep_lookback_stateEbbT6_jjT7_P12ihipStream_tbENKUlT_T0_SG_SL_E_clIS9_SA_SB_SB_EEDaSZ_S10_SG_SL_EUlSZ_E_NS1_11comp_targetILNS1_3genE10ELNS1_11target_archE1201ELNS1_3gpuE5ELNS1_3repE0EEENS1_47radix_sort_onesweep_sort_config_static_selectorELNS0_4arch9wavefront6targetE0EEEvSG_,"axG",@progbits,_ZN7rocprim17ROCPRIM_400000_NS6detail17trampoline_kernelINS0_14default_configENS1_35radix_sort_onesweep_config_selectorIsNS0_10empty_typeEEEZZNS1_29radix_sort_onesweep_iterationIS3_Lb1EPKsPsPS5_SB_mNS0_19identity_decomposerENS1_16block_id_wrapperIjLb0EEEEE10hipError_tT1_PNSt15iterator_traitsISG_E10value_typeET2_T3_PNSH_ISM_E10value_typeET4_T5_PSR_SS_PNS1_23onesweep_lookback_stateEbbT6_jjT7_P12ihipStream_tbENKUlT_T0_SG_SL_E_clIS9_SA_SB_SB_EEDaSZ_S10_SG_SL_EUlSZ_E_NS1_11comp_targetILNS1_3genE10ELNS1_11target_archE1201ELNS1_3gpuE5ELNS1_3repE0EEENS1_47radix_sort_onesweep_sort_config_static_selectorELNS0_4arch9wavefront6targetE0EEEvSG_,comdat
	.protected	_ZN7rocprim17ROCPRIM_400000_NS6detail17trampoline_kernelINS0_14default_configENS1_35radix_sort_onesweep_config_selectorIsNS0_10empty_typeEEEZZNS1_29radix_sort_onesweep_iterationIS3_Lb1EPKsPsPS5_SB_mNS0_19identity_decomposerENS1_16block_id_wrapperIjLb0EEEEE10hipError_tT1_PNSt15iterator_traitsISG_E10value_typeET2_T3_PNSH_ISM_E10value_typeET4_T5_PSR_SS_PNS1_23onesweep_lookback_stateEbbT6_jjT7_P12ihipStream_tbENKUlT_T0_SG_SL_E_clIS9_SA_SB_SB_EEDaSZ_S10_SG_SL_EUlSZ_E_NS1_11comp_targetILNS1_3genE10ELNS1_11target_archE1201ELNS1_3gpuE5ELNS1_3repE0EEENS1_47radix_sort_onesweep_sort_config_static_selectorELNS0_4arch9wavefront6targetE0EEEvSG_ ; -- Begin function _ZN7rocprim17ROCPRIM_400000_NS6detail17trampoline_kernelINS0_14default_configENS1_35radix_sort_onesweep_config_selectorIsNS0_10empty_typeEEEZZNS1_29radix_sort_onesweep_iterationIS3_Lb1EPKsPsPS5_SB_mNS0_19identity_decomposerENS1_16block_id_wrapperIjLb0EEEEE10hipError_tT1_PNSt15iterator_traitsISG_E10value_typeET2_T3_PNSH_ISM_E10value_typeET4_T5_PSR_SS_PNS1_23onesweep_lookback_stateEbbT6_jjT7_P12ihipStream_tbENKUlT_T0_SG_SL_E_clIS9_SA_SB_SB_EEDaSZ_S10_SG_SL_EUlSZ_E_NS1_11comp_targetILNS1_3genE10ELNS1_11target_archE1201ELNS1_3gpuE5ELNS1_3repE0EEENS1_47radix_sort_onesweep_sort_config_static_selectorELNS0_4arch9wavefront6targetE0EEEvSG_
	.globl	_ZN7rocprim17ROCPRIM_400000_NS6detail17trampoline_kernelINS0_14default_configENS1_35radix_sort_onesweep_config_selectorIsNS0_10empty_typeEEEZZNS1_29radix_sort_onesweep_iterationIS3_Lb1EPKsPsPS5_SB_mNS0_19identity_decomposerENS1_16block_id_wrapperIjLb0EEEEE10hipError_tT1_PNSt15iterator_traitsISG_E10value_typeET2_T3_PNSH_ISM_E10value_typeET4_T5_PSR_SS_PNS1_23onesweep_lookback_stateEbbT6_jjT7_P12ihipStream_tbENKUlT_T0_SG_SL_E_clIS9_SA_SB_SB_EEDaSZ_S10_SG_SL_EUlSZ_E_NS1_11comp_targetILNS1_3genE10ELNS1_11target_archE1201ELNS1_3gpuE5ELNS1_3repE0EEENS1_47radix_sort_onesweep_sort_config_static_selectorELNS0_4arch9wavefront6targetE0EEEvSG_
	.p2align	8
	.type	_ZN7rocprim17ROCPRIM_400000_NS6detail17trampoline_kernelINS0_14default_configENS1_35radix_sort_onesweep_config_selectorIsNS0_10empty_typeEEEZZNS1_29radix_sort_onesweep_iterationIS3_Lb1EPKsPsPS5_SB_mNS0_19identity_decomposerENS1_16block_id_wrapperIjLb0EEEEE10hipError_tT1_PNSt15iterator_traitsISG_E10value_typeET2_T3_PNSH_ISM_E10value_typeET4_T5_PSR_SS_PNS1_23onesweep_lookback_stateEbbT6_jjT7_P12ihipStream_tbENKUlT_T0_SG_SL_E_clIS9_SA_SB_SB_EEDaSZ_S10_SG_SL_EUlSZ_E_NS1_11comp_targetILNS1_3genE10ELNS1_11target_archE1201ELNS1_3gpuE5ELNS1_3repE0EEENS1_47radix_sort_onesweep_sort_config_static_selectorELNS0_4arch9wavefront6targetE0EEEvSG_,@function
_ZN7rocprim17ROCPRIM_400000_NS6detail17trampoline_kernelINS0_14default_configENS1_35radix_sort_onesweep_config_selectorIsNS0_10empty_typeEEEZZNS1_29radix_sort_onesweep_iterationIS3_Lb1EPKsPsPS5_SB_mNS0_19identity_decomposerENS1_16block_id_wrapperIjLb0EEEEE10hipError_tT1_PNSt15iterator_traitsISG_E10value_typeET2_T3_PNSH_ISM_E10value_typeET4_T5_PSR_SS_PNS1_23onesweep_lookback_stateEbbT6_jjT7_P12ihipStream_tbENKUlT_T0_SG_SL_E_clIS9_SA_SB_SB_EEDaSZ_S10_SG_SL_EUlSZ_E_NS1_11comp_targetILNS1_3genE10ELNS1_11target_archE1201ELNS1_3gpuE5ELNS1_3repE0EEENS1_47radix_sort_onesweep_sort_config_static_selectorELNS0_4arch9wavefront6targetE0EEEvSG_: ; @_ZN7rocprim17ROCPRIM_400000_NS6detail17trampoline_kernelINS0_14default_configENS1_35radix_sort_onesweep_config_selectorIsNS0_10empty_typeEEEZZNS1_29radix_sort_onesweep_iterationIS3_Lb1EPKsPsPS5_SB_mNS0_19identity_decomposerENS1_16block_id_wrapperIjLb0EEEEE10hipError_tT1_PNSt15iterator_traitsISG_E10value_typeET2_T3_PNSH_ISM_E10value_typeET4_T5_PSR_SS_PNS1_23onesweep_lookback_stateEbbT6_jjT7_P12ihipStream_tbENKUlT_T0_SG_SL_E_clIS9_SA_SB_SB_EEDaSZ_S10_SG_SL_EUlSZ_E_NS1_11comp_targetILNS1_3genE10ELNS1_11target_archE1201ELNS1_3gpuE5ELNS1_3repE0EEENS1_47radix_sort_onesweep_sort_config_static_selectorELNS0_4arch9wavefront6targetE0EEEvSG_
; %bb.0:
	.section	.rodata,"a",@progbits
	.p2align	6, 0x0
	.amdhsa_kernel _ZN7rocprim17ROCPRIM_400000_NS6detail17trampoline_kernelINS0_14default_configENS1_35radix_sort_onesweep_config_selectorIsNS0_10empty_typeEEEZZNS1_29radix_sort_onesweep_iterationIS3_Lb1EPKsPsPS5_SB_mNS0_19identity_decomposerENS1_16block_id_wrapperIjLb0EEEEE10hipError_tT1_PNSt15iterator_traitsISG_E10value_typeET2_T3_PNSH_ISM_E10value_typeET4_T5_PSR_SS_PNS1_23onesweep_lookback_stateEbbT6_jjT7_P12ihipStream_tbENKUlT_T0_SG_SL_E_clIS9_SA_SB_SB_EEDaSZ_S10_SG_SL_EUlSZ_E_NS1_11comp_targetILNS1_3genE10ELNS1_11target_archE1201ELNS1_3gpuE5ELNS1_3repE0EEENS1_47radix_sort_onesweep_sort_config_static_selectorELNS0_4arch9wavefront6targetE0EEEvSG_
		.amdhsa_group_segment_fixed_size 0
		.amdhsa_private_segment_fixed_size 0
		.amdhsa_kernarg_size 88
		.amdhsa_user_sgpr_count 2
		.amdhsa_user_sgpr_dispatch_ptr 0
		.amdhsa_user_sgpr_queue_ptr 0
		.amdhsa_user_sgpr_kernarg_segment_ptr 1
		.amdhsa_user_sgpr_dispatch_id 0
		.amdhsa_user_sgpr_kernarg_preload_length 0
		.amdhsa_user_sgpr_kernarg_preload_offset 0
		.amdhsa_user_sgpr_private_segment_size 0
		.amdhsa_wavefront_size32 1
		.amdhsa_uses_dynamic_stack 0
		.amdhsa_enable_private_segment 0
		.amdhsa_system_sgpr_workgroup_id_x 1
		.amdhsa_system_sgpr_workgroup_id_y 0
		.amdhsa_system_sgpr_workgroup_id_z 0
		.amdhsa_system_sgpr_workgroup_info 0
		.amdhsa_system_vgpr_workitem_id 0
		.amdhsa_next_free_vgpr 1
		.amdhsa_next_free_sgpr 1
		.amdhsa_named_barrier_count 0
		.amdhsa_reserve_vcc 0
		.amdhsa_float_round_mode_32 0
		.amdhsa_float_round_mode_16_64 0
		.amdhsa_float_denorm_mode_32 3
		.amdhsa_float_denorm_mode_16_64 3
		.amdhsa_fp16_overflow 0
		.amdhsa_memory_ordered 1
		.amdhsa_forward_progress 1
		.amdhsa_inst_pref_size 0
		.amdhsa_round_robin_scheduling 0
		.amdhsa_exception_fp_ieee_invalid_op 0
		.amdhsa_exception_fp_denorm_src 0
		.amdhsa_exception_fp_ieee_div_zero 0
		.amdhsa_exception_fp_ieee_overflow 0
		.amdhsa_exception_fp_ieee_underflow 0
		.amdhsa_exception_fp_ieee_inexact 0
		.amdhsa_exception_int_div_zero 0
	.end_amdhsa_kernel
	.section	.text._ZN7rocprim17ROCPRIM_400000_NS6detail17trampoline_kernelINS0_14default_configENS1_35radix_sort_onesweep_config_selectorIsNS0_10empty_typeEEEZZNS1_29radix_sort_onesweep_iterationIS3_Lb1EPKsPsPS5_SB_mNS0_19identity_decomposerENS1_16block_id_wrapperIjLb0EEEEE10hipError_tT1_PNSt15iterator_traitsISG_E10value_typeET2_T3_PNSH_ISM_E10value_typeET4_T5_PSR_SS_PNS1_23onesweep_lookback_stateEbbT6_jjT7_P12ihipStream_tbENKUlT_T0_SG_SL_E_clIS9_SA_SB_SB_EEDaSZ_S10_SG_SL_EUlSZ_E_NS1_11comp_targetILNS1_3genE10ELNS1_11target_archE1201ELNS1_3gpuE5ELNS1_3repE0EEENS1_47radix_sort_onesweep_sort_config_static_selectorELNS0_4arch9wavefront6targetE0EEEvSG_,"axG",@progbits,_ZN7rocprim17ROCPRIM_400000_NS6detail17trampoline_kernelINS0_14default_configENS1_35radix_sort_onesweep_config_selectorIsNS0_10empty_typeEEEZZNS1_29radix_sort_onesweep_iterationIS3_Lb1EPKsPsPS5_SB_mNS0_19identity_decomposerENS1_16block_id_wrapperIjLb0EEEEE10hipError_tT1_PNSt15iterator_traitsISG_E10value_typeET2_T3_PNSH_ISM_E10value_typeET4_T5_PSR_SS_PNS1_23onesweep_lookback_stateEbbT6_jjT7_P12ihipStream_tbENKUlT_T0_SG_SL_E_clIS9_SA_SB_SB_EEDaSZ_S10_SG_SL_EUlSZ_E_NS1_11comp_targetILNS1_3genE10ELNS1_11target_archE1201ELNS1_3gpuE5ELNS1_3repE0EEENS1_47radix_sort_onesweep_sort_config_static_selectorELNS0_4arch9wavefront6targetE0EEEvSG_,comdat
.Lfunc_end626:
	.size	_ZN7rocprim17ROCPRIM_400000_NS6detail17trampoline_kernelINS0_14default_configENS1_35radix_sort_onesweep_config_selectorIsNS0_10empty_typeEEEZZNS1_29radix_sort_onesweep_iterationIS3_Lb1EPKsPsPS5_SB_mNS0_19identity_decomposerENS1_16block_id_wrapperIjLb0EEEEE10hipError_tT1_PNSt15iterator_traitsISG_E10value_typeET2_T3_PNSH_ISM_E10value_typeET4_T5_PSR_SS_PNS1_23onesweep_lookback_stateEbbT6_jjT7_P12ihipStream_tbENKUlT_T0_SG_SL_E_clIS9_SA_SB_SB_EEDaSZ_S10_SG_SL_EUlSZ_E_NS1_11comp_targetILNS1_3genE10ELNS1_11target_archE1201ELNS1_3gpuE5ELNS1_3repE0EEENS1_47radix_sort_onesweep_sort_config_static_selectorELNS0_4arch9wavefront6targetE0EEEvSG_, .Lfunc_end626-_ZN7rocprim17ROCPRIM_400000_NS6detail17trampoline_kernelINS0_14default_configENS1_35radix_sort_onesweep_config_selectorIsNS0_10empty_typeEEEZZNS1_29radix_sort_onesweep_iterationIS3_Lb1EPKsPsPS5_SB_mNS0_19identity_decomposerENS1_16block_id_wrapperIjLb0EEEEE10hipError_tT1_PNSt15iterator_traitsISG_E10value_typeET2_T3_PNSH_ISM_E10value_typeET4_T5_PSR_SS_PNS1_23onesweep_lookback_stateEbbT6_jjT7_P12ihipStream_tbENKUlT_T0_SG_SL_E_clIS9_SA_SB_SB_EEDaSZ_S10_SG_SL_EUlSZ_E_NS1_11comp_targetILNS1_3genE10ELNS1_11target_archE1201ELNS1_3gpuE5ELNS1_3repE0EEENS1_47radix_sort_onesweep_sort_config_static_selectorELNS0_4arch9wavefront6targetE0EEEvSG_
                                        ; -- End function
	.set _ZN7rocprim17ROCPRIM_400000_NS6detail17trampoline_kernelINS0_14default_configENS1_35radix_sort_onesweep_config_selectorIsNS0_10empty_typeEEEZZNS1_29radix_sort_onesweep_iterationIS3_Lb1EPKsPsPS5_SB_mNS0_19identity_decomposerENS1_16block_id_wrapperIjLb0EEEEE10hipError_tT1_PNSt15iterator_traitsISG_E10value_typeET2_T3_PNSH_ISM_E10value_typeET4_T5_PSR_SS_PNS1_23onesweep_lookback_stateEbbT6_jjT7_P12ihipStream_tbENKUlT_T0_SG_SL_E_clIS9_SA_SB_SB_EEDaSZ_S10_SG_SL_EUlSZ_E_NS1_11comp_targetILNS1_3genE10ELNS1_11target_archE1201ELNS1_3gpuE5ELNS1_3repE0EEENS1_47radix_sort_onesweep_sort_config_static_selectorELNS0_4arch9wavefront6targetE0EEEvSG_.num_vgpr, 0
	.set _ZN7rocprim17ROCPRIM_400000_NS6detail17trampoline_kernelINS0_14default_configENS1_35radix_sort_onesweep_config_selectorIsNS0_10empty_typeEEEZZNS1_29radix_sort_onesweep_iterationIS3_Lb1EPKsPsPS5_SB_mNS0_19identity_decomposerENS1_16block_id_wrapperIjLb0EEEEE10hipError_tT1_PNSt15iterator_traitsISG_E10value_typeET2_T3_PNSH_ISM_E10value_typeET4_T5_PSR_SS_PNS1_23onesweep_lookback_stateEbbT6_jjT7_P12ihipStream_tbENKUlT_T0_SG_SL_E_clIS9_SA_SB_SB_EEDaSZ_S10_SG_SL_EUlSZ_E_NS1_11comp_targetILNS1_3genE10ELNS1_11target_archE1201ELNS1_3gpuE5ELNS1_3repE0EEENS1_47radix_sort_onesweep_sort_config_static_selectorELNS0_4arch9wavefront6targetE0EEEvSG_.num_agpr, 0
	.set _ZN7rocprim17ROCPRIM_400000_NS6detail17trampoline_kernelINS0_14default_configENS1_35radix_sort_onesweep_config_selectorIsNS0_10empty_typeEEEZZNS1_29radix_sort_onesweep_iterationIS3_Lb1EPKsPsPS5_SB_mNS0_19identity_decomposerENS1_16block_id_wrapperIjLb0EEEEE10hipError_tT1_PNSt15iterator_traitsISG_E10value_typeET2_T3_PNSH_ISM_E10value_typeET4_T5_PSR_SS_PNS1_23onesweep_lookback_stateEbbT6_jjT7_P12ihipStream_tbENKUlT_T0_SG_SL_E_clIS9_SA_SB_SB_EEDaSZ_S10_SG_SL_EUlSZ_E_NS1_11comp_targetILNS1_3genE10ELNS1_11target_archE1201ELNS1_3gpuE5ELNS1_3repE0EEENS1_47radix_sort_onesweep_sort_config_static_selectorELNS0_4arch9wavefront6targetE0EEEvSG_.numbered_sgpr, 0
	.set _ZN7rocprim17ROCPRIM_400000_NS6detail17trampoline_kernelINS0_14default_configENS1_35radix_sort_onesweep_config_selectorIsNS0_10empty_typeEEEZZNS1_29radix_sort_onesweep_iterationIS3_Lb1EPKsPsPS5_SB_mNS0_19identity_decomposerENS1_16block_id_wrapperIjLb0EEEEE10hipError_tT1_PNSt15iterator_traitsISG_E10value_typeET2_T3_PNSH_ISM_E10value_typeET4_T5_PSR_SS_PNS1_23onesweep_lookback_stateEbbT6_jjT7_P12ihipStream_tbENKUlT_T0_SG_SL_E_clIS9_SA_SB_SB_EEDaSZ_S10_SG_SL_EUlSZ_E_NS1_11comp_targetILNS1_3genE10ELNS1_11target_archE1201ELNS1_3gpuE5ELNS1_3repE0EEENS1_47radix_sort_onesweep_sort_config_static_selectorELNS0_4arch9wavefront6targetE0EEEvSG_.num_named_barrier, 0
	.set _ZN7rocprim17ROCPRIM_400000_NS6detail17trampoline_kernelINS0_14default_configENS1_35radix_sort_onesweep_config_selectorIsNS0_10empty_typeEEEZZNS1_29radix_sort_onesweep_iterationIS3_Lb1EPKsPsPS5_SB_mNS0_19identity_decomposerENS1_16block_id_wrapperIjLb0EEEEE10hipError_tT1_PNSt15iterator_traitsISG_E10value_typeET2_T3_PNSH_ISM_E10value_typeET4_T5_PSR_SS_PNS1_23onesweep_lookback_stateEbbT6_jjT7_P12ihipStream_tbENKUlT_T0_SG_SL_E_clIS9_SA_SB_SB_EEDaSZ_S10_SG_SL_EUlSZ_E_NS1_11comp_targetILNS1_3genE10ELNS1_11target_archE1201ELNS1_3gpuE5ELNS1_3repE0EEENS1_47radix_sort_onesweep_sort_config_static_selectorELNS0_4arch9wavefront6targetE0EEEvSG_.private_seg_size, 0
	.set _ZN7rocprim17ROCPRIM_400000_NS6detail17trampoline_kernelINS0_14default_configENS1_35radix_sort_onesweep_config_selectorIsNS0_10empty_typeEEEZZNS1_29radix_sort_onesweep_iterationIS3_Lb1EPKsPsPS5_SB_mNS0_19identity_decomposerENS1_16block_id_wrapperIjLb0EEEEE10hipError_tT1_PNSt15iterator_traitsISG_E10value_typeET2_T3_PNSH_ISM_E10value_typeET4_T5_PSR_SS_PNS1_23onesweep_lookback_stateEbbT6_jjT7_P12ihipStream_tbENKUlT_T0_SG_SL_E_clIS9_SA_SB_SB_EEDaSZ_S10_SG_SL_EUlSZ_E_NS1_11comp_targetILNS1_3genE10ELNS1_11target_archE1201ELNS1_3gpuE5ELNS1_3repE0EEENS1_47radix_sort_onesweep_sort_config_static_selectorELNS0_4arch9wavefront6targetE0EEEvSG_.uses_vcc, 0
	.set _ZN7rocprim17ROCPRIM_400000_NS6detail17trampoline_kernelINS0_14default_configENS1_35radix_sort_onesweep_config_selectorIsNS0_10empty_typeEEEZZNS1_29radix_sort_onesweep_iterationIS3_Lb1EPKsPsPS5_SB_mNS0_19identity_decomposerENS1_16block_id_wrapperIjLb0EEEEE10hipError_tT1_PNSt15iterator_traitsISG_E10value_typeET2_T3_PNSH_ISM_E10value_typeET4_T5_PSR_SS_PNS1_23onesweep_lookback_stateEbbT6_jjT7_P12ihipStream_tbENKUlT_T0_SG_SL_E_clIS9_SA_SB_SB_EEDaSZ_S10_SG_SL_EUlSZ_E_NS1_11comp_targetILNS1_3genE10ELNS1_11target_archE1201ELNS1_3gpuE5ELNS1_3repE0EEENS1_47radix_sort_onesweep_sort_config_static_selectorELNS0_4arch9wavefront6targetE0EEEvSG_.uses_flat_scratch, 0
	.set _ZN7rocprim17ROCPRIM_400000_NS6detail17trampoline_kernelINS0_14default_configENS1_35radix_sort_onesweep_config_selectorIsNS0_10empty_typeEEEZZNS1_29radix_sort_onesweep_iterationIS3_Lb1EPKsPsPS5_SB_mNS0_19identity_decomposerENS1_16block_id_wrapperIjLb0EEEEE10hipError_tT1_PNSt15iterator_traitsISG_E10value_typeET2_T3_PNSH_ISM_E10value_typeET4_T5_PSR_SS_PNS1_23onesweep_lookback_stateEbbT6_jjT7_P12ihipStream_tbENKUlT_T0_SG_SL_E_clIS9_SA_SB_SB_EEDaSZ_S10_SG_SL_EUlSZ_E_NS1_11comp_targetILNS1_3genE10ELNS1_11target_archE1201ELNS1_3gpuE5ELNS1_3repE0EEENS1_47radix_sort_onesweep_sort_config_static_selectorELNS0_4arch9wavefront6targetE0EEEvSG_.has_dyn_sized_stack, 0
	.set _ZN7rocprim17ROCPRIM_400000_NS6detail17trampoline_kernelINS0_14default_configENS1_35radix_sort_onesweep_config_selectorIsNS0_10empty_typeEEEZZNS1_29radix_sort_onesweep_iterationIS3_Lb1EPKsPsPS5_SB_mNS0_19identity_decomposerENS1_16block_id_wrapperIjLb0EEEEE10hipError_tT1_PNSt15iterator_traitsISG_E10value_typeET2_T3_PNSH_ISM_E10value_typeET4_T5_PSR_SS_PNS1_23onesweep_lookback_stateEbbT6_jjT7_P12ihipStream_tbENKUlT_T0_SG_SL_E_clIS9_SA_SB_SB_EEDaSZ_S10_SG_SL_EUlSZ_E_NS1_11comp_targetILNS1_3genE10ELNS1_11target_archE1201ELNS1_3gpuE5ELNS1_3repE0EEENS1_47radix_sort_onesweep_sort_config_static_selectorELNS0_4arch9wavefront6targetE0EEEvSG_.has_recursion, 0
	.set _ZN7rocprim17ROCPRIM_400000_NS6detail17trampoline_kernelINS0_14default_configENS1_35radix_sort_onesweep_config_selectorIsNS0_10empty_typeEEEZZNS1_29radix_sort_onesweep_iterationIS3_Lb1EPKsPsPS5_SB_mNS0_19identity_decomposerENS1_16block_id_wrapperIjLb0EEEEE10hipError_tT1_PNSt15iterator_traitsISG_E10value_typeET2_T3_PNSH_ISM_E10value_typeET4_T5_PSR_SS_PNS1_23onesweep_lookback_stateEbbT6_jjT7_P12ihipStream_tbENKUlT_T0_SG_SL_E_clIS9_SA_SB_SB_EEDaSZ_S10_SG_SL_EUlSZ_E_NS1_11comp_targetILNS1_3genE10ELNS1_11target_archE1201ELNS1_3gpuE5ELNS1_3repE0EEENS1_47radix_sort_onesweep_sort_config_static_selectorELNS0_4arch9wavefront6targetE0EEEvSG_.has_indirect_call, 0
	.section	.AMDGPU.csdata,"",@progbits
; Kernel info:
; codeLenInByte = 0
; TotalNumSgprs: 0
; NumVgprs: 0
; ScratchSize: 0
; MemoryBound: 0
; FloatMode: 240
; IeeeMode: 1
; LDSByteSize: 0 bytes/workgroup (compile time only)
; SGPRBlocks: 0
; VGPRBlocks: 0
; NumSGPRsForWavesPerEU: 1
; NumVGPRsForWavesPerEU: 1
; NamedBarCnt: 0
; Occupancy: 16
; WaveLimiterHint : 0
; COMPUTE_PGM_RSRC2:SCRATCH_EN: 0
; COMPUTE_PGM_RSRC2:USER_SGPR: 2
; COMPUTE_PGM_RSRC2:TRAP_HANDLER: 0
; COMPUTE_PGM_RSRC2:TGID_X_EN: 1
; COMPUTE_PGM_RSRC2:TGID_Y_EN: 0
; COMPUTE_PGM_RSRC2:TGID_Z_EN: 0
; COMPUTE_PGM_RSRC2:TIDIG_COMP_CNT: 0
	.section	.text._ZN7rocprim17ROCPRIM_400000_NS6detail17trampoline_kernelINS0_14default_configENS1_35radix_sort_onesweep_config_selectorIsNS0_10empty_typeEEEZZNS1_29radix_sort_onesweep_iterationIS3_Lb1EPKsPsPS5_SB_mNS0_19identity_decomposerENS1_16block_id_wrapperIjLb0EEEEE10hipError_tT1_PNSt15iterator_traitsISG_E10value_typeET2_T3_PNSH_ISM_E10value_typeET4_T5_PSR_SS_PNS1_23onesweep_lookback_stateEbbT6_jjT7_P12ihipStream_tbENKUlT_T0_SG_SL_E_clIS9_SA_SB_SB_EEDaSZ_S10_SG_SL_EUlSZ_E_NS1_11comp_targetILNS1_3genE9ELNS1_11target_archE1100ELNS1_3gpuE3ELNS1_3repE0EEENS1_47radix_sort_onesweep_sort_config_static_selectorELNS0_4arch9wavefront6targetE0EEEvSG_,"axG",@progbits,_ZN7rocprim17ROCPRIM_400000_NS6detail17trampoline_kernelINS0_14default_configENS1_35radix_sort_onesweep_config_selectorIsNS0_10empty_typeEEEZZNS1_29radix_sort_onesweep_iterationIS3_Lb1EPKsPsPS5_SB_mNS0_19identity_decomposerENS1_16block_id_wrapperIjLb0EEEEE10hipError_tT1_PNSt15iterator_traitsISG_E10value_typeET2_T3_PNSH_ISM_E10value_typeET4_T5_PSR_SS_PNS1_23onesweep_lookback_stateEbbT6_jjT7_P12ihipStream_tbENKUlT_T0_SG_SL_E_clIS9_SA_SB_SB_EEDaSZ_S10_SG_SL_EUlSZ_E_NS1_11comp_targetILNS1_3genE9ELNS1_11target_archE1100ELNS1_3gpuE3ELNS1_3repE0EEENS1_47radix_sort_onesweep_sort_config_static_selectorELNS0_4arch9wavefront6targetE0EEEvSG_,comdat
	.protected	_ZN7rocprim17ROCPRIM_400000_NS6detail17trampoline_kernelINS0_14default_configENS1_35radix_sort_onesweep_config_selectorIsNS0_10empty_typeEEEZZNS1_29radix_sort_onesweep_iterationIS3_Lb1EPKsPsPS5_SB_mNS0_19identity_decomposerENS1_16block_id_wrapperIjLb0EEEEE10hipError_tT1_PNSt15iterator_traitsISG_E10value_typeET2_T3_PNSH_ISM_E10value_typeET4_T5_PSR_SS_PNS1_23onesweep_lookback_stateEbbT6_jjT7_P12ihipStream_tbENKUlT_T0_SG_SL_E_clIS9_SA_SB_SB_EEDaSZ_S10_SG_SL_EUlSZ_E_NS1_11comp_targetILNS1_3genE9ELNS1_11target_archE1100ELNS1_3gpuE3ELNS1_3repE0EEENS1_47radix_sort_onesweep_sort_config_static_selectorELNS0_4arch9wavefront6targetE0EEEvSG_ ; -- Begin function _ZN7rocprim17ROCPRIM_400000_NS6detail17trampoline_kernelINS0_14default_configENS1_35radix_sort_onesweep_config_selectorIsNS0_10empty_typeEEEZZNS1_29radix_sort_onesweep_iterationIS3_Lb1EPKsPsPS5_SB_mNS0_19identity_decomposerENS1_16block_id_wrapperIjLb0EEEEE10hipError_tT1_PNSt15iterator_traitsISG_E10value_typeET2_T3_PNSH_ISM_E10value_typeET4_T5_PSR_SS_PNS1_23onesweep_lookback_stateEbbT6_jjT7_P12ihipStream_tbENKUlT_T0_SG_SL_E_clIS9_SA_SB_SB_EEDaSZ_S10_SG_SL_EUlSZ_E_NS1_11comp_targetILNS1_3genE9ELNS1_11target_archE1100ELNS1_3gpuE3ELNS1_3repE0EEENS1_47radix_sort_onesweep_sort_config_static_selectorELNS0_4arch9wavefront6targetE0EEEvSG_
	.globl	_ZN7rocprim17ROCPRIM_400000_NS6detail17trampoline_kernelINS0_14default_configENS1_35radix_sort_onesweep_config_selectorIsNS0_10empty_typeEEEZZNS1_29radix_sort_onesweep_iterationIS3_Lb1EPKsPsPS5_SB_mNS0_19identity_decomposerENS1_16block_id_wrapperIjLb0EEEEE10hipError_tT1_PNSt15iterator_traitsISG_E10value_typeET2_T3_PNSH_ISM_E10value_typeET4_T5_PSR_SS_PNS1_23onesweep_lookback_stateEbbT6_jjT7_P12ihipStream_tbENKUlT_T0_SG_SL_E_clIS9_SA_SB_SB_EEDaSZ_S10_SG_SL_EUlSZ_E_NS1_11comp_targetILNS1_3genE9ELNS1_11target_archE1100ELNS1_3gpuE3ELNS1_3repE0EEENS1_47radix_sort_onesweep_sort_config_static_selectorELNS0_4arch9wavefront6targetE0EEEvSG_
	.p2align	8
	.type	_ZN7rocprim17ROCPRIM_400000_NS6detail17trampoline_kernelINS0_14default_configENS1_35radix_sort_onesweep_config_selectorIsNS0_10empty_typeEEEZZNS1_29radix_sort_onesweep_iterationIS3_Lb1EPKsPsPS5_SB_mNS0_19identity_decomposerENS1_16block_id_wrapperIjLb0EEEEE10hipError_tT1_PNSt15iterator_traitsISG_E10value_typeET2_T3_PNSH_ISM_E10value_typeET4_T5_PSR_SS_PNS1_23onesweep_lookback_stateEbbT6_jjT7_P12ihipStream_tbENKUlT_T0_SG_SL_E_clIS9_SA_SB_SB_EEDaSZ_S10_SG_SL_EUlSZ_E_NS1_11comp_targetILNS1_3genE9ELNS1_11target_archE1100ELNS1_3gpuE3ELNS1_3repE0EEENS1_47radix_sort_onesweep_sort_config_static_selectorELNS0_4arch9wavefront6targetE0EEEvSG_,@function
_ZN7rocprim17ROCPRIM_400000_NS6detail17trampoline_kernelINS0_14default_configENS1_35radix_sort_onesweep_config_selectorIsNS0_10empty_typeEEEZZNS1_29radix_sort_onesweep_iterationIS3_Lb1EPKsPsPS5_SB_mNS0_19identity_decomposerENS1_16block_id_wrapperIjLb0EEEEE10hipError_tT1_PNSt15iterator_traitsISG_E10value_typeET2_T3_PNSH_ISM_E10value_typeET4_T5_PSR_SS_PNS1_23onesweep_lookback_stateEbbT6_jjT7_P12ihipStream_tbENKUlT_T0_SG_SL_E_clIS9_SA_SB_SB_EEDaSZ_S10_SG_SL_EUlSZ_E_NS1_11comp_targetILNS1_3genE9ELNS1_11target_archE1100ELNS1_3gpuE3ELNS1_3repE0EEENS1_47radix_sort_onesweep_sort_config_static_selectorELNS0_4arch9wavefront6targetE0EEEvSG_: ; @_ZN7rocprim17ROCPRIM_400000_NS6detail17trampoline_kernelINS0_14default_configENS1_35radix_sort_onesweep_config_selectorIsNS0_10empty_typeEEEZZNS1_29radix_sort_onesweep_iterationIS3_Lb1EPKsPsPS5_SB_mNS0_19identity_decomposerENS1_16block_id_wrapperIjLb0EEEEE10hipError_tT1_PNSt15iterator_traitsISG_E10value_typeET2_T3_PNSH_ISM_E10value_typeET4_T5_PSR_SS_PNS1_23onesweep_lookback_stateEbbT6_jjT7_P12ihipStream_tbENKUlT_T0_SG_SL_E_clIS9_SA_SB_SB_EEDaSZ_S10_SG_SL_EUlSZ_E_NS1_11comp_targetILNS1_3genE9ELNS1_11target_archE1100ELNS1_3gpuE3ELNS1_3repE0EEENS1_47radix_sort_onesweep_sort_config_static_selectorELNS0_4arch9wavefront6targetE0EEEvSG_
; %bb.0:
	.section	.rodata,"a",@progbits
	.p2align	6, 0x0
	.amdhsa_kernel _ZN7rocprim17ROCPRIM_400000_NS6detail17trampoline_kernelINS0_14default_configENS1_35radix_sort_onesweep_config_selectorIsNS0_10empty_typeEEEZZNS1_29radix_sort_onesweep_iterationIS3_Lb1EPKsPsPS5_SB_mNS0_19identity_decomposerENS1_16block_id_wrapperIjLb0EEEEE10hipError_tT1_PNSt15iterator_traitsISG_E10value_typeET2_T3_PNSH_ISM_E10value_typeET4_T5_PSR_SS_PNS1_23onesweep_lookback_stateEbbT6_jjT7_P12ihipStream_tbENKUlT_T0_SG_SL_E_clIS9_SA_SB_SB_EEDaSZ_S10_SG_SL_EUlSZ_E_NS1_11comp_targetILNS1_3genE9ELNS1_11target_archE1100ELNS1_3gpuE3ELNS1_3repE0EEENS1_47radix_sort_onesweep_sort_config_static_selectorELNS0_4arch9wavefront6targetE0EEEvSG_
		.amdhsa_group_segment_fixed_size 0
		.amdhsa_private_segment_fixed_size 0
		.amdhsa_kernarg_size 88
		.amdhsa_user_sgpr_count 2
		.amdhsa_user_sgpr_dispatch_ptr 0
		.amdhsa_user_sgpr_queue_ptr 0
		.amdhsa_user_sgpr_kernarg_segment_ptr 1
		.amdhsa_user_sgpr_dispatch_id 0
		.amdhsa_user_sgpr_kernarg_preload_length 0
		.amdhsa_user_sgpr_kernarg_preload_offset 0
		.amdhsa_user_sgpr_private_segment_size 0
		.amdhsa_wavefront_size32 1
		.amdhsa_uses_dynamic_stack 0
		.amdhsa_enable_private_segment 0
		.amdhsa_system_sgpr_workgroup_id_x 1
		.amdhsa_system_sgpr_workgroup_id_y 0
		.amdhsa_system_sgpr_workgroup_id_z 0
		.amdhsa_system_sgpr_workgroup_info 0
		.amdhsa_system_vgpr_workitem_id 0
		.amdhsa_next_free_vgpr 1
		.amdhsa_next_free_sgpr 1
		.amdhsa_named_barrier_count 0
		.amdhsa_reserve_vcc 0
		.amdhsa_float_round_mode_32 0
		.amdhsa_float_round_mode_16_64 0
		.amdhsa_float_denorm_mode_32 3
		.amdhsa_float_denorm_mode_16_64 3
		.amdhsa_fp16_overflow 0
		.amdhsa_memory_ordered 1
		.amdhsa_forward_progress 1
		.amdhsa_inst_pref_size 0
		.amdhsa_round_robin_scheduling 0
		.amdhsa_exception_fp_ieee_invalid_op 0
		.amdhsa_exception_fp_denorm_src 0
		.amdhsa_exception_fp_ieee_div_zero 0
		.amdhsa_exception_fp_ieee_overflow 0
		.amdhsa_exception_fp_ieee_underflow 0
		.amdhsa_exception_fp_ieee_inexact 0
		.amdhsa_exception_int_div_zero 0
	.end_amdhsa_kernel
	.section	.text._ZN7rocprim17ROCPRIM_400000_NS6detail17trampoline_kernelINS0_14default_configENS1_35radix_sort_onesweep_config_selectorIsNS0_10empty_typeEEEZZNS1_29radix_sort_onesweep_iterationIS3_Lb1EPKsPsPS5_SB_mNS0_19identity_decomposerENS1_16block_id_wrapperIjLb0EEEEE10hipError_tT1_PNSt15iterator_traitsISG_E10value_typeET2_T3_PNSH_ISM_E10value_typeET4_T5_PSR_SS_PNS1_23onesweep_lookback_stateEbbT6_jjT7_P12ihipStream_tbENKUlT_T0_SG_SL_E_clIS9_SA_SB_SB_EEDaSZ_S10_SG_SL_EUlSZ_E_NS1_11comp_targetILNS1_3genE9ELNS1_11target_archE1100ELNS1_3gpuE3ELNS1_3repE0EEENS1_47radix_sort_onesweep_sort_config_static_selectorELNS0_4arch9wavefront6targetE0EEEvSG_,"axG",@progbits,_ZN7rocprim17ROCPRIM_400000_NS6detail17trampoline_kernelINS0_14default_configENS1_35radix_sort_onesweep_config_selectorIsNS0_10empty_typeEEEZZNS1_29radix_sort_onesweep_iterationIS3_Lb1EPKsPsPS5_SB_mNS0_19identity_decomposerENS1_16block_id_wrapperIjLb0EEEEE10hipError_tT1_PNSt15iterator_traitsISG_E10value_typeET2_T3_PNSH_ISM_E10value_typeET4_T5_PSR_SS_PNS1_23onesweep_lookback_stateEbbT6_jjT7_P12ihipStream_tbENKUlT_T0_SG_SL_E_clIS9_SA_SB_SB_EEDaSZ_S10_SG_SL_EUlSZ_E_NS1_11comp_targetILNS1_3genE9ELNS1_11target_archE1100ELNS1_3gpuE3ELNS1_3repE0EEENS1_47radix_sort_onesweep_sort_config_static_selectorELNS0_4arch9wavefront6targetE0EEEvSG_,comdat
.Lfunc_end627:
	.size	_ZN7rocprim17ROCPRIM_400000_NS6detail17trampoline_kernelINS0_14default_configENS1_35radix_sort_onesweep_config_selectorIsNS0_10empty_typeEEEZZNS1_29radix_sort_onesweep_iterationIS3_Lb1EPKsPsPS5_SB_mNS0_19identity_decomposerENS1_16block_id_wrapperIjLb0EEEEE10hipError_tT1_PNSt15iterator_traitsISG_E10value_typeET2_T3_PNSH_ISM_E10value_typeET4_T5_PSR_SS_PNS1_23onesweep_lookback_stateEbbT6_jjT7_P12ihipStream_tbENKUlT_T0_SG_SL_E_clIS9_SA_SB_SB_EEDaSZ_S10_SG_SL_EUlSZ_E_NS1_11comp_targetILNS1_3genE9ELNS1_11target_archE1100ELNS1_3gpuE3ELNS1_3repE0EEENS1_47radix_sort_onesweep_sort_config_static_selectorELNS0_4arch9wavefront6targetE0EEEvSG_, .Lfunc_end627-_ZN7rocprim17ROCPRIM_400000_NS6detail17trampoline_kernelINS0_14default_configENS1_35radix_sort_onesweep_config_selectorIsNS0_10empty_typeEEEZZNS1_29radix_sort_onesweep_iterationIS3_Lb1EPKsPsPS5_SB_mNS0_19identity_decomposerENS1_16block_id_wrapperIjLb0EEEEE10hipError_tT1_PNSt15iterator_traitsISG_E10value_typeET2_T3_PNSH_ISM_E10value_typeET4_T5_PSR_SS_PNS1_23onesweep_lookback_stateEbbT6_jjT7_P12ihipStream_tbENKUlT_T0_SG_SL_E_clIS9_SA_SB_SB_EEDaSZ_S10_SG_SL_EUlSZ_E_NS1_11comp_targetILNS1_3genE9ELNS1_11target_archE1100ELNS1_3gpuE3ELNS1_3repE0EEENS1_47radix_sort_onesweep_sort_config_static_selectorELNS0_4arch9wavefront6targetE0EEEvSG_
                                        ; -- End function
	.set _ZN7rocprim17ROCPRIM_400000_NS6detail17trampoline_kernelINS0_14default_configENS1_35radix_sort_onesweep_config_selectorIsNS0_10empty_typeEEEZZNS1_29radix_sort_onesweep_iterationIS3_Lb1EPKsPsPS5_SB_mNS0_19identity_decomposerENS1_16block_id_wrapperIjLb0EEEEE10hipError_tT1_PNSt15iterator_traitsISG_E10value_typeET2_T3_PNSH_ISM_E10value_typeET4_T5_PSR_SS_PNS1_23onesweep_lookback_stateEbbT6_jjT7_P12ihipStream_tbENKUlT_T0_SG_SL_E_clIS9_SA_SB_SB_EEDaSZ_S10_SG_SL_EUlSZ_E_NS1_11comp_targetILNS1_3genE9ELNS1_11target_archE1100ELNS1_3gpuE3ELNS1_3repE0EEENS1_47radix_sort_onesweep_sort_config_static_selectorELNS0_4arch9wavefront6targetE0EEEvSG_.num_vgpr, 0
	.set _ZN7rocprim17ROCPRIM_400000_NS6detail17trampoline_kernelINS0_14default_configENS1_35radix_sort_onesweep_config_selectorIsNS0_10empty_typeEEEZZNS1_29radix_sort_onesweep_iterationIS3_Lb1EPKsPsPS5_SB_mNS0_19identity_decomposerENS1_16block_id_wrapperIjLb0EEEEE10hipError_tT1_PNSt15iterator_traitsISG_E10value_typeET2_T3_PNSH_ISM_E10value_typeET4_T5_PSR_SS_PNS1_23onesweep_lookback_stateEbbT6_jjT7_P12ihipStream_tbENKUlT_T0_SG_SL_E_clIS9_SA_SB_SB_EEDaSZ_S10_SG_SL_EUlSZ_E_NS1_11comp_targetILNS1_3genE9ELNS1_11target_archE1100ELNS1_3gpuE3ELNS1_3repE0EEENS1_47radix_sort_onesweep_sort_config_static_selectorELNS0_4arch9wavefront6targetE0EEEvSG_.num_agpr, 0
	.set _ZN7rocprim17ROCPRIM_400000_NS6detail17trampoline_kernelINS0_14default_configENS1_35radix_sort_onesweep_config_selectorIsNS0_10empty_typeEEEZZNS1_29radix_sort_onesweep_iterationIS3_Lb1EPKsPsPS5_SB_mNS0_19identity_decomposerENS1_16block_id_wrapperIjLb0EEEEE10hipError_tT1_PNSt15iterator_traitsISG_E10value_typeET2_T3_PNSH_ISM_E10value_typeET4_T5_PSR_SS_PNS1_23onesweep_lookback_stateEbbT6_jjT7_P12ihipStream_tbENKUlT_T0_SG_SL_E_clIS9_SA_SB_SB_EEDaSZ_S10_SG_SL_EUlSZ_E_NS1_11comp_targetILNS1_3genE9ELNS1_11target_archE1100ELNS1_3gpuE3ELNS1_3repE0EEENS1_47radix_sort_onesweep_sort_config_static_selectorELNS0_4arch9wavefront6targetE0EEEvSG_.numbered_sgpr, 0
	.set _ZN7rocprim17ROCPRIM_400000_NS6detail17trampoline_kernelINS0_14default_configENS1_35radix_sort_onesweep_config_selectorIsNS0_10empty_typeEEEZZNS1_29radix_sort_onesweep_iterationIS3_Lb1EPKsPsPS5_SB_mNS0_19identity_decomposerENS1_16block_id_wrapperIjLb0EEEEE10hipError_tT1_PNSt15iterator_traitsISG_E10value_typeET2_T3_PNSH_ISM_E10value_typeET4_T5_PSR_SS_PNS1_23onesweep_lookback_stateEbbT6_jjT7_P12ihipStream_tbENKUlT_T0_SG_SL_E_clIS9_SA_SB_SB_EEDaSZ_S10_SG_SL_EUlSZ_E_NS1_11comp_targetILNS1_3genE9ELNS1_11target_archE1100ELNS1_3gpuE3ELNS1_3repE0EEENS1_47radix_sort_onesweep_sort_config_static_selectorELNS0_4arch9wavefront6targetE0EEEvSG_.num_named_barrier, 0
	.set _ZN7rocprim17ROCPRIM_400000_NS6detail17trampoline_kernelINS0_14default_configENS1_35radix_sort_onesweep_config_selectorIsNS0_10empty_typeEEEZZNS1_29radix_sort_onesweep_iterationIS3_Lb1EPKsPsPS5_SB_mNS0_19identity_decomposerENS1_16block_id_wrapperIjLb0EEEEE10hipError_tT1_PNSt15iterator_traitsISG_E10value_typeET2_T3_PNSH_ISM_E10value_typeET4_T5_PSR_SS_PNS1_23onesweep_lookback_stateEbbT6_jjT7_P12ihipStream_tbENKUlT_T0_SG_SL_E_clIS9_SA_SB_SB_EEDaSZ_S10_SG_SL_EUlSZ_E_NS1_11comp_targetILNS1_3genE9ELNS1_11target_archE1100ELNS1_3gpuE3ELNS1_3repE0EEENS1_47radix_sort_onesweep_sort_config_static_selectorELNS0_4arch9wavefront6targetE0EEEvSG_.private_seg_size, 0
	.set _ZN7rocprim17ROCPRIM_400000_NS6detail17trampoline_kernelINS0_14default_configENS1_35radix_sort_onesweep_config_selectorIsNS0_10empty_typeEEEZZNS1_29radix_sort_onesweep_iterationIS3_Lb1EPKsPsPS5_SB_mNS0_19identity_decomposerENS1_16block_id_wrapperIjLb0EEEEE10hipError_tT1_PNSt15iterator_traitsISG_E10value_typeET2_T3_PNSH_ISM_E10value_typeET4_T5_PSR_SS_PNS1_23onesweep_lookback_stateEbbT6_jjT7_P12ihipStream_tbENKUlT_T0_SG_SL_E_clIS9_SA_SB_SB_EEDaSZ_S10_SG_SL_EUlSZ_E_NS1_11comp_targetILNS1_3genE9ELNS1_11target_archE1100ELNS1_3gpuE3ELNS1_3repE0EEENS1_47radix_sort_onesweep_sort_config_static_selectorELNS0_4arch9wavefront6targetE0EEEvSG_.uses_vcc, 0
	.set _ZN7rocprim17ROCPRIM_400000_NS6detail17trampoline_kernelINS0_14default_configENS1_35radix_sort_onesweep_config_selectorIsNS0_10empty_typeEEEZZNS1_29radix_sort_onesweep_iterationIS3_Lb1EPKsPsPS5_SB_mNS0_19identity_decomposerENS1_16block_id_wrapperIjLb0EEEEE10hipError_tT1_PNSt15iterator_traitsISG_E10value_typeET2_T3_PNSH_ISM_E10value_typeET4_T5_PSR_SS_PNS1_23onesweep_lookback_stateEbbT6_jjT7_P12ihipStream_tbENKUlT_T0_SG_SL_E_clIS9_SA_SB_SB_EEDaSZ_S10_SG_SL_EUlSZ_E_NS1_11comp_targetILNS1_3genE9ELNS1_11target_archE1100ELNS1_3gpuE3ELNS1_3repE0EEENS1_47radix_sort_onesweep_sort_config_static_selectorELNS0_4arch9wavefront6targetE0EEEvSG_.uses_flat_scratch, 0
	.set _ZN7rocprim17ROCPRIM_400000_NS6detail17trampoline_kernelINS0_14default_configENS1_35radix_sort_onesweep_config_selectorIsNS0_10empty_typeEEEZZNS1_29radix_sort_onesweep_iterationIS3_Lb1EPKsPsPS5_SB_mNS0_19identity_decomposerENS1_16block_id_wrapperIjLb0EEEEE10hipError_tT1_PNSt15iterator_traitsISG_E10value_typeET2_T3_PNSH_ISM_E10value_typeET4_T5_PSR_SS_PNS1_23onesweep_lookback_stateEbbT6_jjT7_P12ihipStream_tbENKUlT_T0_SG_SL_E_clIS9_SA_SB_SB_EEDaSZ_S10_SG_SL_EUlSZ_E_NS1_11comp_targetILNS1_3genE9ELNS1_11target_archE1100ELNS1_3gpuE3ELNS1_3repE0EEENS1_47radix_sort_onesweep_sort_config_static_selectorELNS0_4arch9wavefront6targetE0EEEvSG_.has_dyn_sized_stack, 0
	.set _ZN7rocprim17ROCPRIM_400000_NS6detail17trampoline_kernelINS0_14default_configENS1_35radix_sort_onesweep_config_selectorIsNS0_10empty_typeEEEZZNS1_29radix_sort_onesweep_iterationIS3_Lb1EPKsPsPS5_SB_mNS0_19identity_decomposerENS1_16block_id_wrapperIjLb0EEEEE10hipError_tT1_PNSt15iterator_traitsISG_E10value_typeET2_T3_PNSH_ISM_E10value_typeET4_T5_PSR_SS_PNS1_23onesweep_lookback_stateEbbT6_jjT7_P12ihipStream_tbENKUlT_T0_SG_SL_E_clIS9_SA_SB_SB_EEDaSZ_S10_SG_SL_EUlSZ_E_NS1_11comp_targetILNS1_3genE9ELNS1_11target_archE1100ELNS1_3gpuE3ELNS1_3repE0EEENS1_47radix_sort_onesweep_sort_config_static_selectorELNS0_4arch9wavefront6targetE0EEEvSG_.has_recursion, 0
	.set _ZN7rocprim17ROCPRIM_400000_NS6detail17trampoline_kernelINS0_14default_configENS1_35radix_sort_onesweep_config_selectorIsNS0_10empty_typeEEEZZNS1_29radix_sort_onesweep_iterationIS3_Lb1EPKsPsPS5_SB_mNS0_19identity_decomposerENS1_16block_id_wrapperIjLb0EEEEE10hipError_tT1_PNSt15iterator_traitsISG_E10value_typeET2_T3_PNSH_ISM_E10value_typeET4_T5_PSR_SS_PNS1_23onesweep_lookback_stateEbbT6_jjT7_P12ihipStream_tbENKUlT_T0_SG_SL_E_clIS9_SA_SB_SB_EEDaSZ_S10_SG_SL_EUlSZ_E_NS1_11comp_targetILNS1_3genE9ELNS1_11target_archE1100ELNS1_3gpuE3ELNS1_3repE0EEENS1_47radix_sort_onesweep_sort_config_static_selectorELNS0_4arch9wavefront6targetE0EEEvSG_.has_indirect_call, 0
	.section	.AMDGPU.csdata,"",@progbits
; Kernel info:
; codeLenInByte = 0
; TotalNumSgprs: 0
; NumVgprs: 0
; ScratchSize: 0
; MemoryBound: 0
; FloatMode: 240
; IeeeMode: 1
; LDSByteSize: 0 bytes/workgroup (compile time only)
; SGPRBlocks: 0
; VGPRBlocks: 0
; NumSGPRsForWavesPerEU: 1
; NumVGPRsForWavesPerEU: 1
; NamedBarCnt: 0
; Occupancy: 16
; WaveLimiterHint : 0
; COMPUTE_PGM_RSRC2:SCRATCH_EN: 0
; COMPUTE_PGM_RSRC2:USER_SGPR: 2
; COMPUTE_PGM_RSRC2:TRAP_HANDLER: 0
; COMPUTE_PGM_RSRC2:TGID_X_EN: 1
; COMPUTE_PGM_RSRC2:TGID_Y_EN: 0
; COMPUTE_PGM_RSRC2:TGID_Z_EN: 0
; COMPUTE_PGM_RSRC2:TIDIG_COMP_CNT: 0
	.section	.text._ZN7rocprim17ROCPRIM_400000_NS6detail17trampoline_kernelINS0_14default_configENS1_35radix_sort_onesweep_config_selectorIsNS0_10empty_typeEEEZZNS1_29radix_sort_onesweep_iterationIS3_Lb1EPKsPsPS5_SB_mNS0_19identity_decomposerENS1_16block_id_wrapperIjLb0EEEEE10hipError_tT1_PNSt15iterator_traitsISG_E10value_typeET2_T3_PNSH_ISM_E10value_typeET4_T5_PSR_SS_PNS1_23onesweep_lookback_stateEbbT6_jjT7_P12ihipStream_tbENKUlT_T0_SG_SL_E_clIS9_SA_SB_SB_EEDaSZ_S10_SG_SL_EUlSZ_E_NS1_11comp_targetILNS1_3genE8ELNS1_11target_archE1030ELNS1_3gpuE2ELNS1_3repE0EEENS1_47radix_sort_onesweep_sort_config_static_selectorELNS0_4arch9wavefront6targetE0EEEvSG_,"axG",@progbits,_ZN7rocprim17ROCPRIM_400000_NS6detail17trampoline_kernelINS0_14default_configENS1_35radix_sort_onesweep_config_selectorIsNS0_10empty_typeEEEZZNS1_29radix_sort_onesweep_iterationIS3_Lb1EPKsPsPS5_SB_mNS0_19identity_decomposerENS1_16block_id_wrapperIjLb0EEEEE10hipError_tT1_PNSt15iterator_traitsISG_E10value_typeET2_T3_PNSH_ISM_E10value_typeET4_T5_PSR_SS_PNS1_23onesweep_lookback_stateEbbT6_jjT7_P12ihipStream_tbENKUlT_T0_SG_SL_E_clIS9_SA_SB_SB_EEDaSZ_S10_SG_SL_EUlSZ_E_NS1_11comp_targetILNS1_3genE8ELNS1_11target_archE1030ELNS1_3gpuE2ELNS1_3repE0EEENS1_47radix_sort_onesweep_sort_config_static_selectorELNS0_4arch9wavefront6targetE0EEEvSG_,comdat
	.protected	_ZN7rocprim17ROCPRIM_400000_NS6detail17trampoline_kernelINS0_14default_configENS1_35radix_sort_onesweep_config_selectorIsNS0_10empty_typeEEEZZNS1_29radix_sort_onesweep_iterationIS3_Lb1EPKsPsPS5_SB_mNS0_19identity_decomposerENS1_16block_id_wrapperIjLb0EEEEE10hipError_tT1_PNSt15iterator_traitsISG_E10value_typeET2_T3_PNSH_ISM_E10value_typeET4_T5_PSR_SS_PNS1_23onesweep_lookback_stateEbbT6_jjT7_P12ihipStream_tbENKUlT_T0_SG_SL_E_clIS9_SA_SB_SB_EEDaSZ_S10_SG_SL_EUlSZ_E_NS1_11comp_targetILNS1_3genE8ELNS1_11target_archE1030ELNS1_3gpuE2ELNS1_3repE0EEENS1_47radix_sort_onesweep_sort_config_static_selectorELNS0_4arch9wavefront6targetE0EEEvSG_ ; -- Begin function _ZN7rocprim17ROCPRIM_400000_NS6detail17trampoline_kernelINS0_14default_configENS1_35radix_sort_onesweep_config_selectorIsNS0_10empty_typeEEEZZNS1_29radix_sort_onesweep_iterationIS3_Lb1EPKsPsPS5_SB_mNS0_19identity_decomposerENS1_16block_id_wrapperIjLb0EEEEE10hipError_tT1_PNSt15iterator_traitsISG_E10value_typeET2_T3_PNSH_ISM_E10value_typeET4_T5_PSR_SS_PNS1_23onesweep_lookback_stateEbbT6_jjT7_P12ihipStream_tbENKUlT_T0_SG_SL_E_clIS9_SA_SB_SB_EEDaSZ_S10_SG_SL_EUlSZ_E_NS1_11comp_targetILNS1_3genE8ELNS1_11target_archE1030ELNS1_3gpuE2ELNS1_3repE0EEENS1_47radix_sort_onesweep_sort_config_static_selectorELNS0_4arch9wavefront6targetE0EEEvSG_
	.globl	_ZN7rocprim17ROCPRIM_400000_NS6detail17trampoline_kernelINS0_14default_configENS1_35radix_sort_onesweep_config_selectorIsNS0_10empty_typeEEEZZNS1_29radix_sort_onesweep_iterationIS3_Lb1EPKsPsPS5_SB_mNS0_19identity_decomposerENS1_16block_id_wrapperIjLb0EEEEE10hipError_tT1_PNSt15iterator_traitsISG_E10value_typeET2_T3_PNSH_ISM_E10value_typeET4_T5_PSR_SS_PNS1_23onesweep_lookback_stateEbbT6_jjT7_P12ihipStream_tbENKUlT_T0_SG_SL_E_clIS9_SA_SB_SB_EEDaSZ_S10_SG_SL_EUlSZ_E_NS1_11comp_targetILNS1_3genE8ELNS1_11target_archE1030ELNS1_3gpuE2ELNS1_3repE0EEENS1_47radix_sort_onesweep_sort_config_static_selectorELNS0_4arch9wavefront6targetE0EEEvSG_
	.p2align	8
	.type	_ZN7rocprim17ROCPRIM_400000_NS6detail17trampoline_kernelINS0_14default_configENS1_35radix_sort_onesweep_config_selectorIsNS0_10empty_typeEEEZZNS1_29radix_sort_onesweep_iterationIS3_Lb1EPKsPsPS5_SB_mNS0_19identity_decomposerENS1_16block_id_wrapperIjLb0EEEEE10hipError_tT1_PNSt15iterator_traitsISG_E10value_typeET2_T3_PNSH_ISM_E10value_typeET4_T5_PSR_SS_PNS1_23onesweep_lookback_stateEbbT6_jjT7_P12ihipStream_tbENKUlT_T0_SG_SL_E_clIS9_SA_SB_SB_EEDaSZ_S10_SG_SL_EUlSZ_E_NS1_11comp_targetILNS1_3genE8ELNS1_11target_archE1030ELNS1_3gpuE2ELNS1_3repE0EEENS1_47radix_sort_onesweep_sort_config_static_selectorELNS0_4arch9wavefront6targetE0EEEvSG_,@function
_ZN7rocprim17ROCPRIM_400000_NS6detail17trampoline_kernelINS0_14default_configENS1_35radix_sort_onesweep_config_selectorIsNS0_10empty_typeEEEZZNS1_29radix_sort_onesweep_iterationIS3_Lb1EPKsPsPS5_SB_mNS0_19identity_decomposerENS1_16block_id_wrapperIjLb0EEEEE10hipError_tT1_PNSt15iterator_traitsISG_E10value_typeET2_T3_PNSH_ISM_E10value_typeET4_T5_PSR_SS_PNS1_23onesweep_lookback_stateEbbT6_jjT7_P12ihipStream_tbENKUlT_T0_SG_SL_E_clIS9_SA_SB_SB_EEDaSZ_S10_SG_SL_EUlSZ_E_NS1_11comp_targetILNS1_3genE8ELNS1_11target_archE1030ELNS1_3gpuE2ELNS1_3repE0EEENS1_47radix_sort_onesweep_sort_config_static_selectorELNS0_4arch9wavefront6targetE0EEEvSG_: ; @_ZN7rocprim17ROCPRIM_400000_NS6detail17trampoline_kernelINS0_14default_configENS1_35radix_sort_onesweep_config_selectorIsNS0_10empty_typeEEEZZNS1_29radix_sort_onesweep_iterationIS3_Lb1EPKsPsPS5_SB_mNS0_19identity_decomposerENS1_16block_id_wrapperIjLb0EEEEE10hipError_tT1_PNSt15iterator_traitsISG_E10value_typeET2_T3_PNSH_ISM_E10value_typeET4_T5_PSR_SS_PNS1_23onesweep_lookback_stateEbbT6_jjT7_P12ihipStream_tbENKUlT_T0_SG_SL_E_clIS9_SA_SB_SB_EEDaSZ_S10_SG_SL_EUlSZ_E_NS1_11comp_targetILNS1_3genE8ELNS1_11target_archE1030ELNS1_3gpuE2ELNS1_3repE0EEENS1_47radix_sort_onesweep_sort_config_static_selectorELNS0_4arch9wavefront6targetE0EEEvSG_
; %bb.0:
	.section	.rodata,"a",@progbits
	.p2align	6, 0x0
	.amdhsa_kernel _ZN7rocprim17ROCPRIM_400000_NS6detail17trampoline_kernelINS0_14default_configENS1_35radix_sort_onesweep_config_selectorIsNS0_10empty_typeEEEZZNS1_29radix_sort_onesweep_iterationIS3_Lb1EPKsPsPS5_SB_mNS0_19identity_decomposerENS1_16block_id_wrapperIjLb0EEEEE10hipError_tT1_PNSt15iterator_traitsISG_E10value_typeET2_T3_PNSH_ISM_E10value_typeET4_T5_PSR_SS_PNS1_23onesweep_lookback_stateEbbT6_jjT7_P12ihipStream_tbENKUlT_T0_SG_SL_E_clIS9_SA_SB_SB_EEDaSZ_S10_SG_SL_EUlSZ_E_NS1_11comp_targetILNS1_3genE8ELNS1_11target_archE1030ELNS1_3gpuE2ELNS1_3repE0EEENS1_47radix_sort_onesweep_sort_config_static_selectorELNS0_4arch9wavefront6targetE0EEEvSG_
		.amdhsa_group_segment_fixed_size 0
		.amdhsa_private_segment_fixed_size 0
		.amdhsa_kernarg_size 88
		.amdhsa_user_sgpr_count 2
		.amdhsa_user_sgpr_dispatch_ptr 0
		.amdhsa_user_sgpr_queue_ptr 0
		.amdhsa_user_sgpr_kernarg_segment_ptr 1
		.amdhsa_user_sgpr_dispatch_id 0
		.amdhsa_user_sgpr_kernarg_preload_length 0
		.amdhsa_user_sgpr_kernarg_preload_offset 0
		.amdhsa_user_sgpr_private_segment_size 0
		.amdhsa_wavefront_size32 1
		.amdhsa_uses_dynamic_stack 0
		.amdhsa_enable_private_segment 0
		.amdhsa_system_sgpr_workgroup_id_x 1
		.amdhsa_system_sgpr_workgroup_id_y 0
		.amdhsa_system_sgpr_workgroup_id_z 0
		.amdhsa_system_sgpr_workgroup_info 0
		.amdhsa_system_vgpr_workitem_id 0
		.amdhsa_next_free_vgpr 1
		.amdhsa_next_free_sgpr 1
		.amdhsa_named_barrier_count 0
		.amdhsa_reserve_vcc 0
		.amdhsa_float_round_mode_32 0
		.amdhsa_float_round_mode_16_64 0
		.amdhsa_float_denorm_mode_32 3
		.amdhsa_float_denorm_mode_16_64 3
		.amdhsa_fp16_overflow 0
		.amdhsa_memory_ordered 1
		.amdhsa_forward_progress 1
		.amdhsa_inst_pref_size 0
		.amdhsa_round_robin_scheduling 0
		.amdhsa_exception_fp_ieee_invalid_op 0
		.amdhsa_exception_fp_denorm_src 0
		.amdhsa_exception_fp_ieee_div_zero 0
		.amdhsa_exception_fp_ieee_overflow 0
		.amdhsa_exception_fp_ieee_underflow 0
		.amdhsa_exception_fp_ieee_inexact 0
		.amdhsa_exception_int_div_zero 0
	.end_amdhsa_kernel
	.section	.text._ZN7rocprim17ROCPRIM_400000_NS6detail17trampoline_kernelINS0_14default_configENS1_35radix_sort_onesweep_config_selectorIsNS0_10empty_typeEEEZZNS1_29radix_sort_onesweep_iterationIS3_Lb1EPKsPsPS5_SB_mNS0_19identity_decomposerENS1_16block_id_wrapperIjLb0EEEEE10hipError_tT1_PNSt15iterator_traitsISG_E10value_typeET2_T3_PNSH_ISM_E10value_typeET4_T5_PSR_SS_PNS1_23onesweep_lookback_stateEbbT6_jjT7_P12ihipStream_tbENKUlT_T0_SG_SL_E_clIS9_SA_SB_SB_EEDaSZ_S10_SG_SL_EUlSZ_E_NS1_11comp_targetILNS1_3genE8ELNS1_11target_archE1030ELNS1_3gpuE2ELNS1_3repE0EEENS1_47radix_sort_onesweep_sort_config_static_selectorELNS0_4arch9wavefront6targetE0EEEvSG_,"axG",@progbits,_ZN7rocprim17ROCPRIM_400000_NS6detail17trampoline_kernelINS0_14default_configENS1_35radix_sort_onesweep_config_selectorIsNS0_10empty_typeEEEZZNS1_29radix_sort_onesweep_iterationIS3_Lb1EPKsPsPS5_SB_mNS0_19identity_decomposerENS1_16block_id_wrapperIjLb0EEEEE10hipError_tT1_PNSt15iterator_traitsISG_E10value_typeET2_T3_PNSH_ISM_E10value_typeET4_T5_PSR_SS_PNS1_23onesweep_lookback_stateEbbT6_jjT7_P12ihipStream_tbENKUlT_T0_SG_SL_E_clIS9_SA_SB_SB_EEDaSZ_S10_SG_SL_EUlSZ_E_NS1_11comp_targetILNS1_3genE8ELNS1_11target_archE1030ELNS1_3gpuE2ELNS1_3repE0EEENS1_47radix_sort_onesweep_sort_config_static_selectorELNS0_4arch9wavefront6targetE0EEEvSG_,comdat
.Lfunc_end628:
	.size	_ZN7rocprim17ROCPRIM_400000_NS6detail17trampoline_kernelINS0_14default_configENS1_35radix_sort_onesweep_config_selectorIsNS0_10empty_typeEEEZZNS1_29radix_sort_onesweep_iterationIS3_Lb1EPKsPsPS5_SB_mNS0_19identity_decomposerENS1_16block_id_wrapperIjLb0EEEEE10hipError_tT1_PNSt15iterator_traitsISG_E10value_typeET2_T3_PNSH_ISM_E10value_typeET4_T5_PSR_SS_PNS1_23onesweep_lookback_stateEbbT6_jjT7_P12ihipStream_tbENKUlT_T0_SG_SL_E_clIS9_SA_SB_SB_EEDaSZ_S10_SG_SL_EUlSZ_E_NS1_11comp_targetILNS1_3genE8ELNS1_11target_archE1030ELNS1_3gpuE2ELNS1_3repE0EEENS1_47radix_sort_onesweep_sort_config_static_selectorELNS0_4arch9wavefront6targetE0EEEvSG_, .Lfunc_end628-_ZN7rocprim17ROCPRIM_400000_NS6detail17trampoline_kernelINS0_14default_configENS1_35radix_sort_onesweep_config_selectorIsNS0_10empty_typeEEEZZNS1_29radix_sort_onesweep_iterationIS3_Lb1EPKsPsPS5_SB_mNS0_19identity_decomposerENS1_16block_id_wrapperIjLb0EEEEE10hipError_tT1_PNSt15iterator_traitsISG_E10value_typeET2_T3_PNSH_ISM_E10value_typeET4_T5_PSR_SS_PNS1_23onesweep_lookback_stateEbbT6_jjT7_P12ihipStream_tbENKUlT_T0_SG_SL_E_clIS9_SA_SB_SB_EEDaSZ_S10_SG_SL_EUlSZ_E_NS1_11comp_targetILNS1_3genE8ELNS1_11target_archE1030ELNS1_3gpuE2ELNS1_3repE0EEENS1_47radix_sort_onesweep_sort_config_static_selectorELNS0_4arch9wavefront6targetE0EEEvSG_
                                        ; -- End function
	.set _ZN7rocprim17ROCPRIM_400000_NS6detail17trampoline_kernelINS0_14default_configENS1_35radix_sort_onesweep_config_selectorIsNS0_10empty_typeEEEZZNS1_29radix_sort_onesweep_iterationIS3_Lb1EPKsPsPS5_SB_mNS0_19identity_decomposerENS1_16block_id_wrapperIjLb0EEEEE10hipError_tT1_PNSt15iterator_traitsISG_E10value_typeET2_T3_PNSH_ISM_E10value_typeET4_T5_PSR_SS_PNS1_23onesweep_lookback_stateEbbT6_jjT7_P12ihipStream_tbENKUlT_T0_SG_SL_E_clIS9_SA_SB_SB_EEDaSZ_S10_SG_SL_EUlSZ_E_NS1_11comp_targetILNS1_3genE8ELNS1_11target_archE1030ELNS1_3gpuE2ELNS1_3repE0EEENS1_47radix_sort_onesweep_sort_config_static_selectorELNS0_4arch9wavefront6targetE0EEEvSG_.num_vgpr, 0
	.set _ZN7rocprim17ROCPRIM_400000_NS6detail17trampoline_kernelINS0_14default_configENS1_35radix_sort_onesweep_config_selectorIsNS0_10empty_typeEEEZZNS1_29radix_sort_onesweep_iterationIS3_Lb1EPKsPsPS5_SB_mNS0_19identity_decomposerENS1_16block_id_wrapperIjLb0EEEEE10hipError_tT1_PNSt15iterator_traitsISG_E10value_typeET2_T3_PNSH_ISM_E10value_typeET4_T5_PSR_SS_PNS1_23onesweep_lookback_stateEbbT6_jjT7_P12ihipStream_tbENKUlT_T0_SG_SL_E_clIS9_SA_SB_SB_EEDaSZ_S10_SG_SL_EUlSZ_E_NS1_11comp_targetILNS1_3genE8ELNS1_11target_archE1030ELNS1_3gpuE2ELNS1_3repE0EEENS1_47radix_sort_onesweep_sort_config_static_selectorELNS0_4arch9wavefront6targetE0EEEvSG_.num_agpr, 0
	.set _ZN7rocprim17ROCPRIM_400000_NS6detail17trampoline_kernelINS0_14default_configENS1_35radix_sort_onesweep_config_selectorIsNS0_10empty_typeEEEZZNS1_29radix_sort_onesweep_iterationIS3_Lb1EPKsPsPS5_SB_mNS0_19identity_decomposerENS1_16block_id_wrapperIjLb0EEEEE10hipError_tT1_PNSt15iterator_traitsISG_E10value_typeET2_T3_PNSH_ISM_E10value_typeET4_T5_PSR_SS_PNS1_23onesweep_lookback_stateEbbT6_jjT7_P12ihipStream_tbENKUlT_T0_SG_SL_E_clIS9_SA_SB_SB_EEDaSZ_S10_SG_SL_EUlSZ_E_NS1_11comp_targetILNS1_3genE8ELNS1_11target_archE1030ELNS1_3gpuE2ELNS1_3repE0EEENS1_47radix_sort_onesweep_sort_config_static_selectorELNS0_4arch9wavefront6targetE0EEEvSG_.numbered_sgpr, 0
	.set _ZN7rocprim17ROCPRIM_400000_NS6detail17trampoline_kernelINS0_14default_configENS1_35radix_sort_onesweep_config_selectorIsNS0_10empty_typeEEEZZNS1_29radix_sort_onesweep_iterationIS3_Lb1EPKsPsPS5_SB_mNS0_19identity_decomposerENS1_16block_id_wrapperIjLb0EEEEE10hipError_tT1_PNSt15iterator_traitsISG_E10value_typeET2_T3_PNSH_ISM_E10value_typeET4_T5_PSR_SS_PNS1_23onesweep_lookback_stateEbbT6_jjT7_P12ihipStream_tbENKUlT_T0_SG_SL_E_clIS9_SA_SB_SB_EEDaSZ_S10_SG_SL_EUlSZ_E_NS1_11comp_targetILNS1_3genE8ELNS1_11target_archE1030ELNS1_3gpuE2ELNS1_3repE0EEENS1_47radix_sort_onesweep_sort_config_static_selectorELNS0_4arch9wavefront6targetE0EEEvSG_.num_named_barrier, 0
	.set _ZN7rocprim17ROCPRIM_400000_NS6detail17trampoline_kernelINS0_14default_configENS1_35radix_sort_onesweep_config_selectorIsNS0_10empty_typeEEEZZNS1_29radix_sort_onesweep_iterationIS3_Lb1EPKsPsPS5_SB_mNS0_19identity_decomposerENS1_16block_id_wrapperIjLb0EEEEE10hipError_tT1_PNSt15iterator_traitsISG_E10value_typeET2_T3_PNSH_ISM_E10value_typeET4_T5_PSR_SS_PNS1_23onesweep_lookback_stateEbbT6_jjT7_P12ihipStream_tbENKUlT_T0_SG_SL_E_clIS9_SA_SB_SB_EEDaSZ_S10_SG_SL_EUlSZ_E_NS1_11comp_targetILNS1_3genE8ELNS1_11target_archE1030ELNS1_3gpuE2ELNS1_3repE0EEENS1_47radix_sort_onesweep_sort_config_static_selectorELNS0_4arch9wavefront6targetE0EEEvSG_.private_seg_size, 0
	.set _ZN7rocprim17ROCPRIM_400000_NS6detail17trampoline_kernelINS0_14default_configENS1_35radix_sort_onesweep_config_selectorIsNS0_10empty_typeEEEZZNS1_29radix_sort_onesweep_iterationIS3_Lb1EPKsPsPS5_SB_mNS0_19identity_decomposerENS1_16block_id_wrapperIjLb0EEEEE10hipError_tT1_PNSt15iterator_traitsISG_E10value_typeET2_T3_PNSH_ISM_E10value_typeET4_T5_PSR_SS_PNS1_23onesweep_lookback_stateEbbT6_jjT7_P12ihipStream_tbENKUlT_T0_SG_SL_E_clIS9_SA_SB_SB_EEDaSZ_S10_SG_SL_EUlSZ_E_NS1_11comp_targetILNS1_3genE8ELNS1_11target_archE1030ELNS1_3gpuE2ELNS1_3repE0EEENS1_47radix_sort_onesweep_sort_config_static_selectorELNS0_4arch9wavefront6targetE0EEEvSG_.uses_vcc, 0
	.set _ZN7rocprim17ROCPRIM_400000_NS6detail17trampoline_kernelINS0_14default_configENS1_35radix_sort_onesweep_config_selectorIsNS0_10empty_typeEEEZZNS1_29radix_sort_onesweep_iterationIS3_Lb1EPKsPsPS5_SB_mNS0_19identity_decomposerENS1_16block_id_wrapperIjLb0EEEEE10hipError_tT1_PNSt15iterator_traitsISG_E10value_typeET2_T3_PNSH_ISM_E10value_typeET4_T5_PSR_SS_PNS1_23onesweep_lookback_stateEbbT6_jjT7_P12ihipStream_tbENKUlT_T0_SG_SL_E_clIS9_SA_SB_SB_EEDaSZ_S10_SG_SL_EUlSZ_E_NS1_11comp_targetILNS1_3genE8ELNS1_11target_archE1030ELNS1_3gpuE2ELNS1_3repE0EEENS1_47radix_sort_onesweep_sort_config_static_selectorELNS0_4arch9wavefront6targetE0EEEvSG_.uses_flat_scratch, 0
	.set _ZN7rocprim17ROCPRIM_400000_NS6detail17trampoline_kernelINS0_14default_configENS1_35radix_sort_onesweep_config_selectorIsNS0_10empty_typeEEEZZNS1_29radix_sort_onesweep_iterationIS3_Lb1EPKsPsPS5_SB_mNS0_19identity_decomposerENS1_16block_id_wrapperIjLb0EEEEE10hipError_tT1_PNSt15iterator_traitsISG_E10value_typeET2_T3_PNSH_ISM_E10value_typeET4_T5_PSR_SS_PNS1_23onesweep_lookback_stateEbbT6_jjT7_P12ihipStream_tbENKUlT_T0_SG_SL_E_clIS9_SA_SB_SB_EEDaSZ_S10_SG_SL_EUlSZ_E_NS1_11comp_targetILNS1_3genE8ELNS1_11target_archE1030ELNS1_3gpuE2ELNS1_3repE0EEENS1_47radix_sort_onesweep_sort_config_static_selectorELNS0_4arch9wavefront6targetE0EEEvSG_.has_dyn_sized_stack, 0
	.set _ZN7rocprim17ROCPRIM_400000_NS6detail17trampoline_kernelINS0_14default_configENS1_35radix_sort_onesweep_config_selectorIsNS0_10empty_typeEEEZZNS1_29radix_sort_onesweep_iterationIS3_Lb1EPKsPsPS5_SB_mNS0_19identity_decomposerENS1_16block_id_wrapperIjLb0EEEEE10hipError_tT1_PNSt15iterator_traitsISG_E10value_typeET2_T3_PNSH_ISM_E10value_typeET4_T5_PSR_SS_PNS1_23onesweep_lookback_stateEbbT6_jjT7_P12ihipStream_tbENKUlT_T0_SG_SL_E_clIS9_SA_SB_SB_EEDaSZ_S10_SG_SL_EUlSZ_E_NS1_11comp_targetILNS1_3genE8ELNS1_11target_archE1030ELNS1_3gpuE2ELNS1_3repE0EEENS1_47radix_sort_onesweep_sort_config_static_selectorELNS0_4arch9wavefront6targetE0EEEvSG_.has_recursion, 0
	.set _ZN7rocprim17ROCPRIM_400000_NS6detail17trampoline_kernelINS0_14default_configENS1_35radix_sort_onesweep_config_selectorIsNS0_10empty_typeEEEZZNS1_29radix_sort_onesweep_iterationIS3_Lb1EPKsPsPS5_SB_mNS0_19identity_decomposerENS1_16block_id_wrapperIjLb0EEEEE10hipError_tT1_PNSt15iterator_traitsISG_E10value_typeET2_T3_PNSH_ISM_E10value_typeET4_T5_PSR_SS_PNS1_23onesweep_lookback_stateEbbT6_jjT7_P12ihipStream_tbENKUlT_T0_SG_SL_E_clIS9_SA_SB_SB_EEDaSZ_S10_SG_SL_EUlSZ_E_NS1_11comp_targetILNS1_3genE8ELNS1_11target_archE1030ELNS1_3gpuE2ELNS1_3repE0EEENS1_47radix_sort_onesweep_sort_config_static_selectorELNS0_4arch9wavefront6targetE0EEEvSG_.has_indirect_call, 0
	.section	.AMDGPU.csdata,"",@progbits
; Kernel info:
; codeLenInByte = 0
; TotalNumSgprs: 0
; NumVgprs: 0
; ScratchSize: 0
; MemoryBound: 0
; FloatMode: 240
; IeeeMode: 1
; LDSByteSize: 0 bytes/workgroup (compile time only)
; SGPRBlocks: 0
; VGPRBlocks: 0
; NumSGPRsForWavesPerEU: 1
; NumVGPRsForWavesPerEU: 1
; NamedBarCnt: 0
; Occupancy: 16
; WaveLimiterHint : 0
; COMPUTE_PGM_RSRC2:SCRATCH_EN: 0
; COMPUTE_PGM_RSRC2:USER_SGPR: 2
; COMPUTE_PGM_RSRC2:TRAP_HANDLER: 0
; COMPUTE_PGM_RSRC2:TGID_X_EN: 1
; COMPUTE_PGM_RSRC2:TGID_Y_EN: 0
; COMPUTE_PGM_RSRC2:TGID_Z_EN: 0
; COMPUTE_PGM_RSRC2:TIDIG_COMP_CNT: 0
	.section	.text._ZN7rocprim17ROCPRIM_400000_NS6detail17trampoline_kernelINS0_14default_configENS1_35radix_sort_onesweep_config_selectorIsNS0_10empty_typeEEEZZNS1_29radix_sort_onesweep_iterationIS3_Lb1EPKsPsPS5_SB_mNS0_19identity_decomposerENS1_16block_id_wrapperIjLb0EEEEE10hipError_tT1_PNSt15iterator_traitsISG_E10value_typeET2_T3_PNSH_ISM_E10value_typeET4_T5_PSR_SS_PNS1_23onesweep_lookback_stateEbbT6_jjT7_P12ihipStream_tbENKUlT_T0_SG_SL_E_clISA_SA_SB_SB_EEDaSZ_S10_SG_SL_EUlSZ_E_NS1_11comp_targetILNS1_3genE0ELNS1_11target_archE4294967295ELNS1_3gpuE0ELNS1_3repE0EEENS1_47radix_sort_onesweep_sort_config_static_selectorELNS0_4arch9wavefront6targetE0EEEvSG_,"axG",@progbits,_ZN7rocprim17ROCPRIM_400000_NS6detail17trampoline_kernelINS0_14default_configENS1_35radix_sort_onesweep_config_selectorIsNS0_10empty_typeEEEZZNS1_29radix_sort_onesweep_iterationIS3_Lb1EPKsPsPS5_SB_mNS0_19identity_decomposerENS1_16block_id_wrapperIjLb0EEEEE10hipError_tT1_PNSt15iterator_traitsISG_E10value_typeET2_T3_PNSH_ISM_E10value_typeET4_T5_PSR_SS_PNS1_23onesweep_lookback_stateEbbT6_jjT7_P12ihipStream_tbENKUlT_T0_SG_SL_E_clISA_SA_SB_SB_EEDaSZ_S10_SG_SL_EUlSZ_E_NS1_11comp_targetILNS1_3genE0ELNS1_11target_archE4294967295ELNS1_3gpuE0ELNS1_3repE0EEENS1_47radix_sort_onesweep_sort_config_static_selectorELNS0_4arch9wavefront6targetE0EEEvSG_,comdat
	.protected	_ZN7rocprim17ROCPRIM_400000_NS6detail17trampoline_kernelINS0_14default_configENS1_35radix_sort_onesweep_config_selectorIsNS0_10empty_typeEEEZZNS1_29radix_sort_onesweep_iterationIS3_Lb1EPKsPsPS5_SB_mNS0_19identity_decomposerENS1_16block_id_wrapperIjLb0EEEEE10hipError_tT1_PNSt15iterator_traitsISG_E10value_typeET2_T3_PNSH_ISM_E10value_typeET4_T5_PSR_SS_PNS1_23onesweep_lookback_stateEbbT6_jjT7_P12ihipStream_tbENKUlT_T0_SG_SL_E_clISA_SA_SB_SB_EEDaSZ_S10_SG_SL_EUlSZ_E_NS1_11comp_targetILNS1_3genE0ELNS1_11target_archE4294967295ELNS1_3gpuE0ELNS1_3repE0EEENS1_47radix_sort_onesweep_sort_config_static_selectorELNS0_4arch9wavefront6targetE0EEEvSG_ ; -- Begin function _ZN7rocprim17ROCPRIM_400000_NS6detail17trampoline_kernelINS0_14default_configENS1_35radix_sort_onesweep_config_selectorIsNS0_10empty_typeEEEZZNS1_29radix_sort_onesweep_iterationIS3_Lb1EPKsPsPS5_SB_mNS0_19identity_decomposerENS1_16block_id_wrapperIjLb0EEEEE10hipError_tT1_PNSt15iterator_traitsISG_E10value_typeET2_T3_PNSH_ISM_E10value_typeET4_T5_PSR_SS_PNS1_23onesweep_lookback_stateEbbT6_jjT7_P12ihipStream_tbENKUlT_T0_SG_SL_E_clISA_SA_SB_SB_EEDaSZ_S10_SG_SL_EUlSZ_E_NS1_11comp_targetILNS1_3genE0ELNS1_11target_archE4294967295ELNS1_3gpuE0ELNS1_3repE0EEENS1_47radix_sort_onesweep_sort_config_static_selectorELNS0_4arch9wavefront6targetE0EEEvSG_
	.globl	_ZN7rocprim17ROCPRIM_400000_NS6detail17trampoline_kernelINS0_14default_configENS1_35radix_sort_onesweep_config_selectorIsNS0_10empty_typeEEEZZNS1_29radix_sort_onesweep_iterationIS3_Lb1EPKsPsPS5_SB_mNS0_19identity_decomposerENS1_16block_id_wrapperIjLb0EEEEE10hipError_tT1_PNSt15iterator_traitsISG_E10value_typeET2_T3_PNSH_ISM_E10value_typeET4_T5_PSR_SS_PNS1_23onesweep_lookback_stateEbbT6_jjT7_P12ihipStream_tbENKUlT_T0_SG_SL_E_clISA_SA_SB_SB_EEDaSZ_S10_SG_SL_EUlSZ_E_NS1_11comp_targetILNS1_3genE0ELNS1_11target_archE4294967295ELNS1_3gpuE0ELNS1_3repE0EEENS1_47radix_sort_onesweep_sort_config_static_selectorELNS0_4arch9wavefront6targetE0EEEvSG_
	.p2align	8
	.type	_ZN7rocprim17ROCPRIM_400000_NS6detail17trampoline_kernelINS0_14default_configENS1_35radix_sort_onesweep_config_selectorIsNS0_10empty_typeEEEZZNS1_29radix_sort_onesweep_iterationIS3_Lb1EPKsPsPS5_SB_mNS0_19identity_decomposerENS1_16block_id_wrapperIjLb0EEEEE10hipError_tT1_PNSt15iterator_traitsISG_E10value_typeET2_T3_PNSH_ISM_E10value_typeET4_T5_PSR_SS_PNS1_23onesweep_lookback_stateEbbT6_jjT7_P12ihipStream_tbENKUlT_T0_SG_SL_E_clISA_SA_SB_SB_EEDaSZ_S10_SG_SL_EUlSZ_E_NS1_11comp_targetILNS1_3genE0ELNS1_11target_archE4294967295ELNS1_3gpuE0ELNS1_3repE0EEENS1_47radix_sort_onesweep_sort_config_static_selectorELNS0_4arch9wavefront6targetE0EEEvSG_,@function
_ZN7rocprim17ROCPRIM_400000_NS6detail17trampoline_kernelINS0_14default_configENS1_35radix_sort_onesweep_config_selectorIsNS0_10empty_typeEEEZZNS1_29radix_sort_onesweep_iterationIS3_Lb1EPKsPsPS5_SB_mNS0_19identity_decomposerENS1_16block_id_wrapperIjLb0EEEEE10hipError_tT1_PNSt15iterator_traitsISG_E10value_typeET2_T3_PNSH_ISM_E10value_typeET4_T5_PSR_SS_PNS1_23onesweep_lookback_stateEbbT6_jjT7_P12ihipStream_tbENKUlT_T0_SG_SL_E_clISA_SA_SB_SB_EEDaSZ_S10_SG_SL_EUlSZ_E_NS1_11comp_targetILNS1_3genE0ELNS1_11target_archE4294967295ELNS1_3gpuE0ELNS1_3repE0EEENS1_47radix_sort_onesweep_sort_config_static_selectorELNS0_4arch9wavefront6targetE0EEEvSG_: ; @_ZN7rocprim17ROCPRIM_400000_NS6detail17trampoline_kernelINS0_14default_configENS1_35radix_sort_onesweep_config_selectorIsNS0_10empty_typeEEEZZNS1_29radix_sort_onesweep_iterationIS3_Lb1EPKsPsPS5_SB_mNS0_19identity_decomposerENS1_16block_id_wrapperIjLb0EEEEE10hipError_tT1_PNSt15iterator_traitsISG_E10value_typeET2_T3_PNSH_ISM_E10value_typeET4_T5_PSR_SS_PNS1_23onesweep_lookback_stateEbbT6_jjT7_P12ihipStream_tbENKUlT_T0_SG_SL_E_clISA_SA_SB_SB_EEDaSZ_S10_SG_SL_EUlSZ_E_NS1_11comp_targetILNS1_3genE0ELNS1_11target_archE4294967295ELNS1_3gpuE0ELNS1_3repE0EEENS1_47radix_sort_onesweep_sort_config_static_selectorELNS0_4arch9wavefront6targetE0EEEvSG_
; %bb.0:
	s_clause 0x3
	s_load_b96 s[20:22], s[0:1], 0x44
	s_load_b64 s[10:11], s[0:1], 0x38
	s_load_b128 s[16:19], s[0:1], 0x0
	s_load_b128 s[12:15], s[0:1], 0x28
	s_bfe_u32 s2, ttmp6, 0x4000c
	s_and_b32 s3, ttmp6, 15
	s_add_co_i32 s2, s2, 1
	s_getreg_b32 s4, hwreg(HW_REG_IB_STS2, 6, 4)
	s_mul_i32 s5, ttmp9, s2
	v_mbcnt_lo_u32_b32 v14, -1, 0
	s_add_co_i32 s3, s3, s5
	s_cmp_eq_u32 s4, 0
	v_and_b32_e32 v15, 0x1e0, v0
	s_cselect_b32 s9, ttmp9, s3
	s_mov_b32 s25, 0
	s_mov_b32 s2, -1
	s_mul_i32 s24, s9, 0x1800
	s_add_nc_u64 s[26:27], s[0:1], 0x58
	s_wait_kmcnt 0x0
	s_cmp_ge_u32 s9, s22
	s_cbranch_scc0 .LBB629_96
; %bb.1:
	s_load_b32 s4, s[0:1], 0x20
	v_dual_mov_b32 v9, 0 :: v_dual_lshlrev_b32 v8, 1, v14
	s_lshl_b64 s[2:3], s[24:25], 1
	v_mul_u32_u24_e32 v1, 12, v15
	s_add_nc_u64 s[2:3], s[16:17], s[2:3]
	v_mov_b32_e32 v2, 0x80008000
	v_add_nc_u64_e32 v[10:11], s[2:3], v[8:9]
	s_mul_i32 s5, s22, 0xffffe800
	v_dual_lshlrev_b32 v8, 1, v1 :: v_dual_bitop2_b32 v1, v14, v1 bitop3:0x54
	s_delay_alu instid0(VALU_DEP_3) | instskip(SKIP_1) | instid1(VALU_DEP_3)
	v_dual_mov_b32 v3, v2 :: v_dual_mov_b32 v4, v2
	v_dual_mov_b32 v5, v2 :: v_dual_mov_b32 v6, v2
	v_add_nc_u64_e32 v[10:11], v[10:11], v[8:9]
	v_mov_b32_e32 v7, v2
	s_mov_b32 s2, exec_lo
	s_wait_kmcnt 0x0
	s_add_co_i32 s22, s4, s5
	s_delay_alu instid0(SALU_CYCLE_1)
	v_cmpx_gt_u32_e64 s22, v1
	s_cbranch_execz .LBB629_3
; %bb.2:
	global_load_u16 v3, v[10:11], off
	s_movk_i32 s3, 0x8000
	v_dual_mov_b32 v5, v2 :: v_dual_mov_b32 v6, v2
	v_dual_mov_b32 v7, v2 :: v_dual_mov_b32 v8, v2
	v_mov_b32_e32 v9, v2
	s_wait_loadcnt 0x0
	v_perm_b32 v4, s3, v3, 0x5040100
	s_delay_alu instid0(VALU_DEP_1)
	v_mov_b64_e32 v[2:3], v[4:5]
	v_mov_b64_e32 v[4:5], v[6:7]
	;; [unrolled: 1-line block ×4, first 2 shown]
.LBB629_3:
	s_or_b32 exec_lo, exec_lo, s2
	v_or_b32_e32 v8, 32, v1
	s_mov_b32 s2, exec_lo
	s_delay_alu instid0(VALU_DEP_1)
	v_cmpx_gt_u32_e64 s22, v8
	s_cbranch_execz .LBB629_5
; %bb.4:
	global_load_u16 v8, v[10:11], off offset:64
	s_wait_loadcnt 0x0
	v_perm_b32 v2, v8, v2, 0x5040100
.LBB629_5:
	s_or_b32 exec_lo, exec_lo, s2
	v_or_b32_e32 v8, 64, v1
	s_mov_b32 s2, exec_lo
	s_delay_alu instid0(VALU_DEP_1)
	v_cmpx_gt_u32_e64 s22, v8
	s_cbranch_execz .LBB629_7
; %bb.6:
	global_load_u16 v8, v[10:11], off offset:128
	s_wait_loadcnt 0x0
	v_bfi_b32 v3, 0xffff, v8, v3
.LBB629_7:
	s_or_b32 exec_lo, exec_lo, s2
	v_or_b32_e32 v8, 0x60, v1
	s_mov_b32 s2, exec_lo
	s_delay_alu instid0(VALU_DEP_1)
	v_cmpx_gt_u32_e64 s22, v8
	s_cbranch_execz .LBB629_9
; %bb.8:
	global_load_u16 v8, v[10:11], off offset:192
	s_wait_loadcnt 0x0
	v_perm_b32 v3, v8, v3, 0x5040100
.LBB629_9:
	s_or_b32 exec_lo, exec_lo, s2
	v_add_nc_u32_e32 v8, 0x80, v1
	s_mov_b32 s2, exec_lo
	s_delay_alu instid0(VALU_DEP_1)
	v_cmpx_gt_u32_e64 s22, v8
	s_cbranch_execz .LBB629_11
; %bb.10:
	global_load_u16 v8, v[10:11], off offset:256
	s_wait_loadcnt 0x0
	v_bfi_b32 v4, 0xffff, v8, v4
.LBB629_11:
	s_or_b32 exec_lo, exec_lo, s2
	v_add_nc_u32_e32 v8, 0xa0, v1
	s_mov_b32 s2, exec_lo
	s_delay_alu instid0(VALU_DEP_1)
	v_cmpx_gt_u32_e64 s22, v8
	s_cbranch_execz .LBB629_13
; %bb.12:
	global_load_u16 v8, v[10:11], off offset:320
	s_wait_loadcnt 0x0
	v_perm_b32 v4, v8, v4, 0x5040100
.LBB629_13:
	s_or_b32 exec_lo, exec_lo, s2
	v_add_nc_u32_e32 v8, 0xc0, v1
	s_mov_b32 s2, exec_lo
	s_delay_alu instid0(VALU_DEP_1)
	v_cmpx_gt_u32_e64 s22, v8
	s_cbranch_execz .LBB629_15
; %bb.14:
	global_load_u16 v8, v[10:11], off offset:384
	s_wait_loadcnt 0x0
	v_bfi_b32 v5, 0xffff, v8, v5
.LBB629_15:
	s_or_b32 exec_lo, exec_lo, s2
	v_add_nc_u32_e32 v8, 0xe0, v1
	;; [unrolled: 22-line block ×4, first 2 shown]
	v_and_b32_e32 v1, 0x3ff, v0
	s_mov_b32 s2, exec_lo
	s_delay_alu instid0(VALU_DEP_2)
	v_cmpx_gt_u32_e64 s22, v8
	s_cbranch_execz .LBB629_25
; %bb.24:
	global_load_u16 v8, v[10:11], off offset:704
	s_wait_loadcnt 0x0
	v_perm_b32 v7, v8, v7, 0x5040100
.LBB629_25:
	s_or_b32 exec_lo, exec_lo, s2
	s_clause 0x1
	s_load_b32 s23, s[0:1], 0x58
	s_load_u16 s4, s[0:1], 0x66
	v_xor_b32_e32 v10, 0x7fff, v2
	v_bfe_u32 v9, v0, 10, 10
	v_bfe_u32 v11, v0, 20, 10
	s_mov_b32 s3, 0
	s_delay_alu instid0(VALU_DEP_3) | instskip(NEXT) | instid1(VALU_DEP_1)
	v_and_b32_e32 v8, 0xffff, v10
	v_lshrrev_b32_e32 v8, s20, v8
	s_wait_kmcnt 0x0
	s_cmp_lt_u32 s9, s23
	v_mad_u32_u24 v9, v11, s4, v9
	s_cselect_b32 s2, 12, 18
	s_lshl_b32 s25, -1, s21
	s_add_nc_u64 s[2:3], s[26:27], s[2:3]
	v_bitop3_b32 v11, v8, 1, s25 bitop3:0x40
	v_bitop3_b32 v12, v8, s25, v8 bitop3:0x30
	s_load_u16 s28, s[2:3], 0x0
	s_not_b32 s25, s25
	s_wait_xcnt 0x0
	v_add_co_u32 v8, s2, v11, -1
	s_delay_alu instid0(VALU_DEP_1) | instskip(SKIP_2) | instid1(VALU_DEP_3)
	v_cndmask_b32_e64 v11, 0, 1, s2
	v_dual_lshlrev_b32 v13, 30, v12 :: v_dual_lshlrev_b32 v16, 29, v12
	v_dual_lshlrev_b32 v17, 28, v12 :: v_dual_lshlrev_b32 v18, 27, v12
	v_cmp_ne_u32_e32 vcc_lo, 0, v11
	s_delay_alu instid0(VALU_DEP_3)
	v_not_b32_e32 v11, v13
	v_dual_lshlrev_b32 v19, 26, v12 :: v_dual_lshlrev_b32 v20, 25, v12
	v_cmp_gt_i32_e64 s2, 0, v13
	v_cmp_gt_i32_e64 s3, 0, v16
	v_not_b32_e32 v13, v16
	v_not_b32_e32 v16, v17
	v_dual_ashrrev_i32 v11, 31, v11 :: v_dual_lshlrev_b32 v21, 24, v12
	v_cmp_gt_i32_e64 s4, 0, v17
	v_cmp_gt_i32_e64 s5, 0, v18
	v_not_b32_e32 v17, v18
	v_not_b32_e32 v18, v19
	v_dual_ashrrev_i32 v13, 31, v13 :: v_dual_bitop2_b32 v8, vcc_lo, v8 bitop3:0x14
	v_dual_ashrrev_i32 v16, 31, v16 :: v_dual_bitop2_b32 v11, s2, v11 bitop3:0x14
	v_cmp_gt_i32_e64 s6, 0, v19
	v_not_b32_e32 v19, v20
	v_dual_ashrrev_i32 v17, 31, v17 :: v_dual_ashrrev_i32 v18, 31, v18
	v_xor_b32_e32 v13, s3, v13
	s_delay_alu instid0(VALU_DEP_3)
	v_dual_ashrrev_i32 v19, 31, v19 :: v_dual_bitop2_b32 v16, s4, v16 bitop3:0x14
	v_bitop3_b32 v8, v8, v11, exec_lo bitop3:0x80
	v_not_b32_e32 v11, v21
	v_cmp_gt_i32_e64 s7, 0, v20
	v_cmp_gt_i32_e64 s8, 0, v21
	v_xor_b32_e32 v17, s5, v17
	v_xor_b32_e32 v18, s6, v18
	v_bitop3_b32 v8, v8, v16, v13 bitop3:0x80
	v_ashrrev_i32_e32 v11, 31, v11
	s_wait_kmcnt 0x0
	v_mad_u32 v20, v9, s28, v1
	v_dual_mov_b32 v16, 0 :: v_dual_bitop2_b32 v19, s7, v19 bitop3:0x14
	v_bitop3_b32 v8, v8, v18, v17 bitop3:0x80
	v_mul_u32_u24_e32 v12, 0x44, v12
	v_xor_b32_e32 v9, s8, v11
	v_mul_u32_u24_e32 v13, 36, v1
	ds_store_2addr_b32 v13, v16, v16 offset0:16 offset1:17
	ds_store_2addr_b32 v13, v16, v16 offset0:18 offset1:19
	;; [unrolled: 1-line block ×4, first 2 shown]
	v_bitop3_b32 v9, v8, v9, v19 bitop3:0x80
	v_lshrrev_b32_e32 v8, 3, v20
	ds_store_b32 v13, v16 offset:96
	s_wait_dscnt 0x0
	s_barrier_signal -1
	v_mbcnt_lo_u32_b32 v11, v9, 0
	v_and_b32_e32 v8, 0x1ffffffc, v8
	v_cmp_ne_u32_e64 s2, 0, v9
	s_barrier_wait -1
	s_delay_alu instid0(VALU_DEP_3) | instskip(NEXT) | instid1(VALU_DEP_3)
	v_cmp_eq_u32_e32 vcc_lo, 0, v11
	v_add_nc_u32_e32 v16, v8, v12
	; wave barrier
	s_and_b32 s3, s2, vcc_lo
	s_delay_alu instid0(SALU_CYCLE_1)
	s_and_saveexec_b32 s2, s3
; %bb.26:
	v_bcnt_u32_b32 v9, v9, 0
	ds_store_b32 v16, v9 offset:64
; %bb.27:
	s_or_b32 exec_lo, exec_lo, s2
	v_lshrrev_b32_e32 v2, 16, v2
	; wave barrier
	s_delay_alu instid0(VALU_DEP_1) | instskip(NEXT) | instid1(VALU_DEP_1)
	v_xor_b32_e32 v12, 0x7fff, v2
	v_and_b32_e32 v2, 0xffff, v12
	s_delay_alu instid0(VALU_DEP_1) | instskip(NEXT) | instid1(VALU_DEP_1)
	v_lshrrev_b32_e32 v2, s20, v2
	v_and_b32_e32 v17, s25, v2
	s_delay_alu instid0(VALU_DEP_1) | instskip(SKIP_2) | instid1(VALU_DEP_3)
	v_lshlrev_b32_e32 v19, 29, v17
	v_bitop3_b32 v9, v2, 1, s25 bitop3:0x80
	v_lshlrev_b32_e32 v18, 30, v17
	v_cmp_gt_i32_e64 s3, 0, v19
	s_delay_alu instid0(VALU_DEP_3) | instskip(NEXT) | instid1(VALU_DEP_1)
	v_add_co_u32 v2, s2, v9, -1
	v_cndmask_b32_e64 v9, 0, 1, s2
	s_delay_alu instid0(VALU_DEP_4) | instskip(NEXT) | instid1(VALU_DEP_2)
	v_cmp_gt_i32_e64 s2, 0, v18
	v_cmp_ne_u32_e32 vcc_lo, 0, v9
	v_not_b32_e32 v9, v18
	v_not_b32_e32 v18, v19
	s_delay_alu instid0(VALU_DEP_2) | instskip(SKIP_3) | instid1(VALU_DEP_3)
	v_dual_ashrrev_i32 v9, 31, v9 :: v_dual_bitop2_b32 v2, vcc_lo, v2 bitop3:0x14
	v_dual_lshlrev_b32 v20, 28, v17 :: v_dual_lshlrev_b32 v21, 27, v17
	v_dual_lshlrev_b32 v22, 26, v17 :: v_dual_lshlrev_b32 v23, 25, v17
	v_lshlrev_b32_e32 v24, 24, v17
	v_not_b32_e32 v19, v20
	v_cmp_gt_i32_e64 s4, 0, v20
	v_cmp_gt_i32_e64 s5, 0, v21
	v_not_b32_e32 v20, v21
	v_not_b32_e32 v21, v22
	v_dual_ashrrev_i32 v18, 31, v18 :: v_dual_ashrrev_i32 v19, 31, v19
	s_delay_alu instid0(VALU_DEP_3)
	v_dual_ashrrev_i32 v20, 31, v20 :: v_dual_bitop2_b32 v9, s2, v9 bitop3:0x14
	v_cmp_gt_i32_e64 s6, 0, v22
	v_cmp_gt_i32_e64 s7, 0, v23
	v_not_b32_e32 v22, v23
	v_not_b32_e32 v23, v24
	v_dual_ashrrev_i32 v21, 31, v21 :: v_dual_bitop2_b32 v18, s3, v18 bitop3:0x14
	v_xor_b32_e32 v19, s4, v19
	v_bitop3_b32 v2, v2, v9, exec_lo bitop3:0x80
	v_cmp_gt_i32_e64 s8, 0, v24
	v_dual_ashrrev_i32 v9, 31, v22 :: v_dual_ashrrev_i32 v22, 31, v23
	v_xor_b32_e32 v20, s5, v20
	v_xor_b32_e32 v21, s6, v21
	v_bitop3_b32 v2, v2, v19, v18 bitop3:0x80
	v_mad_u32_u24 v18, 0x44, v17, v8
	v_xor_b32_e32 v9, s7, v9
	v_xor_b32_e32 v19, s8, v22
	s_delay_alu instid0(VALU_DEP_4) | instskip(SKIP_3) | instid1(VALU_DEP_2)
	v_bitop3_b32 v2, v2, v21, v20 bitop3:0x80
	ds_load_b32 v18, v18 offset:64
	; wave barrier
	v_bitop3_b32 v2, v2, v19, v9 bitop3:0x80
	v_mul_u32_u24_e32 v9, 0x44, v17
	v_mbcnt_lo_u32_b32 v19, v2, 0
	v_cmp_ne_u32_e64 s2, 0, v2
	s_delay_alu instid0(VALU_DEP_3) | instskip(NEXT) | instid1(VALU_DEP_3)
	v_add_nc_u32_e32 v20, v8, v9
	v_cmp_eq_u32_e32 vcc_lo, 0, v19
	s_and_b32 s3, s2, vcc_lo
	s_delay_alu instid0(SALU_CYCLE_1)
	s_and_saveexec_b32 s2, s3
	s_cbranch_execz .LBB629_29
; %bb.28:
	s_wait_dscnt 0x0
	v_bcnt_u32_b32 v2, v2, v18
	ds_store_b32 v20, v2 offset:64
.LBB629_29:
	s_or_b32 exec_lo, exec_lo, s2
	v_xor_b32_e32 v17, 0x7fff, v3
	; wave barrier
	s_delay_alu instid0(VALU_DEP_1) | instskip(NEXT) | instid1(VALU_DEP_1)
	v_and_b32_e32 v2, 0xffff, v17
	v_lshrrev_b32_e32 v2, s20, v2
	s_delay_alu instid0(VALU_DEP_1) | instskip(NEXT) | instid1(VALU_DEP_1)
	v_and_b32_e32 v21, s25, v2
	v_lshlrev_b32_e32 v22, 30, v21
	v_bitop3_b32 v9, v2, 1, s25 bitop3:0x80
	s_delay_alu instid0(VALU_DEP_1) | instskip(NEXT) | instid1(VALU_DEP_1)
	v_add_co_u32 v2, s2, v9, -1
	v_cndmask_b32_e64 v9, 0, 1, s2
	s_delay_alu instid0(VALU_DEP_4) | instskip(NEXT) | instid1(VALU_DEP_2)
	v_cmp_gt_i32_e64 s2, 0, v22
	v_cmp_ne_u32_e32 vcc_lo, 0, v9
	v_not_b32_e32 v9, v22
	s_delay_alu instid0(VALU_DEP_1) | instskip(SKIP_3) | instid1(VALU_DEP_3)
	v_ashrrev_i32_e32 v9, 31, v9
	v_dual_lshlrev_b32 v23, 29, v21 :: v_dual_lshlrev_b32 v24, 28, v21
	v_dual_lshlrev_b32 v25, 27, v21 :: v_dual_lshlrev_b32 v26, 26, v21
	;; [unrolled: 1-line block ×3, first 2 shown]
	v_cmp_gt_i32_e64 s3, 0, v23
	v_not_b32_e32 v22, v23
	v_not_b32_e32 v23, v24
	v_cmp_gt_i32_e64 s4, 0, v24
	v_cmp_gt_i32_e64 s5, 0, v25
	v_not_b32_e32 v24, v25
	v_not_b32_e32 v25, v26
	v_dual_ashrrev_i32 v23, 31, v23 :: v_dual_bitop2_b32 v2, vcc_lo, v2 bitop3:0x14
	v_dual_ashrrev_i32 v22, 31, v22 :: v_dual_bitop2_b32 v9, s2, v9 bitop3:0x14
	v_cmp_gt_i32_e64 s6, 0, v26
	v_cmp_gt_i32_e64 s7, 0, v27
	v_not_b32_e32 v26, v27
	v_not_b32_e32 v27, v28
	v_dual_ashrrev_i32 v24, 31, v24 :: v_dual_ashrrev_i32 v25, 31, v25
	v_xor_b32_e32 v22, s3, v22
	v_xor_b32_e32 v23, s4, v23
	v_bitop3_b32 v2, v2, v9, exec_lo bitop3:0x80
	v_cmp_gt_i32_e64 s8, 0, v28
	v_dual_ashrrev_i32 v9, 31, v26 :: v_dual_ashrrev_i32 v26, 31, v27
	v_xor_b32_e32 v24, s5, v24
	v_xor_b32_e32 v25, s6, v25
	v_bitop3_b32 v2, v2, v23, v22 bitop3:0x80
	v_mad_u32_u24 v22, 0x44, v21, v8
	v_xor_b32_e32 v9, s7, v9
	v_xor_b32_e32 v23, s8, v26
	s_delay_alu instid0(VALU_DEP_4) | instskip(SKIP_3) | instid1(VALU_DEP_2)
	v_bitop3_b32 v2, v2, v25, v24 bitop3:0x80
	ds_load_b32 v22, v22 offset:64
	; wave barrier
	v_bitop3_b32 v2, v2, v23, v9 bitop3:0x80
	v_mul_u32_u24_e32 v9, 0x44, v21
	v_mbcnt_lo_u32_b32 v23, v2, 0
	v_cmp_ne_u32_e64 s2, 0, v2
	s_delay_alu instid0(VALU_DEP_3) | instskip(NEXT) | instid1(VALU_DEP_3)
	v_add_nc_u32_e32 v24, v8, v9
	v_cmp_eq_u32_e32 vcc_lo, 0, v23
	s_and_b32 s3, s2, vcc_lo
	s_delay_alu instid0(SALU_CYCLE_1)
	s_and_saveexec_b32 s2, s3
	s_cbranch_execz .LBB629_31
; %bb.30:
	s_wait_dscnt 0x0
	v_bcnt_u32_b32 v2, v2, v22
	ds_store_b32 v24, v2 offset:64
.LBB629_31:
	s_or_b32 exec_lo, exec_lo, s2
	v_lshrrev_b32_e32 v2, 16, v3
	; wave barrier
	s_delay_alu instid0(VALU_DEP_1) | instskip(NEXT) | instid1(VALU_DEP_1)
	v_xor_b32_e32 v21, 0x7fff, v2
	v_and_b32_e32 v2, 0xffff, v21
	s_delay_alu instid0(VALU_DEP_1) | instskip(NEXT) | instid1(VALU_DEP_1)
	v_lshrrev_b32_e32 v2, s20, v2
	v_and_b32_e32 v9, s25, v2
	s_delay_alu instid0(VALU_DEP_1) | instskip(SKIP_2) | instid1(VALU_DEP_3)
	v_lshlrev_b32_e32 v26, 29, v9
	v_bitop3_b32 v3, v2, 1, s25 bitop3:0x80
	v_lshlrev_b32_e32 v25, 30, v9
	v_cmp_gt_i32_e64 s3, 0, v26
	s_delay_alu instid0(VALU_DEP_3) | instskip(NEXT) | instid1(VALU_DEP_1)
	v_add_co_u32 v2, s2, v3, -1
	v_cndmask_b32_e64 v3, 0, 1, s2
	s_delay_alu instid0(VALU_DEP_4) | instskip(NEXT) | instid1(VALU_DEP_2)
	v_cmp_gt_i32_e64 s2, 0, v25
	v_cmp_ne_u32_e32 vcc_lo, 0, v3
	v_not_b32_e32 v3, v25
	v_not_b32_e32 v25, v26
	s_delay_alu instid0(VALU_DEP_2) | instskip(SKIP_3) | instid1(VALU_DEP_3)
	v_dual_ashrrev_i32 v3, 31, v3 :: v_dual_bitop2_b32 v2, vcc_lo, v2 bitop3:0x14
	v_dual_lshlrev_b32 v27, 28, v9 :: v_dual_lshlrev_b32 v28, 27, v9
	v_dual_lshlrev_b32 v29, 26, v9 :: v_dual_lshlrev_b32 v30, 25, v9
	v_lshlrev_b32_e32 v31, 24, v9
	v_not_b32_e32 v26, v27
	v_cmp_gt_i32_e64 s4, 0, v27
	v_cmp_gt_i32_e64 s5, 0, v28
	v_not_b32_e32 v27, v28
	v_not_b32_e32 v28, v29
	v_dual_ashrrev_i32 v25, 31, v25 :: v_dual_ashrrev_i32 v26, 31, v26
	v_xor_b32_e32 v3, s2, v3
	v_cmp_gt_i32_e64 s6, 0, v29
	v_cmp_gt_i32_e64 s7, 0, v30
	v_not_b32_e32 v29, v30
	v_not_b32_e32 v30, v31
	v_dual_ashrrev_i32 v27, 31, v27 :: v_dual_bitop2_b32 v25, s3, v25 bitop3:0x14
	v_dual_ashrrev_i32 v28, 31, v28 :: v_dual_bitop2_b32 v26, s4, v26 bitop3:0x14
	v_bitop3_b32 v2, v2, v3, exec_lo bitop3:0x80
	v_cmp_gt_i32_e64 s8, 0, v31
	v_dual_ashrrev_i32 v3, 31, v29 :: v_dual_ashrrev_i32 v29, 31, v30
	v_xor_b32_e32 v27, s5, v27
	v_xor_b32_e32 v28, s6, v28
	v_bitop3_b32 v2, v2, v26, v25 bitop3:0x80
	v_mad_u32_u24 v25, 0x44, v9, v8
	v_xor_b32_e32 v3, s7, v3
	v_xor_b32_e32 v29, s8, v29
	s_delay_alu instid0(VALU_DEP_4) | instskip(SKIP_3) | instid1(VALU_DEP_2)
	v_bitop3_b32 v2, v2, v28, v27 bitop3:0x80
	ds_load_b32 v26, v25 offset:64
	; wave barrier
	v_bitop3_b32 v2, v2, v29, v3 bitop3:0x80
	v_mul_u32_u24_e32 v3, 0x44, v9
	v_mbcnt_lo_u32_b32 v27, v2, 0
	v_cmp_ne_u32_e64 s2, 0, v2
	s_delay_alu instid0(VALU_DEP_3) | instskip(NEXT) | instid1(VALU_DEP_3)
	v_add_nc_u32_e32 v28, v8, v3
	v_cmp_eq_u32_e32 vcc_lo, 0, v27
	s_and_b32 s3, s2, vcc_lo
	s_delay_alu instid0(SALU_CYCLE_1)
	s_and_saveexec_b32 s2, s3
	s_cbranch_execz .LBB629_33
; %bb.32:
	s_wait_dscnt 0x0
	v_bcnt_u32_b32 v2, v2, v26
	ds_store_b32 v28, v2 offset:64
.LBB629_33:
	s_or_b32 exec_lo, exec_lo, s2
	v_xor_b32_e32 v25, 0x7fff, v4
	; wave barrier
	s_delay_alu instid0(VALU_DEP_1) | instskip(NEXT) | instid1(VALU_DEP_1)
	v_and_b32_e32 v2, 0xffff, v25
	v_lshrrev_b32_e32 v2, s20, v2
	s_delay_alu instid0(VALU_DEP_1) | instskip(NEXT) | instid1(VALU_DEP_1)
	v_and_b32_e32 v9, s25, v2
	v_lshlrev_b32_e32 v29, 30, v9
	v_bitop3_b32 v3, v2, 1, s25 bitop3:0x80
	s_delay_alu instid0(VALU_DEP_1) | instskip(NEXT) | instid1(VALU_DEP_1)
	v_add_co_u32 v2, s2, v3, -1
	v_cndmask_b32_e64 v3, 0, 1, s2
	s_delay_alu instid0(VALU_DEP_4) | instskip(NEXT) | instid1(VALU_DEP_2)
	v_cmp_gt_i32_e64 s2, 0, v29
	v_cmp_ne_u32_e32 vcc_lo, 0, v3
	v_not_b32_e32 v3, v29
	s_delay_alu instid0(VALU_DEP_1) | instskip(SKIP_3) | instid1(VALU_DEP_4)
	v_dual_ashrrev_i32 v3, 31, v3 :: v_dual_lshlrev_b32 v30, 29, v9
	v_dual_lshlrev_b32 v31, 28, v9 :: v_dual_lshlrev_b32 v32, 27, v9
	v_dual_lshlrev_b32 v33, 26, v9 :: v_dual_lshlrev_b32 v34, 25, v9
	v_lshlrev_b32_e32 v35, 24, v9
	v_cmp_gt_i32_e64 s3, 0, v30
	v_not_b32_e32 v29, v30
	v_not_b32_e32 v30, v31
	v_cmp_gt_i32_e64 s4, 0, v31
	v_cmp_gt_i32_e64 s5, 0, v32
	v_not_b32_e32 v31, v32
	v_not_b32_e32 v32, v33
	v_dual_ashrrev_i32 v29, 31, v29 :: v_dual_bitop2_b32 v2, vcc_lo, v2 bitop3:0x14
	v_dual_ashrrev_i32 v30, 31, v30 :: v_dual_bitop2_b32 v3, s2, v3 bitop3:0x14
	v_cmp_gt_i32_e64 s6, 0, v33
	v_cmp_gt_i32_e64 s7, 0, v34
	v_not_b32_e32 v33, v34
	v_not_b32_e32 v34, v35
	v_dual_ashrrev_i32 v31, 31, v31 :: v_dual_ashrrev_i32 v32, 31, v32
	v_xor_b32_e32 v29, s3, v29
	v_xor_b32_e32 v30, s4, v30
	v_bitop3_b32 v2, v2, v3, exec_lo bitop3:0x80
	v_cmp_gt_i32_e64 s8, 0, v35
	v_dual_ashrrev_i32 v3, 31, v33 :: v_dual_ashrrev_i32 v33, 31, v34
	v_xor_b32_e32 v31, s5, v31
	v_xor_b32_e32 v32, s6, v32
	v_bitop3_b32 v2, v2, v30, v29 bitop3:0x80
	v_mad_u32_u24 v29, 0x44, v9, v8
	v_xor_b32_e32 v3, s7, v3
	v_xor_b32_e32 v30, s8, v33
	s_delay_alu instid0(VALU_DEP_4) | instskip(SKIP_3) | instid1(VALU_DEP_2)
	v_bitop3_b32 v2, v2, v32, v31 bitop3:0x80
	ds_load_b32 v29, v29 offset:64
	; wave barrier
	v_bitop3_b32 v2, v2, v30, v3 bitop3:0x80
	v_mul_u32_u24_e32 v3, 0x44, v9
	v_mbcnt_lo_u32_b32 v31, v2, 0
	v_cmp_ne_u32_e64 s2, 0, v2
	s_delay_alu instid0(VALU_DEP_3) | instskip(NEXT) | instid1(VALU_DEP_3)
	v_add_nc_u32_e32 v32, v8, v3
	v_cmp_eq_u32_e32 vcc_lo, 0, v31
	s_and_b32 s3, s2, vcc_lo
	s_delay_alu instid0(SALU_CYCLE_1)
	s_and_saveexec_b32 s2, s3
	s_cbranch_execz .LBB629_35
; %bb.34:
	s_wait_dscnt 0x0
	v_bcnt_u32_b32 v2, v2, v29
	ds_store_b32 v32, v2 offset:64
.LBB629_35:
	s_or_b32 exec_lo, exec_lo, s2
	v_lshrrev_b32_e32 v2, 16, v4
	; wave barrier
	s_delay_alu instid0(VALU_DEP_1) | instskip(NEXT) | instid1(VALU_DEP_1)
	v_xor_b32_e32 v30, 0x7fff, v2
	v_and_b32_e32 v2, 0xffff, v30
	s_delay_alu instid0(VALU_DEP_1) | instskip(NEXT) | instid1(VALU_DEP_1)
	v_lshrrev_b32_e32 v2, s20, v2
	v_and_b32_e32 v4, s25, v2
	s_delay_alu instid0(VALU_DEP_1) | instskip(SKIP_2) | instid1(VALU_DEP_3)
	v_lshlrev_b32_e32 v33, 29, v4
	v_bitop3_b32 v3, v2, 1, s25 bitop3:0x80
	v_lshlrev_b32_e32 v9, 30, v4
	v_cmp_gt_i32_e64 s3, 0, v33
	s_delay_alu instid0(VALU_DEP_3) | instskip(NEXT) | instid1(VALU_DEP_1)
	v_add_co_u32 v2, s2, v3, -1
	v_cndmask_b32_e64 v3, 0, 1, s2
	s_delay_alu instid0(VALU_DEP_4) | instskip(NEXT) | instid1(VALU_DEP_2)
	v_cmp_gt_i32_e64 s2, 0, v9
	v_cmp_ne_u32_e32 vcc_lo, 0, v3
	v_not_b32_e32 v3, v9
	v_not_b32_e32 v9, v33
	s_delay_alu instid0(VALU_DEP_2) | instskip(SKIP_3) | instid1(VALU_DEP_3)
	v_dual_ashrrev_i32 v3, 31, v3 :: v_dual_bitop2_b32 v2, vcc_lo, v2 bitop3:0x14
	v_dual_lshlrev_b32 v34, 28, v4 :: v_dual_lshlrev_b32 v35, 27, v4
	v_dual_lshlrev_b32 v36, 26, v4 :: v_dual_lshlrev_b32 v37, 25, v4
	v_lshlrev_b32_e32 v38, 24, v4
	v_not_b32_e32 v33, v34
	v_cmp_gt_i32_e64 s4, 0, v34
	v_cmp_gt_i32_e64 s5, 0, v35
	v_not_b32_e32 v34, v35
	v_not_b32_e32 v35, v36
	v_dual_ashrrev_i32 v9, 31, v9 :: v_dual_bitop2_b32 v3, s2, v3 bitop3:0x14
	s_delay_alu instid0(VALU_DEP_3)
	v_dual_ashrrev_i32 v33, 31, v33 :: v_dual_ashrrev_i32 v34, 31, v34
	v_cmp_gt_i32_e64 s6, 0, v36
	v_cmp_gt_i32_e64 s7, 0, v37
	v_not_b32_e32 v36, v37
	v_not_b32_e32 v37, v38
	v_dual_ashrrev_i32 v35, 31, v35 :: v_dual_bitop2_b32 v9, s3, v9 bitop3:0x14
	v_xor_b32_e32 v33, s4, v33
	v_bitop3_b32 v2, v2, v3, exec_lo bitop3:0x80
	v_cmp_gt_i32_e64 s8, 0, v38
	v_dual_ashrrev_i32 v3, 31, v36 :: v_dual_ashrrev_i32 v36, 31, v37
	v_xor_b32_e32 v34, s5, v34
	v_xor_b32_e32 v35, s6, v35
	v_bitop3_b32 v2, v2, v33, v9 bitop3:0x80
	v_mad_u32_u24 v9, 0x44, v4, v8
	v_xor_b32_e32 v3, s7, v3
	v_xor_b32_e32 v36, s8, v36
	s_delay_alu instid0(VALU_DEP_4) | instskip(SKIP_3) | instid1(VALU_DEP_2)
	v_bitop3_b32 v2, v2, v35, v34 bitop3:0x80
	ds_load_b32 v33, v9 offset:64
	; wave barrier
	v_bitop3_b32 v2, v2, v36, v3 bitop3:0x80
	v_mul_u32_u24_e32 v3, 0x44, v4
	v_mbcnt_lo_u32_b32 v34, v2, 0
	v_cmp_ne_u32_e64 s2, 0, v2
	s_delay_alu instid0(VALU_DEP_3) | instskip(NEXT) | instid1(VALU_DEP_3)
	v_add_nc_u32_e32 v37, v8, v3
	v_cmp_eq_u32_e32 vcc_lo, 0, v34
	s_and_b32 s3, s2, vcc_lo
	s_delay_alu instid0(SALU_CYCLE_1)
	s_and_saveexec_b32 s2, s3
	s_cbranch_execz .LBB629_37
; %bb.36:
	s_wait_dscnt 0x0
	v_bcnt_u32_b32 v2, v2, v33
	ds_store_b32 v37, v2 offset:64
.LBB629_37:
	s_or_b32 exec_lo, exec_lo, s2
	v_xor_b32_e32 v35, 0x7fff, v5
	; wave barrier
	s_delay_alu instid0(VALU_DEP_1) | instskip(NEXT) | instid1(VALU_DEP_1)
	v_and_b32_e32 v2, 0xffff, v35
	v_lshrrev_b32_e32 v2, s20, v2
	s_delay_alu instid0(VALU_DEP_1) | instskip(NEXT) | instid1(VALU_DEP_1)
	v_and_b32_e32 v4, s25, v2
	v_lshlrev_b32_e32 v9, 30, v4
	v_bitop3_b32 v3, v2, 1, s25 bitop3:0x80
	s_delay_alu instid0(VALU_DEP_1) | instskip(NEXT) | instid1(VALU_DEP_1)
	v_add_co_u32 v2, s2, v3, -1
	v_cndmask_b32_e64 v3, 0, 1, s2
	s_delay_alu instid0(VALU_DEP_4) | instskip(NEXT) | instid1(VALU_DEP_2)
	v_cmp_gt_i32_e64 s2, 0, v9
	v_cmp_ne_u32_e32 vcc_lo, 0, v3
	v_not_b32_e32 v3, v9
	s_delay_alu instid0(VALU_DEP_1) | instskip(SKIP_3) | instid1(VALU_DEP_4)
	v_dual_ashrrev_i32 v3, 31, v3 :: v_dual_lshlrev_b32 v36, 29, v4
	v_dual_lshlrev_b32 v38, 28, v4 :: v_dual_lshlrev_b32 v39, 27, v4
	v_dual_lshlrev_b32 v40, 26, v4 :: v_dual_lshlrev_b32 v41, 25, v4
	v_lshlrev_b32_e32 v42, 24, v4
	v_cmp_gt_i32_e64 s3, 0, v36
	v_not_b32_e32 v9, v36
	v_not_b32_e32 v36, v38
	v_cmp_gt_i32_e64 s4, 0, v38
	v_cmp_gt_i32_e64 s5, 0, v39
	v_not_b32_e32 v38, v39
	v_not_b32_e32 v39, v40
	v_dual_ashrrev_i32 v9, 31, v9 :: v_dual_bitop2_b32 v2, vcc_lo, v2 bitop3:0x14
	v_dual_ashrrev_i32 v36, 31, v36 :: v_dual_bitop2_b32 v3, s2, v3 bitop3:0x14
	v_cmp_gt_i32_e64 s6, 0, v40
	v_cmp_gt_i32_e64 s7, 0, v41
	v_not_b32_e32 v40, v41
	v_not_b32_e32 v41, v42
	v_dual_ashrrev_i32 v38, 31, v38 :: v_dual_ashrrev_i32 v39, 31, v39
	v_xor_b32_e32 v9, s3, v9
	v_xor_b32_e32 v36, s4, v36
	v_bitop3_b32 v2, v2, v3, exec_lo bitop3:0x80
	v_cmp_gt_i32_e64 s8, 0, v42
	v_dual_ashrrev_i32 v3, 31, v40 :: v_dual_ashrrev_i32 v40, 31, v41
	v_xor_b32_e32 v38, s5, v38
	v_xor_b32_e32 v39, s6, v39
	v_bitop3_b32 v2, v2, v36, v9 bitop3:0x80
	v_mad_u32_u24 v9, 0x44, v4, v8
	v_xor_b32_e32 v3, s7, v3
	v_xor_b32_e32 v36, s8, v40
	s_delay_alu instid0(VALU_DEP_4) | instskip(SKIP_3) | instid1(VALU_DEP_2)
	v_bitop3_b32 v2, v2, v39, v38 bitop3:0x80
	ds_load_b32 v38, v9 offset:64
	; wave barrier
	v_bitop3_b32 v2, v2, v36, v3 bitop3:0x80
	v_mul_u32_u24_e32 v3, 0x44, v4
	v_mbcnt_lo_u32_b32 v39, v2, 0
	v_cmp_ne_u32_e64 s2, 0, v2
	s_delay_alu instid0(VALU_DEP_3) | instskip(NEXT) | instid1(VALU_DEP_3)
	v_add_nc_u32_e32 v42, v8, v3
	v_cmp_eq_u32_e32 vcc_lo, 0, v39
	s_and_b32 s3, s2, vcc_lo
	s_delay_alu instid0(SALU_CYCLE_1)
	s_and_saveexec_b32 s2, s3
	s_cbranch_execz .LBB629_39
; %bb.38:
	s_wait_dscnt 0x0
	v_bcnt_u32_b32 v2, v2, v38
	ds_store_b32 v42, v2 offset:64
.LBB629_39:
	s_or_b32 exec_lo, exec_lo, s2
	v_lshrrev_b32_e32 v2, 16, v5
	; wave barrier
	s_delay_alu instid0(VALU_DEP_1) | instskip(NEXT) | instid1(VALU_DEP_1)
	v_xor_b32_e32 v36, 0x7fff, v2
	v_and_b32_e32 v2, 0xffff, v36
	s_delay_alu instid0(VALU_DEP_1) | instskip(NEXT) | instid1(VALU_DEP_1)
	v_lshrrev_b32_e32 v2, s20, v2
	v_and_b32_e32 v4, s25, v2
	s_delay_alu instid0(VALU_DEP_1) | instskip(SKIP_2) | instid1(VALU_DEP_3)
	v_lshlrev_b32_e32 v9, 29, v4
	v_bitop3_b32 v3, v2, 1, s25 bitop3:0x80
	v_lshlrev_b32_e32 v5, 30, v4
	v_cmp_gt_i32_e64 s3, 0, v9
	s_delay_alu instid0(VALU_DEP_3) | instskip(NEXT) | instid1(VALU_DEP_1)
	v_add_co_u32 v2, s2, v3, -1
	v_cndmask_b32_e64 v3, 0, 1, s2
	s_delay_alu instid0(VALU_DEP_4) | instskip(NEXT) | instid1(VALU_DEP_2)
	v_cmp_gt_i32_e64 s2, 0, v5
	v_cmp_ne_u32_e32 vcc_lo, 0, v3
	v_not_b32_e32 v3, v5
	v_not_b32_e32 v5, v9
	s_delay_alu instid0(VALU_DEP_2) | instskip(SKIP_3) | instid1(VALU_DEP_3)
	v_dual_ashrrev_i32 v3, 31, v3 :: v_dual_bitop2_b32 v2, vcc_lo, v2 bitop3:0x14
	v_dual_lshlrev_b32 v40, 28, v4 :: v_dual_lshlrev_b32 v41, 27, v4
	v_dual_lshlrev_b32 v43, 26, v4 :: v_dual_lshlrev_b32 v44, 25, v4
	v_lshlrev_b32_e32 v45, 24, v4
	v_not_b32_e32 v9, v40
	v_cmp_gt_i32_e64 s4, 0, v40
	v_cmp_gt_i32_e64 s5, 0, v41
	v_not_b32_e32 v40, v41
	v_not_b32_e32 v41, v43
	v_dual_ashrrev_i32 v5, 31, v5 :: v_dual_bitop2_b32 v3, s2, v3 bitop3:0x14
	s_delay_alu instid0(VALU_DEP_3)
	v_dual_ashrrev_i32 v9, 31, v9 :: v_dual_ashrrev_i32 v40, 31, v40
	v_cmp_gt_i32_e64 s6, 0, v43
	v_cmp_gt_i32_e64 s7, 0, v44
	v_not_b32_e32 v43, v44
	v_not_b32_e32 v44, v45
	v_ashrrev_i32_e32 v41, 31, v41
	v_xor_b32_e32 v5, s3, v5
	v_xor_b32_e32 v9, s4, v9
	v_bitop3_b32 v2, v2, v3, exec_lo bitop3:0x80
	v_cmp_gt_i32_e64 s8, 0, v45
	v_dual_ashrrev_i32 v3, 31, v43 :: v_dual_ashrrev_i32 v43, 31, v44
	v_xor_b32_e32 v40, s5, v40
	v_xor_b32_e32 v41, s6, v41
	v_bitop3_b32 v2, v2, v9, v5 bitop3:0x80
	v_mad_u32_u24 v5, 0x44, v4, v8
	v_xor_b32_e32 v3, s7, v3
	v_xor_b32_e32 v9, s8, v43
	s_delay_alu instid0(VALU_DEP_4) | instskip(SKIP_3) | instid1(VALU_DEP_2)
	v_bitop3_b32 v2, v2, v41, v40 bitop3:0x80
	ds_load_b32 v41, v5 offset:64
	; wave barrier
	v_bitop3_b32 v2, v2, v9, v3 bitop3:0x80
	v_mul_u32_u24_e32 v3, 0x44, v4
	v_mbcnt_lo_u32_b32 v43, v2, 0
	v_cmp_ne_u32_e64 s2, 0, v2
	s_delay_alu instid0(VALU_DEP_3) | instskip(NEXT) | instid1(VALU_DEP_3)
	v_add_nc_u32_e32 v47, v8, v3
	v_cmp_eq_u32_e32 vcc_lo, 0, v43
	s_and_b32 s3, s2, vcc_lo
	s_delay_alu instid0(SALU_CYCLE_1)
	s_and_saveexec_b32 s2, s3
	s_cbranch_execz .LBB629_41
; %bb.40:
	s_wait_dscnt 0x0
	v_bcnt_u32_b32 v2, v2, v41
	ds_store_b32 v47, v2 offset:64
.LBB629_41:
	s_or_b32 exec_lo, exec_lo, s2
	v_xor_b32_e32 v40, 0x7fff, v6
	; wave barrier
	s_delay_alu instid0(VALU_DEP_1) | instskip(NEXT) | instid1(VALU_DEP_1)
	v_and_b32_e32 v2, 0xffff, v40
	v_lshrrev_b32_e32 v2, s20, v2
	s_delay_alu instid0(VALU_DEP_1) | instskip(NEXT) | instid1(VALU_DEP_1)
	v_and_b32_e32 v4, s25, v2
	v_lshlrev_b32_e32 v5, 30, v4
	v_bitop3_b32 v3, v2, 1, s25 bitop3:0x80
	s_delay_alu instid0(VALU_DEP_1) | instskip(NEXT) | instid1(VALU_DEP_1)
	v_add_co_u32 v2, s2, v3, -1
	v_cndmask_b32_e64 v3, 0, 1, s2
	s_delay_alu instid0(VALU_DEP_4) | instskip(NEXT) | instid1(VALU_DEP_2)
	v_cmp_gt_i32_e64 s2, 0, v5
	v_cmp_ne_u32_e32 vcc_lo, 0, v3
	v_not_b32_e32 v3, v5
	s_delay_alu instid0(VALU_DEP_1) | instskip(SKIP_3) | instid1(VALU_DEP_4)
	v_dual_ashrrev_i32 v3, 31, v3 :: v_dual_lshlrev_b32 v9, 29, v4
	v_dual_lshlrev_b32 v44, 28, v4 :: v_dual_lshlrev_b32 v45, 27, v4
	v_dual_lshlrev_b32 v46, 26, v4 :: v_dual_lshlrev_b32 v48, 25, v4
	v_lshlrev_b32_e32 v49, 24, v4
	v_cmp_gt_i32_e64 s3, 0, v9
	v_not_b32_e32 v5, v9
	v_not_b32_e32 v9, v44
	v_cmp_gt_i32_e64 s4, 0, v44
	v_cmp_gt_i32_e64 s5, 0, v45
	v_not_b32_e32 v44, v45
	v_not_b32_e32 v45, v46
	v_dual_ashrrev_i32 v5, 31, v5 :: v_dual_bitop2_b32 v2, vcc_lo, v2 bitop3:0x14
	v_dual_ashrrev_i32 v9, 31, v9 :: v_dual_bitop2_b32 v3, s2, v3 bitop3:0x14
	v_cmp_gt_i32_e64 s6, 0, v46
	v_cmp_gt_i32_e64 s7, 0, v48
	v_not_b32_e32 v46, v48
	v_not_b32_e32 v48, v49
	v_dual_ashrrev_i32 v44, 31, v44 :: v_dual_ashrrev_i32 v45, 31, v45
	v_xor_b32_e32 v5, s3, v5
	v_xor_b32_e32 v9, s4, v9
	v_bitop3_b32 v2, v2, v3, exec_lo bitop3:0x80
	v_cmp_gt_i32_e64 s8, 0, v49
	v_dual_ashrrev_i32 v3, 31, v46 :: v_dual_ashrrev_i32 v46, 31, v48
	v_xor_b32_e32 v44, s5, v44
	v_xor_b32_e32 v45, s6, v45
	v_bitop3_b32 v2, v2, v9, v5 bitop3:0x80
	v_mad_u32_u24 v5, 0x44, v4, v8
	v_xor_b32_e32 v3, s7, v3
	v_xor_b32_e32 v9, s8, v46
	s_delay_alu instid0(VALU_DEP_4) | instskip(SKIP_3) | instid1(VALU_DEP_2)
	v_bitop3_b32 v2, v2, v45, v44 bitop3:0x80
	ds_load_b32 v44, v5 offset:64
	; wave barrier
	v_bitop3_b32 v2, v2, v9, v3 bitop3:0x80
	v_mul_u32_u24_e32 v3, 0x44, v4
	v_mbcnt_lo_u32_b32 v46, v2, 0
	v_cmp_ne_u32_e64 s2, 0, v2
	s_delay_alu instid0(VALU_DEP_3) | instskip(NEXT) | instid1(VALU_DEP_3)
	v_add_nc_u32_e32 v51, v8, v3
	v_cmp_eq_u32_e32 vcc_lo, 0, v46
	s_and_b32 s3, s2, vcc_lo
	s_delay_alu instid0(SALU_CYCLE_1)
	s_and_saveexec_b32 s2, s3
	s_cbranch_execz .LBB629_43
; %bb.42:
	s_wait_dscnt 0x0
	v_bcnt_u32_b32 v2, v2, v44
	ds_store_b32 v51, v2 offset:64
.LBB629_43:
	s_or_b32 exec_lo, exec_lo, s2
	v_lshrrev_b32_e32 v2, 16, v6
	; wave barrier
	s_delay_alu instid0(VALU_DEP_1) | instskip(NEXT) | instid1(VALU_DEP_1)
	v_xor_b32_e32 v45, 0x7fff, v2
	v_and_b32_e32 v2, 0xffff, v45
	s_delay_alu instid0(VALU_DEP_1) | instskip(NEXT) | instid1(VALU_DEP_1)
	v_lshrrev_b32_e32 v2, s20, v2
	v_and_b32_e32 v4, s25, v2
	s_delay_alu instid0(VALU_DEP_1) | instskip(SKIP_2) | instid1(VALU_DEP_3)
	v_lshlrev_b32_e32 v6, 29, v4
	v_bitop3_b32 v3, v2, 1, s25 bitop3:0x80
	v_lshlrev_b32_e32 v5, 30, v4
	v_cmp_gt_i32_e64 s3, 0, v6
	s_delay_alu instid0(VALU_DEP_3) | instskip(NEXT) | instid1(VALU_DEP_1)
	v_add_co_u32 v2, s2, v3, -1
	v_cndmask_b32_e64 v3, 0, 1, s2
	s_delay_alu instid0(VALU_DEP_4) | instskip(NEXT) | instid1(VALU_DEP_2)
	v_cmp_gt_i32_e64 s2, 0, v5
	v_cmp_ne_u32_e32 vcc_lo, 0, v3
	v_not_b32_e32 v3, v5
	v_not_b32_e32 v5, v6
	s_delay_alu instid0(VALU_DEP_2) | instskip(SKIP_3) | instid1(VALU_DEP_3)
	v_dual_ashrrev_i32 v3, 31, v3 :: v_dual_bitop2_b32 v2, vcc_lo, v2 bitop3:0x14
	v_dual_lshlrev_b32 v9, 28, v4 :: v_dual_lshlrev_b32 v48, 27, v4
	v_dual_lshlrev_b32 v49, 26, v4 :: v_dual_lshlrev_b32 v50, 25, v4
	v_lshlrev_b32_e32 v52, 24, v4
	v_not_b32_e32 v6, v9
	v_cmp_gt_i32_e64 s4, 0, v9
	v_cmp_gt_i32_e64 s5, 0, v48
	v_not_b32_e32 v9, v48
	v_not_b32_e32 v48, v49
	v_dual_ashrrev_i32 v5, 31, v5 :: v_dual_ashrrev_i32 v6, 31, v6
	s_delay_alu instid0(VALU_DEP_3)
	v_dual_ashrrev_i32 v9, 31, v9 :: v_dual_bitop2_b32 v3, s2, v3 bitop3:0x14
	v_cmp_gt_i32_e64 s6, 0, v49
	v_cmp_gt_i32_e64 s7, 0, v50
	v_not_b32_e32 v49, v50
	v_not_b32_e32 v50, v52
	v_dual_ashrrev_i32 v48, 31, v48 :: v_dual_bitop2_b32 v5, s3, v5 bitop3:0x14
	v_xor_b32_e32 v6, s4, v6
	v_bitop3_b32 v2, v2, v3, exec_lo bitop3:0x80
	v_cmp_gt_i32_e64 s8, 0, v52
	v_dual_ashrrev_i32 v3, 31, v49 :: v_dual_ashrrev_i32 v49, 31, v50
	v_xor_b32_e32 v9, s5, v9
	v_xor_b32_e32 v48, s6, v48
	v_bitop3_b32 v2, v2, v6, v5 bitop3:0x80
	v_mad_u32_u24 v5, 0x44, v4, v8
	v_xor_b32_e32 v3, s7, v3
	v_xor_b32_e32 v6, s8, v49
	s_delay_alu instid0(VALU_DEP_4) | instskip(SKIP_3) | instid1(VALU_DEP_2)
	v_bitop3_b32 v2, v2, v48, v9 bitop3:0x80
	ds_load_b32 v48, v5 offset:64
	; wave barrier
	v_bitop3_b32 v2, v2, v6, v3 bitop3:0x80
	v_mul_u32_u24_e32 v3, 0x44, v4
	v_mbcnt_lo_u32_b32 v50, v2, 0
	v_cmp_ne_u32_e64 s2, 0, v2
	s_delay_alu instid0(VALU_DEP_3) | instskip(NEXT) | instid1(VALU_DEP_3)
	v_add_nc_u32_e32 v55, v8, v3
	v_cmp_eq_u32_e32 vcc_lo, 0, v50
	s_and_b32 s3, s2, vcc_lo
	s_delay_alu instid0(SALU_CYCLE_1)
	s_and_saveexec_b32 s2, s3
	s_cbranch_execz .LBB629_45
; %bb.44:
	s_wait_dscnt 0x0
	v_bcnt_u32_b32 v2, v2, v48
	ds_store_b32 v55, v2 offset:64
.LBB629_45:
	s_or_b32 exec_lo, exec_lo, s2
	v_xor_b32_e32 v49, 0x7fff, v7
	; wave barrier
	s_delay_alu instid0(VALU_DEP_1) | instskip(NEXT) | instid1(VALU_DEP_1)
	v_and_b32_e32 v2, 0xffff, v49
	v_lshrrev_b32_e32 v2, s20, v2
	s_delay_alu instid0(VALU_DEP_1) | instskip(NEXT) | instid1(VALU_DEP_1)
	v_and_b32_e32 v4, s25, v2
	v_lshlrev_b32_e32 v5, 30, v4
	v_bitop3_b32 v3, v2, 1, s25 bitop3:0x80
	s_delay_alu instid0(VALU_DEP_1) | instskip(NEXT) | instid1(VALU_DEP_1)
	v_add_co_u32 v2, s2, v3, -1
	v_cndmask_b32_e64 v3, 0, 1, s2
	s_delay_alu instid0(VALU_DEP_4) | instskip(NEXT) | instid1(VALU_DEP_2)
	v_cmp_gt_i32_e64 s2, 0, v5
	v_cmp_ne_u32_e32 vcc_lo, 0, v3
	v_not_b32_e32 v3, v5
	s_delay_alu instid0(VALU_DEP_1) | instskip(SKIP_3) | instid1(VALU_DEP_4)
	v_dual_ashrrev_i32 v3, 31, v3 :: v_dual_lshlrev_b32 v6, 29, v4
	v_dual_lshlrev_b32 v9, 28, v4 :: v_dual_lshlrev_b32 v52, 27, v4
	v_dual_lshlrev_b32 v53, 26, v4 :: v_dual_lshlrev_b32 v54, 25, v4
	v_lshlrev_b32_e32 v56, 24, v4
	v_cmp_gt_i32_e64 s3, 0, v6
	v_not_b32_e32 v5, v6
	v_not_b32_e32 v6, v9
	v_cmp_gt_i32_e64 s4, 0, v9
	v_cmp_gt_i32_e64 s5, 0, v52
	v_not_b32_e32 v9, v52
	v_not_b32_e32 v52, v53
	v_dual_ashrrev_i32 v5, 31, v5 :: v_dual_bitop2_b32 v2, vcc_lo, v2 bitop3:0x14
	v_dual_ashrrev_i32 v6, 31, v6 :: v_dual_bitop2_b32 v3, s2, v3 bitop3:0x14
	v_cmp_gt_i32_e64 s6, 0, v53
	v_cmp_gt_i32_e64 s7, 0, v54
	v_not_b32_e32 v53, v54
	v_not_b32_e32 v54, v56
	v_dual_ashrrev_i32 v9, 31, v9 :: v_dual_ashrrev_i32 v52, 31, v52
	v_xor_b32_e32 v5, s3, v5
	v_xor_b32_e32 v6, s4, v6
	v_bitop3_b32 v2, v2, v3, exec_lo bitop3:0x80
	v_cmp_gt_i32_e64 s8, 0, v56
	v_dual_ashrrev_i32 v3, 31, v53 :: v_dual_ashrrev_i32 v53, 31, v54
	v_xor_b32_e32 v9, s5, v9
	v_xor_b32_e32 v52, s6, v52
	v_bitop3_b32 v2, v2, v6, v5 bitop3:0x80
	v_mad_u32_u24 v5, 0x44, v4, v8
	v_xor_b32_e32 v3, s7, v3
	v_xor_b32_e32 v6, s8, v53
	s_delay_alu instid0(VALU_DEP_4) | instskip(SKIP_3) | instid1(VALU_DEP_2)
	v_bitop3_b32 v2, v2, v52, v9 bitop3:0x80
	ds_load_b32 v52, v5 offset:64
	; wave barrier
	v_bitop3_b32 v2, v2, v6, v3 bitop3:0x80
	v_mul_u32_u24_e32 v3, 0x44, v4
	v_mbcnt_lo_u32_b32 v53, v2, 0
	v_cmp_ne_u32_e64 s2, 0, v2
	s_delay_alu instid0(VALU_DEP_3) | instskip(NEXT) | instid1(VALU_DEP_3)
	v_add_nc_u32_e32 v58, v8, v3
	v_cmp_eq_u32_e32 vcc_lo, 0, v53
	s_and_b32 s3, s2, vcc_lo
	s_delay_alu instid0(SALU_CYCLE_1)
	s_and_saveexec_b32 s2, s3
	s_cbranch_execz .LBB629_47
; %bb.46:
	s_wait_dscnt 0x0
	v_bcnt_u32_b32 v2, v2, v52
	ds_store_b32 v58, v2 offset:64
.LBB629_47:
	s_or_b32 exec_lo, exec_lo, s2
	v_lshrrev_b32_e32 v2, 16, v7
	; wave barrier
	s_delay_alu instid0(VALU_DEP_1) | instskip(NEXT) | instid1(VALU_DEP_1)
	v_xor_b32_e32 v54, 0x7fff, v2
	v_and_b32_e32 v2, 0xffff, v54
	s_delay_alu instid0(VALU_DEP_1) | instskip(NEXT) | instid1(VALU_DEP_1)
	v_lshrrev_b32_e32 v2, s20, v2
	v_and_b32_e32 v4, s25, v2
	s_delay_alu instid0(VALU_DEP_1) | instskip(SKIP_2) | instid1(VALU_DEP_3)
	v_lshlrev_b32_e32 v6, 29, v4
	v_bitop3_b32 v3, v2, 1, s25 bitop3:0x80
	v_lshlrev_b32_e32 v5, 30, v4
	v_cmp_gt_i32_e64 s3, 0, v6
	s_delay_alu instid0(VALU_DEP_3) | instskip(NEXT) | instid1(VALU_DEP_1)
	v_add_co_u32 v2, s2, v3, -1
	v_cndmask_b32_e64 v3, 0, 1, s2
	s_delay_alu instid0(VALU_DEP_4) | instskip(NEXT) | instid1(VALU_DEP_2)
	v_cmp_gt_i32_e64 s2, 0, v5
	v_cmp_ne_u32_e32 vcc_lo, 0, v3
	v_not_b32_e32 v3, v5
	v_not_b32_e32 v5, v6
	s_delay_alu instid0(VALU_DEP_2) | instskip(SKIP_3) | instid1(VALU_DEP_3)
	v_dual_ashrrev_i32 v3, 31, v3 :: v_dual_bitop2_b32 v2, vcc_lo, v2 bitop3:0x14
	v_dual_lshlrev_b32 v7, 28, v4 :: v_dual_lshlrev_b32 v9, 27, v4
	v_dual_lshlrev_b32 v56, 26, v4 :: v_dual_lshlrev_b32 v57, 25, v4
	v_lshlrev_b32_e32 v59, 24, v4
	v_not_b32_e32 v6, v7
	v_cmp_gt_i32_e64 s4, 0, v7
	v_cmp_gt_i32_e64 s5, 0, v9
	v_not_b32_e32 v7, v9
	v_not_b32_e32 v9, v56
	v_dual_ashrrev_i32 v5, 31, v5 :: v_dual_ashrrev_i32 v6, 31, v6
	v_xor_b32_e32 v3, s2, v3
	v_cmp_gt_i32_e64 s6, 0, v56
	v_cmp_gt_i32_e64 s7, 0, v57
	v_not_b32_e32 v56, v57
	v_not_b32_e32 v57, v59
	v_dual_ashrrev_i32 v7, 31, v7 :: v_dual_bitop2_b32 v5, s3, v5 bitop3:0x14
	v_dual_ashrrev_i32 v9, 31, v9 :: v_dual_bitop2_b32 v6, s4, v6 bitop3:0x14
	v_bitop3_b32 v2, v2, v3, exec_lo bitop3:0x80
	v_cmp_gt_i32_e64 s8, 0, v59
	v_dual_ashrrev_i32 v3, 31, v56 :: v_dual_ashrrev_i32 v56, 31, v57
	v_xor_b32_e32 v7, s5, v7
	v_xor_b32_e32 v9, s6, v9
	v_bitop3_b32 v2, v2, v6, v5 bitop3:0x80
	v_mad_u32_u24 v5, 0x44, v4, v8
	v_xor_b32_e32 v3, s7, v3
	v_xor_b32_e32 v6, s8, v56
	s_delay_alu instid0(VALU_DEP_4) | instskip(SKIP_3) | instid1(VALU_DEP_2)
	v_bitop3_b32 v2, v2, v9, v7 bitop3:0x80
	ds_load_b32 v56, v5 offset:64
	; wave barrier
	v_bitop3_b32 v2, v2, v6, v3 bitop3:0x80
	v_mul_u32_u24_e32 v3, 0x44, v4
	v_mbcnt_lo_u32_b32 v57, v2, 0
	v_cmp_ne_u32_e64 s2, 0, v2
	s_delay_alu instid0(VALU_DEP_3) | instskip(NEXT) | instid1(VALU_DEP_3)
	v_add_nc_u32_e32 v59, v8, v3
	v_cmp_eq_u32_e32 vcc_lo, 0, v57
	s_and_b32 s3, s2, vcc_lo
	s_delay_alu instid0(SALU_CYCLE_1)
	s_and_saveexec_b32 s2, s3
	s_cbranch_execz .LBB629_49
; %bb.48:
	s_wait_dscnt 0x0
	v_bcnt_u32_b32 v2, v2, v56
	ds_store_b32 v59, v2 offset:64
.LBB629_49:
	s_or_b32 exec_lo, exec_lo, s2
	; wave barrier
	s_wait_dscnt 0x0
	s_barrier_signal -1
	s_barrier_wait -1
	ds_load_2addr_b32 v[8:9], v13 offset0:16 offset1:17
	ds_load_2addr_b32 v[6:7], v13 offset0:18 offset1:19
	;; [unrolled: 1-line block ×4, first 2 shown]
	ds_load_b32 v60, v13 offset:96
	s_mov_b32 s6, exec_lo
	s_wait_dscnt 0x3
	v_add3_u32 v61, v9, v8, v6
	s_wait_dscnt 0x2
	s_delay_alu instid0(VALU_DEP_1) | instskip(SKIP_1) | instid1(VALU_DEP_1)
	v_add3_u32 v61, v61, v7, v4
	s_wait_dscnt 0x1
	v_add3_u32 v61, v61, v5, v2
	s_wait_dscnt 0x0
	s_delay_alu instid0(VALU_DEP_1) | instskip(SKIP_1) | instid1(VALU_DEP_2)
	v_add3_u32 v60, v61, v3, v60
	v_and_b32_e32 v61, 15, v14
	v_mov_b32_dpp v62, v60 row_shr:1 row_mask:0xf bank_mask:0xf
	s_delay_alu instid0(VALU_DEP_2) | instskip(NEXT) | instid1(VALU_DEP_2)
	v_cmp_eq_u32_e32 vcc_lo, 0, v61
	v_cndmask_b32_e64 v62, v62, 0, vcc_lo
	s_delay_alu instid0(VALU_DEP_1) | instskip(SKIP_3) | instid1(VALU_DEP_4)
	v_add_nc_u32_e32 v60, v62, v60
	v_cmp_lt_u32_e64 s2, 1, v61
	v_cmp_lt_u32_e64 s3, 3, v61
	;; [unrolled: 1-line block ×3, first 2 shown]
	v_mov_b32_dpp v62, v60 row_shr:2 row_mask:0xf bank_mask:0xf
	s_delay_alu instid0(VALU_DEP_1) | instskip(NEXT) | instid1(VALU_DEP_1)
	v_cndmask_b32_e64 v62, 0, v62, s2
	v_add_nc_u32_e32 v60, v60, v62
	s_delay_alu instid0(VALU_DEP_1) | instskip(NEXT) | instid1(VALU_DEP_1)
	v_mov_b32_dpp v62, v60 row_shr:4 row_mask:0xf bank_mask:0xf
	v_cndmask_b32_e64 v62, 0, v62, s3
	s_delay_alu instid0(VALU_DEP_1) | instskip(NEXT) | instid1(VALU_DEP_1)
	v_add_nc_u32_e32 v60, v60, v62
	v_mov_b32_dpp v62, v60 row_shr:8 row_mask:0xf bank_mask:0xf
	s_delay_alu instid0(VALU_DEP_1) | instskip(SKIP_1) | instid1(VALU_DEP_2)
	v_cndmask_b32_e64 v61, 0, v62, s4
	v_bfe_i32 v62, v14, 4, 1
	v_add_nc_u32_e32 v60, v60, v61
	ds_swizzle_b32 v61, v60 offset:swizzle(BROADCAST,32,15)
	s_wait_dscnt 0x0
	v_and_b32_e32 v61, v62, v61
	v_min_u32_e32 v62, 0x1e0, v15
	s_delay_alu instid0(VALU_DEP_1) | instskip(SKIP_1) | instid1(VALU_DEP_2)
	v_dual_add_nc_u32 v60, v60, v61 :: v_dual_bitop2_b32 v62, 31, v62 bitop3:0x54
	v_lshrrev_b32_e32 v61, 5, v1
	v_cmpx_eq_u32_e64 v1, v62
; %bb.50:
	s_delay_alu instid0(VALU_DEP_2)
	v_lshlrev_b32_e32 v62, 2, v61
	ds_store_b32 v62, v60
; %bb.51:
	s_or_b32 exec_lo, exec_lo, s6
	s_delay_alu instid0(SALU_CYCLE_1)
	s_mov_b32 s6, exec_lo
	s_wait_dscnt 0x0
	s_barrier_signal -1
	s_barrier_wait -1
	v_cmpx_gt_u32_e32 16, v1
	s_cbranch_execz .LBB629_53
; %bb.52:
	v_lshlrev_b32_e32 v62, 2, v1
	ds_load_b32 v63, v62
	s_wait_dscnt 0x0
	v_mov_b32_dpp v64, v63 row_shr:1 row_mask:0xf bank_mask:0xf
	s_delay_alu instid0(VALU_DEP_1) | instskip(NEXT) | instid1(VALU_DEP_1)
	v_cndmask_b32_e64 v64, v64, 0, vcc_lo
	v_add_nc_u32_e32 v63, v64, v63
	s_delay_alu instid0(VALU_DEP_1) | instskip(NEXT) | instid1(VALU_DEP_1)
	v_mov_b32_dpp v64, v63 row_shr:2 row_mask:0xf bank_mask:0xf
	v_cndmask_b32_e64 v64, 0, v64, s2
	s_delay_alu instid0(VALU_DEP_1) | instskip(NEXT) | instid1(VALU_DEP_1)
	v_add_nc_u32_e32 v63, v63, v64
	v_mov_b32_dpp v64, v63 row_shr:4 row_mask:0xf bank_mask:0xf
	s_delay_alu instid0(VALU_DEP_1) | instskip(NEXT) | instid1(VALU_DEP_1)
	v_cndmask_b32_e64 v64, 0, v64, s3
	v_add_nc_u32_e32 v63, v63, v64
	s_delay_alu instid0(VALU_DEP_1) | instskip(NEXT) | instid1(VALU_DEP_1)
	v_mov_b32_dpp v64, v63 row_shr:8 row_mask:0xf bank_mask:0xf
	v_cndmask_b32_e64 v64, 0, v64, s4
	s_delay_alu instid0(VALU_DEP_1)
	v_add_nc_u32_e32 v63, v63, v64
	ds_store_b32 v62, v63
.LBB629_53:
	s_or_b32 exec_lo, exec_lo, s6
	v_mov_b32_e32 v62, 0
	s_mov_b32 s2, exec_lo
	s_wait_dscnt 0x0
	s_barrier_signal -1
	s_barrier_wait -1
	v_cmpx_lt_u32_e32 31, v1
; %bb.54:
	v_lshl_add_u32 v61, v61, 2, -4
	ds_load_b32 v62, v61
; %bb.55:
	s_or_b32 exec_lo, exec_lo, s2
	v_sub_co_u32 v61, vcc_lo, v14, 1
	s_wait_dscnt 0x0
	v_add_nc_u32_e32 v60, v62, v60
	s_delay_alu instid0(VALU_DEP_2) | instskip(NEXT) | instid1(VALU_DEP_1)
	v_cmp_gt_i32_e64 s2, 0, v61
	v_cndmask_b32_e64 v61, v61, v14, s2
	v_cmp_gt_u32_e64 s2, 0x100, v1
	s_delay_alu instid0(VALU_DEP_2) | instskip(SKIP_4) | instid1(VALU_DEP_2)
	v_lshlrev_b32_e32 v61, 2, v61
	ds_bpermute_b32 v60, v61, v60
	s_wait_dscnt 0x0
	v_cndmask_b32_e32 v60, v60, v62, vcc_lo
	v_cmp_ne_u32_e32 vcc_lo, 0, v1
	v_cndmask_b32_e32 v60, 0, v60, vcc_lo
	v_cmp_lt_u32_e32 vcc_lo, 0xff, v1
	s_delay_alu instid0(VALU_DEP_2) | instskip(NEXT) | instid1(VALU_DEP_1)
	v_add_nc_u32_e32 v8, v60, v8
	v_add_nc_u32_e32 v9, v8, v9
	s_delay_alu instid0(VALU_DEP_1) | instskip(NEXT) | instid1(VALU_DEP_1)
	v_add_nc_u32_e32 v6, v9, v6
	v_add_nc_u32_e32 v7, v6, v7
	s_delay_alu instid0(VALU_DEP_1) | instskip(NEXT) | instid1(VALU_DEP_1)
	;; [unrolled: 3-line block ×3, first 2 shown]
	v_add_nc_u32_e32 v2, v5, v2
	v_add_nc_u32_e32 v3, v2, v3
	ds_store_2addr_b32 v13, v60, v8 offset0:16 offset1:17
	ds_store_2addr_b32 v13, v9, v6 offset0:18 offset1:19
	;; [unrolled: 1-line block ×4, first 2 shown]
	ds_store_b32 v13, v3 offset:96
	s_wait_dscnt 0x0
	s_barrier_signal -1
	s_barrier_wait -1
	ds_load_b32 v61, v16 offset:64
	ds_load_b32 v62, v20 offset:64
	;; [unrolled: 1-line block ×12, first 2 shown]
	v_mov_b64_e32 v[2:3], 0
                                        ; implicit-def: $vgpr4
	s_and_saveexec_b32 s4, s2
	s_cbranch_execz .LBB629_59
; %bb.56:
	v_mul_u32_u24_e32 v2, 0x44, v1
	v_dual_mov_b32 v3, 0x1800 :: v_dual_add_nc_u32 v4, 1, v1
	s_mov_b32 s5, exec_lo
	ds_load_b32 v2, v2 offset:64
	v_cmpx_ne_u32_e32 0x100, v4
; %bb.57:
	v_mul_u32_u24_e32 v3, 0x44, v4
	ds_load_b32 v3, v3 offset:64
; %bb.58:
	s_or_b32 exec_lo, exec_lo, s5
	s_wait_dscnt 0x0
	v_dual_mov_b32 v3, 0 :: v_dual_sub_nc_u32 v4, v3, v2
.LBB629_59:
	s_or_b32 exec_lo, exec_lo, s4
	s_wait_dscnt 0xa
	v_dual_lshlrev_b32 v11, 1, v11 :: v_dual_lshlrev_b32 v28, 1, v62
	v_dual_lshlrev_b32 v19, 1, v19 :: v_dual_lshlrev_b32 v18, 1, v18
	v_lshlrev_b32_e32 v22, 1, v22
	s_delay_alu instid0(VALU_DEP_3)
	v_lshl_add_u32 v11, v61, 1, v11
	v_lshlrev_b32_e32 v23, 1, v23
	s_wait_dscnt 0x0
	v_add3_u32 v18, v28, v19, v18
	v_lshlrev_b32_e32 v19, 1, v60
	s_barrier_signal -1
	s_barrier_wait -1
	ds_store_b16 v11, v10 offset:2048
	ds_store_b16 v18, v12 offset:2048
	v_lshlrev_b32_e32 v11, 1, v24
	v_add3_u32 v10, v19, v23, v22
	v_dual_lshlrev_b32 v12, 1, v27 :: v_dual_lshlrev_b32 v18, 1, v26
	v_dual_lshlrev_b32 v22, 1, v29 :: v_dual_lshlrev_b32 v16, 1, v16
	;; [unrolled: 1-line block ×6, first 2 shown]
	ds_store_b16 v10, v17 offset:2048
	v_add3_u32 v10, v11, v12, v18
	v_add3_u32 v12, v16, v23, v24
	v_dual_lshlrev_b32 v16, 1, v43 :: v_dual_lshlrev_b32 v17, 1, v41
	v_add3_u32 v11, v19, v20, v22
	v_add3_u32 v13, v13, v26, v27
	ds_store_b16 v10, v21 offset:2048
	ds_store_b16 v11, v25 offset:2048
	;; [unrolled: 1-line block ×4, first 2 shown]
	v_add3_u32 v9, v9, v16, v17
	v_dual_lshlrev_b32 v8, 1, v8 :: v_dual_lshlrev_b32 v10, 1, v46
	v_dual_lshlrev_b32 v11, 1, v44 :: v_dual_lshlrev_b32 v7, 1, v7
	;; [unrolled: 1-line block ×6, first 2 shown]
	ds_store_b16 v9, v36 offset:2048
	v_add3_u32 v8, v8, v10, v11
	v_add3_u32 v9, v7, v12, v13
	;; [unrolled: 1-line block ×3, first 2 shown]
	v_dual_mov_b32 v7, 0 :: v_dual_lshlrev_b32 v5, 3, v1
	v_add3_u32 v6, v6, v16, v17
	ds_store_b16 v8, v40 offset:2048
	ds_store_b16 v9, v45 offset:2048
	;; [unrolled: 1-line block ×4, first 2 shown]
	s_and_saveexec_b32 s3, s2
	s_cbranch_execz .LBB629_69
; %bb.60:
	v_lshl_add_u32 v6, s9, 8, v1
	v_dual_mov_b32 v10, 0 :: v_dual_bitop2_b32 v11, 2.0, v4 bitop3:0x54
	s_mov_b32 s4, 0
	s_mov_b32 s5, s9
	s_delay_alu instid0(VALU_DEP_2)
	v_lshl_add_u64 v[8:9], v[6:7], 2, s[10:11]
	global_store_b32 v6, v11, s[10:11] scale_offset scope:SCOPE_DEV
                                        ; implicit-def: $sgpr2
	s_branch .LBB629_63
.LBB629_61:                             ;   in Loop: Header=BB629_63 Depth=1
	s_or_b32 exec_lo, exec_lo, s7
.LBB629_62:                             ;   in Loop: Header=BB629_63 Depth=1
	s_delay_alu instid0(SALU_CYCLE_1) | instskip(SKIP_2) | instid1(VALU_DEP_2)
	s_or_b32 exec_lo, exec_lo, s6
	v_and_b32_e32 v6, 0x3fffffff, v11
	v_cmp_gt_i32_e64 s2, -2.0, v11
	v_add_nc_u32_e32 v10, v6, v10
	s_and_b32 s6, exec_lo, s2
	s_delay_alu instid0(SALU_CYCLE_1) | instskip(NEXT) | instid1(SALU_CYCLE_1)
	s_or_b32 s4, s6, s4
	s_and_not1_b32 exec_lo, exec_lo, s4
	s_cbranch_execz .LBB629_68
.LBB629_63:                             ; =>This Loop Header: Depth=1
                                        ;     Child Loop BB629_66 Depth 2
	s_or_b32 s2, s2, exec_lo
	s_cmp_eq_u32 s5, 0
	s_cbranch_scc1 .LBB629_67
; %bb.64:                               ;   in Loop: Header=BB629_63 Depth=1
	s_add_co_i32 s5, s5, -1
	s_mov_b32 s6, exec_lo
	s_wait_xcnt 0x0
	v_lshl_or_b32 v6, s5, 8, v1
	global_load_b32 v11, v6, s[10:11] scale_offset scope:SCOPE_DEV
	s_wait_loadcnt 0x0
	v_cmpx_gt_u32_e32 2.0, v11
	s_cbranch_execz .LBB629_62
; %bb.65:                               ;   in Loop: Header=BB629_63 Depth=1
	v_lshl_add_u64 v[12:13], v[6:7], 2, s[10:11]
	s_mov_b32 s7, 0
.LBB629_66:                             ;   Parent Loop BB629_63 Depth=1
                                        ; =>  This Inner Loop Header: Depth=2
	global_load_b32 v11, v[12:13], off scope:SCOPE_DEV
	s_wait_loadcnt 0x0
	v_cmp_lt_u32_e64 s2, 0x3fffffff, v11
	s_or_b32 s7, s2, s7
	s_wait_xcnt 0x0
	s_and_not1_b32 exec_lo, exec_lo, s7
	s_cbranch_execnz .LBB629_66
	s_branch .LBB629_61
.LBB629_67:                             ;   in Loop: Header=BB629_63 Depth=1
                                        ; implicit-def: $sgpr5
	s_and_b32 s6, exec_lo, s2
	s_delay_alu instid0(SALU_CYCLE_1)
	s_or_b32 s4, s6, s4
	s_wait_xcnt 0x0
	s_and_not1_b32 exec_lo, exec_lo, s4
	s_cbranch_execnz .LBB629_63
.LBB629_68:
	s_or_b32 exec_lo, exec_lo, s4
	v_dual_mov_b32 v11, 0 :: v_dual_add_nc_u32 v6, v10, v4
	s_delay_alu instid0(VALU_DEP_1) | instskip(SKIP_4) | instid1(VALU_DEP_1)
	v_or_b32_e32 v6, 0x80000000, v6
	global_store_b32 v[8:9], v6, off scope:SCOPE_DEV
	global_load_b64 v[6:7], v1, s[12:13] scale_offset
	v_sub_nc_u64_e32 v[8:9], v[10:11], v[2:3]
	s_wait_loadcnt 0x0
	v_add_nc_u64_e32 v[6:7], v[8:9], v[6:7]
	ds_store_b64 v5, v[6:7]
.LBB629_69:
	s_wait_xcnt 0x0
	s_or_b32 exec_lo, exec_lo, s3
	v_mad_i32_i24 v8, v1, -6, v5
	v_lshlrev_b32_e32 v6, 1, v1
	s_mov_b32 s3, exec_lo
	s_wait_storecnt_dscnt 0x0
	s_barrier_signal -1
	s_barrier_wait -1
	v_cmpx_gt_u32_e64 s22, v1
	s_cbranch_execz .LBB629_71
; %bb.70:
	ds_load_u16 v9, v8 offset:2048
	s_wait_dscnt 0x0
	v_and_b32_e32 v7, 0xffff, v9
	s_delay_alu instid0(VALU_DEP_1) | instskip(NEXT) | instid1(VALU_DEP_1)
	v_lshrrev_b32_e32 v7, s20, v7
	v_and_b32_e32 v7, s25, v7
	s_delay_alu instid0(VALU_DEP_1) | instskip(SKIP_4) | instid1(VALU_DEP_1)
	v_lshlrev_b32_e32 v7, 3, v7
	ds_load_b64 v[10:11], v7
	v_mov_b32_e32 v7, 0
	s_wait_dscnt 0x0
	v_lshl_add_u64 v[10:11], v[10:11], 1, s[18:19]
	v_add_nc_u64_e32 v[10:11], v[10:11], v[6:7]
	v_xor_b32_e32 v7, 0x7fff, v9
	global_store_b16 v[10:11], v7, off
.LBB629_71:
	s_wait_xcnt 0x0
	s_or_b32 exec_lo, exec_lo, s3
	v_add_nc_u32_e32 v7, 0x200, v1
	s_mov_b32 s3, exec_lo
	s_delay_alu instid0(VALU_DEP_1)
	v_cmpx_gt_u32_e64 s22, v7
	s_cbranch_execz .LBB629_73
; %bb.72:
	ds_load_u16 v9, v8 offset:3072
	s_wait_dscnt 0x0
	v_and_b32_e32 v7, 0xffff, v9
	s_delay_alu instid0(VALU_DEP_1) | instskip(NEXT) | instid1(VALU_DEP_1)
	v_lshrrev_b32_e32 v7, s20, v7
	v_and_b32_e32 v7, s25, v7
	s_delay_alu instid0(VALU_DEP_1) | instskip(SKIP_4) | instid1(VALU_DEP_1)
	v_lshlrev_b32_e32 v7, 3, v7
	ds_load_b64 v[10:11], v7
	v_mov_b32_e32 v7, 0
	s_wait_dscnt 0x0
	v_lshl_add_u64 v[10:11], v[10:11], 1, s[18:19]
	v_add_nc_u64_e32 v[10:11], v[10:11], v[6:7]
	v_xor_b32_e32 v7, 0x7fff, v9
	global_store_b16 v[10:11], v7, off offset:1024
.LBB629_73:
	s_wait_xcnt 0x0
	s_or_b32 exec_lo, exec_lo, s3
	v_or_b32_e32 v7, 0x400, v1
	s_mov_b32 s3, exec_lo
	s_delay_alu instid0(VALU_DEP_1)
	v_cmpx_gt_u32_e64 s22, v7
	s_cbranch_execz .LBB629_75
; %bb.74:
	ds_load_u16 v9, v8 offset:4096
	s_wait_dscnt 0x0
	v_and_b32_e32 v7, 0xffff, v9
	s_delay_alu instid0(VALU_DEP_1) | instskip(NEXT) | instid1(VALU_DEP_1)
	v_lshrrev_b32_e32 v7, s20, v7
	v_and_b32_e32 v7, s25, v7
	s_delay_alu instid0(VALU_DEP_1) | instskip(SKIP_4) | instid1(VALU_DEP_1)
	v_lshlrev_b32_e32 v7, 3, v7
	ds_load_b64 v[10:11], v7
	v_mov_b32_e32 v7, 0
	s_wait_dscnt 0x0
	v_lshl_add_u64 v[10:11], v[10:11], 1, s[18:19]
	v_add_nc_u64_e32 v[10:11], v[10:11], v[6:7]
	v_xor_b32_e32 v7, 0x7fff, v9
	global_store_b16 v[10:11], v7, off offset:2048
.LBB629_75:
	s_wait_xcnt 0x0
	s_or_b32 exec_lo, exec_lo, s3
	v_add_nc_u32_e32 v7, 0x600, v1
	s_mov_b32 s3, exec_lo
	s_delay_alu instid0(VALU_DEP_1)
	v_cmpx_gt_u32_e64 s22, v7
	s_cbranch_execz .LBB629_77
; %bb.76:
	ds_load_u16 v9, v8 offset:5120
	s_wait_dscnt 0x0
	v_and_b32_e32 v7, 0xffff, v9
	s_delay_alu instid0(VALU_DEP_1) | instskip(NEXT) | instid1(VALU_DEP_1)
	v_lshrrev_b32_e32 v7, s20, v7
	v_and_b32_e32 v7, s25, v7
	s_delay_alu instid0(VALU_DEP_1) | instskip(SKIP_4) | instid1(VALU_DEP_1)
	v_lshlrev_b32_e32 v7, 3, v7
	ds_load_b64 v[10:11], v7
	v_mov_b32_e32 v7, 0
	s_wait_dscnt 0x0
	v_lshl_add_u64 v[10:11], v[10:11], 1, s[18:19]
	v_add_nc_u64_e32 v[10:11], v[10:11], v[6:7]
	v_xor_b32_e32 v7, 0x7fff, v9
	global_store_b16 v[10:11], v7, off offset:3072
.LBB629_77:
	s_wait_xcnt 0x0
	s_or_b32 exec_lo, exec_lo, s3
	v_or_b32_e32 v7, 0x800, v1
	s_mov_b32 s3, exec_lo
	s_delay_alu instid0(VALU_DEP_1)
	v_cmpx_gt_u32_e64 s22, v7
	s_cbranch_execz .LBB629_79
; %bb.78:
	ds_load_u16 v9, v8 offset:6144
	s_wait_dscnt 0x0
	v_and_b32_e32 v7, 0xffff, v9
	s_delay_alu instid0(VALU_DEP_1) | instskip(NEXT) | instid1(VALU_DEP_1)
	v_lshrrev_b32_e32 v7, s20, v7
	v_and_b32_e32 v7, s25, v7
	s_delay_alu instid0(VALU_DEP_1) | instskip(SKIP_4) | instid1(VALU_DEP_1)
	v_lshlrev_b32_e32 v7, 3, v7
	ds_load_b64 v[10:11], v7
	v_mov_b32_e32 v7, 0
	s_wait_dscnt 0x0
	v_lshl_add_u64 v[10:11], v[10:11], 1, s[18:19]
	v_add_nc_u64_e32 v[10:11], v[10:11], v[6:7]
	v_xor_b32_e32 v7, 0x7fff, v9
	global_store_b16 v[10:11], v7, off offset:4096
.LBB629_79:
	;; [unrolled: 48-line block ×5, first 2 shown]
	s_wait_xcnt 0x0
	s_or_b32 exec_lo, exec_lo, s3
	v_add_nc_u32_e32 v7, 0x1600, v1
	s_mov_b32 s3, exec_lo
	s_delay_alu instid0(VALU_DEP_1)
	v_cmpx_gt_u32_e64 s22, v7
	s_cbranch_execz .LBB629_93
; %bb.92:
	ds_load_u16 v10, v6 offset:13312
	s_wait_dscnt 0x0
	v_and_b32_e32 v7, 0xffff, v10
	s_delay_alu instid0(VALU_DEP_1) | instskip(NEXT) | instid1(VALU_DEP_1)
	v_lshrrev_b32_e32 v7, s20, v7
	v_and_b32_e32 v7, s25, v7
	s_delay_alu instid0(VALU_DEP_1) | instskip(SKIP_4) | instid1(VALU_DEP_1)
	v_lshlrev_b32_e32 v7, 3, v7
	ds_load_b64 v[8:9], v7
	v_mov_b32_e32 v7, 0
	s_wait_dscnt 0x0
	v_lshl_add_u64 v[8:9], v[8:9], 1, s[18:19]
	v_add_nc_u64_e32 v[6:7], v[8:9], v[6:7]
	v_xor_b32_e32 v8, 0x7fff, v10
	global_store_b16 v[6:7], v8, off offset:11264
.LBB629_93:
	s_wait_xcnt 0x0
	s_or_b32 exec_lo, exec_lo, s3
	s_add_co_i32 s23, s23, -1
	s_delay_alu instid0(SALU_CYCLE_1) | instskip(SKIP_2) | instid1(SALU_CYCLE_1)
	s_cmp_eq_u32 s9, s23
	s_cselect_b32 s2, -1, 0
	s_xor_b32 s3, vcc_lo, -1
	s_and_b32 s3, s3, s2
	s_delay_alu instid0(SALU_CYCLE_1)
	s_and_saveexec_b32 s2, s3
	s_cbranch_execz .LBB629_95
; %bb.94:
	ds_load_b64 v[6:7], v5
	v_mov_b32_e32 v5, 0
	s_delay_alu instid0(VALU_DEP_1) | instskip(SKIP_1) | instid1(VALU_DEP_1)
	v_add_nc_u64_e32 v[2:3], v[2:3], v[4:5]
	s_wait_dscnt 0x0
	v_add_nc_u64_e32 v[2:3], v[2:3], v[6:7]
	global_store_b64 v1, v[2:3], s[14:15] scale_offset
.LBB629_95:
	s_wait_xcnt 0x0
	s_or_b32 exec_lo, exec_lo, s2
	s_mov_b32 s2, 0
.LBB629_96:
	s_delay_alu instid0(SALU_CYCLE_1)
	s_and_b32 vcc_lo, exec_lo, s2
	s_cbranch_vccz .LBB629_143
; %bb.97:
	s_mov_b32 s25, 0
	v_dual_mov_b32 v9, 0 :: v_dual_lshlrev_b32 v8, 1, v14
	s_lshl_b64 s[2:3], s[24:25], 1
	v_mul_u32_u24_e32 v1, 12, v15
	s_add_nc_u64 s[2:3], s[16:17], s[2:3]
	v_bfe_u32 v17, v0, 20, 10
	v_add_nc_u64_e32 v[2:3], s[2:3], v[8:9]
	s_delay_alu instid0(VALU_DEP_3) | instskip(NEXT) | instid1(VALU_DEP_1)
	v_lshlrev_b32_e32 v8, 1, v1
	v_add_nc_u64_e32 v[12:13], v[2:3], v[8:9]
	s_clause 0xb
	global_load_u16 v8, v[12:13], off
	global_load_u16 v10, v[12:13], off offset:64
	global_load_u16 v16, v[12:13], off offset:128
	;; [unrolled: 1-line block ×11, first 2 shown]
	s_clause 0x1
	s_load_b32 s7, s[0:1], 0x58
	s_load_u16 s2, s[0:1], 0x66
	v_bfe_u32 v13, v0, 10, 10
	v_and_b32_e32 v12, 0x3ff, v0
	s_wait_kmcnt 0x0
	s_cmp_lt_u32 s9, s7
	s_delay_alu instid0(VALU_DEP_2)
	v_mad_u32_u24 v0, v17, s2, v13
	s_cselect_b32 s24, 12, 18
	s_lshl_b32 s8, -1, s21
	s_add_nc_u64 s[0:1], s[26:27], s[24:25]
	s_load_u16 s16, s[0:1], 0x0
	s_wait_kmcnt 0x0
	v_mad_u32 v0, v0, s16, v12
	s_delay_alu instid0(VALU_DEP_1) | instskip(NEXT) | instid1(VALU_DEP_1)
	v_lshrrev_b32_e32 v0, 5, v0
	v_lshlrev_b32_e32 v0, 2, v0
	s_wait_loadcnt 0xb
	v_xor_b32_e32 v8, 0x7fff, v8
	s_delay_alu instid0(VALU_DEP_1) | instskip(NEXT) | instid1(VALU_DEP_1)
	v_and_b32_e32 v11, 0xffff, v8
	v_lshrrev_b32_e32 v11, s20, v11
	s_delay_alu instid0(VALU_DEP_1) | instskip(SKIP_2) | instid1(VALU_DEP_2)
	v_bitop3_b32 v13, v11, 1, s8 bitop3:0x40
	v_bitop3_b32 v18, v11, s8, v11 bitop3:0x30
	s_not_b32 s8, s8
	v_add_co_u32 v11, s0, v13, -1
	s_delay_alu instid0(VALU_DEP_1) | instskip(NEXT) | instid1(VALU_DEP_3)
	v_cndmask_b32_e64 v13, 0, 1, s0
	v_dual_lshlrev_b32 v17, 30, v18 :: v_dual_lshlrev_b32 v19, 29, v18
	v_dual_lshlrev_b32 v21, 28, v18 :: v_dual_lshlrev_b32 v22, 27, v18
	s_delay_alu instid0(VALU_DEP_3) | instskip(NEXT) | instid1(VALU_DEP_3)
	v_cmp_ne_u32_e32 vcc_lo, 0, v13
	v_not_b32_e32 v13, v17
	v_dual_lshlrev_b32 v23, 26, v18 :: v_dual_lshlrev_b32 v25, 25, v18
	v_lshlrev_b32_e32 v26, 24, v18
	v_cmp_gt_i32_e64 s0, 0, v17
	v_cmp_gt_i32_e64 s1, 0, v19
	v_not_b32_e32 v17, v19
	v_not_b32_e32 v19, v21
	v_ashrrev_i32_e32 v13, 31, v13
	v_cmp_gt_i32_e64 s2, 0, v21
	v_cmp_gt_i32_e64 s3, 0, v22
	v_not_b32_e32 v21, v22
	v_not_b32_e32 v22, v23
	v_dual_ashrrev_i32 v17, 31, v17 :: v_dual_bitop2_b32 v11, vcc_lo, v11 bitop3:0x14
	v_dual_ashrrev_i32 v19, 31, v19 :: v_dual_bitop2_b32 v13, s0, v13 bitop3:0x14
	v_cmp_gt_i32_e64 s4, 0, v23
	v_cmp_gt_i32_e64 s5, 0, v25
	v_not_b32_e32 v23, v25
	v_not_b32_e32 v25, v26
	v_dual_ashrrev_i32 v21, 31, v21 :: v_dual_ashrrev_i32 v22, 31, v22
	v_xor_b32_e32 v17, s1, v17
	v_xor_b32_e32 v19, s2, v19
	v_bitop3_b32 v11, v11, v13, exec_lo bitop3:0x80
	v_cmp_gt_i32_e64 s6, 0, v26
	v_dual_ashrrev_i32 v13, 31, v23 :: v_dual_ashrrev_i32 v23, 31, v25
	v_xor_b32_e32 v21, s3, v21
	v_xor_b32_e32 v22, s4, v22
	v_bitop3_b32 v11, v11, v19, v17 bitop3:0x80
	s_delay_alu instid0(VALU_DEP_4) | instskip(SKIP_1) | instid1(VALU_DEP_3)
	v_xor_b32_e32 v13, s5, v13
	v_xor_b32_e32 v17, s6, v23
	v_bitop3_b32 v19, v11, v22, v21 bitop3:0x80
	v_mul_u32_u24_e32 v11, 36, v12
	ds_store_2addr_b32 v11, v9, v9 offset0:16 offset1:17
	ds_store_2addr_b32 v11, v9, v9 offset0:18 offset1:19
	;; [unrolled: 1-line block ×4, first 2 shown]
	v_bitop3_b32 v17, v19, v17, v13 bitop3:0x80
	ds_store_b32 v11, v9 offset:96
	v_mad_u32_u24 v13, 0x44, v18, v0
	s_wait_storecnt 0x0
	s_wait_loadcnt_dscnt 0x0
	s_barrier_signal -1
	v_mbcnt_lo_u32_b32 v9, v17, 0
	v_cmp_ne_u32_e64 s0, 0, v17
	s_barrier_wait -1
	s_delay_alu instid0(VALU_DEP_2) | instskip(SKIP_1) | instid1(SALU_CYCLE_1)
	v_cmp_eq_u32_e32 vcc_lo, 0, v9
	; wave barrier
	s_and_b32 s1, s0, vcc_lo
	s_and_saveexec_b32 s0, s1
; %bb.98:
	v_bcnt_u32_b32 v17, v17, 0
	ds_store_b32 v13, v17 offset:64
; %bb.99:
	s_or_b32 exec_lo, exec_lo, s0
	v_xor_b32_e32 v10, 0x7fff, v10
	; wave barrier
	s_delay_alu instid0(VALU_DEP_1) | instskip(NEXT) | instid1(VALU_DEP_1)
	v_and_b32_e32 v17, 0xffff, v10
	v_lshrrev_b32_e32 v17, s20, v17
	s_delay_alu instid0(VALU_DEP_1) | instskip(SKIP_1) | instid1(VALU_DEP_2)
	v_bitop3_b32 v18, v17, 1, s8 bitop3:0x80
	v_and_b32_e32 v17, s8, v17
	v_add_co_u32 v18, s0, v18, -1
	s_delay_alu instid0(VALU_DEP_1) | instskip(NEXT) | instid1(VALU_DEP_3)
	v_cndmask_b32_e64 v19, 0, 1, s0
	v_dual_lshlrev_b32 v21, 30, v17 :: v_dual_lshlrev_b32 v22, 29, v17
	v_lshlrev_b32_e32 v23, 28, v17
	s_delay_alu instid0(VALU_DEP_3) | instskip(NEXT) | instid1(VALU_DEP_3)
	v_cmp_ne_u32_e32 vcc_lo, 0, v19
	v_cmp_gt_i32_e64 s0, 0, v21
	v_not_b32_e32 v19, v21
	v_cmp_gt_i32_e64 s1, 0, v22
	v_not_b32_e32 v21, v22
	v_not_b32_e32 v22, v23
	s_delay_alu instid0(VALU_DEP_4) | instskip(NEXT) | instid1(VALU_DEP_2)
	v_dual_ashrrev_i32 v19, 31, v19 :: v_dual_bitop2_b32 v18, vcc_lo, v18 bitop3:0x14
	v_dual_ashrrev_i32 v21, 31, v21 :: v_dual_ashrrev_i32 v22, 31, v22
	v_dual_lshlrev_b32 v25, 27, v17 :: v_dual_lshlrev_b32 v26, 26, v17
	v_dual_lshlrev_b32 v27, 25, v17 :: v_dual_lshlrev_b32 v28, 24, v17
	v_cmp_gt_i32_e64 s2, 0, v23
	s_delay_alu instid0(VALU_DEP_3)
	v_cmp_gt_i32_e64 s3, 0, v25
	v_not_b32_e32 v23, v25
	v_not_b32_e32 v25, v26
	v_xor_b32_e32 v19, s0, v19
	v_cmp_gt_i32_e64 s4, 0, v26
	v_cmp_gt_i32_e64 s5, 0, v27
	v_not_b32_e32 v26, v27
	v_not_b32_e32 v27, v28
	v_dual_ashrrev_i32 v23, 31, v23 :: v_dual_ashrrev_i32 v25, 31, v25
	s_delay_alu instid0(VALU_DEP_3) | instskip(NEXT) | instid1(VALU_DEP_3)
	v_dual_ashrrev_i32 v26, 31, v26 :: v_dual_bitop2_b32 v21, s1, v21 bitop3:0x14
	v_dual_ashrrev_i32 v27, 31, v27 :: v_dual_bitop2_b32 v22, s2, v22 bitop3:0x14
	v_bitop3_b32 v18, v18, v19, exec_lo bitop3:0x80
	v_cmp_gt_i32_e64 s6, 0, v28
	v_xor_b32_e32 v23, s3, v23
	v_xor_b32_e32 v25, s4, v25
	v_mad_u32_u24 v19, 0x44, v17, v0
	v_bitop3_b32 v18, v18, v22, v21 bitop3:0x80
	v_xor_b32_e32 v21, s5, v26
	v_xor_b32_e32 v22, s6, v27
	ds_load_b32 v17, v19 offset:64
	v_bitop3_b32 v18, v18, v25, v23 bitop3:0x80
	; wave barrier
	s_delay_alu instid0(VALU_DEP_1) | instskip(NEXT) | instid1(VALU_DEP_1)
	v_bitop3_b32 v21, v18, v22, v21 bitop3:0x80
	v_mbcnt_lo_u32_b32 v18, v21, 0
	v_cmp_ne_u32_e64 s0, 0, v21
	s_delay_alu instid0(VALU_DEP_2) | instskip(SKIP_1) | instid1(SALU_CYCLE_1)
	v_cmp_eq_u32_e32 vcc_lo, 0, v18
	s_and_b32 s1, s0, vcc_lo
	s_and_saveexec_b32 s0, s1
	s_cbranch_execz .LBB629_101
; %bb.100:
	s_wait_dscnt 0x0
	v_bcnt_u32_b32 v21, v21, v17
	ds_store_b32 v19, v21 offset:64
.LBB629_101:
	s_or_b32 exec_lo, exec_lo, s0
	v_xor_b32_e32 v16, 0x7fff, v16
	; wave barrier
	s_delay_alu instid0(VALU_DEP_1) | instskip(NEXT) | instid1(VALU_DEP_1)
	v_and_b32_e32 v21, 0xffff, v16
	v_lshrrev_b32_e32 v21, s20, v21
	s_delay_alu instid0(VALU_DEP_1) | instskip(SKIP_1) | instid1(VALU_DEP_2)
	v_bitop3_b32 v22, v21, 1, s8 bitop3:0x80
	v_and_b32_e32 v21, s8, v21
	v_add_co_u32 v22, s0, v22, -1
	s_delay_alu instid0(VALU_DEP_1) | instskip(NEXT) | instid1(VALU_DEP_3)
	v_cndmask_b32_e64 v23, 0, 1, s0
	v_dual_lshlrev_b32 v25, 30, v21 :: v_dual_lshlrev_b32 v26, 29, v21
	v_lshlrev_b32_e32 v27, 28, v21
	s_delay_alu instid0(VALU_DEP_3) | instskip(NEXT) | instid1(VALU_DEP_3)
	v_cmp_ne_u32_e32 vcc_lo, 0, v23
	v_cmp_gt_i32_e64 s0, 0, v25
	v_not_b32_e32 v23, v25
	v_cmp_gt_i32_e64 s1, 0, v26
	v_not_b32_e32 v25, v26
	v_not_b32_e32 v26, v27
	s_delay_alu instid0(VALU_DEP_4) | instskip(NEXT) | instid1(VALU_DEP_2)
	v_dual_ashrrev_i32 v23, 31, v23 :: v_dual_bitop2_b32 v22, vcc_lo, v22 bitop3:0x14
	v_dual_ashrrev_i32 v25, 31, v25 :: v_dual_ashrrev_i32 v26, 31, v26
	v_dual_lshlrev_b32 v28, 27, v21 :: v_dual_lshlrev_b32 v29, 26, v21
	v_dual_lshlrev_b32 v30, 25, v21 :: v_dual_lshlrev_b32 v31, 24, v21
	v_cmp_gt_i32_e64 s2, 0, v27
	s_delay_alu instid0(VALU_DEP_3)
	v_cmp_gt_i32_e64 s3, 0, v28
	v_not_b32_e32 v27, v28
	v_not_b32_e32 v28, v29
	v_xor_b32_e32 v23, s0, v23
	v_cmp_gt_i32_e64 s4, 0, v29
	v_cmp_gt_i32_e64 s5, 0, v30
	v_not_b32_e32 v29, v30
	v_not_b32_e32 v30, v31
	v_dual_ashrrev_i32 v27, 31, v27 :: v_dual_ashrrev_i32 v28, 31, v28
	v_xor_b32_e32 v25, s1, v25
	s_delay_alu instid0(VALU_DEP_4) | instskip(SKIP_4) | instid1(VALU_DEP_4)
	v_dual_ashrrev_i32 v29, 31, v29 :: v_dual_bitop2_b32 v26, s2, v26 bitop3:0x14
	v_bitop3_b32 v22, v22, v23, exec_lo bitop3:0x80
	v_cmp_gt_i32_e64 s6, 0, v31
	v_dual_ashrrev_i32 v30, 31, v30 :: v_dual_bitop2_b32 v27, s3, v27 bitop3:0x14
	v_xor_b32_e32 v28, s4, v28
	v_bitop3_b32 v22, v22, v26, v25 bitop3:0x80
	v_mad_u32_u24 v23, 0x44, v21, v0
	v_xor_b32_e32 v25, s5, v29
	v_xor_b32_e32 v26, s6, v30
	s_delay_alu instid0(VALU_DEP_4) | instskip(SKIP_2) | instid1(VALU_DEP_1)
	v_bitop3_b32 v22, v22, v28, v27 bitop3:0x80
	ds_load_b32 v21, v23 offset:64
	; wave barrier
	v_bitop3_b32 v25, v22, v26, v25 bitop3:0x80
	v_mbcnt_lo_u32_b32 v22, v25, 0
	v_cmp_ne_u32_e64 s0, 0, v25
	s_delay_alu instid0(VALU_DEP_2) | instskip(SKIP_1) | instid1(SALU_CYCLE_1)
	v_cmp_eq_u32_e32 vcc_lo, 0, v22
	s_and_b32 s1, s0, vcc_lo
	s_and_saveexec_b32 s0, s1
	s_cbranch_execz .LBB629_103
; %bb.102:
	s_wait_dscnt 0x0
	v_bcnt_u32_b32 v25, v25, v21
	ds_store_b32 v23, v25 offset:64
.LBB629_103:
	s_or_b32 exec_lo, exec_lo, s0
	v_xor_b32_e32 v20, 0x7fff, v20
	; wave barrier
	s_delay_alu instid0(VALU_DEP_1) | instskip(NEXT) | instid1(VALU_DEP_1)
	v_and_b32_e32 v25, 0xffff, v20
	v_lshrrev_b32_e32 v25, s20, v25
	s_delay_alu instid0(VALU_DEP_1) | instskip(SKIP_1) | instid1(VALU_DEP_2)
	v_bitop3_b32 v26, v25, 1, s8 bitop3:0x80
	v_and_b32_e32 v25, s8, v25
	v_add_co_u32 v26, s0, v26, -1
	s_delay_alu instid0(VALU_DEP_1) | instskip(NEXT) | instid1(VALU_DEP_3)
	v_cndmask_b32_e64 v27, 0, 1, s0
	v_dual_lshlrev_b32 v28, 30, v25 :: v_dual_lshlrev_b32 v29, 29, v25
	s_delay_alu instid0(VALU_DEP_2) | instskip(NEXT) | instid1(VALU_DEP_2)
	v_cmp_ne_u32_e32 vcc_lo, 0, v27
	v_cmp_gt_i32_e64 s0, 0, v28
	v_not_b32_e32 v27, v28
	s_delay_alu instid0(VALU_DEP_4) | instskip(SKIP_1) | instid1(VALU_DEP_3)
	v_not_b32_e32 v28, v29
	v_cmp_gt_i32_e64 s1, 0, v29
	v_dual_ashrrev_i32 v27, 31, v27 :: v_dual_bitop2_b32 v26, vcc_lo, v26 bitop3:0x14
	s_delay_alu instid0(VALU_DEP_3) | instskip(SKIP_2) | instid1(VALU_DEP_3)
	v_dual_ashrrev_i32 v28, 31, v28 :: v_dual_lshlrev_b32 v30, 28, v25
	v_dual_lshlrev_b32 v31, 27, v25 :: v_dual_lshlrev_b32 v32, 26, v25
	v_dual_lshlrev_b32 v33, 25, v25 :: v_dual_lshlrev_b32 v34, 24, v25
	v_not_b32_e32 v29, v30
	v_cmp_gt_i32_e64 s2, 0, v30
	s_delay_alu instid0(VALU_DEP_4)
	v_cmp_gt_i32_e64 s3, 0, v31
	v_not_b32_e32 v30, v31
	v_not_b32_e32 v31, v32
	v_dual_ashrrev_i32 v29, 31, v29 :: v_dual_bitop2_b32 v27, s0, v27 bitop3:0x14
	v_cmp_gt_i32_e64 s4, 0, v32
	v_cmp_gt_i32_e64 s5, 0, v33
	v_not_b32_e32 v32, v33
	v_not_b32_e32 v33, v34
	v_dual_ashrrev_i32 v30, 31, v30 :: v_dual_ashrrev_i32 v31, 31, v31
	v_xor_b32_e32 v28, s1, v28
	s_delay_alu instid0(VALU_DEP_4) | instskip(SKIP_4) | instid1(VALU_DEP_4)
	v_dual_ashrrev_i32 v32, 31, v32 :: v_dual_bitop2_b32 v29, s2, v29 bitop3:0x14
	v_bitop3_b32 v26, v26, v27, exec_lo bitop3:0x80
	v_cmp_gt_i32_e64 s6, 0, v34
	v_dual_ashrrev_i32 v33, 31, v33 :: v_dual_bitop2_b32 v30, s3, v30 bitop3:0x14
	v_xor_b32_e32 v31, s4, v31
	v_bitop3_b32 v26, v26, v29, v28 bitop3:0x80
	v_mad_u32_u24 v27, 0x44, v25, v0
	v_xor_b32_e32 v28, s5, v32
	v_xor_b32_e32 v29, s6, v33
	s_delay_alu instid0(VALU_DEP_4) | instskip(SKIP_2) | instid1(VALU_DEP_1)
	v_bitop3_b32 v26, v26, v31, v30 bitop3:0x80
	ds_load_b32 v25, v27 offset:64
	; wave barrier
	v_bitop3_b32 v28, v26, v29, v28 bitop3:0x80
	v_mbcnt_lo_u32_b32 v26, v28, 0
	v_cmp_ne_u32_e64 s0, 0, v28
	s_delay_alu instid0(VALU_DEP_2) | instskip(SKIP_1) | instid1(SALU_CYCLE_1)
	v_cmp_eq_u32_e32 vcc_lo, 0, v26
	s_and_b32 s1, s0, vcc_lo
	s_and_saveexec_b32 s0, s1
	s_cbranch_execz .LBB629_105
; %bb.104:
	s_wait_dscnt 0x0
	v_bcnt_u32_b32 v28, v28, v25
	ds_store_b32 v27, v28 offset:64
.LBB629_105:
	s_or_b32 exec_lo, exec_lo, s0
	v_xor_b32_e32 v24, 0x7fff, v24
	; wave barrier
	s_delay_alu instid0(VALU_DEP_1) | instskip(NEXT) | instid1(VALU_DEP_1)
	v_and_b32_e32 v28, 0xffff, v24
	v_lshrrev_b32_e32 v28, s20, v28
	s_delay_alu instid0(VALU_DEP_1) | instskip(SKIP_1) | instid1(VALU_DEP_2)
	v_bitop3_b32 v29, v28, 1, s8 bitop3:0x80
	v_and_b32_e32 v28, s8, v28
	v_add_co_u32 v29, s0, v29, -1
	s_delay_alu instid0(VALU_DEP_1) | instskip(NEXT) | instid1(VALU_DEP_3)
	v_cndmask_b32_e64 v30, 0, 1, s0
	v_dual_lshlrev_b32 v31, 30, v28 :: v_dual_lshlrev_b32 v32, 29, v28
	s_delay_alu instid0(VALU_DEP_2) | instskip(NEXT) | instid1(VALU_DEP_2)
	v_cmp_ne_u32_e32 vcc_lo, 0, v30
	v_cmp_gt_i32_e64 s0, 0, v31
	v_not_b32_e32 v30, v31
	s_delay_alu instid0(VALU_DEP_4) | instskip(SKIP_1) | instid1(VALU_DEP_3)
	v_not_b32_e32 v31, v32
	v_cmp_gt_i32_e64 s1, 0, v32
	v_dual_ashrrev_i32 v30, 31, v30 :: v_dual_bitop2_b32 v29, vcc_lo, v29 bitop3:0x14
	s_delay_alu instid0(VALU_DEP_3) | instskip(SKIP_2) | instid1(VALU_DEP_3)
	v_dual_ashrrev_i32 v31, 31, v31 :: v_dual_lshlrev_b32 v33, 28, v28
	v_dual_lshlrev_b32 v34, 27, v28 :: v_dual_lshlrev_b32 v35, 26, v28
	v_dual_lshlrev_b32 v36, 25, v28 :: v_dual_lshlrev_b32 v37, 24, v28
	v_not_b32_e32 v32, v33
	v_cmp_gt_i32_e64 s2, 0, v33
	s_delay_alu instid0(VALU_DEP_4)
	v_cmp_gt_i32_e64 s3, 0, v34
	v_not_b32_e32 v33, v34
	v_not_b32_e32 v34, v35
	v_dual_ashrrev_i32 v32, 31, v32 :: v_dual_bitop2_b32 v30, s0, v30 bitop3:0x14
	v_cmp_gt_i32_e64 s4, 0, v35
	v_cmp_gt_i32_e64 s5, 0, v36
	v_not_b32_e32 v35, v36
	v_not_b32_e32 v36, v37
	v_dual_ashrrev_i32 v33, 31, v33 :: v_dual_ashrrev_i32 v34, 31, v34
	v_xor_b32_e32 v31, s1, v31
	v_xor_b32_e32 v32, s2, v32
	v_bitop3_b32 v29, v29, v30, exec_lo bitop3:0x80
	v_cmp_gt_i32_e64 s6, 0, v37
	v_dual_ashrrev_i32 v30, 31, v35 :: v_dual_ashrrev_i32 v35, 31, v36
	v_xor_b32_e32 v33, s3, v33
	v_xor_b32_e32 v34, s4, v34
	v_bitop3_b32 v29, v29, v32, v31 bitop3:0x80
	v_mad_u32_u24 v31, 0x44, v28, v0
	v_xor_b32_e32 v30, s5, v30
	v_xor_b32_e32 v32, s6, v35
	s_delay_alu instid0(VALU_DEP_4) | instskip(SKIP_2) | instid1(VALU_DEP_1)
	v_bitop3_b32 v29, v29, v34, v33 bitop3:0x80
	ds_load_b32 v28, v31 offset:64
	; wave barrier
	v_bitop3_b32 v29, v29, v32, v30 bitop3:0x80
	v_mbcnt_lo_u32_b32 v30, v29, 0
	v_cmp_ne_u32_e64 s0, 0, v29
	s_delay_alu instid0(VALU_DEP_2) | instskip(SKIP_1) | instid1(SALU_CYCLE_1)
	v_cmp_eq_u32_e32 vcc_lo, 0, v30
	s_and_b32 s1, s0, vcc_lo
	s_and_saveexec_b32 s0, s1
	s_cbranch_execz .LBB629_107
; %bb.106:
	s_wait_dscnt 0x0
	v_bcnt_u32_b32 v29, v29, v28
	ds_store_b32 v31, v29 offset:64
.LBB629_107:
	s_or_b32 exec_lo, exec_lo, s0
	v_xor_b32_e32 v29, 0x7fff, v7
	; wave barrier
	s_delay_alu instid0(VALU_DEP_1) | instskip(NEXT) | instid1(VALU_DEP_1)
	v_and_b32_e32 v7, 0xffff, v29
	v_lshrrev_b32_e32 v7, s20, v7
	s_delay_alu instid0(VALU_DEP_1) | instskip(SKIP_1) | instid1(VALU_DEP_2)
	v_bitop3_b32 v32, v7, 1, s8 bitop3:0x80
	v_and_b32_e32 v7, s8, v7
	v_add_co_u32 v32, s0, v32, -1
	s_delay_alu instid0(VALU_DEP_1) | instskip(NEXT) | instid1(VALU_DEP_3)
	v_cndmask_b32_e64 v33, 0, 1, s0
	v_dual_lshlrev_b32 v34, 30, v7 :: v_dual_lshlrev_b32 v35, 29, v7
	s_delay_alu instid0(VALU_DEP_2) | instskip(NEXT) | instid1(VALU_DEP_2)
	v_cmp_ne_u32_e32 vcc_lo, 0, v33
	v_cmp_gt_i32_e64 s0, 0, v34
	v_not_b32_e32 v33, v34
	s_delay_alu instid0(VALU_DEP_4) | instskip(SKIP_1) | instid1(VALU_DEP_3)
	v_not_b32_e32 v34, v35
	v_cmp_gt_i32_e64 s1, 0, v35
	v_dual_ashrrev_i32 v33, 31, v33 :: v_dual_bitop2_b32 v32, vcc_lo, v32 bitop3:0x14
	s_delay_alu instid0(VALU_DEP_3) | instskip(SKIP_2) | instid1(VALU_DEP_3)
	v_dual_ashrrev_i32 v34, 31, v34 :: v_dual_lshlrev_b32 v36, 28, v7
	v_dual_lshlrev_b32 v37, 27, v7 :: v_dual_lshlrev_b32 v38, 26, v7
	v_dual_lshlrev_b32 v39, 25, v7 :: v_dual_lshlrev_b32 v40, 24, v7
	v_not_b32_e32 v35, v36
	v_cmp_gt_i32_e64 s2, 0, v36
	s_delay_alu instid0(VALU_DEP_4)
	v_cmp_gt_i32_e64 s3, 0, v37
	v_not_b32_e32 v36, v37
	v_not_b32_e32 v37, v38
	v_dual_ashrrev_i32 v35, 31, v35 :: v_dual_bitop2_b32 v33, s0, v33 bitop3:0x14
	v_cmp_gt_i32_e64 s4, 0, v38
	v_cmp_gt_i32_e64 s5, 0, v39
	v_not_b32_e32 v38, v39
	v_not_b32_e32 v39, v40
	v_dual_ashrrev_i32 v36, 31, v36 :: v_dual_ashrrev_i32 v37, 31, v37
	v_xor_b32_e32 v34, s1, v34
	v_xor_b32_e32 v35, s2, v35
	v_bitop3_b32 v32, v32, v33, exec_lo bitop3:0x80
	v_cmp_gt_i32_e64 s6, 0, v40
	v_dual_ashrrev_i32 v33, 31, v38 :: v_dual_ashrrev_i32 v38, 31, v39
	v_xor_b32_e32 v36, s3, v36
	v_xor_b32_e32 v37, s4, v37
	v_bitop3_b32 v32, v32, v35, v34 bitop3:0x80
	v_mad_u32_u24 v35, 0x44, v7, v0
	v_xor_b32_e32 v7, s5, v33
	v_xor_b32_e32 v33, s6, v38
	s_delay_alu instid0(VALU_DEP_4) | instskip(SKIP_2) | instid1(VALU_DEP_1)
	v_bitop3_b32 v34, v32, v37, v36 bitop3:0x80
	ds_load_b32 v32, v35 offset:64
	; wave barrier
	v_bitop3_b32 v7, v34, v33, v7 bitop3:0x80
	v_mbcnt_lo_u32_b32 v34, v7, 0
	v_cmp_ne_u32_e64 s0, 0, v7
	s_delay_alu instid0(VALU_DEP_2) | instskip(SKIP_1) | instid1(SALU_CYCLE_1)
	v_cmp_eq_u32_e32 vcc_lo, 0, v34
	s_and_b32 s1, s0, vcc_lo
	s_and_saveexec_b32 s0, s1
	s_cbranch_execz .LBB629_109
; %bb.108:
	s_wait_dscnt 0x0
	v_bcnt_u32_b32 v7, v7, v32
	ds_store_b32 v35, v7 offset:64
.LBB629_109:
	s_or_b32 exec_lo, exec_lo, s0
	v_xor_b32_e32 v33, 0x7fff, v6
	; wave barrier
	s_delay_alu instid0(VALU_DEP_1) | instskip(NEXT) | instid1(VALU_DEP_1)
	v_and_b32_e32 v6, 0xffff, v33
	v_lshrrev_b32_e32 v6, s20, v6
	s_delay_alu instid0(VALU_DEP_1) | instskip(SKIP_1) | instid1(VALU_DEP_2)
	v_bitop3_b32 v7, v6, 1, s8 bitop3:0x80
	v_and_b32_e32 v6, s8, v6
	v_add_co_u32 v7, s0, v7, -1
	s_delay_alu instid0(VALU_DEP_1) | instskip(NEXT) | instid1(VALU_DEP_3)
	v_cndmask_b32_e64 v36, 0, 1, s0
	v_dual_lshlrev_b32 v37, 30, v6 :: v_dual_lshlrev_b32 v38, 29, v6
	s_delay_alu instid0(VALU_DEP_2) | instskip(NEXT) | instid1(VALU_DEP_2)
	v_cmp_ne_u32_e32 vcc_lo, 0, v36
	v_cmp_gt_i32_e64 s0, 0, v37
	v_not_b32_e32 v36, v37
	s_delay_alu instid0(VALU_DEP_4) | instskip(SKIP_1) | instid1(VALU_DEP_3)
	v_not_b32_e32 v37, v38
	v_cmp_gt_i32_e64 s1, 0, v38
	v_dual_ashrrev_i32 v36, 31, v36 :: v_dual_bitop2_b32 v7, vcc_lo, v7 bitop3:0x14
	s_delay_alu instid0(VALU_DEP_3) | instskip(SKIP_2) | instid1(VALU_DEP_3)
	v_dual_ashrrev_i32 v37, 31, v37 :: v_dual_lshlrev_b32 v39, 28, v6
	v_dual_lshlrev_b32 v40, 27, v6 :: v_dual_lshlrev_b32 v41, 26, v6
	v_dual_lshlrev_b32 v42, 25, v6 :: v_dual_lshlrev_b32 v43, 24, v6
	v_not_b32_e32 v38, v39
	v_cmp_gt_i32_e64 s2, 0, v39
	s_delay_alu instid0(VALU_DEP_4)
	v_cmp_gt_i32_e64 s3, 0, v40
	v_not_b32_e32 v39, v40
	v_not_b32_e32 v40, v41
	v_dual_ashrrev_i32 v38, 31, v38 :: v_dual_bitop2_b32 v36, s0, v36 bitop3:0x14
	v_cmp_gt_i32_e64 s4, 0, v41
	v_cmp_gt_i32_e64 s5, 0, v42
	v_not_b32_e32 v41, v42
	v_not_b32_e32 v42, v43
	v_dual_ashrrev_i32 v39, 31, v39 :: v_dual_ashrrev_i32 v40, 31, v40
	v_xor_b32_e32 v37, s1, v37
	v_xor_b32_e32 v38, s2, v38
	v_bitop3_b32 v7, v7, v36, exec_lo bitop3:0x80
	v_cmp_gt_i32_e64 s6, 0, v43
	v_dual_ashrrev_i32 v36, 31, v41 :: v_dual_ashrrev_i32 v41, 31, v42
	v_xor_b32_e32 v42, s3, v39
	v_xor_b32_e32 v40, s4, v40
	v_bitop3_b32 v7, v7, v38, v37 bitop3:0x80
	v_mad_u32_u24 v39, 0x44, v6, v0
	v_xor_b32_e32 v6, s5, v36
	v_xor_b32_e32 v36, s6, v41
	s_delay_alu instid0(VALU_DEP_4) | instskip(SKIP_2) | instid1(VALU_DEP_1)
	v_bitop3_b32 v7, v7, v40, v42 bitop3:0x80
	ds_load_b32 v37, v39 offset:64
	; wave barrier
	v_bitop3_b32 v6, v7, v36, v6 bitop3:0x80
	v_mbcnt_lo_u32_b32 v38, v6, 0
	v_cmp_ne_u32_e64 s0, 0, v6
	s_delay_alu instid0(VALU_DEP_2) | instskip(SKIP_1) | instid1(SALU_CYCLE_1)
	v_cmp_eq_u32_e32 vcc_lo, 0, v38
	s_and_b32 s1, s0, vcc_lo
	s_and_saveexec_b32 s0, s1
	s_cbranch_execz .LBB629_111
; %bb.110:
	s_wait_dscnt 0x0
	v_bcnt_u32_b32 v6, v6, v37
	ds_store_b32 v39, v6 offset:64
.LBB629_111:
	s_or_b32 exec_lo, exec_lo, s0
	v_xor_b32_e32 v36, 0x7fff, v5
	; wave barrier
	s_delay_alu instid0(VALU_DEP_1) | instskip(NEXT) | instid1(VALU_DEP_1)
	v_and_b32_e32 v5, 0xffff, v36
	v_lshrrev_b32_e32 v5, s20, v5
	s_delay_alu instid0(VALU_DEP_1) | instskip(SKIP_1) | instid1(VALU_DEP_2)
	v_bitop3_b32 v6, v5, 1, s8 bitop3:0x80
	v_and_b32_e32 v5, s8, v5
	v_add_co_u32 v6, s0, v6, -1
	s_delay_alu instid0(VALU_DEP_1) | instskip(NEXT) | instid1(VALU_DEP_3)
	v_cndmask_b32_e64 v7, 0, 1, s0
	v_dual_lshlrev_b32 v40, 30, v5 :: v_dual_lshlrev_b32 v41, 29, v5
	s_delay_alu instid0(VALU_DEP_2) | instskip(NEXT) | instid1(VALU_DEP_2)
	v_cmp_ne_u32_e32 vcc_lo, 0, v7
	v_cmp_gt_i32_e64 s0, 0, v40
	v_not_b32_e32 v7, v40
	s_delay_alu instid0(VALU_DEP_4) | instskip(SKIP_1) | instid1(VALU_DEP_3)
	v_not_b32_e32 v40, v41
	v_cmp_gt_i32_e64 s1, 0, v41
	v_dual_ashrrev_i32 v7, 31, v7 :: v_dual_bitop2_b32 v6, vcc_lo, v6 bitop3:0x14
	s_delay_alu instid0(VALU_DEP_3) | instskip(SKIP_2) | instid1(VALU_DEP_3)
	v_dual_ashrrev_i32 v40, 31, v40 :: v_dual_lshlrev_b32 v42, 28, v5
	v_dual_lshlrev_b32 v43, 27, v5 :: v_dual_lshlrev_b32 v44, 26, v5
	v_dual_lshlrev_b32 v45, 25, v5 :: v_dual_lshlrev_b32 v46, 24, v5
	v_not_b32_e32 v41, v42
	v_cmp_gt_i32_e64 s2, 0, v42
	s_delay_alu instid0(VALU_DEP_4)
	v_cmp_gt_i32_e64 s3, 0, v43
	v_not_b32_e32 v42, v43
	v_not_b32_e32 v43, v44
	v_dual_ashrrev_i32 v41, 31, v41 :: v_dual_bitop2_b32 v7, s0, v7 bitop3:0x14
	v_cmp_gt_i32_e64 s4, 0, v44
	v_cmp_gt_i32_e64 s5, 0, v45
	v_not_b32_e32 v44, v45
	v_not_b32_e32 v45, v46
	v_dual_ashrrev_i32 v42, 31, v42 :: v_dual_ashrrev_i32 v43, 31, v43
	v_xor_b32_e32 v40, s1, v40
	v_xor_b32_e32 v41, s2, v41
	v_bitop3_b32 v6, v6, v7, exec_lo bitop3:0x80
	v_cmp_gt_i32_e64 s6, 0, v46
	v_dual_ashrrev_i32 v7, 31, v44 :: v_dual_ashrrev_i32 v44, 31, v45
	v_xor_b32_e32 v42, s3, v42
	v_xor_b32_e32 v45, s4, v43
	v_bitop3_b32 v6, v6, v41, v40 bitop3:0x80
	v_mad_u32_u24 v43, 0x44, v5, v0
	v_xor_b32_e32 v5, s5, v7
	v_xor_b32_e32 v7, s6, v44
	s_delay_alu instid0(VALU_DEP_4) | instskip(SKIP_2) | instid1(VALU_DEP_1)
	v_bitop3_b32 v6, v6, v45, v42 bitop3:0x80
	ds_load_b32 v41, v43 offset:64
	; wave barrier
	v_bitop3_b32 v5, v6, v7, v5 bitop3:0x80
	v_mbcnt_lo_u32_b32 v42, v5, 0
	v_cmp_ne_u32_e64 s0, 0, v5
	s_delay_alu instid0(VALU_DEP_2) | instskip(SKIP_1) | instid1(SALU_CYCLE_1)
	v_cmp_eq_u32_e32 vcc_lo, 0, v42
	s_and_b32 s1, s0, vcc_lo
	s_and_saveexec_b32 s0, s1
	s_cbranch_execz .LBB629_113
; %bb.112:
	s_wait_dscnt 0x0
	v_bcnt_u32_b32 v5, v5, v41
	ds_store_b32 v43, v5 offset:64
.LBB629_113:
	s_or_b32 exec_lo, exec_lo, s0
	v_xor_b32_e32 v40, 0x7fff, v4
	; wave barrier
	s_delay_alu instid0(VALU_DEP_1) | instskip(NEXT) | instid1(VALU_DEP_1)
	v_and_b32_e32 v4, 0xffff, v40
	v_lshrrev_b32_e32 v4, s20, v4
	s_delay_alu instid0(VALU_DEP_1) | instskip(SKIP_1) | instid1(VALU_DEP_2)
	v_bitop3_b32 v5, v4, 1, s8 bitop3:0x80
	v_and_b32_e32 v4, s8, v4
	v_add_co_u32 v5, s0, v5, -1
	s_delay_alu instid0(VALU_DEP_1) | instskip(NEXT) | instid1(VALU_DEP_3)
	v_cndmask_b32_e64 v6, 0, 1, s0
	v_dual_lshlrev_b32 v7, 30, v4 :: v_dual_lshlrev_b32 v44, 29, v4
	s_delay_alu instid0(VALU_DEP_2) | instskip(NEXT) | instid1(VALU_DEP_2)
	v_cmp_ne_u32_e32 vcc_lo, 0, v6
	v_cmp_gt_i32_e64 s0, 0, v7
	v_not_b32_e32 v6, v7
	s_delay_alu instid0(VALU_DEP_4) | instskip(SKIP_1) | instid1(VALU_DEP_3)
	v_not_b32_e32 v7, v44
	v_cmp_gt_i32_e64 s1, 0, v44
	v_dual_ashrrev_i32 v6, 31, v6 :: v_dual_bitop2_b32 v5, vcc_lo, v5 bitop3:0x14
	s_delay_alu instid0(VALU_DEP_3) | instskip(SKIP_2) | instid1(VALU_DEP_3)
	v_dual_ashrrev_i32 v7, 31, v7 :: v_dual_lshlrev_b32 v45, 28, v4
	v_dual_lshlrev_b32 v46, 27, v4 :: v_dual_lshlrev_b32 v47, 26, v4
	v_dual_lshlrev_b32 v48, 25, v4 :: v_dual_lshlrev_b32 v49, 24, v4
	v_not_b32_e32 v44, v45
	v_cmp_gt_i32_e64 s2, 0, v45
	s_delay_alu instid0(VALU_DEP_4)
	v_cmp_gt_i32_e64 s3, 0, v46
	v_not_b32_e32 v45, v46
	v_not_b32_e32 v46, v47
	v_dual_ashrrev_i32 v44, 31, v44 :: v_dual_bitop2_b32 v6, s0, v6 bitop3:0x14
	v_cmp_gt_i32_e64 s4, 0, v47
	v_cmp_gt_i32_e64 s5, 0, v48
	v_not_b32_e32 v47, v48
	v_not_b32_e32 v48, v49
	v_dual_ashrrev_i32 v45, 31, v45 :: v_dual_ashrrev_i32 v46, 31, v46
	v_xor_b32_e32 v7, s1, v7
	v_xor_b32_e32 v44, s2, v44
	v_bitop3_b32 v5, v5, v6, exec_lo bitop3:0x80
	v_cmp_gt_i32_e64 s6, 0, v49
	v_dual_ashrrev_i32 v6, 31, v47 :: v_dual_ashrrev_i32 v48, 31, v48
	v_xor_b32_e32 v45, s3, v45
	v_xor_b32_e32 v46, s4, v46
	v_bitop3_b32 v5, v5, v44, v7 bitop3:0x80
	v_mad_u32_u24 v47, 0x44, v4, v0
	v_xor_b32_e32 v4, s5, v6
	v_xor_b32_e32 v6, s6, v48
	s_delay_alu instid0(VALU_DEP_4) | instskip(SKIP_2) | instid1(VALU_DEP_1)
	v_bitop3_b32 v5, v5, v46, v45 bitop3:0x80
	ds_load_b32 v45, v47 offset:64
	; wave barrier
	v_bitop3_b32 v4, v5, v6, v4 bitop3:0x80
	v_mbcnt_lo_u32_b32 v46, v4, 0
	v_cmp_ne_u32_e64 s0, 0, v4
	s_delay_alu instid0(VALU_DEP_2) | instskip(SKIP_1) | instid1(SALU_CYCLE_1)
	v_cmp_eq_u32_e32 vcc_lo, 0, v46
	s_and_b32 s1, s0, vcc_lo
	s_and_saveexec_b32 s0, s1
	s_cbranch_execz .LBB629_115
; %bb.114:
	s_wait_dscnt 0x0
	v_bcnt_u32_b32 v4, v4, v45
	ds_store_b32 v47, v4 offset:64
.LBB629_115:
	s_or_b32 exec_lo, exec_lo, s0
	v_xor_b32_e32 v44, 0x7fff, v3
	; wave barrier
	s_delay_alu instid0(VALU_DEP_1) | instskip(NEXT) | instid1(VALU_DEP_1)
	v_and_b32_e32 v3, 0xffff, v44
	v_lshrrev_b32_e32 v3, s20, v3
	s_delay_alu instid0(VALU_DEP_1) | instskip(SKIP_1) | instid1(VALU_DEP_2)
	v_bitop3_b32 v4, v3, 1, s8 bitop3:0x80
	v_and_b32_e32 v3, s8, v3
	v_add_co_u32 v4, s0, v4, -1
	s_delay_alu instid0(VALU_DEP_1) | instskip(NEXT) | instid1(VALU_DEP_3)
	v_cndmask_b32_e64 v5, 0, 1, s0
	v_dual_lshlrev_b32 v6, 30, v3 :: v_dual_lshlrev_b32 v7, 29, v3
	s_delay_alu instid0(VALU_DEP_2) | instskip(NEXT) | instid1(VALU_DEP_2)
	v_cmp_ne_u32_e32 vcc_lo, 0, v5
	v_cmp_gt_i32_e64 s0, 0, v6
	v_not_b32_e32 v5, v6
	s_delay_alu instid0(VALU_DEP_4) | instskip(SKIP_1) | instid1(VALU_DEP_3)
	v_not_b32_e32 v6, v7
	v_cmp_gt_i32_e64 s1, 0, v7
	v_dual_ashrrev_i32 v5, 31, v5 :: v_dual_bitop2_b32 v4, vcc_lo, v4 bitop3:0x14
	s_delay_alu instid0(VALU_DEP_3) | instskip(SKIP_2) | instid1(VALU_DEP_3)
	v_dual_ashrrev_i32 v6, 31, v6 :: v_dual_lshlrev_b32 v48, 28, v3
	v_dual_lshlrev_b32 v49, 27, v3 :: v_dual_lshlrev_b32 v50, 26, v3
	v_dual_lshlrev_b32 v51, 25, v3 :: v_dual_lshlrev_b32 v52, 24, v3
	v_not_b32_e32 v7, v48
	v_cmp_gt_i32_e64 s2, 0, v48
	s_delay_alu instid0(VALU_DEP_4)
	v_cmp_gt_i32_e64 s3, 0, v49
	v_not_b32_e32 v48, v49
	v_not_b32_e32 v49, v50
	v_dual_ashrrev_i32 v7, 31, v7 :: v_dual_bitop2_b32 v5, s0, v5 bitop3:0x14
	v_cmp_gt_i32_e64 s4, 0, v50
	v_cmp_gt_i32_e64 s5, 0, v51
	v_not_b32_e32 v50, v51
	v_not_b32_e32 v51, v52
	v_dual_ashrrev_i32 v48, 31, v48 :: v_dual_ashrrev_i32 v49, 31, v49
	v_xor_b32_e32 v6, s1, v6
	v_xor_b32_e32 v7, s2, v7
	v_bitop3_b32 v4, v4, v5, exec_lo bitop3:0x80
	v_cmp_gt_i32_e64 s6, 0, v52
	v_dual_ashrrev_i32 v5, 31, v50 :: v_dual_ashrrev_i32 v50, 31, v51
	v_xor_b32_e32 v48, s3, v48
	v_xor_b32_e32 v49, s4, v49
	v_bitop3_b32 v4, v4, v7, v6 bitop3:0x80
	v_mad_u32_u24 v52, 0x44, v3, v0
	v_xor_b32_e32 v3, s5, v5
	v_xor_b32_e32 v5, s6, v50
	s_delay_alu instid0(VALU_DEP_4) | instskip(SKIP_2) | instid1(VALU_DEP_1)
	v_bitop3_b32 v4, v4, v49, v48 bitop3:0x80
	ds_load_b32 v48, v52 offset:64
	; wave barrier
	v_bitop3_b32 v3, v4, v5, v3 bitop3:0x80
	v_mbcnt_lo_u32_b32 v50, v3, 0
	v_cmp_ne_u32_e64 s0, 0, v3
	s_delay_alu instid0(VALU_DEP_2) | instskip(SKIP_1) | instid1(SALU_CYCLE_1)
	v_cmp_eq_u32_e32 vcc_lo, 0, v50
	s_and_b32 s1, s0, vcc_lo
	s_and_saveexec_b32 s0, s1
	s_cbranch_execz .LBB629_117
; %bb.116:
	s_wait_dscnt 0x0
	v_bcnt_u32_b32 v3, v3, v48
	ds_store_b32 v52, v3 offset:64
.LBB629_117:
	s_or_b32 exec_lo, exec_lo, s0
	v_xor_b32_e32 v49, 0x7fff, v2
	; wave barrier
	s_delay_alu instid0(VALU_DEP_1) | instskip(NEXT) | instid1(VALU_DEP_1)
	v_and_b32_e32 v2, 0xffff, v49
	v_lshrrev_b32_e32 v2, s20, v2
	s_delay_alu instid0(VALU_DEP_1) | instskip(SKIP_1) | instid1(VALU_DEP_2)
	v_bitop3_b32 v3, v2, 1, s8 bitop3:0x80
	v_and_b32_e32 v2, s8, v2
	v_add_co_u32 v3, s0, v3, -1
	s_delay_alu instid0(VALU_DEP_1) | instskip(NEXT) | instid1(VALU_DEP_3)
	v_cndmask_b32_e64 v4, 0, 1, s0
	v_dual_lshlrev_b32 v5, 30, v2 :: v_dual_lshlrev_b32 v6, 29, v2
	s_delay_alu instid0(VALU_DEP_2) | instskip(NEXT) | instid1(VALU_DEP_2)
	v_cmp_ne_u32_e32 vcc_lo, 0, v4
	v_cmp_gt_i32_e64 s0, 0, v5
	v_not_b32_e32 v4, v5
	s_delay_alu instid0(VALU_DEP_4) | instskip(SKIP_1) | instid1(VALU_DEP_3)
	v_not_b32_e32 v5, v6
	v_cmp_gt_i32_e64 s1, 0, v6
	v_dual_ashrrev_i32 v4, 31, v4 :: v_dual_bitop2_b32 v3, vcc_lo, v3 bitop3:0x14
	s_delay_alu instid0(VALU_DEP_3) | instskip(SKIP_2) | instid1(VALU_DEP_3)
	v_dual_ashrrev_i32 v5, 31, v5 :: v_dual_lshlrev_b32 v7, 28, v2
	v_dual_lshlrev_b32 v51, 27, v2 :: v_dual_lshlrev_b32 v53, 26, v2
	v_dual_lshlrev_b32 v54, 25, v2 :: v_dual_lshlrev_b32 v55, 24, v2
	v_not_b32_e32 v6, v7
	v_cmp_gt_i32_e64 s2, 0, v7
	s_delay_alu instid0(VALU_DEP_4)
	v_cmp_gt_i32_e64 s3, 0, v51
	v_not_b32_e32 v7, v51
	v_not_b32_e32 v51, v53
	v_dual_ashrrev_i32 v6, 31, v6 :: v_dual_bitop2_b32 v4, s0, v4 bitop3:0x14
	v_cmp_gt_i32_e64 s4, 0, v53
	v_cmp_gt_i32_e64 s5, 0, v54
	v_not_b32_e32 v53, v54
	v_not_b32_e32 v54, v55
	v_dual_ashrrev_i32 v7, 31, v7 :: v_dual_bitop2_b32 v5, s1, v5 bitop3:0x14
	v_dual_ashrrev_i32 v51, 31, v51 :: v_dual_bitop2_b32 v6, s2, v6 bitop3:0x14
	v_bitop3_b32 v3, v3, v4, exec_lo bitop3:0x80
	v_cmp_gt_i32_e64 s6, 0, v55
	v_dual_ashrrev_i32 v4, 31, v53 :: v_dual_ashrrev_i32 v53, 31, v54
	v_xor_b32_e32 v7, s3, v7
	v_xor_b32_e32 v51, s4, v51
	v_bitop3_b32 v3, v3, v6, v5 bitop3:0x80
	v_mad_u32_u24 v57, 0x44, v2, v0
	v_xor_b32_e32 v2, s5, v4
	v_xor_b32_e32 v4, s6, v53
	s_delay_alu instid0(VALU_DEP_4) | instskip(SKIP_2) | instid1(VALU_DEP_1)
	v_bitop3_b32 v3, v3, v51, v7 bitop3:0x80
	ds_load_b32 v51, v57 offset:64
	; wave barrier
	v_bitop3_b32 v2, v3, v4, v2 bitop3:0x80
	v_mbcnt_lo_u32_b32 v54, v2, 0
	v_cmp_ne_u32_e64 s0, 0, v2
	s_delay_alu instid0(VALU_DEP_2) | instskip(SKIP_1) | instid1(SALU_CYCLE_1)
	v_cmp_eq_u32_e32 vcc_lo, 0, v54
	s_and_b32 s1, s0, vcc_lo
	s_and_saveexec_b32 s0, s1
	s_cbranch_execz .LBB629_119
; %bb.118:
	s_wait_dscnt 0x0
	v_bcnt_u32_b32 v2, v2, v51
	ds_store_b32 v57, v2 offset:64
.LBB629_119:
	s_or_b32 exec_lo, exec_lo, s0
	v_xor_b32_e32 v53, 0x7fff, v1
	; wave barrier
	s_delay_alu instid0(VALU_DEP_1) | instskip(NEXT) | instid1(VALU_DEP_1)
	v_and_b32_e32 v1, 0xffff, v53
	v_lshrrev_b32_e32 v1, s20, v1
	s_delay_alu instid0(VALU_DEP_1) | instskip(SKIP_1) | instid1(VALU_DEP_2)
	v_bitop3_b32 v2, v1, 1, s8 bitop3:0x80
	v_and_b32_e32 v1, s8, v1
	v_add_co_u32 v2, s0, v2, -1
	s_delay_alu instid0(VALU_DEP_1) | instskip(NEXT) | instid1(VALU_DEP_3)
	v_cndmask_b32_e64 v3, 0, 1, s0
	v_dual_lshlrev_b32 v4, 30, v1 :: v_dual_lshlrev_b32 v5, 29, v1
	s_delay_alu instid0(VALU_DEP_2) | instskip(NEXT) | instid1(VALU_DEP_2)
	v_cmp_ne_u32_e32 vcc_lo, 0, v3
	v_cmp_gt_i32_e64 s0, 0, v4
	v_not_b32_e32 v3, v4
	s_delay_alu instid0(VALU_DEP_4) | instskip(SKIP_1) | instid1(VALU_DEP_3)
	v_not_b32_e32 v4, v5
	v_cmp_gt_i32_e64 s1, 0, v5
	v_dual_ashrrev_i32 v3, 31, v3 :: v_dual_bitop2_b32 v2, vcc_lo, v2 bitop3:0x14
	s_delay_alu instid0(VALU_DEP_3) | instskip(SKIP_2) | instid1(VALU_DEP_3)
	v_dual_ashrrev_i32 v4, 31, v4 :: v_dual_lshlrev_b32 v6, 28, v1
	v_dual_lshlrev_b32 v7, 27, v1 :: v_dual_lshlrev_b32 v55, 26, v1
	v_dual_lshlrev_b32 v56, 25, v1 :: v_dual_lshlrev_b32 v58, 24, v1
	v_not_b32_e32 v5, v6
	v_cmp_gt_i32_e64 s2, 0, v6
	s_delay_alu instid0(VALU_DEP_4)
	v_cmp_gt_i32_e64 s3, 0, v7
	v_not_b32_e32 v6, v7
	v_not_b32_e32 v7, v55
	v_dual_ashrrev_i32 v5, 31, v5 :: v_dual_bitop2_b32 v3, s0, v3 bitop3:0x14
	v_cmp_gt_i32_e64 s4, 0, v55
	v_cmp_gt_i32_e64 s5, 0, v56
	v_not_b32_e32 v55, v56
	v_not_b32_e32 v56, v58
	v_dual_ashrrev_i32 v6, 31, v6 :: v_dual_ashrrev_i32 v7, 31, v7
	v_xor_b32_e32 v4, s1, v4
	v_xor_b32_e32 v5, s2, v5
	v_bitop3_b32 v2, v2, v3, exec_lo bitop3:0x80
	v_cmp_gt_i32_e64 s6, 0, v58
	v_dual_ashrrev_i32 v3, 31, v55 :: v_dual_ashrrev_i32 v55, 31, v56
	v_xor_b32_e32 v6, s3, v6
	v_xor_b32_e32 v7, s4, v7
	v_bitop3_b32 v2, v2, v5, v4 bitop3:0x80
	v_mad_u32_u24 v58, 0x44, v1, v0
	v_xor_b32_e32 v0, s5, v3
	v_xor_b32_e32 v1, s6, v55
	s_delay_alu instid0(VALU_DEP_4) | instskip(SKIP_2) | instid1(VALU_DEP_1)
	v_bitop3_b32 v2, v2, v7, v6 bitop3:0x80
	ds_load_b32 v55, v58 offset:64
	; wave barrier
	v_bitop3_b32 v0, v2, v1, v0 bitop3:0x80
	v_mbcnt_lo_u32_b32 v56, v0, 0
	v_cmp_ne_u32_e64 s0, 0, v0
	s_delay_alu instid0(VALU_DEP_2) | instskip(SKIP_1) | instid1(SALU_CYCLE_1)
	v_cmp_eq_u32_e32 vcc_lo, 0, v56
	s_and_b32 s1, s0, vcc_lo
	s_and_saveexec_b32 s0, s1
	s_cbranch_execz .LBB629_121
; %bb.120:
	s_wait_dscnt 0x0
	v_bcnt_u32_b32 v0, v0, v55
	ds_store_b32 v58, v0 offset:64
.LBB629_121:
	s_or_b32 exec_lo, exec_lo, s0
	; wave barrier
	s_wait_dscnt 0x0
	s_barrier_signal -1
	s_barrier_wait -1
	ds_load_2addr_b32 v[6:7], v11 offset0:16 offset1:17
	ds_load_2addr_b32 v[4:5], v11 offset0:18 offset1:19
	;; [unrolled: 1-line block ×4, first 2 shown]
	ds_load_b32 v59, v11 offset:96
	v_min_u32_e32 v15, 0x1e0, v15
	s_mov_b32 s4, exec_lo
	s_wait_dscnt 0x3
	v_add3_u32 v60, v7, v6, v4
	s_wait_dscnt 0x2
	s_delay_alu instid0(VALU_DEP_1) | instskip(SKIP_1) | instid1(VALU_DEP_1)
	v_add3_u32 v60, v60, v5, v2
	s_wait_dscnt 0x1
	v_add3_u32 v60, v60, v3, v0
	s_wait_dscnt 0x0
	s_delay_alu instid0(VALU_DEP_1) | instskip(SKIP_1) | instid1(VALU_DEP_2)
	v_add3_u32 v59, v60, v1, v59
	v_and_b32_e32 v60, 15, v14
	v_mov_b32_dpp v61, v59 row_shr:1 row_mask:0xf bank_mask:0xf
	s_delay_alu instid0(VALU_DEP_2) | instskip(NEXT) | instid1(VALU_DEP_2)
	v_cmp_eq_u32_e32 vcc_lo, 0, v60
	v_cndmask_b32_e64 v61, v61, 0, vcc_lo
	s_delay_alu instid0(VALU_DEP_1) | instskip(SKIP_3) | instid1(VALU_DEP_4)
	v_add_nc_u32_e32 v59, v61, v59
	v_cmp_lt_u32_e64 s0, 1, v60
	v_cmp_lt_u32_e64 s1, 3, v60
	;; [unrolled: 1-line block ×3, first 2 shown]
	v_mov_b32_dpp v61, v59 row_shr:2 row_mask:0xf bank_mask:0xf
	s_delay_alu instid0(VALU_DEP_1) | instskip(NEXT) | instid1(VALU_DEP_1)
	v_cndmask_b32_e64 v61, 0, v61, s0
	v_add_nc_u32_e32 v59, v59, v61
	s_delay_alu instid0(VALU_DEP_1) | instskip(NEXT) | instid1(VALU_DEP_1)
	v_mov_b32_dpp v61, v59 row_shr:4 row_mask:0xf bank_mask:0xf
	v_cndmask_b32_e64 v61, 0, v61, s1
	s_delay_alu instid0(VALU_DEP_1) | instskip(NEXT) | instid1(VALU_DEP_1)
	v_add_nc_u32_e32 v59, v59, v61
	v_mov_b32_dpp v61, v59 row_shr:8 row_mask:0xf bank_mask:0xf
	s_delay_alu instid0(VALU_DEP_1) | instskip(SKIP_1) | instid1(VALU_DEP_2)
	v_cndmask_b32_e64 v60, 0, v61, s2
	v_bfe_i32 v61, v14, 4, 1
	v_add_nc_u32_e32 v60, v59, v60
	ds_swizzle_b32 v59, v60 offset:swizzle(BROADCAST,32,15)
	s_wait_dscnt 0x0
	v_dual_lshrrev_b32 v59, 5, v12 :: v_dual_bitop2_b32 v61, v61, v59 bitop3:0x40
	s_delay_alu instid0(VALU_DEP_1) | instskip(NEXT) | instid1(VALU_DEP_1)
	v_dual_add_nc_u32 v15, v60, v61 :: v_dual_bitop2_b32 v62, 31, v15 bitop3:0x54
	v_cmpx_eq_u32_e64 v12, v62
; %bb.122:
	s_delay_alu instid0(VALU_DEP_3)
	v_lshlrev_b32_e32 v60, 2, v59
	ds_store_b32 v60, v15
; %bb.123:
	s_or_b32 exec_lo, exec_lo, s4
	s_delay_alu instid0(SALU_CYCLE_1)
	s_mov_b32 s4, exec_lo
	s_wait_dscnt 0x0
	s_barrier_signal -1
	s_barrier_wait -1
	v_cmpx_gt_u32_e32 16, v12
	s_cbranch_execz .LBB629_125
; %bb.124:
	v_lshlrev_b32_e32 v60, 2, v12
	ds_load_b32 v61, v60
	s_wait_dscnt 0x0
	v_mov_b32_dpp v62, v61 row_shr:1 row_mask:0xf bank_mask:0xf
	s_delay_alu instid0(VALU_DEP_1) | instskip(NEXT) | instid1(VALU_DEP_1)
	v_cndmask_b32_e64 v62, v62, 0, vcc_lo
	v_add_nc_u32_e32 v61, v62, v61
	s_delay_alu instid0(VALU_DEP_1) | instskip(NEXT) | instid1(VALU_DEP_1)
	v_mov_b32_dpp v62, v61 row_shr:2 row_mask:0xf bank_mask:0xf
	v_cndmask_b32_e64 v62, 0, v62, s0
	s_delay_alu instid0(VALU_DEP_1) | instskip(NEXT) | instid1(VALU_DEP_1)
	v_add_nc_u32_e32 v61, v61, v62
	v_mov_b32_dpp v62, v61 row_shr:4 row_mask:0xf bank_mask:0xf
	s_delay_alu instid0(VALU_DEP_1) | instskip(NEXT) | instid1(VALU_DEP_1)
	v_cndmask_b32_e64 v62, 0, v62, s1
	v_add_nc_u32_e32 v61, v61, v62
	s_delay_alu instid0(VALU_DEP_1) | instskip(NEXT) | instid1(VALU_DEP_1)
	v_mov_b32_dpp v62, v61 row_shr:8 row_mask:0xf bank_mask:0xf
	v_cndmask_b32_e64 v62, 0, v62, s2
	s_delay_alu instid0(VALU_DEP_1)
	v_add_nc_u32_e32 v61, v61, v62
	ds_store_b32 v60, v61
.LBB629_125:
	s_or_b32 exec_lo, exec_lo, s4
	v_mov_b32_e32 v60, 0
	s_mov_b32 s0, exec_lo
	s_wait_dscnt 0x0
	s_barrier_signal -1
	s_barrier_wait -1
	v_cmpx_lt_u32_e32 31, v12
; %bb.126:
	v_lshl_add_u32 v59, v59, 2, -4
	ds_load_b32 v60, v59
; %bb.127:
	s_or_b32 exec_lo, exec_lo, s0
	v_sub_co_u32 v59, vcc_lo, v14, 1
	s_wait_dscnt 0x0
	v_add_nc_u32_e32 v15, v60, v15
	s_delay_alu instid0(VALU_DEP_2) | instskip(NEXT) | instid1(VALU_DEP_1)
	v_cmp_gt_i32_e64 s0, 0, v59
	v_cndmask_b32_e64 v14, v59, v14, s0
	v_cmp_gt_u32_e64 s0, 0x100, v12
	s_delay_alu instid0(VALU_DEP_2) | instskip(SKIP_4) | instid1(VALU_DEP_2)
	v_lshlrev_b32_e32 v14, 2, v14
	ds_bpermute_b32 v14, v14, v15
	s_wait_dscnt 0x0
	v_cndmask_b32_e32 v14, v14, v60, vcc_lo
	v_cmp_ne_u32_e32 vcc_lo, 0, v12
	v_cndmask_b32_e32 v14, 0, v14, vcc_lo
	v_cmp_lt_u32_e32 vcc_lo, 0xff, v12
	s_delay_alu instid0(VALU_DEP_2) | instskip(NEXT) | instid1(VALU_DEP_1)
	v_add_nc_u32_e32 v6, v14, v6
	v_add_nc_u32_e32 v7, v6, v7
	s_delay_alu instid0(VALU_DEP_1) | instskip(NEXT) | instid1(VALU_DEP_1)
	v_add_nc_u32_e32 v4, v7, v4
	v_add_nc_u32_e32 v5, v4, v5
	s_delay_alu instid0(VALU_DEP_1) | instskip(NEXT) | instid1(VALU_DEP_1)
	;; [unrolled: 3-line block ×3, first 2 shown]
	v_add_nc_u32_e32 v0, v3, v0
	v_add_nc_u32_e32 v1, v0, v1
	ds_store_2addr_b32 v11, v14, v6 offset0:16 offset1:17
	ds_store_2addr_b32 v11, v7, v4 offset0:18 offset1:19
	;; [unrolled: 1-line block ×4, first 2 shown]
	ds_store_b32 v11, v1 offset:96
	s_wait_dscnt 0x0
	s_barrier_signal -1
	s_barrier_wait -1
	ds_load_b32 v59, v13 offset:64
	ds_load_b32 v60, v19 offset:64
	;; [unrolled: 1-line block ×12, first 2 shown]
	v_mov_b64_e32 v[0:1], 0
                                        ; implicit-def: $vgpr2
	s_and_saveexec_b32 s2, s0
	s_cbranch_execz .LBB629_131
; %bb.128:
	v_mul_u32_u24_e32 v0, 0x44, v12
	v_dual_mov_b32 v1, 0x1800 :: v_dual_add_nc_u32 v2, 1, v12
	s_mov_b32 s3, exec_lo
	ds_load_b32 v0, v0 offset:64
	v_cmpx_ne_u32_e32 0x100, v2
; %bb.129:
	v_mul_u32_u24_e32 v1, 0x44, v2
	ds_load_b32 v1, v1 offset:64
; %bb.130:
	s_or_b32 exec_lo, exec_lo, s3
	s_wait_dscnt 0x0
	v_dual_mov_b32 v1, 0 :: v_dual_sub_nc_u32 v2, v1, v0
.LBB629_131:
	s_or_b32 exec_lo, exec_lo, s2
	s_wait_dscnt 0xa
	v_dual_lshlrev_b32 v9, 1, v9 :: v_dual_lshlrev_b32 v23, 1, v60
	v_dual_lshlrev_b32 v18, 1, v18 :: v_dual_lshlrev_b32 v17, 1, v17
	v_lshlrev_b32_e32 v21, 1, v21
	s_delay_alu instid0(VALU_DEP_3)
	v_lshl_add_u32 v9, v59, 1, v9
	s_wait_dscnt 0x0
	s_barrier_signal -1
	v_add3_u32 v17, v23, v18, v17
	v_dual_lshlrev_b32 v18, 1, v19 :: v_dual_lshlrev_b32 v19, 1, v22
	s_barrier_wait -1
	ds_store_b16 v9, v8 offset:2048
	ds_store_b16 v17, v10 offset:2048
	v_lshlrev_b32_e32 v9, 1, v15
	v_add3_u32 v8, v18, v19, v21
	v_dual_lshlrev_b32 v10, 1, v26 :: v_dual_lshlrev_b32 v15, 1, v25
	v_dual_lshlrev_b32 v14, 1, v14 :: v_dual_lshlrev_b32 v18, 1, v28
	;; [unrolled: 1-line block ×6, first 2 shown]
	ds_store_b16 v8, v16 offset:2048
	v_add3_u32 v8, v9, v10, v15
	v_add3_u32 v9, v14, v17, v18
	;; [unrolled: 1-line block ×3, first 2 shown]
	v_dual_lshlrev_b32 v13, 1, v42 :: v_dual_lshlrev_b32 v14, 1, v41
	v_add3_u32 v11, v11, v22, v23
	ds_store_b16 v8, v20 offset:2048
	ds_store_b16 v9, v24 offset:2048
	;; [unrolled: 1-line block ×4, first 2 shown]
	v_dual_lshlrev_b32 v6, 1, v6 :: v_dual_lshlrev_b32 v9, 1, v45
	v_add3_u32 v7, v7, v13, v14
	v_dual_lshlrev_b32 v8, 1, v46 :: v_dual_lshlrev_b32 v5, 1, v5
	v_dual_lshlrev_b32 v10, 1, v50 :: v_dual_lshlrev_b32 v11, 1, v48
	;; [unrolled: 1-line block ×3, first 2 shown]
	v_lshlrev_b32_e32 v3, 1, v3
	v_dual_lshlrev_b32 v16, 1, v55 :: v_dual_lshlrev_b32 v4, 1, v4
	v_lshlrev_b32_e32 v13, 1, v54
	ds_store_b16 v7, v36 offset:2048
	v_add3_u32 v6, v6, v8, v9
	v_add3_u32 v7, v5, v10, v11
	v_mov_b32_e32 v5, 0
	v_add3_u32 v8, v3, v15, v16
	v_lshlrev_b32_e32 v3, 3, v12
	v_add3_u32 v4, v4, v13, v14
	ds_store_b16 v6, v40 offset:2048
	ds_store_b16 v7, v44 offset:2048
	ds_store_b16 v4, v49 offset:2048
	ds_store_b16 v8, v53 offset:2048
	s_and_saveexec_b32 s1, s0
	s_cbranch_execz .LBB629_141
; %bb.132:
	v_lshl_add_u32 v4, s9, 8, v12
	v_dual_mov_b32 v8, 0 :: v_dual_bitop2_b32 v9, 2.0, v2 bitop3:0x54
	s_mov_b32 s2, 0
	s_mov_b32 s3, s9
	s_delay_alu instid0(VALU_DEP_2)
	v_lshl_add_u64 v[6:7], v[4:5], 2, s[10:11]
	global_store_b32 v4, v9, s[10:11] scale_offset scope:SCOPE_DEV
                                        ; implicit-def: $sgpr0
	s_branch .LBB629_135
.LBB629_133:                            ;   in Loop: Header=BB629_135 Depth=1
	s_or_b32 exec_lo, exec_lo, s5
.LBB629_134:                            ;   in Loop: Header=BB629_135 Depth=1
	s_delay_alu instid0(SALU_CYCLE_1) | instskip(SKIP_2) | instid1(VALU_DEP_2)
	s_or_b32 exec_lo, exec_lo, s4
	v_and_b32_e32 v4, 0x3fffffff, v9
	v_cmp_gt_i32_e64 s0, -2.0, v9
	v_add_nc_u32_e32 v8, v4, v8
	s_and_b32 s4, exec_lo, s0
	s_delay_alu instid0(SALU_CYCLE_1) | instskip(NEXT) | instid1(SALU_CYCLE_1)
	s_or_b32 s2, s4, s2
	s_and_not1_b32 exec_lo, exec_lo, s2
	s_cbranch_execz .LBB629_140
.LBB629_135:                            ; =>This Loop Header: Depth=1
                                        ;     Child Loop BB629_138 Depth 2
	s_or_b32 s0, s0, exec_lo
	s_cmp_eq_u32 s3, 0
	s_cbranch_scc1 .LBB629_139
; %bb.136:                              ;   in Loop: Header=BB629_135 Depth=1
	s_add_co_i32 s3, s3, -1
	s_mov_b32 s4, exec_lo
	s_wait_xcnt 0x0
	v_lshl_or_b32 v4, s3, 8, v12
	global_load_b32 v9, v4, s[10:11] scale_offset scope:SCOPE_DEV
	s_wait_loadcnt 0x0
	v_cmpx_gt_u32_e32 2.0, v9
	s_cbranch_execz .LBB629_134
; %bb.137:                              ;   in Loop: Header=BB629_135 Depth=1
	v_lshl_add_u64 v[10:11], v[4:5], 2, s[10:11]
	s_mov_b32 s5, 0
.LBB629_138:                            ;   Parent Loop BB629_135 Depth=1
                                        ; =>  This Inner Loop Header: Depth=2
	global_load_b32 v9, v[10:11], off scope:SCOPE_DEV
	s_wait_loadcnt 0x0
	v_cmp_lt_u32_e64 s0, 0x3fffffff, v9
	s_or_b32 s5, s0, s5
	s_wait_xcnt 0x0
	s_and_not1_b32 exec_lo, exec_lo, s5
	s_cbranch_execnz .LBB629_138
	s_branch .LBB629_133
.LBB629_139:                            ;   in Loop: Header=BB629_135 Depth=1
                                        ; implicit-def: $sgpr3
	s_and_b32 s4, exec_lo, s0
	s_delay_alu instid0(SALU_CYCLE_1)
	s_or_b32 s2, s4, s2
	s_wait_xcnt 0x0
	s_and_not1_b32 exec_lo, exec_lo, s2
	s_cbranch_execnz .LBB629_135
.LBB629_140:
	s_or_b32 exec_lo, exec_lo, s2
	v_dual_mov_b32 v9, 0 :: v_dual_add_nc_u32 v4, v8, v2
	s_delay_alu instid0(VALU_DEP_1) | instskip(SKIP_4) | instid1(VALU_DEP_1)
	v_or_b32_e32 v4, 0x80000000, v4
	global_store_b32 v[6:7], v4, off scope:SCOPE_DEV
	global_load_b64 v[4:5], v12, s[12:13] scale_offset
	v_sub_nc_u64_e32 v[6:7], v[8:9], v[0:1]
	s_wait_loadcnt 0x0
	v_add_nc_u64_e32 v[4:5], v[6:7], v[4:5]
	ds_store_b64 v3, v[4:5]
.LBB629_141:
	s_wait_xcnt 0x0
	s_or_b32 exec_lo, exec_lo, s1
	v_mad_i32_i24 v13, v12, -6, v3
	s_wait_storecnt_dscnt 0x0
	s_barrier_signal -1
	s_barrier_wait -1
	ds_load_u16 v6, v13 offset:2048
	ds_load_u16 v7, v13 offset:3072
	;; [unrolled: 1-line block ×8, first 2 shown]
	v_dual_mov_b32 v5, 0 :: v_dual_lshlrev_b32 v4, 1, v12
	s_add_co_i32 s7, s7, -1
	s_delay_alu instid0(SALU_CYCLE_1) | instskip(SKIP_2) | instid1(SALU_CYCLE_1)
	s_cmp_eq_u32 s9, s7
	s_cselect_b32 s0, -1, 0
	s_xor_b32 s1, vcc_lo, -1
	s_and_b32 s0, s1, s0
	s_wait_dscnt 0x7
	v_and_b32_e32 v10, 0xffff, v6
	v_xor_b32_e32 v20, 0x7fff, v6
	s_wait_dscnt 0x6
	v_and_b32_e32 v6, 0xffff, v7
	v_xor_b32_e32 v21, 0x7fff, v7
	;; [unrolled: 3-line block ×4, first 2 shown]
	s_wait_dscnt 0x3
	v_and_b32_e32 v9, 0xffff, v22
	v_dual_lshrrev_b32 v10, s20, v10 :: v_dual_lshrrev_b32 v7, s20, v7
	v_dual_lshrrev_b32 v6, s20, v6 :: v_dual_lshrrev_b32 v8, s20, v8
	s_wait_dscnt 0x2
	v_and_b32_e32 v11, 0xffff, v24
	s_delay_alu instid0(VALU_DEP_3) | instskip(NEXT) | instid1(VALU_DEP_3)
	v_dual_lshrrev_b32 v16, s20, v9 :: v_dual_bitop2_b32 v9, s8, v10 bitop3:0x40
	v_and_b32_e32 v6, s8, v6
	v_and_b32_e32 v7, s8, v7
	s_wait_dscnt 0x1
	v_and_b32_e32 v14, 0xffff, v26
	s_wait_dscnt 0x0
	v_and_b32_e32 v15, 0xffff, v27
	v_dual_lshrrev_b32 v17, s20, v11 :: v_dual_bitop2_b32 v18, s8, v8 bitop3:0x40
	v_dual_lshlrev_b32 v8, 3, v9 :: v_dual_lshlrev_b32 v9, 3, v6
	v_dual_lshlrev_b32 v10, 3, v7 :: v_dual_lshrrev_b32 v14, s20, v14
	ds_load_u16 v29, v13 offset:10240
	ds_load_u16 v30, v13 offset:11264
	;; [unrolled: 1-line block ×3, first 2 shown]
	ds_load_b64 v[6:7], v8
	ds_load_b64 v[8:9], v9
	;; [unrolled: 1-line block ×3, first 2 shown]
	v_dual_lshrrev_b32 v15, s20, v15 :: v_dual_bitop2_b32 v16, s8, v16 bitop3:0x40
	v_dual_lshlrev_b32 v18, 3, v18 :: v_dual_bitop2_b32 v17, s8, v17 bitop3:0x40
	v_and_b32_e32 v19, s8, v14
	s_delay_alu instid0(VALU_DEP_3)
	v_dual_lshlrev_b32 v16, 3, v16 :: v_dual_bitop2_b32 v25, s8, v15 bitop3:0x40
	ds_load_b64 v[14:15], v18
	v_dual_lshlrev_b32 v18, 3, v17 :: v_dual_lshlrev_b32 v32, 3, v19
	v_lshlrev_b32_e32 v25, 3, v25
	ds_load_u16 v13, v13 offset:13312
	ds_load_b64 v[16:17], v16
	ds_load_b64 v[18:19], v18
	s_wait_dscnt 0x9
	v_and_b32_e32 v33, 0xffff, v29
	s_wait_dscnt 0x8
	v_and_b32_e32 v34, 0xffff, v30
	;; [unrolled: 2-line block ×3, first 2 shown]
	s_wait_dscnt 0x6
	v_lshl_add_u64 v[6:7], v[6:7], 1, s[18:19]
	s_wait_dscnt 0x5
	v_lshl_add_u64 v[8:9], v[8:9], 1, s[18:19]
	;; [unrolled: 2-line block ×3, first 2 shown]
	v_dual_lshrrev_b32 v33, s20, v33 :: v_dual_lshrrev_b32 v34, s20, v34
	v_add_nc_u64_e32 v[6:7], v[6:7], v[4:5]
	v_add_nc_u64_e32 v[8:9], v[8:9], v[4:5]
	s_delay_alu instid0(VALU_DEP_4) | instskip(NEXT) | instid1(VALU_DEP_4)
	v_add_nc_u64_e32 v[10:11], v[10:11], v[4:5]
	v_and_b32_e32 v33, s8, v33
	s_clause 0x2
	global_store_b16 v[6:7], v20, off
	global_store_b16 v[8:9], v21, off offset:1024
	global_store_b16 v[10:11], v23, off offset:2048
	s_wait_dscnt 0x2
	s_wait_xcnt 0x0
	v_and_b32_e32 v10, 0xffff, v13
	v_dual_lshrrev_b32 v21, s20, v35 :: v_dual_bitop2_b32 v34, s8, v34 bitop3:0x40
	v_lshlrev_b32_e32 v20, 3, v33
	ds_load_b64 v[6:7], v32
	ds_load_b64 v[8:9], v25
	v_lshrrev_b32_e32 v25, s20, v10
	s_wait_dscnt 0x3
	v_lshl_add_u64 v[10:11], v[16:17], 1, s[18:19]
	v_dual_lshlrev_b32 v23, 3, v34 :: v_dual_bitop2_b32 v32, s8, v21 bitop3:0x40
	ds_load_b64 v[16:17], v20
	v_xor_b32_e32 v33, 0x7fff, v22
	v_xor_b32_e32 v34, 0x7fff, v24
	ds_load_b64 v[20:21], v23
	v_dual_lshlrev_b32 v25, 3, v32 :: v_dual_bitop2_b32 v23, s8, v25 bitop3:0x40
	v_lshl_add_u64 v[14:15], v[14:15], 1, s[18:19]
	s_wait_dscnt 0x4
	v_lshl_add_u64 v[18:19], v[18:19], 1, s[18:19]
	v_add_nc_u64_e32 v[10:11], v[10:11], v[4:5]
	v_lshlrev_b32_e32 v32, 3, v23
	ds_load_b64 v[22:23], v25
	v_add_nc_u64_e32 v[14:15], v[14:15], v[4:5]
	v_add_nc_u64_e32 v[18:19], v[18:19], v[4:5]
	ds_load_b64 v[24:25], v32
	s_wait_dscnt 0x5
	v_lshl_add_u64 v[6:7], v[6:7], 1, s[18:19]
	s_wait_dscnt 0x4
	v_lshl_add_u64 v[8:9], v[8:9], 1, s[18:19]
	s_clause 0x2
	global_store_b16 v[14:15], v28, off offset:3072
	global_store_b16 v[10:11], v33, off offset:4096
	;; [unrolled: 1-line block ×3, first 2 shown]
	v_add_nc_u64_e32 v[6:7], v[6:7], v[4:5]
	v_add_nc_u64_e32 v[8:9], v[8:9], v[4:5]
	s_wait_xcnt 0x0
	v_xor_b32_e32 v18, 0x7fff, v26
	s_wait_dscnt 0x3
	v_lshl_add_u64 v[10:11], v[16:17], 1, s[18:19]
	v_xor_b32_e32 v16, 0x7fff, v27
	s_wait_dscnt 0x2
	v_lshl_add_u64 v[14:15], v[20:21], 1, s[18:19]
	v_xor_b32_e32 v17, 0x7fff, v29
	global_store_b16 v[6:7], v18, off offset:6144
	v_add_nc_u64_e32 v[10:11], v[10:11], v[4:5]
	global_store_b16 v[8:9], v16, off offset:7168
	s_wait_dscnt 0x1
	s_wait_xcnt 0x1
	v_lshl_add_u64 v[6:7], v[22:23], 1, s[18:19]
	v_add_nc_u64_e32 v[14:15], v[14:15], v[4:5]
	v_xor_b32_e32 v18, 0x7fff, v30
	s_wait_dscnt 0x0
	s_wait_xcnt 0x0
	v_lshl_add_u64 v[8:9], v[24:25], 1, s[18:19]
	v_add_nc_u64_e32 v[6:7], v[6:7], v[4:5]
	global_store_b16 v[10:11], v17, off offset:8192
	s_wait_xcnt 0x0
	v_xor_b32_e32 v10, 0x7fff, v31
	global_store_b16 v[14:15], v18, off offset:9216
	v_add_nc_u64_e32 v[8:9], v[8:9], v[4:5]
	v_xor_b32_e32 v4, 0x7fff, v13
	s_clause 0x1
	global_store_b16 v[6:7], v10, off offset:10240
	global_store_b16 v[8:9], v4, off offset:11264
	s_wait_xcnt 0x0
	s_and_saveexec_b32 s1, s0
	s_cbranch_execz .LBB629_143
; %bb.142:
	ds_load_b64 v[6:7], v3
	v_mov_b32_e32 v3, v5
	s_delay_alu instid0(VALU_DEP_1) | instskip(SKIP_1) | instid1(VALU_DEP_1)
	v_add_nc_u64_e32 v[0:1], v[0:1], v[2:3]
	s_wait_dscnt 0x0
	v_add_nc_u64_e32 v[0:1], v[0:1], v[6:7]
	global_store_b64 v12, v[0:1], s[14:15] scale_offset
.LBB629_143:
	s_sendmsg sendmsg(MSG_DEALLOC_VGPRS)
	s_endpgm
	.section	.rodata,"a",@progbits
	.p2align	6, 0x0
	.amdhsa_kernel _ZN7rocprim17ROCPRIM_400000_NS6detail17trampoline_kernelINS0_14default_configENS1_35radix_sort_onesweep_config_selectorIsNS0_10empty_typeEEEZZNS1_29radix_sort_onesweep_iterationIS3_Lb1EPKsPsPS5_SB_mNS0_19identity_decomposerENS1_16block_id_wrapperIjLb0EEEEE10hipError_tT1_PNSt15iterator_traitsISG_E10value_typeET2_T3_PNSH_ISM_E10value_typeET4_T5_PSR_SS_PNS1_23onesweep_lookback_stateEbbT6_jjT7_P12ihipStream_tbENKUlT_T0_SG_SL_E_clISA_SA_SB_SB_EEDaSZ_S10_SG_SL_EUlSZ_E_NS1_11comp_targetILNS1_3genE0ELNS1_11target_archE4294967295ELNS1_3gpuE0ELNS1_3repE0EEENS1_47radix_sort_onesweep_sort_config_static_selectorELNS0_4arch9wavefront6targetE0EEEvSG_
		.amdhsa_group_segment_fixed_size 18504
		.amdhsa_private_segment_fixed_size 0
		.amdhsa_kernarg_size 344
		.amdhsa_user_sgpr_count 2
		.amdhsa_user_sgpr_dispatch_ptr 0
		.amdhsa_user_sgpr_queue_ptr 0
		.amdhsa_user_sgpr_kernarg_segment_ptr 1
		.amdhsa_user_sgpr_dispatch_id 0
		.amdhsa_user_sgpr_kernarg_preload_length 0
		.amdhsa_user_sgpr_kernarg_preload_offset 0
		.amdhsa_user_sgpr_private_segment_size 0
		.amdhsa_wavefront_size32 1
		.amdhsa_uses_dynamic_stack 0
		.amdhsa_enable_private_segment 0
		.amdhsa_system_sgpr_workgroup_id_x 1
		.amdhsa_system_sgpr_workgroup_id_y 0
		.amdhsa_system_sgpr_workgroup_id_z 0
		.amdhsa_system_sgpr_workgroup_info 0
		.amdhsa_system_vgpr_workitem_id 2
		.amdhsa_next_free_vgpr 65
		.amdhsa_next_free_sgpr 29
		.amdhsa_named_barrier_count 0
		.amdhsa_reserve_vcc 1
		.amdhsa_float_round_mode_32 0
		.amdhsa_float_round_mode_16_64 0
		.amdhsa_float_denorm_mode_32 3
		.amdhsa_float_denorm_mode_16_64 3
		.amdhsa_fp16_overflow 0
		.amdhsa_memory_ordered 1
		.amdhsa_forward_progress 1
		.amdhsa_inst_pref_size 135
		.amdhsa_round_robin_scheduling 0
		.amdhsa_exception_fp_ieee_invalid_op 0
		.amdhsa_exception_fp_denorm_src 0
		.amdhsa_exception_fp_ieee_div_zero 0
		.amdhsa_exception_fp_ieee_overflow 0
		.amdhsa_exception_fp_ieee_underflow 0
		.amdhsa_exception_fp_ieee_inexact 0
		.amdhsa_exception_int_div_zero 0
	.end_amdhsa_kernel
	.section	.text._ZN7rocprim17ROCPRIM_400000_NS6detail17trampoline_kernelINS0_14default_configENS1_35radix_sort_onesweep_config_selectorIsNS0_10empty_typeEEEZZNS1_29radix_sort_onesweep_iterationIS3_Lb1EPKsPsPS5_SB_mNS0_19identity_decomposerENS1_16block_id_wrapperIjLb0EEEEE10hipError_tT1_PNSt15iterator_traitsISG_E10value_typeET2_T3_PNSH_ISM_E10value_typeET4_T5_PSR_SS_PNS1_23onesweep_lookback_stateEbbT6_jjT7_P12ihipStream_tbENKUlT_T0_SG_SL_E_clISA_SA_SB_SB_EEDaSZ_S10_SG_SL_EUlSZ_E_NS1_11comp_targetILNS1_3genE0ELNS1_11target_archE4294967295ELNS1_3gpuE0ELNS1_3repE0EEENS1_47radix_sort_onesweep_sort_config_static_selectorELNS0_4arch9wavefront6targetE0EEEvSG_,"axG",@progbits,_ZN7rocprim17ROCPRIM_400000_NS6detail17trampoline_kernelINS0_14default_configENS1_35radix_sort_onesweep_config_selectorIsNS0_10empty_typeEEEZZNS1_29radix_sort_onesweep_iterationIS3_Lb1EPKsPsPS5_SB_mNS0_19identity_decomposerENS1_16block_id_wrapperIjLb0EEEEE10hipError_tT1_PNSt15iterator_traitsISG_E10value_typeET2_T3_PNSH_ISM_E10value_typeET4_T5_PSR_SS_PNS1_23onesweep_lookback_stateEbbT6_jjT7_P12ihipStream_tbENKUlT_T0_SG_SL_E_clISA_SA_SB_SB_EEDaSZ_S10_SG_SL_EUlSZ_E_NS1_11comp_targetILNS1_3genE0ELNS1_11target_archE4294967295ELNS1_3gpuE0ELNS1_3repE0EEENS1_47radix_sort_onesweep_sort_config_static_selectorELNS0_4arch9wavefront6targetE0EEEvSG_,comdat
.Lfunc_end629:
	.size	_ZN7rocprim17ROCPRIM_400000_NS6detail17trampoline_kernelINS0_14default_configENS1_35radix_sort_onesweep_config_selectorIsNS0_10empty_typeEEEZZNS1_29radix_sort_onesweep_iterationIS3_Lb1EPKsPsPS5_SB_mNS0_19identity_decomposerENS1_16block_id_wrapperIjLb0EEEEE10hipError_tT1_PNSt15iterator_traitsISG_E10value_typeET2_T3_PNSH_ISM_E10value_typeET4_T5_PSR_SS_PNS1_23onesweep_lookback_stateEbbT6_jjT7_P12ihipStream_tbENKUlT_T0_SG_SL_E_clISA_SA_SB_SB_EEDaSZ_S10_SG_SL_EUlSZ_E_NS1_11comp_targetILNS1_3genE0ELNS1_11target_archE4294967295ELNS1_3gpuE0ELNS1_3repE0EEENS1_47radix_sort_onesweep_sort_config_static_selectorELNS0_4arch9wavefront6targetE0EEEvSG_, .Lfunc_end629-_ZN7rocprim17ROCPRIM_400000_NS6detail17trampoline_kernelINS0_14default_configENS1_35radix_sort_onesweep_config_selectorIsNS0_10empty_typeEEEZZNS1_29radix_sort_onesweep_iterationIS3_Lb1EPKsPsPS5_SB_mNS0_19identity_decomposerENS1_16block_id_wrapperIjLb0EEEEE10hipError_tT1_PNSt15iterator_traitsISG_E10value_typeET2_T3_PNSH_ISM_E10value_typeET4_T5_PSR_SS_PNS1_23onesweep_lookback_stateEbbT6_jjT7_P12ihipStream_tbENKUlT_T0_SG_SL_E_clISA_SA_SB_SB_EEDaSZ_S10_SG_SL_EUlSZ_E_NS1_11comp_targetILNS1_3genE0ELNS1_11target_archE4294967295ELNS1_3gpuE0ELNS1_3repE0EEENS1_47radix_sort_onesweep_sort_config_static_selectorELNS0_4arch9wavefront6targetE0EEEvSG_
                                        ; -- End function
	.set _ZN7rocprim17ROCPRIM_400000_NS6detail17trampoline_kernelINS0_14default_configENS1_35radix_sort_onesweep_config_selectorIsNS0_10empty_typeEEEZZNS1_29radix_sort_onesweep_iterationIS3_Lb1EPKsPsPS5_SB_mNS0_19identity_decomposerENS1_16block_id_wrapperIjLb0EEEEE10hipError_tT1_PNSt15iterator_traitsISG_E10value_typeET2_T3_PNSH_ISM_E10value_typeET4_T5_PSR_SS_PNS1_23onesweep_lookback_stateEbbT6_jjT7_P12ihipStream_tbENKUlT_T0_SG_SL_E_clISA_SA_SB_SB_EEDaSZ_S10_SG_SL_EUlSZ_E_NS1_11comp_targetILNS1_3genE0ELNS1_11target_archE4294967295ELNS1_3gpuE0ELNS1_3repE0EEENS1_47radix_sort_onesweep_sort_config_static_selectorELNS0_4arch9wavefront6targetE0EEEvSG_.num_vgpr, 65
	.set _ZN7rocprim17ROCPRIM_400000_NS6detail17trampoline_kernelINS0_14default_configENS1_35radix_sort_onesweep_config_selectorIsNS0_10empty_typeEEEZZNS1_29radix_sort_onesweep_iterationIS3_Lb1EPKsPsPS5_SB_mNS0_19identity_decomposerENS1_16block_id_wrapperIjLb0EEEEE10hipError_tT1_PNSt15iterator_traitsISG_E10value_typeET2_T3_PNSH_ISM_E10value_typeET4_T5_PSR_SS_PNS1_23onesweep_lookback_stateEbbT6_jjT7_P12ihipStream_tbENKUlT_T0_SG_SL_E_clISA_SA_SB_SB_EEDaSZ_S10_SG_SL_EUlSZ_E_NS1_11comp_targetILNS1_3genE0ELNS1_11target_archE4294967295ELNS1_3gpuE0ELNS1_3repE0EEENS1_47radix_sort_onesweep_sort_config_static_selectorELNS0_4arch9wavefront6targetE0EEEvSG_.num_agpr, 0
	.set _ZN7rocprim17ROCPRIM_400000_NS6detail17trampoline_kernelINS0_14default_configENS1_35radix_sort_onesweep_config_selectorIsNS0_10empty_typeEEEZZNS1_29radix_sort_onesweep_iterationIS3_Lb1EPKsPsPS5_SB_mNS0_19identity_decomposerENS1_16block_id_wrapperIjLb0EEEEE10hipError_tT1_PNSt15iterator_traitsISG_E10value_typeET2_T3_PNSH_ISM_E10value_typeET4_T5_PSR_SS_PNS1_23onesweep_lookback_stateEbbT6_jjT7_P12ihipStream_tbENKUlT_T0_SG_SL_E_clISA_SA_SB_SB_EEDaSZ_S10_SG_SL_EUlSZ_E_NS1_11comp_targetILNS1_3genE0ELNS1_11target_archE4294967295ELNS1_3gpuE0ELNS1_3repE0EEENS1_47radix_sort_onesweep_sort_config_static_selectorELNS0_4arch9wavefront6targetE0EEEvSG_.numbered_sgpr, 29
	.set _ZN7rocprim17ROCPRIM_400000_NS6detail17trampoline_kernelINS0_14default_configENS1_35radix_sort_onesweep_config_selectorIsNS0_10empty_typeEEEZZNS1_29radix_sort_onesweep_iterationIS3_Lb1EPKsPsPS5_SB_mNS0_19identity_decomposerENS1_16block_id_wrapperIjLb0EEEEE10hipError_tT1_PNSt15iterator_traitsISG_E10value_typeET2_T3_PNSH_ISM_E10value_typeET4_T5_PSR_SS_PNS1_23onesweep_lookback_stateEbbT6_jjT7_P12ihipStream_tbENKUlT_T0_SG_SL_E_clISA_SA_SB_SB_EEDaSZ_S10_SG_SL_EUlSZ_E_NS1_11comp_targetILNS1_3genE0ELNS1_11target_archE4294967295ELNS1_3gpuE0ELNS1_3repE0EEENS1_47radix_sort_onesweep_sort_config_static_selectorELNS0_4arch9wavefront6targetE0EEEvSG_.num_named_barrier, 0
	.set _ZN7rocprim17ROCPRIM_400000_NS6detail17trampoline_kernelINS0_14default_configENS1_35radix_sort_onesweep_config_selectorIsNS0_10empty_typeEEEZZNS1_29radix_sort_onesweep_iterationIS3_Lb1EPKsPsPS5_SB_mNS0_19identity_decomposerENS1_16block_id_wrapperIjLb0EEEEE10hipError_tT1_PNSt15iterator_traitsISG_E10value_typeET2_T3_PNSH_ISM_E10value_typeET4_T5_PSR_SS_PNS1_23onesweep_lookback_stateEbbT6_jjT7_P12ihipStream_tbENKUlT_T0_SG_SL_E_clISA_SA_SB_SB_EEDaSZ_S10_SG_SL_EUlSZ_E_NS1_11comp_targetILNS1_3genE0ELNS1_11target_archE4294967295ELNS1_3gpuE0ELNS1_3repE0EEENS1_47radix_sort_onesweep_sort_config_static_selectorELNS0_4arch9wavefront6targetE0EEEvSG_.private_seg_size, 0
	.set _ZN7rocprim17ROCPRIM_400000_NS6detail17trampoline_kernelINS0_14default_configENS1_35radix_sort_onesweep_config_selectorIsNS0_10empty_typeEEEZZNS1_29radix_sort_onesweep_iterationIS3_Lb1EPKsPsPS5_SB_mNS0_19identity_decomposerENS1_16block_id_wrapperIjLb0EEEEE10hipError_tT1_PNSt15iterator_traitsISG_E10value_typeET2_T3_PNSH_ISM_E10value_typeET4_T5_PSR_SS_PNS1_23onesweep_lookback_stateEbbT6_jjT7_P12ihipStream_tbENKUlT_T0_SG_SL_E_clISA_SA_SB_SB_EEDaSZ_S10_SG_SL_EUlSZ_E_NS1_11comp_targetILNS1_3genE0ELNS1_11target_archE4294967295ELNS1_3gpuE0ELNS1_3repE0EEENS1_47radix_sort_onesweep_sort_config_static_selectorELNS0_4arch9wavefront6targetE0EEEvSG_.uses_vcc, 1
	.set _ZN7rocprim17ROCPRIM_400000_NS6detail17trampoline_kernelINS0_14default_configENS1_35radix_sort_onesweep_config_selectorIsNS0_10empty_typeEEEZZNS1_29radix_sort_onesweep_iterationIS3_Lb1EPKsPsPS5_SB_mNS0_19identity_decomposerENS1_16block_id_wrapperIjLb0EEEEE10hipError_tT1_PNSt15iterator_traitsISG_E10value_typeET2_T3_PNSH_ISM_E10value_typeET4_T5_PSR_SS_PNS1_23onesweep_lookback_stateEbbT6_jjT7_P12ihipStream_tbENKUlT_T0_SG_SL_E_clISA_SA_SB_SB_EEDaSZ_S10_SG_SL_EUlSZ_E_NS1_11comp_targetILNS1_3genE0ELNS1_11target_archE4294967295ELNS1_3gpuE0ELNS1_3repE0EEENS1_47radix_sort_onesweep_sort_config_static_selectorELNS0_4arch9wavefront6targetE0EEEvSG_.uses_flat_scratch, 0
	.set _ZN7rocprim17ROCPRIM_400000_NS6detail17trampoline_kernelINS0_14default_configENS1_35radix_sort_onesweep_config_selectorIsNS0_10empty_typeEEEZZNS1_29radix_sort_onesweep_iterationIS3_Lb1EPKsPsPS5_SB_mNS0_19identity_decomposerENS1_16block_id_wrapperIjLb0EEEEE10hipError_tT1_PNSt15iterator_traitsISG_E10value_typeET2_T3_PNSH_ISM_E10value_typeET4_T5_PSR_SS_PNS1_23onesweep_lookback_stateEbbT6_jjT7_P12ihipStream_tbENKUlT_T0_SG_SL_E_clISA_SA_SB_SB_EEDaSZ_S10_SG_SL_EUlSZ_E_NS1_11comp_targetILNS1_3genE0ELNS1_11target_archE4294967295ELNS1_3gpuE0ELNS1_3repE0EEENS1_47radix_sort_onesweep_sort_config_static_selectorELNS0_4arch9wavefront6targetE0EEEvSG_.has_dyn_sized_stack, 0
	.set _ZN7rocprim17ROCPRIM_400000_NS6detail17trampoline_kernelINS0_14default_configENS1_35radix_sort_onesweep_config_selectorIsNS0_10empty_typeEEEZZNS1_29radix_sort_onesweep_iterationIS3_Lb1EPKsPsPS5_SB_mNS0_19identity_decomposerENS1_16block_id_wrapperIjLb0EEEEE10hipError_tT1_PNSt15iterator_traitsISG_E10value_typeET2_T3_PNSH_ISM_E10value_typeET4_T5_PSR_SS_PNS1_23onesweep_lookback_stateEbbT6_jjT7_P12ihipStream_tbENKUlT_T0_SG_SL_E_clISA_SA_SB_SB_EEDaSZ_S10_SG_SL_EUlSZ_E_NS1_11comp_targetILNS1_3genE0ELNS1_11target_archE4294967295ELNS1_3gpuE0ELNS1_3repE0EEENS1_47radix_sort_onesweep_sort_config_static_selectorELNS0_4arch9wavefront6targetE0EEEvSG_.has_recursion, 0
	.set _ZN7rocprim17ROCPRIM_400000_NS6detail17trampoline_kernelINS0_14default_configENS1_35radix_sort_onesweep_config_selectorIsNS0_10empty_typeEEEZZNS1_29radix_sort_onesweep_iterationIS3_Lb1EPKsPsPS5_SB_mNS0_19identity_decomposerENS1_16block_id_wrapperIjLb0EEEEE10hipError_tT1_PNSt15iterator_traitsISG_E10value_typeET2_T3_PNSH_ISM_E10value_typeET4_T5_PSR_SS_PNS1_23onesweep_lookback_stateEbbT6_jjT7_P12ihipStream_tbENKUlT_T0_SG_SL_E_clISA_SA_SB_SB_EEDaSZ_S10_SG_SL_EUlSZ_E_NS1_11comp_targetILNS1_3genE0ELNS1_11target_archE4294967295ELNS1_3gpuE0ELNS1_3repE0EEENS1_47radix_sort_onesweep_sort_config_static_selectorELNS0_4arch9wavefront6targetE0EEEvSG_.has_indirect_call, 0
	.section	.AMDGPU.csdata,"",@progbits
; Kernel info:
; codeLenInByte = 17208
; TotalNumSgprs: 31
; NumVgprs: 65
; ScratchSize: 0
; MemoryBound: 0
; FloatMode: 240
; IeeeMode: 1
; LDSByteSize: 18504 bytes/workgroup (compile time only)
; SGPRBlocks: 0
; VGPRBlocks: 4
; NumSGPRsForWavesPerEU: 31
; NumVGPRsForWavesPerEU: 65
; NamedBarCnt: 0
; Occupancy: 12
; WaveLimiterHint : 0
; COMPUTE_PGM_RSRC2:SCRATCH_EN: 0
; COMPUTE_PGM_RSRC2:USER_SGPR: 2
; COMPUTE_PGM_RSRC2:TRAP_HANDLER: 0
; COMPUTE_PGM_RSRC2:TGID_X_EN: 1
; COMPUTE_PGM_RSRC2:TGID_Y_EN: 0
; COMPUTE_PGM_RSRC2:TGID_Z_EN: 0
; COMPUTE_PGM_RSRC2:TIDIG_COMP_CNT: 2
	.section	.text._ZN7rocprim17ROCPRIM_400000_NS6detail17trampoline_kernelINS0_14default_configENS1_35radix_sort_onesweep_config_selectorIsNS0_10empty_typeEEEZZNS1_29radix_sort_onesweep_iterationIS3_Lb1EPKsPsPS5_SB_mNS0_19identity_decomposerENS1_16block_id_wrapperIjLb0EEEEE10hipError_tT1_PNSt15iterator_traitsISG_E10value_typeET2_T3_PNSH_ISM_E10value_typeET4_T5_PSR_SS_PNS1_23onesweep_lookback_stateEbbT6_jjT7_P12ihipStream_tbENKUlT_T0_SG_SL_E_clISA_SA_SB_SB_EEDaSZ_S10_SG_SL_EUlSZ_E_NS1_11comp_targetILNS1_3genE6ELNS1_11target_archE950ELNS1_3gpuE13ELNS1_3repE0EEENS1_47radix_sort_onesweep_sort_config_static_selectorELNS0_4arch9wavefront6targetE0EEEvSG_,"axG",@progbits,_ZN7rocprim17ROCPRIM_400000_NS6detail17trampoline_kernelINS0_14default_configENS1_35radix_sort_onesweep_config_selectorIsNS0_10empty_typeEEEZZNS1_29radix_sort_onesweep_iterationIS3_Lb1EPKsPsPS5_SB_mNS0_19identity_decomposerENS1_16block_id_wrapperIjLb0EEEEE10hipError_tT1_PNSt15iterator_traitsISG_E10value_typeET2_T3_PNSH_ISM_E10value_typeET4_T5_PSR_SS_PNS1_23onesweep_lookback_stateEbbT6_jjT7_P12ihipStream_tbENKUlT_T0_SG_SL_E_clISA_SA_SB_SB_EEDaSZ_S10_SG_SL_EUlSZ_E_NS1_11comp_targetILNS1_3genE6ELNS1_11target_archE950ELNS1_3gpuE13ELNS1_3repE0EEENS1_47radix_sort_onesweep_sort_config_static_selectorELNS0_4arch9wavefront6targetE0EEEvSG_,comdat
	.protected	_ZN7rocprim17ROCPRIM_400000_NS6detail17trampoline_kernelINS0_14default_configENS1_35radix_sort_onesweep_config_selectorIsNS0_10empty_typeEEEZZNS1_29radix_sort_onesweep_iterationIS3_Lb1EPKsPsPS5_SB_mNS0_19identity_decomposerENS1_16block_id_wrapperIjLb0EEEEE10hipError_tT1_PNSt15iterator_traitsISG_E10value_typeET2_T3_PNSH_ISM_E10value_typeET4_T5_PSR_SS_PNS1_23onesweep_lookback_stateEbbT6_jjT7_P12ihipStream_tbENKUlT_T0_SG_SL_E_clISA_SA_SB_SB_EEDaSZ_S10_SG_SL_EUlSZ_E_NS1_11comp_targetILNS1_3genE6ELNS1_11target_archE950ELNS1_3gpuE13ELNS1_3repE0EEENS1_47radix_sort_onesweep_sort_config_static_selectorELNS0_4arch9wavefront6targetE0EEEvSG_ ; -- Begin function _ZN7rocprim17ROCPRIM_400000_NS6detail17trampoline_kernelINS0_14default_configENS1_35radix_sort_onesweep_config_selectorIsNS0_10empty_typeEEEZZNS1_29radix_sort_onesweep_iterationIS3_Lb1EPKsPsPS5_SB_mNS0_19identity_decomposerENS1_16block_id_wrapperIjLb0EEEEE10hipError_tT1_PNSt15iterator_traitsISG_E10value_typeET2_T3_PNSH_ISM_E10value_typeET4_T5_PSR_SS_PNS1_23onesweep_lookback_stateEbbT6_jjT7_P12ihipStream_tbENKUlT_T0_SG_SL_E_clISA_SA_SB_SB_EEDaSZ_S10_SG_SL_EUlSZ_E_NS1_11comp_targetILNS1_3genE6ELNS1_11target_archE950ELNS1_3gpuE13ELNS1_3repE0EEENS1_47radix_sort_onesweep_sort_config_static_selectorELNS0_4arch9wavefront6targetE0EEEvSG_
	.globl	_ZN7rocprim17ROCPRIM_400000_NS6detail17trampoline_kernelINS0_14default_configENS1_35radix_sort_onesweep_config_selectorIsNS0_10empty_typeEEEZZNS1_29radix_sort_onesweep_iterationIS3_Lb1EPKsPsPS5_SB_mNS0_19identity_decomposerENS1_16block_id_wrapperIjLb0EEEEE10hipError_tT1_PNSt15iterator_traitsISG_E10value_typeET2_T3_PNSH_ISM_E10value_typeET4_T5_PSR_SS_PNS1_23onesweep_lookback_stateEbbT6_jjT7_P12ihipStream_tbENKUlT_T0_SG_SL_E_clISA_SA_SB_SB_EEDaSZ_S10_SG_SL_EUlSZ_E_NS1_11comp_targetILNS1_3genE6ELNS1_11target_archE950ELNS1_3gpuE13ELNS1_3repE0EEENS1_47radix_sort_onesweep_sort_config_static_selectorELNS0_4arch9wavefront6targetE0EEEvSG_
	.p2align	8
	.type	_ZN7rocprim17ROCPRIM_400000_NS6detail17trampoline_kernelINS0_14default_configENS1_35radix_sort_onesweep_config_selectorIsNS0_10empty_typeEEEZZNS1_29radix_sort_onesweep_iterationIS3_Lb1EPKsPsPS5_SB_mNS0_19identity_decomposerENS1_16block_id_wrapperIjLb0EEEEE10hipError_tT1_PNSt15iterator_traitsISG_E10value_typeET2_T3_PNSH_ISM_E10value_typeET4_T5_PSR_SS_PNS1_23onesweep_lookback_stateEbbT6_jjT7_P12ihipStream_tbENKUlT_T0_SG_SL_E_clISA_SA_SB_SB_EEDaSZ_S10_SG_SL_EUlSZ_E_NS1_11comp_targetILNS1_3genE6ELNS1_11target_archE950ELNS1_3gpuE13ELNS1_3repE0EEENS1_47radix_sort_onesweep_sort_config_static_selectorELNS0_4arch9wavefront6targetE0EEEvSG_,@function
_ZN7rocprim17ROCPRIM_400000_NS6detail17trampoline_kernelINS0_14default_configENS1_35radix_sort_onesweep_config_selectorIsNS0_10empty_typeEEEZZNS1_29radix_sort_onesweep_iterationIS3_Lb1EPKsPsPS5_SB_mNS0_19identity_decomposerENS1_16block_id_wrapperIjLb0EEEEE10hipError_tT1_PNSt15iterator_traitsISG_E10value_typeET2_T3_PNSH_ISM_E10value_typeET4_T5_PSR_SS_PNS1_23onesweep_lookback_stateEbbT6_jjT7_P12ihipStream_tbENKUlT_T0_SG_SL_E_clISA_SA_SB_SB_EEDaSZ_S10_SG_SL_EUlSZ_E_NS1_11comp_targetILNS1_3genE6ELNS1_11target_archE950ELNS1_3gpuE13ELNS1_3repE0EEENS1_47radix_sort_onesweep_sort_config_static_selectorELNS0_4arch9wavefront6targetE0EEEvSG_: ; @_ZN7rocprim17ROCPRIM_400000_NS6detail17trampoline_kernelINS0_14default_configENS1_35radix_sort_onesweep_config_selectorIsNS0_10empty_typeEEEZZNS1_29radix_sort_onesweep_iterationIS3_Lb1EPKsPsPS5_SB_mNS0_19identity_decomposerENS1_16block_id_wrapperIjLb0EEEEE10hipError_tT1_PNSt15iterator_traitsISG_E10value_typeET2_T3_PNSH_ISM_E10value_typeET4_T5_PSR_SS_PNS1_23onesweep_lookback_stateEbbT6_jjT7_P12ihipStream_tbENKUlT_T0_SG_SL_E_clISA_SA_SB_SB_EEDaSZ_S10_SG_SL_EUlSZ_E_NS1_11comp_targetILNS1_3genE6ELNS1_11target_archE950ELNS1_3gpuE13ELNS1_3repE0EEENS1_47radix_sort_onesweep_sort_config_static_selectorELNS0_4arch9wavefront6targetE0EEEvSG_
; %bb.0:
	.section	.rodata,"a",@progbits
	.p2align	6, 0x0
	.amdhsa_kernel _ZN7rocprim17ROCPRIM_400000_NS6detail17trampoline_kernelINS0_14default_configENS1_35radix_sort_onesweep_config_selectorIsNS0_10empty_typeEEEZZNS1_29radix_sort_onesweep_iterationIS3_Lb1EPKsPsPS5_SB_mNS0_19identity_decomposerENS1_16block_id_wrapperIjLb0EEEEE10hipError_tT1_PNSt15iterator_traitsISG_E10value_typeET2_T3_PNSH_ISM_E10value_typeET4_T5_PSR_SS_PNS1_23onesweep_lookback_stateEbbT6_jjT7_P12ihipStream_tbENKUlT_T0_SG_SL_E_clISA_SA_SB_SB_EEDaSZ_S10_SG_SL_EUlSZ_E_NS1_11comp_targetILNS1_3genE6ELNS1_11target_archE950ELNS1_3gpuE13ELNS1_3repE0EEENS1_47radix_sort_onesweep_sort_config_static_selectorELNS0_4arch9wavefront6targetE0EEEvSG_
		.amdhsa_group_segment_fixed_size 0
		.amdhsa_private_segment_fixed_size 0
		.amdhsa_kernarg_size 88
		.amdhsa_user_sgpr_count 2
		.amdhsa_user_sgpr_dispatch_ptr 0
		.amdhsa_user_sgpr_queue_ptr 0
		.amdhsa_user_sgpr_kernarg_segment_ptr 1
		.amdhsa_user_sgpr_dispatch_id 0
		.amdhsa_user_sgpr_kernarg_preload_length 0
		.amdhsa_user_sgpr_kernarg_preload_offset 0
		.amdhsa_user_sgpr_private_segment_size 0
		.amdhsa_wavefront_size32 1
		.amdhsa_uses_dynamic_stack 0
		.amdhsa_enable_private_segment 0
		.amdhsa_system_sgpr_workgroup_id_x 1
		.amdhsa_system_sgpr_workgroup_id_y 0
		.amdhsa_system_sgpr_workgroup_id_z 0
		.amdhsa_system_sgpr_workgroup_info 0
		.amdhsa_system_vgpr_workitem_id 0
		.amdhsa_next_free_vgpr 1
		.amdhsa_next_free_sgpr 1
		.amdhsa_named_barrier_count 0
		.amdhsa_reserve_vcc 0
		.amdhsa_float_round_mode_32 0
		.amdhsa_float_round_mode_16_64 0
		.amdhsa_float_denorm_mode_32 3
		.amdhsa_float_denorm_mode_16_64 3
		.amdhsa_fp16_overflow 0
		.amdhsa_memory_ordered 1
		.amdhsa_forward_progress 1
		.amdhsa_inst_pref_size 0
		.amdhsa_round_robin_scheduling 0
		.amdhsa_exception_fp_ieee_invalid_op 0
		.amdhsa_exception_fp_denorm_src 0
		.amdhsa_exception_fp_ieee_div_zero 0
		.amdhsa_exception_fp_ieee_overflow 0
		.amdhsa_exception_fp_ieee_underflow 0
		.amdhsa_exception_fp_ieee_inexact 0
		.amdhsa_exception_int_div_zero 0
	.end_amdhsa_kernel
	.section	.text._ZN7rocprim17ROCPRIM_400000_NS6detail17trampoline_kernelINS0_14default_configENS1_35radix_sort_onesweep_config_selectorIsNS0_10empty_typeEEEZZNS1_29radix_sort_onesweep_iterationIS3_Lb1EPKsPsPS5_SB_mNS0_19identity_decomposerENS1_16block_id_wrapperIjLb0EEEEE10hipError_tT1_PNSt15iterator_traitsISG_E10value_typeET2_T3_PNSH_ISM_E10value_typeET4_T5_PSR_SS_PNS1_23onesweep_lookback_stateEbbT6_jjT7_P12ihipStream_tbENKUlT_T0_SG_SL_E_clISA_SA_SB_SB_EEDaSZ_S10_SG_SL_EUlSZ_E_NS1_11comp_targetILNS1_3genE6ELNS1_11target_archE950ELNS1_3gpuE13ELNS1_3repE0EEENS1_47radix_sort_onesweep_sort_config_static_selectorELNS0_4arch9wavefront6targetE0EEEvSG_,"axG",@progbits,_ZN7rocprim17ROCPRIM_400000_NS6detail17trampoline_kernelINS0_14default_configENS1_35radix_sort_onesweep_config_selectorIsNS0_10empty_typeEEEZZNS1_29radix_sort_onesweep_iterationIS3_Lb1EPKsPsPS5_SB_mNS0_19identity_decomposerENS1_16block_id_wrapperIjLb0EEEEE10hipError_tT1_PNSt15iterator_traitsISG_E10value_typeET2_T3_PNSH_ISM_E10value_typeET4_T5_PSR_SS_PNS1_23onesweep_lookback_stateEbbT6_jjT7_P12ihipStream_tbENKUlT_T0_SG_SL_E_clISA_SA_SB_SB_EEDaSZ_S10_SG_SL_EUlSZ_E_NS1_11comp_targetILNS1_3genE6ELNS1_11target_archE950ELNS1_3gpuE13ELNS1_3repE0EEENS1_47radix_sort_onesweep_sort_config_static_selectorELNS0_4arch9wavefront6targetE0EEEvSG_,comdat
.Lfunc_end630:
	.size	_ZN7rocprim17ROCPRIM_400000_NS6detail17trampoline_kernelINS0_14default_configENS1_35radix_sort_onesweep_config_selectorIsNS0_10empty_typeEEEZZNS1_29radix_sort_onesweep_iterationIS3_Lb1EPKsPsPS5_SB_mNS0_19identity_decomposerENS1_16block_id_wrapperIjLb0EEEEE10hipError_tT1_PNSt15iterator_traitsISG_E10value_typeET2_T3_PNSH_ISM_E10value_typeET4_T5_PSR_SS_PNS1_23onesweep_lookback_stateEbbT6_jjT7_P12ihipStream_tbENKUlT_T0_SG_SL_E_clISA_SA_SB_SB_EEDaSZ_S10_SG_SL_EUlSZ_E_NS1_11comp_targetILNS1_3genE6ELNS1_11target_archE950ELNS1_3gpuE13ELNS1_3repE0EEENS1_47radix_sort_onesweep_sort_config_static_selectorELNS0_4arch9wavefront6targetE0EEEvSG_, .Lfunc_end630-_ZN7rocprim17ROCPRIM_400000_NS6detail17trampoline_kernelINS0_14default_configENS1_35radix_sort_onesweep_config_selectorIsNS0_10empty_typeEEEZZNS1_29radix_sort_onesweep_iterationIS3_Lb1EPKsPsPS5_SB_mNS0_19identity_decomposerENS1_16block_id_wrapperIjLb0EEEEE10hipError_tT1_PNSt15iterator_traitsISG_E10value_typeET2_T3_PNSH_ISM_E10value_typeET4_T5_PSR_SS_PNS1_23onesweep_lookback_stateEbbT6_jjT7_P12ihipStream_tbENKUlT_T0_SG_SL_E_clISA_SA_SB_SB_EEDaSZ_S10_SG_SL_EUlSZ_E_NS1_11comp_targetILNS1_3genE6ELNS1_11target_archE950ELNS1_3gpuE13ELNS1_3repE0EEENS1_47radix_sort_onesweep_sort_config_static_selectorELNS0_4arch9wavefront6targetE0EEEvSG_
                                        ; -- End function
	.set _ZN7rocprim17ROCPRIM_400000_NS6detail17trampoline_kernelINS0_14default_configENS1_35radix_sort_onesweep_config_selectorIsNS0_10empty_typeEEEZZNS1_29radix_sort_onesweep_iterationIS3_Lb1EPKsPsPS5_SB_mNS0_19identity_decomposerENS1_16block_id_wrapperIjLb0EEEEE10hipError_tT1_PNSt15iterator_traitsISG_E10value_typeET2_T3_PNSH_ISM_E10value_typeET4_T5_PSR_SS_PNS1_23onesweep_lookback_stateEbbT6_jjT7_P12ihipStream_tbENKUlT_T0_SG_SL_E_clISA_SA_SB_SB_EEDaSZ_S10_SG_SL_EUlSZ_E_NS1_11comp_targetILNS1_3genE6ELNS1_11target_archE950ELNS1_3gpuE13ELNS1_3repE0EEENS1_47radix_sort_onesweep_sort_config_static_selectorELNS0_4arch9wavefront6targetE0EEEvSG_.num_vgpr, 0
	.set _ZN7rocprim17ROCPRIM_400000_NS6detail17trampoline_kernelINS0_14default_configENS1_35radix_sort_onesweep_config_selectorIsNS0_10empty_typeEEEZZNS1_29radix_sort_onesweep_iterationIS3_Lb1EPKsPsPS5_SB_mNS0_19identity_decomposerENS1_16block_id_wrapperIjLb0EEEEE10hipError_tT1_PNSt15iterator_traitsISG_E10value_typeET2_T3_PNSH_ISM_E10value_typeET4_T5_PSR_SS_PNS1_23onesweep_lookback_stateEbbT6_jjT7_P12ihipStream_tbENKUlT_T0_SG_SL_E_clISA_SA_SB_SB_EEDaSZ_S10_SG_SL_EUlSZ_E_NS1_11comp_targetILNS1_3genE6ELNS1_11target_archE950ELNS1_3gpuE13ELNS1_3repE0EEENS1_47radix_sort_onesweep_sort_config_static_selectorELNS0_4arch9wavefront6targetE0EEEvSG_.num_agpr, 0
	.set _ZN7rocprim17ROCPRIM_400000_NS6detail17trampoline_kernelINS0_14default_configENS1_35radix_sort_onesweep_config_selectorIsNS0_10empty_typeEEEZZNS1_29radix_sort_onesweep_iterationIS3_Lb1EPKsPsPS5_SB_mNS0_19identity_decomposerENS1_16block_id_wrapperIjLb0EEEEE10hipError_tT1_PNSt15iterator_traitsISG_E10value_typeET2_T3_PNSH_ISM_E10value_typeET4_T5_PSR_SS_PNS1_23onesweep_lookback_stateEbbT6_jjT7_P12ihipStream_tbENKUlT_T0_SG_SL_E_clISA_SA_SB_SB_EEDaSZ_S10_SG_SL_EUlSZ_E_NS1_11comp_targetILNS1_3genE6ELNS1_11target_archE950ELNS1_3gpuE13ELNS1_3repE0EEENS1_47radix_sort_onesweep_sort_config_static_selectorELNS0_4arch9wavefront6targetE0EEEvSG_.numbered_sgpr, 0
	.set _ZN7rocprim17ROCPRIM_400000_NS6detail17trampoline_kernelINS0_14default_configENS1_35radix_sort_onesweep_config_selectorIsNS0_10empty_typeEEEZZNS1_29radix_sort_onesweep_iterationIS3_Lb1EPKsPsPS5_SB_mNS0_19identity_decomposerENS1_16block_id_wrapperIjLb0EEEEE10hipError_tT1_PNSt15iterator_traitsISG_E10value_typeET2_T3_PNSH_ISM_E10value_typeET4_T5_PSR_SS_PNS1_23onesweep_lookback_stateEbbT6_jjT7_P12ihipStream_tbENKUlT_T0_SG_SL_E_clISA_SA_SB_SB_EEDaSZ_S10_SG_SL_EUlSZ_E_NS1_11comp_targetILNS1_3genE6ELNS1_11target_archE950ELNS1_3gpuE13ELNS1_3repE0EEENS1_47radix_sort_onesweep_sort_config_static_selectorELNS0_4arch9wavefront6targetE0EEEvSG_.num_named_barrier, 0
	.set _ZN7rocprim17ROCPRIM_400000_NS6detail17trampoline_kernelINS0_14default_configENS1_35radix_sort_onesweep_config_selectorIsNS0_10empty_typeEEEZZNS1_29radix_sort_onesweep_iterationIS3_Lb1EPKsPsPS5_SB_mNS0_19identity_decomposerENS1_16block_id_wrapperIjLb0EEEEE10hipError_tT1_PNSt15iterator_traitsISG_E10value_typeET2_T3_PNSH_ISM_E10value_typeET4_T5_PSR_SS_PNS1_23onesweep_lookback_stateEbbT6_jjT7_P12ihipStream_tbENKUlT_T0_SG_SL_E_clISA_SA_SB_SB_EEDaSZ_S10_SG_SL_EUlSZ_E_NS1_11comp_targetILNS1_3genE6ELNS1_11target_archE950ELNS1_3gpuE13ELNS1_3repE0EEENS1_47radix_sort_onesweep_sort_config_static_selectorELNS0_4arch9wavefront6targetE0EEEvSG_.private_seg_size, 0
	.set _ZN7rocprim17ROCPRIM_400000_NS6detail17trampoline_kernelINS0_14default_configENS1_35radix_sort_onesweep_config_selectorIsNS0_10empty_typeEEEZZNS1_29radix_sort_onesweep_iterationIS3_Lb1EPKsPsPS5_SB_mNS0_19identity_decomposerENS1_16block_id_wrapperIjLb0EEEEE10hipError_tT1_PNSt15iterator_traitsISG_E10value_typeET2_T3_PNSH_ISM_E10value_typeET4_T5_PSR_SS_PNS1_23onesweep_lookback_stateEbbT6_jjT7_P12ihipStream_tbENKUlT_T0_SG_SL_E_clISA_SA_SB_SB_EEDaSZ_S10_SG_SL_EUlSZ_E_NS1_11comp_targetILNS1_3genE6ELNS1_11target_archE950ELNS1_3gpuE13ELNS1_3repE0EEENS1_47radix_sort_onesweep_sort_config_static_selectorELNS0_4arch9wavefront6targetE0EEEvSG_.uses_vcc, 0
	.set _ZN7rocprim17ROCPRIM_400000_NS6detail17trampoline_kernelINS0_14default_configENS1_35radix_sort_onesweep_config_selectorIsNS0_10empty_typeEEEZZNS1_29radix_sort_onesweep_iterationIS3_Lb1EPKsPsPS5_SB_mNS0_19identity_decomposerENS1_16block_id_wrapperIjLb0EEEEE10hipError_tT1_PNSt15iterator_traitsISG_E10value_typeET2_T3_PNSH_ISM_E10value_typeET4_T5_PSR_SS_PNS1_23onesweep_lookback_stateEbbT6_jjT7_P12ihipStream_tbENKUlT_T0_SG_SL_E_clISA_SA_SB_SB_EEDaSZ_S10_SG_SL_EUlSZ_E_NS1_11comp_targetILNS1_3genE6ELNS1_11target_archE950ELNS1_3gpuE13ELNS1_3repE0EEENS1_47radix_sort_onesweep_sort_config_static_selectorELNS0_4arch9wavefront6targetE0EEEvSG_.uses_flat_scratch, 0
	.set _ZN7rocprim17ROCPRIM_400000_NS6detail17trampoline_kernelINS0_14default_configENS1_35radix_sort_onesweep_config_selectorIsNS0_10empty_typeEEEZZNS1_29radix_sort_onesweep_iterationIS3_Lb1EPKsPsPS5_SB_mNS0_19identity_decomposerENS1_16block_id_wrapperIjLb0EEEEE10hipError_tT1_PNSt15iterator_traitsISG_E10value_typeET2_T3_PNSH_ISM_E10value_typeET4_T5_PSR_SS_PNS1_23onesweep_lookback_stateEbbT6_jjT7_P12ihipStream_tbENKUlT_T0_SG_SL_E_clISA_SA_SB_SB_EEDaSZ_S10_SG_SL_EUlSZ_E_NS1_11comp_targetILNS1_3genE6ELNS1_11target_archE950ELNS1_3gpuE13ELNS1_3repE0EEENS1_47radix_sort_onesweep_sort_config_static_selectorELNS0_4arch9wavefront6targetE0EEEvSG_.has_dyn_sized_stack, 0
	.set _ZN7rocprim17ROCPRIM_400000_NS6detail17trampoline_kernelINS0_14default_configENS1_35radix_sort_onesweep_config_selectorIsNS0_10empty_typeEEEZZNS1_29radix_sort_onesweep_iterationIS3_Lb1EPKsPsPS5_SB_mNS0_19identity_decomposerENS1_16block_id_wrapperIjLb0EEEEE10hipError_tT1_PNSt15iterator_traitsISG_E10value_typeET2_T3_PNSH_ISM_E10value_typeET4_T5_PSR_SS_PNS1_23onesweep_lookback_stateEbbT6_jjT7_P12ihipStream_tbENKUlT_T0_SG_SL_E_clISA_SA_SB_SB_EEDaSZ_S10_SG_SL_EUlSZ_E_NS1_11comp_targetILNS1_3genE6ELNS1_11target_archE950ELNS1_3gpuE13ELNS1_3repE0EEENS1_47radix_sort_onesweep_sort_config_static_selectorELNS0_4arch9wavefront6targetE0EEEvSG_.has_recursion, 0
	.set _ZN7rocprim17ROCPRIM_400000_NS6detail17trampoline_kernelINS0_14default_configENS1_35radix_sort_onesweep_config_selectorIsNS0_10empty_typeEEEZZNS1_29radix_sort_onesweep_iterationIS3_Lb1EPKsPsPS5_SB_mNS0_19identity_decomposerENS1_16block_id_wrapperIjLb0EEEEE10hipError_tT1_PNSt15iterator_traitsISG_E10value_typeET2_T3_PNSH_ISM_E10value_typeET4_T5_PSR_SS_PNS1_23onesweep_lookback_stateEbbT6_jjT7_P12ihipStream_tbENKUlT_T0_SG_SL_E_clISA_SA_SB_SB_EEDaSZ_S10_SG_SL_EUlSZ_E_NS1_11comp_targetILNS1_3genE6ELNS1_11target_archE950ELNS1_3gpuE13ELNS1_3repE0EEENS1_47radix_sort_onesweep_sort_config_static_selectorELNS0_4arch9wavefront6targetE0EEEvSG_.has_indirect_call, 0
	.section	.AMDGPU.csdata,"",@progbits
; Kernel info:
; codeLenInByte = 0
; TotalNumSgprs: 0
; NumVgprs: 0
; ScratchSize: 0
; MemoryBound: 0
; FloatMode: 240
; IeeeMode: 1
; LDSByteSize: 0 bytes/workgroup (compile time only)
; SGPRBlocks: 0
; VGPRBlocks: 0
; NumSGPRsForWavesPerEU: 1
; NumVGPRsForWavesPerEU: 1
; NamedBarCnt: 0
; Occupancy: 16
; WaveLimiterHint : 0
; COMPUTE_PGM_RSRC2:SCRATCH_EN: 0
; COMPUTE_PGM_RSRC2:USER_SGPR: 2
; COMPUTE_PGM_RSRC2:TRAP_HANDLER: 0
; COMPUTE_PGM_RSRC2:TGID_X_EN: 1
; COMPUTE_PGM_RSRC2:TGID_Y_EN: 0
; COMPUTE_PGM_RSRC2:TGID_Z_EN: 0
; COMPUTE_PGM_RSRC2:TIDIG_COMP_CNT: 0
	.section	.text._ZN7rocprim17ROCPRIM_400000_NS6detail17trampoline_kernelINS0_14default_configENS1_35radix_sort_onesweep_config_selectorIsNS0_10empty_typeEEEZZNS1_29radix_sort_onesweep_iterationIS3_Lb1EPKsPsPS5_SB_mNS0_19identity_decomposerENS1_16block_id_wrapperIjLb0EEEEE10hipError_tT1_PNSt15iterator_traitsISG_E10value_typeET2_T3_PNSH_ISM_E10value_typeET4_T5_PSR_SS_PNS1_23onesweep_lookback_stateEbbT6_jjT7_P12ihipStream_tbENKUlT_T0_SG_SL_E_clISA_SA_SB_SB_EEDaSZ_S10_SG_SL_EUlSZ_E_NS1_11comp_targetILNS1_3genE5ELNS1_11target_archE942ELNS1_3gpuE9ELNS1_3repE0EEENS1_47radix_sort_onesweep_sort_config_static_selectorELNS0_4arch9wavefront6targetE0EEEvSG_,"axG",@progbits,_ZN7rocprim17ROCPRIM_400000_NS6detail17trampoline_kernelINS0_14default_configENS1_35radix_sort_onesweep_config_selectorIsNS0_10empty_typeEEEZZNS1_29radix_sort_onesweep_iterationIS3_Lb1EPKsPsPS5_SB_mNS0_19identity_decomposerENS1_16block_id_wrapperIjLb0EEEEE10hipError_tT1_PNSt15iterator_traitsISG_E10value_typeET2_T3_PNSH_ISM_E10value_typeET4_T5_PSR_SS_PNS1_23onesweep_lookback_stateEbbT6_jjT7_P12ihipStream_tbENKUlT_T0_SG_SL_E_clISA_SA_SB_SB_EEDaSZ_S10_SG_SL_EUlSZ_E_NS1_11comp_targetILNS1_3genE5ELNS1_11target_archE942ELNS1_3gpuE9ELNS1_3repE0EEENS1_47radix_sort_onesweep_sort_config_static_selectorELNS0_4arch9wavefront6targetE0EEEvSG_,comdat
	.protected	_ZN7rocprim17ROCPRIM_400000_NS6detail17trampoline_kernelINS0_14default_configENS1_35radix_sort_onesweep_config_selectorIsNS0_10empty_typeEEEZZNS1_29radix_sort_onesweep_iterationIS3_Lb1EPKsPsPS5_SB_mNS0_19identity_decomposerENS1_16block_id_wrapperIjLb0EEEEE10hipError_tT1_PNSt15iterator_traitsISG_E10value_typeET2_T3_PNSH_ISM_E10value_typeET4_T5_PSR_SS_PNS1_23onesweep_lookback_stateEbbT6_jjT7_P12ihipStream_tbENKUlT_T0_SG_SL_E_clISA_SA_SB_SB_EEDaSZ_S10_SG_SL_EUlSZ_E_NS1_11comp_targetILNS1_3genE5ELNS1_11target_archE942ELNS1_3gpuE9ELNS1_3repE0EEENS1_47radix_sort_onesweep_sort_config_static_selectorELNS0_4arch9wavefront6targetE0EEEvSG_ ; -- Begin function _ZN7rocprim17ROCPRIM_400000_NS6detail17trampoline_kernelINS0_14default_configENS1_35radix_sort_onesweep_config_selectorIsNS0_10empty_typeEEEZZNS1_29radix_sort_onesweep_iterationIS3_Lb1EPKsPsPS5_SB_mNS0_19identity_decomposerENS1_16block_id_wrapperIjLb0EEEEE10hipError_tT1_PNSt15iterator_traitsISG_E10value_typeET2_T3_PNSH_ISM_E10value_typeET4_T5_PSR_SS_PNS1_23onesweep_lookback_stateEbbT6_jjT7_P12ihipStream_tbENKUlT_T0_SG_SL_E_clISA_SA_SB_SB_EEDaSZ_S10_SG_SL_EUlSZ_E_NS1_11comp_targetILNS1_3genE5ELNS1_11target_archE942ELNS1_3gpuE9ELNS1_3repE0EEENS1_47radix_sort_onesweep_sort_config_static_selectorELNS0_4arch9wavefront6targetE0EEEvSG_
	.globl	_ZN7rocprim17ROCPRIM_400000_NS6detail17trampoline_kernelINS0_14default_configENS1_35radix_sort_onesweep_config_selectorIsNS0_10empty_typeEEEZZNS1_29radix_sort_onesweep_iterationIS3_Lb1EPKsPsPS5_SB_mNS0_19identity_decomposerENS1_16block_id_wrapperIjLb0EEEEE10hipError_tT1_PNSt15iterator_traitsISG_E10value_typeET2_T3_PNSH_ISM_E10value_typeET4_T5_PSR_SS_PNS1_23onesweep_lookback_stateEbbT6_jjT7_P12ihipStream_tbENKUlT_T0_SG_SL_E_clISA_SA_SB_SB_EEDaSZ_S10_SG_SL_EUlSZ_E_NS1_11comp_targetILNS1_3genE5ELNS1_11target_archE942ELNS1_3gpuE9ELNS1_3repE0EEENS1_47radix_sort_onesweep_sort_config_static_selectorELNS0_4arch9wavefront6targetE0EEEvSG_
	.p2align	8
	.type	_ZN7rocprim17ROCPRIM_400000_NS6detail17trampoline_kernelINS0_14default_configENS1_35radix_sort_onesweep_config_selectorIsNS0_10empty_typeEEEZZNS1_29radix_sort_onesweep_iterationIS3_Lb1EPKsPsPS5_SB_mNS0_19identity_decomposerENS1_16block_id_wrapperIjLb0EEEEE10hipError_tT1_PNSt15iterator_traitsISG_E10value_typeET2_T3_PNSH_ISM_E10value_typeET4_T5_PSR_SS_PNS1_23onesweep_lookback_stateEbbT6_jjT7_P12ihipStream_tbENKUlT_T0_SG_SL_E_clISA_SA_SB_SB_EEDaSZ_S10_SG_SL_EUlSZ_E_NS1_11comp_targetILNS1_3genE5ELNS1_11target_archE942ELNS1_3gpuE9ELNS1_3repE0EEENS1_47radix_sort_onesweep_sort_config_static_selectorELNS0_4arch9wavefront6targetE0EEEvSG_,@function
_ZN7rocprim17ROCPRIM_400000_NS6detail17trampoline_kernelINS0_14default_configENS1_35radix_sort_onesweep_config_selectorIsNS0_10empty_typeEEEZZNS1_29radix_sort_onesweep_iterationIS3_Lb1EPKsPsPS5_SB_mNS0_19identity_decomposerENS1_16block_id_wrapperIjLb0EEEEE10hipError_tT1_PNSt15iterator_traitsISG_E10value_typeET2_T3_PNSH_ISM_E10value_typeET4_T5_PSR_SS_PNS1_23onesweep_lookback_stateEbbT6_jjT7_P12ihipStream_tbENKUlT_T0_SG_SL_E_clISA_SA_SB_SB_EEDaSZ_S10_SG_SL_EUlSZ_E_NS1_11comp_targetILNS1_3genE5ELNS1_11target_archE942ELNS1_3gpuE9ELNS1_3repE0EEENS1_47radix_sort_onesweep_sort_config_static_selectorELNS0_4arch9wavefront6targetE0EEEvSG_: ; @_ZN7rocprim17ROCPRIM_400000_NS6detail17trampoline_kernelINS0_14default_configENS1_35radix_sort_onesweep_config_selectorIsNS0_10empty_typeEEEZZNS1_29radix_sort_onesweep_iterationIS3_Lb1EPKsPsPS5_SB_mNS0_19identity_decomposerENS1_16block_id_wrapperIjLb0EEEEE10hipError_tT1_PNSt15iterator_traitsISG_E10value_typeET2_T3_PNSH_ISM_E10value_typeET4_T5_PSR_SS_PNS1_23onesweep_lookback_stateEbbT6_jjT7_P12ihipStream_tbENKUlT_T0_SG_SL_E_clISA_SA_SB_SB_EEDaSZ_S10_SG_SL_EUlSZ_E_NS1_11comp_targetILNS1_3genE5ELNS1_11target_archE942ELNS1_3gpuE9ELNS1_3repE0EEENS1_47radix_sort_onesweep_sort_config_static_selectorELNS0_4arch9wavefront6targetE0EEEvSG_
; %bb.0:
	.section	.rodata,"a",@progbits
	.p2align	6, 0x0
	.amdhsa_kernel _ZN7rocprim17ROCPRIM_400000_NS6detail17trampoline_kernelINS0_14default_configENS1_35radix_sort_onesweep_config_selectorIsNS0_10empty_typeEEEZZNS1_29radix_sort_onesweep_iterationIS3_Lb1EPKsPsPS5_SB_mNS0_19identity_decomposerENS1_16block_id_wrapperIjLb0EEEEE10hipError_tT1_PNSt15iterator_traitsISG_E10value_typeET2_T3_PNSH_ISM_E10value_typeET4_T5_PSR_SS_PNS1_23onesweep_lookback_stateEbbT6_jjT7_P12ihipStream_tbENKUlT_T0_SG_SL_E_clISA_SA_SB_SB_EEDaSZ_S10_SG_SL_EUlSZ_E_NS1_11comp_targetILNS1_3genE5ELNS1_11target_archE942ELNS1_3gpuE9ELNS1_3repE0EEENS1_47radix_sort_onesweep_sort_config_static_selectorELNS0_4arch9wavefront6targetE0EEEvSG_
		.amdhsa_group_segment_fixed_size 0
		.amdhsa_private_segment_fixed_size 0
		.amdhsa_kernarg_size 88
		.amdhsa_user_sgpr_count 2
		.amdhsa_user_sgpr_dispatch_ptr 0
		.amdhsa_user_sgpr_queue_ptr 0
		.amdhsa_user_sgpr_kernarg_segment_ptr 1
		.amdhsa_user_sgpr_dispatch_id 0
		.amdhsa_user_sgpr_kernarg_preload_length 0
		.amdhsa_user_sgpr_kernarg_preload_offset 0
		.amdhsa_user_sgpr_private_segment_size 0
		.amdhsa_wavefront_size32 1
		.amdhsa_uses_dynamic_stack 0
		.amdhsa_enable_private_segment 0
		.amdhsa_system_sgpr_workgroup_id_x 1
		.amdhsa_system_sgpr_workgroup_id_y 0
		.amdhsa_system_sgpr_workgroup_id_z 0
		.amdhsa_system_sgpr_workgroup_info 0
		.amdhsa_system_vgpr_workitem_id 0
		.amdhsa_next_free_vgpr 1
		.amdhsa_next_free_sgpr 1
		.amdhsa_named_barrier_count 0
		.amdhsa_reserve_vcc 0
		.amdhsa_float_round_mode_32 0
		.amdhsa_float_round_mode_16_64 0
		.amdhsa_float_denorm_mode_32 3
		.amdhsa_float_denorm_mode_16_64 3
		.amdhsa_fp16_overflow 0
		.amdhsa_memory_ordered 1
		.amdhsa_forward_progress 1
		.amdhsa_inst_pref_size 0
		.amdhsa_round_robin_scheduling 0
		.amdhsa_exception_fp_ieee_invalid_op 0
		.amdhsa_exception_fp_denorm_src 0
		.amdhsa_exception_fp_ieee_div_zero 0
		.amdhsa_exception_fp_ieee_overflow 0
		.amdhsa_exception_fp_ieee_underflow 0
		.amdhsa_exception_fp_ieee_inexact 0
		.amdhsa_exception_int_div_zero 0
	.end_amdhsa_kernel
	.section	.text._ZN7rocprim17ROCPRIM_400000_NS6detail17trampoline_kernelINS0_14default_configENS1_35radix_sort_onesweep_config_selectorIsNS0_10empty_typeEEEZZNS1_29radix_sort_onesweep_iterationIS3_Lb1EPKsPsPS5_SB_mNS0_19identity_decomposerENS1_16block_id_wrapperIjLb0EEEEE10hipError_tT1_PNSt15iterator_traitsISG_E10value_typeET2_T3_PNSH_ISM_E10value_typeET4_T5_PSR_SS_PNS1_23onesweep_lookback_stateEbbT6_jjT7_P12ihipStream_tbENKUlT_T0_SG_SL_E_clISA_SA_SB_SB_EEDaSZ_S10_SG_SL_EUlSZ_E_NS1_11comp_targetILNS1_3genE5ELNS1_11target_archE942ELNS1_3gpuE9ELNS1_3repE0EEENS1_47radix_sort_onesweep_sort_config_static_selectorELNS0_4arch9wavefront6targetE0EEEvSG_,"axG",@progbits,_ZN7rocprim17ROCPRIM_400000_NS6detail17trampoline_kernelINS0_14default_configENS1_35radix_sort_onesweep_config_selectorIsNS0_10empty_typeEEEZZNS1_29radix_sort_onesweep_iterationIS3_Lb1EPKsPsPS5_SB_mNS0_19identity_decomposerENS1_16block_id_wrapperIjLb0EEEEE10hipError_tT1_PNSt15iterator_traitsISG_E10value_typeET2_T3_PNSH_ISM_E10value_typeET4_T5_PSR_SS_PNS1_23onesweep_lookback_stateEbbT6_jjT7_P12ihipStream_tbENKUlT_T0_SG_SL_E_clISA_SA_SB_SB_EEDaSZ_S10_SG_SL_EUlSZ_E_NS1_11comp_targetILNS1_3genE5ELNS1_11target_archE942ELNS1_3gpuE9ELNS1_3repE0EEENS1_47radix_sort_onesweep_sort_config_static_selectorELNS0_4arch9wavefront6targetE0EEEvSG_,comdat
.Lfunc_end631:
	.size	_ZN7rocprim17ROCPRIM_400000_NS6detail17trampoline_kernelINS0_14default_configENS1_35radix_sort_onesweep_config_selectorIsNS0_10empty_typeEEEZZNS1_29radix_sort_onesweep_iterationIS3_Lb1EPKsPsPS5_SB_mNS0_19identity_decomposerENS1_16block_id_wrapperIjLb0EEEEE10hipError_tT1_PNSt15iterator_traitsISG_E10value_typeET2_T3_PNSH_ISM_E10value_typeET4_T5_PSR_SS_PNS1_23onesweep_lookback_stateEbbT6_jjT7_P12ihipStream_tbENKUlT_T0_SG_SL_E_clISA_SA_SB_SB_EEDaSZ_S10_SG_SL_EUlSZ_E_NS1_11comp_targetILNS1_3genE5ELNS1_11target_archE942ELNS1_3gpuE9ELNS1_3repE0EEENS1_47radix_sort_onesweep_sort_config_static_selectorELNS0_4arch9wavefront6targetE0EEEvSG_, .Lfunc_end631-_ZN7rocprim17ROCPRIM_400000_NS6detail17trampoline_kernelINS0_14default_configENS1_35radix_sort_onesweep_config_selectorIsNS0_10empty_typeEEEZZNS1_29radix_sort_onesweep_iterationIS3_Lb1EPKsPsPS5_SB_mNS0_19identity_decomposerENS1_16block_id_wrapperIjLb0EEEEE10hipError_tT1_PNSt15iterator_traitsISG_E10value_typeET2_T3_PNSH_ISM_E10value_typeET4_T5_PSR_SS_PNS1_23onesweep_lookback_stateEbbT6_jjT7_P12ihipStream_tbENKUlT_T0_SG_SL_E_clISA_SA_SB_SB_EEDaSZ_S10_SG_SL_EUlSZ_E_NS1_11comp_targetILNS1_3genE5ELNS1_11target_archE942ELNS1_3gpuE9ELNS1_3repE0EEENS1_47radix_sort_onesweep_sort_config_static_selectorELNS0_4arch9wavefront6targetE0EEEvSG_
                                        ; -- End function
	.set _ZN7rocprim17ROCPRIM_400000_NS6detail17trampoline_kernelINS0_14default_configENS1_35radix_sort_onesweep_config_selectorIsNS0_10empty_typeEEEZZNS1_29radix_sort_onesweep_iterationIS3_Lb1EPKsPsPS5_SB_mNS0_19identity_decomposerENS1_16block_id_wrapperIjLb0EEEEE10hipError_tT1_PNSt15iterator_traitsISG_E10value_typeET2_T3_PNSH_ISM_E10value_typeET4_T5_PSR_SS_PNS1_23onesweep_lookback_stateEbbT6_jjT7_P12ihipStream_tbENKUlT_T0_SG_SL_E_clISA_SA_SB_SB_EEDaSZ_S10_SG_SL_EUlSZ_E_NS1_11comp_targetILNS1_3genE5ELNS1_11target_archE942ELNS1_3gpuE9ELNS1_3repE0EEENS1_47radix_sort_onesweep_sort_config_static_selectorELNS0_4arch9wavefront6targetE0EEEvSG_.num_vgpr, 0
	.set _ZN7rocprim17ROCPRIM_400000_NS6detail17trampoline_kernelINS0_14default_configENS1_35radix_sort_onesweep_config_selectorIsNS0_10empty_typeEEEZZNS1_29radix_sort_onesweep_iterationIS3_Lb1EPKsPsPS5_SB_mNS0_19identity_decomposerENS1_16block_id_wrapperIjLb0EEEEE10hipError_tT1_PNSt15iterator_traitsISG_E10value_typeET2_T3_PNSH_ISM_E10value_typeET4_T5_PSR_SS_PNS1_23onesweep_lookback_stateEbbT6_jjT7_P12ihipStream_tbENKUlT_T0_SG_SL_E_clISA_SA_SB_SB_EEDaSZ_S10_SG_SL_EUlSZ_E_NS1_11comp_targetILNS1_3genE5ELNS1_11target_archE942ELNS1_3gpuE9ELNS1_3repE0EEENS1_47radix_sort_onesweep_sort_config_static_selectorELNS0_4arch9wavefront6targetE0EEEvSG_.num_agpr, 0
	.set _ZN7rocprim17ROCPRIM_400000_NS6detail17trampoline_kernelINS0_14default_configENS1_35radix_sort_onesweep_config_selectorIsNS0_10empty_typeEEEZZNS1_29radix_sort_onesweep_iterationIS3_Lb1EPKsPsPS5_SB_mNS0_19identity_decomposerENS1_16block_id_wrapperIjLb0EEEEE10hipError_tT1_PNSt15iterator_traitsISG_E10value_typeET2_T3_PNSH_ISM_E10value_typeET4_T5_PSR_SS_PNS1_23onesweep_lookback_stateEbbT6_jjT7_P12ihipStream_tbENKUlT_T0_SG_SL_E_clISA_SA_SB_SB_EEDaSZ_S10_SG_SL_EUlSZ_E_NS1_11comp_targetILNS1_3genE5ELNS1_11target_archE942ELNS1_3gpuE9ELNS1_3repE0EEENS1_47radix_sort_onesweep_sort_config_static_selectorELNS0_4arch9wavefront6targetE0EEEvSG_.numbered_sgpr, 0
	.set _ZN7rocprim17ROCPRIM_400000_NS6detail17trampoline_kernelINS0_14default_configENS1_35radix_sort_onesweep_config_selectorIsNS0_10empty_typeEEEZZNS1_29radix_sort_onesweep_iterationIS3_Lb1EPKsPsPS5_SB_mNS0_19identity_decomposerENS1_16block_id_wrapperIjLb0EEEEE10hipError_tT1_PNSt15iterator_traitsISG_E10value_typeET2_T3_PNSH_ISM_E10value_typeET4_T5_PSR_SS_PNS1_23onesweep_lookback_stateEbbT6_jjT7_P12ihipStream_tbENKUlT_T0_SG_SL_E_clISA_SA_SB_SB_EEDaSZ_S10_SG_SL_EUlSZ_E_NS1_11comp_targetILNS1_3genE5ELNS1_11target_archE942ELNS1_3gpuE9ELNS1_3repE0EEENS1_47radix_sort_onesweep_sort_config_static_selectorELNS0_4arch9wavefront6targetE0EEEvSG_.num_named_barrier, 0
	.set _ZN7rocprim17ROCPRIM_400000_NS6detail17trampoline_kernelINS0_14default_configENS1_35radix_sort_onesweep_config_selectorIsNS0_10empty_typeEEEZZNS1_29radix_sort_onesweep_iterationIS3_Lb1EPKsPsPS5_SB_mNS0_19identity_decomposerENS1_16block_id_wrapperIjLb0EEEEE10hipError_tT1_PNSt15iterator_traitsISG_E10value_typeET2_T3_PNSH_ISM_E10value_typeET4_T5_PSR_SS_PNS1_23onesweep_lookback_stateEbbT6_jjT7_P12ihipStream_tbENKUlT_T0_SG_SL_E_clISA_SA_SB_SB_EEDaSZ_S10_SG_SL_EUlSZ_E_NS1_11comp_targetILNS1_3genE5ELNS1_11target_archE942ELNS1_3gpuE9ELNS1_3repE0EEENS1_47radix_sort_onesweep_sort_config_static_selectorELNS0_4arch9wavefront6targetE0EEEvSG_.private_seg_size, 0
	.set _ZN7rocprim17ROCPRIM_400000_NS6detail17trampoline_kernelINS0_14default_configENS1_35radix_sort_onesweep_config_selectorIsNS0_10empty_typeEEEZZNS1_29radix_sort_onesweep_iterationIS3_Lb1EPKsPsPS5_SB_mNS0_19identity_decomposerENS1_16block_id_wrapperIjLb0EEEEE10hipError_tT1_PNSt15iterator_traitsISG_E10value_typeET2_T3_PNSH_ISM_E10value_typeET4_T5_PSR_SS_PNS1_23onesweep_lookback_stateEbbT6_jjT7_P12ihipStream_tbENKUlT_T0_SG_SL_E_clISA_SA_SB_SB_EEDaSZ_S10_SG_SL_EUlSZ_E_NS1_11comp_targetILNS1_3genE5ELNS1_11target_archE942ELNS1_3gpuE9ELNS1_3repE0EEENS1_47radix_sort_onesweep_sort_config_static_selectorELNS0_4arch9wavefront6targetE0EEEvSG_.uses_vcc, 0
	.set _ZN7rocprim17ROCPRIM_400000_NS6detail17trampoline_kernelINS0_14default_configENS1_35radix_sort_onesweep_config_selectorIsNS0_10empty_typeEEEZZNS1_29radix_sort_onesweep_iterationIS3_Lb1EPKsPsPS5_SB_mNS0_19identity_decomposerENS1_16block_id_wrapperIjLb0EEEEE10hipError_tT1_PNSt15iterator_traitsISG_E10value_typeET2_T3_PNSH_ISM_E10value_typeET4_T5_PSR_SS_PNS1_23onesweep_lookback_stateEbbT6_jjT7_P12ihipStream_tbENKUlT_T0_SG_SL_E_clISA_SA_SB_SB_EEDaSZ_S10_SG_SL_EUlSZ_E_NS1_11comp_targetILNS1_3genE5ELNS1_11target_archE942ELNS1_3gpuE9ELNS1_3repE0EEENS1_47radix_sort_onesweep_sort_config_static_selectorELNS0_4arch9wavefront6targetE0EEEvSG_.uses_flat_scratch, 0
	.set _ZN7rocprim17ROCPRIM_400000_NS6detail17trampoline_kernelINS0_14default_configENS1_35radix_sort_onesweep_config_selectorIsNS0_10empty_typeEEEZZNS1_29radix_sort_onesweep_iterationIS3_Lb1EPKsPsPS5_SB_mNS0_19identity_decomposerENS1_16block_id_wrapperIjLb0EEEEE10hipError_tT1_PNSt15iterator_traitsISG_E10value_typeET2_T3_PNSH_ISM_E10value_typeET4_T5_PSR_SS_PNS1_23onesweep_lookback_stateEbbT6_jjT7_P12ihipStream_tbENKUlT_T0_SG_SL_E_clISA_SA_SB_SB_EEDaSZ_S10_SG_SL_EUlSZ_E_NS1_11comp_targetILNS1_3genE5ELNS1_11target_archE942ELNS1_3gpuE9ELNS1_3repE0EEENS1_47radix_sort_onesweep_sort_config_static_selectorELNS0_4arch9wavefront6targetE0EEEvSG_.has_dyn_sized_stack, 0
	.set _ZN7rocprim17ROCPRIM_400000_NS6detail17trampoline_kernelINS0_14default_configENS1_35radix_sort_onesweep_config_selectorIsNS0_10empty_typeEEEZZNS1_29radix_sort_onesweep_iterationIS3_Lb1EPKsPsPS5_SB_mNS0_19identity_decomposerENS1_16block_id_wrapperIjLb0EEEEE10hipError_tT1_PNSt15iterator_traitsISG_E10value_typeET2_T3_PNSH_ISM_E10value_typeET4_T5_PSR_SS_PNS1_23onesweep_lookback_stateEbbT6_jjT7_P12ihipStream_tbENKUlT_T0_SG_SL_E_clISA_SA_SB_SB_EEDaSZ_S10_SG_SL_EUlSZ_E_NS1_11comp_targetILNS1_3genE5ELNS1_11target_archE942ELNS1_3gpuE9ELNS1_3repE0EEENS1_47radix_sort_onesweep_sort_config_static_selectorELNS0_4arch9wavefront6targetE0EEEvSG_.has_recursion, 0
	.set _ZN7rocprim17ROCPRIM_400000_NS6detail17trampoline_kernelINS0_14default_configENS1_35radix_sort_onesweep_config_selectorIsNS0_10empty_typeEEEZZNS1_29radix_sort_onesweep_iterationIS3_Lb1EPKsPsPS5_SB_mNS0_19identity_decomposerENS1_16block_id_wrapperIjLb0EEEEE10hipError_tT1_PNSt15iterator_traitsISG_E10value_typeET2_T3_PNSH_ISM_E10value_typeET4_T5_PSR_SS_PNS1_23onesweep_lookback_stateEbbT6_jjT7_P12ihipStream_tbENKUlT_T0_SG_SL_E_clISA_SA_SB_SB_EEDaSZ_S10_SG_SL_EUlSZ_E_NS1_11comp_targetILNS1_3genE5ELNS1_11target_archE942ELNS1_3gpuE9ELNS1_3repE0EEENS1_47radix_sort_onesweep_sort_config_static_selectorELNS0_4arch9wavefront6targetE0EEEvSG_.has_indirect_call, 0
	.section	.AMDGPU.csdata,"",@progbits
; Kernel info:
; codeLenInByte = 0
; TotalNumSgprs: 0
; NumVgprs: 0
; ScratchSize: 0
; MemoryBound: 0
; FloatMode: 240
; IeeeMode: 1
; LDSByteSize: 0 bytes/workgroup (compile time only)
; SGPRBlocks: 0
; VGPRBlocks: 0
; NumSGPRsForWavesPerEU: 1
; NumVGPRsForWavesPerEU: 1
; NamedBarCnt: 0
; Occupancy: 16
; WaveLimiterHint : 0
; COMPUTE_PGM_RSRC2:SCRATCH_EN: 0
; COMPUTE_PGM_RSRC2:USER_SGPR: 2
; COMPUTE_PGM_RSRC2:TRAP_HANDLER: 0
; COMPUTE_PGM_RSRC2:TGID_X_EN: 1
; COMPUTE_PGM_RSRC2:TGID_Y_EN: 0
; COMPUTE_PGM_RSRC2:TGID_Z_EN: 0
; COMPUTE_PGM_RSRC2:TIDIG_COMP_CNT: 0
	.section	.text._ZN7rocprim17ROCPRIM_400000_NS6detail17trampoline_kernelINS0_14default_configENS1_35radix_sort_onesweep_config_selectorIsNS0_10empty_typeEEEZZNS1_29radix_sort_onesweep_iterationIS3_Lb1EPKsPsPS5_SB_mNS0_19identity_decomposerENS1_16block_id_wrapperIjLb0EEEEE10hipError_tT1_PNSt15iterator_traitsISG_E10value_typeET2_T3_PNSH_ISM_E10value_typeET4_T5_PSR_SS_PNS1_23onesweep_lookback_stateEbbT6_jjT7_P12ihipStream_tbENKUlT_T0_SG_SL_E_clISA_SA_SB_SB_EEDaSZ_S10_SG_SL_EUlSZ_E_NS1_11comp_targetILNS1_3genE2ELNS1_11target_archE906ELNS1_3gpuE6ELNS1_3repE0EEENS1_47radix_sort_onesweep_sort_config_static_selectorELNS0_4arch9wavefront6targetE0EEEvSG_,"axG",@progbits,_ZN7rocprim17ROCPRIM_400000_NS6detail17trampoline_kernelINS0_14default_configENS1_35radix_sort_onesweep_config_selectorIsNS0_10empty_typeEEEZZNS1_29radix_sort_onesweep_iterationIS3_Lb1EPKsPsPS5_SB_mNS0_19identity_decomposerENS1_16block_id_wrapperIjLb0EEEEE10hipError_tT1_PNSt15iterator_traitsISG_E10value_typeET2_T3_PNSH_ISM_E10value_typeET4_T5_PSR_SS_PNS1_23onesweep_lookback_stateEbbT6_jjT7_P12ihipStream_tbENKUlT_T0_SG_SL_E_clISA_SA_SB_SB_EEDaSZ_S10_SG_SL_EUlSZ_E_NS1_11comp_targetILNS1_3genE2ELNS1_11target_archE906ELNS1_3gpuE6ELNS1_3repE0EEENS1_47radix_sort_onesweep_sort_config_static_selectorELNS0_4arch9wavefront6targetE0EEEvSG_,comdat
	.protected	_ZN7rocprim17ROCPRIM_400000_NS6detail17trampoline_kernelINS0_14default_configENS1_35radix_sort_onesweep_config_selectorIsNS0_10empty_typeEEEZZNS1_29radix_sort_onesweep_iterationIS3_Lb1EPKsPsPS5_SB_mNS0_19identity_decomposerENS1_16block_id_wrapperIjLb0EEEEE10hipError_tT1_PNSt15iterator_traitsISG_E10value_typeET2_T3_PNSH_ISM_E10value_typeET4_T5_PSR_SS_PNS1_23onesweep_lookback_stateEbbT6_jjT7_P12ihipStream_tbENKUlT_T0_SG_SL_E_clISA_SA_SB_SB_EEDaSZ_S10_SG_SL_EUlSZ_E_NS1_11comp_targetILNS1_3genE2ELNS1_11target_archE906ELNS1_3gpuE6ELNS1_3repE0EEENS1_47radix_sort_onesweep_sort_config_static_selectorELNS0_4arch9wavefront6targetE0EEEvSG_ ; -- Begin function _ZN7rocprim17ROCPRIM_400000_NS6detail17trampoline_kernelINS0_14default_configENS1_35radix_sort_onesweep_config_selectorIsNS0_10empty_typeEEEZZNS1_29radix_sort_onesweep_iterationIS3_Lb1EPKsPsPS5_SB_mNS0_19identity_decomposerENS1_16block_id_wrapperIjLb0EEEEE10hipError_tT1_PNSt15iterator_traitsISG_E10value_typeET2_T3_PNSH_ISM_E10value_typeET4_T5_PSR_SS_PNS1_23onesweep_lookback_stateEbbT6_jjT7_P12ihipStream_tbENKUlT_T0_SG_SL_E_clISA_SA_SB_SB_EEDaSZ_S10_SG_SL_EUlSZ_E_NS1_11comp_targetILNS1_3genE2ELNS1_11target_archE906ELNS1_3gpuE6ELNS1_3repE0EEENS1_47radix_sort_onesweep_sort_config_static_selectorELNS0_4arch9wavefront6targetE0EEEvSG_
	.globl	_ZN7rocprim17ROCPRIM_400000_NS6detail17trampoline_kernelINS0_14default_configENS1_35radix_sort_onesweep_config_selectorIsNS0_10empty_typeEEEZZNS1_29radix_sort_onesweep_iterationIS3_Lb1EPKsPsPS5_SB_mNS0_19identity_decomposerENS1_16block_id_wrapperIjLb0EEEEE10hipError_tT1_PNSt15iterator_traitsISG_E10value_typeET2_T3_PNSH_ISM_E10value_typeET4_T5_PSR_SS_PNS1_23onesweep_lookback_stateEbbT6_jjT7_P12ihipStream_tbENKUlT_T0_SG_SL_E_clISA_SA_SB_SB_EEDaSZ_S10_SG_SL_EUlSZ_E_NS1_11comp_targetILNS1_3genE2ELNS1_11target_archE906ELNS1_3gpuE6ELNS1_3repE0EEENS1_47radix_sort_onesweep_sort_config_static_selectorELNS0_4arch9wavefront6targetE0EEEvSG_
	.p2align	8
	.type	_ZN7rocprim17ROCPRIM_400000_NS6detail17trampoline_kernelINS0_14default_configENS1_35radix_sort_onesweep_config_selectorIsNS0_10empty_typeEEEZZNS1_29radix_sort_onesweep_iterationIS3_Lb1EPKsPsPS5_SB_mNS0_19identity_decomposerENS1_16block_id_wrapperIjLb0EEEEE10hipError_tT1_PNSt15iterator_traitsISG_E10value_typeET2_T3_PNSH_ISM_E10value_typeET4_T5_PSR_SS_PNS1_23onesweep_lookback_stateEbbT6_jjT7_P12ihipStream_tbENKUlT_T0_SG_SL_E_clISA_SA_SB_SB_EEDaSZ_S10_SG_SL_EUlSZ_E_NS1_11comp_targetILNS1_3genE2ELNS1_11target_archE906ELNS1_3gpuE6ELNS1_3repE0EEENS1_47radix_sort_onesweep_sort_config_static_selectorELNS0_4arch9wavefront6targetE0EEEvSG_,@function
_ZN7rocprim17ROCPRIM_400000_NS6detail17trampoline_kernelINS0_14default_configENS1_35radix_sort_onesweep_config_selectorIsNS0_10empty_typeEEEZZNS1_29radix_sort_onesweep_iterationIS3_Lb1EPKsPsPS5_SB_mNS0_19identity_decomposerENS1_16block_id_wrapperIjLb0EEEEE10hipError_tT1_PNSt15iterator_traitsISG_E10value_typeET2_T3_PNSH_ISM_E10value_typeET4_T5_PSR_SS_PNS1_23onesweep_lookback_stateEbbT6_jjT7_P12ihipStream_tbENKUlT_T0_SG_SL_E_clISA_SA_SB_SB_EEDaSZ_S10_SG_SL_EUlSZ_E_NS1_11comp_targetILNS1_3genE2ELNS1_11target_archE906ELNS1_3gpuE6ELNS1_3repE0EEENS1_47radix_sort_onesweep_sort_config_static_selectorELNS0_4arch9wavefront6targetE0EEEvSG_: ; @_ZN7rocprim17ROCPRIM_400000_NS6detail17trampoline_kernelINS0_14default_configENS1_35radix_sort_onesweep_config_selectorIsNS0_10empty_typeEEEZZNS1_29radix_sort_onesweep_iterationIS3_Lb1EPKsPsPS5_SB_mNS0_19identity_decomposerENS1_16block_id_wrapperIjLb0EEEEE10hipError_tT1_PNSt15iterator_traitsISG_E10value_typeET2_T3_PNSH_ISM_E10value_typeET4_T5_PSR_SS_PNS1_23onesweep_lookback_stateEbbT6_jjT7_P12ihipStream_tbENKUlT_T0_SG_SL_E_clISA_SA_SB_SB_EEDaSZ_S10_SG_SL_EUlSZ_E_NS1_11comp_targetILNS1_3genE2ELNS1_11target_archE906ELNS1_3gpuE6ELNS1_3repE0EEENS1_47radix_sort_onesweep_sort_config_static_selectorELNS0_4arch9wavefront6targetE0EEEvSG_
; %bb.0:
	.section	.rodata,"a",@progbits
	.p2align	6, 0x0
	.amdhsa_kernel _ZN7rocprim17ROCPRIM_400000_NS6detail17trampoline_kernelINS0_14default_configENS1_35radix_sort_onesweep_config_selectorIsNS0_10empty_typeEEEZZNS1_29radix_sort_onesweep_iterationIS3_Lb1EPKsPsPS5_SB_mNS0_19identity_decomposerENS1_16block_id_wrapperIjLb0EEEEE10hipError_tT1_PNSt15iterator_traitsISG_E10value_typeET2_T3_PNSH_ISM_E10value_typeET4_T5_PSR_SS_PNS1_23onesweep_lookback_stateEbbT6_jjT7_P12ihipStream_tbENKUlT_T0_SG_SL_E_clISA_SA_SB_SB_EEDaSZ_S10_SG_SL_EUlSZ_E_NS1_11comp_targetILNS1_3genE2ELNS1_11target_archE906ELNS1_3gpuE6ELNS1_3repE0EEENS1_47radix_sort_onesweep_sort_config_static_selectorELNS0_4arch9wavefront6targetE0EEEvSG_
		.amdhsa_group_segment_fixed_size 0
		.amdhsa_private_segment_fixed_size 0
		.amdhsa_kernarg_size 88
		.amdhsa_user_sgpr_count 2
		.amdhsa_user_sgpr_dispatch_ptr 0
		.amdhsa_user_sgpr_queue_ptr 0
		.amdhsa_user_sgpr_kernarg_segment_ptr 1
		.amdhsa_user_sgpr_dispatch_id 0
		.amdhsa_user_sgpr_kernarg_preload_length 0
		.amdhsa_user_sgpr_kernarg_preload_offset 0
		.amdhsa_user_sgpr_private_segment_size 0
		.amdhsa_wavefront_size32 1
		.amdhsa_uses_dynamic_stack 0
		.amdhsa_enable_private_segment 0
		.amdhsa_system_sgpr_workgroup_id_x 1
		.amdhsa_system_sgpr_workgroup_id_y 0
		.amdhsa_system_sgpr_workgroup_id_z 0
		.amdhsa_system_sgpr_workgroup_info 0
		.amdhsa_system_vgpr_workitem_id 0
		.amdhsa_next_free_vgpr 1
		.amdhsa_next_free_sgpr 1
		.amdhsa_named_barrier_count 0
		.amdhsa_reserve_vcc 0
		.amdhsa_float_round_mode_32 0
		.amdhsa_float_round_mode_16_64 0
		.amdhsa_float_denorm_mode_32 3
		.amdhsa_float_denorm_mode_16_64 3
		.amdhsa_fp16_overflow 0
		.amdhsa_memory_ordered 1
		.amdhsa_forward_progress 1
		.amdhsa_inst_pref_size 0
		.amdhsa_round_robin_scheduling 0
		.amdhsa_exception_fp_ieee_invalid_op 0
		.amdhsa_exception_fp_denorm_src 0
		.amdhsa_exception_fp_ieee_div_zero 0
		.amdhsa_exception_fp_ieee_overflow 0
		.amdhsa_exception_fp_ieee_underflow 0
		.amdhsa_exception_fp_ieee_inexact 0
		.amdhsa_exception_int_div_zero 0
	.end_amdhsa_kernel
	.section	.text._ZN7rocprim17ROCPRIM_400000_NS6detail17trampoline_kernelINS0_14default_configENS1_35radix_sort_onesweep_config_selectorIsNS0_10empty_typeEEEZZNS1_29radix_sort_onesweep_iterationIS3_Lb1EPKsPsPS5_SB_mNS0_19identity_decomposerENS1_16block_id_wrapperIjLb0EEEEE10hipError_tT1_PNSt15iterator_traitsISG_E10value_typeET2_T3_PNSH_ISM_E10value_typeET4_T5_PSR_SS_PNS1_23onesweep_lookback_stateEbbT6_jjT7_P12ihipStream_tbENKUlT_T0_SG_SL_E_clISA_SA_SB_SB_EEDaSZ_S10_SG_SL_EUlSZ_E_NS1_11comp_targetILNS1_3genE2ELNS1_11target_archE906ELNS1_3gpuE6ELNS1_3repE0EEENS1_47radix_sort_onesweep_sort_config_static_selectorELNS0_4arch9wavefront6targetE0EEEvSG_,"axG",@progbits,_ZN7rocprim17ROCPRIM_400000_NS6detail17trampoline_kernelINS0_14default_configENS1_35radix_sort_onesweep_config_selectorIsNS0_10empty_typeEEEZZNS1_29radix_sort_onesweep_iterationIS3_Lb1EPKsPsPS5_SB_mNS0_19identity_decomposerENS1_16block_id_wrapperIjLb0EEEEE10hipError_tT1_PNSt15iterator_traitsISG_E10value_typeET2_T3_PNSH_ISM_E10value_typeET4_T5_PSR_SS_PNS1_23onesweep_lookback_stateEbbT6_jjT7_P12ihipStream_tbENKUlT_T0_SG_SL_E_clISA_SA_SB_SB_EEDaSZ_S10_SG_SL_EUlSZ_E_NS1_11comp_targetILNS1_3genE2ELNS1_11target_archE906ELNS1_3gpuE6ELNS1_3repE0EEENS1_47radix_sort_onesweep_sort_config_static_selectorELNS0_4arch9wavefront6targetE0EEEvSG_,comdat
.Lfunc_end632:
	.size	_ZN7rocprim17ROCPRIM_400000_NS6detail17trampoline_kernelINS0_14default_configENS1_35radix_sort_onesweep_config_selectorIsNS0_10empty_typeEEEZZNS1_29radix_sort_onesweep_iterationIS3_Lb1EPKsPsPS5_SB_mNS0_19identity_decomposerENS1_16block_id_wrapperIjLb0EEEEE10hipError_tT1_PNSt15iterator_traitsISG_E10value_typeET2_T3_PNSH_ISM_E10value_typeET4_T5_PSR_SS_PNS1_23onesweep_lookback_stateEbbT6_jjT7_P12ihipStream_tbENKUlT_T0_SG_SL_E_clISA_SA_SB_SB_EEDaSZ_S10_SG_SL_EUlSZ_E_NS1_11comp_targetILNS1_3genE2ELNS1_11target_archE906ELNS1_3gpuE6ELNS1_3repE0EEENS1_47radix_sort_onesweep_sort_config_static_selectorELNS0_4arch9wavefront6targetE0EEEvSG_, .Lfunc_end632-_ZN7rocprim17ROCPRIM_400000_NS6detail17trampoline_kernelINS0_14default_configENS1_35radix_sort_onesweep_config_selectorIsNS0_10empty_typeEEEZZNS1_29radix_sort_onesweep_iterationIS3_Lb1EPKsPsPS5_SB_mNS0_19identity_decomposerENS1_16block_id_wrapperIjLb0EEEEE10hipError_tT1_PNSt15iterator_traitsISG_E10value_typeET2_T3_PNSH_ISM_E10value_typeET4_T5_PSR_SS_PNS1_23onesweep_lookback_stateEbbT6_jjT7_P12ihipStream_tbENKUlT_T0_SG_SL_E_clISA_SA_SB_SB_EEDaSZ_S10_SG_SL_EUlSZ_E_NS1_11comp_targetILNS1_3genE2ELNS1_11target_archE906ELNS1_3gpuE6ELNS1_3repE0EEENS1_47radix_sort_onesweep_sort_config_static_selectorELNS0_4arch9wavefront6targetE0EEEvSG_
                                        ; -- End function
	.set _ZN7rocprim17ROCPRIM_400000_NS6detail17trampoline_kernelINS0_14default_configENS1_35radix_sort_onesweep_config_selectorIsNS0_10empty_typeEEEZZNS1_29radix_sort_onesweep_iterationIS3_Lb1EPKsPsPS5_SB_mNS0_19identity_decomposerENS1_16block_id_wrapperIjLb0EEEEE10hipError_tT1_PNSt15iterator_traitsISG_E10value_typeET2_T3_PNSH_ISM_E10value_typeET4_T5_PSR_SS_PNS1_23onesweep_lookback_stateEbbT6_jjT7_P12ihipStream_tbENKUlT_T0_SG_SL_E_clISA_SA_SB_SB_EEDaSZ_S10_SG_SL_EUlSZ_E_NS1_11comp_targetILNS1_3genE2ELNS1_11target_archE906ELNS1_3gpuE6ELNS1_3repE0EEENS1_47radix_sort_onesweep_sort_config_static_selectorELNS0_4arch9wavefront6targetE0EEEvSG_.num_vgpr, 0
	.set _ZN7rocprim17ROCPRIM_400000_NS6detail17trampoline_kernelINS0_14default_configENS1_35radix_sort_onesweep_config_selectorIsNS0_10empty_typeEEEZZNS1_29radix_sort_onesweep_iterationIS3_Lb1EPKsPsPS5_SB_mNS0_19identity_decomposerENS1_16block_id_wrapperIjLb0EEEEE10hipError_tT1_PNSt15iterator_traitsISG_E10value_typeET2_T3_PNSH_ISM_E10value_typeET4_T5_PSR_SS_PNS1_23onesweep_lookback_stateEbbT6_jjT7_P12ihipStream_tbENKUlT_T0_SG_SL_E_clISA_SA_SB_SB_EEDaSZ_S10_SG_SL_EUlSZ_E_NS1_11comp_targetILNS1_3genE2ELNS1_11target_archE906ELNS1_3gpuE6ELNS1_3repE0EEENS1_47radix_sort_onesweep_sort_config_static_selectorELNS0_4arch9wavefront6targetE0EEEvSG_.num_agpr, 0
	.set _ZN7rocprim17ROCPRIM_400000_NS6detail17trampoline_kernelINS0_14default_configENS1_35radix_sort_onesweep_config_selectorIsNS0_10empty_typeEEEZZNS1_29radix_sort_onesweep_iterationIS3_Lb1EPKsPsPS5_SB_mNS0_19identity_decomposerENS1_16block_id_wrapperIjLb0EEEEE10hipError_tT1_PNSt15iterator_traitsISG_E10value_typeET2_T3_PNSH_ISM_E10value_typeET4_T5_PSR_SS_PNS1_23onesweep_lookback_stateEbbT6_jjT7_P12ihipStream_tbENKUlT_T0_SG_SL_E_clISA_SA_SB_SB_EEDaSZ_S10_SG_SL_EUlSZ_E_NS1_11comp_targetILNS1_3genE2ELNS1_11target_archE906ELNS1_3gpuE6ELNS1_3repE0EEENS1_47radix_sort_onesweep_sort_config_static_selectorELNS0_4arch9wavefront6targetE0EEEvSG_.numbered_sgpr, 0
	.set _ZN7rocprim17ROCPRIM_400000_NS6detail17trampoline_kernelINS0_14default_configENS1_35radix_sort_onesweep_config_selectorIsNS0_10empty_typeEEEZZNS1_29radix_sort_onesweep_iterationIS3_Lb1EPKsPsPS5_SB_mNS0_19identity_decomposerENS1_16block_id_wrapperIjLb0EEEEE10hipError_tT1_PNSt15iterator_traitsISG_E10value_typeET2_T3_PNSH_ISM_E10value_typeET4_T5_PSR_SS_PNS1_23onesweep_lookback_stateEbbT6_jjT7_P12ihipStream_tbENKUlT_T0_SG_SL_E_clISA_SA_SB_SB_EEDaSZ_S10_SG_SL_EUlSZ_E_NS1_11comp_targetILNS1_3genE2ELNS1_11target_archE906ELNS1_3gpuE6ELNS1_3repE0EEENS1_47radix_sort_onesweep_sort_config_static_selectorELNS0_4arch9wavefront6targetE0EEEvSG_.num_named_barrier, 0
	.set _ZN7rocprim17ROCPRIM_400000_NS6detail17trampoline_kernelINS0_14default_configENS1_35radix_sort_onesweep_config_selectorIsNS0_10empty_typeEEEZZNS1_29radix_sort_onesweep_iterationIS3_Lb1EPKsPsPS5_SB_mNS0_19identity_decomposerENS1_16block_id_wrapperIjLb0EEEEE10hipError_tT1_PNSt15iterator_traitsISG_E10value_typeET2_T3_PNSH_ISM_E10value_typeET4_T5_PSR_SS_PNS1_23onesweep_lookback_stateEbbT6_jjT7_P12ihipStream_tbENKUlT_T0_SG_SL_E_clISA_SA_SB_SB_EEDaSZ_S10_SG_SL_EUlSZ_E_NS1_11comp_targetILNS1_3genE2ELNS1_11target_archE906ELNS1_3gpuE6ELNS1_3repE0EEENS1_47radix_sort_onesweep_sort_config_static_selectorELNS0_4arch9wavefront6targetE0EEEvSG_.private_seg_size, 0
	.set _ZN7rocprim17ROCPRIM_400000_NS6detail17trampoline_kernelINS0_14default_configENS1_35radix_sort_onesweep_config_selectorIsNS0_10empty_typeEEEZZNS1_29radix_sort_onesweep_iterationIS3_Lb1EPKsPsPS5_SB_mNS0_19identity_decomposerENS1_16block_id_wrapperIjLb0EEEEE10hipError_tT1_PNSt15iterator_traitsISG_E10value_typeET2_T3_PNSH_ISM_E10value_typeET4_T5_PSR_SS_PNS1_23onesweep_lookback_stateEbbT6_jjT7_P12ihipStream_tbENKUlT_T0_SG_SL_E_clISA_SA_SB_SB_EEDaSZ_S10_SG_SL_EUlSZ_E_NS1_11comp_targetILNS1_3genE2ELNS1_11target_archE906ELNS1_3gpuE6ELNS1_3repE0EEENS1_47radix_sort_onesweep_sort_config_static_selectorELNS0_4arch9wavefront6targetE0EEEvSG_.uses_vcc, 0
	.set _ZN7rocprim17ROCPRIM_400000_NS6detail17trampoline_kernelINS0_14default_configENS1_35radix_sort_onesweep_config_selectorIsNS0_10empty_typeEEEZZNS1_29radix_sort_onesweep_iterationIS3_Lb1EPKsPsPS5_SB_mNS0_19identity_decomposerENS1_16block_id_wrapperIjLb0EEEEE10hipError_tT1_PNSt15iterator_traitsISG_E10value_typeET2_T3_PNSH_ISM_E10value_typeET4_T5_PSR_SS_PNS1_23onesweep_lookback_stateEbbT6_jjT7_P12ihipStream_tbENKUlT_T0_SG_SL_E_clISA_SA_SB_SB_EEDaSZ_S10_SG_SL_EUlSZ_E_NS1_11comp_targetILNS1_3genE2ELNS1_11target_archE906ELNS1_3gpuE6ELNS1_3repE0EEENS1_47radix_sort_onesweep_sort_config_static_selectorELNS0_4arch9wavefront6targetE0EEEvSG_.uses_flat_scratch, 0
	.set _ZN7rocprim17ROCPRIM_400000_NS6detail17trampoline_kernelINS0_14default_configENS1_35radix_sort_onesweep_config_selectorIsNS0_10empty_typeEEEZZNS1_29radix_sort_onesweep_iterationIS3_Lb1EPKsPsPS5_SB_mNS0_19identity_decomposerENS1_16block_id_wrapperIjLb0EEEEE10hipError_tT1_PNSt15iterator_traitsISG_E10value_typeET2_T3_PNSH_ISM_E10value_typeET4_T5_PSR_SS_PNS1_23onesweep_lookback_stateEbbT6_jjT7_P12ihipStream_tbENKUlT_T0_SG_SL_E_clISA_SA_SB_SB_EEDaSZ_S10_SG_SL_EUlSZ_E_NS1_11comp_targetILNS1_3genE2ELNS1_11target_archE906ELNS1_3gpuE6ELNS1_3repE0EEENS1_47radix_sort_onesweep_sort_config_static_selectorELNS0_4arch9wavefront6targetE0EEEvSG_.has_dyn_sized_stack, 0
	.set _ZN7rocprim17ROCPRIM_400000_NS6detail17trampoline_kernelINS0_14default_configENS1_35radix_sort_onesweep_config_selectorIsNS0_10empty_typeEEEZZNS1_29radix_sort_onesweep_iterationIS3_Lb1EPKsPsPS5_SB_mNS0_19identity_decomposerENS1_16block_id_wrapperIjLb0EEEEE10hipError_tT1_PNSt15iterator_traitsISG_E10value_typeET2_T3_PNSH_ISM_E10value_typeET4_T5_PSR_SS_PNS1_23onesweep_lookback_stateEbbT6_jjT7_P12ihipStream_tbENKUlT_T0_SG_SL_E_clISA_SA_SB_SB_EEDaSZ_S10_SG_SL_EUlSZ_E_NS1_11comp_targetILNS1_3genE2ELNS1_11target_archE906ELNS1_3gpuE6ELNS1_3repE0EEENS1_47radix_sort_onesweep_sort_config_static_selectorELNS0_4arch9wavefront6targetE0EEEvSG_.has_recursion, 0
	.set _ZN7rocprim17ROCPRIM_400000_NS6detail17trampoline_kernelINS0_14default_configENS1_35radix_sort_onesweep_config_selectorIsNS0_10empty_typeEEEZZNS1_29radix_sort_onesweep_iterationIS3_Lb1EPKsPsPS5_SB_mNS0_19identity_decomposerENS1_16block_id_wrapperIjLb0EEEEE10hipError_tT1_PNSt15iterator_traitsISG_E10value_typeET2_T3_PNSH_ISM_E10value_typeET4_T5_PSR_SS_PNS1_23onesweep_lookback_stateEbbT6_jjT7_P12ihipStream_tbENKUlT_T0_SG_SL_E_clISA_SA_SB_SB_EEDaSZ_S10_SG_SL_EUlSZ_E_NS1_11comp_targetILNS1_3genE2ELNS1_11target_archE906ELNS1_3gpuE6ELNS1_3repE0EEENS1_47radix_sort_onesweep_sort_config_static_selectorELNS0_4arch9wavefront6targetE0EEEvSG_.has_indirect_call, 0
	.section	.AMDGPU.csdata,"",@progbits
; Kernel info:
; codeLenInByte = 0
; TotalNumSgprs: 0
; NumVgprs: 0
; ScratchSize: 0
; MemoryBound: 0
; FloatMode: 240
; IeeeMode: 1
; LDSByteSize: 0 bytes/workgroup (compile time only)
; SGPRBlocks: 0
; VGPRBlocks: 0
; NumSGPRsForWavesPerEU: 1
; NumVGPRsForWavesPerEU: 1
; NamedBarCnt: 0
; Occupancy: 16
; WaveLimiterHint : 0
; COMPUTE_PGM_RSRC2:SCRATCH_EN: 0
; COMPUTE_PGM_RSRC2:USER_SGPR: 2
; COMPUTE_PGM_RSRC2:TRAP_HANDLER: 0
; COMPUTE_PGM_RSRC2:TGID_X_EN: 1
; COMPUTE_PGM_RSRC2:TGID_Y_EN: 0
; COMPUTE_PGM_RSRC2:TGID_Z_EN: 0
; COMPUTE_PGM_RSRC2:TIDIG_COMP_CNT: 0
	.section	.text._ZN7rocprim17ROCPRIM_400000_NS6detail17trampoline_kernelINS0_14default_configENS1_35radix_sort_onesweep_config_selectorIsNS0_10empty_typeEEEZZNS1_29radix_sort_onesweep_iterationIS3_Lb1EPKsPsPS5_SB_mNS0_19identity_decomposerENS1_16block_id_wrapperIjLb0EEEEE10hipError_tT1_PNSt15iterator_traitsISG_E10value_typeET2_T3_PNSH_ISM_E10value_typeET4_T5_PSR_SS_PNS1_23onesweep_lookback_stateEbbT6_jjT7_P12ihipStream_tbENKUlT_T0_SG_SL_E_clISA_SA_SB_SB_EEDaSZ_S10_SG_SL_EUlSZ_E_NS1_11comp_targetILNS1_3genE4ELNS1_11target_archE910ELNS1_3gpuE8ELNS1_3repE0EEENS1_47radix_sort_onesweep_sort_config_static_selectorELNS0_4arch9wavefront6targetE0EEEvSG_,"axG",@progbits,_ZN7rocprim17ROCPRIM_400000_NS6detail17trampoline_kernelINS0_14default_configENS1_35radix_sort_onesweep_config_selectorIsNS0_10empty_typeEEEZZNS1_29radix_sort_onesweep_iterationIS3_Lb1EPKsPsPS5_SB_mNS0_19identity_decomposerENS1_16block_id_wrapperIjLb0EEEEE10hipError_tT1_PNSt15iterator_traitsISG_E10value_typeET2_T3_PNSH_ISM_E10value_typeET4_T5_PSR_SS_PNS1_23onesweep_lookback_stateEbbT6_jjT7_P12ihipStream_tbENKUlT_T0_SG_SL_E_clISA_SA_SB_SB_EEDaSZ_S10_SG_SL_EUlSZ_E_NS1_11comp_targetILNS1_3genE4ELNS1_11target_archE910ELNS1_3gpuE8ELNS1_3repE0EEENS1_47radix_sort_onesweep_sort_config_static_selectorELNS0_4arch9wavefront6targetE0EEEvSG_,comdat
	.protected	_ZN7rocprim17ROCPRIM_400000_NS6detail17trampoline_kernelINS0_14default_configENS1_35radix_sort_onesweep_config_selectorIsNS0_10empty_typeEEEZZNS1_29radix_sort_onesweep_iterationIS3_Lb1EPKsPsPS5_SB_mNS0_19identity_decomposerENS1_16block_id_wrapperIjLb0EEEEE10hipError_tT1_PNSt15iterator_traitsISG_E10value_typeET2_T3_PNSH_ISM_E10value_typeET4_T5_PSR_SS_PNS1_23onesweep_lookback_stateEbbT6_jjT7_P12ihipStream_tbENKUlT_T0_SG_SL_E_clISA_SA_SB_SB_EEDaSZ_S10_SG_SL_EUlSZ_E_NS1_11comp_targetILNS1_3genE4ELNS1_11target_archE910ELNS1_3gpuE8ELNS1_3repE0EEENS1_47radix_sort_onesweep_sort_config_static_selectorELNS0_4arch9wavefront6targetE0EEEvSG_ ; -- Begin function _ZN7rocprim17ROCPRIM_400000_NS6detail17trampoline_kernelINS0_14default_configENS1_35radix_sort_onesweep_config_selectorIsNS0_10empty_typeEEEZZNS1_29radix_sort_onesweep_iterationIS3_Lb1EPKsPsPS5_SB_mNS0_19identity_decomposerENS1_16block_id_wrapperIjLb0EEEEE10hipError_tT1_PNSt15iterator_traitsISG_E10value_typeET2_T3_PNSH_ISM_E10value_typeET4_T5_PSR_SS_PNS1_23onesweep_lookback_stateEbbT6_jjT7_P12ihipStream_tbENKUlT_T0_SG_SL_E_clISA_SA_SB_SB_EEDaSZ_S10_SG_SL_EUlSZ_E_NS1_11comp_targetILNS1_3genE4ELNS1_11target_archE910ELNS1_3gpuE8ELNS1_3repE0EEENS1_47radix_sort_onesweep_sort_config_static_selectorELNS0_4arch9wavefront6targetE0EEEvSG_
	.globl	_ZN7rocprim17ROCPRIM_400000_NS6detail17trampoline_kernelINS0_14default_configENS1_35radix_sort_onesweep_config_selectorIsNS0_10empty_typeEEEZZNS1_29radix_sort_onesweep_iterationIS3_Lb1EPKsPsPS5_SB_mNS0_19identity_decomposerENS1_16block_id_wrapperIjLb0EEEEE10hipError_tT1_PNSt15iterator_traitsISG_E10value_typeET2_T3_PNSH_ISM_E10value_typeET4_T5_PSR_SS_PNS1_23onesweep_lookback_stateEbbT6_jjT7_P12ihipStream_tbENKUlT_T0_SG_SL_E_clISA_SA_SB_SB_EEDaSZ_S10_SG_SL_EUlSZ_E_NS1_11comp_targetILNS1_3genE4ELNS1_11target_archE910ELNS1_3gpuE8ELNS1_3repE0EEENS1_47radix_sort_onesweep_sort_config_static_selectorELNS0_4arch9wavefront6targetE0EEEvSG_
	.p2align	8
	.type	_ZN7rocprim17ROCPRIM_400000_NS6detail17trampoline_kernelINS0_14default_configENS1_35radix_sort_onesweep_config_selectorIsNS0_10empty_typeEEEZZNS1_29radix_sort_onesweep_iterationIS3_Lb1EPKsPsPS5_SB_mNS0_19identity_decomposerENS1_16block_id_wrapperIjLb0EEEEE10hipError_tT1_PNSt15iterator_traitsISG_E10value_typeET2_T3_PNSH_ISM_E10value_typeET4_T5_PSR_SS_PNS1_23onesweep_lookback_stateEbbT6_jjT7_P12ihipStream_tbENKUlT_T0_SG_SL_E_clISA_SA_SB_SB_EEDaSZ_S10_SG_SL_EUlSZ_E_NS1_11comp_targetILNS1_3genE4ELNS1_11target_archE910ELNS1_3gpuE8ELNS1_3repE0EEENS1_47radix_sort_onesweep_sort_config_static_selectorELNS0_4arch9wavefront6targetE0EEEvSG_,@function
_ZN7rocprim17ROCPRIM_400000_NS6detail17trampoline_kernelINS0_14default_configENS1_35radix_sort_onesweep_config_selectorIsNS0_10empty_typeEEEZZNS1_29radix_sort_onesweep_iterationIS3_Lb1EPKsPsPS5_SB_mNS0_19identity_decomposerENS1_16block_id_wrapperIjLb0EEEEE10hipError_tT1_PNSt15iterator_traitsISG_E10value_typeET2_T3_PNSH_ISM_E10value_typeET4_T5_PSR_SS_PNS1_23onesweep_lookback_stateEbbT6_jjT7_P12ihipStream_tbENKUlT_T0_SG_SL_E_clISA_SA_SB_SB_EEDaSZ_S10_SG_SL_EUlSZ_E_NS1_11comp_targetILNS1_3genE4ELNS1_11target_archE910ELNS1_3gpuE8ELNS1_3repE0EEENS1_47radix_sort_onesweep_sort_config_static_selectorELNS0_4arch9wavefront6targetE0EEEvSG_: ; @_ZN7rocprim17ROCPRIM_400000_NS6detail17trampoline_kernelINS0_14default_configENS1_35radix_sort_onesweep_config_selectorIsNS0_10empty_typeEEEZZNS1_29radix_sort_onesweep_iterationIS3_Lb1EPKsPsPS5_SB_mNS0_19identity_decomposerENS1_16block_id_wrapperIjLb0EEEEE10hipError_tT1_PNSt15iterator_traitsISG_E10value_typeET2_T3_PNSH_ISM_E10value_typeET4_T5_PSR_SS_PNS1_23onesweep_lookback_stateEbbT6_jjT7_P12ihipStream_tbENKUlT_T0_SG_SL_E_clISA_SA_SB_SB_EEDaSZ_S10_SG_SL_EUlSZ_E_NS1_11comp_targetILNS1_3genE4ELNS1_11target_archE910ELNS1_3gpuE8ELNS1_3repE0EEENS1_47radix_sort_onesweep_sort_config_static_selectorELNS0_4arch9wavefront6targetE0EEEvSG_
; %bb.0:
	.section	.rodata,"a",@progbits
	.p2align	6, 0x0
	.amdhsa_kernel _ZN7rocprim17ROCPRIM_400000_NS6detail17trampoline_kernelINS0_14default_configENS1_35radix_sort_onesweep_config_selectorIsNS0_10empty_typeEEEZZNS1_29radix_sort_onesweep_iterationIS3_Lb1EPKsPsPS5_SB_mNS0_19identity_decomposerENS1_16block_id_wrapperIjLb0EEEEE10hipError_tT1_PNSt15iterator_traitsISG_E10value_typeET2_T3_PNSH_ISM_E10value_typeET4_T5_PSR_SS_PNS1_23onesweep_lookback_stateEbbT6_jjT7_P12ihipStream_tbENKUlT_T0_SG_SL_E_clISA_SA_SB_SB_EEDaSZ_S10_SG_SL_EUlSZ_E_NS1_11comp_targetILNS1_3genE4ELNS1_11target_archE910ELNS1_3gpuE8ELNS1_3repE0EEENS1_47radix_sort_onesweep_sort_config_static_selectorELNS0_4arch9wavefront6targetE0EEEvSG_
		.amdhsa_group_segment_fixed_size 0
		.amdhsa_private_segment_fixed_size 0
		.amdhsa_kernarg_size 88
		.amdhsa_user_sgpr_count 2
		.amdhsa_user_sgpr_dispatch_ptr 0
		.amdhsa_user_sgpr_queue_ptr 0
		.amdhsa_user_sgpr_kernarg_segment_ptr 1
		.amdhsa_user_sgpr_dispatch_id 0
		.amdhsa_user_sgpr_kernarg_preload_length 0
		.amdhsa_user_sgpr_kernarg_preload_offset 0
		.amdhsa_user_sgpr_private_segment_size 0
		.amdhsa_wavefront_size32 1
		.amdhsa_uses_dynamic_stack 0
		.amdhsa_enable_private_segment 0
		.amdhsa_system_sgpr_workgroup_id_x 1
		.amdhsa_system_sgpr_workgroup_id_y 0
		.amdhsa_system_sgpr_workgroup_id_z 0
		.amdhsa_system_sgpr_workgroup_info 0
		.amdhsa_system_vgpr_workitem_id 0
		.amdhsa_next_free_vgpr 1
		.amdhsa_next_free_sgpr 1
		.amdhsa_named_barrier_count 0
		.amdhsa_reserve_vcc 0
		.amdhsa_float_round_mode_32 0
		.amdhsa_float_round_mode_16_64 0
		.amdhsa_float_denorm_mode_32 3
		.amdhsa_float_denorm_mode_16_64 3
		.amdhsa_fp16_overflow 0
		.amdhsa_memory_ordered 1
		.amdhsa_forward_progress 1
		.amdhsa_inst_pref_size 0
		.amdhsa_round_robin_scheduling 0
		.amdhsa_exception_fp_ieee_invalid_op 0
		.amdhsa_exception_fp_denorm_src 0
		.amdhsa_exception_fp_ieee_div_zero 0
		.amdhsa_exception_fp_ieee_overflow 0
		.amdhsa_exception_fp_ieee_underflow 0
		.amdhsa_exception_fp_ieee_inexact 0
		.amdhsa_exception_int_div_zero 0
	.end_amdhsa_kernel
	.section	.text._ZN7rocprim17ROCPRIM_400000_NS6detail17trampoline_kernelINS0_14default_configENS1_35radix_sort_onesweep_config_selectorIsNS0_10empty_typeEEEZZNS1_29radix_sort_onesweep_iterationIS3_Lb1EPKsPsPS5_SB_mNS0_19identity_decomposerENS1_16block_id_wrapperIjLb0EEEEE10hipError_tT1_PNSt15iterator_traitsISG_E10value_typeET2_T3_PNSH_ISM_E10value_typeET4_T5_PSR_SS_PNS1_23onesweep_lookback_stateEbbT6_jjT7_P12ihipStream_tbENKUlT_T0_SG_SL_E_clISA_SA_SB_SB_EEDaSZ_S10_SG_SL_EUlSZ_E_NS1_11comp_targetILNS1_3genE4ELNS1_11target_archE910ELNS1_3gpuE8ELNS1_3repE0EEENS1_47radix_sort_onesweep_sort_config_static_selectorELNS0_4arch9wavefront6targetE0EEEvSG_,"axG",@progbits,_ZN7rocprim17ROCPRIM_400000_NS6detail17trampoline_kernelINS0_14default_configENS1_35radix_sort_onesweep_config_selectorIsNS0_10empty_typeEEEZZNS1_29radix_sort_onesweep_iterationIS3_Lb1EPKsPsPS5_SB_mNS0_19identity_decomposerENS1_16block_id_wrapperIjLb0EEEEE10hipError_tT1_PNSt15iterator_traitsISG_E10value_typeET2_T3_PNSH_ISM_E10value_typeET4_T5_PSR_SS_PNS1_23onesweep_lookback_stateEbbT6_jjT7_P12ihipStream_tbENKUlT_T0_SG_SL_E_clISA_SA_SB_SB_EEDaSZ_S10_SG_SL_EUlSZ_E_NS1_11comp_targetILNS1_3genE4ELNS1_11target_archE910ELNS1_3gpuE8ELNS1_3repE0EEENS1_47radix_sort_onesweep_sort_config_static_selectorELNS0_4arch9wavefront6targetE0EEEvSG_,comdat
.Lfunc_end633:
	.size	_ZN7rocprim17ROCPRIM_400000_NS6detail17trampoline_kernelINS0_14default_configENS1_35radix_sort_onesweep_config_selectorIsNS0_10empty_typeEEEZZNS1_29radix_sort_onesweep_iterationIS3_Lb1EPKsPsPS5_SB_mNS0_19identity_decomposerENS1_16block_id_wrapperIjLb0EEEEE10hipError_tT1_PNSt15iterator_traitsISG_E10value_typeET2_T3_PNSH_ISM_E10value_typeET4_T5_PSR_SS_PNS1_23onesweep_lookback_stateEbbT6_jjT7_P12ihipStream_tbENKUlT_T0_SG_SL_E_clISA_SA_SB_SB_EEDaSZ_S10_SG_SL_EUlSZ_E_NS1_11comp_targetILNS1_3genE4ELNS1_11target_archE910ELNS1_3gpuE8ELNS1_3repE0EEENS1_47radix_sort_onesweep_sort_config_static_selectorELNS0_4arch9wavefront6targetE0EEEvSG_, .Lfunc_end633-_ZN7rocprim17ROCPRIM_400000_NS6detail17trampoline_kernelINS0_14default_configENS1_35radix_sort_onesweep_config_selectorIsNS0_10empty_typeEEEZZNS1_29radix_sort_onesweep_iterationIS3_Lb1EPKsPsPS5_SB_mNS0_19identity_decomposerENS1_16block_id_wrapperIjLb0EEEEE10hipError_tT1_PNSt15iterator_traitsISG_E10value_typeET2_T3_PNSH_ISM_E10value_typeET4_T5_PSR_SS_PNS1_23onesweep_lookback_stateEbbT6_jjT7_P12ihipStream_tbENKUlT_T0_SG_SL_E_clISA_SA_SB_SB_EEDaSZ_S10_SG_SL_EUlSZ_E_NS1_11comp_targetILNS1_3genE4ELNS1_11target_archE910ELNS1_3gpuE8ELNS1_3repE0EEENS1_47radix_sort_onesweep_sort_config_static_selectorELNS0_4arch9wavefront6targetE0EEEvSG_
                                        ; -- End function
	.set _ZN7rocprim17ROCPRIM_400000_NS6detail17trampoline_kernelINS0_14default_configENS1_35radix_sort_onesweep_config_selectorIsNS0_10empty_typeEEEZZNS1_29radix_sort_onesweep_iterationIS3_Lb1EPKsPsPS5_SB_mNS0_19identity_decomposerENS1_16block_id_wrapperIjLb0EEEEE10hipError_tT1_PNSt15iterator_traitsISG_E10value_typeET2_T3_PNSH_ISM_E10value_typeET4_T5_PSR_SS_PNS1_23onesweep_lookback_stateEbbT6_jjT7_P12ihipStream_tbENKUlT_T0_SG_SL_E_clISA_SA_SB_SB_EEDaSZ_S10_SG_SL_EUlSZ_E_NS1_11comp_targetILNS1_3genE4ELNS1_11target_archE910ELNS1_3gpuE8ELNS1_3repE0EEENS1_47radix_sort_onesweep_sort_config_static_selectorELNS0_4arch9wavefront6targetE0EEEvSG_.num_vgpr, 0
	.set _ZN7rocprim17ROCPRIM_400000_NS6detail17trampoline_kernelINS0_14default_configENS1_35radix_sort_onesweep_config_selectorIsNS0_10empty_typeEEEZZNS1_29radix_sort_onesweep_iterationIS3_Lb1EPKsPsPS5_SB_mNS0_19identity_decomposerENS1_16block_id_wrapperIjLb0EEEEE10hipError_tT1_PNSt15iterator_traitsISG_E10value_typeET2_T3_PNSH_ISM_E10value_typeET4_T5_PSR_SS_PNS1_23onesweep_lookback_stateEbbT6_jjT7_P12ihipStream_tbENKUlT_T0_SG_SL_E_clISA_SA_SB_SB_EEDaSZ_S10_SG_SL_EUlSZ_E_NS1_11comp_targetILNS1_3genE4ELNS1_11target_archE910ELNS1_3gpuE8ELNS1_3repE0EEENS1_47radix_sort_onesweep_sort_config_static_selectorELNS0_4arch9wavefront6targetE0EEEvSG_.num_agpr, 0
	.set _ZN7rocprim17ROCPRIM_400000_NS6detail17trampoline_kernelINS0_14default_configENS1_35radix_sort_onesweep_config_selectorIsNS0_10empty_typeEEEZZNS1_29radix_sort_onesweep_iterationIS3_Lb1EPKsPsPS5_SB_mNS0_19identity_decomposerENS1_16block_id_wrapperIjLb0EEEEE10hipError_tT1_PNSt15iterator_traitsISG_E10value_typeET2_T3_PNSH_ISM_E10value_typeET4_T5_PSR_SS_PNS1_23onesweep_lookback_stateEbbT6_jjT7_P12ihipStream_tbENKUlT_T0_SG_SL_E_clISA_SA_SB_SB_EEDaSZ_S10_SG_SL_EUlSZ_E_NS1_11comp_targetILNS1_3genE4ELNS1_11target_archE910ELNS1_3gpuE8ELNS1_3repE0EEENS1_47radix_sort_onesweep_sort_config_static_selectorELNS0_4arch9wavefront6targetE0EEEvSG_.numbered_sgpr, 0
	.set _ZN7rocprim17ROCPRIM_400000_NS6detail17trampoline_kernelINS0_14default_configENS1_35radix_sort_onesweep_config_selectorIsNS0_10empty_typeEEEZZNS1_29radix_sort_onesweep_iterationIS3_Lb1EPKsPsPS5_SB_mNS0_19identity_decomposerENS1_16block_id_wrapperIjLb0EEEEE10hipError_tT1_PNSt15iterator_traitsISG_E10value_typeET2_T3_PNSH_ISM_E10value_typeET4_T5_PSR_SS_PNS1_23onesweep_lookback_stateEbbT6_jjT7_P12ihipStream_tbENKUlT_T0_SG_SL_E_clISA_SA_SB_SB_EEDaSZ_S10_SG_SL_EUlSZ_E_NS1_11comp_targetILNS1_3genE4ELNS1_11target_archE910ELNS1_3gpuE8ELNS1_3repE0EEENS1_47radix_sort_onesweep_sort_config_static_selectorELNS0_4arch9wavefront6targetE0EEEvSG_.num_named_barrier, 0
	.set _ZN7rocprim17ROCPRIM_400000_NS6detail17trampoline_kernelINS0_14default_configENS1_35radix_sort_onesweep_config_selectorIsNS0_10empty_typeEEEZZNS1_29radix_sort_onesweep_iterationIS3_Lb1EPKsPsPS5_SB_mNS0_19identity_decomposerENS1_16block_id_wrapperIjLb0EEEEE10hipError_tT1_PNSt15iterator_traitsISG_E10value_typeET2_T3_PNSH_ISM_E10value_typeET4_T5_PSR_SS_PNS1_23onesweep_lookback_stateEbbT6_jjT7_P12ihipStream_tbENKUlT_T0_SG_SL_E_clISA_SA_SB_SB_EEDaSZ_S10_SG_SL_EUlSZ_E_NS1_11comp_targetILNS1_3genE4ELNS1_11target_archE910ELNS1_3gpuE8ELNS1_3repE0EEENS1_47radix_sort_onesweep_sort_config_static_selectorELNS0_4arch9wavefront6targetE0EEEvSG_.private_seg_size, 0
	.set _ZN7rocprim17ROCPRIM_400000_NS6detail17trampoline_kernelINS0_14default_configENS1_35radix_sort_onesweep_config_selectorIsNS0_10empty_typeEEEZZNS1_29radix_sort_onesweep_iterationIS3_Lb1EPKsPsPS5_SB_mNS0_19identity_decomposerENS1_16block_id_wrapperIjLb0EEEEE10hipError_tT1_PNSt15iterator_traitsISG_E10value_typeET2_T3_PNSH_ISM_E10value_typeET4_T5_PSR_SS_PNS1_23onesweep_lookback_stateEbbT6_jjT7_P12ihipStream_tbENKUlT_T0_SG_SL_E_clISA_SA_SB_SB_EEDaSZ_S10_SG_SL_EUlSZ_E_NS1_11comp_targetILNS1_3genE4ELNS1_11target_archE910ELNS1_3gpuE8ELNS1_3repE0EEENS1_47radix_sort_onesweep_sort_config_static_selectorELNS0_4arch9wavefront6targetE0EEEvSG_.uses_vcc, 0
	.set _ZN7rocprim17ROCPRIM_400000_NS6detail17trampoline_kernelINS0_14default_configENS1_35radix_sort_onesweep_config_selectorIsNS0_10empty_typeEEEZZNS1_29radix_sort_onesweep_iterationIS3_Lb1EPKsPsPS5_SB_mNS0_19identity_decomposerENS1_16block_id_wrapperIjLb0EEEEE10hipError_tT1_PNSt15iterator_traitsISG_E10value_typeET2_T3_PNSH_ISM_E10value_typeET4_T5_PSR_SS_PNS1_23onesweep_lookback_stateEbbT6_jjT7_P12ihipStream_tbENKUlT_T0_SG_SL_E_clISA_SA_SB_SB_EEDaSZ_S10_SG_SL_EUlSZ_E_NS1_11comp_targetILNS1_3genE4ELNS1_11target_archE910ELNS1_3gpuE8ELNS1_3repE0EEENS1_47radix_sort_onesweep_sort_config_static_selectorELNS0_4arch9wavefront6targetE0EEEvSG_.uses_flat_scratch, 0
	.set _ZN7rocprim17ROCPRIM_400000_NS6detail17trampoline_kernelINS0_14default_configENS1_35radix_sort_onesweep_config_selectorIsNS0_10empty_typeEEEZZNS1_29radix_sort_onesweep_iterationIS3_Lb1EPKsPsPS5_SB_mNS0_19identity_decomposerENS1_16block_id_wrapperIjLb0EEEEE10hipError_tT1_PNSt15iterator_traitsISG_E10value_typeET2_T3_PNSH_ISM_E10value_typeET4_T5_PSR_SS_PNS1_23onesweep_lookback_stateEbbT6_jjT7_P12ihipStream_tbENKUlT_T0_SG_SL_E_clISA_SA_SB_SB_EEDaSZ_S10_SG_SL_EUlSZ_E_NS1_11comp_targetILNS1_3genE4ELNS1_11target_archE910ELNS1_3gpuE8ELNS1_3repE0EEENS1_47radix_sort_onesweep_sort_config_static_selectorELNS0_4arch9wavefront6targetE0EEEvSG_.has_dyn_sized_stack, 0
	.set _ZN7rocprim17ROCPRIM_400000_NS6detail17trampoline_kernelINS0_14default_configENS1_35radix_sort_onesweep_config_selectorIsNS0_10empty_typeEEEZZNS1_29radix_sort_onesweep_iterationIS3_Lb1EPKsPsPS5_SB_mNS0_19identity_decomposerENS1_16block_id_wrapperIjLb0EEEEE10hipError_tT1_PNSt15iterator_traitsISG_E10value_typeET2_T3_PNSH_ISM_E10value_typeET4_T5_PSR_SS_PNS1_23onesweep_lookback_stateEbbT6_jjT7_P12ihipStream_tbENKUlT_T0_SG_SL_E_clISA_SA_SB_SB_EEDaSZ_S10_SG_SL_EUlSZ_E_NS1_11comp_targetILNS1_3genE4ELNS1_11target_archE910ELNS1_3gpuE8ELNS1_3repE0EEENS1_47radix_sort_onesweep_sort_config_static_selectorELNS0_4arch9wavefront6targetE0EEEvSG_.has_recursion, 0
	.set _ZN7rocprim17ROCPRIM_400000_NS6detail17trampoline_kernelINS0_14default_configENS1_35radix_sort_onesweep_config_selectorIsNS0_10empty_typeEEEZZNS1_29radix_sort_onesweep_iterationIS3_Lb1EPKsPsPS5_SB_mNS0_19identity_decomposerENS1_16block_id_wrapperIjLb0EEEEE10hipError_tT1_PNSt15iterator_traitsISG_E10value_typeET2_T3_PNSH_ISM_E10value_typeET4_T5_PSR_SS_PNS1_23onesweep_lookback_stateEbbT6_jjT7_P12ihipStream_tbENKUlT_T0_SG_SL_E_clISA_SA_SB_SB_EEDaSZ_S10_SG_SL_EUlSZ_E_NS1_11comp_targetILNS1_3genE4ELNS1_11target_archE910ELNS1_3gpuE8ELNS1_3repE0EEENS1_47radix_sort_onesweep_sort_config_static_selectorELNS0_4arch9wavefront6targetE0EEEvSG_.has_indirect_call, 0
	.section	.AMDGPU.csdata,"",@progbits
; Kernel info:
; codeLenInByte = 0
; TotalNumSgprs: 0
; NumVgprs: 0
; ScratchSize: 0
; MemoryBound: 0
; FloatMode: 240
; IeeeMode: 1
; LDSByteSize: 0 bytes/workgroup (compile time only)
; SGPRBlocks: 0
; VGPRBlocks: 0
; NumSGPRsForWavesPerEU: 1
; NumVGPRsForWavesPerEU: 1
; NamedBarCnt: 0
; Occupancy: 16
; WaveLimiterHint : 0
; COMPUTE_PGM_RSRC2:SCRATCH_EN: 0
; COMPUTE_PGM_RSRC2:USER_SGPR: 2
; COMPUTE_PGM_RSRC2:TRAP_HANDLER: 0
; COMPUTE_PGM_RSRC2:TGID_X_EN: 1
; COMPUTE_PGM_RSRC2:TGID_Y_EN: 0
; COMPUTE_PGM_RSRC2:TGID_Z_EN: 0
; COMPUTE_PGM_RSRC2:TIDIG_COMP_CNT: 0
	.section	.text._ZN7rocprim17ROCPRIM_400000_NS6detail17trampoline_kernelINS0_14default_configENS1_35radix_sort_onesweep_config_selectorIsNS0_10empty_typeEEEZZNS1_29radix_sort_onesweep_iterationIS3_Lb1EPKsPsPS5_SB_mNS0_19identity_decomposerENS1_16block_id_wrapperIjLb0EEEEE10hipError_tT1_PNSt15iterator_traitsISG_E10value_typeET2_T3_PNSH_ISM_E10value_typeET4_T5_PSR_SS_PNS1_23onesweep_lookback_stateEbbT6_jjT7_P12ihipStream_tbENKUlT_T0_SG_SL_E_clISA_SA_SB_SB_EEDaSZ_S10_SG_SL_EUlSZ_E_NS1_11comp_targetILNS1_3genE3ELNS1_11target_archE908ELNS1_3gpuE7ELNS1_3repE0EEENS1_47radix_sort_onesweep_sort_config_static_selectorELNS0_4arch9wavefront6targetE0EEEvSG_,"axG",@progbits,_ZN7rocprim17ROCPRIM_400000_NS6detail17trampoline_kernelINS0_14default_configENS1_35radix_sort_onesweep_config_selectorIsNS0_10empty_typeEEEZZNS1_29radix_sort_onesweep_iterationIS3_Lb1EPKsPsPS5_SB_mNS0_19identity_decomposerENS1_16block_id_wrapperIjLb0EEEEE10hipError_tT1_PNSt15iterator_traitsISG_E10value_typeET2_T3_PNSH_ISM_E10value_typeET4_T5_PSR_SS_PNS1_23onesweep_lookback_stateEbbT6_jjT7_P12ihipStream_tbENKUlT_T0_SG_SL_E_clISA_SA_SB_SB_EEDaSZ_S10_SG_SL_EUlSZ_E_NS1_11comp_targetILNS1_3genE3ELNS1_11target_archE908ELNS1_3gpuE7ELNS1_3repE0EEENS1_47radix_sort_onesweep_sort_config_static_selectorELNS0_4arch9wavefront6targetE0EEEvSG_,comdat
	.protected	_ZN7rocprim17ROCPRIM_400000_NS6detail17trampoline_kernelINS0_14default_configENS1_35radix_sort_onesweep_config_selectorIsNS0_10empty_typeEEEZZNS1_29radix_sort_onesweep_iterationIS3_Lb1EPKsPsPS5_SB_mNS0_19identity_decomposerENS1_16block_id_wrapperIjLb0EEEEE10hipError_tT1_PNSt15iterator_traitsISG_E10value_typeET2_T3_PNSH_ISM_E10value_typeET4_T5_PSR_SS_PNS1_23onesweep_lookback_stateEbbT6_jjT7_P12ihipStream_tbENKUlT_T0_SG_SL_E_clISA_SA_SB_SB_EEDaSZ_S10_SG_SL_EUlSZ_E_NS1_11comp_targetILNS1_3genE3ELNS1_11target_archE908ELNS1_3gpuE7ELNS1_3repE0EEENS1_47radix_sort_onesweep_sort_config_static_selectorELNS0_4arch9wavefront6targetE0EEEvSG_ ; -- Begin function _ZN7rocprim17ROCPRIM_400000_NS6detail17trampoline_kernelINS0_14default_configENS1_35radix_sort_onesweep_config_selectorIsNS0_10empty_typeEEEZZNS1_29radix_sort_onesweep_iterationIS3_Lb1EPKsPsPS5_SB_mNS0_19identity_decomposerENS1_16block_id_wrapperIjLb0EEEEE10hipError_tT1_PNSt15iterator_traitsISG_E10value_typeET2_T3_PNSH_ISM_E10value_typeET4_T5_PSR_SS_PNS1_23onesweep_lookback_stateEbbT6_jjT7_P12ihipStream_tbENKUlT_T0_SG_SL_E_clISA_SA_SB_SB_EEDaSZ_S10_SG_SL_EUlSZ_E_NS1_11comp_targetILNS1_3genE3ELNS1_11target_archE908ELNS1_3gpuE7ELNS1_3repE0EEENS1_47radix_sort_onesweep_sort_config_static_selectorELNS0_4arch9wavefront6targetE0EEEvSG_
	.globl	_ZN7rocprim17ROCPRIM_400000_NS6detail17trampoline_kernelINS0_14default_configENS1_35radix_sort_onesweep_config_selectorIsNS0_10empty_typeEEEZZNS1_29radix_sort_onesweep_iterationIS3_Lb1EPKsPsPS5_SB_mNS0_19identity_decomposerENS1_16block_id_wrapperIjLb0EEEEE10hipError_tT1_PNSt15iterator_traitsISG_E10value_typeET2_T3_PNSH_ISM_E10value_typeET4_T5_PSR_SS_PNS1_23onesweep_lookback_stateEbbT6_jjT7_P12ihipStream_tbENKUlT_T0_SG_SL_E_clISA_SA_SB_SB_EEDaSZ_S10_SG_SL_EUlSZ_E_NS1_11comp_targetILNS1_3genE3ELNS1_11target_archE908ELNS1_3gpuE7ELNS1_3repE0EEENS1_47radix_sort_onesweep_sort_config_static_selectorELNS0_4arch9wavefront6targetE0EEEvSG_
	.p2align	8
	.type	_ZN7rocprim17ROCPRIM_400000_NS6detail17trampoline_kernelINS0_14default_configENS1_35radix_sort_onesweep_config_selectorIsNS0_10empty_typeEEEZZNS1_29radix_sort_onesweep_iterationIS3_Lb1EPKsPsPS5_SB_mNS0_19identity_decomposerENS1_16block_id_wrapperIjLb0EEEEE10hipError_tT1_PNSt15iterator_traitsISG_E10value_typeET2_T3_PNSH_ISM_E10value_typeET4_T5_PSR_SS_PNS1_23onesweep_lookback_stateEbbT6_jjT7_P12ihipStream_tbENKUlT_T0_SG_SL_E_clISA_SA_SB_SB_EEDaSZ_S10_SG_SL_EUlSZ_E_NS1_11comp_targetILNS1_3genE3ELNS1_11target_archE908ELNS1_3gpuE7ELNS1_3repE0EEENS1_47radix_sort_onesweep_sort_config_static_selectorELNS0_4arch9wavefront6targetE0EEEvSG_,@function
_ZN7rocprim17ROCPRIM_400000_NS6detail17trampoline_kernelINS0_14default_configENS1_35radix_sort_onesweep_config_selectorIsNS0_10empty_typeEEEZZNS1_29radix_sort_onesweep_iterationIS3_Lb1EPKsPsPS5_SB_mNS0_19identity_decomposerENS1_16block_id_wrapperIjLb0EEEEE10hipError_tT1_PNSt15iterator_traitsISG_E10value_typeET2_T3_PNSH_ISM_E10value_typeET4_T5_PSR_SS_PNS1_23onesweep_lookback_stateEbbT6_jjT7_P12ihipStream_tbENKUlT_T0_SG_SL_E_clISA_SA_SB_SB_EEDaSZ_S10_SG_SL_EUlSZ_E_NS1_11comp_targetILNS1_3genE3ELNS1_11target_archE908ELNS1_3gpuE7ELNS1_3repE0EEENS1_47radix_sort_onesweep_sort_config_static_selectorELNS0_4arch9wavefront6targetE0EEEvSG_: ; @_ZN7rocprim17ROCPRIM_400000_NS6detail17trampoline_kernelINS0_14default_configENS1_35radix_sort_onesweep_config_selectorIsNS0_10empty_typeEEEZZNS1_29radix_sort_onesweep_iterationIS3_Lb1EPKsPsPS5_SB_mNS0_19identity_decomposerENS1_16block_id_wrapperIjLb0EEEEE10hipError_tT1_PNSt15iterator_traitsISG_E10value_typeET2_T3_PNSH_ISM_E10value_typeET4_T5_PSR_SS_PNS1_23onesweep_lookback_stateEbbT6_jjT7_P12ihipStream_tbENKUlT_T0_SG_SL_E_clISA_SA_SB_SB_EEDaSZ_S10_SG_SL_EUlSZ_E_NS1_11comp_targetILNS1_3genE3ELNS1_11target_archE908ELNS1_3gpuE7ELNS1_3repE0EEENS1_47radix_sort_onesweep_sort_config_static_selectorELNS0_4arch9wavefront6targetE0EEEvSG_
; %bb.0:
	.section	.rodata,"a",@progbits
	.p2align	6, 0x0
	.amdhsa_kernel _ZN7rocprim17ROCPRIM_400000_NS6detail17trampoline_kernelINS0_14default_configENS1_35radix_sort_onesweep_config_selectorIsNS0_10empty_typeEEEZZNS1_29radix_sort_onesweep_iterationIS3_Lb1EPKsPsPS5_SB_mNS0_19identity_decomposerENS1_16block_id_wrapperIjLb0EEEEE10hipError_tT1_PNSt15iterator_traitsISG_E10value_typeET2_T3_PNSH_ISM_E10value_typeET4_T5_PSR_SS_PNS1_23onesweep_lookback_stateEbbT6_jjT7_P12ihipStream_tbENKUlT_T0_SG_SL_E_clISA_SA_SB_SB_EEDaSZ_S10_SG_SL_EUlSZ_E_NS1_11comp_targetILNS1_3genE3ELNS1_11target_archE908ELNS1_3gpuE7ELNS1_3repE0EEENS1_47radix_sort_onesweep_sort_config_static_selectorELNS0_4arch9wavefront6targetE0EEEvSG_
		.amdhsa_group_segment_fixed_size 0
		.amdhsa_private_segment_fixed_size 0
		.amdhsa_kernarg_size 88
		.amdhsa_user_sgpr_count 2
		.amdhsa_user_sgpr_dispatch_ptr 0
		.amdhsa_user_sgpr_queue_ptr 0
		.amdhsa_user_sgpr_kernarg_segment_ptr 1
		.amdhsa_user_sgpr_dispatch_id 0
		.amdhsa_user_sgpr_kernarg_preload_length 0
		.amdhsa_user_sgpr_kernarg_preload_offset 0
		.amdhsa_user_sgpr_private_segment_size 0
		.amdhsa_wavefront_size32 1
		.amdhsa_uses_dynamic_stack 0
		.amdhsa_enable_private_segment 0
		.amdhsa_system_sgpr_workgroup_id_x 1
		.amdhsa_system_sgpr_workgroup_id_y 0
		.amdhsa_system_sgpr_workgroup_id_z 0
		.amdhsa_system_sgpr_workgroup_info 0
		.amdhsa_system_vgpr_workitem_id 0
		.amdhsa_next_free_vgpr 1
		.amdhsa_next_free_sgpr 1
		.amdhsa_named_barrier_count 0
		.amdhsa_reserve_vcc 0
		.amdhsa_float_round_mode_32 0
		.amdhsa_float_round_mode_16_64 0
		.amdhsa_float_denorm_mode_32 3
		.amdhsa_float_denorm_mode_16_64 3
		.amdhsa_fp16_overflow 0
		.amdhsa_memory_ordered 1
		.amdhsa_forward_progress 1
		.amdhsa_inst_pref_size 0
		.amdhsa_round_robin_scheduling 0
		.amdhsa_exception_fp_ieee_invalid_op 0
		.amdhsa_exception_fp_denorm_src 0
		.amdhsa_exception_fp_ieee_div_zero 0
		.amdhsa_exception_fp_ieee_overflow 0
		.amdhsa_exception_fp_ieee_underflow 0
		.amdhsa_exception_fp_ieee_inexact 0
		.amdhsa_exception_int_div_zero 0
	.end_amdhsa_kernel
	.section	.text._ZN7rocprim17ROCPRIM_400000_NS6detail17trampoline_kernelINS0_14default_configENS1_35radix_sort_onesweep_config_selectorIsNS0_10empty_typeEEEZZNS1_29radix_sort_onesweep_iterationIS3_Lb1EPKsPsPS5_SB_mNS0_19identity_decomposerENS1_16block_id_wrapperIjLb0EEEEE10hipError_tT1_PNSt15iterator_traitsISG_E10value_typeET2_T3_PNSH_ISM_E10value_typeET4_T5_PSR_SS_PNS1_23onesweep_lookback_stateEbbT6_jjT7_P12ihipStream_tbENKUlT_T0_SG_SL_E_clISA_SA_SB_SB_EEDaSZ_S10_SG_SL_EUlSZ_E_NS1_11comp_targetILNS1_3genE3ELNS1_11target_archE908ELNS1_3gpuE7ELNS1_3repE0EEENS1_47radix_sort_onesweep_sort_config_static_selectorELNS0_4arch9wavefront6targetE0EEEvSG_,"axG",@progbits,_ZN7rocprim17ROCPRIM_400000_NS6detail17trampoline_kernelINS0_14default_configENS1_35radix_sort_onesweep_config_selectorIsNS0_10empty_typeEEEZZNS1_29radix_sort_onesweep_iterationIS3_Lb1EPKsPsPS5_SB_mNS0_19identity_decomposerENS1_16block_id_wrapperIjLb0EEEEE10hipError_tT1_PNSt15iterator_traitsISG_E10value_typeET2_T3_PNSH_ISM_E10value_typeET4_T5_PSR_SS_PNS1_23onesweep_lookback_stateEbbT6_jjT7_P12ihipStream_tbENKUlT_T0_SG_SL_E_clISA_SA_SB_SB_EEDaSZ_S10_SG_SL_EUlSZ_E_NS1_11comp_targetILNS1_3genE3ELNS1_11target_archE908ELNS1_3gpuE7ELNS1_3repE0EEENS1_47radix_sort_onesweep_sort_config_static_selectorELNS0_4arch9wavefront6targetE0EEEvSG_,comdat
.Lfunc_end634:
	.size	_ZN7rocprim17ROCPRIM_400000_NS6detail17trampoline_kernelINS0_14default_configENS1_35radix_sort_onesweep_config_selectorIsNS0_10empty_typeEEEZZNS1_29radix_sort_onesweep_iterationIS3_Lb1EPKsPsPS5_SB_mNS0_19identity_decomposerENS1_16block_id_wrapperIjLb0EEEEE10hipError_tT1_PNSt15iterator_traitsISG_E10value_typeET2_T3_PNSH_ISM_E10value_typeET4_T5_PSR_SS_PNS1_23onesweep_lookback_stateEbbT6_jjT7_P12ihipStream_tbENKUlT_T0_SG_SL_E_clISA_SA_SB_SB_EEDaSZ_S10_SG_SL_EUlSZ_E_NS1_11comp_targetILNS1_3genE3ELNS1_11target_archE908ELNS1_3gpuE7ELNS1_3repE0EEENS1_47radix_sort_onesweep_sort_config_static_selectorELNS0_4arch9wavefront6targetE0EEEvSG_, .Lfunc_end634-_ZN7rocprim17ROCPRIM_400000_NS6detail17trampoline_kernelINS0_14default_configENS1_35radix_sort_onesweep_config_selectorIsNS0_10empty_typeEEEZZNS1_29radix_sort_onesweep_iterationIS3_Lb1EPKsPsPS5_SB_mNS0_19identity_decomposerENS1_16block_id_wrapperIjLb0EEEEE10hipError_tT1_PNSt15iterator_traitsISG_E10value_typeET2_T3_PNSH_ISM_E10value_typeET4_T5_PSR_SS_PNS1_23onesweep_lookback_stateEbbT6_jjT7_P12ihipStream_tbENKUlT_T0_SG_SL_E_clISA_SA_SB_SB_EEDaSZ_S10_SG_SL_EUlSZ_E_NS1_11comp_targetILNS1_3genE3ELNS1_11target_archE908ELNS1_3gpuE7ELNS1_3repE0EEENS1_47radix_sort_onesweep_sort_config_static_selectorELNS0_4arch9wavefront6targetE0EEEvSG_
                                        ; -- End function
	.set _ZN7rocprim17ROCPRIM_400000_NS6detail17trampoline_kernelINS0_14default_configENS1_35radix_sort_onesweep_config_selectorIsNS0_10empty_typeEEEZZNS1_29radix_sort_onesweep_iterationIS3_Lb1EPKsPsPS5_SB_mNS0_19identity_decomposerENS1_16block_id_wrapperIjLb0EEEEE10hipError_tT1_PNSt15iterator_traitsISG_E10value_typeET2_T3_PNSH_ISM_E10value_typeET4_T5_PSR_SS_PNS1_23onesweep_lookback_stateEbbT6_jjT7_P12ihipStream_tbENKUlT_T0_SG_SL_E_clISA_SA_SB_SB_EEDaSZ_S10_SG_SL_EUlSZ_E_NS1_11comp_targetILNS1_3genE3ELNS1_11target_archE908ELNS1_3gpuE7ELNS1_3repE0EEENS1_47radix_sort_onesweep_sort_config_static_selectorELNS0_4arch9wavefront6targetE0EEEvSG_.num_vgpr, 0
	.set _ZN7rocprim17ROCPRIM_400000_NS6detail17trampoline_kernelINS0_14default_configENS1_35radix_sort_onesweep_config_selectorIsNS0_10empty_typeEEEZZNS1_29radix_sort_onesweep_iterationIS3_Lb1EPKsPsPS5_SB_mNS0_19identity_decomposerENS1_16block_id_wrapperIjLb0EEEEE10hipError_tT1_PNSt15iterator_traitsISG_E10value_typeET2_T3_PNSH_ISM_E10value_typeET4_T5_PSR_SS_PNS1_23onesweep_lookback_stateEbbT6_jjT7_P12ihipStream_tbENKUlT_T0_SG_SL_E_clISA_SA_SB_SB_EEDaSZ_S10_SG_SL_EUlSZ_E_NS1_11comp_targetILNS1_3genE3ELNS1_11target_archE908ELNS1_3gpuE7ELNS1_3repE0EEENS1_47radix_sort_onesweep_sort_config_static_selectorELNS0_4arch9wavefront6targetE0EEEvSG_.num_agpr, 0
	.set _ZN7rocprim17ROCPRIM_400000_NS6detail17trampoline_kernelINS0_14default_configENS1_35radix_sort_onesweep_config_selectorIsNS0_10empty_typeEEEZZNS1_29radix_sort_onesweep_iterationIS3_Lb1EPKsPsPS5_SB_mNS0_19identity_decomposerENS1_16block_id_wrapperIjLb0EEEEE10hipError_tT1_PNSt15iterator_traitsISG_E10value_typeET2_T3_PNSH_ISM_E10value_typeET4_T5_PSR_SS_PNS1_23onesweep_lookback_stateEbbT6_jjT7_P12ihipStream_tbENKUlT_T0_SG_SL_E_clISA_SA_SB_SB_EEDaSZ_S10_SG_SL_EUlSZ_E_NS1_11comp_targetILNS1_3genE3ELNS1_11target_archE908ELNS1_3gpuE7ELNS1_3repE0EEENS1_47radix_sort_onesweep_sort_config_static_selectorELNS0_4arch9wavefront6targetE0EEEvSG_.numbered_sgpr, 0
	.set _ZN7rocprim17ROCPRIM_400000_NS6detail17trampoline_kernelINS0_14default_configENS1_35radix_sort_onesweep_config_selectorIsNS0_10empty_typeEEEZZNS1_29radix_sort_onesweep_iterationIS3_Lb1EPKsPsPS5_SB_mNS0_19identity_decomposerENS1_16block_id_wrapperIjLb0EEEEE10hipError_tT1_PNSt15iterator_traitsISG_E10value_typeET2_T3_PNSH_ISM_E10value_typeET4_T5_PSR_SS_PNS1_23onesweep_lookback_stateEbbT6_jjT7_P12ihipStream_tbENKUlT_T0_SG_SL_E_clISA_SA_SB_SB_EEDaSZ_S10_SG_SL_EUlSZ_E_NS1_11comp_targetILNS1_3genE3ELNS1_11target_archE908ELNS1_3gpuE7ELNS1_3repE0EEENS1_47radix_sort_onesweep_sort_config_static_selectorELNS0_4arch9wavefront6targetE0EEEvSG_.num_named_barrier, 0
	.set _ZN7rocprim17ROCPRIM_400000_NS6detail17trampoline_kernelINS0_14default_configENS1_35radix_sort_onesweep_config_selectorIsNS0_10empty_typeEEEZZNS1_29radix_sort_onesweep_iterationIS3_Lb1EPKsPsPS5_SB_mNS0_19identity_decomposerENS1_16block_id_wrapperIjLb0EEEEE10hipError_tT1_PNSt15iterator_traitsISG_E10value_typeET2_T3_PNSH_ISM_E10value_typeET4_T5_PSR_SS_PNS1_23onesweep_lookback_stateEbbT6_jjT7_P12ihipStream_tbENKUlT_T0_SG_SL_E_clISA_SA_SB_SB_EEDaSZ_S10_SG_SL_EUlSZ_E_NS1_11comp_targetILNS1_3genE3ELNS1_11target_archE908ELNS1_3gpuE7ELNS1_3repE0EEENS1_47radix_sort_onesweep_sort_config_static_selectorELNS0_4arch9wavefront6targetE0EEEvSG_.private_seg_size, 0
	.set _ZN7rocprim17ROCPRIM_400000_NS6detail17trampoline_kernelINS0_14default_configENS1_35radix_sort_onesweep_config_selectorIsNS0_10empty_typeEEEZZNS1_29radix_sort_onesweep_iterationIS3_Lb1EPKsPsPS5_SB_mNS0_19identity_decomposerENS1_16block_id_wrapperIjLb0EEEEE10hipError_tT1_PNSt15iterator_traitsISG_E10value_typeET2_T3_PNSH_ISM_E10value_typeET4_T5_PSR_SS_PNS1_23onesweep_lookback_stateEbbT6_jjT7_P12ihipStream_tbENKUlT_T0_SG_SL_E_clISA_SA_SB_SB_EEDaSZ_S10_SG_SL_EUlSZ_E_NS1_11comp_targetILNS1_3genE3ELNS1_11target_archE908ELNS1_3gpuE7ELNS1_3repE0EEENS1_47radix_sort_onesweep_sort_config_static_selectorELNS0_4arch9wavefront6targetE0EEEvSG_.uses_vcc, 0
	.set _ZN7rocprim17ROCPRIM_400000_NS6detail17trampoline_kernelINS0_14default_configENS1_35radix_sort_onesweep_config_selectorIsNS0_10empty_typeEEEZZNS1_29radix_sort_onesweep_iterationIS3_Lb1EPKsPsPS5_SB_mNS0_19identity_decomposerENS1_16block_id_wrapperIjLb0EEEEE10hipError_tT1_PNSt15iterator_traitsISG_E10value_typeET2_T3_PNSH_ISM_E10value_typeET4_T5_PSR_SS_PNS1_23onesweep_lookback_stateEbbT6_jjT7_P12ihipStream_tbENKUlT_T0_SG_SL_E_clISA_SA_SB_SB_EEDaSZ_S10_SG_SL_EUlSZ_E_NS1_11comp_targetILNS1_3genE3ELNS1_11target_archE908ELNS1_3gpuE7ELNS1_3repE0EEENS1_47radix_sort_onesweep_sort_config_static_selectorELNS0_4arch9wavefront6targetE0EEEvSG_.uses_flat_scratch, 0
	.set _ZN7rocprim17ROCPRIM_400000_NS6detail17trampoline_kernelINS0_14default_configENS1_35radix_sort_onesweep_config_selectorIsNS0_10empty_typeEEEZZNS1_29radix_sort_onesweep_iterationIS3_Lb1EPKsPsPS5_SB_mNS0_19identity_decomposerENS1_16block_id_wrapperIjLb0EEEEE10hipError_tT1_PNSt15iterator_traitsISG_E10value_typeET2_T3_PNSH_ISM_E10value_typeET4_T5_PSR_SS_PNS1_23onesweep_lookback_stateEbbT6_jjT7_P12ihipStream_tbENKUlT_T0_SG_SL_E_clISA_SA_SB_SB_EEDaSZ_S10_SG_SL_EUlSZ_E_NS1_11comp_targetILNS1_3genE3ELNS1_11target_archE908ELNS1_3gpuE7ELNS1_3repE0EEENS1_47radix_sort_onesweep_sort_config_static_selectorELNS0_4arch9wavefront6targetE0EEEvSG_.has_dyn_sized_stack, 0
	.set _ZN7rocprim17ROCPRIM_400000_NS6detail17trampoline_kernelINS0_14default_configENS1_35radix_sort_onesweep_config_selectorIsNS0_10empty_typeEEEZZNS1_29radix_sort_onesweep_iterationIS3_Lb1EPKsPsPS5_SB_mNS0_19identity_decomposerENS1_16block_id_wrapperIjLb0EEEEE10hipError_tT1_PNSt15iterator_traitsISG_E10value_typeET2_T3_PNSH_ISM_E10value_typeET4_T5_PSR_SS_PNS1_23onesweep_lookback_stateEbbT6_jjT7_P12ihipStream_tbENKUlT_T0_SG_SL_E_clISA_SA_SB_SB_EEDaSZ_S10_SG_SL_EUlSZ_E_NS1_11comp_targetILNS1_3genE3ELNS1_11target_archE908ELNS1_3gpuE7ELNS1_3repE0EEENS1_47radix_sort_onesweep_sort_config_static_selectorELNS0_4arch9wavefront6targetE0EEEvSG_.has_recursion, 0
	.set _ZN7rocprim17ROCPRIM_400000_NS6detail17trampoline_kernelINS0_14default_configENS1_35radix_sort_onesweep_config_selectorIsNS0_10empty_typeEEEZZNS1_29radix_sort_onesweep_iterationIS3_Lb1EPKsPsPS5_SB_mNS0_19identity_decomposerENS1_16block_id_wrapperIjLb0EEEEE10hipError_tT1_PNSt15iterator_traitsISG_E10value_typeET2_T3_PNSH_ISM_E10value_typeET4_T5_PSR_SS_PNS1_23onesweep_lookback_stateEbbT6_jjT7_P12ihipStream_tbENKUlT_T0_SG_SL_E_clISA_SA_SB_SB_EEDaSZ_S10_SG_SL_EUlSZ_E_NS1_11comp_targetILNS1_3genE3ELNS1_11target_archE908ELNS1_3gpuE7ELNS1_3repE0EEENS1_47radix_sort_onesweep_sort_config_static_selectorELNS0_4arch9wavefront6targetE0EEEvSG_.has_indirect_call, 0
	.section	.AMDGPU.csdata,"",@progbits
; Kernel info:
; codeLenInByte = 0
; TotalNumSgprs: 0
; NumVgprs: 0
; ScratchSize: 0
; MemoryBound: 0
; FloatMode: 240
; IeeeMode: 1
; LDSByteSize: 0 bytes/workgroup (compile time only)
; SGPRBlocks: 0
; VGPRBlocks: 0
; NumSGPRsForWavesPerEU: 1
; NumVGPRsForWavesPerEU: 1
; NamedBarCnt: 0
; Occupancy: 16
; WaveLimiterHint : 0
; COMPUTE_PGM_RSRC2:SCRATCH_EN: 0
; COMPUTE_PGM_RSRC2:USER_SGPR: 2
; COMPUTE_PGM_RSRC2:TRAP_HANDLER: 0
; COMPUTE_PGM_RSRC2:TGID_X_EN: 1
; COMPUTE_PGM_RSRC2:TGID_Y_EN: 0
; COMPUTE_PGM_RSRC2:TGID_Z_EN: 0
; COMPUTE_PGM_RSRC2:TIDIG_COMP_CNT: 0
	.section	.text._ZN7rocprim17ROCPRIM_400000_NS6detail17trampoline_kernelINS0_14default_configENS1_35radix_sort_onesweep_config_selectorIsNS0_10empty_typeEEEZZNS1_29radix_sort_onesweep_iterationIS3_Lb1EPKsPsPS5_SB_mNS0_19identity_decomposerENS1_16block_id_wrapperIjLb0EEEEE10hipError_tT1_PNSt15iterator_traitsISG_E10value_typeET2_T3_PNSH_ISM_E10value_typeET4_T5_PSR_SS_PNS1_23onesweep_lookback_stateEbbT6_jjT7_P12ihipStream_tbENKUlT_T0_SG_SL_E_clISA_SA_SB_SB_EEDaSZ_S10_SG_SL_EUlSZ_E_NS1_11comp_targetILNS1_3genE10ELNS1_11target_archE1201ELNS1_3gpuE5ELNS1_3repE0EEENS1_47radix_sort_onesweep_sort_config_static_selectorELNS0_4arch9wavefront6targetE0EEEvSG_,"axG",@progbits,_ZN7rocprim17ROCPRIM_400000_NS6detail17trampoline_kernelINS0_14default_configENS1_35radix_sort_onesweep_config_selectorIsNS0_10empty_typeEEEZZNS1_29radix_sort_onesweep_iterationIS3_Lb1EPKsPsPS5_SB_mNS0_19identity_decomposerENS1_16block_id_wrapperIjLb0EEEEE10hipError_tT1_PNSt15iterator_traitsISG_E10value_typeET2_T3_PNSH_ISM_E10value_typeET4_T5_PSR_SS_PNS1_23onesweep_lookback_stateEbbT6_jjT7_P12ihipStream_tbENKUlT_T0_SG_SL_E_clISA_SA_SB_SB_EEDaSZ_S10_SG_SL_EUlSZ_E_NS1_11comp_targetILNS1_3genE10ELNS1_11target_archE1201ELNS1_3gpuE5ELNS1_3repE0EEENS1_47radix_sort_onesweep_sort_config_static_selectorELNS0_4arch9wavefront6targetE0EEEvSG_,comdat
	.protected	_ZN7rocprim17ROCPRIM_400000_NS6detail17trampoline_kernelINS0_14default_configENS1_35radix_sort_onesweep_config_selectorIsNS0_10empty_typeEEEZZNS1_29radix_sort_onesweep_iterationIS3_Lb1EPKsPsPS5_SB_mNS0_19identity_decomposerENS1_16block_id_wrapperIjLb0EEEEE10hipError_tT1_PNSt15iterator_traitsISG_E10value_typeET2_T3_PNSH_ISM_E10value_typeET4_T5_PSR_SS_PNS1_23onesweep_lookback_stateEbbT6_jjT7_P12ihipStream_tbENKUlT_T0_SG_SL_E_clISA_SA_SB_SB_EEDaSZ_S10_SG_SL_EUlSZ_E_NS1_11comp_targetILNS1_3genE10ELNS1_11target_archE1201ELNS1_3gpuE5ELNS1_3repE0EEENS1_47radix_sort_onesweep_sort_config_static_selectorELNS0_4arch9wavefront6targetE0EEEvSG_ ; -- Begin function _ZN7rocprim17ROCPRIM_400000_NS6detail17trampoline_kernelINS0_14default_configENS1_35radix_sort_onesweep_config_selectorIsNS0_10empty_typeEEEZZNS1_29radix_sort_onesweep_iterationIS3_Lb1EPKsPsPS5_SB_mNS0_19identity_decomposerENS1_16block_id_wrapperIjLb0EEEEE10hipError_tT1_PNSt15iterator_traitsISG_E10value_typeET2_T3_PNSH_ISM_E10value_typeET4_T5_PSR_SS_PNS1_23onesweep_lookback_stateEbbT6_jjT7_P12ihipStream_tbENKUlT_T0_SG_SL_E_clISA_SA_SB_SB_EEDaSZ_S10_SG_SL_EUlSZ_E_NS1_11comp_targetILNS1_3genE10ELNS1_11target_archE1201ELNS1_3gpuE5ELNS1_3repE0EEENS1_47radix_sort_onesweep_sort_config_static_selectorELNS0_4arch9wavefront6targetE0EEEvSG_
	.globl	_ZN7rocprim17ROCPRIM_400000_NS6detail17trampoline_kernelINS0_14default_configENS1_35radix_sort_onesweep_config_selectorIsNS0_10empty_typeEEEZZNS1_29radix_sort_onesweep_iterationIS3_Lb1EPKsPsPS5_SB_mNS0_19identity_decomposerENS1_16block_id_wrapperIjLb0EEEEE10hipError_tT1_PNSt15iterator_traitsISG_E10value_typeET2_T3_PNSH_ISM_E10value_typeET4_T5_PSR_SS_PNS1_23onesweep_lookback_stateEbbT6_jjT7_P12ihipStream_tbENKUlT_T0_SG_SL_E_clISA_SA_SB_SB_EEDaSZ_S10_SG_SL_EUlSZ_E_NS1_11comp_targetILNS1_3genE10ELNS1_11target_archE1201ELNS1_3gpuE5ELNS1_3repE0EEENS1_47radix_sort_onesweep_sort_config_static_selectorELNS0_4arch9wavefront6targetE0EEEvSG_
	.p2align	8
	.type	_ZN7rocprim17ROCPRIM_400000_NS6detail17trampoline_kernelINS0_14default_configENS1_35radix_sort_onesweep_config_selectorIsNS0_10empty_typeEEEZZNS1_29radix_sort_onesweep_iterationIS3_Lb1EPKsPsPS5_SB_mNS0_19identity_decomposerENS1_16block_id_wrapperIjLb0EEEEE10hipError_tT1_PNSt15iterator_traitsISG_E10value_typeET2_T3_PNSH_ISM_E10value_typeET4_T5_PSR_SS_PNS1_23onesweep_lookback_stateEbbT6_jjT7_P12ihipStream_tbENKUlT_T0_SG_SL_E_clISA_SA_SB_SB_EEDaSZ_S10_SG_SL_EUlSZ_E_NS1_11comp_targetILNS1_3genE10ELNS1_11target_archE1201ELNS1_3gpuE5ELNS1_3repE0EEENS1_47radix_sort_onesweep_sort_config_static_selectorELNS0_4arch9wavefront6targetE0EEEvSG_,@function
_ZN7rocprim17ROCPRIM_400000_NS6detail17trampoline_kernelINS0_14default_configENS1_35radix_sort_onesweep_config_selectorIsNS0_10empty_typeEEEZZNS1_29radix_sort_onesweep_iterationIS3_Lb1EPKsPsPS5_SB_mNS0_19identity_decomposerENS1_16block_id_wrapperIjLb0EEEEE10hipError_tT1_PNSt15iterator_traitsISG_E10value_typeET2_T3_PNSH_ISM_E10value_typeET4_T5_PSR_SS_PNS1_23onesweep_lookback_stateEbbT6_jjT7_P12ihipStream_tbENKUlT_T0_SG_SL_E_clISA_SA_SB_SB_EEDaSZ_S10_SG_SL_EUlSZ_E_NS1_11comp_targetILNS1_3genE10ELNS1_11target_archE1201ELNS1_3gpuE5ELNS1_3repE0EEENS1_47radix_sort_onesweep_sort_config_static_selectorELNS0_4arch9wavefront6targetE0EEEvSG_: ; @_ZN7rocprim17ROCPRIM_400000_NS6detail17trampoline_kernelINS0_14default_configENS1_35radix_sort_onesweep_config_selectorIsNS0_10empty_typeEEEZZNS1_29radix_sort_onesweep_iterationIS3_Lb1EPKsPsPS5_SB_mNS0_19identity_decomposerENS1_16block_id_wrapperIjLb0EEEEE10hipError_tT1_PNSt15iterator_traitsISG_E10value_typeET2_T3_PNSH_ISM_E10value_typeET4_T5_PSR_SS_PNS1_23onesweep_lookback_stateEbbT6_jjT7_P12ihipStream_tbENKUlT_T0_SG_SL_E_clISA_SA_SB_SB_EEDaSZ_S10_SG_SL_EUlSZ_E_NS1_11comp_targetILNS1_3genE10ELNS1_11target_archE1201ELNS1_3gpuE5ELNS1_3repE0EEENS1_47radix_sort_onesweep_sort_config_static_selectorELNS0_4arch9wavefront6targetE0EEEvSG_
; %bb.0:
	.section	.rodata,"a",@progbits
	.p2align	6, 0x0
	.amdhsa_kernel _ZN7rocprim17ROCPRIM_400000_NS6detail17trampoline_kernelINS0_14default_configENS1_35radix_sort_onesweep_config_selectorIsNS0_10empty_typeEEEZZNS1_29radix_sort_onesweep_iterationIS3_Lb1EPKsPsPS5_SB_mNS0_19identity_decomposerENS1_16block_id_wrapperIjLb0EEEEE10hipError_tT1_PNSt15iterator_traitsISG_E10value_typeET2_T3_PNSH_ISM_E10value_typeET4_T5_PSR_SS_PNS1_23onesweep_lookback_stateEbbT6_jjT7_P12ihipStream_tbENKUlT_T0_SG_SL_E_clISA_SA_SB_SB_EEDaSZ_S10_SG_SL_EUlSZ_E_NS1_11comp_targetILNS1_3genE10ELNS1_11target_archE1201ELNS1_3gpuE5ELNS1_3repE0EEENS1_47radix_sort_onesweep_sort_config_static_selectorELNS0_4arch9wavefront6targetE0EEEvSG_
		.amdhsa_group_segment_fixed_size 0
		.amdhsa_private_segment_fixed_size 0
		.amdhsa_kernarg_size 88
		.amdhsa_user_sgpr_count 2
		.amdhsa_user_sgpr_dispatch_ptr 0
		.amdhsa_user_sgpr_queue_ptr 0
		.amdhsa_user_sgpr_kernarg_segment_ptr 1
		.amdhsa_user_sgpr_dispatch_id 0
		.amdhsa_user_sgpr_kernarg_preload_length 0
		.amdhsa_user_sgpr_kernarg_preload_offset 0
		.amdhsa_user_sgpr_private_segment_size 0
		.amdhsa_wavefront_size32 1
		.amdhsa_uses_dynamic_stack 0
		.amdhsa_enable_private_segment 0
		.amdhsa_system_sgpr_workgroup_id_x 1
		.amdhsa_system_sgpr_workgroup_id_y 0
		.amdhsa_system_sgpr_workgroup_id_z 0
		.amdhsa_system_sgpr_workgroup_info 0
		.amdhsa_system_vgpr_workitem_id 0
		.amdhsa_next_free_vgpr 1
		.amdhsa_next_free_sgpr 1
		.amdhsa_named_barrier_count 0
		.amdhsa_reserve_vcc 0
		.amdhsa_float_round_mode_32 0
		.amdhsa_float_round_mode_16_64 0
		.amdhsa_float_denorm_mode_32 3
		.amdhsa_float_denorm_mode_16_64 3
		.amdhsa_fp16_overflow 0
		.amdhsa_memory_ordered 1
		.amdhsa_forward_progress 1
		.amdhsa_inst_pref_size 0
		.amdhsa_round_robin_scheduling 0
		.amdhsa_exception_fp_ieee_invalid_op 0
		.amdhsa_exception_fp_denorm_src 0
		.amdhsa_exception_fp_ieee_div_zero 0
		.amdhsa_exception_fp_ieee_overflow 0
		.amdhsa_exception_fp_ieee_underflow 0
		.amdhsa_exception_fp_ieee_inexact 0
		.amdhsa_exception_int_div_zero 0
	.end_amdhsa_kernel
	.section	.text._ZN7rocprim17ROCPRIM_400000_NS6detail17trampoline_kernelINS0_14default_configENS1_35radix_sort_onesweep_config_selectorIsNS0_10empty_typeEEEZZNS1_29radix_sort_onesweep_iterationIS3_Lb1EPKsPsPS5_SB_mNS0_19identity_decomposerENS1_16block_id_wrapperIjLb0EEEEE10hipError_tT1_PNSt15iterator_traitsISG_E10value_typeET2_T3_PNSH_ISM_E10value_typeET4_T5_PSR_SS_PNS1_23onesweep_lookback_stateEbbT6_jjT7_P12ihipStream_tbENKUlT_T0_SG_SL_E_clISA_SA_SB_SB_EEDaSZ_S10_SG_SL_EUlSZ_E_NS1_11comp_targetILNS1_3genE10ELNS1_11target_archE1201ELNS1_3gpuE5ELNS1_3repE0EEENS1_47radix_sort_onesweep_sort_config_static_selectorELNS0_4arch9wavefront6targetE0EEEvSG_,"axG",@progbits,_ZN7rocprim17ROCPRIM_400000_NS6detail17trampoline_kernelINS0_14default_configENS1_35radix_sort_onesweep_config_selectorIsNS0_10empty_typeEEEZZNS1_29radix_sort_onesweep_iterationIS3_Lb1EPKsPsPS5_SB_mNS0_19identity_decomposerENS1_16block_id_wrapperIjLb0EEEEE10hipError_tT1_PNSt15iterator_traitsISG_E10value_typeET2_T3_PNSH_ISM_E10value_typeET4_T5_PSR_SS_PNS1_23onesweep_lookback_stateEbbT6_jjT7_P12ihipStream_tbENKUlT_T0_SG_SL_E_clISA_SA_SB_SB_EEDaSZ_S10_SG_SL_EUlSZ_E_NS1_11comp_targetILNS1_3genE10ELNS1_11target_archE1201ELNS1_3gpuE5ELNS1_3repE0EEENS1_47radix_sort_onesweep_sort_config_static_selectorELNS0_4arch9wavefront6targetE0EEEvSG_,comdat
.Lfunc_end635:
	.size	_ZN7rocprim17ROCPRIM_400000_NS6detail17trampoline_kernelINS0_14default_configENS1_35radix_sort_onesweep_config_selectorIsNS0_10empty_typeEEEZZNS1_29radix_sort_onesweep_iterationIS3_Lb1EPKsPsPS5_SB_mNS0_19identity_decomposerENS1_16block_id_wrapperIjLb0EEEEE10hipError_tT1_PNSt15iterator_traitsISG_E10value_typeET2_T3_PNSH_ISM_E10value_typeET4_T5_PSR_SS_PNS1_23onesweep_lookback_stateEbbT6_jjT7_P12ihipStream_tbENKUlT_T0_SG_SL_E_clISA_SA_SB_SB_EEDaSZ_S10_SG_SL_EUlSZ_E_NS1_11comp_targetILNS1_3genE10ELNS1_11target_archE1201ELNS1_3gpuE5ELNS1_3repE0EEENS1_47radix_sort_onesweep_sort_config_static_selectorELNS0_4arch9wavefront6targetE0EEEvSG_, .Lfunc_end635-_ZN7rocprim17ROCPRIM_400000_NS6detail17trampoline_kernelINS0_14default_configENS1_35radix_sort_onesweep_config_selectorIsNS0_10empty_typeEEEZZNS1_29radix_sort_onesweep_iterationIS3_Lb1EPKsPsPS5_SB_mNS0_19identity_decomposerENS1_16block_id_wrapperIjLb0EEEEE10hipError_tT1_PNSt15iterator_traitsISG_E10value_typeET2_T3_PNSH_ISM_E10value_typeET4_T5_PSR_SS_PNS1_23onesweep_lookback_stateEbbT6_jjT7_P12ihipStream_tbENKUlT_T0_SG_SL_E_clISA_SA_SB_SB_EEDaSZ_S10_SG_SL_EUlSZ_E_NS1_11comp_targetILNS1_3genE10ELNS1_11target_archE1201ELNS1_3gpuE5ELNS1_3repE0EEENS1_47radix_sort_onesweep_sort_config_static_selectorELNS0_4arch9wavefront6targetE0EEEvSG_
                                        ; -- End function
	.set _ZN7rocprim17ROCPRIM_400000_NS6detail17trampoline_kernelINS0_14default_configENS1_35radix_sort_onesweep_config_selectorIsNS0_10empty_typeEEEZZNS1_29radix_sort_onesweep_iterationIS3_Lb1EPKsPsPS5_SB_mNS0_19identity_decomposerENS1_16block_id_wrapperIjLb0EEEEE10hipError_tT1_PNSt15iterator_traitsISG_E10value_typeET2_T3_PNSH_ISM_E10value_typeET4_T5_PSR_SS_PNS1_23onesweep_lookback_stateEbbT6_jjT7_P12ihipStream_tbENKUlT_T0_SG_SL_E_clISA_SA_SB_SB_EEDaSZ_S10_SG_SL_EUlSZ_E_NS1_11comp_targetILNS1_3genE10ELNS1_11target_archE1201ELNS1_3gpuE5ELNS1_3repE0EEENS1_47radix_sort_onesweep_sort_config_static_selectorELNS0_4arch9wavefront6targetE0EEEvSG_.num_vgpr, 0
	.set _ZN7rocprim17ROCPRIM_400000_NS6detail17trampoline_kernelINS0_14default_configENS1_35radix_sort_onesweep_config_selectorIsNS0_10empty_typeEEEZZNS1_29radix_sort_onesweep_iterationIS3_Lb1EPKsPsPS5_SB_mNS0_19identity_decomposerENS1_16block_id_wrapperIjLb0EEEEE10hipError_tT1_PNSt15iterator_traitsISG_E10value_typeET2_T3_PNSH_ISM_E10value_typeET4_T5_PSR_SS_PNS1_23onesweep_lookback_stateEbbT6_jjT7_P12ihipStream_tbENKUlT_T0_SG_SL_E_clISA_SA_SB_SB_EEDaSZ_S10_SG_SL_EUlSZ_E_NS1_11comp_targetILNS1_3genE10ELNS1_11target_archE1201ELNS1_3gpuE5ELNS1_3repE0EEENS1_47radix_sort_onesweep_sort_config_static_selectorELNS0_4arch9wavefront6targetE0EEEvSG_.num_agpr, 0
	.set _ZN7rocprim17ROCPRIM_400000_NS6detail17trampoline_kernelINS0_14default_configENS1_35radix_sort_onesweep_config_selectorIsNS0_10empty_typeEEEZZNS1_29radix_sort_onesweep_iterationIS3_Lb1EPKsPsPS5_SB_mNS0_19identity_decomposerENS1_16block_id_wrapperIjLb0EEEEE10hipError_tT1_PNSt15iterator_traitsISG_E10value_typeET2_T3_PNSH_ISM_E10value_typeET4_T5_PSR_SS_PNS1_23onesweep_lookback_stateEbbT6_jjT7_P12ihipStream_tbENKUlT_T0_SG_SL_E_clISA_SA_SB_SB_EEDaSZ_S10_SG_SL_EUlSZ_E_NS1_11comp_targetILNS1_3genE10ELNS1_11target_archE1201ELNS1_3gpuE5ELNS1_3repE0EEENS1_47radix_sort_onesweep_sort_config_static_selectorELNS0_4arch9wavefront6targetE0EEEvSG_.numbered_sgpr, 0
	.set _ZN7rocprim17ROCPRIM_400000_NS6detail17trampoline_kernelINS0_14default_configENS1_35radix_sort_onesweep_config_selectorIsNS0_10empty_typeEEEZZNS1_29radix_sort_onesweep_iterationIS3_Lb1EPKsPsPS5_SB_mNS0_19identity_decomposerENS1_16block_id_wrapperIjLb0EEEEE10hipError_tT1_PNSt15iterator_traitsISG_E10value_typeET2_T3_PNSH_ISM_E10value_typeET4_T5_PSR_SS_PNS1_23onesweep_lookback_stateEbbT6_jjT7_P12ihipStream_tbENKUlT_T0_SG_SL_E_clISA_SA_SB_SB_EEDaSZ_S10_SG_SL_EUlSZ_E_NS1_11comp_targetILNS1_3genE10ELNS1_11target_archE1201ELNS1_3gpuE5ELNS1_3repE0EEENS1_47radix_sort_onesweep_sort_config_static_selectorELNS0_4arch9wavefront6targetE0EEEvSG_.num_named_barrier, 0
	.set _ZN7rocprim17ROCPRIM_400000_NS6detail17trampoline_kernelINS0_14default_configENS1_35radix_sort_onesweep_config_selectorIsNS0_10empty_typeEEEZZNS1_29radix_sort_onesweep_iterationIS3_Lb1EPKsPsPS5_SB_mNS0_19identity_decomposerENS1_16block_id_wrapperIjLb0EEEEE10hipError_tT1_PNSt15iterator_traitsISG_E10value_typeET2_T3_PNSH_ISM_E10value_typeET4_T5_PSR_SS_PNS1_23onesweep_lookback_stateEbbT6_jjT7_P12ihipStream_tbENKUlT_T0_SG_SL_E_clISA_SA_SB_SB_EEDaSZ_S10_SG_SL_EUlSZ_E_NS1_11comp_targetILNS1_3genE10ELNS1_11target_archE1201ELNS1_3gpuE5ELNS1_3repE0EEENS1_47radix_sort_onesweep_sort_config_static_selectorELNS0_4arch9wavefront6targetE0EEEvSG_.private_seg_size, 0
	.set _ZN7rocprim17ROCPRIM_400000_NS6detail17trampoline_kernelINS0_14default_configENS1_35radix_sort_onesweep_config_selectorIsNS0_10empty_typeEEEZZNS1_29radix_sort_onesweep_iterationIS3_Lb1EPKsPsPS5_SB_mNS0_19identity_decomposerENS1_16block_id_wrapperIjLb0EEEEE10hipError_tT1_PNSt15iterator_traitsISG_E10value_typeET2_T3_PNSH_ISM_E10value_typeET4_T5_PSR_SS_PNS1_23onesweep_lookback_stateEbbT6_jjT7_P12ihipStream_tbENKUlT_T0_SG_SL_E_clISA_SA_SB_SB_EEDaSZ_S10_SG_SL_EUlSZ_E_NS1_11comp_targetILNS1_3genE10ELNS1_11target_archE1201ELNS1_3gpuE5ELNS1_3repE0EEENS1_47radix_sort_onesweep_sort_config_static_selectorELNS0_4arch9wavefront6targetE0EEEvSG_.uses_vcc, 0
	.set _ZN7rocprim17ROCPRIM_400000_NS6detail17trampoline_kernelINS0_14default_configENS1_35radix_sort_onesweep_config_selectorIsNS0_10empty_typeEEEZZNS1_29radix_sort_onesweep_iterationIS3_Lb1EPKsPsPS5_SB_mNS0_19identity_decomposerENS1_16block_id_wrapperIjLb0EEEEE10hipError_tT1_PNSt15iterator_traitsISG_E10value_typeET2_T3_PNSH_ISM_E10value_typeET4_T5_PSR_SS_PNS1_23onesweep_lookback_stateEbbT6_jjT7_P12ihipStream_tbENKUlT_T0_SG_SL_E_clISA_SA_SB_SB_EEDaSZ_S10_SG_SL_EUlSZ_E_NS1_11comp_targetILNS1_3genE10ELNS1_11target_archE1201ELNS1_3gpuE5ELNS1_3repE0EEENS1_47radix_sort_onesweep_sort_config_static_selectorELNS0_4arch9wavefront6targetE0EEEvSG_.uses_flat_scratch, 0
	.set _ZN7rocprim17ROCPRIM_400000_NS6detail17trampoline_kernelINS0_14default_configENS1_35radix_sort_onesweep_config_selectorIsNS0_10empty_typeEEEZZNS1_29radix_sort_onesweep_iterationIS3_Lb1EPKsPsPS5_SB_mNS0_19identity_decomposerENS1_16block_id_wrapperIjLb0EEEEE10hipError_tT1_PNSt15iterator_traitsISG_E10value_typeET2_T3_PNSH_ISM_E10value_typeET4_T5_PSR_SS_PNS1_23onesweep_lookback_stateEbbT6_jjT7_P12ihipStream_tbENKUlT_T0_SG_SL_E_clISA_SA_SB_SB_EEDaSZ_S10_SG_SL_EUlSZ_E_NS1_11comp_targetILNS1_3genE10ELNS1_11target_archE1201ELNS1_3gpuE5ELNS1_3repE0EEENS1_47radix_sort_onesweep_sort_config_static_selectorELNS0_4arch9wavefront6targetE0EEEvSG_.has_dyn_sized_stack, 0
	.set _ZN7rocprim17ROCPRIM_400000_NS6detail17trampoline_kernelINS0_14default_configENS1_35radix_sort_onesweep_config_selectorIsNS0_10empty_typeEEEZZNS1_29radix_sort_onesweep_iterationIS3_Lb1EPKsPsPS5_SB_mNS0_19identity_decomposerENS1_16block_id_wrapperIjLb0EEEEE10hipError_tT1_PNSt15iterator_traitsISG_E10value_typeET2_T3_PNSH_ISM_E10value_typeET4_T5_PSR_SS_PNS1_23onesweep_lookback_stateEbbT6_jjT7_P12ihipStream_tbENKUlT_T0_SG_SL_E_clISA_SA_SB_SB_EEDaSZ_S10_SG_SL_EUlSZ_E_NS1_11comp_targetILNS1_3genE10ELNS1_11target_archE1201ELNS1_3gpuE5ELNS1_3repE0EEENS1_47radix_sort_onesweep_sort_config_static_selectorELNS0_4arch9wavefront6targetE0EEEvSG_.has_recursion, 0
	.set _ZN7rocprim17ROCPRIM_400000_NS6detail17trampoline_kernelINS0_14default_configENS1_35radix_sort_onesweep_config_selectorIsNS0_10empty_typeEEEZZNS1_29radix_sort_onesweep_iterationIS3_Lb1EPKsPsPS5_SB_mNS0_19identity_decomposerENS1_16block_id_wrapperIjLb0EEEEE10hipError_tT1_PNSt15iterator_traitsISG_E10value_typeET2_T3_PNSH_ISM_E10value_typeET4_T5_PSR_SS_PNS1_23onesweep_lookback_stateEbbT6_jjT7_P12ihipStream_tbENKUlT_T0_SG_SL_E_clISA_SA_SB_SB_EEDaSZ_S10_SG_SL_EUlSZ_E_NS1_11comp_targetILNS1_3genE10ELNS1_11target_archE1201ELNS1_3gpuE5ELNS1_3repE0EEENS1_47radix_sort_onesweep_sort_config_static_selectorELNS0_4arch9wavefront6targetE0EEEvSG_.has_indirect_call, 0
	.section	.AMDGPU.csdata,"",@progbits
; Kernel info:
; codeLenInByte = 0
; TotalNumSgprs: 0
; NumVgprs: 0
; ScratchSize: 0
; MemoryBound: 0
; FloatMode: 240
; IeeeMode: 1
; LDSByteSize: 0 bytes/workgroup (compile time only)
; SGPRBlocks: 0
; VGPRBlocks: 0
; NumSGPRsForWavesPerEU: 1
; NumVGPRsForWavesPerEU: 1
; NamedBarCnt: 0
; Occupancy: 16
; WaveLimiterHint : 0
; COMPUTE_PGM_RSRC2:SCRATCH_EN: 0
; COMPUTE_PGM_RSRC2:USER_SGPR: 2
; COMPUTE_PGM_RSRC2:TRAP_HANDLER: 0
; COMPUTE_PGM_RSRC2:TGID_X_EN: 1
; COMPUTE_PGM_RSRC2:TGID_Y_EN: 0
; COMPUTE_PGM_RSRC2:TGID_Z_EN: 0
; COMPUTE_PGM_RSRC2:TIDIG_COMP_CNT: 0
	.section	.text._ZN7rocprim17ROCPRIM_400000_NS6detail17trampoline_kernelINS0_14default_configENS1_35radix_sort_onesweep_config_selectorIsNS0_10empty_typeEEEZZNS1_29radix_sort_onesweep_iterationIS3_Lb1EPKsPsPS5_SB_mNS0_19identity_decomposerENS1_16block_id_wrapperIjLb0EEEEE10hipError_tT1_PNSt15iterator_traitsISG_E10value_typeET2_T3_PNSH_ISM_E10value_typeET4_T5_PSR_SS_PNS1_23onesweep_lookback_stateEbbT6_jjT7_P12ihipStream_tbENKUlT_T0_SG_SL_E_clISA_SA_SB_SB_EEDaSZ_S10_SG_SL_EUlSZ_E_NS1_11comp_targetILNS1_3genE9ELNS1_11target_archE1100ELNS1_3gpuE3ELNS1_3repE0EEENS1_47radix_sort_onesweep_sort_config_static_selectorELNS0_4arch9wavefront6targetE0EEEvSG_,"axG",@progbits,_ZN7rocprim17ROCPRIM_400000_NS6detail17trampoline_kernelINS0_14default_configENS1_35radix_sort_onesweep_config_selectorIsNS0_10empty_typeEEEZZNS1_29radix_sort_onesweep_iterationIS3_Lb1EPKsPsPS5_SB_mNS0_19identity_decomposerENS1_16block_id_wrapperIjLb0EEEEE10hipError_tT1_PNSt15iterator_traitsISG_E10value_typeET2_T3_PNSH_ISM_E10value_typeET4_T5_PSR_SS_PNS1_23onesweep_lookback_stateEbbT6_jjT7_P12ihipStream_tbENKUlT_T0_SG_SL_E_clISA_SA_SB_SB_EEDaSZ_S10_SG_SL_EUlSZ_E_NS1_11comp_targetILNS1_3genE9ELNS1_11target_archE1100ELNS1_3gpuE3ELNS1_3repE0EEENS1_47radix_sort_onesweep_sort_config_static_selectorELNS0_4arch9wavefront6targetE0EEEvSG_,comdat
	.protected	_ZN7rocprim17ROCPRIM_400000_NS6detail17trampoline_kernelINS0_14default_configENS1_35radix_sort_onesweep_config_selectorIsNS0_10empty_typeEEEZZNS1_29radix_sort_onesweep_iterationIS3_Lb1EPKsPsPS5_SB_mNS0_19identity_decomposerENS1_16block_id_wrapperIjLb0EEEEE10hipError_tT1_PNSt15iterator_traitsISG_E10value_typeET2_T3_PNSH_ISM_E10value_typeET4_T5_PSR_SS_PNS1_23onesweep_lookback_stateEbbT6_jjT7_P12ihipStream_tbENKUlT_T0_SG_SL_E_clISA_SA_SB_SB_EEDaSZ_S10_SG_SL_EUlSZ_E_NS1_11comp_targetILNS1_3genE9ELNS1_11target_archE1100ELNS1_3gpuE3ELNS1_3repE0EEENS1_47radix_sort_onesweep_sort_config_static_selectorELNS0_4arch9wavefront6targetE0EEEvSG_ ; -- Begin function _ZN7rocprim17ROCPRIM_400000_NS6detail17trampoline_kernelINS0_14default_configENS1_35radix_sort_onesweep_config_selectorIsNS0_10empty_typeEEEZZNS1_29radix_sort_onesweep_iterationIS3_Lb1EPKsPsPS5_SB_mNS0_19identity_decomposerENS1_16block_id_wrapperIjLb0EEEEE10hipError_tT1_PNSt15iterator_traitsISG_E10value_typeET2_T3_PNSH_ISM_E10value_typeET4_T5_PSR_SS_PNS1_23onesweep_lookback_stateEbbT6_jjT7_P12ihipStream_tbENKUlT_T0_SG_SL_E_clISA_SA_SB_SB_EEDaSZ_S10_SG_SL_EUlSZ_E_NS1_11comp_targetILNS1_3genE9ELNS1_11target_archE1100ELNS1_3gpuE3ELNS1_3repE0EEENS1_47radix_sort_onesweep_sort_config_static_selectorELNS0_4arch9wavefront6targetE0EEEvSG_
	.globl	_ZN7rocprim17ROCPRIM_400000_NS6detail17trampoline_kernelINS0_14default_configENS1_35radix_sort_onesweep_config_selectorIsNS0_10empty_typeEEEZZNS1_29radix_sort_onesweep_iterationIS3_Lb1EPKsPsPS5_SB_mNS0_19identity_decomposerENS1_16block_id_wrapperIjLb0EEEEE10hipError_tT1_PNSt15iterator_traitsISG_E10value_typeET2_T3_PNSH_ISM_E10value_typeET4_T5_PSR_SS_PNS1_23onesweep_lookback_stateEbbT6_jjT7_P12ihipStream_tbENKUlT_T0_SG_SL_E_clISA_SA_SB_SB_EEDaSZ_S10_SG_SL_EUlSZ_E_NS1_11comp_targetILNS1_3genE9ELNS1_11target_archE1100ELNS1_3gpuE3ELNS1_3repE0EEENS1_47radix_sort_onesweep_sort_config_static_selectorELNS0_4arch9wavefront6targetE0EEEvSG_
	.p2align	8
	.type	_ZN7rocprim17ROCPRIM_400000_NS6detail17trampoline_kernelINS0_14default_configENS1_35radix_sort_onesweep_config_selectorIsNS0_10empty_typeEEEZZNS1_29radix_sort_onesweep_iterationIS3_Lb1EPKsPsPS5_SB_mNS0_19identity_decomposerENS1_16block_id_wrapperIjLb0EEEEE10hipError_tT1_PNSt15iterator_traitsISG_E10value_typeET2_T3_PNSH_ISM_E10value_typeET4_T5_PSR_SS_PNS1_23onesweep_lookback_stateEbbT6_jjT7_P12ihipStream_tbENKUlT_T0_SG_SL_E_clISA_SA_SB_SB_EEDaSZ_S10_SG_SL_EUlSZ_E_NS1_11comp_targetILNS1_3genE9ELNS1_11target_archE1100ELNS1_3gpuE3ELNS1_3repE0EEENS1_47radix_sort_onesweep_sort_config_static_selectorELNS0_4arch9wavefront6targetE0EEEvSG_,@function
_ZN7rocprim17ROCPRIM_400000_NS6detail17trampoline_kernelINS0_14default_configENS1_35radix_sort_onesweep_config_selectorIsNS0_10empty_typeEEEZZNS1_29radix_sort_onesweep_iterationIS3_Lb1EPKsPsPS5_SB_mNS0_19identity_decomposerENS1_16block_id_wrapperIjLb0EEEEE10hipError_tT1_PNSt15iterator_traitsISG_E10value_typeET2_T3_PNSH_ISM_E10value_typeET4_T5_PSR_SS_PNS1_23onesweep_lookback_stateEbbT6_jjT7_P12ihipStream_tbENKUlT_T0_SG_SL_E_clISA_SA_SB_SB_EEDaSZ_S10_SG_SL_EUlSZ_E_NS1_11comp_targetILNS1_3genE9ELNS1_11target_archE1100ELNS1_3gpuE3ELNS1_3repE0EEENS1_47radix_sort_onesweep_sort_config_static_selectorELNS0_4arch9wavefront6targetE0EEEvSG_: ; @_ZN7rocprim17ROCPRIM_400000_NS6detail17trampoline_kernelINS0_14default_configENS1_35radix_sort_onesweep_config_selectorIsNS0_10empty_typeEEEZZNS1_29radix_sort_onesweep_iterationIS3_Lb1EPKsPsPS5_SB_mNS0_19identity_decomposerENS1_16block_id_wrapperIjLb0EEEEE10hipError_tT1_PNSt15iterator_traitsISG_E10value_typeET2_T3_PNSH_ISM_E10value_typeET4_T5_PSR_SS_PNS1_23onesweep_lookback_stateEbbT6_jjT7_P12ihipStream_tbENKUlT_T0_SG_SL_E_clISA_SA_SB_SB_EEDaSZ_S10_SG_SL_EUlSZ_E_NS1_11comp_targetILNS1_3genE9ELNS1_11target_archE1100ELNS1_3gpuE3ELNS1_3repE0EEENS1_47radix_sort_onesweep_sort_config_static_selectorELNS0_4arch9wavefront6targetE0EEEvSG_
; %bb.0:
	.section	.rodata,"a",@progbits
	.p2align	6, 0x0
	.amdhsa_kernel _ZN7rocprim17ROCPRIM_400000_NS6detail17trampoline_kernelINS0_14default_configENS1_35radix_sort_onesweep_config_selectorIsNS0_10empty_typeEEEZZNS1_29radix_sort_onesweep_iterationIS3_Lb1EPKsPsPS5_SB_mNS0_19identity_decomposerENS1_16block_id_wrapperIjLb0EEEEE10hipError_tT1_PNSt15iterator_traitsISG_E10value_typeET2_T3_PNSH_ISM_E10value_typeET4_T5_PSR_SS_PNS1_23onesweep_lookback_stateEbbT6_jjT7_P12ihipStream_tbENKUlT_T0_SG_SL_E_clISA_SA_SB_SB_EEDaSZ_S10_SG_SL_EUlSZ_E_NS1_11comp_targetILNS1_3genE9ELNS1_11target_archE1100ELNS1_3gpuE3ELNS1_3repE0EEENS1_47radix_sort_onesweep_sort_config_static_selectorELNS0_4arch9wavefront6targetE0EEEvSG_
		.amdhsa_group_segment_fixed_size 0
		.amdhsa_private_segment_fixed_size 0
		.amdhsa_kernarg_size 88
		.amdhsa_user_sgpr_count 2
		.amdhsa_user_sgpr_dispatch_ptr 0
		.amdhsa_user_sgpr_queue_ptr 0
		.amdhsa_user_sgpr_kernarg_segment_ptr 1
		.amdhsa_user_sgpr_dispatch_id 0
		.amdhsa_user_sgpr_kernarg_preload_length 0
		.amdhsa_user_sgpr_kernarg_preload_offset 0
		.amdhsa_user_sgpr_private_segment_size 0
		.amdhsa_wavefront_size32 1
		.amdhsa_uses_dynamic_stack 0
		.amdhsa_enable_private_segment 0
		.amdhsa_system_sgpr_workgroup_id_x 1
		.amdhsa_system_sgpr_workgroup_id_y 0
		.amdhsa_system_sgpr_workgroup_id_z 0
		.amdhsa_system_sgpr_workgroup_info 0
		.amdhsa_system_vgpr_workitem_id 0
		.amdhsa_next_free_vgpr 1
		.amdhsa_next_free_sgpr 1
		.amdhsa_named_barrier_count 0
		.amdhsa_reserve_vcc 0
		.amdhsa_float_round_mode_32 0
		.amdhsa_float_round_mode_16_64 0
		.amdhsa_float_denorm_mode_32 3
		.amdhsa_float_denorm_mode_16_64 3
		.amdhsa_fp16_overflow 0
		.amdhsa_memory_ordered 1
		.amdhsa_forward_progress 1
		.amdhsa_inst_pref_size 0
		.amdhsa_round_robin_scheduling 0
		.amdhsa_exception_fp_ieee_invalid_op 0
		.amdhsa_exception_fp_denorm_src 0
		.amdhsa_exception_fp_ieee_div_zero 0
		.amdhsa_exception_fp_ieee_overflow 0
		.amdhsa_exception_fp_ieee_underflow 0
		.amdhsa_exception_fp_ieee_inexact 0
		.amdhsa_exception_int_div_zero 0
	.end_amdhsa_kernel
	.section	.text._ZN7rocprim17ROCPRIM_400000_NS6detail17trampoline_kernelINS0_14default_configENS1_35radix_sort_onesweep_config_selectorIsNS0_10empty_typeEEEZZNS1_29radix_sort_onesweep_iterationIS3_Lb1EPKsPsPS5_SB_mNS0_19identity_decomposerENS1_16block_id_wrapperIjLb0EEEEE10hipError_tT1_PNSt15iterator_traitsISG_E10value_typeET2_T3_PNSH_ISM_E10value_typeET4_T5_PSR_SS_PNS1_23onesweep_lookback_stateEbbT6_jjT7_P12ihipStream_tbENKUlT_T0_SG_SL_E_clISA_SA_SB_SB_EEDaSZ_S10_SG_SL_EUlSZ_E_NS1_11comp_targetILNS1_3genE9ELNS1_11target_archE1100ELNS1_3gpuE3ELNS1_3repE0EEENS1_47radix_sort_onesweep_sort_config_static_selectorELNS0_4arch9wavefront6targetE0EEEvSG_,"axG",@progbits,_ZN7rocprim17ROCPRIM_400000_NS6detail17trampoline_kernelINS0_14default_configENS1_35radix_sort_onesweep_config_selectorIsNS0_10empty_typeEEEZZNS1_29radix_sort_onesweep_iterationIS3_Lb1EPKsPsPS5_SB_mNS0_19identity_decomposerENS1_16block_id_wrapperIjLb0EEEEE10hipError_tT1_PNSt15iterator_traitsISG_E10value_typeET2_T3_PNSH_ISM_E10value_typeET4_T5_PSR_SS_PNS1_23onesweep_lookback_stateEbbT6_jjT7_P12ihipStream_tbENKUlT_T0_SG_SL_E_clISA_SA_SB_SB_EEDaSZ_S10_SG_SL_EUlSZ_E_NS1_11comp_targetILNS1_3genE9ELNS1_11target_archE1100ELNS1_3gpuE3ELNS1_3repE0EEENS1_47radix_sort_onesweep_sort_config_static_selectorELNS0_4arch9wavefront6targetE0EEEvSG_,comdat
.Lfunc_end636:
	.size	_ZN7rocprim17ROCPRIM_400000_NS6detail17trampoline_kernelINS0_14default_configENS1_35radix_sort_onesweep_config_selectorIsNS0_10empty_typeEEEZZNS1_29radix_sort_onesweep_iterationIS3_Lb1EPKsPsPS5_SB_mNS0_19identity_decomposerENS1_16block_id_wrapperIjLb0EEEEE10hipError_tT1_PNSt15iterator_traitsISG_E10value_typeET2_T3_PNSH_ISM_E10value_typeET4_T5_PSR_SS_PNS1_23onesweep_lookback_stateEbbT6_jjT7_P12ihipStream_tbENKUlT_T0_SG_SL_E_clISA_SA_SB_SB_EEDaSZ_S10_SG_SL_EUlSZ_E_NS1_11comp_targetILNS1_3genE9ELNS1_11target_archE1100ELNS1_3gpuE3ELNS1_3repE0EEENS1_47radix_sort_onesweep_sort_config_static_selectorELNS0_4arch9wavefront6targetE0EEEvSG_, .Lfunc_end636-_ZN7rocprim17ROCPRIM_400000_NS6detail17trampoline_kernelINS0_14default_configENS1_35radix_sort_onesweep_config_selectorIsNS0_10empty_typeEEEZZNS1_29radix_sort_onesweep_iterationIS3_Lb1EPKsPsPS5_SB_mNS0_19identity_decomposerENS1_16block_id_wrapperIjLb0EEEEE10hipError_tT1_PNSt15iterator_traitsISG_E10value_typeET2_T3_PNSH_ISM_E10value_typeET4_T5_PSR_SS_PNS1_23onesweep_lookback_stateEbbT6_jjT7_P12ihipStream_tbENKUlT_T0_SG_SL_E_clISA_SA_SB_SB_EEDaSZ_S10_SG_SL_EUlSZ_E_NS1_11comp_targetILNS1_3genE9ELNS1_11target_archE1100ELNS1_3gpuE3ELNS1_3repE0EEENS1_47radix_sort_onesweep_sort_config_static_selectorELNS0_4arch9wavefront6targetE0EEEvSG_
                                        ; -- End function
	.set _ZN7rocprim17ROCPRIM_400000_NS6detail17trampoline_kernelINS0_14default_configENS1_35radix_sort_onesweep_config_selectorIsNS0_10empty_typeEEEZZNS1_29radix_sort_onesweep_iterationIS3_Lb1EPKsPsPS5_SB_mNS0_19identity_decomposerENS1_16block_id_wrapperIjLb0EEEEE10hipError_tT1_PNSt15iterator_traitsISG_E10value_typeET2_T3_PNSH_ISM_E10value_typeET4_T5_PSR_SS_PNS1_23onesweep_lookback_stateEbbT6_jjT7_P12ihipStream_tbENKUlT_T0_SG_SL_E_clISA_SA_SB_SB_EEDaSZ_S10_SG_SL_EUlSZ_E_NS1_11comp_targetILNS1_3genE9ELNS1_11target_archE1100ELNS1_3gpuE3ELNS1_3repE0EEENS1_47radix_sort_onesweep_sort_config_static_selectorELNS0_4arch9wavefront6targetE0EEEvSG_.num_vgpr, 0
	.set _ZN7rocprim17ROCPRIM_400000_NS6detail17trampoline_kernelINS0_14default_configENS1_35radix_sort_onesweep_config_selectorIsNS0_10empty_typeEEEZZNS1_29radix_sort_onesweep_iterationIS3_Lb1EPKsPsPS5_SB_mNS0_19identity_decomposerENS1_16block_id_wrapperIjLb0EEEEE10hipError_tT1_PNSt15iterator_traitsISG_E10value_typeET2_T3_PNSH_ISM_E10value_typeET4_T5_PSR_SS_PNS1_23onesweep_lookback_stateEbbT6_jjT7_P12ihipStream_tbENKUlT_T0_SG_SL_E_clISA_SA_SB_SB_EEDaSZ_S10_SG_SL_EUlSZ_E_NS1_11comp_targetILNS1_3genE9ELNS1_11target_archE1100ELNS1_3gpuE3ELNS1_3repE0EEENS1_47radix_sort_onesweep_sort_config_static_selectorELNS0_4arch9wavefront6targetE0EEEvSG_.num_agpr, 0
	.set _ZN7rocprim17ROCPRIM_400000_NS6detail17trampoline_kernelINS0_14default_configENS1_35radix_sort_onesweep_config_selectorIsNS0_10empty_typeEEEZZNS1_29radix_sort_onesweep_iterationIS3_Lb1EPKsPsPS5_SB_mNS0_19identity_decomposerENS1_16block_id_wrapperIjLb0EEEEE10hipError_tT1_PNSt15iterator_traitsISG_E10value_typeET2_T3_PNSH_ISM_E10value_typeET4_T5_PSR_SS_PNS1_23onesweep_lookback_stateEbbT6_jjT7_P12ihipStream_tbENKUlT_T0_SG_SL_E_clISA_SA_SB_SB_EEDaSZ_S10_SG_SL_EUlSZ_E_NS1_11comp_targetILNS1_3genE9ELNS1_11target_archE1100ELNS1_3gpuE3ELNS1_3repE0EEENS1_47radix_sort_onesweep_sort_config_static_selectorELNS0_4arch9wavefront6targetE0EEEvSG_.numbered_sgpr, 0
	.set _ZN7rocprim17ROCPRIM_400000_NS6detail17trampoline_kernelINS0_14default_configENS1_35radix_sort_onesweep_config_selectorIsNS0_10empty_typeEEEZZNS1_29radix_sort_onesweep_iterationIS3_Lb1EPKsPsPS5_SB_mNS0_19identity_decomposerENS1_16block_id_wrapperIjLb0EEEEE10hipError_tT1_PNSt15iterator_traitsISG_E10value_typeET2_T3_PNSH_ISM_E10value_typeET4_T5_PSR_SS_PNS1_23onesweep_lookback_stateEbbT6_jjT7_P12ihipStream_tbENKUlT_T0_SG_SL_E_clISA_SA_SB_SB_EEDaSZ_S10_SG_SL_EUlSZ_E_NS1_11comp_targetILNS1_3genE9ELNS1_11target_archE1100ELNS1_3gpuE3ELNS1_3repE0EEENS1_47radix_sort_onesweep_sort_config_static_selectorELNS0_4arch9wavefront6targetE0EEEvSG_.num_named_barrier, 0
	.set _ZN7rocprim17ROCPRIM_400000_NS6detail17trampoline_kernelINS0_14default_configENS1_35radix_sort_onesweep_config_selectorIsNS0_10empty_typeEEEZZNS1_29radix_sort_onesweep_iterationIS3_Lb1EPKsPsPS5_SB_mNS0_19identity_decomposerENS1_16block_id_wrapperIjLb0EEEEE10hipError_tT1_PNSt15iterator_traitsISG_E10value_typeET2_T3_PNSH_ISM_E10value_typeET4_T5_PSR_SS_PNS1_23onesweep_lookback_stateEbbT6_jjT7_P12ihipStream_tbENKUlT_T0_SG_SL_E_clISA_SA_SB_SB_EEDaSZ_S10_SG_SL_EUlSZ_E_NS1_11comp_targetILNS1_3genE9ELNS1_11target_archE1100ELNS1_3gpuE3ELNS1_3repE0EEENS1_47radix_sort_onesweep_sort_config_static_selectorELNS0_4arch9wavefront6targetE0EEEvSG_.private_seg_size, 0
	.set _ZN7rocprim17ROCPRIM_400000_NS6detail17trampoline_kernelINS0_14default_configENS1_35radix_sort_onesweep_config_selectorIsNS0_10empty_typeEEEZZNS1_29radix_sort_onesweep_iterationIS3_Lb1EPKsPsPS5_SB_mNS0_19identity_decomposerENS1_16block_id_wrapperIjLb0EEEEE10hipError_tT1_PNSt15iterator_traitsISG_E10value_typeET2_T3_PNSH_ISM_E10value_typeET4_T5_PSR_SS_PNS1_23onesweep_lookback_stateEbbT6_jjT7_P12ihipStream_tbENKUlT_T0_SG_SL_E_clISA_SA_SB_SB_EEDaSZ_S10_SG_SL_EUlSZ_E_NS1_11comp_targetILNS1_3genE9ELNS1_11target_archE1100ELNS1_3gpuE3ELNS1_3repE0EEENS1_47radix_sort_onesweep_sort_config_static_selectorELNS0_4arch9wavefront6targetE0EEEvSG_.uses_vcc, 0
	.set _ZN7rocprim17ROCPRIM_400000_NS6detail17trampoline_kernelINS0_14default_configENS1_35radix_sort_onesweep_config_selectorIsNS0_10empty_typeEEEZZNS1_29radix_sort_onesweep_iterationIS3_Lb1EPKsPsPS5_SB_mNS0_19identity_decomposerENS1_16block_id_wrapperIjLb0EEEEE10hipError_tT1_PNSt15iterator_traitsISG_E10value_typeET2_T3_PNSH_ISM_E10value_typeET4_T5_PSR_SS_PNS1_23onesweep_lookback_stateEbbT6_jjT7_P12ihipStream_tbENKUlT_T0_SG_SL_E_clISA_SA_SB_SB_EEDaSZ_S10_SG_SL_EUlSZ_E_NS1_11comp_targetILNS1_3genE9ELNS1_11target_archE1100ELNS1_3gpuE3ELNS1_3repE0EEENS1_47radix_sort_onesweep_sort_config_static_selectorELNS0_4arch9wavefront6targetE0EEEvSG_.uses_flat_scratch, 0
	.set _ZN7rocprim17ROCPRIM_400000_NS6detail17trampoline_kernelINS0_14default_configENS1_35radix_sort_onesweep_config_selectorIsNS0_10empty_typeEEEZZNS1_29radix_sort_onesweep_iterationIS3_Lb1EPKsPsPS5_SB_mNS0_19identity_decomposerENS1_16block_id_wrapperIjLb0EEEEE10hipError_tT1_PNSt15iterator_traitsISG_E10value_typeET2_T3_PNSH_ISM_E10value_typeET4_T5_PSR_SS_PNS1_23onesweep_lookback_stateEbbT6_jjT7_P12ihipStream_tbENKUlT_T0_SG_SL_E_clISA_SA_SB_SB_EEDaSZ_S10_SG_SL_EUlSZ_E_NS1_11comp_targetILNS1_3genE9ELNS1_11target_archE1100ELNS1_3gpuE3ELNS1_3repE0EEENS1_47radix_sort_onesweep_sort_config_static_selectorELNS0_4arch9wavefront6targetE0EEEvSG_.has_dyn_sized_stack, 0
	.set _ZN7rocprim17ROCPRIM_400000_NS6detail17trampoline_kernelINS0_14default_configENS1_35radix_sort_onesweep_config_selectorIsNS0_10empty_typeEEEZZNS1_29radix_sort_onesweep_iterationIS3_Lb1EPKsPsPS5_SB_mNS0_19identity_decomposerENS1_16block_id_wrapperIjLb0EEEEE10hipError_tT1_PNSt15iterator_traitsISG_E10value_typeET2_T3_PNSH_ISM_E10value_typeET4_T5_PSR_SS_PNS1_23onesweep_lookback_stateEbbT6_jjT7_P12ihipStream_tbENKUlT_T0_SG_SL_E_clISA_SA_SB_SB_EEDaSZ_S10_SG_SL_EUlSZ_E_NS1_11comp_targetILNS1_3genE9ELNS1_11target_archE1100ELNS1_3gpuE3ELNS1_3repE0EEENS1_47radix_sort_onesweep_sort_config_static_selectorELNS0_4arch9wavefront6targetE0EEEvSG_.has_recursion, 0
	.set _ZN7rocprim17ROCPRIM_400000_NS6detail17trampoline_kernelINS0_14default_configENS1_35radix_sort_onesweep_config_selectorIsNS0_10empty_typeEEEZZNS1_29radix_sort_onesweep_iterationIS3_Lb1EPKsPsPS5_SB_mNS0_19identity_decomposerENS1_16block_id_wrapperIjLb0EEEEE10hipError_tT1_PNSt15iterator_traitsISG_E10value_typeET2_T3_PNSH_ISM_E10value_typeET4_T5_PSR_SS_PNS1_23onesweep_lookback_stateEbbT6_jjT7_P12ihipStream_tbENKUlT_T0_SG_SL_E_clISA_SA_SB_SB_EEDaSZ_S10_SG_SL_EUlSZ_E_NS1_11comp_targetILNS1_3genE9ELNS1_11target_archE1100ELNS1_3gpuE3ELNS1_3repE0EEENS1_47radix_sort_onesweep_sort_config_static_selectorELNS0_4arch9wavefront6targetE0EEEvSG_.has_indirect_call, 0
	.section	.AMDGPU.csdata,"",@progbits
; Kernel info:
; codeLenInByte = 0
; TotalNumSgprs: 0
; NumVgprs: 0
; ScratchSize: 0
; MemoryBound: 0
; FloatMode: 240
; IeeeMode: 1
; LDSByteSize: 0 bytes/workgroup (compile time only)
; SGPRBlocks: 0
; VGPRBlocks: 0
; NumSGPRsForWavesPerEU: 1
; NumVGPRsForWavesPerEU: 1
; NamedBarCnt: 0
; Occupancy: 16
; WaveLimiterHint : 0
; COMPUTE_PGM_RSRC2:SCRATCH_EN: 0
; COMPUTE_PGM_RSRC2:USER_SGPR: 2
; COMPUTE_PGM_RSRC2:TRAP_HANDLER: 0
; COMPUTE_PGM_RSRC2:TGID_X_EN: 1
; COMPUTE_PGM_RSRC2:TGID_Y_EN: 0
; COMPUTE_PGM_RSRC2:TGID_Z_EN: 0
; COMPUTE_PGM_RSRC2:TIDIG_COMP_CNT: 0
	.section	.text._ZN7rocprim17ROCPRIM_400000_NS6detail17trampoline_kernelINS0_14default_configENS1_35radix_sort_onesweep_config_selectorIsNS0_10empty_typeEEEZZNS1_29radix_sort_onesweep_iterationIS3_Lb1EPKsPsPS5_SB_mNS0_19identity_decomposerENS1_16block_id_wrapperIjLb0EEEEE10hipError_tT1_PNSt15iterator_traitsISG_E10value_typeET2_T3_PNSH_ISM_E10value_typeET4_T5_PSR_SS_PNS1_23onesweep_lookback_stateEbbT6_jjT7_P12ihipStream_tbENKUlT_T0_SG_SL_E_clISA_SA_SB_SB_EEDaSZ_S10_SG_SL_EUlSZ_E_NS1_11comp_targetILNS1_3genE8ELNS1_11target_archE1030ELNS1_3gpuE2ELNS1_3repE0EEENS1_47radix_sort_onesweep_sort_config_static_selectorELNS0_4arch9wavefront6targetE0EEEvSG_,"axG",@progbits,_ZN7rocprim17ROCPRIM_400000_NS6detail17trampoline_kernelINS0_14default_configENS1_35radix_sort_onesweep_config_selectorIsNS0_10empty_typeEEEZZNS1_29radix_sort_onesweep_iterationIS3_Lb1EPKsPsPS5_SB_mNS0_19identity_decomposerENS1_16block_id_wrapperIjLb0EEEEE10hipError_tT1_PNSt15iterator_traitsISG_E10value_typeET2_T3_PNSH_ISM_E10value_typeET4_T5_PSR_SS_PNS1_23onesweep_lookback_stateEbbT6_jjT7_P12ihipStream_tbENKUlT_T0_SG_SL_E_clISA_SA_SB_SB_EEDaSZ_S10_SG_SL_EUlSZ_E_NS1_11comp_targetILNS1_3genE8ELNS1_11target_archE1030ELNS1_3gpuE2ELNS1_3repE0EEENS1_47radix_sort_onesweep_sort_config_static_selectorELNS0_4arch9wavefront6targetE0EEEvSG_,comdat
	.protected	_ZN7rocprim17ROCPRIM_400000_NS6detail17trampoline_kernelINS0_14default_configENS1_35radix_sort_onesweep_config_selectorIsNS0_10empty_typeEEEZZNS1_29radix_sort_onesweep_iterationIS3_Lb1EPKsPsPS5_SB_mNS0_19identity_decomposerENS1_16block_id_wrapperIjLb0EEEEE10hipError_tT1_PNSt15iterator_traitsISG_E10value_typeET2_T3_PNSH_ISM_E10value_typeET4_T5_PSR_SS_PNS1_23onesweep_lookback_stateEbbT6_jjT7_P12ihipStream_tbENKUlT_T0_SG_SL_E_clISA_SA_SB_SB_EEDaSZ_S10_SG_SL_EUlSZ_E_NS1_11comp_targetILNS1_3genE8ELNS1_11target_archE1030ELNS1_3gpuE2ELNS1_3repE0EEENS1_47radix_sort_onesweep_sort_config_static_selectorELNS0_4arch9wavefront6targetE0EEEvSG_ ; -- Begin function _ZN7rocprim17ROCPRIM_400000_NS6detail17trampoline_kernelINS0_14default_configENS1_35radix_sort_onesweep_config_selectorIsNS0_10empty_typeEEEZZNS1_29radix_sort_onesweep_iterationIS3_Lb1EPKsPsPS5_SB_mNS0_19identity_decomposerENS1_16block_id_wrapperIjLb0EEEEE10hipError_tT1_PNSt15iterator_traitsISG_E10value_typeET2_T3_PNSH_ISM_E10value_typeET4_T5_PSR_SS_PNS1_23onesweep_lookback_stateEbbT6_jjT7_P12ihipStream_tbENKUlT_T0_SG_SL_E_clISA_SA_SB_SB_EEDaSZ_S10_SG_SL_EUlSZ_E_NS1_11comp_targetILNS1_3genE8ELNS1_11target_archE1030ELNS1_3gpuE2ELNS1_3repE0EEENS1_47radix_sort_onesweep_sort_config_static_selectorELNS0_4arch9wavefront6targetE0EEEvSG_
	.globl	_ZN7rocprim17ROCPRIM_400000_NS6detail17trampoline_kernelINS0_14default_configENS1_35radix_sort_onesweep_config_selectorIsNS0_10empty_typeEEEZZNS1_29radix_sort_onesweep_iterationIS3_Lb1EPKsPsPS5_SB_mNS0_19identity_decomposerENS1_16block_id_wrapperIjLb0EEEEE10hipError_tT1_PNSt15iterator_traitsISG_E10value_typeET2_T3_PNSH_ISM_E10value_typeET4_T5_PSR_SS_PNS1_23onesweep_lookback_stateEbbT6_jjT7_P12ihipStream_tbENKUlT_T0_SG_SL_E_clISA_SA_SB_SB_EEDaSZ_S10_SG_SL_EUlSZ_E_NS1_11comp_targetILNS1_3genE8ELNS1_11target_archE1030ELNS1_3gpuE2ELNS1_3repE0EEENS1_47radix_sort_onesweep_sort_config_static_selectorELNS0_4arch9wavefront6targetE0EEEvSG_
	.p2align	8
	.type	_ZN7rocprim17ROCPRIM_400000_NS6detail17trampoline_kernelINS0_14default_configENS1_35radix_sort_onesweep_config_selectorIsNS0_10empty_typeEEEZZNS1_29radix_sort_onesweep_iterationIS3_Lb1EPKsPsPS5_SB_mNS0_19identity_decomposerENS1_16block_id_wrapperIjLb0EEEEE10hipError_tT1_PNSt15iterator_traitsISG_E10value_typeET2_T3_PNSH_ISM_E10value_typeET4_T5_PSR_SS_PNS1_23onesweep_lookback_stateEbbT6_jjT7_P12ihipStream_tbENKUlT_T0_SG_SL_E_clISA_SA_SB_SB_EEDaSZ_S10_SG_SL_EUlSZ_E_NS1_11comp_targetILNS1_3genE8ELNS1_11target_archE1030ELNS1_3gpuE2ELNS1_3repE0EEENS1_47radix_sort_onesweep_sort_config_static_selectorELNS0_4arch9wavefront6targetE0EEEvSG_,@function
_ZN7rocprim17ROCPRIM_400000_NS6detail17trampoline_kernelINS0_14default_configENS1_35radix_sort_onesweep_config_selectorIsNS0_10empty_typeEEEZZNS1_29radix_sort_onesweep_iterationIS3_Lb1EPKsPsPS5_SB_mNS0_19identity_decomposerENS1_16block_id_wrapperIjLb0EEEEE10hipError_tT1_PNSt15iterator_traitsISG_E10value_typeET2_T3_PNSH_ISM_E10value_typeET4_T5_PSR_SS_PNS1_23onesweep_lookback_stateEbbT6_jjT7_P12ihipStream_tbENKUlT_T0_SG_SL_E_clISA_SA_SB_SB_EEDaSZ_S10_SG_SL_EUlSZ_E_NS1_11comp_targetILNS1_3genE8ELNS1_11target_archE1030ELNS1_3gpuE2ELNS1_3repE0EEENS1_47radix_sort_onesweep_sort_config_static_selectorELNS0_4arch9wavefront6targetE0EEEvSG_: ; @_ZN7rocprim17ROCPRIM_400000_NS6detail17trampoline_kernelINS0_14default_configENS1_35radix_sort_onesweep_config_selectorIsNS0_10empty_typeEEEZZNS1_29radix_sort_onesweep_iterationIS3_Lb1EPKsPsPS5_SB_mNS0_19identity_decomposerENS1_16block_id_wrapperIjLb0EEEEE10hipError_tT1_PNSt15iterator_traitsISG_E10value_typeET2_T3_PNSH_ISM_E10value_typeET4_T5_PSR_SS_PNS1_23onesweep_lookback_stateEbbT6_jjT7_P12ihipStream_tbENKUlT_T0_SG_SL_E_clISA_SA_SB_SB_EEDaSZ_S10_SG_SL_EUlSZ_E_NS1_11comp_targetILNS1_3genE8ELNS1_11target_archE1030ELNS1_3gpuE2ELNS1_3repE0EEENS1_47radix_sort_onesweep_sort_config_static_selectorELNS0_4arch9wavefront6targetE0EEEvSG_
; %bb.0:
	.section	.rodata,"a",@progbits
	.p2align	6, 0x0
	.amdhsa_kernel _ZN7rocprim17ROCPRIM_400000_NS6detail17trampoline_kernelINS0_14default_configENS1_35radix_sort_onesweep_config_selectorIsNS0_10empty_typeEEEZZNS1_29radix_sort_onesweep_iterationIS3_Lb1EPKsPsPS5_SB_mNS0_19identity_decomposerENS1_16block_id_wrapperIjLb0EEEEE10hipError_tT1_PNSt15iterator_traitsISG_E10value_typeET2_T3_PNSH_ISM_E10value_typeET4_T5_PSR_SS_PNS1_23onesweep_lookback_stateEbbT6_jjT7_P12ihipStream_tbENKUlT_T0_SG_SL_E_clISA_SA_SB_SB_EEDaSZ_S10_SG_SL_EUlSZ_E_NS1_11comp_targetILNS1_3genE8ELNS1_11target_archE1030ELNS1_3gpuE2ELNS1_3repE0EEENS1_47radix_sort_onesweep_sort_config_static_selectorELNS0_4arch9wavefront6targetE0EEEvSG_
		.amdhsa_group_segment_fixed_size 0
		.amdhsa_private_segment_fixed_size 0
		.amdhsa_kernarg_size 88
		.amdhsa_user_sgpr_count 2
		.amdhsa_user_sgpr_dispatch_ptr 0
		.amdhsa_user_sgpr_queue_ptr 0
		.amdhsa_user_sgpr_kernarg_segment_ptr 1
		.amdhsa_user_sgpr_dispatch_id 0
		.amdhsa_user_sgpr_kernarg_preload_length 0
		.amdhsa_user_sgpr_kernarg_preload_offset 0
		.amdhsa_user_sgpr_private_segment_size 0
		.amdhsa_wavefront_size32 1
		.amdhsa_uses_dynamic_stack 0
		.amdhsa_enable_private_segment 0
		.amdhsa_system_sgpr_workgroup_id_x 1
		.amdhsa_system_sgpr_workgroup_id_y 0
		.amdhsa_system_sgpr_workgroup_id_z 0
		.amdhsa_system_sgpr_workgroup_info 0
		.amdhsa_system_vgpr_workitem_id 0
		.amdhsa_next_free_vgpr 1
		.amdhsa_next_free_sgpr 1
		.amdhsa_named_barrier_count 0
		.amdhsa_reserve_vcc 0
		.amdhsa_float_round_mode_32 0
		.amdhsa_float_round_mode_16_64 0
		.amdhsa_float_denorm_mode_32 3
		.amdhsa_float_denorm_mode_16_64 3
		.amdhsa_fp16_overflow 0
		.amdhsa_memory_ordered 1
		.amdhsa_forward_progress 1
		.amdhsa_inst_pref_size 0
		.amdhsa_round_robin_scheduling 0
		.amdhsa_exception_fp_ieee_invalid_op 0
		.amdhsa_exception_fp_denorm_src 0
		.amdhsa_exception_fp_ieee_div_zero 0
		.amdhsa_exception_fp_ieee_overflow 0
		.amdhsa_exception_fp_ieee_underflow 0
		.amdhsa_exception_fp_ieee_inexact 0
		.amdhsa_exception_int_div_zero 0
	.end_amdhsa_kernel
	.section	.text._ZN7rocprim17ROCPRIM_400000_NS6detail17trampoline_kernelINS0_14default_configENS1_35radix_sort_onesweep_config_selectorIsNS0_10empty_typeEEEZZNS1_29radix_sort_onesweep_iterationIS3_Lb1EPKsPsPS5_SB_mNS0_19identity_decomposerENS1_16block_id_wrapperIjLb0EEEEE10hipError_tT1_PNSt15iterator_traitsISG_E10value_typeET2_T3_PNSH_ISM_E10value_typeET4_T5_PSR_SS_PNS1_23onesweep_lookback_stateEbbT6_jjT7_P12ihipStream_tbENKUlT_T0_SG_SL_E_clISA_SA_SB_SB_EEDaSZ_S10_SG_SL_EUlSZ_E_NS1_11comp_targetILNS1_3genE8ELNS1_11target_archE1030ELNS1_3gpuE2ELNS1_3repE0EEENS1_47radix_sort_onesweep_sort_config_static_selectorELNS0_4arch9wavefront6targetE0EEEvSG_,"axG",@progbits,_ZN7rocprim17ROCPRIM_400000_NS6detail17trampoline_kernelINS0_14default_configENS1_35radix_sort_onesweep_config_selectorIsNS0_10empty_typeEEEZZNS1_29radix_sort_onesweep_iterationIS3_Lb1EPKsPsPS5_SB_mNS0_19identity_decomposerENS1_16block_id_wrapperIjLb0EEEEE10hipError_tT1_PNSt15iterator_traitsISG_E10value_typeET2_T3_PNSH_ISM_E10value_typeET4_T5_PSR_SS_PNS1_23onesweep_lookback_stateEbbT6_jjT7_P12ihipStream_tbENKUlT_T0_SG_SL_E_clISA_SA_SB_SB_EEDaSZ_S10_SG_SL_EUlSZ_E_NS1_11comp_targetILNS1_3genE8ELNS1_11target_archE1030ELNS1_3gpuE2ELNS1_3repE0EEENS1_47radix_sort_onesweep_sort_config_static_selectorELNS0_4arch9wavefront6targetE0EEEvSG_,comdat
.Lfunc_end637:
	.size	_ZN7rocprim17ROCPRIM_400000_NS6detail17trampoline_kernelINS0_14default_configENS1_35radix_sort_onesweep_config_selectorIsNS0_10empty_typeEEEZZNS1_29radix_sort_onesweep_iterationIS3_Lb1EPKsPsPS5_SB_mNS0_19identity_decomposerENS1_16block_id_wrapperIjLb0EEEEE10hipError_tT1_PNSt15iterator_traitsISG_E10value_typeET2_T3_PNSH_ISM_E10value_typeET4_T5_PSR_SS_PNS1_23onesweep_lookback_stateEbbT6_jjT7_P12ihipStream_tbENKUlT_T0_SG_SL_E_clISA_SA_SB_SB_EEDaSZ_S10_SG_SL_EUlSZ_E_NS1_11comp_targetILNS1_3genE8ELNS1_11target_archE1030ELNS1_3gpuE2ELNS1_3repE0EEENS1_47radix_sort_onesweep_sort_config_static_selectorELNS0_4arch9wavefront6targetE0EEEvSG_, .Lfunc_end637-_ZN7rocprim17ROCPRIM_400000_NS6detail17trampoline_kernelINS0_14default_configENS1_35radix_sort_onesweep_config_selectorIsNS0_10empty_typeEEEZZNS1_29radix_sort_onesweep_iterationIS3_Lb1EPKsPsPS5_SB_mNS0_19identity_decomposerENS1_16block_id_wrapperIjLb0EEEEE10hipError_tT1_PNSt15iterator_traitsISG_E10value_typeET2_T3_PNSH_ISM_E10value_typeET4_T5_PSR_SS_PNS1_23onesweep_lookback_stateEbbT6_jjT7_P12ihipStream_tbENKUlT_T0_SG_SL_E_clISA_SA_SB_SB_EEDaSZ_S10_SG_SL_EUlSZ_E_NS1_11comp_targetILNS1_3genE8ELNS1_11target_archE1030ELNS1_3gpuE2ELNS1_3repE0EEENS1_47radix_sort_onesweep_sort_config_static_selectorELNS0_4arch9wavefront6targetE0EEEvSG_
                                        ; -- End function
	.set _ZN7rocprim17ROCPRIM_400000_NS6detail17trampoline_kernelINS0_14default_configENS1_35radix_sort_onesweep_config_selectorIsNS0_10empty_typeEEEZZNS1_29radix_sort_onesweep_iterationIS3_Lb1EPKsPsPS5_SB_mNS0_19identity_decomposerENS1_16block_id_wrapperIjLb0EEEEE10hipError_tT1_PNSt15iterator_traitsISG_E10value_typeET2_T3_PNSH_ISM_E10value_typeET4_T5_PSR_SS_PNS1_23onesweep_lookback_stateEbbT6_jjT7_P12ihipStream_tbENKUlT_T0_SG_SL_E_clISA_SA_SB_SB_EEDaSZ_S10_SG_SL_EUlSZ_E_NS1_11comp_targetILNS1_3genE8ELNS1_11target_archE1030ELNS1_3gpuE2ELNS1_3repE0EEENS1_47radix_sort_onesweep_sort_config_static_selectorELNS0_4arch9wavefront6targetE0EEEvSG_.num_vgpr, 0
	.set _ZN7rocprim17ROCPRIM_400000_NS6detail17trampoline_kernelINS0_14default_configENS1_35radix_sort_onesweep_config_selectorIsNS0_10empty_typeEEEZZNS1_29radix_sort_onesweep_iterationIS3_Lb1EPKsPsPS5_SB_mNS0_19identity_decomposerENS1_16block_id_wrapperIjLb0EEEEE10hipError_tT1_PNSt15iterator_traitsISG_E10value_typeET2_T3_PNSH_ISM_E10value_typeET4_T5_PSR_SS_PNS1_23onesweep_lookback_stateEbbT6_jjT7_P12ihipStream_tbENKUlT_T0_SG_SL_E_clISA_SA_SB_SB_EEDaSZ_S10_SG_SL_EUlSZ_E_NS1_11comp_targetILNS1_3genE8ELNS1_11target_archE1030ELNS1_3gpuE2ELNS1_3repE0EEENS1_47radix_sort_onesweep_sort_config_static_selectorELNS0_4arch9wavefront6targetE0EEEvSG_.num_agpr, 0
	.set _ZN7rocprim17ROCPRIM_400000_NS6detail17trampoline_kernelINS0_14default_configENS1_35radix_sort_onesweep_config_selectorIsNS0_10empty_typeEEEZZNS1_29radix_sort_onesweep_iterationIS3_Lb1EPKsPsPS5_SB_mNS0_19identity_decomposerENS1_16block_id_wrapperIjLb0EEEEE10hipError_tT1_PNSt15iterator_traitsISG_E10value_typeET2_T3_PNSH_ISM_E10value_typeET4_T5_PSR_SS_PNS1_23onesweep_lookback_stateEbbT6_jjT7_P12ihipStream_tbENKUlT_T0_SG_SL_E_clISA_SA_SB_SB_EEDaSZ_S10_SG_SL_EUlSZ_E_NS1_11comp_targetILNS1_3genE8ELNS1_11target_archE1030ELNS1_3gpuE2ELNS1_3repE0EEENS1_47radix_sort_onesweep_sort_config_static_selectorELNS0_4arch9wavefront6targetE0EEEvSG_.numbered_sgpr, 0
	.set _ZN7rocprim17ROCPRIM_400000_NS6detail17trampoline_kernelINS0_14default_configENS1_35radix_sort_onesweep_config_selectorIsNS0_10empty_typeEEEZZNS1_29radix_sort_onesweep_iterationIS3_Lb1EPKsPsPS5_SB_mNS0_19identity_decomposerENS1_16block_id_wrapperIjLb0EEEEE10hipError_tT1_PNSt15iterator_traitsISG_E10value_typeET2_T3_PNSH_ISM_E10value_typeET4_T5_PSR_SS_PNS1_23onesweep_lookback_stateEbbT6_jjT7_P12ihipStream_tbENKUlT_T0_SG_SL_E_clISA_SA_SB_SB_EEDaSZ_S10_SG_SL_EUlSZ_E_NS1_11comp_targetILNS1_3genE8ELNS1_11target_archE1030ELNS1_3gpuE2ELNS1_3repE0EEENS1_47radix_sort_onesweep_sort_config_static_selectorELNS0_4arch9wavefront6targetE0EEEvSG_.num_named_barrier, 0
	.set _ZN7rocprim17ROCPRIM_400000_NS6detail17trampoline_kernelINS0_14default_configENS1_35radix_sort_onesweep_config_selectorIsNS0_10empty_typeEEEZZNS1_29radix_sort_onesweep_iterationIS3_Lb1EPKsPsPS5_SB_mNS0_19identity_decomposerENS1_16block_id_wrapperIjLb0EEEEE10hipError_tT1_PNSt15iterator_traitsISG_E10value_typeET2_T3_PNSH_ISM_E10value_typeET4_T5_PSR_SS_PNS1_23onesweep_lookback_stateEbbT6_jjT7_P12ihipStream_tbENKUlT_T0_SG_SL_E_clISA_SA_SB_SB_EEDaSZ_S10_SG_SL_EUlSZ_E_NS1_11comp_targetILNS1_3genE8ELNS1_11target_archE1030ELNS1_3gpuE2ELNS1_3repE0EEENS1_47radix_sort_onesweep_sort_config_static_selectorELNS0_4arch9wavefront6targetE0EEEvSG_.private_seg_size, 0
	.set _ZN7rocprim17ROCPRIM_400000_NS6detail17trampoline_kernelINS0_14default_configENS1_35radix_sort_onesweep_config_selectorIsNS0_10empty_typeEEEZZNS1_29radix_sort_onesweep_iterationIS3_Lb1EPKsPsPS5_SB_mNS0_19identity_decomposerENS1_16block_id_wrapperIjLb0EEEEE10hipError_tT1_PNSt15iterator_traitsISG_E10value_typeET2_T3_PNSH_ISM_E10value_typeET4_T5_PSR_SS_PNS1_23onesweep_lookback_stateEbbT6_jjT7_P12ihipStream_tbENKUlT_T0_SG_SL_E_clISA_SA_SB_SB_EEDaSZ_S10_SG_SL_EUlSZ_E_NS1_11comp_targetILNS1_3genE8ELNS1_11target_archE1030ELNS1_3gpuE2ELNS1_3repE0EEENS1_47radix_sort_onesweep_sort_config_static_selectorELNS0_4arch9wavefront6targetE0EEEvSG_.uses_vcc, 0
	.set _ZN7rocprim17ROCPRIM_400000_NS6detail17trampoline_kernelINS0_14default_configENS1_35radix_sort_onesweep_config_selectorIsNS0_10empty_typeEEEZZNS1_29radix_sort_onesweep_iterationIS3_Lb1EPKsPsPS5_SB_mNS0_19identity_decomposerENS1_16block_id_wrapperIjLb0EEEEE10hipError_tT1_PNSt15iterator_traitsISG_E10value_typeET2_T3_PNSH_ISM_E10value_typeET4_T5_PSR_SS_PNS1_23onesweep_lookback_stateEbbT6_jjT7_P12ihipStream_tbENKUlT_T0_SG_SL_E_clISA_SA_SB_SB_EEDaSZ_S10_SG_SL_EUlSZ_E_NS1_11comp_targetILNS1_3genE8ELNS1_11target_archE1030ELNS1_3gpuE2ELNS1_3repE0EEENS1_47radix_sort_onesweep_sort_config_static_selectorELNS0_4arch9wavefront6targetE0EEEvSG_.uses_flat_scratch, 0
	.set _ZN7rocprim17ROCPRIM_400000_NS6detail17trampoline_kernelINS0_14default_configENS1_35radix_sort_onesweep_config_selectorIsNS0_10empty_typeEEEZZNS1_29radix_sort_onesweep_iterationIS3_Lb1EPKsPsPS5_SB_mNS0_19identity_decomposerENS1_16block_id_wrapperIjLb0EEEEE10hipError_tT1_PNSt15iterator_traitsISG_E10value_typeET2_T3_PNSH_ISM_E10value_typeET4_T5_PSR_SS_PNS1_23onesweep_lookback_stateEbbT6_jjT7_P12ihipStream_tbENKUlT_T0_SG_SL_E_clISA_SA_SB_SB_EEDaSZ_S10_SG_SL_EUlSZ_E_NS1_11comp_targetILNS1_3genE8ELNS1_11target_archE1030ELNS1_3gpuE2ELNS1_3repE0EEENS1_47radix_sort_onesweep_sort_config_static_selectorELNS0_4arch9wavefront6targetE0EEEvSG_.has_dyn_sized_stack, 0
	.set _ZN7rocprim17ROCPRIM_400000_NS6detail17trampoline_kernelINS0_14default_configENS1_35radix_sort_onesweep_config_selectorIsNS0_10empty_typeEEEZZNS1_29radix_sort_onesweep_iterationIS3_Lb1EPKsPsPS5_SB_mNS0_19identity_decomposerENS1_16block_id_wrapperIjLb0EEEEE10hipError_tT1_PNSt15iterator_traitsISG_E10value_typeET2_T3_PNSH_ISM_E10value_typeET4_T5_PSR_SS_PNS1_23onesweep_lookback_stateEbbT6_jjT7_P12ihipStream_tbENKUlT_T0_SG_SL_E_clISA_SA_SB_SB_EEDaSZ_S10_SG_SL_EUlSZ_E_NS1_11comp_targetILNS1_3genE8ELNS1_11target_archE1030ELNS1_3gpuE2ELNS1_3repE0EEENS1_47radix_sort_onesweep_sort_config_static_selectorELNS0_4arch9wavefront6targetE0EEEvSG_.has_recursion, 0
	.set _ZN7rocprim17ROCPRIM_400000_NS6detail17trampoline_kernelINS0_14default_configENS1_35radix_sort_onesweep_config_selectorIsNS0_10empty_typeEEEZZNS1_29radix_sort_onesweep_iterationIS3_Lb1EPKsPsPS5_SB_mNS0_19identity_decomposerENS1_16block_id_wrapperIjLb0EEEEE10hipError_tT1_PNSt15iterator_traitsISG_E10value_typeET2_T3_PNSH_ISM_E10value_typeET4_T5_PSR_SS_PNS1_23onesweep_lookback_stateEbbT6_jjT7_P12ihipStream_tbENKUlT_T0_SG_SL_E_clISA_SA_SB_SB_EEDaSZ_S10_SG_SL_EUlSZ_E_NS1_11comp_targetILNS1_3genE8ELNS1_11target_archE1030ELNS1_3gpuE2ELNS1_3repE0EEENS1_47radix_sort_onesweep_sort_config_static_selectorELNS0_4arch9wavefront6targetE0EEEvSG_.has_indirect_call, 0
	.section	.AMDGPU.csdata,"",@progbits
; Kernel info:
; codeLenInByte = 0
; TotalNumSgprs: 0
; NumVgprs: 0
; ScratchSize: 0
; MemoryBound: 0
; FloatMode: 240
; IeeeMode: 1
; LDSByteSize: 0 bytes/workgroup (compile time only)
; SGPRBlocks: 0
; VGPRBlocks: 0
; NumSGPRsForWavesPerEU: 1
; NumVGPRsForWavesPerEU: 1
; NamedBarCnt: 0
; Occupancy: 16
; WaveLimiterHint : 0
; COMPUTE_PGM_RSRC2:SCRATCH_EN: 0
; COMPUTE_PGM_RSRC2:USER_SGPR: 2
; COMPUTE_PGM_RSRC2:TRAP_HANDLER: 0
; COMPUTE_PGM_RSRC2:TGID_X_EN: 1
; COMPUTE_PGM_RSRC2:TGID_Y_EN: 0
; COMPUTE_PGM_RSRC2:TGID_Z_EN: 0
; COMPUTE_PGM_RSRC2:TIDIG_COMP_CNT: 0
	.section	.text._ZN7rocprim17ROCPRIM_400000_NS6detail17trampoline_kernelINS0_13kernel_configILj256ELj4ELj4294967295EEENS1_37radix_sort_block_sort_config_selectorIsNS0_10empty_typeEEEZNS1_21radix_sort_block_sortIS4_Lb0EPKsPsPS6_SC_NS0_19identity_decomposerEEE10hipError_tT1_T2_T3_T4_jRjT5_jjP12ihipStream_tbEUlT_E_NS1_11comp_targetILNS1_3genE0ELNS1_11target_archE4294967295ELNS1_3gpuE0ELNS1_3repE0EEENS1_44radix_sort_block_sort_config_static_selectorELNS0_4arch9wavefront6targetE0EEEvSF_,"axG",@progbits,_ZN7rocprim17ROCPRIM_400000_NS6detail17trampoline_kernelINS0_13kernel_configILj256ELj4ELj4294967295EEENS1_37radix_sort_block_sort_config_selectorIsNS0_10empty_typeEEEZNS1_21radix_sort_block_sortIS4_Lb0EPKsPsPS6_SC_NS0_19identity_decomposerEEE10hipError_tT1_T2_T3_T4_jRjT5_jjP12ihipStream_tbEUlT_E_NS1_11comp_targetILNS1_3genE0ELNS1_11target_archE4294967295ELNS1_3gpuE0ELNS1_3repE0EEENS1_44radix_sort_block_sort_config_static_selectorELNS0_4arch9wavefront6targetE0EEEvSF_,comdat
	.protected	_ZN7rocprim17ROCPRIM_400000_NS6detail17trampoline_kernelINS0_13kernel_configILj256ELj4ELj4294967295EEENS1_37radix_sort_block_sort_config_selectorIsNS0_10empty_typeEEEZNS1_21radix_sort_block_sortIS4_Lb0EPKsPsPS6_SC_NS0_19identity_decomposerEEE10hipError_tT1_T2_T3_T4_jRjT5_jjP12ihipStream_tbEUlT_E_NS1_11comp_targetILNS1_3genE0ELNS1_11target_archE4294967295ELNS1_3gpuE0ELNS1_3repE0EEENS1_44radix_sort_block_sort_config_static_selectorELNS0_4arch9wavefront6targetE0EEEvSF_ ; -- Begin function _ZN7rocprim17ROCPRIM_400000_NS6detail17trampoline_kernelINS0_13kernel_configILj256ELj4ELj4294967295EEENS1_37radix_sort_block_sort_config_selectorIsNS0_10empty_typeEEEZNS1_21radix_sort_block_sortIS4_Lb0EPKsPsPS6_SC_NS0_19identity_decomposerEEE10hipError_tT1_T2_T3_T4_jRjT5_jjP12ihipStream_tbEUlT_E_NS1_11comp_targetILNS1_3genE0ELNS1_11target_archE4294967295ELNS1_3gpuE0ELNS1_3repE0EEENS1_44radix_sort_block_sort_config_static_selectorELNS0_4arch9wavefront6targetE0EEEvSF_
	.globl	_ZN7rocprim17ROCPRIM_400000_NS6detail17trampoline_kernelINS0_13kernel_configILj256ELj4ELj4294967295EEENS1_37radix_sort_block_sort_config_selectorIsNS0_10empty_typeEEEZNS1_21radix_sort_block_sortIS4_Lb0EPKsPsPS6_SC_NS0_19identity_decomposerEEE10hipError_tT1_T2_T3_T4_jRjT5_jjP12ihipStream_tbEUlT_E_NS1_11comp_targetILNS1_3genE0ELNS1_11target_archE4294967295ELNS1_3gpuE0ELNS1_3repE0EEENS1_44radix_sort_block_sort_config_static_selectorELNS0_4arch9wavefront6targetE0EEEvSF_
	.p2align	8
	.type	_ZN7rocprim17ROCPRIM_400000_NS6detail17trampoline_kernelINS0_13kernel_configILj256ELj4ELj4294967295EEENS1_37radix_sort_block_sort_config_selectorIsNS0_10empty_typeEEEZNS1_21radix_sort_block_sortIS4_Lb0EPKsPsPS6_SC_NS0_19identity_decomposerEEE10hipError_tT1_T2_T3_T4_jRjT5_jjP12ihipStream_tbEUlT_E_NS1_11comp_targetILNS1_3genE0ELNS1_11target_archE4294967295ELNS1_3gpuE0ELNS1_3repE0EEENS1_44radix_sort_block_sort_config_static_selectorELNS0_4arch9wavefront6targetE0EEEvSF_,@function
_ZN7rocprim17ROCPRIM_400000_NS6detail17trampoline_kernelINS0_13kernel_configILj256ELj4ELj4294967295EEENS1_37radix_sort_block_sort_config_selectorIsNS0_10empty_typeEEEZNS1_21radix_sort_block_sortIS4_Lb0EPKsPsPS6_SC_NS0_19identity_decomposerEEE10hipError_tT1_T2_T3_T4_jRjT5_jjP12ihipStream_tbEUlT_E_NS1_11comp_targetILNS1_3genE0ELNS1_11target_archE4294967295ELNS1_3gpuE0ELNS1_3repE0EEENS1_44radix_sort_block_sort_config_static_selectorELNS0_4arch9wavefront6targetE0EEEvSF_: ; @_ZN7rocprim17ROCPRIM_400000_NS6detail17trampoline_kernelINS0_13kernel_configILj256ELj4ELj4294967295EEENS1_37radix_sort_block_sort_config_selectorIsNS0_10empty_typeEEEZNS1_21radix_sort_block_sortIS4_Lb0EPKsPsPS6_SC_NS0_19identity_decomposerEEE10hipError_tT1_T2_T3_T4_jRjT5_jjP12ihipStream_tbEUlT_E_NS1_11comp_targetILNS1_3genE0ELNS1_11target_archE4294967295ELNS1_3gpuE0ELNS1_3repE0EEENS1_44radix_sort_block_sort_config_static_selectorELNS0_4arch9wavefront6targetE0EEEvSF_
; %bb.0:
	s_clause 0x1
	s_load_b32 s4, s[0:1], 0x20
	s_load_b128 s[16:19], s[0:1], 0x0
	s_bfe_u32 s5, ttmp6, 0x4000c
	s_and_b32 s2, ttmp6, 15
	s_add_co_i32 s5, s5, 1
	s_getreg_b32 s6, hwreg(HW_REG_IB_STS2, 6, 4)
	s_mul_i32 s5, ttmp9, s5
	v_and_b32_e32 v12, 0x3ff, v0
	s_add_co_i32 s2, s2, s5
	s_cmp_eq_u32 s6, 0
	v_mbcnt_lo_u32_b32 v1, -1, 0
	s_cselect_b32 s5, ttmp9, s2
	v_dual_mov_b32 v3, 0 :: v_dual_lshlrev_b32 v4, 2, v12
	s_lshl_b32 s2, s5, 10
	s_mov_b32 s3, 0
	v_lshlrev_b32_e32 v2, 1, v1
	s_delay_alu instid0(VALU_DEP_2) | instskip(SKIP_2) | instid1(SALU_CYCLE_1)
	v_and_b32_e32 v8, 0x380, v4
	s_wait_kmcnt 0x0
	s_lshr_b32 s8, s4, 10
	s_cmp_lg_u32 s5, s8
	s_cselect_b32 s25, -1, 0
	s_lshl_b64 s[20:21], s[2:3], 1
	s_cmp_eq_u32 s5, s8
	s_add_nc_u64 s[6:7], s[16:17], s[20:21]
	s_mov_b32 s5, -1
	v_add_nc_u64_e32 v[4:5], s[6:7], v[2:3]
	v_lshlrev_b32_e32 v2, 1, v8
	s_delay_alu instid0(VALU_DEP_1)
	v_add_nc_u64_e32 v[6:7], v[4:5], v[2:3]
                                        ; implicit-def: $vgpr4_vgpr5
	s_cbranch_scc0 .LBB638_24
; %bb.1:
	s_load_b64 s[22:23], s[0:1], 0x28
	s_and_not1_b32 vcc_lo, exec_lo, s5
	s_sub_co_i32 s24, s4, s2
	s_cbranch_vccz .LBB638_25
.LBB638_2:
	s_and_saveexec_b32 s2, s3
	s_cbranch_execz .LBB638_4
.LBB638_3:
	global_load_u16 v3, v[6:7], off offset:192
	s_wait_loadcnt 0x0
	v_perm_b32 v5, v3, v5, 0x5040100
.LBB638_4:
	s_or_b32 exec_lo, exec_lo, s2
	s_load_b32 s6, s[0:1], 0x3c
	v_bfe_u32 v7, v0, 10, 10
	v_bfe_u32 v0, v0, 20, 10
	s_get_pc_i64 s[4:5]
	s_add_nc_u64 s[4:5], s[4:5], _ZN7rocprim17ROCPRIM_400000_NS16block_radix_sortIsLj256ELj4ENS0_10empty_typeELj1ELj1ELj0ELNS0_26block_radix_rank_algorithmE1ELNS0_18block_padding_hintE2ELNS0_4arch9wavefront6targetE0EE19radix_bits_per_passE@rel64+4
	v_sub_co_u32 v11, s2, v1, 1
	v_and_b32_e32 v10, 0x3e0, v12
	s_load_b32 s26, s[4:5], 0x0
	v_dual_lshlrev_b32 v13, 5, v12 :: v_dual_bitop2_b32 v8, 15, v1 bitop3:0x40
	s_delay_alu instid0(VALU_DEP_3)
	v_cmp_gt_i32_e32 vcc_lo, 0, v11
	s_wait_loadcnt 0x0
	v_xor_b32_e32 v3, 0xffff8000, v5
	v_lshrrev_b32_e32 v5, 16, v5
	v_xor_b32_e32 v6, 0xffff8000, v4
	v_dual_lshrrev_b32 v4, 16, v4 :: v_dual_bitop2_b32 v9, 16, v1 bitop3:0x40
	v_dual_lshrrev_b32 v14, 3, v12 :: v_dual_bitop2_b32 v17, 7, v1 bitop3:0x40
	s_wait_xcnt 0x0
	v_cmp_eq_u32_e64 s4, 0, v8
	v_cmp_lt_u32_e64 s5, 1, v8
	s_wait_kmcnt 0x0
	s_lshr_b32 s7, s6, 16
	s_and_b32 s6, s6, 0xffff
	v_mad_u32_u24 v0, v0, s7, v7
	v_min_u32_e32 v7, 0xe0, v10
	v_cmp_lt_u32_e64 s7, 7, v8
	s_mov_b32 s14, 0
	v_mul_i32_i24_e32 v19, 0xffffffe4, v12
	v_mad_u32 v0, v0, s6, v12
	v_cmp_lt_u32_e64 s6, 3, v8
	v_cndmask_b32_e32 v8, v11, v1, vcc_lo
	v_xor_b32_e32 v5, 0xffff8000, v5
	v_xor_b32_e32 v4, 0xffff8000, v4
	v_and_b32_e32 v14, 0x7c, v14
	v_or_b32_e32 v7, 31, v7
	s_mov_b32 s15, s14
	s_mov_b32 s16, s14
	;; [unrolled: 1-line block ×3, first 2 shown]
	v_cmp_eq_u32_e64 s8, 0, v9
	v_lshrrev_b32_e32 v0, 3, v0
	v_lshlrev_b32_e32 v15, 2, v8
	v_mov_b64_e32 v[8:9], s[14:15]
	v_mov_b64_e32 v[10:11], s[16:17]
	v_cmp_gt_u32_e64 s0, 8, v12
	v_cmp_lt_u32_e64 s1, 31, v12
	v_cmp_eq_u32_e64 s3, 0, v12
	v_cmp_eq_u32_e64 s9, 0, v17
	v_cmp_lt_u32_e64 s10, 1, v17
	v_cmp_eq_u32_e64 s11, v12, v7
	v_and_b32_e32 v16, 0x1ffffffc, v0
	v_cmp_lt_u32_e64 s12, 3, v17
	v_add_nc_u32_e32 v17, -4, v14
	v_lshl_add_u32 v18, v1, 1, v2
	v_perm_b32 v20, v4, v6, 0x5040100
	v_perm_b32 v0, v5, v3, 0x5040100
	v_add_nc_u32_e32 v19, v13, v19
	s_add_co_i32 s27, s23, s22
	s_branch .LBB638_6
.LBB638_5:                              ;   in Loop: Header=BB638_6 Depth=1
	s_and_not1_b32 vcc_lo, exec_lo, s13
	s_cbranch_vccz .LBB638_22
.LBB638_6:                              ; =>This Inner Loop Header: Depth=1
	v_and_b32_e32 v1, 0xffff, v20
	s_min_u32 s13, s26, s23
	ds_store_2addr_b64 v13, v[8:9], v[10:11] offset0:4 offset1:5
	ds_store_2addr_b64 v13, v[8:9], v[10:11] offset0:6 offset1:7
	s_lshl_b32 s28, -1, s13
	s_wait_dscnt 0x0
	v_lshrrev_b32_e32 v1, s22, v1
	s_barrier_signal -1
	s_barrier_wait -1
	s_delay_alu instid0(VALU_DEP_1) | instskip(NEXT) | instid1(VALU_DEP_1)
	v_bitop3_b32 v3, v1, s28, v1 bitop3:0x30
	; wave barrier
	v_lshlrev_b32_e32 v4, 30, v3
	v_bitop3_b32 v2, v1, 1, s28 bitop3:0x40
	v_dual_lshlrev_b32 v5, 29, v3 :: v_dual_lshlrev_b32 v6, 28, v3
	v_dual_lshlrev_b32 v7, 27, v3 :: v_dual_lshlrev_b32 v21, 26, v3
	s_delay_alu instid0(VALU_DEP_3) | instskip(NEXT) | instid1(VALU_DEP_1)
	v_add_co_u32 v1, s13, v2, -1
	v_cndmask_b32_e64 v2, 0, 1, s13
	v_cmp_gt_i32_e64 s13, 0, v4
	v_cmp_gt_i32_e64 s14, 0, v5
	v_dual_lshlrev_b32 v22, 25, v3 :: v_dual_lshlrev_b32 v23, 24, v3
	s_delay_alu instid0(VALU_DEP_4)
	v_cmp_ne_u32_e32 vcc_lo, 0, v2
	v_not_b32_e32 v2, v4
	v_not_b32_e32 v4, v5
	;; [unrolled: 1-line block ×3, first 2 shown]
	v_cmp_gt_i32_e64 s15, 0, v6
	v_cmp_gt_i32_e64 s16, 0, v7
	v_dual_ashrrev_i32 v2, 31, v2 :: v_dual_bitop2_b32 v1, vcc_lo, v1 bitop3:0x14
	v_not_b32_e32 v6, v7
	v_dual_ashrrev_i32 v4, 31, v4 :: v_dual_ashrrev_i32 v5, 31, v5
	v_not_b32_e32 v7, v21
	s_delay_alu instid0(VALU_DEP_4) | instskip(SKIP_1) | instid1(VALU_DEP_4)
	v_xor_b32_e32 v2, s13, v2
	v_cmp_gt_i32_e64 s17, 0, v21
	v_dual_ashrrev_i32 v6, 31, v6 :: v_dual_bitop2_b32 v4, s14, v4 bitop3:0x14
	v_not_b32_e32 v21, v23
	v_ashrrev_i32_e32 v7, 31, v7
	v_bitop3_b32 v1, v1, v2, exec_lo bitop3:0x80
	v_not_b32_e32 v2, v22
	v_xor_b32_e32 v5, s15, v5
	v_xor_b32_e32 v6, s16, v6
	v_cmp_gt_i32_e32 vcc_lo, 0, v22
	v_cmp_gt_i32_e64 s13, 0, v23
	v_ashrrev_i32_e32 v2, 31, v2
	v_bitop3_b32 v1, v1, v5, v4 bitop3:0x80
	v_dual_ashrrev_i32 v4, 31, v21 :: v_dual_bitop2_b32 v5, s17, v7 bitop3:0x14
	s_delay_alu instid0(VALU_DEP_3) | instskip(NEXT) | instid1(VALU_DEP_2)
	v_dual_mov_b32 v21, v0 :: v_dual_bitop2_b32 v2, vcc_lo, v2 bitop3:0x14
	v_dual_lshlrev_b32 v0, 5, v3 :: v_dual_bitop2_b32 v4, s13, v4 bitop3:0x14
	s_delay_alu instid0(VALU_DEP_3) | instskip(NEXT) | instid1(VALU_DEP_2)
	v_bitop3_b32 v1, v1, v5, v6 bitop3:0x80
	v_add_nc_u32_e32 v24, v16, v0
	s_delay_alu instid0(VALU_DEP_2) | instskip(NEXT) | instid1(VALU_DEP_1)
	v_bitop3_b32 v1, v1, v4, v2 bitop3:0x80
	v_mbcnt_lo_u32_b32 v23, v1, 0
	v_cmp_ne_u32_e64 s13, 0, v1
	s_delay_alu instid0(VALU_DEP_2) | instskip(SKIP_1) | instid1(SALU_CYCLE_1)
	v_cmp_eq_u32_e32 vcc_lo, 0, v23
	s_and_b32 s14, s13, vcc_lo
	s_and_saveexec_b32 s13, s14
; %bb.7:                                ;   in Loop: Header=BB638_6 Depth=1
	v_bcnt_u32_b32 v0, v1, 0
	ds_store_b32 v24, v0 offset:32
; %bb.8:                                ;   in Loop: Header=BB638_6 Depth=1
	s_or_b32 exec_lo, exec_lo, s13
	v_lshrrev_b32_e32 v22, 16, v20
	s_not_b32 s28, s28
	; wave barrier
	s_delay_alu instid0(VALU_DEP_1) | instskip(NEXT) | instid1(VALU_DEP_1)
	v_lshrrev_b32_e32 v0, s22, v22
	v_and_b32_e32 v1, s28, v0
	s_delay_alu instid0(VALU_DEP_1) | instskip(SKIP_1) | instid1(VALU_DEP_1)
	v_lshlrev_b32_e32 v4, 30, v1
	v_bitop3_b32 v0, v0, 1, s28 bitop3:0x80
	v_add_co_u32 v0, s13, v0, -1
	s_delay_alu instid0(VALU_DEP_1) | instskip(NEXT) | instid1(VALU_DEP_4)
	v_cndmask_b32_e64 v3, 0, 1, s13
	v_cmp_gt_i32_e64 s13, 0, v4
	s_delay_alu instid0(VALU_DEP_2) | instskip(SKIP_1) | instid1(VALU_DEP_1)
	v_cmp_ne_u32_e32 vcc_lo, 0, v3
	v_not_b32_e32 v3, v4
	v_dual_ashrrev_i32 v3, 31, v3 :: v_dual_lshlrev_b32 v5, 29, v1
	v_dual_lshlrev_b32 v6, 28, v1 :: v_dual_lshlrev_b32 v7, 27, v1
	v_dual_lshlrev_b32 v25, 26, v1 :: v_dual_lshlrev_b32 v2, 5, v1
	s_delay_alu instid0(VALU_DEP_3) | instskip(SKIP_1) | instid1(VALU_DEP_4)
	v_cmp_gt_i32_e64 s14, 0, v5
	v_not_b32_e32 v4, v5
	v_not_b32_e32 v5, v6
	v_dual_lshlrev_b32 v26, 25, v1 :: v_dual_lshlrev_b32 v1, 24, v1
	v_cmp_gt_i32_e64 s15, 0, v6
	v_cmp_gt_i32_e64 s16, 0, v7
	v_not_b32_e32 v6, v7
	v_dual_ashrrev_i32 v5, 31, v5 :: v_dual_bitop2_b32 v0, vcc_lo, v0 bitop3:0x14
	v_dual_ashrrev_i32 v4, 31, v4 :: v_dual_bitop2_b32 v3, s13, v3 bitop3:0x14
	v_not_b32_e32 v7, v25
	v_cmp_gt_i32_e64 s17, 0, v25
	s_delay_alu instid0(VALU_DEP_3)
	v_dual_ashrrev_i32 v6, 31, v6 :: v_dual_bitop2_b32 v4, s14, v4 bitop3:0x14
	v_xor_b32_e32 v5, s15, v5
	v_bitop3_b32 v0, v0, v3, exec_lo bitop3:0x80
	v_ashrrev_i32_e32 v3, 31, v7
	v_not_b32_e32 v7, v26
	v_not_b32_e32 v25, v1
	v_xor_b32_e32 v6, s16, v6
	v_bitop3_b32 v0, v0, v5, v4 bitop3:0x80
	v_xor_b32_e32 v3, s17, v3
	v_cmp_gt_i32_e32 vcc_lo, 0, v26
	v_ashrrev_i32_e32 v4, 31, v7
	v_cmp_gt_i32_e64 s13, 0, v1
	v_dual_ashrrev_i32 v1, 31, v25 :: v_dual_add_nc_u32 v26, v16, v2
	v_bitop3_b32 v0, v0, v3, v6 bitop3:0x80
	s_delay_alu instid0(VALU_DEP_4) | instskip(NEXT) | instid1(VALU_DEP_3)
	v_xor_b32_e32 v2, vcc_lo, v4
	v_xor_b32_e32 v1, s13, v1
	ds_load_b32 v25, v26 offset:32
	; wave barrier
	v_bitop3_b32 v0, v0, v1, v2 bitop3:0x80
	s_delay_alu instid0(VALU_DEP_1) | instskip(SKIP_1) | instid1(VALU_DEP_2)
	v_mbcnt_lo_u32_b32 v27, v0, 0
	v_cmp_ne_u32_e64 s13, 0, v0
	v_cmp_eq_u32_e32 vcc_lo, 0, v27
	s_and_b32 s14, s13, vcc_lo
	s_delay_alu instid0(SALU_CYCLE_1)
	s_and_saveexec_b32 s13, s14
	s_cbranch_execz .LBB638_10
; %bb.9:                                ;   in Loop: Header=BB638_6 Depth=1
	s_wait_dscnt 0x0
	v_bcnt_u32_b32 v0, v0, v25
	ds_store_b32 v26, v0 offset:32
.LBB638_10:                             ;   in Loop: Header=BB638_6 Depth=1
	s_or_b32 exec_lo, exec_lo, s13
	v_and_b32_e32 v0, 0xffff, v21
	; wave barrier
	s_delay_alu instid0(VALU_DEP_1) | instskip(NEXT) | instid1(VALU_DEP_1)
	v_lshrrev_b32_e32 v0, s22, v0
	v_and_b32_e32 v1, s28, v0
	s_delay_alu instid0(VALU_DEP_1) | instskip(SKIP_1) | instid1(VALU_DEP_2)
	v_lshlrev_b32_e32 v2, 5, v1
	v_bitop3_b32 v0, v0, 1, s28 bitop3:0x80
	v_dual_lshlrev_b32 v4, 30, v1 :: v_dual_add_nc_u32 v31, v16, v2
	s_delay_alu instid0(VALU_DEP_2) | instskip(NEXT) | instid1(VALU_DEP_1)
	v_add_co_u32 v0, s13, v0, -1
	v_cndmask_b32_e64 v3, 0, 1, s13
	s_delay_alu instid0(VALU_DEP_1) | instskip(NEXT) | instid1(VALU_DEP_4)
	v_cmp_ne_u32_e32 vcc_lo, 0, v3
	v_not_b32_e32 v3, v4
	s_delay_alu instid0(VALU_DEP_1) | instskip(SKIP_4) | instid1(VALU_DEP_4)
	v_dual_ashrrev_i32 v3, 31, v3 :: v_dual_bitop2_b32 v0, vcc_lo, v0 bitop3:0x14
	v_dual_lshlrev_b32 v5, 29, v1 :: v_dual_lshlrev_b32 v6, 28, v1
	v_dual_lshlrev_b32 v7, 27, v1 :: v_dual_lshlrev_b32 v28, 26, v1
	v_lshlrev_b32_e32 v29, 25, v1
	v_cmp_gt_i32_e64 s13, 0, v4
	v_cmp_gt_i32_e64 s14, 0, v5
	v_not_b32_e32 v4, v5
	v_not_b32_e32 v5, v6
	v_lshlrev_b32_e32 v1, 24, v1
	v_cmp_gt_i32_e64 s15, 0, v6
	v_cmp_gt_i32_e64 s16, 0, v7
	v_not_b32_e32 v6, v7
	v_not_b32_e32 v7, v28
	v_dual_ashrrev_i32 v4, 31, v4 :: v_dual_ashrrev_i32 v5, 31, v5
	s_delay_alu instid0(VALU_DEP_3) | instskip(SKIP_1) | instid1(VALU_DEP_3)
	v_dual_ashrrev_i32 v6, 31, v6 :: v_dual_bitop2_b32 v3, s13, v3 bitop3:0x14
	v_cmp_gt_i32_e64 s17, 0, v28
	v_dual_ashrrev_i32 v7, 31, v7 :: v_dual_bitop2_b32 v4, s14, v4 bitop3:0x14
	s_delay_alu instid0(VALU_DEP_3)
	v_bitop3_b32 v0, v0, v3, exec_lo bitop3:0x80
	v_not_b32_e32 v3, v29
	v_xor_b32_e32 v5, s15, v5
	v_not_b32_e32 v28, v1
	v_xor_b32_e32 v6, s16, v6
	v_xor_b32_e32 v7, s17, v7
	v_cmp_gt_i32_e32 vcc_lo, 0, v29
	v_ashrrev_i32_e32 v3, 31, v3
	v_bitop3_b32 v0, v0, v5, v4 bitop3:0x80
	v_cmp_gt_i32_e64 s13, 0, v1
	v_ashrrev_i32_e32 v1, 31, v28
	ds_load_b32 v29, v31 offset:32
	v_xor_b32_e32 v2, vcc_lo, v3
	v_bitop3_b32 v0, v0, v7, v6 bitop3:0x80
	v_xor_b32_e32 v1, s13, v1
	; wave barrier
	s_delay_alu instid0(VALU_DEP_1) | instskip(NEXT) | instid1(VALU_DEP_1)
	v_bitop3_b32 v0, v0, v1, v2 bitop3:0x80
	v_mbcnt_lo_u32_b32 v30, v0, 0
	v_cmp_ne_u32_e64 s13, 0, v0
	s_delay_alu instid0(VALU_DEP_2) | instskip(SKIP_1) | instid1(SALU_CYCLE_1)
	v_cmp_eq_u32_e32 vcc_lo, 0, v30
	s_and_b32 s14, s13, vcc_lo
	s_and_saveexec_b32 s13, s14
	s_cbranch_execz .LBB638_12
; %bb.11:                               ;   in Loop: Header=BB638_6 Depth=1
	s_wait_dscnt 0x0
	v_bcnt_u32_b32 v0, v0, v29
	ds_store_b32 v31, v0 offset:32
.LBB638_12:                             ;   in Loop: Header=BB638_6 Depth=1
	s_or_b32 exec_lo, exec_lo, s13
	v_lshrrev_b32_e32 v28, 16, v21
	; wave barrier
	s_delay_alu instid0(VALU_DEP_1) | instskip(NEXT) | instid1(VALU_DEP_1)
	v_lshrrev_b32_e32 v0, s22, v28
	v_and_b32_e32 v1, s28, v0
	s_delay_alu instid0(VALU_DEP_1) | instskip(SKIP_3) | instid1(VALU_DEP_3)
	v_lshlrev_b32_e32 v2, 5, v1
	v_bitop3_b32 v0, v0, 1, s28 bitop3:0x80
	v_dual_lshlrev_b32 v4, 30, v1 :: v_dual_lshlrev_b32 v5, 29, v1
	v_dual_lshlrev_b32 v6, 28, v1 :: v_dual_lshlrev_b32 v7, 27, v1
	v_add_co_u32 v0, s13, v0, -1
	s_delay_alu instid0(VALU_DEP_1) | instskip(SKIP_3) | instid1(VALU_DEP_4)
	v_cndmask_b32_e64 v3, 0, 1, s13
	v_dual_lshlrev_b32 v32, 26, v1 :: v_dual_lshlrev_b32 v33, 25, v1
	v_cmp_gt_i32_e64 s13, 0, v4
	v_cmp_gt_i32_e64 s14, 0, v5
	v_cmp_ne_u32_e32 vcc_lo, 0, v3
	v_not_b32_e32 v3, v4
	v_lshlrev_b32_e32 v1, 24, v1
	v_not_b32_e32 v4, v5
	v_not_b32_e32 v5, v6
	v_cmp_gt_i32_e64 s15, 0, v6
	v_ashrrev_i32_e32 v3, 31, v3
	v_cmp_gt_i32_e64 s16, 0, v7
	v_not_b32_e32 v6, v7
	v_not_b32_e32 v7, v32
	v_dual_ashrrev_i32 v5, 31, v5 :: v_dual_bitop2_b32 v0, vcc_lo, v0 bitop3:0x14
	v_dual_ashrrev_i32 v4, 31, v4 :: v_dual_bitop2_b32 v3, s13, v3 bitop3:0x14
	v_cmp_gt_i32_e64 s17, 0, v32
	s_delay_alu instid0(VALU_DEP_4)
	v_dual_ashrrev_i32 v6, 31, v6 :: v_dual_ashrrev_i32 v7, 31, v7
	v_not_b32_e32 v32, v1
	v_xor_b32_e32 v5, s15, v5
	v_bitop3_b32 v0, v0, v3, exec_lo bitop3:0x80
	v_not_b32_e32 v3, v33
	v_xor_b32_e32 v4, s14, v4
	v_xor_b32_e32 v6, s16, v6
	v_dual_add_nc_u32 v34, v16, v2 :: v_dual_bitop2_b32 v7, s17, v7 bitop3:0x14
	v_cmp_gt_i32_e32 vcc_lo, 0, v33
	v_ashrrev_i32_e32 v3, 31, v3
	v_cmp_gt_i32_e64 s13, 0, v1
	v_ashrrev_i32_e32 v1, 31, v32
	v_bitop3_b32 v0, v0, v5, v4 bitop3:0x80
	ds_load_b32 v32, v34 offset:32
	v_xor_b32_e32 v2, vcc_lo, v3
	v_xor_b32_e32 v1, s13, v1
	v_bitop3_b32 v0, v0, v7, v6 bitop3:0x80
	; wave barrier
	s_delay_alu instid0(VALU_DEP_1) | instskip(NEXT) | instid1(VALU_DEP_1)
	v_bitop3_b32 v0, v0, v1, v2 bitop3:0x80
	v_mbcnt_lo_u32_b32 v33, v0, 0
	v_cmp_ne_u32_e64 s13, 0, v0
	s_delay_alu instid0(VALU_DEP_2) | instskip(SKIP_1) | instid1(SALU_CYCLE_1)
	v_cmp_eq_u32_e32 vcc_lo, 0, v33
	s_and_b32 s14, s13, vcc_lo
	s_and_saveexec_b32 s13, s14
	s_cbranch_execz .LBB638_14
; %bb.13:                               ;   in Loop: Header=BB638_6 Depth=1
	s_wait_dscnt 0x0
	v_bcnt_u32_b32 v0, v0, v32
	ds_store_b32 v34, v0 offset:32
.LBB638_14:                             ;   in Loop: Header=BB638_6 Depth=1
	s_or_b32 exec_lo, exec_lo, s13
	; wave barrier
	s_wait_dscnt 0x0
	s_barrier_signal -1
	s_barrier_wait -1
	ds_load_2addr_b64 v[4:7], v13 offset0:4 offset1:5
	ds_load_2addr_b64 v[0:3], v13 offset0:6 offset1:7
	s_wait_dscnt 0x1
	v_add_nc_u32_e32 v35, v5, v4
	s_delay_alu instid0(VALU_DEP_1) | instskip(SKIP_1) | instid1(VALU_DEP_1)
	v_add3_u32 v35, v35, v6, v7
	s_wait_dscnt 0x0
	v_add3_u32 v35, v35, v0, v1
	s_delay_alu instid0(VALU_DEP_1) | instskip(NEXT) | instid1(VALU_DEP_1)
	v_add3_u32 v3, v35, v2, v3
	v_mov_b32_dpp v35, v3 row_shr:1 row_mask:0xf bank_mask:0xf
	s_delay_alu instid0(VALU_DEP_1) | instskip(NEXT) | instid1(VALU_DEP_1)
	v_cndmask_b32_e64 v35, v35, 0, s4
	v_add_nc_u32_e32 v3, v35, v3
	s_delay_alu instid0(VALU_DEP_1) | instskip(NEXT) | instid1(VALU_DEP_1)
	v_mov_b32_dpp v35, v3 row_shr:2 row_mask:0xf bank_mask:0xf
	v_cndmask_b32_e64 v35, 0, v35, s5
	s_delay_alu instid0(VALU_DEP_1) | instskip(NEXT) | instid1(VALU_DEP_1)
	v_add_nc_u32_e32 v3, v3, v35
	v_mov_b32_dpp v35, v3 row_shr:4 row_mask:0xf bank_mask:0xf
	s_delay_alu instid0(VALU_DEP_1) | instskip(NEXT) | instid1(VALU_DEP_1)
	v_cndmask_b32_e64 v35, 0, v35, s6
	v_add_nc_u32_e32 v3, v3, v35
	s_delay_alu instid0(VALU_DEP_1) | instskip(NEXT) | instid1(VALU_DEP_1)
	v_mov_b32_dpp v35, v3 row_shr:8 row_mask:0xf bank_mask:0xf
	v_cndmask_b32_e64 v35, 0, v35, s7
	s_delay_alu instid0(VALU_DEP_1) | instskip(SKIP_3) | instid1(VALU_DEP_1)
	v_add_nc_u32_e32 v3, v3, v35
	ds_swizzle_b32 v35, v3 offset:swizzle(BROADCAST,32,15)
	s_wait_dscnt 0x0
	v_cndmask_b32_e64 v35, v35, 0, s8
	v_add_nc_u32_e32 v3, v3, v35
	s_and_saveexec_b32 s13, s11
; %bb.15:                               ;   in Loop: Header=BB638_6 Depth=1
	ds_store_b32 v14, v3
; %bb.16:                               ;   in Loop: Header=BB638_6 Depth=1
	s_or_b32 exec_lo, exec_lo, s13
	s_wait_dscnt 0x0
	s_barrier_signal -1
	s_barrier_wait -1
	s_and_saveexec_b32 s13, s0
	s_cbranch_execz .LBB638_18
; %bb.17:                               ;   in Loop: Header=BB638_6 Depth=1
	ds_load_b32 v35, v19
	s_wait_dscnt 0x0
	v_mov_b32_dpp v36, v35 row_shr:1 row_mask:0xf bank_mask:0xf
	s_delay_alu instid0(VALU_DEP_1) | instskip(NEXT) | instid1(VALU_DEP_1)
	v_cndmask_b32_e64 v36, v36, 0, s9
	v_add_nc_u32_e32 v35, v36, v35
	s_delay_alu instid0(VALU_DEP_1) | instskip(NEXT) | instid1(VALU_DEP_1)
	v_mov_b32_dpp v36, v35 row_shr:2 row_mask:0xf bank_mask:0xf
	v_cndmask_b32_e64 v36, 0, v36, s10
	s_delay_alu instid0(VALU_DEP_1) | instskip(NEXT) | instid1(VALU_DEP_1)
	v_add_nc_u32_e32 v35, v35, v36
	v_mov_b32_dpp v36, v35 row_shr:4 row_mask:0xf bank_mask:0xf
	s_delay_alu instid0(VALU_DEP_1) | instskip(NEXT) | instid1(VALU_DEP_1)
	v_cndmask_b32_e64 v36, 0, v36, s12
	v_add_nc_u32_e32 v35, v35, v36
	ds_store_b32 v19, v35
.LBB638_18:                             ;   in Loop: Header=BB638_6 Depth=1
	s_or_b32 exec_lo, exec_lo, s13
	v_mov_b32_e32 v35, 0
	s_wait_dscnt 0x0
	s_barrier_signal -1
	s_barrier_wait -1
	s_and_saveexec_b32 s13, s1
; %bb.19:                               ;   in Loop: Header=BB638_6 Depth=1
	ds_load_b32 v35, v17
; %bb.20:                               ;   in Loop: Header=BB638_6 Depth=1
	s_or_b32 exec_lo, exec_lo, s13
	s_wait_dscnt 0x0
	v_add_nc_u32_e32 v3, v35, v3
	s_add_co_i32 s22, s22, 8
	s_mov_b32 s13, -1
	s_cmp_ge_u32 s22, s27
	ds_bpermute_b32 v3, v15, v3
	s_wait_dscnt 0x0
	v_cndmask_b32_e64 v3, v3, v35, s2
	s_delay_alu instid0(VALU_DEP_1) | instskip(NEXT) | instid1(VALU_DEP_1)
	v_cndmask_b32_e64 v36, v3, 0, s3
	v_add_nc_u32_e32 v37, v36, v4
	s_delay_alu instid0(VALU_DEP_1) | instskip(NEXT) | instid1(VALU_DEP_1)
	v_add_nc_u32_e32 v4, v37, v5
	v_add_nc_u32_e32 v5, v4, v6
	s_delay_alu instid0(VALU_DEP_1) | instskip(NEXT) | instid1(VALU_DEP_1)
	v_add_nc_u32_e32 v6, v5, v7
	;; [unrolled: 3-line block ×3, first 2 shown]
	v_add_nc_u32_e32 v1, v0, v2
	ds_store_2addr_b64 v13, v[36:37], v[4:5] offset0:4 offset1:5
	ds_store_2addr_b64 v13, v[6:7], v[0:1] offset0:6 offset1:7
	s_wait_dscnt 0x0
	s_barrier_signal -1
	s_barrier_wait -1
	ds_load_b32 v0, v26 offset:32
	ds_load_b32 v2, v31 offset:32
	;; [unrolled: 1-line block ×4, first 2 shown]
	v_dual_mov_b32 v1, v20 :: v_dual_lshlrev_b32 v6, 1, v27
	v_dual_lshlrev_b32 v5, 1, v23 :: v_dual_lshlrev_b32 v7, 1, v25
	v_dual_lshlrev_b32 v23, 1, v30 :: v_dual_lshlrev_b32 v24, 1, v29
	;; [unrolled: 1-line block ×3, first 2 shown]
	s_wait_dscnt 0x0
	v_dual_lshlrev_b32 v0, 1, v0 :: v_dual_lshlrev_b32 v27, 1, v2
	v_lshlrev_b32_e32 v29, 1, v3
	v_lshl_add_u32 v2, v4, 1, v5
	s_delay_alu instid0(VALU_DEP_3) | instskip(NEXT) | instid1(VALU_DEP_4)
	v_add3_u32 v3, v6, v7, v0
	v_add3_u32 v4, v23, v24, v27
	s_delay_alu instid0(VALU_DEP_4)
	v_add3_u32 v5, v25, v26, v29
                                        ; implicit-def: $vgpr0
	s_cbranch_scc1 .LBB638_5
; %bb.21:                               ;   in Loop: Header=BB638_6 Depth=1
	s_barrier_signal -1
	s_barrier_wait -1
	ds_store_b16 v2, v20
	ds_store_b16 v3, v22
	;; [unrolled: 1-line block ×4, first 2 shown]
	s_wait_dscnt 0x0
	s_barrier_signal -1
	s_barrier_wait -1
	ds_load_u16 v0, v18
	ds_load_u16 v6, v18 offset:64
	ds_load_u16 v7, v18 offset:128
	;; [unrolled: 1-line block ×3, first 2 shown]
	s_add_co_i32 s23, s23, -8
	s_mov_b32 s13, 0
	s_wait_dscnt 0x0
	s_barrier_signal -1
	s_barrier_wait -1
	v_perm_b32 v20, v6, v0, 0x5040100
	v_perm_b32 v0, v23, v7, 0x5040100
	s_branch .LBB638_5
.LBB638_22:
	v_lshlrev_b32_e32 v0, 1, v12
	s_barrier_signal -1
	s_barrier_wait -1
	ds_store_b16 v2, v1
	ds_store_b16 v3, v22
	ds_store_b16 v4, v21
	ds_store_b16 v5, v28
	s_wait_dscnt 0x0
	s_barrier_signal -1
	s_barrier_wait -1
	v_mov_b32_e32 v1, 0
	ds_load_u16 v3, v0
	ds_load_u16 v4, v0 offset:512
	ds_load_u16 v6, v0 offset:1024
	;; [unrolled: 1-line block ×3, first 2 shown]
	s_add_nc_u64 s[0:1], s[18:19], s[20:21]
	s_and_not1_b32 vcc_lo, exec_lo, s25
	v_add_nc_u64_e32 v[0:1], s[0:1], v[0:1]
	s_wait_dscnt 0x3
	v_xor_b32_e32 v5, 0xffff8000, v3
	s_wait_dscnt 0x2
	v_xor_b32_e32 v4, 0xffff8000, v4
	s_wait_dscnt 0x1
	v_xor_b32_e32 v3, 0xffff8000, v6
	s_cbranch_vccnz .LBB638_32
; %bb.23:
	s_mov_b32 s0, -1
	s_clause 0x2
	global_store_b16 v[0:1], v5, off
	global_store_b16 v[0:1], v4, off offset:512
	global_store_b16 v[0:1], v3, off offset:1024
	s_cbranch_execz .LBB638_33
	s_branch .LBB638_40
.LBB638_24:
	s_clause 0x2
	global_load_u16 v3, v[6:7], off
	global_load_u16 v4, v[6:7], off offset:64
	global_load_u16 v5, v[6:7], off offset:128
	s_mov_b32 s3, -1
	s_wait_loadcnt 0x1
	v_perm_b32 v4, v4, v3, 0x5040100
	s_load_b64 s[22:23], s[0:1], 0x28
	s_sub_co_i32 s24, s4, s2
	s_cbranch_execnz .LBB638_2
.LBB638_25:
	v_mov_b32_e32 v4, 0x7fff7fff
	v_or_b32_e32 v3, v1, v8
	s_mov_b32 s2, exec_lo
	s_wait_loadcnt 0x0
	s_delay_alu instid0(VALU_DEP_2) | instskip(NEXT) | instid1(VALU_DEP_2)
	v_mov_b32_e32 v5, v4
	v_cmpx_gt_u32_e64 s24, v3
	s_cbranch_execz .LBB638_27
; %bb.26:
	global_load_u16 v5, v[6:7], off
	s_movk_i32 s3, 0x7fff
	v_mov_b32_e32 v9, v4
	s_wait_loadcnt 0x0
	v_perm_b32 v8, s3, v5, 0x5040100
	s_delay_alu instid0(VALU_DEP_1)
	v_mov_b64_e32 v[4:5], v[8:9]
.LBB638_27:
	s_or_b32 exec_lo, exec_lo, s2
	v_or_b32_e32 v8, 32, v3
	s_mov_b32 s2, exec_lo
	s_delay_alu instid0(VALU_DEP_1)
	v_cmpx_gt_u32_e64 s24, v8
	s_cbranch_execz .LBB638_29
; %bb.28:
	global_load_u16 v8, v[6:7], off offset:64
	s_wait_loadcnt 0x0
	v_perm_b32 v4, v8, v4, 0x5040100
.LBB638_29:
	s_or_b32 exec_lo, exec_lo, s2
	v_or_b32_e32 v8, 64, v3
	s_mov_b32 s2, exec_lo
	s_delay_alu instid0(VALU_DEP_1)
	v_cmpx_gt_u32_e64 s24, v8
	s_cbranch_execz .LBB638_31
; %bb.30:
	global_load_u16 v8, v[6:7], off offset:128
	s_wait_loadcnt 0x0
	v_bfi_b32 v5, 0xffff, v8, v5
.LBB638_31:
	s_or_b32 exec_lo, exec_lo, s2
	v_or_b32_e32 v3, 0x60, v3
	s_delay_alu instid0(VALU_DEP_1)
	v_cmp_gt_u32_e64 s3, s24, v3
	s_and_saveexec_b32 s2, s3
	s_cbranch_execnz .LBB638_3
	s_branch .LBB638_4
.LBB638_32:
	s_mov_b32 s0, 0
.LBB638_33:
	s_mov_b32 s0, exec_lo
	s_wait_xcnt 0x0
	v_cmpx_gt_u32_e64 s24, v12
	s_cbranch_execz .LBB638_35
; %bb.34:
	global_store_b16 v[0:1], v5, off
.LBB638_35:
	s_wait_xcnt 0x0
	s_or_b32 exec_lo, exec_lo, s0
	v_add_nc_u32_e32 v5, 0x100, v12
	s_mov_b32 s0, exec_lo
	s_delay_alu instid0(VALU_DEP_1)
	v_cmpx_gt_u32_e64 s24, v5
	s_cbranch_execz .LBB638_37
; %bb.36:
	global_store_b16 v[0:1], v4, off offset:512
.LBB638_37:
	s_wait_xcnt 0x0
	s_or_b32 exec_lo, exec_lo, s0
	v_add_nc_u32_e32 v4, 0x200, v12
	s_mov_b32 s0, exec_lo
	s_delay_alu instid0(VALU_DEP_1)
	v_cmpx_gt_u32_e64 s24, v4
	s_cbranch_execz .LBB638_39
; %bb.38:
	global_store_b16 v[0:1], v3, off offset:1024
.LBB638_39:
	s_wait_xcnt 0x0
	s_or_b32 exec_lo, exec_lo, s0
	v_add_nc_u32_e32 v3, 0x300, v12
	s_delay_alu instid0(VALU_DEP_1)
	v_cmp_gt_u32_e64 s0, s24, v3
.LBB638_40:
	s_wait_xcnt 0x0
	s_delay_alu instid0(VALU_DEP_1)
	s_and_saveexec_b32 s1, s0
	s_cbranch_execnz .LBB638_42
; %bb.41:
	s_endpgm
.LBB638_42:
	s_wait_dscnt 0x0
	v_xor_b32_e32 v2, 0xffff8000, v2
	global_store_b16 v[0:1], v2, off offset:1536
	s_endpgm
	.section	.rodata,"a",@progbits
	.p2align	6, 0x0
	.amdhsa_kernel _ZN7rocprim17ROCPRIM_400000_NS6detail17trampoline_kernelINS0_13kernel_configILj256ELj4ELj4294967295EEENS1_37radix_sort_block_sort_config_selectorIsNS0_10empty_typeEEEZNS1_21radix_sort_block_sortIS4_Lb0EPKsPsPS6_SC_NS0_19identity_decomposerEEE10hipError_tT1_T2_T3_T4_jRjT5_jjP12ihipStream_tbEUlT_E_NS1_11comp_targetILNS1_3genE0ELNS1_11target_archE4294967295ELNS1_3gpuE0ELNS1_3repE0EEENS1_44radix_sort_block_sort_config_static_selectorELNS0_4arch9wavefront6targetE0EEEvSF_
		.amdhsa_group_segment_fixed_size 8224
		.amdhsa_private_segment_fixed_size 0
		.amdhsa_kernarg_size 304
		.amdhsa_user_sgpr_count 2
		.amdhsa_user_sgpr_dispatch_ptr 0
		.amdhsa_user_sgpr_queue_ptr 0
		.amdhsa_user_sgpr_kernarg_segment_ptr 1
		.amdhsa_user_sgpr_dispatch_id 0
		.amdhsa_user_sgpr_kernarg_preload_length 0
		.amdhsa_user_sgpr_kernarg_preload_offset 0
		.amdhsa_user_sgpr_private_segment_size 0
		.amdhsa_wavefront_size32 1
		.amdhsa_uses_dynamic_stack 0
		.amdhsa_enable_private_segment 0
		.amdhsa_system_sgpr_workgroup_id_x 1
		.amdhsa_system_sgpr_workgroup_id_y 0
		.amdhsa_system_sgpr_workgroup_id_z 0
		.amdhsa_system_sgpr_workgroup_info 0
		.amdhsa_system_vgpr_workitem_id 2
		.amdhsa_next_free_vgpr 38
		.amdhsa_next_free_sgpr 29
		.amdhsa_named_barrier_count 0
		.amdhsa_reserve_vcc 1
		.amdhsa_float_round_mode_32 0
		.amdhsa_float_round_mode_16_64 0
		.amdhsa_float_denorm_mode_32 3
		.amdhsa_float_denorm_mode_16_64 3
		.amdhsa_fp16_overflow 0
		.amdhsa_memory_ordered 1
		.amdhsa_forward_progress 1
		.amdhsa_inst_pref_size 29
		.amdhsa_round_robin_scheduling 0
		.amdhsa_exception_fp_ieee_invalid_op 0
		.amdhsa_exception_fp_denorm_src 0
		.amdhsa_exception_fp_ieee_div_zero 0
		.amdhsa_exception_fp_ieee_overflow 0
		.amdhsa_exception_fp_ieee_underflow 0
		.amdhsa_exception_fp_ieee_inexact 0
		.amdhsa_exception_int_div_zero 0
	.end_amdhsa_kernel
	.section	.text._ZN7rocprim17ROCPRIM_400000_NS6detail17trampoline_kernelINS0_13kernel_configILj256ELj4ELj4294967295EEENS1_37radix_sort_block_sort_config_selectorIsNS0_10empty_typeEEEZNS1_21radix_sort_block_sortIS4_Lb0EPKsPsPS6_SC_NS0_19identity_decomposerEEE10hipError_tT1_T2_T3_T4_jRjT5_jjP12ihipStream_tbEUlT_E_NS1_11comp_targetILNS1_3genE0ELNS1_11target_archE4294967295ELNS1_3gpuE0ELNS1_3repE0EEENS1_44radix_sort_block_sort_config_static_selectorELNS0_4arch9wavefront6targetE0EEEvSF_,"axG",@progbits,_ZN7rocprim17ROCPRIM_400000_NS6detail17trampoline_kernelINS0_13kernel_configILj256ELj4ELj4294967295EEENS1_37radix_sort_block_sort_config_selectorIsNS0_10empty_typeEEEZNS1_21radix_sort_block_sortIS4_Lb0EPKsPsPS6_SC_NS0_19identity_decomposerEEE10hipError_tT1_T2_T3_T4_jRjT5_jjP12ihipStream_tbEUlT_E_NS1_11comp_targetILNS1_3genE0ELNS1_11target_archE4294967295ELNS1_3gpuE0ELNS1_3repE0EEENS1_44radix_sort_block_sort_config_static_selectorELNS0_4arch9wavefront6targetE0EEEvSF_,comdat
.Lfunc_end638:
	.size	_ZN7rocprim17ROCPRIM_400000_NS6detail17trampoline_kernelINS0_13kernel_configILj256ELj4ELj4294967295EEENS1_37radix_sort_block_sort_config_selectorIsNS0_10empty_typeEEEZNS1_21radix_sort_block_sortIS4_Lb0EPKsPsPS6_SC_NS0_19identity_decomposerEEE10hipError_tT1_T2_T3_T4_jRjT5_jjP12ihipStream_tbEUlT_E_NS1_11comp_targetILNS1_3genE0ELNS1_11target_archE4294967295ELNS1_3gpuE0ELNS1_3repE0EEENS1_44radix_sort_block_sort_config_static_selectorELNS0_4arch9wavefront6targetE0EEEvSF_, .Lfunc_end638-_ZN7rocprim17ROCPRIM_400000_NS6detail17trampoline_kernelINS0_13kernel_configILj256ELj4ELj4294967295EEENS1_37radix_sort_block_sort_config_selectorIsNS0_10empty_typeEEEZNS1_21radix_sort_block_sortIS4_Lb0EPKsPsPS6_SC_NS0_19identity_decomposerEEE10hipError_tT1_T2_T3_T4_jRjT5_jjP12ihipStream_tbEUlT_E_NS1_11comp_targetILNS1_3genE0ELNS1_11target_archE4294967295ELNS1_3gpuE0ELNS1_3repE0EEENS1_44radix_sort_block_sort_config_static_selectorELNS0_4arch9wavefront6targetE0EEEvSF_
                                        ; -- End function
	.set _ZN7rocprim17ROCPRIM_400000_NS6detail17trampoline_kernelINS0_13kernel_configILj256ELj4ELj4294967295EEENS1_37radix_sort_block_sort_config_selectorIsNS0_10empty_typeEEEZNS1_21radix_sort_block_sortIS4_Lb0EPKsPsPS6_SC_NS0_19identity_decomposerEEE10hipError_tT1_T2_T3_T4_jRjT5_jjP12ihipStream_tbEUlT_E_NS1_11comp_targetILNS1_3genE0ELNS1_11target_archE4294967295ELNS1_3gpuE0ELNS1_3repE0EEENS1_44radix_sort_block_sort_config_static_selectorELNS0_4arch9wavefront6targetE0EEEvSF_.num_vgpr, 38
	.set _ZN7rocprim17ROCPRIM_400000_NS6detail17trampoline_kernelINS0_13kernel_configILj256ELj4ELj4294967295EEENS1_37radix_sort_block_sort_config_selectorIsNS0_10empty_typeEEEZNS1_21radix_sort_block_sortIS4_Lb0EPKsPsPS6_SC_NS0_19identity_decomposerEEE10hipError_tT1_T2_T3_T4_jRjT5_jjP12ihipStream_tbEUlT_E_NS1_11comp_targetILNS1_3genE0ELNS1_11target_archE4294967295ELNS1_3gpuE0ELNS1_3repE0EEENS1_44radix_sort_block_sort_config_static_selectorELNS0_4arch9wavefront6targetE0EEEvSF_.num_agpr, 0
	.set _ZN7rocprim17ROCPRIM_400000_NS6detail17trampoline_kernelINS0_13kernel_configILj256ELj4ELj4294967295EEENS1_37radix_sort_block_sort_config_selectorIsNS0_10empty_typeEEEZNS1_21radix_sort_block_sortIS4_Lb0EPKsPsPS6_SC_NS0_19identity_decomposerEEE10hipError_tT1_T2_T3_T4_jRjT5_jjP12ihipStream_tbEUlT_E_NS1_11comp_targetILNS1_3genE0ELNS1_11target_archE4294967295ELNS1_3gpuE0ELNS1_3repE0EEENS1_44radix_sort_block_sort_config_static_selectorELNS0_4arch9wavefront6targetE0EEEvSF_.numbered_sgpr, 29
	.set _ZN7rocprim17ROCPRIM_400000_NS6detail17trampoline_kernelINS0_13kernel_configILj256ELj4ELj4294967295EEENS1_37radix_sort_block_sort_config_selectorIsNS0_10empty_typeEEEZNS1_21radix_sort_block_sortIS4_Lb0EPKsPsPS6_SC_NS0_19identity_decomposerEEE10hipError_tT1_T2_T3_T4_jRjT5_jjP12ihipStream_tbEUlT_E_NS1_11comp_targetILNS1_3genE0ELNS1_11target_archE4294967295ELNS1_3gpuE0ELNS1_3repE0EEENS1_44radix_sort_block_sort_config_static_selectorELNS0_4arch9wavefront6targetE0EEEvSF_.num_named_barrier, 0
	.set _ZN7rocprim17ROCPRIM_400000_NS6detail17trampoline_kernelINS0_13kernel_configILj256ELj4ELj4294967295EEENS1_37radix_sort_block_sort_config_selectorIsNS0_10empty_typeEEEZNS1_21radix_sort_block_sortIS4_Lb0EPKsPsPS6_SC_NS0_19identity_decomposerEEE10hipError_tT1_T2_T3_T4_jRjT5_jjP12ihipStream_tbEUlT_E_NS1_11comp_targetILNS1_3genE0ELNS1_11target_archE4294967295ELNS1_3gpuE0ELNS1_3repE0EEENS1_44radix_sort_block_sort_config_static_selectorELNS0_4arch9wavefront6targetE0EEEvSF_.private_seg_size, 0
	.set _ZN7rocprim17ROCPRIM_400000_NS6detail17trampoline_kernelINS0_13kernel_configILj256ELj4ELj4294967295EEENS1_37radix_sort_block_sort_config_selectorIsNS0_10empty_typeEEEZNS1_21radix_sort_block_sortIS4_Lb0EPKsPsPS6_SC_NS0_19identity_decomposerEEE10hipError_tT1_T2_T3_T4_jRjT5_jjP12ihipStream_tbEUlT_E_NS1_11comp_targetILNS1_3genE0ELNS1_11target_archE4294967295ELNS1_3gpuE0ELNS1_3repE0EEENS1_44radix_sort_block_sort_config_static_selectorELNS0_4arch9wavefront6targetE0EEEvSF_.uses_vcc, 1
	.set _ZN7rocprim17ROCPRIM_400000_NS6detail17trampoline_kernelINS0_13kernel_configILj256ELj4ELj4294967295EEENS1_37radix_sort_block_sort_config_selectorIsNS0_10empty_typeEEEZNS1_21radix_sort_block_sortIS4_Lb0EPKsPsPS6_SC_NS0_19identity_decomposerEEE10hipError_tT1_T2_T3_T4_jRjT5_jjP12ihipStream_tbEUlT_E_NS1_11comp_targetILNS1_3genE0ELNS1_11target_archE4294967295ELNS1_3gpuE0ELNS1_3repE0EEENS1_44radix_sort_block_sort_config_static_selectorELNS0_4arch9wavefront6targetE0EEEvSF_.uses_flat_scratch, 0
	.set _ZN7rocprim17ROCPRIM_400000_NS6detail17trampoline_kernelINS0_13kernel_configILj256ELj4ELj4294967295EEENS1_37radix_sort_block_sort_config_selectorIsNS0_10empty_typeEEEZNS1_21radix_sort_block_sortIS4_Lb0EPKsPsPS6_SC_NS0_19identity_decomposerEEE10hipError_tT1_T2_T3_T4_jRjT5_jjP12ihipStream_tbEUlT_E_NS1_11comp_targetILNS1_3genE0ELNS1_11target_archE4294967295ELNS1_3gpuE0ELNS1_3repE0EEENS1_44radix_sort_block_sort_config_static_selectorELNS0_4arch9wavefront6targetE0EEEvSF_.has_dyn_sized_stack, 0
	.set _ZN7rocprim17ROCPRIM_400000_NS6detail17trampoline_kernelINS0_13kernel_configILj256ELj4ELj4294967295EEENS1_37radix_sort_block_sort_config_selectorIsNS0_10empty_typeEEEZNS1_21radix_sort_block_sortIS4_Lb0EPKsPsPS6_SC_NS0_19identity_decomposerEEE10hipError_tT1_T2_T3_T4_jRjT5_jjP12ihipStream_tbEUlT_E_NS1_11comp_targetILNS1_3genE0ELNS1_11target_archE4294967295ELNS1_3gpuE0ELNS1_3repE0EEENS1_44radix_sort_block_sort_config_static_selectorELNS0_4arch9wavefront6targetE0EEEvSF_.has_recursion, 0
	.set _ZN7rocprim17ROCPRIM_400000_NS6detail17trampoline_kernelINS0_13kernel_configILj256ELj4ELj4294967295EEENS1_37radix_sort_block_sort_config_selectorIsNS0_10empty_typeEEEZNS1_21radix_sort_block_sortIS4_Lb0EPKsPsPS6_SC_NS0_19identity_decomposerEEE10hipError_tT1_T2_T3_T4_jRjT5_jjP12ihipStream_tbEUlT_E_NS1_11comp_targetILNS1_3genE0ELNS1_11target_archE4294967295ELNS1_3gpuE0ELNS1_3repE0EEENS1_44radix_sort_block_sort_config_static_selectorELNS0_4arch9wavefront6targetE0EEEvSF_.has_indirect_call, 0
	.section	.AMDGPU.csdata,"",@progbits
; Kernel info:
; codeLenInByte = 3636
; TotalNumSgprs: 31
; NumVgprs: 38
; ScratchSize: 0
; MemoryBound: 0
; FloatMode: 240
; IeeeMode: 1
; LDSByteSize: 8224 bytes/workgroup (compile time only)
; SGPRBlocks: 0
; VGPRBlocks: 2
; NumSGPRsForWavesPerEU: 31
; NumVGPRsForWavesPerEU: 38
; NamedBarCnt: 0
; Occupancy: 16
; WaveLimiterHint : 1
; COMPUTE_PGM_RSRC2:SCRATCH_EN: 0
; COMPUTE_PGM_RSRC2:USER_SGPR: 2
; COMPUTE_PGM_RSRC2:TRAP_HANDLER: 0
; COMPUTE_PGM_RSRC2:TGID_X_EN: 1
; COMPUTE_PGM_RSRC2:TGID_Y_EN: 0
; COMPUTE_PGM_RSRC2:TGID_Z_EN: 0
; COMPUTE_PGM_RSRC2:TIDIG_COMP_CNT: 2
	.section	.text._ZN7rocprim17ROCPRIM_400000_NS6detail17trampoline_kernelINS0_13kernel_configILj256ELj4ELj4294967295EEENS1_37radix_sort_block_sort_config_selectorIsNS0_10empty_typeEEEZNS1_21radix_sort_block_sortIS4_Lb0EPKsPsPS6_SC_NS0_19identity_decomposerEEE10hipError_tT1_T2_T3_T4_jRjT5_jjP12ihipStream_tbEUlT_E_NS1_11comp_targetILNS1_3genE5ELNS1_11target_archE942ELNS1_3gpuE9ELNS1_3repE0EEENS1_44radix_sort_block_sort_config_static_selectorELNS0_4arch9wavefront6targetE0EEEvSF_,"axG",@progbits,_ZN7rocprim17ROCPRIM_400000_NS6detail17trampoline_kernelINS0_13kernel_configILj256ELj4ELj4294967295EEENS1_37radix_sort_block_sort_config_selectorIsNS0_10empty_typeEEEZNS1_21radix_sort_block_sortIS4_Lb0EPKsPsPS6_SC_NS0_19identity_decomposerEEE10hipError_tT1_T2_T3_T4_jRjT5_jjP12ihipStream_tbEUlT_E_NS1_11comp_targetILNS1_3genE5ELNS1_11target_archE942ELNS1_3gpuE9ELNS1_3repE0EEENS1_44radix_sort_block_sort_config_static_selectorELNS0_4arch9wavefront6targetE0EEEvSF_,comdat
	.protected	_ZN7rocprim17ROCPRIM_400000_NS6detail17trampoline_kernelINS0_13kernel_configILj256ELj4ELj4294967295EEENS1_37radix_sort_block_sort_config_selectorIsNS0_10empty_typeEEEZNS1_21radix_sort_block_sortIS4_Lb0EPKsPsPS6_SC_NS0_19identity_decomposerEEE10hipError_tT1_T2_T3_T4_jRjT5_jjP12ihipStream_tbEUlT_E_NS1_11comp_targetILNS1_3genE5ELNS1_11target_archE942ELNS1_3gpuE9ELNS1_3repE0EEENS1_44radix_sort_block_sort_config_static_selectorELNS0_4arch9wavefront6targetE0EEEvSF_ ; -- Begin function _ZN7rocprim17ROCPRIM_400000_NS6detail17trampoline_kernelINS0_13kernel_configILj256ELj4ELj4294967295EEENS1_37radix_sort_block_sort_config_selectorIsNS0_10empty_typeEEEZNS1_21radix_sort_block_sortIS4_Lb0EPKsPsPS6_SC_NS0_19identity_decomposerEEE10hipError_tT1_T2_T3_T4_jRjT5_jjP12ihipStream_tbEUlT_E_NS1_11comp_targetILNS1_3genE5ELNS1_11target_archE942ELNS1_3gpuE9ELNS1_3repE0EEENS1_44radix_sort_block_sort_config_static_selectorELNS0_4arch9wavefront6targetE0EEEvSF_
	.globl	_ZN7rocprim17ROCPRIM_400000_NS6detail17trampoline_kernelINS0_13kernel_configILj256ELj4ELj4294967295EEENS1_37radix_sort_block_sort_config_selectorIsNS0_10empty_typeEEEZNS1_21radix_sort_block_sortIS4_Lb0EPKsPsPS6_SC_NS0_19identity_decomposerEEE10hipError_tT1_T2_T3_T4_jRjT5_jjP12ihipStream_tbEUlT_E_NS1_11comp_targetILNS1_3genE5ELNS1_11target_archE942ELNS1_3gpuE9ELNS1_3repE0EEENS1_44radix_sort_block_sort_config_static_selectorELNS0_4arch9wavefront6targetE0EEEvSF_
	.p2align	8
	.type	_ZN7rocprim17ROCPRIM_400000_NS6detail17trampoline_kernelINS0_13kernel_configILj256ELj4ELj4294967295EEENS1_37radix_sort_block_sort_config_selectorIsNS0_10empty_typeEEEZNS1_21radix_sort_block_sortIS4_Lb0EPKsPsPS6_SC_NS0_19identity_decomposerEEE10hipError_tT1_T2_T3_T4_jRjT5_jjP12ihipStream_tbEUlT_E_NS1_11comp_targetILNS1_3genE5ELNS1_11target_archE942ELNS1_3gpuE9ELNS1_3repE0EEENS1_44radix_sort_block_sort_config_static_selectorELNS0_4arch9wavefront6targetE0EEEvSF_,@function
_ZN7rocprim17ROCPRIM_400000_NS6detail17trampoline_kernelINS0_13kernel_configILj256ELj4ELj4294967295EEENS1_37radix_sort_block_sort_config_selectorIsNS0_10empty_typeEEEZNS1_21radix_sort_block_sortIS4_Lb0EPKsPsPS6_SC_NS0_19identity_decomposerEEE10hipError_tT1_T2_T3_T4_jRjT5_jjP12ihipStream_tbEUlT_E_NS1_11comp_targetILNS1_3genE5ELNS1_11target_archE942ELNS1_3gpuE9ELNS1_3repE0EEENS1_44radix_sort_block_sort_config_static_selectorELNS0_4arch9wavefront6targetE0EEEvSF_: ; @_ZN7rocprim17ROCPRIM_400000_NS6detail17trampoline_kernelINS0_13kernel_configILj256ELj4ELj4294967295EEENS1_37radix_sort_block_sort_config_selectorIsNS0_10empty_typeEEEZNS1_21radix_sort_block_sortIS4_Lb0EPKsPsPS6_SC_NS0_19identity_decomposerEEE10hipError_tT1_T2_T3_T4_jRjT5_jjP12ihipStream_tbEUlT_E_NS1_11comp_targetILNS1_3genE5ELNS1_11target_archE942ELNS1_3gpuE9ELNS1_3repE0EEENS1_44radix_sort_block_sort_config_static_selectorELNS0_4arch9wavefront6targetE0EEEvSF_
; %bb.0:
	.section	.rodata,"a",@progbits
	.p2align	6, 0x0
	.amdhsa_kernel _ZN7rocprim17ROCPRIM_400000_NS6detail17trampoline_kernelINS0_13kernel_configILj256ELj4ELj4294967295EEENS1_37radix_sort_block_sort_config_selectorIsNS0_10empty_typeEEEZNS1_21radix_sort_block_sortIS4_Lb0EPKsPsPS6_SC_NS0_19identity_decomposerEEE10hipError_tT1_T2_T3_T4_jRjT5_jjP12ihipStream_tbEUlT_E_NS1_11comp_targetILNS1_3genE5ELNS1_11target_archE942ELNS1_3gpuE9ELNS1_3repE0EEENS1_44radix_sort_block_sort_config_static_selectorELNS0_4arch9wavefront6targetE0EEEvSF_
		.amdhsa_group_segment_fixed_size 0
		.amdhsa_private_segment_fixed_size 0
		.amdhsa_kernarg_size 48
		.amdhsa_user_sgpr_count 2
		.amdhsa_user_sgpr_dispatch_ptr 0
		.amdhsa_user_sgpr_queue_ptr 0
		.amdhsa_user_sgpr_kernarg_segment_ptr 1
		.amdhsa_user_sgpr_dispatch_id 0
		.amdhsa_user_sgpr_kernarg_preload_length 0
		.amdhsa_user_sgpr_kernarg_preload_offset 0
		.amdhsa_user_sgpr_private_segment_size 0
		.amdhsa_wavefront_size32 1
		.amdhsa_uses_dynamic_stack 0
		.amdhsa_enable_private_segment 0
		.amdhsa_system_sgpr_workgroup_id_x 1
		.amdhsa_system_sgpr_workgroup_id_y 0
		.amdhsa_system_sgpr_workgroup_id_z 0
		.amdhsa_system_sgpr_workgroup_info 0
		.amdhsa_system_vgpr_workitem_id 0
		.amdhsa_next_free_vgpr 1
		.amdhsa_next_free_sgpr 1
		.amdhsa_named_barrier_count 0
		.amdhsa_reserve_vcc 0
		.amdhsa_float_round_mode_32 0
		.amdhsa_float_round_mode_16_64 0
		.amdhsa_float_denorm_mode_32 3
		.amdhsa_float_denorm_mode_16_64 3
		.amdhsa_fp16_overflow 0
		.amdhsa_memory_ordered 1
		.amdhsa_forward_progress 1
		.amdhsa_inst_pref_size 0
		.amdhsa_round_robin_scheduling 0
		.amdhsa_exception_fp_ieee_invalid_op 0
		.amdhsa_exception_fp_denorm_src 0
		.amdhsa_exception_fp_ieee_div_zero 0
		.amdhsa_exception_fp_ieee_overflow 0
		.amdhsa_exception_fp_ieee_underflow 0
		.amdhsa_exception_fp_ieee_inexact 0
		.amdhsa_exception_int_div_zero 0
	.end_amdhsa_kernel
	.section	.text._ZN7rocprim17ROCPRIM_400000_NS6detail17trampoline_kernelINS0_13kernel_configILj256ELj4ELj4294967295EEENS1_37radix_sort_block_sort_config_selectorIsNS0_10empty_typeEEEZNS1_21radix_sort_block_sortIS4_Lb0EPKsPsPS6_SC_NS0_19identity_decomposerEEE10hipError_tT1_T2_T3_T4_jRjT5_jjP12ihipStream_tbEUlT_E_NS1_11comp_targetILNS1_3genE5ELNS1_11target_archE942ELNS1_3gpuE9ELNS1_3repE0EEENS1_44radix_sort_block_sort_config_static_selectorELNS0_4arch9wavefront6targetE0EEEvSF_,"axG",@progbits,_ZN7rocprim17ROCPRIM_400000_NS6detail17trampoline_kernelINS0_13kernel_configILj256ELj4ELj4294967295EEENS1_37radix_sort_block_sort_config_selectorIsNS0_10empty_typeEEEZNS1_21radix_sort_block_sortIS4_Lb0EPKsPsPS6_SC_NS0_19identity_decomposerEEE10hipError_tT1_T2_T3_T4_jRjT5_jjP12ihipStream_tbEUlT_E_NS1_11comp_targetILNS1_3genE5ELNS1_11target_archE942ELNS1_3gpuE9ELNS1_3repE0EEENS1_44radix_sort_block_sort_config_static_selectorELNS0_4arch9wavefront6targetE0EEEvSF_,comdat
.Lfunc_end639:
	.size	_ZN7rocprim17ROCPRIM_400000_NS6detail17trampoline_kernelINS0_13kernel_configILj256ELj4ELj4294967295EEENS1_37radix_sort_block_sort_config_selectorIsNS0_10empty_typeEEEZNS1_21radix_sort_block_sortIS4_Lb0EPKsPsPS6_SC_NS0_19identity_decomposerEEE10hipError_tT1_T2_T3_T4_jRjT5_jjP12ihipStream_tbEUlT_E_NS1_11comp_targetILNS1_3genE5ELNS1_11target_archE942ELNS1_3gpuE9ELNS1_3repE0EEENS1_44radix_sort_block_sort_config_static_selectorELNS0_4arch9wavefront6targetE0EEEvSF_, .Lfunc_end639-_ZN7rocprim17ROCPRIM_400000_NS6detail17trampoline_kernelINS0_13kernel_configILj256ELj4ELj4294967295EEENS1_37radix_sort_block_sort_config_selectorIsNS0_10empty_typeEEEZNS1_21radix_sort_block_sortIS4_Lb0EPKsPsPS6_SC_NS0_19identity_decomposerEEE10hipError_tT1_T2_T3_T4_jRjT5_jjP12ihipStream_tbEUlT_E_NS1_11comp_targetILNS1_3genE5ELNS1_11target_archE942ELNS1_3gpuE9ELNS1_3repE0EEENS1_44radix_sort_block_sort_config_static_selectorELNS0_4arch9wavefront6targetE0EEEvSF_
                                        ; -- End function
	.set _ZN7rocprim17ROCPRIM_400000_NS6detail17trampoline_kernelINS0_13kernel_configILj256ELj4ELj4294967295EEENS1_37radix_sort_block_sort_config_selectorIsNS0_10empty_typeEEEZNS1_21radix_sort_block_sortIS4_Lb0EPKsPsPS6_SC_NS0_19identity_decomposerEEE10hipError_tT1_T2_T3_T4_jRjT5_jjP12ihipStream_tbEUlT_E_NS1_11comp_targetILNS1_3genE5ELNS1_11target_archE942ELNS1_3gpuE9ELNS1_3repE0EEENS1_44radix_sort_block_sort_config_static_selectorELNS0_4arch9wavefront6targetE0EEEvSF_.num_vgpr, 0
	.set _ZN7rocprim17ROCPRIM_400000_NS6detail17trampoline_kernelINS0_13kernel_configILj256ELj4ELj4294967295EEENS1_37radix_sort_block_sort_config_selectorIsNS0_10empty_typeEEEZNS1_21radix_sort_block_sortIS4_Lb0EPKsPsPS6_SC_NS0_19identity_decomposerEEE10hipError_tT1_T2_T3_T4_jRjT5_jjP12ihipStream_tbEUlT_E_NS1_11comp_targetILNS1_3genE5ELNS1_11target_archE942ELNS1_3gpuE9ELNS1_3repE0EEENS1_44radix_sort_block_sort_config_static_selectorELNS0_4arch9wavefront6targetE0EEEvSF_.num_agpr, 0
	.set _ZN7rocprim17ROCPRIM_400000_NS6detail17trampoline_kernelINS0_13kernel_configILj256ELj4ELj4294967295EEENS1_37radix_sort_block_sort_config_selectorIsNS0_10empty_typeEEEZNS1_21radix_sort_block_sortIS4_Lb0EPKsPsPS6_SC_NS0_19identity_decomposerEEE10hipError_tT1_T2_T3_T4_jRjT5_jjP12ihipStream_tbEUlT_E_NS1_11comp_targetILNS1_3genE5ELNS1_11target_archE942ELNS1_3gpuE9ELNS1_3repE0EEENS1_44radix_sort_block_sort_config_static_selectorELNS0_4arch9wavefront6targetE0EEEvSF_.numbered_sgpr, 0
	.set _ZN7rocprim17ROCPRIM_400000_NS6detail17trampoline_kernelINS0_13kernel_configILj256ELj4ELj4294967295EEENS1_37radix_sort_block_sort_config_selectorIsNS0_10empty_typeEEEZNS1_21radix_sort_block_sortIS4_Lb0EPKsPsPS6_SC_NS0_19identity_decomposerEEE10hipError_tT1_T2_T3_T4_jRjT5_jjP12ihipStream_tbEUlT_E_NS1_11comp_targetILNS1_3genE5ELNS1_11target_archE942ELNS1_3gpuE9ELNS1_3repE0EEENS1_44radix_sort_block_sort_config_static_selectorELNS0_4arch9wavefront6targetE0EEEvSF_.num_named_barrier, 0
	.set _ZN7rocprim17ROCPRIM_400000_NS6detail17trampoline_kernelINS0_13kernel_configILj256ELj4ELj4294967295EEENS1_37radix_sort_block_sort_config_selectorIsNS0_10empty_typeEEEZNS1_21radix_sort_block_sortIS4_Lb0EPKsPsPS6_SC_NS0_19identity_decomposerEEE10hipError_tT1_T2_T3_T4_jRjT5_jjP12ihipStream_tbEUlT_E_NS1_11comp_targetILNS1_3genE5ELNS1_11target_archE942ELNS1_3gpuE9ELNS1_3repE0EEENS1_44radix_sort_block_sort_config_static_selectorELNS0_4arch9wavefront6targetE0EEEvSF_.private_seg_size, 0
	.set _ZN7rocprim17ROCPRIM_400000_NS6detail17trampoline_kernelINS0_13kernel_configILj256ELj4ELj4294967295EEENS1_37radix_sort_block_sort_config_selectorIsNS0_10empty_typeEEEZNS1_21radix_sort_block_sortIS4_Lb0EPKsPsPS6_SC_NS0_19identity_decomposerEEE10hipError_tT1_T2_T3_T4_jRjT5_jjP12ihipStream_tbEUlT_E_NS1_11comp_targetILNS1_3genE5ELNS1_11target_archE942ELNS1_3gpuE9ELNS1_3repE0EEENS1_44radix_sort_block_sort_config_static_selectorELNS0_4arch9wavefront6targetE0EEEvSF_.uses_vcc, 0
	.set _ZN7rocprim17ROCPRIM_400000_NS6detail17trampoline_kernelINS0_13kernel_configILj256ELj4ELj4294967295EEENS1_37radix_sort_block_sort_config_selectorIsNS0_10empty_typeEEEZNS1_21radix_sort_block_sortIS4_Lb0EPKsPsPS6_SC_NS0_19identity_decomposerEEE10hipError_tT1_T2_T3_T4_jRjT5_jjP12ihipStream_tbEUlT_E_NS1_11comp_targetILNS1_3genE5ELNS1_11target_archE942ELNS1_3gpuE9ELNS1_3repE0EEENS1_44radix_sort_block_sort_config_static_selectorELNS0_4arch9wavefront6targetE0EEEvSF_.uses_flat_scratch, 0
	.set _ZN7rocprim17ROCPRIM_400000_NS6detail17trampoline_kernelINS0_13kernel_configILj256ELj4ELj4294967295EEENS1_37radix_sort_block_sort_config_selectorIsNS0_10empty_typeEEEZNS1_21radix_sort_block_sortIS4_Lb0EPKsPsPS6_SC_NS0_19identity_decomposerEEE10hipError_tT1_T2_T3_T4_jRjT5_jjP12ihipStream_tbEUlT_E_NS1_11comp_targetILNS1_3genE5ELNS1_11target_archE942ELNS1_3gpuE9ELNS1_3repE0EEENS1_44radix_sort_block_sort_config_static_selectorELNS0_4arch9wavefront6targetE0EEEvSF_.has_dyn_sized_stack, 0
	.set _ZN7rocprim17ROCPRIM_400000_NS6detail17trampoline_kernelINS0_13kernel_configILj256ELj4ELj4294967295EEENS1_37radix_sort_block_sort_config_selectorIsNS0_10empty_typeEEEZNS1_21radix_sort_block_sortIS4_Lb0EPKsPsPS6_SC_NS0_19identity_decomposerEEE10hipError_tT1_T2_T3_T4_jRjT5_jjP12ihipStream_tbEUlT_E_NS1_11comp_targetILNS1_3genE5ELNS1_11target_archE942ELNS1_3gpuE9ELNS1_3repE0EEENS1_44radix_sort_block_sort_config_static_selectorELNS0_4arch9wavefront6targetE0EEEvSF_.has_recursion, 0
	.set _ZN7rocprim17ROCPRIM_400000_NS6detail17trampoline_kernelINS0_13kernel_configILj256ELj4ELj4294967295EEENS1_37radix_sort_block_sort_config_selectorIsNS0_10empty_typeEEEZNS1_21radix_sort_block_sortIS4_Lb0EPKsPsPS6_SC_NS0_19identity_decomposerEEE10hipError_tT1_T2_T3_T4_jRjT5_jjP12ihipStream_tbEUlT_E_NS1_11comp_targetILNS1_3genE5ELNS1_11target_archE942ELNS1_3gpuE9ELNS1_3repE0EEENS1_44radix_sort_block_sort_config_static_selectorELNS0_4arch9wavefront6targetE0EEEvSF_.has_indirect_call, 0
	.section	.AMDGPU.csdata,"",@progbits
; Kernel info:
; codeLenInByte = 0
; TotalNumSgprs: 0
; NumVgprs: 0
; ScratchSize: 0
; MemoryBound: 0
; FloatMode: 240
; IeeeMode: 1
; LDSByteSize: 0 bytes/workgroup (compile time only)
; SGPRBlocks: 0
; VGPRBlocks: 0
; NumSGPRsForWavesPerEU: 1
; NumVGPRsForWavesPerEU: 1
; NamedBarCnt: 0
; Occupancy: 16
; WaveLimiterHint : 0
; COMPUTE_PGM_RSRC2:SCRATCH_EN: 0
; COMPUTE_PGM_RSRC2:USER_SGPR: 2
; COMPUTE_PGM_RSRC2:TRAP_HANDLER: 0
; COMPUTE_PGM_RSRC2:TGID_X_EN: 1
; COMPUTE_PGM_RSRC2:TGID_Y_EN: 0
; COMPUTE_PGM_RSRC2:TGID_Z_EN: 0
; COMPUTE_PGM_RSRC2:TIDIG_COMP_CNT: 0
	.section	.text._ZN7rocprim17ROCPRIM_400000_NS6detail17trampoline_kernelINS0_13kernel_configILj256ELj4ELj4294967295EEENS1_37radix_sort_block_sort_config_selectorIsNS0_10empty_typeEEEZNS1_21radix_sort_block_sortIS4_Lb0EPKsPsPS6_SC_NS0_19identity_decomposerEEE10hipError_tT1_T2_T3_T4_jRjT5_jjP12ihipStream_tbEUlT_E_NS1_11comp_targetILNS1_3genE4ELNS1_11target_archE910ELNS1_3gpuE8ELNS1_3repE0EEENS1_44radix_sort_block_sort_config_static_selectorELNS0_4arch9wavefront6targetE0EEEvSF_,"axG",@progbits,_ZN7rocprim17ROCPRIM_400000_NS6detail17trampoline_kernelINS0_13kernel_configILj256ELj4ELj4294967295EEENS1_37radix_sort_block_sort_config_selectorIsNS0_10empty_typeEEEZNS1_21radix_sort_block_sortIS4_Lb0EPKsPsPS6_SC_NS0_19identity_decomposerEEE10hipError_tT1_T2_T3_T4_jRjT5_jjP12ihipStream_tbEUlT_E_NS1_11comp_targetILNS1_3genE4ELNS1_11target_archE910ELNS1_3gpuE8ELNS1_3repE0EEENS1_44radix_sort_block_sort_config_static_selectorELNS0_4arch9wavefront6targetE0EEEvSF_,comdat
	.protected	_ZN7rocprim17ROCPRIM_400000_NS6detail17trampoline_kernelINS0_13kernel_configILj256ELj4ELj4294967295EEENS1_37radix_sort_block_sort_config_selectorIsNS0_10empty_typeEEEZNS1_21radix_sort_block_sortIS4_Lb0EPKsPsPS6_SC_NS0_19identity_decomposerEEE10hipError_tT1_T2_T3_T4_jRjT5_jjP12ihipStream_tbEUlT_E_NS1_11comp_targetILNS1_3genE4ELNS1_11target_archE910ELNS1_3gpuE8ELNS1_3repE0EEENS1_44radix_sort_block_sort_config_static_selectorELNS0_4arch9wavefront6targetE0EEEvSF_ ; -- Begin function _ZN7rocprim17ROCPRIM_400000_NS6detail17trampoline_kernelINS0_13kernel_configILj256ELj4ELj4294967295EEENS1_37radix_sort_block_sort_config_selectorIsNS0_10empty_typeEEEZNS1_21radix_sort_block_sortIS4_Lb0EPKsPsPS6_SC_NS0_19identity_decomposerEEE10hipError_tT1_T2_T3_T4_jRjT5_jjP12ihipStream_tbEUlT_E_NS1_11comp_targetILNS1_3genE4ELNS1_11target_archE910ELNS1_3gpuE8ELNS1_3repE0EEENS1_44radix_sort_block_sort_config_static_selectorELNS0_4arch9wavefront6targetE0EEEvSF_
	.globl	_ZN7rocprim17ROCPRIM_400000_NS6detail17trampoline_kernelINS0_13kernel_configILj256ELj4ELj4294967295EEENS1_37radix_sort_block_sort_config_selectorIsNS0_10empty_typeEEEZNS1_21radix_sort_block_sortIS4_Lb0EPKsPsPS6_SC_NS0_19identity_decomposerEEE10hipError_tT1_T2_T3_T4_jRjT5_jjP12ihipStream_tbEUlT_E_NS1_11comp_targetILNS1_3genE4ELNS1_11target_archE910ELNS1_3gpuE8ELNS1_3repE0EEENS1_44radix_sort_block_sort_config_static_selectorELNS0_4arch9wavefront6targetE0EEEvSF_
	.p2align	8
	.type	_ZN7rocprim17ROCPRIM_400000_NS6detail17trampoline_kernelINS0_13kernel_configILj256ELj4ELj4294967295EEENS1_37radix_sort_block_sort_config_selectorIsNS0_10empty_typeEEEZNS1_21radix_sort_block_sortIS4_Lb0EPKsPsPS6_SC_NS0_19identity_decomposerEEE10hipError_tT1_T2_T3_T4_jRjT5_jjP12ihipStream_tbEUlT_E_NS1_11comp_targetILNS1_3genE4ELNS1_11target_archE910ELNS1_3gpuE8ELNS1_3repE0EEENS1_44radix_sort_block_sort_config_static_selectorELNS0_4arch9wavefront6targetE0EEEvSF_,@function
_ZN7rocprim17ROCPRIM_400000_NS6detail17trampoline_kernelINS0_13kernel_configILj256ELj4ELj4294967295EEENS1_37radix_sort_block_sort_config_selectorIsNS0_10empty_typeEEEZNS1_21radix_sort_block_sortIS4_Lb0EPKsPsPS6_SC_NS0_19identity_decomposerEEE10hipError_tT1_T2_T3_T4_jRjT5_jjP12ihipStream_tbEUlT_E_NS1_11comp_targetILNS1_3genE4ELNS1_11target_archE910ELNS1_3gpuE8ELNS1_3repE0EEENS1_44radix_sort_block_sort_config_static_selectorELNS0_4arch9wavefront6targetE0EEEvSF_: ; @_ZN7rocprim17ROCPRIM_400000_NS6detail17trampoline_kernelINS0_13kernel_configILj256ELj4ELj4294967295EEENS1_37radix_sort_block_sort_config_selectorIsNS0_10empty_typeEEEZNS1_21radix_sort_block_sortIS4_Lb0EPKsPsPS6_SC_NS0_19identity_decomposerEEE10hipError_tT1_T2_T3_T4_jRjT5_jjP12ihipStream_tbEUlT_E_NS1_11comp_targetILNS1_3genE4ELNS1_11target_archE910ELNS1_3gpuE8ELNS1_3repE0EEENS1_44radix_sort_block_sort_config_static_selectorELNS0_4arch9wavefront6targetE0EEEvSF_
; %bb.0:
	.section	.rodata,"a",@progbits
	.p2align	6, 0x0
	.amdhsa_kernel _ZN7rocprim17ROCPRIM_400000_NS6detail17trampoline_kernelINS0_13kernel_configILj256ELj4ELj4294967295EEENS1_37radix_sort_block_sort_config_selectorIsNS0_10empty_typeEEEZNS1_21radix_sort_block_sortIS4_Lb0EPKsPsPS6_SC_NS0_19identity_decomposerEEE10hipError_tT1_T2_T3_T4_jRjT5_jjP12ihipStream_tbEUlT_E_NS1_11comp_targetILNS1_3genE4ELNS1_11target_archE910ELNS1_3gpuE8ELNS1_3repE0EEENS1_44radix_sort_block_sort_config_static_selectorELNS0_4arch9wavefront6targetE0EEEvSF_
		.amdhsa_group_segment_fixed_size 0
		.amdhsa_private_segment_fixed_size 0
		.amdhsa_kernarg_size 48
		.amdhsa_user_sgpr_count 2
		.amdhsa_user_sgpr_dispatch_ptr 0
		.amdhsa_user_sgpr_queue_ptr 0
		.amdhsa_user_sgpr_kernarg_segment_ptr 1
		.amdhsa_user_sgpr_dispatch_id 0
		.amdhsa_user_sgpr_kernarg_preload_length 0
		.amdhsa_user_sgpr_kernarg_preload_offset 0
		.amdhsa_user_sgpr_private_segment_size 0
		.amdhsa_wavefront_size32 1
		.amdhsa_uses_dynamic_stack 0
		.amdhsa_enable_private_segment 0
		.amdhsa_system_sgpr_workgroup_id_x 1
		.amdhsa_system_sgpr_workgroup_id_y 0
		.amdhsa_system_sgpr_workgroup_id_z 0
		.amdhsa_system_sgpr_workgroup_info 0
		.amdhsa_system_vgpr_workitem_id 0
		.amdhsa_next_free_vgpr 1
		.amdhsa_next_free_sgpr 1
		.amdhsa_named_barrier_count 0
		.amdhsa_reserve_vcc 0
		.amdhsa_float_round_mode_32 0
		.amdhsa_float_round_mode_16_64 0
		.amdhsa_float_denorm_mode_32 3
		.amdhsa_float_denorm_mode_16_64 3
		.amdhsa_fp16_overflow 0
		.amdhsa_memory_ordered 1
		.amdhsa_forward_progress 1
		.amdhsa_inst_pref_size 0
		.amdhsa_round_robin_scheduling 0
		.amdhsa_exception_fp_ieee_invalid_op 0
		.amdhsa_exception_fp_denorm_src 0
		.amdhsa_exception_fp_ieee_div_zero 0
		.amdhsa_exception_fp_ieee_overflow 0
		.amdhsa_exception_fp_ieee_underflow 0
		.amdhsa_exception_fp_ieee_inexact 0
		.amdhsa_exception_int_div_zero 0
	.end_amdhsa_kernel
	.section	.text._ZN7rocprim17ROCPRIM_400000_NS6detail17trampoline_kernelINS0_13kernel_configILj256ELj4ELj4294967295EEENS1_37radix_sort_block_sort_config_selectorIsNS0_10empty_typeEEEZNS1_21radix_sort_block_sortIS4_Lb0EPKsPsPS6_SC_NS0_19identity_decomposerEEE10hipError_tT1_T2_T3_T4_jRjT5_jjP12ihipStream_tbEUlT_E_NS1_11comp_targetILNS1_3genE4ELNS1_11target_archE910ELNS1_3gpuE8ELNS1_3repE0EEENS1_44radix_sort_block_sort_config_static_selectorELNS0_4arch9wavefront6targetE0EEEvSF_,"axG",@progbits,_ZN7rocprim17ROCPRIM_400000_NS6detail17trampoline_kernelINS0_13kernel_configILj256ELj4ELj4294967295EEENS1_37radix_sort_block_sort_config_selectorIsNS0_10empty_typeEEEZNS1_21radix_sort_block_sortIS4_Lb0EPKsPsPS6_SC_NS0_19identity_decomposerEEE10hipError_tT1_T2_T3_T4_jRjT5_jjP12ihipStream_tbEUlT_E_NS1_11comp_targetILNS1_3genE4ELNS1_11target_archE910ELNS1_3gpuE8ELNS1_3repE0EEENS1_44radix_sort_block_sort_config_static_selectorELNS0_4arch9wavefront6targetE0EEEvSF_,comdat
.Lfunc_end640:
	.size	_ZN7rocprim17ROCPRIM_400000_NS6detail17trampoline_kernelINS0_13kernel_configILj256ELj4ELj4294967295EEENS1_37radix_sort_block_sort_config_selectorIsNS0_10empty_typeEEEZNS1_21radix_sort_block_sortIS4_Lb0EPKsPsPS6_SC_NS0_19identity_decomposerEEE10hipError_tT1_T2_T3_T4_jRjT5_jjP12ihipStream_tbEUlT_E_NS1_11comp_targetILNS1_3genE4ELNS1_11target_archE910ELNS1_3gpuE8ELNS1_3repE0EEENS1_44radix_sort_block_sort_config_static_selectorELNS0_4arch9wavefront6targetE0EEEvSF_, .Lfunc_end640-_ZN7rocprim17ROCPRIM_400000_NS6detail17trampoline_kernelINS0_13kernel_configILj256ELj4ELj4294967295EEENS1_37radix_sort_block_sort_config_selectorIsNS0_10empty_typeEEEZNS1_21radix_sort_block_sortIS4_Lb0EPKsPsPS6_SC_NS0_19identity_decomposerEEE10hipError_tT1_T2_T3_T4_jRjT5_jjP12ihipStream_tbEUlT_E_NS1_11comp_targetILNS1_3genE4ELNS1_11target_archE910ELNS1_3gpuE8ELNS1_3repE0EEENS1_44radix_sort_block_sort_config_static_selectorELNS0_4arch9wavefront6targetE0EEEvSF_
                                        ; -- End function
	.set _ZN7rocprim17ROCPRIM_400000_NS6detail17trampoline_kernelINS0_13kernel_configILj256ELj4ELj4294967295EEENS1_37radix_sort_block_sort_config_selectorIsNS0_10empty_typeEEEZNS1_21radix_sort_block_sortIS4_Lb0EPKsPsPS6_SC_NS0_19identity_decomposerEEE10hipError_tT1_T2_T3_T4_jRjT5_jjP12ihipStream_tbEUlT_E_NS1_11comp_targetILNS1_3genE4ELNS1_11target_archE910ELNS1_3gpuE8ELNS1_3repE0EEENS1_44radix_sort_block_sort_config_static_selectorELNS0_4arch9wavefront6targetE0EEEvSF_.num_vgpr, 0
	.set _ZN7rocprim17ROCPRIM_400000_NS6detail17trampoline_kernelINS0_13kernel_configILj256ELj4ELj4294967295EEENS1_37radix_sort_block_sort_config_selectorIsNS0_10empty_typeEEEZNS1_21radix_sort_block_sortIS4_Lb0EPKsPsPS6_SC_NS0_19identity_decomposerEEE10hipError_tT1_T2_T3_T4_jRjT5_jjP12ihipStream_tbEUlT_E_NS1_11comp_targetILNS1_3genE4ELNS1_11target_archE910ELNS1_3gpuE8ELNS1_3repE0EEENS1_44radix_sort_block_sort_config_static_selectorELNS0_4arch9wavefront6targetE0EEEvSF_.num_agpr, 0
	.set _ZN7rocprim17ROCPRIM_400000_NS6detail17trampoline_kernelINS0_13kernel_configILj256ELj4ELj4294967295EEENS1_37radix_sort_block_sort_config_selectorIsNS0_10empty_typeEEEZNS1_21radix_sort_block_sortIS4_Lb0EPKsPsPS6_SC_NS0_19identity_decomposerEEE10hipError_tT1_T2_T3_T4_jRjT5_jjP12ihipStream_tbEUlT_E_NS1_11comp_targetILNS1_3genE4ELNS1_11target_archE910ELNS1_3gpuE8ELNS1_3repE0EEENS1_44radix_sort_block_sort_config_static_selectorELNS0_4arch9wavefront6targetE0EEEvSF_.numbered_sgpr, 0
	.set _ZN7rocprim17ROCPRIM_400000_NS6detail17trampoline_kernelINS0_13kernel_configILj256ELj4ELj4294967295EEENS1_37radix_sort_block_sort_config_selectorIsNS0_10empty_typeEEEZNS1_21radix_sort_block_sortIS4_Lb0EPKsPsPS6_SC_NS0_19identity_decomposerEEE10hipError_tT1_T2_T3_T4_jRjT5_jjP12ihipStream_tbEUlT_E_NS1_11comp_targetILNS1_3genE4ELNS1_11target_archE910ELNS1_3gpuE8ELNS1_3repE0EEENS1_44radix_sort_block_sort_config_static_selectorELNS0_4arch9wavefront6targetE0EEEvSF_.num_named_barrier, 0
	.set _ZN7rocprim17ROCPRIM_400000_NS6detail17trampoline_kernelINS0_13kernel_configILj256ELj4ELj4294967295EEENS1_37radix_sort_block_sort_config_selectorIsNS0_10empty_typeEEEZNS1_21radix_sort_block_sortIS4_Lb0EPKsPsPS6_SC_NS0_19identity_decomposerEEE10hipError_tT1_T2_T3_T4_jRjT5_jjP12ihipStream_tbEUlT_E_NS1_11comp_targetILNS1_3genE4ELNS1_11target_archE910ELNS1_3gpuE8ELNS1_3repE0EEENS1_44radix_sort_block_sort_config_static_selectorELNS0_4arch9wavefront6targetE0EEEvSF_.private_seg_size, 0
	.set _ZN7rocprim17ROCPRIM_400000_NS6detail17trampoline_kernelINS0_13kernel_configILj256ELj4ELj4294967295EEENS1_37radix_sort_block_sort_config_selectorIsNS0_10empty_typeEEEZNS1_21radix_sort_block_sortIS4_Lb0EPKsPsPS6_SC_NS0_19identity_decomposerEEE10hipError_tT1_T2_T3_T4_jRjT5_jjP12ihipStream_tbEUlT_E_NS1_11comp_targetILNS1_3genE4ELNS1_11target_archE910ELNS1_3gpuE8ELNS1_3repE0EEENS1_44radix_sort_block_sort_config_static_selectorELNS0_4arch9wavefront6targetE0EEEvSF_.uses_vcc, 0
	.set _ZN7rocprim17ROCPRIM_400000_NS6detail17trampoline_kernelINS0_13kernel_configILj256ELj4ELj4294967295EEENS1_37radix_sort_block_sort_config_selectorIsNS0_10empty_typeEEEZNS1_21radix_sort_block_sortIS4_Lb0EPKsPsPS6_SC_NS0_19identity_decomposerEEE10hipError_tT1_T2_T3_T4_jRjT5_jjP12ihipStream_tbEUlT_E_NS1_11comp_targetILNS1_3genE4ELNS1_11target_archE910ELNS1_3gpuE8ELNS1_3repE0EEENS1_44radix_sort_block_sort_config_static_selectorELNS0_4arch9wavefront6targetE0EEEvSF_.uses_flat_scratch, 0
	.set _ZN7rocprim17ROCPRIM_400000_NS6detail17trampoline_kernelINS0_13kernel_configILj256ELj4ELj4294967295EEENS1_37radix_sort_block_sort_config_selectorIsNS0_10empty_typeEEEZNS1_21radix_sort_block_sortIS4_Lb0EPKsPsPS6_SC_NS0_19identity_decomposerEEE10hipError_tT1_T2_T3_T4_jRjT5_jjP12ihipStream_tbEUlT_E_NS1_11comp_targetILNS1_3genE4ELNS1_11target_archE910ELNS1_3gpuE8ELNS1_3repE0EEENS1_44radix_sort_block_sort_config_static_selectorELNS0_4arch9wavefront6targetE0EEEvSF_.has_dyn_sized_stack, 0
	.set _ZN7rocprim17ROCPRIM_400000_NS6detail17trampoline_kernelINS0_13kernel_configILj256ELj4ELj4294967295EEENS1_37radix_sort_block_sort_config_selectorIsNS0_10empty_typeEEEZNS1_21radix_sort_block_sortIS4_Lb0EPKsPsPS6_SC_NS0_19identity_decomposerEEE10hipError_tT1_T2_T3_T4_jRjT5_jjP12ihipStream_tbEUlT_E_NS1_11comp_targetILNS1_3genE4ELNS1_11target_archE910ELNS1_3gpuE8ELNS1_3repE0EEENS1_44radix_sort_block_sort_config_static_selectorELNS0_4arch9wavefront6targetE0EEEvSF_.has_recursion, 0
	.set _ZN7rocprim17ROCPRIM_400000_NS6detail17trampoline_kernelINS0_13kernel_configILj256ELj4ELj4294967295EEENS1_37radix_sort_block_sort_config_selectorIsNS0_10empty_typeEEEZNS1_21radix_sort_block_sortIS4_Lb0EPKsPsPS6_SC_NS0_19identity_decomposerEEE10hipError_tT1_T2_T3_T4_jRjT5_jjP12ihipStream_tbEUlT_E_NS1_11comp_targetILNS1_3genE4ELNS1_11target_archE910ELNS1_3gpuE8ELNS1_3repE0EEENS1_44radix_sort_block_sort_config_static_selectorELNS0_4arch9wavefront6targetE0EEEvSF_.has_indirect_call, 0
	.section	.AMDGPU.csdata,"",@progbits
; Kernel info:
; codeLenInByte = 0
; TotalNumSgprs: 0
; NumVgprs: 0
; ScratchSize: 0
; MemoryBound: 0
; FloatMode: 240
; IeeeMode: 1
; LDSByteSize: 0 bytes/workgroup (compile time only)
; SGPRBlocks: 0
; VGPRBlocks: 0
; NumSGPRsForWavesPerEU: 1
; NumVGPRsForWavesPerEU: 1
; NamedBarCnt: 0
; Occupancy: 16
; WaveLimiterHint : 0
; COMPUTE_PGM_RSRC2:SCRATCH_EN: 0
; COMPUTE_PGM_RSRC2:USER_SGPR: 2
; COMPUTE_PGM_RSRC2:TRAP_HANDLER: 0
; COMPUTE_PGM_RSRC2:TGID_X_EN: 1
; COMPUTE_PGM_RSRC2:TGID_Y_EN: 0
; COMPUTE_PGM_RSRC2:TGID_Z_EN: 0
; COMPUTE_PGM_RSRC2:TIDIG_COMP_CNT: 0
	.section	.text._ZN7rocprim17ROCPRIM_400000_NS6detail17trampoline_kernelINS0_13kernel_configILj256ELj4ELj4294967295EEENS1_37radix_sort_block_sort_config_selectorIsNS0_10empty_typeEEEZNS1_21radix_sort_block_sortIS4_Lb0EPKsPsPS6_SC_NS0_19identity_decomposerEEE10hipError_tT1_T2_T3_T4_jRjT5_jjP12ihipStream_tbEUlT_E_NS1_11comp_targetILNS1_3genE3ELNS1_11target_archE908ELNS1_3gpuE7ELNS1_3repE0EEENS1_44radix_sort_block_sort_config_static_selectorELNS0_4arch9wavefront6targetE0EEEvSF_,"axG",@progbits,_ZN7rocprim17ROCPRIM_400000_NS6detail17trampoline_kernelINS0_13kernel_configILj256ELj4ELj4294967295EEENS1_37radix_sort_block_sort_config_selectorIsNS0_10empty_typeEEEZNS1_21radix_sort_block_sortIS4_Lb0EPKsPsPS6_SC_NS0_19identity_decomposerEEE10hipError_tT1_T2_T3_T4_jRjT5_jjP12ihipStream_tbEUlT_E_NS1_11comp_targetILNS1_3genE3ELNS1_11target_archE908ELNS1_3gpuE7ELNS1_3repE0EEENS1_44radix_sort_block_sort_config_static_selectorELNS0_4arch9wavefront6targetE0EEEvSF_,comdat
	.protected	_ZN7rocprim17ROCPRIM_400000_NS6detail17trampoline_kernelINS0_13kernel_configILj256ELj4ELj4294967295EEENS1_37radix_sort_block_sort_config_selectorIsNS0_10empty_typeEEEZNS1_21radix_sort_block_sortIS4_Lb0EPKsPsPS6_SC_NS0_19identity_decomposerEEE10hipError_tT1_T2_T3_T4_jRjT5_jjP12ihipStream_tbEUlT_E_NS1_11comp_targetILNS1_3genE3ELNS1_11target_archE908ELNS1_3gpuE7ELNS1_3repE0EEENS1_44radix_sort_block_sort_config_static_selectorELNS0_4arch9wavefront6targetE0EEEvSF_ ; -- Begin function _ZN7rocprim17ROCPRIM_400000_NS6detail17trampoline_kernelINS0_13kernel_configILj256ELj4ELj4294967295EEENS1_37radix_sort_block_sort_config_selectorIsNS0_10empty_typeEEEZNS1_21radix_sort_block_sortIS4_Lb0EPKsPsPS6_SC_NS0_19identity_decomposerEEE10hipError_tT1_T2_T3_T4_jRjT5_jjP12ihipStream_tbEUlT_E_NS1_11comp_targetILNS1_3genE3ELNS1_11target_archE908ELNS1_3gpuE7ELNS1_3repE0EEENS1_44radix_sort_block_sort_config_static_selectorELNS0_4arch9wavefront6targetE0EEEvSF_
	.globl	_ZN7rocprim17ROCPRIM_400000_NS6detail17trampoline_kernelINS0_13kernel_configILj256ELj4ELj4294967295EEENS1_37radix_sort_block_sort_config_selectorIsNS0_10empty_typeEEEZNS1_21radix_sort_block_sortIS4_Lb0EPKsPsPS6_SC_NS0_19identity_decomposerEEE10hipError_tT1_T2_T3_T4_jRjT5_jjP12ihipStream_tbEUlT_E_NS1_11comp_targetILNS1_3genE3ELNS1_11target_archE908ELNS1_3gpuE7ELNS1_3repE0EEENS1_44radix_sort_block_sort_config_static_selectorELNS0_4arch9wavefront6targetE0EEEvSF_
	.p2align	8
	.type	_ZN7rocprim17ROCPRIM_400000_NS6detail17trampoline_kernelINS0_13kernel_configILj256ELj4ELj4294967295EEENS1_37radix_sort_block_sort_config_selectorIsNS0_10empty_typeEEEZNS1_21radix_sort_block_sortIS4_Lb0EPKsPsPS6_SC_NS0_19identity_decomposerEEE10hipError_tT1_T2_T3_T4_jRjT5_jjP12ihipStream_tbEUlT_E_NS1_11comp_targetILNS1_3genE3ELNS1_11target_archE908ELNS1_3gpuE7ELNS1_3repE0EEENS1_44radix_sort_block_sort_config_static_selectorELNS0_4arch9wavefront6targetE0EEEvSF_,@function
_ZN7rocprim17ROCPRIM_400000_NS6detail17trampoline_kernelINS0_13kernel_configILj256ELj4ELj4294967295EEENS1_37radix_sort_block_sort_config_selectorIsNS0_10empty_typeEEEZNS1_21radix_sort_block_sortIS4_Lb0EPKsPsPS6_SC_NS0_19identity_decomposerEEE10hipError_tT1_T2_T3_T4_jRjT5_jjP12ihipStream_tbEUlT_E_NS1_11comp_targetILNS1_3genE3ELNS1_11target_archE908ELNS1_3gpuE7ELNS1_3repE0EEENS1_44radix_sort_block_sort_config_static_selectorELNS0_4arch9wavefront6targetE0EEEvSF_: ; @_ZN7rocprim17ROCPRIM_400000_NS6detail17trampoline_kernelINS0_13kernel_configILj256ELj4ELj4294967295EEENS1_37radix_sort_block_sort_config_selectorIsNS0_10empty_typeEEEZNS1_21radix_sort_block_sortIS4_Lb0EPKsPsPS6_SC_NS0_19identity_decomposerEEE10hipError_tT1_T2_T3_T4_jRjT5_jjP12ihipStream_tbEUlT_E_NS1_11comp_targetILNS1_3genE3ELNS1_11target_archE908ELNS1_3gpuE7ELNS1_3repE0EEENS1_44radix_sort_block_sort_config_static_selectorELNS0_4arch9wavefront6targetE0EEEvSF_
; %bb.0:
	.section	.rodata,"a",@progbits
	.p2align	6, 0x0
	.amdhsa_kernel _ZN7rocprim17ROCPRIM_400000_NS6detail17trampoline_kernelINS0_13kernel_configILj256ELj4ELj4294967295EEENS1_37radix_sort_block_sort_config_selectorIsNS0_10empty_typeEEEZNS1_21radix_sort_block_sortIS4_Lb0EPKsPsPS6_SC_NS0_19identity_decomposerEEE10hipError_tT1_T2_T3_T4_jRjT5_jjP12ihipStream_tbEUlT_E_NS1_11comp_targetILNS1_3genE3ELNS1_11target_archE908ELNS1_3gpuE7ELNS1_3repE0EEENS1_44radix_sort_block_sort_config_static_selectorELNS0_4arch9wavefront6targetE0EEEvSF_
		.amdhsa_group_segment_fixed_size 0
		.amdhsa_private_segment_fixed_size 0
		.amdhsa_kernarg_size 48
		.amdhsa_user_sgpr_count 2
		.amdhsa_user_sgpr_dispatch_ptr 0
		.amdhsa_user_sgpr_queue_ptr 0
		.amdhsa_user_sgpr_kernarg_segment_ptr 1
		.amdhsa_user_sgpr_dispatch_id 0
		.amdhsa_user_sgpr_kernarg_preload_length 0
		.amdhsa_user_sgpr_kernarg_preload_offset 0
		.amdhsa_user_sgpr_private_segment_size 0
		.amdhsa_wavefront_size32 1
		.amdhsa_uses_dynamic_stack 0
		.amdhsa_enable_private_segment 0
		.amdhsa_system_sgpr_workgroup_id_x 1
		.amdhsa_system_sgpr_workgroup_id_y 0
		.amdhsa_system_sgpr_workgroup_id_z 0
		.amdhsa_system_sgpr_workgroup_info 0
		.amdhsa_system_vgpr_workitem_id 0
		.amdhsa_next_free_vgpr 1
		.amdhsa_next_free_sgpr 1
		.amdhsa_named_barrier_count 0
		.amdhsa_reserve_vcc 0
		.amdhsa_float_round_mode_32 0
		.amdhsa_float_round_mode_16_64 0
		.amdhsa_float_denorm_mode_32 3
		.amdhsa_float_denorm_mode_16_64 3
		.amdhsa_fp16_overflow 0
		.amdhsa_memory_ordered 1
		.amdhsa_forward_progress 1
		.amdhsa_inst_pref_size 0
		.amdhsa_round_robin_scheduling 0
		.amdhsa_exception_fp_ieee_invalid_op 0
		.amdhsa_exception_fp_denorm_src 0
		.amdhsa_exception_fp_ieee_div_zero 0
		.amdhsa_exception_fp_ieee_overflow 0
		.amdhsa_exception_fp_ieee_underflow 0
		.amdhsa_exception_fp_ieee_inexact 0
		.amdhsa_exception_int_div_zero 0
	.end_amdhsa_kernel
	.section	.text._ZN7rocprim17ROCPRIM_400000_NS6detail17trampoline_kernelINS0_13kernel_configILj256ELj4ELj4294967295EEENS1_37radix_sort_block_sort_config_selectorIsNS0_10empty_typeEEEZNS1_21radix_sort_block_sortIS4_Lb0EPKsPsPS6_SC_NS0_19identity_decomposerEEE10hipError_tT1_T2_T3_T4_jRjT5_jjP12ihipStream_tbEUlT_E_NS1_11comp_targetILNS1_3genE3ELNS1_11target_archE908ELNS1_3gpuE7ELNS1_3repE0EEENS1_44radix_sort_block_sort_config_static_selectorELNS0_4arch9wavefront6targetE0EEEvSF_,"axG",@progbits,_ZN7rocprim17ROCPRIM_400000_NS6detail17trampoline_kernelINS0_13kernel_configILj256ELj4ELj4294967295EEENS1_37radix_sort_block_sort_config_selectorIsNS0_10empty_typeEEEZNS1_21radix_sort_block_sortIS4_Lb0EPKsPsPS6_SC_NS0_19identity_decomposerEEE10hipError_tT1_T2_T3_T4_jRjT5_jjP12ihipStream_tbEUlT_E_NS1_11comp_targetILNS1_3genE3ELNS1_11target_archE908ELNS1_3gpuE7ELNS1_3repE0EEENS1_44radix_sort_block_sort_config_static_selectorELNS0_4arch9wavefront6targetE0EEEvSF_,comdat
.Lfunc_end641:
	.size	_ZN7rocprim17ROCPRIM_400000_NS6detail17trampoline_kernelINS0_13kernel_configILj256ELj4ELj4294967295EEENS1_37radix_sort_block_sort_config_selectorIsNS0_10empty_typeEEEZNS1_21radix_sort_block_sortIS4_Lb0EPKsPsPS6_SC_NS0_19identity_decomposerEEE10hipError_tT1_T2_T3_T4_jRjT5_jjP12ihipStream_tbEUlT_E_NS1_11comp_targetILNS1_3genE3ELNS1_11target_archE908ELNS1_3gpuE7ELNS1_3repE0EEENS1_44radix_sort_block_sort_config_static_selectorELNS0_4arch9wavefront6targetE0EEEvSF_, .Lfunc_end641-_ZN7rocprim17ROCPRIM_400000_NS6detail17trampoline_kernelINS0_13kernel_configILj256ELj4ELj4294967295EEENS1_37radix_sort_block_sort_config_selectorIsNS0_10empty_typeEEEZNS1_21radix_sort_block_sortIS4_Lb0EPKsPsPS6_SC_NS0_19identity_decomposerEEE10hipError_tT1_T2_T3_T4_jRjT5_jjP12ihipStream_tbEUlT_E_NS1_11comp_targetILNS1_3genE3ELNS1_11target_archE908ELNS1_3gpuE7ELNS1_3repE0EEENS1_44radix_sort_block_sort_config_static_selectorELNS0_4arch9wavefront6targetE0EEEvSF_
                                        ; -- End function
	.set _ZN7rocprim17ROCPRIM_400000_NS6detail17trampoline_kernelINS0_13kernel_configILj256ELj4ELj4294967295EEENS1_37radix_sort_block_sort_config_selectorIsNS0_10empty_typeEEEZNS1_21radix_sort_block_sortIS4_Lb0EPKsPsPS6_SC_NS0_19identity_decomposerEEE10hipError_tT1_T2_T3_T4_jRjT5_jjP12ihipStream_tbEUlT_E_NS1_11comp_targetILNS1_3genE3ELNS1_11target_archE908ELNS1_3gpuE7ELNS1_3repE0EEENS1_44radix_sort_block_sort_config_static_selectorELNS0_4arch9wavefront6targetE0EEEvSF_.num_vgpr, 0
	.set _ZN7rocprim17ROCPRIM_400000_NS6detail17trampoline_kernelINS0_13kernel_configILj256ELj4ELj4294967295EEENS1_37radix_sort_block_sort_config_selectorIsNS0_10empty_typeEEEZNS1_21radix_sort_block_sortIS4_Lb0EPKsPsPS6_SC_NS0_19identity_decomposerEEE10hipError_tT1_T2_T3_T4_jRjT5_jjP12ihipStream_tbEUlT_E_NS1_11comp_targetILNS1_3genE3ELNS1_11target_archE908ELNS1_3gpuE7ELNS1_3repE0EEENS1_44radix_sort_block_sort_config_static_selectorELNS0_4arch9wavefront6targetE0EEEvSF_.num_agpr, 0
	.set _ZN7rocprim17ROCPRIM_400000_NS6detail17trampoline_kernelINS0_13kernel_configILj256ELj4ELj4294967295EEENS1_37radix_sort_block_sort_config_selectorIsNS0_10empty_typeEEEZNS1_21radix_sort_block_sortIS4_Lb0EPKsPsPS6_SC_NS0_19identity_decomposerEEE10hipError_tT1_T2_T3_T4_jRjT5_jjP12ihipStream_tbEUlT_E_NS1_11comp_targetILNS1_3genE3ELNS1_11target_archE908ELNS1_3gpuE7ELNS1_3repE0EEENS1_44radix_sort_block_sort_config_static_selectorELNS0_4arch9wavefront6targetE0EEEvSF_.numbered_sgpr, 0
	.set _ZN7rocprim17ROCPRIM_400000_NS6detail17trampoline_kernelINS0_13kernel_configILj256ELj4ELj4294967295EEENS1_37radix_sort_block_sort_config_selectorIsNS0_10empty_typeEEEZNS1_21radix_sort_block_sortIS4_Lb0EPKsPsPS6_SC_NS0_19identity_decomposerEEE10hipError_tT1_T2_T3_T4_jRjT5_jjP12ihipStream_tbEUlT_E_NS1_11comp_targetILNS1_3genE3ELNS1_11target_archE908ELNS1_3gpuE7ELNS1_3repE0EEENS1_44radix_sort_block_sort_config_static_selectorELNS0_4arch9wavefront6targetE0EEEvSF_.num_named_barrier, 0
	.set _ZN7rocprim17ROCPRIM_400000_NS6detail17trampoline_kernelINS0_13kernel_configILj256ELj4ELj4294967295EEENS1_37radix_sort_block_sort_config_selectorIsNS0_10empty_typeEEEZNS1_21radix_sort_block_sortIS4_Lb0EPKsPsPS6_SC_NS0_19identity_decomposerEEE10hipError_tT1_T2_T3_T4_jRjT5_jjP12ihipStream_tbEUlT_E_NS1_11comp_targetILNS1_3genE3ELNS1_11target_archE908ELNS1_3gpuE7ELNS1_3repE0EEENS1_44radix_sort_block_sort_config_static_selectorELNS0_4arch9wavefront6targetE0EEEvSF_.private_seg_size, 0
	.set _ZN7rocprim17ROCPRIM_400000_NS6detail17trampoline_kernelINS0_13kernel_configILj256ELj4ELj4294967295EEENS1_37radix_sort_block_sort_config_selectorIsNS0_10empty_typeEEEZNS1_21radix_sort_block_sortIS4_Lb0EPKsPsPS6_SC_NS0_19identity_decomposerEEE10hipError_tT1_T2_T3_T4_jRjT5_jjP12ihipStream_tbEUlT_E_NS1_11comp_targetILNS1_3genE3ELNS1_11target_archE908ELNS1_3gpuE7ELNS1_3repE0EEENS1_44radix_sort_block_sort_config_static_selectorELNS0_4arch9wavefront6targetE0EEEvSF_.uses_vcc, 0
	.set _ZN7rocprim17ROCPRIM_400000_NS6detail17trampoline_kernelINS0_13kernel_configILj256ELj4ELj4294967295EEENS1_37radix_sort_block_sort_config_selectorIsNS0_10empty_typeEEEZNS1_21radix_sort_block_sortIS4_Lb0EPKsPsPS6_SC_NS0_19identity_decomposerEEE10hipError_tT1_T2_T3_T4_jRjT5_jjP12ihipStream_tbEUlT_E_NS1_11comp_targetILNS1_3genE3ELNS1_11target_archE908ELNS1_3gpuE7ELNS1_3repE0EEENS1_44radix_sort_block_sort_config_static_selectorELNS0_4arch9wavefront6targetE0EEEvSF_.uses_flat_scratch, 0
	.set _ZN7rocprim17ROCPRIM_400000_NS6detail17trampoline_kernelINS0_13kernel_configILj256ELj4ELj4294967295EEENS1_37radix_sort_block_sort_config_selectorIsNS0_10empty_typeEEEZNS1_21radix_sort_block_sortIS4_Lb0EPKsPsPS6_SC_NS0_19identity_decomposerEEE10hipError_tT1_T2_T3_T4_jRjT5_jjP12ihipStream_tbEUlT_E_NS1_11comp_targetILNS1_3genE3ELNS1_11target_archE908ELNS1_3gpuE7ELNS1_3repE0EEENS1_44radix_sort_block_sort_config_static_selectorELNS0_4arch9wavefront6targetE0EEEvSF_.has_dyn_sized_stack, 0
	.set _ZN7rocprim17ROCPRIM_400000_NS6detail17trampoline_kernelINS0_13kernel_configILj256ELj4ELj4294967295EEENS1_37radix_sort_block_sort_config_selectorIsNS0_10empty_typeEEEZNS1_21radix_sort_block_sortIS4_Lb0EPKsPsPS6_SC_NS0_19identity_decomposerEEE10hipError_tT1_T2_T3_T4_jRjT5_jjP12ihipStream_tbEUlT_E_NS1_11comp_targetILNS1_3genE3ELNS1_11target_archE908ELNS1_3gpuE7ELNS1_3repE0EEENS1_44radix_sort_block_sort_config_static_selectorELNS0_4arch9wavefront6targetE0EEEvSF_.has_recursion, 0
	.set _ZN7rocprim17ROCPRIM_400000_NS6detail17trampoline_kernelINS0_13kernel_configILj256ELj4ELj4294967295EEENS1_37radix_sort_block_sort_config_selectorIsNS0_10empty_typeEEEZNS1_21radix_sort_block_sortIS4_Lb0EPKsPsPS6_SC_NS0_19identity_decomposerEEE10hipError_tT1_T2_T3_T4_jRjT5_jjP12ihipStream_tbEUlT_E_NS1_11comp_targetILNS1_3genE3ELNS1_11target_archE908ELNS1_3gpuE7ELNS1_3repE0EEENS1_44radix_sort_block_sort_config_static_selectorELNS0_4arch9wavefront6targetE0EEEvSF_.has_indirect_call, 0
	.section	.AMDGPU.csdata,"",@progbits
; Kernel info:
; codeLenInByte = 0
; TotalNumSgprs: 0
; NumVgprs: 0
; ScratchSize: 0
; MemoryBound: 0
; FloatMode: 240
; IeeeMode: 1
; LDSByteSize: 0 bytes/workgroup (compile time only)
; SGPRBlocks: 0
; VGPRBlocks: 0
; NumSGPRsForWavesPerEU: 1
; NumVGPRsForWavesPerEU: 1
; NamedBarCnt: 0
; Occupancy: 16
; WaveLimiterHint : 0
; COMPUTE_PGM_RSRC2:SCRATCH_EN: 0
; COMPUTE_PGM_RSRC2:USER_SGPR: 2
; COMPUTE_PGM_RSRC2:TRAP_HANDLER: 0
; COMPUTE_PGM_RSRC2:TGID_X_EN: 1
; COMPUTE_PGM_RSRC2:TGID_Y_EN: 0
; COMPUTE_PGM_RSRC2:TGID_Z_EN: 0
; COMPUTE_PGM_RSRC2:TIDIG_COMP_CNT: 0
	.section	.text._ZN7rocprim17ROCPRIM_400000_NS6detail17trampoline_kernelINS0_13kernel_configILj256ELj4ELj4294967295EEENS1_37radix_sort_block_sort_config_selectorIsNS0_10empty_typeEEEZNS1_21radix_sort_block_sortIS4_Lb0EPKsPsPS6_SC_NS0_19identity_decomposerEEE10hipError_tT1_T2_T3_T4_jRjT5_jjP12ihipStream_tbEUlT_E_NS1_11comp_targetILNS1_3genE2ELNS1_11target_archE906ELNS1_3gpuE6ELNS1_3repE0EEENS1_44radix_sort_block_sort_config_static_selectorELNS0_4arch9wavefront6targetE0EEEvSF_,"axG",@progbits,_ZN7rocprim17ROCPRIM_400000_NS6detail17trampoline_kernelINS0_13kernel_configILj256ELj4ELj4294967295EEENS1_37radix_sort_block_sort_config_selectorIsNS0_10empty_typeEEEZNS1_21radix_sort_block_sortIS4_Lb0EPKsPsPS6_SC_NS0_19identity_decomposerEEE10hipError_tT1_T2_T3_T4_jRjT5_jjP12ihipStream_tbEUlT_E_NS1_11comp_targetILNS1_3genE2ELNS1_11target_archE906ELNS1_3gpuE6ELNS1_3repE0EEENS1_44radix_sort_block_sort_config_static_selectorELNS0_4arch9wavefront6targetE0EEEvSF_,comdat
	.protected	_ZN7rocprim17ROCPRIM_400000_NS6detail17trampoline_kernelINS0_13kernel_configILj256ELj4ELj4294967295EEENS1_37radix_sort_block_sort_config_selectorIsNS0_10empty_typeEEEZNS1_21radix_sort_block_sortIS4_Lb0EPKsPsPS6_SC_NS0_19identity_decomposerEEE10hipError_tT1_T2_T3_T4_jRjT5_jjP12ihipStream_tbEUlT_E_NS1_11comp_targetILNS1_3genE2ELNS1_11target_archE906ELNS1_3gpuE6ELNS1_3repE0EEENS1_44radix_sort_block_sort_config_static_selectorELNS0_4arch9wavefront6targetE0EEEvSF_ ; -- Begin function _ZN7rocprim17ROCPRIM_400000_NS6detail17trampoline_kernelINS0_13kernel_configILj256ELj4ELj4294967295EEENS1_37radix_sort_block_sort_config_selectorIsNS0_10empty_typeEEEZNS1_21radix_sort_block_sortIS4_Lb0EPKsPsPS6_SC_NS0_19identity_decomposerEEE10hipError_tT1_T2_T3_T4_jRjT5_jjP12ihipStream_tbEUlT_E_NS1_11comp_targetILNS1_3genE2ELNS1_11target_archE906ELNS1_3gpuE6ELNS1_3repE0EEENS1_44radix_sort_block_sort_config_static_selectorELNS0_4arch9wavefront6targetE0EEEvSF_
	.globl	_ZN7rocprim17ROCPRIM_400000_NS6detail17trampoline_kernelINS0_13kernel_configILj256ELj4ELj4294967295EEENS1_37radix_sort_block_sort_config_selectorIsNS0_10empty_typeEEEZNS1_21radix_sort_block_sortIS4_Lb0EPKsPsPS6_SC_NS0_19identity_decomposerEEE10hipError_tT1_T2_T3_T4_jRjT5_jjP12ihipStream_tbEUlT_E_NS1_11comp_targetILNS1_3genE2ELNS1_11target_archE906ELNS1_3gpuE6ELNS1_3repE0EEENS1_44radix_sort_block_sort_config_static_selectorELNS0_4arch9wavefront6targetE0EEEvSF_
	.p2align	8
	.type	_ZN7rocprim17ROCPRIM_400000_NS6detail17trampoline_kernelINS0_13kernel_configILj256ELj4ELj4294967295EEENS1_37radix_sort_block_sort_config_selectorIsNS0_10empty_typeEEEZNS1_21radix_sort_block_sortIS4_Lb0EPKsPsPS6_SC_NS0_19identity_decomposerEEE10hipError_tT1_T2_T3_T4_jRjT5_jjP12ihipStream_tbEUlT_E_NS1_11comp_targetILNS1_3genE2ELNS1_11target_archE906ELNS1_3gpuE6ELNS1_3repE0EEENS1_44radix_sort_block_sort_config_static_selectorELNS0_4arch9wavefront6targetE0EEEvSF_,@function
_ZN7rocprim17ROCPRIM_400000_NS6detail17trampoline_kernelINS0_13kernel_configILj256ELj4ELj4294967295EEENS1_37radix_sort_block_sort_config_selectorIsNS0_10empty_typeEEEZNS1_21radix_sort_block_sortIS4_Lb0EPKsPsPS6_SC_NS0_19identity_decomposerEEE10hipError_tT1_T2_T3_T4_jRjT5_jjP12ihipStream_tbEUlT_E_NS1_11comp_targetILNS1_3genE2ELNS1_11target_archE906ELNS1_3gpuE6ELNS1_3repE0EEENS1_44radix_sort_block_sort_config_static_selectorELNS0_4arch9wavefront6targetE0EEEvSF_: ; @_ZN7rocprim17ROCPRIM_400000_NS6detail17trampoline_kernelINS0_13kernel_configILj256ELj4ELj4294967295EEENS1_37radix_sort_block_sort_config_selectorIsNS0_10empty_typeEEEZNS1_21radix_sort_block_sortIS4_Lb0EPKsPsPS6_SC_NS0_19identity_decomposerEEE10hipError_tT1_T2_T3_T4_jRjT5_jjP12ihipStream_tbEUlT_E_NS1_11comp_targetILNS1_3genE2ELNS1_11target_archE906ELNS1_3gpuE6ELNS1_3repE0EEENS1_44radix_sort_block_sort_config_static_selectorELNS0_4arch9wavefront6targetE0EEEvSF_
; %bb.0:
	.section	.rodata,"a",@progbits
	.p2align	6, 0x0
	.amdhsa_kernel _ZN7rocprim17ROCPRIM_400000_NS6detail17trampoline_kernelINS0_13kernel_configILj256ELj4ELj4294967295EEENS1_37radix_sort_block_sort_config_selectorIsNS0_10empty_typeEEEZNS1_21radix_sort_block_sortIS4_Lb0EPKsPsPS6_SC_NS0_19identity_decomposerEEE10hipError_tT1_T2_T3_T4_jRjT5_jjP12ihipStream_tbEUlT_E_NS1_11comp_targetILNS1_3genE2ELNS1_11target_archE906ELNS1_3gpuE6ELNS1_3repE0EEENS1_44radix_sort_block_sort_config_static_selectorELNS0_4arch9wavefront6targetE0EEEvSF_
		.amdhsa_group_segment_fixed_size 0
		.amdhsa_private_segment_fixed_size 0
		.amdhsa_kernarg_size 48
		.amdhsa_user_sgpr_count 2
		.amdhsa_user_sgpr_dispatch_ptr 0
		.amdhsa_user_sgpr_queue_ptr 0
		.amdhsa_user_sgpr_kernarg_segment_ptr 1
		.amdhsa_user_sgpr_dispatch_id 0
		.amdhsa_user_sgpr_kernarg_preload_length 0
		.amdhsa_user_sgpr_kernarg_preload_offset 0
		.amdhsa_user_sgpr_private_segment_size 0
		.amdhsa_wavefront_size32 1
		.amdhsa_uses_dynamic_stack 0
		.amdhsa_enable_private_segment 0
		.amdhsa_system_sgpr_workgroup_id_x 1
		.amdhsa_system_sgpr_workgroup_id_y 0
		.amdhsa_system_sgpr_workgroup_id_z 0
		.amdhsa_system_sgpr_workgroup_info 0
		.amdhsa_system_vgpr_workitem_id 0
		.amdhsa_next_free_vgpr 1
		.amdhsa_next_free_sgpr 1
		.amdhsa_named_barrier_count 0
		.amdhsa_reserve_vcc 0
		.amdhsa_float_round_mode_32 0
		.amdhsa_float_round_mode_16_64 0
		.amdhsa_float_denorm_mode_32 3
		.amdhsa_float_denorm_mode_16_64 3
		.amdhsa_fp16_overflow 0
		.amdhsa_memory_ordered 1
		.amdhsa_forward_progress 1
		.amdhsa_inst_pref_size 0
		.amdhsa_round_robin_scheduling 0
		.amdhsa_exception_fp_ieee_invalid_op 0
		.amdhsa_exception_fp_denorm_src 0
		.amdhsa_exception_fp_ieee_div_zero 0
		.amdhsa_exception_fp_ieee_overflow 0
		.amdhsa_exception_fp_ieee_underflow 0
		.amdhsa_exception_fp_ieee_inexact 0
		.amdhsa_exception_int_div_zero 0
	.end_amdhsa_kernel
	.section	.text._ZN7rocprim17ROCPRIM_400000_NS6detail17trampoline_kernelINS0_13kernel_configILj256ELj4ELj4294967295EEENS1_37radix_sort_block_sort_config_selectorIsNS0_10empty_typeEEEZNS1_21radix_sort_block_sortIS4_Lb0EPKsPsPS6_SC_NS0_19identity_decomposerEEE10hipError_tT1_T2_T3_T4_jRjT5_jjP12ihipStream_tbEUlT_E_NS1_11comp_targetILNS1_3genE2ELNS1_11target_archE906ELNS1_3gpuE6ELNS1_3repE0EEENS1_44radix_sort_block_sort_config_static_selectorELNS0_4arch9wavefront6targetE0EEEvSF_,"axG",@progbits,_ZN7rocprim17ROCPRIM_400000_NS6detail17trampoline_kernelINS0_13kernel_configILj256ELj4ELj4294967295EEENS1_37radix_sort_block_sort_config_selectorIsNS0_10empty_typeEEEZNS1_21radix_sort_block_sortIS4_Lb0EPKsPsPS6_SC_NS0_19identity_decomposerEEE10hipError_tT1_T2_T3_T4_jRjT5_jjP12ihipStream_tbEUlT_E_NS1_11comp_targetILNS1_3genE2ELNS1_11target_archE906ELNS1_3gpuE6ELNS1_3repE0EEENS1_44radix_sort_block_sort_config_static_selectorELNS0_4arch9wavefront6targetE0EEEvSF_,comdat
.Lfunc_end642:
	.size	_ZN7rocprim17ROCPRIM_400000_NS6detail17trampoline_kernelINS0_13kernel_configILj256ELj4ELj4294967295EEENS1_37radix_sort_block_sort_config_selectorIsNS0_10empty_typeEEEZNS1_21radix_sort_block_sortIS4_Lb0EPKsPsPS6_SC_NS0_19identity_decomposerEEE10hipError_tT1_T2_T3_T4_jRjT5_jjP12ihipStream_tbEUlT_E_NS1_11comp_targetILNS1_3genE2ELNS1_11target_archE906ELNS1_3gpuE6ELNS1_3repE0EEENS1_44radix_sort_block_sort_config_static_selectorELNS0_4arch9wavefront6targetE0EEEvSF_, .Lfunc_end642-_ZN7rocprim17ROCPRIM_400000_NS6detail17trampoline_kernelINS0_13kernel_configILj256ELj4ELj4294967295EEENS1_37radix_sort_block_sort_config_selectorIsNS0_10empty_typeEEEZNS1_21radix_sort_block_sortIS4_Lb0EPKsPsPS6_SC_NS0_19identity_decomposerEEE10hipError_tT1_T2_T3_T4_jRjT5_jjP12ihipStream_tbEUlT_E_NS1_11comp_targetILNS1_3genE2ELNS1_11target_archE906ELNS1_3gpuE6ELNS1_3repE0EEENS1_44radix_sort_block_sort_config_static_selectorELNS0_4arch9wavefront6targetE0EEEvSF_
                                        ; -- End function
	.set _ZN7rocprim17ROCPRIM_400000_NS6detail17trampoline_kernelINS0_13kernel_configILj256ELj4ELj4294967295EEENS1_37radix_sort_block_sort_config_selectorIsNS0_10empty_typeEEEZNS1_21radix_sort_block_sortIS4_Lb0EPKsPsPS6_SC_NS0_19identity_decomposerEEE10hipError_tT1_T2_T3_T4_jRjT5_jjP12ihipStream_tbEUlT_E_NS1_11comp_targetILNS1_3genE2ELNS1_11target_archE906ELNS1_3gpuE6ELNS1_3repE0EEENS1_44radix_sort_block_sort_config_static_selectorELNS0_4arch9wavefront6targetE0EEEvSF_.num_vgpr, 0
	.set _ZN7rocprim17ROCPRIM_400000_NS6detail17trampoline_kernelINS0_13kernel_configILj256ELj4ELj4294967295EEENS1_37radix_sort_block_sort_config_selectorIsNS0_10empty_typeEEEZNS1_21radix_sort_block_sortIS4_Lb0EPKsPsPS6_SC_NS0_19identity_decomposerEEE10hipError_tT1_T2_T3_T4_jRjT5_jjP12ihipStream_tbEUlT_E_NS1_11comp_targetILNS1_3genE2ELNS1_11target_archE906ELNS1_3gpuE6ELNS1_3repE0EEENS1_44radix_sort_block_sort_config_static_selectorELNS0_4arch9wavefront6targetE0EEEvSF_.num_agpr, 0
	.set _ZN7rocprim17ROCPRIM_400000_NS6detail17trampoline_kernelINS0_13kernel_configILj256ELj4ELj4294967295EEENS1_37radix_sort_block_sort_config_selectorIsNS0_10empty_typeEEEZNS1_21radix_sort_block_sortIS4_Lb0EPKsPsPS6_SC_NS0_19identity_decomposerEEE10hipError_tT1_T2_T3_T4_jRjT5_jjP12ihipStream_tbEUlT_E_NS1_11comp_targetILNS1_3genE2ELNS1_11target_archE906ELNS1_3gpuE6ELNS1_3repE0EEENS1_44radix_sort_block_sort_config_static_selectorELNS0_4arch9wavefront6targetE0EEEvSF_.numbered_sgpr, 0
	.set _ZN7rocprim17ROCPRIM_400000_NS6detail17trampoline_kernelINS0_13kernel_configILj256ELj4ELj4294967295EEENS1_37radix_sort_block_sort_config_selectorIsNS0_10empty_typeEEEZNS1_21radix_sort_block_sortIS4_Lb0EPKsPsPS6_SC_NS0_19identity_decomposerEEE10hipError_tT1_T2_T3_T4_jRjT5_jjP12ihipStream_tbEUlT_E_NS1_11comp_targetILNS1_3genE2ELNS1_11target_archE906ELNS1_3gpuE6ELNS1_3repE0EEENS1_44radix_sort_block_sort_config_static_selectorELNS0_4arch9wavefront6targetE0EEEvSF_.num_named_barrier, 0
	.set _ZN7rocprim17ROCPRIM_400000_NS6detail17trampoline_kernelINS0_13kernel_configILj256ELj4ELj4294967295EEENS1_37radix_sort_block_sort_config_selectorIsNS0_10empty_typeEEEZNS1_21radix_sort_block_sortIS4_Lb0EPKsPsPS6_SC_NS0_19identity_decomposerEEE10hipError_tT1_T2_T3_T4_jRjT5_jjP12ihipStream_tbEUlT_E_NS1_11comp_targetILNS1_3genE2ELNS1_11target_archE906ELNS1_3gpuE6ELNS1_3repE0EEENS1_44radix_sort_block_sort_config_static_selectorELNS0_4arch9wavefront6targetE0EEEvSF_.private_seg_size, 0
	.set _ZN7rocprim17ROCPRIM_400000_NS6detail17trampoline_kernelINS0_13kernel_configILj256ELj4ELj4294967295EEENS1_37radix_sort_block_sort_config_selectorIsNS0_10empty_typeEEEZNS1_21radix_sort_block_sortIS4_Lb0EPKsPsPS6_SC_NS0_19identity_decomposerEEE10hipError_tT1_T2_T3_T4_jRjT5_jjP12ihipStream_tbEUlT_E_NS1_11comp_targetILNS1_3genE2ELNS1_11target_archE906ELNS1_3gpuE6ELNS1_3repE0EEENS1_44radix_sort_block_sort_config_static_selectorELNS0_4arch9wavefront6targetE0EEEvSF_.uses_vcc, 0
	.set _ZN7rocprim17ROCPRIM_400000_NS6detail17trampoline_kernelINS0_13kernel_configILj256ELj4ELj4294967295EEENS1_37radix_sort_block_sort_config_selectorIsNS0_10empty_typeEEEZNS1_21radix_sort_block_sortIS4_Lb0EPKsPsPS6_SC_NS0_19identity_decomposerEEE10hipError_tT1_T2_T3_T4_jRjT5_jjP12ihipStream_tbEUlT_E_NS1_11comp_targetILNS1_3genE2ELNS1_11target_archE906ELNS1_3gpuE6ELNS1_3repE0EEENS1_44radix_sort_block_sort_config_static_selectorELNS0_4arch9wavefront6targetE0EEEvSF_.uses_flat_scratch, 0
	.set _ZN7rocprim17ROCPRIM_400000_NS6detail17trampoline_kernelINS0_13kernel_configILj256ELj4ELj4294967295EEENS1_37radix_sort_block_sort_config_selectorIsNS0_10empty_typeEEEZNS1_21radix_sort_block_sortIS4_Lb0EPKsPsPS6_SC_NS0_19identity_decomposerEEE10hipError_tT1_T2_T3_T4_jRjT5_jjP12ihipStream_tbEUlT_E_NS1_11comp_targetILNS1_3genE2ELNS1_11target_archE906ELNS1_3gpuE6ELNS1_3repE0EEENS1_44radix_sort_block_sort_config_static_selectorELNS0_4arch9wavefront6targetE0EEEvSF_.has_dyn_sized_stack, 0
	.set _ZN7rocprim17ROCPRIM_400000_NS6detail17trampoline_kernelINS0_13kernel_configILj256ELj4ELj4294967295EEENS1_37radix_sort_block_sort_config_selectorIsNS0_10empty_typeEEEZNS1_21radix_sort_block_sortIS4_Lb0EPKsPsPS6_SC_NS0_19identity_decomposerEEE10hipError_tT1_T2_T3_T4_jRjT5_jjP12ihipStream_tbEUlT_E_NS1_11comp_targetILNS1_3genE2ELNS1_11target_archE906ELNS1_3gpuE6ELNS1_3repE0EEENS1_44radix_sort_block_sort_config_static_selectorELNS0_4arch9wavefront6targetE0EEEvSF_.has_recursion, 0
	.set _ZN7rocprim17ROCPRIM_400000_NS6detail17trampoline_kernelINS0_13kernel_configILj256ELj4ELj4294967295EEENS1_37radix_sort_block_sort_config_selectorIsNS0_10empty_typeEEEZNS1_21radix_sort_block_sortIS4_Lb0EPKsPsPS6_SC_NS0_19identity_decomposerEEE10hipError_tT1_T2_T3_T4_jRjT5_jjP12ihipStream_tbEUlT_E_NS1_11comp_targetILNS1_3genE2ELNS1_11target_archE906ELNS1_3gpuE6ELNS1_3repE0EEENS1_44radix_sort_block_sort_config_static_selectorELNS0_4arch9wavefront6targetE0EEEvSF_.has_indirect_call, 0
	.section	.AMDGPU.csdata,"",@progbits
; Kernel info:
; codeLenInByte = 0
; TotalNumSgprs: 0
; NumVgprs: 0
; ScratchSize: 0
; MemoryBound: 0
; FloatMode: 240
; IeeeMode: 1
; LDSByteSize: 0 bytes/workgroup (compile time only)
; SGPRBlocks: 0
; VGPRBlocks: 0
; NumSGPRsForWavesPerEU: 1
; NumVGPRsForWavesPerEU: 1
; NamedBarCnt: 0
; Occupancy: 16
; WaveLimiterHint : 0
; COMPUTE_PGM_RSRC2:SCRATCH_EN: 0
; COMPUTE_PGM_RSRC2:USER_SGPR: 2
; COMPUTE_PGM_RSRC2:TRAP_HANDLER: 0
; COMPUTE_PGM_RSRC2:TGID_X_EN: 1
; COMPUTE_PGM_RSRC2:TGID_Y_EN: 0
; COMPUTE_PGM_RSRC2:TGID_Z_EN: 0
; COMPUTE_PGM_RSRC2:TIDIG_COMP_CNT: 0
	.section	.text._ZN7rocprim17ROCPRIM_400000_NS6detail17trampoline_kernelINS0_13kernel_configILj256ELj4ELj4294967295EEENS1_37radix_sort_block_sort_config_selectorIsNS0_10empty_typeEEEZNS1_21radix_sort_block_sortIS4_Lb0EPKsPsPS6_SC_NS0_19identity_decomposerEEE10hipError_tT1_T2_T3_T4_jRjT5_jjP12ihipStream_tbEUlT_E_NS1_11comp_targetILNS1_3genE10ELNS1_11target_archE1201ELNS1_3gpuE5ELNS1_3repE0EEENS1_44radix_sort_block_sort_config_static_selectorELNS0_4arch9wavefront6targetE0EEEvSF_,"axG",@progbits,_ZN7rocprim17ROCPRIM_400000_NS6detail17trampoline_kernelINS0_13kernel_configILj256ELj4ELj4294967295EEENS1_37radix_sort_block_sort_config_selectorIsNS0_10empty_typeEEEZNS1_21radix_sort_block_sortIS4_Lb0EPKsPsPS6_SC_NS0_19identity_decomposerEEE10hipError_tT1_T2_T3_T4_jRjT5_jjP12ihipStream_tbEUlT_E_NS1_11comp_targetILNS1_3genE10ELNS1_11target_archE1201ELNS1_3gpuE5ELNS1_3repE0EEENS1_44radix_sort_block_sort_config_static_selectorELNS0_4arch9wavefront6targetE0EEEvSF_,comdat
	.protected	_ZN7rocprim17ROCPRIM_400000_NS6detail17trampoline_kernelINS0_13kernel_configILj256ELj4ELj4294967295EEENS1_37radix_sort_block_sort_config_selectorIsNS0_10empty_typeEEEZNS1_21radix_sort_block_sortIS4_Lb0EPKsPsPS6_SC_NS0_19identity_decomposerEEE10hipError_tT1_T2_T3_T4_jRjT5_jjP12ihipStream_tbEUlT_E_NS1_11comp_targetILNS1_3genE10ELNS1_11target_archE1201ELNS1_3gpuE5ELNS1_3repE0EEENS1_44radix_sort_block_sort_config_static_selectorELNS0_4arch9wavefront6targetE0EEEvSF_ ; -- Begin function _ZN7rocprim17ROCPRIM_400000_NS6detail17trampoline_kernelINS0_13kernel_configILj256ELj4ELj4294967295EEENS1_37radix_sort_block_sort_config_selectorIsNS0_10empty_typeEEEZNS1_21radix_sort_block_sortIS4_Lb0EPKsPsPS6_SC_NS0_19identity_decomposerEEE10hipError_tT1_T2_T3_T4_jRjT5_jjP12ihipStream_tbEUlT_E_NS1_11comp_targetILNS1_3genE10ELNS1_11target_archE1201ELNS1_3gpuE5ELNS1_3repE0EEENS1_44radix_sort_block_sort_config_static_selectorELNS0_4arch9wavefront6targetE0EEEvSF_
	.globl	_ZN7rocprim17ROCPRIM_400000_NS6detail17trampoline_kernelINS0_13kernel_configILj256ELj4ELj4294967295EEENS1_37radix_sort_block_sort_config_selectorIsNS0_10empty_typeEEEZNS1_21radix_sort_block_sortIS4_Lb0EPKsPsPS6_SC_NS0_19identity_decomposerEEE10hipError_tT1_T2_T3_T4_jRjT5_jjP12ihipStream_tbEUlT_E_NS1_11comp_targetILNS1_3genE10ELNS1_11target_archE1201ELNS1_3gpuE5ELNS1_3repE0EEENS1_44radix_sort_block_sort_config_static_selectorELNS0_4arch9wavefront6targetE0EEEvSF_
	.p2align	8
	.type	_ZN7rocprim17ROCPRIM_400000_NS6detail17trampoline_kernelINS0_13kernel_configILj256ELj4ELj4294967295EEENS1_37radix_sort_block_sort_config_selectorIsNS0_10empty_typeEEEZNS1_21radix_sort_block_sortIS4_Lb0EPKsPsPS6_SC_NS0_19identity_decomposerEEE10hipError_tT1_T2_T3_T4_jRjT5_jjP12ihipStream_tbEUlT_E_NS1_11comp_targetILNS1_3genE10ELNS1_11target_archE1201ELNS1_3gpuE5ELNS1_3repE0EEENS1_44radix_sort_block_sort_config_static_selectorELNS0_4arch9wavefront6targetE0EEEvSF_,@function
_ZN7rocprim17ROCPRIM_400000_NS6detail17trampoline_kernelINS0_13kernel_configILj256ELj4ELj4294967295EEENS1_37radix_sort_block_sort_config_selectorIsNS0_10empty_typeEEEZNS1_21radix_sort_block_sortIS4_Lb0EPKsPsPS6_SC_NS0_19identity_decomposerEEE10hipError_tT1_T2_T3_T4_jRjT5_jjP12ihipStream_tbEUlT_E_NS1_11comp_targetILNS1_3genE10ELNS1_11target_archE1201ELNS1_3gpuE5ELNS1_3repE0EEENS1_44radix_sort_block_sort_config_static_selectorELNS0_4arch9wavefront6targetE0EEEvSF_: ; @_ZN7rocprim17ROCPRIM_400000_NS6detail17trampoline_kernelINS0_13kernel_configILj256ELj4ELj4294967295EEENS1_37radix_sort_block_sort_config_selectorIsNS0_10empty_typeEEEZNS1_21radix_sort_block_sortIS4_Lb0EPKsPsPS6_SC_NS0_19identity_decomposerEEE10hipError_tT1_T2_T3_T4_jRjT5_jjP12ihipStream_tbEUlT_E_NS1_11comp_targetILNS1_3genE10ELNS1_11target_archE1201ELNS1_3gpuE5ELNS1_3repE0EEENS1_44radix_sort_block_sort_config_static_selectorELNS0_4arch9wavefront6targetE0EEEvSF_
; %bb.0:
	.section	.rodata,"a",@progbits
	.p2align	6, 0x0
	.amdhsa_kernel _ZN7rocprim17ROCPRIM_400000_NS6detail17trampoline_kernelINS0_13kernel_configILj256ELj4ELj4294967295EEENS1_37radix_sort_block_sort_config_selectorIsNS0_10empty_typeEEEZNS1_21radix_sort_block_sortIS4_Lb0EPKsPsPS6_SC_NS0_19identity_decomposerEEE10hipError_tT1_T2_T3_T4_jRjT5_jjP12ihipStream_tbEUlT_E_NS1_11comp_targetILNS1_3genE10ELNS1_11target_archE1201ELNS1_3gpuE5ELNS1_3repE0EEENS1_44radix_sort_block_sort_config_static_selectorELNS0_4arch9wavefront6targetE0EEEvSF_
		.amdhsa_group_segment_fixed_size 0
		.amdhsa_private_segment_fixed_size 0
		.amdhsa_kernarg_size 48
		.amdhsa_user_sgpr_count 2
		.amdhsa_user_sgpr_dispatch_ptr 0
		.amdhsa_user_sgpr_queue_ptr 0
		.amdhsa_user_sgpr_kernarg_segment_ptr 1
		.amdhsa_user_sgpr_dispatch_id 0
		.amdhsa_user_sgpr_kernarg_preload_length 0
		.amdhsa_user_sgpr_kernarg_preload_offset 0
		.amdhsa_user_sgpr_private_segment_size 0
		.amdhsa_wavefront_size32 1
		.amdhsa_uses_dynamic_stack 0
		.amdhsa_enable_private_segment 0
		.amdhsa_system_sgpr_workgroup_id_x 1
		.amdhsa_system_sgpr_workgroup_id_y 0
		.amdhsa_system_sgpr_workgroup_id_z 0
		.amdhsa_system_sgpr_workgroup_info 0
		.amdhsa_system_vgpr_workitem_id 0
		.amdhsa_next_free_vgpr 1
		.amdhsa_next_free_sgpr 1
		.amdhsa_named_barrier_count 0
		.amdhsa_reserve_vcc 0
		.amdhsa_float_round_mode_32 0
		.amdhsa_float_round_mode_16_64 0
		.amdhsa_float_denorm_mode_32 3
		.amdhsa_float_denorm_mode_16_64 3
		.amdhsa_fp16_overflow 0
		.amdhsa_memory_ordered 1
		.amdhsa_forward_progress 1
		.amdhsa_inst_pref_size 0
		.amdhsa_round_robin_scheduling 0
		.amdhsa_exception_fp_ieee_invalid_op 0
		.amdhsa_exception_fp_denorm_src 0
		.amdhsa_exception_fp_ieee_div_zero 0
		.amdhsa_exception_fp_ieee_overflow 0
		.amdhsa_exception_fp_ieee_underflow 0
		.amdhsa_exception_fp_ieee_inexact 0
		.amdhsa_exception_int_div_zero 0
	.end_amdhsa_kernel
	.section	.text._ZN7rocprim17ROCPRIM_400000_NS6detail17trampoline_kernelINS0_13kernel_configILj256ELj4ELj4294967295EEENS1_37radix_sort_block_sort_config_selectorIsNS0_10empty_typeEEEZNS1_21radix_sort_block_sortIS4_Lb0EPKsPsPS6_SC_NS0_19identity_decomposerEEE10hipError_tT1_T2_T3_T4_jRjT5_jjP12ihipStream_tbEUlT_E_NS1_11comp_targetILNS1_3genE10ELNS1_11target_archE1201ELNS1_3gpuE5ELNS1_3repE0EEENS1_44radix_sort_block_sort_config_static_selectorELNS0_4arch9wavefront6targetE0EEEvSF_,"axG",@progbits,_ZN7rocprim17ROCPRIM_400000_NS6detail17trampoline_kernelINS0_13kernel_configILj256ELj4ELj4294967295EEENS1_37radix_sort_block_sort_config_selectorIsNS0_10empty_typeEEEZNS1_21radix_sort_block_sortIS4_Lb0EPKsPsPS6_SC_NS0_19identity_decomposerEEE10hipError_tT1_T2_T3_T4_jRjT5_jjP12ihipStream_tbEUlT_E_NS1_11comp_targetILNS1_3genE10ELNS1_11target_archE1201ELNS1_3gpuE5ELNS1_3repE0EEENS1_44radix_sort_block_sort_config_static_selectorELNS0_4arch9wavefront6targetE0EEEvSF_,comdat
.Lfunc_end643:
	.size	_ZN7rocprim17ROCPRIM_400000_NS6detail17trampoline_kernelINS0_13kernel_configILj256ELj4ELj4294967295EEENS1_37radix_sort_block_sort_config_selectorIsNS0_10empty_typeEEEZNS1_21radix_sort_block_sortIS4_Lb0EPKsPsPS6_SC_NS0_19identity_decomposerEEE10hipError_tT1_T2_T3_T4_jRjT5_jjP12ihipStream_tbEUlT_E_NS1_11comp_targetILNS1_3genE10ELNS1_11target_archE1201ELNS1_3gpuE5ELNS1_3repE0EEENS1_44radix_sort_block_sort_config_static_selectorELNS0_4arch9wavefront6targetE0EEEvSF_, .Lfunc_end643-_ZN7rocprim17ROCPRIM_400000_NS6detail17trampoline_kernelINS0_13kernel_configILj256ELj4ELj4294967295EEENS1_37radix_sort_block_sort_config_selectorIsNS0_10empty_typeEEEZNS1_21radix_sort_block_sortIS4_Lb0EPKsPsPS6_SC_NS0_19identity_decomposerEEE10hipError_tT1_T2_T3_T4_jRjT5_jjP12ihipStream_tbEUlT_E_NS1_11comp_targetILNS1_3genE10ELNS1_11target_archE1201ELNS1_3gpuE5ELNS1_3repE0EEENS1_44radix_sort_block_sort_config_static_selectorELNS0_4arch9wavefront6targetE0EEEvSF_
                                        ; -- End function
	.set _ZN7rocprim17ROCPRIM_400000_NS6detail17trampoline_kernelINS0_13kernel_configILj256ELj4ELj4294967295EEENS1_37radix_sort_block_sort_config_selectorIsNS0_10empty_typeEEEZNS1_21radix_sort_block_sortIS4_Lb0EPKsPsPS6_SC_NS0_19identity_decomposerEEE10hipError_tT1_T2_T3_T4_jRjT5_jjP12ihipStream_tbEUlT_E_NS1_11comp_targetILNS1_3genE10ELNS1_11target_archE1201ELNS1_3gpuE5ELNS1_3repE0EEENS1_44radix_sort_block_sort_config_static_selectorELNS0_4arch9wavefront6targetE0EEEvSF_.num_vgpr, 0
	.set _ZN7rocprim17ROCPRIM_400000_NS6detail17trampoline_kernelINS0_13kernel_configILj256ELj4ELj4294967295EEENS1_37radix_sort_block_sort_config_selectorIsNS0_10empty_typeEEEZNS1_21radix_sort_block_sortIS4_Lb0EPKsPsPS6_SC_NS0_19identity_decomposerEEE10hipError_tT1_T2_T3_T4_jRjT5_jjP12ihipStream_tbEUlT_E_NS1_11comp_targetILNS1_3genE10ELNS1_11target_archE1201ELNS1_3gpuE5ELNS1_3repE0EEENS1_44radix_sort_block_sort_config_static_selectorELNS0_4arch9wavefront6targetE0EEEvSF_.num_agpr, 0
	.set _ZN7rocprim17ROCPRIM_400000_NS6detail17trampoline_kernelINS0_13kernel_configILj256ELj4ELj4294967295EEENS1_37radix_sort_block_sort_config_selectorIsNS0_10empty_typeEEEZNS1_21radix_sort_block_sortIS4_Lb0EPKsPsPS6_SC_NS0_19identity_decomposerEEE10hipError_tT1_T2_T3_T4_jRjT5_jjP12ihipStream_tbEUlT_E_NS1_11comp_targetILNS1_3genE10ELNS1_11target_archE1201ELNS1_3gpuE5ELNS1_3repE0EEENS1_44radix_sort_block_sort_config_static_selectorELNS0_4arch9wavefront6targetE0EEEvSF_.numbered_sgpr, 0
	.set _ZN7rocprim17ROCPRIM_400000_NS6detail17trampoline_kernelINS0_13kernel_configILj256ELj4ELj4294967295EEENS1_37radix_sort_block_sort_config_selectorIsNS0_10empty_typeEEEZNS1_21radix_sort_block_sortIS4_Lb0EPKsPsPS6_SC_NS0_19identity_decomposerEEE10hipError_tT1_T2_T3_T4_jRjT5_jjP12ihipStream_tbEUlT_E_NS1_11comp_targetILNS1_3genE10ELNS1_11target_archE1201ELNS1_3gpuE5ELNS1_3repE0EEENS1_44radix_sort_block_sort_config_static_selectorELNS0_4arch9wavefront6targetE0EEEvSF_.num_named_barrier, 0
	.set _ZN7rocprim17ROCPRIM_400000_NS6detail17trampoline_kernelINS0_13kernel_configILj256ELj4ELj4294967295EEENS1_37radix_sort_block_sort_config_selectorIsNS0_10empty_typeEEEZNS1_21radix_sort_block_sortIS4_Lb0EPKsPsPS6_SC_NS0_19identity_decomposerEEE10hipError_tT1_T2_T3_T4_jRjT5_jjP12ihipStream_tbEUlT_E_NS1_11comp_targetILNS1_3genE10ELNS1_11target_archE1201ELNS1_3gpuE5ELNS1_3repE0EEENS1_44radix_sort_block_sort_config_static_selectorELNS0_4arch9wavefront6targetE0EEEvSF_.private_seg_size, 0
	.set _ZN7rocprim17ROCPRIM_400000_NS6detail17trampoline_kernelINS0_13kernel_configILj256ELj4ELj4294967295EEENS1_37radix_sort_block_sort_config_selectorIsNS0_10empty_typeEEEZNS1_21radix_sort_block_sortIS4_Lb0EPKsPsPS6_SC_NS0_19identity_decomposerEEE10hipError_tT1_T2_T3_T4_jRjT5_jjP12ihipStream_tbEUlT_E_NS1_11comp_targetILNS1_3genE10ELNS1_11target_archE1201ELNS1_3gpuE5ELNS1_3repE0EEENS1_44radix_sort_block_sort_config_static_selectorELNS0_4arch9wavefront6targetE0EEEvSF_.uses_vcc, 0
	.set _ZN7rocprim17ROCPRIM_400000_NS6detail17trampoline_kernelINS0_13kernel_configILj256ELj4ELj4294967295EEENS1_37radix_sort_block_sort_config_selectorIsNS0_10empty_typeEEEZNS1_21radix_sort_block_sortIS4_Lb0EPKsPsPS6_SC_NS0_19identity_decomposerEEE10hipError_tT1_T2_T3_T4_jRjT5_jjP12ihipStream_tbEUlT_E_NS1_11comp_targetILNS1_3genE10ELNS1_11target_archE1201ELNS1_3gpuE5ELNS1_3repE0EEENS1_44radix_sort_block_sort_config_static_selectorELNS0_4arch9wavefront6targetE0EEEvSF_.uses_flat_scratch, 0
	.set _ZN7rocprim17ROCPRIM_400000_NS6detail17trampoline_kernelINS0_13kernel_configILj256ELj4ELj4294967295EEENS1_37radix_sort_block_sort_config_selectorIsNS0_10empty_typeEEEZNS1_21radix_sort_block_sortIS4_Lb0EPKsPsPS6_SC_NS0_19identity_decomposerEEE10hipError_tT1_T2_T3_T4_jRjT5_jjP12ihipStream_tbEUlT_E_NS1_11comp_targetILNS1_3genE10ELNS1_11target_archE1201ELNS1_3gpuE5ELNS1_3repE0EEENS1_44radix_sort_block_sort_config_static_selectorELNS0_4arch9wavefront6targetE0EEEvSF_.has_dyn_sized_stack, 0
	.set _ZN7rocprim17ROCPRIM_400000_NS6detail17trampoline_kernelINS0_13kernel_configILj256ELj4ELj4294967295EEENS1_37radix_sort_block_sort_config_selectorIsNS0_10empty_typeEEEZNS1_21radix_sort_block_sortIS4_Lb0EPKsPsPS6_SC_NS0_19identity_decomposerEEE10hipError_tT1_T2_T3_T4_jRjT5_jjP12ihipStream_tbEUlT_E_NS1_11comp_targetILNS1_3genE10ELNS1_11target_archE1201ELNS1_3gpuE5ELNS1_3repE0EEENS1_44radix_sort_block_sort_config_static_selectorELNS0_4arch9wavefront6targetE0EEEvSF_.has_recursion, 0
	.set _ZN7rocprim17ROCPRIM_400000_NS6detail17trampoline_kernelINS0_13kernel_configILj256ELj4ELj4294967295EEENS1_37radix_sort_block_sort_config_selectorIsNS0_10empty_typeEEEZNS1_21radix_sort_block_sortIS4_Lb0EPKsPsPS6_SC_NS0_19identity_decomposerEEE10hipError_tT1_T2_T3_T4_jRjT5_jjP12ihipStream_tbEUlT_E_NS1_11comp_targetILNS1_3genE10ELNS1_11target_archE1201ELNS1_3gpuE5ELNS1_3repE0EEENS1_44radix_sort_block_sort_config_static_selectorELNS0_4arch9wavefront6targetE0EEEvSF_.has_indirect_call, 0
	.section	.AMDGPU.csdata,"",@progbits
; Kernel info:
; codeLenInByte = 0
; TotalNumSgprs: 0
; NumVgprs: 0
; ScratchSize: 0
; MemoryBound: 0
; FloatMode: 240
; IeeeMode: 1
; LDSByteSize: 0 bytes/workgroup (compile time only)
; SGPRBlocks: 0
; VGPRBlocks: 0
; NumSGPRsForWavesPerEU: 1
; NumVGPRsForWavesPerEU: 1
; NamedBarCnt: 0
; Occupancy: 16
; WaveLimiterHint : 0
; COMPUTE_PGM_RSRC2:SCRATCH_EN: 0
; COMPUTE_PGM_RSRC2:USER_SGPR: 2
; COMPUTE_PGM_RSRC2:TRAP_HANDLER: 0
; COMPUTE_PGM_RSRC2:TGID_X_EN: 1
; COMPUTE_PGM_RSRC2:TGID_Y_EN: 0
; COMPUTE_PGM_RSRC2:TGID_Z_EN: 0
; COMPUTE_PGM_RSRC2:TIDIG_COMP_CNT: 0
	.section	.text._ZN7rocprim17ROCPRIM_400000_NS6detail17trampoline_kernelINS0_13kernel_configILj256ELj4ELj4294967295EEENS1_37radix_sort_block_sort_config_selectorIsNS0_10empty_typeEEEZNS1_21radix_sort_block_sortIS4_Lb0EPKsPsPS6_SC_NS0_19identity_decomposerEEE10hipError_tT1_T2_T3_T4_jRjT5_jjP12ihipStream_tbEUlT_E_NS1_11comp_targetILNS1_3genE10ELNS1_11target_archE1200ELNS1_3gpuE4ELNS1_3repE0EEENS1_44radix_sort_block_sort_config_static_selectorELNS0_4arch9wavefront6targetE0EEEvSF_,"axG",@progbits,_ZN7rocprim17ROCPRIM_400000_NS6detail17trampoline_kernelINS0_13kernel_configILj256ELj4ELj4294967295EEENS1_37radix_sort_block_sort_config_selectorIsNS0_10empty_typeEEEZNS1_21radix_sort_block_sortIS4_Lb0EPKsPsPS6_SC_NS0_19identity_decomposerEEE10hipError_tT1_T2_T3_T4_jRjT5_jjP12ihipStream_tbEUlT_E_NS1_11comp_targetILNS1_3genE10ELNS1_11target_archE1200ELNS1_3gpuE4ELNS1_3repE0EEENS1_44radix_sort_block_sort_config_static_selectorELNS0_4arch9wavefront6targetE0EEEvSF_,comdat
	.protected	_ZN7rocprim17ROCPRIM_400000_NS6detail17trampoline_kernelINS0_13kernel_configILj256ELj4ELj4294967295EEENS1_37radix_sort_block_sort_config_selectorIsNS0_10empty_typeEEEZNS1_21radix_sort_block_sortIS4_Lb0EPKsPsPS6_SC_NS0_19identity_decomposerEEE10hipError_tT1_T2_T3_T4_jRjT5_jjP12ihipStream_tbEUlT_E_NS1_11comp_targetILNS1_3genE10ELNS1_11target_archE1200ELNS1_3gpuE4ELNS1_3repE0EEENS1_44radix_sort_block_sort_config_static_selectorELNS0_4arch9wavefront6targetE0EEEvSF_ ; -- Begin function _ZN7rocprim17ROCPRIM_400000_NS6detail17trampoline_kernelINS0_13kernel_configILj256ELj4ELj4294967295EEENS1_37radix_sort_block_sort_config_selectorIsNS0_10empty_typeEEEZNS1_21radix_sort_block_sortIS4_Lb0EPKsPsPS6_SC_NS0_19identity_decomposerEEE10hipError_tT1_T2_T3_T4_jRjT5_jjP12ihipStream_tbEUlT_E_NS1_11comp_targetILNS1_3genE10ELNS1_11target_archE1200ELNS1_3gpuE4ELNS1_3repE0EEENS1_44radix_sort_block_sort_config_static_selectorELNS0_4arch9wavefront6targetE0EEEvSF_
	.globl	_ZN7rocprim17ROCPRIM_400000_NS6detail17trampoline_kernelINS0_13kernel_configILj256ELj4ELj4294967295EEENS1_37radix_sort_block_sort_config_selectorIsNS0_10empty_typeEEEZNS1_21radix_sort_block_sortIS4_Lb0EPKsPsPS6_SC_NS0_19identity_decomposerEEE10hipError_tT1_T2_T3_T4_jRjT5_jjP12ihipStream_tbEUlT_E_NS1_11comp_targetILNS1_3genE10ELNS1_11target_archE1200ELNS1_3gpuE4ELNS1_3repE0EEENS1_44radix_sort_block_sort_config_static_selectorELNS0_4arch9wavefront6targetE0EEEvSF_
	.p2align	8
	.type	_ZN7rocprim17ROCPRIM_400000_NS6detail17trampoline_kernelINS0_13kernel_configILj256ELj4ELj4294967295EEENS1_37radix_sort_block_sort_config_selectorIsNS0_10empty_typeEEEZNS1_21radix_sort_block_sortIS4_Lb0EPKsPsPS6_SC_NS0_19identity_decomposerEEE10hipError_tT1_T2_T3_T4_jRjT5_jjP12ihipStream_tbEUlT_E_NS1_11comp_targetILNS1_3genE10ELNS1_11target_archE1200ELNS1_3gpuE4ELNS1_3repE0EEENS1_44radix_sort_block_sort_config_static_selectorELNS0_4arch9wavefront6targetE0EEEvSF_,@function
_ZN7rocprim17ROCPRIM_400000_NS6detail17trampoline_kernelINS0_13kernel_configILj256ELj4ELj4294967295EEENS1_37radix_sort_block_sort_config_selectorIsNS0_10empty_typeEEEZNS1_21radix_sort_block_sortIS4_Lb0EPKsPsPS6_SC_NS0_19identity_decomposerEEE10hipError_tT1_T2_T3_T4_jRjT5_jjP12ihipStream_tbEUlT_E_NS1_11comp_targetILNS1_3genE10ELNS1_11target_archE1200ELNS1_3gpuE4ELNS1_3repE0EEENS1_44radix_sort_block_sort_config_static_selectorELNS0_4arch9wavefront6targetE0EEEvSF_: ; @_ZN7rocprim17ROCPRIM_400000_NS6detail17trampoline_kernelINS0_13kernel_configILj256ELj4ELj4294967295EEENS1_37radix_sort_block_sort_config_selectorIsNS0_10empty_typeEEEZNS1_21radix_sort_block_sortIS4_Lb0EPKsPsPS6_SC_NS0_19identity_decomposerEEE10hipError_tT1_T2_T3_T4_jRjT5_jjP12ihipStream_tbEUlT_E_NS1_11comp_targetILNS1_3genE10ELNS1_11target_archE1200ELNS1_3gpuE4ELNS1_3repE0EEENS1_44radix_sort_block_sort_config_static_selectorELNS0_4arch9wavefront6targetE0EEEvSF_
; %bb.0:
	.section	.rodata,"a",@progbits
	.p2align	6, 0x0
	.amdhsa_kernel _ZN7rocprim17ROCPRIM_400000_NS6detail17trampoline_kernelINS0_13kernel_configILj256ELj4ELj4294967295EEENS1_37radix_sort_block_sort_config_selectorIsNS0_10empty_typeEEEZNS1_21radix_sort_block_sortIS4_Lb0EPKsPsPS6_SC_NS0_19identity_decomposerEEE10hipError_tT1_T2_T3_T4_jRjT5_jjP12ihipStream_tbEUlT_E_NS1_11comp_targetILNS1_3genE10ELNS1_11target_archE1200ELNS1_3gpuE4ELNS1_3repE0EEENS1_44radix_sort_block_sort_config_static_selectorELNS0_4arch9wavefront6targetE0EEEvSF_
		.amdhsa_group_segment_fixed_size 0
		.amdhsa_private_segment_fixed_size 0
		.amdhsa_kernarg_size 48
		.amdhsa_user_sgpr_count 2
		.amdhsa_user_sgpr_dispatch_ptr 0
		.amdhsa_user_sgpr_queue_ptr 0
		.amdhsa_user_sgpr_kernarg_segment_ptr 1
		.amdhsa_user_sgpr_dispatch_id 0
		.amdhsa_user_sgpr_kernarg_preload_length 0
		.amdhsa_user_sgpr_kernarg_preload_offset 0
		.amdhsa_user_sgpr_private_segment_size 0
		.amdhsa_wavefront_size32 1
		.amdhsa_uses_dynamic_stack 0
		.amdhsa_enable_private_segment 0
		.amdhsa_system_sgpr_workgroup_id_x 1
		.amdhsa_system_sgpr_workgroup_id_y 0
		.amdhsa_system_sgpr_workgroup_id_z 0
		.amdhsa_system_sgpr_workgroup_info 0
		.amdhsa_system_vgpr_workitem_id 0
		.amdhsa_next_free_vgpr 1
		.amdhsa_next_free_sgpr 1
		.amdhsa_named_barrier_count 0
		.amdhsa_reserve_vcc 0
		.amdhsa_float_round_mode_32 0
		.amdhsa_float_round_mode_16_64 0
		.amdhsa_float_denorm_mode_32 3
		.amdhsa_float_denorm_mode_16_64 3
		.amdhsa_fp16_overflow 0
		.amdhsa_memory_ordered 1
		.amdhsa_forward_progress 1
		.amdhsa_inst_pref_size 0
		.amdhsa_round_robin_scheduling 0
		.amdhsa_exception_fp_ieee_invalid_op 0
		.amdhsa_exception_fp_denorm_src 0
		.amdhsa_exception_fp_ieee_div_zero 0
		.amdhsa_exception_fp_ieee_overflow 0
		.amdhsa_exception_fp_ieee_underflow 0
		.amdhsa_exception_fp_ieee_inexact 0
		.amdhsa_exception_int_div_zero 0
	.end_amdhsa_kernel
	.section	.text._ZN7rocprim17ROCPRIM_400000_NS6detail17trampoline_kernelINS0_13kernel_configILj256ELj4ELj4294967295EEENS1_37radix_sort_block_sort_config_selectorIsNS0_10empty_typeEEEZNS1_21radix_sort_block_sortIS4_Lb0EPKsPsPS6_SC_NS0_19identity_decomposerEEE10hipError_tT1_T2_T3_T4_jRjT5_jjP12ihipStream_tbEUlT_E_NS1_11comp_targetILNS1_3genE10ELNS1_11target_archE1200ELNS1_3gpuE4ELNS1_3repE0EEENS1_44radix_sort_block_sort_config_static_selectorELNS0_4arch9wavefront6targetE0EEEvSF_,"axG",@progbits,_ZN7rocprim17ROCPRIM_400000_NS6detail17trampoline_kernelINS0_13kernel_configILj256ELj4ELj4294967295EEENS1_37radix_sort_block_sort_config_selectorIsNS0_10empty_typeEEEZNS1_21radix_sort_block_sortIS4_Lb0EPKsPsPS6_SC_NS0_19identity_decomposerEEE10hipError_tT1_T2_T3_T4_jRjT5_jjP12ihipStream_tbEUlT_E_NS1_11comp_targetILNS1_3genE10ELNS1_11target_archE1200ELNS1_3gpuE4ELNS1_3repE0EEENS1_44radix_sort_block_sort_config_static_selectorELNS0_4arch9wavefront6targetE0EEEvSF_,comdat
.Lfunc_end644:
	.size	_ZN7rocprim17ROCPRIM_400000_NS6detail17trampoline_kernelINS0_13kernel_configILj256ELj4ELj4294967295EEENS1_37radix_sort_block_sort_config_selectorIsNS0_10empty_typeEEEZNS1_21radix_sort_block_sortIS4_Lb0EPKsPsPS6_SC_NS0_19identity_decomposerEEE10hipError_tT1_T2_T3_T4_jRjT5_jjP12ihipStream_tbEUlT_E_NS1_11comp_targetILNS1_3genE10ELNS1_11target_archE1200ELNS1_3gpuE4ELNS1_3repE0EEENS1_44radix_sort_block_sort_config_static_selectorELNS0_4arch9wavefront6targetE0EEEvSF_, .Lfunc_end644-_ZN7rocprim17ROCPRIM_400000_NS6detail17trampoline_kernelINS0_13kernel_configILj256ELj4ELj4294967295EEENS1_37radix_sort_block_sort_config_selectorIsNS0_10empty_typeEEEZNS1_21radix_sort_block_sortIS4_Lb0EPKsPsPS6_SC_NS0_19identity_decomposerEEE10hipError_tT1_T2_T3_T4_jRjT5_jjP12ihipStream_tbEUlT_E_NS1_11comp_targetILNS1_3genE10ELNS1_11target_archE1200ELNS1_3gpuE4ELNS1_3repE0EEENS1_44radix_sort_block_sort_config_static_selectorELNS0_4arch9wavefront6targetE0EEEvSF_
                                        ; -- End function
	.set _ZN7rocprim17ROCPRIM_400000_NS6detail17trampoline_kernelINS0_13kernel_configILj256ELj4ELj4294967295EEENS1_37radix_sort_block_sort_config_selectorIsNS0_10empty_typeEEEZNS1_21radix_sort_block_sortIS4_Lb0EPKsPsPS6_SC_NS0_19identity_decomposerEEE10hipError_tT1_T2_T3_T4_jRjT5_jjP12ihipStream_tbEUlT_E_NS1_11comp_targetILNS1_3genE10ELNS1_11target_archE1200ELNS1_3gpuE4ELNS1_3repE0EEENS1_44radix_sort_block_sort_config_static_selectorELNS0_4arch9wavefront6targetE0EEEvSF_.num_vgpr, 0
	.set _ZN7rocprim17ROCPRIM_400000_NS6detail17trampoline_kernelINS0_13kernel_configILj256ELj4ELj4294967295EEENS1_37radix_sort_block_sort_config_selectorIsNS0_10empty_typeEEEZNS1_21radix_sort_block_sortIS4_Lb0EPKsPsPS6_SC_NS0_19identity_decomposerEEE10hipError_tT1_T2_T3_T4_jRjT5_jjP12ihipStream_tbEUlT_E_NS1_11comp_targetILNS1_3genE10ELNS1_11target_archE1200ELNS1_3gpuE4ELNS1_3repE0EEENS1_44radix_sort_block_sort_config_static_selectorELNS0_4arch9wavefront6targetE0EEEvSF_.num_agpr, 0
	.set _ZN7rocprim17ROCPRIM_400000_NS6detail17trampoline_kernelINS0_13kernel_configILj256ELj4ELj4294967295EEENS1_37radix_sort_block_sort_config_selectorIsNS0_10empty_typeEEEZNS1_21radix_sort_block_sortIS4_Lb0EPKsPsPS6_SC_NS0_19identity_decomposerEEE10hipError_tT1_T2_T3_T4_jRjT5_jjP12ihipStream_tbEUlT_E_NS1_11comp_targetILNS1_3genE10ELNS1_11target_archE1200ELNS1_3gpuE4ELNS1_3repE0EEENS1_44radix_sort_block_sort_config_static_selectorELNS0_4arch9wavefront6targetE0EEEvSF_.numbered_sgpr, 0
	.set _ZN7rocprim17ROCPRIM_400000_NS6detail17trampoline_kernelINS0_13kernel_configILj256ELj4ELj4294967295EEENS1_37radix_sort_block_sort_config_selectorIsNS0_10empty_typeEEEZNS1_21radix_sort_block_sortIS4_Lb0EPKsPsPS6_SC_NS0_19identity_decomposerEEE10hipError_tT1_T2_T3_T4_jRjT5_jjP12ihipStream_tbEUlT_E_NS1_11comp_targetILNS1_3genE10ELNS1_11target_archE1200ELNS1_3gpuE4ELNS1_3repE0EEENS1_44radix_sort_block_sort_config_static_selectorELNS0_4arch9wavefront6targetE0EEEvSF_.num_named_barrier, 0
	.set _ZN7rocprim17ROCPRIM_400000_NS6detail17trampoline_kernelINS0_13kernel_configILj256ELj4ELj4294967295EEENS1_37radix_sort_block_sort_config_selectorIsNS0_10empty_typeEEEZNS1_21radix_sort_block_sortIS4_Lb0EPKsPsPS6_SC_NS0_19identity_decomposerEEE10hipError_tT1_T2_T3_T4_jRjT5_jjP12ihipStream_tbEUlT_E_NS1_11comp_targetILNS1_3genE10ELNS1_11target_archE1200ELNS1_3gpuE4ELNS1_3repE0EEENS1_44radix_sort_block_sort_config_static_selectorELNS0_4arch9wavefront6targetE0EEEvSF_.private_seg_size, 0
	.set _ZN7rocprim17ROCPRIM_400000_NS6detail17trampoline_kernelINS0_13kernel_configILj256ELj4ELj4294967295EEENS1_37radix_sort_block_sort_config_selectorIsNS0_10empty_typeEEEZNS1_21radix_sort_block_sortIS4_Lb0EPKsPsPS6_SC_NS0_19identity_decomposerEEE10hipError_tT1_T2_T3_T4_jRjT5_jjP12ihipStream_tbEUlT_E_NS1_11comp_targetILNS1_3genE10ELNS1_11target_archE1200ELNS1_3gpuE4ELNS1_3repE0EEENS1_44radix_sort_block_sort_config_static_selectorELNS0_4arch9wavefront6targetE0EEEvSF_.uses_vcc, 0
	.set _ZN7rocprim17ROCPRIM_400000_NS6detail17trampoline_kernelINS0_13kernel_configILj256ELj4ELj4294967295EEENS1_37radix_sort_block_sort_config_selectorIsNS0_10empty_typeEEEZNS1_21radix_sort_block_sortIS4_Lb0EPKsPsPS6_SC_NS0_19identity_decomposerEEE10hipError_tT1_T2_T3_T4_jRjT5_jjP12ihipStream_tbEUlT_E_NS1_11comp_targetILNS1_3genE10ELNS1_11target_archE1200ELNS1_3gpuE4ELNS1_3repE0EEENS1_44radix_sort_block_sort_config_static_selectorELNS0_4arch9wavefront6targetE0EEEvSF_.uses_flat_scratch, 0
	.set _ZN7rocprim17ROCPRIM_400000_NS6detail17trampoline_kernelINS0_13kernel_configILj256ELj4ELj4294967295EEENS1_37radix_sort_block_sort_config_selectorIsNS0_10empty_typeEEEZNS1_21radix_sort_block_sortIS4_Lb0EPKsPsPS6_SC_NS0_19identity_decomposerEEE10hipError_tT1_T2_T3_T4_jRjT5_jjP12ihipStream_tbEUlT_E_NS1_11comp_targetILNS1_3genE10ELNS1_11target_archE1200ELNS1_3gpuE4ELNS1_3repE0EEENS1_44radix_sort_block_sort_config_static_selectorELNS0_4arch9wavefront6targetE0EEEvSF_.has_dyn_sized_stack, 0
	.set _ZN7rocprim17ROCPRIM_400000_NS6detail17trampoline_kernelINS0_13kernel_configILj256ELj4ELj4294967295EEENS1_37radix_sort_block_sort_config_selectorIsNS0_10empty_typeEEEZNS1_21radix_sort_block_sortIS4_Lb0EPKsPsPS6_SC_NS0_19identity_decomposerEEE10hipError_tT1_T2_T3_T4_jRjT5_jjP12ihipStream_tbEUlT_E_NS1_11comp_targetILNS1_3genE10ELNS1_11target_archE1200ELNS1_3gpuE4ELNS1_3repE0EEENS1_44radix_sort_block_sort_config_static_selectorELNS0_4arch9wavefront6targetE0EEEvSF_.has_recursion, 0
	.set _ZN7rocprim17ROCPRIM_400000_NS6detail17trampoline_kernelINS0_13kernel_configILj256ELj4ELj4294967295EEENS1_37radix_sort_block_sort_config_selectorIsNS0_10empty_typeEEEZNS1_21radix_sort_block_sortIS4_Lb0EPKsPsPS6_SC_NS0_19identity_decomposerEEE10hipError_tT1_T2_T3_T4_jRjT5_jjP12ihipStream_tbEUlT_E_NS1_11comp_targetILNS1_3genE10ELNS1_11target_archE1200ELNS1_3gpuE4ELNS1_3repE0EEENS1_44radix_sort_block_sort_config_static_selectorELNS0_4arch9wavefront6targetE0EEEvSF_.has_indirect_call, 0
	.section	.AMDGPU.csdata,"",@progbits
; Kernel info:
; codeLenInByte = 0
; TotalNumSgprs: 0
; NumVgprs: 0
; ScratchSize: 0
; MemoryBound: 0
; FloatMode: 240
; IeeeMode: 1
; LDSByteSize: 0 bytes/workgroup (compile time only)
; SGPRBlocks: 0
; VGPRBlocks: 0
; NumSGPRsForWavesPerEU: 1
; NumVGPRsForWavesPerEU: 1
; NamedBarCnt: 0
; Occupancy: 16
; WaveLimiterHint : 0
; COMPUTE_PGM_RSRC2:SCRATCH_EN: 0
; COMPUTE_PGM_RSRC2:USER_SGPR: 2
; COMPUTE_PGM_RSRC2:TRAP_HANDLER: 0
; COMPUTE_PGM_RSRC2:TGID_X_EN: 1
; COMPUTE_PGM_RSRC2:TGID_Y_EN: 0
; COMPUTE_PGM_RSRC2:TGID_Z_EN: 0
; COMPUTE_PGM_RSRC2:TIDIG_COMP_CNT: 0
	.section	.text._ZN7rocprim17ROCPRIM_400000_NS6detail17trampoline_kernelINS0_13kernel_configILj256ELj4ELj4294967295EEENS1_37radix_sort_block_sort_config_selectorIsNS0_10empty_typeEEEZNS1_21radix_sort_block_sortIS4_Lb0EPKsPsPS6_SC_NS0_19identity_decomposerEEE10hipError_tT1_T2_T3_T4_jRjT5_jjP12ihipStream_tbEUlT_E_NS1_11comp_targetILNS1_3genE9ELNS1_11target_archE1100ELNS1_3gpuE3ELNS1_3repE0EEENS1_44radix_sort_block_sort_config_static_selectorELNS0_4arch9wavefront6targetE0EEEvSF_,"axG",@progbits,_ZN7rocprim17ROCPRIM_400000_NS6detail17trampoline_kernelINS0_13kernel_configILj256ELj4ELj4294967295EEENS1_37radix_sort_block_sort_config_selectorIsNS0_10empty_typeEEEZNS1_21radix_sort_block_sortIS4_Lb0EPKsPsPS6_SC_NS0_19identity_decomposerEEE10hipError_tT1_T2_T3_T4_jRjT5_jjP12ihipStream_tbEUlT_E_NS1_11comp_targetILNS1_3genE9ELNS1_11target_archE1100ELNS1_3gpuE3ELNS1_3repE0EEENS1_44radix_sort_block_sort_config_static_selectorELNS0_4arch9wavefront6targetE0EEEvSF_,comdat
	.protected	_ZN7rocprim17ROCPRIM_400000_NS6detail17trampoline_kernelINS0_13kernel_configILj256ELj4ELj4294967295EEENS1_37radix_sort_block_sort_config_selectorIsNS0_10empty_typeEEEZNS1_21radix_sort_block_sortIS4_Lb0EPKsPsPS6_SC_NS0_19identity_decomposerEEE10hipError_tT1_T2_T3_T4_jRjT5_jjP12ihipStream_tbEUlT_E_NS1_11comp_targetILNS1_3genE9ELNS1_11target_archE1100ELNS1_3gpuE3ELNS1_3repE0EEENS1_44radix_sort_block_sort_config_static_selectorELNS0_4arch9wavefront6targetE0EEEvSF_ ; -- Begin function _ZN7rocprim17ROCPRIM_400000_NS6detail17trampoline_kernelINS0_13kernel_configILj256ELj4ELj4294967295EEENS1_37radix_sort_block_sort_config_selectorIsNS0_10empty_typeEEEZNS1_21radix_sort_block_sortIS4_Lb0EPKsPsPS6_SC_NS0_19identity_decomposerEEE10hipError_tT1_T2_T3_T4_jRjT5_jjP12ihipStream_tbEUlT_E_NS1_11comp_targetILNS1_3genE9ELNS1_11target_archE1100ELNS1_3gpuE3ELNS1_3repE0EEENS1_44radix_sort_block_sort_config_static_selectorELNS0_4arch9wavefront6targetE0EEEvSF_
	.globl	_ZN7rocprim17ROCPRIM_400000_NS6detail17trampoline_kernelINS0_13kernel_configILj256ELj4ELj4294967295EEENS1_37radix_sort_block_sort_config_selectorIsNS0_10empty_typeEEEZNS1_21radix_sort_block_sortIS4_Lb0EPKsPsPS6_SC_NS0_19identity_decomposerEEE10hipError_tT1_T2_T3_T4_jRjT5_jjP12ihipStream_tbEUlT_E_NS1_11comp_targetILNS1_3genE9ELNS1_11target_archE1100ELNS1_3gpuE3ELNS1_3repE0EEENS1_44radix_sort_block_sort_config_static_selectorELNS0_4arch9wavefront6targetE0EEEvSF_
	.p2align	8
	.type	_ZN7rocprim17ROCPRIM_400000_NS6detail17trampoline_kernelINS0_13kernel_configILj256ELj4ELj4294967295EEENS1_37radix_sort_block_sort_config_selectorIsNS0_10empty_typeEEEZNS1_21radix_sort_block_sortIS4_Lb0EPKsPsPS6_SC_NS0_19identity_decomposerEEE10hipError_tT1_T2_T3_T4_jRjT5_jjP12ihipStream_tbEUlT_E_NS1_11comp_targetILNS1_3genE9ELNS1_11target_archE1100ELNS1_3gpuE3ELNS1_3repE0EEENS1_44radix_sort_block_sort_config_static_selectorELNS0_4arch9wavefront6targetE0EEEvSF_,@function
_ZN7rocprim17ROCPRIM_400000_NS6detail17trampoline_kernelINS0_13kernel_configILj256ELj4ELj4294967295EEENS1_37radix_sort_block_sort_config_selectorIsNS0_10empty_typeEEEZNS1_21radix_sort_block_sortIS4_Lb0EPKsPsPS6_SC_NS0_19identity_decomposerEEE10hipError_tT1_T2_T3_T4_jRjT5_jjP12ihipStream_tbEUlT_E_NS1_11comp_targetILNS1_3genE9ELNS1_11target_archE1100ELNS1_3gpuE3ELNS1_3repE0EEENS1_44radix_sort_block_sort_config_static_selectorELNS0_4arch9wavefront6targetE0EEEvSF_: ; @_ZN7rocprim17ROCPRIM_400000_NS6detail17trampoline_kernelINS0_13kernel_configILj256ELj4ELj4294967295EEENS1_37radix_sort_block_sort_config_selectorIsNS0_10empty_typeEEEZNS1_21radix_sort_block_sortIS4_Lb0EPKsPsPS6_SC_NS0_19identity_decomposerEEE10hipError_tT1_T2_T3_T4_jRjT5_jjP12ihipStream_tbEUlT_E_NS1_11comp_targetILNS1_3genE9ELNS1_11target_archE1100ELNS1_3gpuE3ELNS1_3repE0EEENS1_44radix_sort_block_sort_config_static_selectorELNS0_4arch9wavefront6targetE0EEEvSF_
; %bb.0:
	.section	.rodata,"a",@progbits
	.p2align	6, 0x0
	.amdhsa_kernel _ZN7rocprim17ROCPRIM_400000_NS6detail17trampoline_kernelINS0_13kernel_configILj256ELj4ELj4294967295EEENS1_37radix_sort_block_sort_config_selectorIsNS0_10empty_typeEEEZNS1_21radix_sort_block_sortIS4_Lb0EPKsPsPS6_SC_NS0_19identity_decomposerEEE10hipError_tT1_T2_T3_T4_jRjT5_jjP12ihipStream_tbEUlT_E_NS1_11comp_targetILNS1_3genE9ELNS1_11target_archE1100ELNS1_3gpuE3ELNS1_3repE0EEENS1_44radix_sort_block_sort_config_static_selectorELNS0_4arch9wavefront6targetE0EEEvSF_
		.amdhsa_group_segment_fixed_size 0
		.amdhsa_private_segment_fixed_size 0
		.amdhsa_kernarg_size 48
		.amdhsa_user_sgpr_count 2
		.amdhsa_user_sgpr_dispatch_ptr 0
		.amdhsa_user_sgpr_queue_ptr 0
		.amdhsa_user_sgpr_kernarg_segment_ptr 1
		.amdhsa_user_sgpr_dispatch_id 0
		.amdhsa_user_sgpr_kernarg_preload_length 0
		.amdhsa_user_sgpr_kernarg_preload_offset 0
		.amdhsa_user_sgpr_private_segment_size 0
		.amdhsa_wavefront_size32 1
		.amdhsa_uses_dynamic_stack 0
		.amdhsa_enable_private_segment 0
		.amdhsa_system_sgpr_workgroup_id_x 1
		.amdhsa_system_sgpr_workgroup_id_y 0
		.amdhsa_system_sgpr_workgroup_id_z 0
		.amdhsa_system_sgpr_workgroup_info 0
		.amdhsa_system_vgpr_workitem_id 0
		.amdhsa_next_free_vgpr 1
		.amdhsa_next_free_sgpr 1
		.amdhsa_named_barrier_count 0
		.amdhsa_reserve_vcc 0
		.amdhsa_float_round_mode_32 0
		.amdhsa_float_round_mode_16_64 0
		.amdhsa_float_denorm_mode_32 3
		.amdhsa_float_denorm_mode_16_64 3
		.amdhsa_fp16_overflow 0
		.amdhsa_memory_ordered 1
		.amdhsa_forward_progress 1
		.amdhsa_inst_pref_size 0
		.amdhsa_round_robin_scheduling 0
		.amdhsa_exception_fp_ieee_invalid_op 0
		.amdhsa_exception_fp_denorm_src 0
		.amdhsa_exception_fp_ieee_div_zero 0
		.amdhsa_exception_fp_ieee_overflow 0
		.amdhsa_exception_fp_ieee_underflow 0
		.amdhsa_exception_fp_ieee_inexact 0
		.amdhsa_exception_int_div_zero 0
	.end_amdhsa_kernel
	.section	.text._ZN7rocprim17ROCPRIM_400000_NS6detail17trampoline_kernelINS0_13kernel_configILj256ELj4ELj4294967295EEENS1_37radix_sort_block_sort_config_selectorIsNS0_10empty_typeEEEZNS1_21radix_sort_block_sortIS4_Lb0EPKsPsPS6_SC_NS0_19identity_decomposerEEE10hipError_tT1_T2_T3_T4_jRjT5_jjP12ihipStream_tbEUlT_E_NS1_11comp_targetILNS1_3genE9ELNS1_11target_archE1100ELNS1_3gpuE3ELNS1_3repE0EEENS1_44radix_sort_block_sort_config_static_selectorELNS0_4arch9wavefront6targetE0EEEvSF_,"axG",@progbits,_ZN7rocprim17ROCPRIM_400000_NS6detail17trampoline_kernelINS0_13kernel_configILj256ELj4ELj4294967295EEENS1_37radix_sort_block_sort_config_selectorIsNS0_10empty_typeEEEZNS1_21radix_sort_block_sortIS4_Lb0EPKsPsPS6_SC_NS0_19identity_decomposerEEE10hipError_tT1_T2_T3_T4_jRjT5_jjP12ihipStream_tbEUlT_E_NS1_11comp_targetILNS1_3genE9ELNS1_11target_archE1100ELNS1_3gpuE3ELNS1_3repE0EEENS1_44radix_sort_block_sort_config_static_selectorELNS0_4arch9wavefront6targetE0EEEvSF_,comdat
.Lfunc_end645:
	.size	_ZN7rocprim17ROCPRIM_400000_NS6detail17trampoline_kernelINS0_13kernel_configILj256ELj4ELj4294967295EEENS1_37radix_sort_block_sort_config_selectorIsNS0_10empty_typeEEEZNS1_21radix_sort_block_sortIS4_Lb0EPKsPsPS6_SC_NS0_19identity_decomposerEEE10hipError_tT1_T2_T3_T4_jRjT5_jjP12ihipStream_tbEUlT_E_NS1_11comp_targetILNS1_3genE9ELNS1_11target_archE1100ELNS1_3gpuE3ELNS1_3repE0EEENS1_44radix_sort_block_sort_config_static_selectorELNS0_4arch9wavefront6targetE0EEEvSF_, .Lfunc_end645-_ZN7rocprim17ROCPRIM_400000_NS6detail17trampoline_kernelINS0_13kernel_configILj256ELj4ELj4294967295EEENS1_37radix_sort_block_sort_config_selectorIsNS0_10empty_typeEEEZNS1_21radix_sort_block_sortIS4_Lb0EPKsPsPS6_SC_NS0_19identity_decomposerEEE10hipError_tT1_T2_T3_T4_jRjT5_jjP12ihipStream_tbEUlT_E_NS1_11comp_targetILNS1_3genE9ELNS1_11target_archE1100ELNS1_3gpuE3ELNS1_3repE0EEENS1_44radix_sort_block_sort_config_static_selectorELNS0_4arch9wavefront6targetE0EEEvSF_
                                        ; -- End function
	.set _ZN7rocprim17ROCPRIM_400000_NS6detail17trampoline_kernelINS0_13kernel_configILj256ELj4ELj4294967295EEENS1_37radix_sort_block_sort_config_selectorIsNS0_10empty_typeEEEZNS1_21radix_sort_block_sortIS4_Lb0EPKsPsPS6_SC_NS0_19identity_decomposerEEE10hipError_tT1_T2_T3_T4_jRjT5_jjP12ihipStream_tbEUlT_E_NS1_11comp_targetILNS1_3genE9ELNS1_11target_archE1100ELNS1_3gpuE3ELNS1_3repE0EEENS1_44radix_sort_block_sort_config_static_selectorELNS0_4arch9wavefront6targetE0EEEvSF_.num_vgpr, 0
	.set _ZN7rocprim17ROCPRIM_400000_NS6detail17trampoline_kernelINS0_13kernel_configILj256ELj4ELj4294967295EEENS1_37radix_sort_block_sort_config_selectorIsNS0_10empty_typeEEEZNS1_21radix_sort_block_sortIS4_Lb0EPKsPsPS6_SC_NS0_19identity_decomposerEEE10hipError_tT1_T2_T3_T4_jRjT5_jjP12ihipStream_tbEUlT_E_NS1_11comp_targetILNS1_3genE9ELNS1_11target_archE1100ELNS1_3gpuE3ELNS1_3repE0EEENS1_44radix_sort_block_sort_config_static_selectorELNS0_4arch9wavefront6targetE0EEEvSF_.num_agpr, 0
	.set _ZN7rocprim17ROCPRIM_400000_NS6detail17trampoline_kernelINS0_13kernel_configILj256ELj4ELj4294967295EEENS1_37radix_sort_block_sort_config_selectorIsNS0_10empty_typeEEEZNS1_21radix_sort_block_sortIS4_Lb0EPKsPsPS6_SC_NS0_19identity_decomposerEEE10hipError_tT1_T2_T3_T4_jRjT5_jjP12ihipStream_tbEUlT_E_NS1_11comp_targetILNS1_3genE9ELNS1_11target_archE1100ELNS1_3gpuE3ELNS1_3repE0EEENS1_44radix_sort_block_sort_config_static_selectorELNS0_4arch9wavefront6targetE0EEEvSF_.numbered_sgpr, 0
	.set _ZN7rocprim17ROCPRIM_400000_NS6detail17trampoline_kernelINS0_13kernel_configILj256ELj4ELj4294967295EEENS1_37radix_sort_block_sort_config_selectorIsNS0_10empty_typeEEEZNS1_21radix_sort_block_sortIS4_Lb0EPKsPsPS6_SC_NS0_19identity_decomposerEEE10hipError_tT1_T2_T3_T4_jRjT5_jjP12ihipStream_tbEUlT_E_NS1_11comp_targetILNS1_3genE9ELNS1_11target_archE1100ELNS1_3gpuE3ELNS1_3repE0EEENS1_44radix_sort_block_sort_config_static_selectorELNS0_4arch9wavefront6targetE0EEEvSF_.num_named_barrier, 0
	.set _ZN7rocprim17ROCPRIM_400000_NS6detail17trampoline_kernelINS0_13kernel_configILj256ELj4ELj4294967295EEENS1_37radix_sort_block_sort_config_selectorIsNS0_10empty_typeEEEZNS1_21radix_sort_block_sortIS4_Lb0EPKsPsPS6_SC_NS0_19identity_decomposerEEE10hipError_tT1_T2_T3_T4_jRjT5_jjP12ihipStream_tbEUlT_E_NS1_11comp_targetILNS1_3genE9ELNS1_11target_archE1100ELNS1_3gpuE3ELNS1_3repE0EEENS1_44radix_sort_block_sort_config_static_selectorELNS0_4arch9wavefront6targetE0EEEvSF_.private_seg_size, 0
	.set _ZN7rocprim17ROCPRIM_400000_NS6detail17trampoline_kernelINS0_13kernel_configILj256ELj4ELj4294967295EEENS1_37radix_sort_block_sort_config_selectorIsNS0_10empty_typeEEEZNS1_21radix_sort_block_sortIS4_Lb0EPKsPsPS6_SC_NS0_19identity_decomposerEEE10hipError_tT1_T2_T3_T4_jRjT5_jjP12ihipStream_tbEUlT_E_NS1_11comp_targetILNS1_3genE9ELNS1_11target_archE1100ELNS1_3gpuE3ELNS1_3repE0EEENS1_44radix_sort_block_sort_config_static_selectorELNS0_4arch9wavefront6targetE0EEEvSF_.uses_vcc, 0
	.set _ZN7rocprim17ROCPRIM_400000_NS6detail17trampoline_kernelINS0_13kernel_configILj256ELj4ELj4294967295EEENS1_37radix_sort_block_sort_config_selectorIsNS0_10empty_typeEEEZNS1_21radix_sort_block_sortIS4_Lb0EPKsPsPS6_SC_NS0_19identity_decomposerEEE10hipError_tT1_T2_T3_T4_jRjT5_jjP12ihipStream_tbEUlT_E_NS1_11comp_targetILNS1_3genE9ELNS1_11target_archE1100ELNS1_3gpuE3ELNS1_3repE0EEENS1_44radix_sort_block_sort_config_static_selectorELNS0_4arch9wavefront6targetE0EEEvSF_.uses_flat_scratch, 0
	.set _ZN7rocprim17ROCPRIM_400000_NS6detail17trampoline_kernelINS0_13kernel_configILj256ELj4ELj4294967295EEENS1_37radix_sort_block_sort_config_selectorIsNS0_10empty_typeEEEZNS1_21radix_sort_block_sortIS4_Lb0EPKsPsPS6_SC_NS0_19identity_decomposerEEE10hipError_tT1_T2_T3_T4_jRjT5_jjP12ihipStream_tbEUlT_E_NS1_11comp_targetILNS1_3genE9ELNS1_11target_archE1100ELNS1_3gpuE3ELNS1_3repE0EEENS1_44radix_sort_block_sort_config_static_selectorELNS0_4arch9wavefront6targetE0EEEvSF_.has_dyn_sized_stack, 0
	.set _ZN7rocprim17ROCPRIM_400000_NS6detail17trampoline_kernelINS0_13kernel_configILj256ELj4ELj4294967295EEENS1_37radix_sort_block_sort_config_selectorIsNS0_10empty_typeEEEZNS1_21radix_sort_block_sortIS4_Lb0EPKsPsPS6_SC_NS0_19identity_decomposerEEE10hipError_tT1_T2_T3_T4_jRjT5_jjP12ihipStream_tbEUlT_E_NS1_11comp_targetILNS1_3genE9ELNS1_11target_archE1100ELNS1_3gpuE3ELNS1_3repE0EEENS1_44radix_sort_block_sort_config_static_selectorELNS0_4arch9wavefront6targetE0EEEvSF_.has_recursion, 0
	.set _ZN7rocprim17ROCPRIM_400000_NS6detail17trampoline_kernelINS0_13kernel_configILj256ELj4ELj4294967295EEENS1_37radix_sort_block_sort_config_selectorIsNS0_10empty_typeEEEZNS1_21radix_sort_block_sortIS4_Lb0EPKsPsPS6_SC_NS0_19identity_decomposerEEE10hipError_tT1_T2_T3_T4_jRjT5_jjP12ihipStream_tbEUlT_E_NS1_11comp_targetILNS1_3genE9ELNS1_11target_archE1100ELNS1_3gpuE3ELNS1_3repE0EEENS1_44radix_sort_block_sort_config_static_selectorELNS0_4arch9wavefront6targetE0EEEvSF_.has_indirect_call, 0
	.section	.AMDGPU.csdata,"",@progbits
; Kernel info:
; codeLenInByte = 0
; TotalNumSgprs: 0
; NumVgprs: 0
; ScratchSize: 0
; MemoryBound: 0
; FloatMode: 240
; IeeeMode: 1
; LDSByteSize: 0 bytes/workgroup (compile time only)
; SGPRBlocks: 0
; VGPRBlocks: 0
; NumSGPRsForWavesPerEU: 1
; NumVGPRsForWavesPerEU: 1
; NamedBarCnt: 0
; Occupancy: 16
; WaveLimiterHint : 0
; COMPUTE_PGM_RSRC2:SCRATCH_EN: 0
; COMPUTE_PGM_RSRC2:USER_SGPR: 2
; COMPUTE_PGM_RSRC2:TRAP_HANDLER: 0
; COMPUTE_PGM_RSRC2:TGID_X_EN: 1
; COMPUTE_PGM_RSRC2:TGID_Y_EN: 0
; COMPUTE_PGM_RSRC2:TGID_Z_EN: 0
; COMPUTE_PGM_RSRC2:TIDIG_COMP_CNT: 0
	.section	.text._ZN7rocprim17ROCPRIM_400000_NS6detail17trampoline_kernelINS0_13kernel_configILj256ELj4ELj4294967295EEENS1_37radix_sort_block_sort_config_selectorIsNS0_10empty_typeEEEZNS1_21radix_sort_block_sortIS4_Lb0EPKsPsPS6_SC_NS0_19identity_decomposerEEE10hipError_tT1_T2_T3_T4_jRjT5_jjP12ihipStream_tbEUlT_E_NS1_11comp_targetILNS1_3genE8ELNS1_11target_archE1030ELNS1_3gpuE2ELNS1_3repE0EEENS1_44radix_sort_block_sort_config_static_selectorELNS0_4arch9wavefront6targetE0EEEvSF_,"axG",@progbits,_ZN7rocprim17ROCPRIM_400000_NS6detail17trampoline_kernelINS0_13kernel_configILj256ELj4ELj4294967295EEENS1_37radix_sort_block_sort_config_selectorIsNS0_10empty_typeEEEZNS1_21radix_sort_block_sortIS4_Lb0EPKsPsPS6_SC_NS0_19identity_decomposerEEE10hipError_tT1_T2_T3_T4_jRjT5_jjP12ihipStream_tbEUlT_E_NS1_11comp_targetILNS1_3genE8ELNS1_11target_archE1030ELNS1_3gpuE2ELNS1_3repE0EEENS1_44radix_sort_block_sort_config_static_selectorELNS0_4arch9wavefront6targetE0EEEvSF_,comdat
	.protected	_ZN7rocprim17ROCPRIM_400000_NS6detail17trampoline_kernelINS0_13kernel_configILj256ELj4ELj4294967295EEENS1_37radix_sort_block_sort_config_selectorIsNS0_10empty_typeEEEZNS1_21radix_sort_block_sortIS4_Lb0EPKsPsPS6_SC_NS0_19identity_decomposerEEE10hipError_tT1_T2_T3_T4_jRjT5_jjP12ihipStream_tbEUlT_E_NS1_11comp_targetILNS1_3genE8ELNS1_11target_archE1030ELNS1_3gpuE2ELNS1_3repE0EEENS1_44radix_sort_block_sort_config_static_selectorELNS0_4arch9wavefront6targetE0EEEvSF_ ; -- Begin function _ZN7rocprim17ROCPRIM_400000_NS6detail17trampoline_kernelINS0_13kernel_configILj256ELj4ELj4294967295EEENS1_37radix_sort_block_sort_config_selectorIsNS0_10empty_typeEEEZNS1_21radix_sort_block_sortIS4_Lb0EPKsPsPS6_SC_NS0_19identity_decomposerEEE10hipError_tT1_T2_T3_T4_jRjT5_jjP12ihipStream_tbEUlT_E_NS1_11comp_targetILNS1_3genE8ELNS1_11target_archE1030ELNS1_3gpuE2ELNS1_3repE0EEENS1_44radix_sort_block_sort_config_static_selectorELNS0_4arch9wavefront6targetE0EEEvSF_
	.globl	_ZN7rocprim17ROCPRIM_400000_NS6detail17trampoline_kernelINS0_13kernel_configILj256ELj4ELj4294967295EEENS1_37radix_sort_block_sort_config_selectorIsNS0_10empty_typeEEEZNS1_21radix_sort_block_sortIS4_Lb0EPKsPsPS6_SC_NS0_19identity_decomposerEEE10hipError_tT1_T2_T3_T4_jRjT5_jjP12ihipStream_tbEUlT_E_NS1_11comp_targetILNS1_3genE8ELNS1_11target_archE1030ELNS1_3gpuE2ELNS1_3repE0EEENS1_44radix_sort_block_sort_config_static_selectorELNS0_4arch9wavefront6targetE0EEEvSF_
	.p2align	8
	.type	_ZN7rocprim17ROCPRIM_400000_NS6detail17trampoline_kernelINS0_13kernel_configILj256ELj4ELj4294967295EEENS1_37radix_sort_block_sort_config_selectorIsNS0_10empty_typeEEEZNS1_21radix_sort_block_sortIS4_Lb0EPKsPsPS6_SC_NS0_19identity_decomposerEEE10hipError_tT1_T2_T3_T4_jRjT5_jjP12ihipStream_tbEUlT_E_NS1_11comp_targetILNS1_3genE8ELNS1_11target_archE1030ELNS1_3gpuE2ELNS1_3repE0EEENS1_44radix_sort_block_sort_config_static_selectorELNS0_4arch9wavefront6targetE0EEEvSF_,@function
_ZN7rocprim17ROCPRIM_400000_NS6detail17trampoline_kernelINS0_13kernel_configILj256ELj4ELj4294967295EEENS1_37radix_sort_block_sort_config_selectorIsNS0_10empty_typeEEEZNS1_21radix_sort_block_sortIS4_Lb0EPKsPsPS6_SC_NS0_19identity_decomposerEEE10hipError_tT1_T2_T3_T4_jRjT5_jjP12ihipStream_tbEUlT_E_NS1_11comp_targetILNS1_3genE8ELNS1_11target_archE1030ELNS1_3gpuE2ELNS1_3repE0EEENS1_44radix_sort_block_sort_config_static_selectorELNS0_4arch9wavefront6targetE0EEEvSF_: ; @_ZN7rocprim17ROCPRIM_400000_NS6detail17trampoline_kernelINS0_13kernel_configILj256ELj4ELj4294967295EEENS1_37radix_sort_block_sort_config_selectorIsNS0_10empty_typeEEEZNS1_21radix_sort_block_sortIS4_Lb0EPKsPsPS6_SC_NS0_19identity_decomposerEEE10hipError_tT1_T2_T3_T4_jRjT5_jjP12ihipStream_tbEUlT_E_NS1_11comp_targetILNS1_3genE8ELNS1_11target_archE1030ELNS1_3gpuE2ELNS1_3repE0EEENS1_44radix_sort_block_sort_config_static_selectorELNS0_4arch9wavefront6targetE0EEEvSF_
; %bb.0:
	.section	.rodata,"a",@progbits
	.p2align	6, 0x0
	.amdhsa_kernel _ZN7rocprim17ROCPRIM_400000_NS6detail17trampoline_kernelINS0_13kernel_configILj256ELj4ELj4294967295EEENS1_37radix_sort_block_sort_config_selectorIsNS0_10empty_typeEEEZNS1_21radix_sort_block_sortIS4_Lb0EPKsPsPS6_SC_NS0_19identity_decomposerEEE10hipError_tT1_T2_T3_T4_jRjT5_jjP12ihipStream_tbEUlT_E_NS1_11comp_targetILNS1_3genE8ELNS1_11target_archE1030ELNS1_3gpuE2ELNS1_3repE0EEENS1_44radix_sort_block_sort_config_static_selectorELNS0_4arch9wavefront6targetE0EEEvSF_
		.amdhsa_group_segment_fixed_size 0
		.amdhsa_private_segment_fixed_size 0
		.amdhsa_kernarg_size 48
		.amdhsa_user_sgpr_count 2
		.amdhsa_user_sgpr_dispatch_ptr 0
		.amdhsa_user_sgpr_queue_ptr 0
		.amdhsa_user_sgpr_kernarg_segment_ptr 1
		.amdhsa_user_sgpr_dispatch_id 0
		.amdhsa_user_sgpr_kernarg_preload_length 0
		.amdhsa_user_sgpr_kernarg_preload_offset 0
		.amdhsa_user_sgpr_private_segment_size 0
		.amdhsa_wavefront_size32 1
		.amdhsa_uses_dynamic_stack 0
		.amdhsa_enable_private_segment 0
		.amdhsa_system_sgpr_workgroup_id_x 1
		.amdhsa_system_sgpr_workgroup_id_y 0
		.amdhsa_system_sgpr_workgroup_id_z 0
		.amdhsa_system_sgpr_workgroup_info 0
		.amdhsa_system_vgpr_workitem_id 0
		.amdhsa_next_free_vgpr 1
		.amdhsa_next_free_sgpr 1
		.amdhsa_named_barrier_count 0
		.amdhsa_reserve_vcc 0
		.amdhsa_float_round_mode_32 0
		.amdhsa_float_round_mode_16_64 0
		.amdhsa_float_denorm_mode_32 3
		.amdhsa_float_denorm_mode_16_64 3
		.amdhsa_fp16_overflow 0
		.amdhsa_memory_ordered 1
		.amdhsa_forward_progress 1
		.amdhsa_inst_pref_size 0
		.amdhsa_round_robin_scheduling 0
		.amdhsa_exception_fp_ieee_invalid_op 0
		.amdhsa_exception_fp_denorm_src 0
		.amdhsa_exception_fp_ieee_div_zero 0
		.amdhsa_exception_fp_ieee_overflow 0
		.amdhsa_exception_fp_ieee_underflow 0
		.amdhsa_exception_fp_ieee_inexact 0
		.amdhsa_exception_int_div_zero 0
	.end_amdhsa_kernel
	.section	.text._ZN7rocprim17ROCPRIM_400000_NS6detail17trampoline_kernelINS0_13kernel_configILj256ELj4ELj4294967295EEENS1_37radix_sort_block_sort_config_selectorIsNS0_10empty_typeEEEZNS1_21radix_sort_block_sortIS4_Lb0EPKsPsPS6_SC_NS0_19identity_decomposerEEE10hipError_tT1_T2_T3_T4_jRjT5_jjP12ihipStream_tbEUlT_E_NS1_11comp_targetILNS1_3genE8ELNS1_11target_archE1030ELNS1_3gpuE2ELNS1_3repE0EEENS1_44radix_sort_block_sort_config_static_selectorELNS0_4arch9wavefront6targetE0EEEvSF_,"axG",@progbits,_ZN7rocprim17ROCPRIM_400000_NS6detail17trampoline_kernelINS0_13kernel_configILj256ELj4ELj4294967295EEENS1_37radix_sort_block_sort_config_selectorIsNS0_10empty_typeEEEZNS1_21radix_sort_block_sortIS4_Lb0EPKsPsPS6_SC_NS0_19identity_decomposerEEE10hipError_tT1_T2_T3_T4_jRjT5_jjP12ihipStream_tbEUlT_E_NS1_11comp_targetILNS1_3genE8ELNS1_11target_archE1030ELNS1_3gpuE2ELNS1_3repE0EEENS1_44radix_sort_block_sort_config_static_selectorELNS0_4arch9wavefront6targetE0EEEvSF_,comdat
.Lfunc_end646:
	.size	_ZN7rocprim17ROCPRIM_400000_NS6detail17trampoline_kernelINS0_13kernel_configILj256ELj4ELj4294967295EEENS1_37radix_sort_block_sort_config_selectorIsNS0_10empty_typeEEEZNS1_21radix_sort_block_sortIS4_Lb0EPKsPsPS6_SC_NS0_19identity_decomposerEEE10hipError_tT1_T2_T3_T4_jRjT5_jjP12ihipStream_tbEUlT_E_NS1_11comp_targetILNS1_3genE8ELNS1_11target_archE1030ELNS1_3gpuE2ELNS1_3repE0EEENS1_44radix_sort_block_sort_config_static_selectorELNS0_4arch9wavefront6targetE0EEEvSF_, .Lfunc_end646-_ZN7rocprim17ROCPRIM_400000_NS6detail17trampoline_kernelINS0_13kernel_configILj256ELj4ELj4294967295EEENS1_37radix_sort_block_sort_config_selectorIsNS0_10empty_typeEEEZNS1_21radix_sort_block_sortIS4_Lb0EPKsPsPS6_SC_NS0_19identity_decomposerEEE10hipError_tT1_T2_T3_T4_jRjT5_jjP12ihipStream_tbEUlT_E_NS1_11comp_targetILNS1_3genE8ELNS1_11target_archE1030ELNS1_3gpuE2ELNS1_3repE0EEENS1_44radix_sort_block_sort_config_static_selectorELNS0_4arch9wavefront6targetE0EEEvSF_
                                        ; -- End function
	.set _ZN7rocprim17ROCPRIM_400000_NS6detail17trampoline_kernelINS0_13kernel_configILj256ELj4ELj4294967295EEENS1_37radix_sort_block_sort_config_selectorIsNS0_10empty_typeEEEZNS1_21radix_sort_block_sortIS4_Lb0EPKsPsPS6_SC_NS0_19identity_decomposerEEE10hipError_tT1_T2_T3_T4_jRjT5_jjP12ihipStream_tbEUlT_E_NS1_11comp_targetILNS1_3genE8ELNS1_11target_archE1030ELNS1_3gpuE2ELNS1_3repE0EEENS1_44radix_sort_block_sort_config_static_selectorELNS0_4arch9wavefront6targetE0EEEvSF_.num_vgpr, 0
	.set _ZN7rocprim17ROCPRIM_400000_NS6detail17trampoline_kernelINS0_13kernel_configILj256ELj4ELj4294967295EEENS1_37radix_sort_block_sort_config_selectorIsNS0_10empty_typeEEEZNS1_21radix_sort_block_sortIS4_Lb0EPKsPsPS6_SC_NS0_19identity_decomposerEEE10hipError_tT1_T2_T3_T4_jRjT5_jjP12ihipStream_tbEUlT_E_NS1_11comp_targetILNS1_3genE8ELNS1_11target_archE1030ELNS1_3gpuE2ELNS1_3repE0EEENS1_44radix_sort_block_sort_config_static_selectorELNS0_4arch9wavefront6targetE0EEEvSF_.num_agpr, 0
	.set _ZN7rocprim17ROCPRIM_400000_NS6detail17trampoline_kernelINS0_13kernel_configILj256ELj4ELj4294967295EEENS1_37radix_sort_block_sort_config_selectorIsNS0_10empty_typeEEEZNS1_21radix_sort_block_sortIS4_Lb0EPKsPsPS6_SC_NS0_19identity_decomposerEEE10hipError_tT1_T2_T3_T4_jRjT5_jjP12ihipStream_tbEUlT_E_NS1_11comp_targetILNS1_3genE8ELNS1_11target_archE1030ELNS1_3gpuE2ELNS1_3repE0EEENS1_44radix_sort_block_sort_config_static_selectorELNS0_4arch9wavefront6targetE0EEEvSF_.numbered_sgpr, 0
	.set _ZN7rocprim17ROCPRIM_400000_NS6detail17trampoline_kernelINS0_13kernel_configILj256ELj4ELj4294967295EEENS1_37radix_sort_block_sort_config_selectorIsNS0_10empty_typeEEEZNS1_21radix_sort_block_sortIS4_Lb0EPKsPsPS6_SC_NS0_19identity_decomposerEEE10hipError_tT1_T2_T3_T4_jRjT5_jjP12ihipStream_tbEUlT_E_NS1_11comp_targetILNS1_3genE8ELNS1_11target_archE1030ELNS1_3gpuE2ELNS1_3repE0EEENS1_44radix_sort_block_sort_config_static_selectorELNS0_4arch9wavefront6targetE0EEEvSF_.num_named_barrier, 0
	.set _ZN7rocprim17ROCPRIM_400000_NS6detail17trampoline_kernelINS0_13kernel_configILj256ELj4ELj4294967295EEENS1_37radix_sort_block_sort_config_selectorIsNS0_10empty_typeEEEZNS1_21radix_sort_block_sortIS4_Lb0EPKsPsPS6_SC_NS0_19identity_decomposerEEE10hipError_tT1_T2_T3_T4_jRjT5_jjP12ihipStream_tbEUlT_E_NS1_11comp_targetILNS1_3genE8ELNS1_11target_archE1030ELNS1_3gpuE2ELNS1_3repE0EEENS1_44radix_sort_block_sort_config_static_selectorELNS0_4arch9wavefront6targetE0EEEvSF_.private_seg_size, 0
	.set _ZN7rocprim17ROCPRIM_400000_NS6detail17trampoline_kernelINS0_13kernel_configILj256ELj4ELj4294967295EEENS1_37radix_sort_block_sort_config_selectorIsNS0_10empty_typeEEEZNS1_21radix_sort_block_sortIS4_Lb0EPKsPsPS6_SC_NS0_19identity_decomposerEEE10hipError_tT1_T2_T3_T4_jRjT5_jjP12ihipStream_tbEUlT_E_NS1_11comp_targetILNS1_3genE8ELNS1_11target_archE1030ELNS1_3gpuE2ELNS1_3repE0EEENS1_44radix_sort_block_sort_config_static_selectorELNS0_4arch9wavefront6targetE0EEEvSF_.uses_vcc, 0
	.set _ZN7rocprim17ROCPRIM_400000_NS6detail17trampoline_kernelINS0_13kernel_configILj256ELj4ELj4294967295EEENS1_37radix_sort_block_sort_config_selectorIsNS0_10empty_typeEEEZNS1_21radix_sort_block_sortIS4_Lb0EPKsPsPS6_SC_NS0_19identity_decomposerEEE10hipError_tT1_T2_T3_T4_jRjT5_jjP12ihipStream_tbEUlT_E_NS1_11comp_targetILNS1_3genE8ELNS1_11target_archE1030ELNS1_3gpuE2ELNS1_3repE0EEENS1_44radix_sort_block_sort_config_static_selectorELNS0_4arch9wavefront6targetE0EEEvSF_.uses_flat_scratch, 0
	.set _ZN7rocprim17ROCPRIM_400000_NS6detail17trampoline_kernelINS0_13kernel_configILj256ELj4ELj4294967295EEENS1_37radix_sort_block_sort_config_selectorIsNS0_10empty_typeEEEZNS1_21radix_sort_block_sortIS4_Lb0EPKsPsPS6_SC_NS0_19identity_decomposerEEE10hipError_tT1_T2_T3_T4_jRjT5_jjP12ihipStream_tbEUlT_E_NS1_11comp_targetILNS1_3genE8ELNS1_11target_archE1030ELNS1_3gpuE2ELNS1_3repE0EEENS1_44radix_sort_block_sort_config_static_selectorELNS0_4arch9wavefront6targetE0EEEvSF_.has_dyn_sized_stack, 0
	.set _ZN7rocprim17ROCPRIM_400000_NS6detail17trampoline_kernelINS0_13kernel_configILj256ELj4ELj4294967295EEENS1_37radix_sort_block_sort_config_selectorIsNS0_10empty_typeEEEZNS1_21radix_sort_block_sortIS4_Lb0EPKsPsPS6_SC_NS0_19identity_decomposerEEE10hipError_tT1_T2_T3_T4_jRjT5_jjP12ihipStream_tbEUlT_E_NS1_11comp_targetILNS1_3genE8ELNS1_11target_archE1030ELNS1_3gpuE2ELNS1_3repE0EEENS1_44radix_sort_block_sort_config_static_selectorELNS0_4arch9wavefront6targetE0EEEvSF_.has_recursion, 0
	.set _ZN7rocprim17ROCPRIM_400000_NS6detail17trampoline_kernelINS0_13kernel_configILj256ELj4ELj4294967295EEENS1_37radix_sort_block_sort_config_selectorIsNS0_10empty_typeEEEZNS1_21radix_sort_block_sortIS4_Lb0EPKsPsPS6_SC_NS0_19identity_decomposerEEE10hipError_tT1_T2_T3_T4_jRjT5_jjP12ihipStream_tbEUlT_E_NS1_11comp_targetILNS1_3genE8ELNS1_11target_archE1030ELNS1_3gpuE2ELNS1_3repE0EEENS1_44radix_sort_block_sort_config_static_selectorELNS0_4arch9wavefront6targetE0EEEvSF_.has_indirect_call, 0
	.section	.AMDGPU.csdata,"",@progbits
; Kernel info:
; codeLenInByte = 0
; TotalNumSgprs: 0
; NumVgprs: 0
; ScratchSize: 0
; MemoryBound: 0
; FloatMode: 240
; IeeeMode: 1
; LDSByteSize: 0 bytes/workgroup (compile time only)
; SGPRBlocks: 0
; VGPRBlocks: 0
; NumSGPRsForWavesPerEU: 1
; NumVGPRsForWavesPerEU: 1
; NamedBarCnt: 0
; Occupancy: 16
; WaveLimiterHint : 0
; COMPUTE_PGM_RSRC2:SCRATCH_EN: 0
; COMPUTE_PGM_RSRC2:USER_SGPR: 2
; COMPUTE_PGM_RSRC2:TRAP_HANDLER: 0
; COMPUTE_PGM_RSRC2:TGID_X_EN: 1
; COMPUTE_PGM_RSRC2:TGID_Y_EN: 0
; COMPUTE_PGM_RSRC2:TGID_Z_EN: 0
; COMPUTE_PGM_RSRC2:TIDIG_COMP_CNT: 0
	.section	.text._ZN7rocprim17ROCPRIM_400000_NS6detail17trampoline_kernelINS0_14default_configENS1_38merge_sort_block_merge_config_selectorIsNS0_10empty_typeEEEZZNS1_27merge_sort_block_merge_implIS3_PsPS5_jNS1_19radix_merge_compareILb0ELb0EsNS0_19identity_decomposerEEEEE10hipError_tT0_T1_T2_jT3_P12ihipStream_tbPNSt15iterator_traitsISE_E10value_typeEPNSK_ISF_E10value_typeEPSG_NS1_7vsmem_tEENKUlT_SE_SF_SG_E_clIS8_S8_S9_S9_EESD_ST_SE_SF_SG_EUlST_E_NS1_11comp_targetILNS1_3genE0ELNS1_11target_archE4294967295ELNS1_3gpuE0ELNS1_3repE0EEENS1_48merge_mergepath_partition_config_static_selectorELNS0_4arch9wavefront6targetE0EEEvSF_,"axG",@progbits,_ZN7rocprim17ROCPRIM_400000_NS6detail17trampoline_kernelINS0_14default_configENS1_38merge_sort_block_merge_config_selectorIsNS0_10empty_typeEEEZZNS1_27merge_sort_block_merge_implIS3_PsPS5_jNS1_19radix_merge_compareILb0ELb0EsNS0_19identity_decomposerEEEEE10hipError_tT0_T1_T2_jT3_P12ihipStream_tbPNSt15iterator_traitsISE_E10value_typeEPNSK_ISF_E10value_typeEPSG_NS1_7vsmem_tEENKUlT_SE_SF_SG_E_clIS8_S8_S9_S9_EESD_ST_SE_SF_SG_EUlST_E_NS1_11comp_targetILNS1_3genE0ELNS1_11target_archE4294967295ELNS1_3gpuE0ELNS1_3repE0EEENS1_48merge_mergepath_partition_config_static_selectorELNS0_4arch9wavefront6targetE0EEEvSF_,comdat
	.protected	_ZN7rocprim17ROCPRIM_400000_NS6detail17trampoline_kernelINS0_14default_configENS1_38merge_sort_block_merge_config_selectorIsNS0_10empty_typeEEEZZNS1_27merge_sort_block_merge_implIS3_PsPS5_jNS1_19radix_merge_compareILb0ELb0EsNS0_19identity_decomposerEEEEE10hipError_tT0_T1_T2_jT3_P12ihipStream_tbPNSt15iterator_traitsISE_E10value_typeEPNSK_ISF_E10value_typeEPSG_NS1_7vsmem_tEENKUlT_SE_SF_SG_E_clIS8_S8_S9_S9_EESD_ST_SE_SF_SG_EUlST_E_NS1_11comp_targetILNS1_3genE0ELNS1_11target_archE4294967295ELNS1_3gpuE0ELNS1_3repE0EEENS1_48merge_mergepath_partition_config_static_selectorELNS0_4arch9wavefront6targetE0EEEvSF_ ; -- Begin function _ZN7rocprim17ROCPRIM_400000_NS6detail17trampoline_kernelINS0_14default_configENS1_38merge_sort_block_merge_config_selectorIsNS0_10empty_typeEEEZZNS1_27merge_sort_block_merge_implIS3_PsPS5_jNS1_19radix_merge_compareILb0ELb0EsNS0_19identity_decomposerEEEEE10hipError_tT0_T1_T2_jT3_P12ihipStream_tbPNSt15iterator_traitsISE_E10value_typeEPNSK_ISF_E10value_typeEPSG_NS1_7vsmem_tEENKUlT_SE_SF_SG_E_clIS8_S8_S9_S9_EESD_ST_SE_SF_SG_EUlST_E_NS1_11comp_targetILNS1_3genE0ELNS1_11target_archE4294967295ELNS1_3gpuE0ELNS1_3repE0EEENS1_48merge_mergepath_partition_config_static_selectorELNS0_4arch9wavefront6targetE0EEEvSF_
	.globl	_ZN7rocprim17ROCPRIM_400000_NS6detail17trampoline_kernelINS0_14default_configENS1_38merge_sort_block_merge_config_selectorIsNS0_10empty_typeEEEZZNS1_27merge_sort_block_merge_implIS3_PsPS5_jNS1_19radix_merge_compareILb0ELb0EsNS0_19identity_decomposerEEEEE10hipError_tT0_T1_T2_jT3_P12ihipStream_tbPNSt15iterator_traitsISE_E10value_typeEPNSK_ISF_E10value_typeEPSG_NS1_7vsmem_tEENKUlT_SE_SF_SG_E_clIS8_S8_S9_S9_EESD_ST_SE_SF_SG_EUlST_E_NS1_11comp_targetILNS1_3genE0ELNS1_11target_archE4294967295ELNS1_3gpuE0ELNS1_3repE0EEENS1_48merge_mergepath_partition_config_static_selectorELNS0_4arch9wavefront6targetE0EEEvSF_
	.p2align	8
	.type	_ZN7rocprim17ROCPRIM_400000_NS6detail17trampoline_kernelINS0_14default_configENS1_38merge_sort_block_merge_config_selectorIsNS0_10empty_typeEEEZZNS1_27merge_sort_block_merge_implIS3_PsPS5_jNS1_19radix_merge_compareILb0ELb0EsNS0_19identity_decomposerEEEEE10hipError_tT0_T1_T2_jT3_P12ihipStream_tbPNSt15iterator_traitsISE_E10value_typeEPNSK_ISF_E10value_typeEPSG_NS1_7vsmem_tEENKUlT_SE_SF_SG_E_clIS8_S8_S9_S9_EESD_ST_SE_SF_SG_EUlST_E_NS1_11comp_targetILNS1_3genE0ELNS1_11target_archE4294967295ELNS1_3gpuE0ELNS1_3repE0EEENS1_48merge_mergepath_partition_config_static_selectorELNS0_4arch9wavefront6targetE0EEEvSF_,@function
_ZN7rocprim17ROCPRIM_400000_NS6detail17trampoline_kernelINS0_14default_configENS1_38merge_sort_block_merge_config_selectorIsNS0_10empty_typeEEEZZNS1_27merge_sort_block_merge_implIS3_PsPS5_jNS1_19radix_merge_compareILb0ELb0EsNS0_19identity_decomposerEEEEE10hipError_tT0_T1_T2_jT3_P12ihipStream_tbPNSt15iterator_traitsISE_E10value_typeEPNSK_ISF_E10value_typeEPSG_NS1_7vsmem_tEENKUlT_SE_SF_SG_E_clIS8_S8_S9_S9_EESD_ST_SE_SF_SG_EUlST_E_NS1_11comp_targetILNS1_3genE0ELNS1_11target_archE4294967295ELNS1_3gpuE0ELNS1_3repE0EEENS1_48merge_mergepath_partition_config_static_selectorELNS0_4arch9wavefront6targetE0EEEvSF_: ; @_ZN7rocprim17ROCPRIM_400000_NS6detail17trampoline_kernelINS0_14default_configENS1_38merge_sort_block_merge_config_selectorIsNS0_10empty_typeEEEZZNS1_27merge_sort_block_merge_implIS3_PsPS5_jNS1_19radix_merge_compareILb0ELb0EsNS0_19identity_decomposerEEEEE10hipError_tT0_T1_T2_jT3_P12ihipStream_tbPNSt15iterator_traitsISE_E10value_typeEPNSK_ISF_E10value_typeEPSG_NS1_7vsmem_tEENKUlT_SE_SF_SG_E_clIS8_S8_S9_S9_EESD_ST_SE_SF_SG_EUlST_E_NS1_11comp_targetILNS1_3genE0ELNS1_11target_archE4294967295ELNS1_3gpuE0ELNS1_3repE0EEENS1_48merge_mergepath_partition_config_static_selectorELNS0_4arch9wavefront6targetE0EEEvSF_
; %bb.0:
	s_load_b32 s2, s[0:1], 0x0
	s_bfe_u32 s3, ttmp6, 0x4000c
	s_and_b32 s4, ttmp6, 15
	s_add_co_i32 s3, s3, 1
	s_getreg_b32 s5, hwreg(HW_REG_IB_STS2, 6, 4)
	s_mul_i32 s3, ttmp9, s3
	s_delay_alu instid0(SALU_CYCLE_1) | instskip(SKIP_2) | instid1(SALU_CYCLE_1)
	s_add_co_i32 s4, s4, s3
	s_cmp_eq_u32 s5, 0
	s_cselect_b32 s3, ttmp9, s4
	v_lshl_or_b32 v8, s3, 7, v0
	s_wait_kmcnt 0x0
	s_delay_alu instid0(VALU_DEP_1)
	v_cmp_gt_u32_e32 vcc_lo, s2, v8
	s_and_saveexec_b32 s2, vcc_lo
	s_cbranch_execz .LBB647_6
; %bb.1:
	s_load_b64 s[2:3], s[0:1], 0x4
	s_wait_kmcnt 0x0
	s_lshr_b32 s4, s2, 9
	s_delay_alu instid0(SALU_CYCLE_1) | instskip(NEXT) | instid1(SALU_CYCLE_1)
	s_and_b32 s4, s4, 0x7ffffe
	s_sub_co_i32 s5, 0, s4
	s_add_co_i32 s4, s4, -1
	s_delay_alu instid0(SALU_CYCLE_1) | instskip(SKIP_2) | instid1(VALU_DEP_1)
	v_and_b32_e32 v1, s4, v8
	v_and_b32_e32 v0, s5, v8
	s_mov_b32 s4, exec_lo
	v_dual_lshlrev_b32 v1, 10, v1 :: v_dual_lshlrev_b32 v0, 10, v0
	s_delay_alu instid0(VALU_DEP_1) | instskip(SKIP_1) | instid1(VALU_DEP_2)
	v_add_min_u32_e64 v2, v0, s2, s3
	v_min_u32_e32 v0, s3, v0
	v_add_min_u32_e64 v3, v2, s2, s3
	s_load_b64 s[2:3], s[0:1], 0x20
	s_delay_alu instid0(VALU_DEP_1) | instskip(NEXT) | instid1(VALU_DEP_1)
	v_dual_sub_nc_u32 v4, v3, v0 :: v_dual_sub_nc_u32 v3, v3, v2
	v_min_u32_e32 v10, v4, v1
	v_sub_nc_u32_e32 v1, v2, v0
	s_delay_alu instid0(VALU_DEP_2) | instskip(NEXT) | instid1(VALU_DEP_2)
	v_sub_nc_u32_e64 v9, v10, v3 clamp
	v_min_u32_e32 v11, v10, v1
	s_delay_alu instid0(VALU_DEP_1)
	v_cmpx_lt_u32_e64 v9, v11
	s_cbranch_execz .LBB647_5
; %bb.2:
	s_wait_xcnt 0x0
	s_load_b64 s[0:1], s[0:1], 0x10
	v_mov_b32_e32 v3, 0
	s_delay_alu instid0(VALU_DEP_1) | instskip(SKIP_1) | instid1(VALU_DEP_1)
	v_mov_b32_e32 v1, v3
	s_wait_kmcnt 0x0
	v_lshl_add_u64 v[4:5], v[0:1], 1, s[0:1]
	v_lshl_add_u64 v[6:7], v[2:3], 1, s[0:1]
	s_mov_b32 s0, 0
.LBB647_3:                              ; =>This Inner Loop Header: Depth=1
	v_add_nc_u32_e32 v1, v11, v9
	s_delay_alu instid0(VALU_DEP_1) | instskip(SKIP_1) | instid1(VALU_DEP_2)
	v_dual_mov_b32 v13, v3 :: v_dual_lshrrev_b32 v16, 1, v1
	v_and_b32_e32 v2, -2, v1
	v_xad_u32 v12, v16, -1, v10
	s_delay_alu instid0(VALU_DEP_2) | instskip(NEXT) | instid1(VALU_DEP_2)
	v_add_nc_u64_e32 v[14:15], v[4:5], v[2:3]
	v_lshl_add_u64 v[12:13], v[12:13], 1, v[6:7]
	s_clause 0x1
	global_load_u16 v1, v[14:15], off
	global_load_u16 v2, v[12:13], off
	s_wait_xcnt 0x0
	v_add_nc_u32_e32 v12, 1, v16
	s_wait_loadcnt 0x0
	v_cmp_gt_i16_e32 vcc_lo, v1, v2
	s_delay_alu instid0(VALU_DEP_2) | instskip(NEXT) | instid1(VALU_DEP_1)
	v_dual_cndmask_b32 v11, v11, v16, vcc_lo :: v_dual_cndmask_b32 v9, v12, v9, vcc_lo
	v_cmp_ge_u32_e32 vcc_lo, v9, v11
	s_or_b32 s0, vcc_lo, s0
	s_delay_alu instid0(SALU_CYCLE_1)
	s_and_not1_b32 exec_lo, exec_lo, s0
	s_cbranch_execnz .LBB647_3
; %bb.4:
	s_or_b32 exec_lo, exec_lo, s0
.LBB647_5:
	s_delay_alu instid0(SALU_CYCLE_1)
	s_or_b32 exec_lo, exec_lo, s4
	v_add_nc_u32_e32 v0, v9, v0
	s_wait_kmcnt 0x0
	global_store_b32 v8, v0, s[2:3] scale_offset
.LBB647_6:
	s_endpgm
	.section	.rodata,"a",@progbits
	.p2align	6, 0x0
	.amdhsa_kernel _ZN7rocprim17ROCPRIM_400000_NS6detail17trampoline_kernelINS0_14default_configENS1_38merge_sort_block_merge_config_selectorIsNS0_10empty_typeEEEZZNS1_27merge_sort_block_merge_implIS3_PsPS5_jNS1_19radix_merge_compareILb0ELb0EsNS0_19identity_decomposerEEEEE10hipError_tT0_T1_T2_jT3_P12ihipStream_tbPNSt15iterator_traitsISE_E10value_typeEPNSK_ISF_E10value_typeEPSG_NS1_7vsmem_tEENKUlT_SE_SF_SG_E_clIS8_S8_S9_S9_EESD_ST_SE_SF_SG_EUlST_E_NS1_11comp_targetILNS1_3genE0ELNS1_11target_archE4294967295ELNS1_3gpuE0ELNS1_3repE0EEENS1_48merge_mergepath_partition_config_static_selectorELNS0_4arch9wavefront6targetE0EEEvSF_
		.amdhsa_group_segment_fixed_size 0
		.amdhsa_private_segment_fixed_size 0
		.amdhsa_kernarg_size 40
		.amdhsa_user_sgpr_count 2
		.amdhsa_user_sgpr_dispatch_ptr 0
		.amdhsa_user_sgpr_queue_ptr 0
		.amdhsa_user_sgpr_kernarg_segment_ptr 1
		.amdhsa_user_sgpr_dispatch_id 0
		.amdhsa_user_sgpr_kernarg_preload_length 0
		.amdhsa_user_sgpr_kernarg_preload_offset 0
		.amdhsa_user_sgpr_private_segment_size 0
		.amdhsa_wavefront_size32 1
		.amdhsa_uses_dynamic_stack 0
		.amdhsa_enable_private_segment 0
		.amdhsa_system_sgpr_workgroup_id_x 1
		.amdhsa_system_sgpr_workgroup_id_y 0
		.amdhsa_system_sgpr_workgroup_id_z 0
		.amdhsa_system_sgpr_workgroup_info 0
		.amdhsa_system_vgpr_workitem_id 0
		.amdhsa_next_free_vgpr 17
		.amdhsa_next_free_sgpr 6
		.amdhsa_named_barrier_count 0
		.amdhsa_reserve_vcc 1
		.amdhsa_float_round_mode_32 0
		.amdhsa_float_round_mode_16_64 0
		.amdhsa_float_denorm_mode_32 3
		.amdhsa_float_denorm_mode_16_64 3
		.amdhsa_fp16_overflow 0
		.amdhsa_memory_ordered 1
		.amdhsa_forward_progress 1
		.amdhsa_inst_pref_size 4
		.amdhsa_round_robin_scheduling 0
		.amdhsa_exception_fp_ieee_invalid_op 0
		.amdhsa_exception_fp_denorm_src 0
		.amdhsa_exception_fp_ieee_div_zero 0
		.amdhsa_exception_fp_ieee_overflow 0
		.amdhsa_exception_fp_ieee_underflow 0
		.amdhsa_exception_fp_ieee_inexact 0
		.amdhsa_exception_int_div_zero 0
	.end_amdhsa_kernel
	.section	.text._ZN7rocprim17ROCPRIM_400000_NS6detail17trampoline_kernelINS0_14default_configENS1_38merge_sort_block_merge_config_selectorIsNS0_10empty_typeEEEZZNS1_27merge_sort_block_merge_implIS3_PsPS5_jNS1_19radix_merge_compareILb0ELb0EsNS0_19identity_decomposerEEEEE10hipError_tT0_T1_T2_jT3_P12ihipStream_tbPNSt15iterator_traitsISE_E10value_typeEPNSK_ISF_E10value_typeEPSG_NS1_7vsmem_tEENKUlT_SE_SF_SG_E_clIS8_S8_S9_S9_EESD_ST_SE_SF_SG_EUlST_E_NS1_11comp_targetILNS1_3genE0ELNS1_11target_archE4294967295ELNS1_3gpuE0ELNS1_3repE0EEENS1_48merge_mergepath_partition_config_static_selectorELNS0_4arch9wavefront6targetE0EEEvSF_,"axG",@progbits,_ZN7rocprim17ROCPRIM_400000_NS6detail17trampoline_kernelINS0_14default_configENS1_38merge_sort_block_merge_config_selectorIsNS0_10empty_typeEEEZZNS1_27merge_sort_block_merge_implIS3_PsPS5_jNS1_19radix_merge_compareILb0ELb0EsNS0_19identity_decomposerEEEEE10hipError_tT0_T1_T2_jT3_P12ihipStream_tbPNSt15iterator_traitsISE_E10value_typeEPNSK_ISF_E10value_typeEPSG_NS1_7vsmem_tEENKUlT_SE_SF_SG_E_clIS8_S8_S9_S9_EESD_ST_SE_SF_SG_EUlST_E_NS1_11comp_targetILNS1_3genE0ELNS1_11target_archE4294967295ELNS1_3gpuE0ELNS1_3repE0EEENS1_48merge_mergepath_partition_config_static_selectorELNS0_4arch9wavefront6targetE0EEEvSF_,comdat
.Lfunc_end647:
	.size	_ZN7rocprim17ROCPRIM_400000_NS6detail17trampoline_kernelINS0_14default_configENS1_38merge_sort_block_merge_config_selectorIsNS0_10empty_typeEEEZZNS1_27merge_sort_block_merge_implIS3_PsPS5_jNS1_19radix_merge_compareILb0ELb0EsNS0_19identity_decomposerEEEEE10hipError_tT0_T1_T2_jT3_P12ihipStream_tbPNSt15iterator_traitsISE_E10value_typeEPNSK_ISF_E10value_typeEPSG_NS1_7vsmem_tEENKUlT_SE_SF_SG_E_clIS8_S8_S9_S9_EESD_ST_SE_SF_SG_EUlST_E_NS1_11comp_targetILNS1_3genE0ELNS1_11target_archE4294967295ELNS1_3gpuE0ELNS1_3repE0EEENS1_48merge_mergepath_partition_config_static_selectorELNS0_4arch9wavefront6targetE0EEEvSF_, .Lfunc_end647-_ZN7rocprim17ROCPRIM_400000_NS6detail17trampoline_kernelINS0_14default_configENS1_38merge_sort_block_merge_config_selectorIsNS0_10empty_typeEEEZZNS1_27merge_sort_block_merge_implIS3_PsPS5_jNS1_19radix_merge_compareILb0ELb0EsNS0_19identity_decomposerEEEEE10hipError_tT0_T1_T2_jT3_P12ihipStream_tbPNSt15iterator_traitsISE_E10value_typeEPNSK_ISF_E10value_typeEPSG_NS1_7vsmem_tEENKUlT_SE_SF_SG_E_clIS8_S8_S9_S9_EESD_ST_SE_SF_SG_EUlST_E_NS1_11comp_targetILNS1_3genE0ELNS1_11target_archE4294967295ELNS1_3gpuE0ELNS1_3repE0EEENS1_48merge_mergepath_partition_config_static_selectorELNS0_4arch9wavefront6targetE0EEEvSF_
                                        ; -- End function
	.set _ZN7rocprim17ROCPRIM_400000_NS6detail17trampoline_kernelINS0_14default_configENS1_38merge_sort_block_merge_config_selectorIsNS0_10empty_typeEEEZZNS1_27merge_sort_block_merge_implIS3_PsPS5_jNS1_19radix_merge_compareILb0ELb0EsNS0_19identity_decomposerEEEEE10hipError_tT0_T1_T2_jT3_P12ihipStream_tbPNSt15iterator_traitsISE_E10value_typeEPNSK_ISF_E10value_typeEPSG_NS1_7vsmem_tEENKUlT_SE_SF_SG_E_clIS8_S8_S9_S9_EESD_ST_SE_SF_SG_EUlST_E_NS1_11comp_targetILNS1_3genE0ELNS1_11target_archE4294967295ELNS1_3gpuE0ELNS1_3repE0EEENS1_48merge_mergepath_partition_config_static_selectorELNS0_4arch9wavefront6targetE0EEEvSF_.num_vgpr, 17
	.set _ZN7rocprim17ROCPRIM_400000_NS6detail17trampoline_kernelINS0_14default_configENS1_38merge_sort_block_merge_config_selectorIsNS0_10empty_typeEEEZZNS1_27merge_sort_block_merge_implIS3_PsPS5_jNS1_19radix_merge_compareILb0ELb0EsNS0_19identity_decomposerEEEEE10hipError_tT0_T1_T2_jT3_P12ihipStream_tbPNSt15iterator_traitsISE_E10value_typeEPNSK_ISF_E10value_typeEPSG_NS1_7vsmem_tEENKUlT_SE_SF_SG_E_clIS8_S8_S9_S9_EESD_ST_SE_SF_SG_EUlST_E_NS1_11comp_targetILNS1_3genE0ELNS1_11target_archE4294967295ELNS1_3gpuE0ELNS1_3repE0EEENS1_48merge_mergepath_partition_config_static_selectorELNS0_4arch9wavefront6targetE0EEEvSF_.num_agpr, 0
	.set _ZN7rocprim17ROCPRIM_400000_NS6detail17trampoline_kernelINS0_14default_configENS1_38merge_sort_block_merge_config_selectorIsNS0_10empty_typeEEEZZNS1_27merge_sort_block_merge_implIS3_PsPS5_jNS1_19radix_merge_compareILb0ELb0EsNS0_19identity_decomposerEEEEE10hipError_tT0_T1_T2_jT3_P12ihipStream_tbPNSt15iterator_traitsISE_E10value_typeEPNSK_ISF_E10value_typeEPSG_NS1_7vsmem_tEENKUlT_SE_SF_SG_E_clIS8_S8_S9_S9_EESD_ST_SE_SF_SG_EUlST_E_NS1_11comp_targetILNS1_3genE0ELNS1_11target_archE4294967295ELNS1_3gpuE0ELNS1_3repE0EEENS1_48merge_mergepath_partition_config_static_selectorELNS0_4arch9wavefront6targetE0EEEvSF_.numbered_sgpr, 6
	.set _ZN7rocprim17ROCPRIM_400000_NS6detail17trampoline_kernelINS0_14default_configENS1_38merge_sort_block_merge_config_selectorIsNS0_10empty_typeEEEZZNS1_27merge_sort_block_merge_implIS3_PsPS5_jNS1_19radix_merge_compareILb0ELb0EsNS0_19identity_decomposerEEEEE10hipError_tT0_T1_T2_jT3_P12ihipStream_tbPNSt15iterator_traitsISE_E10value_typeEPNSK_ISF_E10value_typeEPSG_NS1_7vsmem_tEENKUlT_SE_SF_SG_E_clIS8_S8_S9_S9_EESD_ST_SE_SF_SG_EUlST_E_NS1_11comp_targetILNS1_3genE0ELNS1_11target_archE4294967295ELNS1_3gpuE0ELNS1_3repE0EEENS1_48merge_mergepath_partition_config_static_selectorELNS0_4arch9wavefront6targetE0EEEvSF_.num_named_barrier, 0
	.set _ZN7rocprim17ROCPRIM_400000_NS6detail17trampoline_kernelINS0_14default_configENS1_38merge_sort_block_merge_config_selectorIsNS0_10empty_typeEEEZZNS1_27merge_sort_block_merge_implIS3_PsPS5_jNS1_19radix_merge_compareILb0ELb0EsNS0_19identity_decomposerEEEEE10hipError_tT0_T1_T2_jT3_P12ihipStream_tbPNSt15iterator_traitsISE_E10value_typeEPNSK_ISF_E10value_typeEPSG_NS1_7vsmem_tEENKUlT_SE_SF_SG_E_clIS8_S8_S9_S9_EESD_ST_SE_SF_SG_EUlST_E_NS1_11comp_targetILNS1_3genE0ELNS1_11target_archE4294967295ELNS1_3gpuE0ELNS1_3repE0EEENS1_48merge_mergepath_partition_config_static_selectorELNS0_4arch9wavefront6targetE0EEEvSF_.private_seg_size, 0
	.set _ZN7rocprim17ROCPRIM_400000_NS6detail17trampoline_kernelINS0_14default_configENS1_38merge_sort_block_merge_config_selectorIsNS0_10empty_typeEEEZZNS1_27merge_sort_block_merge_implIS3_PsPS5_jNS1_19radix_merge_compareILb0ELb0EsNS0_19identity_decomposerEEEEE10hipError_tT0_T1_T2_jT3_P12ihipStream_tbPNSt15iterator_traitsISE_E10value_typeEPNSK_ISF_E10value_typeEPSG_NS1_7vsmem_tEENKUlT_SE_SF_SG_E_clIS8_S8_S9_S9_EESD_ST_SE_SF_SG_EUlST_E_NS1_11comp_targetILNS1_3genE0ELNS1_11target_archE4294967295ELNS1_3gpuE0ELNS1_3repE0EEENS1_48merge_mergepath_partition_config_static_selectorELNS0_4arch9wavefront6targetE0EEEvSF_.uses_vcc, 1
	.set _ZN7rocprim17ROCPRIM_400000_NS6detail17trampoline_kernelINS0_14default_configENS1_38merge_sort_block_merge_config_selectorIsNS0_10empty_typeEEEZZNS1_27merge_sort_block_merge_implIS3_PsPS5_jNS1_19radix_merge_compareILb0ELb0EsNS0_19identity_decomposerEEEEE10hipError_tT0_T1_T2_jT3_P12ihipStream_tbPNSt15iterator_traitsISE_E10value_typeEPNSK_ISF_E10value_typeEPSG_NS1_7vsmem_tEENKUlT_SE_SF_SG_E_clIS8_S8_S9_S9_EESD_ST_SE_SF_SG_EUlST_E_NS1_11comp_targetILNS1_3genE0ELNS1_11target_archE4294967295ELNS1_3gpuE0ELNS1_3repE0EEENS1_48merge_mergepath_partition_config_static_selectorELNS0_4arch9wavefront6targetE0EEEvSF_.uses_flat_scratch, 0
	.set _ZN7rocprim17ROCPRIM_400000_NS6detail17trampoline_kernelINS0_14default_configENS1_38merge_sort_block_merge_config_selectorIsNS0_10empty_typeEEEZZNS1_27merge_sort_block_merge_implIS3_PsPS5_jNS1_19radix_merge_compareILb0ELb0EsNS0_19identity_decomposerEEEEE10hipError_tT0_T1_T2_jT3_P12ihipStream_tbPNSt15iterator_traitsISE_E10value_typeEPNSK_ISF_E10value_typeEPSG_NS1_7vsmem_tEENKUlT_SE_SF_SG_E_clIS8_S8_S9_S9_EESD_ST_SE_SF_SG_EUlST_E_NS1_11comp_targetILNS1_3genE0ELNS1_11target_archE4294967295ELNS1_3gpuE0ELNS1_3repE0EEENS1_48merge_mergepath_partition_config_static_selectorELNS0_4arch9wavefront6targetE0EEEvSF_.has_dyn_sized_stack, 0
	.set _ZN7rocprim17ROCPRIM_400000_NS6detail17trampoline_kernelINS0_14default_configENS1_38merge_sort_block_merge_config_selectorIsNS0_10empty_typeEEEZZNS1_27merge_sort_block_merge_implIS3_PsPS5_jNS1_19radix_merge_compareILb0ELb0EsNS0_19identity_decomposerEEEEE10hipError_tT0_T1_T2_jT3_P12ihipStream_tbPNSt15iterator_traitsISE_E10value_typeEPNSK_ISF_E10value_typeEPSG_NS1_7vsmem_tEENKUlT_SE_SF_SG_E_clIS8_S8_S9_S9_EESD_ST_SE_SF_SG_EUlST_E_NS1_11comp_targetILNS1_3genE0ELNS1_11target_archE4294967295ELNS1_3gpuE0ELNS1_3repE0EEENS1_48merge_mergepath_partition_config_static_selectorELNS0_4arch9wavefront6targetE0EEEvSF_.has_recursion, 0
	.set _ZN7rocprim17ROCPRIM_400000_NS6detail17trampoline_kernelINS0_14default_configENS1_38merge_sort_block_merge_config_selectorIsNS0_10empty_typeEEEZZNS1_27merge_sort_block_merge_implIS3_PsPS5_jNS1_19radix_merge_compareILb0ELb0EsNS0_19identity_decomposerEEEEE10hipError_tT0_T1_T2_jT3_P12ihipStream_tbPNSt15iterator_traitsISE_E10value_typeEPNSK_ISF_E10value_typeEPSG_NS1_7vsmem_tEENKUlT_SE_SF_SG_E_clIS8_S8_S9_S9_EESD_ST_SE_SF_SG_EUlST_E_NS1_11comp_targetILNS1_3genE0ELNS1_11target_archE4294967295ELNS1_3gpuE0ELNS1_3repE0EEENS1_48merge_mergepath_partition_config_static_selectorELNS0_4arch9wavefront6targetE0EEEvSF_.has_indirect_call, 0
	.section	.AMDGPU.csdata,"",@progbits
; Kernel info:
; codeLenInByte = 436
; TotalNumSgprs: 8
; NumVgprs: 17
; ScratchSize: 0
; MemoryBound: 0
; FloatMode: 240
; IeeeMode: 1
; LDSByteSize: 0 bytes/workgroup (compile time only)
; SGPRBlocks: 0
; VGPRBlocks: 1
; NumSGPRsForWavesPerEU: 8
; NumVGPRsForWavesPerEU: 17
; NamedBarCnt: 0
; Occupancy: 16
; WaveLimiterHint : 0
; COMPUTE_PGM_RSRC2:SCRATCH_EN: 0
; COMPUTE_PGM_RSRC2:USER_SGPR: 2
; COMPUTE_PGM_RSRC2:TRAP_HANDLER: 0
; COMPUTE_PGM_RSRC2:TGID_X_EN: 1
; COMPUTE_PGM_RSRC2:TGID_Y_EN: 0
; COMPUTE_PGM_RSRC2:TGID_Z_EN: 0
; COMPUTE_PGM_RSRC2:TIDIG_COMP_CNT: 0
	.section	.text._ZN7rocprim17ROCPRIM_400000_NS6detail17trampoline_kernelINS0_14default_configENS1_38merge_sort_block_merge_config_selectorIsNS0_10empty_typeEEEZZNS1_27merge_sort_block_merge_implIS3_PsPS5_jNS1_19radix_merge_compareILb0ELb0EsNS0_19identity_decomposerEEEEE10hipError_tT0_T1_T2_jT3_P12ihipStream_tbPNSt15iterator_traitsISE_E10value_typeEPNSK_ISF_E10value_typeEPSG_NS1_7vsmem_tEENKUlT_SE_SF_SG_E_clIS8_S8_S9_S9_EESD_ST_SE_SF_SG_EUlST_E_NS1_11comp_targetILNS1_3genE10ELNS1_11target_archE1201ELNS1_3gpuE5ELNS1_3repE0EEENS1_48merge_mergepath_partition_config_static_selectorELNS0_4arch9wavefront6targetE0EEEvSF_,"axG",@progbits,_ZN7rocprim17ROCPRIM_400000_NS6detail17trampoline_kernelINS0_14default_configENS1_38merge_sort_block_merge_config_selectorIsNS0_10empty_typeEEEZZNS1_27merge_sort_block_merge_implIS3_PsPS5_jNS1_19radix_merge_compareILb0ELb0EsNS0_19identity_decomposerEEEEE10hipError_tT0_T1_T2_jT3_P12ihipStream_tbPNSt15iterator_traitsISE_E10value_typeEPNSK_ISF_E10value_typeEPSG_NS1_7vsmem_tEENKUlT_SE_SF_SG_E_clIS8_S8_S9_S9_EESD_ST_SE_SF_SG_EUlST_E_NS1_11comp_targetILNS1_3genE10ELNS1_11target_archE1201ELNS1_3gpuE5ELNS1_3repE0EEENS1_48merge_mergepath_partition_config_static_selectorELNS0_4arch9wavefront6targetE0EEEvSF_,comdat
	.protected	_ZN7rocprim17ROCPRIM_400000_NS6detail17trampoline_kernelINS0_14default_configENS1_38merge_sort_block_merge_config_selectorIsNS0_10empty_typeEEEZZNS1_27merge_sort_block_merge_implIS3_PsPS5_jNS1_19radix_merge_compareILb0ELb0EsNS0_19identity_decomposerEEEEE10hipError_tT0_T1_T2_jT3_P12ihipStream_tbPNSt15iterator_traitsISE_E10value_typeEPNSK_ISF_E10value_typeEPSG_NS1_7vsmem_tEENKUlT_SE_SF_SG_E_clIS8_S8_S9_S9_EESD_ST_SE_SF_SG_EUlST_E_NS1_11comp_targetILNS1_3genE10ELNS1_11target_archE1201ELNS1_3gpuE5ELNS1_3repE0EEENS1_48merge_mergepath_partition_config_static_selectorELNS0_4arch9wavefront6targetE0EEEvSF_ ; -- Begin function _ZN7rocprim17ROCPRIM_400000_NS6detail17trampoline_kernelINS0_14default_configENS1_38merge_sort_block_merge_config_selectorIsNS0_10empty_typeEEEZZNS1_27merge_sort_block_merge_implIS3_PsPS5_jNS1_19radix_merge_compareILb0ELb0EsNS0_19identity_decomposerEEEEE10hipError_tT0_T1_T2_jT3_P12ihipStream_tbPNSt15iterator_traitsISE_E10value_typeEPNSK_ISF_E10value_typeEPSG_NS1_7vsmem_tEENKUlT_SE_SF_SG_E_clIS8_S8_S9_S9_EESD_ST_SE_SF_SG_EUlST_E_NS1_11comp_targetILNS1_3genE10ELNS1_11target_archE1201ELNS1_3gpuE5ELNS1_3repE0EEENS1_48merge_mergepath_partition_config_static_selectorELNS0_4arch9wavefront6targetE0EEEvSF_
	.globl	_ZN7rocprim17ROCPRIM_400000_NS6detail17trampoline_kernelINS0_14default_configENS1_38merge_sort_block_merge_config_selectorIsNS0_10empty_typeEEEZZNS1_27merge_sort_block_merge_implIS3_PsPS5_jNS1_19radix_merge_compareILb0ELb0EsNS0_19identity_decomposerEEEEE10hipError_tT0_T1_T2_jT3_P12ihipStream_tbPNSt15iterator_traitsISE_E10value_typeEPNSK_ISF_E10value_typeEPSG_NS1_7vsmem_tEENKUlT_SE_SF_SG_E_clIS8_S8_S9_S9_EESD_ST_SE_SF_SG_EUlST_E_NS1_11comp_targetILNS1_3genE10ELNS1_11target_archE1201ELNS1_3gpuE5ELNS1_3repE0EEENS1_48merge_mergepath_partition_config_static_selectorELNS0_4arch9wavefront6targetE0EEEvSF_
	.p2align	8
	.type	_ZN7rocprim17ROCPRIM_400000_NS6detail17trampoline_kernelINS0_14default_configENS1_38merge_sort_block_merge_config_selectorIsNS0_10empty_typeEEEZZNS1_27merge_sort_block_merge_implIS3_PsPS5_jNS1_19radix_merge_compareILb0ELb0EsNS0_19identity_decomposerEEEEE10hipError_tT0_T1_T2_jT3_P12ihipStream_tbPNSt15iterator_traitsISE_E10value_typeEPNSK_ISF_E10value_typeEPSG_NS1_7vsmem_tEENKUlT_SE_SF_SG_E_clIS8_S8_S9_S9_EESD_ST_SE_SF_SG_EUlST_E_NS1_11comp_targetILNS1_3genE10ELNS1_11target_archE1201ELNS1_3gpuE5ELNS1_3repE0EEENS1_48merge_mergepath_partition_config_static_selectorELNS0_4arch9wavefront6targetE0EEEvSF_,@function
_ZN7rocprim17ROCPRIM_400000_NS6detail17trampoline_kernelINS0_14default_configENS1_38merge_sort_block_merge_config_selectorIsNS0_10empty_typeEEEZZNS1_27merge_sort_block_merge_implIS3_PsPS5_jNS1_19radix_merge_compareILb0ELb0EsNS0_19identity_decomposerEEEEE10hipError_tT0_T1_T2_jT3_P12ihipStream_tbPNSt15iterator_traitsISE_E10value_typeEPNSK_ISF_E10value_typeEPSG_NS1_7vsmem_tEENKUlT_SE_SF_SG_E_clIS8_S8_S9_S9_EESD_ST_SE_SF_SG_EUlST_E_NS1_11comp_targetILNS1_3genE10ELNS1_11target_archE1201ELNS1_3gpuE5ELNS1_3repE0EEENS1_48merge_mergepath_partition_config_static_selectorELNS0_4arch9wavefront6targetE0EEEvSF_: ; @_ZN7rocprim17ROCPRIM_400000_NS6detail17trampoline_kernelINS0_14default_configENS1_38merge_sort_block_merge_config_selectorIsNS0_10empty_typeEEEZZNS1_27merge_sort_block_merge_implIS3_PsPS5_jNS1_19radix_merge_compareILb0ELb0EsNS0_19identity_decomposerEEEEE10hipError_tT0_T1_T2_jT3_P12ihipStream_tbPNSt15iterator_traitsISE_E10value_typeEPNSK_ISF_E10value_typeEPSG_NS1_7vsmem_tEENKUlT_SE_SF_SG_E_clIS8_S8_S9_S9_EESD_ST_SE_SF_SG_EUlST_E_NS1_11comp_targetILNS1_3genE10ELNS1_11target_archE1201ELNS1_3gpuE5ELNS1_3repE0EEENS1_48merge_mergepath_partition_config_static_selectorELNS0_4arch9wavefront6targetE0EEEvSF_
; %bb.0:
	.section	.rodata,"a",@progbits
	.p2align	6, 0x0
	.amdhsa_kernel _ZN7rocprim17ROCPRIM_400000_NS6detail17trampoline_kernelINS0_14default_configENS1_38merge_sort_block_merge_config_selectorIsNS0_10empty_typeEEEZZNS1_27merge_sort_block_merge_implIS3_PsPS5_jNS1_19radix_merge_compareILb0ELb0EsNS0_19identity_decomposerEEEEE10hipError_tT0_T1_T2_jT3_P12ihipStream_tbPNSt15iterator_traitsISE_E10value_typeEPNSK_ISF_E10value_typeEPSG_NS1_7vsmem_tEENKUlT_SE_SF_SG_E_clIS8_S8_S9_S9_EESD_ST_SE_SF_SG_EUlST_E_NS1_11comp_targetILNS1_3genE10ELNS1_11target_archE1201ELNS1_3gpuE5ELNS1_3repE0EEENS1_48merge_mergepath_partition_config_static_selectorELNS0_4arch9wavefront6targetE0EEEvSF_
		.amdhsa_group_segment_fixed_size 0
		.amdhsa_private_segment_fixed_size 0
		.amdhsa_kernarg_size 40
		.amdhsa_user_sgpr_count 2
		.amdhsa_user_sgpr_dispatch_ptr 0
		.amdhsa_user_sgpr_queue_ptr 0
		.amdhsa_user_sgpr_kernarg_segment_ptr 1
		.amdhsa_user_sgpr_dispatch_id 0
		.amdhsa_user_sgpr_kernarg_preload_length 0
		.amdhsa_user_sgpr_kernarg_preload_offset 0
		.amdhsa_user_sgpr_private_segment_size 0
		.amdhsa_wavefront_size32 1
		.amdhsa_uses_dynamic_stack 0
		.amdhsa_enable_private_segment 0
		.amdhsa_system_sgpr_workgroup_id_x 1
		.amdhsa_system_sgpr_workgroup_id_y 0
		.amdhsa_system_sgpr_workgroup_id_z 0
		.amdhsa_system_sgpr_workgroup_info 0
		.amdhsa_system_vgpr_workitem_id 0
		.amdhsa_next_free_vgpr 1
		.amdhsa_next_free_sgpr 1
		.amdhsa_named_barrier_count 0
		.amdhsa_reserve_vcc 0
		.amdhsa_float_round_mode_32 0
		.amdhsa_float_round_mode_16_64 0
		.amdhsa_float_denorm_mode_32 3
		.amdhsa_float_denorm_mode_16_64 3
		.amdhsa_fp16_overflow 0
		.amdhsa_memory_ordered 1
		.amdhsa_forward_progress 1
		.amdhsa_inst_pref_size 0
		.amdhsa_round_robin_scheduling 0
		.amdhsa_exception_fp_ieee_invalid_op 0
		.amdhsa_exception_fp_denorm_src 0
		.amdhsa_exception_fp_ieee_div_zero 0
		.amdhsa_exception_fp_ieee_overflow 0
		.amdhsa_exception_fp_ieee_underflow 0
		.amdhsa_exception_fp_ieee_inexact 0
		.amdhsa_exception_int_div_zero 0
	.end_amdhsa_kernel
	.section	.text._ZN7rocprim17ROCPRIM_400000_NS6detail17trampoline_kernelINS0_14default_configENS1_38merge_sort_block_merge_config_selectorIsNS0_10empty_typeEEEZZNS1_27merge_sort_block_merge_implIS3_PsPS5_jNS1_19radix_merge_compareILb0ELb0EsNS0_19identity_decomposerEEEEE10hipError_tT0_T1_T2_jT3_P12ihipStream_tbPNSt15iterator_traitsISE_E10value_typeEPNSK_ISF_E10value_typeEPSG_NS1_7vsmem_tEENKUlT_SE_SF_SG_E_clIS8_S8_S9_S9_EESD_ST_SE_SF_SG_EUlST_E_NS1_11comp_targetILNS1_3genE10ELNS1_11target_archE1201ELNS1_3gpuE5ELNS1_3repE0EEENS1_48merge_mergepath_partition_config_static_selectorELNS0_4arch9wavefront6targetE0EEEvSF_,"axG",@progbits,_ZN7rocprim17ROCPRIM_400000_NS6detail17trampoline_kernelINS0_14default_configENS1_38merge_sort_block_merge_config_selectorIsNS0_10empty_typeEEEZZNS1_27merge_sort_block_merge_implIS3_PsPS5_jNS1_19radix_merge_compareILb0ELb0EsNS0_19identity_decomposerEEEEE10hipError_tT0_T1_T2_jT3_P12ihipStream_tbPNSt15iterator_traitsISE_E10value_typeEPNSK_ISF_E10value_typeEPSG_NS1_7vsmem_tEENKUlT_SE_SF_SG_E_clIS8_S8_S9_S9_EESD_ST_SE_SF_SG_EUlST_E_NS1_11comp_targetILNS1_3genE10ELNS1_11target_archE1201ELNS1_3gpuE5ELNS1_3repE0EEENS1_48merge_mergepath_partition_config_static_selectorELNS0_4arch9wavefront6targetE0EEEvSF_,comdat
.Lfunc_end648:
	.size	_ZN7rocprim17ROCPRIM_400000_NS6detail17trampoline_kernelINS0_14default_configENS1_38merge_sort_block_merge_config_selectorIsNS0_10empty_typeEEEZZNS1_27merge_sort_block_merge_implIS3_PsPS5_jNS1_19radix_merge_compareILb0ELb0EsNS0_19identity_decomposerEEEEE10hipError_tT0_T1_T2_jT3_P12ihipStream_tbPNSt15iterator_traitsISE_E10value_typeEPNSK_ISF_E10value_typeEPSG_NS1_7vsmem_tEENKUlT_SE_SF_SG_E_clIS8_S8_S9_S9_EESD_ST_SE_SF_SG_EUlST_E_NS1_11comp_targetILNS1_3genE10ELNS1_11target_archE1201ELNS1_3gpuE5ELNS1_3repE0EEENS1_48merge_mergepath_partition_config_static_selectorELNS0_4arch9wavefront6targetE0EEEvSF_, .Lfunc_end648-_ZN7rocprim17ROCPRIM_400000_NS6detail17trampoline_kernelINS0_14default_configENS1_38merge_sort_block_merge_config_selectorIsNS0_10empty_typeEEEZZNS1_27merge_sort_block_merge_implIS3_PsPS5_jNS1_19radix_merge_compareILb0ELb0EsNS0_19identity_decomposerEEEEE10hipError_tT0_T1_T2_jT3_P12ihipStream_tbPNSt15iterator_traitsISE_E10value_typeEPNSK_ISF_E10value_typeEPSG_NS1_7vsmem_tEENKUlT_SE_SF_SG_E_clIS8_S8_S9_S9_EESD_ST_SE_SF_SG_EUlST_E_NS1_11comp_targetILNS1_3genE10ELNS1_11target_archE1201ELNS1_3gpuE5ELNS1_3repE0EEENS1_48merge_mergepath_partition_config_static_selectorELNS0_4arch9wavefront6targetE0EEEvSF_
                                        ; -- End function
	.set _ZN7rocprim17ROCPRIM_400000_NS6detail17trampoline_kernelINS0_14default_configENS1_38merge_sort_block_merge_config_selectorIsNS0_10empty_typeEEEZZNS1_27merge_sort_block_merge_implIS3_PsPS5_jNS1_19radix_merge_compareILb0ELb0EsNS0_19identity_decomposerEEEEE10hipError_tT0_T1_T2_jT3_P12ihipStream_tbPNSt15iterator_traitsISE_E10value_typeEPNSK_ISF_E10value_typeEPSG_NS1_7vsmem_tEENKUlT_SE_SF_SG_E_clIS8_S8_S9_S9_EESD_ST_SE_SF_SG_EUlST_E_NS1_11comp_targetILNS1_3genE10ELNS1_11target_archE1201ELNS1_3gpuE5ELNS1_3repE0EEENS1_48merge_mergepath_partition_config_static_selectorELNS0_4arch9wavefront6targetE0EEEvSF_.num_vgpr, 0
	.set _ZN7rocprim17ROCPRIM_400000_NS6detail17trampoline_kernelINS0_14default_configENS1_38merge_sort_block_merge_config_selectorIsNS0_10empty_typeEEEZZNS1_27merge_sort_block_merge_implIS3_PsPS5_jNS1_19radix_merge_compareILb0ELb0EsNS0_19identity_decomposerEEEEE10hipError_tT0_T1_T2_jT3_P12ihipStream_tbPNSt15iterator_traitsISE_E10value_typeEPNSK_ISF_E10value_typeEPSG_NS1_7vsmem_tEENKUlT_SE_SF_SG_E_clIS8_S8_S9_S9_EESD_ST_SE_SF_SG_EUlST_E_NS1_11comp_targetILNS1_3genE10ELNS1_11target_archE1201ELNS1_3gpuE5ELNS1_3repE0EEENS1_48merge_mergepath_partition_config_static_selectorELNS0_4arch9wavefront6targetE0EEEvSF_.num_agpr, 0
	.set _ZN7rocprim17ROCPRIM_400000_NS6detail17trampoline_kernelINS0_14default_configENS1_38merge_sort_block_merge_config_selectorIsNS0_10empty_typeEEEZZNS1_27merge_sort_block_merge_implIS3_PsPS5_jNS1_19radix_merge_compareILb0ELb0EsNS0_19identity_decomposerEEEEE10hipError_tT0_T1_T2_jT3_P12ihipStream_tbPNSt15iterator_traitsISE_E10value_typeEPNSK_ISF_E10value_typeEPSG_NS1_7vsmem_tEENKUlT_SE_SF_SG_E_clIS8_S8_S9_S9_EESD_ST_SE_SF_SG_EUlST_E_NS1_11comp_targetILNS1_3genE10ELNS1_11target_archE1201ELNS1_3gpuE5ELNS1_3repE0EEENS1_48merge_mergepath_partition_config_static_selectorELNS0_4arch9wavefront6targetE0EEEvSF_.numbered_sgpr, 0
	.set _ZN7rocprim17ROCPRIM_400000_NS6detail17trampoline_kernelINS0_14default_configENS1_38merge_sort_block_merge_config_selectorIsNS0_10empty_typeEEEZZNS1_27merge_sort_block_merge_implIS3_PsPS5_jNS1_19radix_merge_compareILb0ELb0EsNS0_19identity_decomposerEEEEE10hipError_tT0_T1_T2_jT3_P12ihipStream_tbPNSt15iterator_traitsISE_E10value_typeEPNSK_ISF_E10value_typeEPSG_NS1_7vsmem_tEENKUlT_SE_SF_SG_E_clIS8_S8_S9_S9_EESD_ST_SE_SF_SG_EUlST_E_NS1_11comp_targetILNS1_3genE10ELNS1_11target_archE1201ELNS1_3gpuE5ELNS1_3repE0EEENS1_48merge_mergepath_partition_config_static_selectorELNS0_4arch9wavefront6targetE0EEEvSF_.num_named_barrier, 0
	.set _ZN7rocprim17ROCPRIM_400000_NS6detail17trampoline_kernelINS0_14default_configENS1_38merge_sort_block_merge_config_selectorIsNS0_10empty_typeEEEZZNS1_27merge_sort_block_merge_implIS3_PsPS5_jNS1_19radix_merge_compareILb0ELb0EsNS0_19identity_decomposerEEEEE10hipError_tT0_T1_T2_jT3_P12ihipStream_tbPNSt15iterator_traitsISE_E10value_typeEPNSK_ISF_E10value_typeEPSG_NS1_7vsmem_tEENKUlT_SE_SF_SG_E_clIS8_S8_S9_S9_EESD_ST_SE_SF_SG_EUlST_E_NS1_11comp_targetILNS1_3genE10ELNS1_11target_archE1201ELNS1_3gpuE5ELNS1_3repE0EEENS1_48merge_mergepath_partition_config_static_selectorELNS0_4arch9wavefront6targetE0EEEvSF_.private_seg_size, 0
	.set _ZN7rocprim17ROCPRIM_400000_NS6detail17trampoline_kernelINS0_14default_configENS1_38merge_sort_block_merge_config_selectorIsNS0_10empty_typeEEEZZNS1_27merge_sort_block_merge_implIS3_PsPS5_jNS1_19radix_merge_compareILb0ELb0EsNS0_19identity_decomposerEEEEE10hipError_tT0_T1_T2_jT3_P12ihipStream_tbPNSt15iterator_traitsISE_E10value_typeEPNSK_ISF_E10value_typeEPSG_NS1_7vsmem_tEENKUlT_SE_SF_SG_E_clIS8_S8_S9_S9_EESD_ST_SE_SF_SG_EUlST_E_NS1_11comp_targetILNS1_3genE10ELNS1_11target_archE1201ELNS1_3gpuE5ELNS1_3repE0EEENS1_48merge_mergepath_partition_config_static_selectorELNS0_4arch9wavefront6targetE0EEEvSF_.uses_vcc, 0
	.set _ZN7rocprim17ROCPRIM_400000_NS6detail17trampoline_kernelINS0_14default_configENS1_38merge_sort_block_merge_config_selectorIsNS0_10empty_typeEEEZZNS1_27merge_sort_block_merge_implIS3_PsPS5_jNS1_19radix_merge_compareILb0ELb0EsNS0_19identity_decomposerEEEEE10hipError_tT0_T1_T2_jT3_P12ihipStream_tbPNSt15iterator_traitsISE_E10value_typeEPNSK_ISF_E10value_typeEPSG_NS1_7vsmem_tEENKUlT_SE_SF_SG_E_clIS8_S8_S9_S9_EESD_ST_SE_SF_SG_EUlST_E_NS1_11comp_targetILNS1_3genE10ELNS1_11target_archE1201ELNS1_3gpuE5ELNS1_3repE0EEENS1_48merge_mergepath_partition_config_static_selectorELNS0_4arch9wavefront6targetE0EEEvSF_.uses_flat_scratch, 0
	.set _ZN7rocprim17ROCPRIM_400000_NS6detail17trampoline_kernelINS0_14default_configENS1_38merge_sort_block_merge_config_selectorIsNS0_10empty_typeEEEZZNS1_27merge_sort_block_merge_implIS3_PsPS5_jNS1_19radix_merge_compareILb0ELb0EsNS0_19identity_decomposerEEEEE10hipError_tT0_T1_T2_jT3_P12ihipStream_tbPNSt15iterator_traitsISE_E10value_typeEPNSK_ISF_E10value_typeEPSG_NS1_7vsmem_tEENKUlT_SE_SF_SG_E_clIS8_S8_S9_S9_EESD_ST_SE_SF_SG_EUlST_E_NS1_11comp_targetILNS1_3genE10ELNS1_11target_archE1201ELNS1_3gpuE5ELNS1_3repE0EEENS1_48merge_mergepath_partition_config_static_selectorELNS0_4arch9wavefront6targetE0EEEvSF_.has_dyn_sized_stack, 0
	.set _ZN7rocprim17ROCPRIM_400000_NS6detail17trampoline_kernelINS0_14default_configENS1_38merge_sort_block_merge_config_selectorIsNS0_10empty_typeEEEZZNS1_27merge_sort_block_merge_implIS3_PsPS5_jNS1_19radix_merge_compareILb0ELb0EsNS0_19identity_decomposerEEEEE10hipError_tT0_T1_T2_jT3_P12ihipStream_tbPNSt15iterator_traitsISE_E10value_typeEPNSK_ISF_E10value_typeEPSG_NS1_7vsmem_tEENKUlT_SE_SF_SG_E_clIS8_S8_S9_S9_EESD_ST_SE_SF_SG_EUlST_E_NS1_11comp_targetILNS1_3genE10ELNS1_11target_archE1201ELNS1_3gpuE5ELNS1_3repE0EEENS1_48merge_mergepath_partition_config_static_selectorELNS0_4arch9wavefront6targetE0EEEvSF_.has_recursion, 0
	.set _ZN7rocprim17ROCPRIM_400000_NS6detail17trampoline_kernelINS0_14default_configENS1_38merge_sort_block_merge_config_selectorIsNS0_10empty_typeEEEZZNS1_27merge_sort_block_merge_implIS3_PsPS5_jNS1_19radix_merge_compareILb0ELb0EsNS0_19identity_decomposerEEEEE10hipError_tT0_T1_T2_jT3_P12ihipStream_tbPNSt15iterator_traitsISE_E10value_typeEPNSK_ISF_E10value_typeEPSG_NS1_7vsmem_tEENKUlT_SE_SF_SG_E_clIS8_S8_S9_S9_EESD_ST_SE_SF_SG_EUlST_E_NS1_11comp_targetILNS1_3genE10ELNS1_11target_archE1201ELNS1_3gpuE5ELNS1_3repE0EEENS1_48merge_mergepath_partition_config_static_selectorELNS0_4arch9wavefront6targetE0EEEvSF_.has_indirect_call, 0
	.section	.AMDGPU.csdata,"",@progbits
; Kernel info:
; codeLenInByte = 0
; TotalNumSgprs: 0
; NumVgprs: 0
; ScratchSize: 0
; MemoryBound: 0
; FloatMode: 240
; IeeeMode: 1
; LDSByteSize: 0 bytes/workgroup (compile time only)
; SGPRBlocks: 0
; VGPRBlocks: 0
; NumSGPRsForWavesPerEU: 1
; NumVGPRsForWavesPerEU: 1
; NamedBarCnt: 0
; Occupancy: 16
; WaveLimiterHint : 0
; COMPUTE_PGM_RSRC2:SCRATCH_EN: 0
; COMPUTE_PGM_RSRC2:USER_SGPR: 2
; COMPUTE_PGM_RSRC2:TRAP_HANDLER: 0
; COMPUTE_PGM_RSRC2:TGID_X_EN: 1
; COMPUTE_PGM_RSRC2:TGID_Y_EN: 0
; COMPUTE_PGM_RSRC2:TGID_Z_EN: 0
; COMPUTE_PGM_RSRC2:TIDIG_COMP_CNT: 0
	.section	.text._ZN7rocprim17ROCPRIM_400000_NS6detail17trampoline_kernelINS0_14default_configENS1_38merge_sort_block_merge_config_selectorIsNS0_10empty_typeEEEZZNS1_27merge_sort_block_merge_implIS3_PsPS5_jNS1_19radix_merge_compareILb0ELb0EsNS0_19identity_decomposerEEEEE10hipError_tT0_T1_T2_jT3_P12ihipStream_tbPNSt15iterator_traitsISE_E10value_typeEPNSK_ISF_E10value_typeEPSG_NS1_7vsmem_tEENKUlT_SE_SF_SG_E_clIS8_S8_S9_S9_EESD_ST_SE_SF_SG_EUlST_E_NS1_11comp_targetILNS1_3genE5ELNS1_11target_archE942ELNS1_3gpuE9ELNS1_3repE0EEENS1_48merge_mergepath_partition_config_static_selectorELNS0_4arch9wavefront6targetE0EEEvSF_,"axG",@progbits,_ZN7rocprim17ROCPRIM_400000_NS6detail17trampoline_kernelINS0_14default_configENS1_38merge_sort_block_merge_config_selectorIsNS0_10empty_typeEEEZZNS1_27merge_sort_block_merge_implIS3_PsPS5_jNS1_19radix_merge_compareILb0ELb0EsNS0_19identity_decomposerEEEEE10hipError_tT0_T1_T2_jT3_P12ihipStream_tbPNSt15iterator_traitsISE_E10value_typeEPNSK_ISF_E10value_typeEPSG_NS1_7vsmem_tEENKUlT_SE_SF_SG_E_clIS8_S8_S9_S9_EESD_ST_SE_SF_SG_EUlST_E_NS1_11comp_targetILNS1_3genE5ELNS1_11target_archE942ELNS1_3gpuE9ELNS1_3repE0EEENS1_48merge_mergepath_partition_config_static_selectorELNS0_4arch9wavefront6targetE0EEEvSF_,comdat
	.protected	_ZN7rocprim17ROCPRIM_400000_NS6detail17trampoline_kernelINS0_14default_configENS1_38merge_sort_block_merge_config_selectorIsNS0_10empty_typeEEEZZNS1_27merge_sort_block_merge_implIS3_PsPS5_jNS1_19radix_merge_compareILb0ELb0EsNS0_19identity_decomposerEEEEE10hipError_tT0_T1_T2_jT3_P12ihipStream_tbPNSt15iterator_traitsISE_E10value_typeEPNSK_ISF_E10value_typeEPSG_NS1_7vsmem_tEENKUlT_SE_SF_SG_E_clIS8_S8_S9_S9_EESD_ST_SE_SF_SG_EUlST_E_NS1_11comp_targetILNS1_3genE5ELNS1_11target_archE942ELNS1_3gpuE9ELNS1_3repE0EEENS1_48merge_mergepath_partition_config_static_selectorELNS0_4arch9wavefront6targetE0EEEvSF_ ; -- Begin function _ZN7rocprim17ROCPRIM_400000_NS6detail17trampoline_kernelINS0_14default_configENS1_38merge_sort_block_merge_config_selectorIsNS0_10empty_typeEEEZZNS1_27merge_sort_block_merge_implIS3_PsPS5_jNS1_19radix_merge_compareILb0ELb0EsNS0_19identity_decomposerEEEEE10hipError_tT0_T1_T2_jT3_P12ihipStream_tbPNSt15iterator_traitsISE_E10value_typeEPNSK_ISF_E10value_typeEPSG_NS1_7vsmem_tEENKUlT_SE_SF_SG_E_clIS8_S8_S9_S9_EESD_ST_SE_SF_SG_EUlST_E_NS1_11comp_targetILNS1_3genE5ELNS1_11target_archE942ELNS1_3gpuE9ELNS1_3repE0EEENS1_48merge_mergepath_partition_config_static_selectorELNS0_4arch9wavefront6targetE0EEEvSF_
	.globl	_ZN7rocprim17ROCPRIM_400000_NS6detail17trampoline_kernelINS0_14default_configENS1_38merge_sort_block_merge_config_selectorIsNS0_10empty_typeEEEZZNS1_27merge_sort_block_merge_implIS3_PsPS5_jNS1_19radix_merge_compareILb0ELb0EsNS0_19identity_decomposerEEEEE10hipError_tT0_T1_T2_jT3_P12ihipStream_tbPNSt15iterator_traitsISE_E10value_typeEPNSK_ISF_E10value_typeEPSG_NS1_7vsmem_tEENKUlT_SE_SF_SG_E_clIS8_S8_S9_S9_EESD_ST_SE_SF_SG_EUlST_E_NS1_11comp_targetILNS1_3genE5ELNS1_11target_archE942ELNS1_3gpuE9ELNS1_3repE0EEENS1_48merge_mergepath_partition_config_static_selectorELNS0_4arch9wavefront6targetE0EEEvSF_
	.p2align	8
	.type	_ZN7rocprim17ROCPRIM_400000_NS6detail17trampoline_kernelINS0_14default_configENS1_38merge_sort_block_merge_config_selectorIsNS0_10empty_typeEEEZZNS1_27merge_sort_block_merge_implIS3_PsPS5_jNS1_19radix_merge_compareILb0ELb0EsNS0_19identity_decomposerEEEEE10hipError_tT0_T1_T2_jT3_P12ihipStream_tbPNSt15iterator_traitsISE_E10value_typeEPNSK_ISF_E10value_typeEPSG_NS1_7vsmem_tEENKUlT_SE_SF_SG_E_clIS8_S8_S9_S9_EESD_ST_SE_SF_SG_EUlST_E_NS1_11comp_targetILNS1_3genE5ELNS1_11target_archE942ELNS1_3gpuE9ELNS1_3repE0EEENS1_48merge_mergepath_partition_config_static_selectorELNS0_4arch9wavefront6targetE0EEEvSF_,@function
_ZN7rocprim17ROCPRIM_400000_NS6detail17trampoline_kernelINS0_14default_configENS1_38merge_sort_block_merge_config_selectorIsNS0_10empty_typeEEEZZNS1_27merge_sort_block_merge_implIS3_PsPS5_jNS1_19radix_merge_compareILb0ELb0EsNS0_19identity_decomposerEEEEE10hipError_tT0_T1_T2_jT3_P12ihipStream_tbPNSt15iterator_traitsISE_E10value_typeEPNSK_ISF_E10value_typeEPSG_NS1_7vsmem_tEENKUlT_SE_SF_SG_E_clIS8_S8_S9_S9_EESD_ST_SE_SF_SG_EUlST_E_NS1_11comp_targetILNS1_3genE5ELNS1_11target_archE942ELNS1_3gpuE9ELNS1_3repE0EEENS1_48merge_mergepath_partition_config_static_selectorELNS0_4arch9wavefront6targetE0EEEvSF_: ; @_ZN7rocprim17ROCPRIM_400000_NS6detail17trampoline_kernelINS0_14default_configENS1_38merge_sort_block_merge_config_selectorIsNS0_10empty_typeEEEZZNS1_27merge_sort_block_merge_implIS3_PsPS5_jNS1_19radix_merge_compareILb0ELb0EsNS0_19identity_decomposerEEEEE10hipError_tT0_T1_T2_jT3_P12ihipStream_tbPNSt15iterator_traitsISE_E10value_typeEPNSK_ISF_E10value_typeEPSG_NS1_7vsmem_tEENKUlT_SE_SF_SG_E_clIS8_S8_S9_S9_EESD_ST_SE_SF_SG_EUlST_E_NS1_11comp_targetILNS1_3genE5ELNS1_11target_archE942ELNS1_3gpuE9ELNS1_3repE0EEENS1_48merge_mergepath_partition_config_static_selectorELNS0_4arch9wavefront6targetE0EEEvSF_
; %bb.0:
	.section	.rodata,"a",@progbits
	.p2align	6, 0x0
	.amdhsa_kernel _ZN7rocprim17ROCPRIM_400000_NS6detail17trampoline_kernelINS0_14default_configENS1_38merge_sort_block_merge_config_selectorIsNS0_10empty_typeEEEZZNS1_27merge_sort_block_merge_implIS3_PsPS5_jNS1_19radix_merge_compareILb0ELb0EsNS0_19identity_decomposerEEEEE10hipError_tT0_T1_T2_jT3_P12ihipStream_tbPNSt15iterator_traitsISE_E10value_typeEPNSK_ISF_E10value_typeEPSG_NS1_7vsmem_tEENKUlT_SE_SF_SG_E_clIS8_S8_S9_S9_EESD_ST_SE_SF_SG_EUlST_E_NS1_11comp_targetILNS1_3genE5ELNS1_11target_archE942ELNS1_3gpuE9ELNS1_3repE0EEENS1_48merge_mergepath_partition_config_static_selectorELNS0_4arch9wavefront6targetE0EEEvSF_
		.amdhsa_group_segment_fixed_size 0
		.amdhsa_private_segment_fixed_size 0
		.amdhsa_kernarg_size 40
		.amdhsa_user_sgpr_count 2
		.amdhsa_user_sgpr_dispatch_ptr 0
		.amdhsa_user_sgpr_queue_ptr 0
		.amdhsa_user_sgpr_kernarg_segment_ptr 1
		.amdhsa_user_sgpr_dispatch_id 0
		.amdhsa_user_sgpr_kernarg_preload_length 0
		.amdhsa_user_sgpr_kernarg_preload_offset 0
		.amdhsa_user_sgpr_private_segment_size 0
		.amdhsa_wavefront_size32 1
		.amdhsa_uses_dynamic_stack 0
		.amdhsa_enable_private_segment 0
		.amdhsa_system_sgpr_workgroup_id_x 1
		.amdhsa_system_sgpr_workgroup_id_y 0
		.amdhsa_system_sgpr_workgroup_id_z 0
		.amdhsa_system_sgpr_workgroup_info 0
		.amdhsa_system_vgpr_workitem_id 0
		.amdhsa_next_free_vgpr 1
		.amdhsa_next_free_sgpr 1
		.amdhsa_named_barrier_count 0
		.amdhsa_reserve_vcc 0
		.amdhsa_float_round_mode_32 0
		.amdhsa_float_round_mode_16_64 0
		.amdhsa_float_denorm_mode_32 3
		.amdhsa_float_denorm_mode_16_64 3
		.amdhsa_fp16_overflow 0
		.amdhsa_memory_ordered 1
		.amdhsa_forward_progress 1
		.amdhsa_inst_pref_size 0
		.amdhsa_round_robin_scheduling 0
		.amdhsa_exception_fp_ieee_invalid_op 0
		.amdhsa_exception_fp_denorm_src 0
		.amdhsa_exception_fp_ieee_div_zero 0
		.amdhsa_exception_fp_ieee_overflow 0
		.amdhsa_exception_fp_ieee_underflow 0
		.amdhsa_exception_fp_ieee_inexact 0
		.amdhsa_exception_int_div_zero 0
	.end_amdhsa_kernel
	.section	.text._ZN7rocprim17ROCPRIM_400000_NS6detail17trampoline_kernelINS0_14default_configENS1_38merge_sort_block_merge_config_selectorIsNS0_10empty_typeEEEZZNS1_27merge_sort_block_merge_implIS3_PsPS5_jNS1_19radix_merge_compareILb0ELb0EsNS0_19identity_decomposerEEEEE10hipError_tT0_T1_T2_jT3_P12ihipStream_tbPNSt15iterator_traitsISE_E10value_typeEPNSK_ISF_E10value_typeEPSG_NS1_7vsmem_tEENKUlT_SE_SF_SG_E_clIS8_S8_S9_S9_EESD_ST_SE_SF_SG_EUlST_E_NS1_11comp_targetILNS1_3genE5ELNS1_11target_archE942ELNS1_3gpuE9ELNS1_3repE0EEENS1_48merge_mergepath_partition_config_static_selectorELNS0_4arch9wavefront6targetE0EEEvSF_,"axG",@progbits,_ZN7rocprim17ROCPRIM_400000_NS6detail17trampoline_kernelINS0_14default_configENS1_38merge_sort_block_merge_config_selectorIsNS0_10empty_typeEEEZZNS1_27merge_sort_block_merge_implIS3_PsPS5_jNS1_19radix_merge_compareILb0ELb0EsNS0_19identity_decomposerEEEEE10hipError_tT0_T1_T2_jT3_P12ihipStream_tbPNSt15iterator_traitsISE_E10value_typeEPNSK_ISF_E10value_typeEPSG_NS1_7vsmem_tEENKUlT_SE_SF_SG_E_clIS8_S8_S9_S9_EESD_ST_SE_SF_SG_EUlST_E_NS1_11comp_targetILNS1_3genE5ELNS1_11target_archE942ELNS1_3gpuE9ELNS1_3repE0EEENS1_48merge_mergepath_partition_config_static_selectorELNS0_4arch9wavefront6targetE0EEEvSF_,comdat
.Lfunc_end649:
	.size	_ZN7rocprim17ROCPRIM_400000_NS6detail17trampoline_kernelINS0_14default_configENS1_38merge_sort_block_merge_config_selectorIsNS0_10empty_typeEEEZZNS1_27merge_sort_block_merge_implIS3_PsPS5_jNS1_19radix_merge_compareILb0ELb0EsNS0_19identity_decomposerEEEEE10hipError_tT0_T1_T2_jT3_P12ihipStream_tbPNSt15iterator_traitsISE_E10value_typeEPNSK_ISF_E10value_typeEPSG_NS1_7vsmem_tEENKUlT_SE_SF_SG_E_clIS8_S8_S9_S9_EESD_ST_SE_SF_SG_EUlST_E_NS1_11comp_targetILNS1_3genE5ELNS1_11target_archE942ELNS1_3gpuE9ELNS1_3repE0EEENS1_48merge_mergepath_partition_config_static_selectorELNS0_4arch9wavefront6targetE0EEEvSF_, .Lfunc_end649-_ZN7rocprim17ROCPRIM_400000_NS6detail17trampoline_kernelINS0_14default_configENS1_38merge_sort_block_merge_config_selectorIsNS0_10empty_typeEEEZZNS1_27merge_sort_block_merge_implIS3_PsPS5_jNS1_19radix_merge_compareILb0ELb0EsNS0_19identity_decomposerEEEEE10hipError_tT0_T1_T2_jT3_P12ihipStream_tbPNSt15iterator_traitsISE_E10value_typeEPNSK_ISF_E10value_typeEPSG_NS1_7vsmem_tEENKUlT_SE_SF_SG_E_clIS8_S8_S9_S9_EESD_ST_SE_SF_SG_EUlST_E_NS1_11comp_targetILNS1_3genE5ELNS1_11target_archE942ELNS1_3gpuE9ELNS1_3repE0EEENS1_48merge_mergepath_partition_config_static_selectorELNS0_4arch9wavefront6targetE0EEEvSF_
                                        ; -- End function
	.set _ZN7rocprim17ROCPRIM_400000_NS6detail17trampoline_kernelINS0_14default_configENS1_38merge_sort_block_merge_config_selectorIsNS0_10empty_typeEEEZZNS1_27merge_sort_block_merge_implIS3_PsPS5_jNS1_19radix_merge_compareILb0ELb0EsNS0_19identity_decomposerEEEEE10hipError_tT0_T1_T2_jT3_P12ihipStream_tbPNSt15iterator_traitsISE_E10value_typeEPNSK_ISF_E10value_typeEPSG_NS1_7vsmem_tEENKUlT_SE_SF_SG_E_clIS8_S8_S9_S9_EESD_ST_SE_SF_SG_EUlST_E_NS1_11comp_targetILNS1_3genE5ELNS1_11target_archE942ELNS1_3gpuE9ELNS1_3repE0EEENS1_48merge_mergepath_partition_config_static_selectorELNS0_4arch9wavefront6targetE0EEEvSF_.num_vgpr, 0
	.set _ZN7rocprim17ROCPRIM_400000_NS6detail17trampoline_kernelINS0_14default_configENS1_38merge_sort_block_merge_config_selectorIsNS0_10empty_typeEEEZZNS1_27merge_sort_block_merge_implIS3_PsPS5_jNS1_19radix_merge_compareILb0ELb0EsNS0_19identity_decomposerEEEEE10hipError_tT0_T1_T2_jT3_P12ihipStream_tbPNSt15iterator_traitsISE_E10value_typeEPNSK_ISF_E10value_typeEPSG_NS1_7vsmem_tEENKUlT_SE_SF_SG_E_clIS8_S8_S9_S9_EESD_ST_SE_SF_SG_EUlST_E_NS1_11comp_targetILNS1_3genE5ELNS1_11target_archE942ELNS1_3gpuE9ELNS1_3repE0EEENS1_48merge_mergepath_partition_config_static_selectorELNS0_4arch9wavefront6targetE0EEEvSF_.num_agpr, 0
	.set _ZN7rocprim17ROCPRIM_400000_NS6detail17trampoline_kernelINS0_14default_configENS1_38merge_sort_block_merge_config_selectorIsNS0_10empty_typeEEEZZNS1_27merge_sort_block_merge_implIS3_PsPS5_jNS1_19radix_merge_compareILb0ELb0EsNS0_19identity_decomposerEEEEE10hipError_tT0_T1_T2_jT3_P12ihipStream_tbPNSt15iterator_traitsISE_E10value_typeEPNSK_ISF_E10value_typeEPSG_NS1_7vsmem_tEENKUlT_SE_SF_SG_E_clIS8_S8_S9_S9_EESD_ST_SE_SF_SG_EUlST_E_NS1_11comp_targetILNS1_3genE5ELNS1_11target_archE942ELNS1_3gpuE9ELNS1_3repE0EEENS1_48merge_mergepath_partition_config_static_selectorELNS0_4arch9wavefront6targetE0EEEvSF_.numbered_sgpr, 0
	.set _ZN7rocprim17ROCPRIM_400000_NS6detail17trampoline_kernelINS0_14default_configENS1_38merge_sort_block_merge_config_selectorIsNS0_10empty_typeEEEZZNS1_27merge_sort_block_merge_implIS3_PsPS5_jNS1_19radix_merge_compareILb0ELb0EsNS0_19identity_decomposerEEEEE10hipError_tT0_T1_T2_jT3_P12ihipStream_tbPNSt15iterator_traitsISE_E10value_typeEPNSK_ISF_E10value_typeEPSG_NS1_7vsmem_tEENKUlT_SE_SF_SG_E_clIS8_S8_S9_S9_EESD_ST_SE_SF_SG_EUlST_E_NS1_11comp_targetILNS1_3genE5ELNS1_11target_archE942ELNS1_3gpuE9ELNS1_3repE0EEENS1_48merge_mergepath_partition_config_static_selectorELNS0_4arch9wavefront6targetE0EEEvSF_.num_named_barrier, 0
	.set _ZN7rocprim17ROCPRIM_400000_NS6detail17trampoline_kernelINS0_14default_configENS1_38merge_sort_block_merge_config_selectorIsNS0_10empty_typeEEEZZNS1_27merge_sort_block_merge_implIS3_PsPS5_jNS1_19radix_merge_compareILb0ELb0EsNS0_19identity_decomposerEEEEE10hipError_tT0_T1_T2_jT3_P12ihipStream_tbPNSt15iterator_traitsISE_E10value_typeEPNSK_ISF_E10value_typeEPSG_NS1_7vsmem_tEENKUlT_SE_SF_SG_E_clIS8_S8_S9_S9_EESD_ST_SE_SF_SG_EUlST_E_NS1_11comp_targetILNS1_3genE5ELNS1_11target_archE942ELNS1_3gpuE9ELNS1_3repE0EEENS1_48merge_mergepath_partition_config_static_selectorELNS0_4arch9wavefront6targetE0EEEvSF_.private_seg_size, 0
	.set _ZN7rocprim17ROCPRIM_400000_NS6detail17trampoline_kernelINS0_14default_configENS1_38merge_sort_block_merge_config_selectorIsNS0_10empty_typeEEEZZNS1_27merge_sort_block_merge_implIS3_PsPS5_jNS1_19radix_merge_compareILb0ELb0EsNS0_19identity_decomposerEEEEE10hipError_tT0_T1_T2_jT3_P12ihipStream_tbPNSt15iterator_traitsISE_E10value_typeEPNSK_ISF_E10value_typeEPSG_NS1_7vsmem_tEENKUlT_SE_SF_SG_E_clIS8_S8_S9_S9_EESD_ST_SE_SF_SG_EUlST_E_NS1_11comp_targetILNS1_3genE5ELNS1_11target_archE942ELNS1_3gpuE9ELNS1_3repE0EEENS1_48merge_mergepath_partition_config_static_selectorELNS0_4arch9wavefront6targetE0EEEvSF_.uses_vcc, 0
	.set _ZN7rocprim17ROCPRIM_400000_NS6detail17trampoline_kernelINS0_14default_configENS1_38merge_sort_block_merge_config_selectorIsNS0_10empty_typeEEEZZNS1_27merge_sort_block_merge_implIS3_PsPS5_jNS1_19radix_merge_compareILb0ELb0EsNS0_19identity_decomposerEEEEE10hipError_tT0_T1_T2_jT3_P12ihipStream_tbPNSt15iterator_traitsISE_E10value_typeEPNSK_ISF_E10value_typeEPSG_NS1_7vsmem_tEENKUlT_SE_SF_SG_E_clIS8_S8_S9_S9_EESD_ST_SE_SF_SG_EUlST_E_NS1_11comp_targetILNS1_3genE5ELNS1_11target_archE942ELNS1_3gpuE9ELNS1_3repE0EEENS1_48merge_mergepath_partition_config_static_selectorELNS0_4arch9wavefront6targetE0EEEvSF_.uses_flat_scratch, 0
	.set _ZN7rocprim17ROCPRIM_400000_NS6detail17trampoline_kernelINS0_14default_configENS1_38merge_sort_block_merge_config_selectorIsNS0_10empty_typeEEEZZNS1_27merge_sort_block_merge_implIS3_PsPS5_jNS1_19radix_merge_compareILb0ELb0EsNS0_19identity_decomposerEEEEE10hipError_tT0_T1_T2_jT3_P12ihipStream_tbPNSt15iterator_traitsISE_E10value_typeEPNSK_ISF_E10value_typeEPSG_NS1_7vsmem_tEENKUlT_SE_SF_SG_E_clIS8_S8_S9_S9_EESD_ST_SE_SF_SG_EUlST_E_NS1_11comp_targetILNS1_3genE5ELNS1_11target_archE942ELNS1_3gpuE9ELNS1_3repE0EEENS1_48merge_mergepath_partition_config_static_selectorELNS0_4arch9wavefront6targetE0EEEvSF_.has_dyn_sized_stack, 0
	.set _ZN7rocprim17ROCPRIM_400000_NS6detail17trampoline_kernelINS0_14default_configENS1_38merge_sort_block_merge_config_selectorIsNS0_10empty_typeEEEZZNS1_27merge_sort_block_merge_implIS3_PsPS5_jNS1_19radix_merge_compareILb0ELb0EsNS0_19identity_decomposerEEEEE10hipError_tT0_T1_T2_jT3_P12ihipStream_tbPNSt15iterator_traitsISE_E10value_typeEPNSK_ISF_E10value_typeEPSG_NS1_7vsmem_tEENKUlT_SE_SF_SG_E_clIS8_S8_S9_S9_EESD_ST_SE_SF_SG_EUlST_E_NS1_11comp_targetILNS1_3genE5ELNS1_11target_archE942ELNS1_3gpuE9ELNS1_3repE0EEENS1_48merge_mergepath_partition_config_static_selectorELNS0_4arch9wavefront6targetE0EEEvSF_.has_recursion, 0
	.set _ZN7rocprim17ROCPRIM_400000_NS6detail17trampoline_kernelINS0_14default_configENS1_38merge_sort_block_merge_config_selectorIsNS0_10empty_typeEEEZZNS1_27merge_sort_block_merge_implIS3_PsPS5_jNS1_19radix_merge_compareILb0ELb0EsNS0_19identity_decomposerEEEEE10hipError_tT0_T1_T2_jT3_P12ihipStream_tbPNSt15iterator_traitsISE_E10value_typeEPNSK_ISF_E10value_typeEPSG_NS1_7vsmem_tEENKUlT_SE_SF_SG_E_clIS8_S8_S9_S9_EESD_ST_SE_SF_SG_EUlST_E_NS1_11comp_targetILNS1_3genE5ELNS1_11target_archE942ELNS1_3gpuE9ELNS1_3repE0EEENS1_48merge_mergepath_partition_config_static_selectorELNS0_4arch9wavefront6targetE0EEEvSF_.has_indirect_call, 0
	.section	.AMDGPU.csdata,"",@progbits
; Kernel info:
; codeLenInByte = 0
; TotalNumSgprs: 0
; NumVgprs: 0
; ScratchSize: 0
; MemoryBound: 0
; FloatMode: 240
; IeeeMode: 1
; LDSByteSize: 0 bytes/workgroup (compile time only)
; SGPRBlocks: 0
; VGPRBlocks: 0
; NumSGPRsForWavesPerEU: 1
; NumVGPRsForWavesPerEU: 1
; NamedBarCnt: 0
; Occupancy: 16
; WaveLimiterHint : 0
; COMPUTE_PGM_RSRC2:SCRATCH_EN: 0
; COMPUTE_PGM_RSRC2:USER_SGPR: 2
; COMPUTE_PGM_RSRC2:TRAP_HANDLER: 0
; COMPUTE_PGM_RSRC2:TGID_X_EN: 1
; COMPUTE_PGM_RSRC2:TGID_Y_EN: 0
; COMPUTE_PGM_RSRC2:TGID_Z_EN: 0
; COMPUTE_PGM_RSRC2:TIDIG_COMP_CNT: 0
	.section	.text._ZN7rocprim17ROCPRIM_400000_NS6detail17trampoline_kernelINS0_14default_configENS1_38merge_sort_block_merge_config_selectorIsNS0_10empty_typeEEEZZNS1_27merge_sort_block_merge_implIS3_PsPS5_jNS1_19radix_merge_compareILb0ELb0EsNS0_19identity_decomposerEEEEE10hipError_tT0_T1_T2_jT3_P12ihipStream_tbPNSt15iterator_traitsISE_E10value_typeEPNSK_ISF_E10value_typeEPSG_NS1_7vsmem_tEENKUlT_SE_SF_SG_E_clIS8_S8_S9_S9_EESD_ST_SE_SF_SG_EUlST_E_NS1_11comp_targetILNS1_3genE4ELNS1_11target_archE910ELNS1_3gpuE8ELNS1_3repE0EEENS1_48merge_mergepath_partition_config_static_selectorELNS0_4arch9wavefront6targetE0EEEvSF_,"axG",@progbits,_ZN7rocprim17ROCPRIM_400000_NS6detail17trampoline_kernelINS0_14default_configENS1_38merge_sort_block_merge_config_selectorIsNS0_10empty_typeEEEZZNS1_27merge_sort_block_merge_implIS3_PsPS5_jNS1_19radix_merge_compareILb0ELb0EsNS0_19identity_decomposerEEEEE10hipError_tT0_T1_T2_jT3_P12ihipStream_tbPNSt15iterator_traitsISE_E10value_typeEPNSK_ISF_E10value_typeEPSG_NS1_7vsmem_tEENKUlT_SE_SF_SG_E_clIS8_S8_S9_S9_EESD_ST_SE_SF_SG_EUlST_E_NS1_11comp_targetILNS1_3genE4ELNS1_11target_archE910ELNS1_3gpuE8ELNS1_3repE0EEENS1_48merge_mergepath_partition_config_static_selectorELNS0_4arch9wavefront6targetE0EEEvSF_,comdat
	.protected	_ZN7rocprim17ROCPRIM_400000_NS6detail17trampoline_kernelINS0_14default_configENS1_38merge_sort_block_merge_config_selectorIsNS0_10empty_typeEEEZZNS1_27merge_sort_block_merge_implIS3_PsPS5_jNS1_19radix_merge_compareILb0ELb0EsNS0_19identity_decomposerEEEEE10hipError_tT0_T1_T2_jT3_P12ihipStream_tbPNSt15iterator_traitsISE_E10value_typeEPNSK_ISF_E10value_typeEPSG_NS1_7vsmem_tEENKUlT_SE_SF_SG_E_clIS8_S8_S9_S9_EESD_ST_SE_SF_SG_EUlST_E_NS1_11comp_targetILNS1_3genE4ELNS1_11target_archE910ELNS1_3gpuE8ELNS1_3repE0EEENS1_48merge_mergepath_partition_config_static_selectorELNS0_4arch9wavefront6targetE0EEEvSF_ ; -- Begin function _ZN7rocprim17ROCPRIM_400000_NS6detail17trampoline_kernelINS0_14default_configENS1_38merge_sort_block_merge_config_selectorIsNS0_10empty_typeEEEZZNS1_27merge_sort_block_merge_implIS3_PsPS5_jNS1_19radix_merge_compareILb0ELb0EsNS0_19identity_decomposerEEEEE10hipError_tT0_T1_T2_jT3_P12ihipStream_tbPNSt15iterator_traitsISE_E10value_typeEPNSK_ISF_E10value_typeEPSG_NS1_7vsmem_tEENKUlT_SE_SF_SG_E_clIS8_S8_S9_S9_EESD_ST_SE_SF_SG_EUlST_E_NS1_11comp_targetILNS1_3genE4ELNS1_11target_archE910ELNS1_3gpuE8ELNS1_3repE0EEENS1_48merge_mergepath_partition_config_static_selectorELNS0_4arch9wavefront6targetE0EEEvSF_
	.globl	_ZN7rocprim17ROCPRIM_400000_NS6detail17trampoline_kernelINS0_14default_configENS1_38merge_sort_block_merge_config_selectorIsNS0_10empty_typeEEEZZNS1_27merge_sort_block_merge_implIS3_PsPS5_jNS1_19radix_merge_compareILb0ELb0EsNS0_19identity_decomposerEEEEE10hipError_tT0_T1_T2_jT3_P12ihipStream_tbPNSt15iterator_traitsISE_E10value_typeEPNSK_ISF_E10value_typeEPSG_NS1_7vsmem_tEENKUlT_SE_SF_SG_E_clIS8_S8_S9_S9_EESD_ST_SE_SF_SG_EUlST_E_NS1_11comp_targetILNS1_3genE4ELNS1_11target_archE910ELNS1_3gpuE8ELNS1_3repE0EEENS1_48merge_mergepath_partition_config_static_selectorELNS0_4arch9wavefront6targetE0EEEvSF_
	.p2align	8
	.type	_ZN7rocprim17ROCPRIM_400000_NS6detail17trampoline_kernelINS0_14default_configENS1_38merge_sort_block_merge_config_selectorIsNS0_10empty_typeEEEZZNS1_27merge_sort_block_merge_implIS3_PsPS5_jNS1_19radix_merge_compareILb0ELb0EsNS0_19identity_decomposerEEEEE10hipError_tT0_T1_T2_jT3_P12ihipStream_tbPNSt15iterator_traitsISE_E10value_typeEPNSK_ISF_E10value_typeEPSG_NS1_7vsmem_tEENKUlT_SE_SF_SG_E_clIS8_S8_S9_S9_EESD_ST_SE_SF_SG_EUlST_E_NS1_11comp_targetILNS1_3genE4ELNS1_11target_archE910ELNS1_3gpuE8ELNS1_3repE0EEENS1_48merge_mergepath_partition_config_static_selectorELNS0_4arch9wavefront6targetE0EEEvSF_,@function
_ZN7rocprim17ROCPRIM_400000_NS6detail17trampoline_kernelINS0_14default_configENS1_38merge_sort_block_merge_config_selectorIsNS0_10empty_typeEEEZZNS1_27merge_sort_block_merge_implIS3_PsPS5_jNS1_19radix_merge_compareILb0ELb0EsNS0_19identity_decomposerEEEEE10hipError_tT0_T1_T2_jT3_P12ihipStream_tbPNSt15iterator_traitsISE_E10value_typeEPNSK_ISF_E10value_typeEPSG_NS1_7vsmem_tEENKUlT_SE_SF_SG_E_clIS8_S8_S9_S9_EESD_ST_SE_SF_SG_EUlST_E_NS1_11comp_targetILNS1_3genE4ELNS1_11target_archE910ELNS1_3gpuE8ELNS1_3repE0EEENS1_48merge_mergepath_partition_config_static_selectorELNS0_4arch9wavefront6targetE0EEEvSF_: ; @_ZN7rocprim17ROCPRIM_400000_NS6detail17trampoline_kernelINS0_14default_configENS1_38merge_sort_block_merge_config_selectorIsNS0_10empty_typeEEEZZNS1_27merge_sort_block_merge_implIS3_PsPS5_jNS1_19radix_merge_compareILb0ELb0EsNS0_19identity_decomposerEEEEE10hipError_tT0_T1_T2_jT3_P12ihipStream_tbPNSt15iterator_traitsISE_E10value_typeEPNSK_ISF_E10value_typeEPSG_NS1_7vsmem_tEENKUlT_SE_SF_SG_E_clIS8_S8_S9_S9_EESD_ST_SE_SF_SG_EUlST_E_NS1_11comp_targetILNS1_3genE4ELNS1_11target_archE910ELNS1_3gpuE8ELNS1_3repE0EEENS1_48merge_mergepath_partition_config_static_selectorELNS0_4arch9wavefront6targetE0EEEvSF_
; %bb.0:
	.section	.rodata,"a",@progbits
	.p2align	6, 0x0
	.amdhsa_kernel _ZN7rocprim17ROCPRIM_400000_NS6detail17trampoline_kernelINS0_14default_configENS1_38merge_sort_block_merge_config_selectorIsNS0_10empty_typeEEEZZNS1_27merge_sort_block_merge_implIS3_PsPS5_jNS1_19radix_merge_compareILb0ELb0EsNS0_19identity_decomposerEEEEE10hipError_tT0_T1_T2_jT3_P12ihipStream_tbPNSt15iterator_traitsISE_E10value_typeEPNSK_ISF_E10value_typeEPSG_NS1_7vsmem_tEENKUlT_SE_SF_SG_E_clIS8_S8_S9_S9_EESD_ST_SE_SF_SG_EUlST_E_NS1_11comp_targetILNS1_3genE4ELNS1_11target_archE910ELNS1_3gpuE8ELNS1_3repE0EEENS1_48merge_mergepath_partition_config_static_selectorELNS0_4arch9wavefront6targetE0EEEvSF_
		.amdhsa_group_segment_fixed_size 0
		.amdhsa_private_segment_fixed_size 0
		.amdhsa_kernarg_size 40
		.amdhsa_user_sgpr_count 2
		.amdhsa_user_sgpr_dispatch_ptr 0
		.amdhsa_user_sgpr_queue_ptr 0
		.amdhsa_user_sgpr_kernarg_segment_ptr 1
		.amdhsa_user_sgpr_dispatch_id 0
		.amdhsa_user_sgpr_kernarg_preload_length 0
		.amdhsa_user_sgpr_kernarg_preload_offset 0
		.amdhsa_user_sgpr_private_segment_size 0
		.amdhsa_wavefront_size32 1
		.amdhsa_uses_dynamic_stack 0
		.amdhsa_enable_private_segment 0
		.amdhsa_system_sgpr_workgroup_id_x 1
		.amdhsa_system_sgpr_workgroup_id_y 0
		.amdhsa_system_sgpr_workgroup_id_z 0
		.amdhsa_system_sgpr_workgroup_info 0
		.amdhsa_system_vgpr_workitem_id 0
		.amdhsa_next_free_vgpr 1
		.amdhsa_next_free_sgpr 1
		.amdhsa_named_barrier_count 0
		.amdhsa_reserve_vcc 0
		.amdhsa_float_round_mode_32 0
		.amdhsa_float_round_mode_16_64 0
		.amdhsa_float_denorm_mode_32 3
		.amdhsa_float_denorm_mode_16_64 3
		.amdhsa_fp16_overflow 0
		.amdhsa_memory_ordered 1
		.amdhsa_forward_progress 1
		.amdhsa_inst_pref_size 0
		.amdhsa_round_robin_scheduling 0
		.amdhsa_exception_fp_ieee_invalid_op 0
		.amdhsa_exception_fp_denorm_src 0
		.amdhsa_exception_fp_ieee_div_zero 0
		.amdhsa_exception_fp_ieee_overflow 0
		.amdhsa_exception_fp_ieee_underflow 0
		.amdhsa_exception_fp_ieee_inexact 0
		.amdhsa_exception_int_div_zero 0
	.end_amdhsa_kernel
	.section	.text._ZN7rocprim17ROCPRIM_400000_NS6detail17trampoline_kernelINS0_14default_configENS1_38merge_sort_block_merge_config_selectorIsNS0_10empty_typeEEEZZNS1_27merge_sort_block_merge_implIS3_PsPS5_jNS1_19radix_merge_compareILb0ELb0EsNS0_19identity_decomposerEEEEE10hipError_tT0_T1_T2_jT3_P12ihipStream_tbPNSt15iterator_traitsISE_E10value_typeEPNSK_ISF_E10value_typeEPSG_NS1_7vsmem_tEENKUlT_SE_SF_SG_E_clIS8_S8_S9_S9_EESD_ST_SE_SF_SG_EUlST_E_NS1_11comp_targetILNS1_3genE4ELNS1_11target_archE910ELNS1_3gpuE8ELNS1_3repE0EEENS1_48merge_mergepath_partition_config_static_selectorELNS0_4arch9wavefront6targetE0EEEvSF_,"axG",@progbits,_ZN7rocprim17ROCPRIM_400000_NS6detail17trampoline_kernelINS0_14default_configENS1_38merge_sort_block_merge_config_selectorIsNS0_10empty_typeEEEZZNS1_27merge_sort_block_merge_implIS3_PsPS5_jNS1_19radix_merge_compareILb0ELb0EsNS0_19identity_decomposerEEEEE10hipError_tT0_T1_T2_jT3_P12ihipStream_tbPNSt15iterator_traitsISE_E10value_typeEPNSK_ISF_E10value_typeEPSG_NS1_7vsmem_tEENKUlT_SE_SF_SG_E_clIS8_S8_S9_S9_EESD_ST_SE_SF_SG_EUlST_E_NS1_11comp_targetILNS1_3genE4ELNS1_11target_archE910ELNS1_3gpuE8ELNS1_3repE0EEENS1_48merge_mergepath_partition_config_static_selectorELNS0_4arch9wavefront6targetE0EEEvSF_,comdat
.Lfunc_end650:
	.size	_ZN7rocprim17ROCPRIM_400000_NS6detail17trampoline_kernelINS0_14default_configENS1_38merge_sort_block_merge_config_selectorIsNS0_10empty_typeEEEZZNS1_27merge_sort_block_merge_implIS3_PsPS5_jNS1_19radix_merge_compareILb0ELb0EsNS0_19identity_decomposerEEEEE10hipError_tT0_T1_T2_jT3_P12ihipStream_tbPNSt15iterator_traitsISE_E10value_typeEPNSK_ISF_E10value_typeEPSG_NS1_7vsmem_tEENKUlT_SE_SF_SG_E_clIS8_S8_S9_S9_EESD_ST_SE_SF_SG_EUlST_E_NS1_11comp_targetILNS1_3genE4ELNS1_11target_archE910ELNS1_3gpuE8ELNS1_3repE0EEENS1_48merge_mergepath_partition_config_static_selectorELNS0_4arch9wavefront6targetE0EEEvSF_, .Lfunc_end650-_ZN7rocprim17ROCPRIM_400000_NS6detail17trampoline_kernelINS0_14default_configENS1_38merge_sort_block_merge_config_selectorIsNS0_10empty_typeEEEZZNS1_27merge_sort_block_merge_implIS3_PsPS5_jNS1_19radix_merge_compareILb0ELb0EsNS0_19identity_decomposerEEEEE10hipError_tT0_T1_T2_jT3_P12ihipStream_tbPNSt15iterator_traitsISE_E10value_typeEPNSK_ISF_E10value_typeEPSG_NS1_7vsmem_tEENKUlT_SE_SF_SG_E_clIS8_S8_S9_S9_EESD_ST_SE_SF_SG_EUlST_E_NS1_11comp_targetILNS1_3genE4ELNS1_11target_archE910ELNS1_3gpuE8ELNS1_3repE0EEENS1_48merge_mergepath_partition_config_static_selectorELNS0_4arch9wavefront6targetE0EEEvSF_
                                        ; -- End function
	.set _ZN7rocprim17ROCPRIM_400000_NS6detail17trampoline_kernelINS0_14default_configENS1_38merge_sort_block_merge_config_selectorIsNS0_10empty_typeEEEZZNS1_27merge_sort_block_merge_implIS3_PsPS5_jNS1_19radix_merge_compareILb0ELb0EsNS0_19identity_decomposerEEEEE10hipError_tT0_T1_T2_jT3_P12ihipStream_tbPNSt15iterator_traitsISE_E10value_typeEPNSK_ISF_E10value_typeEPSG_NS1_7vsmem_tEENKUlT_SE_SF_SG_E_clIS8_S8_S9_S9_EESD_ST_SE_SF_SG_EUlST_E_NS1_11comp_targetILNS1_3genE4ELNS1_11target_archE910ELNS1_3gpuE8ELNS1_3repE0EEENS1_48merge_mergepath_partition_config_static_selectorELNS0_4arch9wavefront6targetE0EEEvSF_.num_vgpr, 0
	.set _ZN7rocprim17ROCPRIM_400000_NS6detail17trampoline_kernelINS0_14default_configENS1_38merge_sort_block_merge_config_selectorIsNS0_10empty_typeEEEZZNS1_27merge_sort_block_merge_implIS3_PsPS5_jNS1_19radix_merge_compareILb0ELb0EsNS0_19identity_decomposerEEEEE10hipError_tT0_T1_T2_jT3_P12ihipStream_tbPNSt15iterator_traitsISE_E10value_typeEPNSK_ISF_E10value_typeEPSG_NS1_7vsmem_tEENKUlT_SE_SF_SG_E_clIS8_S8_S9_S9_EESD_ST_SE_SF_SG_EUlST_E_NS1_11comp_targetILNS1_3genE4ELNS1_11target_archE910ELNS1_3gpuE8ELNS1_3repE0EEENS1_48merge_mergepath_partition_config_static_selectorELNS0_4arch9wavefront6targetE0EEEvSF_.num_agpr, 0
	.set _ZN7rocprim17ROCPRIM_400000_NS6detail17trampoline_kernelINS0_14default_configENS1_38merge_sort_block_merge_config_selectorIsNS0_10empty_typeEEEZZNS1_27merge_sort_block_merge_implIS3_PsPS5_jNS1_19radix_merge_compareILb0ELb0EsNS0_19identity_decomposerEEEEE10hipError_tT0_T1_T2_jT3_P12ihipStream_tbPNSt15iterator_traitsISE_E10value_typeEPNSK_ISF_E10value_typeEPSG_NS1_7vsmem_tEENKUlT_SE_SF_SG_E_clIS8_S8_S9_S9_EESD_ST_SE_SF_SG_EUlST_E_NS1_11comp_targetILNS1_3genE4ELNS1_11target_archE910ELNS1_3gpuE8ELNS1_3repE0EEENS1_48merge_mergepath_partition_config_static_selectorELNS0_4arch9wavefront6targetE0EEEvSF_.numbered_sgpr, 0
	.set _ZN7rocprim17ROCPRIM_400000_NS6detail17trampoline_kernelINS0_14default_configENS1_38merge_sort_block_merge_config_selectorIsNS0_10empty_typeEEEZZNS1_27merge_sort_block_merge_implIS3_PsPS5_jNS1_19radix_merge_compareILb0ELb0EsNS0_19identity_decomposerEEEEE10hipError_tT0_T1_T2_jT3_P12ihipStream_tbPNSt15iterator_traitsISE_E10value_typeEPNSK_ISF_E10value_typeEPSG_NS1_7vsmem_tEENKUlT_SE_SF_SG_E_clIS8_S8_S9_S9_EESD_ST_SE_SF_SG_EUlST_E_NS1_11comp_targetILNS1_3genE4ELNS1_11target_archE910ELNS1_3gpuE8ELNS1_3repE0EEENS1_48merge_mergepath_partition_config_static_selectorELNS0_4arch9wavefront6targetE0EEEvSF_.num_named_barrier, 0
	.set _ZN7rocprim17ROCPRIM_400000_NS6detail17trampoline_kernelINS0_14default_configENS1_38merge_sort_block_merge_config_selectorIsNS0_10empty_typeEEEZZNS1_27merge_sort_block_merge_implIS3_PsPS5_jNS1_19radix_merge_compareILb0ELb0EsNS0_19identity_decomposerEEEEE10hipError_tT0_T1_T2_jT3_P12ihipStream_tbPNSt15iterator_traitsISE_E10value_typeEPNSK_ISF_E10value_typeEPSG_NS1_7vsmem_tEENKUlT_SE_SF_SG_E_clIS8_S8_S9_S9_EESD_ST_SE_SF_SG_EUlST_E_NS1_11comp_targetILNS1_3genE4ELNS1_11target_archE910ELNS1_3gpuE8ELNS1_3repE0EEENS1_48merge_mergepath_partition_config_static_selectorELNS0_4arch9wavefront6targetE0EEEvSF_.private_seg_size, 0
	.set _ZN7rocprim17ROCPRIM_400000_NS6detail17trampoline_kernelINS0_14default_configENS1_38merge_sort_block_merge_config_selectorIsNS0_10empty_typeEEEZZNS1_27merge_sort_block_merge_implIS3_PsPS5_jNS1_19radix_merge_compareILb0ELb0EsNS0_19identity_decomposerEEEEE10hipError_tT0_T1_T2_jT3_P12ihipStream_tbPNSt15iterator_traitsISE_E10value_typeEPNSK_ISF_E10value_typeEPSG_NS1_7vsmem_tEENKUlT_SE_SF_SG_E_clIS8_S8_S9_S9_EESD_ST_SE_SF_SG_EUlST_E_NS1_11comp_targetILNS1_3genE4ELNS1_11target_archE910ELNS1_3gpuE8ELNS1_3repE0EEENS1_48merge_mergepath_partition_config_static_selectorELNS0_4arch9wavefront6targetE0EEEvSF_.uses_vcc, 0
	.set _ZN7rocprim17ROCPRIM_400000_NS6detail17trampoline_kernelINS0_14default_configENS1_38merge_sort_block_merge_config_selectorIsNS0_10empty_typeEEEZZNS1_27merge_sort_block_merge_implIS3_PsPS5_jNS1_19radix_merge_compareILb0ELb0EsNS0_19identity_decomposerEEEEE10hipError_tT0_T1_T2_jT3_P12ihipStream_tbPNSt15iterator_traitsISE_E10value_typeEPNSK_ISF_E10value_typeEPSG_NS1_7vsmem_tEENKUlT_SE_SF_SG_E_clIS8_S8_S9_S9_EESD_ST_SE_SF_SG_EUlST_E_NS1_11comp_targetILNS1_3genE4ELNS1_11target_archE910ELNS1_3gpuE8ELNS1_3repE0EEENS1_48merge_mergepath_partition_config_static_selectorELNS0_4arch9wavefront6targetE0EEEvSF_.uses_flat_scratch, 0
	.set _ZN7rocprim17ROCPRIM_400000_NS6detail17trampoline_kernelINS0_14default_configENS1_38merge_sort_block_merge_config_selectorIsNS0_10empty_typeEEEZZNS1_27merge_sort_block_merge_implIS3_PsPS5_jNS1_19radix_merge_compareILb0ELb0EsNS0_19identity_decomposerEEEEE10hipError_tT0_T1_T2_jT3_P12ihipStream_tbPNSt15iterator_traitsISE_E10value_typeEPNSK_ISF_E10value_typeEPSG_NS1_7vsmem_tEENKUlT_SE_SF_SG_E_clIS8_S8_S9_S9_EESD_ST_SE_SF_SG_EUlST_E_NS1_11comp_targetILNS1_3genE4ELNS1_11target_archE910ELNS1_3gpuE8ELNS1_3repE0EEENS1_48merge_mergepath_partition_config_static_selectorELNS0_4arch9wavefront6targetE0EEEvSF_.has_dyn_sized_stack, 0
	.set _ZN7rocprim17ROCPRIM_400000_NS6detail17trampoline_kernelINS0_14default_configENS1_38merge_sort_block_merge_config_selectorIsNS0_10empty_typeEEEZZNS1_27merge_sort_block_merge_implIS3_PsPS5_jNS1_19radix_merge_compareILb0ELb0EsNS0_19identity_decomposerEEEEE10hipError_tT0_T1_T2_jT3_P12ihipStream_tbPNSt15iterator_traitsISE_E10value_typeEPNSK_ISF_E10value_typeEPSG_NS1_7vsmem_tEENKUlT_SE_SF_SG_E_clIS8_S8_S9_S9_EESD_ST_SE_SF_SG_EUlST_E_NS1_11comp_targetILNS1_3genE4ELNS1_11target_archE910ELNS1_3gpuE8ELNS1_3repE0EEENS1_48merge_mergepath_partition_config_static_selectorELNS0_4arch9wavefront6targetE0EEEvSF_.has_recursion, 0
	.set _ZN7rocprim17ROCPRIM_400000_NS6detail17trampoline_kernelINS0_14default_configENS1_38merge_sort_block_merge_config_selectorIsNS0_10empty_typeEEEZZNS1_27merge_sort_block_merge_implIS3_PsPS5_jNS1_19radix_merge_compareILb0ELb0EsNS0_19identity_decomposerEEEEE10hipError_tT0_T1_T2_jT3_P12ihipStream_tbPNSt15iterator_traitsISE_E10value_typeEPNSK_ISF_E10value_typeEPSG_NS1_7vsmem_tEENKUlT_SE_SF_SG_E_clIS8_S8_S9_S9_EESD_ST_SE_SF_SG_EUlST_E_NS1_11comp_targetILNS1_3genE4ELNS1_11target_archE910ELNS1_3gpuE8ELNS1_3repE0EEENS1_48merge_mergepath_partition_config_static_selectorELNS0_4arch9wavefront6targetE0EEEvSF_.has_indirect_call, 0
	.section	.AMDGPU.csdata,"",@progbits
; Kernel info:
; codeLenInByte = 0
; TotalNumSgprs: 0
; NumVgprs: 0
; ScratchSize: 0
; MemoryBound: 0
; FloatMode: 240
; IeeeMode: 1
; LDSByteSize: 0 bytes/workgroup (compile time only)
; SGPRBlocks: 0
; VGPRBlocks: 0
; NumSGPRsForWavesPerEU: 1
; NumVGPRsForWavesPerEU: 1
; NamedBarCnt: 0
; Occupancy: 16
; WaveLimiterHint : 0
; COMPUTE_PGM_RSRC2:SCRATCH_EN: 0
; COMPUTE_PGM_RSRC2:USER_SGPR: 2
; COMPUTE_PGM_RSRC2:TRAP_HANDLER: 0
; COMPUTE_PGM_RSRC2:TGID_X_EN: 1
; COMPUTE_PGM_RSRC2:TGID_Y_EN: 0
; COMPUTE_PGM_RSRC2:TGID_Z_EN: 0
; COMPUTE_PGM_RSRC2:TIDIG_COMP_CNT: 0
	.section	.text._ZN7rocprim17ROCPRIM_400000_NS6detail17trampoline_kernelINS0_14default_configENS1_38merge_sort_block_merge_config_selectorIsNS0_10empty_typeEEEZZNS1_27merge_sort_block_merge_implIS3_PsPS5_jNS1_19radix_merge_compareILb0ELb0EsNS0_19identity_decomposerEEEEE10hipError_tT0_T1_T2_jT3_P12ihipStream_tbPNSt15iterator_traitsISE_E10value_typeEPNSK_ISF_E10value_typeEPSG_NS1_7vsmem_tEENKUlT_SE_SF_SG_E_clIS8_S8_S9_S9_EESD_ST_SE_SF_SG_EUlST_E_NS1_11comp_targetILNS1_3genE3ELNS1_11target_archE908ELNS1_3gpuE7ELNS1_3repE0EEENS1_48merge_mergepath_partition_config_static_selectorELNS0_4arch9wavefront6targetE0EEEvSF_,"axG",@progbits,_ZN7rocprim17ROCPRIM_400000_NS6detail17trampoline_kernelINS0_14default_configENS1_38merge_sort_block_merge_config_selectorIsNS0_10empty_typeEEEZZNS1_27merge_sort_block_merge_implIS3_PsPS5_jNS1_19radix_merge_compareILb0ELb0EsNS0_19identity_decomposerEEEEE10hipError_tT0_T1_T2_jT3_P12ihipStream_tbPNSt15iterator_traitsISE_E10value_typeEPNSK_ISF_E10value_typeEPSG_NS1_7vsmem_tEENKUlT_SE_SF_SG_E_clIS8_S8_S9_S9_EESD_ST_SE_SF_SG_EUlST_E_NS1_11comp_targetILNS1_3genE3ELNS1_11target_archE908ELNS1_3gpuE7ELNS1_3repE0EEENS1_48merge_mergepath_partition_config_static_selectorELNS0_4arch9wavefront6targetE0EEEvSF_,comdat
	.protected	_ZN7rocprim17ROCPRIM_400000_NS6detail17trampoline_kernelINS0_14default_configENS1_38merge_sort_block_merge_config_selectorIsNS0_10empty_typeEEEZZNS1_27merge_sort_block_merge_implIS3_PsPS5_jNS1_19radix_merge_compareILb0ELb0EsNS0_19identity_decomposerEEEEE10hipError_tT0_T1_T2_jT3_P12ihipStream_tbPNSt15iterator_traitsISE_E10value_typeEPNSK_ISF_E10value_typeEPSG_NS1_7vsmem_tEENKUlT_SE_SF_SG_E_clIS8_S8_S9_S9_EESD_ST_SE_SF_SG_EUlST_E_NS1_11comp_targetILNS1_3genE3ELNS1_11target_archE908ELNS1_3gpuE7ELNS1_3repE0EEENS1_48merge_mergepath_partition_config_static_selectorELNS0_4arch9wavefront6targetE0EEEvSF_ ; -- Begin function _ZN7rocprim17ROCPRIM_400000_NS6detail17trampoline_kernelINS0_14default_configENS1_38merge_sort_block_merge_config_selectorIsNS0_10empty_typeEEEZZNS1_27merge_sort_block_merge_implIS3_PsPS5_jNS1_19radix_merge_compareILb0ELb0EsNS0_19identity_decomposerEEEEE10hipError_tT0_T1_T2_jT3_P12ihipStream_tbPNSt15iterator_traitsISE_E10value_typeEPNSK_ISF_E10value_typeEPSG_NS1_7vsmem_tEENKUlT_SE_SF_SG_E_clIS8_S8_S9_S9_EESD_ST_SE_SF_SG_EUlST_E_NS1_11comp_targetILNS1_3genE3ELNS1_11target_archE908ELNS1_3gpuE7ELNS1_3repE0EEENS1_48merge_mergepath_partition_config_static_selectorELNS0_4arch9wavefront6targetE0EEEvSF_
	.globl	_ZN7rocprim17ROCPRIM_400000_NS6detail17trampoline_kernelINS0_14default_configENS1_38merge_sort_block_merge_config_selectorIsNS0_10empty_typeEEEZZNS1_27merge_sort_block_merge_implIS3_PsPS5_jNS1_19radix_merge_compareILb0ELb0EsNS0_19identity_decomposerEEEEE10hipError_tT0_T1_T2_jT3_P12ihipStream_tbPNSt15iterator_traitsISE_E10value_typeEPNSK_ISF_E10value_typeEPSG_NS1_7vsmem_tEENKUlT_SE_SF_SG_E_clIS8_S8_S9_S9_EESD_ST_SE_SF_SG_EUlST_E_NS1_11comp_targetILNS1_3genE3ELNS1_11target_archE908ELNS1_3gpuE7ELNS1_3repE0EEENS1_48merge_mergepath_partition_config_static_selectorELNS0_4arch9wavefront6targetE0EEEvSF_
	.p2align	8
	.type	_ZN7rocprim17ROCPRIM_400000_NS6detail17trampoline_kernelINS0_14default_configENS1_38merge_sort_block_merge_config_selectorIsNS0_10empty_typeEEEZZNS1_27merge_sort_block_merge_implIS3_PsPS5_jNS1_19radix_merge_compareILb0ELb0EsNS0_19identity_decomposerEEEEE10hipError_tT0_T1_T2_jT3_P12ihipStream_tbPNSt15iterator_traitsISE_E10value_typeEPNSK_ISF_E10value_typeEPSG_NS1_7vsmem_tEENKUlT_SE_SF_SG_E_clIS8_S8_S9_S9_EESD_ST_SE_SF_SG_EUlST_E_NS1_11comp_targetILNS1_3genE3ELNS1_11target_archE908ELNS1_3gpuE7ELNS1_3repE0EEENS1_48merge_mergepath_partition_config_static_selectorELNS0_4arch9wavefront6targetE0EEEvSF_,@function
_ZN7rocprim17ROCPRIM_400000_NS6detail17trampoline_kernelINS0_14default_configENS1_38merge_sort_block_merge_config_selectorIsNS0_10empty_typeEEEZZNS1_27merge_sort_block_merge_implIS3_PsPS5_jNS1_19radix_merge_compareILb0ELb0EsNS0_19identity_decomposerEEEEE10hipError_tT0_T1_T2_jT3_P12ihipStream_tbPNSt15iterator_traitsISE_E10value_typeEPNSK_ISF_E10value_typeEPSG_NS1_7vsmem_tEENKUlT_SE_SF_SG_E_clIS8_S8_S9_S9_EESD_ST_SE_SF_SG_EUlST_E_NS1_11comp_targetILNS1_3genE3ELNS1_11target_archE908ELNS1_3gpuE7ELNS1_3repE0EEENS1_48merge_mergepath_partition_config_static_selectorELNS0_4arch9wavefront6targetE0EEEvSF_: ; @_ZN7rocprim17ROCPRIM_400000_NS6detail17trampoline_kernelINS0_14default_configENS1_38merge_sort_block_merge_config_selectorIsNS0_10empty_typeEEEZZNS1_27merge_sort_block_merge_implIS3_PsPS5_jNS1_19radix_merge_compareILb0ELb0EsNS0_19identity_decomposerEEEEE10hipError_tT0_T1_T2_jT3_P12ihipStream_tbPNSt15iterator_traitsISE_E10value_typeEPNSK_ISF_E10value_typeEPSG_NS1_7vsmem_tEENKUlT_SE_SF_SG_E_clIS8_S8_S9_S9_EESD_ST_SE_SF_SG_EUlST_E_NS1_11comp_targetILNS1_3genE3ELNS1_11target_archE908ELNS1_3gpuE7ELNS1_3repE0EEENS1_48merge_mergepath_partition_config_static_selectorELNS0_4arch9wavefront6targetE0EEEvSF_
; %bb.0:
	.section	.rodata,"a",@progbits
	.p2align	6, 0x0
	.amdhsa_kernel _ZN7rocprim17ROCPRIM_400000_NS6detail17trampoline_kernelINS0_14default_configENS1_38merge_sort_block_merge_config_selectorIsNS0_10empty_typeEEEZZNS1_27merge_sort_block_merge_implIS3_PsPS5_jNS1_19radix_merge_compareILb0ELb0EsNS0_19identity_decomposerEEEEE10hipError_tT0_T1_T2_jT3_P12ihipStream_tbPNSt15iterator_traitsISE_E10value_typeEPNSK_ISF_E10value_typeEPSG_NS1_7vsmem_tEENKUlT_SE_SF_SG_E_clIS8_S8_S9_S9_EESD_ST_SE_SF_SG_EUlST_E_NS1_11comp_targetILNS1_3genE3ELNS1_11target_archE908ELNS1_3gpuE7ELNS1_3repE0EEENS1_48merge_mergepath_partition_config_static_selectorELNS0_4arch9wavefront6targetE0EEEvSF_
		.amdhsa_group_segment_fixed_size 0
		.amdhsa_private_segment_fixed_size 0
		.amdhsa_kernarg_size 40
		.amdhsa_user_sgpr_count 2
		.amdhsa_user_sgpr_dispatch_ptr 0
		.amdhsa_user_sgpr_queue_ptr 0
		.amdhsa_user_sgpr_kernarg_segment_ptr 1
		.amdhsa_user_sgpr_dispatch_id 0
		.amdhsa_user_sgpr_kernarg_preload_length 0
		.amdhsa_user_sgpr_kernarg_preload_offset 0
		.amdhsa_user_sgpr_private_segment_size 0
		.amdhsa_wavefront_size32 1
		.amdhsa_uses_dynamic_stack 0
		.amdhsa_enable_private_segment 0
		.amdhsa_system_sgpr_workgroup_id_x 1
		.amdhsa_system_sgpr_workgroup_id_y 0
		.amdhsa_system_sgpr_workgroup_id_z 0
		.amdhsa_system_sgpr_workgroup_info 0
		.amdhsa_system_vgpr_workitem_id 0
		.amdhsa_next_free_vgpr 1
		.amdhsa_next_free_sgpr 1
		.amdhsa_named_barrier_count 0
		.amdhsa_reserve_vcc 0
		.amdhsa_float_round_mode_32 0
		.amdhsa_float_round_mode_16_64 0
		.amdhsa_float_denorm_mode_32 3
		.amdhsa_float_denorm_mode_16_64 3
		.amdhsa_fp16_overflow 0
		.amdhsa_memory_ordered 1
		.amdhsa_forward_progress 1
		.amdhsa_inst_pref_size 0
		.amdhsa_round_robin_scheduling 0
		.amdhsa_exception_fp_ieee_invalid_op 0
		.amdhsa_exception_fp_denorm_src 0
		.amdhsa_exception_fp_ieee_div_zero 0
		.amdhsa_exception_fp_ieee_overflow 0
		.amdhsa_exception_fp_ieee_underflow 0
		.amdhsa_exception_fp_ieee_inexact 0
		.amdhsa_exception_int_div_zero 0
	.end_amdhsa_kernel
	.section	.text._ZN7rocprim17ROCPRIM_400000_NS6detail17trampoline_kernelINS0_14default_configENS1_38merge_sort_block_merge_config_selectorIsNS0_10empty_typeEEEZZNS1_27merge_sort_block_merge_implIS3_PsPS5_jNS1_19radix_merge_compareILb0ELb0EsNS0_19identity_decomposerEEEEE10hipError_tT0_T1_T2_jT3_P12ihipStream_tbPNSt15iterator_traitsISE_E10value_typeEPNSK_ISF_E10value_typeEPSG_NS1_7vsmem_tEENKUlT_SE_SF_SG_E_clIS8_S8_S9_S9_EESD_ST_SE_SF_SG_EUlST_E_NS1_11comp_targetILNS1_3genE3ELNS1_11target_archE908ELNS1_3gpuE7ELNS1_3repE0EEENS1_48merge_mergepath_partition_config_static_selectorELNS0_4arch9wavefront6targetE0EEEvSF_,"axG",@progbits,_ZN7rocprim17ROCPRIM_400000_NS6detail17trampoline_kernelINS0_14default_configENS1_38merge_sort_block_merge_config_selectorIsNS0_10empty_typeEEEZZNS1_27merge_sort_block_merge_implIS3_PsPS5_jNS1_19radix_merge_compareILb0ELb0EsNS0_19identity_decomposerEEEEE10hipError_tT0_T1_T2_jT3_P12ihipStream_tbPNSt15iterator_traitsISE_E10value_typeEPNSK_ISF_E10value_typeEPSG_NS1_7vsmem_tEENKUlT_SE_SF_SG_E_clIS8_S8_S9_S9_EESD_ST_SE_SF_SG_EUlST_E_NS1_11comp_targetILNS1_3genE3ELNS1_11target_archE908ELNS1_3gpuE7ELNS1_3repE0EEENS1_48merge_mergepath_partition_config_static_selectorELNS0_4arch9wavefront6targetE0EEEvSF_,comdat
.Lfunc_end651:
	.size	_ZN7rocprim17ROCPRIM_400000_NS6detail17trampoline_kernelINS0_14default_configENS1_38merge_sort_block_merge_config_selectorIsNS0_10empty_typeEEEZZNS1_27merge_sort_block_merge_implIS3_PsPS5_jNS1_19radix_merge_compareILb0ELb0EsNS0_19identity_decomposerEEEEE10hipError_tT0_T1_T2_jT3_P12ihipStream_tbPNSt15iterator_traitsISE_E10value_typeEPNSK_ISF_E10value_typeEPSG_NS1_7vsmem_tEENKUlT_SE_SF_SG_E_clIS8_S8_S9_S9_EESD_ST_SE_SF_SG_EUlST_E_NS1_11comp_targetILNS1_3genE3ELNS1_11target_archE908ELNS1_3gpuE7ELNS1_3repE0EEENS1_48merge_mergepath_partition_config_static_selectorELNS0_4arch9wavefront6targetE0EEEvSF_, .Lfunc_end651-_ZN7rocprim17ROCPRIM_400000_NS6detail17trampoline_kernelINS0_14default_configENS1_38merge_sort_block_merge_config_selectorIsNS0_10empty_typeEEEZZNS1_27merge_sort_block_merge_implIS3_PsPS5_jNS1_19radix_merge_compareILb0ELb0EsNS0_19identity_decomposerEEEEE10hipError_tT0_T1_T2_jT3_P12ihipStream_tbPNSt15iterator_traitsISE_E10value_typeEPNSK_ISF_E10value_typeEPSG_NS1_7vsmem_tEENKUlT_SE_SF_SG_E_clIS8_S8_S9_S9_EESD_ST_SE_SF_SG_EUlST_E_NS1_11comp_targetILNS1_3genE3ELNS1_11target_archE908ELNS1_3gpuE7ELNS1_3repE0EEENS1_48merge_mergepath_partition_config_static_selectorELNS0_4arch9wavefront6targetE0EEEvSF_
                                        ; -- End function
	.set _ZN7rocprim17ROCPRIM_400000_NS6detail17trampoline_kernelINS0_14default_configENS1_38merge_sort_block_merge_config_selectorIsNS0_10empty_typeEEEZZNS1_27merge_sort_block_merge_implIS3_PsPS5_jNS1_19radix_merge_compareILb0ELb0EsNS0_19identity_decomposerEEEEE10hipError_tT0_T1_T2_jT3_P12ihipStream_tbPNSt15iterator_traitsISE_E10value_typeEPNSK_ISF_E10value_typeEPSG_NS1_7vsmem_tEENKUlT_SE_SF_SG_E_clIS8_S8_S9_S9_EESD_ST_SE_SF_SG_EUlST_E_NS1_11comp_targetILNS1_3genE3ELNS1_11target_archE908ELNS1_3gpuE7ELNS1_3repE0EEENS1_48merge_mergepath_partition_config_static_selectorELNS0_4arch9wavefront6targetE0EEEvSF_.num_vgpr, 0
	.set _ZN7rocprim17ROCPRIM_400000_NS6detail17trampoline_kernelINS0_14default_configENS1_38merge_sort_block_merge_config_selectorIsNS0_10empty_typeEEEZZNS1_27merge_sort_block_merge_implIS3_PsPS5_jNS1_19radix_merge_compareILb0ELb0EsNS0_19identity_decomposerEEEEE10hipError_tT0_T1_T2_jT3_P12ihipStream_tbPNSt15iterator_traitsISE_E10value_typeEPNSK_ISF_E10value_typeEPSG_NS1_7vsmem_tEENKUlT_SE_SF_SG_E_clIS8_S8_S9_S9_EESD_ST_SE_SF_SG_EUlST_E_NS1_11comp_targetILNS1_3genE3ELNS1_11target_archE908ELNS1_3gpuE7ELNS1_3repE0EEENS1_48merge_mergepath_partition_config_static_selectorELNS0_4arch9wavefront6targetE0EEEvSF_.num_agpr, 0
	.set _ZN7rocprim17ROCPRIM_400000_NS6detail17trampoline_kernelINS0_14default_configENS1_38merge_sort_block_merge_config_selectorIsNS0_10empty_typeEEEZZNS1_27merge_sort_block_merge_implIS3_PsPS5_jNS1_19radix_merge_compareILb0ELb0EsNS0_19identity_decomposerEEEEE10hipError_tT0_T1_T2_jT3_P12ihipStream_tbPNSt15iterator_traitsISE_E10value_typeEPNSK_ISF_E10value_typeEPSG_NS1_7vsmem_tEENKUlT_SE_SF_SG_E_clIS8_S8_S9_S9_EESD_ST_SE_SF_SG_EUlST_E_NS1_11comp_targetILNS1_3genE3ELNS1_11target_archE908ELNS1_3gpuE7ELNS1_3repE0EEENS1_48merge_mergepath_partition_config_static_selectorELNS0_4arch9wavefront6targetE0EEEvSF_.numbered_sgpr, 0
	.set _ZN7rocprim17ROCPRIM_400000_NS6detail17trampoline_kernelINS0_14default_configENS1_38merge_sort_block_merge_config_selectorIsNS0_10empty_typeEEEZZNS1_27merge_sort_block_merge_implIS3_PsPS5_jNS1_19radix_merge_compareILb0ELb0EsNS0_19identity_decomposerEEEEE10hipError_tT0_T1_T2_jT3_P12ihipStream_tbPNSt15iterator_traitsISE_E10value_typeEPNSK_ISF_E10value_typeEPSG_NS1_7vsmem_tEENKUlT_SE_SF_SG_E_clIS8_S8_S9_S9_EESD_ST_SE_SF_SG_EUlST_E_NS1_11comp_targetILNS1_3genE3ELNS1_11target_archE908ELNS1_3gpuE7ELNS1_3repE0EEENS1_48merge_mergepath_partition_config_static_selectorELNS0_4arch9wavefront6targetE0EEEvSF_.num_named_barrier, 0
	.set _ZN7rocprim17ROCPRIM_400000_NS6detail17trampoline_kernelINS0_14default_configENS1_38merge_sort_block_merge_config_selectorIsNS0_10empty_typeEEEZZNS1_27merge_sort_block_merge_implIS3_PsPS5_jNS1_19radix_merge_compareILb0ELb0EsNS0_19identity_decomposerEEEEE10hipError_tT0_T1_T2_jT3_P12ihipStream_tbPNSt15iterator_traitsISE_E10value_typeEPNSK_ISF_E10value_typeEPSG_NS1_7vsmem_tEENKUlT_SE_SF_SG_E_clIS8_S8_S9_S9_EESD_ST_SE_SF_SG_EUlST_E_NS1_11comp_targetILNS1_3genE3ELNS1_11target_archE908ELNS1_3gpuE7ELNS1_3repE0EEENS1_48merge_mergepath_partition_config_static_selectorELNS0_4arch9wavefront6targetE0EEEvSF_.private_seg_size, 0
	.set _ZN7rocprim17ROCPRIM_400000_NS6detail17trampoline_kernelINS0_14default_configENS1_38merge_sort_block_merge_config_selectorIsNS0_10empty_typeEEEZZNS1_27merge_sort_block_merge_implIS3_PsPS5_jNS1_19radix_merge_compareILb0ELb0EsNS0_19identity_decomposerEEEEE10hipError_tT0_T1_T2_jT3_P12ihipStream_tbPNSt15iterator_traitsISE_E10value_typeEPNSK_ISF_E10value_typeEPSG_NS1_7vsmem_tEENKUlT_SE_SF_SG_E_clIS8_S8_S9_S9_EESD_ST_SE_SF_SG_EUlST_E_NS1_11comp_targetILNS1_3genE3ELNS1_11target_archE908ELNS1_3gpuE7ELNS1_3repE0EEENS1_48merge_mergepath_partition_config_static_selectorELNS0_4arch9wavefront6targetE0EEEvSF_.uses_vcc, 0
	.set _ZN7rocprim17ROCPRIM_400000_NS6detail17trampoline_kernelINS0_14default_configENS1_38merge_sort_block_merge_config_selectorIsNS0_10empty_typeEEEZZNS1_27merge_sort_block_merge_implIS3_PsPS5_jNS1_19radix_merge_compareILb0ELb0EsNS0_19identity_decomposerEEEEE10hipError_tT0_T1_T2_jT3_P12ihipStream_tbPNSt15iterator_traitsISE_E10value_typeEPNSK_ISF_E10value_typeEPSG_NS1_7vsmem_tEENKUlT_SE_SF_SG_E_clIS8_S8_S9_S9_EESD_ST_SE_SF_SG_EUlST_E_NS1_11comp_targetILNS1_3genE3ELNS1_11target_archE908ELNS1_3gpuE7ELNS1_3repE0EEENS1_48merge_mergepath_partition_config_static_selectorELNS0_4arch9wavefront6targetE0EEEvSF_.uses_flat_scratch, 0
	.set _ZN7rocprim17ROCPRIM_400000_NS6detail17trampoline_kernelINS0_14default_configENS1_38merge_sort_block_merge_config_selectorIsNS0_10empty_typeEEEZZNS1_27merge_sort_block_merge_implIS3_PsPS5_jNS1_19radix_merge_compareILb0ELb0EsNS0_19identity_decomposerEEEEE10hipError_tT0_T1_T2_jT3_P12ihipStream_tbPNSt15iterator_traitsISE_E10value_typeEPNSK_ISF_E10value_typeEPSG_NS1_7vsmem_tEENKUlT_SE_SF_SG_E_clIS8_S8_S9_S9_EESD_ST_SE_SF_SG_EUlST_E_NS1_11comp_targetILNS1_3genE3ELNS1_11target_archE908ELNS1_3gpuE7ELNS1_3repE0EEENS1_48merge_mergepath_partition_config_static_selectorELNS0_4arch9wavefront6targetE0EEEvSF_.has_dyn_sized_stack, 0
	.set _ZN7rocprim17ROCPRIM_400000_NS6detail17trampoline_kernelINS0_14default_configENS1_38merge_sort_block_merge_config_selectorIsNS0_10empty_typeEEEZZNS1_27merge_sort_block_merge_implIS3_PsPS5_jNS1_19radix_merge_compareILb0ELb0EsNS0_19identity_decomposerEEEEE10hipError_tT0_T1_T2_jT3_P12ihipStream_tbPNSt15iterator_traitsISE_E10value_typeEPNSK_ISF_E10value_typeEPSG_NS1_7vsmem_tEENKUlT_SE_SF_SG_E_clIS8_S8_S9_S9_EESD_ST_SE_SF_SG_EUlST_E_NS1_11comp_targetILNS1_3genE3ELNS1_11target_archE908ELNS1_3gpuE7ELNS1_3repE0EEENS1_48merge_mergepath_partition_config_static_selectorELNS0_4arch9wavefront6targetE0EEEvSF_.has_recursion, 0
	.set _ZN7rocprim17ROCPRIM_400000_NS6detail17trampoline_kernelINS0_14default_configENS1_38merge_sort_block_merge_config_selectorIsNS0_10empty_typeEEEZZNS1_27merge_sort_block_merge_implIS3_PsPS5_jNS1_19radix_merge_compareILb0ELb0EsNS0_19identity_decomposerEEEEE10hipError_tT0_T1_T2_jT3_P12ihipStream_tbPNSt15iterator_traitsISE_E10value_typeEPNSK_ISF_E10value_typeEPSG_NS1_7vsmem_tEENKUlT_SE_SF_SG_E_clIS8_S8_S9_S9_EESD_ST_SE_SF_SG_EUlST_E_NS1_11comp_targetILNS1_3genE3ELNS1_11target_archE908ELNS1_3gpuE7ELNS1_3repE0EEENS1_48merge_mergepath_partition_config_static_selectorELNS0_4arch9wavefront6targetE0EEEvSF_.has_indirect_call, 0
	.section	.AMDGPU.csdata,"",@progbits
; Kernel info:
; codeLenInByte = 0
; TotalNumSgprs: 0
; NumVgprs: 0
; ScratchSize: 0
; MemoryBound: 0
; FloatMode: 240
; IeeeMode: 1
; LDSByteSize: 0 bytes/workgroup (compile time only)
; SGPRBlocks: 0
; VGPRBlocks: 0
; NumSGPRsForWavesPerEU: 1
; NumVGPRsForWavesPerEU: 1
; NamedBarCnt: 0
; Occupancy: 16
; WaveLimiterHint : 0
; COMPUTE_PGM_RSRC2:SCRATCH_EN: 0
; COMPUTE_PGM_RSRC2:USER_SGPR: 2
; COMPUTE_PGM_RSRC2:TRAP_HANDLER: 0
; COMPUTE_PGM_RSRC2:TGID_X_EN: 1
; COMPUTE_PGM_RSRC2:TGID_Y_EN: 0
; COMPUTE_PGM_RSRC2:TGID_Z_EN: 0
; COMPUTE_PGM_RSRC2:TIDIG_COMP_CNT: 0
	.section	.text._ZN7rocprim17ROCPRIM_400000_NS6detail17trampoline_kernelINS0_14default_configENS1_38merge_sort_block_merge_config_selectorIsNS0_10empty_typeEEEZZNS1_27merge_sort_block_merge_implIS3_PsPS5_jNS1_19radix_merge_compareILb0ELb0EsNS0_19identity_decomposerEEEEE10hipError_tT0_T1_T2_jT3_P12ihipStream_tbPNSt15iterator_traitsISE_E10value_typeEPNSK_ISF_E10value_typeEPSG_NS1_7vsmem_tEENKUlT_SE_SF_SG_E_clIS8_S8_S9_S9_EESD_ST_SE_SF_SG_EUlST_E_NS1_11comp_targetILNS1_3genE2ELNS1_11target_archE906ELNS1_3gpuE6ELNS1_3repE0EEENS1_48merge_mergepath_partition_config_static_selectorELNS0_4arch9wavefront6targetE0EEEvSF_,"axG",@progbits,_ZN7rocprim17ROCPRIM_400000_NS6detail17trampoline_kernelINS0_14default_configENS1_38merge_sort_block_merge_config_selectorIsNS0_10empty_typeEEEZZNS1_27merge_sort_block_merge_implIS3_PsPS5_jNS1_19radix_merge_compareILb0ELb0EsNS0_19identity_decomposerEEEEE10hipError_tT0_T1_T2_jT3_P12ihipStream_tbPNSt15iterator_traitsISE_E10value_typeEPNSK_ISF_E10value_typeEPSG_NS1_7vsmem_tEENKUlT_SE_SF_SG_E_clIS8_S8_S9_S9_EESD_ST_SE_SF_SG_EUlST_E_NS1_11comp_targetILNS1_3genE2ELNS1_11target_archE906ELNS1_3gpuE6ELNS1_3repE0EEENS1_48merge_mergepath_partition_config_static_selectorELNS0_4arch9wavefront6targetE0EEEvSF_,comdat
	.protected	_ZN7rocprim17ROCPRIM_400000_NS6detail17trampoline_kernelINS0_14default_configENS1_38merge_sort_block_merge_config_selectorIsNS0_10empty_typeEEEZZNS1_27merge_sort_block_merge_implIS3_PsPS5_jNS1_19radix_merge_compareILb0ELb0EsNS0_19identity_decomposerEEEEE10hipError_tT0_T1_T2_jT3_P12ihipStream_tbPNSt15iterator_traitsISE_E10value_typeEPNSK_ISF_E10value_typeEPSG_NS1_7vsmem_tEENKUlT_SE_SF_SG_E_clIS8_S8_S9_S9_EESD_ST_SE_SF_SG_EUlST_E_NS1_11comp_targetILNS1_3genE2ELNS1_11target_archE906ELNS1_3gpuE6ELNS1_3repE0EEENS1_48merge_mergepath_partition_config_static_selectorELNS0_4arch9wavefront6targetE0EEEvSF_ ; -- Begin function _ZN7rocprim17ROCPRIM_400000_NS6detail17trampoline_kernelINS0_14default_configENS1_38merge_sort_block_merge_config_selectorIsNS0_10empty_typeEEEZZNS1_27merge_sort_block_merge_implIS3_PsPS5_jNS1_19radix_merge_compareILb0ELb0EsNS0_19identity_decomposerEEEEE10hipError_tT0_T1_T2_jT3_P12ihipStream_tbPNSt15iterator_traitsISE_E10value_typeEPNSK_ISF_E10value_typeEPSG_NS1_7vsmem_tEENKUlT_SE_SF_SG_E_clIS8_S8_S9_S9_EESD_ST_SE_SF_SG_EUlST_E_NS1_11comp_targetILNS1_3genE2ELNS1_11target_archE906ELNS1_3gpuE6ELNS1_3repE0EEENS1_48merge_mergepath_partition_config_static_selectorELNS0_4arch9wavefront6targetE0EEEvSF_
	.globl	_ZN7rocprim17ROCPRIM_400000_NS6detail17trampoline_kernelINS0_14default_configENS1_38merge_sort_block_merge_config_selectorIsNS0_10empty_typeEEEZZNS1_27merge_sort_block_merge_implIS3_PsPS5_jNS1_19radix_merge_compareILb0ELb0EsNS0_19identity_decomposerEEEEE10hipError_tT0_T1_T2_jT3_P12ihipStream_tbPNSt15iterator_traitsISE_E10value_typeEPNSK_ISF_E10value_typeEPSG_NS1_7vsmem_tEENKUlT_SE_SF_SG_E_clIS8_S8_S9_S9_EESD_ST_SE_SF_SG_EUlST_E_NS1_11comp_targetILNS1_3genE2ELNS1_11target_archE906ELNS1_3gpuE6ELNS1_3repE0EEENS1_48merge_mergepath_partition_config_static_selectorELNS0_4arch9wavefront6targetE0EEEvSF_
	.p2align	8
	.type	_ZN7rocprim17ROCPRIM_400000_NS6detail17trampoline_kernelINS0_14default_configENS1_38merge_sort_block_merge_config_selectorIsNS0_10empty_typeEEEZZNS1_27merge_sort_block_merge_implIS3_PsPS5_jNS1_19radix_merge_compareILb0ELb0EsNS0_19identity_decomposerEEEEE10hipError_tT0_T1_T2_jT3_P12ihipStream_tbPNSt15iterator_traitsISE_E10value_typeEPNSK_ISF_E10value_typeEPSG_NS1_7vsmem_tEENKUlT_SE_SF_SG_E_clIS8_S8_S9_S9_EESD_ST_SE_SF_SG_EUlST_E_NS1_11comp_targetILNS1_3genE2ELNS1_11target_archE906ELNS1_3gpuE6ELNS1_3repE0EEENS1_48merge_mergepath_partition_config_static_selectorELNS0_4arch9wavefront6targetE0EEEvSF_,@function
_ZN7rocprim17ROCPRIM_400000_NS6detail17trampoline_kernelINS0_14default_configENS1_38merge_sort_block_merge_config_selectorIsNS0_10empty_typeEEEZZNS1_27merge_sort_block_merge_implIS3_PsPS5_jNS1_19radix_merge_compareILb0ELb0EsNS0_19identity_decomposerEEEEE10hipError_tT0_T1_T2_jT3_P12ihipStream_tbPNSt15iterator_traitsISE_E10value_typeEPNSK_ISF_E10value_typeEPSG_NS1_7vsmem_tEENKUlT_SE_SF_SG_E_clIS8_S8_S9_S9_EESD_ST_SE_SF_SG_EUlST_E_NS1_11comp_targetILNS1_3genE2ELNS1_11target_archE906ELNS1_3gpuE6ELNS1_3repE0EEENS1_48merge_mergepath_partition_config_static_selectorELNS0_4arch9wavefront6targetE0EEEvSF_: ; @_ZN7rocprim17ROCPRIM_400000_NS6detail17trampoline_kernelINS0_14default_configENS1_38merge_sort_block_merge_config_selectorIsNS0_10empty_typeEEEZZNS1_27merge_sort_block_merge_implIS3_PsPS5_jNS1_19radix_merge_compareILb0ELb0EsNS0_19identity_decomposerEEEEE10hipError_tT0_T1_T2_jT3_P12ihipStream_tbPNSt15iterator_traitsISE_E10value_typeEPNSK_ISF_E10value_typeEPSG_NS1_7vsmem_tEENKUlT_SE_SF_SG_E_clIS8_S8_S9_S9_EESD_ST_SE_SF_SG_EUlST_E_NS1_11comp_targetILNS1_3genE2ELNS1_11target_archE906ELNS1_3gpuE6ELNS1_3repE0EEENS1_48merge_mergepath_partition_config_static_selectorELNS0_4arch9wavefront6targetE0EEEvSF_
; %bb.0:
	.section	.rodata,"a",@progbits
	.p2align	6, 0x0
	.amdhsa_kernel _ZN7rocprim17ROCPRIM_400000_NS6detail17trampoline_kernelINS0_14default_configENS1_38merge_sort_block_merge_config_selectorIsNS0_10empty_typeEEEZZNS1_27merge_sort_block_merge_implIS3_PsPS5_jNS1_19radix_merge_compareILb0ELb0EsNS0_19identity_decomposerEEEEE10hipError_tT0_T1_T2_jT3_P12ihipStream_tbPNSt15iterator_traitsISE_E10value_typeEPNSK_ISF_E10value_typeEPSG_NS1_7vsmem_tEENKUlT_SE_SF_SG_E_clIS8_S8_S9_S9_EESD_ST_SE_SF_SG_EUlST_E_NS1_11comp_targetILNS1_3genE2ELNS1_11target_archE906ELNS1_3gpuE6ELNS1_3repE0EEENS1_48merge_mergepath_partition_config_static_selectorELNS0_4arch9wavefront6targetE0EEEvSF_
		.amdhsa_group_segment_fixed_size 0
		.amdhsa_private_segment_fixed_size 0
		.amdhsa_kernarg_size 40
		.amdhsa_user_sgpr_count 2
		.amdhsa_user_sgpr_dispatch_ptr 0
		.amdhsa_user_sgpr_queue_ptr 0
		.amdhsa_user_sgpr_kernarg_segment_ptr 1
		.amdhsa_user_sgpr_dispatch_id 0
		.amdhsa_user_sgpr_kernarg_preload_length 0
		.amdhsa_user_sgpr_kernarg_preload_offset 0
		.amdhsa_user_sgpr_private_segment_size 0
		.amdhsa_wavefront_size32 1
		.amdhsa_uses_dynamic_stack 0
		.amdhsa_enable_private_segment 0
		.amdhsa_system_sgpr_workgroup_id_x 1
		.amdhsa_system_sgpr_workgroup_id_y 0
		.amdhsa_system_sgpr_workgroup_id_z 0
		.amdhsa_system_sgpr_workgroup_info 0
		.amdhsa_system_vgpr_workitem_id 0
		.amdhsa_next_free_vgpr 1
		.amdhsa_next_free_sgpr 1
		.amdhsa_named_barrier_count 0
		.amdhsa_reserve_vcc 0
		.amdhsa_float_round_mode_32 0
		.amdhsa_float_round_mode_16_64 0
		.amdhsa_float_denorm_mode_32 3
		.amdhsa_float_denorm_mode_16_64 3
		.amdhsa_fp16_overflow 0
		.amdhsa_memory_ordered 1
		.amdhsa_forward_progress 1
		.amdhsa_inst_pref_size 0
		.amdhsa_round_robin_scheduling 0
		.amdhsa_exception_fp_ieee_invalid_op 0
		.amdhsa_exception_fp_denorm_src 0
		.amdhsa_exception_fp_ieee_div_zero 0
		.amdhsa_exception_fp_ieee_overflow 0
		.amdhsa_exception_fp_ieee_underflow 0
		.amdhsa_exception_fp_ieee_inexact 0
		.amdhsa_exception_int_div_zero 0
	.end_amdhsa_kernel
	.section	.text._ZN7rocprim17ROCPRIM_400000_NS6detail17trampoline_kernelINS0_14default_configENS1_38merge_sort_block_merge_config_selectorIsNS0_10empty_typeEEEZZNS1_27merge_sort_block_merge_implIS3_PsPS5_jNS1_19radix_merge_compareILb0ELb0EsNS0_19identity_decomposerEEEEE10hipError_tT0_T1_T2_jT3_P12ihipStream_tbPNSt15iterator_traitsISE_E10value_typeEPNSK_ISF_E10value_typeEPSG_NS1_7vsmem_tEENKUlT_SE_SF_SG_E_clIS8_S8_S9_S9_EESD_ST_SE_SF_SG_EUlST_E_NS1_11comp_targetILNS1_3genE2ELNS1_11target_archE906ELNS1_3gpuE6ELNS1_3repE0EEENS1_48merge_mergepath_partition_config_static_selectorELNS0_4arch9wavefront6targetE0EEEvSF_,"axG",@progbits,_ZN7rocprim17ROCPRIM_400000_NS6detail17trampoline_kernelINS0_14default_configENS1_38merge_sort_block_merge_config_selectorIsNS0_10empty_typeEEEZZNS1_27merge_sort_block_merge_implIS3_PsPS5_jNS1_19radix_merge_compareILb0ELb0EsNS0_19identity_decomposerEEEEE10hipError_tT0_T1_T2_jT3_P12ihipStream_tbPNSt15iterator_traitsISE_E10value_typeEPNSK_ISF_E10value_typeEPSG_NS1_7vsmem_tEENKUlT_SE_SF_SG_E_clIS8_S8_S9_S9_EESD_ST_SE_SF_SG_EUlST_E_NS1_11comp_targetILNS1_3genE2ELNS1_11target_archE906ELNS1_3gpuE6ELNS1_3repE0EEENS1_48merge_mergepath_partition_config_static_selectorELNS0_4arch9wavefront6targetE0EEEvSF_,comdat
.Lfunc_end652:
	.size	_ZN7rocprim17ROCPRIM_400000_NS6detail17trampoline_kernelINS0_14default_configENS1_38merge_sort_block_merge_config_selectorIsNS0_10empty_typeEEEZZNS1_27merge_sort_block_merge_implIS3_PsPS5_jNS1_19radix_merge_compareILb0ELb0EsNS0_19identity_decomposerEEEEE10hipError_tT0_T1_T2_jT3_P12ihipStream_tbPNSt15iterator_traitsISE_E10value_typeEPNSK_ISF_E10value_typeEPSG_NS1_7vsmem_tEENKUlT_SE_SF_SG_E_clIS8_S8_S9_S9_EESD_ST_SE_SF_SG_EUlST_E_NS1_11comp_targetILNS1_3genE2ELNS1_11target_archE906ELNS1_3gpuE6ELNS1_3repE0EEENS1_48merge_mergepath_partition_config_static_selectorELNS0_4arch9wavefront6targetE0EEEvSF_, .Lfunc_end652-_ZN7rocprim17ROCPRIM_400000_NS6detail17trampoline_kernelINS0_14default_configENS1_38merge_sort_block_merge_config_selectorIsNS0_10empty_typeEEEZZNS1_27merge_sort_block_merge_implIS3_PsPS5_jNS1_19radix_merge_compareILb0ELb0EsNS0_19identity_decomposerEEEEE10hipError_tT0_T1_T2_jT3_P12ihipStream_tbPNSt15iterator_traitsISE_E10value_typeEPNSK_ISF_E10value_typeEPSG_NS1_7vsmem_tEENKUlT_SE_SF_SG_E_clIS8_S8_S9_S9_EESD_ST_SE_SF_SG_EUlST_E_NS1_11comp_targetILNS1_3genE2ELNS1_11target_archE906ELNS1_3gpuE6ELNS1_3repE0EEENS1_48merge_mergepath_partition_config_static_selectorELNS0_4arch9wavefront6targetE0EEEvSF_
                                        ; -- End function
	.set _ZN7rocprim17ROCPRIM_400000_NS6detail17trampoline_kernelINS0_14default_configENS1_38merge_sort_block_merge_config_selectorIsNS0_10empty_typeEEEZZNS1_27merge_sort_block_merge_implIS3_PsPS5_jNS1_19radix_merge_compareILb0ELb0EsNS0_19identity_decomposerEEEEE10hipError_tT0_T1_T2_jT3_P12ihipStream_tbPNSt15iterator_traitsISE_E10value_typeEPNSK_ISF_E10value_typeEPSG_NS1_7vsmem_tEENKUlT_SE_SF_SG_E_clIS8_S8_S9_S9_EESD_ST_SE_SF_SG_EUlST_E_NS1_11comp_targetILNS1_3genE2ELNS1_11target_archE906ELNS1_3gpuE6ELNS1_3repE0EEENS1_48merge_mergepath_partition_config_static_selectorELNS0_4arch9wavefront6targetE0EEEvSF_.num_vgpr, 0
	.set _ZN7rocprim17ROCPRIM_400000_NS6detail17trampoline_kernelINS0_14default_configENS1_38merge_sort_block_merge_config_selectorIsNS0_10empty_typeEEEZZNS1_27merge_sort_block_merge_implIS3_PsPS5_jNS1_19radix_merge_compareILb0ELb0EsNS0_19identity_decomposerEEEEE10hipError_tT0_T1_T2_jT3_P12ihipStream_tbPNSt15iterator_traitsISE_E10value_typeEPNSK_ISF_E10value_typeEPSG_NS1_7vsmem_tEENKUlT_SE_SF_SG_E_clIS8_S8_S9_S9_EESD_ST_SE_SF_SG_EUlST_E_NS1_11comp_targetILNS1_3genE2ELNS1_11target_archE906ELNS1_3gpuE6ELNS1_3repE0EEENS1_48merge_mergepath_partition_config_static_selectorELNS0_4arch9wavefront6targetE0EEEvSF_.num_agpr, 0
	.set _ZN7rocprim17ROCPRIM_400000_NS6detail17trampoline_kernelINS0_14default_configENS1_38merge_sort_block_merge_config_selectorIsNS0_10empty_typeEEEZZNS1_27merge_sort_block_merge_implIS3_PsPS5_jNS1_19radix_merge_compareILb0ELb0EsNS0_19identity_decomposerEEEEE10hipError_tT0_T1_T2_jT3_P12ihipStream_tbPNSt15iterator_traitsISE_E10value_typeEPNSK_ISF_E10value_typeEPSG_NS1_7vsmem_tEENKUlT_SE_SF_SG_E_clIS8_S8_S9_S9_EESD_ST_SE_SF_SG_EUlST_E_NS1_11comp_targetILNS1_3genE2ELNS1_11target_archE906ELNS1_3gpuE6ELNS1_3repE0EEENS1_48merge_mergepath_partition_config_static_selectorELNS0_4arch9wavefront6targetE0EEEvSF_.numbered_sgpr, 0
	.set _ZN7rocprim17ROCPRIM_400000_NS6detail17trampoline_kernelINS0_14default_configENS1_38merge_sort_block_merge_config_selectorIsNS0_10empty_typeEEEZZNS1_27merge_sort_block_merge_implIS3_PsPS5_jNS1_19radix_merge_compareILb0ELb0EsNS0_19identity_decomposerEEEEE10hipError_tT0_T1_T2_jT3_P12ihipStream_tbPNSt15iterator_traitsISE_E10value_typeEPNSK_ISF_E10value_typeEPSG_NS1_7vsmem_tEENKUlT_SE_SF_SG_E_clIS8_S8_S9_S9_EESD_ST_SE_SF_SG_EUlST_E_NS1_11comp_targetILNS1_3genE2ELNS1_11target_archE906ELNS1_3gpuE6ELNS1_3repE0EEENS1_48merge_mergepath_partition_config_static_selectorELNS0_4arch9wavefront6targetE0EEEvSF_.num_named_barrier, 0
	.set _ZN7rocprim17ROCPRIM_400000_NS6detail17trampoline_kernelINS0_14default_configENS1_38merge_sort_block_merge_config_selectorIsNS0_10empty_typeEEEZZNS1_27merge_sort_block_merge_implIS3_PsPS5_jNS1_19radix_merge_compareILb0ELb0EsNS0_19identity_decomposerEEEEE10hipError_tT0_T1_T2_jT3_P12ihipStream_tbPNSt15iterator_traitsISE_E10value_typeEPNSK_ISF_E10value_typeEPSG_NS1_7vsmem_tEENKUlT_SE_SF_SG_E_clIS8_S8_S9_S9_EESD_ST_SE_SF_SG_EUlST_E_NS1_11comp_targetILNS1_3genE2ELNS1_11target_archE906ELNS1_3gpuE6ELNS1_3repE0EEENS1_48merge_mergepath_partition_config_static_selectorELNS0_4arch9wavefront6targetE0EEEvSF_.private_seg_size, 0
	.set _ZN7rocprim17ROCPRIM_400000_NS6detail17trampoline_kernelINS0_14default_configENS1_38merge_sort_block_merge_config_selectorIsNS0_10empty_typeEEEZZNS1_27merge_sort_block_merge_implIS3_PsPS5_jNS1_19radix_merge_compareILb0ELb0EsNS0_19identity_decomposerEEEEE10hipError_tT0_T1_T2_jT3_P12ihipStream_tbPNSt15iterator_traitsISE_E10value_typeEPNSK_ISF_E10value_typeEPSG_NS1_7vsmem_tEENKUlT_SE_SF_SG_E_clIS8_S8_S9_S9_EESD_ST_SE_SF_SG_EUlST_E_NS1_11comp_targetILNS1_3genE2ELNS1_11target_archE906ELNS1_3gpuE6ELNS1_3repE0EEENS1_48merge_mergepath_partition_config_static_selectorELNS0_4arch9wavefront6targetE0EEEvSF_.uses_vcc, 0
	.set _ZN7rocprim17ROCPRIM_400000_NS6detail17trampoline_kernelINS0_14default_configENS1_38merge_sort_block_merge_config_selectorIsNS0_10empty_typeEEEZZNS1_27merge_sort_block_merge_implIS3_PsPS5_jNS1_19radix_merge_compareILb0ELb0EsNS0_19identity_decomposerEEEEE10hipError_tT0_T1_T2_jT3_P12ihipStream_tbPNSt15iterator_traitsISE_E10value_typeEPNSK_ISF_E10value_typeEPSG_NS1_7vsmem_tEENKUlT_SE_SF_SG_E_clIS8_S8_S9_S9_EESD_ST_SE_SF_SG_EUlST_E_NS1_11comp_targetILNS1_3genE2ELNS1_11target_archE906ELNS1_3gpuE6ELNS1_3repE0EEENS1_48merge_mergepath_partition_config_static_selectorELNS0_4arch9wavefront6targetE0EEEvSF_.uses_flat_scratch, 0
	.set _ZN7rocprim17ROCPRIM_400000_NS6detail17trampoline_kernelINS0_14default_configENS1_38merge_sort_block_merge_config_selectorIsNS0_10empty_typeEEEZZNS1_27merge_sort_block_merge_implIS3_PsPS5_jNS1_19radix_merge_compareILb0ELb0EsNS0_19identity_decomposerEEEEE10hipError_tT0_T1_T2_jT3_P12ihipStream_tbPNSt15iterator_traitsISE_E10value_typeEPNSK_ISF_E10value_typeEPSG_NS1_7vsmem_tEENKUlT_SE_SF_SG_E_clIS8_S8_S9_S9_EESD_ST_SE_SF_SG_EUlST_E_NS1_11comp_targetILNS1_3genE2ELNS1_11target_archE906ELNS1_3gpuE6ELNS1_3repE0EEENS1_48merge_mergepath_partition_config_static_selectorELNS0_4arch9wavefront6targetE0EEEvSF_.has_dyn_sized_stack, 0
	.set _ZN7rocprim17ROCPRIM_400000_NS6detail17trampoline_kernelINS0_14default_configENS1_38merge_sort_block_merge_config_selectorIsNS0_10empty_typeEEEZZNS1_27merge_sort_block_merge_implIS3_PsPS5_jNS1_19radix_merge_compareILb0ELb0EsNS0_19identity_decomposerEEEEE10hipError_tT0_T1_T2_jT3_P12ihipStream_tbPNSt15iterator_traitsISE_E10value_typeEPNSK_ISF_E10value_typeEPSG_NS1_7vsmem_tEENKUlT_SE_SF_SG_E_clIS8_S8_S9_S9_EESD_ST_SE_SF_SG_EUlST_E_NS1_11comp_targetILNS1_3genE2ELNS1_11target_archE906ELNS1_3gpuE6ELNS1_3repE0EEENS1_48merge_mergepath_partition_config_static_selectorELNS0_4arch9wavefront6targetE0EEEvSF_.has_recursion, 0
	.set _ZN7rocprim17ROCPRIM_400000_NS6detail17trampoline_kernelINS0_14default_configENS1_38merge_sort_block_merge_config_selectorIsNS0_10empty_typeEEEZZNS1_27merge_sort_block_merge_implIS3_PsPS5_jNS1_19radix_merge_compareILb0ELb0EsNS0_19identity_decomposerEEEEE10hipError_tT0_T1_T2_jT3_P12ihipStream_tbPNSt15iterator_traitsISE_E10value_typeEPNSK_ISF_E10value_typeEPSG_NS1_7vsmem_tEENKUlT_SE_SF_SG_E_clIS8_S8_S9_S9_EESD_ST_SE_SF_SG_EUlST_E_NS1_11comp_targetILNS1_3genE2ELNS1_11target_archE906ELNS1_3gpuE6ELNS1_3repE0EEENS1_48merge_mergepath_partition_config_static_selectorELNS0_4arch9wavefront6targetE0EEEvSF_.has_indirect_call, 0
	.section	.AMDGPU.csdata,"",@progbits
; Kernel info:
; codeLenInByte = 0
; TotalNumSgprs: 0
; NumVgprs: 0
; ScratchSize: 0
; MemoryBound: 0
; FloatMode: 240
; IeeeMode: 1
; LDSByteSize: 0 bytes/workgroup (compile time only)
; SGPRBlocks: 0
; VGPRBlocks: 0
; NumSGPRsForWavesPerEU: 1
; NumVGPRsForWavesPerEU: 1
; NamedBarCnt: 0
; Occupancy: 16
; WaveLimiterHint : 0
; COMPUTE_PGM_RSRC2:SCRATCH_EN: 0
; COMPUTE_PGM_RSRC2:USER_SGPR: 2
; COMPUTE_PGM_RSRC2:TRAP_HANDLER: 0
; COMPUTE_PGM_RSRC2:TGID_X_EN: 1
; COMPUTE_PGM_RSRC2:TGID_Y_EN: 0
; COMPUTE_PGM_RSRC2:TGID_Z_EN: 0
; COMPUTE_PGM_RSRC2:TIDIG_COMP_CNT: 0
	.section	.text._ZN7rocprim17ROCPRIM_400000_NS6detail17trampoline_kernelINS0_14default_configENS1_38merge_sort_block_merge_config_selectorIsNS0_10empty_typeEEEZZNS1_27merge_sort_block_merge_implIS3_PsPS5_jNS1_19radix_merge_compareILb0ELb0EsNS0_19identity_decomposerEEEEE10hipError_tT0_T1_T2_jT3_P12ihipStream_tbPNSt15iterator_traitsISE_E10value_typeEPNSK_ISF_E10value_typeEPSG_NS1_7vsmem_tEENKUlT_SE_SF_SG_E_clIS8_S8_S9_S9_EESD_ST_SE_SF_SG_EUlST_E_NS1_11comp_targetILNS1_3genE9ELNS1_11target_archE1100ELNS1_3gpuE3ELNS1_3repE0EEENS1_48merge_mergepath_partition_config_static_selectorELNS0_4arch9wavefront6targetE0EEEvSF_,"axG",@progbits,_ZN7rocprim17ROCPRIM_400000_NS6detail17trampoline_kernelINS0_14default_configENS1_38merge_sort_block_merge_config_selectorIsNS0_10empty_typeEEEZZNS1_27merge_sort_block_merge_implIS3_PsPS5_jNS1_19radix_merge_compareILb0ELb0EsNS0_19identity_decomposerEEEEE10hipError_tT0_T1_T2_jT3_P12ihipStream_tbPNSt15iterator_traitsISE_E10value_typeEPNSK_ISF_E10value_typeEPSG_NS1_7vsmem_tEENKUlT_SE_SF_SG_E_clIS8_S8_S9_S9_EESD_ST_SE_SF_SG_EUlST_E_NS1_11comp_targetILNS1_3genE9ELNS1_11target_archE1100ELNS1_3gpuE3ELNS1_3repE0EEENS1_48merge_mergepath_partition_config_static_selectorELNS0_4arch9wavefront6targetE0EEEvSF_,comdat
	.protected	_ZN7rocprim17ROCPRIM_400000_NS6detail17trampoline_kernelINS0_14default_configENS1_38merge_sort_block_merge_config_selectorIsNS0_10empty_typeEEEZZNS1_27merge_sort_block_merge_implIS3_PsPS5_jNS1_19radix_merge_compareILb0ELb0EsNS0_19identity_decomposerEEEEE10hipError_tT0_T1_T2_jT3_P12ihipStream_tbPNSt15iterator_traitsISE_E10value_typeEPNSK_ISF_E10value_typeEPSG_NS1_7vsmem_tEENKUlT_SE_SF_SG_E_clIS8_S8_S9_S9_EESD_ST_SE_SF_SG_EUlST_E_NS1_11comp_targetILNS1_3genE9ELNS1_11target_archE1100ELNS1_3gpuE3ELNS1_3repE0EEENS1_48merge_mergepath_partition_config_static_selectorELNS0_4arch9wavefront6targetE0EEEvSF_ ; -- Begin function _ZN7rocprim17ROCPRIM_400000_NS6detail17trampoline_kernelINS0_14default_configENS1_38merge_sort_block_merge_config_selectorIsNS0_10empty_typeEEEZZNS1_27merge_sort_block_merge_implIS3_PsPS5_jNS1_19radix_merge_compareILb0ELb0EsNS0_19identity_decomposerEEEEE10hipError_tT0_T1_T2_jT3_P12ihipStream_tbPNSt15iterator_traitsISE_E10value_typeEPNSK_ISF_E10value_typeEPSG_NS1_7vsmem_tEENKUlT_SE_SF_SG_E_clIS8_S8_S9_S9_EESD_ST_SE_SF_SG_EUlST_E_NS1_11comp_targetILNS1_3genE9ELNS1_11target_archE1100ELNS1_3gpuE3ELNS1_3repE0EEENS1_48merge_mergepath_partition_config_static_selectorELNS0_4arch9wavefront6targetE0EEEvSF_
	.globl	_ZN7rocprim17ROCPRIM_400000_NS6detail17trampoline_kernelINS0_14default_configENS1_38merge_sort_block_merge_config_selectorIsNS0_10empty_typeEEEZZNS1_27merge_sort_block_merge_implIS3_PsPS5_jNS1_19radix_merge_compareILb0ELb0EsNS0_19identity_decomposerEEEEE10hipError_tT0_T1_T2_jT3_P12ihipStream_tbPNSt15iterator_traitsISE_E10value_typeEPNSK_ISF_E10value_typeEPSG_NS1_7vsmem_tEENKUlT_SE_SF_SG_E_clIS8_S8_S9_S9_EESD_ST_SE_SF_SG_EUlST_E_NS1_11comp_targetILNS1_3genE9ELNS1_11target_archE1100ELNS1_3gpuE3ELNS1_3repE0EEENS1_48merge_mergepath_partition_config_static_selectorELNS0_4arch9wavefront6targetE0EEEvSF_
	.p2align	8
	.type	_ZN7rocprim17ROCPRIM_400000_NS6detail17trampoline_kernelINS0_14default_configENS1_38merge_sort_block_merge_config_selectorIsNS0_10empty_typeEEEZZNS1_27merge_sort_block_merge_implIS3_PsPS5_jNS1_19radix_merge_compareILb0ELb0EsNS0_19identity_decomposerEEEEE10hipError_tT0_T1_T2_jT3_P12ihipStream_tbPNSt15iterator_traitsISE_E10value_typeEPNSK_ISF_E10value_typeEPSG_NS1_7vsmem_tEENKUlT_SE_SF_SG_E_clIS8_S8_S9_S9_EESD_ST_SE_SF_SG_EUlST_E_NS1_11comp_targetILNS1_3genE9ELNS1_11target_archE1100ELNS1_3gpuE3ELNS1_3repE0EEENS1_48merge_mergepath_partition_config_static_selectorELNS0_4arch9wavefront6targetE0EEEvSF_,@function
_ZN7rocprim17ROCPRIM_400000_NS6detail17trampoline_kernelINS0_14default_configENS1_38merge_sort_block_merge_config_selectorIsNS0_10empty_typeEEEZZNS1_27merge_sort_block_merge_implIS3_PsPS5_jNS1_19radix_merge_compareILb0ELb0EsNS0_19identity_decomposerEEEEE10hipError_tT0_T1_T2_jT3_P12ihipStream_tbPNSt15iterator_traitsISE_E10value_typeEPNSK_ISF_E10value_typeEPSG_NS1_7vsmem_tEENKUlT_SE_SF_SG_E_clIS8_S8_S9_S9_EESD_ST_SE_SF_SG_EUlST_E_NS1_11comp_targetILNS1_3genE9ELNS1_11target_archE1100ELNS1_3gpuE3ELNS1_3repE0EEENS1_48merge_mergepath_partition_config_static_selectorELNS0_4arch9wavefront6targetE0EEEvSF_: ; @_ZN7rocprim17ROCPRIM_400000_NS6detail17trampoline_kernelINS0_14default_configENS1_38merge_sort_block_merge_config_selectorIsNS0_10empty_typeEEEZZNS1_27merge_sort_block_merge_implIS3_PsPS5_jNS1_19radix_merge_compareILb0ELb0EsNS0_19identity_decomposerEEEEE10hipError_tT0_T1_T2_jT3_P12ihipStream_tbPNSt15iterator_traitsISE_E10value_typeEPNSK_ISF_E10value_typeEPSG_NS1_7vsmem_tEENKUlT_SE_SF_SG_E_clIS8_S8_S9_S9_EESD_ST_SE_SF_SG_EUlST_E_NS1_11comp_targetILNS1_3genE9ELNS1_11target_archE1100ELNS1_3gpuE3ELNS1_3repE0EEENS1_48merge_mergepath_partition_config_static_selectorELNS0_4arch9wavefront6targetE0EEEvSF_
; %bb.0:
	.section	.rodata,"a",@progbits
	.p2align	6, 0x0
	.amdhsa_kernel _ZN7rocprim17ROCPRIM_400000_NS6detail17trampoline_kernelINS0_14default_configENS1_38merge_sort_block_merge_config_selectorIsNS0_10empty_typeEEEZZNS1_27merge_sort_block_merge_implIS3_PsPS5_jNS1_19radix_merge_compareILb0ELb0EsNS0_19identity_decomposerEEEEE10hipError_tT0_T1_T2_jT3_P12ihipStream_tbPNSt15iterator_traitsISE_E10value_typeEPNSK_ISF_E10value_typeEPSG_NS1_7vsmem_tEENKUlT_SE_SF_SG_E_clIS8_S8_S9_S9_EESD_ST_SE_SF_SG_EUlST_E_NS1_11comp_targetILNS1_3genE9ELNS1_11target_archE1100ELNS1_3gpuE3ELNS1_3repE0EEENS1_48merge_mergepath_partition_config_static_selectorELNS0_4arch9wavefront6targetE0EEEvSF_
		.amdhsa_group_segment_fixed_size 0
		.amdhsa_private_segment_fixed_size 0
		.amdhsa_kernarg_size 40
		.amdhsa_user_sgpr_count 2
		.amdhsa_user_sgpr_dispatch_ptr 0
		.amdhsa_user_sgpr_queue_ptr 0
		.amdhsa_user_sgpr_kernarg_segment_ptr 1
		.amdhsa_user_sgpr_dispatch_id 0
		.amdhsa_user_sgpr_kernarg_preload_length 0
		.amdhsa_user_sgpr_kernarg_preload_offset 0
		.amdhsa_user_sgpr_private_segment_size 0
		.amdhsa_wavefront_size32 1
		.amdhsa_uses_dynamic_stack 0
		.amdhsa_enable_private_segment 0
		.amdhsa_system_sgpr_workgroup_id_x 1
		.amdhsa_system_sgpr_workgroup_id_y 0
		.amdhsa_system_sgpr_workgroup_id_z 0
		.amdhsa_system_sgpr_workgroup_info 0
		.amdhsa_system_vgpr_workitem_id 0
		.amdhsa_next_free_vgpr 1
		.amdhsa_next_free_sgpr 1
		.amdhsa_named_barrier_count 0
		.amdhsa_reserve_vcc 0
		.amdhsa_float_round_mode_32 0
		.amdhsa_float_round_mode_16_64 0
		.amdhsa_float_denorm_mode_32 3
		.amdhsa_float_denorm_mode_16_64 3
		.amdhsa_fp16_overflow 0
		.amdhsa_memory_ordered 1
		.amdhsa_forward_progress 1
		.amdhsa_inst_pref_size 0
		.amdhsa_round_robin_scheduling 0
		.amdhsa_exception_fp_ieee_invalid_op 0
		.amdhsa_exception_fp_denorm_src 0
		.amdhsa_exception_fp_ieee_div_zero 0
		.amdhsa_exception_fp_ieee_overflow 0
		.amdhsa_exception_fp_ieee_underflow 0
		.amdhsa_exception_fp_ieee_inexact 0
		.amdhsa_exception_int_div_zero 0
	.end_amdhsa_kernel
	.section	.text._ZN7rocprim17ROCPRIM_400000_NS6detail17trampoline_kernelINS0_14default_configENS1_38merge_sort_block_merge_config_selectorIsNS0_10empty_typeEEEZZNS1_27merge_sort_block_merge_implIS3_PsPS5_jNS1_19radix_merge_compareILb0ELb0EsNS0_19identity_decomposerEEEEE10hipError_tT0_T1_T2_jT3_P12ihipStream_tbPNSt15iterator_traitsISE_E10value_typeEPNSK_ISF_E10value_typeEPSG_NS1_7vsmem_tEENKUlT_SE_SF_SG_E_clIS8_S8_S9_S9_EESD_ST_SE_SF_SG_EUlST_E_NS1_11comp_targetILNS1_3genE9ELNS1_11target_archE1100ELNS1_3gpuE3ELNS1_3repE0EEENS1_48merge_mergepath_partition_config_static_selectorELNS0_4arch9wavefront6targetE0EEEvSF_,"axG",@progbits,_ZN7rocprim17ROCPRIM_400000_NS6detail17trampoline_kernelINS0_14default_configENS1_38merge_sort_block_merge_config_selectorIsNS0_10empty_typeEEEZZNS1_27merge_sort_block_merge_implIS3_PsPS5_jNS1_19radix_merge_compareILb0ELb0EsNS0_19identity_decomposerEEEEE10hipError_tT0_T1_T2_jT3_P12ihipStream_tbPNSt15iterator_traitsISE_E10value_typeEPNSK_ISF_E10value_typeEPSG_NS1_7vsmem_tEENKUlT_SE_SF_SG_E_clIS8_S8_S9_S9_EESD_ST_SE_SF_SG_EUlST_E_NS1_11comp_targetILNS1_3genE9ELNS1_11target_archE1100ELNS1_3gpuE3ELNS1_3repE0EEENS1_48merge_mergepath_partition_config_static_selectorELNS0_4arch9wavefront6targetE0EEEvSF_,comdat
.Lfunc_end653:
	.size	_ZN7rocprim17ROCPRIM_400000_NS6detail17trampoline_kernelINS0_14default_configENS1_38merge_sort_block_merge_config_selectorIsNS0_10empty_typeEEEZZNS1_27merge_sort_block_merge_implIS3_PsPS5_jNS1_19radix_merge_compareILb0ELb0EsNS0_19identity_decomposerEEEEE10hipError_tT0_T1_T2_jT3_P12ihipStream_tbPNSt15iterator_traitsISE_E10value_typeEPNSK_ISF_E10value_typeEPSG_NS1_7vsmem_tEENKUlT_SE_SF_SG_E_clIS8_S8_S9_S9_EESD_ST_SE_SF_SG_EUlST_E_NS1_11comp_targetILNS1_3genE9ELNS1_11target_archE1100ELNS1_3gpuE3ELNS1_3repE0EEENS1_48merge_mergepath_partition_config_static_selectorELNS0_4arch9wavefront6targetE0EEEvSF_, .Lfunc_end653-_ZN7rocprim17ROCPRIM_400000_NS6detail17trampoline_kernelINS0_14default_configENS1_38merge_sort_block_merge_config_selectorIsNS0_10empty_typeEEEZZNS1_27merge_sort_block_merge_implIS3_PsPS5_jNS1_19radix_merge_compareILb0ELb0EsNS0_19identity_decomposerEEEEE10hipError_tT0_T1_T2_jT3_P12ihipStream_tbPNSt15iterator_traitsISE_E10value_typeEPNSK_ISF_E10value_typeEPSG_NS1_7vsmem_tEENKUlT_SE_SF_SG_E_clIS8_S8_S9_S9_EESD_ST_SE_SF_SG_EUlST_E_NS1_11comp_targetILNS1_3genE9ELNS1_11target_archE1100ELNS1_3gpuE3ELNS1_3repE0EEENS1_48merge_mergepath_partition_config_static_selectorELNS0_4arch9wavefront6targetE0EEEvSF_
                                        ; -- End function
	.set _ZN7rocprim17ROCPRIM_400000_NS6detail17trampoline_kernelINS0_14default_configENS1_38merge_sort_block_merge_config_selectorIsNS0_10empty_typeEEEZZNS1_27merge_sort_block_merge_implIS3_PsPS5_jNS1_19radix_merge_compareILb0ELb0EsNS0_19identity_decomposerEEEEE10hipError_tT0_T1_T2_jT3_P12ihipStream_tbPNSt15iterator_traitsISE_E10value_typeEPNSK_ISF_E10value_typeEPSG_NS1_7vsmem_tEENKUlT_SE_SF_SG_E_clIS8_S8_S9_S9_EESD_ST_SE_SF_SG_EUlST_E_NS1_11comp_targetILNS1_3genE9ELNS1_11target_archE1100ELNS1_3gpuE3ELNS1_3repE0EEENS1_48merge_mergepath_partition_config_static_selectorELNS0_4arch9wavefront6targetE0EEEvSF_.num_vgpr, 0
	.set _ZN7rocprim17ROCPRIM_400000_NS6detail17trampoline_kernelINS0_14default_configENS1_38merge_sort_block_merge_config_selectorIsNS0_10empty_typeEEEZZNS1_27merge_sort_block_merge_implIS3_PsPS5_jNS1_19radix_merge_compareILb0ELb0EsNS0_19identity_decomposerEEEEE10hipError_tT0_T1_T2_jT3_P12ihipStream_tbPNSt15iterator_traitsISE_E10value_typeEPNSK_ISF_E10value_typeEPSG_NS1_7vsmem_tEENKUlT_SE_SF_SG_E_clIS8_S8_S9_S9_EESD_ST_SE_SF_SG_EUlST_E_NS1_11comp_targetILNS1_3genE9ELNS1_11target_archE1100ELNS1_3gpuE3ELNS1_3repE0EEENS1_48merge_mergepath_partition_config_static_selectorELNS0_4arch9wavefront6targetE0EEEvSF_.num_agpr, 0
	.set _ZN7rocprim17ROCPRIM_400000_NS6detail17trampoline_kernelINS0_14default_configENS1_38merge_sort_block_merge_config_selectorIsNS0_10empty_typeEEEZZNS1_27merge_sort_block_merge_implIS3_PsPS5_jNS1_19radix_merge_compareILb0ELb0EsNS0_19identity_decomposerEEEEE10hipError_tT0_T1_T2_jT3_P12ihipStream_tbPNSt15iterator_traitsISE_E10value_typeEPNSK_ISF_E10value_typeEPSG_NS1_7vsmem_tEENKUlT_SE_SF_SG_E_clIS8_S8_S9_S9_EESD_ST_SE_SF_SG_EUlST_E_NS1_11comp_targetILNS1_3genE9ELNS1_11target_archE1100ELNS1_3gpuE3ELNS1_3repE0EEENS1_48merge_mergepath_partition_config_static_selectorELNS0_4arch9wavefront6targetE0EEEvSF_.numbered_sgpr, 0
	.set _ZN7rocprim17ROCPRIM_400000_NS6detail17trampoline_kernelINS0_14default_configENS1_38merge_sort_block_merge_config_selectorIsNS0_10empty_typeEEEZZNS1_27merge_sort_block_merge_implIS3_PsPS5_jNS1_19radix_merge_compareILb0ELb0EsNS0_19identity_decomposerEEEEE10hipError_tT0_T1_T2_jT3_P12ihipStream_tbPNSt15iterator_traitsISE_E10value_typeEPNSK_ISF_E10value_typeEPSG_NS1_7vsmem_tEENKUlT_SE_SF_SG_E_clIS8_S8_S9_S9_EESD_ST_SE_SF_SG_EUlST_E_NS1_11comp_targetILNS1_3genE9ELNS1_11target_archE1100ELNS1_3gpuE3ELNS1_3repE0EEENS1_48merge_mergepath_partition_config_static_selectorELNS0_4arch9wavefront6targetE0EEEvSF_.num_named_barrier, 0
	.set _ZN7rocprim17ROCPRIM_400000_NS6detail17trampoline_kernelINS0_14default_configENS1_38merge_sort_block_merge_config_selectorIsNS0_10empty_typeEEEZZNS1_27merge_sort_block_merge_implIS3_PsPS5_jNS1_19radix_merge_compareILb0ELb0EsNS0_19identity_decomposerEEEEE10hipError_tT0_T1_T2_jT3_P12ihipStream_tbPNSt15iterator_traitsISE_E10value_typeEPNSK_ISF_E10value_typeEPSG_NS1_7vsmem_tEENKUlT_SE_SF_SG_E_clIS8_S8_S9_S9_EESD_ST_SE_SF_SG_EUlST_E_NS1_11comp_targetILNS1_3genE9ELNS1_11target_archE1100ELNS1_3gpuE3ELNS1_3repE0EEENS1_48merge_mergepath_partition_config_static_selectorELNS0_4arch9wavefront6targetE0EEEvSF_.private_seg_size, 0
	.set _ZN7rocprim17ROCPRIM_400000_NS6detail17trampoline_kernelINS0_14default_configENS1_38merge_sort_block_merge_config_selectorIsNS0_10empty_typeEEEZZNS1_27merge_sort_block_merge_implIS3_PsPS5_jNS1_19radix_merge_compareILb0ELb0EsNS0_19identity_decomposerEEEEE10hipError_tT0_T1_T2_jT3_P12ihipStream_tbPNSt15iterator_traitsISE_E10value_typeEPNSK_ISF_E10value_typeEPSG_NS1_7vsmem_tEENKUlT_SE_SF_SG_E_clIS8_S8_S9_S9_EESD_ST_SE_SF_SG_EUlST_E_NS1_11comp_targetILNS1_3genE9ELNS1_11target_archE1100ELNS1_3gpuE3ELNS1_3repE0EEENS1_48merge_mergepath_partition_config_static_selectorELNS0_4arch9wavefront6targetE0EEEvSF_.uses_vcc, 0
	.set _ZN7rocprim17ROCPRIM_400000_NS6detail17trampoline_kernelINS0_14default_configENS1_38merge_sort_block_merge_config_selectorIsNS0_10empty_typeEEEZZNS1_27merge_sort_block_merge_implIS3_PsPS5_jNS1_19radix_merge_compareILb0ELb0EsNS0_19identity_decomposerEEEEE10hipError_tT0_T1_T2_jT3_P12ihipStream_tbPNSt15iterator_traitsISE_E10value_typeEPNSK_ISF_E10value_typeEPSG_NS1_7vsmem_tEENKUlT_SE_SF_SG_E_clIS8_S8_S9_S9_EESD_ST_SE_SF_SG_EUlST_E_NS1_11comp_targetILNS1_3genE9ELNS1_11target_archE1100ELNS1_3gpuE3ELNS1_3repE0EEENS1_48merge_mergepath_partition_config_static_selectorELNS0_4arch9wavefront6targetE0EEEvSF_.uses_flat_scratch, 0
	.set _ZN7rocprim17ROCPRIM_400000_NS6detail17trampoline_kernelINS0_14default_configENS1_38merge_sort_block_merge_config_selectorIsNS0_10empty_typeEEEZZNS1_27merge_sort_block_merge_implIS3_PsPS5_jNS1_19radix_merge_compareILb0ELb0EsNS0_19identity_decomposerEEEEE10hipError_tT0_T1_T2_jT3_P12ihipStream_tbPNSt15iterator_traitsISE_E10value_typeEPNSK_ISF_E10value_typeEPSG_NS1_7vsmem_tEENKUlT_SE_SF_SG_E_clIS8_S8_S9_S9_EESD_ST_SE_SF_SG_EUlST_E_NS1_11comp_targetILNS1_3genE9ELNS1_11target_archE1100ELNS1_3gpuE3ELNS1_3repE0EEENS1_48merge_mergepath_partition_config_static_selectorELNS0_4arch9wavefront6targetE0EEEvSF_.has_dyn_sized_stack, 0
	.set _ZN7rocprim17ROCPRIM_400000_NS6detail17trampoline_kernelINS0_14default_configENS1_38merge_sort_block_merge_config_selectorIsNS0_10empty_typeEEEZZNS1_27merge_sort_block_merge_implIS3_PsPS5_jNS1_19radix_merge_compareILb0ELb0EsNS0_19identity_decomposerEEEEE10hipError_tT0_T1_T2_jT3_P12ihipStream_tbPNSt15iterator_traitsISE_E10value_typeEPNSK_ISF_E10value_typeEPSG_NS1_7vsmem_tEENKUlT_SE_SF_SG_E_clIS8_S8_S9_S9_EESD_ST_SE_SF_SG_EUlST_E_NS1_11comp_targetILNS1_3genE9ELNS1_11target_archE1100ELNS1_3gpuE3ELNS1_3repE0EEENS1_48merge_mergepath_partition_config_static_selectorELNS0_4arch9wavefront6targetE0EEEvSF_.has_recursion, 0
	.set _ZN7rocprim17ROCPRIM_400000_NS6detail17trampoline_kernelINS0_14default_configENS1_38merge_sort_block_merge_config_selectorIsNS0_10empty_typeEEEZZNS1_27merge_sort_block_merge_implIS3_PsPS5_jNS1_19radix_merge_compareILb0ELb0EsNS0_19identity_decomposerEEEEE10hipError_tT0_T1_T2_jT3_P12ihipStream_tbPNSt15iterator_traitsISE_E10value_typeEPNSK_ISF_E10value_typeEPSG_NS1_7vsmem_tEENKUlT_SE_SF_SG_E_clIS8_S8_S9_S9_EESD_ST_SE_SF_SG_EUlST_E_NS1_11comp_targetILNS1_3genE9ELNS1_11target_archE1100ELNS1_3gpuE3ELNS1_3repE0EEENS1_48merge_mergepath_partition_config_static_selectorELNS0_4arch9wavefront6targetE0EEEvSF_.has_indirect_call, 0
	.section	.AMDGPU.csdata,"",@progbits
; Kernel info:
; codeLenInByte = 0
; TotalNumSgprs: 0
; NumVgprs: 0
; ScratchSize: 0
; MemoryBound: 0
; FloatMode: 240
; IeeeMode: 1
; LDSByteSize: 0 bytes/workgroup (compile time only)
; SGPRBlocks: 0
; VGPRBlocks: 0
; NumSGPRsForWavesPerEU: 1
; NumVGPRsForWavesPerEU: 1
; NamedBarCnt: 0
; Occupancy: 16
; WaveLimiterHint : 0
; COMPUTE_PGM_RSRC2:SCRATCH_EN: 0
; COMPUTE_PGM_RSRC2:USER_SGPR: 2
; COMPUTE_PGM_RSRC2:TRAP_HANDLER: 0
; COMPUTE_PGM_RSRC2:TGID_X_EN: 1
; COMPUTE_PGM_RSRC2:TGID_Y_EN: 0
; COMPUTE_PGM_RSRC2:TGID_Z_EN: 0
; COMPUTE_PGM_RSRC2:TIDIG_COMP_CNT: 0
	.section	.text._ZN7rocprim17ROCPRIM_400000_NS6detail17trampoline_kernelINS0_14default_configENS1_38merge_sort_block_merge_config_selectorIsNS0_10empty_typeEEEZZNS1_27merge_sort_block_merge_implIS3_PsPS5_jNS1_19radix_merge_compareILb0ELb0EsNS0_19identity_decomposerEEEEE10hipError_tT0_T1_T2_jT3_P12ihipStream_tbPNSt15iterator_traitsISE_E10value_typeEPNSK_ISF_E10value_typeEPSG_NS1_7vsmem_tEENKUlT_SE_SF_SG_E_clIS8_S8_S9_S9_EESD_ST_SE_SF_SG_EUlST_E_NS1_11comp_targetILNS1_3genE8ELNS1_11target_archE1030ELNS1_3gpuE2ELNS1_3repE0EEENS1_48merge_mergepath_partition_config_static_selectorELNS0_4arch9wavefront6targetE0EEEvSF_,"axG",@progbits,_ZN7rocprim17ROCPRIM_400000_NS6detail17trampoline_kernelINS0_14default_configENS1_38merge_sort_block_merge_config_selectorIsNS0_10empty_typeEEEZZNS1_27merge_sort_block_merge_implIS3_PsPS5_jNS1_19radix_merge_compareILb0ELb0EsNS0_19identity_decomposerEEEEE10hipError_tT0_T1_T2_jT3_P12ihipStream_tbPNSt15iterator_traitsISE_E10value_typeEPNSK_ISF_E10value_typeEPSG_NS1_7vsmem_tEENKUlT_SE_SF_SG_E_clIS8_S8_S9_S9_EESD_ST_SE_SF_SG_EUlST_E_NS1_11comp_targetILNS1_3genE8ELNS1_11target_archE1030ELNS1_3gpuE2ELNS1_3repE0EEENS1_48merge_mergepath_partition_config_static_selectorELNS0_4arch9wavefront6targetE0EEEvSF_,comdat
	.protected	_ZN7rocprim17ROCPRIM_400000_NS6detail17trampoline_kernelINS0_14default_configENS1_38merge_sort_block_merge_config_selectorIsNS0_10empty_typeEEEZZNS1_27merge_sort_block_merge_implIS3_PsPS5_jNS1_19radix_merge_compareILb0ELb0EsNS0_19identity_decomposerEEEEE10hipError_tT0_T1_T2_jT3_P12ihipStream_tbPNSt15iterator_traitsISE_E10value_typeEPNSK_ISF_E10value_typeEPSG_NS1_7vsmem_tEENKUlT_SE_SF_SG_E_clIS8_S8_S9_S9_EESD_ST_SE_SF_SG_EUlST_E_NS1_11comp_targetILNS1_3genE8ELNS1_11target_archE1030ELNS1_3gpuE2ELNS1_3repE0EEENS1_48merge_mergepath_partition_config_static_selectorELNS0_4arch9wavefront6targetE0EEEvSF_ ; -- Begin function _ZN7rocprim17ROCPRIM_400000_NS6detail17trampoline_kernelINS0_14default_configENS1_38merge_sort_block_merge_config_selectorIsNS0_10empty_typeEEEZZNS1_27merge_sort_block_merge_implIS3_PsPS5_jNS1_19radix_merge_compareILb0ELb0EsNS0_19identity_decomposerEEEEE10hipError_tT0_T1_T2_jT3_P12ihipStream_tbPNSt15iterator_traitsISE_E10value_typeEPNSK_ISF_E10value_typeEPSG_NS1_7vsmem_tEENKUlT_SE_SF_SG_E_clIS8_S8_S9_S9_EESD_ST_SE_SF_SG_EUlST_E_NS1_11comp_targetILNS1_3genE8ELNS1_11target_archE1030ELNS1_3gpuE2ELNS1_3repE0EEENS1_48merge_mergepath_partition_config_static_selectorELNS0_4arch9wavefront6targetE0EEEvSF_
	.globl	_ZN7rocprim17ROCPRIM_400000_NS6detail17trampoline_kernelINS0_14default_configENS1_38merge_sort_block_merge_config_selectorIsNS0_10empty_typeEEEZZNS1_27merge_sort_block_merge_implIS3_PsPS5_jNS1_19radix_merge_compareILb0ELb0EsNS0_19identity_decomposerEEEEE10hipError_tT0_T1_T2_jT3_P12ihipStream_tbPNSt15iterator_traitsISE_E10value_typeEPNSK_ISF_E10value_typeEPSG_NS1_7vsmem_tEENKUlT_SE_SF_SG_E_clIS8_S8_S9_S9_EESD_ST_SE_SF_SG_EUlST_E_NS1_11comp_targetILNS1_3genE8ELNS1_11target_archE1030ELNS1_3gpuE2ELNS1_3repE0EEENS1_48merge_mergepath_partition_config_static_selectorELNS0_4arch9wavefront6targetE0EEEvSF_
	.p2align	8
	.type	_ZN7rocprim17ROCPRIM_400000_NS6detail17trampoline_kernelINS0_14default_configENS1_38merge_sort_block_merge_config_selectorIsNS0_10empty_typeEEEZZNS1_27merge_sort_block_merge_implIS3_PsPS5_jNS1_19radix_merge_compareILb0ELb0EsNS0_19identity_decomposerEEEEE10hipError_tT0_T1_T2_jT3_P12ihipStream_tbPNSt15iterator_traitsISE_E10value_typeEPNSK_ISF_E10value_typeEPSG_NS1_7vsmem_tEENKUlT_SE_SF_SG_E_clIS8_S8_S9_S9_EESD_ST_SE_SF_SG_EUlST_E_NS1_11comp_targetILNS1_3genE8ELNS1_11target_archE1030ELNS1_3gpuE2ELNS1_3repE0EEENS1_48merge_mergepath_partition_config_static_selectorELNS0_4arch9wavefront6targetE0EEEvSF_,@function
_ZN7rocprim17ROCPRIM_400000_NS6detail17trampoline_kernelINS0_14default_configENS1_38merge_sort_block_merge_config_selectorIsNS0_10empty_typeEEEZZNS1_27merge_sort_block_merge_implIS3_PsPS5_jNS1_19radix_merge_compareILb0ELb0EsNS0_19identity_decomposerEEEEE10hipError_tT0_T1_T2_jT3_P12ihipStream_tbPNSt15iterator_traitsISE_E10value_typeEPNSK_ISF_E10value_typeEPSG_NS1_7vsmem_tEENKUlT_SE_SF_SG_E_clIS8_S8_S9_S9_EESD_ST_SE_SF_SG_EUlST_E_NS1_11comp_targetILNS1_3genE8ELNS1_11target_archE1030ELNS1_3gpuE2ELNS1_3repE0EEENS1_48merge_mergepath_partition_config_static_selectorELNS0_4arch9wavefront6targetE0EEEvSF_: ; @_ZN7rocprim17ROCPRIM_400000_NS6detail17trampoline_kernelINS0_14default_configENS1_38merge_sort_block_merge_config_selectorIsNS0_10empty_typeEEEZZNS1_27merge_sort_block_merge_implIS3_PsPS5_jNS1_19radix_merge_compareILb0ELb0EsNS0_19identity_decomposerEEEEE10hipError_tT0_T1_T2_jT3_P12ihipStream_tbPNSt15iterator_traitsISE_E10value_typeEPNSK_ISF_E10value_typeEPSG_NS1_7vsmem_tEENKUlT_SE_SF_SG_E_clIS8_S8_S9_S9_EESD_ST_SE_SF_SG_EUlST_E_NS1_11comp_targetILNS1_3genE8ELNS1_11target_archE1030ELNS1_3gpuE2ELNS1_3repE0EEENS1_48merge_mergepath_partition_config_static_selectorELNS0_4arch9wavefront6targetE0EEEvSF_
; %bb.0:
	.section	.rodata,"a",@progbits
	.p2align	6, 0x0
	.amdhsa_kernel _ZN7rocprim17ROCPRIM_400000_NS6detail17trampoline_kernelINS0_14default_configENS1_38merge_sort_block_merge_config_selectorIsNS0_10empty_typeEEEZZNS1_27merge_sort_block_merge_implIS3_PsPS5_jNS1_19radix_merge_compareILb0ELb0EsNS0_19identity_decomposerEEEEE10hipError_tT0_T1_T2_jT3_P12ihipStream_tbPNSt15iterator_traitsISE_E10value_typeEPNSK_ISF_E10value_typeEPSG_NS1_7vsmem_tEENKUlT_SE_SF_SG_E_clIS8_S8_S9_S9_EESD_ST_SE_SF_SG_EUlST_E_NS1_11comp_targetILNS1_3genE8ELNS1_11target_archE1030ELNS1_3gpuE2ELNS1_3repE0EEENS1_48merge_mergepath_partition_config_static_selectorELNS0_4arch9wavefront6targetE0EEEvSF_
		.amdhsa_group_segment_fixed_size 0
		.amdhsa_private_segment_fixed_size 0
		.amdhsa_kernarg_size 40
		.amdhsa_user_sgpr_count 2
		.amdhsa_user_sgpr_dispatch_ptr 0
		.amdhsa_user_sgpr_queue_ptr 0
		.amdhsa_user_sgpr_kernarg_segment_ptr 1
		.amdhsa_user_sgpr_dispatch_id 0
		.amdhsa_user_sgpr_kernarg_preload_length 0
		.amdhsa_user_sgpr_kernarg_preload_offset 0
		.amdhsa_user_sgpr_private_segment_size 0
		.amdhsa_wavefront_size32 1
		.amdhsa_uses_dynamic_stack 0
		.amdhsa_enable_private_segment 0
		.amdhsa_system_sgpr_workgroup_id_x 1
		.amdhsa_system_sgpr_workgroup_id_y 0
		.amdhsa_system_sgpr_workgroup_id_z 0
		.amdhsa_system_sgpr_workgroup_info 0
		.amdhsa_system_vgpr_workitem_id 0
		.amdhsa_next_free_vgpr 1
		.amdhsa_next_free_sgpr 1
		.amdhsa_named_barrier_count 0
		.amdhsa_reserve_vcc 0
		.amdhsa_float_round_mode_32 0
		.amdhsa_float_round_mode_16_64 0
		.amdhsa_float_denorm_mode_32 3
		.amdhsa_float_denorm_mode_16_64 3
		.amdhsa_fp16_overflow 0
		.amdhsa_memory_ordered 1
		.amdhsa_forward_progress 1
		.amdhsa_inst_pref_size 0
		.amdhsa_round_robin_scheduling 0
		.amdhsa_exception_fp_ieee_invalid_op 0
		.amdhsa_exception_fp_denorm_src 0
		.amdhsa_exception_fp_ieee_div_zero 0
		.amdhsa_exception_fp_ieee_overflow 0
		.amdhsa_exception_fp_ieee_underflow 0
		.amdhsa_exception_fp_ieee_inexact 0
		.amdhsa_exception_int_div_zero 0
	.end_amdhsa_kernel
	.section	.text._ZN7rocprim17ROCPRIM_400000_NS6detail17trampoline_kernelINS0_14default_configENS1_38merge_sort_block_merge_config_selectorIsNS0_10empty_typeEEEZZNS1_27merge_sort_block_merge_implIS3_PsPS5_jNS1_19radix_merge_compareILb0ELb0EsNS0_19identity_decomposerEEEEE10hipError_tT0_T1_T2_jT3_P12ihipStream_tbPNSt15iterator_traitsISE_E10value_typeEPNSK_ISF_E10value_typeEPSG_NS1_7vsmem_tEENKUlT_SE_SF_SG_E_clIS8_S8_S9_S9_EESD_ST_SE_SF_SG_EUlST_E_NS1_11comp_targetILNS1_3genE8ELNS1_11target_archE1030ELNS1_3gpuE2ELNS1_3repE0EEENS1_48merge_mergepath_partition_config_static_selectorELNS0_4arch9wavefront6targetE0EEEvSF_,"axG",@progbits,_ZN7rocprim17ROCPRIM_400000_NS6detail17trampoline_kernelINS0_14default_configENS1_38merge_sort_block_merge_config_selectorIsNS0_10empty_typeEEEZZNS1_27merge_sort_block_merge_implIS3_PsPS5_jNS1_19radix_merge_compareILb0ELb0EsNS0_19identity_decomposerEEEEE10hipError_tT0_T1_T2_jT3_P12ihipStream_tbPNSt15iterator_traitsISE_E10value_typeEPNSK_ISF_E10value_typeEPSG_NS1_7vsmem_tEENKUlT_SE_SF_SG_E_clIS8_S8_S9_S9_EESD_ST_SE_SF_SG_EUlST_E_NS1_11comp_targetILNS1_3genE8ELNS1_11target_archE1030ELNS1_3gpuE2ELNS1_3repE0EEENS1_48merge_mergepath_partition_config_static_selectorELNS0_4arch9wavefront6targetE0EEEvSF_,comdat
.Lfunc_end654:
	.size	_ZN7rocprim17ROCPRIM_400000_NS6detail17trampoline_kernelINS0_14default_configENS1_38merge_sort_block_merge_config_selectorIsNS0_10empty_typeEEEZZNS1_27merge_sort_block_merge_implIS3_PsPS5_jNS1_19radix_merge_compareILb0ELb0EsNS0_19identity_decomposerEEEEE10hipError_tT0_T1_T2_jT3_P12ihipStream_tbPNSt15iterator_traitsISE_E10value_typeEPNSK_ISF_E10value_typeEPSG_NS1_7vsmem_tEENKUlT_SE_SF_SG_E_clIS8_S8_S9_S9_EESD_ST_SE_SF_SG_EUlST_E_NS1_11comp_targetILNS1_3genE8ELNS1_11target_archE1030ELNS1_3gpuE2ELNS1_3repE0EEENS1_48merge_mergepath_partition_config_static_selectorELNS0_4arch9wavefront6targetE0EEEvSF_, .Lfunc_end654-_ZN7rocprim17ROCPRIM_400000_NS6detail17trampoline_kernelINS0_14default_configENS1_38merge_sort_block_merge_config_selectorIsNS0_10empty_typeEEEZZNS1_27merge_sort_block_merge_implIS3_PsPS5_jNS1_19radix_merge_compareILb0ELb0EsNS0_19identity_decomposerEEEEE10hipError_tT0_T1_T2_jT3_P12ihipStream_tbPNSt15iterator_traitsISE_E10value_typeEPNSK_ISF_E10value_typeEPSG_NS1_7vsmem_tEENKUlT_SE_SF_SG_E_clIS8_S8_S9_S9_EESD_ST_SE_SF_SG_EUlST_E_NS1_11comp_targetILNS1_3genE8ELNS1_11target_archE1030ELNS1_3gpuE2ELNS1_3repE0EEENS1_48merge_mergepath_partition_config_static_selectorELNS0_4arch9wavefront6targetE0EEEvSF_
                                        ; -- End function
	.set _ZN7rocprim17ROCPRIM_400000_NS6detail17trampoline_kernelINS0_14default_configENS1_38merge_sort_block_merge_config_selectorIsNS0_10empty_typeEEEZZNS1_27merge_sort_block_merge_implIS3_PsPS5_jNS1_19radix_merge_compareILb0ELb0EsNS0_19identity_decomposerEEEEE10hipError_tT0_T1_T2_jT3_P12ihipStream_tbPNSt15iterator_traitsISE_E10value_typeEPNSK_ISF_E10value_typeEPSG_NS1_7vsmem_tEENKUlT_SE_SF_SG_E_clIS8_S8_S9_S9_EESD_ST_SE_SF_SG_EUlST_E_NS1_11comp_targetILNS1_3genE8ELNS1_11target_archE1030ELNS1_3gpuE2ELNS1_3repE0EEENS1_48merge_mergepath_partition_config_static_selectorELNS0_4arch9wavefront6targetE0EEEvSF_.num_vgpr, 0
	.set _ZN7rocprim17ROCPRIM_400000_NS6detail17trampoline_kernelINS0_14default_configENS1_38merge_sort_block_merge_config_selectorIsNS0_10empty_typeEEEZZNS1_27merge_sort_block_merge_implIS3_PsPS5_jNS1_19radix_merge_compareILb0ELb0EsNS0_19identity_decomposerEEEEE10hipError_tT0_T1_T2_jT3_P12ihipStream_tbPNSt15iterator_traitsISE_E10value_typeEPNSK_ISF_E10value_typeEPSG_NS1_7vsmem_tEENKUlT_SE_SF_SG_E_clIS8_S8_S9_S9_EESD_ST_SE_SF_SG_EUlST_E_NS1_11comp_targetILNS1_3genE8ELNS1_11target_archE1030ELNS1_3gpuE2ELNS1_3repE0EEENS1_48merge_mergepath_partition_config_static_selectorELNS0_4arch9wavefront6targetE0EEEvSF_.num_agpr, 0
	.set _ZN7rocprim17ROCPRIM_400000_NS6detail17trampoline_kernelINS0_14default_configENS1_38merge_sort_block_merge_config_selectorIsNS0_10empty_typeEEEZZNS1_27merge_sort_block_merge_implIS3_PsPS5_jNS1_19radix_merge_compareILb0ELb0EsNS0_19identity_decomposerEEEEE10hipError_tT0_T1_T2_jT3_P12ihipStream_tbPNSt15iterator_traitsISE_E10value_typeEPNSK_ISF_E10value_typeEPSG_NS1_7vsmem_tEENKUlT_SE_SF_SG_E_clIS8_S8_S9_S9_EESD_ST_SE_SF_SG_EUlST_E_NS1_11comp_targetILNS1_3genE8ELNS1_11target_archE1030ELNS1_3gpuE2ELNS1_3repE0EEENS1_48merge_mergepath_partition_config_static_selectorELNS0_4arch9wavefront6targetE0EEEvSF_.numbered_sgpr, 0
	.set _ZN7rocprim17ROCPRIM_400000_NS6detail17trampoline_kernelINS0_14default_configENS1_38merge_sort_block_merge_config_selectorIsNS0_10empty_typeEEEZZNS1_27merge_sort_block_merge_implIS3_PsPS5_jNS1_19radix_merge_compareILb0ELb0EsNS0_19identity_decomposerEEEEE10hipError_tT0_T1_T2_jT3_P12ihipStream_tbPNSt15iterator_traitsISE_E10value_typeEPNSK_ISF_E10value_typeEPSG_NS1_7vsmem_tEENKUlT_SE_SF_SG_E_clIS8_S8_S9_S9_EESD_ST_SE_SF_SG_EUlST_E_NS1_11comp_targetILNS1_3genE8ELNS1_11target_archE1030ELNS1_3gpuE2ELNS1_3repE0EEENS1_48merge_mergepath_partition_config_static_selectorELNS0_4arch9wavefront6targetE0EEEvSF_.num_named_barrier, 0
	.set _ZN7rocprim17ROCPRIM_400000_NS6detail17trampoline_kernelINS0_14default_configENS1_38merge_sort_block_merge_config_selectorIsNS0_10empty_typeEEEZZNS1_27merge_sort_block_merge_implIS3_PsPS5_jNS1_19radix_merge_compareILb0ELb0EsNS0_19identity_decomposerEEEEE10hipError_tT0_T1_T2_jT3_P12ihipStream_tbPNSt15iterator_traitsISE_E10value_typeEPNSK_ISF_E10value_typeEPSG_NS1_7vsmem_tEENKUlT_SE_SF_SG_E_clIS8_S8_S9_S9_EESD_ST_SE_SF_SG_EUlST_E_NS1_11comp_targetILNS1_3genE8ELNS1_11target_archE1030ELNS1_3gpuE2ELNS1_3repE0EEENS1_48merge_mergepath_partition_config_static_selectorELNS0_4arch9wavefront6targetE0EEEvSF_.private_seg_size, 0
	.set _ZN7rocprim17ROCPRIM_400000_NS6detail17trampoline_kernelINS0_14default_configENS1_38merge_sort_block_merge_config_selectorIsNS0_10empty_typeEEEZZNS1_27merge_sort_block_merge_implIS3_PsPS5_jNS1_19radix_merge_compareILb0ELb0EsNS0_19identity_decomposerEEEEE10hipError_tT0_T1_T2_jT3_P12ihipStream_tbPNSt15iterator_traitsISE_E10value_typeEPNSK_ISF_E10value_typeEPSG_NS1_7vsmem_tEENKUlT_SE_SF_SG_E_clIS8_S8_S9_S9_EESD_ST_SE_SF_SG_EUlST_E_NS1_11comp_targetILNS1_3genE8ELNS1_11target_archE1030ELNS1_3gpuE2ELNS1_3repE0EEENS1_48merge_mergepath_partition_config_static_selectorELNS0_4arch9wavefront6targetE0EEEvSF_.uses_vcc, 0
	.set _ZN7rocprim17ROCPRIM_400000_NS6detail17trampoline_kernelINS0_14default_configENS1_38merge_sort_block_merge_config_selectorIsNS0_10empty_typeEEEZZNS1_27merge_sort_block_merge_implIS3_PsPS5_jNS1_19radix_merge_compareILb0ELb0EsNS0_19identity_decomposerEEEEE10hipError_tT0_T1_T2_jT3_P12ihipStream_tbPNSt15iterator_traitsISE_E10value_typeEPNSK_ISF_E10value_typeEPSG_NS1_7vsmem_tEENKUlT_SE_SF_SG_E_clIS8_S8_S9_S9_EESD_ST_SE_SF_SG_EUlST_E_NS1_11comp_targetILNS1_3genE8ELNS1_11target_archE1030ELNS1_3gpuE2ELNS1_3repE0EEENS1_48merge_mergepath_partition_config_static_selectorELNS0_4arch9wavefront6targetE0EEEvSF_.uses_flat_scratch, 0
	.set _ZN7rocprim17ROCPRIM_400000_NS6detail17trampoline_kernelINS0_14default_configENS1_38merge_sort_block_merge_config_selectorIsNS0_10empty_typeEEEZZNS1_27merge_sort_block_merge_implIS3_PsPS5_jNS1_19radix_merge_compareILb0ELb0EsNS0_19identity_decomposerEEEEE10hipError_tT0_T1_T2_jT3_P12ihipStream_tbPNSt15iterator_traitsISE_E10value_typeEPNSK_ISF_E10value_typeEPSG_NS1_7vsmem_tEENKUlT_SE_SF_SG_E_clIS8_S8_S9_S9_EESD_ST_SE_SF_SG_EUlST_E_NS1_11comp_targetILNS1_3genE8ELNS1_11target_archE1030ELNS1_3gpuE2ELNS1_3repE0EEENS1_48merge_mergepath_partition_config_static_selectorELNS0_4arch9wavefront6targetE0EEEvSF_.has_dyn_sized_stack, 0
	.set _ZN7rocprim17ROCPRIM_400000_NS6detail17trampoline_kernelINS0_14default_configENS1_38merge_sort_block_merge_config_selectorIsNS0_10empty_typeEEEZZNS1_27merge_sort_block_merge_implIS3_PsPS5_jNS1_19radix_merge_compareILb0ELb0EsNS0_19identity_decomposerEEEEE10hipError_tT0_T1_T2_jT3_P12ihipStream_tbPNSt15iterator_traitsISE_E10value_typeEPNSK_ISF_E10value_typeEPSG_NS1_7vsmem_tEENKUlT_SE_SF_SG_E_clIS8_S8_S9_S9_EESD_ST_SE_SF_SG_EUlST_E_NS1_11comp_targetILNS1_3genE8ELNS1_11target_archE1030ELNS1_3gpuE2ELNS1_3repE0EEENS1_48merge_mergepath_partition_config_static_selectorELNS0_4arch9wavefront6targetE0EEEvSF_.has_recursion, 0
	.set _ZN7rocprim17ROCPRIM_400000_NS6detail17trampoline_kernelINS0_14default_configENS1_38merge_sort_block_merge_config_selectorIsNS0_10empty_typeEEEZZNS1_27merge_sort_block_merge_implIS3_PsPS5_jNS1_19radix_merge_compareILb0ELb0EsNS0_19identity_decomposerEEEEE10hipError_tT0_T1_T2_jT3_P12ihipStream_tbPNSt15iterator_traitsISE_E10value_typeEPNSK_ISF_E10value_typeEPSG_NS1_7vsmem_tEENKUlT_SE_SF_SG_E_clIS8_S8_S9_S9_EESD_ST_SE_SF_SG_EUlST_E_NS1_11comp_targetILNS1_3genE8ELNS1_11target_archE1030ELNS1_3gpuE2ELNS1_3repE0EEENS1_48merge_mergepath_partition_config_static_selectorELNS0_4arch9wavefront6targetE0EEEvSF_.has_indirect_call, 0
	.section	.AMDGPU.csdata,"",@progbits
; Kernel info:
; codeLenInByte = 0
; TotalNumSgprs: 0
; NumVgprs: 0
; ScratchSize: 0
; MemoryBound: 0
; FloatMode: 240
; IeeeMode: 1
; LDSByteSize: 0 bytes/workgroup (compile time only)
; SGPRBlocks: 0
; VGPRBlocks: 0
; NumSGPRsForWavesPerEU: 1
; NumVGPRsForWavesPerEU: 1
; NamedBarCnt: 0
; Occupancy: 16
; WaveLimiterHint : 0
; COMPUTE_PGM_RSRC2:SCRATCH_EN: 0
; COMPUTE_PGM_RSRC2:USER_SGPR: 2
; COMPUTE_PGM_RSRC2:TRAP_HANDLER: 0
; COMPUTE_PGM_RSRC2:TGID_X_EN: 1
; COMPUTE_PGM_RSRC2:TGID_Y_EN: 0
; COMPUTE_PGM_RSRC2:TGID_Z_EN: 0
; COMPUTE_PGM_RSRC2:TIDIG_COMP_CNT: 0
	.section	.text._ZN7rocprim17ROCPRIM_400000_NS6detail17trampoline_kernelINS0_14default_configENS1_38merge_sort_block_merge_config_selectorIsNS0_10empty_typeEEEZZNS1_27merge_sort_block_merge_implIS3_PsPS5_jNS1_19radix_merge_compareILb0ELb0EsNS0_19identity_decomposerEEEEE10hipError_tT0_T1_T2_jT3_P12ihipStream_tbPNSt15iterator_traitsISE_E10value_typeEPNSK_ISF_E10value_typeEPSG_NS1_7vsmem_tEENKUlT_SE_SF_SG_E_clIS8_S8_S9_S9_EESD_ST_SE_SF_SG_EUlST_E0_NS1_11comp_targetILNS1_3genE0ELNS1_11target_archE4294967295ELNS1_3gpuE0ELNS1_3repE0EEENS1_38merge_mergepath_config_static_selectorELNS0_4arch9wavefront6targetE0EEEvSF_,"axG",@progbits,_ZN7rocprim17ROCPRIM_400000_NS6detail17trampoline_kernelINS0_14default_configENS1_38merge_sort_block_merge_config_selectorIsNS0_10empty_typeEEEZZNS1_27merge_sort_block_merge_implIS3_PsPS5_jNS1_19radix_merge_compareILb0ELb0EsNS0_19identity_decomposerEEEEE10hipError_tT0_T1_T2_jT3_P12ihipStream_tbPNSt15iterator_traitsISE_E10value_typeEPNSK_ISF_E10value_typeEPSG_NS1_7vsmem_tEENKUlT_SE_SF_SG_E_clIS8_S8_S9_S9_EESD_ST_SE_SF_SG_EUlST_E0_NS1_11comp_targetILNS1_3genE0ELNS1_11target_archE4294967295ELNS1_3gpuE0ELNS1_3repE0EEENS1_38merge_mergepath_config_static_selectorELNS0_4arch9wavefront6targetE0EEEvSF_,comdat
	.protected	_ZN7rocprim17ROCPRIM_400000_NS6detail17trampoline_kernelINS0_14default_configENS1_38merge_sort_block_merge_config_selectorIsNS0_10empty_typeEEEZZNS1_27merge_sort_block_merge_implIS3_PsPS5_jNS1_19radix_merge_compareILb0ELb0EsNS0_19identity_decomposerEEEEE10hipError_tT0_T1_T2_jT3_P12ihipStream_tbPNSt15iterator_traitsISE_E10value_typeEPNSK_ISF_E10value_typeEPSG_NS1_7vsmem_tEENKUlT_SE_SF_SG_E_clIS8_S8_S9_S9_EESD_ST_SE_SF_SG_EUlST_E0_NS1_11comp_targetILNS1_3genE0ELNS1_11target_archE4294967295ELNS1_3gpuE0ELNS1_3repE0EEENS1_38merge_mergepath_config_static_selectorELNS0_4arch9wavefront6targetE0EEEvSF_ ; -- Begin function _ZN7rocprim17ROCPRIM_400000_NS6detail17trampoline_kernelINS0_14default_configENS1_38merge_sort_block_merge_config_selectorIsNS0_10empty_typeEEEZZNS1_27merge_sort_block_merge_implIS3_PsPS5_jNS1_19radix_merge_compareILb0ELb0EsNS0_19identity_decomposerEEEEE10hipError_tT0_T1_T2_jT3_P12ihipStream_tbPNSt15iterator_traitsISE_E10value_typeEPNSK_ISF_E10value_typeEPSG_NS1_7vsmem_tEENKUlT_SE_SF_SG_E_clIS8_S8_S9_S9_EESD_ST_SE_SF_SG_EUlST_E0_NS1_11comp_targetILNS1_3genE0ELNS1_11target_archE4294967295ELNS1_3gpuE0ELNS1_3repE0EEENS1_38merge_mergepath_config_static_selectorELNS0_4arch9wavefront6targetE0EEEvSF_
	.globl	_ZN7rocprim17ROCPRIM_400000_NS6detail17trampoline_kernelINS0_14default_configENS1_38merge_sort_block_merge_config_selectorIsNS0_10empty_typeEEEZZNS1_27merge_sort_block_merge_implIS3_PsPS5_jNS1_19radix_merge_compareILb0ELb0EsNS0_19identity_decomposerEEEEE10hipError_tT0_T1_T2_jT3_P12ihipStream_tbPNSt15iterator_traitsISE_E10value_typeEPNSK_ISF_E10value_typeEPSG_NS1_7vsmem_tEENKUlT_SE_SF_SG_E_clIS8_S8_S9_S9_EESD_ST_SE_SF_SG_EUlST_E0_NS1_11comp_targetILNS1_3genE0ELNS1_11target_archE4294967295ELNS1_3gpuE0ELNS1_3repE0EEENS1_38merge_mergepath_config_static_selectorELNS0_4arch9wavefront6targetE0EEEvSF_
	.p2align	8
	.type	_ZN7rocprim17ROCPRIM_400000_NS6detail17trampoline_kernelINS0_14default_configENS1_38merge_sort_block_merge_config_selectorIsNS0_10empty_typeEEEZZNS1_27merge_sort_block_merge_implIS3_PsPS5_jNS1_19radix_merge_compareILb0ELb0EsNS0_19identity_decomposerEEEEE10hipError_tT0_T1_T2_jT3_P12ihipStream_tbPNSt15iterator_traitsISE_E10value_typeEPNSK_ISF_E10value_typeEPSG_NS1_7vsmem_tEENKUlT_SE_SF_SG_E_clIS8_S8_S9_S9_EESD_ST_SE_SF_SG_EUlST_E0_NS1_11comp_targetILNS1_3genE0ELNS1_11target_archE4294967295ELNS1_3gpuE0ELNS1_3repE0EEENS1_38merge_mergepath_config_static_selectorELNS0_4arch9wavefront6targetE0EEEvSF_,@function
_ZN7rocprim17ROCPRIM_400000_NS6detail17trampoline_kernelINS0_14default_configENS1_38merge_sort_block_merge_config_selectorIsNS0_10empty_typeEEEZZNS1_27merge_sort_block_merge_implIS3_PsPS5_jNS1_19radix_merge_compareILb0ELb0EsNS0_19identity_decomposerEEEEE10hipError_tT0_T1_T2_jT3_P12ihipStream_tbPNSt15iterator_traitsISE_E10value_typeEPNSK_ISF_E10value_typeEPSG_NS1_7vsmem_tEENKUlT_SE_SF_SG_E_clIS8_S8_S9_S9_EESD_ST_SE_SF_SG_EUlST_E0_NS1_11comp_targetILNS1_3genE0ELNS1_11target_archE4294967295ELNS1_3gpuE0ELNS1_3repE0EEENS1_38merge_mergepath_config_static_selectorELNS0_4arch9wavefront6targetE0EEEvSF_: ; @_ZN7rocprim17ROCPRIM_400000_NS6detail17trampoline_kernelINS0_14default_configENS1_38merge_sort_block_merge_config_selectorIsNS0_10empty_typeEEEZZNS1_27merge_sort_block_merge_implIS3_PsPS5_jNS1_19radix_merge_compareILb0ELb0EsNS0_19identity_decomposerEEEEE10hipError_tT0_T1_T2_jT3_P12ihipStream_tbPNSt15iterator_traitsISE_E10value_typeEPNSK_ISF_E10value_typeEPSG_NS1_7vsmem_tEENKUlT_SE_SF_SG_E_clIS8_S8_S9_S9_EESD_ST_SE_SF_SG_EUlST_E0_NS1_11comp_targetILNS1_3genE0ELNS1_11target_archE4294967295ELNS1_3gpuE0ELNS1_3repE0EEENS1_38merge_mergepath_config_static_selectorELNS0_4arch9wavefront6targetE0EEEvSF_
; %bb.0:
	s_bfe_u32 s2, ttmp6, 0x40010
	s_and_b32 s4, ttmp7, 0xffff
	s_add_co_i32 s5, s2, 1
	s_clause 0x1
	s_load_b32 s6, s[0:1], 0x30
	s_load_b64 s[2:3], s[0:1], 0x40
	s_bfe_u32 s8, ttmp6, 0x4000c
	s_mul_i32 s5, s4, s5
	s_bfe_u32 s7, ttmp6, 0x40004
	s_add_co_i32 s8, s8, 1
	s_bfe_u32 s9, ttmp6, 0x40014
	s_add_co_i32 s7, s7, s5
	s_and_b32 s5, ttmp6, 15
	s_mul_i32 s8, ttmp9, s8
	s_lshr_b32 s10, ttmp7, 16
	s_add_co_i32 s9, s9, 1
	s_add_co_i32 s5, s5, s8
	s_mul_i32 s8, s10, s9
	s_bfe_u32 s9, ttmp6, 0x40008
	s_getreg_b32 s11, hwreg(HW_REG_IB_STS2, 6, 4)
	s_add_co_i32 s9, s9, s8
	s_cmp_eq_u32 s11, 0
	s_cselect_b32 s8, s10, s9
	s_cselect_b32 s4, s4, s7
	s_wait_kmcnt 0x0
	s_mul_i32 s8, s3, s8
	s_cselect_b32 s3, ttmp9, s5
	s_add_co_i32 s4, s8, s4
	s_mov_b32 s5, 0
	s_mul_i32 s4, s4, s2
	s_delay_alu instid0(SALU_CYCLE_1) | instskip(NEXT) | instid1(SALU_CYCLE_1)
	s_add_co_i32 s4, s4, s3
	s_cmp_ge_u32 s4, s6
	s_cbranch_scc1 .LBB655_43
; %bb.1:
	v_mov_b32_e32 v7, 0
	s_add_nc_u64 s[6:7], s[0:1], 64
	v_lshlrev_b32_e32 v6, 1, v0
	global_load_b32 v1, v7, s[6:7] offset:14
	s_clause 0x2
	s_load_b64 s[8:9], s[0:1], 0x28
	s_load_b64 s[10:11], s[0:1], 0x38
	;; [unrolled: 1-line block ×3, first 2 shown]
	s_wait_kmcnt 0x0
	s_lshr_b32 s22, s8, 10
	s_delay_alu instid0(SALU_CYCLE_1) | instskip(SKIP_2) | instid1(SALU_CYCLE_1)
	s_cmp_lg_u32 s4, s22
	s_cselect_b32 s14, -1, 0
	s_lshl_b64 s[12:13], s[4:5], 2
	s_add_nc_u64 s[10:11], s[10:11], s[12:13]
	s_load_b64 s[12:13], s[10:11], 0x0
	s_wait_xcnt 0x0
	s_lshr_b32 s10, s9, 9
	s_delay_alu instid0(SALU_CYCLE_1) | instskip(NEXT) | instid1(SALU_CYCLE_1)
	s_and_b32 s10, s10, 0x7ffffe
	s_sub_co_i32 s11, 0, s10
	s_lshl_b32 s10, s4, 10
	s_and_b32 s15, s4, s11
	s_or_b32 s11, s4, s11
	s_lshl_b32 s18, s15, 11
	s_lshl_b32 s15, s15, 10
	s_add_co_i32 s18, s18, s9
	s_sub_co_i32 s19, s10, s15
	s_sub_co_i32 s15, s18, s15
	s_add_co_i32 s18, s18, s19
	s_min_u32 s20, s8, s15
	s_add_co_i32 s15, s15, s9
	s_wait_kmcnt 0x0
	s_sub_co_i32 s9, s18, s12
	s_sub_co_i32 s19, s18, s13
	s_min_u32 s18, s8, s9
	s_add_co_i32 s9, s19, 0x400
	s_cmp_eq_u32 s11, -1
	s_mov_b32 s19, s5
	s_cselect_b32 s9, s15, s9
	s_cselect_b32 s11, s20, s13
	s_mov_b32 s13, s5
	s_min_u32 s15, s9, s8
	s_lshl_b64 s[20:21], s[18:19], 1
	s_sub_co_i32 s9, s11, s12
	s_lshl_b64 s[12:13], s[12:13], 1
	s_sub_co_i32 s15, s15, s18
	s_cmp_lt_u32 s3, s2
	s_mov_b32 s3, s5
	s_cselect_b32 s2, 12, 18
	s_add_nc_u64 s[12:13], s[16:17], s[12:13]
	s_add_nc_u64 s[2:3], s[6:7], s[2:3]
	s_cmp_eq_u32 s4, s22
	s_load_u16 s2, s[2:3], 0x0
	s_add_nc_u64 s[6:7], s[16:17], s[20:21]
	s_wait_loadcnt 0x0
	v_lshrrev_b32_e32 v2, 16, v1
	v_and_b32_e32 v1, 0xffff, v1
	s_delay_alu instid0(VALU_DEP_1) | instskip(SKIP_1) | instid1(VALU_DEP_1)
	v_mul_lo_u32 v1, v1, v2
	s_wait_kmcnt 0x0
	v_mul_lo_u32 v1, v1, s2
	s_mov_b32 s2, -1
	s_delay_alu instid0(VALU_DEP_1) | instskip(NEXT) | instid1(VALU_DEP_1)
	v_add_nc_u32_e32 v10, v1, v0
	v_add_nc_u32_e32 v8, v10, v1
	s_cbranch_scc1 .LBB655_3
; %bb.2:
	v_sub_co_u32 v4, vcc_lo, v0, s9
	v_dual_mov_b32 v5, v7 :: v_dual_mov_b32 v11, v7
	v_add_nc_u64_e32 v[2:3], s[12:13], v[6:7]
	v_sub_co_u32 v14, s2, v10, s9
	s_delay_alu instid0(VALU_DEP_3) | instskip(SKIP_3) | instid1(VALU_DEP_4)
	v_lshl_add_u64 v[4:5], v[4:5], 1, s[6:7]
	v_dual_mov_b32 v15, v7 :: v_dual_mov_b32 v9, v7
	v_lshl_add_u64 v[12:13], v[10:11], 1, s[12:13]
	v_dual_mov_b32 v17, v7 :: v_dual_add_nc_u32 v18, v8, v1
	v_dual_cndmask_b32 v3, v5, v3 :: v_dual_cndmask_b32 v2, v4, v2
	s_delay_alu instid0(VALU_DEP_4)
	v_lshl_add_u64 v[4:5], v[14:15], 1, s[6:7]
	v_sub_co_u32 v16, vcc_lo, v8, s9
	v_mov_b32_e32 v19, v7
	v_lshl_add_u64 v[14:15], v[8:9], 1, s[12:13]
	global_load_u16 v9, v[2:3], off
	s_wait_xcnt 0x0
	v_dual_cndmask_b32 v3, v5, v13, s2 :: v_dual_cndmask_b32 v2, v4, v12, s2
	v_lshl_add_u64 v[4:5], v[16:17], 1, s[6:7]
	v_lshl_add_u64 v[12:13], v[18:19], 1, s[12:13]
	v_sub_co_u32 v16, s2, v18, s9
	v_add_nc_u32_e32 v18, v18, v1
	global_load_u16 v11, v[2:3], off
	s_wait_xcnt 0x0
	v_dual_cndmask_b32 v3, v5, v15 :: v_dual_cndmask_b32 v2, v4, v14
	v_lshl_add_u64 v[4:5], v[16:17], 1, s[6:7]
	v_lshl_add_u64 v[14:15], v[18:19], 1, s[12:13]
	v_sub_co_u32 v16, vcc_lo, v18, s9
	v_add_nc_u32_e32 v18, v18, v1
	global_load_u16 v26, v[2:3], off
	s_wait_xcnt 0x0
	v_dual_cndmask_b32 v3, v5, v13, s2 :: v_dual_mov_b32 v21, v7
	v_cndmask_b32_e64 v2, v4, v12, s2
	v_lshl_add_u64 v[4:5], v[16:17], 1, s[6:7]
	v_lshl_add_u64 v[12:13], v[18:19], 1, s[12:13]
	v_add_nc_u32_e32 v16, v18, v1
	v_sub_co_u32 v18, s2, v18, s9
	s_delay_alu instid0(VALU_DEP_4) | instskip(SKIP_1) | instid1(VALU_DEP_3)
	v_cndmask_b32_e32 v5, v5, v15, vcc_lo
	s_add_co_i32 s11, s15, s9
	v_lshl_add_u64 v[22:23], v[16:17], 1, s[12:13]
	s_delay_alu instid0(VALU_DEP_3) | instskip(SKIP_2) | instid1(VALU_DEP_3)
	v_lshl_add_u64 v[18:19], v[18:19], 1, s[6:7]
	v_add_nc_u32_e32 v20, v16, v1
	v_sub_co_u32 v16, s3, v16, s9
	v_dual_cndmask_b32 v4, v4, v14, vcc_lo :: v_dual_cndmask_b32 v13, v19, v13, s2
	s_delay_alu instid0(VALU_DEP_4) | instskip(NEXT) | instid1(VALU_DEP_4)
	v_cndmask_b32_e64 v12, v18, v12, s2
	v_lshl_add_u64 v[24:25], v[20:21], 1, s[12:13]
	v_sub_co_u32 v20, s4, v20, s9
	v_lshl_add_u64 v[16:17], v[16:17], 1, s[6:7]
	s_delay_alu instid0(VALU_DEP_2) | instskip(NEXT) | instid1(VALU_DEP_2)
	v_lshl_add_u64 v[14:15], v[20:21], 1, s[6:7]
	v_dual_cndmask_b32 v17, v17, v23, s3 :: v_dual_cndmask_b32 v16, v16, v22, s3
	s_delay_alu instid0(VALU_DEP_2)
	v_dual_cndmask_b32 v15, v15, v25, s4 :: v_dual_cndmask_b32 v14, v14, v24, s4
	global_load_u16 v7, v[2:3], off
	global_load_u16 v18, v[4:5], off
	;; [unrolled: 1-line block ×5, first 2 shown]
	s_wait_loadcnt 0x6
	s_wait_xcnt 0x4
	v_perm_b32 v2, v11, v9, 0x5040100
	s_wait_loadcnt 0x4
	v_perm_b32 v3, v7, v26, 0x5040100
	s_wait_loadcnt 0x2
	s_wait_xcnt 0x3
	v_perm_b32 v4, v19, v18, 0x5040100
	s_wait_loadcnt 0x0
	v_perm_b32 v5, v21, v20, 0x5040100
	s_cbranch_execz .LBB655_4
	s_branch .LBB655_19
.LBB655_3:
                                        ; implicit-def: $vgpr2_vgpr3_vgpr4_vgpr5
                                        ; implicit-def: $sgpr11
	s_and_not1_b32 vcc_lo, exec_lo, s2
	s_cbranch_vccnz .LBB655_19
.LBB655_4:
	v_mov_b32_e32 v2, 0
	s_add_co_i32 s11, s15, s9
	s_mov_b32 s2, exec_lo
	s_delay_alu instid0(VALU_DEP_1)
	v_dual_mov_b32 v3, v2 :: v_dual_mov_b32 v4, v2
	v_mov_b32_e32 v5, v2
	v_cmpx_gt_u32_e64 s11, v0
	s_cbranch_execnz .LBB655_44
; %bb.5:
	s_or_b32 exec_lo, exec_lo, s2
	s_delay_alu instid0(SALU_CYCLE_1)
	s_mov_b32 s2, exec_lo
	v_cmpx_gt_u32_e64 s11, v10
	s_cbranch_execnz .LBB655_45
.LBB655_6:
	s_or_b32 exec_lo, exec_lo, s2
	s_delay_alu instid0(SALU_CYCLE_1)
	s_mov_b32 s2, exec_lo
	v_cmpx_gt_u32_e64 s11, v8
	s_cbranch_execz .LBB655_8
.LBB655_7:
	v_sub_co_u32 v12, vcc_lo, v8, s9
	v_mov_b32_e32 v9, 0
	s_delay_alu instid0(VALU_DEP_1) | instskip(SKIP_1) | instid1(VALU_DEP_1)
	v_lshl_add_u64 v[10:11], v[8:9], 1, s[12:13]
	v_mov_b32_e32 v13, v9
	v_lshl_add_u64 v[12:13], v[12:13], 1, s[6:7]
	s_delay_alu instid0(VALU_DEP_1)
	v_dual_cndmask_b32 v11, v13, v11 :: v_dual_cndmask_b32 v10, v12, v10
	global_load_u16 v7, v[10:11], off
	s_wait_loadcnt 0x0
	v_bfi_b32 v3, 0xffff, v7, v3
.LBB655_8:
	s_or_b32 exec_lo, exec_lo, s2
	v_add_nc_u32_e32 v8, v8, v1
	s_mov_b32 s2, exec_lo
	s_delay_alu instid0(VALU_DEP_1)
	v_cmpx_gt_u32_e64 s11, v8
	s_cbranch_execz .LBB655_10
; %bb.9:
	v_sub_co_u32 v12, vcc_lo, v8, s9
	v_mov_b32_e32 v9, 0
	s_delay_alu instid0(VALU_DEP_1) | instskip(SKIP_1) | instid1(VALU_DEP_1)
	v_lshl_add_u64 v[10:11], v[8:9], 1, s[12:13]
	v_mov_b32_e32 v13, v9
	v_lshl_add_u64 v[12:13], v[12:13], 1, s[6:7]
	s_delay_alu instid0(VALU_DEP_1)
	v_dual_cndmask_b32 v11, v13, v11 :: v_dual_cndmask_b32 v10, v12, v10
	global_load_u16 v7, v[10:11], off
	s_wait_loadcnt 0x0
	v_perm_b32 v3, v7, v3, 0x5040100
.LBB655_10:
	s_or_b32 exec_lo, exec_lo, s2
	v_add_nc_u32_e32 v8, v8, v1
	s_mov_b32 s2, exec_lo
	s_delay_alu instid0(VALU_DEP_1)
	v_cmpx_gt_u32_e64 s11, v8
	s_cbranch_execz .LBB655_12
; %bb.11:
	v_sub_co_u32 v12, vcc_lo, v8, s9
	v_mov_b32_e32 v9, 0
	s_delay_alu instid0(VALU_DEP_1) | instskip(SKIP_1) | instid1(VALU_DEP_1)
	v_lshl_add_u64 v[10:11], v[8:9], 1, s[12:13]
	v_mov_b32_e32 v13, v9
	v_lshl_add_u64 v[12:13], v[12:13], 1, s[6:7]
	s_delay_alu instid0(VALU_DEP_1)
	v_dual_cndmask_b32 v11, v13, v11 :: v_dual_cndmask_b32 v10, v12, v10
	global_load_u16 v7, v[10:11], off
	s_wait_loadcnt 0x0
	v_bfi_b32 v4, 0xffff, v7, v4
.LBB655_12:
	s_or_b32 exec_lo, exec_lo, s2
	v_add_nc_u32_e32 v8, v8, v1
	s_mov_b32 s2, exec_lo
	s_delay_alu instid0(VALU_DEP_1)
	v_cmpx_gt_u32_e64 s11, v8
	s_cbranch_execz .LBB655_14
; %bb.13:
	v_sub_co_u32 v12, vcc_lo, v8, s9
	v_mov_b32_e32 v9, 0
	s_delay_alu instid0(VALU_DEP_1) | instskip(SKIP_1) | instid1(VALU_DEP_1)
	v_lshl_add_u64 v[10:11], v[8:9], 1, s[12:13]
	v_mov_b32_e32 v13, v9
	v_lshl_add_u64 v[12:13], v[12:13], 1, s[6:7]
	s_delay_alu instid0(VALU_DEP_1)
	v_dual_cndmask_b32 v11, v13, v11 :: v_dual_cndmask_b32 v10, v12, v10
	global_load_u16 v7, v[10:11], off
	s_wait_loadcnt 0x0
	v_perm_b32 v4, v7, v4, 0x5040100
.LBB655_14:
	s_or_b32 exec_lo, exec_lo, s2
	v_add_nc_u32_e32 v8, v8, v1
	s_mov_b32 s2, exec_lo
	s_delay_alu instid0(VALU_DEP_1)
	v_cmpx_gt_u32_e64 s11, v8
	s_cbranch_execz .LBB655_16
; %bb.15:
	v_sub_co_u32 v12, vcc_lo, v8, s9
	v_mov_b32_e32 v9, 0
	s_delay_alu instid0(VALU_DEP_1) | instskip(SKIP_1) | instid1(VALU_DEP_1)
	v_lshl_add_u64 v[10:11], v[8:9], 1, s[12:13]
	v_mov_b32_e32 v13, v9
	v_lshl_add_u64 v[12:13], v[12:13], 1, s[6:7]
	s_delay_alu instid0(VALU_DEP_1)
	v_dual_cndmask_b32 v11, v13, v11 :: v_dual_cndmask_b32 v10, v12, v10
	global_load_u16 v7, v[10:11], off
	s_wait_loadcnt 0x0
	v_bfi_b32 v5, 0xffff, v7, v5
.LBB655_16:
	s_or_b32 exec_lo, exec_lo, s2
	v_add_nc_u32_e32 v8, v8, v1
	s_mov_b32 s2, exec_lo
	s_delay_alu instid0(VALU_DEP_1)
	v_cmpx_gt_u32_e64 s11, v8
	s_cbranch_execz .LBB655_18
; %bb.17:
	v_mov_b32_e32 v9, 0
	s_delay_alu instid0(VALU_DEP_1) | instskip(SKIP_1) | instid1(VALU_DEP_1)
	v_lshl_add_u64 v[10:11], v[8:9], 1, s[12:13]
	v_sub_co_u32 v8, vcc_lo, v8, s9
	v_lshl_add_u64 v[8:9], v[8:9], 1, s[6:7]
	s_delay_alu instid0(VALU_DEP_1)
	v_dual_cndmask_b32 v9, v9, v11 :: v_dual_cndmask_b32 v8, v8, v10
	global_load_u16 v1, v[8:9], off
	s_wait_loadcnt 0x0
	v_perm_b32 v5, v1, v5, 0x5040100
.LBB655_18:
	s_or_b32 exec_lo, exec_lo, s2
.LBB655_19:
	s_load_b64 s[12:13], s[0:1], 0x10
	v_dual_lshlrev_b32 v1, 3, v0 :: v_dual_lshrrev_b32 v7, 16, v2
	v_dual_lshrrev_b32 v9, 16, v3 :: v_dual_lshrrev_b32 v8, 16, v4
	v_lshrrev_b32_e32 v10, 16, v5
	s_delay_alu instid0(VALU_DEP_3)
	v_min_u32_e32 v12, s11, v1
	s_wait_xcnt 0x0
	s_mov_b32 s0, exec_lo
	ds_store_b16 v6, v2
	ds_store_b16 v6, v7 offset:256
	ds_store_b16 v6, v3 offset:512
	;; [unrolled: 1-line block ×7, first 2 shown]
	s_wait_dscnt 0x0
	s_barrier_signal -1
	v_sub_nc_u32_e64 v11, v12, s15 clamp
	v_min_u32_e32 v13, s9, v12
	s_barrier_wait -1
	s_delay_alu instid0(VALU_DEP_1)
	v_cmpx_lt_u32_e64 v11, v13
	s_cbranch_execz .LBB655_23
; %bb.20:
	v_lshlrev_b32_e32 v14, 1, v12
	s_mov_b32 s1, 0
	s_delay_alu instid0(VALU_DEP_1)
	v_lshl_add_u32 v14, s9, 1, v14
.LBB655_21:                             ; =>This Inner Loop Header: Depth=1
	v_add_nc_u32_e32 v15, v13, v11
	s_delay_alu instid0(VALU_DEP_1) | instskip(NEXT) | instid1(VALU_DEP_1)
	v_lshrrev_b32_e32 v16, 1, v15
	v_dual_add_nc_u32 v18, 1, v16 :: v_dual_bitop2_b32 v15, -2, v15 bitop3:0x40
	v_not_b32_e32 v17, v16
	s_delay_alu instid0(VALU_DEP_1)
	v_lshl_add_u32 v17, v17, 1, v14
	ds_load_u16 v15, v15
	ds_load_u16 v17, v17
	s_wait_dscnt 0x0
	v_cmp_gt_i16_e32 vcc_lo, v15, v17
	v_dual_cndmask_b32 v13, v13, v16, vcc_lo :: v_dual_cndmask_b32 v11, v18, v11, vcc_lo
	s_delay_alu instid0(VALU_DEP_1) | instskip(SKIP_1) | instid1(SALU_CYCLE_1)
	v_cmp_ge_u32_e32 vcc_lo, v11, v13
	s_or_b32 s1, vcc_lo, s1
	s_and_not1_b32 exec_lo, exec_lo, s1
	s_cbranch_execnz .LBB655_21
; %bb.22:
	s_or_b32 exec_lo, exec_lo, s1
.LBB655_23:
	s_delay_alu instid0(SALU_CYCLE_1) | instskip(SKIP_2) | instid1(VALU_DEP_2)
	s_or_b32 exec_lo, exec_lo, s0
	v_sub_nc_u32_e32 v12, v12, v11
	v_cmp_ge_u32_e32 vcc_lo, s9, v11
	v_add_nc_u32_e32 v12, s9, v12
	s_delay_alu instid0(VALU_DEP_1) | instskip(SKIP_1) | instid1(SALU_CYCLE_1)
	v_cmp_ge_u32_e64 s0, s11, v12
	s_or_b32 s0, vcc_lo, s0
	s_and_saveexec_b32 s15, s0
	s_cbranch_execz .LBB655_29
; %bb.24:
	v_cmp_gt_u32_e32 vcc_lo, s9, v11
                                        ; implicit-def: $vgpr2
	s_and_saveexec_b32 s0, vcc_lo
; %bb.25:
	v_lshlrev_b32_e32 v2, 1, v11
	ds_load_u16 v2, v2
; %bb.26:
	s_or_b32 exec_lo, exec_lo, s0
	v_cmp_le_u32_e64 s0, s11, v12
	s_mov_b32 s2, exec_lo
                                        ; implicit-def: $vgpr3
	v_cmpx_gt_u32_e64 s11, v12
; %bb.27:
	v_lshlrev_b32_e32 v3, 1, v12
	ds_load_u16 v3, v3
; %bb.28:
	s_or_b32 exec_lo, exec_lo, s2
	s_wait_dscnt 0x0
	v_cmp_le_i16_e64 s1, v2, v3
	s_and_b32 s1, vcc_lo, s1
	s_delay_alu instid0(SALU_CYCLE_1) | instskip(SKIP_1) | instid1(VALU_DEP_1)
	s_or_b32 vcc_lo, s0, s1
	v_dual_mov_b32 v4, s9 :: v_dual_cndmask_b32 v5, v12, v11
	v_dual_cndmask_b32 v7, s11, v4, vcc_lo :: v_dual_add_nc_u32 v5, 1, v5
	s_delay_alu instid0(VALU_DEP_1) | instskip(SKIP_1) | instid1(VALU_DEP_2)
	v_add_min_u32_e64 v7, v7, -1, v5
	v_dual_cndmask_b32 v8, v11, v5 :: v_dual_cndmask_b32 v5, v5, v12
	v_lshlrev_b32_e32 v7, 1, v7
	s_delay_alu instid0(VALU_DEP_2) | instskip(NEXT) | instid1(VALU_DEP_3)
	v_cmp_gt_u32_e64 s0, s9, v8
	v_cmp_le_u32_e64 s2, s11, v5
	ds_load_u16 v7, v7
	s_wait_dscnt 0x0
	v_cndmask_b32_e32 v9, v7, v3, vcc_lo
	v_dual_cndmask_b32 v7, v2, v7 :: v_dual_cndmask_b32 v2, v3, v2
	s_delay_alu instid0(VALU_DEP_1) | instskip(SKIP_1) | instid1(SALU_CYCLE_1)
	v_cmp_le_i16_e64 s1, v7, v9
	s_and_b32 s0, s0, s1
	s_or_b32 s0, s2, s0
	s_delay_alu instid0(SALU_CYCLE_1) | instskip(NEXT) | instid1(VALU_DEP_1)
	v_cndmask_b32_e64 v10, v5, v8, s0
	v_dual_cndmask_b32 v11, s11, v4, s0 :: v_dual_add_nc_u32 v10, 1, v10
	s_delay_alu instid0(VALU_DEP_1) | instskip(SKIP_1) | instid1(VALU_DEP_2)
	v_add_min_u32_e64 v11, v11, -1, v10
	v_dual_cndmask_b32 v8, v8, v10, s0 :: v_dual_cndmask_b32 v5, v10, v5, s0
	v_lshlrev_b32_e32 v11, 1, v11
	s_delay_alu instid0(VALU_DEP_2) | instskip(NEXT) | instid1(VALU_DEP_3)
	v_cmp_gt_u32_e64 s1, s9, v8
	v_cmp_le_u32_e64 s3, s11, v5
	ds_load_u16 v11, v11
	s_wait_dscnt 0x0
	v_cndmask_b32_e64 v12, v11, v9, s0
	v_cndmask_b32_e64 v11, v7, v11, s0
	;; [unrolled: 1-line block ×3, first 2 shown]
	s_delay_alu instid0(VALU_DEP_2) | instskip(SKIP_1) | instid1(SALU_CYCLE_1)
	v_cmp_le_i16_e64 s2, v11, v12
	s_and_b32 s1, s1, s2
	s_or_b32 s1, s3, s1
	s_delay_alu instid0(SALU_CYCLE_1) | instskip(NEXT) | instid1(VALU_DEP_1)
	v_cndmask_b32_e64 v10, v5, v8, s1
	v_dual_cndmask_b32 v13, s11, v4, s1 :: v_dual_add_nc_u32 v10, 1, v10
	s_delay_alu instid0(VALU_DEP_1) | instskip(SKIP_1) | instid1(VALU_DEP_2)
	v_add_min_u32_e64 v13, v13, -1, v10
	v_dual_cndmask_b32 v8, v8, v10, s1 :: v_dual_cndmask_b32 v5, v10, v5, s1
	v_lshlrev_b32_e32 v13, 1, v13
	s_delay_alu instid0(VALU_DEP_2) | instskip(NEXT) | instid1(VALU_DEP_3)
	v_cmp_gt_u32_e64 s2, s9, v8
	v_cmp_le_u32_e64 s4, s11, v5
	ds_load_u16 v13, v13
	s_wait_dscnt 0x0
	v_dual_cndmask_b32 v14, v13, v12, s1 :: v_dual_cndmask_b32 v13, v11, v13, s1
	s_delay_alu instid0(VALU_DEP_1) | instskip(SKIP_1) | instid1(SALU_CYCLE_1)
	v_cmp_le_i16_e64 s3, v13, v14
	s_and_b32 s2, s2, s3
	s_or_b32 s2, s4, s2
	s_delay_alu instid0(SALU_CYCLE_1) | instskip(SKIP_1) | instid1(VALU_DEP_1)
	v_dual_cndmask_b32 v3, v12, v11, s1 :: v_dual_cndmask_b32 v9, v14, v13, s2
	v_cndmask_b32_e64 v10, v5, v8, s2
	v_dual_cndmask_b32 v15, s11, v4, s2 :: v_dual_add_nc_u32 v10, 1, v10
	s_delay_alu instid0(VALU_DEP_1) | instskip(NEXT) | instid1(VALU_DEP_1)
	v_add_min_u32_e64 v15, v15, -1, v10
	v_dual_lshlrev_b32 v15, 1, v15 :: v_dual_cndmask_b32 v5, v10, v5, s2
	ds_load_u16 v15, v15
	v_cndmask_b32_e64 v8, v8, v10, s2
	v_cmp_le_u32_e64 s5, s11, v5
	s_wait_dscnt 0x0
	v_dual_cndmask_b32 v16, v15, v14, s2 :: v_dual_cndmask_b32 v15, v13, v15, s2
	s_delay_alu instid0(VALU_DEP_3) | instskip(NEXT) | instid1(VALU_DEP_2)
	v_cmp_gt_u32_e64 s3, s9, v8
	v_cmp_le_i16_e64 s4, v15, v16
	s_and_b32 s3, s3, s4
	s_delay_alu instid0(SALU_CYCLE_1) | instskip(NEXT) | instid1(SALU_CYCLE_1)
	s_or_b32 s3, s5, s3
	v_cndmask_b32_e64 v10, v5, v8, s3
	s_delay_alu instid0(VALU_DEP_1) | instskip(NEXT) | instid1(VALU_DEP_1)
	v_dual_cndmask_b32 v17, s11, v4, s3 :: v_dual_add_nc_u32 v10, 1, v10
	v_add_min_u32_e64 v17, v17, -1, v10
	v_cndmask_b32_e64 v5, v10, v5, s3
	s_delay_alu instid0(VALU_DEP_2) | instskip(NEXT) | instid1(VALU_DEP_2)
	v_lshlrev_b32_e32 v17, 1, v17
	v_cmp_le_u32_e64 s6, s11, v5
	ds_load_u16 v17, v17
	s_wait_dscnt 0x0
	v_dual_cndmask_b32 v8, v8, v10, s3 :: v_dual_cndmask_b32 v18, v17, v16, s3
	v_cndmask_b32_e64 v17, v15, v17, s3
	s_delay_alu instid0(VALU_DEP_2) | instskip(NEXT) | instid1(VALU_DEP_2)
	v_cmp_gt_u32_e64 s4, s9, v8
	v_cmp_le_i16_e64 s5, v17, v18
	s_and_b32 s4, s4, s5
	s_delay_alu instid0(SALU_CYCLE_1) | instskip(NEXT) | instid1(SALU_CYCLE_1)
	s_or_b32 s4, s6, s4
	v_cndmask_b32_e64 v10, v5, v8, s4
	s_delay_alu instid0(VALU_DEP_1) | instskip(NEXT) | instid1(VALU_DEP_1)
	v_dual_cndmask_b32 v19, s11, v4, s4 :: v_dual_add_nc_u32 v10, 1, v10
	v_add_min_u32_e64 v19, v19, -1, v10
	s_delay_alu instid0(VALU_DEP_1)
	v_dual_lshlrev_b32 v19, 1, v19 :: v_dual_cndmask_b32 v5, v10, v5, s4
	ds_load_u16 v19, v19
	v_cndmask_b32_e64 v8, v8, v10, s4
	v_cmp_le_u32_e64 s7, s11, v5
	s_wait_dscnt 0x0
	v_dual_cndmask_b32 v20, v19, v18, s4 :: v_dual_cndmask_b32 v19, v17, v19, s4
	s_delay_alu instid0(VALU_DEP_3) | instskip(NEXT) | instid1(VALU_DEP_2)
	v_cmp_gt_u32_e64 s5, s9, v8
	v_cmp_le_i16_e64 s6, v19, v20
	s_and_b32 s5, s5, s6
	s_delay_alu instid0(SALU_CYCLE_1) | instskip(NEXT) | instid1(SALU_CYCLE_1)
	s_or_b32 s5, s7, s5
	v_cndmask_b32_e64 v10, v5, v8, s5
	s_delay_alu instid0(VALU_DEP_1) | instskip(NEXT) | instid1(VALU_DEP_1)
	v_dual_cndmask_b32 v4, s11, v4, s5 :: v_dual_add_nc_u32 v10, 1, v10
	v_add_min_u32_e64 v4, v4, -1, v10
	s_delay_alu instid0(VALU_DEP_1) | instskip(NEXT) | instid1(VALU_DEP_1)
	v_dual_cndmask_b32 v8, v8, v10, s5 :: v_dual_lshlrev_b32 v4, 1, v4
	v_cmp_gt_u32_e32 vcc_lo, s9, v8
	v_cndmask_b32_e64 v8, v18, v17, s4
	ds_load_u16 v4, v4
	s_wait_dscnt 0x0
	v_cndmask_b32_e64 v21, v4, v20, s5
	v_dual_cndmask_b32 v22, v19, v4, s5 :: v_dual_cndmask_b32 v4, v10, v5, s5
	s_delay_alu instid0(VALU_DEP_1) | instskip(NEXT) | instid1(VALU_DEP_2)
	v_cmp_le_i16_e64 s0, v22, v21
	v_cmp_le_u32_e64 s1, s11, v4
	v_cndmask_b32_e64 v4, v16, v15, s3
	s_and_b32 s0, vcc_lo, s0
	s_delay_alu instid0(SALU_CYCLE_1) | instskip(NEXT) | instid1(SALU_CYCLE_1)
	s_or_b32 vcc_lo, s1, s0
	v_dual_cndmask_b32 v5, v20, v19, s5 :: v_dual_cndmask_b32 v10, v21, v22, vcc_lo
.LBB655_29:
	s_or_b32 exec_lo, exec_lo, s15
	v_lshrrev_b32_e32 v11, 1, v0
	v_or_b32_e32 v12, 0x80, v0
	v_perm_b32 v2, v7, v2, 0x5040100
	v_lshrrev_b32_e32 v7, 4, v0
	v_perm_b32 v3, v9, v3, 0x5040100
	s_delay_alu instid0(VALU_DEP_4) | instskip(SKIP_2) | instid1(VALU_DEP_3)
	v_dual_lshrrev_b32 v9, 4, v12 :: v_dual_bitop2_b32 v11, 60, v11 bitop3:0x40
	v_perm_b32 v4, v8, v4, 0x5040100
	v_perm_b32 v5, v10, v5, 0x5040100
	v_lshl_add_u32 v1, v1, 1, v11
	v_or_b32_e32 v11, 0x100, v0
	s_barrier_signal -1
	s_barrier_wait -1
	s_delay_alu instid0(VALU_DEP_1)
	v_dual_lshrrev_b32 v13, 4, v11 :: v_dual_bitop2_b32 v8, 12, v9 bitop3:0x40
	v_and_b32_e32 v7, 4, v7
	v_or_b32_e32 v9, 0x180, v0
	s_barrier_signal -1
	s_barrier_wait -1
	v_and_b32_e32 v14, 20, v13
	ds_store_2addr_b32 v1, v2, v3 offset1:1
	ds_store_2addr_b32 v1, v4, v5 offset0:2 offset1:3
	v_dual_add_nc_u32 v13, v8, v6 :: v_dual_add_nc_u32 v10, v7, v6
	v_dual_lshrrev_b32 v1, 4, v9 :: v_dual_add_nc_u32 v14, v14, v6
	v_or_b32_e32 v8, 0x200, v0
	v_or_b32_e32 v5, 0x280, v0
	;; [unrolled: 1-line block ×3, first 2 shown]
	s_delay_alu instid0(VALU_DEP_4) | instskip(SKIP_1) | instid1(VALU_DEP_4)
	v_and_b32_e32 v2, 28, v1
	v_or_b32_e32 v1, 0x380, v0
	v_dual_lshrrev_b32 v3, 4, v8 :: v_dual_lshrrev_b32 v7, 4, v5
	s_delay_alu instid0(VALU_DEP_3) | instskip(NEXT) | instid1(VALU_DEP_3)
	v_dual_lshrrev_b32 v16, 4, v4 :: v_dual_add_nc_u32 v15, v2, v6
	v_lshrrev_b32_e32 v2, 4, v1
	s_mov_b32 s11, 0
	s_delay_alu instid0(VALU_DEP_3)
	v_and_b32_e32 v3, 36, v3
	v_dual_mov_b32 v7, 0 :: v_dual_bitop2_b32 v17, 44, v7 bitop3:0x40
	s_lshl_b64 s[0:1], s[10:11], 1
	v_and_b32_e32 v18, 52, v16
	v_and_b32_e32 v19, 60, v2
	s_wait_kmcnt 0x0
	s_add_nc_u64 s[0:1], s[12:13], s[0:1]
	v_add_nc_u32_e32 v16, v3, v6
	v_add_nc_u64_e32 v[2:3], s[0:1], v[6:7]
	v_dual_add_nc_u32 v17, v17, v6 :: v_dual_add_nc_u32 v18, v18, v6
	v_add_nc_u32_e32 v19, v19, v6
	s_and_b32 vcc_lo, exec_lo, s14
	s_wait_dscnt 0x0
	s_cbranch_vccz .LBB655_31
; %bb.30:
	s_barrier_signal -1
	s_barrier_wait -1
	ds_load_u16 v7, v10
	ds_load_u16 v20, v13 offset:256
	ds_load_u16 v21, v14 offset:512
	;; [unrolled: 1-line block ×7, first 2 shown]
	s_mov_b32 s11, -1
	s_wait_dscnt 0x7
	global_store_b16 v[2:3], v7, off
	s_wait_dscnt 0x6
	global_store_b16 v[2:3], v20, off offset:256
	s_wait_dscnt 0x5
	global_store_b16 v[2:3], v21, off offset:512
	;; [unrolled: 2-line block ×6, first 2 shown]
	s_cbranch_execz .LBB655_32
	s_branch .LBB655_41
.LBB655_31:
                                        ; implicit-def: $vgpr6
.LBB655_32:
	s_barrier_signal -1
	s_barrier_wait -1
	s_wait_storecnt_dscnt 0x0
	s_wait_xcnt 0x4
	ds_load_u16 v21, v13 offset:256
	ds_load_u16 v20, v14 offset:512
	ds_load_u16 v15, v15 offset:768
	ds_load_u16 v14, v16 offset:1024
	ds_load_u16 v13, v17 offset:1280
	ds_load_u16 v7, v18 offset:1536
	ds_load_u16 v6, v19 offset:1792
	s_sub_co_i32 s0, s8, s10
	s_mov_b32 s1, exec_lo
	s_wait_xcnt 0x0
	v_cmpx_gt_u32_e64 s0, v0
	s_cbranch_execnz .LBB655_46
; %bb.33:
	s_or_b32 exec_lo, exec_lo, s1
	s_delay_alu instid0(SALU_CYCLE_1)
	s_mov_b32 s1, exec_lo
	v_cmpx_gt_u32_e64 s0, v12
	s_cbranch_execnz .LBB655_47
.LBB655_34:
	s_or_b32 exec_lo, exec_lo, s1
	s_delay_alu instid0(SALU_CYCLE_1)
	s_mov_b32 s1, exec_lo
	v_cmpx_gt_u32_e64 s0, v11
	s_cbranch_execnz .LBB655_48
.LBB655_35:
	s_or_b32 exec_lo, exec_lo, s1
	s_delay_alu instid0(SALU_CYCLE_1)
	s_mov_b32 s1, exec_lo
	v_cmpx_gt_u32_e64 s0, v9
	s_cbranch_execnz .LBB655_49
.LBB655_36:
	s_or_b32 exec_lo, exec_lo, s1
	s_delay_alu instid0(SALU_CYCLE_1)
	s_mov_b32 s1, exec_lo
	v_cmpx_gt_u32_e64 s0, v8
	s_cbranch_execnz .LBB655_50
.LBB655_37:
	s_or_b32 exec_lo, exec_lo, s1
	s_delay_alu instid0(SALU_CYCLE_1)
	s_mov_b32 s1, exec_lo
	v_cmpx_gt_u32_e64 s0, v5
	s_cbranch_execnz .LBB655_51
.LBB655_38:
	s_or_b32 exec_lo, exec_lo, s1
	s_delay_alu instid0(SALU_CYCLE_1)
	s_mov_b32 s1, exec_lo
	v_cmpx_gt_u32_e64 s0, v4
	s_cbranch_execz .LBB655_40
.LBB655_39:
	s_wait_dscnt 0x1
	global_store_b16 v[2:3], v7, off offset:1536
.LBB655_40:
	s_wait_xcnt 0x0
	s_or_b32 exec_lo, exec_lo, s1
	v_cmp_gt_u32_e64 s11, s0, v1
.LBB655_41:
	s_wait_xcnt 0x0
	s_delay_alu instid0(VALU_DEP_1)
	s_and_saveexec_b32 s0, s11
	s_cbranch_execz .LBB655_43
; %bb.42:
	s_wait_dscnt 0x0
	global_store_b16 v[2:3], v6, off offset:1792
.LBB655_43:
	s_endpgm
.LBB655_44:
	v_dual_mov_b32 v7, v2 :: v_dual_mov_b32 v5, v2
	v_sub_co_u32 v4, vcc_lo, v0, s9
	v_mov_b32_e32 v15, v2
	s_delay_alu instid0(VALU_DEP_3) | instskip(SKIP_1) | instid1(VALU_DEP_4)
	v_add_nc_u64_e32 v[12:13], s[12:13], v[6:7]
	v_mov_b32_e32 v14, v2
	v_lshl_add_u64 v[4:5], v[4:5], 1, s[6:7]
	s_delay_alu instid0(VALU_DEP_1) | instskip(SKIP_4) | instid1(VALU_DEP_1)
	v_dual_cndmask_b32 v5, v5, v13 :: v_dual_cndmask_b32 v4, v4, v12
	v_mov_b32_e32 v13, v2
	global_load_u16 v3, v[4:5], off
	s_wait_loadcnt 0x0
	v_and_b32_e32 v12, 0xffff, v3
	v_mov_b64_e32 v[2:3], v[12:13]
	v_mov_b64_e32 v[4:5], v[14:15]
	s_or_b32 exec_lo, exec_lo, s2
	s_delay_alu instid0(SALU_CYCLE_1)
	s_mov_b32 s2, exec_lo
	v_cmpx_gt_u32_e64 s11, v10
	s_cbranch_execz .LBB655_6
.LBB655_45:
	v_mov_b32_e32 v11, 0
	s_delay_alu instid0(VALU_DEP_1) | instskip(SKIP_1) | instid1(VALU_DEP_1)
	v_lshl_add_u64 v[12:13], v[10:11], 1, s[12:13]
	v_sub_co_u32 v10, vcc_lo, v10, s9
	v_lshl_add_u64 v[10:11], v[10:11], 1, s[6:7]
	s_delay_alu instid0(VALU_DEP_1) | instskip(SKIP_4) | instid1(SALU_CYCLE_1)
	v_dual_cndmask_b32 v11, v11, v13 :: v_dual_cndmask_b32 v10, v10, v12
	global_load_u16 v7, v[10:11], off
	s_wait_loadcnt 0x0
	v_perm_b32 v2, v7, v2, 0x5040100
	s_or_b32 exec_lo, exec_lo, s2
	s_mov_b32 s2, exec_lo
	v_cmpx_gt_u32_e64 s11, v8
	s_cbranch_execnz .LBB655_7
	s_branch .LBB655_8
.LBB655_46:
	ds_load_u16 v0, v10
	s_wait_dscnt 0x0
	global_store_b16 v[2:3], v0, off
	s_wait_xcnt 0x0
	s_or_b32 exec_lo, exec_lo, s1
	s_delay_alu instid0(SALU_CYCLE_1)
	s_mov_b32 s1, exec_lo
	v_cmpx_gt_u32_e64 s0, v12
	s_cbranch_execz .LBB655_34
.LBB655_47:
	s_wait_dscnt 0x6
	global_store_b16 v[2:3], v21, off offset:256
	s_wait_xcnt 0x0
	s_or_b32 exec_lo, exec_lo, s1
	s_delay_alu instid0(SALU_CYCLE_1)
	s_mov_b32 s1, exec_lo
	v_cmpx_gt_u32_e64 s0, v11
	s_cbranch_execz .LBB655_35
.LBB655_48:
	s_wait_dscnt 0x5
	global_store_b16 v[2:3], v20, off offset:512
	s_wait_xcnt 0x0
	s_or_b32 exec_lo, exec_lo, s1
	s_delay_alu instid0(SALU_CYCLE_1)
	s_mov_b32 s1, exec_lo
	v_cmpx_gt_u32_e64 s0, v9
	s_cbranch_execz .LBB655_36
.LBB655_49:
	s_wait_dscnt 0x4
	global_store_b16 v[2:3], v15, off offset:768
	s_wait_xcnt 0x0
	s_or_b32 exec_lo, exec_lo, s1
	s_delay_alu instid0(SALU_CYCLE_1)
	s_mov_b32 s1, exec_lo
	v_cmpx_gt_u32_e64 s0, v8
	s_cbranch_execz .LBB655_37
.LBB655_50:
	s_wait_dscnt 0x3
	global_store_b16 v[2:3], v14, off offset:1024
	s_wait_xcnt 0x0
	s_or_b32 exec_lo, exec_lo, s1
	s_delay_alu instid0(SALU_CYCLE_1)
	s_mov_b32 s1, exec_lo
	v_cmpx_gt_u32_e64 s0, v5
	s_cbranch_execz .LBB655_38
.LBB655_51:
	s_wait_dscnt 0x2
	global_store_b16 v[2:3], v13, off offset:1280
	s_wait_xcnt 0x0
	s_or_b32 exec_lo, exec_lo, s1
	s_delay_alu instid0(SALU_CYCLE_1)
	s_mov_b32 s1, exec_lo
	v_cmpx_gt_u32_e64 s0, v4
	s_cbranch_execnz .LBB655_39
	s_branch .LBB655_40
	.section	.rodata,"a",@progbits
	.p2align	6, 0x0
	.amdhsa_kernel _ZN7rocprim17ROCPRIM_400000_NS6detail17trampoline_kernelINS0_14default_configENS1_38merge_sort_block_merge_config_selectorIsNS0_10empty_typeEEEZZNS1_27merge_sort_block_merge_implIS3_PsPS5_jNS1_19radix_merge_compareILb0ELb0EsNS0_19identity_decomposerEEEEE10hipError_tT0_T1_T2_jT3_P12ihipStream_tbPNSt15iterator_traitsISE_E10value_typeEPNSK_ISF_E10value_typeEPSG_NS1_7vsmem_tEENKUlT_SE_SF_SG_E_clIS8_S8_S9_S9_EESD_ST_SE_SF_SG_EUlST_E0_NS1_11comp_targetILNS1_3genE0ELNS1_11target_archE4294967295ELNS1_3gpuE0ELNS1_3repE0EEENS1_38merge_mergepath_config_static_selectorELNS0_4arch9wavefront6targetE0EEEvSF_
		.amdhsa_group_segment_fixed_size 2112
		.amdhsa_private_segment_fixed_size 0
		.amdhsa_kernarg_size 320
		.amdhsa_user_sgpr_count 2
		.amdhsa_user_sgpr_dispatch_ptr 0
		.amdhsa_user_sgpr_queue_ptr 0
		.amdhsa_user_sgpr_kernarg_segment_ptr 1
		.amdhsa_user_sgpr_dispatch_id 0
		.amdhsa_user_sgpr_kernarg_preload_length 0
		.amdhsa_user_sgpr_kernarg_preload_offset 0
		.amdhsa_user_sgpr_private_segment_size 0
		.amdhsa_wavefront_size32 1
		.amdhsa_uses_dynamic_stack 0
		.amdhsa_enable_private_segment 0
		.amdhsa_system_sgpr_workgroup_id_x 1
		.amdhsa_system_sgpr_workgroup_id_y 1
		.amdhsa_system_sgpr_workgroup_id_z 1
		.amdhsa_system_sgpr_workgroup_info 0
		.amdhsa_system_vgpr_workitem_id 0
		.amdhsa_next_free_vgpr 27
		.amdhsa_next_free_sgpr 23
		.amdhsa_named_barrier_count 0
		.amdhsa_reserve_vcc 1
		.amdhsa_float_round_mode_32 0
		.amdhsa_float_round_mode_16_64 0
		.amdhsa_float_denorm_mode_32 3
		.amdhsa_float_denorm_mode_16_64 3
		.amdhsa_fp16_overflow 0
		.amdhsa_memory_ordered 1
		.amdhsa_forward_progress 1
		.amdhsa_inst_pref_size 34
		.amdhsa_round_robin_scheduling 0
		.amdhsa_exception_fp_ieee_invalid_op 0
		.amdhsa_exception_fp_denorm_src 0
		.amdhsa_exception_fp_ieee_div_zero 0
		.amdhsa_exception_fp_ieee_overflow 0
		.amdhsa_exception_fp_ieee_underflow 0
		.amdhsa_exception_fp_ieee_inexact 0
		.amdhsa_exception_int_div_zero 0
	.end_amdhsa_kernel
	.section	.text._ZN7rocprim17ROCPRIM_400000_NS6detail17trampoline_kernelINS0_14default_configENS1_38merge_sort_block_merge_config_selectorIsNS0_10empty_typeEEEZZNS1_27merge_sort_block_merge_implIS3_PsPS5_jNS1_19radix_merge_compareILb0ELb0EsNS0_19identity_decomposerEEEEE10hipError_tT0_T1_T2_jT3_P12ihipStream_tbPNSt15iterator_traitsISE_E10value_typeEPNSK_ISF_E10value_typeEPSG_NS1_7vsmem_tEENKUlT_SE_SF_SG_E_clIS8_S8_S9_S9_EESD_ST_SE_SF_SG_EUlST_E0_NS1_11comp_targetILNS1_3genE0ELNS1_11target_archE4294967295ELNS1_3gpuE0ELNS1_3repE0EEENS1_38merge_mergepath_config_static_selectorELNS0_4arch9wavefront6targetE0EEEvSF_,"axG",@progbits,_ZN7rocprim17ROCPRIM_400000_NS6detail17trampoline_kernelINS0_14default_configENS1_38merge_sort_block_merge_config_selectorIsNS0_10empty_typeEEEZZNS1_27merge_sort_block_merge_implIS3_PsPS5_jNS1_19radix_merge_compareILb0ELb0EsNS0_19identity_decomposerEEEEE10hipError_tT0_T1_T2_jT3_P12ihipStream_tbPNSt15iterator_traitsISE_E10value_typeEPNSK_ISF_E10value_typeEPSG_NS1_7vsmem_tEENKUlT_SE_SF_SG_E_clIS8_S8_S9_S9_EESD_ST_SE_SF_SG_EUlST_E0_NS1_11comp_targetILNS1_3genE0ELNS1_11target_archE4294967295ELNS1_3gpuE0ELNS1_3repE0EEENS1_38merge_mergepath_config_static_selectorELNS0_4arch9wavefront6targetE0EEEvSF_,comdat
.Lfunc_end655:
	.size	_ZN7rocprim17ROCPRIM_400000_NS6detail17trampoline_kernelINS0_14default_configENS1_38merge_sort_block_merge_config_selectorIsNS0_10empty_typeEEEZZNS1_27merge_sort_block_merge_implIS3_PsPS5_jNS1_19radix_merge_compareILb0ELb0EsNS0_19identity_decomposerEEEEE10hipError_tT0_T1_T2_jT3_P12ihipStream_tbPNSt15iterator_traitsISE_E10value_typeEPNSK_ISF_E10value_typeEPSG_NS1_7vsmem_tEENKUlT_SE_SF_SG_E_clIS8_S8_S9_S9_EESD_ST_SE_SF_SG_EUlST_E0_NS1_11comp_targetILNS1_3genE0ELNS1_11target_archE4294967295ELNS1_3gpuE0ELNS1_3repE0EEENS1_38merge_mergepath_config_static_selectorELNS0_4arch9wavefront6targetE0EEEvSF_, .Lfunc_end655-_ZN7rocprim17ROCPRIM_400000_NS6detail17trampoline_kernelINS0_14default_configENS1_38merge_sort_block_merge_config_selectorIsNS0_10empty_typeEEEZZNS1_27merge_sort_block_merge_implIS3_PsPS5_jNS1_19radix_merge_compareILb0ELb0EsNS0_19identity_decomposerEEEEE10hipError_tT0_T1_T2_jT3_P12ihipStream_tbPNSt15iterator_traitsISE_E10value_typeEPNSK_ISF_E10value_typeEPSG_NS1_7vsmem_tEENKUlT_SE_SF_SG_E_clIS8_S8_S9_S9_EESD_ST_SE_SF_SG_EUlST_E0_NS1_11comp_targetILNS1_3genE0ELNS1_11target_archE4294967295ELNS1_3gpuE0ELNS1_3repE0EEENS1_38merge_mergepath_config_static_selectorELNS0_4arch9wavefront6targetE0EEEvSF_
                                        ; -- End function
	.set _ZN7rocprim17ROCPRIM_400000_NS6detail17trampoline_kernelINS0_14default_configENS1_38merge_sort_block_merge_config_selectorIsNS0_10empty_typeEEEZZNS1_27merge_sort_block_merge_implIS3_PsPS5_jNS1_19radix_merge_compareILb0ELb0EsNS0_19identity_decomposerEEEEE10hipError_tT0_T1_T2_jT3_P12ihipStream_tbPNSt15iterator_traitsISE_E10value_typeEPNSK_ISF_E10value_typeEPSG_NS1_7vsmem_tEENKUlT_SE_SF_SG_E_clIS8_S8_S9_S9_EESD_ST_SE_SF_SG_EUlST_E0_NS1_11comp_targetILNS1_3genE0ELNS1_11target_archE4294967295ELNS1_3gpuE0ELNS1_3repE0EEENS1_38merge_mergepath_config_static_selectorELNS0_4arch9wavefront6targetE0EEEvSF_.num_vgpr, 27
	.set _ZN7rocprim17ROCPRIM_400000_NS6detail17trampoline_kernelINS0_14default_configENS1_38merge_sort_block_merge_config_selectorIsNS0_10empty_typeEEEZZNS1_27merge_sort_block_merge_implIS3_PsPS5_jNS1_19radix_merge_compareILb0ELb0EsNS0_19identity_decomposerEEEEE10hipError_tT0_T1_T2_jT3_P12ihipStream_tbPNSt15iterator_traitsISE_E10value_typeEPNSK_ISF_E10value_typeEPSG_NS1_7vsmem_tEENKUlT_SE_SF_SG_E_clIS8_S8_S9_S9_EESD_ST_SE_SF_SG_EUlST_E0_NS1_11comp_targetILNS1_3genE0ELNS1_11target_archE4294967295ELNS1_3gpuE0ELNS1_3repE0EEENS1_38merge_mergepath_config_static_selectorELNS0_4arch9wavefront6targetE0EEEvSF_.num_agpr, 0
	.set _ZN7rocprim17ROCPRIM_400000_NS6detail17trampoline_kernelINS0_14default_configENS1_38merge_sort_block_merge_config_selectorIsNS0_10empty_typeEEEZZNS1_27merge_sort_block_merge_implIS3_PsPS5_jNS1_19radix_merge_compareILb0ELb0EsNS0_19identity_decomposerEEEEE10hipError_tT0_T1_T2_jT3_P12ihipStream_tbPNSt15iterator_traitsISE_E10value_typeEPNSK_ISF_E10value_typeEPSG_NS1_7vsmem_tEENKUlT_SE_SF_SG_E_clIS8_S8_S9_S9_EESD_ST_SE_SF_SG_EUlST_E0_NS1_11comp_targetILNS1_3genE0ELNS1_11target_archE4294967295ELNS1_3gpuE0ELNS1_3repE0EEENS1_38merge_mergepath_config_static_selectorELNS0_4arch9wavefront6targetE0EEEvSF_.numbered_sgpr, 23
	.set _ZN7rocprim17ROCPRIM_400000_NS6detail17trampoline_kernelINS0_14default_configENS1_38merge_sort_block_merge_config_selectorIsNS0_10empty_typeEEEZZNS1_27merge_sort_block_merge_implIS3_PsPS5_jNS1_19radix_merge_compareILb0ELb0EsNS0_19identity_decomposerEEEEE10hipError_tT0_T1_T2_jT3_P12ihipStream_tbPNSt15iterator_traitsISE_E10value_typeEPNSK_ISF_E10value_typeEPSG_NS1_7vsmem_tEENKUlT_SE_SF_SG_E_clIS8_S8_S9_S9_EESD_ST_SE_SF_SG_EUlST_E0_NS1_11comp_targetILNS1_3genE0ELNS1_11target_archE4294967295ELNS1_3gpuE0ELNS1_3repE0EEENS1_38merge_mergepath_config_static_selectorELNS0_4arch9wavefront6targetE0EEEvSF_.num_named_barrier, 0
	.set _ZN7rocprim17ROCPRIM_400000_NS6detail17trampoline_kernelINS0_14default_configENS1_38merge_sort_block_merge_config_selectorIsNS0_10empty_typeEEEZZNS1_27merge_sort_block_merge_implIS3_PsPS5_jNS1_19radix_merge_compareILb0ELb0EsNS0_19identity_decomposerEEEEE10hipError_tT0_T1_T2_jT3_P12ihipStream_tbPNSt15iterator_traitsISE_E10value_typeEPNSK_ISF_E10value_typeEPSG_NS1_7vsmem_tEENKUlT_SE_SF_SG_E_clIS8_S8_S9_S9_EESD_ST_SE_SF_SG_EUlST_E0_NS1_11comp_targetILNS1_3genE0ELNS1_11target_archE4294967295ELNS1_3gpuE0ELNS1_3repE0EEENS1_38merge_mergepath_config_static_selectorELNS0_4arch9wavefront6targetE0EEEvSF_.private_seg_size, 0
	.set _ZN7rocprim17ROCPRIM_400000_NS6detail17trampoline_kernelINS0_14default_configENS1_38merge_sort_block_merge_config_selectorIsNS0_10empty_typeEEEZZNS1_27merge_sort_block_merge_implIS3_PsPS5_jNS1_19radix_merge_compareILb0ELb0EsNS0_19identity_decomposerEEEEE10hipError_tT0_T1_T2_jT3_P12ihipStream_tbPNSt15iterator_traitsISE_E10value_typeEPNSK_ISF_E10value_typeEPSG_NS1_7vsmem_tEENKUlT_SE_SF_SG_E_clIS8_S8_S9_S9_EESD_ST_SE_SF_SG_EUlST_E0_NS1_11comp_targetILNS1_3genE0ELNS1_11target_archE4294967295ELNS1_3gpuE0ELNS1_3repE0EEENS1_38merge_mergepath_config_static_selectorELNS0_4arch9wavefront6targetE0EEEvSF_.uses_vcc, 1
	.set _ZN7rocprim17ROCPRIM_400000_NS6detail17trampoline_kernelINS0_14default_configENS1_38merge_sort_block_merge_config_selectorIsNS0_10empty_typeEEEZZNS1_27merge_sort_block_merge_implIS3_PsPS5_jNS1_19radix_merge_compareILb0ELb0EsNS0_19identity_decomposerEEEEE10hipError_tT0_T1_T2_jT3_P12ihipStream_tbPNSt15iterator_traitsISE_E10value_typeEPNSK_ISF_E10value_typeEPSG_NS1_7vsmem_tEENKUlT_SE_SF_SG_E_clIS8_S8_S9_S9_EESD_ST_SE_SF_SG_EUlST_E0_NS1_11comp_targetILNS1_3genE0ELNS1_11target_archE4294967295ELNS1_3gpuE0ELNS1_3repE0EEENS1_38merge_mergepath_config_static_selectorELNS0_4arch9wavefront6targetE0EEEvSF_.uses_flat_scratch, 0
	.set _ZN7rocprim17ROCPRIM_400000_NS6detail17trampoline_kernelINS0_14default_configENS1_38merge_sort_block_merge_config_selectorIsNS0_10empty_typeEEEZZNS1_27merge_sort_block_merge_implIS3_PsPS5_jNS1_19radix_merge_compareILb0ELb0EsNS0_19identity_decomposerEEEEE10hipError_tT0_T1_T2_jT3_P12ihipStream_tbPNSt15iterator_traitsISE_E10value_typeEPNSK_ISF_E10value_typeEPSG_NS1_7vsmem_tEENKUlT_SE_SF_SG_E_clIS8_S8_S9_S9_EESD_ST_SE_SF_SG_EUlST_E0_NS1_11comp_targetILNS1_3genE0ELNS1_11target_archE4294967295ELNS1_3gpuE0ELNS1_3repE0EEENS1_38merge_mergepath_config_static_selectorELNS0_4arch9wavefront6targetE0EEEvSF_.has_dyn_sized_stack, 0
	.set _ZN7rocprim17ROCPRIM_400000_NS6detail17trampoline_kernelINS0_14default_configENS1_38merge_sort_block_merge_config_selectorIsNS0_10empty_typeEEEZZNS1_27merge_sort_block_merge_implIS3_PsPS5_jNS1_19radix_merge_compareILb0ELb0EsNS0_19identity_decomposerEEEEE10hipError_tT0_T1_T2_jT3_P12ihipStream_tbPNSt15iterator_traitsISE_E10value_typeEPNSK_ISF_E10value_typeEPSG_NS1_7vsmem_tEENKUlT_SE_SF_SG_E_clIS8_S8_S9_S9_EESD_ST_SE_SF_SG_EUlST_E0_NS1_11comp_targetILNS1_3genE0ELNS1_11target_archE4294967295ELNS1_3gpuE0ELNS1_3repE0EEENS1_38merge_mergepath_config_static_selectorELNS0_4arch9wavefront6targetE0EEEvSF_.has_recursion, 0
	.set _ZN7rocprim17ROCPRIM_400000_NS6detail17trampoline_kernelINS0_14default_configENS1_38merge_sort_block_merge_config_selectorIsNS0_10empty_typeEEEZZNS1_27merge_sort_block_merge_implIS3_PsPS5_jNS1_19radix_merge_compareILb0ELb0EsNS0_19identity_decomposerEEEEE10hipError_tT0_T1_T2_jT3_P12ihipStream_tbPNSt15iterator_traitsISE_E10value_typeEPNSK_ISF_E10value_typeEPSG_NS1_7vsmem_tEENKUlT_SE_SF_SG_E_clIS8_S8_S9_S9_EESD_ST_SE_SF_SG_EUlST_E0_NS1_11comp_targetILNS1_3genE0ELNS1_11target_archE4294967295ELNS1_3gpuE0ELNS1_3repE0EEENS1_38merge_mergepath_config_static_selectorELNS0_4arch9wavefront6targetE0EEEvSF_.has_indirect_call, 0
	.section	.AMDGPU.csdata,"",@progbits
; Kernel info:
; codeLenInByte = 4336
; TotalNumSgprs: 25
; NumVgprs: 27
; ScratchSize: 0
; MemoryBound: 0
; FloatMode: 240
; IeeeMode: 1
; LDSByteSize: 2112 bytes/workgroup (compile time only)
; SGPRBlocks: 0
; VGPRBlocks: 1
; NumSGPRsForWavesPerEU: 25
; NumVGPRsForWavesPerEU: 27
; NamedBarCnt: 0
; Occupancy: 16
; WaveLimiterHint : 1
; COMPUTE_PGM_RSRC2:SCRATCH_EN: 0
; COMPUTE_PGM_RSRC2:USER_SGPR: 2
; COMPUTE_PGM_RSRC2:TRAP_HANDLER: 0
; COMPUTE_PGM_RSRC2:TGID_X_EN: 1
; COMPUTE_PGM_RSRC2:TGID_Y_EN: 1
; COMPUTE_PGM_RSRC2:TGID_Z_EN: 1
; COMPUTE_PGM_RSRC2:TIDIG_COMP_CNT: 0
	.section	.text._ZN7rocprim17ROCPRIM_400000_NS6detail17trampoline_kernelINS0_14default_configENS1_38merge_sort_block_merge_config_selectorIsNS0_10empty_typeEEEZZNS1_27merge_sort_block_merge_implIS3_PsPS5_jNS1_19radix_merge_compareILb0ELb0EsNS0_19identity_decomposerEEEEE10hipError_tT0_T1_T2_jT3_P12ihipStream_tbPNSt15iterator_traitsISE_E10value_typeEPNSK_ISF_E10value_typeEPSG_NS1_7vsmem_tEENKUlT_SE_SF_SG_E_clIS8_S8_S9_S9_EESD_ST_SE_SF_SG_EUlST_E0_NS1_11comp_targetILNS1_3genE10ELNS1_11target_archE1201ELNS1_3gpuE5ELNS1_3repE0EEENS1_38merge_mergepath_config_static_selectorELNS0_4arch9wavefront6targetE0EEEvSF_,"axG",@progbits,_ZN7rocprim17ROCPRIM_400000_NS6detail17trampoline_kernelINS0_14default_configENS1_38merge_sort_block_merge_config_selectorIsNS0_10empty_typeEEEZZNS1_27merge_sort_block_merge_implIS3_PsPS5_jNS1_19radix_merge_compareILb0ELb0EsNS0_19identity_decomposerEEEEE10hipError_tT0_T1_T2_jT3_P12ihipStream_tbPNSt15iterator_traitsISE_E10value_typeEPNSK_ISF_E10value_typeEPSG_NS1_7vsmem_tEENKUlT_SE_SF_SG_E_clIS8_S8_S9_S9_EESD_ST_SE_SF_SG_EUlST_E0_NS1_11comp_targetILNS1_3genE10ELNS1_11target_archE1201ELNS1_3gpuE5ELNS1_3repE0EEENS1_38merge_mergepath_config_static_selectorELNS0_4arch9wavefront6targetE0EEEvSF_,comdat
	.protected	_ZN7rocprim17ROCPRIM_400000_NS6detail17trampoline_kernelINS0_14default_configENS1_38merge_sort_block_merge_config_selectorIsNS0_10empty_typeEEEZZNS1_27merge_sort_block_merge_implIS3_PsPS5_jNS1_19radix_merge_compareILb0ELb0EsNS0_19identity_decomposerEEEEE10hipError_tT0_T1_T2_jT3_P12ihipStream_tbPNSt15iterator_traitsISE_E10value_typeEPNSK_ISF_E10value_typeEPSG_NS1_7vsmem_tEENKUlT_SE_SF_SG_E_clIS8_S8_S9_S9_EESD_ST_SE_SF_SG_EUlST_E0_NS1_11comp_targetILNS1_3genE10ELNS1_11target_archE1201ELNS1_3gpuE5ELNS1_3repE0EEENS1_38merge_mergepath_config_static_selectorELNS0_4arch9wavefront6targetE0EEEvSF_ ; -- Begin function _ZN7rocprim17ROCPRIM_400000_NS6detail17trampoline_kernelINS0_14default_configENS1_38merge_sort_block_merge_config_selectorIsNS0_10empty_typeEEEZZNS1_27merge_sort_block_merge_implIS3_PsPS5_jNS1_19radix_merge_compareILb0ELb0EsNS0_19identity_decomposerEEEEE10hipError_tT0_T1_T2_jT3_P12ihipStream_tbPNSt15iterator_traitsISE_E10value_typeEPNSK_ISF_E10value_typeEPSG_NS1_7vsmem_tEENKUlT_SE_SF_SG_E_clIS8_S8_S9_S9_EESD_ST_SE_SF_SG_EUlST_E0_NS1_11comp_targetILNS1_3genE10ELNS1_11target_archE1201ELNS1_3gpuE5ELNS1_3repE0EEENS1_38merge_mergepath_config_static_selectorELNS0_4arch9wavefront6targetE0EEEvSF_
	.globl	_ZN7rocprim17ROCPRIM_400000_NS6detail17trampoline_kernelINS0_14default_configENS1_38merge_sort_block_merge_config_selectorIsNS0_10empty_typeEEEZZNS1_27merge_sort_block_merge_implIS3_PsPS5_jNS1_19radix_merge_compareILb0ELb0EsNS0_19identity_decomposerEEEEE10hipError_tT0_T1_T2_jT3_P12ihipStream_tbPNSt15iterator_traitsISE_E10value_typeEPNSK_ISF_E10value_typeEPSG_NS1_7vsmem_tEENKUlT_SE_SF_SG_E_clIS8_S8_S9_S9_EESD_ST_SE_SF_SG_EUlST_E0_NS1_11comp_targetILNS1_3genE10ELNS1_11target_archE1201ELNS1_3gpuE5ELNS1_3repE0EEENS1_38merge_mergepath_config_static_selectorELNS0_4arch9wavefront6targetE0EEEvSF_
	.p2align	8
	.type	_ZN7rocprim17ROCPRIM_400000_NS6detail17trampoline_kernelINS0_14default_configENS1_38merge_sort_block_merge_config_selectorIsNS0_10empty_typeEEEZZNS1_27merge_sort_block_merge_implIS3_PsPS5_jNS1_19radix_merge_compareILb0ELb0EsNS0_19identity_decomposerEEEEE10hipError_tT0_T1_T2_jT3_P12ihipStream_tbPNSt15iterator_traitsISE_E10value_typeEPNSK_ISF_E10value_typeEPSG_NS1_7vsmem_tEENKUlT_SE_SF_SG_E_clIS8_S8_S9_S9_EESD_ST_SE_SF_SG_EUlST_E0_NS1_11comp_targetILNS1_3genE10ELNS1_11target_archE1201ELNS1_3gpuE5ELNS1_3repE0EEENS1_38merge_mergepath_config_static_selectorELNS0_4arch9wavefront6targetE0EEEvSF_,@function
_ZN7rocprim17ROCPRIM_400000_NS6detail17trampoline_kernelINS0_14default_configENS1_38merge_sort_block_merge_config_selectorIsNS0_10empty_typeEEEZZNS1_27merge_sort_block_merge_implIS3_PsPS5_jNS1_19radix_merge_compareILb0ELb0EsNS0_19identity_decomposerEEEEE10hipError_tT0_T1_T2_jT3_P12ihipStream_tbPNSt15iterator_traitsISE_E10value_typeEPNSK_ISF_E10value_typeEPSG_NS1_7vsmem_tEENKUlT_SE_SF_SG_E_clIS8_S8_S9_S9_EESD_ST_SE_SF_SG_EUlST_E0_NS1_11comp_targetILNS1_3genE10ELNS1_11target_archE1201ELNS1_3gpuE5ELNS1_3repE0EEENS1_38merge_mergepath_config_static_selectorELNS0_4arch9wavefront6targetE0EEEvSF_: ; @_ZN7rocprim17ROCPRIM_400000_NS6detail17trampoline_kernelINS0_14default_configENS1_38merge_sort_block_merge_config_selectorIsNS0_10empty_typeEEEZZNS1_27merge_sort_block_merge_implIS3_PsPS5_jNS1_19radix_merge_compareILb0ELb0EsNS0_19identity_decomposerEEEEE10hipError_tT0_T1_T2_jT3_P12ihipStream_tbPNSt15iterator_traitsISE_E10value_typeEPNSK_ISF_E10value_typeEPSG_NS1_7vsmem_tEENKUlT_SE_SF_SG_E_clIS8_S8_S9_S9_EESD_ST_SE_SF_SG_EUlST_E0_NS1_11comp_targetILNS1_3genE10ELNS1_11target_archE1201ELNS1_3gpuE5ELNS1_3repE0EEENS1_38merge_mergepath_config_static_selectorELNS0_4arch9wavefront6targetE0EEEvSF_
; %bb.0:
	.section	.rodata,"a",@progbits
	.p2align	6, 0x0
	.amdhsa_kernel _ZN7rocprim17ROCPRIM_400000_NS6detail17trampoline_kernelINS0_14default_configENS1_38merge_sort_block_merge_config_selectorIsNS0_10empty_typeEEEZZNS1_27merge_sort_block_merge_implIS3_PsPS5_jNS1_19radix_merge_compareILb0ELb0EsNS0_19identity_decomposerEEEEE10hipError_tT0_T1_T2_jT3_P12ihipStream_tbPNSt15iterator_traitsISE_E10value_typeEPNSK_ISF_E10value_typeEPSG_NS1_7vsmem_tEENKUlT_SE_SF_SG_E_clIS8_S8_S9_S9_EESD_ST_SE_SF_SG_EUlST_E0_NS1_11comp_targetILNS1_3genE10ELNS1_11target_archE1201ELNS1_3gpuE5ELNS1_3repE0EEENS1_38merge_mergepath_config_static_selectorELNS0_4arch9wavefront6targetE0EEEvSF_
		.amdhsa_group_segment_fixed_size 0
		.amdhsa_private_segment_fixed_size 0
		.amdhsa_kernarg_size 64
		.amdhsa_user_sgpr_count 2
		.amdhsa_user_sgpr_dispatch_ptr 0
		.amdhsa_user_sgpr_queue_ptr 0
		.amdhsa_user_sgpr_kernarg_segment_ptr 1
		.amdhsa_user_sgpr_dispatch_id 0
		.amdhsa_user_sgpr_kernarg_preload_length 0
		.amdhsa_user_sgpr_kernarg_preload_offset 0
		.amdhsa_user_sgpr_private_segment_size 0
		.amdhsa_wavefront_size32 1
		.amdhsa_uses_dynamic_stack 0
		.amdhsa_enable_private_segment 0
		.amdhsa_system_sgpr_workgroup_id_x 1
		.amdhsa_system_sgpr_workgroup_id_y 0
		.amdhsa_system_sgpr_workgroup_id_z 0
		.amdhsa_system_sgpr_workgroup_info 0
		.amdhsa_system_vgpr_workitem_id 0
		.amdhsa_next_free_vgpr 1
		.amdhsa_next_free_sgpr 1
		.amdhsa_named_barrier_count 0
		.amdhsa_reserve_vcc 0
		.amdhsa_float_round_mode_32 0
		.amdhsa_float_round_mode_16_64 0
		.amdhsa_float_denorm_mode_32 3
		.amdhsa_float_denorm_mode_16_64 3
		.amdhsa_fp16_overflow 0
		.amdhsa_memory_ordered 1
		.amdhsa_forward_progress 1
		.amdhsa_inst_pref_size 0
		.amdhsa_round_robin_scheduling 0
		.amdhsa_exception_fp_ieee_invalid_op 0
		.amdhsa_exception_fp_denorm_src 0
		.amdhsa_exception_fp_ieee_div_zero 0
		.amdhsa_exception_fp_ieee_overflow 0
		.amdhsa_exception_fp_ieee_underflow 0
		.amdhsa_exception_fp_ieee_inexact 0
		.amdhsa_exception_int_div_zero 0
	.end_amdhsa_kernel
	.section	.text._ZN7rocprim17ROCPRIM_400000_NS6detail17trampoline_kernelINS0_14default_configENS1_38merge_sort_block_merge_config_selectorIsNS0_10empty_typeEEEZZNS1_27merge_sort_block_merge_implIS3_PsPS5_jNS1_19radix_merge_compareILb0ELb0EsNS0_19identity_decomposerEEEEE10hipError_tT0_T1_T2_jT3_P12ihipStream_tbPNSt15iterator_traitsISE_E10value_typeEPNSK_ISF_E10value_typeEPSG_NS1_7vsmem_tEENKUlT_SE_SF_SG_E_clIS8_S8_S9_S9_EESD_ST_SE_SF_SG_EUlST_E0_NS1_11comp_targetILNS1_3genE10ELNS1_11target_archE1201ELNS1_3gpuE5ELNS1_3repE0EEENS1_38merge_mergepath_config_static_selectorELNS0_4arch9wavefront6targetE0EEEvSF_,"axG",@progbits,_ZN7rocprim17ROCPRIM_400000_NS6detail17trampoline_kernelINS0_14default_configENS1_38merge_sort_block_merge_config_selectorIsNS0_10empty_typeEEEZZNS1_27merge_sort_block_merge_implIS3_PsPS5_jNS1_19radix_merge_compareILb0ELb0EsNS0_19identity_decomposerEEEEE10hipError_tT0_T1_T2_jT3_P12ihipStream_tbPNSt15iterator_traitsISE_E10value_typeEPNSK_ISF_E10value_typeEPSG_NS1_7vsmem_tEENKUlT_SE_SF_SG_E_clIS8_S8_S9_S9_EESD_ST_SE_SF_SG_EUlST_E0_NS1_11comp_targetILNS1_3genE10ELNS1_11target_archE1201ELNS1_3gpuE5ELNS1_3repE0EEENS1_38merge_mergepath_config_static_selectorELNS0_4arch9wavefront6targetE0EEEvSF_,comdat
.Lfunc_end656:
	.size	_ZN7rocprim17ROCPRIM_400000_NS6detail17trampoline_kernelINS0_14default_configENS1_38merge_sort_block_merge_config_selectorIsNS0_10empty_typeEEEZZNS1_27merge_sort_block_merge_implIS3_PsPS5_jNS1_19radix_merge_compareILb0ELb0EsNS0_19identity_decomposerEEEEE10hipError_tT0_T1_T2_jT3_P12ihipStream_tbPNSt15iterator_traitsISE_E10value_typeEPNSK_ISF_E10value_typeEPSG_NS1_7vsmem_tEENKUlT_SE_SF_SG_E_clIS8_S8_S9_S9_EESD_ST_SE_SF_SG_EUlST_E0_NS1_11comp_targetILNS1_3genE10ELNS1_11target_archE1201ELNS1_3gpuE5ELNS1_3repE0EEENS1_38merge_mergepath_config_static_selectorELNS0_4arch9wavefront6targetE0EEEvSF_, .Lfunc_end656-_ZN7rocprim17ROCPRIM_400000_NS6detail17trampoline_kernelINS0_14default_configENS1_38merge_sort_block_merge_config_selectorIsNS0_10empty_typeEEEZZNS1_27merge_sort_block_merge_implIS3_PsPS5_jNS1_19radix_merge_compareILb0ELb0EsNS0_19identity_decomposerEEEEE10hipError_tT0_T1_T2_jT3_P12ihipStream_tbPNSt15iterator_traitsISE_E10value_typeEPNSK_ISF_E10value_typeEPSG_NS1_7vsmem_tEENKUlT_SE_SF_SG_E_clIS8_S8_S9_S9_EESD_ST_SE_SF_SG_EUlST_E0_NS1_11comp_targetILNS1_3genE10ELNS1_11target_archE1201ELNS1_3gpuE5ELNS1_3repE0EEENS1_38merge_mergepath_config_static_selectorELNS0_4arch9wavefront6targetE0EEEvSF_
                                        ; -- End function
	.set _ZN7rocprim17ROCPRIM_400000_NS6detail17trampoline_kernelINS0_14default_configENS1_38merge_sort_block_merge_config_selectorIsNS0_10empty_typeEEEZZNS1_27merge_sort_block_merge_implIS3_PsPS5_jNS1_19radix_merge_compareILb0ELb0EsNS0_19identity_decomposerEEEEE10hipError_tT0_T1_T2_jT3_P12ihipStream_tbPNSt15iterator_traitsISE_E10value_typeEPNSK_ISF_E10value_typeEPSG_NS1_7vsmem_tEENKUlT_SE_SF_SG_E_clIS8_S8_S9_S9_EESD_ST_SE_SF_SG_EUlST_E0_NS1_11comp_targetILNS1_3genE10ELNS1_11target_archE1201ELNS1_3gpuE5ELNS1_3repE0EEENS1_38merge_mergepath_config_static_selectorELNS0_4arch9wavefront6targetE0EEEvSF_.num_vgpr, 0
	.set _ZN7rocprim17ROCPRIM_400000_NS6detail17trampoline_kernelINS0_14default_configENS1_38merge_sort_block_merge_config_selectorIsNS0_10empty_typeEEEZZNS1_27merge_sort_block_merge_implIS3_PsPS5_jNS1_19radix_merge_compareILb0ELb0EsNS0_19identity_decomposerEEEEE10hipError_tT0_T1_T2_jT3_P12ihipStream_tbPNSt15iterator_traitsISE_E10value_typeEPNSK_ISF_E10value_typeEPSG_NS1_7vsmem_tEENKUlT_SE_SF_SG_E_clIS8_S8_S9_S9_EESD_ST_SE_SF_SG_EUlST_E0_NS1_11comp_targetILNS1_3genE10ELNS1_11target_archE1201ELNS1_3gpuE5ELNS1_3repE0EEENS1_38merge_mergepath_config_static_selectorELNS0_4arch9wavefront6targetE0EEEvSF_.num_agpr, 0
	.set _ZN7rocprim17ROCPRIM_400000_NS6detail17trampoline_kernelINS0_14default_configENS1_38merge_sort_block_merge_config_selectorIsNS0_10empty_typeEEEZZNS1_27merge_sort_block_merge_implIS3_PsPS5_jNS1_19radix_merge_compareILb0ELb0EsNS0_19identity_decomposerEEEEE10hipError_tT0_T1_T2_jT3_P12ihipStream_tbPNSt15iterator_traitsISE_E10value_typeEPNSK_ISF_E10value_typeEPSG_NS1_7vsmem_tEENKUlT_SE_SF_SG_E_clIS8_S8_S9_S9_EESD_ST_SE_SF_SG_EUlST_E0_NS1_11comp_targetILNS1_3genE10ELNS1_11target_archE1201ELNS1_3gpuE5ELNS1_3repE0EEENS1_38merge_mergepath_config_static_selectorELNS0_4arch9wavefront6targetE0EEEvSF_.numbered_sgpr, 0
	.set _ZN7rocprim17ROCPRIM_400000_NS6detail17trampoline_kernelINS0_14default_configENS1_38merge_sort_block_merge_config_selectorIsNS0_10empty_typeEEEZZNS1_27merge_sort_block_merge_implIS3_PsPS5_jNS1_19radix_merge_compareILb0ELb0EsNS0_19identity_decomposerEEEEE10hipError_tT0_T1_T2_jT3_P12ihipStream_tbPNSt15iterator_traitsISE_E10value_typeEPNSK_ISF_E10value_typeEPSG_NS1_7vsmem_tEENKUlT_SE_SF_SG_E_clIS8_S8_S9_S9_EESD_ST_SE_SF_SG_EUlST_E0_NS1_11comp_targetILNS1_3genE10ELNS1_11target_archE1201ELNS1_3gpuE5ELNS1_3repE0EEENS1_38merge_mergepath_config_static_selectorELNS0_4arch9wavefront6targetE0EEEvSF_.num_named_barrier, 0
	.set _ZN7rocprim17ROCPRIM_400000_NS6detail17trampoline_kernelINS0_14default_configENS1_38merge_sort_block_merge_config_selectorIsNS0_10empty_typeEEEZZNS1_27merge_sort_block_merge_implIS3_PsPS5_jNS1_19radix_merge_compareILb0ELb0EsNS0_19identity_decomposerEEEEE10hipError_tT0_T1_T2_jT3_P12ihipStream_tbPNSt15iterator_traitsISE_E10value_typeEPNSK_ISF_E10value_typeEPSG_NS1_7vsmem_tEENKUlT_SE_SF_SG_E_clIS8_S8_S9_S9_EESD_ST_SE_SF_SG_EUlST_E0_NS1_11comp_targetILNS1_3genE10ELNS1_11target_archE1201ELNS1_3gpuE5ELNS1_3repE0EEENS1_38merge_mergepath_config_static_selectorELNS0_4arch9wavefront6targetE0EEEvSF_.private_seg_size, 0
	.set _ZN7rocprim17ROCPRIM_400000_NS6detail17trampoline_kernelINS0_14default_configENS1_38merge_sort_block_merge_config_selectorIsNS0_10empty_typeEEEZZNS1_27merge_sort_block_merge_implIS3_PsPS5_jNS1_19radix_merge_compareILb0ELb0EsNS0_19identity_decomposerEEEEE10hipError_tT0_T1_T2_jT3_P12ihipStream_tbPNSt15iterator_traitsISE_E10value_typeEPNSK_ISF_E10value_typeEPSG_NS1_7vsmem_tEENKUlT_SE_SF_SG_E_clIS8_S8_S9_S9_EESD_ST_SE_SF_SG_EUlST_E0_NS1_11comp_targetILNS1_3genE10ELNS1_11target_archE1201ELNS1_3gpuE5ELNS1_3repE0EEENS1_38merge_mergepath_config_static_selectorELNS0_4arch9wavefront6targetE0EEEvSF_.uses_vcc, 0
	.set _ZN7rocprim17ROCPRIM_400000_NS6detail17trampoline_kernelINS0_14default_configENS1_38merge_sort_block_merge_config_selectorIsNS0_10empty_typeEEEZZNS1_27merge_sort_block_merge_implIS3_PsPS5_jNS1_19radix_merge_compareILb0ELb0EsNS0_19identity_decomposerEEEEE10hipError_tT0_T1_T2_jT3_P12ihipStream_tbPNSt15iterator_traitsISE_E10value_typeEPNSK_ISF_E10value_typeEPSG_NS1_7vsmem_tEENKUlT_SE_SF_SG_E_clIS8_S8_S9_S9_EESD_ST_SE_SF_SG_EUlST_E0_NS1_11comp_targetILNS1_3genE10ELNS1_11target_archE1201ELNS1_3gpuE5ELNS1_3repE0EEENS1_38merge_mergepath_config_static_selectorELNS0_4arch9wavefront6targetE0EEEvSF_.uses_flat_scratch, 0
	.set _ZN7rocprim17ROCPRIM_400000_NS6detail17trampoline_kernelINS0_14default_configENS1_38merge_sort_block_merge_config_selectorIsNS0_10empty_typeEEEZZNS1_27merge_sort_block_merge_implIS3_PsPS5_jNS1_19radix_merge_compareILb0ELb0EsNS0_19identity_decomposerEEEEE10hipError_tT0_T1_T2_jT3_P12ihipStream_tbPNSt15iterator_traitsISE_E10value_typeEPNSK_ISF_E10value_typeEPSG_NS1_7vsmem_tEENKUlT_SE_SF_SG_E_clIS8_S8_S9_S9_EESD_ST_SE_SF_SG_EUlST_E0_NS1_11comp_targetILNS1_3genE10ELNS1_11target_archE1201ELNS1_3gpuE5ELNS1_3repE0EEENS1_38merge_mergepath_config_static_selectorELNS0_4arch9wavefront6targetE0EEEvSF_.has_dyn_sized_stack, 0
	.set _ZN7rocprim17ROCPRIM_400000_NS6detail17trampoline_kernelINS0_14default_configENS1_38merge_sort_block_merge_config_selectorIsNS0_10empty_typeEEEZZNS1_27merge_sort_block_merge_implIS3_PsPS5_jNS1_19radix_merge_compareILb0ELb0EsNS0_19identity_decomposerEEEEE10hipError_tT0_T1_T2_jT3_P12ihipStream_tbPNSt15iterator_traitsISE_E10value_typeEPNSK_ISF_E10value_typeEPSG_NS1_7vsmem_tEENKUlT_SE_SF_SG_E_clIS8_S8_S9_S9_EESD_ST_SE_SF_SG_EUlST_E0_NS1_11comp_targetILNS1_3genE10ELNS1_11target_archE1201ELNS1_3gpuE5ELNS1_3repE0EEENS1_38merge_mergepath_config_static_selectorELNS0_4arch9wavefront6targetE0EEEvSF_.has_recursion, 0
	.set _ZN7rocprim17ROCPRIM_400000_NS6detail17trampoline_kernelINS0_14default_configENS1_38merge_sort_block_merge_config_selectorIsNS0_10empty_typeEEEZZNS1_27merge_sort_block_merge_implIS3_PsPS5_jNS1_19radix_merge_compareILb0ELb0EsNS0_19identity_decomposerEEEEE10hipError_tT0_T1_T2_jT3_P12ihipStream_tbPNSt15iterator_traitsISE_E10value_typeEPNSK_ISF_E10value_typeEPSG_NS1_7vsmem_tEENKUlT_SE_SF_SG_E_clIS8_S8_S9_S9_EESD_ST_SE_SF_SG_EUlST_E0_NS1_11comp_targetILNS1_3genE10ELNS1_11target_archE1201ELNS1_3gpuE5ELNS1_3repE0EEENS1_38merge_mergepath_config_static_selectorELNS0_4arch9wavefront6targetE0EEEvSF_.has_indirect_call, 0
	.section	.AMDGPU.csdata,"",@progbits
; Kernel info:
; codeLenInByte = 0
; TotalNumSgprs: 0
; NumVgprs: 0
; ScratchSize: 0
; MemoryBound: 0
; FloatMode: 240
; IeeeMode: 1
; LDSByteSize: 0 bytes/workgroup (compile time only)
; SGPRBlocks: 0
; VGPRBlocks: 0
; NumSGPRsForWavesPerEU: 1
; NumVGPRsForWavesPerEU: 1
; NamedBarCnt: 0
; Occupancy: 16
; WaveLimiterHint : 0
; COMPUTE_PGM_RSRC2:SCRATCH_EN: 0
; COMPUTE_PGM_RSRC2:USER_SGPR: 2
; COMPUTE_PGM_RSRC2:TRAP_HANDLER: 0
; COMPUTE_PGM_RSRC2:TGID_X_EN: 1
; COMPUTE_PGM_RSRC2:TGID_Y_EN: 0
; COMPUTE_PGM_RSRC2:TGID_Z_EN: 0
; COMPUTE_PGM_RSRC2:TIDIG_COMP_CNT: 0
	.section	.text._ZN7rocprim17ROCPRIM_400000_NS6detail17trampoline_kernelINS0_14default_configENS1_38merge_sort_block_merge_config_selectorIsNS0_10empty_typeEEEZZNS1_27merge_sort_block_merge_implIS3_PsPS5_jNS1_19radix_merge_compareILb0ELb0EsNS0_19identity_decomposerEEEEE10hipError_tT0_T1_T2_jT3_P12ihipStream_tbPNSt15iterator_traitsISE_E10value_typeEPNSK_ISF_E10value_typeEPSG_NS1_7vsmem_tEENKUlT_SE_SF_SG_E_clIS8_S8_S9_S9_EESD_ST_SE_SF_SG_EUlST_E0_NS1_11comp_targetILNS1_3genE5ELNS1_11target_archE942ELNS1_3gpuE9ELNS1_3repE0EEENS1_38merge_mergepath_config_static_selectorELNS0_4arch9wavefront6targetE0EEEvSF_,"axG",@progbits,_ZN7rocprim17ROCPRIM_400000_NS6detail17trampoline_kernelINS0_14default_configENS1_38merge_sort_block_merge_config_selectorIsNS0_10empty_typeEEEZZNS1_27merge_sort_block_merge_implIS3_PsPS5_jNS1_19radix_merge_compareILb0ELb0EsNS0_19identity_decomposerEEEEE10hipError_tT0_T1_T2_jT3_P12ihipStream_tbPNSt15iterator_traitsISE_E10value_typeEPNSK_ISF_E10value_typeEPSG_NS1_7vsmem_tEENKUlT_SE_SF_SG_E_clIS8_S8_S9_S9_EESD_ST_SE_SF_SG_EUlST_E0_NS1_11comp_targetILNS1_3genE5ELNS1_11target_archE942ELNS1_3gpuE9ELNS1_3repE0EEENS1_38merge_mergepath_config_static_selectorELNS0_4arch9wavefront6targetE0EEEvSF_,comdat
	.protected	_ZN7rocprim17ROCPRIM_400000_NS6detail17trampoline_kernelINS0_14default_configENS1_38merge_sort_block_merge_config_selectorIsNS0_10empty_typeEEEZZNS1_27merge_sort_block_merge_implIS3_PsPS5_jNS1_19radix_merge_compareILb0ELb0EsNS0_19identity_decomposerEEEEE10hipError_tT0_T1_T2_jT3_P12ihipStream_tbPNSt15iterator_traitsISE_E10value_typeEPNSK_ISF_E10value_typeEPSG_NS1_7vsmem_tEENKUlT_SE_SF_SG_E_clIS8_S8_S9_S9_EESD_ST_SE_SF_SG_EUlST_E0_NS1_11comp_targetILNS1_3genE5ELNS1_11target_archE942ELNS1_3gpuE9ELNS1_3repE0EEENS1_38merge_mergepath_config_static_selectorELNS0_4arch9wavefront6targetE0EEEvSF_ ; -- Begin function _ZN7rocprim17ROCPRIM_400000_NS6detail17trampoline_kernelINS0_14default_configENS1_38merge_sort_block_merge_config_selectorIsNS0_10empty_typeEEEZZNS1_27merge_sort_block_merge_implIS3_PsPS5_jNS1_19radix_merge_compareILb0ELb0EsNS0_19identity_decomposerEEEEE10hipError_tT0_T1_T2_jT3_P12ihipStream_tbPNSt15iterator_traitsISE_E10value_typeEPNSK_ISF_E10value_typeEPSG_NS1_7vsmem_tEENKUlT_SE_SF_SG_E_clIS8_S8_S9_S9_EESD_ST_SE_SF_SG_EUlST_E0_NS1_11comp_targetILNS1_3genE5ELNS1_11target_archE942ELNS1_3gpuE9ELNS1_3repE0EEENS1_38merge_mergepath_config_static_selectorELNS0_4arch9wavefront6targetE0EEEvSF_
	.globl	_ZN7rocprim17ROCPRIM_400000_NS6detail17trampoline_kernelINS0_14default_configENS1_38merge_sort_block_merge_config_selectorIsNS0_10empty_typeEEEZZNS1_27merge_sort_block_merge_implIS3_PsPS5_jNS1_19radix_merge_compareILb0ELb0EsNS0_19identity_decomposerEEEEE10hipError_tT0_T1_T2_jT3_P12ihipStream_tbPNSt15iterator_traitsISE_E10value_typeEPNSK_ISF_E10value_typeEPSG_NS1_7vsmem_tEENKUlT_SE_SF_SG_E_clIS8_S8_S9_S9_EESD_ST_SE_SF_SG_EUlST_E0_NS1_11comp_targetILNS1_3genE5ELNS1_11target_archE942ELNS1_3gpuE9ELNS1_3repE0EEENS1_38merge_mergepath_config_static_selectorELNS0_4arch9wavefront6targetE0EEEvSF_
	.p2align	8
	.type	_ZN7rocprim17ROCPRIM_400000_NS6detail17trampoline_kernelINS0_14default_configENS1_38merge_sort_block_merge_config_selectorIsNS0_10empty_typeEEEZZNS1_27merge_sort_block_merge_implIS3_PsPS5_jNS1_19radix_merge_compareILb0ELb0EsNS0_19identity_decomposerEEEEE10hipError_tT0_T1_T2_jT3_P12ihipStream_tbPNSt15iterator_traitsISE_E10value_typeEPNSK_ISF_E10value_typeEPSG_NS1_7vsmem_tEENKUlT_SE_SF_SG_E_clIS8_S8_S9_S9_EESD_ST_SE_SF_SG_EUlST_E0_NS1_11comp_targetILNS1_3genE5ELNS1_11target_archE942ELNS1_3gpuE9ELNS1_3repE0EEENS1_38merge_mergepath_config_static_selectorELNS0_4arch9wavefront6targetE0EEEvSF_,@function
_ZN7rocprim17ROCPRIM_400000_NS6detail17trampoline_kernelINS0_14default_configENS1_38merge_sort_block_merge_config_selectorIsNS0_10empty_typeEEEZZNS1_27merge_sort_block_merge_implIS3_PsPS5_jNS1_19radix_merge_compareILb0ELb0EsNS0_19identity_decomposerEEEEE10hipError_tT0_T1_T2_jT3_P12ihipStream_tbPNSt15iterator_traitsISE_E10value_typeEPNSK_ISF_E10value_typeEPSG_NS1_7vsmem_tEENKUlT_SE_SF_SG_E_clIS8_S8_S9_S9_EESD_ST_SE_SF_SG_EUlST_E0_NS1_11comp_targetILNS1_3genE5ELNS1_11target_archE942ELNS1_3gpuE9ELNS1_3repE0EEENS1_38merge_mergepath_config_static_selectorELNS0_4arch9wavefront6targetE0EEEvSF_: ; @_ZN7rocprim17ROCPRIM_400000_NS6detail17trampoline_kernelINS0_14default_configENS1_38merge_sort_block_merge_config_selectorIsNS0_10empty_typeEEEZZNS1_27merge_sort_block_merge_implIS3_PsPS5_jNS1_19radix_merge_compareILb0ELb0EsNS0_19identity_decomposerEEEEE10hipError_tT0_T1_T2_jT3_P12ihipStream_tbPNSt15iterator_traitsISE_E10value_typeEPNSK_ISF_E10value_typeEPSG_NS1_7vsmem_tEENKUlT_SE_SF_SG_E_clIS8_S8_S9_S9_EESD_ST_SE_SF_SG_EUlST_E0_NS1_11comp_targetILNS1_3genE5ELNS1_11target_archE942ELNS1_3gpuE9ELNS1_3repE0EEENS1_38merge_mergepath_config_static_selectorELNS0_4arch9wavefront6targetE0EEEvSF_
; %bb.0:
	.section	.rodata,"a",@progbits
	.p2align	6, 0x0
	.amdhsa_kernel _ZN7rocprim17ROCPRIM_400000_NS6detail17trampoline_kernelINS0_14default_configENS1_38merge_sort_block_merge_config_selectorIsNS0_10empty_typeEEEZZNS1_27merge_sort_block_merge_implIS3_PsPS5_jNS1_19radix_merge_compareILb0ELb0EsNS0_19identity_decomposerEEEEE10hipError_tT0_T1_T2_jT3_P12ihipStream_tbPNSt15iterator_traitsISE_E10value_typeEPNSK_ISF_E10value_typeEPSG_NS1_7vsmem_tEENKUlT_SE_SF_SG_E_clIS8_S8_S9_S9_EESD_ST_SE_SF_SG_EUlST_E0_NS1_11comp_targetILNS1_3genE5ELNS1_11target_archE942ELNS1_3gpuE9ELNS1_3repE0EEENS1_38merge_mergepath_config_static_selectorELNS0_4arch9wavefront6targetE0EEEvSF_
		.amdhsa_group_segment_fixed_size 0
		.amdhsa_private_segment_fixed_size 0
		.amdhsa_kernarg_size 64
		.amdhsa_user_sgpr_count 2
		.amdhsa_user_sgpr_dispatch_ptr 0
		.amdhsa_user_sgpr_queue_ptr 0
		.amdhsa_user_sgpr_kernarg_segment_ptr 1
		.amdhsa_user_sgpr_dispatch_id 0
		.amdhsa_user_sgpr_kernarg_preload_length 0
		.amdhsa_user_sgpr_kernarg_preload_offset 0
		.amdhsa_user_sgpr_private_segment_size 0
		.amdhsa_wavefront_size32 1
		.amdhsa_uses_dynamic_stack 0
		.amdhsa_enable_private_segment 0
		.amdhsa_system_sgpr_workgroup_id_x 1
		.amdhsa_system_sgpr_workgroup_id_y 0
		.amdhsa_system_sgpr_workgroup_id_z 0
		.amdhsa_system_sgpr_workgroup_info 0
		.amdhsa_system_vgpr_workitem_id 0
		.amdhsa_next_free_vgpr 1
		.amdhsa_next_free_sgpr 1
		.amdhsa_named_barrier_count 0
		.amdhsa_reserve_vcc 0
		.amdhsa_float_round_mode_32 0
		.amdhsa_float_round_mode_16_64 0
		.amdhsa_float_denorm_mode_32 3
		.amdhsa_float_denorm_mode_16_64 3
		.amdhsa_fp16_overflow 0
		.amdhsa_memory_ordered 1
		.amdhsa_forward_progress 1
		.amdhsa_inst_pref_size 0
		.amdhsa_round_robin_scheduling 0
		.amdhsa_exception_fp_ieee_invalid_op 0
		.amdhsa_exception_fp_denorm_src 0
		.amdhsa_exception_fp_ieee_div_zero 0
		.amdhsa_exception_fp_ieee_overflow 0
		.amdhsa_exception_fp_ieee_underflow 0
		.amdhsa_exception_fp_ieee_inexact 0
		.amdhsa_exception_int_div_zero 0
	.end_amdhsa_kernel
	.section	.text._ZN7rocprim17ROCPRIM_400000_NS6detail17trampoline_kernelINS0_14default_configENS1_38merge_sort_block_merge_config_selectorIsNS0_10empty_typeEEEZZNS1_27merge_sort_block_merge_implIS3_PsPS5_jNS1_19radix_merge_compareILb0ELb0EsNS0_19identity_decomposerEEEEE10hipError_tT0_T1_T2_jT3_P12ihipStream_tbPNSt15iterator_traitsISE_E10value_typeEPNSK_ISF_E10value_typeEPSG_NS1_7vsmem_tEENKUlT_SE_SF_SG_E_clIS8_S8_S9_S9_EESD_ST_SE_SF_SG_EUlST_E0_NS1_11comp_targetILNS1_3genE5ELNS1_11target_archE942ELNS1_3gpuE9ELNS1_3repE0EEENS1_38merge_mergepath_config_static_selectorELNS0_4arch9wavefront6targetE0EEEvSF_,"axG",@progbits,_ZN7rocprim17ROCPRIM_400000_NS6detail17trampoline_kernelINS0_14default_configENS1_38merge_sort_block_merge_config_selectorIsNS0_10empty_typeEEEZZNS1_27merge_sort_block_merge_implIS3_PsPS5_jNS1_19radix_merge_compareILb0ELb0EsNS0_19identity_decomposerEEEEE10hipError_tT0_T1_T2_jT3_P12ihipStream_tbPNSt15iterator_traitsISE_E10value_typeEPNSK_ISF_E10value_typeEPSG_NS1_7vsmem_tEENKUlT_SE_SF_SG_E_clIS8_S8_S9_S9_EESD_ST_SE_SF_SG_EUlST_E0_NS1_11comp_targetILNS1_3genE5ELNS1_11target_archE942ELNS1_3gpuE9ELNS1_3repE0EEENS1_38merge_mergepath_config_static_selectorELNS0_4arch9wavefront6targetE0EEEvSF_,comdat
.Lfunc_end657:
	.size	_ZN7rocprim17ROCPRIM_400000_NS6detail17trampoline_kernelINS0_14default_configENS1_38merge_sort_block_merge_config_selectorIsNS0_10empty_typeEEEZZNS1_27merge_sort_block_merge_implIS3_PsPS5_jNS1_19radix_merge_compareILb0ELb0EsNS0_19identity_decomposerEEEEE10hipError_tT0_T1_T2_jT3_P12ihipStream_tbPNSt15iterator_traitsISE_E10value_typeEPNSK_ISF_E10value_typeEPSG_NS1_7vsmem_tEENKUlT_SE_SF_SG_E_clIS8_S8_S9_S9_EESD_ST_SE_SF_SG_EUlST_E0_NS1_11comp_targetILNS1_3genE5ELNS1_11target_archE942ELNS1_3gpuE9ELNS1_3repE0EEENS1_38merge_mergepath_config_static_selectorELNS0_4arch9wavefront6targetE0EEEvSF_, .Lfunc_end657-_ZN7rocprim17ROCPRIM_400000_NS6detail17trampoline_kernelINS0_14default_configENS1_38merge_sort_block_merge_config_selectorIsNS0_10empty_typeEEEZZNS1_27merge_sort_block_merge_implIS3_PsPS5_jNS1_19radix_merge_compareILb0ELb0EsNS0_19identity_decomposerEEEEE10hipError_tT0_T1_T2_jT3_P12ihipStream_tbPNSt15iterator_traitsISE_E10value_typeEPNSK_ISF_E10value_typeEPSG_NS1_7vsmem_tEENKUlT_SE_SF_SG_E_clIS8_S8_S9_S9_EESD_ST_SE_SF_SG_EUlST_E0_NS1_11comp_targetILNS1_3genE5ELNS1_11target_archE942ELNS1_3gpuE9ELNS1_3repE0EEENS1_38merge_mergepath_config_static_selectorELNS0_4arch9wavefront6targetE0EEEvSF_
                                        ; -- End function
	.set _ZN7rocprim17ROCPRIM_400000_NS6detail17trampoline_kernelINS0_14default_configENS1_38merge_sort_block_merge_config_selectorIsNS0_10empty_typeEEEZZNS1_27merge_sort_block_merge_implIS3_PsPS5_jNS1_19radix_merge_compareILb0ELb0EsNS0_19identity_decomposerEEEEE10hipError_tT0_T1_T2_jT3_P12ihipStream_tbPNSt15iterator_traitsISE_E10value_typeEPNSK_ISF_E10value_typeEPSG_NS1_7vsmem_tEENKUlT_SE_SF_SG_E_clIS8_S8_S9_S9_EESD_ST_SE_SF_SG_EUlST_E0_NS1_11comp_targetILNS1_3genE5ELNS1_11target_archE942ELNS1_3gpuE9ELNS1_3repE0EEENS1_38merge_mergepath_config_static_selectorELNS0_4arch9wavefront6targetE0EEEvSF_.num_vgpr, 0
	.set _ZN7rocprim17ROCPRIM_400000_NS6detail17trampoline_kernelINS0_14default_configENS1_38merge_sort_block_merge_config_selectorIsNS0_10empty_typeEEEZZNS1_27merge_sort_block_merge_implIS3_PsPS5_jNS1_19radix_merge_compareILb0ELb0EsNS0_19identity_decomposerEEEEE10hipError_tT0_T1_T2_jT3_P12ihipStream_tbPNSt15iterator_traitsISE_E10value_typeEPNSK_ISF_E10value_typeEPSG_NS1_7vsmem_tEENKUlT_SE_SF_SG_E_clIS8_S8_S9_S9_EESD_ST_SE_SF_SG_EUlST_E0_NS1_11comp_targetILNS1_3genE5ELNS1_11target_archE942ELNS1_3gpuE9ELNS1_3repE0EEENS1_38merge_mergepath_config_static_selectorELNS0_4arch9wavefront6targetE0EEEvSF_.num_agpr, 0
	.set _ZN7rocprim17ROCPRIM_400000_NS6detail17trampoline_kernelINS0_14default_configENS1_38merge_sort_block_merge_config_selectorIsNS0_10empty_typeEEEZZNS1_27merge_sort_block_merge_implIS3_PsPS5_jNS1_19radix_merge_compareILb0ELb0EsNS0_19identity_decomposerEEEEE10hipError_tT0_T1_T2_jT3_P12ihipStream_tbPNSt15iterator_traitsISE_E10value_typeEPNSK_ISF_E10value_typeEPSG_NS1_7vsmem_tEENKUlT_SE_SF_SG_E_clIS8_S8_S9_S9_EESD_ST_SE_SF_SG_EUlST_E0_NS1_11comp_targetILNS1_3genE5ELNS1_11target_archE942ELNS1_3gpuE9ELNS1_3repE0EEENS1_38merge_mergepath_config_static_selectorELNS0_4arch9wavefront6targetE0EEEvSF_.numbered_sgpr, 0
	.set _ZN7rocprim17ROCPRIM_400000_NS6detail17trampoline_kernelINS0_14default_configENS1_38merge_sort_block_merge_config_selectorIsNS0_10empty_typeEEEZZNS1_27merge_sort_block_merge_implIS3_PsPS5_jNS1_19radix_merge_compareILb0ELb0EsNS0_19identity_decomposerEEEEE10hipError_tT0_T1_T2_jT3_P12ihipStream_tbPNSt15iterator_traitsISE_E10value_typeEPNSK_ISF_E10value_typeEPSG_NS1_7vsmem_tEENKUlT_SE_SF_SG_E_clIS8_S8_S9_S9_EESD_ST_SE_SF_SG_EUlST_E0_NS1_11comp_targetILNS1_3genE5ELNS1_11target_archE942ELNS1_3gpuE9ELNS1_3repE0EEENS1_38merge_mergepath_config_static_selectorELNS0_4arch9wavefront6targetE0EEEvSF_.num_named_barrier, 0
	.set _ZN7rocprim17ROCPRIM_400000_NS6detail17trampoline_kernelINS0_14default_configENS1_38merge_sort_block_merge_config_selectorIsNS0_10empty_typeEEEZZNS1_27merge_sort_block_merge_implIS3_PsPS5_jNS1_19radix_merge_compareILb0ELb0EsNS0_19identity_decomposerEEEEE10hipError_tT0_T1_T2_jT3_P12ihipStream_tbPNSt15iterator_traitsISE_E10value_typeEPNSK_ISF_E10value_typeEPSG_NS1_7vsmem_tEENKUlT_SE_SF_SG_E_clIS8_S8_S9_S9_EESD_ST_SE_SF_SG_EUlST_E0_NS1_11comp_targetILNS1_3genE5ELNS1_11target_archE942ELNS1_3gpuE9ELNS1_3repE0EEENS1_38merge_mergepath_config_static_selectorELNS0_4arch9wavefront6targetE0EEEvSF_.private_seg_size, 0
	.set _ZN7rocprim17ROCPRIM_400000_NS6detail17trampoline_kernelINS0_14default_configENS1_38merge_sort_block_merge_config_selectorIsNS0_10empty_typeEEEZZNS1_27merge_sort_block_merge_implIS3_PsPS5_jNS1_19radix_merge_compareILb0ELb0EsNS0_19identity_decomposerEEEEE10hipError_tT0_T1_T2_jT3_P12ihipStream_tbPNSt15iterator_traitsISE_E10value_typeEPNSK_ISF_E10value_typeEPSG_NS1_7vsmem_tEENKUlT_SE_SF_SG_E_clIS8_S8_S9_S9_EESD_ST_SE_SF_SG_EUlST_E0_NS1_11comp_targetILNS1_3genE5ELNS1_11target_archE942ELNS1_3gpuE9ELNS1_3repE0EEENS1_38merge_mergepath_config_static_selectorELNS0_4arch9wavefront6targetE0EEEvSF_.uses_vcc, 0
	.set _ZN7rocprim17ROCPRIM_400000_NS6detail17trampoline_kernelINS0_14default_configENS1_38merge_sort_block_merge_config_selectorIsNS0_10empty_typeEEEZZNS1_27merge_sort_block_merge_implIS3_PsPS5_jNS1_19radix_merge_compareILb0ELb0EsNS0_19identity_decomposerEEEEE10hipError_tT0_T1_T2_jT3_P12ihipStream_tbPNSt15iterator_traitsISE_E10value_typeEPNSK_ISF_E10value_typeEPSG_NS1_7vsmem_tEENKUlT_SE_SF_SG_E_clIS8_S8_S9_S9_EESD_ST_SE_SF_SG_EUlST_E0_NS1_11comp_targetILNS1_3genE5ELNS1_11target_archE942ELNS1_3gpuE9ELNS1_3repE0EEENS1_38merge_mergepath_config_static_selectorELNS0_4arch9wavefront6targetE0EEEvSF_.uses_flat_scratch, 0
	.set _ZN7rocprim17ROCPRIM_400000_NS6detail17trampoline_kernelINS0_14default_configENS1_38merge_sort_block_merge_config_selectorIsNS0_10empty_typeEEEZZNS1_27merge_sort_block_merge_implIS3_PsPS5_jNS1_19radix_merge_compareILb0ELb0EsNS0_19identity_decomposerEEEEE10hipError_tT0_T1_T2_jT3_P12ihipStream_tbPNSt15iterator_traitsISE_E10value_typeEPNSK_ISF_E10value_typeEPSG_NS1_7vsmem_tEENKUlT_SE_SF_SG_E_clIS8_S8_S9_S9_EESD_ST_SE_SF_SG_EUlST_E0_NS1_11comp_targetILNS1_3genE5ELNS1_11target_archE942ELNS1_3gpuE9ELNS1_3repE0EEENS1_38merge_mergepath_config_static_selectorELNS0_4arch9wavefront6targetE0EEEvSF_.has_dyn_sized_stack, 0
	.set _ZN7rocprim17ROCPRIM_400000_NS6detail17trampoline_kernelINS0_14default_configENS1_38merge_sort_block_merge_config_selectorIsNS0_10empty_typeEEEZZNS1_27merge_sort_block_merge_implIS3_PsPS5_jNS1_19radix_merge_compareILb0ELb0EsNS0_19identity_decomposerEEEEE10hipError_tT0_T1_T2_jT3_P12ihipStream_tbPNSt15iterator_traitsISE_E10value_typeEPNSK_ISF_E10value_typeEPSG_NS1_7vsmem_tEENKUlT_SE_SF_SG_E_clIS8_S8_S9_S9_EESD_ST_SE_SF_SG_EUlST_E0_NS1_11comp_targetILNS1_3genE5ELNS1_11target_archE942ELNS1_3gpuE9ELNS1_3repE0EEENS1_38merge_mergepath_config_static_selectorELNS0_4arch9wavefront6targetE0EEEvSF_.has_recursion, 0
	.set _ZN7rocprim17ROCPRIM_400000_NS6detail17trampoline_kernelINS0_14default_configENS1_38merge_sort_block_merge_config_selectorIsNS0_10empty_typeEEEZZNS1_27merge_sort_block_merge_implIS3_PsPS5_jNS1_19radix_merge_compareILb0ELb0EsNS0_19identity_decomposerEEEEE10hipError_tT0_T1_T2_jT3_P12ihipStream_tbPNSt15iterator_traitsISE_E10value_typeEPNSK_ISF_E10value_typeEPSG_NS1_7vsmem_tEENKUlT_SE_SF_SG_E_clIS8_S8_S9_S9_EESD_ST_SE_SF_SG_EUlST_E0_NS1_11comp_targetILNS1_3genE5ELNS1_11target_archE942ELNS1_3gpuE9ELNS1_3repE0EEENS1_38merge_mergepath_config_static_selectorELNS0_4arch9wavefront6targetE0EEEvSF_.has_indirect_call, 0
	.section	.AMDGPU.csdata,"",@progbits
; Kernel info:
; codeLenInByte = 0
; TotalNumSgprs: 0
; NumVgprs: 0
; ScratchSize: 0
; MemoryBound: 0
; FloatMode: 240
; IeeeMode: 1
; LDSByteSize: 0 bytes/workgroup (compile time only)
; SGPRBlocks: 0
; VGPRBlocks: 0
; NumSGPRsForWavesPerEU: 1
; NumVGPRsForWavesPerEU: 1
; NamedBarCnt: 0
; Occupancy: 16
; WaveLimiterHint : 0
; COMPUTE_PGM_RSRC2:SCRATCH_EN: 0
; COMPUTE_PGM_RSRC2:USER_SGPR: 2
; COMPUTE_PGM_RSRC2:TRAP_HANDLER: 0
; COMPUTE_PGM_RSRC2:TGID_X_EN: 1
; COMPUTE_PGM_RSRC2:TGID_Y_EN: 0
; COMPUTE_PGM_RSRC2:TGID_Z_EN: 0
; COMPUTE_PGM_RSRC2:TIDIG_COMP_CNT: 0
	.section	.text._ZN7rocprim17ROCPRIM_400000_NS6detail17trampoline_kernelINS0_14default_configENS1_38merge_sort_block_merge_config_selectorIsNS0_10empty_typeEEEZZNS1_27merge_sort_block_merge_implIS3_PsPS5_jNS1_19radix_merge_compareILb0ELb0EsNS0_19identity_decomposerEEEEE10hipError_tT0_T1_T2_jT3_P12ihipStream_tbPNSt15iterator_traitsISE_E10value_typeEPNSK_ISF_E10value_typeEPSG_NS1_7vsmem_tEENKUlT_SE_SF_SG_E_clIS8_S8_S9_S9_EESD_ST_SE_SF_SG_EUlST_E0_NS1_11comp_targetILNS1_3genE4ELNS1_11target_archE910ELNS1_3gpuE8ELNS1_3repE0EEENS1_38merge_mergepath_config_static_selectorELNS0_4arch9wavefront6targetE0EEEvSF_,"axG",@progbits,_ZN7rocprim17ROCPRIM_400000_NS6detail17trampoline_kernelINS0_14default_configENS1_38merge_sort_block_merge_config_selectorIsNS0_10empty_typeEEEZZNS1_27merge_sort_block_merge_implIS3_PsPS5_jNS1_19radix_merge_compareILb0ELb0EsNS0_19identity_decomposerEEEEE10hipError_tT0_T1_T2_jT3_P12ihipStream_tbPNSt15iterator_traitsISE_E10value_typeEPNSK_ISF_E10value_typeEPSG_NS1_7vsmem_tEENKUlT_SE_SF_SG_E_clIS8_S8_S9_S9_EESD_ST_SE_SF_SG_EUlST_E0_NS1_11comp_targetILNS1_3genE4ELNS1_11target_archE910ELNS1_3gpuE8ELNS1_3repE0EEENS1_38merge_mergepath_config_static_selectorELNS0_4arch9wavefront6targetE0EEEvSF_,comdat
	.protected	_ZN7rocprim17ROCPRIM_400000_NS6detail17trampoline_kernelINS0_14default_configENS1_38merge_sort_block_merge_config_selectorIsNS0_10empty_typeEEEZZNS1_27merge_sort_block_merge_implIS3_PsPS5_jNS1_19radix_merge_compareILb0ELb0EsNS0_19identity_decomposerEEEEE10hipError_tT0_T1_T2_jT3_P12ihipStream_tbPNSt15iterator_traitsISE_E10value_typeEPNSK_ISF_E10value_typeEPSG_NS1_7vsmem_tEENKUlT_SE_SF_SG_E_clIS8_S8_S9_S9_EESD_ST_SE_SF_SG_EUlST_E0_NS1_11comp_targetILNS1_3genE4ELNS1_11target_archE910ELNS1_3gpuE8ELNS1_3repE0EEENS1_38merge_mergepath_config_static_selectorELNS0_4arch9wavefront6targetE0EEEvSF_ ; -- Begin function _ZN7rocprim17ROCPRIM_400000_NS6detail17trampoline_kernelINS0_14default_configENS1_38merge_sort_block_merge_config_selectorIsNS0_10empty_typeEEEZZNS1_27merge_sort_block_merge_implIS3_PsPS5_jNS1_19radix_merge_compareILb0ELb0EsNS0_19identity_decomposerEEEEE10hipError_tT0_T1_T2_jT3_P12ihipStream_tbPNSt15iterator_traitsISE_E10value_typeEPNSK_ISF_E10value_typeEPSG_NS1_7vsmem_tEENKUlT_SE_SF_SG_E_clIS8_S8_S9_S9_EESD_ST_SE_SF_SG_EUlST_E0_NS1_11comp_targetILNS1_3genE4ELNS1_11target_archE910ELNS1_3gpuE8ELNS1_3repE0EEENS1_38merge_mergepath_config_static_selectorELNS0_4arch9wavefront6targetE0EEEvSF_
	.globl	_ZN7rocprim17ROCPRIM_400000_NS6detail17trampoline_kernelINS0_14default_configENS1_38merge_sort_block_merge_config_selectorIsNS0_10empty_typeEEEZZNS1_27merge_sort_block_merge_implIS3_PsPS5_jNS1_19radix_merge_compareILb0ELb0EsNS0_19identity_decomposerEEEEE10hipError_tT0_T1_T2_jT3_P12ihipStream_tbPNSt15iterator_traitsISE_E10value_typeEPNSK_ISF_E10value_typeEPSG_NS1_7vsmem_tEENKUlT_SE_SF_SG_E_clIS8_S8_S9_S9_EESD_ST_SE_SF_SG_EUlST_E0_NS1_11comp_targetILNS1_3genE4ELNS1_11target_archE910ELNS1_3gpuE8ELNS1_3repE0EEENS1_38merge_mergepath_config_static_selectorELNS0_4arch9wavefront6targetE0EEEvSF_
	.p2align	8
	.type	_ZN7rocprim17ROCPRIM_400000_NS6detail17trampoline_kernelINS0_14default_configENS1_38merge_sort_block_merge_config_selectorIsNS0_10empty_typeEEEZZNS1_27merge_sort_block_merge_implIS3_PsPS5_jNS1_19radix_merge_compareILb0ELb0EsNS0_19identity_decomposerEEEEE10hipError_tT0_T1_T2_jT3_P12ihipStream_tbPNSt15iterator_traitsISE_E10value_typeEPNSK_ISF_E10value_typeEPSG_NS1_7vsmem_tEENKUlT_SE_SF_SG_E_clIS8_S8_S9_S9_EESD_ST_SE_SF_SG_EUlST_E0_NS1_11comp_targetILNS1_3genE4ELNS1_11target_archE910ELNS1_3gpuE8ELNS1_3repE0EEENS1_38merge_mergepath_config_static_selectorELNS0_4arch9wavefront6targetE0EEEvSF_,@function
_ZN7rocprim17ROCPRIM_400000_NS6detail17trampoline_kernelINS0_14default_configENS1_38merge_sort_block_merge_config_selectorIsNS0_10empty_typeEEEZZNS1_27merge_sort_block_merge_implIS3_PsPS5_jNS1_19radix_merge_compareILb0ELb0EsNS0_19identity_decomposerEEEEE10hipError_tT0_T1_T2_jT3_P12ihipStream_tbPNSt15iterator_traitsISE_E10value_typeEPNSK_ISF_E10value_typeEPSG_NS1_7vsmem_tEENKUlT_SE_SF_SG_E_clIS8_S8_S9_S9_EESD_ST_SE_SF_SG_EUlST_E0_NS1_11comp_targetILNS1_3genE4ELNS1_11target_archE910ELNS1_3gpuE8ELNS1_3repE0EEENS1_38merge_mergepath_config_static_selectorELNS0_4arch9wavefront6targetE0EEEvSF_: ; @_ZN7rocprim17ROCPRIM_400000_NS6detail17trampoline_kernelINS0_14default_configENS1_38merge_sort_block_merge_config_selectorIsNS0_10empty_typeEEEZZNS1_27merge_sort_block_merge_implIS3_PsPS5_jNS1_19radix_merge_compareILb0ELb0EsNS0_19identity_decomposerEEEEE10hipError_tT0_T1_T2_jT3_P12ihipStream_tbPNSt15iterator_traitsISE_E10value_typeEPNSK_ISF_E10value_typeEPSG_NS1_7vsmem_tEENKUlT_SE_SF_SG_E_clIS8_S8_S9_S9_EESD_ST_SE_SF_SG_EUlST_E0_NS1_11comp_targetILNS1_3genE4ELNS1_11target_archE910ELNS1_3gpuE8ELNS1_3repE0EEENS1_38merge_mergepath_config_static_selectorELNS0_4arch9wavefront6targetE0EEEvSF_
; %bb.0:
	.section	.rodata,"a",@progbits
	.p2align	6, 0x0
	.amdhsa_kernel _ZN7rocprim17ROCPRIM_400000_NS6detail17trampoline_kernelINS0_14default_configENS1_38merge_sort_block_merge_config_selectorIsNS0_10empty_typeEEEZZNS1_27merge_sort_block_merge_implIS3_PsPS5_jNS1_19radix_merge_compareILb0ELb0EsNS0_19identity_decomposerEEEEE10hipError_tT0_T1_T2_jT3_P12ihipStream_tbPNSt15iterator_traitsISE_E10value_typeEPNSK_ISF_E10value_typeEPSG_NS1_7vsmem_tEENKUlT_SE_SF_SG_E_clIS8_S8_S9_S9_EESD_ST_SE_SF_SG_EUlST_E0_NS1_11comp_targetILNS1_3genE4ELNS1_11target_archE910ELNS1_3gpuE8ELNS1_3repE0EEENS1_38merge_mergepath_config_static_selectorELNS0_4arch9wavefront6targetE0EEEvSF_
		.amdhsa_group_segment_fixed_size 0
		.amdhsa_private_segment_fixed_size 0
		.amdhsa_kernarg_size 64
		.amdhsa_user_sgpr_count 2
		.amdhsa_user_sgpr_dispatch_ptr 0
		.amdhsa_user_sgpr_queue_ptr 0
		.amdhsa_user_sgpr_kernarg_segment_ptr 1
		.amdhsa_user_sgpr_dispatch_id 0
		.amdhsa_user_sgpr_kernarg_preload_length 0
		.amdhsa_user_sgpr_kernarg_preload_offset 0
		.amdhsa_user_sgpr_private_segment_size 0
		.amdhsa_wavefront_size32 1
		.amdhsa_uses_dynamic_stack 0
		.amdhsa_enable_private_segment 0
		.amdhsa_system_sgpr_workgroup_id_x 1
		.amdhsa_system_sgpr_workgroup_id_y 0
		.amdhsa_system_sgpr_workgroup_id_z 0
		.amdhsa_system_sgpr_workgroup_info 0
		.amdhsa_system_vgpr_workitem_id 0
		.amdhsa_next_free_vgpr 1
		.amdhsa_next_free_sgpr 1
		.amdhsa_named_barrier_count 0
		.amdhsa_reserve_vcc 0
		.amdhsa_float_round_mode_32 0
		.amdhsa_float_round_mode_16_64 0
		.amdhsa_float_denorm_mode_32 3
		.amdhsa_float_denorm_mode_16_64 3
		.amdhsa_fp16_overflow 0
		.amdhsa_memory_ordered 1
		.amdhsa_forward_progress 1
		.amdhsa_inst_pref_size 0
		.amdhsa_round_robin_scheduling 0
		.amdhsa_exception_fp_ieee_invalid_op 0
		.amdhsa_exception_fp_denorm_src 0
		.amdhsa_exception_fp_ieee_div_zero 0
		.amdhsa_exception_fp_ieee_overflow 0
		.amdhsa_exception_fp_ieee_underflow 0
		.amdhsa_exception_fp_ieee_inexact 0
		.amdhsa_exception_int_div_zero 0
	.end_amdhsa_kernel
	.section	.text._ZN7rocprim17ROCPRIM_400000_NS6detail17trampoline_kernelINS0_14default_configENS1_38merge_sort_block_merge_config_selectorIsNS0_10empty_typeEEEZZNS1_27merge_sort_block_merge_implIS3_PsPS5_jNS1_19radix_merge_compareILb0ELb0EsNS0_19identity_decomposerEEEEE10hipError_tT0_T1_T2_jT3_P12ihipStream_tbPNSt15iterator_traitsISE_E10value_typeEPNSK_ISF_E10value_typeEPSG_NS1_7vsmem_tEENKUlT_SE_SF_SG_E_clIS8_S8_S9_S9_EESD_ST_SE_SF_SG_EUlST_E0_NS1_11comp_targetILNS1_3genE4ELNS1_11target_archE910ELNS1_3gpuE8ELNS1_3repE0EEENS1_38merge_mergepath_config_static_selectorELNS0_4arch9wavefront6targetE0EEEvSF_,"axG",@progbits,_ZN7rocprim17ROCPRIM_400000_NS6detail17trampoline_kernelINS0_14default_configENS1_38merge_sort_block_merge_config_selectorIsNS0_10empty_typeEEEZZNS1_27merge_sort_block_merge_implIS3_PsPS5_jNS1_19radix_merge_compareILb0ELb0EsNS0_19identity_decomposerEEEEE10hipError_tT0_T1_T2_jT3_P12ihipStream_tbPNSt15iterator_traitsISE_E10value_typeEPNSK_ISF_E10value_typeEPSG_NS1_7vsmem_tEENKUlT_SE_SF_SG_E_clIS8_S8_S9_S9_EESD_ST_SE_SF_SG_EUlST_E0_NS1_11comp_targetILNS1_3genE4ELNS1_11target_archE910ELNS1_3gpuE8ELNS1_3repE0EEENS1_38merge_mergepath_config_static_selectorELNS0_4arch9wavefront6targetE0EEEvSF_,comdat
.Lfunc_end658:
	.size	_ZN7rocprim17ROCPRIM_400000_NS6detail17trampoline_kernelINS0_14default_configENS1_38merge_sort_block_merge_config_selectorIsNS0_10empty_typeEEEZZNS1_27merge_sort_block_merge_implIS3_PsPS5_jNS1_19radix_merge_compareILb0ELb0EsNS0_19identity_decomposerEEEEE10hipError_tT0_T1_T2_jT3_P12ihipStream_tbPNSt15iterator_traitsISE_E10value_typeEPNSK_ISF_E10value_typeEPSG_NS1_7vsmem_tEENKUlT_SE_SF_SG_E_clIS8_S8_S9_S9_EESD_ST_SE_SF_SG_EUlST_E0_NS1_11comp_targetILNS1_3genE4ELNS1_11target_archE910ELNS1_3gpuE8ELNS1_3repE0EEENS1_38merge_mergepath_config_static_selectorELNS0_4arch9wavefront6targetE0EEEvSF_, .Lfunc_end658-_ZN7rocprim17ROCPRIM_400000_NS6detail17trampoline_kernelINS0_14default_configENS1_38merge_sort_block_merge_config_selectorIsNS0_10empty_typeEEEZZNS1_27merge_sort_block_merge_implIS3_PsPS5_jNS1_19radix_merge_compareILb0ELb0EsNS0_19identity_decomposerEEEEE10hipError_tT0_T1_T2_jT3_P12ihipStream_tbPNSt15iterator_traitsISE_E10value_typeEPNSK_ISF_E10value_typeEPSG_NS1_7vsmem_tEENKUlT_SE_SF_SG_E_clIS8_S8_S9_S9_EESD_ST_SE_SF_SG_EUlST_E0_NS1_11comp_targetILNS1_3genE4ELNS1_11target_archE910ELNS1_3gpuE8ELNS1_3repE0EEENS1_38merge_mergepath_config_static_selectorELNS0_4arch9wavefront6targetE0EEEvSF_
                                        ; -- End function
	.set _ZN7rocprim17ROCPRIM_400000_NS6detail17trampoline_kernelINS0_14default_configENS1_38merge_sort_block_merge_config_selectorIsNS0_10empty_typeEEEZZNS1_27merge_sort_block_merge_implIS3_PsPS5_jNS1_19radix_merge_compareILb0ELb0EsNS0_19identity_decomposerEEEEE10hipError_tT0_T1_T2_jT3_P12ihipStream_tbPNSt15iterator_traitsISE_E10value_typeEPNSK_ISF_E10value_typeEPSG_NS1_7vsmem_tEENKUlT_SE_SF_SG_E_clIS8_S8_S9_S9_EESD_ST_SE_SF_SG_EUlST_E0_NS1_11comp_targetILNS1_3genE4ELNS1_11target_archE910ELNS1_3gpuE8ELNS1_3repE0EEENS1_38merge_mergepath_config_static_selectorELNS0_4arch9wavefront6targetE0EEEvSF_.num_vgpr, 0
	.set _ZN7rocprim17ROCPRIM_400000_NS6detail17trampoline_kernelINS0_14default_configENS1_38merge_sort_block_merge_config_selectorIsNS0_10empty_typeEEEZZNS1_27merge_sort_block_merge_implIS3_PsPS5_jNS1_19radix_merge_compareILb0ELb0EsNS0_19identity_decomposerEEEEE10hipError_tT0_T1_T2_jT3_P12ihipStream_tbPNSt15iterator_traitsISE_E10value_typeEPNSK_ISF_E10value_typeEPSG_NS1_7vsmem_tEENKUlT_SE_SF_SG_E_clIS8_S8_S9_S9_EESD_ST_SE_SF_SG_EUlST_E0_NS1_11comp_targetILNS1_3genE4ELNS1_11target_archE910ELNS1_3gpuE8ELNS1_3repE0EEENS1_38merge_mergepath_config_static_selectorELNS0_4arch9wavefront6targetE0EEEvSF_.num_agpr, 0
	.set _ZN7rocprim17ROCPRIM_400000_NS6detail17trampoline_kernelINS0_14default_configENS1_38merge_sort_block_merge_config_selectorIsNS0_10empty_typeEEEZZNS1_27merge_sort_block_merge_implIS3_PsPS5_jNS1_19radix_merge_compareILb0ELb0EsNS0_19identity_decomposerEEEEE10hipError_tT0_T1_T2_jT3_P12ihipStream_tbPNSt15iterator_traitsISE_E10value_typeEPNSK_ISF_E10value_typeEPSG_NS1_7vsmem_tEENKUlT_SE_SF_SG_E_clIS8_S8_S9_S9_EESD_ST_SE_SF_SG_EUlST_E0_NS1_11comp_targetILNS1_3genE4ELNS1_11target_archE910ELNS1_3gpuE8ELNS1_3repE0EEENS1_38merge_mergepath_config_static_selectorELNS0_4arch9wavefront6targetE0EEEvSF_.numbered_sgpr, 0
	.set _ZN7rocprim17ROCPRIM_400000_NS6detail17trampoline_kernelINS0_14default_configENS1_38merge_sort_block_merge_config_selectorIsNS0_10empty_typeEEEZZNS1_27merge_sort_block_merge_implIS3_PsPS5_jNS1_19radix_merge_compareILb0ELb0EsNS0_19identity_decomposerEEEEE10hipError_tT0_T1_T2_jT3_P12ihipStream_tbPNSt15iterator_traitsISE_E10value_typeEPNSK_ISF_E10value_typeEPSG_NS1_7vsmem_tEENKUlT_SE_SF_SG_E_clIS8_S8_S9_S9_EESD_ST_SE_SF_SG_EUlST_E0_NS1_11comp_targetILNS1_3genE4ELNS1_11target_archE910ELNS1_3gpuE8ELNS1_3repE0EEENS1_38merge_mergepath_config_static_selectorELNS0_4arch9wavefront6targetE0EEEvSF_.num_named_barrier, 0
	.set _ZN7rocprim17ROCPRIM_400000_NS6detail17trampoline_kernelINS0_14default_configENS1_38merge_sort_block_merge_config_selectorIsNS0_10empty_typeEEEZZNS1_27merge_sort_block_merge_implIS3_PsPS5_jNS1_19radix_merge_compareILb0ELb0EsNS0_19identity_decomposerEEEEE10hipError_tT0_T1_T2_jT3_P12ihipStream_tbPNSt15iterator_traitsISE_E10value_typeEPNSK_ISF_E10value_typeEPSG_NS1_7vsmem_tEENKUlT_SE_SF_SG_E_clIS8_S8_S9_S9_EESD_ST_SE_SF_SG_EUlST_E0_NS1_11comp_targetILNS1_3genE4ELNS1_11target_archE910ELNS1_3gpuE8ELNS1_3repE0EEENS1_38merge_mergepath_config_static_selectorELNS0_4arch9wavefront6targetE0EEEvSF_.private_seg_size, 0
	.set _ZN7rocprim17ROCPRIM_400000_NS6detail17trampoline_kernelINS0_14default_configENS1_38merge_sort_block_merge_config_selectorIsNS0_10empty_typeEEEZZNS1_27merge_sort_block_merge_implIS3_PsPS5_jNS1_19radix_merge_compareILb0ELb0EsNS0_19identity_decomposerEEEEE10hipError_tT0_T1_T2_jT3_P12ihipStream_tbPNSt15iterator_traitsISE_E10value_typeEPNSK_ISF_E10value_typeEPSG_NS1_7vsmem_tEENKUlT_SE_SF_SG_E_clIS8_S8_S9_S9_EESD_ST_SE_SF_SG_EUlST_E0_NS1_11comp_targetILNS1_3genE4ELNS1_11target_archE910ELNS1_3gpuE8ELNS1_3repE0EEENS1_38merge_mergepath_config_static_selectorELNS0_4arch9wavefront6targetE0EEEvSF_.uses_vcc, 0
	.set _ZN7rocprim17ROCPRIM_400000_NS6detail17trampoline_kernelINS0_14default_configENS1_38merge_sort_block_merge_config_selectorIsNS0_10empty_typeEEEZZNS1_27merge_sort_block_merge_implIS3_PsPS5_jNS1_19radix_merge_compareILb0ELb0EsNS0_19identity_decomposerEEEEE10hipError_tT0_T1_T2_jT3_P12ihipStream_tbPNSt15iterator_traitsISE_E10value_typeEPNSK_ISF_E10value_typeEPSG_NS1_7vsmem_tEENKUlT_SE_SF_SG_E_clIS8_S8_S9_S9_EESD_ST_SE_SF_SG_EUlST_E0_NS1_11comp_targetILNS1_3genE4ELNS1_11target_archE910ELNS1_3gpuE8ELNS1_3repE0EEENS1_38merge_mergepath_config_static_selectorELNS0_4arch9wavefront6targetE0EEEvSF_.uses_flat_scratch, 0
	.set _ZN7rocprim17ROCPRIM_400000_NS6detail17trampoline_kernelINS0_14default_configENS1_38merge_sort_block_merge_config_selectorIsNS0_10empty_typeEEEZZNS1_27merge_sort_block_merge_implIS3_PsPS5_jNS1_19radix_merge_compareILb0ELb0EsNS0_19identity_decomposerEEEEE10hipError_tT0_T1_T2_jT3_P12ihipStream_tbPNSt15iterator_traitsISE_E10value_typeEPNSK_ISF_E10value_typeEPSG_NS1_7vsmem_tEENKUlT_SE_SF_SG_E_clIS8_S8_S9_S9_EESD_ST_SE_SF_SG_EUlST_E0_NS1_11comp_targetILNS1_3genE4ELNS1_11target_archE910ELNS1_3gpuE8ELNS1_3repE0EEENS1_38merge_mergepath_config_static_selectorELNS0_4arch9wavefront6targetE0EEEvSF_.has_dyn_sized_stack, 0
	.set _ZN7rocprim17ROCPRIM_400000_NS6detail17trampoline_kernelINS0_14default_configENS1_38merge_sort_block_merge_config_selectorIsNS0_10empty_typeEEEZZNS1_27merge_sort_block_merge_implIS3_PsPS5_jNS1_19radix_merge_compareILb0ELb0EsNS0_19identity_decomposerEEEEE10hipError_tT0_T1_T2_jT3_P12ihipStream_tbPNSt15iterator_traitsISE_E10value_typeEPNSK_ISF_E10value_typeEPSG_NS1_7vsmem_tEENKUlT_SE_SF_SG_E_clIS8_S8_S9_S9_EESD_ST_SE_SF_SG_EUlST_E0_NS1_11comp_targetILNS1_3genE4ELNS1_11target_archE910ELNS1_3gpuE8ELNS1_3repE0EEENS1_38merge_mergepath_config_static_selectorELNS0_4arch9wavefront6targetE0EEEvSF_.has_recursion, 0
	.set _ZN7rocprim17ROCPRIM_400000_NS6detail17trampoline_kernelINS0_14default_configENS1_38merge_sort_block_merge_config_selectorIsNS0_10empty_typeEEEZZNS1_27merge_sort_block_merge_implIS3_PsPS5_jNS1_19radix_merge_compareILb0ELb0EsNS0_19identity_decomposerEEEEE10hipError_tT0_T1_T2_jT3_P12ihipStream_tbPNSt15iterator_traitsISE_E10value_typeEPNSK_ISF_E10value_typeEPSG_NS1_7vsmem_tEENKUlT_SE_SF_SG_E_clIS8_S8_S9_S9_EESD_ST_SE_SF_SG_EUlST_E0_NS1_11comp_targetILNS1_3genE4ELNS1_11target_archE910ELNS1_3gpuE8ELNS1_3repE0EEENS1_38merge_mergepath_config_static_selectorELNS0_4arch9wavefront6targetE0EEEvSF_.has_indirect_call, 0
	.section	.AMDGPU.csdata,"",@progbits
; Kernel info:
; codeLenInByte = 0
; TotalNumSgprs: 0
; NumVgprs: 0
; ScratchSize: 0
; MemoryBound: 0
; FloatMode: 240
; IeeeMode: 1
; LDSByteSize: 0 bytes/workgroup (compile time only)
; SGPRBlocks: 0
; VGPRBlocks: 0
; NumSGPRsForWavesPerEU: 1
; NumVGPRsForWavesPerEU: 1
; NamedBarCnt: 0
; Occupancy: 16
; WaveLimiterHint : 0
; COMPUTE_PGM_RSRC2:SCRATCH_EN: 0
; COMPUTE_PGM_RSRC2:USER_SGPR: 2
; COMPUTE_PGM_RSRC2:TRAP_HANDLER: 0
; COMPUTE_PGM_RSRC2:TGID_X_EN: 1
; COMPUTE_PGM_RSRC2:TGID_Y_EN: 0
; COMPUTE_PGM_RSRC2:TGID_Z_EN: 0
; COMPUTE_PGM_RSRC2:TIDIG_COMP_CNT: 0
	.section	.text._ZN7rocprim17ROCPRIM_400000_NS6detail17trampoline_kernelINS0_14default_configENS1_38merge_sort_block_merge_config_selectorIsNS0_10empty_typeEEEZZNS1_27merge_sort_block_merge_implIS3_PsPS5_jNS1_19radix_merge_compareILb0ELb0EsNS0_19identity_decomposerEEEEE10hipError_tT0_T1_T2_jT3_P12ihipStream_tbPNSt15iterator_traitsISE_E10value_typeEPNSK_ISF_E10value_typeEPSG_NS1_7vsmem_tEENKUlT_SE_SF_SG_E_clIS8_S8_S9_S9_EESD_ST_SE_SF_SG_EUlST_E0_NS1_11comp_targetILNS1_3genE3ELNS1_11target_archE908ELNS1_3gpuE7ELNS1_3repE0EEENS1_38merge_mergepath_config_static_selectorELNS0_4arch9wavefront6targetE0EEEvSF_,"axG",@progbits,_ZN7rocprim17ROCPRIM_400000_NS6detail17trampoline_kernelINS0_14default_configENS1_38merge_sort_block_merge_config_selectorIsNS0_10empty_typeEEEZZNS1_27merge_sort_block_merge_implIS3_PsPS5_jNS1_19radix_merge_compareILb0ELb0EsNS0_19identity_decomposerEEEEE10hipError_tT0_T1_T2_jT3_P12ihipStream_tbPNSt15iterator_traitsISE_E10value_typeEPNSK_ISF_E10value_typeEPSG_NS1_7vsmem_tEENKUlT_SE_SF_SG_E_clIS8_S8_S9_S9_EESD_ST_SE_SF_SG_EUlST_E0_NS1_11comp_targetILNS1_3genE3ELNS1_11target_archE908ELNS1_3gpuE7ELNS1_3repE0EEENS1_38merge_mergepath_config_static_selectorELNS0_4arch9wavefront6targetE0EEEvSF_,comdat
	.protected	_ZN7rocprim17ROCPRIM_400000_NS6detail17trampoline_kernelINS0_14default_configENS1_38merge_sort_block_merge_config_selectorIsNS0_10empty_typeEEEZZNS1_27merge_sort_block_merge_implIS3_PsPS5_jNS1_19radix_merge_compareILb0ELb0EsNS0_19identity_decomposerEEEEE10hipError_tT0_T1_T2_jT3_P12ihipStream_tbPNSt15iterator_traitsISE_E10value_typeEPNSK_ISF_E10value_typeEPSG_NS1_7vsmem_tEENKUlT_SE_SF_SG_E_clIS8_S8_S9_S9_EESD_ST_SE_SF_SG_EUlST_E0_NS1_11comp_targetILNS1_3genE3ELNS1_11target_archE908ELNS1_3gpuE7ELNS1_3repE0EEENS1_38merge_mergepath_config_static_selectorELNS0_4arch9wavefront6targetE0EEEvSF_ ; -- Begin function _ZN7rocprim17ROCPRIM_400000_NS6detail17trampoline_kernelINS0_14default_configENS1_38merge_sort_block_merge_config_selectorIsNS0_10empty_typeEEEZZNS1_27merge_sort_block_merge_implIS3_PsPS5_jNS1_19radix_merge_compareILb0ELb0EsNS0_19identity_decomposerEEEEE10hipError_tT0_T1_T2_jT3_P12ihipStream_tbPNSt15iterator_traitsISE_E10value_typeEPNSK_ISF_E10value_typeEPSG_NS1_7vsmem_tEENKUlT_SE_SF_SG_E_clIS8_S8_S9_S9_EESD_ST_SE_SF_SG_EUlST_E0_NS1_11comp_targetILNS1_3genE3ELNS1_11target_archE908ELNS1_3gpuE7ELNS1_3repE0EEENS1_38merge_mergepath_config_static_selectorELNS0_4arch9wavefront6targetE0EEEvSF_
	.globl	_ZN7rocprim17ROCPRIM_400000_NS6detail17trampoline_kernelINS0_14default_configENS1_38merge_sort_block_merge_config_selectorIsNS0_10empty_typeEEEZZNS1_27merge_sort_block_merge_implIS3_PsPS5_jNS1_19radix_merge_compareILb0ELb0EsNS0_19identity_decomposerEEEEE10hipError_tT0_T1_T2_jT3_P12ihipStream_tbPNSt15iterator_traitsISE_E10value_typeEPNSK_ISF_E10value_typeEPSG_NS1_7vsmem_tEENKUlT_SE_SF_SG_E_clIS8_S8_S9_S9_EESD_ST_SE_SF_SG_EUlST_E0_NS1_11comp_targetILNS1_3genE3ELNS1_11target_archE908ELNS1_3gpuE7ELNS1_3repE0EEENS1_38merge_mergepath_config_static_selectorELNS0_4arch9wavefront6targetE0EEEvSF_
	.p2align	8
	.type	_ZN7rocprim17ROCPRIM_400000_NS6detail17trampoline_kernelINS0_14default_configENS1_38merge_sort_block_merge_config_selectorIsNS0_10empty_typeEEEZZNS1_27merge_sort_block_merge_implIS3_PsPS5_jNS1_19radix_merge_compareILb0ELb0EsNS0_19identity_decomposerEEEEE10hipError_tT0_T1_T2_jT3_P12ihipStream_tbPNSt15iterator_traitsISE_E10value_typeEPNSK_ISF_E10value_typeEPSG_NS1_7vsmem_tEENKUlT_SE_SF_SG_E_clIS8_S8_S9_S9_EESD_ST_SE_SF_SG_EUlST_E0_NS1_11comp_targetILNS1_3genE3ELNS1_11target_archE908ELNS1_3gpuE7ELNS1_3repE0EEENS1_38merge_mergepath_config_static_selectorELNS0_4arch9wavefront6targetE0EEEvSF_,@function
_ZN7rocprim17ROCPRIM_400000_NS6detail17trampoline_kernelINS0_14default_configENS1_38merge_sort_block_merge_config_selectorIsNS0_10empty_typeEEEZZNS1_27merge_sort_block_merge_implIS3_PsPS5_jNS1_19radix_merge_compareILb0ELb0EsNS0_19identity_decomposerEEEEE10hipError_tT0_T1_T2_jT3_P12ihipStream_tbPNSt15iterator_traitsISE_E10value_typeEPNSK_ISF_E10value_typeEPSG_NS1_7vsmem_tEENKUlT_SE_SF_SG_E_clIS8_S8_S9_S9_EESD_ST_SE_SF_SG_EUlST_E0_NS1_11comp_targetILNS1_3genE3ELNS1_11target_archE908ELNS1_3gpuE7ELNS1_3repE0EEENS1_38merge_mergepath_config_static_selectorELNS0_4arch9wavefront6targetE0EEEvSF_: ; @_ZN7rocprim17ROCPRIM_400000_NS6detail17trampoline_kernelINS0_14default_configENS1_38merge_sort_block_merge_config_selectorIsNS0_10empty_typeEEEZZNS1_27merge_sort_block_merge_implIS3_PsPS5_jNS1_19radix_merge_compareILb0ELb0EsNS0_19identity_decomposerEEEEE10hipError_tT0_T1_T2_jT3_P12ihipStream_tbPNSt15iterator_traitsISE_E10value_typeEPNSK_ISF_E10value_typeEPSG_NS1_7vsmem_tEENKUlT_SE_SF_SG_E_clIS8_S8_S9_S9_EESD_ST_SE_SF_SG_EUlST_E0_NS1_11comp_targetILNS1_3genE3ELNS1_11target_archE908ELNS1_3gpuE7ELNS1_3repE0EEENS1_38merge_mergepath_config_static_selectorELNS0_4arch9wavefront6targetE0EEEvSF_
; %bb.0:
	.section	.rodata,"a",@progbits
	.p2align	6, 0x0
	.amdhsa_kernel _ZN7rocprim17ROCPRIM_400000_NS6detail17trampoline_kernelINS0_14default_configENS1_38merge_sort_block_merge_config_selectorIsNS0_10empty_typeEEEZZNS1_27merge_sort_block_merge_implIS3_PsPS5_jNS1_19radix_merge_compareILb0ELb0EsNS0_19identity_decomposerEEEEE10hipError_tT0_T1_T2_jT3_P12ihipStream_tbPNSt15iterator_traitsISE_E10value_typeEPNSK_ISF_E10value_typeEPSG_NS1_7vsmem_tEENKUlT_SE_SF_SG_E_clIS8_S8_S9_S9_EESD_ST_SE_SF_SG_EUlST_E0_NS1_11comp_targetILNS1_3genE3ELNS1_11target_archE908ELNS1_3gpuE7ELNS1_3repE0EEENS1_38merge_mergepath_config_static_selectorELNS0_4arch9wavefront6targetE0EEEvSF_
		.amdhsa_group_segment_fixed_size 0
		.amdhsa_private_segment_fixed_size 0
		.amdhsa_kernarg_size 64
		.amdhsa_user_sgpr_count 2
		.amdhsa_user_sgpr_dispatch_ptr 0
		.amdhsa_user_sgpr_queue_ptr 0
		.amdhsa_user_sgpr_kernarg_segment_ptr 1
		.amdhsa_user_sgpr_dispatch_id 0
		.amdhsa_user_sgpr_kernarg_preload_length 0
		.amdhsa_user_sgpr_kernarg_preload_offset 0
		.amdhsa_user_sgpr_private_segment_size 0
		.amdhsa_wavefront_size32 1
		.amdhsa_uses_dynamic_stack 0
		.amdhsa_enable_private_segment 0
		.amdhsa_system_sgpr_workgroup_id_x 1
		.amdhsa_system_sgpr_workgroup_id_y 0
		.amdhsa_system_sgpr_workgroup_id_z 0
		.amdhsa_system_sgpr_workgroup_info 0
		.amdhsa_system_vgpr_workitem_id 0
		.amdhsa_next_free_vgpr 1
		.amdhsa_next_free_sgpr 1
		.amdhsa_named_barrier_count 0
		.amdhsa_reserve_vcc 0
		.amdhsa_float_round_mode_32 0
		.amdhsa_float_round_mode_16_64 0
		.amdhsa_float_denorm_mode_32 3
		.amdhsa_float_denorm_mode_16_64 3
		.amdhsa_fp16_overflow 0
		.amdhsa_memory_ordered 1
		.amdhsa_forward_progress 1
		.amdhsa_inst_pref_size 0
		.amdhsa_round_robin_scheduling 0
		.amdhsa_exception_fp_ieee_invalid_op 0
		.amdhsa_exception_fp_denorm_src 0
		.amdhsa_exception_fp_ieee_div_zero 0
		.amdhsa_exception_fp_ieee_overflow 0
		.amdhsa_exception_fp_ieee_underflow 0
		.amdhsa_exception_fp_ieee_inexact 0
		.amdhsa_exception_int_div_zero 0
	.end_amdhsa_kernel
	.section	.text._ZN7rocprim17ROCPRIM_400000_NS6detail17trampoline_kernelINS0_14default_configENS1_38merge_sort_block_merge_config_selectorIsNS0_10empty_typeEEEZZNS1_27merge_sort_block_merge_implIS3_PsPS5_jNS1_19radix_merge_compareILb0ELb0EsNS0_19identity_decomposerEEEEE10hipError_tT0_T1_T2_jT3_P12ihipStream_tbPNSt15iterator_traitsISE_E10value_typeEPNSK_ISF_E10value_typeEPSG_NS1_7vsmem_tEENKUlT_SE_SF_SG_E_clIS8_S8_S9_S9_EESD_ST_SE_SF_SG_EUlST_E0_NS1_11comp_targetILNS1_3genE3ELNS1_11target_archE908ELNS1_3gpuE7ELNS1_3repE0EEENS1_38merge_mergepath_config_static_selectorELNS0_4arch9wavefront6targetE0EEEvSF_,"axG",@progbits,_ZN7rocprim17ROCPRIM_400000_NS6detail17trampoline_kernelINS0_14default_configENS1_38merge_sort_block_merge_config_selectorIsNS0_10empty_typeEEEZZNS1_27merge_sort_block_merge_implIS3_PsPS5_jNS1_19radix_merge_compareILb0ELb0EsNS0_19identity_decomposerEEEEE10hipError_tT0_T1_T2_jT3_P12ihipStream_tbPNSt15iterator_traitsISE_E10value_typeEPNSK_ISF_E10value_typeEPSG_NS1_7vsmem_tEENKUlT_SE_SF_SG_E_clIS8_S8_S9_S9_EESD_ST_SE_SF_SG_EUlST_E0_NS1_11comp_targetILNS1_3genE3ELNS1_11target_archE908ELNS1_3gpuE7ELNS1_3repE0EEENS1_38merge_mergepath_config_static_selectorELNS0_4arch9wavefront6targetE0EEEvSF_,comdat
.Lfunc_end659:
	.size	_ZN7rocprim17ROCPRIM_400000_NS6detail17trampoline_kernelINS0_14default_configENS1_38merge_sort_block_merge_config_selectorIsNS0_10empty_typeEEEZZNS1_27merge_sort_block_merge_implIS3_PsPS5_jNS1_19radix_merge_compareILb0ELb0EsNS0_19identity_decomposerEEEEE10hipError_tT0_T1_T2_jT3_P12ihipStream_tbPNSt15iterator_traitsISE_E10value_typeEPNSK_ISF_E10value_typeEPSG_NS1_7vsmem_tEENKUlT_SE_SF_SG_E_clIS8_S8_S9_S9_EESD_ST_SE_SF_SG_EUlST_E0_NS1_11comp_targetILNS1_3genE3ELNS1_11target_archE908ELNS1_3gpuE7ELNS1_3repE0EEENS1_38merge_mergepath_config_static_selectorELNS0_4arch9wavefront6targetE0EEEvSF_, .Lfunc_end659-_ZN7rocprim17ROCPRIM_400000_NS6detail17trampoline_kernelINS0_14default_configENS1_38merge_sort_block_merge_config_selectorIsNS0_10empty_typeEEEZZNS1_27merge_sort_block_merge_implIS3_PsPS5_jNS1_19radix_merge_compareILb0ELb0EsNS0_19identity_decomposerEEEEE10hipError_tT0_T1_T2_jT3_P12ihipStream_tbPNSt15iterator_traitsISE_E10value_typeEPNSK_ISF_E10value_typeEPSG_NS1_7vsmem_tEENKUlT_SE_SF_SG_E_clIS8_S8_S9_S9_EESD_ST_SE_SF_SG_EUlST_E0_NS1_11comp_targetILNS1_3genE3ELNS1_11target_archE908ELNS1_3gpuE7ELNS1_3repE0EEENS1_38merge_mergepath_config_static_selectorELNS0_4arch9wavefront6targetE0EEEvSF_
                                        ; -- End function
	.set _ZN7rocprim17ROCPRIM_400000_NS6detail17trampoline_kernelINS0_14default_configENS1_38merge_sort_block_merge_config_selectorIsNS0_10empty_typeEEEZZNS1_27merge_sort_block_merge_implIS3_PsPS5_jNS1_19radix_merge_compareILb0ELb0EsNS0_19identity_decomposerEEEEE10hipError_tT0_T1_T2_jT3_P12ihipStream_tbPNSt15iterator_traitsISE_E10value_typeEPNSK_ISF_E10value_typeEPSG_NS1_7vsmem_tEENKUlT_SE_SF_SG_E_clIS8_S8_S9_S9_EESD_ST_SE_SF_SG_EUlST_E0_NS1_11comp_targetILNS1_3genE3ELNS1_11target_archE908ELNS1_3gpuE7ELNS1_3repE0EEENS1_38merge_mergepath_config_static_selectorELNS0_4arch9wavefront6targetE0EEEvSF_.num_vgpr, 0
	.set _ZN7rocprim17ROCPRIM_400000_NS6detail17trampoline_kernelINS0_14default_configENS1_38merge_sort_block_merge_config_selectorIsNS0_10empty_typeEEEZZNS1_27merge_sort_block_merge_implIS3_PsPS5_jNS1_19radix_merge_compareILb0ELb0EsNS0_19identity_decomposerEEEEE10hipError_tT0_T1_T2_jT3_P12ihipStream_tbPNSt15iterator_traitsISE_E10value_typeEPNSK_ISF_E10value_typeEPSG_NS1_7vsmem_tEENKUlT_SE_SF_SG_E_clIS8_S8_S9_S9_EESD_ST_SE_SF_SG_EUlST_E0_NS1_11comp_targetILNS1_3genE3ELNS1_11target_archE908ELNS1_3gpuE7ELNS1_3repE0EEENS1_38merge_mergepath_config_static_selectorELNS0_4arch9wavefront6targetE0EEEvSF_.num_agpr, 0
	.set _ZN7rocprim17ROCPRIM_400000_NS6detail17trampoline_kernelINS0_14default_configENS1_38merge_sort_block_merge_config_selectorIsNS0_10empty_typeEEEZZNS1_27merge_sort_block_merge_implIS3_PsPS5_jNS1_19radix_merge_compareILb0ELb0EsNS0_19identity_decomposerEEEEE10hipError_tT0_T1_T2_jT3_P12ihipStream_tbPNSt15iterator_traitsISE_E10value_typeEPNSK_ISF_E10value_typeEPSG_NS1_7vsmem_tEENKUlT_SE_SF_SG_E_clIS8_S8_S9_S9_EESD_ST_SE_SF_SG_EUlST_E0_NS1_11comp_targetILNS1_3genE3ELNS1_11target_archE908ELNS1_3gpuE7ELNS1_3repE0EEENS1_38merge_mergepath_config_static_selectorELNS0_4arch9wavefront6targetE0EEEvSF_.numbered_sgpr, 0
	.set _ZN7rocprim17ROCPRIM_400000_NS6detail17trampoline_kernelINS0_14default_configENS1_38merge_sort_block_merge_config_selectorIsNS0_10empty_typeEEEZZNS1_27merge_sort_block_merge_implIS3_PsPS5_jNS1_19radix_merge_compareILb0ELb0EsNS0_19identity_decomposerEEEEE10hipError_tT0_T1_T2_jT3_P12ihipStream_tbPNSt15iterator_traitsISE_E10value_typeEPNSK_ISF_E10value_typeEPSG_NS1_7vsmem_tEENKUlT_SE_SF_SG_E_clIS8_S8_S9_S9_EESD_ST_SE_SF_SG_EUlST_E0_NS1_11comp_targetILNS1_3genE3ELNS1_11target_archE908ELNS1_3gpuE7ELNS1_3repE0EEENS1_38merge_mergepath_config_static_selectorELNS0_4arch9wavefront6targetE0EEEvSF_.num_named_barrier, 0
	.set _ZN7rocprim17ROCPRIM_400000_NS6detail17trampoline_kernelINS0_14default_configENS1_38merge_sort_block_merge_config_selectorIsNS0_10empty_typeEEEZZNS1_27merge_sort_block_merge_implIS3_PsPS5_jNS1_19radix_merge_compareILb0ELb0EsNS0_19identity_decomposerEEEEE10hipError_tT0_T1_T2_jT3_P12ihipStream_tbPNSt15iterator_traitsISE_E10value_typeEPNSK_ISF_E10value_typeEPSG_NS1_7vsmem_tEENKUlT_SE_SF_SG_E_clIS8_S8_S9_S9_EESD_ST_SE_SF_SG_EUlST_E0_NS1_11comp_targetILNS1_3genE3ELNS1_11target_archE908ELNS1_3gpuE7ELNS1_3repE0EEENS1_38merge_mergepath_config_static_selectorELNS0_4arch9wavefront6targetE0EEEvSF_.private_seg_size, 0
	.set _ZN7rocprim17ROCPRIM_400000_NS6detail17trampoline_kernelINS0_14default_configENS1_38merge_sort_block_merge_config_selectorIsNS0_10empty_typeEEEZZNS1_27merge_sort_block_merge_implIS3_PsPS5_jNS1_19radix_merge_compareILb0ELb0EsNS0_19identity_decomposerEEEEE10hipError_tT0_T1_T2_jT3_P12ihipStream_tbPNSt15iterator_traitsISE_E10value_typeEPNSK_ISF_E10value_typeEPSG_NS1_7vsmem_tEENKUlT_SE_SF_SG_E_clIS8_S8_S9_S9_EESD_ST_SE_SF_SG_EUlST_E0_NS1_11comp_targetILNS1_3genE3ELNS1_11target_archE908ELNS1_3gpuE7ELNS1_3repE0EEENS1_38merge_mergepath_config_static_selectorELNS0_4arch9wavefront6targetE0EEEvSF_.uses_vcc, 0
	.set _ZN7rocprim17ROCPRIM_400000_NS6detail17trampoline_kernelINS0_14default_configENS1_38merge_sort_block_merge_config_selectorIsNS0_10empty_typeEEEZZNS1_27merge_sort_block_merge_implIS3_PsPS5_jNS1_19radix_merge_compareILb0ELb0EsNS0_19identity_decomposerEEEEE10hipError_tT0_T1_T2_jT3_P12ihipStream_tbPNSt15iterator_traitsISE_E10value_typeEPNSK_ISF_E10value_typeEPSG_NS1_7vsmem_tEENKUlT_SE_SF_SG_E_clIS8_S8_S9_S9_EESD_ST_SE_SF_SG_EUlST_E0_NS1_11comp_targetILNS1_3genE3ELNS1_11target_archE908ELNS1_3gpuE7ELNS1_3repE0EEENS1_38merge_mergepath_config_static_selectorELNS0_4arch9wavefront6targetE0EEEvSF_.uses_flat_scratch, 0
	.set _ZN7rocprim17ROCPRIM_400000_NS6detail17trampoline_kernelINS0_14default_configENS1_38merge_sort_block_merge_config_selectorIsNS0_10empty_typeEEEZZNS1_27merge_sort_block_merge_implIS3_PsPS5_jNS1_19radix_merge_compareILb0ELb0EsNS0_19identity_decomposerEEEEE10hipError_tT0_T1_T2_jT3_P12ihipStream_tbPNSt15iterator_traitsISE_E10value_typeEPNSK_ISF_E10value_typeEPSG_NS1_7vsmem_tEENKUlT_SE_SF_SG_E_clIS8_S8_S9_S9_EESD_ST_SE_SF_SG_EUlST_E0_NS1_11comp_targetILNS1_3genE3ELNS1_11target_archE908ELNS1_3gpuE7ELNS1_3repE0EEENS1_38merge_mergepath_config_static_selectorELNS0_4arch9wavefront6targetE0EEEvSF_.has_dyn_sized_stack, 0
	.set _ZN7rocprim17ROCPRIM_400000_NS6detail17trampoline_kernelINS0_14default_configENS1_38merge_sort_block_merge_config_selectorIsNS0_10empty_typeEEEZZNS1_27merge_sort_block_merge_implIS3_PsPS5_jNS1_19radix_merge_compareILb0ELb0EsNS0_19identity_decomposerEEEEE10hipError_tT0_T1_T2_jT3_P12ihipStream_tbPNSt15iterator_traitsISE_E10value_typeEPNSK_ISF_E10value_typeEPSG_NS1_7vsmem_tEENKUlT_SE_SF_SG_E_clIS8_S8_S9_S9_EESD_ST_SE_SF_SG_EUlST_E0_NS1_11comp_targetILNS1_3genE3ELNS1_11target_archE908ELNS1_3gpuE7ELNS1_3repE0EEENS1_38merge_mergepath_config_static_selectorELNS0_4arch9wavefront6targetE0EEEvSF_.has_recursion, 0
	.set _ZN7rocprim17ROCPRIM_400000_NS6detail17trampoline_kernelINS0_14default_configENS1_38merge_sort_block_merge_config_selectorIsNS0_10empty_typeEEEZZNS1_27merge_sort_block_merge_implIS3_PsPS5_jNS1_19radix_merge_compareILb0ELb0EsNS0_19identity_decomposerEEEEE10hipError_tT0_T1_T2_jT3_P12ihipStream_tbPNSt15iterator_traitsISE_E10value_typeEPNSK_ISF_E10value_typeEPSG_NS1_7vsmem_tEENKUlT_SE_SF_SG_E_clIS8_S8_S9_S9_EESD_ST_SE_SF_SG_EUlST_E0_NS1_11comp_targetILNS1_3genE3ELNS1_11target_archE908ELNS1_3gpuE7ELNS1_3repE0EEENS1_38merge_mergepath_config_static_selectorELNS0_4arch9wavefront6targetE0EEEvSF_.has_indirect_call, 0
	.section	.AMDGPU.csdata,"",@progbits
; Kernel info:
; codeLenInByte = 0
; TotalNumSgprs: 0
; NumVgprs: 0
; ScratchSize: 0
; MemoryBound: 0
; FloatMode: 240
; IeeeMode: 1
; LDSByteSize: 0 bytes/workgroup (compile time only)
; SGPRBlocks: 0
; VGPRBlocks: 0
; NumSGPRsForWavesPerEU: 1
; NumVGPRsForWavesPerEU: 1
; NamedBarCnt: 0
; Occupancy: 16
; WaveLimiterHint : 0
; COMPUTE_PGM_RSRC2:SCRATCH_EN: 0
; COMPUTE_PGM_RSRC2:USER_SGPR: 2
; COMPUTE_PGM_RSRC2:TRAP_HANDLER: 0
; COMPUTE_PGM_RSRC2:TGID_X_EN: 1
; COMPUTE_PGM_RSRC2:TGID_Y_EN: 0
; COMPUTE_PGM_RSRC2:TGID_Z_EN: 0
; COMPUTE_PGM_RSRC2:TIDIG_COMP_CNT: 0
	.section	.text._ZN7rocprim17ROCPRIM_400000_NS6detail17trampoline_kernelINS0_14default_configENS1_38merge_sort_block_merge_config_selectorIsNS0_10empty_typeEEEZZNS1_27merge_sort_block_merge_implIS3_PsPS5_jNS1_19radix_merge_compareILb0ELb0EsNS0_19identity_decomposerEEEEE10hipError_tT0_T1_T2_jT3_P12ihipStream_tbPNSt15iterator_traitsISE_E10value_typeEPNSK_ISF_E10value_typeEPSG_NS1_7vsmem_tEENKUlT_SE_SF_SG_E_clIS8_S8_S9_S9_EESD_ST_SE_SF_SG_EUlST_E0_NS1_11comp_targetILNS1_3genE2ELNS1_11target_archE906ELNS1_3gpuE6ELNS1_3repE0EEENS1_38merge_mergepath_config_static_selectorELNS0_4arch9wavefront6targetE0EEEvSF_,"axG",@progbits,_ZN7rocprim17ROCPRIM_400000_NS6detail17trampoline_kernelINS0_14default_configENS1_38merge_sort_block_merge_config_selectorIsNS0_10empty_typeEEEZZNS1_27merge_sort_block_merge_implIS3_PsPS5_jNS1_19radix_merge_compareILb0ELb0EsNS0_19identity_decomposerEEEEE10hipError_tT0_T1_T2_jT3_P12ihipStream_tbPNSt15iterator_traitsISE_E10value_typeEPNSK_ISF_E10value_typeEPSG_NS1_7vsmem_tEENKUlT_SE_SF_SG_E_clIS8_S8_S9_S9_EESD_ST_SE_SF_SG_EUlST_E0_NS1_11comp_targetILNS1_3genE2ELNS1_11target_archE906ELNS1_3gpuE6ELNS1_3repE0EEENS1_38merge_mergepath_config_static_selectorELNS0_4arch9wavefront6targetE0EEEvSF_,comdat
	.protected	_ZN7rocprim17ROCPRIM_400000_NS6detail17trampoline_kernelINS0_14default_configENS1_38merge_sort_block_merge_config_selectorIsNS0_10empty_typeEEEZZNS1_27merge_sort_block_merge_implIS3_PsPS5_jNS1_19radix_merge_compareILb0ELb0EsNS0_19identity_decomposerEEEEE10hipError_tT0_T1_T2_jT3_P12ihipStream_tbPNSt15iterator_traitsISE_E10value_typeEPNSK_ISF_E10value_typeEPSG_NS1_7vsmem_tEENKUlT_SE_SF_SG_E_clIS8_S8_S9_S9_EESD_ST_SE_SF_SG_EUlST_E0_NS1_11comp_targetILNS1_3genE2ELNS1_11target_archE906ELNS1_3gpuE6ELNS1_3repE0EEENS1_38merge_mergepath_config_static_selectorELNS0_4arch9wavefront6targetE0EEEvSF_ ; -- Begin function _ZN7rocprim17ROCPRIM_400000_NS6detail17trampoline_kernelINS0_14default_configENS1_38merge_sort_block_merge_config_selectorIsNS0_10empty_typeEEEZZNS1_27merge_sort_block_merge_implIS3_PsPS5_jNS1_19radix_merge_compareILb0ELb0EsNS0_19identity_decomposerEEEEE10hipError_tT0_T1_T2_jT3_P12ihipStream_tbPNSt15iterator_traitsISE_E10value_typeEPNSK_ISF_E10value_typeEPSG_NS1_7vsmem_tEENKUlT_SE_SF_SG_E_clIS8_S8_S9_S9_EESD_ST_SE_SF_SG_EUlST_E0_NS1_11comp_targetILNS1_3genE2ELNS1_11target_archE906ELNS1_3gpuE6ELNS1_3repE0EEENS1_38merge_mergepath_config_static_selectorELNS0_4arch9wavefront6targetE0EEEvSF_
	.globl	_ZN7rocprim17ROCPRIM_400000_NS6detail17trampoline_kernelINS0_14default_configENS1_38merge_sort_block_merge_config_selectorIsNS0_10empty_typeEEEZZNS1_27merge_sort_block_merge_implIS3_PsPS5_jNS1_19radix_merge_compareILb0ELb0EsNS0_19identity_decomposerEEEEE10hipError_tT0_T1_T2_jT3_P12ihipStream_tbPNSt15iterator_traitsISE_E10value_typeEPNSK_ISF_E10value_typeEPSG_NS1_7vsmem_tEENKUlT_SE_SF_SG_E_clIS8_S8_S9_S9_EESD_ST_SE_SF_SG_EUlST_E0_NS1_11comp_targetILNS1_3genE2ELNS1_11target_archE906ELNS1_3gpuE6ELNS1_3repE0EEENS1_38merge_mergepath_config_static_selectorELNS0_4arch9wavefront6targetE0EEEvSF_
	.p2align	8
	.type	_ZN7rocprim17ROCPRIM_400000_NS6detail17trampoline_kernelINS0_14default_configENS1_38merge_sort_block_merge_config_selectorIsNS0_10empty_typeEEEZZNS1_27merge_sort_block_merge_implIS3_PsPS5_jNS1_19radix_merge_compareILb0ELb0EsNS0_19identity_decomposerEEEEE10hipError_tT0_T1_T2_jT3_P12ihipStream_tbPNSt15iterator_traitsISE_E10value_typeEPNSK_ISF_E10value_typeEPSG_NS1_7vsmem_tEENKUlT_SE_SF_SG_E_clIS8_S8_S9_S9_EESD_ST_SE_SF_SG_EUlST_E0_NS1_11comp_targetILNS1_3genE2ELNS1_11target_archE906ELNS1_3gpuE6ELNS1_3repE0EEENS1_38merge_mergepath_config_static_selectorELNS0_4arch9wavefront6targetE0EEEvSF_,@function
_ZN7rocprim17ROCPRIM_400000_NS6detail17trampoline_kernelINS0_14default_configENS1_38merge_sort_block_merge_config_selectorIsNS0_10empty_typeEEEZZNS1_27merge_sort_block_merge_implIS3_PsPS5_jNS1_19radix_merge_compareILb0ELb0EsNS0_19identity_decomposerEEEEE10hipError_tT0_T1_T2_jT3_P12ihipStream_tbPNSt15iterator_traitsISE_E10value_typeEPNSK_ISF_E10value_typeEPSG_NS1_7vsmem_tEENKUlT_SE_SF_SG_E_clIS8_S8_S9_S9_EESD_ST_SE_SF_SG_EUlST_E0_NS1_11comp_targetILNS1_3genE2ELNS1_11target_archE906ELNS1_3gpuE6ELNS1_3repE0EEENS1_38merge_mergepath_config_static_selectorELNS0_4arch9wavefront6targetE0EEEvSF_: ; @_ZN7rocprim17ROCPRIM_400000_NS6detail17trampoline_kernelINS0_14default_configENS1_38merge_sort_block_merge_config_selectorIsNS0_10empty_typeEEEZZNS1_27merge_sort_block_merge_implIS3_PsPS5_jNS1_19radix_merge_compareILb0ELb0EsNS0_19identity_decomposerEEEEE10hipError_tT0_T1_T2_jT3_P12ihipStream_tbPNSt15iterator_traitsISE_E10value_typeEPNSK_ISF_E10value_typeEPSG_NS1_7vsmem_tEENKUlT_SE_SF_SG_E_clIS8_S8_S9_S9_EESD_ST_SE_SF_SG_EUlST_E0_NS1_11comp_targetILNS1_3genE2ELNS1_11target_archE906ELNS1_3gpuE6ELNS1_3repE0EEENS1_38merge_mergepath_config_static_selectorELNS0_4arch9wavefront6targetE0EEEvSF_
; %bb.0:
	.section	.rodata,"a",@progbits
	.p2align	6, 0x0
	.amdhsa_kernel _ZN7rocprim17ROCPRIM_400000_NS6detail17trampoline_kernelINS0_14default_configENS1_38merge_sort_block_merge_config_selectorIsNS0_10empty_typeEEEZZNS1_27merge_sort_block_merge_implIS3_PsPS5_jNS1_19radix_merge_compareILb0ELb0EsNS0_19identity_decomposerEEEEE10hipError_tT0_T1_T2_jT3_P12ihipStream_tbPNSt15iterator_traitsISE_E10value_typeEPNSK_ISF_E10value_typeEPSG_NS1_7vsmem_tEENKUlT_SE_SF_SG_E_clIS8_S8_S9_S9_EESD_ST_SE_SF_SG_EUlST_E0_NS1_11comp_targetILNS1_3genE2ELNS1_11target_archE906ELNS1_3gpuE6ELNS1_3repE0EEENS1_38merge_mergepath_config_static_selectorELNS0_4arch9wavefront6targetE0EEEvSF_
		.amdhsa_group_segment_fixed_size 0
		.amdhsa_private_segment_fixed_size 0
		.amdhsa_kernarg_size 64
		.amdhsa_user_sgpr_count 2
		.amdhsa_user_sgpr_dispatch_ptr 0
		.amdhsa_user_sgpr_queue_ptr 0
		.amdhsa_user_sgpr_kernarg_segment_ptr 1
		.amdhsa_user_sgpr_dispatch_id 0
		.amdhsa_user_sgpr_kernarg_preload_length 0
		.amdhsa_user_sgpr_kernarg_preload_offset 0
		.amdhsa_user_sgpr_private_segment_size 0
		.amdhsa_wavefront_size32 1
		.amdhsa_uses_dynamic_stack 0
		.amdhsa_enable_private_segment 0
		.amdhsa_system_sgpr_workgroup_id_x 1
		.amdhsa_system_sgpr_workgroup_id_y 0
		.amdhsa_system_sgpr_workgroup_id_z 0
		.amdhsa_system_sgpr_workgroup_info 0
		.amdhsa_system_vgpr_workitem_id 0
		.amdhsa_next_free_vgpr 1
		.amdhsa_next_free_sgpr 1
		.amdhsa_named_barrier_count 0
		.amdhsa_reserve_vcc 0
		.amdhsa_float_round_mode_32 0
		.amdhsa_float_round_mode_16_64 0
		.amdhsa_float_denorm_mode_32 3
		.amdhsa_float_denorm_mode_16_64 3
		.amdhsa_fp16_overflow 0
		.amdhsa_memory_ordered 1
		.amdhsa_forward_progress 1
		.amdhsa_inst_pref_size 0
		.amdhsa_round_robin_scheduling 0
		.amdhsa_exception_fp_ieee_invalid_op 0
		.amdhsa_exception_fp_denorm_src 0
		.amdhsa_exception_fp_ieee_div_zero 0
		.amdhsa_exception_fp_ieee_overflow 0
		.amdhsa_exception_fp_ieee_underflow 0
		.amdhsa_exception_fp_ieee_inexact 0
		.amdhsa_exception_int_div_zero 0
	.end_amdhsa_kernel
	.section	.text._ZN7rocprim17ROCPRIM_400000_NS6detail17trampoline_kernelINS0_14default_configENS1_38merge_sort_block_merge_config_selectorIsNS0_10empty_typeEEEZZNS1_27merge_sort_block_merge_implIS3_PsPS5_jNS1_19radix_merge_compareILb0ELb0EsNS0_19identity_decomposerEEEEE10hipError_tT0_T1_T2_jT3_P12ihipStream_tbPNSt15iterator_traitsISE_E10value_typeEPNSK_ISF_E10value_typeEPSG_NS1_7vsmem_tEENKUlT_SE_SF_SG_E_clIS8_S8_S9_S9_EESD_ST_SE_SF_SG_EUlST_E0_NS1_11comp_targetILNS1_3genE2ELNS1_11target_archE906ELNS1_3gpuE6ELNS1_3repE0EEENS1_38merge_mergepath_config_static_selectorELNS0_4arch9wavefront6targetE0EEEvSF_,"axG",@progbits,_ZN7rocprim17ROCPRIM_400000_NS6detail17trampoline_kernelINS0_14default_configENS1_38merge_sort_block_merge_config_selectorIsNS0_10empty_typeEEEZZNS1_27merge_sort_block_merge_implIS3_PsPS5_jNS1_19radix_merge_compareILb0ELb0EsNS0_19identity_decomposerEEEEE10hipError_tT0_T1_T2_jT3_P12ihipStream_tbPNSt15iterator_traitsISE_E10value_typeEPNSK_ISF_E10value_typeEPSG_NS1_7vsmem_tEENKUlT_SE_SF_SG_E_clIS8_S8_S9_S9_EESD_ST_SE_SF_SG_EUlST_E0_NS1_11comp_targetILNS1_3genE2ELNS1_11target_archE906ELNS1_3gpuE6ELNS1_3repE0EEENS1_38merge_mergepath_config_static_selectorELNS0_4arch9wavefront6targetE0EEEvSF_,comdat
.Lfunc_end660:
	.size	_ZN7rocprim17ROCPRIM_400000_NS6detail17trampoline_kernelINS0_14default_configENS1_38merge_sort_block_merge_config_selectorIsNS0_10empty_typeEEEZZNS1_27merge_sort_block_merge_implIS3_PsPS5_jNS1_19radix_merge_compareILb0ELb0EsNS0_19identity_decomposerEEEEE10hipError_tT0_T1_T2_jT3_P12ihipStream_tbPNSt15iterator_traitsISE_E10value_typeEPNSK_ISF_E10value_typeEPSG_NS1_7vsmem_tEENKUlT_SE_SF_SG_E_clIS8_S8_S9_S9_EESD_ST_SE_SF_SG_EUlST_E0_NS1_11comp_targetILNS1_3genE2ELNS1_11target_archE906ELNS1_3gpuE6ELNS1_3repE0EEENS1_38merge_mergepath_config_static_selectorELNS0_4arch9wavefront6targetE0EEEvSF_, .Lfunc_end660-_ZN7rocprim17ROCPRIM_400000_NS6detail17trampoline_kernelINS0_14default_configENS1_38merge_sort_block_merge_config_selectorIsNS0_10empty_typeEEEZZNS1_27merge_sort_block_merge_implIS3_PsPS5_jNS1_19radix_merge_compareILb0ELb0EsNS0_19identity_decomposerEEEEE10hipError_tT0_T1_T2_jT3_P12ihipStream_tbPNSt15iterator_traitsISE_E10value_typeEPNSK_ISF_E10value_typeEPSG_NS1_7vsmem_tEENKUlT_SE_SF_SG_E_clIS8_S8_S9_S9_EESD_ST_SE_SF_SG_EUlST_E0_NS1_11comp_targetILNS1_3genE2ELNS1_11target_archE906ELNS1_3gpuE6ELNS1_3repE0EEENS1_38merge_mergepath_config_static_selectorELNS0_4arch9wavefront6targetE0EEEvSF_
                                        ; -- End function
	.set _ZN7rocprim17ROCPRIM_400000_NS6detail17trampoline_kernelINS0_14default_configENS1_38merge_sort_block_merge_config_selectorIsNS0_10empty_typeEEEZZNS1_27merge_sort_block_merge_implIS3_PsPS5_jNS1_19radix_merge_compareILb0ELb0EsNS0_19identity_decomposerEEEEE10hipError_tT0_T1_T2_jT3_P12ihipStream_tbPNSt15iterator_traitsISE_E10value_typeEPNSK_ISF_E10value_typeEPSG_NS1_7vsmem_tEENKUlT_SE_SF_SG_E_clIS8_S8_S9_S9_EESD_ST_SE_SF_SG_EUlST_E0_NS1_11comp_targetILNS1_3genE2ELNS1_11target_archE906ELNS1_3gpuE6ELNS1_3repE0EEENS1_38merge_mergepath_config_static_selectorELNS0_4arch9wavefront6targetE0EEEvSF_.num_vgpr, 0
	.set _ZN7rocprim17ROCPRIM_400000_NS6detail17trampoline_kernelINS0_14default_configENS1_38merge_sort_block_merge_config_selectorIsNS0_10empty_typeEEEZZNS1_27merge_sort_block_merge_implIS3_PsPS5_jNS1_19radix_merge_compareILb0ELb0EsNS0_19identity_decomposerEEEEE10hipError_tT0_T1_T2_jT3_P12ihipStream_tbPNSt15iterator_traitsISE_E10value_typeEPNSK_ISF_E10value_typeEPSG_NS1_7vsmem_tEENKUlT_SE_SF_SG_E_clIS8_S8_S9_S9_EESD_ST_SE_SF_SG_EUlST_E0_NS1_11comp_targetILNS1_3genE2ELNS1_11target_archE906ELNS1_3gpuE6ELNS1_3repE0EEENS1_38merge_mergepath_config_static_selectorELNS0_4arch9wavefront6targetE0EEEvSF_.num_agpr, 0
	.set _ZN7rocprim17ROCPRIM_400000_NS6detail17trampoline_kernelINS0_14default_configENS1_38merge_sort_block_merge_config_selectorIsNS0_10empty_typeEEEZZNS1_27merge_sort_block_merge_implIS3_PsPS5_jNS1_19radix_merge_compareILb0ELb0EsNS0_19identity_decomposerEEEEE10hipError_tT0_T1_T2_jT3_P12ihipStream_tbPNSt15iterator_traitsISE_E10value_typeEPNSK_ISF_E10value_typeEPSG_NS1_7vsmem_tEENKUlT_SE_SF_SG_E_clIS8_S8_S9_S9_EESD_ST_SE_SF_SG_EUlST_E0_NS1_11comp_targetILNS1_3genE2ELNS1_11target_archE906ELNS1_3gpuE6ELNS1_3repE0EEENS1_38merge_mergepath_config_static_selectorELNS0_4arch9wavefront6targetE0EEEvSF_.numbered_sgpr, 0
	.set _ZN7rocprim17ROCPRIM_400000_NS6detail17trampoline_kernelINS0_14default_configENS1_38merge_sort_block_merge_config_selectorIsNS0_10empty_typeEEEZZNS1_27merge_sort_block_merge_implIS3_PsPS5_jNS1_19radix_merge_compareILb0ELb0EsNS0_19identity_decomposerEEEEE10hipError_tT0_T1_T2_jT3_P12ihipStream_tbPNSt15iterator_traitsISE_E10value_typeEPNSK_ISF_E10value_typeEPSG_NS1_7vsmem_tEENKUlT_SE_SF_SG_E_clIS8_S8_S9_S9_EESD_ST_SE_SF_SG_EUlST_E0_NS1_11comp_targetILNS1_3genE2ELNS1_11target_archE906ELNS1_3gpuE6ELNS1_3repE0EEENS1_38merge_mergepath_config_static_selectorELNS0_4arch9wavefront6targetE0EEEvSF_.num_named_barrier, 0
	.set _ZN7rocprim17ROCPRIM_400000_NS6detail17trampoline_kernelINS0_14default_configENS1_38merge_sort_block_merge_config_selectorIsNS0_10empty_typeEEEZZNS1_27merge_sort_block_merge_implIS3_PsPS5_jNS1_19radix_merge_compareILb0ELb0EsNS0_19identity_decomposerEEEEE10hipError_tT0_T1_T2_jT3_P12ihipStream_tbPNSt15iterator_traitsISE_E10value_typeEPNSK_ISF_E10value_typeEPSG_NS1_7vsmem_tEENKUlT_SE_SF_SG_E_clIS8_S8_S9_S9_EESD_ST_SE_SF_SG_EUlST_E0_NS1_11comp_targetILNS1_3genE2ELNS1_11target_archE906ELNS1_3gpuE6ELNS1_3repE0EEENS1_38merge_mergepath_config_static_selectorELNS0_4arch9wavefront6targetE0EEEvSF_.private_seg_size, 0
	.set _ZN7rocprim17ROCPRIM_400000_NS6detail17trampoline_kernelINS0_14default_configENS1_38merge_sort_block_merge_config_selectorIsNS0_10empty_typeEEEZZNS1_27merge_sort_block_merge_implIS3_PsPS5_jNS1_19radix_merge_compareILb0ELb0EsNS0_19identity_decomposerEEEEE10hipError_tT0_T1_T2_jT3_P12ihipStream_tbPNSt15iterator_traitsISE_E10value_typeEPNSK_ISF_E10value_typeEPSG_NS1_7vsmem_tEENKUlT_SE_SF_SG_E_clIS8_S8_S9_S9_EESD_ST_SE_SF_SG_EUlST_E0_NS1_11comp_targetILNS1_3genE2ELNS1_11target_archE906ELNS1_3gpuE6ELNS1_3repE0EEENS1_38merge_mergepath_config_static_selectorELNS0_4arch9wavefront6targetE0EEEvSF_.uses_vcc, 0
	.set _ZN7rocprim17ROCPRIM_400000_NS6detail17trampoline_kernelINS0_14default_configENS1_38merge_sort_block_merge_config_selectorIsNS0_10empty_typeEEEZZNS1_27merge_sort_block_merge_implIS3_PsPS5_jNS1_19radix_merge_compareILb0ELb0EsNS0_19identity_decomposerEEEEE10hipError_tT0_T1_T2_jT3_P12ihipStream_tbPNSt15iterator_traitsISE_E10value_typeEPNSK_ISF_E10value_typeEPSG_NS1_7vsmem_tEENKUlT_SE_SF_SG_E_clIS8_S8_S9_S9_EESD_ST_SE_SF_SG_EUlST_E0_NS1_11comp_targetILNS1_3genE2ELNS1_11target_archE906ELNS1_3gpuE6ELNS1_3repE0EEENS1_38merge_mergepath_config_static_selectorELNS0_4arch9wavefront6targetE0EEEvSF_.uses_flat_scratch, 0
	.set _ZN7rocprim17ROCPRIM_400000_NS6detail17trampoline_kernelINS0_14default_configENS1_38merge_sort_block_merge_config_selectorIsNS0_10empty_typeEEEZZNS1_27merge_sort_block_merge_implIS3_PsPS5_jNS1_19radix_merge_compareILb0ELb0EsNS0_19identity_decomposerEEEEE10hipError_tT0_T1_T2_jT3_P12ihipStream_tbPNSt15iterator_traitsISE_E10value_typeEPNSK_ISF_E10value_typeEPSG_NS1_7vsmem_tEENKUlT_SE_SF_SG_E_clIS8_S8_S9_S9_EESD_ST_SE_SF_SG_EUlST_E0_NS1_11comp_targetILNS1_3genE2ELNS1_11target_archE906ELNS1_3gpuE6ELNS1_3repE0EEENS1_38merge_mergepath_config_static_selectorELNS0_4arch9wavefront6targetE0EEEvSF_.has_dyn_sized_stack, 0
	.set _ZN7rocprim17ROCPRIM_400000_NS6detail17trampoline_kernelINS0_14default_configENS1_38merge_sort_block_merge_config_selectorIsNS0_10empty_typeEEEZZNS1_27merge_sort_block_merge_implIS3_PsPS5_jNS1_19radix_merge_compareILb0ELb0EsNS0_19identity_decomposerEEEEE10hipError_tT0_T1_T2_jT3_P12ihipStream_tbPNSt15iterator_traitsISE_E10value_typeEPNSK_ISF_E10value_typeEPSG_NS1_7vsmem_tEENKUlT_SE_SF_SG_E_clIS8_S8_S9_S9_EESD_ST_SE_SF_SG_EUlST_E0_NS1_11comp_targetILNS1_3genE2ELNS1_11target_archE906ELNS1_3gpuE6ELNS1_3repE0EEENS1_38merge_mergepath_config_static_selectorELNS0_4arch9wavefront6targetE0EEEvSF_.has_recursion, 0
	.set _ZN7rocprim17ROCPRIM_400000_NS6detail17trampoline_kernelINS0_14default_configENS1_38merge_sort_block_merge_config_selectorIsNS0_10empty_typeEEEZZNS1_27merge_sort_block_merge_implIS3_PsPS5_jNS1_19radix_merge_compareILb0ELb0EsNS0_19identity_decomposerEEEEE10hipError_tT0_T1_T2_jT3_P12ihipStream_tbPNSt15iterator_traitsISE_E10value_typeEPNSK_ISF_E10value_typeEPSG_NS1_7vsmem_tEENKUlT_SE_SF_SG_E_clIS8_S8_S9_S9_EESD_ST_SE_SF_SG_EUlST_E0_NS1_11comp_targetILNS1_3genE2ELNS1_11target_archE906ELNS1_3gpuE6ELNS1_3repE0EEENS1_38merge_mergepath_config_static_selectorELNS0_4arch9wavefront6targetE0EEEvSF_.has_indirect_call, 0
	.section	.AMDGPU.csdata,"",@progbits
; Kernel info:
; codeLenInByte = 0
; TotalNumSgprs: 0
; NumVgprs: 0
; ScratchSize: 0
; MemoryBound: 0
; FloatMode: 240
; IeeeMode: 1
; LDSByteSize: 0 bytes/workgroup (compile time only)
; SGPRBlocks: 0
; VGPRBlocks: 0
; NumSGPRsForWavesPerEU: 1
; NumVGPRsForWavesPerEU: 1
; NamedBarCnt: 0
; Occupancy: 16
; WaveLimiterHint : 0
; COMPUTE_PGM_RSRC2:SCRATCH_EN: 0
; COMPUTE_PGM_RSRC2:USER_SGPR: 2
; COMPUTE_PGM_RSRC2:TRAP_HANDLER: 0
; COMPUTE_PGM_RSRC2:TGID_X_EN: 1
; COMPUTE_PGM_RSRC2:TGID_Y_EN: 0
; COMPUTE_PGM_RSRC2:TGID_Z_EN: 0
; COMPUTE_PGM_RSRC2:TIDIG_COMP_CNT: 0
	.section	.text._ZN7rocprim17ROCPRIM_400000_NS6detail17trampoline_kernelINS0_14default_configENS1_38merge_sort_block_merge_config_selectorIsNS0_10empty_typeEEEZZNS1_27merge_sort_block_merge_implIS3_PsPS5_jNS1_19radix_merge_compareILb0ELb0EsNS0_19identity_decomposerEEEEE10hipError_tT0_T1_T2_jT3_P12ihipStream_tbPNSt15iterator_traitsISE_E10value_typeEPNSK_ISF_E10value_typeEPSG_NS1_7vsmem_tEENKUlT_SE_SF_SG_E_clIS8_S8_S9_S9_EESD_ST_SE_SF_SG_EUlST_E0_NS1_11comp_targetILNS1_3genE9ELNS1_11target_archE1100ELNS1_3gpuE3ELNS1_3repE0EEENS1_38merge_mergepath_config_static_selectorELNS0_4arch9wavefront6targetE0EEEvSF_,"axG",@progbits,_ZN7rocprim17ROCPRIM_400000_NS6detail17trampoline_kernelINS0_14default_configENS1_38merge_sort_block_merge_config_selectorIsNS0_10empty_typeEEEZZNS1_27merge_sort_block_merge_implIS3_PsPS5_jNS1_19radix_merge_compareILb0ELb0EsNS0_19identity_decomposerEEEEE10hipError_tT0_T1_T2_jT3_P12ihipStream_tbPNSt15iterator_traitsISE_E10value_typeEPNSK_ISF_E10value_typeEPSG_NS1_7vsmem_tEENKUlT_SE_SF_SG_E_clIS8_S8_S9_S9_EESD_ST_SE_SF_SG_EUlST_E0_NS1_11comp_targetILNS1_3genE9ELNS1_11target_archE1100ELNS1_3gpuE3ELNS1_3repE0EEENS1_38merge_mergepath_config_static_selectorELNS0_4arch9wavefront6targetE0EEEvSF_,comdat
	.protected	_ZN7rocprim17ROCPRIM_400000_NS6detail17trampoline_kernelINS0_14default_configENS1_38merge_sort_block_merge_config_selectorIsNS0_10empty_typeEEEZZNS1_27merge_sort_block_merge_implIS3_PsPS5_jNS1_19radix_merge_compareILb0ELb0EsNS0_19identity_decomposerEEEEE10hipError_tT0_T1_T2_jT3_P12ihipStream_tbPNSt15iterator_traitsISE_E10value_typeEPNSK_ISF_E10value_typeEPSG_NS1_7vsmem_tEENKUlT_SE_SF_SG_E_clIS8_S8_S9_S9_EESD_ST_SE_SF_SG_EUlST_E0_NS1_11comp_targetILNS1_3genE9ELNS1_11target_archE1100ELNS1_3gpuE3ELNS1_3repE0EEENS1_38merge_mergepath_config_static_selectorELNS0_4arch9wavefront6targetE0EEEvSF_ ; -- Begin function _ZN7rocprim17ROCPRIM_400000_NS6detail17trampoline_kernelINS0_14default_configENS1_38merge_sort_block_merge_config_selectorIsNS0_10empty_typeEEEZZNS1_27merge_sort_block_merge_implIS3_PsPS5_jNS1_19radix_merge_compareILb0ELb0EsNS0_19identity_decomposerEEEEE10hipError_tT0_T1_T2_jT3_P12ihipStream_tbPNSt15iterator_traitsISE_E10value_typeEPNSK_ISF_E10value_typeEPSG_NS1_7vsmem_tEENKUlT_SE_SF_SG_E_clIS8_S8_S9_S9_EESD_ST_SE_SF_SG_EUlST_E0_NS1_11comp_targetILNS1_3genE9ELNS1_11target_archE1100ELNS1_3gpuE3ELNS1_3repE0EEENS1_38merge_mergepath_config_static_selectorELNS0_4arch9wavefront6targetE0EEEvSF_
	.globl	_ZN7rocprim17ROCPRIM_400000_NS6detail17trampoline_kernelINS0_14default_configENS1_38merge_sort_block_merge_config_selectorIsNS0_10empty_typeEEEZZNS1_27merge_sort_block_merge_implIS3_PsPS5_jNS1_19radix_merge_compareILb0ELb0EsNS0_19identity_decomposerEEEEE10hipError_tT0_T1_T2_jT3_P12ihipStream_tbPNSt15iterator_traitsISE_E10value_typeEPNSK_ISF_E10value_typeEPSG_NS1_7vsmem_tEENKUlT_SE_SF_SG_E_clIS8_S8_S9_S9_EESD_ST_SE_SF_SG_EUlST_E0_NS1_11comp_targetILNS1_3genE9ELNS1_11target_archE1100ELNS1_3gpuE3ELNS1_3repE0EEENS1_38merge_mergepath_config_static_selectorELNS0_4arch9wavefront6targetE0EEEvSF_
	.p2align	8
	.type	_ZN7rocprim17ROCPRIM_400000_NS6detail17trampoline_kernelINS0_14default_configENS1_38merge_sort_block_merge_config_selectorIsNS0_10empty_typeEEEZZNS1_27merge_sort_block_merge_implIS3_PsPS5_jNS1_19radix_merge_compareILb0ELb0EsNS0_19identity_decomposerEEEEE10hipError_tT0_T1_T2_jT3_P12ihipStream_tbPNSt15iterator_traitsISE_E10value_typeEPNSK_ISF_E10value_typeEPSG_NS1_7vsmem_tEENKUlT_SE_SF_SG_E_clIS8_S8_S9_S9_EESD_ST_SE_SF_SG_EUlST_E0_NS1_11comp_targetILNS1_3genE9ELNS1_11target_archE1100ELNS1_3gpuE3ELNS1_3repE0EEENS1_38merge_mergepath_config_static_selectorELNS0_4arch9wavefront6targetE0EEEvSF_,@function
_ZN7rocprim17ROCPRIM_400000_NS6detail17trampoline_kernelINS0_14default_configENS1_38merge_sort_block_merge_config_selectorIsNS0_10empty_typeEEEZZNS1_27merge_sort_block_merge_implIS3_PsPS5_jNS1_19radix_merge_compareILb0ELb0EsNS0_19identity_decomposerEEEEE10hipError_tT0_T1_T2_jT3_P12ihipStream_tbPNSt15iterator_traitsISE_E10value_typeEPNSK_ISF_E10value_typeEPSG_NS1_7vsmem_tEENKUlT_SE_SF_SG_E_clIS8_S8_S9_S9_EESD_ST_SE_SF_SG_EUlST_E0_NS1_11comp_targetILNS1_3genE9ELNS1_11target_archE1100ELNS1_3gpuE3ELNS1_3repE0EEENS1_38merge_mergepath_config_static_selectorELNS0_4arch9wavefront6targetE0EEEvSF_: ; @_ZN7rocprim17ROCPRIM_400000_NS6detail17trampoline_kernelINS0_14default_configENS1_38merge_sort_block_merge_config_selectorIsNS0_10empty_typeEEEZZNS1_27merge_sort_block_merge_implIS3_PsPS5_jNS1_19radix_merge_compareILb0ELb0EsNS0_19identity_decomposerEEEEE10hipError_tT0_T1_T2_jT3_P12ihipStream_tbPNSt15iterator_traitsISE_E10value_typeEPNSK_ISF_E10value_typeEPSG_NS1_7vsmem_tEENKUlT_SE_SF_SG_E_clIS8_S8_S9_S9_EESD_ST_SE_SF_SG_EUlST_E0_NS1_11comp_targetILNS1_3genE9ELNS1_11target_archE1100ELNS1_3gpuE3ELNS1_3repE0EEENS1_38merge_mergepath_config_static_selectorELNS0_4arch9wavefront6targetE0EEEvSF_
; %bb.0:
	.section	.rodata,"a",@progbits
	.p2align	6, 0x0
	.amdhsa_kernel _ZN7rocprim17ROCPRIM_400000_NS6detail17trampoline_kernelINS0_14default_configENS1_38merge_sort_block_merge_config_selectorIsNS0_10empty_typeEEEZZNS1_27merge_sort_block_merge_implIS3_PsPS5_jNS1_19radix_merge_compareILb0ELb0EsNS0_19identity_decomposerEEEEE10hipError_tT0_T1_T2_jT3_P12ihipStream_tbPNSt15iterator_traitsISE_E10value_typeEPNSK_ISF_E10value_typeEPSG_NS1_7vsmem_tEENKUlT_SE_SF_SG_E_clIS8_S8_S9_S9_EESD_ST_SE_SF_SG_EUlST_E0_NS1_11comp_targetILNS1_3genE9ELNS1_11target_archE1100ELNS1_3gpuE3ELNS1_3repE0EEENS1_38merge_mergepath_config_static_selectorELNS0_4arch9wavefront6targetE0EEEvSF_
		.amdhsa_group_segment_fixed_size 0
		.amdhsa_private_segment_fixed_size 0
		.amdhsa_kernarg_size 64
		.amdhsa_user_sgpr_count 2
		.amdhsa_user_sgpr_dispatch_ptr 0
		.amdhsa_user_sgpr_queue_ptr 0
		.amdhsa_user_sgpr_kernarg_segment_ptr 1
		.amdhsa_user_sgpr_dispatch_id 0
		.amdhsa_user_sgpr_kernarg_preload_length 0
		.amdhsa_user_sgpr_kernarg_preload_offset 0
		.amdhsa_user_sgpr_private_segment_size 0
		.amdhsa_wavefront_size32 1
		.amdhsa_uses_dynamic_stack 0
		.amdhsa_enable_private_segment 0
		.amdhsa_system_sgpr_workgroup_id_x 1
		.amdhsa_system_sgpr_workgroup_id_y 0
		.amdhsa_system_sgpr_workgroup_id_z 0
		.amdhsa_system_sgpr_workgroup_info 0
		.amdhsa_system_vgpr_workitem_id 0
		.amdhsa_next_free_vgpr 1
		.amdhsa_next_free_sgpr 1
		.amdhsa_named_barrier_count 0
		.amdhsa_reserve_vcc 0
		.amdhsa_float_round_mode_32 0
		.amdhsa_float_round_mode_16_64 0
		.amdhsa_float_denorm_mode_32 3
		.amdhsa_float_denorm_mode_16_64 3
		.amdhsa_fp16_overflow 0
		.amdhsa_memory_ordered 1
		.amdhsa_forward_progress 1
		.amdhsa_inst_pref_size 0
		.amdhsa_round_robin_scheduling 0
		.amdhsa_exception_fp_ieee_invalid_op 0
		.amdhsa_exception_fp_denorm_src 0
		.amdhsa_exception_fp_ieee_div_zero 0
		.amdhsa_exception_fp_ieee_overflow 0
		.amdhsa_exception_fp_ieee_underflow 0
		.amdhsa_exception_fp_ieee_inexact 0
		.amdhsa_exception_int_div_zero 0
	.end_amdhsa_kernel
	.section	.text._ZN7rocprim17ROCPRIM_400000_NS6detail17trampoline_kernelINS0_14default_configENS1_38merge_sort_block_merge_config_selectorIsNS0_10empty_typeEEEZZNS1_27merge_sort_block_merge_implIS3_PsPS5_jNS1_19radix_merge_compareILb0ELb0EsNS0_19identity_decomposerEEEEE10hipError_tT0_T1_T2_jT3_P12ihipStream_tbPNSt15iterator_traitsISE_E10value_typeEPNSK_ISF_E10value_typeEPSG_NS1_7vsmem_tEENKUlT_SE_SF_SG_E_clIS8_S8_S9_S9_EESD_ST_SE_SF_SG_EUlST_E0_NS1_11comp_targetILNS1_3genE9ELNS1_11target_archE1100ELNS1_3gpuE3ELNS1_3repE0EEENS1_38merge_mergepath_config_static_selectorELNS0_4arch9wavefront6targetE0EEEvSF_,"axG",@progbits,_ZN7rocprim17ROCPRIM_400000_NS6detail17trampoline_kernelINS0_14default_configENS1_38merge_sort_block_merge_config_selectorIsNS0_10empty_typeEEEZZNS1_27merge_sort_block_merge_implIS3_PsPS5_jNS1_19radix_merge_compareILb0ELb0EsNS0_19identity_decomposerEEEEE10hipError_tT0_T1_T2_jT3_P12ihipStream_tbPNSt15iterator_traitsISE_E10value_typeEPNSK_ISF_E10value_typeEPSG_NS1_7vsmem_tEENKUlT_SE_SF_SG_E_clIS8_S8_S9_S9_EESD_ST_SE_SF_SG_EUlST_E0_NS1_11comp_targetILNS1_3genE9ELNS1_11target_archE1100ELNS1_3gpuE3ELNS1_3repE0EEENS1_38merge_mergepath_config_static_selectorELNS0_4arch9wavefront6targetE0EEEvSF_,comdat
.Lfunc_end661:
	.size	_ZN7rocprim17ROCPRIM_400000_NS6detail17trampoline_kernelINS0_14default_configENS1_38merge_sort_block_merge_config_selectorIsNS0_10empty_typeEEEZZNS1_27merge_sort_block_merge_implIS3_PsPS5_jNS1_19radix_merge_compareILb0ELb0EsNS0_19identity_decomposerEEEEE10hipError_tT0_T1_T2_jT3_P12ihipStream_tbPNSt15iterator_traitsISE_E10value_typeEPNSK_ISF_E10value_typeEPSG_NS1_7vsmem_tEENKUlT_SE_SF_SG_E_clIS8_S8_S9_S9_EESD_ST_SE_SF_SG_EUlST_E0_NS1_11comp_targetILNS1_3genE9ELNS1_11target_archE1100ELNS1_3gpuE3ELNS1_3repE0EEENS1_38merge_mergepath_config_static_selectorELNS0_4arch9wavefront6targetE0EEEvSF_, .Lfunc_end661-_ZN7rocprim17ROCPRIM_400000_NS6detail17trampoline_kernelINS0_14default_configENS1_38merge_sort_block_merge_config_selectorIsNS0_10empty_typeEEEZZNS1_27merge_sort_block_merge_implIS3_PsPS5_jNS1_19radix_merge_compareILb0ELb0EsNS0_19identity_decomposerEEEEE10hipError_tT0_T1_T2_jT3_P12ihipStream_tbPNSt15iterator_traitsISE_E10value_typeEPNSK_ISF_E10value_typeEPSG_NS1_7vsmem_tEENKUlT_SE_SF_SG_E_clIS8_S8_S9_S9_EESD_ST_SE_SF_SG_EUlST_E0_NS1_11comp_targetILNS1_3genE9ELNS1_11target_archE1100ELNS1_3gpuE3ELNS1_3repE0EEENS1_38merge_mergepath_config_static_selectorELNS0_4arch9wavefront6targetE0EEEvSF_
                                        ; -- End function
	.set _ZN7rocprim17ROCPRIM_400000_NS6detail17trampoline_kernelINS0_14default_configENS1_38merge_sort_block_merge_config_selectorIsNS0_10empty_typeEEEZZNS1_27merge_sort_block_merge_implIS3_PsPS5_jNS1_19radix_merge_compareILb0ELb0EsNS0_19identity_decomposerEEEEE10hipError_tT0_T1_T2_jT3_P12ihipStream_tbPNSt15iterator_traitsISE_E10value_typeEPNSK_ISF_E10value_typeEPSG_NS1_7vsmem_tEENKUlT_SE_SF_SG_E_clIS8_S8_S9_S9_EESD_ST_SE_SF_SG_EUlST_E0_NS1_11comp_targetILNS1_3genE9ELNS1_11target_archE1100ELNS1_3gpuE3ELNS1_3repE0EEENS1_38merge_mergepath_config_static_selectorELNS0_4arch9wavefront6targetE0EEEvSF_.num_vgpr, 0
	.set _ZN7rocprim17ROCPRIM_400000_NS6detail17trampoline_kernelINS0_14default_configENS1_38merge_sort_block_merge_config_selectorIsNS0_10empty_typeEEEZZNS1_27merge_sort_block_merge_implIS3_PsPS5_jNS1_19radix_merge_compareILb0ELb0EsNS0_19identity_decomposerEEEEE10hipError_tT0_T1_T2_jT3_P12ihipStream_tbPNSt15iterator_traitsISE_E10value_typeEPNSK_ISF_E10value_typeEPSG_NS1_7vsmem_tEENKUlT_SE_SF_SG_E_clIS8_S8_S9_S9_EESD_ST_SE_SF_SG_EUlST_E0_NS1_11comp_targetILNS1_3genE9ELNS1_11target_archE1100ELNS1_3gpuE3ELNS1_3repE0EEENS1_38merge_mergepath_config_static_selectorELNS0_4arch9wavefront6targetE0EEEvSF_.num_agpr, 0
	.set _ZN7rocprim17ROCPRIM_400000_NS6detail17trampoline_kernelINS0_14default_configENS1_38merge_sort_block_merge_config_selectorIsNS0_10empty_typeEEEZZNS1_27merge_sort_block_merge_implIS3_PsPS5_jNS1_19radix_merge_compareILb0ELb0EsNS0_19identity_decomposerEEEEE10hipError_tT0_T1_T2_jT3_P12ihipStream_tbPNSt15iterator_traitsISE_E10value_typeEPNSK_ISF_E10value_typeEPSG_NS1_7vsmem_tEENKUlT_SE_SF_SG_E_clIS8_S8_S9_S9_EESD_ST_SE_SF_SG_EUlST_E0_NS1_11comp_targetILNS1_3genE9ELNS1_11target_archE1100ELNS1_3gpuE3ELNS1_3repE0EEENS1_38merge_mergepath_config_static_selectorELNS0_4arch9wavefront6targetE0EEEvSF_.numbered_sgpr, 0
	.set _ZN7rocprim17ROCPRIM_400000_NS6detail17trampoline_kernelINS0_14default_configENS1_38merge_sort_block_merge_config_selectorIsNS0_10empty_typeEEEZZNS1_27merge_sort_block_merge_implIS3_PsPS5_jNS1_19radix_merge_compareILb0ELb0EsNS0_19identity_decomposerEEEEE10hipError_tT0_T1_T2_jT3_P12ihipStream_tbPNSt15iterator_traitsISE_E10value_typeEPNSK_ISF_E10value_typeEPSG_NS1_7vsmem_tEENKUlT_SE_SF_SG_E_clIS8_S8_S9_S9_EESD_ST_SE_SF_SG_EUlST_E0_NS1_11comp_targetILNS1_3genE9ELNS1_11target_archE1100ELNS1_3gpuE3ELNS1_3repE0EEENS1_38merge_mergepath_config_static_selectorELNS0_4arch9wavefront6targetE0EEEvSF_.num_named_barrier, 0
	.set _ZN7rocprim17ROCPRIM_400000_NS6detail17trampoline_kernelINS0_14default_configENS1_38merge_sort_block_merge_config_selectorIsNS0_10empty_typeEEEZZNS1_27merge_sort_block_merge_implIS3_PsPS5_jNS1_19radix_merge_compareILb0ELb0EsNS0_19identity_decomposerEEEEE10hipError_tT0_T1_T2_jT3_P12ihipStream_tbPNSt15iterator_traitsISE_E10value_typeEPNSK_ISF_E10value_typeEPSG_NS1_7vsmem_tEENKUlT_SE_SF_SG_E_clIS8_S8_S9_S9_EESD_ST_SE_SF_SG_EUlST_E0_NS1_11comp_targetILNS1_3genE9ELNS1_11target_archE1100ELNS1_3gpuE3ELNS1_3repE0EEENS1_38merge_mergepath_config_static_selectorELNS0_4arch9wavefront6targetE0EEEvSF_.private_seg_size, 0
	.set _ZN7rocprim17ROCPRIM_400000_NS6detail17trampoline_kernelINS0_14default_configENS1_38merge_sort_block_merge_config_selectorIsNS0_10empty_typeEEEZZNS1_27merge_sort_block_merge_implIS3_PsPS5_jNS1_19radix_merge_compareILb0ELb0EsNS0_19identity_decomposerEEEEE10hipError_tT0_T1_T2_jT3_P12ihipStream_tbPNSt15iterator_traitsISE_E10value_typeEPNSK_ISF_E10value_typeEPSG_NS1_7vsmem_tEENKUlT_SE_SF_SG_E_clIS8_S8_S9_S9_EESD_ST_SE_SF_SG_EUlST_E0_NS1_11comp_targetILNS1_3genE9ELNS1_11target_archE1100ELNS1_3gpuE3ELNS1_3repE0EEENS1_38merge_mergepath_config_static_selectorELNS0_4arch9wavefront6targetE0EEEvSF_.uses_vcc, 0
	.set _ZN7rocprim17ROCPRIM_400000_NS6detail17trampoline_kernelINS0_14default_configENS1_38merge_sort_block_merge_config_selectorIsNS0_10empty_typeEEEZZNS1_27merge_sort_block_merge_implIS3_PsPS5_jNS1_19radix_merge_compareILb0ELb0EsNS0_19identity_decomposerEEEEE10hipError_tT0_T1_T2_jT3_P12ihipStream_tbPNSt15iterator_traitsISE_E10value_typeEPNSK_ISF_E10value_typeEPSG_NS1_7vsmem_tEENKUlT_SE_SF_SG_E_clIS8_S8_S9_S9_EESD_ST_SE_SF_SG_EUlST_E0_NS1_11comp_targetILNS1_3genE9ELNS1_11target_archE1100ELNS1_3gpuE3ELNS1_3repE0EEENS1_38merge_mergepath_config_static_selectorELNS0_4arch9wavefront6targetE0EEEvSF_.uses_flat_scratch, 0
	.set _ZN7rocprim17ROCPRIM_400000_NS6detail17trampoline_kernelINS0_14default_configENS1_38merge_sort_block_merge_config_selectorIsNS0_10empty_typeEEEZZNS1_27merge_sort_block_merge_implIS3_PsPS5_jNS1_19radix_merge_compareILb0ELb0EsNS0_19identity_decomposerEEEEE10hipError_tT0_T1_T2_jT3_P12ihipStream_tbPNSt15iterator_traitsISE_E10value_typeEPNSK_ISF_E10value_typeEPSG_NS1_7vsmem_tEENKUlT_SE_SF_SG_E_clIS8_S8_S9_S9_EESD_ST_SE_SF_SG_EUlST_E0_NS1_11comp_targetILNS1_3genE9ELNS1_11target_archE1100ELNS1_3gpuE3ELNS1_3repE0EEENS1_38merge_mergepath_config_static_selectorELNS0_4arch9wavefront6targetE0EEEvSF_.has_dyn_sized_stack, 0
	.set _ZN7rocprim17ROCPRIM_400000_NS6detail17trampoline_kernelINS0_14default_configENS1_38merge_sort_block_merge_config_selectorIsNS0_10empty_typeEEEZZNS1_27merge_sort_block_merge_implIS3_PsPS5_jNS1_19radix_merge_compareILb0ELb0EsNS0_19identity_decomposerEEEEE10hipError_tT0_T1_T2_jT3_P12ihipStream_tbPNSt15iterator_traitsISE_E10value_typeEPNSK_ISF_E10value_typeEPSG_NS1_7vsmem_tEENKUlT_SE_SF_SG_E_clIS8_S8_S9_S9_EESD_ST_SE_SF_SG_EUlST_E0_NS1_11comp_targetILNS1_3genE9ELNS1_11target_archE1100ELNS1_3gpuE3ELNS1_3repE0EEENS1_38merge_mergepath_config_static_selectorELNS0_4arch9wavefront6targetE0EEEvSF_.has_recursion, 0
	.set _ZN7rocprim17ROCPRIM_400000_NS6detail17trampoline_kernelINS0_14default_configENS1_38merge_sort_block_merge_config_selectorIsNS0_10empty_typeEEEZZNS1_27merge_sort_block_merge_implIS3_PsPS5_jNS1_19radix_merge_compareILb0ELb0EsNS0_19identity_decomposerEEEEE10hipError_tT0_T1_T2_jT3_P12ihipStream_tbPNSt15iterator_traitsISE_E10value_typeEPNSK_ISF_E10value_typeEPSG_NS1_7vsmem_tEENKUlT_SE_SF_SG_E_clIS8_S8_S9_S9_EESD_ST_SE_SF_SG_EUlST_E0_NS1_11comp_targetILNS1_3genE9ELNS1_11target_archE1100ELNS1_3gpuE3ELNS1_3repE0EEENS1_38merge_mergepath_config_static_selectorELNS0_4arch9wavefront6targetE0EEEvSF_.has_indirect_call, 0
	.section	.AMDGPU.csdata,"",@progbits
; Kernel info:
; codeLenInByte = 0
; TotalNumSgprs: 0
; NumVgprs: 0
; ScratchSize: 0
; MemoryBound: 0
; FloatMode: 240
; IeeeMode: 1
; LDSByteSize: 0 bytes/workgroup (compile time only)
; SGPRBlocks: 0
; VGPRBlocks: 0
; NumSGPRsForWavesPerEU: 1
; NumVGPRsForWavesPerEU: 1
; NamedBarCnt: 0
; Occupancy: 16
; WaveLimiterHint : 0
; COMPUTE_PGM_RSRC2:SCRATCH_EN: 0
; COMPUTE_PGM_RSRC2:USER_SGPR: 2
; COMPUTE_PGM_RSRC2:TRAP_HANDLER: 0
; COMPUTE_PGM_RSRC2:TGID_X_EN: 1
; COMPUTE_PGM_RSRC2:TGID_Y_EN: 0
; COMPUTE_PGM_RSRC2:TGID_Z_EN: 0
; COMPUTE_PGM_RSRC2:TIDIG_COMP_CNT: 0
	.section	.text._ZN7rocprim17ROCPRIM_400000_NS6detail17trampoline_kernelINS0_14default_configENS1_38merge_sort_block_merge_config_selectorIsNS0_10empty_typeEEEZZNS1_27merge_sort_block_merge_implIS3_PsPS5_jNS1_19radix_merge_compareILb0ELb0EsNS0_19identity_decomposerEEEEE10hipError_tT0_T1_T2_jT3_P12ihipStream_tbPNSt15iterator_traitsISE_E10value_typeEPNSK_ISF_E10value_typeEPSG_NS1_7vsmem_tEENKUlT_SE_SF_SG_E_clIS8_S8_S9_S9_EESD_ST_SE_SF_SG_EUlST_E0_NS1_11comp_targetILNS1_3genE8ELNS1_11target_archE1030ELNS1_3gpuE2ELNS1_3repE0EEENS1_38merge_mergepath_config_static_selectorELNS0_4arch9wavefront6targetE0EEEvSF_,"axG",@progbits,_ZN7rocprim17ROCPRIM_400000_NS6detail17trampoline_kernelINS0_14default_configENS1_38merge_sort_block_merge_config_selectorIsNS0_10empty_typeEEEZZNS1_27merge_sort_block_merge_implIS3_PsPS5_jNS1_19radix_merge_compareILb0ELb0EsNS0_19identity_decomposerEEEEE10hipError_tT0_T1_T2_jT3_P12ihipStream_tbPNSt15iterator_traitsISE_E10value_typeEPNSK_ISF_E10value_typeEPSG_NS1_7vsmem_tEENKUlT_SE_SF_SG_E_clIS8_S8_S9_S9_EESD_ST_SE_SF_SG_EUlST_E0_NS1_11comp_targetILNS1_3genE8ELNS1_11target_archE1030ELNS1_3gpuE2ELNS1_3repE0EEENS1_38merge_mergepath_config_static_selectorELNS0_4arch9wavefront6targetE0EEEvSF_,comdat
	.protected	_ZN7rocprim17ROCPRIM_400000_NS6detail17trampoline_kernelINS0_14default_configENS1_38merge_sort_block_merge_config_selectorIsNS0_10empty_typeEEEZZNS1_27merge_sort_block_merge_implIS3_PsPS5_jNS1_19radix_merge_compareILb0ELb0EsNS0_19identity_decomposerEEEEE10hipError_tT0_T1_T2_jT3_P12ihipStream_tbPNSt15iterator_traitsISE_E10value_typeEPNSK_ISF_E10value_typeEPSG_NS1_7vsmem_tEENKUlT_SE_SF_SG_E_clIS8_S8_S9_S9_EESD_ST_SE_SF_SG_EUlST_E0_NS1_11comp_targetILNS1_3genE8ELNS1_11target_archE1030ELNS1_3gpuE2ELNS1_3repE0EEENS1_38merge_mergepath_config_static_selectorELNS0_4arch9wavefront6targetE0EEEvSF_ ; -- Begin function _ZN7rocprim17ROCPRIM_400000_NS6detail17trampoline_kernelINS0_14default_configENS1_38merge_sort_block_merge_config_selectorIsNS0_10empty_typeEEEZZNS1_27merge_sort_block_merge_implIS3_PsPS5_jNS1_19radix_merge_compareILb0ELb0EsNS0_19identity_decomposerEEEEE10hipError_tT0_T1_T2_jT3_P12ihipStream_tbPNSt15iterator_traitsISE_E10value_typeEPNSK_ISF_E10value_typeEPSG_NS1_7vsmem_tEENKUlT_SE_SF_SG_E_clIS8_S8_S9_S9_EESD_ST_SE_SF_SG_EUlST_E0_NS1_11comp_targetILNS1_3genE8ELNS1_11target_archE1030ELNS1_3gpuE2ELNS1_3repE0EEENS1_38merge_mergepath_config_static_selectorELNS0_4arch9wavefront6targetE0EEEvSF_
	.globl	_ZN7rocprim17ROCPRIM_400000_NS6detail17trampoline_kernelINS0_14default_configENS1_38merge_sort_block_merge_config_selectorIsNS0_10empty_typeEEEZZNS1_27merge_sort_block_merge_implIS3_PsPS5_jNS1_19radix_merge_compareILb0ELb0EsNS0_19identity_decomposerEEEEE10hipError_tT0_T1_T2_jT3_P12ihipStream_tbPNSt15iterator_traitsISE_E10value_typeEPNSK_ISF_E10value_typeEPSG_NS1_7vsmem_tEENKUlT_SE_SF_SG_E_clIS8_S8_S9_S9_EESD_ST_SE_SF_SG_EUlST_E0_NS1_11comp_targetILNS1_3genE8ELNS1_11target_archE1030ELNS1_3gpuE2ELNS1_3repE0EEENS1_38merge_mergepath_config_static_selectorELNS0_4arch9wavefront6targetE0EEEvSF_
	.p2align	8
	.type	_ZN7rocprim17ROCPRIM_400000_NS6detail17trampoline_kernelINS0_14default_configENS1_38merge_sort_block_merge_config_selectorIsNS0_10empty_typeEEEZZNS1_27merge_sort_block_merge_implIS3_PsPS5_jNS1_19radix_merge_compareILb0ELb0EsNS0_19identity_decomposerEEEEE10hipError_tT0_T1_T2_jT3_P12ihipStream_tbPNSt15iterator_traitsISE_E10value_typeEPNSK_ISF_E10value_typeEPSG_NS1_7vsmem_tEENKUlT_SE_SF_SG_E_clIS8_S8_S9_S9_EESD_ST_SE_SF_SG_EUlST_E0_NS1_11comp_targetILNS1_3genE8ELNS1_11target_archE1030ELNS1_3gpuE2ELNS1_3repE0EEENS1_38merge_mergepath_config_static_selectorELNS0_4arch9wavefront6targetE0EEEvSF_,@function
_ZN7rocprim17ROCPRIM_400000_NS6detail17trampoline_kernelINS0_14default_configENS1_38merge_sort_block_merge_config_selectorIsNS0_10empty_typeEEEZZNS1_27merge_sort_block_merge_implIS3_PsPS5_jNS1_19radix_merge_compareILb0ELb0EsNS0_19identity_decomposerEEEEE10hipError_tT0_T1_T2_jT3_P12ihipStream_tbPNSt15iterator_traitsISE_E10value_typeEPNSK_ISF_E10value_typeEPSG_NS1_7vsmem_tEENKUlT_SE_SF_SG_E_clIS8_S8_S9_S9_EESD_ST_SE_SF_SG_EUlST_E0_NS1_11comp_targetILNS1_3genE8ELNS1_11target_archE1030ELNS1_3gpuE2ELNS1_3repE0EEENS1_38merge_mergepath_config_static_selectorELNS0_4arch9wavefront6targetE0EEEvSF_: ; @_ZN7rocprim17ROCPRIM_400000_NS6detail17trampoline_kernelINS0_14default_configENS1_38merge_sort_block_merge_config_selectorIsNS0_10empty_typeEEEZZNS1_27merge_sort_block_merge_implIS3_PsPS5_jNS1_19radix_merge_compareILb0ELb0EsNS0_19identity_decomposerEEEEE10hipError_tT0_T1_T2_jT3_P12ihipStream_tbPNSt15iterator_traitsISE_E10value_typeEPNSK_ISF_E10value_typeEPSG_NS1_7vsmem_tEENKUlT_SE_SF_SG_E_clIS8_S8_S9_S9_EESD_ST_SE_SF_SG_EUlST_E0_NS1_11comp_targetILNS1_3genE8ELNS1_11target_archE1030ELNS1_3gpuE2ELNS1_3repE0EEENS1_38merge_mergepath_config_static_selectorELNS0_4arch9wavefront6targetE0EEEvSF_
; %bb.0:
	.section	.rodata,"a",@progbits
	.p2align	6, 0x0
	.amdhsa_kernel _ZN7rocprim17ROCPRIM_400000_NS6detail17trampoline_kernelINS0_14default_configENS1_38merge_sort_block_merge_config_selectorIsNS0_10empty_typeEEEZZNS1_27merge_sort_block_merge_implIS3_PsPS5_jNS1_19radix_merge_compareILb0ELb0EsNS0_19identity_decomposerEEEEE10hipError_tT0_T1_T2_jT3_P12ihipStream_tbPNSt15iterator_traitsISE_E10value_typeEPNSK_ISF_E10value_typeEPSG_NS1_7vsmem_tEENKUlT_SE_SF_SG_E_clIS8_S8_S9_S9_EESD_ST_SE_SF_SG_EUlST_E0_NS1_11comp_targetILNS1_3genE8ELNS1_11target_archE1030ELNS1_3gpuE2ELNS1_3repE0EEENS1_38merge_mergepath_config_static_selectorELNS0_4arch9wavefront6targetE0EEEvSF_
		.amdhsa_group_segment_fixed_size 0
		.amdhsa_private_segment_fixed_size 0
		.amdhsa_kernarg_size 64
		.amdhsa_user_sgpr_count 2
		.amdhsa_user_sgpr_dispatch_ptr 0
		.amdhsa_user_sgpr_queue_ptr 0
		.amdhsa_user_sgpr_kernarg_segment_ptr 1
		.amdhsa_user_sgpr_dispatch_id 0
		.amdhsa_user_sgpr_kernarg_preload_length 0
		.amdhsa_user_sgpr_kernarg_preload_offset 0
		.amdhsa_user_sgpr_private_segment_size 0
		.amdhsa_wavefront_size32 1
		.amdhsa_uses_dynamic_stack 0
		.amdhsa_enable_private_segment 0
		.amdhsa_system_sgpr_workgroup_id_x 1
		.amdhsa_system_sgpr_workgroup_id_y 0
		.amdhsa_system_sgpr_workgroup_id_z 0
		.amdhsa_system_sgpr_workgroup_info 0
		.amdhsa_system_vgpr_workitem_id 0
		.amdhsa_next_free_vgpr 1
		.amdhsa_next_free_sgpr 1
		.amdhsa_named_barrier_count 0
		.amdhsa_reserve_vcc 0
		.amdhsa_float_round_mode_32 0
		.amdhsa_float_round_mode_16_64 0
		.amdhsa_float_denorm_mode_32 3
		.amdhsa_float_denorm_mode_16_64 3
		.amdhsa_fp16_overflow 0
		.amdhsa_memory_ordered 1
		.amdhsa_forward_progress 1
		.amdhsa_inst_pref_size 0
		.amdhsa_round_robin_scheduling 0
		.amdhsa_exception_fp_ieee_invalid_op 0
		.amdhsa_exception_fp_denorm_src 0
		.amdhsa_exception_fp_ieee_div_zero 0
		.amdhsa_exception_fp_ieee_overflow 0
		.amdhsa_exception_fp_ieee_underflow 0
		.amdhsa_exception_fp_ieee_inexact 0
		.amdhsa_exception_int_div_zero 0
	.end_amdhsa_kernel
	.section	.text._ZN7rocprim17ROCPRIM_400000_NS6detail17trampoline_kernelINS0_14default_configENS1_38merge_sort_block_merge_config_selectorIsNS0_10empty_typeEEEZZNS1_27merge_sort_block_merge_implIS3_PsPS5_jNS1_19radix_merge_compareILb0ELb0EsNS0_19identity_decomposerEEEEE10hipError_tT0_T1_T2_jT3_P12ihipStream_tbPNSt15iterator_traitsISE_E10value_typeEPNSK_ISF_E10value_typeEPSG_NS1_7vsmem_tEENKUlT_SE_SF_SG_E_clIS8_S8_S9_S9_EESD_ST_SE_SF_SG_EUlST_E0_NS1_11comp_targetILNS1_3genE8ELNS1_11target_archE1030ELNS1_3gpuE2ELNS1_3repE0EEENS1_38merge_mergepath_config_static_selectorELNS0_4arch9wavefront6targetE0EEEvSF_,"axG",@progbits,_ZN7rocprim17ROCPRIM_400000_NS6detail17trampoline_kernelINS0_14default_configENS1_38merge_sort_block_merge_config_selectorIsNS0_10empty_typeEEEZZNS1_27merge_sort_block_merge_implIS3_PsPS5_jNS1_19radix_merge_compareILb0ELb0EsNS0_19identity_decomposerEEEEE10hipError_tT0_T1_T2_jT3_P12ihipStream_tbPNSt15iterator_traitsISE_E10value_typeEPNSK_ISF_E10value_typeEPSG_NS1_7vsmem_tEENKUlT_SE_SF_SG_E_clIS8_S8_S9_S9_EESD_ST_SE_SF_SG_EUlST_E0_NS1_11comp_targetILNS1_3genE8ELNS1_11target_archE1030ELNS1_3gpuE2ELNS1_3repE0EEENS1_38merge_mergepath_config_static_selectorELNS0_4arch9wavefront6targetE0EEEvSF_,comdat
.Lfunc_end662:
	.size	_ZN7rocprim17ROCPRIM_400000_NS6detail17trampoline_kernelINS0_14default_configENS1_38merge_sort_block_merge_config_selectorIsNS0_10empty_typeEEEZZNS1_27merge_sort_block_merge_implIS3_PsPS5_jNS1_19radix_merge_compareILb0ELb0EsNS0_19identity_decomposerEEEEE10hipError_tT0_T1_T2_jT3_P12ihipStream_tbPNSt15iterator_traitsISE_E10value_typeEPNSK_ISF_E10value_typeEPSG_NS1_7vsmem_tEENKUlT_SE_SF_SG_E_clIS8_S8_S9_S9_EESD_ST_SE_SF_SG_EUlST_E0_NS1_11comp_targetILNS1_3genE8ELNS1_11target_archE1030ELNS1_3gpuE2ELNS1_3repE0EEENS1_38merge_mergepath_config_static_selectorELNS0_4arch9wavefront6targetE0EEEvSF_, .Lfunc_end662-_ZN7rocprim17ROCPRIM_400000_NS6detail17trampoline_kernelINS0_14default_configENS1_38merge_sort_block_merge_config_selectorIsNS0_10empty_typeEEEZZNS1_27merge_sort_block_merge_implIS3_PsPS5_jNS1_19radix_merge_compareILb0ELb0EsNS0_19identity_decomposerEEEEE10hipError_tT0_T1_T2_jT3_P12ihipStream_tbPNSt15iterator_traitsISE_E10value_typeEPNSK_ISF_E10value_typeEPSG_NS1_7vsmem_tEENKUlT_SE_SF_SG_E_clIS8_S8_S9_S9_EESD_ST_SE_SF_SG_EUlST_E0_NS1_11comp_targetILNS1_3genE8ELNS1_11target_archE1030ELNS1_3gpuE2ELNS1_3repE0EEENS1_38merge_mergepath_config_static_selectorELNS0_4arch9wavefront6targetE0EEEvSF_
                                        ; -- End function
	.set _ZN7rocprim17ROCPRIM_400000_NS6detail17trampoline_kernelINS0_14default_configENS1_38merge_sort_block_merge_config_selectorIsNS0_10empty_typeEEEZZNS1_27merge_sort_block_merge_implIS3_PsPS5_jNS1_19radix_merge_compareILb0ELb0EsNS0_19identity_decomposerEEEEE10hipError_tT0_T1_T2_jT3_P12ihipStream_tbPNSt15iterator_traitsISE_E10value_typeEPNSK_ISF_E10value_typeEPSG_NS1_7vsmem_tEENKUlT_SE_SF_SG_E_clIS8_S8_S9_S9_EESD_ST_SE_SF_SG_EUlST_E0_NS1_11comp_targetILNS1_3genE8ELNS1_11target_archE1030ELNS1_3gpuE2ELNS1_3repE0EEENS1_38merge_mergepath_config_static_selectorELNS0_4arch9wavefront6targetE0EEEvSF_.num_vgpr, 0
	.set _ZN7rocprim17ROCPRIM_400000_NS6detail17trampoline_kernelINS0_14default_configENS1_38merge_sort_block_merge_config_selectorIsNS0_10empty_typeEEEZZNS1_27merge_sort_block_merge_implIS3_PsPS5_jNS1_19radix_merge_compareILb0ELb0EsNS0_19identity_decomposerEEEEE10hipError_tT0_T1_T2_jT3_P12ihipStream_tbPNSt15iterator_traitsISE_E10value_typeEPNSK_ISF_E10value_typeEPSG_NS1_7vsmem_tEENKUlT_SE_SF_SG_E_clIS8_S8_S9_S9_EESD_ST_SE_SF_SG_EUlST_E0_NS1_11comp_targetILNS1_3genE8ELNS1_11target_archE1030ELNS1_3gpuE2ELNS1_3repE0EEENS1_38merge_mergepath_config_static_selectorELNS0_4arch9wavefront6targetE0EEEvSF_.num_agpr, 0
	.set _ZN7rocprim17ROCPRIM_400000_NS6detail17trampoline_kernelINS0_14default_configENS1_38merge_sort_block_merge_config_selectorIsNS0_10empty_typeEEEZZNS1_27merge_sort_block_merge_implIS3_PsPS5_jNS1_19radix_merge_compareILb0ELb0EsNS0_19identity_decomposerEEEEE10hipError_tT0_T1_T2_jT3_P12ihipStream_tbPNSt15iterator_traitsISE_E10value_typeEPNSK_ISF_E10value_typeEPSG_NS1_7vsmem_tEENKUlT_SE_SF_SG_E_clIS8_S8_S9_S9_EESD_ST_SE_SF_SG_EUlST_E0_NS1_11comp_targetILNS1_3genE8ELNS1_11target_archE1030ELNS1_3gpuE2ELNS1_3repE0EEENS1_38merge_mergepath_config_static_selectorELNS0_4arch9wavefront6targetE0EEEvSF_.numbered_sgpr, 0
	.set _ZN7rocprim17ROCPRIM_400000_NS6detail17trampoline_kernelINS0_14default_configENS1_38merge_sort_block_merge_config_selectorIsNS0_10empty_typeEEEZZNS1_27merge_sort_block_merge_implIS3_PsPS5_jNS1_19radix_merge_compareILb0ELb0EsNS0_19identity_decomposerEEEEE10hipError_tT0_T1_T2_jT3_P12ihipStream_tbPNSt15iterator_traitsISE_E10value_typeEPNSK_ISF_E10value_typeEPSG_NS1_7vsmem_tEENKUlT_SE_SF_SG_E_clIS8_S8_S9_S9_EESD_ST_SE_SF_SG_EUlST_E0_NS1_11comp_targetILNS1_3genE8ELNS1_11target_archE1030ELNS1_3gpuE2ELNS1_3repE0EEENS1_38merge_mergepath_config_static_selectorELNS0_4arch9wavefront6targetE0EEEvSF_.num_named_barrier, 0
	.set _ZN7rocprim17ROCPRIM_400000_NS6detail17trampoline_kernelINS0_14default_configENS1_38merge_sort_block_merge_config_selectorIsNS0_10empty_typeEEEZZNS1_27merge_sort_block_merge_implIS3_PsPS5_jNS1_19radix_merge_compareILb0ELb0EsNS0_19identity_decomposerEEEEE10hipError_tT0_T1_T2_jT3_P12ihipStream_tbPNSt15iterator_traitsISE_E10value_typeEPNSK_ISF_E10value_typeEPSG_NS1_7vsmem_tEENKUlT_SE_SF_SG_E_clIS8_S8_S9_S9_EESD_ST_SE_SF_SG_EUlST_E0_NS1_11comp_targetILNS1_3genE8ELNS1_11target_archE1030ELNS1_3gpuE2ELNS1_3repE0EEENS1_38merge_mergepath_config_static_selectorELNS0_4arch9wavefront6targetE0EEEvSF_.private_seg_size, 0
	.set _ZN7rocprim17ROCPRIM_400000_NS6detail17trampoline_kernelINS0_14default_configENS1_38merge_sort_block_merge_config_selectorIsNS0_10empty_typeEEEZZNS1_27merge_sort_block_merge_implIS3_PsPS5_jNS1_19radix_merge_compareILb0ELb0EsNS0_19identity_decomposerEEEEE10hipError_tT0_T1_T2_jT3_P12ihipStream_tbPNSt15iterator_traitsISE_E10value_typeEPNSK_ISF_E10value_typeEPSG_NS1_7vsmem_tEENKUlT_SE_SF_SG_E_clIS8_S8_S9_S9_EESD_ST_SE_SF_SG_EUlST_E0_NS1_11comp_targetILNS1_3genE8ELNS1_11target_archE1030ELNS1_3gpuE2ELNS1_3repE0EEENS1_38merge_mergepath_config_static_selectorELNS0_4arch9wavefront6targetE0EEEvSF_.uses_vcc, 0
	.set _ZN7rocprim17ROCPRIM_400000_NS6detail17trampoline_kernelINS0_14default_configENS1_38merge_sort_block_merge_config_selectorIsNS0_10empty_typeEEEZZNS1_27merge_sort_block_merge_implIS3_PsPS5_jNS1_19radix_merge_compareILb0ELb0EsNS0_19identity_decomposerEEEEE10hipError_tT0_T1_T2_jT3_P12ihipStream_tbPNSt15iterator_traitsISE_E10value_typeEPNSK_ISF_E10value_typeEPSG_NS1_7vsmem_tEENKUlT_SE_SF_SG_E_clIS8_S8_S9_S9_EESD_ST_SE_SF_SG_EUlST_E0_NS1_11comp_targetILNS1_3genE8ELNS1_11target_archE1030ELNS1_3gpuE2ELNS1_3repE0EEENS1_38merge_mergepath_config_static_selectorELNS0_4arch9wavefront6targetE0EEEvSF_.uses_flat_scratch, 0
	.set _ZN7rocprim17ROCPRIM_400000_NS6detail17trampoline_kernelINS0_14default_configENS1_38merge_sort_block_merge_config_selectorIsNS0_10empty_typeEEEZZNS1_27merge_sort_block_merge_implIS3_PsPS5_jNS1_19radix_merge_compareILb0ELb0EsNS0_19identity_decomposerEEEEE10hipError_tT0_T1_T2_jT3_P12ihipStream_tbPNSt15iterator_traitsISE_E10value_typeEPNSK_ISF_E10value_typeEPSG_NS1_7vsmem_tEENKUlT_SE_SF_SG_E_clIS8_S8_S9_S9_EESD_ST_SE_SF_SG_EUlST_E0_NS1_11comp_targetILNS1_3genE8ELNS1_11target_archE1030ELNS1_3gpuE2ELNS1_3repE0EEENS1_38merge_mergepath_config_static_selectorELNS0_4arch9wavefront6targetE0EEEvSF_.has_dyn_sized_stack, 0
	.set _ZN7rocprim17ROCPRIM_400000_NS6detail17trampoline_kernelINS0_14default_configENS1_38merge_sort_block_merge_config_selectorIsNS0_10empty_typeEEEZZNS1_27merge_sort_block_merge_implIS3_PsPS5_jNS1_19radix_merge_compareILb0ELb0EsNS0_19identity_decomposerEEEEE10hipError_tT0_T1_T2_jT3_P12ihipStream_tbPNSt15iterator_traitsISE_E10value_typeEPNSK_ISF_E10value_typeEPSG_NS1_7vsmem_tEENKUlT_SE_SF_SG_E_clIS8_S8_S9_S9_EESD_ST_SE_SF_SG_EUlST_E0_NS1_11comp_targetILNS1_3genE8ELNS1_11target_archE1030ELNS1_3gpuE2ELNS1_3repE0EEENS1_38merge_mergepath_config_static_selectorELNS0_4arch9wavefront6targetE0EEEvSF_.has_recursion, 0
	.set _ZN7rocprim17ROCPRIM_400000_NS6detail17trampoline_kernelINS0_14default_configENS1_38merge_sort_block_merge_config_selectorIsNS0_10empty_typeEEEZZNS1_27merge_sort_block_merge_implIS3_PsPS5_jNS1_19radix_merge_compareILb0ELb0EsNS0_19identity_decomposerEEEEE10hipError_tT0_T1_T2_jT3_P12ihipStream_tbPNSt15iterator_traitsISE_E10value_typeEPNSK_ISF_E10value_typeEPSG_NS1_7vsmem_tEENKUlT_SE_SF_SG_E_clIS8_S8_S9_S9_EESD_ST_SE_SF_SG_EUlST_E0_NS1_11comp_targetILNS1_3genE8ELNS1_11target_archE1030ELNS1_3gpuE2ELNS1_3repE0EEENS1_38merge_mergepath_config_static_selectorELNS0_4arch9wavefront6targetE0EEEvSF_.has_indirect_call, 0
	.section	.AMDGPU.csdata,"",@progbits
; Kernel info:
; codeLenInByte = 0
; TotalNumSgprs: 0
; NumVgprs: 0
; ScratchSize: 0
; MemoryBound: 0
; FloatMode: 240
; IeeeMode: 1
; LDSByteSize: 0 bytes/workgroup (compile time only)
; SGPRBlocks: 0
; VGPRBlocks: 0
; NumSGPRsForWavesPerEU: 1
; NumVGPRsForWavesPerEU: 1
; NamedBarCnt: 0
; Occupancy: 16
; WaveLimiterHint : 0
; COMPUTE_PGM_RSRC2:SCRATCH_EN: 0
; COMPUTE_PGM_RSRC2:USER_SGPR: 2
; COMPUTE_PGM_RSRC2:TRAP_HANDLER: 0
; COMPUTE_PGM_RSRC2:TGID_X_EN: 1
; COMPUTE_PGM_RSRC2:TGID_Y_EN: 0
; COMPUTE_PGM_RSRC2:TGID_Z_EN: 0
; COMPUTE_PGM_RSRC2:TIDIG_COMP_CNT: 0
	.section	.text._ZN7rocprim17ROCPRIM_400000_NS6detail17trampoline_kernelINS0_14default_configENS1_38merge_sort_block_merge_config_selectorIsNS0_10empty_typeEEEZZNS1_27merge_sort_block_merge_implIS3_PsPS5_jNS1_19radix_merge_compareILb0ELb0EsNS0_19identity_decomposerEEEEE10hipError_tT0_T1_T2_jT3_P12ihipStream_tbPNSt15iterator_traitsISE_E10value_typeEPNSK_ISF_E10value_typeEPSG_NS1_7vsmem_tEENKUlT_SE_SF_SG_E_clIS8_S8_S9_S9_EESD_ST_SE_SF_SG_EUlST_E1_NS1_11comp_targetILNS1_3genE0ELNS1_11target_archE4294967295ELNS1_3gpuE0ELNS1_3repE0EEENS1_36merge_oddeven_config_static_selectorELNS0_4arch9wavefront6targetE0EEEvSF_,"axG",@progbits,_ZN7rocprim17ROCPRIM_400000_NS6detail17trampoline_kernelINS0_14default_configENS1_38merge_sort_block_merge_config_selectorIsNS0_10empty_typeEEEZZNS1_27merge_sort_block_merge_implIS3_PsPS5_jNS1_19radix_merge_compareILb0ELb0EsNS0_19identity_decomposerEEEEE10hipError_tT0_T1_T2_jT3_P12ihipStream_tbPNSt15iterator_traitsISE_E10value_typeEPNSK_ISF_E10value_typeEPSG_NS1_7vsmem_tEENKUlT_SE_SF_SG_E_clIS8_S8_S9_S9_EESD_ST_SE_SF_SG_EUlST_E1_NS1_11comp_targetILNS1_3genE0ELNS1_11target_archE4294967295ELNS1_3gpuE0ELNS1_3repE0EEENS1_36merge_oddeven_config_static_selectorELNS0_4arch9wavefront6targetE0EEEvSF_,comdat
	.protected	_ZN7rocprim17ROCPRIM_400000_NS6detail17trampoline_kernelINS0_14default_configENS1_38merge_sort_block_merge_config_selectorIsNS0_10empty_typeEEEZZNS1_27merge_sort_block_merge_implIS3_PsPS5_jNS1_19radix_merge_compareILb0ELb0EsNS0_19identity_decomposerEEEEE10hipError_tT0_T1_T2_jT3_P12ihipStream_tbPNSt15iterator_traitsISE_E10value_typeEPNSK_ISF_E10value_typeEPSG_NS1_7vsmem_tEENKUlT_SE_SF_SG_E_clIS8_S8_S9_S9_EESD_ST_SE_SF_SG_EUlST_E1_NS1_11comp_targetILNS1_3genE0ELNS1_11target_archE4294967295ELNS1_3gpuE0ELNS1_3repE0EEENS1_36merge_oddeven_config_static_selectorELNS0_4arch9wavefront6targetE0EEEvSF_ ; -- Begin function _ZN7rocprim17ROCPRIM_400000_NS6detail17trampoline_kernelINS0_14default_configENS1_38merge_sort_block_merge_config_selectorIsNS0_10empty_typeEEEZZNS1_27merge_sort_block_merge_implIS3_PsPS5_jNS1_19radix_merge_compareILb0ELb0EsNS0_19identity_decomposerEEEEE10hipError_tT0_T1_T2_jT3_P12ihipStream_tbPNSt15iterator_traitsISE_E10value_typeEPNSK_ISF_E10value_typeEPSG_NS1_7vsmem_tEENKUlT_SE_SF_SG_E_clIS8_S8_S9_S9_EESD_ST_SE_SF_SG_EUlST_E1_NS1_11comp_targetILNS1_3genE0ELNS1_11target_archE4294967295ELNS1_3gpuE0ELNS1_3repE0EEENS1_36merge_oddeven_config_static_selectorELNS0_4arch9wavefront6targetE0EEEvSF_
	.globl	_ZN7rocprim17ROCPRIM_400000_NS6detail17trampoline_kernelINS0_14default_configENS1_38merge_sort_block_merge_config_selectorIsNS0_10empty_typeEEEZZNS1_27merge_sort_block_merge_implIS3_PsPS5_jNS1_19radix_merge_compareILb0ELb0EsNS0_19identity_decomposerEEEEE10hipError_tT0_T1_T2_jT3_P12ihipStream_tbPNSt15iterator_traitsISE_E10value_typeEPNSK_ISF_E10value_typeEPSG_NS1_7vsmem_tEENKUlT_SE_SF_SG_E_clIS8_S8_S9_S9_EESD_ST_SE_SF_SG_EUlST_E1_NS1_11comp_targetILNS1_3genE0ELNS1_11target_archE4294967295ELNS1_3gpuE0ELNS1_3repE0EEENS1_36merge_oddeven_config_static_selectorELNS0_4arch9wavefront6targetE0EEEvSF_
	.p2align	8
	.type	_ZN7rocprim17ROCPRIM_400000_NS6detail17trampoline_kernelINS0_14default_configENS1_38merge_sort_block_merge_config_selectorIsNS0_10empty_typeEEEZZNS1_27merge_sort_block_merge_implIS3_PsPS5_jNS1_19radix_merge_compareILb0ELb0EsNS0_19identity_decomposerEEEEE10hipError_tT0_T1_T2_jT3_P12ihipStream_tbPNSt15iterator_traitsISE_E10value_typeEPNSK_ISF_E10value_typeEPSG_NS1_7vsmem_tEENKUlT_SE_SF_SG_E_clIS8_S8_S9_S9_EESD_ST_SE_SF_SG_EUlST_E1_NS1_11comp_targetILNS1_3genE0ELNS1_11target_archE4294967295ELNS1_3gpuE0ELNS1_3repE0EEENS1_36merge_oddeven_config_static_selectorELNS0_4arch9wavefront6targetE0EEEvSF_,@function
_ZN7rocprim17ROCPRIM_400000_NS6detail17trampoline_kernelINS0_14default_configENS1_38merge_sort_block_merge_config_selectorIsNS0_10empty_typeEEEZZNS1_27merge_sort_block_merge_implIS3_PsPS5_jNS1_19radix_merge_compareILb0ELb0EsNS0_19identity_decomposerEEEEE10hipError_tT0_T1_T2_jT3_P12ihipStream_tbPNSt15iterator_traitsISE_E10value_typeEPNSK_ISF_E10value_typeEPSG_NS1_7vsmem_tEENKUlT_SE_SF_SG_E_clIS8_S8_S9_S9_EESD_ST_SE_SF_SG_EUlST_E1_NS1_11comp_targetILNS1_3genE0ELNS1_11target_archE4294967295ELNS1_3gpuE0ELNS1_3repE0EEENS1_36merge_oddeven_config_static_selectorELNS0_4arch9wavefront6targetE0EEEvSF_: ; @_ZN7rocprim17ROCPRIM_400000_NS6detail17trampoline_kernelINS0_14default_configENS1_38merge_sort_block_merge_config_selectorIsNS0_10empty_typeEEEZZNS1_27merge_sort_block_merge_implIS3_PsPS5_jNS1_19radix_merge_compareILb0ELb0EsNS0_19identity_decomposerEEEEE10hipError_tT0_T1_T2_jT3_P12ihipStream_tbPNSt15iterator_traitsISE_E10value_typeEPNSK_ISF_E10value_typeEPSG_NS1_7vsmem_tEENKUlT_SE_SF_SG_E_clIS8_S8_S9_S9_EESD_ST_SE_SF_SG_EUlST_E1_NS1_11comp_targetILNS1_3genE0ELNS1_11target_archE4294967295ELNS1_3gpuE0ELNS1_3repE0EEENS1_36merge_oddeven_config_static_selectorELNS0_4arch9wavefront6targetE0EEEvSF_
; %bb.0:
	s_load_b32 s10, s[0:1], 0x20
	s_bfe_u32 s2, ttmp6, 0x4000c
	s_and_b32 s3, ttmp6, 15
	s_add_co_i32 s2, s2, 1
	s_getreg_b32 s4, hwreg(HW_REG_IB_STS2, 6, 4)
	s_mul_i32 s2, ttmp9, s2
	s_mov_b32 s9, 0
	s_add_co_i32 s3, s3, s2
	s_cmp_eq_u32 s4, 0
	s_cselect_b32 s13, ttmp9, s3
	s_wait_kmcnt 0x0
	s_lshr_b32 s2, s10, 8
	s_delay_alu instid0(SALU_CYCLE_1) | instskip(SKIP_4) | instid1(SALU_CYCLE_1)
	s_cmp_lg_u32 s13, s2
	s_cselect_b32 s3, -1, 0
	s_cmp_eq_u32 s13, s2
	s_cselect_b32 s11, -1, 0
	s_lshl_b32 s8, s13, 8
	s_sub_co_i32 s2, s10, s8
	s_delay_alu instid0(SALU_CYCLE_1) | instskip(SKIP_1) | instid1(SALU_CYCLE_1)
	v_cmp_gt_u32_e64 s2, s2, v0
	s_or_b32 s4, s3, s2
	s_and_saveexec_b32 s5, s4
	s_cbranch_execz .LBB663_20
; %bb.1:
	s_clause 0x1
	s_load_b128 s[4:7], s[0:1], 0x0
	s_load_b32 s12, s[0:1], 0x24
	s_lshl_b64 s[14:15], s[8:9], 1
	v_add_nc_u32_e32 v2, s8, v0
	s_wait_kmcnt 0x0
	s_add_nc_u64 s[0:1], s[4:5], s[14:15]
	global_load_u16 v1, v0, s[0:1] scale_offset
	s_wait_xcnt 0x0
	s_lshr_b32 s0, s12, 8
	s_delay_alu instid0(SALU_CYCLE_1) | instskip(NEXT) | instid1(SALU_CYCLE_1)
	s_sub_co_i32 s1, 0, s0
	s_and_b32 s1, s13, s1
	s_delay_alu instid0(SALU_CYCLE_1) | instskip(SKIP_4) | instid1(SALU_CYCLE_1)
	s_and_b32 s0, s1, s0
	s_lshl_b32 s13, s1, 8
	s_sub_co_i32 s1, 0, s12
	s_cmp_eq_u32 s0, 0
	s_cselect_b32 s0, -1, 0
	s_and_b32 s14, s0, exec_lo
	s_cselect_b32 s1, s12, s1
	s_delay_alu instid0(SALU_CYCLE_1) | instskip(NEXT) | instid1(SALU_CYCLE_1)
	s_add_co_i32 s1, s1, s13
	s_cmp_gt_u32 s10, s1
	s_cbranch_scc1 .LBB663_3
; %bb.2:
	v_cmp_gt_u32_e32 vcc_lo, s10, v2
	s_or_b32 s8, vcc_lo, s3
	s_delay_alu instid0(SALU_CYCLE_1)
	s_and_b32 s9, s8, exec_lo
	s_cbranch_execz .LBB663_4
	s_branch .LBB663_18
.LBB663_3:
.LBB663_4:
	s_min_u32 s3, s1, s10
	s_and_b32 vcc_lo, exec_lo, s11
	s_add_co_i32 s8, s13, s3
	s_add_co_i32 s12, s3, s12
	v_subrev_nc_u32_e32 v0, s8, v2
	s_min_u32 s8, s13, s3
	s_delay_alu instid0(VALU_DEP_1) | instid1(SALU_CYCLE_1)
	v_add_nc_u32_e32 v0, s8, v0
	s_min_u32 s8, s12, s10
	s_cbranch_vccz .LBB663_12
; %bb.5:
                                        ; implicit-def: $vgpr2
	s_and_saveexec_b32 s10, s2
	s_cbranch_execz .LBB663_11
; %bb.6:
	v_mov_b32_e32 v2, s3
	s_cmp_ge_u32 s1, s8
	s_cbranch_scc1 .LBB663_10
; %bb.7:
	v_dual_mov_b32 v3, s8 :: v_dual_mov_b32 v2, s3
	s_mov_b32 s2, 0
.LBB663_8:                              ; =>This Inner Loop Header: Depth=1
	s_delay_alu instid0(VALU_DEP_1) | instskip(NEXT) | instid1(VALU_DEP_1)
	v_add_nc_u32_e32 v4, v2, v3
	v_and_b32_e32 v5, -2, v4
	global_load_u16 v5, v5, s[4:5]
	s_wait_loadcnt 0x0
	v_cmp_gt_i16_e32 vcc_lo, v1, v5
	v_cndmask_b32_e64 v6, 0, 1, vcc_lo
	v_cmp_le_i16_e32 vcc_lo, v5, v1
	v_cndmask_b32_e64 v5, 0, 1, vcc_lo
	s_delay_alu instid0(VALU_DEP_1) | instskip(NEXT) | instid1(VALU_DEP_1)
	v_dual_cndmask_b32 v5, v5, v6, s0 :: v_dual_lshrrev_b32 v4, 1, v4
	v_dual_add_nc_u32 v6, 1, v4 :: v_dual_bitop2_b32 v5, 1, v5 bitop3:0x40
	s_delay_alu instid0(VALU_DEP_1) | instskip(NEXT) | instid1(VALU_DEP_2)
	v_cmp_eq_u32_e32 vcc_lo, 1, v5
	v_dual_cndmask_b32 v3, v4, v3 :: v_dual_cndmask_b32 v2, v2, v6
	s_delay_alu instid0(VALU_DEP_1) | instskip(SKIP_1) | instid1(SALU_CYCLE_1)
	v_cmp_ge_u32_e32 vcc_lo, v2, v3
	s_or_b32 s2, vcc_lo, s2
	s_and_not1_b32 exec_lo, exec_lo, s2
	s_cbranch_execnz .LBB663_8
; %bb.9:
	s_or_b32 exec_lo, exec_lo, s2
.LBB663_10:
	s_delay_alu instid0(VALU_DEP_1)
	v_add_nc_u32_e32 v2, v2, v0
	s_or_b32 s9, s9, exec_lo
.LBB663_11:
	s_or_b32 exec_lo, exec_lo, s10
	s_branch .LBB663_18
.LBB663_12:
                                        ; implicit-def: $vgpr2
	s_cbranch_execz .LBB663_18
; %bb.13:
	v_mov_b32_e32 v2, s3
	s_cmp_ge_u32 s1, s8
	s_cbranch_scc1 .LBB663_17
; %bb.14:
	v_dual_mov_b32 v3, s8 :: v_dual_mov_b32 v2, s3
	s_mov_b32 s1, 0
.LBB663_15:                             ; =>This Inner Loop Header: Depth=1
	s_delay_alu instid0(VALU_DEP_1) | instskip(NEXT) | instid1(VALU_DEP_1)
	v_add_nc_u32_e32 v4, v2, v3
	v_and_b32_e32 v5, -2, v4
	global_load_u16 v5, v5, s[4:5]
	s_wait_loadcnt 0x0
	v_cmp_gt_i16_e32 vcc_lo, v1, v5
	v_cndmask_b32_e64 v6, 0, 1, vcc_lo
	v_cmp_le_i16_e32 vcc_lo, v5, v1
	v_cndmask_b32_e64 v5, 0, 1, vcc_lo
	s_delay_alu instid0(VALU_DEP_1) | instskip(NEXT) | instid1(VALU_DEP_1)
	v_dual_cndmask_b32 v5, v5, v6, s0 :: v_dual_lshrrev_b32 v4, 1, v4
	v_dual_add_nc_u32 v6, 1, v4 :: v_dual_bitop2_b32 v5, 1, v5 bitop3:0x40
	s_delay_alu instid0(VALU_DEP_1) | instskip(NEXT) | instid1(VALU_DEP_2)
	v_cmp_eq_u32_e32 vcc_lo, 1, v5
	v_dual_cndmask_b32 v3, v4, v3 :: v_dual_cndmask_b32 v2, v2, v6
	s_delay_alu instid0(VALU_DEP_1) | instskip(SKIP_1) | instid1(SALU_CYCLE_1)
	v_cmp_ge_u32_e32 vcc_lo, v2, v3
	s_or_b32 s1, vcc_lo, s1
	s_and_not1_b32 exec_lo, exec_lo, s1
	s_cbranch_execnz .LBB663_15
; %bb.16:
	s_or_b32 exec_lo, exec_lo, s1
.LBB663_17:
	s_delay_alu instid0(VALU_DEP_1)
	v_add_nc_u32_e32 v2, v2, v0
	s_mov_b32 s9, -1
.LBB663_18:
	s_delay_alu instid0(SALU_CYCLE_1)
	s_and_b32 exec_lo, exec_lo, s9
	s_cbranch_execz .LBB663_20
; %bb.19:
	s_wait_loadcnt 0x0
	global_store_b16 v2, v1, s[6:7] scale_offset
.LBB663_20:
	s_endpgm
	.section	.rodata,"a",@progbits
	.p2align	6, 0x0
	.amdhsa_kernel _ZN7rocprim17ROCPRIM_400000_NS6detail17trampoline_kernelINS0_14default_configENS1_38merge_sort_block_merge_config_selectorIsNS0_10empty_typeEEEZZNS1_27merge_sort_block_merge_implIS3_PsPS5_jNS1_19radix_merge_compareILb0ELb0EsNS0_19identity_decomposerEEEEE10hipError_tT0_T1_T2_jT3_P12ihipStream_tbPNSt15iterator_traitsISE_E10value_typeEPNSK_ISF_E10value_typeEPSG_NS1_7vsmem_tEENKUlT_SE_SF_SG_E_clIS8_S8_S9_S9_EESD_ST_SE_SF_SG_EUlST_E1_NS1_11comp_targetILNS1_3genE0ELNS1_11target_archE4294967295ELNS1_3gpuE0ELNS1_3repE0EEENS1_36merge_oddeven_config_static_selectorELNS0_4arch9wavefront6targetE0EEEvSF_
		.amdhsa_group_segment_fixed_size 0
		.amdhsa_private_segment_fixed_size 0
		.amdhsa_kernarg_size 48
		.amdhsa_user_sgpr_count 2
		.amdhsa_user_sgpr_dispatch_ptr 0
		.amdhsa_user_sgpr_queue_ptr 0
		.amdhsa_user_sgpr_kernarg_segment_ptr 1
		.amdhsa_user_sgpr_dispatch_id 0
		.amdhsa_user_sgpr_kernarg_preload_length 0
		.amdhsa_user_sgpr_kernarg_preload_offset 0
		.amdhsa_user_sgpr_private_segment_size 0
		.amdhsa_wavefront_size32 1
		.amdhsa_uses_dynamic_stack 0
		.amdhsa_enable_private_segment 0
		.amdhsa_system_sgpr_workgroup_id_x 1
		.amdhsa_system_sgpr_workgroup_id_y 0
		.amdhsa_system_sgpr_workgroup_id_z 0
		.amdhsa_system_sgpr_workgroup_info 0
		.amdhsa_system_vgpr_workitem_id 0
		.amdhsa_next_free_vgpr 7
		.amdhsa_next_free_sgpr 16
		.amdhsa_named_barrier_count 0
		.amdhsa_reserve_vcc 1
		.amdhsa_float_round_mode_32 0
		.amdhsa_float_round_mode_16_64 0
		.amdhsa_float_denorm_mode_32 3
		.amdhsa_float_denorm_mode_16_64 3
		.amdhsa_fp16_overflow 0
		.amdhsa_memory_ordered 1
		.amdhsa_forward_progress 1
		.amdhsa_inst_pref_size 6
		.amdhsa_round_robin_scheduling 0
		.amdhsa_exception_fp_ieee_invalid_op 0
		.amdhsa_exception_fp_denorm_src 0
		.amdhsa_exception_fp_ieee_div_zero 0
		.amdhsa_exception_fp_ieee_overflow 0
		.amdhsa_exception_fp_ieee_underflow 0
		.amdhsa_exception_fp_ieee_inexact 0
		.amdhsa_exception_int_div_zero 0
	.end_amdhsa_kernel
	.section	.text._ZN7rocprim17ROCPRIM_400000_NS6detail17trampoline_kernelINS0_14default_configENS1_38merge_sort_block_merge_config_selectorIsNS0_10empty_typeEEEZZNS1_27merge_sort_block_merge_implIS3_PsPS5_jNS1_19radix_merge_compareILb0ELb0EsNS0_19identity_decomposerEEEEE10hipError_tT0_T1_T2_jT3_P12ihipStream_tbPNSt15iterator_traitsISE_E10value_typeEPNSK_ISF_E10value_typeEPSG_NS1_7vsmem_tEENKUlT_SE_SF_SG_E_clIS8_S8_S9_S9_EESD_ST_SE_SF_SG_EUlST_E1_NS1_11comp_targetILNS1_3genE0ELNS1_11target_archE4294967295ELNS1_3gpuE0ELNS1_3repE0EEENS1_36merge_oddeven_config_static_selectorELNS0_4arch9wavefront6targetE0EEEvSF_,"axG",@progbits,_ZN7rocprim17ROCPRIM_400000_NS6detail17trampoline_kernelINS0_14default_configENS1_38merge_sort_block_merge_config_selectorIsNS0_10empty_typeEEEZZNS1_27merge_sort_block_merge_implIS3_PsPS5_jNS1_19radix_merge_compareILb0ELb0EsNS0_19identity_decomposerEEEEE10hipError_tT0_T1_T2_jT3_P12ihipStream_tbPNSt15iterator_traitsISE_E10value_typeEPNSK_ISF_E10value_typeEPSG_NS1_7vsmem_tEENKUlT_SE_SF_SG_E_clIS8_S8_S9_S9_EESD_ST_SE_SF_SG_EUlST_E1_NS1_11comp_targetILNS1_3genE0ELNS1_11target_archE4294967295ELNS1_3gpuE0ELNS1_3repE0EEENS1_36merge_oddeven_config_static_selectorELNS0_4arch9wavefront6targetE0EEEvSF_,comdat
.Lfunc_end663:
	.size	_ZN7rocprim17ROCPRIM_400000_NS6detail17trampoline_kernelINS0_14default_configENS1_38merge_sort_block_merge_config_selectorIsNS0_10empty_typeEEEZZNS1_27merge_sort_block_merge_implIS3_PsPS5_jNS1_19radix_merge_compareILb0ELb0EsNS0_19identity_decomposerEEEEE10hipError_tT0_T1_T2_jT3_P12ihipStream_tbPNSt15iterator_traitsISE_E10value_typeEPNSK_ISF_E10value_typeEPSG_NS1_7vsmem_tEENKUlT_SE_SF_SG_E_clIS8_S8_S9_S9_EESD_ST_SE_SF_SG_EUlST_E1_NS1_11comp_targetILNS1_3genE0ELNS1_11target_archE4294967295ELNS1_3gpuE0ELNS1_3repE0EEENS1_36merge_oddeven_config_static_selectorELNS0_4arch9wavefront6targetE0EEEvSF_, .Lfunc_end663-_ZN7rocprim17ROCPRIM_400000_NS6detail17trampoline_kernelINS0_14default_configENS1_38merge_sort_block_merge_config_selectorIsNS0_10empty_typeEEEZZNS1_27merge_sort_block_merge_implIS3_PsPS5_jNS1_19radix_merge_compareILb0ELb0EsNS0_19identity_decomposerEEEEE10hipError_tT0_T1_T2_jT3_P12ihipStream_tbPNSt15iterator_traitsISE_E10value_typeEPNSK_ISF_E10value_typeEPSG_NS1_7vsmem_tEENKUlT_SE_SF_SG_E_clIS8_S8_S9_S9_EESD_ST_SE_SF_SG_EUlST_E1_NS1_11comp_targetILNS1_3genE0ELNS1_11target_archE4294967295ELNS1_3gpuE0ELNS1_3repE0EEENS1_36merge_oddeven_config_static_selectorELNS0_4arch9wavefront6targetE0EEEvSF_
                                        ; -- End function
	.set _ZN7rocprim17ROCPRIM_400000_NS6detail17trampoline_kernelINS0_14default_configENS1_38merge_sort_block_merge_config_selectorIsNS0_10empty_typeEEEZZNS1_27merge_sort_block_merge_implIS3_PsPS5_jNS1_19radix_merge_compareILb0ELb0EsNS0_19identity_decomposerEEEEE10hipError_tT0_T1_T2_jT3_P12ihipStream_tbPNSt15iterator_traitsISE_E10value_typeEPNSK_ISF_E10value_typeEPSG_NS1_7vsmem_tEENKUlT_SE_SF_SG_E_clIS8_S8_S9_S9_EESD_ST_SE_SF_SG_EUlST_E1_NS1_11comp_targetILNS1_3genE0ELNS1_11target_archE4294967295ELNS1_3gpuE0ELNS1_3repE0EEENS1_36merge_oddeven_config_static_selectorELNS0_4arch9wavefront6targetE0EEEvSF_.num_vgpr, 7
	.set _ZN7rocprim17ROCPRIM_400000_NS6detail17trampoline_kernelINS0_14default_configENS1_38merge_sort_block_merge_config_selectorIsNS0_10empty_typeEEEZZNS1_27merge_sort_block_merge_implIS3_PsPS5_jNS1_19radix_merge_compareILb0ELb0EsNS0_19identity_decomposerEEEEE10hipError_tT0_T1_T2_jT3_P12ihipStream_tbPNSt15iterator_traitsISE_E10value_typeEPNSK_ISF_E10value_typeEPSG_NS1_7vsmem_tEENKUlT_SE_SF_SG_E_clIS8_S8_S9_S9_EESD_ST_SE_SF_SG_EUlST_E1_NS1_11comp_targetILNS1_3genE0ELNS1_11target_archE4294967295ELNS1_3gpuE0ELNS1_3repE0EEENS1_36merge_oddeven_config_static_selectorELNS0_4arch9wavefront6targetE0EEEvSF_.num_agpr, 0
	.set _ZN7rocprim17ROCPRIM_400000_NS6detail17trampoline_kernelINS0_14default_configENS1_38merge_sort_block_merge_config_selectorIsNS0_10empty_typeEEEZZNS1_27merge_sort_block_merge_implIS3_PsPS5_jNS1_19radix_merge_compareILb0ELb0EsNS0_19identity_decomposerEEEEE10hipError_tT0_T1_T2_jT3_P12ihipStream_tbPNSt15iterator_traitsISE_E10value_typeEPNSK_ISF_E10value_typeEPSG_NS1_7vsmem_tEENKUlT_SE_SF_SG_E_clIS8_S8_S9_S9_EESD_ST_SE_SF_SG_EUlST_E1_NS1_11comp_targetILNS1_3genE0ELNS1_11target_archE4294967295ELNS1_3gpuE0ELNS1_3repE0EEENS1_36merge_oddeven_config_static_selectorELNS0_4arch9wavefront6targetE0EEEvSF_.numbered_sgpr, 16
	.set _ZN7rocprim17ROCPRIM_400000_NS6detail17trampoline_kernelINS0_14default_configENS1_38merge_sort_block_merge_config_selectorIsNS0_10empty_typeEEEZZNS1_27merge_sort_block_merge_implIS3_PsPS5_jNS1_19radix_merge_compareILb0ELb0EsNS0_19identity_decomposerEEEEE10hipError_tT0_T1_T2_jT3_P12ihipStream_tbPNSt15iterator_traitsISE_E10value_typeEPNSK_ISF_E10value_typeEPSG_NS1_7vsmem_tEENKUlT_SE_SF_SG_E_clIS8_S8_S9_S9_EESD_ST_SE_SF_SG_EUlST_E1_NS1_11comp_targetILNS1_3genE0ELNS1_11target_archE4294967295ELNS1_3gpuE0ELNS1_3repE0EEENS1_36merge_oddeven_config_static_selectorELNS0_4arch9wavefront6targetE0EEEvSF_.num_named_barrier, 0
	.set _ZN7rocprim17ROCPRIM_400000_NS6detail17trampoline_kernelINS0_14default_configENS1_38merge_sort_block_merge_config_selectorIsNS0_10empty_typeEEEZZNS1_27merge_sort_block_merge_implIS3_PsPS5_jNS1_19radix_merge_compareILb0ELb0EsNS0_19identity_decomposerEEEEE10hipError_tT0_T1_T2_jT3_P12ihipStream_tbPNSt15iterator_traitsISE_E10value_typeEPNSK_ISF_E10value_typeEPSG_NS1_7vsmem_tEENKUlT_SE_SF_SG_E_clIS8_S8_S9_S9_EESD_ST_SE_SF_SG_EUlST_E1_NS1_11comp_targetILNS1_3genE0ELNS1_11target_archE4294967295ELNS1_3gpuE0ELNS1_3repE0EEENS1_36merge_oddeven_config_static_selectorELNS0_4arch9wavefront6targetE0EEEvSF_.private_seg_size, 0
	.set _ZN7rocprim17ROCPRIM_400000_NS6detail17trampoline_kernelINS0_14default_configENS1_38merge_sort_block_merge_config_selectorIsNS0_10empty_typeEEEZZNS1_27merge_sort_block_merge_implIS3_PsPS5_jNS1_19radix_merge_compareILb0ELb0EsNS0_19identity_decomposerEEEEE10hipError_tT0_T1_T2_jT3_P12ihipStream_tbPNSt15iterator_traitsISE_E10value_typeEPNSK_ISF_E10value_typeEPSG_NS1_7vsmem_tEENKUlT_SE_SF_SG_E_clIS8_S8_S9_S9_EESD_ST_SE_SF_SG_EUlST_E1_NS1_11comp_targetILNS1_3genE0ELNS1_11target_archE4294967295ELNS1_3gpuE0ELNS1_3repE0EEENS1_36merge_oddeven_config_static_selectorELNS0_4arch9wavefront6targetE0EEEvSF_.uses_vcc, 1
	.set _ZN7rocprim17ROCPRIM_400000_NS6detail17trampoline_kernelINS0_14default_configENS1_38merge_sort_block_merge_config_selectorIsNS0_10empty_typeEEEZZNS1_27merge_sort_block_merge_implIS3_PsPS5_jNS1_19radix_merge_compareILb0ELb0EsNS0_19identity_decomposerEEEEE10hipError_tT0_T1_T2_jT3_P12ihipStream_tbPNSt15iterator_traitsISE_E10value_typeEPNSK_ISF_E10value_typeEPSG_NS1_7vsmem_tEENKUlT_SE_SF_SG_E_clIS8_S8_S9_S9_EESD_ST_SE_SF_SG_EUlST_E1_NS1_11comp_targetILNS1_3genE0ELNS1_11target_archE4294967295ELNS1_3gpuE0ELNS1_3repE0EEENS1_36merge_oddeven_config_static_selectorELNS0_4arch9wavefront6targetE0EEEvSF_.uses_flat_scratch, 0
	.set _ZN7rocprim17ROCPRIM_400000_NS6detail17trampoline_kernelINS0_14default_configENS1_38merge_sort_block_merge_config_selectorIsNS0_10empty_typeEEEZZNS1_27merge_sort_block_merge_implIS3_PsPS5_jNS1_19radix_merge_compareILb0ELb0EsNS0_19identity_decomposerEEEEE10hipError_tT0_T1_T2_jT3_P12ihipStream_tbPNSt15iterator_traitsISE_E10value_typeEPNSK_ISF_E10value_typeEPSG_NS1_7vsmem_tEENKUlT_SE_SF_SG_E_clIS8_S8_S9_S9_EESD_ST_SE_SF_SG_EUlST_E1_NS1_11comp_targetILNS1_3genE0ELNS1_11target_archE4294967295ELNS1_3gpuE0ELNS1_3repE0EEENS1_36merge_oddeven_config_static_selectorELNS0_4arch9wavefront6targetE0EEEvSF_.has_dyn_sized_stack, 0
	.set _ZN7rocprim17ROCPRIM_400000_NS6detail17trampoline_kernelINS0_14default_configENS1_38merge_sort_block_merge_config_selectorIsNS0_10empty_typeEEEZZNS1_27merge_sort_block_merge_implIS3_PsPS5_jNS1_19radix_merge_compareILb0ELb0EsNS0_19identity_decomposerEEEEE10hipError_tT0_T1_T2_jT3_P12ihipStream_tbPNSt15iterator_traitsISE_E10value_typeEPNSK_ISF_E10value_typeEPSG_NS1_7vsmem_tEENKUlT_SE_SF_SG_E_clIS8_S8_S9_S9_EESD_ST_SE_SF_SG_EUlST_E1_NS1_11comp_targetILNS1_3genE0ELNS1_11target_archE4294967295ELNS1_3gpuE0ELNS1_3repE0EEENS1_36merge_oddeven_config_static_selectorELNS0_4arch9wavefront6targetE0EEEvSF_.has_recursion, 0
	.set _ZN7rocprim17ROCPRIM_400000_NS6detail17trampoline_kernelINS0_14default_configENS1_38merge_sort_block_merge_config_selectorIsNS0_10empty_typeEEEZZNS1_27merge_sort_block_merge_implIS3_PsPS5_jNS1_19radix_merge_compareILb0ELb0EsNS0_19identity_decomposerEEEEE10hipError_tT0_T1_T2_jT3_P12ihipStream_tbPNSt15iterator_traitsISE_E10value_typeEPNSK_ISF_E10value_typeEPSG_NS1_7vsmem_tEENKUlT_SE_SF_SG_E_clIS8_S8_S9_S9_EESD_ST_SE_SF_SG_EUlST_E1_NS1_11comp_targetILNS1_3genE0ELNS1_11target_archE4294967295ELNS1_3gpuE0ELNS1_3repE0EEENS1_36merge_oddeven_config_static_selectorELNS0_4arch9wavefront6targetE0EEEvSF_.has_indirect_call, 0
	.section	.AMDGPU.csdata,"",@progbits
; Kernel info:
; codeLenInByte = 652
; TotalNumSgprs: 18
; NumVgprs: 7
; ScratchSize: 0
; MemoryBound: 0
; FloatMode: 240
; IeeeMode: 1
; LDSByteSize: 0 bytes/workgroup (compile time only)
; SGPRBlocks: 0
; VGPRBlocks: 0
; NumSGPRsForWavesPerEU: 18
; NumVGPRsForWavesPerEU: 7
; NamedBarCnt: 0
; Occupancy: 16
; WaveLimiterHint : 0
; COMPUTE_PGM_RSRC2:SCRATCH_EN: 0
; COMPUTE_PGM_RSRC2:USER_SGPR: 2
; COMPUTE_PGM_RSRC2:TRAP_HANDLER: 0
; COMPUTE_PGM_RSRC2:TGID_X_EN: 1
; COMPUTE_PGM_RSRC2:TGID_Y_EN: 0
; COMPUTE_PGM_RSRC2:TGID_Z_EN: 0
; COMPUTE_PGM_RSRC2:TIDIG_COMP_CNT: 0
	.section	.text._ZN7rocprim17ROCPRIM_400000_NS6detail17trampoline_kernelINS0_14default_configENS1_38merge_sort_block_merge_config_selectorIsNS0_10empty_typeEEEZZNS1_27merge_sort_block_merge_implIS3_PsPS5_jNS1_19radix_merge_compareILb0ELb0EsNS0_19identity_decomposerEEEEE10hipError_tT0_T1_T2_jT3_P12ihipStream_tbPNSt15iterator_traitsISE_E10value_typeEPNSK_ISF_E10value_typeEPSG_NS1_7vsmem_tEENKUlT_SE_SF_SG_E_clIS8_S8_S9_S9_EESD_ST_SE_SF_SG_EUlST_E1_NS1_11comp_targetILNS1_3genE10ELNS1_11target_archE1201ELNS1_3gpuE5ELNS1_3repE0EEENS1_36merge_oddeven_config_static_selectorELNS0_4arch9wavefront6targetE0EEEvSF_,"axG",@progbits,_ZN7rocprim17ROCPRIM_400000_NS6detail17trampoline_kernelINS0_14default_configENS1_38merge_sort_block_merge_config_selectorIsNS0_10empty_typeEEEZZNS1_27merge_sort_block_merge_implIS3_PsPS5_jNS1_19radix_merge_compareILb0ELb0EsNS0_19identity_decomposerEEEEE10hipError_tT0_T1_T2_jT3_P12ihipStream_tbPNSt15iterator_traitsISE_E10value_typeEPNSK_ISF_E10value_typeEPSG_NS1_7vsmem_tEENKUlT_SE_SF_SG_E_clIS8_S8_S9_S9_EESD_ST_SE_SF_SG_EUlST_E1_NS1_11comp_targetILNS1_3genE10ELNS1_11target_archE1201ELNS1_3gpuE5ELNS1_3repE0EEENS1_36merge_oddeven_config_static_selectorELNS0_4arch9wavefront6targetE0EEEvSF_,comdat
	.protected	_ZN7rocprim17ROCPRIM_400000_NS6detail17trampoline_kernelINS0_14default_configENS1_38merge_sort_block_merge_config_selectorIsNS0_10empty_typeEEEZZNS1_27merge_sort_block_merge_implIS3_PsPS5_jNS1_19radix_merge_compareILb0ELb0EsNS0_19identity_decomposerEEEEE10hipError_tT0_T1_T2_jT3_P12ihipStream_tbPNSt15iterator_traitsISE_E10value_typeEPNSK_ISF_E10value_typeEPSG_NS1_7vsmem_tEENKUlT_SE_SF_SG_E_clIS8_S8_S9_S9_EESD_ST_SE_SF_SG_EUlST_E1_NS1_11comp_targetILNS1_3genE10ELNS1_11target_archE1201ELNS1_3gpuE5ELNS1_3repE0EEENS1_36merge_oddeven_config_static_selectorELNS0_4arch9wavefront6targetE0EEEvSF_ ; -- Begin function _ZN7rocprim17ROCPRIM_400000_NS6detail17trampoline_kernelINS0_14default_configENS1_38merge_sort_block_merge_config_selectorIsNS0_10empty_typeEEEZZNS1_27merge_sort_block_merge_implIS3_PsPS5_jNS1_19radix_merge_compareILb0ELb0EsNS0_19identity_decomposerEEEEE10hipError_tT0_T1_T2_jT3_P12ihipStream_tbPNSt15iterator_traitsISE_E10value_typeEPNSK_ISF_E10value_typeEPSG_NS1_7vsmem_tEENKUlT_SE_SF_SG_E_clIS8_S8_S9_S9_EESD_ST_SE_SF_SG_EUlST_E1_NS1_11comp_targetILNS1_3genE10ELNS1_11target_archE1201ELNS1_3gpuE5ELNS1_3repE0EEENS1_36merge_oddeven_config_static_selectorELNS0_4arch9wavefront6targetE0EEEvSF_
	.globl	_ZN7rocprim17ROCPRIM_400000_NS6detail17trampoline_kernelINS0_14default_configENS1_38merge_sort_block_merge_config_selectorIsNS0_10empty_typeEEEZZNS1_27merge_sort_block_merge_implIS3_PsPS5_jNS1_19radix_merge_compareILb0ELb0EsNS0_19identity_decomposerEEEEE10hipError_tT0_T1_T2_jT3_P12ihipStream_tbPNSt15iterator_traitsISE_E10value_typeEPNSK_ISF_E10value_typeEPSG_NS1_7vsmem_tEENKUlT_SE_SF_SG_E_clIS8_S8_S9_S9_EESD_ST_SE_SF_SG_EUlST_E1_NS1_11comp_targetILNS1_3genE10ELNS1_11target_archE1201ELNS1_3gpuE5ELNS1_3repE0EEENS1_36merge_oddeven_config_static_selectorELNS0_4arch9wavefront6targetE0EEEvSF_
	.p2align	8
	.type	_ZN7rocprim17ROCPRIM_400000_NS6detail17trampoline_kernelINS0_14default_configENS1_38merge_sort_block_merge_config_selectorIsNS0_10empty_typeEEEZZNS1_27merge_sort_block_merge_implIS3_PsPS5_jNS1_19radix_merge_compareILb0ELb0EsNS0_19identity_decomposerEEEEE10hipError_tT0_T1_T2_jT3_P12ihipStream_tbPNSt15iterator_traitsISE_E10value_typeEPNSK_ISF_E10value_typeEPSG_NS1_7vsmem_tEENKUlT_SE_SF_SG_E_clIS8_S8_S9_S9_EESD_ST_SE_SF_SG_EUlST_E1_NS1_11comp_targetILNS1_3genE10ELNS1_11target_archE1201ELNS1_3gpuE5ELNS1_3repE0EEENS1_36merge_oddeven_config_static_selectorELNS0_4arch9wavefront6targetE0EEEvSF_,@function
_ZN7rocprim17ROCPRIM_400000_NS6detail17trampoline_kernelINS0_14default_configENS1_38merge_sort_block_merge_config_selectorIsNS0_10empty_typeEEEZZNS1_27merge_sort_block_merge_implIS3_PsPS5_jNS1_19radix_merge_compareILb0ELb0EsNS0_19identity_decomposerEEEEE10hipError_tT0_T1_T2_jT3_P12ihipStream_tbPNSt15iterator_traitsISE_E10value_typeEPNSK_ISF_E10value_typeEPSG_NS1_7vsmem_tEENKUlT_SE_SF_SG_E_clIS8_S8_S9_S9_EESD_ST_SE_SF_SG_EUlST_E1_NS1_11comp_targetILNS1_3genE10ELNS1_11target_archE1201ELNS1_3gpuE5ELNS1_3repE0EEENS1_36merge_oddeven_config_static_selectorELNS0_4arch9wavefront6targetE0EEEvSF_: ; @_ZN7rocprim17ROCPRIM_400000_NS6detail17trampoline_kernelINS0_14default_configENS1_38merge_sort_block_merge_config_selectorIsNS0_10empty_typeEEEZZNS1_27merge_sort_block_merge_implIS3_PsPS5_jNS1_19radix_merge_compareILb0ELb0EsNS0_19identity_decomposerEEEEE10hipError_tT0_T1_T2_jT3_P12ihipStream_tbPNSt15iterator_traitsISE_E10value_typeEPNSK_ISF_E10value_typeEPSG_NS1_7vsmem_tEENKUlT_SE_SF_SG_E_clIS8_S8_S9_S9_EESD_ST_SE_SF_SG_EUlST_E1_NS1_11comp_targetILNS1_3genE10ELNS1_11target_archE1201ELNS1_3gpuE5ELNS1_3repE0EEENS1_36merge_oddeven_config_static_selectorELNS0_4arch9wavefront6targetE0EEEvSF_
; %bb.0:
	.section	.rodata,"a",@progbits
	.p2align	6, 0x0
	.amdhsa_kernel _ZN7rocprim17ROCPRIM_400000_NS6detail17trampoline_kernelINS0_14default_configENS1_38merge_sort_block_merge_config_selectorIsNS0_10empty_typeEEEZZNS1_27merge_sort_block_merge_implIS3_PsPS5_jNS1_19radix_merge_compareILb0ELb0EsNS0_19identity_decomposerEEEEE10hipError_tT0_T1_T2_jT3_P12ihipStream_tbPNSt15iterator_traitsISE_E10value_typeEPNSK_ISF_E10value_typeEPSG_NS1_7vsmem_tEENKUlT_SE_SF_SG_E_clIS8_S8_S9_S9_EESD_ST_SE_SF_SG_EUlST_E1_NS1_11comp_targetILNS1_3genE10ELNS1_11target_archE1201ELNS1_3gpuE5ELNS1_3repE0EEENS1_36merge_oddeven_config_static_selectorELNS0_4arch9wavefront6targetE0EEEvSF_
		.amdhsa_group_segment_fixed_size 0
		.amdhsa_private_segment_fixed_size 0
		.amdhsa_kernarg_size 48
		.amdhsa_user_sgpr_count 2
		.amdhsa_user_sgpr_dispatch_ptr 0
		.amdhsa_user_sgpr_queue_ptr 0
		.amdhsa_user_sgpr_kernarg_segment_ptr 1
		.amdhsa_user_sgpr_dispatch_id 0
		.amdhsa_user_sgpr_kernarg_preload_length 0
		.amdhsa_user_sgpr_kernarg_preload_offset 0
		.amdhsa_user_sgpr_private_segment_size 0
		.amdhsa_wavefront_size32 1
		.amdhsa_uses_dynamic_stack 0
		.amdhsa_enable_private_segment 0
		.amdhsa_system_sgpr_workgroup_id_x 1
		.amdhsa_system_sgpr_workgroup_id_y 0
		.amdhsa_system_sgpr_workgroup_id_z 0
		.amdhsa_system_sgpr_workgroup_info 0
		.amdhsa_system_vgpr_workitem_id 0
		.amdhsa_next_free_vgpr 1
		.amdhsa_next_free_sgpr 1
		.amdhsa_named_barrier_count 0
		.amdhsa_reserve_vcc 0
		.amdhsa_float_round_mode_32 0
		.amdhsa_float_round_mode_16_64 0
		.amdhsa_float_denorm_mode_32 3
		.amdhsa_float_denorm_mode_16_64 3
		.amdhsa_fp16_overflow 0
		.amdhsa_memory_ordered 1
		.amdhsa_forward_progress 1
		.amdhsa_inst_pref_size 0
		.amdhsa_round_robin_scheduling 0
		.amdhsa_exception_fp_ieee_invalid_op 0
		.amdhsa_exception_fp_denorm_src 0
		.amdhsa_exception_fp_ieee_div_zero 0
		.amdhsa_exception_fp_ieee_overflow 0
		.amdhsa_exception_fp_ieee_underflow 0
		.amdhsa_exception_fp_ieee_inexact 0
		.amdhsa_exception_int_div_zero 0
	.end_amdhsa_kernel
	.section	.text._ZN7rocprim17ROCPRIM_400000_NS6detail17trampoline_kernelINS0_14default_configENS1_38merge_sort_block_merge_config_selectorIsNS0_10empty_typeEEEZZNS1_27merge_sort_block_merge_implIS3_PsPS5_jNS1_19radix_merge_compareILb0ELb0EsNS0_19identity_decomposerEEEEE10hipError_tT0_T1_T2_jT3_P12ihipStream_tbPNSt15iterator_traitsISE_E10value_typeEPNSK_ISF_E10value_typeEPSG_NS1_7vsmem_tEENKUlT_SE_SF_SG_E_clIS8_S8_S9_S9_EESD_ST_SE_SF_SG_EUlST_E1_NS1_11comp_targetILNS1_3genE10ELNS1_11target_archE1201ELNS1_3gpuE5ELNS1_3repE0EEENS1_36merge_oddeven_config_static_selectorELNS0_4arch9wavefront6targetE0EEEvSF_,"axG",@progbits,_ZN7rocprim17ROCPRIM_400000_NS6detail17trampoline_kernelINS0_14default_configENS1_38merge_sort_block_merge_config_selectorIsNS0_10empty_typeEEEZZNS1_27merge_sort_block_merge_implIS3_PsPS5_jNS1_19radix_merge_compareILb0ELb0EsNS0_19identity_decomposerEEEEE10hipError_tT0_T1_T2_jT3_P12ihipStream_tbPNSt15iterator_traitsISE_E10value_typeEPNSK_ISF_E10value_typeEPSG_NS1_7vsmem_tEENKUlT_SE_SF_SG_E_clIS8_S8_S9_S9_EESD_ST_SE_SF_SG_EUlST_E1_NS1_11comp_targetILNS1_3genE10ELNS1_11target_archE1201ELNS1_3gpuE5ELNS1_3repE0EEENS1_36merge_oddeven_config_static_selectorELNS0_4arch9wavefront6targetE0EEEvSF_,comdat
.Lfunc_end664:
	.size	_ZN7rocprim17ROCPRIM_400000_NS6detail17trampoline_kernelINS0_14default_configENS1_38merge_sort_block_merge_config_selectorIsNS0_10empty_typeEEEZZNS1_27merge_sort_block_merge_implIS3_PsPS5_jNS1_19radix_merge_compareILb0ELb0EsNS0_19identity_decomposerEEEEE10hipError_tT0_T1_T2_jT3_P12ihipStream_tbPNSt15iterator_traitsISE_E10value_typeEPNSK_ISF_E10value_typeEPSG_NS1_7vsmem_tEENKUlT_SE_SF_SG_E_clIS8_S8_S9_S9_EESD_ST_SE_SF_SG_EUlST_E1_NS1_11comp_targetILNS1_3genE10ELNS1_11target_archE1201ELNS1_3gpuE5ELNS1_3repE0EEENS1_36merge_oddeven_config_static_selectorELNS0_4arch9wavefront6targetE0EEEvSF_, .Lfunc_end664-_ZN7rocprim17ROCPRIM_400000_NS6detail17trampoline_kernelINS0_14default_configENS1_38merge_sort_block_merge_config_selectorIsNS0_10empty_typeEEEZZNS1_27merge_sort_block_merge_implIS3_PsPS5_jNS1_19radix_merge_compareILb0ELb0EsNS0_19identity_decomposerEEEEE10hipError_tT0_T1_T2_jT3_P12ihipStream_tbPNSt15iterator_traitsISE_E10value_typeEPNSK_ISF_E10value_typeEPSG_NS1_7vsmem_tEENKUlT_SE_SF_SG_E_clIS8_S8_S9_S9_EESD_ST_SE_SF_SG_EUlST_E1_NS1_11comp_targetILNS1_3genE10ELNS1_11target_archE1201ELNS1_3gpuE5ELNS1_3repE0EEENS1_36merge_oddeven_config_static_selectorELNS0_4arch9wavefront6targetE0EEEvSF_
                                        ; -- End function
	.set _ZN7rocprim17ROCPRIM_400000_NS6detail17trampoline_kernelINS0_14default_configENS1_38merge_sort_block_merge_config_selectorIsNS0_10empty_typeEEEZZNS1_27merge_sort_block_merge_implIS3_PsPS5_jNS1_19radix_merge_compareILb0ELb0EsNS0_19identity_decomposerEEEEE10hipError_tT0_T1_T2_jT3_P12ihipStream_tbPNSt15iterator_traitsISE_E10value_typeEPNSK_ISF_E10value_typeEPSG_NS1_7vsmem_tEENKUlT_SE_SF_SG_E_clIS8_S8_S9_S9_EESD_ST_SE_SF_SG_EUlST_E1_NS1_11comp_targetILNS1_3genE10ELNS1_11target_archE1201ELNS1_3gpuE5ELNS1_3repE0EEENS1_36merge_oddeven_config_static_selectorELNS0_4arch9wavefront6targetE0EEEvSF_.num_vgpr, 0
	.set _ZN7rocprim17ROCPRIM_400000_NS6detail17trampoline_kernelINS0_14default_configENS1_38merge_sort_block_merge_config_selectorIsNS0_10empty_typeEEEZZNS1_27merge_sort_block_merge_implIS3_PsPS5_jNS1_19radix_merge_compareILb0ELb0EsNS0_19identity_decomposerEEEEE10hipError_tT0_T1_T2_jT3_P12ihipStream_tbPNSt15iterator_traitsISE_E10value_typeEPNSK_ISF_E10value_typeEPSG_NS1_7vsmem_tEENKUlT_SE_SF_SG_E_clIS8_S8_S9_S9_EESD_ST_SE_SF_SG_EUlST_E1_NS1_11comp_targetILNS1_3genE10ELNS1_11target_archE1201ELNS1_3gpuE5ELNS1_3repE0EEENS1_36merge_oddeven_config_static_selectorELNS0_4arch9wavefront6targetE0EEEvSF_.num_agpr, 0
	.set _ZN7rocprim17ROCPRIM_400000_NS6detail17trampoline_kernelINS0_14default_configENS1_38merge_sort_block_merge_config_selectorIsNS0_10empty_typeEEEZZNS1_27merge_sort_block_merge_implIS3_PsPS5_jNS1_19radix_merge_compareILb0ELb0EsNS0_19identity_decomposerEEEEE10hipError_tT0_T1_T2_jT3_P12ihipStream_tbPNSt15iterator_traitsISE_E10value_typeEPNSK_ISF_E10value_typeEPSG_NS1_7vsmem_tEENKUlT_SE_SF_SG_E_clIS8_S8_S9_S9_EESD_ST_SE_SF_SG_EUlST_E1_NS1_11comp_targetILNS1_3genE10ELNS1_11target_archE1201ELNS1_3gpuE5ELNS1_3repE0EEENS1_36merge_oddeven_config_static_selectorELNS0_4arch9wavefront6targetE0EEEvSF_.numbered_sgpr, 0
	.set _ZN7rocprim17ROCPRIM_400000_NS6detail17trampoline_kernelINS0_14default_configENS1_38merge_sort_block_merge_config_selectorIsNS0_10empty_typeEEEZZNS1_27merge_sort_block_merge_implIS3_PsPS5_jNS1_19radix_merge_compareILb0ELb0EsNS0_19identity_decomposerEEEEE10hipError_tT0_T1_T2_jT3_P12ihipStream_tbPNSt15iterator_traitsISE_E10value_typeEPNSK_ISF_E10value_typeEPSG_NS1_7vsmem_tEENKUlT_SE_SF_SG_E_clIS8_S8_S9_S9_EESD_ST_SE_SF_SG_EUlST_E1_NS1_11comp_targetILNS1_3genE10ELNS1_11target_archE1201ELNS1_3gpuE5ELNS1_3repE0EEENS1_36merge_oddeven_config_static_selectorELNS0_4arch9wavefront6targetE0EEEvSF_.num_named_barrier, 0
	.set _ZN7rocprim17ROCPRIM_400000_NS6detail17trampoline_kernelINS0_14default_configENS1_38merge_sort_block_merge_config_selectorIsNS0_10empty_typeEEEZZNS1_27merge_sort_block_merge_implIS3_PsPS5_jNS1_19radix_merge_compareILb0ELb0EsNS0_19identity_decomposerEEEEE10hipError_tT0_T1_T2_jT3_P12ihipStream_tbPNSt15iterator_traitsISE_E10value_typeEPNSK_ISF_E10value_typeEPSG_NS1_7vsmem_tEENKUlT_SE_SF_SG_E_clIS8_S8_S9_S9_EESD_ST_SE_SF_SG_EUlST_E1_NS1_11comp_targetILNS1_3genE10ELNS1_11target_archE1201ELNS1_3gpuE5ELNS1_3repE0EEENS1_36merge_oddeven_config_static_selectorELNS0_4arch9wavefront6targetE0EEEvSF_.private_seg_size, 0
	.set _ZN7rocprim17ROCPRIM_400000_NS6detail17trampoline_kernelINS0_14default_configENS1_38merge_sort_block_merge_config_selectorIsNS0_10empty_typeEEEZZNS1_27merge_sort_block_merge_implIS3_PsPS5_jNS1_19radix_merge_compareILb0ELb0EsNS0_19identity_decomposerEEEEE10hipError_tT0_T1_T2_jT3_P12ihipStream_tbPNSt15iterator_traitsISE_E10value_typeEPNSK_ISF_E10value_typeEPSG_NS1_7vsmem_tEENKUlT_SE_SF_SG_E_clIS8_S8_S9_S9_EESD_ST_SE_SF_SG_EUlST_E1_NS1_11comp_targetILNS1_3genE10ELNS1_11target_archE1201ELNS1_3gpuE5ELNS1_3repE0EEENS1_36merge_oddeven_config_static_selectorELNS0_4arch9wavefront6targetE0EEEvSF_.uses_vcc, 0
	.set _ZN7rocprim17ROCPRIM_400000_NS6detail17trampoline_kernelINS0_14default_configENS1_38merge_sort_block_merge_config_selectorIsNS0_10empty_typeEEEZZNS1_27merge_sort_block_merge_implIS3_PsPS5_jNS1_19radix_merge_compareILb0ELb0EsNS0_19identity_decomposerEEEEE10hipError_tT0_T1_T2_jT3_P12ihipStream_tbPNSt15iterator_traitsISE_E10value_typeEPNSK_ISF_E10value_typeEPSG_NS1_7vsmem_tEENKUlT_SE_SF_SG_E_clIS8_S8_S9_S9_EESD_ST_SE_SF_SG_EUlST_E1_NS1_11comp_targetILNS1_3genE10ELNS1_11target_archE1201ELNS1_3gpuE5ELNS1_3repE0EEENS1_36merge_oddeven_config_static_selectorELNS0_4arch9wavefront6targetE0EEEvSF_.uses_flat_scratch, 0
	.set _ZN7rocprim17ROCPRIM_400000_NS6detail17trampoline_kernelINS0_14default_configENS1_38merge_sort_block_merge_config_selectorIsNS0_10empty_typeEEEZZNS1_27merge_sort_block_merge_implIS3_PsPS5_jNS1_19radix_merge_compareILb0ELb0EsNS0_19identity_decomposerEEEEE10hipError_tT0_T1_T2_jT3_P12ihipStream_tbPNSt15iterator_traitsISE_E10value_typeEPNSK_ISF_E10value_typeEPSG_NS1_7vsmem_tEENKUlT_SE_SF_SG_E_clIS8_S8_S9_S9_EESD_ST_SE_SF_SG_EUlST_E1_NS1_11comp_targetILNS1_3genE10ELNS1_11target_archE1201ELNS1_3gpuE5ELNS1_3repE0EEENS1_36merge_oddeven_config_static_selectorELNS0_4arch9wavefront6targetE0EEEvSF_.has_dyn_sized_stack, 0
	.set _ZN7rocprim17ROCPRIM_400000_NS6detail17trampoline_kernelINS0_14default_configENS1_38merge_sort_block_merge_config_selectorIsNS0_10empty_typeEEEZZNS1_27merge_sort_block_merge_implIS3_PsPS5_jNS1_19radix_merge_compareILb0ELb0EsNS0_19identity_decomposerEEEEE10hipError_tT0_T1_T2_jT3_P12ihipStream_tbPNSt15iterator_traitsISE_E10value_typeEPNSK_ISF_E10value_typeEPSG_NS1_7vsmem_tEENKUlT_SE_SF_SG_E_clIS8_S8_S9_S9_EESD_ST_SE_SF_SG_EUlST_E1_NS1_11comp_targetILNS1_3genE10ELNS1_11target_archE1201ELNS1_3gpuE5ELNS1_3repE0EEENS1_36merge_oddeven_config_static_selectorELNS0_4arch9wavefront6targetE0EEEvSF_.has_recursion, 0
	.set _ZN7rocprim17ROCPRIM_400000_NS6detail17trampoline_kernelINS0_14default_configENS1_38merge_sort_block_merge_config_selectorIsNS0_10empty_typeEEEZZNS1_27merge_sort_block_merge_implIS3_PsPS5_jNS1_19radix_merge_compareILb0ELb0EsNS0_19identity_decomposerEEEEE10hipError_tT0_T1_T2_jT3_P12ihipStream_tbPNSt15iterator_traitsISE_E10value_typeEPNSK_ISF_E10value_typeEPSG_NS1_7vsmem_tEENKUlT_SE_SF_SG_E_clIS8_S8_S9_S9_EESD_ST_SE_SF_SG_EUlST_E1_NS1_11comp_targetILNS1_3genE10ELNS1_11target_archE1201ELNS1_3gpuE5ELNS1_3repE0EEENS1_36merge_oddeven_config_static_selectorELNS0_4arch9wavefront6targetE0EEEvSF_.has_indirect_call, 0
	.section	.AMDGPU.csdata,"",@progbits
; Kernel info:
; codeLenInByte = 0
; TotalNumSgprs: 0
; NumVgprs: 0
; ScratchSize: 0
; MemoryBound: 0
; FloatMode: 240
; IeeeMode: 1
; LDSByteSize: 0 bytes/workgroup (compile time only)
; SGPRBlocks: 0
; VGPRBlocks: 0
; NumSGPRsForWavesPerEU: 1
; NumVGPRsForWavesPerEU: 1
; NamedBarCnt: 0
; Occupancy: 16
; WaveLimiterHint : 0
; COMPUTE_PGM_RSRC2:SCRATCH_EN: 0
; COMPUTE_PGM_RSRC2:USER_SGPR: 2
; COMPUTE_PGM_RSRC2:TRAP_HANDLER: 0
; COMPUTE_PGM_RSRC2:TGID_X_EN: 1
; COMPUTE_PGM_RSRC2:TGID_Y_EN: 0
; COMPUTE_PGM_RSRC2:TGID_Z_EN: 0
; COMPUTE_PGM_RSRC2:TIDIG_COMP_CNT: 0
	.section	.text._ZN7rocprim17ROCPRIM_400000_NS6detail17trampoline_kernelINS0_14default_configENS1_38merge_sort_block_merge_config_selectorIsNS0_10empty_typeEEEZZNS1_27merge_sort_block_merge_implIS3_PsPS5_jNS1_19radix_merge_compareILb0ELb0EsNS0_19identity_decomposerEEEEE10hipError_tT0_T1_T2_jT3_P12ihipStream_tbPNSt15iterator_traitsISE_E10value_typeEPNSK_ISF_E10value_typeEPSG_NS1_7vsmem_tEENKUlT_SE_SF_SG_E_clIS8_S8_S9_S9_EESD_ST_SE_SF_SG_EUlST_E1_NS1_11comp_targetILNS1_3genE5ELNS1_11target_archE942ELNS1_3gpuE9ELNS1_3repE0EEENS1_36merge_oddeven_config_static_selectorELNS0_4arch9wavefront6targetE0EEEvSF_,"axG",@progbits,_ZN7rocprim17ROCPRIM_400000_NS6detail17trampoline_kernelINS0_14default_configENS1_38merge_sort_block_merge_config_selectorIsNS0_10empty_typeEEEZZNS1_27merge_sort_block_merge_implIS3_PsPS5_jNS1_19radix_merge_compareILb0ELb0EsNS0_19identity_decomposerEEEEE10hipError_tT0_T1_T2_jT3_P12ihipStream_tbPNSt15iterator_traitsISE_E10value_typeEPNSK_ISF_E10value_typeEPSG_NS1_7vsmem_tEENKUlT_SE_SF_SG_E_clIS8_S8_S9_S9_EESD_ST_SE_SF_SG_EUlST_E1_NS1_11comp_targetILNS1_3genE5ELNS1_11target_archE942ELNS1_3gpuE9ELNS1_3repE0EEENS1_36merge_oddeven_config_static_selectorELNS0_4arch9wavefront6targetE0EEEvSF_,comdat
	.protected	_ZN7rocprim17ROCPRIM_400000_NS6detail17trampoline_kernelINS0_14default_configENS1_38merge_sort_block_merge_config_selectorIsNS0_10empty_typeEEEZZNS1_27merge_sort_block_merge_implIS3_PsPS5_jNS1_19radix_merge_compareILb0ELb0EsNS0_19identity_decomposerEEEEE10hipError_tT0_T1_T2_jT3_P12ihipStream_tbPNSt15iterator_traitsISE_E10value_typeEPNSK_ISF_E10value_typeEPSG_NS1_7vsmem_tEENKUlT_SE_SF_SG_E_clIS8_S8_S9_S9_EESD_ST_SE_SF_SG_EUlST_E1_NS1_11comp_targetILNS1_3genE5ELNS1_11target_archE942ELNS1_3gpuE9ELNS1_3repE0EEENS1_36merge_oddeven_config_static_selectorELNS0_4arch9wavefront6targetE0EEEvSF_ ; -- Begin function _ZN7rocprim17ROCPRIM_400000_NS6detail17trampoline_kernelINS0_14default_configENS1_38merge_sort_block_merge_config_selectorIsNS0_10empty_typeEEEZZNS1_27merge_sort_block_merge_implIS3_PsPS5_jNS1_19radix_merge_compareILb0ELb0EsNS0_19identity_decomposerEEEEE10hipError_tT0_T1_T2_jT3_P12ihipStream_tbPNSt15iterator_traitsISE_E10value_typeEPNSK_ISF_E10value_typeEPSG_NS1_7vsmem_tEENKUlT_SE_SF_SG_E_clIS8_S8_S9_S9_EESD_ST_SE_SF_SG_EUlST_E1_NS1_11comp_targetILNS1_3genE5ELNS1_11target_archE942ELNS1_3gpuE9ELNS1_3repE0EEENS1_36merge_oddeven_config_static_selectorELNS0_4arch9wavefront6targetE0EEEvSF_
	.globl	_ZN7rocprim17ROCPRIM_400000_NS6detail17trampoline_kernelINS0_14default_configENS1_38merge_sort_block_merge_config_selectorIsNS0_10empty_typeEEEZZNS1_27merge_sort_block_merge_implIS3_PsPS5_jNS1_19radix_merge_compareILb0ELb0EsNS0_19identity_decomposerEEEEE10hipError_tT0_T1_T2_jT3_P12ihipStream_tbPNSt15iterator_traitsISE_E10value_typeEPNSK_ISF_E10value_typeEPSG_NS1_7vsmem_tEENKUlT_SE_SF_SG_E_clIS8_S8_S9_S9_EESD_ST_SE_SF_SG_EUlST_E1_NS1_11comp_targetILNS1_3genE5ELNS1_11target_archE942ELNS1_3gpuE9ELNS1_3repE0EEENS1_36merge_oddeven_config_static_selectorELNS0_4arch9wavefront6targetE0EEEvSF_
	.p2align	8
	.type	_ZN7rocprim17ROCPRIM_400000_NS6detail17trampoline_kernelINS0_14default_configENS1_38merge_sort_block_merge_config_selectorIsNS0_10empty_typeEEEZZNS1_27merge_sort_block_merge_implIS3_PsPS5_jNS1_19radix_merge_compareILb0ELb0EsNS0_19identity_decomposerEEEEE10hipError_tT0_T1_T2_jT3_P12ihipStream_tbPNSt15iterator_traitsISE_E10value_typeEPNSK_ISF_E10value_typeEPSG_NS1_7vsmem_tEENKUlT_SE_SF_SG_E_clIS8_S8_S9_S9_EESD_ST_SE_SF_SG_EUlST_E1_NS1_11comp_targetILNS1_3genE5ELNS1_11target_archE942ELNS1_3gpuE9ELNS1_3repE0EEENS1_36merge_oddeven_config_static_selectorELNS0_4arch9wavefront6targetE0EEEvSF_,@function
_ZN7rocprim17ROCPRIM_400000_NS6detail17trampoline_kernelINS0_14default_configENS1_38merge_sort_block_merge_config_selectorIsNS0_10empty_typeEEEZZNS1_27merge_sort_block_merge_implIS3_PsPS5_jNS1_19radix_merge_compareILb0ELb0EsNS0_19identity_decomposerEEEEE10hipError_tT0_T1_T2_jT3_P12ihipStream_tbPNSt15iterator_traitsISE_E10value_typeEPNSK_ISF_E10value_typeEPSG_NS1_7vsmem_tEENKUlT_SE_SF_SG_E_clIS8_S8_S9_S9_EESD_ST_SE_SF_SG_EUlST_E1_NS1_11comp_targetILNS1_3genE5ELNS1_11target_archE942ELNS1_3gpuE9ELNS1_3repE0EEENS1_36merge_oddeven_config_static_selectorELNS0_4arch9wavefront6targetE0EEEvSF_: ; @_ZN7rocprim17ROCPRIM_400000_NS6detail17trampoline_kernelINS0_14default_configENS1_38merge_sort_block_merge_config_selectorIsNS0_10empty_typeEEEZZNS1_27merge_sort_block_merge_implIS3_PsPS5_jNS1_19radix_merge_compareILb0ELb0EsNS0_19identity_decomposerEEEEE10hipError_tT0_T1_T2_jT3_P12ihipStream_tbPNSt15iterator_traitsISE_E10value_typeEPNSK_ISF_E10value_typeEPSG_NS1_7vsmem_tEENKUlT_SE_SF_SG_E_clIS8_S8_S9_S9_EESD_ST_SE_SF_SG_EUlST_E1_NS1_11comp_targetILNS1_3genE5ELNS1_11target_archE942ELNS1_3gpuE9ELNS1_3repE0EEENS1_36merge_oddeven_config_static_selectorELNS0_4arch9wavefront6targetE0EEEvSF_
; %bb.0:
	.section	.rodata,"a",@progbits
	.p2align	6, 0x0
	.amdhsa_kernel _ZN7rocprim17ROCPRIM_400000_NS6detail17trampoline_kernelINS0_14default_configENS1_38merge_sort_block_merge_config_selectorIsNS0_10empty_typeEEEZZNS1_27merge_sort_block_merge_implIS3_PsPS5_jNS1_19radix_merge_compareILb0ELb0EsNS0_19identity_decomposerEEEEE10hipError_tT0_T1_T2_jT3_P12ihipStream_tbPNSt15iterator_traitsISE_E10value_typeEPNSK_ISF_E10value_typeEPSG_NS1_7vsmem_tEENKUlT_SE_SF_SG_E_clIS8_S8_S9_S9_EESD_ST_SE_SF_SG_EUlST_E1_NS1_11comp_targetILNS1_3genE5ELNS1_11target_archE942ELNS1_3gpuE9ELNS1_3repE0EEENS1_36merge_oddeven_config_static_selectorELNS0_4arch9wavefront6targetE0EEEvSF_
		.amdhsa_group_segment_fixed_size 0
		.amdhsa_private_segment_fixed_size 0
		.amdhsa_kernarg_size 48
		.amdhsa_user_sgpr_count 2
		.amdhsa_user_sgpr_dispatch_ptr 0
		.amdhsa_user_sgpr_queue_ptr 0
		.amdhsa_user_sgpr_kernarg_segment_ptr 1
		.amdhsa_user_sgpr_dispatch_id 0
		.amdhsa_user_sgpr_kernarg_preload_length 0
		.amdhsa_user_sgpr_kernarg_preload_offset 0
		.amdhsa_user_sgpr_private_segment_size 0
		.amdhsa_wavefront_size32 1
		.amdhsa_uses_dynamic_stack 0
		.amdhsa_enable_private_segment 0
		.amdhsa_system_sgpr_workgroup_id_x 1
		.amdhsa_system_sgpr_workgroup_id_y 0
		.amdhsa_system_sgpr_workgroup_id_z 0
		.amdhsa_system_sgpr_workgroup_info 0
		.amdhsa_system_vgpr_workitem_id 0
		.amdhsa_next_free_vgpr 1
		.amdhsa_next_free_sgpr 1
		.amdhsa_named_barrier_count 0
		.amdhsa_reserve_vcc 0
		.amdhsa_float_round_mode_32 0
		.amdhsa_float_round_mode_16_64 0
		.amdhsa_float_denorm_mode_32 3
		.amdhsa_float_denorm_mode_16_64 3
		.amdhsa_fp16_overflow 0
		.amdhsa_memory_ordered 1
		.amdhsa_forward_progress 1
		.amdhsa_inst_pref_size 0
		.amdhsa_round_robin_scheduling 0
		.amdhsa_exception_fp_ieee_invalid_op 0
		.amdhsa_exception_fp_denorm_src 0
		.amdhsa_exception_fp_ieee_div_zero 0
		.amdhsa_exception_fp_ieee_overflow 0
		.amdhsa_exception_fp_ieee_underflow 0
		.amdhsa_exception_fp_ieee_inexact 0
		.amdhsa_exception_int_div_zero 0
	.end_amdhsa_kernel
	.section	.text._ZN7rocprim17ROCPRIM_400000_NS6detail17trampoline_kernelINS0_14default_configENS1_38merge_sort_block_merge_config_selectorIsNS0_10empty_typeEEEZZNS1_27merge_sort_block_merge_implIS3_PsPS5_jNS1_19radix_merge_compareILb0ELb0EsNS0_19identity_decomposerEEEEE10hipError_tT0_T1_T2_jT3_P12ihipStream_tbPNSt15iterator_traitsISE_E10value_typeEPNSK_ISF_E10value_typeEPSG_NS1_7vsmem_tEENKUlT_SE_SF_SG_E_clIS8_S8_S9_S9_EESD_ST_SE_SF_SG_EUlST_E1_NS1_11comp_targetILNS1_3genE5ELNS1_11target_archE942ELNS1_3gpuE9ELNS1_3repE0EEENS1_36merge_oddeven_config_static_selectorELNS0_4arch9wavefront6targetE0EEEvSF_,"axG",@progbits,_ZN7rocprim17ROCPRIM_400000_NS6detail17trampoline_kernelINS0_14default_configENS1_38merge_sort_block_merge_config_selectorIsNS0_10empty_typeEEEZZNS1_27merge_sort_block_merge_implIS3_PsPS5_jNS1_19radix_merge_compareILb0ELb0EsNS0_19identity_decomposerEEEEE10hipError_tT0_T1_T2_jT3_P12ihipStream_tbPNSt15iterator_traitsISE_E10value_typeEPNSK_ISF_E10value_typeEPSG_NS1_7vsmem_tEENKUlT_SE_SF_SG_E_clIS8_S8_S9_S9_EESD_ST_SE_SF_SG_EUlST_E1_NS1_11comp_targetILNS1_3genE5ELNS1_11target_archE942ELNS1_3gpuE9ELNS1_3repE0EEENS1_36merge_oddeven_config_static_selectorELNS0_4arch9wavefront6targetE0EEEvSF_,comdat
.Lfunc_end665:
	.size	_ZN7rocprim17ROCPRIM_400000_NS6detail17trampoline_kernelINS0_14default_configENS1_38merge_sort_block_merge_config_selectorIsNS0_10empty_typeEEEZZNS1_27merge_sort_block_merge_implIS3_PsPS5_jNS1_19radix_merge_compareILb0ELb0EsNS0_19identity_decomposerEEEEE10hipError_tT0_T1_T2_jT3_P12ihipStream_tbPNSt15iterator_traitsISE_E10value_typeEPNSK_ISF_E10value_typeEPSG_NS1_7vsmem_tEENKUlT_SE_SF_SG_E_clIS8_S8_S9_S9_EESD_ST_SE_SF_SG_EUlST_E1_NS1_11comp_targetILNS1_3genE5ELNS1_11target_archE942ELNS1_3gpuE9ELNS1_3repE0EEENS1_36merge_oddeven_config_static_selectorELNS0_4arch9wavefront6targetE0EEEvSF_, .Lfunc_end665-_ZN7rocprim17ROCPRIM_400000_NS6detail17trampoline_kernelINS0_14default_configENS1_38merge_sort_block_merge_config_selectorIsNS0_10empty_typeEEEZZNS1_27merge_sort_block_merge_implIS3_PsPS5_jNS1_19radix_merge_compareILb0ELb0EsNS0_19identity_decomposerEEEEE10hipError_tT0_T1_T2_jT3_P12ihipStream_tbPNSt15iterator_traitsISE_E10value_typeEPNSK_ISF_E10value_typeEPSG_NS1_7vsmem_tEENKUlT_SE_SF_SG_E_clIS8_S8_S9_S9_EESD_ST_SE_SF_SG_EUlST_E1_NS1_11comp_targetILNS1_3genE5ELNS1_11target_archE942ELNS1_3gpuE9ELNS1_3repE0EEENS1_36merge_oddeven_config_static_selectorELNS0_4arch9wavefront6targetE0EEEvSF_
                                        ; -- End function
	.set _ZN7rocprim17ROCPRIM_400000_NS6detail17trampoline_kernelINS0_14default_configENS1_38merge_sort_block_merge_config_selectorIsNS0_10empty_typeEEEZZNS1_27merge_sort_block_merge_implIS3_PsPS5_jNS1_19radix_merge_compareILb0ELb0EsNS0_19identity_decomposerEEEEE10hipError_tT0_T1_T2_jT3_P12ihipStream_tbPNSt15iterator_traitsISE_E10value_typeEPNSK_ISF_E10value_typeEPSG_NS1_7vsmem_tEENKUlT_SE_SF_SG_E_clIS8_S8_S9_S9_EESD_ST_SE_SF_SG_EUlST_E1_NS1_11comp_targetILNS1_3genE5ELNS1_11target_archE942ELNS1_3gpuE9ELNS1_3repE0EEENS1_36merge_oddeven_config_static_selectorELNS0_4arch9wavefront6targetE0EEEvSF_.num_vgpr, 0
	.set _ZN7rocprim17ROCPRIM_400000_NS6detail17trampoline_kernelINS0_14default_configENS1_38merge_sort_block_merge_config_selectorIsNS0_10empty_typeEEEZZNS1_27merge_sort_block_merge_implIS3_PsPS5_jNS1_19radix_merge_compareILb0ELb0EsNS0_19identity_decomposerEEEEE10hipError_tT0_T1_T2_jT3_P12ihipStream_tbPNSt15iterator_traitsISE_E10value_typeEPNSK_ISF_E10value_typeEPSG_NS1_7vsmem_tEENKUlT_SE_SF_SG_E_clIS8_S8_S9_S9_EESD_ST_SE_SF_SG_EUlST_E1_NS1_11comp_targetILNS1_3genE5ELNS1_11target_archE942ELNS1_3gpuE9ELNS1_3repE0EEENS1_36merge_oddeven_config_static_selectorELNS0_4arch9wavefront6targetE0EEEvSF_.num_agpr, 0
	.set _ZN7rocprim17ROCPRIM_400000_NS6detail17trampoline_kernelINS0_14default_configENS1_38merge_sort_block_merge_config_selectorIsNS0_10empty_typeEEEZZNS1_27merge_sort_block_merge_implIS3_PsPS5_jNS1_19radix_merge_compareILb0ELb0EsNS0_19identity_decomposerEEEEE10hipError_tT0_T1_T2_jT3_P12ihipStream_tbPNSt15iterator_traitsISE_E10value_typeEPNSK_ISF_E10value_typeEPSG_NS1_7vsmem_tEENKUlT_SE_SF_SG_E_clIS8_S8_S9_S9_EESD_ST_SE_SF_SG_EUlST_E1_NS1_11comp_targetILNS1_3genE5ELNS1_11target_archE942ELNS1_3gpuE9ELNS1_3repE0EEENS1_36merge_oddeven_config_static_selectorELNS0_4arch9wavefront6targetE0EEEvSF_.numbered_sgpr, 0
	.set _ZN7rocprim17ROCPRIM_400000_NS6detail17trampoline_kernelINS0_14default_configENS1_38merge_sort_block_merge_config_selectorIsNS0_10empty_typeEEEZZNS1_27merge_sort_block_merge_implIS3_PsPS5_jNS1_19radix_merge_compareILb0ELb0EsNS0_19identity_decomposerEEEEE10hipError_tT0_T1_T2_jT3_P12ihipStream_tbPNSt15iterator_traitsISE_E10value_typeEPNSK_ISF_E10value_typeEPSG_NS1_7vsmem_tEENKUlT_SE_SF_SG_E_clIS8_S8_S9_S9_EESD_ST_SE_SF_SG_EUlST_E1_NS1_11comp_targetILNS1_3genE5ELNS1_11target_archE942ELNS1_3gpuE9ELNS1_3repE0EEENS1_36merge_oddeven_config_static_selectorELNS0_4arch9wavefront6targetE0EEEvSF_.num_named_barrier, 0
	.set _ZN7rocprim17ROCPRIM_400000_NS6detail17trampoline_kernelINS0_14default_configENS1_38merge_sort_block_merge_config_selectorIsNS0_10empty_typeEEEZZNS1_27merge_sort_block_merge_implIS3_PsPS5_jNS1_19radix_merge_compareILb0ELb0EsNS0_19identity_decomposerEEEEE10hipError_tT0_T1_T2_jT3_P12ihipStream_tbPNSt15iterator_traitsISE_E10value_typeEPNSK_ISF_E10value_typeEPSG_NS1_7vsmem_tEENKUlT_SE_SF_SG_E_clIS8_S8_S9_S9_EESD_ST_SE_SF_SG_EUlST_E1_NS1_11comp_targetILNS1_3genE5ELNS1_11target_archE942ELNS1_3gpuE9ELNS1_3repE0EEENS1_36merge_oddeven_config_static_selectorELNS0_4arch9wavefront6targetE0EEEvSF_.private_seg_size, 0
	.set _ZN7rocprim17ROCPRIM_400000_NS6detail17trampoline_kernelINS0_14default_configENS1_38merge_sort_block_merge_config_selectorIsNS0_10empty_typeEEEZZNS1_27merge_sort_block_merge_implIS3_PsPS5_jNS1_19radix_merge_compareILb0ELb0EsNS0_19identity_decomposerEEEEE10hipError_tT0_T1_T2_jT3_P12ihipStream_tbPNSt15iterator_traitsISE_E10value_typeEPNSK_ISF_E10value_typeEPSG_NS1_7vsmem_tEENKUlT_SE_SF_SG_E_clIS8_S8_S9_S9_EESD_ST_SE_SF_SG_EUlST_E1_NS1_11comp_targetILNS1_3genE5ELNS1_11target_archE942ELNS1_3gpuE9ELNS1_3repE0EEENS1_36merge_oddeven_config_static_selectorELNS0_4arch9wavefront6targetE0EEEvSF_.uses_vcc, 0
	.set _ZN7rocprim17ROCPRIM_400000_NS6detail17trampoline_kernelINS0_14default_configENS1_38merge_sort_block_merge_config_selectorIsNS0_10empty_typeEEEZZNS1_27merge_sort_block_merge_implIS3_PsPS5_jNS1_19radix_merge_compareILb0ELb0EsNS0_19identity_decomposerEEEEE10hipError_tT0_T1_T2_jT3_P12ihipStream_tbPNSt15iterator_traitsISE_E10value_typeEPNSK_ISF_E10value_typeEPSG_NS1_7vsmem_tEENKUlT_SE_SF_SG_E_clIS8_S8_S9_S9_EESD_ST_SE_SF_SG_EUlST_E1_NS1_11comp_targetILNS1_3genE5ELNS1_11target_archE942ELNS1_3gpuE9ELNS1_3repE0EEENS1_36merge_oddeven_config_static_selectorELNS0_4arch9wavefront6targetE0EEEvSF_.uses_flat_scratch, 0
	.set _ZN7rocprim17ROCPRIM_400000_NS6detail17trampoline_kernelINS0_14default_configENS1_38merge_sort_block_merge_config_selectorIsNS0_10empty_typeEEEZZNS1_27merge_sort_block_merge_implIS3_PsPS5_jNS1_19radix_merge_compareILb0ELb0EsNS0_19identity_decomposerEEEEE10hipError_tT0_T1_T2_jT3_P12ihipStream_tbPNSt15iterator_traitsISE_E10value_typeEPNSK_ISF_E10value_typeEPSG_NS1_7vsmem_tEENKUlT_SE_SF_SG_E_clIS8_S8_S9_S9_EESD_ST_SE_SF_SG_EUlST_E1_NS1_11comp_targetILNS1_3genE5ELNS1_11target_archE942ELNS1_3gpuE9ELNS1_3repE0EEENS1_36merge_oddeven_config_static_selectorELNS0_4arch9wavefront6targetE0EEEvSF_.has_dyn_sized_stack, 0
	.set _ZN7rocprim17ROCPRIM_400000_NS6detail17trampoline_kernelINS0_14default_configENS1_38merge_sort_block_merge_config_selectorIsNS0_10empty_typeEEEZZNS1_27merge_sort_block_merge_implIS3_PsPS5_jNS1_19radix_merge_compareILb0ELb0EsNS0_19identity_decomposerEEEEE10hipError_tT0_T1_T2_jT3_P12ihipStream_tbPNSt15iterator_traitsISE_E10value_typeEPNSK_ISF_E10value_typeEPSG_NS1_7vsmem_tEENKUlT_SE_SF_SG_E_clIS8_S8_S9_S9_EESD_ST_SE_SF_SG_EUlST_E1_NS1_11comp_targetILNS1_3genE5ELNS1_11target_archE942ELNS1_3gpuE9ELNS1_3repE0EEENS1_36merge_oddeven_config_static_selectorELNS0_4arch9wavefront6targetE0EEEvSF_.has_recursion, 0
	.set _ZN7rocprim17ROCPRIM_400000_NS6detail17trampoline_kernelINS0_14default_configENS1_38merge_sort_block_merge_config_selectorIsNS0_10empty_typeEEEZZNS1_27merge_sort_block_merge_implIS3_PsPS5_jNS1_19radix_merge_compareILb0ELb0EsNS0_19identity_decomposerEEEEE10hipError_tT0_T1_T2_jT3_P12ihipStream_tbPNSt15iterator_traitsISE_E10value_typeEPNSK_ISF_E10value_typeEPSG_NS1_7vsmem_tEENKUlT_SE_SF_SG_E_clIS8_S8_S9_S9_EESD_ST_SE_SF_SG_EUlST_E1_NS1_11comp_targetILNS1_3genE5ELNS1_11target_archE942ELNS1_3gpuE9ELNS1_3repE0EEENS1_36merge_oddeven_config_static_selectorELNS0_4arch9wavefront6targetE0EEEvSF_.has_indirect_call, 0
	.section	.AMDGPU.csdata,"",@progbits
; Kernel info:
; codeLenInByte = 0
; TotalNumSgprs: 0
; NumVgprs: 0
; ScratchSize: 0
; MemoryBound: 0
; FloatMode: 240
; IeeeMode: 1
; LDSByteSize: 0 bytes/workgroup (compile time only)
; SGPRBlocks: 0
; VGPRBlocks: 0
; NumSGPRsForWavesPerEU: 1
; NumVGPRsForWavesPerEU: 1
; NamedBarCnt: 0
; Occupancy: 16
; WaveLimiterHint : 0
; COMPUTE_PGM_RSRC2:SCRATCH_EN: 0
; COMPUTE_PGM_RSRC2:USER_SGPR: 2
; COMPUTE_PGM_RSRC2:TRAP_HANDLER: 0
; COMPUTE_PGM_RSRC2:TGID_X_EN: 1
; COMPUTE_PGM_RSRC2:TGID_Y_EN: 0
; COMPUTE_PGM_RSRC2:TGID_Z_EN: 0
; COMPUTE_PGM_RSRC2:TIDIG_COMP_CNT: 0
	.section	.text._ZN7rocprim17ROCPRIM_400000_NS6detail17trampoline_kernelINS0_14default_configENS1_38merge_sort_block_merge_config_selectorIsNS0_10empty_typeEEEZZNS1_27merge_sort_block_merge_implIS3_PsPS5_jNS1_19radix_merge_compareILb0ELb0EsNS0_19identity_decomposerEEEEE10hipError_tT0_T1_T2_jT3_P12ihipStream_tbPNSt15iterator_traitsISE_E10value_typeEPNSK_ISF_E10value_typeEPSG_NS1_7vsmem_tEENKUlT_SE_SF_SG_E_clIS8_S8_S9_S9_EESD_ST_SE_SF_SG_EUlST_E1_NS1_11comp_targetILNS1_3genE4ELNS1_11target_archE910ELNS1_3gpuE8ELNS1_3repE0EEENS1_36merge_oddeven_config_static_selectorELNS0_4arch9wavefront6targetE0EEEvSF_,"axG",@progbits,_ZN7rocprim17ROCPRIM_400000_NS6detail17trampoline_kernelINS0_14default_configENS1_38merge_sort_block_merge_config_selectorIsNS0_10empty_typeEEEZZNS1_27merge_sort_block_merge_implIS3_PsPS5_jNS1_19radix_merge_compareILb0ELb0EsNS0_19identity_decomposerEEEEE10hipError_tT0_T1_T2_jT3_P12ihipStream_tbPNSt15iterator_traitsISE_E10value_typeEPNSK_ISF_E10value_typeEPSG_NS1_7vsmem_tEENKUlT_SE_SF_SG_E_clIS8_S8_S9_S9_EESD_ST_SE_SF_SG_EUlST_E1_NS1_11comp_targetILNS1_3genE4ELNS1_11target_archE910ELNS1_3gpuE8ELNS1_3repE0EEENS1_36merge_oddeven_config_static_selectorELNS0_4arch9wavefront6targetE0EEEvSF_,comdat
	.protected	_ZN7rocprim17ROCPRIM_400000_NS6detail17trampoline_kernelINS0_14default_configENS1_38merge_sort_block_merge_config_selectorIsNS0_10empty_typeEEEZZNS1_27merge_sort_block_merge_implIS3_PsPS5_jNS1_19radix_merge_compareILb0ELb0EsNS0_19identity_decomposerEEEEE10hipError_tT0_T1_T2_jT3_P12ihipStream_tbPNSt15iterator_traitsISE_E10value_typeEPNSK_ISF_E10value_typeEPSG_NS1_7vsmem_tEENKUlT_SE_SF_SG_E_clIS8_S8_S9_S9_EESD_ST_SE_SF_SG_EUlST_E1_NS1_11comp_targetILNS1_3genE4ELNS1_11target_archE910ELNS1_3gpuE8ELNS1_3repE0EEENS1_36merge_oddeven_config_static_selectorELNS0_4arch9wavefront6targetE0EEEvSF_ ; -- Begin function _ZN7rocprim17ROCPRIM_400000_NS6detail17trampoline_kernelINS0_14default_configENS1_38merge_sort_block_merge_config_selectorIsNS0_10empty_typeEEEZZNS1_27merge_sort_block_merge_implIS3_PsPS5_jNS1_19radix_merge_compareILb0ELb0EsNS0_19identity_decomposerEEEEE10hipError_tT0_T1_T2_jT3_P12ihipStream_tbPNSt15iterator_traitsISE_E10value_typeEPNSK_ISF_E10value_typeEPSG_NS1_7vsmem_tEENKUlT_SE_SF_SG_E_clIS8_S8_S9_S9_EESD_ST_SE_SF_SG_EUlST_E1_NS1_11comp_targetILNS1_3genE4ELNS1_11target_archE910ELNS1_3gpuE8ELNS1_3repE0EEENS1_36merge_oddeven_config_static_selectorELNS0_4arch9wavefront6targetE0EEEvSF_
	.globl	_ZN7rocprim17ROCPRIM_400000_NS6detail17trampoline_kernelINS0_14default_configENS1_38merge_sort_block_merge_config_selectorIsNS0_10empty_typeEEEZZNS1_27merge_sort_block_merge_implIS3_PsPS5_jNS1_19radix_merge_compareILb0ELb0EsNS0_19identity_decomposerEEEEE10hipError_tT0_T1_T2_jT3_P12ihipStream_tbPNSt15iterator_traitsISE_E10value_typeEPNSK_ISF_E10value_typeEPSG_NS1_7vsmem_tEENKUlT_SE_SF_SG_E_clIS8_S8_S9_S9_EESD_ST_SE_SF_SG_EUlST_E1_NS1_11comp_targetILNS1_3genE4ELNS1_11target_archE910ELNS1_3gpuE8ELNS1_3repE0EEENS1_36merge_oddeven_config_static_selectorELNS0_4arch9wavefront6targetE0EEEvSF_
	.p2align	8
	.type	_ZN7rocprim17ROCPRIM_400000_NS6detail17trampoline_kernelINS0_14default_configENS1_38merge_sort_block_merge_config_selectorIsNS0_10empty_typeEEEZZNS1_27merge_sort_block_merge_implIS3_PsPS5_jNS1_19radix_merge_compareILb0ELb0EsNS0_19identity_decomposerEEEEE10hipError_tT0_T1_T2_jT3_P12ihipStream_tbPNSt15iterator_traitsISE_E10value_typeEPNSK_ISF_E10value_typeEPSG_NS1_7vsmem_tEENKUlT_SE_SF_SG_E_clIS8_S8_S9_S9_EESD_ST_SE_SF_SG_EUlST_E1_NS1_11comp_targetILNS1_3genE4ELNS1_11target_archE910ELNS1_3gpuE8ELNS1_3repE0EEENS1_36merge_oddeven_config_static_selectorELNS0_4arch9wavefront6targetE0EEEvSF_,@function
_ZN7rocprim17ROCPRIM_400000_NS6detail17trampoline_kernelINS0_14default_configENS1_38merge_sort_block_merge_config_selectorIsNS0_10empty_typeEEEZZNS1_27merge_sort_block_merge_implIS3_PsPS5_jNS1_19radix_merge_compareILb0ELb0EsNS0_19identity_decomposerEEEEE10hipError_tT0_T1_T2_jT3_P12ihipStream_tbPNSt15iterator_traitsISE_E10value_typeEPNSK_ISF_E10value_typeEPSG_NS1_7vsmem_tEENKUlT_SE_SF_SG_E_clIS8_S8_S9_S9_EESD_ST_SE_SF_SG_EUlST_E1_NS1_11comp_targetILNS1_3genE4ELNS1_11target_archE910ELNS1_3gpuE8ELNS1_3repE0EEENS1_36merge_oddeven_config_static_selectorELNS0_4arch9wavefront6targetE0EEEvSF_: ; @_ZN7rocprim17ROCPRIM_400000_NS6detail17trampoline_kernelINS0_14default_configENS1_38merge_sort_block_merge_config_selectorIsNS0_10empty_typeEEEZZNS1_27merge_sort_block_merge_implIS3_PsPS5_jNS1_19radix_merge_compareILb0ELb0EsNS0_19identity_decomposerEEEEE10hipError_tT0_T1_T2_jT3_P12ihipStream_tbPNSt15iterator_traitsISE_E10value_typeEPNSK_ISF_E10value_typeEPSG_NS1_7vsmem_tEENKUlT_SE_SF_SG_E_clIS8_S8_S9_S9_EESD_ST_SE_SF_SG_EUlST_E1_NS1_11comp_targetILNS1_3genE4ELNS1_11target_archE910ELNS1_3gpuE8ELNS1_3repE0EEENS1_36merge_oddeven_config_static_selectorELNS0_4arch9wavefront6targetE0EEEvSF_
; %bb.0:
	.section	.rodata,"a",@progbits
	.p2align	6, 0x0
	.amdhsa_kernel _ZN7rocprim17ROCPRIM_400000_NS6detail17trampoline_kernelINS0_14default_configENS1_38merge_sort_block_merge_config_selectorIsNS0_10empty_typeEEEZZNS1_27merge_sort_block_merge_implIS3_PsPS5_jNS1_19radix_merge_compareILb0ELb0EsNS0_19identity_decomposerEEEEE10hipError_tT0_T1_T2_jT3_P12ihipStream_tbPNSt15iterator_traitsISE_E10value_typeEPNSK_ISF_E10value_typeEPSG_NS1_7vsmem_tEENKUlT_SE_SF_SG_E_clIS8_S8_S9_S9_EESD_ST_SE_SF_SG_EUlST_E1_NS1_11comp_targetILNS1_3genE4ELNS1_11target_archE910ELNS1_3gpuE8ELNS1_3repE0EEENS1_36merge_oddeven_config_static_selectorELNS0_4arch9wavefront6targetE0EEEvSF_
		.amdhsa_group_segment_fixed_size 0
		.amdhsa_private_segment_fixed_size 0
		.amdhsa_kernarg_size 48
		.amdhsa_user_sgpr_count 2
		.amdhsa_user_sgpr_dispatch_ptr 0
		.amdhsa_user_sgpr_queue_ptr 0
		.amdhsa_user_sgpr_kernarg_segment_ptr 1
		.amdhsa_user_sgpr_dispatch_id 0
		.amdhsa_user_sgpr_kernarg_preload_length 0
		.amdhsa_user_sgpr_kernarg_preload_offset 0
		.amdhsa_user_sgpr_private_segment_size 0
		.amdhsa_wavefront_size32 1
		.amdhsa_uses_dynamic_stack 0
		.amdhsa_enable_private_segment 0
		.amdhsa_system_sgpr_workgroup_id_x 1
		.amdhsa_system_sgpr_workgroup_id_y 0
		.amdhsa_system_sgpr_workgroup_id_z 0
		.amdhsa_system_sgpr_workgroup_info 0
		.amdhsa_system_vgpr_workitem_id 0
		.amdhsa_next_free_vgpr 1
		.amdhsa_next_free_sgpr 1
		.amdhsa_named_barrier_count 0
		.amdhsa_reserve_vcc 0
		.amdhsa_float_round_mode_32 0
		.amdhsa_float_round_mode_16_64 0
		.amdhsa_float_denorm_mode_32 3
		.amdhsa_float_denorm_mode_16_64 3
		.amdhsa_fp16_overflow 0
		.amdhsa_memory_ordered 1
		.amdhsa_forward_progress 1
		.amdhsa_inst_pref_size 0
		.amdhsa_round_robin_scheduling 0
		.amdhsa_exception_fp_ieee_invalid_op 0
		.amdhsa_exception_fp_denorm_src 0
		.amdhsa_exception_fp_ieee_div_zero 0
		.amdhsa_exception_fp_ieee_overflow 0
		.amdhsa_exception_fp_ieee_underflow 0
		.amdhsa_exception_fp_ieee_inexact 0
		.amdhsa_exception_int_div_zero 0
	.end_amdhsa_kernel
	.section	.text._ZN7rocprim17ROCPRIM_400000_NS6detail17trampoline_kernelINS0_14default_configENS1_38merge_sort_block_merge_config_selectorIsNS0_10empty_typeEEEZZNS1_27merge_sort_block_merge_implIS3_PsPS5_jNS1_19radix_merge_compareILb0ELb0EsNS0_19identity_decomposerEEEEE10hipError_tT0_T1_T2_jT3_P12ihipStream_tbPNSt15iterator_traitsISE_E10value_typeEPNSK_ISF_E10value_typeEPSG_NS1_7vsmem_tEENKUlT_SE_SF_SG_E_clIS8_S8_S9_S9_EESD_ST_SE_SF_SG_EUlST_E1_NS1_11comp_targetILNS1_3genE4ELNS1_11target_archE910ELNS1_3gpuE8ELNS1_3repE0EEENS1_36merge_oddeven_config_static_selectorELNS0_4arch9wavefront6targetE0EEEvSF_,"axG",@progbits,_ZN7rocprim17ROCPRIM_400000_NS6detail17trampoline_kernelINS0_14default_configENS1_38merge_sort_block_merge_config_selectorIsNS0_10empty_typeEEEZZNS1_27merge_sort_block_merge_implIS3_PsPS5_jNS1_19radix_merge_compareILb0ELb0EsNS0_19identity_decomposerEEEEE10hipError_tT0_T1_T2_jT3_P12ihipStream_tbPNSt15iterator_traitsISE_E10value_typeEPNSK_ISF_E10value_typeEPSG_NS1_7vsmem_tEENKUlT_SE_SF_SG_E_clIS8_S8_S9_S9_EESD_ST_SE_SF_SG_EUlST_E1_NS1_11comp_targetILNS1_3genE4ELNS1_11target_archE910ELNS1_3gpuE8ELNS1_3repE0EEENS1_36merge_oddeven_config_static_selectorELNS0_4arch9wavefront6targetE0EEEvSF_,comdat
.Lfunc_end666:
	.size	_ZN7rocprim17ROCPRIM_400000_NS6detail17trampoline_kernelINS0_14default_configENS1_38merge_sort_block_merge_config_selectorIsNS0_10empty_typeEEEZZNS1_27merge_sort_block_merge_implIS3_PsPS5_jNS1_19radix_merge_compareILb0ELb0EsNS0_19identity_decomposerEEEEE10hipError_tT0_T1_T2_jT3_P12ihipStream_tbPNSt15iterator_traitsISE_E10value_typeEPNSK_ISF_E10value_typeEPSG_NS1_7vsmem_tEENKUlT_SE_SF_SG_E_clIS8_S8_S9_S9_EESD_ST_SE_SF_SG_EUlST_E1_NS1_11comp_targetILNS1_3genE4ELNS1_11target_archE910ELNS1_3gpuE8ELNS1_3repE0EEENS1_36merge_oddeven_config_static_selectorELNS0_4arch9wavefront6targetE0EEEvSF_, .Lfunc_end666-_ZN7rocprim17ROCPRIM_400000_NS6detail17trampoline_kernelINS0_14default_configENS1_38merge_sort_block_merge_config_selectorIsNS0_10empty_typeEEEZZNS1_27merge_sort_block_merge_implIS3_PsPS5_jNS1_19radix_merge_compareILb0ELb0EsNS0_19identity_decomposerEEEEE10hipError_tT0_T1_T2_jT3_P12ihipStream_tbPNSt15iterator_traitsISE_E10value_typeEPNSK_ISF_E10value_typeEPSG_NS1_7vsmem_tEENKUlT_SE_SF_SG_E_clIS8_S8_S9_S9_EESD_ST_SE_SF_SG_EUlST_E1_NS1_11comp_targetILNS1_3genE4ELNS1_11target_archE910ELNS1_3gpuE8ELNS1_3repE0EEENS1_36merge_oddeven_config_static_selectorELNS0_4arch9wavefront6targetE0EEEvSF_
                                        ; -- End function
	.set _ZN7rocprim17ROCPRIM_400000_NS6detail17trampoline_kernelINS0_14default_configENS1_38merge_sort_block_merge_config_selectorIsNS0_10empty_typeEEEZZNS1_27merge_sort_block_merge_implIS3_PsPS5_jNS1_19radix_merge_compareILb0ELb0EsNS0_19identity_decomposerEEEEE10hipError_tT0_T1_T2_jT3_P12ihipStream_tbPNSt15iterator_traitsISE_E10value_typeEPNSK_ISF_E10value_typeEPSG_NS1_7vsmem_tEENKUlT_SE_SF_SG_E_clIS8_S8_S9_S9_EESD_ST_SE_SF_SG_EUlST_E1_NS1_11comp_targetILNS1_3genE4ELNS1_11target_archE910ELNS1_3gpuE8ELNS1_3repE0EEENS1_36merge_oddeven_config_static_selectorELNS0_4arch9wavefront6targetE0EEEvSF_.num_vgpr, 0
	.set _ZN7rocprim17ROCPRIM_400000_NS6detail17trampoline_kernelINS0_14default_configENS1_38merge_sort_block_merge_config_selectorIsNS0_10empty_typeEEEZZNS1_27merge_sort_block_merge_implIS3_PsPS5_jNS1_19radix_merge_compareILb0ELb0EsNS0_19identity_decomposerEEEEE10hipError_tT0_T1_T2_jT3_P12ihipStream_tbPNSt15iterator_traitsISE_E10value_typeEPNSK_ISF_E10value_typeEPSG_NS1_7vsmem_tEENKUlT_SE_SF_SG_E_clIS8_S8_S9_S9_EESD_ST_SE_SF_SG_EUlST_E1_NS1_11comp_targetILNS1_3genE4ELNS1_11target_archE910ELNS1_3gpuE8ELNS1_3repE0EEENS1_36merge_oddeven_config_static_selectorELNS0_4arch9wavefront6targetE0EEEvSF_.num_agpr, 0
	.set _ZN7rocprim17ROCPRIM_400000_NS6detail17trampoline_kernelINS0_14default_configENS1_38merge_sort_block_merge_config_selectorIsNS0_10empty_typeEEEZZNS1_27merge_sort_block_merge_implIS3_PsPS5_jNS1_19radix_merge_compareILb0ELb0EsNS0_19identity_decomposerEEEEE10hipError_tT0_T1_T2_jT3_P12ihipStream_tbPNSt15iterator_traitsISE_E10value_typeEPNSK_ISF_E10value_typeEPSG_NS1_7vsmem_tEENKUlT_SE_SF_SG_E_clIS8_S8_S9_S9_EESD_ST_SE_SF_SG_EUlST_E1_NS1_11comp_targetILNS1_3genE4ELNS1_11target_archE910ELNS1_3gpuE8ELNS1_3repE0EEENS1_36merge_oddeven_config_static_selectorELNS0_4arch9wavefront6targetE0EEEvSF_.numbered_sgpr, 0
	.set _ZN7rocprim17ROCPRIM_400000_NS6detail17trampoline_kernelINS0_14default_configENS1_38merge_sort_block_merge_config_selectorIsNS0_10empty_typeEEEZZNS1_27merge_sort_block_merge_implIS3_PsPS5_jNS1_19radix_merge_compareILb0ELb0EsNS0_19identity_decomposerEEEEE10hipError_tT0_T1_T2_jT3_P12ihipStream_tbPNSt15iterator_traitsISE_E10value_typeEPNSK_ISF_E10value_typeEPSG_NS1_7vsmem_tEENKUlT_SE_SF_SG_E_clIS8_S8_S9_S9_EESD_ST_SE_SF_SG_EUlST_E1_NS1_11comp_targetILNS1_3genE4ELNS1_11target_archE910ELNS1_3gpuE8ELNS1_3repE0EEENS1_36merge_oddeven_config_static_selectorELNS0_4arch9wavefront6targetE0EEEvSF_.num_named_barrier, 0
	.set _ZN7rocprim17ROCPRIM_400000_NS6detail17trampoline_kernelINS0_14default_configENS1_38merge_sort_block_merge_config_selectorIsNS0_10empty_typeEEEZZNS1_27merge_sort_block_merge_implIS3_PsPS5_jNS1_19radix_merge_compareILb0ELb0EsNS0_19identity_decomposerEEEEE10hipError_tT0_T1_T2_jT3_P12ihipStream_tbPNSt15iterator_traitsISE_E10value_typeEPNSK_ISF_E10value_typeEPSG_NS1_7vsmem_tEENKUlT_SE_SF_SG_E_clIS8_S8_S9_S9_EESD_ST_SE_SF_SG_EUlST_E1_NS1_11comp_targetILNS1_3genE4ELNS1_11target_archE910ELNS1_3gpuE8ELNS1_3repE0EEENS1_36merge_oddeven_config_static_selectorELNS0_4arch9wavefront6targetE0EEEvSF_.private_seg_size, 0
	.set _ZN7rocprim17ROCPRIM_400000_NS6detail17trampoline_kernelINS0_14default_configENS1_38merge_sort_block_merge_config_selectorIsNS0_10empty_typeEEEZZNS1_27merge_sort_block_merge_implIS3_PsPS5_jNS1_19radix_merge_compareILb0ELb0EsNS0_19identity_decomposerEEEEE10hipError_tT0_T1_T2_jT3_P12ihipStream_tbPNSt15iterator_traitsISE_E10value_typeEPNSK_ISF_E10value_typeEPSG_NS1_7vsmem_tEENKUlT_SE_SF_SG_E_clIS8_S8_S9_S9_EESD_ST_SE_SF_SG_EUlST_E1_NS1_11comp_targetILNS1_3genE4ELNS1_11target_archE910ELNS1_3gpuE8ELNS1_3repE0EEENS1_36merge_oddeven_config_static_selectorELNS0_4arch9wavefront6targetE0EEEvSF_.uses_vcc, 0
	.set _ZN7rocprim17ROCPRIM_400000_NS6detail17trampoline_kernelINS0_14default_configENS1_38merge_sort_block_merge_config_selectorIsNS0_10empty_typeEEEZZNS1_27merge_sort_block_merge_implIS3_PsPS5_jNS1_19radix_merge_compareILb0ELb0EsNS0_19identity_decomposerEEEEE10hipError_tT0_T1_T2_jT3_P12ihipStream_tbPNSt15iterator_traitsISE_E10value_typeEPNSK_ISF_E10value_typeEPSG_NS1_7vsmem_tEENKUlT_SE_SF_SG_E_clIS8_S8_S9_S9_EESD_ST_SE_SF_SG_EUlST_E1_NS1_11comp_targetILNS1_3genE4ELNS1_11target_archE910ELNS1_3gpuE8ELNS1_3repE0EEENS1_36merge_oddeven_config_static_selectorELNS0_4arch9wavefront6targetE0EEEvSF_.uses_flat_scratch, 0
	.set _ZN7rocprim17ROCPRIM_400000_NS6detail17trampoline_kernelINS0_14default_configENS1_38merge_sort_block_merge_config_selectorIsNS0_10empty_typeEEEZZNS1_27merge_sort_block_merge_implIS3_PsPS5_jNS1_19radix_merge_compareILb0ELb0EsNS0_19identity_decomposerEEEEE10hipError_tT0_T1_T2_jT3_P12ihipStream_tbPNSt15iterator_traitsISE_E10value_typeEPNSK_ISF_E10value_typeEPSG_NS1_7vsmem_tEENKUlT_SE_SF_SG_E_clIS8_S8_S9_S9_EESD_ST_SE_SF_SG_EUlST_E1_NS1_11comp_targetILNS1_3genE4ELNS1_11target_archE910ELNS1_3gpuE8ELNS1_3repE0EEENS1_36merge_oddeven_config_static_selectorELNS0_4arch9wavefront6targetE0EEEvSF_.has_dyn_sized_stack, 0
	.set _ZN7rocprim17ROCPRIM_400000_NS6detail17trampoline_kernelINS0_14default_configENS1_38merge_sort_block_merge_config_selectorIsNS0_10empty_typeEEEZZNS1_27merge_sort_block_merge_implIS3_PsPS5_jNS1_19radix_merge_compareILb0ELb0EsNS0_19identity_decomposerEEEEE10hipError_tT0_T1_T2_jT3_P12ihipStream_tbPNSt15iterator_traitsISE_E10value_typeEPNSK_ISF_E10value_typeEPSG_NS1_7vsmem_tEENKUlT_SE_SF_SG_E_clIS8_S8_S9_S9_EESD_ST_SE_SF_SG_EUlST_E1_NS1_11comp_targetILNS1_3genE4ELNS1_11target_archE910ELNS1_3gpuE8ELNS1_3repE0EEENS1_36merge_oddeven_config_static_selectorELNS0_4arch9wavefront6targetE0EEEvSF_.has_recursion, 0
	.set _ZN7rocprim17ROCPRIM_400000_NS6detail17trampoline_kernelINS0_14default_configENS1_38merge_sort_block_merge_config_selectorIsNS0_10empty_typeEEEZZNS1_27merge_sort_block_merge_implIS3_PsPS5_jNS1_19radix_merge_compareILb0ELb0EsNS0_19identity_decomposerEEEEE10hipError_tT0_T1_T2_jT3_P12ihipStream_tbPNSt15iterator_traitsISE_E10value_typeEPNSK_ISF_E10value_typeEPSG_NS1_7vsmem_tEENKUlT_SE_SF_SG_E_clIS8_S8_S9_S9_EESD_ST_SE_SF_SG_EUlST_E1_NS1_11comp_targetILNS1_3genE4ELNS1_11target_archE910ELNS1_3gpuE8ELNS1_3repE0EEENS1_36merge_oddeven_config_static_selectorELNS0_4arch9wavefront6targetE0EEEvSF_.has_indirect_call, 0
	.section	.AMDGPU.csdata,"",@progbits
; Kernel info:
; codeLenInByte = 0
; TotalNumSgprs: 0
; NumVgprs: 0
; ScratchSize: 0
; MemoryBound: 0
; FloatMode: 240
; IeeeMode: 1
; LDSByteSize: 0 bytes/workgroup (compile time only)
; SGPRBlocks: 0
; VGPRBlocks: 0
; NumSGPRsForWavesPerEU: 1
; NumVGPRsForWavesPerEU: 1
; NamedBarCnt: 0
; Occupancy: 16
; WaveLimiterHint : 0
; COMPUTE_PGM_RSRC2:SCRATCH_EN: 0
; COMPUTE_PGM_RSRC2:USER_SGPR: 2
; COMPUTE_PGM_RSRC2:TRAP_HANDLER: 0
; COMPUTE_PGM_RSRC2:TGID_X_EN: 1
; COMPUTE_PGM_RSRC2:TGID_Y_EN: 0
; COMPUTE_PGM_RSRC2:TGID_Z_EN: 0
; COMPUTE_PGM_RSRC2:TIDIG_COMP_CNT: 0
	.section	.text._ZN7rocprim17ROCPRIM_400000_NS6detail17trampoline_kernelINS0_14default_configENS1_38merge_sort_block_merge_config_selectorIsNS0_10empty_typeEEEZZNS1_27merge_sort_block_merge_implIS3_PsPS5_jNS1_19radix_merge_compareILb0ELb0EsNS0_19identity_decomposerEEEEE10hipError_tT0_T1_T2_jT3_P12ihipStream_tbPNSt15iterator_traitsISE_E10value_typeEPNSK_ISF_E10value_typeEPSG_NS1_7vsmem_tEENKUlT_SE_SF_SG_E_clIS8_S8_S9_S9_EESD_ST_SE_SF_SG_EUlST_E1_NS1_11comp_targetILNS1_3genE3ELNS1_11target_archE908ELNS1_3gpuE7ELNS1_3repE0EEENS1_36merge_oddeven_config_static_selectorELNS0_4arch9wavefront6targetE0EEEvSF_,"axG",@progbits,_ZN7rocprim17ROCPRIM_400000_NS6detail17trampoline_kernelINS0_14default_configENS1_38merge_sort_block_merge_config_selectorIsNS0_10empty_typeEEEZZNS1_27merge_sort_block_merge_implIS3_PsPS5_jNS1_19radix_merge_compareILb0ELb0EsNS0_19identity_decomposerEEEEE10hipError_tT0_T1_T2_jT3_P12ihipStream_tbPNSt15iterator_traitsISE_E10value_typeEPNSK_ISF_E10value_typeEPSG_NS1_7vsmem_tEENKUlT_SE_SF_SG_E_clIS8_S8_S9_S9_EESD_ST_SE_SF_SG_EUlST_E1_NS1_11comp_targetILNS1_3genE3ELNS1_11target_archE908ELNS1_3gpuE7ELNS1_3repE0EEENS1_36merge_oddeven_config_static_selectorELNS0_4arch9wavefront6targetE0EEEvSF_,comdat
	.protected	_ZN7rocprim17ROCPRIM_400000_NS6detail17trampoline_kernelINS0_14default_configENS1_38merge_sort_block_merge_config_selectorIsNS0_10empty_typeEEEZZNS1_27merge_sort_block_merge_implIS3_PsPS5_jNS1_19radix_merge_compareILb0ELb0EsNS0_19identity_decomposerEEEEE10hipError_tT0_T1_T2_jT3_P12ihipStream_tbPNSt15iterator_traitsISE_E10value_typeEPNSK_ISF_E10value_typeEPSG_NS1_7vsmem_tEENKUlT_SE_SF_SG_E_clIS8_S8_S9_S9_EESD_ST_SE_SF_SG_EUlST_E1_NS1_11comp_targetILNS1_3genE3ELNS1_11target_archE908ELNS1_3gpuE7ELNS1_3repE0EEENS1_36merge_oddeven_config_static_selectorELNS0_4arch9wavefront6targetE0EEEvSF_ ; -- Begin function _ZN7rocprim17ROCPRIM_400000_NS6detail17trampoline_kernelINS0_14default_configENS1_38merge_sort_block_merge_config_selectorIsNS0_10empty_typeEEEZZNS1_27merge_sort_block_merge_implIS3_PsPS5_jNS1_19radix_merge_compareILb0ELb0EsNS0_19identity_decomposerEEEEE10hipError_tT0_T1_T2_jT3_P12ihipStream_tbPNSt15iterator_traitsISE_E10value_typeEPNSK_ISF_E10value_typeEPSG_NS1_7vsmem_tEENKUlT_SE_SF_SG_E_clIS8_S8_S9_S9_EESD_ST_SE_SF_SG_EUlST_E1_NS1_11comp_targetILNS1_3genE3ELNS1_11target_archE908ELNS1_3gpuE7ELNS1_3repE0EEENS1_36merge_oddeven_config_static_selectorELNS0_4arch9wavefront6targetE0EEEvSF_
	.globl	_ZN7rocprim17ROCPRIM_400000_NS6detail17trampoline_kernelINS0_14default_configENS1_38merge_sort_block_merge_config_selectorIsNS0_10empty_typeEEEZZNS1_27merge_sort_block_merge_implIS3_PsPS5_jNS1_19radix_merge_compareILb0ELb0EsNS0_19identity_decomposerEEEEE10hipError_tT0_T1_T2_jT3_P12ihipStream_tbPNSt15iterator_traitsISE_E10value_typeEPNSK_ISF_E10value_typeEPSG_NS1_7vsmem_tEENKUlT_SE_SF_SG_E_clIS8_S8_S9_S9_EESD_ST_SE_SF_SG_EUlST_E1_NS1_11comp_targetILNS1_3genE3ELNS1_11target_archE908ELNS1_3gpuE7ELNS1_3repE0EEENS1_36merge_oddeven_config_static_selectorELNS0_4arch9wavefront6targetE0EEEvSF_
	.p2align	8
	.type	_ZN7rocprim17ROCPRIM_400000_NS6detail17trampoline_kernelINS0_14default_configENS1_38merge_sort_block_merge_config_selectorIsNS0_10empty_typeEEEZZNS1_27merge_sort_block_merge_implIS3_PsPS5_jNS1_19radix_merge_compareILb0ELb0EsNS0_19identity_decomposerEEEEE10hipError_tT0_T1_T2_jT3_P12ihipStream_tbPNSt15iterator_traitsISE_E10value_typeEPNSK_ISF_E10value_typeEPSG_NS1_7vsmem_tEENKUlT_SE_SF_SG_E_clIS8_S8_S9_S9_EESD_ST_SE_SF_SG_EUlST_E1_NS1_11comp_targetILNS1_3genE3ELNS1_11target_archE908ELNS1_3gpuE7ELNS1_3repE0EEENS1_36merge_oddeven_config_static_selectorELNS0_4arch9wavefront6targetE0EEEvSF_,@function
_ZN7rocprim17ROCPRIM_400000_NS6detail17trampoline_kernelINS0_14default_configENS1_38merge_sort_block_merge_config_selectorIsNS0_10empty_typeEEEZZNS1_27merge_sort_block_merge_implIS3_PsPS5_jNS1_19radix_merge_compareILb0ELb0EsNS0_19identity_decomposerEEEEE10hipError_tT0_T1_T2_jT3_P12ihipStream_tbPNSt15iterator_traitsISE_E10value_typeEPNSK_ISF_E10value_typeEPSG_NS1_7vsmem_tEENKUlT_SE_SF_SG_E_clIS8_S8_S9_S9_EESD_ST_SE_SF_SG_EUlST_E1_NS1_11comp_targetILNS1_3genE3ELNS1_11target_archE908ELNS1_3gpuE7ELNS1_3repE0EEENS1_36merge_oddeven_config_static_selectorELNS0_4arch9wavefront6targetE0EEEvSF_: ; @_ZN7rocprim17ROCPRIM_400000_NS6detail17trampoline_kernelINS0_14default_configENS1_38merge_sort_block_merge_config_selectorIsNS0_10empty_typeEEEZZNS1_27merge_sort_block_merge_implIS3_PsPS5_jNS1_19radix_merge_compareILb0ELb0EsNS0_19identity_decomposerEEEEE10hipError_tT0_T1_T2_jT3_P12ihipStream_tbPNSt15iterator_traitsISE_E10value_typeEPNSK_ISF_E10value_typeEPSG_NS1_7vsmem_tEENKUlT_SE_SF_SG_E_clIS8_S8_S9_S9_EESD_ST_SE_SF_SG_EUlST_E1_NS1_11comp_targetILNS1_3genE3ELNS1_11target_archE908ELNS1_3gpuE7ELNS1_3repE0EEENS1_36merge_oddeven_config_static_selectorELNS0_4arch9wavefront6targetE0EEEvSF_
; %bb.0:
	.section	.rodata,"a",@progbits
	.p2align	6, 0x0
	.amdhsa_kernel _ZN7rocprim17ROCPRIM_400000_NS6detail17trampoline_kernelINS0_14default_configENS1_38merge_sort_block_merge_config_selectorIsNS0_10empty_typeEEEZZNS1_27merge_sort_block_merge_implIS3_PsPS5_jNS1_19radix_merge_compareILb0ELb0EsNS0_19identity_decomposerEEEEE10hipError_tT0_T1_T2_jT3_P12ihipStream_tbPNSt15iterator_traitsISE_E10value_typeEPNSK_ISF_E10value_typeEPSG_NS1_7vsmem_tEENKUlT_SE_SF_SG_E_clIS8_S8_S9_S9_EESD_ST_SE_SF_SG_EUlST_E1_NS1_11comp_targetILNS1_3genE3ELNS1_11target_archE908ELNS1_3gpuE7ELNS1_3repE0EEENS1_36merge_oddeven_config_static_selectorELNS0_4arch9wavefront6targetE0EEEvSF_
		.amdhsa_group_segment_fixed_size 0
		.amdhsa_private_segment_fixed_size 0
		.amdhsa_kernarg_size 48
		.amdhsa_user_sgpr_count 2
		.amdhsa_user_sgpr_dispatch_ptr 0
		.amdhsa_user_sgpr_queue_ptr 0
		.amdhsa_user_sgpr_kernarg_segment_ptr 1
		.amdhsa_user_sgpr_dispatch_id 0
		.amdhsa_user_sgpr_kernarg_preload_length 0
		.amdhsa_user_sgpr_kernarg_preload_offset 0
		.amdhsa_user_sgpr_private_segment_size 0
		.amdhsa_wavefront_size32 1
		.amdhsa_uses_dynamic_stack 0
		.amdhsa_enable_private_segment 0
		.amdhsa_system_sgpr_workgroup_id_x 1
		.amdhsa_system_sgpr_workgroup_id_y 0
		.amdhsa_system_sgpr_workgroup_id_z 0
		.amdhsa_system_sgpr_workgroup_info 0
		.amdhsa_system_vgpr_workitem_id 0
		.amdhsa_next_free_vgpr 1
		.amdhsa_next_free_sgpr 1
		.amdhsa_named_barrier_count 0
		.amdhsa_reserve_vcc 0
		.amdhsa_float_round_mode_32 0
		.amdhsa_float_round_mode_16_64 0
		.amdhsa_float_denorm_mode_32 3
		.amdhsa_float_denorm_mode_16_64 3
		.amdhsa_fp16_overflow 0
		.amdhsa_memory_ordered 1
		.amdhsa_forward_progress 1
		.amdhsa_inst_pref_size 0
		.amdhsa_round_robin_scheduling 0
		.amdhsa_exception_fp_ieee_invalid_op 0
		.amdhsa_exception_fp_denorm_src 0
		.amdhsa_exception_fp_ieee_div_zero 0
		.amdhsa_exception_fp_ieee_overflow 0
		.amdhsa_exception_fp_ieee_underflow 0
		.amdhsa_exception_fp_ieee_inexact 0
		.amdhsa_exception_int_div_zero 0
	.end_amdhsa_kernel
	.section	.text._ZN7rocprim17ROCPRIM_400000_NS6detail17trampoline_kernelINS0_14default_configENS1_38merge_sort_block_merge_config_selectorIsNS0_10empty_typeEEEZZNS1_27merge_sort_block_merge_implIS3_PsPS5_jNS1_19radix_merge_compareILb0ELb0EsNS0_19identity_decomposerEEEEE10hipError_tT0_T1_T2_jT3_P12ihipStream_tbPNSt15iterator_traitsISE_E10value_typeEPNSK_ISF_E10value_typeEPSG_NS1_7vsmem_tEENKUlT_SE_SF_SG_E_clIS8_S8_S9_S9_EESD_ST_SE_SF_SG_EUlST_E1_NS1_11comp_targetILNS1_3genE3ELNS1_11target_archE908ELNS1_3gpuE7ELNS1_3repE0EEENS1_36merge_oddeven_config_static_selectorELNS0_4arch9wavefront6targetE0EEEvSF_,"axG",@progbits,_ZN7rocprim17ROCPRIM_400000_NS6detail17trampoline_kernelINS0_14default_configENS1_38merge_sort_block_merge_config_selectorIsNS0_10empty_typeEEEZZNS1_27merge_sort_block_merge_implIS3_PsPS5_jNS1_19radix_merge_compareILb0ELb0EsNS0_19identity_decomposerEEEEE10hipError_tT0_T1_T2_jT3_P12ihipStream_tbPNSt15iterator_traitsISE_E10value_typeEPNSK_ISF_E10value_typeEPSG_NS1_7vsmem_tEENKUlT_SE_SF_SG_E_clIS8_S8_S9_S9_EESD_ST_SE_SF_SG_EUlST_E1_NS1_11comp_targetILNS1_3genE3ELNS1_11target_archE908ELNS1_3gpuE7ELNS1_3repE0EEENS1_36merge_oddeven_config_static_selectorELNS0_4arch9wavefront6targetE0EEEvSF_,comdat
.Lfunc_end667:
	.size	_ZN7rocprim17ROCPRIM_400000_NS6detail17trampoline_kernelINS0_14default_configENS1_38merge_sort_block_merge_config_selectorIsNS0_10empty_typeEEEZZNS1_27merge_sort_block_merge_implIS3_PsPS5_jNS1_19radix_merge_compareILb0ELb0EsNS0_19identity_decomposerEEEEE10hipError_tT0_T1_T2_jT3_P12ihipStream_tbPNSt15iterator_traitsISE_E10value_typeEPNSK_ISF_E10value_typeEPSG_NS1_7vsmem_tEENKUlT_SE_SF_SG_E_clIS8_S8_S9_S9_EESD_ST_SE_SF_SG_EUlST_E1_NS1_11comp_targetILNS1_3genE3ELNS1_11target_archE908ELNS1_3gpuE7ELNS1_3repE0EEENS1_36merge_oddeven_config_static_selectorELNS0_4arch9wavefront6targetE0EEEvSF_, .Lfunc_end667-_ZN7rocprim17ROCPRIM_400000_NS6detail17trampoline_kernelINS0_14default_configENS1_38merge_sort_block_merge_config_selectorIsNS0_10empty_typeEEEZZNS1_27merge_sort_block_merge_implIS3_PsPS5_jNS1_19radix_merge_compareILb0ELb0EsNS0_19identity_decomposerEEEEE10hipError_tT0_T1_T2_jT3_P12ihipStream_tbPNSt15iterator_traitsISE_E10value_typeEPNSK_ISF_E10value_typeEPSG_NS1_7vsmem_tEENKUlT_SE_SF_SG_E_clIS8_S8_S9_S9_EESD_ST_SE_SF_SG_EUlST_E1_NS1_11comp_targetILNS1_3genE3ELNS1_11target_archE908ELNS1_3gpuE7ELNS1_3repE0EEENS1_36merge_oddeven_config_static_selectorELNS0_4arch9wavefront6targetE0EEEvSF_
                                        ; -- End function
	.set _ZN7rocprim17ROCPRIM_400000_NS6detail17trampoline_kernelINS0_14default_configENS1_38merge_sort_block_merge_config_selectorIsNS0_10empty_typeEEEZZNS1_27merge_sort_block_merge_implIS3_PsPS5_jNS1_19radix_merge_compareILb0ELb0EsNS0_19identity_decomposerEEEEE10hipError_tT0_T1_T2_jT3_P12ihipStream_tbPNSt15iterator_traitsISE_E10value_typeEPNSK_ISF_E10value_typeEPSG_NS1_7vsmem_tEENKUlT_SE_SF_SG_E_clIS8_S8_S9_S9_EESD_ST_SE_SF_SG_EUlST_E1_NS1_11comp_targetILNS1_3genE3ELNS1_11target_archE908ELNS1_3gpuE7ELNS1_3repE0EEENS1_36merge_oddeven_config_static_selectorELNS0_4arch9wavefront6targetE0EEEvSF_.num_vgpr, 0
	.set _ZN7rocprim17ROCPRIM_400000_NS6detail17trampoline_kernelINS0_14default_configENS1_38merge_sort_block_merge_config_selectorIsNS0_10empty_typeEEEZZNS1_27merge_sort_block_merge_implIS3_PsPS5_jNS1_19radix_merge_compareILb0ELb0EsNS0_19identity_decomposerEEEEE10hipError_tT0_T1_T2_jT3_P12ihipStream_tbPNSt15iterator_traitsISE_E10value_typeEPNSK_ISF_E10value_typeEPSG_NS1_7vsmem_tEENKUlT_SE_SF_SG_E_clIS8_S8_S9_S9_EESD_ST_SE_SF_SG_EUlST_E1_NS1_11comp_targetILNS1_3genE3ELNS1_11target_archE908ELNS1_3gpuE7ELNS1_3repE0EEENS1_36merge_oddeven_config_static_selectorELNS0_4arch9wavefront6targetE0EEEvSF_.num_agpr, 0
	.set _ZN7rocprim17ROCPRIM_400000_NS6detail17trampoline_kernelINS0_14default_configENS1_38merge_sort_block_merge_config_selectorIsNS0_10empty_typeEEEZZNS1_27merge_sort_block_merge_implIS3_PsPS5_jNS1_19radix_merge_compareILb0ELb0EsNS0_19identity_decomposerEEEEE10hipError_tT0_T1_T2_jT3_P12ihipStream_tbPNSt15iterator_traitsISE_E10value_typeEPNSK_ISF_E10value_typeEPSG_NS1_7vsmem_tEENKUlT_SE_SF_SG_E_clIS8_S8_S9_S9_EESD_ST_SE_SF_SG_EUlST_E1_NS1_11comp_targetILNS1_3genE3ELNS1_11target_archE908ELNS1_3gpuE7ELNS1_3repE0EEENS1_36merge_oddeven_config_static_selectorELNS0_4arch9wavefront6targetE0EEEvSF_.numbered_sgpr, 0
	.set _ZN7rocprim17ROCPRIM_400000_NS6detail17trampoline_kernelINS0_14default_configENS1_38merge_sort_block_merge_config_selectorIsNS0_10empty_typeEEEZZNS1_27merge_sort_block_merge_implIS3_PsPS5_jNS1_19radix_merge_compareILb0ELb0EsNS0_19identity_decomposerEEEEE10hipError_tT0_T1_T2_jT3_P12ihipStream_tbPNSt15iterator_traitsISE_E10value_typeEPNSK_ISF_E10value_typeEPSG_NS1_7vsmem_tEENKUlT_SE_SF_SG_E_clIS8_S8_S9_S9_EESD_ST_SE_SF_SG_EUlST_E1_NS1_11comp_targetILNS1_3genE3ELNS1_11target_archE908ELNS1_3gpuE7ELNS1_3repE0EEENS1_36merge_oddeven_config_static_selectorELNS0_4arch9wavefront6targetE0EEEvSF_.num_named_barrier, 0
	.set _ZN7rocprim17ROCPRIM_400000_NS6detail17trampoline_kernelINS0_14default_configENS1_38merge_sort_block_merge_config_selectorIsNS0_10empty_typeEEEZZNS1_27merge_sort_block_merge_implIS3_PsPS5_jNS1_19radix_merge_compareILb0ELb0EsNS0_19identity_decomposerEEEEE10hipError_tT0_T1_T2_jT3_P12ihipStream_tbPNSt15iterator_traitsISE_E10value_typeEPNSK_ISF_E10value_typeEPSG_NS1_7vsmem_tEENKUlT_SE_SF_SG_E_clIS8_S8_S9_S9_EESD_ST_SE_SF_SG_EUlST_E1_NS1_11comp_targetILNS1_3genE3ELNS1_11target_archE908ELNS1_3gpuE7ELNS1_3repE0EEENS1_36merge_oddeven_config_static_selectorELNS0_4arch9wavefront6targetE0EEEvSF_.private_seg_size, 0
	.set _ZN7rocprim17ROCPRIM_400000_NS6detail17trampoline_kernelINS0_14default_configENS1_38merge_sort_block_merge_config_selectorIsNS0_10empty_typeEEEZZNS1_27merge_sort_block_merge_implIS3_PsPS5_jNS1_19radix_merge_compareILb0ELb0EsNS0_19identity_decomposerEEEEE10hipError_tT0_T1_T2_jT3_P12ihipStream_tbPNSt15iterator_traitsISE_E10value_typeEPNSK_ISF_E10value_typeEPSG_NS1_7vsmem_tEENKUlT_SE_SF_SG_E_clIS8_S8_S9_S9_EESD_ST_SE_SF_SG_EUlST_E1_NS1_11comp_targetILNS1_3genE3ELNS1_11target_archE908ELNS1_3gpuE7ELNS1_3repE0EEENS1_36merge_oddeven_config_static_selectorELNS0_4arch9wavefront6targetE0EEEvSF_.uses_vcc, 0
	.set _ZN7rocprim17ROCPRIM_400000_NS6detail17trampoline_kernelINS0_14default_configENS1_38merge_sort_block_merge_config_selectorIsNS0_10empty_typeEEEZZNS1_27merge_sort_block_merge_implIS3_PsPS5_jNS1_19radix_merge_compareILb0ELb0EsNS0_19identity_decomposerEEEEE10hipError_tT0_T1_T2_jT3_P12ihipStream_tbPNSt15iterator_traitsISE_E10value_typeEPNSK_ISF_E10value_typeEPSG_NS1_7vsmem_tEENKUlT_SE_SF_SG_E_clIS8_S8_S9_S9_EESD_ST_SE_SF_SG_EUlST_E1_NS1_11comp_targetILNS1_3genE3ELNS1_11target_archE908ELNS1_3gpuE7ELNS1_3repE0EEENS1_36merge_oddeven_config_static_selectorELNS0_4arch9wavefront6targetE0EEEvSF_.uses_flat_scratch, 0
	.set _ZN7rocprim17ROCPRIM_400000_NS6detail17trampoline_kernelINS0_14default_configENS1_38merge_sort_block_merge_config_selectorIsNS0_10empty_typeEEEZZNS1_27merge_sort_block_merge_implIS3_PsPS5_jNS1_19radix_merge_compareILb0ELb0EsNS0_19identity_decomposerEEEEE10hipError_tT0_T1_T2_jT3_P12ihipStream_tbPNSt15iterator_traitsISE_E10value_typeEPNSK_ISF_E10value_typeEPSG_NS1_7vsmem_tEENKUlT_SE_SF_SG_E_clIS8_S8_S9_S9_EESD_ST_SE_SF_SG_EUlST_E1_NS1_11comp_targetILNS1_3genE3ELNS1_11target_archE908ELNS1_3gpuE7ELNS1_3repE0EEENS1_36merge_oddeven_config_static_selectorELNS0_4arch9wavefront6targetE0EEEvSF_.has_dyn_sized_stack, 0
	.set _ZN7rocprim17ROCPRIM_400000_NS6detail17trampoline_kernelINS0_14default_configENS1_38merge_sort_block_merge_config_selectorIsNS0_10empty_typeEEEZZNS1_27merge_sort_block_merge_implIS3_PsPS5_jNS1_19radix_merge_compareILb0ELb0EsNS0_19identity_decomposerEEEEE10hipError_tT0_T1_T2_jT3_P12ihipStream_tbPNSt15iterator_traitsISE_E10value_typeEPNSK_ISF_E10value_typeEPSG_NS1_7vsmem_tEENKUlT_SE_SF_SG_E_clIS8_S8_S9_S9_EESD_ST_SE_SF_SG_EUlST_E1_NS1_11comp_targetILNS1_3genE3ELNS1_11target_archE908ELNS1_3gpuE7ELNS1_3repE0EEENS1_36merge_oddeven_config_static_selectorELNS0_4arch9wavefront6targetE0EEEvSF_.has_recursion, 0
	.set _ZN7rocprim17ROCPRIM_400000_NS6detail17trampoline_kernelINS0_14default_configENS1_38merge_sort_block_merge_config_selectorIsNS0_10empty_typeEEEZZNS1_27merge_sort_block_merge_implIS3_PsPS5_jNS1_19radix_merge_compareILb0ELb0EsNS0_19identity_decomposerEEEEE10hipError_tT0_T1_T2_jT3_P12ihipStream_tbPNSt15iterator_traitsISE_E10value_typeEPNSK_ISF_E10value_typeEPSG_NS1_7vsmem_tEENKUlT_SE_SF_SG_E_clIS8_S8_S9_S9_EESD_ST_SE_SF_SG_EUlST_E1_NS1_11comp_targetILNS1_3genE3ELNS1_11target_archE908ELNS1_3gpuE7ELNS1_3repE0EEENS1_36merge_oddeven_config_static_selectorELNS0_4arch9wavefront6targetE0EEEvSF_.has_indirect_call, 0
	.section	.AMDGPU.csdata,"",@progbits
; Kernel info:
; codeLenInByte = 0
; TotalNumSgprs: 0
; NumVgprs: 0
; ScratchSize: 0
; MemoryBound: 0
; FloatMode: 240
; IeeeMode: 1
; LDSByteSize: 0 bytes/workgroup (compile time only)
; SGPRBlocks: 0
; VGPRBlocks: 0
; NumSGPRsForWavesPerEU: 1
; NumVGPRsForWavesPerEU: 1
; NamedBarCnt: 0
; Occupancy: 16
; WaveLimiterHint : 0
; COMPUTE_PGM_RSRC2:SCRATCH_EN: 0
; COMPUTE_PGM_RSRC2:USER_SGPR: 2
; COMPUTE_PGM_RSRC2:TRAP_HANDLER: 0
; COMPUTE_PGM_RSRC2:TGID_X_EN: 1
; COMPUTE_PGM_RSRC2:TGID_Y_EN: 0
; COMPUTE_PGM_RSRC2:TGID_Z_EN: 0
; COMPUTE_PGM_RSRC2:TIDIG_COMP_CNT: 0
	.section	.text._ZN7rocprim17ROCPRIM_400000_NS6detail17trampoline_kernelINS0_14default_configENS1_38merge_sort_block_merge_config_selectorIsNS0_10empty_typeEEEZZNS1_27merge_sort_block_merge_implIS3_PsPS5_jNS1_19radix_merge_compareILb0ELb0EsNS0_19identity_decomposerEEEEE10hipError_tT0_T1_T2_jT3_P12ihipStream_tbPNSt15iterator_traitsISE_E10value_typeEPNSK_ISF_E10value_typeEPSG_NS1_7vsmem_tEENKUlT_SE_SF_SG_E_clIS8_S8_S9_S9_EESD_ST_SE_SF_SG_EUlST_E1_NS1_11comp_targetILNS1_3genE2ELNS1_11target_archE906ELNS1_3gpuE6ELNS1_3repE0EEENS1_36merge_oddeven_config_static_selectorELNS0_4arch9wavefront6targetE0EEEvSF_,"axG",@progbits,_ZN7rocprim17ROCPRIM_400000_NS6detail17trampoline_kernelINS0_14default_configENS1_38merge_sort_block_merge_config_selectorIsNS0_10empty_typeEEEZZNS1_27merge_sort_block_merge_implIS3_PsPS5_jNS1_19radix_merge_compareILb0ELb0EsNS0_19identity_decomposerEEEEE10hipError_tT0_T1_T2_jT3_P12ihipStream_tbPNSt15iterator_traitsISE_E10value_typeEPNSK_ISF_E10value_typeEPSG_NS1_7vsmem_tEENKUlT_SE_SF_SG_E_clIS8_S8_S9_S9_EESD_ST_SE_SF_SG_EUlST_E1_NS1_11comp_targetILNS1_3genE2ELNS1_11target_archE906ELNS1_3gpuE6ELNS1_3repE0EEENS1_36merge_oddeven_config_static_selectorELNS0_4arch9wavefront6targetE0EEEvSF_,comdat
	.protected	_ZN7rocprim17ROCPRIM_400000_NS6detail17trampoline_kernelINS0_14default_configENS1_38merge_sort_block_merge_config_selectorIsNS0_10empty_typeEEEZZNS1_27merge_sort_block_merge_implIS3_PsPS5_jNS1_19radix_merge_compareILb0ELb0EsNS0_19identity_decomposerEEEEE10hipError_tT0_T1_T2_jT3_P12ihipStream_tbPNSt15iterator_traitsISE_E10value_typeEPNSK_ISF_E10value_typeEPSG_NS1_7vsmem_tEENKUlT_SE_SF_SG_E_clIS8_S8_S9_S9_EESD_ST_SE_SF_SG_EUlST_E1_NS1_11comp_targetILNS1_3genE2ELNS1_11target_archE906ELNS1_3gpuE6ELNS1_3repE0EEENS1_36merge_oddeven_config_static_selectorELNS0_4arch9wavefront6targetE0EEEvSF_ ; -- Begin function _ZN7rocprim17ROCPRIM_400000_NS6detail17trampoline_kernelINS0_14default_configENS1_38merge_sort_block_merge_config_selectorIsNS0_10empty_typeEEEZZNS1_27merge_sort_block_merge_implIS3_PsPS5_jNS1_19radix_merge_compareILb0ELb0EsNS0_19identity_decomposerEEEEE10hipError_tT0_T1_T2_jT3_P12ihipStream_tbPNSt15iterator_traitsISE_E10value_typeEPNSK_ISF_E10value_typeEPSG_NS1_7vsmem_tEENKUlT_SE_SF_SG_E_clIS8_S8_S9_S9_EESD_ST_SE_SF_SG_EUlST_E1_NS1_11comp_targetILNS1_3genE2ELNS1_11target_archE906ELNS1_3gpuE6ELNS1_3repE0EEENS1_36merge_oddeven_config_static_selectorELNS0_4arch9wavefront6targetE0EEEvSF_
	.globl	_ZN7rocprim17ROCPRIM_400000_NS6detail17trampoline_kernelINS0_14default_configENS1_38merge_sort_block_merge_config_selectorIsNS0_10empty_typeEEEZZNS1_27merge_sort_block_merge_implIS3_PsPS5_jNS1_19radix_merge_compareILb0ELb0EsNS0_19identity_decomposerEEEEE10hipError_tT0_T1_T2_jT3_P12ihipStream_tbPNSt15iterator_traitsISE_E10value_typeEPNSK_ISF_E10value_typeEPSG_NS1_7vsmem_tEENKUlT_SE_SF_SG_E_clIS8_S8_S9_S9_EESD_ST_SE_SF_SG_EUlST_E1_NS1_11comp_targetILNS1_3genE2ELNS1_11target_archE906ELNS1_3gpuE6ELNS1_3repE0EEENS1_36merge_oddeven_config_static_selectorELNS0_4arch9wavefront6targetE0EEEvSF_
	.p2align	8
	.type	_ZN7rocprim17ROCPRIM_400000_NS6detail17trampoline_kernelINS0_14default_configENS1_38merge_sort_block_merge_config_selectorIsNS0_10empty_typeEEEZZNS1_27merge_sort_block_merge_implIS3_PsPS5_jNS1_19radix_merge_compareILb0ELb0EsNS0_19identity_decomposerEEEEE10hipError_tT0_T1_T2_jT3_P12ihipStream_tbPNSt15iterator_traitsISE_E10value_typeEPNSK_ISF_E10value_typeEPSG_NS1_7vsmem_tEENKUlT_SE_SF_SG_E_clIS8_S8_S9_S9_EESD_ST_SE_SF_SG_EUlST_E1_NS1_11comp_targetILNS1_3genE2ELNS1_11target_archE906ELNS1_3gpuE6ELNS1_3repE0EEENS1_36merge_oddeven_config_static_selectorELNS0_4arch9wavefront6targetE0EEEvSF_,@function
_ZN7rocprim17ROCPRIM_400000_NS6detail17trampoline_kernelINS0_14default_configENS1_38merge_sort_block_merge_config_selectorIsNS0_10empty_typeEEEZZNS1_27merge_sort_block_merge_implIS3_PsPS5_jNS1_19radix_merge_compareILb0ELb0EsNS0_19identity_decomposerEEEEE10hipError_tT0_T1_T2_jT3_P12ihipStream_tbPNSt15iterator_traitsISE_E10value_typeEPNSK_ISF_E10value_typeEPSG_NS1_7vsmem_tEENKUlT_SE_SF_SG_E_clIS8_S8_S9_S9_EESD_ST_SE_SF_SG_EUlST_E1_NS1_11comp_targetILNS1_3genE2ELNS1_11target_archE906ELNS1_3gpuE6ELNS1_3repE0EEENS1_36merge_oddeven_config_static_selectorELNS0_4arch9wavefront6targetE0EEEvSF_: ; @_ZN7rocprim17ROCPRIM_400000_NS6detail17trampoline_kernelINS0_14default_configENS1_38merge_sort_block_merge_config_selectorIsNS0_10empty_typeEEEZZNS1_27merge_sort_block_merge_implIS3_PsPS5_jNS1_19radix_merge_compareILb0ELb0EsNS0_19identity_decomposerEEEEE10hipError_tT0_T1_T2_jT3_P12ihipStream_tbPNSt15iterator_traitsISE_E10value_typeEPNSK_ISF_E10value_typeEPSG_NS1_7vsmem_tEENKUlT_SE_SF_SG_E_clIS8_S8_S9_S9_EESD_ST_SE_SF_SG_EUlST_E1_NS1_11comp_targetILNS1_3genE2ELNS1_11target_archE906ELNS1_3gpuE6ELNS1_3repE0EEENS1_36merge_oddeven_config_static_selectorELNS0_4arch9wavefront6targetE0EEEvSF_
; %bb.0:
	.section	.rodata,"a",@progbits
	.p2align	6, 0x0
	.amdhsa_kernel _ZN7rocprim17ROCPRIM_400000_NS6detail17trampoline_kernelINS0_14default_configENS1_38merge_sort_block_merge_config_selectorIsNS0_10empty_typeEEEZZNS1_27merge_sort_block_merge_implIS3_PsPS5_jNS1_19radix_merge_compareILb0ELb0EsNS0_19identity_decomposerEEEEE10hipError_tT0_T1_T2_jT3_P12ihipStream_tbPNSt15iterator_traitsISE_E10value_typeEPNSK_ISF_E10value_typeEPSG_NS1_7vsmem_tEENKUlT_SE_SF_SG_E_clIS8_S8_S9_S9_EESD_ST_SE_SF_SG_EUlST_E1_NS1_11comp_targetILNS1_3genE2ELNS1_11target_archE906ELNS1_3gpuE6ELNS1_3repE0EEENS1_36merge_oddeven_config_static_selectorELNS0_4arch9wavefront6targetE0EEEvSF_
		.amdhsa_group_segment_fixed_size 0
		.amdhsa_private_segment_fixed_size 0
		.amdhsa_kernarg_size 48
		.amdhsa_user_sgpr_count 2
		.amdhsa_user_sgpr_dispatch_ptr 0
		.amdhsa_user_sgpr_queue_ptr 0
		.amdhsa_user_sgpr_kernarg_segment_ptr 1
		.amdhsa_user_sgpr_dispatch_id 0
		.amdhsa_user_sgpr_kernarg_preload_length 0
		.amdhsa_user_sgpr_kernarg_preload_offset 0
		.amdhsa_user_sgpr_private_segment_size 0
		.amdhsa_wavefront_size32 1
		.amdhsa_uses_dynamic_stack 0
		.amdhsa_enable_private_segment 0
		.amdhsa_system_sgpr_workgroup_id_x 1
		.amdhsa_system_sgpr_workgroup_id_y 0
		.amdhsa_system_sgpr_workgroup_id_z 0
		.amdhsa_system_sgpr_workgroup_info 0
		.amdhsa_system_vgpr_workitem_id 0
		.amdhsa_next_free_vgpr 1
		.amdhsa_next_free_sgpr 1
		.amdhsa_named_barrier_count 0
		.amdhsa_reserve_vcc 0
		.amdhsa_float_round_mode_32 0
		.amdhsa_float_round_mode_16_64 0
		.amdhsa_float_denorm_mode_32 3
		.amdhsa_float_denorm_mode_16_64 3
		.amdhsa_fp16_overflow 0
		.amdhsa_memory_ordered 1
		.amdhsa_forward_progress 1
		.amdhsa_inst_pref_size 0
		.amdhsa_round_robin_scheduling 0
		.amdhsa_exception_fp_ieee_invalid_op 0
		.amdhsa_exception_fp_denorm_src 0
		.amdhsa_exception_fp_ieee_div_zero 0
		.amdhsa_exception_fp_ieee_overflow 0
		.amdhsa_exception_fp_ieee_underflow 0
		.amdhsa_exception_fp_ieee_inexact 0
		.amdhsa_exception_int_div_zero 0
	.end_amdhsa_kernel
	.section	.text._ZN7rocprim17ROCPRIM_400000_NS6detail17trampoline_kernelINS0_14default_configENS1_38merge_sort_block_merge_config_selectorIsNS0_10empty_typeEEEZZNS1_27merge_sort_block_merge_implIS3_PsPS5_jNS1_19radix_merge_compareILb0ELb0EsNS0_19identity_decomposerEEEEE10hipError_tT0_T1_T2_jT3_P12ihipStream_tbPNSt15iterator_traitsISE_E10value_typeEPNSK_ISF_E10value_typeEPSG_NS1_7vsmem_tEENKUlT_SE_SF_SG_E_clIS8_S8_S9_S9_EESD_ST_SE_SF_SG_EUlST_E1_NS1_11comp_targetILNS1_3genE2ELNS1_11target_archE906ELNS1_3gpuE6ELNS1_3repE0EEENS1_36merge_oddeven_config_static_selectorELNS0_4arch9wavefront6targetE0EEEvSF_,"axG",@progbits,_ZN7rocprim17ROCPRIM_400000_NS6detail17trampoline_kernelINS0_14default_configENS1_38merge_sort_block_merge_config_selectorIsNS0_10empty_typeEEEZZNS1_27merge_sort_block_merge_implIS3_PsPS5_jNS1_19radix_merge_compareILb0ELb0EsNS0_19identity_decomposerEEEEE10hipError_tT0_T1_T2_jT3_P12ihipStream_tbPNSt15iterator_traitsISE_E10value_typeEPNSK_ISF_E10value_typeEPSG_NS1_7vsmem_tEENKUlT_SE_SF_SG_E_clIS8_S8_S9_S9_EESD_ST_SE_SF_SG_EUlST_E1_NS1_11comp_targetILNS1_3genE2ELNS1_11target_archE906ELNS1_3gpuE6ELNS1_3repE0EEENS1_36merge_oddeven_config_static_selectorELNS0_4arch9wavefront6targetE0EEEvSF_,comdat
.Lfunc_end668:
	.size	_ZN7rocprim17ROCPRIM_400000_NS6detail17trampoline_kernelINS0_14default_configENS1_38merge_sort_block_merge_config_selectorIsNS0_10empty_typeEEEZZNS1_27merge_sort_block_merge_implIS3_PsPS5_jNS1_19radix_merge_compareILb0ELb0EsNS0_19identity_decomposerEEEEE10hipError_tT0_T1_T2_jT3_P12ihipStream_tbPNSt15iterator_traitsISE_E10value_typeEPNSK_ISF_E10value_typeEPSG_NS1_7vsmem_tEENKUlT_SE_SF_SG_E_clIS8_S8_S9_S9_EESD_ST_SE_SF_SG_EUlST_E1_NS1_11comp_targetILNS1_3genE2ELNS1_11target_archE906ELNS1_3gpuE6ELNS1_3repE0EEENS1_36merge_oddeven_config_static_selectorELNS0_4arch9wavefront6targetE0EEEvSF_, .Lfunc_end668-_ZN7rocprim17ROCPRIM_400000_NS6detail17trampoline_kernelINS0_14default_configENS1_38merge_sort_block_merge_config_selectorIsNS0_10empty_typeEEEZZNS1_27merge_sort_block_merge_implIS3_PsPS5_jNS1_19radix_merge_compareILb0ELb0EsNS0_19identity_decomposerEEEEE10hipError_tT0_T1_T2_jT3_P12ihipStream_tbPNSt15iterator_traitsISE_E10value_typeEPNSK_ISF_E10value_typeEPSG_NS1_7vsmem_tEENKUlT_SE_SF_SG_E_clIS8_S8_S9_S9_EESD_ST_SE_SF_SG_EUlST_E1_NS1_11comp_targetILNS1_3genE2ELNS1_11target_archE906ELNS1_3gpuE6ELNS1_3repE0EEENS1_36merge_oddeven_config_static_selectorELNS0_4arch9wavefront6targetE0EEEvSF_
                                        ; -- End function
	.set _ZN7rocprim17ROCPRIM_400000_NS6detail17trampoline_kernelINS0_14default_configENS1_38merge_sort_block_merge_config_selectorIsNS0_10empty_typeEEEZZNS1_27merge_sort_block_merge_implIS3_PsPS5_jNS1_19radix_merge_compareILb0ELb0EsNS0_19identity_decomposerEEEEE10hipError_tT0_T1_T2_jT3_P12ihipStream_tbPNSt15iterator_traitsISE_E10value_typeEPNSK_ISF_E10value_typeEPSG_NS1_7vsmem_tEENKUlT_SE_SF_SG_E_clIS8_S8_S9_S9_EESD_ST_SE_SF_SG_EUlST_E1_NS1_11comp_targetILNS1_3genE2ELNS1_11target_archE906ELNS1_3gpuE6ELNS1_3repE0EEENS1_36merge_oddeven_config_static_selectorELNS0_4arch9wavefront6targetE0EEEvSF_.num_vgpr, 0
	.set _ZN7rocprim17ROCPRIM_400000_NS6detail17trampoline_kernelINS0_14default_configENS1_38merge_sort_block_merge_config_selectorIsNS0_10empty_typeEEEZZNS1_27merge_sort_block_merge_implIS3_PsPS5_jNS1_19radix_merge_compareILb0ELb0EsNS0_19identity_decomposerEEEEE10hipError_tT0_T1_T2_jT3_P12ihipStream_tbPNSt15iterator_traitsISE_E10value_typeEPNSK_ISF_E10value_typeEPSG_NS1_7vsmem_tEENKUlT_SE_SF_SG_E_clIS8_S8_S9_S9_EESD_ST_SE_SF_SG_EUlST_E1_NS1_11comp_targetILNS1_3genE2ELNS1_11target_archE906ELNS1_3gpuE6ELNS1_3repE0EEENS1_36merge_oddeven_config_static_selectorELNS0_4arch9wavefront6targetE0EEEvSF_.num_agpr, 0
	.set _ZN7rocprim17ROCPRIM_400000_NS6detail17trampoline_kernelINS0_14default_configENS1_38merge_sort_block_merge_config_selectorIsNS0_10empty_typeEEEZZNS1_27merge_sort_block_merge_implIS3_PsPS5_jNS1_19radix_merge_compareILb0ELb0EsNS0_19identity_decomposerEEEEE10hipError_tT0_T1_T2_jT3_P12ihipStream_tbPNSt15iterator_traitsISE_E10value_typeEPNSK_ISF_E10value_typeEPSG_NS1_7vsmem_tEENKUlT_SE_SF_SG_E_clIS8_S8_S9_S9_EESD_ST_SE_SF_SG_EUlST_E1_NS1_11comp_targetILNS1_3genE2ELNS1_11target_archE906ELNS1_3gpuE6ELNS1_3repE0EEENS1_36merge_oddeven_config_static_selectorELNS0_4arch9wavefront6targetE0EEEvSF_.numbered_sgpr, 0
	.set _ZN7rocprim17ROCPRIM_400000_NS6detail17trampoline_kernelINS0_14default_configENS1_38merge_sort_block_merge_config_selectorIsNS0_10empty_typeEEEZZNS1_27merge_sort_block_merge_implIS3_PsPS5_jNS1_19radix_merge_compareILb0ELb0EsNS0_19identity_decomposerEEEEE10hipError_tT0_T1_T2_jT3_P12ihipStream_tbPNSt15iterator_traitsISE_E10value_typeEPNSK_ISF_E10value_typeEPSG_NS1_7vsmem_tEENKUlT_SE_SF_SG_E_clIS8_S8_S9_S9_EESD_ST_SE_SF_SG_EUlST_E1_NS1_11comp_targetILNS1_3genE2ELNS1_11target_archE906ELNS1_3gpuE6ELNS1_3repE0EEENS1_36merge_oddeven_config_static_selectorELNS0_4arch9wavefront6targetE0EEEvSF_.num_named_barrier, 0
	.set _ZN7rocprim17ROCPRIM_400000_NS6detail17trampoline_kernelINS0_14default_configENS1_38merge_sort_block_merge_config_selectorIsNS0_10empty_typeEEEZZNS1_27merge_sort_block_merge_implIS3_PsPS5_jNS1_19radix_merge_compareILb0ELb0EsNS0_19identity_decomposerEEEEE10hipError_tT0_T1_T2_jT3_P12ihipStream_tbPNSt15iterator_traitsISE_E10value_typeEPNSK_ISF_E10value_typeEPSG_NS1_7vsmem_tEENKUlT_SE_SF_SG_E_clIS8_S8_S9_S9_EESD_ST_SE_SF_SG_EUlST_E1_NS1_11comp_targetILNS1_3genE2ELNS1_11target_archE906ELNS1_3gpuE6ELNS1_3repE0EEENS1_36merge_oddeven_config_static_selectorELNS0_4arch9wavefront6targetE0EEEvSF_.private_seg_size, 0
	.set _ZN7rocprim17ROCPRIM_400000_NS6detail17trampoline_kernelINS0_14default_configENS1_38merge_sort_block_merge_config_selectorIsNS0_10empty_typeEEEZZNS1_27merge_sort_block_merge_implIS3_PsPS5_jNS1_19radix_merge_compareILb0ELb0EsNS0_19identity_decomposerEEEEE10hipError_tT0_T1_T2_jT3_P12ihipStream_tbPNSt15iterator_traitsISE_E10value_typeEPNSK_ISF_E10value_typeEPSG_NS1_7vsmem_tEENKUlT_SE_SF_SG_E_clIS8_S8_S9_S9_EESD_ST_SE_SF_SG_EUlST_E1_NS1_11comp_targetILNS1_3genE2ELNS1_11target_archE906ELNS1_3gpuE6ELNS1_3repE0EEENS1_36merge_oddeven_config_static_selectorELNS0_4arch9wavefront6targetE0EEEvSF_.uses_vcc, 0
	.set _ZN7rocprim17ROCPRIM_400000_NS6detail17trampoline_kernelINS0_14default_configENS1_38merge_sort_block_merge_config_selectorIsNS0_10empty_typeEEEZZNS1_27merge_sort_block_merge_implIS3_PsPS5_jNS1_19radix_merge_compareILb0ELb0EsNS0_19identity_decomposerEEEEE10hipError_tT0_T1_T2_jT3_P12ihipStream_tbPNSt15iterator_traitsISE_E10value_typeEPNSK_ISF_E10value_typeEPSG_NS1_7vsmem_tEENKUlT_SE_SF_SG_E_clIS8_S8_S9_S9_EESD_ST_SE_SF_SG_EUlST_E1_NS1_11comp_targetILNS1_3genE2ELNS1_11target_archE906ELNS1_3gpuE6ELNS1_3repE0EEENS1_36merge_oddeven_config_static_selectorELNS0_4arch9wavefront6targetE0EEEvSF_.uses_flat_scratch, 0
	.set _ZN7rocprim17ROCPRIM_400000_NS6detail17trampoline_kernelINS0_14default_configENS1_38merge_sort_block_merge_config_selectorIsNS0_10empty_typeEEEZZNS1_27merge_sort_block_merge_implIS3_PsPS5_jNS1_19radix_merge_compareILb0ELb0EsNS0_19identity_decomposerEEEEE10hipError_tT0_T1_T2_jT3_P12ihipStream_tbPNSt15iterator_traitsISE_E10value_typeEPNSK_ISF_E10value_typeEPSG_NS1_7vsmem_tEENKUlT_SE_SF_SG_E_clIS8_S8_S9_S9_EESD_ST_SE_SF_SG_EUlST_E1_NS1_11comp_targetILNS1_3genE2ELNS1_11target_archE906ELNS1_3gpuE6ELNS1_3repE0EEENS1_36merge_oddeven_config_static_selectorELNS0_4arch9wavefront6targetE0EEEvSF_.has_dyn_sized_stack, 0
	.set _ZN7rocprim17ROCPRIM_400000_NS6detail17trampoline_kernelINS0_14default_configENS1_38merge_sort_block_merge_config_selectorIsNS0_10empty_typeEEEZZNS1_27merge_sort_block_merge_implIS3_PsPS5_jNS1_19radix_merge_compareILb0ELb0EsNS0_19identity_decomposerEEEEE10hipError_tT0_T1_T2_jT3_P12ihipStream_tbPNSt15iterator_traitsISE_E10value_typeEPNSK_ISF_E10value_typeEPSG_NS1_7vsmem_tEENKUlT_SE_SF_SG_E_clIS8_S8_S9_S9_EESD_ST_SE_SF_SG_EUlST_E1_NS1_11comp_targetILNS1_3genE2ELNS1_11target_archE906ELNS1_3gpuE6ELNS1_3repE0EEENS1_36merge_oddeven_config_static_selectorELNS0_4arch9wavefront6targetE0EEEvSF_.has_recursion, 0
	.set _ZN7rocprim17ROCPRIM_400000_NS6detail17trampoline_kernelINS0_14default_configENS1_38merge_sort_block_merge_config_selectorIsNS0_10empty_typeEEEZZNS1_27merge_sort_block_merge_implIS3_PsPS5_jNS1_19radix_merge_compareILb0ELb0EsNS0_19identity_decomposerEEEEE10hipError_tT0_T1_T2_jT3_P12ihipStream_tbPNSt15iterator_traitsISE_E10value_typeEPNSK_ISF_E10value_typeEPSG_NS1_7vsmem_tEENKUlT_SE_SF_SG_E_clIS8_S8_S9_S9_EESD_ST_SE_SF_SG_EUlST_E1_NS1_11comp_targetILNS1_3genE2ELNS1_11target_archE906ELNS1_3gpuE6ELNS1_3repE0EEENS1_36merge_oddeven_config_static_selectorELNS0_4arch9wavefront6targetE0EEEvSF_.has_indirect_call, 0
	.section	.AMDGPU.csdata,"",@progbits
; Kernel info:
; codeLenInByte = 0
; TotalNumSgprs: 0
; NumVgprs: 0
; ScratchSize: 0
; MemoryBound: 0
; FloatMode: 240
; IeeeMode: 1
; LDSByteSize: 0 bytes/workgroup (compile time only)
; SGPRBlocks: 0
; VGPRBlocks: 0
; NumSGPRsForWavesPerEU: 1
; NumVGPRsForWavesPerEU: 1
; NamedBarCnt: 0
; Occupancy: 16
; WaveLimiterHint : 0
; COMPUTE_PGM_RSRC2:SCRATCH_EN: 0
; COMPUTE_PGM_RSRC2:USER_SGPR: 2
; COMPUTE_PGM_RSRC2:TRAP_HANDLER: 0
; COMPUTE_PGM_RSRC2:TGID_X_EN: 1
; COMPUTE_PGM_RSRC2:TGID_Y_EN: 0
; COMPUTE_PGM_RSRC2:TGID_Z_EN: 0
; COMPUTE_PGM_RSRC2:TIDIG_COMP_CNT: 0
	.section	.text._ZN7rocprim17ROCPRIM_400000_NS6detail17trampoline_kernelINS0_14default_configENS1_38merge_sort_block_merge_config_selectorIsNS0_10empty_typeEEEZZNS1_27merge_sort_block_merge_implIS3_PsPS5_jNS1_19radix_merge_compareILb0ELb0EsNS0_19identity_decomposerEEEEE10hipError_tT0_T1_T2_jT3_P12ihipStream_tbPNSt15iterator_traitsISE_E10value_typeEPNSK_ISF_E10value_typeEPSG_NS1_7vsmem_tEENKUlT_SE_SF_SG_E_clIS8_S8_S9_S9_EESD_ST_SE_SF_SG_EUlST_E1_NS1_11comp_targetILNS1_3genE9ELNS1_11target_archE1100ELNS1_3gpuE3ELNS1_3repE0EEENS1_36merge_oddeven_config_static_selectorELNS0_4arch9wavefront6targetE0EEEvSF_,"axG",@progbits,_ZN7rocprim17ROCPRIM_400000_NS6detail17trampoline_kernelINS0_14default_configENS1_38merge_sort_block_merge_config_selectorIsNS0_10empty_typeEEEZZNS1_27merge_sort_block_merge_implIS3_PsPS5_jNS1_19radix_merge_compareILb0ELb0EsNS0_19identity_decomposerEEEEE10hipError_tT0_T1_T2_jT3_P12ihipStream_tbPNSt15iterator_traitsISE_E10value_typeEPNSK_ISF_E10value_typeEPSG_NS1_7vsmem_tEENKUlT_SE_SF_SG_E_clIS8_S8_S9_S9_EESD_ST_SE_SF_SG_EUlST_E1_NS1_11comp_targetILNS1_3genE9ELNS1_11target_archE1100ELNS1_3gpuE3ELNS1_3repE0EEENS1_36merge_oddeven_config_static_selectorELNS0_4arch9wavefront6targetE0EEEvSF_,comdat
	.protected	_ZN7rocprim17ROCPRIM_400000_NS6detail17trampoline_kernelINS0_14default_configENS1_38merge_sort_block_merge_config_selectorIsNS0_10empty_typeEEEZZNS1_27merge_sort_block_merge_implIS3_PsPS5_jNS1_19radix_merge_compareILb0ELb0EsNS0_19identity_decomposerEEEEE10hipError_tT0_T1_T2_jT3_P12ihipStream_tbPNSt15iterator_traitsISE_E10value_typeEPNSK_ISF_E10value_typeEPSG_NS1_7vsmem_tEENKUlT_SE_SF_SG_E_clIS8_S8_S9_S9_EESD_ST_SE_SF_SG_EUlST_E1_NS1_11comp_targetILNS1_3genE9ELNS1_11target_archE1100ELNS1_3gpuE3ELNS1_3repE0EEENS1_36merge_oddeven_config_static_selectorELNS0_4arch9wavefront6targetE0EEEvSF_ ; -- Begin function _ZN7rocprim17ROCPRIM_400000_NS6detail17trampoline_kernelINS0_14default_configENS1_38merge_sort_block_merge_config_selectorIsNS0_10empty_typeEEEZZNS1_27merge_sort_block_merge_implIS3_PsPS5_jNS1_19radix_merge_compareILb0ELb0EsNS0_19identity_decomposerEEEEE10hipError_tT0_T1_T2_jT3_P12ihipStream_tbPNSt15iterator_traitsISE_E10value_typeEPNSK_ISF_E10value_typeEPSG_NS1_7vsmem_tEENKUlT_SE_SF_SG_E_clIS8_S8_S9_S9_EESD_ST_SE_SF_SG_EUlST_E1_NS1_11comp_targetILNS1_3genE9ELNS1_11target_archE1100ELNS1_3gpuE3ELNS1_3repE0EEENS1_36merge_oddeven_config_static_selectorELNS0_4arch9wavefront6targetE0EEEvSF_
	.globl	_ZN7rocprim17ROCPRIM_400000_NS6detail17trampoline_kernelINS0_14default_configENS1_38merge_sort_block_merge_config_selectorIsNS0_10empty_typeEEEZZNS1_27merge_sort_block_merge_implIS3_PsPS5_jNS1_19radix_merge_compareILb0ELb0EsNS0_19identity_decomposerEEEEE10hipError_tT0_T1_T2_jT3_P12ihipStream_tbPNSt15iterator_traitsISE_E10value_typeEPNSK_ISF_E10value_typeEPSG_NS1_7vsmem_tEENKUlT_SE_SF_SG_E_clIS8_S8_S9_S9_EESD_ST_SE_SF_SG_EUlST_E1_NS1_11comp_targetILNS1_3genE9ELNS1_11target_archE1100ELNS1_3gpuE3ELNS1_3repE0EEENS1_36merge_oddeven_config_static_selectorELNS0_4arch9wavefront6targetE0EEEvSF_
	.p2align	8
	.type	_ZN7rocprim17ROCPRIM_400000_NS6detail17trampoline_kernelINS0_14default_configENS1_38merge_sort_block_merge_config_selectorIsNS0_10empty_typeEEEZZNS1_27merge_sort_block_merge_implIS3_PsPS5_jNS1_19radix_merge_compareILb0ELb0EsNS0_19identity_decomposerEEEEE10hipError_tT0_T1_T2_jT3_P12ihipStream_tbPNSt15iterator_traitsISE_E10value_typeEPNSK_ISF_E10value_typeEPSG_NS1_7vsmem_tEENKUlT_SE_SF_SG_E_clIS8_S8_S9_S9_EESD_ST_SE_SF_SG_EUlST_E1_NS1_11comp_targetILNS1_3genE9ELNS1_11target_archE1100ELNS1_3gpuE3ELNS1_3repE0EEENS1_36merge_oddeven_config_static_selectorELNS0_4arch9wavefront6targetE0EEEvSF_,@function
_ZN7rocprim17ROCPRIM_400000_NS6detail17trampoline_kernelINS0_14default_configENS1_38merge_sort_block_merge_config_selectorIsNS0_10empty_typeEEEZZNS1_27merge_sort_block_merge_implIS3_PsPS5_jNS1_19radix_merge_compareILb0ELb0EsNS0_19identity_decomposerEEEEE10hipError_tT0_T1_T2_jT3_P12ihipStream_tbPNSt15iterator_traitsISE_E10value_typeEPNSK_ISF_E10value_typeEPSG_NS1_7vsmem_tEENKUlT_SE_SF_SG_E_clIS8_S8_S9_S9_EESD_ST_SE_SF_SG_EUlST_E1_NS1_11comp_targetILNS1_3genE9ELNS1_11target_archE1100ELNS1_3gpuE3ELNS1_3repE0EEENS1_36merge_oddeven_config_static_selectorELNS0_4arch9wavefront6targetE0EEEvSF_: ; @_ZN7rocprim17ROCPRIM_400000_NS6detail17trampoline_kernelINS0_14default_configENS1_38merge_sort_block_merge_config_selectorIsNS0_10empty_typeEEEZZNS1_27merge_sort_block_merge_implIS3_PsPS5_jNS1_19radix_merge_compareILb0ELb0EsNS0_19identity_decomposerEEEEE10hipError_tT0_T1_T2_jT3_P12ihipStream_tbPNSt15iterator_traitsISE_E10value_typeEPNSK_ISF_E10value_typeEPSG_NS1_7vsmem_tEENKUlT_SE_SF_SG_E_clIS8_S8_S9_S9_EESD_ST_SE_SF_SG_EUlST_E1_NS1_11comp_targetILNS1_3genE9ELNS1_11target_archE1100ELNS1_3gpuE3ELNS1_3repE0EEENS1_36merge_oddeven_config_static_selectorELNS0_4arch9wavefront6targetE0EEEvSF_
; %bb.0:
	.section	.rodata,"a",@progbits
	.p2align	6, 0x0
	.amdhsa_kernel _ZN7rocprim17ROCPRIM_400000_NS6detail17trampoline_kernelINS0_14default_configENS1_38merge_sort_block_merge_config_selectorIsNS0_10empty_typeEEEZZNS1_27merge_sort_block_merge_implIS3_PsPS5_jNS1_19radix_merge_compareILb0ELb0EsNS0_19identity_decomposerEEEEE10hipError_tT0_T1_T2_jT3_P12ihipStream_tbPNSt15iterator_traitsISE_E10value_typeEPNSK_ISF_E10value_typeEPSG_NS1_7vsmem_tEENKUlT_SE_SF_SG_E_clIS8_S8_S9_S9_EESD_ST_SE_SF_SG_EUlST_E1_NS1_11comp_targetILNS1_3genE9ELNS1_11target_archE1100ELNS1_3gpuE3ELNS1_3repE0EEENS1_36merge_oddeven_config_static_selectorELNS0_4arch9wavefront6targetE0EEEvSF_
		.amdhsa_group_segment_fixed_size 0
		.amdhsa_private_segment_fixed_size 0
		.amdhsa_kernarg_size 48
		.amdhsa_user_sgpr_count 2
		.amdhsa_user_sgpr_dispatch_ptr 0
		.amdhsa_user_sgpr_queue_ptr 0
		.amdhsa_user_sgpr_kernarg_segment_ptr 1
		.amdhsa_user_sgpr_dispatch_id 0
		.amdhsa_user_sgpr_kernarg_preload_length 0
		.amdhsa_user_sgpr_kernarg_preload_offset 0
		.amdhsa_user_sgpr_private_segment_size 0
		.amdhsa_wavefront_size32 1
		.amdhsa_uses_dynamic_stack 0
		.amdhsa_enable_private_segment 0
		.amdhsa_system_sgpr_workgroup_id_x 1
		.amdhsa_system_sgpr_workgroup_id_y 0
		.amdhsa_system_sgpr_workgroup_id_z 0
		.amdhsa_system_sgpr_workgroup_info 0
		.amdhsa_system_vgpr_workitem_id 0
		.amdhsa_next_free_vgpr 1
		.amdhsa_next_free_sgpr 1
		.amdhsa_named_barrier_count 0
		.amdhsa_reserve_vcc 0
		.amdhsa_float_round_mode_32 0
		.amdhsa_float_round_mode_16_64 0
		.amdhsa_float_denorm_mode_32 3
		.amdhsa_float_denorm_mode_16_64 3
		.amdhsa_fp16_overflow 0
		.amdhsa_memory_ordered 1
		.amdhsa_forward_progress 1
		.amdhsa_inst_pref_size 0
		.amdhsa_round_robin_scheduling 0
		.amdhsa_exception_fp_ieee_invalid_op 0
		.amdhsa_exception_fp_denorm_src 0
		.amdhsa_exception_fp_ieee_div_zero 0
		.amdhsa_exception_fp_ieee_overflow 0
		.amdhsa_exception_fp_ieee_underflow 0
		.amdhsa_exception_fp_ieee_inexact 0
		.amdhsa_exception_int_div_zero 0
	.end_amdhsa_kernel
	.section	.text._ZN7rocprim17ROCPRIM_400000_NS6detail17trampoline_kernelINS0_14default_configENS1_38merge_sort_block_merge_config_selectorIsNS0_10empty_typeEEEZZNS1_27merge_sort_block_merge_implIS3_PsPS5_jNS1_19radix_merge_compareILb0ELb0EsNS0_19identity_decomposerEEEEE10hipError_tT0_T1_T2_jT3_P12ihipStream_tbPNSt15iterator_traitsISE_E10value_typeEPNSK_ISF_E10value_typeEPSG_NS1_7vsmem_tEENKUlT_SE_SF_SG_E_clIS8_S8_S9_S9_EESD_ST_SE_SF_SG_EUlST_E1_NS1_11comp_targetILNS1_3genE9ELNS1_11target_archE1100ELNS1_3gpuE3ELNS1_3repE0EEENS1_36merge_oddeven_config_static_selectorELNS0_4arch9wavefront6targetE0EEEvSF_,"axG",@progbits,_ZN7rocprim17ROCPRIM_400000_NS6detail17trampoline_kernelINS0_14default_configENS1_38merge_sort_block_merge_config_selectorIsNS0_10empty_typeEEEZZNS1_27merge_sort_block_merge_implIS3_PsPS5_jNS1_19radix_merge_compareILb0ELb0EsNS0_19identity_decomposerEEEEE10hipError_tT0_T1_T2_jT3_P12ihipStream_tbPNSt15iterator_traitsISE_E10value_typeEPNSK_ISF_E10value_typeEPSG_NS1_7vsmem_tEENKUlT_SE_SF_SG_E_clIS8_S8_S9_S9_EESD_ST_SE_SF_SG_EUlST_E1_NS1_11comp_targetILNS1_3genE9ELNS1_11target_archE1100ELNS1_3gpuE3ELNS1_3repE0EEENS1_36merge_oddeven_config_static_selectorELNS0_4arch9wavefront6targetE0EEEvSF_,comdat
.Lfunc_end669:
	.size	_ZN7rocprim17ROCPRIM_400000_NS6detail17trampoline_kernelINS0_14default_configENS1_38merge_sort_block_merge_config_selectorIsNS0_10empty_typeEEEZZNS1_27merge_sort_block_merge_implIS3_PsPS5_jNS1_19radix_merge_compareILb0ELb0EsNS0_19identity_decomposerEEEEE10hipError_tT0_T1_T2_jT3_P12ihipStream_tbPNSt15iterator_traitsISE_E10value_typeEPNSK_ISF_E10value_typeEPSG_NS1_7vsmem_tEENKUlT_SE_SF_SG_E_clIS8_S8_S9_S9_EESD_ST_SE_SF_SG_EUlST_E1_NS1_11comp_targetILNS1_3genE9ELNS1_11target_archE1100ELNS1_3gpuE3ELNS1_3repE0EEENS1_36merge_oddeven_config_static_selectorELNS0_4arch9wavefront6targetE0EEEvSF_, .Lfunc_end669-_ZN7rocprim17ROCPRIM_400000_NS6detail17trampoline_kernelINS0_14default_configENS1_38merge_sort_block_merge_config_selectorIsNS0_10empty_typeEEEZZNS1_27merge_sort_block_merge_implIS3_PsPS5_jNS1_19radix_merge_compareILb0ELb0EsNS0_19identity_decomposerEEEEE10hipError_tT0_T1_T2_jT3_P12ihipStream_tbPNSt15iterator_traitsISE_E10value_typeEPNSK_ISF_E10value_typeEPSG_NS1_7vsmem_tEENKUlT_SE_SF_SG_E_clIS8_S8_S9_S9_EESD_ST_SE_SF_SG_EUlST_E1_NS1_11comp_targetILNS1_3genE9ELNS1_11target_archE1100ELNS1_3gpuE3ELNS1_3repE0EEENS1_36merge_oddeven_config_static_selectorELNS0_4arch9wavefront6targetE0EEEvSF_
                                        ; -- End function
	.set _ZN7rocprim17ROCPRIM_400000_NS6detail17trampoline_kernelINS0_14default_configENS1_38merge_sort_block_merge_config_selectorIsNS0_10empty_typeEEEZZNS1_27merge_sort_block_merge_implIS3_PsPS5_jNS1_19radix_merge_compareILb0ELb0EsNS0_19identity_decomposerEEEEE10hipError_tT0_T1_T2_jT3_P12ihipStream_tbPNSt15iterator_traitsISE_E10value_typeEPNSK_ISF_E10value_typeEPSG_NS1_7vsmem_tEENKUlT_SE_SF_SG_E_clIS8_S8_S9_S9_EESD_ST_SE_SF_SG_EUlST_E1_NS1_11comp_targetILNS1_3genE9ELNS1_11target_archE1100ELNS1_3gpuE3ELNS1_3repE0EEENS1_36merge_oddeven_config_static_selectorELNS0_4arch9wavefront6targetE0EEEvSF_.num_vgpr, 0
	.set _ZN7rocprim17ROCPRIM_400000_NS6detail17trampoline_kernelINS0_14default_configENS1_38merge_sort_block_merge_config_selectorIsNS0_10empty_typeEEEZZNS1_27merge_sort_block_merge_implIS3_PsPS5_jNS1_19radix_merge_compareILb0ELb0EsNS0_19identity_decomposerEEEEE10hipError_tT0_T1_T2_jT3_P12ihipStream_tbPNSt15iterator_traitsISE_E10value_typeEPNSK_ISF_E10value_typeEPSG_NS1_7vsmem_tEENKUlT_SE_SF_SG_E_clIS8_S8_S9_S9_EESD_ST_SE_SF_SG_EUlST_E1_NS1_11comp_targetILNS1_3genE9ELNS1_11target_archE1100ELNS1_3gpuE3ELNS1_3repE0EEENS1_36merge_oddeven_config_static_selectorELNS0_4arch9wavefront6targetE0EEEvSF_.num_agpr, 0
	.set _ZN7rocprim17ROCPRIM_400000_NS6detail17trampoline_kernelINS0_14default_configENS1_38merge_sort_block_merge_config_selectorIsNS0_10empty_typeEEEZZNS1_27merge_sort_block_merge_implIS3_PsPS5_jNS1_19radix_merge_compareILb0ELb0EsNS0_19identity_decomposerEEEEE10hipError_tT0_T1_T2_jT3_P12ihipStream_tbPNSt15iterator_traitsISE_E10value_typeEPNSK_ISF_E10value_typeEPSG_NS1_7vsmem_tEENKUlT_SE_SF_SG_E_clIS8_S8_S9_S9_EESD_ST_SE_SF_SG_EUlST_E1_NS1_11comp_targetILNS1_3genE9ELNS1_11target_archE1100ELNS1_3gpuE3ELNS1_3repE0EEENS1_36merge_oddeven_config_static_selectorELNS0_4arch9wavefront6targetE0EEEvSF_.numbered_sgpr, 0
	.set _ZN7rocprim17ROCPRIM_400000_NS6detail17trampoline_kernelINS0_14default_configENS1_38merge_sort_block_merge_config_selectorIsNS0_10empty_typeEEEZZNS1_27merge_sort_block_merge_implIS3_PsPS5_jNS1_19radix_merge_compareILb0ELb0EsNS0_19identity_decomposerEEEEE10hipError_tT0_T1_T2_jT3_P12ihipStream_tbPNSt15iterator_traitsISE_E10value_typeEPNSK_ISF_E10value_typeEPSG_NS1_7vsmem_tEENKUlT_SE_SF_SG_E_clIS8_S8_S9_S9_EESD_ST_SE_SF_SG_EUlST_E1_NS1_11comp_targetILNS1_3genE9ELNS1_11target_archE1100ELNS1_3gpuE3ELNS1_3repE0EEENS1_36merge_oddeven_config_static_selectorELNS0_4arch9wavefront6targetE0EEEvSF_.num_named_barrier, 0
	.set _ZN7rocprim17ROCPRIM_400000_NS6detail17trampoline_kernelINS0_14default_configENS1_38merge_sort_block_merge_config_selectorIsNS0_10empty_typeEEEZZNS1_27merge_sort_block_merge_implIS3_PsPS5_jNS1_19radix_merge_compareILb0ELb0EsNS0_19identity_decomposerEEEEE10hipError_tT0_T1_T2_jT3_P12ihipStream_tbPNSt15iterator_traitsISE_E10value_typeEPNSK_ISF_E10value_typeEPSG_NS1_7vsmem_tEENKUlT_SE_SF_SG_E_clIS8_S8_S9_S9_EESD_ST_SE_SF_SG_EUlST_E1_NS1_11comp_targetILNS1_3genE9ELNS1_11target_archE1100ELNS1_3gpuE3ELNS1_3repE0EEENS1_36merge_oddeven_config_static_selectorELNS0_4arch9wavefront6targetE0EEEvSF_.private_seg_size, 0
	.set _ZN7rocprim17ROCPRIM_400000_NS6detail17trampoline_kernelINS0_14default_configENS1_38merge_sort_block_merge_config_selectorIsNS0_10empty_typeEEEZZNS1_27merge_sort_block_merge_implIS3_PsPS5_jNS1_19radix_merge_compareILb0ELb0EsNS0_19identity_decomposerEEEEE10hipError_tT0_T1_T2_jT3_P12ihipStream_tbPNSt15iterator_traitsISE_E10value_typeEPNSK_ISF_E10value_typeEPSG_NS1_7vsmem_tEENKUlT_SE_SF_SG_E_clIS8_S8_S9_S9_EESD_ST_SE_SF_SG_EUlST_E1_NS1_11comp_targetILNS1_3genE9ELNS1_11target_archE1100ELNS1_3gpuE3ELNS1_3repE0EEENS1_36merge_oddeven_config_static_selectorELNS0_4arch9wavefront6targetE0EEEvSF_.uses_vcc, 0
	.set _ZN7rocprim17ROCPRIM_400000_NS6detail17trampoline_kernelINS0_14default_configENS1_38merge_sort_block_merge_config_selectorIsNS0_10empty_typeEEEZZNS1_27merge_sort_block_merge_implIS3_PsPS5_jNS1_19radix_merge_compareILb0ELb0EsNS0_19identity_decomposerEEEEE10hipError_tT0_T1_T2_jT3_P12ihipStream_tbPNSt15iterator_traitsISE_E10value_typeEPNSK_ISF_E10value_typeEPSG_NS1_7vsmem_tEENKUlT_SE_SF_SG_E_clIS8_S8_S9_S9_EESD_ST_SE_SF_SG_EUlST_E1_NS1_11comp_targetILNS1_3genE9ELNS1_11target_archE1100ELNS1_3gpuE3ELNS1_3repE0EEENS1_36merge_oddeven_config_static_selectorELNS0_4arch9wavefront6targetE0EEEvSF_.uses_flat_scratch, 0
	.set _ZN7rocprim17ROCPRIM_400000_NS6detail17trampoline_kernelINS0_14default_configENS1_38merge_sort_block_merge_config_selectorIsNS0_10empty_typeEEEZZNS1_27merge_sort_block_merge_implIS3_PsPS5_jNS1_19radix_merge_compareILb0ELb0EsNS0_19identity_decomposerEEEEE10hipError_tT0_T1_T2_jT3_P12ihipStream_tbPNSt15iterator_traitsISE_E10value_typeEPNSK_ISF_E10value_typeEPSG_NS1_7vsmem_tEENKUlT_SE_SF_SG_E_clIS8_S8_S9_S9_EESD_ST_SE_SF_SG_EUlST_E1_NS1_11comp_targetILNS1_3genE9ELNS1_11target_archE1100ELNS1_3gpuE3ELNS1_3repE0EEENS1_36merge_oddeven_config_static_selectorELNS0_4arch9wavefront6targetE0EEEvSF_.has_dyn_sized_stack, 0
	.set _ZN7rocprim17ROCPRIM_400000_NS6detail17trampoline_kernelINS0_14default_configENS1_38merge_sort_block_merge_config_selectorIsNS0_10empty_typeEEEZZNS1_27merge_sort_block_merge_implIS3_PsPS5_jNS1_19radix_merge_compareILb0ELb0EsNS0_19identity_decomposerEEEEE10hipError_tT0_T1_T2_jT3_P12ihipStream_tbPNSt15iterator_traitsISE_E10value_typeEPNSK_ISF_E10value_typeEPSG_NS1_7vsmem_tEENKUlT_SE_SF_SG_E_clIS8_S8_S9_S9_EESD_ST_SE_SF_SG_EUlST_E1_NS1_11comp_targetILNS1_3genE9ELNS1_11target_archE1100ELNS1_3gpuE3ELNS1_3repE0EEENS1_36merge_oddeven_config_static_selectorELNS0_4arch9wavefront6targetE0EEEvSF_.has_recursion, 0
	.set _ZN7rocprim17ROCPRIM_400000_NS6detail17trampoline_kernelINS0_14default_configENS1_38merge_sort_block_merge_config_selectorIsNS0_10empty_typeEEEZZNS1_27merge_sort_block_merge_implIS3_PsPS5_jNS1_19radix_merge_compareILb0ELb0EsNS0_19identity_decomposerEEEEE10hipError_tT0_T1_T2_jT3_P12ihipStream_tbPNSt15iterator_traitsISE_E10value_typeEPNSK_ISF_E10value_typeEPSG_NS1_7vsmem_tEENKUlT_SE_SF_SG_E_clIS8_S8_S9_S9_EESD_ST_SE_SF_SG_EUlST_E1_NS1_11comp_targetILNS1_3genE9ELNS1_11target_archE1100ELNS1_3gpuE3ELNS1_3repE0EEENS1_36merge_oddeven_config_static_selectorELNS0_4arch9wavefront6targetE0EEEvSF_.has_indirect_call, 0
	.section	.AMDGPU.csdata,"",@progbits
; Kernel info:
; codeLenInByte = 0
; TotalNumSgprs: 0
; NumVgprs: 0
; ScratchSize: 0
; MemoryBound: 0
; FloatMode: 240
; IeeeMode: 1
; LDSByteSize: 0 bytes/workgroup (compile time only)
; SGPRBlocks: 0
; VGPRBlocks: 0
; NumSGPRsForWavesPerEU: 1
; NumVGPRsForWavesPerEU: 1
; NamedBarCnt: 0
; Occupancy: 16
; WaveLimiterHint : 0
; COMPUTE_PGM_RSRC2:SCRATCH_EN: 0
; COMPUTE_PGM_RSRC2:USER_SGPR: 2
; COMPUTE_PGM_RSRC2:TRAP_HANDLER: 0
; COMPUTE_PGM_RSRC2:TGID_X_EN: 1
; COMPUTE_PGM_RSRC2:TGID_Y_EN: 0
; COMPUTE_PGM_RSRC2:TGID_Z_EN: 0
; COMPUTE_PGM_RSRC2:TIDIG_COMP_CNT: 0
	.section	.text._ZN7rocprim17ROCPRIM_400000_NS6detail17trampoline_kernelINS0_14default_configENS1_38merge_sort_block_merge_config_selectorIsNS0_10empty_typeEEEZZNS1_27merge_sort_block_merge_implIS3_PsPS5_jNS1_19radix_merge_compareILb0ELb0EsNS0_19identity_decomposerEEEEE10hipError_tT0_T1_T2_jT3_P12ihipStream_tbPNSt15iterator_traitsISE_E10value_typeEPNSK_ISF_E10value_typeEPSG_NS1_7vsmem_tEENKUlT_SE_SF_SG_E_clIS8_S8_S9_S9_EESD_ST_SE_SF_SG_EUlST_E1_NS1_11comp_targetILNS1_3genE8ELNS1_11target_archE1030ELNS1_3gpuE2ELNS1_3repE0EEENS1_36merge_oddeven_config_static_selectorELNS0_4arch9wavefront6targetE0EEEvSF_,"axG",@progbits,_ZN7rocprim17ROCPRIM_400000_NS6detail17trampoline_kernelINS0_14default_configENS1_38merge_sort_block_merge_config_selectorIsNS0_10empty_typeEEEZZNS1_27merge_sort_block_merge_implIS3_PsPS5_jNS1_19radix_merge_compareILb0ELb0EsNS0_19identity_decomposerEEEEE10hipError_tT0_T1_T2_jT3_P12ihipStream_tbPNSt15iterator_traitsISE_E10value_typeEPNSK_ISF_E10value_typeEPSG_NS1_7vsmem_tEENKUlT_SE_SF_SG_E_clIS8_S8_S9_S9_EESD_ST_SE_SF_SG_EUlST_E1_NS1_11comp_targetILNS1_3genE8ELNS1_11target_archE1030ELNS1_3gpuE2ELNS1_3repE0EEENS1_36merge_oddeven_config_static_selectorELNS0_4arch9wavefront6targetE0EEEvSF_,comdat
	.protected	_ZN7rocprim17ROCPRIM_400000_NS6detail17trampoline_kernelINS0_14default_configENS1_38merge_sort_block_merge_config_selectorIsNS0_10empty_typeEEEZZNS1_27merge_sort_block_merge_implIS3_PsPS5_jNS1_19radix_merge_compareILb0ELb0EsNS0_19identity_decomposerEEEEE10hipError_tT0_T1_T2_jT3_P12ihipStream_tbPNSt15iterator_traitsISE_E10value_typeEPNSK_ISF_E10value_typeEPSG_NS1_7vsmem_tEENKUlT_SE_SF_SG_E_clIS8_S8_S9_S9_EESD_ST_SE_SF_SG_EUlST_E1_NS1_11comp_targetILNS1_3genE8ELNS1_11target_archE1030ELNS1_3gpuE2ELNS1_3repE0EEENS1_36merge_oddeven_config_static_selectorELNS0_4arch9wavefront6targetE0EEEvSF_ ; -- Begin function _ZN7rocprim17ROCPRIM_400000_NS6detail17trampoline_kernelINS0_14default_configENS1_38merge_sort_block_merge_config_selectorIsNS0_10empty_typeEEEZZNS1_27merge_sort_block_merge_implIS3_PsPS5_jNS1_19radix_merge_compareILb0ELb0EsNS0_19identity_decomposerEEEEE10hipError_tT0_T1_T2_jT3_P12ihipStream_tbPNSt15iterator_traitsISE_E10value_typeEPNSK_ISF_E10value_typeEPSG_NS1_7vsmem_tEENKUlT_SE_SF_SG_E_clIS8_S8_S9_S9_EESD_ST_SE_SF_SG_EUlST_E1_NS1_11comp_targetILNS1_3genE8ELNS1_11target_archE1030ELNS1_3gpuE2ELNS1_3repE0EEENS1_36merge_oddeven_config_static_selectorELNS0_4arch9wavefront6targetE0EEEvSF_
	.globl	_ZN7rocprim17ROCPRIM_400000_NS6detail17trampoline_kernelINS0_14default_configENS1_38merge_sort_block_merge_config_selectorIsNS0_10empty_typeEEEZZNS1_27merge_sort_block_merge_implIS3_PsPS5_jNS1_19radix_merge_compareILb0ELb0EsNS0_19identity_decomposerEEEEE10hipError_tT0_T1_T2_jT3_P12ihipStream_tbPNSt15iterator_traitsISE_E10value_typeEPNSK_ISF_E10value_typeEPSG_NS1_7vsmem_tEENKUlT_SE_SF_SG_E_clIS8_S8_S9_S9_EESD_ST_SE_SF_SG_EUlST_E1_NS1_11comp_targetILNS1_3genE8ELNS1_11target_archE1030ELNS1_3gpuE2ELNS1_3repE0EEENS1_36merge_oddeven_config_static_selectorELNS0_4arch9wavefront6targetE0EEEvSF_
	.p2align	8
	.type	_ZN7rocprim17ROCPRIM_400000_NS6detail17trampoline_kernelINS0_14default_configENS1_38merge_sort_block_merge_config_selectorIsNS0_10empty_typeEEEZZNS1_27merge_sort_block_merge_implIS3_PsPS5_jNS1_19radix_merge_compareILb0ELb0EsNS0_19identity_decomposerEEEEE10hipError_tT0_T1_T2_jT3_P12ihipStream_tbPNSt15iterator_traitsISE_E10value_typeEPNSK_ISF_E10value_typeEPSG_NS1_7vsmem_tEENKUlT_SE_SF_SG_E_clIS8_S8_S9_S9_EESD_ST_SE_SF_SG_EUlST_E1_NS1_11comp_targetILNS1_3genE8ELNS1_11target_archE1030ELNS1_3gpuE2ELNS1_3repE0EEENS1_36merge_oddeven_config_static_selectorELNS0_4arch9wavefront6targetE0EEEvSF_,@function
_ZN7rocprim17ROCPRIM_400000_NS6detail17trampoline_kernelINS0_14default_configENS1_38merge_sort_block_merge_config_selectorIsNS0_10empty_typeEEEZZNS1_27merge_sort_block_merge_implIS3_PsPS5_jNS1_19radix_merge_compareILb0ELb0EsNS0_19identity_decomposerEEEEE10hipError_tT0_T1_T2_jT3_P12ihipStream_tbPNSt15iterator_traitsISE_E10value_typeEPNSK_ISF_E10value_typeEPSG_NS1_7vsmem_tEENKUlT_SE_SF_SG_E_clIS8_S8_S9_S9_EESD_ST_SE_SF_SG_EUlST_E1_NS1_11comp_targetILNS1_3genE8ELNS1_11target_archE1030ELNS1_3gpuE2ELNS1_3repE0EEENS1_36merge_oddeven_config_static_selectorELNS0_4arch9wavefront6targetE0EEEvSF_: ; @_ZN7rocprim17ROCPRIM_400000_NS6detail17trampoline_kernelINS0_14default_configENS1_38merge_sort_block_merge_config_selectorIsNS0_10empty_typeEEEZZNS1_27merge_sort_block_merge_implIS3_PsPS5_jNS1_19radix_merge_compareILb0ELb0EsNS0_19identity_decomposerEEEEE10hipError_tT0_T1_T2_jT3_P12ihipStream_tbPNSt15iterator_traitsISE_E10value_typeEPNSK_ISF_E10value_typeEPSG_NS1_7vsmem_tEENKUlT_SE_SF_SG_E_clIS8_S8_S9_S9_EESD_ST_SE_SF_SG_EUlST_E1_NS1_11comp_targetILNS1_3genE8ELNS1_11target_archE1030ELNS1_3gpuE2ELNS1_3repE0EEENS1_36merge_oddeven_config_static_selectorELNS0_4arch9wavefront6targetE0EEEvSF_
; %bb.0:
	.section	.rodata,"a",@progbits
	.p2align	6, 0x0
	.amdhsa_kernel _ZN7rocprim17ROCPRIM_400000_NS6detail17trampoline_kernelINS0_14default_configENS1_38merge_sort_block_merge_config_selectorIsNS0_10empty_typeEEEZZNS1_27merge_sort_block_merge_implIS3_PsPS5_jNS1_19radix_merge_compareILb0ELb0EsNS0_19identity_decomposerEEEEE10hipError_tT0_T1_T2_jT3_P12ihipStream_tbPNSt15iterator_traitsISE_E10value_typeEPNSK_ISF_E10value_typeEPSG_NS1_7vsmem_tEENKUlT_SE_SF_SG_E_clIS8_S8_S9_S9_EESD_ST_SE_SF_SG_EUlST_E1_NS1_11comp_targetILNS1_3genE8ELNS1_11target_archE1030ELNS1_3gpuE2ELNS1_3repE0EEENS1_36merge_oddeven_config_static_selectorELNS0_4arch9wavefront6targetE0EEEvSF_
		.amdhsa_group_segment_fixed_size 0
		.amdhsa_private_segment_fixed_size 0
		.amdhsa_kernarg_size 48
		.amdhsa_user_sgpr_count 2
		.amdhsa_user_sgpr_dispatch_ptr 0
		.amdhsa_user_sgpr_queue_ptr 0
		.amdhsa_user_sgpr_kernarg_segment_ptr 1
		.amdhsa_user_sgpr_dispatch_id 0
		.amdhsa_user_sgpr_kernarg_preload_length 0
		.amdhsa_user_sgpr_kernarg_preload_offset 0
		.amdhsa_user_sgpr_private_segment_size 0
		.amdhsa_wavefront_size32 1
		.amdhsa_uses_dynamic_stack 0
		.amdhsa_enable_private_segment 0
		.amdhsa_system_sgpr_workgroup_id_x 1
		.amdhsa_system_sgpr_workgroup_id_y 0
		.amdhsa_system_sgpr_workgroup_id_z 0
		.amdhsa_system_sgpr_workgroup_info 0
		.amdhsa_system_vgpr_workitem_id 0
		.amdhsa_next_free_vgpr 1
		.amdhsa_next_free_sgpr 1
		.amdhsa_named_barrier_count 0
		.amdhsa_reserve_vcc 0
		.amdhsa_float_round_mode_32 0
		.amdhsa_float_round_mode_16_64 0
		.amdhsa_float_denorm_mode_32 3
		.amdhsa_float_denorm_mode_16_64 3
		.amdhsa_fp16_overflow 0
		.amdhsa_memory_ordered 1
		.amdhsa_forward_progress 1
		.amdhsa_inst_pref_size 0
		.amdhsa_round_robin_scheduling 0
		.amdhsa_exception_fp_ieee_invalid_op 0
		.amdhsa_exception_fp_denorm_src 0
		.amdhsa_exception_fp_ieee_div_zero 0
		.amdhsa_exception_fp_ieee_overflow 0
		.amdhsa_exception_fp_ieee_underflow 0
		.amdhsa_exception_fp_ieee_inexact 0
		.amdhsa_exception_int_div_zero 0
	.end_amdhsa_kernel
	.section	.text._ZN7rocprim17ROCPRIM_400000_NS6detail17trampoline_kernelINS0_14default_configENS1_38merge_sort_block_merge_config_selectorIsNS0_10empty_typeEEEZZNS1_27merge_sort_block_merge_implIS3_PsPS5_jNS1_19radix_merge_compareILb0ELb0EsNS0_19identity_decomposerEEEEE10hipError_tT0_T1_T2_jT3_P12ihipStream_tbPNSt15iterator_traitsISE_E10value_typeEPNSK_ISF_E10value_typeEPSG_NS1_7vsmem_tEENKUlT_SE_SF_SG_E_clIS8_S8_S9_S9_EESD_ST_SE_SF_SG_EUlST_E1_NS1_11comp_targetILNS1_3genE8ELNS1_11target_archE1030ELNS1_3gpuE2ELNS1_3repE0EEENS1_36merge_oddeven_config_static_selectorELNS0_4arch9wavefront6targetE0EEEvSF_,"axG",@progbits,_ZN7rocprim17ROCPRIM_400000_NS6detail17trampoline_kernelINS0_14default_configENS1_38merge_sort_block_merge_config_selectorIsNS0_10empty_typeEEEZZNS1_27merge_sort_block_merge_implIS3_PsPS5_jNS1_19radix_merge_compareILb0ELb0EsNS0_19identity_decomposerEEEEE10hipError_tT0_T1_T2_jT3_P12ihipStream_tbPNSt15iterator_traitsISE_E10value_typeEPNSK_ISF_E10value_typeEPSG_NS1_7vsmem_tEENKUlT_SE_SF_SG_E_clIS8_S8_S9_S9_EESD_ST_SE_SF_SG_EUlST_E1_NS1_11comp_targetILNS1_3genE8ELNS1_11target_archE1030ELNS1_3gpuE2ELNS1_3repE0EEENS1_36merge_oddeven_config_static_selectorELNS0_4arch9wavefront6targetE0EEEvSF_,comdat
.Lfunc_end670:
	.size	_ZN7rocprim17ROCPRIM_400000_NS6detail17trampoline_kernelINS0_14default_configENS1_38merge_sort_block_merge_config_selectorIsNS0_10empty_typeEEEZZNS1_27merge_sort_block_merge_implIS3_PsPS5_jNS1_19radix_merge_compareILb0ELb0EsNS0_19identity_decomposerEEEEE10hipError_tT0_T1_T2_jT3_P12ihipStream_tbPNSt15iterator_traitsISE_E10value_typeEPNSK_ISF_E10value_typeEPSG_NS1_7vsmem_tEENKUlT_SE_SF_SG_E_clIS8_S8_S9_S9_EESD_ST_SE_SF_SG_EUlST_E1_NS1_11comp_targetILNS1_3genE8ELNS1_11target_archE1030ELNS1_3gpuE2ELNS1_3repE0EEENS1_36merge_oddeven_config_static_selectorELNS0_4arch9wavefront6targetE0EEEvSF_, .Lfunc_end670-_ZN7rocprim17ROCPRIM_400000_NS6detail17trampoline_kernelINS0_14default_configENS1_38merge_sort_block_merge_config_selectorIsNS0_10empty_typeEEEZZNS1_27merge_sort_block_merge_implIS3_PsPS5_jNS1_19radix_merge_compareILb0ELb0EsNS0_19identity_decomposerEEEEE10hipError_tT0_T1_T2_jT3_P12ihipStream_tbPNSt15iterator_traitsISE_E10value_typeEPNSK_ISF_E10value_typeEPSG_NS1_7vsmem_tEENKUlT_SE_SF_SG_E_clIS8_S8_S9_S9_EESD_ST_SE_SF_SG_EUlST_E1_NS1_11comp_targetILNS1_3genE8ELNS1_11target_archE1030ELNS1_3gpuE2ELNS1_3repE0EEENS1_36merge_oddeven_config_static_selectorELNS0_4arch9wavefront6targetE0EEEvSF_
                                        ; -- End function
	.set _ZN7rocprim17ROCPRIM_400000_NS6detail17trampoline_kernelINS0_14default_configENS1_38merge_sort_block_merge_config_selectorIsNS0_10empty_typeEEEZZNS1_27merge_sort_block_merge_implIS3_PsPS5_jNS1_19radix_merge_compareILb0ELb0EsNS0_19identity_decomposerEEEEE10hipError_tT0_T1_T2_jT3_P12ihipStream_tbPNSt15iterator_traitsISE_E10value_typeEPNSK_ISF_E10value_typeEPSG_NS1_7vsmem_tEENKUlT_SE_SF_SG_E_clIS8_S8_S9_S9_EESD_ST_SE_SF_SG_EUlST_E1_NS1_11comp_targetILNS1_3genE8ELNS1_11target_archE1030ELNS1_3gpuE2ELNS1_3repE0EEENS1_36merge_oddeven_config_static_selectorELNS0_4arch9wavefront6targetE0EEEvSF_.num_vgpr, 0
	.set _ZN7rocprim17ROCPRIM_400000_NS6detail17trampoline_kernelINS0_14default_configENS1_38merge_sort_block_merge_config_selectorIsNS0_10empty_typeEEEZZNS1_27merge_sort_block_merge_implIS3_PsPS5_jNS1_19radix_merge_compareILb0ELb0EsNS0_19identity_decomposerEEEEE10hipError_tT0_T1_T2_jT3_P12ihipStream_tbPNSt15iterator_traitsISE_E10value_typeEPNSK_ISF_E10value_typeEPSG_NS1_7vsmem_tEENKUlT_SE_SF_SG_E_clIS8_S8_S9_S9_EESD_ST_SE_SF_SG_EUlST_E1_NS1_11comp_targetILNS1_3genE8ELNS1_11target_archE1030ELNS1_3gpuE2ELNS1_3repE0EEENS1_36merge_oddeven_config_static_selectorELNS0_4arch9wavefront6targetE0EEEvSF_.num_agpr, 0
	.set _ZN7rocprim17ROCPRIM_400000_NS6detail17trampoline_kernelINS0_14default_configENS1_38merge_sort_block_merge_config_selectorIsNS0_10empty_typeEEEZZNS1_27merge_sort_block_merge_implIS3_PsPS5_jNS1_19radix_merge_compareILb0ELb0EsNS0_19identity_decomposerEEEEE10hipError_tT0_T1_T2_jT3_P12ihipStream_tbPNSt15iterator_traitsISE_E10value_typeEPNSK_ISF_E10value_typeEPSG_NS1_7vsmem_tEENKUlT_SE_SF_SG_E_clIS8_S8_S9_S9_EESD_ST_SE_SF_SG_EUlST_E1_NS1_11comp_targetILNS1_3genE8ELNS1_11target_archE1030ELNS1_3gpuE2ELNS1_3repE0EEENS1_36merge_oddeven_config_static_selectorELNS0_4arch9wavefront6targetE0EEEvSF_.numbered_sgpr, 0
	.set _ZN7rocprim17ROCPRIM_400000_NS6detail17trampoline_kernelINS0_14default_configENS1_38merge_sort_block_merge_config_selectorIsNS0_10empty_typeEEEZZNS1_27merge_sort_block_merge_implIS3_PsPS5_jNS1_19radix_merge_compareILb0ELb0EsNS0_19identity_decomposerEEEEE10hipError_tT0_T1_T2_jT3_P12ihipStream_tbPNSt15iterator_traitsISE_E10value_typeEPNSK_ISF_E10value_typeEPSG_NS1_7vsmem_tEENKUlT_SE_SF_SG_E_clIS8_S8_S9_S9_EESD_ST_SE_SF_SG_EUlST_E1_NS1_11comp_targetILNS1_3genE8ELNS1_11target_archE1030ELNS1_3gpuE2ELNS1_3repE0EEENS1_36merge_oddeven_config_static_selectorELNS0_4arch9wavefront6targetE0EEEvSF_.num_named_barrier, 0
	.set _ZN7rocprim17ROCPRIM_400000_NS6detail17trampoline_kernelINS0_14default_configENS1_38merge_sort_block_merge_config_selectorIsNS0_10empty_typeEEEZZNS1_27merge_sort_block_merge_implIS3_PsPS5_jNS1_19radix_merge_compareILb0ELb0EsNS0_19identity_decomposerEEEEE10hipError_tT0_T1_T2_jT3_P12ihipStream_tbPNSt15iterator_traitsISE_E10value_typeEPNSK_ISF_E10value_typeEPSG_NS1_7vsmem_tEENKUlT_SE_SF_SG_E_clIS8_S8_S9_S9_EESD_ST_SE_SF_SG_EUlST_E1_NS1_11comp_targetILNS1_3genE8ELNS1_11target_archE1030ELNS1_3gpuE2ELNS1_3repE0EEENS1_36merge_oddeven_config_static_selectorELNS0_4arch9wavefront6targetE0EEEvSF_.private_seg_size, 0
	.set _ZN7rocprim17ROCPRIM_400000_NS6detail17trampoline_kernelINS0_14default_configENS1_38merge_sort_block_merge_config_selectorIsNS0_10empty_typeEEEZZNS1_27merge_sort_block_merge_implIS3_PsPS5_jNS1_19radix_merge_compareILb0ELb0EsNS0_19identity_decomposerEEEEE10hipError_tT0_T1_T2_jT3_P12ihipStream_tbPNSt15iterator_traitsISE_E10value_typeEPNSK_ISF_E10value_typeEPSG_NS1_7vsmem_tEENKUlT_SE_SF_SG_E_clIS8_S8_S9_S9_EESD_ST_SE_SF_SG_EUlST_E1_NS1_11comp_targetILNS1_3genE8ELNS1_11target_archE1030ELNS1_3gpuE2ELNS1_3repE0EEENS1_36merge_oddeven_config_static_selectorELNS0_4arch9wavefront6targetE0EEEvSF_.uses_vcc, 0
	.set _ZN7rocprim17ROCPRIM_400000_NS6detail17trampoline_kernelINS0_14default_configENS1_38merge_sort_block_merge_config_selectorIsNS0_10empty_typeEEEZZNS1_27merge_sort_block_merge_implIS3_PsPS5_jNS1_19radix_merge_compareILb0ELb0EsNS0_19identity_decomposerEEEEE10hipError_tT0_T1_T2_jT3_P12ihipStream_tbPNSt15iterator_traitsISE_E10value_typeEPNSK_ISF_E10value_typeEPSG_NS1_7vsmem_tEENKUlT_SE_SF_SG_E_clIS8_S8_S9_S9_EESD_ST_SE_SF_SG_EUlST_E1_NS1_11comp_targetILNS1_3genE8ELNS1_11target_archE1030ELNS1_3gpuE2ELNS1_3repE0EEENS1_36merge_oddeven_config_static_selectorELNS0_4arch9wavefront6targetE0EEEvSF_.uses_flat_scratch, 0
	.set _ZN7rocprim17ROCPRIM_400000_NS6detail17trampoline_kernelINS0_14default_configENS1_38merge_sort_block_merge_config_selectorIsNS0_10empty_typeEEEZZNS1_27merge_sort_block_merge_implIS3_PsPS5_jNS1_19radix_merge_compareILb0ELb0EsNS0_19identity_decomposerEEEEE10hipError_tT0_T1_T2_jT3_P12ihipStream_tbPNSt15iterator_traitsISE_E10value_typeEPNSK_ISF_E10value_typeEPSG_NS1_7vsmem_tEENKUlT_SE_SF_SG_E_clIS8_S8_S9_S9_EESD_ST_SE_SF_SG_EUlST_E1_NS1_11comp_targetILNS1_3genE8ELNS1_11target_archE1030ELNS1_3gpuE2ELNS1_3repE0EEENS1_36merge_oddeven_config_static_selectorELNS0_4arch9wavefront6targetE0EEEvSF_.has_dyn_sized_stack, 0
	.set _ZN7rocprim17ROCPRIM_400000_NS6detail17trampoline_kernelINS0_14default_configENS1_38merge_sort_block_merge_config_selectorIsNS0_10empty_typeEEEZZNS1_27merge_sort_block_merge_implIS3_PsPS5_jNS1_19radix_merge_compareILb0ELb0EsNS0_19identity_decomposerEEEEE10hipError_tT0_T1_T2_jT3_P12ihipStream_tbPNSt15iterator_traitsISE_E10value_typeEPNSK_ISF_E10value_typeEPSG_NS1_7vsmem_tEENKUlT_SE_SF_SG_E_clIS8_S8_S9_S9_EESD_ST_SE_SF_SG_EUlST_E1_NS1_11comp_targetILNS1_3genE8ELNS1_11target_archE1030ELNS1_3gpuE2ELNS1_3repE0EEENS1_36merge_oddeven_config_static_selectorELNS0_4arch9wavefront6targetE0EEEvSF_.has_recursion, 0
	.set _ZN7rocprim17ROCPRIM_400000_NS6detail17trampoline_kernelINS0_14default_configENS1_38merge_sort_block_merge_config_selectorIsNS0_10empty_typeEEEZZNS1_27merge_sort_block_merge_implIS3_PsPS5_jNS1_19radix_merge_compareILb0ELb0EsNS0_19identity_decomposerEEEEE10hipError_tT0_T1_T2_jT3_P12ihipStream_tbPNSt15iterator_traitsISE_E10value_typeEPNSK_ISF_E10value_typeEPSG_NS1_7vsmem_tEENKUlT_SE_SF_SG_E_clIS8_S8_S9_S9_EESD_ST_SE_SF_SG_EUlST_E1_NS1_11comp_targetILNS1_3genE8ELNS1_11target_archE1030ELNS1_3gpuE2ELNS1_3repE0EEENS1_36merge_oddeven_config_static_selectorELNS0_4arch9wavefront6targetE0EEEvSF_.has_indirect_call, 0
	.section	.AMDGPU.csdata,"",@progbits
; Kernel info:
; codeLenInByte = 0
; TotalNumSgprs: 0
; NumVgprs: 0
; ScratchSize: 0
; MemoryBound: 0
; FloatMode: 240
; IeeeMode: 1
; LDSByteSize: 0 bytes/workgroup (compile time only)
; SGPRBlocks: 0
; VGPRBlocks: 0
; NumSGPRsForWavesPerEU: 1
; NumVGPRsForWavesPerEU: 1
; NamedBarCnt: 0
; Occupancy: 16
; WaveLimiterHint : 0
; COMPUTE_PGM_RSRC2:SCRATCH_EN: 0
; COMPUTE_PGM_RSRC2:USER_SGPR: 2
; COMPUTE_PGM_RSRC2:TRAP_HANDLER: 0
; COMPUTE_PGM_RSRC2:TGID_X_EN: 1
; COMPUTE_PGM_RSRC2:TGID_Y_EN: 0
; COMPUTE_PGM_RSRC2:TGID_Z_EN: 0
; COMPUTE_PGM_RSRC2:TIDIG_COMP_CNT: 0
	.section	.text._ZN7rocprim17ROCPRIM_400000_NS6detail17trampoline_kernelINS0_14default_configENS1_38merge_sort_block_merge_config_selectorIsNS0_10empty_typeEEEZZNS1_27merge_sort_block_merge_implIS3_PsPS5_jNS1_19radix_merge_compareILb0ELb1EsNS0_19identity_decomposerEEEEE10hipError_tT0_T1_T2_jT3_P12ihipStream_tbPNSt15iterator_traitsISE_E10value_typeEPNSK_ISF_E10value_typeEPSG_NS1_7vsmem_tEENKUlT_SE_SF_SG_E_clIS8_S8_S9_S9_EESD_ST_SE_SF_SG_EUlST_E_NS1_11comp_targetILNS1_3genE0ELNS1_11target_archE4294967295ELNS1_3gpuE0ELNS1_3repE0EEENS1_48merge_mergepath_partition_config_static_selectorELNS0_4arch9wavefront6targetE0EEEvSF_,"axG",@progbits,_ZN7rocprim17ROCPRIM_400000_NS6detail17trampoline_kernelINS0_14default_configENS1_38merge_sort_block_merge_config_selectorIsNS0_10empty_typeEEEZZNS1_27merge_sort_block_merge_implIS3_PsPS5_jNS1_19radix_merge_compareILb0ELb1EsNS0_19identity_decomposerEEEEE10hipError_tT0_T1_T2_jT3_P12ihipStream_tbPNSt15iterator_traitsISE_E10value_typeEPNSK_ISF_E10value_typeEPSG_NS1_7vsmem_tEENKUlT_SE_SF_SG_E_clIS8_S8_S9_S9_EESD_ST_SE_SF_SG_EUlST_E_NS1_11comp_targetILNS1_3genE0ELNS1_11target_archE4294967295ELNS1_3gpuE0ELNS1_3repE0EEENS1_48merge_mergepath_partition_config_static_selectorELNS0_4arch9wavefront6targetE0EEEvSF_,comdat
	.protected	_ZN7rocprim17ROCPRIM_400000_NS6detail17trampoline_kernelINS0_14default_configENS1_38merge_sort_block_merge_config_selectorIsNS0_10empty_typeEEEZZNS1_27merge_sort_block_merge_implIS3_PsPS5_jNS1_19radix_merge_compareILb0ELb1EsNS0_19identity_decomposerEEEEE10hipError_tT0_T1_T2_jT3_P12ihipStream_tbPNSt15iterator_traitsISE_E10value_typeEPNSK_ISF_E10value_typeEPSG_NS1_7vsmem_tEENKUlT_SE_SF_SG_E_clIS8_S8_S9_S9_EESD_ST_SE_SF_SG_EUlST_E_NS1_11comp_targetILNS1_3genE0ELNS1_11target_archE4294967295ELNS1_3gpuE0ELNS1_3repE0EEENS1_48merge_mergepath_partition_config_static_selectorELNS0_4arch9wavefront6targetE0EEEvSF_ ; -- Begin function _ZN7rocprim17ROCPRIM_400000_NS6detail17trampoline_kernelINS0_14default_configENS1_38merge_sort_block_merge_config_selectorIsNS0_10empty_typeEEEZZNS1_27merge_sort_block_merge_implIS3_PsPS5_jNS1_19radix_merge_compareILb0ELb1EsNS0_19identity_decomposerEEEEE10hipError_tT0_T1_T2_jT3_P12ihipStream_tbPNSt15iterator_traitsISE_E10value_typeEPNSK_ISF_E10value_typeEPSG_NS1_7vsmem_tEENKUlT_SE_SF_SG_E_clIS8_S8_S9_S9_EESD_ST_SE_SF_SG_EUlST_E_NS1_11comp_targetILNS1_3genE0ELNS1_11target_archE4294967295ELNS1_3gpuE0ELNS1_3repE0EEENS1_48merge_mergepath_partition_config_static_selectorELNS0_4arch9wavefront6targetE0EEEvSF_
	.globl	_ZN7rocprim17ROCPRIM_400000_NS6detail17trampoline_kernelINS0_14default_configENS1_38merge_sort_block_merge_config_selectorIsNS0_10empty_typeEEEZZNS1_27merge_sort_block_merge_implIS3_PsPS5_jNS1_19radix_merge_compareILb0ELb1EsNS0_19identity_decomposerEEEEE10hipError_tT0_T1_T2_jT3_P12ihipStream_tbPNSt15iterator_traitsISE_E10value_typeEPNSK_ISF_E10value_typeEPSG_NS1_7vsmem_tEENKUlT_SE_SF_SG_E_clIS8_S8_S9_S9_EESD_ST_SE_SF_SG_EUlST_E_NS1_11comp_targetILNS1_3genE0ELNS1_11target_archE4294967295ELNS1_3gpuE0ELNS1_3repE0EEENS1_48merge_mergepath_partition_config_static_selectorELNS0_4arch9wavefront6targetE0EEEvSF_
	.p2align	8
	.type	_ZN7rocprim17ROCPRIM_400000_NS6detail17trampoline_kernelINS0_14default_configENS1_38merge_sort_block_merge_config_selectorIsNS0_10empty_typeEEEZZNS1_27merge_sort_block_merge_implIS3_PsPS5_jNS1_19radix_merge_compareILb0ELb1EsNS0_19identity_decomposerEEEEE10hipError_tT0_T1_T2_jT3_P12ihipStream_tbPNSt15iterator_traitsISE_E10value_typeEPNSK_ISF_E10value_typeEPSG_NS1_7vsmem_tEENKUlT_SE_SF_SG_E_clIS8_S8_S9_S9_EESD_ST_SE_SF_SG_EUlST_E_NS1_11comp_targetILNS1_3genE0ELNS1_11target_archE4294967295ELNS1_3gpuE0ELNS1_3repE0EEENS1_48merge_mergepath_partition_config_static_selectorELNS0_4arch9wavefront6targetE0EEEvSF_,@function
_ZN7rocprim17ROCPRIM_400000_NS6detail17trampoline_kernelINS0_14default_configENS1_38merge_sort_block_merge_config_selectorIsNS0_10empty_typeEEEZZNS1_27merge_sort_block_merge_implIS3_PsPS5_jNS1_19radix_merge_compareILb0ELb1EsNS0_19identity_decomposerEEEEE10hipError_tT0_T1_T2_jT3_P12ihipStream_tbPNSt15iterator_traitsISE_E10value_typeEPNSK_ISF_E10value_typeEPSG_NS1_7vsmem_tEENKUlT_SE_SF_SG_E_clIS8_S8_S9_S9_EESD_ST_SE_SF_SG_EUlST_E_NS1_11comp_targetILNS1_3genE0ELNS1_11target_archE4294967295ELNS1_3gpuE0ELNS1_3repE0EEENS1_48merge_mergepath_partition_config_static_selectorELNS0_4arch9wavefront6targetE0EEEvSF_: ; @_ZN7rocprim17ROCPRIM_400000_NS6detail17trampoline_kernelINS0_14default_configENS1_38merge_sort_block_merge_config_selectorIsNS0_10empty_typeEEEZZNS1_27merge_sort_block_merge_implIS3_PsPS5_jNS1_19radix_merge_compareILb0ELb1EsNS0_19identity_decomposerEEEEE10hipError_tT0_T1_T2_jT3_P12ihipStream_tbPNSt15iterator_traitsISE_E10value_typeEPNSK_ISF_E10value_typeEPSG_NS1_7vsmem_tEENKUlT_SE_SF_SG_E_clIS8_S8_S9_S9_EESD_ST_SE_SF_SG_EUlST_E_NS1_11comp_targetILNS1_3genE0ELNS1_11target_archE4294967295ELNS1_3gpuE0ELNS1_3repE0EEENS1_48merge_mergepath_partition_config_static_selectorELNS0_4arch9wavefront6targetE0EEEvSF_
; %bb.0:
	s_load_b32 s2, s[0:1], 0x0
	s_bfe_u32 s3, ttmp6, 0x4000c
	s_and_b32 s4, ttmp6, 15
	s_add_co_i32 s3, s3, 1
	s_getreg_b32 s5, hwreg(HW_REG_IB_STS2, 6, 4)
	s_mul_i32 s3, ttmp9, s3
	s_delay_alu instid0(SALU_CYCLE_1) | instskip(SKIP_2) | instid1(SALU_CYCLE_1)
	s_add_co_i32 s4, s4, s3
	s_cmp_eq_u32 s5, 0
	s_cselect_b32 s3, ttmp9, s4
	v_lshl_or_b32 v8, s3, 7, v0
	s_wait_kmcnt 0x0
	s_delay_alu instid0(VALU_DEP_1)
	v_cmp_gt_u32_e32 vcc_lo, s2, v8
	s_and_saveexec_b32 s2, vcc_lo
	s_cbranch_execz .LBB671_6
; %bb.1:
	s_load_b64 s[2:3], s[0:1], 0x4
	s_mov_b32 s7, exec_lo
	s_wait_kmcnt 0x0
	s_lshr_b32 s4, s2, 9
	s_delay_alu instid0(SALU_CYCLE_1) | instskip(NEXT) | instid1(SALU_CYCLE_1)
	s_and_b32 s4, s4, 0x7ffffe
	s_sub_co_i32 s5, 0, s4
	s_add_co_i32 s4, s4, -1
	s_delay_alu instid0(SALU_CYCLE_1) | instskip(NEXT) | instid1(VALU_DEP_1)
	v_and_b32_e32 v1, s4, v8
	v_dual_lshlrev_b32 v1, 10, v1 :: v_dual_bitop2_b32 v0, s5, v8 bitop3:0x40
	s_delay_alu instid0(VALU_DEP_1) | instskip(NEXT) | instid1(VALU_DEP_1)
	v_lshlrev_b32_e32 v0, 10, v0
	v_add_min_u32_e64 v2, v0, s2, s3
	v_min_u32_e32 v0, s3, v0
	s_delay_alu instid0(VALU_DEP_2) | instskip(SKIP_1) | instid1(VALU_DEP_1)
	v_add_min_u32_e64 v3, v2, s2, s3
	s_load_b64 s[2:3], s[0:1], 0x20
	v_dual_sub_nc_u32 v4, v3, v0 :: v_dual_sub_nc_u32 v3, v3, v2
	s_delay_alu instid0(VALU_DEP_1) | instskip(SKIP_1) | instid1(VALU_DEP_2)
	v_min_u32_e32 v10, v4, v1
	v_sub_nc_u32_e32 v1, v2, v0
	v_sub_nc_u32_e64 v9, v10, v3 clamp
	s_delay_alu instid0(VALU_DEP_2) | instskip(NEXT) | instid1(VALU_DEP_1)
	v_min_u32_e32 v11, v10, v1
	v_cmpx_lt_u32_e64 v9, v11
	s_cbranch_execz .LBB671_5
; %bb.2:
	s_load_b96 s[4:6], s[0:1], 0x10
	v_mov_b32_e32 v3, 0
	s_wait_xcnt 0x0
	s_mov_b32 s0, 0
	s_delay_alu instid0(VALU_DEP_1) | instskip(SKIP_1) | instid1(VALU_DEP_1)
	v_mov_b32_e32 v1, v3
	s_wait_kmcnt 0x0
	v_lshl_add_u64 v[4:5], v[0:1], 1, s[4:5]
	v_lshl_add_u64 v[6:7], v[2:3], 1, s[4:5]
.LBB671_3:                              ; =>This Inner Loop Header: Depth=1
	v_add_nc_u32_e32 v1, v11, v9
	s_delay_alu instid0(VALU_DEP_1) | instskip(SKIP_1) | instid1(VALU_DEP_2)
	v_dual_mov_b32 v13, v3 :: v_dual_lshrrev_b32 v16, 1, v1
	v_and_b32_e32 v2, -2, v1
	v_xad_u32 v12, v16, -1, v10
	s_delay_alu instid0(VALU_DEP_2) | instskip(NEXT) | instid1(VALU_DEP_2)
	v_add_nc_u64_e32 v[14:15], v[4:5], v[2:3]
	v_lshl_add_u64 v[12:13], v[12:13], 1, v[6:7]
	s_clause 0x1
	global_load_u16 v1, v[14:15], off
	global_load_u16 v2, v[12:13], off
	s_wait_loadcnt 0x1
	v_and_b32_e32 v1, s6, v1
	s_wait_loadcnt 0x0
	v_and_b32_e32 v2, s6, v2
	s_delay_alu instid0(VALU_DEP_1) | instskip(SKIP_1) | instid1(VALU_DEP_1)
	v_cmp_gt_i16_e32 vcc_lo, v1, v2
	v_dual_cndmask_b32 v11, v11, v16 :: v_dual_add_nc_u32 v12, 1, v16
	v_cndmask_b32_e32 v9, v12, v9, vcc_lo
	s_delay_alu instid0(VALU_DEP_1) | instskip(SKIP_1) | instid1(SALU_CYCLE_1)
	v_cmp_ge_u32_e32 vcc_lo, v9, v11
	s_or_b32 s0, vcc_lo, s0
	s_and_not1_b32 exec_lo, exec_lo, s0
	s_cbranch_execnz .LBB671_3
; %bb.4:
	s_or_b32 exec_lo, exec_lo, s0
.LBB671_5:
	s_delay_alu instid0(SALU_CYCLE_1)
	s_or_b32 exec_lo, exec_lo, s7
	v_add_nc_u32_e32 v0, v9, v0
	s_wait_kmcnt 0x0
	global_store_b32 v8, v0, s[2:3] scale_offset
.LBB671_6:
	s_endpgm
	.section	.rodata,"a",@progbits
	.p2align	6, 0x0
	.amdhsa_kernel _ZN7rocprim17ROCPRIM_400000_NS6detail17trampoline_kernelINS0_14default_configENS1_38merge_sort_block_merge_config_selectorIsNS0_10empty_typeEEEZZNS1_27merge_sort_block_merge_implIS3_PsPS5_jNS1_19radix_merge_compareILb0ELb1EsNS0_19identity_decomposerEEEEE10hipError_tT0_T1_T2_jT3_P12ihipStream_tbPNSt15iterator_traitsISE_E10value_typeEPNSK_ISF_E10value_typeEPSG_NS1_7vsmem_tEENKUlT_SE_SF_SG_E_clIS8_S8_S9_S9_EESD_ST_SE_SF_SG_EUlST_E_NS1_11comp_targetILNS1_3genE0ELNS1_11target_archE4294967295ELNS1_3gpuE0ELNS1_3repE0EEENS1_48merge_mergepath_partition_config_static_selectorELNS0_4arch9wavefront6targetE0EEEvSF_
		.amdhsa_group_segment_fixed_size 0
		.amdhsa_private_segment_fixed_size 0
		.amdhsa_kernarg_size 40
		.amdhsa_user_sgpr_count 2
		.amdhsa_user_sgpr_dispatch_ptr 0
		.amdhsa_user_sgpr_queue_ptr 0
		.amdhsa_user_sgpr_kernarg_segment_ptr 1
		.amdhsa_user_sgpr_dispatch_id 0
		.amdhsa_user_sgpr_kernarg_preload_length 0
		.amdhsa_user_sgpr_kernarg_preload_offset 0
		.amdhsa_user_sgpr_private_segment_size 0
		.amdhsa_wavefront_size32 1
		.amdhsa_uses_dynamic_stack 0
		.amdhsa_enable_private_segment 0
		.amdhsa_system_sgpr_workgroup_id_x 1
		.amdhsa_system_sgpr_workgroup_id_y 0
		.amdhsa_system_sgpr_workgroup_id_z 0
		.amdhsa_system_sgpr_workgroup_info 0
		.amdhsa_system_vgpr_workitem_id 0
		.amdhsa_next_free_vgpr 17
		.amdhsa_next_free_sgpr 8
		.amdhsa_named_barrier_count 0
		.amdhsa_reserve_vcc 1
		.amdhsa_float_round_mode_32 0
		.amdhsa_float_round_mode_16_64 0
		.amdhsa_float_denorm_mode_32 3
		.amdhsa_float_denorm_mode_16_64 3
		.amdhsa_fp16_overflow 0
		.amdhsa_memory_ordered 1
		.amdhsa_forward_progress 1
		.amdhsa_inst_pref_size 4
		.amdhsa_round_robin_scheduling 0
		.amdhsa_exception_fp_ieee_invalid_op 0
		.amdhsa_exception_fp_denorm_src 0
		.amdhsa_exception_fp_ieee_div_zero 0
		.amdhsa_exception_fp_ieee_overflow 0
		.amdhsa_exception_fp_ieee_underflow 0
		.amdhsa_exception_fp_ieee_inexact 0
		.amdhsa_exception_int_div_zero 0
	.end_amdhsa_kernel
	.section	.text._ZN7rocprim17ROCPRIM_400000_NS6detail17trampoline_kernelINS0_14default_configENS1_38merge_sort_block_merge_config_selectorIsNS0_10empty_typeEEEZZNS1_27merge_sort_block_merge_implIS3_PsPS5_jNS1_19radix_merge_compareILb0ELb1EsNS0_19identity_decomposerEEEEE10hipError_tT0_T1_T2_jT3_P12ihipStream_tbPNSt15iterator_traitsISE_E10value_typeEPNSK_ISF_E10value_typeEPSG_NS1_7vsmem_tEENKUlT_SE_SF_SG_E_clIS8_S8_S9_S9_EESD_ST_SE_SF_SG_EUlST_E_NS1_11comp_targetILNS1_3genE0ELNS1_11target_archE4294967295ELNS1_3gpuE0ELNS1_3repE0EEENS1_48merge_mergepath_partition_config_static_selectorELNS0_4arch9wavefront6targetE0EEEvSF_,"axG",@progbits,_ZN7rocprim17ROCPRIM_400000_NS6detail17trampoline_kernelINS0_14default_configENS1_38merge_sort_block_merge_config_selectorIsNS0_10empty_typeEEEZZNS1_27merge_sort_block_merge_implIS3_PsPS5_jNS1_19radix_merge_compareILb0ELb1EsNS0_19identity_decomposerEEEEE10hipError_tT0_T1_T2_jT3_P12ihipStream_tbPNSt15iterator_traitsISE_E10value_typeEPNSK_ISF_E10value_typeEPSG_NS1_7vsmem_tEENKUlT_SE_SF_SG_E_clIS8_S8_S9_S9_EESD_ST_SE_SF_SG_EUlST_E_NS1_11comp_targetILNS1_3genE0ELNS1_11target_archE4294967295ELNS1_3gpuE0ELNS1_3repE0EEENS1_48merge_mergepath_partition_config_static_selectorELNS0_4arch9wavefront6targetE0EEEvSF_,comdat
.Lfunc_end671:
	.size	_ZN7rocprim17ROCPRIM_400000_NS6detail17trampoline_kernelINS0_14default_configENS1_38merge_sort_block_merge_config_selectorIsNS0_10empty_typeEEEZZNS1_27merge_sort_block_merge_implIS3_PsPS5_jNS1_19radix_merge_compareILb0ELb1EsNS0_19identity_decomposerEEEEE10hipError_tT0_T1_T2_jT3_P12ihipStream_tbPNSt15iterator_traitsISE_E10value_typeEPNSK_ISF_E10value_typeEPSG_NS1_7vsmem_tEENKUlT_SE_SF_SG_E_clIS8_S8_S9_S9_EESD_ST_SE_SF_SG_EUlST_E_NS1_11comp_targetILNS1_3genE0ELNS1_11target_archE4294967295ELNS1_3gpuE0ELNS1_3repE0EEENS1_48merge_mergepath_partition_config_static_selectorELNS0_4arch9wavefront6targetE0EEEvSF_, .Lfunc_end671-_ZN7rocprim17ROCPRIM_400000_NS6detail17trampoline_kernelINS0_14default_configENS1_38merge_sort_block_merge_config_selectorIsNS0_10empty_typeEEEZZNS1_27merge_sort_block_merge_implIS3_PsPS5_jNS1_19radix_merge_compareILb0ELb1EsNS0_19identity_decomposerEEEEE10hipError_tT0_T1_T2_jT3_P12ihipStream_tbPNSt15iterator_traitsISE_E10value_typeEPNSK_ISF_E10value_typeEPSG_NS1_7vsmem_tEENKUlT_SE_SF_SG_E_clIS8_S8_S9_S9_EESD_ST_SE_SF_SG_EUlST_E_NS1_11comp_targetILNS1_3genE0ELNS1_11target_archE4294967295ELNS1_3gpuE0ELNS1_3repE0EEENS1_48merge_mergepath_partition_config_static_selectorELNS0_4arch9wavefront6targetE0EEEvSF_
                                        ; -- End function
	.set _ZN7rocprim17ROCPRIM_400000_NS6detail17trampoline_kernelINS0_14default_configENS1_38merge_sort_block_merge_config_selectorIsNS0_10empty_typeEEEZZNS1_27merge_sort_block_merge_implIS3_PsPS5_jNS1_19radix_merge_compareILb0ELb1EsNS0_19identity_decomposerEEEEE10hipError_tT0_T1_T2_jT3_P12ihipStream_tbPNSt15iterator_traitsISE_E10value_typeEPNSK_ISF_E10value_typeEPSG_NS1_7vsmem_tEENKUlT_SE_SF_SG_E_clIS8_S8_S9_S9_EESD_ST_SE_SF_SG_EUlST_E_NS1_11comp_targetILNS1_3genE0ELNS1_11target_archE4294967295ELNS1_3gpuE0ELNS1_3repE0EEENS1_48merge_mergepath_partition_config_static_selectorELNS0_4arch9wavefront6targetE0EEEvSF_.num_vgpr, 17
	.set _ZN7rocprim17ROCPRIM_400000_NS6detail17trampoline_kernelINS0_14default_configENS1_38merge_sort_block_merge_config_selectorIsNS0_10empty_typeEEEZZNS1_27merge_sort_block_merge_implIS3_PsPS5_jNS1_19radix_merge_compareILb0ELb1EsNS0_19identity_decomposerEEEEE10hipError_tT0_T1_T2_jT3_P12ihipStream_tbPNSt15iterator_traitsISE_E10value_typeEPNSK_ISF_E10value_typeEPSG_NS1_7vsmem_tEENKUlT_SE_SF_SG_E_clIS8_S8_S9_S9_EESD_ST_SE_SF_SG_EUlST_E_NS1_11comp_targetILNS1_3genE0ELNS1_11target_archE4294967295ELNS1_3gpuE0ELNS1_3repE0EEENS1_48merge_mergepath_partition_config_static_selectorELNS0_4arch9wavefront6targetE0EEEvSF_.num_agpr, 0
	.set _ZN7rocprim17ROCPRIM_400000_NS6detail17trampoline_kernelINS0_14default_configENS1_38merge_sort_block_merge_config_selectorIsNS0_10empty_typeEEEZZNS1_27merge_sort_block_merge_implIS3_PsPS5_jNS1_19radix_merge_compareILb0ELb1EsNS0_19identity_decomposerEEEEE10hipError_tT0_T1_T2_jT3_P12ihipStream_tbPNSt15iterator_traitsISE_E10value_typeEPNSK_ISF_E10value_typeEPSG_NS1_7vsmem_tEENKUlT_SE_SF_SG_E_clIS8_S8_S9_S9_EESD_ST_SE_SF_SG_EUlST_E_NS1_11comp_targetILNS1_3genE0ELNS1_11target_archE4294967295ELNS1_3gpuE0ELNS1_3repE0EEENS1_48merge_mergepath_partition_config_static_selectorELNS0_4arch9wavefront6targetE0EEEvSF_.numbered_sgpr, 8
	.set _ZN7rocprim17ROCPRIM_400000_NS6detail17trampoline_kernelINS0_14default_configENS1_38merge_sort_block_merge_config_selectorIsNS0_10empty_typeEEEZZNS1_27merge_sort_block_merge_implIS3_PsPS5_jNS1_19radix_merge_compareILb0ELb1EsNS0_19identity_decomposerEEEEE10hipError_tT0_T1_T2_jT3_P12ihipStream_tbPNSt15iterator_traitsISE_E10value_typeEPNSK_ISF_E10value_typeEPSG_NS1_7vsmem_tEENKUlT_SE_SF_SG_E_clIS8_S8_S9_S9_EESD_ST_SE_SF_SG_EUlST_E_NS1_11comp_targetILNS1_3genE0ELNS1_11target_archE4294967295ELNS1_3gpuE0ELNS1_3repE0EEENS1_48merge_mergepath_partition_config_static_selectorELNS0_4arch9wavefront6targetE0EEEvSF_.num_named_barrier, 0
	.set _ZN7rocprim17ROCPRIM_400000_NS6detail17trampoline_kernelINS0_14default_configENS1_38merge_sort_block_merge_config_selectorIsNS0_10empty_typeEEEZZNS1_27merge_sort_block_merge_implIS3_PsPS5_jNS1_19radix_merge_compareILb0ELb1EsNS0_19identity_decomposerEEEEE10hipError_tT0_T1_T2_jT3_P12ihipStream_tbPNSt15iterator_traitsISE_E10value_typeEPNSK_ISF_E10value_typeEPSG_NS1_7vsmem_tEENKUlT_SE_SF_SG_E_clIS8_S8_S9_S9_EESD_ST_SE_SF_SG_EUlST_E_NS1_11comp_targetILNS1_3genE0ELNS1_11target_archE4294967295ELNS1_3gpuE0ELNS1_3repE0EEENS1_48merge_mergepath_partition_config_static_selectorELNS0_4arch9wavefront6targetE0EEEvSF_.private_seg_size, 0
	.set _ZN7rocprim17ROCPRIM_400000_NS6detail17trampoline_kernelINS0_14default_configENS1_38merge_sort_block_merge_config_selectorIsNS0_10empty_typeEEEZZNS1_27merge_sort_block_merge_implIS3_PsPS5_jNS1_19radix_merge_compareILb0ELb1EsNS0_19identity_decomposerEEEEE10hipError_tT0_T1_T2_jT3_P12ihipStream_tbPNSt15iterator_traitsISE_E10value_typeEPNSK_ISF_E10value_typeEPSG_NS1_7vsmem_tEENKUlT_SE_SF_SG_E_clIS8_S8_S9_S9_EESD_ST_SE_SF_SG_EUlST_E_NS1_11comp_targetILNS1_3genE0ELNS1_11target_archE4294967295ELNS1_3gpuE0ELNS1_3repE0EEENS1_48merge_mergepath_partition_config_static_selectorELNS0_4arch9wavefront6targetE0EEEvSF_.uses_vcc, 1
	.set _ZN7rocprim17ROCPRIM_400000_NS6detail17trampoline_kernelINS0_14default_configENS1_38merge_sort_block_merge_config_selectorIsNS0_10empty_typeEEEZZNS1_27merge_sort_block_merge_implIS3_PsPS5_jNS1_19radix_merge_compareILb0ELb1EsNS0_19identity_decomposerEEEEE10hipError_tT0_T1_T2_jT3_P12ihipStream_tbPNSt15iterator_traitsISE_E10value_typeEPNSK_ISF_E10value_typeEPSG_NS1_7vsmem_tEENKUlT_SE_SF_SG_E_clIS8_S8_S9_S9_EESD_ST_SE_SF_SG_EUlST_E_NS1_11comp_targetILNS1_3genE0ELNS1_11target_archE4294967295ELNS1_3gpuE0ELNS1_3repE0EEENS1_48merge_mergepath_partition_config_static_selectorELNS0_4arch9wavefront6targetE0EEEvSF_.uses_flat_scratch, 0
	.set _ZN7rocprim17ROCPRIM_400000_NS6detail17trampoline_kernelINS0_14default_configENS1_38merge_sort_block_merge_config_selectorIsNS0_10empty_typeEEEZZNS1_27merge_sort_block_merge_implIS3_PsPS5_jNS1_19radix_merge_compareILb0ELb1EsNS0_19identity_decomposerEEEEE10hipError_tT0_T1_T2_jT3_P12ihipStream_tbPNSt15iterator_traitsISE_E10value_typeEPNSK_ISF_E10value_typeEPSG_NS1_7vsmem_tEENKUlT_SE_SF_SG_E_clIS8_S8_S9_S9_EESD_ST_SE_SF_SG_EUlST_E_NS1_11comp_targetILNS1_3genE0ELNS1_11target_archE4294967295ELNS1_3gpuE0ELNS1_3repE0EEENS1_48merge_mergepath_partition_config_static_selectorELNS0_4arch9wavefront6targetE0EEEvSF_.has_dyn_sized_stack, 0
	.set _ZN7rocprim17ROCPRIM_400000_NS6detail17trampoline_kernelINS0_14default_configENS1_38merge_sort_block_merge_config_selectorIsNS0_10empty_typeEEEZZNS1_27merge_sort_block_merge_implIS3_PsPS5_jNS1_19radix_merge_compareILb0ELb1EsNS0_19identity_decomposerEEEEE10hipError_tT0_T1_T2_jT3_P12ihipStream_tbPNSt15iterator_traitsISE_E10value_typeEPNSK_ISF_E10value_typeEPSG_NS1_7vsmem_tEENKUlT_SE_SF_SG_E_clIS8_S8_S9_S9_EESD_ST_SE_SF_SG_EUlST_E_NS1_11comp_targetILNS1_3genE0ELNS1_11target_archE4294967295ELNS1_3gpuE0ELNS1_3repE0EEENS1_48merge_mergepath_partition_config_static_selectorELNS0_4arch9wavefront6targetE0EEEvSF_.has_recursion, 0
	.set _ZN7rocprim17ROCPRIM_400000_NS6detail17trampoline_kernelINS0_14default_configENS1_38merge_sort_block_merge_config_selectorIsNS0_10empty_typeEEEZZNS1_27merge_sort_block_merge_implIS3_PsPS5_jNS1_19radix_merge_compareILb0ELb1EsNS0_19identity_decomposerEEEEE10hipError_tT0_T1_T2_jT3_P12ihipStream_tbPNSt15iterator_traitsISE_E10value_typeEPNSK_ISF_E10value_typeEPSG_NS1_7vsmem_tEENKUlT_SE_SF_SG_E_clIS8_S8_S9_S9_EESD_ST_SE_SF_SG_EUlST_E_NS1_11comp_targetILNS1_3genE0ELNS1_11target_archE4294967295ELNS1_3gpuE0ELNS1_3repE0EEENS1_48merge_mergepath_partition_config_static_selectorELNS0_4arch9wavefront6targetE0EEEvSF_.has_indirect_call, 0
	.section	.AMDGPU.csdata,"",@progbits
; Kernel info:
; codeLenInByte = 440
; TotalNumSgprs: 10
; NumVgprs: 17
; ScratchSize: 0
; MemoryBound: 0
; FloatMode: 240
; IeeeMode: 1
; LDSByteSize: 0 bytes/workgroup (compile time only)
; SGPRBlocks: 0
; VGPRBlocks: 1
; NumSGPRsForWavesPerEU: 10
; NumVGPRsForWavesPerEU: 17
; NamedBarCnt: 0
; Occupancy: 16
; WaveLimiterHint : 0
; COMPUTE_PGM_RSRC2:SCRATCH_EN: 0
; COMPUTE_PGM_RSRC2:USER_SGPR: 2
; COMPUTE_PGM_RSRC2:TRAP_HANDLER: 0
; COMPUTE_PGM_RSRC2:TGID_X_EN: 1
; COMPUTE_PGM_RSRC2:TGID_Y_EN: 0
; COMPUTE_PGM_RSRC2:TGID_Z_EN: 0
; COMPUTE_PGM_RSRC2:TIDIG_COMP_CNT: 0
	.section	.text._ZN7rocprim17ROCPRIM_400000_NS6detail17trampoline_kernelINS0_14default_configENS1_38merge_sort_block_merge_config_selectorIsNS0_10empty_typeEEEZZNS1_27merge_sort_block_merge_implIS3_PsPS5_jNS1_19radix_merge_compareILb0ELb1EsNS0_19identity_decomposerEEEEE10hipError_tT0_T1_T2_jT3_P12ihipStream_tbPNSt15iterator_traitsISE_E10value_typeEPNSK_ISF_E10value_typeEPSG_NS1_7vsmem_tEENKUlT_SE_SF_SG_E_clIS8_S8_S9_S9_EESD_ST_SE_SF_SG_EUlST_E_NS1_11comp_targetILNS1_3genE10ELNS1_11target_archE1201ELNS1_3gpuE5ELNS1_3repE0EEENS1_48merge_mergepath_partition_config_static_selectorELNS0_4arch9wavefront6targetE0EEEvSF_,"axG",@progbits,_ZN7rocprim17ROCPRIM_400000_NS6detail17trampoline_kernelINS0_14default_configENS1_38merge_sort_block_merge_config_selectorIsNS0_10empty_typeEEEZZNS1_27merge_sort_block_merge_implIS3_PsPS5_jNS1_19radix_merge_compareILb0ELb1EsNS0_19identity_decomposerEEEEE10hipError_tT0_T1_T2_jT3_P12ihipStream_tbPNSt15iterator_traitsISE_E10value_typeEPNSK_ISF_E10value_typeEPSG_NS1_7vsmem_tEENKUlT_SE_SF_SG_E_clIS8_S8_S9_S9_EESD_ST_SE_SF_SG_EUlST_E_NS1_11comp_targetILNS1_3genE10ELNS1_11target_archE1201ELNS1_3gpuE5ELNS1_3repE0EEENS1_48merge_mergepath_partition_config_static_selectorELNS0_4arch9wavefront6targetE0EEEvSF_,comdat
	.protected	_ZN7rocprim17ROCPRIM_400000_NS6detail17trampoline_kernelINS0_14default_configENS1_38merge_sort_block_merge_config_selectorIsNS0_10empty_typeEEEZZNS1_27merge_sort_block_merge_implIS3_PsPS5_jNS1_19radix_merge_compareILb0ELb1EsNS0_19identity_decomposerEEEEE10hipError_tT0_T1_T2_jT3_P12ihipStream_tbPNSt15iterator_traitsISE_E10value_typeEPNSK_ISF_E10value_typeEPSG_NS1_7vsmem_tEENKUlT_SE_SF_SG_E_clIS8_S8_S9_S9_EESD_ST_SE_SF_SG_EUlST_E_NS1_11comp_targetILNS1_3genE10ELNS1_11target_archE1201ELNS1_3gpuE5ELNS1_3repE0EEENS1_48merge_mergepath_partition_config_static_selectorELNS0_4arch9wavefront6targetE0EEEvSF_ ; -- Begin function _ZN7rocprim17ROCPRIM_400000_NS6detail17trampoline_kernelINS0_14default_configENS1_38merge_sort_block_merge_config_selectorIsNS0_10empty_typeEEEZZNS1_27merge_sort_block_merge_implIS3_PsPS5_jNS1_19radix_merge_compareILb0ELb1EsNS0_19identity_decomposerEEEEE10hipError_tT0_T1_T2_jT3_P12ihipStream_tbPNSt15iterator_traitsISE_E10value_typeEPNSK_ISF_E10value_typeEPSG_NS1_7vsmem_tEENKUlT_SE_SF_SG_E_clIS8_S8_S9_S9_EESD_ST_SE_SF_SG_EUlST_E_NS1_11comp_targetILNS1_3genE10ELNS1_11target_archE1201ELNS1_3gpuE5ELNS1_3repE0EEENS1_48merge_mergepath_partition_config_static_selectorELNS0_4arch9wavefront6targetE0EEEvSF_
	.globl	_ZN7rocprim17ROCPRIM_400000_NS6detail17trampoline_kernelINS0_14default_configENS1_38merge_sort_block_merge_config_selectorIsNS0_10empty_typeEEEZZNS1_27merge_sort_block_merge_implIS3_PsPS5_jNS1_19radix_merge_compareILb0ELb1EsNS0_19identity_decomposerEEEEE10hipError_tT0_T1_T2_jT3_P12ihipStream_tbPNSt15iterator_traitsISE_E10value_typeEPNSK_ISF_E10value_typeEPSG_NS1_7vsmem_tEENKUlT_SE_SF_SG_E_clIS8_S8_S9_S9_EESD_ST_SE_SF_SG_EUlST_E_NS1_11comp_targetILNS1_3genE10ELNS1_11target_archE1201ELNS1_3gpuE5ELNS1_3repE0EEENS1_48merge_mergepath_partition_config_static_selectorELNS0_4arch9wavefront6targetE0EEEvSF_
	.p2align	8
	.type	_ZN7rocprim17ROCPRIM_400000_NS6detail17trampoline_kernelINS0_14default_configENS1_38merge_sort_block_merge_config_selectorIsNS0_10empty_typeEEEZZNS1_27merge_sort_block_merge_implIS3_PsPS5_jNS1_19radix_merge_compareILb0ELb1EsNS0_19identity_decomposerEEEEE10hipError_tT0_T1_T2_jT3_P12ihipStream_tbPNSt15iterator_traitsISE_E10value_typeEPNSK_ISF_E10value_typeEPSG_NS1_7vsmem_tEENKUlT_SE_SF_SG_E_clIS8_S8_S9_S9_EESD_ST_SE_SF_SG_EUlST_E_NS1_11comp_targetILNS1_3genE10ELNS1_11target_archE1201ELNS1_3gpuE5ELNS1_3repE0EEENS1_48merge_mergepath_partition_config_static_selectorELNS0_4arch9wavefront6targetE0EEEvSF_,@function
_ZN7rocprim17ROCPRIM_400000_NS6detail17trampoline_kernelINS0_14default_configENS1_38merge_sort_block_merge_config_selectorIsNS0_10empty_typeEEEZZNS1_27merge_sort_block_merge_implIS3_PsPS5_jNS1_19radix_merge_compareILb0ELb1EsNS0_19identity_decomposerEEEEE10hipError_tT0_T1_T2_jT3_P12ihipStream_tbPNSt15iterator_traitsISE_E10value_typeEPNSK_ISF_E10value_typeEPSG_NS1_7vsmem_tEENKUlT_SE_SF_SG_E_clIS8_S8_S9_S9_EESD_ST_SE_SF_SG_EUlST_E_NS1_11comp_targetILNS1_3genE10ELNS1_11target_archE1201ELNS1_3gpuE5ELNS1_3repE0EEENS1_48merge_mergepath_partition_config_static_selectorELNS0_4arch9wavefront6targetE0EEEvSF_: ; @_ZN7rocprim17ROCPRIM_400000_NS6detail17trampoline_kernelINS0_14default_configENS1_38merge_sort_block_merge_config_selectorIsNS0_10empty_typeEEEZZNS1_27merge_sort_block_merge_implIS3_PsPS5_jNS1_19radix_merge_compareILb0ELb1EsNS0_19identity_decomposerEEEEE10hipError_tT0_T1_T2_jT3_P12ihipStream_tbPNSt15iterator_traitsISE_E10value_typeEPNSK_ISF_E10value_typeEPSG_NS1_7vsmem_tEENKUlT_SE_SF_SG_E_clIS8_S8_S9_S9_EESD_ST_SE_SF_SG_EUlST_E_NS1_11comp_targetILNS1_3genE10ELNS1_11target_archE1201ELNS1_3gpuE5ELNS1_3repE0EEENS1_48merge_mergepath_partition_config_static_selectorELNS0_4arch9wavefront6targetE0EEEvSF_
; %bb.0:
	.section	.rodata,"a",@progbits
	.p2align	6, 0x0
	.amdhsa_kernel _ZN7rocprim17ROCPRIM_400000_NS6detail17trampoline_kernelINS0_14default_configENS1_38merge_sort_block_merge_config_selectorIsNS0_10empty_typeEEEZZNS1_27merge_sort_block_merge_implIS3_PsPS5_jNS1_19radix_merge_compareILb0ELb1EsNS0_19identity_decomposerEEEEE10hipError_tT0_T1_T2_jT3_P12ihipStream_tbPNSt15iterator_traitsISE_E10value_typeEPNSK_ISF_E10value_typeEPSG_NS1_7vsmem_tEENKUlT_SE_SF_SG_E_clIS8_S8_S9_S9_EESD_ST_SE_SF_SG_EUlST_E_NS1_11comp_targetILNS1_3genE10ELNS1_11target_archE1201ELNS1_3gpuE5ELNS1_3repE0EEENS1_48merge_mergepath_partition_config_static_selectorELNS0_4arch9wavefront6targetE0EEEvSF_
		.amdhsa_group_segment_fixed_size 0
		.amdhsa_private_segment_fixed_size 0
		.amdhsa_kernarg_size 40
		.amdhsa_user_sgpr_count 2
		.amdhsa_user_sgpr_dispatch_ptr 0
		.amdhsa_user_sgpr_queue_ptr 0
		.amdhsa_user_sgpr_kernarg_segment_ptr 1
		.amdhsa_user_sgpr_dispatch_id 0
		.amdhsa_user_sgpr_kernarg_preload_length 0
		.amdhsa_user_sgpr_kernarg_preload_offset 0
		.amdhsa_user_sgpr_private_segment_size 0
		.amdhsa_wavefront_size32 1
		.amdhsa_uses_dynamic_stack 0
		.amdhsa_enable_private_segment 0
		.amdhsa_system_sgpr_workgroup_id_x 1
		.amdhsa_system_sgpr_workgroup_id_y 0
		.amdhsa_system_sgpr_workgroup_id_z 0
		.amdhsa_system_sgpr_workgroup_info 0
		.amdhsa_system_vgpr_workitem_id 0
		.amdhsa_next_free_vgpr 1
		.amdhsa_next_free_sgpr 1
		.amdhsa_named_barrier_count 0
		.amdhsa_reserve_vcc 0
		.amdhsa_float_round_mode_32 0
		.amdhsa_float_round_mode_16_64 0
		.amdhsa_float_denorm_mode_32 3
		.amdhsa_float_denorm_mode_16_64 3
		.amdhsa_fp16_overflow 0
		.amdhsa_memory_ordered 1
		.amdhsa_forward_progress 1
		.amdhsa_inst_pref_size 0
		.amdhsa_round_robin_scheduling 0
		.amdhsa_exception_fp_ieee_invalid_op 0
		.amdhsa_exception_fp_denorm_src 0
		.amdhsa_exception_fp_ieee_div_zero 0
		.amdhsa_exception_fp_ieee_overflow 0
		.amdhsa_exception_fp_ieee_underflow 0
		.amdhsa_exception_fp_ieee_inexact 0
		.amdhsa_exception_int_div_zero 0
	.end_amdhsa_kernel
	.section	.text._ZN7rocprim17ROCPRIM_400000_NS6detail17trampoline_kernelINS0_14default_configENS1_38merge_sort_block_merge_config_selectorIsNS0_10empty_typeEEEZZNS1_27merge_sort_block_merge_implIS3_PsPS5_jNS1_19radix_merge_compareILb0ELb1EsNS0_19identity_decomposerEEEEE10hipError_tT0_T1_T2_jT3_P12ihipStream_tbPNSt15iterator_traitsISE_E10value_typeEPNSK_ISF_E10value_typeEPSG_NS1_7vsmem_tEENKUlT_SE_SF_SG_E_clIS8_S8_S9_S9_EESD_ST_SE_SF_SG_EUlST_E_NS1_11comp_targetILNS1_3genE10ELNS1_11target_archE1201ELNS1_3gpuE5ELNS1_3repE0EEENS1_48merge_mergepath_partition_config_static_selectorELNS0_4arch9wavefront6targetE0EEEvSF_,"axG",@progbits,_ZN7rocprim17ROCPRIM_400000_NS6detail17trampoline_kernelINS0_14default_configENS1_38merge_sort_block_merge_config_selectorIsNS0_10empty_typeEEEZZNS1_27merge_sort_block_merge_implIS3_PsPS5_jNS1_19radix_merge_compareILb0ELb1EsNS0_19identity_decomposerEEEEE10hipError_tT0_T1_T2_jT3_P12ihipStream_tbPNSt15iterator_traitsISE_E10value_typeEPNSK_ISF_E10value_typeEPSG_NS1_7vsmem_tEENKUlT_SE_SF_SG_E_clIS8_S8_S9_S9_EESD_ST_SE_SF_SG_EUlST_E_NS1_11comp_targetILNS1_3genE10ELNS1_11target_archE1201ELNS1_3gpuE5ELNS1_3repE0EEENS1_48merge_mergepath_partition_config_static_selectorELNS0_4arch9wavefront6targetE0EEEvSF_,comdat
.Lfunc_end672:
	.size	_ZN7rocprim17ROCPRIM_400000_NS6detail17trampoline_kernelINS0_14default_configENS1_38merge_sort_block_merge_config_selectorIsNS0_10empty_typeEEEZZNS1_27merge_sort_block_merge_implIS3_PsPS5_jNS1_19radix_merge_compareILb0ELb1EsNS0_19identity_decomposerEEEEE10hipError_tT0_T1_T2_jT3_P12ihipStream_tbPNSt15iterator_traitsISE_E10value_typeEPNSK_ISF_E10value_typeEPSG_NS1_7vsmem_tEENKUlT_SE_SF_SG_E_clIS8_S8_S9_S9_EESD_ST_SE_SF_SG_EUlST_E_NS1_11comp_targetILNS1_3genE10ELNS1_11target_archE1201ELNS1_3gpuE5ELNS1_3repE0EEENS1_48merge_mergepath_partition_config_static_selectorELNS0_4arch9wavefront6targetE0EEEvSF_, .Lfunc_end672-_ZN7rocprim17ROCPRIM_400000_NS6detail17trampoline_kernelINS0_14default_configENS1_38merge_sort_block_merge_config_selectorIsNS0_10empty_typeEEEZZNS1_27merge_sort_block_merge_implIS3_PsPS5_jNS1_19radix_merge_compareILb0ELb1EsNS0_19identity_decomposerEEEEE10hipError_tT0_T1_T2_jT3_P12ihipStream_tbPNSt15iterator_traitsISE_E10value_typeEPNSK_ISF_E10value_typeEPSG_NS1_7vsmem_tEENKUlT_SE_SF_SG_E_clIS8_S8_S9_S9_EESD_ST_SE_SF_SG_EUlST_E_NS1_11comp_targetILNS1_3genE10ELNS1_11target_archE1201ELNS1_3gpuE5ELNS1_3repE0EEENS1_48merge_mergepath_partition_config_static_selectorELNS0_4arch9wavefront6targetE0EEEvSF_
                                        ; -- End function
	.set _ZN7rocprim17ROCPRIM_400000_NS6detail17trampoline_kernelINS0_14default_configENS1_38merge_sort_block_merge_config_selectorIsNS0_10empty_typeEEEZZNS1_27merge_sort_block_merge_implIS3_PsPS5_jNS1_19radix_merge_compareILb0ELb1EsNS0_19identity_decomposerEEEEE10hipError_tT0_T1_T2_jT3_P12ihipStream_tbPNSt15iterator_traitsISE_E10value_typeEPNSK_ISF_E10value_typeEPSG_NS1_7vsmem_tEENKUlT_SE_SF_SG_E_clIS8_S8_S9_S9_EESD_ST_SE_SF_SG_EUlST_E_NS1_11comp_targetILNS1_3genE10ELNS1_11target_archE1201ELNS1_3gpuE5ELNS1_3repE0EEENS1_48merge_mergepath_partition_config_static_selectorELNS0_4arch9wavefront6targetE0EEEvSF_.num_vgpr, 0
	.set _ZN7rocprim17ROCPRIM_400000_NS6detail17trampoline_kernelINS0_14default_configENS1_38merge_sort_block_merge_config_selectorIsNS0_10empty_typeEEEZZNS1_27merge_sort_block_merge_implIS3_PsPS5_jNS1_19radix_merge_compareILb0ELb1EsNS0_19identity_decomposerEEEEE10hipError_tT0_T1_T2_jT3_P12ihipStream_tbPNSt15iterator_traitsISE_E10value_typeEPNSK_ISF_E10value_typeEPSG_NS1_7vsmem_tEENKUlT_SE_SF_SG_E_clIS8_S8_S9_S9_EESD_ST_SE_SF_SG_EUlST_E_NS1_11comp_targetILNS1_3genE10ELNS1_11target_archE1201ELNS1_3gpuE5ELNS1_3repE0EEENS1_48merge_mergepath_partition_config_static_selectorELNS0_4arch9wavefront6targetE0EEEvSF_.num_agpr, 0
	.set _ZN7rocprim17ROCPRIM_400000_NS6detail17trampoline_kernelINS0_14default_configENS1_38merge_sort_block_merge_config_selectorIsNS0_10empty_typeEEEZZNS1_27merge_sort_block_merge_implIS3_PsPS5_jNS1_19radix_merge_compareILb0ELb1EsNS0_19identity_decomposerEEEEE10hipError_tT0_T1_T2_jT3_P12ihipStream_tbPNSt15iterator_traitsISE_E10value_typeEPNSK_ISF_E10value_typeEPSG_NS1_7vsmem_tEENKUlT_SE_SF_SG_E_clIS8_S8_S9_S9_EESD_ST_SE_SF_SG_EUlST_E_NS1_11comp_targetILNS1_3genE10ELNS1_11target_archE1201ELNS1_3gpuE5ELNS1_3repE0EEENS1_48merge_mergepath_partition_config_static_selectorELNS0_4arch9wavefront6targetE0EEEvSF_.numbered_sgpr, 0
	.set _ZN7rocprim17ROCPRIM_400000_NS6detail17trampoline_kernelINS0_14default_configENS1_38merge_sort_block_merge_config_selectorIsNS0_10empty_typeEEEZZNS1_27merge_sort_block_merge_implIS3_PsPS5_jNS1_19radix_merge_compareILb0ELb1EsNS0_19identity_decomposerEEEEE10hipError_tT0_T1_T2_jT3_P12ihipStream_tbPNSt15iterator_traitsISE_E10value_typeEPNSK_ISF_E10value_typeEPSG_NS1_7vsmem_tEENKUlT_SE_SF_SG_E_clIS8_S8_S9_S9_EESD_ST_SE_SF_SG_EUlST_E_NS1_11comp_targetILNS1_3genE10ELNS1_11target_archE1201ELNS1_3gpuE5ELNS1_3repE0EEENS1_48merge_mergepath_partition_config_static_selectorELNS0_4arch9wavefront6targetE0EEEvSF_.num_named_barrier, 0
	.set _ZN7rocprim17ROCPRIM_400000_NS6detail17trampoline_kernelINS0_14default_configENS1_38merge_sort_block_merge_config_selectorIsNS0_10empty_typeEEEZZNS1_27merge_sort_block_merge_implIS3_PsPS5_jNS1_19radix_merge_compareILb0ELb1EsNS0_19identity_decomposerEEEEE10hipError_tT0_T1_T2_jT3_P12ihipStream_tbPNSt15iterator_traitsISE_E10value_typeEPNSK_ISF_E10value_typeEPSG_NS1_7vsmem_tEENKUlT_SE_SF_SG_E_clIS8_S8_S9_S9_EESD_ST_SE_SF_SG_EUlST_E_NS1_11comp_targetILNS1_3genE10ELNS1_11target_archE1201ELNS1_3gpuE5ELNS1_3repE0EEENS1_48merge_mergepath_partition_config_static_selectorELNS0_4arch9wavefront6targetE0EEEvSF_.private_seg_size, 0
	.set _ZN7rocprim17ROCPRIM_400000_NS6detail17trampoline_kernelINS0_14default_configENS1_38merge_sort_block_merge_config_selectorIsNS0_10empty_typeEEEZZNS1_27merge_sort_block_merge_implIS3_PsPS5_jNS1_19radix_merge_compareILb0ELb1EsNS0_19identity_decomposerEEEEE10hipError_tT0_T1_T2_jT3_P12ihipStream_tbPNSt15iterator_traitsISE_E10value_typeEPNSK_ISF_E10value_typeEPSG_NS1_7vsmem_tEENKUlT_SE_SF_SG_E_clIS8_S8_S9_S9_EESD_ST_SE_SF_SG_EUlST_E_NS1_11comp_targetILNS1_3genE10ELNS1_11target_archE1201ELNS1_3gpuE5ELNS1_3repE0EEENS1_48merge_mergepath_partition_config_static_selectorELNS0_4arch9wavefront6targetE0EEEvSF_.uses_vcc, 0
	.set _ZN7rocprim17ROCPRIM_400000_NS6detail17trampoline_kernelINS0_14default_configENS1_38merge_sort_block_merge_config_selectorIsNS0_10empty_typeEEEZZNS1_27merge_sort_block_merge_implIS3_PsPS5_jNS1_19radix_merge_compareILb0ELb1EsNS0_19identity_decomposerEEEEE10hipError_tT0_T1_T2_jT3_P12ihipStream_tbPNSt15iterator_traitsISE_E10value_typeEPNSK_ISF_E10value_typeEPSG_NS1_7vsmem_tEENKUlT_SE_SF_SG_E_clIS8_S8_S9_S9_EESD_ST_SE_SF_SG_EUlST_E_NS1_11comp_targetILNS1_3genE10ELNS1_11target_archE1201ELNS1_3gpuE5ELNS1_3repE0EEENS1_48merge_mergepath_partition_config_static_selectorELNS0_4arch9wavefront6targetE0EEEvSF_.uses_flat_scratch, 0
	.set _ZN7rocprim17ROCPRIM_400000_NS6detail17trampoline_kernelINS0_14default_configENS1_38merge_sort_block_merge_config_selectorIsNS0_10empty_typeEEEZZNS1_27merge_sort_block_merge_implIS3_PsPS5_jNS1_19radix_merge_compareILb0ELb1EsNS0_19identity_decomposerEEEEE10hipError_tT0_T1_T2_jT3_P12ihipStream_tbPNSt15iterator_traitsISE_E10value_typeEPNSK_ISF_E10value_typeEPSG_NS1_7vsmem_tEENKUlT_SE_SF_SG_E_clIS8_S8_S9_S9_EESD_ST_SE_SF_SG_EUlST_E_NS1_11comp_targetILNS1_3genE10ELNS1_11target_archE1201ELNS1_3gpuE5ELNS1_3repE0EEENS1_48merge_mergepath_partition_config_static_selectorELNS0_4arch9wavefront6targetE0EEEvSF_.has_dyn_sized_stack, 0
	.set _ZN7rocprim17ROCPRIM_400000_NS6detail17trampoline_kernelINS0_14default_configENS1_38merge_sort_block_merge_config_selectorIsNS0_10empty_typeEEEZZNS1_27merge_sort_block_merge_implIS3_PsPS5_jNS1_19radix_merge_compareILb0ELb1EsNS0_19identity_decomposerEEEEE10hipError_tT0_T1_T2_jT3_P12ihipStream_tbPNSt15iterator_traitsISE_E10value_typeEPNSK_ISF_E10value_typeEPSG_NS1_7vsmem_tEENKUlT_SE_SF_SG_E_clIS8_S8_S9_S9_EESD_ST_SE_SF_SG_EUlST_E_NS1_11comp_targetILNS1_3genE10ELNS1_11target_archE1201ELNS1_3gpuE5ELNS1_3repE0EEENS1_48merge_mergepath_partition_config_static_selectorELNS0_4arch9wavefront6targetE0EEEvSF_.has_recursion, 0
	.set _ZN7rocprim17ROCPRIM_400000_NS6detail17trampoline_kernelINS0_14default_configENS1_38merge_sort_block_merge_config_selectorIsNS0_10empty_typeEEEZZNS1_27merge_sort_block_merge_implIS3_PsPS5_jNS1_19radix_merge_compareILb0ELb1EsNS0_19identity_decomposerEEEEE10hipError_tT0_T1_T2_jT3_P12ihipStream_tbPNSt15iterator_traitsISE_E10value_typeEPNSK_ISF_E10value_typeEPSG_NS1_7vsmem_tEENKUlT_SE_SF_SG_E_clIS8_S8_S9_S9_EESD_ST_SE_SF_SG_EUlST_E_NS1_11comp_targetILNS1_3genE10ELNS1_11target_archE1201ELNS1_3gpuE5ELNS1_3repE0EEENS1_48merge_mergepath_partition_config_static_selectorELNS0_4arch9wavefront6targetE0EEEvSF_.has_indirect_call, 0
	.section	.AMDGPU.csdata,"",@progbits
; Kernel info:
; codeLenInByte = 0
; TotalNumSgprs: 0
; NumVgprs: 0
; ScratchSize: 0
; MemoryBound: 0
; FloatMode: 240
; IeeeMode: 1
; LDSByteSize: 0 bytes/workgroup (compile time only)
; SGPRBlocks: 0
; VGPRBlocks: 0
; NumSGPRsForWavesPerEU: 1
; NumVGPRsForWavesPerEU: 1
; NamedBarCnt: 0
; Occupancy: 16
; WaveLimiterHint : 0
; COMPUTE_PGM_RSRC2:SCRATCH_EN: 0
; COMPUTE_PGM_RSRC2:USER_SGPR: 2
; COMPUTE_PGM_RSRC2:TRAP_HANDLER: 0
; COMPUTE_PGM_RSRC2:TGID_X_EN: 1
; COMPUTE_PGM_RSRC2:TGID_Y_EN: 0
; COMPUTE_PGM_RSRC2:TGID_Z_EN: 0
; COMPUTE_PGM_RSRC2:TIDIG_COMP_CNT: 0
	.section	.text._ZN7rocprim17ROCPRIM_400000_NS6detail17trampoline_kernelINS0_14default_configENS1_38merge_sort_block_merge_config_selectorIsNS0_10empty_typeEEEZZNS1_27merge_sort_block_merge_implIS3_PsPS5_jNS1_19radix_merge_compareILb0ELb1EsNS0_19identity_decomposerEEEEE10hipError_tT0_T1_T2_jT3_P12ihipStream_tbPNSt15iterator_traitsISE_E10value_typeEPNSK_ISF_E10value_typeEPSG_NS1_7vsmem_tEENKUlT_SE_SF_SG_E_clIS8_S8_S9_S9_EESD_ST_SE_SF_SG_EUlST_E_NS1_11comp_targetILNS1_3genE5ELNS1_11target_archE942ELNS1_3gpuE9ELNS1_3repE0EEENS1_48merge_mergepath_partition_config_static_selectorELNS0_4arch9wavefront6targetE0EEEvSF_,"axG",@progbits,_ZN7rocprim17ROCPRIM_400000_NS6detail17trampoline_kernelINS0_14default_configENS1_38merge_sort_block_merge_config_selectorIsNS0_10empty_typeEEEZZNS1_27merge_sort_block_merge_implIS3_PsPS5_jNS1_19radix_merge_compareILb0ELb1EsNS0_19identity_decomposerEEEEE10hipError_tT0_T1_T2_jT3_P12ihipStream_tbPNSt15iterator_traitsISE_E10value_typeEPNSK_ISF_E10value_typeEPSG_NS1_7vsmem_tEENKUlT_SE_SF_SG_E_clIS8_S8_S9_S9_EESD_ST_SE_SF_SG_EUlST_E_NS1_11comp_targetILNS1_3genE5ELNS1_11target_archE942ELNS1_3gpuE9ELNS1_3repE0EEENS1_48merge_mergepath_partition_config_static_selectorELNS0_4arch9wavefront6targetE0EEEvSF_,comdat
	.protected	_ZN7rocprim17ROCPRIM_400000_NS6detail17trampoline_kernelINS0_14default_configENS1_38merge_sort_block_merge_config_selectorIsNS0_10empty_typeEEEZZNS1_27merge_sort_block_merge_implIS3_PsPS5_jNS1_19radix_merge_compareILb0ELb1EsNS0_19identity_decomposerEEEEE10hipError_tT0_T1_T2_jT3_P12ihipStream_tbPNSt15iterator_traitsISE_E10value_typeEPNSK_ISF_E10value_typeEPSG_NS1_7vsmem_tEENKUlT_SE_SF_SG_E_clIS8_S8_S9_S9_EESD_ST_SE_SF_SG_EUlST_E_NS1_11comp_targetILNS1_3genE5ELNS1_11target_archE942ELNS1_3gpuE9ELNS1_3repE0EEENS1_48merge_mergepath_partition_config_static_selectorELNS0_4arch9wavefront6targetE0EEEvSF_ ; -- Begin function _ZN7rocprim17ROCPRIM_400000_NS6detail17trampoline_kernelINS0_14default_configENS1_38merge_sort_block_merge_config_selectorIsNS0_10empty_typeEEEZZNS1_27merge_sort_block_merge_implIS3_PsPS5_jNS1_19radix_merge_compareILb0ELb1EsNS0_19identity_decomposerEEEEE10hipError_tT0_T1_T2_jT3_P12ihipStream_tbPNSt15iterator_traitsISE_E10value_typeEPNSK_ISF_E10value_typeEPSG_NS1_7vsmem_tEENKUlT_SE_SF_SG_E_clIS8_S8_S9_S9_EESD_ST_SE_SF_SG_EUlST_E_NS1_11comp_targetILNS1_3genE5ELNS1_11target_archE942ELNS1_3gpuE9ELNS1_3repE0EEENS1_48merge_mergepath_partition_config_static_selectorELNS0_4arch9wavefront6targetE0EEEvSF_
	.globl	_ZN7rocprim17ROCPRIM_400000_NS6detail17trampoline_kernelINS0_14default_configENS1_38merge_sort_block_merge_config_selectorIsNS0_10empty_typeEEEZZNS1_27merge_sort_block_merge_implIS3_PsPS5_jNS1_19radix_merge_compareILb0ELb1EsNS0_19identity_decomposerEEEEE10hipError_tT0_T1_T2_jT3_P12ihipStream_tbPNSt15iterator_traitsISE_E10value_typeEPNSK_ISF_E10value_typeEPSG_NS1_7vsmem_tEENKUlT_SE_SF_SG_E_clIS8_S8_S9_S9_EESD_ST_SE_SF_SG_EUlST_E_NS1_11comp_targetILNS1_3genE5ELNS1_11target_archE942ELNS1_3gpuE9ELNS1_3repE0EEENS1_48merge_mergepath_partition_config_static_selectorELNS0_4arch9wavefront6targetE0EEEvSF_
	.p2align	8
	.type	_ZN7rocprim17ROCPRIM_400000_NS6detail17trampoline_kernelINS0_14default_configENS1_38merge_sort_block_merge_config_selectorIsNS0_10empty_typeEEEZZNS1_27merge_sort_block_merge_implIS3_PsPS5_jNS1_19radix_merge_compareILb0ELb1EsNS0_19identity_decomposerEEEEE10hipError_tT0_T1_T2_jT3_P12ihipStream_tbPNSt15iterator_traitsISE_E10value_typeEPNSK_ISF_E10value_typeEPSG_NS1_7vsmem_tEENKUlT_SE_SF_SG_E_clIS8_S8_S9_S9_EESD_ST_SE_SF_SG_EUlST_E_NS1_11comp_targetILNS1_3genE5ELNS1_11target_archE942ELNS1_3gpuE9ELNS1_3repE0EEENS1_48merge_mergepath_partition_config_static_selectorELNS0_4arch9wavefront6targetE0EEEvSF_,@function
_ZN7rocprim17ROCPRIM_400000_NS6detail17trampoline_kernelINS0_14default_configENS1_38merge_sort_block_merge_config_selectorIsNS0_10empty_typeEEEZZNS1_27merge_sort_block_merge_implIS3_PsPS5_jNS1_19radix_merge_compareILb0ELb1EsNS0_19identity_decomposerEEEEE10hipError_tT0_T1_T2_jT3_P12ihipStream_tbPNSt15iterator_traitsISE_E10value_typeEPNSK_ISF_E10value_typeEPSG_NS1_7vsmem_tEENKUlT_SE_SF_SG_E_clIS8_S8_S9_S9_EESD_ST_SE_SF_SG_EUlST_E_NS1_11comp_targetILNS1_3genE5ELNS1_11target_archE942ELNS1_3gpuE9ELNS1_3repE0EEENS1_48merge_mergepath_partition_config_static_selectorELNS0_4arch9wavefront6targetE0EEEvSF_: ; @_ZN7rocprim17ROCPRIM_400000_NS6detail17trampoline_kernelINS0_14default_configENS1_38merge_sort_block_merge_config_selectorIsNS0_10empty_typeEEEZZNS1_27merge_sort_block_merge_implIS3_PsPS5_jNS1_19radix_merge_compareILb0ELb1EsNS0_19identity_decomposerEEEEE10hipError_tT0_T1_T2_jT3_P12ihipStream_tbPNSt15iterator_traitsISE_E10value_typeEPNSK_ISF_E10value_typeEPSG_NS1_7vsmem_tEENKUlT_SE_SF_SG_E_clIS8_S8_S9_S9_EESD_ST_SE_SF_SG_EUlST_E_NS1_11comp_targetILNS1_3genE5ELNS1_11target_archE942ELNS1_3gpuE9ELNS1_3repE0EEENS1_48merge_mergepath_partition_config_static_selectorELNS0_4arch9wavefront6targetE0EEEvSF_
; %bb.0:
	.section	.rodata,"a",@progbits
	.p2align	6, 0x0
	.amdhsa_kernel _ZN7rocprim17ROCPRIM_400000_NS6detail17trampoline_kernelINS0_14default_configENS1_38merge_sort_block_merge_config_selectorIsNS0_10empty_typeEEEZZNS1_27merge_sort_block_merge_implIS3_PsPS5_jNS1_19radix_merge_compareILb0ELb1EsNS0_19identity_decomposerEEEEE10hipError_tT0_T1_T2_jT3_P12ihipStream_tbPNSt15iterator_traitsISE_E10value_typeEPNSK_ISF_E10value_typeEPSG_NS1_7vsmem_tEENKUlT_SE_SF_SG_E_clIS8_S8_S9_S9_EESD_ST_SE_SF_SG_EUlST_E_NS1_11comp_targetILNS1_3genE5ELNS1_11target_archE942ELNS1_3gpuE9ELNS1_3repE0EEENS1_48merge_mergepath_partition_config_static_selectorELNS0_4arch9wavefront6targetE0EEEvSF_
		.amdhsa_group_segment_fixed_size 0
		.amdhsa_private_segment_fixed_size 0
		.amdhsa_kernarg_size 40
		.amdhsa_user_sgpr_count 2
		.amdhsa_user_sgpr_dispatch_ptr 0
		.amdhsa_user_sgpr_queue_ptr 0
		.amdhsa_user_sgpr_kernarg_segment_ptr 1
		.amdhsa_user_sgpr_dispatch_id 0
		.amdhsa_user_sgpr_kernarg_preload_length 0
		.amdhsa_user_sgpr_kernarg_preload_offset 0
		.amdhsa_user_sgpr_private_segment_size 0
		.amdhsa_wavefront_size32 1
		.amdhsa_uses_dynamic_stack 0
		.amdhsa_enable_private_segment 0
		.amdhsa_system_sgpr_workgroup_id_x 1
		.amdhsa_system_sgpr_workgroup_id_y 0
		.amdhsa_system_sgpr_workgroup_id_z 0
		.amdhsa_system_sgpr_workgroup_info 0
		.amdhsa_system_vgpr_workitem_id 0
		.amdhsa_next_free_vgpr 1
		.amdhsa_next_free_sgpr 1
		.amdhsa_named_barrier_count 0
		.amdhsa_reserve_vcc 0
		.amdhsa_float_round_mode_32 0
		.amdhsa_float_round_mode_16_64 0
		.amdhsa_float_denorm_mode_32 3
		.amdhsa_float_denorm_mode_16_64 3
		.amdhsa_fp16_overflow 0
		.amdhsa_memory_ordered 1
		.amdhsa_forward_progress 1
		.amdhsa_inst_pref_size 0
		.amdhsa_round_robin_scheduling 0
		.amdhsa_exception_fp_ieee_invalid_op 0
		.amdhsa_exception_fp_denorm_src 0
		.amdhsa_exception_fp_ieee_div_zero 0
		.amdhsa_exception_fp_ieee_overflow 0
		.amdhsa_exception_fp_ieee_underflow 0
		.amdhsa_exception_fp_ieee_inexact 0
		.amdhsa_exception_int_div_zero 0
	.end_amdhsa_kernel
	.section	.text._ZN7rocprim17ROCPRIM_400000_NS6detail17trampoline_kernelINS0_14default_configENS1_38merge_sort_block_merge_config_selectorIsNS0_10empty_typeEEEZZNS1_27merge_sort_block_merge_implIS3_PsPS5_jNS1_19radix_merge_compareILb0ELb1EsNS0_19identity_decomposerEEEEE10hipError_tT0_T1_T2_jT3_P12ihipStream_tbPNSt15iterator_traitsISE_E10value_typeEPNSK_ISF_E10value_typeEPSG_NS1_7vsmem_tEENKUlT_SE_SF_SG_E_clIS8_S8_S9_S9_EESD_ST_SE_SF_SG_EUlST_E_NS1_11comp_targetILNS1_3genE5ELNS1_11target_archE942ELNS1_3gpuE9ELNS1_3repE0EEENS1_48merge_mergepath_partition_config_static_selectorELNS0_4arch9wavefront6targetE0EEEvSF_,"axG",@progbits,_ZN7rocprim17ROCPRIM_400000_NS6detail17trampoline_kernelINS0_14default_configENS1_38merge_sort_block_merge_config_selectorIsNS0_10empty_typeEEEZZNS1_27merge_sort_block_merge_implIS3_PsPS5_jNS1_19radix_merge_compareILb0ELb1EsNS0_19identity_decomposerEEEEE10hipError_tT0_T1_T2_jT3_P12ihipStream_tbPNSt15iterator_traitsISE_E10value_typeEPNSK_ISF_E10value_typeEPSG_NS1_7vsmem_tEENKUlT_SE_SF_SG_E_clIS8_S8_S9_S9_EESD_ST_SE_SF_SG_EUlST_E_NS1_11comp_targetILNS1_3genE5ELNS1_11target_archE942ELNS1_3gpuE9ELNS1_3repE0EEENS1_48merge_mergepath_partition_config_static_selectorELNS0_4arch9wavefront6targetE0EEEvSF_,comdat
.Lfunc_end673:
	.size	_ZN7rocprim17ROCPRIM_400000_NS6detail17trampoline_kernelINS0_14default_configENS1_38merge_sort_block_merge_config_selectorIsNS0_10empty_typeEEEZZNS1_27merge_sort_block_merge_implIS3_PsPS5_jNS1_19radix_merge_compareILb0ELb1EsNS0_19identity_decomposerEEEEE10hipError_tT0_T1_T2_jT3_P12ihipStream_tbPNSt15iterator_traitsISE_E10value_typeEPNSK_ISF_E10value_typeEPSG_NS1_7vsmem_tEENKUlT_SE_SF_SG_E_clIS8_S8_S9_S9_EESD_ST_SE_SF_SG_EUlST_E_NS1_11comp_targetILNS1_3genE5ELNS1_11target_archE942ELNS1_3gpuE9ELNS1_3repE0EEENS1_48merge_mergepath_partition_config_static_selectorELNS0_4arch9wavefront6targetE0EEEvSF_, .Lfunc_end673-_ZN7rocprim17ROCPRIM_400000_NS6detail17trampoline_kernelINS0_14default_configENS1_38merge_sort_block_merge_config_selectorIsNS0_10empty_typeEEEZZNS1_27merge_sort_block_merge_implIS3_PsPS5_jNS1_19radix_merge_compareILb0ELb1EsNS0_19identity_decomposerEEEEE10hipError_tT0_T1_T2_jT3_P12ihipStream_tbPNSt15iterator_traitsISE_E10value_typeEPNSK_ISF_E10value_typeEPSG_NS1_7vsmem_tEENKUlT_SE_SF_SG_E_clIS8_S8_S9_S9_EESD_ST_SE_SF_SG_EUlST_E_NS1_11comp_targetILNS1_3genE5ELNS1_11target_archE942ELNS1_3gpuE9ELNS1_3repE0EEENS1_48merge_mergepath_partition_config_static_selectorELNS0_4arch9wavefront6targetE0EEEvSF_
                                        ; -- End function
	.set _ZN7rocprim17ROCPRIM_400000_NS6detail17trampoline_kernelINS0_14default_configENS1_38merge_sort_block_merge_config_selectorIsNS0_10empty_typeEEEZZNS1_27merge_sort_block_merge_implIS3_PsPS5_jNS1_19radix_merge_compareILb0ELb1EsNS0_19identity_decomposerEEEEE10hipError_tT0_T1_T2_jT3_P12ihipStream_tbPNSt15iterator_traitsISE_E10value_typeEPNSK_ISF_E10value_typeEPSG_NS1_7vsmem_tEENKUlT_SE_SF_SG_E_clIS8_S8_S9_S9_EESD_ST_SE_SF_SG_EUlST_E_NS1_11comp_targetILNS1_3genE5ELNS1_11target_archE942ELNS1_3gpuE9ELNS1_3repE0EEENS1_48merge_mergepath_partition_config_static_selectorELNS0_4arch9wavefront6targetE0EEEvSF_.num_vgpr, 0
	.set _ZN7rocprim17ROCPRIM_400000_NS6detail17trampoline_kernelINS0_14default_configENS1_38merge_sort_block_merge_config_selectorIsNS0_10empty_typeEEEZZNS1_27merge_sort_block_merge_implIS3_PsPS5_jNS1_19radix_merge_compareILb0ELb1EsNS0_19identity_decomposerEEEEE10hipError_tT0_T1_T2_jT3_P12ihipStream_tbPNSt15iterator_traitsISE_E10value_typeEPNSK_ISF_E10value_typeEPSG_NS1_7vsmem_tEENKUlT_SE_SF_SG_E_clIS8_S8_S9_S9_EESD_ST_SE_SF_SG_EUlST_E_NS1_11comp_targetILNS1_3genE5ELNS1_11target_archE942ELNS1_3gpuE9ELNS1_3repE0EEENS1_48merge_mergepath_partition_config_static_selectorELNS0_4arch9wavefront6targetE0EEEvSF_.num_agpr, 0
	.set _ZN7rocprim17ROCPRIM_400000_NS6detail17trampoline_kernelINS0_14default_configENS1_38merge_sort_block_merge_config_selectorIsNS0_10empty_typeEEEZZNS1_27merge_sort_block_merge_implIS3_PsPS5_jNS1_19radix_merge_compareILb0ELb1EsNS0_19identity_decomposerEEEEE10hipError_tT0_T1_T2_jT3_P12ihipStream_tbPNSt15iterator_traitsISE_E10value_typeEPNSK_ISF_E10value_typeEPSG_NS1_7vsmem_tEENKUlT_SE_SF_SG_E_clIS8_S8_S9_S9_EESD_ST_SE_SF_SG_EUlST_E_NS1_11comp_targetILNS1_3genE5ELNS1_11target_archE942ELNS1_3gpuE9ELNS1_3repE0EEENS1_48merge_mergepath_partition_config_static_selectorELNS0_4arch9wavefront6targetE0EEEvSF_.numbered_sgpr, 0
	.set _ZN7rocprim17ROCPRIM_400000_NS6detail17trampoline_kernelINS0_14default_configENS1_38merge_sort_block_merge_config_selectorIsNS0_10empty_typeEEEZZNS1_27merge_sort_block_merge_implIS3_PsPS5_jNS1_19radix_merge_compareILb0ELb1EsNS0_19identity_decomposerEEEEE10hipError_tT0_T1_T2_jT3_P12ihipStream_tbPNSt15iterator_traitsISE_E10value_typeEPNSK_ISF_E10value_typeEPSG_NS1_7vsmem_tEENKUlT_SE_SF_SG_E_clIS8_S8_S9_S9_EESD_ST_SE_SF_SG_EUlST_E_NS1_11comp_targetILNS1_3genE5ELNS1_11target_archE942ELNS1_3gpuE9ELNS1_3repE0EEENS1_48merge_mergepath_partition_config_static_selectorELNS0_4arch9wavefront6targetE0EEEvSF_.num_named_barrier, 0
	.set _ZN7rocprim17ROCPRIM_400000_NS6detail17trampoline_kernelINS0_14default_configENS1_38merge_sort_block_merge_config_selectorIsNS0_10empty_typeEEEZZNS1_27merge_sort_block_merge_implIS3_PsPS5_jNS1_19radix_merge_compareILb0ELb1EsNS0_19identity_decomposerEEEEE10hipError_tT0_T1_T2_jT3_P12ihipStream_tbPNSt15iterator_traitsISE_E10value_typeEPNSK_ISF_E10value_typeEPSG_NS1_7vsmem_tEENKUlT_SE_SF_SG_E_clIS8_S8_S9_S9_EESD_ST_SE_SF_SG_EUlST_E_NS1_11comp_targetILNS1_3genE5ELNS1_11target_archE942ELNS1_3gpuE9ELNS1_3repE0EEENS1_48merge_mergepath_partition_config_static_selectorELNS0_4arch9wavefront6targetE0EEEvSF_.private_seg_size, 0
	.set _ZN7rocprim17ROCPRIM_400000_NS6detail17trampoline_kernelINS0_14default_configENS1_38merge_sort_block_merge_config_selectorIsNS0_10empty_typeEEEZZNS1_27merge_sort_block_merge_implIS3_PsPS5_jNS1_19radix_merge_compareILb0ELb1EsNS0_19identity_decomposerEEEEE10hipError_tT0_T1_T2_jT3_P12ihipStream_tbPNSt15iterator_traitsISE_E10value_typeEPNSK_ISF_E10value_typeEPSG_NS1_7vsmem_tEENKUlT_SE_SF_SG_E_clIS8_S8_S9_S9_EESD_ST_SE_SF_SG_EUlST_E_NS1_11comp_targetILNS1_3genE5ELNS1_11target_archE942ELNS1_3gpuE9ELNS1_3repE0EEENS1_48merge_mergepath_partition_config_static_selectorELNS0_4arch9wavefront6targetE0EEEvSF_.uses_vcc, 0
	.set _ZN7rocprim17ROCPRIM_400000_NS6detail17trampoline_kernelINS0_14default_configENS1_38merge_sort_block_merge_config_selectorIsNS0_10empty_typeEEEZZNS1_27merge_sort_block_merge_implIS3_PsPS5_jNS1_19radix_merge_compareILb0ELb1EsNS0_19identity_decomposerEEEEE10hipError_tT0_T1_T2_jT3_P12ihipStream_tbPNSt15iterator_traitsISE_E10value_typeEPNSK_ISF_E10value_typeEPSG_NS1_7vsmem_tEENKUlT_SE_SF_SG_E_clIS8_S8_S9_S9_EESD_ST_SE_SF_SG_EUlST_E_NS1_11comp_targetILNS1_3genE5ELNS1_11target_archE942ELNS1_3gpuE9ELNS1_3repE0EEENS1_48merge_mergepath_partition_config_static_selectorELNS0_4arch9wavefront6targetE0EEEvSF_.uses_flat_scratch, 0
	.set _ZN7rocprim17ROCPRIM_400000_NS6detail17trampoline_kernelINS0_14default_configENS1_38merge_sort_block_merge_config_selectorIsNS0_10empty_typeEEEZZNS1_27merge_sort_block_merge_implIS3_PsPS5_jNS1_19radix_merge_compareILb0ELb1EsNS0_19identity_decomposerEEEEE10hipError_tT0_T1_T2_jT3_P12ihipStream_tbPNSt15iterator_traitsISE_E10value_typeEPNSK_ISF_E10value_typeEPSG_NS1_7vsmem_tEENKUlT_SE_SF_SG_E_clIS8_S8_S9_S9_EESD_ST_SE_SF_SG_EUlST_E_NS1_11comp_targetILNS1_3genE5ELNS1_11target_archE942ELNS1_3gpuE9ELNS1_3repE0EEENS1_48merge_mergepath_partition_config_static_selectorELNS0_4arch9wavefront6targetE0EEEvSF_.has_dyn_sized_stack, 0
	.set _ZN7rocprim17ROCPRIM_400000_NS6detail17trampoline_kernelINS0_14default_configENS1_38merge_sort_block_merge_config_selectorIsNS0_10empty_typeEEEZZNS1_27merge_sort_block_merge_implIS3_PsPS5_jNS1_19radix_merge_compareILb0ELb1EsNS0_19identity_decomposerEEEEE10hipError_tT0_T1_T2_jT3_P12ihipStream_tbPNSt15iterator_traitsISE_E10value_typeEPNSK_ISF_E10value_typeEPSG_NS1_7vsmem_tEENKUlT_SE_SF_SG_E_clIS8_S8_S9_S9_EESD_ST_SE_SF_SG_EUlST_E_NS1_11comp_targetILNS1_3genE5ELNS1_11target_archE942ELNS1_3gpuE9ELNS1_3repE0EEENS1_48merge_mergepath_partition_config_static_selectorELNS0_4arch9wavefront6targetE0EEEvSF_.has_recursion, 0
	.set _ZN7rocprim17ROCPRIM_400000_NS6detail17trampoline_kernelINS0_14default_configENS1_38merge_sort_block_merge_config_selectorIsNS0_10empty_typeEEEZZNS1_27merge_sort_block_merge_implIS3_PsPS5_jNS1_19radix_merge_compareILb0ELb1EsNS0_19identity_decomposerEEEEE10hipError_tT0_T1_T2_jT3_P12ihipStream_tbPNSt15iterator_traitsISE_E10value_typeEPNSK_ISF_E10value_typeEPSG_NS1_7vsmem_tEENKUlT_SE_SF_SG_E_clIS8_S8_S9_S9_EESD_ST_SE_SF_SG_EUlST_E_NS1_11comp_targetILNS1_3genE5ELNS1_11target_archE942ELNS1_3gpuE9ELNS1_3repE0EEENS1_48merge_mergepath_partition_config_static_selectorELNS0_4arch9wavefront6targetE0EEEvSF_.has_indirect_call, 0
	.section	.AMDGPU.csdata,"",@progbits
; Kernel info:
; codeLenInByte = 0
; TotalNumSgprs: 0
; NumVgprs: 0
; ScratchSize: 0
; MemoryBound: 0
; FloatMode: 240
; IeeeMode: 1
; LDSByteSize: 0 bytes/workgroup (compile time only)
; SGPRBlocks: 0
; VGPRBlocks: 0
; NumSGPRsForWavesPerEU: 1
; NumVGPRsForWavesPerEU: 1
; NamedBarCnt: 0
; Occupancy: 16
; WaveLimiterHint : 0
; COMPUTE_PGM_RSRC2:SCRATCH_EN: 0
; COMPUTE_PGM_RSRC2:USER_SGPR: 2
; COMPUTE_PGM_RSRC2:TRAP_HANDLER: 0
; COMPUTE_PGM_RSRC2:TGID_X_EN: 1
; COMPUTE_PGM_RSRC2:TGID_Y_EN: 0
; COMPUTE_PGM_RSRC2:TGID_Z_EN: 0
; COMPUTE_PGM_RSRC2:TIDIG_COMP_CNT: 0
	.section	.text._ZN7rocprim17ROCPRIM_400000_NS6detail17trampoline_kernelINS0_14default_configENS1_38merge_sort_block_merge_config_selectorIsNS0_10empty_typeEEEZZNS1_27merge_sort_block_merge_implIS3_PsPS5_jNS1_19radix_merge_compareILb0ELb1EsNS0_19identity_decomposerEEEEE10hipError_tT0_T1_T2_jT3_P12ihipStream_tbPNSt15iterator_traitsISE_E10value_typeEPNSK_ISF_E10value_typeEPSG_NS1_7vsmem_tEENKUlT_SE_SF_SG_E_clIS8_S8_S9_S9_EESD_ST_SE_SF_SG_EUlST_E_NS1_11comp_targetILNS1_3genE4ELNS1_11target_archE910ELNS1_3gpuE8ELNS1_3repE0EEENS1_48merge_mergepath_partition_config_static_selectorELNS0_4arch9wavefront6targetE0EEEvSF_,"axG",@progbits,_ZN7rocprim17ROCPRIM_400000_NS6detail17trampoline_kernelINS0_14default_configENS1_38merge_sort_block_merge_config_selectorIsNS0_10empty_typeEEEZZNS1_27merge_sort_block_merge_implIS3_PsPS5_jNS1_19radix_merge_compareILb0ELb1EsNS0_19identity_decomposerEEEEE10hipError_tT0_T1_T2_jT3_P12ihipStream_tbPNSt15iterator_traitsISE_E10value_typeEPNSK_ISF_E10value_typeEPSG_NS1_7vsmem_tEENKUlT_SE_SF_SG_E_clIS8_S8_S9_S9_EESD_ST_SE_SF_SG_EUlST_E_NS1_11comp_targetILNS1_3genE4ELNS1_11target_archE910ELNS1_3gpuE8ELNS1_3repE0EEENS1_48merge_mergepath_partition_config_static_selectorELNS0_4arch9wavefront6targetE0EEEvSF_,comdat
	.protected	_ZN7rocprim17ROCPRIM_400000_NS6detail17trampoline_kernelINS0_14default_configENS1_38merge_sort_block_merge_config_selectorIsNS0_10empty_typeEEEZZNS1_27merge_sort_block_merge_implIS3_PsPS5_jNS1_19radix_merge_compareILb0ELb1EsNS0_19identity_decomposerEEEEE10hipError_tT0_T1_T2_jT3_P12ihipStream_tbPNSt15iterator_traitsISE_E10value_typeEPNSK_ISF_E10value_typeEPSG_NS1_7vsmem_tEENKUlT_SE_SF_SG_E_clIS8_S8_S9_S9_EESD_ST_SE_SF_SG_EUlST_E_NS1_11comp_targetILNS1_3genE4ELNS1_11target_archE910ELNS1_3gpuE8ELNS1_3repE0EEENS1_48merge_mergepath_partition_config_static_selectorELNS0_4arch9wavefront6targetE0EEEvSF_ ; -- Begin function _ZN7rocprim17ROCPRIM_400000_NS6detail17trampoline_kernelINS0_14default_configENS1_38merge_sort_block_merge_config_selectorIsNS0_10empty_typeEEEZZNS1_27merge_sort_block_merge_implIS3_PsPS5_jNS1_19radix_merge_compareILb0ELb1EsNS0_19identity_decomposerEEEEE10hipError_tT0_T1_T2_jT3_P12ihipStream_tbPNSt15iterator_traitsISE_E10value_typeEPNSK_ISF_E10value_typeEPSG_NS1_7vsmem_tEENKUlT_SE_SF_SG_E_clIS8_S8_S9_S9_EESD_ST_SE_SF_SG_EUlST_E_NS1_11comp_targetILNS1_3genE4ELNS1_11target_archE910ELNS1_3gpuE8ELNS1_3repE0EEENS1_48merge_mergepath_partition_config_static_selectorELNS0_4arch9wavefront6targetE0EEEvSF_
	.globl	_ZN7rocprim17ROCPRIM_400000_NS6detail17trampoline_kernelINS0_14default_configENS1_38merge_sort_block_merge_config_selectorIsNS0_10empty_typeEEEZZNS1_27merge_sort_block_merge_implIS3_PsPS5_jNS1_19radix_merge_compareILb0ELb1EsNS0_19identity_decomposerEEEEE10hipError_tT0_T1_T2_jT3_P12ihipStream_tbPNSt15iterator_traitsISE_E10value_typeEPNSK_ISF_E10value_typeEPSG_NS1_7vsmem_tEENKUlT_SE_SF_SG_E_clIS8_S8_S9_S9_EESD_ST_SE_SF_SG_EUlST_E_NS1_11comp_targetILNS1_3genE4ELNS1_11target_archE910ELNS1_3gpuE8ELNS1_3repE0EEENS1_48merge_mergepath_partition_config_static_selectorELNS0_4arch9wavefront6targetE0EEEvSF_
	.p2align	8
	.type	_ZN7rocprim17ROCPRIM_400000_NS6detail17trampoline_kernelINS0_14default_configENS1_38merge_sort_block_merge_config_selectorIsNS0_10empty_typeEEEZZNS1_27merge_sort_block_merge_implIS3_PsPS5_jNS1_19radix_merge_compareILb0ELb1EsNS0_19identity_decomposerEEEEE10hipError_tT0_T1_T2_jT3_P12ihipStream_tbPNSt15iterator_traitsISE_E10value_typeEPNSK_ISF_E10value_typeEPSG_NS1_7vsmem_tEENKUlT_SE_SF_SG_E_clIS8_S8_S9_S9_EESD_ST_SE_SF_SG_EUlST_E_NS1_11comp_targetILNS1_3genE4ELNS1_11target_archE910ELNS1_3gpuE8ELNS1_3repE0EEENS1_48merge_mergepath_partition_config_static_selectorELNS0_4arch9wavefront6targetE0EEEvSF_,@function
_ZN7rocprim17ROCPRIM_400000_NS6detail17trampoline_kernelINS0_14default_configENS1_38merge_sort_block_merge_config_selectorIsNS0_10empty_typeEEEZZNS1_27merge_sort_block_merge_implIS3_PsPS5_jNS1_19radix_merge_compareILb0ELb1EsNS0_19identity_decomposerEEEEE10hipError_tT0_T1_T2_jT3_P12ihipStream_tbPNSt15iterator_traitsISE_E10value_typeEPNSK_ISF_E10value_typeEPSG_NS1_7vsmem_tEENKUlT_SE_SF_SG_E_clIS8_S8_S9_S9_EESD_ST_SE_SF_SG_EUlST_E_NS1_11comp_targetILNS1_3genE4ELNS1_11target_archE910ELNS1_3gpuE8ELNS1_3repE0EEENS1_48merge_mergepath_partition_config_static_selectorELNS0_4arch9wavefront6targetE0EEEvSF_: ; @_ZN7rocprim17ROCPRIM_400000_NS6detail17trampoline_kernelINS0_14default_configENS1_38merge_sort_block_merge_config_selectorIsNS0_10empty_typeEEEZZNS1_27merge_sort_block_merge_implIS3_PsPS5_jNS1_19radix_merge_compareILb0ELb1EsNS0_19identity_decomposerEEEEE10hipError_tT0_T1_T2_jT3_P12ihipStream_tbPNSt15iterator_traitsISE_E10value_typeEPNSK_ISF_E10value_typeEPSG_NS1_7vsmem_tEENKUlT_SE_SF_SG_E_clIS8_S8_S9_S9_EESD_ST_SE_SF_SG_EUlST_E_NS1_11comp_targetILNS1_3genE4ELNS1_11target_archE910ELNS1_3gpuE8ELNS1_3repE0EEENS1_48merge_mergepath_partition_config_static_selectorELNS0_4arch9wavefront6targetE0EEEvSF_
; %bb.0:
	.section	.rodata,"a",@progbits
	.p2align	6, 0x0
	.amdhsa_kernel _ZN7rocprim17ROCPRIM_400000_NS6detail17trampoline_kernelINS0_14default_configENS1_38merge_sort_block_merge_config_selectorIsNS0_10empty_typeEEEZZNS1_27merge_sort_block_merge_implIS3_PsPS5_jNS1_19radix_merge_compareILb0ELb1EsNS0_19identity_decomposerEEEEE10hipError_tT0_T1_T2_jT3_P12ihipStream_tbPNSt15iterator_traitsISE_E10value_typeEPNSK_ISF_E10value_typeEPSG_NS1_7vsmem_tEENKUlT_SE_SF_SG_E_clIS8_S8_S9_S9_EESD_ST_SE_SF_SG_EUlST_E_NS1_11comp_targetILNS1_3genE4ELNS1_11target_archE910ELNS1_3gpuE8ELNS1_3repE0EEENS1_48merge_mergepath_partition_config_static_selectorELNS0_4arch9wavefront6targetE0EEEvSF_
		.amdhsa_group_segment_fixed_size 0
		.amdhsa_private_segment_fixed_size 0
		.amdhsa_kernarg_size 40
		.amdhsa_user_sgpr_count 2
		.amdhsa_user_sgpr_dispatch_ptr 0
		.amdhsa_user_sgpr_queue_ptr 0
		.amdhsa_user_sgpr_kernarg_segment_ptr 1
		.amdhsa_user_sgpr_dispatch_id 0
		.amdhsa_user_sgpr_kernarg_preload_length 0
		.amdhsa_user_sgpr_kernarg_preload_offset 0
		.amdhsa_user_sgpr_private_segment_size 0
		.amdhsa_wavefront_size32 1
		.amdhsa_uses_dynamic_stack 0
		.amdhsa_enable_private_segment 0
		.amdhsa_system_sgpr_workgroup_id_x 1
		.amdhsa_system_sgpr_workgroup_id_y 0
		.amdhsa_system_sgpr_workgroup_id_z 0
		.amdhsa_system_sgpr_workgroup_info 0
		.amdhsa_system_vgpr_workitem_id 0
		.amdhsa_next_free_vgpr 1
		.amdhsa_next_free_sgpr 1
		.amdhsa_named_barrier_count 0
		.amdhsa_reserve_vcc 0
		.amdhsa_float_round_mode_32 0
		.amdhsa_float_round_mode_16_64 0
		.amdhsa_float_denorm_mode_32 3
		.amdhsa_float_denorm_mode_16_64 3
		.amdhsa_fp16_overflow 0
		.amdhsa_memory_ordered 1
		.amdhsa_forward_progress 1
		.amdhsa_inst_pref_size 0
		.amdhsa_round_robin_scheduling 0
		.amdhsa_exception_fp_ieee_invalid_op 0
		.amdhsa_exception_fp_denorm_src 0
		.amdhsa_exception_fp_ieee_div_zero 0
		.amdhsa_exception_fp_ieee_overflow 0
		.amdhsa_exception_fp_ieee_underflow 0
		.amdhsa_exception_fp_ieee_inexact 0
		.amdhsa_exception_int_div_zero 0
	.end_amdhsa_kernel
	.section	.text._ZN7rocprim17ROCPRIM_400000_NS6detail17trampoline_kernelINS0_14default_configENS1_38merge_sort_block_merge_config_selectorIsNS0_10empty_typeEEEZZNS1_27merge_sort_block_merge_implIS3_PsPS5_jNS1_19radix_merge_compareILb0ELb1EsNS0_19identity_decomposerEEEEE10hipError_tT0_T1_T2_jT3_P12ihipStream_tbPNSt15iterator_traitsISE_E10value_typeEPNSK_ISF_E10value_typeEPSG_NS1_7vsmem_tEENKUlT_SE_SF_SG_E_clIS8_S8_S9_S9_EESD_ST_SE_SF_SG_EUlST_E_NS1_11comp_targetILNS1_3genE4ELNS1_11target_archE910ELNS1_3gpuE8ELNS1_3repE0EEENS1_48merge_mergepath_partition_config_static_selectorELNS0_4arch9wavefront6targetE0EEEvSF_,"axG",@progbits,_ZN7rocprim17ROCPRIM_400000_NS6detail17trampoline_kernelINS0_14default_configENS1_38merge_sort_block_merge_config_selectorIsNS0_10empty_typeEEEZZNS1_27merge_sort_block_merge_implIS3_PsPS5_jNS1_19radix_merge_compareILb0ELb1EsNS0_19identity_decomposerEEEEE10hipError_tT0_T1_T2_jT3_P12ihipStream_tbPNSt15iterator_traitsISE_E10value_typeEPNSK_ISF_E10value_typeEPSG_NS1_7vsmem_tEENKUlT_SE_SF_SG_E_clIS8_S8_S9_S9_EESD_ST_SE_SF_SG_EUlST_E_NS1_11comp_targetILNS1_3genE4ELNS1_11target_archE910ELNS1_3gpuE8ELNS1_3repE0EEENS1_48merge_mergepath_partition_config_static_selectorELNS0_4arch9wavefront6targetE0EEEvSF_,comdat
.Lfunc_end674:
	.size	_ZN7rocprim17ROCPRIM_400000_NS6detail17trampoline_kernelINS0_14default_configENS1_38merge_sort_block_merge_config_selectorIsNS0_10empty_typeEEEZZNS1_27merge_sort_block_merge_implIS3_PsPS5_jNS1_19radix_merge_compareILb0ELb1EsNS0_19identity_decomposerEEEEE10hipError_tT0_T1_T2_jT3_P12ihipStream_tbPNSt15iterator_traitsISE_E10value_typeEPNSK_ISF_E10value_typeEPSG_NS1_7vsmem_tEENKUlT_SE_SF_SG_E_clIS8_S8_S9_S9_EESD_ST_SE_SF_SG_EUlST_E_NS1_11comp_targetILNS1_3genE4ELNS1_11target_archE910ELNS1_3gpuE8ELNS1_3repE0EEENS1_48merge_mergepath_partition_config_static_selectorELNS0_4arch9wavefront6targetE0EEEvSF_, .Lfunc_end674-_ZN7rocprim17ROCPRIM_400000_NS6detail17trampoline_kernelINS0_14default_configENS1_38merge_sort_block_merge_config_selectorIsNS0_10empty_typeEEEZZNS1_27merge_sort_block_merge_implIS3_PsPS5_jNS1_19radix_merge_compareILb0ELb1EsNS0_19identity_decomposerEEEEE10hipError_tT0_T1_T2_jT3_P12ihipStream_tbPNSt15iterator_traitsISE_E10value_typeEPNSK_ISF_E10value_typeEPSG_NS1_7vsmem_tEENKUlT_SE_SF_SG_E_clIS8_S8_S9_S9_EESD_ST_SE_SF_SG_EUlST_E_NS1_11comp_targetILNS1_3genE4ELNS1_11target_archE910ELNS1_3gpuE8ELNS1_3repE0EEENS1_48merge_mergepath_partition_config_static_selectorELNS0_4arch9wavefront6targetE0EEEvSF_
                                        ; -- End function
	.set _ZN7rocprim17ROCPRIM_400000_NS6detail17trampoline_kernelINS0_14default_configENS1_38merge_sort_block_merge_config_selectorIsNS0_10empty_typeEEEZZNS1_27merge_sort_block_merge_implIS3_PsPS5_jNS1_19radix_merge_compareILb0ELb1EsNS0_19identity_decomposerEEEEE10hipError_tT0_T1_T2_jT3_P12ihipStream_tbPNSt15iterator_traitsISE_E10value_typeEPNSK_ISF_E10value_typeEPSG_NS1_7vsmem_tEENKUlT_SE_SF_SG_E_clIS8_S8_S9_S9_EESD_ST_SE_SF_SG_EUlST_E_NS1_11comp_targetILNS1_3genE4ELNS1_11target_archE910ELNS1_3gpuE8ELNS1_3repE0EEENS1_48merge_mergepath_partition_config_static_selectorELNS0_4arch9wavefront6targetE0EEEvSF_.num_vgpr, 0
	.set _ZN7rocprim17ROCPRIM_400000_NS6detail17trampoline_kernelINS0_14default_configENS1_38merge_sort_block_merge_config_selectorIsNS0_10empty_typeEEEZZNS1_27merge_sort_block_merge_implIS3_PsPS5_jNS1_19radix_merge_compareILb0ELb1EsNS0_19identity_decomposerEEEEE10hipError_tT0_T1_T2_jT3_P12ihipStream_tbPNSt15iterator_traitsISE_E10value_typeEPNSK_ISF_E10value_typeEPSG_NS1_7vsmem_tEENKUlT_SE_SF_SG_E_clIS8_S8_S9_S9_EESD_ST_SE_SF_SG_EUlST_E_NS1_11comp_targetILNS1_3genE4ELNS1_11target_archE910ELNS1_3gpuE8ELNS1_3repE0EEENS1_48merge_mergepath_partition_config_static_selectorELNS0_4arch9wavefront6targetE0EEEvSF_.num_agpr, 0
	.set _ZN7rocprim17ROCPRIM_400000_NS6detail17trampoline_kernelINS0_14default_configENS1_38merge_sort_block_merge_config_selectorIsNS0_10empty_typeEEEZZNS1_27merge_sort_block_merge_implIS3_PsPS5_jNS1_19radix_merge_compareILb0ELb1EsNS0_19identity_decomposerEEEEE10hipError_tT0_T1_T2_jT3_P12ihipStream_tbPNSt15iterator_traitsISE_E10value_typeEPNSK_ISF_E10value_typeEPSG_NS1_7vsmem_tEENKUlT_SE_SF_SG_E_clIS8_S8_S9_S9_EESD_ST_SE_SF_SG_EUlST_E_NS1_11comp_targetILNS1_3genE4ELNS1_11target_archE910ELNS1_3gpuE8ELNS1_3repE0EEENS1_48merge_mergepath_partition_config_static_selectorELNS0_4arch9wavefront6targetE0EEEvSF_.numbered_sgpr, 0
	.set _ZN7rocprim17ROCPRIM_400000_NS6detail17trampoline_kernelINS0_14default_configENS1_38merge_sort_block_merge_config_selectorIsNS0_10empty_typeEEEZZNS1_27merge_sort_block_merge_implIS3_PsPS5_jNS1_19radix_merge_compareILb0ELb1EsNS0_19identity_decomposerEEEEE10hipError_tT0_T1_T2_jT3_P12ihipStream_tbPNSt15iterator_traitsISE_E10value_typeEPNSK_ISF_E10value_typeEPSG_NS1_7vsmem_tEENKUlT_SE_SF_SG_E_clIS8_S8_S9_S9_EESD_ST_SE_SF_SG_EUlST_E_NS1_11comp_targetILNS1_3genE4ELNS1_11target_archE910ELNS1_3gpuE8ELNS1_3repE0EEENS1_48merge_mergepath_partition_config_static_selectorELNS0_4arch9wavefront6targetE0EEEvSF_.num_named_barrier, 0
	.set _ZN7rocprim17ROCPRIM_400000_NS6detail17trampoline_kernelINS0_14default_configENS1_38merge_sort_block_merge_config_selectorIsNS0_10empty_typeEEEZZNS1_27merge_sort_block_merge_implIS3_PsPS5_jNS1_19radix_merge_compareILb0ELb1EsNS0_19identity_decomposerEEEEE10hipError_tT0_T1_T2_jT3_P12ihipStream_tbPNSt15iterator_traitsISE_E10value_typeEPNSK_ISF_E10value_typeEPSG_NS1_7vsmem_tEENKUlT_SE_SF_SG_E_clIS8_S8_S9_S9_EESD_ST_SE_SF_SG_EUlST_E_NS1_11comp_targetILNS1_3genE4ELNS1_11target_archE910ELNS1_3gpuE8ELNS1_3repE0EEENS1_48merge_mergepath_partition_config_static_selectorELNS0_4arch9wavefront6targetE0EEEvSF_.private_seg_size, 0
	.set _ZN7rocprim17ROCPRIM_400000_NS6detail17trampoline_kernelINS0_14default_configENS1_38merge_sort_block_merge_config_selectorIsNS0_10empty_typeEEEZZNS1_27merge_sort_block_merge_implIS3_PsPS5_jNS1_19radix_merge_compareILb0ELb1EsNS0_19identity_decomposerEEEEE10hipError_tT0_T1_T2_jT3_P12ihipStream_tbPNSt15iterator_traitsISE_E10value_typeEPNSK_ISF_E10value_typeEPSG_NS1_7vsmem_tEENKUlT_SE_SF_SG_E_clIS8_S8_S9_S9_EESD_ST_SE_SF_SG_EUlST_E_NS1_11comp_targetILNS1_3genE4ELNS1_11target_archE910ELNS1_3gpuE8ELNS1_3repE0EEENS1_48merge_mergepath_partition_config_static_selectorELNS0_4arch9wavefront6targetE0EEEvSF_.uses_vcc, 0
	.set _ZN7rocprim17ROCPRIM_400000_NS6detail17trampoline_kernelINS0_14default_configENS1_38merge_sort_block_merge_config_selectorIsNS0_10empty_typeEEEZZNS1_27merge_sort_block_merge_implIS3_PsPS5_jNS1_19radix_merge_compareILb0ELb1EsNS0_19identity_decomposerEEEEE10hipError_tT0_T1_T2_jT3_P12ihipStream_tbPNSt15iterator_traitsISE_E10value_typeEPNSK_ISF_E10value_typeEPSG_NS1_7vsmem_tEENKUlT_SE_SF_SG_E_clIS8_S8_S9_S9_EESD_ST_SE_SF_SG_EUlST_E_NS1_11comp_targetILNS1_3genE4ELNS1_11target_archE910ELNS1_3gpuE8ELNS1_3repE0EEENS1_48merge_mergepath_partition_config_static_selectorELNS0_4arch9wavefront6targetE0EEEvSF_.uses_flat_scratch, 0
	.set _ZN7rocprim17ROCPRIM_400000_NS6detail17trampoline_kernelINS0_14default_configENS1_38merge_sort_block_merge_config_selectorIsNS0_10empty_typeEEEZZNS1_27merge_sort_block_merge_implIS3_PsPS5_jNS1_19radix_merge_compareILb0ELb1EsNS0_19identity_decomposerEEEEE10hipError_tT0_T1_T2_jT3_P12ihipStream_tbPNSt15iterator_traitsISE_E10value_typeEPNSK_ISF_E10value_typeEPSG_NS1_7vsmem_tEENKUlT_SE_SF_SG_E_clIS8_S8_S9_S9_EESD_ST_SE_SF_SG_EUlST_E_NS1_11comp_targetILNS1_3genE4ELNS1_11target_archE910ELNS1_3gpuE8ELNS1_3repE0EEENS1_48merge_mergepath_partition_config_static_selectorELNS0_4arch9wavefront6targetE0EEEvSF_.has_dyn_sized_stack, 0
	.set _ZN7rocprim17ROCPRIM_400000_NS6detail17trampoline_kernelINS0_14default_configENS1_38merge_sort_block_merge_config_selectorIsNS0_10empty_typeEEEZZNS1_27merge_sort_block_merge_implIS3_PsPS5_jNS1_19radix_merge_compareILb0ELb1EsNS0_19identity_decomposerEEEEE10hipError_tT0_T1_T2_jT3_P12ihipStream_tbPNSt15iterator_traitsISE_E10value_typeEPNSK_ISF_E10value_typeEPSG_NS1_7vsmem_tEENKUlT_SE_SF_SG_E_clIS8_S8_S9_S9_EESD_ST_SE_SF_SG_EUlST_E_NS1_11comp_targetILNS1_3genE4ELNS1_11target_archE910ELNS1_3gpuE8ELNS1_3repE0EEENS1_48merge_mergepath_partition_config_static_selectorELNS0_4arch9wavefront6targetE0EEEvSF_.has_recursion, 0
	.set _ZN7rocprim17ROCPRIM_400000_NS6detail17trampoline_kernelINS0_14default_configENS1_38merge_sort_block_merge_config_selectorIsNS0_10empty_typeEEEZZNS1_27merge_sort_block_merge_implIS3_PsPS5_jNS1_19radix_merge_compareILb0ELb1EsNS0_19identity_decomposerEEEEE10hipError_tT0_T1_T2_jT3_P12ihipStream_tbPNSt15iterator_traitsISE_E10value_typeEPNSK_ISF_E10value_typeEPSG_NS1_7vsmem_tEENKUlT_SE_SF_SG_E_clIS8_S8_S9_S9_EESD_ST_SE_SF_SG_EUlST_E_NS1_11comp_targetILNS1_3genE4ELNS1_11target_archE910ELNS1_3gpuE8ELNS1_3repE0EEENS1_48merge_mergepath_partition_config_static_selectorELNS0_4arch9wavefront6targetE0EEEvSF_.has_indirect_call, 0
	.section	.AMDGPU.csdata,"",@progbits
; Kernel info:
; codeLenInByte = 0
; TotalNumSgprs: 0
; NumVgprs: 0
; ScratchSize: 0
; MemoryBound: 0
; FloatMode: 240
; IeeeMode: 1
; LDSByteSize: 0 bytes/workgroup (compile time only)
; SGPRBlocks: 0
; VGPRBlocks: 0
; NumSGPRsForWavesPerEU: 1
; NumVGPRsForWavesPerEU: 1
; NamedBarCnt: 0
; Occupancy: 16
; WaveLimiterHint : 0
; COMPUTE_PGM_RSRC2:SCRATCH_EN: 0
; COMPUTE_PGM_RSRC2:USER_SGPR: 2
; COMPUTE_PGM_RSRC2:TRAP_HANDLER: 0
; COMPUTE_PGM_RSRC2:TGID_X_EN: 1
; COMPUTE_PGM_RSRC2:TGID_Y_EN: 0
; COMPUTE_PGM_RSRC2:TGID_Z_EN: 0
; COMPUTE_PGM_RSRC2:TIDIG_COMP_CNT: 0
	.section	.text._ZN7rocprim17ROCPRIM_400000_NS6detail17trampoline_kernelINS0_14default_configENS1_38merge_sort_block_merge_config_selectorIsNS0_10empty_typeEEEZZNS1_27merge_sort_block_merge_implIS3_PsPS5_jNS1_19radix_merge_compareILb0ELb1EsNS0_19identity_decomposerEEEEE10hipError_tT0_T1_T2_jT3_P12ihipStream_tbPNSt15iterator_traitsISE_E10value_typeEPNSK_ISF_E10value_typeEPSG_NS1_7vsmem_tEENKUlT_SE_SF_SG_E_clIS8_S8_S9_S9_EESD_ST_SE_SF_SG_EUlST_E_NS1_11comp_targetILNS1_3genE3ELNS1_11target_archE908ELNS1_3gpuE7ELNS1_3repE0EEENS1_48merge_mergepath_partition_config_static_selectorELNS0_4arch9wavefront6targetE0EEEvSF_,"axG",@progbits,_ZN7rocprim17ROCPRIM_400000_NS6detail17trampoline_kernelINS0_14default_configENS1_38merge_sort_block_merge_config_selectorIsNS0_10empty_typeEEEZZNS1_27merge_sort_block_merge_implIS3_PsPS5_jNS1_19radix_merge_compareILb0ELb1EsNS0_19identity_decomposerEEEEE10hipError_tT0_T1_T2_jT3_P12ihipStream_tbPNSt15iterator_traitsISE_E10value_typeEPNSK_ISF_E10value_typeEPSG_NS1_7vsmem_tEENKUlT_SE_SF_SG_E_clIS8_S8_S9_S9_EESD_ST_SE_SF_SG_EUlST_E_NS1_11comp_targetILNS1_3genE3ELNS1_11target_archE908ELNS1_3gpuE7ELNS1_3repE0EEENS1_48merge_mergepath_partition_config_static_selectorELNS0_4arch9wavefront6targetE0EEEvSF_,comdat
	.protected	_ZN7rocprim17ROCPRIM_400000_NS6detail17trampoline_kernelINS0_14default_configENS1_38merge_sort_block_merge_config_selectorIsNS0_10empty_typeEEEZZNS1_27merge_sort_block_merge_implIS3_PsPS5_jNS1_19radix_merge_compareILb0ELb1EsNS0_19identity_decomposerEEEEE10hipError_tT0_T1_T2_jT3_P12ihipStream_tbPNSt15iterator_traitsISE_E10value_typeEPNSK_ISF_E10value_typeEPSG_NS1_7vsmem_tEENKUlT_SE_SF_SG_E_clIS8_S8_S9_S9_EESD_ST_SE_SF_SG_EUlST_E_NS1_11comp_targetILNS1_3genE3ELNS1_11target_archE908ELNS1_3gpuE7ELNS1_3repE0EEENS1_48merge_mergepath_partition_config_static_selectorELNS0_4arch9wavefront6targetE0EEEvSF_ ; -- Begin function _ZN7rocprim17ROCPRIM_400000_NS6detail17trampoline_kernelINS0_14default_configENS1_38merge_sort_block_merge_config_selectorIsNS0_10empty_typeEEEZZNS1_27merge_sort_block_merge_implIS3_PsPS5_jNS1_19radix_merge_compareILb0ELb1EsNS0_19identity_decomposerEEEEE10hipError_tT0_T1_T2_jT3_P12ihipStream_tbPNSt15iterator_traitsISE_E10value_typeEPNSK_ISF_E10value_typeEPSG_NS1_7vsmem_tEENKUlT_SE_SF_SG_E_clIS8_S8_S9_S9_EESD_ST_SE_SF_SG_EUlST_E_NS1_11comp_targetILNS1_3genE3ELNS1_11target_archE908ELNS1_3gpuE7ELNS1_3repE0EEENS1_48merge_mergepath_partition_config_static_selectorELNS0_4arch9wavefront6targetE0EEEvSF_
	.globl	_ZN7rocprim17ROCPRIM_400000_NS6detail17trampoline_kernelINS0_14default_configENS1_38merge_sort_block_merge_config_selectorIsNS0_10empty_typeEEEZZNS1_27merge_sort_block_merge_implIS3_PsPS5_jNS1_19radix_merge_compareILb0ELb1EsNS0_19identity_decomposerEEEEE10hipError_tT0_T1_T2_jT3_P12ihipStream_tbPNSt15iterator_traitsISE_E10value_typeEPNSK_ISF_E10value_typeEPSG_NS1_7vsmem_tEENKUlT_SE_SF_SG_E_clIS8_S8_S9_S9_EESD_ST_SE_SF_SG_EUlST_E_NS1_11comp_targetILNS1_3genE3ELNS1_11target_archE908ELNS1_3gpuE7ELNS1_3repE0EEENS1_48merge_mergepath_partition_config_static_selectorELNS0_4arch9wavefront6targetE0EEEvSF_
	.p2align	8
	.type	_ZN7rocprim17ROCPRIM_400000_NS6detail17trampoline_kernelINS0_14default_configENS1_38merge_sort_block_merge_config_selectorIsNS0_10empty_typeEEEZZNS1_27merge_sort_block_merge_implIS3_PsPS5_jNS1_19radix_merge_compareILb0ELb1EsNS0_19identity_decomposerEEEEE10hipError_tT0_T1_T2_jT3_P12ihipStream_tbPNSt15iterator_traitsISE_E10value_typeEPNSK_ISF_E10value_typeEPSG_NS1_7vsmem_tEENKUlT_SE_SF_SG_E_clIS8_S8_S9_S9_EESD_ST_SE_SF_SG_EUlST_E_NS1_11comp_targetILNS1_3genE3ELNS1_11target_archE908ELNS1_3gpuE7ELNS1_3repE0EEENS1_48merge_mergepath_partition_config_static_selectorELNS0_4arch9wavefront6targetE0EEEvSF_,@function
_ZN7rocprim17ROCPRIM_400000_NS6detail17trampoline_kernelINS0_14default_configENS1_38merge_sort_block_merge_config_selectorIsNS0_10empty_typeEEEZZNS1_27merge_sort_block_merge_implIS3_PsPS5_jNS1_19radix_merge_compareILb0ELb1EsNS0_19identity_decomposerEEEEE10hipError_tT0_T1_T2_jT3_P12ihipStream_tbPNSt15iterator_traitsISE_E10value_typeEPNSK_ISF_E10value_typeEPSG_NS1_7vsmem_tEENKUlT_SE_SF_SG_E_clIS8_S8_S9_S9_EESD_ST_SE_SF_SG_EUlST_E_NS1_11comp_targetILNS1_3genE3ELNS1_11target_archE908ELNS1_3gpuE7ELNS1_3repE0EEENS1_48merge_mergepath_partition_config_static_selectorELNS0_4arch9wavefront6targetE0EEEvSF_: ; @_ZN7rocprim17ROCPRIM_400000_NS6detail17trampoline_kernelINS0_14default_configENS1_38merge_sort_block_merge_config_selectorIsNS0_10empty_typeEEEZZNS1_27merge_sort_block_merge_implIS3_PsPS5_jNS1_19radix_merge_compareILb0ELb1EsNS0_19identity_decomposerEEEEE10hipError_tT0_T1_T2_jT3_P12ihipStream_tbPNSt15iterator_traitsISE_E10value_typeEPNSK_ISF_E10value_typeEPSG_NS1_7vsmem_tEENKUlT_SE_SF_SG_E_clIS8_S8_S9_S9_EESD_ST_SE_SF_SG_EUlST_E_NS1_11comp_targetILNS1_3genE3ELNS1_11target_archE908ELNS1_3gpuE7ELNS1_3repE0EEENS1_48merge_mergepath_partition_config_static_selectorELNS0_4arch9wavefront6targetE0EEEvSF_
; %bb.0:
	.section	.rodata,"a",@progbits
	.p2align	6, 0x0
	.amdhsa_kernel _ZN7rocprim17ROCPRIM_400000_NS6detail17trampoline_kernelINS0_14default_configENS1_38merge_sort_block_merge_config_selectorIsNS0_10empty_typeEEEZZNS1_27merge_sort_block_merge_implIS3_PsPS5_jNS1_19radix_merge_compareILb0ELb1EsNS0_19identity_decomposerEEEEE10hipError_tT0_T1_T2_jT3_P12ihipStream_tbPNSt15iterator_traitsISE_E10value_typeEPNSK_ISF_E10value_typeEPSG_NS1_7vsmem_tEENKUlT_SE_SF_SG_E_clIS8_S8_S9_S9_EESD_ST_SE_SF_SG_EUlST_E_NS1_11comp_targetILNS1_3genE3ELNS1_11target_archE908ELNS1_3gpuE7ELNS1_3repE0EEENS1_48merge_mergepath_partition_config_static_selectorELNS0_4arch9wavefront6targetE0EEEvSF_
		.amdhsa_group_segment_fixed_size 0
		.amdhsa_private_segment_fixed_size 0
		.amdhsa_kernarg_size 40
		.amdhsa_user_sgpr_count 2
		.amdhsa_user_sgpr_dispatch_ptr 0
		.amdhsa_user_sgpr_queue_ptr 0
		.amdhsa_user_sgpr_kernarg_segment_ptr 1
		.amdhsa_user_sgpr_dispatch_id 0
		.amdhsa_user_sgpr_kernarg_preload_length 0
		.amdhsa_user_sgpr_kernarg_preload_offset 0
		.amdhsa_user_sgpr_private_segment_size 0
		.amdhsa_wavefront_size32 1
		.amdhsa_uses_dynamic_stack 0
		.amdhsa_enable_private_segment 0
		.amdhsa_system_sgpr_workgroup_id_x 1
		.amdhsa_system_sgpr_workgroup_id_y 0
		.amdhsa_system_sgpr_workgroup_id_z 0
		.amdhsa_system_sgpr_workgroup_info 0
		.amdhsa_system_vgpr_workitem_id 0
		.amdhsa_next_free_vgpr 1
		.amdhsa_next_free_sgpr 1
		.amdhsa_named_barrier_count 0
		.amdhsa_reserve_vcc 0
		.amdhsa_float_round_mode_32 0
		.amdhsa_float_round_mode_16_64 0
		.amdhsa_float_denorm_mode_32 3
		.amdhsa_float_denorm_mode_16_64 3
		.amdhsa_fp16_overflow 0
		.amdhsa_memory_ordered 1
		.amdhsa_forward_progress 1
		.amdhsa_inst_pref_size 0
		.amdhsa_round_robin_scheduling 0
		.amdhsa_exception_fp_ieee_invalid_op 0
		.amdhsa_exception_fp_denorm_src 0
		.amdhsa_exception_fp_ieee_div_zero 0
		.amdhsa_exception_fp_ieee_overflow 0
		.amdhsa_exception_fp_ieee_underflow 0
		.amdhsa_exception_fp_ieee_inexact 0
		.amdhsa_exception_int_div_zero 0
	.end_amdhsa_kernel
	.section	.text._ZN7rocprim17ROCPRIM_400000_NS6detail17trampoline_kernelINS0_14default_configENS1_38merge_sort_block_merge_config_selectorIsNS0_10empty_typeEEEZZNS1_27merge_sort_block_merge_implIS3_PsPS5_jNS1_19radix_merge_compareILb0ELb1EsNS0_19identity_decomposerEEEEE10hipError_tT0_T1_T2_jT3_P12ihipStream_tbPNSt15iterator_traitsISE_E10value_typeEPNSK_ISF_E10value_typeEPSG_NS1_7vsmem_tEENKUlT_SE_SF_SG_E_clIS8_S8_S9_S9_EESD_ST_SE_SF_SG_EUlST_E_NS1_11comp_targetILNS1_3genE3ELNS1_11target_archE908ELNS1_3gpuE7ELNS1_3repE0EEENS1_48merge_mergepath_partition_config_static_selectorELNS0_4arch9wavefront6targetE0EEEvSF_,"axG",@progbits,_ZN7rocprim17ROCPRIM_400000_NS6detail17trampoline_kernelINS0_14default_configENS1_38merge_sort_block_merge_config_selectorIsNS0_10empty_typeEEEZZNS1_27merge_sort_block_merge_implIS3_PsPS5_jNS1_19radix_merge_compareILb0ELb1EsNS0_19identity_decomposerEEEEE10hipError_tT0_T1_T2_jT3_P12ihipStream_tbPNSt15iterator_traitsISE_E10value_typeEPNSK_ISF_E10value_typeEPSG_NS1_7vsmem_tEENKUlT_SE_SF_SG_E_clIS8_S8_S9_S9_EESD_ST_SE_SF_SG_EUlST_E_NS1_11comp_targetILNS1_3genE3ELNS1_11target_archE908ELNS1_3gpuE7ELNS1_3repE0EEENS1_48merge_mergepath_partition_config_static_selectorELNS0_4arch9wavefront6targetE0EEEvSF_,comdat
.Lfunc_end675:
	.size	_ZN7rocprim17ROCPRIM_400000_NS6detail17trampoline_kernelINS0_14default_configENS1_38merge_sort_block_merge_config_selectorIsNS0_10empty_typeEEEZZNS1_27merge_sort_block_merge_implIS3_PsPS5_jNS1_19radix_merge_compareILb0ELb1EsNS0_19identity_decomposerEEEEE10hipError_tT0_T1_T2_jT3_P12ihipStream_tbPNSt15iterator_traitsISE_E10value_typeEPNSK_ISF_E10value_typeEPSG_NS1_7vsmem_tEENKUlT_SE_SF_SG_E_clIS8_S8_S9_S9_EESD_ST_SE_SF_SG_EUlST_E_NS1_11comp_targetILNS1_3genE3ELNS1_11target_archE908ELNS1_3gpuE7ELNS1_3repE0EEENS1_48merge_mergepath_partition_config_static_selectorELNS0_4arch9wavefront6targetE0EEEvSF_, .Lfunc_end675-_ZN7rocprim17ROCPRIM_400000_NS6detail17trampoline_kernelINS0_14default_configENS1_38merge_sort_block_merge_config_selectorIsNS0_10empty_typeEEEZZNS1_27merge_sort_block_merge_implIS3_PsPS5_jNS1_19radix_merge_compareILb0ELb1EsNS0_19identity_decomposerEEEEE10hipError_tT0_T1_T2_jT3_P12ihipStream_tbPNSt15iterator_traitsISE_E10value_typeEPNSK_ISF_E10value_typeEPSG_NS1_7vsmem_tEENKUlT_SE_SF_SG_E_clIS8_S8_S9_S9_EESD_ST_SE_SF_SG_EUlST_E_NS1_11comp_targetILNS1_3genE3ELNS1_11target_archE908ELNS1_3gpuE7ELNS1_3repE0EEENS1_48merge_mergepath_partition_config_static_selectorELNS0_4arch9wavefront6targetE0EEEvSF_
                                        ; -- End function
	.set _ZN7rocprim17ROCPRIM_400000_NS6detail17trampoline_kernelINS0_14default_configENS1_38merge_sort_block_merge_config_selectorIsNS0_10empty_typeEEEZZNS1_27merge_sort_block_merge_implIS3_PsPS5_jNS1_19radix_merge_compareILb0ELb1EsNS0_19identity_decomposerEEEEE10hipError_tT0_T1_T2_jT3_P12ihipStream_tbPNSt15iterator_traitsISE_E10value_typeEPNSK_ISF_E10value_typeEPSG_NS1_7vsmem_tEENKUlT_SE_SF_SG_E_clIS8_S8_S9_S9_EESD_ST_SE_SF_SG_EUlST_E_NS1_11comp_targetILNS1_3genE3ELNS1_11target_archE908ELNS1_3gpuE7ELNS1_3repE0EEENS1_48merge_mergepath_partition_config_static_selectorELNS0_4arch9wavefront6targetE0EEEvSF_.num_vgpr, 0
	.set _ZN7rocprim17ROCPRIM_400000_NS6detail17trampoline_kernelINS0_14default_configENS1_38merge_sort_block_merge_config_selectorIsNS0_10empty_typeEEEZZNS1_27merge_sort_block_merge_implIS3_PsPS5_jNS1_19radix_merge_compareILb0ELb1EsNS0_19identity_decomposerEEEEE10hipError_tT0_T1_T2_jT3_P12ihipStream_tbPNSt15iterator_traitsISE_E10value_typeEPNSK_ISF_E10value_typeEPSG_NS1_7vsmem_tEENKUlT_SE_SF_SG_E_clIS8_S8_S9_S9_EESD_ST_SE_SF_SG_EUlST_E_NS1_11comp_targetILNS1_3genE3ELNS1_11target_archE908ELNS1_3gpuE7ELNS1_3repE0EEENS1_48merge_mergepath_partition_config_static_selectorELNS0_4arch9wavefront6targetE0EEEvSF_.num_agpr, 0
	.set _ZN7rocprim17ROCPRIM_400000_NS6detail17trampoline_kernelINS0_14default_configENS1_38merge_sort_block_merge_config_selectorIsNS0_10empty_typeEEEZZNS1_27merge_sort_block_merge_implIS3_PsPS5_jNS1_19radix_merge_compareILb0ELb1EsNS0_19identity_decomposerEEEEE10hipError_tT0_T1_T2_jT3_P12ihipStream_tbPNSt15iterator_traitsISE_E10value_typeEPNSK_ISF_E10value_typeEPSG_NS1_7vsmem_tEENKUlT_SE_SF_SG_E_clIS8_S8_S9_S9_EESD_ST_SE_SF_SG_EUlST_E_NS1_11comp_targetILNS1_3genE3ELNS1_11target_archE908ELNS1_3gpuE7ELNS1_3repE0EEENS1_48merge_mergepath_partition_config_static_selectorELNS0_4arch9wavefront6targetE0EEEvSF_.numbered_sgpr, 0
	.set _ZN7rocprim17ROCPRIM_400000_NS6detail17trampoline_kernelINS0_14default_configENS1_38merge_sort_block_merge_config_selectorIsNS0_10empty_typeEEEZZNS1_27merge_sort_block_merge_implIS3_PsPS5_jNS1_19radix_merge_compareILb0ELb1EsNS0_19identity_decomposerEEEEE10hipError_tT0_T1_T2_jT3_P12ihipStream_tbPNSt15iterator_traitsISE_E10value_typeEPNSK_ISF_E10value_typeEPSG_NS1_7vsmem_tEENKUlT_SE_SF_SG_E_clIS8_S8_S9_S9_EESD_ST_SE_SF_SG_EUlST_E_NS1_11comp_targetILNS1_3genE3ELNS1_11target_archE908ELNS1_3gpuE7ELNS1_3repE0EEENS1_48merge_mergepath_partition_config_static_selectorELNS0_4arch9wavefront6targetE0EEEvSF_.num_named_barrier, 0
	.set _ZN7rocprim17ROCPRIM_400000_NS6detail17trampoline_kernelINS0_14default_configENS1_38merge_sort_block_merge_config_selectorIsNS0_10empty_typeEEEZZNS1_27merge_sort_block_merge_implIS3_PsPS5_jNS1_19radix_merge_compareILb0ELb1EsNS0_19identity_decomposerEEEEE10hipError_tT0_T1_T2_jT3_P12ihipStream_tbPNSt15iterator_traitsISE_E10value_typeEPNSK_ISF_E10value_typeEPSG_NS1_7vsmem_tEENKUlT_SE_SF_SG_E_clIS8_S8_S9_S9_EESD_ST_SE_SF_SG_EUlST_E_NS1_11comp_targetILNS1_3genE3ELNS1_11target_archE908ELNS1_3gpuE7ELNS1_3repE0EEENS1_48merge_mergepath_partition_config_static_selectorELNS0_4arch9wavefront6targetE0EEEvSF_.private_seg_size, 0
	.set _ZN7rocprim17ROCPRIM_400000_NS6detail17trampoline_kernelINS0_14default_configENS1_38merge_sort_block_merge_config_selectorIsNS0_10empty_typeEEEZZNS1_27merge_sort_block_merge_implIS3_PsPS5_jNS1_19radix_merge_compareILb0ELb1EsNS0_19identity_decomposerEEEEE10hipError_tT0_T1_T2_jT3_P12ihipStream_tbPNSt15iterator_traitsISE_E10value_typeEPNSK_ISF_E10value_typeEPSG_NS1_7vsmem_tEENKUlT_SE_SF_SG_E_clIS8_S8_S9_S9_EESD_ST_SE_SF_SG_EUlST_E_NS1_11comp_targetILNS1_3genE3ELNS1_11target_archE908ELNS1_3gpuE7ELNS1_3repE0EEENS1_48merge_mergepath_partition_config_static_selectorELNS0_4arch9wavefront6targetE0EEEvSF_.uses_vcc, 0
	.set _ZN7rocprim17ROCPRIM_400000_NS6detail17trampoline_kernelINS0_14default_configENS1_38merge_sort_block_merge_config_selectorIsNS0_10empty_typeEEEZZNS1_27merge_sort_block_merge_implIS3_PsPS5_jNS1_19radix_merge_compareILb0ELb1EsNS0_19identity_decomposerEEEEE10hipError_tT0_T1_T2_jT3_P12ihipStream_tbPNSt15iterator_traitsISE_E10value_typeEPNSK_ISF_E10value_typeEPSG_NS1_7vsmem_tEENKUlT_SE_SF_SG_E_clIS8_S8_S9_S9_EESD_ST_SE_SF_SG_EUlST_E_NS1_11comp_targetILNS1_3genE3ELNS1_11target_archE908ELNS1_3gpuE7ELNS1_3repE0EEENS1_48merge_mergepath_partition_config_static_selectorELNS0_4arch9wavefront6targetE0EEEvSF_.uses_flat_scratch, 0
	.set _ZN7rocprim17ROCPRIM_400000_NS6detail17trampoline_kernelINS0_14default_configENS1_38merge_sort_block_merge_config_selectorIsNS0_10empty_typeEEEZZNS1_27merge_sort_block_merge_implIS3_PsPS5_jNS1_19radix_merge_compareILb0ELb1EsNS0_19identity_decomposerEEEEE10hipError_tT0_T1_T2_jT3_P12ihipStream_tbPNSt15iterator_traitsISE_E10value_typeEPNSK_ISF_E10value_typeEPSG_NS1_7vsmem_tEENKUlT_SE_SF_SG_E_clIS8_S8_S9_S9_EESD_ST_SE_SF_SG_EUlST_E_NS1_11comp_targetILNS1_3genE3ELNS1_11target_archE908ELNS1_3gpuE7ELNS1_3repE0EEENS1_48merge_mergepath_partition_config_static_selectorELNS0_4arch9wavefront6targetE0EEEvSF_.has_dyn_sized_stack, 0
	.set _ZN7rocprim17ROCPRIM_400000_NS6detail17trampoline_kernelINS0_14default_configENS1_38merge_sort_block_merge_config_selectorIsNS0_10empty_typeEEEZZNS1_27merge_sort_block_merge_implIS3_PsPS5_jNS1_19radix_merge_compareILb0ELb1EsNS0_19identity_decomposerEEEEE10hipError_tT0_T1_T2_jT3_P12ihipStream_tbPNSt15iterator_traitsISE_E10value_typeEPNSK_ISF_E10value_typeEPSG_NS1_7vsmem_tEENKUlT_SE_SF_SG_E_clIS8_S8_S9_S9_EESD_ST_SE_SF_SG_EUlST_E_NS1_11comp_targetILNS1_3genE3ELNS1_11target_archE908ELNS1_3gpuE7ELNS1_3repE0EEENS1_48merge_mergepath_partition_config_static_selectorELNS0_4arch9wavefront6targetE0EEEvSF_.has_recursion, 0
	.set _ZN7rocprim17ROCPRIM_400000_NS6detail17trampoline_kernelINS0_14default_configENS1_38merge_sort_block_merge_config_selectorIsNS0_10empty_typeEEEZZNS1_27merge_sort_block_merge_implIS3_PsPS5_jNS1_19radix_merge_compareILb0ELb1EsNS0_19identity_decomposerEEEEE10hipError_tT0_T1_T2_jT3_P12ihipStream_tbPNSt15iterator_traitsISE_E10value_typeEPNSK_ISF_E10value_typeEPSG_NS1_7vsmem_tEENKUlT_SE_SF_SG_E_clIS8_S8_S9_S9_EESD_ST_SE_SF_SG_EUlST_E_NS1_11comp_targetILNS1_3genE3ELNS1_11target_archE908ELNS1_3gpuE7ELNS1_3repE0EEENS1_48merge_mergepath_partition_config_static_selectorELNS0_4arch9wavefront6targetE0EEEvSF_.has_indirect_call, 0
	.section	.AMDGPU.csdata,"",@progbits
; Kernel info:
; codeLenInByte = 0
; TotalNumSgprs: 0
; NumVgprs: 0
; ScratchSize: 0
; MemoryBound: 0
; FloatMode: 240
; IeeeMode: 1
; LDSByteSize: 0 bytes/workgroup (compile time only)
; SGPRBlocks: 0
; VGPRBlocks: 0
; NumSGPRsForWavesPerEU: 1
; NumVGPRsForWavesPerEU: 1
; NamedBarCnt: 0
; Occupancy: 16
; WaveLimiterHint : 0
; COMPUTE_PGM_RSRC2:SCRATCH_EN: 0
; COMPUTE_PGM_RSRC2:USER_SGPR: 2
; COMPUTE_PGM_RSRC2:TRAP_HANDLER: 0
; COMPUTE_PGM_RSRC2:TGID_X_EN: 1
; COMPUTE_PGM_RSRC2:TGID_Y_EN: 0
; COMPUTE_PGM_RSRC2:TGID_Z_EN: 0
; COMPUTE_PGM_RSRC2:TIDIG_COMP_CNT: 0
	.section	.text._ZN7rocprim17ROCPRIM_400000_NS6detail17trampoline_kernelINS0_14default_configENS1_38merge_sort_block_merge_config_selectorIsNS0_10empty_typeEEEZZNS1_27merge_sort_block_merge_implIS3_PsPS5_jNS1_19radix_merge_compareILb0ELb1EsNS0_19identity_decomposerEEEEE10hipError_tT0_T1_T2_jT3_P12ihipStream_tbPNSt15iterator_traitsISE_E10value_typeEPNSK_ISF_E10value_typeEPSG_NS1_7vsmem_tEENKUlT_SE_SF_SG_E_clIS8_S8_S9_S9_EESD_ST_SE_SF_SG_EUlST_E_NS1_11comp_targetILNS1_3genE2ELNS1_11target_archE906ELNS1_3gpuE6ELNS1_3repE0EEENS1_48merge_mergepath_partition_config_static_selectorELNS0_4arch9wavefront6targetE0EEEvSF_,"axG",@progbits,_ZN7rocprim17ROCPRIM_400000_NS6detail17trampoline_kernelINS0_14default_configENS1_38merge_sort_block_merge_config_selectorIsNS0_10empty_typeEEEZZNS1_27merge_sort_block_merge_implIS3_PsPS5_jNS1_19radix_merge_compareILb0ELb1EsNS0_19identity_decomposerEEEEE10hipError_tT0_T1_T2_jT3_P12ihipStream_tbPNSt15iterator_traitsISE_E10value_typeEPNSK_ISF_E10value_typeEPSG_NS1_7vsmem_tEENKUlT_SE_SF_SG_E_clIS8_S8_S9_S9_EESD_ST_SE_SF_SG_EUlST_E_NS1_11comp_targetILNS1_3genE2ELNS1_11target_archE906ELNS1_3gpuE6ELNS1_3repE0EEENS1_48merge_mergepath_partition_config_static_selectorELNS0_4arch9wavefront6targetE0EEEvSF_,comdat
	.protected	_ZN7rocprim17ROCPRIM_400000_NS6detail17trampoline_kernelINS0_14default_configENS1_38merge_sort_block_merge_config_selectorIsNS0_10empty_typeEEEZZNS1_27merge_sort_block_merge_implIS3_PsPS5_jNS1_19radix_merge_compareILb0ELb1EsNS0_19identity_decomposerEEEEE10hipError_tT0_T1_T2_jT3_P12ihipStream_tbPNSt15iterator_traitsISE_E10value_typeEPNSK_ISF_E10value_typeEPSG_NS1_7vsmem_tEENKUlT_SE_SF_SG_E_clIS8_S8_S9_S9_EESD_ST_SE_SF_SG_EUlST_E_NS1_11comp_targetILNS1_3genE2ELNS1_11target_archE906ELNS1_3gpuE6ELNS1_3repE0EEENS1_48merge_mergepath_partition_config_static_selectorELNS0_4arch9wavefront6targetE0EEEvSF_ ; -- Begin function _ZN7rocprim17ROCPRIM_400000_NS6detail17trampoline_kernelINS0_14default_configENS1_38merge_sort_block_merge_config_selectorIsNS0_10empty_typeEEEZZNS1_27merge_sort_block_merge_implIS3_PsPS5_jNS1_19radix_merge_compareILb0ELb1EsNS0_19identity_decomposerEEEEE10hipError_tT0_T1_T2_jT3_P12ihipStream_tbPNSt15iterator_traitsISE_E10value_typeEPNSK_ISF_E10value_typeEPSG_NS1_7vsmem_tEENKUlT_SE_SF_SG_E_clIS8_S8_S9_S9_EESD_ST_SE_SF_SG_EUlST_E_NS1_11comp_targetILNS1_3genE2ELNS1_11target_archE906ELNS1_3gpuE6ELNS1_3repE0EEENS1_48merge_mergepath_partition_config_static_selectorELNS0_4arch9wavefront6targetE0EEEvSF_
	.globl	_ZN7rocprim17ROCPRIM_400000_NS6detail17trampoline_kernelINS0_14default_configENS1_38merge_sort_block_merge_config_selectorIsNS0_10empty_typeEEEZZNS1_27merge_sort_block_merge_implIS3_PsPS5_jNS1_19radix_merge_compareILb0ELb1EsNS0_19identity_decomposerEEEEE10hipError_tT0_T1_T2_jT3_P12ihipStream_tbPNSt15iterator_traitsISE_E10value_typeEPNSK_ISF_E10value_typeEPSG_NS1_7vsmem_tEENKUlT_SE_SF_SG_E_clIS8_S8_S9_S9_EESD_ST_SE_SF_SG_EUlST_E_NS1_11comp_targetILNS1_3genE2ELNS1_11target_archE906ELNS1_3gpuE6ELNS1_3repE0EEENS1_48merge_mergepath_partition_config_static_selectorELNS0_4arch9wavefront6targetE0EEEvSF_
	.p2align	8
	.type	_ZN7rocprim17ROCPRIM_400000_NS6detail17trampoline_kernelINS0_14default_configENS1_38merge_sort_block_merge_config_selectorIsNS0_10empty_typeEEEZZNS1_27merge_sort_block_merge_implIS3_PsPS5_jNS1_19radix_merge_compareILb0ELb1EsNS0_19identity_decomposerEEEEE10hipError_tT0_T1_T2_jT3_P12ihipStream_tbPNSt15iterator_traitsISE_E10value_typeEPNSK_ISF_E10value_typeEPSG_NS1_7vsmem_tEENKUlT_SE_SF_SG_E_clIS8_S8_S9_S9_EESD_ST_SE_SF_SG_EUlST_E_NS1_11comp_targetILNS1_3genE2ELNS1_11target_archE906ELNS1_3gpuE6ELNS1_3repE0EEENS1_48merge_mergepath_partition_config_static_selectorELNS0_4arch9wavefront6targetE0EEEvSF_,@function
_ZN7rocprim17ROCPRIM_400000_NS6detail17trampoline_kernelINS0_14default_configENS1_38merge_sort_block_merge_config_selectorIsNS0_10empty_typeEEEZZNS1_27merge_sort_block_merge_implIS3_PsPS5_jNS1_19radix_merge_compareILb0ELb1EsNS0_19identity_decomposerEEEEE10hipError_tT0_T1_T2_jT3_P12ihipStream_tbPNSt15iterator_traitsISE_E10value_typeEPNSK_ISF_E10value_typeEPSG_NS1_7vsmem_tEENKUlT_SE_SF_SG_E_clIS8_S8_S9_S9_EESD_ST_SE_SF_SG_EUlST_E_NS1_11comp_targetILNS1_3genE2ELNS1_11target_archE906ELNS1_3gpuE6ELNS1_3repE0EEENS1_48merge_mergepath_partition_config_static_selectorELNS0_4arch9wavefront6targetE0EEEvSF_: ; @_ZN7rocprim17ROCPRIM_400000_NS6detail17trampoline_kernelINS0_14default_configENS1_38merge_sort_block_merge_config_selectorIsNS0_10empty_typeEEEZZNS1_27merge_sort_block_merge_implIS3_PsPS5_jNS1_19radix_merge_compareILb0ELb1EsNS0_19identity_decomposerEEEEE10hipError_tT0_T1_T2_jT3_P12ihipStream_tbPNSt15iterator_traitsISE_E10value_typeEPNSK_ISF_E10value_typeEPSG_NS1_7vsmem_tEENKUlT_SE_SF_SG_E_clIS8_S8_S9_S9_EESD_ST_SE_SF_SG_EUlST_E_NS1_11comp_targetILNS1_3genE2ELNS1_11target_archE906ELNS1_3gpuE6ELNS1_3repE0EEENS1_48merge_mergepath_partition_config_static_selectorELNS0_4arch9wavefront6targetE0EEEvSF_
; %bb.0:
	.section	.rodata,"a",@progbits
	.p2align	6, 0x0
	.amdhsa_kernel _ZN7rocprim17ROCPRIM_400000_NS6detail17trampoline_kernelINS0_14default_configENS1_38merge_sort_block_merge_config_selectorIsNS0_10empty_typeEEEZZNS1_27merge_sort_block_merge_implIS3_PsPS5_jNS1_19radix_merge_compareILb0ELb1EsNS0_19identity_decomposerEEEEE10hipError_tT0_T1_T2_jT3_P12ihipStream_tbPNSt15iterator_traitsISE_E10value_typeEPNSK_ISF_E10value_typeEPSG_NS1_7vsmem_tEENKUlT_SE_SF_SG_E_clIS8_S8_S9_S9_EESD_ST_SE_SF_SG_EUlST_E_NS1_11comp_targetILNS1_3genE2ELNS1_11target_archE906ELNS1_3gpuE6ELNS1_3repE0EEENS1_48merge_mergepath_partition_config_static_selectorELNS0_4arch9wavefront6targetE0EEEvSF_
		.amdhsa_group_segment_fixed_size 0
		.amdhsa_private_segment_fixed_size 0
		.amdhsa_kernarg_size 40
		.amdhsa_user_sgpr_count 2
		.amdhsa_user_sgpr_dispatch_ptr 0
		.amdhsa_user_sgpr_queue_ptr 0
		.amdhsa_user_sgpr_kernarg_segment_ptr 1
		.amdhsa_user_sgpr_dispatch_id 0
		.amdhsa_user_sgpr_kernarg_preload_length 0
		.amdhsa_user_sgpr_kernarg_preload_offset 0
		.amdhsa_user_sgpr_private_segment_size 0
		.amdhsa_wavefront_size32 1
		.amdhsa_uses_dynamic_stack 0
		.amdhsa_enable_private_segment 0
		.amdhsa_system_sgpr_workgroup_id_x 1
		.amdhsa_system_sgpr_workgroup_id_y 0
		.amdhsa_system_sgpr_workgroup_id_z 0
		.amdhsa_system_sgpr_workgroup_info 0
		.amdhsa_system_vgpr_workitem_id 0
		.amdhsa_next_free_vgpr 1
		.amdhsa_next_free_sgpr 1
		.amdhsa_named_barrier_count 0
		.amdhsa_reserve_vcc 0
		.amdhsa_float_round_mode_32 0
		.amdhsa_float_round_mode_16_64 0
		.amdhsa_float_denorm_mode_32 3
		.amdhsa_float_denorm_mode_16_64 3
		.amdhsa_fp16_overflow 0
		.amdhsa_memory_ordered 1
		.amdhsa_forward_progress 1
		.amdhsa_inst_pref_size 0
		.amdhsa_round_robin_scheduling 0
		.amdhsa_exception_fp_ieee_invalid_op 0
		.amdhsa_exception_fp_denorm_src 0
		.amdhsa_exception_fp_ieee_div_zero 0
		.amdhsa_exception_fp_ieee_overflow 0
		.amdhsa_exception_fp_ieee_underflow 0
		.amdhsa_exception_fp_ieee_inexact 0
		.amdhsa_exception_int_div_zero 0
	.end_amdhsa_kernel
	.section	.text._ZN7rocprim17ROCPRIM_400000_NS6detail17trampoline_kernelINS0_14default_configENS1_38merge_sort_block_merge_config_selectorIsNS0_10empty_typeEEEZZNS1_27merge_sort_block_merge_implIS3_PsPS5_jNS1_19radix_merge_compareILb0ELb1EsNS0_19identity_decomposerEEEEE10hipError_tT0_T1_T2_jT3_P12ihipStream_tbPNSt15iterator_traitsISE_E10value_typeEPNSK_ISF_E10value_typeEPSG_NS1_7vsmem_tEENKUlT_SE_SF_SG_E_clIS8_S8_S9_S9_EESD_ST_SE_SF_SG_EUlST_E_NS1_11comp_targetILNS1_3genE2ELNS1_11target_archE906ELNS1_3gpuE6ELNS1_3repE0EEENS1_48merge_mergepath_partition_config_static_selectorELNS0_4arch9wavefront6targetE0EEEvSF_,"axG",@progbits,_ZN7rocprim17ROCPRIM_400000_NS6detail17trampoline_kernelINS0_14default_configENS1_38merge_sort_block_merge_config_selectorIsNS0_10empty_typeEEEZZNS1_27merge_sort_block_merge_implIS3_PsPS5_jNS1_19radix_merge_compareILb0ELb1EsNS0_19identity_decomposerEEEEE10hipError_tT0_T1_T2_jT3_P12ihipStream_tbPNSt15iterator_traitsISE_E10value_typeEPNSK_ISF_E10value_typeEPSG_NS1_7vsmem_tEENKUlT_SE_SF_SG_E_clIS8_S8_S9_S9_EESD_ST_SE_SF_SG_EUlST_E_NS1_11comp_targetILNS1_3genE2ELNS1_11target_archE906ELNS1_3gpuE6ELNS1_3repE0EEENS1_48merge_mergepath_partition_config_static_selectorELNS0_4arch9wavefront6targetE0EEEvSF_,comdat
.Lfunc_end676:
	.size	_ZN7rocprim17ROCPRIM_400000_NS6detail17trampoline_kernelINS0_14default_configENS1_38merge_sort_block_merge_config_selectorIsNS0_10empty_typeEEEZZNS1_27merge_sort_block_merge_implIS3_PsPS5_jNS1_19radix_merge_compareILb0ELb1EsNS0_19identity_decomposerEEEEE10hipError_tT0_T1_T2_jT3_P12ihipStream_tbPNSt15iterator_traitsISE_E10value_typeEPNSK_ISF_E10value_typeEPSG_NS1_7vsmem_tEENKUlT_SE_SF_SG_E_clIS8_S8_S9_S9_EESD_ST_SE_SF_SG_EUlST_E_NS1_11comp_targetILNS1_3genE2ELNS1_11target_archE906ELNS1_3gpuE6ELNS1_3repE0EEENS1_48merge_mergepath_partition_config_static_selectorELNS0_4arch9wavefront6targetE0EEEvSF_, .Lfunc_end676-_ZN7rocprim17ROCPRIM_400000_NS6detail17trampoline_kernelINS0_14default_configENS1_38merge_sort_block_merge_config_selectorIsNS0_10empty_typeEEEZZNS1_27merge_sort_block_merge_implIS3_PsPS5_jNS1_19radix_merge_compareILb0ELb1EsNS0_19identity_decomposerEEEEE10hipError_tT0_T1_T2_jT3_P12ihipStream_tbPNSt15iterator_traitsISE_E10value_typeEPNSK_ISF_E10value_typeEPSG_NS1_7vsmem_tEENKUlT_SE_SF_SG_E_clIS8_S8_S9_S9_EESD_ST_SE_SF_SG_EUlST_E_NS1_11comp_targetILNS1_3genE2ELNS1_11target_archE906ELNS1_3gpuE6ELNS1_3repE0EEENS1_48merge_mergepath_partition_config_static_selectorELNS0_4arch9wavefront6targetE0EEEvSF_
                                        ; -- End function
	.set _ZN7rocprim17ROCPRIM_400000_NS6detail17trampoline_kernelINS0_14default_configENS1_38merge_sort_block_merge_config_selectorIsNS0_10empty_typeEEEZZNS1_27merge_sort_block_merge_implIS3_PsPS5_jNS1_19radix_merge_compareILb0ELb1EsNS0_19identity_decomposerEEEEE10hipError_tT0_T1_T2_jT3_P12ihipStream_tbPNSt15iterator_traitsISE_E10value_typeEPNSK_ISF_E10value_typeEPSG_NS1_7vsmem_tEENKUlT_SE_SF_SG_E_clIS8_S8_S9_S9_EESD_ST_SE_SF_SG_EUlST_E_NS1_11comp_targetILNS1_3genE2ELNS1_11target_archE906ELNS1_3gpuE6ELNS1_3repE0EEENS1_48merge_mergepath_partition_config_static_selectorELNS0_4arch9wavefront6targetE0EEEvSF_.num_vgpr, 0
	.set _ZN7rocprim17ROCPRIM_400000_NS6detail17trampoline_kernelINS0_14default_configENS1_38merge_sort_block_merge_config_selectorIsNS0_10empty_typeEEEZZNS1_27merge_sort_block_merge_implIS3_PsPS5_jNS1_19radix_merge_compareILb0ELb1EsNS0_19identity_decomposerEEEEE10hipError_tT0_T1_T2_jT3_P12ihipStream_tbPNSt15iterator_traitsISE_E10value_typeEPNSK_ISF_E10value_typeEPSG_NS1_7vsmem_tEENKUlT_SE_SF_SG_E_clIS8_S8_S9_S9_EESD_ST_SE_SF_SG_EUlST_E_NS1_11comp_targetILNS1_3genE2ELNS1_11target_archE906ELNS1_3gpuE6ELNS1_3repE0EEENS1_48merge_mergepath_partition_config_static_selectorELNS0_4arch9wavefront6targetE0EEEvSF_.num_agpr, 0
	.set _ZN7rocprim17ROCPRIM_400000_NS6detail17trampoline_kernelINS0_14default_configENS1_38merge_sort_block_merge_config_selectorIsNS0_10empty_typeEEEZZNS1_27merge_sort_block_merge_implIS3_PsPS5_jNS1_19radix_merge_compareILb0ELb1EsNS0_19identity_decomposerEEEEE10hipError_tT0_T1_T2_jT3_P12ihipStream_tbPNSt15iterator_traitsISE_E10value_typeEPNSK_ISF_E10value_typeEPSG_NS1_7vsmem_tEENKUlT_SE_SF_SG_E_clIS8_S8_S9_S9_EESD_ST_SE_SF_SG_EUlST_E_NS1_11comp_targetILNS1_3genE2ELNS1_11target_archE906ELNS1_3gpuE6ELNS1_3repE0EEENS1_48merge_mergepath_partition_config_static_selectorELNS0_4arch9wavefront6targetE0EEEvSF_.numbered_sgpr, 0
	.set _ZN7rocprim17ROCPRIM_400000_NS6detail17trampoline_kernelINS0_14default_configENS1_38merge_sort_block_merge_config_selectorIsNS0_10empty_typeEEEZZNS1_27merge_sort_block_merge_implIS3_PsPS5_jNS1_19radix_merge_compareILb0ELb1EsNS0_19identity_decomposerEEEEE10hipError_tT0_T1_T2_jT3_P12ihipStream_tbPNSt15iterator_traitsISE_E10value_typeEPNSK_ISF_E10value_typeEPSG_NS1_7vsmem_tEENKUlT_SE_SF_SG_E_clIS8_S8_S9_S9_EESD_ST_SE_SF_SG_EUlST_E_NS1_11comp_targetILNS1_3genE2ELNS1_11target_archE906ELNS1_3gpuE6ELNS1_3repE0EEENS1_48merge_mergepath_partition_config_static_selectorELNS0_4arch9wavefront6targetE0EEEvSF_.num_named_barrier, 0
	.set _ZN7rocprim17ROCPRIM_400000_NS6detail17trampoline_kernelINS0_14default_configENS1_38merge_sort_block_merge_config_selectorIsNS0_10empty_typeEEEZZNS1_27merge_sort_block_merge_implIS3_PsPS5_jNS1_19radix_merge_compareILb0ELb1EsNS0_19identity_decomposerEEEEE10hipError_tT0_T1_T2_jT3_P12ihipStream_tbPNSt15iterator_traitsISE_E10value_typeEPNSK_ISF_E10value_typeEPSG_NS1_7vsmem_tEENKUlT_SE_SF_SG_E_clIS8_S8_S9_S9_EESD_ST_SE_SF_SG_EUlST_E_NS1_11comp_targetILNS1_3genE2ELNS1_11target_archE906ELNS1_3gpuE6ELNS1_3repE0EEENS1_48merge_mergepath_partition_config_static_selectorELNS0_4arch9wavefront6targetE0EEEvSF_.private_seg_size, 0
	.set _ZN7rocprim17ROCPRIM_400000_NS6detail17trampoline_kernelINS0_14default_configENS1_38merge_sort_block_merge_config_selectorIsNS0_10empty_typeEEEZZNS1_27merge_sort_block_merge_implIS3_PsPS5_jNS1_19radix_merge_compareILb0ELb1EsNS0_19identity_decomposerEEEEE10hipError_tT0_T1_T2_jT3_P12ihipStream_tbPNSt15iterator_traitsISE_E10value_typeEPNSK_ISF_E10value_typeEPSG_NS1_7vsmem_tEENKUlT_SE_SF_SG_E_clIS8_S8_S9_S9_EESD_ST_SE_SF_SG_EUlST_E_NS1_11comp_targetILNS1_3genE2ELNS1_11target_archE906ELNS1_3gpuE6ELNS1_3repE0EEENS1_48merge_mergepath_partition_config_static_selectorELNS0_4arch9wavefront6targetE0EEEvSF_.uses_vcc, 0
	.set _ZN7rocprim17ROCPRIM_400000_NS6detail17trampoline_kernelINS0_14default_configENS1_38merge_sort_block_merge_config_selectorIsNS0_10empty_typeEEEZZNS1_27merge_sort_block_merge_implIS3_PsPS5_jNS1_19radix_merge_compareILb0ELb1EsNS0_19identity_decomposerEEEEE10hipError_tT0_T1_T2_jT3_P12ihipStream_tbPNSt15iterator_traitsISE_E10value_typeEPNSK_ISF_E10value_typeEPSG_NS1_7vsmem_tEENKUlT_SE_SF_SG_E_clIS8_S8_S9_S9_EESD_ST_SE_SF_SG_EUlST_E_NS1_11comp_targetILNS1_3genE2ELNS1_11target_archE906ELNS1_3gpuE6ELNS1_3repE0EEENS1_48merge_mergepath_partition_config_static_selectorELNS0_4arch9wavefront6targetE0EEEvSF_.uses_flat_scratch, 0
	.set _ZN7rocprim17ROCPRIM_400000_NS6detail17trampoline_kernelINS0_14default_configENS1_38merge_sort_block_merge_config_selectorIsNS0_10empty_typeEEEZZNS1_27merge_sort_block_merge_implIS3_PsPS5_jNS1_19radix_merge_compareILb0ELb1EsNS0_19identity_decomposerEEEEE10hipError_tT0_T1_T2_jT3_P12ihipStream_tbPNSt15iterator_traitsISE_E10value_typeEPNSK_ISF_E10value_typeEPSG_NS1_7vsmem_tEENKUlT_SE_SF_SG_E_clIS8_S8_S9_S9_EESD_ST_SE_SF_SG_EUlST_E_NS1_11comp_targetILNS1_3genE2ELNS1_11target_archE906ELNS1_3gpuE6ELNS1_3repE0EEENS1_48merge_mergepath_partition_config_static_selectorELNS0_4arch9wavefront6targetE0EEEvSF_.has_dyn_sized_stack, 0
	.set _ZN7rocprim17ROCPRIM_400000_NS6detail17trampoline_kernelINS0_14default_configENS1_38merge_sort_block_merge_config_selectorIsNS0_10empty_typeEEEZZNS1_27merge_sort_block_merge_implIS3_PsPS5_jNS1_19radix_merge_compareILb0ELb1EsNS0_19identity_decomposerEEEEE10hipError_tT0_T1_T2_jT3_P12ihipStream_tbPNSt15iterator_traitsISE_E10value_typeEPNSK_ISF_E10value_typeEPSG_NS1_7vsmem_tEENKUlT_SE_SF_SG_E_clIS8_S8_S9_S9_EESD_ST_SE_SF_SG_EUlST_E_NS1_11comp_targetILNS1_3genE2ELNS1_11target_archE906ELNS1_3gpuE6ELNS1_3repE0EEENS1_48merge_mergepath_partition_config_static_selectorELNS0_4arch9wavefront6targetE0EEEvSF_.has_recursion, 0
	.set _ZN7rocprim17ROCPRIM_400000_NS6detail17trampoline_kernelINS0_14default_configENS1_38merge_sort_block_merge_config_selectorIsNS0_10empty_typeEEEZZNS1_27merge_sort_block_merge_implIS3_PsPS5_jNS1_19radix_merge_compareILb0ELb1EsNS0_19identity_decomposerEEEEE10hipError_tT0_T1_T2_jT3_P12ihipStream_tbPNSt15iterator_traitsISE_E10value_typeEPNSK_ISF_E10value_typeEPSG_NS1_7vsmem_tEENKUlT_SE_SF_SG_E_clIS8_S8_S9_S9_EESD_ST_SE_SF_SG_EUlST_E_NS1_11comp_targetILNS1_3genE2ELNS1_11target_archE906ELNS1_3gpuE6ELNS1_3repE0EEENS1_48merge_mergepath_partition_config_static_selectorELNS0_4arch9wavefront6targetE0EEEvSF_.has_indirect_call, 0
	.section	.AMDGPU.csdata,"",@progbits
; Kernel info:
; codeLenInByte = 0
; TotalNumSgprs: 0
; NumVgprs: 0
; ScratchSize: 0
; MemoryBound: 0
; FloatMode: 240
; IeeeMode: 1
; LDSByteSize: 0 bytes/workgroup (compile time only)
; SGPRBlocks: 0
; VGPRBlocks: 0
; NumSGPRsForWavesPerEU: 1
; NumVGPRsForWavesPerEU: 1
; NamedBarCnt: 0
; Occupancy: 16
; WaveLimiterHint : 0
; COMPUTE_PGM_RSRC2:SCRATCH_EN: 0
; COMPUTE_PGM_RSRC2:USER_SGPR: 2
; COMPUTE_PGM_RSRC2:TRAP_HANDLER: 0
; COMPUTE_PGM_RSRC2:TGID_X_EN: 1
; COMPUTE_PGM_RSRC2:TGID_Y_EN: 0
; COMPUTE_PGM_RSRC2:TGID_Z_EN: 0
; COMPUTE_PGM_RSRC2:TIDIG_COMP_CNT: 0
	.section	.text._ZN7rocprim17ROCPRIM_400000_NS6detail17trampoline_kernelINS0_14default_configENS1_38merge_sort_block_merge_config_selectorIsNS0_10empty_typeEEEZZNS1_27merge_sort_block_merge_implIS3_PsPS5_jNS1_19radix_merge_compareILb0ELb1EsNS0_19identity_decomposerEEEEE10hipError_tT0_T1_T2_jT3_P12ihipStream_tbPNSt15iterator_traitsISE_E10value_typeEPNSK_ISF_E10value_typeEPSG_NS1_7vsmem_tEENKUlT_SE_SF_SG_E_clIS8_S8_S9_S9_EESD_ST_SE_SF_SG_EUlST_E_NS1_11comp_targetILNS1_3genE9ELNS1_11target_archE1100ELNS1_3gpuE3ELNS1_3repE0EEENS1_48merge_mergepath_partition_config_static_selectorELNS0_4arch9wavefront6targetE0EEEvSF_,"axG",@progbits,_ZN7rocprim17ROCPRIM_400000_NS6detail17trampoline_kernelINS0_14default_configENS1_38merge_sort_block_merge_config_selectorIsNS0_10empty_typeEEEZZNS1_27merge_sort_block_merge_implIS3_PsPS5_jNS1_19radix_merge_compareILb0ELb1EsNS0_19identity_decomposerEEEEE10hipError_tT0_T1_T2_jT3_P12ihipStream_tbPNSt15iterator_traitsISE_E10value_typeEPNSK_ISF_E10value_typeEPSG_NS1_7vsmem_tEENKUlT_SE_SF_SG_E_clIS8_S8_S9_S9_EESD_ST_SE_SF_SG_EUlST_E_NS1_11comp_targetILNS1_3genE9ELNS1_11target_archE1100ELNS1_3gpuE3ELNS1_3repE0EEENS1_48merge_mergepath_partition_config_static_selectorELNS0_4arch9wavefront6targetE0EEEvSF_,comdat
	.protected	_ZN7rocprim17ROCPRIM_400000_NS6detail17trampoline_kernelINS0_14default_configENS1_38merge_sort_block_merge_config_selectorIsNS0_10empty_typeEEEZZNS1_27merge_sort_block_merge_implIS3_PsPS5_jNS1_19radix_merge_compareILb0ELb1EsNS0_19identity_decomposerEEEEE10hipError_tT0_T1_T2_jT3_P12ihipStream_tbPNSt15iterator_traitsISE_E10value_typeEPNSK_ISF_E10value_typeEPSG_NS1_7vsmem_tEENKUlT_SE_SF_SG_E_clIS8_S8_S9_S9_EESD_ST_SE_SF_SG_EUlST_E_NS1_11comp_targetILNS1_3genE9ELNS1_11target_archE1100ELNS1_3gpuE3ELNS1_3repE0EEENS1_48merge_mergepath_partition_config_static_selectorELNS0_4arch9wavefront6targetE0EEEvSF_ ; -- Begin function _ZN7rocprim17ROCPRIM_400000_NS6detail17trampoline_kernelINS0_14default_configENS1_38merge_sort_block_merge_config_selectorIsNS0_10empty_typeEEEZZNS1_27merge_sort_block_merge_implIS3_PsPS5_jNS1_19radix_merge_compareILb0ELb1EsNS0_19identity_decomposerEEEEE10hipError_tT0_T1_T2_jT3_P12ihipStream_tbPNSt15iterator_traitsISE_E10value_typeEPNSK_ISF_E10value_typeEPSG_NS1_7vsmem_tEENKUlT_SE_SF_SG_E_clIS8_S8_S9_S9_EESD_ST_SE_SF_SG_EUlST_E_NS1_11comp_targetILNS1_3genE9ELNS1_11target_archE1100ELNS1_3gpuE3ELNS1_3repE0EEENS1_48merge_mergepath_partition_config_static_selectorELNS0_4arch9wavefront6targetE0EEEvSF_
	.globl	_ZN7rocprim17ROCPRIM_400000_NS6detail17trampoline_kernelINS0_14default_configENS1_38merge_sort_block_merge_config_selectorIsNS0_10empty_typeEEEZZNS1_27merge_sort_block_merge_implIS3_PsPS5_jNS1_19radix_merge_compareILb0ELb1EsNS0_19identity_decomposerEEEEE10hipError_tT0_T1_T2_jT3_P12ihipStream_tbPNSt15iterator_traitsISE_E10value_typeEPNSK_ISF_E10value_typeEPSG_NS1_7vsmem_tEENKUlT_SE_SF_SG_E_clIS8_S8_S9_S9_EESD_ST_SE_SF_SG_EUlST_E_NS1_11comp_targetILNS1_3genE9ELNS1_11target_archE1100ELNS1_3gpuE3ELNS1_3repE0EEENS1_48merge_mergepath_partition_config_static_selectorELNS0_4arch9wavefront6targetE0EEEvSF_
	.p2align	8
	.type	_ZN7rocprim17ROCPRIM_400000_NS6detail17trampoline_kernelINS0_14default_configENS1_38merge_sort_block_merge_config_selectorIsNS0_10empty_typeEEEZZNS1_27merge_sort_block_merge_implIS3_PsPS5_jNS1_19radix_merge_compareILb0ELb1EsNS0_19identity_decomposerEEEEE10hipError_tT0_T1_T2_jT3_P12ihipStream_tbPNSt15iterator_traitsISE_E10value_typeEPNSK_ISF_E10value_typeEPSG_NS1_7vsmem_tEENKUlT_SE_SF_SG_E_clIS8_S8_S9_S9_EESD_ST_SE_SF_SG_EUlST_E_NS1_11comp_targetILNS1_3genE9ELNS1_11target_archE1100ELNS1_3gpuE3ELNS1_3repE0EEENS1_48merge_mergepath_partition_config_static_selectorELNS0_4arch9wavefront6targetE0EEEvSF_,@function
_ZN7rocprim17ROCPRIM_400000_NS6detail17trampoline_kernelINS0_14default_configENS1_38merge_sort_block_merge_config_selectorIsNS0_10empty_typeEEEZZNS1_27merge_sort_block_merge_implIS3_PsPS5_jNS1_19radix_merge_compareILb0ELb1EsNS0_19identity_decomposerEEEEE10hipError_tT0_T1_T2_jT3_P12ihipStream_tbPNSt15iterator_traitsISE_E10value_typeEPNSK_ISF_E10value_typeEPSG_NS1_7vsmem_tEENKUlT_SE_SF_SG_E_clIS8_S8_S9_S9_EESD_ST_SE_SF_SG_EUlST_E_NS1_11comp_targetILNS1_3genE9ELNS1_11target_archE1100ELNS1_3gpuE3ELNS1_3repE0EEENS1_48merge_mergepath_partition_config_static_selectorELNS0_4arch9wavefront6targetE0EEEvSF_: ; @_ZN7rocprim17ROCPRIM_400000_NS6detail17trampoline_kernelINS0_14default_configENS1_38merge_sort_block_merge_config_selectorIsNS0_10empty_typeEEEZZNS1_27merge_sort_block_merge_implIS3_PsPS5_jNS1_19radix_merge_compareILb0ELb1EsNS0_19identity_decomposerEEEEE10hipError_tT0_T1_T2_jT3_P12ihipStream_tbPNSt15iterator_traitsISE_E10value_typeEPNSK_ISF_E10value_typeEPSG_NS1_7vsmem_tEENKUlT_SE_SF_SG_E_clIS8_S8_S9_S9_EESD_ST_SE_SF_SG_EUlST_E_NS1_11comp_targetILNS1_3genE9ELNS1_11target_archE1100ELNS1_3gpuE3ELNS1_3repE0EEENS1_48merge_mergepath_partition_config_static_selectorELNS0_4arch9wavefront6targetE0EEEvSF_
; %bb.0:
	.section	.rodata,"a",@progbits
	.p2align	6, 0x0
	.amdhsa_kernel _ZN7rocprim17ROCPRIM_400000_NS6detail17trampoline_kernelINS0_14default_configENS1_38merge_sort_block_merge_config_selectorIsNS0_10empty_typeEEEZZNS1_27merge_sort_block_merge_implIS3_PsPS5_jNS1_19radix_merge_compareILb0ELb1EsNS0_19identity_decomposerEEEEE10hipError_tT0_T1_T2_jT3_P12ihipStream_tbPNSt15iterator_traitsISE_E10value_typeEPNSK_ISF_E10value_typeEPSG_NS1_7vsmem_tEENKUlT_SE_SF_SG_E_clIS8_S8_S9_S9_EESD_ST_SE_SF_SG_EUlST_E_NS1_11comp_targetILNS1_3genE9ELNS1_11target_archE1100ELNS1_3gpuE3ELNS1_3repE0EEENS1_48merge_mergepath_partition_config_static_selectorELNS0_4arch9wavefront6targetE0EEEvSF_
		.amdhsa_group_segment_fixed_size 0
		.amdhsa_private_segment_fixed_size 0
		.amdhsa_kernarg_size 40
		.amdhsa_user_sgpr_count 2
		.amdhsa_user_sgpr_dispatch_ptr 0
		.amdhsa_user_sgpr_queue_ptr 0
		.amdhsa_user_sgpr_kernarg_segment_ptr 1
		.amdhsa_user_sgpr_dispatch_id 0
		.amdhsa_user_sgpr_kernarg_preload_length 0
		.amdhsa_user_sgpr_kernarg_preload_offset 0
		.amdhsa_user_sgpr_private_segment_size 0
		.amdhsa_wavefront_size32 1
		.amdhsa_uses_dynamic_stack 0
		.amdhsa_enable_private_segment 0
		.amdhsa_system_sgpr_workgroup_id_x 1
		.amdhsa_system_sgpr_workgroup_id_y 0
		.amdhsa_system_sgpr_workgroup_id_z 0
		.amdhsa_system_sgpr_workgroup_info 0
		.amdhsa_system_vgpr_workitem_id 0
		.amdhsa_next_free_vgpr 1
		.amdhsa_next_free_sgpr 1
		.amdhsa_named_barrier_count 0
		.amdhsa_reserve_vcc 0
		.amdhsa_float_round_mode_32 0
		.amdhsa_float_round_mode_16_64 0
		.amdhsa_float_denorm_mode_32 3
		.amdhsa_float_denorm_mode_16_64 3
		.amdhsa_fp16_overflow 0
		.amdhsa_memory_ordered 1
		.amdhsa_forward_progress 1
		.amdhsa_inst_pref_size 0
		.amdhsa_round_robin_scheduling 0
		.amdhsa_exception_fp_ieee_invalid_op 0
		.amdhsa_exception_fp_denorm_src 0
		.amdhsa_exception_fp_ieee_div_zero 0
		.amdhsa_exception_fp_ieee_overflow 0
		.amdhsa_exception_fp_ieee_underflow 0
		.amdhsa_exception_fp_ieee_inexact 0
		.amdhsa_exception_int_div_zero 0
	.end_amdhsa_kernel
	.section	.text._ZN7rocprim17ROCPRIM_400000_NS6detail17trampoline_kernelINS0_14default_configENS1_38merge_sort_block_merge_config_selectorIsNS0_10empty_typeEEEZZNS1_27merge_sort_block_merge_implIS3_PsPS5_jNS1_19radix_merge_compareILb0ELb1EsNS0_19identity_decomposerEEEEE10hipError_tT0_T1_T2_jT3_P12ihipStream_tbPNSt15iterator_traitsISE_E10value_typeEPNSK_ISF_E10value_typeEPSG_NS1_7vsmem_tEENKUlT_SE_SF_SG_E_clIS8_S8_S9_S9_EESD_ST_SE_SF_SG_EUlST_E_NS1_11comp_targetILNS1_3genE9ELNS1_11target_archE1100ELNS1_3gpuE3ELNS1_3repE0EEENS1_48merge_mergepath_partition_config_static_selectorELNS0_4arch9wavefront6targetE0EEEvSF_,"axG",@progbits,_ZN7rocprim17ROCPRIM_400000_NS6detail17trampoline_kernelINS0_14default_configENS1_38merge_sort_block_merge_config_selectorIsNS0_10empty_typeEEEZZNS1_27merge_sort_block_merge_implIS3_PsPS5_jNS1_19radix_merge_compareILb0ELb1EsNS0_19identity_decomposerEEEEE10hipError_tT0_T1_T2_jT3_P12ihipStream_tbPNSt15iterator_traitsISE_E10value_typeEPNSK_ISF_E10value_typeEPSG_NS1_7vsmem_tEENKUlT_SE_SF_SG_E_clIS8_S8_S9_S9_EESD_ST_SE_SF_SG_EUlST_E_NS1_11comp_targetILNS1_3genE9ELNS1_11target_archE1100ELNS1_3gpuE3ELNS1_3repE0EEENS1_48merge_mergepath_partition_config_static_selectorELNS0_4arch9wavefront6targetE0EEEvSF_,comdat
.Lfunc_end677:
	.size	_ZN7rocprim17ROCPRIM_400000_NS6detail17trampoline_kernelINS0_14default_configENS1_38merge_sort_block_merge_config_selectorIsNS0_10empty_typeEEEZZNS1_27merge_sort_block_merge_implIS3_PsPS5_jNS1_19radix_merge_compareILb0ELb1EsNS0_19identity_decomposerEEEEE10hipError_tT0_T1_T2_jT3_P12ihipStream_tbPNSt15iterator_traitsISE_E10value_typeEPNSK_ISF_E10value_typeEPSG_NS1_7vsmem_tEENKUlT_SE_SF_SG_E_clIS8_S8_S9_S9_EESD_ST_SE_SF_SG_EUlST_E_NS1_11comp_targetILNS1_3genE9ELNS1_11target_archE1100ELNS1_3gpuE3ELNS1_3repE0EEENS1_48merge_mergepath_partition_config_static_selectorELNS0_4arch9wavefront6targetE0EEEvSF_, .Lfunc_end677-_ZN7rocprim17ROCPRIM_400000_NS6detail17trampoline_kernelINS0_14default_configENS1_38merge_sort_block_merge_config_selectorIsNS0_10empty_typeEEEZZNS1_27merge_sort_block_merge_implIS3_PsPS5_jNS1_19radix_merge_compareILb0ELb1EsNS0_19identity_decomposerEEEEE10hipError_tT0_T1_T2_jT3_P12ihipStream_tbPNSt15iterator_traitsISE_E10value_typeEPNSK_ISF_E10value_typeEPSG_NS1_7vsmem_tEENKUlT_SE_SF_SG_E_clIS8_S8_S9_S9_EESD_ST_SE_SF_SG_EUlST_E_NS1_11comp_targetILNS1_3genE9ELNS1_11target_archE1100ELNS1_3gpuE3ELNS1_3repE0EEENS1_48merge_mergepath_partition_config_static_selectorELNS0_4arch9wavefront6targetE0EEEvSF_
                                        ; -- End function
	.set _ZN7rocprim17ROCPRIM_400000_NS6detail17trampoline_kernelINS0_14default_configENS1_38merge_sort_block_merge_config_selectorIsNS0_10empty_typeEEEZZNS1_27merge_sort_block_merge_implIS3_PsPS5_jNS1_19radix_merge_compareILb0ELb1EsNS0_19identity_decomposerEEEEE10hipError_tT0_T1_T2_jT3_P12ihipStream_tbPNSt15iterator_traitsISE_E10value_typeEPNSK_ISF_E10value_typeEPSG_NS1_7vsmem_tEENKUlT_SE_SF_SG_E_clIS8_S8_S9_S9_EESD_ST_SE_SF_SG_EUlST_E_NS1_11comp_targetILNS1_3genE9ELNS1_11target_archE1100ELNS1_3gpuE3ELNS1_3repE0EEENS1_48merge_mergepath_partition_config_static_selectorELNS0_4arch9wavefront6targetE0EEEvSF_.num_vgpr, 0
	.set _ZN7rocprim17ROCPRIM_400000_NS6detail17trampoline_kernelINS0_14default_configENS1_38merge_sort_block_merge_config_selectorIsNS0_10empty_typeEEEZZNS1_27merge_sort_block_merge_implIS3_PsPS5_jNS1_19radix_merge_compareILb0ELb1EsNS0_19identity_decomposerEEEEE10hipError_tT0_T1_T2_jT3_P12ihipStream_tbPNSt15iterator_traitsISE_E10value_typeEPNSK_ISF_E10value_typeEPSG_NS1_7vsmem_tEENKUlT_SE_SF_SG_E_clIS8_S8_S9_S9_EESD_ST_SE_SF_SG_EUlST_E_NS1_11comp_targetILNS1_3genE9ELNS1_11target_archE1100ELNS1_3gpuE3ELNS1_3repE0EEENS1_48merge_mergepath_partition_config_static_selectorELNS0_4arch9wavefront6targetE0EEEvSF_.num_agpr, 0
	.set _ZN7rocprim17ROCPRIM_400000_NS6detail17trampoline_kernelINS0_14default_configENS1_38merge_sort_block_merge_config_selectorIsNS0_10empty_typeEEEZZNS1_27merge_sort_block_merge_implIS3_PsPS5_jNS1_19radix_merge_compareILb0ELb1EsNS0_19identity_decomposerEEEEE10hipError_tT0_T1_T2_jT3_P12ihipStream_tbPNSt15iterator_traitsISE_E10value_typeEPNSK_ISF_E10value_typeEPSG_NS1_7vsmem_tEENKUlT_SE_SF_SG_E_clIS8_S8_S9_S9_EESD_ST_SE_SF_SG_EUlST_E_NS1_11comp_targetILNS1_3genE9ELNS1_11target_archE1100ELNS1_3gpuE3ELNS1_3repE0EEENS1_48merge_mergepath_partition_config_static_selectorELNS0_4arch9wavefront6targetE0EEEvSF_.numbered_sgpr, 0
	.set _ZN7rocprim17ROCPRIM_400000_NS6detail17trampoline_kernelINS0_14default_configENS1_38merge_sort_block_merge_config_selectorIsNS0_10empty_typeEEEZZNS1_27merge_sort_block_merge_implIS3_PsPS5_jNS1_19radix_merge_compareILb0ELb1EsNS0_19identity_decomposerEEEEE10hipError_tT0_T1_T2_jT3_P12ihipStream_tbPNSt15iterator_traitsISE_E10value_typeEPNSK_ISF_E10value_typeEPSG_NS1_7vsmem_tEENKUlT_SE_SF_SG_E_clIS8_S8_S9_S9_EESD_ST_SE_SF_SG_EUlST_E_NS1_11comp_targetILNS1_3genE9ELNS1_11target_archE1100ELNS1_3gpuE3ELNS1_3repE0EEENS1_48merge_mergepath_partition_config_static_selectorELNS0_4arch9wavefront6targetE0EEEvSF_.num_named_barrier, 0
	.set _ZN7rocprim17ROCPRIM_400000_NS6detail17trampoline_kernelINS0_14default_configENS1_38merge_sort_block_merge_config_selectorIsNS0_10empty_typeEEEZZNS1_27merge_sort_block_merge_implIS3_PsPS5_jNS1_19radix_merge_compareILb0ELb1EsNS0_19identity_decomposerEEEEE10hipError_tT0_T1_T2_jT3_P12ihipStream_tbPNSt15iterator_traitsISE_E10value_typeEPNSK_ISF_E10value_typeEPSG_NS1_7vsmem_tEENKUlT_SE_SF_SG_E_clIS8_S8_S9_S9_EESD_ST_SE_SF_SG_EUlST_E_NS1_11comp_targetILNS1_3genE9ELNS1_11target_archE1100ELNS1_3gpuE3ELNS1_3repE0EEENS1_48merge_mergepath_partition_config_static_selectorELNS0_4arch9wavefront6targetE0EEEvSF_.private_seg_size, 0
	.set _ZN7rocprim17ROCPRIM_400000_NS6detail17trampoline_kernelINS0_14default_configENS1_38merge_sort_block_merge_config_selectorIsNS0_10empty_typeEEEZZNS1_27merge_sort_block_merge_implIS3_PsPS5_jNS1_19radix_merge_compareILb0ELb1EsNS0_19identity_decomposerEEEEE10hipError_tT0_T1_T2_jT3_P12ihipStream_tbPNSt15iterator_traitsISE_E10value_typeEPNSK_ISF_E10value_typeEPSG_NS1_7vsmem_tEENKUlT_SE_SF_SG_E_clIS8_S8_S9_S9_EESD_ST_SE_SF_SG_EUlST_E_NS1_11comp_targetILNS1_3genE9ELNS1_11target_archE1100ELNS1_3gpuE3ELNS1_3repE0EEENS1_48merge_mergepath_partition_config_static_selectorELNS0_4arch9wavefront6targetE0EEEvSF_.uses_vcc, 0
	.set _ZN7rocprim17ROCPRIM_400000_NS6detail17trampoline_kernelINS0_14default_configENS1_38merge_sort_block_merge_config_selectorIsNS0_10empty_typeEEEZZNS1_27merge_sort_block_merge_implIS3_PsPS5_jNS1_19radix_merge_compareILb0ELb1EsNS0_19identity_decomposerEEEEE10hipError_tT0_T1_T2_jT3_P12ihipStream_tbPNSt15iterator_traitsISE_E10value_typeEPNSK_ISF_E10value_typeEPSG_NS1_7vsmem_tEENKUlT_SE_SF_SG_E_clIS8_S8_S9_S9_EESD_ST_SE_SF_SG_EUlST_E_NS1_11comp_targetILNS1_3genE9ELNS1_11target_archE1100ELNS1_3gpuE3ELNS1_3repE0EEENS1_48merge_mergepath_partition_config_static_selectorELNS0_4arch9wavefront6targetE0EEEvSF_.uses_flat_scratch, 0
	.set _ZN7rocprim17ROCPRIM_400000_NS6detail17trampoline_kernelINS0_14default_configENS1_38merge_sort_block_merge_config_selectorIsNS0_10empty_typeEEEZZNS1_27merge_sort_block_merge_implIS3_PsPS5_jNS1_19radix_merge_compareILb0ELb1EsNS0_19identity_decomposerEEEEE10hipError_tT0_T1_T2_jT3_P12ihipStream_tbPNSt15iterator_traitsISE_E10value_typeEPNSK_ISF_E10value_typeEPSG_NS1_7vsmem_tEENKUlT_SE_SF_SG_E_clIS8_S8_S9_S9_EESD_ST_SE_SF_SG_EUlST_E_NS1_11comp_targetILNS1_3genE9ELNS1_11target_archE1100ELNS1_3gpuE3ELNS1_3repE0EEENS1_48merge_mergepath_partition_config_static_selectorELNS0_4arch9wavefront6targetE0EEEvSF_.has_dyn_sized_stack, 0
	.set _ZN7rocprim17ROCPRIM_400000_NS6detail17trampoline_kernelINS0_14default_configENS1_38merge_sort_block_merge_config_selectorIsNS0_10empty_typeEEEZZNS1_27merge_sort_block_merge_implIS3_PsPS5_jNS1_19radix_merge_compareILb0ELb1EsNS0_19identity_decomposerEEEEE10hipError_tT0_T1_T2_jT3_P12ihipStream_tbPNSt15iterator_traitsISE_E10value_typeEPNSK_ISF_E10value_typeEPSG_NS1_7vsmem_tEENKUlT_SE_SF_SG_E_clIS8_S8_S9_S9_EESD_ST_SE_SF_SG_EUlST_E_NS1_11comp_targetILNS1_3genE9ELNS1_11target_archE1100ELNS1_3gpuE3ELNS1_3repE0EEENS1_48merge_mergepath_partition_config_static_selectorELNS0_4arch9wavefront6targetE0EEEvSF_.has_recursion, 0
	.set _ZN7rocprim17ROCPRIM_400000_NS6detail17trampoline_kernelINS0_14default_configENS1_38merge_sort_block_merge_config_selectorIsNS0_10empty_typeEEEZZNS1_27merge_sort_block_merge_implIS3_PsPS5_jNS1_19radix_merge_compareILb0ELb1EsNS0_19identity_decomposerEEEEE10hipError_tT0_T1_T2_jT3_P12ihipStream_tbPNSt15iterator_traitsISE_E10value_typeEPNSK_ISF_E10value_typeEPSG_NS1_7vsmem_tEENKUlT_SE_SF_SG_E_clIS8_S8_S9_S9_EESD_ST_SE_SF_SG_EUlST_E_NS1_11comp_targetILNS1_3genE9ELNS1_11target_archE1100ELNS1_3gpuE3ELNS1_3repE0EEENS1_48merge_mergepath_partition_config_static_selectorELNS0_4arch9wavefront6targetE0EEEvSF_.has_indirect_call, 0
	.section	.AMDGPU.csdata,"",@progbits
; Kernel info:
; codeLenInByte = 0
; TotalNumSgprs: 0
; NumVgprs: 0
; ScratchSize: 0
; MemoryBound: 0
; FloatMode: 240
; IeeeMode: 1
; LDSByteSize: 0 bytes/workgroup (compile time only)
; SGPRBlocks: 0
; VGPRBlocks: 0
; NumSGPRsForWavesPerEU: 1
; NumVGPRsForWavesPerEU: 1
; NamedBarCnt: 0
; Occupancy: 16
; WaveLimiterHint : 0
; COMPUTE_PGM_RSRC2:SCRATCH_EN: 0
; COMPUTE_PGM_RSRC2:USER_SGPR: 2
; COMPUTE_PGM_RSRC2:TRAP_HANDLER: 0
; COMPUTE_PGM_RSRC2:TGID_X_EN: 1
; COMPUTE_PGM_RSRC2:TGID_Y_EN: 0
; COMPUTE_PGM_RSRC2:TGID_Z_EN: 0
; COMPUTE_PGM_RSRC2:TIDIG_COMP_CNT: 0
	.section	.text._ZN7rocprim17ROCPRIM_400000_NS6detail17trampoline_kernelINS0_14default_configENS1_38merge_sort_block_merge_config_selectorIsNS0_10empty_typeEEEZZNS1_27merge_sort_block_merge_implIS3_PsPS5_jNS1_19radix_merge_compareILb0ELb1EsNS0_19identity_decomposerEEEEE10hipError_tT0_T1_T2_jT3_P12ihipStream_tbPNSt15iterator_traitsISE_E10value_typeEPNSK_ISF_E10value_typeEPSG_NS1_7vsmem_tEENKUlT_SE_SF_SG_E_clIS8_S8_S9_S9_EESD_ST_SE_SF_SG_EUlST_E_NS1_11comp_targetILNS1_3genE8ELNS1_11target_archE1030ELNS1_3gpuE2ELNS1_3repE0EEENS1_48merge_mergepath_partition_config_static_selectorELNS0_4arch9wavefront6targetE0EEEvSF_,"axG",@progbits,_ZN7rocprim17ROCPRIM_400000_NS6detail17trampoline_kernelINS0_14default_configENS1_38merge_sort_block_merge_config_selectorIsNS0_10empty_typeEEEZZNS1_27merge_sort_block_merge_implIS3_PsPS5_jNS1_19radix_merge_compareILb0ELb1EsNS0_19identity_decomposerEEEEE10hipError_tT0_T1_T2_jT3_P12ihipStream_tbPNSt15iterator_traitsISE_E10value_typeEPNSK_ISF_E10value_typeEPSG_NS1_7vsmem_tEENKUlT_SE_SF_SG_E_clIS8_S8_S9_S9_EESD_ST_SE_SF_SG_EUlST_E_NS1_11comp_targetILNS1_3genE8ELNS1_11target_archE1030ELNS1_3gpuE2ELNS1_3repE0EEENS1_48merge_mergepath_partition_config_static_selectorELNS0_4arch9wavefront6targetE0EEEvSF_,comdat
	.protected	_ZN7rocprim17ROCPRIM_400000_NS6detail17trampoline_kernelINS0_14default_configENS1_38merge_sort_block_merge_config_selectorIsNS0_10empty_typeEEEZZNS1_27merge_sort_block_merge_implIS3_PsPS5_jNS1_19radix_merge_compareILb0ELb1EsNS0_19identity_decomposerEEEEE10hipError_tT0_T1_T2_jT3_P12ihipStream_tbPNSt15iterator_traitsISE_E10value_typeEPNSK_ISF_E10value_typeEPSG_NS1_7vsmem_tEENKUlT_SE_SF_SG_E_clIS8_S8_S9_S9_EESD_ST_SE_SF_SG_EUlST_E_NS1_11comp_targetILNS1_3genE8ELNS1_11target_archE1030ELNS1_3gpuE2ELNS1_3repE0EEENS1_48merge_mergepath_partition_config_static_selectorELNS0_4arch9wavefront6targetE0EEEvSF_ ; -- Begin function _ZN7rocprim17ROCPRIM_400000_NS6detail17trampoline_kernelINS0_14default_configENS1_38merge_sort_block_merge_config_selectorIsNS0_10empty_typeEEEZZNS1_27merge_sort_block_merge_implIS3_PsPS5_jNS1_19radix_merge_compareILb0ELb1EsNS0_19identity_decomposerEEEEE10hipError_tT0_T1_T2_jT3_P12ihipStream_tbPNSt15iterator_traitsISE_E10value_typeEPNSK_ISF_E10value_typeEPSG_NS1_7vsmem_tEENKUlT_SE_SF_SG_E_clIS8_S8_S9_S9_EESD_ST_SE_SF_SG_EUlST_E_NS1_11comp_targetILNS1_3genE8ELNS1_11target_archE1030ELNS1_3gpuE2ELNS1_3repE0EEENS1_48merge_mergepath_partition_config_static_selectorELNS0_4arch9wavefront6targetE0EEEvSF_
	.globl	_ZN7rocprim17ROCPRIM_400000_NS6detail17trampoline_kernelINS0_14default_configENS1_38merge_sort_block_merge_config_selectorIsNS0_10empty_typeEEEZZNS1_27merge_sort_block_merge_implIS3_PsPS5_jNS1_19radix_merge_compareILb0ELb1EsNS0_19identity_decomposerEEEEE10hipError_tT0_T1_T2_jT3_P12ihipStream_tbPNSt15iterator_traitsISE_E10value_typeEPNSK_ISF_E10value_typeEPSG_NS1_7vsmem_tEENKUlT_SE_SF_SG_E_clIS8_S8_S9_S9_EESD_ST_SE_SF_SG_EUlST_E_NS1_11comp_targetILNS1_3genE8ELNS1_11target_archE1030ELNS1_3gpuE2ELNS1_3repE0EEENS1_48merge_mergepath_partition_config_static_selectorELNS0_4arch9wavefront6targetE0EEEvSF_
	.p2align	8
	.type	_ZN7rocprim17ROCPRIM_400000_NS6detail17trampoline_kernelINS0_14default_configENS1_38merge_sort_block_merge_config_selectorIsNS0_10empty_typeEEEZZNS1_27merge_sort_block_merge_implIS3_PsPS5_jNS1_19radix_merge_compareILb0ELb1EsNS0_19identity_decomposerEEEEE10hipError_tT0_T1_T2_jT3_P12ihipStream_tbPNSt15iterator_traitsISE_E10value_typeEPNSK_ISF_E10value_typeEPSG_NS1_7vsmem_tEENKUlT_SE_SF_SG_E_clIS8_S8_S9_S9_EESD_ST_SE_SF_SG_EUlST_E_NS1_11comp_targetILNS1_3genE8ELNS1_11target_archE1030ELNS1_3gpuE2ELNS1_3repE0EEENS1_48merge_mergepath_partition_config_static_selectorELNS0_4arch9wavefront6targetE0EEEvSF_,@function
_ZN7rocprim17ROCPRIM_400000_NS6detail17trampoline_kernelINS0_14default_configENS1_38merge_sort_block_merge_config_selectorIsNS0_10empty_typeEEEZZNS1_27merge_sort_block_merge_implIS3_PsPS5_jNS1_19radix_merge_compareILb0ELb1EsNS0_19identity_decomposerEEEEE10hipError_tT0_T1_T2_jT3_P12ihipStream_tbPNSt15iterator_traitsISE_E10value_typeEPNSK_ISF_E10value_typeEPSG_NS1_7vsmem_tEENKUlT_SE_SF_SG_E_clIS8_S8_S9_S9_EESD_ST_SE_SF_SG_EUlST_E_NS1_11comp_targetILNS1_3genE8ELNS1_11target_archE1030ELNS1_3gpuE2ELNS1_3repE0EEENS1_48merge_mergepath_partition_config_static_selectorELNS0_4arch9wavefront6targetE0EEEvSF_: ; @_ZN7rocprim17ROCPRIM_400000_NS6detail17trampoline_kernelINS0_14default_configENS1_38merge_sort_block_merge_config_selectorIsNS0_10empty_typeEEEZZNS1_27merge_sort_block_merge_implIS3_PsPS5_jNS1_19radix_merge_compareILb0ELb1EsNS0_19identity_decomposerEEEEE10hipError_tT0_T1_T2_jT3_P12ihipStream_tbPNSt15iterator_traitsISE_E10value_typeEPNSK_ISF_E10value_typeEPSG_NS1_7vsmem_tEENKUlT_SE_SF_SG_E_clIS8_S8_S9_S9_EESD_ST_SE_SF_SG_EUlST_E_NS1_11comp_targetILNS1_3genE8ELNS1_11target_archE1030ELNS1_3gpuE2ELNS1_3repE0EEENS1_48merge_mergepath_partition_config_static_selectorELNS0_4arch9wavefront6targetE0EEEvSF_
; %bb.0:
	.section	.rodata,"a",@progbits
	.p2align	6, 0x0
	.amdhsa_kernel _ZN7rocprim17ROCPRIM_400000_NS6detail17trampoline_kernelINS0_14default_configENS1_38merge_sort_block_merge_config_selectorIsNS0_10empty_typeEEEZZNS1_27merge_sort_block_merge_implIS3_PsPS5_jNS1_19radix_merge_compareILb0ELb1EsNS0_19identity_decomposerEEEEE10hipError_tT0_T1_T2_jT3_P12ihipStream_tbPNSt15iterator_traitsISE_E10value_typeEPNSK_ISF_E10value_typeEPSG_NS1_7vsmem_tEENKUlT_SE_SF_SG_E_clIS8_S8_S9_S9_EESD_ST_SE_SF_SG_EUlST_E_NS1_11comp_targetILNS1_3genE8ELNS1_11target_archE1030ELNS1_3gpuE2ELNS1_3repE0EEENS1_48merge_mergepath_partition_config_static_selectorELNS0_4arch9wavefront6targetE0EEEvSF_
		.amdhsa_group_segment_fixed_size 0
		.amdhsa_private_segment_fixed_size 0
		.amdhsa_kernarg_size 40
		.amdhsa_user_sgpr_count 2
		.amdhsa_user_sgpr_dispatch_ptr 0
		.amdhsa_user_sgpr_queue_ptr 0
		.amdhsa_user_sgpr_kernarg_segment_ptr 1
		.amdhsa_user_sgpr_dispatch_id 0
		.amdhsa_user_sgpr_kernarg_preload_length 0
		.amdhsa_user_sgpr_kernarg_preload_offset 0
		.amdhsa_user_sgpr_private_segment_size 0
		.amdhsa_wavefront_size32 1
		.amdhsa_uses_dynamic_stack 0
		.amdhsa_enable_private_segment 0
		.amdhsa_system_sgpr_workgroup_id_x 1
		.amdhsa_system_sgpr_workgroup_id_y 0
		.amdhsa_system_sgpr_workgroup_id_z 0
		.amdhsa_system_sgpr_workgroup_info 0
		.amdhsa_system_vgpr_workitem_id 0
		.amdhsa_next_free_vgpr 1
		.amdhsa_next_free_sgpr 1
		.amdhsa_named_barrier_count 0
		.amdhsa_reserve_vcc 0
		.amdhsa_float_round_mode_32 0
		.amdhsa_float_round_mode_16_64 0
		.amdhsa_float_denorm_mode_32 3
		.amdhsa_float_denorm_mode_16_64 3
		.amdhsa_fp16_overflow 0
		.amdhsa_memory_ordered 1
		.amdhsa_forward_progress 1
		.amdhsa_inst_pref_size 0
		.amdhsa_round_robin_scheduling 0
		.amdhsa_exception_fp_ieee_invalid_op 0
		.amdhsa_exception_fp_denorm_src 0
		.amdhsa_exception_fp_ieee_div_zero 0
		.amdhsa_exception_fp_ieee_overflow 0
		.amdhsa_exception_fp_ieee_underflow 0
		.amdhsa_exception_fp_ieee_inexact 0
		.amdhsa_exception_int_div_zero 0
	.end_amdhsa_kernel
	.section	.text._ZN7rocprim17ROCPRIM_400000_NS6detail17trampoline_kernelINS0_14default_configENS1_38merge_sort_block_merge_config_selectorIsNS0_10empty_typeEEEZZNS1_27merge_sort_block_merge_implIS3_PsPS5_jNS1_19radix_merge_compareILb0ELb1EsNS0_19identity_decomposerEEEEE10hipError_tT0_T1_T2_jT3_P12ihipStream_tbPNSt15iterator_traitsISE_E10value_typeEPNSK_ISF_E10value_typeEPSG_NS1_7vsmem_tEENKUlT_SE_SF_SG_E_clIS8_S8_S9_S9_EESD_ST_SE_SF_SG_EUlST_E_NS1_11comp_targetILNS1_3genE8ELNS1_11target_archE1030ELNS1_3gpuE2ELNS1_3repE0EEENS1_48merge_mergepath_partition_config_static_selectorELNS0_4arch9wavefront6targetE0EEEvSF_,"axG",@progbits,_ZN7rocprim17ROCPRIM_400000_NS6detail17trampoline_kernelINS0_14default_configENS1_38merge_sort_block_merge_config_selectorIsNS0_10empty_typeEEEZZNS1_27merge_sort_block_merge_implIS3_PsPS5_jNS1_19radix_merge_compareILb0ELb1EsNS0_19identity_decomposerEEEEE10hipError_tT0_T1_T2_jT3_P12ihipStream_tbPNSt15iterator_traitsISE_E10value_typeEPNSK_ISF_E10value_typeEPSG_NS1_7vsmem_tEENKUlT_SE_SF_SG_E_clIS8_S8_S9_S9_EESD_ST_SE_SF_SG_EUlST_E_NS1_11comp_targetILNS1_3genE8ELNS1_11target_archE1030ELNS1_3gpuE2ELNS1_3repE0EEENS1_48merge_mergepath_partition_config_static_selectorELNS0_4arch9wavefront6targetE0EEEvSF_,comdat
.Lfunc_end678:
	.size	_ZN7rocprim17ROCPRIM_400000_NS6detail17trampoline_kernelINS0_14default_configENS1_38merge_sort_block_merge_config_selectorIsNS0_10empty_typeEEEZZNS1_27merge_sort_block_merge_implIS3_PsPS5_jNS1_19radix_merge_compareILb0ELb1EsNS0_19identity_decomposerEEEEE10hipError_tT0_T1_T2_jT3_P12ihipStream_tbPNSt15iterator_traitsISE_E10value_typeEPNSK_ISF_E10value_typeEPSG_NS1_7vsmem_tEENKUlT_SE_SF_SG_E_clIS8_S8_S9_S9_EESD_ST_SE_SF_SG_EUlST_E_NS1_11comp_targetILNS1_3genE8ELNS1_11target_archE1030ELNS1_3gpuE2ELNS1_3repE0EEENS1_48merge_mergepath_partition_config_static_selectorELNS0_4arch9wavefront6targetE0EEEvSF_, .Lfunc_end678-_ZN7rocprim17ROCPRIM_400000_NS6detail17trampoline_kernelINS0_14default_configENS1_38merge_sort_block_merge_config_selectorIsNS0_10empty_typeEEEZZNS1_27merge_sort_block_merge_implIS3_PsPS5_jNS1_19radix_merge_compareILb0ELb1EsNS0_19identity_decomposerEEEEE10hipError_tT0_T1_T2_jT3_P12ihipStream_tbPNSt15iterator_traitsISE_E10value_typeEPNSK_ISF_E10value_typeEPSG_NS1_7vsmem_tEENKUlT_SE_SF_SG_E_clIS8_S8_S9_S9_EESD_ST_SE_SF_SG_EUlST_E_NS1_11comp_targetILNS1_3genE8ELNS1_11target_archE1030ELNS1_3gpuE2ELNS1_3repE0EEENS1_48merge_mergepath_partition_config_static_selectorELNS0_4arch9wavefront6targetE0EEEvSF_
                                        ; -- End function
	.set _ZN7rocprim17ROCPRIM_400000_NS6detail17trampoline_kernelINS0_14default_configENS1_38merge_sort_block_merge_config_selectorIsNS0_10empty_typeEEEZZNS1_27merge_sort_block_merge_implIS3_PsPS5_jNS1_19radix_merge_compareILb0ELb1EsNS0_19identity_decomposerEEEEE10hipError_tT0_T1_T2_jT3_P12ihipStream_tbPNSt15iterator_traitsISE_E10value_typeEPNSK_ISF_E10value_typeEPSG_NS1_7vsmem_tEENKUlT_SE_SF_SG_E_clIS8_S8_S9_S9_EESD_ST_SE_SF_SG_EUlST_E_NS1_11comp_targetILNS1_3genE8ELNS1_11target_archE1030ELNS1_3gpuE2ELNS1_3repE0EEENS1_48merge_mergepath_partition_config_static_selectorELNS0_4arch9wavefront6targetE0EEEvSF_.num_vgpr, 0
	.set _ZN7rocprim17ROCPRIM_400000_NS6detail17trampoline_kernelINS0_14default_configENS1_38merge_sort_block_merge_config_selectorIsNS0_10empty_typeEEEZZNS1_27merge_sort_block_merge_implIS3_PsPS5_jNS1_19radix_merge_compareILb0ELb1EsNS0_19identity_decomposerEEEEE10hipError_tT0_T1_T2_jT3_P12ihipStream_tbPNSt15iterator_traitsISE_E10value_typeEPNSK_ISF_E10value_typeEPSG_NS1_7vsmem_tEENKUlT_SE_SF_SG_E_clIS8_S8_S9_S9_EESD_ST_SE_SF_SG_EUlST_E_NS1_11comp_targetILNS1_3genE8ELNS1_11target_archE1030ELNS1_3gpuE2ELNS1_3repE0EEENS1_48merge_mergepath_partition_config_static_selectorELNS0_4arch9wavefront6targetE0EEEvSF_.num_agpr, 0
	.set _ZN7rocprim17ROCPRIM_400000_NS6detail17trampoline_kernelINS0_14default_configENS1_38merge_sort_block_merge_config_selectorIsNS0_10empty_typeEEEZZNS1_27merge_sort_block_merge_implIS3_PsPS5_jNS1_19radix_merge_compareILb0ELb1EsNS0_19identity_decomposerEEEEE10hipError_tT0_T1_T2_jT3_P12ihipStream_tbPNSt15iterator_traitsISE_E10value_typeEPNSK_ISF_E10value_typeEPSG_NS1_7vsmem_tEENKUlT_SE_SF_SG_E_clIS8_S8_S9_S9_EESD_ST_SE_SF_SG_EUlST_E_NS1_11comp_targetILNS1_3genE8ELNS1_11target_archE1030ELNS1_3gpuE2ELNS1_3repE0EEENS1_48merge_mergepath_partition_config_static_selectorELNS0_4arch9wavefront6targetE0EEEvSF_.numbered_sgpr, 0
	.set _ZN7rocprim17ROCPRIM_400000_NS6detail17trampoline_kernelINS0_14default_configENS1_38merge_sort_block_merge_config_selectorIsNS0_10empty_typeEEEZZNS1_27merge_sort_block_merge_implIS3_PsPS5_jNS1_19radix_merge_compareILb0ELb1EsNS0_19identity_decomposerEEEEE10hipError_tT0_T1_T2_jT3_P12ihipStream_tbPNSt15iterator_traitsISE_E10value_typeEPNSK_ISF_E10value_typeEPSG_NS1_7vsmem_tEENKUlT_SE_SF_SG_E_clIS8_S8_S9_S9_EESD_ST_SE_SF_SG_EUlST_E_NS1_11comp_targetILNS1_3genE8ELNS1_11target_archE1030ELNS1_3gpuE2ELNS1_3repE0EEENS1_48merge_mergepath_partition_config_static_selectorELNS0_4arch9wavefront6targetE0EEEvSF_.num_named_barrier, 0
	.set _ZN7rocprim17ROCPRIM_400000_NS6detail17trampoline_kernelINS0_14default_configENS1_38merge_sort_block_merge_config_selectorIsNS0_10empty_typeEEEZZNS1_27merge_sort_block_merge_implIS3_PsPS5_jNS1_19radix_merge_compareILb0ELb1EsNS0_19identity_decomposerEEEEE10hipError_tT0_T1_T2_jT3_P12ihipStream_tbPNSt15iterator_traitsISE_E10value_typeEPNSK_ISF_E10value_typeEPSG_NS1_7vsmem_tEENKUlT_SE_SF_SG_E_clIS8_S8_S9_S9_EESD_ST_SE_SF_SG_EUlST_E_NS1_11comp_targetILNS1_3genE8ELNS1_11target_archE1030ELNS1_3gpuE2ELNS1_3repE0EEENS1_48merge_mergepath_partition_config_static_selectorELNS0_4arch9wavefront6targetE0EEEvSF_.private_seg_size, 0
	.set _ZN7rocprim17ROCPRIM_400000_NS6detail17trampoline_kernelINS0_14default_configENS1_38merge_sort_block_merge_config_selectorIsNS0_10empty_typeEEEZZNS1_27merge_sort_block_merge_implIS3_PsPS5_jNS1_19radix_merge_compareILb0ELb1EsNS0_19identity_decomposerEEEEE10hipError_tT0_T1_T2_jT3_P12ihipStream_tbPNSt15iterator_traitsISE_E10value_typeEPNSK_ISF_E10value_typeEPSG_NS1_7vsmem_tEENKUlT_SE_SF_SG_E_clIS8_S8_S9_S9_EESD_ST_SE_SF_SG_EUlST_E_NS1_11comp_targetILNS1_3genE8ELNS1_11target_archE1030ELNS1_3gpuE2ELNS1_3repE0EEENS1_48merge_mergepath_partition_config_static_selectorELNS0_4arch9wavefront6targetE0EEEvSF_.uses_vcc, 0
	.set _ZN7rocprim17ROCPRIM_400000_NS6detail17trampoline_kernelINS0_14default_configENS1_38merge_sort_block_merge_config_selectorIsNS0_10empty_typeEEEZZNS1_27merge_sort_block_merge_implIS3_PsPS5_jNS1_19radix_merge_compareILb0ELb1EsNS0_19identity_decomposerEEEEE10hipError_tT0_T1_T2_jT3_P12ihipStream_tbPNSt15iterator_traitsISE_E10value_typeEPNSK_ISF_E10value_typeEPSG_NS1_7vsmem_tEENKUlT_SE_SF_SG_E_clIS8_S8_S9_S9_EESD_ST_SE_SF_SG_EUlST_E_NS1_11comp_targetILNS1_3genE8ELNS1_11target_archE1030ELNS1_3gpuE2ELNS1_3repE0EEENS1_48merge_mergepath_partition_config_static_selectorELNS0_4arch9wavefront6targetE0EEEvSF_.uses_flat_scratch, 0
	.set _ZN7rocprim17ROCPRIM_400000_NS6detail17trampoline_kernelINS0_14default_configENS1_38merge_sort_block_merge_config_selectorIsNS0_10empty_typeEEEZZNS1_27merge_sort_block_merge_implIS3_PsPS5_jNS1_19radix_merge_compareILb0ELb1EsNS0_19identity_decomposerEEEEE10hipError_tT0_T1_T2_jT3_P12ihipStream_tbPNSt15iterator_traitsISE_E10value_typeEPNSK_ISF_E10value_typeEPSG_NS1_7vsmem_tEENKUlT_SE_SF_SG_E_clIS8_S8_S9_S9_EESD_ST_SE_SF_SG_EUlST_E_NS1_11comp_targetILNS1_3genE8ELNS1_11target_archE1030ELNS1_3gpuE2ELNS1_3repE0EEENS1_48merge_mergepath_partition_config_static_selectorELNS0_4arch9wavefront6targetE0EEEvSF_.has_dyn_sized_stack, 0
	.set _ZN7rocprim17ROCPRIM_400000_NS6detail17trampoline_kernelINS0_14default_configENS1_38merge_sort_block_merge_config_selectorIsNS0_10empty_typeEEEZZNS1_27merge_sort_block_merge_implIS3_PsPS5_jNS1_19radix_merge_compareILb0ELb1EsNS0_19identity_decomposerEEEEE10hipError_tT0_T1_T2_jT3_P12ihipStream_tbPNSt15iterator_traitsISE_E10value_typeEPNSK_ISF_E10value_typeEPSG_NS1_7vsmem_tEENKUlT_SE_SF_SG_E_clIS8_S8_S9_S9_EESD_ST_SE_SF_SG_EUlST_E_NS1_11comp_targetILNS1_3genE8ELNS1_11target_archE1030ELNS1_3gpuE2ELNS1_3repE0EEENS1_48merge_mergepath_partition_config_static_selectorELNS0_4arch9wavefront6targetE0EEEvSF_.has_recursion, 0
	.set _ZN7rocprim17ROCPRIM_400000_NS6detail17trampoline_kernelINS0_14default_configENS1_38merge_sort_block_merge_config_selectorIsNS0_10empty_typeEEEZZNS1_27merge_sort_block_merge_implIS3_PsPS5_jNS1_19radix_merge_compareILb0ELb1EsNS0_19identity_decomposerEEEEE10hipError_tT0_T1_T2_jT3_P12ihipStream_tbPNSt15iterator_traitsISE_E10value_typeEPNSK_ISF_E10value_typeEPSG_NS1_7vsmem_tEENKUlT_SE_SF_SG_E_clIS8_S8_S9_S9_EESD_ST_SE_SF_SG_EUlST_E_NS1_11comp_targetILNS1_3genE8ELNS1_11target_archE1030ELNS1_3gpuE2ELNS1_3repE0EEENS1_48merge_mergepath_partition_config_static_selectorELNS0_4arch9wavefront6targetE0EEEvSF_.has_indirect_call, 0
	.section	.AMDGPU.csdata,"",@progbits
; Kernel info:
; codeLenInByte = 0
; TotalNumSgprs: 0
; NumVgprs: 0
; ScratchSize: 0
; MemoryBound: 0
; FloatMode: 240
; IeeeMode: 1
; LDSByteSize: 0 bytes/workgroup (compile time only)
; SGPRBlocks: 0
; VGPRBlocks: 0
; NumSGPRsForWavesPerEU: 1
; NumVGPRsForWavesPerEU: 1
; NamedBarCnt: 0
; Occupancy: 16
; WaveLimiterHint : 0
; COMPUTE_PGM_RSRC2:SCRATCH_EN: 0
; COMPUTE_PGM_RSRC2:USER_SGPR: 2
; COMPUTE_PGM_RSRC2:TRAP_HANDLER: 0
; COMPUTE_PGM_RSRC2:TGID_X_EN: 1
; COMPUTE_PGM_RSRC2:TGID_Y_EN: 0
; COMPUTE_PGM_RSRC2:TGID_Z_EN: 0
; COMPUTE_PGM_RSRC2:TIDIG_COMP_CNT: 0
	.section	.text._ZN7rocprim17ROCPRIM_400000_NS6detail17trampoline_kernelINS0_14default_configENS1_38merge_sort_block_merge_config_selectorIsNS0_10empty_typeEEEZZNS1_27merge_sort_block_merge_implIS3_PsPS5_jNS1_19radix_merge_compareILb0ELb1EsNS0_19identity_decomposerEEEEE10hipError_tT0_T1_T2_jT3_P12ihipStream_tbPNSt15iterator_traitsISE_E10value_typeEPNSK_ISF_E10value_typeEPSG_NS1_7vsmem_tEENKUlT_SE_SF_SG_E_clIS8_S8_S9_S9_EESD_ST_SE_SF_SG_EUlST_E0_NS1_11comp_targetILNS1_3genE0ELNS1_11target_archE4294967295ELNS1_3gpuE0ELNS1_3repE0EEENS1_38merge_mergepath_config_static_selectorELNS0_4arch9wavefront6targetE0EEEvSF_,"axG",@progbits,_ZN7rocprim17ROCPRIM_400000_NS6detail17trampoline_kernelINS0_14default_configENS1_38merge_sort_block_merge_config_selectorIsNS0_10empty_typeEEEZZNS1_27merge_sort_block_merge_implIS3_PsPS5_jNS1_19radix_merge_compareILb0ELb1EsNS0_19identity_decomposerEEEEE10hipError_tT0_T1_T2_jT3_P12ihipStream_tbPNSt15iterator_traitsISE_E10value_typeEPNSK_ISF_E10value_typeEPSG_NS1_7vsmem_tEENKUlT_SE_SF_SG_E_clIS8_S8_S9_S9_EESD_ST_SE_SF_SG_EUlST_E0_NS1_11comp_targetILNS1_3genE0ELNS1_11target_archE4294967295ELNS1_3gpuE0ELNS1_3repE0EEENS1_38merge_mergepath_config_static_selectorELNS0_4arch9wavefront6targetE0EEEvSF_,comdat
	.protected	_ZN7rocprim17ROCPRIM_400000_NS6detail17trampoline_kernelINS0_14default_configENS1_38merge_sort_block_merge_config_selectorIsNS0_10empty_typeEEEZZNS1_27merge_sort_block_merge_implIS3_PsPS5_jNS1_19radix_merge_compareILb0ELb1EsNS0_19identity_decomposerEEEEE10hipError_tT0_T1_T2_jT3_P12ihipStream_tbPNSt15iterator_traitsISE_E10value_typeEPNSK_ISF_E10value_typeEPSG_NS1_7vsmem_tEENKUlT_SE_SF_SG_E_clIS8_S8_S9_S9_EESD_ST_SE_SF_SG_EUlST_E0_NS1_11comp_targetILNS1_3genE0ELNS1_11target_archE4294967295ELNS1_3gpuE0ELNS1_3repE0EEENS1_38merge_mergepath_config_static_selectorELNS0_4arch9wavefront6targetE0EEEvSF_ ; -- Begin function _ZN7rocprim17ROCPRIM_400000_NS6detail17trampoline_kernelINS0_14default_configENS1_38merge_sort_block_merge_config_selectorIsNS0_10empty_typeEEEZZNS1_27merge_sort_block_merge_implIS3_PsPS5_jNS1_19radix_merge_compareILb0ELb1EsNS0_19identity_decomposerEEEEE10hipError_tT0_T1_T2_jT3_P12ihipStream_tbPNSt15iterator_traitsISE_E10value_typeEPNSK_ISF_E10value_typeEPSG_NS1_7vsmem_tEENKUlT_SE_SF_SG_E_clIS8_S8_S9_S9_EESD_ST_SE_SF_SG_EUlST_E0_NS1_11comp_targetILNS1_3genE0ELNS1_11target_archE4294967295ELNS1_3gpuE0ELNS1_3repE0EEENS1_38merge_mergepath_config_static_selectorELNS0_4arch9wavefront6targetE0EEEvSF_
	.globl	_ZN7rocprim17ROCPRIM_400000_NS6detail17trampoline_kernelINS0_14default_configENS1_38merge_sort_block_merge_config_selectorIsNS0_10empty_typeEEEZZNS1_27merge_sort_block_merge_implIS3_PsPS5_jNS1_19radix_merge_compareILb0ELb1EsNS0_19identity_decomposerEEEEE10hipError_tT0_T1_T2_jT3_P12ihipStream_tbPNSt15iterator_traitsISE_E10value_typeEPNSK_ISF_E10value_typeEPSG_NS1_7vsmem_tEENKUlT_SE_SF_SG_E_clIS8_S8_S9_S9_EESD_ST_SE_SF_SG_EUlST_E0_NS1_11comp_targetILNS1_3genE0ELNS1_11target_archE4294967295ELNS1_3gpuE0ELNS1_3repE0EEENS1_38merge_mergepath_config_static_selectorELNS0_4arch9wavefront6targetE0EEEvSF_
	.p2align	8
	.type	_ZN7rocprim17ROCPRIM_400000_NS6detail17trampoline_kernelINS0_14default_configENS1_38merge_sort_block_merge_config_selectorIsNS0_10empty_typeEEEZZNS1_27merge_sort_block_merge_implIS3_PsPS5_jNS1_19radix_merge_compareILb0ELb1EsNS0_19identity_decomposerEEEEE10hipError_tT0_T1_T2_jT3_P12ihipStream_tbPNSt15iterator_traitsISE_E10value_typeEPNSK_ISF_E10value_typeEPSG_NS1_7vsmem_tEENKUlT_SE_SF_SG_E_clIS8_S8_S9_S9_EESD_ST_SE_SF_SG_EUlST_E0_NS1_11comp_targetILNS1_3genE0ELNS1_11target_archE4294967295ELNS1_3gpuE0ELNS1_3repE0EEENS1_38merge_mergepath_config_static_selectorELNS0_4arch9wavefront6targetE0EEEvSF_,@function
_ZN7rocprim17ROCPRIM_400000_NS6detail17trampoline_kernelINS0_14default_configENS1_38merge_sort_block_merge_config_selectorIsNS0_10empty_typeEEEZZNS1_27merge_sort_block_merge_implIS3_PsPS5_jNS1_19radix_merge_compareILb0ELb1EsNS0_19identity_decomposerEEEEE10hipError_tT0_T1_T2_jT3_P12ihipStream_tbPNSt15iterator_traitsISE_E10value_typeEPNSK_ISF_E10value_typeEPSG_NS1_7vsmem_tEENKUlT_SE_SF_SG_E_clIS8_S8_S9_S9_EESD_ST_SE_SF_SG_EUlST_E0_NS1_11comp_targetILNS1_3genE0ELNS1_11target_archE4294967295ELNS1_3gpuE0ELNS1_3repE0EEENS1_38merge_mergepath_config_static_selectorELNS0_4arch9wavefront6targetE0EEEvSF_: ; @_ZN7rocprim17ROCPRIM_400000_NS6detail17trampoline_kernelINS0_14default_configENS1_38merge_sort_block_merge_config_selectorIsNS0_10empty_typeEEEZZNS1_27merge_sort_block_merge_implIS3_PsPS5_jNS1_19radix_merge_compareILb0ELb1EsNS0_19identity_decomposerEEEEE10hipError_tT0_T1_T2_jT3_P12ihipStream_tbPNSt15iterator_traitsISE_E10value_typeEPNSK_ISF_E10value_typeEPSG_NS1_7vsmem_tEENKUlT_SE_SF_SG_E_clIS8_S8_S9_S9_EESD_ST_SE_SF_SG_EUlST_E0_NS1_11comp_targetILNS1_3genE0ELNS1_11target_archE4294967295ELNS1_3gpuE0ELNS1_3repE0EEENS1_38merge_mergepath_config_static_selectorELNS0_4arch9wavefront6targetE0EEEvSF_
; %bb.0:
	s_bfe_u32 s2, ttmp6, 0x40010
	s_and_b32 s4, ttmp7, 0xffff
	s_add_co_i32 s5, s2, 1
	s_clause 0x1
	s_load_b32 s6, s[0:1], 0x30
	s_load_b64 s[2:3], s[0:1], 0x40
	s_bfe_u32 s8, ttmp6, 0x4000c
	s_mul_i32 s5, s4, s5
	s_bfe_u32 s7, ttmp6, 0x40004
	s_add_co_i32 s8, s8, 1
	s_bfe_u32 s9, ttmp6, 0x40014
	s_add_co_i32 s7, s7, s5
	s_and_b32 s5, ttmp6, 15
	s_mul_i32 s8, ttmp9, s8
	s_lshr_b32 s10, ttmp7, 16
	s_add_co_i32 s9, s9, 1
	s_add_co_i32 s5, s5, s8
	s_mul_i32 s8, s10, s9
	s_bfe_u32 s9, ttmp6, 0x40008
	s_getreg_b32 s11, hwreg(HW_REG_IB_STS2, 6, 4)
	s_add_co_i32 s9, s9, s8
	s_cmp_eq_u32 s11, 0
	s_cselect_b32 s8, s10, s9
	s_cselect_b32 s4, s4, s7
	s_wait_kmcnt 0x0
	s_mul_i32 s8, s3, s8
	s_cselect_b32 s3, ttmp9, s5
	s_add_co_i32 s4, s8, s4
	s_mov_b32 s5, 0
	s_mul_i32 s4, s4, s2
	s_delay_alu instid0(SALU_CYCLE_1) | instskip(NEXT) | instid1(SALU_CYCLE_1)
	s_add_co_i32 s4, s4, s3
	s_cmp_ge_u32 s4, s6
	s_cbranch_scc1 .LBB679_43
; %bb.1:
	v_mov_b32_e32 v7, 0
	s_add_nc_u64 s[6:7], s[0:1], 64
	v_lshlrev_b32_e32 v6, 1, v0
	global_load_b32 v1, v7, s[6:7] offset:14
	s_clause 0x2
	s_load_b64 s[8:9], s[0:1], 0x28
	s_load_b64 s[10:11], s[0:1], 0x38
	;; [unrolled: 1-line block ×3, first 2 shown]
	s_wait_kmcnt 0x0
	s_lshr_b32 s22, s8, 10
	s_delay_alu instid0(SALU_CYCLE_1) | instskip(SKIP_2) | instid1(SALU_CYCLE_1)
	s_cmp_lg_u32 s4, s22
	s_cselect_b32 s14, -1, 0
	s_lshl_b64 s[12:13], s[4:5], 2
	s_add_nc_u64 s[10:11], s[10:11], s[12:13]
	s_load_b64 s[12:13], s[10:11], 0x0
	s_wait_xcnt 0x0
	s_lshr_b32 s10, s9, 9
	s_delay_alu instid0(SALU_CYCLE_1) | instskip(NEXT) | instid1(SALU_CYCLE_1)
	s_and_b32 s10, s10, 0x7ffffe
	s_sub_co_i32 s11, 0, s10
	s_lshl_b32 s10, s4, 10
	s_and_b32 s15, s4, s11
	s_or_b32 s11, s4, s11
	s_lshl_b32 s18, s15, 11
	s_lshl_b32 s15, s15, 10
	s_add_co_i32 s18, s18, s9
	s_sub_co_i32 s19, s10, s15
	s_sub_co_i32 s15, s18, s15
	s_add_co_i32 s18, s18, s19
	s_min_u32 s20, s8, s15
	s_add_co_i32 s15, s15, s9
	s_wait_kmcnt 0x0
	s_sub_co_i32 s9, s18, s12
	s_sub_co_i32 s19, s18, s13
	s_min_u32 s18, s8, s9
	s_add_co_i32 s9, s19, 0x400
	s_cmp_eq_u32 s11, -1
	s_mov_b32 s19, s5
	s_cselect_b32 s9, s15, s9
	s_cselect_b32 s11, s20, s13
	s_mov_b32 s13, s5
	s_min_u32 s15, s9, s8
	s_lshl_b64 s[20:21], s[18:19], 1
	s_sub_co_i32 s9, s11, s12
	s_lshl_b64 s[12:13], s[12:13], 1
	s_sub_co_i32 s15, s15, s18
	s_cmp_lt_u32 s3, s2
	s_mov_b32 s3, s5
	s_cselect_b32 s2, 12, 18
	s_add_nc_u64 s[12:13], s[16:17], s[12:13]
	s_add_nc_u64 s[2:3], s[6:7], s[2:3]
	s_cmp_eq_u32 s4, s22
	s_load_u16 s2, s[2:3], 0x0
	s_add_nc_u64 s[6:7], s[16:17], s[20:21]
	s_wait_loadcnt 0x0
	v_lshrrev_b32_e32 v2, 16, v1
	v_and_b32_e32 v1, 0xffff, v1
	s_delay_alu instid0(VALU_DEP_1) | instskip(SKIP_1) | instid1(VALU_DEP_1)
	v_mul_lo_u32 v1, v1, v2
	s_wait_kmcnt 0x0
	v_mul_lo_u32 v1, v1, s2
	s_mov_b32 s2, -1
	s_delay_alu instid0(VALU_DEP_1) | instskip(NEXT) | instid1(VALU_DEP_1)
	v_add_nc_u32_e32 v10, v1, v0
	v_add_nc_u32_e32 v8, v10, v1
	s_cbranch_scc1 .LBB679_3
; %bb.2:
	v_sub_co_u32 v4, vcc_lo, v0, s9
	v_dual_mov_b32 v5, v7 :: v_dual_mov_b32 v11, v7
	v_add_nc_u64_e32 v[2:3], s[12:13], v[6:7]
	v_sub_co_u32 v14, s2, v10, s9
	s_delay_alu instid0(VALU_DEP_3) | instskip(SKIP_3) | instid1(VALU_DEP_4)
	v_lshl_add_u64 v[4:5], v[4:5], 1, s[6:7]
	v_dual_mov_b32 v15, v7 :: v_dual_mov_b32 v9, v7
	v_lshl_add_u64 v[12:13], v[10:11], 1, s[12:13]
	v_dual_mov_b32 v17, v7 :: v_dual_add_nc_u32 v18, v8, v1
	v_dual_cndmask_b32 v3, v5, v3 :: v_dual_cndmask_b32 v2, v4, v2
	s_delay_alu instid0(VALU_DEP_4)
	v_lshl_add_u64 v[4:5], v[14:15], 1, s[6:7]
	v_sub_co_u32 v16, vcc_lo, v8, s9
	v_mov_b32_e32 v19, v7
	v_lshl_add_u64 v[14:15], v[8:9], 1, s[12:13]
	global_load_u16 v9, v[2:3], off
	s_wait_xcnt 0x0
	v_dual_cndmask_b32 v3, v5, v13, s2 :: v_dual_cndmask_b32 v2, v4, v12, s2
	v_lshl_add_u64 v[4:5], v[16:17], 1, s[6:7]
	v_lshl_add_u64 v[12:13], v[18:19], 1, s[12:13]
	v_sub_co_u32 v16, s2, v18, s9
	v_add_nc_u32_e32 v18, v18, v1
	global_load_u16 v11, v[2:3], off
	s_wait_xcnt 0x0
	v_dual_cndmask_b32 v3, v5, v15 :: v_dual_cndmask_b32 v2, v4, v14
	v_lshl_add_u64 v[4:5], v[16:17], 1, s[6:7]
	v_lshl_add_u64 v[14:15], v[18:19], 1, s[12:13]
	v_sub_co_u32 v16, vcc_lo, v18, s9
	v_add_nc_u32_e32 v18, v18, v1
	global_load_u16 v26, v[2:3], off
	s_wait_xcnt 0x0
	v_dual_cndmask_b32 v3, v5, v13, s2 :: v_dual_mov_b32 v21, v7
	v_cndmask_b32_e64 v2, v4, v12, s2
	v_lshl_add_u64 v[4:5], v[16:17], 1, s[6:7]
	v_lshl_add_u64 v[12:13], v[18:19], 1, s[12:13]
	v_add_nc_u32_e32 v16, v18, v1
	v_sub_co_u32 v18, s2, v18, s9
	s_delay_alu instid0(VALU_DEP_4) | instskip(SKIP_1) | instid1(VALU_DEP_3)
	v_cndmask_b32_e32 v5, v5, v15, vcc_lo
	s_add_co_i32 s11, s15, s9
	v_lshl_add_u64 v[22:23], v[16:17], 1, s[12:13]
	s_delay_alu instid0(VALU_DEP_3) | instskip(SKIP_2) | instid1(VALU_DEP_3)
	v_lshl_add_u64 v[18:19], v[18:19], 1, s[6:7]
	v_add_nc_u32_e32 v20, v16, v1
	v_sub_co_u32 v16, s3, v16, s9
	v_dual_cndmask_b32 v4, v4, v14, vcc_lo :: v_dual_cndmask_b32 v13, v19, v13, s2
	s_delay_alu instid0(VALU_DEP_4) | instskip(NEXT) | instid1(VALU_DEP_4)
	v_cndmask_b32_e64 v12, v18, v12, s2
	v_lshl_add_u64 v[24:25], v[20:21], 1, s[12:13]
	v_sub_co_u32 v20, s4, v20, s9
	v_lshl_add_u64 v[16:17], v[16:17], 1, s[6:7]
	s_delay_alu instid0(VALU_DEP_2) | instskip(NEXT) | instid1(VALU_DEP_2)
	v_lshl_add_u64 v[14:15], v[20:21], 1, s[6:7]
	v_dual_cndmask_b32 v17, v17, v23, s3 :: v_dual_cndmask_b32 v16, v16, v22, s3
	s_delay_alu instid0(VALU_DEP_2)
	v_dual_cndmask_b32 v15, v15, v25, s4 :: v_dual_cndmask_b32 v14, v14, v24, s4
	global_load_u16 v7, v[2:3], off
	global_load_u16 v18, v[4:5], off
	;; [unrolled: 1-line block ×5, first 2 shown]
	s_wait_loadcnt 0x6
	s_wait_xcnt 0x4
	v_perm_b32 v2, v11, v9, 0x5040100
	s_wait_loadcnt 0x4
	v_perm_b32 v3, v7, v26, 0x5040100
	s_wait_loadcnt 0x2
	s_wait_xcnt 0x3
	v_perm_b32 v4, v19, v18, 0x5040100
	s_wait_loadcnt 0x0
	v_perm_b32 v5, v21, v20, 0x5040100
	s_cbranch_execz .LBB679_4
	s_branch .LBB679_19
.LBB679_3:
                                        ; implicit-def: $vgpr2_vgpr3_vgpr4_vgpr5
                                        ; implicit-def: $sgpr11
	s_and_not1_b32 vcc_lo, exec_lo, s2
	s_cbranch_vccnz .LBB679_19
.LBB679_4:
	v_mov_b32_e32 v2, 0
	s_add_co_i32 s11, s15, s9
	s_mov_b32 s2, exec_lo
	s_delay_alu instid0(VALU_DEP_1)
	v_dual_mov_b32 v3, v2 :: v_dual_mov_b32 v4, v2
	v_mov_b32_e32 v5, v2
	v_cmpx_gt_u32_e64 s11, v0
	s_cbranch_execnz .LBB679_44
; %bb.5:
	s_or_b32 exec_lo, exec_lo, s2
	s_delay_alu instid0(SALU_CYCLE_1)
	s_mov_b32 s2, exec_lo
	v_cmpx_gt_u32_e64 s11, v10
	s_cbranch_execnz .LBB679_45
.LBB679_6:
	s_or_b32 exec_lo, exec_lo, s2
	s_delay_alu instid0(SALU_CYCLE_1)
	s_mov_b32 s2, exec_lo
	v_cmpx_gt_u32_e64 s11, v8
	s_cbranch_execz .LBB679_8
.LBB679_7:
	v_sub_co_u32 v12, vcc_lo, v8, s9
	v_mov_b32_e32 v9, 0
	s_delay_alu instid0(VALU_DEP_1) | instskip(SKIP_1) | instid1(VALU_DEP_1)
	v_lshl_add_u64 v[10:11], v[8:9], 1, s[12:13]
	v_mov_b32_e32 v13, v9
	v_lshl_add_u64 v[12:13], v[12:13], 1, s[6:7]
	s_delay_alu instid0(VALU_DEP_1)
	v_dual_cndmask_b32 v11, v13, v11 :: v_dual_cndmask_b32 v10, v12, v10
	global_load_u16 v7, v[10:11], off
	s_wait_loadcnt 0x0
	v_bfi_b32 v3, 0xffff, v7, v3
.LBB679_8:
	s_or_b32 exec_lo, exec_lo, s2
	v_add_nc_u32_e32 v8, v8, v1
	s_mov_b32 s2, exec_lo
	s_delay_alu instid0(VALU_DEP_1)
	v_cmpx_gt_u32_e64 s11, v8
	s_cbranch_execz .LBB679_10
; %bb.9:
	v_sub_co_u32 v12, vcc_lo, v8, s9
	v_mov_b32_e32 v9, 0
	s_delay_alu instid0(VALU_DEP_1) | instskip(SKIP_1) | instid1(VALU_DEP_1)
	v_lshl_add_u64 v[10:11], v[8:9], 1, s[12:13]
	v_mov_b32_e32 v13, v9
	v_lshl_add_u64 v[12:13], v[12:13], 1, s[6:7]
	s_delay_alu instid0(VALU_DEP_1)
	v_dual_cndmask_b32 v11, v13, v11 :: v_dual_cndmask_b32 v10, v12, v10
	global_load_u16 v7, v[10:11], off
	s_wait_loadcnt 0x0
	v_perm_b32 v3, v7, v3, 0x5040100
.LBB679_10:
	s_or_b32 exec_lo, exec_lo, s2
	v_add_nc_u32_e32 v8, v8, v1
	s_mov_b32 s2, exec_lo
	s_delay_alu instid0(VALU_DEP_1)
	v_cmpx_gt_u32_e64 s11, v8
	s_cbranch_execz .LBB679_12
; %bb.11:
	v_sub_co_u32 v12, vcc_lo, v8, s9
	v_mov_b32_e32 v9, 0
	s_delay_alu instid0(VALU_DEP_1) | instskip(SKIP_1) | instid1(VALU_DEP_1)
	v_lshl_add_u64 v[10:11], v[8:9], 1, s[12:13]
	v_mov_b32_e32 v13, v9
	v_lshl_add_u64 v[12:13], v[12:13], 1, s[6:7]
	s_delay_alu instid0(VALU_DEP_1)
	v_dual_cndmask_b32 v11, v13, v11 :: v_dual_cndmask_b32 v10, v12, v10
	global_load_u16 v7, v[10:11], off
	s_wait_loadcnt 0x0
	v_bfi_b32 v4, 0xffff, v7, v4
.LBB679_12:
	s_or_b32 exec_lo, exec_lo, s2
	v_add_nc_u32_e32 v8, v8, v1
	s_mov_b32 s2, exec_lo
	s_delay_alu instid0(VALU_DEP_1)
	v_cmpx_gt_u32_e64 s11, v8
	s_cbranch_execz .LBB679_14
; %bb.13:
	v_sub_co_u32 v12, vcc_lo, v8, s9
	v_mov_b32_e32 v9, 0
	s_delay_alu instid0(VALU_DEP_1) | instskip(SKIP_1) | instid1(VALU_DEP_1)
	v_lshl_add_u64 v[10:11], v[8:9], 1, s[12:13]
	v_mov_b32_e32 v13, v9
	v_lshl_add_u64 v[12:13], v[12:13], 1, s[6:7]
	s_delay_alu instid0(VALU_DEP_1)
	v_dual_cndmask_b32 v11, v13, v11 :: v_dual_cndmask_b32 v10, v12, v10
	global_load_u16 v7, v[10:11], off
	s_wait_loadcnt 0x0
	v_perm_b32 v4, v7, v4, 0x5040100
.LBB679_14:
	s_or_b32 exec_lo, exec_lo, s2
	v_add_nc_u32_e32 v8, v8, v1
	s_mov_b32 s2, exec_lo
	s_delay_alu instid0(VALU_DEP_1)
	v_cmpx_gt_u32_e64 s11, v8
	s_cbranch_execz .LBB679_16
; %bb.15:
	v_sub_co_u32 v12, vcc_lo, v8, s9
	v_mov_b32_e32 v9, 0
	s_delay_alu instid0(VALU_DEP_1) | instskip(SKIP_1) | instid1(VALU_DEP_1)
	v_lshl_add_u64 v[10:11], v[8:9], 1, s[12:13]
	v_mov_b32_e32 v13, v9
	v_lshl_add_u64 v[12:13], v[12:13], 1, s[6:7]
	s_delay_alu instid0(VALU_DEP_1)
	v_dual_cndmask_b32 v11, v13, v11 :: v_dual_cndmask_b32 v10, v12, v10
	global_load_u16 v7, v[10:11], off
	s_wait_loadcnt 0x0
	v_bfi_b32 v5, 0xffff, v7, v5
.LBB679_16:
	s_or_b32 exec_lo, exec_lo, s2
	v_add_nc_u32_e32 v8, v8, v1
	s_mov_b32 s2, exec_lo
	s_delay_alu instid0(VALU_DEP_1)
	v_cmpx_gt_u32_e64 s11, v8
	s_cbranch_execz .LBB679_18
; %bb.17:
	v_mov_b32_e32 v9, 0
	s_delay_alu instid0(VALU_DEP_1) | instskip(SKIP_1) | instid1(VALU_DEP_1)
	v_lshl_add_u64 v[10:11], v[8:9], 1, s[12:13]
	v_sub_co_u32 v8, vcc_lo, v8, s9
	v_lshl_add_u64 v[8:9], v[8:9], 1, s[6:7]
	s_delay_alu instid0(VALU_DEP_1)
	v_dual_cndmask_b32 v9, v9, v11 :: v_dual_cndmask_b32 v8, v8, v10
	global_load_u16 v1, v[8:9], off
	s_wait_loadcnt 0x0
	v_perm_b32 v5, v1, v5, 0x5040100
.LBB679_18:
	s_or_b32 exec_lo, exec_lo, s2
.LBB679_19:
	s_clause 0x1
	s_load_b64 s[12:13], s[0:1], 0x10
	s_load_b32 s16, s[0:1], 0x34
	v_dual_lshlrev_b32 v1, 3, v0 :: v_dual_lshrrev_b32 v7, 16, v2
	v_dual_lshrrev_b32 v9, 16, v3 :: v_dual_lshrrev_b32 v8, 16, v4
	v_lshrrev_b32_e32 v10, 16, v5
	s_delay_alu instid0(VALU_DEP_3)
	v_min_u32_e32 v12, s11, v1
	s_wait_xcnt 0x0
	s_mov_b32 s0, exec_lo
	ds_store_b16 v6, v2
	ds_store_b16 v6, v7 offset:256
	ds_store_b16 v6, v3 offset:512
	;; [unrolled: 1-line block ×7, first 2 shown]
	s_wait_dscnt 0x0
	s_barrier_signal -1
	v_sub_nc_u32_e64 v11, v12, s15 clamp
	v_min_u32_e32 v13, s9, v12
	s_barrier_wait -1
	s_delay_alu instid0(VALU_DEP_1)
	v_cmpx_lt_u32_e64 v11, v13
	s_cbranch_execz .LBB679_23
; %bb.20:
	v_lshlrev_b32_e32 v14, 1, v12
	s_mov_b32 s1, 0
	s_delay_alu instid0(VALU_DEP_1)
	v_lshl_add_u32 v14, s9, 1, v14
.LBB679_21:                             ; =>This Inner Loop Header: Depth=1
	v_add_nc_u32_e32 v15, v13, v11
	s_delay_alu instid0(VALU_DEP_1) | instskip(NEXT) | instid1(VALU_DEP_1)
	v_dual_lshrrev_b32 v16, 1, v15 :: v_dual_bitop2_b32 v15, -2, v15 bitop3:0x40
	v_not_b32_e32 v17, v16
	v_add_nc_u32_e32 v18, 1, v16
	s_delay_alu instid0(VALU_DEP_2)
	v_lshl_add_u32 v17, v17, 1, v14
	ds_load_u16 v15, v15
	ds_load_u16 v17, v17
	s_wait_dscnt 0x1
	s_wait_kmcnt 0x0
	v_and_b32_e32 v15, s16, v15
	s_wait_dscnt 0x0
	v_and_b32_e32 v17, s16, v17
	s_delay_alu instid0(VALU_DEP_1) | instskip(SKIP_1) | instid1(VALU_DEP_1)
	v_cmp_gt_i16_e32 vcc_lo, v15, v17
	v_dual_cndmask_b32 v13, v13, v16, vcc_lo :: v_dual_cndmask_b32 v11, v18, v11, vcc_lo
	v_cmp_ge_u32_e32 vcc_lo, v11, v13
	s_or_b32 s1, vcc_lo, s1
	s_delay_alu instid0(SALU_CYCLE_1)
	s_and_not1_b32 exec_lo, exec_lo, s1
	s_cbranch_execnz .LBB679_21
; %bb.22:
	s_or_b32 exec_lo, exec_lo, s1
.LBB679_23:
	s_delay_alu instid0(SALU_CYCLE_1) | instskip(SKIP_2) | instid1(VALU_DEP_2)
	s_or_b32 exec_lo, exec_lo, s0
	v_sub_nc_u32_e32 v12, v12, v11
	v_cmp_ge_u32_e32 vcc_lo, s9, v11
	v_add_nc_u32_e32 v12, s9, v12
	s_delay_alu instid0(VALU_DEP_1) | instskip(SKIP_1) | instid1(SALU_CYCLE_1)
	v_cmp_ge_u32_e64 s0, s11, v12
	s_or_b32 s0, vcc_lo, s0
	s_and_saveexec_b32 s15, s0
	s_cbranch_execz .LBB679_29
; %bb.24:
	v_cmp_gt_u32_e32 vcc_lo, s9, v11
                                        ; implicit-def: $vgpr2
	s_and_saveexec_b32 s0, vcc_lo
; %bb.25:
	v_lshlrev_b32_e32 v2, 1, v11
	ds_load_u16 v2, v2
; %bb.26:
	s_or_b32 exec_lo, exec_lo, s0
	v_cmp_le_u32_e64 s0, s11, v12
	s_mov_b32 s2, exec_lo
                                        ; implicit-def: $vgpr3
	v_cmpx_gt_u32_e64 s11, v12
; %bb.27:
	v_lshlrev_b32_e32 v3, 1, v12
	ds_load_u16 v3, v3
; %bb.28:
	s_or_b32 exec_lo, exec_lo, s2
	s_wait_dscnt 0x0
	s_wait_kmcnt 0x0
	v_and_b32_e32 v4, s16, v3
	v_and_b32_e32 v5, s16, v2
	s_delay_alu instid0(VALU_DEP_1) | instskip(SKIP_2) | instid1(SALU_CYCLE_1)
	v_cmp_le_i16_e64 s1, v5, v4
	v_mov_b32_e32 v4, s9
	s_and_b32 s1, vcc_lo, s1
	s_or_b32 vcc_lo, s0, s1
	v_cndmask_b32_e32 v5, v12, v11, vcc_lo
	s_delay_alu instid0(VALU_DEP_1) | instskip(NEXT) | instid1(VALU_DEP_1)
	v_dual_cndmask_b32 v7, s11, v4, vcc_lo :: v_dual_add_nc_u32 v5, 1, v5
	v_add_min_u32_e64 v7, v7, -1, v5
	v_dual_cndmask_b32 v9, v11, v5, vcc_lo :: v_dual_cndmask_b32 v5, v5, v12, vcc_lo
	s_delay_alu instid0(VALU_DEP_2) | instskip(NEXT) | instid1(VALU_DEP_2)
	v_lshlrev_b32_e32 v7, 1, v7
	v_cmp_gt_u32_e64 s0, s9, v9
	s_delay_alu instid0(VALU_DEP_3) | instskip(SKIP_4) | instid1(VALU_DEP_2)
	v_cmp_le_u32_e64 s2, s11, v5
	ds_load_u16 v7, v7
	s_wait_dscnt 0x0
	v_cndmask_b32_e32 v8, v7, v3, vcc_lo
	v_dual_cndmask_b32 v7, v2, v7 :: v_dual_cndmask_b32 v2, v3, v2
	v_and_b32_e32 v10, s16, v8
	s_delay_alu instid0(VALU_DEP_2) | instskip(NEXT) | instid1(VALU_DEP_1)
	v_and_b32_e32 v11, s16, v7
	v_cmp_le_i16_e64 s1, v11, v10
	s_and_b32 s0, s0, s1
	s_delay_alu instid0(SALU_CYCLE_1) | instskip(NEXT) | instid1(SALU_CYCLE_1)
	s_or_b32 s0, s2, s0
	v_cndmask_b32_e64 v10, v5, v9, s0
	s_delay_alu instid0(VALU_DEP_1) | instskip(NEXT) | instid1(VALU_DEP_1)
	v_dual_cndmask_b32 v11, s11, v4, s0 :: v_dual_add_nc_u32 v10, 1, v10
	v_add_min_u32_e64 v11, v11, -1, v10
	v_dual_cndmask_b32 v9, v9, v10, s0 :: v_dual_cndmask_b32 v5, v10, v5, s0
	s_delay_alu instid0(VALU_DEP_2) | instskip(NEXT) | instid1(VALU_DEP_2)
	v_lshlrev_b32_e32 v11, 1, v11
	v_cmp_gt_u32_e64 s1, s9, v9
	s_delay_alu instid0(VALU_DEP_3)
	v_cmp_le_u32_e64 s3, s11, v5
	ds_load_u16 v11, v11
	s_wait_dscnt 0x0
	v_cndmask_b32_e64 v12, v11, v8, s0
	v_cndmask_b32_e64 v11, v7, v11, s0
	;; [unrolled: 1-line block ×3, first 2 shown]
	s_delay_alu instid0(VALU_DEP_2) | instskip(NEXT) | instid1(VALU_DEP_4)
	v_and_b32_e32 v14, s16, v11
	v_and_b32_e32 v13, s16, v12
	s_delay_alu instid0(VALU_DEP_1) | instskip(SKIP_1) | instid1(SALU_CYCLE_1)
	v_cmp_le_i16_e64 s2, v14, v13
	s_and_b32 s1, s1, s2
	s_or_b32 s1, s3, s1
	s_delay_alu instid0(SALU_CYCLE_1) | instskip(NEXT) | instid1(VALU_DEP_1)
	v_cndmask_b32_e64 v10, v5, v9, s1
	v_dual_cndmask_b32 v13, s11, v4, s1 :: v_dual_add_nc_u32 v10, 1, v10
	s_delay_alu instid0(VALU_DEP_1) | instskip(NEXT) | instid1(VALU_DEP_1)
	v_add_min_u32_e64 v13, v13, -1, v10
	v_dual_cndmask_b32 v9, v9, v10, s1 :: v_dual_lshlrev_b32 v13, 1, v13
	s_delay_alu instid0(VALU_DEP_1) | instskip(SKIP_3) | instid1(VALU_DEP_1)
	v_cmp_gt_u32_e64 s2, s9, v9
	ds_load_u16 v13, v13
	s_wait_dscnt 0x0
	v_dual_cndmask_b32 v14, v13, v12, s1 :: v_dual_cndmask_b32 v13, v11, v13, s1
	v_dual_cndmask_b32 v5, v10, v5, s1 :: v_dual_bitop2_b32 v15, s16, v14 bitop3:0x40
	s_delay_alu instid0(VALU_DEP_2) | instskip(NEXT) | instid1(VALU_DEP_2)
	v_and_b32_e32 v16, s16, v13
	v_cmp_le_u32_e64 s4, s11, v5
	s_delay_alu instid0(VALU_DEP_2) | instskip(SKIP_1) | instid1(SALU_CYCLE_1)
	v_cmp_le_i16_e64 s3, v16, v15
	s_and_b32 s2, s2, s3
	s_or_b32 s2, s4, s2
	s_delay_alu instid0(SALU_CYCLE_1) | instskip(NEXT) | instid1(VALU_DEP_1)
	v_dual_cndmask_b32 v3, v12, v11, s1 :: v_dual_cndmask_b32 v10, v5, v9, s2
	v_dual_cndmask_b32 v15, s11, v4, s2 :: v_dual_add_nc_u32 v10, 1, v10
	s_delay_alu instid0(VALU_DEP_1) | instskip(NEXT) | instid1(VALU_DEP_1)
	v_add_min_u32_e64 v15, v15, -1, v10
	v_lshlrev_b32_e32 v15, 1, v15
	ds_load_u16 v15, v15
	s_wait_dscnt 0x0
	v_dual_cndmask_b32 v16, v15, v14, s2 :: v_dual_cndmask_b32 v15, v13, v15, s2
	v_dual_cndmask_b32 v5, v10, v5, s2 :: v_dual_cndmask_b32 v9, v9, v10, s2
	s_delay_alu instid0(VALU_DEP_2) | instskip(NEXT) | instid1(VALU_DEP_3)
	v_and_b32_e32 v17, s16, v16
	v_and_b32_e32 v18, s16, v15
	s_delay_alu instid0(VALU_DEP_3) | instskip(NEXT) | instid1(VALU_DEP_4)
	v_cmp_le_u32_e64 s5, s11, v5
	v_cmp_gt_u32_e64 s3, s9, v9
	s_delay_alu instid0(VALU_DEP_3) | instskip(SKIP_1) | instid1(SALU_CYCLE_1)
	v_cmp_le_i16_e64 s4, v18, v17
	s_and_b32 s3, s3, s4
	s_or_b32 s3, s5, s3
	s_delay_alu instid0(SALU_CYCLE_1) | instskip(NEXT) | instid1(VALU_DEP_1)
	v_cndmask_b32_e64 v10, v5, v9, s3
	v_dual_cndmask_b32 v17, s11, v4, s3 :: v_dual_add_nc_u32 v10, 1, v10
	s_delay_alu instid0(VALU_DEP_1) | instskip(NEXT) | instid1(VALU_DEP_1)
	v_add_min_u32_e64 v17, v17, -1, v10
	v_dual_cndmask_b32 v9, v9, v10, s3 :: v_dual_lshlrev_b32 v17, 1, v17
	s_delay_alu instid0(VALU_DEP_1) | instskip(SKIP_3) | instid1(VALU_DEP_1)
	v_cmp_gt_u32_e64 s4, s9, v9
	ds_load_u16 v17, v17
	s_wait_dscnt 0x0
	v_dual_cndmask_b32 v18, v17, v16, s3 :: v_dual_cndmask_b32 v17, v15, v17, s3
	v_dual_cndmask_b32 v5, v10, v5, s3 :: v_dual_bitop2_b32 v19, s16, v18 bitop3:0x40
	s_delay_alu instid0(VALU_DEP_2) | instskip(NEXT) | instid1(VALU_DEP_2)
	v_and_b32_e32 v20, s16, v17
	v_cmp_le_u32_e64 s6, s11, v5
	s_delay_alu instid0(VALU_DEP_2) | instskip(SKIP_1) | instid1(SALU_CYCLE_1)
	v_cmp_le_i16_e64 s5, v20, v19
	s_and_b32 s4, s4, s5
	s_or_b32 s4, s6, s4
	s_delay_alu instid0(SALU_CYCLE_1) | instskip(SKIP_1) | instid1(VALU_DEP_2)
	v_cndmask_b32_e64 v10, v5, v9, s4
	v_cndmask_b32_e64 v19, s11, v4, s4
	v_dual_cndmask_b32 v8, v18, v17, s4 :: v_dual_add_nc_u32 v10, 1, v10
	s_delay_alu instid0(VALU_DEP_1) | instskip(NEXT) | instid1(VALU_DEP_1)
	v_add_min_u32_e64 v19, v19, -1, v10
	v_lshlrev_b32_e32 v19, 1, v19
	ds_load_u16 v19, v19
	s_wait_dscnt 0x0
	v_dual_cndmask_b32 v20, v19, v18, s4 :: v_dual_cndmask_b32 v19, v17, v19, s4
	v_dual_cndmask_b32 v5, v10, v5, s4 :: v_dual_cndmask_b32 v9, v9, v10, s4
	s_delay_alu instid0(VALU_DEP_2) | instskip(NEXT) | instid1(VALU_DEP_3)
	v_and_b32_e32 v21, s16, v20
	v_and_b32_e32 v22, s16, v19
	s_delay_alu instid0(VALU_DEP_3) | instskip(NEXT) | instid1(VALU_DEP_4)
	v_cmp_le_u32_e64 s7, s11, v5
	v_cmp_gt_u32_e64 s5, s9, v9
	s_delay_alu instid0(VALU_DEP_3) | instskip(SKIP_1) | instid1(SALU_CYCLE_1)
	v_cmp_le_i16_e64 s6, v22, v21
	s_and_b32 s5, s5, s6
	s_or_b32 s5, s7, s5
	s_delay_alu instid0(SALU_CYCLE_1) | instskip(NEXT) | instid1(VALU_DEP_1)
	v_cndmask_b32_e64 v10, v5, v9, s5
	v_dual_cndmask_b32 v4, s11, v4, s5 :: v_dual_add_nc_u32 v10, 1, v10
	s_delay_alu instid0(VALU_DEP_1) | instskip(NEXT) | instid1(VALU_DEP_1)
	v_add_min_u32_e64 v4, v4, -1, v10
	v_dual_cndmask_b32 v5, v10, v5, s5 :: v_dual_lshlrev_b32 v4, 1, v4
	s_delay_alu instid0(VALU_DEP_1) | instskip(SKIP_4) | instid1(VALU_DEP_2)
	v_cmp_le_u32_e64 s1, s11, v5
	ds_load_u16 v4, v4
	s_wait_dscnt 0x0
	v_cndmask_b32_e64 v21, v4, v20, s5
	v_dual_cndmask_b32 v22, v19, v4, s5 :: v_dual_cndmask_b32 v4, v9, v10, s5
	v_and_b32_e32 v9, s16, v21
	s_delay_alu instid0(VALU_DEP_2) | instskip(NEXT) | instid1(VALU_DEP_3)
	v_and_b32_e32 v23, s16, v22
	v_cmp_gt_u32_e32 vcc_lo, s9, v4
	v_cndmask_b32_e64 v4, v16, v15, s3
	s_delay_alu instid0(VALU_DEP_3) | instskip(SKIP_2) | instid1(SALU_CYCLE_1)
	v_cmp_le_i16_e64 s0, v23, v9
	v_cndmask_b32_e64 v9, v14, v13, s2
	s_and_b32 s0, vcc_lo, s0
	s_or_b32 vcc_lo, s1, s0
	s_delay_alu instid0(SALU_CYCLE_1)
	v_dual_cndmask_b32 v5, v20, v19, s5 :: v_dual_cndmask_b32 v10, v21, v22, vcc_lo
.LBB679_29:
	s_or_b32 exec_lo, exec_lo, s15
	v_lshrrev_b32_e32 v11, 1, v0
	v_or_b32_e32 v12, 0x80, v0
	v_perm_b32 v2, v7, v2, 0x5040100
	v_lshrrev_b32_e32 v7, 4, v0
	v_perm_b32 v3, v9, v3, 0x5040100
	s_delay_alu instid0(VALU_DEP_4) | instskip(SKIP_2) | instid1(VALU_DEP_3)
	v_dual_lshrrev_b32 v9, 4, v12 :: v_dual_bitop2_b32 v11, 60, v11 bitop3:0x40
	v_perm_b32 v4, v8, v4, 0x5040100
	v_perm_b32 v5, v10, v5, 0x5040100
	v_lshl_add_u32 v1, v1, 1, v11
	v_or_b32_e32 v11, 0x100, v0
	s_barrier_signal -1
	s_barrier_wait -1
	s_delay_alu instid0(VALU_DEP_1)
	v_dual_lshrrev_b32 v13, 4, v11 :: v_dual_bitop2_b32 v8, 12, v9 bitop3:0x40
	v_and_b32_e32 v7, 4, v7
	v_or_b32_e32 v9, 0x180, v0
	s_barrier_signal -1
	s_barrier_wait -1
	v_and_b32_e32 v14, 20, v13
	ds_store_2addr_b32 v1, v2, v3 offset1:1
	ds_store_2addr_b32 v1, v4, v5 offset0:2 offset1:3
	v_dual_add_nc_u32 v13, v8, v6 :: v_dual_add_nc_u32 v10, v7, v6
	v_dual_lshrrev_b32 v1, 4, v9 :: v_dual_add_nc_u32 v14, v14, v6
	v_or_b32_e32 v8, 0x200, v0
	v_or_b32_e32 v5, 0x280, v0
	v_or_b32_e32 v4, 0x300, v0
	s_delay_alu instid0(VALU_DEP_4) | instskip(SKIP_1) | instid1(VALU_DEP_4)
	v_and_b32_e32 v2, 28, v1
	v_or_b32_e32 v1, 0x380, v0
	v_dual_lshrrev_b32 v3, 4, v8 :: v_dual_lshrrev_b32 v7, 4, v5
	s_delay_alu instid0(VALU_DEP_3) | instskip(NEXT) | instid1(VALU_DEP_3)
	v_dual_lshrrev_b32 v16, 4, v4 :: v_dual_add_nc_u32 v15, v2, v6
	v_lshrrev_b32_e32 v2, 4, v1
	s_mov_b32 s11, 0
	s_delay_alu instid0(VALU_DEP_3)
	v_and_b32_e32 v3, 36, v3
	v_dual_mov_b32 v7, 0 :: v_dual_bitop2_b32 v17, 44, v7 bitop3:0x40
	s_lshl_b64 s[0:1], s[10:11], 1
	v_and_b32_e32 v18, 52, v16
	v_and_b32_e32 v19, 60, v2
	s_wait_kmcnt 0x0
	s_add_nc_u64 s[0:1], s[12:13], s[0:1]
	v_add_nc_u32_e32 v16, v3, v6
	v_add_nc_u64_e32 v[2:3], s[0:1], v[6:7]
	v_dual_add_nc_u32 v17, v17, v6 :: v_dual_add_nc_u32 v18, v18, v6
	v_add_nc_u32_e32 v19, v19, v6
	s_and_b32 vcc_lo, exec_lo, s14
	s_wait_dscnt 0x0
	s_cbranch_vccz .LBB679_31
; %bb.30:
	s_barrier_signal -1
	s_barrier_wait -1
	ds_load_u16 v7, v10
	ds_load_u16 v20, v13 offset:256
	ds_load_u16 v21, v14 offset:512
	;; [unrolled: 1-line block ×7, first 2 shown]
	s_mov_b32 s11, -1
	s_wait_dscnt 0x7
	global_store_b16 v[2:3], v7, off
	s_wait_dscnt 0x6
	global_store_b16 v[2:3], v20, off offset:256
	s_wait_dscnt 0x5
	global_store_b16 v[2:3], v21, off offset:512
	;; [unrolled: 2-line block ×6, first 2 shown]
	s_cbranch_execz .LBB679_32
	s_branch .LBB679_41
.LBB679_31:
                                        ; implicit-def: $vgpr6
.LBB679_32:
	s_barrier_signal -1
	s_barrier_wait -1
	s_wait_storecnt_dscnt 0x0
	s_wait_xcnt 0x4
	ds_load_u16 v21, v13 offset:256
	ds_load_u16 v20, v14 offset:512
	;; [unrolled: 1-line block ×7, first 2 shown]
	s_sub_co_i32 s0, s8, s10
	s_mov_b32 s1, exec_lo
	s_wait_xcnt 0x0
	v_cmpx_gt_u32_e64 s0, v0
	s_cbranch_execnz .LBB679_46
; %bb.33:
	s_or_b32 exec_lo, exec_lo, s1
	s_delay_alu instid0(SALU_CYCLE_1)
	s_mov_b32 s1, exec_lo
	v_cmpx_gt_u32_e64 s0, v12
	s_cbranch_execnz .LBB679_47
.LBB679_34:
	s_or_b32 exec_lo, exec_lo, s1
	s_delay_alu instid0(SALU_CYCLE_1)
	s_mov_b32 s1, exec_lo
	v_cmpx_gt_u32_e64 s0, v11
	s_cbranch_execnz .LBB679_48
.LBB679_35:
	s_or_b32 exec_lo, exec_lo, s1
	s_delay_alu instid0(SALU_CYCLE_1)
	s_mov_b32 s1, exec_lo
	v_cmpx_gt_u32_e64 s0, v9
	s_cbranch_execnz .LBB679_49
.LBB679_36:
	s_or_b32 exec_lo, exec_lo, s1
	s_delay_alu instid0(SALU_CYCLE_1)
	s_mov_b32 s1, exec_lo
	v_cmpx_gt_u32_e64 s0, v8
	s_cbranch_execnz .LBB679_50
.LBB679_37:
	s_or_b32 exec_lo, exec_lo, s1
	s_delay_alu instid0(SALU_CYCLE_1)
	s_mov_b32 s1, exec_lo
	v_cmpx_gt_u32_e64 s0, v5
	s_cbranch_execnz .LBB679_51
.LBB679_38:
	s_or_b32 exec_lo, exec_lo, s1
	s_delay_alu instid0(SALU_CYCLE_1)
	s_mov_b32 s1, exec_lo
	v_cmpx_gt_u32_e64 s0, v4
	s_cbranch_execz .LBB679_40
.LBB679_39:
	s_wait_dscnt 0x1
	global_store_b16 v[2:3], v7, off offset:1536
.LBB679_40:
	s_wait_xcnt 0x0
	s_or_b32 exec_lo, exec_lo, s1
	v_cmp_gt_u32_e64 s11, s0, v1
.LBB679_41:
	s_wait_xcnt 0x0
	s_delay_alu instid0(VALU_DEP_1)
	s_and_saveexec_b32 s0, s11
	s_cbranch_execz .LBB679_43
; %bb.42:
	s_wait_dscnt 0x0
	global_store_b16 v[2:3], v6, off offset:1792
.LBB679_43:
	s_endpgm
.LBB679_44:
	v_dual_mov_b32 v7, v2 :: v_dual_mov_b32 v5, v2
	v_sub_co_u32 v4, vcc_lo, v0, s9
	v_mov_b32_e32 v15, v2
	s_delay_alu instid0(VALU_DEP_3) | instskip(SKIP_1) | instid1(VALU_DEP_4)
	v_add_nc_u64_e32 v[12:13], s[12:13], v[6:7]
	v_mov_b32_e32 v14, v2
	v_lshl_add_u64 v[4:5], v[4:5], 1, s[6:7]
	s_delay_alu instid0(VALU_DEP_1) | instskip(SKIP_4) | instid1(VALU_DEP_1)
	v_dual_cndmask_b32 v5, v5, v13 :: v_dual_cndmask_b32 v4, v4, v12
	v_mov_b32_e32 v13, v2
	global_load_u16 v3, v[4:5], off
	s_wait_loadcnt 0x0
	v_and_b32_e32 v12, 0xffff, v3
	v_mov_b64_e32 v[2:3], v[12:13]
	v_mov_b64_e32 v[4:5], v[14:15]
	s_or_b32 exec_lo, exec_lo, s2
	s_delay_alu instid0(SALU_CYCLE_1)
	s_mov_b32 s2, exec_lo
	v_cmpx_gt_u32_e64 s11, v10
	s_cbranch_execz .LBB679_6
.LBB679_45:
	v_mov_b32_e32 v11, 0
	s_delay_alu instid0(VALU_DEP_1) | instskip(SKIP_1) | instid1(VALU_DEP_1)
	v_lshl_add_u64 v[12:13], v[10:11], 1, s[12:13]
	v_sub_co_u32 v10, vcc_lo, v10, s9
	v_lshl_add_u64 v[10:11], v[10:11], 1, s[6:7]
	s_delay_alu instid0(VALU_DEP_1) | instskip(SKIP_4) | instid1(SALU_CYCLE_1)
	v_dual_cndmask_b32 v11, v11, v13 :: v_dual_cndmask_b32 v10, v10, v12
	global_load_u16 v7, v[10:11], off
	s_wait_loadcnt 0x0
	v_perm_b32 v2, v7, v2, 0x5040100
	s_or_b32 exec_lo, exec_lo, s2
	s_mov_b32 s2, exec_lo
	v_cmpx_gt_u32_e64 s11, v8
	s_cbranch_execnz .LBB679_7
	s_branch .LBB679_8
.LBB679_46:
	ds_load_u16 v0, v10
	s_wait_dscnt 0x0
	global_store_b16 v[2:3], v0, off
	s_wait_xcnt 0x0
	s_or_b32 exec_lo, exec_lo, s1
	s_delay_alu instid0(SALU_CYCLE_1)
	s_mov_b32 s1, exec_lo
	v_cmpx_gt_u32_e64 s0, v12
	s_cbranch_execz .LBB679_34
.LBB679_47:
	s_wait_dscnt 0x6
	global_store_b16 v[2:3], v21, off offset:256
	s_wait_xcnt 0x0
	s_or_b32 exec_lo, exec_lo, s1
	s_delay_alu instid0(SALU_CYCLE_1)
	s_mov_b32 s1, exec_lo
	v_cmpx_gt_u32_e64 s0, v11
	s_cbranch_execz .LBB679_35
.LBB679_48:
	s_wait_dscnt 0x5
	global_store_b16 v[2:3], v20, off offset:512
	s_wait_xcnt 0x0
	s_or_b32 exec_lo, exec_lo, s1
	s_delay_alu instid0(SALU_CYCLE_1)
	s_mov_b32 s1, exec_lo
	v_cmpx_gt_u32_e64 s0, v9
	s_cbranch_execz .LBB679_36
.LBB679_49:
	s_wait_dscnt 0x4
	global_store_b16 v[2:3], v15, off offset:768
	s_wait_xcnt 0x0
	s_or_b32 exec_lo, exec_lo, s1
	s_delay_alu instid0(SALU_CYCLE_1)
	s_mov_b32 s1, exec_lo
	v_cmpx_gt_u32_e64 s0, v8
	s_cbranch_execz .LBB679_37
.LBB679_50:
	s_wait_dscnt 0x3
	global_store_b16 v[2:3], v14, off offset:1024
	s_wait_xcnt 0x0
	s_or_b32 exec_lo, exec_lo, s1
	s_delay_alu instid0(SALU_CYCLE_1)
	s_mov_b32 s1, exec_lo
	v_cmpx_gt_u32_e64 s0, v5
	s_cbranch_execz .LBB679_38
.LBB679_51:
	s_wait_dscnt 0x2
	global_store_b16 v[2:3], v13, off offset:1280
	s_wait_xcnt 0x0
	s_or_b32 exec_lo, exec_lo, s1
	s_delay_alu instid0(SALU_CYCLE_1)
	s_mov_b32 s1, exec_lo
	v_cmpx_gt_u32_e64 s0, v4
	s_cbranch_execnz .LBB679_39
	s_branch .LBB679_40
	.section	.rodata,"a",@progbits
	.p2align	6, 0x0
	.amdhsa_kernel _ZN7rocprim17ROCPRIM_400000_NS6detail17trampoline_kernelINS0_14default_configENS1_38merge_sort_block_merge_config_selectorIsNS0_10empty_typeEEEZZNS1_27merge_sort_block_merge_implIS3_PsPS5_jNS1_19radix_merge_compareILb0ELb1EsNS0_19identity_decomposerEEEEE10hipError_tT0_T1_T2_jT3_P12ihipStream_tbPNSt15iterator_traitsISE_E10value_typeEPNSK_ISF_E10value_typeEPSG_NS1_7vsmem_tEENKUlT_SE_SF_SG_E_clIS8_S8_S9_S9_EESD_ST_SE_SF_SG_EUlST_E0_NS1_11comp_targetILNS1_3genE0ELNS1_11target_archE4294967295ELNS1_3gpuE0ELNS1_3repE0EEENS1_38merge_mergepath_config_static_selectorELNS0_4arch9wavefront6targetE0EEEvSF_
		.amdhsa_group_segment_fixed_size 2112
		.amdhsa_private_segment_fixed_size 0
		.amdhsa_kernarg_size 320
		.amdhsa_user_sgpr_count 2
		.amdhsa_user_sgpr_dispatch_ptr 0
		.amdhsa_user_sgpr_queue_ptr 0
		.amdhsa_user_sgpr_kernarg_segment_ptr 1
		.amdhsa_user_sgpr_dispatch_id 0
		.amdhsa_user_sgpr_kernarg_preload_length 0
		.amdhsa_user_sgpr_kernarg_preload_offset 0
		.amdhsa_user_sgpr_private_segment_size 0
		.amdhsa_wavefront_size32 1
		.amdhsa_uses_dynamic_stack 0
		.amdhsa_enable_private_segment 0
		.amdhsa_system_sgpr_workgroup_id_x 1
		.amdhsa_system_sgpr_workgroup_id_y 1
		.amdhsa_system_sgpr_workgroup_id_z 1
		.amdhsa_system_sgpr_workgroup_info 0
		.amdhsa_system_vgpr_workitem_id 0
		.amdhsa_next_free_vgpr 27
		.amdhsa_next_free_sgpr 23
		.amdhsa_named_barrier_count 0
		.amdhsa_reserve_vcc 1
		.amdhsa_float_round_mode_32 0
		.amdhsa_float_round_mode_16_64 0
		.amdhsa_float_denorm_mode_32 3
		.amdhsa_float_denorm_mode_16_64 3
		.amdhsa_fp16_overflow 0
		.amdhsa_memory_ordered 1
		.amdhsa_forward_progress 1
		.amdhsa_inst_pref_size 35
		.amdhsa_round_robin_scheduling 0
		.amdhsa_exception_fp_ieee_invalid_op 0
		.amdhsa_exception_fp_denorm_src 0
		.amdhsa_exception_fp_ieee_div_zero 0
		.amdhsa_exception_fp_ieee_overflow 0
		.amdhsa_exception_fp_ieee_underflow 0
		.amdhsa_exception_fp_ieee_inexact 0
		.amdhsa_exception_int_div_zero 0
	.end_amdhsa_kernel
	.section	.text._ZN7rocprim17ROCPRIM_400000_NS6detail17trampoline_kernelINS0_14default_configENS1_38merge_sort_block_merge_config_selectorIsNS0_10empty_typeEEEZZNS1_27merge_sort_block_merge_implIS3_PsPS5_jNS1_19radix_merge_compareILb0ELb1EsNS0_19identity_decomposerEEEEE10hipError_tT0_T1_T2_jT3_P12ihipStream_tbPNSt15iterator_traitsISE_E10value_typeEPNSK_ISF_E10value_typeEPSG_NS1_7vsmem_tEENKUlT_SE_SF_SG_E_clIS8_S8_S9_S9_EESD_ST_SE_SF_SG_EUlST_E0_NS1_11comp_targetILNS1_3genE0ELNS1_11target_archE4294967295ELNS1_3gpuE0ELNS1_3repE0EEENS1_38merge_mergepath_config_static_selectorELNS0_4arch9wavefront6targetE0EEEvSF_,"axG",@progbits,_ZN7rocprim17ROCPRIM_400000_NS6detail17trampoline_kernelINS0_14default_configENS1_38merge_sort_block_merge_config_selectorIsNS0_10empty_typeEEEZZNS1_27merge_sort_block_merge_implIS3_PsPS5_jNS1_19radix_merge_compareILb0ELb1EsNS0_19identity_decomposerEEEEE10hipError_tT0_T1_T2_jT3_P12ihipStream_tbPNSt15iterator_traitsISE_E10value_typeEPNSK_ISF_E10value_typeEPSG_NS1_7vsmem_tEENKUlT_SE_SF_SG_E_clIS8_S8_S9_S9_EESD_ST_SE_SF_SG_EUlST_E0_NS1_11comp_targetILNS1_3genE0ELNS1_11target_archE4294967295ELNS1_3gpuE0ELNS1_3repE0EEENS1_38merge_mergepath_config_static_selectorELNS0_4arch9wavefront6targetE0EEEvSF_,comdat
.Lfunc_end679:
	.size	_ZN7rocprim17ROCPRIM_400000_NS6detail17trampoline_kernelINS0_14default_configENS1_38merge_sort_block_merge_config_selectorIsNS0_10empty_typeEEEZZNS1_27merge_sort_block_merge_implIS3_PsPS5_jNS1_19radix_merge_compareILb0ELb1EsNS0_19identity_decomposerEEEEE10hipError_tT0_T1_T2_jT3_P12ihipStream_tbPNSt15iterator_traitsISE_E10value_typeEPNSK_ISF_E10value_typeEPSG_NS1_7vsmem_tEENKUlT_SE_SF_SG_E_clIS8_S8_S9_S9_EESD_ST_SE_SF_SG_EUlST_E0_NS1_11comp_targetILNS1_3genE0ELNS1_11target_archE4294967295ELNS1_3gpuE0ELNS1_3repE0EEENS1_38merge_mergepath_config_static_selectorELNS0_4arch9wavefront6targetE0EEEvSF_, .Lfunc_end679-_ZN7rocprim17ROCPRIM_400000_NS6detail17trampoline_kernelINS0_14default_configENS1_38merge_sort_block_merge_config_selectorIsNS0_10empty_typeEEEZZNS1_27merge_sort_block_merge_implIS3_PsPS5_jNS1_19radix_merge_compareILb0ELb1EsNS0_19identity_decomposerEEEEE10hipError_tT0_T1_T2_jT3_P12ihipStream_tbPNSt15iterator_traitsISE_E10value_typeEPNSK_ISF_E10value_typeEPSG_NS1_7vsmem_tEENKUlT_SE_SF_SG_E_clIS8_S8_S9_S9_EESD_ST_SE_SF_SG_EUlST_E0_NS1_11comp_targetILNS1_3genE0ELNS1_11target_archE4294967295ELNS1_3gpuE0ELNS1_3repE0EEENS1_38merge_mergepath_config_static_selectorELNS0_4arch9wavefront6targetE0EEEvSF_
                                        ; -- End function
	.set _ZN7rocprim17ROCPRIM_400000_NS6detail17trampoline_kernelINS0_14default_configENS1_38merge_sort_block_merge_config_selectorIsNS0_10empty_typeEEEZZNS1_27merge_sort_block_merge_implIS3_PsPS5_jNS1_19radix_merge_compareILb0ELb1EsNS0_19identity_decomposerEEEEE10hipError_tT0_T1_T2_jT3_P12ihipStream_tbPNSt15iterator_traitsISE_E10value_typeEPNSK_ISF_E10value_typeEPSG_NS1_7vsmem_tEENKUlT_SE_SF_SG_E_clIS8_S8_S9_S9_EESD_ST_SE_SF_SG_EUlST_E0_NS1_11comp_targetILNS1_3genE0ELNS1_11target_archE4294967295ELNS1_3gpuE0ELNS1_3repE0EEENS1_38merge_mergepath_config_static_selectorELNS0_4arch9wavefront6targetE0EEEvSF_.num_vgpr, 27
	.set _ZN7rocprim17ROCPRIM_400000_NS6detail17trampoline_kernelINS0_14default_configENS1_38merge_sort_block_merge_config_selectorIsNS0_10empty_typeEEEZZNS1_27merge_sort_block_merge_implIS3_PsPS5_jNS1_19radix_merge_compareILb0ELb1EsNS0_19identity_decomposerEEEEE10hipError_tT0_T1_T2_jT3_P12ihipStream_tbPNSt15iterator_traitsISE_E10value_typeEPNSK_ISF_E10value_typeEPSG_NS1_7vsmem_tEENKUlT_SE_SF_SG_E_clIS8_S8_S9_S9_EESD_ST_SE_SF_SG_EUlST_E0_NS1_11comp_targetILNS1_3genE0ELNS1_11target_archE4294967295ELNS1_3gpuE0ELNS1_3repE0EEENS1_38merge_mergepath_config_static_selectorELNS0_4arch9wavefront6targetE0EEEvSF_.num_agpr, 0
	.set _ZN7rocprim17ROCPRIM_400000_NS6detail17trampoline_kernelINS0_14default_configENS1_38merge_sort_block_merge_config_selectorIsNS0_10empty_typeEEEZZNS1_27merge_sort_block_merge_implIS3_PsPS5_jNS1_19radix_merge_compareILb0ELb1EsNS0_19identity_decomposerEEEEE10hipError_tT0_T1_T2_jT3_P12ihipStream_tbPNSt15iterator_traitsISE_E10value_typeEPNSK_ISF_E10value_typeEPSG_NS1_7vsmem_tEENKUlT_SE_SF_SG_E_clIS8_S8_S9_S9_EESD_ST_SE_SF_SG_EUlST_E0_NS1_11comp_targetILNS1_3genE0ELNS1_11target_archE4294967295ELNS1_3gpuE0ELNS1_3repE0EEENS1_38merge_mergepath_config_static_selectorELNS0_4arch9wavefront6targetE0EEEvSF_.numbered_sgpr, 23
	.set _ZN7rocprim17ROCPRIM_400000_NS6detail17trampoline_kernelINS0_14default_configENS1_38merge_sort_block_merge_config_selectorIsNS0_10empty_typeEEEZZNS1_27merge_sort_block_merge_implIS3_PsPS5_jNS1_19radix_merge_compareILb0ELb1EsNS0_19identity_decomposerEEEEE10hipError_tT0_T1_T2_jT3_P12ihipStream_tbPNSt15iterator_traitsISE_E10value_typeEPNSK_ISF_E10value_typeEPSG_NS1_7vsmem_tEENKUlT_SE_SF_SG_E_clIS8_S8_S9_S9_EESD_ST_SE_SF_SG_EUlST_E0_NS1_11comp_targetILNS1_3genE0ELNS1_11target_archE4294967295ELNS1_3gpuE0ELNS1_3repE0EEENS1_38merge_mergepath_config_static_selectorELNS0_4arch9wavefront6targetE0EEEvSF_.num_named_barrier, 0
	.set _ZN7rocprim17ROCPRIM_400000_NS6detail17trampoline_kernelINS0_14default_configENS1_38merge_sort_block_merge_config_selectorIsNS0_10empty_typeEEEZZNS1_27merge_sort_block_merge_implIS3_PsPS5_jNS1_19radix_merge_compareILb0ELb1EsNS0_19identity_decomposerEEEEE10hipError_tT0_T1_T2_jT3_P12ihipStream_tbPNSt15iterator_traitsISE_E10value_typeEPNSK_ISF_E10value_typeEPSG_NS1_7vsmem_tEENKUlT_SE_SF_SG_E_clIS8_S8_S9_S9_EESD_ST_SE_SF_SG_EUlST_E0_NS1_11comp_targetILNS1_3genE0ELNS1_11target_archE4294967295ELNS1_3gpuE0ELNS1_3repE0EEENS1_38merge_mergepath_config_static_selectorELNS0_4arch9wavefront6targetE0EEEvSF_.private_seg_size, 0
	.set _ZN7rocprim17ROCPRIM_400000_NS6detail17trampoline_kernelINS0_14default_configENS1_38merge_sort_block_merge_config_selectorIsNS0_10empty_typeEEEZZNS1_27merge_sort_block_merge_implIS3_PsPS5_jNS1_19radix_merge_compareILb0ELb1EsNS0_19identity_decomposerEEEEE10hipError_tT0_T1_T2_jT3_P12ihipStream_tbPNSt15iterator_traitsISE_E10value_typeEPNSK_ISF_E10value_typeEPSG_NS1_7vsmem_tEENKUlT_SE_SF_SG_E_clIS8_S8_S9_S9_EESD_ST_SE_SF_SG_EUlST_E0_NS1_11comp_targetILNS1_3genE0ELNS1_11target_archE4294967295ELNS1_3gpuE0ELNS1_3repE0EEENS1_38merge_mergepath_config_static_selectorELNS0_4arch9wavefront6targetE0EEEvSF_.uses_vcc, 1
	.set _ZN7rocprim17ROCPRIM_400000_NS6detail17trampoline_kernelINS0_14default_configENS1_38merge_sort_block_merge_config_selectorIsNS0_10empty_typeEEEZZNS1_27merge_sort_block_merge_implIS3_PsPS5_jNS1_19radix_merge_compareILb0ELb1EsNS0_19identity_decomposerEEEEE10hipError_tT0_T1_T2_jT3_P12ihipStream_tbPNSt15iterator_traitsISE_E10value_typeEPNSK_ISF_E10value_typeEPSG_NS1_7vsmem_tEENKUlT_SE_SF_SG_E_clIS8_S8_S9_S9_EESD_ST_SE_SF_SG_EUlST_E0_NS1_11comp_targetILNS1_3genE0ELNS1_11target_archE4294967295ELNS1_3gpuE0ELNS1_3repE0EEENS1_38merge_mergepath_config_static_selectorELNS0_4arch9wavefront6targetE0EEEvSF_.uses_flat_scratch, 0
	.set _ZN7rocprim17ROCPRIM_400000_NS6detail17trampoline_kernelINS0_14default_configENS1_38merge_sort_block_merge_config_selectorIsNS0_10empty_typeEEEZZNS1_27merge_sort_block_merge_implIS3_PsPS5_jNS1_19radix_merge_compareILb0ELb1EsNS0_19identity_decomposerEEEEE10hipError_tT0_T1_T2_jT3_P12ihipStream_tbPNSt15iterator_traitsISE_E10value_typeEPNSK_ISF_E10value_typeEPSG_NS1_7vsmem_tEENKUlT_SE_SF_SG_E_clIS8_S8_S9_S9_EESD_ST_SE_SF_SG_EUlST_E0_NS1_11comp_targetILNS1_3genE0ELNS1_11target_archE4294967295ELNS1_3gpuE0ELNS1_3repE0EEENS1_38merge_mergepath_config_static_selectorELNS0_4arch9wavefront6targetE0EEEvSF_.has_dyn_sized_stack, 0
	.set _ZN7rocprim17ROCPRIM_400000_NS6detail17trampoline_kernelINS0_14default_configENS1_38merge_sort_block_merge_config_selectorIsNS0_10empty_typeEEEZZNS1_27merge_sort_block_merge_implIS3_PsPS5_jNS1_19radix_merge_compareILb0ELb1EsNS0_19identity_decomposerEEEEE10hipError_tT0_T1_T2_jT3_P12ihipStream_tbPNSt15iterator_traitsISE_E10value_typeEPNSK_ISF_E10value_typeEPSG_NS1_7vsmem_tEENKUlT_SE_SF_SG_E_clIS8_S8_S9_S9_EESD_ST_SE_SF_SG_EUlST_E0_NS1_11comp_targetILNS1_3genE0ELNS1_11target_archE4294967295ELNS1_3gpuE0ELNS1_3repE0EEENS1_38merge_mergepath_config_static_selectorELNS0_4arch9wavefront6targetE0EEEvSF_.has_recursion, 0
	.set _ZN7rocprim17ROCPRIM_400000_NS6detail17trampoline_kernelINS0_14default_configENS1_38merge_sort_block_merge_config_selectorIsNS0_10empty_typeEEEZZNS1_27merge_sort_block_merge_implIS3_PsPS5_jNS1_19radix_merge_compareILb0ELb1EsNS0_19identity_decomposerEEEEE10hipError_tT0_T1_T2_jT3_P12ihipStream_tbPNSt15iterator_traitsISE_E10value_typeEPNSK_ISF_E10value_typeEPSG_NS1_7vsmem_tEENKUlT_SE_SF_SG_E_clIS8_S8_S9_S9_EESD_ST_SE_SF_SG_EUlST_E0_NS1_11comp_targetILNS1_3genE0ELNS1_11target_archE4294967295ELNS1_3gpuE0ELNS1_3repE0EEENS1_38merge_mergepath_config_static_selectorELNS0_4arch9wavefront6targetE0EEEvSF_.has_indirect_call, 0
	.section	.AMDGPU.csdata,"",@progbits
; Kernel info:
; codeLenInByte = 4472
; TotalNumSgprs: 25
; NumVgprs: 27
; ScratchSize: 0
; MemoryBound: 0
; FloatMode: 240
; IeeeMode: 1
; LDSByteSize: 2112 bytes/workgroup (compile time only)
; SGPRBlocks: 0
; VGPRBlocks: 1
; NumSGPRsForWavesPerEU: 25
; NumVGPRsForWavesPerEU: 27
; NamedBarCnt: 0
; Occupancy: 16
; WaveLimiterHint : 1
; COMPUTE_PGM_RSRC2:SCRATCH_EN: 0
; COMPUTE_PGM_RSRC2:USER_SGPR: 2
; COMPUTE_PGM_RSRC2:TRAP_HANDLER: 0
; COMPUTE_PGM_RSRC2:TGID_X_EN: 1
; COMPUTE_PGM_RSRC2:TGID_Y_EN: 1
; COMPUTE_PGM_RSRC2:TGID_Z_EN: 1
; COMPUTE_PGM_RSRC2:TIDIG_COMP_CNT: 0
	.section	.text._ZN7rocprim17ROCPRIM_400000_NS6detail17trampoline_kernelINS0_14default_configENS1_38merge_sort_block_merge_config_selectorIsNS0_10empty_typeEEEZZNS1_27merge_sort_block_merge_implIS3_PsPS5_jNS1_19radix_merge_compareILb0ELb1EsNS0_19identity_decomposerEEEEE10hipError_tT0_T1_T2_jT3_P12ihipStream_tbPNSt15iterator_traitsISE_E10value_typeEPNSK_ISF_E10value_typeEPSG_NS1_7vsmem_tEENKUlT_SE_SF_SG_E_clIS8_S8_S9_S9_EESD_ST_SE_SF_SG_EUlST_E0_NS1_11comp_targetILNS1_3genE10ELNS1_11target_archE1201ELNS1_3gpuE5ELNS1_3repE0EEENS1_38merge_mergepath_config_static_selectorELNS0_4arch9wavefront6targetE0EEEvSF_,"axG",@progbits,_ZN7rocprim17ROCPRIM_400000_NS6detail17trampoline_kernelINS0_14default_configENS1_38merge_sort_block_merge_config_selectorIsNS0_10empty_typeEEEZZNS1_27merge_sort_block_merge_implIS3_PsPS5_jNS1_19radix_merge_compareILb0ELb1EsNS0_19identity_decomposerEEEEE10hipError_tT0_T1_T2_jT3_P12ihipStream_tbPNSt15iterator_traitsISE_E10value_typeEPNSK_ISF_E10value_typeEPSG_NS1_7vsmem_tEENKUlT_SE_SF_SG_E_clIS8_S8_S9_S9_EESD_ST_SE_SF_SG_EUlST_E0_NS1_11comp_targetILNS1_3genE10ELNS1_11target_archE1201ELNS1_3gpuE5ELNS1_3repE0EEENS1_38merge_mergepath_config_static_selectorELNS0_4arch9wavefront6targetE0EEEvSF_,comdat
	.protected	_ZN7rocprim17ROCPRIM_400000_NS6detail17trampoline_kernelINS0_14default_configENS1_38merge_sort_block_merge_config_selectorIsNS0_10empty_typeEEEZZNS1_27merge_sort_block_merge_implIS3_PsPS5_jNS1_19radix_merge_compareILb0ELb1EsNS0_19identity_decomposerEEEEE10hipError_tT0_T1_T2_jT3_P12ihipStream_tbPNSt15iterator_traitsISE_E10value_typeEPNSK_ISF_E10value_typeEPSG_NS1_7vsmem_tEENKUlT_SE_SF_SG_E_clIS8_S8_S9_S9_EESD_ST_SE_SF_SG_EUlST_E0_NS1_11comp_targetILNS1_3genE10ELNS1_11target_archE1201ELNS1_3gpuE5ELNS1_3repE0EEENS1_38merge_mergepath_config_static_selectorELNS0_4arch9wavefront6targetE0EEEvSF_ ; -- Begin function _ZN7rocprim17ROCPRIM_400000_NS6detail17trampoline_kernelINS0_14default_configENS1_38merge_sort_block_merge_config_selectorIsNS0_10empty_typeEEEZZNS1_27merge_sort_block_merge_implIS3_PsPS5_jNS1_19radix_merge_compareILb0ELb1EsNS0_19identity_decomposerEEEEE10hipError_tT0_T1_T2_jT3_P12ihipStream_tbPNSt15iterator_traitsISE_E10value_typeEPNSK_ISF_E10value_typeEPSG_NS1_7vsmem_tEENKUlT_SE_SF_SG_E_clIS8_S8_S9_S9_EESD_ST_SE_SF_SG_EUlST_E0_NS1_11comp_targetILNS1_3genE10ELNS1_11target_archE1201ELNS1_3gpuE5ELNS1_3repE0EEENS1_38merge_mergepath_config_static_selectorELNS0_4arch9wavefront6targetE0EEEvSF_
	.globl	_ZN7rocprim17ROCPRIM_400000_NS6detail17trampoline_kernelINS0_14default_configENS1_38merge_sort_block_merge_config_selectorIsNS0_10empty_typeEEEZZNS1_27merge_sort_block_merge_implIS3_PsPS5_jNS1_19radix_merge_compareILb0ELb1EsNS0_19identity_decomposerEEEEE10hipError_tT0_T1_T2_jT3_P12ihipStream_tbPNSt15iterator_traitsISE_E10value_typeEPNSK_ISF_E10value_typeEPSG_NS1_7vsmem_tEENKUlT_SE_SF_SG_E_clIS8_S8_S9_S9_EESD_ST_SE_SF_SG_EUlST_E0_NS1_11comp_targetILNS1_3genE10ELNS1_11target_archE1201ELNS1_3gpuE5ELNS1_3repE0EEENS1_38merge_mergepath_config_static_selectorELNS0_4arch9wavefront6targetE0EEEvSF_
	.p2align	8
	.type	_ZN7rocprim17ROCPRIM_400000_NS6detail17trampoline_kernelINS0_14default_configENS1_38merge_sort_block_merge_config_selectorIsNS0_10empty_typeEEEZZNS1_27merge_sort_block_merge_implIS3_PsPS5_jNS1_19radix_merge_compareILb0ELb1EsNS0_19identity_decomposerEEEEE10hipError_tT0_T1_T2_jT3_P12ihipStream_tbPNSt15iterator_traitsISE_E10value_typeEPNSK_ISF_E10value_typeEPSG_NS1_7vsmem_tEENKUlT_SE_SF_SG_E_clIS8_S8_S9_S9_EESD_ST_SE_SF_SG_EUlST_E0_NS1_11comp_targetILNS1_3genE10ELNS1_11target_archE1201ELNS1_3gpuE5ELNS1_3repE0EEENS1_38merge_mergepath_config_static_selectorELNS0_4arch9wavefront6targetE0EEEvSF_,@function
_ZN7rocprim17ROCPRIM_400000_NS6detail17trampoline_kernelINS0_14default_configENS1_38merge_sort_block_merge_config_selectorIsNS0_10empty_typeEEEZZNS1_27merge_sort_block_merge_implIS3_PsPS5_jNS1_19radix_merge_compareILb0ELb1EsNS0_19identity_decomposerEEEEE10hipError_tT0_T1_T2_jT3_P12ihipStream_tbPNSt15iterator_traitsISE_E10value_typeEPNSK_ISF_E10value_typeEPSG_NS1_7vsmem_tEENKUlT_SE_SF_SG_E_clIS8_S8_S9_S9_EESD_ST_SE_SF_SG_EUlST_E0_NS1_11comp_targetILNS1_3genE10ELNS1_11target_archE1201ELNS1_3gpuE5ELNS1_3repE0EEENS1_38merge_mergepath_config_static_selectorELNS0_4arch9wavefront6targetE0EEEvSF_: ; @_ZN7rocprim17ROCPRIM_400000_NS6detail17trampoline_kernelINS0_14default_configENS1_38merge_sort_block_merge_config_selectorIsNS0_10empty_typeEEEZZNS1_27merge_sort_block_merge_implIS3_PsPS5_jNS1_19radix_merge_compareILb0ELb1EsNS0_19identity_decomposerEEEEE10hipError_tT0_T1_T2_jT3_P12ihipStream_tbPNSt15iterator_traitsISE_E10value_typeEPNSK_ISF_E10value_typeEPSG_NS1_7vsmem_tEENKUlT_SE_SF_SG_E_clIS8_S8_S9_S9_EESD_ST_SE_SF_SG_EUlST_E0_NS1_11comp_targetILNS1_3genE10ELNS1_11target_archE1201ELNS1_3gpuE5ELNS1_3repE0EEENS1_38merge_mergepath_config_static_selectorELNS0_4arch9wavefront6targetE0EEEvSF_
; %bb.0:
	.section	.rodata,"a",@progbits
	.p2align	6, 0x0
	.amdhsa_kernel _ZN7rocprim17ROCPRIM_400000_NS6detail17trampoline_kernelINS0_14default_configENS1_38merge_sort_block_merge_config_selectorIsNS0_10empty_typeEEEZZNS1_27merge_sort_block_merge_implIS3_PsPS5_jNS1_19radix_merge_compareILb0ELb1EsNS0_19identity_decomposerEEEEE10hipError_tT0_T1_T2_jT3_P12ihipStream_tbPNSt15iterator_traitsISE_E10value_typeEPNSK_ISF_E10value_typeEPSG_NS1_7vsmem_tEENKUlT_SE_SF_SG_E_clIS8_S8_S9_S9_EESD_ST_SE_SF_SG_EUlST_E0_NS1_11comp_targetILNS1_3genE10ELNS1_11target_archE1201ELNS1_3gpuE5ELNS1_3repE0EEENS1_38merge_mergepath_config_static_selectorELNS0_4arch9wavefront6targetE0EEEvSF_
		.amdhsa_group_segment_fixed_size 0
		.amdhsa_private_segment_fixed_size 0
		.amdhsa_kernarg_size 64
		.amdhsa_user_sgpr_count 2
		.amdhsa_user_sgpr_dispatch_ptr 0
		.amdhsa_user_sgpr_queue_ptr 0
		.amdhsa_user_sgpr_kernarg_segment_ptr 1
		.amdhsa_user_sgpr_dispatch_id 0
		.amdhsa_user_sgpr_kernarg_preload_length 0
		.amdhsa_user_sgpr_kernarg_preload_offset 0
		.amdhsa_user_sgpr_private_segment_size 0
		.amdhsa_wavefront_size32 1
		.amdhsa_uses_dynamic_stack 0
		.amdhsa_enable_private_segment 0
		.amdhsa_system_sgpr_workgroup_id_x 1
		.amdhsa_system_sgpr_workgroup_id_y 0
		.amdhsa_system_sgpr_workgroup_id_z 0
		.amdhsa_system_sgpr_workgroup_info 0
		.amdhsa_system_vgpr_workitem_id 0
		.amdhsa_next_free_vgpr 1
		.amdhsa_next_free_sgpr 1
		.amdhsa_named_barrier_count 0
		.amdhsa_reserve_vcc 0
		.amdhsa_float_round_mode_32 0
		.amdhsa_float_round_mode_16_64 0
		.amdhsa_float_denorm_mode_32 3
		.amdhsa_float_denorm_mode_16_64 3
		.amdhsa_fp16_overflow 0
		.amdhsa_memory_ordered 1
		.amdhsa_forward_progress 1
		.amdhsa_inst_pref_size 0
		.amdhsa_round_robin_scheduling 0
		.amdhsa_exception_fp_ieee_invalid_op 0
		.amdhsa_exception_fp_denorm_src 0
		.amdhsa_exception_fp_ieee_div_zero 0
		.amdhsa_exception_fp_ieee_overflow 0
		.amdhsa_exception_fp_ieee_underflow 0
		.amdhsa_exception_fp_ieee_inexact 0
		.amdhsa_exception_int_div_zero 0
	.end_amdhsa_kernel
	.section	.text._ZN7rocprim17ROCPRIM_400000_NS6detail17trampoline_kernelINS0_14default_configENS1_38merge_sort_block_merge_config_selectorIsNS0_10empty_typeEEEZZNS1_27merge_sort_block_merge_implIS3_PsPS5_jNS1_19radix_merge_compareILb0ELb1EsNS0_19identity_decomposerEEEEE10hipError_tT0_T1_T2_jT3_P12ihipStream_tbPNSt15iterator_traitsISE_E10value_typeEPNSK_ISF_E10value_typeEPSG_NS1_7vsmem_tEENKUlT_SE_SF_SG_E_clIS8_S8_S9_S9_EESD_ST_SE_SF_SG_EUlST_E0_NS1_11comp_targetILNS1_3genE10ELNS1_11target_archE1201ELNS1_3gpuE5ELNS1_3repE0EEENS1_38merge_mergepath_config_static_selectorELNS0_4arch9wavefront6targetE0EEEvSF_,"axG",@progbits,_ZN7rocprim17ROCPRIM_400000_NS6detail17trampoline_kernelINS0_14default_configENS1_38merge_sort_block_merge_config_selectorIsNS0_10empty_typeEEEZZNS1_27merge_sort_block_merge_implIS3_PsPS5_jNS1_19radix_merge_compareILb0ELb1EsNS0_19identity_decomposerEEEEE10hipError_tT0_T1_T2_jT3_P12ihipStream_tbPNSt15iterator_traitsISE_E10value_typeEPNSK_ISF_E10value_typeEPSG_NS1_7vsmem_tEENKUlT_SE_SF_SG_E_clIS8_S8_S9_S9_EESD_ST_SE_SF_SG_EUlST_E0_NS1_11comp_targetILNS1_3genE10ELNS1_11target_archE1201ELNS1_3gpuE5ELNS1_3repE0EEENS1_38merge_mergepath_config_static_selectorELNS0_4arch9wavefront6targetE0EEEvSF_,comdat
.Lfunc_end680:
	.size	_ZN7rocprim17ROCPRIM_400000_NS6detail17trampoline_kernelINS0_14default_configENS1_38merge_sort_block_merge_config_selectorIsNS0_10empty_typeEEEZZNS1_27merge_sort_block_merge_implIS3_PsPS5_jNS1_19radix_merge_compareILb0ELb1EsNS0_19identity_decomposerEEEEE10hipError_tT0_T1_T2_jT3_P12ihipStream_tbPNSt15iterator_traitsISE_E10value_typeEPNSK_ISF_E10value_typeEPSG_NS1_7vsmem_tEENKUlT_SE_SF_SG_E_clIS8_S8_S9_S9_EESD_ST_SE_SF_SG_EUlST_E0_NS1_11comp_targetILNS1_3genE10ELNS1_11target_archE1201ELNS1_3gpuE5ELNS1_3repE0EEENS1_38merge_mergepath_config_static_selectorELNS0_4arch9wavefront6targetE0EEEvSF_, .Lfunc_end680-_ZN7rocprim17ROCPRIM_400000_NS6detail17trampoline_kernelINS0_14default_configENS1_38merge_sort_block_merge_config_selectorIsNS0_10empty_typeEEEZZNS1_27merge_sort_block_merge_implIS3_PsPS5_jNS1_19radix_merge_compareILb0ELb1EsNS0_19identity_decomposerEEEEE10hipError_tT0_T1_T2_jT3_P12ihipStream_tbPNSt15iterator_traitsISE_E10value_typeEPNSK_ISF_E10value_typeEPSG_NS1_7vsmem_tEENKUlT_SE_SF_SG_E_clIS8_S8_S9_S9_EESD_ST_SE_SF_SG_EUlST_E0_NS1_11comp_targetILNS1_3genE10ELNS1_11target_archE1201ELNS1_3gpuE5ELNS1_3repE0EEENS1_38merge_mergepath_config_static_selectorELNS0_4arch9wavefront6targetE0EEEvSF_
                                        ; -- End function
	.set _ZN7rocprim17ROCPRIM_400000_NS6detail17trampoline_kernelINS0_14default_configENS1_38merge_sort_block_merge_config_selectorIsNS0_10empty_typeEEEZZNS1_27merge_sort_block_merge_implIS3_PsPS5_jNS1_19radix_merge_compareILb0ELb1EsNS0_19identity_decomposerEEEEE10hipError_tT0_T1_T2_jT3_P12ihipStream_tbPNSt15iterator_traitsISE_E10value_typeEPNSK_ISF_E10value_typeEPSG_NS1_7vsmem_tEENKUlT_SE_SF_SG_E_clIS8_S8_S9_S9_EESD_ST_SE_SF_SG_EUlST_E0_NS1_11comp_targetILNS1_3genE10ELNS1_11target_archE1201ELNS1_3gpuE5ELNS1_3repE0EEENS1_38merge_mergepath_config_static_selectorELNS0_4arch9wavefront6targetE0EEEvSF_.num_vgpr, 0
	.set _ZN7rocprim17ROCPRIM_400000_NS6detail17trampoline_kernelINS0_14default_configENS1_38merge_sort_block_merge_config_selectorIsNS0_10empty_typeEEEZZNS1_27merge_sort_block_merge_implIS3_PsPS5_jNS1_19radix_merge_compareILb0ELb1EsNS0_19identity_decomposerEEEEE10hipError_tT0_T1_T2_jT3_P12ihipStream_tbPNSt15iterator_traitsISE_E10value_typeEPNSK_ISF_E10value_typeEPSG_NS1_7vsmem_tEENKUlT_SE_SF_SG_E_clIS8_S8_S9_S9_EESD_ST_SE_SF_SG_EUlST_E0_NS1_11comp_targetILNS1_3genE10ELNS1_11target_archE1201ELNS1_3gpuE5ELNS1_3repE0EEENS1_38merge_mergepath_config_static_selectorELNS0_4arch9wavefront6targetE0EEEvSF_.num_agpr, 0
	.set _ZN7rocprim17ROCPRIM_400000_NS6detail17trampoline_kernelINS0_14default_configENS1_38merge_sort_block_merge_config_selectorIsNS0_10empty_typeEEEZZNS1_27merge_sort_block_merge_implIS3_PsPS5_jNS1_19radix_merge_compareILb0ELb1EsNS0_19identity_decomposerEEEEE10hipError_tT0_T1_T2_jT3_P12ihipStream_tbPNSt15iterator_traitsISE_E10value_typeEPNSK_ISF_E10value_typeEPSG_NS1_7vsmem_tEENKUlT_SE_SF_SG_E_clIS8_S8_S9_S9_EESD_ST_SE_SF_SG_EUlST_E0_NS1_11comp_targetILNS1_3genE10ELNS1_11target_archE1201ELNS1_3gpuE5ELNS1_3repE0EEENS1_38merge_mergepath_config_static_selectorELNS0_4arch9wavefront6targetE0EEEvSF_.numbered_sgpr, 0
	.set _ZN7rocprim17ROCPRIM_400000_NS6detail17trampoline_kernelINS0_14default_configENS1_38merge_sort_block_merge_config_selectorIsNS0_10empty_typeEEEZZNS1_27merge_sort_block_merge_implIS3_PsPS5_jNS1_19radix_merge_compareILb0ELb1EsNS0_19identity_decomposerEEEEE10hipError_tT0_T1_T2_jT3_P12ihipStream_tbPNSt15iterator_traitsISE_E10value_typeEPNSK_ISF_E10value_typeEPSG_NS1_7vsmem_tEENKUlT_SE_SF_SG_E_clIS8_S8_S9_S9_EESD_ST_SE_SF_SG_EUlST_E0_NS1_11comp_targetILNS1_3genE10ELNS1_11target_archE1201ELNS1_3gpuE5ELNS1_3repE0EEENS1_38merge_mergepath_config_static_selectorELNS0_4arch9wavefront6targetE0EEEvSF_.num_named_barrier, 0
	.set _ZN7rocprim17ROCPRIM_400000_NS6detail17trampoline_kernelINS0_14default_configENS1_38merge_sort_block_merge_config_selectorIsNS0_10empty_typeEEEZZNS1_27merge_sort_block_merge_implIS3_PsPS5_jNS1_19radix_merge_compareILb0ELb1EsNS0_19identity_decomposerEEEEE10hipError_tT0_T1_T2_jT3_P12ihipStream_tbPNSt15iterator_traitsISE_E10value_typeEPNSK_ISF_E10value_typeEPSG_NS1_7vsmem_tEENKUlT_SE_SF_SG_E_clIS8_S8_S9_S9_EESD_ST_SE_SF_SG_EUlST_E0_NS1_11comp_targetILNS1_3genE10ELNS1_11target_archE1201ELNS1_3gpuE5ELNS1_3repE0EEENS1_38merge_mergepath_config_static_selectorELNS0_4arch9wavefront6targetE0EEEvSF_.private_seg_size, 0
	.set _ZN7rocprim17ROCPRIM_400000_NS6detail17trampoline_kernelINS0_14default_configENS1_38merge_sort_block_merge_config_selectorIsNS0_10empty_typeEEEZZNS1_27merge_sort_block_merge_implIS3_PsPS5_jNS1_19radix_merge_compareILb0ELb1EsNS0_19identity_decomposerEEEEE10hipError_tT0_T1_T2_jT3_P12ihipStream_tbPNSt15iterator_traitsISE_E10value_typeEPNSK_ISF_E10value_typeEPSG_NS1_7vsmem_tEENKUlT_SE_SF_SG_E_clIS8_S8_S9_S9_EESD_ST_SE_SF_SG_EUlST_E0_NS1_11comp_targetILNS1_3genE10ELNS1_11target_archE1201ELNS1_3gpuE5ELNS1_3repE0EEENS1_38merge_mergepath_config_static_selectorELNS0_4arch9wavefront6targetE0EEEvSF_.uses_vcc, 0
	.set _ZN7rocprim17ROCPRIM_400000_NS6detail17trampoline_kernelINS0_14default_configENS1_38merge_sort_block_merge_config_selectorIsNS0_10empty_typeEEEZZNS1_27merge_sort_block_merge_implIS3_PsPS5_jNS1_19radix_merge_compareILb0ELb1EsNS0_19identity_decomposerEEEEE10hipError_tT0_T1_T2_jT3_P12ihipStream_tbPNSt15iterator_traitsISE_E10value_typeEPNSK_ISF_E10value_typeEPSG_NS1_7vsmem_tEENKUlT_SE_SF_SG_E_clIS8_S8_S9_S9_EESD_ST_SE_SF_SG_EUlST_E0_NS1_11comp_targetILNS1_3genE10ELNS1_11target_archE1201ELNS1_3gpuE5ELNS1_3repE0EEENS1_38merge_mergepath_config_static_selectorELNS0_4arch9wavefront6targetE0EEEvSF_.uses_flat_scratch, 0
	.set _ZN7rocprim17ROCPRIM_400000_NS6detail17trampoline_kernelINS0_14default_configENS1_38merge_sort_block_merge_config_selectorIsNS0_10empty_typeEEEZZNS1_27merge_sort_block_merge_implIS3_PsPS5_jNS1_19radix_merge_compareILb0ELb1EsNS0_19identity_decomposerEEEEE10hipError_tT0_T1_T2_jT3_P12ihipStream_tbPNSt15iterator_traitsISE_E10value_typeEPNSK_ISF_E10value_typeEPSG_NS1_7vsmem_tEENKUlT_SE_SF_SG_E_clIS8_S8_S9_S9_EESD_ST_SE_SF_SG_EUlST_E0_NS1_11comp_targetILNS1_3genE10ELNS1_11target_archE1201ELNS1_3gpuE5ELNS1_3repE0EEENS1_38merge_mergepath_config_static_selectorELNS0_4arch9wavefront6targetE0EEEvSF_.has_dyn_sized_stack, 0
	.set _ZN7rocprim17ROCPRIM_400000_NS6detail17trampoline_kernelINS0_14default_configENS1_38merge_sort_block_merge_config_selectorIsNS0_10empty_typeEEEZZNS1_27merge_sort_block_merge_implIS3_PsPS5_jNS1_19radix_merge_compareILb0ELb1EsNS0_19identity_decomposerEEEEE10hipError_tT0_T1_T2_jT3_P12ihipStream_tbPNSt15iterator_traitsISE_E10value_typeEPNSK_ISF_E10value_typeEPSG_NS1_7vsmem_tEENKUlT_SE_SF_SG_E_clIS8_S8_S9_S9_EESD_ST_SE_SF_SG_EUlST_E0_NS1_11comp_targetILNS1_3genE10ELNS1_11target_archE1201ELNS1_3gpuE5ELNS1_3repE0EEENS1_38merge_mergepath_config_static_selectorELNS0_4arch9wavefront6targetE0EEEvSF_.has_recursion, 0
	.set _ZN7rocprim17ROCPRIM_400000_NS6detail17trampoline_kernelINS0_14default_configENS1_38merge_sort_block_merge_config_selectorIsNS0_10empty_typeEEEZZNS1_27merge_sort_block_merge_implIS3_PsPS5_jNS1_19radix_merge_compareILb0ELb1EsNS0_19identity_decomposerEEEEE10hipError_tT0_T1_T2_jT3_P12ihipStream_tbPNSt15iterator_traitsISE_E10value_typeEPNSK_ISF_E10value_typeEPSG_NS1_7vsmem_tEENKUlT_SE_SF_SG_E_clIS8_S8_S9_S9_EESD_ST_SE_SF_SG_EUlST_E0_NS1_11comp_targetILNS1_3genE10ELNS1_11target_archE1201ELNS1_3gpuE5ELNS1_3repE0EEENS1_38merge_mergepath_config_static_selectorELNS0_4arch9wavefront6targetE0EEEvSF_.has_indirect_call, 0
	.section	.AMDGPU.csdata,"",@progbits
; Kernel info:
; codeLenInByte = 0
; TotalNumSgprs: 0
; NumVgprs: 0
; ScratchSize: 0
; MemoryBound: 0
; FloatMode: 240
; IeeeMode: 1
; LDSByteSize: 0 bytes/workgroup (compile time only)
; SGPRBlocks: 0
; VGPRBlocks: 0
; NumSGPRsForWavesPerEU: 1
; NumVGPRsForWavesPerEU: 1
; NamedBarCnt: 0
; Occupancy: 16
; WaveLimiterHint : 0
; COMPUTE_PGM_RSRC2:SCRATCH_EN: 0
; COMPUTE_PGM_RSRC2:USER_SGPR: 2
; COMPUTE_PGM_RSRC2:TRAP_HANDLER: 0
; COMPUTE_PGM_RSRC2:TGID_X_EN: 1
; COMPUTE_PGM_RSRC2:TGID_Y_EN: 0
; COMPUTE_PGM_RSRC2:TGID_Z_EN: 0
; COMPUTE_PGM_RSRC2:TIDIG_COMP_CNT: 0
	.section	.text._ZN7rocprim17ROCPRIM_400000_NS6detail17trampoline_kernelINS0_14default_configENS1_38merge_sort_block_merge_config_selectorIsNS0_10empty_typeEEEZZNS1_27merge_sort_block_merge_implIS3_PsPS5_jNS1_19radix_merge_compareILb0ELb1EsNS0_19identity_decomposerEEEEE10hipError_tT0_T1_T2_jT3_P12ihipStream_tbPNSt15iterator_traitsISE_E10value_typeEPNSK_ISF_E10value_typeEPSG_NS1_7vsmem_tEENKUlT_SE_SF_SG_E_clIS8_S8_S9_S9_EESD_ST_SE_SF_SG_EUlST_E0_NS1_11comp_targetILNS1_3genE5ELNS1_11target_archE942ELNS1_3gpuE9ELNS1_3repE0EEENS1_38merge_mergepath_config_static_selectorELNS0_4arch9wavefront6targetE0EEEvSF_,"axG",@progbits,_ZN7rocprim17ROCPRIM_400000_NS6detail17trampoline_kernelINS0_14default_configENS1_38merge_sort_block_merge_config_selectorIsNS0_10empty_typeEEEZZNS1_27merge_sort_block_merge_implIS3_PsPS5_jNS1_19radix_merge_compareILb0ELb1EsNS0_19identity_decomposerEEEEE10hipError_tT0_T1_T2_jT3_P12ihipStream_tbPNSt15iterator_traitsISE_E10value_typeEPNSK_ISF_E10value_typeEPSG_NS1_7vsmem_tEENKUlT_SE_SF_SG_E_clIS8_S8_S9_S9_EESD_ST_SE_SF_SG_EUlST_E0_NS1_11comp_targetILNS1_3genE5ELNS1_11target_archE942ELNS1_3gpuE9ELNS1_3repE0EEENS1_38merge_mergepath_config_static_selectorELNS0_4arch9wavefront6targetE0EEEvSF_,comdat
	.protected	_ZN7rocprim17ROCPRIM_400000_NS6detail17trampoline_kernelINS0_14default_configENS1_38merge_sort_block_merge_config_selectorIsNS0_10empty_typeEEEZZNS1_27merge_sort_block_merge_implIS3_PsPS5_jNS1_19radix_merge_compareILb0ELb1EsNS0_19identity_decomposerEEEEE10hipError_tT0_T1_T2_jT3_P12ihipStream_tbPNSt15iterator_traitsISE_E10value_typeEPNSK_ISF_E10value_typeEPSG_NS1_7vsmem_tEENKUlT_SE_SF_SG_E_clIS8_S8_S9_S9_EESD_ST_SE_SF_SG_EUlST_E0_NS1_11comp_targetILNS1_3genE5ELNS1_11target_archE942ELNS1_3gpuE9ELNS1_3repE0EEENS1_38merge_mergepath_config_static_selectorELNS0_4arch9wavefront6targetE0EEEvSF_ ; -- Begin function _ZN7rocprim17ROCPRIM_400000_NS6detail17trampoline_kernelINS0_14default_configENS1_38merge_sort_block_merge_config_selectorIsNS0_10empty_typeEEEZZNS1_27merge_sort_block_merge_implIS3_PsPS5_jNS1_19radix_merge_compareILb0ELb1EsNS0_19identity_decomposerEEEEE10hipError_tT0_T1_T2_jT3_P12ihipStream_tbPNSt15iterator_traitsISE_E10value_typeEPNSK_ISF_E10value_typeEPSG_NS1_7vsmem_tEENKUlT_SE_SF_SG_E_clIS8_S8_S9_S9_EESD_ST_SE_SF_SG_EUlST_E0_NS1_11comp_targetILNS1_3genE5ELNS1_11target_archE942ELNS1_3gpuE9ELNS1_3repE0EEENS1_38merge_mergepath_config_static_selectorELNS0_4arch9wavefront6targetE0EEEvSF_
	.globl	_ZN7rocprim17ROCPRIM_400000_NS6detail17trampoline_kernelINS0_14default_configENS1_38merge_sort_block_merge_config_selectorIsNS0_10empty_typeEEEZZNS1_27merge_sort_block_merge_implIS3_PsPS5_jNS1_19radix_merge_compareILb0ELb1EsNS0_19identity_decomposerEEEEE10hipError_tT0_T1_T2_jT3_P12ihipStream_tbPNSt15iterator_traitsISE_E10value_typeEPNSK_ISF_E10value_typeEPSG_NS1_7vsmem_tEENKUlT_SE_SF_SG_E_clIS8_S8_S9_S9_EESD_ST_SE_SF_SG_EUlST_E0_NS1_11comp_targetILNS1_3genE5ELNS1_11target_archE942ELNS1_3gpuE9ELNS1_3repE0EEENS1_38merge_mergepath_config_static_selectorELNS0_4arch9wavefront6targetE0EEEvSF_
	.p2align	8
	.type	_ZN7rocprim17ROCPRIM_400000_NS6detail17trampoline_kernelINS0_14default_configENS1_38merge_sort_block_merge_config_selectorIsNS0_10empty_typeEEEZZNS1_27merge_sort_block_merge_implIS3_PsPS5_jNS1_19radix_merge_compareILb0ELb1EsNS0_19identity_decomposerEEEEE10hipError_tT0_T1_T2_jT3_P12ihipStream_tbPNSt15iterator_traitsISE_E10value_typeEPNSK_ISF_E10value_typeEPSG_NS1_7vsmem_tEENKUlT_SE_SF_SG_E_clIS8_S8_S9_S9_EESD_ST_SE_SF_SG_EUlST_E0_NS1_11comp_targetILNS1_3genE5ELNS1_11target_archE942ELNS1_3gpuE9ELNS1_3repE0EEENS1_38merge_mergepath_config_static_selectorELNS0_4arch9wavefront6targetE0EEEvSF_,@function
_ZN7rocprim17ROCPRIM_400000_NS6detail17trampoline_kernelINS0_14default_configENS1_38merge_sort_block_merge_config_selectorIsNS0_10empty_typeEEEZZNS1_27merge_sort_block_merge_implIS3_PsPS5_jNS1_19radix_merge_compareILb0ELb1EsNS0_19identity_decomposerEEEEE10hipError_tT0_T1_T2_jT3_P12ihipStream_tbPNSt15iterator_traitsISE_E10value_typeEPNSK_ISF_E10value_typeEPSG_NS1_7vsmem_tEENKUlT_SE_SF_SG_E_clIS8_S8_S9_S9_EESD_ST_SE_SF_SG_EUlST_E0_NS1_11comp_targetILNS1_3genE5ELNS1_11target_archE942ELNS1_3gpuE9ELNS1_3repE0EEENS1_38merge_mergepath_config_static_selectorELNS0_4arch9wavefront6targetE0EEEvSF_: ; @_ZN7rocprim17ROCPRIM_400000_NS6detail17trampoline_kernelINS0_14default_configENS1_38merge_sort_block_merge_config_selectorIsNS0_10empty_typeEEEZZNS1_27merge_sort_block_merge_implIS3_PsPS5_jNS1_19radix_merge_compareILb0ELb1EsNS0_19identity_decomposerEEEEE10hipError_tT0_T1_T2_jT3_P12ihipStream_tbPNSt15iterator_traitsISE_E10value_typeEPNSK_ISF_E10value_typeEPSG_NS1_7vsmem_tEENKUlT_SE_SF_SG_E_clIS8_S8_S9_S9_EESD_ST_SE_SF_SG_EUlST_E0_NS1_11comp_targetILNS1_3genE5ELNS1_11target_archE942ELNS1_3gpuE9ELNS1_3repE0EEENS1_38merge_mergepath_config_static_selectorELNS0_4arch9wavefront6targetE0EEEvSF_
; %bb.0:
	.section	.rodata,"a",@progbits
	.p2align	6, 0x0
	.amdhsa_kernel _ZN7rocprim17ROCPRIM_400000_NS6detail17trampoline_kernelINS0_14default_configENS1_38merge_sort_block_merge_config_selectorIsNS0_10empty_typeEEEZZNS1_27merge_sort_block_merge_implIS3_PsPS5_jNS1_19radix_merge_compareILb0ELb1EsNS0_19identity_decomposerEEEEE10hipError_tT0_T1_T2_jT3_P12ihipStream_tbPNSt15iterator_traitsISE_E10value_typeEPNSK_ISF_E10value_typeEPSG_NS1_7vsmem_tEENKUlT_SE_SF_SG_E_clIS8_S8_S9_S9_EESD_ST_SE_SF_SG_EUlST_E0_NS1_11comp_targetILNS1_3genE5ELNS1_11target_archE942ELNS1_3gpuE9ELNS1_3repE0EEENS1_38merge_mergepath_config_static_selectorELNS0_4arch9wavefront6targetE0EEEvSF_
		.amdhsa_group_segment_fixed_size 0
		.amdhsa_private_segment_fixed_size 0
		.amdhsa_kernarg_size 64
		.amdhsa_user_sgpr_count 2
		.amdhsa_user_sgpr_dispatch_ptr 0
		.amdhsa_user_sgpr_queue_ptr 0
		.amdhsa_user_sgpr_kernarg_segment_ptr 1
		.amdhsa_user_sgpr_dispatch_id 0
		.amdhsa_user_sgpr_kernarg_preload_length 0
		.amdhsa_user_sgpr_kernarg_preload_offset 0
		.amdhsa_user_sgpr_private_segment_size 0
		.amdhsa_wavefront_size32 1
		.amdhsa_uses_dynamic_stack 0
		.amdhsa_enable_private_segment 0
		.amdhsa_system_sgpr_workgroup_id_x 1
		.amdhsa_system_sgpr_workgroup_id_y 0
		.amdhsa_system_sgpr_workgroup_id_z 0
		.amdhsa_system_sgpr_workgroup_info 0
		.amdhsa_system_vgpr_workitem_id 0
		.amdhsa_next_free_vgpr 1
		.amdhsa_next_free_sgpr 1
		.amdhsa_named_barrier_count 0
		.amdhsa_reserve_vcc 0
		.amdhsa_float_round_mode_32 0
		.amdhsa_float_round_mode_16_64 0
		.amdhsa_float_denorm_mode_32 3
		.amdhsa_float_denorm_mode_16_64 3
		.amdhsa_fp16_overflow 0
		.amdhsa_memory_ordered 1
		.amdhsa_forward_progress 1
		.amdhsa_inst_pref_size 0
		.amdhsa_round_robin_scheduling 0
		.amdhsa_exception_fp_ieee_invalid_op 0
		.amdhsa_exception_fp_denorm_src 0
		.amdhsa_exception_fp_ieee_div_zero 0
		.amdhsa_exception_fp_ieee_overflow 0
		.amdhsa_exception_fp_ieee_underflow 0
		.amdhsa_exception_fp_ieee_inexact 0
		.amdhsa_exception_int_div_zero 0
	.end_amdhsa_kernel
	.section	.text._ZN7rocprim17ROCPRIM_400000_NS6detail17trampoline_kernelINS0_14default_configENS1_38merge_sort_block_merge_config_selectorIsNS0_10empty_typeEEEZZNS1_27merge_sort_block_merge_implIS3_PsPS5_jNS1_19radix_merge_compareILb0ELb1EsNS0_19identity_decomposerEEEEE10hipError_tT0_T1_T2_jT3_P12ihipStream_tbPNSt15iterator_traitsISE_E10value_typeEPNSK_ISF_E10value_typeEPSG_NS1_7vsmem_tEENKUlT_SE_SF_SG_E_clIS8_S8_S9_S9_EESD_ST_SE_SF_SG_EUlST_E0_NS1_11comp_targetILNS1_3genE5ELNS1_11target_archE942ELNS1_3gpuE9ELNS1_3repE0EEENS1_38merge_mergepath_config_static_selectorELNS0_4arch9wavefront6targetE0EEEvSF_,"axG",@progbits,_ZN7rocprim17ROCPRIM_400000_NS6detail17trampoline_kernelINS0_14default_configENS1_38merge_sort_block_merge_config_selectorIsNS0_10empty_typeEEEZZNS1_27merge_sort_block_merge_implIS3_PsPS5_jNS1_19radix_merge_compareILb0ELb1EsNS0_19identity_decomposerEEEEE10hipError_tT0_T1_T2_jT3_P12ihipStream_tbPNSt15iterator_traitsISE_E10value_typeEPNSK_ISF_E10value_typeEPSG_NS1_7vsmem_tEENKUlT_SE_SF_SG_E_clIS8_S8_S9_S9_EESD_ST_SE_SF_SG_EUlST_E0_NS1_11comp_targetILNS1_3genE5ELNS1_11target_archE942ELNS1_3gpuE9ELNS1_3repE0EEENS1_38merge_mergepath_config_static_selectorELNS0_4arch9wavefront6targetE0EEEvSF_,comdat
.Lfunc_end681:
	.size	_ZN7rocprim17ROCPRIM_400000_NS6detail17trampoline_kernelINS0_14default_configENS1_38merge_sort_block_merge_config_selectorIsNS0_10empty_typeEEEZZNS1_27merge_sort_block_merge_implIS3_PsPS5_jNS1_19radix_merge_compareILb0ELb1EsNS0_19identity_decomposerEEEEE10hipError_tT0_T1_T2_jT3_P12ihipStream_tbPNSt15iterator_traitsISE_E10value_typeEPNSK_ISF_E10value_typeEPSG_NS1_7vsmem_tEENKUlT_SE_SF_SG_E_clIS8_S8_S9_S9_EESD_ST_SE_SF_SG_EUlST_E0_NS1_11comp_targetILNS1_3genE5ELNS1_11target_archE942ELNS1_3gpuE9ELNS1_3repE0EEENS1_38merge_mergepath_config_static_selectorELNS0_4arch9wavefront6targetE0EEEvSF_, .Lfunc_end681-_ZN7rocprim17ROCPRIM_400000_NS6detail17trampoline_kernelINS0_14default_configENS1_38merge_sort_block_merge_config_selectorIsNS0_10empty_typeEEEZZNS1_27merge_sort_block_merge_implIS3_PsPS5_jNS1_19radix_merge_compareILb0ELb1EsNS0_19identity_decomposerEEEEE10hipError_tT0_T1_T2_jT3_P12ihipStream_tbPNSt15iterator_traitsISE_E10value_typeEPNSK_ISF_E10value_typeEPSG_NS1_7vsmem_tEENKUlT_SE_SF_SG_E_clIS8_S8_S9_S9_EESD_ST_SE_SF_SG_EUlST_E0_NS1_11comp_targetILNS1_3genE5ELNS1_11target_archE942ELNS1_3gpuE9ELNS1_3repE0EEENS1_38merge_mergepath_config_static_selectorELNS0_4arch9wavefront6targetE0EEEvSF_
                                        ; -- End function
	.set _ZN7rocprim17ROCPRIM_400000_NS6detail17trampoline_kernelINS0_14default_configENS1_38merge_sort_block_merge_config_selectorIsNS0_10empty_typeEEEZZNS1_27merge_sort_block_merge_implIS3_PsPS5_jNS1_19radix_merge_compareILb0ELb1EsNS0_19identity_decomposerEEEEE10hipError_tT0_T1_T2_jT3_P12ihipStream_tbPNSt15iterator_traitsISE_E10value_typeEPNSK_ISF_E10value_typeEPSG_NS1_7vsmem_tEENKUlT_SE_SF_SG_E_clIS8_S8_S9_S9_EESD_ST_SE_SF_SG_EUlST_E0_NS1_11comp_targetILNS1_3genE5ELNS1_11target_archE942ELNS1_3gpuE9ELNS1_3repE0EEENS1_38merge_mergepath_config_static_selectorELNS0_4arch9wavefront6targetE0EEEvSF_.num_vgpr, 0
	.set _ZN7rocprim17ROCPRIM_400000_NS6detail17trampoline_kernelINS0_14default_configENS1_38merge_sort_block_merge_config_selectorIsNS0_10empty_typeEEEZZNS1_27merge_sort_block_merge_implIS3_PsPS5_jNS1_19radix_merge_compareILb0ELb1EsNS0_19identity_decomposerEEEEE10hipError_tT0_T1_T2_jT3_P12ihipStream_tbPNSt15iterator_traitsISE_E10value_typeEPNSK_ISF_E10value_typeEPSG_NS1_7vsmem_tEENKUlT_SE_SF_SG_E_clIS8_S8_S9_S9_EESD_ST_SE_SF_SG_EUlST_E0_NS1_11comp_targetILNS1_3genE5ELNS1_11target_archE942ELNS1_3gpuE9ELNS1_3repE0EEENS1_38merge_mergepath_config_static_selectorELNS0_4arch9wavefront6targetE0EEEvSF_.num_agpr, 0
	.set _ZN7rocprim17ROCPRIM_400000_NS6detail17trampoline_kernelINS0_14default_configENS1_38merge_sort_block_merge_config_selectorIsNS0_10empty_typeEEEZZNS1_27merge_sort_block_merge_implIS3_PsPS5_jNS1_19radix_merge_compareILb0ELb1EsNS0_19identity_decomposerEEEEE10hipError_tT0_T1_T2_jT3_P12ihipStream_tbPNSt15iterator_traitsISE_E10value_typeEPNSK_ISF_E10value_typeEPSG_NS1_7vsmem_tEENKUlT_SE_SF_SG_E_clIS8_S8_S9_S9_EESD_ST_SE_SF_SG_EUlST_E0_NS1_11comp_targetILNS1_3genE5ELNS1_11target_archE942ELNS1_3gpuE9ELNS1_3repE0EEENS1_38merge_mergepath_config_static_selectorELNS0_4arch9wavefront6targetE0EEEvSF_.numbered_sgpr, 0
	.set _ZN7rocprim17ROCPRIM_400000_NS6detail17trampoline_kernelINS0_14default_configENS1_38merge_sort_block_merge_config_selectorIsNS0_10empty_typeEEEZZNS1_27merge_sort_block_merge_implIS3_PsPS5_jNS1_19radix_merge_compareILb0ELb1EsNS0_19identity_decomposerEEEEE10hipError_tT0_T1_T2_jT3_P12ihipStream_tbPNSt15iterator_traitsISE_E10value_typeEPNSK_ISF_E10value_typeEPSG_NS1_7vsmem_tEENKUlT_SE_SF_SG_E_clIS8_S8_S9_S9_EESD_ST_SE_SF_SG_EUlST_E0_NS1_11comp_targetILNS1_3genE5ELNS1_11target_archE942ELNS1_3gpuE9ELNS1_3repE0EEENS1_38merge_mergepath_config_static_selectorELNS0_4arch9wavefront6targetE0EEEvSF_.num_named_barrier, 0
	.set _ZN7rocprim17ROCPRIM_400000_NS6detail17trampoline_kernelINS0_14default_configENS1_38merge_sort_block_merge_config_selectorIsNS0_10empty_typeEEEZZNS1_27merge_sort_block_merge_implIS3_PsPS5_jNS1_19radix_merge_compareILb0ELb1EsNS0_19identity_decomposerEEEEE10hipError_tT0_T1_T2_jT3_P12ihipStream_tbPNSt15iterator_traitsISE_E10value_typeEPNSK_ISF_E10value_typeEPSG_NS1_7vsmem_tEENKUlT_SE_SF_SG_E_clIS8_S8_S9_S9_EESD_ST_SE_SF_SG_EUlST_E0_NS1_11comp_targetILNS1_3genE5ELNS1_11target_archE942ELNS1_3gpuE9ELNS1_3repE0EEENS1_38merge_mergepath_config_static_selectorELNS0_4arch9wavefront6targetE0EEEvSF_.private_seg_size, 0
	.set _ZN7rocprim17ROCPRIM_400000_NS6detail17trampoline_kernelINS0_14default_configENS1_38merge_sort_block_merge_config_selectorIsNS0_10empty_typeEEEZZNS1_27merge_sort_block_merge_implIS3_PsPS5_jNS1_19radix_merge_compareILb0ELb1EsNS0_19identity_decomposerEEEEE10hipError_tT0_T1_T2_jT3_P12ihipStream_tbPNSt15iterator_traitsISE_E10value_typeEPNSK_ISF_E10value_typeEPSG_NS1_7vsmem_tEENKUlT_SE_SF_SG_E_clIS8_S8_S9_S9_EESD_ST_SE_SF_SG_EUlST_E0_NS1_11comp_targetILNS1_3genE5ELNS1_11target_archE942ELNS1_3gpuE9ELNS1_3repE0EEENS1_38merge_mergepath_config_static_selectorELNS0_4arch9wavefront6targetE0EEEvSF_.uses_vcc, 0
	.set _ZN7rocprim17ROCPRIM_400000_NS6detail17trampoline_kernelINS0_14default_configENS1_38merge_sort_block_merge_config_selectorIsNS0_10empty_typeEEEZZNS1_27merge_sort_block_merge_implIS3_PsPS5_jNS1_19radix_merge_compareILb0ELb1EsNS0_19identity_decomposerEEEEE10hipError_tT0_T1_T2_jT3_P12ihipStream_tbPNSt15iterator_traitsISE_E10value_typeEPNSK_ISF_E10value_typeEPSG_NS1_7vsmem_tEENKUlT_SE_SF_SG_E_clIS8_S8_S9_S9_EESD_ST_SE_SF_SG_EUlST_E0_NS1_11comp_targetILNS1_3genE5ELNS1_11target_archE942ELNS1_3gpuE9ELNS1_3repE0EEENS1_38merge_mergepath_config_static_selectorELNS0_4arch9wavefront6targetE0EEEvSF_.uses_flat_scratch, 0
	.set _ZN7rocprim17ROCPRIM_400000_NS6detail17trampoline_kernelINS0_14default_configENS1_38merge_sort_block_merge_config_selectorIsNS0_10empty_typeEEEZZNS1_27merge_sort_block_merge_implIS3_PsPS5_jNS1_19radix_merge_compareILb0ELb1EsNS0_19identity_decomposerEEEEE10hipError_tT0_T1_T2_jT3_P12ihipStream_tbPNSt15iterator_traitsISE_E10value_typeEPNSK_ISF_E10value_typeEPSG_NS1_7vsmem_tEENKUlT_SE_SF_SG_E_clIS8_S8_S9_S9_EESD_ST_SE_SF_SG_EUlST_E0_NS1_11comp_targetILNS1_3genE5ELNS1_11target_archE942ELNS1_3gpuE9ELNS1_3repE0EEENS1_38merge_mergepath_config_static_selectorELNS0_4arch9wavefront6targetE0EEEvSF_.has_dyn_sized_stack, 0
	.set _ZN7rocprim17ROCPRIM_400000_NS6detail17trampoline_kernelINS0_14default_configENS1_38merge_sort_block_merge_config_selectorIsNS0_10empty_typeEEEZZNS1_27merge_sort_block_merge_implIS3_PsPS5_jNS1_19radix_merge_compareILb0ELb1EsNS0_19identity_decomposerEEEEE10hipError_tT0_T1_T2_jT3_P12ihipStream_tbPNSt15iterator_traitsISE_E10value_typeEPNSK_ISF_E10value_typeEPSG_NS1_7vsmem_tEENKUlT_SE_SF_SG_E_clIS8_S8_S9_S9_EESD_ST_SE_SF_SG_EUlST_E0_NS1_11comp_targetILNS1_3genE5ELNS1_11target_archE942ELNS1_3gpuE9ELNS1_3repE0EEENS1_38merge_mergepath_config_static_selectorELNS0_4arch9wavefront6targetE0EEEvSF_.has_recursion, 0
	.set _ZN7rocprim17ROCPRIM_400000_NS6detail17trampoline_kernelINS0_14default_configENS1_38merge_sort_block_merge_config_selectorIsNS0_10empty_typeEEEZZNS1_27merge_sort_block_merge_implIS3_PsPS5_jNS1_19radix_merge_compareILb0ELb1EsNS0_19identity_decomposerEEEEE10hipError_tT0_T1_T2_jT3_P12ihipStream_tbPNSt15iterator_traitsISE_E10value_typeEPNSK_ISF_E10value_typeEPSG_NS1_7vsmem_tEENKUlT_SE_SF_SG_E_clIS8_S8_S9_S9_EESD_ST_SE_SF_SG_EUlST_E0_NS1_11comp_targetILNS1_3genE5ELNS1_11target_archE942ELNS1_3gpuE9ELNS1_3repE0EEENS1_38merge_mergepath_config_static_selectorELNS0_4arch9wavefront6targetE0EEEvSF_.has_indirect_call, 0
	.section	.AMDGPU.csdata,"",@progbits
; Kernel info:
; codeLenInByte = 0
; TotalNumSgprs: 0
; NumVgprs: 0
; ScratchSize: 0
; MemoryBound: 0
; FloatMode: 240
; IeeeMode: 1
; LDSByteSize: 0 bytes/workgroup (compile time only)
; SGPRBlocks: 0
; VGPRBlocks: 0
; NumSGPRsForWavesPerEU: 1
; NumVGPRsForWavesPerEU: 1
; NamedBarCnt: 0
; Occupancy: 16
; WaveLimiterHint : 0
; COMPUTE_PGM_RSRC2:SCRATCH_EN: 0
; COMPUTE_PGM_RSRC2:USER_SGPR: 2
; COMPUTE_PGM_RSRC2:TRAP_HANDLER: 0
; COMPUTE_PGM_RSRC2:TGID_X_EN: 1
; COMPUTE_PGM_RSRC2:TGID_Y_EN: 0
; COMPUTE_PGM_RSRC2:TGID_Z_EN: 0
; COMPUTE_PGM_RSRC2:TIDIG_COMP_CNT: 0
	.section	.text._ZN7rocprim17ROCPRIM_400000_NS6detail17trampoline_kernelINS0_14default_configENS1_38merge_sort_block_merge_config_selectorIsNS0_10empty_typeEEEZZNS1_27merge_sort_block_merge_implIS3_PsPS5_jNS1_19radix_merge_compareILb0ELb1EsNS0_19identity_decomposerEEEEE10hipError_tT0_T1_T2_jT3_P12ihipStream_tbPNSt15iterator_traitsISE_E10value_typeEPNSK_ISF_E10value_typeEPSG_NS1_7vsmem_tEENKUlT_SE_SF_SG_E_clIS8_S8_S9_S9_EESD_ST_SE_SF_SG_EUlST_E0_NS1_11comp_targetILNS1_3genE4ELNS1_11target_archE910ELNS1_3gpuE8ELNS1_3repE0EEENS1_38merge_mergepath_config_static_selectorELNS0_4arch9wavefront6targetE0EEEvSF_,"axG",@progbits,_ZN7rocprim17ROCPRIM_400000_NS6detail17trampoline_kernelINS0_14default_configENS1_38merge_sort_block_merge_config_selectorIsNS0_10empty_typeEEEZZNS1_27merge_sort_block_merge_implIS3_PsPS5_jNS1_19radix_merge_compareILb0ELb1EsNS0_19identity_decomposerEEEEE10hipError_tT0_T1_T2_jT3_P12ihipStream_tbPNSt15iterator_traitsISE_E10value_typeEPNSK_ISF_E10value_typeEPSG_NS1_7vsmem_tEENKUlT_SE_SF_SG_E_clIS8_S8_S9_S9_EESD_ST_SE_SF_SG_EUlST_E0_NS1_11comp_targetILNS1_3genE4ELNS1_11target_archE910ELNS1_3gpuE8ELNS1_3repE0EEENS1_38merge_mergepath_config_static_selectorELNS0_4arch9wavefront6targetE0EEEvSF_,comdat
	.protected	_ZN7rocprim17ROCPRIM_400000_NS6detail17trampoline_kernelINS0_14default_configENS1_38merge_sort_block_merge_config_selectorIsNS0_10empty_typeEEEZZNS1_27merge_sort_block_merge_implIS3_PsPS5_jNS1_19radix_merge_compareILb0ELb1EsNS0_19identity_decomposerEEEEE10hipError_tT0_T1_T2_jT3_P12ihipStream_tbPNSt15iterator_traitsISE_E10value_typeEPNSK_ISF_E10value_typeEPSG_NS1_7vsmem_tEENKUlT_SE_SF_SG_E_clIS8_S8_S9_S9_EESD_ST_SE_SF_SG_EUlST_E0_NS1_11comp_targetILNS1_3genE4ELNS1_11target_archE910ELNS1_3gpuE8ELNS1_3repE0EEENS1_38merge_mergepath_config_static_selectorELNS0_4arch9wavefront6targetE0EEEvSF_ ; -- Begin function _ZN7rocprim17ROCPRIM_400000_NS6detail17trampoline_kernelINS0_14default_configENS1_38merge_sort_block_merge_config_selectorIsNS0_10empty_typeEEEZZNS1_27merge_sort_block_merge_implIS3_PsPS5_jNS1_19radix_merge_compareILb0ELb1EsNS0_19identity_decomposerEEEEE10hipError_tT0_T1_T2_jT3_P12ihipStream_tbPNSt15iterator_traitsISE_E10value_typeEPNSK_ISF_E10value_typeEPSG_NS1_7vsmem_tEENKUlT_SE_SF_SG_E_clIS8_S8_S9_S9_EESD_ST_SE_SF_SG_EUlST_E0_NS1_11comp_targetILNS1_3genE4ELNS1_11target_archE910ELNS1_3gpuE8ELNS1_3repE0EEENS1_38merge_mergepath_config_static_selectorELNS0_4arch9wavefront6targetE0EEEvSF_
	.globl	_ZN7rocprim17ROCPRIM_400000_NS6detail17trampoline_kernelINS0_14default_configENS1_38merge_sort_block_merge_config_selectorIsNS0_10empty_typeEEEZZNS1_27merge_sort_block_merge_implIS3_PsPS5_jNS1_19radix_merge_compareILb0ELb1EsNS0_19identity_decomposerEEEEE10hipError_tT0_T1_T2_jT3_P12ihipStream_tbPNSt15iterator_traitsISE_E10value_typeEPNSK_ISF_E10value_typeEPSG_NS1_7vsmem_tEENKUlT_SE_SF_SG_E_clIS8_S8_S9_S9_EESD_ST_SE_SF_SG_EUlST_E0_NS1_11comp_targetILNS1_3genE4ELNS1_11target_archE910ELNS1_3gpuE8ELNS1_3repE0EEENS1_38merge_mergepath_config_static_selectorELNS0_4arch9wavefront6targetE0EEEvSF_
	.p2align	8
	.type	_ZN7rocprim17ROCPRIM_400000_NS6detail17trampoline_kernelINS0_14default_configENS1_38merge_sort_block_merge_config_selectorIsNS0_10empty_typeEEEZZNS1_27merge_sort_block_merge_implIS3_PsPS5_jNS1_19radix_merge_compareILb0ELb1EsNS0_19identity_decomposerEEEEE10hipError_tT0_T1_T2_jT3_P12ihipStream_tbPNSt15iterator_traitsISE_E10value_typeEPNSK_ISF_E10value_typeEPSG_NS1_7vsmem_tEENKUlT_SE_SF_SG_E_clIS8_S8_S9_S9_EESD_ST_SE_SF_SG_EUlST_E0_NS1_11comp_targetILNS1_3genE4ELNS1_11target_archE910ELNS1_3gpuE8ELNS1_3repE0EEENS1_38merge_mergepath_config_static_selectorELNS0_4arch9wavefront6targetE0EEEvSF_,@function
_ZN7rocprim17ROCPRIM_400000_NS6detail17trampoline_kernelINS0_14default_configENS1_38merge_sort_block_merge_config_selectorIsNS0_10empty_typeEEEZZNS1_27merge_sort_block_merge_implIS3_PsPS5_jNS1_19radix_merge_compareILb0ELb1EsNS0_19identity_decomposerEEEEE10hipError_tT0_T1_T2_jT3_P12ihipStream_tbPNSt15iterator_traitsISE_E10value_typeEPNSK_ISF_E10value_typeEPSG_NS1_7vsmem_tEENKUlT_SE_SF_SG_E_clIS8_S8_S9_S9_EESD_ST_SE_SF_SG_EUlST_E0_NS1_11comp_targetILNS1_3genE4ELNS1_11target_archE910ELNS1_3gpuE8ELNS1_3repE0EEENS1_38merge_mergepath_config_static_selectorELNS0_4arch9wavefront6targetE0EEEvSF_: ; @_ZN7rocprim17ROCPRIM_400000_NS6detail17trampoline_kernelINS0_14default_configENS1_38merge_sort_block_merge_config_selectorIsNS0_10empty_typeEEEZZNS1_27merge_sort_block_merge_implIS3_PsPS5_jNS1_19radix_merge_compareILb0ELb1EsNS0_19identity_decomposerEEEEE10hipError_tT0_T1_T2_jT3_P12ihipStream_tbPNSt15iterator_traitsISE_E10value_typeEPNSK_ISF_E10value_typeEPSG_NS1_7vsmem_tEENKUlT_SE_SF_SG_E_clIS8_S8_S9_S9_EESD_ST_SE_SF_SG_EUlST_E0_NS1_11comp_targetILNS1_3genE4ELNS1_11target_archE910ELNS1_3gpuE8ELNS1_3repE0EEENS1_38merge_mergepath_config_static_selectorELNS0_4arch9wavefront6targetE0EEEvSF_
; %bb.0:
	.section	.rodata,"a",@progbits
	.p2align	6, 0x0
	.amdhsa_kernel _ZN7rocprim17ROCPRIM_400000_NS6detail17trampoline_kernelINS0_14default_configENS1_38merge_sort_block_merge_config_selectorIsNS0_10empty_typeEEEZZNS1_27merge_sort_block_merge_implIS3_PsPS5_jNS1_19radix_merge_compareILb0ELb1EsNS0_19identity_decomposerEEEEE10hipError_tT0_T1_T2_jT3_P12ihipStream_tbPNSt15iterator_traitsISE_E10value_typeEPNSK_ISF_E10value_typeEPSG_NS1_7vsmem_tEENKUlT_SE_SF_SG_E_clIS8_S8_S9_S9_EESD_ST_SE_SF_SG_EUlST_E0_NS1_11comp_targetILNS1_3genE4ELNS1_11target_archE910ELNS1_3gpuE8ELNS1_3repE0EEENS1_38merge_mergepath_config_static_selectorELNS0_4arch9wavefront6targetE0EEEvSF_
		.amdhsa_group_segment_fixed_size 0
		.amdhsa_private_segment_fixed_size 0
		.amdhsa_kernarg_size 64
		.amdhsa_user_sgpr_count 2
		.amdhsa_user_sgpr_dispatch_ptr 0
		.amdhsa_user_sgpr_queue_ptr 0
		.amdhsa_user_sgpr_kernarg_segment_ptr 1
		.amdhsa_user_sgpr_dispatch_id 0
		.amdhsa_user_sgpr_kernarg_preload_length 0
		.amdhsa_user_sgpr_kernarg_preload_offset 0
		.amdhsa_user_sgpr_private_segment_size 0
		.amdhsa_wavefront_size32 1
		.amdhsa_uses_dynamic_stack 0
		.amdhsa_enable_private_segment 0
		.amdhsa_system_sgpr_workgroup_id_x 1
		.amdhsa_system_sgpr_workgroup_id_y 0
		.amdhsa_system_sgpr_workgroup_id_z 0
		.amdhsa_system_sgpr_workgroup_info 0
		.amdhsa_system_vgpr_workitem_id 0
		.amdhsa_next_free_vgpr 1
		.amdhsa_next_free_sgpr 1
		.amdhsa_named_barrier_count 0
		.amdhsa_reserve_vcc 0
		.amdhsa_float_round_mode_32 0
		.amdhsa_float_round_mode_16_64 0
		.amdhsa_float_denorm_mode_32 3
		.amdhsa_float_denorm_mode_16_64 3
		.amdhsa_fp16_overflow 0
		.amdhsa_memory_ordered 1
		.amdhsa_forward_progress 1
		.amdhsa_inst_pref_size 0
		.amdhsa_round_robin_scheduling 0
		.amdhsa_exception_fp_ieee_invalid_op 0
		.amdhsa_exception_fp_denorm_src 0
		.amdhsa_exception_fp_ieee_div_zero 0
		.amdhsa_exception_fp_ieee_overflow 0
		.amdhsa_exception_fp_ieee_underflow 0
		.amdhsa_exception_fp_ieee_inexact 0
		.amdhsa_exception_int_div_zero 0
	.end_amdhsa_kernel
	.section	.text._ZN7rocprim17ROCPRIM_400000_NS6detail17trampoline_kernelINS0_14default_configENS1_38merge_sort_block_merge_config_selectorIsNS0_10empty_typeEEEZZNS1_27merge_sort_block_merge_implIS3_PsPS5_jNS1_19radix_merge_compareILb0ELb1EsNS0_19identity_decomposerEEEEE10hipError_tT0_T1_T2_jT3_P12ihipStream_tbPNSt15iterator_traitsISE_E10value_typeEPNSK_ISF_E10value_typeEPSG_NS1_7vsmem_tEENKUlT_SE_SF_SG_E_clIS8_S8_S9_S9_EESD_ST_SE_SF_SG_EUlST_E0_NS1_11comp_targetILNS1_3genE4ELNS1_11target_archE910ELNS1_3gpuE8ELNS1_3repE0EEENS1_38merge_mergepath_config_static_selectorELNS0_4arch9wavefront6targetE0EEEvSF_,"axG",@progbits,_ZN7rocprim17ROCPRIM_400000_NS6detail17trampoline_kernelINS0_14default_configENS1_38merge_sort_block_merge_config_selectorIsNS0_10empty_typeEEEZZNS1_27merge_sort_block_merge_implIS3_PsPS5_jNS1_19radix_merge_compareILb0ELb1EsNS0_19identity_decomposerEEEEE10hipError_tT0_T1_T2_jT3_P12ihipStream_tbPNSt15iterator_traitsISE_E10value_typeEPNSK_ISF_E10value_typeEPSG_NS1_7vsmem_tEENKUlT_SE_SF_SG_E_clIS8_S8_S9_S9_EESD_ST_SE_SF_SG_EUlST_E0_NS1_11comp_targetILNS1_3genE4ELNS1_11target_archE910ELNS1_3gpuE8ELNS1_3repE0EEENS1_38merge_mergepath_config_static_selectorELNS0_4arch9wavefront6targetE0EEEvSF_,comdat
.Lfunc_end682:
	.size	_ZN7rocprim17ROCPRIM_400000_NS6detail17trampoline_kernelINS0_14default_configENS1_38merge_sort_block_merge_config_selectorIsNS0_10empty_typeEEEZZNS1_27merge_sort_block_merge_implIS3_PsPS5_jNS1_19radix_merge_compareILb0ELb1EsNS0_19identity_decomposerEEEEE10hipError_tT0_T1_T2_jT3_P12ihipStream_tbPNSt15iterator_traitsISE_E10value_typeEPNSK_ISF_E10value_typeEPSG_NS1_7vsmem_tEENKUlT_SE_SF_SG_E_clIS8_S8_S9_S9_EESD_ST_SE_SF_SG_EUlST_E0_NS1_11comp_targetILNS1_3genE4ELNS1_11target_archE910ELNS1_3gpuE8ELNS1_3repE0EEENS1_38merge_mergepath_config_static_selectorELNS0_4arch9wavefront6targetE0EEEvSF_, .Lfunc_end682-_ZN7rocprim17ROCPRIM_400000_NS6detail17trampoline_kernelINS0_14default_configENS1_38merge_sort_block_merge_config_selectorIsNS0_10empty_typeEEEZZNS1_27merge_sort_block_merge_implIS3_PsPS5_jNS1_19radix_merge_compareILb0ELb1EsNS0_19identity_decomposerEEEEE10hipError_tT0_T1_T2_jT3_P12ihipStream_tbPNSt15iterator_traitsISE_E10value_typeEPNSK_ISF_E10value_typeEPSG_NS1_7vsmem_tEENKUlT_SE_SF_SG_E_clIS8_S8_S9_S9_EESD_ST_SE_SF_SG_EUlST_E0_NS1_11comp_targetILNS1_3genE4ELNS1_11target_archE910ELNS1_3gpuE8ELNS1_3repE0EEENS1_38merge_mergepath_config_static_selectorELNS0_4arch9wavefront6targetE0EEEvSF_
                                        ; -- End function
	.set _ZN7rocprim17ROCPRIM_400000_NS6detail17trampoline_kernelINS0_14default_configENS1_38merge_sort_block_merge_config_selectorIsNS0_10empty_typeEEEZZNS1_27merge_sort_block_merge_implIS3_PsPS5_jNS1_19radix_merge_compareILb0ELb1EsNS0_19identity_decomposerEEEEE10hipError_tT0_T1_T2_jT3_P12ihipStream_tbPNSt15iterator_traitsISE_E10value_typeEPNSK_ISF_E10value_typeEPSG_NS1_7vsmem_tEENKUlT_SE_SF_SG_E_clIS8_S8_S9_S9_EESD_ST_SE_SF_SG_EUlST_E0_NS1_11comp_targetILNS1_3genE4ELNS1_11target_archE910ELNS1_3gpuE8ELNS1_3repE0EEENS1_38merge_mergepath_config_static_selectorELNS0_4arch9wavefront6targetE0EEEvSF_.num_vgpr, 0
	.set _ZN7rocprim17ROCPRIM_400000_NS6detail17trampoline_kernelINS0_14default_configENS1_38merge_sort_block_merge_config_selectorIsNS0_10empty_typeEEEZZNS1_27merge_sort_block_merge_implIS3_PsPS5_jNS1_19radix_merge_compareILb0ELb1EsNS0_19identity_decomposerEEEEE10hipError_tT0_T1_T2_jT3_P12ihipStream_tbPNSt15iterator_traitsISE_E10value_typeEPNSK_ISF_E10value_typeEPSG_NS1_7vsmem_tEENKUlT_SE_SF_SG_E_clIS8_S8_S9_S9_EESD_ST_SE_SF_SG_EUlST_E0_NS1_11comp_targetILNS1_3genE4ELNS1_11target_archE910ELNS1_3gpuE8ELNS1_3repE0EEENS1_38merge_mergepath_config_static_selectorELNS0_4arch9wavefront6targetE0EEEvSF_.num_agpr, 0
	.set _ZN7rocprim17ROCPRIM_400000_NS6detail17trampoline_kernelINS0_14default_configENS1_38merge_sort_block_merge_config_selectorIsNS0_10empty_typeEEEZZNS1_27merge_sort_block_merge_implIS3_PsPS5_jNS1_19radix_merge_compareILb0ELb1EsNS0_19identity_decomposerEEEEE10hipError_tT0_T1_T2_jT3_P12ihipStream_tbPNSt15iterator_traitsISE_E10value_typeEPNSK_ISF_E10value_typeEPSG_NS1_7vsmem_tEENKUlT_SE_SF_SG_E_clIS8_S8_S9_S9_EESD_ST_SE_SF_SG_EUlST_E0_NS1_11comp_targetILNS1_3genE4ELNS1_11target_archE910ELNS1_3gpuE8ELNS1_3repE0EEENS1_38merge_mergepath_config_static_selectorELNS0_4arch9wavefront6targetE0EEEvSF_.numbered_sgpr, 0
	.set _ZN7rocprim17ROCPRIM_400000_NS6detail17trampoline_kernelINS0_14default_configENS1_38merge_sort_block_merge_config_selectorIsNS0_10empty_typeEEEZZNS1_27merge_sort_block_merge_implIS3_PsPS5_jNS1_19radix_merge_compareILb0ELb1EsNS0_19identity_decomposerEEEEE10hipError_tT0_T1_T2_jT3_P12ihipStream_tbPNSt15iterator_traitsISE_E10value_typeEPNSK_ISF_E10value_typeEPSG_NS1_7vsmem_tEENKUlT_SE_SF_SG_E_clIS8_S8_S9_S9_EESD_ST_SE_SF_SG_EUlST_E0_NS1_11comp_targetILNS1_3genE4ELNS1_11target_archE910ELNS1_3gpuE8ELNS1_3repE0EEENS1_38merge_mergepath_config_static_selectorELNS0_4arch9wavefront6targetE0EEEvSF_.num_named_barrier, 0
	.set _ZN7rocprim17ROCPRIM_400000_NS6detail17trampoline_kernelINS0_14default_configENS1_38merge_sort_block_merge_config_selectorIsNS0_10empty_typeEEEZZNS1_27merge_sort_block_merge_implIS3_PsPS5_jNS1_19radix_merge_compareILb0ELb1EsNS0_19identity_decomposerEEEEE10hipError_tT0_T1_T2_jT3_P12ihipStream_tbPNSt15iterator_traitsISE_E10value_typeEPNSK_ISF_E10value_typeEPSG_NS1_7vsmem_tEENKUlT_SE_SF_SG_E_clIS8_S8_S9_S9_EESD_ST_SE_SF_SG_EUlST_E0_NS1_11comp_targetILNS1_3genE4ELNS1_11target_archE910ELNS1_3gpuE8ELNS1_3repE0EEENS1_38merge_mergepath_config_static_selectorELNS0_4arch9wavefront6targetE0EEEvSF_.private_seg_size, 0
	.set _ZN7rocprim17ROCPRIM_400000_NS6detail17trampoline_kernelINS0_14default_configENS1_38merge_sort_block_merge_config_selectorIsNS0_10empty_typeEEEZZNS1_27merge_sort_block_merge_implIS3_PsPS5_jNS1_19radix_merge_compareILb0ELb1EsNS0_19identity_decomposerEEEEE10hipError_tT0_T1_T2_jT3_P12ihipStream_tbPNSt15iterator_traitsISE_E10value_typeEPNSK_ISF_E10value_typeEPSG_NS1_7vsmem_tEENKUlT_SE_SF_SG_E_clIS8_S8_S9_S9_EESD_ST_SE_SF_SG_EUlST_E0_NS1_11comp_targetILNS1_3genE4ELNS1_11target_archE910ELNS1_3gpuE8ELNS1_3repE0EEENS1_38merge_mergepath_config_static_selectorELNS0_4arch9wavefront6targetE0EEEvSF_.uses_vcc, 0
	.set _ZN7rocprim17ROCPRIM_400000_NS6detail17trampoline_kernelINS0_14default_configENS1_38merge_sort_block_merge_config_selectorIsNS0_10empty_typeEEEZZNS1_27merge_sort_block_merge_implIS3_PsPS5_jNS1_19radix_merge_compareILb0ELb1EsNS0_19identity_decomposerEEEEE10hipError_tT0_T1_T2_jT3_P12ihipStream_tbPNSt15iterator_traitsISE_E10value_typeEPNSK_ISF_E10value_typeEPSG_NS1_7vsmem_tEENKUlT_SE_SF_SG_E_clIS8_S8_S9_S9_EESD_ST_SE_SF_SG_EUlST_E0_NS1_11comp_targetILNS1_3genE4ELNS1_11target_archE910ELNS1_3gpuE8ELNS1_3repE0EEENS1_38merge_mergepath_config_static_selectorELNS0_4arch9wavefront6targetE0EEEvSF_.uses_flat_scratch, 0
	.set _ZN7rocprim17ROCPRIM_400000_NS6detail17trampoline_kernelINS0_14default_configENS1_38merge_sort_block_merge_config_selectorIsNS0_10empty_typeEEEZZNS1_27merge_sort_block_merge_implIS3_PsPS5_jNS1_19radix_merge_compareILb0ELb1EsNS0_19identity_decomposerEEEEE10hipError_tT0_T1_T2_jT3_P12ihipStream_tbPNSt15iterator_traitsISE_E10value_typeEPNSK_ISF_E10value_typeEPSG_NS1_7vsmem_tEENKUlT_SE_SF_SG_E_clIS8_S8_S9_S9_EESD_ST_SE_SF_SG_EUlST_E0_NS1_11comp_targetILNS1_3genE4ELNS1_11target_archE910ELNS1_3gpuE8ELNS1_3repE0EEENS1_38merge_mergepath_config_static_selectorELNS0_4arch9wavefront6targetE0EEEvSF_.has_dyn_sized_stack, 0
	.set _ZN7rocprim17ROCPRIM_400000_NS6detail17trampoline_kernelINS0_14default_configENS1_38merge_sort_block_merge_config_selectorIsNS0_10empty_typeEEEZZNS1_27merge_sort_block_merge_implIS3_PsPS5_jNS1_19radix_merge_compareILb0ELb1EsNS0_19identity_decomposerEEEEE10hipError_tT0_T1_T2_jT3_P12ihipStream_tbPNSt15iterator_traitsISE_E10value_typeEPNSK_ISF_E10value_typeEPSG_NS1_7vsmem_tEENKUlT_SE_SF_SG_E_clIS8_S8_S9_S9_EESD_ST_SE_SF_SG_EUlST_E0_NS1_11comp_targetILNS1_3genE4ELNS1_11target_archE910ELNS1_3gpuE8ELNS1_3repE0EEENS1_38merge_mergepath_config_static_selectorELNS0_4arch9wavefront6targetE0EEEvSF_.has_recursion, 0
	.set _ZN7rocprim17ROCPRIM_400000_NS6detail17trampoline_kernelINS0_14default_configENS1_38merge_sort_block_merge_config_selectorIsNS0_10empty_typeEEEZZNS1_27merge_sort_block_merge_implIS3_PsPS5_jNS1_19radix_merge_compareILb0ELb1EsNS0_19identity_decomposerEEEEE10hipError_tT0_T1_T2_jT3_P12ihipStream_tbPNSt15iterator_traitsISE_E10value_typeEPNSK_ISF_E10value_typeEPSG_NS1_7vsmem_tEENKUlT_SE_SF_SG_E_clIS8_S8_S9_S9_EESD_ST_SE_SF_SG_EUlST_E0_NS1_11comp_targetILNS1_3genE4ELNS1_11target_archE910ELNS1_3gpuE8ELNS1_3repE0EEENS1_38merge_mergepath_config_static_selectorELNS0_4arch9wavefront6targetE0EEEvSF_.has_indirect_call, 0
	.section	.AMDGPU.csdata,"",@progbits
; Kernel info:
; codeLenInByte = 0
; TotalNumSgprs: 0
; NumVgprs: 0
; ScratchSize: 0
; MemoryBound: 0
; FloatMode: 240
; IeeeMode: 1
; LDSByteSize: 0 bytes/workgroup (compile time only)
; SGPRBlocks: 0
; VGPRBlocks: 0
; NumSGPRsForWavesPerEU: 1
; NumVGPRsForWavesPerEU: 1
; NamedBarCnt: 0
; Occupancy: 16
; WaveLimiterHint : 0
; COMPUTE_PGM_RSRC2:SCRATCH_EN: 0
; COMPUTE_PGM_RSRC2:USER_SGPR: 2
; COMPUTE_PGM_RSRC2:TRAP_HANDLER: 0
; COMPUTE_PGM_RSRC2:TGID_X_EN: 1
; COMPUTE_PGM_RSRC2:TGID_Y_EN: 0
; COMPUTE_PGM_RSRC2:TGID_Z_EN: 0
; COMPUTE_PGM_RSRC2:TIDIG_COMP_CNT: 0
	.section	.text._ZN7rocprim17ROCPRIM_400000_NS6detail17trampoline_kernelINS0_14default_configENS1_38merge_sort_block_merge_config_selectorIsNS0_10empty_typeEEEZZNS1_27merge_sort_block_merge_implIS3_PsPS5_jNS1_19radix_merge_compareILb0ELb1EsNS0_19identity_decomposerEEEEE10hipError_tT0_T1_T2_jT3_P12ihipStream_tbPNSt15iterator_traitsISE_E10value_typeEPNSK_ISF_E10value_typeEPSG_NS1_7vsmem_tEENKUlT_SE_SF_SG_E_clIS8_S8_S9_S9_EESD_ST_SE_SF_SG_EUlST_E0_NS1_11comp_targetILNS1_3genE3ELNS1_11target_archE908ELNS1_3gpuE7ELNS1_3repE0EEENS1_38merge_mergepath_config_static_selectorELNS0_4arch9wavefront6targetE0EEEvSF_,"axG",@progbits,_ZN7rocprim17ROCPRIM_400000_NS6detail17trampoline_kernelINS0_14default_configENS1_38merge_sort_block_merge_config_selectorIsNS0_10empty_typeEEEZZNS1_27merge_sort_block_merge_implIS3_PsPS5_jNS1_19radix_merge_compareILb0ELb1EsNS0_19identity_decomposerEEEEE10hipError_tT0_T1_T2_jT3_P12ihipStream_tbPNSt15iterator_traitsISE_E10value_typeEPNSK_ISF_E10value_typeEPSG_NS1_7vsmem_tEENKUlT_SE_SF_SG_E_clIS8_S8_S9_S9_EESD_ST_SE_SF_SG_EUlST_E0_NS1_11comp_targetILNS1_3genE3ELNS1_11target_archE908ELNS1_3gpuE7ELNS1_3repE0EEENS1_38merge_mergepath_config_static_selectorELNS0_4arch9wavefront6targetE0EEEvSF_,comdat
	.protected	_ZN7rocprim17ROCPRIM_400000_NS6detail17trampoline_kernelINS0_14default_configENS1_38merge_sort_block_merge_config_selectorIsNS0_10empty_typeEEEZZNS1_27merge_sort_block_merge_implIS3_PsPS5_jNS1_19radix_merge_compareILb0ELb1EsNS0_19identity_decomposerEEEEE10hipError_tT0_T1_T2_jT3_P12ihipStream_tbPNSt15iterator_traitsISE_E10value_typeEPNSK_ISF_E10value_typeEPSG_NS1_7vsmem_tEENKUlT_SE_SF_SG_E_clIS8_S8_S9_S9_EESD_ST_SE_SF_SG_EUlST_E0_NS1_11comp_targetILNS1_3genE3ELNS1_11target_archE908ELNS1_3gpuE7ELNS1_3repE0EEENS1_38merge_mergepath_config_static_selectorELNS0_4arch9wavefront6targetE0EEEvSF_ ; -- Begin function _ZN7rocprim17ROCPRIM_400000_NS6detail17trampoline_kernelINS0_14default_configENS1_38merge_sort_block_merge_config_selectorIsNS0_10empty_typeEEEZZNS1_27merge_sort_block_merge_implIS3_PsPS5_jNS1_19radix_merge_compareILb0ELb1EsNS0_19identity_decomposerEEEEE10hipError_tT0_T1_T2_jT3_P12ihipStream_tbPNSt15iterator_traitsISE_E10value_typeEPNSK_ISF_E10value_typeEPSG_NS1_7vsmem_tEENKUlT_SE_SF_SG_E_clIS8_S8_S9_S9_EESD_ST_SE_SF_SG_EUlST_E0_NS1_11comp_targetILNS1_3genE3ELNS1_11target_archE908ELNS1_3gpuE7ELNS1_3repE0EEENS1_38merge_mergepath_config_static_selectorELNS0_4arch9wavefront6targetE0EEEvSF_
	.globl	_ZN7rocprim17ROCPRIM_400000_NS6detail17trampoline_kernelINS0_14default_configENS1_38merge_sort_block_merge_config_selectorIsNS0_10empty_typeEEEZZNS1_27merge_sort_block_merge_implIS3_PsPS5_jNS1_19radix_merge_compareILb0ELb1EsNS0_19identity_decomposerEEEEE10hipError_tT0_T1_T2_jT3_P12ihipStream_tbPNSt15iterator_traitsISE_E10value_typeEPNSK_ISF_E10value_typeEPSG_NS1_7vsmem_tEENKUlT_SE_SF_SG_E_clIS8_S8_S9_S9_EESD_ST_SE_SF_SG_EUlST_E0_NS1_11comp_targetILNS1_3genE3ELNS1_11target_archE908ELNS1_3gpuE7ELNS1_3repE0EEENS1_38merge_mergepath_config_static_selectorELNS0_4arch9wavefront6targetE0EEEvSF_
	.p2align	8
	.type	_ZN7rocprim17ROCPRIM_400000_NS6detail17trampoline_kernelINS0_14default_configENS1_38merge_sort_block_merge_config_selectorIsNS0_10empty_typeEEEZZNS1_27merge_sort_block_merge_implIS3_PsPS5_jNS1_19radix_merge_compareILb0ELb1EsNS0_19identity_decomposerEEEEE10hipError_tT0_T1_T2_jT3_P12ihipStream_tbPNSt15iterator_traitsISE_E10value_typeEPNSK_ISF_E10value_typeEPSG_NS1_7vsmem_tEENKUlT_SE_SF_SG_E_clIS8_S8_S9_S9_EESD_ST_SE_SF_SG_EUlST_E0_NS1_11comp_targetILNS1_3genE3ELNS1_11target_archE908ELNS1_3gpuE7ELNS1_3repE0EEENS1_38merge_mergepath_config_static_selectorELNS0_4arch9wavefront6targetE0EEEvSF_,@function
_ZN7rocprim17ROCPRIM_400000_NS6detail17trampoline_kernelINS0_14default_configENS1_38merge_sort_block_merge_config_selectorIsNS0_10empty_typeEEEZZNS1_27merge_sort_block_merge_implIS3_PsPS5_jNS1_19radix_merge_compareILb0ELb1EsNS0_19identity_decomposerEEEEE10hipError_tT0_T1_T2_jT3_P12ihipStream_tbPNSt15iterator_traitsISE_E10value_typeEPNSK_ISF_E10value_typeEPSG_NS1_7vsmem_tEENKUlT_SE_SF_SG_E_clIS8_S8_S9_S9_EESD_ST_SE_SF_SG_EUlST_E0_NS1_11comp_targetILNS1_3genE3ELNS1_11target_archE908ELNS1_3gpuE7ELNS1_3repE0EEENS1_38merge_mergepath_config_static_selectorELNS0_4arch9wavefront6targetE0EEEvSF_: ; @_ZN7rocprim17ROCPRIM_400000_NS6detail17trampoline_kernelINS0_14default_configENS1_38merge_sort_block_merge_config_selectorIsNS0_10empty_typeEEEZZNS1_27merge_sort_block_merge_implIS3_PsPS5_jNS1_19radix_merge_compareILb0ELb1EsNS0_19identity_decomposerEEEEE10hipError_tT0_T1_T2_jT3_P12ihipStream_tbPNSt15iterator_traitsISE_E10value_typeEPNSK_ISF_E10value_typeEPSG_NS1_7vsmem_tEENKUlT_SE_SF_SG_E_clIS8_S8_S9_S9_EESD_ST_SE_SF_SG_EUlST_E0_NS1_11comp_targetILNS1_3genE3ELNS1_11target_archE908ELNS1_3gpuE7ELNS1_3repE0EEENS1_38merge_mergepath_config_static_selectorELNS0_4arch9wavefront6targetE0EEEvSF_
; %bb.0:
	.section	.rodata,"a",@progbits
	.p2align	6, 0x0
	.amdhsa_kernel _ZN7rocprim17ROCPRIM_400000_NS6detail17trampoline_kernelINS0_14default_configENS1_38merge_sort_block_merge_config_selectorIsNS0_10empty_typeEEEZZNS1_27merge_sort_block_merge_implIS3_PsPS5_jNS1_19radix_merge_compareILb0ELb1EsNS0_19identity_decomposerEEEEE10hipError_tT0_T1_T2_jT3_P12ihipStream_tbPNSt15iterator_traitsISE_E10value_typeEPNSK_ISF_E10value_typeEPSG_NS1_7vsmem_tEENKUlT_SE_SF_SG_E_clIS8_S8_S9_S9_EESD_ST_SE_SF_SG_EUlST_E0_NS1_11comp_targetILNS1_3genE3ELNS1_11target_archE908ELNS1_3gpuE7ELNS1_3repE0EEENS1_38merge_mergepath_config_static_selectorELNS0_4arch9wavefront6targetE0EEEvSF_
		.amdhsa_group_segment_fixed_size 0
		.amdhsa_private_segment_fixed_size 0
		.amdhsa_kernarg_size 64
		.amdhsa_user_sgpr_count 2
		.amdhsa_user_sgpr_dispatch_ptr 0
		.amdhsa_user_sgpr_queue_ptr 0
		.amdhsa_user_sgpr_kernarg_segment_ptr 1
		.amdhsa_user_sgpr_dispatch_id 0
		.amdhsa_user_sgpr_kernarg_preload_length 0
		.amdhsa_user_sgpr_kernarg_preload_offset 0
		.amdhsa_user_sgpr_private_segment_size 0
		.amdhsa_wavefront_size32 1
		.amdhsa_uses_dynamic_stack 0
		.amdhsa_enable_private_segment 0
		.amdhsa_system_sgpr_workgroup_id_x 1
		.amdhsa_system_sgpr_workgroup_id_y 0
		.amdhsa_system_sgpr_workgroup_id_z 0
		.amdhsa_system_sgpr_workgroup_info 0
		.amdhsa_system_vgpr_workitem_id 0
		.amdhsa_next_free_vgpr 1
		.amdhsa_next_free_sgpr 1
		.amdhsa_named_barrier_count 0
		.amdhsa_reserve_vcc 0
		.amdhsa_float_round_mode_32 0
		.amdhsa_float_round_mode_16_64 0
		.amdhsa_float_denorm_mode_32 3
		.amdhsa_float_denorm_mode_16_64 3
		.amdhsa_fp16_overflow 0
		.amdhsa_memory_ordered 1
		.amdhsa_forward_progress 1
		.amdhsa_inst_pref_size 0
		.amdhsa_round_robin_scheduling 0
		.amdhsa_exception_fp_ieee_invalid_op 0
		.amdhsa_exception_fp_denorm_src 0
		.amdhsa_exception_fp_ieee_div_zero 0
		.amdhsa_exception_fp_ieee_overflow 0
		.amdhsa_exception_fp_ieee_underflow 0
		.amdhsa_exception_fp_ieee_inexact 0
		.amdhsa_exception_int_div_zero 0
	.end_amdhsa_kernel
	.section	.text._ZN7rocprim17ROCPRIM_400000_NS6detail17trampoline_kernelINS0_14default_configENS1_38merge_sort_block_merge_config_selectorIsNS0_10empty_typeEEEZZNS1_27merge_sort_block_merge_implIS3_PsPS5_jNS1_19radix_merge_compareILb0ELb1EsNS0_19identity_decomposerEEEEE10hipError_tT0_T1_T2_jT3_P12ihipStream_tbPNSt15iterator_traitsISE_E10value_typeEPNSK_ISF_E10value_typeEPSG_NS1_7vsmem_tEENKUlT_SE_SF_SG_E_clIS8_S8_S9_S9_EESD_ST_SE_SF_SG_EUlST_E0_NS1_11comp_targetILNS1_3genE3ELNS1_11target_archE908ELNS1_3gpuE7ELNS1_3repE0EEENS1_38merge_mergepath_config_static_selectorELNS0_4arch9wavefront6targetE0EEEvSF_,"axG",@progbits,_ZN7rocprim17ROCPRIM_400000_NS6detail17trampoline_kernelINS0_14default_configENS1_38merge_sort_block_merge_config_selectorIsNS0_10empty_typeEEEZZNS1_27merge_sort_block_merge_implIS3_PsPS5_jNS1_19radix_merge_compareILb0ELb1EsNS0_19identity_decomposerEEEEE10hipError_tT0_T1_T2_jT3_P12ihipStream_tbPNSt15iterator_traitsISE_E10value_typeEPNSK_ISF_E10value_typeEPSG_NS1_7vsmem_tEENKUlT_SE_SF_SG_E_clIS8_S8_S9_S9_EESD_ST_SE_SF_SG_EUlST_E0_NS1_11comp_targetILNS1_3genE3ELNS1_11target_archE908ELNS1_3gpuE7ELNS1_3repE0EEENS1_38merge_mergepath_config_static_selectorELNS0_4arch9wavefront6targetE0EEEvSF_,comdat
.Lfunc_end683:
	.size	_ZN7rocprim17ROCPRIM_400000_NS6detail17trampoline_kernelINS0_14default_configENS1_38merge_sort_block_merge_config_selectorIsNS0_10empty_typeEEEZZNS1_27merge_sort_block_merge_implIS3_PsPS5_jNS1_19radix_merge_compareILb0ELb1EsNS0_19identity_decomposerEEEEE10hipError_tT0_T1_T2_jT3_P12ihipStream_tbPNSt15iterator_traitsISE_E10value_typeEPNSK_ISF_E10value_typeEPSG_NS1_7vsmem_tEENKUlT_SE_SF_SG_E_clIS8_S8_S9_S9_EESD_ST_SE_SF_SG_EUlST_E0_NS1_11comp_targetILNS1_3genE3ELNS1_11target_archE908ELNS1_3gpuE7ELNS1_3repE0EEENS1_38merge_mergepath_config_static_selectorELNS0_4arch9wavefront6targetE0EEEvSF_, .Lfunc_end683-_ZN7rocprim17ROCPRIM_400000_NS6detail17trampoline_kernelINS0_14default_configENS1_38merge_sort_block_merge_config_selectorIsNS0_10empty_typeEEEZZNS1_27merge_sort_block_merge_implIS3_PsPS5_jNS1_19radix_merge_compareILb0ELb1EsNS0_19identity_decomposerEEEEE10hipError_tT0_T1_T2_jT3_P12ihipStream_tbPNSt15iterator_traitsISE_E10value_typeEPNSK_ISF_E10value_typeEPSG_NS1_7vsmem_tEENKUlT_SE_SF_SG_E_clIS8_S8_S9_S9_EESD_ST_SE_SF_SG_EUlST_E0_NS1_11comp_targetILNS1_3genE3ELNS1_11target_archE908ELNS1_3gpuE7ELNS1_3repE0EEENS1_38merge_mergepath_config_static_selectorELNS0_4arch9wavefront6targetE0EEEvSF_
                                        ; -- End function
	.set _ZN7rocprim17ROCPRIM_400000_NS6detail17trampoline_kernelINS0_14default_configENS1_38merge_sort_block_merge_config_selectorIsNS0_10empty_typeEEEZZNS1_27merge_sort_block_merge_implIS3_PsPS5_jNS1_19radix_merge_compareILb0ELb1EsNS0_19identity_decomposerEEEEE10hipError_tT0_T1_T2_jT3_P12ihipStream_tbPNSt15iterator_traitsISE_E10value_typeEPNSK_ISF_E10value_typeEPSG_NS1_7vsmem_tEENKUlT_SE_SF_SG_E_clIS8_S8_S9_S9_EESD_ST_SE_SF_SG_EUlST_E0_NS1_11comp_targetILNS1_3genE3ELNS1_11target_archE908ELNS1_3gpuE7ELNS1_3repE0EEENS1_38merge_mergepath_config_static_selectorELNS0_4arch9wavefront6targetE0EEEvSF_.num_vgpr, 0
	.set _ZN7rocprim17ROCPRIM_400000_NS6detail17trampoline_kernelINS0_14default_configENS1_38merge_sort_block_merge_config_selectorIsNS0_10empty_typeEEEZZNS1_27merge_sort_block_merge_implIS3_PsPS5_jNS1_19radix_merge_compareILb0ELb1EsNS0_19identity_decomposerEEEEE10hipError_tT0_T1_T2_jT3_P12ihipStream_tbPNSt15iterator_traitsISE_E10value_typeEPNSK_ISF_E10value_typeEPSG_NS1_7vsmem_tEENKUlT_SE_SF_SG_E_clIS8_S8_S9_S9_EESD_ST_SE_SF_SG_EUlST_E0_NS1_11comp_targetILNS1_3genE3ELNS1_11target_archE908ELNS1_3gpuE7ELNS1_3repE0EEENS1_38merge_mergepath_config_static_selectorELNS0_4arch9wavefront6targetE0EEEvSF_.num_agpr, 0
	.set _ZN7rocprim17ROCPRIM_400000_NS6detail17trampoline_kernelINS0_14default_configENS1_38merge_sort_block_merge_config_selectorIsNS0_10empty_typeEEEZZNS1_27merge_sort_block_merge_implIS3_PsPS5_jNS1_19radix_merge_compareILb0ELb1EsNS0_19identity_decomposerEEEEE10hipError_tT0_T1_T2_jT3_P12ihipStream_tbPNSt15iterator_traitsISE_E10value_typeEPNSK_ISF_E10value_typeEPSG_NS1_7vsmem_tEENKUlT_SE_SF_SG_E_clIS8_S8_S9_S9_EESD_ST_SE_SF_SG_EUlST_E0_NS1_11comp_targetILNS1_3genE3ELNS1_11target_archE908ELNS1_3gpuE7ELNS1_3repE0EEENS1_38merge_mergepath_config_static_selectorELNS0_4arch9wavefront6targetE0EEEvSF_.numbered_sgpr, 0
	.set _ZN7rocprim17ROCPRIM_400000_NS6detail17trampoline_kernelINS0_14default_configENS1_38merge_sort_block_merge_config_selectorIsNS0_10empty_typeEEEZZNS1_27merge_sort_block_merge_implIS3_PsPS5_jNS1_19radix_merge_compareILb0ELb1EsNS0_19identity_decomposerEEEEE10hipError_tT0_T1_T2_jT3_P12ihipStream_tbPNSt15iterator_traitsISE_E10value_typeEPNSK_ISF_E10value_typeEPSG_NS1_7vsmem_tEENKUlT_SE_SF_SG_E_clIS8_S8_S9_S9_EESD_ST_SE_SF_SG_EUlST_E0_NS1_11comp_targetILNS1_3genE3ELNS1_11target_archE908ELNS1_3gpuE7ELNS1_3repE0EEENS1_38merge_mergepath_config_static_selectorELNS0_4arch9wavefront6targetE0EEEvSF_.num_named_barrier, 0
	.set _ZN7rocprim17ROCPRIM_400000_NS6detail17trampoline_kernelINS0_14default_configENS1_38merge_sort_block_merge_config_selectorIsNS0_10empty_typeEEEZZNS1_27merge_sort_block_merge_implIS3_PsPS5_jNS1_19radix_merge_compareILb0ELb1EsNS0_19identity_decomposerEEEEE10hipError_tT0_T1_T2_jT3_P12ihipStream_tbPNSt15iterator_traitsISE_E10value_typeEPNSK_ISF_E10value_typeEPSG_NS1_7vsmem_tEENKUlT_SE_SF_SG_E_clIS8_S8_S9_S9_EESD_ST_SE_SF_SG_EUlST_E0_NS1_11comp_targetILNS1_3genE3ELNS1_11target_archE908ELNS1_3gpuE7ELNS1_3repE0EEENS1_38merge_mergepath_config_static_selectorELNS0_4arch9wavefront6targetE0EEEvSF_.private_seg_size, 0
	.set _ZN7rocprim17ROCPRIM_400000_NS6detail17trampoline_kernelINS0_14default_configENS1_38merge_sort_block_merge_config_selectorIsNS0_10empty_typeEEEZZNS1_27merge_sort_block_merge_implIS3_PsPS5_jNS1_19radix_merge_compareILb0ELb1EsNS0_19identity_decomposerEEEEE10hipError_tT0_T1_T2_jT3_P12ihipStream_tbPNSt15iterator_traitsISE_E10value_typeEPNSK_ISF_E10value_typeEPSG_NS1_7vsmem_tEENKUlT_SE_SF_SG_E_clIS8_S8_S9_S9_EESD_ST_SE_SF_SG_EUlST_E0_NS1_11comp_targetILNS1_3genE3ELNS1_11target_archE908ELNS1_3gpuE7ELNS1_3repE0EEENS1_38merge_mergepath_config_static_selectorELNS0_4arch9wavefront6targetE0EEEvSF_.uses_vcc, 0
	.set _ZN7rocprim17ROCPRIM_400000_NS6detail17trampoline_kernelINS0_14default_configENS1_38merge_sort_block_merge_config_selectorIsNS0_10empty_typeEEEZZNS1_27merge_sort_block_merge_implIS3_PsPS5_jNS1_19radix_merge_compareILb0ELb1EsNS0_19identity_decomposerEEEEE10hipError_tT0_T1_T2_jT3_P12ihipStream_tbPNSt15iterator_traitsISE_E10value_typeEPNSK_ISF_E10value_typeEPSG_NS1_7vsmem_tEENKUlT_SE_SF_SG_E_clIS8_S8_S9_S9_EESD_ST_SE_SF_SG_EUlST_E0_NS1_11comp_targetILNS1_3genE3ELNS1_11target_archE908ELNS1_3gpuE7ELNS1_3repE0EEENS1_38merge_mergepath_config_static_selectorELNS0_4arch9wavefront6targetE0EEEvSF_.uses_flat_scratch, 0
	.set _ZN7rocprim17ROCPRIM_400000_NS6detail17trampoline_kernelINS0_14default_configENS1_38merge_sort_block_merge_config_selectorIsNS0_10empty_typeEEEZZNS1_27merge_sort_block_merge_implIS3_PsPS5_jNS1_19radix_merge_compareILb0ELb1EsNS0_19identity_decomposerEEEEE10hipError_tT0_T1_T2_jT3_P12ihipStream_tbPNSt15iterator_traitsISE_E10value_typeEPNSK_ISF_E10value_typeEPSG_NS1_7vsmem_tEENKUlT_SE_SF_SG_E_clIS8_S8_S9_S9_EESD_ST_SE_SF_SG_EUlST_E0_NS1_11comp_targetILNS1_3genE3ELNS1_11target_archE908ELNS1_3gpuE7ELNS1_3repE0EEENS1_38merge_mergepath_config_static_selectorELNS0_4arch9wavefront6targetE0EEEvSF_.has_dyn_sized_stack, 0
	.set _ZN7rocprim17ROCPRIM_400000_NS6detail17trampoline_kernelINS0_14default_configENS1_38merge_sort_block_merge_config_selectorIsNS0_10empty_typeEEEZZNS1_27merge_sort_block_merge_implIS3_PsPS5_jNS1_19radix_merge_compareILb0ELb1EsNS0_19identity_decomposerEEEEE10hipError_tT0_T1_T2_jT3_P12ihipStream_tbPNSt15iterator_traitsISE_E10value_typeEPNSK_ISF_E10value_typeEPSG_NS1_7vsmem_tEENKUlT_SE_SF_SG_E_clIS8_S8_S9_S9_EESD_ST_SE_SF_SG_EUlST_E0_NS1_11comp_targetILNS1_3genE3ELNS1_11target_archE908ELNS1_3gpuE7ELNS1_3repE0EEENS1_38merge_mergepath_config_static_selectorELNS0_4arch9wavefront6targetE0EEEvSF_.has_recursion, 0
	.set _ZN7rocprim17ROCPRIM_400000_NS6detail17trampoline_kernelINS0_14default_configENS1_38merge_sort_block_merge_config_selectorIsNS0_10empty_typeEEEZZNS1_27merge_sort_block_merge_implIS3_PsPS5_jNS1_19radix_merge_compareILb0ELb1EsNS0_19identity_decomposerEEEEE10hipError_tT0_T1_T2_jT3_P12ihipStream_tbPNSt15iterator_traitsISE_E10value_typeEPNSK_ISF_E10value_typeEPSG_NS1_7vsmem_tEENKUlT_SE_SF_SG_E_clIS8_S8_S9_S9_EESD_ST_SE_SF_SG_EUlST_E0_NS1_11comp_targetILNS1_3genE3ELNS1_11target_archE908ELNS1_3gpuE7ELNS1_3repE0EEENS1_38merge_mergepath_config_static_selectorELNS0_4arch9wavefront6targetE0EEEvSF_.has_indirect_call, 0
	.section	.AMDGPU.csdata,"",@progbits
; Kernel info:
; codeLenInByte = 0
; TotalNumSgprs: 0
; NumVgprs: 0
; ScratchSize: 0
; MemoryBound: 0
; FloatMode: 240
; IeeeMode: 1
; LDSByteSize: 0 bytes/workgroup (compile time only)
; SGPRBlocks: 0
; VGPRBlocks: 0
; NumSGPRsForWavesPerEU: 1
; NumVGPRsForWavesPerEU: 1
; NamedBarCnt: 0
; Occupancy: 16
; WaveLimiterHint : 0
; COMPUTE_PGM_RSRC2:SCRATCH_EN: 0
; COMPUTE_PGM_RSRC2:USER_SGPR: 2
; COMPUTE_PGM_RSRC2:TRAP_HANDLER: 0
; COMPUTE_PGM_RSRC2:TGID_X_EN: 1
; COMPUTE_PGM_RSRC2:TGID_Y_EN: 0
; COMPUTE_PGM_RSRC2:TGID_Z_EN: 0
; COMPUTE_PGM_RSRC2:TIDIG_COMP_CNT: 0
	.section	.text._ZN7rocprim17ROCPRIM_400000_NS6detail17trampoline_kernelINS0_14default_configENS1_38merge_sort_block_merge_config_selectorIsNS0_10empty_typeEEEZZNS1_27merge_sort_block_merge_implIS3_PsPS5_jNS1_19radix_merge_compareILb0ELb1EsNS0_19identity_decomposerEEEEE10hipError_tT0_T1_T2_jT3_P12ihipStream_tbPNSt15iterator_traitsISE_E10value_typeEPNSK_ISF_E10value_typeEPSG_NS1_7vsmem_tEENKUlT_SE_SF_SG_E_clIS8_S8_S9_S9_EESD_ST_SE_SF_SG_EUlST_E0_NS1_11comp_targetILNS1_3genE2ELNS1_11target_archE906ELNS1_3gpuE6ELNS1_3repE0EEENS1_38merge_mergepath_config_static_selectorELNS0_4arch9wavefront6targetE0EEEvSF_,"axG",@progbits,_ZN7rocprim17ROCPRIM_400000_NS6detail17trampoline_kernelINS0_14default_configENS1_38merge_sort_block_merge_config_selectorIsNS0_10empty_typeEEEZZNS1_27merge_sort_block_merge_implIS3_PsPS5_jNS1_19radix_merge_compareILb0ELb1EsNS0_19identity_decomposerEEEEE10hipError_tT0_T1_T2_jT3_P12ihipStream_tbPNSt15iterator_traitsISE_E10value_typeEPNSK_ISF_E10value_typeEPSG_NS1_7vsmem_tEENKUlT_SE_SF_SG_E_clIS8_S8_S9_S9_EESD_ST_SE_SF_SG_EUlST_E0_NS1_11comp_targetILNS1_3genE2ELNS1_11target_archE906ELNS1_3gpuE6ELNS1_3repE0EEENS1_38merge_mergepath_config_static_selectorELNS0_4arch9wavefront6targetE0EEEvSF_,comdat
	.protected	_ZN7rocprim17ROCPRIM_400000_NS6detail17trampoline_kernelINS0_14default_configENS1_38merge_sort_block_merge_config_selectorIsNS0_10empty_typeEEEZZNS1_27merge_sort_block_merge_implIS3_PsPS5_jNS1_19radix_merge_compareILb0ELb1EsNS0_19identity_decomposerEEEEE10hipError_tT0_T1_T2_jT3_P12ihipStream_tbPNSt15iterator_traitsISE_E10value_typeEPNSK_ISF_E10value_typeEPSG_NS1_7vsmem_tEENKUlT_SE_SF_SG_E_clIS8_S8_S9_S9_EESD_ST_SE_SF_SG_EUlST_E0_NS1_11comp_targetILNS1_3genE2ELNS1_11target_archE906ELNS1_3gpuE6ELNS1_3repE0EEENS1_38merge_mergepath_config_static_selectorELNS0_4arch9wavefront6targetE0EEEvSF_ ; -- Begin function _ZN7rocprim17ROCPRIM_400000_NS6detail17trampoline_kernelINS0_14default_configENS1_38merge_sort_block_merge_config_selectorIsNS0_10empty_typeEEEZZNS1_27merge_sort_block_merge_implIS3_PsPS5_jNS1_19radix_merge_compareILb0ELb1EsNS0_19identity_decomposerEEEEE10hipError_tT0_T1_T2_jT3_P12ihipStream_tbPNSt15iterator_traitsISE_E10value_typeEPNSK_ISF_E10value_typeEPSG_NS1_7vsmem_tEENKUlT_SE_SF_SG_E_clIS8_S8_S9_S9_EESD_ST_SE_SF_SG_EUlST_E0_NS1_11comp_targetILNS1_3genE2ELNS1_11target_archE906ELNS1_3gpuE6ELNS1_3repE0EEENS1_38merge_mergepath_config_static_selectorELNS0_4arch9wavefront6targetE0EEEvSF_
	.globl	_ZN7rocprim17ROCPRIM_400000_NS6detail17trampoline_kernelINS0_14default_configENS1_38merge_sort_block_merge_config_selectorIsNS0_10empty_typeEEEZZNS1_27merge_sort_block_merge_implIS3_PsPS5_jNS1_19radix_merge_compareILb0ELb1EsNS0_19identity_decomposerEEEEE10hipError_tT0_T1_T2_jT3_P12ihipStream_tbPNSt15iterator_traitsISE_E10value_typeEPNSK_ISF_E10value_typeEPSG_NS1_7vsmem_tEENKUlT_SE_SF_SG_E_clIS8_S8_S9_S9_EESD_ST_SE_SF_SG_EUlST_E0_NS1_11comp_targetILNS1_3genE2ELNS1_11target_archE906ELNS1_3gpuE6ELNS1_3repE0EEENS1_38merge_mergepath_config_static_selectorELNS0_4arch9wavefront6targetE0EEEvSF_
	.p2align	8
	.type	_ZN7rocprim17ROCPRIM_400000_NS6detail17trampoline_kernelINS0_14default_configENS1_38merge_sort_block_merge_config_selectorIsNS0_10empty_typeEEEZZNS1_27merge_sort_block_merge_implIS3_PsPS5_jNS1_19radix_merge_compareILb0ELb1EsNS0_19identity_decomposerEEEEE10hipError_tT0_T1_T2_jT3_P12ihipStream_tbPNSt15iterator_traitsISE_E10value_typeEPNSK_ISF_E10value_typeEPSG_NS1_7vsmem_tEENKUlT_SE_SF_SG_E_clIS8_S8_S9_S9_EESD_ST_SE_SF_SG_EUlST_E0_NS1_11comp_targetILNS1_3genE2ELNS1_11target_archE906ELNS1_3gpuE6ELNS1_3repE0EEENS1_38merge_mergepath_config_static_selectorELNS0_4arch9wavefront6targetE0EEEvSF_,@function
_ZN7rocprim17ROCPRIM_400000_NS6detail17trampoline_kernelINS0_14default_configENS1_38merge_sort_block_merge_config_selectorIsNS0_10empty_typeEEEZZNS1_27merge_sort_block_merge_implIS3_PsPS5_jNS1_19radix_merge_compareILb0ELb1EsNS0_19identity_decomposerEEEEE10hipError_tT0_T1_T2_jT3_P12ihipStream_tbPNSt15iterator_traitsISE_E10value_typeEPNSK_ISF_E10value_typeEPSG_NS1_7vsmem_tEENKUlT_SE_SF_SG_E_clIS8_S8_S9_S9_EESD_ST_SE_SF_SG_EUlST_E0_NS1_11comp_targetILNS1_3genE2ELNS1_11target_archE906ELNS1_3gpuE6ELNS1_3repE0EEENS1_38merge_mergepath_config_static_selectorELNS0_4arch9wavefront6targetE0EEEvSF_: ; @_ZN7rocprim17ROCPRIM_400000_NS6detail17trampoline_kernelINS0_14default_configENS1_38merge_sort_block_merge_config_selectorIsNS0_10empty_typeEEEZZNS1_27merge_sort_block_merge_implIS3_PsPS5_jNS1_19radix_merge_compareILb0ELb1EsNS0_19identity_decomposerEEEEE10hipError_tT0_T1_T2_jT3_P12ihipStream_tbPNSt15iterator_traitsISE_E10value_typeEPNSK_ISF_E10value_typeEPSG_NS1_7vsmem_tEENKUlT_SE_SF_SG_E_clIS8_S8_S9_S9_EESD_ST_SE_SF_SG_EUlST_E0_NS1_11comp_targetILNS1_3genE2ELNS1_11target_archE906ELNS1_3gpuE6ELNS1_3repE0EEENS1_38merge_mergepath_config_static_selectorELNS0_4arch9wavefront6targetE0EEEvSF_
; %bb.0:
	.section	.rodata,"a",@progbits
	.p2align	6, 0x0
	.amdhsa_kernel _ZN7rocprim17ROCPRIM_400000_NS6detail17trampoline_kernelINS0_14default_configENS1_38merge_sort_block_merge_config_selectorIsNS0_10empty_typeEEEZZNS1_27merge_sort_block_merge_implIS3_PsPS5_jNS1_19radix_merge_compareILb0ELb1EsNS0_19identity_decomposerEEEEE10hipError_tT0_T1_T2_jT3_P12ihipStream_tbPNSt15iterator_traitsISE_E10value_typeEPNSK_ISF_E10value_typeEPSG_NS1_7vsmem_tEENKUlT_SE_SF_SG_E_clIS8_S8_S9_S9_EESD_ST_SE_SF_SG_EUlST_E0_NS1_11comp_targetILNS1_3genE2ELNS1_11target_archE906ELNS1_3gpuE6ELNS1_3repE0EEENS1_38merge_mergepath_config_static_selectorELNS0_4arch9wavefront6targetE0EEEvSF_
		.amdhsa_group_segment_fixed_size 0
		.amdhsa_private_segment_fixed_size 0
		.amdhsa_kernarg_size 64
		.amdhsa_user_sgpr_count 2
		.amdhsa_user_sgpr_dispatch_ptr 0
		.amdhsa_user_sgpr_queue_ptr 0
		.amdhsa_user_sgpr_kernarg_segment_ptr 1
		.amdhsa_user_sgpr_dispatch_id 0
		.amdhsa_user_sgpr_kernarg_preload_length 0
		.amdhsa_user_sgpr_kernarg_preload_offset 0
		.amdhsa_user_sgpr_private_segment_size 0
		.amdhsa_wavefront_size32 1
		.amdhsa_uses_dynamic_stack 0
		.amdhsa_enable_private_segment 0
		.amdhsa_system_sgpr_workgroup_id_x 1
		.amdhsa_system_sgpr_workgroup_id_y 0
		.amdhsa_system_sgpr_workgroup_id_z 0
		.amdhsa_system_sgpr_workgroup_info 0
		.amdhsa_system_vgpr_workitem_id 0
		.amdhsa_next_free_vgpr 1
		.amdhsa_next_free_sgpr 1
		.amdhsa_named_barrier_count 0
		.amdhsa_reserve_vcc 0
		.amdhsa_float_round_mode_32 0
		.amdhsa_float_round_mode_16_64 0
		.amdhsa_float_denorm_mode_32 3
		.amdhsa_float_denorm_mode_16_64 3
		.amdhsa_fp16_overflow 0
		.amdhsa_memory_ordered 1
		.amdhsa_forward_progress 1
		.amdhsa_inst_pref_size 0
		.amdhsa_round_robin_scheduling 0
		.amdhsa_exception_fp_ieee_invalid_op 0
		.amdhsa_exception_fp_denorm_src 0
		.amdhsa_exception_fp_ieee_div_zero 0
		.amdhsa_exception_fp_ieee_overflow 0
		.amdhsa_exception_fp_ieee_underflow 0
		.amdhsa_exception_fp_ieee_inexact 0
		.amdhsa_exception_int_div_zero 0
	.end_amdhsa_kernel
	.section	.text._ZN7rocprim17ROCPRIM_400000_NS6detail17trampoline_kernelINS0_14default_configENS1_38merge_sort_block_merge_config_selectorIsNS0_10empty_typeEEEZZNS1_27merge_sort_block_merge_implIS3_PsPS5_jNS1_19radix_merge_compareILb0ELb1EsNS0_19identity_decomposerEEEEE10hipError_tT0_T1_T2_jT3_P12ihipStream_tbPNSt15iterator_traitsISE_E10value_typeEPNSK_ISF_E10value_typeEPSG_NS1_7vsmem_tEENKUlT_SE_SF_SG_E_clIS8_S8_S9_S9_EESD_ST_SE_SF_SG_EUlST_E0_NS1_11comp_targetILNS1_3genE2ELNS1_11target_archE906ELNS1_3gpuE6ELNS1_3repE0EEENS1_38merge_mergepath_config_static_selectorELNS0_4arch9wavefront6targetE0EEEvSF_,"axG",@progbits,_ZN7rocprim17ROCPRIM_400000_NS6detail17trampoline_kernelINS0_14default_configENS1_38merge_sort_block_merge_config_selectorIsNS0_10empty_typeEEEZZNS1_27merge_sort_block_merge_implIS3_PsPS5_jNS1_19radix_merge_compareILb0ELb1EsNS0_19identity_decomposerEEEEE10hipError_tT0_T1_T2_jT3_P12ihipStream_tbPNSt15iterator_traitsISE_E10value_typeEPNSK_ISF_E10value_typeEPSG_NS1_7vsmem_tEENKUlT_SE_SF_SG_E_clIS8_S8_S9_S9_EESD_ST_SE_SF_SG_EUlST_E0_NS1_11comp_targetILNS1_3genE2ELNS1_11target_archE906ELNS1_3gpuE6ELNS1_3repE0EEENS1_38merge_mergepath_config_static_selectorELNS0_4arch9wavefront6targetE0EEEvSF_,comdat
.Lfunc_end684:
	.size	_ZN7rocprim17ROCPRIM_400000_NS6detail17trampoline_kernelINS0_14default_configENS1_38merge_sort_block_merge_config_selectorIsNS0_10empty_typeEEEZZNS1_27merge_sort_block_merge_implIS3_PsPS5_jNS1_19radix_merge_compareILb0ELb1EsNS0_19identity_decomposerEEEEE10hipError_tT0_T1_T2_jT3_P12ihipStream_tbPNSt15iterator_traitsISE_E10value_typeEPNSK_ISF_E10value_typeEPSG_NS1_7vsmem_tEENKUlT_SE_SF_SG_E_clIS8_S8_S9_S9_EESD_ST_SE_SF_SG_EUlST_E0_NS1_11comp_targetILNS1_3genE2ELNS1_11target_archE906ELNS1_3gpuE6ELNS1_3repE0EEENS1_38merge_mergepath_config_static_selectorELNS0_4arch9wavefront6targetE0EEEvSF_, .Lfunc_end684-_ZN7rocprim17ROCPRIM_400000_NS6detail17trampoline_kernelINS0_14default_configENS1_38merge_sort_block_merge_config_selectorIsNS0_10empty_typeEEEZZNS1_27merge_sort_block_merge_implIS3_PsPS5_jNS1_19radix_merge_compareILb0ELb1EsNS0_19identity_decomposerEEEEE10hipError_tT0_T1_T2_jT3_P12ihipStream_tbPNSt15iterator_traitsISE_E10value_typeEPNSK_ISF_E10value_typeEPSG_NS1_7vsmem_tEENKUlT_SE_SF_SG_E_clIS8_S8_S9_S9_EESD_ST_SE_SF_SG_EUlST_E0_NS1_11comp_targetILNS1_3genE2ELNS1_11target_archE906ELNS1_3gpuE6ELNS1_3repE0EEENS1_38merge_mergepath_config_static_selectorELNS0_4arch9wavefront6targetE0EEEvSF_
                                        ; -- End function
	.set _ZN7rocprim17ROCPRIM_400000_NS6detail17trampoline_kernelINS0_14default_configENS1_38merge_sort_block_merge_config_selectorIsNS0_10empty_typeEEEZZNS1_27merge_sort_block_merge_implIS3_PsPS5_jNS1_19radix_merge_compareILb0ELb1EsNS0_19identity_decomposerEEEEE10hipError_tT0_T1_T2_jT3_P12ihipStream_tbPNSt15iterator_traitsISE_E10value_typeEPNSK_ISF_E10value_typeEPSG_NS1_7vsmem_tEENKUlT_SE_SF_SG_E_clIS8_S8_S9_S9_EESD_ST_SE_SF_SG_EUlST_E0_NS1_11comp_targetILNS1_3genE2ELNS1_11target_archE906ELNS1_3gpuE6ELNS1_3repE0EEENS1_38merge_mergepath_config_static_selectorELNS0_4arch9wavefront6targetE0EEEvSF_.num_vgpr, 0
	.set _ZN7rocprim17ROCPRIM_400000_NS6detail17trampoline_kernelINS0_14default_configENS1_38merge_sort_block_merge_config_selectorIsNS0_10empty_typeEEEZZNS1_27merge_sort_block_merge_implIS3_PsPS5_jNS1_19radix_merge_compareILb0ELb1EsNS0_19identity_decomposerEEEEE10hipError_tT0_T1_T2_jT3_P12ihipStream_tbPNSt15iterator_traitsISE_E10value_typeEPNSK_ISF_E10value_typeEPSG_NS1_7vsmem_tEENKUlT_SE_SF_SG_E_clIS8_S8_S9_S9_EESD_ST_SE_SF_SG_EUlST_E0_NS1_11comp_targetILNS1_3genE2ELNS1_11target_archE906ELNS1_3gpuE6ELNS1_3repE0EEENS1_38merge_mergepath_config_static_selectorELNS0_4arch9wavefront6targetE0EEEvSF_.num_agpr, 0
	.set _ZN7rocprim17ROCPRIM_400000_NS6detail17trampoline_kernelINS0_14default_configENS1_38merge_sort_block_merge_config_selectorIsNS0_10empty_typeEEEZZNS1_27merge_sort_block_merge_implIS3_PsPS5_jNS1_19radix_merge_compareILb0ELb1EsNS0_19identity_decomposerEEEEE10hipError_tT0_T1_T2_jT3_P12ihipStream_tbPNSt15iterator_traitsISE_E10value_typeEPNSK_ISF_E10value_typeEPSG_NS1_7vsmem_tEENKUlT_SE_SF_SG_E_clIS8_S8_S9_S9_EESD_ST_SE_SF_SG_EUlST_E0_NS1_11comp_targetILNS1_3genE2ELNS1_11target_archE906ELNS1_3gpuE6ELNS1_3repE0EEENS1_38merge_mergepath_config_static_selectorELNS0_4arch9wavefront6targetE0EEEvSF_.numbered_sgpr, 0
	.set _ZN7rocprim17ROCPRIM_400000_NS6detail17trampoline_kernelINS0_14default_configENS1_38merge_sort_block_merge_config_selectorIsNS0_10empty_typeEEEZZNS1_27merge_sort_block_merge_implIS3_PsPS5_jNS1_19radix_merge_compareILb0ELb1EsNS0_19identity_decomposerEEEEE10hipError_tT0_T1_T2_jT3_P12ihipStream_tbPNSt15iterator_traitsISE_E10value_typeEPNSK_ISF_E10value_typeEPSG_NS1_7vsmem_tEENKUlT_SE_SF_SG_E_clIS8_S8_S9_S9_EESD_ST_SE_SF_SG_EUlST_E0_NS1_11comp_targetILNS1_3genE2ELNS1_11target_archE906ELNS1_3gpuE6ELNS1_3repE0EEENS1_38merge_mergepath_config_static_selectorELNS0_4arch9wavefront6targetE0EEEvSF_.num_named_barrier, 0
	.set _ZN7rocprim17ROCPRIM_400000_NS6detail17trampoline_kernelINS0_14default_configENS1_38merge_sort_block_merge_config_selectorIsNS0_10empty_typeEEEZZNS1_27merge_sort_block_merge_implIS3_PsPS5_jNS1_19radix_merge_compareILb0ELb1EsNS0_19identity_decomposerEEEEE10hipError_tT0_T1_T2_jT3_P12ihipStream_tbPNSt15iterator_traitsISE_E10value_typeEPNSK_ISF_E10value_typeEPSG_NS1_7vsmem_tEENKUlT_SE_SF_SG_E_clIS8_S8_S9_S9_EESD_ST_SE_SF_SG_EUlST_E0_NS1_11comp_targetILNS1_3genE2ELNS1_11target_archE906ELNS1_3gpuE6ELNS1_3repE0EEENS1_38merge_mergepath_config_static_selectorELNS0_4arch9wavefront6targetE0EEEvSF_.private_seg_size, 0
	.set _ZN7rocprim17ROCPRIM_400000_NS6detail17trampoline_kernelINS0_14default_configENS1_38merge_sort_block_merge_config_selectorIsNS0_10empty_typeEEEZZNS1_27merge_sort_block_merge_implIS3_PsPS5_jNS1_19radix_merge_compareILb0ELb1EsNS0_19identity_decomposerEEEEE10hipError_tT0_T1_T2_jT3_P12ihipStream_tbPNSt15iterator_traitsISE_E10value_typeEPNSK_ISF_E10value_typeEPSG_NS1_7vsmem_tEENKUlT_SE_SF_SG_E_clIS8_S8_S9_S9_EESD_ST_SE_SF_SG_EUlST_E0_NS1_11comp_targetILNS1_3genE2ELNS1_11target_archE906ELNS1_3gpuE6ELNS1_3repE0EEENS1_38merge_mergepath_config_static_selectorELNS0_4arch9wavefront6targetE0EEEvSF_.uses_vcc, 0
	.set _ZN7rocprim17ROCPRIM_400000_NS6detail17trampoline_kernelINS0_14default_configENS1_38merge_sort_block_merge_config_selectorIsNS0_10empty_typeEEEZZNS1_27merge_sort_block_merge_implIS3_PsPS5_jNS1_19radix_merge_compareILb0ELb1EsNS0_19identity_decomposerEEEEE10hipError_tT0_T1_T2_jT3_P12ihipStream_tbPNSt15iterator_traitsISE_E10value_typeEPNSK_ISF_E10value_typeEPSG_NS1_7vsmem_tEENKUlT_SE_SF_SG_E_clIS8_S8_S9_S9_EESD_ST_SE_SF_SG_EUlST_E0_NS1_11comp_targetILNS1_3genE2ELNS1_11target_archE906ELNS1_3gpuE6ELNS1_3repE0EEENS1_38merge_mergepath_config_static_selectorELNS0_4arch9wavefront6targetE0EEEvSF_.uses_flat_scratch, 0
	.set _ZN7rocprim17ROCPRIM_400000_NS6detail17trampoline_kernelINS0_14default_configENS1_38merge_sort_block_merge_config_selectorIsNS0_10empty_typeEEEZZNS1_27merge_sort_block_merge_implIS3_PsPS5_jNS1_19radix_merge_compareILb0ELb1EsNS0_19identity_decomposerEEEEE10hipError_tT0_T1_T2_jT3_P12ihipStream_tbPNSt15iterator_traitsISE_E10value_typeEPNSK_ISF_E10value_typeEPSG_NS1_7vsmem_tEENKUlT_SE_SF_SG_E_clIS8_S8_S9_S9_EESD_ST_SE_SF_SG_EUlST_E0_NS1_11comp_targetILNS1_3genE2ELNS1_11target_archE906ELNS1_3gpuE6ELNS1_3repE0EEENS1_38merge_mergepath_config_static_selectorELNS0_4arch9wavefront6targetE0EEEvSF_.has_dyn_sized_stack, 0
	.set _ZN7rocprim17ROCPRIM_400000_NS6detail17trampoline_kernelINS0_14default_configENS1_38merge_sort_block_merge_config_selectorIsNS0_10empty_typeEEEZZNS1_27merge_sort_block_merge_implIS3_PsPS5_jNS1_19radix_merge_compareILb0ELb1EsNS0_19identity_decomposerEEEEE10hipError_tT0_T1_T2_jT3_P12ihipStream_tbPNSt15iterator_traitsISE_E10value_typeEPNSK_ISF_E10value_typeEPSG_NS1_7vsmem_tEENKUlT_SE_SF_SG_E_clIS8_S8_S9_S9_EESD_ST_SE_SF_SG_EUlST_E0_NS1_11comp_targetILNS1_3genE2ELNS1_11target_archE906ELNS1_3gpuE6ELNS1_3repE0EEENS1_38merge_mergepath_config_static_selectorELNS0_4arch9wavefront6targetE0EEEvSF_.has_recursion, 0
	.set _ZN7rocprim17ROCPRIM_400000_NS6detail17trampoline_kernelINS0_14default_configENS1_38merge_sort_block_merge_config_selectorIsNS0_10empty_typeEEEZZNS1_27merge_sort_block_merge_implIS3_PsPS5_jNS1_19radix_merge_compareILb0ELb1EsNS0_19identity_decomposerEEEEE10hipError_tT0_T1_T2_jT3_P12ihipStream_tbPNSt15iterator_traitsISE_E10value_typeEPNSK_ISF_E10value_typeEPSG_NS1_7vsmem_tEENKUlT_SE_SF_SG_E_clIS8_S8_S9_S9_EESD_ST_SE_SF_SG_EUlST_E0_NS1_11comp_targetILNS1_3genE2ELNS1_11target_archE906ELNS1_3gpuE6ELNS1_3repE0EEENS1_38merge_mergepath_config_static_selectorELNS0_4arch9wavefront6targetE0EEEvSF_.has_indirect_call, 0
	.section	.AMDGPU.csdata,"",@progbits
; Kernel info:
; codeLenInByte = 0
; TotalNumSgprs: 0
; NumVgprs: 0
; ScratchSize: 0
; MemoryBound: 0
; FloatMode: 240
; IeeeMode: 1
; LDSByteSize: 0 bytes/workgroup (compile time only)
; SGPRBlocks: 0
; VGPRBlocks: 0
; NumSGPRsForWavesPerEU: 1
; NumVGPRsForWavesPerEU: 1
; NamedBarCnt: 0
; Occupancy: 16
; WaveLimiterHint : 0
; COMPUTE_PGM_RSRC2:SCRATCH_EN: 0
; COMPUTE_PGM_RSRC2:USER_SGPR: 2
; COMPUTE_PGM_RSRC2:TRAP_HANDLER: 0
; COMPUTE_PGM_RSRC2:TGID_X_EN: 1
; COMPUTE_PGM_RSRC2:TGID_Y_EN: 0
; COMPUTE_PGM_RSRC2:TGID_Z_EN: 0
; COMPUTE_PGM_RSRC2:TIDIG_COMP_CNT: 0
	.section	.text._ZN7rocprim17ROCPRIM_400000_NS6detail17trampoline_kernelINS0_14default_configENS1_38merge_sort_block_merge_config_selectorIsNS0_10empty_typeEEEZZNS1_27merge_sort_block_merge_implIS3_PsPS5_jNS1_19radix_merge_compareILb0ELb1EsNS0_19identity_decomposerEEEEE10hipError_tT0_T1_T2_jT3_P12ihipStream_tbPNSt15iterator_traitsISE_E10value_typeEPNSK_ISF_E10value_typeEPSG_NS1_7vsmem_tEENKUlT_SE_SF_SG_E_clIS8_S8_S9_S9_EESD_ST_SE_SF_SG_EUlST_E0_NS1_11comp_targetILNS1_3genE9ELNS1_11target_archE1100ELNS1_3gpuE3ELNS1_3repE0EEENS1_38merge_mergepath_config_static_selectorELNS0_4arch9wavefront6targetE0EEEvSF_,"axG",@progbits,_ZN7rocprim17ROCPRIM_400000_NS6detail17trampoline_kernelINS0_14default_configENS1_38merge_sort_block_merge_config_selectorIsNS0_10empty_typeEEEZZNS1_27merge_sort_block_merge_implIS3_PsPS5_jNS1_19radix_merge_compareILb0ELb1EsNS0_19identity_decomposerEEEEE10hipError_tT0_T1_T2_jT3_P12ihipStream_tbPNSt15iterator_traitsISE_E10value_typeEPNSK_ISF_E10value_typeEPSG_NS1_7vsmem_tEENKUlT_SE_SF_SG_E_clIS8_S8_S9_S9_EESD_ST_SE_SF_SG_EUlST_E0_NS1_11comp_targetILNS1_3genE9ELNS1_11target_archE1100ELNS1_3gpuE3ELNS1_3repE0EEENS1_38merge_mergepath_config_static_selectorELNS0_4arch9wavefront6targetE0EEEvSF_,comdat
	.protected	_ZN7rocprim17ROCPRIM_400000_NS6detail17trampoline_kernelINS0_14default_configENS1_38merge_sort_block_merge_config_selectorIsNS0_10empty_typeEEEZZNS1_27merge_sort_block_merge_implIS3_PsPS5_jNS1_19radix_merge_compareILb0ELb1EsNS0_19identity_decomposerEEEEE10hipError_tT0_T1_T2_jT3_P12ihipStream_tbPNSt15iterator_traitsISE_E10value_typeEPNSK_ISF_E10value_typeEPSG_NS1_7vsmem_tEENKUlT_SE_SF_SG_E_clIS8_S8_S9_S9_EESD_ST_SE_SF_SG_EUlST_E0_NS1_11comp_targetILNS1_3genE9ELNS1_11target_archE1100ELNS1_3gpuE3ELNS1_3repE0EEENS1_38merge_mergepath_config_static_selectorELNS0_4arch9wavefront6targetE0EEEvSF_ ; -- Begin function _ZN7rocprim17ROCPRIM_400000_NS6detail17trampoline_kernelINS0_14default_configENS1_38merge_sort_block_merge_config_selectorIsNS0_10empty_typeEEEZZNS1_27merge_sort_block_merge_implIS3_PsPS5_jNS1_19radix_merge_compareILb0ELb1EsNS0_19identity_decomposerEEEEE10hipError_tT0_T1_T2_jT3_P12ihipStream_tbPNSt15iterator_traitsISE_E10value_typeEPNSK_ISF_E10value_typeEPSG_NS1_7vsmem_tEENKUlT_SE_SF_SG_E_clIS8_S8_S9_S9_EESD_ST_SE_SF_SG_EUlST_E0_NS1_11comp_targetILNS1_3genE9ELNS1_11target_archE1100ELNS1_3gpuE3ELNS1_3repE0EEENS1_38merge_mergepath_config_static_selectorELNS0_4arch9wavefront6targetE0EEEvSF_
	.globl	_ZN7rocprim17ROCPRIM_400000_NS6detail17trampoline_kernelINS0_14default_configENS1_38merge_sort_block_merge_config_selectorIsNS0_10empty_typeEEEZZNS1_27merge_sort_block_merge_implIS3_PsPS5_jNS1_19radix_merge_compareILb0ELb1EsNS0_19identity_decomposerEEEEE10hipError_tT0_T1_T2_jT3_P12ihipStream_tbPNSt15iterator_traitsISE_E10value_typeEPNSK_ISF_E10value_typeEPSG_NS1_7vsmem_tEENKUlT_SE_SF_SG_E_clIS8_S8_S9_S9_EESD_ST_SE_SF_SG_EUlST_E0_NS1_11comp_targetILNS1_3genE9ELNS1_11target_archE1100ELNS1_3gpuE3ELNS1_3repE0EEENS1_38merge_mergepath_config_static_selectorELNS0_4arch9wavefront6targetE0EEEvSF_
	.p2align	8
	.type	_ZN7rocprim17ROCPRIM_400000_NS6detail17trampoline_kernelINS0_14default_configENS1_38merge_sort_block_merge_config_selectorIsNS0_10empty_typeEEEZZNS1_27merge_sort_block_merge_implIS3_PsPS5_jNS1_19radix_merge_compareILb0ELb1EsNS0_19identity_decomposerEEEEE10hipError_tT0_T1_T2_jT3_P12ihipStream_tbPNSt15iterator_traitsISE_E10value_typeEPNSK_ISF_E10value_typeEPSG_NS1_7vsmem_tEENKUlT_SE_SF_SG_E_clIS8_S8_S9_S9_EESD_ST_SE_SF_SG_EUlST_E0_NS1_11comp_targetILNS1_3genE9ELNS1_11target_archE1100ELNS1_3gpuE3ELNS1_3repE0EEENS1_38merge_mergepath_config_static_selectorELNS0_4arch9wavefront6targetE0EEEvSF_,@function
_ZN7rocprim17ROCPRIM_400000_NS6detail17trampoline_kernelINS0_14default_configENS1_38merge_sort_block_merge_config_selectorIsNS0_10empty_typeEEEZZNS1_27merge_sort_block_merge_implIS3_PsPS5_jNS1_19radix_merge_compareILb0ELb1EsNS0_19identity_decomposerEEEEE10hipError_tT0_T1_T2_jT3_P12ihipStream_tbPNSt15iterator_traitsISE_E10value_typeEPNSK_ISF_E10value_typeEPSG_NS1_7vsmem_tEENKUlT_SE_SF_SG_E_clIS8_S8_S9_S9_EESD_ST_SE_SF_SG_EUlST_E0_NS1_11comp_targetILNS1_3genE9ELNS1_11target_archE1100ELNS1_3gpuE3ELNS1_3repE0EEENS1_38merge_mergepath_config_static_selectorELNS0_4arch9wavefront6targetE0EEEvSF_: ; @_ZN7rocprim17ROCPRIM_400000_NS6detail17trampoline_kernelINS0_14default_configENS1_38merge_sort_block_merge_config_selectorIsNS0_10empty_typeEEEZZNS1_27merge_sort_block_merge_implIS3_PsPS5_jNS1_19radix_merge_compareILb0ELb1EsNS0_19identity_decomposerEEEEE10hipError_tT0_T1_T2_jT3_P12ihipStream_tbPNSt15iterator_traitsISE_E10value_typeEPNSK_ISF_E10value_typeEPSG_NS1_7vsmem_tEENKUlT_SE_SF_SG_E_clIS8_S8_S9_S9_EESD_ST_SE_SF_SG_EUlST_E0_NS1_11comp_targetILNS1_3genE9ELNS1_11target_archE1100ELNS1_3gpuE3ELNS1_3repE0EEENS1_38merge_mergepath_config_static_selectorELNS0_4arch9wavefront6targetE0EEEvSF_
; %bb.0:
	.section	.rodata,"a",@progbits
	.p2align	6, 0x0
	.amdhsa_kernel _ZN7rocprim17ROCPRIM_400000_NS6detail17trampoline_kernelINS0_14default_configENS1_38merge_sort_block_merge_config_selectorIsNS0_10empty_typeEEEZZNS1_27merge_sort_block_merge_implIS3_PsPS5_jNS1_19radix_merge_compareILb0ELb1EsNS0_19identity_decomposerEEEEE10hipError_tT0_T1_T2_jT3_P12ihipStream_tbPNSt15iterator_traitsISE_E10value_typeEPNSK_ISF_E10value_typeEPSG_NS1_7vsmem_tEENKUlT_SE_SF_SG_E_clIS8_S8_S9_S9_EESD_ST_SE_SF_SG_EUlST_E0_NS1_11comp_targetILNS1_3genE9ELNS1_11target_archE1100ELNS1_3gpuE3ELNS1_3repE0EEENS1_38merge_mergepath_config_static_selectorELNS0_4arch9wavefront6targetE0EEEvSF_
		.amdhsa_group_segment_fixed_size 0
		.amdhsa_private_segment_fixed_size 0
		.amdhsa_kernarg_size 64
		.amdhsa_user_sgpr_count 2
		.amdhsa_user_sgpr_dispatch_ptr 0
		.amdhsa_user_sgpr_queue_ptr 0
		.amdhsa_user_sgpr_kernarg_segment_ptr 1
		.amdhsa_user_sgpr_dispatch_id 0
		.amdhsa_user_sgpr_kernarg_preload_length 0
		.amdhsa_user_sgpr_kernarg_preload_offset 0
		.amdhsa_user_sgpr_private_segment_size 0
		.amdhsa_wavefront_size32 1
		.amdhsa_uses_dynamic_stack 0
		.amdhsa_enable_private_segment 0
		.amdhsa_system_sgpr_workgroup_id_x 1
		.amdhsa_system_sgpr_workgroup_id_y 0
		.amdhsa_system_sgpr_workgroup_id_z 0
		.amdhsa_system_sgpr_workgroup_info 0
		.amdhsa_system_vgpr_workitem_id 0
		.amdhsa_next_free_vgpr 1
		.amdhsa_next_free_sgpr 1
		.amdhsa_named_barrier_count 0
		.amdhsa_reserve_vcc 0
		.amdhsa_float_round_mode_32 0
		.amdhsa_float_round_mode_16_64 0
		.amdhsa_float_denorm_mode_32 3
		.amdhsa_float_denorm_mode_16_64 3
		.amdhsa_fp16_overflow 0
		.amdhsa_memory_ordered 1
		.amdhsa_forward_progress 1
		.amdhsa_inst_pref_size 0
		.amdhsa_round_robin_scheduling 0
		.amdhsa_exception_fp_ieee_invalid_op 0
		.amdhsa_exception_fp_denorm_src 0
		.amdhsa_exception_fp_ieee_div_zero 0
		.amdhsa_exception_fp_ieee_overflow 0
		.amdhsa_exception_fp_ieee_underflow 0
		.amdhsa_exception_fp_ieee_inexact 0
		.amdhsa_exception_int_div_zero 0
	.end_amdhsa_kernel
	.section	.text._ZN7rocprim17ROCPRIM_400000_NS6detail17trampoline_kernelINS0_14default_configENS1_38merge_sort_block_merge_config_selectorIsNS0_10empty_typeEEEZZNS1_27merge_sort_block_merge_implIS3_PsPS5_jNS1_19radix_merge_compareILb0ELb1EsNS0_19identity_decomposerEEEEE10hipError_tT0_T1_T2_jT3_P12ihipStream_tbPNSt15iterator_traitsISE_E10value_typeEPNSK_ISF_E10value_typeEPSG_NS1_7vsmem_tEENKUlT_SE_SF_SG_E_clIS8_S8_S9_S9_EESD_ST_SE_SF_SG_EUlST_E0_NS1_11comp_targetILNS1_3genE9ELNS1_11target_archE1100ELNS1_3gpuE3ELNS1_3repE0EEENS1_38merge_mergepath_config_static_selectorELNS0_4arch9wavefront6targetE0EEEvSF_,"axG",@progbits,_ZN7rocprim17ROCPRIM_400000_NS6detail17trampoline_kernelINS0_14default_configENS1_38merge_sort_block_merge_config_selectorIsNS0_10empty_typeEEEZZNS1_27merge_sort_block_merge_implIS3_PsPS5_jNS1_19radix_merge_compareILb0ELb1EsNS0_19identity_decomposerEEEEE10hipError_tT0_T1_T2_jT3_P12ihipStream_tbPNSt15iterator_traitsISE_E10value_typeEPNSK_ISF_E10value_typeEPSG_NS1_7vsmem_tEENKUlT_SE_SF_SG_E_clIS8_S8_S9_S9_EESD_ST_SE_SF_SG_EUlST_E0_NS1_11comp_targetILNS1_3genE9ELNS1_11target_archE1100ELNS1_3gpuE3ELNS1_3repE0EEENS1_38merge_mergepath_config_static_selectorELNS0_4arch9wavefront6targetE0EEEvSF_,comdat
.Lfunc_end685:
	.size	_ZN7rocprim17ROCPRIM_400000_NS6detail17trampoline_kernelINS0_14default_configENS1_38merge_sort_block_merge_config_selectorIsNS0_10empty_typeEEEZZNS1_27merge_sort_block_merge_implIS3_PsPS5_jNS1_19radix_merge_compareILb0ELb1EsNS0_19identity_decomposerEEEEE10hipError_tT0_T1_T2_jT3_P12ihipStream_tbPNSt15iterator_traitsISE_E10value_typeEPNSK_ISF_E10value_typeEPSG_NS1_7vsmem_tEENKUlT_SE_SF_SG_E_clIS8_S8_S9_S9_EESD_ST_SE_SF_SG_EUlST_E0_NS1_11comp_targetILNS1_3genE9ELNS1_11target_archE1100ELNS1_3gpuE3ELNS1_3repE0EEENS1_38merge_mergepath_config_static_selectorELNS0_4arch9wavefront6targetE0EEEvSF_, .Lfunc_end685-_ZN7rocprim17ROCPRIM_400000_NS6detail17trampoline_kernelINS0_14default_configENS1_38merge_sort_block_merge_config_selectorIsNS0_10empty_typeEEEZZNS1_27merge_sort_block_merge_implIS3_PsPS5_jNS1_19radix_merge_compareILb0ELb1EsNS0_19identity_decomposerEEEEE10hipError_tT0_T1_T2_jT3_P12ihipStream_tbPNSt15iterator_traitsISE_E10value_typeEPNSK_ISF_E10value_typeEPSG_NS1_7vsmem_tEENKUlT_SE_SF_SG_E_clIS8_S8_S9_S9_EESD_ST_SE_SF_SG_EUlST_E0_NS1_11comp_targetILNS1_3genE9ELNS1_11target_archE1100ELNS1_3gpuE3ELNS1_3repE0EEENS1_38merge_mergepath_config_static_selectorELNS0_4arch9wavefront6targetE0EEEvSF_
                                        ; -- End function
	.set _ZN7rocprim17ROCPRIM_400000_NS6detail17trampoline_kernelINS0_14default_configENS1_38merge_sort_block_merge_config_selectorIsNS0_10empty_typeEEEZZNS1_27merge_sort_block_merge_implIS3_PsPS5_jNS1_19radix_merge_compareILb0ELb1EsNS0_19identity_decomposerEEEEE10hipError_tT0_T1_T2_jT3_P12ihipStream_tbPNSt15iterator_traitsISE_E10value_typeEPNSK_ISF_E10value_typeEPSG_NS1_7vsmem_tEENKUlT_SE_SF_SG_E_clIS8_S8_S9_S9_EESD_ST_SE_SF_SG_EUlST_E0_NS1_11comp_targetILNS1_3genE9ELNS1_11target_archE1100ELNS1_3gpuE3ELNS1_3repE0EEENS1_38merge_mergepath_config_static_selectorELNS0_4arch9wavefront6targetE0EEEvSF_.num_vgpr, 0
	.set _ZN7rocprim17ROCPRIM_400000_NS6detail17trampoline_kernelINS0_14default_configENS1_38merge_sort_block_merge_config_selectorIsNS0_10empty_typeEEEZZNS1_27merge_sort_block_merge_implIS3_PsPS5_jNS1_19radix_merge_compareILb0ELb1EsNS0_19identity_decomposerEEEEE10hipError_tT0_T1_T2_jT3_P12ihipStream_tbPNSt15iterator_traitsISE_E10value_typeEPNSK_ISF_E10value_typeEPSG_NS1_7vsmem_tEENKUlT_SE_SF_SG_E_clIS8_S8_S9_S9_EESD_ST_SE_SF_SG_EUlST_E0_NS1_11comp_targetILNS1_3genE9ELNS1_11target_archE1100ELNS1_3gpuE3ELNS1_3repE0EEENS1_38merge_mergepath_config_static_selectorELNS0_4arch9wavefront6targetE0EEEvSF_.num_agpr, 0
	.set _ZN7rocprim17ROCPRIM_400000_NS6detail17trampoline_kernelINS0_14default_configENS1_38merge_sort_block_merge_config_selectorIsNS0_10empty_typeEEEZZNS1_27merge_sort_block_merge_implIS3_PsPS5_jNS1_19radix_merge_compareILb0ELb1EsNS0_19identity_decomposerEEEEE10hipError_tT0_T1_T2_jT3_P12ihipStream_tbPNSt15iterator_traitsISE_E10value_typeEPNSK_ISF_E10value_typeEPSG_NS1_7vsmem_tEENKUlT_SE_SF_SG_E_clIS8_S8_S9_S9_EESD_ST_SE_SF_SG_EUlST_E0_NS1_11comp_targetILNS1_3genE9ELNS1_11target_archE1100ELNS1_3gpuE3ELNS1_3repE0EEENS1_38merge_mergepath_config_static_selectorELNS0_4arch9wavefront6targetE0EEEvSF_.numbered_sgpr, 0
	.set _ZN7rocprim17ROCPRIM_400000_NS6detail17trampoline_kernelINS0_14default_configENS1_38merge_sort_block_merge_config_selectorIsNS0_10empty_typeEEEZZNS1_27merge_sort_block_merge_implIS3_PsPS5_jNS1_19radix_merge_compareILb0ELb1EsNS0_19identity_decomposerEEEEE10hipError_tT0_T1_T2_jT3_P12ihipStream_tbPNSt15iterator_traitsISE_E10value_typeEPNSK_ISF_E10value_typeEPSG_NS1_7vsmem_tEENKUlT_SE_SF_SG_E_clIS8_S8_S9_S9_EESD_ST_SE_SF_SG_EUlST_E0_NS1_11comp_targetILNS1_3genE9ELNS1_11target_archE1100ELNS1_3gpuE3ELNS1_3repE0EEENS1_38merge_mergepath_config_static_selectorELNS0_4arch9wavefront6targetE0EEEvSF_.num_named_barrier, 0
	.set _ZN7rocprim17ROCPRIM_400000_NS6detail17trampoline_kernelINS0_14default_configENS1_38merge_sort_block_merge_config_selectorIsNS0_10empty_typeEEEZZNS1_27merge_sort_block_merge_implIS3_PsPS5_jNS1_19radix_merge_compareILb0ELb1EsNS0_19identity_decomposerEEEEE10hipError_tT0_T1_T2_jT3_P12ihipStream_tbPNSt15iterator_traitsISE_E10value_typeEPNSK_ISF_E10value_typeEPSG_NS1_7vsmem_tEENKUlT_SE_SF_SG_E_clIS8_S8_S9_S9_EESD_ST_SE_SF_SG_EUlST_E0_NS1_11comp_targetILNS1_3genE9ELNS1_11target_archE1100ELNS1_3gpuE3ELNS1_3repE0EEENS1_38merge_mergepath_config_static_selectorELNS0_4arch9wavefront6targetE0EEEvSF_.private_seg_size, 0
	.set _ZN7rocprim17ROCPRIM_400000_NS6detail17trampoline_kernelINS0_14default_configENS1_38merge_sort_block_merge_config_selectorIsNS0_10empty_typeEEEZZNS1_27merge_sort_block_merge_implIS3_PsPS5_jNS1_19radix_merge_compareILb0ELb1EsNS0_19identity_decomposerEEEEE10hipError_tT0_T1_T2_jT3_P12ihipStream_tbPNSt15iterator_traitsISE_E10value_typeEPNSK_ISF_E10value_typeEPSG_NS1_7vsmem_tEENKUlT_SE_SF_SG_E_clIS8_S8_S9_S9_EESD_ST_SE_SF_SG_EUlST_E0_NS1_11comp_targetILNS1_3genE9ELNS1_11target_archE1100ELNS1_3gpuE3ELNS1_3repE0EEENS1_38merge_mergepath_config_static_selectorELNS0_4arch9wavefront6targetE0EEEvSF_.uses_vcc, 0
	.set _ZN7rocprim17ROCPRIM_400000_NS6detail17trampoline_kernelINS0_14default_configENS1_38merge_sort_block_merge_config_selectorIsNS0_10empty_typeEEEZZNS1_27merge_sort_block_merge_implIS3_PsPS5_jNS1_19radix_merge_compareILb0ELb1EsNS0_19identity_decomposerEEEEE10hipError_tT0_T1_T2_jT3_P12ihipStream_tbPNSt15iterator_traitsISE_E10value_typeEPNSK_ISF_E10value_typeEPSG_NS1_7vsmem_tEENKUlT_SE_SF_SG_E_clIS8_S8_S9_S9_EESD_ST_SE_SF_SG_EUlST_E0_NS1_11comp_targetILNS1_3genE9ELNS1_11target_archE1100ELNS1_3gpuE3ELNS1_3repE0EEENS1_38merge_mergepath_config_static_selectorELNS0_4arch9wavefront6targetE0EEEvSF_.uses_flat_scratch, 0
	.set _ZN7rocprim17ROCPRIM_400000_NS6detail17trampoline_kernelINS0_14default_configENS1_38merge_sort_block_merge_config_selectorIsNS0_10empty_typeEEEZZNS1_27merge_sort_block_merge_implIS3_PsPS5_jNS1_19radix_merge_compareILb0ELb1EsNS0_19identity_decomposerEEEEE10hipError_tT0_T1_T2_jT3_P12ihipStream_tbPNSt15iterator_traitsISE_E10value_typeEPNSK_ISF_E10value_typeEPSG_NS1_7vsmem_tEENKUlT_SE_SF_SG_E_clIS8_S8_S9_S9_EESD_ST_SE_SF_SG_EUlST_E0_NS1_11comp_targetILNS1_3genE9ELNS1_11target_archE1100ELNS1_3gpuE3ELNS1_3repE0EEENS1_38merge_mergepath_config_static_selectorELNS0_4arch9wavefront6targetE0EEEvSF_.has_dyn_sized_stack, 0
	.set _ZN7rocprim17ROCPRIM_400000_NS6detail17trampoline_kernelINS0_14default_configENS1_38merge_sort_block_merge_config_selectorIsNS0_10empty_typeEEEZZNS1_27merge_sort_block_merge_implIS3_PsPS5_jNS1_19radix_merge_compareILb0ELb1EsNS0_19identity_decomposerEEEEE10hipError_tT0_T1_T2_jT3_P12ihipStream_tbPNSt15iterator_traitsISE_E10value_typeEPNSK_ISF_E10value_typeEPSG_NS1_7vsmem_tEENKUlT_SE_SF_SG_E_clIS8_S8_S9_S9_EESD_ST_SE_SF_SG_EUlST_E0_NS1_11comp_targetILNS1_3genE9ELNS1_11target_archE1100ELNS1_3gpuE3ELNS1_3repE0EEENS1_38merge_mergepath_config_static_selectorELNS0_4arch9wavefront6targetE0EEEvSF_.has_recursion, 0
	.set _ZN7rocprim17ROCPRIM_400000_NS6detail17trampoline_kernelINS0_14default_configENS1_38merge_sort_block_merge_config_selectorIsNS0_10empty_typeEEEZZNS1_27merge_sort_block_merge_implIS3_PsPS5_jNS1_19radix_merge_compareILb0ELb1EsNS0_19identity_decomposerEEEEE10hipError_tT0_T1_T2_jT3_P12ihipStream_tbPNSt15iterator_traitsISE_E10value_typeEPNSK_ISF_E10value_typeEPSG_NS1_7vsmem_tEENKUlT_SE_SF_SG_E_clIS8_S8_S9_S9_EESD_ST_SE_SF_SG_EUlST_E0_NS1_11comp_targetILNS1_3genE9ELNS1_11target_archE1100ELNS1_3gpuE3ELNS1_3repE0EEENS1_38merge_mergepath_config_static_selectorELNS0_4arch9wavefront6targetE0EEEvSF_.has_indirect_call, 0
	.section	.AMDGPU.csdata,"",@progbits
; Kernel info:
; codeLenInByte = 0
; TotalNumSgprs: 0
; NumVgprs: 0
; ScratchSize: 0
; MemoryBound: 0
; FloatMode: 240
; IeeeMode: 1
; LDSByteSize: 0 bytes/workgroup (compile time only)
; SGPRBlocks: 0
; VGPRBlocks: 0
; NumSGPRsForWavesPerEU: 1
; NumVGPRsForWavesPerEU: 1
; NamedBarCnt: 0
; Occupancy: 16
; WaveLimiterHint : 0
; COMPUTE_PGM_RSRC2:SCRATCH_EN: 0
; COMPUTE_PGM_RSRC2:USER_SGPR: 2
; COMPUTE_PGM_RSRC2:TRAP_HANDLER: 0
; COMPUTE_PGM_RSRC2:TGID_X_EN: 1
; COMPUTE_PGM_RSRC2:TGID_Y_EN: 0
; COMPUTE_PGM_RSRC2:TGID_Z_EN: 0
; COMPUTE_PGM_RSRC2:TIDIG_COMP_CNT: 0
	.section	.text._ZN7rocprim17ROCPRIM_400000_NS6detail17trampoline_kernelINS0_14default_configENS1_38merge_sort_block_merge_config_selectorIsNS0_10empty_typeEEEZZNS1_27merge_sort_block_merge_implIS3_PsPS5_jNS1_19radix_merge_compareILb0ELb1EsNS0_19identity_decomposerEEEEE10hipError_tT0_T1_T2_jT3_P12ihipStream_tbPNSt15iterator_traitsISE_E10value_typeEPNSK_ISF_E10value_typeEPSG_NS1_7vsmem_tEENKUlT_SE_SF_SG_E_clIS8_S8_S9_S9_EESD_ST_SE_SF_SG_EUlST_E0_NS1_11comp_targetILNS1_3genE8ELNS1_11target_archE1030ELNS1_3gpuE2ELNS1_3repE0EEENS1_38merge_mergepath_config_static_selectorELNS0_4arch9wavefront6targetE0EEEvSF_,"axG",@progbits,_ZN7rocprim17ROCPRIM_400000_NS6detail17trampoline_kernelINS0_14default_configENS1_38merge_sort_block_merge_config_selectorIsNS0_10empty_typeEEEZZNS1_27merge_sort_block_merge_implIS3_PsPS5_jNS1_19radix_merge_compareILb0ELb1EsNS0_19identity_decomposerEEEEE10hipError_tT0_T1_T2_jT3_P12ihipStream_tbPNSt15iterator_traitsISE_E10value_typeEPNSK_ISF_E10value_typeEPSG_NS1_7vsmem_tEENKUlT_SE_SF_SG_E_clIS8_S8_S9_S9_EESD_ST_SE_SF_SG_EUlST_E0_NS1_11comp_targetILNS1_3genE8ELNS1_11target_archE1030ELNS1_3gpuE2ELNS1_3repE0EEENS1_38merge_mergepath_config_static_selectorELNS0_4arch9wavefront6targetE0EEEvSF_,comdat
	.protected	_ZN7rocprim17ROCPRIM_400000_NS6detail17trampoline_kernelINS0_14default_configENS1_38merge_sort_block_merge_config_selectorIsNS0_10empty_typeEEEZZNS1_27merge_sort_block_merge_implIS3_PsPS5_jNS1_19radix_merge_compareILb0ELb1EsNS0_19identity_decomposerEEEEE10hipError_tT0_T1_T2_jT3_P12ihipStream_tbPNSt15iterator_traitsISE_E10value_typeEPNSK_ISF_E10value_typeEPSG_NS1_7vsmem_tEENKUlT_SE_SF_SG_E_clIS8_S8_S9_S9_EESD_ST_SE_SF_SG_EUlST_E0_NS1_11comp_targetILNS1_3genE8ELNS1_11target_archE1030ELNS1_3gpuE2ELNS1_3repE0EEENS1_38merge_mergepath_config_static_selectorELNS0_4arch9wavefront6targetE0EEEvSF_ ; -- Begin function _ZN7rocprim17ROCPRIM_400000_NS6detail17trampoline_kernelINS0_14default_configENS1_38merge_sort_block_merge_config_selectorIsNS0_10empty_typeEEEZZNS1_27merge_sort_block_merge_implIS3_PsPS5_jNS1_19radix_merge_compareILb0ELb1EsNS0_19identity_decomposerEEEEE10hipError_tT0_T1_T2_jT3_P12ihipStream_tbPNSt15iterator_traitsISE_E10value_typeEPNSK_ISF_E10value_typeEPSG_NS1_7vsmem_tEENKUlT_SE_SF_SG_E_clIS8_S8_S9_S9_EESD_ST_SE_SF_SG_EUlST_E0_NS1_11comp_targetILNS1_3genE8ELNS1_11target_archE1030ELNS1_3gpuE2ELNS1_3repE0EEENS1_38merge_mergepath_config_static_selectorELNS0_4arch9wavefront6targetE0EEEvSF_
	.globl	_ZN7rocprim17ROCPRIM_400000_NS6detail17trampoline_kernelINS0_14default_configENS1_38merge_sort_block_merge_config_selectorIsNS0_10empty_typeEEEZZNS1_27merge_sort_block_merge_implIS3_PsPS5_jNS1_19radix_merge_compareILb0ELb1EsNS0_19identity_decomposerEEEEE10hipError_tT0_T1_T2_jT3_P12ihipStream_tbPNSt15iterator_traitsISE_E10value_typeEPNSK_ISF_E10value_typeEPSG_NS1_7vsmem_tEENKUlT_SE_SF_SG_E_clIS8_S8_S9_S9_EESD_ST_SE_SF_SG_EUlST_E0_NS1_11comp_targetILNS1_3genE8ELNS1_11target_archE1030ELNS1_3gpuE2ELNS1_3repE0EEENS1_38merge_mergepath_config_static_selectorELNS0_4arch9wavefront6targetE0EEEvSF_
	.p2align	8
	.type	_ZN7rocprim17ROCPRIM_400000_NS6detail17trampoline_kernelINS0_14default_configENS1_38merge_sort_block_merge_config_selectorIsNS0_10empty_typeEEEZZNS1_27merge_sort_block_merge_implIS3_PsPS5_jNS1_19radix_merge_compareILb0ELb1EsNS0_19identity_decomposerEEEEE10hipError_tT0_T1_T2_jT3_P12ihipStream_tbPNSt15iterator_traitsISE_E10value_typeEPNSK_ISF_E10value_typeEPSG_NS1_7vsmem_tEENKUlT_SE_SF_SG_E_clIS8_S8_S9_S9_EESD_ST_SE_SF_SG_EUlST_E0_NS1_11comp_targetILNS1_3genE8ELNS1_11target_archE1030ELNS1_3gpuE2ELNS1_3repE0EEENS1_38merge_mergepath_config_static_selectorELNS0_4arch9wavefront6targetE0EEEvSF_,@function
_ZN7rocprim17ROCPRIM_400000_NS6detail17trampoline_kernelINS0_14default_configENS1_38merge_sort_block_merge_config_selectorIsNS0_10empty_typeEEEZZNS1_27merge_sort_block_merge_implIS3_PsPS5_jNS1_19radix_merge_compareILb0ELb1EsNS0_19identity_decomposerEEEEE10hipError_tT0_T1_T2_jT3_P12ihipStream_tbPNSt15iterator_traitsISE_E10value_typeEPNSK_ISF_E10value_typeEPSG_NS1_7vsmem_tEENKUlT_SE_SF_SG_E_clIS8_S8_S9_S9_EESD_ST_SE_SF_SG_EUlST_E0_NS1_11comp_targetILNS1_3genE8ELNS1_11target_archE1030ELNS1_3gpuE2ELNS1_3repE0EEENS1_38merge_mergepath_config_static_selectorELNS0_4arch9wavefront6targetE0EEEvSF_: ; @_ZN7rocprim17ROCPRIM_400000_NS6detail17trampoline_kernelINS0_14default_configENS1_38merge_sort_block_merge_config_selectorIsNS0_10empty_typeEEEZZNS1_27merge_sort_block_merge_implIS3_PsPS5_jNS1_19radix_merge_compareILb0ELb1EsNS0_19identity_decomposerEEEEE10hipError_tT0_T1_T2_jT3_P12ihipStream_tbPNSt15iterator_traitsISE_E10value_typeEPNSK_ISF_E10value_typeEPSG_NS1_7vsmem_tEENKUlT_SE_SF_SG_E_clIS8_S8_S9_S9_EESD_ST_SE_SF_SG_EUlST_E0_NS1_11comp_targetILNS1_3genE8ELNS1_11target_archE1030ELNS1_3gpuE2ELNS1_3repE0EEENS1_38merge_mergepath_config_static_selectorELNS0_4arch9wavefront6targetE0EEEvSF_
; %bb.0:
	.section	.rodata,"a",@progbits
	.p2align	6, 0x0
	.amdhsa_kernel _ZN7rocprim17ROCPRIM_400000_NS6detail17trampoline_kernelINS0_14default_configENS1_38merge_sort_block_merge_config_selectorIsNS0_10empty_typeEEEZZNS1_27merge_sort_block_merge_implIS3_PsPS5_jNS1_19radix_merge_compareILb0ELb1EsNS0_19identity_decomposerEEEEE10hipError_tT0_T1_T2_jT3_P12ihipStream_tbPNSt15iterator_traitsISE_E10value_typeEPNSK_ISF_E10value_typeEPSG_NS1_7vsmem_tEENKUlT_SE_SF_SG_E_clIS8_S8_S9_S9_EESD_ST_SE_SF_SG_EUlST_E0_NS1_11comp_targetILNS1_3genE8ELNS1_11target_archE1030ELNS1_3gpuE2ELNS1_3repE0EEENS1_38merge_mergepath_config_static_selectorELNS0_4arch9wavefront6targetE0EEEvSF_
		.amdhsa_group_segment_fixed_size 0
		.amdhsa_private_segment_fixed_size 0
		.amdhsa_kernarg_size 64
		.amdhsa_user_sgpr_count 2
		.amdhsa_user_sgpr_dispatch_ptr 0
		.amdhsa_user_sgpr_queue_ptr 0
		.amdhsa_user_sgpr_kernarg_segment_ptr 1
		.amdhsa_user_sgpr_dispatch_id 0
		.amdhsa_user_sgpr_kernarg_preload_length 0
		.amdhsa_user_sgpr_kernarg_preload_offset 0
		.amdhsa_user_sgpr_private_segment_size 0
		.amdhsa_wavefront_size32 1
		.amdhsa_uses_dynamic_stack 0
		.amdhsa_enable_private_segment 0
		.amdhsa_system_sgpr_workgroup_id_x 1
		.amdhsa_system_sgpr_workgroup_id_y 0
		.amdhsa_system_sgpr_workgroup_id_z 0
		.amdhsa_system_sgpr_workgroup_info 0
		.amdhsa_system_vgpr_workitem_id 0
		.amdhsa_next_free_vgpr 1
		.amdhsa_next_free_sgpr 1
		.amdhsa_named_barrier_count 0
		.amdhsa_reserve_vcc 0
		.amdhsa_float_round_mode_32 0
		.amdhsa_float_round_mode_16_64 0
		.amdhsa_float_denorm_mode_32 3
		.amdhsa_float_denorm_mode_16_64 3
		.amdhsa_fp16_overflow 0
		.amdhsa_memory_ordered 1
		.amdhsa_forward_progress 1
		.amdhsa_inst_pref_size 0
		.amdhsa_round_robin_scheduling 0
		.amdhsa_exception_fp_ieee_invalid_op 0
		.amdhsa_exception_fp_denorm_src 0
		.amdhsa_exception_fp_ieee_div_zero 0
		.amdhsa_exception_fp_ieee_overflow 0
		.amdhsa_exception_fp_ieee_underflow 0
		.amdhsa_exception_fp_ieee_inexact 0
		.amdhsa_exception_int_div_zero 0
	.end_amdhsa_kernel
	.section	.text._ZN7rocprim17ROCPRIM_400000_NS6detail17trampoline_kernelINS0_14default_configENS1_38merge_sort_block_merge_config_selectorIsNS0_10empty_typeEEEZZNS1_27merge_sort_block_merge_implIS3_PsPS5_jNS1_19radix_merge_compareILb0ELb1EsNS0_19identity_decomposerEEEEE10hipError_tT0_T1_T2_jT3_P12ihipStream_tbPNSt15iterator_traitsISE_E10value_typeEPNSK_ISF_E10value_typeEPSG_NS1_7vsmem_tEENKUlT_SE_SF_SG_E_clIS8_S8_S9_S9_EESD_ST_SE_SF_SG_EUlST_E0_NS1_11comp_targetILNS1_3genE8ELNS1_11target_archE1030ELNS1_3gpuE2ELNS1_3repE0EEENS1_38merge_mergepath_config_static_selectorELNS0_4arch9wavefront6targetE0EEEvSF_,"axG",@progbits,_ZN7rocprim17ROCPRIM_400000_NS6detail17trampoline_kernelINS0_14default_configENS1_38merge_sort_block_merge_config_selectorIsNS0_10empty_typeEEEZZNS1_27merge_sort_block_merge_implIS3_PsPS5_jNS1_19radix_merge_compareILb0ELb1EsNS0_19identity_decomposerEEEEE10hipError_tT0_T1_T2_jT3_P12ihipStream_tbPNSt15iterator_traitsISE_E10value_typeEPNSK_ISF_E10value_typeEPSG_NS1_7vsmem_tEENKUlT_SE_SF_SG_E_clIS8_S8_S9_S9_EESD_ST_SE_SF_SG_EUlST_E0_NS1_11comp_targetILNS1_3genE8ELNS1_11target_archE1030ELNS1_3gpuE2ELNS1_3repE0EEENS1_38merge_mergepath_config_static_selectorELNS0_4arch9wavefront6targetE0EEEvSF_,comdat
.Lfunc_end686:
	.size	_ZN7rocprim17ROCPRIM_400000_NS6detail17trampoline_kernelINS0_14default_configENS1_38merge_sort_block_merge_config_selectorIsNS0_10empty_typeEEEZZNS1_27merge_sort_block_merge_implIS3_PsPS5_jNS1_19radix_merge_compareILb0ELb1EsNS0_19identity_decomposerEEEEE10hipError_tT0_T1_T2_jT3_P12ihipStream_tbPNSt15iterator_traitsISE_E10value_typeEPNSK_ISF_E10value_typeEPSG_NS1_7vsmem_tEENKUlT_SE_SF_SG_E_clIS8_S8_S9_S9_EESD_ST_SE_SF_SG_EUlST_E0_NS1_11comp_targetILNS1_3genE8ELNS1_11target_archE1030ELNS1_3gpuE2ELNS1_3repE0EEENS1_38merge_mergepath_config_static_selectorELNS0_4arch9wavefront6targetE0EEEvSF_, .Lfunc_end686-_ZN7rocprim17ROCPRIM_400000_NS6detail17trampoline_kernelINS0_14default_configENS1_38merge_sort_block_merge_config_selectorIsNS0_10empty_typeEEEZZNS1_27merge_sort_block_merge_implIS3_PsPS5_jNS1_19radix_merge_compareILb0ELb1EsNS0_19identity_decomposerEEEEE10hipError_tT0_T1_T2_jT3_P12ihipStream_tbPNSt15iterator_traitsISE_E10value_typeEPNSK_ISF_E10value_typeEPSG_NS1_7vsmem_tEENKUlT_SE_SF_SG_E_clIS8_S8_S9_S9_EESD_ST_SE_SF_SG_EUlST_E0_NS1_11comp_targetILNS1_3genE8ELNS1_11target_archE1030ELNS1_3gpuE2ELNS1_3repE0EEENS1_38merge_mergepath_config_static_selectorELNS0_4arch9wavefront6targetE0EEEvSF_
                                        ; -- End function
	.set _ZN7rocprim17ROCPRIM_400000_NS6detail17trampoline_kernelINS0_14default_configENS1_38merge_sort_block_merge_config_selectorIsNS0_10empty_typeEEEZZNS1_27merge_sort_block_merge_implIS3_PsPS5_jNS1_19radix_merge_compareILb0ELb1EsNS0_19identity_decomposerEEEEE10hipError_tT0_T1_T2_jT3_P12ihipStream_tbPNSt15iterator_traitsISE_E10value_typeEPNSK_ISF_E10value_typeEPSG_NS1_7vsmem_tEENKUlT_SE_SF_SG_E_clIS8_S8_S9_S9_EESD_ST_SE_SF_SG_EUlST_E0_NS1_11comp_targetILNS1_3genE8ELNS1_11target_archE1030ELNS1_3gpuE2ELNS1_3repE0EEENS1_38merge_mergepath_config_static_selectorELNS0_4arch9wavefront6targetE0EEEvSF_.num_vgpr, 0
	.set _ZN7rocprim17ROCPRIM_400000_NS6detail17trampoline_kernelINS0_14default_configENS1_38merge_sort_block_merge_config_selectorIsNS0_10empty_typeEEEZZNS1_27merge_sort_block_merge_implIS3_PsPS5_jNS1_19radix_merge_compareILb0ELb1EsNS0_19identity_decomposerEEEEE10hipError_tT0_T1_T2_jT3_P12ihipStream_tbPNSt15iterator_traitsISE_E10value_typeEPNSK_ISF_E10value_typeEPSG_NS1_7vsmem_tEENKUlT_SE_SF_SG_E_clIS8_S8_S9_S9_EESD_ST_SE_SF_SG_EUlST_E0_NS1_11comp_targetILNS1_3genE8ELNS1_11target_archE1030ELNS1_3gpuE2ELNS1_3repE0EEENS1_38merge_mergepath_config_static_selectorELNS0_4arch9wavefront6targetE0EEEvSF_.num_agpr, 0
	.set _ZN7rocprim17ROCPRIM_400000_NS6detail17trampoline_kernelINS0_14default_configENS1_38merge_sort_block_merge_config_selectorIsNS0_10empty_typeEEEZZNS1_27merge_sort_block_merge_implIS3_PsPS5_jNS1_19radix_merge_compareILb0ELb1EsNS0_19identity_decomposerEEEEE10hipError_tT0_T1_T2_jT3_P12ihipStream_tbPNSt15iterator_traitsISE_E10value_typeEPNSK_ISF_E10value_typeEPSG_NS1_7vsmem_tEENKUlT_SE_SF_SG_E_clIS8_S8_S9_S9_EESD_ST_SE_SF_SG_EUlST_E0_NS1_11comp_targetILNS1_3genE8ELNS1_11target_archE1030ELNS1_3gpuE2ELNS1_3repE0EEENS1_38merge_mergepath_config_static_selectorELNS0_4arch9wavefront6targetE0EEEvSF_.numbered_sgpr, 0
	.set _ZN7rocprim17ROCPRIM_400000_NS6detail17trampoline_kernelINS0_14default_configENS1_38merge_sort_block_merge_config_selectorIsNS0_10empty_typeEEEZZNS1_27merge_sort_block_merge_implIS3_PsPS5_jNS1_19radix_merge_compareILb0ELb1EsNS0_19identity_decomposerEEEEE10hipError_tT0_T1_T2_jT3_P12ihipStream_tbPNSt15iterator_traitsISE_E10value_typeEPNSK_ISF_E10value_typeEPSG_NS1_7vsmem_tEENKUlT_SE_SF_SG_E_clIS8_S8_S9_S9_EESD_ST_SE_SF_SG_EUlST_E0_NS1_11comp_targetILNS1_3genE8ELNS1_11target_archE1030ELNS1_3gpuE2ELNS1_3repE0EEENS1_38merge_mergepath_config_static_selectorELNS0_4arch9wavefront6targetE0EEEvSF_.num_named_barrier, 0
	.set _ZN7rocprim17ROCPRIM_400000_NS6detail17trampoline_kernelINS0_14default_configENS1_38merge_sort_block_merge_config_selectorIsNS0_10empty_typeEEEZZNS1_27merge_sort_block_merge_implIS3_PsPS5_jNS1_19radix_merge_compareILb0ELb1EsNS0_19identity_decomposerEEEEE10hipError_tT0_T1_T2_jT3_P12ihipStream_tbPNSt15iterator_traitsISE_E10value_typeEPNSK_ISF_E10value_typeEPSG_NS1_7vsmem_tEENKUlT_SE_SF_SG_E_clIS8_S8_S9_S9_EESD_ST_SE_SF_SG_EUlST_E0_NS1_11comp_targetILNS1_3genE8ELNS1_11target_archE1030ELNS1_3gpuE2ELNS1_3repE0EEENS1_38merge_mergepath_config_static_selectorELNS0_4arch9wavefront6targetE0EEEvSF_.private_seg_size, 0
	.set _ZN7rocprim17ROCPRIM_400000_NS6detail17trampoline_kernelINS0_14default_configENS1_38merge_sort_block_merge_config_selectorIsNS0_10empty_typeEEEZZNS1_27merge_sort_block_merge_implIS3_PsPS5_jNS1_19radix_merge_compareILb0ELb1EsNS0_19identity_decomposerEEEEE10hipError_tT0_T1_T2_jT3_P12ihipStream_tbPNSt15iterator_traitsISE_E10value_typeEPNSK_ISF_E10value_typeEPSG_NS1_7vsmem_tEENKUlT_SE_SF_SG_E_clIS8_S8_S9_S9_EESD_ST_SE_SF_SG_EUlST_E0_NS1_11comp_targetILNS1_3genE8ELNS1_11target_archE1030ELNS1_3gpuE2ELNS1_3repE0EEENS1_38merge_mergepath_config_static_selectorELNS0_4arch9wavefront6targetE0EEEvSF_.uses_vcc, 0
	.set _ZN7rocprim17ROCPRIM_400000_NS6detail17trampoline_kernelINS0_14default_configENS1_38merge_sort_block_merge_config_selectorIsNS0_10empty_typeEEEZZNS1_27merge_sort_block_merge_implIS3_PsPS5_jNS1_19radix_merge_compareILb0ELb1EsNS0_19identity_decomposerEEEEE10hipError_tT0_T1_T2_jT3_P12ihipStream_tbPNSt15iterator_traitsISE_E10value_typeEPNSK_ISF_E10value_typeEPSG_NS1_7vsmem_tEENKUlT_SE_SF_SG_E_clIS8_S8_S9_S9_EESD_ST_SE_SF_SG_EUlST_E0_NS1_11comp_targetILNS1_3genE8ELNS1_11target_archE1030ELNS1_3gpuE2ELNS1_3repE0EEENS1_38merge_mergepath_config_static_selectorELNS0_4arch9wavefront6targetE0EEEvSF_.uses_flat_scratch, 0
	.set _ZN7rocprim17ROCPRIM_400000_NS6detail17trampoline_kernelINS0_14default_configENS1_38merge_sort_block_merge_config_selectorIsNS0_10empty_typeEEEZZNS1_27merge_sort_block_merge_implIS3_PsPS5_jNS1_19radix_merge_compareILb0ELb1EsNS0_19identity_decomposerEEEEE10hipError_tT0_T1_T2_jT3_P12ihipStream_tbPNSt15iterator_traitsISE_E10value_typeEPNSK_ISF_E10value_typeEPSG_NS1_7vsmem_tEENKUlT_SE_SF_SG_E_clIS8_S8_S9_S9_EESD_ST_SE_SF_SG_EUlST_E0_NS1_11comp_targetILNS1_3genE8ELNS1_11target_archE1030ELNS1_3gpuE2ELNS1_3repE0EEENS1_38merge_mergepath_config_static_selectorELNS0_4arch9wavefront6targetE0EEEvSF_.has_dyn_sized_stack, 0
	.set _ZN7rocprim17ROCPRIM_400000_NS6detail17trampoline_kernelINS0_14default_configENS1_38merge_sort_block_merge_config_selectorIsNS0_10empty_typeEEEZZNS1_27merge_sort_block_merge_implIS3_PsPS5_jNS1_19radix_merge_compareILb0ELb1EsNS0_19identity_decomposerEEEEE10hipError_tT0_T1_T2_jT3_P12ihipStream_tbPNSt15iterator_traitsISE_E10value_typeEPNSK_ISF_E10value_typeEPSG_NS1_7vsmem_tEENKUlT_SE_SF_SG_E_clIS8_S8_S9_S9_EESD_ST_SE_SF_SG_EUlST_E0_NS1_11comp_targetILNS1_3genE8ELNS1_11target_archE1030ELNS1_3gpuE2ELNS1_3repE0EEENS1_38merge_mergepath_config_static_selectorELNS0_4arch9wavefront6targetE0EEEvSF_.has_recursion, 0
	.set _ZN7rocprim17ROCPRIM_400000_NS6detail17trampoline_kernelINS0_14default_configENS1_38merge_sort_block_merge_config_selectorIsNS0_10empty_typeEEEZZNS1_27merge_sort_block_merge_implIS3_PsPS5_jNS1_19radix_merge_compareILb0ELb1EsNS0_19identity_decomposerEEEEE10hipError_tT0_T1_T2_jT3_P12ihipStream_tbPNSt15iterator_traitsISE_E10value_typeEPNSK_ISF_E10value_typeEPSG_NS1_7vsmem_tEENKUlT_SE_SF_SG_E_clIS8_S8_S9_S9_EESD_ST_SE_SF_SG_EUlST_E0_NS1_11comp_targetILNS1_3genE8ELNS1_11target_archE1030ELNS1_3gpuE2ELNS1_3repE0EEENS1_38merge_mergepath_config_static_selectorELNS0_4arch9wavefront6targetE0EEEvSF_.has_indirect_call, 0
	.section	.AMDGPU.csdata,"",@progbits
; Kernel info:
; codeLenInByte = 0
; TotalNumSgprs: 0
; NumVgprs: 0
; ScratchSize: 0
; MemoryBound: 0
; FloatMode: 240
; IeeeMode: 1
; LDSByteSize: 0 bytes/workgroup (compile time only)
; SGPRBlocks: 0
; VGPRBlocks: 0
; NumSGPRsForWavesPerEU: 1
; NumVGPRsForWavesPerEU: 1
; NamedBarCnt: 0
; Occupancy: 16
; WaveLimiterHint : 0
; COMPUTE_PGM_RSRC2:SCRATCH_EN: 0
; COMPUTE_PGM_RSRC2:USER_SGPR: 2
; COMPUTE_PGM_RSRC2:TRAP_HANDLER: 0
; COMPUTE_PGM_RSRC2:TGID_X_EN: 1
; COMPUTE_PGM_RSRC2:TGID_Y_EN: 0
; COMPUTE_PGM_RSRC2:TGID_Z_EN: 0
; COMPUTE_PGM_RSRC2:TIDIG_COMP_CNT: 0
	.section	.text._ZN7rocprim17ROCPRIM_400000_NS6detail17trampoline_kernelINS0_14default_configENS1_38merge_sort_block_merge_config_selectorIsNS0_10empty_typeEEEZZNS1_27merge_sort_block_merge_implIS3_PsPS5_jNS1_19radix_merge_compareILb0ELb1EsNS0_19identity_decomposerEEEEE10hipError_tT0_T1_T2_jT3_P12ihipStream_tbPNSt15iterator_traitsISE_E10value_typeEPNSK_ISF_E10value_typeEPSG_NS1_7vsmem_tEENKUlT_SE_SF_SG_E_clIS8_S8_S9_S9_EESD_ST_SE_SF_SG_EUlST_E1_NS1_11comp_targetILNS1_3genE0ELNS1_11target_archE4294967295ELNS1_3gpuE0ELNS1_3repE0EEENS1_36merge_oddeven_config_static_selectorELNS0_4arch9wavefront6targetE0EEEvSF_,"axG",@progbits,_ZN7rocprim17ROCPRIM_400000_NS6detail17trampoline_kernelINS0_14default_configENS1_38merge_sort_block_merge_config_selectorIsNS0_10empty_typeEEEZZNS1_27merge_sort_block_merge_implIS3_PsPS5_jNS1_19radix_merge_compareILb0ELb1EsNS0_19identity_decomposerEEEEE10hipError_tT0_T1_T2_jT3_P12ihipStream_tbPNSt15iterator_traitsISE_E10value_typeEPNSK_ISF_E10value_typeEPSG_NS1_7vsmem_tEENKUlT_SE_SF_SG_E_clIS8_S8_S9_S9_EESD_ST_SE_SF_SG_EUlST_E1_NS1_11comp_targetILNS1_3genE0ELNS1_11target_archE4294967295ELNS1_3gpuE0ELNS1_3repE0EEENS1_36merge_oddeven_config_static_selectorELNS0_4arch9wavefront6targetE0EEEvSF_,comdat
	.protected	_ZN7rocprim17ROCPRIM_400000_NS6detail17trampoline_kernelINS0_14default_configENS1_38merge_sort_block_merge_config_selectorIsNS0_10empty_typeEEEZZNS1_27merge_sort_block_merge_implIS3_PsPS5_jNS1_19radix_merge_compareILb0ELb1EsNS0_19identity_decomposerEEEEE10hipError_tT0_T1_T2_jT3_P12ihipStream_tbPNSt15iterator_traitsISE_E10value_typeEPNSK_ISF_E10value_typeEPSG_NS1_7vsmem_tEENKUlT_SE_SF_SG_E_clIS8_S8_S9_S9_EESD_ST_SE_SF_SG_EUlST_E1_NS1_11comp_targetILNS1_3genE0ELNS1_11target_archE4294967295ELNS1_3gpuE0ELNS1_3repE0EEENS1_36merge_oddeven_config_static_selectorELNS0_4arch9wavefront6targetE0EEEvSF_ ; -- Begin function _ZN7rocprim17ROCPRIM_400000_NS6detail17trampoline_kernelINS0_14default_configENS1_38merge_sort_block_merge_config_selectorIsNS0_10empty_typeEEEZZNS1_27merge_sort_block_merge_implIS3_PsPS5_jNS1_19radix_merge_compareILb0ELb1EsNS0_19identity_decomposerEEEEE10hipError_tT0_T1_T2_jT3_P12ihipStream_tbPNSt15iterator_traitsISE_E10value_typeEPNSK_ISF_E10value_typeEPSG_NS1_7vsmem_tEENKUlT_SE_SF_SG_E_clIS8_S8_S9_S9_EESD_ST_SE_SF_SG_EUlST_E1_NS1_11comp_targetILNS1_3genE0ELNS1_11target_archE4294967295ELNS1_3gpuE0ELNS1_3repE0EEENS1_36merge_oddeven_config_static_selectorELNS0_4arch9wavefront6targetE0EEEvSF_
	.globl	_ZN7rocprim17ROCPRIM_400000_NS6detail17trampoline_kernelINS0_14default_configENS1_38merge_sort_block_merge_config_selectorIsNS0_10empty_typeEEEZZNS1_27merge_sort_block_merge_implIS3_PsPS5_jNS1_19radix_merge_compareILb0ELb1EsNS0_19identity_decomposerEEEEE10hipError_tT0_T1_T2_jT3_P12ihipStream_tbPNSt15iterator_traitsISE_E10value_typeEPNSK_ISF_E10value_typeEPSG_NS1_7vsmem_tEENKUlT_SE_SF_SG_E_clIS8_S8_S9_S9_EESD_ST_SE_SF_SG_EUlST_E1_NS1_11comp_targetILNS1_3genE0ELNS1_11target_archE4294967295ELNS1_3gpuE0ELNS1_3repE0EEENS1_36merge_oddeven_config_static_selectorELNS0_4arch9wavefront6targetE0EEEvSF_
	.p2align	8
	.type	_ZN7rocprim17ROCPRIM_400000_NS6detail17trampoline_kernelINS0_14default_configENS1_38merge_sort_block_merge_config_selectorIsNS0_10empty_typeEEEZZNS1_27merge_sort_block_merge_implIS3_PsPS5_jNS1_19radix_merge_compareILb0ELb1EsNS0_19identity_decomposerEEEEE10hipError_tT0_T1_T2_jT3_P12ihipStream_tbPNSt15iterator_traitsISE_E10value_typeEPNSK_ISF_E10value_typeEPSG_NS1_7vsmem_tEENKUlT_SE_SF_SG_E_clIS8_S8_S9_S9_EESD_ST_SE_SF_SG_EUlST_E1_NS1_11comp_targetILNS1_3genE0ELNS1_11target_archE4294967295ELNS1_3gpuE0ELNS1_3repE0EEENS1_36merge_oddeven_config_static_selectorELNS0_4arch9wavefront6targetE0EEEvSF_,@function
_ZN7rocprim17ROCPRIM_400000_NS6detail17trampoline_kernelINS0_14default_configENS1_38merge_sort_block_merge_config_selectorIsNS0_10empty_typeEEEZZNS1_27merge_sort_block_merge_implIS3_PsPS5_jNS1_19radix_merge_compareILb0ELb1EsNS0_19identity_decomposerEEEEE10hipError_tT0_T1_T2_jT3_P12ihipStream_tbPNSt15iterator_traitsISE_E10value_typeEPNSK_ISF_E10value_typeEPSG_NS1_7vsmem_tEENKUlT_SE_SF_SG_E_clIS8_S8_S9_S9_EESD_ST_SE_SF_SG_EUlST_E1_NS1_11comp_targetILNS1_3genE0ELNS1_11target_archE4294967295ELNS1_3gpuE0ELNS1_3repE0EEENS1_36merge_oddeven_config_static_selectorELNS0_4arch9wavefront6targetE0EEEvSF_: ; @_ZN7rocprim17ROCPRIM_400000_NS6detail17trampoline_kernelINS0_14default_configENS1_38merge_sort_block_merge_config_selectorIsNS0_10empty_typeEEEZZNS1_27merge_sort_block_merge_implIS3_PsPS5_jNS1_19radix_merge_compareILb0ELb1EsNS0_19identity_decomposerEEEEE10hipError_tT0_T1_T2_jT3_P12ihipStream_tbPNSt15iterator_traitsISE_E10value_typeEPNSK_ISF_E10value_typeEPSG_NS1_7vsmem_tEENKUlT_SE_SF_SG_E_clIS8_S8_S9_S9_EESD_ST_SE_SF_SG_EUlST_E1_NS1_11comp_targetILNS1_3genE0ELNS1_11target_archE4294967295ELNS1_3gpuE0ELNS1_3repE0EEENS1_36merge_oddeven_config_static_selectorELNS0_4arch9wavefront6targetE0EEEvSF_
; %bb.0:
	s_load_b32 s11, s[0:1], 0x20
	s_bfe_u32 s2, ttmp6, 0x4000c
	s_and_b32 s3, ttmp6, 15
	s_add_co_i32 s2, s2, 1
	s_getreg_b32 s4, hwreg(HW_REG_IB_STS2, 6, 4)
	s_mul_i32 s2, ttmp9, s2
	s_mov_b32 s9, 0
	s_add_co_i32 s3, s3, s2
	s_cmp_eq_u32 s4, 0
	s_cselect_b32 s2, ttmp9, s3
	s_wait_kmcnt 0x0
	s_lshr_b32 s3, s11, 8
	s_delay_alu instid0(SALU_CYCLE_1) | instskip(SKIP_4) | instid1(SALU_CYCLE_1)
	s_cmp_lg_u32 s2, s3
	s_cselect_b32 s15, -1, 0
	s_cmp_eq_u32 s2, s3
	s_cselect_b32 s12, -1, 0
	s_lshl_b32 s8, s2, 8
	s_sub_co_i32 s3, s11, s8
	s_delay_alu instid0(SALU_CYCLE_1) | instskip(SKIP_1) | instid1(SALU_CYCLE_1)
	v_cmp_gt_u32_e64 s3, s3, v0
	s_or_b32 s4, s15, s3
	s_and_saveexec_b32 s5, s4
	s_cbranch_execz .LBB687_20
; %bb.1:
	s_clause 0x1
	s_load_b128 s[4:7], s[0:1], 0x0
	s_load_b32 s13, s[0:1], 0x24
	s_lshl_b64 s[16:17], s[8:9], 1
	v_add_nc_u32_e32 v3, s8, v0
	s_wait_kmcnt 0x0
	s_add_nc_u64 s[16:17], s[4:5], s[16:17]
	s_lshr_b32 s10, s13, 8
	global_load_u16 v1, v0, s[16:17] scale_offset
	s_sub_co_i32 s14, 0, s10
	s_wait_xcnt 0x0
	s_sub_co_i32 s16, 0, s13
	s_and_b32 s2, s2, s14
	s_delay_alu instid0(SALU_CYCLE_1) | instskip(SKIP_3) | instid1(SALU_CYCLE_1)
	s_and_b32 s10, s2, s10
	s_lshl_b32 s14, s2, 8
	s_cmp_eq_u32 s10, 0
	s_cselect_b32 s2, -1, 0
	s_and_b32 s10, s2, exec_lo
	s_cselect_b32 s10, s13, s16
	s_delay_alu instid0(SALU_CYCLE_1) | instskip(NEXT) | instid1(SALU_CYCLE_1)
	s_add_co_i32 s10, s10, s14
	s_cmp_gt_u32 s11, s10
	s_cbranch_scc1 .LBB687_3
; %bb.2:
	v_cmp_gt_u32_e32 vcc_lo, s11, v3
	s_or_b32 s9, vcc_lo, s15
	s_delay_alu instid0(SALU_CYCLE_1)
	s_and_b32 s9, s9, exec_lo
	s_cbranch_execz .LBB687_4
	s_branch .LBB687_18
.LBB687_3:
.LBB687_4:
	s_load_b32 s0, s[0:1], 0x28
	s_wait_xcnt 0x0
	s_min_u32 s1, s10, s11
	s_and_b32 vcc_lo, exec_lo, s12
	s_add_co_i32 s8, s14, s1
	s_add_co_i32 s13, s1, s13
	v_subrev_nc_u32_e32 v0, s8, v3
	s_min_u32 s8, s14, s1
	s_delay_alu instid0(VALU_DEP_1) | instid1(SALU_CYCLE_1)
	v_add_nc_u32_e32 v0, s8, v0
	s_min_u32 s8, s13, s11
	s_wait_loadcnt 0x0
	s_wait_kmcnt 0x0
	v_and_b32_e32 v2, s0, v1
	s_cbranch_vccz .LBB687_12
; %bb.5:
                                        ; implicit-def: $vgpr3
	s_and_saveexec_b32 s11, s3
	s_cbranch_execz .LBB687_11
; %bb.6:
	v_mov_b32_e32 v3, s1
	s_cmp_ge_u32 s10, s8
	s_cbranch_scc1 .LBB687_10
; %bb.7:
	v_dual_mov_b32 v4, s8 :: v_dual_mov_b32 v3, s1
	s_mov_b32 s3, 0
.LBB687_8:                              ; =>This Inner Loop Header: Depth=1
	s_delay_alu instid0(VALU_DEP_1) | instskip(NEXT) | instid1(VALU_DEP_1)
	v_add_nc_u32_e32 v5, v3, v4
	v_and_b32_e32 v6, -2, v5
	global_load_u16 v6, v6, s[4:5]
	s_wait_loadcnt 0x0
	v_dual_lshrrev_b32 v5, 1, v5 :: v_dual_bitop2_b32 v6, s0, v6 bitop3:0x40
	s_delay_alu instid0(VALU_DEP_1) | instskip(SKIP_3) | instid1(VALU_DEP_1)
	v_cmp_gt_i16_e32 vcc_lo, v2, v6
	v_cndmask_b32_e64 v7, 0, 1, vcc_lo
	v_cmp_le_i16_e32 vcc_lo, v6, v2
	v_cndmask_b32_e64 v6, 0, 1, vcc_lo
	v_dual_cndmask_b32 v6, v6, v7, s2 :: v_dual_add_nc_u32 v7, 1, v5
	s_delay_alu instid0(VALU_DEP_1) | instskip(NEXT) | instid1(VALU_DEP_1)
	v_and_b32_e32 v6, 1, v6
	v_cmp_eq_u32_e32 vcc_lo, 1, v6
	s_delay_alu instid0(VALU_DEP_3) | instskip(NEXT) | instid1(VALU_DEP_1)
	v_dual_cndmask_b32 v4, v5, v4 :: v_dual_cndmask_b32 v3, v3, v7
	v_cmp_ge_u32_e32 vcc_lo, v3, v4
	s_or_b32 s3, vcc_lo, s3
	s_delay_alu instid0(SALU_CYCLE_1)
	s_and_not1_b32 exec_lo, exec_lo, s3
	s_cbranch_execnz .LBB687_8
; %bb.9:
	s_or_b32 exec_lo, exec_lo, s3
.LBB687_10:
	s_delay_alu instid0(VALU_DEP_1)
	v_add_nc_u32_e32 v3, v3, v0
	s_or_b32 s9, s9, exec_lo
.LBB687_11:
	s_or_b32 exec_lo, exec_lo, s11
	s_branch .LBB687_18
.LBB687_12:
                                        ; implicit-def: $vgpr3
	s_cbranch_execz .LBB687_18
; %bb.13:
	v_mov_b32_e32 v3, s1
	s_cmp_ge_u32 s10, s8
	s_cbranch_scc1 .LBB687_17
; %bb.14:
	v_dual_mov_b32 v4, s8 :: v_dual_mov_b32 v3, s1
	s_mov_b32 s1, 0
.LBB687_15:                             ; =>This Inner Loop Header: Depth=1
	s_delay_alu instid0(VALU_DEP_1) | instskip(NEXT) | instid1(VALU_DEP_1)
	v_add_nc_u32_e32 v5, v3, v4
	v_and_b32_e32 v6, -2, v5
	global_load_u16 v6, v6, s[4:5]
	s_wait_loadcnt 0x0
	v_dual_lshrrev_b32 v5, 1, v5 :: v_dual_bitop2_b32 v6, s0, v6 bitop3:0x40
	s_delay_alu instid0(VALU_DEP_1) | instskip(SKIP_3) | instid1(VALU_DEP_1)
	v_cmp_gt_i16_e32 vcc_lo, v2, v6
	v_cndmask_b32_e64 v7, 0, 1, vcc_lo
	v_cmp_le_i16_e32 vcc_lo, v6, v2
	v_cndmask_b32_e64 v6, 0, 1, vcc_lo
	v_dual_cndmask_b32 v6, v6, v7, s2 :: v_dual_add_nc_u32 v7, 1, v5
	s_delay_alu instid0(VALU_DEP_1) | instskip(NEXT) | instid1(VALU_DEP_1)
	v_and_b32_e32 v6, 1, v6
	v_cmp_eq_u32_e32 vcc_lo, 1, v6
	s_delay_alu instid0(VALU_DEP_3) | instskip(NEXT) | instid1(VALU_DEP_1)
	v_dual_cndmask_b32 v4, v5, v4 :: v_dual_cndmask_b32 v3, v3, v7
	v_cmp_ge_u32_e32 vcc_lo, v3, v4
	s_or_b32 s1, vcc_lo, s1
	s_delay_alu instid0(SALU_CYCLE_1)
	s_and_not1_b32 exec_lo, exec_lo, s1
	s_cbranch_execnz .LBB687_15
; %bb.16:
	s_or_b32 exec_lo, exec_lo, s1
.LBB687_17:
	s_delay_alu instid0(VALU_DEP_1)
	v_add_nc_u32_e32 v3, v3, v0
	s_mov_b32 s9, -1
.LBB687_18:
	s_delay_alu instid0(SALU_CYCLE_1)
	s_and_b32 exec_lo, exec_lo, s9
	s_cbranch_execz .LBB687_20
; %bb.19:
	s_wait_loadcnt 0x0
	global_store_b16 v3, v1, s[6:7] scale_offset
.LBB687_20:
	s_endpgm
	.section	.rodata,"a",@progbits
	.p2align	6, 0x0
	.amdhsa_kernel _ZN7rocprim17ROCPRIM_400000_NS6detail17trampoline_kernelINS0_14default_configENS1_38merge_sort_block_merge_config_selectorIsNS0_10empty_typeEEEZZNS1_27merge_sort_block_merge_implIS3_PsPS5_jNS1_19radix_merge_compareILb0ELb1EsNS0_19identity_decomposerEEEEE10hipError_tT0_T1_T2_jT3_P12ihipStream_tbPNSt15iterator_traitsISE_E10value_typeEPNSK_ISF_E10value_typeEPSG_NS1_7vsmem_tEENKUlT_SE_SF_SG_E_clIS8_S8_S9_S9_EESD_ST_SE_SF_SG_EUlST_E1_NS1_11comp_targetILNS1_3genE0ELNS1_11target_archE4294967295ELNS1_3gpuE0ELNS1_3repE0EEENS1_36merge_oddeven_config_static_selectorELNS0_4arch9wavefront6targetE0EEEvSF_
		.amdhsa_group_segment_fixed_size 0
		.amdhsa_private_segment_fixed_size 0
		.amdhsa_kernarg_size 48
		.amdhsa_user_sgpr_count 2
		.amdhsa_user_sgpr_dispatch_ptr 0
		.amdhsa_user_sgpr_queue_ptr 0
		.amdhsa_user_sgpr_kernarg_segment_ptr 1
		.amdhsa_user_sgpr_dispatch_id 0
		.amdhsa_user_sgpr_kernarg_preload_length 0
		.amdhsa_user_sgpr_kernarg_preload_offset 0
		.amdhsa_user_sgpr_private_segment_size 0
		.amdhsa_wavefront_size32 1
		.amdhsa_uses_dynamic_stack 0
		.amdhsa_enable_private_segment 0
		.amdhsa_system_sgpr_workgroup_id_x 1
		.amdhsa_system_sgpr_workgroup_id_y 0
		.amdhsa_system_sgpr_workgroup_id_z 0
		.amdhsa_system_sgpr_workgroup_info 0
		.amdhsa_system_vgpr_workitem_id 0
		.amdhsa_next_free_vgpr 8
		.amdhsa_next_free_sgpr 18
		.amdhsa_named_barrier_count 0
		.amdhsa_reserve_vcc 1
		.amdhsa_float_round_mode_32 0
		.amdhsa_float_round_mode_16_64 0
		.amdhsa_float_denorm_mode_32 3
		.amdhsa_float_denorm_mode_16_64 3
		.amdhsa_fp16_overflow 0
		.amdhsa_memory_ordered 1
		.amdhsa_forward_progress 1
		.amdhsa_inst_pref_size 6
		.amdhsa_round_robin_scheduling 0
		.amdhsa_exception_fp_ieee_invalid_op 0
		.amdhsa_exception_fp_denorm_src 0
		.amdhsa_exception_fp_ieee_div_zero 0
		.amdhsa_exception_fp_ieee_overflow 0
		.amdhsa_exception_fp_ieee_underflow 0
		.amdhsa_exception_fp_ieee_inexact 0
		.amdhsa_exception_int_div_zero 0
	.end_amdhsa_kernel
	.section	.text._ZN7rocprim17ROCPRIM_400000_NS6detail17trampoline_kernelINS0_14default_configENS1_38merge_sort_block_merge_config_selectorIsNS0_10empty_typeEEEZZNS1_27merge_sort_block_merge_implIS3_PsPS5_jNS1_19radix_merge_compareILb0ELb1EsNS0_19identity_decomposerEEEEE10hipError_tT0_T1_T2_jT3_P12ihipStream_tbPNSt15iterator_traitsISE_E10value_typeEPNSK_ISF_E10value_typeEPSG_NS1_7vsmem_tEENKUlT_SE_SF_SG_E_clIS8_S8_S9_S9_EESD_ST_SE_SF_SG_EUlST_E1_NS1_11comp_targetILNS1_3genE0ELNS1_11target_archE4294967295ELNS1_3gpuE0ELNS1_3repE0EEENS1_36merge_oddeven_config_static_selectorELNS0_4arch9wavefront6targetE0EEEvSF_,"axG",@progbits,_ZN7rocprim17ROCPRIM_400000_NS6detail17trampoline_kernelINS0_14default_configENS1_38merge_sort_block_merge_config_selectorIsNS0_10empty_typeEEEZZNS1_27merge_sort_block_merge_implIS3_PsPS5_jNS1_19radix_merge_compareILb0ELb1EsNS0_19identity_decomposerEEEEE10hipError_tT0_T1_T2_jT3_P12ihipStream_tbPNSt15iterator_traitsISE_E10value_typeEPNSK_ISF_E10value_typeEPSG_NS1_7vsmem_tEENKUlT_SE_SF_SG_E_clIS8_S8_S9_S9_EESD_ST_SE_SF_SG_EUlST_E1_NS1_11comp_targetILNS1_3genE0ELNS1_11target_archE4294967295ELNS1_3gpuE0ELNS1_3repE0EEENS1_36merge_oddeven_config_static_selectorELNS0_4arch9wavefront6targetE0EEEvSF_,comdat
.Lfunc_end687:
	.size	_ZN7rocprim17ROCPRIM_400000_NS6detail17trampoline_kernelINS0_14default_configENS1_38merge_sort_block_merge_config_selectorIsNS0_10empty_typeEEEZZNS1_27merge_sort_block_merge_implIS3_PsPS5_jNS1_19radix_merge_compareILb0ELb1EsNS0_19identity_decomposerEEEEE10hipError_tT0_T1_T2_jT3_P12ihipStream_tbPNSt15iterator_traitsISE_E10value_typeEPNSK_ISF_E10value_typeEPSG_NS1_7vsmem_tEENKUlT_SE_SF_SG_E_clIS8_S8_S9_S9_EESD_ST_SE_SF_SG_EUlST_E1_NS1_11comp_targetILNS1_3genE0ELNS1_11target_archE4294967295ELNS1_3gpuE0ELNS1_3repE0EEENS1_36merge_oddeven_config_static_selectorELNS0_4arch9wavefront6targetE0EEEvSF_, .Lfunc_end687-_ZN7rocprim17ROCPRIM_400000_NS6detail17trampoline_kernelINS0_14default_configENS1_38merge_sort_block_merge_config_selectorIsNS0_10empty_typeEEEZZNS1_27merge_sort_block_merge_implIS3_PsPS5_jNS1_19radix_merge_compareILb0ELb1EsNS0_19identity_decomposerEEEEE10hipError_tT0_T1_T2_jT3_P12ihipStream_tbPNSt15iterator_traitsISE_E10value_typeEPNSK_ISF_E10value_typeEPSG_NS1_7vsmem_tEENKUlT_SE_SF_SG_E_clIS8_S8_S9_S9_EESD_ST_SE_SF_SG_EUlST_E1_NS1_11comp_targetILNS1_3genE0ELNS1_11target_archE4294967295ELNS1_3gpuE0ELNS1_3repE0EEENS1_36merge_oddeven_config_static_selectorELNS0_4arch9wavefront6targetE0EEEvSF_
                                        ; -- End function
	.set _ZN7rocprim17ROCPRIM_400000_NS6detail17trampoline_kernelINS0_14default_configENS1_38merge_sort_block_merge_config_selectorIsNS0_10empty_typeEEEZZNS1_27merge_sort_block_merge_implIS3_PsPS5_jNS1_19radix_merge_compareILb0ELb1EsNS0_19identity_decomposerEEEEE10hipError_tT0_T1_T2_jT3_P12ihipStream_tbPNSt15iterator_traitsISE_E10value_typeEPNSK_ISF_E10value_typeEPSG_NS1_7vsmem_tEENKUlT_SE_SF_SG_E_clIS8_S8_S9_S9_EESD_ST_SE_SF_SG_EUlST_E1_NS1_11comp_targetILNS1_3genE0ELNS1_11target_archE4294967295ELNS1_3gpuE0ELNS1_3repE0EEENS1_36merge_oddeven_config_static_selectorELNS0_4arch9wavefront6targetE0EEEvSF_.num_vgpr, 8
	.set _ZN7rocprim17ROCPRIM_400000_NS6detail17trampoline_kernelINS0_14default_configENS1_38merge_sort_block_merge_config_selectorIsNS0_10empty_typeEEEZZNS1_27merge_sort_block_merge_implIS3_PsPS5_jNS1_19radix_merge_compareILb0ELb1EsNS0_19identity_decomposerEEEEE10hipError_tT0_T1_T2_jT3_P12ihipStream_tbPNSt15iterator_traitsISE_E10value_typeEPNSK_ISF_E10value_typeEPSG_NS1_7vsmem_tEENKUlT_SE_SF_SG_E_clIS8_S8_S9_S9_EESD_ST_SE_SF_SG_EUlST_E1_NS1_11comp_targetILNS1_3genE0ELNS1_11target_archE4294967295ELNS1_3gpuE0ELNS1_3repE0EEENS1_36merge_oddeven_config_static_selectorELNS0_4arch9wavefront6targetE0EEEvSF_.num_agpr, 0
	.set _ZN7rocprim17ROCPRIM_400000_NS6detail17trampoline_kernelINS0_14default_configENS1_38merge_sort_block_merge_config_selectorIsNS0_10empty_typeEEEZZNS1_27merge_sort_block_merge_implIS3_PsPS5_jNS1_19radix_merge_compareILb0ELb1EsNS0_19identity_decomposerEEEEE10hipError_tT0_T1_T2_jT3_P12ihipStream_tbPNSt15iterator_traitsISE_E10value_typeEPNSK_ISF_E10value_typeEPSG_NS1_7vsmem_tEENKUlT_SE_SF_SG_E_clIS8_S8_S9_S9_EESD_ST_SE_SF_SG_EUlST_E1_NS1_11comp_targetILNS1_3genE0ELNS1_11target_archE4294967295ELNS1_3gpuE0ELNS1_3repE0EEENS1_36merge_oddeven_config_static_selectorELNS0_4arch9wavefront6targetE0EEEvSF_.numbered_sgpr, 18
	.set _ZN7rocprim17ROCPRIM_400000_NS6detail17trampoline_kernelINS0_14default_configENS1_38merge_sort_block_merge_config_selectorIsNS0_10empty_typeEEEZZNS1_27merge_sort_block_merge_implIS3_PsPS5_jNS1_19radix_merge_compareILb0ELb1EsNS0_19identity_decomposerEEEEE10hipError_tT0_T1_T2_jT3_P12ihipStream_tbPNSt15iterator_traitsISE_E10value_typeEPNSK_ISF_E10value_typeEPSG_NS1_7vsmem_tEENKUlT_SE_SF_SG_E_clIS8_S8_S9_S9_EESD_ST_SE_SF_SG_EUlST_E1_NS1_11comp_targetILNS1_3genE0ELNS1_11target_archE4294967295ELNS1_3gpuE0ELNS1_3repE0EEENS1_36merge_oddeven_config_static_selectorELNS0_4arch9wavefront6targetE0EEEvSF_.num_named_barrier, 0
	.set _ZN7rocprim17ROCPRIM_400000_NS6detail17trampoline_kernelINS0_14default_configENS1_38merge_sort_block_merge_config_selectorIsNS0_10empty_typeEEEZZNS1_27merge_sort_block_merge_implIS3_PsPS5_jNS1_19radix_merge_compareILb0ELb1EsNS0_19identity_decomposerEEEEE10hipError_tT0_T1_T2_jT3_P12ihipStream_tbPNSt15iterator_traitsISE_E10value_typeEPNSK_ISF_E10value_typeEPSG_NS1_7vsmem_tEENKUlT_SE_SF_SG_E_clIS8_S8_S9_S9_EESD_ST_SE_SF_SG_EUlST_E1_NS1_11comp_targetILNS1_3genE0ELNS1_11target_archE4294967295ELNS1_3gpuE0ELNS1_3repE0EEENS1_36merge_oddeven_config_static_selectorELNS0_4arch9wavefront6targetE0EEEvSF_.private_seg_size, 0
	.set _ZN7rocprim17ROCPRIM_400000_NS6detail17trampoline_kernelINS0_14default_configENS1_38merge_sort_block_merge_config_selectorIsNS0_10empty_typeEEEZZNS1_27merge_sort_block_merge_implIS3_PsPS5_jNS1_19radix_merge_compareILb0ELb1EsNS0_19identity_decomposerEEEEE10hipError_tT0_T1_T2_jT3_P12ihipStream_tbPNSt15iterator_traitsISE_E10value_typeEPNSK_ISF_E10value_typeEPSG_NS1_7vsmem_tEENKUlT_SE_SF_SG_E_clIS8_S8_S9_S9_EESD_ST_SE_SF_SG_EUlST_E1_NS1_11comp_targetILNS1_3genE0ELNS1_11target_archE4294967295ELNS1_3gpuE0ELNS1_3repE0EEENS1_36merge_oddeven_config_static_selectorELNS0_4arch9wavefront6targetE0EEEvSF_.uses_vcc, 1
	.set _ZN7rocprim17ROCPRIM_400000_NS6detail17trampoline_kernelINS0_14default_configENS1_38merge_sort_block_merge_config_selectorIsNS0_10empty_typeEEEZZNS1_27merge_sort_block_merge_implIS3_PsPS5_jNS1_19radix_merge_compareILb0ELb1EsNS0_19identity_decomposerEEEEE10hipError_tT0_T1_T2_jT3_P12ihipStream_tbPNSt15iterator_traitsISE_E10value_typeEPNSK_ISF_E10value_typeEPSG_NS1_7vsmem_tEENKUlT_SE_SF_SG_E_clIS8_S8_S9_S9_EESD_ST_SE_SF_SG_EUlST_E1_NS1_11comp_targetILNS1_3genE0ELNS1_11target_archE4294967295ELNS1_3gpuE0ELNS1_3repE0EEENS1_36merge_oddeven_config_static_selectorELNS0_4arch9wavefront6targetE0EEEvSF_.uses_flat_scratch, 0
	.set _ZN7rocprim17ROCPRIM_400000_NS6detail17trampoline_kernelINS0_14default_configENS1_38merge_sort_block_merge_config_selectorIsNS0_10empty_typeEEEZZNS1_27merge_sort_block_merge_implIS3_PsPS5_jNS1_19radix_merge_compareILb0ELb1EsNS0_19identity_decomposerEEEEE10hipError_tT0_T1_T2_jT3_P12ihipStream_tbPNSt15iterator_traitsISE_E10value_typeEPNSK_ISF_E10value_typeEPSG_NS1_7vsmem_tEENKUlT_SE_SF_SG_E_clIS8_S8_S9_S9_EESD_ST_SE_SF_SG_EUlST_E1_NS1_11comp_targetILNS1_3genE0ELNS1_11target_archE4294967295ELNS1_3gpuE0ELNS1_3repE0EEENS1_36merge_oddeven_config_static_selectorELNS0_4arch9wavefront6targetE0EEEvSF_.has_dyn_sized_stack, 0
	.set _ZN7rocprim17ROCPRIM_400000_NS6detail17trampoline_kernelINS0_14default_configENS1_38merge_sort_block_merge_config_selectorIsNS0_10empty_typeEEEZZNS1_27merge_sort_block_merge_implIS3_PsPS5_jNS1_19radix_merge_compareILb0ELb1EsNS0_19identity_decomposerEEEEE10hipError_tT0_T1_T2_jT3_P12ihipStream_tbPNSt15iterator_traitsISE_E10value_typeEPNSK_ISF_E10value_typeEPSG_NS1_7vsmem_tEENKUlT_SE_SF_SG_E_clIS8_S8_S9_S9_EESD_ST_SE_SF_SG_EUlST_E1_NS1_11comp_targetILNS1_3genE0ELNS1_11target_archE4294967295ELNS1_3gpuE0ELNS1_3repE0EEENS1_36merge_oddeven_config_static_selectorELNS0_4arch9wavefront6targetE0EEEvSF_.has_recursion, 0
	.set _ZN7rocprim17ROCPRIM_400000_NS6detail17trampoline_kernelINS0_14default_configENS1_38merge_sort_block_merge_config_selectorIsNS0_10empty_typeEEEZZNS1_27merge_sort_block_merge_implIS3_PsPS5_jNS1_19radix_merge_compareILb0ELb1EsNS0_19identity_decomposerEEEEE10hipError_tT0_T1_T2_jT3_P12ihipStream_tbPNSt15iterator_traitsISE_E10value_typeEPNSK_ISF_E10value_typeEPSG_NS1_7vsmem_tEENKUlT_SE_SF_SG_E_clIS8_S8_S9_S9_EESD_ST_SE_SF_SG_EUlST_E1_NS1_11comp_targetILNS1_3genE0ELNS1_11target_archE4294967295ELNS1_3gpuE0ELNS1_3repE0EEENS1_36merge_oddeven_config_static_selectorELNS0_4arch9wavefront6targetE0EEEvSF_.has_indirect_call, 0
	.section	.AMDGPU.csdata,"",@progbits
; Kernel info:
; codeLenInByte = 688
; TotalNumSgprs: 20
; NumVgprs: 8
; ScratchSize: 0
; MemoryBound: 0
; FloatMode: 240
; IeeeMode: 1
; LDSByteSize: 0 bytes/workgroup (compile time only)
; SGPRBlocks: 0
; VGPRBlocks: 0
; NumSGPRsForWavesPerEU: 20
; NumVGPRsForWavesPerEU: 8
; NamedBarCnt: 0
; Occupancy: 16
; WaveLimiterHint : 0
; COMPUTE_PGM_RSRC2:SCRATCH_EN: 0
; COMPUTE_PGM_RSRC2:USER_SGPR: 2
; COMPUTE_PGM_RSRC2:TRAP_HANDLER: 0
; COMPUTE_PGM_RSRC2:TGID_X_EN: 1
; COMPUTE_PGM_RSRC2:TGID_Y_EN: 0
; COMPUTE_PGM_RSRC2:TGID_Z_EN: 0
; COMPUTE_PGM_RSRC2:TIDIG_COMP_CNT: 0
	.section	.text._ZN7rocprim17ROCPRIM_400000_NS6detail17trampoline_kernelINS0_14default_configENS1_38merge_sort_block_merge_config_selectorIsNS0_10empty_typeEEEZZNS1_27merge_sort_block_merge_implIS3_PsPS5_jNS1_19radix_merge_compareILb0ELb1EsNS0_19identity_decomposerEEEEE10hipError_tT0_T1_T2_jT3_P12ihipStream_tbPNSt15iterator_traitsISE_E10value_typeEPNSK_ISF_E10value_typeEPSG_NS1_7vsmem_tEENKUlT_SE_SF_SG_E_clIS8_S8_S9_S9_EESD_ST_SE_SF_SG_EUlST_E1_NS1_11comp_targetILNS1_3genE10ELNS1_11target_archE1201ELNS1_3gpuE5ELNS1_3repE0EEENS1_36merge_oddeven_config_static_selectorELNS0_4arch9wavefront6targetE0EEEvSF_,"axG",@progbits,_ZN7rocprim17ROCPRIM_400000_NS6detail17trampoline_kernelINS0_14default_configENS1_38merge_sort_block_merge_config_selectorIsNS0_10empty_typeEEEZZNS1_27merge_sort_block_merge_implIS3_PsPS5_jNS1_19radix_merge_compareILb0ELb1EsNS0_19identity_decomposerEEEEE10hipError_tT0_T1_T2_jT3_P12ihipStream_tbPNSt15iterator_traitsISE_E10value_typeEPNSK_ISF_E10value_typeEPSG_NS1_7vsmem_tEENKUlT_SE_SF_SG_E_clIS8_S8_S9_S9_EESD_ST_SE_SF_SG_EUlST_E1_NS1_11comp_targetILNS1_3genE10ELNS1_11target_archE1201ELNS1_3gpuE5ELNS1_3repE0EEENS1_36merge_oddeven_config_static_selectorELNS0_4arch9wavefront6targetE0EEEvSF_,comdat
	.protected	_ZN7rocprim17ROCPRIM_400000_NS6detail17trampoline_kernelINS0_14default_configENS1_38merge_sort_block_merge_config_selectorIsNS0_10empty_typeEEEZZNS1_27merge_sort_block_merge_implIS3_PsPS5_jNS1_19radix_merge_compareILb0ELb1EsNS0_19identity_decomposerEEEEE10hipError_tT0_T1_T2_jT3_P12ihipStream_tbPNSt15iterator_traitsISE_E10value_typeEPNSK_ISF_E10value_typeEPSG_NS1_7vsmem_tEENKUlT_SE_SF_SG_E_clIS8_S8_S9_S9_EESD_ST_SE_SF_SG_EUlST_E1_NS1_11comp_targetILNS1_3genE10ELNS1_11target_archE1201ELNS1_3gpuE5ELNS1_3repE0EEENS1_36merge_oddeven_config_static_selectorELNS0_4arch9wavefront6targetE0EEEvSF_ ; -- Begin function _ZN7rocprim17ROCPRIM_400000_NS6detail17trampoline_kernelINS0_14default_configENS1_38merge_sort_block_merge_config_selectorIsNS0_10empty_typeEEEZZNS1_27merge_sort_block_merge_implIS3_PsPS5_jNS1_19radix_merge_compareILb0ELb1EsNS0_19identity_decomposerEEEEE10hipError_tT0_T1_T2_jT3_P12ihipStream_tbPNSt15iterator_traitsISE_E10value_typeEPNSK_ISF_E10value_typeEPSG_NS1_7vsmem_tEENKUlT_SE_SF_SG_E_clIS8_S8_S9_S9_EESD_ST_SE_SF_SG_EUlST_E1_NS1_11comp_targetILNS1_3genE10ELNS1_11target_archE1201ELNS1_3gpuE5ELNS1_3repE0EEENS1_36merge_oddeven_config_static_selectorELNS0_4arch9wavefront6targetE0EEEvSF_
	.globl	_ZN7rocprim17ROCPRIM_400000_NS6detail17trampoline_kernelINS0_14default_configENS1_38merge_sort_block_merge_config_selectorIsNS0_10empty_typeEEEZZNS1_27merge_sort_block_merge_implIS3_PsPS5_jNS1_19radix_merge_compareILb0ELb1EsNS0_19identity_decomposerEEEEE10hipError_tT0_T1_T2_jT3_P12ihipStream_tbPNSt15iterator_traitsISE_E10value_typeEPNSK_ISF_E10value_typeEPSG_NS1_7vsmem_tEENKUlT_SE_SF_SG_E_clIS8_S8_S9_S9_EESD_ST_SE_SF_SG_EUlST_E1_NS1_11comp_targetILNS1_3genE10ELNS1_11target_archE1201ELNS1_3gpuE5ELNS1_3repE0EEENS1_36merge_oddeven_config_static_selectorELNS0_4arch9wavefront6targetE0EEEvSF_
	.p2align	8
	.type	_ZN7rocprim17ROCPRIM_400000_NS6detail17trampoline_kernelINS0_14default_configENS1_38merge_sort_block_merge_config_selectorIsNS0_10empty_typeEEEZZNS1_27merge_sort_block_merge_implIS3_PsPS5_jNS1_19radix_merge_compareILb0ELb1EsNS0_19identity_decomposerEEEEE10hipError_tT0_T1_T2_jT3_P12ihipStream_tbPNSt15iterator_traitsISE_E10value_typeEPNSK_ISF_E10value_typeEPSG_NS1_7vsmem_tEENKUlT_SE_SF_SG_E_clIS8_S8_S9_S9_EESD_ST_SE_SF_SG_EUlST_E1_NS1_11comp_targetILNS1_3genE10ELNS1_11target_archE1201ELNS1_3gpuE5ELNS1_3repE0EEENS1_36merge_oddeven_config_static_selectorELNS0_4arch9wavefront6targetE0EEEvSF_,@function
_ZN7rocprim17ROCPRIM_400000_NS6detail17trampoline_kernelINS0_14default_configENS1_38merge_sort_block_merge_config_selectorIsNS0_10empty_typeEEEZZNS1_27merge_sort_block_merge_implIS3_PsPS5_jNS1_19radix_merge_compareILb0ELb1EsNS0_19identity_decomposerEEEEE10hipError_tT0_T1_T2_jT3_P12ihipStream_tbPNSt15iterator_traitsISE_E10value_typeEPNSK_ISF_E10value_typeEPSG_NS1_7vsmem_tEENKUlT_SE_SF_SG_E_clIS8_S8_S9_S9_EESD_ST_SE_SF_SG_EUlST_E1_NS1_11comp_targetILNS1_3genE10ELNS1_11target_archE1201ELNS1_3gpuE5ELNS1_3repE0EEENS1_36merge_oddeven_config_static_selectorELNS0_4arch9wavefront6targetE0EEEvSF_: ; @_ZN7rocprim17ROCPRIM_400000_NS6detail17trampoline_kernelINS0_14default_configENS1_38merge_sort_block_merge_config_selectorIsNS0_10empty_typeEEEZZNS1_27merge_sort_block_merge_implIS3_PsPS5_jNS1_19radix_merge_compareILb0ELb1EsNS0_19identity_decomposerEEEEE10hipError_tT0_T1_T2_jT3_P12ihipStream_tbPNSt15iterator_traitsISE_E10value_typeEPNSK_ISF_E10value_typeEPSG_NS1_7vsmem_tEENKUlT_SE_SF_SG_E_clIS8_S8_S9_S9_EESD_ST_SE_SF_SG_EUlST_E1_NS1_11comp_targetILNS1_3genE10ELNS1_11target_archE1201ELNS1_3gpuE5ELNS1_3repE0EEENS1_36merge_oddeven_config_static_selectorELNS0_4arch9wavefront6targetE0EEEvSF_
; %bb.0:
	.section	.rodata,"a",@progbits
	.p2align	6, 0x0
	.amdhsa_kernel _ZN7rocprim17ROCPRIM_400000_NS6detail17trampoline_kernelINS0_14default_configENS1_38merge_sort_block_merge_config_selectorIsNS0_10empty_typeEEEZZNS1_27merge_sort_block_merge_implIS3_PsPS5_jNS1_19radix_merge_compareILb0ELb1EsNS0_19identity_decomposerEEEEE10hipError_tT0_T1_T2_jT3_P12ihipStream_tbPNSt15iterator_traitsISE_E10value_typeEPNSK_ISF_E10value_typeEPSG_NS1_7vsmem_tEENKUlT_SE_SF_SG_E_clIS8_S8_S9_S9_EESD_ST_SE_SF_SG_EUlST_E1_NS1_11comp_targetILNS1_3genE10ELNS1_11target_archE1201ELNS1_3gpuE5ELNS1_3repE0EEENS1_36merge_oddeven_config_static_selectorELNS0_4arch9wavefront6targetE0EEEvSF_
		.amdhsa_group_segment_fixed_size 0
		.amdhsa_private_segment_fixed_size 0
		.amdhsa_kernarg_size 48
		.amdhsa_user_sgpr_count 2
		.amdhsa_user_sgpr_dispatch_ptr 0
		.amdhsa_user_sgpr_queue_ptr 0
		.amdhsa_user_sgpr_kernarg_segment_ptr 1
		.amdhsa_user_sgpr_dispatch_id 0
		.amdhsa_user_sgpr_kernarg_preload_length 0
		.amdhsa_user_sgpr_kernarg_preload_offset 0
		.amdhsa_user_sgpr_private_segment_size 0
		.amdhsa_wavefront_size32 1
		.amdhsa_uses_dynamic_stack 0
		.amdhsa_enable_private_segment 0
		.amdhsa_system_sgpr_workgroup_id_x 1
		.amdhsa_system_sgpr_workgroup_id_y 0
		.amdhsa_system_sgpr_workgroup_id_z 0
		.amdhsa_system_sgpr_workgroup_info 0
		.amdhsa_system_vgpr_workitem_id 0
		.amdhsa_next_free_vgpr 1
		.amdhsa_next_free_sgpr 1
		.amdhsa_named_barrier_count 0
		.amdhsa_reserve_vcc 0
		.amdhsa_float_round_mode_32 0
		.amdhsa_float_round_mode_16_64 0
		.amdhsa_float_denorm_mode_32 3
		.amdhsa_float_denorm_mode_16_64 3
		.amdhsa_fp16_overflow 0
		.amdhsa_memory_ordered 1
		.amdhsa_forward_progress 1
		.amdhsa_inst_pref_size 0
		.amdhsa_round_robin_scheduling 0
		.amdhsa_exception_fp_ieee_invalid_op 0
		.amdhsa_exception_fp_denorm_src 0
		.amdhsa_exception_fp_ieee_div_zero 0
		.amdhsa_exception_fp_ieee_overflow 0
		.amdhsa_exception_fp_ieee_underflow 0
		.amdhsa_exception_fp_ieee_inexact 0
		.amdhsa_exception_int_div_zero 0
	.end_amdhsa_kernel
	.section	.text._ZN7rocprim17ROCPRIM_400000_NS6detail17trampoline_kernelINS0_14default_configENS1_38merge_sort_block_merge_config_selectorIsNS0_10empty_typeEEEZZNS1_27merge_sort_block_merge_implIS3_PsPS5_jNS1_19radix_merge_compareILb0ELb1EsNS0_19identity_decomposerEEEEE10hipError_tT0_T1_T2_jT3_P12ihipStream_tbPNSt15iterator_traitsISE_E10value_typeEPNSK_ISF_E10value_typeEPSG_NS1_7vsmem_tEENKUlT_SE_SF_SG_E_clIS8_S8_S9_S9_EESD_ST_SE_SF_SG_EUlST_E1_NS1_11comp_targetILNS1_3genE10ELNS1_11target_archE1201ELNS1_3gpuE5ELNS1_3repE0EEENS1_36merge_oddeven_config_static_selectorELNS0_4arch9wavefront6targetE0EEEvSF_,"axG",@progbits,_ZN7rocprim17ROCPRIM_400000_NS6detail17trampoline_kernelINS0_14default_configENS1_38merge_sort_block_merge_config_selectorIsNS0_10empty_typeEEEZZNS1_27merge_sort_block_merge_implIS3_PsPS5_jNS1_19radix_merge_compareILb0ELb1EsNS0_19identity_decomposerEEEEE10hipError_tT0_T1_T2_jT3_P12ihipStream_tbPNSt15iterator_traitsISE_E10value_typeEPNSK_ISF_E10value_typeEPSG_NS1_7vsmem_tEENKUlT_SE_SF_SG_E_clIS8_S8_S9_S9_EESD_ST_SE_SF_SG_EUlST_E1_NS1_11comp_targetILNS1_3genE10ELNS1_11target_archE1201ELNS1_3gpuE5ELNS1_3repE0EEENS1_36merge_oddeven_config_static_selectorELNS0_4arch9wavefront6targetE0EEEvSF_,comdat
.Lfunc_end688:
	.size	_ZN7rocprim17ROCPRIM_400000_NS6detail17trampoline_kernelINS0_14default_configENS1_38merge_sort_block_merge_config_selectorIsNS0_10empty_typeEEEZZNS1_27merge_sort_block_merge_implIS3_PsPS5_jNS1_19radix_merge_compareILb0ELb1EsNS0_19identity_decomposerEEEEE10hipError_tT0_T1_T2_jT3_P12ihipStream_tbPNSt15iterator_traitsISE_E10value_typeEPNSK_ISF_E10value_typeEPSG_NS1_7vsmem_tEENKUlT_SE_SF_SG_E_clIS8_S8_S9_S9_EESD_ST_SE_SF_SG_EUlST_E1_NS1_11comp_targetILNS1_3genE10ELNS1_11target_archE1201ELNS1_3gpuE5ELNS1_3repE0EEENS1_36merge_oddeven_config_static_selectorELNS0_4arch9wavefront6targetE0EEEvSF_, .Lfunc_end688-_ZN7rocprim17ROCPRIM_400000_NS6detail17trampoline_kernelINS0_14default_configENS1_38merge_sort_block_merge_config_selectorIsNS0_10empty_typeEEEZZNS1_27merge_sort_block_merge_implIS3_PsPS5_jNS1_19radix_merge_compareILb0ELb1EsNS0_19identity_decomposerEEEEE10hipError_tT0_T1_T2_jT3_P12ihipStream_tbPNSt15iterator_traitsISE_E10value_typeEPNSK_ISF_E10value_typeEPSG_NS1_7vsmem_tEENKUlT_SE_SF_SG_E_clIS8_S8_S9_S9_EESD_ST_SE_SF_SG_EUlST_E1_NS1_11comp_targetILNS1_3genE10ELNS1_11target_archE1201ELNS1_3gpuE5ELNS1_3repE0EEENS1_36merge_oddeven_config_static_selectorELNS0_4arch9wavefront6targetE0EEEvSF_
                                        ; -- End function
	.set _ZN7rocprim17ROCPRIM_400000_NS6detail17trampoline_kernelINS0_14default_configENS1_38merge_sort_block_merge_config_selectorIsNS0_10empty_typeEEEZZNS1_27merge_sort_block_merge_implIS3_PsPS5_jNS1_19radix_merge_compareILb0ELb1EsNS0_19identity_decomposerEEEEE10hipError_tT0_T1_T2_jT3_P12ihipStream_tbPNSt15iterator_traitsISE_E10value_typeEPNSK_ISF_E10value_typeEPSG_NS1_7vsmem_tEENKUlT_SE_SF_SG_E_clIS8_S8_S9_S9_EESD_ST_SE_SF_SG_EUlST_E1_NS1_11comp_targetILNS1_3genE10ELNS1_11target_archE1201ELNS1_3gpuE5ELNS1_3repE0EEENS1_36merge_oddeven_config_static_selectorELNS0_4arch9wavefront6targetE0EEEvSF_.num_vgpr, 0
	.set _ZN7rocprim17ROCPRIM_400000_NS6detail17trampoline_kernelINS0_14default_configENS1_38merge_sort_block_merge_config_selectorIsNS0_10empty_typeEEEZZNS1_27merge_sort_block_merge_implIS3_PsPS5_jNS1_19radix_merge_compareILb0ELb1EsNS0_19identity_decomposerEEEEE10hipError_tT0_T1_T2_jT3_P12ihipStream_tbPNSt15iterator_traitsISE_E10value_typeEPNSK_ISF_E10value_typeEPSG_NS1_7vsmem_tEENKUlT_SE_SF_SG_E_clIS8_S8_S9_S9_EESD_ST_SE_SF_SG_EUlST_E1_NS1_11comp_targetILNS1_3genE10ELNS1_11target_archE1201ELNS1_3gpuE5ELNS1_3repE0EEENS1_36merge_oddeven_config_static_selectorELNS0_4arch9wavefront6targetE0EEEvSF_.num_agpr, 0
	.set _ZN7rocprim17ROCPRIM_400000_NS6detail17trampoline_kernelINS0_14default_configENS1_38merge_sort_block_merge_config_selectorIsNS0_10empty_typeEEEZZNS1_27merge_sort_block_merge_implIS3_PsPS5_jNS1_19radix_merge_compareILb0ELb1EsNS0_19identity_decomposerEEEEE10hipError_tT0_T1_T2_jT3_P12ihipStream_tbPNSt15iterator_traitsISE_E10value_typeEPNSK_ISF_E10value_typeEPSG_NS1_7vsmem_tEENKUlT_SE_SF_SG_E_clIS8_S8_S9_S9_EESD_ST_SE_SF_SG_EUlST_E1_NS1_11comp_targetILNS1_3genE10ELNS1_11target_archE1201ELNS1_3gpuE5ELNS1_3repE0EEENS1_36merge_oddeven_config_static_selectorELNS0_4arch9wavefront6targetE0EEEvSF_.numbered_sgpr, 0
	.set _ZN7rocprim17ROCPRIM_400000_NS6detail17trampoline_kernelINS0_14default_configENS1_38merge_sort_block_merge_config_selectorIsNS0_10empty_typeEEEZZNS1_27merge_sort_block_merge_implIS3_PsPS5_jNS1_19radix_merge_compareILb0ELb1EsNS0_19identity_decomposerEEEEE10hipError_tT0_T1_T2_jT3_P12ihipStream_tbPNSt15iterator_traitsISE_E10value_typeEPNSK_ISF_E10value_typeEPSG_NS1_7vsmem_tEENKUlT_SE_SF_SG_E_clIS8_S8_S9_S9_EESD_ST_SE_SF_SG_EUlST_E1_NS1_11comp_targetILNS1_3genE10ELNS1_11target_archE1201ELNS1_3gpuE5ELNS1_3repE0EEENS1_36merge_oddeven_config_static_selectorELNS0_4arch9wavefront6targetE0EEEvSF_.num_named_barrier, 0
	.set _ZN7rocprim17ROCPRIM_400000_NS6detail17trampoline_kernelINS0_14default_configENS1_38merge_sort_block_merge_config_selectorIsNS0_10empty_typeEEEZZNS1_27merge_sort_block_merge_implIS3_PsPS5_jNS1_19radix_merge_compareILb0ELb1EsNS0_19identity_decomposerEEEEE10hipError_tT0_T1_T2_jT3_P12ihipStream_tbPNSt15iterator_traitsISE_E10value_typeEPNSK_ISF_E10value_typeEPSG_NS1_7vsmem_tEENKUlT_SE_SF_SG_E_clIS8_S8_S9_S9_EESD_ST_SE_SF_SG_EUlST_E1_NS1_11comp_targetILNS1_3genE10ELNS1_11target_archE1201ELNS1_3gpuE5ELNS1_3repE0EEENS1_36merge_oddeven_config_static_selectorELNS0_4arch9wavefront6targetE0EEEvSF_.private_seg_size, 0
	.set _ZN7rocprim17ROCPRIM_400000_NS6detail17trampoline_kernelINS0_14default_configENS1_38merge_sort_block_merge_config_selectorIsNS0_10empty_typeEEEZZNS1_27merge_sort_block_merge_implIS3_PsPS5_jNS1_19radix_merge_compareILb0ELb1EsNS0_19identity_decomposerEEEEE10hipError_tT0_T1_T2_jT3_P12ihipStream_tbPNSt15iterator_traitsISE_E10value_typeEPNSK_ISF_E10value_typeEPSG_NS1_7vsmem_tEENKUlT_SE_SF_SG_E_clIS8_S8_S9_S9_EESD_ST_SE_SF_SG_EUlST_E1_NS1_11comp_targetILNS1_3genE10ELNS1_11target_archE1201ELNS1_3gpuE5ELNS1_3repE0EEENS1_36merge_oddeven_config_static_selectorELNS0_4arch9wavefront6targetE0EEEvSF_.uses_vcc, 0
	.set _ZN7rocprim17ROCPRIM_400000_NS6detail17trampoline_kernelINS0_14default_configENS1_38merge_sort_block_merge_config_selectorIsNS0_10empty_typeEEEZZNS1_27merge_sort_block_merge_implIS3_PsPS5_jNS1_19radix_merge_compareILb0ELb1EsNS0_19identity_decomposerEEEEE10hipError_tT0_T1_T2_jT3_P12ihipStream_tbPNSt15iterator_traitsISE_E10value_typeEPNSK_ISF_E10value_typeEPSG_NS1_7vsmem_tEENKUlT_SE_SF_SG_E_clIS8_S8_S9_S9_EESD_ST_SE_SF_SG_EUlST_E1_NS1_11comp_targetILNS1_3genE10ELNS1_11target_archE1201ELNS1_3gpuE5ELNS1_3repE0EEENS1_36merge_oddeven_config_static_selectorELNS0_4arch9wavefront6targetE0EEEvSF_.uses_flat_scratch, 0
	.set _ZN7rocprim17ROCPRIM_400000_NS6detail17trampoline_kernelINS0_14default_configENS1_38merge_sort_block_merge_config_selectorIsNS0_10empty_typeEEEZZNS1_27merge_sort_block_merge_implIS3_PsPS5_jNS1_19radix_merge_compareILb0ELb1EsNS0_19identity_decomposerEEEEE10hipError_tT0_T1_T2_jT3_P12ihipStream_tbPNSt15iterator_traitsISE_E10value_typeEPNSK_ISF_E10value_typeEPSG_NS1_7vsmem_tEENKUlT_SE_SF_SG_E_clIS8_S8_S9_S9_EESD_ST_SE_SF_SG_EUlST_E1_NS1_11comp_targetILNS1_3genE10ELNS1_11target_archE1201ELNS1_3gpuE5ELNS1_3repE0EEENS1_36merge_oddeven_config_static_selectorELNS0_4arch9wavefront6targetE0EEEvSF_.has_dyn_sized_stack, 0
	.set _ZN7rocprim17ROCPRIM_400000_NS6detail17trampoline_kernelINS0_14default_configENS1_38merge_sort_block_merge_config_selectorIsNS0_10empty_typeEEEZZNS1_27merge_sort_block_merge_implIS3_PsPS5_jNS1_19radix_merge_compareILb0ELb1EsNS0_19identity_decomposerEEEEE10hipError_tT0_T1_T2_jT3_P12ihipStream_tbPNSt15iterator_traitsISE_E10value_typeEPNSK_ISF_E10value_typeEPSG_NS1_7vsmem_tEENKUlT_SE_SF_SG_E_clIS8_S8_S9_S9_EESD_ST_SE_SF_SG_EUlST_E1_NS1_11comp_targetILNS1_3genE10ELNS1_11target_archE1201ELNS1_3gpuE5ELNS1_3repE0EEENS1_36merge_oddeven_config_static_selectorELNS0_4arch9wavefront6targetE0EEEvSF_.has_recursion, 0
	.set _ZN7rocprim17ROCPRIM_400000_NS6detail17trampoline_kernelINS0_14default_configENS1_38merge_sort_block_merge_config_selectorIsNS0_10empty_typeEEEZZNS1_27merge_sort_block_merge_implIS3_PsPS5_jNS1_19radix_merge_compareILb0ELb1EsNS0_19identity_decomposerEEEEE10hipError_tT0_T1_T2_jT3_P12ihipStream_tbPNSt15iterator_traitsISE_E10value_typeEPNSK_ISF_E10value_typeEPSG_NS1_7vsmem_tEENKUlT_SE_SF_SG_E_clIS8_S8_S9_S9_EESD_ST_SE_SF_SG_EUlST_E1_NS1_11comp_targetILNS1_3genE10ELNS1_11target_archE1201ELNS1_3gpuE5ELNS1_3repE0EEENS1_36merge_oddeven_config_static_selectorELNS0_4arch9wavefront6targetE0EEEvSF_.has_indirect_call, 0
	.section	.AMDGPU.csdata,"",@progbits
; Kernel info:
; codeLenInByte = 0
; TotalNumSgprs: 0
; NumVgprs: 0
; ScratchSize: 0
; MemoryBound: 0
; FloatMode: 240
; IeeeMode: 1
; LDSByteSize: 0 bytes/workgroup (compile time only)
; SGPRBlocks: 0
; VGPRBlocks: 0
; NumSGPRsForWavesPerEU: 1
; NumVGPRsForWavesPerEU: 1
; NamedBarCnt: 0
; Occupancy: 16
; WaveLimiterHint : 0
; COMPUTE_PGM_RSRC2:SCRATCH_EN: 0
; COMPUTE_PGM_RSRC2:USER_SGPR: 2
; COMPUTE_PGM_RSRC2:TRAP_HANDLER: 0
; COMPUTE_PGM_RSRC2:TGID_X_EN: 1
; COMPUTE_PGM_RSRC2:TGID_Y_EN: 0
; COMPUTE_PGM_RSRC2:TGID_Z_EN: 0
; COMPUTE_PGM_RSRC2:TIDIG_COMP_CNT: 0
	.section	.text._ZN7rocprim17ROCPRIM_400000_NS6detail17trampoline_kernelINS0_14default_configENS1_38merge_sort_block_merge_config_selectorIsNS0_10empty_typeEEEZZNS1_27merge_sort_block_merge_implIS3_PsPS5_jNS1_19radix_merge_compareILb0ELb1EsNS0_19identity_decomposerEEEEE10hipError_tT0_T1_T2_jT3_P12ihipStream_tbPNSt15iterator_traitsISE_E10value_typeEPNSK_ISF_E10value_typeEPSG_NS1_7vsmem_tEENKUlT_SE_SF_SG_E_clIS8_S8_S9_S9_EESD_ST_SE_SF_SG_EUlST_E1_NS1_11comp_targetILNS1_3genE5ELNS1_11target_archE942ELNS1_3gpuE9ELNS1_3repE0EEENS1_36merge_oddeven_config_static_selectorELNS0_4arch9wavefront6targetE0EEEvSF_,"axG",@progbits,_ZN7rocprim17ROCPRIM_400000_NS6detail17trampoline_kernelINS0_14default_configENS1_38merge_sort_block_merge_config_selectorIsNS0_10empty_typeEEEZZNS1_27merge_sort_block_merge_implIS3_PsPS5_jNS1_19radix_merge_compareILb0ELb1EsNS0_19identity_decomposerEEEEE10hipError_tT0_T1_T2_jT3_P12ihipStream_tbPNSt15iterator_traitsISE_E10value_typeEPNSK_ISF_E10value_typeEPSG_NS1_7vsmem_tEENKUlT_SE_SF_SG_E_clIS8_S8_S9_S9_EESD_ST_SE_SF_SG_EUlST_E1_NS1_11comp_targetILNS1_3genE5ELNS1_11target_archE942ELNS1_3gpuE9ELNS1_3repE0EEENS1_36merge_oddeven_config_static_selectorELNS0_4arch9wavefront6targetE0EEEvSF_,comdat
	.protected	_ZN7rocprim17ROCPRIM_400000_NS6detail17trampoline_kernelINS0_14default_configENS1_38merge_sort_block_merge_config_selectorIsNS0_10empty_typeEEEZZNS1_27merge_sort_block_merge_implIS3_PsPS5_jNS1_19radix_merge_compareILb0ELb1EsNS0_19identity_decomposerEEEEE10hipError_tT0_T1_T2_jT3_P12ihipStream_tbPNSt15iterator_traitsISE_E10value_typeEPNSK_ISF_E10value_typeEPSG_NS1_7vsmem_tEENKUlT_SE_SF_SG_E_clIS8_S8_S9_S9_EESD_ST_SE_SF_SG_EUlST_E1_NS1_11comp_targetILNS1_3genE5ELNS1_11target_archE942ELNS1_3gpuE9ELNS1_3repE0EEENS1_36merge_oddeven_config_static_selectorELNS0_4arch9wavefront6targetE0EEEvSF_ ; -- Begin function _ZN7rocprim17ROCPRIM_400000_NS6detail17trampoline_kernelINS0_14default_configENS1_38merge_sort_block_merge_config_selectorIsNS0_10empty_typeEEEZZNS1_27merge_sort_block_merge_implIS3_PsPS5_jNS1_19radix_merge_compareILb0ELb1EsNS0_19identity_decomposerEEEEE10hipError_tT0_T1_T2_jT3_P12ihipStream_tbPNSt15iterator_traitsISE_E10value_typeEPNSK_ISF_E10value_typeEPSG_NS1_7vsmem_tEENKUlT_SE_SF_SG_E_clIS8_S8_S9_S9_EESD_ST_SE_SF_SG_EUlST_E1_NS1_11comp_targetILNS1_3genE5ELNS1_11target_archE942ELNS1_3gpuE9ELNS1_3repE0EEENS1_36merge_oddeven_config_static_selectorELNS0_4arch9wavefront6targetE0EEEvSF_
	.globl	_ZN7rocprim17ROCPRIM_400000_NS6detail17trampoline_kernelINS0_14default_configENS1_38merge_sort_block_merge_config_selectorIsNS0_10empty_typeEEEZZNS1_27merge_sort_block_merge_implIS3_PsPS5_jNS1_19radix_merge_compareILb0ELb1EsNS0_19identity_decomposerEEEEE10hipError_tT0_T1_T2_jT3_P12ihipStream_tbPNSt15iterator_traitsISE_E10value_typeEPNSK_ISF_E10value_typeEPSG_NS1_7vsmem_tEENKUlT_SE_SF_SG_E_clIS8_S8_S9_S9_EESD_ST_SE_SF_SG_EUlST_E1_NS1_11comp_targetILNS1_3genE5ELNS1_11target_archE942ELNS1_3gpuE9ELNS1_3repE0EEENS1_36merge_oddeven_config_static_selectorELNS0_4arch9wavefront6targetE0EEEvSF_
	.p2align	8
	.type	_ZN7rocprim17ROCPRIM_400000_NS6detail17trampoline_kernelINS0_14default_configENS1_38merge_sort_block_merge_config_selectorIsNS0_10empty_typeEEEZZNS1_27merge_sort_block_merge_implIS3_PsPS5_jNS1_19radix_merge_compareILb0ELb1EsNS0_19identity_decomposerEEEEE10hipError_tT0_T1_T2_jT3_P12ihipStream_tbPNSt15iterator_traitsISE_E10value_typeEPNSK_ISF_E10value_typeEPSG_NS1_7vsmem_tEENKUlT_SE_SF_SG_E_clIS8_S8_S9_S9_EESD_ST_SE_SF_SG_EUlST_E1_NS1_11comp_targetILNS1_3genE5ELNS1_11target_archE942ELNS1_3gpuE9ELNS1_3repE0EEENS1_36merge_oddeven_config_static_selectorELNS0_4arch9wavefront6targetE0EEEvSF_,@function
_ZN7rocprim17ROCPRIM_400000_NS6detail17trampoline_kernelINS0_14default_configENS1_38merge_sort_block_merge_config_selectorIsNS0_10empty_typeEEEZZNS1_27merge_sort_block_merge_implIS3_PsPS5_jNS1_19radix_merge_compareILb0ELb1EsNS0_19identity_decomposerEEEEE10hipError_tT0_T1_T2_jT3_P12ihipStream_tbPNSt15iterator_traitsISE_E10value_typeEPNSK_ISF_E10value_typeEPSG_NS1_7vsmem_tEENKUlT_SE_SF_SG_E_clIS8_S8_S9_S9_EESD_ST_SE_SF_SG_EUlST_E1_NS1_11comp_targetILNS1_3genE5ELNS1_11target_archE942ELNS1_3gpuE9ELNS1_3repE0EEENS1_36merge_oddeven_config_static_selectorELNS0_4arch9wavefront6targetE0EEEvSF_: ; @_ZN7rocprim17ROCPRIM_400000_NS6detail17trampoline_kernelINS0_14default_configENS1_38merge_sort_block_merge_config_selectorIsNS0_10empty_typeEEEZZNS1_27merge_sort_block_merge_implIS3_PsPS5_jNS1_19radix_merge_compareILb0ELb1EsNS0_19identity_decomposerEEEEE10hipError_tT0_T1_T2_jT3_P12ihipStream_tbPNSt15iterator_traitsISE_E10value_typeEPNSK_ISF_E10value_typeEPSG_NS1_7vsmem_tEENKUlT_SE_SF_SG_E_clIS8_S8_S9_S9_EESD_ST_SE_SF_SG_EUlST_E1_NS1_11comp_targetILNS1_3genE5ELNS1_11target_archE942ELNS1_3gpuE9ELNS1_3repE0EEENS1_36merge_oddeven_config_static_selectorELNS0_4arch9wavefront6targetE0EEEvSF_
; %bb.0:
	.section	.rodata,"a",@progbits
	.p2align	6, 0x0
	.amdhsa_kernel _ZN7rocprim17ROCPRIM_400000_NS6detail17trampoline_kernelINS0_14default_configENS1_38merge_sort_block_merge_config_selectorIsNS0_10empty_typeEEEZZNS1_27merge_sort_block_merge_implIS3_PsPS5_jNS1_19radix_merge_compareILb0ELb1EsNS0_19identity_decomposerEEEEE10hipError_tT0_T1_T2_jT3_P12ihipStream_tbPNSt15iterator_traitsISE_E10value_typeEPNSK_ISF_E10value_typeEPSG_NS1_7vsmem_tEENKUlT_SE_SF_SG_E_clIS8_S8_S9_S9_EESD_ST_SE_SF_SG_EUlST_E1_NS1_11comp_targetILNS1_3genE5ELNS1_11target_archE942ELNS1_3gpuE9ELNS1_3repE0EEENS1_36merge_oddeven_config_static_selectorELNS0_4arch9wavefront6targetE0EEEvSF_
		.amdhsa_group_segment_fixed_size 0
		.amdhsa_private_segment_fixed_size 0
		.amdhsa_kernarg_size 48
		.amdhsa_user_sgpr_count 2
		.amdhsa_user_sgpr_dispatch_ptr 0
		.amdhsa_user_sgpr_queue_ptr 0
		.amdhsa_user_sgpr_kernarg_segment_ptr 1
		.amdhsa_user_sgpr_dispatch_id 0
		.amdhsa_user_sgpr_kernarg_preload_length 0
		.amdhsa_user_sgpr_kernarg_preload_offset 0
		.amdhsa_user_sgpr_private_segment_size 0
		.amdhsa_wavefront_size32 1
		.amdhsa_uses_dynamic_stack 0
		.amdhsa_enable_private_segment 0
		.amdhsa_system_sgpr_workgroup_id_x 1
		.amdhsa_system_sgpr_workgroup_id_y 0
		.amdhsa_system_sgpr_workgroup_id_z 0
		.amdhsa_system_sgpr_workgroup_info 0
		.amdhsa_system_vgpr_workitem_id 0
		.amdhsa_next_free_vgpr 1
		.amdhsa_next_free_sgpr 1
		.amdhsa_named_barrier_count 0
		.amdhsa_reserve_vcc 0
		.amdhsa_float_round_mode_32 0
		.amdhsa_float_round_mode_16_64 0
		.amdhsa_float_denorm_mode_32 3
		.amdhsa_float_denorm_mode_16_64 3
		.amdhsa_fp16_overflow 0
		.amdhsa_memory_ordered 1
		.amdhsa_forward_progress 1
		.amdhsa_inst_pref_size 0
		.amdhsa_round_robin_scheduling 0
		.amdhsa_exception_fp_ieee_invalid_op 0
		.amdhsa_exception_fp_denorm_src 0
		.amdhsa_exception_fp_ieee_div_zero 0
		.amdhsa_exception_fp_ieee_overflow 0
		.amdhsa_exception_fp_ieee_underflow 0
		.amdhsa_exception_fp_ieee_inexact 0
		.amdhsa_exception_int_div_zero 0
	.end_amdhsa_kernel
	.section	.text._ZN7rocprim17ROCPRIM_400000_NS6detail17trampoline_kernelINS0_14default_configENS1_38merge_sort_block_merge_config_selectorIsNS0_10empty_typeEEEZZNS1_27merge_sort_block_merge_implIS3_PsPS5_jNS1_19radix_merge_compareILb0ELb1EsNS0_19identity_decomposerEEEEE10hipError_tT0_T1_T2_jT3_P12ihipStream_tbPNSt15iterator_traitsISE_E10value_typeEPNSK_ISF_E10value_typeEPSG_NS1_7vsmem_tEENKUlT_SE_SF_SG_E_clIS8_S8_S9_S9_EESD_ST_SE_SF_SG_EUlST_E1_NS1_11comp_targetILNS1_3genE5ELNS1_11target_archE942ELNS1_3gpuE9ELNS1_3repE0EEENS1_36merge_oddeven_config_static_selectorELNS0_4arch9wavefront6targetE0EEEvSF_,"axG",@progbits,_ZN7rocprim17ROCPRIM_400000_NS6detail17trampoline_kernelINS0_14default_configENS1_38merge_sort_block_merge_config_selectorIsNS0_10empty_typeEEEZZNS1_27merge_sort_block_merge_implIS3_PsPS5_jNS1_19radix_merge_compareILb0ELb1EsNS0_19identity_decomposerEEEEE10hipError_tT0_T1_T2_jT3_P12ihipStream_tbPNSt15iterator_traitsISE_E10value_typeEPNSK_ISF_E10value_typeEPSG_NS1_7vsmem_tEENKUlT_SE_SF_SG_E_clIS8_S8_S9_S9_EESD_ST_SE_SF_SG_EUlST_E1_NS1_11comp_targetILNS1_3genE5ELNS1_11target_archE942ELNS1_3gpuE9ELNS1_3repE0EEENS1_36merge_oddeven_config_static_selectorELNS0_4arch9wavefront6targetE0EEEvSF_,comdat
.Lfunc_end689:
	.size	_ZN7rocprim17ROCPRIM_400000_NS6detail17trampoline_kernelINS0_14default_configENS1_38merge_sort_block_merge_config_selectorIsNS0_10empty_typeEEEZZNS1_27merge_sort_block_merge_implIS3_PsPS5_jNS1_19radix_merge_compareILb0ELb1EsNS0_19identity_decomposerEEEEE10hipError_tT0_T1_T2_jT3_P12ihipStream_tbPNSt15iterator_traitsISE_E10value_typeEPNSK_ISF_E10value_typeEPSG_NS1_7vsmem_tEENKUlT_SE_SF_SG_E_clIS8_S8_S9_S9_EESD_ST_SE_SF_SG_EUlST_E1_NS1_11comp_targetILNS1_3genE5ELNS1_11target_archE942ELNS1_3gpuE9ELNS1_3repE0EEENS1_36merge_oddeven_config_static_selectorELNS0_4arch9wavefront6targetE0EEEvSF_, .Lfunc_end689-_ZN7rocprim17ROCPRIM_400000_NS6detail17trampoline_kernelINS0_14default_configENS1_38merge_sort_block_merge_config_selectorIsNS0_10empty_typeEEEZZNS1_27merge_sort_block_merge_implIS3_PsPS5_jNS1_19radix_merge_compareILb0ELb1EsNS0_19identity_decomposerEEEEE10hipError_tT0_T1_T2_jT3_P12ihipStream_tbPNSt15iterator_traitsISE_E10value_typeEPNSK_ISF_E10value_typeEPSG_NS1_7vsmem_tEENKUlT_SE_SF_SG_E_clIS8_S8_S9_S9_EESD_ST_SE_SF_SG_EUlST_E1_NS1_11comp_targetILNS1_3genE5ELNS1_11target_archE942ELNS1_3gpuE9ELNS1_3repE0EEENS1_36merge_oddeven_config_static_selectorELNS0_4arch9wavefront6targetE0EEEvSF_
                                        ; -- End function
	.set _ZN7rocprim17ROCPRIM_400000_NS6detail17trampoline_kernelINS0_14default_configENS1_38merge_sort_block_merge_config_selectorIsNS0_10empty_typeEEEZZNS1_27merge_sort_block_merge_implIS3_PsPS5_jNS1_19radix_merge_compareILb0ELb1EsNS0_19identity_decomposerEEEEE10hipError_tT0_T1_T2_jT3_P12ihipStream_tbPNSt15iterator_traitsISE_E10value_typeEPNSK_ISF_E10value_typeEPSG_NS1_7vsmem_tEENKUlT_SE_SF_SG_E_clIS8_S8_S9_S9_EESD_ST_SE_SF_SG_EUlST_E1_NS1_11comp_targetILNS1_3genE5ELNS1_11target_archE942ELNS1_3gpuE9ELNS1_3repE0EEENS1_36merge_oddeven_config_static_selectorELNS0_4arch9wavefront6targetE0EEEvSF_.num_vgpr, 0
	.set _ZN7rocprim17ROCPRIM_400000_NS6detail17trampoline_kernelINS0_14default_configENS1_38merge_sort_block_merge_config_selectorIsNS0_10empty_typeEEEZZNS1_27merge_sort_block_merge_implIS3_PsPS5_jNS1_19radix_merge_compareILb0ELb1EsNS0_19identity_decomposerEEEEE10hipError_tT0_T1_T2_jT3_P12ihipStream_tbPNSt15iterator_traitsISE_E10value_typeEPNSK_ISF_E10value_typeEPSG_NS1_7vsmem_tEENKUlT_SE_SF_SG_E_clIS8_S8_S9_S9_EESD_ST_SE_SF_SG_EUlST_E1_NS1_11comp_targetILNS1_3genE5ELNS1_11target_archE942ELNS1_3gpuE9ELNS1_3repE0EEENS1_36merge_oddeven_config_static_selectorELNS0_4arch9wavefront6targetE0EEEvSF_.num_agpr, 0
	.set _ZN7rocprim17ROCPRIM_400000_NS6detail17trampoline_kernelINS0_14default_configENS1_38merge_sort_block_merge_config_selectorIsNS0_10empty_typeEEEZZNS1_27merge_sort_block_merge_implIS3_PsPS5_jNS1_19radix_merge_compareILb0ELb1EsNS0_19identity_decomposerEEEEE10hipError_tT0_T1_T2_jT3_P12ihipStream_tbPNSt15iterator_traitsISE_E10value_typeEPNSK_ISF_E10value_typeEPSG_NS1_7vsmem_tEENKUlT_SE_SF_SG_E_clIS8_S8_S9_S9_EESD_ST_SE_SF_SG_EUlST_E1_NS1_11comp_targetILNS1_3genE5ELNS1_11target_archE942ELNS1_3gpuE9ELNS1_3repE0EEENS1_36merge_oddeven_config_static_selectorELNS0_4arch9wavefront6targetE0EEEvSF_.numbered_sgpr, 0
	.set _ZN7rocprim17ROCPRIM_400000_NS6detail17trampoline_kernelINS0_14default_configENS1_38merge_sort_block_merge_config_selectorIsNS0_10empty_typeEEEZZNS1_27merge_sort_block_merge_implIS3_PsPS5_jNS1_19radix_merge_compareILb0ELb1EsNS0_19identity_decomposerEEEEE10hipError_tT0_T1_T2_jT3_P12ihipStream_tbPNSt15iterator_traitsISE_E10value_typeEPNSK_ISF_E10value_typeEPSG_NS1_7vsmem_tEENKUlT_SE_SF_SG_E_clIS8_S8_S9_S9_EESD_ST_SE_SF_SG_EUlST_E1_NS1_11comp_targetILNS1_3genE5ELNS1_11target_archE942ELNS1_3gpuE9ELNS1_3repE0EEENS1_36merge_oddeven_config_static_selectorELNS0_4arch9wavefront6targetE0EEEvSF_.num_named_barrier, 0
	.set _ZN7rocprim17ROCPRIM_400000_NS6detail17trampoline_kernelINS0_14default_configENS1_38merge_sort_block_merge_config_selectorIsNS0_10empty_typeEEEZZNS1_27merge_sort_block_merge_implIS3_PsPS5_jNS1_19radix_merge_compareILb0ELb1EsNS0_19identity_decomposerEEEEE10hipError_tT0_T1_T2_jT3_P12ihipStream_tbPNSt15iterator_traitsISE_E10value_typeEPNSK_ISF_E10value_typeEPSG_NS1_7vsmem_tEENKUlT_SE_SF_SG_E_clIS8_S8_S9_S9_EESD_ST_SE_SF_SG_EUlST_E1_NS1_11comp_targetILNS1_3genE5ELNS1_11target_archE942ELNS1_3gpuE9ELNS1_3repE0EEENS1_36merge_oddeven_config_static_selectorELNS0_4arch9wavefront6targetE0EEEvSF_.private_seg_size, 0
	.set _ZN7rocprim17ROCPRIM_400000_NS6detail17trampoline_kernelINS0_14default_configENS1_38merge_sort_block_merge_config_selectorIsNS0_10empty_typeEEEZZNS1_27merge_sort_block_merge_implIS3_PsPS5_jNS1_19radix_merge_compareILb0ELb1EsNS0_19identity_decomposerEEEEE10hipError_tT0_T1_T2_jT3_P12ihipStream_tbPNSt15iterator_traitsISE_E10value_typeEPNSK_ISF_E10value_typeEPSG_NS1_7vsmem_tEENKUlT_SE_SF_SG_E_clIS8_S8_S9_S9_EESD_ST_SE_SF_SG_EUlST_E1_NS1_11comp_targetILNS1_3genE5ELNS1_11target_archE942ELNS1_3gpuE9ELNS1_3repE0EEENS1_36merge_oddeven_config_static_selectorELNS0_4arch9wavefront6targetE0EEEvSF_.uses_vcc, 0
	.set _ZN7rocprim17ROCPRIM_400000_NS6detail17trampoline_kernelINS0_14default_configENS1_38merge_sort_block_merge_config_selectorIsNS0_10empty_typeEEEZZNS1_27merge_sort_block_merge_implIS3_PsPS5_jNS1_19radix_merge_compareILb0ELb1EsNS0_19identity_decomposerEEEEE10hipError_tT0_T1_T2_jT3_P12ihipStream_tbPNSt15iterator_traitsISE_E10value_typeEPNSK_ISF_E10value_typeEPSG_NS1_7vsmem_tEENKUlT_SE_SF_SG_E_clIS8_S8_S9_S9_EESD_ST_SE_SF_SG_EUlST_E1_NS1_11comp_targetILNS1_3genE5ELNS1_11target_archE942ELNS1_3gpuE9ELNS1_3repE0EEENS1_36merge_oddeven_config_static_selectorELNS0_4arch9wavefront6targetE0EEEvSF_.uses_flat_scratch, 0
	.set _ZN7rocprim17ROCPRIM_400000_NS6detail17trampoline_kernelINS0_14default_configENS1_38merge_sort_block_merge_config_selectorIsNS0_10empty_typeEEEZZNS1_27merge_sort_block_merge_implIS3_PsPS5_jNS1_19radix_merge_compareILb0ELb1EsNS0_19identity_decomposerEEEEE10hipError_tT0_T1_T2_jT3_P12ihipStream_tbPNSt15iterator_traitsISE_E10value_typeEPNSK_ISF_E10value_typeEPSG_NS1_7vsmem_tEENKUlT_SE_SF_SG_E_clIS8_S8_S9_S9_EESD_ST_SE_SF_SG_EUlST_E1_NS1_11comp_targetILNS1_3genE5ELNS1_11target_archE942ELNS1_3gpuE9ELNS1_3repE0EEENS1_36merge_oddeven_config_static_selectorELNS0_4arch9wavefront6targetE0EEEvSF_.has_dyn_sized_stack, 0
	.set _ZN7rocprim17ROCPRIM_400000_NS6detail17trampoline_kernelINS0_14default_configENS1_38merge_sort_block_merge_config_selectorIsNS0_10empty_typeEEEZZNS1_27merge_sort_block_merge_implIS3_PsPS5_jNS1_19radix_merge_compareILb0ELb1EsNS0_19identity_decomposerEEEEE10hipError_tT0_T1_T2_jT3_P12ihipStream_tbPNSt15iterator_traitsISE_E10value_typeEPNSK_ISF_E10value_typeEPSG_NS1_7vsmem_tEENKUlT_SE_SF_SG_E_clIS8_S8_S9_S9_EESD_ST_SE_SF_SG_EUlST_E1_NS1_11comp_targetILNS1_3genE5ELNS1_11target_archE942ELNS1_3gpuE9ELNS1_3repE0EEENS1_36merge_oddeven_config_static_selectorELNS0_4arch9wavefront6targetE0EEEvSF_.has_recursion, 0
	.set _ZN7rocprim17ROCPRIM_400000_NS6detail17trampoline_kernelINS0_14default_configENS1_38merge_sort_block_merge_config_selectorIsNS0_10empty_typeEEEZZNS1_27merge_sort_block_merge_implIS3_PsPS5_jNS1_19radix_merge_compareILb0ELb1EsNS0_19identity_decomposerEEEEE10hipError_tT0_T1_T2_jT3_P12ihipStream_tbPNSt15iterator_traitsISE_E10value_typeEPNSK_ISF_E10value_typeEPSG_NS1_7vsmem_tEENKUlT_SE_SF_SG_E_clIS8_S8_S9_S9_EESD_ST_SE_SF_SG_EUlST_E1_NS1_11comp_targetILNS1_3genE5ELNS1_11target_archE942ELNS1_3gpuE9ELNS1_3repE0EEENS1_36merge_oddeven_config_static_selectorELNS0_4arch9wavefront6targetE0EEEvSF_.has_indirect_call, 0
	.section	.AMDGPU.csdata,"",@progbits
; Kernel info:
; codeLenInByte = 0
; TotalNumSgprs: 0
; NumVgprs: 0
; ScratchSize: 0
; MemoryBound: 0
; FloatMode: 240
; IeeeMode: 1
; LDSByteSize: 0 bytes/workgroup (compile time only)
; SGPRBlocks: 0
; VGPRBlocks: 0
; NumSGPRsForWavesPerEU: 1
; NumVGPRsForWavesPerEU: 1
; NamedBarCnt: 0
; Occupancy: 16
; WaveLimiterHint : 0
; COMPUTE_PGM_RSRC2:SCRATCH_EN: 0
; COMPUTE_PGM_RSRC2:USER_SGPR: 2
; COMPUTE_PGM_RSRC2:TRAP_HANDLER: 0
; COMPUTE_PGM_RSRC2:TGID_X_EN: 1
; COMPUTE_PGM_RSRC2:TGID_Y_EN: 0
; COMPUTE_PGM_RSRC2:TGID_Z_EN: 0
; COMPUTE_PGM_RSRC2:TIDIG_COMP_CNT: 0
	.section	.text._ZN7rocprim17ROCPRIM_400000_NS6detail17trampoline_kernelINS0_14default_configENS1_38merge_sort_block_merge_config_selectorIsNS0_10empty_typeEEEZZNS1_27merge_sort_block_merge_implIS3_PsPS5_jNS1_19radix_merge_compareILb0ELb1EsNS0_19identity_decomposerEEEEE10hipError_tT0_T1_T2_jT3_P12ihipStream_tbPNSt15iterator_traitsISE_E10value_typeEPNSK_ISF_E10value_typeEPSG_NS1_7vsmem_tEENKUlT_SE_SF_SG_E_clIS8_S8_S9_S9_EESD_ST_SE_SF_SG_EUlST_E1_NS1_11comp_targetILNS1_3genE4ELNS1_11target_archE910ELNS1_3gpuE8ELNS1_3repE0EEENS1_36merge_oddeven_config_static_selectorELNS0_4arch9wavefront6targetE0EEEvSF_,"axG",@progbits,_ZN7rocprim17ROCPRIM_400000_NS6detail17trampoline_kernelINS0_14default_configENS1_38merge_sort_block_merge_config_selectorIsNS0_10empty_typeEEEZZNS1_27merge_sort_block_merge_implIS3_PsPS5_jNS1_19radix_merge_compareILb0ELb1EsNS0_19identity_decomposerEEEEE10hipError_tT0_T1_T2_jT3_P12ihipStream_tbPNSt15iterator_traitsISE_E10value_typeEPNSK_ISF_E10value_typeEPSG_NS1_7vsmem_tEENKUlT_SE_SF_SG_E_clIS8_S8_S9_S9_EESD_ST_SE_SF_SG_EUlST_E1_NS1_11comp_targetILNS1_3genE4ELNS1_11target_archE910ELNS1_3gpuE8ELNS1_3repE0EEENS1_36merge_oddeven_config_static_selectorELNS0_4arch9wavefront6targetE0EEEvSF_,comdat
	.protected	_ZN7rocprim17ROCPRIM_400000_NS6detail17trampoline_kernelINS0_14default_configENS1_38merge_sort_block_merge_config_selectorIsNS0_10empty_typeEEEZZNS1_27merge_sort_block_merge_implIS3_PsPS5_jNS1_19radix_merge_compareILb0ELb1EsNS0_19identity_decomposerEEEEE10hipError_tT0_T1_T2_jT3_P12ihipStream_tbPNSt15iterator_traitsISE_E10value_typeEPNSK_ISF_E10value_typeEPSG_NS1_7vsmem_tEENKUlT_SE_SF_SG_E_clIS8_S8_S9_S9_EESD_ST_SE_SF_SG_EUlST_E1_NS1_11comp_targetILNS1_3genE4ELNS1_11target_archE910ELNS1_3gpuE8ELNS1_3repE0EEENS1_36merge_oddeven_config_static_selectorELNS0_4arch9wavefront6targetE0EEEvSF_ ; -- Begin function _ZN7rocprim17ROCPRIM_400000_NS6detail17trampoline_kernelINS0_14default_configENS1_38merge_sort_block_merge_config_selectorIsNS0_10empty_typeEEEZZNS1_27merge_sort_block_merge_implIS3_PsPS5_jNS1_19radix_merge_compareILb0ELb1EsNS0_19identity_decomposerEEEEE10hipError_tT0_T1_T2_jT3_P12ihipStream_tbPNSt15iterator_traitsISE_E10value_typeEPNSK_ISF_E10value_typeEPSG_NS1_7vsmem_tEENKUlT_SE_SF_SG_E_clIS8_S8_S9_S9_EESD_ST_SE_SF_SG_EUlST_E1_NS1_11comp_targetILNS1_3genE4ELNS1_11target_archE910ELNS1_3gpuE8ELNS1_3repE0EEENS1_36merge_oddeven_config_static_selectorELNS0_4arch9wavefront6targetE0EEEvSF_
	.globl	_ZN7rocprim17ROCPRIM_400000_NS6detail17trampoline_kernelINS0_14default_configENS1_38merge_sort_block_merge_config_selectorIsNS0_10empty_typeEEEZZNS1_27merge_sort_block_merge_implIS3_PsPS5_jNS1_19radix_merge_compareILb0ELb1EsNS0_19identity_decomposerEEEEE10hipError_tT0_T1_T2_jT3_P12ihipStream_tbPNSt15iterator_traitsISE_E10value_typeEPNSK_ISF_E10value_typeEPSG_NS1_7vsmem_tEENKUlT_SE_SF_SG_E_clIS8_S8_S9_S9_EESD_ST_SE_SF_SG_EUlST_E1_NS1_11comp_targetILNS1_3genE4ELNS1_11target_archE910ELNS1_3gpuE8ELNS1_3repE0EEENS1_36merge_oddeven_config_static_selectorELNS0_4arch9wavefront6targetE0EEEvSF_
	.p2align	8
	.type	_ZN7rocprim17ROCPRIM_400000_NS6detail17trampoline_kernelINS0_14default_configENS1_38merge_sort_block_merge_config_selectorIsNS0_10empty_typeEEEZZNS1_27merge_sort_block_merge_implIS3_PsPS5_jNS1_19radix_merge_compareILb0ELb1EsNS0_19identity_decomposerEEEEE10hipError_tT0_T1_T2_jT3_P12ihipStream_tbPNSt15iterator_traitsISE_E10value_typeEPNSK_ISF_E10value_typeEPSG_NS1_7vsmem_tEENKUlT_SE_SF_SG_E_clIS8_S8_S9_S9_EESD_ST_SE_SF_SG_EUlST_E1_NS1_11comp_targetILNS1_3genE4ELNS1_11target_archE910ELNS1_3gpuE8ELNS1_3repE0EEENS1_36merge_oddeven_config_static_selectorELNS0_4arch9wavefront6targetE0EEEvSF_,@function
_ZN7rocprim17ROCPRIM_400000_NS6detail17trampoline_kernelINS0_14default_configENS1_38merge_sort_block_merge_config_selectorIsNS0_10empty_typeEEEZZNS1_27merge_sort_block_merge_implIS3_PsPS5_jNS1_19radix_merge_compareILb0ELb1EsNS0_19identity_decomposerEEEEE10hipError_tT0_T1_T2_jT3_P12ihipStream_tbPNSt15iterator_traitsISE_E10value_typeEPNSK_ISF_E10value_typeEPSG_NS1_7vsmem_tEENKUlT_SE_SF_SG_E_clIS8_S8_S9_S9_EESD_ST_SE_SF_SG_EUlST_E1_NS1_11comp_targetILNS1_3genE4ELNS1_11target_archE910ELNS1_3gpuE8ELNS1_3repE0EEENS1_36merge_oddeven_config_static_selectorELNS0_4arch9wavefront6targetE0EEEvSF_: ; @_ZN7rocprim17ROCPRIM_400000_NS6detail17trampoline_kernelINS0_14default_configENS1_38merge_sort_block_merge_config_selectorIsNS0_10empty_typeEEEZZNS1_27merge_sort_block_merge_implIS3_PsPS5_jNS1_19radix_merge_compareILb0ELb1EsNS0_19identity_decomposerEEEEE10hipError_tT0_T1_T2_jT3_P12ihipStream_tbPNSt15iterator_traitsISE_E10value_typeEPNSK_ISF_E10value_typeEPSG_NS1_7vsmem_tEENKUlT_SE_SF_SG_E_clIS8_S8_S9_S9_EESD_ST_SE_SF_SG_EUlST_E1_NS1_11comp_targetILNS1_3genE4ELNS1_11target_archE910ELNS1_3gpuE8ELNS1_3repE0EEENS1_36merge_oddeven_config_static_selectorELNS0_4arch9wavefront6targetE0EEEvSF_
; %bb.0:
	.section	.rodata,"a",@progbits
	.p2align	6, 0x0
	.amdhsa_kernel _ZN7rocprim17ROCPRIM_400000_NS6detail17trampoline_kernelINS0_14default_configENS1_38merge_sort_block_merge_config_selectorIsNS0_10empty_typeEEEZZNS1_27merge_sort_block_merge_implIS3_PsPS5_jNS1_19radix_merge_compareILb0ELb1EsNS0_19identity_decomposerEEEEE10hipError_tT0_T1_T2_jT3_P12ihipStream_tbPNSt15iterator_traitsISE_E10value_typeEPNSK_ISF_E10value_typeEPSG_NS1_7vsmem_tEENKUlT_SE_SF_SG_E_clIS8_S8_S9_S9_EESD_ST_SE_SF_SG_EUlST_E1_NS1_11comp_targetILNS1_3genE4ELNS1_11target_archE910ELNS1_3gpuE8ELNS1_3repE0EEENS1_36merge_oddeven_config_static_selectorELNS0_4arch9wavefront6targetE0EEEvSF_
		.amdhsa_group_segment_fixed_size 0
		.amdhsa_private_segment_fixed_size 0
		.amdhsa_kernarg_size 48
		.amdhsa_user_sgpr_count 2
		.amdhsa_user_sgpr_dispatch_ptr 0
		.amdhsa_user_sgpr_queue_ptr 0
		.amdhsa_user_sgpr_kernarg_segment_ptr 1
		.amdhsa_user_sgpr_dispatch_id 0
		.amdhsa_user_sgpr_kernarg_preload_length 0
		.amdhsa_user_sgpr_kernarg_preload_offset 0
		.amdhsa_user_sgpr_private_segment_size 0
		.amdhsa_wavefront_size32 1
		.amdhsa_uses_dynamic_stack 0
		.amdhsa_enable_private_segment 0
		.amdhsa_system_sgpr_workgroup_id_x 1
		.amdhsa_system_sgpr_workgroup_id_y 0
		.amdhsa_system_sgpr_workgroup_id_z 0
		.amdhsa_system_sgpr_workgroup_info 0
		.amdhsa_system_vgpr_workitem_id 0
		.amdhsa_next_free_vgpr 1
		.amdhsa_next_free_sgpr 1
		.amdhsa_named_barrier_count 0
		.amdhsa_reserve_vcc 0
		.amdhsa_float_round_mode_32 0
		.amdhsa_float_round_mode_16_64 0
		.amdhsa_float_denorm_mode_32 3
		.amdhsa_float_denorm_mode_16_64 3
		.amdhsa_fp16_overflow 0
		.amdhsa_memory_ordered 1
		.amdhsa_forward_progress 1
		.amdhsa_inst_pref_size 0
		.amdhsa_round_robin_scheduling 0
		.amdhsa_exception_fp_ieee_invalid_op 0
		.amdhsa_exception_fp_denorm_src 0
		.amdhsa_exception_fp_ieee_div_zero 0
		.amdhsa_exception_fp_ieee_overflow 0
		.amdhsa_exception_fp_ieee_underflow 0
		.amdhsa_exception_fp_ieee_inexact 0
		.amdhsa_exception_int_div_zero 0
	.end_amdhsa_kernel
	.section	.text._ZN7rocprim17ROCPRIM_400000_NS6detail17trampoline_kernelINS0_14default_configENS1_38merge_sort_block_merge_config_selectorIsNS0_10empty_typeEEEZZNS1_27merge_sort_block_merge_implIS3_PsPS5_jNS1_19radix_merge_compareILb0ELb1EsNS0_19identity_decomposerEEEEE10hipError_tT0_T1_T2_jT3_P12ihipStream_tbPNSt15iterator_traitsISE_E10value_typeEPNSK_ISF_E10value_typeEPSG_NS1_7vsmem_tEENKUlT_SE_SF_SG_E_clIS8_S8_S9_S9_EESD_ST_SE_SF_SG_EUlST_E1_NS1_11comp_targetILNS1_3genE4ELNS1_11target_archE910ELNS1_3gpuE8ELNS1_3repE0EEENS1_36merge_oddeven_config_static_selectorELNS0_4arch9wavefront6targetE0EEEvSF_,"axG",@progbits,_ZN7rocprim17ROCPRIM_400000_NS6detail17trampoline_kernelINS0_14default_configENS1_38merge_sort_block_merge_config_selectorIsNS0_10empty_typeEEEZZNS1_27merge_sort_block_merge_implIS3_PsPS5_jNS1_19radix_merge_compareILb0ELb1EsNS0_19identity_decomposerEEEEE10hipError_tT0_T1_T2_jT3_P12ihipStream_tbPNSt15iterator_traitsISE_E10value_typeEPNSK_ISF_E10value_typeEPSG_NS1_7vsmem_tEENKUlT_SE_SF_SG_E_clIS8_S8_S9_S9_EESD_ST_SE_SF_SG_EUlST_E1_NS1_11comp_targetILNS1_3genE4ELNS1_11target_archE910ELNS1_3gpuE8ELNS1_3repE0EEENS1_36merge_oddeven_config_static_selectorELNS0_4arch9wavefront6targetE0EEEvSF_,comdat
.Lfunc_end690:
	.size	_ZN7rocprim17ROCPRIM_400000_NS6detail17trampoline_kernelINS0_14default_configENS1_38merge_sort_block_merge_config_selectorIsNS0_10empty_typeEEEZZNS1_27merge_sort_block_merge_implIS3_PsPS5_jNS1_19radix_merge_compareILb0ELb1EsNS0_19identity_decomposerEEEEE10hipError_tT0_T1_T2_jT3_P12ihipStream_tbPNSt15iterator_traitsISE_E10value_typeEPNSK_ISF_E10value_typeEPSG_NS1_7vsmem_tEENKUlT_SE_SF_SG_E_clIS8_S8_S9_S9_EESD_ST_SE_SF_SG_EUlST_E1_NS1_11comp_targetILNS1_3genE4ELNS1_11target_archE910ELNS1_3gpuE8ELNS1_3repE0EEENS1_36merge_oddeven_config_static_selectorELNS0_4arch9wavefront6targetE0EEEvSF_, .Lfunc_end690-_ZN7rocprim17ROCPRIM_400000_NS6detail17trampoline_kernelINS0_14default_configENS1_38merge_sort_block_merge_config_selectorIsNS0_10empty_typeEEEZZNS1_27merge_sort_block_merge_implIS3_PsPS5_jNS1_19radix_merge_compareILb0ELb1EsNS0_19identity_decomposerEEEEE10hipError_tT0_T1_T2_jT3_P12ihipStream_tbPNSt15iterator_traitsISE_E10value_typeEPNSK_ISF_E10value_typeEPSG_NS1_7vsmem_tEENKUlT_SE_SF_SG_E_clIS8_S8_S9_S9_EESD_ST_SE_SF_SG_EUlST_E1_NS1_11comp_targetILNS1_3genE4ELNS1_11target_archE910ELNS1_3gpuE8ELNS1_3repE0EEENS1_36merge_oddeven_config_static_selectorELNS0_4arch9wavefront6targetE0EEEvSF_
                                        ; -- End function
	.set _ZN7rocprim17ROCPRIM_400000_NS6detail17trampoline_kernelINS0_14default_configENS1_38merge_sort_block_merge_config_selectorIsNS0_10empty_typeEEEZZNS1_27merge_sort_block_merge_implIS3_PsPS5_jNS1_19radix_merge_compareILb0ELb1EsNS0_19identity_decomposerEEEEE10hipError_tT0_T1_T2_jT3_P12ihipStream_tbPNSt15iterator_traitsISE_E10value_typeEPNSK_ISF_E10value_typeEPSG_NS1_7vsmem_tEENKUlT_SE_SF_SG_E_clIS8_S8_S9_S9_EESD_ST_SE_SF_SG_EUlST_E1_NS1_11comp_targetILNS1_3genE4ELNS1_11target_archE910ELNS1_3gpuE8ELNS1_3repE0EEENS1_36merge_oddeven_config_static_selectorELNS0_4arch9wavefront6targetE0EEEvSF_.num_vgpr, 0
	.set _ZN7rocprim17ROCPRIM_400000_NS6detail17trampoline_kernelINS0_14default_configENS1_38merge_sort_block_merge_config_selectorIsNS0_10empty_typeEEEZZNS1_27merge_sort_block_merge_implIS3_PsPS5_jNS1_19radix_merge_compareILb0ELb1EsNS0_19identity_decomposerEEEEE10hipError_tT0_T1_T2_jT3_P12ihipStream_tbPNSt15iterator_traitsISE_E10value_typeEPNSK_ISF_E10value_typeEPSG_NS1_7vsmem_tEENKUlT_SE_SF_SG_E_clIS8_S8_S9_S9_EESD_ST_SE_SF_SG_EUlST_E1_NS1_11comp_targetILNS1_3genE4ELNS1_11target_archE910ELNS1_3gpuE8ELNS1_3repE0EEENS1_36merge_oddeven_config_static_selectorELNS0_4arch9wavefront6targetE0EEEvSF_.num_agpr, 0
	.set _ZN7rocprim17ROCPRIM_400000_NS6detail17trampoline_kernelINS0_14default_configENS1_38merge_sort_block_merge_config_selectorIsNS0_10empty_typeEEEZZNS1_27merge_sort_block_merge_implIS3_PsPS5_jNS1_19radix_merge_compareILb0ELb1EsNS0_19identity_decomposerEEEEE10hipError_tT0_T1_T2_jT3_P12ihipStream_tbPNSt15iterator_traitsISE_E10value_typeEPNSK_ISF_E10value_typeEPSG_NS1_7vsmem_tEENKUlT_SE_SF_SG_E_clIS8_S8_S9_S9_EESD_ST_SE_SF_SG_EUlST_E1_NS1_11comp_targetILNS1_3genE4ELNS1_11target_archE910ELNS1_3gpuE8ELNS1_3repE0EEENS1_36merge_oddeven_config_static_selectorELNS0_4arch9wavefront6targetE0EEEvSF_.numbered_sgpr, 0
	.set _ZN7rocprim17ROCPRIM_400000_NS6detail17trampoline_kernelINS0_14default_configENS1_38merge_sort_block_merge_config_selectorIsNS0_10empty_typeEEEZZNS1_27merge_sort_block_merge_implIS3_PsPS5_jNS1_19radix_merge_compareILb0ELb1EsNS0_19identity_decomposerEEEEE10hipError_tT0_T1_T2_jT3_P12ihipStream_tbPNSt15iterator_traitsISE_E10value_typeEPNSK_ISF_E10value_typeEPSG_NS1_7vsmem_tEENKUlT_SE_SF_SG_E_clIS8_S8_S9_S9_EESD_ST_SE_SF_SG_EUlST_E1_NS1_11comp_targetILNS1_3genE4ELNS1_11target_archE910ELNS1_3gpuE8ELNS1_3repE0EEENS1_36merge_oddeven_config_static_selectorELNS0_4arch9wavefront6targetE0EEEvSF_.num_named_barrier, 0
	.set _ZN7rocprim17ROCPRIM_400000_NS6detail17trampoline_kernelINS0_14default_configENS1_38merge_sort_block_merge_config_selectorIsNS0_10empty_typeEEEZZNS1_27merge_sort_block_merge_implIS3_PsPS5_jNS1_19radix_merge_compareILb0ELb1EsNS0_19identity_decomposerEEEEE10hipError_tT0_T1_T2_jT3_P12ihipStream_tbPNSt15iterator_traitsISE_E10value_typeEPNSK_ISF_E10value_typeEPSG_NS1_7vsmem_tEENKUlT_SE_SF_SG_E_clIS8_S8_S9_S9_EESD_ST_SE_SF_SG_EUlST_E1_NS1_11comp_targetILNS1_3genE4ELNS1_11target_archE910ELNS1_3gpuE8ELNS1_3repE0EEENS1_36merge_oddeven_config_static_selectorELNS0_4arch9wavefront6targetE0EEEvSF_.private_seg_size, 0
	.set _ZN7rocprim17ROCPRIM_400000_NS6detail17trampoline_kernelINS0_14default_configENS1_38merge_sort_block_merge_config_selectorIsNS0_10empty_typeEEEZZNS1_27merge_sort_block_merge_implIS3_PsPS5_jNS1_19radix_merge_compareILb0ELb1EsNS0_19identity_decomposerEEEEE10hipError_tT0_T1_T2_jT3_P12ihipStream_tbPNSt15iterator_traitsISE_E10value_typeEPNSK_ISF_E10value_typeEPSG_NS1_7vsmem_tEENKUlT_SE_SF_SG_E_clIS8_S8_S9_S9_EESD_ST_SE_SF_SG_EUlST_E1_NS1_11comp_targetILNS1_3genE4ELNS1_11target_archE910ELNS1_3gpuE8ELNS1_3repE0EEENS1_36merge_oddeven_config_static_selectorELNS0_4arch9wavefront6targetE0EEEvSF_.uses_vcc, 0
	.set _ZN7rocprim17ROCPRIM_400000_NS6detail17trampoline_kernelINS0_14default_configENS1_38merge_sort_block_merge_config_selectorIsNS0_10empty_typeEEEZZNS1_27merge_sort_block_merge_implIS3_PsPS5_jNS1_19radix_merge_compareILb0ELb1EsNS0_19identity_decomposerEEEEE10hipError_tT0_T1_T2_jT3_P12ihipStream_tbPNSt15iterator_traitsISE_E10value_typeEPNSK_ISF_E10value_typeEPSG_NS1_7vsmem_tEENKUlT_SE_SF_SG_E_clIS8_S8_S9_S9_EESD_ST_SE_SF_SG_EUlST_E1_NS1_11comp_targetILNS1_3genE4ELNS1_11target_archE910ELNS1_3gpuE8ELNS1_3repE0EEENS1_36merge_oddeven_config_static_selectorELNS0_4arch9wavefront6targetE0EEEvSF_.uses_flat_scratch, 0
	.set _ZN7rocprim17ROCPRIM_400000_NS6detail17trampoline_kernelINS0_14default_configENS1_38merge_sort_block_merge_config_selectorIsNS0_10empty_typeEEEZZNS1_27merge_sort_block_merge_implIS3_PsPS5_jNS1_19radix_merge_compareILb0ELb1EsNS0_19identity_decomposerEEEEE10hipError_tT0_T1_T2_jT3_P12ihipStream_tbPNSt15iterator_traitsISE_E10value_typeEPNSK_ISF_E10value_typeEPSG_NS1_7vsmem_tEENKUlT_SE_SF_SG_E_clIS8_S8_S9_S9_EESD_ST_SE_SF_SG_EUlST_E1_NS1_11comp_targetILNS1_3genE4ELNS1_11target_archE910ELNS1_3gpuE8ELNS1_3repE0EEENS1_36merge_oddeven_config_static_selectorELNS0_4arch9wavefront6targetE0EEEvSF_.has_dyn_sized_stack, 0
	.set _ZN7rocprim17ROCPRIM_400000_NS6detail17trampoline_kernelINS0_14default_configENS1_38merge_sort_block_merge_config_selectorIsNS0_10empty_typeEEEZZNS1_27merge_sort_block_merge_implIS3_PsPS5_jNS1_19radix_merge_compareILb0ELb1EsNS0_19identity_decomposerEEEEE10hipError_tT0_T1_T2_jT3_P12ihipStream_tbPNSt15iterator_traitsISE_E10value_typeEPNSK_ISF_E10value_typeEPSG_NS1_7vsmem_tEENKUlT_SE_SF_SG_E_clIS8_S8_S9_S9_EESD_ST_SE_SF_SG_EUlST_E1_NS1_11comp_targetILNS1_3genE4ELNS1_11target_archE910ELNS1_3gpuE8ELNS1_3repE0EEENS1_36merge_oddeven_config_static_selectorELNS0_4arch9wavefront6targetE0EEEvSF_.has_recursion, 0
	.set _ZN7rocprim17ROCPRIM_400000_NS6detail17trampoline_kernelINS0_14default_configENS1_38merge_sort_block_merge_config_selectorIsNS0_10empty_typeEEEZZNS1_27merge_sort_block_merge_implIS3_PsPS5_jNS1_19radix_merge_compareILb0ELb1EsNS0_19identity_decomposerEEEEE10hipError_tT0_T1_T2_jT3_P12ihipStream_tbPNSt15iterator_traitsISE_E10value_typeEPNSK_ISF_E10value_typeEPSG_NS1_7vsmem_tEENKUlT_SE_SF_SG_E_clIS8_S8_S9_S9_EESD_ST_SE_SF_SG_EUlST_E1_NS1_11comp_targetILNS1_3genE4ELNS1_11target_archE910ELNS1_3gpuE8ELNS1_3repE0EEENS1_36merge_oddeven_config_static_selectorELNS0_4arch9wavefront6targetE0EEEvSF_.has_indirect_call, 0
	.section	.AMDGPU.csdata,"",@progbits
; Kernel info:
; codeLenInByte = 0
; TotalNumSgprs: 0
; NumVgprs: 0
; ScratchSize: 0
; MemoryBound: 0
; FloatMode: 240
; IeeeMode: 1
; LDSByteSize: 0 bytes/workgroup (compile time only)
; SGPRBlocks: 0
; VGPRBlocks: 0
; NumSGPRsForWavesPerEU: 1
; NumVGPRsForWavesPerEU: 1
; NamedBarCnt: 0
; Occupancy: 16
; WaveLimiterHint : 0
; COMPUTE_PGM_RSRC2:SCRATCH_EN: 0
; COMPUTE_PGM_RSRC2:USER_SGPR: 2
; COMPUTE_PGM_RSRC2:TRAP_HANDLER: 0
; COMPUTE_PGM_RSRC2:TGID_X_EN: 1
; COMPUTE_PGM_RSRC2:TGID_Y_EN: 0
; COMPUTE_PGM_RSRC2:TGID_Z_EN: 0
; COMPUTE_PGM_RSRC2:TIDIG_COMP_CNT: 0
	.section	.text._ZN7rocprim17ROCPRIM_400000_NS6detail17trampoline_kernelINS0_14default_configENS1_38merge_sort_block_merge_config_selectorIsNS0_10empty_typeEEEZZNS1_27merge_sort_block_merge_implIS3_PsPS5_jNS1_19radix_merge_compareILb0ELb1EsNS0_19identity_decomposerEEEEE10hipError_tT0_T1_T2_jT3_P12ihipStream_tbPNSt15iterator_traitsISE_E10value_typeEPNSK_ISF_E10value_typeEPSG_NS1_7vsmem_tEENKUlT_SE_SF_SG_E_clIS8_S8_S9_S9_EESD_ST_SE_SF_SG_EUlST_E1_NS1_11comp_targetILNS1_3genE3ELNS1_11target_archE908ELNS1_3gpuE7ELNS1_3repE0EEENS1_36merge_oddeven_config_static_selectorELNS0_4arch9wavefront6targetE0EEEvSF_,"axG",@progbits,_ZN7rocprim17ROCPRIM_400000_NS6detail17trampoline_kernelINS0_14default_configENS1_38merge_sort_block_merge_config_selectorIsNS0_10empty_typeEEEZZNS1_27merge_sort_block_merge_implIS3_PsPS5_jNS1_19radix_merge_compareILb0ELb1EsNS0_19identity_decomposerEEEEE10hipError_tT0_T1_T2_jT3_P12ihipStream_tbPNSt15iterator_traitsISE_E10value_typeEPNSK_ISF_E10value_typeEPSG_NS1_7vsmem_tEENKUlT_SE_SF_SG_E_clIS8_S8_S9_S9_EESD_ST_SE_SF_SG_EUlST_E1_NS1_11comp_targetILNS1_3genE3ELNS1_11target_archE908ELNS1_3gpuE7ELNS1_3repE0EEENS1_36merge_oddeven_config_static_selectorELNS0_4arch9wavefront6targetE0EEEvSF_,comdat
	.protected	_ZN7rocprim17ROCPRIM_400000_NS6detail17trampoline_kernelINS0_14default_configENS1_38merge_sort_block_merge_config_selectorIsNS0_10empty_typeEEEZZNS1_27merge_sort_block_merge_implIS3_PsPS5_jNS1_19radix_merge_compareILb0ELb1EsNS0_19identity_decomposerEEEEE10hipError_tT0_T1_T2_jT3_P12ihipStream_tbPNSt15iterator_traitsISE_E10value_typeEPNSK_ISF_E10value_typeEPSG_NS1_7vsmem_tEENKUlT_SE_SF_SG_E_clIS8_S8_S9_S9_EESD_ST_SE_SF_SG_EUlST_E1_NS1_11comp_targetILNS1_3genE3ELNS1_11target_archE908ELNS1_3gpuE7ELNS1_3repE0EEENS1_36merge_oddeven_config_static_selectorELNS0_4arch9wavefront6targetE0EEEvSF_ ; -- Begin function _ZN7rocprim17ROCPRIM_400000_NS6detail17trampoline_kernelINS0_14default_configENS1_38merge_sort_block_merge_config_selectorIsNS0_10empty_typeEEEZZNS1_27merge_sort_block_merge_implIS3_PsPS5_jNS1_19radix_merge_compareILb0ELb1EsNS0_19identity_decomposerEEEEE10hipError_tT0_T1_T2_jT3_P12ihipStream_tbPNSt15iterator_traitsISE_E10value_typeEPNSK_ISF_E10value_typeEPSG_NS1_7vsmem_tEENKUlT_SE_SF_SG_E_clIS8_S8_S9_S9_EESD_ST_SE_SF_SG_EUlST_E1_NS1_11comp_targetILNS1_3genE3ELNS1_11target_archE908ELNS1_3gpuE7ELNS1_3repE0EEENS1_36merge_oddeven_config_static_selectorELNS0_4arch9wavefront6targetE0EEEvSF_
	.globl	_ZN7rocprim17ROCPRIM_400000_NS6detail17trampoline_kernelINS0_14default_configENS1_38merge_sort_block_merge_config_selectorIsNS0_10empty_typeEEEZZNS1_27merge_sort_block_merge_implIS3_PsPS5_jNS1_19radix_merge_compareILb0ELb1EsNS0_19identity_decomposerEEEEE10hipError_tT0_T1_T2_jT3_P12ihipStream_tbPNSt15iterator_traitsISE_E10value_typeEPNSK_ISF_E10value_typeEPSG_NS1_7vsmem_tEENKUlT_SE_SF_SG_E_clIS8_S8_S9_S9_EESD_ST_SE_SF_SG_EUlST_E1_NS1_11comp_targetILNS1_3genE3ELNS1_11target_archE908ELNS1_3gpuE7ELNS1_3repE0EEENS1_36merge_oddeven_config_static_selectorELNS0_4arch9wavefront6targetE0EEEvSF_
	.p2align	8
	.type	_ZN7rocprim17ROCPRIM_400000_NS6detail17trampoline_kernelINS0_14default_configENS1_38merge_sort_block_merge_config_selectorIsNS0_10empty_typeEEEZZNS1_27merge_sort_block_merge_implIS3_PsPS5_jNS1_19radix_merge_compareILb0ELb1EsNS0_19identity_decomposerEEEEE10hipError_tT0_T1_T2_jT3_P12ihipStream_tbPNSt15iterator_traitsISE_E10value_typeEPNSK_ISF_E10value_typeEPSG_NS1_7vsmem_tEENKUlT_SE_SF_SG_E_clIS8_S8_S9_S9_EESD_ST_SE_SF_SG_EUlST_E1_NS1_11comp_targetILNS1_3genE3ELNS1_11target_archE908ELNS1_3gpuE7ELNS1_3repE0EEENS1_36merge_oddeven_config_static_selectorELNS0_4arch9wavefront6targetE0EEEvSF_,@function
_ZN7rocprim17ROCPRIM_400000_NS6detail17trampoline_kernelINS0_14default_configENS1_38merge_sort_block_merge_config_selectorIsNS0_10empty_typeEEEZZNS1_27merge_sort_block_merge_implIS3_PsPS5_jNS1_19radix_merge_compareILb0ELb1EsNS0_19identity_decomposerEEEEE10hipError_tT0_T1_T2_jT3_P12ihipStream_tbPNSt15iterator_traitsISE_E10value_typeEPNSK_ISF_E10value_typeEPSG_NS1_7vsmem_tEENKUlT_SE_SF_SG_E_clIS8_S8_S9_S9_EESD_ST_SE_SF_SG_EUlST_E1_NS1_11comp_targetILNS1_3genE3ELNS1_11target_archE908ELNS1_3gpuE7ELNS1_3repE0EEENS1_36merge_oddeven_config_static_selectorELNS0_4arch9wavefront6targetE0EEEvSF_: ; @_ZN7rocprim17ROCPRIM_400000_NS6detail17trampoline_kernelINS0_14default_configENS1_38merge_sort_block_merge_config_selectorIsNS0_10empty_typeEEEZZNS1_27merge_sort_block_merge_implIS3_PsPS5_jNS1_19radix_merge_compareILb0ELb1EsNS0_19identity_decomposerEEEEE10hipError_tT0_T1_T2_jT3_P12ihipStream_tbPNSt15iterator_traitsISE_E10value_typeEPNSK_ISF_E10value_typeEPSG_NS1_7vsmem_tEENKUlT_SE_SF_SG_E_clIS8_S8_S9_S9_EESD_ST_SE_SF_SG_EUlST_E1_NS1_11comp_targetILNS1_3genE3ELNS1_11target_archE908ELNS1_3gpuE7ELNS1_3repE0EEENS1_36merge_oddeven_config_static_selectorELNS0_4arch9wavefront6targetE0EEEvSF_
; %bb.0:
	.section	.rodata,"a",@progbits
	.p2align	6, 0x0
	.amdhsa_kernel _ZN7rocprim17ROCPRIM_400000_NS6detail17trampoline_kernelINS0_14default_configENS1_38merge_sort_block_merge_config_selectorIsNS0_10empty_typeEEEZZNS1_27merge_sort_block_merge_implIS3_PsPS5_jNS1_19radix_merge_compareILb0ELb1EsNS0_19identity_decomposerEEEEE10hipError_tT0_T1_T2_jT3_P12ihipStream_tbPNSt15iterator_traitsISE_E10value_typeEPNSK_ISF_E10value_typeEPSG_NS1_7vsmem_tEENKUlT_SE_SF_SG_E_clIS8_S8_S9_S9_EESD_ST_SE_SF_SG_EUlST_E1_NS1_11comp_targetILNS1_3genE3ELNS1_11target_archE908ELNS1_3gpuE7ELNS1_3repE0EEENS1_36merge_oddeven_config_static_selectorELNS0_4arch9wavefront6targetE0EEEvSF_
		.amdhsa_group_segment_fixed_size 0
		.amdhsa_private_segment_fixed_size 0
		.amdhsa_kernarg_size 48
		.amdhsa_user_sgpr_count 2
		.amdhsa_user_sgpr_dispatch_ptr 0
		.amdhsa_user_sgpr_queue_ptr 0
		.amdhsa_user_sgpr_kernarg_segment_ptr 1
		.amdhsa_user_sgpr_dispatch_id 0
		.amdhsa_user_sgpr_kernarg_preload_length 0
		.amdhsa_user_sgpr_kernarg_preload_offset 0
		.amdhsa_user_sgpr_private_segment_size 0
		.amdhsa_wavefront_size32 1
		.amdhsa_uses_dynamic_stack 0
		.amdhsa_enable_private_segment 0
		.amdhsa_system_sgpr_workgroup_id_x 1
		.amdhsa_system_sgpr_workgroup_id_y 0
		.amdhsa_system_sgpr_workgroup_id_z 0
		.amdhsa_system_sgpr_workgroup_info 0
		.amdhsa_system_vgpr_workitem_id 0
		.amdhsa_next_free_vgpr 1
		.amdhsa_next_free_sgpr 1
		.amdhsa_named_barrier_count 0
		.amdhsa_reserve_vcc 0
		.amdhsa_float_round_mode_32 0
		.amdhsa_float_round_mode_16_64 0
		.amdhsa_float_denorm_mode_32 3
		.amdhsa_float_denorm_mode_16_64 3
		.amdhsa_fp16_overflow 0
		.amdhsa_memory_ordered 1
		.amdhsa_forward_progress 1
		.amdhsa_inst_pref_size 0
		.amdhsa_round_robin_scheduling 0
		.amdhsa_exception_fp_ieee_invalid_op 0
		.amdhsa_exception_fp_denorm_src 0
		.amdhsa_exception_fp_ieee_div_zero 0
		.amdhsa_exception_fp_ieee_overflow 0
		.amdhsa_exception_fp_ieee_underflow 0
		.amdhsa_exception_fp_ieee_inexact 0
		.amdhsa_exception_int_div_zero 0
	.end_amdhsa_kernel
	.section	.text._ZN7rocprim17ROCPRIM_400000_NS6detail17trampoline_kernelINS0_14default_configENS1_38merge_sort_block_merge_config_selectorIsNS0_10empty_typeEEEZZNS1_27merge_sort_block_merge_implIS3_PsPS5_jNS1_19radix_merge_compareILb0ELb1EsNS0_19identity_decomposerEEEEE10hipError_tT0_T1_T2_jT3_P12ihipStream_tbPNSt15iterator_traitsISE_E10value_typeEPNSK_ISF_E10value_typeEPSG_NS1_7vsmem_tEENKUlT_SE_SF_SG_E_clIS8_S8_S9_S9_EESD_ST_SE_SF_SG_EUlST_E1_NS1_11comp_targetILNS1_3genE3ELNS1_11target_archE908ELNS1_3gpuE7ELNS1_3repE0EEENS1_36merge_oddeven_config_static_selectorELNS0_4arch9wavefront6targetE0EEEvSF_,"axG",@progbits,_ZN7rocprim17ROCPRIM_400000_NS6detail17trampoline_kernelINS0_14default_configENS1_38merge_sort_block_merge_config_selectorIsNS0_10empty_typeEEEZZNS1_27merge_sort_block_merge_implIS3_PsPS5_jNS1_19radix_merge_compareILb0ELb1EsNS0_19identity_decomposerEEEEE10hipError_tT0_T1_T2_jT3_P12ihipStream_tbPNSt15iterator_traitsISE_E10value_typeEPNSK_ISF_E10value_typeEPSG_NS1_7vsmem_tEENKUlT_SE_SF_SG_E_clIS8_S8_S9_S9_EESD_ST_SE_SF_SG_EUlST_E1_NS1_11comp_targetILNS1_3genE3ELNS1_11target_archE908ELNS1_3gpuE7ELNS1_3repE0EEENS1_36merge_oddeven_config_static_selectorELNS0_4arch9wavefront6targetE0EEEvSF_,comdat
.Lfunc_end691:
	.size	_ZN7rocprim17ROCPRIM_400000_NS6detail17trampoline_kernelINS0_14default_configENS1_38merge_sort_block_merge_config_selectorIsNS0_10empty_typeEEEZZNS1_27merge_sort_block_merge_implIS3_PsPS5_jNS1_19radix_merge_compareILb0ELb1EsNS0_19identity_decomposerEEEEE10hipError_tT0_T1_T2_jT3_P12ihipStream_tbPNSt15iterator_traitsISE_E10value_typeEPNSK_ISF_E10value_typeEPSG_NS1_7vsmem_tEENKUlT_SE_SF_SG_E_clIS8_S8_S9_S9_EESD_ST_SE_SF_SG_EUlST_E1_NS1_11comp_targetILNS1_3genE3ELNS1_11target_archE908ELNS1_3gpuE7ELNS1_3repE0EEENS1_36merge_oddeven_config_static_selectorELNS0_4arch9wavefront6targetE0EEEvSF_, .Lfunc_end691-_ZN7rocprim17ROCPRIM_400000_NS6detail17trampoline_kernelINS0_14default_configENS1_38merge_sort_block_merge_config_selectorIsNS0_10empty_typeEEEZZNS1_27merge_sort_block_merge_implIS3_PsPS5_jNS1_19radix_merge_compareILb0ELb1EsNS0_19identity_decomposerEEEEE10hipError_tT0_T1_T2_jT3_P12ihipStream_tbPNSt15iterator_traitsISE_E10value_typeEPNSK_ISF_E10value_typeEPSG_NS1_7vsmem_tEENKUlT_SE_SF_SG_E_clIS8_S8_S9_S9_EESD_ST_SE_SF_SG_EUlST_E1_NS1_11comp_targetILNS1_3genE3ELNS1_11target_archE908ELNS1_3gpuE7ELNS1_3repE0EEENS1_36merge_oddeven_config_static_selectorELNS0_4arch9wavefront6targetE0EEEvSF_
                                        ; -- End function
	.set _ZN7rocprim17ROCPRIM_400000_NS6detail17trampoline_kernelINS0_14default_configENS1_38merge_sort_block_merge_config_selectorIsNS0_10empty_typeEEEZZNS1_27merge_sort_block_merge_implIS3_PsPS5_jNS1_19radix_merge_compareILb0ELb1EsNS0_19identity_decomposerEEEEE10hipError_tT0_T1_T2_jT3_P12ihipStream_tbPNSt15iterator_traitsISE_E10value_typeEPNSK_ISF_E10value_typeEPSG_NS1_7vsmem_tEENKUlT_SE_SF_SG_E_clIS8_S8_S9_S9_EESD_ST_SE_SF_SG_EUlST_E1_NS1_11comp_targetILNS1_3genE3ELNS1_11target_archE908ELNS1_3gpuE7ELNS1_3repE0EEENS1_36merge_oddeven_config_static_selectorELNS0_4arch9wavefront6targetE0EEEvSF_.num_vgpr, 0
	.set _ZN7rocprim17ROCPRIM_400000_NS6detail17trampoline_kernelINS0_14default_configENS1_38merge_sort_block_merge_config_selectorIsNS0_10empty_typeEEEZZNS1_27merge_sort_block_merge_implIS3_PsPS5_jNS1_19radix_merge_compareILb0ELb1EsNS0_19identity_decomposerEEEEE10hipError_tT0_T1_T2_jT3_P12ihipStream_tbPNSt15iterator_traitsISE_E10value_typeEPNSK_ISF_E10value_typeEPSG_NS1_7vsmem_tEENKUlT_SE_SF_SG_E_clIS8_S8_S9_S9_EESD_ST_SE_SF_SG_EUlST_E1_NS1_11comp_targetILNS1_3genE3ELNS1_11target_archE908ELNS1_3gpuE7ELNS1_3repE0EEENS1_36merge_oddeven_config_static_selectorELNS0_4arch9wavefront6targetE0EEEvSF_.num_agpr, 0
	.set _ZN7rocprim17ROCPRIM_400000_NS6detail17trampoline_kernelINS0_14default_configENS1_38merge_sort_block_merge_config_selectorIsNS0_10empty_typeEEEZZNS1_27merge_sort_block_merge_implIS3_PsPS5_jNS1_19radix_merge_compareILb0ELb1EsNS0_19identity_decomposerEEEEE10hipError_tT0_T1_T2_jT3_P12ihipStream_tbPNSt15iterator_traitsISE_E10value_typeEPNSK_ISF_E10value_typeEPSG_NS1_7vsmem_tEENKUlT_SE_SF_SG_E_clIS8_S8_S9_S9_EESD_ST_SE_SF_SG_EUlST_E1_NS1_11comp_targetILNS1_3genE3ELNS1_11target_archE908ELNS1_3gpuE7ELNS1_3repE0EEENS1_36merge_oddeven_config_static_selectorELNS0_4arch9wavefront6targetE0EEEvSF_.numbered_sgpr, 0
	.set _ZN7rocprim17ROCPRIM_400000_NS6detail17trampoline_kernelINS0_14default_configENS1_38merge_sort_block_merge_config_selectorIsNS0_10empty_typeEEEZZNS1_27merge_sort_block_merge_implIS3_PsPS5_jNS1_19radix_merge_compareILb0ELb1EsNS0_19identity_decomposerEEEEE10hipError_tT0_T1_T2_jT3_P12ihipStream_tbPNSt15iterator_traitsISE_E10value_typeEPNSK_ISF_E10value_typeEPSG_NS1_7vsmem_tEENKUlT_SE_SF_SG_E_clIS8_S8_S9_S9_EESD_ST_SE_SF_SG_EUlST_E1_NS1_11comp_targetILNS1_3genE3ELNS1_11target_archE908ELNS1_3gpuE7ELNS1_3repE0EEENS1_36merge_oddeven_config_static_selectorELNS0_4arch9wavefront6targetE0EEEvSF_.num_named_barrier, 0
	.set _ZN7rocprim17ROCPRIM_400000_NS6detail17trampoline_kernelINS0_14default_configENS1_38merge_sort_block_merge_config_selectorIsNS0_10empty_typeEEEZZNS1_27merge_sort_block_merge_implIS3_PsPS5_jNS1_19radix_merge_compareILb0ELb1EsNS0_19identity_decomposerEEEEE10hipError_tT0_T1_T2_jT3_P12ihipStream_tbPNSt15iterator_traitsISE_E10value_typeEPNSK_ISF_E10value_typeEPSG_NS1_7vsmem_tEENKUlT_SE_SF_SG_E_clIS8_S8_S9_S9_EESD_ST_SE_SF_SG_EUlST_E1_NS1_11comp_targetILNS1_3genE3ELNS1_11target_archE908ELNS1_3gpuE7ELNS1_3repE0EEENS1_36merge_oddeven_config_static_selectorELNS0_4arch9wavefront6targetE0EEEvSF_.private_seg_size, 0
	.set _ZN7rocprim17ROCPRIM_400000_NS6detail17trampoline_kernelINS0_14default_configENS1_38merge_sort_block_merge_config_selectorIsNS0_10empty_typeEEEZZNS1_27merge_sort_block_merge_implIS3_PsPS5_jNS1_19radix_merge_compareILb0ELb1EsNS0_19identity_decomposerEEEEE10hipError_tT0_T1_T2_jT3_P12ihipStream_tbPNSt15iterator_traitsISE_E10value_typeEPNSK_ISF_E10value_typeEPSG_NS1_7vsmem_tEENKUlT_SE_SF_SG_E_clIS8_S8_S9_S9_EESD_ST_SE_SF_SG_EUlST_E1_NS1_11comp_targetILNS1_3genE3ELNS1_11target_archE908ELNS1_3gpuE7ELNS1_3repE0EEENS1_36merge_oddeven_config_static_selectorELNS0_4arch9wavefront6targetE0EEEvSF_.uses_vcc, 0
	.set _ZN7rocprim17ROCPRIM_400000_NS6detail17trampoline_kernelINS0_14default_configENS1_38merge_sort_block_merge_config_selectorIsNS0_10empty_typeEEEZZNS1_27merge_sort_block_merge_implIS3_PsPS5_jNS1_19radix_merge_compareILb0ELb1EsNS0_19identity_decomposerEEEEE10hipError_tT0_T1_T2_jT3_P12ihipStream_tbPNSt15iterator_traitsISE_E10value_typeEPNSK_ISF_E10value_typeEPSG_NS1_7vsmem_tEENKUlT_SE_SF_SG_E_clIS8_S8_S9_S9_EESD_ST_SE_SF_SG_EUlST_E1_NS1_11comp_targetILNS1_3genE3ELNS1_11target_archE908ELNS1_3gpuE7ELNS1_3repE0EEENS1_36merge_oddeven_config_static_selectorELNS0_4arch9wavefront6targetE0EEEvSF_.uses_flat_scratch, 0
	.set _ZN7rocprim17ROCPRIM_400000_NS6detail17trampoline_kernelINS0_14default_configENS1_38merge_sort_block_merge_config_selectorIsNS0_10empty_typeEEEZZNS1_27merge_sort_block_merge_implIS3_PsPS5_jNS1_19radix_merge_compareILb0ELb1EsNS0_19identity_decomposerEEEEE10hipError_tT0_T1_T2_jT3_P12ihipStream_tbPNSt15iterator_traitsISE_E10value_typeEPNSK_ISF_E10value_typeEPSG_NS1_7vsmem_tEENKUlT_SE_SF_SG_E_clIS8_S8_S9_S9_EESD_ST_SE_SF_SG_EUlST_E1_NS1_11comp_targetILNS1_3genE3ELNS1_11target_archE908ELNS1_3gpuE7ELNS1_3repE0EEENS1_36merge_oddeven_config_static_selectorELNS0_4arch9wavefront6targetE0EEEvSF_.has_dyn_sized_stack, 0
	.set _ZN7rocprim17ROCPRIM_400000_NS6detail17trampoline_kernelINS0_14default_configENS1_38merge_sort_block_merge_config_selectorIsNS0_10empty_typeEEEZZNS1_27merge_sort_block_merge_implIS3_PsPS5_jNS1_19radix_merge_compareILb0ELb1EsNS0_19identity_decomposerEEEEE10hipError_tT0_T1_T2_jT3_P12ihipStream_tbPNSt15iterator_traitsISE_E10value_typeEPNSK_ISF_E10value_typeEPSG_NS1_7vsmem_tEENKUlT_SE_SF_SG_E_clIS8_S8_S9_S9_EESD_ST_SE_SF_SG_EUlST_E1_NS1_11comp_targetILNS1_3genE3ELNS1_11target_archE908ELNS1_3gpuE7ELNS1_3repE0EEENS1_36merge_oddeven_config_static_selectorELNS0_4arch9wavefront6targetE0EEEvSF_.has_recursion, 0
	.set _ZN7rocprim17ROCPRIM_400000_NS6detail17trampoline_kernelINS0_14default_configENS1_38merge_sort_block_merge_config_selectorIsNS0_10empty_typeEEEZZNS1_27merge_sort_block_merge_implIS3_PsPS5_jNS1_19radix_merge_compareILb0ELb1EsNS0_19identity_decomposerEEEEE10hipError_tT0_T1_T2_jT3_P12ihipStream_tbPNSt15iterator_traitsISE_E10value_typeEPNSK_ISF_E10value_typeEPSG_NS1_7vsmem_tEENKUlT_SE_SF_SG_E_clIS8_S8_S9_S9_EESD_ST_SE_SF_SG_EUlST_E1_NS1_11comp_targetILNS1_3genE3ELNS1_11target_archE908ELNS1_3gpuE7ELNS1_3repE0EEENS1_36merge_oddeven_config_static_selectorELNS0_4arch9wavefront6targetE0EEEvSF_.has_indirect_call, 0
	.section	.AMDGPU.csdata,"",@progbits
; Kernel info:
; codeLenInByte = 0
; TotalNumSgprs: 0
; NumVgprs: 0
; ScratchSize: 0
; MemoryBound: 0
; FloatMode: 240
; IeeeMode: 1
; LDSByteSize: 0 bytes/workgroup (compile time only)
; SGPRBlocks: 0
; VGPRBlocks: 0
; NumSGPRsForWavesPerEU: 1
; NumVGPRsForWavesPerEU: 1
; NamedBarCnt: 0
; Occupancy: 16
; WaveLimiterHint : 0
; COMPUTE_PGM_RSRC2:SCRATCH_EN: 0
; COMPUTE_PGM_RSRC2:USER_SGPR: 2
; COMPUTE_PGM_RSRC2:TRAP_HANDLER: 0
; COMPUTE_PGM_RSRC2:TGID_X_EN: 1
; COMPUTE_PGM_RSRC2:TGID_Y_EN: 0
; COMPUTE_PGM_RSRC2:TGID_Z_EN: 0
; COMPUTE_PGM_RSRC2:TIDIG_COMP_CNT: 0
	.section	.text._ZN7rocprim17ROCPRIM_400000_NS6detail17trampoline_kernelINS0_14default_configENS1_38merge_sort_block_merge_config_selectorIsNS0_10empty_typeEEEZZNS1_27merge_sort_block_merge_implIS3_PsPS5_jNS1_19radix_merge_compareILb0ELb1EsNS0_19identity_decomposerEEEEE10hipError_tT0_T1_T2_jT3_P12ihipStream_tbPNSt15iterator_traitsISE_E10value_typeEPNSK_ISF_E10value_typeEPSG_NS1_7vsmem_tEENKUlT_SE_SF_SG_E_clIS8_S8_S9_S9_EESD_ST_SE_SF_SG_EUlST_E1_NS1_11comp_targetILNS1_3genE2ELNS1_11target_archE906ELNS1_3gpuE6ELNS1_3repE0EEENS1_36merge_oddeven_config_static_selectorELNS0_4arch9wavefront6targetE0EEEvSF_,"axG",@progbits,_ZN7rocprim17ROCPRIM_400000_NS6detail17trampoline_kernelINS0_14default_configENS1_38merge_sort_block_merge_config_selectorIsNS0_10empty_typeEEEZZNS1_27merge_sort_block_merge_implIS3_PsPS5_jNS1_19radix_merge_compareILb0ELb1EsNS0_19identity_decomposerEEEEE10hipError_tT0_T1_T2_jT3_P12ihipStream_tbPNSt15iterator_traitsISE_E10value_typeEPNSK_ISF_E10value_typeEPSG_NS1_7vsmem_tEENKUlT_SE_SF_SG_E_clIS8_S8_S9_S9_EESD_ST_SE_SF_SG_EUlST_E1_NS1_11comp_targetILNS1_3genE2ELNS1_11target_archE906ELNS1_3gpuE6ELNS1_3repE0EEENS1_36merge_oddeven_config_static_selectorELNS0_4arch9wavefront6targetE0EEEvSF_,comdat
	.protected	_ZN7rocprim17ROCPRIM_400000_NS6detail17trampoline_kernelINS0_14default_configENS1_38merge_sort_block_merge_config_selectorIsNS0_10empty_typeEEEZZNS1_27merge_sort_block_merge_implIS3_PsPS5_jNS1_19radix_merge_compareILb0ELb1EsNS0_19identity_decomposerEEEEE10hipError_tT0_T1_T2_jT3_P12ihipStream_tbPNSt15iterator_traitsISE_E10value_typeEPNSK_ISF_E10value_typeEPSG_NS1_7vsmem_tEENKUlT_SE_SF_SG_E_clIS8_S8_S9_S9_EESD_ST_SE_SF_SG_EUlST_E1_NS1_11comp_targetILNS1_3genE2ELNS1_11target_archE906ELNS1_3gpuE6ELNS1_3repE0EEENS1_36merge_oddeven_config_static_selectorELNS0_4arch9wavefront6targetE0EEEvSF_ ; -- Begin function _ZN7rocprim17ROCPRIM_400000_NS6detail17trampoline_kernelINS0_14default_configENS1_38merge_sort_block_merge_config_selectorIsNS0_10empty_typeEEEZZNS1_27merge_sort_block_merge_implIS3_PsPS5_jNS1_19radix_merge_compareILb0ELb1EsNS0_19identity_decomposerEEEEE10hipError_tT0_T1_T2_jT3_P12ihipStream_tbPNSt15iterator_traitsISE_E10value_typeEPNSK_ISF_E10value_typeEPSG_NS1_7vsmem_tEENKUlT_SE_SF_SG_E_clIS8_S8_S9_S9_EESD_ST_SE_SF_SG_EUlST_E1_NS1_11comp_targetILNS1_3genE2ELNS1_11target_archE906ELNS1_3gpuE6ELNS1_3repE0EEENS1_36merge_oddeven_config_static_selectorELNS0_4arch9wavefront6targetE0EEEvSF_
	.globl	_ZN7rocprim17ROCPRIM_400000_NS6detail17trampoline_kernelINS0_14default_configENS1_38merge_sort_block_merge_config_selectorIsNS0_10empty_typeEEEZZNS1_27merge_sort_block_merge_implIS3_PsPS5_jNS1_19radix_merge_compareILb0ELb1EsNS0_19identity_decomposerEEEEE10hipError_tT0_T1_T2_jT3_P12ihipStream_tbPNSt15iterator_traitsISE_E10value_typeEPNSK_ISF_E10value_typeEPSG_NS1_7vsmem_tEENKUlT_SE_SF_SG_E_clIS8_S8_S9_S9_EESD_ST_SE_SF_SG_EUlST_E1_NS1_11comp_targetILNS1_3genE2ELNS1_11target_archE906ELNS1_3gpuE6ELNS1_3repE0EEENS1_36merge_oddeven_config_static_selectorELNS0_4arch9wavefront6targetE0EEEvSF_
	.p2align	8
	.type	_ZN7rocprim17ROCPRIM_400000_NS6detail17trampoline_kernelINS0_14default_configENS1_38merge_sort_block_merge_config_selectorIsNS0_10empty_typeEEEZZNS1_27merge_sort_block_merge_implIS3_PsPS5_jNS1_19radix_merge_compareILb0ELb1EsNS0_19identity_decomposerEEEEE10hipError_tT0_T1_T2_jT3_P12ihipStream_tbPNSt15iterator_traitsISE_E10value_typeEPNSK_ISF_E10value_typeEPSG_NS1_7vsmem_tEENKUlT_SE_SF_SG_E_clIS8_S8_S9_S9_EESD_ST_SE_SF_SG_EUlST_E1_NS1_11comp_targetILNS1_3genE2ELNS1_11target_archE906ELNS1_3gpuE6ELNS1_3repE0EEENS1_36merge_oddeven_config_static_selectorELNS0_4arch9wavefront6targetE0EEEvSF_,@function
_ZN7rocprim17ROCPRIM_400000_NS6detail17trampoline_kernelINS0_14default_configENS1_38merge_sort_block_merge_config_selectorIsNS0_10empty_typeEEEZZNS1_27merge_sort_block_merge_implIS3_PsPS5_jNS1_19radix_merge_compareILb0ELb1EsNS0_19identity_decomposerEEEEE10hipError_tT0_T1_T2_jT3_P12ihipStream_tbPNSt15iterator_traitsISE_E10value_typeEPNSK_ISF_E10value_typeEPSG_NS1_7vsmem_tEENKUlT_SE_SF_SG_E_clIS8_S8_S9_S9_EESD_ST_SE_SF_SG_EUlST_E1_NS1_11comp_targetILNS1_3genE2ELNS1_11target_archE906ELNS1_3gpuE6ELNS1_3repE0EEENS1_36merge_oddeven_config_static_selectorELNS0_4arch9wavefront6targetE0EEEvSF_: ; @_ZN7rocprim17ROCPRIM_400000_NS6detail17trampoline_kernelINS0_14default_configENS1_38merge_sort_block_merge_config_selectorIsNS0_10empty_typeEEEZZNS1_27merge_sort_block_merge_implIS3_PsPS5_jNS1_19radix_merge_compareILb0ELb1EsNS0_19identity_decomposerEEEEE10hipError_tT0_T1_T2_jT3_P12ihipStream_tbPNSt15iterator_traitsISE_E10value_typeEPNSK_ISF_E10value_typeEPSG_NS1_7vsmem_tEENKUlT_SE_SF_SG_E_clIS8_S8_S9_S9_EESD_ST_SE_SF_SG_EUlST_E1_NS1_11comp_targetILNS1_3genE2ELNS1_11target_archE906ELNS1_3gpuE6ELNS1_3repE0EEENS1_36merge_oddeven_config_static_selectorELNS0_4arch9wavefront6targetE0EEEvSF_
; %bb.0:
	.section	.rodata,"a",@progbits
	.p2align	6, 0x0
	.amdhsa_kernel _ZN7rocprim17ROCPRIM_400000_NS6detail17trampoline_kernelINS0_14default_configENS1_38merge_sort_block_merge_config_selectorIsNS0_10empty_typeEEEZZNS1_27merge_sort_block_merge_implIS3_PsPS5_jNS1_19radix_merge_compareILb0ELb1EsNS0_19identity_decomposerEEEEE10hipError_tT0_T1_T2_jT3_P12ihipStream_tbPNSt15iterator_traitsISE_E10value_typeEPNSK_ISF_E10value_typeEPSG_NS1_7vsmem_tEENKUlT_SE_SF_SG_E_clIS8_S8_S9_S9_EESD_ST_SE_SF_SG_EUlST_E1_NS1_11comp_targetILNS1_3genE2ELNS1_11target_archE906ELNS1_3gpuE6ELNS1_3repE0EEENS1_36merge_oddeven_config_static_selectorELNS0_4arch9wavefront6targetE0EEEvSF_
		.amdhsa_group_segment_fixed_size 0
		.amdhsa_private_segment_fixed_size 0
		.amdhsa_kernarg_size 48
		.amdhsa_user_sgpr_count 2
		.amdhsa_user_sgpr_dispatch_ptr 0
		.amdhsa_user_sgpr_queue_ptr 0
		.amdhsa_user_sgpr_kernarg_segment_ptr 1
		.amdhsa_user_sgpr_dispatch_id 0
		.amdhsa_user_sgpr_kernarg_preload_length 0
		.amdhsa_user_sgpr_kernarg_preload_offset 0
		.amdhsa_user_sgpr_private_segment_size 0
		.amdhsa_wavefront_size32 1
		.amdhsa_uses_dynamic_stack 0
		.amdhsa_enable_private_segment 0
		.amdhsa_system_sgpr_workgroup_id_x 1
		.amdhsa_system_sgpr_workgroup_id_y 0
		.amdhsa_system_sgpr_workgroup_id_z 0
		.amdhsa_system_sgpr_workgroup_info 0
		.amdhsa_system_vgpr_workitem_id 0
		.amdhsa_next_free_vgpr 1
		.amdhsa_next_free_sgpr 1
		.amdhsa_named_barrier_count 0
		.amdhsa_reserve_vcc 0
		.amdhsa_float_round_mode_32 0
		.amdhsa_float_round_mode_16_64 0
		.amdhsa_float_denorm_mode_32 3
		.amdhsa_float_denorm_mode_16_64 3
		.amdhsa_fp16_overflow 0
		.amdhsa_memory_ordered 1
		.amdhsa_forward_progress 1
		.amdhsa_inst_pref_size 0
		.amdhsa_round_robin_scheduling 0
		.amdhsa_exception_fp_ieee_invalid_op 0
		.amdhsa_exception_fp_denorm_src 0
		.amdhsa_exception_fp_ieee_div_zero 0
		.amdhsa_exception_fp_ieee_overflow 0
		.amdhsa_exception_fp_ieee_underflow 0
		.amdhsa_exception_fp_ieee_inexact 0
		.amdhsa_exception_int_div_zero 0
	.end_amdhsa_kernel
	.section	.text._ZN7rocprim17ROCPRIM_400000_NS6detail17trampoline_kernelINS0_14default_configENS1_38merge_sort_block_merge_config_selectorIsNS0_10empty_typeEEEZZNS1_27merge_sort_block_merge_implIS3_PsPS5_jNS1_19radix_merge_compareILb0ELb1EsNS0_19identity_decomposerEEEEE10hipError_tT0_T1_T2_jT3_P12ihipStream_tbPNSt15iterator_traitsISE_E10value_typeEPNSK_ISF_E10value_typeEPSG_NS1_7vsmem_tEENKUlT_SE_SF_SG_E_clIS8_S8_S9_S9_EESD_ST_SE_SF_SG_EUlST_E1_NS1_11comp_targetILNS1_3genE2ELNS1_11target_archE906ELNS1_3gpuE6ELNS1_3repE0EEENS1_36merge_oddeven_config_static_selectorELNS0_4arch9wavefront6targetE0EEEvSF_,"axG",@progbits,_ZN7rocprim17ROCPRIM_400000_NS6detail17trampoline_kernelINS0_14default_configENS1_38merge_sort_block_merge_config_selectorIsNS0_10empty_typeEEEZZNS1_27merge_sort_block_merge_implIS3_PsPS5_jNS1_19radix_merge_compareILb0ELb1EsNS0_19identity_decomposerEEEEE10hipError_tT0_T1_T2_jT3_P12ihipStream_tbPNSt15iterator_traitsISE_E10value_typeEPNSK_ISF_E10value_typeEPSG_NS1_7vsmem_tEENKUlT_SE_SF_SG_E_clIS8_S8_S9_S9_EESD_ST_SE_SF_SG_EUlST_E1_NS1_11comp_targetILNS1_3genE2ELNS1_11target_archE906ELNS1_3gpuE6ELNS1_3repE0EEENS1_36merge_oddeven_config_static_selectorELNS0_4arch9wavefront6targetE0EEEvSF_,comdat
.Lfunc_end692:
	.size	_ZN7rocprim17ROCPRIM_400000_NS6detail17trampoline_kernelINS0_14default_configENS1_38merge_sort_block_merge_config_selectorIsNS0_10empty_typeEEEZZNS1_27merge_sort_block_merge_implIS3_PsPS5_jNS1_19radix_merge_compareILb0ELb1EsNS0_19identity_decomposerEEEEE10hipError_tT0_T1_T2_jT3_P12ihipStream_tbPNSt15iterator_traitsISE_E10value_typeEPNSK_ISF_E10value_typeEPSG_NS1_7vsmem_tEENKUlT_SE_SF_SG_E_clIS8_S8_S9_S9_EESD_ST_SE_SF_SG_EUlST_E1_NS1_11comp_targetILNS1_3genE2ELNS1_11target_archE906ELNS1_3gpuE6ELNS1_3repE0EEENS1_36merge_oddeven_config_static_selectorELNS0_4arch9wavefront6targetE0EEEvSF_, .Lfunc_end692-_ZN7rocprim17ROCPRIM_400000_NS6detail17trampoline_kernelINS0_14default_configENS1_38merge_sort_block_merge_config_selectorIsNS0_10empty_typeEEEZZNS1_27merge_sort_block_merge_implIS3_PsPS5_jNS1_19radix_merge_compareILb0ELb1EsNS0_19identity_decomposerEEEEE10hipError_tT0_T1_T2_jT3_P12ihipStream_tbPNSt15iterator_traitsISE_E10value_typeEPNSK_ISF_E10value_typeEPSG_NS1_7vsmem_tEENKUlT_SE_SF_SG_E_clIS8_S8_S9_S9_EESD_ST_SE_SF_SG_EUlST_E1_NS1_11comp_targetILNS1_3genE2ELNS1_11target_archE906ELNS1_3gpuE6ELNS1_3repE0EEENS1_36merge_oddeven_config_static_selectorELNS0_4arch9wavefront6targetE0EEEvSF_
                                        ; -- End function
	.set _ZN7rocprim17ROCPRIM_400000_NS6detail17trampoline_kernelINS0_14default_configENS1_38merge_sort_block_merge_config_selectorIsNS0_10empty_typeEEEZZNS1_27merge_sort_block_merge_implIS3_PsPS5_jNS1_19radix_merge_compareILb0ELb1EsNS0_19identity_decomposerEEEEE10hipError_tT0_T1_T2_jT3_P12ihipStream_tbPNSt15iterator_traitsISE_E10value_typeEPNSK_ISF_E10value_typeEPSG_NS1_7vsmem_tEENKUlT_SE_SF_SG_E_clIS8_S8_S9_S9_EESD_ST_SE_SF_SG_EUlST_E1_NS1_11comp_targetILNS1_3genE2ELNS1_11target_archE906ELNS1_3gpuE6ELNS1_3repE0EEENS1_36merge_oddeven_config_static_selectorELNS0_4arch9wavefront6targetE0EEEvSF_.num_vgpr, 0
	.set _ZN7rocprim17ROCPRIM_400000_NS6detail17trampoline_kernelINS0_14default_configENS1_38merge_sort_block_merge_config_selectorIsNS0_10empty_typeEEEZZNS1_27merge_sort_block_merge_implIS3_PsPS5_jNS1_19radix_merge_compareILb0ELb1EsNS0_19identity_decomposerEEEEE10hipError_tT0_T1_T2_jT3_P12ihipStream_tbPNSt15iterator_traitsISE_E10value_typeEPNSK_ISF_E10value_typeEPSG_NS1_7vsmem_tEENKUlT_SE_SF_SG_E_clIS8_S8_S9_S9_EESD_ST_SE_SF_SG_EUlST_E1_NS1_11comp_targetILNS1_3genE2ELNS1_11target_archE906ELNS1_3gpuE6ELNS1_3repE0EEENS1_36merge_oddeven_config_static_selectorELNS0_4arch9wavefront6targetE0EEEvSF_.num_agpr, 0
	.set _ZN7rocprim17ROCPRIM_400000_NS6detail17trampoline_kernelINS0_14default_configENS1_38merge_sort_block_merge_config_selectorIsNS0_10empty_typeEEEZZNS1_27merge_sort_block_merge_implIS3_PsPS5_jNS1_19radix_merge_compareILb0ELb1EsNS0_19identity_decomposerEEEEE10hipError_tT0_T1_T2_jT3_P12ihipStream_tbPNSt15iterator_traitsISE_E10value_typeEPNSK_ISF_E10value_typeEPSG_NS1_7vsmem_tEENKUlT_SE_SF_SG_E_clIS8_S8_S9_S9_EESD_ST_SE_SF_SG_EUlST_E1_NS1_11comp_targetILNS1_3genE2ELNS1_11target_archE906ELNS1_3gpuE6ELNS1_3repE0EEENS1_36merge_oddeven_config_static_selectorELNS0_4arch9wavefront6targetE0EEEvSF_.numbered_sgpr, 0
	.set _ZN7rocprim17ROCPRIM_400000_NS6detail17trampoline_kernelINS0_14default_configENS1_38merge_sort_block_merge_config_selectorIsNS0_10empty_typeEEEZZNS1_27merge_sort_block_merge_implIS3_PsPS5_jNS1_19radix_merge_compareILb0ELb1EsNS0_19identity_decomposerEEEEE10hipError_tT0_T1_T2_jT3_P12ihipStream_tbPNSt15iterator_traitsISE_E10value_typeEPNSK_ISF_E10value_typeEPSG_NS1_7vsmem_tEENKUlT_SE_SF_SG_E_clIS8_S8_S9_S9_EESD_ST_SE_SF_SG_EUlST_E1_NS1_11comp_targetILNS1_3genE2ELNS1_11target_archE906ELNS1_3gpuE6ELNS1_3repE0EEENS1_36merge_oddeven_config_static_selectorELNS0_4arch9wavefront6targetE0EEEvSF_.num_named_barrier, 0
	.set _ZN7rocprim17ROCPRIM_400000_NS6detail17trampoline_kernelINS0_14default_configENS1_38merge_sort_block_merge_config_selectorIsNS0_10empty_typeEEEZZNS1_27merge_sort_block_merge_implIS3_PsPS5_jNS1_19radix_merge_compareILb0ELb1EsNS0_19identity_decomposerEEEEE10hipError_tT0_T1_T2_jT3_P12ihipStream_tbPNSt15iterator_traitsISE_E10value_typeEPNSK_ISF_E10value_typeEPSG_NS1_7vsmem_tEENKUlT_SE_SF_SG_E_clIS8_S8_S9_S9_EESD_ST_SE_SF_SG_EUlST_E1_NS1_11comp_targetILNS1_3genE2ELNS1_11target_archE906ELNS1_3gpuE6ELNS1_3repE0EEENS1_36merge_oddeven_config_static_selectorELNS0_4arch9wavefront6targetE0EEEvSF_.private_seg_size, 0
	.set _ZN7rocprim17ROCPRIM_400000_NS6detail17trampoline_kernelINS0_14default_configENS1_38merge_sort_block_merge_config_selectorIsNS0_10empty_typeEEEZZNS1_27merge_sort_block_merge_implIS3_PsPS5_jNS1_19radix_merge_compareILb0ELb1EsNS0_19identity_decomposerEEEEE10hipError_tT0_T1_T2_jT3_P12ihipStream_tbPNSt15iterator_traitsISE_E10value_typeEPNSK_ISF_E10value_typeEPSG_NS1_7vsmem_tEENKUlT_SE_SF_SG_E_clIS8_S8_S9_S9_EESD_ST_SE_SF_SG_EUlST_E1_NS1_11comp_targetILNS1_3genE2ELNS1_11target_archE906ELNS1_3gpuE6ELNS1_3repE0EEENS1_36merge_oddeven_config_static_selectorELNS0_4arch9wavefront6targetE0EEEvSF_.uses_vcc, 0
	.set _ZN7rocprim17ROCPRIM_400000_NS6detail17trampoline_kernelINS0_14default_configENS1_38merge_sort_block_merge_config_selectorIsNS0_10empty_typeEEEZZNS1_27merge_sort_block_merge_implIS3_PsPS5_jNS1_19radix_merge_compareILb0ELb1EsNS0_19identity_decomposerEEEEE10hipError_tT0_T1_T2_jT3_P12ihipStream_tbPNSt15iterator_traitsISE_E10value_typeEPNSK_ISF_E10value_typeEPSG_NS1_7vsmem_tEENKUlT_SE_SF_SG_E_clIS8_S8_S9_S9_EESD_ST_SE_SF_SG_EUlST_E1_NS1_11comp_targetILNS1_3genE2ELNS1_11target_archE906ELNS1_3gpuE6ELNS1_3repE0EEENS1_36merge_oddeven_config_static_selectorELNS0_4arch9wavefront6targetE0EEEvSF_.uses_flat_scratch, 0
	.set _ZN7rocprim17ROCPRIM_400000_NS6detail17trampoline_kernelINS0_14default_configENS1_38merge_sort_block_merge_config_selectorIsNS0_10empty_typeEEEZZNS1_27merge_sort_block_merge_implIS3_PsPS5_jNS1_19radix_merge_compareILb0ELb1EsNS0_19identity_decomposerEEEEE10hipError_tT0_T1_T2_jT3_P12ihipStream_tbPNSt15iterator_traitsISE_E10value_typeEPNSK_ISF_E10value_typeEPSG_NS1_7vsmem_tEENKUlT_SE_SF_SG_E_clIS8_S8_S9_S9_EESD_ST_SE_SF_SG_EUlST_E1_NS1_11comp_targetILNS1_3genE2ELNS1_11target_archE906ELNS1_3gpuE6ELNS1_3repE0EEENS1_36merge_oddeven_config_static_selectorELNS0_4arch9wavefront6targetE0EEEvSF_.has_dyn_sized_stack, 0
	.set _ZN7rocprim17ROCPRIM_400000_NS6detail17trampoline_kernelINS0_14default_configENS1_38merge_sort_block_merge_config_selectorIsNS0_10empty_typeEEEZZNS1_27merge_sort_block_merge_implIS3_PsPS5_jNS1_19radix_merge_compareILb0ELb1EsNS0_19identity_decomposerEEEEE10hipError_tT0_T1_T2_jT3_P12ihipStream_tbPNSt15iterator_traitsISE_E10value_typeEPNSK_ISF_E10value_typeEPSG_NS1_7vsmem_tEENKUlT_SE_SF_SG_E_clIS8_S8_S9_S9_EESD_ST_SE_SF_SG_EUlST_E1_NS1_11comp_targetILNS1_3genE2ELNS1_11target_archE906ELNS1_3gpuE6ELNS1_3repE0EEENS1_36merge_oddeven_config_static_selectorELNS0_4arch9wavefront6targetE0EEEvSF_.has_recursion, 0
	.set _ZN7rocprim17ROCPRIM_400000_NS6detail17trampoline_kernelINS0_14default_configENS1_38merge_sort_block_merge_config_selectorIsNS0_10empty_typeEEEZZNS1_27merge_sort_block_merge_implIS3_PsPS5_jNS1_19radix_merge_compareILb0ELb1EsNS0_19identity_decomposerEEEEE10hipError_tT0_T1_T2_jT3_P12ihipStream_tbPNSt15iterator_traitsISE_E10value_typeEPNSK_ISF_E10value_typeEPSG_NS1_7vsmem_tEENKUlT_SE_SF_SG_E_clIS8_S8_S9_S9_EESD_ST_SE_SF_SG_EUlST_E1_NS1_11comp_targetILNS1_3genE2ELNS1_11target_archE906ELNS1_3gpuE6ELNS1_3repE0EEENS1_36merge_oddeven_config_static_selectorELNS0_4arch9wavefront6targetE0EEEvSF_.has_indirect_call, 0
	.section	.AMDGPU.csdata,"",@progbits
; Kernel info:
; codeLenInByte = 0
; TotalNumSgprs: 0
; NumVgprs: 0
; ScratchSize: 0
; MemoryBound: 0
; FloatMode: 240
; IeeeMode: 1
; LDSByteSize: 0 bytes/workgroup (compile time only)
; SGPRBlocks: 0
; VGPRBlocks: 0
; NumSGPRsForWavesPerEU: 1
; NumVGPRsForWavesPerEU: 1
; NamedBarCnt: 0
; Occupancy: 16
; WaveLimiterHint : 0
; COMPUTE_PGM_RSRC2:SCRATCH_EN: 0
; COMPUTE_PGM_RSRC2:USER_SGPR: 2
; COMPUTE_PGM_RSRC2:TRAP_HANDLER: 0
; COMPUTE_PGM_RSRC2:TGID_X_EN: 1
; COMPUTE_PGM_RSRC2:TGID_Y_EN: 0
; COMPUTE_PGM_RSRC2:TGID_Z_EN: 0
; COMPUTE_PGM_RSRC2:TIDIG_COMP_CNT: 0
	.section	.text._ZN7rocprim17ROCPRIM_400000_NS6detail17trampoline_kernelINS0_14default_configENS1_38merge_sort_block_merge_config_selectorIsNS0_10empty_typeEEEZZNS1_27merge_sort_block_merge_implIS3_PsPS5_jNS1_19radix_merge_compareILb0ELb1EsNS0_19identity_decomposerEEEEE10hipError_tT0_T1_T2_jT3_P12ihipStream_tbPNSt15iterator_traitsISE_E10value_typeEPNSK_ISF_E10value_typeEPSG_NS1_7vsmem_tEENKUlT_SE_SF_SG_E_clIS8_S8_S9_S9_EESD_ST_SE_SF_SG_EUlST_E1_NS1_11comp_targetILNS1_3genE9ELNS1_11target_archE1100ELNS1_3gpuE3ELNS1_3repE0EEENS1_36merge_oddeven_config_static_selectorELNS0_4arch9wavefront6targetE0EEEvSF_,"axG",@progbits,_ZN7rocprim17ROCPRIM_400000_NS6detail17trampoline_kernelINS0_14default_configENS1_38merge_sort_block_merge_config_selectorIsNS0_10empty_typeEEEZZNS1_27merge_sort_block_merge_implIS3_PsPS5_jNS1_19radix_merge_compareILb0ELb1EsNS0_19identity_decomposerEEEEE10hipError_tT0_T1_T2_jT3_P12ihipStream_tbPNSt15iterator_traitsISE_E10value_typeEPNSK_ISF_E10value_typeEPSG_NS1_7vsmem_tEENKUlT_SE_SF_SG_E_clIS8_S8_S9_S9_EESD_ST_SE_SF_SG_EUlST_E1_NS1_11comp_targetILNS1_3genE9ELNS1_11target_archE1100ELNS1_3gpuE3ELNS1_3repE0EEENS1_36merge_oddeven_config_static_selectorELNS0_4arch9wavefront6targetE0EEEvSF_,comdat
	.protected	_ZN7rocprim17ROCPRIM_400000_NS6detail17trampoline_kernelINS0_14default_configENS1_38merge_sort_block_merge_config_selectorIsNS0_10empty_typeEEEZZNS1_27merge_sort_block_merge_implIS3_PsPS5_jNS1_19radix_merge_compareILb0ELb1EsNS0_19identity_decomposerEEEEE10hipError_tT0_T1_T2_jT3_P12ihipStream_tbPNSt15iterator_traitsISE_E10value_typeEPNSK_ISF_E10value_typeEPSG_NS1_7vsmem_tEENKUlT_SE_SF_SG_E_clIS8_S8_S9_S9_EESD_ST_SE_SF_SG_EUlST_E1_NS1_11comp_targetILNS1_3genE9ELNS1_11target_archE1100ELNS1_3gpuE3ELNS1_3repE0EEENS1_36merge_oddeven_config_static_selectorELNS0_4arch9wavefront6targetE0EEEvSF_ ; -- Begin function _ZN7rocprim17ROCPRIM_400000_NS6detail17trampoline_kernelINS0_14default_configENS1_38merge_sort_block_merge_config_selectorIsNS0_10empty_typeEEEZZNS1_27merge_sort_block_merge_implIS3_PsPS5_jNS1_19radix_merge_compareILb0ELb1EsNS0_19identity_decomposerEEEEE10hipError_tT0_T1_T2_jT3_P12ihipStream_tbPNSt15iterator_traitsISE_E10value_typeEPNSK_ISF_E10value_typeEPSG_NS1_7vsmem_tEENKUlT_SE_SF_SG_E_clIS8_S8_S9_S9_EESD_ST_SE_SF_SG_EUlST_E1_NS1_11comp_targetILNS1_3genE9ELNS1_11target_archE1100ELNS1_3gpuE3ELNS1_3repE0EEENS1_36merge_oddeven_config_static_selectorELNS0_4arch9wavefront6targetE0EEEvSF_
	.globl	_ZN7rocprim17ROCPRIM_400000_NS6detail17trampoline_kernelINS0_14default_configENS1_38merge_sort_block_merge_config_selectorIsNS0_10empty_typeEEEZZNS1_27merge_sort_block_merge_implIS3_PsPS5_jNS1_19radix_merge_compareILb0ELb1EsNS0_19identity_decomposerEEEEE10hipError_tT0_T1_T2_jT3_P12ihipStream_tbPNSt15iterator_traitsISE_E10value_typeEPNSK_ISF_E10value_typeEPSG_NS1_7vsmem_tEENKUlT_SE_SF_SG_E_clIS8_S8_S9_S9_EESD_ST_SE_SF_SG_EUlST_E1_NS1_11comp_targetILNS1_3genE9ELNS1_11target_archE1100ELNS1_3gpuE3ELNS1_3repE0EEENS1_36merge_oddeven_config_static_selectorELNS0_4arch9wavefront6targetE0EEEvSF_
	.p2align	8
	.type	_ZN7rocprim17ROCPRIM_400000_NS6detail17trampoline_kernelINS0_14default_configENS1_38merge_sort_block_merge_config_selectorIsNS0_10empty_typeEEEZZNS1_27merge_sort_block_merge_implIS3_PsPS5_jNS1_19radix_merge_compareILb0ELb1EsNS0_19identity_decomposerEEEEE10hipError_tT0_T1_T2_jT3_P12ihipStream_tbPNSt15iterator_traitsISE_E10value_typeEPNSK_ISF_E10value_typeEPSG_NS1_7vsmem_tEENKUlT_SE_SF_SG_E_clIS8_S8_S9_S9_EESD_ST_SE_SF_SG_EUlST_E1_NS1_11comp_targetILNS1_3genE9ELNS1_11target_archE1100ELNS1_3gpuE3ELNS1_3repE0EEENS1_36merge_oddeven_config_static_selectorELNS0_4arch9wavefront6targetE0EEEvSF_,@function
_ZN7rocprim17ROCPRIM_400000_NS6detail17trampoline_kernelINS0_14default_configENS1_38merge_sort_block_merge_config_selectorIsNS0_10empty_typeEEEZZNS1_27merge_sort_block_merge_implIS3_PsPS5_jNS1_19radix_merge_compareILb0ELb1EsNS0_19identity_decomposerEEEEE10hipError_tT0_T1_T2_jT3_P12ihipStream_tbPNSt15iterator_traitsISE_E10value_typeEPNSK_ISF_E10value_typeEPSG_NS1_7vsmem_tEENKUlT_SE_SF_SG_E_clIS8_S8_S9_S9_EESD_ST_SE_SF_SG_EUlST_E1_NS1_11comp_targetILNS1_3genE9ELNS1_11target_archE1100ELNS1_3gpuE3ELNS1_3repE0EEENS1_36merge_oddeven_config_static_selectorELNS0_4arch9wavefront6targetE0EEEvSF_: ; @_ZN7rocprim17ROCPRIM_400000_NS6detail17trampoline_kernelINS0_14default_configENS1_38merge_sort_block_merge_config_selectorIsNS0_10empty_typeEEEZZNS1_27merge_sort_block_merge_implIS3_PsPS5_jNS1_19radix_merge_compareILb0ELb1EsNS0_19identity_decomposerEEEEE10hipError_tT0_T1_T2_jT3_P12ihipStream_tbPNSt15iterator_traitsISE_E10value_typeEPNSK_ISF_E10value_typeEPSG_NS1_7vsmem_tEENKUlT_SE_SF_SG_E_clIS8_S8_S9_S9_EESD_ST_SE_SF_SG_EUlST_E1_NS1_11comp_targetILNS1_3genE9ELNS1_11target_archE1100ELNS1_3gpuE3ELNS1_3repE0EEENS1_36merge_oddeven_config_static_selectorELNS0_4arch9wavefront6targetE0EEEvSF_
; %bb.0:
	.section	.rodata,"a",@progbits
	.p2align	6, 0x0
	.amdhsa_kernel _ZN7rocprim17ROCPRIM_400000_NS6detail17trampoline_kernelINS0_14default_configENS1_38merge_sort_block_merge_config_selectorIsNS0_10empty_typeEEEZZNS1_27merge_sort_block_merge_implIS3_PsPS5_jNS1_19radix_merge_compareILb0ELb1EsNS0_19identity_decomposerEEEEE10hipError_tT0_T1_T2_jT3_P12ihipStream_tbPNSt15iterator_traitsISE_E10value_typeEPNSK_ISF_E10value_typeEPSG_NS1_7vsmem_tEENKUlT_SE_SF_SG_E_clIS8_S8_S9_S9_EESD_ST_SE_SF_SG_EUlST_E1_NS1_11comp_targetILNS1_3genE9ELNS1_11target_archE1100ELNS1_3gpuE3ELNS1_3repE0EEENS1_36merge_oddeven_config_static_selectorELNS0_4arch9wavefront6targetE0EEEvSF_
		.amdhsa_group_segment_fixed_size 0
		.amdhsa_private_segment_fixed_size 0
		.amdhsa_kernarg_size 48
		.amdhsa_user_sgpr_count 2
		.amdhsa_user_sgpr_dispatch_ptr 0
		.amdhsa_user_sgpr_queue_ptr 0
		.amdhsa_user_sgpr_kernarg_segment_ptr 1
		.amdhsa_user_sgpr_dispatch_id 0
		.amdhsa_user_sgpr_kernarg_preload_length 0
		.amdhsa_user_sgpr_kernarg_preload_offset 0
		.amdhsa_user_sgpr_private_segment_size 0
		.amdhsa_wavefront_size32 1
		.amdhsa_uses_dynamic_stack 0
		.amdhsa_enable_private_segment 0
		.amdhsa_system_sgpr_workgroup_id_x 1
		.amdhsa_system_sgpr_workgroup_id_y 0
		.amdhsa_system_sgpr_workgroup_id_z 0
		.amdhsa_system_sgpr_workgroup_info 0
		.amdhsa_system_vgpr_workitem_id 0
		.amdhsa_next_free_vgpr 1
		.amdhsa_next_free_sgpr 1
		.amdhsa_named_barrier_count 0
		.amdhsa_reserve_vcc 0
		.amdhsa_float_round_mode_32 0
		.amdhsa_float_round_mode_16_64 0
		.amdhsa_float_denorm_mode_32 3
		.amdhsa_float_denorm_mode_16_64 3
		.amdhsa_fp16_overflow 0
		.amdhsa_memory_ordered 1
		.amdhsa_forward_progress 1
		.amdhsa_inst_pref_size 0
		.amdhsa_round_robin_scheduling 0
		.amdhsa_exception_fp_ieee_invalid_op 0
		.amdhsa_exception_fp_denorm_src 0
		.amdhsa_exception_fp_ieee_div_zero 0
		.amdhsa_exception_fp_ieee_overflow 0
		.amdhsa_exception_fp_ieee_underflow 0
		.amdhsa_exception_fp_ieee_inexact 0
		.amdhsa_exception_int_div_zero 0
	.end_amdhsa_kernel
	.section	.text._ZN7rocprim17ROCPRIM_400000_NS6detail17trampoline_kernelINS0_14default_configENS1_38merge_sort_block_merge_config_selectorIsNS0_10empty_typeEEEZZNS1_27merge_sort_block_merge_implIS3_PsPS5_jNS1_19radix_merge_compareILb0ELb1EsNS0_19identity_decomposerEEEEE10hipError_tT0_T1_T2_jT3_P12ihipStream_tbPNSt15iterator_traitsISE_E10value_typeEPNSK_ISF_E10value_typeEPSG_NS1_7vsmem_tEENKUlT_SE_SF_SG_E_clIS8_S8_S9_S9_EESD_ST_SE_SF_SG_EUlST_E1_NS1_11comp_targetILNS1_3genE9ELNS1_11target_archE1100ELNS1_3gpuE3ELNS1_3repE0EEENS1_36merge_oddeven_config_static_selectorELNS0_4arch9wavefront6targetE0EEEvSF_,"axG",@progbits,_ZN7rocprim17ROCPRIM_400000_NS6detail17trampoline_kernelINS0_14default_configENS1_38merge_sort_block_merge_config_selectorIsNS0_10empty_typeEEEZZNS1_27merge_sort_block_merge_implIS3_PsPS5_jNS1_19radix_merge_compareILb0ELb1EsNS0_19identity_decomposerEEEEE10hipError_tT0_T1_T2_jT3_P12ihipStream_tbPNSt15iterator_traitsISE_E10value_typeEPNSK_ISF_E10value_typeEPSG_NS1_7vsmem_tEENKUlT_SE_SF_SG_E_clIS8_S8_S9_S9_EESD_ST_SE_SF_SG_EUlST_E1_NS1_11comp_targetILNS1_3genE9ELNS1_11target_archE1100ELNS1_3gpuE3ELNS1_3repE0EEENS1_36merge_oddeven_config_static_selectorELNS0_4arch9wavefront6targetE0EEEvSF_,comdat
.Lfunc_end693:
	.size	_ZN7rocprim17ROCPRIM_400000_NS6detail17trampoline_kernelINS0_14default_configENS1_38merge_sort_block_merge_config_selectorIsNS0_10empty_typeEEEZZNS1_27merge_sort_block_merge_implIS3_PsPS5_jNS1_19radix_merge_compareILb0ELb1EsNS0_19identity_decomposerEEEEE10hipError_tT0_T1_T2_jT3_P12ihipStream_tbPNSt15iterator_traitsISE_E10value_typeEPNSK_ISF_E10value_typeEPSG_NS1_7vsmem_tEENKUlT_SE_SF_SG_E_clIS8_S8_S9_S9_EESD_ST_SE_SF_SG_EUlST_E1_NS1_11comp_targetILNS1_3genE9ELNS1_11target_archE1100ELNS1_3gpuE3ELNS1_3repE0EEENS1_36merge_oddeven_config_static_selectorELNS0_4arch9wavefront6targetE0EEEvSF_, .Lfunc_end693-_ZN7rocprim17ROCPRIM_400000_NS6detail17trampoline_kernelINS0_14default_configENS1_38merge_sort_block_merge_config_selectorIsNS0_10empty_typeEEEZZNS1_27merge_sort_block_merge_implIS3_PsPS5_jNS1_19radix_merge_compareILb0ELb1EsNS0_19identity_decomposerEEEEE10hipError_tT0_T1_T2_jT3_P12ihipStream_tbPNSt15iterator_traitsISE_E10value_typeEPNSK_ISF_E10value_typeEPSG_NS1_7vsmem_tEENKUlT_SE_SF_SG_E_clIS8_S8_S9_S9_EESD_ST_SE_SF_SG_EUlST_E1_NS1_11comp_targetILNS1_3genE9ELNS1_11target_archE1100ELNS1_3gpuE3ELNS1_3repE0EEENS1_36merge_oddeven_config_static_selectorELNS0_4arch9wavefront6targetE0EEEvSF_
                                        ; -- End function
	.set _ZN7rocprim17ROCPRIM_400000_NS6detail17trampoline_kernelINS0_14default_configENS1_38merge_sort_block_merge_config_selectorIsNS0_10empty_typeEEEZZNS1_27merge_sort_block_merge_implIS3_PsPS5_jNS1_19radix_merge_compareILb0ELb1EsNS0_19identity_decomposerEEEEE10hipError_tT0_T1_T2_jT3_P12ihipStream_tbPNSt15iterator_traitsISE_E10value_typeEPNSK_ISF_E10value_typeEPSG_NS1_7vsmem_tEENKUlT_SE_SF_SG_E_clIS8_S8_S9_S9_EESD_ST_SE_SF_SG_EUlST_E1_NS1_11comp_targetILNS1_3genE9ELNS1_11target_archE1100ELNS1_3gpuE3ELNS1_3repE0EEENS1_36merge_oddeven_config_static_selectorELNS0_4arch9wavefront6targetE0EEEvSF_.num_vgpr, 0
	.set _ZN7rocprim17ROCPRIM_400000_NS6detail17trampoline_kernelINS0_14default_configENS1_38merge_sort_block_merge_config_selectorIsNS0_10empty_typeEEEZZNS1_27merge_sort_block_merge_implIS3_PsPS5_jNS1_19radix_merge_compareILb0ELb1EsNS0_19identity_decomposerEEEEE10hipError_tT0_T1_T2_jT3_P12ihipStream_tbPNSt15iterator_traitsISE_E10value_typeEPNSK_ISF_E10value_typeEPSG_NS1_7vsmem_tEENKUlT_SE_SF_SG_E_clIS8_S8_S9_S9_EESD_ST_SE_SF_SG_EUlST_E1_NS1_11comp_targetILNS1_3genE9ELNS1_11target_archE1100ELNS1_3gpuE3ELNS1_3repE0EEENS1_36merge_oddeven_config_static_selectorELNS0_4arch9wavefront6targetE0EEEvSF_.num_agpr, 0
	.set _ZN7rocprim17ROCPRIM_400000_NS6detail17trampoline_kernelINS0_14default_configENS1_38merge_sort_block_merge_config_selectorIsNS0_10empty_typeEEEZZNS1_27merge_sort_block_merge_implIS3_PsPS5_jNS1_19radix_merge_compareILb0ELb1EsNS0_19identity_decomposerEEEEE10hipError_tT0_T1_T2_jT3_P12ihipStream_tbPNSt15iterator_traitsISE_E10value_typeEPNSK_ISF_E10value_typeEPSG_NS1_7vsmem_tEENKUlT_SE_SF_SG_E_clIS8_S8_S9_S9_EESD_ST_SE_SF_SG_EUlST_E1_NS1_11comp_targetILNS1_3genE9ELNS1_11target_archE1100ELNS1_3gpuE3ELNS1_3repE0EEENS1_36merge_oddeven_config_static_selectorELNS0_4arch9wavefront6targetE0EEEvSF_.numbered_sgpr, 0
	.set _ZN7rocprim17ROCPRIM_400000_NS6detail17trampoline_kernelINS0_14default_configENS1_38merge_sort_block_merge_config_selectorIsNS0_10empty_typeEEEZZNS1_27merge_sort_block_merge_implIS3_PsPS5_jNS1_19radix_merge_compareILb0ELb1EsNS0_19identity_decomposerEEEEE10hipError_tT0_T1_T2_jT3_P12ihipStream_tbPNSt15iterator_traitsISE_E10value_typeEPNSK_ISF_E10value_typeEPSG_NS1_7vsmem_tEENKUlT_SE_SF_SG_E_clIS8_S8_S9_S9_EESD_ST_SE_SF_SG_EUlST_E1_NS1_11comp_targetILNS1_3genE9ELNS1_11target_archE1100ELNS1_3gpuE3ELNS1_3repE0EEENS1_36merge_oddeven_config_static_selectorELNS0_4arch9wavefront6targetE0EEEvSF_.num_named_barrier, 0
	.set _ZN7rocprim17ROCPRIM_400000_NS6detail17trampoline_kernelINS0_14default_configENS1_38merge_sort_block_merge_config_selectorIsNS0_10empty_typeEEEZZNS1_27merge_sort_block_merge_implIS3_PsPS5_jNS1_19radix_merge_compareILb0ELb1EsNS0_19identity_decomposerEEEEE10hipError_tT0_T1_T2_jT3_P12ihipStream_tbPNSt15iterator_traitsISE_E10value_typeEPNSK_ISF_E10value_typeEPSG_NS1_7vsmem_tEENKUlT_SE_SF_SG_E_clIS8_S8_S9_S9_EESD_ST_SE_SF_SG_EUlST_E1_NS1_11comp_targetILNS1_3genE9ELNS1_11target_archE1100ELNS1_3gpuE3ELNS1_3repE0EEENS1_36merge_oddeven_config_static_selectorELNS0_4arch9wavefront6targetE0EEEvSF_.private_seg_size, 0
	.set _ZN7rocprim17ROCPRIM_400000_NS6detail17trampoline_kernelINS0_14default_configENS1_38merge_sort_block_merge_config_selectorIsNS0_10empty_typeEEEZZNS1_27merge_sort_block_merge_implIS3_PsPS5_jNS1_19radix_merge_compareILb0ELb1EsNS0_19identity_decomposerEEEEE10hipError_tT0_T1_T2_jT3_P12ihipStream_tbPNSt15iterator_traitsISE_E10value_typeEPNSK_ISF_E10value_typeEPSG_NS1_7vsmem_tEENKUlT_SE_SF_SG_E_clIS8_S8_S9_S9_EESD_ST_SE_SF_SG_EUlST_E1_NS1_11comp_targetILNS1_3genE9ELNS1_11target_archE1100ELNS1_3gpuE3ELNS1_3repE0EEENS1_36merge_oddeven_config_static_selectorELNS0_4arch9wavefront6targetE0EEEvSF_.uses_vcc, 0
	.set _ZN7rocprim17ROCPRIM_400000_NS6detail17trampoline_kernelINS0_14default_configENS1_38merge_sort_block_merge_config_selectorIsNS0_10empty_typeEEEZZNS1_27merge_sort_block_merge_implIS3_PsPS5_jNS1_19radix_merge_compareILb0ELb1EsNS0_19identity_decomposerEEEEE10hipError_tT0_T1_T2_jT3_P12ihipStream_tbPNSt15iterator_traitsISE_E10value_typeEPNSK_ISF_E10value_typeEPSG_NS1_7vsmem_tEENKUlT_SE_SF_SG_E_clIS8_S8_S9_S9_EESD_ST_SE_SF_SG_EUlST_E1_NS1_11comp_targetILNS1_3genE9ELNS1_11target_archE1100ELNS1_3gpuE3ELNS1_3repE0EEENS1_36merge_oddeven_config_static_selectorELNS0_4arch9wavefront6targetE0EEEvSF_.uses_flat_scratch, 0
	.set _ZN7rocprim17ROCPRIM_400000_NS6detail17trampoline_kernelINS0_14default_configENS1_38merge_sort_block_merge_config_selectorIsNS0_10empty_typeEEEZZNS1_27merge_sort_block_merge_implIS3_PsPS5_jNS1_19radix_merge_compareILb0ELb1EsNS0_19identity_decomposerEEEEE10hipError_tT0_T1_T2_jT3_P12ihipStream_tbPNSt15iterator_traitsISE_E10value_typeEPNSK_ISF_E10value_typeEPSG_NS1_7vsmem_tEENKUlT_SE_SF_SG_E_clIS8_S8_S9_S9_EESD_ST_SE_SF_SG_EUlST_E1_NS1_11comp_targetILNS1_3genE9ELNS1_11target_archE1100ELNS1_3gpuE3ELNS1_3repE0EEENS1_36merge_oddeven_config_static_selectorELNS0_4arch9wavefront6targetE0EEEvSF_.has_dyn_sized_stack, 0
	.set _ZN7rocprim17ROCPRIM_400000_NS6detail17trampoline_kernelINS0_14default_configENS1_38merge_sort_block_merge_config_selectorIsNS0_10empty_typeEEEZZNS1_27merge_sort_block_merge_implIS3_PsPS5_jNS1_19radix_merge_compareILb0ELb1EsNS0_19identity_decomposerEEEEE10hipError_tT0_T1_T2_jT3_P12ihipStream_tbPNSt15iterator_traitsISE_E10value_typeEPNSK_ISF_E10value_typeEPSG_NS1_7vsmem_tEENKUlT_SE_SF_SG_E_clIS8_S8_S9_S9_EESD_ST_SE_SF_SG_EUlST_E1_NS1_11comp_targetILNS1_3genE9ELNS1_11target_archE1100ELNS1_3gpuE3ELNS1_3repE0EEENS1_36merge_oddeven_config_static_selectorELNS0_4arch9wavefront6targetE0EEEvSF_.has_recursion, 0
	.set _ZN7rocprim17ROCPRIM_400000_NS6detail17trampoline_kernelINS0_14default_configENS1_38merge_sort_block_merge_config_selectorIsNS0_10empty_typeEEEZZNS1_27merge_sort_block_merge_implIS3_PsPS5_jNS1_19radix_merge_compareILb0ELb1EsNS0_19identity_decomposerEEEEE10hipError_tT0_T1_T2_jT3_P12ihipStream_tbPNSt15iterator_traitsISE_E10value_typeEPNSK_ISF_E10value_typeEPSG_NS1_7vsmem_tEENKUlT_SE_SF_SG_E_clIS8_S8_S9_S9_EESD_ST_SE_SF_SG_EUlST_E1_NS1_11comp_targetILNS1_3genE9ELNS1_11target_archE1100ELNS1_3gpuE3ELNS1_3repE0EEENS1_36merge_oddeven_config_static_selectorELNS0_4arch9wavefront6targetE0EEEvSF_.has_indirect_call, 0
	.section	.AMDGPU.csdata,"",@progbits
; Kernel info:
; codeLenInByte = 0
; TotalNumSgprs: 0
; NumVgprs: 0
; ScratchSize: 0
; MemoryBound: 0
; FloatMode: 240
; IeeeMode: 1
; LDSByteSize: 0 bytes/workgroup (compile time only)
; SGPRBlocks: 0
; VGPRBlocks: 0
; NumSGPRsForWavesPerEU: 1
; NumVGPRsForWavesPerEU: 1
; NamedBarCnt: 0
; Occupancy: 16
; WaveLimiterHint : 0
; COMPUTE_PGM_RSRC2:SCRATCH_EN: 0
; COMPUTE_PGM_RSRC2:USER_SGPR: 2
; COMPUTE_PGM_RSRC2:TRAP_HANDLER: 0
; COMPUTE_PGM_RSRC2:TGID_X_EN: 1
; COMPUTE_PGM_RSRC2:TGID_Y_EN: 0
; COMPUTE_PGM_RSRC2:TGID_Z_EN: 0
; COMPUTE_PGM_RSRC2:TIDIG_COMP_CNT: 0
	.section	.text._ZN7rocprim17ROCPRIM_400000_NS6detail17trampoline_kernelINS0_14default_configENS1_38merge_sort_block_merge_config_selectorIsNS0_10empty_typeEEEZZNS1_27merge_sort_block_merge_implIS3_PsPS5_jNS1_19radix_merge_compareILb0ELb1EsNS0_19identity_decomposerEEEEE10hipError_tT0_T1_T2_jT3_P12ihipStream_tbPNSt15iterator_traitsISE_E10value_typeEPNSK_ISF_E10value_typeEPSG_NS1_7vsmem_tEENKUlT_SE_SF_SG_E_clIS8_S8_S9_S9_EESD_ST_SE_SF_SG_EUlST_E1_NS1_11comp_targetILNS1_3genE8ELNS1_11target_archE1030ELNS1_3gpuE2ELNS1_3repE0EEENS1_36merge_oddeven_config_static_selectorELNS0_4arch9wavefront6targetE0EEEvSF_,"axG",@progbits,_ZN7rocprim17ROCPRIM_400000_NS6detail17trampoline_kernelINS0_14default_configENS1_38merge_sort_block_merge_config_selectorIsNS0_10empty_typeEEEZZNS1_27merge_sort_block_merge_implIS3_PsPS5_jNS1_19radix_merge_compareILb0ELb1EsNS0_19identity_decomposerEEEEE10hipError_tT0_T1_T2_jT3_P12ihipStream_tbPNSt15iterator_traitsISE_E10value_typeEPNSK_ISF_E10value_typeEPSG_NS1_7vsmem_tEENKUlT_SE_SF_SG_E_clIS8_S8_S9_S9_EESD_ST_SE_SF_SG_EUlST_E1_NS1_11comp_targetILNS1_3genE8ELNS1_11target_archE1030ELNS1_3gpuE2ELNS1_3repE0EEENS1_36merge_oddeven_config_static_selectorELNS0_4arch9wavefront6targetE0EEEvSF_,comdat
	.protected	_ZN7rocprim17ROCPRIM_400000_NS6detail17trampoline_kernelINS0_14default_configENS1_38merge_sort_block_merge_config_selectorIsNS0_10empty_typeEEEZZNS1_27merge_sort_block_merge_implIS3_PsPS5_jNS1_19radix_merge_compareILb0ELb1EsNS0_19identity_decomposerEEEEE10hipError_tT0_T1_T2_jT3_P12ihipStream_tbPNSt15iterator_traitsISE_E10value_typeEPNSK_ISF_E10value_typeEPSG_NS1_7vsmem_tEENKUlT_SE_SF_SG_E_clIS8_S8_S9_S9_EESD_ST_SE_SF_SG_EUlST_E1_NS1_11comp_targetILNS1_3genE8ELNS1_11target_archE1030ELNS1_3gpuE2ELNS1_3repE0EEENS1_36merge_oddeven_config_static_selectorELNS0_4arch9wavefront6targetE0EEEvSF_ ; -- Begin function _ZN7rocprim17ROCPRIM_400000_NS6detail17trampoline_kernelINS0_14default_configENS1_38merge_sort_block_merge_config_selectorIsNS0_10empty_typeEEEZZNS1_27merge_sort_block_merge_implIS3_PsPS5_jNS1_19radix_merge_compareILb0ELb1EsNS0_19identity_decomposerEEEEE10hipError_tT0_T1_T2_jT3_P12ihipStream_tbPNSt15iterator_traitsISE_E10value_typeEPNSK_ISF_E10value_typeEPSG_NS1_7vsmem_tEENKUlT_SE_SF_SG_E_clIS8_S8_S9_S9_EESD_ST_SE_SF_SG_EUlST_E1_NS1_11comp_targetILNS1_3genE8ELNS1_11target_archE1030ELNS1_3gpuE2ELNS1_3repE0EEENS1_36merge_oddeven_config_static_selectorELNS0_4arch9wavefront6targetE0EEEvSF_
	.globl	_ZN7rocprim17ROCPRIM_400000_NS6detail17trampoline_kernelINS0_14default_configENS1_38merge_sort_block_merge_config_selectorIsNS0_10empty_typeEEEZZNS1_27merge_sort_block_merge_implIS3_PsPS5_jNS1_19radix_merge_compareILb0ELb1EsNS0_19identity_decomposerEEEEE10hipError_tT0_T1_T2_jT3_P12ihipStream_tbPNSt15iterator_traitsISE_E10value_typeEPNSK_ISF_E10value_typeEPSG_NS1_7vsmem_tEENKUlT_SE_SF_SG_E_clIS8_S8_S9_S9_EESD_ST_SE_SF_SG_EUlST_E1_NS1_11comp_targetILNS1_3genE8ELNS1_11target_archE1030ELNS1_3gpuE2ELNS1_3repE0EEENS1_36merge_oddeven_config_static_selectorELNS0_4arch9wavefront6targetE0EEEvSF_
	.p2align	8
	.type	_ZN7rocprim17ROCPRIM_400000_NS6detail17trampoline_kernelINS0_14default_configENS1_38merge_sort_block_merge_config_selectorIsNS0_10empty_typeEEEZZNS1_27merge_sort_block_merge_implIS3_PsPS5_jNS1_19radix_merge_compareILb0ELb1EsNS0_19identity_decomposerEEEEE10hipError_tT0_T1_T2_jT3_P12ihipStream_tbPNSt15iterator_traitsISE_E10value_typeEPNSK_ISF_E10value_typeEPSG_NS1_7vsmem_tEENKUlT_SE_SF_SG_E_clIS8_S8_S9_S9_EESD_ST_SE_SF_SG_EUlST_E1_NS1_11comp_targetILNS1_3genE8ELNS1_11target_archE1030ELNS1_3gpuE2ELNS1_3repE0EEENS1_36merge_oddeven_config_static_selectorELNS0_4arch9wavefront6targetE0EEEvSF_,@function
_ZN7rocprim17ROCPRIM_400000_NS6detail17trampoline_kernelINS0_14default_configENS1_38merge_sort_block_merge_config_selectorIsNS0_10empty_typeEEEZZNS1_27merge_sort_block_merge_implIS3_PsPS5_jNS1_19radix_merge_compareILb0ELb1EsNS0_19identity_decomposerEEEEE10hipError_tT0_T1_T2_jT3_P12ihipStream_tbPNSt15iterator_traitsISE_E10value_typeEPNSK_ISF_E10value_typeEPSG_NS1_7vsmem_tEENKUlT_SE_SF_SG_E_clIS8_S8_S9_S9_EESD_ST_SE_SF_SG_EUlST_E1_NS1_11comp_targetILNS1_3genE8ELNS1_11target_archE1030ELNS1_3gpuE2ELNS1_3repE0EEENS1_36merge_oddeven_config_static_selectorELNS0_4arch9wavefront6targetE0EEEvSF_: ; @_ZN7rocprim17ROCPRIM_400000_NS6detail17trampoline_kernelINS0_14default_configENS1_38merge_sort_block_merge_config_selectorIsNS0_10empty_typeEEEZZNS1_27merge_sort_block_merge_implIS3_PsPS5_jNS1_19radix_merge_compareILb0ELb1EsNS0_19identity_decomposerEEEEE10hipError_tT0_T1_T2_jT3_P12ihipStream_tbPNSt15iterator_traitsISE_E10value_typeEPNSK_ISF_E10value_typeEPSG_NS1_7vsmem_tEENKUlT_SE_SF_SG_E_clIS8_S8_S9_S9_EESD_ST_SE_SF_SG_EUlST_E1_NS1_11comp_targetILNS1_3genE8ELNS1_11target_archE1030ELNS1_3gpuE2ELNS1_3repE0EEENS1_36merge_oddeven_config_static_selectorELNS0_4arch9wavefront6targetE0EEEvSF_
; %bb.0:
	.section	.rodata,"a",@progbits
	.p2align	6, 0x0
	.amdhsa_kernel _ZN7rocprim17ROCPRIM_400000_NS6detail17trampoline_kernelINS0_14default_configENS1_38merge_sort_block_merge_config_selectorIsNS0_10empty_typeEEEZZNS1_27merge_sort_block_merge_implIS3_PsPS5_jNS1_19radix_merge_compareILb0ELb1EsNS0_19identity_decomposerEEEEE10hipError_tT0_T1_T2_jT3_P12ihipStream_tbPNSt15iterator_traitsISE_E10value_typeEPNSK_ISF_E10value_typeEPSG_NS1_7vsmem_tEENKUlT_SE_SF_SG_E_clIS8_S8_S9_S9_EESD_ST_SE_SF_SG_EUlST_E1_NS1_11comp_targetILNS1_3genE8ELNS1_11target_archE1030ELNS1_3gpuE2ELNS1_3repE0EEENS1_36merge_oddeven_config_static_selectorELNS0_4arch9wavefront6targetE0EEEvSF_
		.amdhsa_group_segment_fixed_size 0
		.amdhsa_private_segment_fixed_size 0
		.amdhsa_kernarg_size 48
		.amdhsa_user_sgpr_count 2
		.amdhsa_user_sgpr_dispatch_ptr 0
		.amdhsa_user_sgpr_queue_ptr 0
		.amdhsa_user_sgpr_kernarg_segment_ptr 1
		.amdhsa_user_sgpr_dispatch_id 0
		.amdhsa_user_sgpr_kernarg_preload_length 0
		.amdhsa_user_sgpr_kernarg_preload_offset 0
		.amdhsa_user_sgpr_private_segment_size 0
		.amdhsa_wavefront_size32 1
		.amdhsa_uses_dynamic_stack 0
		.amdhsa_enable_private_segment 0
		.amdhsa_system_sgpr_workgroup_id_x 1
		.amdhsa_system_sgpr_workgroup_id_y 0
		.amdhsa_system_sgpr_workgroup_id_z 0
		.amdhsa_system_sgpr_workgroup_info 0
		.amdhsa_system_vgpr_workitem_id 0
		.amdhsa_next_free_vgpr 1
		.amdhsa_next_free_sgpr 1
		.amdhsa_named_barrier_count 0
		.amdhsa_reserve_vcc 0
		.amdhsa_float_round_mode_32 0
		.amdhsa_float_round_mode_16_64 0
		.amdhsa_float_denorm_mode_32 3
		.amdhsa_float_denorm_mode_16_64 3
		.amdhsa_fp16_overflow 0
		.amdhsa_memory_ordered 1
		.amdhsa_forward_progress 1
		.amdhsa_inst_pref_size 0
		.amdhsa_round_robin_scheduling 0
		.amdhsa_exception_fp_ieee_invalid_op 0
		.amdhsa_exception_fp_denorm_src 0
		.amdhsa_exception_fp_ieee_div_zero 0
		.amdhsa_exception_fp_ieee_overflow 0
		.amdhsa_exception_fp_ieee_underflow 0
		.amdhsa_exception_fp_ieee_inexact 0
		.amdhsa_exception_int_div_zero 0
	.end_amdhsa_kernel
	.section	.text._ZN7rocprim17ROCPRIM_400000_NS6detail17trampoline_kernelINS0_14default_configENS1_38merge_sort_block_merge_config_selectorIsNS0_10empty_typeEEEZZNS1_27merge_sort_block_merge_implIS3_PsPS5_jNS1_19radix_merge_compareILb0ELb1EsNS0_19identity_decomposerEEEEE10hipError_tT0_T1_T2_jT3_P12ihipStream_tbPNSt15iterator_traitsISE_E10value_typeEPNSK_ISF_E10value_typeEPSG_NS1_7vsmem_tEENKUlT_SE_SF_SG_E_clIS8_S8_S9_S9_EESD_ST_SE_SF_SG_EUlST_E1_NS1_11comp_targetILNS1_3genE8ELNS1_11target_archE1030ELNS1_3gpuE2ELNS1_3repE0EEENS1_36merge_oddeven_config_static_selectorELNS0_4arch9wavefront6targetE0EEEvSF_,"axG",@progbits,_ZN7rocprim17ROCPRIM_400000_NS6detail17trampoline_kernelINS0_14default_configENS1_38merge_sort_block_merge_config_selectorIsNS0_10empty_typeEEEZZNS1_27merge_sort_block_merge_implIS3_PsPS5_jNS1_19radix_merge_compareILb0ELb1EsNS0_19identity_decomposerEEEEE10hipError_tT0_T1_T2_jT3_P12ihipStream_tbPNSt15iterator_traitsISE_E10value_typeEPNSK_ISF_E10value_typeEPSG_NS1_7vsmem_tEENKUlT_SE_SF_SG_E_clIS8_S8_S9_S9_EESD_ST_SE_SF_SG_EUlST_E1_NS1_11comp_targetILNS1_3genE8ELNS1_11target_archE1030ELNS1_3gpuE2ELNS1_3repE0EEENS1_36merge_oddeven_config_static_selectorELNS0_4arch9wavefront6targetE0EEEvSF_,comdat
.Lfunc_end694:
	.size	_ZN7rocprim17ROCPRIM_400000_NS6detail17trampoline_kernelINS0_14default_configENS1_38merge_sort_block_merge_config_selectorIsNS0_10empty_typeEEEZZNS1_27merge_sort_block_merge_implIS3_PsPS5_jNS1_19radix_merge_compareILb0ELb1EsNS0_19identity_decomposerEEEEE10hipError_tT0_T1_T2_jT3_P12ihipStream_tbPNSt15iterator_traitsISE_E10value_typeEPNSK_ISF_E10value_typeEPSG_NS1_7vsmem_tEENKUlT_SE_SF_SG_E_clIS8_S8_S9_S9_EESD_ST_SE_SF_SG_EUlST_E1_NS1_11comp_targetILNS1_3genE8ELNS1_11target_archE1030ELNS1_3gpuE2ELNS1_3repE0EEENS1_36merge_oddeven_config_static_selectorELNS0_4arch9wavefront6targetE0EEEvSF_, .Lfunc_end694-_ZN7rocprim17ROCPRIM_400000_NS6detail17trampoline_kernelINS0_14default_configENS1_38merge_sort_block_merge_config_selectorIsNS0_10empty_typeEEEZZNS1_27merge_sort_block_merge_implIS3_PsPS5_jNS1_19radix_merge_compareILb0ELb1EsNS0_19identity_decomposerEEEEE10hipError_tT0_T1_T2_jT3_P12ihipStream_tbPNSt15iterator_traitsISE_E10value_typeEPNSK_ISF_E10value_typeEPSG_NS1_7vsmem_tEENKUlT_SE_SF_SG_E_clIS8_S8_S9_S9_EESD_ST_SE_SF_SG_EUlST_E1_NS1_11comp_targetILNS1_3genE8ELNS1_11target_archE1030ELNS1_3gpuE2ELNS1_3repE0EEENS1_36merge_oddeven_config_static_selectorELNS0_4arch9wavefront6targetE0EEEvSF_
                                        ; -- End function
	.set _ZN7rocprim17ROCPRIM_400000_NS6detail17trampoline_kernelINS0_14default_configENS1_38merge_sort_block_merge_config_selectorIsNS0_10empty_typeEEEZZNS1_27merge_sort_block_merge_implIS3_PsPS5_jNS1_19radix_merge_compareILb0ELb1EsNS0_19identity_decomposerEEEEE10hipError_tT0_T1_T2_jT3_P12ihipStream_tbPNSt15iterator_traitsISE_E10value_typeEPNSK_ISF_E10value_typeEPSG_NS1_7vsmem_tEENKUlT_SE_SF_SG_E_clIS8_S8_S9_S9_EESD_ST_SE_SF_SG_EUlST_E1_NS1_11comp_targetILNS1_3genE8ELNS1_11target_archE1030ELNS1_3gpuE2ELNS1_3repE0EEENS1_36merge_oddeven_config_static_selectorELNS0_4arch9wavefront6targetE0EEEvSF_.num_vgpr, 0
	.set _ZN7rocprim17ROCPRIM_400000_NS6detail17trampoline_kernelINS0_14default_configENS1_38merge_sort_block_merge_config_selectorIsNS0_10empty_typeEEEZZNS1_27merge_sort_block_merge_implIS3_PsPS5_jNS1_19radix_merge_compareILb0ELb1EsNS0_19identity_decomposerEEEEE10hipError_tT0_T1_T2_jT3_P12ihipStream_tbPNSt15iterator_traitsISE_E10value_typeEPNSK_ISF_E10value_typeEPSG_NS1_7vsmem_tEENKUlT_SE_SF_SG_E_clIS8_S8_S9_S9_EESD_ST_SE_SF_SG_EUlST_E1_NS1_11comp_targetILNS1_3genE8ELNS1_11target_archE1030ELNS1_3gpuE2ELNS1_3repE0EEENS1_36merge_oddeven_config_static_selectorELNS0_4arch9wavefront6targetE0EEEvSF_.num_agpr, 0
	.set _ZN7rocprim17ROCPRIM_400000_NS6detail17trampoline_kernelINS0_14default_configENS1_38merge_sort_block_merge_config_selectorIsNS0_10empty_typeEEEZZNS1_27merge_sort_block_merge_implIS3_PsPS5_jNS1_19radix_merge_compareILb0ELb1EsNS0_19identity_decomposerEEEEE10hipError_tT0_T1_T2_jT3_P12ihipStream_tbPNSt15iterator_traitsISE_E10value_typeEPNSK_ISF_E10value_typeEPSG_NS1_7vsmem_tEENKUlT_SE_SF_SG_E_clIS8_S8_S9_S9_EESD_ST_SE_SF_SG_EUlST_E1_NS1_11comp_targetILNS1_3genE8ELNS1_11target_archE1030ELNS1_3gpuE2ELNS1_3repE0EEENS1_36merge_oddeven_config_static_selectorELNS0_4arch9wavefront6targetE0EEEvSF_.numbered_sgpr, 0
	.set _ZN7rocprim17ROCPRIM_400000_NS6detail17trampoline_kernelINS0_14default_configENS1_38merge_sort_block_merge_config_selectorIsNS0_10empty_typeEEEZZNS1_27merge_sort_block_merge_implIS3_PsPS5_jNS1_19radix_merge_compareILb0ELb1EsNS0_19identity_decomposerEEEEE10hipError_tT0_T1_T2_jT3_P12ihipStream_tbPNSt15iterator_traitsISE_E10value_typeEPNSK_ISF_E10value_typeEPSG_NS1_7vsmem_tEENKUlT_SE_SF_SG_E_clIS8_S8_S9_S9_EESD_ST_SE_SF_SG_EUlST_E1_NS1_11comp_targetILNS1_3genE8ELNS1_11target_archE1030ELNS1_3gpuE2ELNS1_3repE0EEENS1_36merge_oddeven_config_static_selectorELNS0_4arch9wavefront6targetE0EEEvSF_.num_named_barrier, 0
	.set _ZN7rocprim17ROCPRIM_400000_NS6detail17trampoline_kernelINS0_14default_configENS1_38merge_sort_block_merge_config_selectorIsNS0_10empty_typeEEEZZNS1_27merge_sort_block_merge_implIS3_PsPS5_jNS1_19radix_merge_compareILb0ELb1EsNS0_19identity_decomposerEEEEE10hipError_tT0_T1_T2_jT3_P12ihipStream_tbPNSt15iterator_traitsISE_E10value_typeEPNSK_ISF_E10value_typeEPSG_NS1_7vsmem_tEENKUlT_SE_SF_SG_E_clIS8_S8_S9_S9_EESD_ST_SE_SF_SG_EUlST_E1_NS1_11comp_targetILNS1_3genE8ELNS1_11target_archE1030ELNS1_3gpuE2ELNS1_3repE0EEENS1_36merge_oddeven_config_static_selectorELNS0_4arch9wavefront6targetE0EEEvSF_.private_seg_size, 0
	.set _ZN7rocprim17ROCPRIM_400000_NS6detail17trampoline_kernelINS0_14default_configENS1_38merge_sort_block_merge_config_selectorIsNS0_10empty_typeEEEZZNS1_27merge_sort_block_merge_implIS3_PsPS5_jNS1_19radix_merge_compareILb0ELb1EsNS0_19identity_decomposerEEEEE10hipError_tT0_T1_T2_jT3_P12ihipStream_tbPNSt15iterator_traitsISE_E10value_typeEPNSK_ISF_E10value_typeEPSG_NS1_7vsmem_tEENKUlT_SE_SF_SG_E_clIS8_S8_S9_S9_EESD_ST_SE_SF_SG_EUlST_E1_NS1_11comp_targetILNS1_3genE8ELNS1_11target_archE1030ELNS1_3gpuE2ELNS1_3repE0EEENS1_36merge_oddeven_config_static_selectorELNS0_4arch9wavefront6targetE0EEEvSF_.uses_vcc, 0
	.set _ZN7rocprim17ROCPRIM_400000_NS6detail17trampoline_kernelINS0_14default_configENS1_38merge_sort_block_merge_config_selectorIsNS0_10empty_typeEEEZZNS1_27merge_sort_block_merge_implIS3_PsPS5_jNS1_19radix_merge_compareILb0ELb1EsNS0_19identity_decomposerEEEEE10hipError_tT0_T1_T2_jT3_P12ihipStream_tbPNSt15iterator_traitsISE_E10value_typeEPNSK_ISF_E10value_typeEPSG_NS1_7vsmem_tEENKUlT_SE_SF_SG_E_clIS8_S8_S9_S9_EESD_ST_SE_SF_SG_EUlST_E1_NS1_11comp_targetILNS1_3genE8ELNS1_11target_archE1030ELNS1_3gpuE2ELNS1_3repE0EEENS1_36merge_oddeven_config_static_selectorELNS0_4arch9wavefront6targetE0EEEvSF_.uses_flat_scratch, 0
	.set _ZN7rocprim17ROCPRIM_400000_NS6detail17trampoline_kernelINS0_14default_configENS1_38merge_sort_block_merge_config_selectorIsNS0_10empty_typeEEEZZNS1_27merge_sort_block_merge_implIS3_PsPS5_jNS1_19radix_merge_compareILb0ELb1EsNS0_19identity_decomposerEEEEE10hipError_tT0_T1_T2_jT3_P12ihipStream_tbPNSt15iterator_traitsISE_E10value_typeEPNSK_ISF_E10value_typeEPSG_NS1_7vsmem_tEENKUlT_SE_SF_SG_E_clIS8_S8_S9_S9_EESD_ST_SE_SF_SG_EUlST_E1_NS1_11comp_targetILNS1_3genE8ELNS1_11target_archE1030ELNS1_3gpuE2ELNS1_3repE0EEENS1_36merge_oddeven_config_static_selectorELNS0_4arch9wavefront6targetE0EEEvSF_.has_dyn_sized_stack, 0
	.set _ZN7rocprim17ROCPRIM_400000_NS6detail17trampoline_kernelINS0_14default_configENS1_38merge_sort_block_merge_config_selectorIsNS0_10empty_typeEEEZZNS1_27merge_sort_block_merge_implIS3_PsPS5_jNS1_19radix_merge_compareILb0ELb1EsNS0_19identity_decomposerEEEEE10hipError_tT0_T1_T2_jT3_P12ihipStream_tbPNSt15iterator_traitsISE_E10value_typeEPNSK_ISF_E10value_typeEPSG_NS1_7vsmem_tEENKUlT_SE_SF_SG_E_clIS8_S8_S9_S9_EESD_ST_SE_SF_SG_EUlST_E1_NS1_11comp_targetILNS1_3genE8ELNS1_11target_archE1030ELNS1_3gpuE2ELNS1_3repE0EEENS1_36merge_oddeven_config_static_selectorELNS0_4arch9wavefront6targetE0EEEvSF_.has_recursion, 0
	.set _ZN7rocprim17ROCPRIM_400000_NS6detail17trampoline_kernelINS0_14default_configENS1_38merge_sort_block_merge_config_selectorIsNS0_10empty_typeEEEZZNS1_27merge_sort_block_merge_implIS3_PsPS5_jNS1_19radix_merge_compareILb0ELb1EsNS0_19identity_decomposerEEEEE10hipError_tT0_T1_T2_jT3_P12ihipStream_tbPNSt15iterator_traitsISE_E10value_typeEPNSK_ISF_E10value_typeEPSG_NS1_7vsmem_tEENKUlT_SE_SF_SG_E_clIS8_S8_S9_S9_EESD_ST_SE_SF_SG_EUlST_E1_NS1_11comp_targetILNS1_3genE8ELNS1_11target_archE1030ELNS1_3gpuE2ELNS1_3repE0EEENS1_36merge_oddeven_config_static_selectorELNS0_4arch9wavefront6targetE0EEEvSF_.has_indirect_call, 0
	.section	.AMDGPU.csdata,"",@progbits
; Kernel info:
; codeLenInByte = 0
; TotalNumSgprs: 0
; NumVgprs: 0
; ScratchSize: 0
; MemoryBound: 0
; FloatMode: 240
; IeeeMode: 1
; LDSByteSize: 0 bytes/workgroup (compile time only)
; SGPRBlocks: 0
; VGPRBlocks: 0
; NumSGPRsForWavesPerEU: 1
; NumVGPRsForWavesPerEU: 1
; NamedBarCnt: 0
; Occupancy: 16
; WaveLimiterHint : 0
; COMPUTE_PGM_RSRC2:SCRATCH_EN: 0
; COMPUTE_PGM_RSRC2:USER_SGPR: 2
; COMPUTE_PGM_RSRC2:TRAP_HANDLER: 0
; COMPUTE_PGM_RSRC2:TGID_X_EN: 1
; COMPUTE_PGM_RSRC2:TGID_Y_EN: 0
; COMPUTE_PGM_RSRC2:TGID_Z_EN: 0
; COMPUTE_PGM_RSRC2:TIDIG_COMP_CNT: 0
	.section	.text._ZN7rocprim17ROCPRIM_400000_NS6detail17trampoline_kernelINS0_14default_configENS1_35radix_sort_onesweep_config_selectorIsNS0_10empty_typeEEEZNS1_34radix_sort_onesweep_global_offsetsIS3_Lb0EPKsPS5_mNS0_19identity_decomposerEEE10hipError_tT1_T2_PT3_SF_jT4_jjP12ihipStream_tbEUlT_E_NS1_11comp_targetILNS1_3genE0ELNS1_11target_archE4294967295ELNS1_3gpuE0ELNS1_3repE0EEENS1_52radix_sort_onesweep_histogram_config_static_selectorELNS0_4arch9wavefront6targetE0EEEvSD_,"axG",@progbits,_ZN7rocprim17ROCPRIM_400000_NS6detail17trampoline_kernelINS0_14default_configENS1_35radix_sort_onesweep_config_selectorIsNS0_10empty_typeEEEZNS1_34radix_sort_onesweep_global_offsetsIS3_Lb0EPKsPS5_mNS0_19identity_decomposerEEE10hipError_tT1_T2_PT3_SF_jT4_jjP12ihipStream_tbEUlT_E_NS1_11comp_targetILNS1_3genE0ELNS1_11target_archE4294967295ELNS1_3gpuE0ELNS1_3repE0EEENS1_52radix_sort_onesweep_histogram_config_static_selectorELNS0_4arch9wavefront6targetE0EEEvSD_,comdat
	.protected	_ZN7rocprim17ROCPRIM_400000_NS6detail17trampoline_kernelINS0_14default_configENS1_35radix_sort_onesweep_config_selectorIsNS0_10empty_typeEEEZNS1_34radix_sort_onesweep_global_offsetsIS3_Lb0EPKsPS5_mNS0_19identity_decomposerEEE10hipError_tT1_T2_PT3_SF_jT4_jjP12ihipStream_tbEUlT_E_NS1_11comp_targetILNS1_3genE0ELNS1_11target_archE4294967295ELNS1_3gpuE0ELNS1_3repE0EEENS1_52radix_sort_onesweep_histogram_config_static_selectorELNS0_4arch9wavefront6targetE0EEEvSD_ ; -- Begin function _ZN7rocprim17ROCPRIM_400000_NS6detail17trampoline_kernelINS0_14default_configENS1_35radix_sort_onesweep_config_selectorIsNS0_10empty_typeEEEZNS1_34radix_sort_onesweep_global_offsetsIS3_Lb0EPKsPS5_mNS0_19identity_decomposerEEE10hipError_tT1_T2_PT3_SF_jT4_jjP12ihipStream_tbEUlT_E_NS1_11comp_targetILNS1_3genE0ELNS1_11target_archE4294967295ELNS1_3gpuE0ELNS1_3repE0EEENS1_52radix_sort_onesweep_histogram_config_static_selectorELNS0_4arch9wavefront6targetE0EEEvSD_
	.globl	_ZN7rocprim17ROCPRIM_400000_NS6detail17trampoline_kernelINS0_14default_configENS1_35radix_sort_onesweep_config_selectorIsNS0_10empty_typeEEEZNS1_34radix_sort_onesweep_global_offsetsIS3_Lb0EPKsPS5_mNS0_19identity_decomposerEEE10hipError_tT1_T2_PT3_SF_jT4_jjP12ihipStream_tbEUlT_E_NS1_11comp_targetILNS1_3genE0ELNS1_11target_archE4294967295ELNS1_3gpuE0ELNS1_3repE0EEENS1_52radix_sort_onesweep_histogram_config_static_selectorELNS0_4arch9wavefront6targetE0EEEvSD_
	.p2align	8
	.type	_ZN7rocprim17ROCPRIM_400000_NS6detail17trampoline_kernelINS0_14default_configENS1_35radix_sort_onesweep_config_selectorIsNS0_10empty_typeEEEZNS1_34radix_sort_onesweep_global_offsetsIS3_Lb0EPKsPS5_mNS0_19identity_decomposerEEE10hipError_tT1_T2_PT3_SF_jT4_jjP12ihipStream_tbEUlT_E_NS1_11comp_targetILNS1_3genE0ELNS1_11target_archE4294967295ELNS1_3gpuE0ELNS1_3repE0EEENS1_52radix_sort_onesweep_histogram_config_static_selectorELNS0_4arch9wavefront6targetE0EEEvSD_,@function
_ZN7rocprim17ROCPRIM_400000_NS6detail17trampoline_kernelINS0_14default_configENS1_35radix_sort_onesweep_config_selectorIsNS0_10empty_typeEEEZNS1_34radix_sort_onesweep_global_offsetsIS3_Lb0EPKsPS5_mNS0_19identity_decomposerEEE10hipError_tT1_T2_PT3_SF_jT4_jjP12ihipStream_tbEUlT_E_NS1_11comp_targetILNS1_3genE0ELNS1_11target_archE4294967295ELNS1_3gpuE0ELNS1_3repE0EEENS1_52radix_sort_onesweep_histogram_config_static_selectorELNS0_4arch9wavefront6targetE0EEEvSD_: ; @_ZN7rocprim17ROCPRIM_400000_NS6detail17trampoline_kernelINS0_14default_configENS1_35radix_sort_onesweep_config_selectorIsNS0_10empty_typeEEEZNS1_34radix_sort_onesweep_global_offsetsIS3_Lb0EPKsPS5_mNS0_19identity_decomposerEEE10hipError_tT1_T2_PT3_SF_jT4_jjP12ihipStream_tbEUlT_E_NS1_11comp_targetILNS1_3genE0ELNS1_11target_archE4294967295ELNS1_3gpuE0ELNS1_3repE0EEENS1_52radix_sort_onesweep_histogram_config_static_selectorELNS0_4arch9wavefront6targetE0EEEvSD_
; %bb.0:
	s_clause 0x1
	s_load_b64 s[8:9], s[0:1], 0x18
	s_load_b128 s[4:7], s[0:1], 0x0
	s_bfe_u32 s10, ttmp6, 0x4000c
	s_load_b64 s[2:3], s[0:1], 0x24
	s_add_co_i32 s10, s10, 1
	s_and_b32 s11, ttmp6, 15
	s_mul_i32 s10, ttmp9, s10
	s_getreg_b32 s12, hwreg(HW_REG_IB_STS2, 6, 4)
	s_add_co_i32 s10, s11, s10
	s_cmp_eq_u32 s12, 0
	s_mov_b32 s11, 0
	s_cselect_b32 s10, ttmp9, s10
	s_wait_kmcnt 0x0
	v_cmp_le_u64_e64 s9, s[8:9], s[10:11]
	s_mul_u64 s[10:11], s[10:11], 0x3000
	s_delay_alu instid0(SALU_CYCLE_1)
	s_add_nc_u64 s[4:5], s[4:5], s[10:11]
	s_and_b32 vcc_lo, exec_lo, s9
	s_mov_b32 s9, -1
	s_cbranch_vccz .LBB695_119
; %bb.1:
	s_load_b32 s1, s[0:1], 0x10
	v_mov_b32_e32 v2, 0
	s_wait_xcnt 0x0
	s_mul_i32 s0, s8, 0xffffe800
	s_delay_alu instid0(VALU_DEP_1)
	v_dual_mov_b32 v3, v2 :: v_dual_mov_b32 v4, v2
	v_dual_mov_b32 v5, v2 :: v_dual_mov_b32 v6, v2
	v_mov_b32_e32 v7, v2
	s_wait_kmcnt 0x0
	s_add_co_i32 s1, s1, s0
	s_mov_b32 s0, exec_lo
	v_cmpx_gt_u32_e64 s1, v0
	s_cbranch_execz .LBB695_3
; %bb.2:
	global_load_u16 v1, v0, s[4:5] scale_offset
	v_dual_mov_b32 v5, v2 :: v_dual_mov_b32 v6, v2
	v_dual_mov_b32 v7, v2 :: v_dual_mov_b32 v8, v2
	v_mov_b32_e32 v9, v2
	s_wait_loadcnt 0x0
	v_and_b32_e32 v4, 0xffff, v1
	s_delay_alu instid0(VALU_DEP_1)
	v_mov_b64_e32 v[2:3], v[4:5]
	v_mov_b64_e32 v[4:5], v[6:7]
	v_mov_b64_e32 v[6:7], v[8:9]
	v_mov_b64_e32 v[8:9], v[10:11]
.LBB695_3:
	s_or_b32 exec_lo, exec_lo, s0
	v_or_b32_e32 v19, 0x200, v0
	s_mov_b32 s0, exec_lo
	s_delay_alu instid0(VALU_DEP_1)
	v_cmpx_gt_u32_e64 s1, v19
	s_cbranch_execz .LBB695_5
; %bb.4:
	global_load_u16 v1, v0, s[4:5] offset:1024 scale_offset
	s_wait_loadcnt 0x0
	v_perm_b32 v2, v1, v2, 0x5040100
.LBB695_5:
	s_or_b32 exec_lo, exec_lo, s0
	v_or_b32_e32 v18, 0x400, v0
	s_mov_b32 s0, exec_lo
	s_delay_alu instid0(VALU_DEP_1)
	v_cmpx_gt_u32_e64 s1, v18
	s_cbranch_execz .LBB695_7
; %bb.6:
	global_load_u16 v1, v0, s[4:5] offset:2048 scale_offset
	s_wait_loadcnt 0x0
	v_bfi_b32 v3, 0xffff, v1, v3
.LBB695_7:
	s_or_b32 exec_lo, exec_lo, s0
	v_or_b32_e32 v17, 0x600, v0
	s_mov_b32 s0, exec_lo
	s_delay_alu instid0(VALU_DEP_1)
	v_cmpx_gt_u32_e64 s1, v17
	s_cbranch_execz .LBB695_9
; %bb.8:
	global_load_u16 v1, v0, s[4:5] offset:3072 scale_offset
	s_wait_loadcnt 0x0
	v_perm_b32 v3, v1, v3, 0x5040100
.LBB695_9:
	s_or_b32 exec_lo, exec_lo, s0
	v_or_b32_e32 v16, 0x800, v0
	s_mov_b32 s0, exec_lo
	s_delay_alu instid0(VALU_DEP_1)
	v_cmpx_gt_u32_e64 s1, v16
	s_cbranch_execz .LBB695_11
; %bb.10:
	global_load_u16 v1, v0, s[4:5] offset:4096 scale_offset
	s_wait_loadcnt 0x0
	v_bfi_b32 v4, 0xffff, v1, v4
.LBB695_11:
	;; [unrolled: 22-line block ×5, first 2 shown]
	s_or_b32 exec_lo, exec_lo, s0
	v_or_b32_e32 v9, 0x1600, v0
	s_mov_b32 s0, exec_lo
	s_delay_alu instid0(VALU_DEP_1)
	v_cmpx_gt_u32_e64 s1, v9
	s_cbranch_execz .LBB695_25
; %bb.24:
	global_load_u16 v1, v0, s[4:5] offset:11264 scale_offset
	s_wait_loadcnt 0x0
	v_perm_b32 v7, v1, v7, 0x5040100
.LBB695_25:
	s_or_b32 exec_lo, exec_lo, s0
	v_dual_mov_b32 v8, 0 :: v_dual_lshlrev_b32 v1, 2, v0
	s_mov_b32 s0, -1
	ds_store_2addr_stride64_b32 v1, v8, v8 offset1:8
	s_and_saveexec_b32 s8, s0
; %bb.26:
	ds_store_b32 v1, v8 offset:4096
; %bb.27:
	s_or_b32 exec_lo, exec_lo, s8
	s_and_saveexec_b32 s8, s0
; %bb.28:
	v_mov_b32_e32 v8, 0
	ds_store_b32 v1, v8 offset:6144
; %bb.29:
	s_or_b32 exec_lo, exec_lo, s8
	s_cmp_le_u32 s3, s2
	v_xor_b32_e32 v20, 0xffff8000, v2
	s_cselect_b32 s8, -1, 0
	v_cmp_le_u32_e32 vcc_lo, s1, v0
	s_and_b32 s0, s8, exec_lo
	s_cselect_b32 s9, 8, 10
	s_delay_alu instid0(SALU_CYCLE_1)
	v_dual_mov_b32 v21, s9 :: v_dual_bitop2_b32 v8, 3, v0 bitop3:0x40
	v_and_b32_e32 v20, 0xffff, v20
	s_nor_b32 s10, s8, vcc_lo
	s_wait_dscnt 0x0
	s_barrier_signal -1
	s_barrier_wait -1
	s_and_saveexec_b32 s0, s10
	s_cbranch_execz .LBB695_31
; %bb.30:
	v_lshrrev_b32_e32 v21, s2, v20
	s_sub_co_i32 s10, s3, s2
	v_lshlrev_b32_e32 v22, 2, v8
	s_min_u32 s10, s10, 8
	s_delay_alu instid0(VALU_DEP_2) | instid1(SALU_CYCLE_1)
	v_bfe_u32 v21, v21, 0, s10
	s_delay_alu instid0(VALU_DEP_1)
	v_lshl_or_b32 v21, v21, 4, v22
	v_mov_b32_e32 v22, 1
	ds_add_u32 v21, v22
	v_mov_b32_e32 v21, 0
.LBB695_31:
	s_or_b32 exec_lo, exec_lo, s0
	s_mov_b32 s10, -1
	s_mov_b32 s11, exec_lo
	s_delay_alu instid0(VALU_DEP_1)
	v_cmpx_gt_i32_e32 10, v21
; %bb.32:
	v_cmp_eq_u32_e64 s0, 0, v21
	s_or_not1_b32 s10, s0, exec_lo
; %bb.33:
	s_or_b32 exec_lo, exec_lo, s11
	s_and_saveexec_b32 s0, s10
	s_cbranch_execz .LBB695_36
; %bb.34:
	s_add_co_i32 s10, s2, 8
	s_delay_alu instid0(SALU_CYCLE_1) | instskip(SKIP_2) | instid1(SALU_CYCLE_1)
	s_cmp_gt_u32 s3, s10
	s_cselect_b32 s11, -1, 0
	s_xor_b32 s12, vcc_lo, -1
	s_and_b32 s11, s11, s12
	s_delay_alu instid0(SALU_CYCLE_1)
	s_and_b32 exec_lo, exec_lo, s11
	s_cbranch_execz .LBB695_36
; %bb.35:
	v_lshrrev_b32_e32 v20, s10, v20
	s_sub_co_i32 s10, s3, s10
	v_lshlrev_b32_e32 v21, 2, v8
	s_min_u32 s10, s10, 8
	s_delay_alu instid0(VALU_DEP_2) | instid1(SALU_CYCLE_1)
	v_bfe_u32 v20, v20, 0, s10
	s_delay_alu instid0(VALU_DEP_1)
	v_lshl_or_b32 v20, v20, 4, v21
	v_mov_b32_e32 v21, 1
	ds_add_u32 v20, v21 offset:4096
.LBB695_36:
	s_or_b32 exec_lo, exec_lo, s0
	v_lshrrev_b32_e32 v2, 16, v2
	v_cmp_le_u32_e32 vcc_lo, s1, v19
	v_mov_b32_e32 v19, s9
	s_delay_alu instid0(VALU_DEP_3) | instskip(SKIP_1) | instid1(VALU_DEP_1)
	v_xor_b32_e32 v2, 0xffff8000, v2
	s_nor_b32 s10, s8, vcc_lo
	v_and_b32_e32 v2, 0xffff, v2
	s_and_saveexec_b32 s0, s10
	s_cbranch_execz .LBB695_38
; %bb.37:
	s_delay_alu instid0(VALU_DEP_1) | instskip(SKIP_1) | instid1(SALU_CYCLE_1)
	v_dual_lshrrev_b32 v19, s2, v2 :: v_dual_lshlrev_b32 v20, 2, v8
	s_sub_co_i32 s10, s3, s2
	s_min_u32 s10, s10, 8
	s_delay_alu instid0(VALU_DEP_1) | instid1(SALU_CYCLE_1)
	v_bfe_u32 v19, v19, 0, s10
	s_delay_alu instid0(VALU_DEP_1)
	v_lshl_or_b32 v19, v19, 4, v20
	v_mov_b32_e32 v20, 1
	ds_add_u32 v19, v20
	v_mov_b32_e32 v19, 0
.LBB695_38:
	s_or_b32 exec_lo, exec_lo, s0
	s_mov_b32 s10, -1
	s_mov_b32 s11, exec_lo
	s_delay_alu instid0(VALU_DEP_1)
	v_cmpx_gt_i32_e32 10, v19
; %bb.39:
	v_cmp_eq_u32_e64 s0, 0, v19
	s_or_not1_b32 s10, s0, exec_lo
; %bb.40:
	s_or_b32 exec_lo, exec_lo, s11
	s_and_saveexec_b32 s0, s10
	s_cbranch_execz .LBB695_43
; %bb.41:
	s_add_co_i32 s10, s2, 8
	s_delay_alu instid0(SALU_CYCLE_1) | instskip(SKIP_2) | instid1(SALU_CYCLE_1)
	s_cmp_gt_u32 s3, s10
	s_cselect_b32 s11, -1, 0
	s_xor_b32 s12, vcc_lo, -1
	s_and_b32 s11, s11, s12
	s_delay_alu instid0(SALU_CYCLE_1)
	s_and_b32 exec_lo, exec_lo, s11
	s_cbranch_execz .LBB695_43
; %bb.42:
	v_dual_lshrrev_b32 v2, s10, v2 :: v_dual_lshlrev_b32 v19, 2, v8
	s_sub_co_i32 s10, s3, s10
	s_delay_alu instid0(SALU_CYCLE_1)
	s_min_u32 s10, s10, 8
	s_delay_alu instid0(VALU_DEP_1) | instid1(SALU_CYCLE_1)
	v_bfe_u32 v2, v2, 0, s10
	s_delay_alu instid0(VALU_DEP_1)
	v_lshl_or_b32 v2, v2, 4, v19
	v_mov_b32_e32 v19, 1
	ds_add_u32 v2, v19 offset:4096
.LBB695_43:
	s_or_b32 exec_lo, exec_lo, s0
	v_xor_b32_e32 v2, 0xffff8000, v3
	v_cmp_le_u32_e32 vcc_lo, s1, v18
	v_mov_b32_e32 v18, s9
	s_delay_alu instid0(VALU_DEP_3) | instskip(SKIP_1) | instid1(SALU_CYCLE_1)
	v_and_b32_e32 v2, 0xffff, v2
	s_nor_b32 s10, s8, vcc_lo
	s_and_saveexec_b32 s0, s10
	s_cbranch_execz .LBB695_45
; %bb.44:
	s_delay_alu instid0(VALU_DEP_1) | instskip(SKIP_1) | instid1(SALU_CYCLE_1)
	v_dual_lshrrev_b32 v18, s2, v2 :: v_dual_lshlrev_b32 v19, 2, v8
	s_sub_co_i32 s10, s3, s2
	s_min_u32 s10, s10, 8
	s_delay_alu instid0(VALU_DEP_1) | instid1(SALU_CYCLE_1)
	v_bfe_u32 v18, v18, 0, s10
	s_delay_alu instid0(VALU_DEP_1)
	v_lshl_or_b32 v18, v18, 4, v19
	v_mov_b32_e32 v19, 1
	ds_add_u32 v18, v19
	v_mov_b32_e32 v18, 0
.LBB695_45:
	s_or_b32 exec_lo, exec_lo, s0
	s_mov_b32 s10, -1
	s_mov_b32 s11, exec_lo
	s_delay_alu instid0(VALU_DEP_1)
	v_cmpx_gt_i32_e32 10, v18
; %bb.46:
	v_cmp_eq_u32_e64 s0, 0, v18
	s_or_not1_b32 s10, s0, exec_lo
; %bb.47:
	s_or_b32 exec_lo, exec_lo, s11
	s_and_saveexec_b32 s0, s10
	s_cbranch_execz .LBB695_50
; %bb.48:
	s_add_co_i32 s10, s2, 8
	s_delay_alu instid0(SALU_CYCLE_1) | instskip(SKIP_2) | instid1(SALU_CYCLE_1)
	s_cmp_gt_u32 s3, s10
	s_cselect_b32 s11, -1, 0
	s_xor_b32 s12, vcc_lo, -1
	s_and_b32 s11, s11, s12
	s_delay_alu instid0(SALU_CYCLE_1)
	s_and_b32 exec_lo, exec_lo, s11
	s_cbranch_execz .LBB695_50
; %bb.49:
	v_dual_lshrrev_b32 v2, s10, v2 :: v_dual_lshlrev_b32 v18, 2, v8
	s_sub_co_i32 s10, s3, s10
	s_delay_alu instid0(SALU_CYCLE_1)
	s_min_u32 s10, s10, 8
	s_delay_alu instid0(VALU_DEP_1) | instid1(SALU_CYCLE_1)
	v_bfe_u32 v2, v2, 0, s10
	s_delay_alu instid0(VALU_DEP_1)
	v_lshl_or_b32 v2, v2, 4, v18
	v_mov_b32_e32 v18, 1
	ds_add_u32 v2, v18 offset:4096
.LBB695_50:
	s_or_b32 exec_lo, exec_lo, s0
	v_dual_mov_b32 v3, s9 :: v_dual_lshrrev_b32 v2, 16, v3
	v_cmp_le_u32_e32 vcc_lo, s1, v17
	s_delay_alu instid0(VALU_DEP_2) | instskip(SKIP_1) | instid1(VALU_DEP_1)
	v_xor_b32_e32 v2, 0xffff8000, v2
	s_nor_b32 s10, s8, vcc_lo
	v_and_b32_e32 v2, 0xffff, v2
	s_and_saveexec_b32 s0, s10
	s_cbranch_execz .LBB695_52
; %bb.51:
	s_delay_alu instid0(VALU_DEP_1) | instskip(SKIP_1) | instid1(SALU_CYCLE_1)
	v_dual_lshrrev_b32 v3, s2, v2 :: v_dual_lshlrev_b32 v17, 2, v8
	s_sub_co_i32 s10, s3, s2
	s_min_u32 s10, s10, 8
	s_delay_alu instid0(VALU_DEP_1) | instid1(SALU_CYCLE_1)
	v_bfe_u32 v3, v3, 0, s10
	s_delay_alu instid0(VALU_DEP_1)
	v_lshl_or_b32 v3, v3, 4, v17
	v_mov_b32_e32 v17, 1
	ds_add_u32 v3, v17
	v_mov_b32_e32 v3, 0
.LBB695_52:
	s_or_b32 exec_lo, exec_lo, s0
	s_mov_b32 s10, -1
	s_mov_b32 s11, exec_lo
	s_delay_alu instid0(VALU_DEP_1)
	v_cmpx_gt_i32_e32 10, v3
; %bb.53:
	v_cmp_eq_u32_e64 s0, 0, v3
	s_or_not1_b32 s10, s0, exec_lo
; %bb.54:
	s_or_b32 exec_lo, exec_lo, s11
	s_and_saveexec_b32 s0, s10
	s_cbranch_execz .LBB695_57
; %bb.55:
	s_add_co_i32 s10, s2, 8
	s_delay_alu instid0(SALU_CYCLE_1) | instskip(SKIP_2) | instid1(SALU_CYCLE_1)
	s_cmp_gt_u32 s3, s10
	s_cselect_b32 s11, -1, 0
	s_xor_b32 s12, vcc_lo, -1
	s_and_b32 s11, s11, s12
	s_delay_alu instid0(SALU_CYCLE_1)
	s_and_b32 exec_lo, exec_lo, s11
	s_cbranch_execz .LBB695_57
; %bb.56:
	v_dual_lshrrev_b32 v2, s10, v2 :: v_dual_lshlrev_b32 v3, 2, v8
	s_sub_co_i32 s10, s3, s10
	s_delay_alu instid0(SALU_CYCLE_1)
	s_min_u32 s10, s10, 8
	s_delay_alu instid0(VALU_DEP_1) | instid1(SALU_CYCLE_1)
	v_bfe_u32 v2, v2, 0, s10
	s_delay_alu instid0(VALU_DEP_1)
	v_lshl_or_b32 v2, v2, 4, v3
	v_mov_b32_e32 v3, 1
	ds_add_u32 v2, v3 offset:4096
.LBB695_57:
	s_or_b32 exec_lo, exec_lo, s0
	v_xor_b32_e32 v2, 0xffff8000, v4
	v_cmp_le_u32_e32 vcc_lo, s1, v16
	v_mov_b32_e32 v3, s9
	s_delay_alu instid0(VALU_DEP_3) | instskip(SKIP_1) | instid1(SALU_CYCLE_1)
	v_and_b32_e32 v2, 0xffff, v2
	s_nor_b32 s10, s8, vcc_lo
	s_and_saveexec_b32 s0, s10
	s_cbranch_execz .LBB695_59
; %bb.58:
	s_delay_alu instid0(VALU_DEP_1) | instskip(SKIP_1) | instid1(SALU_CYCLE_1)
	v_dual_lshrrev_b32 v3, s2, v2 :: v_dual_lshlrev_b32 v16, 2, v8
	s_sub_co_i32 s10, s3, s2
	s_min_u32 s10, s10, 8
	s_delay_alu instid0(VALU_DEP_1) | instid1(SALU_CYCLE_1)
	v_bfe_u32 v3, v3, 0, s10
	s_delay_alu instid0(VALU_DEP_1)
	v_lshl_or_b32 v3, v3, 4, v16
	v_mov_b32_e32 v16, 1
	ds_add_u32 v3, v16
	v_mov_b32_e32 v3, 0
.LBB695_59:
	s_or_b32 exec_lo, exec_lo, s0
	s_mov_b32 s10, -1
	s_mov_b32 s11, exec_lo
	s_delay_alu instid0(VALU_DEP_1)
	v_cmpx_gt_i32_e32 10, v3
; %bb.60:
	v_cmp_eq_u32_e64 s0, 0, v3
	s_or_not1_b32 s10, s0, exec_lo
; %bb.61:
	s_or_b32 exec_lo, exec_lo, s11
	s_and_saveexec_b32 s0, s10
	s_cbranch_execz .LBB695_64
; %bb.62:
	s_add_co_i32 s10, s2, 8
	s_delay_alu instid0(SALU_CYCLE_1) | instskip(SKIP_2) | instid1(SALU_CYCLE_1)
	s_cmp_gt_u32 s3, s10
	s_cselect_b32 s11, -1, 0
	s_xor_b32 s12, vcc_lo, -1
	s_and_b32 s11, s11, s12
	s_delay_alu instid0(SALU_CYCLE_1)
	s_and_b32 exec_lo, exec_lo, s11
	s_cbranch_execz .LBB695_64
; %bb.63:
	v_dual_lshrrev_b32 v2, s10, v2 :: v_dual_lshlrev_b32 v3, 2, v8
	s_sub_co_i32 s10, s3, s10
	s_delay_alu instid0(SALU_CYCLE_1)
	s_min_u32 s10, s10, 8
	s_delay_alu instid0(VALU_DEP_1) | instid1(SALU_CYCLE_1)
	v_bfe_u32 v2, v2, 0, s10
	s_delay_alu instid0(VALU_DEP_1)
	v_lshl_or_b32 v2, v2, 4, v3
	v_mov_b32_e32 v3, 1
	ds_add_u32 v2, v3 offset:4096
.LBB695_64:
	s_or_b32 exec_lo, exec_lo, s0
	v_dual_mov_b32 v3, s9 :: v_dual_lshrrev_b32 v2, 16, v4
	v_cmp_le_u32_e32 vcc_lo, s1, v15
	s_delay_alu instid0(VALU_DEP_2) | instskip(SKIP_1) | instid1(VALU_DEP_1)
	v_xor_b32_e32 v2, 0xffff8000, v2
	s_nor_b32 s10, s8, vcc_lo
	v_and_b32_e32 v2, 0xffff, v2
	s_and_saveexec_b32 s0, s10
	s_cbranch_execz .LBB695_66
; %bb.65:
	s_delay_alu instid0(VALU_DEP_1) | instskip(SKIP_1) | instid1(SALU_CYCLE_1)
	v_dual_lshrrev_b32 v3, s2, v2 :: v_dual_lshlrev_b32 v4, 2, v8
	s_sub_co_i32 s10, s3, s2
	s_min_u32 s10, s10, 8
	s_delay_alu instid0(VALU_DEP_1) | instid1(SALU_CYCLE_1)
	v_bfe_u32 v3, v3, 0, s10
	s_delay_alu instid0(VALU_DEP_1)
	v_lshl_or_b32 v3, v3, 4, v4
	v_mov_b32_e32 v4, 1
	ds_add_u32 v3, v4
	v_mov_b32_e32 v3, 0
.LBB695_66:
	s_or_b32 exec_lo, exec_lo, s0
	s_mov_b32 s10, -1
	s_mov_b32 s11, exec_lo
	s_delay_alu instid0(VALU_DEP_1)
	v_cmpx_gt_i32_e32 10, v3
; %bb.67:
	v_cmp_eq_u32_e64 s0, 0, v3
	s_or_not1_b32 s10, s0, exec_lo
; %bb.68:
	s_or_b32 exec_lo, exec_lo, s11
	s_and_saveexec_b32 s0, s10
	s_cbranch_execz .LBB695_71
; %bb.69:
	s_add_co_i32 s10, s2, 8
	s_delay_alu instid0(SALU_CYCLE_1) | instskip(SKIP_2) | instid1(SALU_CYCLE_1)
	s_cmp_gt_u32 s3, s10
	s_cselect_b32 s11, -1, 0
	s_xor_b32 s12, vcc_lo, -1
	s_and_b32 s11, s11, s12
	s_delay_alu instid0(SALU_CYCLE_1)
	s_and_b32 exec_lo, exec_lo, s11
	s_cbranch_execz .LBB695_71
; %bb.70:
	v_dual_lshrrev_b32 v2, s10, v2 :: v_dual_lshlrev_b32 v3, 2, v8
	s_sub_co_i32 s10, s3, s10
	s_delay_alu instid0(SALU_CYCLE_1)
	s_min_u32 s10, s10, 8
	s_delay_alu instid0(VALU_DEP_1) | instid1(SALU_CYCLE_1)
	v_bfe_u32 v2, v2, 0, s10
	s_delay_alu instid0(VALU_DEP_1)
	v_lshl_or_b32 v2, v2, 4, v3
	v_mov_b32_e32 v3, 1
	ds_add_u32 v2, v3 offset:4096
.LBB695_71:
	s_or_b32 exec_lo, exec_lo, s0
	v_xor_b32_e32 v2, 0xffff8000, v5
	v_cmp_le_u32_e32 vcc_lo, s1, v14
	v_mov_b32_e32 v3, s9
	s_delay_alu instid0(VALU_DEP_3) | instskip(SKIP_1) | instid1(SALU_CYCLE_1)
	v_and_b32_e32 v2, 0xffff, v2
	s_nor_b32 s10, s8, vcc_lo
	s_and_saveexec_b32 s0, s10
	s_cbranch_execz .LBB695_73
; %bb.72:
	s_delay_alu instid0(VALU_DEP_1) | instskip(SKIP_1) | instid1(SALU_CYCLE_1)
	v_dual_lshrrev_b32 v3, s2, v2 :: v_dual_lshlrev_b32 v4, 2, v8
	s_sub_co_i32 s10, s3, s2
	s_min_u32 s10, s10, 8
	s_delay_alu instid0(VALU_DEP_1) | instid1(SALU_CYCLE_1)
	v_bfe_u32 v3, v3, 0, s10
	s_delay_alu instid0(VALU_DEP_1)
	v_lshl_or_b32 v3, v3, 4, v4
	v_mov_b32_e32 v4, 1
	ds_add_u32 v3, v4
	v_mov_b32_e32 v3, 0
.LBB695_73:
	s_or_b32 exec_lo, exec_lo, s0
	s_mov_b32 s10, -1
	s_mov_b32 s11, exec_lo
	s_delay_alu instid0(VALU_DEP_1)
	v_cmpx_gt_i32_e32 10, v3
; %bb.74:
	v_cmp_eq_u32_e64 s0, 0, v3
	s_or_not1_b32 s10, s0, exec_lo
; %bb.75:
	s_or_b32 exec_lo, exec_lo, s11
	s_and_saveexec_b32 s0, s10
	s_cbranch_execz .LBB695_78
; %bb.76:
	s_add_co_i32 s10, s2, 8
	s_delay_alu instid0(SALU_CYCLE_1) | instskip(SKIP_2) | instid1(SALU_CYCLE_1)
	s_cmp_gt_u32 s3, s10
	s_cselect_b32 s11, -1, 0
	s_xor_b32 s12, vcc_lo, -1
	s_and_b32 s11, s11, s12
	s_delay_alu instid0(SALU_CYCLE_1)
	s_and_b32 exec_lo, exec_lo, s11
	s_cbranch_execz .LBB695_78
; %bb.77:
	v_dual_lshrrev_b32 v2, s10, v2 :: v_dual_lshlrev_b32 v3, 2, v8
	s_sub_co_i32 s10, s3, s10
	s_delay_alu instid0(SALU_CYCLE_1)
	s_min_u32 s10, s10, 8
	s_delay_alu instid0(VALU_DEP_1) | instid1(SALU_CYCLE_1)
	v_bfe_u32 v2, v2, 0, s10
	s_delay_alu instid0(VALU_DEP_1)
	v_lshl_or_b32 v2, v2, 4, v3
	v_mov_b32_e32 v3, 1
	ds_add_u32 v2, v3 offset:4096
.LBB695_78:
	s_or_b32 exec_lo, exec_lo, s0
	v_dual_mov_b32 v3, s9 :: v_dual_lshrrev_b32 v2, 16, v5
	v_cmp_le_u32_e32 vcc_lo, s1, v13
	s_delay_alu instid0(VALU_DEP_2) | instskip(SKIP_1) | instid1(VALU_DEP_1)
	v_xor_b32_e32 v2, 0xffff8000, v2
	s_nor_b32 s10, s8, vcc_lo
	v_and_b32_e32 v2, 0xffff, v2
	s_and_saveexec_b32 s0, s10
	s_cbranch_execz .LBB695_80
; %bb.79:
	s_delay_alu instid0(VALU_DEP_1) | instskip(SKIP_1) | instid1(SALU_CYCLE_1)
	v_dual_lshrrev_b32 v3, s2, v2 :: v_dual_lshlrev_b32 v4, 2, v8
	s_sub_co_i32 s10, s3, s2
	s_min_u32 s10, s10, 8
	s_delay_alu instid0(VALU_DEP_1) | instid1(SALU_CYCLE_1)
	v_bfe_u32 v3, v3, 0, s10
	s_delay_alu instid0(VALU_DEP_1)
	v_lshl_or_b32 v3, v3, 4, v4
	v_mov_b32_e32 v4, 1
	ds_add_u32 v3, v4
	v_mov_b32_e32 v3, 0
.LBB695_80:
	s_or_b32 exec_lo, exec_lo, s0
	s_mov_b32 s10, -1
	s_mov_b32 s11, exec_lo
	s_delay_alu instid0(VALU_DEP_1)
	v_cmpx_gt_i32_e32 10, v3
; %bb.81:
	v_cmp_eq_u32_e64 s0, 0, v3
	s_or_not1_b32 s10, s0, exec_lo
; %bb.82:
	s_or_b32 exec_lo, exec_lo, s11
	s_and_saveexec_b32 s0, s10
	s_cbranch_execz .LBB695_85
; %bb.83:
	s_add_co_i32 s10, s2, 8
	s_delay_alu instid0(SALU_CYCLE_1) | instskip(SKIP_2) | instid1(SALU_CYCLE_1)
	s_cmp_gt_u32 s3, s10
	s_cselect_b32 s11, -1, 0
	s_xor_b32 s12, vcc_lo, -1
	s_and_b32 s11, s11, s12
	s_delay_alu instid0(SALU_CYCLE_1)
	s_and_b32 exec_lo, exec_lo, s11
	s_cbranch_execz .LBB695_85
; %bb.84:
	v_dual_lshrrev_b32 v2, s10, v2 :: v_dual_lshlrev_b32 v3, 2, v8
	s_sub_co_i32 s10, s3, s10
	s_delay_alu instid0(SALU_CYCLE_1)
	s_min_u32 s10, s10, 8
	s_delay_alu instid0(VALU_DEP_1) | instid1(SALU_CYCLE_1)
	v_bfe_u32 v2, v2, 0, s10
	s_delay_alu instid0(VALU_DEP_1)
	v_lshl_or_b32 v2, v2, 4, v3
	v_mov_b32_e32 v3, 1
	ds_add_u32 v2, v3 offset:4096
.LBB695_85:
	s_or_b32 exec_lo, exec_lo, s0
	v_xor_b32_e32 v2, 0xffff8000, v6
	v_cmp_le_u32_e32 vcc_lo, s1, v12
	v_mov_b32_e32 v3, s9
	s_delay_alu instid0(VALU_DEP_3) | instskip(SKIP_1) | instid1(SALU_CYCLE_1)
	v_and_b32_e32 v2, 0xffff, v2
	s_nor_b32 s10, s8, vcc_lo
	s_and_saveexec_b32 s0, s10
	s_cbranch_execz .LBB695_87
; %bb.86:
	s_delay_alu instid0(VALU_DEP_1) | instskip(SKIP_1) | instid1(SALU_CYCLE_1)
	v_dual_lshrrev_b32 v3, s2, v2 :: v_dual_lshlrev_b32 v4, 2, v8
	s_sub_co_i32 s10, s3, s2
	s_min_u32 s10, s10, 8
	s_delay_alu instid0(VALU_DEP_1) | instid1(SALU_CYCLE_1)
	v_bfe_u32 v3, v3, 0, s10
	s_delay_alu instid0(VALU_DEP_1)
	v_lshl_or_b32 v3, v3, 4, v4
	v_mov_b32_e32 v4, 1
	ds_add_u32 v3, v4
	v_mov_b32_e32 v3, 0
.LBB695_87:
	s_or_b32 exec_lo, exec_lo, s0
	s_mov_b32 s10, -1
	s_mov_b32 s11, exec_lo
	s_delay_alu instid0(VALU_DEP_1)
	v_cmpx_gt_i32_e32 10, v3
; %bb.88:
	v_cmp_eq_u32_e64 s0, 0, v3
	s_or_not1_b32 s10, s0, exec_lo
; %bb.89:
	s_or_b32 exec_lo, exec_lo, s11
	s_and_saveexec_b32 s0, s10
	s_cbranch_execz .LBB695_92
; %bb.90:
	s_add_co_i32 s10, s2, 8
	s_delay_alu instid0(SALU_CYCLE_1) | instskip(SKIP_2) | instid1(SALU_CYCLE_1)
	s_cmp_gt_u32 s3, s10
	s_cselect_b32 s11, -1, 0
	s_xor_b32 s12, vcc_lo, -1
	s_and_b32 s11, s11, s12
	s_delay_alu instid0(SALU_CYCLE_1)
	s_and_b32 exec_lo, exec_lo, s11
	s_cbranch_execz .LBB695_92
; %bb.91:
	v_dual_lshrrev_b32 v2, s10, v2 :: v_dual_lshlrev_b32 v3, 2, v8
	s_sub_co_i32 s10, s3, s10
	s_delay_alu instid0(SALU_CYCLE_1)
	s_min_u32 s10, s10, 8
	s_delay_alu instid0(VALU_DEP_1) | instid1(SALU_CYCLE_1)
	v_bfe_u32 v2, v2, 0, s10
	s_delay_alu instid0(VALU_DEP_1)
	v_lshl_or_b32 v2, v2, 4, v3
	v_mov_b32_e32 v3, 1
	ds_add_u32 v2, v3 offset:4096
.LBB695_92:
	s_or_b32 exec_lo, exec_lo, s0
	v_dual_mov_b32 v3, s9 :: v_dual_lshrrev_b32 v2, 16, v6
	v_cmp_le_u32_e32 vcc_lo, s1, v11
	s_delay_alu instid0(VALU_DEP_2) | instskip(SKIP_1) | instid1(VALU_DEP_1)
	v_xor_b32_e32 v2, 0xffff8000, v2
	s_nor_b32 s10, s8, vcc_lo
	v_and_b32_e32 v2, 0xffff, v2
	s_and_saveexec_b32 s0, s10
	s_cbranch_execz .LBB695_94
; %bb.93:
	s_delay_alu instid0(VALU_DEP_1) | instskip(SKIP_1) | instid1(SALU_CYCLE_1)
	v_dual_lshrrev_b32 v3, s2, v2 :: v_dual_lshlrev_b32 v4, 2, v8
	s_sub_co_i32 s10, s3, s2
	s_min_u32 s10, s10, 8
	s_delay_alu instid0(VALU_DEP_1) | instid1(SALU_CYCLE_1)
	v_bfe_u32 v3, v3, 0, s10
	s_delay_alu instid0(VALU_DEP_1)
	v_lshl_or_b32 v3, v3, 4, v4
	v_mov_b32_e32 v4, 1
	ds_add_u32 v3, v4
	v_mov_b32_e32 v3, 0
.LBB695_94:
	s_or_b32 exec_lo, exec_lo, s0
	s_mov_b32 s10, -1
	s_mov_b32 s11, exec_lo
	s_delay_alu instid0(VALU_DEP_1)
	v_cmpx_gt_i32_e32 10, v3
; %bb.95:
	v_cmp_eq_u32_e64 s0, 0, v3
	s_or_not1_b32 s10, s0, exec_lo
; %bb.96:
	s_or_b32 exec_lo, exec_lo, s11
	s_and_saveexec_b32 s0, s10
	s_cbranch_execz .LBB695_99
; %bb.97:
	s_add_co_i32 s10, s2, 8
	s_delay_alu instid0(SALU_CYCLE_1) | instskip(SKIP_2) | instid1(SALU_CYCLE_1)
	s_cmp_gt_u32 s3, s10
	s_cselect_b32 s11, -1, 0
	s_xor_b32 s12, vcc_lo, -1
	s_and_b32 s11, s11, s12
	s_delay_alu instid0(SALU_CYCLE_1)
	s_and_b32 exec_lo, exec_lo, s11
	s_cbranch_execz .LBB695_99
; %bb.98:
	v_dual_lshrrev_b32 v2, s10, v2 :: v_dual_lshlrev_b32 v3, 2, v8
	s_sub_co_i32 s10, s3, s10
	s_delay_alu instid0(SALU_CYCLE_1)
	s_min_u32 s10, s10, 8
	s_delay_alu instid0(VALU_DEP_1) | instid1(SALU_CYCLE_1)
	v_bfe_u32 v2, v2, 0, s10
	s_delay_alu instid0(VALU_DEP_1)
	v_lshl_or_b32 v2, v2, 4, v3
	v_mov_b32_e32 v3, 1
	ds_add_u32 v2, v3 offset:4096
.LBB695_99:
	s_or_b32 exec_lo, exec_lo, s0
	v_xor_b32_e32 v2, 0xffff8000, v7
	v_cmp_le_u32_e32 vcc_lo, s1, v10
	v_mov_b32_e32 v3, s9
	s_delay_alu instid0(VALU_DEP_3) | instskip(SKIP_1) | instid1(SALU_CYCLE_1)
	v_and_b32_e32 v2, 0xffff, v2
	s_nor_b32 s10, s8, vcc_lo
	s_and_saveexec_b32 s0, s10
	s_cbranch_execz .LBB695_101
; %bb.100:
	s_delay_alu instid0(VALU_DEP_1) | instskip(SKIP_1) | instid1(SALU_CYCLE_1)
	v_dual_lshrrev_b32 v3, s2, v2 :: v_dual_lshlrev_b32 v4, 2, v8
	s_sub_co_i32 s10, s3, s2
	s_min_u32 s10, s10, 8
	s_delay_alu instid0(VALU_DEP_1) | instid1(SALU_CYCLE_1)
	v_bfe_u32 v3, v3, 0, s10
	s_delay_alu instid0(VALU_DEP_1)
	v_lshl_or_b32 v3, v3, 4, v4
	v_mov_b32_e32 v4, 1
	ds_add_u32 v3, v4
	v_mov_b32_e32 v3, 0
.LBB695_101:
	s_or_b32 exec_lo, exec_lo, s0
	s_mov_b32 s10, -1
	s_mov_b32 s11, exec_lo
	s_delay_alu instid0(VALU_DEP_1)
	v_cmpx_gt_i32_e32 10, v3
; %bb.102:
	v_cmp_eq_u32_e64 s0, 0, v3
	s_or_not1_b32 s10, s0, exec_lo
; %bb.103:
	s_or_b32 exec_lo, exec_lo, s11
	s_and_saveexec_b32 s0, s10
	s_cbranch_execz .LBB695_106
; %bb.104:
	s_add_co_i32 s10, s2, 8
	s_delay_alu instid0(SALU_CYCLE_1) | instskip(SKIP_2) | instid1(SALU_CYCLE_1)
	s_cmp_gt_u32 s3, s10
	s_cselect_b32 s11, -1, 0
	s_xor_b32 s12, vcc_lo, -1
	s_and_b32 s11, s11, s12
	s_delay_alu instid0(SALU_CYCLE_1)
	s_and_b32 exec_lo, exec_lo, s11
	s_cbranch_execz .LBB695_106
; %bb.105:
	v_dual_lshrrev_b32 v2, s10, v2 :: v_dual_lshlrev_b32 v3, 2, v8
	s_sub_co_i32 s10, s3, s10
	s_delay_alu instid0(SALU_CYCLE_1)
	s_min_u32 s10, s10, 8
	s_delay_alu instid0(VALU_DEP_1) | instid1(SALU_CYCLE_1)
	v_bfe_u32 v2, v2, 0, s10
	s_delay_alu instid0(VALU_DEP_1)
	v_lshl_or_b32 v2, v2, 4, v3
	v_mov_b32_e32 v3, 1
	ds_add_u32 v2, v3 offset:4096
.LBB695_106:
	s_or_b32 exec_lo, exec_lo, s0
	v_dual_mov_b32 v3, s9 :: v_dual_lshrrev_b32 v2, 16, v7
	v_cmp_le_u32_e32 vcc_lo, s1, v9
	s_delay_alu instid0(VALU_DEP_2) | instskip(SKIP_1) | instid1(VALU_DEP_1)
	v_xor_b32_e32 v2, 0xffff8000, v2
	s_nor_b32 s1, s8, vcc_lo
	v_and_b32_e32 v2, 0xffff, v2
	s_and_saveexec_b32 s0, s1
	s_cbranch_execz .LBB695_108
; %bb.107:
	s_delay_alu instid0(VALU_DEP_1) | instskip(SKIP_1) | instid1(SALU_CYCLE_1)
	v_dual_lshrrev_b32 v3, s2, v2 :: v_dual_lshlrev_b32 v4, 2, v8
	s_sub_co_i32 s1, s3, s2
	s_min_u32 s1, s1, 8
	s_delay_alu instid0(VALU_DEP_1) | instid1(SALU_CYCLE_1)
	v_bfe_u32 v3, v3, 0, s1
	s_delay_alu instid0(VALU_DEP_1)
	v_lshl_or_b32 v3, v3, 4, v4
	v_mov_b32_e32 v4, 1
	ds_add_u32 v3, v4
	v_mov_b32_e32 v3, 0
.LBB695_108:
	s_or_b32 exec_lo, exec_lo, s0
	s_mov_b32 s1, -1
	s_mov_b32 s8, exec_lo
	s_delay_alu instid0(VALU_DEP_1)
	v_cmpx_gt_i32_e32 10, v3
; %bb.109:
	v_cmp_eq_u32_e64 s0, 0, v3
	s_or_not1_b32 s1, s0, exec_lo
; %bb.110:
	s_or_b32 exec_lo, exec_lo, s8
	s_and_saveexec_b32 s0, s1
	s_cbranch_execz .LBB695_113
; %bb.111:
	s_add_co_i32 s1, s2, 8
	s_delay_alu instid0(SALU_CYCLE_1) | instskip(SKIP_2) | instid1(SALU_CYCLE_1)
	s_cmp_gt_u32 s3, s1
	s_cselect_b32 s8, -1, 0
	s_xor_b32 s9, vcc_lo, -1
	s_and_b32 s8, s8, s9
	s_delay_alu instid0(SALU_CYCLE_1)
	s_and_b32 exec_lo, exec_lo, s8
	s_cbranch_execz .LBB695_113
; %bb.112:
	v_dual_lshrrev_b32 v2, s1, v2 :: v_dual_lshlrev_b32 v3, 2, v8
	s_sub_co_i32 s1, s3, s1
	s_delay_alu instid0(SALU_CYCLE_1)
	s_min_u32 s1, s1, 8
	s_delay_alu instid0(VALU_DEP_1) | instid1(SALU_CYCLE_1)
	v_bfe_u32 v2, v2, 0, s1
	s_delay_alu instid0(VALU_DEP_1)
	v_lshl_or_b32 v2, v2, 4, v3
	v_mov_b32_e32 v3, 1
	ds_add_u32 v2, v3 offset:4096
.LBB695_113:
	s_or_b32 exec_lo, exec_lo, s0
	s_cmp_gt_u32 s3, s2
	s_wait_dscnt 0x0
	s_barrier_signal -1
	s_barrier_wait -1
	s_cbranch_scc0 .LBB695_118
; %bb.114:
	v_mad_u32_u24 v1, v0, 12, v1
	v_dual_mov_b32 v3, 0 :: v_dual_mov_b32 v4, v0
	s_mov_b32 s0, s2
	v_cmp_gt_u32_e32 vcc_lo, 0x100, v0
	s_branch .LBB695_116
.LBB695_115:                            ;   in Loop: Header=BB695_116 Depth=1
	s_wait_xcnt 0x0
	s_or_b32 exec_lo, exec_lo, s1
	v_add_nc_u32_e32 v4, 0x100, v4
	v_add_nc_u32_e32 v1, 0x1000, v1
	s_add_co_i32 s0, s0, 8
	s_delay_alu instid0(SALU_CYCLE_1)
	s_cmp_lt_u32 s0, s3
	s_cbranch_scc0 .LBB695_118
.LBB695_116:                            ; =>This Inner Loop Header: Depth=1
	s_and_saveexec_b32 s1, vcc_lo
	s_cbranch_execz .LBB695_115
; %bb.117:                              ;   in Loop: Header=BB695_116 Depth=1
	ds_load_2addr_b32 v[6:7], v1 offset1:1
	ds_load_2addr_b32 v[8:9], v1 offset0:2 offset1:3
	s_wait_dscnt 0x1
	v_add_nc_u32_e32 v2, v7, v6
	s_wait_dscnt 0x0
	s_delay_alu instid0(VALU_DEP_1)
	v_add3_u32 v2, v2, v8, v9
	global_atomic_add_u64 v4, v[2:3], s[6:7] scale_offset scope:SCOPE_DEV
	s_branch .LBB695_115
.LBB695_118:
	s_mov_b32 s9, 0
.LBB695_119:
	s_delay_alu instid0(SALU_CYCLE_1)
	s_and_b32 vcc_lo, exec_lo, s9
	s_cbranch_vccz .LBB695_164
; %bb.120:
	s_clause 0xb
	global_load_u16 v9, v0, s[4:5] scale_offset
	global_load_u16 v10, v0, s[4:5] offset:1024 scale_offset
	global_load_u16 v11, v0, s[4:5] offset:2048 scale_offset
	;; [unrolled: 1-line block ×11, first 2 shown]
	s_cmp_eq_u32 s2, 0
	v_dual_mov_b32 v2, 0 :: v_dual_lshlrev_b32 v15, 2, v0
	s_cselect_b32 s0, -1, 0
	s_cmp_eq_u32 s3, 16
	s_wait_xcnt 0x0
	v_cmp_gt_u32_e64 s4, 3, 1
	s_cselect_b32 s1, -1, 0
	s_delay_alu instid0(SALU_CYCLE_1)
	s_and_b32 s0, s0, s1
	s_mov_b32 s1, -1
	s_and_b32 vcc_lo, exec_lo, s0
	v_cmp_gt_u32_e64 s0, 3, 2
	s_cbranch_vccnz .LBB695_157
; %bb.121:
	ds_store_2addr_stride64_b32 v15, v2, v2 offset1:8
	s_and_saveexec_b32 s1, s4
; %bb.122:
	v_mov_b32_e32 v2, 0
	ds_store_b32 v15, v2 offset:4096
; %bb.123:
	s_or_b32 exec_lo, exec_lo, s1
	s_and_saveexec_b32 s1, s0
; %bb.124:
	v_mov_b32_e32 v2, 0
	ds_store_b32 v15, v2 offset:6144
; %bb.125:
	s_or_b32 exec_lo, exec_lo, s1
	s_cmp_gt_u32 s3, s2
	s_wait_storecnt 0x0
	s_wait_loadcnt_dscnt 0x0
	s_cselect_b32 s0, -1, 0
	s_barrier_signal -1
	s_and_b32 vcc_lo, exec_lo, s0
	s_barrier_wait -1
	s_cbranch_vccz .LBB695_151
; %bb.126:
	v_xor_b32_e32 v2, 0xffff8000, v9
	s_sub_co_i32 s1, s3, s2
	s_mov_b32 s8, -1
	s_min_u32 s1, s1, 8
	v_mov_b32_e32 v18, 1
	v_and_b32_e32 v16, 0xffff, v2
	v_and_b32_e32 v2, 3, v0
	s_lshl_b32 s4, -1, s1
	s_add_co_i32 s1, s2, 8
	s_delay_alu instid0(VALU_DEP_1) | instskip(NEXT) | instid1(VALU_DEP_1)
	v_dual_lshrrev_b32 v17, s2, v16 :: v_dual_lshlrev_b32 v3, 2, v2
	v_bitop3_b32 v17, v17, s4, v17 bitop3:0x30
	s_not_b32 s4, s4
	s_cmp_le_u32 s3, s1
	s_cselect_b32 s5, -1, 0
	s_delay_alu instid0(VALU_DEP_1) | instskip(SKIP_3) | instid1(VALU_DEP_1)
	v_lshl_or_b32 v17, v17, 4, v3
	s_and_b32 vcc_lo, exec_lo, s5
	ds_add_u32 v17, v18
	v_xor_b32_e32 v17, 0xffff8000, v10
                                        ; implicit-def: $vgpr18
	v_and_b32_e32 v17, 0xffff, v17
	s_cbranch_vccz .LBB695_128
; %bb.127:
	s_delay_alu instid0(VALU_DEP_1) | instskip(SKIP_1) | instid1(VALU_DEP_1)
	v_lshrrev_b32_e32 v18, s2, v17
	s_mov_b32 s8, 0
	v_and_b32_e32 v18, s4, v18
	s_delay_alu instid0(VALU_DEP_1)
	v_lshlrev_b32_e32 v18, 4, v18
.LBB695_128:
	s_and_not1_b32 vcc_lo, exec_lo, s8
	s_cbranch_vccnz .LBB695_130
; %bb.129:
	s_sub_co_i32 s8, s3, s1
	v_dual_lshrrev_b32 v16, s1, v16 :: v_dual_lshrrev_b32 v18, s2, v17
	s_min_u32 s8, s8, 8
	v_mov_b32_e32 v19, 1
	s_lshl_b32 s8, -1, s8
	s_delay_alu instid0(VALU_DEP_2) | instid1(SALU_CYCLE_1)
	v_bitop3_b32 v16, v16, s8, v16 bitop3:0x30
	v_and_b32_e32 v18, s4, v18
	s_delay_alu instid0(VALU_DEP_2) | instskip(NEXT) | instid1(VALU_DEP_2)
	v_lshl_or_b32 v16, v16, 4, v3
	v_lshl_or_b32 v18, v18, 4, v3
	ds_add_u32 v16, v19 offset:4096
	ds_add_u32 v18, v19
	v_lshrrev_b32_e32 v16, s1, v17
	s_delay_alu instid0(VALU_DEP_1) | instskip(NEXT) | instid1(VALU_DEP_1)
	v_bitop3_b32 v16, v16, s8, v16 bitop3:0x30
	v_lshl_add_u32 v18, v16, 4, 0x1000
.LBB695_130:
	v_xor_b32_e32 v16, 0xffff8000, v11
	s_and_b32 vcc_lo, exec_lo, s5
	s_delay_alu instid0(VALU_DEP_2) | instskip(NEXT) | instid1(VALU_DEP_2)
	v_dual_mov_b32 v19, 1 :: v_dual_add_nc_u32 v18, v18, v3
	v_and_b32_e32 v17, 0xffff, v16
	s_delay_alu instid0(VALU_DEP_1) | instskip(NEXT) | instid1(VALU_DEP_1)
	v_lshrrev_b32_e32 v16, s2, v17
	v_and_b32_e32 v16, s4, v16
	s_delay_alu instid0(VALU_DEP_1) | instskip(SKIP_3) | instid1(VALU_DEP_1)
	v_lshl_or_b32 v16, v16, 4, v3
	ds_add_u32 v18, v19
	ds_add_u32 v16, v19
	v_xor_b32_e32 v16, 0xffff8000, v12
	v_and_b32_e32 v16, 0xffff, v16
	s_cbranch_vccz .LBB695_132
; %bb.131:
	s_delay_alu instid0(VALU_DEP_1) | instskip(NEXT) | instid1(VALU_DEP_1)
	v_lshrrev_b32_e32 v18, s2, v16
	v_and_b32_e32 v18, s4, v18
	s_delay_alu instid0(VALU_DEP_1)
	v_lshlrev_b32_e32 v18, 4, v18
	s_cbranch_execz .LBB695_133
	s_branch .LBB695_134
.LBB695_132:
                                        ; implicit-def: $vgpr18
.LBB695_133:
	s_sub_co_i32 s8, s3, s1
	s_delay_alu instid0(VALU_DEP_1) | instskip(SKIP_3) | instid1(VALU_DEP_2)
	v_dual_lshrrev_b32 v17, s1, v17 :: v_dual_lshrrev_b32 v18, s2, v16
	s_min_u32 s8, s8, 8
	v_lshrrev_b32_e32 v16, s1, v16
	s_lshl_b32 s8, -1, s8
	v_dual_mov_b32 v19, 1 :: v_dual_bitop2_b32 v18, s4, v18 bitop3:0x40
	v_bitop3_b32 v17, v17, s8, v17 bitop3:0x30
	s_delay_alu instid0(VALU_DEP_3) | instskip(NEXT) | instid1(VALU_DEP_3)
	v_bitop3_b32 v16, v16, s8, v16 bitop3:0x30
	v_lshl_or_b32 v18, v18, 4, v3
	s_delay_alu instid0(VALU_DEP_3)
	v_lshl_or_b32 v17, v17, 4, v3
	ds_add_u32 v17, v19 offset:4096
	ds_add_u32 v18, v19
	v_lshl_add_u32 v18, v16, 4, 0x1000
.LBB695_134:
	v_xor_b32_e32 v16, 0xffff8000, v13
	s_and_b32 vcc_lo, exec_lo, s5
	s_delay_alu instid0(VALU_DEP_2) | instskip(NEXT) | instid1(VALU_DEP_2)
	v_dual_mov_b32 v19, 1 :: v_dual_add_nc_u32 v18, v18, v3
	v_and_b32_e32 v17, 0xffff, v16
	s_delay_alu instid0(VALU_DEP_1) | instskip(NEXT) | instid1(VALU_DEP_1)
	v_lshrrev_b32_e32 v16, s2, v17
	v_and_b32_e32 v16, s4, v16
	s_delay_alu instid0(VALU_DEP_1) | instskip(SKIP_3) | instid1(VALU_DEP_1)
	v_lshl_or_b32 v16, v16, 4, v3
	ds_add_u32 v18, v19
	ds_add_u32 v16, v19
	v_xor_b32_e32 v16, 0xffff8000, v14
	v_and_b32_e32 v16, 0xffff, v16
	s_cbranch_vccz .LBB695_136
; %bb.135:
	s_delay_alu instid0(VALU_DEP_1) | instskip(NEXT) | instid1(VALU_DEP_1)
	v_lshrrev_b32_e32 v18, s2, v16
	v_and_b32_e32 v18, s4, v18
	s_delay_alu instid0(VALU_DEP_1)
	v_lshlrev_b32_e32 v18, 4, v18
	s_cbranch_execz .LBB695_137
	s_branch .LBB695_138
.LBB695_136:
                                        ; implicit-def: $vgpr18
.LBB695_137:
	s_sub_co_i32 s8, s3, s1
	s_delay_alu instid0(VALU_DEP_1) | instskip(SKIP_3) | instid1(VALU_DEP_2)
	v_dual_lshrrev_b32 v17, s1, v17 :: v_dual_lshrrev_b32 v18, s2, v16
	s_min_u32 s8, s8, 8
	v_lshrrev_b32_e32 v16, s1, v16
	s_lshl_b32 s8, -1, s8
	v_dual_mov_b32 v19, 1 :: v_dual_bitop2_b32 v18, s4, v18 bitop3:0x40
	v_bitop3_b32 v17, v17, s8, v17 bitop3:0x30
	s_delay_alu instid0(VALU_DEP_3) | instskip(NEXT) | instid1(VALU_DEP_3)
	v_bitop3_b32 v16, v16, s8, v16 bitop3:0x30
	v_lshl_or_b32 v18, v18, 4, v3
	s_delay_alu instid0(VALU_DEP_3)
	v_lshl_or_b32 v17, v17, 4, v3
	ds_add_u32 v17, v19 offset:4096
	ds_add_u32 v18, v19
	v_lshl_add_u32 v18, v16, 4, 0x1000
.LBB695_138:
	v_xor_b32_e32 v16, 0xffff8000, v6
	s_and_b32 vcc_lo, exec_lo, s5
	s_delay_alu instid0(VALU_DEP_2) | instskip(NEXT) | instid1(VALU_DEP_2)
	v_dual_mov_b32 v19, 1 :: v_dual_add_nc_u32 v18, v18, v3
	v_and_b32_e32 v17, 0xffff, v16
	s_delay_alu instid0(VALU_DEP_1) | instskip(NEXT) | instid1(VALU_DEP_1)
	v_lshrrev_b32_e32 v16, s2, v17
	v_and_b32_e32 v16, s4, v16
	s_delay_alu instid0(VALU_DEP_1) | instskip(SKIP_3) | instid1(VALU_DEP_1)
	v_lshl_or_b32 v16, v16, 4, v3
	ds_add_u32 v18, v19
	ds_add_u32 v16, v19
	v_xor_b32_e32 v16, 0xffff8000, v7
	v_and_b32_e32 v16, 0xffff, v16
	s_cbranch_vccz .LBB695_140
; %bb.139:
	s_delay_alu instid0(VALU_DEP_1) | instskip(NEXT) | instid1(VALU_DEP_1)
	v_lshrrev_b32_e32 v18, s2, v16
	v_and_b32_e32 v18, s4, v18
	s_delay_alu instid0(VALU_DEP_1)
	v_lshlrev_b32_e32 v18, 4, v18
	s_cbranch_execz .LBB695_141
	s_branch .LBB695_142
.LBB695_140:
                                        ; implicit-def: $vgpr18
.LBB695_141:
	s_sub_co_i32 s8, s3, s1
	s_delay_alu instid0(VALU_DEP_1) | instskip(SKIP_3) | instid1(VALU_DEP_2)
	v_dual_lshrrev_b32 v17, s1, v17 :: v_dual_lshrrev_b32 v18, s2, v16
	s_min_u32 s8, s8, 8
	v_lshrrev_b32_e32 v16, s1, v16
	s_lshl_b32 s8, -1, s8
	v_dual_mov_b32 v19, 1 :: v_dual_bitop2_b32 v18, s4, v18 bitop3:0x40
	v_bitop3_b32 v17, v17, s8, v17 bitop3:0x30
	s_delay_alu instid0(VALU_DEP_3) | instskip(NEXT) | instid1(VALU_DEP_3)
	v_bitop3_b32 v16, v16, s8, v16 bitop3:0x30
	v_lshl_or_b32 v18, v18, 4, v3
	s_delay_alu instid0(VALU_DEP_3)
	v_lshl_or_b32 v17, v17, 4, v3
	ds_add_u32 v17, v19 offset:4096
	ds_add_u32 v18, v19
	v_lshl_add_u32 v18, v16, 4, 0x1000
.LBB695_142:
	v_xor_b32_e32 v16, 0xffff8000, v8
	s_and_b32 vcc_lo, exec_lo, s5
	s_delay_alu instid0(VALU_DEP_2) | instskip(NEXT) | instid1(VALU_DEP_2)
	v_dual_mov_b32 v19, 1 :: v_dual_add_nc_u32 v18, v18, v3
	v_and_b32_e32 v17, 0xffff, v16
	s_delay_alu instid0(VALU_DEP_1) | instskip(NEXT) | instid1(VALU_DEP_1)
	v_lshrrev_b32_e32 v16, s2, v17
	v_and_b32_e32 v16, s4, v16
	s_delay_alu instid0(VALU_DEP_1) | instskip(SKIP_3) | instid1(VALU_DEP_1)
	v_lshl_or_b32 v16, v16, 4, v3
	ds_add_u32 v18, v19
	ds_add_u32 v16, v19
	v_xor_b32_e32 v16, 0xffff8000, v4
	v_and_b32_e32 v16, 0xffff, v16
	s_cbranch_vccz .LBB695_144
; %bb.143:
	s_delay_alu instid0(VALU_DEP_1) | instskip(NEXT) | instid1(VALU_DEP_1)
	v_lshrrev_b32_e32 v18, s2, v16
	v_and_b32_e32 v18, s4, v18
	s_delay_alu instid0(VALU_DEP_1)
	v_lshlrev_b32_e32 v18, 4, v18
	s_cbranch_execz .LBB695_145
	s_branch .LBB695_146
.LBB695_144:
                                        ; implicit-def: $vgpr18
.LBB695_145:
	s_sub_co_i32 s8, s3, s1
	s_delay_alu instid0(VALU_DEP_1) | instskip(SKIP_3) | instid1(VALU_DEP_2)
	v_dual_lshrrev_b32 v17, s1, v17 :: v_dual_lshrrev_b32 v18, s2, v16
	s_min_u32 s8, s8, 8
	v_lshrrev_b32_e32 v16, s1, v16
	s_lshl_b32 s8, -1, s8
	v_dual_mov_b32 v19, 1 :: v_dual_bitop2_b32 v18, s4, v18 bitop3:0x40
	v_bitop3_b32 v17, v17, s8, v17 bitop3:0x30
	s_delay_alu instid0(VALU_DEP_3) | instskip(NEXT) | instid1(VALU_DEP_3)
	v_bitop3_b32 v16, v16, s8, v16 bitop3:0x30
	v_lshl_or_b32 v18, v18, 4, v3
	s_delay_alu instid0(VALU_DEP_3)
	v_lshl_or_b32 v17, v17, 4, v3
	ds_add_u32 v17, v19 offset:4096
	ds_add_u32 v18, v19
	v_lshl_add_u32 v18, v16, 4, 0x1000
.LBB695_146:
	v_xor_b32_e32 v16, 0xffff8000, v5
	s_and_b32 vcc_lo, exec_lo, s5
	s_delay_alu instid0(VALU_DEP_2) | instskip(NEXT) | instid1(VALU_DEP_2)
	v_dual_mov_b32 v19, 1 :: v_dual_add_nc_u32 v18, v18, v3
	v_and_b32_e32 v17, 0xffff, v16
	s_delay_alu instid0(VALU_DEP_1) | instskip(NEXT) | instid1(VALU_DEP_1)
	v_lshrrev_b32_e32 v16, s2, v17
	v_and_b32_e32 v16, s4, v16
	s_delay_alu instid0(VALU_DEP_1) | instskip(SKIP_3) | instid1(VALU_DEP_1)
	v_lshl_or_b32 v16, v16, 4, v3
	ds_add_u32 v18, v19
	ds_add_u32 v16, v19
	v_xor_b32_e32 v16, 0xffff8000, v1
	v_and_b32_e32 v16, 0xffff, v16
	s_cbranch_vccz .LBB695_148
; %bb.147:
	s_delay_alu instid0(VALU_DEP_1) | instskip(NEXT) | instid1(VALU_DEP_1)
	v_lshrrev_b32_e32 v18, s2, v16
	v_and_b32_e32 v18, s4, v18
	s_delay_alu instid0(VALU_DEP_1)
	v_lshlrev_b32_e32 v18, 4, v18
	s_cbranch_execz .LBB695_149
	s_branch .LBB695_150
.LBB695_148:
                                        ; implicit-def: $vgpr18
.LBB695_149:
	s_sub_co_i32 s5, s3, s1
	s_delay_alu instid0(VALU_DEP_1)
	v_dual_lshrrev_b32 v17, s1, v17 :: v_dual_lshrrev_b32 v18, s2, v16
	s_min_u32 s5, s5, 8
	v_mov_b32_e32 v19, 1
	s_lshl_b32 s5, -1, s5
	s_delay_alu instid0(VALU_DEP_2) | instid1(SALU_CYCLE_1)
	v_bitop3_b32 v17, v17, s5, v17 bitop3:0x30
	v_and_b32_e32 v18, s4, v18
	s_delay_alu instid0(VALU_DEP_2) | instskip(NEXT) | instid1(VALU_DEP_2)
	v_lshl_or_b32 v17, v17, 4, v3
	v_lshl_or_b32 v3, v18, 4, v3
	ds_add_u32 v17, v19 offset:4096
	ds_add_u32 v3, v19
	v_lshrrev_b32_e32 v3, s1, v16
	s_delay_alu instid0(VALU_DEP_1) | instskip(NEXT) | instid1(VALU_DEP_1)
	v_bitop3_b32 v3, v3, s5, v3 bitop3:0x30
	v_lshl_add_u32 v18, v3, 4, 0x1000
.LBB695_150:
	s_delay_alu instid0(VALU_DEP_1)
	v_lshl_add_u32 v2, v2, 2, v18
	v_mov_b32_e32 v3, 1
	ds_add_u32 v2, v3
.LBB695_151:
	s_and_b32 vcc_lo, exec_lo, s0
	s_wait_dscnt 0x0
	s_barrier_signal -1
	s_barrier_wait -1
	s_cbranch_vccz .LBB695_156
; %bb.152:
	v_dual_mov_b32 v3, 0 :: v_dual_lshlrev_b32 v16, 4, v0
	v_mov_b32_e32 v17, v0
	v_cmp_gt_u32_e32 vcc_lo, 0x100, v0
	s_branch .LBB695_154
.LBB695_153:                            ;   in Loop: Header=BB695_154 Depth=1
	s_wait_xcnt 0x0
	s_or_b32 exec_lo, exec_lo, s0
	v_add_nc_u32_e32 v17, 0x100, v17
	v_add_nc_u32_e32 v16, 0x1000, v16
	s_add_co_i32 s2, s2, 8
	s_delay_alu instid0(SALU_CYCLE_1)
	s_cmp_ge_u32 s2, s3
	s_cbranch_scc1 .LBB695_156
.LBB695_154:                            ; =>This Inner Loop Header: Depth=1
	s_and_saveexec_b32 s0, vcc_lo
	s_cbranch_execz .LBB695_153
; %bb.155:                              ;   in Loop: Header=BB695_154 Depth=1
	ds_load_2addr_b32 v[18:19], v16 offset1:1
	ds_load_2addr_b32 v[20:21], v16 offset0:2 offset1:3
	s_wait_dscnt 0x1
	v_add_nc_u32_e32 v2, v19, v18
	s_wait_dscnt 0x0
	s_delay_alu instid0(VALU_DEP_1)
	v_add3_u32 v2, v2, v20, v21
	global_atomic_add_u64 v17, v[2:3], s[6:7] scale_offset scope:SCOPE_DEV
	s_branch .LBB695_153
.LBB695_156:
	s_mov_b32 s1, 0
.LBB695_157:
	s_delay_alu instid0(SALU_CYCLE_1)
	s_and_b32 vcc_lo, exec_lo, s1
	s_cbranch_vccz .LBB695_164
; %bb.158:
	v_mov_b32_e32 v2, 0
	v_cmp_gt_u32_e64 s0, 3, 2
	s_mov_b32 s1, exec_lo
	ds_store_2addr_stride64_b32 v15, v2, v2 offset1:8
	v_cmpx_gt_u32_e64 3, 1
; %bb.159:
	ds_store_b32 v15, v2 offset:4096
; %bb.160:
	s_or_b32 exec_lo, exec_lo, s1
	s_and_saveexec_b32 s1, s0
; %bb.161:
	v_mov_b32_e32 v2, 0
	ds_store_b32 v15, v2 offset:6144
; %bb.162:
	s_or_b32 exec_lo, exec_lo, s1
	s_wait_loadcnt 0xb
	v_xor_b32_e32 v2, 0xffff8000, v9
	s_wait_loadcnt 0x9
	v_xor_b32_e32 v9, 0xffff8000, v11
	;; [unrolled: 2-line block ×3, first 2 shown]
	v_xor_b32_e32 v3, 0xffff8000, v10
	v_xor_b32_e32 v10, 0xffff8000, v12
	v_and_b32_e32 v2, 0xffff, v2
	v_and_b32_e32 v13, 3, v0
	s_wait_loadcnt 0x6
	v_xor_b32_e32 v12, 0xffff8000, v14
	v_and_b32_e32 v3, 0xffff, v3
	v_dual_mov_b32 v15, 1 :: v_dual_lshlrev_b32 v14, 4, v2
	v_dual_lshlrev_b32 v13, 2, v13 :: v_dual_lshrrev_b32 v2, 4, v2
	s_delay_alu instid0(VALU_DEP_3) | instskip(SKIP_2) | instid1(VALU_DEP_4)
	v_lshlrev_b32_e32 v16, 4, v3
	v_and_b32_e32 v9, 0xffff, v9
	v_lshrrev_b32_e32 v3, 4, v3
	v_and_or_b32 v14, 0xff0, v14, v13
	v_and_or_b32 v2, 0xff0, v2, v13
	s_wait_storecnt 0x0
	s_wait_loadcnt_dscnt 0x0
	s_barrier_signal -1
	s_barrier_wait -1
	ds_add_u32 v14, v15
	ds_add_u32 v2, v15 offset:4096
	v_and_or_b32 v2, 0xff0, v16, v13
	v_and_b32_e32 v10, 0xffff, v10
	v_lshlrev_b32_e32 v14, 4, v9
	v_and_or_b32 v3, 0xff0, v3, v13
	v_lshrrev_b32_e32 v9, 4, v9
	ds_add_u32 v2, v15
	ds_add_u32 v3, v15 offset:4096
	v_lshlrev_b32_e32 v2, 4, v10
	v_and_or_b32 v3, 0xff0, v14, v13
	v_and_b32_e32 v11, 0xffff, v11
	v_and_or_b32 v9, 0xff0, v9, v13
	v_lshrrev_b32_e32 v10, 4, v10
	v_and_or_b32 v2, 0xff0, v2, v13
	v_xor_b32_e32 v6, 0xffff8000, v6
	ds_add_u32 v3, v15
	ds_add_u32 v9, v15 offset:4096
	v_lshlrev_b32_e32 v3, 4, v11
	v_and_or_b32 v9, 0xff0, v10, v13
	ds_add_u32 v2, v15
	v_and_b32_e32 v2, 0xffff, v12
	v_xor_b32_e32 v7, 0xffff8000, v7
	v_and_or_b32 v3, 0xff0, v3, v13
	v_and_b32_e32 v6, 0xffff, v6
	v_lshrrev_b32_e32 v10, 4, v11
	ds_add_u32 v9, v15 offset:4096
	v_lshlrev_b32_e32 v9, 4, v2
	v_and_b32_e32 v7, 0xffff, v7
	v_lshrrev_b32_e32 v2, 4, v2
	ds_add_u32 v3, v15
	v_dual_lshlrev_b32 v3, 4, v6 :: v_dual_lshrrev_b32 v6, 4, v6
	v_and_or_b32 v10, 0xff0, v10, v13
	v_and_or_b32 v9, 0xff0, v9, v13
	v_xor_b32_e32 v8, 0xffff8000, v8
	v_and_or_b32 v2, 0xff0, v2, v13
	v_and_or_b32 v3, 0xff0, v3, v13
	v_xor_b32_e32 v4, 0xffff8000, v4
	ds_add_u32 v10, v15 offset:4096
	ds_add_u32 v9, v15
	v_and_or_b32 v6, 0xff0, v6, v13
	ds_add_u32 v2, v15 offset:4096
	ds_add_u32 v3, v15
	v_and_b32_e32 v2, 0xffff, v8
	v_lshlrev_b32_e32 v3, 4, v7
	v_and_b32_e32 v4, 0xffff, v4
	ds_add_u32 v6, v15 offset:4096
	v_dual_lshrrev_b32 v6, 4, v7 :: v_dual_lshlrev_b32 v7, 4, v2
	v_dual_lshrrev_b32 v2, 4, v2 :: v_dual_lshlrev_b32 v8, 4, v4
	v_xor_b32_e32 v5, 0xffff8000, v5
	v_and_or_b32 v3, 0xff0, v3, v13
	v_xor_b32_e32 v1, 0xffff8000, v1
	v_and_or_b32 v6, 0xff0, v6, v13
	v_and_or_b32 v7, 0xff0, v7, v13
	;; [unrolled: 1-line block ×3, first 2 shown]
	ds_add_u32 v3, v15
	v_and_or_b32 v3, 0xff0, v8, v13
	v_and_b32_e32 v5, 0xffff, v5
	ds_add_u32 v6, v15 offset:4096
	v_and_b32_e32 v1, 0xffff, v1
	ds_add_u32 v7, v15
	ds_add_u32 v2, v15 offset:4096
	v_lshrrev_b32_e32 v2, 4, v4
	ds_add_u32 v3, v15
	v_dual_lshlrev_b32 v3, 4, v5 :: v_dual_lshrrev_b32 v4, 4, v5
	v_dual_lshlrev_b32 v5, 4, v1 :: v_dual_lshrrev_b32 v1, 4, v1
	v_and_or_b32 v2, 0xff0, v2, v13
	s_delay_alu instid0(VALU_DEP_3) | instskip(NEXT) | instid1(VALU_DEP_4)
	v_and_or_b32 v3, 0xff0, v3, v13
	v_and_or_b32 v4, 0xff0, v4, v13
	s_delay_alu instid0(VALU_DEP_4)
	v_and_or_b32 v5, 0xff0, v5, v13
	v_and_or_b32 v1, 0xff0, v1, v13
	ds_add_u32 v2, v15 offset:4096
	ds_add_u32 v3, v15
	ds_add_u32 v4, v15 offset:4096
	ds_add_u32 v5, v15
	ds_add_u32 v1, v15 offset:4096
	s_wait_dscnt 0x0
	s_barrier_signal -1
	s_barrier_wait -1
	s_mov_b32 s0, exec_lo
	v_cmpx_gt_u32_e32 0x100, v0
	s_cbranch_execz .LBB695_164
; %bb.163:
	v_lshlrev_b32_e32 v1, 4, v0
	ds_load_2addr_b32 v[2:3], v1 offset1:1
	ds_load_2addr_b32 v[4:5], v1 offset0:2 offset1:3
	s_wait_dscnt 0x1
	v_dual_mov_b32 v3, 0 :: v_dual_add_nc_u32 v2, v3, v2
	s_wait_dscnt 0x0
	s_delay_alu instid0(VALU_DEP_1)
	v_add3_u32 v2, v2, v4, v5
	v_add_nc_u32_e32 v4, 0x1000, v1
	v_add_nc_u32_e32 v1, 0x1008, v1
	global_atomic_add_u64 v0, v[2:3], s[6:7] scale_offset scope:SCOPE_DEV
	ds_load_2addr_b32 v[4:5], v4 offset1:1
	ds_load_2addr_b32 v[6:7], v1 offset1:1
	s_wait_dscnt 0x1
	v_add_nc_u32_e32 v1, v5, v4
	s_wait_dscnt 0x0
	s_wait_xcnt 0x0
	s_delay_alu instid0(VALU_DEP_1)
	v_add3_u32 v2, v1, v6, v7
	global_atomic_add_u64 v0, v[2:3], s[6:7] offset:2048 scale_offset scope:SCOPE_DEV
.LBB695_164:
	s_endpgm
	.section	.rodata,"a",@progbits
	.p2align	6, 0x0
	.amdhsa_kernel _ZN7rocprim17ROCPRIM_400000_NS6detail17trampoline_kernelINS0_14default_configENS1_35radix_sort_onesweep_config_selectorIsNS0_10empty_typeEEEZNS1_34radix_sort_onesweep_global_offsetsIS3_Lb0EPKsPS5_mNS0_19identity_decomposerEEE10hipError_tT1_T2_PT3_SF_jT4_jjP12ihipStream_tbEUlT_E_NS1_11comp_targetILNS1_3genE0ELNS1_11target_archE4294967295ELNS1_3gpuE0ELNS1_3repE0EEENS1_52radix_sort_onesweep_histogram_config_static_selectorELNS0_4arch9wavefront6targetE0EEEvSD_
		.amdhsa_group_segment_fixed_size 8192
		.amdhsa_private_segment_fixed_size 0
		.amdhsa_kernarg_size 48
		.amdhsa_user_sgpr_count 2
		.amdhsa_user_sgpr_dispatch_ptr 0
		.amdhsa_user_sgpr_queue_ptr 0
		.amdhsa_user_sgpr_kernarg_segment_ptr 1
		.amdhsa_user_sgpr_dispatch_id 0
		.amdhsa_user_sgpr_kernarg_preload_length 0
		.amdhsa_user_sgpr_kernarg_preload_offset 0
		.amdhsa_user_sgpr_private_segment_size 0
		.amdhsa_wavefront_size32 1
		.amdhsa_uses_dynamic_stack 0
		.amdhsa_enable_private_segment 0
		.amdhsa_system_sgpr_workgroup_id_x 1
		.amdhsa_system_sgpr_workgroup_id_y 0
		.amdhsa_system_sgpr_workgroup_id_z 0
		.amdhsa_system_sgpr_workgroup_info 0
		.amdhsa_system_vgpr_workitem_id 0
		.amdhsa_next_free_vgpr 23
		.amdhsa_next_free_sgpr 13
		.amdhsa_named_barrier_count 0
		.amdhsa_reserve_vcc 1
		.amdhsa_float_round_mode_32 0
		.amdhsa_float_round_mode_16_64 0
		.amdhsa_float_denorm_mode_32 3
		.amdhsa_float_denorm_mode_16_64 3
		.amdhsa_fp16_overflow 0
		.amdhsa_memory_ordered 1
		.amdhsa_forward_progress 1
		.amdhsa_inst_pref_size 56
		.amdhsa_round_robin_scheduling 0
		.amdhsa_exception_fp_ieee_invalid_op 0
		.amdhsa_exception_fp_denorm_src 0
		.amdhsa_exception_fp_ieee_div_zero 0
		.amdhsa_exception_fp_ieee_overflow 0
		.amdhsa_exception_fp_ieee_underflow 0
		.amdhsa_exception_fp_ieee_inexact 0
		.amdhsa_exception_int_div_zero 0
	.end_amdhsa_kernel
	.section	.text._ZN7rocprim17ROCPRIM_400000_NS6detail17trampoline_kernelINS0_14default_configENS1_35radix_sort_onesweep_config_selectorIsNS0_10empty_typeEEEZNS1_34radix_sort_onesweep_global_offsetsIS3_Lb0EPKsPS5_mNS0_19identity_decomposerEEE10hipError_tT1_T2_PT3_SF_jT4_jjP12ihipStream_tbEUlT_E_NS1_11comp_targetILNS1_3genE0ELNS1_11target_archE4294967295ELNS1_3gpuE0ELNS1_3repE0EEENS1_52radix_sort_onesweep_histogram_config_static_selectorELNS0_4arch9wavefront6targetE0EEEvSD_,"axG",@progbits,_ZN7rocprim17ROCPRIM_400000_NS6detail17trampoline_kernelINS0_14default_configENS1_35radix_sort_onesweep_config_selectorIsNS0_10empty_typeEEEZNS1_34radix_sort_onesweep_global_offsetsIS3_Lb0EPKsPS5_mNS0_19identity_decomposerEEE10hipError_tT1_T2_PT3_SF_jT4_jjP12ihipStream_tbEUlT_E_NS1_11comp_targetILNS1_3genE0ELNS1_11target_archE4294967295ELNS1_3gpuE0ELNS1_3repE0EEENS1_52radix_sort_onesweep_histogram_config_static_selectorELNS0_4arch9wavefront6targetE0EEEvSD_,comdat
.Lfunc_end695:
	.size	_ZN7rocprim17ROCPRIM_400000_NS6detail17trampoline_kernelINS0_14default_configENS1_35radix_sort_onesweep_config_selectorIsNS0_10empty_typeEEEZNS1_34radix_sort_onesweep_global_offsetsIS3_Lb0EPKsPS5_mNS0_19identity_decomposerEEE10hipError_tT1_T2_PT3_SF_jT4_jjP12ihipStream_tbEUlT_E_NS1_11comp_targetILNS1_3genE0ELNS1_11target_archE4294967295ELNS1_3gpuE0ELNS1_3repE0EEENS1_52radix_sort_onesweep_histogram_config_static_selectorELNS0_4arch9wavefront6targetE0EEEvSD_, .Lfunc_end695-_ZN7rocprim17ROCPRIM_400000_NS6detail17trampoline_kernelINS0_14default_configENS1_35radix_sort_onesweep_config_selectorIsNS0_10empty_typeEEEZNS1_34radix_sort_onesweep_global_offsetsIS3_Lb0EPKsPS5_mNS0_19identity_decomposerEEE10hipError_tT1_T2_PT3_SF_jT4_jjP12ihipStream_tbEUlT_E_NS1_11comp_targetILNS1_3genE0ELNS1_11target_archE4294967295ELNS1_3gpuE0ELNS1_3repE0EEENS1_52radix_sort_onesweep_histogram_config_static_selectorELNS0_4arch9wavefront6targetE0EEEvSD_
                                        ; -- End function
	.set _ZN7rocprim17ROCPRIM_400000_NS6detail17trampoline_kernelINS0_14default_configENS1_35radix_sort_onesweep_config_selectorIsNS0_10empty_typeEEEZNS1_34radix_sort_onesweep_global_offsetsIS3_Lb0EPKsPS5_mNS0_19identity_decomposerEEE10hipError_tT1_T2_PT3_SF_jT4_jjP12ihipStream_tbEUlT_E_NS1_11comp_targetILNS1_3genE0ELNS1_11target_archE4294967295ELNS1_3gpuE0ELNS1_3repE0EEENS1_52radix_sort_onesweep_histogram_config_static_selectorELNS0_4arch9wavefront6targetE0EEEvSD_.num_vgpr, 23
	.set _ZN7rocprim17ROCPRIM_400000_NS6detail17trampoline_kernelINS0_14default_configENS1_35radix_sort_onesweep_config_selectorIsNS0_10empty_typeEEEZNS1_34radix_sort_onesweep_global_offsetsIS3_Lb0EPKsPS5_mNS0_19identity_decomposerEEE10hipError_tT1_T2_PT3_SF_jT4_jjP12ihipStream_tbEUlT_E_NS1_11comp_targetILNS1_3genE0ELNS1_11target_archE4294967295ELNS1_3gpuE0ELNS1_3repE0EEENS1_52radix_sort_onesweep_histogram_config_static_selectorELNS0_4arch9wavefront6targetE0EEEvSD_.num_agpr, 0
	.set _ZN7rocprim17ROCPRIM_400000_NS6detail17trampoline_kernelINS0_14default_configENS1_35radix_sort_onesweep_config_selectorIsNS0_10empty_typeEEEZNS1_34radix_sort_onesweep_global_offsetsIS3_Lb0EPKsPS5_mNS0_19identity_decomposerEEE10hipError_tT1_T2_PT3_SF_jT4_jjP12ihipStream_tbEUlT_E_NS1_11comp_targetILNS1_3genE0ELNS1_11target_archE4294967295ELNS1_3gpuE0ELNS1_3repE0EEENS1_52radix_sort_onesweep_histogram_config_static_selectorELNS0_4arch9wavefront6targetE0EEEvSD_.numbered_sgpr, 13
	.set _ZN7rocprim17ROCPRIM_400000_NS6detail17trampoline_kernelINS0_14default_configENS1_35radix_sort_onesweep_config_selectorIsNS0_10empty_typeEEEZNS1_34radix_sort_onesweep_global_offsetsIS3_Lb0EPKsPS5_mNS0_19identity_decomposerEEE10hipError_tT1_T2_PT3_SF_jT4_jjP12ihipStream_tbEUlT_E_NS1_11comp_targetILNS1_3genE0ELNS1_11target_archE4294967295ELNS1_3gpuE0ELNS1_3repE0EEENS1_52radix_sort_onesweep_histogram_config_static_selectorELNS0_4arch9wavefront6targetE0EEEvSD_.num_named_barrier, 0
	.set _ZN7rocprim17ROCPRIM_400000_NS6detail17trampoline_kernelINS0_14default_configENS1_35radix_sort_onesweep_config_selectorIsNS0_10empty_typeEEEZNS1_34radix_sort_onesweep_global_offsetsIS3_Lb0EPKsPS5_mNS0_19identity_decomposerEEE10hipError_tT1_T2_PT3_SF_jT4_jjP12ihipStream_tbEUlT_E_NS1_11comp_targetILNS1_3genE0ELNS1_11target_archE4294967295ELNS1_3gpuE0ELNS1_3repE0EEENS1_52radix_sort_onesweep_histogram_config_static_selectorELNS0_4arch9wavefront6targetE0EEEvSD_.private_seg_size, 0
	.set _ZN7rocprim17ROCPRIM_400000_NS6detail17trampoline_kernelINS0_14default_configENS1_35radix_sort_onesweep_config_selectorIsNS0_10empty_typeEEEZNS1_34radix_sort_onesweep_global_offsetsIS3_Lb0EPKsPS5_mNS0_19identity_decomposerEEE10hipError_tT1_T2_PT3_SF_jT4_jjP12ihipStream_tbEUlT_E_NS1_11comp_targetILNS1_3genE0ELNS1_11target_archE4294967295ELNS1_3gpuE0ELNS1_3repE0EEENS1_52radix_sort_onesweep_histogram_config_static_selectorELNS0_4arch9wavefront6targetE0EEEvSD_.uses_vcc, 1
	.set _ZN7rocprim17ROCPRIM_400000_NS6detail17trampoline_kernelINS0_14default_configENS1_35radix_sort_onesweep_config_selectorIsNS0_10empty_typeEEEZNS1_34radix_sort_onesweep_global_offsetsIS3_Lb0EPKsPS5_mNS0_19identity_decomposerEEE10hipError_tT1_T2_PT3_SF_jT4_jjP12ihipStream_tbEUlT_E_NS1_11comp_targetILNS1_3genE0ELNS1_11target_archE4294967295ELNS1_3gpuE0ELNS1_3repE0EEENS1_52radix_sort_onesweep_histogram_config_static_selectorELNS0_4arch9wavefront6targetE0EEEvSD_.uses_flat_scratch, 0
	.set _ZN7rocprim17ROCPRIM_400000_NS6detail17trampoline_kernelINS0_14default_configENS1_35radix_sort_onesweep_config_selectorIsNS0_10empty_typeEEEZNS1_34radix_sort_onesweep_global_offsetsIS3_Lb0EPKsPS5_mNS0_19identity_decomposerEEE10hipError_tT1_T2_PT3_SF_jT4_jjP12ihipStream_tbEUlT_E_NS1_11comp_targetILNS1_3genE0ELNS1_11target_archE4294967295ELNS1_3gpuE0ELNS1_3repE0EEENS1_52radix_sort_onesweep_histogram_config_static_selectorELNS0_4arch9wavefront6targetE0EEEvSD_.has_dyn_sized_stack, 0
	.set _ZN7rocprim17ROCPRIM_400000_NS6detail17trampoline_kernelINS0_14default_configENS1_35radix_sort_onesweep_config_selectorIsNS0_10empty_typeEEEZNS1_34radix_sort_onesweep_global_offsetsIS3_Lb0EPKsPS5_mNS0_19identity_decomposerEEE10hipError_tT1_T2_PT3_SF_jT4_jjP12ihipStream_tbEUlT_E_NS1_11comp_targetILNS1_3genE0ELNS1_11target_archE4294967295ELNS1_3gpuE0ELNS1_3repE0EEENS1_52radix_sort_onesweep_histogram_config_static_selectorELNS0_4arch9wavefront6targetE0EEEvSD_.has_recursion, 0
	.set _ZN7rocprim17ROCPRIM_400000_NS6detail17trampoline_kernelINS0_14default_configENS1_35radix_sort_onesweep_config_selectorIsNS0_10empty_typeEEEZNS1_34radix_sort_onesweep_global_offsetsIS3_Lb0EPKsPS5_mNS0_19identity_decomposerEEE10hipError_tT1_T2_PT3_SF_jT4_jjP12ihipStream_tbEUlT_E_NS1_11comp_targetILNS1_3genE0ELNS1_11target_archE4294967295ELNS1_3gpuE0ELNS1_3repE0EEENS1_52radix_sort_onesweep_histogram_config_static_selectorELNS0_4arch9wavefront6targetE0EEEvSD_.has_indirect_call, 0
	.section	.AMDGPU.csdata,"",@progbits
; Kernel info:
; codeLenInByte = 7136
; TotalNumSgprs: 15
; NumVgprs: 23
; ScratchSize: 0
; MemoryBound: 0
; FloatMode: 240
; IeeeMode: 1
; LDSByteSize: 8192 bytes/workgroup (compile time only)
; SGPRBlocks: 0
; VGPRBlocks: 1
; NumSGPRsForWavesPerEU: 15
; NumVGPRsForWavesPerEU: 23
; NamedBarCnt: 0
; Occupancy: 16
; WaveLimiterHint : 1
; COMPUTE_PGM_RSRC2:SCRATCH_EN: 0
; COMPUTE_PGM_RSRC2:USER_SGPR: 2
; COMPUTE_PGM_RSRC2:TRAP_HANDLER: 0
; COMPUTE_PGM_RSRC2:TGID_X_EN: 1
; COMPUTE_PGM_RSRC2:TGID_Y_EN: 0
; COMPUTE_PGM_RSRC2:TGID_Z_EN: 0
; COMPUTE_PGM_RSRC2:TIDIG_COMP_CNT: 0
	.section	.text._ZN7rocprim17ROCPRIM_400000_NS6detail17trampoline_kernelINS0_14default_configENS1_35radix_sort_onesweep_config_selectorIsNS0_10empty_typeEEEZNS1_34radix_sort_onesweep_global_offsetsIS3_Lb0EPKsPS5_mNS0_19identity_decomposerEEE10hipError_tT1_T2_PT3_SF_jT4_jjP12ihipStream_tbEUlT_E_NS1_11comp_targetILNS1_3genE6ELNS1_11target_archE950ELNS1_3gpuE13ELNS1_3repE0EEENS1_52radix_sort_onesweep_histogram_config_static_selectorELNS0_4arch9wavefront6targetE0EEEvSD_,"axG",@progbits,_ZN7rocprim17ROCPRIM_400000_NS6detail17trampoline_kernelINS0_14default_configENS1_35radix_sort_onesweep_config_selectorIsNS0_10empty_typeEEEZNS1_34radix_sort_onesweep_global_offsetsIS3_Lb0EPKsPS5_mNS0_19identity_decomposerEEE10hipError_tT1_T2_PT3_SF_jT4_jjP12ihipStream_tbEUlT_E_NS1_11comp_targetILNS1_3genE6ELNS1_11target_archE950ELNS1_3gpuE13ELNS1_3repE0EEENS1_52radix_sort_onesweep_histogram_config_static_selectorELNS0_4arch9wavefront6targetE0EEEvSD_,comdat
	.protected	_ZN7rocprim17ROCPRIM_400000_NS6detail17trampoline_kernelINS0_14default_configENS1_35radix_sort_onesweep_config_selectorIsNS0_10empty_typeEEEZNS1_34radix_sort_onesweep_global_offsetsIS3_Lb0EPKsPS5_mNS0_19identity_decomposerEEE10hipError_tT1_T2_PT3_SF_jT4_jjP12ihipStream_tbEUlT_E_NS1_11comp_targetILNS1_3genE6ELNS1_11target_archE950ELNS1_3gpuE13ELNS1_3repE0EEENS1_52radix_sort_onesweep_histogram_config_static_selectorELNS0_4arch9wavefront6targetE0EEEvSD_ ; -- Begin function _ZN7rocprim17ROCPRIM_400000_NS6detail17trampoline_kernelINS0_14default_configENS1_35radix_sort_onesweep_config_selectorIsNS0_10empty_typeEEEZNS1_34radix_sort_onesweep_global_offsetsIS3_Lb0EPKsPS5_mNS0_19identity_decomposerEEE10hipError_tT1_T2_PT3_SF_jT4_jjP12ihipStream_tbEUlT_E_NS1_11comp_targetILNS1_3genE6ELNS1_11target_archE950ELNS1_3gpuE13ELNS1_3repE0EEENS1_52radix_sort_onesweep_histogram_config_static_selectorELNS0_4arch9wavefront6targetE0EEEvSD_
	.globl	_ZN7rocprim17ROCPRIM_400000_NS6detail17trampoline_kernelINS0_14default_configENS1_35radix_sort_onesweep_config_selectorIsNS0_10empty_typeEEEZNS1_34radix_sort_onesweep_global_offsetsIS3_Lb0EPKsPS5_mNS0_19identity_decomposerEEE10hipError_tT1_T2_PT3_SF_jT4_jjP12ihipStream_tbEUlT_E_NS1_11comp_targetILNS1_3genE6ELNS1_11target_archE950ELNS1_3gpuE13ELNS1_3repE0EEENS1_52radix_sort_onesweep_histogram_config_static_selectorELNS0_4arch9wavefront6targetE0EEEvSD_
	.p2align	8
	.type	_ZN7rocprim17ROCPRIM_400000_NS6detail17trampoline_kernelINS0_14default_configENS1_35radix_sort_onesweep_config_selectorIsNS0_10empty_typeEEEZNS1_34radix_sort_onesweep_global_offsetsIS3_Lb0EPKsPS5_mNS0_19identity_decomposerEEE10hipError_tT1_T2_PT3_SF_jT4_jjP12ihipStream_tbEUlT_E_NS1_11comp_targetILNS1_3genE6ELNS1_11target_archE950ELNS1_3gpuE13ELNS1_3repE0EEENS1_52radix_sort_onesweep_histogram_config_static_selectorELNS0_4arch9wavefront6targetE0EEEvSD_,@function
_ZN7rocprim17ROCPRIM_400000_NS6detail17trampoline_kernelINS0_14default_configENS1_35radix_sort_onesweep_config_selectorIsNS0_10empty_typeEEEZNS1_34radix_sort_onesweep_global_offsetsIS3_Lb0EPKsPS5_mNS0_19identity_decomposerEEE10hipError_tT1_T2_PT3_SF_jT4_jjP12ihipStream_tbEUlT_E_NS1_11comp_targetILNS1_3genE6ELNS1_11target_archE950ELNS1_3gpuE13ELNS1_3repE0EEENS1_52radix_sort_onesweep_histogram_config_static_selectorELNS0_4arch9wavefront6targetE0EEEvSD_: ; @_ZN7rocprim17ROCPRIM_400000_NS6detail17trampoline_kernelINS0_14default_configENS1_35radix_sort_onesweep_config_selectorIsNS0_10empty_typeEEEZNS1_34radix_sort_onesweep_global_offsetsIS3_Lb0EPKsPS5_mNS0_19identity_decomposerEEE10hipError_tT1_T2_PT3_SF_jT4_jjP12ihipStream_tbEUlT_E_NS1_11comp_targetILNS1_3genE6ELNS1_11target_archE950ELNS1_3gpuE13ELNS1_3repE0EEENS1_52radix_sort_onesweep_histogram_config_static_selectorELNS0_4arch9wavefront6targetE0EEEvSD_
; %bb.0:
	.section	.rodata,"a",@progbits
	.p2align	6, 0x0
	.amdhsa_kernel _ZN7rocprim17ROCPRIM_400000_NS6detail17trampoline_kernelINS0_14default_configENS1_35radix_sort_onesweep_config_selectorIsNS0_10empty_typeEEEZNS1_34radix_sort_onesweep_global_offsetsIS3_Lb0EPKsPS5_mNS0_19identity_decomposerEEE10hipError_tT1_T2_PT3_SF_jT4_jjP12ihipStream_tbEUlT_E_NS1_11comp_targetILNS1_3genE6ELNS1_11target_archE950ELNS1_3gpuE13ELNS1_3repE0EEENS1_52radix_sort_onesweep_histogram_config_static_selectorELNS0_4arch9wavefront6targetE0EEEvSD_
		.amdhsa_group_segment_fixed_size 0
		.amdhsa_private_segment_fixed_size 0
		.amdhsa_kernarg_size 48
		.amdhsa_user_sgpr_count 2
		.amdhsa_user_sgpr_dispatch_ptr 0
		.amdhsa_user_sgpr_queue_ptr 0
		.amdhsa_user_sgpr_kernarg_segment_ptr 1
		.amdhsa_user_sgpr_dispatch_id 0
		.amdhsa_user_sgpr_kernarg_preload_length 0
		.amdhsa_user_sgpr_kernarg_preload_offset 0
		.amdhsa_user_sgpr_private_segment_size 0
		.amdhsa_wavefront_size32 1
		.amdhsa_uses_dynamic_stack 0
		.amdhsa_enable_private_segment 0
		.amdhsa_system_sgpr_workgroup_id_x 1
		.amdhsa_system_sgpr_workgroup_id_y 0
		.amdhsa_system_sgpr_workgroup_id_z 0
		.amdhsa_system_sgpr_workgroup_info 0
		.amdhsa_system_vgpr_workitem_id 0
		.amdhsa_next_free_vgpr 1
		.amdhsa_next_free_sgpr 1
		.amdhsa_named_barrier_count 0
		.amdhsa_reserve_vcc 0
		.amdhsa_float_round_mode_32 0
		.amdhsa_float_round_mode_16_64 0
		.amdhsa_float_denorm_mode_32 3
		.amdhsa_float_denorm_mode_16_64 3
		.amdhsa_fp16_overflow 0
		.amdhsa_memory_ordered 1
		.amdhsa_forward_progress 1
		.amdhsa_inst_pref_size 0
		.amdhsa_round_robin_scheduling 0
		.amdhsa_exception_fp_ieee_invalid_op 0
		.amdhsa_exception_fp_denorm_src 0
		.amdhsa_exception_fp_ieee_div_zero 0
		.amdhsa_exception_fp_ieee_overflow 0
		.amdhsa_exception_fp_ieee_underflow 0
		.amdhsa_exception_fp_ieee_inexact 0
		.amdhsa_exception_int_div_zero 0
	.end_amdhsa_kernel
	.section	.text._ZN7rocprim17ROCPRIM_400000_NS6detail17trampoline_kernelINS0_14default_configENS1_35radix_sort_onesweep_config_selectorIsNS0_10empty_typeEEEZNS1_34radix_sort_onesweep_global_offsetsIS3_Lb0EPKsPS5_mNS0_19identity_decomposerEEE10hipError_tT1_T2_PT3_SF_jT4_jjP12ihipStream_tbEUlT_E_NS1_11comp_targetILNS1_3genE6ELNS1_11target_archE950ELNS1_3gpuE13ELNS1_3repE0EEENS1_52radix_sort_onesweep_histogram_config_static_selectorELNS0_4arch9wavefront6targetE0EEEvSD_,"axG",@progbits,_ZN7rocprim17ROCPRIM_400000_NS6detail17trampoline_kernelINS0_14default_configENS1_35radix_sort_onesweep_config_selectorIsNS0_10empty_typeEEEZNS1_34radix_sort_onesweep_global_offsetsIS3_Lb0EPKsPS5_mNS0_19identity_decomposerEEE10hipError_tT1_T2_PT3_SF_jT4_jjP12ihipStream_tbEUlT_E_NS1_11comp_targetILNS1_3genE6ELNS1_11target_archE950ELNS1_3gpuE13ELNS1_3repE0EEENS1_52radix_sort_onesweep_histogram_config_static_selectorELNS0_4arch9wavefront6targetE0EEEvSD_,comdat
.Lfunc_end696:
	.size	_ZN7rocprim17ROCPRIM_400000_NS6detail17trampoline_kernelINS0_14default_configENS1_35radix_sort_onesweep_config_selectorIsNS0_10empty_typeEEEZNS1_34radix_sort_onesweep_global_offsetsIS3_Lb0EPKsPS5_mNS0_19identity_decomposerEEE10hipError_tT1_T2_PT3_SF_jT4_jjP12ihipStream_tbEUlT_E_NS1_11comp_targetILNS1_3genE6ELNS1_11target_archE950ELNS1_3gpuE13ELNS1_3repE0EEENS1_52radix_sort_onesweep_histogram_config_static_selectorELNS0_4arch9wavefront6targetE0EEEvSD_, .Lfunc_end696-_ZN7rocprim17ROCPRIM_400000_NS6detail17trampoline_kernelINS0_14default_configENS1_35radix_sort_onesweep_config_selectorIsNS0_10empty_typeEEEZNS1_34radix_sort_onesweep_global_offsetsIS3_Lb0EPKsPS5_mNS0_19identity_decomposerEEE10hipError_tT1_T2_PT3_SF_jT4_jjP12ihipStream_tbEUlT_E_NS1_11comp_targetILNS1_3genE6ELNS1_11target_archE950ELNS1_3gpuE13ELNS1_3repE0EEENS1_52radix_sort_onesweep_histogram_config_static_selectorELNS0_4arch9wavefront6targetE0EEEvSD_
                                        ; -- End function
	.set _ZN7rocprim17ROCPRIM_400000_NS6detail17trampoline_kernelINS0_14default_configENS1_35radix_sort_onesweep_config_selectorIsNS0_10empty_typeEEEZNS1_34radix_sort_onesweep_global_offsetsIS3_Lb0EPKsPS5_mNS0_19identity_decomposerEEE10hipError_tT1_T2_PT3_SF_jT4_jjP12ihipStream_tbEUlT_E_NS1_11comp_targetILNS1_3genE6ELNS1_11target_archE950ELNS1_3gpuE13ELNS1_3repE0EEENS1_52radix_sort_onesweep_histogram_config_static_selectorELNS0_4arch9wavefront6targetE0EEEvSD_.num_vgpr, 0
	.set _ZN7rocprim17ROCPRIM_400000_NS6detail17trampoline_kernelINS0_14default_configENS1_35radix_sort_onesweep_config_selectorIsNS0_10empty_typeEEEZNS1_34radix_sort_onesweep_global_offsetsIS3_Lb0EPKsPS5_mNS0_19identity_decomposerEEE10hipError_tT1_T2_PT3_SF_jT4_jjP12ihipStream_tbEUlT_E_NS1_11comp_targetILNS1_3genE6ELNS1_11target_archE950ELNS1_3gpuE13ELNS1_3repE0EEENS1_52radix_sort_onesweep_histogram_config_static_selectorELNS0_4arch9wavefront6targetE0EEEvSD_.num_agpr, 0
	.set _ZN7rocprim17ROCPRIM_400000_NS6detail17trampoline_kernelINS0_14default_configENS1_35radix_sort_onesweep_config_selectorIsNS0_10empty_typeEEEZNS1_34radix_sort_onesweep_global_offsetsIS3_Lb0EPKsPS5_mNS0_19identity_decomposerEEE10hipError_tT1_T2_PT3_SF_jT4_jjP12ihipStream_tbEUlT_E_NS1_11comp_targetILNS1_3genE6ELNS1_11target_archE950ELNS1_3gpuE13ELNS1_3repE0EEENS1_52radix_sort_onesweep_histogram_config_static_selectorELNS0_4arch9wavefront6targetE0EEEvSD_.numbered_sgpr, 0
	.set _ZN7rocprim17ROCPRIM_400000_NS6detail17trampoline_kernelINS0_14default_configENS1_35radix_sort_onesweep_config_selectorIsNS0_10empty_typeEEEZNS1_34radix_sort_onesweep_global_offsetsIS3_Lb0EPKsPS5_mNS0_19identity_decomposerEEE10hipError_tT1_T2_PT3_SF_jT4_jjP12ihipStream_tbEUlT_E_NS1_11comp_targetILNS1_3genE6ELNS1_11target_archE950ELNS1_3gpuE13ELNS1_3repE0EEENS1_52radix_sort_onesweep_histogram_config_static_selectorELNS0_4arch9wavefront6targetE0EEEvSD_.num_named_barrier, 0
	.set _ZN7rocprim17ROCPRIM_400000_NS6detail17trampoline_kernelINS0_14default_configENS1_35radix_sort_onesweep_config_selectorIsNS0_10empty_typeEEEZNS1_34radix_sort_onesweep_global_offsetsIS3_Lb0EPKsPS5_mNS0_19identity_decomposerEEE10hipError_tT1_T2_PT3_SF_jT4_jjP12ihipStream_tbEUlT_E_NS1_11comp_targetILNS1_3genE6ELNS1_11target_archE950ELNS1_3gpuE13ELNS1_3repE0EEENS1_52radix_sort_onesweep_histogram_config_static_selectorELNS0_4arch9wavefront6targetE0EEEvSD_.private_seg_size, 0
	.set _ZN7rocprim17ROCPRIM_400000_NS6detail17trampoline_kernelINS0_14default_configENS1_35radix_sort_onesweep_config_selectorIsNS0_10empty_typeEEEZNS1_34radix_sort_onesweep_global_offsetsIS3_Lb0EPKsPS5_mNS0_19identity_decomposerEEE10hipError_tT1_T2_PT3_SF_jT4_jjP12ihipStream_tbEUlT_E_NS1_11comp_targetILNS1_3genE6ELNS1_11target_archE950ELNS1_3gpuE13ELNS1_3repE0EEENS1_52radix_sort_onesweep_histogram_config_static_selectorELNS0_4arch9wavefront6targetE0EEEvSD_.uses_vcc, 0
	.set _ZN7rocprim17ROCPRIM_400000_NS6detail17trampoline_kernelINS0_14default_configENS1_35radix_sort_onesweep_config_selectorIsNS0_10empty_typeEEEZNS1_34radix_sort_onesweep_global_offsetsIS3_Lb0EPKsPS5_mNS0_19identity_decomposerEEE10hipError_tT1_T2_PT3_SF_jT4_jjP12ihipStream_tbEUlT_E_NS1_11comp_targetILNS1_3genE6ELNS1_11target_archE950ELNS1_3gpuE13ELNS1_3repE0EEENS1_52radix_sort_onesweep_histogram_config_static_selectorELNS0_4arch9wavefront6targetE0EEEvSD_.uses_flat_scratch, 0
	.set _ZN7rocprim17ROCPRIM_400000_NS6detail17trampoline_kernelINS0_14default_configENS1_35radix_sort_onesweep_config_selectorIsNS0_10empty_typeEEEZNS1_34radix_sort_onesweep_global_offsetsIS3_Lb0EPKsPS5_mNS0_19identity_decomposerEEE10hipError_tT1_T2_PT3_SF_jT4_jjP12ihipStream_tbEUlT_E_NS1_11comp_targetILNS1_3genE6ELNS1_11target_archE950ELNS1_3gpuE13ELNS1_3repE0EEENS1_52radix_sort_onesweep_histogram_config_static_selectorELNS0_4arch9wavefront6targetE0EEEvSD_.has_dyn_sized_stack, 0
	.set _ZN7rocprim17ROCPRIM_400000_NS6detail17trampoline_kernelINS0_14default_configENS1_35radix_sort_onesweep_config_selectorIsNS0_10empty_typeEEEZNS1_34radix_sort_onesweep_global_offsetsIS3_Lb0EPKsPS5_mNS0_19identity_decomposerEEE10hipError_tT1_T2_PT3_SF_jT4_jjP12ihipStream_tbEUlT_E_NS1_11comp_targetILNS1_3genE6ELNS1_11target_archE950ELNS1_3gpuE13ELNS1_3repE0EEENS1_52radix_sort_onesweep_histogram_config_static_selectorELNS0_4arch9wavefront6targetE0EEEvSD_.has_recursion, 0
	.set _ZN7rocprim17ROCPRIM_400000_NS6detail17trampoline_kernelINS0_14default_configENS1_35radix_sort_onesweep_config_selectorIsNS0_10empty_typeEEEZNS1_34radix_sort_onesweep_global_offsetsIS3_Lb0EPKsPS5_mNS0_19identity_decomposerEEE10hipError_tT1_T2_PT3_SF_jT4_jjP12ihipStream_tbEUlT_E_NS1_11comp_targetILNS1_3genE6ELNS1_11target_archE950ELNS1_3gpuE13ELNS1_3repE0EEENS1_52radix_sort_onesweep_histogram_config_static_selectorELNS0_4arch9wavefront6targetE0EEEvSD_.has_indirect_call, 0
	.section	.AMDGPU.csdata,"",@progbits
; Kernel info:
; codeLenInByte = 0
; TotalNumSgprs: 0
; NumVgprs: 0
; ScratchSize: 0
; MemoryBound: 0
; FloatMode: 240
; IeeeMode: 1
; LDSByteSize: 0 bytes/workgroup (compile time only)
; SGPRBlocks: 0
; VGPRBlocks: 0
; NumSGPRsForWavesPerEU: 1
; NumVGPRsForWavesPerEU: 1
; NamedBarCnt: 0
; Occupancy: 16
; WaveLimiterHint : 0
; COMPUTE_PGM_RSRC2:SCRATCH_EN: 0
; COMPUTE_PGM_RSRC2:USER_SGPR: 2
; COMPUTE_PGM_RSRC2:TRAP_HANDLER: 0
; COMPUTE_PGM_RSRC2:TGID_X_EN: 1
; COMPUTE_PGM_RSRC2:TGID_Y_EN: 0
; COMPUTE_PGM_RSRC2:TGID_Z_EN: 0
; COMPUTE_PGM_RSRC2:TIDIG_COMP_CNT: 0
	.section	.text._ZN7rocprim17ROCPRIM_400000_NS6detail17trampoline_kernelINS0_14default_configENS1_35radix_sort_onesweep_config_selectorIsNS0_10empty_typeEEEZNS1_34radix_sort_onesweep_global_offsetsIS3_Lb0EPKsPS5_mNS0_19identity_decomposerEEE10hipError_tT1_T2_PT3_SF_jT4_jjP12ihipStream_tbEUlT_E_NS1_11comp_targetILNS1_3genE5ELNS1_11target_archE942ELNS1_3gpuE9ELNS1_3repE0EEENS1_52radix_sort_onesweep_histogram_config_static_selectorELNS0_4arch9wavefront6targetE0EEEvSD_,"axG",@progbits,_ZN7rocprim17ROCPRIM_400000_NS6detail17trampoline_kernelINS0_14default_configENS1_35radix_sort_onesweep_config_selectorIsNS0_10empty_typeEEEZNS1_34radix_sort_onesweep_global_offsetsIS3_Lb0EPKsPS5_mNS0_19identity_decomposerEEE10hipError_tT1_T2_PT3_SF_jT4_jjP12ihipStream_tbEUlT_E_NS1_11comp_targetILNS1_3genE5ELNS1_11target_archE942ELNS1_3gpuE9ELNS1_3repE0EEENS1_52radix_sort_onesweep_histogram_config_static_selectorELNS0_4arch9wavefront6targetE0EEEvSD_,comdat
	.protected	_ZN7rocprim17ROCPRIM_400000_NS6detail17trampoline_kernelINS0_14default_configENS1_35radix_sort_onesweep_config_selectorIsNS0_10empty_typeEEEZNS1_34radix_sort_onesweep_global_offsetsIS3_Lb0EPKsPS5_mNS0_19identity_decomposerEEE10hipError_tT1_T2_PT3_SF_jT4_jjP12ihipStream_tbEUlT_E_NS1_11comp_targetILNS1_3genE5ELNS1_11target_archE942ELNS1_3gpuE9ELNS1_3repE0EEENS1_52radix_sort_onesweep_histogram_config_static_selectorELNS0_4arch9wavefront6targetE0EEEvSD_ ; -- Begin function _ZN7rocprim17ROCPRIM_400000_NS6detail17trampoline_kernelINS0_14default_configENS1_35radix_sort_onesweep_config_selectorIsNS0_10empty_typeEEEZNS1_34radix_sort_onesweep_global_offsetsIS3_Lb0EPKsPS5_mNS0_19identity_decomposerEEE10hipError_tT1_T2_PT3_SF_jT4_jjP12ihipStream_tbEUlT_E_NS1_11comp_targetILNS1_3genE5ELNS1_11target_archE942ELNS1_3gpuE9ELNS1_3repE0EEENS1_52radix_sort_onesweep_histogram_config_static_selectorELNS0_4arch9wavefront6targetE0EEEvSD_
	.globl	_ZN7rocprim17ROCPRIM_400000_NS6detail17trampoline_kernelINS0_14default_configENS1_35radix_sort_onesweep_config_selectorIsNS0_10empty_typeEEEZNS1_34radix_sort_onesweep_global_offsetsIS3_Lb0EPKsPS5_mNS0_19identity_decomposerEEE10hipError_tT1_T2_PT3_SF_jT4_jjP12ihipStream_tbEUlT_E_NS1_11comp_targetILNS1_3genE5ELNS1_11target_archE942ELNS1_3gpuE9ELNS1_3repE0EEENS1_52radix_sort_onesweep_histogram_config_static_selectorELNS0_4arch9wavefront6targetE0EEEvSD_
	.p2align	8
	.type	_ZN7rocprim17ROCPRIM_400000_NS6detail17trampoline_kernelINS0_14default_configENS1_35radix_sort_onesweep_config_selectorIsNS0_10empty_typeEEEZNS1_34radix_sort_onesweep_global_offsetsIS3_Lb0EPKsPS5_mNS0_19identity_decomposerEEE10hipError_tT1_T2_PT3_SF_jT4_jjP12ihipStream_tbEUlT_E_NS1_11comp_targetILNS1_3genE5ELNS1_11target_archE942ELNS1_3gpuE9ELNS1_3repE0EEENS1_52radix_sort_onesweep_histogram_config_static_selectorELNS0_4arch9wavefront6targetE0EEEvSD_,@function
_ZN7rocprim17ROCPRIM_400000_NS6detail17trampoline_kernelINS0_14default_configENS1_35radix_sort_onesweep_config_selectorIsNS0_10empty_typeEEEZNS1_34radix_sort_onesweep_global_offsetsIS3_Lb0EPKsPS5_mNS0_19identity_decomposerEEE10hipError_tT1_T2_PT3_SF_jT4_jjP12ihipStream_tbEUlT_E_NS1_11comp_targetILNS1_3genE5ELNS1_11target_archE942ELNS1_3gpuE9ELNS1_3repE0EEENS1_52radix_sort_onesweep_histogram_config_static_selectorELNS0_4arch9wavefront6targetE0EEEvSD_: ; @_ZN7rocprim17ROCPRIM_400000_NS6detail17trampoline_kernelINS0_14default_configENS1_35radix_sort_onesweep_config_selectorIsNS0_10empty_typeEEEZNS1_34radix_sort_onesweep_global_offsetsIS3_Lb0EPKsPS5_mNS0_19identity_decomposerEEE10hipError_tT1_T2_PT3_SF_jT4_jjP12ihipStream_tbEUlT_E_NS1_11comp_targetILNS1_3genE5ELNS1_11target_archE942ELNS1_3gpuE9ELNS1_3repE0EEENS1_52radix_sort_onesweep_histogram_config_static_selectorELNS0_4arch9wavefront6targetE0EEEvSD_
; %bb.0:
	.section	.rodata,"a",@progbits
	.p2align	6, 0x0
	.amdhsa_kernel _ZN7rocprim17ROCPRIM_400000_NS6detail17trampoline_kernelINS0_14default_configENS1_35radix_sort_onesweep_config_selectorIsNS0_10empty_typeEEEZNS1_34radix_sort_onesweep_global_offsetsIS3_Lb0EPKsPS5_mNS0_19identity_decomposerEEE10hipError_tT1_T2_PT3_SF_jT4_jjP12ihipStream_tbEUlT_E_NS1_11comp_targetILNS1_3genE5ELNS1_11target_archE942ELNS1_3gpuE9ELNS1_3repE0EEENS1_52radix_sort_onesweep_histogram_config_static_selectorELNS0_4arch9wavefront6targetE0EEEvSD_
		.amdhsa_group_segment_fixed_size 0
		.amdhsa_private_segment_fixed_size 0
		.amdhsa_kernarg_size 48
		.amdhsa_user_sgpr_count 2
		.amdhsa_user_sgpr_dispatch_ptr 0
		.amdhsa_user_sgpr_queue_ptr 0
		.amdhsa_user_sgpr_kernarg_segment_ptr 1
		.amdhsa_user_sgpr_dispatch_id 0
		.amdhsa_user_sgpr_kernarg_preload_length 0
		.amdhsa_user_sgpr_kernarg_preload_offset 0
		.amdhsa_user_sgpr_private_segment_size 0
		.amdhsa_wavefront_size32 1
		.amdhsa_uses_dynamic_stack 0
		.amdhsa_enable_private_segment 0
		.amdhsa_system_sgpr_workgroup_id_x 1
		.amdhsa_system_sgpr_workgroup_id_y 0
		.amdhsa_system_sgpr_workgroup_id_z 0
		.amdhsa_system_sgpr_workgroup_info 0
		.amdhsa_system_vgpr_workitem_id 0
		.amdhsa_next_free_vgpr 1
		.amdhsa_next_free_sgpr 1
		.amdhsa_named_barrier_count 0
		.amdhsa_reserve_vcc 0
		.amdhsa_float_round_mode_32 0
		.amdhsa_float_round_mode_16_64 0
		.amdhsa_float_denorm_mode_32 3
		.amdhsa_float_denorm_mode_16_64 3
		.amdhsa_fp16_overflow 0
		.amdhsa_memory_ordered 1
		.amdhsa_forward_progress 1
		.amdhsa_inst_pref_size 0
		.amdhsa_round_robin_scheduling 0
		.amdhsa_exception_fp_ieee_invalid_op 0
		.amdhsa_exception_fp_denorm_src 0
		.amdhsa_exception_fp_ieee_div_zero 0
		.amdhsa_exception_fp_ieee_overflow 0
		.amdhsa_exception_fp_ieee_underflow 0
		.amdhsa_exception_fp_ieee_inexact 0
		.amdhsa_exception_int_div_zero 0
	.end_amdhsa_kernel
	.section	.text._ZN7rocprim17ROCPRIM_400000_NS6detail17trampoline_kernelINS0_14default_configENS1_35radix_sort_onesweep_config_selectorIsNS0_10empty_typeEEEZNS1_34radix_sort_onesweep_global_offsetsIS3_Lb0EPKsPS5_mNS0_19identity_decomposerEEE10hipError_tT1_T2_PT3_SF_jT4_jjP12ihipStream_tbEUlT_E_NS1_11comp_targetILNS1_3genE5ELNS1_11target_archE942ELNS1_3gpuE9ELNS1_3repE0EEENS1_52radix_sort_onesweep_histogram_config_static_selectorELNS0_4arch9wavefront6targetE0EEEvSD_,"axG",@progbits,_ZN7rocprim17ROCPRIM_400000_NS6detail17trampoline_kernelINS0_14default_configENS1_35radix_sort_onesweep_config_selectorIsNS0_10empty_typeEEEZNS1_34radix_sort_onesweep_global_offsetsIS3_Lb0EPKsPS5_mNS0_19identity_decomposerEEE10hipError_tT1_T2_PT3_SF_jT4_jjP12ihipStream_tbEUlT_E_NS1_11comp_targetILNS1_3genE5ELNS1_11target_archE942ELNS1_3gpuE9ELNS1_3repE0EEENS1_52radix_sort_onesweep_histogram_config_static_selectorELNS0_4arch9wavefront6targetE0EEEvSD_,comdat
.Lfunc_end697:
	.size	_ZN7rocprim17ROCPRIM_400000_NS6detail17trampoline_kernelINS0_14default_configENS1_35radix_sort_onesweep_config_selectorIsNS0_10empty_typeEEEZNS1_34radix_sort_onesweep_global_offsetsIS3_Lb0EPKsPS5_mNS0_19identity_decomposerEEE10hipError_tT1_T2_PT3_SF_jT4_jjP12ihipStream_tbEUlT_E_NS1_11comp_targetILNS1_3genE5ELNS1_11target_archE942ELNS1_3gpuE9ELNS1_3repE0EEENS1_52radix_sort_onesweep_histogram_config_static_selectorELNS0_4arch9wavefront6targetE0EEEvSD_, .Lfunc_end697-_ZN7rocprim17ROCPRIM_400000_NS6detail17trampoline_kernelINS0_14default_configENS1_35radix_sort_onesweep_config_selectorIsNS0_10empty_typeEEEZNS1_34radix_sort_onesweep_global_offsetsIS3_Lb0EPKsPS5_mNS0_19identity_decomposerEEE10hipError_tT1_T2_PT3_SF_jT4_jjP12ihipStream_tbEUlT_E_NS1_11comp_targetILNS1_3genE5ELNS1_11target_archE942ELNS1_3gpuE9ELNS1_3repE0EEENS1_52radix_sort_onesweep_histogram_config_static_selectorELNS0_4arch9wavefront6targetE0EEEvSD_
                                        ; -- End function
	.set _ZN7rocprim17ROCPRIM_400000_NS6detail17trampoline_kernelINS0_14default_configENS1_35radix_sort_onesweep_config_selectorIsNS0_10empty_typeEEEZNS1_34radix_sort_onesweep_global_offsetsIS3_Lb0EPKsPS5_mNS0_19identity_decomposerEEE10hipError_tT1_T2_PT3_SF_jT4_jjP12ihipStream_tbEUlT_E_NS1_11comp_targetILNS1_3genE5ELNS1_11target_archE942ELNS1_3gpuE9ELNS1_3repE0EEENS1_52radix_sort_onesweep_histogram_config_static_selectorELNS0_4arch9wavefront6targetE0EEEvSD_.num_vgpr, 0
	.set _ZN7rocprim17ROCPRIM_400000_NS6detail17trampoline_kernelINS0_14default_configENS1_35radix_sort_onesweep_config_selectorIsNS0_10empty_typeEEEZNS1_34radix_sort_onesweep_global_offsetsIS3_Lb0EPKsPS5_mNS0_19identity_decomposerEEE10hipError_tT1_T2_PT3_SF_jT4_jjP12ihipStream_tbEUlT_E_NS1_11comp_targetILNS1_3genE5ELNS1_11target_archE942ELNS1_3gpuE9ELNS1_3repE0EEENS1_52radix_sort_onesweep_histogram_config_static_selectorELNS0_4arch9wavefront6targetE0EEEvSD_.num_agpr, 0
	.set _ZN7rocprim17ROCPRIM_400000_NS6detail17trampoline_kernelINS0_14default_configENS1_35radix_sort_onesweep_config_selectorIsNS0_10empty_typeEEEZNS1_34radix_sort_onesweep_global_offsetsIS3_Lb0EPKsPS5_mNS0_19identity_decomposerEEE10hipError_tT1_T2_PT3_SF_jT4_jjP12ihipStream_tbEUlT_E_NS1_11comp_targetILNS1_3genE5ELNS1_11target_archE942ELNS1_3gpuE9ELNS1_3repE0EEENS1_52radix_sort_onesweep_histogram_config_static_selectorELNS0_4arch9wavefront6targetE0EEEvSD_.numbered_sgpr, 0
	.set _ZN7rocprim17ROCPRIM_400000_NS6detail17trampoline_kernelINS0_14default_configENS1_35radix_sort_onesweep_config_selectorIsNS0_10empty_typeEEEZNS1_34radix_sort_onesweep_global_offsetsIS3_Lb0EPKsPS5_mNS0_19identity_decomposerEEE10hipError_tT1_T2_PT3_SF_jT4_jjP12ihipStream_tbEUlT_E_NS1_11comp_targetILNS1_3genE5ELNS1_11target_archE942ELNS1_3gpuE9ELNS1_3repE0EEENS1_52radix_sort_onesweep_histogram_config_static_selectorELNS0_4arch9wavefront6targetE0EEEvSD_.num_named_barrier, 0
	.set _ZN7rocprim17ROCPRIM_400000_NS6detail17trampoline_kernelINS0_14default_configENS1_35radix_sort_onesweep_config_selectorIsNS0_10empty_typeEEEZNS1_34radix_sort_onesweep_global_offsetsIS3_Lb0EPKsPS5_mNS0_19identity_decomposerEEE10hipError_tT1_T2_PT3_SF_jT4_jjP12ihipStream_tbEUlT_E_NS1_11comp_targetILNS1_3genE5ELNS1_11target_archE942ELNS1_3gpuE9ELNS1_3repE0EEENS1_52radix_sort_onesweep_histogram_config_static_selectorELNS0_4arch9wavefront6targetE0EEEvSD_.private_seg_size, 0
	.set _ZN7rocprim17ROCPRIM_400000_NS6detail17trampoline_kernelINS0_14default_configENS1_35radix_sort_onesweep_config_selectorIsNS0_10empty_typeEEEZNS1_34radix_sort_onesweep_global_offsetsIS3_Lb0EPKsPS5_mNS0_19identity_decomposerEEE10hipError_tT1_T2_PT3_SF_jT4_jjP12ihipStream_tbEUlT_E_NS1_11comp_targetILNS1_3genE5ELNS1_11target_archE942ELNS1_3gpuE9ELNS1_3repE0EEENS1_52radix_sort_onesweep_histogram_config_static_selectorELNS0_4arch9wavefront6targetE0EEEvSD_.uses_vcc, 0
	.set _ZN7rocprim17ROCPRIM_400000_NS6detail17trampoline_kernelINS0_14default_configENS1_35radix_sort_onesweep_config_selectorIsNS0_10empty_typeEEEZNS1_34radix_sort_onesweep_global_offsetsIS3_Lb0EPKsPS5_mNS0_19identity_decomposerEEE10hipError_tT1_T2_PT3_SF_jT4_jjP12ihipStream_tbEUlT_E_NS1_11comp_targetILNS1_3genE5ELNS1_11target_archE942ELNS1_3gpuE9ELNS1_3repE0EEENS1_52radix_sort_onesweep_histogram_config_static_selectorELNS0_4arch9wavefront6targetE0EEEvSD_.uses_flat_scratch, 0
	.set _ZN7rocprim17ROCPRIM_400000_NS6detail17trampoline_kernelINS0_14default_configENS1_35radix_sort_onesweep_config_selectorIsNS0_10empty_typeEEEZNS1_34radix_sort_onesweep_global_offsetsIS3_Lb0EPKsPS5_mNS0_19identity_decomposerEEE10hipError_tT1_T2_PT3_SF_jT4_jjP12ihipStream_tbEUlT_E_NS1_11comp_targetILNS1_3genE5ELNS1_11target_archE942ELNS1_3gpuE9ELNS1_3repE0EEENS1_52radix_sort_onesweep_histogram_config_static_selectorELNS0_4arch9wavefront6targetE0EEEvSD_.has_dyn_sized_stack, 0
	.set _ZN7rocprim17ROCPRIM_400000_NS6detail17trampoline_kernelINS0_14default_configENS1_35radix_sort_onesweep_config_selectorIsNS0_10empty_typeEEEZNS1_34radix_sort_onesweep_global_offsetsIS3_Lb0EPKsPS5_mNS0_19identity_decomposerEEE10hipError_tT1_T2_PT3_SF_jT4_jjP12ihipStream_tbEUlT_E_NS1_11comp_targetILNS1_3genE5ELNS1_11target_archE942ELNS1_3gpuE9ELNS1_3repE0EEENS1_52radix_sort_onesweep_histogram_config_static_selectorELNS0_4arch9wavefront6targetE0EEEvSD_.has_recursion, 0
	.set _ZN7rocprim17ROCPRIM_400000_NS6detail17trampoline_kernelINS0_14default_configENS1_35radix_sort_onesweep_config_selectorIsNS0_10empty_typeEEEZNS1_34radix_sort_onesweep_global_offsetsIS3_Lb0EPKsPS5_mNS0_19identity_decomposerEEE10hipError_tT1_T2_PT3_SF_jT4_jjP12ihipStream_tbEUlT_E_NS1_11comp_targetILNS1_3genE5ELNS1_11target_archE942ELNS1_3gpuE9ELNS1_3repE0EEENS1_52radix_sort_onesweep_histogram_config_static_selectorELNS0_4arch9wavefront6targetE0EEEvSD_.has_indirect_call, 0
	.section	.AMDGPU.csdata,"",@progbits
; Kernel info:
; codeLenInByte = 0
; TotalNumSgprs: 0
; NumVgprs: 0
; ScratchSize: 0
; MemoryBound: 0
; FloatMode: 240
; IeeeMode: 1
; LDSByteSize: 0 bytes/workgroup (compile time only)
; SGPRBlocks: 0
; VGPRBlocks: 0
; NumSGPRsForWavesPerEU: 1
; NumVGPRsForWavesPerEU: 1
; NamedBarCnt: 0
; Occupancy: 16
; WaveLimiterHint : 0
; COMPUTE_PGM_RSRC2:SCRATCH_EN: 0
; COMPUTE_PGM_RSRC2:USER_SGPR: 2
; COMPUTE_PGM_RSRC2:TRAP_HANDLER: 0
; COMPUTE_PGM_RSRC2:TGID_X_EN: 1
; COMPUTE_PGM_RSRC2:TGID_Y_EN: 0
; COMPUTE_PGM_RSRC2:TGID_Z_EN: 0
; COMPUTE_PGM_RSRC2:TIDIG_COMP_CNT: 0
	.section	.text._ZN7rocprim17ROCPRIM_400000_NS6detail17trampoline_kernelINS0_14default_configENS1_35radix_sort_onesweep_config_selectorIsNS0_10empty_typeEEEZNS1_34radix_sort_onesweep_global_offsetsIS3_Lb0EPKsPS5_mNS0_19identity_decomposerEEE10hipError_tT1_T2_PT3_SF_jT4_jjP12ihipStream_tbEUlT_E_NS1_11comp_targetILNS1_3genE2ELNS1_11target_archE906ELNS1_3gpuE6ELNS1_3repE0EEENS1_52radix_sort_onesweep_histogram_config_static_selectorELNS0_4arch9wavefront6targetE0EEEvSD_,"axG",@progbits,_ZN7rocprim17ROCPRIM_400000_NS6detail17trampoline_kernelINS0_14default_configENS1_35radix_sort_onesweep_config_selectorIsNS0_10empty_typeEEEZNS1_34radix_sort_onesweep_global_offsetsIS3_Lb0EPKsPS5_mNS0_19identity_decomposerEEE10hipError_tT1_T2_PT3_SF_jT4_jjP12ihipStream_tbEUlT_E_NS1_11comp_targetILNS1_3genE2ELNS1_11target_archE906ELNS1_3gpuE6ELNS1_3repE0EEENS1_52radix_sort_onesweep_histogram_config_static_selectorELNS0_4arch9wavefront6targetE0EEEvSD_,comdat
	.protected	_ZN7rocprim17ROCPRIM_400000_NS6detail17trampoline_kernelINS0_14default_configENS1_35radix_sort_onesweep_config_selectorIsNS0_10empty_typeEEEZNS1_34radix_sort_onesweep_global_offsetsIS3_Lb0EPKsPS5_mNS0_19identity_decomposerEEE10hipError_tT1_T2_PT3_SF_jT4_jjP12ihipStream_tbEUlT_E_NS1_11comp_targetILNS1_3genE2ELNS1_11target_archE906ELNS1_3gpuE6ELNS1_3repE0EEENS1_52radix_sort_onesweep_histogram_config_static_selectorELNS0_4arch9wavefront6targetE0EEEvSD_ ; -- Begin function _ZN7rocprim17ROCPRIM_400000_NS6detail17trampoline_kernelINS0_14default_configENS1_35radix_sort_onesweep_config_selectorIsNS0_10empty_typeEEEZNS1_34radix_sort_onesweep_global_offsetsIS3_Lb0EPKsPS5_mNS0_19identity_decomposerEEE10hipError_tT1_T2_PT3_SF_jT4_jjP12ihipStream_tbEUlT_E_NS1_11comp_targetILNS1_3genE2ELNS1_11target_archE906ELNS1_3gpuE6ELNS1_3repE0EEENS1_52radix_sort_onesweep_histogram_config_static_selectorELNS0_4arch9wavefront6targetE0EEEvSD_
	.globl	_ZN7rocprim17ROCPRIM_400000_NS6detail17trampoline_kernelINS0_14default_configENS1_35radix_sort_onesweep_config_selectorIsNS0_10empty_typeEEEZNS1_34radix_sort_onesweep_global_offsetsIS3_Lb0EPKsPS5_mNS0_19identity_decomposerEEE10hipError_tT1_T2_PT3_SF_jT4_jjP12ihipStream_tbEUlT_E_NS1_11comp_targetILNS1_3genE2ELNS1_11target_archE906ELNS1_3gpuE6ELNS1_3repE0EEENS1_52radix_sort_onesweep_histogram_config_static_selectorELNS0_4arch9wavefront6targetE0EEEvSD_
	.p2align	8
	.type	_ZN7rocprim17ROCPRIM_400000_NS6detail17trampoline_kernelINS0_14default_configENS1_35radix_sort_onesweep_config_selectorIsNS0_10empty_typeEEEZNS1_34radix_sort_onesweep_global_offsetsIS3_Lb0EPKsPS5_mNS0_19identity_decomposerEEE10hipError_tT1_T2_PT3_SF_jT4_jjP12ihipStream_tbEUlT_E_NS1_11comp_targetILNS1_3genE2ELNS1_11target_archE906ELNS1_3gpuE6ELNS1_3repE0EEENS1_52radix_sort_onesweep_histogram_config_static_selectorELNS0_4arch9wavefront6targetE0EEEvSD_,@function
_ZN7rocprim17ROCPRIM_400000_NS6detail17trampoline_kernelINS0_14default_configENS1_35radix_sort_onesweep_config_selectorIsNS0_10empty_typeEEEZNS1_34radix_sort_onesweep_global_offsetsIS3_Lb0EPKsPS5_mNS0_19identity_decomposerEEE10hipError_tT1_T2_PT3_SF_jT4_jjP12ihipStream_tbEUlT_E_NS1_11comp_targetILNS1_3genE2ELNS1_11target_archE906ELNS1_3gpuE6ELNS1_3repE0EEENS1_52radix_sort_onesweep_histogram_config_static_selectorELNS0_4arch9wavefront6targetE0EEEvSD_: ; @_ZN7rocprim17ROCPRIM_400000_NS6detail17trampoline_kernelINS0_14default_configENS1_35radix_sort_onesweep_config_selectorIsNS0_10empty_typeEEEZNS1_34radix_sort_onesweep_global_offsetsIS3_Lb0EPKsPS5_mNS0_19identity_decomposerEEE10hipError_tT1_T2_PT3_SF_jT4_jjP12ihipStream_tbEUlT_E_NS1_11comp_targetILNS1_3genE2ELNS1_11target_archE906ELNS1_3gpuE6ELNS1_3repE0EEENS1_52radix_sort_onesweep_histogram_config_static_selectorELNS0_4arch9wavefront6targetE0EEEvSD_
; %bb.0:
	.section	.rodata,"a",@progbits
	.p2align	6, 0x0
	.amdhsa_kernel _ZN7rocprim17ROCPRIM_400000_NS6detail17trampoline_kernelINS0_14default_configENS1_35radix_sort_onesweep_config_selectorIsNS0_10empty_typeEEEZNS1_34radix_sort_onesweep_global_offsetsIS3_Lb0EPKsPS5_mNS0_19identity_decomposerEEE10hipError_tT1_T2_PT3_SF_jT4_jjP12ihipStream_tbEUlT_E_NS1_11comp_targetILNS1_3genE2ELNS1_11target_archE906ELNS1_3gpuE6ELNS1_3repE0EEENS1_52radix_sort_onesweep_histogram_config_static_selectorELNS0_4arch9wavefront6targetE0EEEvSD_
		.amdhsa_group_segment_fixed_size 0
		.amdhsa_private_segment_fixed_size 0
		.amdhsa_kernarg_size 48
		.amdhsa_user_sgpr_count 2
		.amdhsa_user_sgpr_dispatch_ptr 0
		.amdhsa_user_sgpr_queue_ptr 0
		.amdhsa_user_sgpr_kernarg_segment_ptr 1
		.amdhsa_user_sgpr_dispatch_id 0
		.amdhsa_user_sgpr_kernarg_preload_length 0
		.amdhsa_user_sgpr_kernarg_preload_offset 0
		.amdhsa_user_sgpr_private_segment_size 0
		.amdhsa_wavefront_size32 1
		.amdhsa_uses_dynamic_stack 0
		.amdhsa_enable_private_segment 0
		.amdhsa_system_sgpr_workgroup_id_x 1
		.amdhsa_system_sgpr_workgroup_id_y 0
		.amdhsa_system_sgpr_workgroup_id_z 0
		.amdhsa_system_sgpr_workgroup_info 0
		.amdhsa_system_vgpr_workitem_id 0
		.amdhsa_next_free_vgpr 1
		.amdhsa_next_free_sgpr 1
		.amdhsa_named_barrier_count 0
		.amdhsa_reserve_vcc 0
		.amdhsa_float_round_mode_32 0
		.amdhsa_float_round_mode_16_64 0
		.amdhsa_float_denorm_mode_32 3
		.amdhsa_float_denorm_mode_16_64 3
		.amdhsa_fp16_overflow 0
		.amdhsa_memory_ordered 1
		.amdhsa_forward_progress 1
		.amdhsa_inst_pref_size 0
		.amdhsa_round_robin_scheduling 0
		.amdhsa_exception_fp_ieee_invalid_op 0
		.amdhsa_exception_fp_denorm_src 0
		.amdhsa_exception_fp_ieee_div_zero 0
		.amdhsa_exception_fp_ieee_overflow 0
		.amdhsa_exception_fp_ieee_underflow 0
		.amdhsa_exception_fp_ieee_inexact 0
		.amdhsa_exception_int_div_zero 0
	.end_amdhsa_kernel
	.section	.text._ZN7rocprim17ROCPRIM_400000_NS6detail17trampoline_kernelINS0_14default_configENS1_35radix_sort_onesweep_config_selectorIsNS0_10empty_typeEEEZNS1_34radix_sort_onesweep_global_offsetsIS3_Lb0EPKsPS5_mNS0_19identity_decomposerEEE10hipError_tT1_T2_PT3_SF_jT4_jjP12ihipStream_tbEUlT_E_NS1_11comp_targetILNS1_3genE2ELNS1_11target_archE906ELNS1_3gpuE6ELNS1_3repE0EEENS1_52radix_sort_onesweep_histogram_config_static_selectorELNS0_4arch9wavefront6targetE0EEEvSD_,"axG",@progbits,_ZN7rocprim17ROCPRIM_400000_NS6detail17trampoline_kernelINS0_14default_configENS1_35radix_sort_onesweep_config_selectorIsNS0_10empty_typeEEEZNS1_34radix_sort_onesweep_global_offsetsIS3_Lb0EPKsPS5_mNS0_19identity_decomposerEEE10hipError_tT1_T2_PT3_SF_jT4_jjP12ihipStream_tbEUlT_E_NS1_11comp_targetILNS1_3genE2ELNS1_11target_archE906ELNS1_3gpuE6ELNS1_3repE0EEENS1_52radix_sort_onesweep_histogram_config_static_selectorELNS0_4arch9wavefront6targetE0EEEvSD_,comdat
.Lfunc_end698:
	.size	_ZN7rocprim17ROCPRIM_400000_NS6detail17trampoline_kernelINS0_14default_configENS1_35radix_sort_onesweep_config_selectorIsNS0_10empty_typeEEEZNS1_34radix_sort_onesweep_global_offsetsIS3_Lb0EPKsPS5_mNS0_19identity_decomposerEEE10hipError_tT1_T2_PT3_SF_jT4_jjP12ihipStream_tbEUlT_E_NS1_11comp_targetILNS1_3genE2ELNS1_11target_archE906ELNS1_3gpuE6ELNS1_3repE0EEENS1_52radix_sort_onesweep_histogram_config_static_selectorELNS0_4arch9wavefront6targetE0EEEvSD_, .Lfunc_end698-_ZN7rocprim17ROCPRIM_400000_NS6detail17trampoline_kernelINS0_14default_configENS1_35radix_sort_onesweep_config_selectorIsNS0_10empty_typeEEEZNS1_34radix_sort_onesweep_global_offsetsIS3_Lb0EPKsPS5_mNS0_19identity_decomposerEEE10hipError_tT1_T2_PT3_SF_jT4_jjP12ihipStream_tbEUlT_E_NS1_11comp_targetILNS1_3genE2ELNS1_11target_archE906ELNS1_3gpuE6ELNS1_3repE0EEENS1_52radix_sort_onesweep_histogram_config_static_selectorELNS0_4arch9wavefront6targetE0EEEvSD_
                                        ; -- End function
	.set _ZN7rocprim17ROCPRIM_400000_NS6detail17trampoline_kernelINS0_14default_configENS1_35radix_sort_onesweep_config_selectorIsNS0_10empty_typeEEEZNS1_34radix_sort_onesweep_global_offsetsIS3_Lb0EPKsPS5_mNS0_19identity_decomposerEEE10hipError_tT1_T2_PT3_SF_jT4_jjP12ihipStream_tbEUlT_E_NS1_11comp_targetILNS1_3genE2ELNS1_11target_archE906ELNS1_3gpuE6ELNS1_3repE0EEENS1_52radix_sort_onesweep_histogram_config_static_selectorELNS0_4arch9wavefront6targetE0EEEvSD_.num_vgpr, 0
	.set _ZN7rocprim17ROCPRIM_400000_NS6detail17trampoline_kernelINS0_14default_configENS1_35radix_sort_onesweep_config_selectorIsNS0_10empty_typeEEEZNS1_34radix_sort_onesweep_global_offsetsIS3_Lb0EPKsPS5_mNS0_19identity_decomposerEEE10hipError_tT1_T2_PT3_SF_jT4_jjP12ihipStream_tbEUlT_E_NS1_11comp_targetILNS1_3genE2ELNS1_11target_archE906ELNS1_3gpuE6ELNS1_3repE0EEENS1_52radix_sort_onesweep_histogram_config_static_selectorELNS0_4arch9wavefront6targetE0EEEvSD_.num_agpr, 0
	.set _ZN7rocprim17ROCPRIM_400000_NS6detail17trampoline_kernelINS0_14default_configENS1_35radix_sort_onesweep_config_selectorIsNS0_10empty_typeEEEZNS1_34radix_sort_onesweep_global_offsetsIS3_Lb0EPKsPS5_mNS0_19identity_decomposerEEE10hipError_tT1_T2_PT3_SF_jT4_jjP12ihipStream_tbEUlT_E_NS1_11comp_targetILNS1_3genE2ELNS1_11target_archE906ELNS1_3gpuE6ELNS1_3repE0EEENS1_52radix_sort_onesweep_histogram_config_static_selectorELNS0_4arch9wavefront6targetE0EEEvSD_.numbered_sgpr, 0
	.set _ZN7rocprim17ROCPRIM_400000_NS6detail17trampoline_kernelINS0_14default_configENS1_35radix_sort_onesweep_config_selectorIsNS0_10empty_typeEEEZNS1_34radix_sort_onesweep_global_offsetsIS3_Lb0EPKsPS5_mNS0_19identity_decomposerEEE10hipError_tT1_T2_PT3_SF_jT4_jjP12ihipStream_tbEUlT_E_NS1_11comp_targetILNS1_3genE2ELNS1_11target_archE906ELNS1_3gpuE6ELNS1_3repE0EEENS1_52radix_sort_onesweep_histogram_config_static_selectorELNS0_4arch9wavefront6targetE0EEEvSD_.num_named_barrier, 0
	.set _ZN7rocprim17ROCPRIM_400000_NS6detail17trampoline_kernelINS0_14default_configENS1_35radix_sort_onesweep_config_selectorIsNS0_10empty_typeEEEZNS1_34radix_sort_onesweep_global_offsetsIS3_Lb0EPKsPS5_mNS0_19identity_decomposerEEE10hipError_tT1_T2_PT3_SF_jT4_jjP12ihipStream_tbEUlT_E_NS1_11comp_targetILNS1_3genE2ELNS1_11target_archE906ELNS1_3gpuE6ELNS1_3repE0EEENS1_52radix_sort_onesweep_histogram_config_static_selectorELNS0_4arch9wavefront6targetE0EEEvSD_.private_seg_size, 0
	.set _ZN7rocprim17ROCPRIM_400000_NS6detail17trampoline_kernelINS0_14default_configENS1_35radix_sort_onesweep_config_selectorIsNS0_10empty_typeEEEZNS1_34radix_sort_onesweep_global_offsetsIS3_Lb0EPKsPS5_mNS0_19identity_decomposerEEE10hipError_tT1_T2_PT3_SF_jT4_jjP12ihipStream_tbEUlT_E_NS1_11comp_targetILNS1_3genE2ELNS1_11target_archE906ELNS1_3gpuE6ELNS1_3repE0EEENS1_52radix_sort_onesweep_histogram_config_static_selectorELNS0_4arch9wavefront6targetE0EEEvSD_.uses_vcc, 0
	.set _ZN7rocprim17ROCPRIM_400000_NS6detail17trampoline_kernelINS0_14default_configENS1_35radix_sort_onesweep_config_selectorIsNS0_10empty_typeEEEZNS1_34radix_sort_onesweep_global_offsetsIS3_Lb0EPKsPS5_mNS0_19identity_decomposerEEE10hipError_tT1_T2_PT3_SF_jT4_jjP12ihipStream_tbEUlT_E_NS1_11comp_targetILNS1_3genE2ELNS1_11target_archE906ELNS1_3gpuE6ELNS1_3repE0EEENS1_52radix_sort_onesweep_histogram_config_static_selectorELNS0_4arch9wavefront6targetE0EEEvSD_.uses_flat_scratch, 0
	.set _ZN7rocprim17ROCPRIM_400000_NS6detail17trampoline_kernelINS0_14default_configENS1_35radix_sort_onesweep_config_selectorIsNS0_10empty_typeEEEZNS1_34radix_sort_onesweep_global_offsetsIS3_Lb0EPKsPS5_mNS0_19identity_decomposerEEE10hipError_tT1_T2_PT3_SF_jT4_jjP12ihipStream_tbEUlT_E_NS1_11comp_targetILNS1_3genE2ELNS1_11target_archE906ELNS1_3gpuE6ELNS1_3repE0EEENS1_52radix_sort_onesweep_histogram_config_static_selectorELNS0_4arch9wavefront6targetE0EEEvSD_.has_dyn_sized_stack, 0
	.set _ZN7rocprim17ROCPRIM_400000_NS6detail17trampoline_kernelINS0_14default_configENS1_35radix_sort_onesweep_config_selectorIsNS0_10empty_typeEEEZNS1_34radix_sort_onesweep_global_offsetsIS3_Lb0EPKsPS5_mNS0_19identity_decomposerEEE10hipError_tT1_T2_PT3_SF_jT4_jjP12ihipStream_tbEUlT_E_NS1_11comp_targetILNS1_3genE2ELNS1_11target_archE906ELNS1_3gpuE6ELNS1_3repE0EEENS1_52radix_sort_onesweep_histogram_config_static_selectorELNS0_4arch9wavefront6targetE0EEEvSD_.has_recursion, 0
	.set _ZN7rocprim17ROCPRIM_400000_NS6detail17trampoline_kernelINS0_14default_configENS1_35radix_sort_onesweep_config_selectorIsNS0_10empty_typeEEEZNS1_34radix_sort_onesweep_global_offsetsIS3_Lb0EPKsPS5_mNS0_19identity_decomposerEEE10hipError_tT1_T2_PT3_SF_jT4_jjP12ihipStream_tbEUlT_E_NS1_11comp_targetILNS1_3genE2ELNS1_11target_archE906ELNS1_3gpuE6ELNS1_3repE0EEENS1_52radix_sort_onesweep_histogram_config_static_selectorELNS0_4arch9wavefront6targetE0EEEvSD_.has_indirect_call, 0
	.section	.AMDGPU.csdata,"",@progbits
; Kernel info:
; codeLenInByte = 0
; TotalNumSgprs: 0
; NumVgprs: 0
; ScratchSize: 0
; MemoryBound: 0
; FloatMode: 240
; IeeeMode: 1
; LDSByteSize: 0 bytes/workgroup (compile time only)
; SGPRBlocks: 0
; VGPRBlocks: 0
; NumSGPRsForWavesPerEU: 1
; NumVGPRsForWavesPerEU: 1
; NamedBarCnt: 0
; Occupancy: 16
; WaveLimiterHint : 0
; COMPUTE_PGM_RSRC2:SCRATCH_EN: 0
; COMPUTE_PGM_RSRC2:USER_SGPR: 2
; COMPUTE_PGM_RSRC2:TRAP_HANDLER: 0
; COMPUTE_PGM_RSRC2:TGID_X_EN: 1
; COMPUTE_PGM_RSRC2:TGID_Y_EN: 0
; COMPUTE_PGM_RSRC2:TGID_Z_EN: 0
; COMPUTE_PGM_RSRC2:TIDIG_COMP_CNT: 0
	.section	.text._ZN7rocprim17ROCPRIM_400000_NS6detail17trampoline_kernelINS0_14default_configENS1_35radix_sort_onesweep_config_selectorIsNS0_10empty_typeEEEZNS1_34radix_sort_onesweep_global_offsetsIS3_Lb0EPKsPS5_mNS0_19identity_decomposerEEE10hipError_tT1_T2_PT3_SF_jT4_jjP12ihipStream_tbEUlT_E_NS1_11comp_targetILNS1_3genE4ELNS1_11target_archE910ELNS1_3gpuE8ELNS1_3repE0EEENS1_52radix_sort_onesweep_histogram_config_static_selectorELNS0_4arch9wavefront6targetE0EEEvSD_,"axG",@progbits,_ZN7rocprim17ROCPRIM_400000_NS6detail17trampoline_kernelINS0_14default_configENS1_35radix_sort_onesweep_config_selectorIsNS0_10empty_typeEEEZNS1_34radix_sort_onesweep_global_offsetsIS3_Lb0EPKsPS5_mNS0_19identity_decomposerEEE10hipError_tT1_T2_PT3_SF_jT4_jjP12ihipStream_tbEUlT_E_NS1_11comp_targetILNS1_3genE4ELNS1_11target_archE910ELNS1_3gpuE8ELNS1_3repE0EEENS1_52radix_sort_onesweep_histogram_config_static_selectorELNS0_4arch9wavefront6targetE0EEEvSD_,comdat
	.protected	_ZN7rocprim17ROCPRIM_400000_NS6detail17trampoline_kernelINS0_14default_configENS1_35radix_sort_onesweep_config_selectorIsNS0_10empty_typeEEEZNS1_34radix_sort_onesweep_global_offsetsIS3_Lb0EPKsPS5_mNS0_19identity_decomposerEEE10hipError_tT1_T2_PT3_SF_jT4_jjP12ihipStream_tbEUlT_E_NS1_11comp_targetILNS1_3genE4ELNS1_11target_archE910ELNS1_3gpuE8ELNS1_3repE0EEENS1_52radix_sort_onesweep_histogram_config_static_selectorELNS0_4arch9wavefront6targetE0EEEvSD_ ; -- Begin function _ZN7rocprim17ROCPRIM_400000_NS6detail17trampoline_kernelINS0_14default_configENS1_35radix_sort_onesweep_config_selectorIsNS0_10empty_typeEEEZNS1_34radix_sort_onesweep_global_offsetsIS3_Lb0EPKsPS5_mNS0_19identity_decomposerEEE10hipError_tT1_T2_PT3_SF_jT4_jjP12ihipStream_tbEUlT_E_NS1_11comp_targetILNS1_3genE4ELNS1_11target_archE910ELNS1_3gpuE8ELNS1_3repE0EEENS1_52radix_sort_onesweep_histogram_config_static_selectorELNS0_4arch9wavefront6targetE0EEEvSD_
	.globl	_ZN7rocprim17ROCPRIM_400000_NS6detail17trampoline_kernelINS0_14default_configENS1_35radix_sort_onesweep_config_selectorIsNS0_10empty_typeEEEZNS1_34radix_sort_onesweep_global_offsetsIS3_Lb0EPKsPS5_mNS0_19identity_decomposerEEE10hipError_tT1_T2_PT3_SF_jT4_jjP12ihipStream_tbEUlT_E_NS1_11comp_targetILNS1_3genE4ELNS1_11target_archE910ELNS1_3gpuE8ELNS1_3repE0EEENS1_52radix_sort_onesweep_histogram_config_static_selectorELNS0_4arch9wavefront6targetE0EEEvSD_
	.p2align	8
	.type	_ZN7rocprim17ROCPRIM_400000_NS6detail17trampoline_kernelINS0_14default_configENS1_35radix_sort_onesweep_config_selectorIsNS0_10empty_typeEEEZNS1_34radix_sort_onesweep_global_offsetsIS3_Lb0EPKsPS5_mNS0_19identity_decomposerEEE10hipError_tT1_T2_PT3_SF_jT4_jjP12ihipStream_tbEUlT_E_NS1_11comp_targetILNS1_3genE4ELNS1_11target_archE910ELNS1_3gpuE8ELNS1_3repE0EEENS1_52radix_sort_onesweep_histogram_config_static_selectorELNS0_4arch9wavefront6targetE0EEEvSD_,@function
_ZN7rocprim17ROCPRIM_400000_NS6detail17trampoline_kernelINS0_14default_configENS1_35radix_sort_onesweep_config_selectorIsNS0_10empty_typeEEEZNS1_34radix_sort_onesweep_global_offsetsIS3_Lb0EPKsPS5_mNS0_19identity_decomposerEEE10hipError_tT1_T2_PT3_SF_jT4_jjP12ihipStream_tbEUlT_E_NS1_11comp_targetILNS1_3genE4ELNS1_11target_archE910ELNS1_3gpuE8ELNS1_3repE0EEENS1_52radix_sort_onesweep_histogram_config_static_selectorELNS0_4arch9wavefront6targetE0EEEvSD_: ; @_ZN7rocprim17ROCPRIM_400000_NS6detail17trampoline_kernelINS0_14default_configENS1_35radix_sort_onesweep_config_selectorIsNS0_10empty_typeEEEZNS1_34radix_sort_onesweep_global_offsetsIS3_Lb0EPKsPS5_mNS0_19identity_decomposerEEE10hipError_tT1_T2_PT3_SF_jT4_jjP12ihipStream_tbEUlT_E_NS1_11comp_targetILNS1_3genE4ELNS1_11target_archE910ELNS1_3gpuE8ELNS1_3repE0EEENS1_52radix_sort_onesweep_histogram_config_static_selectorELNS0_4arch9wavefront6targetE0EEEvSD_
; %bb.0:
	.section	.rodata,"a",@progbits
	.p2align	6, 0x0
	.amdhsa_kernel _ZN7rocprim17ROCPRIM_400000_NS6detail17trampoline_kernelINS0_14default_configENS1_35radix_sort_onesweep_config_selectorIsNS0_10empty_typeEEEZNS1_34radix_sort_onesweep_global_offsetsIS3_Lb0EPKsPS5_mNS0_19identity_decomposerEEE10hipError_tT1_T2_PT3_SF_jT4_jjP12ihipStream_tbEUlT_E_NS1_11comp_targetILNS1_3genE4ELNS1_11target_archE910ELNS1_3gpuE8ELNS1_3repE0EEENS1_52radix_sort_onesweep_histogram_config_static_selectorELNS0_4arch9wavefront6targetE0EEEvSD_
		.amdhsa_group_segment_fixed_size 0
		.amdhsa_private_segment_fixed_size 0
		.amdhsa_kernarg_size 48
		.amdhsa_user_sgpr_count 2
		.amdhsa_user_sgpr_dispatch_ptr 0
		.amdhsa_user_sgpr_queue_ptr 0
		.amdhsa_user_sgpr_kernarg_segment_ptr 1
		.amdhsa_user_sgpr_dispatch_id 0
		.amdhsa_user_sgpr_kernarg_preload_length 0
		.amdhsa_user_sgpr_kernarg_preload_offset 0
		.amdhsa_user_sgpr_private_segment_size 0
		.amdhsa_wavefront_size32 1
		.amdhsa_uses_dynamic_stack 0
		.amdhsa_enable_private_segment 0
		.amdhsa_system_sgpr_workgroup_id_x 1
		.amdhsa_system_sgpr_workgroup_id_y 0
		.amdhsa_system_sgpr_workgroup_id_z 0
		.amdhsa_system_sgpr_workgroup_info 0
		.amdhsa_system_vgpr_workitem_id 0
		.amdhsa_next_free_vgpr 1
		.amdhsa_next_free_sgpr 1
		.amdhsa_named_barrier_count 0
		.amdhsa_reserve_vcc 0
		.amdhsa_float_round_mode_32 0
		.amdhsa_float_round_mode_16_64 0
		.amdhsa_float_denorm_mode_32 3
		.amdhsa_float_denorm_mode_16_64 3
		.amdhsa_fp16_overflow 0
		.amdhsa_memory_ordered 1
		.amdhsa_forward_progress 1
		.amdhsa_inst_pref_size 0
		.amdhsa_round_robin_scheduling 0
		.amdhsa_exception_fp_ieee_invalid_op 0
		.amdhsa_exception_fp_denorm_src 0
		.amdhsa_exception_fp_ieee_div_zero 0
		.amdhsa_exception_fp_ieee_overflow 0
		.amdhsa_exception_fp_ieee_underflow 0
		.amdhsa_exception_fp_ieee_inexact 0
		.amdhsa_exception_int_div_zero 0
	.end_amdhsa_kernel
	.section	.text._ZN7rocprim17ROCPRIM_400000_NS6detail17trampoline_kernelINS0_14default_configENS1_35radix_sort_onesweep_config_selectorIsNS0_10empty_typeEEEZNS1_34radix_sort_onesweep_global_offsetsIS3_Lb0EPKsPS5_mNS0_19identity_decomposerEEE10hipError_tT1_T2_PT3_SF_jT4_jjP12ihipStream_tbEUlT_E_NS1_11comp_targetILNS1_3genE4ELNS1_11target_archE910ELNS1_3gpuE8ELNS1_3repE0EEENS1_52radix_sort_onesweep_histogram_config_static_selectorELNS0_4arch9wavefront6targetE0EEEvSD_,"axG",@progbits,_ZN7rocprim17ROCPRIM_400000_NS6detail17trampoline_kernelINS0_14default_configENS1_35radix_sort_onesweep_config_selectorIsNS0_10empty_typeEEEZNS1_34radix_sort_onesweep_global_offsetsIS3_Lb0EPKsPS5_mNS0_19identity_decomposerEEE10hipError_tT1_T2_PT3_SF_jT4_jjP12ihipStream_tbEUlT_E_NS1_11comp_targetILNS1_3genE4ELNS1_11target_archE910ELNS1_3gpuE8ELNS1_3repE0EEENS1_52radix_sort_onesweep_histogram_config_static_selectorELNS0_4arch9wavefront6targetE0EEEvSD_,comdat
.Lfunc_end699:
	.size	_ZN7rocprim17ROCPRIM_400000_NS6detail17trampoline_kernelINS0_14default_configENS1_35radix_sort_onesweep_config_selectorIsNS0_10empty_typeEEEZNS1_34radix_sort_onesweep_global_offsetsIS3_Lb0EPKsPS5_mNS0_19identity_decomposerEEE10hipError_tT1_T2_PT3_SF_jT4_jjP12ihipStream_tbEUlT_E_NS1_11comp_targetILNS1_3genE4ELNS1_11target_archE910ELNS1_3gpuE8ELNS1_3repE0EEENS1_52radix_sort_onesweep_histogram_config_static_selectorELNS0_4arch9wavefront6targetE0EEEvSD_, .Lfunc_end699-_ZN7rocprim17ROCPRIM_400000_NS6detail17trampoline_kernelINS0_14default_configENS1_35radix_sort_onesweep_config_selectorIsNS0_10empty_typeEEEZNS1_34radix_sort_onesweep_global_offsetsIS3_Lb0EPKsPS5_mNS0_19identity_decomposerEEE10hipError_tT1_T2_PT3_SF_jT4_jjP12ihipStream_tbEUlT_E_NS1_11comp_targetILNS1_3genE4ELNS1_11target_archE910ELNS1_3gpuE8ELNS1_3repE0EEENS1_52radix_sort_onesweep_histogram_config_static_selectorELNS0_4arch9wavefront6targetE0EEEvSD_
                                        ; -- End function
	.set _ZN7rocprim17ROCPRIM_400000_NS6detail17trampoline_kernelINS0_14default_configENS1_35radix_sort_onesweep_config_selectorIsNS0_10empty_typeEEEZNS1_34radix_sort_onesweep_global_offsetsIS3_Lb0EPKsPS5_mNS0_19identity_decomposerEEE10hipError_tT1_T2_PT3_SF_jT4_jjP12ihipStream_tbEUlT_E_NS1_11comp_targetILNS1_3genE4ELNS1_11target_archE910ELNS1_3gpuE8ELNS1_3repE0EEENS1_52radix_sort_onesweep_histogram_config_static_selectorELNS0_4arch9wavefront6targetE0EEEvSD_.num_vgpr, 0
	.set _ZN7rocprim17ROCPRIM_400000_NS6detail17trampoline_kernelINS0_14default_configENS1_35radix_sort_onesweep_config_selectorIsNS0_10empty_typeEEEZNS1_34radix_sort_onesweep_global_offsetsIS3_Lb0EPKsPS5_mNS0_19identity_decomposerEEE10hipError_tT1_T2_PT3_SF_jT4_jjP12ihipStream_tbEUlT_E_NS1_11comp_targetILNS1_3genE4ELNS1_11target_archE910ELNS1_3gpuE8ELNS1_3repE0EEENS1_52radix_sort_onesweep_histogram_config_static_selectorELNS0_4arch9wavefront6targetE0EEEvSD_.num_agpr, 0
	.set _ZN7rocprim17ROCPRIM_400000_NS6detail17trampoline_kernelINS0_14default_configENS1_35radix_sort_onesweep_config_selectorIsNS0_10empty_typeEEEZNS1_34radix_sort_onesweep_global_offsetsIS3_Lb0EPKsPS5_mNS0_19identity_decomposerEEE10hipError_tT1_T2_PT3_SF_jT4_jjP12ihipStream_tbEUlT_E_NS1_11comp_targetILNS1_3genE4ELNS1_11target_archE910ELNS1_3gpuE8ELNS1_3repE0EEENS1_52radix_sort_onesweep_histogram_config_static_selectorELNS0_4arch9wavefront6targetE0EEEvSD_.numbered_sgpr, 0
	.set _ZN7rocprim17ROCPRIM_400000_NS6detail17trampoline_kernelINS0_14default_configENS1_35radix_sort_onesweep_config_selectorIsNS0_10empty_typeEEEZNS1_34radix_sort_onesweep_global_offsetsIS3_Lb0EPKsPS5_mNS0_19identity_decomposerEEE10hipError_tT1_T2_PT3_SF_jT4_jjP12ihipStream_tbEUlT_E_NS1_11comp_targetILNS1_3genE4ELNS1_11target_archE910ELNS1_3gpuE8ELNS1_3repE0EEENS1_52radix_sort_onesweep_histogram_config_static_selectorELNS0_4arch9wavefront6targetE0EEEvSD_.num_named_barrier, 0
	.set _ZN7rocprim17ROCPRIM_400000_NS6detail17trampoline_kernelINS0_14default_configENS1_35radix_sort_onesweep_config_selectorIsNS0_10empty_typeEEEZNS1_34radix_sort_onesweep_global_offsetsIS3_Lb0EPKsPS5_mNS0_19identity_decomposerEEE10hipError_tT1_T2_PT3_SF_jT4_jjP12ihipStream_tbEUlT_E_NS1_11comp_targetILNS1_3genE4ELNS1_11target_archE910ELNS1_3gpuE8ELNS1_3repE0EEENS1_52radix_sort_onesweep_histogram_config_static_selectorELNS0_4arch9wavefront6targetE0EEEvSD_.private_seg_size, 0
	.set _ZN7rocprim17ROCPRIM_400000_NS6detail17trampoline_kernelINS0_14default_configENS1_35radix_sort_onesweep_config_selectorIsNS0_10empty_typeEEEZNS1_34radix_sort_onesweep_global_offsetsIS3_Lb0EPKsPS5_mNS0_19identity_decomposerEEE10hipError_tT1_T2_PT3_SF_jT4_jjP12ihipStream_tbEUlT_E_NS1_11comp_targetILNS1_3genE4ELNS1_11target_archE910ELNS1_3gpuE8ELNS1_3repE0EEENS1_52radix_sort_onesweep_histogram_config_static_selectorELNS0_4arch9wavefront6targetE0EEEvSD_.uses_vcc, 0
	.set _ZN7rocprim17ROCPRIM_400000_NS6detail17trampoline_kernelINS0_14default_configENS1_35radix_sort_onesweep_config_selectorIsNS0_10empty_typeEEEZNS1_34radix_sort_onesweep_global_offsetsIS3_Lb0EPKsPS5_mNS0_19identity_decomposerEEE10hipError_tT1_T2_PT3_SF_jT4_jjP12ihipStream_tbEUlT_E_NS1_11comp_targetILNS1_3genE4ELNS1_11target_archE910ELNS1_3gpuE8ELNS1_3repE0EEENS1_52radix_sort_onesweep_histogram_config_static_selectorELNS0_4arch9wavefront6targetE0EEEvSD_.uses_flat_scratch, 0
	.set _ZN7rocprim17ROCPRIM_400000_NS6detail17trampoline_kernelINS0_14default_configENS1_35radix_sort_onesweep_config_selectorIsNS0_10empty_typeEEEZNS1_34radix_sort_onesweep_global_offsetsIS3_Lb0EPKsPS5_mNS0_19identity_decomposerEEE10hipError_tT1_T2_PT3_SF_jT4_jjP12ihipStream_tbEUlT_E_NS1_11comp_targetILNS1_3genE4ELNS1_11target_archE910ELNS1_3gpuE8ELNS1_3repE0EEENS1_52radix_sort_onesweep_histogram_config_static_selectorELNS0_4arch9wavefront6targetE0EEEvSD_.has_dyn_sized_stack, 0
	.set _ZN7rocprim17ROCPRIM_400000_NS6detail17trampoline_kernelINS0_14default_configENS1_35radix_sort_onesweep_config_selectorIsNS0_10empty_typeEEEZNS1_34radix_sort_onesweep_global_offsetsIS3_Lb0EPKsPS5_mNS0_19identity_decomposerEEE10hipError_tT1_T2_PT3_SF_jT4_jjP12ihipStream_tbEUlT_E_NS1_11comp_targetILNS1_3genE4ELNS1_11target_archE910ELNS1_3gpuE8ELNS1_3repE0EEENS1_52radix_sort_onesweep_histogram_config_static_selectorELNS0_4arch9wavefront6targetE0EEEvSD_.has_recursion, 0
	.set _ZN7rocprim17ROCPRIM_400000_NS6detail17trampoline_kernelINS0_14default_configENS1_35radix_sort_onesweep_config_selectorIsNS0_10empty_typeEEEZNS1_34radix_sort_onesweep_global_offsetsIS3_Lb0EPKsPS5_mNS0_19identity_decomposerEEE10hipError_tT1_T2_PT3_SF_jT4_jjP12ihipStream_tbEUlT_E_NS1_11comp_targetILNS1_3genE4ELNS1_11target_archE910ELNS1_3gpuE8ELNS1_3repE0EEENS1_52radix_sort_onesweep_histogram_config_static_selectorELNS0_4arch9wavefront6targetE0EEEvSD_.has_indirect_call, 0
	.section	.AMDGPU.csdata,"",@progbits
; Kernel info:
; codeLenInByte = 0
; TotalNumSgprs: 0
; NumVgprs: 0
; ScratchSize: 0
; MemoryBound: 0
; FloatMode: 240
; IeeeMode: 1
; LDSByteSize: 0 bytes/workgroup (compile time only)
; SGPRBlocks: 0
; VGPRBlocks: 0
; NumSGPRsForWavesPerEU: 1
; NumVGPRsForWavesPerEU: 1
; NamedBarCnt: 0
; Occupancy: 16
; WaveLimiterHint : 0
; COMPUTE_PGM_RSRC2:SCRATCH_EN: 0
; COMPUTE_PGM_RSRC2:USER_SGPR: 2
; COMPUTE_PGM_RSRC2:TRAP_HANDLER: 0
; COMPUTE_PGM_RSRC2:TGID_X_EN: 1
; COMPUTE_PGM_RSRC2:TGID_Y_EN: 0
; COMPUTE_PGM_RSRC2:TGID_Z_EN: 0
; COMPUTE_PGM_RSRC2:TIDIG_COMP_CNT: 0
	.section	.text._ZN7rocprim17ROCPRIM_400000_NS6detail17trampoline_kernelINS0_14default_configENS1_35radix_sort_onesweep_config_selectorIsNS0_10empty_typeEEEZNS1_34radix_sort_onesweep_global_offsetsIS3_Lb0EPKsPS5_mNS0_19identity_decomposerEEE10hipError_tT1_T2_PT3_SF_jT4_jjP12ihipStream_tbEUlT_E_NS1_11comp_targetILNS1_3genE3ELNS1_11target_archE908ELNS1_3gpuE7ELNS1_3repE0EEENS1_52radix_sort_onesweep_histogram_config_static_selectorELNS0_4arch9wavefront6targetE0EEEvSD_,"axG",@progbits,_ZN7rocprim17ROCPRIM_400000_NS6detail17trampoline_kernelINS0_14default_configENS1_35radix_sort_onesweep_config_selectorIsNS0_10empty_typeEEEZNS1_34radix_sort_onesweep_global_offsetsIS3_Lb0EPKsPS5_mNS0_19identity_decomposerEEE10hipError_tT1_T2_PT3_SF_jT4_jjP12ihipStream_tbEUlT_E_NS1_11comp_targetILNS1_3genE3ELNS1_11target_archE908ELNS1_3gpuE7ELNS1_3repE0EEENS1_52radix_sort_onesweep_histogram_config_static_selectorELNS0_4arch9wavefront6targetE0EEEvSD_,comdat
	.protected	_ZN7rocprim17ROCPRIM_400000_NS6detail17trampoline_kernelINS0_14default_configENS1_35radix_sort_onesweep_config_selectorIsNS0_10empty_typeEEEZNS1_34radix_sort_onesweep_global_offsetsIS3_Lb0EPKsPS5_mNS0_19identity_decomposerEEE10hipError_tT1_T2_PT3_SF_jT4_jjP12ihipStream_tbEUlT_E_NS1_11comp_targetILNS1_3genE3ELNS1_11target_archE908ELNS1_3gpuE7ELNS1_3repE0EEENS1_52radix_sort_onesweep_histogram_config_static_selectorELNS0_4arch9wavefront6targetE0EEEvSD_ ; -- Begin function _ZN7rocprim17ROCPRIM_400000_NS6detail17trampoline_kernelINS0_14default_configENS1_35radix_sort_onesweep_config_selectorIsNS0_10empty_typeEEEZNS1_34radix_sort_onesweep_global_offsetsIS3_Lb0EPKsPS5_mNS0_19identity_decomposerEEE10hipError_tT1_T2_PT3_SF_jT4_jjP12ihipStream_tbEUlT_E_NS1_11comp_targetILNS1_3genE3ELNS1_11target_archE908ELNS1_3gpuE7ELNS1_3repE0EEENS1_52radix_sort_onesweep_histogram_config_static_selectorELNS0_4arch9wavefront6targetE0EEEvSD_
	.globl	_ZN7rocprim17ROCPRIM_400000_NS6detail17trampoline_kernelINS0_14default_configENS1_35radix_sort_onesweep_config_selectorIsNS0_10empty_typeEEEZNS1_34radix_sort_onesweep_global_offsetsIS3_Lb0EPKsPS5_mNS0_19identity_decomposerEEE10hipError_tT1_T2_PT3_SF_jT4_jjP12ihipStream_tbEUlT_E_NS1_11comp_targetILNS1_3genE3ELNS1_11target_archE908ELNS1_3gpuE7ELNS1_3repE0EEENS1_52radix_sort_onesweep_histogram_config_static_selectorELNS0_4arch9wavefront6targetE0EEEvSD_
	.p2align	8
	.type	_ZN7rocprim17ROCPRIM_400000_NS6detail17trampoline_kernelINS0_14default_configENS1_35radix_sort_onesweep_config_selectorIsNS0_10empty_typeEEEZNS1_34radix_sort_onesweep_global_offsetsIS3_Lb0EPKsPS5_mNS0_19identity_decomposerEEE10hipError_tT1_T2_PT3_SF_jT4_jjP12ihipStream_tbEUlT_E_NS1_11comp_targetILNS1_3genE3ELNS1_11target_archE908ELNS1_3gpuE7ELNS1_3repE0EEENS1_52radix_sort_onesweep_histogram_config_static_selectorELNS0_4arch9wavefront6targetE0EEEvSD_,@function
_ZN7rocprim17ROCPRIM_400000_NS6detail17trampoline_kernelINS0_14default_configENS1_35radix_sort_onesweep_config_selectorIsNS0_10empty_typeEEEZNS1_34radix_sort_onesweep_global_offsetsIS3_Lb0EPKsPS5_mNS0_19identity_decomposerEEE10hipError_tT1_T2_PT3_SF_jT4_jjP12ihipStream_tbEUlT_E_NS1_11comp_targetILNS1_3genE3ELNS1_11target_archE908ELNS1_3gpuE7ELNS1_3repE0EEENS1_52radix_sort_onesweep_histogram_config_static_selectorELNS0_4arch9wavefront6targetE0EEEvSD_: ; @_ZN7rocprim17ROCPRIM_400000_NS6detail17trampoline_kernelINS0_14default_configENS1_35radix_sort_onesweep_config_selectorIsNS0_10empty_typeEEEZNS1_34radix_sort_onesweep_global_offsetsIS3_Lb0EPKsPS5_mNS0_19identity_decomposerEEE10hipError_tT1_T2_PT3_SF_jT4_jjP12ihipStream_tbEUlT_E_NS1_11comp_targetILNS1_3genE3ELNS1_11target_archE908ELNS1_3gpuE7ELNS1_3repE0EEENS1_52radix_sort_onesweep_histogram_config_static_selectorELNS0_4arch9wavefront6targetE0EEEvSD_
; %bb.0:
	.section	.rodata,"a",@progbits
	.p2align	6, 0x0
	.amdhsa_kernel _ZN7rocprim17ROCPRIM_400000_NS6detail17trampoline_kernelINS0_14default_configENS1_35radix_sort_onesweep_config_selectorIsNS0_10empty_typeEEEZNS1_34radix_sort_onesweep_global_offsetsIS3_Lb0EPKsPS5_mNS0_19identity_decomposerEEE10hipError_tT1_T2_PT3_SF_jT4_jjP12ihipStream_tbEUlT_E_NS1_11comp_targetILNS1_3genE3ELNS1_11target_archE908ELNS1_3gpuE7ELNS1_3repE0EEENS1_52radix_sort_onesweep_histogram_config_static_selectorELNS0_4arch9wavefront6targetE0EEEvSD_
		.amdhsa_group_segment_fixed_size 0
		.amdhsa_private_segment_fixed_size 0
		.amdhsa_kernarg_size 48
		.amdhsa_user_sgpr_count 2
		.amdhsa_user_sgpr_dispatch_ptr 0
		.amdhsa_user_sgpr_queue_ptr 0
		.amdhsa_user_sgpr_kernarg_segment_ptr 1
		.amdhsa_user_sgpr_dispatch_id 0
		.amdhsa_user_sgpr_kernarg_preload_length 0
		.amdhsa_user_sgpr_kernarg_preload_offset 0
		.amdhsa_user_sgpr_private_segment_size 0
		.amdhsa_wavefront_size32 1
		.amdhsa_uses_dynamic_stack 0
		.amdhsa_enable_private_segment 0
		.amdhsa_system_sgpr_workgroup_id_x 1
		.amdhsa_system_sgpr_workgroup_id_y 0
		.amdhsa_system_sgpr_workgroup_id_z 0
		.amdhsa_system_sgpr_workgroup_info 0
		.amdhsa_system_vgpr_workitem_id 0
		.amdhsa_next_free_vgpr 1
		.amdhsa_next_free_sgpr 1
		.amdhsa_named_barrier_count 0
		.amdhsa_reserve_vcc 0
		.amdhsa_float_round_mode_32 0
		.amdhsa_float_round_mode_16_64 0
		.amdhsa_float_denorm_mode_32 3
		.amdhsa_float_denorm_mode_16_64 3
		.amdhsa_fp16_overflow 0
		.amdhsa_memory_ordered 1
		.amdhsa_forward_progress 1
		.amdhsa_inst_pref_size 0
		.amdhsa_round_robin_scheduling 0
		.amdhsa_exception_fp_ieee_invalid_op 0
		.amdhsa_exception_fp_denorm_src 0
		.amdhsa_exception_fp_ieee_div_zero 0
		.amdhsa_exception_fp_ieee_overflow 0
		.amdhsa_exception_fp_ieee_underflow 0
		.amdhsa_exception_fp_ieee_inexact 0
		.amdhsa_exception_int_div_zero 0
	.end_amdhsa_kernel
	.section	.text._ZN7rocprim17ROCPRIM_400000_NS6detail17trampoline_kernelINS0_14default_configENS1_35radix_sort_onesweep_config_selectorIsNS0_10empty_typeEEEZNS1_34radix_sort_onesweep_global_offsetsIS3_Lb0EPKsPS5_mNS0_19identity_decomposerEEE10hipError_tT1_T2_PT3_SF_jT4_jjP12ihipStream_tbEUlT_E_NS1_11comp_targetILNS1_3genE3ELNS1_11target_archE908ELNS1_3gpuE7ELNS1_3repE0EEENS1_52radix_sort_onesweep_histogram_config_static_selectorELNS0_4arch9wavefront6targetE0EEEvSD_,"axG",@progbits,_ZN7rocprim17ROCPRIM_400000_NS6detail17trampoline_kernelINS0_14default_configENS1_35radix_sort_onesweep_config_selectorIsNS0_10empty_typeEEEZNS1_34radix_sort_onesweep_global_offsetsIS3_Lb0EPKsPS5_mNS0_19identity_decomposerEEE10hipError_tT1_T2_PT3_SF_jT4_jjP12ihipStream_tbEUlT_E_NS1_11comp_targetILNS1_3genE3ELNS1_11target_archE908ELNS1_3gpuE7ELNS1_3repE0EEENS1_52radix_sort_onesweep_histogram_config_static_selectorELNS0_4arch9wavefront6targetE0EEEvSD_,comdat
.Lfunc_end700:
	.size	_ZN7rocprim17ROCPRIM_400000_NS6detail17trampoline_kernelINS0_14default_configENS1_35radix_sort_onesweep_config_selectorIsNS0_10empty_typeEEEZNS1_34radix_sort_onesweep_global_offsetsIS3_Lb0EPKsPS5_mNS0_19identity_decomposerEEE10hipError_tT1_T2_PT3_SF_jT4_jjP12ihipStream_tbEUlT_E_NS1_11comp_targetILNS1_3genE3ELNS1_11target_archE908ELNS1_3gpuE7ELNS1_3repE0EEENS1_52radix_sort_onesweep_histogram_config_static_selectorELNS0_4arch9wavefront6targetE0EEEvSD_, .Lfunc_end700-_ZN7rocprim17ROCPRIM_400000_NS6detail17trampoline_kernelINS0_14default_configENS1_35radix_sort_onesweep_config_selectorIsNS0_10empty_typeEEEZNS1_34radix_sort_onesweep_global_offsetsIS3_Lb0EPKsPS5_mNS0_19identity_decomposerEEE10hipError_tT1_T2_PT3_SF_jT4_jjP12ihipStream_tbEUlT_E_NS1_11comp_targetILNS1_3genE3ELNS1_11target_archE908ELNS1_3gpuE7ELNS1_3repE0EEENS1_52radix_sort_onesweep_histogram_config_static_selectorELNS0_4arch9wavefront6targetE0EEEvSD_
                                        ; -- End function
	.set _ZN7rocprim17ROCPRIM_400000_NS6detail17trampoline_kernelINS0_14default_configENS1_35radix_sort_onesweep_config_selectorIsNS0_10empty_typeEEEZNS1_34radix_sort_onesweep_global_offsetsIS3_Lb0EPKsPS5_mNS0_19identity_decomposerEEE10hipError_tT1_T2_PT3_SF_jT4_jjP12ihipStream_tbEUlT_E_NS1_11comp_targetILNS1_3genE3ELNS1_11target_archE908ELNS1_3gpuE7ELNS1_3repE0EEENS1_52radix_sort_onesweep_histogram_config_static_selectorELNS0_4arch9wavefront6targetE0EEEvSD_.num_vgpr, 0
	.set _ZN7rocprim17ROCPRIM_400000_NS6detail17trampoline_kernelINS0_14default_configENS1_35radix_sort_onesweep_config_selectorIsNS0_10empty_typeEEEZNS1_34radix_sort_onesweep_global_offsetsIS3_Lb0EPKsPS5_mNS0_19identity_decomposerEEE10hipError_tT1_T2_PT3_SF_jT4_jjP12ihipStream_tbEUlT_E_NS1_11comp_targetILNS1_3genE3ELNS1_11target_archE908ELNS1_3gpuE7ELNS1_3repE0EEENS1_52radix_sort_onesweep_histogram_config_static_selectorELNS0_4arch9wavefront6targetE0EEEvSD_.num_agpr, 0
	.set _ZN7rocprim17ROCPRIM_400000_NS6detail17trampoline_kernelINS0_14default_configENS1_35radix_sort_onesweep_config_selectorIsNS0_10empty_typeEEEZNS1_34radix_sort_onesweep_global_offsetsIS3_Lb0EPKsPS5_mNS0_19identity_decomposerEEE10hipError_tT1_T2_PT3_SF_jT4_jjP12ihipStream_tbEUlT_E_NS1_11comp_targetILNS1_3genE3ELNS1_11target_archE908ELNS1_3gpuE7ELNS1_3repE0EEENS1_52radix_sort_onesweep_histogram_config_static_selectorELNS0_4arch9wavefront6targetE0EEEvSD_.numbered_sgpr, 0
	.set _ZN7rocprim17ROCPRIM_400000_NS6detail17trampoline_kernelINS0_14default_configENS1_35radix_sort_onesweep_config_selectorIsNS0_10empty_typeEEEZNS1_34radix_sort_onesweep_global_offsetsIS3_Lb0EPKsPS5_mNS0_19identity_decomposerEEE10hipError_tT1_T2_PT3_SF_jT4_jjP12ihipStream_tbEUlT_E_NS1_11comp_targetILNS1_3genE3ELNS1_11target_archE908ELNS1_3gpuE7ELNS1_3repE0EEENS1_52radix_sort_onesweep_histogram_config_static_selectorELNS0_4arch9wavefront6targetE0EEEvSD_.num_named_barrier, 0
	.set _ZN7rocprim17ROCPRIM_400000_NS6detail17trampoline_kernelINS0_14default_configENS1_35radix_sort_onesweep_config_selectorIsNS0_10empty_typeEEEZNS1_34radix_sort_onesweep_global_offsetsIS3_Lb0EPKsPS5_mNS0_19identity_decomposerEEE10hipError_tT1_T2_PT3_SF_jT4_jjP12ihipStream_tbEUlT_E_NS1_11comp_targetILNS1_3genE3ELNS1_11target_archE908ELNS1_3gpuE7ELNS1_3repE0EEENS1_52radix_sort_onesweep_histogram_config_static_selectorELNS0_4arch9wavefront6targetE0EEEvSD_.private_seg_size, 0
	.set _ZN7rocprim17ROCPRIM_400000_NS6detail17trampoline_kernelINS0_14default_configENS1_35radix_sort_onesweep_config_selectorIsNS0_10empty_typeEEEZNS1_34radix_sort_onesweep_global_offsetsIS3_Lb0EPKsPS5_mNS0_19identity_decomposerEEE10hipError_tT1_T2_PT3_SF_jT4_jjP12ihipStream_tbEUlT_E_NS1_11comp_targetILNS1_3genE3ELNS1_11target_archE908ELNS1_3gpuE7ELNS1_3repE0EEENS1_52radix_sort_onesweep_histogram_config_static_selectorELNS0_4arch9wavefront6targetE0EEEvSD_.uses_vcc, 0
	.set _ZN7rocprim17ROCPRIM_400000_NS6detail17trampoline_kernelINS0_14default_configENS1_35radix_sort_onesweep_config_selectorIsNS0_10empty_typeEEEZNS1_34radix_sort_onesweep_global_offsetsIS3_Lb0EPKsPS5_mNS0_19identity_decomposerEEE10hipError_tT1_T2_PT3_SF_jT4_jjP12ihipStream_tbEUlT_E_NS1_11comp_targetILNS1_3genE3ELNS1_11target_archE908ELNS1_3gpuE7ELNS1_3repE0EEENS1_52radix_sort_onesweep_histogram_config_static_selectorELNS0_4arch9wavefront6targetE0EEEvSD_.uses_flat_scratch, 0
	.set _ZN7rocprim17ROCPRIM_400000_NS6detail17trampoline_kernelINS0_14default_configENS1_35radix_sort_onesweep_config_selectorIsNS0_10empty_typeEEEZNS1_34radix_sort_onesweep_global_offsetsIS3_Lb0EPKsPS5_mNS0_19identity_decomposerEEE10hipError_tT1_T2_PT3_SF_jT4_jjP12ihipStream_tbEUlT_E_NS1_11comp_targetILNS1_3genE3ELNS1_11target_archE908ELNS1_3gpuE7ELNS1_3repE0EEENS1_52radix_sort_onesweep_histogram_config_static_selectorELNS0_4arch9wavefront6targetE0EEEvSD_.has_dyn_sized_stack, 0
	.set _ZN7rocprim17ROCPRIM_400000_NS6detail17trampoline_kernelINS0_14default_configENS1_35radix_sort_onesweep_config_selectorIsNS0_10empty_typeEEEZNS1_34radix_sort_onesweep_global_offsetsIS3_Lb0EPKsPS5_mNS0_19identity_decomposerEEE10hipError_tT1_T2_PT3_SF_jT4_jjP12ihipStream_tbEUlT_E_NS1_11comp_targetILNS1_3genE3ELNS1_11target_archE908ELNS1_3gpuE7ELNS1_3repE0EEENS1_52radix_sort_onesweep_histogram_config_static_selectorELNS0_4arch9wavefront6targetE0EEEvSD_.has_recursion, 0
	.set _ZN7rocprim17ROCPRIM_400000_NS6detail17trampoline_kernelINS0_14default_configENS1_35radix_sort_onesweep_config_selectorIsNS0_10empty_typeEEEZNS1_34radix_sort_onesweep_global_offsetsIS3_Lb0EPKsPS5_mNS0_19identity_decomposerEEE10hipError_tT1_T2_PT3_SF_jT4_jjP12ihipStream_tbEUlT_E_NS1_11comp_targetILNS1_3genE3ELNS1_11target_archE908ELNS1_3gpuE7ELNS1_3repE0EEENS1_52radix_sort_onesweep_histogram_config_static_selectorELNS0_4arch9wavefront6targetE0EEEvSD_.has_indirect_call, 0
	.section	.AMDGPU.csdata,"",@progbits
; Kernel info:
; codeLenInByte = 0
; TotalNumSgprs: 0
; NumVgprs: 0
; ScratchSize: 0
; MemoryBound: 0
; FloatMode: 240
; IeeeMode: 1
; LDSByteSize: 0 bytes/workgroup (compile time only)
; SGPRBlocks: 0
; VGPRBlocks: 0
; NumSGPRsForWavesPerEU: 1
; NumVGPRsForWavesPerEU: 1
; NamedBarCnt: 0
; Occupancy: 16
; WaveLimiterHint : 0
; COMPUTE_PGM_RSRC2:SCRATCH_EN: 0
; COMPUTE_PGM_RSRC2:USER_SGPR: 2
; COMPUTE_PGM_RSRC2:TRAP_HANDLER: 0
; COMPUTE_PGM_RSRC2:TGID_X_EN: 1
; COMPUTE_PGM_RSRC2:TGID_Y_EN: 0
; COMPUTE_PGM_RSRC2:TGID_Z_EN: 0
; COMPUTE_PGM_RSRC2:TIDIG_COMP_CNT: 0
	.section	.text._ZN7rocprim17ROCPRIM_400000_NS6detail17trampoline_kernelINS0_14default_configENS1_35radix_sort_onesweep_config_selectorIsNS0_10empty_typeEEEZNS1_34radix_sort_onesweep_global_offsetsIS3_Lb0EPKsPS5_mNS0_19identity_decomposerEEE10hipError_tT1_T2_PT3_SF_jT4_jjP12ihipStream_tbEUlT_E_NS1_11comp_targetILNS1_3genE10ELNS1_11target_archE1201ELNS1_3gpuE5ELNS1_3repE0EEENS1_52radix_sort_onesweep_histogram_config_static_selectorELNS0_4arch9wavefront6targetE0EEEvSD_,"axG",@progbits,_ZN7rocprim17ROCPRIM_400000_NS6detail17trampoline_kernelINS0_14default_configENS1_35radix_sort_onesweep_config_selectorIsNS0_10empty_typeEEEZNS1_34radix_sort_onesweep_global_offsetsIS3_Lb0EPKsPS5_mNS0_19identity_decomposerEEE10hipError_tT1_T2_PT3_SF_jT4_jjP12ihipStream_tbEUlT_E_NS1_11comp_targetILNS1_3genE10ELNS1_11target_archE1201ELNS1_3gpuE5ELNS1_3repE0EEENS1_52radix_sort_onesweep_histogram_config_static_selectorELNS0_4arch9wavefront6targetE0EEEvSD_,comdat
	.protected	_ZN7rocprim17ROCPRIM_400000_NS6detail17trampoline_kernelINS0_14default_configENS1_35radix_sort_onesweep_config_selectorIsNS0_10empty_typeEEEZNS1_34radix_sort_onesweep_global_offsetsIS3_Lb0EPKsPS5_mNS0_19identity_decomposerEEE10hipError_tT1_T2_PT3_SF_jT4_jjP12ihipStream_tbEUlT_E_NS1_11comp_targetILNS1_3genE10ELNS1_11target_archE1201ELNS1_3gpuE5ELNS1_3repE0EEENS1_52radix_sort_onesweep_histogram_config_static_selectorELNS0_4arch9wavefront6targetE0EEEvSD_ ; -- Begin function _ZN7rocprim17ROCPRIM_400000_NS6detail17trampoline_kernelINS0_14default_configENS1_35radix_sort_onesweep_config_selectorIsNS0_10empty_typeEEEZNS1_34radix_sort_onesweep_global_offsetsIS3_Lb0EPKsPS5_mNS0_19identity_decomposerEEE10hipError_tT1_T2_PT3_SF_jT4_jjP12ihipStream_tbEUlT_E_NS1_11comp_targetILNS1_3genE10ELNS1_11target_archE1201ELNS1_3gpuE5ELNS1_3repE0EEENS1_52radix_sort_onesweep_histogram_config_static_selectorELNS0_4arch9wavefront6targetE0EEEvSD_
	.globl	_ZN7rocprim17ROCPRIM_400000_NS6detail17trampoline_kernelINS0_14default_configENS1_35radix_sort_onesweep_config_selectorIsNS0_10empty_typeEEEZNS1_34radix_sort_onesweep_global_offsetsIS3_Lb0EPKsPS5_mNS0_19identity_decomposerEEE10hipError_tT1_T2_PT3_SF_jT4_jjP12ihipStream_tbEUlT_E_NS1_11comp_targetILNS1_3genE10ELNS1_11target_archE1201ELNS1_3gpuE5ELNS1_3repE0EEENS1_52radix_sort_onesweep_histogram_config_static_selectorELNS0_4arch9wavefront6targetE0EEEvSD_
	.p2align	8
	.type	_ZN7rocprim17ROCPRIM_400000_NS6detail17trampoline_kernelINS0_14default_configENS1_35radix_sort_onesweep_config_selectorIsNS0_10empty_typeEEEZNS1_34radix_sort_onesweep_global_offsetsIS3_Lb0EPKsPS5_mNS0_19identity_decomposerEEE10hipError_tT1_T2_PT3_SF_jT4_jjP12ihipStream_tbEUlT_E_NS1_11comp_targetILNS1_3genE10ELNS1_11target_archE1201ELNS1_3gpuE5ELNS1_3repE0EEENS1_52radix_sort_onesweep_histogram_config_static_selectorELNS0_4arch9wavefront6targetE0EEEvSD_,@function
_ZN7rocprim17ROCPRIM_400000_NS6detail17trampoline_kernelINS0_14default_configENS1_35radix_sort_onesweep_config_selectorIsNS0_10empty_typeEEEZNS1_34radix_sort_onesweep_global_offsetsIS3_Lb0EPKsPS5_mNS0_19identity_decomposerEEE10hipError_tT1_T2_PT3_SF_jT4_jjP12ihipStream_tbEUlT_E_NS1_11comp_targetILNS1_3genE10ELNS1_11target_archE1201ELNS1_3gpuE5ELNS1_3repE0EEENS1_52radix_sort_onesweep_histogram_config_static_selectorELNS0_4arch9wavefront6targetE0EEEvSD_: ; @_ZN7rocprim17ROCPRIM_400000_NS6detail17trampoline_kernelINS0_14default_configENS1_35radix_sort_onesweep_config_selectorIsNS0_10empty_typeEEEZNS1_34radix_sort_onesweep_global_offsetsIS3_Lb0EPKsPS5_mNS0_19identity_decomposerEEE10hipError_tT1_T2_PT3_SF_jT4_jjP12ihipStream_tbEUlT_E_NS1_11comp_targetILNS1_3genE10ELNS1_11target_archE1201ELNS1_3gpuE5ELNS1_3repE0EEENS1_52radix_sort_onesweep_histogram_config_static_selectorELNS0_4arch9wavefront6targetE0EEEvSD_
; %bb.0:
	.section	.rodata,"a",@progbits
	.p2align	6, 0x0
	.amdhsa_kernel _ZN7rocprim17ROCPRIM_400000_NS6detail17trampoline_kernelINS0_14default_configENS1_35radix_sort_onesweep_config_selectorIsNS0_10empty_typeEEEZNS1_34radix_sort_onesweep_global_offsetsIS3_Lb0EPKsPS5_mNS0_19identity_decomposerEEE10hipError_tT1_T2_PT3_SF_jT4_jjP12ihipStream_tbEUlT_E_NS1_11comp_targetILNS1_3genE10ELNS1_11target_archE1201ELNS1_3gpuE5ELNS1_3repE0EEENS1_52radix_sort_onesweep_histogram_config_static_selectorELNS0_4arch9wavefront6targetE0EEEvSD_
		.amdhsa_group_segment_fixed_size 0
		.amdhsa_private_segment_fixed_size 0
		.amdhsa_kernarg_size 48
		.amdhsa_user_sgpr_count 2
		.amdhsa_user_sgpr_dispatch_ptr 0
		.amdhsa_user_sgpr_queue_ptr 0
		.amdhsa_user_sgpr_kernarg_segment_ptr 1
		.amdhsa_user_sgpr_dispatch_id 0
		.amdhsa_user_sgpr_kernarg_preload_length 0
		.amdhsa_user_sgpr_kernarg_preload_offset 0
		.amdhsa_user_sgpr_private_segment_size 0
		.amdhsa_wavefront_size32 1
		.amdhsa_uses_dynamic_stack 0
		.amdhsa_enable_private_segment 0
		.amdhsa_system_sgpr_workgroup_id_x 1
		.amdhsa_system_sgpr_workgroup_id_y 0
		.amdhsa_system_sgpr_workgroup_id_z 0
		.amdhsa_system_sgpr_workgroup_info 0
		.amdhsa_system_vgpr_workitem_id 0
		.amdhsa_next_free_vgpr 1
		.amdhsa_next_free_sgpr 1
		.amdhsa_named_barrier_count 0
		.amdhsa_reserve_vcc 0
		.amdhsa_float_round_mode_32 0
		.amdhsa_float_round_mode_16_64 0
		.amdhsa_float_denorm_mode_32 3
		.amdhsa_float_denorm_mode_16_64 3
		.amdhsa_fp16_overflow 0
		.amdhsa_memory_ordered 1
		.amdhsa_forward_progress 1
		.amdhsa_inst_pref_size 0
		.amdhsa_round_robin_scheduling 0
		.amdhsa_exception_fp_ieee_invalid_op 0
		.amdhsa_exception_fp_denorm_src 0
		.amdhsa_exception_fp_ieee_div_zero 0
		.amdhsa_exception_fp_ieee_overflow 0
		.amdhsa_exception_fp_ieee_underflow 0
		.amdhsa_exception_fp_ieee_inexact 0
		.amdhsa_exception_int_div_zero 0
	.end_amdhsa_kernel
	.section	.text._ZN7rocprim17ROCPRIM_400000_NS6detail17trampoline_kernelINS0_14default_configENS1_35radix_sort_onesweep_config_selectorIsNS0_10empty_typeEEEZNS1_34radix_sort_onesweep_global_offsetsIS3_Lb0EPKsPS5_mNS0_19identity_decomposerEEE10hipError_tT1_T2_PT3_SF_jT4_jjP12ihipStream_tbEUlT_E_NS1_11comp_targetILNS1_3genE10ELNS1_11target_archE1201ELNS1_3gpuE5ELNS1_3repE0EEENS1_52radix_sort_onesweep_histogram_config_static_selectorELNS0_4arch9wavefront6targetE0EEEvSD_,"axG",@progbits,_ZN7rocprim17ROCPRIM_400000_NS6detail17trampoline_kernelINS0_14default_configENS1_35radix_sort_onesweep_config_selectorIsNS0_10empty_typeEEEZNS1_34radix_sort_onesweep_global_offsetsIS3_Lb0EPKsPS5_mNS0_19identity_decomposerEEE10hipError_tT1_T2_PT3_SF_jT4_jjP12ihipStream_tbEUlT_E_NS1_11comp_targetILNS1_3genE10ELNS1_11target_archE1201ELNS1_3gpuE5ELNS1_3repE0EEENS1_52radix_sort_onesweep_histogram_config_static_selectorELNS0_4arch9wavefront6targetE0EEEvSD_,comdat
.Lfunc_end701:
	.size	_ZN7rocprim17ROCPRIM_400000_NS6detail17trampoline_kernelINS0_14default_configENS1_35radix_sort_onesweep_config_selectorIsNS0_10empty_typeEEEZNS1_34radix_sort_onesweep_global_offsetsIS3_Lb0EPKsPS5_mNS0_19identity_decomposerEEE10hipError_tT1_T2_PT3_SF_jT4_jjP12ihipStream_tbEUlT_E_NS1_11comp_targetILNS1_3genE10ELNS1_11target_archE1201ELNS1_3gpuE5ELNS1_3repE0EEENS1_52radix_sort_onesweep_histogram_config_static_selectorELNS0_4arch9wavefront6targetE0EEEvSD_, .Lfunc_end701-_ZN7rocprim17ROCPRIM_400000_NS6detail17trampoline_kernelINS0_14default_configENS1_35radix_sort_onesweep_config_selectorIsNS0_10empty_typeEEEZNS1_34radix_sort_onesweep_global_offsetsIS3_Lb0EPKsPS5_mNS0_19identity_decomposerEEE10hipError_tT1_T2_PT3_SF_jT4_jjP12ihipStream_tbEUlT_E_NS1_11comp_targetILNS1_3genE10ELNS1_11target_archE1201ELNS1_3gpuE5ELNS1_3repE0EEENS1_52radix_sort_onesweep_histogram_config_static_selectorELNS0_4arch9wavefront6targetE0EEEvSD_
                                        ; -- End function
	.set _ZN7rocprim17ROCPRIM_400000_NS6detail17trampoline_kernelINS0_14default_configENS1_35radix_sort_onesweep_config_selectorIsNS0_10empty_typeEEEZNS1_34radix_sort_onesweep_global_offsetsIS3_Lb0EPKsPS5_mNS0_19identity_decomposerEEE10hipError_tT1_T2_PT3_SF_jT4_jjP12ihipStream_tbEUlT_E_NS1_11comp_targetILNS1_3genE10ELNS1_11target_archE1201ELNS1_3gpuE5ELNS1_3repE0EEENS1_52radix_sort_onesweep_histogram_config_static_selectorELNS0_4arch9wavefront6targetE0EEEvSD_.num_vgpr, 0
	.set _ZN7rocprim17ROCPRIM_400000_NS6detail17trampoline_kernelINS0_14default_configENS1_35radix_sort_onesweep_config_selectorIsNS0_10empty_typeEEEZNS1_34radix_sort_onesweep_global_offsetsIS3_Lb0EPKsPS5_mNS0_19identity_decomposerEEE10hipError_tT1_T2_PT3_SF_jT4_jjP12ihipStream_tbEUlT_E_NS1_11comp_targetILNS1_3genE10ELNS1_11target_archE1201ELNS1_3gpuE5ELNS1_3repE0EEENS1_52radix_sort_onesweep_histogram_config_static_selectorELNS0_4arch9wavefront6targetE0EEEvSD_.num_agpr, 0
	.set _ZN7rocprim17ROCPRIM_400000_NS6detail17trampoline_kernelINS0_14default_configENS1_35radix_sort_onesweep_config_selectorIsNS0_10empty_typeEEEZNS1_34radix_sort_onesweep_global_offsetsIS3_Lb0EPKsPS5_mNS0_19identity_decomposerEEE10hipError_tT1_T2_PT3_SF_jT4_jjP12ihipStream_tbEUlT_E_NS1_11comp_targetILNS1_3genE10ELNS1_11target_archE1201ELNS1_3gpuE5ELNS1_3repE0EEENS1_52radix_sort_onesweep_histogram_config_static_selectorELNS0_4arch9wavefront6targetE0EEEvSD_.numbered_sgpr, 0
	.set _ZN7rocprim17ROCPRIM_400000_NS6detail17trampoline_kernelINS0_14default_configENS1_35radix_sort_onesweep_config_selectorIsNS0_10empty_typeEEEZNS1_34radix_sort_onesweep_global_offsetsIS3_Lb0EPKsPS5_mNS0_19identity_decomposerEEE10hipError_tT1_T2_PT3_SF_jT4_jjP12ihipStream_tbEUlT_E_NS1_11comp_targetILNS1_3genE10ELNS1_11target_archE1201ELNS1_3gpuE5ELNS1_3repE0EEENS1_52radix_sort_onesweep_histogram_config_static_selectorELNS0_4arch9wavefront6targetE0EEEvSD_.num_named_barrier, 0
	.set _ZN7rocprim17ROCPRIM_400000_NS6detail17trampoline_kernelINS0_14default_configENS1_35radix_sort_onesweep_config_selectorIsNS0_10empty_typeEEEZNS1_34radix_sort_onesweep_global_offsetsIS3_Lb0EPKsPS5_mNS0_19identity_decomposerEEE10hipError_tT1_T2_PT3_SF_jT4_jjP12ihipStream_tbEUlT_E_NS1_11comp_targetILNS1_3genE10ELNS1_11target_archE1201ELNS1_3gpuE5ELNS1_3repE0EEENS1_52radix_sort_onesweep_histogram_config_static_selectorELNS0_4arch9wavefront6targetE0EEEvSD_.private_seg_size, 0
	.set _ZN7rocprim17ROCPRIM_400000_NS6detail17trampoline_kernelINS0_14default_configENS1_35radix_sort_onesweep_config_selectorIsNS0_10empty_typeEEEZNS1_34radix_sort_onesweep_global_offsetsIS3_Lb0EPKsPS5_mNS0_19identity_decomposerEEE10hipError_tT1_T2_PT3_SF_jT4_jjP12ihipStream_tbEUlT_E_NS1_11comp_targetILNS1_3genE10ELNS1_11target_archE1201ELNS1_3gpuE5ELNS1_3repE0EEENS1_52radix_sort_onesweep_histogram_config_static_selectorELNS0_4arch9wavefront6targetE0EEEvSD_.uses_vcc, 0
	.set _ZN7rocprim17ROCPRIM_400000_NS6detail17trampoline_kernelINS0_14default_configENS1_35radix_sort_onesweep_config_selectorIsNS0_10empty_typeEEEZNS1_34radix_sort_onesweep_global_offsetsIS3_Lb0EPKsPS5_mNS0_19identity_decomposerEEE10hipError_tT1_T2_PT3_SF_jT4_jjP12ihipStream_tbEUlT_E_NS1_11comp_targetILNS1_3genE10ELNS1_11target_archE1201ELNS1_3gpuE5ELNS1_3repE0EEENS1_52radix_sort_onesweep_histogram_config_static_selectorELNS0_4arch9wavefront6targetE0EEEvSD_.uses_flat_scratch, 0
	.set _ZN7rocprim17ROCPRIM_400000_NS6detail17trampoline_kernelINS0_14default_configENS1_35radix_sort_onesweep_config_selectorIsNS0_10empty_typeEEEZNS1_34radix_sort_onesweep_global_offsetsIS3_Lb0EPKsPS5_mNS0_19identity_decomposerEEE10hipError_tT1_T2_PT3_SF_jT4_jjP12ihipStream_tbEUlT_E_NS1_11comp_targetILNS1_3genE10ELNS1_11target_archE1201ELNS1_3gpuE5ELNS1_3repE0EEENS1_52radix_sort_onesweep_histogram_config_static_selectorELNS0_4arch9wavefront6targetE0EEEvSD_.has_dyn_sized_stack, 0
	.set _ZN7rocprim17ROCPRIM_400000_NS6detail17trampoline_kernelINS0_14default_configENS1_35radix_sort_onesweep_config_selectorIsNS0_10empty_typeEEEZNS1_34radix_sort_onesweep_global_offsetsIS3_Lb0EPKsPS5_mNS0_19identity_decomposerEEE10hipError_tT1_T2_PT3_SF_jT4_jjP12ihipStream_tbEUlT_E_NS1_11comp_targetILNS1_3genE10ELNS1_11target_archE1201ELNS1_3gpuE5ELNS1_3repE0EEENS1_52radix_sort_onesweep_histogram_config_static_selectorELNS0_4arch9wavefront6targetE0EEEvSD_.has_recursion, 0
	.set _ZN7rocprim17ROCPRIM_400000_NS6detail17trampoline_kernelINS0_14default_configENS1_35radix_sort_onesweep_config_selectorIsNS0_10empty_typeEEEZNS1_34radix_sort_onesweep_global_offsetsIS3_Lb0EPKsPS5_mNS0_19identity_decomposerEEE10hipError_tT1_T2_PT3_SF_jT4_jjP12ihipStream_tbEUlT_E_NS1_11comp_targetILNS1_3genE10ELNS1_11target_archE1201ELNS1_3gpuE5ELNS1_3repE0EEENS1_52radix_sort_onesweep_histogram_config_static_selectorELNS0_4arch9wavefront6targetE0EEEvSD_.has_indirect_call, 0
	.section	.AMDGPU.csdata,"",@progbits
; Kernel info:
; codeLenInByte = 0
; TotalNumSgprs: 0
; NumVgprs: 0
; ScratchSize: 0
; MemoryBound: 0
; FloatMode: 240
; IeeeMode: 1
; LDSByteSize: 0 bytes/workgroup (compile time only)
; SGPRBlocks: 0
; VGPRBlocks: 0
; NumSGPRsForWavesPerEU: 1
; NumVGPRsForWavesPerEU: 1
; NamedBarCnt: 0
; Occupancy: 16
; WaveLimiterHint : 0
; COMPUTE_PGM_RSRC2:SCRATCH_EN: 0
; COMPUTE_PGM_RSRC2:USER_SGPR: 2
; COMPUTE_PGM_RSRC2:TRAP_HANDLER: 0
; COMPUTE_PGM_RSRC2:TGID_X_EN: 1
; COMPUTE_PGM_RSRC2:TGID_Y_EN: 0
; COMPUTE_PGM_RSRC2:TGID_Z_EN: 0
; COMPUTE_PGM_RSRC2:TIDIG_COMP_CNT: 0
	.section	.text._ZN7rocprim17ROCPRIM_400000_NS6detail17trampoline_kernelINS0_14default_configENS1_35radix_sort_onesweep_config_selectorIsNS0_10empty_typeEEEZNS1_34radix_sort_onesweep_global_offsetsIS3_Lb0EPKsPS5_mNS0_19identity_decomposerEEE10hipError_tT1_T2_PT3_SF_jT4_jjP12ihipStream_tbEUlT_E_NS1_11comp_targetILNS1_3genE9ELNS1_11target_archE1100ELNS1_3gpuE3ELNS1_3repE0EEENS1_52radix_sort_onesweep_histogram_config_static_selectorELNS0_4arch9wavefront6targetE0EEEvSD_,"axG",@progbits,_ZN7rocprim17ROCPRIM_400000_NS6detail17trampoline_kernelINS0_14default_configENS1_35radix_sort_onesweep_config_selectorIsNS0_10empty_typeEEEZNS1_34radix_sort_onesweep_global_offsetsIS3_Lb0EPKsPS5_mNS0_19identity_decomposerEEE10hipError_tT1_T2_PT3_SF_jT4_jjP12ihipStream_tbEUlT_E_NS1_11comp_targetILNS1_3genE9ELNS1_11target_archE1100ELNS1_3gpuE3ELNS1_3repE0EEENS1_52radix_sort_onesweep_histogram_config_static_selectorELNS0_4arch9wavefront6targetE0EEEvSD_,comdat
	.protected	_ZN7rocprim17ROCPRIM_400000_NS6detail17trampoline_kernelINS0_14default_configENS1_35radix_sort_onesweep_config_selectorIsNS0_10empty_typeEEEZNS1_34radix_sort_onesweep_global_offsetsIS3_Lb0EPKsPS5_mNS0_19identity_decomposerEEE10hipError_tT1_T2_PT3_SF_jT4_jjP12ihipStream_tbEUlT_E_NS1_11comp_targetILNS1_3genE9ELNS1_11target_archE1100ELNS1_3gpuE3ELNS1_3repE0EEENS1_52radix_sort_onesweep_histogram_config_static_selectorELNS0_4arch9wavefront6targetE0EEEvSD_ ; -- Begin function _ZN7rocprim17ROCPRIM_400000_NS6detail17trampoline_kernelINS0_14default_configENS1_35radix_sort_onesweep_config_selectorIsNS0_10empty_typeEEEZNS1_34radix_sort_onesweep_global_offsetsIS3_Lb0EPKsPS5_mNS0_19identity_decomposerEEE10hipError_tT1_T2_PT3_SF_jT4_jjP12ihipStream_tbEUlT_E_NS1_11comp_targetILNS1_3genE9ELNS1_11target_archE1100ELNS1_3gpuE3ELNS1_3repE0EEENS1_52radix_sort_onesweep_histogram_config_static_selectorELNS0_4arch9wavefront6targetE0EEEvSD_
	.globl	_ZN7rocprim17ROCPRIM_400000_NS6detail17trampoline_kernelINS0_14default_configENS1_35radix_sort_onesweep_config_selectorIsNS0_10empty_typeEEEZNS1_34radix_sort_onesweep_global_offsetsIS3_Lb0EPKsPS5_mNS0_19identity_decomposerEEE10hipError_tT1_T2_PT3_SF_jT4_jjP12ihipStream_tbEUlT_E_NS1_11comp_targetILNS1_3genE9ELNS1_11target_archE1100ELNS1_3gpuE3ELNS1_3repE0EEENS1_52radix_sort_onesweep_histogram_config_static_selectorELNS0_4arch9wavefront6targetE0EEEvSD_
	.p2align	8
	.type	_ZN7rocprim17ROCPRIM_400000_NS6detail17trampoline_kernelINS0_14default_configENS1_35radix_sort_onesweep_config_selectorIsNS0_10empty_typeEEEZNS1_34radix_sort_onesweep_global_offsetsIS3_Lb0EPKsPS5_mNS0_19identity_decomposerEEE10hipError_tT1_T2_PT3_SF_jT4_jjP12ihipStream_tbEUlT_E_NS1_11comp_targetILNS1_3genE9ELNS1_11target_archE1100ELNS1_3gpuE3ELNS1_3repE0EEENS1_52radix_sort_onesweep_histogram_config_static_selectorELNS0_4arch9wavefront6targetE0EEEvSD_,@function
_ZN7rocprim17ROCPRIM_400000_NS6detail17trampoline_kernelINS0_14default_configENS1_35radix_sort_onesweep_config_selectorIsNS0_10empty_typeEEEZNS1_34radix_sort_onesweep_global_offsetsIS3_Lb0EPKsPS5_mNS0_19identity_decomposerEEE10hipError_tT1_T2_PT3_SF_jT4_jjP12ihipStream_tbEUlT_E_NS1_11comp_targetILNS1_3genE9ELNS1_11target_archE1100ELNS1_3gpuE3ELNS1_3repE0EEENS1_52radix_sort_onesweep_histogram_config_static_selectorELNS0_4arch9wavefront6targetE0EEEvSD_: ; @_ZN7rocprim17ROCPRIM_400000_NS6detail17trampoline_kernelINS0_14default_configENS1_35radix_sort_onesweep_config_selectorIsNS0_10empty_typeEEEZNS1_34radix_sort_onesweep_global_offsetsIS3_Lb0EPKsPS5_mNS0_19identity_decomposerEEE10hipError_tT1_T2_PT3_SF_jT4_jjP12ihipStream_tbEUlT_E_NS1_11comp_targetILNS1_3genE9ELNS1_11target_archE1100ELNS1_3gpuE3ELNS1_3repE0EEENS1_52radix_sort_onesweep_histogram_config_static_selectorELNS0_4arch9wavefront6targetE0EEEvSD_
; %bb.0:
	.section	.rodata,"a",@progbits
	.p2align	6, 0x0
	.amdhsa_kernel _ZN7rocprim17ROCPRIM_400000_NS6detail17trampoline_kernelINS0_14default_configENS1_35radix_sort_onesweep_config_selectorIsNS0_10empty_typeEEEZNS1_34radix_sort_onesweep_global_offsetsIS3_Lb0EPKsPS5_mNS0_19identity_decomposerEEE10hipError_tT1_T2_PT3_SF_jT4_jjP12ihipStream_tbEUlT_E_NS1_11comp_targetILNS1_3genE9ELNS1_11target_archE1100ELNS1_3gpuE3ELNS1_3repE0EEENS1_52radix_sort_onesweep_histogram_config_static_selectorELNS0_4arch9wavefront6targetE0EEEvSD_
		.amdhsa_group_segment_fixed_size 0
		.amdhsa_private_segment_fixed_size 0
		.amdhsa_kernarg_size 48
		.amdhsa_user_sgpr_count 2
		.amdhsa_user_sgpr_dispatch_ptr 0
		.amdhsa_user_sgpr_queue_ptr 0
		.amdhsa_user_sgpr_kernarg_segment_ptr 1
		.amdhsa_user_sgpr_dispatch_id 0
		.amdhsa_user_sgpr_kernarg_preload_length 0
		.amdhsa_user_sgpr_kernarg_preload_offset 0
		.amdhsa_user_sgpr_private_segment_size 0
		.amdhsa_wavefront_size32 1
		.amdhsa_uses_dynamic_stack 0
		.amdhsa_enable_private_segment 0
		.amdhsa_system_sgpr_workgroup_id_x 1
		.amdhsa_system_sgpr_workgroup_id_y 0
		.amdhsa_system_sgpr_workgroup_id_z 0
		.amdhsa_system_sgpr_workgroup_info 0
		.amdhsa_system_vgpr_workitem_id 0
		.amdhsa_next_free_vgpr 1
		.amdhsa_next_free_sgpr 1
		.amdhsa_named_barrier_count 0
		.amdhsa_reserve_vcc 0
		.amdhsa_float_round_mode_32 0
		.amdhsa_float_round_mode_16_64 0
		.amdhsa_float_denorm_mode_32 3
		.amdhsa_float_denorm_mode_16_64 3
		.amdhsa_fp16_overflow 0
		.amdhsa_memory_ordered 1
		.amdhsa_forward_progress 1
		.amdhsa_inst_pref_size 0
		.amdhsa_round_robin_scheduling 0
		.amdhsa_exception_fp_ieee_invalid_op 0
		.amdhsa_exception_fp_denorm_src 0
		.amdhsa_exception_fp_ieee_div_zero 0
		.amdhsa_exception_fp_ieee_overflow 0
		.amdhsa_exception_fp_ieee_underflow 0
		.amdhsa_exception_fp_ieee_inexact 0
		.amdhsa_exception_int_div_zero 0
	.end_amdhsa_kernel
	.section	.text._ZN7rocprim17ROCPRIM_400000_NS6detail17trampoline_kernelINS0_14default_configENS1_35radix_sort_onesweep_config_selectorIsNS0_10empty_typeEEEZNS1_34radix_sort_onesweep_global_offsetsIS3_Lb0EPKsPS5_mNS0_19identity_decomposerEEE10hipError_tT1_T2_PT3_SF_jT4_jjP12ihipStream_tbEUlT_E_NS1_11comp_targetILNS1_3genE9ELNS1_11target_archE1100ELNS1_3gpuE3ELNS1_3repE0EEENS1_52radix_sort_onesweep_histogram_config_static_selectorELNS0_4arch9wavefront6targetE0EEEvSD_,"axG",@progbits,_ZN7rocprim17ROCPRIM_400000_NS6detail17trampoline_kernelINS0_14default_configENS1_35radix_sort_onesweep_config_selectorIsNS0_10empty_typeEEEZNS1_34radix_sort_onesweep_global_offsetsIS3_Lb0EPKsPS5_mNS0_19identity_decomposerEEE10hipError_tT1_T2_PT3_SF_jT4_jjP12ihipStream_tbEUlT_E_NS1_11comp_targetILNS1_3genE9ELNS1_11target_archE1100ELNS1_3gpuE3ELNS1_3repE0EEENS1_52radix_sort_onesweep_histogram_config_static_selectorELNS0_4arch9wavefront6targetE0EEEvSD_,comdat
.Lfunc_end702:
	.size	_ZN7rocprim17ROCPRIM_400000_NS6detail17trampoline_kernelINS0_14default_configENS1_35radix_sort_onesweep_config_selectorIsNS0_10empty_typeEEEZNS1_34radix_sort_onesweep_global_offsetsIS3_Lb0EPKsPS5_mNS0_19identity_decomposerEEE10hipError_tT1_T2_PT3_SF_jT4_jjP12ihipStream_tbEUlT_E_NS1_11comp_targetILNS1_3genE9ELNS1_11target_archE1100ELNS1_3gpuE3ELNS1_3repE0EEENS1_52radix_sort_onesweep_histogram_config_static_selectorELNS0_4arch9wavefront6targetE0EEEvSD_, .Lfunc_end702-_ZN7rocprim17ROCPRIM_400000_NS6detail17trampoline_kernelINS0_14default_configENS1_35radix_sort_onesweep_config_selectorIsNS0_10empty_typeEEEZNS1_34radix_sort_onesweep_global_offsetsIS3_Lb0EPKsPS5_mNS0_19identity_decomposerEEE10hipError_tT1_T2_PT3_SF_jT4_jjP12ihipStream_tbEUlT_E_NS1_11comp_targetILNS1_3genE9ELNS1_11target_archE1100ELNS1_3gpuE3ELNS1_3repE0EEENS1_52radix_sort_onesweep_histogram_config_static_selectorELNS0_4arch9wavefront6targetE0EEEvSD_
                                        ; -- End function
	.set _ZN7rocprim17ROCPRIM_400000_NS6detail17trampoline_kernelINS0_14default_configENS1_35radix_sort_onesweep_config_selectorIsNS0_10empty_typeEEEZNS1_34radix_sort_onesweep_global_offsetsIS3_Lb0EPKsPS5_mNS0_19identity_decomposerEEE10hipError_tT1_T2_PT3_SF_jT4_jjP12ihipStream_tbEUlT_E_NS1_11comp_targetILNS1_3genE9ELNS1_11target_archE1100ELNS1_3gpuE3ELNS1_3repE0EEENS1_52radix_sort_onesweep_histogram_config_static_selectorELNS0_4arch9wavefront6targetE0EEEvSD_.num_vgpr, 0
	.set _ZN7rocprim17ROCPRIM_400000_NS6detail17trampoline_kernelINS0_14default_configENS1_35radix_sort_onesweep_config_selectorIsNS0_10empty_typeEEEZNS1_34radix_sort_onesweep_global_offsetsIS3_Lb0EPKsPS5_mNS0_19identity_decomposerEEE10hipError_tT1_T2_PT3_SF_jT4_jjP12ihipStream_tbEUlT_E_NS1_11comp_targetILNS1_3genE9ELNS1_11target_archE1100ELNS1_3gpuE3ELNS1_3repE0EEENS1_52radix_sort_onesweep_histogram_config_static_selectorELNS0_4arch9wavefront6targetE0EEEvSD_.num_agpr, 0
	.set _ZN7rocprim17ROCPRIM_400000_NS6detail17trampoline_kernelINS0_14default_configENS1_35radix_sort_onesweep_config_selectorIsNS0_10empty_typeEEEZNS1_34radix_sort_onesweep_global_offsetsIS3_Lb0EPKsPS5_mNS0_19identity_decomposerEEE10hipError_tT1_T2_PT3_SF_jT4_jjP12ihipStream_tbEUlT_E_NS1_11comp_targetILNS1_3genE9ELNS1_11target_archE1100ELNS1_3gpuE3ELNS1_3repE0EEENS1_52radix_sort_onesweep_histogram_config_static_selectorELNS0_4arch9wavefront6targetE0EEEvSD_.numbered_sgpr, 0
	.set _ZN7rocprim17ROCPRIM_400000_NS6detail17trampoline_kernelINS0_14default_configENS1_35radix_sort_onesweep_config_selectorIsNS0_10empty_typeEEEZNS1_34radix_sort_onesweep_global_offsetsIS3_Lb0EPKsPS5_mNS0_19identity_decomposerEEE10hipError_tT1_T2_PT3_SF_jT4_jjP12ihipStream_tbEUlT_E_NS1_11comp_targetILNS1_3genE9ELNS1_11target_archE1100ELNS1_3gpuE3ELNS1_3repE0EEENS1_52radix_sort_onesweep_histogram_config_static_selectorELNS0_4arch9wavefront6targetE0EEEvSD_.num_named_barrier, 0
	.set _ZN7rocprim17ROCPRIM_400000_NS6detail17trampoline_kernelINS0_14default_configENS1_35radix_sort_onesweep_config_selectorIsNS0_10empty_typeEEEZNS1_34radix_sort_onesweep_global_offsetsIS3_Lb0EPKsPS5_mNS0_19identity_decomposerEEE10hipError_tT1_T2_PT3_SF_jT4_jjP12ihipStream_tbEUlT_E_NS1_11comp_targetILNS1_3genE9ELNS1_11target_archE1100ELNS1_3gpuE3ELNS1_3repE0EEENS1_52radix_sort_onesweep_histogram_config_static_selectorELNS0_4arch9wavefront6targetE0EEEvSD_.private_seg_size, 0
	.set _ZN7rocprim17ROCPRIM_400000_NS6detail17trampoline_kernelINS0_14default_configENS1_35radix_sort_onesweep_config_selectorIsNS0_10empty_typeEEEZNS1_34radix_sort_onesweep_global_offsetsIS3_Lb0EPKsPS5_mNS0_19identity_decomposerEEE10hipError_tT1_T2_PT3_SF_jT4_jjP12ihipStream_tbEUlT_E_NS1_11comp_targetILNS1_3genE9ELNS1_11target_archE1100ELNS1_3gpuE3ELNS1_3repE0EEENS1_52radix_sort_onesweep_histogram_config_static_selectorELNS0_4arch9wavefront6targetE0EEEvSD_.uses_vcc, 0
	.set _ZN7rocprim17ROCPRIM_400000_NS6detail17trampoline_kernelINS0_14default_configENS1_35radix_sort_onesweep_config_selectorIsNS0_10empty_typeEEEZNS1_34radix_sort_onesweep_global_offsetsIS3_Lb0EPKsPS5_mNS0_19identity_decomposerEEE10hipError_tT1_T2_PT3_SF_jT4_jjP12ihipStream_tbEUlT_E_NS1_11comp_targetILNS1_3genE9ELNS1_11target_archE1100ELNS1_3gpuE3ELNS1_3repE0EEENS1_52radix_sort_onesweep_histogram_config_static_selectorELNS0_4arch9wavefront6targetE0EEEvSD_.uses_flat_scratch, 0
	.set _ZN7rocprim17ROCPRIM_400000_NS6detail17trampoline_kernelINS0_14default_configENS1_35radix_sort_onesweep_config_selectorIsNS0_10empty_typeEEEZNS1_34radix_sort_onesweep_global_offsetsIS3_Lb0EPKsPS5_mNS0_19identity_decomposerEEE10hipError_tT1_T2_PT3_SF_jT4_jjP12ihipStream_tbEUlT_E_NS1_11comp_targetILNS1_3genE9ELNS1_11target_archE1100ELNS1_3gpuE3ELNS1_3repE0EEENS1_52radix_sort_onesweep_histogram_config_static_selectorELNS0_4arch9wavefront6targetE0EEEvSD_.has_dyn_sized_stack, 0
	.set _ZN7rocprim17ROCPRIM_400000_NS6detail17trampoline_kernelINS0_14default_configENS1_35radix_sort_onesweep_config_selectorIsNS0_10empty_typeEEEZNS1_34radix_sort_onesweep_global_offsetsIS3_Lb0EPKsPS5_mNS0_19identity_decomposerEEE10hipError_tT1_T2_PT3_SF_jT4_jjP12ihipStream_tbEUlT_E_NS1_11comp_targetILNS1_3genE9ELNS1_11target_archE1100ELNS1_3gpuE3ELNS1_3repE0EEENS1_52radix_sort_onesweep_histogram_config_static_selectorELNS0_4arch9wavefront6targetE0EEEvSD_.has_recursion, 0
	.set _ZN7rocprim17ROCPRIM_400000_NS6detail17trampoline_kernelINS0_14default_configENS1_35radix_sort_onesweep_config_selectorIsNS0_10empty_typeEEEZNS1_34radix_sort_onesweep_global_offsetsIS3_Lb0EPKsPS5_mNS0_19identity_decomposerEEE10hipError_tT1_T2_PT3_SF_jT4_jjP12ihipStream_tbEUlT_E_NS1_11comp_targetILNS1_3genE9ELNS1_11target_archE1100ELNS1_3gpuE3ELNS1_3repE0EEENS1_52radix_sort_onesweep_histogram_config_static_selectorELNS0_4arch9wavefront6targetE0EEEvSD_.has_indirect_call, 0
	.section	.AMDGPU.csdata,"",@progbits
; Kernel info:
; codeLenInByte = 0
; TotalNumSgprs: 0
; NumVgprs: 0
; ScratchSize: 0
; MemoryBound: 0
; FloatMode: 240
; IeeeMode: 1
; LDSByteSize: 0 bytes/workgroup (compile time only)
; SGPRBlocks: 0
; VGPRBlocks: 0
; NumSGPRsForWavesPerEU: 1
; NumVGPRsForWavesPerEU: 1
; NamedBarCnt: 0
; Occupancy: 16
; WaveLimiterHint : 0
; COMPUTE_PGM_RSRC2:SCRATCH_EN: 0
; COMPUTE_PGM_RSRC2:USER_SGPR: 2
; COMPUTE_PGM_RSRC2:TRAP_HANDLER: 0
; COMPUTE_PGM_RSRC2:TGID_X_EN: 1
; COMPUTE_PGM_RSRC2:TGID_Y_EN: 0
; COMPUTE_PGM_RSRC2:TGID_Z_EN: 0
; COMPUTE_PGM_RSRC2:TIDIG_COMP_CNT: 0
	.section	.text._ZN7rocprim17ROCPRIM_400000_NS6detail17trampoline_kernelINS0_14default_configENS1_35radix_sort_onesweep_config_selectorIsNS0_10empty_typeEEEZNS1_34radix_sort_onesweep_global_offsetsIS3_Lb0EPKsPS5_mNS0_19identity_decomposerEEE10hipError_tT1_T2_PT3_SF_jT4_jjP12ihipStream_tbEUlT_E_NS1_11comp_targetILNS1_3genE8ELNS1_11target_archE1030ELNS1_3gpuE2ELNS1_3repE0EEENS1_52radix_sort_onesweep_histogram_config_static_selectorELNS0_4arch9wavefront6targetE0EEEvSD_,"axG",@progbits,_ZN7rocprim17ROCPRIM_400000_NS6detail17trampoline_kernelINS0_14default_configENS1_35radix_sort_onesweep_config_selectorIsNS0_10empty_typeEEEZNS1_34radix_sort_onesweep_global_offsetsIS3_Lb0EPKsPS5_mNS0_19identity_decomposerEEE10hipError_tT1_T2_PT3_SF_jT4_jjP12ihipStream_tbEUlT_E_NS1_11comp_targetILNS1_3genE8ELNS1_11target_archE1030ELNS1_3gpuE2ELNS1_3repE0EEENS1_52radix_sort_onesweep_histogram_config_static_selectorELNS0_4arch9wavefront6targetE0EEEvSD_,comdat
	.protected	_ZN7rocprim17ROCPRIM_400000_NS6detail17trampoline_kernelINS0_14default_configENS1_35radix_sort_onesweep_config_selectorIsNS0_10empty_typeEEEZNS1_34radix_sort_onesweep_global_offsetsIS3_Lb0EPKsPS5_mNS0_19identity_decomposerEEE10hipError_tT1_T2_PT3_SF_jT4_jjP12ihipStream_tbEUlT_E_NS1_11comp_targetILNS1_3genE8ELNS1_11target_archE1030ELNS1_3gpuE2ELNS1_3repE0EEENS1_52radix_sort_onesweep_histogram_config_static_selectorELNS0_4arch9wavefront6targetE0EEEvSD_ ; -- Begin function _ZN7rocprim17ROCPRIM_400000_NS6detail17trampoline_kernelINS0_14default_configENS1_35radix_sort_onesweep_config_selectorIsNS0_10empty_typeEEEZNS1_34radix_sort_onesweep_global_offsetsIS3_Lb0EPKsPS5_mNS0_19identity_decomposerEEE10hipError_tT1_T2_PT3_SF_jT4_jjP12ihipStream_tbEUlT_E_NS1_11comp_targetILNS1_3genE8ELNS1_11target_archE1030ELNS1_3gpuE2ELNS1_3repE0EEENS1_52radix_sort_onesweep_histogram_config_static_selectorELNS0_4arch9wavefront6targetE0EEEvSD_
	.globl	_ZN7rocprim17ROCPRIM_400000_NS6detail17trampoline_kernelINS0_14default_configENS1_35radix_sort_onesweep_config_selectorIsNS0_10empty_typeEEEZNS1_34radix_sort_onesweep_global_offsetsIS3_Lb0EPKsPS5_mNS0_19identity_decomposerEEE10hipError_tT1_T2_PT3_SF_jT4_jjP12ihipStream_tbEUlT_E_NS1_11comp_targetILNS1_3genE8ELNS1_11target_archE1030ELNS1_3gpuE2ELNS1_3repE0EEENS1_52radix_sort_onesweep_histogram_config_static_selectorELNS0_4arch9wavefront6targetE0EEEvSD_
	.p2align	8
	.type	_ZN7rocprim17ROCPRIM_400000_NS6detail17trampoline_kernelINS0_14default_configENS1_35radix_sort_onesweep_config_selectorIsNS0_10empty_typeEEEZNS1_34radix_sort_onesweep_global_offsetsIS3_Lb0EPKsPS5_mNS0_19identity_decomposerEEE10hipError_tT1_T2_PT3_SF_jT4_jjP12ihipStream_tbEUlT_E_NS1_11comp_targetILNS1_3genE8ELNS1_11target_archE1030ELNS1_3gpuE2ELNS1_3repE0EEENS1_52radix_sort_onesweep_histogram_config_static_selectorELNS0_4arch9wavefront6targetE0EEEvSD_,@function
_ZN7rocprim17ROCPRIM_400000_NS6detail17trampoline_kernelINS0_14default_configENS1_35radix_sort_onesweep_config_selectorIsNS0_10empty_typeEEEZNS1_34radix_sort_onesweep_global_offsetsIS3_Lb0EPKsPS5_mNS0_19identity_decomposerEEE10hipError_tT1_T2_PT3_SF_jT4_jjP12ihipStream_tbEUlT_E_NS1_11comp_targetILNS1_3genE8ELNS1_11target_archE1030ELNS1_3gpuE2ELNS1_3repE0EEENS1_52radix_sort_onesweep_histogram_config_static_selectorELNS0_4arch9wavefront6targetE0EEEvSD_: ; @_ZN7rocprim17ROCPRIM_400000_NS6detail17trampoline_kernelINS0_14default_configENS1_35radix_sort_onesweep_config_selectorIsNS0_10empty_typeEEEZNS1_34radix_sort_onesweep_global_offsetsIS3_Lb0EPKsPS5_mNS0_19identity_decomposerEEE10hipError_tT1_T2_PT3_SF_jT4_jjP12ihipStream_tbEUlT_E_NS1_11comp_targetILNS1_3genE8ELNS1_11target_archE1030ELNS1_3gpuE2ELNS1_3repE0EEENS1_52radix_sort_onesweep_histogram_config_static_selectorELNS0_4arch9wavefront6targetE0EEEvSD_
; %bb.0:
	.section	.rodata,"a",@progbits
	.p2align	6, 0x0
	.amdhsa_kernel _ZN7rocprim17ROCPRIM_400000_NS6detail17trampoline_kernelINS0_14default_configENS1_35radix_sort_onesweep_config_selectorIsNS0_10empty_typeEEEZNS1_34radix_sort_onesweep_global_offsetsIS3_Lb0EPKsPS5_mNS0_19identity_decomposerEEE10hipError_tT1_T2_PT3_SF_jT4_jjP12ihipStream_tbEUlT_E_NS1_11comp_targetILNS1_3genE8ELNS1_11target_archE1030ELNS1_3gpuE2ELNS1_3repE0EEENS1_52radix_sort_onesweep_histogram_config_static_selectorELNS0_4arch9wavefront6targetE0EEEvSD_
		.amdhsa_group_segment_fixed_size 0
		.amdhsa_private_segment_fixed_size 0
		.amdhsa_kernarg_size 48
		.amdhsa_user_sgpr_count 2
		.amdhsa_user_sgpr_dispatch_ptr 0
		.amdhsa_user_sgpr_queue_ptr 0
		.amdhsa_user_sgpr_kernarg_segment_ptr 1
		.amdhsa_user_sgpr_dispatch_id 0
		.amdhsa_user_sgpr_kernarg_preload_length 0
		.amdhsa_user_sgpr_kernarg_preload_offset 0
		.amdhsa_user_sgpr_private_segment_size 0
		.amdhsa_wavefront_size32 1
		.amdhsa_uses_dynamic_stack 0
		.amdhsa_enable_private_segment 0
		.amdhsa_system_sgpr_workgroup_id_x 1
		.amdhsa_system_sgpr_workgroup_id_y 0
		.amdhsa_system_sgpr_workgroup_id_z 0
		.amdhsa_system_sgpr_workgroup_info 0
		.amdhsa_system_vgpr_workitem_id 0
		.amdhsa_next_free_vgpr 1
		.amdhsa_next_free_sgpr 1
		.amdhsa_named_barrier_count 0
		.amdhsa_reserve_vcc 0
		.amdhsa_float_round_mode_32 0
		.amdhsa_float_round_mode_16_64 0
		.amdhsa_float_denorm_mode_32 3
		.amdhsa_float_denorm_mode_16_64 3
		.amdhsa_fp16_overflow 0
		.amdhsa_memory_ordered 1
		.amdhsa_forward_progress 1
		.amdhsa_inst_pref_size 0
		.amdhsa_round_robin_scheduling 0
		.amdhsa_exception_fp_ieee_invalid_op 0
		.amdhsa_exception_fp_denorm_src 0
		.amdhsa_exception_fp_ieee_div_zero 0
		.amdhsa_exception_fp_ieee_overflow 0
		.amdhsa_exception_fp_ieee_underflow 0
		.amdhsa_exception_fp_ieee_inexact 0
		.amdhsa_exception_int_div_zero 0
	.end_amdhsa_kernel
	.section	.text._ZN7rocprim17ROCPRIM_400000_NS6detail17trampoline_kernelINS0_14default_configENS1_35radix_sort_onesweep_config_selectorIsNS0_10empty_typeEEEZNS1_34radix_sort_onesweep_global_offsetsIS3_Lb0EPKsPS5_mNS0_19identity_decomposerEEE10hipError_tT1_T2_PT3_SF_jT4_jjP12ihipStream_tbEUlT_E_NS1_11comp_targetILNS1_3genE8ELNS1_11target_archE1030ELNS1_3gpuE2ELNS1_3repE0EEENS1_52radix_sort_onesweep_histogram_config_static_selectorELNS0_4arch9wavefront6targetE0EEEvSD_,"axG",@progbits,_ZN7rocprim17ROCPRIM_400000_NS6detail17trampoline_kernelINS0_14default_configENS1_35radix_sort_onesweep_config_selectorIsNS0_10empty_typeEEEZNS1_34radix_sort_onesweep_global_offsetsIS3_Lb0EPKsPS5_mNS0_19identity_decomposerEEE10hipError_tT1_T2_PT3_SF_jT4_jjP12ihipStream_tbEUlT_E_NS1_11comp_targetILNS1_3genE8ELNS1_11target_archE1030ELNS1_3gpuE2ELNS1_3repE0EEENS1_52radix_sort_onesweep_histogram_config_static_selectorELNS0_4arch9wavefront6targetE0EEEvSD_,comdat
.Lfunc_end703:
	.size	_ZN7rocprim17ROCPRIM_400000_NS6detail17trampoline_kernelINS0_14default_configENS1_35radix_sort_onesweep_config_selectorIsNS0_10empty_typeEEEZNS1_34radix_sort_onesweep_global_offsetsIS3_Lb0EPKsPS5_mNS0_19identity_decomposerEEE10hipError_tT1_T2_PT3_SF_jT4_jjP12ihipStream_tbEUlT_E_NS1_11comp_targetILNS1_3genE8ELNS1_11target_archE1030ELNS1_3gpuE2ELNS1_3repE0EEENS1_52radix_sort_onesweep_histogram_config_static_selectorELNS0_4arch9wavefront6targetE0EEEvSD_, .Lfunc_end703-_ZN7rocprim17ROCPRIM_400000_NS6detail17trampoline_kernelINS0_14default_configENS1_35radix_sort_onesweep_config_selectorIsNS0_10empty_typeEEEZNS1_34radix_sort_onesweep_global_offsetsIS3_Lb0EPKsPS5_mNS0_19identity_decomposerEEE10hipError_tT1_T2_PT3_SF_jT4_jjP12ihipStream_tbEUlT_E_NS1_11comp_targetILNS1_3genE8ELNS1_11target_archE1030ELNS1_3gpuE2ELNS1_3repE0EEENS1_52radix_sort_onesweep_histogram_config_static_selectorELNS0_4arch9wavefront6targetE0EEEvSD_
                                        ; -- End function
	.set _ZN7rocprim17ROCPRIM_400000_NS6detail17trampoline_kernelINS0_14default_configENS1_35radix_sort_onesweep_config_selectorIsNS0_10empty_typeEEEZNS1_34radix_sort_onesweep_global_offsetsIS3_Lb0EPKsPS5_mNS0_19identity_decomposerEEE10hipError_tT1_T2_PT3_SF_jT4_jjP12ihipStream_tbEUlT_E_NS1_11comp_targetILNS1_3genE8ELNS1_11target_archE1030ELNS1_3gpuE2ELNS1_3repE0EEENS1_52radix_sort_onesweep_histogram_config_static_selectorELNS0_4arch9wavefront6targetE0EEEvSD_.num_vgpr, 0
	.set _ZN7rocprim17ROCPRIM_400000_NS6detail17trampoline_kernelINS0_14default_configENS1_35radix_sort_onesweep_config_selectorIsNS0_10empty_typeEEEZNS1_34radix_sort_onesweep_global_offsetsIS3_Lb0EPKsPS5_mNS0_19identity_decomposerEEE10hipError_tT1_T2_PT3_SF_jT4_jjP12ihipStream_tbEUlT_E_NS1_11comp_targetILNS1_3genE8ELNS1_11target_archE1030ELNS1_3gpuE2ELNS1_3repE0EEENS1_52radix_sort_onesweep_histogram_config_static_selectorELNS0_4arch9wavefront6targetE0EEEvSD_.num_agpr, 0
	.set _ZN7rocprim17ROCPRIM_400000_NS6detail17trampoline_kernelINS0_14default_configENS1_35radix_sort_onesweep_config_selectorIsNS0_10empty_typeEEEZNS1_34radix_sort_onesweep_global_offsetsIS3_Lb0EPKsPS5_mNS0_19identity_decomposerEEE10hipError_tT1_T2_PT3_SF_jT4_jjP12ihipStream_tbEUlT_E_NS1_11comp_targetILNS1_3genE8ELNS1_11target_archE1030ELNS1_3gpuE2ELNS1_3repE0EEENS1_52radix_sort_onesweep_histogram_config_static_selectorELNS0_4arch9wavefront6targetE0EEEvSD_.numbered_sgpr, 0
	.set _ZN7rocprim17ROCPRIM_400000_NS6detail17trampoline_kernelINS0_14default_configENS1_35radix_sort_onesweep_config_selectorIsNS0_10empty_typeEEEZNS1_34radix_sort_onesweep_global_offsetsIS3_Lb0EPKsPS5_mNS0_19identity_decomposerEEE10hipError_tT1_T2_PT3_SF_jT4_jjP12ihipStream_tbEUlT_E_NS1_11comp_targetILNS1_3genE8ELNS1_11target_archE1030ELNS1_3gpuE2ELNS1_3repE0EEENS1_52radix_sort_onesweep_histogram_config_static_selectorELNS0_4arch9wavefront6targetE0EEEvSD_.num_named_barrier, 0
	.set _ZN7rocprim17ROCPRIM_400000_NS6detail17trampoline_kernelINS0_14default_configENS1_35radix_sort_onesweep_config_selectorIsNS0_10empty_typeEEEZNS1_34radix_sort_onesweep_global_offsetsIS3_Lb0EPKsPS5_mNS0_19identity_decomposerEEE10hipError_tT1_T2_PT3_SF_jT4_jjP12ihipStream_tbEUlT_E_NS1_11comp_targetILNS1_3genE8ELNS1_11target_archE1030ELNS1_3gpuE2ELNS1_3repE0EEENS1_52radix_sort_onesweep_histogram_config_static_selectorELNS0_4arch9wavefront6targetE0EEEvSD_.private_seg_size, 0
	.set _ZN7rocprim17ROCPRIM_400000_NS6detail17trampoline_kernelINS0_14default_configENS1_35radix_sort_onesweep_config_selectorIsNS0_10empty_typeEEEZNS1_34radix_sort_onesweep_global_offsetsIS3_Lb0EPKsPS5_mNS0_19identity_decomposerEEE10hipError_tT1_T2_PT3_SF_jT4_jjP12ihipStream_tbEUlT_E_NS1_11comp_targetILNS1_3genE8ELNS1_11target_archE1030ELNS1_3gpuE2ELNS1_3repE0EEENS1_52radix_sort_onesweep_histogram_config_static_selectorELNS0_4arch9wavefront6targetE0EEEvSD_.uses_vcc, 0
	.set _ZN7rocprim17ROCPRIM_400000_NS6detail17trampoline_kernelINS0_14default_configENS1_35radix_sort_onesweep_config_selectorIsNS0_10empty_typeEEEZNS1_34radix_sort_onesweep_global_offsetsIS3_Lb0EPKsPS5_mNS0_19identity_decomposerEEE10hipError_tT1_T2_PT3_SF_jT4_jjP12ihipStream_tbEUlT_E_NS1_11comp_targetILNS1_3genE8ELNS1_11target_archE1030ELNS1_3gpuE2ELNS1_3repE0EEENS1_52radix_sort_onesweep_histogram_config_static_selectorELNS0_4arch9wavefront6targetE0EEEvSD_.uses_flat_scratch, 0
	.set _ZN7rocprim17ROCPRIM_400000_NS6detail17trampoline_kernelINS0_14default_configENS1_35radix_sort_onesweep_config_selectorIsNS0_10empty_typeEEEZNS1_34radix_sort_onesweep_global_offsetsIS3_Lb0EPKsPS5_mNS0_19identity_decomposerEEE10hipError_tT1_T2_PT3_SF_jT4_jjP12ihipStream_tbEUlT_E_NS1_11comp_targetILNS1_3genE8ELNS1_11target_archE1030ELNS1_3gpuE2ELNS1_3repE0EEENS1_52radix_sort_onesweep_histogram_config_static_selectorELNS0_4arch9wavefront6targetE0EEEvSD_.has_dyn_sized_stack, 0
	.set _ZN7rocprim17ROCPRIM_400000_NS6detail17trampoline_kernelINS0_14default_configENS1_35radix_sort_onesweep_config_selectorIsNS0_10empty_typeEEEZNS1_34radix_sort_onesweep_global_offsetsIS3_Lb0EPKsPS5_mNS0_19identity_decomposerEEE10hipError_tT1_T2_PT3_SF_jT4_jjP12ihipStream_tbEUlT_E_NS1_11comp_targetILNS1_3genE8ELNS1_11target_archE1030ELNS1_3gpuE2ELNS1_3repE0EEENS1_52radix_sort_onesweep_histogram_config_static_selectorELNS0_4arch9wavefront6targetE0EEEvSD_.has_recursion, 0
	.set _ZN7rocprim17ROCPRIM_400000_NS6detail17trampoline_kernelINS0_14default_configENS1_35radix_sort_onesweep_config_selectorIsNS0_10empty_typeEEEZNS1_34radix_sort_onesweep_global_offsetsIS3_Lb0EPKsPS5_mNS0_19identity_decomposerEEE10hipError_tT1_T2_PT3_SF_jT4_jjP12ihipStream_tbEUlT_E_NS1_11comp_targetILNS1_3genE8ELNS1_11target_archE1030ELNS1_3gpuE2ELNS1_3repE0EEENS1_52radix_sort_onesweep_histogram_config_static_selectorELNS0_4arch9wavefront6targetE0EEEvSD_.has_indirect_call, 0
	.section	.AMDGPU.csdata,"",@progbits
; Kernel info:
; codeLenInByte = 0
; TotalNumSgprs: 0
; NumVgprs: 0
; ScratchSize: 0
; MemoryBound: 0
; FloatMode: 240
; IeeeMode: 1
; LDSByteSize: 0 bytes/workgroup (compile time only)
; SGPRBlocks: 0
; VGPRBlocks: 0
; NumSGPRsForWavesPerEU: 1
; NumVGPRsForWavesPerEU: 1
; NamedBarCnt: 0
; Occupancy: 16
; WaveLimiterHint : 0
; COMPUTE_PGM_RSRC2:SCRATCH_EN: 0
; COMPUTE_PGM_RSRC2:USER_SGPR: 2
; COMPUTE_PGM_RSRC2:TRAP_HANDLER: 0
; COMPUTE_PGM_RSRC2:TGID_X_EN: 1
; COMPUTE_PGM_RSRC2:TGID_Y_EN: 0
; COMPUTE_PGM_RSRC2:TGID_Z_EN: 0
; COMPUTE_PGM_RSRC2:TIDIG_COMP_CNT: 0
	.section	.text._ZN7rocprim17ROCPRIM_400000_NS6detail17trampoline_kernelINS0_14default_configENS1_35radix_sort_onesweep_config_selectorIsNS0_10empty_typeEEEZNS1_34radix_sort_onesweep_global_offsetsIS3_Lb0EPKsPS5_mNS0_19identity_decomposerEEE10hipError_tT1_T2_PT3_SF_jT4_jjP12ihipStream_tbEUlT_E0_NS1_11comp_targetILNS1_3genE0ELNS1_11target_archE4294967295ELNS1_3gpuE0ELNS1_3repE0EEENS1_52radix_sort_onesweep_histogram_config_static_selectorELNS0_4arch9wavefront6targetE0EEEvSD_,"axG",@progbits,_ZN7rocprim17ROCPRIM_400000_NS6detail17trampoline_kernelINS0_14default_configENS1_35radix_sort_onesweep_config_selectorIsNS0_10empty_typeEEEZNS1_34radix_sort_onesweep_global_offsetsIS3_Lb0EPKsPS5_mNS0_19identity_decomposerEEE10hipError_tT1_T2_PT3_SF_jT4_jjP12ihipStream_tbEUlT_E0_NS1_11comp_targetILNS1_3genE0ELNS1_11target_archE4294967295ELNS1_3gpuE0ELNS1_3repE0EEENS1_52radix_sort_onesweep_histogram_config_static_selectorELNS0_4arch9wavefront6targetE0EEEvSD_,comdat
	.protected	_ZN7rocprim17ROCPRIM_400000_NS6detail17trampoline_kernelINS0_14default_configENS1_35radix_sort_onesweep_config_selectorIsNS0_10empty_typeEEEZNS1_34radix_sort_onesweep_global_offsetsIS3_Lb0EPKsPS5_mNS0_19identity_decomposerEEE10hipError_tT1_T2_PT3_SF_jT4_jjP12ihipStream_tbEUlT_E0_NS1_11comp_targetILNS1_3genE0ELNS1_11target_archE4294967295ELNS1_3gpuE0ELNS1_3repE0EEENS1_52radix_sort_onesweep_histogram_config_static_selectorELNS0_4arch9wavefront6targetE0EEEvSD_ ; -- Begin function _ZN7rocprim17ROCPRIM_400000_NS6detail17trampoline_kernelINS0_14default_configENS1_35radix_sort_onesweep_config_selectorIsNS0_10empty_typeEEEZNS1_34radix_sort_onesweep_global_offsetsIS3_Lb0EPKsPS5_mNS0_19identity_decomposerEEE10hipError_tT1_T2_PT3_SF_jT4_jjP12ihipStream_tbEUlT_E0_NS1_11comp_targetILNS1_3genE0ELNS1_11target_archE4294967295ELNS1_3gpuE0ELNS1_3repE0EEENS1_52radix_sort_onesweep_histogram_config_static_selectorELNS0_4arch9wavefront6targetE0EEEvSD_
	.globl	_ZN7rocprim17ROCPRIM_400000_NS6detail17trampoline_kernelINS0_14default_configENS1_35radix_sort_onesweep_config_selectorIsNS0_10empty_typeEEEZNS1_34radix_sort_onesweep_global_offsetsIS3_Lb0EPKsPS5_mNS0_19identity_decomposerEEE10hipError_tT1_T2_PT3_SF_jT4_jjP12ihipStream_tbEUlT_E0_NS1_11comp_targetILNS1_3genE0ELNS1_11target_archE4294967295ELNS1_3gpuE0ELNS1_3repE0EEENS1_52radix_sort_onesweep_histogram_config_static_selectorELNS0_4arch9wavefront6targetE0EEEvSD_
	.p2align	8
	.type	_ZN7rocprim17ROCPRIM_400000_NS6detail17trampoline_kernelINS0_14default_configENS1_35radix_sort_onesweep_config_selectorIsNS0_10empty_typeEEEZNS1_34radix_sort_onesweep_global_offsetsIS3_Lb0EPKsPS5_mNS0_19identity_decomposerEEE10hipError_tT1_T2_PT3_SF_jT4_jjP12ihipStream_tbEUlT_E0_NS1_11comp_targetILNS1_3genE0ELNS1_11target_archE4294967295ELNS1_3gpuE0ELNS1_3repE0EEENS1_52radix_sort_onesweep_histogram_config_static_selectorELNS0_4arch9wavefront6targetE0EEEvSD_,@function
_ZN7rocprim17ROCPRIM_400000_NS6detail17trampoline_kernelINS0_14default_configENS1_35radix_sort_onesweep_config_selectorIsNS0_10empty_typeEEEZNS1_34radix_sort_onesweep_global_offsetsIS3_Lb0EPKsPS5_mNS0_19identity_decomposerEEE10hipError_tT1_T2_PT3_SF_jT4_jjP12ihipStream_tbEUlT_E0_NS1_11comp_targetILNS1_3genE0ELNS1_11target_archE4294967295ELNS1_3gpuE0ELNS1_3repE0EEENS1_52radix_sort_onesweep_histogram_config_static_selectorELNS0_4arch9wavefront6targetE0EEEvSD_: ; @_ZN7rocprim17ROCPRIM_400000_NS6detail17trampoline_kernelINS0_14default_configENS1_35radix_sort_onesweep_config_selectorIsNS0_10empty_typeEEEZNS1_34radix_sort_onesweep_global_offsetsIS3_Lb0EPKsPS5_mNS0_19identity_decomposerEEE10hipError_tT1_T2_PT3_SF_jT4_jjP12ihipStream_tbEUlT_E0_NS1_11comp_targetILNS1_3genE0ELNS1_11target_archE4294967295ELNS1_3gpuE0ELNS1_3repE0EEENS1_52radix_sort_onesweep_histogram_config_static_selectorELNS0_4arch9wavefront6targetE0EEEvSD_
; %bb.0:
	s_load_b64 s[0:1], s[0:1], 0x0
	s_bfe_u32 s2, ttmp6, 0x4000c
	s_and_b32 s3, ttmp6, 15
	s_add_co_i32 s2, s2, 1
	s_getreg_b32 s4, hwreg(HW_REG_IB_STS2, 6, 4)
	s_mul_i32 s2, ttmp9, s2
	v_cmp_gt_u32_e32 vcc_lo, 0x100, v0
	s_add_co_i32 s3, s3, s2
	s_cmp_eq_u32 s4, 0
                                        ; implicit-def: $vgpr2_vgpr3
	s_cselect_b32 s2, ttmp9, s3
	s_mov_b32 s3, 0
	s_lshl_b32 s2, s2, 8
	s_delay_alu instid0(SALU_CYCLE_1)
	s_lshl_b64 s[2:3], s[2:3], 3
	s_wait_kmcnt 0x0
	s_add_nc_u64 s[6:7], s[0:1], s[2:3]
	s_and_saveexec_b32 s0, vcc_lo
	s_cbranch_execz .LBB704_2
; %bb.1:
	global_load_b64 v[2:3], v0, s[6:7] scale_offset
.LBB704_2:
	s_wait_xcnt 0x0
	s_or_b32 exec_lo, exec_lo, s0
	v_mbcnt_lo_u32_b32 v1, -1, 0
	s_wait_loadcnt 0x0
	v_mov_b32_dpp v6, v2 row_shr:1 row_mask:0xf bank_mask:0xf
	v_mov_b32_dpp v9, v3 row_shr:1 row_mask:0xf bank_mask:0xf
	s_delay_alu instid0(VALU_DEP_3) | instskip(NEXT) | instid1(VALU_DEP_1)
	v_dual_mov_b32 v4, v2 :: v_dual_bitop2_b32 v10, 15, v1 bitop3:0x40
	v_cmp_ne_u32_e64 s0, 0, v10
	s_and_saveexec_b32 s1, s0
; %bb.3:
	v_mov_b32_e32 v8, 0
	s_delay_alu instid0(VALU_DEP_1) | instskip(NEXT) | instid1(VALU_DEP_1)
	v_mov_b32_e32 v7, v8
	v_add_nc_u64_e32 v[4:5], v[2:3], v[6:7]
	s_delay_alu instid0(VALU_DEP_1)
	v_add_nc_u64_e32 v[2:3], v[8:9], v[4:5]
; %bb.4:
	s_or_b32 exec_lo, exec_lo, s1
	v_mov_b32_dpp v6, v4 row_shr:2 row_mask:0xf bank_mask:0xf
	s_delay_alu instid0(VALU_DEP_2)
	v_mov_b32_dpp v9, v3 row_shr:2 row_mask:0xf bank_mask:0xf
	v_cmp_lt_u32_e64 s1, 1, v10
	s_and_saveexec_b32 s2, s1
; %bb.5:
	v_mov_b32_e32 v8, 0
	s_delay_alu instid0(VALU_DEP_1) | instskip(NEXT) | instid1(VALU_DEP_1)
	v_mov_b32_e32 v7, v8
	v_add_nc_u64_e32 v[4:5], v[2:3], v[6:7]
	s_delay_alu instid0(VALU_DEP_1)
	v_add_nc_u64_e32 v[2:3], v[8:9], v[4:5]
; %bb.6:
	s_or_b32 exec_lo, exec_lo, s2
	v_mov_b32_dpp v6, v4 row_shr:4 row_mask:0xf bank_mask:0xf
	s_delay_alu instid0(VALU_DEP_2)
	v_mov_b32_dpp v9, v3 row_shr:4 row_mask:0xf bank_mask:0xf
	v_cmp_lt_u32_e64 s2, 3, v10
	;; [unrolled: 14-line block ×3, first 2 shown]
	s_and_saveexec_b32 s4, s3
; %bb.9:
	v_mov_b32_e32 v8, 0
	s_delay_alu instid0(VALU_DEP_1) | instskip(NEXT) | instid1(VALU_DEP_1)
	v_mov_b32_e32 v7, v8
	v_add_nc_u64_e32 v[4:5], v[2:3], v[6:7]
	s_delay_alu instid0(VALU_DEP_1)
	v_add_nc_u64_e32 v[2:3], v[8:9], v[4:5]
; %bb.10:
	s_or_b32 exec_lo, exec_lo, s4
	ds_swizzle_b32 v4, v4 offset:swizzle(BROADCAST,32,15)
	ds_swizzle_b32 v7, v3 offset:swizzle(BROADCAST,32,15)
	v_and_b32_e32 v5, 16, v1
	s_mov_b32 s5, exec_lo
	s_delay_alu instid0(VALU_DEP_1)
	v_cmpx_ne_u32_e32 0, v5
	s_cbranch_execz .LBB704_12
; %bb.11:
	v_mov_b32_e32 v6, 0
	s_delay_alu instid0(VALU_DEP_1) | instskip(SKIP_1) | instid1(VALU_DEP_1)
	v_mov_b32_e32 v5, v6
	s_wait_dscnt 0x1
	v_add_nc_u64_e32 v[2:3], v[2:3], v[4:5]
	s_wait_dscnt 0x0
	s_delay_alu instid0(VALU_DEP_1)
	v_add_nc_u64_e32 v[2:3], v[2:3], v[6:7]
.LBB704_12:
	s_or_b32 exec_lo, exec_lo, s5
	s_wait_dscnt 0x1
	v_dual_lshrrev_b32 v12, 5, v0 :: v_dual_bitop2_b32 v4, 31, v0 bitop3:0x54
	s_mov_b32 s5, exec_lo
	s_delay_alu instid0(VALU_DEP_1)
	v_cmpx_eq_u32_e64 v0, v4
; %bb.13:
	s_delay_alu instid0(VALU_DEP_2)
	v_lshlrev_b32_e32 v4, 3, v12
	ds_store_b64 v4, v[2:3]
; %bb.14:
	s_or_b32 exec_lo, exec_lo, s5
	s_delay_alu instid0(SALU_CYCLE_1)
	s_mov_b32 s5, exec_lo
	s_wait_dscnt 0x0
	s_barrier_signal -1
	s_barrier_wait -1
	v_cmpx_gt_u32_e32 16, v0
	s_cbranch_execz .LBB704_24
; %bb.15:
	v_lshlrev_b32_e32 v13, 3, v0
	ds_load_b64 v[4:5], v13
	s_wait_dscnt 0x0
	v_mov_b32_dpp v8, v4 row_shr:1 row_mask:0xf bank_mask:0xf
	v_mov_b32_dpp v11, v5 row_shr:1 row_mask:0xf bank_mask:0xf
	v_mov_b32_e32 v6, v4
	s_and_saveexec_b32 s4, s0
; %bb.16:
	v_mov_b32_e32 v10, 0
	s_delay_alu instid0(VALU_DEP_1) | instskip(NEXT) | instid1(VALU_DEP_1)
	v_mov_b32_e32 v9, v10
	v_add_nc_u64_e32 v[6:7], v[4:5], v[8:9]
	s_delay_alu instid0(VALU_DEP_1)
	v_add_nc_u64_e32 v[4:5], v[10:11], v[6:7]
; %bb.17:
	s_or_b32 exec_lo, exec_lo, s4
	v_mov_b32_dpp v8, v6 row_shr:2 row_mask:0xf bank_mask:0xf
	s_delay_alu instid0(VALU_DEP_2)
	v_mov_b32_dpp v11, v5 row_shr:2 row_mask:0xf bank_mask:0xf
	s_and_saveexec_b32 s0, s1
; %bb.18:
	v_mov_b32_e32 v10, 0
	s_delay_alu instid0(VALU_DEP_1) | instskip(NEXT) | instid1(VALU_DEP_1)
	v_mov_b32_e32 v9, v10
	v_add_nc_u64_e32 v[6:7], v[4:5], v[8:9]
	s_delay_alu instid0(VALU_DEP_1)
	v_add_nc_u64_e32 v[4:5], v[10:11], v[6:7]
; %bb.19:
	s_or_b32 exec_lo, exec_lo, s0
	v_mov_b32_dpp v8, v6 row_shr:4 row_mask:0xf bank_mask:0xf
	s_delay_alu instid0(VALU_DEP_2)
	v_mov_b32_dpp v11, v5 row_shr:4 row_mask:0xf bank_mask:0xf
	;; [unrolled: 13-line block ×3, first 2 shown]
	s_and_saveexec_b32 s0, s3
; %bb.22:
	v_mov_b32_e32 v8, 0
	s_delay_alu instid0(VALU_DEP_1) | instskip(NEXT) | instid1(VALU_DEP_1)
	v_mov_b32_e32 v7, v8
	v_add_nc_u64_e32 v[4:5], v[4:5], v[6:7]
	s_delay_alu instid0(VALU_DEP_1)
	v_add_nc_u64_e32 v[4:5], v[4:5], v[8:9]
; %bb.23:
	s_or_b32 exec_lo, exec_lo, s0
	ds_store_b64 v13, v[4:5]
.LBB704_24:
	s_or_b32 exec_lo, exec_lo, s5
	v_mov_b64_e32 v[4:5], 0
	s_mov_b32 s1, exec_lo
	s_wait_dscnt 0x0
	s_barrier_signal -1
	s_barrier_wait -1
	v_cmpx_lt_u32_e32 31, v0
; %bb.25:
	v_lshl_add_u32 v4, v12, 3, -8
	ds_load_b64 v[4:5], v4
; %bb.26:
	s_or_b32 exec_lo, exec_lo, s1
	v_add_nc_u32_e32 v6, -1, v1
	s_wait_dscnt 0x0
	v_add_nc_u64_e32 v[2:3], v[4:5], v[2:3]
	s_delay_alu instid0(VALU_DEP_2) | instskip(NEXT) | instid1(VALU_DEP_1)
	v_cmp_gt_i32_e64 s0, 0, v6
	v_cndmask_b32_e64 v6, v6, v1, s0
	s_delay_alu instid0(VALU_DEP_1)
	v_lshlrev_b32_e32 v6, 2, v6
	ds_bpermute_b32 v2, v6, v2
	ds_bpermute_b32 v3, v6, v3
	s_and_saveexec_b32 s0, vcc_lo
	s_cbranch_execz .LBB704_28
; %bb.27:
	v_cmp_eq_u32_e32 vcc_lo, 0, v1
	s_wait_dscnt 0x0
	v_dual_cndmask_b32 v3, v3, v5 :: v_dual_cndmask_b32 v2, v2, v4
	global_store_b64 v0, v[2:3], s[6:7] scale_offset
.LBB704_28:
	s_endpgm
	.section	.rodata,"a",@progbits
	.p2align	6, 0x0
	.amdhsa_kernel _ZN7rocprim17ROCPRIM_400000_NS6detail17trampoline_kernelINS0_14default_configENS1_35radix_sort_onesweep_config_selectorIsNS0_10empty_typeEEEZNS1_34radix_sort_onesweep_global_offsetsIS3_Lb0EPKsPS5_mNS0_19identity_decomposerEEE10hipError_tT1_T2_PT3_SF_jT4_jjP12ihipStream_tbEUlT_E0_NS1_11comp_targetILNS1_3genE0ELNS1_11target_archE4294967295ELNS1_3gpuE0ELNS1_3repE0EEENS1_52radix_sort_onesweep_histogram_config_static_selectorELNS0_4arch9wavefront6targetE0EEEvSD_
		.amdhsa_group_segment_fixed_size 128
		.amdhsa_private_segment_fixed_size 0
		.amdhsa_kernarg_size 8
		.amdhsa_user_sgpr_count 2
		.amdhsa_user_sgpr_dispatch_ptr 0
		.amdhsa_user_sgpr_queue_ptr 0
		.amdhsa_user_sgpr_kernarg_segment_ptr 1
		.amdhsa_user_sgpr_dispatch_id 0
		.amdhsa_user_sgpr_kernarg_preload_length 0
		.amdhsa_user_sgpr_kernarg_preload_offset 0
		.amdhsa_user_sgpr_private_segment_size 0
		.amdhsa_wavefront_size32 1
		.amdhsa_uses_dynamic_stack 0
		.amdhsa_enable_private_segment 0
		.amdhsa_system_sgpr_workgroup_id_x 1
		.amdhsa_system_sgpr_workgroup_id_y 0
		.amdhsa_system_sgpr_workgroup_id_z 0
		.amdhsa_system_sgpr_workgroup_info 0
		.amdhsa_system_vgpr_workitem_id 0
		.amdhsa_next_free_vgpr 14
		.amdhsa_next_free_sgpr 8
		.amdhsa_named_barrier_count 0
		.amdhsa_reserve_vcc 1
		.amdhsa_float_round_mode_32 0
		.amdhsa_float_round_mode_16_64 0
		.amdhsa_float_denorm_mode_32 3
		.amdhsa_float_denorm_mode_16_64 3
		.amdhsa_fp16_overflow 0
		.amdhsa_memory_ordered 1
		.amdhsa_forward_progress 1
		.amdhsa_inst_pref_size 7
		.amdhsa_round_robin_scheduling 0
		.amdhsa_exception_fp_ieee_invalid_op 0
		.amdhsa_exception_fp_denorm_src 0
		.amdhsa_exception_fp_ieee_div_zero 0
		.amdhsa_exception_fp_ieee_overflow 0
		.amdhsa_exception_fp_ieee_underflow 0
		.amdhsa_exception_fp_ieee_inexact 0
		.amdhsa_exception_int_div_zero 0
	.end_amdhsa_kernel
	.section	.text._ZN7rocprim17ROCPRIM_400000_NS6detail17trampoline_kernelINS0_14default_configENS1_35radix_sort_onesweep_config_selectorIsNS0_10empty_typeEEEZNS1_34radix_sort_onesweep_global_offsetsIS3_Lb0EPKsPS5_mNS0_19identity_decomposerEEE10hipError_tT1_T2_PT3_SF_jT4_jjP12ihipStream_tbEUlT_E0_NS1_11comp_targetILNS1_3genE0ELNS1_11target_archE4294967295ELNS1_3gpuE0ELNS1_3repE0EEENS1_52radix_sort_onesweep_histogram_config_static_selectorELNS0_4arch9wavefront6targetE0EEEvSD_,"axG",@progbits,_ZN7rocprim17ROCPRIM_400000_NS6detail17trampoline_kernelINS0_14default_configENS1_35radix_sort_onesweep_config_selectorIsNS0_10empty_typeEEEZNS1_34radix_sort_onesweep_global_offsetsIS3_Lb0EPKsPS5_mNS0_19identity_decomposerEEE10hipError_tT1_T2_PT3_SF_jT4_jjP12ihipStream_tbEUlT_E0_NS1_11comp_targetILNS1_3genE0ELNS1_11target_archE4294967295ELNS1_3gpuE0ELNS1_3repE0EEENS1_52radix_sort_onesweep_histogram_config_static_selectorELNS0_4arch9wavefront6targetE0EEEvSD_,comdat
.Lfunc_end704:
	.size	_ZN7rocprim17ROCPRIM_400000_NS6detail17trampoline_kernelINS0_14default_configENS1_35radix_sort_onesweep_config_selectorIsNS0_10empty_typeEEEZNS1_34radix_sort_onesweep_global_offsetsIS3_Lb0EPKsPS5_mNS0_19identity_decomposerEEE10hipError_tT1_T2_PT3_SF_jT4_jjP12ihipStream_tbEUlT_E0_NS1_11comp_targetILNS1_3genE0ELNS1_11target_archE4294967295ELNS1_3gpuE0ELNS1_3repE0EEENS1_52radix_sort_onesweep_histogram_config_static_selectorELNS0_4arch9wavefront6targetE0EEEvSD_, .Lfunc_end704-_ZN7rocprim17ROCPRIM_400000_NS6detail17trampoline_kernelINS0_14default_configENS1_35radix_sort_onesweep_config_selectorIsNS0_10empty_typeEEEZNS1_34radix_sort_onesweep_global_offsetsIS3_Lb0EPKsPS5_mNS0_19identity_decomposerEEE10hipError_tT1_T2_PT3_SF_jT4_jjP12ihipStream_tbEUlT_E0_NS1_11comp_targetILNS1_3genE0ELNS1_11target_archE4294967295ELNS1_3gpuE0ELNS1_3repE0EEENS1_52radix_sort_onesweep_histogram_config_static_selectorELNS0_4arch9wavefront6targetE0EEEvSD_
                                        ; -- End function
	.set _ZN7rocprim17ROCPRIM_400000_NS6detail17trampoline_kernelINS0_14default_configENS1_35radix_sort_onesweep_config_selectorIsNS0_10empty_typeEEEZNS1_34radix_sort_onesweep_global_offsetsIS3_Lb0EPKsPS5_mNS0_19identity_decomposerEEE10hipError_tT1_T2_PT3_SF_jT4_jjP12ihipStream_tbEUlT_E0_NS1_11comp_targetILNS1_3genE0ELNS1_11target_archE4294967295ELNS1_3gpuE0ELNS1_3repE0EEENS1_52radix_sort_onesweep_histogram_config_static_selectorELNS0_4arch9wavefront6targetE0EEEvSD_.num_vgpr, 14
	.set _ZN7rocprim17ROCPRIM_400000_NS6detail17trampoline_kernelINS0_14default_configENS1_35radix_sort_onesweep_config_selectorIsNS0_10empty_typeEEEZNS1_34radix_sort_onesweep_global_offsetsIS3_Lb0EPKsPS5_mNS0_19identity_decomposerEEE10hipError_tT1_T2_PT3_SF_jT4_jjP12ihipStream_tbEUlT_E0_NS1_11comp_targetILNS1_3genE0ELNS1_11target_archE4294967295ELNS1_3gpuE0ELNS1_3repE0EEENS1_52radix_sort_onesweep_histogram_config_static_selectorELNS0_4arch9wavefront6targetE0EEEvSD_.num_agpr, 0
	.set _ZN7rocprim17ROCPRIM_400000_NS6detail17trampoline_kernelINS0_14default_configENS1_35radix_sort_onesweep_config_selectorIsNS0_10empty_typeEEEZNS1_34radix_sort_onesweep_global_offsetsIS3_Lb0EPKsPS5_mNS0_19identity_decomposerEEE10hipError_tT1_T2_PT3_SF_jT4_jjP12ihipStream_tbEUlT_E0_NS1_11comp_targetILNS1_3genE0ELNS1_11target_archE4294967295ELNS1_3gpuE0ELNS1_3repE0EEENS1_52radix_sort_onesweep_histogram_config_static_selectorELNS0_4arch9wavefront6targetE0EEEvSD_.numbered_sgpr, 8
	.set _ZN7rocprim17ROCPRIM_400000_NS6detail17trampoline_kernelINS0_14default_configENS1_35radix_sort_onesweep_config_selectorIsNS0_10empty_typeEEEZNS1_34radix_sort_onesweep_global_offsetsIS3_Lb0EPKsPS5_mNS0_19identity_decomposerEEE10hipError_tT1_T2_PT3_SF_jT4_jjP12ihipStream_tbEUlT_E0_NS1_11comp_targetILNS1_3genE0ELNS1_11target_archE4294967295ELNS1_3gpuE0ELNS1_3repE0EEENS1_52radix_sort_onesweep_histogram_config_static_selectorELNS0_4arch9wavefront6targetE0EEEvSD_.num_named_barrier, 0
	.set _ZN7rocprim17ROCPRIM_400000_NS6detail17trampoline_kernelINS0_14default_configENS1_35radix_sort_onesweep_config_selectorIsNS0_10empty_typeEEEZNS1_34radix_sort_onesweep_global_offsetsIS3_Lb0EPKsPS5_mNS0_19identity_decomposerEEE10hipError_tT1_T2_PT3_SF_jT4_jjP12ihipStream_tbEUlT_E0_NS1_11comp_targetILNS1_3genE0ELNS1_11target_archE4294967295ELNS1_3gpuE0ELNS1_3repE0EEENS1_52radix_sort_onesweep_histogram_config_static_selectorELNS0_4arch9wavefront6targetE0EEEvSD_.private_seg_size, 0
	.set _ZN7rocprim17ROCPRIM_400000_NS6detail17trampoline_kernelINS0_14default_configENS1_35radix_sort_onesweep_config_selectorIsNS0_10empty_typeEEEZNS1_34radix_sort_onesweep_global_offsetsIS3_Lb0EPKsPS5_mNS0_19identity_decomposerEEE10hipError_tT1_T2_PT3_SF_jT4_jjP12ihipStream_tbEUlT_E0_NS1_11comp_targetILNS1_3genE0ELNS1_11target_archE4294967295ELNS1_3gpuE0ELNS1_3repE0EEENS1_52radix_sort_onesweep_histogram_config_static_selectorELNS0_4arch9wavefront6targetE0EEEvSD_.uses_vcc, 1
	.set _ZN7rocprim17ROCPRIM_400000_NS6detail17trampoline_kernelINS0_14default_configENS1_35radix_sort_onesweep_config_selectorIsNS0_10empty_typeEEEZNS1_34radix_sort_onesweep_global_offsetsIS3_Lb0EPKsPS5_mNS0_19identity_decomposerEEE10hipError_tT1_T2_PT3_SF_jT4_jjP12ihipStream_tbEUlT_E0_NS1_11comp_targetILNS1_3genE0ELNS1_11target_archE4294967295ELNS1_3gpuE0ELNS1_3repE0EEENS1_52radix_sort_onesweep_histogram_config_static_selectorELNS0_4arch9wavefront6targetE0EEEvSD_.uses_flat_scratch, 0
	.set _ZN7rocprim17ROCPRIM_400000_NS6detail17trampoline_kernelINS0_14default_configENS1_35radix_sort_onesweep_config_selectorIsNS0_10empty_typeEEEZNS1_34radix_sort_onesweep_global_offsetsIS3_Lb0EPKsPS5_mNS0_19identity_decomposerEEE10hipError_tT1_T2_PT3_SF_jT4_jjP12ihipStream_tbEUlT_E0_NS1_11comp_targetILNS1_3genE0ELNS1_11target_archE4294967295ELNS1_3gpuE0ELNS1_3repE0EEENS1_52radix_sort_onesweep_histogram_config_static_selectorELNS0_4arch9wavefront6targetE0EEEvSD_.has_dyn_sized_stack, 0
	.set _ZN7rocprim17ROCPRIM_400000_NS6detail17trampoline_kernelINS0_14default_configENS1_35radix_sort_onesweep_config_selectorIsNS0_10empty_typeEEEZNS1_34radix_sort_onesweep_global_offsetsIS3_Lb0EPKsPS5_mNS0_19identity_decomposerEEE10hipError_tT1_T2_PT3_SF_jT4_jjP12ihipStream_tbEUlT_E0_NS1_11comp_targetILNS1_3genE0ELNS1_11target_archE4294967295ELNS1_3gpuE0ELNS1_3repE0EEENS1_52radix_sort_onesweep_histogram_config_static_selectorELNS0_4arch9wavefront6targetE0EEEvSD_.has_recursion, 0
	.set _ZN7rocprim17ROCPRIM_400000_NS6detail17trampoline_kernelINS0_14default_configENS1_35radix_sort_onesweep_config_selectorIsNS0_10empty_typeEEEZNS1_34radix_sort_onesweep_global_offsetsIS3_Lb0EPKsPS5_mNS0_19identity_decomposerEEE10hipError_tT1_T2_PT3_SF_jT4_jjP12ihipStream_tbEUlT_E0_NS1_11comp_targetILNS1_3genE0ELNS1_11target_archE4294967295ELNS1_3gpuE0ELNS1_3repE0EEENS1_52radix_sort_onesweep_histogram_config_static_selectorELNS0_4arch9wavefront6targetE0EEEvSD_.has_indirect_call, 0
	.section	.AMDGPU.csdata,"",@progbits
; Kernel info:
; codeLenInByte = 896
; TotalNumSgprs: 10
; NumVgprs: 14
; ScratchSize: 0
; MemoryBound: 0
; FloatMode: 240
; IeeeMode: 1
; LDSByteSize: 128 bytes/workgroup (compile time only)
; SGPRBlocks: 0
; VGPRBlocks: 0
; NumSGPRsForWavesPerEU: 10
; NumVGPRsForWavesPerEU: 14
; NamedBarCnt: 0
; Occupancy: 16
; WaveLimiterHint : 0
; COMPUTE_PGM_RSRC2:SCRATCH_EN: 0
; COMPUTE_PGM_RSRC2:USER_SGPR: 2
; COMPUTE_PGM_RSRC2:TRAP_HANDLER: 0
; COMPUTE_PGM_RSRC2:TGID_X_EN: 1
; COMPUTE_PGM_RSRC2:TGID_Y_EN: 0
; COMPUTE_PGM_RSRC2:TGID_Z_EN: 0
; COMPUTE_PGM_RSRC2:TIDIG_COMP_CNT: 0
	.section	.text._ZN7rocprim17ROCPRIM_400000_NS6detail17trampoline_kernelINS0_14default_configENS1_35radix_sort_onesweep_config_selectorIsNS0_10empty_typeEEEZNS1_34radix_sort_onesweep_global_offsetsIS3_Lb0EPKsPS5_mNS0_19identity_decomposerEEE10hipError_tT1_T2_PT3_SF_jT4_jjP12ihipStream_tbEUlT_E0_NS1_11comp_targetILNS1_3genE6ELNS1_11target_archE950ELNS1_3gpuE13ELNS1_3repE0EEENS1_52radix_sort_onesweep_histogram_config_static_selectorELNS0_4arch9wavefront6targetE0EEEvSD_,"axG",@progbits,_ZN7rocprim17ROCPRIM_400000_NS6detail17trampoline_kernelINS0_14default_configENS1_35radix_sort_onesweep_config_selectorIsNS0_10empty_typeEEEZNS1_34radix_sort_onesweep_global_offsetsIS3_Lb0EPKsPS5_mNS0_19identity_decomposerEEE10hipError_tT1_T2_PT3_SF_jT4_jjP12ihipStream_tbEUlT_E0_NS1_11comp_targetILNS1_3genE6ELNS1_11target_archE950ELNS1_3gpuE13ELNS1_3repE0EEENS1_52radix_sort_onesweep_histogram_config_static_selectorELNS0_4arch9wavefront6targetE0EEEvSD_,comdat
	.protected	_ZN7rocprim17ROCPRIM_400000_NS6detail17trampoline_kernelINS0_14default_configENS1_35radix_sort_onesweep_config_selectorIsNS0_10empty_typeEEEZNS1_34radix_sort_onesweep_global_offsetsIS3_Lb0EPKsPS5_mNS0_19identity_decomposerEEE10hipError_tT1_T2_PT3_SF_jT4_jjP12ihipStream_tbEUlT_E0_NS1_11comp_targetILNS1_3genE6ELNS1_11target_archE950ELNS1_3gpuE13ELNS1_3repE0EEENS1_52radix_sort_onesweep_histogram_config_static_selectorELNS0_4arch9wavefront6targetE0EEEvSD_ ; -- Begin function _ZN7rocprim17ROCPRIM_400000_NS6detail17trampoline_kernelINS0_14default_configENS1_35radix_sort_onesweep_config_selectorIsNS0_10empty_typeEEEZNS1_34radix_sort_onesweep_global_offsetsIS3_Lb0EPKsPS5_mNS0_19identity_decomposerEEE10hipError_tT1_T2_PT3_SF_jT4_jjP12ihipStream_tbEUlT_E0_NS1_11comp_targetILNS1_3genE6ELNS1_11target_archE950ELNS1_3gpuE13ELNS1_3repE0EEENS1_52radix_sort_onesweep_histogram_config_static_selectorELNS0_4arch9wavefront6targetE0EEEvSD_
	.globl	_ZN7rocprim17ROCPRIM_400000_NS6detail17trampoline_kernelINS0_14default_configENS1_35radix_sort_onesweep_config_selectorIsNS0_10empty_typeEEEZNS1_34radix_sort_onesweep_global_offsetsIS3_Lb0EPKsPS5_mNS0_19identity_decomposerEEE10hipError_tT1_T2_PT3_SF_jT4_jjP12ihipStream_tbEUlT_E0_NS1_11comp_targetILNS1_3genE6ELNS1_11target_archE950ELNS1_3gpuE13ELNS1_3repE0EEENS1_52radix_sort_onesweep_histogram_config_static_selectorELNS0_4arch9wavefront6targetE0EEEvSD_
	.p2align	8
	.type	_ZN7rocprim17ROCPRIM_400000_NS6detail17trampoline_kernelINS0_14default_configENS1_35radix_sort_onesweep_config_selectorIsNS0_10empty_typeEEEZNS1_34radix_sort_onesweep_global_offsetsIS3_Lb0EPKsPS5_mNS0_19identity_decomposerEEE10hipError_tT1_T2_PT3_SF_jT4_jjP12ihipStream_tbEUlT_E0_NS1_11comp_targetILNS1_3genE6ELNS1_11target_archE950ELNS1_3gpuE13ELNS1_3repE0EEENS1_52radix_sort_onesweep_histogram_config_static_selectorELNS0_4arch9wavefront6targetE0EEEvSD_,@function
_ZN7rocprim17ROCPRIM_400000_NS6detail17trampoline_kernelINS0_14default_configENS1_35radix_sort_onesweep_config_selectorIsNS0_10empty_typeEEEZNS1_34radix_sort_onesweep_global_offsetsIS3_Lb0EPKsPS5_mNS0_19identity_decomposerEEE10hipError_tT1_T2_PT3_SF_jT4_jjP12ihipStream_tbEUlT_E0_NS1_11comp_targetILNS1_3genE6ELNS1_11target_archE950ELNS1_3gpuE13ELNS1_3repE0EEENS1_52radix_sort_onesweep_histogram_config_static_selectorELNS0_4arch9wavefront6targetE0EEEvSD_: ; @_ZN7rocprim17ROCPRIM_400000_NS6detail17trampoline_kernelINS0_14default_configENS1_35radix_sort_onesweep_config_selectorIsNS0_10empty_typeEEEZNS1_34radix_sort_onesweep_global_offsetsIS3_Lb0EPKsPS5_mNS0_19identity_decomposerEEE10hipError_tT1_T2_PT3_SF_jT4_jjP12ihipStream_tbEUlT_E0_NS1_11comp_targetILNS1_3genE6ELNS1_11target_archE950ELNS1_3gpuE13ELNS1_3repE0EEENS1_52radix_sort_onesweep_histogram_config_static_selectorELNS0_4arch9wavefront6targetE0EEEvSD_
; %bb.0:
	.section	.rodata,"a",@progbits
	.p2align	6, 0x0
	.amdhsa_kernel _ZN7rocprim17ROCPRIM_400000_NS6detail17trampoline_kernelINS0_14default_configENS1_35radix_sort_onesweep_config_selectorIsNS0_10empty_typeEEEZNS1_34radix_sort_onesweep_global_offsetsIS3_Lb0EPKsPS5_mNS0_19identity_decomposerEEE10hipError_tT1_T2_PT3_SF_jT4_jjP12ihipStream_tbEUlT_E0_NS1_11comp_targetILNS1_3genE6ELNS1_11target_archE950ELNS1_3gpuE13ELNS1_3repE0EEENS1_52radix_sort_onesweep_histogram_config_static_selectorELNS0_4arch9wavefront6targetE0EEEvSD_
		.amdhsa_group_segment_fixed_size 0
		.amdhsa_private_segment_fixed_size 0
		.amdhsa_kernarg_size 8
		.amdhsa_user_sgpr_count 2
		.amdhsa_user_sgpr_dispatch_ptr 0
		.amdhsa_user_sgpr_queue_ptr 0
		.amdhsa_user_sgpr_kernarg_segment_ptr 1
		.amdhsa_user_sgpr_dispatch_id 0
		.amdhsa_user_sgpr_kernarg_preload_length 0
		.amdhsa_user_sgpr_kernarg_preload_offset 0
		.amdhsa_user_sgpr_private_segment_size 0
		.amdhsa_wavefront_size32 1
		.amdhsa_uses_dynamic_stack 0
		.amdhsa_enable_private_segment 0
		.amdhsa_system_sgpr_workgroup_id_x 1
		.amdhsa_system_sgpr_workgroup_id_y 0
		.amdhsa_system_sgpr_workgroup_id_z 0
		.amdhsa_system_sgpr_workgroup_info 0
		.amdhsa_system_vgpr_workitem_id 0
		.amdhsa_next_free_vgpr 1
		.amdhsa_next_free_sgpr 1
		.amdhsa_named_barrier_count 0
		.amdhsa_reserve_vcc 0
		.amdhsa_float_round_mode_32 0
		.amdhsa_float_round_mode_16_64 0
		.amdhsa_float_denorm_mode_32 3
		.amdhsa_float_denorm_mode_16_64 3
		.amdhsa_fp16_overflow 0
		.amdhsa_memory_ordered 1
		.amdhsa_forward_progress 1
		.amdhsa_inst_pref_size 0
		.amdhsa_round_robin_scheduling 0
		.amdhsa_exception_fp_ieee_invalid_op 0
		.amdhsa_exception_fp_denorm_src 0
		.amdhsa_exception_fp_ieee_div_zero 0
		.amdhsa_exception_fp_ieee_overflow 0
		.amdhsa_exception_fp_ieee_underflow 0
		.amdhsa_exception_fp_ieee_inexact 0
		.amdhsa_exception_int_div_zero 0
	.end_amdhsa_kernel
	.section	.text._ZN7rocprim17ROCPRIM_400000_NS6detail17trampoline_kernelINS0_14default_configENS1_35radix_sort_onesweep_config_selectorIsNS0_10empty_typeEEEZNS1_34radix_sort_onesweep_global_offsetsIS3_Lb0EPKsPS5_mNS0_19identity_decomposerEEE10hipError_tT1_T2_PT3_SF_jT4_jjP12ihipStream_tbEUlT_E0_NS1_11comp_targetILNS1_3genE6ELNS1_11target_archE950ELNS1_3gpuE13ELNS1_3repE0EEENS1_52radix_sort_onesweep_histogram_config_static_selectorELNS0_4arch9wavefront6targetE0EEEvSD_,"axG",@progbits,_ZN7rocprim17ROCPRIM_400000_NS6detail17trampoline_kernelINS0_14default_configENS1_35radix_sort_onesweep_config_selectorIsNS0_10empty_typeEEEZNS1_34radix_sort_onesweep_global_offsetsIS3_Lb0EPKsPS5_mNS0_19identity_decomposerEEE10hipError_tT1_T2_PT3_SF_jT4_jjP12ihipStream_tbEUlT_E0_NS1_11comp_targetILNS1_3genE6ELNS1_11target_archE950ELNS1_3gpuE13ELNS1_3repE0EEENS1_52radix_sort_onesweep_histogram_config_static_selectorELNS0_4arch9wavefront6targetE0EEEvSD_,comdat
.Lfunc_end705:
	.size	_ZN7rocprim17ROCPRIM_400000_NS6detail17trampoline_kernelINS0_14default_configENS1_35radix_sort_onesweep_config_selectorIsNS0_10empty_typeEEEZNS1_34radix_sort_onesweep_global_offsetsIS3_Lb0EPKsPS5_mNS0_19identity_decomposerEEE10hipError_tT1_T2_PT3_SF_jT4_jjP12ihipStream_tbEUlT_E0_NS1_11comp_targetILNS1_3genE6ELNS1_11target_archE950ELNS1_3gpuE13ELNS1_3repE0EEENS1_52radix_sort_onesweep_histogram_config_static_selectorELNS0_4arch9wavefront6targetE0EEEvSD_, .Lfunc_end705-_ZN7rocprim17ROCPRIM_400000_NS6detail17trampoline_kernelINS0_14default_configENS1_35radix_sort_onesweep_config_selectorIsNS0_10empty_typeEEEZNS1_34radix_sort_onesweep_global_offsetsIS3_Lb0EPKsPS5_mNS0_19identity_decomposerEEE10hipError_tT1_T2_PT3_SF_jT4_jjP12ihipStream_tbEUlT_E0_NS1_11comp_targetILNS1_3genE6ELNS1_11target_archE950ELNS1_3gpuE13ELNS1_3repE0EEENS1_52radix_sort_onesweep_histogram_config_static_selectorELNS0_4arch9wavefront6targetE0EEEvSD_
                                        ; -- End function
	.set _ZN7rocprim17ROCPRIM_400000_NS6detail17trampoline_kernelINS0_14default_configENS1_35radix_sort_onesweep_config_selectorIsNS0_10empty_typeEEEZNS1_34radix_sort_onesweep_global_offsetsIS3_Lb0EPKsPS5_mNS0_19identity_decomposerEEE10hipError_tT1_T2_PT3_SF_jT4_jjP12ihipStream_tbEUlT_E0_NS1_11comp_targetILNS1_3genE6ELNS1_11target_archE950ELNS1_3gpuE13ELNS1_3repE0EEENS1_52radix_sort_onesweep_histogram_config_static_selectorELNS0_4arch9wavefront6targetE0EEEvSD_.num_vgpr, 0
	.set _ZN7rocprim17ROCPRIM_400000_NS6detail17trampoline_kernelINS0_14default_configENS1_35radix_sort_onesweep_config_selectorIsNS0_10empty_typeEEEZNS1_34radix_sort_onesweep_global_offsetsIS3_Lb0EPKsPS5_mNS0_19identity_decomposerEEE10hipError_tT1_T2_PT3_SF_jT4_jjP12ihipStream_tbEUlT_E0_NS1_11comp_targetILNS1_3genE6ELNS1_11target_archE950ELNS1_3gpuE13ELNS1_3repE0EEENS1_52radix_sort_onesweep_histogram_config_static_selectorELNS0_4arch9wavefront6targetE0EEEvSD_.num_agpr, 0
	.set _ZN7rocprim17ROCPRIM_400000_NS6detail17trampoline_kernelINS0_14default_configENS1_35radix_sort_onesweep_config_selectorIsNS0_10empty_typeEEEZNS1_34radix_sort_onesweep_global_offsetsIS3_Lb0EPKsPS5_mNS0_19identity_decomposerEEE10hipError_tT1_T2_PT3_SF_jT4_jjP12ihipStream_tbEUlT_E0_NS1_11comp_targetILNS1_3genE6ELNS1_11target_archE950ELNS1_3gpuE13ELNS1_3repE0EEENS1_52radix_sort_onesweep_histogram_config_static_selectorELNS0_4arch9wavefront6targetE0EEEvSD_.numbered_sgpr, 0
	.set _ZN7rocprim17ROCPRIM_400000_NS6detail17trampoline_kernelINS0_14default_configENS1_35radix_sort_onesweep_config_selectorIsNS0_10empty_typeEEEZNS1_34radix_sort_onesweep_global_offsetsIS3_Lb0EPKsPS5_mNS0_19identity_decomposerEEE10hipError_tT1_T2_PT3_SF_jT4_jjP12ihipStream_tbEUlT_E0_NS1_11comp_targetILNS1_3genE6ELNS1_11target_archE950ELNS1_3gpuE13ELNS1_3repE0EEENS1_52radix_sort_onesweep_histogram_config_static_selectorELNS0_4arch9wavefront6targetE0EEEvSD_.num_named_barrier, 0
	.set _ZN7rocprim17ROCPRIM_400000_NS6detail17trampoline_kernelINS0_14default_configENS1_35radix_sort_onesweep_config_selectorIsNS0_10empty_typeEEEZNS1_34radix_sort_onesweep_global_offsetsIS3_Lb0EPKsPS5_mNS0_19identity_decomposerEEE10hipError_tT1_T2_PT3_SF_jT4_jjP12ihipStream_tbEUlT_E0_NS1_11comp_targetILNS1_3genE6ELNS1_11target_archE950ELNS1_3gpuE13ELNS1_3repE0EEENS1_52radix_sort_onesweep_histogram_config_static_selectorELNS0_4arch9wavefront6targetE0EEEvSD_.private_seg_size, 0
	.set _ZN7rocprim17ROCPRIM_400000_NS6detail17trampoline_kernelINS0_14default_configENS1_35radix_sort_onesweep_config_selectorIsNS0_10empty_typeEEEZNS1_34radix_sort_onesweep_global_offsetsIS3_Lb0EPKsPS5_mNS0_19identity_decomposerEEE10hipError_tT1_T2_PT3_SF_jT4_jjP12ihipStream_tbEUlT_E0_NS1_11comp_targetILNS1_3genE6ELNS1_11target_archE950ELNS1_3gpuE13ELNS1_3repE0EEENS1_52radix_sort_onesweep_histogram_config_static_selectorELNS0_4arch9wavefront6targetE0EEEvSD_.uses_vcc, 0
	.set _ZN7rocprim17ROCPRIM_400000_NS6detail17trampoline_kernelINS0_14default_configENS1_35radix_sort_onesweep_config_selectorIsNS0_10empty_typeEEEZNS1_34radix_sort_onesweep_global_offsetsIS3_Lb0EPKsPS5_mNS0_19identity_decomposerEEE10hipError_tT1_T2_PT3_SF_jT4_jjP12ihipStream_tbEUlT_E0_NS1_11comp_targetILNS1_3genE6ELNS1_11target_archE950ELNS1_3gpuE13ELNS1_3repE0EEENS1_52radix_sort_onesweep_histogram_config_static_selectorELNS0_4arch9wavefront6targetE0EEEvSD_.uses_flat_scratch, 0
	.set _ZN7rocprim17ROCPRIM_400000_NS6detail17trampoline_kernelINS0_14default_configENS1_35radix_sort_onesweep_config_selectorIsNS0_10empty_typeEEEZNS1_34radix_sort_onesweep_global_offsetsIS3_Lb0EPKsPS5_mNS0_19identity_decomposerEEE10hipError_tT1_T2_PT3_SF_jT4_jjP12ihipStream_tbEUlT_E0_NS1_11comp_targetILNS1_3genE6ELNS1_11target_archE950ELNS1_3gpuE13ELNS1_3repE0EEENS1_52radix_sort_onesweep_histogram_config_static_selectorELNS0_4arch9wavefront6targetE0EEEvSD_.has_dyn_sized_stack, 0
	.set _ZN7rocprim17ROCPRIM_400000_NS6detail17trampoline_kernelINS0_14default_configENS1_35radix_sort_onesweep_config_selectorIsNS0_10empty_typeEEEZNS1_34radix_sort_onesweep_global_offsetsIS3_Lb0EPKsPS5_mNS0_19identity_decomposerEEE10hipError_tT1_T2_PT3_SF_jT4_jjP12ihipStream_tbEUlT_E0_NS1_11comp_targetILNS1_3genE6ELNS1_11target_archE950ELNS1_3gpuE13ELNS1_3repE0EEENS1_52radix_sort_onesweep_histogram_config_static_selectorELNS0_4arch9wavefront6targetE0EEEvSD_.has_recursion, 0
	.set _ZN7rocprim17ROCPRIM_400000_NS6detail17trampoline_kernelINS0_14default_configENS1_35radix_sort_onesweep_config_selectorIsNS0_10empty_typeEEEZNS1_34radix_sort_onesweep_global_offsetsIS3_Lb0EPKsPS5_mNS0_19identity_decomposerEEE10hipError_tT1_T2_PT3_SF_jT4_jjP12ihipStream_tbEUlT_E0_NS1_11comp_targetILNS1_3genE6ELNS1_11target_archE950ELNS1_3gpuE13ELNS1_3repE0EEENS1_52radix_sort_onesweep_histogram_config_static_selectorELNS0_4arch9wavefront6targetE0EEEvSD_.has_indirect_call, 0
	.section	.AMDGPU.csdata,"",@progbits
; Kernel info:
; codeLenInByte = 0
; TotalNumSgprs: 0
; NumVgprs: 0
; ScratchSize: 0
; MemoryBound: 0
; FloatMode: 240
; IeeeMode: 1
; LDSByteSize: 0 bytes/workgroup (compile time only)
; SGPRBlocks: 0
; VGPRBlocks: 0
; NumSGPRsForWavesPerEU: 1
; NumVGPRsForWavesPerEU: 1
; NamedBarCnt: 0
; Occupancy: 16
; WaveLimiterHint : 0
; COMPUTE_PGM_RSRC2:SCRATCH_EN: 0
; COMPUTE_PGM_RSRC2:USER_SGPR: 2
; COMPUTE_PGM_RSRC2:TRAP_HANDLER: 0
; COMPUTE_PGM_RSRC2:TGID_X_EN: 1
; COMPUTE_PGM_RSRC2:TGID_Y_EN: 0
; COMPUTE_PGM_RSRC2:TGID_Z_EN: 0
; COMPUTE_PGM_RSRC2:TIDIG_COMP_CNT: 0
	.section	.text._ZN7rocprim17ROCPRIM_400000_NS6detail17trampoline_kernelINS0_14default_configENS1_35radix_sort_onesweep_config_selectorIsNS0_10empty_typeEEEZNS1_34radix_sort_onesweep_global_offsetsIS3_Lb0EPKsPS5_mNS0_19identity_decomposerEEE10hipError_tT1_T2_PT3_SF_jT4_jjP12ihipStream_tbEUlT_E0_NS1_11comp_targetILNS1_3genE5ELNS1_11target_archE942ELNS1_3gpuE9ELNS1_3repE0EEENS1_52radix_sort_onesweep_histogram_config_static_selectorELNS0_4arch9wavefront6targetE0EEEvSD_,"axG",@progbits,_ZN7rocprim17ROCPRIM_400000_NS6detail17trampoline_kernelINS0_14default_configENS1_35radix_sort_onesweep_config_selectorIsNS0_10empty_typeEEEZNS1_34radix_sort_onesweep_global_offsetsIS3_Lb0EPKsPS5_mNS0_19identity_decomposerEEE10hipError_tT1_T2_PT3_SF_jT4_jjP12ihipStream_tbEUlT_E0_NS1_11comp_targetILNS1_3genE5ELNS1_11target_archE942ELNS1_3gpuE9ELNS1_3repE0EEENS1_52radix_sort_onesweep_histogram_config_static_selectorELNS0_4arch9wavefront6targetE0EEEvSD_,comdat
	.protected	_ZN7rocprim17ROCPRIM_400000_NS6detail17trampoline_kernelINS0_14default_configENS1_35radix_sort_onesweep_config_selectorIsNS0_10empty_typeEEEZNS1_34radix_sort_onesweep_global_offsetsIS3_Lb0EPKsPS5_mNS0_19identity_decomposerEEE10hipError_tT1_T2_PT3_SF_jT4_jjP12ihipStream_tbEUlT_E0_NS1_11comp_targetILNS1_3genE5ELNS1_11target_archE942ELNS1_3gpuE9ELNS1_3repE0EEENS1_52radix_sort_onesweep_histogram_config_static_selectorELNS0_4arch9wavefront6targetE0EEEvSD_ ; -- Begin function _ZN7rocprim17ROCPRIM_400000_NS6detail17trampoline_kernelINS0_14default_configENS1_35radix_sort_onesweep_config_selectorIsNS0_10empty_typeEEEZNS1_34radix_sort_onesweep_global_offsetsIS3_Lb0EPKsPS5_mNS0_19identity_decomposerEEE10hipError_tT1_T2_PT3_SF_jT4_jjP12ihipStream_tbEUlT_E0_NS1_11comp_targetILNS1_3genE5ELNS1_11target_archE942ELNS1_3gpuE9ELNS1_3repE0EEENS1_52radix_sort_onesweep_histogram_config_static_selectorELNS0_4arch9wavefront6targetE0EEEvSD_
	.globl	_ZN7rocprim17ROCPRIM_400000_NS6detail17trampoline_kernelINS0_14default_configENS1_35radix_sort_onesweep_config_selectorIsNS0_10empty_typeEEEZNS1_34radix_sort_onesweep_global_offsetsIS3_Lb0EPKsPS5_mNS0_19identity_decomposerEEE10hipError_tT1_T2_PT3_SF_jT4_jjP12ihipStream_tbEUlT_E0_NS1_11comp_targetILNS1_3genE5ELNS1_11target_archE942ELNS1_3gpuE9ELNS1_3repE0EEENS1_52radix_sort_onesweep_histogram_config_static_selectorELNS0_4arch9wavefront6targetE0EEEvSD_
	.p2align	8
	.type	_ZN7rocprim17ROCPRIM_400000_NS6detail17trampoline_kernelINS0_14default_configENS1_35radix_sort_onesweep_config_selectorIsNS0_10empty_typeEEEZNS1_34radix_sort_onesweep_global_offsetsIS3_Lb0EPKsPS5_mNS0_19identity_decomposerEEE10hipError_tT1_T2_PT3_SF_jT4_jjP12ihipStream_tbEUlT_E0_NS1_11comp_targetILNS1_3genE5ELNS1_11target_archE942ELNS1_3gpuE9ELNS1_3repE0EEENS1_52radix_sort_onesweep_histogram_config_static_selectorELNS0_4arch9wavefront6targetE0EEEvSD_,@function
_ZN7rocprim17ROCPRIM_400000_NS6detail17trampoline_kernelINS0_14default_configENS1_35radix_sort_onesweep_config_selectorIsNS0_10empty_typeEEEZNS1_34radix_sort_onesweep_global_offsetsIS3_Lb0EPKsPS5_mNS0_19identity_decomposerEEE10hipError_tT1_T2_PT3_SF_jT4_jjP12ihipStream_tbEUlT_E0_NS1_11comp_targetILNS1_3genE5ELNS1_11target_archE942ELNS1_3gpuE9ELNS1_3repE0EEENS1_52radix_sort_onesweep_histogram_config_static_selectorELNS0_4arch9wavefront6targetE0EEEvSD_: ; @_ZN7rocprim17ROCPRIM_400000_NS6detail17trampoline_kernelINS0_14default_configENS1_35radix_sort_onesweep_config_selectorIsNS0_10empty_typeEEEZNS1_34radix_sort_onesweep_global_offsetsIS3_Lb0EPKsPS5_mNS0_19identity_decomposerEEE10hipError_tT1_T2_PT3_SF_jT4_jjP12ihipStream_tbEUlT_E0_NS1_11comp_targetILNS1_3genE5ELNS1_11target_archE942ELNS1_3gpuE9ELNS1_3repE0EEENS1_52radix_sort_onesweep_histogram_config_static_selectorELNS0_4arch9wavefront6targetE0EEEvSD_
; %bb.0:
	.section	.rodata,"a",@progbits
	.p2align	6, 0x0
	.amdhsa_kernel _ZN7rocprim17ROCPRIM_400000_NS6detail17trampoline_kernelINS0_14default_configENS1_35radix_sort_onesweep_config_selectorIsNS0_10empty_typeEEEZNS1_34radix_sort_onesweep_global_offsetsIS3_Lb0EPKsPS5_mNS0_19identity_decomposerEEE10hipError_tT1_T2_PT3_SF_jT4_jjP12ihipStream_tbEUlT_E0_NS1_11comp_targetILNS1_3genE5ELNS1_11target_archE942ELNS1_3gpuE9ELNS1_3repE0EEENS1_52radix_sort_onesweep_histogram_config_static_selectorELNS0_4arch9wavefront6targetE0EEEvSD_
		.amdhsa_group_segment_fixed_size 0
		.amdhsa_private_segment_fixed_size 0
		.amdhsa_kernarg_size 8
		.amdhsa_user_sgpr_count 2
		.amdhsa_user_sgpr_dispatch_ptr 0
		.amdhsa_user_sgpr_queue_ptr 0
		.amdhsa_user_sgpr_kernarg_segment_ptr 1
		.amdhsa_user_sgpr_dispatch_id 0
		.amdhsa_user_sgpr_kernarg_preload_length 0
		.amdhsa_user_sgpr_kernarg_preload_offset 0
		.amdhsa_user_sgpr_private_segment_size 0
		.amdhsa_wavefront_size32 1
		.amdhsa_uses_dynamic_stack 0
		.amdhsa_enable_private_segment 0
		.amdhsa_system_sgpr_workgroup_id_x 1
		.amdhsa_system_sgpr_workgroup_id_y 0
		.amdhsa_system_sgpr_workgroup_id_z 0
		.amdhsa_system_sgpr_workgroup_info 0
		.amdhsa_system_vgpr_workitem_id 0
		.amdhsa_next_free_vgpr 1
		.amdhsa_next_free_sgpr 1
		.amdhsa_named_barrier_count 0
		.amdhsa_reserve_vcc 0
		.amdhsa_float_round_mode_32 0
		.amdhsa_float_round_mode_16_64 0
		.amdhsa_float_denorm_mode_32 3
		.amdhsa_float_denorm_mode_16_64 3
		.amdhsa_fp16_overflow 0
		.amdhsa_memory_ordered 1
		.amdhsa_forward_progress 1
		.amdhsa_inst_pref_size 0
		.amdhsa_round_robin_scheduling 0
		.amdhsa_exception_fp_ieee_invalid_op 0
		.amdhsa_exception_fp_denorm_src 0
		.amdhsa_exception_fp_ieee_div_zero 0
		.amdhsa_exception_fp_ieee_overflow 0
		.amdhsa_exception_fp_ieee_underflow 0
		.amdhsa_exception_fp_ieee_inexact 0
		.amdhsa_exception_int_div_zero 0
	.end_amdhsa_kernel
	.section	.text._ZN7rocprim17ROCPRIM_400000_NS6detail17trampoline_kernelINS0_14default_configENS1_35radix_sort_onesweep_config_selectorIsNS0_10empty_typeEEEZNS1_34radix_sort_onesweep_global_offsetsIS3_Lb0EPKsPS5_mNS0_19identity_decomposerEEE10hipError_tT1_T2_PT3_SF_jT4_jjP12ihipStream_tbEUlT_E0_NS1_11comp_targetILNS1_3genE5ELNS1_11target_archE942ELNS1_3gpuE9ELNS1_3repE0EEENS1_52radix_sort_onesweep_histogram_config_static_selectorELNS0_4arch9wavefront6targetE0EEEvSD_,"axG",@progbits,_ZN7rocprim17ROCPRIM_400000_NS6detail17trampoline_kernelINS0_14default_configENS1_35radix_sort_onesweep_config_selectorIsNS0_10empty_typeEEEZNS1_34radix_sort_onesweep_global_offsetsIS3_Lb0EPKsPS5_mNS0_19identity_decomposerEEE10hipError_tT1_T2_PT3_SF_jT4_jjP12ihipStream_tbEUlT_E0_NS1_11comp_targetILNS1_3genE5ELNS1_11target_archE942ELNS1_3gpuE9ELNS1_3repE0EEENS1_52radix_sort_onesweep_histogram_config_static_selectorELNS0_4arch9wavefront6targetE0EEEvSD_,comdat
.Lfunc_end706:
	.size	_ZN7rocprim17ROCPRIM_400000_NS6detail17trampoline_kernelINS0_14default_configENS1_35radix_sort_onesweep_config_selectorIsNS0_10empty_typeEEEZNS1_34radix_sort_onesweep_global_offsetsIS3_Lb0EPKsPS5_mNS0_19identity_decomposerEEE10hipError_tT1_T2_PT3_SF_jT4_jjP12ihipStream_tbEUlT_E0_NS1_11comp_targetILNS1_3genE5ELNS1_11target_archE942ELNS1_3gpuE9ELNS1_3repE0EEENS1_52radix_sort_onesweep_histogram_config_static_selectorELNS0_4arch9wavefront6targetE0EEEvSD_, .Lfunc_end706-_ZN7rocprim17ROCPRIM_400000_NS6detail17trampoline_kernelINS0_14default_configENS1_35radix_sort_onesweep_config_selectorIsNS0_10empty_typeEEEZNS1_34radix_sort_onesweep_global_offsetsIS3_Lb0EPKsPS5_mNS0_19identity_decomposerEEE10hipError_tT1_T2_PT3_SF_jT4_jjP12ihipStream_tbEUlT_E0_NS1_11comp_targetILNS1_3genE5ELNS1_11target_archE942ELNS1_3gpuE9ELNS1_3repE0EEENS1_52radix_sort_onesweep_histogram_config_static_selectorELNS0_4arch9wavefront6targetE0EEEvSD_
                                        ; -- End function
	.set _ZN7rocprim17ROCPRIM_400000_NS6detail17trampoline_kernelINS0_14default_configENS1_35radix_sort_onesweep_config_selectorIsNS0_10empty_typeEEEZNS1_34radix_sort_onesweep_global_offsetsIS3_Lb0EPKsPS5_mNS0_19identity_decomposerEEE10hipError_tT1_T2_PT3_SF_jT4_jjP12ihipStream_tbEUlT_E0_NS1_11comp_targetILNS1_3genE5ELNS1_11target_archE942ELNS1_3gpuE9ELNS1_3repE0EEENS1_52radix_sort_onesweep_histogram_config_static_selectorELNS0_4arch9wavefront6targetE0EEEvSD_.num_vgpr, 0
	.set _ZN7rocprim17ROCPRIM_400000_NS6detail17trampoline_kernelINS0_14default_configENS1_35radix_sort_onesweep_config_selectorIsNS0_10empty_typeEEEZNS1_34radix_sort_onesweep_global_offsetsIS3_Lb0EPKsPS5_mNS0_19identity_decomposerEEE10hipError_tT1_T2_PT3_SF_jT4_jjP12ihipStream_tbEUlT_E0_NS1_11comp_targetILNS1_3genE5ELNS1_11target_archE942ELNS1_3gpuE9ELNS1_3repE0EEENS1_52radix_sort_onesweep_histogram_config_static_selectorELNS0_4arch9wavefront6targetE0EEEvSD_.num_agpr, 0
	.set _ZN7rocprim17ROCPRIM_400000_NS6detail17trampoline_kernelINS0_14default_configENS1_35radix_sort_onesweep_config_selectorIsNS0_10empty_typeEEEZNS1_34radix_sort_onesweep_global_offsetsIS3_Lb0EPKsPS5_mNS0_19identity_decomposerEEE10hipError_tT1_T2_PT3_SF_jT4_jjP12ihipStream_tbEUlT_E0_NS1_11comp_targetILNS1_3genE5ELNS1_11target_archE942ELNS1_3gpuE9ELNS1_3repE0EEENS1_52radix_sort_onesweep_histogram_config_static_selectorELNS0_4arch9wavefront6targetE0EEEvSD_.numbered_sgpr, 0
	.set _ZN7rocprim17ROCPRIM_400000_NS6detail17trampoline_kernelINS0_14default_configENS1_35radix_sort_onesweep_config_selectorIsNS0_10empty_typeEEEZNS1_34radix_sort_onesweep_global_offsetsIS3_Lb0EPKsPS5_mNS0_19identity_decomposerEEE10hipError_tT1_T2_PT3_SF_jT4_jjP12ihipStream_tbEUlT_E0_NS1_11comp_targetILNS1_3genE5ELNS1_11target_archE942ELNS1_3gpuE9ELNS1_3repE0EEENS1_52radix_sort_onesweep_histogram_config_static_selectorELNS0_4arch9wavefront6targetE0EEEvSD_.num_named_barrier, 0
	.set _ZN7rocprim17ROCPRIM_400000_NS6detail17trampoline_kernelINS0_14default_configENS1_35radix_sort_onesweep_config_selectorIsNS0_10empty_typeEEEZNS1_34radix_sort_onesweep_global_offsetsIS3_Lb0EPKsPS5_mNS0_19identity_decomposerEEE10hipError_tT1_T2_PT3_SF_jT4_jjP12ihipStream_tbEUlT_E0_NS1_11comp_targetILNS1_3genE5ELNS1_11target_archE942ELNS1_3gpuE9ELNS1_3repE0EEENS1_52radix_sort_onesweep_histogram_config_static_selectorELNS0_4arch9wavefront6targetE0EEEvSD_.private_seg_size, 0
	.set _ZN7rocprim17ROCPRIM_400000_NS6detail17trampoline_kernelINS0_14default_configENS1_35radix_sort_onesweep_config_selectorIsNS0_10empty_typeEEEZNS1_34radix_sort_onesweep_global_offsetsIS3_Lb0EPKsPS5_mNS0_19identity_decomposerEEE10hipError_tT1_T2_PT3_SF_jT4_jjP12ihipStream_tbEUlT_E0_NS1_11comp_targetILNS1_3genE5ELNS1_11target_archE942ELNS1_3gpuE9ELNS1_3repE0EEENS1_52radix_sort_onesweep_histogram_config_static_selectorELNS0_4arch9wavefront6targetE0EEEvSD_.uses_vcc, 0
	.set _ZN7rocprim17ROCPRIM_400000_NS6detail17trampoline_kernelINS0_14default_configENS1_35radix_sort_onesweep_config_selectorIsNS0_10empty_typeEEEZNS1_34radix_sort_onesweep_global_offsetsIS3_Lb0EPKsPS5_mNS0_19identity_decomposerEEE10hipError_tT1_T2_PT3_SF_jT4_jjP12ihipStream_tbEUlT_E0_NS1_11comp_targetILNS1_3genE5ELNS1_11target_archE942ELNS1_3gpuE9ELNS1_3repE0EEENS1_52radix_sort_onesweep_histogram_config_static_selectorELNS0_4arch9wavefront6targetE0EEEvSD_.uses_flat_scratch, 0
	.set _ZN7rocprim17ROCPRIM_400000_NS6detail17trampoline_kernelINS0_14default_configENS1_35radix_sort_onesweep_config_selectorIsNS0_10empty_typeEEEZNS1_34radix_sort_onesweep_global_offsetsIS3_Lb0EPKsPS5_mNS0_19identity_decomposerEEE10hipError_tT1_T2_PT3_SF_jT4_jjP12ihipStream_tbEUlT_E0_NS1_11comp_targetILNS1_3genE5ELNS1_11target_archE942ELNS1_3gpuE9ELNS1_3repE0EEENS1_52radix_sort_onesweep_histogram_config_static_selectorELNS0_4arch9wavefront6targetE0EEEvSD_.has_dyn_sized_stack, 0
	.set _ZN7rocprim17ROCPRIM_400000_NS6detail17trampoline_kernelINS0_14default_configENS1_35radix_sort_onesweep_config_selectorIsNS0_10empty_typeEEEZNS1_34radix_sort_onesweep_global_offsetsIS3_Lb0EPKsPS5_mNS0_19identity_decomposerEEE10hipError_tT1_T2_PT3_SF_jT4_jjP12ihipStream_tbEUlT_E0_NS1_11comp_targetILNS1_3genE5ELNS1_11target_archE942ELNS1_3gpuE9ELNS1_3repE0EEENS1_52radix_sort_onesweep_histogram_config_static_selectorELNS0_4arch9wavefront6targetE0EEEvSD_.has_recursion, 0
	.set _ZN7rocprim17ROCPRIM_400000_NS6detail17trampoline_kernelINS0_14default_configENS1_35radix_sort_onesweep_config_selectorIsNS0_10empty_typeEEEZNS1_34radix_sort_onesweep_global_offsetsIS3_Lb0EPKsPS5_mNS0_19identity_decomposerEEE10hipError_tT1_T2_PT3_SF_jT4_jjP12ihipStream_tbEUlT_E0_NS1_11comp_targetILNS1_3genE5ELNS1_11target_archE942ELNS1_3gpuE9ELNS1_3repE0EEENS1_52radix_sort_onesweep_histogram_config_static_selectorELNS0_4arch9wavefront6targetE0EEEvSD_.has_indirect_call, 0
	.section	.AMDGPU.csdata,"",@progbits
; Kernel info:
; codeLenInByte = 0
; TotalNumSgprs: 0
; NumVgprs: 0
; ScratchSize: 0
; MemoryBound: 0
; FloatMode: 240
; IeeeMode: 1
; LDSByteSize: 0 bytes/workgroup (compile time only)
; SGPRBlocks: 0
; VGPRBlocks: 0
; NumSGPRsForWavesPerEU: 1
; NumVGPRsForWavesPerEU: 1
; NamedBarCnt: 0
; Occupancy: 16
; WaveLimiterHint : 0
; COMPUTE_PGM_RSRC2:SCRATCH_EN: 0
; COMPUTE_PGM_RSRC2:USER_SGPR: 2
; COMPUTE_PGM_RSRC2:TRAP_HANDLER: 0
; COMPUTE_PGM_RSRC2:TGID_X_EN: 1
; COMPUTE_PGM_RSRC2:TGID_Y_EN: 0
; COMPUTE_PGM_RSRC2:TGID_Z_EN: 0
; COMPUTE_PGM_RSRC2:TIDIG_COMP_CNT: 0
	.section	.text._ZN7rocprim17ROCPRIM_400000_NS6detail17trampoline_kernelINS0_14default_configENS1_35radix_sort_onesweep_config_selectorIsNS0_10empty_typeEEEZNS1_34radix_sort_onesweep_global_offsetsIS3_Lb0EPKsPS5_mNS0_19identity_decomposerEEE10hipError_tT1_T2_PT3_SF_jT4_jjP12ihipStream_tbEUlT_E0_NS1_11comp_targetILNS1_3genE2ELNS1_11target_archE906ELNS1_3gpuE6ELNS1_3repE0EEENS1_52radix_sort_onesweep_histogram_config_static_selectorELNS0_4arch9wavefront6targetE0EEEvSD_,"axG",@progbits,_ZN7rocprim17ROCPRIM_400000_NS6detail17trampoline_kernelINS0_14default_configENS1_35radix_sort_onesweep_config_selectorIsNS0_10empty_typeEEEZNS1_34radix_sort_onesweep_global_offsetsIS3_Lb0EPKsPS5_mNS0_19identity_decomposerEEE10hipError_tT1_T2_PT3_SF_jT4_jjP12ihipStream_tbEUlT_E0_NS1_11comp_targetILNS1_3genE2ELNS1_11target_archE906ELNS1_3gpuE6ELNS1_3repE0EEENS1_52radix_sort_onesweep_histogram_config_static_selectorELNS0_4arch9wavefront6targetE0EEEvSD_,comdat
	.protected	_ZN7rocprim17ROCPRIM_400000_NS6detail17trampoline_kernelINS0_14default_configENS1_35radix_sort_onesweep_config_selectorIsNS0_10empty_typeEEEZNS1_34radix_sort_onesweep_global_offsetsIS3_Lb0EPKsPS5_mNS0_19identity_decomposerEEE10hipError_tT1_T2_PT3_SF_jT4_jjP12ihipStream_tbEUlT_E0_NS1_11comp_targetILNS1_3genE2ELNS1_11target_archE906ELNS1_3gpuE6ELNS1_3repE0EEENS1_52radix_sort_onesweep_histogram_config_static_selectorELNS0_4arch9wavefront6targetE0EEEvSD_ ; -- Begin function _ZN7rocprim17ROCPRIM_400000_NS6detail17trampoline_kernelINS0_14default_configENS1_35radix_sort_onesweep_config_selectorIsNS0_10empty_typeEEEZNS1_34radix_sort_onesweep_global_offsetsIS3_Lb0EPKsPS5_mNS0_19identity_decomposerEEE10hipError_tT1_T2_PT3_SF_jT4_jjP12ihipStream_tbEUlT_E0_NS1_11comp_targetILNS1_3genE2ELNS1_11target_archE906ELNS1_3gpuE6ELNS1_3repE0EEENS1_52radix_sort_onesweep_histogram_config_static_selectorELNS0_4arch9wavefront6targetE0EEEvSD_
	.globl	_ZN7rocprim17ROCPRIM_400000_NS6detail17trampoline_kernelINS0_14default_configENS1_35radix_sort_onesweep_config_selectorIsNS0_10empty_typeEEEZNS1_34radix_sort_onesweep_global_offsetsIS3_Lb0EPKsPS5_mNS0_19identity_decomposerEEE10hipError_tT1_T2_PT3_SF_jT4_jjP12ihipStream_tbEUlT_E0_NS1_11comp_targetILNS1_3genE2ELNS1_11target_archE906ELNS1_3gpuE6ELNS1_3repE0EEENS1_52radix_sort_onesweep_histogram_config_static_selectorELNS0_4arch9wavefront6targetE0EEEvSD_
	.p2align	8
	.type	_ZN7rocprim17ROCPRIM_400000_NS6detail17trampoline_kernelINS0_14default_configENS1_35radix_sort_onesweep_config_selectorIsNS0_10empty_typeEEEZNS1_34radix_sort_onesweep_global_offsetsIS3_Lb0EPKsPS5_mNS0_19identity_decomposerEEE10hipError_tT1_T2_PT3_SF_jT4_jjP12ihipStream_tbEUlT_E0_NS1_11comp_targetILNS1_3genE2ELNS1_11target_archE906ELNS1_3gpuE6ELNS1_3repE0EEENS1_52radix_sort_onesweep_histogram_config_static_selectorELNS0_4arch9wavefront6targetE0EEEvSD_,@function
_ZN7rocprim17ROCPRIM_400000_NS6detail17trampoline_kernelINS0_14default_configENS1_35radix_sort_onesweep_config_selectorIsNS0_10empty_typeEEEZNS1_34radix_sort_onesweep_global_offsetsIS3_Lb0EPKsPS5_mNS0_19identity_decomposerEEE10hipError_tT1_T2_PT3_SF_jT4_jjP12ihipStream_tbEUlT_E0_NS1_11comp_targetILNS1_3genE2ELNS1_11target_archE906ELNS1_3gpuE6ELNS1_3repE0EEENS1_52radix_sort_onesweep_histogram_config_static_selectorELNS0_4arch9wavefront6targetE0EEEvSD_: ; @_ZN7rocprim17ROCPRIM_400000_NS6detail17trampoline_kernelINS0_14default_configENS1_35radix_sort_onesweep_config_selectorIsNS0_10empty_typeEEEZNS1_34radix_sort_onesweep_global_offsetsIS3_Lb0EPKsPS5_mNS0_19identity_decomposerEEE10hipError_tT1_T2_PT3_SF_jT4_jjP12ihipStream_tbEUlT_E0_NS1_11comp_targetILNS1_3genE2ELNS1_11target_archE906ELNS1_3gpuE6ELNS1_3repE0EEENS1_52radix_sort_onesweep_histogram_config_static_selectorELNS0_4arch9wavefront6targetE0EEEvSD_
; %bb.0:
	.section	.rodata,"a",@progbits
	.p2align	6, 0x0
	.amdhsa_kernel _ZN7rocprim17ROCPRIM_400000_NS6detail17trampoline_kernelINS0_14default_configENS1_35radix_sort_onesweep_config_selectorIsNS0_10empty_typeEEEZNS1_34radix_sort_onesweep_global_offsetsIS3_Lb0EPKsPS5_mNS0_19identity_decomposerEEE10hipError_tT1_T2_PT3_SF_jT4_jjP12ihipStream_tbEUlT_E0_NS1_11comp_targetILNS1_3genE2ELNS1_11target_archE906ELNS1_3gpuE6ELNS1_3repE0EEENS1_52radix_sort_onesweep_histogram_config_static_selectorELNS0_4arch9wavefront6targetE0EEEvSD_
		.amdhsa_group_segment_fixed_size 0
		.amdhsa_private_segment_fixed_size 0
		.amdhsa_kernarg_size 8
		.amdhsa_user_sgpr_count 2
		.amdhsa_user_sgpr_dispatch_ptr 0
		.amdhsa_user_sgpr_queue_ptr 0
		.amdhsa_user_sgpr_kernarg_segment_ptr 1
		.amdhsa_user_sgpr_dispatch_id 0
		.amdhsa_user_sgpr_kernarg_preload_length 0
		.amdhsa_user_sgpr_kernarg_preload_offset 0
		.amdhsa_user_sgpr_private_segment_size 0
		.amdhsa_wavefront_size32 1
		.amdhsa_uses_dynamic_stack 0
		.amdhsa_enable_private_segment 0
		.amdhsa_system_sgpr_workgroup_id_x 1
		.amdhsa_system_sgpr_workgroup_id_y 0
		.amdhsa_system_sgpr_workgroup_id_z 0
		.amdhsa_system_sgpr_workgroup_info 0
		.amdhsa_system_vgpr_workitem_id 0
		.amdhsa_next_free_vgpr 1
		.amdhsa_next_free_sgpr 1
		.amdhsa_named_barrier_count 0
		.amdhsa_reserve_vcc 0
		.amdhsa_float_round_mode_32 0
		.amdhsa_float_round_mode_16_64 0
		.amdhsa_float_denorm_mode_32 3
		.amdhsa_float_denorm_mode_16_64 3
		.amdhsa_fp16_overflow 0
		.amdhsa_memory_ordered 1
		.amdhsa_forward_progress 1
		.amdhsa_inst_pref_size 0
		.amdhsa_round_robin_scheduling 0
		.amdhsa_exception_fp_ieee_invalid_op 0
		.amdhsa_exception_fp_denorm_src 0
		.amdhsa_exception_fp_ieee_div_zero 0
		.amdhsa_exception_fp_ieee_overflow 0
		.amdhsa_exception_fp_ieee_underflow 0
		.amdhsa_exception_fp_ieee_inexact 0
		.amdhsa_exception_int_div_zero 0
	.end_amdhsa_kernel
	.section	.text._ZN7rocprim17ROCPRIM_400000_NS6detail17trampoline_kernelINS0_14default_configENS1_35radix_sort_onesweep_config_selectorIsNS0_10empty_typeEEEZNS1_34radix_sort_onesweep_global_offsetsIS3_Lb0EPKsPS5_mNS0_19identity_decomposerEEE10hipError_tT1_T2_PT3_SF_jT4_jjP12ihipStream_tbEUlT_E0_NS1_11comp_targetILNS1_3genE2ELNS1_11target_archE906ELNS1_3gpuE6ELNS1_3repE0EEENS1_52radix_sort_onesweep_histogram_config_static_selectorELNS0_4arch9wavefront6targetE0EEEvSD_,"axG",@progbits,_ZN7rocprim17ROCPRIM_400000_NS6detail17trampoline_kernelINS0_14default_configENS1_35radix_sort_onesweep_config_selectorIsNS0_10empty_typeEEEZNS1_34radix_sort_onesweep_global_offsetsIS3_Lb0EPKsPS5_mNS0_19identity_decomposerEEE10hipError_tT1_T2_PT3_SF_jT4_jjP12ihipStream_tbEUlT_E0_NS1_11comp_targetILNS1_3genE2ELNS1_11target_archE906ELNS1_3gpuE6ELNS1_3repE0EEENS1_52radix_sort_onesweep_histogram_config_static_selectorELNS0_4arch9wavefront6targetE0EEEvSD_,comdat
.Lfunc_end707:
	.size	_ZN7rocprim17ROCPRIM_400000_NS6detail17trampoline_kernelINS0_14default_configENS1_35radix_sort_onesweep_config_selectorIsNS0_10empty_typeEEEZNS1_34radix_sort_onesweep_global_offsetsIS3_Lb0EPKsPS5_mNS0_19identity_decomposerEEE10hipError_tT1_T2_PT3_SF_jT4_jjP12ihipStream_tbEUlT_E0_NS1_11comp_targetILNS1_3genE2ELNS1_11target_archE906ELNS1_3gpuE6ELNS1_3repE0EEENS1_52radix_sort_onesweep_histogram_config_static_selectorELNS0_4arch9wavefront6targetE0EEEvSD_, .Lfunc_end707-_ZN7rocprim17ROCPRIM_400000_NS6detail17trampoline_kernelINS0_14default_configENS1_35radix_sort_onesweep_config_selectorIsNS0_10empty_typeEEEZNS1_34radix_sort_onesweep_global_offsetsIS3_Lb0EPKsPS5_mNS0_19identity_decomposerEEE10hipError_tT1_T2_PT3_SF_jT4_jjP12ihipStream_tbEUlT_E0_NS1_11comp_targetILNS1_3genE2ELNS1_11target_archE906ELNS1_3gpuE6ELNS1_3repE0EEENS1_52radix_sort_onesweep_histogram_config_static_selectorELNS0_4arch9wavefront6targetE0EEEvSD_
                                        ; -- End function
	.set _ZN7rocprim17ROCPRIM_400000_NS6detail17trampoline_kernelINS0_14default_configENS1_35radix_sort_onesweep_config_selectorIsNS0_10empty_typeEEEZNS1_34radix_sort_onesweep_global_offsetsIS3_Lb0EPKsPS5_mNS0_19identity_decomposerEEE10hipError_tT1_T2_PT3_SF_jT4_jjP12ihipStream_tbEUlT_E0_NS1_11comp_targetILNS1_3genE2ELNS1_11target_archE906ELNS1_3gpuE6ELNS1_3repE0EEENS1_52radix_sort_onesweep_histogram_config_static_selectorELNS0_4arch9wavefront6targetE0EEEvSD_.num_vgpr, 0
	.set _ZN7rocprim17ROCPRIM_400000_NS6detail17trampoline_kernelINS0_14default_configENS1_35radix_sort_onesweep_config_selectorIsNS0_10empty_typeEEEZNS1_34radix_sort_onesweep_global_offsetsIS3_Lb0EPKsPS5_mNS0_19identity_decomposerEEE10hipError_tT1_T2_PT3_SF_jT4_jjP12ihipStream_tbEUlT_E0_NS1_11comp_targetILNS1_3genE2ELNS1_11target_archE906ELNS1_3gpuE6ELNS1_3repE0EEENS1_52radix_sort_onesweep_histogram_config_static_selectorELNS0_4arch9wavefront6targetE0EEEvSD_.num_agpr, 0
	.set _ZN7rocprim17ROCPRIM_400000_NS6detail17trampoline_kernelINS0_14default_configENS1_35radix_sort_onesweep_config_selectorIsNS0_10empty_typeEEEZNS1_34radix_sort_onesweep_global_offsetsIS3_Lb0EPKsPS5_mNS0_19identity_decomposerEEE10hipError_tT1_T2_PT3_SF_jT4_jjP12ihipStream_tbEUlT_E0_NS1_11comp_targetILNS1_3genE2ELNS1_11target_archE906ELNS1_3gpuE6ELNS1_3repE0EEENS1_52radix_sort_onesweep_histogram_config_static_selectorELNS0_4arch9wavefront6targetE0EEEvSD_.numbered_sgpr, 0
	.set _ZN7rocprim17ROCPRIM_400000_NS6detail17trampoline_kernelINS0_14default_configENS1_35radix_sort_onesweep_config_selectorIsNS0_10empty_typeEEEZNS1_34radix_sort_onesweep_global_offsetsIS3_Lb0EPKsPS5_mNS0_19identity_decomposerEEE10hipError_tT1_T2_PT3_SF_jT4_jjP12ihipStream_tbEUlT_E0_NS1_11comp_targetILNS1_3genE2ELNS1_11target_archE906ELNS1_3gpuE6ELNS1_3repE0EEENS1_52radix_sort_onesweep_histogram_config_static_selectorELNS0_4arch9wavefront6targetE0EEEvSD_.num_named_barrier, 0
	.set _ZN7rocprim17ROCPRIM_400000_NS6detail17trampoline_kernelINS0_14default_configENS1_35radix_sort_onesweep_config_selectorIsNS0_10empty_typeEEEZNS1_34radix_sort_onesweep_global_offsetsIS3_Lb0EPKsPS5_mNS0_19identity_decomposerEEE10hipError_tT1_T2_PT3_SF_jT4_jjP12ihipStream_tbEUlT_E0_NS1_11comp_targetILNS1_3genE2ELNS1_11target_archE906ELNS1_3gpuE6ELNS1_3repE0EEENS1_52radix_sort_onesweep_histogram_config_static_selectorELNS0_4arch9wavefront6targetE0EEEvSD_.private_seg_size, 0
	.set _ZN7rocprim17ROCPRIM_400000_NS6detail17trampoline_kernelINS0_14default_configENS1_35radix_sort_onesweep_config_selectorIsNS0_10empty_typeEEEZNS1_34radix_sort_onesweep_global_offsetsIS3_Lb0EPKsPS5_mNS0_19identity_decomposerEEE10hipError_tT1_T2_PT3_SF_jT4_jjP12ihipStream_tbEUlT_E0_NS1_11comp_targetILNS1_3genE2ELNS1_11target_archE906ELNS1_3gpuE6ELNS1_3repE0EEENS1_52radix_sort_onesweep_histogram_config_static_selectorELNS0_4arch9wavefront6targetE0EEEvSD_.uses_vcc, 0
	.set _ZN7rocprim17ROCPRIM_400000_NS6detail17trampoline_kernelINS0_14default_configENS1_35radix_sort_onesweep_config_selectorIsNS0_10empty_typeEEEZNS1_34radix_sort_onesweep_global_offsetsIS3_Lb0EPKsPS5_mNS0_19identity_decomposerEEE10hipError_tT1_T2_PT3_SF_jT4_jjP12ihipStream_tbEUlT_E0_NS1_11comp_targetILNS1_3genE2ELNS1_11target_archE906ELNS1_3gpuE6ELNS1_3repE0EEENS1_52radix_sort_onesweep_histogram_config_static_selectorELNS0_4arch9wavefront6targetE0EEEvSD_.uses_flat_scratch, 0
	.set _ZN7rocprim17ROCPRIM_400000_NS6detail17trampoline_kernelINS0_14default_configENS1_35radix_sort_onesweep_config_selectorIsNS0_10empty_typeEEEZNS1_34radix_sort_onesweep_global_offsetsIS3_Lb0EPKsPS5_mNS0_19identity_decomposerEEE10hipError_tT1_T2_PT3_SF_jT4_jjP12ihipStream_tbEUlT_E0_NS1_11comp_targetILNS1_3genE2ELNS1_11target_archE906ELNS1_3gpuE6ELNS1_3repE0EEENS1_52radix_sort_onesweep_histogram_config_static_selectorELNS0_4arch9wavefront6targetE0EEEvSD_.has_dyn_sized_stack, 0
	.set _ZN7rocprim17ROCPRIM_400000_NS6detail17trampoline_kernelINS0_14default_configENS1_35radix_sort_onesweep_config_selectorIsNS0_10empty_typeEEEZNS1_34radix_sort_onesweep_global_offsetsIS3_Lb0EPKsPS5_mNS0_19identity_decomposerEEE10hipError_tT1_T2_PT3_SF_jT4_jjP12ihipStream_tbEUlT_E0_NS1_11comp_targetILNS1_3genE2ELNS1_11target_archE906ELNS1_3gpuE6ELNS1_3repE0EEENS1_52radix_sort_onesweep_histogram_config_static_selectorELNS0_4arch9wavefront6targetE0EEEvSD_.has_recursion, 0
	.set _ZN7rocprim17ROCPRIM_400000_NS6detail17trampoline_kernelINS0_14default_configENS1_35radix_sort_onesweep_config_selectorIsNS0_10empty_typeEEEZNS1_34radix_sort_onesweep_global_offsetsIS3_Lb0EPKsPS5_mNS0_19identity_decomposerEEE10hipError_tT1_T2_PT3_SF_jT4_jjP12ihipStream_tbEUlT_E0_NS1_11comp_targetILNS1_3genE2ELNS1_11target_archE906ELNS1_3gpuE6ELNS1_3repE0EEENS1_52radix_sort_onesweep_histogram_config_static_selectorELNS0_4arch9wavefront6targetE0EEEvSD_.has_indirect_call, 0
	.section	.AMDGPU.csdata,"",@progbits
; Kernel info:
; codeLenInByte = 0
; TotalNumSgprs: 0
; NumVgprs: 0
; ScratchSize: 0
; MemoryBound: 0
; FloatMode: 240
; IeeeMode: 1
; LDSByteSize: 0 bytes/workgroup (compile time only)
; SGPRBlocks: 0
; VGPRBlocks: 0
; NumSGPRsForWavesPerEU: 1
; NumVGPRsForWavesPerEU: 1
; NamedBarCnt: 0
; Occupancy: 16
; WaveLimiterHint : 0
; COMPUTE_PGM_RSRC2:SCRATCH_EN: 0
; COMPUTE_PGM_RSRC2:USER_SGPR: 2
; COMPUTE_PGM_RSRC2:TRAP_HANDLER: 0
; COMPUTE_PGM_RSRC2:TGID_X_EN: 1
; COMPUTE_PGM_RSRC2:TGID_Y_EN: 0
; COMPUTE_PGM_RSRC2:TGID_Z_EN: 0
; COMPUTE_PGM_RSRC2:TIDIG_COMP_CNT: 0
	.section	.text._ZN7rocprim17ROCPRIM_400000_NS6detail17trampoline_kernelINS0_14default_configENS1_35radix_sort_onesweep_config_selectorIsNS0_10empty_typeEEEZNS1_34radix_sort_onesweep_global_offsetsIS3_Lb0EPKsPS5_mNS0_19identity_decomposerEEE10hipError_tT1_T2_PT3_SF_jT4_jjP12ihipStream_tbEUlT_E0_NS1_11comp_targetILNS1_3genE4ELNS1_11target_archE910ELNS1_3gpuE8ELNS1_3repE0EEENS1_52radix_sort_onesweep_histogram_config_static_selectorELNS0_4arch9wavefront6targetE0EEEvSD_,"axG",@progbits,_ZN7rocprim17ROCPRIM_400000_NS6detail17trampoline_kernelINS0_14default_configENS1_35radix_sort_onesweep_config_selectorIsNS0_10empty_typeEEEZNS1_34radix_sort_onesweep_global_offsetsIS3_Lb0EPKsPS5_mNS0_19identity_decomposerEEE10hipError_tT1_T2_PT3_SF_jT4_jjP12ihipStream_tbEUlT_E0_NS1_11comp_targetILNS1_3genE4ELNS1_11target_archE910ELNS1_3gpuE8ELNS1_3repE0EEENS1_52radix_sort_onesweep_histogram_config_static_selectorELNS0_4arch9wavefront6targetE0EEEvSD_,comdat
	.protected	_ZN7rocprim17ROCPRIM_400000_NS6detail17trampoline_kernelINS0_14default_configENS1_35radix_sort_onesweep_config_selectorIsNS0_10empty_typeEEEZNS1_34radix_sort_onesweep_global_offsetsIS3_Lb0EPKsPS5_mNS0_19identity_decomposerEEE10hipError_tT1_T2_PT3_SF_jT4_jjP12ihipStream_tbEUlT_E0_NS1_11comp_targetILNS1_3genE4ELNS1_11target_archE910ELNS1_3gpuE8ELNS1_3repE0EEENS1_52radix_sort_onesweep_histogram_config_static_selectorELNS0_4arch9wavefront6targetE0EEEvSD_ ; -- Begin function _ZN7rocprim17ROCPRIM_400000_NS6detail17trampoline_kernelINS0_14default_configENS1_35radix_sort_onesweep_config_selectorIsNS0_10empty_typeEEEZNS1_34radix_sort_onesweep_global_offsetsIS3_Lb0EPKsPS5_mNS0_19identity_decomposerEEE10hipError_tT1_T2_PT3_SF_jT4_jjP12ihipStream_tbEUlT_E0_NS1_11comp_targetILNS1_3genE4ELNS1_11target_archE910ELNS1_3gpuE8ELNS1_3repE0EEENS1_52radix_sort_onesweep_histogram_config_static_selectorELNS0_4arch9wavefront6targetE0EEEvSD_
	.globl	_ZN7rocprim17ROCPRIM_400000_NS6detail17trampoline_kernelINS0_14default_configENS1_35radix_sort_onesweep_config_selectorIsNS0_10empty_typeEEEZNS1_34radix_sort_onesweep_global_offsetsIS3_Lb0EPKsPS5_mNS0_19identity_decomposerEEE10hipError_tT1_T2_PT3_SF_jT4_jjP12ihipStream_tbEUlT_E0_NS1_11comp_targetILNS1_3genE4ELNS1_11target_archE910ELNS1_3gpuE8ELNS1_3repE0EEENS1_52radix_sort_onesweep_histogram_config_static_selectorELNS0_4arch9wavefront6targetE0EEEvSD_
	.p2align	8
	.type	_ZN7rocprim17ROCPRIM_400000_NS6detail17trampoline_kernelINS0_14default_configENS1_35radix_sort_onesweep_config_selectorIsNS0_10empty_typeEEEZNS1_34radix_sort_onesweep_global_offsetsIS3_Lb0EPKsPS5_mNS0_19identity_decomposerEEE10hipError_tT1_T2_PT3_SF_jT4_jjP12ihipStream_tbEUlT_E0_NS1_11comp_targetILNS1_3genE4ELNS1_11target_archE910ELNS1_3gpuE8ELNS1_3repE0EEENS1_52radix_sort_onesweep_histogram_config_static_selectorELNS0_4arch9wavefront6targetE0EEEvSD_,@function
_ZN7rocprim17ROCPRIM_400000_NS6detail17trampoline_kernelINS0_14default_configENS1_35radix_sort_onesweep_config_selectorIsNS0_10empty_typeEEEZNS1_34radix_sort_onesweep_global_offsetsIS3_Lb0EPKsPS5_mNS0_19identity_decomposerEEE10hipError_tT1_T2_PT3_SF_jT4_jjP12ihipStream_tbEUlT_E0_NS1_11comp_targetILNS1_3genE4ELNS1_11target_archE910ELNS1_3gpuE8ELNS1_3repE0EEENS1_52radix_sort_onesweep_histogram_config_static_selectorELNS0_4arch9wavefront6targetE0EEEvSD_: ; @_ZN7rocprim17ROCPRIM_400000_NS6detail17trampoline_kernelINS0_14default_configENS1_35radix_sort_onesweep_config_selectorIsNS0_10empty_typeEEEZNS1_34radix_sort_onesweep_global_offsetsIS3_Lb0EPKsPS5_mNS0_19identity_decomposerEEE10hipError_tT1_T2_PT3_SF_jT4_jjP12ihipStream_tbEUlT_E0_NS1_11comp_targetILNS1_3genE4ELNS1_11target_archE910ELNS1_3gpuE8ELNS1_3repE0EEENS1_52radix_sort_onesweep_histogram_config_static_selectorELNS0_4arch9wavefront6targetE0EEEvSD_
; %bb.0:
	.section	.rodata,"a",@progbits
	.p2align	6, 0x0
	.amdhsa_kernel _ZN7rocprim17ROCPRIM_400000_NS6detail17trampoline_kernelINS0_14default_configENS1_35radix_sort_onesweep_config_selectorIsNS0_10empty_typeEEEZNS1_34radix_sort_onesweep_global_offsetsIS3_Lb0EPKsPS5_mNS0_19identity_decomposerEEE10hipError_tT1_T2_PT3_SF_jT4_jjP12ihipStream_tbEUlT_E0_NS1_11comp_targetILNS1_3genE4ELNS1_11target_archE910ELNS1_3gpuE8ELNS1_3repE0EEENS1_52radix_sort_onesweep_histogram_config_static_selectorELNS0_4arch9wavefront6targetE0EEEvSD_
		.amdhsa_group_segment_fixed_size 0
		.amdhsa_private_segment_fixed_size 0
		.amdhsa_kernarg_size 8
		.amdhsa_user_sgpr_count 2
		.amdhsa_user_sgpr_dispatch_ptr 0
		.amdhsa_user_sgpr_queue_ptr 0
		.amdhsa_user_sgpr_kernarg_segment_ptr 1
		.amdhsa_user_sgpr_dispatch_id 0
		.amdhsa_user_sgpr_kernarg_preload_length 0
		.amdhsa_user_sgpr_kernarg_preload_offset 0
		.amdhsa_user_sgpr_private_segment_size 0
		.amdhsa_wavefront_size32 1
		.amdhsa_uses_dynamic_stack 0
		.amdhsa_enable_private_segment 0
		.amdhsa_system_sgpr_workgroup_id_x 1
		.amdhsa_system_sgpr_workgroup_id_y 0
		.amdhsa_system_sgpr_workgroup_id_z 0
		.amdhsa_system_sgpr_workgroup_info 0
		.amdhsa_system_vgpr_workitem_id 0
		.amdhsa_next_free_vgpr 1
		.amdhsa_next_free_sgpr 1
		.amdhsa_named_barrier_count 0
		.amdhsa_reserve_vcc 0
		.amdhsa_float_round_mode_32 0
		.amdhsa_float_round_mode_16_64 0
		.amdhsa_float_denorm_mode_32 3
		.amdhsa_float_denorm_mode_16_64 3
		.amdhsa_fp16_overflow 0
		.amdhsa_memory_ordered 1
		.amdhsa_forward_progress 1
		.amdhsa_inst_pref_size 0
		.amdhsa_round_robin_scheduling 0
		.amdhsa_exception_fp_ieee_invalid_op 0
		.amdhsa_exception_fp_denorm_src 0
		.amdhsa_exception_fp_ieee_div_zero 0
		.amdhsa_exception_fp_ieee_overflow 0
		.amdhsa_exception_fp_ieee_underflow 0
		.amdhsa_exception_fp_ieee_inexact 0
		.amdhsa_exception_int_div_zero 0
	.end_amdhsa_kernel
	.section	.text._ZN7rocprim17ROCPRIM_400000_NS6detail17trampoline_kernelINS0_14default_configENS1_35radix_sort_onesweep_config_selectorIsNS0_10empty_typeEEEZNS1_34radix_sort_onesweep_global_offsetsIS3_Lb0EPKsPS5_mNS0_19identity_decomposerEEE10hipError_tT1_T2_PT3_SF_jT4_jjP12ihipStream_tbEUlT_E0_NS1_11comp_targetILNS1_3genE4ELNS1_11target_archE910ELNS1_3gpuE8ELNS1_3repE0EEENS1_52radix_sort_onesweep_histogram_config_static_selectorELNS0_4arch9wavefront6targetE0EEEvSD_,"axG",@progbits,_ZN7rocprim17ROCPRIM_400000_NS6detail17trampoline_kernelINS0_14default_configENS1_35radix_sort_onesweep_config_selectorIsNS0_10empty_typeEEEZNS1_34radix_sort_onesweep_global_offsetsIS3_Lb0EPKsPS5_mNS0_19identity_decomposerEEE10hipError_tT1_T2_PT3_SF_jT4_jjP12ihipStream_tbEUlT_E0_NS1_11comp_targetILNS1_3genE4ELNS1_11target_archE910ELNS1_3gpuE8ELNS1_3repE0EEENS1_52radix_sort_onesweep_histogram_config_static_selectorELNS0_4arch9wavefront6targetE0EEEvSD_,comdat
.Lfunc_end708:
	.size	_ZN7rocprim17ROCPRIM_400000_NS6detail17trampoline_kernelINS0_14default_configENS1_35radix_sort_onesweep_config_selectorIsNS0_10empty_typeEEEZNS1_34radix_sort_onesweep_global_offsetsIS3_Lb0EPKsPS5_mNS0_19identity_decomposerEEE10hipError_tT1_T2_PT3_SF_jT4_jjP12ihipStream_tbEUlT_E0_NS1_11comp_targetILNS1_3genE4ELNS1_11target_archE910ELNS1_3gpuE8ELNS1_3repE0EEENS1_52radix_sort_onesweep_histogram_config_static_selectorELNS0_4arch9wavefront6targetE0EEEvSD_, .Lfunc_end708-_ZN7rocprim17ROCPRIM_400000_NS6detail17trampoline_kernelINS0_14default_configENS1_35radix_sort_onesweep_config_selectorIsNS0_10empty_typeEEEZNS1_34radix_sort_onesweep_global_offsetsIS3_Lb0EPKsPS5_mNS0_19identity_decomposerEEE10hipError_tT1_T2_PT3_SF_jT4_jjP12ihipStream_tbEUlT_E0_NS1_11comp_targetILNS1_3genE4ELNS1_11target_archE910ELNS1_3gpuE8ELNS1_3repE0EEENS1_52radix_sort_onesweep_histogram_config_static_selectorELNS0_4arch9wavefront6targetE0EEEvSD_
                                        ; -- End function
	.set _ZN7rocprim17ROCPRIM_400000_NS6detail17trampoline_kernelINS0_14default_configENS1_35radix_sort_onesweep_config_selectorIsNS0_10empty_typeEEEZNS1_34radix_sort_onesweep_global_offsetsIS3_Lb0EPKsPS5_mNS0_19identity_decomposerEEE10hipError_tT1_T2_PT3_SF_jT4_jjP12ihipStream_tbEUlT_E0_NS1_11comp_targetILNS1_3genE4ELNS1_11target_archE910ELNS1_3gpuE8ELNS1_3repE0EEENS1_52radix_sort_onesweep_histogram_config_static_selectorELNS0_4arch9wavefront6targetE0EEEvSD_.num_vgpr, 0
	.set _ZN7rocprim17ROCPRIM_400000_NS6detail17trampoline_kernelINS0_14default_configENS1_35radix_sort_onesweep_config_selectorIsNS0_10empty_typeEEEZNS1_34radix_sort_onesweep_global_offsetsIS3_Lb0EPKsPS5_mNS0_19identity_decomposerEEE10hipError_tT1_T2_PT3_SF_jT4_jjP12ihipStream_tbEUlT_E0_NS1_11comp_targetILNS1_3genE4ELNS1_11target_archE910ELNS1_3gpuE8ELNS1_3repE0EEENS1_52radix_sort_onesweep_histogram_config_static_selectorELNS0_4arch9wavefront6targetE0EEEvSD_.num_agpr, 0
	.set _ZN7rocprim17ROCPRIM_400000_NS6detail17trampoline_kernelINS0_14default_configENS1_35radix_sort_onesweep_config_selectorIsNS0_10empty_typeEEEZNS1_34radix_sort_onesweep_global_offsetsIS3_Lb0EPKsPS5_mNS0_19identity_decomposerEEE10hipError_tT1_T2_PT3_SF_jT4_jjP12ihipStream_tbEUlT_E0_NS1_11comp_targetILNS1_3genE4ELNS1_11target_archE910ELNS1_3gpuE8ELNS1_3repE0EEENS1_52radix_sort_onesweep_histogram_config_static_selectorELNS0_4arch9wavefront6targetE0EEEvSD_.numbered_sgpr, 0
	.set _ZN7rocprim17ROCPRIM_400000_NS6detail17trampoline_kernelINS0_14default_configENS1_35radix_sort_onesweep_config_selectorIsNS0_10empty_typeEEEZNS1_34radix_sort_onesweep_global_offsetsIS3_Lb0EPKsPS5_mNS0_19identity_decomposerEEE10hipError_tT1_T2_PT3_SF_jT4_jjP12ihipStream_tbEUlT_E0_NS1_11comp_targetILNS1_3genE4ELNS1_11target_archE910ELNS1_3gpuE8ELNS1_3repE0EEENS1_52radix_sort_onesweep_histogram_config_static_selectorELNS0_4arch9wavefront6targetE0EEEvSD_.num_named_barrier, 0
	.set _ZN7rocprim17ROCPRIM_400000_NS6detail17trampoline_kernelINS0_14default_configENS1_35radix_sort_onesweep_config_selectorIsNS0_10empty_typeEEEZNS1_34radix_sort_onesweep_global_offsetsIS3_Lb0EPKsPS5_mNS0_19identity_decomposerEEE10hipError_tT1_T2_PT3_SF_jT4_jjP12ihipStream_tbEUlT_E0_NS1_11comp_targetILNS1_3genE4ELNS1_11target_archE910ELNS1_3gpuE8ELNS1_3repE0EEENS1_52radix_sort_onesweep_histogram_config_static_selectorELNS0_4arch9wavefront6targetE0EEEvSD_.private_seg_size, 0
	.set _ZN7rocprim17ROCPRIM_400000_NS6detail17trampoline_kernelINS0_14default_configENS1_35radix_sort_onesweep_config_selectorIsNS0_10empty_typeEEEZNS1_34radix_sort_onesweep_global_offsetsIS3_Lb0EPKsPS5_mNS0_19identity_decomposerEEE10hipError_tT1_T2_PT3_SF_jT4_jjP12ihipStream_tbEUlT_E0_NS1_11comp_targetILNS1_3genE4ELNS1_11target_archE910ELNS1_3gpuE8ELNS1_3repE0EEENS1_52radix_sort_onesweep_histogram_config_static_selectorELNS0_4arch9wavefront6targetE0EEEvSD_.uses_vcc, 0
	.set _ZN7rocprim17ROCPRIM_400000_NS6detail17trampoline_kernelINS0_14default_configENS1_35radix_sort_onesweep_config_selectorIsNS0_10empty_typeEEEZNS1_34radix_sort_onesweep_global_offsetsIS3_Lb0EPKsPS5_mNS0_19identity_decomposerEEE10hipError_tT1_T2_PT3_SF_jT4_jjP12ihipStream_tbEUlT_E0_NS1_11comp_targetILNS1_3genE4ELNS1_11target_archE910ELNS1_3gpuE8ELNS1_3repE0EEENS1_52radix_sort_onesweep_histogram_config_static_selectorELNS0_4arch9wavefront6targetE0EEEvSD_.uses_flat_scratch, 0
	.set _ZN7rocprim17ROCPRIM_400000_NS6detail17trampoline_kernelINS0_14default_configENS1_35radix_sort_onesweep_config_selectorIsNS0_10empty_typeEEEZNS1_34radix_sort_onesweep_global_offsetsIS3_Lb0EPKsPS5_mNS0_19identity_decomposerEEE10hipError_tT1_T2_PT3_SF_jT4_jjP12ihipStream_tbEUlT_E0_NS1_11comp_targetILNS1_3genE4ELNS1_11target_archE910ELNS1_3gpuE8ELNS1_3repE0EEENS1_52radix_sort_onesweep_histogram_config_static_selectorELNS0_4arch9wavefront6targetE0EEEvSD_.has_dyn_sized_stack, 0
	.set _ZN7rocprim17ROCPRIM_400000_NS6detail17trampoline_kernelINS0_14default_configENS1_35radix_sort_onesweep_config_selectorIsNS0_10empty_typeEEEZNS1_34radix_sort_onesweep_global_offsetsIS3_Lb0EPKsPS5_mNS0_19identity_decomposerEEE10hipError_tT1_T2_PT3_SF_jT4_jjP12ihipStream_tbEUlT_E0_NS1_11comp_targetILNS1_3genE4ELNS1_11target_archE910ELNS1_3gpuE8ELNS1_3repE0EEENS1_52radix_sort_onesweep_histogram_config_static_selectorELNS0_4arch9wavefront6targetE0EEEvSD_.has_recursion, 0
	.set _ZN7rocprim17ROCPRIM_400000_NS6detail17trampoline_kernelINS0_14default_configENS1_35radix_sort_onesweep_config_selectorIsNS0_10empty_typeEEEZNS1_34radix_sort_onesweep_global_offsetsIS3_Lb0EPKsPS5_mNS0_19identity_decomposerEEE10hipError_tT1_T2_PT3_SF_jT4_jjP12ihipStream_tbEUlT_E0_NS1_11comp_targetILNS1_3genE4ELNS1_11target_archE910ELNS1_3gpuE8ELNS1_3repE0EEENS1_52radix_sort_onesweep_histogram_config_static_selectorELNS0_4arch9wavefront6targetE0EEEvSD_.has_indirect_call, 0
	.section	.AMDGPU.csdata,"",@progbits
; Kernel info:
; codeLenInByte = 0
; TotalNumSgprs: 0
; NumVgprs: 0
; ScratchSize: 0
; MemoryBound: 0
; FloatMode: 240
; IeeeMode: 1
; LDSByteSize: 0 bytes/workgroup (compile time only)
; SGPRBlocks: 0
; VGPRBlocks: 0
; NumSGPRsForWavesPerEU: 1
; NumVGPRsForWavesPerEU: 1
; NamedBarCnt: 0
; Occupancy: 16
; WaveLimiterHint : 0
; COMPUTE_PGM_RSRC2:SCRATCH_EN: 0
; COMPUTE_PGM_RSRC2:USER_SGPR: 2
; COMPUTE_PGM_RSRC2:TRAP_HANDLER: 0
; COMPUTE_PGM_RSRC2:TGID_X_EN: 1
; COMPUTE_PGM_RSRC2:TGID_Y_EN: 0
; COMPUTE_PGM_RSRC2:TGID_Z_EN: 0
; COMPUTE_PGM_RSRC2:TIDIG_COMP_CNT: 0
	.section	.text._ZN7rocprim17ROCPRIM_400000_NS6detail17trampoline_kernelINS0_14default_configENS1_35radix_sort_onesweep_config_selectorIsNS0_10empty_typeEEEZNS1_34radix_sort_onesweep_global_offsetsIS3_Lb0EPKsPS5_mNS0_19identity_decomposerEEE10hipError_tT1_T2_PT3_SF_jT4_jjP12ihipStream_tbEUlT_E0_NS1_11comp_targetILNS1_3genE3ELNS1_11target_archE908ELNS1_3gpuE7ELNS1_3repE0EEENS1_52radix_sort_onesweep_histogram_config_static_selectorELNS0_4arch9wavefront6targetE0EEEvSD_,"axG",@progbits,_ZN7rocprim17ROCPRIM_400000_NS6detail17trampoline_kernelINS0_14default_configENS1_35radix_sort_onesweep_config_selectorIsNS0_10empty_typeEEEZNS1_34radix_sort_onesweep_global_offsetsIS3_Lb0EPKsPS5_mNS0_19identity_decomposerEEE10hipError_tT1_T2_PT3_SF_jT4_jjP12ihipStream_tbEUlT_E0_NS1_11comp_targetILNS1_3genE3ELNS1_11target_archE908ELNS1_3gpuE7ELNS1_3repE0EEENS1_52radix_sort_onesweep_histogram_config_static_selectorELNS0_4arch9wavefront6targetE0EEEvSD_,comdat
	.protected	_ZN7rocprim17ROCPRIM_400000_NS6detail17trampoline_kernelINS0_14default_configENS1_35radix_sort_onesweep_config_selectorIsNS0_10empty_typeEEEZNS1_34radix_sort_onesweep_global_offsetsIS3_Lb0EPKsPS5_mNS0_19identity_decomposerEEE10hipError_tT1_T2_PT3_SF_jT4_jjP12ihipStream_tbEUlT_E0_NS1_11comp_targetILNS1_3genE3ELNS1_11target_archE908ELNS1_3gpuE7ELNS1_3repE0EEENS1_52radix_sort_onesweep_histogram_config_static_selectorELNS0_4arch9wavefront6targetE0EEEvSD_ ; -- Begin function _ZN7rocprim17ROCPRIM_400000_NS6detail17trampoline_kernelINS0_14default_configENS1_35radix_sort_onesweep_config_selectorIsNS0_10empty_typeEEEZNS1_34radix_sort_onesweep_global_offsetsIS3_Lb0EPKsPS5_mNS0_19identity_decomposerEEE10hipError_tT1_T2_PT3_SF_jT4_jjP12ihipStream_tbEUlT_E0_NS1_11comp_targetILNS1_3genE3ELNS1_11target_archE908ELNS1_3gpuE7ELNS1_3repE0EEENS1_52radix_sort_onesweep_histogram_config_static_selectorELNS0_4arch9wavefront6targetE0EEEvSD_
	.globl	_ZN7rocprim17ROCPRIM_400000_NS6detail17trampoline_kernelINS0_14default_configENS1_35radix_sort_onesweep_config_selectorIsNS0_10empty_typeEEEZNS1_34radix_sort_onesweep_global_offsetsIS3_Lb0EPKsPS5_mNS0_19identity_decomposerEEE10hipError_tT1_T2_PT3_SF_jT4_jjP12ihipStream_tbEUlT_E0_NS1_11comp_targetILNS1_3genE3ELNS1_11target_archE908ELNS1_3gpuE7ELNS1_3repE0EEENS1_52radix_sort_onesweep_histogram_config_static_selectorELNS0_4arch9wavefront6targetE0EEEvSD_
	.p2align	8
	.type	_ZN7rocprim17ROCPRIM_400000_NS6detail17trampoline_kernelINS0_14default_configENS1_35radix_sort_onesweep_config_selectorIsNS0_10empty_typeEEEZNS1_34radix_sort_onesweep_global_offsetsIS3_Lb0EPKsPS5_mNS0_19identity_decomposerEEE10hipError_tT1_T2_PT3_SF_jT4_jjP12ihipStream_tbEUlT_E0_NS1_11comp_targetILNS1_3genE3ELNS1_11target_archE908ELNS1_3gpuE7ELNS1_3repE0EEENS1_52radix_sort_onesweep_histogram_config_static_selectorELNS0_4arch9wavefront6targetE0EEEvSD_,@function
_ZN7rocprim17ROCPRIM_400000_NS6detail17trampoline_kernelINS0_14default_configENS1_35radix_sort_onesweep_config_selectorIsNS0_10empty_typeEEEZNS1_34radix_sort_onesweep_global_offsetsIS3_Lb0EPKsPS5_mNS0_19identity_decomposerEEE10hipError_tT1_T2_PT3_SF_jT4_jjP12ihipStream_tbEUlT_E0_NS1_11comp_targetILNS1_3genE3ELNS1_11target_archE908ELNS1_3gpuE7ELNS1_3repE0EEENS1_52radix_sort_onesweep_histogram_config_static_selectorELNS0_4arch9wavefront6targetE0EEEvSD_: ; @_ZN7rocprim17ROCPRIM_400000_NS6detail17trampoline_kernelINS0_14default_configENS1_35radix_sort_onesweep_config_selectorIsNS0_10empty_typeEEEZNS1_34radix_sort_onesweep_global_offsetsIS3_Lb0EPKsPS5_mNS0_19identity_decomposerEEE10hipError_tT1_T2_PT3_SF_jT4_jjP12ihipStream_tbEUlT_E0_NS1_11comp_targetILNS1_3genE3ELNS1_11target_archE908ELNS1_3gpuE7ELNS1_3repE0EEENS1_52radix_sort_onesweep_histogram_config_static_selectorELNS0_4arch9wavefront6targetE0EEEvSD_
; %bb.0:
	.section	.rodata,"a",@progbits
	.p2align	6, 0x0
	.amdhsa_kernel _ZN7rocprim17ROCPRIM_400000_NS6detail17trampoline_kernelINS0_14default_configENS1_35radix_sort_onesweep_config_selectorIsNS0_10empty_typeEEEZNS1_34radix_sort_onesweep_global_offsetsIS3_Lb0EPKsPS5_mNS0_19identity_decomposerEEE10hipError_tT1_T2_PT3_SF_jT4_jjP12ihipStream_tbEUlT_E0_NS1_11comp_targetILNS1_3genE3ELNS1_11target_archE908ELNS1_3gpuE7ELNS1_3repE0EEENS1_52radix_sort_onesweep_histogram_config_static_selectorELNS0_4arch9wavefront6targetE0EEEvSD_
		.amdhsa_group_segment_fixed_size 0
		.amdhsa_private_segment_fixed_size 0
		.amdhsa_kernarg_size 8
		.amdhsa_user_sgpr_count 2
		.amdhsa_user_sgpr_dispatch_ptr 0
		.amdhsa_user_sgpr_queue_ptr 0
		.amdhsa_user_sgpr_kernarg_segment_ptr 1
		.amdhsa_user_sgpr_dispatch_id 0
		.amdhsa_user_sgpr_kernarg_preload_length 0
		.amdhsa_user_sgpr_kernarg_preload_offset 0
		.amdhsa_user_sgpr_private_segment_size 0
		.amdhsa_wavefront_size32 1
		.amdhsa_uses_dynamic_stack 0
		.amdhsa_enable_private_segment 0
		.amdhsa_system_sgpr_workgroup_id_x 1
		.amdhsa_system_sgpr_workgroup_id_y 0
		.amdhsa_system_sgpr_workgroup_id_z 0
		.amdhsa_system_sgpr_workgroup_info 0
		.amdhsa_system_vgpr_workitem_id 0
		.amdhsa_next_free_vgpr 1
		.amdhsa_next_free_sgpr 1
		.amdhsa_named_barrier_count 0
		.amdhsa_reserve_vcc 0
		.amdhsa_float_round_mode_32 0
		.amdhsa_float_round_mode_16_64 0
		.amdhsa_float_denorm_mode_32 3
		.amdhsa_float_denorm_mode_16_64 3
		.amdhsa_fp16_overflow 0
		.amdhsa_memory_ordered 1
		.amdhsa_forward_progress 1
		.amdhsa_inst_pref_size 0
		.amdhsa_round_robin_scheduling 0
		.amdhsa_exception_fp_ieee_invalid_op 0
		.amdhsa_exception_fp_denorm_src 0
		.amdhsa_exception_fp_ieee_div_zero 0
		.amdhsa_exception_fp_ieee_overflow 0
		.amdhsa_exception_fp_ieee_underflow 0
		.amdhsa_exception_fp_ieee_inexact 0
		.amdhsa_exception_int_div_zero 0
	.end_amdhsa_kernel
	.section	.text._ZN7rocprim17ROCPRIM_400000_NS6detail17trampoline_kernelINS0_14default_configENS1_35radix_sort_onesweep_config_selectorIsNS0_10empty_typeEEEZNS1_34radix_sort_onesweep_global_offsetsIS3_Lb0EPKsPS5_mNS0_19identity_decomposerEEE10hipError_tT1_T2_PT3_SF_jT4_jjP12ihipStream_tbEUlT_E0_NS1_11comp_targetILNS1_3genE3ELNS1_11target_archE908ELNS1_3gpuE7ELNS1_3repE0EEENS1_52radix_sort_onesweep_histogram_config_static_selectorELNS0_4arch9wavefront6targetE0EEEvSD_,"axG",@progbits,_ZN7rocprim17ROCPRIM_400000_NS6detail17trampoline_kernelINS0_14default_configENS1_35radix_sort_onesweep_config_selectorIsNS0_10empty_typeEEEZNS1_34radix_sort_onesweep_global_offsetsIS3_Lb0EPKsPS5_mNS0_19identity_decomposerEEE10hipError_tT1_T2_PT3_SF_jT4_jjP12ihipStream_tbEUlT_E0_NS1_11comp_targetILNS1_3genE3ELNS1_11target_archE908ELNS1_3gpuE7ELNS1_3repE0EEENS1_52radix_sort_onesweep_histogram_config_static_selectorELNS0_4arch9wavefront6targetE0EEEvSD_,comdat
.Lfunc_end709:
	.size	_ZN7rocprim17ROCPRIM_400000_NS6detail17trampoline_kernelINS0_14default_configENS1_35radix_sort_onesweep_config_selectorIsNS0_10empty_typeEEEZNS1_34radix_sort_onesweep_global_offsetsIS3_Lb0EPKsPS5_mNS0_19identity_decomposerEEE10hipError_tT1_T2_PT3_SF_jT4_jjP12ihipStream_tbEUlT_E0_NS1_11comp_targetILNS1_3genE3ELNS1_11target_archE908ELNS1_3gpuE7ELNS1_3repE0EEENS1_52radix_sort_onesweep_histogram_config_static_selectorELNS0_4arch9wavefront6targetE0EEEvSD_, .Lfunc_end709-_ZN7rocprim17ROCPRIM_400000_NS6detail17trampoline_kernelINS0_14default_configENS1_35radix_sort_onesweep_config_selectorIsNS0_10empty_typeEEEZNS1_34radix_sort_onesweep_global_offsetsIS3_Lb0EPKsPS5_mNS0_19identity_decomposerEEE10hipError_tT1_T2_PT3_SF_jT4_jjP12ihipStream_tbEUlT_E0_NS1_11comp_targetILNS1_3genE3ELNS1_11target_archE908ELNS1_3gpuE7ELNS1_3repE0EEENS1_52radix_sort_onesweep_histogram_config_static_selectorELNS0_4arch9wavefront6targetE0EEEvSD_
                                        ; -- End function
	.set _ZN7rocprim17ROCPRIM_400000_NS6detail17trampoline_kernelINS0_14default_configENS1_35radix_sort_onesweep_config_selectorIsNS0_10empty_typeEEEZNS1_34radix_sort_onesweep_global_offsetsIS3_Lb0EPKsPS5_mNS0_19identity_decomposerEEE10hipError_tT1_T2_PT3_SF_jT4_jjP12ihipStream_tbEUlT_E0_NS1_11comp_targetILNS1_3genE3ELNS1_11target_archE908ELNS1_3gpuE7ELNS1_3repE0EEENS1_52radix_sort_onesweep_histogram_config_static_selectorELNS0_4arch9wavefront6targetE0EEEvSD_.num_vgpr, 0
	.set _ZN7rocprim17ROCPRIM_400000_NS6detail17trampoline_kernelINS0_14default_configENS1_35radix_sort_onesweep_config_selectorIsNS0_10empty_typeEEEZNS1_34radix_sort_onesweep_global_offsetsIS3_Lb0EPKsPS5_mNS0_19identity_decomposerEEE10hipError_tT1_T2_PT3_SF_jT4_jjP12ihipStream_tbEUlT_E0_NS1_11comp_targetILNS1_3genE3ELNS1_11target_archE908ELNS1_3gpuE7ELNS1_3repE0EEENS1_52radix_sort_onesweep_histogram_config_static_selectorELNS0_4arch9wavefront6targetE0EEEvSD_.num_agpr, 0
	.set _ZN7rocprim17ROCPRIM_400000_NS6detail17trampoline_kernelINS0_14default_configENS1_35radix_sort_onesweep_config_selectorIsNS0_10empty_typeEEEZNS1_34radix_sort_onesweep_global_offsetsIS3_Lb0EPKsPS5_mNS0_19identity_decomposerEEE10hipError_tT1_T2_PT3_SF_jT4_jjP12ihipStream_tbEUlT_E0_NS1_11comp_targetILNS1_3genE3ELNS1_11target_archE908ELNS1_3gpuE7ELNS1_3repE0EEENS1_52radix_sort_onesweep_histogram_config_static_selectorELNS0_4arch9wavefront6targetE0EEEvSD_.numbered_sgpr, 0
	.set _ZN7rocprim17ROCPRIM_400000_NS6detail17trampoline_kernelINS0_14default_configENS1_35radix_sort_onesweep_config_selectorIsNS0_10empty_typeEEEZNS1_34radix_sort_onesweep_global_offsetsIS3_Lb0EPKsPS5_mNS0_19identity_decomposerEEE10hipError_tT1_T2_PT3_SF_jT4_jjP12ihipStream_tbEUlT_E0_NS1_11comp_targetILNS1_3genE3ELNS1_11target_archE908ELNS1_3gpuE7ELNS1_3repE0EEENS1_52radix_sort_onesweep_histogram_config_static_selectorELNS0_4arch9wavefront6targetE0EEEvSD_.num_named_barrier, 0
	.set _ZN7rocprim17ROCPRIM_400000_NS6detail17trampoline_kernelINS0_14default_configENS1_35radix_sort_onesweep_config_selectorIsNS0_10empty_typeEEEZNS1_34radix_sort_onesweep_global_offsetsIS3_Lb0EPKsPS5_mNS0_19identity_decomposerEEE10hipError_tT1_T2_PT3_SF_jT4_jjP12ihipStream_tbEUlT_E0_NS1_11comp_targetILNS1_3genE3ELNS1_11target_archE908ELNS1_3gpuE7ELNS1_3repE0EEENS1_52radix_sort_onesweep_histogram_config_static_selectorELNS0_4arch9wavefront6targetE0EEEvSD_.private_seg_size, 0
	.set _ZN7rocprim17ROCPRIM_400000_NS6detail17trampoline_kernelINS0_14default_configENS1_35radix_sort_onesweep_config_selectorIsNS0_10empty_typeEEEZNS1_34radix_sort_onesweep_global_offsetsIS3_Lb0EPKsPS5_mNS0_19identity_decomposerEEE10hipError_tT1_T2_PT3_SF_jT4_jjP12ihipStream_tbEUlT_E0_NS1_11comp_targetILNS1_3genE3ELNS1_11target_archE908ELNS1_3gpuE7ELNS1_3repE0EEENS1_52radix_sort_onesweep_histogram_config_static_selectorELNS0_4arch9wavefront6targetE0EEEvSD_.uses_vcc, 0
	.set _ZN7rocprim17ROCPRIM_400000_NS6detail17trampoline_kernelINS0_14default_configENS1_35radix_sort_onesweep_config_selectorIsNS0_10empty_typeEEEZNS1_34radix_sort_onesweep_global_offsetsIS3_Lb0EPKsPS5_mNS0_19identity_decomposerEEE10hipError_tT1_T2_PT3_SF_jT4_jjP12ihipStream_tbEUlT_E0_NS1_11comp_targetILNS1_3genE3ELNS1_11target_archE908ELNS1_3gpuE7ELNS1_3repE0EEENS1_52radix_sort_onesweep_histogram_config_static_selectorELNS0_4arch9wavefront6targetE0EEEvSD_.uses_flat_scratch, 0
	.set _ZN7rocprim17ROCPRIM_400000_NS6detail17trampoline_kernelINS0_14default_configENS1_35radix_sort_onesweep_config_selectorIsNS0_10empty_typeEEEZNS1_34radix_sort_onesweep_global_offsetsIS3_Lb0EPKsPS5_mNS0_19identity_decomposerEEE10hipError_tT1_T2_PT3_SF_jT4_jjP12ihipStream_tbEUlT_E0_NS1_11comp_targetILNS1_3genE3ELNS1_11target_archE908ELNS1_3gpuE7ELNS1_3repE0EEENS1_52radix_sort_onesweep_histogram_config_static_selectorELNS0_4arch9wavefront6targetE0EEEvSD_.has_dyn_sized_stack, 0
	.set _ZN7rocprim17ROCPRIM_400000_NS6detail17trampoline_kernelINS0_14default_configENS1_35radix_sort_onesweep_config_selectorIsNS0_10empty_typeEEEZNS1_34radix_sort_onesweep_global_offsetsIS3_Lb0EPKsPS5_mNS0_19identity_decomposerEEE10hipError_tT1_T2_PT3_SF_jT4_jjP12ihipStream_tbEUlT_E0_NS1_11comp_targetILNS1_3genE3ELNS1_11target_archE908ELNS1_3gpuE7ELNS1_3repE0EEENS1_52radix_sort_onesweep_histogram_config_static_selectorELNS0_4arch9wavefront6targetE0EEEvSD_.has_recursion, 0
	.set _ZN7rocprim17ROCPRIM_400000_NS6detail17trampoline_kernelINS0_14default_configENS1_35radix_sort_onesweep_config_selectorIsNS0_10empty_typeEEEZNS1_34radix_sort_onesweep_global_offsetsIS3_Lb0EPKsPS5_mNS0_19identity_decomposerEEE10hipError_tT1_T2_PT3_SF_jT4_jjP12ihipStream_tbEUlT_E0_NS1_11comp_targetILNS1_3genE3ELNS1_11target_archE908ELNS1_3gpuE7ELNS1_3repE0EEENS1_52radix_sort_onesweep_histogram_config_static_selectorELNS0_4arch9wavefront6targetE0EEEvSD_.has_indirect_call, 0
	.section	.AMDGPU.csdata,"",@progbits
; Kernel info:
; codeLenInByte = 0
; TotalNumSgprs: 0
; NumVgprs: 0
; ScratchSize: 0
; MemoryBound: 0
; FloatMode: 240
; IeeeMode: 1
; LDSByteSize: 0 bytes/workgroup (compile time only)
; SGPRBlocks: 0
; VGPRBlocks: 0
; NumSGPRsForWavesPerEU: 1
; NumVGPRsForWavesPerEU: 1
; NamedBarCnt: 0
; Occupancy: 16
; WaveLimiterHint : 0
; COMPUTE_PGM_RSRC2:SCRATCH_EN: 0
; COMPUTE_PGM_RSRC2:USER_SGPR: 2
; COMPUTE_PGM_RSRC2:TRAP_HANDLER: 0
; COMPUTE_PGM_RSRC2:TGID_X_EN: 1
; COMPUTE_PGM_RSRC2:TGID_Y_EN: 0
; COMPUTE_PGM_RSRC2:TGID_Z_EN: 0
; COMPUTE_PGM_RSRC2:TIDIG_COMP_CNT: 0
	.section	.text._ZN7rocprim17ROCPRIM_400000_NS6detail17trampoline_kernelINS0_14default_configENS1_35radix_sort_onesweep_config_selectorIsNS0_10empty_typeEEEZNS1_34radix_sort_onesweep_global_offsetsIS3_Lb0EPKsPS5_mNS0_19identity_decomposerEEE10hipError_tT1_T2_PT3_SF_jT4_jjP12ihipStream_tbEUlT_E0_NS1_11comp_targetILNS1_3genE10ELNS1_11target_archE1201ELNS1_3gpuE5ELNS1_3repE0EEENS1_52radix_sort_onesweep_histogram_config_static_selectorELNS0_4arch9wavefront6targetE0EEEvSD_,"axG",@progbits,_ZN7rocprim17ROCPRIM_400000_NS6detail17trampoline_kernelINS0_14default_configENS1_35radix_sort_onesweep_config_selectorIsNS0_10empty_typeEEEZNS1_34radix_sort_onesweep_global_offsetsIS3_Lb0EPKsPS5_mNS0_19identity_decomposerEEE10hipError_tT1_T2_PT3_SF_jT4_jjP12ihipStream_tbEUlT_E0_NS1_11comp_targetILNS1_3genE10ELNS1_11target_archE1201ELNS1_3gpuE5ELNS1_3repE0EEENS1_52radix_sort_onesweep_histogram_config_static_selectorELNS0_4arch9wavefront6targetE0EEEvSD_,comdat
	.protected	_ZN7rocprim17ROCPRIM_400000_NS6detail17trampoline_kernelINS0_14default_configENS1_35radix_sort_onesweep_config_selectorIsNS0_10empty_typeEEEZNS1_34radix_sort_onesweep_global_offsetsIS3_Lb0EPKsPS5_mNS0_19identity_decomposerEEE10hipError_tT1_T2_PT3_SF_jT4_jjP12ihipStream_tbEUlT_E0_NS1_11comp_targetILNS1_3genE10ELNS1_11target_archE1201ELNS1_3gpuE5ELNS1_3repE0EEENS1_52radix_sort_onesweep_histogram_config_static_selectorELNS0_4arch9wavefront6targetE0EEEvSD_ ; -- Begin function _ZN7rocprim17ROCPRIM_400000_NS6detail17trampoline_kernelINS0_14default_configENS1_35radix_sort_onesweep_config_selectorIsNS0_10empty_typeEEEZNS1_34radix_sort_onesweep_global_offsetsIS3_Lb0EPKsPS5_mNS0_19identity_decomposerEEE10hipError_tT1_T2_PT3_SF_jT4_jjP12ihipStream_tbEUlT_E0_NS1_11comp_targetILNS1_3genE10ELNS1_11target_archE1201ELNS1_3gpuE5ELNS1_3repE0EEENS1_52radix_sort_onesweep_histogram_config_static_selectorELNS0_4arch9wavefront6targetE0EEEvSD_
	.globl	_ZN7rocprim17ROCPRIM_400000_NS6detail17trampoline_kernelINS0_14default_configENS1_35radix_sort_onesweep_config_selectorIsNS0_10empty_typeEEEZNS1_34radix_sort_onesweep_global_offsetsIS3_Lb0EPKsPS5_mNS0_19identity_decomposerEEE10hipError_tT1_T2_PT3_SF_jT4_jjP12ihipStream_tbEUlT_E0_NS1_11comp_targetILNS1_3genE10ELNS1_11target_archE1201ELNS1_3gpuE5ELNS1_3repE0EEENS1_52radix_sort_onesweep_histogram_config_static_selectorELNS0_4arch9wavefront6targetE0EEEvSD_
	.p2align	8
	.type	_ZN7rocprim17ROCPRIM_400000_NS6detail17trampoline_kernelINS0_14default_configENS1_35radix_sort_onesweep_config_selectorIsNS0_10empty_typeEEEZNS1_34radix_sort_onesweep_global_offsetsIS3_Lb0EPKsPS5_mNS0_19identity_decomposerEEE10hipError_tT1_T2_PT3_SF_jT4_jjP12ihipStream_tbEUlT_E0_NS1_11comp_targetILNS1_3genE10ELNS1_11target_archE1201ELNS1_3gpuE5ELNS1_3repE0EEENS1_52radix_sort_onesweep_histogram_config_static_selectorELNS0_4arch9wavefront6targetE0EEEvSD_,@function
_ZN7rocprim17ROCPRIM_400000_NS6detail17trampoline_kernelINS0_14default_configENS1_35radix_sort_onesweep_config_selectorIsNS0_10empty_typeEEEZNS1_34radix_sort_onesweep_global_offsetsIS3_Lb0EPKsPS5_mNS0_19identity_decomposerEEE10hipError_tT1_T2_PT3_SF_jT4_jjP12ihipStream_tbEUlT_E0_NS1_11comp_targetILNS1_3genE10ELNS1_11target_archE1201ELNS1_3gpuE5ELNS1_3repE0EEENS1_52radix_sort_onesweep_histogram_config_static_selectorELNS0_4arch9wavefront6targetE0EEEvSD_: ; @_ZN7rocprim17ROCPRIM_400000_NS6detail17trampoline_kernelINS0_14default_configENS1_35radix_sort_onesweep_config_selectorIsNS0_10empty_typeEEEZNS1_34radix_sort_onesweep_global_offsetsIS3_Lb0EPKsPS5_mNS0_19identity_decomposerEEE10hipError_tT1_T2_PT3_SF_jT4_jjP12ihipStream_tbEUlT_E0_NS1_11comp_targetILNS1_3genE10ELNS1_11target_archE1201ELNS1_3gpuE5ELNS1_3repE0EEENS1_52radix_sort_onesweep_histogram_config_static_selectorELNS0_4arch9wavefront6targetE0EEEvSD_
; %bb.0:
	.section	.rodata,"a",@progbits
	.p2align	6, 0x0
	.amdhsa_kernel _ZN7rocprim17ROCPRIM_400000_NS6detail17trampoline_kernelINS0_14default_configENS1_35radix_sort_onesweep_config_selectorIsNS0_10empty_typeEEEZNS1_34radix_sort_onesweep_global_offsetsIS3_Lb0EPKsPS5_mNS0_19identity_decomposerEEE10hipError_tT1_T2_PT3_SF_jT4_jjP12ihipStream_tbEUlT_E0_NS1_11comp_targetILNS1_3genE10ELNS1_11target_archE1201ELNS1_3gpuE5ELNS1_3repE0EEENS1_52radix_sort_onesweep_histogram_config_static_selectorELNS0_4arch9wavefront6targetE0EEEvSD_
		.amdhsa_group_segment_fixed_size 0
		.amdhsa_private_segment_fixed_size 0
		.amdhsa_kernarg_size 8
		.amdhsa_user_sgpr_count 2
		.amdhsa_user_sgpr_dispatch_ptr 0
		.amdhsa_user_sgpr_queue_ptr 0
		.amdhsa_user_sgpr_kernarg_segment_ptr 1
		.amdhsa_user_sgpr_dispatch_id 0
		.amdhsa_user_sgpr_kernarg_preload_length 0
		.amdhsa_user_sgpr_kernarg_preload_offset 0
		.amdhsa_user_sgpr_private_segment_size 0
		.amdhsa_wavefront_size32 1
		.amdhsa_uses_dynamic_stack 0
		.amdhsa_enable_private_segment 0
		.amdhsa_system_sgpr_workgroup_id_x 1
		.amdhsa_system_sgpr_workgroup_id_y 0
		.amdhsa_system_sgpr_workgroup_id_z 0
		.amdhsa_system_sgpr_workgroup_info 0
		.amdhsa_system_vgpr_workitem_id 0
		.amdhsa_next_free_vgpr 1
		.amdhsa_next_free_sgpr 1
		.amdhsa_named_barrier_count 0
		.amdhsa_reserve_vcc 0
		.amdhsa_float_round_mode_32 0
		.amdhsa_float_round_mode_16_64 0
		.amdhsa_float_denorm_mode_32 3
		.amdhsa_float_denorm_mode_16_64 3
		.amdhsa_fp16_overflow 0
		.amdhsa_memory_ordered 1
		.amdhsa_forward_progress 1
		.amdhsa_inst_pref_size 0
		.amdhsa_round_robin_scheduling 0
		.amdhsa_exception_fp_ieee_invalid_op 0
		.amdhsa_exception_fp_denorm_src 0
		.amdhsa_exception_fp_ieee_div_zero 0
		.amdhsa_exception_fp_ieee_overflow 0
		.amdhsa_exception_fp_ieee_underflow 0
		.amdhsa_exception_fp_ieee_inexact 0
		.amdhsa_exception_int_div_zero 0
	.end_amdhsa_kernel
	.section	.text._ZN7rocprim17ROCPRIM_400000_NS6detail17trampoline_kernelINS0_14default_configENS1_35radix_sort_onesweep_config_selectorIsNS0_10empty_typeEEEZNS1_34radix_sort_onesweep_global_offsetsIS3_Lb0EPKsPS5_mNS0_19identity_decomposerEEE10hipError_tT1_T2_PT3_SF_jT4_jjP12ihipStream_tbEUlT_E0_NS1_11comp_targetILNS1_3genE10ELNS1_11target_archE1201ELNS1_3gpuE5ELNS1_3repE0EEENS1_52radix_sort_onesweep_histogram_config_static_selectorELNS0_4arch9wavefront6targetE0EEEvSD_,"axG",@progbits,_ZN7rocprim17ROCPRIM_400000_NS6detail17trampoline_kernelINS0_14default_configENS1_35radix_sort_onesweep_config_selectorIsNS0_10empty_typeEEEZNS1_34radix_sort_onesweep_global_offsetsIS3_Lb0EPKsPS5_mNS0_19identity_decomposerEEE10hipError_tT1_T2_PT3_SF_jT4_jjP12ihipStream_tbEUlT_E0_NS1_11comp_targetILNS1_3genE10ELNS1_11target_archE1201ELNS1_3gpuE5ELNS1_3repE0EEENS1_52radix_sort_onesweep_histogram_config_static_selectorELNS0_4arch9wavefront6targetE0EEEvSD_,comdat
.Lfunc_end710:
	.size	_ZN7rocprim17ROCPRIM_400000_NS6detail17trampoline_kernelINS0_14default_configENS1_35radix_sort_onesweep_config_selectorIsNS0_10empty_typeEEEZNS1_34radix_sort_onesweep_global_offsetsIS3_Lb0EPKsPS5_mNS0_19identity_decomposerEEE10hipError_tT1_T2_PT3_SF_jT4_jjP12ihipStream_tbEUlT_E0_NS1_11comp_targetILNS1_3genE10ELNS1_11target_archE1201ELNS1_3gpuE5ELNS1_3repE0EEENS1_52radix_sort_onesweep_histogram_config_static_selectorELNS0_4arch9wavefront6targetE0EEEvSD_, .Lfunc_end710-_ZN7rocprim17ROCPRIM_400000_NS6detail17trampoline_kernelINS0_14default_configENS1_35radix_sort_onesweep_config_selectorIsNS0_10empty_typeEEEZNS1_34radix_sort_onesweep_global_offsetsIS3_Lb0EPKsPS5_mNS0_19identity_decomposerEEE10hipError_tT1_T2_PT3_SF_jT4_jjP12ihipStream_tbEUlT_E0_NS1_11comp_targetILNS1_3genE10ELNS1_11target_archE1201ELNS1_3gpuE5ELNS1_3repE0EEENS1_52radix_sort_onesweep_histogram_config_static_selectorELNS0_4arch9wavefront6targetE0EEEvSD_
                                        ; -- End function
	.set _ZN7rocprim17ROCPRIM_400000_NS6detail17trampoline_kernelINS0_14default_configENS1_35radix_sort_onesweep_config_selectorIsNS0_10empty_typeEEEZNS1_34radix_sort_onesweep_global_offsetsIS3_Lb0EPKsPS5_mNS0_19identity_decomposerEEE10hipError_tT1_T2_PT3_SF_jT4_jjP12ihipStream_tbEUlT_E0_NS1_11comp_targetILNS1_3genE10ELNS1_11target_archE1201ELNS1_3gpuE5ELNS1_3repE0EEENS1_52radix_sort_onesweep_histogram_config_static_selectorELNS0_4arch9wavefront6targetE0EEEvSD_.num_vgpr, 0
	.set _ZN7rocprim17ROCPRIM_400000_NS6detail17trampoline_kernelINS0_14default_configENS1_35radix_sort_onesweep_config_selectorIsNS0_10empty_typeEEEZNS1_34radix_sort_onesweep_global_offsetsIS3_Lb0EPKsPS5_mNS0_19identity_decomposerEEE10hipError_tT1_T2_PT3_SF_jT4_jjP12ihipStream_tbEUlT_E0_NS1_11comp_targetILNS1_3genE10ELNS1_11target_archE1201ELNS1_3gpuE5ELNS1_3repE0EEENS1_52radix_sort_onesweep_histogram_config_static_selectorELNS0_4arch9wavefront6targetE0EEEvSD_.num_agpr, 0
	.set _ZN7rocprim17ROCPRIM_400000_NS6detail17trampoline_kernelINS0_14default_configENS1_35radix_sort_onesweep_config_selectorIsNS0_10empty_typeEEEZNS1_34radix_sort_onesweep_global_offsetsIS3_Lb0EPKsPS5_mNS0_19identity_decomposerEEE10hipError_tT1_T2_PT3_SF_jT4_jjP12ihipStream_tbEUlT_E0_NS1_11comp_targetILNS1_3genE10ELNS1_11target_archE1201ELNS1_3gpuE5ELNS1_3repE0EEENS1_52radix_sort_onesweep_histogram_config_static_selectorELNS0_4arch9wavefront6targetE0EEEvSD_.numbered_sgpr, 0
	.set _ZN7rocprim17ROCPRIM_400000_NS6detail17trampoline_kernelINS0_14default_configENS1_35radix_sort_onesweep_config_selectorIsNS0_10empty_typeEEEZNS1_34radix_sort_onesweep_global_offsetsIS3_Lb0EPKsPS5_mNS0_19identity_decomposerEEE10hipError_tT1_T2_PT3_SF_jT4_jjP12ihipStream_tbEUlT_E0_NS1_11comp_targetILNS1_3genE10ELNS1_11target_archE1201ELNS1_3gpuE5ELNS1_3repE0EEENS1_52radix_sort_onesweep_histogram_config_static_selectorELNS0_4arch9wavefront6targetE0EEEvSD_.num_named_barrier, 0
	.set _ZN7rocprim17ROCPRIM_400000_NS6detail17trampoline_kernelINS0_14default_configENS1_35radix_sort_onesweep_config_selectorIsNS0_10empty_typeEEEZNS1_34radix_sort_onesweep_global_offsetsIS3_Lb0EPKsPS5_mNS0_19identity_decomposerEEE10hipError_tT1_T2_PT3_SF_jT4_jjP12ihipStream_tbEUlT_E0_NS1_11comp_targetILNS1_3genE10ELNS1_11target_archE1201ELNS1_3gpuE5ELNS1_3repE0EEENS1_52radix_sort_onesweep_histogram_config_static_selectorELNS0_4arch9wavefront6targetE0EEEvSD_.private_seg_size, 0
	.set _ZN7rocprim17ROCPRIM_400000_NS6detail17trampoline_kernelINS0_14default_configENS1_35radix_sort_onesweep_config_selectorIsNS0_10empty_typeEEEZNS1_34radix_sort_onesweep_global_offsetsIS3_Lb0EPKsPS5_mNS0_19identity_decomposerEEE10hipError_tT1_T2_PT3_SF_jT4_jjP12ihipStream_tbEUlT_E0_NS1_11comp_targetILNS1_3genE10ELNS1_11target_archE1201ELNS1_3gpuE5ELNS1_3repE0EEENS1_52radix_sort_onesweep_histogram_config_static_selectorELNS0_4arch9wavefront6targetE0EEEvSD_.uses_vcc, 0
	.set _ZN7rocprim17ROCPRIM_400000_NS6detail17trampoline_kernelINS0_14default_configENS1_35radix_sort_onesweep_config_selectorIsNS0_10empty_typeEEEZNS1_34radix_sort_onesweep_global_offsetsIS3_Lb0EPKsPS5_mNS0_19identity_decomposerEEE10hipError_tT1_T2_PT3_SF_jT4_jjP12ihipStream_tbEUlT_E0_NS1_11comp_targetILNS1_3genE10ELNS1_11target_archE1201ELNS1_3gpuE5ELNS1_3repE0EEENS1_52radix_sort_onesweep_histogram_config_static_selectorELNS0_4arch9wavefront6targetE0EEEvSD_.uses_flat_scratch, 0
	.set _ZN7rocprim17ROCPRIM_400000_NS6detail17trampoline_kernelINS0_14default_configENS1_35radix_sort_onesweep_config_selectorIsNS0_10empty_typeEEEZNS1_34radix_sort_onesweep_global_offsetsIS3_Lb0EPKsPS5_mNS0_19identity_decomposerEEE10hipError_tT1_T2_PT3_SF_jT4_jjP12ihipStream_tbEUlT_E0_NS1_11comp_targetILNS1_3genE10ELNS1_11target_archE1201ELNS1_3gpuE5ELNS1_3repE0EEENS1_52radix_sort_onesweep_histogram_config_static_selectorELNS0_4arch9wavefront6targetE0EEEvSD_.has_dyn_sized_stack, 0
	.set _ZN7rocprim17ROCPRIM_400000_NS6detail17trampoline_kernelINS0_14default_configENS1_35radix_sort_onesweep_config_selectorIsNS0_10empty_typeEEEZNS1_34radix_sort_onesweep_global_offsetsIS3_Lb0EPKsPS5_mNS0_19identity_decomposerEEE10hipError_tT1_T2_PT3_SF_jT4_jjP12ihipStream_tbEUlT_E0_NS1_11comp_targetILNS1_3genE10ELNS1_11target_archE1201ELNS1_3gpuE5ELNS1_3repE0EEENS1_52radix_sort_onesweep_histogram_config_static_selectorELNS0_4arch9wavefront6targetE0EEEvSD_.has_recursion, 0
	.set _ZN7rocprim17ROCPRIM_400000_NS6detail17trampoline_kernelINS0_14default_configENS1_35radix_sort_onesweep_config_selectorIsNS0_10empty_typeEEEZNS1_34radix_sort_onesweep_global_offsetsIS3_Lb0EPKsPS5_mNS0_19identity_decomposerEEE10hipError_tT1_T2_PT3_SF_jT4_jjP12ihipStream_tbEUlT_E0_NS1_11comp_targetILNS1_3genE10ELNS1_11target_archE1201ELNS1_3gpuE5ELNS1_3repE0EEENS1_52radix_sort_onesweep_histogram_config_static_selectorELNS0_4arch9wavefront6targetE0EEEvSD_.has_indirect_call, 0
	.section	.AMDGPU.csdata,"",@progbits
; Kernel info:
; codeLenInByte = 0
; TotalNumSgprs: 0
; NumVgprs: 0
; ScratchSize: 0
; MemoryBound: 0
; FloatMode: 240
; IeeeMode: 1
; LDSByteSize: 0 bytes/workgroup (compile time only)
; SGPRBlocks: 0
; VGPRBlocks: 0
; NumSGPRsForWavesPerEU: 1
; NumVGPRsForWavesPerEU: 1
; NamedBarCnt: 0
; Occupancy: 16
; WaveLimiterHint : 0
; COMPUTE_PGM_RSRC2:SCRATCH_EN: 0
; COMPUTE_PGM_RSRC2:USER_SGPR: 2
; COMPUTE_PGM_RSRC2:TRAP_HANDLER: 0
; COMPUTE_PGM_RSRC2:TGID_X_EN: 1
; COMPUTE_PGM_RSRC2:TGID_Y_EN: 0
; COMPUTE_PGM_RSRC2:TGID_Z_EN: 0
; COMPUTE_PGM_RSRC2:TIDIG_COMP_CNT: 0
	.section	.text._ZN7rocprim17ROCPRIM_400000_NS6detail17trampoline_kernelINS0_14default_configENS1_35radix_sort_onesweep_config_selectorIsNS0_10empty_typeEEEZNS1_34radix_sort_onesweep_global_offsetsIS3_Lb0EPKsPS5_mNS0_19identity_decomposerEEE10hipError_tT1_T2_PT3_SF_jT4_jjP12ihipStream_tbEUlT_E0_NS1_11comp_targetILNS1_3genE9ELNS1_11target_archE1100ELNS1_3gpuE3ELNS1_3repE0EEENS1_52radix_sort_onesweep_histogram_config_static_selectorELNS0_4arch9wavefront6targetE0EEEvSD_,"axG",@progbits,_ZN7rocprim17ROCPRIM_400000_NS6detail17trampoline_kernelINS0_14default_configENS1_35radix_sort_onesweep_config_selectorIsNS0_10empty_typeEEEZNS1_34radix_sort_onesweep_global_offsetsIS3_Lb0EPKsPS5_mNS0_19identity_decomposerEEE10hipError_tT1_T2_PT3_SF_jT4_jjP12ihipStream_tbEUlT_E0_NS1_11comp_targetILNS1_3genE9ELNS1_11target_archE1100ELNS1_3gpuE3ELNS1_3repE0EEENS1_52radix_sort_onesweep_histogram_config_static_selectorELNS0_4arch9wavefront6targetE0EEEvSD_,comdat
	.protected	_ZN7rocprim17ROCPRIM_400000_NS6detail17trampoline_kernelINS0_14default_configENS1_35radix_sort_onesweep_config_selectorIsNS0_10empty_typeEEEZNS1_34radix_sort_onesweep_global_offsetsIS3_Lb0EPKsPS5_mNS0_19identity_decomposerEEE10hipError_tT1_T2_PT3_SF_jT4_jjP12ihipStream_tbEUlT_E0_NS1_11comp_targetILNS1_3genE9ELNS1_11target_archE1100ELNS1_3gpuE3ELNS1_3repE0EEENS1_52radix_sort_onesweep_histogram_config_static_selectorELNS0_4arch9wavefront6targetE0EEEvSD_ ; -- Begin function _ZN7rocprim17ROCPRIM_400000_NS6detail17trampoline_kernelINS0_14default_configENS1_35radix_sort_onesweep_config_selectorIsNS0_10empty_typeEEEZNS1_34radix_sort_onesweep_global_offsetsIS3_Lb0EPKsPS5_mNS0_19identity_decomposerEEE10hipError_tT1_T2_PT3_SF_jT4_jjP12ihipStream_tbEUlT_E0_NS1_11comp_targetILNS1_3genE9ELNS1_11target_archE1100ELNS1_3gpuE3ELNS1_3repE0EEENS1_52radix_sort_onesweep_histogram_config_static_selectorELNS0_4arch9wavefront6targetE0EEEvSD_
	.globl	_ZN7rocprim17ROCPRIM_400000_NS6detail17trampoline_kernelINS0_14default_configENS1_35radix_sort_onesweep_config_selectorIsNS0_10empty_typeEEEZNS1_34radix_sort_onesweep_global_offsetsIS3_Lb0EPKsPS5_mNS0_19identity_decomposerEEE10hipError_tT1_T2_PT3_SF_jT4_jjP12ihipStream_tbEUlT_E0_NS1_11comp_targetILNS1_3genE9ELNS1_11target_archE1100ELNS1_3gpuE3ELNS1_3repE0EEENS1_52radix_sort_onesweep_histogram_config_static_selectorELNS0_4arch9wavefront6targetE0EEEvSD_
	.p2align	8
	.type	_ZN7rocprim17ROCPRIM_400000_NS6detail17trampoline_kernelINS0_14default_configENS1_35radix_sort_onesweep_config_selectorIsNS0_10empty_typeEEEZNS1_34radix_sort_onesweep_global_offsetsIS3_Lb0EPKsPS5_mNS0_19identity_decomposerEEE10hipError_tT1_T2_PT3_SF_jT4_jjP12ihipStream_tbEUlT_E0_NS1_11comp_targetILNS1_3genE9ELNS1_11target_archE1100ELNS1_3gpuE3ELNS1_3repE0EEENS1_52radix_sort_onesweep_histogram_config_static_selectorELNS0_4arch9wavefront6targetE0EEEvSD_,@function
_ZN7rocprim17ROCPRIM_400000_NS6detail17trampoline_kernelINS0_14default_configENS1_35radix_sort_onesweep_config_selectorIsNS0_10empty_typeEEEZNS1_34radix_sort_onesweep_global_offsetsIS3_Lb0EPKsPS5_mNS0_19identity_decomposerEEE10hipError_tT1_T2_PT3_SF_jT4_jjP12ihipStream_tbEUlT_E0_NS1_11comp_targetILNS1_3genE9ELNS1_11target_archE1100ELNS1_3gpuE3ELNS1_3repE0EEENS1_52radix_sort_onesweep_histogram_config_static_selectorELNS0_4arch9wavefront6targetE0EEEvSD_: ; @_ZN7rocprim17ROCPRIM_400000_NS6detail17trampoline_kernelINS0_14default_configENS1_35radix_sort_onesweep_config_selectorIsNS0_10empty_typeEEEZNS1_34radix_sort_onesweep_global_offsetsIS3_Lb0EPKsPS5_mNS0_19identity_decomposerEEE10hipError_tT1_T2_PT3_SF_jT4_jjP12ihipStream_tbEUlT_E0_NS1_11comp_targetILNS1_3genE9ELNS1_11target_archE1100ELNS1_3gpuE3ELNS1_3repE0EEENS1_52radix_sort_onesweep_histogram_config_static_selectorELNS0_4arch9wavefront6targetE0EEEvSD_
; %bb.0:
	.section	.rodata,"a",@progbits
	.p2align	6, 0x0
	.amdhsa_kernel _ZN7rocprim17ROCPRIM_400000_NS6detail17trampoline_kernelINS0_14default_configENS1_35radix_sort_onesweep_config_selectorIsNS0_10empty_typeEEEZNS1_34radix_sort_onesweep_global_offsetsIS3_Lb0EPKsPS5_mNS0_19identity_decomposerEEE10hipError_tT1_T2_PT3_SF_jT4_jjP12ihipStream_tbEUlT_E0_NS1_11comp_targetILNS1_3genE9ELNS1_11target_archE1100ELNS1_3gpuE3ELNS1_3repE0EEENS1_52radix_sort_onesweep_histogram_config_static_selectorELNS0_4arch9wavefront6targetE0EEEvSD_
		.amdhsa_group_segment_fixed_size 0
		.amdhsa_private_segment_fixed_size 0
		.amdhsa_kernarg_size 8
		.amdhsa_user_sgpr_count 2
		.amdhsa_user_sgpr_dispatch_ptr 0
		.amdhsa_user_sgpr_queue_ptr 0
		.amdhsa_user_sgpr_kernarg_segment_ptr 1
		.amdhsa_user_sgpr_dispatch_id 0
		.amdhsa_user_sgpr_kernarg_preload_length 0
		.amdhsa_user_sgpr_kernarg_preload_offset 0
		.amdhsa_user_sgpr_private_segment_size 0
		.amdhsa_wavefront_size32 1
		.amdhsa_uses_dynamic_stack 0
		.amdhsa_enable_private_segment 0
		.amdhsa_system_sgpr_workgroup_id_x 1
		.amdhsa_system_sgpr_workgroup_id_y 0
		.amdhsa_system_sgpr_workgroup_id_z 0
		.amdhsa_system_sgpr_workgroup_info 0
		.amdhsa_system_vgpr_workitem_id 0
		.amdhsa_next_free_vgpr 1
		.amdhsa_next_free_sgpr 1
		.amdhsa_named_barrier_count 0
		.amdhsa_reserve_vcc 0
		.amdhsa_float_round_mode_32 0
		.amdhsa_float_round_mode_16_64 0
		.amdhsa_float_denorm_mode_32 3
		.amdhsa_float_denorm_mode_16_64 3
		.amdhsa_fp16_overflow 0
		.amdhsa_memory_ordered 1
		.amdhsa_forward_progress 1
		.amdhsa_inst_pref_size 0
		.amdhsa_round_robin_scheduling 0
		.amdhsa_exception_fp_ieee_invalid_op 0
		.amdhsa_exception_fp_denorm_src 0
		.amdhsa_exception_fp_ieee_div_zero 0
		.amdhsa_exception_fp_ieee_overflow 0
		.amdhsa_exception_fp_ieee_underflow 0
		.amdhsa_exception_fp_ieee_inexact 0
		.amdhsa_exception_int_div_zero 0
	.end_amdhsa_kernel
	.section	.text._ZN7rocprim17ROCPRIM_400000_NS6detail17trampoline_kernelINS0_14default_configENS1_35radix_sort_onesweep_config_selectorIsNS0_10empty_typeEEEZNS1_34radix_sort_onesweep_global_offsetsIS3_Lb0EPKsPS5_mNS0_19identity_decomposerEEE10hipError_tT1_T2_PT3_SF_jT4_jjP12ihipStream_tbEUlT_E0_NS1_11comp_targetILNS1_3genE9ELNS1_11target_archE1100ELNS1_3gpuE3ELNS1_3repE0EEENS1_52radix_sort_onesweep_histogram_config_static_selectorELNS0_4arch9wavefront6targetE0EEEvSD_,"axG",@progbits,_ZN7rocprim17ROCPRIM_400000_NS6detail17trampoline_kernelINS0_14default_configENS1_35radix_sort_onesweep_config_selectorIsNS0_10empty_typeEEEZNS1_34radix_sort_onesweep_global_offsetsIS3_Lb0EPKsPS5_mNS0_19identity_decomposerEEE10hipError_tT1_T2_PT3_SF_jT4_jjP12ihipStream_tbEUlT_E0_NS1_11comp_targetILNS1_3genE9ELNS1_11target_archE1100ELNS1_3gpuE3ELNS1_3repE0EEENS1_52radix_sort_onesweep_histogram_config_static_selectorELNS0_4arch9wavefront6targetE0EEEvSD_,comdat
.Lfunc_end711:
	.size	_ZN7rocprim17ROCPRIM_400000_NS6detail17trampoline_kernelINS0_14default_configENS1_35radix_sort_onesweep_config_selectorIsNS0_10empty_typeEEEZNS1_34radix_sort_onesweep_global_offsetsIS3_Lb0EPKsPS5_mNS0_19identity_decomposerEEE10hipError_tT1_T2_PT3_SF_jT4_jjP12ihipStream_tbEUlT_E0_NS1_11comp_targetILNS1_3genE9ELNS1_11target_archE1100ELNS1_3gpuE3ELNS1_3repE0EEENS1_52radix_sort_onesweep_histogram_config_static_selectorELNS0_4arch9wavefront6targetE0EEEvSD_, .Lfunc_end711-_ZN7rocprim17ROCPRIM_400000_NS6detail17trampoline_kernelINS0_14default_configENS1_35radix_sort_onesweep_config_selectorIsNS0_10empty_typeEEEZNS1_34radix_sort_onesweep_global_offsetsIS3_Lb0EPKsPS5_mNS0_19identity_decomposerEEE10hipError_tT1_T2_PT3_SF_jT4_jjP12ihipStream_tbEUlT_E0_NS1_11comp_targetILNS1_3genE9ELNS1_11target_archE1100ELNS1_3gpuE3ELNS1_3repE0EEENS1_52radix_sort_onesweep_histogram_config_static_selectorELNS0_4arch9wavefront6targetE0EEEvSD_
                                        ; -- End function
	.set _ZN7rocprim17ROCPRIM_400000_NS6detail17trampoline_kernelINS0_14default_configENS1_35radix_sort_onesweep_config_selectorIsNS0_10empty_typeEEEZNS1_34radix_sort_onesweep_global_offsetsIS3_Lb0EPKsPS5_mNS0_19identity_decomposerEEE10hipError_tT1_T2_PT3_SF_jT4_jjP12ihipStream_tbEUlT_E0_NS1_11comp_targetILNS1_3genE9ELNS1_11target_archE1100ELNS1_3gpuE3ELNS1_3repE0EEENS1_52radix_sort_onesweep_histogram_config_static_selectorELNS0_4arch9wavefront6targetE0EEEvSD_.num_vgpr, 0
	.set _ZN7rocprim17ROCPRIM_400000_NS6detail17trampoline_kernelINS0_14default_configENS1_35radix_sort_onesweep_config_selectorIsNS0_10empty_typeEEEZNS1_34radix_sort_onesweep_global_offsetsIS3_Lb0EPKsPS5_mNS0_19identity_decomposerEEE10hipError_tT1_T2_PT3_SF_jT4_jjP12ihipStream_tbEUlT_E0_NS1_11comp_targetILNS1_3genE9ELNS1_11target_archE1100ELNS1_3gpuE3ELNS1_3repE0EEENS1_52radix_sort_onesweep_histogram_config_static_selectorELNS0_4arch9wavefront6targetE0EEEvSD_.num_agpr, 0
	.set _ZN7rocprim17ROCPRIM_400000_NS6detail17trampoline_kernelINS0_14default_configENS1_35radix_sort_onesweep_config_selectorIsNS0_10empty_typeEEEZNS1_34radix_sort_onesweep_global_offsetsIS3_Lb0EPKsPS5_mNS0_19identity_decomposerEEE10hipError_tT1_T2_PT3_SF_jT4_jjP12ihipStream_tbEUlT_E0_NS1_11comp_targetILNS1_3genE9ELNS1_11target_archE1100ELNS1_3gpuE3ELNS1_3repE0EEENS1_52radix_sort_onesweep_histogram_config_static_selectorELNS0_4arch9wavefront6targetE0EEEvSD_.numbered_sgpr, 0
	.set _ZN7rocprim17ROCPRIM_400000_NS6detail17trampoline_kernelINS0_14default_configENS1_35radix_sort_onesweep_config_selectorIsNS0_10empty_typeEEEZNS1_34radix_sort_onesweep_global_offsetsIS3_Lb0EPKsPS5_mNS0_19identity_decomposerEEE10hipError_tT1_T2_PT3_SF_jT4_jjP12ihipStream_tbEUlT_E0_NS1_11comp_targetILNS1_3genE9ELNS1_11target_archE1100ELNS1_3gpuE3ELNS1_3repE0EEENS1_52radix_sort_onesweep_histogram_config_static_selectorELNS0_4arch9wavefront6targetE0EEEvSD_.num_named_barrier, 0
	.set _ZN7rocprim17ROCPRIM_400000_NS6detail17trampoline_kernelINS0_14default_configENS1_35radix_sort_onesweep_config_selectorIsNS0_10empty_typeEEEZNS1_34radix_sort_onesweep_global_offsetsIS3_Lb0EPKsPS5_mNS0_19identity_decomposerEEE10hipError_tT1_T2_PT3_SF_jT4_jjP12ihipStream_tbEUlT_E0_NS1_11comp_targetILNS1_3genE9ELNS1_11target_archE1100ELNS1_3gpuE3ELNS1_3repE0EEENS1_52radix_sort_onesweep_histogram_config_static_selectorELNS0_4arch9wavefront6targetE0EEEvSD_.private_seg_size, 0
	.set _ZN7rocprim17ROCPRIM_400000_NS6detail17trampoline_kernelINS0_14default_configENS1_35radix_sort_onesweep_config_selectorIsNS0_10empty_typeEEEZNS1_34radix_sort_onesweep_global_offsetsIS3_Lb0EPKsPS5_mNS0_19identity_decomposerEEE10hipError_tT1_T2_PT3_SF_jT4_jjP12ihipStream_tbEUlT_E0_NS1_11comp_targetILNS1_3genE9ELNS1_11target_archE1100ELNS1_3gpuE3ELNS1_3repE0EEENS1_52radix_sort_onesweep_histogram_config_static_selectorELNS0_4arch9wavefront6targetE0EEEvSD_.uses_vcc, 0
	.set _ZN7rocprim17ROCPRIM_400000_NS6detail17trampoline_kernelINS0_14default_configENS1_35radix_sort_onesweep_config_selectorIsNS0_10empty_typeEEEZNS1_34radix_sort_onesweep_global_offsetsIS3_Lb0EPKsPS5_mNS0_19identity_decomposerEEE10hipError_tT1_T2_PT3_SF_jT4_jjP12ihipStream_tbEUlT_E0_NS1_11comp_targetILNS1_3genE9ELNS1_11target_archE1100ELNS1_3gpuE3ELNS1_3repE0EEENS1_52radix_sort_onesweep_histogram_config_static_selectorELNS0_4arch9wavefront6targetE0EEEvSD_.uses_flat_scratch, 0
	.set _ZN7rocprim17ROCPRIM_400000_NS6detail17trampoline_kernelINS0_14default_configENS1_35radix_sort_onesweep_config_selectorIsNS0_10empty_typeEEEZNS1_34radix_sort_onesweep_global_offsetsIS3_Lb0EPKsPS5_mNS0_19identity_decomposerEEE10hipError_tT1_T2_PT3_SF_jT4_jjP12ihipStream_tbEUlT_E0_NS1_11comp_targetILNS1_3genE9ELNS1_11target_archE1100ELNS1_3gpuE3ELNS1_3repE0EEENS1_52radix_sort_onesweep_histogram_config_static_selectorELNS0_4arch9wavefront6targetE0EEEvSD_.has_dyn_sized_stack, 0
	.set _ZN7rocprim17ROCPRIM_400000_NS6detail17trampoline_kernelINS0_14default_configENS1_35radix_sort_onesweep_config_selectorIsNS0_10empty_typeEEEZNS1_34radix_sort_onesweep_global_offsetsIS3_Lb0EPKsPS5_mNS0_19identity_decomposerEEE10hipError_tT1_T2_PT3_SF_jT4_jjP12ihipStream_tbEUlT_E0_NS1_11comp_targetILNS1_3genE9ELNS1_11target_archE1100ELNS1_3gpuE3ELNS1_3repE0EEENS1_52radix_sort_onesweep_histogram_config_static_selectorELNS0_4arch9wavefront6targetE0EEEvSD_.has_recursion, 0
	.set _ZN7rocprim17ROCPRIM_400000_NS6detail17trampoline_kernelINS0_14default_configENS1_35radix_sort_onesweep_config_selectorIsNS0_10empty_typeEEEZNS1_34radix_sort_onesweep_global_offsetsIS3_Lb0EPKsPS5_mNS0_19identity_decomposerEEE10hipError_tT1_T2_PT3_SF_jT4_jjP12ihipStream_tbEUlT_E0_NS1_11comp_targetILNS1_3genE9ELNS1_11target_archE1100ELNS1_3gpuE3ELNS1_3repE0EEENS1_52radix_sort_onesweep_histogram_config_static_selectorELNS0_4arch9wavefront6targetE0EEEvSD_.has_indirect_call, 0
	.section	.AMDGPU.csdata,"",@progbits
; Kernel info:
; codeLenInByte = 0
; TotalNumSgprs: 0
; NumVgprs: 0
; ScratchSize: 0
; MemoryBound: 0
; FloatMode: 240
; IeeeMode: 1
; LDSByteSize: 0 bytes/workgroup (compile time only)
; SGPRBlocks: 0
; VGPRBlocks: 0
; NumSGPRsForWavesPerEU: 1
; NumVGPRsForWavesPerEU: 1
; NamedBarCnt: 0
; Occupancy: 16
; WaveLimiterHint : 0
; COMPUTE_PGM_RSRC2:SCRATCH_EN: 0
; COMPUTE_PGM_RSRC2:USER_SGPR: 2
; COMPUTE_PGM_RSRC2:TRAP_HANDLER: 0
; COMPUTE_PGM_RSRC2:TGID_X_EN: 1
; COMPUTE_PGM_RSRC2:TGID_Y_EN: 0
; COMPUTE_PGM_RSRC2:TGID_Z_EN: 0
; COMPUTE_PGM_RSRC2:TIDIG_COMP_CNT: 0
	.section	.text._ZN7rocprim17ROCPRIM_400000_NS6detail17trampoline_kernelINS0_14default_configENS1_35radix_sort_onesweep_config_selectorIsNS0_10empty_typeEEEZNS1_34radix_sort_onesweep_global_offsetsIS3_Lb0EPKsPS5_mNS0_19identity_decomposerEEE10hipError_tT1_T2_PT3_SF_jT4_jjP12ihipStream_tbEUlT_E0_NS1_11comp_targetILNS1_3genE8ELNS1_11target_archE1030ELNS1_3gpuE2ELNS1_3repE0EEENS1_52radix_sort_onesweep_histogram_config_static_selectorELNS0_4arch9wavefront6targetE0EEEvSD_,"axG",@progbits,_ZN7rocprim17ROCPRIM_400000_NS6detail17trampoline_kernelINS0_14default_configENS1_35radix_sort_onesweep_config_selectorIsNS0_10empty_typeEEEZNS1_34radix_sort_onesweep_global_offsetsIS3_Lb0EPKsPS5_mNS0_19identity_decomposerEEE10hipError_tT1_T2_PT3_SF_jT4_jjP12ihipStream_tbEUlT_E0_NS1_11comp_targetILNS1_3genE8ELNS1_11target_archE1030ELNS1_3gpuE2ELNS1_3repE0EEENS1_52radix_sort_onesweep_histogram_config_static_selectorELNS0_4arch9wavefront6targetE0EEEvSD_,comdat
	.protected	_ZN7rocprim17ROCPRIM_400000_NS6detail17trampoline_kernelINS0_14default_configENS1_35radix_sort_onesweep_config_selectorIsNS0_10empty_typeEEEZNS1_34radix_sort_onesweep_global_offsetsIS3_Lb0EPKsPS5_mNS0_19identity_decomposerEEE10hipError_tT1_T2_PT3_SF_jT4_jjP12ihipStream_tbEUlT_E0_NS1_11comp_targetILNS1_3genE8ELNS1_11target_archE1030ELNS1_3gpuE2ELNS1_3repE0EEENS1_52radix_sort_onesweep_histogram_config_static_selectorELNS0_4arch9wavefront6targetE0EEEvSD_ ; -- Begin function _ZN7rocprim17ROCPRIM_400000_NS6detail17trampoline_kernelINS0_14default_configENS1_35radix_sort_onesweep_config_selectorIsNS0_10empty_typeEEEZNS1_34radix_sort_onesweep_global_offsetsIS3_Lb0EPKsPS5_mNS0_19identity_decomposerEEE10hipError_tT1_T2_PT3_SF_jT4_jjP12ihipStream_tbEUlT_E0_NS1_11comp_targetILNS1_3genE8ELNS1_11target_archE1030ELNS1_3gpuE2ELNS1_3repE0EEENS1_52radix_sort_onesweep_histogram_config_static_selectorELNS0_4arch9wavefront6targetE0EEEvSD_
	.globl	_ZN7rocprim17ROCPRIM_400000_NS6detail17trampoline_kernelINS0_14default_configENS1_35radix_sort_onesweep_config_selectorIsNS0_10empty_typeEEEZNS1_34radix_sort_onesweep_global_offsetsIS3_Lb0EPKsPS5_mNS0_19identity_decomposerEEE10hipError_tT1_T2_PT3_SF_jT4_jjP12ihipStream_tbEUlT_E0_NS1_11comp_targetILNS1_3genE8ELNS1_11target_archE1030ELNS1_3gpuE2ELNS1_3repE0EEENS1_52radix_sort_onesweep_histogram_config_static_selectorELNS0_4arch9wavefront6targetE0EEEvSD_
	.p2align	8
	.type	_ZN7rocprim17ROCPRIM_400000_NS6detail17trampoline_kernelINS0_14default_configENS1_35radix_sort_onesweep_config_selectorIsNS0_10empty_typeEEEZNS1_34radix_sort_onesweep_global_offsetsIS3_Lb0EPKsPS5_mNS0_19identity_decomposerEEE10hipError_tT1_T2_PT3_SF_jT4_jjP12ihipStream_tbEUlT_E0_NS1_11comp_targetILNS1_3genE8ELNS1_11target_archE1030ELNS1_3gpuE2ELNS1_3repE0EEENS1_52radix_sort_onesweep_histogram_config_static_selectorELNS0_4arch9wavefront6targetE0EEEvSD_,@function
_ZN7rocprim17ROCPRIM_400000_NS6detail17trampoline_kernelINS0_14default_configENS1_35radix_sort_onesweep_config_selectorIsNS0_10empty_typeEEEZNS1_34radix_sort_onesweep_global_offsetsIS3_Lb0EPKsPS5_mNS0_19identity_decomposerEEE10hipError_tT1_T2_PT3_SF_jT4_jjP12ihipStream_tbEUlT_E0_NS1_11comp_targetILNS1_3genE8ELNS1_11target_archE1030ELNS1_3gpuE2ELNS1_3repE0EEENS1_52radix_sort_onesweep_histogram_config_static_selectorELNS0_4arch9wavefront6targetE0EEEvSD_: ; @_ZN7rocprim17ROCPRIM_400000_NS6detail17trampoline_kernelINS0_14default_configENS1_35radix_sort_onesweep_config_selectorIsNS0_10empty_typeEEEZNS1_34radix_sort_onesweep_global_offsetsIS3_Lb0EPKsPS5_mNS0_19identity_decomposerEEE10hipError_tT1_T2_PT3_SF_jT4_jjP12ihipStream_tbEUlT_E0_NS1_11comp_targetILNS1_3genE8ELNS1_11target_archE1030ELNS1_3gpuE2ELNS1_3repE0EEENS1_52radix_sort_onesweep_histogram_config_static_selectorELNS0_4arch9wavefront6targetE0EEEvSD_
; %bb.0:
	.section	.rodata,"a",@progbits
	.p2align	6, 0x0
	.amdhsa_kernel _ZN7rocprim17ROCPRIM_400000_NS6detail17trampoline_kernelINS0_14default_configENS1_35radix_sort_onesweep_config_selectorIsNS0_10empty_typeEEEZNS1_34radix_sort_onesweep_global_offsetsIS3_Lb0EPKsPS5_mNS0_19identity_decomposerEEE10hipError_tT1_T2_PT3_SF_jT4_jjP12ihipStream_tbEUlT_E0_NS1_11comp_targetILNS1_3genE8ELNS1_11target_archE1030ELNS1_3gpuE2ELNS1_3repE0EEENS1_52radix_sort_onesweep_histogram_config_static_selectorELNS0_4arch9wavefront6targetE0EEEvSD_
		.amdhsa_group_segment_fixed_size 0
		.amdhsa_private_segment_fixed_size 0
		.amdhsa_kernarg_size 8
		.amdhsa_user_sgpr_count 2
		.amdhsa_user_sgpr_dispatch_ptr 0
		.amdhsa_user_sgpr_queue_ptr 0
		.amdhsa_user_sgpr_kernarg_segment_ptr 1
		.amdhsa_user_sgpr_dispatch_id 0
		.amdhsa_user_sgpr_kernarg_preload_length 0
		.amdhsa_user_sgpr_kernarg_preload_offset 0
		.amdhsa_user_sgpr_private_segment_size 0
		.amdhsa_wavefront_size32 1
		.amdhsa_uses_dynamic_stack 0
		.amdhsa_enable_private_segment 0
		.amdhsa_system_sgpr_workgroup_id_x 1
		.amdhsa_system_sgpr_workgroup_id_y 0
		.amdhsa_system_sgpr_workgroup_id_z 0
		.amdhsa_system_sgpr_workgroup_info 0
		.amdhsa_system_vgpr_workitem_id 0
		.amdhsa_next_free_vgpr 1
		.amdhsa_next_free_sgpr 1
		.amdhsa_named_barrier_count 0
		.amdhsa_reserve_vcc 0
		.amdhsa_float_round_mode_32 0
		.amdhsa_float_round_mode_16_64 0
		.amdhsa_float_denorm_mode_32 3
		.amdhsa_float_denorm_mode_16_64 3
		.amdhsa_fp16_overflow 0
		.amdhsa_memory_ordered 1
		.amdhsa_forward_progress 1
		.amdhsa_inst_pref_size 0
		.amdhsa_round_robin_scheduling 0
		.amdhsa_exception_fp_ieee_invalid_op 0
		.amdhsa_exception_fp_denorm_src 0
		.amdhsa_exception_fp_ieee_div_zero 0
		.amdhsa_exception_fp_ieee_overflow 0
		.amdhsa_exception_fp_ieee_underflow 0
		.amdhsa_exception_fp_ieee_inexact 0
		.amdhsa_exception_int_div_zero 0
	.end_amdhsa_kernel
	.section	.text._ZN7rocprim17ROCPRIM_400000_NS6detail17trampoline_kernelINS0_14default_configENS1_35radix_sort_onesweep_config_selectorIsNS0_10empty_typeEEEZNS1_34radix_sort_onesweep_global_offsetsIS3_Lb0EPKsPS5_mNS0_19identity_decomposerEEE10hipError_tT1_T2_PT3_SF_jT4_jjP12ihipStream_tbEUlT_E0_NS1_11comp_targetILNS1_3genE8ELNS1_11target_archE1030ELNS1_3gpuE2ELNS1_3repE0EEENS1_52radix_sort_onesweep_histogram_config_static_selectorELNS0_4arch9wavefront6targetE0EEEvSD_,"axG",@progbits,_ZN7rocprim17ROCPRIM_400000_NS6detail17trampoline_kernelINS0_14default_configENS1_35radix_sort_onesweep_config_selectorIsNS0_10empty_typeEEEZNS1_34radix_sort_onesweep_global_offsetsIS3_Lb0EPKsPS5_mNS0_19identity_decomposerEEE10hipError_tT1_T2_PT3_SF_jT4_jjP12ihipStream_tbEUlT_E0_NS1_11comp_targetILNS1_3genE8ELNS1_11target_archE1030ELNS1_3gpuE2ELNS1_3repE0EEENS1_52radix_sort_onesweep_histogram_config_static_selectorELNS0_4arch9wavefront6targetE0EEEvSD_,comdat
.Lfunc_end712:
	.size	_ZN7rocprim17ROCPRIM_400000_NS6detail17trampoline_kernelINS0_14default_configENS1_35radix_sort_onesweep_config_selectorIsNS0_10empty_typeEEEZNS1_34radix_sort_onesweep_global_offsetsIS3_Lb0EPKsPS5_mNS0_19identity_decomposerEEE10hipError_tT1_T2_PT3_SF_jT4_jjP12ihipStream_tbEUlT_E0_NS1_11comp_targetILNS1_3genE8ELNS1_11target_archE1030ELNS1_3gpuE2ELNS1_3repE0EEENS1_52radix_sort_onesweep_histogram_config_static_selectorELNS0_4arch9wavefront6targetE0EEEvSD_, .Lfunc_end712-_ZN7rocprim17ROCPRIM_400000_NS6detail17trampoline_kernelINS0_14default_configENS1_35radix_sort_onesweep_config_selectorIsNS0_10empty_typeEEEZNS1_34radix_sort_onesweep_global_offsetsIS3_Lb0EPKsPS5_mNS0_19identity_decomposerEEE10hipError_tT1_T2_PT3_SF_jT4_jjP12ihipStream_tbEUlT_E0_NS1_11comp_targetILNS1_3genE8ELNS1_11target_archE1030ELNS1_3gpuE2ELNS1_3repE0EEENS1_52radix_sort_onesweep_histogram_config_static_selectorELNS0_4arch9wavefront6targetE0EEEvSD_
                                        ; -- End function
	.set _ZN7rocprim17ROCPRIM_400000_NS6detail17trampoline_kernelINS0_14default_configENS1_35radix_sort_onesweep_config_selectorIsNS0_10empty_typeEEEZNS1_34radix_sort_onesweep_global_offsetsIS3_Lb0EPKsPS5_mNS0_19identity_decomposerEEE10hipError_tT1_T2_PT3_SF_jT4_jjP12ihipStream_tbEUlT_E0_NS1_11comp_targetILNS1_3genE8ELNS1_11target_archE1030ELNS1_3gpuE2ELNS1_3repE0EEENS1_52radix_sort_onesweep_histogram_config_static_selectorELNS0_4arch9wavefront6targetE0EEEvSD_.num_vgpr, 0
	.set _ZN7rocprim17ROCPRIM_400000_NS6detail17trampoline_kernelINS0_14default_configENS1_35radix_sort_onesweep_config_selectorIsNS0_10empty_typeEEEZNS1_34radix_sort_onesweep_global_offsetsIS3_Lb0EPKsPS5_mNS0_19identity_decomposerEEE10hipError_tT1_T2_PT3_SF_jT4_jjP12ihipStream_tbEUlT_E0_NS1_11comp_targetILNS1_3genE8ELNS1_11target_archE1030ELNS1_3gpuE2ELNS1_3repE0EEENS1_52radix_sort_onesweep_histogram_config_static_selectorELNS0_4arch9wavefront6targetE0EEEvSD_.num_agpr, 0
	.set _ZN7rocprim17ROCPRIM_400000_NS6detail17trampoline_kernelINS0_14default_configENS1_35radix_sort_onesweep_config_selectorIsNS0_10empty_typeEEEZNS1_34radix_sort_onesweep_global_offsetsIS3_Lb0EPKsPS5_mNS0_19identity_decomposerEEE10hipError_tT1_T2_PT3_SF_jT4_jjP12ihipStream_tbEUlT_E0_NS1_11comp_targetILNS1_3genE8ELNS1_11target_archE1030ELNS1_3gpuE2ELNS1_3repE0EEENS1_52radix_sort_onesweep_histogram_config_static_selectorELNS0_4arch9wavefront6targetE0EEEvSD_.numbered_sgpr, 0
	.set _ZN7rocprim17ROCPRIM_400000_NS6detail17trampoline_kernelINS0_14default_configENS1_35radix_sort_onesweep_config_selectorIsNS0_10empty_typeEEEZNS1_34radix_sort_onesweep_global_offsetsIS3_Lb0EPKsPS5_mNS0_19identity_decomposerEEE10hipError_tT1_T2_PT3_SF_jT4_jjP12ihipStream_tbEUlT_E0_NS1_11comp_targetILNS1_3genE8ELNS1_11target_archE1030ELNS1_3gpuE2ELNS1_3repE0EEENS1_52radix_sort_onesweep_histogram_config_static_selectorELNS0_4arch9wavefront6targetE0EEEvSD_.num_named_barrier, 0
	.set _ZN7rocprim17ROCPRIM_400000_NS6detail17trampoline_kernelINS0_14default_configENS1_35radix_sort_onesweep_config_selectorIsNS0_10empty_typeEEEZNS1_34radix_sort_onesweep_global_offsetsIS3_Lb0EPKsPS5_mNS0_19identity_decomposerEEE10hipError_tT1_T2_PT3_SF_jT4_jjP12ihipStream_tbEUlT_E0_NS1_11comp_targetILNS1_3genE8ELNS1_11target_archE1030ELNS1_3gpuE2ELNS1_3repE0EEENS1_52radix_sort_onesweep_histogram_config_static_selectorELNS0_4arch9wavefront6targetE0EEEvSD_.private_seg_size, 0
	.set _ZN7rocprim17ROCPRIM_400000_NS6detail17trampoline_kernelINS0_14default_configENS1_35radix_sort_onesweep_config_selectorIsNS0_10empty_typeEEEZNS1_34radix_sort_onesweep_global_offsetsIS3_Lb0EPKsPS5_mNS0_19identity_decomposerEEE10hipError_tT1_T2_PT3_SF_jT4_jjP12ihipStream_tbEUlT_E0_NS1_11comp_targetILNS1_3genE8ELNS1_11target_archE1030ELNS1_3gpuE2ELNS1_3repE0EEENS1_52radix_sort_onesweep_histogram_config_static_selectorELNS0_4arch9wavefront6targetE0EEEvSD_.uses_vcc, 0
	.set _ZN7rocprim17ROCPRIM_400000_NS6detail17trampoline_kernelINS0_14default_configENS1_35radix_sort_onesweep_config_selectorIsNS0_10empty_typeEEEZNS1_34radix_sort_onesweep_global_offsetsIS3_Lb0EPKsPS5_mNS0_19identity_decomposerEEE10hipError_tT1_T2_PT3_SF_jT4_jjP12ihipStream_tbEUlT_E0_NS1_11comp_targetILNS1_3genE8ELNS1_11target_archE1030ELNS1_3gpuE2ELNS1_3repE0EEENS1_52radix_sort_onesweep_histogram_config_static_selectorELNS0_4arch9wavefront6targetE0EEEvSD_.uses_flat_scratch, 0
	.set _ZN7rocprim17ROCPRIM_400000_NS6detail17trampoline_kernelINS0_14default_configENS1_35radix_sort_onesweep_config_selectorIsNS0_10empty_typeEEEZNS1_34radix_sort_onesweep_global_offsetsIS3_Lb0EPKsPS5_mNS0_19identity_decomposerEEE10hipError_tT1_T2_PT3_SF_jT4_jjP12ihipStream_tbEUlT_E0_NS1_11comp_targetILNS1_3genE8ELNS1_11target_archE1030ELNS1_3gpuE2ELNS1_3repE0EEENS1_52radix_sort_onesweep_histogram_config_static_selectorELNS0_4arch9wavefront6targetE0EEEvSD_.has_dyn_sized_stack, 0
	.set _ZN7rocprim17ROCPRIM_400000_NS6detail17trampoline_kernelINS0_14default_configENS1_35radix_sort_onesweep_config_selectorIsNS0_10empty_typeEEEZNS1_34radix_sort_onesweep_global_offsetsIS3_Lb0EPKsPS5_mNS0_19identity_decomposerEEE10hipError_tT1_T2_PT3_SF_jT4_jjP12ihipStream_tbEUlT_E0_NS1_11comp_targetILNS1_3genE8ELNS1_11target_archE1030ELNS1_3gpuE2ELNS1_3repE0EEENS1_52radix_sort_onesweep_histogram_config_static_selectorELNS0_4arch9wavefront6targetE0EEEvSD_.has_recursion, 0
	.set _ZN7rocprim17ROCPRIM_400000_NS6detail17trampoline_kernelINS0_14default_configENS1_35radix_sort_onesweep_config_selectorIsNS0_10empty_typeEEEZNS1_34radix_sort_onesweep_global_offsetsIS3_Lb0EPKsPS5_mNS0_19identity_decomposerEEE10hipError_tT1_T2_PT3_SF_jT4_jjP12ihipStream_tbEUlT_E0_NS1_11comp_targetILNS1_3genE8ELNS1_11target_archE1030ELNS1_3gpuE2ELNS1_3repE0EEENS1_52radix_sort_onesweep_histogram_config_static_selectorELNS0_4arch9wavefront6targetE0EEEvSD_.has_indirect_call, 0
	.section	.AMDGPU.csdata,"",@progbits
; Kernel info:
; codeLenInByte = 0
; TotalNumSgprs: 0
; NumVgprs: 0
; ScratchSize: 0
; MemoryBound: 0
; FloatMode: 240
; IeeeMode: 1
; LDSByteSize: 0 bytes/workgroup (compile time only)
; SGPRBlocks: 0
; VGPRBlocks: 0
; NumSGPRsForWavesPerEU: 1
; NumVGPRsForWavesPerEU: 1
; NamedBarCnt: 0
; Occupancy: 16
; WaveLimiterHint : 0
; COMPUTE_PGM_RSRC2:SCRATCH_EN: 0
; COMPUTE_PGM_RSRC2:USER_SGPR: 2
; COMPUTE_PGM_RSRC2:TRAP_HANDLER: 0
; COMPUTE_PGM_RSRC2:TGID_X_EN: 1
; COMPUTE_PGM_RSRC2:TGID_Y_EN: 0
; COMPUTE_PGM_RSRC2:TGID_Z_EN: 0
; COMPUTE_PGM_RSRC2:TIDIG_COMP_CNT: 0
	.section	.text._ZN7rocprim17ROCPRIM_400000_NS6detail17trampoline_kernelINS0_14default_configENS1_35radix_sort_onesweep_config_selectorIsNS0_10empty_typeEEEZZNS1_29radix_sort_onesweep_iterationIS3_Lb0EPKsPsPS5_SB_mNS0_19identity_decomposerENS1_16block_id_wrapperIjLb1EEEEE10hipError_tT1_PNSt15iterator_traitsISG_E10value_typeET2_T3_PNSH_ISM_E10value_typeET4_T5_PSR_SS_PNS1_23onesweep_lookback_stateEbbT6_jjT7_P12ihipStream_tbENKUlT_T0_SG_SL_E_clIS9_SA_SB_SB_EEDaSZ_S10_SG_SL_EUlSZ_E_NS1_11comp_targetILNS1_3genE0ELNS1_11target_archE4294967295ELNS1_3gpuE0ELNS1_3repE0EEENS1_47radix_sort_onesweep_sort_config_static_selectorELNS0_4arch9wavefront6targetE0EEEvSG_,"axG",@progbits,_ZN7rocprim17ROCPRIM_400000_NS6detail17trampoline_kernelINS0_14default_configENS1_35radix_sort_onesweep_config_selectorIsNS0_10empty_typeEEEZZNS1_29radix_sort_onesweep_iterationIS3_Lb0EPKsPsPS5_SB_mNS0_19identity_decomposerENS1_16block_id_wrapperIjLb1EEEEE10hipError_tT1_PNSt15iterator_traitsISG_E10value_typeET2_T3_PNSH_ISM_E10value_typeET4_T5_PSR_SS_PNS1_23onesweep_lookback_stateEbbT6_jjT7_P12ihipStream_tbENKUlT_T0_SG_SL_E_clIS9_SA_SB_SB_EEDaSZ_S10_SG_SL_EUlSZ_E_NS1_11comp_targetILNS1_3genE0ELNS1_11target_archE4294967295ELNS1_3gpuE0ELNS1_3repE0EEENS1_47radix_sort_onesweep_sort_config_static_selectorELNS0_4arch9wavefront6targetE0EEEvSG_,comdat
	.protected	_ZN7rocprim17ROCPRIM_400000_NS6detail17trampoline_kernelINS0_14default_configENS1_35radix_sort_onesweep_config_selectorIsNS0_10empty_typeEEEZZNS1_29radix_sort_onesweep_iterationIS3_Lb0EPKsPsPS5_SB_mNS0_19identity_decomposerENS1_16block_id_wrapperIjLb1EEEEE10hipError_tT1_PNSt15iterator_traitsISG_E10value_typeET2_T3_PNSH_ISM_E10value_typeET4_T5_PSR_SS_PNS1_23onesweep_lookback_stateEbbT6_jjT7_P12ihipStream_tbENKUlT_T0_SG_SL_E_clIS9_SA_SB_SB_EEDaSZ_S10_SG_SL_EUlSZ_E_NS1_11comp_targetILNS1_3genE0ELNS1_11target_archE4294967295ELNS1_3gpuE0ELNS1_3repE0EEENS1_47radix_sort_onesweep_sort_config_static_selectorELNS0_4arch9wavefront6targetE0EEEvSG_ ; -- Begin function _ZN7rocprim17ROCPRIM_400000_NS6detail17trampoline_kernelINS0_14default_configENS1_35radix_sort_onesweep_config_selectorIsNS0_10empty_typeEEEZZNS1_29radix_sort_onesweep_iterationIS3_Lb0EPKsPsPS5_SB_mNS0_19identity_decomposerENS1_16block_id_wrapperIjLb1EEEEE10hipError_tT1_PNSt15iterator_traitsISG_E10value_typeET2_T3_PNSH_ISM_E10value_typeET4_T5_PSR_SS_PNS1_23onesweep_lookback_stateEbbT6_jjT7_P12ihipStream_tbENKUlT_T0_SG_SL_E_clIS9_SA_SB_SB_EEDaSZ_S10_SG_SL_EUlSZ_E_NS1_11comp_targetILNS1_3genE0ELNS1_11target_archE4294967295ELNS1_3gpuE0ELNS1_3repE0EEENS1_47radix_sort_onesweep_sort_config_static_selectorELNS0_4arch9wavefront6targetE0EEEvSG_
	.globl	_ZN7rocprim17ROCPRIM_400000_NS6detail17trampoline_kernelINS0_14default_configENS1_35radix_sort_onesweep_config_selectorIsNS0_10empty_typeEEEZZNS1_29radix_sort_onesweep_iterationIS3_Lb0EPKsPsPS5_SB_mNS0_19identity_decomposerENS1_16block_id_wrapperIjLb1EEEEE10hipError_tT1_PNSt15iterator_traitsISG_E10value_typeET2_T3_PNSH_ISM_E10value_typeET4_T5_PSR_SS_PNS1_23onesweep_lookback_stateEbbT6_jjT7_P12ihipStream_tbENKUlT_T0_SG_SL_E_clIS9_SA_SB_SB_EEDaSZ_S10_SG_SL_EUlSZ_E_NS1_11comp_targetILNS1_3genE0ELNS1_11target_archE4294967295ELNS1_3gpuE0ELNS1_3repE0EEENS1_47radix_sort_onesweep_sort_config_static_selectorELNS0_4arch9wavefront6targetE0EEEvSG_
	.p2align	8
	.type	_ZN7rocprim17ROCPRIM_400000_NS6detail17trampoline_kernelINS0_14default_configENS1_35radix_sort_onesweep_config_selectorIsNS0_10empty_typeEEEZZNS1_29radix_sort_onesweep_iterationIS3_Lb0EPKsPsPS5_SB_mNS0_19identity_decomposerENS1_16block_id_wrapperIjLb1EEEEE10hipError_tT1_PNSt15iterator_traitsISG_E10value_typeET2_T3_PNSH_ISM_E10value_typeET4_T5_PSR_SS_PNS1_23onesweep_lookback_stateEbbT6_jjT7_P12ihipStream_tbENKUlT_T0_SG_SL_E_clIS9_SA_SB_SB_EEDaSZ_S10_SG_SL_EUlSZ_E_NS1_11comp_targetILNS1_3genE0ELNS1_11target_archE4294967295ELNS1_3gpuE0ELNS1_3repE0EEENS1_47radix_sort_onesweep_sort_config_static_selectorELNS0_4arch9wavefront6targetE0EEEvSG_,@function
_ZN7rocprim17ROCPRIM_400000_NS6detail17trampoline_kernelINS0_14default_configENS1_35radix_sort_onesweep_config_selectorIsNS0_10empty_typeEEEZZNS1_29radix_sort_onesweep_iterationIS3_Lb0EPKsPsPS5_SB_mNS0_19identity_decomposerENS1_16block_id_wrapperIjLb1EEEEE10hipError_tT1_PNSt15iterator_traitsISG_E10value_typeET2_T3_PNSH_ISM_E10value_typeET4_T5_PSR_SS_PNS1_23onesweep_lookback_stateEbbT6_jjT7_P12ihipStream_tbENKUlT_T0_SG_SL_E_clIS9_SA_SB_SB_EEDaSZ_S10_SG_SL_EUlSZ_E_NS1_11comp_targetILNS1_3genE0ELNS1_11target_archE4294967295ELNS1_3gpuE0ELNS1_3repE0EEENS1_47radix_sort_onesweep_sort_config_static_selectorELNS0_4arch9wavefront6targetE0EEEvSG_: ; @_ZN7rocprim17ROCPRIM_400000_NS6detail17trampoline_kernelINS0_14default_configENS1_35radix_sort_onesweep_config_selectorIsNS0_10empty_typeEEEZZNS1_29radix_sort_onesweep_iterationIS3_Lb0EPKsPsPS5_SB_mNS0_19identity_decomposerENS1_16block_id_wrapperIjLb1EEEEE10hipError_tT1_PNSt15iterator_traitsISG_E10value_typeET2_T3_PNSH_ISM_E10value_typeET4_T5_PSR_SS_PNS1_23onesweep_lookback_stateEbbT6_jjT7_P12ihipStream_tbENKUlT_T0_SG_SL_E_clIS9_SA_SB_SB_EEDaSZ_S10_SG_SL_EUlSZ_E_NS1_11comp_targetILNS1_3genE0ELNS1_11target_archE4294967295ELNS1_3gpuE0ELNS1_3repE0EEENS1_47radix_sort_onesweep_sort_config_static_selectorELNS0_4arch9wavefront6targetE0EEEvSG_
; %bb.0:
	s_clause 0x1
	s_load_b128 s[12:15], s[0:1], 0x28
	s_load_b64 s[10:11], s[0:1], 0x38
	v_and_b32_e32 v14, 0x3ff, v0
	s_delay_alu instid0(VALU_DEP_1)
	v_cmp_eq_u32_e64 s2, 0, v14
	s_and_saveexec_b32 s3, s2
	s_cbranch_execz .LBB713_4
; %bb.1:
	s_mov_b32 s5, exec_lo
	s_mov_b32 s4, exec_lo
	v_mbcnt_lo_u32_b32 v1, s5, 0
                                        ; implicit-def: $vgpr2
	s_delay_alu instid0(VALU_DEP_1)
	v_cmpx_eq_u32_e32 0, v1
	s_cbranch_execz .LBB713_3
; %bb.2:
	s_load_b64 s[6:7], s[0:1], 0x50
	s_bcnt1_i32_b32 s5, s5
	s_delay_alu instid0(SALU_CYCLE_1)
	v_dual_mov_b32 v2, 0 :: v_dual_mov_b32 v3, s5
	s_wait_xcnt 0x0
	s_wait_kmcnt 0x0
	global_atomic_add_u32 v2, v2, v3, s[6:7] th:TH_ATOMIC_RETURN scope:SCOPE_DEV
.LBB713_3:
	s_wait_xcnt 0x0
	s_or_b32 exec_lo, exec_lo, s4
	s_wait_loadcnt 0x0
	v_readfirstlane_b32 s4, v2
	s_delay_alu instid0(VALU_DEP_1)
	v_dual_mov_b32 v2, 0 :: v_dual_add_nc_u32 v1, s4, v1
	ds_store_b32 v2, v1 offset:18496
.LBB713_4:
	s_or_b32 exec_lo, exec_lo, s3
	v_mov_b32_e32 v5, 0
	s_clause 0x2
	s_load_b128 s[16:19], s[0:1], 0x0
	s_load_b32 s3, s[0:1], 0x20
	s_load_b96 s[20:22], s[0:1], 0x44
	s_wait_dscnt 0x0
	s_barrier_signal -1
	s_barrier_wait -1
	ds_load_b32 v1, v5 offset:18496
	v_mbcnt_lo_u32_b32 v15, -1, 0
	v_and_b32_e32 v16, 0x3e0, v14
	s_mov_b32 s4, -1
	s_add_nc_u64 s[26:27], s[0:1], 0x58
	s_getreg_b32 s28, hwreg(HW_REG_IB_STS2, 6, 4)
	s_wait_dscnt 0x0
	s_barrier_signal -1
	s_barrier_wait -1
	s_wait_kmcnt 0x0
	v_cmp_le_u32_e32 vcc_lo, s22, v1
	v_readfirstlane_b32 s23, v1
	s_mul_i32 s24, s23, 0x1800
	s_cbranch_vccz .LBB713_100
; %bb.5:
	s_mov_b32 s25, 0
	v_mov_b32_e32 v2, 0x7fff7fff
	v_lshlrev_b32_e32 v4, 1, v15
	s_lshl_b64 s[4:5], s[24:25], 1
	v_mul_u32_u24_e32 v3, 12, v16
	s_add_nc_u64 s[4:5], s[16:17], s[4:5]
	s_mulk_i32 s22, 0xe800
	v_add_nc_u64_e32 v[6:7], s[4:5], v[4:5]
	s_add_co_i32 s22, s22, s3
	v_dual_lshlrev_b32 v4, 1, v3 :: v_dual_bitop2_b32 v1, v15, v3 bitop3:0x54
	v_mov_b32_e32 v3, v2
	s_mov_b32 s3, exec_lo
	s_delay_alu instid0(VALU_DEP_2)
	v_add_nc_u64_e32 v[10:11], v[6:7], v[4:5]
	v_dual_mov_b32 v4, v2 :: v_dual_mov_b32 v5, v2
	v_dual_mov_b32 v6, v2 :: v_dual_mov_b32 v7, v2
	v_cmpx_gt_u32_e64 s22, v1
	s_cbranch_execz .LBB713_7
; %bb.6:
	global_load_u16 v3, v[10:11], off
	s_movk_i32 s4, 0x7fff
	v_dual_mov_b32 v5, v2 :: v_dual_mov_b32 v6, v2
	v_dual_mov_b32 v7, v2 :: v_dual_mov_b32 v8, v2
	v_mov_b32_e32 v9, v2
	s_wait_loadcnt 0x0
	v_perm_b32 v4, s4, v3, 0x5040100
	s_delay_alu instid0(VALU_DEP_1)
	v_mov_b64_e32 v[2:3], v[4:5]
	v_mov_b64_e32 v[4:5], v[6:7]
	;; [unrolled: 1-line block ×4, first 2 shown]
.LBB713_7:
	s_or_b32 exec_lo, exec_lo, s3
	v_or_b32_e32 v8, 32, v1
	s_mov_b32 s3, exec_lo
	s_delay_alu instid0(VALU_DEP_1)
	v_cmpx_gt_u32_e64 s22, v8
	s_cbranch_execz .LBB713_9
; %bb.8:
	global_load_u16 v8, v[10:11], off offset:64
	s_wait_loadcnt 0x0
	v_perm_b32 v2, v8, v2, 0x5040100
.LBB713_9:
	s_or_b32 exec_lo, exec_lo, s3
	v_or_b32_e32 v8, 64, v1
	s_mov_b32 s3, exec_lo
	s_delay_alu instid0(VALU_DEP_1)
	v_cmpx_gt_u32_e64 s22, v8
	s_cbranch_execz .LBB713_11
; %bb.10:
	global_load_u16 v8, v[10:11], off offset:128
	s_wait_loadcnt 0x0
	v_bfi_b32 v3, 0xffff, v8, v3
.LBB713_11:
	s_or_b32 exec_lo, exec_lo, s3
	v_or_b32_e32 v8, 0x60, v1
	s_mov_b32 s3, exec_lo
	s_delay_alu instid0(VALU_DEP_1)
	v_cmpx_gt_u32_e64 s22, v8
	s_cbranch_execz .LBB713_13
; %bb.12:
	global_load_u16 v8, v[10:11], off offset:192
	s_wait_loadcnt 0x0
	v_perm_b32 v3, v8, v3, 0x5040100
.LBB713_13:
	s_or_b32 exec_lo, exec_lo, s3
	v_add_nc_u32_e32 v8, 0x80, v1
	s_mov_b32 s3, exec_lo
	s_delay_alu instid0(VALU_DEP_1)
	v_cmpx_gt_u32_e64 s22, v8
	s_cbranch_execz .LBB713_15
; %bb.14:
	global_load_u16 v8, v[10:11], off offset:256
	s_wait_loadcnt 0x0
	v_bfi_b32 v4, 0xffff, v8, v4
.LBB713_15:
	s_or_b32 exec_lo, exec_lo, s3
	v_add_nc_u32_e32 v8, 0xa0, v1
	s_mov_b32 s3, exec_lo
	s_delay_alu instid0(VALU_DEP_1)
	v_cmpx_gt_u32_e64 s22, v8
	s_cbranch_execz .LBB713_17
; %bb.16:
	global_load_u16 v8, v[10:11], off offset:320
	s_wait_loadcnt 0x0
	v_perm_b32 v4, v8, v4, 0x5040100
.LBB713_17:
	s_or_b32 exec_lo, exec_lo, s3
	v_add_nc_u32_e32 v8, 0xc0, v1
	s_mov_b32 s3, exec_lo
	s_delay_alu instid0(VALU_DEP_1)
	v_cmpx_gt_u32_e64 s22, v8
	s_cbranch_execz .LBB713_19
; %bb.18:
	global_load_u16 v8, v[10:11], off offset:384
	s_wait_loadcnt 0x0
	v_bfi_b32 v5, 0xffff, v8, v5
.LBB713_19:
	s_or_b32 exec_lo, exec_lo, s3
	v_add_nc_u32_e32 v8, 0xe0, v1
	;; [unrolled: 22-line block ×4, first 2 shown]
	s_mov_b32 s3, exec_lo
	s_delay_alu instid0(VALU_DEP_1)
	v_cmpx_gt_u32_e64 s22, v1
	s_cbranch_execz .LBB713_29
; %bb.28:
	global_load_u16 v1, v[10:11], off offset:704
	s_wait_loadcnt 0x0
	v_perm_b32 v7, v1, v7, 0x5040100
.LBB713_29:
	s_or_b32 exec_lo, exec_lo, s3
	s_clause 0x1
	s_load_b32 s25, s[0:1], 0x58
	s_load_u16 s3, s[0:1], 0x66
	v_xor_b32_e32 v1, 0xffff8000, v2
	s_bfe_u32 s4, ttmp6, 0x4000c
	s_and_b32 s5, ttmp6, 15
	s_add_co_i32 s4, s4, 1
	v_bfe_u32 v8, v0, 10, 10
	s_mul_i32 s4, ttmp9, s4
	v_and_b32_e32 v9, 0xffff, v1
	s_add_co_i32 s5, s5, s4
	s_cmp_eq_u32 s28, 0
	v_bfe_u32 v10, v0, 20, 10
	s_cselect_b32 s4, ttmp9, s5
	v_lshrrev_b32_e32 v9, s20, v9
	s_mov_b32 s5, 0
	s_wait_kmcnt 0x0
	s_cmp_lt_u32 s4, s25
	v_mad_u32_u24 v8, v10, s3, v8
	s_cselect_b32 s4, 12, 18
	s_lshl_b32 s6, -1, s21
	s_add_nc_u64 s[4:5], s[26:27], s[4:5]
	v_bitop3_b32 v11, v9, s6, v9 bitop3:0x30
	s_load_u16 s7, s[4:5], 0x0
	s_not_b32 s29, s6
	s_delay_alu instid0(VALU_DEP_1) | instskip(SKIP_3) | instid1(VALU_DEP_3)
	v_lshlrev_b32_e32 v12, 30, v11
	v_bitop3_b32 v10, v9, 1, s6 bitop3:0x40
	v_dual_lshlrev_b32 v13, 29, v11 :: v_dual_lshlrev_b32 v17, 28, v11
	v_dual_lshlrev_b32 v18, 27, v11 :: v_dual_lshlrev_b32 v19, 26, v11
	v_add_co_u32 v9, s3, v10, -1
	s_delay_alu instid0(VALU_DEP_1)
	v_cndmask_b32_e64 v10, 0, 1, s3
	v_cmp_gt_i32_e64 s3, 0, v12
	s_wait_xcnt 0x0
	v_cmp_gt_i32_e64 s4, 0, v13
	v_cmp_gt_i32_e64 s5, 0, v17
	v_dual_lshlrev_b32 v20, 25, v11 :: v_dual_lshlrev_b32 v21, 24, v11
	v_cmp_ne_u32_e32 vcc_lo, 0, v10
	v_not_b32_e32 v10, v12
	v_not_b32_e32 v12, v13
	;; [unrolled: 1-line block ×4, first 2 shown]
	s_delay_alu instid0(VALU_DEP_4) | instskip(NEXT) | instid1(VALU_DEP_3)
	v_dual_ashrrev_i32 v10, 31, v10 :: v_dual_bitop2_b32 v9, vcc_lo, v9 bitop3:0x14
	v_dual_ashrrev_i32 v12, 31, v12 :: v_dual_ashrrev_i32 v13, 31, v13
	v_not_b32_e32 v22, v19
	s_wait_kmcnt 0x0
	v_mad_u32 v8, v8, s7, v14
	v_xor_b32_e32 v10, s3, v10
	v_xor_b32_e32 v12, s4, v12
	v_xor_b32_e32 v13, s5, v13
	v_cmp_gt_i32_e32 vcc_lo, 0, v18
	v_cmp_gt_i32_e64 s3, 0, v19
	v_bitop3_b32 v9, v9, v10, exec_lo bitop3:0x80
	v_dual_ashrrev_i32 v10, 31, v17 :: v_dual_ashrrev_i32 v17, 31, v22
	v_mul_u32_u24_e32 v11, 0x44, v11
	s_delay_alu instid0(VALU_DEP_3)
	v_bitop3_b32 v9, v9, v13, v12 bitop3:0x80
	v_not_b32_e32 v12, v20
	v_not_b32_e32 v13, v21
	v_xor_b32_e32 v10, vcc_lo, v10
	v_dual_lshrrev_b32 v8, 3, v8 :: v_dual_bitop2_b32 v17, s3, v17 bitop3:0x14
	v_cmp_gt_i32_e32 vcc_lo, 0, v20
	v_ashrrev_i32_e32 v18, 31, v12
	v_cmp_gt_i32_e64 s3, 0, v21
	v_ashrrev_i32_e32 v13, 31, v13
	v_bitop3_b32 v9, v9, v17, v10 bitop3:0x80
	s_delay_alu instid0(VALU_DEP_4) | instskip(SKIP_1) | instid1(VALU_DEP_4)
	v_dual_mov_b32 v17, 0 :: v_dual_bitop2_b32 v10, vcc_lo, v18 bitop3:0x14
	v_and_b32_e32 v8, 0x1ffffffc, v8
	v_xor_b32_e32 v13, s3, v13
	v_mul_u32_u24_e32 v12, 36, v14
	ds_store_2addr_b32 v12, v17, v17 offset0:16 offset1:17
	ds_store_2addr_b32 v12, v17, v17 offset0:18 offset1:19
	ds_store_2addr_b32 v12, v17, v17 offset0:20 offset1:21
	ds_store_2addr_b32 v12, v17, v17 offset0:22 offset1:23
	v_bitop3_b32 v9, v9, v13, v10 bitop3:0x80
	v_add_nc_u32_e32 v13, v8, v11
	ds_store_b32 v12, v17 offset:96
	s_wait_dscnt 0x0
	s_barrier_signal -1
	v_mbcnt_lo_u32_b32 v10, v9, 0
	v_cmp_ne_u32_e64 s3, 0, v9
	s_barrier_wait -1
	s_delay_alu instid0(VALU_DEP_2) | instskip(SKIP_1) | instid1(SALU_CYCLE_1)
	v_cmp_eq_u32_e32 vcc_lo, 0, v10
	; wave barrier
	s_and_b32 s4, s3, vcc_lo
	s_and_saveexec_b32 s3, s4
; %bb.30:
	v_bcnt_u32_b32 v9, v9, 0
	ds_store_b32 v13, v9 offset:64
; %bb.31:
	s_or_b32 exec_lo, exec_lo, s3
	v_lshrrev_b32_e32 v2, 16, v2
	; wave barrier
	s_delay_alu instid0(VALU_DEP_1) | instskip(NEXT) | instid1(VALU_DEP_1)
	v_xor_b32_e32 v11, 0xffff8000, v2
	v_and_b32_e32 v2, 0xffff, v11
	s_delay_alu instid0(VALU_DEP_1) | instskip(NEXT) | instid1(VALU_DEP_1)
	v_lshrrev_b32_e32 v2, s20, v2
	v_and_b32_e32 v17, s29, v2
	s_delay_alu instid0(VALU_DEP_1) | instskip(SKIP_2) | instid1(VALU_DEP_3)
	v_lshlrev_b32_e32 v19, 29, v17
	v_bitop3_b32 v9, v2, 1, s29 bitop3:0x80
	v_lshlrev_b32_e32 v18, 30, v17
	v_cmp_gt_i32_e64 s4, 0, v19
	s_delay_alu instid0(VALU_DEP_3) | instskip(NEXT) | instid1(VALU_DEP_1)
	v_add_co_u32 v2, s3, v9, -1
	v_cndmask_b32_e64 v9, 0, 1, s3
	s_delay_alu instid0(VALU_DEP_4) | instskip(NEXT) | instid1(VALU_DEP_2)
	v_cmp_gt_i32_e64 s3, 0, v18
	v_cmp_ne_u32_e32 vcc_lo, 0, v9
	v_not_b32_e32 v9, v18
	v_not_b32_e32 v18, v19
	s_delay_alu instid0(VALU_DEP_2) | instskip(SKIP_3) | instid1(VALU_DEP_3)
	v_dual_ashrrev_i32 v9, 31, v9 :: v_dual_bitop2_b32 v2, vcc_lo, v2 bitop3:0x14
	v_dual_lshlrev_b32 v20, 28, v17 :: v_dual_lshlrev_b32 v21, 27, v17
	v_dual_lshlrev_b32 v22, 26, v17 :: v_dual_lshlrev_b32 v23, 25, v17
	v_lshlrev_b32_e32 v24, 24, v17
	v_not_b32_e32 v19, v20
	v_cmp_gt_i32_e64 s5, 0, v20
	v_cmp_gt_i32_e64 s6, 0, v21
	v_not_b32_e32 v20, v21
	v_not_b32_e32 v21, v22
	v_dual_ashrrev_i32 v18, 31, v18 :: v_dual_ashrrev_i32 v19, 31, v19
	s_delay_alu instid0(VALU_DEP_3)
	v_dual_ashrrev_i32 v20, 31, v20 :: v_dual_bitop2_b32 v9, s3, v9 bitop3:0x14
	v_cmp_gt_i32_e64 s7, 0, v22
	v_cmp_gt_i32_e64 s8, 0, v23
	v_not_b32_e32 v22, v23
	v_not_b32_e32 v23, v24
	v_dual_ashrrev_i32 v21, 31, v21 :: v_dual_bitop2_b32 v18, s4, v18 bitop3:0x14
	v_xor_b32_e32 v19, s5, v19
	v_bitop3_b32 v2, v2, v9, exec_lo bitop3:0x80
	v_cmp_gt_i32_e64 s9, 0, v24
	v_dual_ashrrev_i32 v9, 31, v22 :: v_dual_ashrrev_i32 v22, 31, v23
	v_xor_b32_e32 v20, s6, v20
	v_xor_b32_e32 v21, s7, v21
	v_bitop3_b32 v2, v2, v19, v18 bitop3:0x80
	v_mad_u32_u24 v18, 0x44, v17, v8
	v_xor_b32_e32 v9, s8, v9
	v_xor_b32_e32 v19, s9, v22
	s_delay_alu instid0(VALU_DEP_4) | instskip(SKIP_3) | instid1(VALU_DEP_2)
	v_bitop3_b32 v2, v2, v21, v20 bitop3:0x80
	ds_load_b32 v18, v18 offset:64
	; wave barrier
	v_bitop3_b32 v2, v2, v19, v9 bitop3:0x80
	v_mul_u32_u24_e32 v9, 0x44, v17
	v_mbcnt_lo_u32_b32 v19, v2, 0
	v_cmp_ne_u32_e64 s3, 0, v2
	s_delay_alu instid0(VALU_DEP_3) | instskip(NEXT) | instid1(VALU_DEP_3)
	v_add_nc_u32_e32 v20, v8, v9
	v_cmp_eq_u32_e32 vcc_lo, 0, v19
	s_and_b32 s4, s3, vcc_lo
	s_delay_alu instid0(SALU_CYCLE_1)
	s_and_saveexec_b32 s3, s4
	s_cbranch_execz .LBB713_33
; %bb.32:
	s_wait_dscnt 0x0
	v_bcnt_u32_b32 v2, v2, v18
	ds_store_b32 v20, v2 offset:64
.LBB713_33:
	s_or_b32 exec_lo, exec_lo, s3
	v_xor_b32_e32 v17, 0xffff8000, v3
	; wave barrier
	s_delay_alu instid0(VALU_DEP_1) | instskip(NEXT) | instid1(VALU_DEP_1)
	v_and_b32_e32 v2, 0xffff, v17
	v_lshrrev_b32_e32 v2, s20, v2
	s_delay_alu instid0(VALU_DEP_1) | instskip(NEXT) | instid1(VALU_DEP_1)
	v_and_b32_e32 v21, s29, v2
	v_lshlrev_b32_e32 v22, 30, v21
	v_bitop3_b32 v9, v2, 1, s29 bitop3:0x80
	s_delay_alu instid0(VALU_DEP_1) | instskip(NEXT) | instid1(VALU_DEP_1)
	v_add_co_u32 v2, s3, v9, -1
	v_cndmask_b32_e64 v9, 0, 1, s3
	s_delay_alu instid0(VALU_DEP_4) | instskip(NEXT) | instid1(VALU_DEP_2)
	v_cmp_gt_i32_e64 s3, 0, v22
	v_cmp_ne_u32_e32 vcc_lo, 0, v9
	v_not_b32_e32 v9, v22
	s_delay_alu instid0(VALU_DEP_1) | instskip(SKIP_3) | instid1(VALU_DEP_3)
	v_ashrrev_i32_e32 v9, 31, v9
	v_dual_lshlrev_b32 v23, 29, v21 :: v_dual_lshlrev_b32 v24, 28, v21
	v_dual_lshlrev_b32 v25, 27, v21 :: v_dual_lshlrev_b32 v26, 26, v21
	;; [unrolled: 1-line block ×3, first 2 shown]
	v_cmp_gt_i32_e64 s4, 0, v23
	v_not_b32_e32 v22, v23
	v_not_b32_e32 v23, v24
	v_cmp_gt_i32_e64 s5, 0, v24
	v_cmp_gt_i32_e64 s6, 0, v25
	v_not_b32_e32 v24, v25
	v_not_b32_e32 v25, v26
	v_dual_ashrrev_i32 v23, 31, v23 :: v_dual_bitop2_b32 v2, vcc_lo, v2 bitop3:0x14
	v_dual_ashrrev_i32 v22, 31, v22 :: v_dual_bitop2_b32 v9, s3, v9 bitop3:0x14
	v_cmp_gt_i32_e64 s7, 0, v26
	v_cmp_gt_i32_e64 s8, 0, v27
	v_not_b32_e32 v26, v27
	v_not_b32_e32 v27, v28
	v_dual_ashrrev_i32 v24, 31, v24 :: v_dual_ashrrev_i32 v25, 31, v25
	v_xor_b32_e32 v22, s4, v22
	v_xor_b32_e32 v23, s5, v23
	v_bitop3_b32 v2, v2, v9, exec_lo bitop3:0x80
	v_cmp_gt_i32_e64 s9, 0, v28
	v_dual_ashrrev_i32 v9, 31, v26 :: v_dual_ashrrev_i32 v26, 31, v27
	v_xor_b32_e32 v24, s6, v24
	v_xor_b32_e32 v25, s7, v25
	v_bitop3_b32 v2, v2, v23, v22 bitop3:0x80
	v_mad_u32_u24 v22, 0x44, v21, v8
	v_xor_b32_e32 v9, s8, v9
	v_xor_b32_e32 v23, s9, v26
	s_delay_alu instid0(VALU_DEP_4) | instskip(SKIP_3) | instid1(VALU_DEP_2)
	v_bitop3_b32 v2, v2, v25, v24 bitop3:0x80
	ds_load_b32 v22, v22 offset:64
	; wave barrier
	v_bitop3_b32 v2, v2, v23, v9 bitop3:0x80
	v_mul_u32_u24_e32 v9, 0x44, v21
	v_mbcnt_lo_u32_b32 v23, v2, 0
	v_cmp_ne_u32_e64 s3, 0, v2
	s_delay_alu instid0(VALU_DEP_3) | instskip(NEXT) | instid1(VALU_DEP_3)
	v_add_nc_u32_e32 v24, v8, v9
	v_cmp_eq_u32_e32 vcc_lo, 0, v23
	s_and_b32 s4, s3, vcc_lo
	s_delay_alu instid0(SALU_CYCLE_1)
	s_and_saveexec_b32 s3, s4
	s_cbranch_execz .LBB713_35
; %bb.34:
	s_wait_dscnt 0x0
	v_bcnt_u32_b32 v2, v2, v22
	ds_store_b32 v24, v2 offset:64
.LBB713_35:
	s_or_b32 exec_lo, exec_lo, s3
	v_lshrrev_b32_e32 v2, 16, v3
	; wave barrier
	s_delay_alu instid0(VALU_DEP_1) | instskip(NEXT) | instid1(VALU_DEP_1)
	v_xor_b32_e32 v21, 0xffff8000, v2
	v_and_b32_e32 v2, 0xffff, v21
	s_delay_alu instid0(VALU_DEP_1) | instskip(NEXT) | instid1(VALU_DEP_1)
	v_lshrrev_b32_e32 v2, s20, v2
	v_and_b32_e32 v9, s29, v2
	s_delay_alu instid0(VALU_DEP_1) | instskip(SKIP_2) | instid1(VALU_DEP_3)
	v_lshlrev_b32_e32 v26, 29, v9
	v_bitop3_b32 v3, v2, 1, s29 bitop3:0x80
	v_lshlrev_b32_e32 v25, 30, v9
	v_cmp_gt_i32_e64 s4, 0, v26
	s_delay_alu instid0(VALU_DEP_3) | instskip(NEXT) | instid1(VALU_DEP_1)
	v_add_co_u32 v2, s3, v3, -1
	v_cndmask_b32_e64 v3, 0, 1, s3
	s_delay_alu instid0(VALU_DEP_4) | instskip(NEXT) | instid1(VALU_DEP_2)
	v_cmp_gt_i32_e64 s3, 0, v25
	v_cmp_ne_u32_e32 vcc_lo, 0, v3
	v_not_b32_e32 v3, v25
	v_not_b32_e32 v25, v26
	s_delay_alu instid0(VALU_DEP_2) | instskip(SKIP_3) | instid1(VALU_DEP_3)
	v_dual_ashrrev_i32 v3, 31, v3 :: v_dual_bitop2_b32 v2, vcc_lo, v2 bitop3:0x14
	v_dual_lshlrev_b32 v27, 28, v9 :: v_dual_lshlrev_b32 v28, 27, v9
	v_dual_lshlrev_b32 v29, 26, v9 :: v_dual_lshlrev_b32 v30, 25, v9
	v_lshlrev_b32_e32 v31, 24, v9
	v_not_b32_e32 v26, v27
	v_cmp_gt_i32_e64 s5, 0, v27
	v_cmp_gt_i32_e64 s6, 0, v28
	v_not_b32_e32 v27, v28
	v_not_b32_e32 v28, v29
	v_dual_ashrrev_i32 v25, 31, v25 :: v_dual_ashrrev_i32 v26, 31, v26
	v_xor_b32_e32 v3, s3, v3
	v_cmp_gt_i32_e64 s7, 0, v29
	v_cmp_gt_i32_e64 s8, 0, v30
	v_not_b32_e32 v29, v30
	v_not_b32_e32 v30, v31
	v_dual_ashrrev_i32 v27, 31, v27 :: v_dual_bitop2_b32 v25, s4, v25 bitop3:0x14
	v_dual_ashrrev_i32 v28, 31, v28 :: v_dual_bitop2_b32 v26, s5, v26 bitop3:0x14
	v_bitop3_b32 v2, v2, v3, exec_lo bitop3:0x80
	v_cmp_gt_i32_e64 s9, 0, v31
	v_dual_ashrrev_i32 v3, 31, v29 :: v_dual_ashrrev_i32 v29, 31, v30
	v_xor_b32_e32 v27, s6, v27
	v_xor_b32_e32 v28, s7, v28
	v_bitop3_b32 v2, v2, v26, v25 bitop3:0x80
	v_mad_u32_u24 v25, 0x44, v9, v8
	v_xor_b32_e32 v3, s8, v3
	v_xor_b32_e32 v29, s9, v29
	s_delay_alu instid0(VALU_DEP_4) | instskip(SKIP_3) | instid1(VALU_DEP_2)
	v_bitop3_b32 v2, v2, v28, v27 bitop3:0x80
	ds_load_b32 v26, v25 offset:64
	; wave barrier
	v_bitop3_b32 v2, v2, v29, v3 bitop3:0x80
	v_mul_u32_u24_e32 v3, 0x44, v9
	v_mbcnt_lo_u32_b32 v27, v2, 0
	v_cmp_ne_u32_e64 s3, 0, v2
	s_delay_alu instid0(VALU_DEP_3) | instskip(NEXT) | instid1(VALU_DEP_3)
	v_add_nc_u32_e32 v28, v8, v3
	v_cmp_eq_u32_e32 vcc_lo, 0, v27
	s_and_b32 s4, s3, vcc_lo
	s_delay_alu instid0(SALU_CYCLE_1)
	s_and_saveexec_b32 s3, s4
	s_cbranch_execz .LBB713_37
; %bb.36:
	s_wait_dscnt 0x0
	v_bcnt_u32_b32 v2, v2, v26
	ds_store_b32 v28, v2 offset:64
.LBB713_37:
	s_or_b32 exec_lo, exec_lo, s3
	v_xor_b32_e32 v25, 0xffff8000, v4
	; wave barrier
	s_delay_alu instid0(VALU_DEP_1) | instskip(NEXT) | instid1(VALU_DEP_1)
	v_and_b32_e32 v2, 0xffff, v25
	v_lshrrev_b32_e32 v2, s20, v2
	s_delay_alu instid0(VALU_DEP_1) | instskip(NEXT) | instid1(VALU_DEP_1)
	v_and_b32_e32 v9, s29, v2
	v_lshlrev_b32_e32 v29, 30, v9
	v_bitop3_b32 v3, v2, 1, s29 bitop3:0x80
	s_delay_alu instid0(VALU_DEP_1) | instskip(NEXT) | instid1(VALU_DEP_1)
	v_add_co_u32 v2, s3, v3, -1
	v_cndmask_b32_e64 v3, 0, 1, s3
	s_delay_alu instid0(VALU_DEP_4) | instskip(NEXT) | instid1(VALU_DEP_2)
	v_cmp_gt_i32_e64 s3, 0, v29
	v_cmp_ne_u32_e32 vcc_lo, 0, v3
	v_not_b32_e32 v3, v29
	s_delay_alu instid0(VALU_DEP_1) | instskip(SKIP_3) | instid1(VALU_DEP_4)
	v_dual_ashrrev_i32 v3, 31, v3 :: v_dual_lshlrev_b32 v30, 29, v9
	v_dual_lshlrev_b32 v31, 28, v9 :: v_dual_lshlrev_b32 v32, 27, v9
	v_dual_lshlrev_b32 v33, 26, v9 :: v_dual_lshlrev_b32 v34, 25, v9
	v_lshlrev_b32_e32 v35, 24, v9
	v_cmp_gt_i32_e64 s4, 0, v30
	v_not_b32_e32 v29, v30
	v_not_b32_e32 v30, v31
	v_cmp_gt_i32_e64 s5, 0, v31
	v_cmp_gt_i32_e64 s6, 0, v32
	v_not_b32_e32 v31, v32
	v_not_b32_e32 v32, v33
	v_dual_ashrrev_i32 v29, 31, v29 :: v_dual_bitop2_b32 v2, vcc_lo, v2 bitop3:0x14
	v_dual_ashrrev_i32 v30, 31, v30 :: v_dual_bitop2_b32 v3, s3, v3 bitop3:0x14
	v_cmp_gt_i32_e64 s7, 0, v33
	v_cmp_gt_i32_e64 s8, 0, v34
	v_not_b32_e32 v33, v34
	v_not_b32_e32 v34, v35
	v_dual_ashrrev_i32 v31, 31, v31 :: v_dual_ashrrev_i32 v32, 31, v32
	v_xor_b32_e32 v29, s4, v29
	v_xor_b32_e32 v30, s5, v30
	v_bitop3_b32 v2, v2, v3, exec_lo bitop3:0x80
	v_cmp_gt_i32_e64 s9, 0, v35
	v_dual_ashrrev_i32 v3, 31, v33 :: v_dual_ashrrev_i32 v33, 31, v34
	v_xor_b32_e32 v31, s6, v31
	v_xor_b32_e32 v32, s7, v32
	v_bitop3_b32 v2, v2, v30, v29 bitop3:0x80
	v_mad_u32_u24 v29, 0x44, v9, v8
	v_xor_b32_e32 v3, s8, v3
	v_xor_b32_e32 v30, s9, v33
	s_delay_alu instid0(VALU_DEP_4) | instskip(SKIP_3) | instid1(VALU_DEP_2)
	v_bitop3_b32 v2, v2, v32, v31 bitop3:0x80
	ds_load_b32 v29, v29 offset:64
	; wave barrier
	v_bitop3_b32 v2, v2, v30, v3 bitop3:0x80
	v_mul_u32_u24_e32 v3, 0x44, v9
	v_mbcnt_lo_u32_b32 v31, v2, 0
	v_cmp_ne_u32_e64 s3, 0, v2
	s_delay_alu instid0(VALU_DEP_3) | instskip(NEXT) | instid1(VALU_DEP_3)
	v_add_nc_u32_e32 v32, v8, v3
	v_cmp_eq_u32_e32 vcc_lo, 0, v31
	s_and_b32 s4, s3, vcc_lo
	s_delay_alu instid0(SALU_CYCLE_1)
	s_and_saveexec_b32 s3, s4
	s_cbranch_execz .LBB713_39
; %bb.38:
	s_wait_dscnt 0x0
	v_bcnt_u32_b32 v2, v2, v29
	ds_store_b32 v32, v2 offset:64
.LBB713_39:
	s_or_b32 exec_lo, exec_lo, s3
	v_lshrrev_b32_e32 v2, 16, v4
	; wave barrier
	s_delay_alu instid0(VALU_DEP_1) | instskip(NEXT) | instid1(VALU_DEP_1)
	v_xor_b32_e32 v30, 0xffff8000, v2
	v_and_b32_e32 v2, 0xffff, v30
	s_delay_alu instid0(VALU_DEP_1) | instskip(NEXT) | instid1(VALU_DEP_1)
	v_lshrrev_b32_e32 v2, s20, v2
	v_and_b32_e32 v4, s29, v2
	s_delay_alu instid0(VALU_DEP_1) | instskip(SKIP_2) | instid1(VALU_DEP_3)
	v_lshlrev_b32_e32 v33, 29, v4
	v_bitop3_b32 v3, v2, 1, s29 bitop3:0x80
	v_lshlrev_b32_e32 v9, 30, v4
	v_cmp_gt_i32_e64 s4, 0, v33
	s_delay_alu instid0(VALU_DEP_3) | instskip(NEXT) | instid1(VALU_DEP_1)
	v_add_co_u32 v2, s3, v3, -1
	v_cndmask_b32_e64 v3, 0, 1, s3
	s_delay_alu instid0(VALU_DEP_4) | instskip(NEXT) | instid1(VALU_DEP_2)
	v_cmp_gt_i32_e64 s3, 0, v9
	v_cmp_ne_u32_e32 vcc_lo, 0, v3
	v_not_b32_e32 v3, v9
	v_not_b32_e32 v9, v33
	s_delay_alu instid0(VALU_DEP_2) | instskip(SKIP_3) | instid1(VALU_DEP_3)
	v_dual_ashrrev_i32 v3, 31, v3 :: v_dual_bitop2_b32 v2, vcc_lo, v2 bitop3:0x14
	v_dual_lshlrev_b32 v34, 28, v4 :: v_dual_lshlrev_b32 v35, 27, v4
	v_dual_lshlrev_b32 v36, 26, v4 :: v_dual_lshlrev_b32 v37, 25, v4
	v_lshlrev_b32_e32 v38, 24, v4
	v_not_b32_e32 v33, v34
	v_cmp_gt_i32_e64 s5, 0, v34
	v_cmp_gt_i32_e64 s6, 0, v35
	v_not_b32_e32 v34, v35
	v_not_b32_e32 v35, v36
	v_dual_ashrrev_i32 v9, 31, v9 :: v_dual_bitop2_b32 v3, s3, v3 bitop3:0x14
	s_delay_alu instid0(VALU_DEP_3)
	v_dual_ashrrev_i32 v33, 31, v33 :: v_dual_ashrrev_i32 v34, 31, v34
	v_cmp_gt_i32_e64 s7, 0, v36
	v_cmp_gt_i32_e64 s8, 0, v37
	v_not_b32_e32 v36, v37
	v_not_b32_e32 v37, v38
	v_dual_ashrrev_i32 v35, 31, v35 :: v_dual_bitop2_b32 v9, s4, v9 bitop3:0x14
	v_xor_b32_e32 v33, s5, v33
	v_bitop3_b32 v2, v2, v3, exec_lo bitop3:0x80
	v_cmp_gt_i32_e64 s9, 0, v38
	v_dual_ashrrev_i32 v3, 31, v36 :: v_dual_ashrrev_i32 v36, 31, v37
	v_xor_b32_e32 v34, s6, v34
	v_xor_b32_e32 v35, s7, v35
	v_bitop3_b32 v2, v2, v33, v9 bitop3:0x80
	v_mad_u32_u24 v9, 0x44, v4, v8
	v_xor_b32_e32 v3, s8, v3
	v_xor_b32_e32 v36, s9, v36
	s_delay_alu instid0(VALU_DEP_4) | instskip(SKIP_3) | instid1(VALU_DEP_2)
	v_bitop3_b32 v2, v2, v35, v34 bitop3:0x80
	ds_load_b32 v33, v9 offset:64
	; wave barrier
	v_bitop3_b32 v2, v2, v36, v3 bitop3:0x80
	v_mul_u32_u24_e32 v3, 0x44, v4
	v_mbcnt_lo_u32_b32 v34, v2, 0
	v_cmp_ne_u32_e64 s3, 0, v2
	s_delay_alu instid0(VALU_DEP_3) | instskip(NEXT) | instid1(VALU_DEP_3)
	v_add_nc_u32_e32 v37, v8, v3
	v_cmp_eq_u32_e32 vcc_lo, 0, v34
	s_and_b32 s4, s3, vcc_lo
	s_delay_alu instid0(SALU_CYCLE_1)
	s_and_saveexec_b32 s3, s4
	s_cbranch_execz .LBB713_41
; %bb.40:
	s_wait_dscnt 0x0
	v_bcnt_u32_b32 v2, v2, v33
	ds_store_b32 v37, v2 offset:64
.LBB713_41:
	s_or_b32 exec_lo, exec_lo, s3
	v_xor_b32_e32 v35, 0xffff8000, v5
	; wave barrier
	s_delay_alu instid0(VALU_DEP_1) | instskip(NEXT) | instid1(VALU_DEP_1)
	v_and_b32_e32 v2, 0xffff, v35
	v_lshrrev_b32_e32 v2, s20, v2
	s_delay_alu instid0(VALU_DEP_1) | instskip(NEXT) | instid1(VALU_DEP_1)
	v_and_b32_e32 v4, s29, v2
	v_lshlrev_b32_e32 v9, 30, v4
	v_bitop3_b32 v3, v2, 1, s29 bitop3:0x80
	s_delay_alu instid0(VALU_DEP_1) | instskip(NEXT) | instid1(VALU_DEP_1)
	v_add_co_u32 v2, s3, v3, -1
	v_cndmask_b32_e64 v3, 0, 1, s3
	s_delay_alu instid0(VALU_DEP_4) | instskip(NEXT) | instid1(VALU_DEP_2)
	v_cmp_gt_i32_e64 s3, 0, v9
	v_cmp_ne_u32_e32 vcc_lo, 0, v3
	v_not_b32_e32 v3, v9
	s_delay_alu instid0(VALU_DEP_1) | instskip(SKIP_3) | instid1(VALU_DEP_4)
	v_dual_ashrrev_i32 v3, 31, v3 :: v_dual_lshlrev_b32 v36, 29, v4
	v_dual_lshlrev_b32 v38, 28, v4 :: v_dual_lshlrev_b32 v39, 27, v4
	v_dual_lshlrev_b32 v40, 26, v4 :: v_dual_lshlrev_b32 v41, 25, v4
	v_lshlrev_b32_e32 v42, 24, v4
	v_cmp_gt_i32_e64 s4, 0, v36
	v_not_b32_e32 v9, v36
	v_not_b32_e32 v36, v38
	v_cmp_gt_i32_e64 s5, 0, v38
	v_cmp_gt_i32_e64 s6, 0, v39
	v_not_b32_e32 v38, v39
	v_not_b32_e32 v39, v40
	v_dual_ashrrev_i32 v9, 31, v9 :: v_dual_bitop2_b32 v2, vcc_lo, v2 bitop3:0x14
	v_dual_ashrrev_i32 v36, 31, v36 :: v_dual_bitop2_b32 v3, s3, v3 bitop3:0x14
	v_cmp_gt_i32_e64 s7, 0, v40
	v_cmp_gt_i32_e64 s8, 0, v41
	v_not_b32_e32 v40, v41
	v_not_b32_e32 v41, v42
	v_dual_ashrrev_i32 v38, 31, v38 :: v_dual_ashrrev_i32 v39, 31, v39
	v_xor_b32_e32 v9, s4, v9
	v_xor_b32_e32 v36, s5, v36
	v_bitop3_b32 v2, v2, v3, exec_lo bitop3:0x80
	v_cmp_gt_i32_e64 s9, 0, v42
	v_dual_ashrrev_i32 v3, 31, v40 :: v_dual_ashrrev_i32 v40, 31, v41
	v_xor_b32_e32 v38, s6, v38
	v_xor_b32_e32 v39, s7, v39
	v_bitop3_b32 v2, v2, v36, v9 bitop3:0x80
	v_mad_u32_u24 v9, 0x44, v4, v8
	v_xor_b32_e32 v3, s8, v3
	v_xor_b32_e32 v36, s9, v40
	s_delay_alu instid0(VALU_DEP_4) | instskip(SKIP_3) | instid1(VALU_DEP_2)
	v_bitop3_b32 v2, v2, v39, v38 bitop3:0x80
	ds_load_b32 v38, v9 offset:64
	; wave barrier
	v_bitop3_b32 v2, v2, v36, v3 bitop3:0x80
	v_mul_u32_u24_e32 v3, 0x44, v4
	v_mbcnt_lo_u32_b32 v39, v2, 0
	v_cmp_ne_u32_e64 s3, 0, v2
	s_delay_alu instid0(VALU_DEP_3) | instskip(NEXT) | instid1(VALU_DEP_3)
	v_add_nc_u32_e32 v42, v8, v3
	v_cmp_eq_u32_e32 vcc_lo, 0, v39
	s_and_b32 s4, s3, vcc_lo
	s_delay_alu instid0(SALU_CYCLE_1)
	s_and_saveexec_b32 s3, s4
	s_cbranch_execz .LBB713_43
; %bb.42:
	s_wait_dscnt 0x0
	v_bcnt_u32_b32 v2, v2, v38
	ds_store_b32 v42, v2 offset:64
.LBB713_43:
	s_or_b32 exec_lo, exec_lo, s3
	v_lshrrev_b32_e32 v2, 16, v5
	; wave barrier
	s_delay_alu instid0(VALU_DEP_1) | instskip(NEXT) | instid1(VALU_DEP_1)
	v_xor_b32_e32 v36, 0xffff8000, v2
	v_and_b32_e32 v2, 0xffff, v36
	s_delay_alu instid0(VALU_DEP_1) | instskip(NEXT) | instid1(VALU_DEP_1)
	v_lshrrev_b32_e32 v2, s20, v2
	v_and_b32_e32 v4, s29, v2
	s_delay_alu instid0(VALU_DEP_1) | instskip(SKIP_2) | instid1(VALU_DEP_3)
	v_lshlrev_b32_e32 v9, 29, v4
	v_bitop3_b32 v3, v2, 1, s29 bitop3:0x80
	v_lshlrev_b32_e32 v5, 30, v4
	v_cmp_gt_i32_e64 s4, 0, v9
	s_delay_alu instid0(VALU_DEP_3) | instskip(NEXT) | instid1(VALU_DEP_1)
	v_add_co_u32 v2, s3, v3, -1
	v_cndmask_b32_e64 v3, 0, 1, s3
	s_delay_alu instid0(VALU_DEP_4) | instskip(NEXT) | instid1(VALU_DEP_2)
	v_cmp_gt_i32_e64 s3, 0, v5
	v_cmp_ne_u32_e32 vcc_lo, 0, v3
	v_not_b32_e32 v3, v5
	v_not_b32_e32 v5, v9
	s_delay_alu instid0(VALU_DEP_2) | instskip(SKIP_3) | instid1(VALU_DEP_3)
	v_dual_ashrrev_i32 v3, 31, v3 :: v_dual_bitop2_b32 v2, vcc_lo, v2 bitop3:0x14
	v_dual_lshlrev_b32 v40, 28, v4 :: v_dual_lshlrev_b32 v41, 27, v4
	v_dual_lshlrev_b32 v43, 26, v4 :: v_dual_lshlrev_b32 v44, 25, v4
	v_lshlrev_b32_e32 v45, 24, v4
	v_not_b32_e32 v9, v40
	v_cmp_gt_i32_e64 s5, 0, v40
	v_cmp_gt_i32_e64 s6, 0, v41
	v_not_b32_e32 v40, v41
	v_not_b32_e32 v41, v43
	v_dual_ashrrev_i32 v5, 31, v5 :: v_dual_bitop2_b32 v3, s3, v3 bitop3:0x14
	s_delay_alu instid0(VALU_DEP_3)
	v_dual_ashrrev_i32 v9, 31, v9 :: v_dual_ashrrev_i32 v40, 31, v40
	v_cmp_gt_i32_e64 s7, 0, v43
	v_cmp_gt_i32_e64 s8, 0, v44
	v_not_b32_e32 v43, v44
	v_not_b32_e32 v44, v45
	v_ashrrev_i32_e32 v41, 31, v41
	v_xor_b32_e32 v5, s4, v5
	v_xor_b32_e32 v9, s5, v9
	v_bitop3_b32 v2, v2, v3, exec_lo bitop3:0x80
	v_cmp_gt_i32_e64 s9, 0, v45
	v_dual_ashrrev_i32 v3, 31, v43 :: v_dual_ashrrev_i32 v43, 31, v44
	v_xor_b32_e32 v40, s6, v40
	v_xor_b32_e32 v41, s7, v41
	v_bitop3_b32 v2, v2, v9, v5 bitop3:0x80
	v_mad_u32_u24 v5, 0x44, v4, v8
	v_xor_b32_e32 v3, s8, v3
	v_xor_b32_e32 v9, s9, v43
	s_delay_alu instid0(VALU_DEP_4) | instskip(SKIP_3) | instid1(VALU_DEP_2)
	v_bitop3_b32 v2, v2, v41, v40 bitop3:0x80
	ds_load_b32 v41, v5 offset:64
	; wave barrier
	v_bitop3_b32 v2, v2, v9, v3 bitop3:0x80
	v_mul_u32_u24_e32 v3, 0x44, v4
	v_mbcnt_lo_u32_b32 v43, v2, 0
	v_cmp_ne_u32_e64 s3, 0, v2
	s_delay_alu instid0(VALU_DEP_3) | instskip(NEXT) | instid1(VALU_DEP_3)
	v_add_nc_u32_e32 v47, v8, v3
	v_cmp_eq_u32_e32 vcc_lo, 0, v43
	s_and_b32 s4, s3, vcc_lo
	s_delay_alu instid0(SALU_CYCLE_1)
	s_and_saveexec_b32 s3, s4
	s_cbranch_execz .LBB713_45
; %bb.44:
	s_wait_dscnt 0x0
	v_bcnt_u32_b32 v2, v2, v41
	ds_store_b32 v47, v2 offset:64
.LBB713_45:
	s_or_b32 exec_lo, exec_lo, s3
	v_xor_b32_e32 v40, 0xffff8000, v6
	; wave barrier
	s_delay_alu instid0(VALU_DEP_1) | instskip(NEXT) | instid1(VALU_DEP_1)
	v_and_b32_e32 v2, 0xffff, v40
	v_lshrrev_b32_e32 v2, s20, v2
	s_delay_alu instid0(VALU_DEP_1) | instskip(NEXT) | instid1(VALU_DEP_1)
	v_and_b32_e32 v4, s29, v2
	v_lshlrev_b32_e32 v5, 30, v4
	v_bitop3_b32 v3, v2, 1, s29 bitop3:0x80
	s_delay_alu instid0(VALU_DEP_1) | instskip(NEXT) | instid1(VALU_DEP_1)
	v_add_co_u32 v2, s3, v3, -1
	v_cndmask_b32_e64 v3, 0, 1, s3
	s_delay_alu instid0(VALU_DEP_4) | instskip(NEXT) | instid1(VALU_DEP_2)
	v_cmp_gt_i32_e64 s3, 0, v5
	v_cmp_ne_u32_e32 vcc_lo, 0, v3
	v_not_b32_e32 v3, v5
	s_delay_alu instid0(VALU_DEP_1) | instskip(SKIP_3) | instid1(VALU_DEP_4)
	v_dual_ashrrev_i32 v3, 31, v3 :: v_dual_lshlrev_b32 v9, 29, v4
	v_dual_lshlrev_b32 v44, 28, v4 :: v_dual_lshlrev_b32 v45, 27, v4
	v_dual_lshlrev_b32 v46, 26, v4 :: v_dual_lshlrev_b32 v48, 25, v4
	v_lshlrev_b32_e32 v49, 24, v4
	v_cmp_gt_i32_e64 s4, 0, v9
	v_not_b32_e32 v5, v9
	v_not_b32_e32 v9, v44
	v_cmp_gt_i32_e64 s5, 0, v44
	v_cmp_gt_i32_e64 s6, 0, v45
	v_not_b32_e32 v44, v45
	v_not_b32_e32 v45, v46
	v_dual_ashrrev_i32 v5, 31, v5 :: v_dual_bitop2_b32 v2, vcc_lo, v2 bitop3:0x14
	v_dual_ashrrev_i32 v9, 31, v9 :: v_dual_bitop2_b32 v3, s3, v3 bitop3:0x14
	v_cmp_gt_i32_e64 s7, 0, v46
	v_cmp_gt_i32_e64 s8, 0, v48
	v_not_b32_e32 v46, v48
	v_not_b32_e32 v48, v49
	v_dual_ashrrev_i32 v44, 31, v44 :: v_dual_ashrrev_i32 v45, 31, v45
	v_xor_b32_e32 v5, s4, v5
	v_xor_b32_e32 v9, s5, v9
	v_bitop3_b32 v2, v2, v3, exec_lo bitop3:0x80
	v_cmp_gt_i32_e64 s9, 0, v49
	v_dual_ashrrev_i32 v3, 31, v46 :: v_dual_ashrrev_i32 v46, 31, v48
	v_xor_b32_e32 v44, s6, v44
	v_xor_b32_e32 v45, s7, v45
	v_bitop3_b32 v2, v2, v9, v5 bitop3:0x80
	v_mad_u32_u24 v5, 0x44, v4, v8
	v_xor_b32_e32 v3, s8, v3
	v_xor_b32_e32 v9, s9, v46
	s_delay_alu instid0(VALU_DEP_4) | instskip(SKIP_3) | instid1(VALU_DEP_2)
	v_bitop3_b32 v2, v2, v45, v44 bitop3:0x80
	ds_load_b32 v44, v5 offset:64
	; wave barrier
	v_bitop3_b32 v2, v2, v9, v3 bitop3:0x80
	v_mul_u32_u24_e32 v3, 0x44, v4
	v_mbcnt_lo_u32_b32 v46, v2, 0
	v_cmp_ne_u32_e64 s3, 0, v2
	s_delay_alu instid0(VALU_DEP_3) | instskip(NEXT) | instid1(VALU_DEP_3)
	v_add_nc_u32_e32 v51, v8, v3
	v_cmp_eq_u32_e32 vcc_lo, 0, v46
	s_and_b32 s4, s3, vcc_lo
	s_delay_alu instid0(SALU_CYCLE_1)
	s_and_saveexec_b32 s3, s4
	s_cbranch_execz .LBB713_47
; %bb.46:
	s_wait_dscnt 0x0
	v_bcnt_u32_b32 v2, v2, v44
	ds_store_b32 v51, v2 offset:64
.LBB713_47:
	s_or_b32 exec_lo, exec_lo, s3
	v_lshrrev_b32_e32 v2, 16, v6
	; wave barrier
	s_delay_alu instid0(VALU_DEP_1) | instskip(NEXT) | instid1(VALU_DEP_1)
	v_xor_b32_e32 v45, 0xffff8000, v2
	v_and_b32_e32 v2, 0xffff, v45
	s_delay_alu instid0(VALU_DEP_1) | instskip(NEXT) | instid1(VALU_DEP_1)
	v_lshrrev_b32_e32 v2, s20, v2
	v_and_b32_e32 v4, s29, v2
	s_delay_alu instid0(VALU_DEP_1) | instskip(SKIP_2) | instid1(VALU_DEP_3)
	v_lshlrev_b32_e32 v6, 29, v4
	v_bitop3_b32 v3, v2, 1, s29 bitop3:0x80
	v_lshlrev_b32_e32 v5, 30, v4
	v_cmp_gt_i32_e64 s4, 0, v6
	s_delay_alu instid0(VALU_DEP_3) | instskip(NEXT) | instid1(VALU_DEP_1)
	v_add_co_u32 v2, s3, v3, -1
	v_cndmask_b32_e64 v3, 0, 1, s3
	s_delay_alu instid0(VALU_DEP_4) | instskip(NEXT) | instid1(VALU_DEP_2)
	v_cmp_gt_i32_e64 s3, 0, v5
	v_cmp_ne_u32_e32 vcc_lo, 0, v3
	v_not_b32_e32 v3, v5
	v_not_b32_e32 v5, v6
	s_delay_alu instid0(VALU_DEP_2) | instskip(SKIP_3) | instid1(VALU_DEP_3)
	v_dual_ashrrev_i32 v3, 31, v3 :: v_dual_bitop2_b32 v2, vcc_lo, v2 bitop3:0x14
	v_dual_lshlrev_b32 v9, 28, v4 :: v_dual_lshlrev_b32 v48, 27, v4
	v_dual_lshlrev_b32 v49, 26, v4 :: v_dual_lshlrev_b32 v50, 25, v4
	v_lshlrev_b32_e32 v52, 24, v4
	v_not_b32_e32 v6, v9
	v_cmp_gt_i32_e64 s5, 0, v9
	v_cmp_gt_i32_e64 s6, 0, v48
	v_not_b32_e32 v9, v48
	v_not_b32_e32 v48, v49
	v_dual_ashrrev_i32 v5, 31, v5 :: v_dual_ashrrev_i32 v6, 31, v6
	s_delay_alu instid0(VALU_DEP_3)
	v_dual_ashrrev_i32 v9, 31, v9 :: v_dual_bitop2_b32 v3, s3, v3 bitop3:0x14
	v_cmp_gt_i32_e64 s7, 0, v49
	v_cmp_gt_i32_e64 s8, 0, v50
	v_not_b32_e32 v49, v50
	v_not_b32_e32 v50, v52
	v_dual_ashrrev_i32 v48, 31, v48 :: v_dual_bitop2_b32 v5, s4, v5 bitop3:0x14
	v_xor_b32_e32 v6, s5, v6
	v_bitop3_b32 v2, v2, v3, exec_lo bitop3:0x80
	v_cmp_gt_i32_e64 s9, 0, v52
	v_dual_ashrrev_i32 v3, 31, v49 :: v_dual_ashrrev_i32 v49, 31, v50
	v_xor_b32_e32 v9, s6, v9
	v_xor_b32_e32 v48, s7, v48
	v_bitop3_b32 v2, v2, v6, v5 bitop3:0x80
	v_mad_u32_u24 v5, 0x44, v4, v8
	v_xor_b32_e32 v3, s8, v3
	v_xor_b32_e32 v6, s9, v49
	s_delay_alu instid0(VALU_DEP_4) | instskip(SKIP_3) | instid1(VALU_DEP_2)
	v_bitop3_b32 v2, v2, v48, v9 bitop3:0x80
	ds_load_b32 v48, v5 offset:64
	; wave barrier
	v_bitop3_b32 v2, v2, v6, v3 bitop3:0x80
	v_mul_u32_u24_e32 v3, 0x44, v4
	v_mbcnt_lo_u32_b32 v50, v2, 0
	v_cmp_ne_u32_e64 s3, 0, v2
	s_delay_alu instid0(VALU_DEP_3) | instskip(NEXT) | instid1(VALU_DEP_3)
	v_add_nc_u32_e32 v55, v8, v3
	v_cmp_eq_u32_e32 vcc_lo, 0, v50
	s_and_b32 s4, s3, vcc_lo
	s_delay_alu instid0(SALU_CYCLE_1)
	s_and_saveexec_b32 s3, s4
	s_cbranch_execz .LBB713_49
; %bb.48:
	s_wait_dscnt 0x0
	v_bcnt_u32_b32 v2, v2, v48
	ds_store_b32 v55, v2 offset:64
.LBB713_49:
	s_or_b32 exec_lo, exec_lo, s3
	v_xor_b32_e32 v49, 0xffff8000, v7
	; wave barrier
	s_delay_alu instid0(VALU_DEP_1) | instskip(NEXT) | instid1(VALU_DEP_1)
	v_and_b32_e32 v2, 0xffff, v49
	v_lshrrev_b32_e32 v2, s20, v2
	s_delay_alu instid0(VALU_DEP_1) | instskip(NEXT) | instid1(VALU_DEP_1)
	v_and_b32_e32 v4, s29, v2
	v_lshlrev_b32_e32 v5, 30, v4
	v_bitop3_b32 v3, v2, 1, s29 bitop3:0x80
	s_delay_alu instid0(VALU_DEP_1) | instskip(NEXT) | instid1(VALU_DEP_1)
	v_add_co_u32 v2, s3, v3, -1
	v_cndmask_b32_e64 v3, 0, 1, s3
	s_delay_alu instid0(VALU_DEP_4) | instskip(NEXT) | instid1(VALU_DEP_2)
	v_cmp_gt_i32_e64 s3, 0, v5
	v_cmp_ne_u32_e32 vcc_lo, 0, v3
	v_not_b32_e32 v3, v5
	s_delay_alu instid0(VALU_DEP_1) | instskip(SKIP_3) | instid1(VALU_DEP_4)
	v_dual_ashrrev_i32 v3, 31, v3 :: v_dual_lshlrev_b32 v6, 29, v4
	v_dual_lshlrev_b32 v9, 28, v4 :: v_dual_lshlrev_b32 v52, 27, v4
	v_dual_lshlrev_b32 v53, 26, v4 :: v_dual_lshlrev_b32 v54, 25, v4
	v_lshlrev_b32_e32 v56, 24, v4
	v_cmp_gt_i32_e64 s4, 0, v6
	v_not_b32_e32 v5, v6
	v_not_b32_e32 v6, v9
	v_cmp_gt_i32_e64 s5, 0, v9
	v_cmp_gt_i32_e64 s6, 0, v52
	v_not_b32_e32 v9, v52
	v_not_b32_e32 v52, v53
	v_dual_ashrrev_i32 v5, 31, v5 :: v_dual_bitop2_b32 v2, vcc_lo, v2 bitop3:0x14
	v_dual_ashrrev_i32 v6, 31, v6 :: v_dual_bitop2_b32 v3, s3, v3 bitop3:0x14
	v_cmp_gt_i32_e64 s7, 0, v53
	v_cmp_gt_i32_e64 s8, 0, v54
	v_not_b32_e32 v53, v54
	v_not_b32_e32 v54, v56
	v_dual_ashrrev_i32 v9, 31, v9 :: v_dual_ashrrev_i32 v52, 31, v52
	v_xor_b32_e32 v5, s4, v5
	v_xor_b32_e32 v6, s5, v6
	v_bitop3_b32 v2, v2, v3, exec_lo bitop3:0x80
	v_cmp_gt_i32_e64 s9, 0, v56
	v_dual_ashrrev_i32 v3, 31, v53 :: v_dual_ashrrev_i32 v53, 31, v54
	v_xor_b32_e32 v9, s6, v9
	v_xor_b32_e32 v52, s7, v52
	v_bitop3_b32 v2, v2, v6, v5 bitop3:0x80
	v_mad_u32_u24 v5, 0x44, v4, v8
	v_xor_b32_e32 v3, s8, v3
	v_xor_b32_e32 v6, s9, v53
	s_delay_alu instid0(VALU_DEP_4) | instskip(SKIP_3) | instid1(VALU_DEP_2)
	v_bitop3_b32 v2, v2, v52, v9 bitop3:0x80
	ds_load_b32 v52, v5 offset:64
	; wave barrier
	v_bitop3_b32 v2, v2, v6, v3 bitop3:0x80
	v_mul_u32_u24_e32 v3, 0x44, v4
	v_mbcnt_lo_u32_b32 v53, v2, 0
	v_cmp_ne_u32_e64 s3, 0, v2
	s_delay_alu instid0(VALU_DEP_3) | instskip(NEXT) | instid1(VALU_DEP_3)
	v_add_nc_u32_e32 v58, v8, v3
	v_cmp_eq_u32_e32 vcc_lo, 0, v53
	s_and_b32 s4, s3, vcc_lo
	s_delay_alu instid0(SALU_CYCLE_1)
	s_and_saveexec_b32 s3, s4
	s_cbranch_execz .LBB713_51
; %bb.50:
	s_wait_dscnt 0x0
	v_bcnt_u32_b32 v2, v2, v52
	ds_store_b32 v58, v2 offset:64
.LBB713_51:
	s_or_b32 exec_lo, exec_lo, s3
	v_lshrrev_b32_e32 v2, 16, v7
	; wave barrier
	s_delay_alu instid0(VALU_DEP_1) | instskip(NEXT) | instid1(VALU_DEP_1)
	v_xor_b32_e32 v54, 0xffff8000, v2
	v_and_b32_e32 v2, 0xffff, v54
	s_delay_alu instid0(VALU_DEP_1) | instskip(NEXT) | instid1(VALU_DEP_1)
	v_lshrrev_b32_e32 v2, s20, v2
	v_and_b32_e32 v4, s29, v2
	s_delay_alu instid0(VALU_DEP_1) | instskip(SKIP_2) | instid1(VALU_DEP_3)
	v_lshlrev_b32_e32 v6, 29, v4
	v_bitop3_b32 v3, v2, 1, s29 bitop3:0x80
	v_lshlrev_b32_e32 v5, 30, v4
	v_cmp_gt_i32_e64 s4, 0, v6
	s_delay_alu instid0(VALU_DEP_3) | instskip(NEXT) | instid1(VALU_DEP_1)
	v_add_co_u32 v2, s3, v3, -1
	v_cndmask_b32_e64 v3, 0, 1, s3
	s_delay_alu instid0(VALU_DEP_4) | instskip(NEXT) | instid1(VALU_DEP_2)
	v_cmp_gt_i32_e64 s3, 0, v5
	v_cmp_ne_u32_e32 vcc_lo, 0, v3
	v_not_b32_e32 v3, v5
	v_not_b32_e32 v5, v6
	s_delay_alu instid0(VALU_DEP_2) | instskip(SKIP_3) | instid1(VALU_DEP_3)
	v_dual_ashrrev_i32 v3, 31, v3 :: v_dual_bitop2_b32 v2, vcc_lo, v2 bitop3:0x14
	v_dual_lshlrev_b32 v7, 28, v4 :: v_dual_lshlrev_b32 v9, 27, v4
	v_dual_lshlrev_b32 v56, 26, v4 :: v_dual_lshlrev_b32 v57, 25, v4
	v_lshlrev_b32_e32 v59, 24, v4
	v_not_b32_e32 v6, v7
	v_cmp_gt_i32_e64 s5, 0, v7
	v_cmp_gt_i32_e64 s6, 0, v9
	v_not_b32_e32 v7, v9
	v_not_b32_e32 v9, v56
	v_dual_ashrrev_i32 v5, 31, v5 :: v_dual_ashrrev_i32 v6, 31, v6
	v_xor_b32_e32 v3, s3, v3
	v_cmp_gt_i32_e64 s7, 0, v56
	v_cmp_gt_i32_e64 s8, 0, v57
	v_not_b32_e32 v56, v57
	v_not_b32_e32 v57, v59
	v_dual_ashrrev_i32 v7, 31, v7 :: v_dual_bitop2_b32 v5, s4, v5 bitop3:0x14
	v_dual_ashrrev_i32 v9, 31, v9 :: v_dual_bitop2_b32 v6, s5, v6 bitop3:0x14
	v_bitop3_b32 v2, v2, v3, exec_lo bitop3:0x80
	v_cmp_gt_i32_e64 s9, 0, v59
	v_dual_ashrrev_i32 v3, 31, v56 :: v_dual_ashrrev_i32 v56, 31, v57
	v_xor_b32_e32 v7, s6, v7
	v_xor_b32_e32 v9, s7, v9
	v_bitop3_b32 v2, v2, v6, v5 bitop3:0x80
	v_mad_u32_u24 v5, 0x44, v4, v8
	v_xor_b32_e32 v3, s8, v3
	v_xor_b32_e32 v6, s9, v56
	s_delay_alu instid0(VALU_DEP_4) | instskip(SKIP_3) | instid1(VALU_DEP_2)
	v_bitop3_b32 v2, v2, v9, v7 bitop3:0x80
	ds_load_b32 v56, v5 offset:64
	; wave barrier
	v_bitop3_b32 v2, v2, v6, v3 bitop3:0x80
	v_mul_u32_u24_e32 v3, 0x44, v4
	v_mbcnt_lo_u32_b32 v57, v2, 0
	v_cmp_ne_u32_e64 s3, 0, v2
	s_delay_alu instid0(VALU_DEP_3) | instskip(NEXT) | instid1(VALU_DEP_3)
	v_add_nc_u32_e32 v59, v8, v3
	v_cmp_eq_u32_e32 vcc_lo, 0, v57
	s_and_b32 s4, s3, vcc_lo
	s_delay_alu instid0(SALU_CYCLE_1)
	s_and_saveexec_b32 s3, s4
	s_cbranch_execz .LBB713_53
; %bb.52:
	s_wait_dscnt 0x0
	v_bcnt_u32_b32 v2, v2, v56
	ds_store_b32 v59, v2 offset:64
.LBB713_53:
	s_or_b32 exec_lo, exec_lo, s3
	; wave barrier
	s_wait_dscnt 0x0
	s_barrier_signal -1
	s_barrier_wait -1
	ds_load_2addr_b32 v[8:9], v12 offset0:16 offset1:17
	ds_load_2addr_b32 v[6:7], v12 offset0:18 offset1:19
	ds_load_2addr_b32 v[4:5], v12 offset0:20 offset1:21
	ds_load_2addr_b32 v[2:3], v12 offset0:22 offset1:23
	ds_load_b32 v60, v12 offset:96
	s_mov_b32 s7, exec_lo
	s_wait_dscnt 0x3
	v_add3_u32 v61, v9, v8, v6
	s_wait_dscnt 0x2
	s_delay_alu instid0(VALU_DEP_1) | instskip(SKIP_1) | instid1(VALU_DEP_1)
	v_add3_u32 v61, v61, v7, v4
	s_wait_dscnt 0x1
	v_add3_u32 v61, v61, v5, v2
	s_wait_dscnt 0x0
	s_delay_alu instid0(VALU_DEP_1) | instskip(SKIP_1) | instid1(VALU_DEP_2)
	v_add3_u32 v60, v61, v3, v60
	v_and_b32_e32 v61, 15, v15
	v_mov_b32_dpp v62, v60 row_shr:1 row_mask:0xf bank_mask:0xf
	s_delay_alu instid0(VALU_DEP_2) | instskip(NEXT) | instid1(VALU_DEP_2)
	v_cmp_eq_u32_e32 vcc_lo, 0, v61
	v_cndmask_b32_e64 v62, v62, 0, vcc_lo
	s_delay_alu instid0(VALU_DEP_1) | instskip(SKIP_3) | instid1(VALU_DEP_4)
	v_add_nc_u32_e32 v60, v62, v60
	v_cmp_lt_u32_e64 s3, 1, v61
	v_cmp_lt_u32_e64 s4, 3, v61
	;; [unrolled: 1-line block ×3, first 2 shown]
	v_mov_b32_dpp v62, v60 row_shr:2 row_mask:0xf bank_mask:0xf
	s_delay_alu instid0(VALU_DEP_1) | instskip(NEXT) | instid1(VALU_DEP_1)
	v_cndmask_b32_e64 v62, 0, v62, s3
	v_add_nc_u32_e32 v60, v60, v62
	s_delay_alu instid0(VALU_DEP_1) | instskip(NEXT) | instid1(VALU_DEP_1)
	v_mov_b32_dpp v62, v60 row_shr:4 row_mask:0xf bank_mask:0xf
	v_cndmask_b32_e64 v62, 0, v62, s4
	s_delay_alu instid0(VALU_DEP_1) | instskip(NEXT) | instid1(VALU_DEP_1)
	v_add_nc_u32_e32 v60, v60, v62
	v_mov_b32_dpp v62, v60 row_shr:8 row_mask:0xf bank_mask:0xf
	s_delay_alu instid0(VALU_DEP_1) | instskip(SKIP_1) | instid1(VALU_DEP_2)
	v_cndmask_b32_e64 v61, 0, v62, s5
	v_bfe_i32 v62, v15, 4, 1
	v_add_nc_u32_e32 v60, v60, v61
	ds_swizzle_b32 v61, v60 offset:swizzle(BROADCAST,32,15)
	s_wait_dscnt 0x0
	v_and_b32_e32 v61, v62, v61
	v_min_u32_e32 v62, 0x1e0, v16
	s_delay_alu instid0(VALU_DEP_2) | instskip(NEXT) | instid1(VALU_DEP_2)
	v_dual_add_nc_u32 v60, v60, v61 :: v_dual_lshrrev_b32 v61, 5, v14
	v_or_b32_e32 v62, 31, v62
	s_delay_alu instid0(VALU_DEP_1)
	v_cmpx_eq_u32_e64 v14, v62
; %bb.54:
	s_delay_alu instid0(VALU_DEP_3)
	v_lshlrev_b32_e32 v62, 2, v61
	ds_store_b32 v62, v60
; %bb.55:
	s_or_b32 exec_lo, exec_lo, s7
	s_delay_alu instid0(SALU_CYCLE_1)
	s_mov_b32 s7, exec_lo
	s_wait_dscnt 0x0
	s_barrier_signal -1
	s_barrier_wait -1
	v_cmpx_gt_u32_e32 16, v14
	s_cbranch_execz .LBB713_57
; %bb.56:
	v_lshlrev_b32_e32 v62, 2, v14
	ds_load_b32 v63, v62
	s_wait_dscnt 0x0
	v_mov_b32_dpp v64, v63 row_shr:1 row_mask:0xf bank_mask:0xf
	s_delay_alu instid0(VALU_DEP_1) | instskip(NEXT) | instid1(VALU_DEP_1)
	v_cndmask_b32_e64 v64, v64, 0, vcc_lo
	v_add_nc_u32_e32 v63, v64, v63
	s_delay_alu instid0(VALU_DEP_1) | instskip(NEXT) | instid1(VALU_DEP_1)
	v_mov_b32_dpp v64, v63 row_shr:2 row_mask:0xf bank_mask:0xf
	v_cndmask_b32_e64 v64, 0, v64, s3
	s_delay_alu instid0(VALU_DEP_1) | instskip(NEXT) | instid1(VALU_DEP_1)
	v_add_nc_u32_e32 v63, v63, v64
	v_mov_b32_dpp v64, v63 row_shr:4 row_mask:0xf bank_mask:0xf
	s_delay_alu instid0(VALU_DEP_1) | instskip(NEXT) | instid1(VALU_DEP_1)
	v_cndmask_b32_e64 v64, 0, v64, s4
	v_add_nc_u32_e32 v63, v63, v64
	s_delay_alu instid0(VALU_DEP_1) | instskip(NEXT) | instid1(VALU_DEP_1)
	v_mov_b32_dpp v64, v63 row_shr:8 row_mask:0xf bank_mask:0xf
	v_cndmask_b32_e64 v64, 0, v64, s5
	s_delay_alu instid0(VALU_DEP_1)
	v_add_nc_u32_e32 v63, v63, v64
	ds_store_b32 v62, v63
.LBB713_57:
	s_or_b32 exec_lo, exec_lo, s7
	v_mov_b32_e32 v62, 0
	s_mov_b32 s3, exec_lo
	s_wait_dscnt 0x0
	s_barrier_signal -1
	s_barrier_wait -1
	v_cmpx_lt_u32_e32 31, v14
; %bb.58:
	v_lshl_add_u32 v61, v61, 2, -4
	ds_load_b32 v62, v61
; %bb.59:
	s_or_b32 exec_lo, exec_lo, s3
	v_sub_co_u32 v61, vcc_lo, v15, 1
	s_wait_dscnt 0x0
	v_add_nc_u32_e32 v60, v62, v60
	s_delay_alu instid0(VALU_DEP_2) | instskip(NEXT) | instid1(VALU_DEP_1)
	v_cmp_gt_i32_e64 s3, 0, v61
	v_cndmask_b32_e64 v61, v61, v15, s3
	v_cmp_gt_u32_e64 s3, 0x100, v14
	s_delay_alu instid0(VALU_DEP_2) | instskip(SKIP_4) | instid1(VALU_DEP_2)
	v_lshlrev_b32_e32 v61, 2, v61
	ds_bpermute_b32 v60, v61, v60
	s_wait_dscnt 0x0
	v_cndmask_b32_e32 v60, v60, v62, vcc_lo
	v_cmp_lt_u32_e32 vcc_lo, 0xff, v14
	v_cndmask_b32_e64 v60, v60, 0, s2
	s_delay_alu instid0(VALU_DEP_1) | instskip(NEXT) | instid1(VALU_DEP_1)
	v_add_nc_u32_e32 v8, v60, v8
	v_add_nc_u32_e32 v9, v8, v9
	s_delay_alu instid0(VALU_DEP_1) | instskip(NEXT) | instid1(VALU_DEP_1)
	v_add_nc_u32_e32 v6, v9, v6
	v_add_nc_u32_e32 v7, v6, v7
	;; [unrolled: 3-line block ×4, first 2 shown]
	ds_store_2addr_b32 v12, v60, v8 offset0:16 offset1:17
	ds_store_2addr_b32 v12, v9, v6 offset0:18 offset1:19
	;; [unrolled: 1-line block ×4, first 2 shown]
	ds_store_b32 v12, v3 offset:96
	s_wait_dscnt 0x0
	s_barrier_signal -1
	s_barrier_wait -1
	ds_load_b32 v61, v13 offset:64
	ds_load_b32 v62, v20 offset:64
	;; [unrolled: 1-line block ×12, first 2 shown]
	v_mov_b64_e32 v[2:3], 0
                                        ; implicit-def: $vgpr4
	s_and_saveexec_b32 s5, s3
	s_cbranch_execz .LBB713_63
; %bb.60:
	v_mul_u32_u24_e32 v2, 0x44, v14
	v_dual_mov_b32 v3, 0x1800 :: v_dual_add_nc_u32 v4, 1, v14
	s_mov_b32 s6, exec_lo
	ds_load_b32 v2, v2 offset:64
	v_cmpx_ne_u32_e32 0x100, v4
; %bb.61:
	v_mul_u32_u24_e32 v3, 0x44, v4
	ds_load_b32 v3, v3 offset:64
; %bb.62:
	s_or_b32 exec_lo, exec_lo, s6
	s_wait_dscnt 0x0
	v_dual_mov_b32 v3, 0 :: v_dual_sub_nc_u32 v4, v3, v2
.LBB713_63:
	s_or_b32 exec_lo, exec_lo, s5
	v_dual_lshlrev_b32 v10, 1, v10 :: v_dual_lshlrev_b32 v19, 1, v19
	s_wait_dscnt 0xa
	v_lshlrev_b32_e32 v28, 1, v62
	v_dual_lshlrev_b32 v18, 1, v18 :: v_dual_lshlrev_b32 v23, 1, v23
	s_delay_alu instid0(VALU_DEP_3) | instskip(SKIP_2) | instid1(VALU_DEP_3)
	v_lshl_add_u32 v10, v61, 1, v10
	v_lshlrev_b32_e32 v22, 1, v22
	s_wait_dscnt 0x0
	v_add3_u32 v18, v28, v19, v18
	v_lshlrev_b32_e32 v19, 1, v60
	s_barrier_signal -1
	s_barrier_wait -1
	ds_store_b16 v10, v1 offset:2048
	ds_store_b16 v18, v11 offset:2048
	v_lshlrev_b32_e32 v10, 1, v24
	v_add3_u32 v1, v19, v23, v22
	v_dual_lshlrev_b32 v11, 1, v27 :: v_dual_lshlrev_b32 v18, 1, v26
	v_dual_lshlrev_b32 v22, 1, v29 :: v_dual_lshlrev_b32 v23, 1, v34
	;; [unrolled: 1-line block ×6, first 2 shown]
	ds_store_b16 v1, v17 offset:2048
	v_add3_u32 v1, v10, v11, v18
	v_add3_u32 v11, v13, v23, v24
	v_dual_lshlrev_b32 v13, 1, v43 :: v_dual_lshlrev_b32 v17, 1, v41
	v_add3_u32 v10, v19, v20, v22
	v_add3_u32 v12, v12, v26, v27
	ds_store_b16 v1, v21 offset:2048
	ds_store_b16 v10, v25 offset:2048
	;; [unrolled: 1-line block ×4, first 2 shown]
	v_add3_u32 v1, v9, v13, v17
	v_dual_lshlrev_b32 v8, 1, v8 :: v_dual_lshlrev_b32 v9, 1, v46
	v_dual_lshlrev_b32 v10, 1, v44 :: v_dual_lshlrev_b32 v7, 1, v7
	;; [unrolled: 1-line block ×6, first 2 shown]
	ds_store_b16 v1, v36 offset:2048
	v_add3_u32 v8, v8, v9, v10
	v_add3_u32 v9, v7, v11, v12
	v_dual_mov_b32 v7, 0 :: v_dual_lshlrev_b32 v1, 3, v14
	v_add3_u32 v6, v6, v13, v17
	v_add3_u32 v5, v5, v18, v19
	ds_store_b16 v8, v40 offset:2048
	ds_store_b16 v9, v45 offset:2048
	;; [unrolled: 1-line block ×4, first 2 shown]
	s_and_saveexec_b32 s4, s3
	s_cbranch_execz .LBB713_73
; %bb.64:
	v_lshl_add_u32 v6, s23, 8, v14
	v_dual_mov_b32 v10, 0 :: v_dual_bitop2_b32 v5, 2.0, v4 bitop3:0x54
	s_mov_b32 s5, 0
	s_mov_b32 s6, s23
	s_delay_alu instid0(VALU_DEP_2)
	v_lshl_add_u64 v[8:9], v[6:7], 2, s[10:11]
	global_store_b32 v6, v5, s[10:11] scale_offset scope:SCOPE_DEV
                                        ; implicit-def: $sgpr3
	s_branch .LBB713_67
.LBB713_65:                             ;   in Loop: Header=BB713_67 Depth=1
	s_or_b32 exec_lo, exec_lo, s8
.LBB713_66:                             ;   in Loop: Header=BB713_67 Depth=1
	s_delay_alu instid0(SALU_CYCLE_1) | instskip(SKIP_2) | instid1(VALU_DEP_2)
	s_or_b32 exec_lo, exec_lo, s7
	v_and_b32_e32 v6, 0x3fffffff, v5
	v_cmp_gt_i32_e64 s3, -2.0, v5
	v_add_nc_u32_e32 v10, v6, v10
	s_and_b32 s7, exec_lo, s3
	s_delay_alu instid0(SALU_CYCLE_1) | instskip(NEXT) | instid1(SALU_CYCLE_1)
	s_or_b32 s5, s7, s5
	s_and_not1_b32 exec_lo, exec_lo, s5
	s_cbranch_execz .LBB713_72
.LBB713_67:                             ; =>This Loop Header: Depth=1
                                        ;     Child Loop BB713_70 Depth 2
	s_or_b32 s3, s3, exec_lo
	s_cmp_eq_u32 s6, 0
	s_cbranch_scc1 .LBB713_71
; %bb.68:                               ;   in Loop: Header=BB713_67 Depth=1
	s_add_co_i32 s6, s6, -1
	s_mov_b32 s7, exec_lo
	s_wait_xcnt 0x0
	v_lshl_or_b32 v6, s6, 8, v14
	global_load_b32 v5, v6, s[10:11] scale_offset scope:SCOPE_DEV
	s_wait_loadcnt 0x0
	v_cmpx_gt_u32_e32 2.0, v5
	s_cbranch_execz .LBB713_66
; %bb.69:                               ;   in Loop: Header=BB713_67 Depth=1
	v_lshl_add_u64 v[12:13], v[6:7], 2, s[10:11]
	s_mov_b32 s8, 0
.LBB713_70:                             ;   Parent Loop BB713_67 Depth=1
                                        ; =>  This Inner Loop Header: Depth=2
	global_load_b32 v5, v[12:13], off scope:SCOPE_DEV
	s_wait_loadcnt 0x0
	v_cmp_lt_u32_e64 s3, 0x3fffffff, v5
	s_or_b32 s8, s3, s8
	s_wait_xcnt 0x0
	s_and_not1_b32 exec_lo, exec_lo, s8
	s_cbranch_execnz .LBB713_70
	s_branch .LBB713_65
.LBB713_71:                             ;   in Loop: Header=BB713_67 Depth=1
                                        ; implicit-def: $sgpr6
	s_and_b32 s7, exec_lo, s3
	s_delay_alu instid0(SALU_CYCLE_1)
	s_or_b32 s5, s7, s5
	s_wait_xcnt 0x0
	s_and_not1_b32 exec_lo, exec_lo, s5
	s_cbranch_execnz .LBB713_67
.LBB713_72:
	s_or_b32 exec_lo, exec_lo, s5
	v_dual_add_nc_u32 v5, v10, v4 :: v_dual_mov_b32 v11, 0
	s_delay_alu instid0(VALU_DEP_1)
	v_or_b32_e32 v5, 0x80000000, v5
	global_store_b32 v[8:9], v5, off scope:SCOPE_DEV
	global_load_b64 v[6:7], v14, s[12:13] scale_offset
	s_wait_xcnt 0x1
	v_sub_nc_u64_e32 v[8:9], v[10:11], v[2:3]
	s_wait_loadcnt 0x0
	s_delay_alu instid0(VALU_DEP_1)
	v_add_nc_u64_e32 v[6:7], v[8:9], v[6:7]
	ds_store_b64 v1, v[6:7]
.LBB713_73:
	s_wait_xcnt 0x0
	s_or_b32 exec_lo, exec_lo, s4
	v_mad_i32_i24 v5, v14, -6, v1
	s_mov_b32 s4, exec_lo
	s_wait_storecnt_dscnt 0x0
	s_barrier_signal -1
	s_barrier_wait -1
	v_cmpx_gt_u32_e64 s22, v14
	s_cbranch_execz .LBB713_75
; %bb.74:
	ds_load_u16 v10, v5 offset:2048
	v_dual_mov_b32 v9, 0 :: v_dual_lshlrev_b32 v8, 1, v14
	s_wait_dscnt 0x0
	v_and_b32_e32 v6, 0xffff, v10
	s_delay_alu instid0(VALU_DEP_1) | instskip(NEXT) | instid1(VALU_DEP_1)
	v_lshrrev_b32_e32 v6, s20, v6
	v_and_b32_e32 v6, s29, v6
	s_delay_alu instid0(VALU_DEP_1) | instskip(SKIP_3) | instid1(VALU_DEP_1)
	v_lshlrev_b32_e32 v6, 3, v6
	ds_load_b64 v[6:7], v6
	s_wait_dscnt 0x0
	v_lshl_add_u64 v[6:7], v[6:7], 1, s[18:19]
	v_add_nc_u64_e32 v[6:7], v[6:7], v[8:9]
	v_xor_b32_e32 v8, 0xffff8000, v10
	global_store_b16 v[6:7], v8, off
.LBB713_75:
	s_wait_xcnt 0x0
	s_or_b32 exec_lo, exec_lo, s4
	v_add_nc_u32_e32 v6, 0x200, v14
	s_mov_b32 s4, exec_lo
	s_delay_alu instid0(VALU_DEP_1)
	v_cmpx_gt_u32_e64 s22, v6
	s_cbranch_execz .LBB713_77
; %bb.76:
	ds_load_u16 v10, v5 offset:3072
	v_dual_mov_b32 v9, 0 :: v_dual_lshlrev_b32 v8, 1, v14
	s_wait_dscnt 0x0
	v_and_b32_e32 v6, 0xffff, v10
	s_delay_alu instid0(VALU_DEP_1) | instskip(NEXT) | instid1(VALU_DEP_1)
	v_lshrrev_b32_e32 v6, s20, v6
	v_and_b32_e32 v6, s29, v6
	s_delay_alu instid0(VALU_DEP_1) | instskip(SKIP_3) | instid1(VALU_DEP_1)
	v_lshlrev_b32_e32 v6, 3, v6
	ds_load_b64 v[6:7], v6
	s_wait_dscnt 0x0
	v_lshl_add_u64 v[6:7], v[6:7], 1, s[18:19]
	v_add_nc_u64_e32 v[6:7], v[6:7], v[8:9]
	v_xor_b32_e32 v8, 0xffff8000, v10
	global_store_b16 v[6:7], v8, off offset:1024
.LBB713_77:
	s_wait_xcnt 0x0
	s_or_b32 exec_lo, exec_lo, s4
	v_or_b32_e32 v6, 0x400, v14
	s_mov_b32 s4, exec_lo
	s_delay_alu instid0(VALU_DEP_1)
	v_cmpx_gt_u32_e64 s22, v6
	s_cbranch_execz .LBB713_79
; %bb.78:
	ds_load_u16 v10, v5 offset:4096
	v_dual_mov_b32 v9, 0 :: v_dual_lshlrev_b32 v8, 1, v14
	s_wait_dscnt 0x0
	v_and_b32_e32 v6, 0xffff, v10
	s_delay_alu instid0(VALU_DEP_1) | instskip(NEXT) | instid1(VALU_DEP_1)
	v_lshrrev_b32_e32 v6, s20, v6
	v_and_b32_e32 v6, s29, v6
	s_delay_alu instid0(VALU_DEP_1) | instskip(SKIP_3) | instid1(VALU_DEP_1)
	v_lshlrev_b32_e32 v6, 3, v6
	ds_load_b64 v[6:7], v6
	s_wait_dscnt 0x0
	v_lshl_add_u64 v[6:7], v[6:7], 1, s[18:19]
	v_add_nc_u64_e32 v[6:7], v[6:7], v[8:9]
	v_xor_b32_e32 v8, 0xffff8000, v10
	global_store_b16 v[6:7], v8, off offset:2048
.LBB713_79:
	s_wait_xcnt 0x0
	s_or_b32 exec_lo, exec_lo, s4
	v_add_nc_u32_e32 v6, 0x600, v14
	s_mov_b32 s4, exec_lo
	s_delay_alu instid0(VALU_DEP_1)
	v_cmpx_gt_u32_e64 s22, v6
	s_cbranch_execz .LBB713_81
; %bb.80:
	ds_load_u16 v10, v5 offset:5120
	v_dual_mov_b32 v9, 0 :: v_dual_lshlrev_b32 v8, 1, v14
	s_wait_dscnt 0x0
	v_and_b32_e32 v6, 0xffff, v10
	s_delay_alu instid0(VALU_DEP_1) | instskip(NEXT) | instid1(VALU_DEP_1)
	v_lshrrev_b32_e32 v6, s20, v6
	v_and_b32_e32 v6, s29, v6
	s_delay_alu instid0(VALU_DEP_1) | instskip(SKIP_3) | instid1(VALU_DEP_1)
	v_lshlrev_b32_e32 v6, 3, v6
	ds_load_b64 v[6:7], v6
	s_wait_dscnt 0x0
	v_lshl_add_u64 v[6:7], v[6:7], 1, s[18:19]
	v_add_nc_u64_e32 v[6:7], v[6:7], v[8:9]
	v_xor_b32_e32 v8, 0xffff8000, v10
	global_store_b16 v[6:7], v8, off offset:3072
.LBB713_81:
	s_wait_xcnt 0x0
	s_or_b32 exec_lo, exec_lo, s4
	v_or_b32_e32 v6, 0x800, v14
	s_mov_b32 s4, exec_lo
	s_delay_alu instid0(VALU_DEP_1)
	v_cmpx_gt_u32_e64 s22, v6
	s_cbranch_execz .LBB713_83
; %bb.82:
	ds_load_u16 v10, v5 offset:6144
	v_dual_mov_b32 v9, 0 :: v_dual_lshlrev_b32 v8, 1, v14
	s_wait_dscnt 0x0
	v_and_b32_e32 v6, 0xffff, v10
	s_delay_alu instid0(VALU_DEP_1) | instskip(NEXT) | instid1(VALU_DEP_1)
	v_lshrrev_b32_e32 v6, s20, v6
	v_and_b32_e32 v6, s29, v6
	s_delay_alu instid0(VALU_DEP_1) | instskip(SKIP_3) | instid1(VALU_DEP_1)
	v_lshlrev_b32_e32 v6, 3, v6
	ds_load_b64 v[6:7], v6
	s_wait_dscnt 0x0
	v_lshl_add_u64 v[6:7], v[6:7], 1, s[18:19]
	v_add_nc_u64_e32 v[6:7], v[6:7], v[8:9]
	v_xor_b32_e32 v8, 0xffff8000, v10
	global_store_b16 v[6:7], v8, off offset:4096
.LBB713_83:
	;; [unrolled: 48-line block ×3, first 2 shown]
	s_wait_xcnt 0x0
	s_or_b32 exec_lo, exec_lo, s4
	v_add_nc_u32_e32 v6, 0xe00, v14
	s_mov_b32 s4, exec_lo
	s_delay_alu instid0(VALU_DEP_1)
	v_cmpx_gt_u32_e64 s22, v6
	s_cbranch_execz .LBB713_89
; %bb.88:
	ds_load_u16 v5, v5 offset:9216
	v_dual_mov_b32 v9, 0 :: v_dual_lshlrev_b32 v8, 1, v14
	s_wait_dscnt 0x0
	v_and_b32_e32 v6, 0xffff, v5
	v_xor_b32_e32 v5, 0xffff8000, v5
	s_delay_alu instid0(VALU_DEP_2) | instskip(NEXT) | instid1(VALU_DEP_1)
	v_lshrrev_b32_e32 v6, s20, v6
	v_and_b32_e32 v6, s29, v6
	s_delay_alu instid0(VALU_DEP_1) | instskip(SKIP_3) | instid1(VALU_DEP_1)
	v_lshlrev_b32_e32 v6, 3, v6
	ds_load_b64 v[6:7], v6
	s_wait_dscnt 0x0
	v_lshl_add_u64 v[6:7], v[6:7], 1, s[18:19]
	v_add_nc_u64_e32 v[6:7], v[6:7], v[8:9]
	global_store_b16 v[6:7], v5, off offset:7168
.LBB713_89:
	s_wait_xcnt 0x0
	s_or_b32 exec_lo, exec_lo, s4
	v_or_b32_e32 v5, 0x1000, v14
	s_mov_b32 s4, exec_lo
	s_delay_alu instid0(VALU_DEP_1)
	v_cmpx_gt_u32_e64 s22, v5
	s_cbranch_execz .LBB713_91
; %bb.90:
	v_lshlrev_b32_e32 v6, 1, v14
	ds_load_u16 v5, v6 offset:10240
	s_wait_dscnt 0x0
	v_and_b32_e32 v7, 0xffff, v5
	v_xor_b32_e32 v5, 0xffff8000, v5
	s_delay_alu instid0(VALU_DEP_2) | instskip(NEXT) | instid1(VALU_DEP_1)
	v_lshrrev_b32_e32 v7, s20, v7
	v_and_b32_e32 v7, s29, v7
	s_delay_alu instid0(VALU_DEP_1) | instskip(SKIP_4) | instid1(VALU_DEP_1)
	v_lshlrev_b32_e32 v7, 3, v7
	ds_load_b64 v[8:9], v7
	v_mov_b32_e32 v7, 0
	s_wait_dscnt 0x0
	v_lshl_add_u64 v[8:9], v[8:9], 1, s[18:19]
	v_add_nc_u64_e32 v[6:7], v[8:9], v[6:7]
	global_store_b16 v[6:7], v5, off offset:8192
.LBB713_91:
	s_wait_xcnt 0x0
	s_or_b32 exec_lo, exec_lo, s4
	v_add_nc_u32_e32 v5, 0x1200, v14
	s_mov_b32 s4, exec_lo
	s_delay_alu instid0(VALU_DEP_1)
	v_cmpx_gt_u32_e64 s22, v5
	s_cbranch_execz .LBB713_93
; %bb.92:
	v_lshlrev_b32_e32 v6, 1, v14
	ds_load_u16 v5, v6 offset:11264
	s_wait_dscnt 0x0
	v_and_b32_e32 v7, 0xffff, v5
	v_xor_b32_e32 v5, 0xffff8000, v5
	s_delay_alu instid0(VALU_DEP_2) | instskip(NEXT) | instid1(VALU_DEP_1)
	v_lshrrev_b32_e32 v7, s20, v7
	v_and_b32_e32 v7, s29, v7
	s_delay_alu instid0(VALU_DEP_1) | instskip(SKIP_4) | instid1(VALU_DEP_1)
	v_lshlrev_b32_e32 v7, 3, v7
	ds_load_b64 v[8:9], v7
	v_mov_b32_e32 v7, 0
	s_wait_dscnt 0x0
	v_lshl_add_u64 v[8:9], v[8:9], 1, s[18:19]
	v_add_nc_u64_e32 v[6:7], v[8:9], v[6:7]
	global_store_b16 v[6:7], v5, off offset:9216
.LBB713_93:
	s_wait_xcnt 0x0
	s_or_b32 exec_lo, exec_lo, s4
	v_or_b32_e32 v5, 0x1400, v14
	s_mov_b32 s4, exec_lo
	s_delay_alu instid0(VALU_DEP_1)
	v_cmpx_gt_u32_e64 s22, v5
	s_cbranch_execz .LBB713_95
; %bb.94:
	v_lshlrev_b32_e32 v6, 1, v14
	ds_load_u16 v5, v6 offset:12288
	s_wait_dscnt 0x0
	v_and_b32_e32 v7, 0xffff, v5
	v_xor_b32_e32 v5, 0xffff8000, v5
	s_delay_alu instid0(VALU_DEP_2) | instskip(NEXT) | instid1(VALU_DEP_1)
	v_lshrrev_b32_e32 v7, s20, v7
	v_and_b32_e32 v7, s29, v7
	s_delay_alu instid0(VALU_DEP_1) | instskip(SKIP_4) | instid1(VALU_DEP_1)
	v_lshlrev_b32_e32 v7, 3, v7
	ds_load_b64 v[8:9], v7
	v_mov_b32_e32 v7, 0
	s_wait_dscnt 0x0
	v_lshl_add_u64 v[8:9], v[8:9], 1, s[18:19]
	v_add_nc_u64_e32 v[6:7], v[8:9], v[6:7]
	global_store_b16 v[6:7], v5, off offset:10240
.LBB713_95:
	s_wait_xcnt 0x0
	s_or_b32 exec_lo, exec_lo, s4
	v_add_nc_u32_e32 v5, 0x1600, v14
	s_mov_b32 s4, exec_lo
	s_delay_alu instid0(VALU_DEP_1)
	v_cmpx_gt_u32_e64 s22, v5
	s_cbranch_execz .LBB713_97
; %bb.96:
	v_lshlrev_b32_e32 v6, 1, v14
	ds_load_u16 v5, v6 offset:13312
	s_wait_dscnt 0x0
	v_and_b32_e32 v7, 0xffff, v5
	v_xor_b32_e32 v5, 0xffff8000, v5
	s_delay_alu instid0(VALU_DEP_2) | instskip(NEXT) | instid1(VALU_DEP_1)
	v_lshrrev_b32_e32 v7, s20, v7
	v_and_b32_e32 v7, s29, v7
	s_delay_alu instid0(VALU_DEP_1) | instskip(SKIP_4) | instid1(VALU_DEP_1)
	v_lshlrev_b32_e32 v7, 3, v7
	ds_load_b64 v[8:9], v7
	v_mov_b32_e32 v7, 0
	s_wait_dscnt 0x0
	v_lshl_add_u64 v[8:9], v[8:9], 1, s[18:19]
	v_add_nc_u64_e32 v[6:7], v[8:9], v[6:7]
	global_store_b16 v[6:7], v5, off offset:11264
.LBB713_97:
	s_wait_xcnt 0x0
	s_or_b32 exec_lo, exec_lo, s4
	s_add_co_i32 s25, s25, -1
	s_delay_alu instid0(SALU_CYCLE_1) | instskip(SKIP_2) | instid1(SALU_CYCLE_1)
	s_cmp_eq_u32 s23, s25
	s_cselect_b32 s3, -1, 0
	s_xor_b32 s4, vcc_lo, -1
	s_and_b32 s4, s4, s3
	s_delay_alu instid0(SALU_CYCLE_1)
	s_and_saveexec_b32 s3, s4
	s_cbranch_execz .LBB713_99
; %bb.98:
	ds_load_b64 v[6:7], v1
	v_mov_b32_e32 v5, 0
	s_delay_alu instid0(VALU_DEP_1) | instskip(SKIP_1) | instid1(VALU_DEP_1)
	v_add_nc_u64_e32 v[2:3], v[2:3], v[4:5]
	s_wait_dscnt 0x0
	v_add_nc_u64_e32 v[2:3], v[2:3], v[6:7]
	global_store_b64 v14, v[2:3], s[14:15] scale_offset
.LBB713_99:
	s_wait_xcnt 0x0
	s_or_b32 exec_lo, exec_lo, s3
	s_mov_b32 s4, 0
.LBB713_100:
	s_delay_alu instid0(SALU_CYCLE_1)
	s_and_b32 vcc_lo, exec_lo, s4
	s_cbranch_vccz .LBB713_147
; %bb.101:
	s_mov_b32 s25, 0
	v_dual_mov_b32 v9, 0 :: v_dual_lshlrev_b32 v8, 1, v15
	s_lshl_b64 s[4:5], s[24:25], 1
	v_mul_u32_u24_e32 v1, 12, v16
	s_add_nc_u64 s[4:5], s[16:17], s[4:5]
	v_bfe_u32 v12, v0, 10, 10
	v_add_nc_u64_e32 v[2:3], s[4:5], v[8:9]
	v_bfe_u32 v0, v0, 20, 10
	v_lshlrev_b32_e32 v8, 1, v1
	s_delay_alu instid0(VALU_DEP_1)
	v_add_nc_u64_e32 v[18:19], v[2:3], v[8:9]
	s_clause 0xb
	global_load_u16 v8, v[18:19], off
	global_load_u16 v10, v[18:19], off offset:64
	global_load_u16 v13, v[18:19], off offset:128
	;; [unrolled: 1-line block ×11, first 2 shown]
	s_clause 0x1
	s_load_b32 s8, s[0:1], 0x58
	s_load_u16 s3, s[0:1], 0x66
	s_wait_xcnt 0x0
	s_bfe_u32 s0, ttmp6, 0x4000c
	s_and_b32 s1, ttmp6, 15
	s_add_co_i32 s0, s0, 1
	s_delay_alu instid0(SALU_CYCLE_1) | instskip(NEXT) | instid1(SALU_CYCLE_1)
	s_mul_i32 s0, ttmp9, s0
	s_add_co_i32 s1, s1, s0
	s_cmp_eq_u32 s28, 0
	s_cselect_b32 s0, ttmp9, s1
	s_wait_kmcnt 0x0
	s_cmp_lt_u32 s0, s8
	v_mad_u32_u24 v0, v0, s3, v12
	s_cselect_b32 s24, 12, 18
	s_lshl_b32 s9, -1, s21
	s_add_nc_u64 s[0:1], s[26:27], s[24:25]
	s_load_u16 s16, s[0:1], 0x0
	s_wait_kmcnt 0x0
	v_mad_u32 v0, v0, s16, v14
	s_delay_alu instid0(VALU_DEP_1) | instskip(NEXT) | instid1(VALU_DEP_1)
	v_lshrrev_b32_e32 v0, 5, v0
	v_lshlrev_b32_e32 v0, 2, v0
	s_wait_loadcnt 0xb
	v_xor_b32_e32 v8, 0xffff8000, v8
	s_delay_alu instid0(VALU_DEP_1) | instskip(NEXT) | instid1(VALU_DEP_1)
	v_and_b32_e32 v11, 0xffff, v8
	v_lshrrev_b32_e32 v11, s20, v11
	s_delay_alu instid0(VALU_DEP_1) | instskip(SKIP_2) | instid1(VALU_DEP_2)
	v_bitop3_b32 v12, v11, 1, s9 bitop3:0x40
	v_bitop3_b32 v18, v11, s9, v11 bitop3:0x30
	s_not_b32 s9, s9
	v_add_co_u32 v11, s0, v12, -1
	s_delay_alu instid0(VALU_DEP_1) | instskip(NEXT) | instid1(VALU_DEP_3)
	v_cndmask_b32_e64 v12, 0, 1, s0
	v_dual_lshlrev_b32 v17, 30, v18 :: v_dual_lshlrev_b32 v19, 29, v18
	v_dual_lshlrev_b32 v21, 28, v18 :: v_dual_lshlrev_b32 v22, 27, v18
	s_delay_alu instid0(VALU_DEP_3) | instskip(NEXT) | instid1(VALU_DEP_3)
	v_cmp_ne_u32_e32 vcc_lo, 0, v12
	v_not_b32_e32 v12, v17
	v_dual_lshlrev_b32 v23, 26, v18 :: v_dual_lshlrev_b32 v25, 25, v18
	v_lshlrev_b32_e32 v26, 24, v18
	v_cmp_gt_i32_e64 s0, 0, v17
	v_cmp_gt_i32_e64 s1, 0, v19
	v_not_b32_e32 v17, v19
	v_not_b32_e32 v19, v21
	v_ashrrev_i32_e32 v12, 31, v12
	v_cmp_gt_i32_e64 s3, 0, v21
	v_cmp_gt_i32_e64 s4, 0, v22
	v_not_b32_e32 v21, v22
	v_not_b32_e32 v22, v23
	v_dual_ashrrev_i32 v17, 31, v17 :: v_dual_bitop2_b32 v11, vcc_lo, v11 bitop3:0x14
	v_dual_ashrrev_i32 v19, 31, v19 :: v_dual_bitop2_b32 v12, s0, v12 bitop3:0x14
	v_cmp_gt_i32_e64 s5, 0, v23
	v_cmp_gt_i32_e64 s6, 0, v25
	v_not_b32_e32 v23, v25
	v_not_b32_e32 v25, v26
	v_dual_ashrrev_i32 v21, 31, v21 :: v_dual_ashrrev_i32 v22, 31, v22
	v_xor_b32_e32 v17, s1, v17
	v_xor_b32_e32 v19, s3, v19
	v_bitop3_b32 v11, v11, v12, exec_lo bitop3:0x80
	v_cmp_gt_i32_e64 s7, 0, v26
	v_dual_ashrrev_i32 v12, 31, v23 :: v_dual_ashrrev_i32 v23, 31, v25
	v_xor_b32_e32 v21, s4, v21
	v_xor_b32_e32 v22, s5, v22
	v_bitop3_b32 v11, v11, v19, v17 bitop3:0x80
	s_delay_alu instid0(VALU_DEP_4) | instskip(SKIP_1) | instid1(VALU_DEP_3)
	v_xor_b32_e32 v12, s6, v12
	v_xor_b32_e32 v17, s7, v23
	v_bitop3_b32 v19, v11, v22, v21 bitop3:0x80
	v_mul_u32_u24_e32 v11, 36, v14
	ds_store_2addr_b32 v11, v9, v9 offset0:16 offset1:17
	ds_store_2addr_b32 v11, v9, v9 offset0:18 offset1:19
	;; [unrolled: 1-line block ×4, first 2 shown]
	v_bitop3_b32 v17, v19, v17, v12 bitop3:0x80
	ds_store_b32 v11, v9 offset:96
	v_mad_u32_u24 v12, 0x44, v18, v0
	s_wait_storecnt 0x0
	s_wait_loadcnt_dscnt 0x0
	s_barrier_signal -1
	v_mbcnt_lo_u32_b32 v9, v17, 0
	v_cmp_ne_u32_e64 s0, 0, v17
	s_barrier_wait -1
	s_delay_alu instid0(VALU_DEP_2) | instskip(SKIP_1) | instid1(SALU_CYCLE_1)
	v_cmp_eq_u32_e32 vcc_lo, 0, v9
	; wave barrier
	s_and_b32 s1, s0, vcc_lo
	s_and_saveexec_b32 s0, s1
; %bb.102:
	v_bcnt_u32_b32 v17, v17, 0
	ds_store_b32 v12, v17 offset:64
; %bb.103:
	s_or_b32 exec_lo, exec_lo, s0
	v_xor_b32_e32 v10, 0xffff8000, v10
	; wave barrier
	s_delay_alu instid0(VALU_DEP_1) | instskip(NEXT) | instid1(VALU_DEP_1)
	v_and_b32_e32 v17, 0xffff, v10
	v_lshrrev_b32_e32 v17, s20, v17
	s_delay_alu instid0(VALU_DEP_1) | instskip(SKIP_1) | instid1(VALU_DEP_2)
	v_bitop3_b32 v18, v17, 1, s9 bitop3:0x80
	v_and_b32_e32 v17, s9, v17
	v_add_co_u32 v18, s0, v18, -1
	s_delay_alu instid0(VALU_DEP_1) | instskip(NEXT) | instid1(VALU_DEP_3)
	v_cndmask_b32_e64 v19, 0, 1, s0
	v_dual_lshlrev_b32 v21, 30, v17 :: v_dual_lshlrev_b32 v22, 29, v17
	v_lshlrev_b32_e32 v23, 28, v17
	s_delay_alu instid0(VALU_DEP_3) | instskip(NEXT) | instid1(VALU_DEP_3)
	v_cmp_ne_u32_e32 vcc_lo, 0, v19
	v_cmp_gt_i32_e64 s0, 0, v21
	v_not_b32_e32 v19, v21
	v_cmp_gt_i32_e64 s1, 0, v22
	v_not_b32_e32 v21, v22
	v_not_b32_e32 v22, v23
	s_delay_alu instid0(VALU_DEP_4) | instskip(NEXT) | instid1(VALU_DEP_2)
	v_dual_ashrrev_i32 v19, 31, v19 :: v_dual_bitop2_b32 v18, vcc_lo, v18 bitop3:0x14
	v_dual_ashrrev_i32 v21, 31, v21 :: v_dual_ashrrev_i32 v22, 31, v22
	v_dual_lshlrev_b32 v25, 27, v17 :: v_dual_lshlrev_b32 v26, 26, v17
	v_dual_lshlrev_b32 v27, 25, v17 :: v_dual_lshlrev_b32 v28, 24, v17
	v_cmp_gt_i32_e64 s3, 0, v23
	s_delay_alu instid0(VALU_DEP_3)
	v_cmp_gt_i32_e64 s4, 0, v25
	v_not_b32_e32 v23, v25
	v_not_b32_e32 v25, v26
	v_xor_b32_e32 v19, s0, v19
	v_cmp_gt_i32_e64 s5, 0, v26
	v_cmp_gt_i32_e64 s6, 0, v27
	v_not_b32_e32 v26, v27
	v_not_b32_e32 v27, v28
	v_dual_ashrrev_i32 v23, 31, v23 :: v_dual_ashrrev_i32 v25, 31, v25
	s_delay_alu instid0(VALU_DEP_3) | instskip(NEXT) | instid1(VALU_DEP_3)
	v_dual_ashrrev_i32 v26, 31, v26 :: v_dual_bitop2_b32 v21, s1, v21 bitop3:0x14
	v_dual_ashrrev_i32 v27, 31, v27 :: v_dual_bitop2_b32 v22, s3, v22 bitop3:0x14
	v_bitop3_b32 v18, v18, v19, exec_lo bitop3:0x80
	v_cmp_gt_i32_e64 s7, 0, v28
	v_xor_b32_e32 v23, s4, v23
	v_xor_b32_e32 v25, s5, v25
	v_mad_u32_u24 v19, 0x44, v17, v0
	v_bitop3_b32 v18, v18, v22, v21 bitop3:0x80
	v_xor_b32_e32 v21, s6, v26
	v_xor_b32_e32 v22, s7, v27
	ds_load_b32 v17, v19 offset:64
	v_bitop3_b32 v18, v18, v25, v23 bitop3:0x80
	; wave barrier
	s_delay_alu instid0(VALU_DEP_1) | instskip(NEXT) | instid1(VALU_DEP_1)
	v_bitop3_b32 v21, v18, v22, v21 bitop3:0x80
	v_mbcnt_lo_u32_b32 v18, v21, 0
	v_cmp_ne_u32_e64 s0, 0, v21
	s_delay_alu instid0(VALU_DEP_2) | instskip(SKIP_1) | instid1(SALU_CYCLE_1)
	v_cmp_eq_u32_e32 vcc_lo, 0, v18
	s_and_b32 s1, s0, vcc_lo
	s_and_saveexec_b32 s0, s1
	s_cbranch_execz .LBB713_105
; %bb.104:
	s_wait_dscnt 0x0
	v_bcnt_u32_b32 v21, v21, v17
	ds_store_b32 v19, v21 offset:64
.LBB713_105:
	s_or_b32 exec_lo, exec_lo, s0
	v_xor_b32_e32 v13, 0xffff8000, v13
	; wave barrier
	s_delay_alu instid0(VALU_DEP_1) | instskip(NEXT) | instid1(VALU_DEP_1)
	v_and_b32_e32 v21, 0xffff, v13
	v_lshrrev_b32_e32 v21, s20, v21
	s_delay_alu instid0(VALU_DEP_1) | instskip(SKIP_1) | instid1(VALU_DEP_2)
	v_bitop3_b32 v22, v21, 1, s9 bitop3:0x80
	v_and_b32_e32 v21, s9, v21
	v_add_co_u32 v22, s0, v22, -1
	s_delay_alu instid0(VALU_DEP_1) | instskip(NEXT) | instid1(VALU_DEP_3)
	v_cndmask_b32_e64 v23, 0, 1, s0
	v_dual_lshlrev_b32 v25, 30, v21 :: v_dual_lshlrev_b32 v26, 29, v21
	v_lshlrev_b32_e32 v27, 28, v21
	s_delay_alu instid0(VALU_DEP_3) | instskip(NEXT) | instid1(VALU_DEP_3)
	v_cmp_ne_u32_e32 vcc_lo, 0, v23
	v_cmp_gt_i32_e64 s0, 0, v25
	v_not_b32_e32 v23, v25
	v_cmp_gt_i32_e64 s1, 0, v26
	v_not_b32_e32 v25, v26
	v_not_b32_e32 v26, v27
	s_delay_alu instid0(VALU_DEP_4) | instskip(NEXT) | instid1(VALU_DEP_2)
	v_dual_ashrrev_i32 v23, 31, v23 :: v_dual_bitop2_b32 v22, vcc_lo, v22 bitop3:0x14
	v_dual_ashrrev_i32 v25, 31, v25 :: v_dual_ashrrev_i32 v26, 31, v26
	v_dual_lshlrev_b32 v28, 27, v21 :: v_dual_lshlrev_b32 v29, 26, v21
	v_dual_lshlrev_b32 v30, 25, v21 :: v_dual_lshlrev_b32 v31, 24, v21
	v_cmp_gt_i32_e64 s3, 0, v27
	s_delay_alu instid0(VALU_DEP_3)
	v_cmp_gt_i32_e64 s4, 0, v28
	v_not_b32_e32 v27, v28
	v_not_b32_e32 v28, v29
	v_xor_b32_e32 v23, s0, v23
	v_cmp_gt_i32_e64 s5, 0, v29
	v_cmp_gt_i32_e64 s6, 0, v30
	v_not_b32_e32 v29, v30
	v_not_b32_e32 v30, v31
	v_dual_ashrrev_i32 v27, 31, v27 :: v_dual_ashrrev_i32 v28, 31, v28
	v_xor_b32_e32 v25, s1, v25
	s_delay_alu instid0(VALU_DEP_4) | instskip(SKIP_4) | instid1(VALU_DEP_4)
	v_dual_ashrrev_i32 v29, 31, v29 :: v_dual_bitop2_b32 v26, s3, v26 bitop3:0x14
	v_bitop3_b32 v22, v22, v23, exec_lo bitop3:0x80
	v_cmp_gt_i32_e64 s7, 0, v31
	v_dual_ashrrev_i32 v30, 31, v30 :: v_dual_bitop2_b32 v27, s4, v27 bitop3:0x14
	v_xor_b32_e32 v28, s5, v28
	v_bitop3_b32 v22, v22, v26, v25 bitop3:0x80
	v_mad_u32_u24 v23, 0x44, v21, v0
	v_xor_b32_e32 v25, s6, v29
	v_xor_b32_e32 v26, s7, v30
	s_delay_alu instid0(VALU_DEP_4) | instskip(SKIP_2) | instid1(VALU_DEP_1)
	v_bitop3_b32 v22, v22, v28, v27 bitop3:0x80
	ds_load_b32 v21, v23 offset:64
	; wave barrier
	v_bitop3_b32 v25, v22, v26, v25 bitop3:0x80
	v_mbcnt_lo_u32_b32 v22, v25, 0
	v_cmp_ne_u32_e64 s0, 0, v25
	s_delay_alu instid0(VALU_DEP_2) | instskip(SKIP_1) | instid1(SALU_CYCLE_1)
	v_cmp_eq_u32_e32 vcc_lo, 0, v22
	s_and_b32 s1, s0, vcc_lo
	s_and_saveexec_b32 s0, s1
	s_cbranch_execz .LBB713_107
; %bb.106:
	s_wait_dscnt 0x0
	v_bcnt_u32_b32 v25, v25, v21
	ds_store_b32 v23, v25 offset:64
.LBB713_107:
	s_or_b32 exec_lo, exec_lo, s0
	v_xor_b32_e32 v20, 0xffff8000, v20
	; wave barrier
	s_delay_alu instid0(VALU_DEP_1) | instskip(NEXT) | instid1(VALU_DEP_1)
	v_and_b32_e32 v25, 0xffff, v20
	v_lshrrev_b32_e32 v25, s20, v25
	s_delay_alu instid0(VALU_DEP_1) | instskip(SKIP_1) | instid1(VALU_DEP_2)
	v_bitop3_b32 v26, v25, 1, s9 bitop3:0x80
	v_and_b32_e32 v25, s9, v25
	v_add_co_u32 v26, s0, v26, -1
	s_delay_alu instid0(VALU_DEP_1) | instskip(NEXT) | instid1(VALU_DEP_3)
	v_cndmask_b32_e64 v27, 0, 1, s0
	v_dual_lshlrev_b32 v28, 30, v25 :: v_dual_lshlrev_b32 v29, 29, v25
	s_delay_alu instid0(VALU_DEP_2) | instskip(NEXT) | instid1(VALU_DEP_2)
	v_cmp_ne_u32_e32 vcc_lo, 0, v27
	v_cmp_gt_i32_e64 s0, 0, v28
	v_not_b32_e32 v27, v28
	s_delay_alu instid0(VALU_DEP_4) | instskip(SKIP_1) | instid1(VALU_DEP_3)
	v_not_b32_e32 v28, v29
	v_cmp_gt_i32_e64 s1, 0, v29
	v_dual_ashrrev_i32 v27, 31, v27 :: v_dual_bitop2_b32 v26, vcc_lo, v26 bitop3:0x14
	s_delay_alu instid0(VALU_DEP_3) | instskip(SKIP_2) | instid1(VALU_DEP_3)
	v_dual_ashrrev_i32 v28, 31, v28 :: v_dual_lshlrev_b32 v30, 28, v25
	v_dual_lshlrev_b32 v31, 27, v25 :: v_dual_lshlrev_b32 v32, 26, v25
	v_dual_lshlrev_b32 v33, 25, v25 :: v_dual_lshlrev_b32 v34, 24, v25
	v_not_b32_e32 v29, v30
	v_cmp_gt_i32_e64 s3, 0, v30
	s_delay_alu instid0(VALU_DEP_4)
	v_cmp_gt_i32_e64 s4, 0, v31
	v_not_b32_e32 v30, v31
	v_not_b32_e32 v31, v32
	v_dual_ashrrev_i32 v29, 31, v29 :: v_dual_bitop2_b32 v27, s0, v27 bitop3:0x14
	v_cmp_gt_i32_e64 s5, 0, v32
	v_cmp_gt_i32_e64 s6, 0, v33
	v_not_b32_e32 v32, v33
	v_not_b32_e32 v33, v34
	v_dual_ashrrev_i32 v30, 31, v30 :: v_dual_ashrrev_i32 v31, 31, v31
	v_xor_b32_e32 v28, s1, v28
	s_delay_alu instid0(VALU_DEP_4) | instskip(SKIP_4) | instid1(VALU_DEP_4)
	v_dual_ashrrev_i32 v32, 31, v32 :: v_dual_bitop2_b32 v29, s3, v29 bitop3:0x14
	v_bitop3_b32 v26, v26, v27, exec_lo bitop3:0x80
	v_cmp_gt_i32_e64 s7, 0, v34
	v_dual_ashrrev_i32 v33, 31, v33 :: v_dual_bitop2_b32 v30, s4, v30 bitop3:0x14
	v_xor_b32_e32 v31, s5, v31
	v_bitop3_b32 v26, v26, v29, v28 bitop3:0x80
	v_mad_u32_u24 v27, 0x44, v25, v0
	v_xor_b32_e32 v28, s6, v32
	v_xor_b32_e32 v29, s7, v33
	s_delay_alu instid0(VALU_DEP_4) | instskip(SKIP_2) | instid1(VALU_DEP_1)
	v_bitop3_b32 v26, v26, v31, v30 bitop3:0x80
	ds_load_b32 v25, v27 offset:64
	; wave barrier
	v_bitop3_b32 v28, v26, v29, v28 bitop3:0x80
	v_mbcnt_lo_u32_b32 v26, v28, 0
	v_cmp_ne_u32_e64 s0, 0, v28
	s_delay_alu instid0(VALU_DEP_2) | instskip(SKIP_1) | instid1(SALU_CYCLE_1)
	v_cmp_eq_u32_e32 vcc_lo, 0, v26
	s_and_b32 s1, s0, vcc_lo
	s_and_saveexec_b32 s0, s1
	s_cbranch_execz .LBB713_109
; %bb.108:
	s_wait_dscnt 0x0
	v_bcnt_u32_b32 v28, v28, v25
	ds_store_b32 v27, v28 offset:64
.LBB713_109:
	s_or_b32 exec_lo, exec_lo, s0
	v_xor_b32_e32 v24, 0xffff8000, v24
	; wave barrier
	s_delay_alu instid0(VALU_DEP_1) | instskip(NEXT) | instid1(VALU_DEP_1)
	v_and_b32_e32 v28, 0xffff, v24
	v_lshrrev_b32_e32 v28, s20, v28
	s_delay_alu instid0(VALU_DEP_1) | instskip(SKIP_1) | instid1(VALU_DEP_2)
	v_bitop3_b32 v29, v28, 1, s9 bitop3:0x80
	v_and_b32_e32 v28, s9, v28
	v_add_co_u32 v29, s0, v29, -1
	s_delay_alu instid0(VALU_DEP_1) | instskip(NEXT) | instid1(VALU_DEP_3)
	v_cndmask_b32_e64 v30, 0, 1, s0
	v_dual_lshlrev_b32 v31, 30, v28 :: v_dual_lshlrev_b32 v32, 29, v28
	s_delay_alu instid0(VALU_DEP_2) | instskip(NEXT) | instid1(VALU_DEP_2)
	v_cmp_ne_u32_e32 vcc_lo, 0, v30
	v_cmp_gt_i32_e64 s0, 0, v31
	v_not_b32_e32 v30, v31
	s_delay_alu instid0(VALU_DEP_4) | instskip(SKIP_1) | instid1(VALU_DEP_3)
	v_not_b32_e32 v31, v32
	v_cmp_gt_i32_e64 s1, 0, v32
	v_dual_ashrrev_i32 v30, 31, v30 :: v_dual_bitop2_b32 v29, vcc_lo, v29 bitop3:0x14
	s_delay_alu instid0(VALU_DEP_3) | instskip(SKIP_2) | instid1(VALU_DEP_3)
	v_dual_ashrrev_i32 v31, 31, v31 :: v_dual_lshlrev_b32 v33, 28, v28
	v_dual_lshlrev_b32 v34, 27, v28 :: v_dual_lshlrev_b32 v35, 26, v28
	v_dual_lshlrev_b32 v36, 25, v28 :: v_dual_lshlrev_b32 v37, 24, v28
	v_not_b32_e32 v32, v33
	v_cmp_gt_i32_e64 s3, 0, v33
	s_delay_alu instid0(VALU_DEP_4)
	v_cmp_gt_i32_e64 s4, 0, v34
	v_not_b32_e32 v33, v34
	v_not_b32_e32 v34, v35
	v_dual_ashrrev_i32 v32, 31, v32 :: v_dual_bitop2_b32 v30, s0, v30 bitop3:0x14
	v_cmp_gt_i32_e64 s5, 0, v35
	v_cmp_gt_i32_e64 s6, 0, v36
	v_not_b32_e32 v35, v36
	v_not_b32_e32 v36, v37
	v_dual_ashrrev_i32 v33, 31, v33 :: v_dual_ashrrev_i32 v34, 31, v34
	v_xor_b32_e32 v31, s1, v31
	v_xor_b32_e32 v32, s3, v32
	v_bitop3_b32 v29, v29, v30, exec_lo bitop3:0x80
	v_cmp_gt_i32_e64 s7, 0, v37
	v_dual_ashrrev_i32 v30, 31, v35 :: v_dual_ashrrev_i32 v35, 31, v36
	v_xor_b32_e32 v33, s4, v33
	v_xor_b32_e32 v34, s5, v34
	v_bitop3_b32 v29, v29, v32, v31 bitop3:0x80
	v_mad_u32_u24 v31, 0x44, v28, v0
	v_xor_b32_e32 v30, s6, v30
	v_xor_b32_e32 v32, s7, v35
	s_delay_alu instid0(VALU_DEP_4) | instskip(SKIP_2) | instid1(VALU_DEP_1)
	v_bitop3_b32 v29, v29, v34, v33 bitop3:0x80
	ds_load_b32 v28, v31 offset:64
	; wave barrier
	v_bitop3_b32 v29, v29, v32, v30 bitop3:0x80
	v_mbcnt_lo_u32_b32 v30, v29, 0
	v_cmp_ne_u32_e64 s0, 0, v29
	s_delay_alu instid0(VALU_DEP_2) | instskip(SKIP_1) | instid1(SALU_CYCLE_1)
	v_cmp_eq_u32_e32 vcc_lo, 0, v30
	s_and_b32 s1, s0, vcc_lo
	s_and_saveexec_b32 s0, s1
	s_cbranch_execz .LBB713_111
; %bb.110:
	s_wait_dscnt 0x0
	v_bcnt_u32_b32 v29, v29, v28
	ds_store_b32 v31, v29 offset:64
.LBB713_111:
	s_or_b32 exec_lo, exec_lo, s0
	v_xor_b32_e32 v29, 0xffff8000, v7
	; wave barrier
	s_delay_alu instid0(VALU_DEP_1) | instskip(NEXT) | instid1(VALU_DEP_1)
	v_and_b32_e32 v7, 0xffff, v29
	v_lshrrev_b32_e32 v7, s20, v7
	s_delay_alu instid0(VALU_DEP_1) | instskip(SKIP_1) | instid1(VALU_DEP_2)
	v_bitop3_b32 v32, v7, 1, s9 bitop3:0x80
	v_and_b32_e32 v7, s9, v7
	v_add_co_u32 v32, s0, v32, -1
	s_delay_alu instid0(VALU_DEP_1) | instskip(NEXT) | instid1(VALU_DEP_3)
	v_cndmask_b32_e64 v33, 0, 1, s0
	v_dual_lshlrev_b32 v34, 30, v7 :: v_dual_lshlrev_b32 v35, 29, v7
	s_delay_alu instid0(VALU_DEP_2) | instskip(NEXT) | instid1(VALU_DEP_2)
	v_cmp_ne_u32_e32 vcc_lo, 0, v33
	v_cmp_gt_i32_e64 s0, 0, v34
	v_not_b32_e32 v33, v34
	s_delay_alu instid0(VALU_DEP_4) | instskip(SKIP_1) | instid1(VALU_DEP_3)
	v_not_b32_e32 v34, v35
	v_cmp_gt_i32_e64 s1, 0, v35
	v_dual_ashrrev_i32 v33, 31, v33 :: v_dual_bitop2_b32 v32, vcc_lo, v32 bitop3:0x14
	s_delay_alu instid0(VALU_DEP_3) | instskip(SKIP_2) | instid1(VALU_DEP_3)
	v_dual_ashrrev_i32 v34, 31, v34 :: v_dual_lshlrev_b32 v36, 28, v7
	v_dual_lshlrev_b32 v37, 27, v7 :: v_dual_lshlrev_b32 v38, 26, v7
	v_dual_lshlrev_b32 v39, 25, v7 :: v_dual_lshlrev_b32 v40, 24, v7
	v_not_b32_e32 v35, v36
	v_cmp_gt_i32_e64 s3, 0, v36
	s_delay_alu instid0(VALU_DEP_4)
	v_cmp_gt_i32_e64 s4, 0, v37
	v_not_b32_e32 v36, v37
	v_not_b32_e32 v37, v38
	v_dual_ashrrev_i32 v35, 31, v35 :: v_dual_bitop2_b32 v33, s0, v33 bitop3:0x14
	v_cmp_gt_i32_e64 s5, 0, v38
	v_cmp_gt_i32_e64 s6, 0, v39
	v_not_b32_e32 v38, v39
	v_not_b32_e32 v39, v40
	v_dual_ashrrev_i32 v36, 31, v36 :: v_dual_ashrrev_i32 v37, 31, v37
	v_xor_b32_e32 v34, s1, v34
	v_xor_b32_e32 v35, s3, v35
	v_bitop3_b32 v32, v32, v33, exec_lo bitop3:0x80
	v_cmp_gt_i32_e64 s7, 0, v40
	v_dual_ashrrev_i32 v33, 31, v38 :: v_dual_ashrrev_i32 v38, 31, v39
	v_xor_b32_e32 v36, s4, v36
	v_xor_b32_e32 v37, s5, v37
	v_bitop3_b32 v32, v32, v35, v34 bitop3:0x80
	v_mad_u32_u24 v35, 0x44, v7, v0
	v_xor_b32_e32 v7, s6, v33
	v_xor_b32_e32 v33, s7, v38
	s_delay_alu instid0(VALU_DEP_4) | instskip(SKIP_2) | instid1(VALU_DEP_1)
	v_bitop3_b32 v34, v32, v37, v36 bitop3:0x80
	ds_load_b32 v32, v35 offset:64
	; wave barrier
	v_bitop3_b32 v7, v34, v33, v7 bitop3:0x80
	v_mbcnt_lo_u32_b32 v34, v7, 0
	v_cmp_ne_u32_e64 s0, 0, v7
	s_delay_alu instid0(VALU_DEP_2) | instskip(SKIP_1) | instid1(SALU_CYCLE_1)
	v_cmp_eq_u32_e32 vcc_lo, 0, v34
	s_and_b32 s1, s0, vcc_lo
	s_and_saveexec_b32 s0, s1
	s_cbranch_execz .LBB713_113
; %bb.112:
	s_wait_dscnt 0x0
	v_bcnt_u32_b32 v7, v7, v32
	ds_store_b32 v35, v7 offset:64
.LBB713_113:
	s_or_b32 exec_lo, exec_lo, s0
	v_xor_b32_e32 v33, 0xffff8000, v6
	; wave barrier
	s_delay_alu instid0(VALU_DEP_1) | instskip(NEXT) | instid1(VALU_DEP_1)
	v_and_b32_e32 v6, 0xffff, v33
	v_lshrrev_b32_e32 v6, s20, v6
	s_delay_alu instid0(VALU_DEP_1) | instskip(SKIP_1) | instid1(VALU_DEP_2)
	v_bitop3_b32 v7, v6, 1, s9 bitop3:0x80
	v_and_b32_e32 v6, s9, v6
	v_add_co_u32 v7, s0, v7, -1
	s_delay_alu instid0(VALU_DEP_1) | instskip(NEXT) | instid1(VALU_DEP_3)
	v_cndmask_b32_e64 v36, 0, 1, s0
	v_dual_lshlrev_b32 v37, 30, v6 :: v_dual_lshlrev_b32 v38, 29, v6
	s_delay_alu instid0(VALU_DEP_2) | instskip(NEXT) | instid1(VALU_DEP_2)
	v_cmp_ne_u32_e32 vcc_lo, 0, v36
	v_cmp_gt_i32_e64 s0, 0, v37
	v_not_b32_e32 v36, v37
	s_delay_alu instid0(VALU_DEP_4) | instskip(SKIP_1) | instid1(VALU_DEP_3)
	v_not_b32_e32 v37, v38
	v_cmp_gt_i32_e64 s1, 0, v38
	v_dual_ashrrev_i32 v36, 31, v36 :: v_dual_bitop2_b32 v7, vcc_lo, v7 bitop3:0x14
	s_delay_alu instid0(VALU_DEP_3) | instskip(SKIP_2) | instid1(VALU_DEP_3)
	v_dual_ashrrev_i32 v37, 31, v37 :: v_dual_lshlrev_b32 v39, 28, v6
	v_dual_lshlrev_b32 v40, 27, v6 :: v_dual_lshlrev_b32 v41, 26, v6
	v_dual_lshlrev_b32 v42, 25, v6 :: v_dual_lshlrev_b32 v43, 24, v6
	v_not_b32_e32 v38, v39
	v_cmp_gt_i32_e64 s3, 0, v39
	s_delay_alu instid0(VALU_DEP_4)
	v_cmp_gt_i32_e64 s4, 0, v40
	v_not_b32_e32 v39, v40
	v_not_b32_e32 v40, v41
	v_dual_ashrrev_i32 v38, 31, v38 :: v_dual_bitop2_b32 v36, s0, v36 bitop3:0x14
	v_cmp_gt_i32_e64 s5, 0, v41
	v_cmp_gt_i32_e64 s6, 0, v42
	v_not_b32_e32 v41, v42
	v_not_b32_e32 v42, v43
	v_dual_ashrrev_i32 v39, 31, v39 :: v_dual_ashrrev_i32 v40, 31, v40
	v_xor_b32_e32 v37, s1, v37
	v_xor_b32_e32 v38, s3, v38
	v_bitop3_b32 v7, v7, v36, exec_lo bitop3:0x80
	v_cmp_gt_i32_e64 s7, 0, v43
	v_dual_ashrrev_i32 v36, 31, v41 :: v_dual_ashrrev_i32 v41, 31, v42
	v_xor_b32_e32 v42, s4, v39
	v_xor_b32_e32 v40, s5, v40
	v_bitop3_b32 v7, v7, v38, v37 bitop3:0x80
	v_mad_u32_u24 v39, 0x44, v6, v0
	v_xor_b32_e32 v6, s6, v36
	v_xor_b32_e32 v36, s7, v41
	s_delay_alu instid0(VALU_DEP_4) | instskip(SKIP_2) | instid1(VALU_DEP_1)
	v_bitop3_b32 v7, v7, v40, v42 bitop3:0x80
	ds_load_b32 v37, v39 offset:64
	; wave barrier
	v_bitop3_b32 v6, v7, v36, v6 bitop3:0x80
	v_mbcnt_lo_u32_b32 v38, v6, 0
	v_cmp_ne_u32_e64 s0, 0, v6
	s_delay_alu instid0(VALU_DEP_2) | instskip(SKIP_1) | instid1(SALU_CYCLE_1)
	v_cmp_eq_u32_e32 vcc_lo, 0, v38
	s_and_b32 s1, s0, vcc_lo
	s_and_saveexec_b32 s0, s1
	s_cbranch_execz .LBB713_115
; %bb.114:
	s_wait_dscnt 0x0
	v_bcnt_u32_b32 v6, v6, v37
	ds_store_b32 v39, v6 offset:64
.LBB713_115:
	s_or_b32 exec_lo, exec_lo, s0
	v_xor_b32_e32 v36, 0xffff8000, v5
	; wave barrier
	s_delay_alu instid0(VALU_DEP_1) | instskip(NEXT) | instid1(VALU_DEP_1)
	v_and_b32_e32 v5, 0xffff, v36
	v_lshrrev_b32_e32 v5, s20, v5
	s_delay_alu instid0(VALU_DEP_1) | instskip(SKIP_1) | instid1(VALU_DEP_2)
	v_bitop3_b32 v6, v5, 1, s9 bitop3:0x80
	v_and_b32_e32 v5, s9, v5
	v_add_co_u32 v6, s0, v6, -1
	s_delay_alu instid0(VALU_DEP_1) | instskip(NEXT) | instid1(VALU_DEP_3)
	v_cndmask_b32_e64 v7, 0, 1, s0
	v_dual_lshlrev_b32 v40, 30, v5 :: v_dual_lshlrev_b32 v41, 29, v5
	s_delay_alu instid0(VALU_DEP_2) | instskip(NEXT) | instid1(VALU_DEP_2)
	v_cmp_ne_u32_e32 vcc_lo, 0, v7
	v_cmp_gt_i32_e64 s0, 0, v40
	v_not_b32_e32 v7, v40
	s_delay_alu instid0(VALU_DEP_4) | instskip(SKIP_1) | instid1(VALU_DEP_3)
	v_not_b32_e32 v40, v41
	v_cmp_gt_i32_e64 s1, 0, v41
	v_dual_ashrrev_i32 v7, 31, v7 :: v_dual_bitop2_b32 v6, vcc_lo, v6 bitop3:0x14
	s_delay_alu instid0(VALU_DEP_3) | instskip(SKIP_2) | instid1(VALU_DEP_3)
	v_dual_ashrrev_i32 v40, 31, v40 :: v_dual_lshlrev_b32 v42, 28, v5
	v_dual_lshlrev_b32 v43, 27, v5 :: v_dual_lshlrev_b32 v44, 26, v5
	v_dual_lshlrev_b32 v45, 25, v5 :: v_dual_lshlrev_b32 v46, 24, v5
	v_not_b32_e32 v41, v42
	v_cmp_gt_i32_e64 s3, 0, v42
	s_delay_alu instid0(VALU_DEP_4)
	v_cmp_gt_i32_e64 s4, 0, v43
	v_not_b32_e32 v42, v43
	v_not_b32_e32 v43, v44
	v_dual_ashrrev_i32 v41, 31, v41 :: v_dual_bitop2_b32 v7, s0, v7 bitop3:0x14
	v_cmp_gt_i32_e64 s5, 0, v44
	v_cmp_gt_i32_e64 s6, 0, v45
	v_not_b32_e32 v44, v45
	v_not_b32_e32 v45, v46
	v_dual_ashrrev_i32 v42, 31, v42 :: v_dual_ashrrev_i32 v43, 31, v43
	v_xor_b32_e32 v40, s1, v40
	v_xor_b32_e32 v41, s3, v41
	v_bitop3_b32 v6, v6, v7, exec_lo bitop3:0x80
	v_cmp_gt_i32_e64 s7, 0, v46
	v_dual_ashrrev_i32 v7, 31, v44 :: v_dual_ashrrev_i32 v44, 31, v45
	v_xor_b32_e32 v42, s4, v42
	v_xor_b32_e32 v45, s5, v43
	v_bitop3_b32 v6, v6, v41, v40 bitop3:0x80
	v_mad_u32_u24 v43, 0x44, v5, v0
	v_xor_b32_e32 v5, s6, v7
	v_xor_b32_e32 v7, s7, v44
	s_delay_alu instid0(VALU_DEP_4) | instskip(SKIP_2) | instid1(VALU_DEP_1)
	v_bitop3_b32 v6, v6, v45, v42 bitop3:0x80
	ds_load_b32 v41, v43 offset:64
	; wave barrier
	v_bitop3_b32 v5, v6, v7, v5 bitop3:0x80
	v_mbcnt_lo_u32_b32 v42, v5, 0
	v_cmp_ne_u32_e64 s0, 0, v5
	s_delay_alu instid0(VALU_DEP_2) | instskip(SKIP_1) | instid1(SALU_CYCLE_1)
	v_cmp_eq_u32_e32 vcc_lo, 0, v42
	s_and_b32 s1, s0, vcc_lo
	s_and_saveexec_b32 s0, s1
	s_cbranch_execz .LBB713_117
; %bb.116:
	s_wait_dscnt 0x0
	v_bcnt_u32_b32 v5, v5, v41
	ds_store_b32 v43, v5 offset:64
.LBB713_117:
	s_or_b32 exec_lo, exec_lo, s0
	v_xor_b32_e32 v40, 0xffff8000, v4
	; wave barrier
	s_delay_alu instid0(VALU_DEP_1) | instskip(NEXT) | instid1(VALU_DEP_1)
	v_and_b32_e32 v4, 0xffff, v40
	v_lshrrev_b32_e32 v4, s20, v4
	s_delay_alu instid0(VALU_DEP_1) | instskip(SKIP_1) | instid1(VALU_DEP_2)
	v_bitop3_b32 v5, v4, 1, s9 bitop3:0x80
	v_and_b32_e32 v4, s9, v4
	v_add_co_u32 v5, s0, v5, -1
	s_delay_alu instid0(VALU_DEP_1) | instskip(NEXT) | instid1(VALU_DEP_3)
	v_cndmask_b32_e64 v6, 0, 1, s0
	v_dual_lshlrev_b32 v7, 30, v4 :: v_dual_lshlrev_b32 v44, 29, v4
	s_delay_alu instid0(VALU_DEP_2) | instskip(NEXT) | instid1(VALU_DEP_2)
	v_cmp_ne_u32_e32 vcc_lo, 0, v6
	v_cmp_gt_i32_e64 s0, 0, v7
	v_not_b32_e32 v6, v7
	s_delay_alu instid0(VALU_DEP_4) | instskip(SKIP_1) | instid1(VALU_DEP_3)
	v_not_b32_e32 v7, v44
	v_cmp_gt_i32_e64 s1, 0, v44
	v_dual_ashrrev_i32 v6, 31, v6 :: v_dual_bitop2_b32 v5, vcc_lo, v5 bitop3:0x14
	s_delay_alu instid0(VALU_DEP_3) | instskip(SKIP_2) | instid1(VALU_DEP_3)
	v_dual_ashrrev_i32 v7, 31, v7 :: v_dual_lshlrev_b32 v45, 28, v4
	v_dual_lshlrev_b32 v46, 27, v4 :: v_dual_lshlrev_b32 v47, 26, v4
	v_dual_lshlrev_b32 v48, 25, v4 :: v_dual_lshlrev_b32 v49, 24, v4
	v_not_b32_e32 v44, v45
	v_cmp_gt_i32_e64 s3, 0, v45
	s_delay_alu instid0(VALU_DEP_4)
	v_cmp_gt_i32_e64 s4, 0, v46
	v_not_b32_e32 v45, v46
	v_not_b32_e32 v46, v47
	v_dual_ashrrev_i32 v44, 31, v44 :: v_dual_bitop2_b32 v6, s0, v6 bitop3:0x14
	v_cmp_gt_i32_e64 s5, 0, v47
	v_cmp_gt_i32_e64 s6, 0, v48
	v_not_b32_e32 v47, v48
	v_not_b32_e32 v48, v49
	v_dual_ashrrev_i32 v45, 31, v45 :: v_dual_ashrrev_i32 v46, 31, v46
	v_xor_b32_e32 v7, s1, v7
	v_xor_b32_e32 v44, s3, v44
	v_bitop3_b32 v5, v5, v6, exec_lo bitop3:0x80
	v_cmp_gt_i32_e64 s7, 0, v49
	v_dual_ashrrev_i32 v6, 31, v47 :: v_dual_ashrrev_i32 v48, 31, v48
	v_xor_b32_e32 v45, s4, v45
	v_xor_b32_e32 v46, s5, v46
	v_bitop3_b32 v5, v5, v44, v7 bitop3:0x80
	v_mad_u32_u24 v47, 0x44, v4, v0
	v_xor_b32_e32 v4, s6, v6
	v_xor_b32_e32 v6, s7, v48
	s_delay_alu instid0(VALU_DEP_4) | instskip(SKIP_2) | instid1(VALU_DEP_1)
	v_bitop3_b32 v5, v5, v46, v45 bitop3:0x80
	ds_load_b32 v45, v47 offset:64
	; wave barrier
	v_bitop3_b32 v4, v5, v6, v4 bitop3:0x80
	v_mbcnt_lo_u32_b32 v46, v4, 0
	v_cmp_ne_u32_e64 s0, 0, v4
	s_delay_alu instid0(VALU_DEP_2) | instskip(SKIP_1) | instid1(SALU_CYCLE_1)
	v_cmp_eq_u32_e32 vcc_lo, 0, v46
	s_and_b32 s1, s0, vcc_lo
	s_and_saveexec_b32 s0, s1
	s_cbranch_execz .LBB713_119
; %bb.118:
	s_wait_dscnt 0x0
	v_bcnt_u32_b32 v4, v4, v45
	ds_store_b32 v47, v4 offset:64
.LBB713_119:
	s_or_b32 exec_lo, exec_lo, s0
	v_xor_b32_e32 v44, 0xffff8000, v3
	; wave barrier
	s_delay_alu instid0(VALU_DEP_1) | instskip(NEXT) | instid1(VALU_DEP_1)
	v_and_b32_e32 v3, 0xffff, v44
	v_lshrrev_b32_e32 v3, s20, v3
	s_delay_alu instid0(VALU_DEP_1) | instskip(SKIP_1) | instid1(VALU_DEP_2)
	v_bitop3_b32 v4, v3, 1, s9 bitop3:0x80
	v_and_b32_e32 v3, s9, v3
	v_add_co_u32 v4, s0, v4, -1
	s_delay_alu instid0(VALU_DEP_1) | instskip(NEXT) | instid1(VALU_DEP_3)
	v_cndmask_b32_e64 v5, 0, 1, s0
	v_dual_lshlrev_b32 v6, 30, v3 :: v_dual_lshlrev_b32 v7, 29, v3
	s_delay_alu instid0(VALU_DEP_2) | instskip(NEXT) | instid1(VALU_DEP_2)
	v_cmp_ne_u32_e32 vcc_lo, 0, v5
	v_cmp_gt_i32_e64 s0, 0, v6
	v_not_b32_e32 v5, v6
	s_delay_alu instid0(VALU_DEP_4) | instskip(SKIP_1) | instid1(VALU_DEP_3)
	v_not_b32_e32 v6, v7
	v_cmp_gt_i32_e64 s1, 0, v7
	v_dual_ashrrev_i32 v5, 31, v5 :: v_dual_bitop2_b32 v4, vcc_lo, v4 bitop3:0x14
	s_delay_alu instid0(VALU_DEP_3) | instskip(SKIP_2) | instid1(VALU_DEP_3)
	v_dual_ashrrev_i32 v6, 31, v6 :: v_dual_lshlrev_b32 v48, 28, v3
	v_dual_lshlrev_b32 v49, 27, v3 :: v_dual_lshlrev_b32 v50, 26, v3
	v_dual_lshlrev_b32 v51, 25, v3 :: v_dual_lshlrev_b32 v52, 24, v3
	v_not_b32_e32 v7, v48
	v_cmp_gt_i32_e64 s3, 0, v48
	s_delay_alu instid0(VALU_DEP_4)
	v_cmp_gt_i32_e64 s4, 0, v49
	v_not_b32_e32 v48, v49
	v_not_b32_e32 v49, v50
	v_dual_ashrrev_i32 v7, 31, v7 :: v_dual_bitop2_b32 v5, s0, v5 bitop3:0x14
	v_cmp_gt_i32_e64 s5, 0, v50
	v_cmp_gt_i32_e64 s6, 0, v51
	v_not_b32_e32 v50, v51
	v_not_b32_e32 v51, v52
	v_dual_ashrrev_i32 v48, 31, v48 :: v_dual_ashrrev_i32 v49, 31, v49
	v_xor_b32_e32 v6, s1, v6
	v_xor_b32_e32 v7, s3, v7
	v_bitop3_b32 v4, v4, v5, exec_lo bitop3:0x80
	v_cmp_gt_i32_e64 s7, 0, v52
	v_dual_ashrrev_i32 v5, 31, v50 :: v_dual_ashrrev_i32 v50, 31, v51
	v_xor_b32_e32 v48, s4, v48
	v_xor_b32_e32 v49, s5, v49
	v_bitop3_b32 v4, v4, v7, v6 bitop3:0x80
	v_mad_u32_u24 v52, 0x44, v3, v0
	v_xor_b32_e32 v3, s6, v5
	v_xor_b32_e32 v5, s7, v50
	s_delay_alu instid0(VALU_DEP_4) | instskip(SKIP_2) | instid1(VALU_DEP_1)
	v_bitop3_b32 v4, v4, v49, v48 bitop3:0x80
	ds_load_b32 v48, v52 offset:64
	; wave barrier
	v_bitop3_b32 v3, v4, v5, v3 bitop3:0x80
	v_mbcnt_lo_u32_b32 v50, v3, 0
	v_cmp_ne_u32_e64 s0, 0, v3
	s_delay_alu instid0(VALU_DEP_2) | instskip(SKIP_1) | instid1(SALU_CYCLE_1)
	v_cmp_eq_u32_e32 vcc_lo, 0, v50
	s_and_b32 s1, s0, vcc_lo
	s_and_saveexec_b32 s0, s1
	s_cbranch_execz .LBB713_121
; %bb.120:
	s_wait_dscnt 0x0
	v_bcnt_u32_b32 v3, v3, v48
	ds_store_b32 v52, v3 offset:64
.LBB713_121:
	s_or_b32 exec_lo, exec_lo, s0
	v_xor_b32_e32 v49, 0xffff8000, v2
	; wave barrier
	s_delay_alu instid0(VALU_DEP_1) | instskip(NEXT) | instid1(VALU_DEP_1)
	v_and_b32_e32 v2, 0xffff, v49
	v_lshrrev_b32_e32 v2, s20, v2
	s_delay_alu instid0(VALU_DEP_1) | instskip(SKIP_1) | instid1(VALU_DEP_2)
	v_bitop3_b32 v3, v2, 1, s9 bitop3:0x80
	v_and_b32_e32 v2, s9, v2
	v_add_co_u32 v3, s0, v3, -1
	s_delay_alu instid0(VALU_DEP_1) | instskip(NEXT) | instid1(VALU_DEP_3)
	v_cndmask_b32_e64 v4, 0, 1, s0
	v_dual_lshlrev_b32 v5, 30, v2 :: v_dual_lshlrev_b32 v6, 29, v2
	s_delay_alu instid0(VALU_DEP_2) | instskip(NEXT) | instid1(VALU_DEP_2)
	v_cmp_ne_u32_e32 vcc_lo, 0, v4
	v_cmp_gt_i32_e64 s0, 0, v5
	v_not_b32_e32 v4, v5
	s_delay_alu instid0(VALU_DEP_4) | instskip(SKIP_1) | instid1(VALU_DEP_3)
	v_not_b32_e32 v5, v6
	v_cmp_gt_i32_e64 s1, 0, v6
	v_dual_ashrrev_i32 v4, 31, v4 :: v_dual_bitop2_b32 v3, vcc_lo, v3 bitop3:0x14
	s_delay_alu instid0(VALU_DEP_3) | instskip(SKIP_2) | instid1(VALU_DEP_3)
	v_dual_ashrrev_i32 v5, 31, v5 :: v_dual_lshlrev_b32 v7, 28, v2
	v_dual_lshlrev_b32 v51, 27, v2 :: v_dual_lshlrev_b32 v53, 26, v2
	v_dual_lshlrev_b32 v54, 25, v2 :: v_dual_lshlrev_b32 v55, 24, v2
	v_not_b32_e32 v6, v7
	v_cmp_gt_i32_e64 s3, 0, v7
	s_delay_alu instid0(VALU_DEP_4)
	v_cmp_gt_i32_e64 s4, 0, v51
	v_not_b32_e32 v7, v51
	v_not_b32_e32 v51, v53
	v_dual_ashrrev_i32 v6, 31, v6 :: v_dual_bitop2_b32 v4, s0, v4 bitop3:0x14
	v_cmp_gt_i32_e64 s5, 0, v53
	v_cmp_gt_i32_e64 s6, 0, v54
	v_not_b32_e32 v53, v54
	v_not_b32_e32 v54, v55
	v_dual_ashrrev_i32 v7, 31, v7 :: v_dual_bitop2_b32 v5, s1, v5 bitop3:0x14
	v_dual_ashrrev_i32 v51, 31, v51 :: v_dual_bitop2_b32 v6, s3, v6 bitop3:0x14
	v_bitop3_b32 v3, v3, v4, exec_lo bitop3:0x80
	v_cmp_gt_i32_e64 s7, 0, v55
	v_dual_ashrrev_i32 v4, 31, v53 :: v_dual_ashrrev_i32 v53, 31, v54
	v_xor_b32_e32 v7, s4, v7
	v_xor_b32_e32 v51, s5, v51
	v_bitop3_b32 v3, v3, v6, v5 bitop3:0x80
	v_mad_u32_u24 v57, 0x44, v2, v0
	v_xor_b32_e32 v2, s6, v4
	v_xor_b32_e32 v4, s7, v53
	s_delay_alu instid0(VALU_DEP_4) | instskip(SKIP_2) | instid1(VALU_DEP_1)
	v_bitop3_b32 v3, v3, v51, v7 bitop3:0x80
	ds_load_b32 v51, v57 offset:64
	; wave barrier
	v_bitop3_b32 v2, v3, v4, v2 bitop3:0x80
	v_mbcnt_lo_u32_b32 v54, v2, 0
	v_cmp_ne_u32_e64 s0, 0, v2
	s_delay_alu instid0(VALU_DEP_2) | instskip(SKIP_1) | instid1(SALU_CYCLE_1)
	v_cmp_eq_u32_e32 vcc_lo, 0, v54
	s_and_b32 s1, s0, vcc_lo
	s_and_saveexec_b32 s0, s1
	s_cbranch_execz .LBB713_123
; %bb.122:
	s_wait_dscnt 0x0
	v_bcnt_u32_b32 v2, v2, v51
	ds_store_b32 v57, v2 offset:64
.LBB713_123:
	s_or_b32 exec_lo, exec_lo, s0
	v_xor_b32_e32 v53, 0xffff8000, v1
	; wave barrier
	s_delay_alu instid0(VALU_DEP_1) | instskip(NEXT) | instid1(VALU_DEP_1)
	v_and_b32_e32 v1, 0xffff, v53
	v_lshrrev_b32_e32 v1, s20, v1
	s_delay_alu instid0(VALU_DEP_1) | instskip(SKIP_1) | instid1(VALU_DEP_2)
	v_bitop3_b32 v2, v1, 1, s9 bitop3:0x80
	v_and_b32_e32 v1, s9, v1
	v_add_co_u32 v2, s0, v2, -1
	s_delay_alu instid0(VALU_DEP_1) | instskip(NEXT) | instid1(VALU_DEP_3)
	v_cndmask_b32_e64 v3, 0, 1, s0
	v_dual_lshlrev_b32 v4, 30, v1 :: v_dual_lshlrev_b32 v5, 29, v1
	s_delay_alu instid0(VALU_DEP_2) | instskip(NEXT) | instid1(VALU_DEP_2)
	v_cmp_ne_u32_e32 vcc_lo, 0, v3
	v_cmp_gt_i32_e64 s0, 0, v4
	v_not_b32_e32 v3, v4
	s_delay_alu instid0(VALU_DEP_4) | instskip(SKIP_1) | instid1(VALU_DEP_3)
	v_not_b32_e32 v4, v5
	v_cmp_gt_i32_e64 s1, 0, v5
	v_dual_ashrrev_i32 v3, 31, v3 :: v_dual_bitop2_b32 v2, vcc_lo, v2 bitop3:0x14
	s_delay_alu instid0(VALU_DEP_3) | instskip(SKIP_2) | instid1(VALU_DEP_3)
	v_dual_ashrrev_i32 v4, 31, v4 :: v_dual_lshlrev_b32 v6, 28, v1
	v_dual_lshlrev_b32 v7, 27, v1 :: v_dual_lshlrev_b32 v55, 26, v1
	v_dual_lshlrev_b32 v56, 25, v1 :: v_dual_lshlrev_b32 v58, 24, v1
	v_not_b32_e32 v5, v6
	v_cmp_gt_i32_e64 s3, 0, v6
	s_delay_alu instid0(VALU_DEP_4)
	v_cmp_gt_i32_e64 s4, 0, v7
	v_not_b32_e32 v6, v7
	v_not_b32_e32 v7, v55
	v_dual_ashrrev_i32 v5, 31, v5 :: v_dual_bitop2_b32 v3, s0, v3 bitop3:0x14
	v_cmp_gt_i32_e64 s5, 0, v55
	v_cmp_gt_i32_e64 s6, 0, v56
	v_not_b32_e32 v55, v56
	v_not_b32_e32 v56, v58
	v_dual_ashrrev_i32 v6, 31, v6 :: v_dual_ashrrev_i32 v7, 31, v7
	v_xor_b32_e32 v4, s1, v4
	v_xor_b32_e32 v5, s3, v5
	v_bitop3_b32 v2, v2, v3, exec_lo bitop3:0x80
	v_cmp_gt_i32_e64 s7, 0, v58
	v_dual_ashrrev_i32 v3, 31, v55 :: v_dual_ashrrev_i32 v55, 31, v56
	v_xor_b32_e32 v6, s4, v6
	v_xor_b32_e32 v7, s5, v7
	v_bitop3_b32 v2, v2, v5, v4 bitop3:0x80
	v_mad_u32_u24 v58, 0x44, v1, v0
	v_xor_b32_e32 v0, s6, v3
	v_xor_b32_e32 v1, s7, v55
	s_delay_alu instid0(VALU_DEP_4) | instskip(SKIP_2) | instid1(VALU_DEP_1)
	v_bitop3_b32 v2, v2, v7, v6 bitop3:0x80
	ds_load_b32 v55, v58 offset:64
	; wave barrier
	v_bitop3_b32 v0, v2, v1, v0 bitop3:0x80
	v_mbcnt_lo_u32_b32 v56, v0, 0
	v_cmp_ne_u32_e64 s0, 0, v0
	s_delay_alu instid0(VALU_DEP_2) | instskip(SKIP_1) | instid1(SALU_CYCLE_1)
	v_cmp_eq_u32_e32 vcc_lo, 0, v56
	s_and_b32 s1, s0, vcc_lo
	s_and_saveexec_b32 s0, s1
	s_cbranch_execz .LBB713_125
; %bb.124:
	s_wait_dscnt 0x0
	v_bcnt_u32_b32 v0, v0, v55
	ds_store_b32 v58, v0 offset:64
.LBB713_125:
	s_or_b32 exec_lo, exec_lo, s0
	; wave barrier
	s_wait_dscnt 0x0
	s_barrier_signal -1
	s_barrier_wait -1
	ds_load_2addr_b32 v[6:7], v11 offset0:16 offset1:17
	ds_load_2addr_b32 v[4:5], v11 offset0:18 offset1:19
	;; [unrolled: 1-line block ×4, first 2 shown]
	ds_load_b32 v59, v11 offset:96
	v_min_u32_e32 v16, 0x1e0, v16
	s_mov_b32 s5, exec_lo
	s_delay_alu instid0(VALU_DEP_1) | instskip(SKIP_3) | instid1(VALU_DEP_1)
	v_or_b32_e32 v62, 31, v16
	s_wait_dscnt 0x3
	v_add3_u32 v60, v7, v6, v4
	s_wait_dscnt 0x2
	v_add3_u32 v60, v60, v5, v2
	s_wait_dscnt 0x1
	s_delay_alu instid0(VALU_DEP_1) | instskip(SKIP_1) | instid1(VALU_DEP_1)
	v_add3_u32 v60, v60, v3, v0
	s_wait_dscnt 0x0
	v_add3_u32 v59, v60, v1, v59
	v_and_b32_e32 v60, 15, v15
	s_delay_alu instid0(VALU_DEP_2) | instskip(NEXT) | instid1(VALU_DEP_2)
	v_mov_b32_dpp v61, v59 row_shr:1 row_mask:0xf bank_mask:0xf
	v_cmp_eq_u32_e32 vcc_lo, 0, v60
	v_cmp_lt_u32_e64 s0, 1, v60
	s_delay_alu instid0(VALU_DEP_3) | instskip(NEXT) | instid1(VALU_DEP_1)
	v_cndmask_b32_e64 v61, v61, 0, vcc_lo
	v_add_nc_u32_e32 v59, v61, v59
	s_delay_alu instid0(VALU_DEP_1) | instskip(NEXT) | instid1(VALU_DEP_1)
	v_mov_b32_dpp v61, v59 row_shr:2 row_mask:0xf bank_mask:0xf
	v_cndmask_b32_e64 v61, 0, v61, s0
	v_cmp_lt_u32_e64 s3, 7, v60
	v_cmp_lt_u32_e64 s1, 3, v60
	s_delay_alu instid0(VALU_DEP_3) | instskip(NEXT) | instid1(VALU_DEP_1)
	v_add_nc_u32_e32 v59, v59, v61
	v_mov_b32_dpp v61, v59 row_shr:4 row_mask:0xf bank_mask:0xf
	s_delay_alu instid0(VALU_DEP_1) | instskip(NEXT) | instid1(VALU_DEP_1)
	v_cndmask_b32_e64 v61, 0, v61, s1
	v_add_nc_u32_e32 v59, v59, v61
	s_delay_alu instid0(VALU_DEP_1) | instskip(NEXT) | instid1(VALU_DEP_1)
	v_mov_b32_dpp v61, v59 row_shr:8 row_mask:0xf bank_mask:0xf
	v_cndmask_b32_e64 v60, 0, v61, s3
	v_bfe_i32 v61, v15, 4, 1
	s_delay_alu instid0(VALU_DEP_2) | instskip(SKIP_3) | instid1(VALU_DEP_1)
	v_add_nc_u32_e32 v60, v59, v60
	ds_swizzle_b32 v59, v60 offset:swizzle(BROADCAST,32,15)
	s_wait_dscnt 0x0
	v_dual_lshrrev_b32 v59, 5, v14 :: v_dual_bitop2_b32 v61, v61, v59 bitop3:0x40
	v_add_nc_u32_e32 v16, v60, v61
	v_cmpx_eq_u32_e64 v14, v62
; %bb.126:
	s_delay_alu instid0(VALU_DEP_3)
	v_lshlrev_b32_e32 v60, 2, v59
	ds_store_b32 v60, v16
; %bb.127:
	s_or_b32 exec_lo, exec_lo, s5
	s_delay_alu instid0(SALU_CYCLE_1)
	s_mov_b32 s5, exec_lo
	s_wait_dscnt 0x0
	s_barrier_signal -1
	s_barrier_wait -1
	v_cmpx_gt_u32_e32 16, v14
	s_cbranch_execz .LBB713_129
; %bb.128:
	v_lshlrev_b32_e32 v60, 2, v14
	ds_load_b32 v61, v60
	s_wait_dscnt 0x0
	v_mov_b32_dpp v62, v61 row_shr:1 row_mask:0xf bank_mask:0xf
	s_delay_alu instid0(VALU_DEP_1) | instskip(NEXT) | instid1(VALU_DEP_1)
	v_cndmask_b32_e64 v62, v62, 0, vcc_lo
	v_add_nc_u32_e32 v61, v62, v61
	s_delay_alu instid0(VALU_DEP_1) | instskip(NEXT) | instid1(VALU_DEP_1)
	v_mov_b32_dpp v62, v61 row_shr:2 row_mask:0xf bank_mask:0xf
	v_cndmask_b32_e64 v62, 0, v62, s0
	s_delay_alu instid0(VALU_DEP_1) | instskip(NEXT) | instid1(VALU_DEP_1)
	v_add_nc_u32_e32 v61, v61, v62
	v_mov_b32_dpp v62, v61 row_shr:4 row_mask:0xf bank_mask:0xf
	s_delay_alu instid0(VALU_DEP_1) | instskip(NEXT) | instid1(VALU_DEP_1)
	v_cndmask_b32_e64 v62, 0, v62, s1
	v_add_nc_u32_e32 v61, v61, v62
	s_delay_alu instid0(VALU_DEP_1) | instskip(NEXT) | instid1(VALU_DEP_1)
	v_mov_b32_dpp v62, v61 row_shr:8 row_mask:0xf bank_mask:0xf
	v_cndmask_b32_e64 v62, 0, v62, s3
	s_delay_alu instid0(VALU_DEP_1)
	v_add_nc_u32_e32 v61, v61, v62
	ds_store_b32 v60, v61
.LBB713_129:
	s_or_b32 exec_lo, exec_lo, s5
	v_mov_b32_e32 v60, 0
	s_mov_b32 s0, exec_lo
	s_wait_dscnt 0x0
	s_barrier_signal -1
	s_barrier_wait -1
	v_cmpx_lt_u32_e32 31, v14
; %bb.130:
	v_lshl_add_u32 v59, v59, 2, -4
	ds_load_b32 v60, v59
; %bb.131:
	s_or_b32 exec_lo, exec_lo, s0
	v_sub_co_u32 v59, vcc_lo, v15, 1
	s_wait_dscnt 0x0
	v_add_nc_u32_e32 v16, v60, v16
	s_delay_alu instid0(VALU_DEP_2) | instskip(NEXT) | instid1(VALU_DEP_1)
	v_cmp_gt_i32_e64 s0, 0, v59
	v_cndmask_b32_e64 v15, v59, v15, s0
	v_cmp_gt_u32_e64 s0, 0x100, v14
	s_delay_alu instid0(VALU_DEP_2) | instskip(SKIP_4) | instid1(VALU_DEP_2)
	v_lshlrev_b32_e32 v15, 2, v15
	ds_bpermute_b32 v15, v15, v16
	s_wait_dscnt 0x0
	v_cndmask_b32_e32 v15, v15, v60, vcc_lo
	v_cmp_lt_u32_e32 vcc_lo, 0xff, v14
	v_cndmask_b32_e64 v15, v15, 0, s2
	s_delay_alu instid0(VALU_DEP_1) | instskip(NEXT) | instid1(VALU_DEP_1)
	v_add_nc_u32_e32 v6, v15, v6
	v_add_nc_u32_e32 v7, v6, v7
	s_delay_alu instid0(VALU_DEP_1) | instskip(NEXT) | instid1(VALU_DEP_1)
	v_add_nc_u32_e32 v4, v7, v4
	v_add_nc_u32_e32 v5, v4, v5
	;; [unrolled: 3-line block ×4, first 2 shown]
	ds_store_2addr_b32 v11, v15, v6 offset0:16 offset1:17
	ds_store_2addr_b32 v11, v7, v4 offset0:18 offset1:19
	;; [unrolled: 1-line block ×4, first 2 shown]
	ds_store_b32 v11, v1 offset:96
	s_wait_dscnt 0x0
	s_barrier_signal -1
	s_barrier_wait -1
	ds_load_b32 v59, v12 offset:64
	ds_load_b32 v60, v19 offset:64
	;; [unrolled: 1-line block ×12, first 2 shown]
	v_mov_b64_e32 v[0:1], 0
                                        ; implicit-def: $vgpr2
	s_and_saveexec_b32 s2, s0
	s_cbranch_execz .LBB713_135
; %bb.132:
	v_mul_u32_u24_e32 v0, 0x44, v14
	v_dual_mov_b32 v1, 0x1800 :: v_dual_add_nc_u32 v2, 1, v14
	s_mov_b32 s3, exec_lo
	ds_load_b32 v0, v0 offset:64
	v_cmpx_ne_u32_e32 0x100, v2
; %bb.133:
	v_mul_u32_u24_e32 v1, 0x44, v2
	ds_load_b32 v1, v1 offset:64
; %bb.134:
	s_or_b32 exec_lo, exec_lo, s3
	s_wait_dscnt 0x0
	v_dual_mov_b32 v1, 0 :: v_dual_sub_nc_u32 v2, v1, v0
.LBB713_135:
	s_or_b32 exec_lo, exec_lo, s2
	s_wait_dscnt 0xa
	v_dual_lshlrev_b32 v9, 1, v9 :: v_dual_lshlrev_b32 v23, 1, v60
	v_dual_lshlrev_b32 v18, 1, v18 :: v_dual_lshlrev_b32 v17, 1, v17
	v_lshlrev_b32_e32 v21, 1, v21
	s_delay_alu instid0(VALU_DEP_3)
	v_lshl_add_u32 v9, v59, 1, v9
	s_wait_dscnt 0x0
	s_barrier_signal -1
	v_add3_u32 v17, v23, v18, v17
	v_dual_lshlrev_b32 v18, 1, v19 :: v_dual_lshlrev_b32 v19, 1, v22
	s_barrier_wait -1
	ds_store_b16 v9, v8 offset:2048
	ds_store_b16 v17, v10 offset:2048
	v_lshlrev_b32_e32 v9, 1, v16
	v_add3_u32 v8, v18, v19, v21
	v_dual_lshlrev_b32 v10, 1, v26 :: v_dual_lshlrev_b32 v16, 1, v25
	v_dual_lshlrev_b32 v18, 1, v28 :: v_dual_lshlrev_b32 v19, 1, v34
	;; [unrolled: 1-line block ×6, first 2 shown]
	ds_store_b16 v8, v13 offset:2048
	v_add3_u32 v8, v9, v10, v16
	v_add3_u32 v10, v12, v19, v21
	v_dual_lshlrev_b32 v12, 1, v42 :: v_dual_lshlrev_b32 v13, 1, v41
	v_add3_u32 v9, v15, v17, v18
	v_add3_u32 v11, v11, v22, v23
	ds_store_b16 v8, v20 offset:2048
	ds_store_b16 v9, v24 offset:2048
	;; [unrolled: 1-line block ×4, first 2 shown]
	v_add3_u32 v7, v7, v12, v13
	v_dual_lshlrev_b32 v6, 1, v6 :: v_dual_lshlrev_b32 v9, 1, v45
	v_dual_lshlrev_b32 v8, 1, v46 :: v_dual_lshlrev_b32 v5, 1, v5
	;; [unrolled: 1-line block ×4, first 2 shown]
	v_lshlrev_b32_e32 v3, 1, v3
	v_dual_lshlrev_b32 v16, 1, v55 :: v_dual_lshlrev_b32 v4, 1, v4
	v_lshlrev_b32_e32 v12, 1, v54
	ds_store_b16 v7, v36 offset:2048
	v_add3_u32 v6, v6, v8, v9
	v_add3_u32 v7, v5, v10, v11
	v_mov_b32_e32 v5, 0
	v_add3_u32 v8, v3, v15, v16
	v_lshlrev_b32_e32 v3, 3, v14
	v_add3_u32 v4, v4, v12, v13
	ds_store_b16 v6, v40 offset:2048
	ds_store_b16 v7, v44 offset:2048
	;; [unrolled: 1-line block ×4, first 2 shown]
	s_and_saveexec_b32 s1, s0
	s_cbranch_execz .LBB713_145
; %bb.136:
	v_lshl_add_u32 v4, s23, 8, v14
	v_dual_mov_b32 v8, 0 :: v_dual_bitop2_b32 v9, 2.0, v2 bitop3:0x54
	s_mov_b32 s2, 0
	s_mov_b32 s3, s23
	s_delay_alu instid0(VALU_DEP_2)
	v_lshl_add_u64 v[6:7], v[4:5], 2, s[10:11]
	global_store_b32 v4, v9, s[10:11] scale_offset scope:SCOPE_DEV
                                        ; implicit-def: $sgpr0
	s_branch .LBB713_139
.LBB713_137:                            ;   in Loop: Header=BB713_139 Depth=1
	s_or_b32 exec_lo, exec_lo, s5
.LBB713_138:                            ;   in Loop: Header=BB713_139 Depth=1
	s_delay_alu instid0(SALU_CYCLE_1) | instskip(SKIP_2) | instid1(VALU_DEP_2)
	s_or_b32 exec_lo, exec_lo, s4
	v_and_b32_e32 v4, 0x3fffffff, v9
	v_cmp_gt_i32_e64 s0, -2.0, v9
	v_add_nc_u32_e32 v8, v4, v8
	s_and_b32 s4, exec_lo, s0
	s_delay_alu instid0(SALU_CYCLE_1) | instskip(NEXT) | instid1(SALU_CYCLE_1)
	s_or_b32 s2, s4, s2
	s_and_not1_b32 exec_lo, exec_lo, s2
	s_cbranch_execz .LBB713_144
.LBB713_139:                            ; =>This Loop Header: Depth=1
                                        ;     Child Loop BB713_142 Depth 2
	s_or_b32 s0, s0, exec_lo
	s_cmp_eq_u32 s3, 0
	s_cbranch_scc1 .LBB713_143
; %bb.140:                              ;   in Loop: Header=BB713_139 Depth=1
	s_add_co_i32 s3, s3, -1
	s_mov_b32 s4, exec_lo
	s_wait_xcnt 0x0
	v_lshl_or_b32 v4, s3, 8, v14
	global_load_b32 v9, v4, s[10:11] scale_offset scope:SCOPE_DEV
	s_wait_loadcnt 0x0
	v_cmpx_gt_u32_e32 2.0, v9
	s_cbranch_execz .LBB713_138
; %bb.141:                              ;   in Loop: Header=BB713_139 Depth=1
	v_lshl_add_u64 v[10:11], v[4:5], 2, s[10:11]
	s_mov_b32 s5, 0
.LBB713_142:                            ;   Parent Loop BB713_139 Depth=1
                                        ; =>  This Inner Loop Header: Depth=2
	global_load_b32 v9, v[10:11], off scope:SCOPE_DEV
	s_wait_loadcnt 0x0
	v_cmp_lt_u32_e64 s0, 0x3fffffff, v9
	s_or_b32 s5, s0, s5
	s_wait_xcnt 0x0
	s_and_not1_b32 exec_lo, exec_lo, s5
	s_cbranch_execnz .LBB713_142
	s_branch .LBB713_137
.LBB713_143:                            ;   in Loop: Header=BB713_139 Depth=1
                                        ; implicit-def: $sgpr3
	s_and_b32 s4, exec_lo, s0
	s_delay_alu instid0(SALU_CYCLE_1)
	s_or_b32 s2, s4, s2
	s_wait_xcnt 0x0
	s_and_not1_b32 exec_lo, exec_lo, s2
	s_cbranch_execnz .LBB713_139
.LBB713_144:
	s_or_b32 exec_lo, exec_lo, s2
	v_dual_mov_b32 v9, 0 :: v_dual_add_nc_u32 v4, v8, v2
	s_delay_alu instid0(VALU_DEP_1) | instskip(SKIP_4) | instid1(VALU_DEP_1)
	v_or_b32_e32 v4, 0x80000000, v4
	global_store_b32 v[6:7], v4, off scope:SCOPE_DEV
	global_load_b64 v[4:5], v14, s[12:13] scale_offset
	v_sub_nc_u64_e32 v[6:7], v[8:9], v[0:1]
	s_wait_loadcnt 0x0
	v_add_nc_u64_e32 v[4:5], v[6:7], v[4:5]
	ds_store_b64 v3, v[4:5]
.LBB713_145:
	s_wait_xcnt 0x0
	s_or_b32 exec_lo, exec_lo, s1
	v_mad_i32_i24 v15, v14, -6, v3
	s_wait_storecnt_dscnt 0x0
	s_barrier_signal -1
	s_barrier_wait -1
	ds_load_u16 v6, v15 offset:2048
	ds_load_u16 v7, v15 offset:3072
	;; [unrolled: 1-line block ×8, first 2 shown]
	v_dual_mov_b32 v5, 0 :: v_dual_lshlrev_b32 v4, 1, v14
	s_add_co_i32 s8, s8, -1
	s_delay_alu instid0(SALU_CYCLE_1) | instskip(SKIP_2) | instid1(SALU_CYCLE_1)
	s_cmp_eq_u32 s23, s8
	s_cselect_b32 s0, -1, 0
	s_xor_b32 s1, vcc_lo, -1
	s_and_b32 s0, s1, s0
	s_wait_dscnt 0x7
	v_and_b32_e32 v10, 0xffff, v6
	v_xor_b32_e32 v20, 0xffff8000, v6
	s_wait_dscnt 0x6
	v_and_b32_e32 v6, 0xffff, v7
	v_xor_b32_e32 v21, 0xffff8000, v7
	;; [unrolled: 3-line block ×4, first 2 shown]
	s_wait_dscnt 0x3
	v_and_b32_e32 v9, 0xffff, v22
	v_dual_lshrrev_b32 v10, s20, v10 :: v_dual_lshrrev_b32 v7, s20, v7
	v_dual_lshrrev_b32 v6, s20, v6 :: v_dual_lshrrev_b32 v8, s20, v8
	s_wait_dscnt 0x2
	v_and_b32_e32 v11, 0xffff, v24
	s_delay_alu instid0(VALU_DEP_3) | instskip(NEXT) | instid1(VALU_DEP_3)
	v_dual_lshrrev_b32 v16, s20, v9 :: v_dual_bitop2_b32 v9, s9, v10 bitop3:0x40
	v_and_b32_e32 v6, s9, v6
	v_and_b32_e32 v7, s9, v7
	s_wait_dscnt 0x1
	v_and_b32_e32 v12, 0xffff, v26
	s_wait_dscnt 0x0
	v_and_b32_e32 v13, 0xffff, v27
	v_dual_lshrrev_b32 v17, s20, v11 :: v_dual_bitop2_b32 v18, s9, v8 bitop3:0x40
	v_dual_lshlrev_b32 v8, 3, v9 :: v_dual_lshlrev_b32 v9, 3, v6
	v_dual_lshlrev_b32 v10, 3, v7 :: v_dual_lshrrev_b32 v12, s20, v12
	ds_load_u16 v29, v15 offset:10240
	ds_load_u16 v30, v15 offset:11264
	;; [unrolled: 1-line block ×3, first 2 shown]
	ds_load_b64 v[6:7], v8
	ds_load_b64 v[8:9], v9
	;; [unrolled: 1-line block ×3, first 2 shown]
	v_dual_lshrrev_b32 v13, s20, v13 :: v_dual_bitop2_b32 v16, s9, v16 bitop3:0x40
	v_dual_lshlrev_b32 v18, 3, v18 :: v_dual_bitop2_b32 v17, s9, v17 bitop3:0x40
	v_and_b32_e32 v19, s9, v12
	s_delay_alu instid0(VALU_DEP_3)
	v_dual_lshlrev_b32 v16, 3, v16 :: v_dual_bitop2_b32 v25, s9, v13 bitop3:0x40
	ds_load_b64 v[12:13], v18
	v_dual_lshlrev_b32 v18, 3, v17 :: v_dual_lshlrev_b32 v32, 3, v19
	v_lshlrev_b32_e32 v25, 3, v25
	ds_load_u16 v15, v15 offset:13312
	ds_load_b64 v[16:17], v16
	ds_load_b64 v[18:19], v18
	s_wait_dscnt 0x9
	v_and_b32_e32 v33, 0xffff, v29
	s_wait_dscnt 0x8
	v_and_b32_e32 v34, 0xffff, v30
	;; [unrolled: 2-line block ×3, first 2 shown]
	s_wait_dscnt 0x6
	v_lshl_add_u64 v[6:7], v[6:7], 1, s[18:19]
	s_wait_dscnt 0x5
	v_lshl_add_u64 v[8:9], v[8:9], 1, s[18:19]
	s_wait_dscnt 0x4
	v_lshl_add_u64 v[10:11], v[10:11], 1, s[18:19]
	v_dual_lshrrev_b32 v33, s20, v33 :: v_dual_lshrrev_b32 v34, s20, v34
	v_add_nc_u64_e32 v[6:7], v[6:7], v[4:5]
	v_add_nc_u64_e32 v[8:9], v[8:9], v[4:5]
	s_delay_alu instid0(VALU_DEP_4) | instskip(NEXT) | instid1(VALU_DEP_4)
	v_add_nc_u64_e32 v[10:11], v[10:11], v[4:5]
	v_and_b32_e32 v33, s9, v33
	s_clause 0x2
	global_store_b16 v[6:7], v20, off
	global_store_b16 v[8:9], v21, off offset:1024
	global_store_b16 v[10:11], v23, off offset:2048
	s_wait_dscnt 0x2
	s_wait_xcnt 0x0
	v_and_b32_e32 v10, 0xffff, v15
	v_dual_lshrrev_b32 v21, s20, v35 :: v_dual_bitop2_b32 v34, s9, v34 bitop3:0x40
	v_lshlrev_b32_e32 v20, 3, v33
	ds_load_b64 v[6:7], v32
	ds_load_b64 v[8:9], v25
	v_lshrrev_b32_e32 v25, s20, v10
	s_wait_dscnt 0x3
	v_lshl_add_u64 v[10:11], v[16:17], 1, s[18:19]
	v_dual_lshlrev_b32 v23, 3, v34 :: v_dual_bitop2_b32 v32, s9, v21 bitop3:0x40
	ds_load_b64 v[16:17], v20
	v_xor_b32_e32 v33, 0xffff8000, v22
	v_xor_b32_e32 v34, 0xffff8000, v24
	ds_load_b64 v[20:21], v23
	v_dual_lshlrev_b32 v25, 3, v32 :: v_dual_bitop2_b32 v23, s9, v25 bitop3:0x40
	v_lshl_add_u64 v[12:13], v[12:13], 1, s[18:19]
	s_wait_dscnt 0x4
	v_lshl_add_u64 v[18:19], v[18:19], 1, s[18:19]
	v_add_nc_u64_e32 v[10:11], v[10:11], v[4:5]
	v_lshlrev_b32_e32 v32, 3, v23
	ds_load_b64 v[22:23], v25
	v_add_nc_u64_e32 v[12:13], v[12:13], v[4:5]
	v_add_nc_u64_e32 v[18:19], v[18:19], v[4:5]
	ds_load_b64 v[24:25], v32
	s_wait_dscnt 0x5
	v_lshl_add_u64 v[6:7], v[6:7], 1, s[18:19]
	s_wait_dscnt 0x4
	v_lshl_add_u64 v[8:9], v[8:9], 1, s[18:19]
	s_clause 0x2
	global_store_b16 v[12:13], v28, off offset:3072
	global_store_b16 v[10:11], v33, off offset:4096
	;; [unrolled: 1-line block ×3, first 2 shown]
	v_add_nc_u64_e32 v[6:7], v[6:7], v[4:5]
	v_add_nc_u64_e32 v[8:9], v[8:9], v[4:5]
	s_wait_xcnt 0x0
	v_xor_b32_e32 v18, 0xffff8000, v26
	s_wait_dscnt 0x3
	v_lshl_add_u64 v[10:11], v[16:17], 1, s[18:19]
	v_xor_b32_e32 v16, 0xffff8000, v27
	s_wait_dscnt 0x2
	v_lshl_add_u64 v[12:13], v[20:21], 1, s[18:19]
	v_xor_b32_e32 v17, 0xffff8000, v29
	global_store_b16 v[6:7], v18, off offset:6144
	v_add_nc_u64_e32 v[10:11], v[10:11], v[4:5]
	global_store_b16 v[8:9], v16, off offset:7168
	s_wait_dscnt 0x1
	s_wait_xcnt 0x1
	v_lshl_add_u64 v[6:7], v[22:23], 1, s[18:19]
	v_add_nc_u64_e32 v[12:13], v[12:13], v[4:5]
	v_xor_b32_e32 v18, 0xffff8000, v30
	s_wait_dscnt 0x0
	s_wait_xcnt 0x0
	v_lshl_add_u64 v[8:9], v[24:25], 1, s[18:19]
	v_add_nc_u64_e32 v[6:7], v[6:7], v[4:5]
	global_store_b16 v[10:11], v17, off offset:8192
	s_wait_xcnt 0x0
	v_xor_b32_e32 v10, 0xffff8000, v31
	global_store_b16 v[12:13], v18, off offset:9216
	v_add_nc_u64_e32 v[8:9], v[8:9], v[4:5]
	v_xor_b32_e32 v4, 0xffff8000, v15
	s_clause 0x1
	global_store_b16 v[6:7], v10, off offset:10240
	global_store_b16 v[8:9], v4, off offset:11264
	s_wait_xcnt 0x0
	s_and_saveexec_b32 s1, s0
	s_cbranch_execz .LBB713_147
; %bb.146:
	ds_load_b64 v[6:7], v3
	v_mov_b32_e32 v3, v5
	s_delay_alu instid0(VALU_DEP_1) | instskip(SKIP_1) | instid1(VALU_DEP_1)
	v_add_nc_u64_e32 v[0:1], v[0:1], v[2:3]
	s_wait_dscnt 0x0
	v_add_nc_u64_e32 v[0:1], v[0:1], v[6:7]
	global_store_b64 v14, v[0:1], s[14:15] scale_offset
.LBB713_147:
	s_sendmsg sendmsg(MSG_DEALLOC_VGPRS)
	s_endpgm
	.section	.rodata,"a",@progbits
	.p2align	6, 0x0
	.amdhsa_kernel _ZN7rocprim17ROCPRIM_400000_NS6detail17trampoline_kernelINS0_14default_configENS1_35radix_sort_onesweep_config_selectorIsNS0_10empty_typeEEEZZNS1_29radix_sort_onesweep_iterationIS3_Lb0EPKsPsPS5_SB_mNS0_19identity_decomposerENS1_16block_id_wrapperIjLb1EEEEE10hipError_tT1_PNSt15iterator_traitsISG_E10value_typeET2_T3_PNSH_ISM_E10value_typeET4_T5_PSR_SS_PNS1_23onesweep_lookback_stateEbbT6_jjT7_P12ihipStream_tbENKUlT_T0_SG_SL_E_clIS9_SA_SB_SB_EEDaSZ_S10_SG_SL_EUlSZ_E_NS1_11comp_targetILNS1_3genE0ELNS1_11target_archE4294967295ELNS1_3gpuE0ELNS1_3repE0EEENS1_47radix_sort_onesweep_sort_config_static_selectorELNS0_4arch9wavefront6targetE0EEEvSG_
		.amdhsa_group_segment_fixed_size 18504
		.amdhsa_private_segment_fixed_size 0
		.amdhsa_kernarg_size 344
		.amdhsa_user_sgpr_count 2
		.amdhsa_user_sgpr_dispatch_ptr 0
		.amdhsa_user_sgpr_queue_ptr 0
		.amdhsa_user_sgpr_kernarg_segment_ptr 1
		.amdhsa_user_sgpr_dispatch_id 0
		.amdhsa_user_sgpr_kernarg_preload_length 0
		.amdhsa_user_sgpr_kernarg_preload_offset 0
		.amdhsa_user_sgpr_private_segment_size 0
		.amdhsa_wavefront_size32 1
		.amdhsa_uses_dynamic_stack 0
		.amdhsa_enable_private_segment 0
		.amdhsa_system_sgpr_workgroup_id_x 1
		.amdhsa_system_sgpr_workgroup_id_y 0
		.amdhsa_system_sgpr_workgroup_id_z 0
		.amdhsa_system_sgpr_workgroup_info 0
		.amdhsa_system_vgpr_workitem_id 2
		.amdhsa_next_free_vgpr 65
		.amdhsa_next_free_sgpr 30
		.amdhsa_named_barrier_count 0
		.amdhsa_reserve_vcc 1
		.amdhsa_float_round_mode_32 0
		.amdhsa_float_round_mode_16_64 0
		.amdhsa_float_denorm_mode_32 3
		.amdhsa_float_denorm_mode_16_64 3
		.amdhsa_fp16_overflow 0
		.amdhsa_memory_ordered 1
		.amdhsa_forward_progress 1
		.amdhsa_inst_pref_size 137
		.amdhsa_round_robin_scheduling 0
		.amdhsa_exception_fp_ieee_invalid_op 0
		.amdhsa_exception_fp_denorm_src 0
		.amdhsa_exception_fp_ieee_div_zero 0
		.amdhsa_exception_fp_ieee_overflow 0
		.amdhsa_exception_fp_ieee_underflow 0
		.amdhsa_exception_fp_ieee_inexact 0
		.amdhsa_exception_int_div_zero 0
	.end_amdhsa_kernel
	.section	.text._ZN7rocprim17ROCPRIM_400000_NS6detail17trampoline_kernelINS0_14default_configENS1_35radix_sort_onesweep_config_selectorIsNS0_10empty_typeEEEZZNS1_29radix_sort_onesweep_iterationIS3_Lb0EPKsPsPS5_SB_mNS0_19identity_decomposerENS1_16block_id_wrapperIjLb1EEEEE10hipError_tT1_PNSt15iterator_traitsISG_E10value_typeET2_T3_PNSH_ISM_E10value_typeET4_T5_PSR_SS_PNS1_23onesweep_lookback_stateEbbT6_jjT7_P12ihipStream_tbENKUlT_T0_SG_SL_E_clIS9_SA_SB_SB_EEDaSZ_S10_SG_SL_EUlSZ_E_NS1_11comp_targetILNS1_3genE0ELNS1_11target_archE4294967295ELNS1_3gpuE0ELNS1_3repE0EEENS1_47radix_sort_onesweep_sort_config_static_selectorELNS0_4arch9wavefront6targetE0EEEvSG_,"axG",@progbits,_ZN7rocprim17ROCPRIM_400000_NS6detail17trampoline_kernelINS0_14default_configENS1_35radix_sort_onesweep_config_selectorIsNS0_10empty_typeEEEZZNS1_29radix_sort_onesweep_iterationIS3_Lb0EPKsPsPS5_SB_mNS0_19identity_decomposerENS1_16block_id_wrapperIjLb1EEEEE10hipError_tT1_PNSt15iterator_traitsISG_E10value_typeET2_T3_PNSH_ISM_E10value_typeET4_T5_PSR_SS_PNS1_23onesweep_lookback_stateEbbT6_jjT7_P12ihipStream_tbENKUlT_T0_SG_SL_E_clIS9_SA_SB_SB_EEDaSZ_S10_SG_SL_EUlSZ_E_NS1_11comp_targetILNS1_3genE0ELNS1_11target_archE4294967295ELNS1_3gpuE0ELNS1_3repE0EEENS1_47radix_sort_onesweep_sort_config_static_selectorELNS0_4arch9wavefront6targetE0EEEvSG_,comdat
.Lfunc_end713:
	.size	_ZN7rocprim17ROCPRIM_400000_NS6detail17trampoline_kernelINS0_14default_configENS1_35radix_sort_onesweep_config_selectorIsNS0_10empty_typeEEEZZNS1_29radix_sort_onesweep_iterationIS3_Lb0EPKsPsPS5_SB_mNS0_19identity_decomposerENS1_16block_id_wrapperIjLb1EEEEE10hipError_tT1_PNSt15iterator_traitsISG_E10value_typeET2_T3_PNSH_ISM_E10value_typeET4_T5_PSR_SS_PNS1_23onesweep_lookback_stateEbbT6_jjT7_P12ihipStream_tbENKUlT_T0_SG_SL_E_clIS9_SA_SB_SB_EEDaSZ_S10_SG_SL_EUlSZ_E_NS1_11comp_targetILNS1_3genE0ELNS1_11target_archE4294967295ELNS1_3gpuE0ELNS1_3repE0EEENS1_47radix_sort_onesweep_sort_config_static_selectorELNS0_4arch9wavefront6targetE0EEEvSG_, .Lfunc_end713-_ZN7rocprim17ROCPRIM_400000_NS6detail17trampoline_kernelINS0_14default_configENS1_35radix_sort_onesweep_config_selectorIsNS0_10empty_typeEEEZZNS1_29radix_sort_onesweep_iterationIS3_Lb0EPKsPsPS5_SB_mNS0_19identity_decomposerENS1_16block_id_wrapperIjLb1EEEEE10hipError_tT1_PNSt15iterator_traitsISG_E10value_typeET2_T3_PNSH_ISM_E10value_typeET4_T5_PSR_SS_PNS1_23onesweep_lookback_stateEbbT6_jjT7_P12ihipStream_tbENKUlT_T0_SG_SL_E_clIS9_SA_SB_SB_EEDaSZ_S10_SG_SL_EUlSZ_E_NS1_11comp_targetILNS1_3genE0ELNS1_11target_archE4294967295ELNS1_3gpuE0ELNS1_3repE0EEENS1_47radix_sort_onesweep_sort_config_static_selectorELNS0_4arch9wavefront6targetE0EEEvSG_
                                        ; -- End function
	.set _ZN7rocprim17ROCPRIM_400000_NS6detail17trampoline_kernelINS0_14default_configENS1_35radix_sort_onesweep_config_selectorIsNS0_10empty_typeEEEZZNS1_29radix_sort_onesweep_iterationIS3_Lb0EPKsPsPS5_SB_mNS0_19identity_decomposerENS1_16block_id_wrapperIjLb1EEEEE10hipError_tT1_PNSt15iterator_traitsISG_E10value_typeET2_T3_PNSH_ISM_E10value_typeET4_T5_PSR_SS_PNS1_23onesweep_lookback_stateEbbT6_jjT7_P12ihipStream_tbENKUlT_T0_SG_SL_E_clIS9_SA_SB_SB_EEDaSZ_S10_SG_SL_EUlSZ_E_NS1_11comp_targetILNS1_3genE0ELNS1_11target_archE4294967295ELNS1_3gpuE0ELNS1_3repE0EEENS1_47radix_sort_onesweep_sort_config_static_selectorELNS0_4arch9wavefront6targetE0EEEvSG_.num_vgpr, 65
	.set _ZN7rocprim17ROCPRIM_400000_NS6detail17trampoline_kernelINS0_14default_configENS1_35radix_sort_onesweep_config_selectorIsNS0_10empty_typeEEEZZNS1_29radix_sort_onesweep_iterationIS3_Lb0EPKsPsPS5_SB_mNS0_19identity_decomposerENS1_16block_id_wrapperIjLb1EEEEE10hipError_tT1_PNSt15iterator_traitsISG_E10value_typeET2_T3_PNSH_ISM_E10value_typeET4_T5_PSR_SS_PNS1_23onesweep_lookback_stateEbbT6_jjT7_P12ihipStream_tbENKUlT_T0_SG_SL_E_clIS9_SA_SB_SB_EEDaSZ_S10_SG_SL_EUlSZ_E_NS1_11comp_targetILNS1_3genE0ELNS1_11target_archE4294967295ELNS1_3gpuE0ELNS1_3repE0EEENS1_47radix_sort_onesweep_sort_config_static_selectorELNS0_4arch9wavefront6targetE0EEEvSG_.num_agpr, 0
	.set _ZN7rocprim17ROCPRIM_400000_NS6detail17trampoline_kernelINS0_14default_configENS1_35radix_sort_onesweep_config_selectorIsNS0_10empty_typeEEEZZNS1_29radix_sort_onesweep_iterationIS3_Lb0EPKsPsPS5_SB_mNS0_19identity_decomposerENS1_16block_id_wrapperIjLb1EEEEE10hipError_tT1_PNSt15iterator_traitsISG_E10value_typeET2_T3_PNSH_ISM_E10value_typeET4_T5_PSR_SS_PNS1_23onesweep_lookback_stateEbbT6_jjT7_P12ihipStream_tbENKUlT_T0_SG_SL_E_clIS9_SA_SB_SB_EEDaSZ_S10_SG_SL_EUlSZ_E_NS1_11comp_targetILNS1_3genE0ELNS1_11target_archE4294967295ELNS1_3gpuE0ELNS1_3repE0EEENS1_47radix_sort_onesweep_sort_config_static_selectorELNS0_4arch9wavefront6targetE0EEEvSG_.numbered_sgpr, 30
	.set _ZN7rocprim17ROCPRIM_400000_NS6detail17trampoline_kernelINS0_14default_configENS1_35radix_sort_onesweep_config_selectorIsNS0_10empty_typeEEEZZNS1_29radix_sort_onesweep_iterationIS3_Lb0EPKsPsPS5_SB_mNS0_19identity_decomposerENS1_16block_id_wrapperIjLb1EEEEE10hipError_tT1_PNSt15iterator_traitsISG_E10value_typeET2_T3_PNSH_ISM_E10value_typeET4_T5_PSR_SS_PNS1_23onesweep_lookback_stateEbbT6_jjT7_P12ihipStream_tbENKUlT_T0_SG_SL_E_clIS9_SA_SB_SB_EEDaSZ_S10_SG_SL_EUlSZ_E_NS1_11comp_targetILNS1_3genE0ELNS1_11target_archE4294967295ELNS1_3gpuE0ELNS1_3repE0EEENS1_47radix_sort_onesweep_sort_config_static_selectorELNS0_4arch9wavefront6targetE0EEEvSG_.num_named_barrier, 0
	.set _ZN7rocprim17ROCPRIM_400000_NS6detail17trampoline_kernelINS0_14default_configENS1_35radix_sort_onesweep_config_selectorIsNS0_10empty_typeEEEZZNS1_29radix_sort_onesweep_iterationIS3_Lb0EPKsPsPS5_SB_mNS0_19identity_decomposerENS1_16block_id_wrapperIjLb1EEEEE10hipError_tT1_PNSt15iterator_traitsISG_E10value_typeET2_T3_PNSH_ISM_E10value_typeET4_T5_PSR_SS_PNS1_23onesweep_lookback_stateEbbT6_jjT7_P12ihipStream_tbENKUlT_T0_SG_SL_E_clIS9_SA_SB_SB_EEDaSZ_S10_SG_SL_EUlSZ_E_NS1_11comp_targetILNS1_3genE0ELNS1_11target_archE4294967295ELNS1_3gpuE0ELNS1_3repE0EEENS1_47radix_sort_onesweep_sort_config_static_selectorELNS0_4arch9wavefront6targetE0EEEvSG_.private_seg_size, 0
	.set _ZN7rocprim17ROCPRIM_400000_NS6detail17trampoline_kernelINS0_14default_configENS1_35radix_sort_onesweep_config_selectorIsNS0_10empty_typeEEEZZNS1_29radix_sort_onesweep_iterationIS3_Lb0EPKsPsPS5_SB_mNS0_19identity_decomposerENS1_16block_id_wrapperIjLb1EEEEE10hipError_tT1_PNSt15iterator_traitsISG_E10value_typeET2_T3_PNSH_ISM_E10value_typeET4_T5_PSR_SS_PNS1_23onesweep_lookback_stateEbbT6_jjT7_P12ihipStream_tbENKUlT_T0_SG_SL_E_clIS9_SA_SB_SB_EEDaSZ_S10_SG_SL_EUlSZ_E_NS1_11comp_targetILNS1_3genE0ELNS1_11target_archE4294967295ELNS1_3gpuE0ELNS1_3repE0EEENS1_47radix_sort_onesweep_sort_config_static_selectorELNS0_4arch9wavefront6targetE0EEEvSG_.uses_vcc, 1
	.set _ZN7rocprim17ROCPRIM_400000_NS6detail17trampoline_kernelINS0_14default_configENS1_35radix_sort_onesweep_config_selectorIsNS0_10empty_typeEEEZZNS1_29radix_sort_onesweep_iterationIS3_Lb0EPKsPsPS5_SB_mNS0_19identity_decomposerENS1_16block_id_wrapperIjLb1EEEEE10hipError_tT1_PNSt15iterator_traitsISG_E10value_typeET2_T3_PNSH_ISM_E10value_typeET4_T5_PSR_SS_PNS1_23onesweep_lookback_stateEbbT6_jjT7_P12ihipStream_tbENKUlT_T0_SG_SL_E_clIS9_SA_SB_SB_EEDaSZ_S10_SG_SL_EUlSZ_E_NS1_11comp_targetILNS1_3genE0ELNS1_11target_archE4294967295ELNS1_3gpuE0ELNS1_3repE0EEENS1_47radix_sort_onesweep_sort_config_static_selectorELNS0_4arch9wavefront6targetE0EEEvSG_.uses_flat_scratch, 0
	.set _ZN7rocprim17ROCPRIM_400000_NS6detail17trampoline_kernelINS0_14default_configENS1_35radix_sort_onesweep_config_selectorIsNS0_10empty_typeEEEZZNS1_29radix_sort_onesweep_iterationIS3_Lb0EPKsPsPS5_SB_mNS0_19identity_decomposerENS1_16block_id_wrapperIjLb1EEEEE10hipError_tT1_PNSt15iterator_traitsISG_E10value_typeET2_T3_PNSH_ISM_E10value_typeET4_T5_PSR_SS_PNS1_23onesweep_lookback_stateEbbT6_jjT7_P12ihipStream_tbENKUlT_T0_SG_SL_E_clIS9_SA_SB_SB_EEDaSZ_S10_SG_SL_EUlSZ_E_NS1_11comp_targetILNS1_3genE0ELNS1_11target_archE4294967295ELNS1_3gpuE0ELNS1_3repE0EEENS1_47radix_sort_onesweep_sort_config_static_selectorELNS0_4arch9wavefront6targetE0EEEvSG_.has_dyn_sized_stack, 0
	.set _ZN7rocprim17ROCPRIM_400000_NS6detail17trampoline_kernelINS0_14default_configENS1_35radix_sort_onesweep_config_selectorIsNS0_10empty_typeEEEZZNS1_29radix_sort_onesweep_iterationIS3_Lb0EPKsPsPS5_SB_mNS0_19identity_decomposerENS1_16block_id_wrapperIjLb1EEEEE10hipError_tT1_PNSt15iterator_traitsISG_E10value_typeET2_T3_PNSH_ISM_E10value_typeET4_T5_PSR_SS_PNS1_23onesweep_lookback_stateEbbT6_jjT7_P12ihipStream_tbENKUlT_T0_SG_SL_E_clIS9_SA_SB_SB_EEDaSZ_S10_SG_SL_EUlSZ_E_NS1_11comp_targetILNS1_3genE0ELNS1_11target_archE4294967295ELNS1_3gpuE0ELNS1_3repE0EEENS1_47radix_sort_onesweep_sort_config_static_selectorELNS0_4arch9wavefront6targetE0EEEvSG_.has_recursion, 0
	.set _ZN7rocprim17ROCPRIM_400000_NS6detail17trampoline_kernelINS0_14default_configENS1_35radix_sort_onesweep_config_selectorIsNS0_10empty_typeEEEZZNS1_29radix_sort_onesweep_iterationIS3_Lb0EPKsPsPS5_SB_mNS0_19identity_decomposerENS1_16block_id_wrapperIjLb1EEEEE10hipError_tT1_PNSt15iterator_traitsISG_E10value_typeET2_T3_PNSH_ISM_E10value_typeET4_T5_PSR_SS_PNS1_23onesweep_lookback_stateEbbT6_jjT7_P12ihipStream_tbENKUlT_T0_SG_SL_E_clIS9_SA_SB_SB_EEDaSZ_S10_SG_SL_EUlSZ_E_NS1_11comp_targetILNS1_3genE0ELNS1_11target_archE4294967295ELNS1_3gpuE0ELNS1_3repE0EEENS1_47radix_sort_onesweep_sort_config_static_selectorELNS0_4arch9wavefront6targetE0EEEvSG_.has_indirect_call, 0
	.section	.AMDGPU.csdata,"",@progbits
; Kernel info:
; codeLenInByte = 17440
; TotalNumSgprs: 32
; NumVgprs: 65
; ScratchSize: 0
; MemoryBound: 0
; FloatMode: 240
; IeeeMode: 1
; LDSByteSize: 18504 bytes/workgroup (compile time only)
; SGPRBlocks: 0
; VGPRBlocks: 4
; NumSGPRsForWavesPerEU: 32
; NumVGPRsForWavesPerEU: 65
; NamedBarCnt: 0
; Occupancy: 12
; WaveLimiterHint : 0
; COMPUTE_PGM_RSRC2:SCRATCH_EN: 0
; COMPUTE_PGM_RSRC2:USER_SGPR: 2
; COMPUTE_PGM_RSRC2:TRAP_HANDLER: 0
; COMPUTE_PGM_RSRC2:TGID_X_EN: 1
; COMPUTE_PGM_RSRC2:TGID_Y_EN: 0
; COMPUTE_PGM_RSRC2:TGID_Z_EN: 0
; COMPUTE_PGM_RSRC2:TIDIG_COMP_CNT: 2
	.section	.text._ZN7rocprim17ROCPRIM_400000_NS6detail17trampoline_kernelINS0_14default_configENS1_35radix_sort_onesweep_config_selectorIsNS0_10empty_typeEEEZZNS1_29radix_sort_onesweep_iterationIS3_Lb0EPKsPsPS5_SB_mNS0_19identity_decomposerENS1_16block_id_wrapperIjLb1EEEEE10hipError_tT1_PNSt15iterator_traitsISG_E10value_typeET2_T3_PNSH_ISM_E10value_typeET4_T5_PSR_SS_PNS1_23onesweep_lookback_stateEbbT6_jjT7_P12ihipStream_tbENKUlT_T0_SG_SL_E_clIS9_SA_SB_SB_EEDaSZ_S10_SG_SL_EUlSZ_E_NS1_11comp_targetILNS1_3genE6ELNS1_11target_archE950ELNS1_3gpuE13ELNS1_3repE0EEENS1_47radix_sort_onesweep_sort_config_static_selectorELNS0_4arch9wavefront6targetE0EEEvSG_,"axG",@progbits,_ZN7rocprim17ROCPRIM_400000_NS6detail17trampoline_kernelINS0_14default_configENS1_35radix_sort_onesweep_config_selectorIsNS0_10empty_typeEEEZZNS1_29radix_sort_onesweep_iterationIS3_Lb0EPKsPsPS5_SB_mNS0_19identity_decomposerENS1_16block_id_wrapperIjLb1EEEEE10hipError_tT1_PNSt15iterator_traitsISG_E10value_typeET2_T3_PNSH_ISM_E10value_typeET4_T5_PSR_SS_PNS1_23onesweep_lookback_stateEbbT6_jjT7_P12ihipStream_tbENKUlT_T0_SG_SL_E_clIS9_SA_SB_SB_EEDaSZ_S10_SG_SL_EUlSZ_E_NS1_11comp_targetILNS1_3genE6ELNS1_11target_archE950ELNS1_3gpuE13ELNS1_3repE0EEENS1_47radix_sort_onesweep_sort_config_static_selectorELNS0_4arch9wavefront6targetE0EEEvSG_,comdat
	.protected	_ZN7rocprim17ROCPRIM_400000_NS6detail17trampoline_kernelINS0_14default_configENS1_35radix_sort_onesweep_config_selectorIsNS0_10empty_typeEEEZZNS1_29radix_sort_onesweep_iterationIS3_Lb0EPKsPsPS5_SB_mNS0_19identity_decomposerENS1_16block_id_wrapperIjLb1EEEEE10hipError_tT1_PNSt15iterator_traitsISG_E10value_typeET2_T3_PNSH_ISM_E10value_typeET4_T5_PSR_SS_PNS1_23onesweep_lookback_stateEbbT6_jjT7_P12ihipStream_tbENKUlT_T0_SG_SL_E_clIS9_SA_SB_SB_EEDaSZ_S10_SG_SL_EUlSZ_E_NS1_11comp_targetILNS1_3genE6ELNS1_11target_archE950ELNS1_3gpuE13ELNS1_3repE0EEENS1_47radix_sort_onesweep_sort_config_static_selectorELNS0_4arch9wavefront6targetE0EEEvSG_ ; -- Begin function _ZN7rocprim17ROCPRIM_400000_NS6detail17trampoline_kernelINS0_14default_configENS1_35radix_sort_onesweep_config_selectorIsNS0_10empty_typeEEEZZNS1_29radix_sort_onesweep_iterationIS3_Lb0EPKsPsPS5_SB_mNS0_19identity_decomposerENS1_16block_id_wrapperIjLb1EEEEE10hipError_tT1_PNSt15iterator_traitsISG_E10value_typeET2_T3_PNSH_ISM_E10value_typeET4_T5_PSR_SS_PNS1_23onesweep_lookback_stateEbbT6_jjT7_P12ihipStream_tbENKUlT_T0_SG_SL_E_clIS9_SA_SB_SB_EEDaSZ_S10_SG_SL_EUlSZ_E_NS1_11comp_targetILNS1_3genE6ELNS1_11target_archE950ELNS1_3gpuE13ELNS1_3repE0EEENS1_47radix_sort_onesweep_sort_config_static_selectorELNS0_4arch9wavefront6targetE0EEEvSG_
	.globl	_ZN7rocprim17ROCPRIM_400000_NS6detail17trampoline_kernelINS0_14default_configENS1_35radix_sort_onesweep_config_selectorIsNS0_10empty_typeEEEZZNS1_29radix_sort_onesweep_iterationIS3_Lb0EPKsPsPS5_SB_mNS0_19identity_decomposerENS1_16block_id_wrapperIjLb1EEEEE10hipError_tT1_PNSt15iterator_traitsISG_E10value_typeET2_T3_PNSH_ISM_E10value_typeET4_T5_PSR_SS_PNS1_23onesweep_lookback_stateEbbT6_jjT7_P12ihipStream_tbENKUlT_T0_SG_SL_E_clIS9_SA_SB_SB_EEDaSZ_S10_SG_SL_EUlSZ_E_NS1_11comp_targetILNS1_3genE6ELNS1_11target_archE950ELNS1_3gpuE13ELNS1_3repE0EEENS1_47radix_sort_onesweep_sort_config_static_selectorELNS0_4arch9wavefront6targetE0EEEvSG_
	.p2align	8
	.type	_ZN7rocprim17ROCPRIM_400000_NS6detail17trampoline_kernelINS0_14default_configENS1_35radix_sort_onesweep_config_selectorIsNS0_10empty_typeEEEZZNS1_29radix_sort_onesweep_iterationIS3_Lb0EPKsPsPS5_SB_mNS0_19identity_decomposerENS1_16block_id_wrapperIjLb1EEEEE10hipError_tT1_PNSt15iterator_traitsISG_E10value_typeET2_T3_PNSH_ISM_E10value_typeET4_T5_PSR_SS_PNS1_23onesweep_lookback_stateEbbT6_jjT7_P12ihipStream_tbENKUlT_T0_SG_SL_E_clIS9_SA_SB_SB_EEDaSZ_S10_SG_SL_EUlSZ_E_NS1_11comp_targetILNS1_3genE6ELNS1_11target_archE950ELNS1_3gpuE13ELNS1_3repE0EEENS1_47radix_sort_onesweep_sort_config_static_selectorELNS0_4arch9wavefront6targetE0EEEvSG_,@function
_ZN7rocprim17ROCPRIM_400000_NS6detail17trampoline_kernelINS0_14default_configENS1_35radix_sort_onesweep_config_selectorIsNS0_10empty_typeEEEZZNS1_29radix_sort_onesweep_iterationIS3_Lb0EPKsPsPS5_SB_mNS0_19identity_decomposerENS1_16block_id_wrapperIjLb1EEEEE10hipError_tT1_PNSt15iterator_traitsISG_E10value_typeET2_T3_PNSH_ISM_E10value_typeET4_T5_PSR_SS_PNS1_23onesweep_lookback_stateEbbT6_jjT7_P12ihipStream_tbENKUlT_T0_SG_SL_E_clIS9_SA_SB_SB_EEDaSZ_S10_SG_SL_EUlSZ_E_NS1_11comp_targetILNS1_3genE6ELNS1_11target_archE950ELNS1_3gpuE13ELNS1_3repE0EEENS1_47radix_sort_onesweep_sort_config_static_selectorELNS0_4arch9wavefront6targetE0EEEvSG_: ; @_ZN7rocprim17ROCPRIM_400000_NS6detail17trampoline_kernelINS0_14default_configENS1_35radix_sort_onesweep_config_selectorIsNS0_10empty_typeEEEZZNS1_29radix_sort_onesweep_iterationIS3_Lb0EPKsPsPS5_SB_mNS0_19identity_decomposerENS1_16block_id_wrapperIjLb1EEEEE10hipError_tT1_PNSt15iterator_traitsISG_E10value_typeET2_T3_PNSH_ISM_E10value_typeET4_T5_PSR_SS_PNS1_23onesweep_lookback_stateEbbT6_jjT7_P12ihipStream_tbENKUlT_T0_SG_SL_E_clIS9_SA_SB_SB_EEDaSZ_S10_SG_SL_EUlSZ_E_NS1_11comp_targetILNS1_3genE6ELNS1_11target_archE950ELNS1_3gpuE13ELNS1_3repE0EEENS1_47radix_sort_onesweep_sort_config_static_selectorELNS0_4arch9wavefront6targetE0EEEvSG_
; %bb.0:
	.section	.rodata,"a",@progbits
	.p2align	6, 0x0
	.amdhsa_kernel _ZN7rocprim17ROCPRIM_400000_NS6detail17trampoline_kernelINS0_14default_configENS1_35radix_sort_onesweep_config_selectorIsNS0_10empty_typeEEEZZNS1_29radix_sort_onesweep_iterationIS3_Lb0EPKsPsPS5_SB_mNS0_19identity_decomposerENS1_16block_id_wrapperIjLb1EEEEE10hipError_tT1_PNSt15iterator_traitsISG_E10value_typeET2_T3_PNSH_ISM_E10value_typeET4_T5_PSR_SS_PNS1_23onesweep_lookback_stateEbbT6_jjT7_P12ihipStream_tbENKUlT_T0_SG_SL_E_clIS9_SA_SB_SB_EEDaSZ_S10_SG_SL_EUlSZ_E_NS1_11comp_targetILNS1_3genE6ELNS1_11target_archE950ELNS1_3gpuE13ELNS1_3repE0EEENS1_47radix_sort_onesweep_sort_config_static_selectorELNS0_4arch9wavefront6targetE0EEEvSG_
		.amdhsa_group_segment_fixed_size 0
		.amdhsa_private_segment_fixed_size 0
		.amdhsa_kernarg_size 88
		.amdhsa_user_sgpr_count 2
		.amdhsa_user_sgpr_dispatch_ptr 0
		.amdhsa_user_sgpr_queue_ptr 0
		.amdhsa_user_sgpr_kernarg_segment_ptr 1
		.amdhsa_user_sgpr_dispatch_id 0
		.amdhsa_user_sgpr_kernarg_preload_length 0
		.amdhsa_user_sgpr_kernarg_preload_offset 0
		.amdhsa_user_sgpr_private_segment_size 0
		.amdhsa_wavefront_size32 1
		.amdhsa_uses_dynamic_stack 0
		.amdhsa_enable_private_segment 0
		.amdhsa_system_sgpr_workgroup_id_x 1
		.amdhsa_system_sgpr_workgroup_id_y 0
		.amdhsa_system_sgpr_workgroup_id_z 0
		.amdhsa_system_sgpr_workgroup_info 0
		.amdhsa_system_vgpr_workitem_id 0
		.amdhsa_next_free_vgpr 1
		.amdhsa_next_free_sgpr 1
		.amdhsa_named_barrier_count 0
		.amdhsa_reserve_vcc 0
		.amdhsa_float_round_mode_32 0
		.amdhsa_float_round_mode_16_64 0
		.amdhsa_float_denorm_mode_32 3
		.amdhsa_float_denorm_mode_16_64 3
		.amdhsa_fp16_overflow 0
		.amdhsa_memory_ordered 1
		.amdhsa_forward_progress 1
		.amdhsa_inst_pref_size 0
		.amdhsa_round_robin_scheduling 0
		.amdhsa_exception_fp_ieee_invalid_op 0
		.amdhsa_exception_fp_denorm_src 0
		.amdhsa_exception_fp_ieee_div_zero 0
		.amdhsa_exception_fp_ieee_overflow 0
		.amdhsa_exception_fp_ieee_underflow 0
		.amdhsa_exception_fp_ieee_inexact 0
		.amdhsa_exception_int_div_zero 0
	.end_amdhsa_kernel
	.section	.text._ZN7rocprim17ROCPRIM_400000_NS6detail17trampoline_kernelINS0_14default_configENS1_35radix_sort_onesweep_config_selectorIsNS0_10empty_typeEEEZZNS1_29radix_sort_onesweep_iterationIS3_Lb0EPKsPsPS5_SB_mNS0_19identity_decomposerENS1_16block_id_wrapperIjLb1EEEEE10hipError_tT1_PNSt15iterator_traitsISG_E10value_typeET2_T3_PNSH_ISM_E10value_typeET4_T5_PSR_SS_PNS1_23onesweep_lookback_stateEbbT6_jjT7_P12ihipStream_tbENKUlT_T0_SG_SL_E_clIS9_SA_SB_SB_EEDaSZ_S10_SG_SL_EUlSZ_E_NS1_11comp_targetILNS1_3genE6ELNS1_11target_archE950ELNS1_3gpuE13ELNS1_3repE0EEENS1_47radix_sort_onesweep_sort_config_static_selectorELNS0_4arch9wavefront6targetE0EEEvSG_,"axG",@progbits,_ZN7rocprim17ROCPRIM_400000_NS6detail17trampoline_kernelINS0_14default_configENS1_35radix_sort_onesweep_config_selectorIsNS0_10empty_typeEEEZZNS1_29radix_sort_onesweep_iterationIS3_Lb0EPKsPsPS5_SB_mNS0_19identity_decomposerENS1_16block_id_wrapperIjLb1EEEEE10hipError_tT1_PNSt15iterator_traitsISG_E10value_typeET2_T3_PNSH_ISM_E10value_typeET4_T5_PSR_SS_PNS1_23onesweep_lookback_stateEbbT6_jjT7_P12ihipStream_tbENKUlT_T0_SG_SL_E_clIS9_SA_SB_SB_EEDaSZ_S10_SG_SL_EUlSZ_E_NS1_11comp_targetILNS1_3genE6ELNS1_11target_archE950ELNS1_3gpuE13ELNS1_3repE0EEENS1_47radix_sort_onesweep_sort_config_static_selectorELNS0_4arch9wavefront6targetE0EEEvSG_,comdat
.Lfunc_end714:
	.size	_ZN7rocprim17ROCPRIM_400000_NS6detail17trampoline_kernelINS0_14default_configENS1_35radix_sort_onesweep_config_selectorIsNS0_10empty_typeEEEZZNS1_29radix_sort_onesweep_iterationIS3_Lb0EPKsPsPS5_SB_mNS0_19identity_decomposerENS1_16block_id_wrapperIjLb1EEEEE10hipError_tT1_PNSt15iterator_traitsISG_E10value_typeET2_T3_PNSH_ISM_E10value_typeET4_T5_PSR_SS_PNS1_23onesweep_lookback_stateEbbT6_jjT7_P12ihipStream_tbENKUlT_T0_SG_SL_E_clIS9_SA_SB_SB_EEDaSZ_S10_SG_SL_EUlSZ_E_NS1_11comp_targetILNS1_3genE6ELNS1_11target_archE950ELNS1_3gpuE13ELNS1_3repE0EEENS1_47radix_sort_onesweep_sort_config_static_selectorELNS0_4arch9wavefront6targetE0EEEvSG_, .Lfunc_end714-_ZN7rocprim17ROCPRIM_400000_NS6detail17trampoline_kernelINS0_14default_configENS1_35radix_sort_onesweep_config_selectorIsNS0_10empty_typeEEEZZNS1_29radix_sort_onesweep_iterationIS3_Lb0EPKsPsPS5_SB_mNS0_19identity_decomposerENS1_16block_id_wrapperIjLb1EEEEE10hipError_tT1_PNSt15iterator_traitsISG_E10value_typeET2_T3_PNSH_ISM_E10value_typeET4_T5_PSR_SS_PNS1_23onesweep_lookback_stateEbbT6_jjT7_P12ihipStream_tbENKUlT_T0_SG_SL_E_clIS9_SA_SB_SB_EEDaSZ_S10_SG_SL_EUlSZ_E_NS1_11comp_targetILNS1_3genE6ELNS1_11target_archE950ELNS1_3gpuE13ELNS1_3repE0EEENS1_47radix_sort_onesweep_sort_config_static_selectorELNS0_4arch9wavefront6targetE0EEEvSG_
                                        ; -- End function
	.set _ZN7rocprim17ROCPRIM_400000_NS6detail17trampoline_kernelINS0_14default_configENS1_35radix_sort_onesweep_config_selectorIsNS0_10empty_typeEEEZZNS1_29radix_sort_onesweep_iterationIS3_Lb0EPKsPsPS5_SB_mNS0_19identity_decomposerENS1_16block_id_wrapperIjLb1EEEEE10hipError_tT1_PNSt15iterator_traitsISG_E10value_typeET2_T3_PNSH_ISM_E10value_typeET4_T5_PSR_SS_PNS1_23onesweep_lookback_stateEbbT6_jjT7_P12ihipStream_tbENKUlT_T0_SG_SL_E_clIS9_SA_SB_SB_EEDaSZ_S10_SG_SL_EUlSZ_E_NS1_11comp_targetILNS1_3genE6ELNS1_11target_archE950ELNS1_3gpuE13ELNS1_3repE0EEENS1_47radix_sort_onesweep_sort_config_static_selectorELNS0_4arch9wavefront6targetE0EEEvSG_.num_vgpr, 0
	.set _ZN7rocprim17ROCPRIM_400000_NS6detail17trampoline_kernelINS0_14default_configENS1_35radix_sort_onesweep_config_selectorIsNS0_10empty_typeEEEZZNS1_29radix_sort_onesweep_iterationIS3_Lb0EPKsPsPS5_SB_mNS0_19identity_decomposerENS1_16block_id_wrapperIjLb1EEEEE10hipError_tT1_PNSt15iterator_traitsISG_E10value_typeET2_T3_PNSH_ISM_E10value_typeET4_T5_PSR_SS_PNS1_23onesweep_lookback_stateEbbT6_jjT7_P12ihipStream_tbENKUlT_T0_SG_SL_E_clIS9_SA_SB_SB_EEDaSZ_S10_SG_SL_EUlSZ_E_NS1_11comp_targetILNS1_3genE6ELNS1_11target_archE950ELNS1_3gpuE13ELNS1_3repE0EEENS1_47radix_sort_onesweep_sort_config_static_selectorELNS0_4arch9wavefront6targetE0EEEvSG_.num_agpr, 0
	.set _ZN7rocprim17ROCPRIM_400000_NS6detail17trampoline_kernelINS0_14default_configENS1_35radix_sort_onesweep_config_selectorIsNS0_10empty_typeEEEZZNS1_29radix_sort_onesweep_iterationIS3_Lb0EPKsPsPS5_SB_mNS0_19identity_decomposerENS1_16block_id_wrapperIjLb1EEEEE10hipError_tT1_PNSt15iterator_traitsISG_E10value_typeET2_T3_PNSH_ISM_E10value_typeET4_T5_PSR_SS_PNS1_23onesweep_lookback_stateEbbT6_jjT7_P12ihipStream_tbENKUlT_T0_SG_SL_E_clIS9_SA_SB_SB_EEDaSZ_S10_SG_SL_EUlSZ_E_NS1_11comp_targetILNS1_3genE6ELNS1_11target_archE950ELNS1_3gpuE13ELNS1_3repE0EEENS1_47radix_sort_onesweep_sort_config_static_selectorELNS0_4arch9wavefront6targetE0EEEvSG_.numbered_sgpr, 0
	.set _ZN7rocprim17ROCPRIM_400000_NS6detail17trampoline_kernelINS0_14default_configENS1_35radix_sort_onesweep_config_selectorIsNS0_10empty_typeEEEZZNS1_29radix_sort_onesweep_iterationIS3_Lb0EPKsPsPS5_SB_mNS0_19identity_decomposerENS1_16block_id_wrapperIjLb1EEEEE10hipError_tT1_PNSt15iterator_traitsISG_E10value_typeET2_T3_PNSH_ISM_E10value_typeET4_T5_PSR_SS_PNS1_23onesweep_lookback_stateEbbT6_jjT7_P12ihipStream_tbENKUlT_T0_SG_SL_E_clIS9_SA_SB_SB_EEDaSZ_S10_SG_SL_EUlSZ_E_NS1_11comp_targetILNS1_3genE6ELNS1_11target_archE950ELNS1_3gpuE13ELNS1_3repE0EEENS1_47radix_sort_onesweep_sort_config_static_selectorELNS0_4arch9wavefront6targetE0EEEvSG_.num_named_barrier, 0
	.set _ZN7rocprim17ROCPRIM_400000_NS6detail17trampoline_kernelINS0_14default_configENS1_35radix_sort_onesweep_config_selectorIsNS0_10empty_typeEEEZZNS1_29radix_sort_onesweep_iterationIS3_Lb0EPKsPsPS5_SB_mNS0_19identity_decomposerENS1_16block_id_wrapperIjLb1EEEEE10hipError_tT1_PNSt15iterator_traitsISG_E10value_typeET2_T3_PNSH_ISM_E10value_typeET4_T5_PSR_SS_PNS1_23onesweep_lookback_stateEbbT6_jjT7_P12ihipStream_tbENKUlT_T0_SG_SL_E_clIS9_SA_SB_SB_EEDaSZ_S10_SG_SL_EUlSZ_E_NS1_11comp_targetILNS1_3genE6ELNS1_11target_archE950ELNS1_3gpuE13ELNS1_3repE0EEENS1_47radix_sort_onesweep_sort_config_static_selectorELNS0_4arch9wavefront6targetE0EEEvSG_.private_seg_size, 0
	.set _ZN7rocprim17ROCPRIM_400000_NS6detail17trampoline_kernelINS0_14default_configENS1_35radix_sort_onesweep_config_selectorIsNS0_10empty_typeEEEZZNS1_29radix_sort_onesweep_iterationIS3_Lb0EPKsPsPS5_SB_mNS0_19identity_decomposerENS1_16block_id_wrapperIjLb1EEEEE10hipError_tT1_PNSt15iterator_traitsISG_E10value_typeET2_T3_PNSH_ISM_E10value_typeET4_T5_PSR_SS_PNS1_23onesweep_lookback_stateEbbT6_jjT7_P12ihipStream_tbENKUlT_T0_SG_SL_E_clIS9_SA_SB_SB_EEDaSZ_S10_SG_SL_EUlSZ_E_NS1_11comp_targetILNS1_3genE6ELNS1_11target_archE950ELNS1_3gpuE13ELNS1_3repE0EEENS1_47radix_sort_onesweep_sort_config_static_selectorELNS0_4arch9wavefront6targetE0EEEvSG_.uses_vcc, 0
	.set _ZN7rocprim17ROCPRIM_400000_NS6detail17trampoline_kernelINS0_14default_configENS1_35radix_sort_onesweep_config_selectorIsNS0_10empty_typeEEEZZNS1_29radix_sort_onesweep_iterationIS3_Lb0EPKsPsPS5_SB_mNS0_19identity_decomposerENS1_16block_id_wrapperIjLb1EEEEE10hipError_tT1_PNSt15iterator_traitsISG_E10value_typeET2_T3_PNSH_ISM_E10value_typeET4_T5_PSR_SS_PNS1_23onesweep_lookback_stateEbbT6_jjT7_P12ihipStream_tbENKUlT_T0_SG_SL_E_clIS9_SA_SB_SB_EEDaSZ_S10_SG_SL_EUlSZ_E_NS1_11comp_targetILNS1_3genE6ELNS1_11target_archE950ELNS1_3gpuE13ELNS1_3repE0EEENS1_47radix_sort_onesweep_sort_config_static_selectorELNS0_4arch9wavefront6targetE0EEEvSG_.uses_flat_scratch, 0
	.set _ZN7rocprim17ROCPRIM_400000_NS6detail17trampoline_kernelINS0_14default_configENS1_35radix_sort_onesweep_config_selectorIsNS0_10empty_typeEEEZZNS1_29radix_sort_onesweep_iterationIS3_Lb0EPKsPsPS5_SB_mNS0_19identity_decomposerENS1_16block_id_wrapperIjLb1EEEEE10hipError_tT1_PNSt15iterator_traitsISG_E10value_typeET2_T3_PNSH_ISM_E10value_typeET4_T5_PSR_SS_PNS1_23onesweep_lookback_stateEbbT6_jjT7_P12ihipStream_tbENKUlT_T0_SG_SL_E_clIS9_SA_SB_SB_EEDaSZ_S10_SG_SL_EUlSZ_E_NS1_11comp_targetILNS1_3genE6ELNS1_11target_archE950ELNS1_3gpuE13ELNS1_3repE0EEENS1_47radix_sort_onesweep_sort_config_static_selectorELNS0_4arch9wavefront6targetE0EEEvSG_.has_dyn_sized_stack, 0
	.set _ZN7rocprim17ROCPRIM_400000_NS6detail17trampoline_kernelINS0_14default_configENS1_35radix_sort_onesweep_config_selectorIsNS0_10empty_typeEEEZZNS1_29radix_sort_onesweep_iterationIS3_Lb0EPKsPsPS5_SB_mNS0_19identity_decomposerENS1_16block_id_wrapperIjLb1EEEEE10hipError_tT1_PNSt15iterator_traitsISG_E10value_typeET2_T3_PNSH_ISM_E10value_typeET4_T5_PSR_SS_PNS1_23onesweep_lookback_stateEbbT6_jjT7_P12ihipStream_tbENKUlT_T0_SG_SL_E_clIS9_SA_SB_SB_EEDaSZ_S10_SG_SL_EUlSZ_E_NS1_11comp_targetILNS1_3genE6ELNS1_11target_archE950ELNS1_3gpuE13ELNS1_3repE0EEENS1_47radix_sort_onesweep_sort_config_static_selectorELNS0_4arch9wavefront6targetE0EEEvSG_.has_recursion, 0
	.set _ZN7rocprim17ROCPRIM_400000_NS6detail17trampoline_kernelINS0_14default_configENS1_35radix_sort_onesweep_config_selectorIsNS0_10empty_typeEEEZZNS1_29radix_sort_onesweep_iterationIS3_Lb0EPKsPsPS5_SB_mNS0_19identity_decomposerENS1_16block_id_wrapperIjLb1EEEEE10hipError_tT1_PNSt15iterator_traitsISG_E10value_typeET2_T3_PNSH_ISM_E10value_typeET4_T5_PSR_SS_PNS1_23onesweep_lookback_stateEbbT6_jjT7_P12ihipStream_tbENKUlT_T0_SG_SL_E_clIS9_SA_SB_SB_EEDaSZ_S10_SG_SL_EUlSZ_E_NS1_11comp_targetILNS1_3genE6ELNS1_11target_archE950ELNS1_3gpuE13ELNS1_3repE0EEENS1_47radix_sort_onesweep_sort_config_static_selectorELNS0_4arch9wavefront6targetE0EEEvSG_.has_indirect_call, 0
	.section	.AMDGPU.csdata,"",@progbits
; Kernel info:
; codeLenInByte = 0
; TotalNumSgprs: 0
; NumVgprs: 0
; ScratchSize: 0
; MemoryBound: 0
; FloatMode: 240
; IeeeMode: 1
; LDSByteSize: 0 bytes/workgroup (compile time only)
; SGPRBlocks: 0
; VGPRBlocks: 0
; NumSGPRsForWavesPerEU: 1
; NumVGPRsForWavesPerEU: 1
; NamedBarCnt: 0
; Occupancy: 16
; WaveLimiterHint : 0
; COMPUTE_PGM_RSRC2:SCRATCH_EN: 0
; COMPUTE_PGM_RSRC2:USER_SGPR: 2
; COMPUTE_PGM_RSRC2:TRAP_HANDLER: 0
; COMPUTE_PGM_RSRC2:TGID_X_EN: 1
; COMPUTE_PGM_RSRC2:TGID_Y_EN: 0
; COMPUTE_PGM_RSRC2:TGID_Z_EN: 0
; COMPUTE_PGM_RSRC2:TIDIG_COMP_CNT: 0
	.section	.text._ZN7rocprim17ROCPRIM_400000_NS6detail17trampoline_kernelINS0_14default_configENS1_35radix_sort_onesweep_config_selectorIsNS0_10empty_typeEEEZZNS1_29radix_sort_onesweep_iterationIS3_Lb0EPKsPsPS5_SB_mNS0_19identity_decomposerENS1_16block_id_wrapperIjLb1EEEEE10hipError_tT1_PNSt15iterator_traitsISG_E10value_typeET2_T3_PNSH_ISM_E10value_typeET4_T5_PSR_SS_PNS1_23onesweep_lookback_stateEbbT6_jjT7_P12ihipStream_tbENKUlT_T0_SG_SL_E_clIS9_SA_SB_SB_EEDaSZ_S10_SG_SL_EUlSZ_E_NS1_11comp_targetILNS1_3genE5ELNS1_11target_archE942ELNS1_3gpuE9ELNS1_3repE0EEENS1_47radix_sort_onesweep_sort_config_static_selectorELNS0_4arch9wavefront6targetE0EEEvSG_,"axG",@progbits,_ZN7rocprim17ROCPRIM_400000_NS6detail17trampoline_kernelINS0_14default_configENS1_35radix_sort_onesweep_config_selectorIsNS0_10empty_typeEEEZZNS1_29radix_sort_onesweep_iterationIS3_Lb0EPKsPsPS5_SB_mNS0_19identity_decomposerENS1_16block_id_wrapperIjLb1EEEEE10hipError_tT1_PNSt15iterator_traitsISG_E10value_typeET2_T3_PNSH_ISM_E10value_typeET4_T5_PSR_SS_PNS1_23onesweep_lookback_stateEbbT6_jjT7_P12ihipStream_tbENKUlT_T0_SG_SL_E_clIS9_SA_SB_SB_EEDaSZ_S10_SG_SL_EUlSZ_E_NS1_11comp_targetILNS1_3genE5ELNS1_11target_archE942ELNS1_3gpuE9ELNS1_3repE0EEENS1_47radix_sort_onesweep_sort_config_static_selectorELNS0_4arch9wavefront6targetE0EEEvSG_,comdat
	.protected	_ZN7rocprim17ROCPRIM_400000_NS6detail17trampoline_kernelINS0_14default_configENS1_35radix_sort_onesweep_config_selectorIsNS0_10empty_typeEEEZZNS1_29radix_sort_onesweep_iterationIS3_Lb0EPKsPsPS5_SB_mNS0_19identity_decomposerENS1_16block_id_wrapperIjLb1EEEEE10hipError_tT1_PNSt15iterator_traitsISG_E10value_typeET2_T3_PNSH_ISM_E10value_typeET4_T5_PSR_SS_PNS1_23onesweep_lookback_stateEbbT6_jjT7_P12ihipStream_tbENKUlT_T0_SG_SL_E_clIS9_SA_SB_SB_EEDaSZ_S10_SG_SL_EUlSZ_E_NS1_11comp_targetILNS1_3genE5ELNS1_11target_archE942ELNS1_3gpuE9ELNS1_3repE0EEENS1_47radix_sort_onesweep_sort_config_static_selectorELNS0_4arch9wavefront6targetE0EEEvSG_ ; -- Begin function _ZN7rocprim17ROCPRIM_400000_NS6detail17trampoline_kernelINS0_14default_configENS1_35radix_sort_onesweep_config_selectorIsNS0_10empty_typeEEEZZNS1_29radix_sort_onesweep_iterationIS3_Lb0EPKsPsPS5_SB_mNS0_19identity_decomposerENS1_16block_id_wrapperIjLb1EEEEE10hipError_tT1_PNSt15iterator_traitsISG_E10value_typeET2_T3_PNSH_ISM_E10value_typeET4_T5_PSR_SS_PNS1_23onesweep_lookback_stateEbbT6_jjT7_P12ihipStream_tbENKUlT_T0_SG_SL_E_clIS9_SA_SB_SB_EEDaSZ_S10_SG_SL_EUlSZ_E_NS1_11comp_targetILNS1_3genE5ELNS1_11target_archE942ELNS1_3gpuE9ELNS1_3repE0EEENS1_47radix_sort_onesweep_sort_config_static_selectorELNS0_4arch9wavefront6targetE0EEEvSG_
	.globl	_ZN7rocprim17ROCPRIM_400000_NS6detail17trampoline_kernelINS0_14default_configENS1_35radix_sort_onesweep_config_selectorIsNS0_10empty_typeEEEZZNS1_29radix_sort_onesweep_iterationIS3_Lb0EPKsPsPS5_SB_mNS0_19identity_decomposerENS1_16block_id_wrapperIjLb1EEEEE10hipError_tT1_PNSt15iterator_traitsISG_E10value_typeET2_T3_PNSH_ISM_E10value_typeET4_T5_PSR_SS_PNS1_23onesweep_lookback_stateEbbT6_jjT7_P12ihipStream_tbENKUlT_T0_SG_SL_E_clIS9_SA_SB_SB_EEDaSZ_S10_SG_SL_EUlSZ_E_NS1_11comp_targetILNS1_3genE5ELNS1_11target_archE942ELNS1_3gpuE9ELNS1_3repE0EEENS1_47radix_sort_onesweep_sort_config_static_selectorELNS0_4arch9wavefront6targetE0EEEvSG_
	.p2align	8
	.type	_ZN7rocprim17ROCPRIM_400000_NS6detail17trampoline_kernelINS0_14default_configENS1_35radix_sort_onesweep_config_selectorIsNS0_10empty_typeEEEZZNS1_29radix_sort_onesweep_iterationIS3_Lb0EPKsPsPS5_SB_mNS0_19identity_decomposerENS1_16block_id_wrapperIjLb1EEEEE10hipError_tT1_PNSt15iterator_traitsISG_E10value_typeET2_T3_PNSH_ISM_E10value_typeET4_T5_PSR_SS_PNS1_23onesweep_lookback_stateEbbT6_jjT7_P12ihipStream_tbENKUlT_T0_SG_SL_E_clIS9_SA_SB_SB_EEDaSZ_S10_SG_SL_EUlSZ_E_NS1_11comp_targetILNS1_3genE5ELNS1_11target_archE942ELNS1_3gpuE9ELNS1_3repE0EEENS1_47radix_sort_onesweep_sort_config_static_selectorELNS0_4arch9wavefront6targetE0EEEvSG_,@function
_ZN7rocprim17ROCPRIM_400000_NS6detail17trampoline_kernelINS0_14default_configENS1_35radix_sort_onesweep_config_selectorIsNS0_10empty_typeEEEZZNS1_29radix_sort_onesweep_iterationIS3_Lb0EPKsPsPS5_SB_mNS0_19identity_decomposerENS1_16block_id_wrapperIjLb1EEEEE10hipError_tT1_PNSt15iterator_traitsISG_E10value_typeET2_T3_PNSH_ISM_E10value_typeET4_T5_PSR_SS_PNS1_23onesweep_lookback_stateEbbT6_jjT7_P12ihipStream_tbENKUlT_T0_SG_SL_E_clIS9_SA_SB_SB_EEDaSZ_S10_SG_SL_EUlSZ_E_NS1_11comp_targetILNS1_3genE5ELNS1_11target_archE942ELNS1_3gpuE9ELNS1_3repE0EEENS1_47radix_sort_onesweep_sort_config_static_selectorELNS0_4arch9wavefront6targetE0EEEvSG_: ; @_ZN7rocprim17ROCPRIM_400000_NS6detail17trampoline_kernelINS0_14default_configENS1_35radix_sort_onesweep_config_selectorIsNS0_10empty_typeEEEZZNS1_29radix_sort_onesweep_iterationIS3_Lb0EPKsPsPS5_SB_mNS0_19identity_decomposerENS1_16block_id_wrapperIjLb1EEEEE10hipError_tT1_PNSt15iterator_traitsISG_E10value_typeET2_T3_PNSH_ISM_E10value_typeET4_T5_PSR_SS_PNS1_23onesweep_lookback_stateEbbT6_jjT7_P12ihipStream_tbENKUlT_T0_SG_SL_E_clIS9_SA_SB_SB_EEDaSZ_S10_SG_SL_EUlSZ_E_NS1_11comp_targetILNS1_3genE5ELNS1_11target_archE942ELNS1_3gpuE9ELNS1_3repE0EEENS1_47radix_sort_onesweep_sort_config_static_selectorELNS0_4arch9wavefront6targetE0EEEvSG_
; %bb.0:
	.section	.rodata,"a",@progbits
	.p2align	6, 0x0
	.amdhsa_kernel _ZN7rocprim17ROCPRIM_400000_NS6detail17trampoline_kernelINS0_14default_configENS1_35radix_sort_onesweep_config_selectorIsNS0_10empty_typeEEEZZNS1_29radix_sort_onesweep_iterationIS3_Lb0EPKsPsPS5_SB_mNS0_19identity_decomposerENS1_16block_id_wrapperIjLb1EEEEE10hipError_tT1_PNSt15iterator_traitsISG_E10value_typeET2_T3_PNSH_ISM_E10value_typeET4_T5_PSR_SS_PNS1_23onesweep_lookback_stateEbbT6_jjT7_P12ihipStream_tbENKUlT_T0_SG_SL_E_clIS9_SA_SB_SB_EEDaSZ_S10_SG_SL_EUlSZ_E_NS1_11comp_targetILNS1_3genE5ELNS1_11target_archE942ELNS1_3gpuE9ELNS1_3repE0EEENS1_47radix_sort_onesweep_sort_config_static_selectorELNS0_4arch9wavefront6targetE0EEEvSG_
		.amdhsa_group_segment_fixed_size 0
		.amdhsa_private_segment_fixed_size 0
		.amdhsa_kernarg_size 88
		.amdhsa_user_sgpr_count 2
		.amdhsa_user_sgpr_dispatch_ptr 0
		.amdhsa_user_sgpr_queue_ptr 0
		.amdhsa_user_sgpr_kernarg_segment_ptr 1
		.amdhsa_user_sgpr_dispatch_id 0
		.amdhsa_user_sgpr_kernarg_preload_length 0
		.amdhsa_user_sgpr_kernarg_preload_offset 0
		.amdhsa_user_sgpr_private_segment_size 0
		.amdhsa_wavefront_size32 1
		.amdhsa_uses_dynamic_stack 0
		.amdhsa_enable_private_segment 0
		.amdhsa_system_sgpr_workgroup_id_x 1
		.amdhsa_system_sgpr_workgroup_id_y 0
		.amdhsa_system_sgpr_workgroup_id_z 0
		.amdhsa_system_sgpr_workgroup_info 0
		.amdhsa_system_vgpr_workitem_id 0
		.amdhsa_next_free_vgpr 1
		.amdhsa_next_free_sgpr 1
		.amdhsa_named_barrier_count 0
		.amdhsa_reserve_vcc 0
		.amdhsa_float_round_mode_32 0
		.amdhsa_float_round_mode_16_64 0
		.amdhsa_float_denorm_mode_32 3
		.amdhsa_float_denorm_mode_16_64 3
		.amdhsa_fp16_overflow 0
		.amdhsa_memory_ordered 1
		.amdhsa_forward_progress 1
		.amdhsa_inst_pref_size 0
		.amdhsa_round_robin_scheduling 0
		.amdhsa_exception_fp_ieee_invalid_op 0
		.amdhsa_exception_fp_denorm_src 0
		.amdhsa_exception_fp_ieee_div_zero 0
		.amdhsa_exception_fp_ieee_overflow 0
		.amdhsa_exception_fp_ieee_underflow 0
		.amdhsa_exception_fp_ieee_inexact 0
		.amdhsa_exception_int_div_zero 0
	.end_amdhsa_kernel
	.section	.text._ZN7rocprim17ROCPRIM_400000_NS6detail17trampoline_kernelINS0_14default_configENS1_35radix_sort_onesweep_config_selectorIsNS0_10empty_typeEEEZZNS1_29radix_sort_onesweep_iterationIS3_Lb0EPKsPsPS5_SB_mNS0_19identity_decomposerENS1_16block_id_wrapperIjLb1EEEEE10hipError_tT1_PNSt15iterator_traitsISG_E10value_typeET2_T3_PNSH_ISM_E10value_typeET4_T5_PSR_SS_PNS1_23onesweep_lookback_stateEbbT6_jjT7_P12ihipStream_tbENKUlT_T0_SG_SL_E_clIS9_SA_SB_SB_EEDaSZ_S10_SG_SL_EUlSZ_E_NS1_11comp_targetILNS1_3genE5ELNS1_11target_archE942ELNS1_3gpuE9ELNS1_3repE0EEENS1_47radix_sort_onesweep_sort_config_static_selectorELNS0_4arch9wavefront6targetE0EEEvSG_,"axG",@progbits,_ZN7rocprim17ROCPRIM_400000_NS6detail17trampoline_kernelINS0_14default_configENS1_35radix_sort_onesweep_config_selectorIsNS0_10empty_typeEEEZZNS1_29radix_sort_onesweep_iterationIS3_Lb0EPKsPsPS5_SB_mNS0_19identity_decomposerENS1_16block_id_wrapperIjLb1EEEEE10hipError_tT1_PNSt15iterator_traitsISG_E10value_typeET2_T3_PNSH_ISM_E10value_typeET4_T5_PSR_SS_PNS1_23onesweep_lookback_stateEbbT6_jjT7_P12ihipStream_tbENKUlT_T0_SG_SL_E_clIS9_SA_SB_SB_EEDaSZ_S10_SG_SL_EUlSZ_E_NS1_11comp_targetILNS1_3genE5ELNS1_11target_archE942ELNS1_3gpuE9ELNS1_3repE0EEENS1_47radix_sort_onesweep_sort_config_static_selectorELNS0_4arch9wavefront6targetE0EEEvSG_,comdat
.Lfunc_end715:
	.size	_ZN7rocprim17ROCPRIM_400000_NS6detail17trampoline_kernelINS0_14default_configENS1_35radix_sort_onesweep_config_selectorIsNS0_10empty_typeEEEZZNS1_29radix_sort_onesweep_iterationIS3_Lb0EPKsPsPS5_SB_mNS0_19identity_decomposerENS1_16block_id_wrapperIjLb1EEEEE10hipError_tT1_PNSt15iterator_traitsISG_E10value_typeET2_T3_PNSH_ISM_E10value_typeET4_T5_PSR_SS_PNS1_23onesweep_lookback_stateEbbT6_jjT7_P12ihipStream_tbENKUlT_T0_SG_SL_E_clIS9_SA_SB_SB_EEDaSZ_S10_SG_SL_EUlSZ_E_NS1_11comp_targetILNS1_3genE5ELNS1_11target_archE942ELNS1_3gpuE9ELNS1_3repE0EEENS1_47radix_sort_onesweep_sort_config_static_selectorELNS0_4arch9wavefront6targetE0EEEvSG_, .Lfunc_end715-_ZN7rocprim17ROCPRIM_400000_NS6detail17trampoline_kernelINS0_14default_configENS1_35radix_sort_onesweep_config_selectorIsNS0_10empty_typeEEEZZNS1_29radix_sort_onesweep_iterationIS3_Lb0EPKsPsPS5_SB_mNS0_19identity_decomposerENS1_16block_id_wrapperIjLb1EEEEE10hipError_tT1_PNSt15iterator_traitsISG_E10value_typeET2_T3_PNSH_ISM_E10value_typeET4_T5_PSR_SS_PNS1_23onesweep_lookback_stateEbbT6_jjT7_P12ihipStream_tbENKUlT_T0_SG_SL_E_clIS9_SA_SB_SB_EEDaSZ_S10_SG_SL_EUlSZ_E_NS1_11comp_targetILNS1_3genE5ELNS1_11target_archE942ELNS1_3gpuE9ELNS1_3repE0EEENS1_47radix_sort_onesweep_sort_config_static_selectorELNS0_4arch9wavefront6targetE0EEEvSG_
                                        ; -- End function
	.set _ZN7rocprim17ROCPRIM_400000_NS6detail17trampoline_kernelINS0_14default_configENS1_35radix_sort_onesweep_config_selectorIsNS0_10empty_typeEEEZZNS1_29radix_sort_onesweep_iterationIS3_Lb0EPKsPsPS5_SB_mNS0_19identity_decomposerENS1_16block_id_wrapperIjLb1EEEEE10hipError_tT1_PNSt15iterator_traitsISG_E10value_typeET2_T3_PNSH_ISM_E10value_typeET4_T5_PSR_SS_PNS1_23onesweep_lookback_stateEbbT6_jjT7_P12ihipStream_tbENKUlT_T0_SG_SL_E_clIS9_SA_SB_SB_EEDaSZ_S10_SG_SL_EUlSZ_E_NS1_11comp_targetILNS1_3genE5ELNS1_11target_archE942ELNS1_3gpuE9ELNS1_3repE0EEENS1_47radix_sort_onesweep_sort_config_static_selectorELNS0_4arch9wavefront6targetE0EEEvSG_.num_vgpr, 0
	.set _ZN7rocprim17ROCPRIM_400000_NS6detail17trampoline_kernelINS0_14default_configENS1_35radix_sort_onesweep_config_selectorIsNS0_10empty_typeEEEZZNS1_29radix_sort_onesweep_iterationIS3_Lb0EPKsPsPS5_SB_mNS0_19identity_decomposerENS1_16block_id_wrapperIjLb1EEEEE10hipError_tT1_PNSt15iterator_traitsISG_E10value_typeET2_T3_PNSH_ISM_E10value_typeET4_T5_PSR_SS_PNS1_23onesweep_lookback_stateEbbT6_jjT7_P12ihipStream_tbENKUlT_T0_SG_SL_E_clIS9_SA_SB_SB_EEDaSZ_S10_SG_SL_EUlSZ_E_NS1_11comp_targetILNS1_3genE5ELNS1_11target_archE942ELNS1_3gpuE9ELNS1_3repE0EEENS1_47radix_sort_onesweep_sort_config_static_selectorELNS0_4arch9wavefront6targetE0EEEvSG_.num_agpr, 0
	.set _ZN7rocprim17ROCPRIM_400000_NS6detail17trampoline_kernelINS0_14default_configENS1_35radix_sort_onesweep_config_selectorIsNS0_10empty_typeEEEZZNS1_29radix_sort_onesweep_iterationIS3_Lb0EPKsPsPS5_SB_mNS0_19identity_decomposerENS1_16block_id_wrapperIjLb1EEEEE10hipError_tT1_PNSt15iterator_traitsISG_E10value_typeET2_T3_PNSH_ISM_E10value_typeET4_T5_PSR_SS_PNS1_23onesweep_lookback_stateEbbT6_jjT7_P12ihipStream_tbENKUlT_T0_SG_SL_E_clIS9_SA_SB_SB_EEDaSZ_S10_SG_SL_EUlSZ_E_NS1_11comp_targetILNS1_3genE5ELNS1_11target_archE942ELNS1_3gpuE9ELNS1_3repE0EEENS1_47radix_sort_onesweep_sort_config_static_selectorELNS0_4arch9wavefront6targetE0EEEvSG_.numbered_sgpr, 0
	.set _ZN7rocprim17ROCPRIM_400000_NS6detail17trampoline_kernelINS0_14default_configENS1_35radix_sort_onesweep_config_selectorIsNS0_10empty_typeEEEZZNS1_29radix_sort_onesweep_iterationIS3_Lb0EPKsPsPS5_SB_mNS0_19identity_decomposerENS1_16block_id_wrapperIjLb1EEEEE10hipError_tT1_PNSt15iterator_traitsISG_E10value_typeET2_T3_PNSH_ISM_E10value_typeET4_T5_PSR_SS_PNS1_23onesweep_lookback_stateEbbT6_jjT7_P12ihipStream_tbENKUlT_T0_SG_SL_E_clIS9_SA_SB_SB_EEDaSZ_S10_SG_SL_EUlSZ_E_NS1_11comp_targetILNS1_3genE5ELNS1_11target_archE942ELNS1_3gpuE9ELNS1_3repE0EEENS1_47radix_sort_onesweep_sort_config_static_selectorELNS0_4arch9wavefront6targetE0EEEvSG_.num_named_barrier, 0
	.set _ZN7rocprim17ROCPRIM_400000_NS6detail17trampoline_kernelINS0_14default_configENS1_35radix_sort_onesweep_config_selectorIsNS0_10empty_typeEEEZZNS1_29radix_sort_onesweep_iterationIS3_Lb0EPKsPsPS5_SB_mNS0_19identity_decomposerENS1_16block_id_wrapperIjLb1EEEEE10hipError_tT1_PNSt15iterator_traitsISG_E10value_typeET2_T3_PNSH_ISM_E10value_typeET4_T5_PSR_SS_PNS1_23onesweep_lookback_stateEbbT6_jjT7_P12ihipStream_tbENKUlT_T0_SG_SL_E_clIS9_SA_SB_SB_EEDaSZ_S10_SG_SL_EUlSZ_E_NS1_11comp_targetILNS1_3genE5ELNS1_11target_archE942ELNS1_3gpuE9ELNS1_3repE0EEENS1_47radix_sort_onesweep_sort_config_static_selectorELNS0_4arch9wavefront6targetE0EEEvSG_.private_seg_size, 0
	.set _ZN7rocprim17ROCPRIM_400000_NS6detail17trampoline_kernelINS0_14default_configENS1_35radix_sort_onesweep_config_selectorIsNS0_10empty_typeEEEZZNS1_29radix_sort_onesweep_iterationIS3_Lb0EPKsPsPS5_SB_mNS0_19identity_decomposerENS1_16block_id_wrapperIjLb1EEEEE10hipError_tT1_PNSt15iterator_traitsISG_E10value_typeET2_T3_PNSH_ISM_E10value_typeET4_T5_PSR_SS_PNS1_23onesweep_lookback_stateEbbT6_jjT7_P12ihipStream_tbENKUlT_T0_SG_SL_E_clIS9_SA_SB_SB_EEDaSZ_S10_SG_SL_EUlSZ_E_NS1_11comp_targetILNS1_3genE5ELNS1_11target_archE942ELNS1_3gpuE9ELNS1_3repE0EEENS1_47radix_sort_onesweep_sort_config_static_selectorELNS0_4arch9wavefront6targetE0EEEvSG_.uses_vcc, 0
	.set _ZN7rocprim17ROCPRIM_400000_NS6detail17trampoline_kernelINS0_14default_configENS1_35radix_sort_onesweep_config_selectorIsNS0_10empty_typeEEEZZNS1_29radix_sort_onesweep_iterationIS3_Lb0EPKsPsPS5_SB_mNS0_19identity_decomposerENS1_16block_id_wrapperIjLb1EEEEE10hipError_tT1_PNSt15iterator_traitsISG_E10value_typeET2_T3_PNSH_ISM_E10value_typeET4_T5_PSR_SS_PNS1_23onesweep_lookback_stateEbbT6_jjT7_P12ihipStream_tbENKUlT_T0_SG_SL_E_clIS9_SA_SB_SB_EEDaSZ_S10_SG_SL_EUlSZ_E_NS1_11comp_targetILNS1_3genE5ELNS1_11target_archE942ELNS1_3gpuE9ELNS1_3repE0EEENS1_47radix_sort_onesweep_sort_config_static_selectorELNS0_4arch9wavefront6targetE0EEEvSG_.uses_flat_scratch, 0
	.set _ZN7rocprim17ROCPRIM_400000_NS6detail17trampoline_kernelINS0_14default_configENS1_35radix_sort_onesweep_config_selectorIsNS0_10empty_typeEEEZZNS1_29radix_sort_onesweep_iterationIS3_Lb0EPKsPsPS5_SB_mNS0_19identity_decomposerENS1_16block_id_wrapperIjLb1EEEEE10hipError_tT1_PNSt15iterator_traitsISG_E10value_typeET2_T3_PNSH_ISM_E10value_typeET4_T5_PSR_SS_PNS1_23onesweep_lookback_stateEbbT6_jjT7_P12ihipStream_tbENKUlT_T0_SG_SL_E_clIS9_SA_SB_SB_EEDaSZ_S10_SG_SL_EUlSZ_E_NS1_11comp_targetILNS1_3genE5ELNS1_11target_archE942ELNS1_3gpuE9ELNS1_3repE0EEENS1_47radix_sort_onesweep_sort_config_static_selectorELNS0_4arch9wavefront6targetE0EEEvSG_.has_dyn_sized_stack, 0
	.set _ZN7rocprim17ROCPRIM_400000_NS6detail17trampoline_kernelINS0_14default_configENS1_35radix_sort_onesweep_config_selectorIsNS0_10empty_typeEEEZZNS1_29radix_sort_onesweep_iterationIS3_Lb0EPKsPsPS5_SB_mNS0_19identity_decomposerENS1_16block_id_wrapperIjLb1EEEEE10hipError_tT1_PNSt15iterator_traitsISG_E10value_typeET2_T3_PNSH_ISM_E10value_typeET4_T5_PSR_SS_PNS1_23onesweep_lookback_stateEbbT6_jjT7_P12ihipStream_tbENKUlT_T0_SG_SL_E_clIS9_SA_SB_SB_EEDaSZ_S10_SG_SL_EUlSZ_E_NS1_11comp_targetILNS1_3genE5ELNS1_11target_archE942ELNS1_3gpuE9ELNS1_3repE0EEENS1_47radix_sort_onesweep_sort_config_static_selectorELNS0_4arch9wavefront6targetE0EEEvSG_.has_recursion, 0
	.set _ZN7rocprim17ROCPRIM_400000_NS6detail17trampoline_kernelINS0_14default_configENS1_35radix_sort_onesweep_config_selectorIsNS0_10empty_typeEEEZZNS1_29radix_sort_onesweep_iterationIS3_Lb0EPKsPsPS5_SB_mNS0_19identity_decomposerENS1_16block_id_wrapperIjLb1EEEEE10hipError_tT1_PNSt15iterator_traitsISG_E10value_typeET2_T3_PNSH_ISM_E10value_typeET4_T5_PSR_SS_PNS1_23onesweep_lookback_stateEbbT6_jjT7_P12ihipStream_tbENKUlT_T0_SG_SL_E_clIS9_SA_SB_SB_EEDaSZ_S10_SG_SL_EUlSZ_E_NS1_11comp_targetILNS1_3genE5ELNS1_11target_archE942ELNS1_3gpuE9ELNS1_3repE0EEENS1_47radix_sort_onesweep_sort_config_static_selectorELNS0_4arch9wavefront6targetE0EEEvSG_.has_indirect_call, 0
	.section	.AMDGPU.csdata,"",@progbits
; Kernel info:
; codeLenInByte = 0
; TotalNumSgprs: 0
; NumVgprs: 0
; ScratchSize: 0
; MemoryBound: 0
; FloatMode: 240
; IeeeMode: 1
; LDSByteSize: 0 bytes/workgroup (compile time only)
; SGPRBlocks: 0
; VGPRBlocks: 0
; NumSGPRsForWavesPerEU: 1
; NumVGPRsForWavesPerEU: 1
; NamedBarCnt: 0
; Occupancy: 16
; WaveLimiterHint : 0
; COMPUTE_PGM_RSRC2:SCRATCH_EN: 0
; COMPUTE_PGM_RSRC2:USER_SGPR: 2
; COMPUTE_PGM_RSRC2:TRAP_HANDLER: 0
; COMPUTE_PGM_RSRC2:TGID_X_EN: 1
; COMPUTE_PGM_RSRC2:TGID_Y_EN: 0
; COMPUTE_PGM_RSRC2:TGID_Z_EN: 0
; COMPUTE_PGM_RSRC2:TIDIG_COMP_CNT: 0
	.section	.text._ZN7rocprim17ROCPRIM_400000_NS6detail17trampoline_kernelINS0_14default_configENS1_35radix_sort_onesweep_config_selectorIsNS0_10empty_typeEEEZZNS1_29radix_sort_onesweep_iterationIS3_Lb0EPKsPsPS5_SB_mNS0_19identity_decomposerENS1_16block_id_wrapperIjLb1EEEEE10hipError_tT1_PNSt15iterator_traitsISG_E10value_typeET2_T3_PNSH_ISM_E10value_typeET4_T5_PSR_SS_PNS1_23onesweep_lookback_stateEbbT6_jjT7_P12ihipStream_tbENKUlT_T0_SG_SL_E_clIS9_SA_SB_SB_EEDaSZ_S10_SG_SL_EUlSZ_E_NS1_11comp_targetILNS1_3genE2ELNS1_11target_archE906ELNS1_3gpuE6ELNS1_3repE0EEENS1_47radix_sort_onesweep_sort_config_static_selectorELNS0_4arch9wavefront6targetE0EEEvSG_,"axG",@progbits,_ZN7rocprim17ROCPRIM_400000_NS6detail17trampoline_kernelINS0_14default_configENS1_35radix_sort_onesweep_config_selectorIsNS0_10empty_typeEEEZZNS1_29radix_sort_onesweep_iterationIS3_Lb0EPKsPsPS5_SB_mNS0_19identity_decomposerENS1_16block_id_wrapperIjLb1EEEEE10hipError_tT1_PNSt15iterator_traitsISG_E10value_typeET2_T3_PNSH_ISM_E10value_typeET4_T5_PSR_SS_PNS1_23onesweep_lookback_stateEbbT6_jjT7_P12ihipStream_tbENKUlT_T0_SG_SL_E_clIS9_SA_SB_SB_EEDaSZ_S10_SG_SL_EUlSZ_E_NS1_11comp_targetILNS1_3genE2ELNS1_11target_archE906ELNS1_3gpuE6ELNS1_3repE0EEENS1_47radix_sort_onesweep_sort_config_static_selectorELNS0_4arch9wavefront6targetE0EEEvSG_,comdat
	.protected	_ZN7rocprim17ROCPRIM_400000_NS6detail17trampoline_kernelINS0_14default_configENS1_35radix_sort_onesweep_config_selectorIsNS0_10empty_typeEEEZZNS1_29radix_sort_onesweep_iterationIS3_Lb0EPKsPsPS5_SB_mNS0_19identity_decomposerENS1_16block_id_wrapperIjLb1EEEEE10hipError_tT1_PNSt15iterator_traitsISG_E10value_typeET2_T3_PNSH_ISM_E10value_typeET4_T5_PSR_SS_PNS1_23onesweep_lookback_stateEbbT6_jjT7_P12ihipStream_tbENKUlT_T0_SG_SL_E_clIS9_SA_SB_SB_EEDaSZ_S10_SG_SL_EUlSZ_E_NS1_11comp_targetILNS1_3genE2ELNS1_11target_archE906ELNS1_3gpuE6ELNS1_3repE0EEENS1_47radix_sort_onesweep_sort_config_static_selectorELNS0_4arch9wavefront6targetE0EEEvSG_ ; -- Begin function _ZN7rocprim17ROCPRIM_400000_NS6detail17trampoline_kernelINS0_14default_configENS1_35radix_sort_onesweep_config_selectorIsNS0_10empty_typeEEEZZNS1_29radix_sort_onesweep_iterationIS3_Lb0EPKsPsPS5_SB_mNS0_19identity_decomposerENS1_16block_id_wrapperIjLb1EEEEE10hipError_tT1_PNSt15iterator_traitsISG_E10value_typeET2_T3_PNSH_ISM_E10value_typeET4_T5_PSR_SS_PNS1_23onesweep_lookback_stateEbbT6_jjT7_P12ihipStream_tbENKUlT_T0_SG_SL_E_clIS9_SA_SB_SB_EEDaSZ_S10_SG_SL_EUlSZ_E_NS1_11comp_targetILNS1_3genE2ELNS1_11target_archE906ELNS1_3gpuE6ELNS1_3repE0EEENS1_47radix_sort_onesweep_sort_config_static_selectorELNS0_4arch9wavefront6targetE0EEEvSG_
	.globl	_ZN7rocprim17ROCPRIM_400000_NS6detail17trampoline_kernelINS0_14default_configENS1_35radix_sort_onesweep_config_selectorIsNS0_10empty_typeEEEZZNS1_29radix_sort_onesweep_iterationIS3_Lb0EPKsPsPS5_SB_mNS0_19identity_decomposerENS1_16block_id_wrapperIjLb1EEEEE10hipError_tT1_PNSt15iterator_traitsISG_E10value_typeET2_T3_PNSH_ISM_E10value_typeET4_T5_PSR_SS_PNS1_23onesweep_lookback_stateEbbT6_jjT7_P12ihipStream_tbENKUlT_T0_SG_SL_E_clIS9_SA_SB_SB_EEDaSZ_S10_SG_SL_EUlSZ_E_NS1_11comp_targetILNS1_3genE2ELNS1_11target_archE906ELNS1_3gpuE6ELNS1_3repE0EEENS1_47radix_sort_onesweep_sort_config_static_selectorELNS0_4arch9wavefront6targetE0EEEvSG_
	.p2align	8
	.type	_ZN7rocprim17ROCPRIM_400000_NS6detail17trampoline_kernelINS0_14default_configENS1_35radix_sort_onesweep_config_selectorIsNS0_10empty_typeEEEZZNS1_29radix_sort_onesweep_iterationIS3_Lb0EPKsPsPS5_SB_mNS0_19identity_decomposerENS1_16block_id_wrapperIjLb1EEEEE10hipError_tT1_PNSt15iterator_traitsISG_E10value_typeET2_T3_PNSH_ISM_E10value_typeET4_T5_PSR_SS_PNS1_23onesweep_lookback_stateEbbT6_jjT7_P12ihipStream_tbENKUlT_T0_SG_SL_E_clIS9_SA_SB_SB_EEDaSZ_S10_SG_SL_EUlSZ_E_NS1_11comp_targetILNS1_3genE2ELNS1_11target_archE906ELNS1_3gpuE6ELNS1_3repE0EEENS1_47radix_sort_onesweep_sort_config_static_selectorELNS0_4arch9wavefront6targetE0EEEvSG_,@function
_ZN7rocprim17ROCPRIM_400000_NS6detail17trampoline_kernelINS0_14default_configENS1_35radix_sort_onesweep_config_selectorIsNS0_10empty_typeEEEZZNS1_29radix_sort_onesweep_iterationIS3_Lb0EPKsPsPS5_SB_mNS0_19identity_decomposerENS1_16block_id_wrapperIjLb1EEEEE10hipError_tT1_PNSt15iterator_traitsISG_E10value_typeET2_T3_PNSH_ISM_E10value_typeET4_T5_PSR_SS_PNS1_23onesweep_lookback_stateEbbT6_jjT7_P12ihipStream_tbENKUlT_T0_SG_SL_E_clIS9_SA_SB_SB_EEDaSZ_S10_SG_SL_EUlSZ_E_NS1_11comp_targetILNS1_3genE2ELNS1_11target_archE906ELNS1_3gpuE6ELNS1_3repE0EEENS1_47radix_sort_onesweep_sort_config_static_selectorELNS0_4arch9wavefront6targetE0EEEvSG_: ; @_ZN7rocprim17ROCPRIM_400000_NS6detail17trampoline_kernelINS0_14default_configENS1_35radix_sort_onesweep_config_selectorIsNS0_10empty_typeEEEZZNS1_29radix_sort_onesweep_iterationIS3_Lb0EPKsPsPS5_SB_mNS0_19identity_decomposerENS1_16block_id_wrapperIjLb1EEEEE10hipError_tT1_PNSt15iterator_traitsISG_E10value_typeET2_T3_PNSH_ISM_E10value_typeET4_T5_PSR_SS_PNS1_23onesweep_lookback_stateEbbT6_jjT7_P12ihipStream_tbENKUlT_T0_SG_SL_E_clIS9_SA_SB_SB_EEDaSZ_S10_SG_SL_EUlSZ_E_NS1_11comp_targetILNS1_3genE2ELNS1_11target_archE906ELNS1_3gpuE6ELNS1_3repE0EEENS1_47radix_sort_onesweep_sort_config_static_selectorELNS0_4arch9wavefront6targetE0EEEvSG_
; %bb.0:
	.section	.rodata,"a",@progbits
	.p2align	6, 0x0
	.amdhsa_kernel _ZN7rocprim17ROCPRIM_400000_NS6detail17trampoline_kernelINS0_14default_configENS1_35radix_sort_onesweep_config_selectorIsNS0_10empty_typeEEEZZNS1_29radix_sort_onesweep_iterationIS3_Lb0EPKsPsPS5_SB_mNS0_19identity_decomposerENS1_16block_id_wrapperIjLb1EEEEE10hipError_tT1_PNSt15iterator_traitsISG_E10value_typeET2_T3_PNSH_ISM_E10value_typeET4_T5_PSR_SS_PNS1_23onesweep_lookback_stateEbbT6_jjT7_P12ihipStream_tbENKUlT_T0_SG_SL_E_clIS9_SA_SB_SB_EEDaSZ_S10_SG_SL_EUlSZ_E_NS1_11comp_targetILNS1_3genE2ELNS1_11target_archE906ELNS1_3gpuE6ELNS1_3repE0EEENS1_47radix_sort_onesweep_sort_config_static_selectorELNS0_4arch9wavefront6targetE0EEEvSG_
		.amdhsa_group_segment_fixed_size 0
		.amdhsa_private_segment_fixed_size 0
		.amdhsa_kernarg_size 88
		.amdhsa_user_sgpr_count 2
		.amdhsa_user_sgpr_dispatch_ptr 0
		.amdhsa_user_sgpr_queue_ptr 0
		.amdhsa_user_sgpr_kernarg_segment_ptr 1
		.amdhsa_user_sgpr_dispatch_id 0
		.amdhsa_user_sgpr_kernarg_preload_length 0
		.amdhsa_user_sgpr_kernarg_preload_offset 0
		.amdhsa_user_sgpr_private_segment_size 0
		.amdhsa_wavefront_size32 1
		.amdhsa_uses_dynamic_stack 0
		.amdhsa_enable_private_segment 0
		.amdhsa_system_sgpr_workgroup_id_x 1
		.amdhsa_system_sgpr_workgroup_id_y 0
		.amdhsa_system_sgpr_workgroup_id_z 0
		.amdhsa_system_sgpr_workgroup_info 0
		.amdhsa_system_vgpr_workitem_id 0
		.amdhsa_next_free_vgpr 1
		.amdhsa_next_free_sgpr 1
		.amdhsa_named_barrier_count 0
		.amdhsa_reserve_vcc 0
		.amdhsa_float_round_mode_32 0
		.amdhsa_float_round_mode_16_64 0
		.amdhsa_float_denorm_mode_32 3
		.amdhsa_float_denorm_mode_16_64 3
		.amdhsa_fp16_overflow 0
		.amdhsa_memory_ordered 1
		.amdhsa_forward_progress 1
		.amdhsa_inst_pref_size 0
		.amdhsa_round_robin_scheduling 0
		.amdhsa_exception_fp_ieee_invalid_op 0
		.amdhsa_exception_fp_denorm_src 0
		.amdhsa_exception_fp_ieee_div_zero 0
		.amdhsa_exception_fp_ieee_overflow 0
		.amdhsa_exception_fp_ieee_underflow 0
		.amdhsa_exception_fp_ieee_inexact 0
		.amdhsa_exception_int_div_zero 0
	.end_amdhsa_kernel
	.section	.text._ZN7rocprim17ROCPRIM_400000_NS6detail17trampoline_kernelINS0_14default_configENS1_35radix_sort_onesweep_config_selectorIsNS0_10empty_typeEEEZZNS1_29radix_sort_onesweep_iterationIS3_Lb0EPKsPsPS5_SB_mNS0_19identity_decomposerENS1_16block_id_wrapperIjLb1EEEEE10hipError_tT1_PNSt15iterator_traitsISG_E10value_typeET2_T3_PNSH_ISM_E10value_typeET4_T5_PSR_SS_PNS1_23onesweep_lookback_stateEbbT6_jjT7_P12ihipStream_tbENKUlT_T0_SG_SL_E_clIS9_SA_SB_SB_EEDaSZ_S10_SG_SL_EUlSZ_E_NS1_11comp_targetILNS1_3genE2ELNS1_11target_archE906ELNS1_3gpuE6ELNS1_3repE0EEENS1_47radix_sort_onesweep_sort_config_static_selectorELNS0_4arch9wavefront6targetE0EEEvSG_,"axG",@progbits,_ZN7rocprim17ROCPRIM_400000_NS6detail17trampoline_kernelINS0_14default_configENS1_35radix_sort_onesweep_config_selectorIsNS0_10empty_typeEEEZZNS1_29radix_sort_onesweep_iterationIS3_Lb0EPKsPsPS5_SB_mNS0_19identity_decomposerENS1_16block_id_wrapperIjLb1EEEEE10hipError_tT1_PNSt15iterator_traitsISG_E10value_typeET2_T3_PNSH_ISM_E10value_typeET4_T5_PSR_SS_PNS1_23onesweep_lookback_stateEbbT6_jjT7_P12ihipStream_tbENKUlT_T0_SG_SL_E_clIS9_SA_SB_SB_EEDaSZ_S10_SG_SL_EUlSZ_E_NS1_11comp_targetILNS1_3genE2ELNS1_11target_archE906ELNS1_3gpuE6ELNS1_3repE0EEENS1_47radix_sort_onesweep_sort_config_static_selectorELNS0_4arch9wavefront6targetE0EEEvSG_,comdat
.Lfunc_end716:
	.size	_ZN7rocprim17ROCPRIM_400000_NS6detail17trampoline_kernelINS0_14default_configENS1_35radix_sort_onesweep_config_selectorIsNS0_10empty_typeEEEZZNS1_29radix_sort_onesweep_iterationIS3_Lb0EPKsPsPS5_SB_mNS0_19identity_decomposerENS1_16block_id_wrapperIjLb1EEEEE10hipError_tT1_PNSt15iterator_traitsISG_E10value_typeET2_T3_PNSH_ISM_E10value_typeET4_T5_PSR_SS_PNS1_23onesweep_lookback_stateEbbT6_jjT7_P12ihipStream_tbENKUlT_T0_SG_SL_E_clIS9_SA_SB_SB_EEDaSZ_S10_SG_SL_EUlSZ_E_NS1_11comp_targetILNS1_3genE2ELNS1_11target_archE906ELNS1_3gpuE6ELNS1_3repE0EEENS1_47radix_sort_onesweep_sort_config_static_selectorELNS0_4arch9wavefront6targetE0EEEvSG_, .Lfunc_end716-_ZN7rocprim17ROCPRIM_400000_NS6detail17trampoline_kernelINS0_14default_configENS1_35radix_sort_onesweep_config_selectorIsNS0_10empty_typeEEEZZNS1_29radix_sort_onesweep_iterationIS3_Lb0EPKsPsPS5_SB_mNS0_19identity_decomposerENS1_16block_id_wrapperIjLb1EEEEE10hipError_tT1_PNSt15iterator_traitsISG_E10value_typeET2_T3_PNSH_ISM_E10value_typeET4_T5_PSR_SS_PNS1_23onesweep_lookback_stateEbbT6_jjT7_P12ihipStream_tbENKUlT_T0_SG_SL_E_clIS9_SA_SB_SB_EEDaSZ_S10_SG_SL_EUlSZ_E_NS1_11comp_targetILNS1_3genE2ELNS1_11target_archE906ELNS1_3gpuE6ELNS1_3repE0EEENS1_47radix_sort_onesweep_sort_config_static_selectorELNS0_4arch9wavefront6targetE0EEEvSG_
                                        ; -- End function
	.set _ZN7rocprim17ROCPRIM_400000_NS6detail17trampoline_kernelINS0_14default_configENS1_35radix_sort_onesweep_config_selectorIsNS0_10empty_typeEEEZZNS1_29radix_sort_onesweep_iterationIS3_Lb0EPKsPsPS5_SB_mNS0_19identity_decomposerENS1_16block_id_wrapperIjLb1EEEEE10hipError_tT1_PNSt15iterator_traitsISG_E10value_typeET2_T3_PNSH_ISM_E10value_typeET4_T5_PSR_SS_PNS1_23onesweep_lookback_stateEbbT6_jjT7_P12ihipStream_tbENKUlT_T0_SG_SL_E_clIS9_SA_SB_SB_EEDaSZ_S10_SG_SL_EUlSZ_E_NS1_11comp_targetILNS1_3genE2ELNS1_11target_archE906ELNS1_3gpuE6ELNS1_3repE0EEENS1_47radix_sort_onesweep_sort_config_static_selectorELNS0_4arch9wavefront6targetE0EEEvSG_.num_vgpr, 0
	.set _ZN7rocprim17ROCPRIM_400000_NS6detail17trampoline_kernelINS0_14default_configENS1_35radix_sort_onesweep_config_selectorIsNS0_10empty_typeEEEZZNS1_29radix_sort_onesweep_iterationIS3_Lb0EPKsPsPS5_SB_mNS0_19identity_decomposerENS1_16block_id_wrapperIjLb1EEEEE10hipError_tT1_PNSt15iterator_traitsISG_E10value_typeET2_T3_PNSH_ISM_E10value_typeET4_T5_PSR_SS_PNS1_23onesweep_lookback_stateEbbT6_jjT7_P12ihipStream_tbENKUlT_T0_SG_SL_E_clIS9_SA_SB_SB_EEDaSZ_S10_SG_SL_EUlSZ_E_NS1_11comp_targetILNS1_3genE2ELNS1_11target_archE906ELNS1_3gpuE6ELNS1_3repE0EEENS1_47radix_sort_onesweep_sort_config_static_selectorELNS0_4arch9wavefront6targetE0EEEvSG_.num_agpr, 0
	.set _ZN7rocprim17ROCPRIM_400000_NS6detail17trampoline_kernelINS0_14default_configENS1_35radix_sort_onesweep_config_selectorIsNS0_10empty_typeEEEZZNS1_29radix_sort_onesweep_iterationIS3_Lb0EPKsPsPS5_SB_mNS0_19identity_decomposerENS1_16block_id_wrapperIjLb1EEEEE10hipError_tT1_PNSt15iterator_traitsISG_E10value_typeET2_T3_PNSH_ISM_E10value_typeET4_T5_PSR_SS_PNS1_23onesweep_lookback_stateEbbT6_jjT7_P12ihipStream_tbENKUlT_T0_SG_SL_E_clIS9_SA_SB_SB_EEDaSZ_S10_SG_SL_EUlSZ_E_NS1_11comp_targetILNS1_3genE2ELNS1_11target_archE906ELNS1_3gpuE6ELNS1_3repE0EEENS1_47radix_sort_onesweep_sort_config_static_selectorELNS0_4arch9wavefront6targetE0EEEvSG_.numbered_sgpr, 0
	.set _ZN7rocprim17ROCPRIM_400000_NS6detail17trampoline_kernelINS0_14default_configENS1_35radix_sort_onesweep_config_selectorIsNS0_10empty_typeEEEZZNS1_29radix_sort_onesweep_iterationIS3_Lb0EPKsPsPS5_SB_mNS0_19identity_decomposerENS1_16block_id_wrapperIjLb1EEEEE10hipError_tT1_PNSt15iterator_traitsISG_E10value_typeET2_T3_PNSH_ISM_E10value_typeET4_T5_PSR_SS_PNS1_23onesweep_lookback_stateEbbT6_jjT7_P12ihipStream_tbENKUlT_T0_SG_SL_E_clIS9_SA_SB_SB_EEDaSZ_S10_SG_SL_EUlSZ_E_NS1_11comp_targetILNS1_3genE2ELNS1_11target_archE906ELNS1_3gpuE6ELNS1_3repE0EEENS1_47radix_sort_onesweep_sort_config_static_selectorELNS0_4arch9wavefront6targetE0EEEvSG_.num_named_barrier, 0
	.set _ZN7rocprim17ROCPRIM_400000_NS6detail17trampoline_kernelINS0_14default_configENS1_35radix_sort_onesweep_config_selectorIsNS0_10empty_typeEEEZZNS1_29radix_sort_onesweep_iterationIS3_Lb0EPKsPsPS5_SB_mNS0_19identity_decomposerENS1_16block_id_wrapperIjLb1EEEEE10hipError_tT1_PNSt15iterator_traitsISG_E10value_typeET2_T3_PNSH_ISM_E10value_typeET4_T5_PSR_SS_PNS1_23onesweep_lookback_stateEbbT6_jjT7_P12ihipStream_tbENKUlT_T0_SG_SL_E_clIS9_SA_SB_SB_EEDaSZ_S10_SG_SL_EUlSZ_E_NS1_11comp_targetILNS1_3genE2ELNS1_11target_archE906ELNS1_3gpuE6ELNS1_3repE0EEENS1_47radix_sort_onesweep_sort_config_static_selectorELNS0_4arch9wavefront6targetE0EEEvSG_.private_seg_size, 0
	.set _ZN7rocprim17ROCPRIM_400000_NS6detail17trampoline_kernelINS0_14default_configENS1_35radix_sort_onesweep_config_selectorIsNS0_10empty_typeEEEZZNS1_29radix_sort_onesweep_iterationIS3_Lb0EPKsPsPS5_SB_mNS0_19identity_decomposerENS1_16block_id_wrapperIjLb1EEEEE10hipError_tT1_PNSt15iterator_traitsISG_E10value_typeET2_T3_PNSH_ISM_E10value_typeET4_T5_PSR_SS_PNS1_23onesweep_lookback_stateEbbT6_jjT7_P12ihipStream_tbENKUlT_T0_SG_SL_E_clIS9_SA_SB_SB_EEDaSZ_S10_SG_SL_EUlSZ_E_NS1_11comp_targetILNS1_3genE2ELNS1_11target_archE906ELNS1_3gpuE6ELNS1_3repE0EEENS1_47radix_sort_onesweep_sort_config_static_selectorELNS0_4arch9wavefront6targetE0EEEvSG_.uses_vcc, 0
	.set _ZN7rocprim17ROCPRIM_400000_NS6detail17trampoline_kernelINS0_14default_configENS1_35radix_sort_onesweep_config_selectorIsNS0_10empty_typeEEEZZNS1_29radix_sort_onesweep_iterationIS3_Lb0EPKsPsPS5_SB_mNS0_19identity_decomposerENS1_16block_id_wrapperIjLb1EEEEE10hipError_tT1_PNSt15iterator_traitsISG_E10value_typeET2_T3_PNSH_ISM_E10value_typeET4_T5_PSR_SS_PNS1_23onesweep_lookback_stateEbbT6_jjT7_P12ihipStream_tbENKUlT_T0_SG_SL_E_clIS9_SA_SB_SB_EEDaSZ_S10_SG_SL_EUlSZ_E_NS1_11comp_targetILNS1_3genE2ELNS1_11target_archE906ELNS1_3gpuE6ELNS1_3repE0EEENS1_47radix_sort_onesweep_sort_config_static_selectorELNS0_4arch9wavefront6targetE0EEEvSG_.uses_flat_scratch, 0
	.set _ZN7rocprim17ROCPRIM_400000_NS6detail17trampoline_kernelINS0_14default_configENS1_35radix_sort_onesweep_config_selectorIsNS0_10empty_typeEEEZZNS1_29radix_sort_onesweep_iterationIS3_Lb0EPKsPsPS5_SB_mNS0_19identity_decomposerENS1_16block_id_wrapperIjLb1EEEEE10hipError_tT1_PNSt15iterator_traitsISG_E10value_typeET2_T3_PNSH_ISM_E10value_typeET4_T5_PSR_SS_PNS1_23onesweep_lookback_stateEbbT6_jjT7_P12ihipStream_tbENKUlT_T0_SG_SL_E_clIS9_SA_SB_SB_EEDaSZ_S10_SG_SL_EUlSZ_E_NS1_11comp_targetILNS1_3genE2ELNS1_11target_archE906ELNS1_3gpuE6ELNS1_3repE0EEENS1_47radix_sort_onesweep_sort_config_static_selectorELNS0_4arch9wavefront6targetE0EEEvSG_.has_dyn_sized_stack, 0
	.set _ZN7rocprim17ROCPRIM_400000_NS6detail17trampoline_kernelINS0_14default_configENS1_35radix_sort_onesweep_config_selectorIsNS0_10empty_typeEEEZZNS1_29radix_sort_onesweep_iterationIS3_Lb0EPKsPsPS5_SB_mNS0_19identity_decomposerENS1_16block_id_wrapperIjLb1EEEEE10hipError_tT1_PNSt15iterator_traitsISG_E10value_typeET2_T3_PNSH_ISM_E10value_typeET4_T5_PSR_SS_PNS1_23onesweep_lookback_stateEbbT6_jjT7_P12ihipStream_tbENKUlT_T0_SG_SL_E_clIS9_SA_SB_SB_EEDaSZ_S10_SG_SL_EUlSZ_E_NS1_11comp_targetILNS1_3genE2ELNS1_11target_archE906ELNS1_3gpuE6ELNS1_3repE0EEENS1_47radix_sort_onesweep_sort_config_static_selectorELNS0_4arch9wavefront6targetE0EEEvSG_.has_recursion, 0
	.set _ZN7rocprim17ROCPRIM_400000_NS6detail17trampoline_kernelINS0_14default_configENS1_35radix_sort_onesweep_config_selectorIsNS0_10empty_typeEEEZZNS1_29radix_sort_onesweep_iterationIS3_Lb0EPKsPsPS5_SB_mNS0_19identity_decomposerENS1_16block_id_wrapperIjLb1EEEEE10hipError_tT1_PNSt15iterator_traitsISG_E10value_typeET2_T3_PNSH_ISM_E10value_typeET4_T5_PSR_SS_PNS1_23onesweep_lookback_stateEbbT6_jjT7_P12ihipStream_tbENKUlT_T0_SG_SL_E_clIS9_SA_SB_SB_EEDaSZ_S10_SG_SL_EUlSZ_E_NS1_11comp_targetILNS1_3genE2ELNS1_11target_archE906ELNS1_3gpuE6ELNS1_3repE0EEENS1_47radix_sort_onesweep_sort_config_static_selectorELNS0_4arch9wavefront6targetE0EEEvSG_.has_indirect_call, 0
	.section	.AMDGPU.csdata,"",@progbits
; Kernel info:
; codeLenInByte = 0
; TotalNumSgprs: 0
; NumVgprs: 0
; ScratchSize: 0
; MemoryBound: 0
; FloatMode: 240
; IeeeMode: 1
; LDSByteSize: 0 bytes/workgroup (compile time only)
; SGPRBlocks: 0
; VGPRBlocks: 0
; NumSGPRsForWavesPerEU: 1
; NumVGPRsForWavesPerEU: 1
; NamedBarCnt: 0
; Occupancy: 16
; WaveLimiterHint : 0
; COMPUTE_PGM_RSRC2:SCRATCH_EN: 0
; COMPUTE_PGM_RSRC2:USER_SGPR: 2
; COMPUTE_PGM_RSRC2:TRAP_HANDLER: 0
; COMPUTE_PGM_RSRC2:TGID_X_EN: 1
; COMPUTE_PGM_RSRC2:TGID_Y_EN: 0
; COMPUTE_PGM_RSRC2:TGID_Z_EN: 0
; COMPUTE_PGM_RSRC2:TIDIG_COMP_CNT: 0
	.section	.text._ZN7rocprim17ROCPRIM_400000_NS6detail17trampoline_kernelINS0_14default_configENS1_35radix_sort_onesweep_config_selectorIsNS0_10empty_typeEEEZZNS1_29radix_sort_onesweep_iterationIS3_Lb0EPKsPsPS5_SB_mNS0_19identity_decomposerENS1_16block_id_wrapperIjLb1EEEEE10hipError_tT1_PNSt15iterator_traitsISG_E10value_typeET2_T3_PNSH_ISM_E10value_typeET4_T5_PSR_SS_PNS1_23onesweep_lookback_stateEbbT6_jjT7_P12ihipStream_tbENKUlT_T0_SG_SL_E_clIS9_SA_SB_SB_EEDaSZ_S10_SG_SL_EUlSZ_E_NS1_11comp_targetILNS1_3genE4ELNS1_11target_archE910ELNS1_3gpuE8ELNS1_3repE0EEENS1_47radix_sort_onesweep_sort_config_static_selectorELNS0_4arch9wavefront6targetE0EEEvSG_,"axG",@progbits,_ZN7rocprim17ROCPRIM_400000_NS6detail17trampoline_kernelINS0_14default_configENS1_35radix_sort_onesweep_config_selectorIsNS0_10empty_typeEEEZZNS1_29radix_sort_onesweep_iterationIS3_Lb0EPKsPsPS5_SB_mNS0_19identity_decomposerENS1_16block_id_wrapperIjLb1EEEEE10hipError_tT1_PNSt15iterator_traitsISG_E10value_typeET2_T3_PNSH_ISM_E10value_typeET4_T5_PSR_SS_PNS1_23onesweep_lookback_stateEbbT6_jjT7_P12ihipStream_tbENKUlT_T0_SG_SL_E_clIS9_SA_SB_SB_EEDaSZ_S10_SG_SL_EUlSZ_E_NS1_11comp_targetILNS1_3genE4ELNS1_11target_archE910ELNS1_3gpuE8ELNS1_3repE0EEENS1_47radix_sort_onesweep_sort_config_static_selectorELNS0_4arch9wavefront6targetE0EEEvSG_,comdat
	.protected	_ZN7rocprim17ROCPRIM_400000_NS6detail17trampoline_kernelINS0_14default_configENS1_35radix_sort_onesweep_config_selectorIsNS0_10empty_typeEEEZZNS1_29radix_sort_onesweep_iterationIS3_Lb0EPKsPsPS5_SB_mNS0_19identity_decomposerENS1_16block_id_wrapperIjLb1EEEEE10hipError_tT1_PNSt15iterator_traitsISG_E10value_typeET2_T3_PNSH_ISM_E10value_typeET4_T5_PSR_SS_PNS1_23onesweep_lookback_stateEbbT6_jjT7_P12ihipStream_tbENKUlT_T0_SG_SL_E_clIS9_SA_SB_SB_EEDaSZ_S10_SG_SL_EUlSZ_E_NS1_11comp_targetILNS1_3genE4ELNS1_11target_archE910ELNS1_3gpuE8ELNS1_3repE0EEENS1_47radix_sort_onesweep_sort_config_static_selectorELNS0_4arch9wavefront6targetE0EEEvSG_ ; -- Begin function _ZN7rocprim17ROCPRIM_400000_NS6detail17trampoline_kernelINS0_14default_configENS1_35radix_sort_onesweep_config_selectorIsNS0_10empty_typeEEEZZNS1_29radix_sort_onesweep_iterationIS3_Lb0EPKsPsPS5_SB_mNS0_19identity_decomposerENS1_16block_id_wrapperIjLb1EEEEE10hipError_tT1_PNSt15iterator_traitsISG_E10value_typeET2_T3_PNSH_ISM_E10value_typeET4_T5_PSR_SS_PNS1_23onesweep_lookback_stateEbbT6_jjT7_P12ihipStream_tbENKUlT_T0_SG_SL_E_clIS9_SA_SB_SB_EEDaSZ_S10_SG_SL_EUlSZ_E_NS1_11comp_targetILNS1_3genE4ELNS1_11target_archE910ELNS1_3gpuE8ELNS1_3repE0EEENS1_47radix_sort_onesweep_sort_config_static_selectorELNS0_4arch9wavefront6targetE0EEEvSG_
	.globl	_ZN7rocprim17ROCPRIM_400000_NS6detail17trampoline_kernelINS0_14default_configENS1_35radix_sort_onesweep_config_selectorIsNS0_10empty_typeEEEZZNS1_29radix_sort_onesweep_iterationIS3_Lb0EPKsPsPS5_SB_mNS0_19identity_decomposerENS1_16block_id_wrapperIjLb1EEEEE10hipError_tT1_PNSt15iterator_traitsISG_E10value_typeET2_T3_PNSH_ISM_E10value_typeET4_T5_PSR_SS_PNS1_23onesweep_lookback_stateEbbT6_jjT7_P12ihipStream_tbENKUlT_T0_SG_SL_E_clIS9_SA_SB_SB_EEDaSZ_S10_SG_SL_EUlSZ_E_NS1_11comp_targetILNS1_3genE4ELNS1_11target_archE910ELNS1_3gpuE8ELNS1_3repE0EEENS1_47radix_sort_onesweep_sort_config_static_selectorELNS0_4arch9wavefront6targetE0EEEvSG_
	.p2align	8
	.type	_ZN7rocprim17ROCPRIM_400000_NS6detail17trampoline_kernelINS0_14default_configENS1_35radix_sort_onesweep_config_selectorIsNS0_10empty_typeEEEZZNS1_29radix_sort_onesweep_iterationIS3_Lb0EPKsPsPS5_SB_mNS0_19identity_decomposerENS1_16block_id_wrapperIjLb1EEEEE10hipError_tT1_PNSt15iterator_traitsISG_E10value_typeET2_T3_PNSH_ISM_E10value_typeET4_T5_PSR_SS_PNS1_23onesweep_lookback_stateEbbT6_jjT7_P12ihipStream_tbENKUlT_T0_SG_SL_E_clIS9_SA_SB_SB_EEDaSZ_S10_SG_SL_EUlSZ_E_NS1_11comp_targetILNS1_3genE4ELNS1_11target_archE910ELNS1_3gpuE8ELNS1_3repE0EEENS1_47radix_sort_onesweep_sort_config_static_selectorELNS0_4arch9wavefront6targetE0EEEvSG_,@function
_ZN7rocprim17ROCPRIM_400000_NS6detail17trampoline_kernelINS0_14default_configENS1_35radix_sort_onesweep_config_selectorIsNS0_10empty_typeEEEZZNS1_29radix_sort_onesweep_iterationIS3_Lb0EPKsPsPS5_SB_mNS0_19identity_decomposerENS1_16block_id_wrapperIjLb1EEEEE10hipError_tT1_PNSt15iterator_traitsISG_E10value_typeET2_T3_PNSH_ISM_E10value_typeET4_T5_PSR_SS_PNS1_23onesweep_lookback_stateEbbT6_jjT7_P12ihipStream_tbENKUlT_T0_SG_SL_E_clIS9_SA_SB_SB_EEDaSZ_S10_SG_SL_EUlSZ_E_NS1_11comp_targetILNS1_3genE4ELNS1_11target_archE910ELNS1_3gpuE8ELNS1_3repE0EEENS1_47radix_sort_onesweep_sort_config_static_selectorELNS0_4arch9wavefront6targetE0EEEvSG_: ; @_ZN7rocprim17ROCPRIM_400000_NS6detail17trampoline_kernelINS0_14default_configENS1_35radix_sort_onesweep_config_selectorIsNS0_10empty_typeEEEZZNS1_29radix_sort_onesweep_iterationIS3_Lb0EPKsPsPS5_SB_mNS0_19identity_decomposerENS1_16block_id_wrapperIjLb1EEEEE10hipError_tT1_PNSt15iterator_traitsISG_E10value_typeET2_T3_PNSH_ISM_E10value_typeET4_T5_PSR_SS_PNS1_23onesweep_lookback_stateEbbT6_jjT7_P12ihipStream_tbENKUlT_T0_SG_SL_E_clIS9_SA_SB_SB_EEDaSZ_S10_SG_SL_EUlSZ_E_NS1_11comp_targetILNS1_3genE4ELNS1_11target_archE910ELNS1_3gpuE8ELNS1_3repE0EEENS1_47radix_sort_onesweep_sort_config_static_selectorELNS0_4arch9wavefront6targetE0EEEvSG_
; %bb.0:
	.section	.rodata,"a",@progbits
	.p2align	6, 0x0
	.amdhsa_kernel _ZN7rocprim17ROCPRIM_400000_NS6detail17trampoline_kernelINS0_14default_configENS1_35radix_sort_onesweep_config_selectorIsNS0_10empty_typeEEEZZNS1_29radix_sort_onesweep_iterationIS3_Lb0EPKsPsPS5_SB_mNS0_19identity_decomposerENS1_16block_id_wrapperIjLb1EEEEE10hipError_tT1_PNSt15iterator_traitsISG_E10value_typeET2_T3_PNSH_ISM_E10value_typeET4_T5_PSR_SS_PNS1_23onesweep_lookback_stateEbbT6_jjT7_P12ihipStream_tbENKUlT_T0_SG_SL_E_clIS9_SA_SB_SB_EEDaSZ_S10_SG_SL_EUlSZ_E_NS1_11comp_targetILNS1_3genE4ELNS1_11target_archE910ELNS1_3gpuE8ELNS1_3repE0EEENS1_47radix_sort_onesweep_sort_config_static_selectorELNS0_4arch9wavefront6targetE0EEEvSG_
		.amdhsa_group_segment_fixed_size 0
		.amdhsa_private_segment_fixed_size 0
		.amdhsa_kernarg_size 88
		.amdhsa_user_sgpr_count 2
		.amdhsa_user_sgpr_dispatch_ptr 0
		.amdhsa_user_sgpr_queue_ptr 0
		.amdhsa_user_sgpr_kernarg_segment_ptr 1
		.amdhsa_user_sgpr_dispatch_id 0
		.amdhsa_user_sgpr_kernarg_preload_length 0
		.amdhsa_user_sgpr_kernarg_preload_offset 0
		.amdhsa_user_sgpr_private_segment_size 0
		.amdhsa_wavefront_size32 1
		.amdhsa_uses_dynamic_stack 0
		.amdhsa_enable_private_segment 0
		.amdhsa_system_sgpr_workgroup_id_x 1
		.amdhsa_system_sgpr_workgroup_id_y 0
		.amdhsa_system_sgpr_workgroup_id_z 0
		.amdhsa_system_sgpr_workgroup_info 0
		.amdhsa_system_vgpr_workitem_id 0
		.amdhsa_next_free_vgpr 1
		.amdhsa_next_free_sgpr 1
		.amdhsa_named_barrier_count 0
		.amdhsa_reserve_vcc 0
		.amdhsa_float_round_mode_32 0
		.amdhsa_float_round_mode_16_64 0
		.amdhsa_float_denorm_mode_32 3
		.amdhsa_float_denorm_mode_16_64 3
		.amdhsa_fp16_overflow 0
		.amdhsa_memory_ordered 1
		.amdhsa_forward_progress 1
		.amdhsa_inst_pref_size 0
		.amdhsa_round_robin_scheduling 0
		.amdhsa_exception_fp_ieee_invalid_op 0
		.amdhsa_exception_fp_denorm_src 0
		.amdhsa_exception_fp_ieee_div_zero 0
		.amdhsa_exception_fp_ieee_overflow 0
		.amdhsa_exception_fp_ieee_underflow 0
		.amdhsa_exception_fp_ieee_inexact 0
		.amdhsa_exception_int_div_zero 0
	.end_amdhsa_kernel
	.section	.text._ZN7rocprim17ROCPRIM_400000_NS6detail17trampoline_kernelINS0_14default_configENS1_35radix_sort_onesweep_config_selectorIsNS0_10empty_typeEEEZZNS1_29radix_sort_onesweep_iterationIS3_Lb0EPKsPsPS5_SB_mNS0_19identity_decomposerENS1_16block_id_wrapperIjLb1EEEEE10hipError_tT1_PNSt15iterator_traitsISG_E10value_typeET2_T3_PNSH_ISM_E10value_typeET4_T5_PSR_SS_PNS1_23onesweep_lookback_stateEbbT6_jjT7_P12ihipStream_tbENKUlT_T0_SG_SL_E_clIS9_SA_SB_SB_EEDaSZ_S10_SG_SL_EUlSZ_E_NS1_11comp_targetILNS1_3genE4ELNS1_11target_archE910ELNS1_3gpuE8ELNS1_3repE0EEENS1_47radix_sort_onesweep_sort_config_static_selectorELNS0_4arch9wavefront6targetE0EEEvSG_,"axG",@progbits,_ZN7rocprim17ROCPRIM_400000_NS6detail17trampoline_kernelINS0_14default_configENS1_35radix_sort_onesweep_config_selectorIsNS0_10empty_typeEEEZZNS1_29radix_sort_onesweep_iterationIS3_Lb0EPKsPsPS5_SB_mNS0_19identity_decomposerENS1_16block_id_wrapperIjLb1EEEEE10hipError_tT1_PNSt15iterator_traitsISG_E10value_typeET2_T3_PNSH_ISM_E10value_typeET4_T5_PSR_SS_PNS1_23onesweep_lookback_stateEbbT6_jjT7_P12ihipStream_tbENKUlT_T0_SG_SL_E_clIS9_SA_SB_SB_EEDaSZ_S10_SG_SL_EUlSZ_E_NS1_11comp_targetILNS1_3genE4ELNS1_11target_archE910ELNS1_3gpuE8ELNS1_3repE0EEENS1_47radix_sort_onesweep_sort_config_static_selectorELNS0_4arch9wavefront6targetE0EEEvSG_,comdat
.Lfunc_end717:
	.size	_ZN7rocprim17ROCPRIM_400000_NS6detail17trampoline_kernelINS0_14default_configENS1_35radix_sort_onesweep_config_selectorIsNS0_10empty_typeEEEZZNS1_29radix_sort_onesweep_iterationIS3_Lb0EPKsPsPS5_SB_mNS0_19identity_decomposerENS1_16block_id_wrapperIjLb1EEEEE10hipError_tT1_PNSt15iterator_traitsISG_E10value_typeET2_T3_PNSH_ISM_E10value_typeET4_T5_PSR_SS_PNS1_23onesweep_lookback_stateEbbT6_jjT7_P12ihipStream_tbENKUlT_T0_SG_SL_E_clIS9_SA_SB_SB_EEDaSZ_S10_SG_SL_EUlSZ_E_NS1_11comp_targetILNS1_3genE4ELNS1_11target_archE910ELNS1_3gpuE8ELNS1_3repE0EEENS1_47radix_sort_onesweep_sort_config_static_selectorELNS0_4arch9wavefront6targetE0EEEvSG_, .Lfunc_end717-_ZN7rocprim17ROCPRIM_400000_NS6detail17trampoline_kernelINS0_14default_configENS1_35radix_sort_onesweep_config_selectorIsNS0_10empty_typeEEEZZNS1_29radix_sort_onesweep_iterationIS3_Lb0EPKsPsPS5_SB_mNS0_19identity_decomposerENS1_16block_id_wrapperIjLb1EEEEE10hipError_tT1_PNSt15iterator_traitsISG_E10value_typeET2_T3_PNSH_ISM_E10value_typeET4_T5_PSR_SS_PNS1_23onesweep_lookback_stateEbbT6_jjT7_P12ihipStream_tbENKUlT_T0_SG_SL_E_clIS9_SA_SB_SB_EEDaSZ_S10_SG_SL_EUlSZ_E_NS1_11comp_targetILNS1_3genE4ELNS1_11target_archE910ELNS1_3gpuE8ELNS1_3repE0EEENS1_47radix_sort_onesweep_sort_config_static_selectorELNS0_4arch9wavefront6targetE0EEEvSG_
                                        ; -- End function
	.set _ZN7rocprim17ROCPRIM_400000_NS6detail17trampoline_kernelINS0_14default_configENS1_35radix_sort_onesweep_config_selectorIsNS0_10empty_typeEEEZZNS1_29radix_sort_onesweep_iterationIS3_Lb0EPKsPsPS5_SB_mNS0_19identity_decomposerENS1_16block_id_wrapperIjLb1EEEEE10hipError_tT1_PNSt15iterator_traitsISG_E10value_typeET2_T3_PNSH_ISM_E10value_typeET4_T5_PSR_SS_PNS1_23onesweep_lookback_stateEbbT6_jjT7_P12ihipStream_tbENKUlT_T0_SG_SL_E_clIS9_SA_SB_SB_EEDaSZ_S10_SG_SL_EUlSZ_E_NS1_11comp_targetILNS1_3genE4ELNS1_11target_archE910ELNS1_3gpuE8ELNS1_3repE0EEENS1_47radix_sort_onesweep_sort_config_static_selectorELNS0_4arch9wavefront6targetE0EEEvSG_.num_vgpr, 0
	.set _ZN7rocprim17ROCPRIM_400000_NS6detail17trampoline_kernelINS0_14default_configENS1_35radix_sort_onesweep_config_selectorIsNS0_10empty_typeEEEZZNS1_29radix_sort_onesweep_iterationIS3_Lb0EPKsPsPS5_SB_mNS0_19identity_decomposerENS1_16block_id_wrapperIjLb1EEEEE10hipError_tT1_PNSt15iterator_traitsISG_E10value_typeET2_T3_PNSH_ISM_E10value_typeET4_T5_PSR_SS_PNS1_23onesweep_lookback_stateEbbT6_jjT7_P12ihipStream_tbENKUlT_T0_SG_SL_E_clIS9_SA_SB_SB_EEDaSZ_S10_SG_SL_EUlSZ_E_NS1_11comp_targetILNS1_3genE4ELNS1_11target_archE910ELNS1_3gpuE8ELNS1_3repE0EEENS1_47radix_sort_onesweep_sort_config_static_selectorELNS0_4arch9wavefront6targetE0EEEvSG_.num_agpr, 0
	.set _ZN7rocprim17ROCPRIM_400000_NS6detail17trampoline_kernelINS0_14default_configENS1_35radix_sort_onesweep_config_selectorIsNS0_10empty_typeEEEZZNS1_29radix_sort_onesweep_iterationIS3_Lb0EPKsPsPS5_SB_mNS0_19identity_decomposerENS1_16block_id_wrapperIjLb1EEEEE10hipError_tT1_PNSt15iterator_traitsISG_E10value_typeET2_T3_PNSH_ISM_E10value_typeET4_T5_PSR_SS_PNS1_23onesweep_lookback_stateEbbT6_jjT7_P12ihipStream_tbENKUlT_T0_SG_SL_E_clIS9_SA_SB_SB_EEDaSZ_S10_SG_SL_EUlSZ_E_NS1_11comp_targetILNS1_3genE4ELNS1_11target_archE910ELNS1_3gpuE8ELNS1_3repE0EEENS1_47radix_sort_onesweep_sort_config_static_selectorELNS0_4arch9wavefront6targetE0EEEvSG_.numbered_sgpr, 0
	.set _ZN7rocprim17ROCPRIM_400000_NS6detail17trampoline_kernelINS0_14default_configENS1_35radix_sort_onesweep_config_selectorIsNS0_10empty_typeEEEZZNS1_29radix_sort_onesweep_iterationIS3_Lb0EPKsPsPS5_SB_mNS0_19identity_decomposerENS1_16block_id_wrapperIjLb1EEEEE10hipError_tT1_PNSt15iterator_traitsISG_E10value_typeET2_T3_PNSH_ISM_E10value_typeET4_T5_PSR_SS_PNS1_23onesweep_lookback_stateEbbT6_jjT7_P12ihipStream_tbENKUlT_T0_SG_SL_E_clIS9_SA_SB_SB_EEDaSZ_S10_SG_SL_EUlSZ_E_NS1_11comp_targetILNS1_3genE4ELNS1_11target_archE910ELNS1_3gpuE8ELNS1_3repE0EEENS1_47radix_sort_onesweep_sort_config_static_selectorELNS0_4arch9wavefront6targetE0EEEvSG_.num_named_barrier, 0
	.set _ZN7rocprim17ROCPRIM_400000_NS6detail17trampoline_kernelINS0_14default_configENS1_35radix_sort_onesweep_config_selectorIsNS0_10empty_typeEEEZZNS1_29radix_sort_onesweep_iterationIS3_Lb0EPKsPsPS5_SB_mNS0_19identity_decomposerENS1_16block_id_wrapperIjLb1EEEEE10hipError_tT1_PNSt15iterator_traitsISG_E10value_typeET2_T3_PNSH_ISM_E10value_typeET4_T5_PSR_SS_PNS1_23onesweep_lookback_stateEbbT6_jjT7_P12ihipStream_tbENKUlT_T0_SG_SL_E_clIS9_SA_SB_SB_EEDaSZ_S10_SG_SL_EUlSZ_E_NS1_11comp_targetILNS1_3genE4ELNS1_11target_archE910ELNS1_3gpuE8ELNS1_3repE0EEENS1_47radix_sort_onesweep_sort_config_static_selectorELNS0_4arch9wavefront6targetE0EEEvSG_.private_seg_size, 0
	.set _ZN7rocprim17ROCPRIM_400000_NS6detail17trampoline_kernelINS0_14default_configENS1_35radix_sort_onesweep_config_selectorIsNS0_10empty_typeEEEZZNS1_29radix_sort_onesweep_iterationIS3_Lb0EPKsPsPS5_SB_mNS0_19identity_decomposerENS1_16block_id_wrapperIjLb1EEEEE10hipError_tT1_PNSt15iterator_traitsISG_E10value_typeET2_T3_PNSH_ISM_E10value_typeET4_T5_PSR_SS_PNS1_23onesweep_lookback_stateEbbT6_jjT7_P12ihipStream_tbENKUlT_T0_SG_SL_E_clIS9_SA_SB_SB_EEDaSZ_S10_SG_SL_EUlSZ_E_NS1_11comp_targetILNS1_3genE4ELNS1_11target_archE910ELNS1_3gpuE8ELNS1_3repE0EEENS1_47radix_sort_onesweep_sort_config_static_selectorELNS0_4arch9wavefront6targetE0EEEvSG_.uses_vcc, 0
	.set _ZN7rocprim17ROCPRIM_400000_NS6detail17trampoline_kernelINS0_14default_configENS1_35radix_sort_onesweep_config_selectorIsNS0_10empty_typeEEEZZNS1_29radix_sort_onesweep_iterationIS3_Lb0EPKsPsPS5_SB_mNS0_19identity_decomposerENS1_16block_id_wrapperIjLb1EEEEE10hipError_tT1_PNSt15iterator_traitsISG_E10value_typeET2_T3_PNSH_ISM_E10value_typeET4_T5_PSR_SS_PNS1_23onesweep_lookback_stateEbbT6_jjT7_P12ihipStream_tbENKUlT_T0_SG_SL_E_clIS9_SA_SB_SB_EEDaSZ_S10_SG_SL_EUlSZ_E_NS1_11comp_targetILNS1_3genE4ELNS1_11target_archE910ELNS1_3gpuE8ELNS1_3repE0EEENS1_47radix_sort_onesweep_sort_config_static_selectorELNS0_4arch9wavefront6targetE0EEEvSG_.uses_flat_scratch, 0
	.set _ZN7rocprim17ROCPRIM_400000_NS6detail17trampoline_kernelINS0_14default_configENS1_35radix_sort_onesweep_config_selectorIsNS0_10empty_typeEEEZZNS1_29radix_sort_onesweep_iterationIS3_Lb0EPKsPsPS5_SB_mNS0_19identity_decomposerENS1_16block_id_wrapperIjLb1EEEEE10hipError_tT1_PNSt15iterator_traitsISG_E10value_typeET2_T3_PNSH_ISM_E10value_typeET4_T5_PSR_SS_PNS1_23onesweep_lookback_stateEbbT6_jjT7_P12ihipStream_tbENKUlT_T0_SG_SL_E_clIS9_SA_SB_SB_EEDaSZ_S10_SG_SL_EUlSZ_E_NS1_11comp_targetILNS1_3genE4ELNS1_11target_archE910ELNS1_3gpuE8ELNS1_3repE0EEENS1_47radix_sort_onesweep_sort_config_static_selectorELNS0_4arch9wavefront6targetE0EEEvSG_.has_dyn_sized_stack, 0
	.set _ZN7rocprim17ROCPRIM_400000_NS6detail17trampoline_kernelINS0_14default_configENS1_35radix_sort_onesweep_config_selectorIsNS0_10empty_typeEEEZZNS1_29radix_sort_onesweep_iterationIS3_Lb0EPKsPsPS5_SB_mNS0_19identity_decomposerENS1_16block_id_wrapperIjLb1EEEEE10hipError_tT1_PNSt15iterator_traitsISG_E10value_typeET2_T3_PNSH_ISM_E10value_typeET4_T5_PSR_SS_PNS1_23onesweep_lookback_stateEbbT6_jjT7_P12ihipStream_tbENKUlT_T0_SG_SL_E_clIS9_SA_SB_SB_EEDaSZ_S10_SG_SL_EUlSZ_E_NS1_11comp_targetILNS1_3genE4ELNS1_11target_archE910ELNS1_3gpuE8ELNS1_3repE0EEENS1_47radix_sort_onesweep_sort_config_static_selectorELNS0_4arch9wavefront6targetE0EEEvSG_.has_recursion, 0
	.set _ZN7rocprim17ROCPRIM_400000_NS6detail17trampoline_kernelINS0_14default_configENS1_35radix_sort_onesweep_config_selectorIsNS0_10empty_typeEEEZZNS1_29radix_sort_onesweep_iterationIS3_Lb0EPKsPsPS5_SB_mNS0_19identity_decomposerENS1_16block_id_wrapperIjLb1EEEEE10hipError_tT1_PNSt15iterator_traitsISG_E10value_typeET2_T3_PNSH_ISM_E10value_typeET4_T5_PSR_SS_PNS1_23onesweep_lookback_stateEbbT6_jjT7_P12ihipStream_tbENKUlT_T0_SG_SL_E_clIS9_SA_SB_SB_EEDaSZ_S10_SG_SL_EUlSZ_E_NS1_11comp_targetILNS1_3genE4ELNS1_11target_archE910ELNS1_3gpuE8ELNS1_3repE0EEENS1_47radix_sort_onesweep_sort_config_static_selectorELNS0_4arch9wavefront6targetE0EEEvSG_.has_indirect_call, 0
	.section	.AMDGPU.csdata,"",@progbits
; Kernel info:
; codeLenInByte = 0
; TotalNumSgprs: 0
; NumVgprs: 0
; ScratchSize: 0
; MemoryBound: 0
; FloatMode: 240
; IeeeMode: 1
; LDSByteSize: 0 bytes/workgroup (compile time only)
; SGPRBlocks: 0
; VGPRBlocks: 0
; NumSGPRsForWavesPerEU: 1
; NumVGPRsForWavesPerEU: 1
; NamedBarCnt: 0
; Occupancy: 16
; WaveLimiterHint : 0
; COMPUTE_PGM_RSRC2:SCRATCH_EN: 0
; COMPUTE_PGM_RSRC2:USER_SGPR: 2
; COMPUTE_PGM_RSRC2:TRAP_HANDLER: 0
; COMPUTE_PGM_RSRC2:TGID_X_EN: 1
; COMPUTE_PGM_RSRC2:TGID_Y_EN: 0
; COMPUTE_PGM_RSRC2:TGID_Z_EN: 0
; COMPUTE_PGM_RSRC2:TIDIG_COMP_CNT: 0
	.section	.text._ZN7rocprim17ROCPRIM_400000_NS6detail17trampoline_kernelINS0_14default_configENS1_35radix_sort_onesweep_config_selectorIsNS0_10empty_typeEEEZZNS1_29radix_sort_onesweep_iterationIS3_Lb0EPKsPsPS5_SB_mNS0_19identity_decomposerENS1_16block_id_wrapperIjLb1EEEEE10hipError_tT1_PNSt15iterator_traitsISG_E10value_typeET2_T3_PNSH_ISM_E10value_typeET4_T5_PSR_SS_PNS1_23onesweep_lookback_stateEbbT6_jjT7_P12ihipStream_tbENKUlT_T0_SG_SL_E_clIS9_SA_SB_SB_EEDaSZ_S10_SG_SL_EUlSZ_E_NS1_11comp_targetILNS1_3genE3ELNS1_11target_archE908ELNS1_3gpuE7ELNS1_3repE0EEENS1_47radix_sort_onesweep_sort_config_static_selectorELNS0_4arch9wavefront6targetE0EEEvSG_,"axG",@progbits,_ZN7rocprim17ROCPRIM_400000_NS6detail17trampoline_kernelINS0_14default_configENS1_35radix_sort_onesweep_config_selectorIsNS0_10empty_typeEEEZZNS1_29radix_sort_onesweep_iterationIS3_Lb0EPKsPsPS5_SB_mNS0_19identity_decomposerENS1_16block_id_wrapperIjLb1EEEEE10hipError_tT1_PNSt15iterator_traitsISG_E10value_typeET2_T3_PNSH_ISM_E10value_typeET4_T5_PSR_SS_PNS1_23onesweep_lookback_stateEbbT6_jjT7_P12ihipStream_tbENKUlT_T0_SG_SL_E_clIS9_SA_SB_SB_EEDaSZ_S10_SG_SL_EUlSZ_E_NS1_11comp_targetILNS1_3genE3ELNS1_11target_archE908ELNS1_3gpuE7ELNS1_3repE0EEENS1_47radix_sort_onesweep_sort_config_static_selectorELNS0_4arch9wavefront6targetE0EEEvSG_,comdat
	.protected	_ZN7rocprim17ROCPRIM_400000_NS6detail17trampoline_kernelINS0_14default_configENS1_35radix_sort_onesweep_config_selectorIsNS0_10empty_typeEEEZZNS1_29radix_sort_onesweep_iterationIS3_Lb0EPKsPsPS5_SB_mNS0_19identity_decomposerENS1_16block_id_wrapperIjLb1EEEEE10hipError_tT1_PNSt15iterator_traitsISG_E10value_typeET2_T3_PNSH_ISM_E10value_typeET4_T5_PSR_SS_PNS1_23onesweep_lookback_stateEbbT6_jjT7_P12ihipStream_tbENKUlT_T0_SG_SL_E_clIS9_SA_SB_SB_EEDaSZ_S10_SG_SL_EUlSZ_E_NS1_11comp_targetILNS1_3genE3ELNS1_11target_archE908ELNS1_3gpuE7ELNS1_3repE0EEENS1_47radix_sort_onesweep_sort_config_static_selectorELNS0_4arch9wavefront6targetE0EEEvSG_ ; -- Begin function _ZN7rocprim17ROCPRIM_400000_NS6detail17trampoline_kernelINS0_14default_configENS1_35radix_sort_onesweep_config_selectorIsNS0_10empty_typeEEEZZNS1_29radix_sort_onesweep_iterationIS3_Lb0EPKsPsPS5_SB_mNS0_19identity_decomposerENS1_16block_id_wrapperIjLb1EEEEE10hipError_tT1_PNSt15iterator_traitsISG_E10value_typeET2_T3_PNSH_ISM_E10value_typeET4_T5_PSR_SS_PNS1_23onesweep_lookback_stateEbbT6_jjT7_P12ihipStream_tbENKUlT_T0_SG_SL_E_clIS9_SA_SB_SB_EEDaSZ_S10_SG_SL_EUlSZ_E_NS1_11comp_targetILNS1_3genE3ELNS1_11target_archE908ELNS1_3gpuE7ELNS1_3repE0EEENS1_47radix_sort_onesweep_sort_config_static_selectorELNS0_4arch9wavefront6targetE0EEEvSG_
	.globl	_ZN7rocprim17ROCPRIM_400000_NS6detail17trampoline_kernelINS0_14default_configENS1_35radix_sort_onesweep_config_selectorIsNS0_10empty_typeEEEZZNS1_29radix_sort_onesweep_iterationIS3_Lb0EPKsPsPS5_SB_mNS0_19identity_decomposerENS1_16block_id_wrapperIjLb1EEEEE10hipError_tT1_PNSt15iterator_traitsISG_E10value_typeET2_T3_PNSH_ISM_E10value_typeET4_T5_PSR_SS_PNS1_23onesweep_lookback_stateEbbT6_jjT7_P12ihipStream_tbENKUlT_T0_SG_SL_E_clIS9_SA_SB_SB_EEDaSZ_S10_SG_SL_EUlSZ_E_NS1_11comp_targetILNS1_3genE3ELNS1_11target_archE908ELNS1_3gpuE7ELNS1_3repE0EEENS1_47radix_sort_onesweep_sort_config_static_selectorELNS0_4arch9wavefront6targetE0EEEvSG_
	.p2align	8
	.type	_ZN7rocprim17ROCPRIM_400000_NS6detail17trampoline_kernelINS0_14default_configENS1_35radix_sort_onesweep_config_selectorIsNS0_10empty_typeEEEZZNS1_29radix_sort_onesweep_iterationIS3_Lb0EPKsPsPS5_SB_mNS0_19identity_decomposerENS1_16block_id_wrapperIjLb1EEEEE10hipError_tT1_PNSt15iterator_traitsISG_E10value_typeET2_T3_PNSH_ISM_E10value_typeET4_T5_PSR_SS_PNS1_23onesweep_lookback_stateEbbT6_jjT7_P12ihipStream_tbENKUlT_T0_SG_SL_E_clIS9_SA_SB_SB_EEDaSZ_S10_SG_SL_EUlSZ_E_NS1_11comp_targetILNS1_3genE3ELNS1_11target_archE908ELNS1_3gpuE7ELNS1_3repE0EEENS1_47radix_sort_onesweep_sort_config_static_selectorELNS0_4arch9wavefront6targetE0EEEvSG_,@function
_ZN7rocprim17ROCPRIM_400000_NS6detail17trampoline_kernelINS0_14default_configENS1_35radix_sort_onesweep_config_selectorIsNS0_10empty_typeEEEZZNS1_29radix_sort_onesweep_iterationIS3_Lb0EPKsPsPS5_SB_mNS0_19identity_decomposerENS1_16block_id_wrapperIjLb1EEEEE10hipError_tT1_PNSt15iterator_traitsISG_E10value_typeET2_T3_PNSH_ISM_E10value_typeET4_T5_PSR_SS_PNS1_23onesweep_lookback_stateEbbT6_jjT7_P12ihipStream_tbENKUlT_T0_SG_SL_E_clIS9_SA_SB_SB_EEDaSZ_S10_SG_SL_EUlSZ_E_NS1_11comp_targetILNS1_3genE3ELNS1_11target_archE908ELNS1_3gpuE7ELNS1_3repE0EEENS1_47radix_sort_onesweep_sort_config_static_selectorELNS0_4arch9wavefront6targetE0EEEvSG_: ; @_ZN7rocprim17ROCPRIM_400000_NS6detail17trampoline_kernelINS0_14default_configENS1_35radix_sort_onesweep_config_selectorIsNS0_10empty_typeEEEZZNS1_29radix_sort_onesweep_iterationIS3_Lb0EPKsPsPS5_SB_mNS0_19identity_decomposerENS1_16block_id_wrapperIjLb1EEEEE10hipError_tT1_PNSt15iterator_traitsISG_E10value_typeET2_T3_PNSH_ISM_E10value_typeET4_T5_PSR_SS_PNS1_23onesweep_lookback_stateEbbT6_jjT7_P12ihipStream_tbENKUlT_T0_SG_SL_E_clIS9_SA_SB_SB_EEDaSZ_S10_SG_SL_EUlSZ_E_NS1_11comp_targetILNS1_3genE3ELNS1_11target_archE908ELNS1_3gpuE7ELNS1_3repE0EEENS1_47radix_sort_onesweep_sort_config_static_selectorELNS0_4arch9wavefront6targetE0EEEvSG_
; %bb.0:
	.section	.rodata,"a",@progbits
	.p2align	6, 0x0
	.amdhsa_kernel _ZN7rocprim17ROCPRIM_400000_NS6detail17trampoline_kernelINS0_14default_configENS1_35radix_sort_onesweep_config_selectorIsNS0_10empty_typeEEEZZNS1_29radix_sort_onesweep_iterationIS3_Lb0EPKsPsPS5_SB_mNS0_19identity_decomposerENS1_16block_id_wrapperIjLb1EEEEE10hipError_tT1_PNSt15iterator_traitsISG_E10value_typeET2_T3_PNSH_ISM_E10value_typeET4_T5_PSR_SS_PNS1_23onesweep_lookback_stateEbbT6_jjT7_P12ihipStream_tbENKUlT_T0_SG_SL_E_clIS9_SA_SB_SB_EEDaSZ_S10_SG_SL_EUlSZ_E_NS1_11comp_targetILNS1_3genE3ELNS1_11target_archE908ELNS1_3gpuE7ELNS1_3repE0EEENS1_47radix_sort_onesweep_sort_config_static_selectorELNS0_4arch9wavefront6targetE0EEEvSG_
		.amdhsa_group_segment_fixed_size 0
		.amdhsa_private_segment_fixed_size 0
		.amdhsa_kernarg_size 88
		.amdhsa_user_sgpr_count 2
		.amdhsa_user_sgpr_dispatch_ptr 0
		.amdhsa_user_sgpr_queue_ptr 0
		.amdhsa_user_sgpr_kernarg_segment_ptr 1
		.amdhsa_user_sgpr_dispatch_id 0
		.amdhsa_user_sgpr_kernarg_preload_length 0
		.amdhsa_user_sgpr_kernarg_preload_offset 0
		.amdhsa_user_sgpr_private_segment_size 0
		.amdhsa_wavefront_size32 1
		.amdhsa_uses_dynamic_stack 0
		.amdhsa_enable_private_segment 0
		.amdhsa_system_sgpr_workgroup_id_x 1
		.amdhsa_system_sgpr_workgroup_id_y 0
		.amdhsa_system_sgpr_workgroup_id_z 0
		.amdhsa_system_sgpr_workgroup_info 0
		.amdhsa_system_vgpr_workitem_id 0
		.amdhsa_next_free_vgpr 1
		.amdhsa_next_free_sgpr 1
		.amdhsa_named_barrier_count 0
		.amdhsa_reserve_vcc 0
		.amdhsa_float_round_mode_32 0
		.amdhsa_float_round_mode_16_64 0
		.amdhsa_float_denorm_mode_32 3
		.amdhsa_float_denorm_mode_16_64 3
		.amdhsa_fp16_overflow 0
		.amdhsa_memory_ordered 1
		.amdhsa_forward_progress 1
		.amdhsa_inst_pref_size 0
		.amdhsa_round_robin_scheduling 0
		.amdhsa_exception_fp_ieee_invalid_op 0
		.amdhsa_exception_fp_denorm_src 0
		.amdhsa_exception_fp_ieee_div_zero 0
		.amdhsa_exception_fp_ieee_overflow 0
		.amdhsa_exception_fp_ieee_underflow 0
		.amdhsa_exception_fp_ieee_inexact 0
		.amdhsa_exception_int_div_zero 0
	.end_amdhsa_kernel
	.section	.text._ZN7rocprim17ROCPRIM_400000_NS6detail17trampoline_kernelINS0_14default_configENS1_35radix_sort_onesweep_config_selectorIsNS0_10empty_typeEEEZZNS1_29radix_sort_onesweep_iterationIS3_Lb0EPKsPsPS5_SB_mNS0_19identity_decomposerENS1_16block_id_wrapperIjLb1EEEEE10hipError_tT1_PNSt15iterator_traitsISG_E10value_typeET2_T3_PNSH_ISM_E10value_typeET4_T5_PSR_SS_PNS1_23onesweep_lookback_stateEbbT6_jjT7_P12ihipStream_tbENKUlT_T0_SG_SL_E_clIS9_SA_SB_SB_EEDaSZ_S10_SG_SL_EUlSZ_E_NS1_11comp_targetILNS1_3genE3ELNS1_11target_archE908ELNS1_3gpuE7ELNS1_3repE0EEENS1_47radix_sort_onesweep_sort_config_static_selectorELNS0_4arch9wavefront6targetE0EEEvSG_,"axG",@progbits,_ZN7rocprim17ROCPRIM_400000_NS6detail17trampoline_kernelINS0_14default_configENS1_35radix_sort_onesweep_config_selectorIsNS0_10empty_typeEEEZZNS1_29radix_sort_onesweep_iterationIS3_Lb0EPKsPsPS5_SB_mNS0_19identity_decomposerENS1_16block_id_wrapperIjLb1EEEEE10hipError_tT1_PNSt15iterator_traitsISG_E10value_typeET2_T3_PNSH_ISM_E10value_typeET4_T5_PSR_SS_PNS1_23onesweep_lookback_stateEbbT6_jjT7_P12ihipStream_tbENKUlT_T0_SG_SL_E_clIS9_SA_SB_SB_EEDaSZ_S10_SG_SL_EUlSZ_E_NS1_11comp_targetILNS1_3genE3ELNS1_11target_archE908ELNS1_3gpuE7ELNS1_3repE0EEENS1_47radix_sort_onesweep_sort_config_static_selectorELNS0_4arch9wavefront6targetE0EEEvSG_,comdat
.Lfunc_end718:
	.size	_ZN7rocprim17ROCPRIM_400000_NS6detail17trampoline_kernelINS0_14default_configENS1_35radix_sort_onesweep_config_selectorIsNS0_10empty_typeEEEZZNS1_29radix_sort_onesweep_iterationIS3_Lb0EPKsPsPS5_SB_mNS0_19identity_decomposerENS1_16block_id_wrapperIjLb1EEEEE10hipError_tT1_PNSt15iterator_traitsISG_E10value_typeET2_T3_PNSH_ISM_E10value_typeET4_T5_PSR_SS_PNS1_23onesweep_lookback_stateEbbT6_jjT7_P12ihipStream_tbENKUlT_T0_SG_SL_E_clIS9_SA_SB_SB_EEDaSZ_S10_SG_SL_EUlSZ_E_NS1_11comp_targetILNS1_3genE3ELNS1_11target_archE908ELNS1_3gpuE7ELNS1_3repE0EEENS1_47radix_sort_onesweep_sort_config_static_selectorELNS0_4arch9wavefront6targetE0EEEvSG_, .Lfunc_end718-_ZN7rocprim17ROCPRIM_400000_NS6detail17trampoline_kernelINS0_14default_configENS1_35radix_sort_onesweep_config_selectorIsNS0_10empty_typeEEEZZNS1_29radix_sort_onesweep_iterationIS3_Lb0EPKsPsPS5_SB_mNS0_19identity_decomposerENS1_16block_id_wrapperIjLb1EEEEE10hipError_tT1_PNSt15iterator_traitsISG_E10value_typeET2_T3_PNSH_ISM_E10value_typeET4_T5_PSR_SS_PNS1_23onesweep_lookback_stateEbbT6_jjT7_P12ihipStream_tbENKUlT_T0_SG_SL_E_clIS9_SA_SB_SB_EEDaSZ_S10_SG_SL_EUlSZ_E_NS1_11comp_targetILNS1_3genE3ELNS1_11target_archE908ELNS1_3gpuE7ELNS1_3repE0EEENS1_47radix_sort_onesweep_sort_config_static_selectorELNS0_4arch9wavefront6targetE0EEEvSG_
                                        ; -- End function
	.set _ZN7rocprim17ROCPRIM_400000_NS6detail17trampoline_kernelINS0_14default_configENS1_35radix_sort_onesweep_config_selectorIsNS0_10empty_typeEEEZZNS1_29radix_sort_onesweep_iterationIS3_Lb0EPKsPsPS5_SB_mNS0_19identity_decomposerENS1_16block_id_wrapperIjLb1EEEEE10hipError_tT1_PNSt15iterator_traitsISG_E10value_typeET2_T3_PNSH_ISM_E10value_typeET4_T5_PSR_SS_PNS1_23onesweep_lookback_stateEbbT6_jjT7_P12ihipStream_tbENKUlT_T0_SG_SL_E_clIS9_SA_SB_SB_EEDaSZ_S10_SG_SL_EUlSZ_E_NS1_11comp_targetILNS1_3genE3ELNS1_11target_archE908ELNS1_3gpuE7ELNS1_3repE0EEENS1_47radix_sort_onesweep_sort_config_static_selectorELNS0_4arch9wavefront6targetE0EEEvSG_.num_vgpr, 0
	.set _ZN7rocprim17ROCPRIM_400000_NS6detail17trampoline_kernelINS0_14default_configENS1_35radix_sort_onesweep_config_selectorIsNS0_10empty_typeEEEZZNS1_29radix_sort_onesweep_iterationIS3_Lb0EPKsPsPS5_SB_mNS0_19identity_decomposerENS1_16block_id_wrapperIjLb1EEEEE10hipError_tT1_PNSt15iterator_traitsISG_E10value_typeET2_T3_PNSH_ISM_E10value_typeET4_T5_PSR_SS_PNS1_23onesweep_lookback_stateEbbT6_jjT7_P12ihipStream_tbENKUlT_T0_SG_SL_E_clIS9_SA_SB_SB_EEDaSZ_S10_SG_SL_EUlSZ_E_NS1_11comp_targetILNS1_3genE3ELNS1_11target_archE908ELNS1_3gpuE7ELNS1_3repE0EEENS1_47radix_sort_onesweep_sort_config_static_selectorELNS0_4arch9wavefront6targetE0EEEvSG_.num_agpr, 0
	.set _ZN7rocprim17ROCPRIM_400000_NS6detail17trampoline_kernelINS0_14default_configENS1_35radix_sort_onesweep_config_selectorIsNS0_10empty_typeEEEZZNS1_29radix_sort_onesweep_iterationIS3_Lb0EPKsPsPS5_SB_mNS0_19identity_decomposerENS1_16block_id_wrapperIjLb1EEEEE10hipError_tT1_PNSt15iterator_traitsISG_E10value_typeET2_T3_PNSH_ISM_E10value_typeET4_T5_PSR_SS_PNS1_23onesweep_lookback_stateEbbT6_jjT7_P12ihipStream_tbENKUlT_T0_SG_SL_E_clIS9_SA_SB_SB_EEDaSZ_S10_SG_SL_EUlSZ_E_NS1_11comp_targetILNS1_3genE3ELNS1_11target_archE908ELNS1_3gpuE7ELNS1_3repE0EEENS1_47radix_sort_onesweep_sort_config_static_selectorELNS0_4arch9wavefront6targetE0EEEvSG_.numbered_sgpr, 0
	.set _ZN7rocprim17ROCPRIM_400000_NS6detail17trampoline_kernelINS0_14default_configENS1_35radix_sort_onesweep_config_selectorIsNS0_10empty_typeEEEZZNS1_29radix_sort_onesweep_iterationIS3_Lb0EPKsPsPS5_SB_mNS0_19identity_decomposerENS1_16block_id_wrapperIjLb1EEEEE10hipError_tT1_PNSt15iterator_traitsISG_E10value_typeET2_T3_PNSH_ISM_E10value_typeET4_T5_PSR_SS_PNS1_23onesweep_lookback_stateEbbT6_jjT7_P12ihipStream_tbENKUlT_T0_SG_SL_E_clIS9_SA_SB_SB_EEDaSZ_S10_SG_SL_EUlSZ_E_NS1_11comp_targetILNS1_3genE3ELNS1_11target_archE908ELNS1_3gpuE7ELNS1_3repE0EEENS1_47radix_sort_onesweep_sort_config_static_selectorELNS0_4arch9wavefront6targetE0EEEvSG_.num_named_barrier, 0
	.set _ZN7rocprim17ROCPRIM_400000_NS6detail17trampoline_kernelINS0_14default_configENS1_35radix_sort_onesweep_config_selectorIsNS0_10empty_typeEEEZZNS1_29radix_sort_onesweep_iterationIS3_Lb0EPKsPsPS5_SB_mNS0_19identity_decomposerENS1_16block_id_wrapperIjLb1EEEEE10hipError_tT1_PNSt15iterator_traitsISG_E10value_typeET2_T3_PNSH_ISM_E10value_typeET4_T5_PSR_SS_PNS1_23onesweep_lookback_stateEbbT6_jjT7_P12ihipStream_tbENKUlT_T0_SG_SL_E_clIS9_SA_SB_SB_EEDaSZ_S10_SG_SL_EUlSZ_E_NS1_11comp_targetILNS1_3genE3ELNS1_11target_archE908ELNS1_3gpuE7ELNS1_3repE0EEENS1_47radix_sort_onesweep_sort_config_static_selectorELNS0_4arch9wavefront6targetE0EEEvSG_.private_seg_size, 0
	.set _ZN7rocprim17ROCPRIM_400000_NS6detail17trampoline_kernelINS0_14default_configENS1_35radix_sort_onesweep_config_selectorIsNS0_10empty_typeEEEZZNS1_29radix_sort_onesweep_iterationIS3_Lb0EPKsPsPS5_SB_mNS0_19identity_decomposerENS1_16block_id_wrapperIjLb1EEEEE10hipError_tT1_PNSt15iterator_traitsISG_E10value_typeET2_T3_PNSH_ISM_E10value_typeET4_T5_PSR_SS_PNS1_23onesweep_lookback_stateEbbT6_jjT7_P12ihipStream_tbENKUlT_T0_SG_SL_E_clIS9_SA_SB_SB_EEDaSZ_S10_SG_SL_EUlSZ_E_NS1_11comp_targetILNS1_3genE3ELNS1_11target_archE908ELNS1_3gpuE7ELNS1_3repE0EEENS1_47radix_sort_onesweep_sort_config_static_selectorELNS0_4arch9wavefront6targetE0EEEvSG_.uses_vcc, 0
	.set _ZN7rocprim17ROCPRIM_400000_NS6detail17trampoline_kernelINS0_14default_configENS1_35radix_sort_onesweep_config_selectorIsNS0_10empty_typeEEEZZNS1_29radix_sort_onesweep_iterationIS3_Lb0EPKsPsPS5_SB_mNS0_19identity_decomposerENS1_16block_id_wrapperIjLb1EEEEE10hipError_tT1_PNSt15iterator_traitsISG_E10value_typeET2_T3_PNSH_ISM_E10value_typeET4_T5_PSR_SS_PNS1_23onesweep_lookback_stateEbbT6_jjT7_P12ihipStream_tbENKUlT_T0_SG_SL_E_clIS9_SA_SB_SB_EEDaSZ_S10_SG_SL_EUlSZ_E_NS1_11comp_targetILNS1_3genE3ELNS1_11target_archE908ELNS1_3gpuE7ELNS1_3repE0EEENS1_47radix_sort_onesweep_sort_config_static_selectorELNS0_4arch9wavefront6targetE0EEEvSG_.uses_flat_scratch, 0
	.set _ZN7rocprim17ROCPRIM_400000_NS6detail17trampoline_kernelINS0_14default_configENS1_35radix_sort_onesweep_config_selectorIsNS0_10empty_typeEEEZZNS1_29radix_sort_onesweep_iterationIS3_Lb0EPKsPsPS5_SB_mNS0_19identity_decomposerENS1_16block_id_wrapperIjLb1EEEEE10hipError_tT1_PNSt15iterator_traitsISG_E10value_typeET2_T3_PNSH_ISM_E10value_typeET4_T5_PSR_SS_PNS1_23onesweep_lookback_stateEbbT6_jjT7_P12ihipStream_tbENKUlT_T0_SG_SL_E_clIS9_SA_SB_SB_EEDaSZ_S10_SG_SL_EUlSZ_E_NS1_11comp_targetILNS1_3genE3ELNS1_11target_archE908ELNS1_3gpuE7ELNS1_3repE0EEENS1_47radix_sort_onesweep_sort_config_static_selectorELNS0_4arch9wavefront6targetE0EEEvSG_.has_dyn_sized_stack, 0
	.set _ZN7rocprim17ROCPRIM_400000_NS6detail17trampoline_kernelINS0_14default_configENS1_35radix_sort_onesweep_config_selectorIsNS0_10empty_typeEEEZZNS1_29radix_sort_onesweep_iterationIS3_Lb0EPKsPsPS5_SB_mNS0_19identity_decomposerENS1_16block_id_wrapperIjLb1EEEEE10hipError_tT1_PNSt15iterator_traitsISG_E10value_typeET2_T3_PNSH_ISM_E10value_typeET4_T5_PSR_SS_PNS1_23onesweep_lookback_stateEbbT6_jjT7_P12ihipStream_tbENKUlT_T0_SG_SL_E_clIS9_SA_SB_SB_EEDaSZ_S10_SG_SL_EUlSZ_E_NS1_11comp_targetILNS1_3genE3ELNS1_11target_archE908ELNS1_3gpuE7ELNS1_3repE0EEENS1_47radix_sort_onesweep_sort_config_static_selectorELNS0_4arch9wavefront6targetE0EEEvSG_.has_recursion, 0
	.set _ZN7rocprim17ROCPRIM_400000_NS6detail17trampoline_kernelINS0_14default_configENS1_35radix_sort_onesweep_config_selectorIsNS0_10empty_typeEEEZZNS1_29radix_sort_onesweep_iterationIS3_Lb0EPKsPsPS5_SB_mNS0_19identity_decomposerENS1_16block_id_wrapperIjLb1EEEEE10hipError_tT1_PNSt15iterator_traitsISG_E10value_typeET2_T3_PNSH_ISM_E10value_typeET4_T5_PSR_SS_PNS1_23onesweep_lookback_stateEbbT6_jjT7_P12ihipStream_tbENKUlT_T0_SG_SL_E_clIS9_SA_SB_SB_EEDaSZ_S10_SG_SL_EUlSZ_E_NS1_11comp_targetILNS1_3genE3ELNS1_11target_archE908ELNS1_3gpuE7ELNS1_3repE0EEENS1_47radix_sort_onesweep_sort_config_static_selectorELNS0_4arch9wavefront6targetE0EEEvSG_.has_indirect_call, 0
	.section	.AMDGPU.csdata,"",@progbits
; Kernel info:
; codeLenInByte = 0
; TotalNumSgprs: 0
; NumVgprs: 0
; ScratchSize: 0
; MemoryBound: 0
; FloatMode: 240
; IeeeMode: 1
; LDSByteSize: 0 bytes/workgroup (compile time only)
; SGPRBlocks: 0
; VGPRBlocks: 0
; NumSGPRsForWavesPerEU: 1
; NumVGPRsForWavesPerEU: 1
; NamedBarCnt: 0
; Occupancy: 16
; WaveLimiterHint : 0
; COMPUTE_PGM_RSRC2:SCRATCH_EN: 0
; COMPUTE_PGM_RSRC2:USER_SGPR: 2
; COMPUTE_PGM_RSRC2:TRAP_HANDLER: 0
; COMPUTE_PGM_RSRC2:TGID_X_EN: 1
; COMPUTE_PGM_RSRC2:TGID_Y_EN: 0
; COMPUTE_PGM_RSRC2:TGID_Z_EN: 0
; COMPUTE_PGM_RSRC2:TIDIG_COMP_CNT: 0
	.section	.text._ZN7rocprim17ROCPRIM_400000_NS6detail17trampoline_kernelINS0_14default_configENS1_35radix_sort_onesweep_config_selectorIsNS0_10empty_typeEEEZZNS1_29radix_sort_onesweep_iterationIS3_Lb0EPKsPsPS5_SB_mNS0_19identity_decomposerENS1_16block_id_wrapperIjLb1EEEEE10hipError_tT1_PNSt15iterator_traitsISG_E10value_typeET2_T3_PNSH_ISM_E10value_typeET4_T5_PSR_SS_PNS1_23onesweep_lookback_stateEbbT6_jjT7_P12ihipStream_tbENKUlT_T0_SG_SL_E_clIS9_SA_SB_SB_EEDaSZ_S10_SG_SL_EUlSZ_E_NS1_11comp_targetILNS1_3genE10ELNS1_11target_archE1201ELNS1_3gpuE5ELNS1_3repE0EEENS1_47radix_sort_onesweep_sort_config_static_selectorELNS0_4arch9wavefront6targetE0EEEvSG_,"axG",@progbits,_ZN7rocprim17ROCPRIM_400000_NS6detail17trampoline_kernelINS0_14default_configENS1_35radix_sort_onesweep_config_selectorIsNS0_10empty_typeEEEZZNS1_29radix_sort_onesweep_iterationIS3_Lb0EPKsPsPS5_SB_mNS0_19identity_decomposerENS1_16block_id_wrapperIjLb1EEEEE10hipError_tT1_PNSt15iterator_traitsISG_E10value_typeET2_T3_PNSH_ISM_E10value_typeET4_T5_PSR_SS_PNS1_23onesweep_lookback_stateEbbT6_jjT7_P12ihipStream_tbENKUlT_T0_SG_SL_E_clIS9_SA_SB_SB_EEDaSZ_S10_SG_SL_EUlSZ_E_NS1_11comp_targetILNS1_3genE10ELNS1_11target_archE1201ELNS1_3gpuE5ELNS1_3repE0EEENS1_47radix_sort_onesweep_sort_config_static_selectorELNS0_4arch9wavefront6targetE0EEEvSG_,comdat
	.protected	_ZN7rocprim17ROCPRIM_400000_NS6detail17trampoline_kernelINS0_14default_configENS1_35radix_sort_onesweep_config_selectorIsNS0_10empty_typeEEEZZNS1_29radix_sort_onesweep_iterationIS3_Lb0EPKsPsPS5_SB_mNS0_19identity_decomposerENS1_16block_id_wrapperIjLb1EEEEE10hipError_tT1_PNSt15iterator_traitsISG_E10value_typeET2_T3_PNSH_ISM_E10value_typeET4_T5_PSR_SS_PNS1_23onesweep_lookback_stateEbbT6_jjT7_P12ihipStream_tbENKUlT_T0_SG_SL_E_clIS9_SA_SB_SB_EEDaSZ_S10_SG_SL_EUlSZ_E_NS1_11comp_targetILNS1_3genE10ELNS1_11target_archE1201ELNS1_3gpuE5ELNS1_3repE0EEENS1_47radix_sort_onesweep_sort_config_static_selectorELNS0_4arch9wavefront6targetE0EEEvSG_ ; -- Begin function _ZN7rocprim17ROCPRIM_400000_NS6detail17trampoline_kernelINS0_14default_configENS1_35radix_sort_onesweep_config_selectorIsNS0_10empty_typeEEEZZNS1_29radix_sort_onesweep_iterationIS3_Lb0EPKsPsPS5_SB_mNS0_19identity_decomposerENS1_16block_id_wrapperIjLb1EEEEE10hipError_tT1_PNSt15iterator_traitsISG_E10value_typeET2_T3_PNSH_ISM_E10value_typeET4_T5_PSR_SS_PNS1_23onesweep_lookback_stateEbbT6_jjT7_P12ihipStream_tbENKUlT_T0_SG_SL_E_clIS9_SA_SB_SB_EEDaSZ_S10_SG_SL_EUlSZ_E_NS1_11comp_targetILNS1_3genE10ELNS1_11target_archE1201ELNS1_3gpuE5ELNS1_3repE0EEENS1_47radix_sort_onesweep_sort_config_static_selectorELNS0_4arch9wavefront6targetE0EEEvSG_
	.globl	_ZN7rocprim17ROCPRIM_400000_NS6detail17trampoline_kernelINS0_14default_configENS1_35radix_sort_onesweep_config_selectorIsNS0_10empty_typeEEEZZNS1_29radix_sort_onesweep_iterationIS3_Lb0EPKsPsPS5_SB_mNS0_19identity_decomposerENS1_16block_id_wrapperIjLb1EEEEE10hipError_tT1_PNSt15iterator_traitsISG_E10value_typeET2_T3_PNSH_ISM_E10value_typeET4_T5_PSR_SS_PNS1_23onesweep_lookback_stateEbbT6_jjT7_P12ihipStream_tbENKUlT_T0_SG_SL_E_clIS9_SA_SB_SB_EEDaSZ_S10_SG_SL_EUlSZ_E_NS1_11comp_targetILNS1_3genE10ELNS1_11target_archE1201ELNS1_3gpuE5ELNS1_3repE0EEENS1_47radix_sort_onesweep_sort_config_static_selectorELNS0_4arch9wavefront6targetE0EEEvSG_
	.p2align	8
	.type	_ZN7rocprim17ROCPRIM_400000_NS6detail17trampoline_kernelINS0_14default_configENS1_35radix_sort_onesweep_config_selectorIsNS0_10empty_typeEEEZZNS1_29radix_sort_onesweep_iterationIS3_Lb0EPKsPsPS5_SB_mNS0_19identity_decomposerENS1_16block_id_wrapperIjLb1EEEEE10hipError_tT1_PNSt15iterator_traitsISG_E10value_typeET2_T3_PNSH_ISM_E10value_typeET4_T5_PSR_SS_PNS1_23onesweep_lookback_stateEbbT6_jjT7_P12ihipStream_tbENKUlT_T0_SG_SL_E_clIS9_SA_SB_SB_EEDaSZ_S10_SG_SL_EUlSZ_E_NS1_11comp_targetILNS1_3genE10ELNS1_11target_archE1201ELNS1_3gpuE5ELNS1_3repE0EEENS1_47radix_sort_onesweep_sort_config_static_selectorELNS0_4arch9wavefront6targetE0EEEvSG_,@function
_ZN7rocprim17ROCPRIM_400000_NS6detail17trampoline_kernelINS0_14default_configENS1_35radix_sort_onesweep_config_selectorIsNS0_10empty_typeEEEZZNS1_29radix_sort_onesweep_iterationIS3_Lb0EPKsPsPS5_SB_mNS0_19identity_decomposerENS1_16block_id_wrapperIjLb1EEEEE10hipError_tT1_PNSt15iterator_traitsISG_E10value_typeET2_T3_PNSH_ISM_E10value_typeET4_T5_PSR_SS_PNS1_23onesweep_lookback_stateEbbT6_jjT7_P12ihipStream_tbENKUlT_T0_SG_SL_E_clIS9_SA_SB_SB_EEDaSZ_S10_SG_SL_EUlSZ_E_NS1_11comp_targetILNS1_3genE10ELNS1_11target_archE1201ELNS1_3gpuE5ELNS1_3repE0EEENS1_47radix_sort_onesweep_sort_config_static_selectorELNS0_4arch9wavefront6targetE0EEEvSG_: ; @_ZN7rocprim17ROCPRIM_400000_NS6detail17trampoline_kernelINS0_14default_configENS1_35radix_sort_onesweep_config_selectorIsNS0_10empty_typeEEEZZNS1_29radix_sort_onesweep_iterationIS3_Lb0EPKsPsPS5_SB_mNS0_19identity_decomposerENS1_16block_id_wrapperIjLb1EEEEE10hipError_tT1_PNSt15iterator_traitsISG_E10value_typeET2_T3_PNSH_ISM_E10value_typeET4_T5_PSR_SS_PNS1_23onesweep_lookback_stateEbbT6_jjT7_P12ihipStream_tbENKUlT_T0_SG_SL_E_clIS9_SA_SB_SB_EEDaSZ_S10_SG_SL_EUlSZ_E_NS1_11comp_targetILNS1_3genE10ELNS1_11target_archE1201ELNS1_3gpuE5ELNS1_3repE0EEENS1_47radix_sort_onesweep_sort_config_static_selectorELNS0_4arch9wavefront6targetE0EEEvSG_
; %bb.0:
	.section	.rodata,"a",@progbits
	.p2align	6, 0x0
	.amdhsa_kernel _ZN7rocprim17ROCPRIM_400000_NS6detail17trampoline_kernelINS0_14default_configENS1_35radix_sort_onesweep_config_selectorIsNS0_10empty_typeEEEZZNS1_29radix_sort_onesweep_iterationIS3_Lb0EPKsPsPS5_SB_mNS0_19identity_decomposerENS1_16block_id_wrapperIjLb1EEEEE10hipError_tT1_PNSt15iterator_traitsISG_E10value_typeET2_T3_PNSH_ISM_E10value_typeET4_T5_PSR_SS_PNS1_23onesweep_lookback_stateEbbT6_jjT7_P12ihipStream_tbENKUlT_T0_SG_SL_E_clIS9_SA_SB_SB_EEDaSZ_S10_SG_SL_EUlSZ_E_NS1_11comp_targetILNS1_3genE10ELNS1_11target_archE1201ELNS1_3gpuE5ELNS1_3repE0EEENS1_47radix_sort_onesweep_sort_config_static_selectorELNS0_4arch9wavefront6targetE0EEEvSG_
		.amdhsa_group_segment_fixed_size 0
		.amdhsa_private_segment_fixed_size 0
		.amdhsa_kernarg_size 88
		.amdhsa_user_sgpr_count 2
		.amdhsa_user_sgpr_dispatch_ptr 0
		.amdhsa_user_sgpr_queue_ptr 0
		.amdhsa_user_sgpr_kernarg_segment_ptr 1
		.amdhsa_user_sgpr_dispatch_id 0
		.amdhsa_user_sgpr_kernarg_preload_length 0
		.amdhsa_user_sgpr_kernarg_preload_offset 0
		.amdhsa_user_sgpr_private_segment_size 0
		.amdhsa_wavefront_size32 1
		.amdhsa_uses_dynamic_stack 0
		.amdhsa_enable_private_segment 0
		.amdhsa_system_sgpr_workgroup_id_x 1
		.amdhsa_system_sgpr_workgroup_id_y 0
		.amdhsa_system_sgpr_workgroup_id_z 0
		.amdhsa_system_sgpr_workgroup_info 0
		.amdhsa_system_vgpr_workitem_id 0
		.amdhsa_next_free_vgpr 1
		.amdhsa_next_free_sgpr 1
		.amdhsa_named_barrier_count 0
		.amdhsa_reserve_vcc 0
		.amdhsa_float_round_mode_32 0
		.amdhsa_float_round_mode_16_64 0
		.amdhsa_float_denorm_mode_32 3
		.amdhsa_float_denorm_mode_16_64 3
		.amdhsa_fp16_overflow 0
		.amdhsa_memory_ordered 1
		.amdhsa_forward_progress 1
		.amdhsa_inst_pref_size 0
		.amdhsa_round_robin_scheduling 0
		.amdhsa_exception_fp_ieee_invalid_op 0
		.amdhsa_exception_fp_denorm_src 0
		.amdhsa_exception_fp_ieee_div_zero 0
		.amdhsa_exception_fp_ieee_overflow 0
		.amdhsa_exception_fp_ieee_underflow 0
		.amdhsa_exception_fp_ieee_inexact 0
		.amdhsa_exception_int_div_zero 0
	.end_amdhsa_kernel
	.section	.text._ZN7rocprim17ROCPRIM_400000_NS6detail17trampoline_kernelINS0_14default_configENS1_35radix_sort_onesweep_config_selectorIsNS0_10empty_typeEEEZZNS1_29radix_sort_onesweep_iterationIS3_Lb0EPKsPsPS5_SB_mNS0_19identity_decomposerENS1_16block_id_wrapperIjLb1EEEEE10hipError_tT1_PNSt15iterator_traitsISG_E10value_typeET2_T3_PNSH_ISM_E10value_typeET4_T5_PSR_SS_PNS1_23onesweep_lookback_stateEbbT6_jjT7_P12ihipStream_tbENKUlT_T0_SG_SL_E_clIS9_SA_SB_SB_EEDaSZ_S10_SG_SL_EUlSZ_E_NS1_11comp_targetILNS1_3genE10ELNS1_11target_archE1201ELNS1_3gpuE5ELNS1_3repE0EEENS1_47radix_sort_onesweep_sort_config_static_selectorELNS0_4arch9wavefront6targetE0EEEvSG_,"axG",@progbits,_ZN7rocprim17ROCPRIM_400000_NS6detail17trampoline_kernelINS0_14default_configENS1_35radix_sort_onesweep_config_selectorIsNS0_10empty_typeEEEZZNS1_29radix_sort_onesweep_iterationIS3_Lb0EPKsPsPS5_SB_mNS0_19identity_decomposerENS1_16block_id_wrapperIjLb1EEEEE10hipError_tT1_PNSt15iterator_traitsISG_E10value_typeET2_T3_PNSH_ISM_E10value_typeET4_T5_PSR_SS_PNS1_23onesweep_lookback_stateEbbT6_jjT7_P12ihipStream_tbENKUlT_T0_SG_SL_E_clIS9_SA_SB_SB_EEDaSZ_S10_SG_SL_EUlSZ_E_NS1_11comp_targetILNS1_3genE10ELNS1_11target_archE1201ELNS1_3gpuE5ELNS1_3repE0EEENS1_47radix_sort_onesweep_sort_config_static_selectorELNS0_4arch9wavefront6targetE0EEEvSG_,comdat
.Lfunc_end719:
	.size	_ZN7rocprim17ROCPRIM_400000_NS6detail17trampoline_kernelINS0_14default_configENS1_35radix_sort_onesweep_config_selectorIsNS0_10empty_typeEEEZZNS1_29radix_sort_onesweep_iterationIS3_Lb0EPKsPsPS5_SB_mNS0_19identity_decomposerENS1_16block_id_wrapperIjLb1EEEEE10hipError_tT1_PNSt15iterator_traitsISG_E10value_typeET2_T3_PNSH_ISM_E10value_typeET4_T5_PSR_SS_PNS1_23onesweep_lookback_stateEbbT6_jjT7_P12ihipStream_tbENKUlT_T0_SG_SL_E_clIS9_SA_SB_SB_EEDaSZ_S10_SG_SL_EUlSZ_E_NS1_11comp_targetILNS1_3genE10ELNS1_11target_archE1201ELNS1_3gpuE5ELNS1_3repE0EEENS1_47radix_sort_onesweep_sort_config_static_selectorELNS0_4arch9wavefront6targetE0EEEvSG_, .Lfunc_end719-_ZN7rocprim17ROCPRIM_400000_NS6detail17trampoline_kernelINS0_14default_configENS1_35radix_sort_onesweep_config_selectorIsNS0_10empty_typeEEEZZNS1_29radix_sort_onesweep_iterationIS3_Lb0EPKsPsPS5_SB_mNS0_19identity_decomposerENS1_16block_id_wrapperIjLb1EEEEE10hipError_tT1_PNSt15iterator_traitsISG_E10value_typeET2_T3_PNSH_ISM_E10value_typeET4_T5_PSR_SS_PNS1_23onesweep_lookback_stateEbbT6_jjT7_P12ihipStream_tbENKUlT_T0_SG_SL_E_clIS9_SA_SB_SB_EEDaSZ_S10_SG_SL_EUlSZ_E_NS1_11comp_targetILNS1_3genE10ELNS1_11target_archE1201ELNS1_3gpuE5ELNS1_3repE0EEENS1_47radix_sort_onesweep_sort_config_static_selectorELNS0_4arch9wavefront6targetE0EEEvSG_
                                        ; -- End function
	.set _ZN7rocprim17ROCPRIM_400000_NS6detail17trampoline_kernelINS0_14default_configENS1_35radix_sort_onesweep_config_selectorIsNS0_10empty_typeEEEZZNS1_29radix_sort_onesweep_iterationIS3_Lb0EPKsPsPS5_SB_mNS0_19identity_decomposerENS1_16block_id_wrapperIjLb1EEEEE10hipError_tT1_PNSt15iterator_traitsISG_E10value_typeET2_T3_PNSH_ISM_E10value_typeET4_T5_PSR_SS_PNS1_23onesweep_lookback_stateEbbT6_jjT7_P12ihipStream_tbENKUlT_T0_SG_SL_E_clIS9_SA_SB_SB_EEDaSZ_S10_SG_SL_EUlSZ_E_NS1_11comp_targetILNS1_3genE10ELNS1_11target_archE1201ELNS1_3gpuE5ELNS1_3repE0EEENS1_47radix_sort_onesweep_sort_config_static_selectorELNS0_4arch9wavefront6targetE0EEEvSG_.num_vgpr, 0
	.set _ZN7rocprim17ROCPRIM_400000_NS6detail17trampoline_kernelINS0_14default_configENS1_35radix_sort_onesweep_config_selectorIsNS0_10empty_typeEEEZZNS1_29radix_sort_onesweep_iterationIS3_Lb0EPKsPsPS5_SB_mNS0_19identity_decomposerENS1_16block_id_wrapperIjLb1EEEEE10hipError_tT1_PNSt15iterator_traitsISG_E10value_typeET2_T3_PNSH_ISM_E10value_typeET4_T5_PSR_SS_PNS1_23onesweep_lookback_stateEbbT6_jjT7_P12ihipStream_tbENKUlT_T0_SG_SL_E_clIS9_SA_SB_SB_EEDaSZ_S10_SG_SL_EUlSZ_E_NS1_11comp_targetILNS1_3genE10ELNS1_11target_archE1201ELNS1_3gpuE5ELNS1_3repE0EEENS1_47radix_sort_onesweep_sort_config_static_selectorELNS0_4arch9wavefront6targetE0EEEvSG_.num_agpr, 0
	.set _ZN7rocprim17ROCPRIM_400000_NS6detail17trampoline_kernelINS0_14default_configENS1_35radix_sort_onesweep_config_selectorIsNS0_10empty_typeEEEZZNS1_29radix_sort_onesweep_iterationIS3_Lb0EPKsPsPS5_SB_mNS0_19identity_decomposerENS1_16block_id_wrapperIjLb1EEEEE10hipError_tT1_PNSt15iterator_traitsISG_E10value_typeET2_T3_PNSH_ISM_E10value_typeET4_T5_PSR_SS_PNS1_23onesweep_lookback_stateEbbT6_jjT7_P12ihipStream_tbENKUlT_T0_SG_SL_E_clIS9_SA_SB_SB_EEDaSZ_S10_SG_SL_EUlSZ_E_NS1_11comp_targetILNS1_3genE10ELNS1_11target_archE1201ELNS1_3gpuE5ELNS1_3repE0EEENS1_47radix_sort_onesweep_sort_config_static_selectorELNS0_4arch9wavefront6targetE0EEEvSG_.numbered_sgpr, 0
	.set _ZN7rocprim17ROCPRIM_400000_NS6detail17trampoline_kernelINS0_14default_configENS1_35radix_sort_onesweep_config_selectorIsNS0_10empty_typeEEEZZNS1_29radix_sort_onesweep_iterationIS3_Lb0EPKsPsPS5_SB_mNS0_19identity_decomposerENS1_16block_id_wrapperIjLb1EEEEE10hipError_tT1_PNSt15iterator_traitsISG_E10value_typeET2_T3_PNSH_ISM_E10value_typeET4_T5_PSR_SS_PNS1_23onesweep_lookback_stateEbbT6_jjT7_P12ihipStream_tbENKUlT_T0_SG_SL_E_clIS9_SA_SB_SB_EEDaSZ_S10_SG_SL_EUlSZ_E_NS1_11comp_targetILNS1_3genE10ELNS1_11target_archE1201ELNS1_3gpuE5ELNS1_3repE0EEENS1_47radix_sort_onesweep_sort_config_static_selectorELNS0_4arch9wavefront6targetE0EEEvSG_.num_named_barrier, 0
	.set _ZN7rocprim17ROCPRIM_400000_NS6detail17trampoline_kernelINS0_14default_configENS1_35radix_sort_onesweep_config_selectorIsNS0_10empty_typeEEEZZNS1_29radix_sort_onesweep_iterationIS3_Lb0EPKsPsPS5_SB_mNS0_19identity_decomposerENS1_16block_id_wrapperIjLb1EEEEE10hipError_tT1_PNSt15iterator_traitsISG_E10value_typeET2_T3_PNSH_ISM_E10value_typeET4_T5_PSR_SS_PNS1_23onesweep_lookback_stateEbbT6_jjT7_P12ihipStream_tbENKUlT_T0_SG_SL_E_clIS9_SA_SB_SB_EEDaSZ_S10_SG_SL_EUlSZ_E_NS1_11comp_targetILNS1_3genE10ELNS1_11target_archE1201ELNS1_3gpuE5ELNS1_3repE0EEENS1_47radix_sort_onesweep_sort_config_static_selectorELNS0_4arch9wavefront6targetE0EEEvSG_.private_seg_size, 0
	.set _ZN7rocprim17ROCPRIM_400000_NS6detail17trampoline_kernelINS0_14default_configENS1_35radix_sort_onesweep_config_selectorIsNS0_10empty_typeEEEZZNS1_29radix_sort_onesweep_iterationIS3_Lb0EPKsPsPS5_SB_mNS0_19identity_decomposerENS1_16block_id_wrapperIjLb1EEEEE10hipError_tT1_PNSt15iterator_traitsISG_E10value_typeET2_T3_PNSH_ISM_E10value_typeET4_T5_PSR_SS_PNS1_23onesweep_lookback_stateEbbT6_jjT7_P12ihipStream_tbENKUlT_T0_SG_SL_E_clIS9_SA_SB_SB_EEDaSZ_S10_SG_SL_EUlSZ_E_NS1_11comp_targetILNS1_3genE10ELNS1_11target_archE1201ELNS1_3gpuE5ELNS1_3repE0EEENS1_47radix_sort_onesweep_sort_config_static_selectorELNS0_4arch9wavefront6targetE0EEEvSG_.uses_vcc, 0
	.set _ZN7rocprim17ROCPRIM_400000_NS6detail17trampoline_kernelINS0_14default_configENS1_35radix_sort_onesweep_config_selectorIsNS0_10empty_typeEEEZZNS1_29radix_sort_onesweep_iterationIS3_Lb0EPKsPsPS5_SB_mNS0_19identity_decomposerENS1_16block_id_wrapperIjLb1EEEEE10hipError_tT1_PNSt15iterator_traitsISG_E10value_typeET2_T3_PNSH_ISM_E10value_typeET4_T5_PSR_SS_PNS1_23onesweep_lookback_stateEbbT6_jjT7_P12ihipStream_tbENKUlT_T0_SG_SL_E_clIS9_SA_SB_SB_EEDaSZ_S10_SG_SL_EUlSZ_E_NS1_11comp_targetILNS1_3genE10ELNS1_11target_archE1201ELNS1_3gpuE5ELNS1_3repE0EEENS1_47radix_sort_onesweep_sort_config_static_selectorELNS0_4arch9wavefront6targetE0EEEvSG_.uses_flat_scratch, 0
	.set _ZN7rocprim17ROCPRIM_400000_NS6detail17trampoline_kernelINS0_14default_configENS1_35radix_sort_onesweep_config_selectorIsNS0_10empty_typeEEEZZNS1_29radix_sort_onesweep_iterationIS3_Lb0EPKsPsPS5_SB_mNS0_19identity_decomposerENS1_16block_id_wrapperIjLb1EEEEE10hipError_tT1_PNSt15iterator_traitsISG_E10value_typeET2_T3_PNSH_ISM_E10value_typeET4_T5_PSR_SS_PNS1_23onesweep_lookback_stateEbbT6_jjT7_P12ihipStream_tbENKUlT_T0_SG_SL_E_clIS9_SA_SB_SB_EEDaSZ_S10_SG_SL_EUlSZ_E_NS1_11comp_targetILNS1_3genE10ELNS1_11target_archE1201ELNS1_3gpuE5ELNS1_3repE0EEENS1_47radix_sort_onesweep_sort_config_static_selectorELNS0_4arch9wavefront6targetE0EEEvSG_.has_dyn_sized_stack, 0
	.set _ZN7rocprim17ROCPRIM_400000_NS6detail17trampoline_kernelINS0_14default_configENS1_35radix_sort_onesweep_config_selectorIsNS0_10empty_typeEEEZZNS1_29radix_sort_onesweep_iterationIS3_Lb0EPKsPsPS5_SB_mNS0_19identity_decomposerENS1_16block_id_wrapperIjLb1EEEEE10hipError_tT1_PNSt15iterator_traitsISG_E10value_typeET2_T3_PNSH_ISM_E10value_typeET4_T5_PSR_SS_PNS1_23onesweep_lookback_stateEbbT6_jjT7_P12ihipStream_tbENKUlT_T0_SG_SL_E_clIS9_SA_SB_SB_EEDaSZ_S10_SG_SL_EUlSZ_E_NS1_11comp_targetILNS1_3genE10ELNS1_11target_archE1201ELNS1_3gpuE5ELNS1_3repE0EEENS1_47radix_sort_onesweep_sort_config_static_selectorELNS0_4arch9wavefront6targetE0EEEvSG_.has_recursion, 0
	.set _ZN7rocprim17ROCPRIM_400000_NS6detail17trampoline_kernelINS0_14default_configENS1_35radix_sort_onesweep_config_selectorIsNS0_10empty_typeEEEZZNS1_29radix_sort_onesweep_iterationIS3_Lb0EPKsPsPS5_SB_mNS0_19identity_decomposerENS1_16block_id_wrapperIjLb1EEEEE10hipError_tT1_PNSt15iterator_traitsISG_E10value_typeET2_T3_PNSH_ISM_E10value_typeET4_T5_PSR_SS_PNS1_23onesweep_lookback_stateEbbT6_jjT7_P12ihipStream_tbENKUlT_T0_SG_SL_E_clIS9_SA_SB_SB_EEDaSZ_S10_SG_SL_EUlSZ_E_NS1_11comp_targetILNS1_3genE10ELNS1_11target_archE1201ELNS1_3gpuE5ELNS1_3repE0EEENS1_47radix_sort_onesweep_sort_config_static_selectorELNS0_4arch9wavefront6targetE0EEEvSG_.has_indirect_call, 0
	.section	.AMDGPU.csdata,"",@progbits
; Kernel info:
; codeLenInByte = 0
; TotalNumSgprs: 0
; NumVgprs: 0
; ScratchSize: 0
; MemoryBound: 0
; FloatMode: 240
; IeeeMode: 1
; LDSByteSize: 0 bytes/workgroup (compile time only)
; SGPRBlocks: 0
; VGPRBlocks: 0
; NumSGPRsForWavesPerEU: 1
; NumVGPRsForWavesPerEU: 1
; NamedBarCnt: 0
; Occupancy: 16
; WaveLimiterHint : 0
; COMPUTE_PGM_RSRC2:SCRATCH_EN: 0
; COMPUTE_PGM_RSRC2:USER_SGPR: 2
; COMPUTE_PGM_RSRC2:TRAP_HANDLER: 0
; COMPUTE_PGM_RSRC2:TGID_X_EN: 1
; COMPUTE_PGM_RSRC2:TGID_Y_EN: 0
; COMPUTE_PGM_RSRC2:TGID_Z_EN: 0
; COMPUTE_PGM_RSRC2:TIDIG_COMP_CNT: 0
	.section	.text._ZN7rocprim17ROCPRIM_400000_NS6detail17trampoline_kernelINS0_14default_configENS1_35radix_sort_onesweep_config_selectorIsNS0_10empty_typeEEEZZNS1_29radix_sort_onesweep_iterationIS3_Lb0EPKsPsPS5_SB_mNS0_19identity_decomposerENS1_16block_id_wrapperIjLb1EEEEE10hipError_tT1_PNSt15iterator_traitsISG_E10value_typeET2_T3_PNSH_ISM_E10value_typeET4_T5_PSR_SS_PNS1_23onesweep_lookback_stateEbbT6_jjT7_P12ihipStream_tbENKUlT_T0_SG_SL_E_clIS9_SA_SB_SB_EEDaSZ_S10_SG_SL_EUlSZ_E_NS1_11comp_targetILNS1_3genE9ELNS1_11target_archE1100ELNS1_3gpuE3ELNS1_3repE0EEENS1_47radix_sort_onesweep_sort_config_static_selectorELNS0_4arch9wavefront6targetE0EEEvSG_,"axG",@progbits,_ZN7rocprim17ROCPRIM_400000_NS6detail17trampoline_kernelINS0_14default_configENS1_35radix_sort_onesweep_config_selectorIsNS0_10empty_typeEEEZZNS1_29radix_sort_onesweep_iterationIS3_Lb0EPKsPsPS5_SB_mNS0_19identity_decomposerENS1_16block_id_wrapperIjLb1EEEEE10hipError_tT1_PNSt15iterator_traitsISG_E10value_typeET2_T3_PNSH_ISM_E10value_typeET4_T5_PSR_SS_PNS1_23onesweep_lookback_stateEbbT6_jjT7_P12ihipStream_tbENKUlT_T0_SG_SL_E_clIS9_SA_SB_SB_EEDaSZ_S10_SG_SL_EUlSZ_E_NS1_11comp_targetILNS1_3genE9ELNS1_11target_archE1100ELNS1_3gpuE3ELNS1_3repE0EEENS1_47radix_sort_onesweep_sort_config_static_selectorELNS0_4arch9wavefront6targetE0EEEvSG_,comdat
	.protected	_ZN7rocprim17ROCPRIM_400000_NS6detail17trampoline_kernelINS0_14default_configENS1_35radix_sort_onesweep_config_selectorIsNS0_10empty_typeEEEZZNS1_29radix_sort_onesweep_iterationIS3_Lb0EPKsPsPS5_SB_mNS0_19identity_decomposerENS1_16block_id_wrapperIjLb1EEEEE10hipError_tT1_PNSt15iterator_traitsISG_E10value_typeET2_T3_PNSH_ISM_E10value_typeET4_T5_PSR_SS_PNS1_23onesweep_lookback_stateEbbT6_jjT7_P12ihipStream_tbENKUlT_T0_SG_SL_E_clIS9_SA_SB_SB_EEDaSZ_S10_SG_SL_EUlSZ_E_NS1_11comp_targetILNS1_3genE9ELNS1_11target_archE1100ELNS1_3gpuE3ELNS1_3repE0EEENS1_47radix_sort_onesweep_sort_config_static_selectorELNS0_4arch9wavefront6targetE0EEEvSG_ ; -- Begin function _ZN7rocprim17ROCPRIM_400000_NS6detail17trampoline_kernelINS0_14default_configENS1_35radix_sort_onesweep_config_selectorIsNS0_10empty_typeEEEZZNS1_29radix_sort_onesweep_iterationIS3_Lb0EPKsPsPS5_SB_mNS0_19identity_decomposerENS1_16block_id_wrapperIjLb1EEEEE10hipError_tT1_PNSt15iterator_traitsISG_E10value_typeET2_T3_PNSH_ISM_E10value_typeET4_T5_PSR_SS_PNS1_23onesweep_lookback_stateEbbT6_jjT7_P12ihipStream_tbENKUlT_T0_SG_SL_E_clIS9_SA_SB_SB_EEDaSZ_S10_SG_SL_EUlSZ_E_NS1_11comp_targetILNS1_3genE9ELNS1_11target_archE1100ELNS1_3gpuE3ELNS1_3repE0EEENS1_47radix_sort_onesweep_sort_config_static_selectorELNS0_4arch9wavefront6targetE0EEEvSG_
	.globl	_ZN7rocprim17ROCPRIM_400000_NS6detail17trampoline_kernelINS0_14default_configENS1_35radix_sort_onesweep_config_selectorIsNS0_10empty_typeEEEZZNS1_29radix_sort_onesweep_iterationIS3_Lb0EPKsPsPS5_SB_mNS0_19identity_decomposerENS1_16block_id_wrapperIjLb1EEEEE10hipError_tT1_PNSt15iterator_traitsISG_E10value_typeET2_T3_PNSH_ISM_E10value_typeET4_T5_PSR_SS_PNS1_23onesweep_lookback_stateEbbT6_jjT7_P12ihipStream_tbENKUlT_T0_SG_SL_E_clIS9_SA_SB_SB_EEDaSZ_S10_SG_SL_EUlSZ_E_NS1_11comp_targetILNS1_3genE9ELNS1_11target_archE1100ELNS1_3gpuE3ELNS1_3repE0EEENS1_47radix_sort_onesweep_sort_config_static_selectorELNS0_4arch9wavefront6targetE0EEEvSG_
	.p2align	8
	.type	_ZN7rocprim17ROCPRIM_400000_NS6detail17trampoline_kernelINS0_14default_configENS1_35radix_sort_onesweep_config_selectorIsNS0_10empty_typeEEEZZNS1_29radix_sort_onesweep_iterationIS3_Lb0EPKsPsPS5_SB_mNS0_19identity_decomposerENS1_16block_id_wrapperIjLb1EEEEE10hipError_tT1_PNSt15iterator_traitsISG_E10value_typeET2_T3_PNSH_ISM_E10value_typeET4_T5_PSR_SS_PNS1_23onesweep_lookback_stateEbbT6_jjT7_P12ihipStream_tbENKUlT_T0_SG_SL_E_clIS9_SA_SB_SB_EEDaSZ_S10_SG_SL_EUlSZ_E_NS1_11comp_targetILNS1_3genE9ELNS1_11target_archE1100ELNS1_3gpuE3ELNS1_3repE0EEENS1_47radix_sort_onesweep_sort_config_static_selectorELNS0_4arch9wavefront6targetE0EEEvSG_,@function
_ZN7rocprim17ROCPRIM_400000_NS6detail17trampoline_kernelINS0_14default_configENS1_35radix_sort_onesweep_config_selectorIsNS0_10empty_typeEEEZZNS1_29radix_sort_onesweep_iterationIS3_Lb0EPKsPsPS5_SB_mNS0_19identity_decomposerENS1_16block_id_wrapperIjLb1EEEEE10hipError_tT1_PNSt15iterator_traitsISG_E10value_typeET2_T3_PNSH_ISM_E10value_typeET4_T5_PSR_SS_PNS1_23onesweep_lookback_stateEbbT6_jjT7_P12ihipStream_tbENKUlT_T0_SG_SL_E_clIS9_SA_SB_SB_EEDaSZ_S10_SG_SL_EUlSZ_E_NS1_11comp_targetILNS1_3genE9ELNS1_11target_archE1100ELNS1_3gpuE3ELNS1_3repE0EEENS1_47radix_sort_onesweep_sort_config_static_selectorELNS0_4arch9wavefront6targetE0EEEvSG_: ; @_ZN7rocprim17ROCPRIM_400000_NS6detail17trampoline_kernelINS0_14default_configENS1_35radix_sort_onesweep_config_selectorIsNS0_10empty_typeEEEZZNS1_29radix_sort_onesweep_iterationIS3_Lb0EPKsPsPS5_SB_mNS0_19identity_decomposerENS1_16block_id_wrapperIjLb1EEEEE10hipError_tT1_PNSt15iterator_traitsISG_E10value_typeET2_T3_PNSH_ISM_E10value_typeET4_T5_PSR_SS_PNS1_23onesweep_lookback_stateEbbT6_jjT7_P12ihipStream_tbENKUlT_T0_SG_SL_E_clIS9_SA_SB_SB_EEDaSZ_S10_SG_SL_EUlSZ_E_NS1_11comp_targetILNS1_3genE9ELNS1_11target_archE1100ELNS1_3gpuE3ELNS1_3repE0EEENS1_47radix_sort_onesweep_sort_config_static_selectorELNS0_4arch9wavefront6targetE0EEEvSG_
; %bb.0:
	.section	.rodata,"a",@progbits
	.p2align	6, 0x0
	.amdhsa_kernel _ZN7rocprim17ROCPRIM_400000_NS6detail17trampoline_kernelINS0_14default_configENS1_35radix_sort_onesweep_config_selectorIsNS0_10empty_typeEEEZZNS1_29radix_sort_onesweep_iterationIS3_Lb0EPKsPsPS5_SB_mNS0_19identity_decomposerENS1_16block_id_wrapperIjLb1EEEEE10hipError_tT1_PNSt15iterator_traitsISG_E10value_typeET2_T3_PNSH_ISM_E10value_typeET4_T5_PSR_SS_PNS1_23onesweep_lookback_stateEbbT6_jjT7_P12ihipStream_tbENKUlT_T0_SG_SL_E_clIS9_SA_SB_SB_EEDaSZ_S10_SG_SL_EUlSZ_E_NS1_11comp_targetILNS1_3genE9ELNS1_11target_archE1100ELNS1_3gpuE3ELNS1_3repE0EEENS1_47radix_sort_onesweep_sort_config_static_selectorELNS0_4arch9wavefront6targetE0EEEvSG_
		.amdhsa_group_segment_fixed_size 0
		.amdhsa_private_segment_fixed_size 0
		.amdhsa_kernarg_size 88
		.amdhsa_user_sgpr_count 2
		.amdhsa_user_sgpr_dispatch_ptr 0
		.amdhsa_user_sgpr_queue_ptr 0
		.amdhsa_user_sgpr_kernarg_segment_ptr 1
		.amdhsa_user_sgpr_dispatch_id 0
		.amdhsa_user_sgpr_kernarg_preload_length 0
		.amdhsa_user_sgpr_kernarg_preload_offset 0
		.amdhsa_user_sgpr_private_segment_size 0
		.amdhsa_wavefront_size32 1
		.amdhsa_uses_dynamic_stack 0
		.amdhsa_enable_private_segment 0
		.amdhsa_system_sgpr_workgroup_id_x 1
		.amdhsa_system_sgpr_workgroup_id_y 0
		.amdhsa_system_sgpr_workgroup_id_z 0
		.amdhsa_system_sgpr_workgroup_info 0
		.amdhsa_system_vgpr_workitem_id 0
		.amdhsa_next_free_vgpr 1
		.amdhsa_next_free_sgpr 1
		.amdhsa_named_barrier_count 0
		.amdhsa_reserve_vcc 0
		.amdhsa_float_round_mode_32 0
		.amdhsa_float_round_mode_16_64 0
		.amdhsa_float_denorm_mode_32 3
		.amdhsa_float_denorm_mode_16_64 3
		.amdhsa_fp16_overflow 0
		.amdhsa_memory_ordered 1
		.amdhsa_forward_progress 1
		.amdhsa_inst_pref_size 0
		.amdhsa_round_robin_scheduling 0
		.amdhsa_exception_fp_ieee_invalid_op 0
		.amdhsa_exception_fp_denorm_src 0
		.amdhsa_exception_fp_ieee_div_zero 0
		.amdhsa_exception_fp_ieee_overflow 0
		.amdhsa_exception_fp_ieee_underflow 0
		.amdhsa_exception_fp_ieee_inexact 0
		.amdhsa_exception_int_div_zero 0
	.end_amdhsa_kernel
	.section	.text._ZN7rocprim17ROCPRIM_400000_NS6detail17trampoline_kernelINS0_14default_configENS1_35radix_sort_onesweep_config_selectorIsNS0_10empty_typeEEEZZNS1_29radix_sort_onesweep_iterationIS3_Lb0EPKsPsPS5_SB_mNS0_19identity_decomposerENS1_16block_id_wrapperIjLb1EEEEE10hipError_tT1_PNSt15iterator_traitsISG_E10value_typeET2_T3_PNSH_ISM_E10value_typeET4_T5_PSR_SS_PNS1_23onesweep_lookback_stateEbbT6_jjT7_P12ihipStream_tbENKUlT_T0_SG_SL_E_clIS9_SA_SB_SB_EEDaSZ_S10_SG_SL_EUlSZ_E_NS1_11comp_targetILNS1_3genE9ELNS1_11target_archE1100ELNS1_3gpuE3ELNS1_3repE0EEENS1_47radix_sort_onesweep_sort_config_static_selectorELNS0_4arch9wavefront6targetE0EEEvSG_,"axG",@progbits,_ZN7rocprim17ROCPRIM_400000_NS6detail17trampoline_kernelINS0_14default_configENS1_35radix_sort_onesweep_config_selectorIsNS0_10empty_typeEEEZZNS1_29radix_sort_onesweep_iterationIS3_Lb0EPKsPsPS5_SB_mNS0_19identity_decomposerENS1_16block_id_wrapperIjLb1EEEEE10hipError_tT1_PNSt15iterator_traitsISG_E10value_typeET2_T3_PNSH_ISM_E10value_typeET4_T5_PSR_SS_PNS1_23onesweep_lookback_stateEbbT6_jjT7_P12ihipStream_tbENKUlT_T0_SG_SL_E_clIS9_SA_SB_SB_EEDaSZ_S10_SG_SL_EUlSZ_E_NS1_11comp_targetILNS1_3genE9ELNS1_11target_archE1100ELNS1_3gpuE3ELNS1_3repE0EEENS1_47radix_sort_onesweep_sort_config_static_selectorELNS0_4arch9wavefront6targetE0EEEvSG_,comdat
.Lfunc_end720:
	.size	_ZN7rocprim17ROCPRIM_400000_NS6detail17trampoline_kernelINS0_14default_configENS1_35radix_sort_onesweep_config_selectorIsNS0_10empty_typeEEEZZNS1_29radix_sort_onesweep_iterationIS3_Lb0EPKsPsPS5_SB_mNS0_19identity_decomposerENS1_16block_id_wrapperIjLb1EEEEE10hipError_tT1_PNSt15iterator_traitsISG_E10value_typeET2_T3_PNSH_ISM_E10value_typeET4_T5_PSR_SS_PNS1_23onesweep_lookback_stateEbbT6_jjT7_P12ihipStream_tbENKUlT_T0_SG_SL_E_clIS9_SA_SB_SB_EEDaSZ_S10_SG_SL_EUlSZ_E_NS1_11comp_targetILNS1_3genE9ELNS1_11target_archE1100ELNS1_3gpuE3ELNS1_3repE0EEENS1_47radix_sort_onesweep_sort_config_static_selectorELNS0_4arch9wavefront6targetE0EEEvSG_, .Lfunc_end720-_ZN7rocprim17ROCPRIM_400000_NS6detail17trampoline_kernelINS0_14default_configENS1_35radix_sort_onesweep_config_selectorIsNS0_10empty_typeEEEZZNS1_29radix_sort_onesweep_iterationIS3_Lb0EPKsPsPS5_SB_mNS0_19identity_decomposerENS1_16block_id_wrapperIjLb1EEEEE10hipError_tT1_PNSt15iterator_traitsISG_E10value_typeET2_T3_PNSH_ISM_E10value_typeET4_T5_PSR_SS_PNS1_23onesweep_lookback_stateEbbT6_jjT7_P12ihipStream_tbENKUlT_T0_SG_SL_E_clIS9_SA_SB_SB_EEDaSZ_S10_SG_SL_EUlSZ_E_NS1_11comp_targetILNS1_3genE9ELNS1_11target_archE1100ELNS1_3gpuE3ELNS1_3repE0EEENS1_47radix_sort_onesweep_sort_config_static_selectorELNS0_4arch9wavefront6targetE0EEEvSG_
                                        ; -- End function
	.set _ZN7rocprim17ROCPRIM_400000_NS6detail17trampoline_kernelINS0_14default_configENS1_35radix_sort_onesweep_config_selectorIsNS0_10empty_typeEEEZZNS1_29radix_sort_onesweep_iterationIS3_Lb0EPKsPsPS5_SB_mNS0_19identity_decomposerENS1_16block_id_wrapperIjLb1EEEEE10hipError_tT1_PNSt15iterator_traitsISG_E10value_typeET2_T3_PNSH_ISM_E10value_typeET4_T5_PSR_SS_PNS1_23onesweep_lookback_stateEbbT6_jjT7_P12ihipStream_tbENKUlT_T0_SG_SL_E_clIS9_SA_SB_SB_EEDaSZ_S10_SG_SL_EUlSZ_E_NS1_11comp_targetILNS1_3genE9ELNS1_11target_archE1100ELNS1_3gpuE3ELNS1_3repE0EEENS1_47radix_sort_onesweep_sort_config_static_selectorELNS0_4arch9wavefront6targetE0EEEvSG_.num_vgpr, 0
	.set _ZN7rocprim17ROCPRIM_400000_NS6detail17trampoline_kernelINS0_14default_configENS1_35radix_sort_onesweep_config_selectorIsNS0_10empty_typeEEEZZNS1_29radix_sort_onesweep_iterationIS3_Lb0EPKsPsPS5_SB_mNS0_19identity_decomposerENS1_16block_id_wrapperIjLb1EEEEE10hipError_tT1_PNSt15iterator_traitsISG_E10value_typeET2_T3_PNSH_ISM_E10value_typeET4_T5_PSR_SS_PNS1_23onesweep_lookback_stateEbbT6_jjT7_P12ihipStream_tbENKUlT_T0_SG_SL_E_clIS9_SA_SB_SB_EEDaSZ_S10_SG_SL_EUlSZ_E_NS1_11comp_targetILNS1_3genE9ELNS1_11target_archE1100ELNS1_3gpuE3ELNS1_3repE0EEENS1_47radix_sort_onesweep_sort_config_static_selectorELNS0_4arch9wavefront6targetE0EEEvSG_.num_agpr, 0
	.set _ZN7rocprim17ROCPRIM_400000_NS6detail17trampoline_kernelINS0_14default_configENS1_35radix_sort_onesweep_config_selectorIsNS0_10empty_typeEEEZZNS1_29radix_sort_onesweep_iterationIS3_Lb0EPKsPsPS5_SB_mNS0_19identity_decomposerENS1_16block_id_wrapperIjLb1EEEEE10hipError_tT1_PNSt15iterator_traitsISG_E10value_typeET2_T3_PNSH_ISM_E10value_typeET4_T5_PSR_SS_PNS1_23onesweep_lookback_stateEbbT6_jjT7_P12ihipStream_tbENKUlT_T0_SG_SL_E_clIS9_SA_SB_SB_EEDaSZ_S10_SG_SL_EUlSZ_E_NS1_11comp_targetILNS1_3genE9ELNS1_11target_archE1100ELNS1_3gpuE3ELNS1_3repE0EEENS1_47radix_sort_onesweep_sort_config_static_selectorELNS0_4arch9wavefront6targetE0EEEvSG_.numbered_sgpr, 0
	.set _ZN7rocprim17ROCPRIM_400000_NS6detail17trampoline_kernelINS0_14default_configENS1_35radix_sort_onesweep_config_selectorIsNS0_10empty_typeEEEZZNS1_29radix_sort_onesweep_iterationIS3_Lb0EPKsPsPS5_SB_mNS0_19identity_decomposerENS1_16block_id_wrapperIjLb1EEEEE10hipError_tT1_PNSt15iterator_traitsISG_E10value_typeET2_T3_PNSH_ISM_E10value_typeET4_T5_PSR_SS_PNS1_23onesweep_lookback_stateEbbT6_jjT7_P12ihipStream_tbENKUlT_T0_SG_SL_E_clIS9_SA_SB_SB_EEDaSZ_S10_SG_SL_EUlSZ_E_NS1_11comp_targetILNS1_3genE9ELNS1_11target_archE1100ELNS1_3gpuE3ELNS1_3repE0EEENS1_47radix_sort_onesweep_sort_config_static_selectorELNS0_4arch9wavefront6targetE0EEEvSG_.num_named_barrier, 0
	.set _ZN7rocprim17ROCPRIM_400000_NS6detail17trampoline_kernelINS0_14default_configENS1_35radix_sort_onesweep_config_selectorIsNS0_10empty_typeEEEZZNS1_29radix_sort_onesweep_iterationIS3_Lb0EPKsPsPS5_SB_mNS0_19identity_decomposerENS1_16block_id_wrapperIjLb1EEEEE10hipError_tT1_PNSt15iterator_traitsISG_E10value_typeET2_T3_PNSH_ISM_E10value_typeET4_T5_PSR_SS_PNS1_23onesweep_lookback_stateEbbT6_jjT7_P12ihipStream_tbENKUlT_T0_SG_SL_E_clIS9_SA_SB_SB_EEDaSZ_S10_SG_SL_EUlSZ_E_NS1_11comp_targetILNS1_3genE9ELNS1_11target_archE1100ELNS1_3gpuE3ELNS1_3repE0EEENS1_47radix_sort_onesweep_sort_config_static_selectorELNS0_4arch9wavefront6targetE0EEEvSG_.private_seg_size, 0
	.set _ZN7rocprim17ROCPRIM_400000_NS6detail17trampoline_kernelINS0_14default_configENS1_35radix_sort_onesweep_config_selectorIsNS0_10empty_typeEEEZZNS1_29radix_sort_onesweep_iterationIS3_Lb0EPKsPsPS5_SB_mNS0_19identity_decomposerENS1_16block_id_wrapperIjLb1EEEEE10hipError_tT1_PNSt15iterator_traitsISG_E10value_typeET2_T3_PNSH_ISM_E10value_typeET4_T5_PSR_SS_PNS1_23onesweep_lookback_stateEbbT6_jjT7_P12ihipStream_tbENKUlT_T0_SG_SL_E_clIS9_SA_SB_SB_EEDaSZ_S10_SG_SL_EUlSZ_E_NS1_11comp_targetILNS1_3genE9ELNS1_11target_archE1100ELNS1_3gpuE3ELNS1_3repE0EEENS1_47radix_sort_onesweep_sort_config_static_selectorELNS0_4arch9wavefront6targetE0EEEvSG_.uses_vcc, 0
	.set _ZN7rocprim17ROCPRIM_400000_NS6detail17trampoline_kernelINS0_14default_configENS1_35radix_sort_onesweep_config_selectorIsNS0_10empty_typeEEEZZNS1_29radix_sort_onesweep_iterationIS3_Lb0EPKsPsPS5_SB_mNS0_19identity_decomposerENS1_16block_id_wrapperIjLb1EEEEE10hipError_tT1_PNSt15iterator_traitsISG_E10value_typeET2_T3_PNSH_ISM_E10value_typeET4_T5_PSR_SS_PNS1_23onesweep_lookback_stateEbbT6_jjT7_P12ihipStream_tbENKUlT_T0_SG_SL_E_clIS9_SA_SB_SB_EEDaSZ_S10_SG_SL_EUlSZ_E_NS1_11comp_targetILNS1_3genE9ELNS1_11target_archE1100ELNS1_3gpuE3ELNS1_3repE0EEENS1_47radix_sort_onesweep_sort_config_static_selectorELNS0_4arch9wavefront6targetE0EEEvSG_.uses_flat_scratch, 0
	.set _ZN7rocprim17ROCPRIM_400000_NS6detail17trampoline_kernelINS0_14default_configENS1_35radix_sort_onesweep_config_selectorIsNS0_10empty_typeEEEZZNS1_29radix_sort_onesweep_iterationIS3_Lb0EPKsPsPS5_SB_mNS0_19identity_decomposerENS1_16block_id_wrapperIjLb1EEEEE10hipError_tT1_PNSt15iterator_traitsISG_E10value_typeET2_T3_PNSH_ISM_E10value_typeET4_T5_PSR_SS_PNS1_23onesweep_lookback_stateEbbT6_jjT7_P12ihipStream_tbENKUlT_T0_SG_SL_E_clIS9_SA_SB_SB_EEDaSZ_S10_SG_SL_EUlSZ_E_NS1_11comp_targetILNS1_3genE9ELNS1_11target_archE1100ELNS1_3gpuE3ELNS1_3repE0EEENS1_47radix_sort_onesweep_sort_config_static_selectorELNS0_4arch9wavefront6targetE0EEEvSG_.has_dyn_sized_stack, 0
	.set _ZN7rocprim17ROCPRIM_400000_NS6detail17trampoline_kernelINS0_14default_configENS1_35radix_sort_onesweep_config_selectorIsNS0_10empty_typeEEEZZNS1_29radix_sort_onesweep_iterationIS3_Lb0EPKsPsPS5_SB_mNS0_19identity_decomposerENS1_16block_id_wrapperIjLb1EEEEE10hipError_tT1_PNSt15iterator_traitsISG_E10value_typeET2_T3_PNSH_ISM_E10value_typeET4_T5_PSR_SS_PNS1_23onesweep_lookback_stateEbbT6_jjT7_P12ihipStream_tbENKUlT_T0_SG_SL_E_clIS9_SA_SB_SB_EEDaSZ_S10_SG_SL_EUlSZ_E_NS1_11comp_targetILNS1_3genE9ELNS1_11target_archE1100ELNS1_3gpuE3ELNS1_3repE0EEENS1_47radix_sort_onesweep_sort_config_static_selectorELNS0_4arch9wavefront6targetE0EEEvSG_.has_recursion, 0
	.set _ZN7rocprim17ROCPRIM_400000_NS6detail17trampoline_kernelINS0_14default_configENS1_35radix_sort_onesweep_config_selectorIsNS0_10empty_typeEEEZZNS1_29radix_sort_onesweep_iterationIS3_Lb0EPKsPsPS5_SB_mNS0_19identity_decomposerENS1_16block_id_wrapperIjLb1EEEEE10hipError_tT1_PNSt15iterator_traitsISG_E10value_typeET2_T3_PNSH_ISM_E10value_typeET4_T5_PSR_SS_PNS1_23onesweep_lookback_stateEbbT6_jjT7_P12ihipStream_tbENKUlT_T0_SG_SL_E_clIS9_SA_SB_SB_EEDaSZ_S10_SG_SL_EUlSZ_E_NS1_11comp_targetILNS1_3genE9ELNS1_11target_archE1100ELNS1_3gpuE3ELNS1_3repE0EEENS1_47radix_sort_onesweep_sort_config_static_selectorELNS0_4arch9wavefront6targetE0EEEvSG_.has_indirect_call, 0
	.section	.AMDGPU.csdata,"",@progbits
; Kernel info:
; codeLenInByte = 0
; TotalNumSgprs: 0
; NumVgprs: 0
; ScratchSize: 0
; MemoryBound: 0
; FloatMode: 240
; IeeeMode: 1
; LDSByteSize: 0 bytes/workgroup (compile time only)
; SGPRBlocks: 0
; VGPRBlocks: 0
; NumSGPRsForWavesPerEU: 1
; NumVGPRsForWavesPerEU: 1
; NamedBarCnt: 0
; Occupancy: 16
; WaveLimiterHint : 0
; COMPUTE_PGM_RSRC2:SCRATCH_EN: 0
; COMPUTE_PGM_RSRC2:USER_SGPR: 2
; COMPUTE_PGM_RSRC2:TRAP_HANDLER: 0
; COMPUTE_PGM_RSRC2:TGID_X_EN: 1
; COMPUTE_PGM_RSRC2:TGID_Y_EN: 0
; COMPUTE_PGM_RSRC2:TGID_Z_EN: 0
; COMPUTE_PGM_RSRC2:TIDIG_COMP_CNT: 0
	.section	.text._ZN7rocprim17ROCPRIM_400000_NS6detail17trampoline_kernelINS0_14default_configENS1_35radix_sort_onesweep_config_selectorIsNS0_10empty_typeEEEZZNS1_29radix_sort_onesweep_iterationIS3_Lb0EPKsPsPS5_SB_mNS0_19identity_decomposerENS1_16block_id_wrapperIjLb1EEEEE10hipError_tT1_PNSt15iterator_traitsISG_E10value_typeET2_T3_PNSH_ISM_E10value_typeET4_T5_PSR_SS_PNS1_23onesweep_lookback_stateEbbT6_jjT7_P12ihipStream_tbENKUlT_T0_SG_SL_E_clIS9_SA_SB_SB_EEDaSZ_S10_SG_SL_EUlSZ_E_NS1_11comp_targetILNS1_3genE8ELNS1_11target_archE1030ELNS1_3gpuE2ELNS1_3repE0EEENS1_47radix_sort_onesweep_sort_config_static_selectorELNS0_4arch9wavefront6targetE0EEEvSG_,"axG",@progbits,_ZN7rocprim17ROCPRIM_400000_NS6detail17trampoline_kernelINS0_14default_configENS1_35radix_sort_onesweep_config_selectorIsNS0_10empty_typeEEEZZNS1_29radix_sort_onesweep_iterationIS3_Lb0EPKsPsPS5_SB_mNS0_19identity_decomposerENS1_16block_id_wrapperIjLb1EEEEE10hipError_tT1_PNSt15iterator_traitsISG_E10value_typeET2_T3_PNSH_ISM_E10value_typeET4_T5_PSR_SS_PNS1_23onesweep_lookback_stateEbbT6_jjT7_P12ihipStream_tbENKUlT_T0_SG_SL_E_clIS9_SA_SB_SB_EEDaSZ_S10_SG_SL_EUlSZ_E_NS1_11comp_targetILNS1_3genE8ELNS1_11target_archE1030ELNS1_3gpuE2ELNS1_3repE0EEENS1_47radix_sort_onesweep_sort_config_static_selectorELNS0_4arch9wavefront6targetE0EEEvSG_,comdat
	.protected	_ZN7rocprim17ROCPRIM_400000_NS6detail17trampoline_kernelINS0_14default_configENS1_35radix_sort_onesweep_config_selectorIsNS0_10empty_typeEEEZZNS1_29radix_sort_onesweep_iterationIS3_Lb0EPKsPsPS5_SB_mNS0_19identity_decomposerENS1_16block_id_wrapperIjLb1EEEEE10hipError_tT1_PNSt15iterator_traitsISG_E10value_typeET2_T3_PNSH_ISM_E10value_typeET4_T5_PSR_SS_PNS1_23onesweep_lookback_stateEbbT6_jjT7_P12ihipStream_tbENKUlT_T0_SG_SL_E_clIS9_SA_SB_SB_EEDaSZ_S10_SG_SL_EUlSZ_E_NS1_11comp_targetILNS1_3genE8ELNS1_11target_archE1030ELNS1_3gpuE2ELNS1_3repE0EEENS1_47radix_sort_onesweep_sort_config_static_selectorELNS0_4arch9wavefront6targetE0EEEvSG_ ; -- Begin function _ZN7rocprim17ROCPRIM_400000_NS6detail17trampoline_kernelINS0_14default_configENS1_35radix_sort_onesweep_config_selectorIsNS0_10empty_typeEEEZZNS1_29radix_sort_onesweep_iterationIS3_Lb0EPKsPsPS5_SB_mNS0_19identity_decomposerENS1_16block_id_wrapperIjLb1EEEEE10hipError_tT1_PNSt15iterator_traitsISG_E10value_typeET2_T3_PNSH_ISM_E10value_typeET4_T5_PSR_SS_PNS1_23onesweep_lookback_stateEbbT6_jjT7_P12ihipStream_tbENKUlT_T0_SG_SL_E_clIS9_SA_SB_SB_EEDaSZ_S10_SG_SL_EUlSZ_E_NS1_11comp_targetILNS1_3genE8ELNS1_11target_archE1030ELNS1_3gpuE2ELNS1_3repE0EEENS1_47radix_sort_onesweep_sort_config_static_selectorELNS0_4arch9wavefront6targetE0EEEvSG_
	.globl	_ZN7rocprim17ROCPRIM_400000_NS6detail17trampoline_kernelINS0_14default_configENS1_35radix_sort_onesweep_config_selectorIsNS0_10empty_typeEEEZZNS1_29radix_sort_onesweep_iterationIS3_Lb0EPKsPsPS5_SB_mNS0_19identity_decomposerENS1_16block_id_wrapperIjLb1EEEEE10hipError_tT1_PNSt15iterator_traitsISG_E10value_typeET2_T3_PNSH_ISM_E10value_typeET4_T5_PSR_SS_PNS1_23onesweep_lookback_stateEbbT6_jjT7_P12ihipStream_tbENKUlT_T0_SG_SL_E_clIS9_SA_SB_SB_EEDaSZ_S10_SG_SL_EUlSZ_E_NS1_11comp_targetILNS1_3genE8ELNS1_11target_archE1030ELNS1_3gpuE2ELNS1_3repE0EEENS1_47radix_sort_onesweep_sort_config_static_selectorELNS0_4arch9wavefront6targetE0EEEvSG_
	.p2align	8
	.type	_ZN7rocprim17ROCPRIM_400000_NS6detail17trampoline_kernelINS0_14default_configENS1_35radix_sort_onesweep_config_selectorIsNS0_10empty_typeEEEZZNS1_29radix_sort_onesweep_iterationIS3_Lb0EPKsPsPS5_SB_mNS0_19identity_decomposerENS1_16block_id_wrapperIjLb1EEEEE10hipError_tT1_PNSt15iterator_traitsISG_E10value_typeET2_T3_PNSH_ISM_E10value_typeET4_T5_PSR_SS_PNS1_23onesweep_lookback_stateEbbT6_jjT7_P12ihipStream_tbENKUlT_T0_SG_SL_E_clIS9_SA_SB_SB_EEDaSZ_S10_SG_SL_EUlSZ_E_NS1_11comp_targetILNS1_3genE8ELNS1_11target_archE1030ELNS1_3gpuE2ELNS1_3repE0EEENS1_47radix_sort_onesweep_sort_config_static_selectorELNS0_4arch9wavefront6targetE0EEEvSG_,@function
_ZN7rocprim17ROCPRIM_400000_NS6detail17trampoline_kernelINS0_14default_configENS1_35radix_sort_onesweep_config_selectorIsNS0_10empty_typeEEEZZNS1_29radix_sort_onesweep_iterationIS3_Lb0EPKsPsPS5_SB_mNS0_19identity_decomposerENS1_16block_id_wrapperIjLb1EEEEE10hipError_tT1_PNSt15iterator_traitsISG_E10value_typeET2_T3_PNSH_ISM_E10value_typeET4_T5_PSR_SS_PNS1_23onesweep_lookback_stateEbbT6_jjT7_P12ihipStream_tbENKUlT_T0_SG_SL_E_clIS9_SA_SB_SB_EEDaSZ_S10_SG_SL_EUlSZ_E_NS1_11comp_targetILNS1_3genE8ELNS1_11target_archE1030ELNS1_3gpuE2ELNS1_3repE0EEENS1_47radix_sort_onesweep_sort_config_static_selectorELNS0_4arch9wavefront6targetE0EEEvSG_: ; @_ZN7rocprim17ROCPRIM_400000_NS6detail17trampoline_kernelINS0_14default_configENS1_35radix_sort_onesweep_config_selectorIsNS0_10empty_typeEEEZZNS1_29radix_sort_onesweep_iterationIS3_Lb0EPKsPsPS5_SB_mNS0_19identity_decomposerENS1_16block_id_wrapperIjLb1EEEEE10hipError_tT1_PNSt15iterator_traitsISG_E10value_typeET2_T3_PNSH_ISM_E10value_typeET4_T5_PSR_SS_PNS1_23onesweep_lookback_stateEbbT6_jjT7_P12ihipStream_tbENKUlT_T0_SG_SL_E_clIS9_SA_SB_SB_EEDaSZ_S10_SG_SL_EUlSZ_E_NS1_11comp_targetILNS1_3genE8ELNS1_11target_archE1030ELNS1_3gpuE2ELNS1_3repE0EEENS1_47radix_sort_onesweep_sort_config_static_selectorELNS0_4arch9wavefront6targetE0EEEvSG_
; %bb.0:
	.section	.rodata,"a",@progbits
	.p2align	6, 0x0
	.amdhsa_kernel _ZN7rocprim17ROCPRIM_400000_NS6detail17trampoline_kernelINS0_14default_configENS1_35radix_sort_onesweep_config_selectorIsNS0_10empty_typeEEEZZNS1_29radix_sort_onesweep_iterationIS3_Lb0EPKsPsPS5_SB_mNS0_19identity_decomposerENS1_16block_id_wrapperIjLb1EEEEE10hipError_tT1_PNSt15iterator_traitsISG_E10value_typeET2_T3_PNSH_ISM_E10value_typeET4_T5_PSR_SS_PNS1_23onesweep_lookback_stateEbbT6_jjT7_P12ihipStream_tbENKUlT_T0_SG_SL_E_clIS9_SA_SB_SB_EEDaSZ_S10_SG_SL_EUlSZ_E_NS1_11comp_targetILNS1_3genE8ELNS1_11target_archE1030ELNS1_3gpuE2ELNS1_3repE0EEENS1_47radix_sort_onesweep_sort_config_static_selectorELNS0_4arch9wavefront6targetE0EEEvSG_
		.amdhsa_group_segment_fixed_size 0
		.amdhsa_private_segment_fixed_size 0
		.amdhsa_kernarg_size 88
		.amdhsa_user_sgpr_count 2
		.amdhsa_user_sgpr_dispatch_ptr 0
		.amdhsa_user_sgpr_queue_ptr 0
		.amdhsa_user_sgpr_kernarg_segment_ptr 1
		.amdhsa_user_sgpr_dispatch_id 0
		.amdhsa_user_sgpr_kernarg_preload_length 0
		.amdhsa_user_sgpr_kernarg_preload_offset 0
		.amdhsa_user_sgpr_private_segment_size 0
		.amdhsa_wavefront_size32 1
		.amdhsa_uses_dynamic_stack 0
		.amdhsa_enable_private_segment 0
		.amdhsa_system_sgpr_workgroup_id_x 1
		.amdhsa_system_sgpr_workgroup_id_y 0
		.amdhsa_system_sgpr_workgroup_id_z 0
		.amdhsa_system_sgpr_workgroup_info 0
		.amdhsa_system_vgpr_workitem_id 0
		.amdhsa_next_free_vgpr 1
		.amdhsa_next_free_sgpr 1
		.amdhsa_named_barrier_count 0
		.amdhsa_reserve_vcc 0
		.amdhsa_float_round_mode_32 0
		.amdhsa_float_round_mode_16_64 0
		.amdhsa_float_denorm_mode_32 3
		.amdhsa_float_denorm_mode_16_64 3
		.amdhsa_fp16_overflow 0
		.amdhsa_memory_ordered 1
		.amdhsa_forward_progress 1
		.amdhsa_inst_pref_size 0
		.amdhsa_round_robin_scheduling 0
		.amdhsa_exception_fp_ieee_invalid_op 0
		.amdhsa_exception_fp_denorm_src 0
		.amdhsa_exception_fp_ieee_div_zero 0
		.amdhsa_exception_fp_ieee_overflow 0
		.amdhsa_exception_fp_ieee_underflow 0
		.amdhsa_exception_fp_ieee_inexact 0
		.amdhsa_exception_int_div_zero 0
	.end_amdhsa_kernel
	.section	.text._ZN7rocprim17ROCPRIM_400000_NS6detail17trampoline_kernelINS0_14default_configENS1_35radix_sort_onesweep_config_selectorIsNS0_10empty_typeEEEZZNS1_29radix_sort_onesweep_iterationIS3_Lb0EPKsPsPS5_SB_mNS0_19identity_decomposerENS1_16block_id_wrapperIjLb1EEEEE10hipError_tT1_PNSt15iterator_traitsISG_E10value_typeET2_T3_PNSH_ISM_E10value_typeET4_T5_PSR_SS_PNS1_23onesweep_lookback_stateEbbT6_jjT7_P12ihipStream_tbENKUlT_T0_SG_SL_E_clIS9_SA_SB_SB_EEDaSZ_S10_SG_SL_EUlSZ_E_NS1_11comp_targetILNS1_3genE8ELNS1_11target_archE1030ELNS1_3gpuE2ELNS1_3repE0EEENS1_47radix_sort_onesweep_sort_config_static_selectorELNS0_4arch9wavefront6targetE0EEEvSG_,"axG",@progbits,_ZN7rocprim17ROCPRIM_400000_NS6detail17trampoline_kernelINS0_14default_configENS1_35radix_sort_onesweep_config_selectorIsNS0_10empty_typeEEEZZNS1_29radix_sort_onesweep_iterationIS3_Lb0EPKsPsPS5_SB_mNS0_19identity_decomposerENS1_16block_id_wrapperIjLb1EEEEE10hipError_tT1_PNSt15iterator_traitsISG_E10value_typeET2_T3_PNSH_ISM_E10value_typeET4_T5_PSR_SS_PNS1_23onesweep_lookback_stateEbbT6_jjT7_P12ihipStream_tbENKUlT_T0_SG_SL_E_clIS9_SA_SB_SB_EEDaSZ_S10_SG_SL_EUlSZ_E_NS1_11comp_targetILNS1_3genE8ELNS1_11target_archE1030ELNS1_3gpuE2ELNS1_3repE0EEENS1_47radix_sort_onesweep_sort_config_static_selectorELNS0_4arch9wavefront6targetE0EEEvSG_,comdat
.Lfunc_end721:
	.size	_ZN7rocprim17ROCPRIM_400000_NS6detail17trampoline_kernelINS0_14default_configENS1_35radix_sort_onesweep_config_selectorIsNS0_10empty_typeEEEZZNS1_29radix_sort_onesweep_iterationIS3_Lb0EPKsPsPS5_SB_mNS0_19identity_decomposerENS1_16block_id_wrapperIjLb1EEEEE10hipError_tT1_PNSt15iterator_traitsISG_E10value_typeET2_T3_PNSH_ISM_E10value_typeET4_T5_PSR_SS_PNS1_23onesweep_lookback_stateEbbT6_jjT7_P12ihipStream_tbENKUlT_T0_SG_SL_E_clIS9_SA_SB_SB_EEDaSZ_S10_SG_SL_EUlSZ_E_NS1_11comp_targetILNS1_3genE8ELNS1_11target_archE1030ELNS1_3gpuE2ELNS1_3repE0EEENS1_47radix_sort_onesweep_sort_config_static_selectorELNS0_4arch9wavefront6targetE0EEEvSG_, .Lfunc_end721-_ZN7rocprim17ROCPRIM_400000_NS6detail17trampoline_kernelINS0_14default_configENS1_35radix_sort_onesweep_config_selectorIsNS0_10empty_typeEEEZZNS1_29radix_sort_onesweep_iterationIS3_Lb0EPKsPsPS5_SB_mNS0_19identity_decomposerENS1_16block_id_wrapperIjLb1EEEEE10hipError_tT1_PNSt15iterator_traitsISG_E10value_typeET2_T3_PNSH_ISM_E10value_typeET4_T5_PSR_SS_PNS1_23onesweep_lookback_stateEbbT6_jjT7_P12ihipStream_tbENKUlT_T0_SG_SL_E_clIS9_SA_SB_SB_EEDaSZ_S10_SG_SL_EUlSZ_E_NS1_11comp_targetILNS1_3genE8ELNS1_11target_archE1030ELNS1_3gpuE2ELNS1_3repE0EEENS1_47radix_sort_onesweep_sort_config_static_selectorELNS0_4arch9wavefront6targetE0EEEvSG_
                                        ; -- End function
	.set _ZN7rocprim17ROCPRIM_400000_NS6detail17trampoline_kernelINS0_14default_configENS1_35radix_sort_onesweep_config_selectorIsNS0_10empty_typeEEEZZNS1_29radix_sort_onesweep_iterationIS3_Lb0EPKsPsPS5_SB_mNS0_19identity_decomposerENS1_16block_id_wrapperIjLb1EEEEE10hipError_tT1_PNSt15iterator_traitsISG_E10value_typeET2_T3_PNSH_ISM_E10value_typeET4_T5_PSR_SS_PNS1_23onesweep_lookback_stateEbbT6_jjT7_P12ihipStream_tbENKUlT_T0_SG_SL_E_clIS9_SA_SB_SB_EEDaSZ_S10_SG_SL_EUlSZ_E_NS1_11comp_targetILNS1_3genE8ELNS1_11target_archE1030ELNS1_3gpuE2ELNS1_3repE0EEENS1_47radix_sort_onesweep_sort_config_static_selectorELNS0_4arch9wavefront6targetE0EEEvSG_.num_vgpr, 0
	.set _ZN7rocprim17ROCPRIM_400000_NS6detail17trampoline_kernelINS0_14default_configENS1_35radix_sort_onesweep_config_selectorIsNS0_10empty_typeEEEZZNS1_29radix_sort_onesweep_iterationIS3_Lb0EPKsPsPS5_SB_mNS0_19identity_decomposerENS1_16block_id_wrapperIjLb1EEEEE10hipError_tT1_PNSt15iterator_traitsISG_E10value_typeET2_T3_PNSH_ISM_E10value_typeET4_T5_PSR_SS_PNS1_23onesweep_lookback_stateEbbT6_jjT7_P12ihipStream_tbENKUlT_T0_SG_SL_E_clIS9_SA_SB_SB_EEDaSZ_S10_SG_SL_EUlSZ_E_NS1_11comp_targetILNS1_3genE8ELNS1_11target_archE1030ELNS1_3gpuE2ELNS1_3repE0EEENS1_47radix_sort_onesweep_sort_config_static_selectorELNS0_4arch9wavefront6targetE0EEEvSG_.num_agpr, 0
	.set _ZN7rocprim17ROCPRIM_400000_NS6detail17trampoline_kernelINS0_14default_configENS1_35radix_sort_onesweep_config_selectorIsNS0_10empty_typeEEEZZNS1_29radix_sort_onesweep_iterationIS3_Lb0EPKsPsPS5_SB_mNS0_19identity_decomposerENS1_16block_id_wrapperIjLb1EEEEE10hipError_tT1_PNSt15iterator_traitsISG_E10value_typeET2_T3_PNSH_ISM_E10value_typeET4_T5_PSR_SS_PNS1_23onesweep_lookback_stateEbbT6_jjT7_P12ihipStream_tbENKUlT_T0_SG_SL_E_clIS9_SA_SB_SB_EEDaSZ_S10_SG_SL_EUlSZ_E_NS1_11comp_targetILNS1_3genE8ELNS1_11target_archE1030ELNS1_3gpuE2ELNS1_3repE0EEENS1_47radix_sort_onesweep_sort_config_static_selectorELNS0_4arch9wavefront6targetE0EEEvSG_.numbered_sgpr, 0
	.set _ZN7rocprim17ROCPRIM_400000_NS6detail17trampoline_kernelINS0_14default_configENS1_35radix_sort_onesweep_config_selectorIsNS0_10empty_typeEEEZZNS1_29radix_sort_onesweep_iterationIS3_Lb0EPKsPsPS5_SB_mNS0_19identity_decomposerENS1_16block_id_wrapperIjLb1EEEEE10hipError_tT1_PNSt15iterator_traitsISG_E10value_typeET2_T3_PNSH_ISM_E10value_typeET4_T5_PSR_SS_PNS1_23onesweep_lookback_stateEbbT6_jjT7_P12ihipStream_tbENKUlT_T0_SG_SL_E_clIS9_SA_SB_SB_EEDaSZ_S10_SG_SL_EUlSZ_E_NS1_11comp_targetILNS1_3genE8ELNS1_11target_archE1030ELNS1_3gpuE2ELNS1_3repE0EEENS1_47radix_sort_onesweep_sort_config_static_selectorELNS0_4arch9wavefront6targetE0EEEvSG_.num_named_barrier, 0
	.set _ZN7rocprim17ROCPRIM_400000_NS6detail17trampoline_kernelINS0_14default_configENS1_35radix_sort_onesweep_config_selectorIsNS0_10empty_typeEEEZZNS1_29radix_sort_onesweep_iterationIS3_Lb0EPKsPsPS5_SB_mNS0_19identity_decomposerENS1_16block_id_wrapperIjLb1EEEEE10hipError_tT1_PNSt15iterator_traitsISG_E10value_typeET2_T3_PNSH_ISM_E10value_typeET4_T5_PSR_SS_PNS1_23onesweep_lookback_stateEbbT6_jjT7_P12ihipStream_tbENKUlT_T0_SG_SL_E_clIS9_SA_SB_SB_EEDaSZ_S10_SG_SL_EUlSZ_E_NS1_11comp_targetILNS1_3genE8ELNS1_11target_archE1030ELNS1_3gpuE2ELNS1_3repE0EEENS1_47radix_sort_onesweep_sort_config_static_selectorELNS0_4arch9wavefront6targetE0EEEvSG_.private_seg_size, 0
	.set _ZN7rocprim17ROCPRIM_400000_NS6detail17trampoline_kernelINS0_14default_configENS1_35radix_sort_onesweep_config_selectorIsNS0_10empty_typeEEEZZNS1_29radix_sort_onesweep_iterationIS3_Lb0EPKsPsPS5_SB_mNS0_19identity_decomposerENS1_16block_id_wrapperIjLb1EEEEE10hipError_tT1_PNSt15iterator_traitsISG_E10value_typeET2_T3_PNSH_ISM_E10value_typeET4_T5_PSR_SS_PNS1_23onesweep_lookback_stateEbbT6_jjT7_P12ihipStream_tbENKUlT_T0_SG_SL_E_clIS9_SA_SB_SB_EEDaSZ_S10_SG_SL_EUlSZ_E_NS1_11comp_targetILNS1_3genE8ELNS1_11target_archE1030ELNS1_3gpuE2ELNS1_3repE0EEENS1_47radix_sort_onesweep_sort_config_static_selectorELNS0_4arch9wavefront6targetE0EEEvSG_.uses_vcc, 0
	.set _ZN7rocprim17ROCPRIM_400000_NS6detail17trampoline_kernelINS0_14default_configENS1_35radix_sort_onesweep_config_selectorIsNS0_10empty_typeEEEZZNS1_29radix_sort_onesweep_iterationIS3_Lb0EPKsPsPS5_SB_mNS0_19identity_decomposerENS1_16block_id_wrapperIjLb1EEEEE10hipError_tT1_PNSt15iterator_traitsISG_E10value_typeET2_T3_PNSH_ISM_E10value_typeET4_T5_PSR_SS_PNS1_23onesweep_lookback_stateEbbT6_jjT7_P12ihipStream_tbENKUlT_T0_SG_SL_E_clIS9_SA_SB_SB_EEDaSZ_S10_SG_SL_EUlSZ_E_NS1_11comp_targetILNS1_3genE8ELNS1_11target_archE1030ELNS1_3gpuE2ELNS1_3repE0EEENS1_47radix_sort_onesweep_sort_config_static_selectorELNS0_4arch9wavefront6targetE0EEEvSG_.uses_flat_scratch, 0
	.set _ZN7rocprim17ROCPRIM_400000_NS6detail17trampoline_kernelINS0_14default_configENS1_35radix_sort_onesweep_config_selectorIsNS0_10empty_typeEEEZZNS1_29radix_sort_onesweep_iterationIS3_Lb0EPKsPsPS5_SB_mNS0_19identity_decomposerENS1_16block_id_wrapperIjLb1EEEEE10hipError_tT1_PNSt15iterator_traitsISG_E10value_typeET2_T3_PNSH_ISM_E10value_typeET4_T5_PSR_SS_PNS1_23onesweep_lookback_stateEbbT6_jjT7_P12ihipStream_tbENKUlT_T0_SG_SL_E_clIS9_SA_SB_SB_EEDaSZ_S10_SG_SL_EUlSZ_E_NS1_11comp_targetILNS1_3genE8ELNS1_11target_archE1030ELNS1_3gpuE2ELNS1_3repE0EEENS1_47radix_sort_onesweep_sort_config_static_selectorELNS0_4arch9wavefront6targetE0EEEvSG_.has_dyn_sized_stack, 0
	.set _ZN7rocprim17ROCPRIM_400000_NS6detail17trampoline_kernelINS0_14default_configENS1_35radix_sort_onesweep_config_selectorIsNS0_10empty_typeEEEZZNS1_29radix_sort_onesweep_iterationIS3_Lb0EPKsPsPS5_SB_mNS0_19identity_decomposerENS1_16block_id_wrapperIjLb1EEEEE10hipError_tT1_PNSt15iterator_traitsISG_E10value_typeET2_T3_PNSH_ISM_E10value_typeET4_T5_PSR_SS_PNS1_23onesweep_lookback_stateEbbT6_jjT7_P12ihipStream_tbENKUlT_T0_SG_SL_E_clIS9_SA_SB_SB_EEDaSZ_S10_SG_SL_EUlSZ_E_NS1_11comp_targetILNS1_3genE8ELNS1_11target_archE1030ELNS1_3gpuE2ELNS1_3repE0EEENS1_47radix_sort_onesweep_sort_config_static_selectorELNS0_4arch9wavefront6targetE0EEEvSG_.has_recursion, 0
	.set _ZN7rocprim17ROCPRIM_400000_NS6detail17trampoline_kernelINS0_14default_configENS1_35radix_sort_onesweep_config_selectorIsNS0_10empty_typeEEEZZNS1_29radix_sort_onesweep_iterationIS3_Lb0EPKsPsPS5_SB_mNS0_19identity_decomposerENS1_16block_id_wrapperIjLb1EEEEE10hipError_tT1_PNSt15iterator_traitsISG_E10value_typeET2_T3_PNSH_ISM_E10value_typeET4_T5_PSR_SS_PNS1_23onesweep_lookback_stateEbbT6_jjT7_P12ihipStream_tbENKUlT_T0_SG_SL_E_clIS9_SA_SB_SB_EEDaSZ_S10_SG_SL_EUlSZ_E_NS1_11comp_targetILNS1_3genE8ELNS1_11target_archE1030ELNS1_3gpuE2ELNS1_3repE0EEENS1_47radix_sort_onesweep_sort_config_static_selectorELNS0_4arch9wavefront6targetE0EEEvSG_.has_indirect_call, 0
	.section	.AMDGPU.csdata,"",@progbits
; Kernel info:
; codeLenInByte = 0
; TotalNumSgprs: 0
; NumVgprs: 0
; ScratchSize: 0
; MemoryBound: 0
; FloatMode: 240
; IeeeMode: 1
; LDSByteSize: 0 bytes/workgroup (compile time only)
; SGPRBlocks: 0
; VGPRBlocks: 0
; NumSGPRsForWavesPerEU: 1
; NumVGPRsForWavesPerEU: 1
; NamedBarCnt: 0
; Occupancy: 16
; WaveLimiterHint : 0
; COMPUTE_PGM_RSRC2:SCRATCH_EN: 0
; COMPUTE_PGM_RSRC2:USER_SGPR: 2
; COMPUTE_PGM_RSRC2:TRAP_HANDLER: 0
; COMPUTE_PGM_RSRC2:TGID_X_EN: 1
; COMPUTE_PGM_RSRC2:TGID_Y_EN: 0
; COMPUTE_PGM_RSRC2:TGID_Z_EN: 0
; COMPUTE_PGM_RSRC2:TIDIG_COMP_CNT: 0
	.section	.text._ZN7rocprim17ROCPRIM_400000_NS6detail17trampoline_kernelINS0_14default_configENS1_35radix_sort_onesweep_config_selectorIsNS0_10empty_typeEEEZZNS1_29radix_sort_onesweep_iterationIS3_Lb0EPKsPsPS5_SB_mNS0_19identity_decomposerENS1_16block_id_wrapperIjLb1EEEEE10hipError_tT1_PNSt15iterator_traitsISG_E10value_typeET2_T3_PNSH_ISM_E10value_typeET4_T5_PSR_SS_PNS1_23onesweep_lookback_stateEbbT6_jjT7_P12ihipStream_tbENKUlT_T0_SG_SL_E_clISA_SA_SB_SB_EEDaSZ_S10_SG_SL_EUlSZ_E_NS1_11comp_targetILNS1_3genE0ELNS1_11target_archE4294967295ELNS1_3gpuE0ELNS1_3repE0EEENS1_47radix_sort_onesweep_sort_config_static_selectorELNS0_4arch9wavefront6targetE0EEEvSG_,"axG",@progbits,_ZN7rocprim17ROCPRIM_400000_NS6detail17trampoline_kernelINS0_14default_configENS1_35radix_sort_onesweep_config_selectorIsNS0_10empty_typeEEEZZNS1_29radix_sort_onesweep_iterationIS3_Lb0EPKsPsPS5_SB_mNS0_19identity_decomposerENS1_16block_id_wrapperIjLb1EEEEE10hipError_tT1_PNSt15iterator_traitsISG_E10value_typeET2_T3_PNSH_ISM_E10value_typeET4_T5_PSR_SS_PNS1_23onesweep_lookback_stateEbbT6_jjT7_P12ihipStream_tbENKUlT_T0_SG_SL_E_clISA_SA_SB_SB_EEDaSZ_S10_SG_SL_EUlSZ_E_NS1_11comp_targetILNS1_3genE0ELNS1_11target_archE4294967295ELNS1_3gpuE0ELNS1_3repE0EEENS1_47radix_sort_onesweep_sort_config_static_selectorELNS0_4arch9wavefront6targetE0EEEvSG_,comdat
	.protected	_ZN7rocprim17ROCPRIM_400000_NS6detail17trampoline_kernelINS0_14default_configENS1_35radix_sort_onesweep_config_selectorIsNS0_10empty_typeEEEZZNS1_29radix_sort_onesweep_iterationIS3_Lb0EPKsPsPS5_SB_mNS0_19identity_decomposerENS1_16block_id_wrapperIjLb1EEEEE10hipError_tT1_PNSt15iterator_traitsISG_E10value_typeET2_T3_PNSH_ISM_E10value_typeET4_T5_PSR_SS_PNS1_23onesweep_lookback_stateEbbT6_jjT7_P12ihipStream_tbENKUlT_T0_SG_SL_E_clISA_SA_SB_SB_EEDaSZ_S10_SG_SL_EUlSZ_E_NS1_11comp_targetILNS1_3genE0ELNS1_11target_archE4294967295ELNS1_3gpuE0ELNS1_3repE0EEENS1_47radix_sort_onesweep_sort_config_static_selectorELNS0_4arch9wavefront6targetE0EEEvSG_ ; -- Begin function _ZN7rocprim17ROCPRIM_400000_NS6detail17trampoline_kernelINS0_14default_configENS1_35radix_sort_onesweep_config_selectorIsNS0_10empty_typeEEEZZNS1_29radix_sort_onesweep_iterationIS3_Lb0EPKsPsPS5_SB_mNS0_19identity_decomposerENS1_16block_id_wrapperIjLb1EEEEE10hipError_tT1_PNSt15iterator_traitsISG_E10value_typeET2_T3_PNSH_ISM_E10value_typeET4_T5_PSR_SS_PNS1_23onesweep_lookback_stateEbbT6_jjT7_P12ihipStream_tbENKUlT_T0_SG_SL_E_clISA_SA_SB_SB_EEDaSZ_S10_SG_SL_EUlSZ_E_NS1_11comp_targetILNS1_3genE0ELNS1_11target_archE4294967295ELNS1_3gpuE0ELNS1_3repE0EEENS1_47radix_sort_onesweep_sort_config_static_selectorELNS0_4arch9wavefront6targetE0EEEvSG_
	.globl	_ZN7rocprim17ROCPRIM_400000_NS6detail17trampoline_kernelINS0_14default_configENS1_35radix_sort_onesweep_config_selectorIsNS0_10empty_typeEEEZZNS1_29radix_sort_onesweep_iterationIS3_Lb0EPKsPsPS5_SB_mNS0_19identity_decomposerENS1_16block_id_wrapperIjLb1EEEEE10hipError_tT1_PNSt15iterator_traitsISG_E10value_typeET2_T3_PNSH_ISM_E10value_typeET4_T5_PSR_SS_PNS1_23onesweep_lookback_stateEbbT6_jjT7_P12ihipStream_tbENKUlT_T0_SG_SL_E_clISA_SA_SB_SB_EEDaSZ_S10_SG_SL_EUlSZ_E_NS1_11comp_targetILNS1_3genE0ELNS1_11target_archE4294967295ELNS1_3gpuE0ELNS1_3repE0EEENS1_47radix_sort_onesweep_sort_config_static_selectorELNS0_4arch9wavefront6targetE0EEEvSG_
	.p2align	8
	.type	_ZN7rocprim17ROCPRIM_400000_NS6detail17trampoline_kernelINS0_14default_configENS1_35radix_sort_onesweep_config_selectorIsNS0_10empty_typeEEEZZNS1_29radix_sort_onesweep_iterationIS3_Lb0EPKsPsPS5_SB_mNS0_19identity_decomposerENS1_16block_id_wrapperIjLb1EEEEE10hipError_tT1_PNSt15iterator_traitsISG_E10value_typeET2_T3_PNSH_ISM_E10value_typeET4_T5_PSR_SS_PNS1_23onesweep_lookback_stateEbbT6_jjT7_P12ihipStream_tbENKUlT_T0_SG_SL_E_clISA_SA_SB_SB_EEDaSZ_S10_SG_SL_EUlSZ_E_NS1_11comp_targetILNS1_3genE0ELNS1_11target_archE4294967295ELNS1_3gpuE0ELNS1_3repE0EEENS1_47radix_sort_onesweep_sort_config_static_selectorELNS0_4arch9wavefront6targetE0EEEvSG_,@function
_ZN7rocprim17ROCPRIM_400000_NS6detail17trampoline_kernelINS0_14default_configENS1_35radix_sort_onesweep_config_selectorIsNS0_10empty_typeEEEZZNS1_29radix_sort_onesweep_iterationIS3_Lb0EPKsPsPS5_SB_mNS0_19identity_decomposerENS1_16block_id_wrapperIjLb1EEEEE10hipError_tT1_PNSt15iterator_traitsISG_E10value_typeET2_T3_PNSH_ISM_E10value_typeET4_T5_PSR_SS_PNS1_23onesweep_lookback_stateEbbT6_jjT7_P12ihipStream_tbENKUlT_T0_SG_SL_E_clISA_SA_SB_SB_EEDaSZ_S10_SG_SL_EUlSZ_E_NS1_11comp_targetILNS1_3genE0ELNS1_11target_archE4294967295ELNS1_3gpuE0ELNS1_3repE0EEENS1_47radix_sort_onesweep_sort_config_static_selectorELNS0_4arch9wavefront6targetE0EEEvSG_: ; @_ZN7rocprim17ROCPRIM_400000_NS6detail17trampoline_kernelINS0_14default_configENS1_35radix_sort_onesweep_config_selectorIsNS0_10empty_typeEEEZZNS1_29radix_sort_onesweep_iterationIS3_Lb0EPKsPsPS5_SB_mNS0_19identity_decomposerENS1_16block_id_wrapperIjLb1EEEEE10hipError_tT1_PNSt15iterator_traitsISG_E10value_typeET2_T3_PNSH_ISM_E10value_typeET4_T5_PSR_SS_PNS1_23onesweep_lookback_stateEbbT6_jjT7_P12ihipStream_tbENKUlT_T0_SG_SL_E_clISA_SA_SB_SB_EEDaSZ_S10_SG_SL_EUlSZ_E_NS1_11comp_targetILNS1_3genE0ELNS1_11target_archE4294967295ELNS1_3gpuE0ELNS1_3repE0EEENS1_47radix_sort_onesweep_sort_config_static_selectorELNS0_4arch9wavefront6targetE0EEEvSG_
; %bb.0:
	s_clause 0x1
	s_load_b128 s[12:15], s[0:1], 0x28
	s_load_b64 s[10:11], s[0:1], 0x38
	v_and_b32_e32 v14, 0x3ff, v0
	s_delay_alu instid0(VALU_DEP_1)
	v_cmp_eq_u32_e64 s2, 0, v14
	s_and_saveexec_b32 s3, s2
	s_cbranch_execz .LBB722_4
; %bb.1:
	s_mov_b32 s5, exec_lo
	s_mov_b32 s4, exec_lo
	v_mbcnt_lo_u32_b32 v1, s5, 0
                                        ; implicit-def: $vgpr2
	s_delay_alu instid0(VALU_DEP_1)
	v_cmpx_eq_u32_e32 0, v1
	s_cbranch_execz .LBB722_3
; %bb.2:
	s_load_b64 s[6:7], s[0:1], 0x50
	s_bcnt1_i32_b32 s5, s5
	s_delay_alu instid0(SALU_CYCLE_1)
	v_dual_mov_b32 v2, 0 :: v_dual_mov_b32 v3, s5
	s_wait_xcnt 0x0
	s_wait_kmcnt 0x0
	global_atomic_add_u32 v2, v2, v3, s[6:7] th:TH_ATOMIC_RETURN scope:SCOPE_DEV
.LBB722_3:
	s_wait_xcnt 0x0
	s_or_b32 exec_lo, exec_lo, s4
	s_wait_loadcnt 0x0
	v_readfirstlane_b32 s4, v2
	s_delay_alu instid0(VALU_DEP_1)
	v_dual_mov_b32 v2, 0 :: v_dual_add_nc_u32 v1, s4, v1
	ds_store_b32 v2, v1 offset:18496
.LBB722_4:
	s_or_b32 exec_lo, exec_lo, s3
	v_mov_b32_e32 v5, 0
	s_clause 0x2
	s_load_b128 s[16:19], s[0:1], 0x0
	s_load_b32 s3, s[0:1], 0x20
	s_load_b96 s[20:22], s[0:1], 0x44
	s_wait_dscnt 0x0
	s_barrier_signal -1
	s_barrier_wait -1
	ds_load_b32 v1, v5 offset:18496
	v_mbcnt_lo_u32_b32 v15, -1, 0
	v_and_b32_e32 v16, 0x3e0, v14
	s_mov_b32 s4, -1
	s_add_nc_u64 s[26:27], s[0:1], 0x58
	s_getreg_b32 s28, hwreg(HW_REG_IB_STS2, 6, 4)
	s_wait_dscnt 0x0
	s_barrier_signal -1
	s_barrier_wait -1
	s_wait_kmcnt 0x0
	v_cmp_le_u32_e32 vcc_lo, s22, v1
	v_readfirstlane_b32 s23, v1
	s_mul_i32 s24, s23, 0x1800
	s_cbranch_vccz .LBB722_100
; %bb.5:
	s_mov_b32 s25, 0
	v_mov_b32_e32 v2, 0x7fff7fff
	v_lshlrev_b32_e32 v4, 1, v15
	s_lshl_b64 s[4:5], s[24:25], 1
	v_mul_u32_u24_e32 v3, 12, v16
	s_add_nc_u64 s[4:5], s[16:17], s[4:5]
	s_mulk_i32 s22, 0xe800
	v_add_nc_u64_e32 v[6:7], s[4:5], v[4:5]
	s_add_co_i32 s22, s22, s3
	v_dual_lshlrev_b32 v4, 1, v3 :: v_dual_bitop2_b32 v1, v15, v3 bitop3:0x54
	v_mov_b32_e32 v3, v2
	s_mov_b32 s3, exec_lo
	s_delay_alu instid0(VALU_DEP_2)
	v_add_nc_u64_e32 v[10:11], v[6:7], v[4:5]
	v_dual_mov_b32 v4, v2 :: v_dual_mov_b32 v5, v2
	v_dual_mov_b32 v6, v2 :: v_dual_mov_b32 v7, v2
	v_cmpx_gt_u32_e64 s22, v1
	s_cbranch_execz .LBB722_7
; %bb.6:
	global_load_u16 v3, v[10:11], off
	s_movk_i32 s4, 0x7fff
	v_dual_mov_b32 v5, v2 :: v_dual_mov_b32 v6, v2
	v_dual_mov_b32 v7, v2 :: v_dual_mov_b32 v8, v2
	v_mov_b32_e32 v9, v2
	s_wait_loadcnt 0x0
	v_perm_b32 v4, s4, v3, 0x5040100
	s_delay_alu instid0(VALU_DEP_1)
	v_mov_b64_e32 v[2:3], v[4:5]
	v_mov_b64_e32 v[4:5], v[6:7]
	;; [unrolled: 1-line block ×4, first 2 shown]
.LBB722_7:
	s_or_b32 exec_lo, exec_lo, s3
	v_or_b32_e32 v8, 32, v1
	s_mov_b32 s3, exec_lo
	s_delay_alu instid0(VALU_DEP_1)
	v_cmpx_gt_u32_e64 s22, v8
	s_cbranch_execz .LBB722_9
; %bb.8:
	global_load_u16 v8, v[10:11], off offset:64
	s_wait_loadcnt 0x0
	v_perm_b32 v2, v8, v2, 0x5040100
.LBB722_9:
	s_or_b32 exec_lo, exec_lo, s3
	v_or_b32_e32 v8, 64, v1
	s_mov_b32 s3, exec_lo
	s_delay_alu instid0(VALU_DEP_1)
	v_cmpx_gt_u32_e64 s22, v8
	s_cbranch_execz .LBB722_11
; %bb.10:
	global_load_u16 v8, v[10:11], off offset:128
	s_wait_loadcnt 0x0
	v_bfi_b32 v3, 0xffff, v8, v3
.LBB722_11:
	s_or_b32 exec_lo, exec_lo, s3
	v_or_b32_e32 v8, 0x60, v1
	s_mov_b32 s3, exec_lo
	s_delay_alu instid0(VALU_DEP_1)
	v_cmpx_gt_u32_e64 s22, v8
	s_cbranch_execz .LBB722_13
; %bb.12:
	global_load_u16 v8, v[10:11], off offset:192
	s_wait_loadcnt 0x0
	v_perm_b32 v3, v8, v3, 0x5040100
.LBB722_13:
	s_or_b32 exec_lo, exec_lo, s3
	v_add_nc_u32_e32 v8, 0x80, v1
	s_mov_b32 s3, exec_lo
	s_delay_alu instid0(VALU_DEP_1)
	v_cmpx_gt_u32_e64 s22, v8
	s_cbranch_execz .LBB722_15
; %bb.14:
	global_load_u16 v8, v[10:11], off offset:256
	s_wait_loadcnt 0x0
	v_bfi_b32 v4, 0xffff, v8, v4
.LBB722_15:
	s_or_b32 exec_lo, exec_lo, s3
	v_add_nc_u32_e32 v8, 0xa0, v1
	s_mov_b32 s3, exec_lo
	s_delay_alu instid0(VALU_DEP_1)
	v_cmpx_gt_u32_e64 s22, v8
	s_cbranch_execz .LBB722_17
; %bb.16:
	global_load_u16 v8, v[10:11], off offset:320
	s_wait_loadcnt 0x0
	v_perm_b32 v4, v8, v4, 0x5040100
.LBB722_17:
	s_or_b32 exec_lo, exec_lo, s3
	v_add_nc_u32_e32 v8, 0xc0, v1
	s_mov_b32 s3, exec_lo
	s_delay_alu instid0(VALU_DEP_1)
	v_cmpx_gt_u32_e64 s22, v8
	s_cbranch_execz .LBB722_19
; %bb.18:
	global_load_u16 v8, v[10:11], off offset:384
	s_wait_loadcnt 0x0
	v_bfi_b32 v5, 0xffff, v8, v5
.LBB722_19:
	s_or_b32 exec_lo, exec_lo, s3
	v_add_nc_u32_e32 v8, 0xe0, v1
	;; [unrolled: 22-line block ×4, first 2 shown]
	s_mov_b32 s3, exec_lo
	s_delay_alu instid0(VALU_DEP_1)
	v_cmpx_gt_u32_e64 s22, v1
	s_cbranch_execz .LBB722_29
; %bb.28:
	global_load_u16 v1, v[10:11], off offset:704
	s_wait_loadcnt 0x0
	v_perm_b32 v7, v1, v7, 0x5040100
.LBB722_29:
	s_or_b32 exec_lo, exec_lo, s3
	s_clause 0x1
	s_load_b32 s25, s[0:1], 0x58
	s_load_u16 s3, s[0:1], 0x66
	v_xor_b32_e32 v1, 0xffff8000, v2
	s_bfe_u32 s4, ttmp6, 0x4000c
	s_and_b32 s5, ttmp6, 15
	s_add_co_i32 s4, s4, 1
	v_bfe_u32 v8, v0, 10, 10
	s_mul_i32 s4, ttmp9, s4
	v_and_b32_e32 v9, 0xffff, v1
	s_add_co_i32 s5, s5, s4
	s_cmp_eq_u32 s28, 0
	v_bfe_u32 v10, v0, 20, 10
	s_cselect_b32 s4, ttmp9, s5
	v_lshrrev_b32_e32 v9, s20, v9
	s_mov_b32 s5, 0
	s_wait_kmcnt 0x0
	s_cmp_lt_u32 s4, s25
	v_mad_u32_u24 v8, v10, s3, v8
	s_cselect_b32 s4, 12, 18
	s_lshl_b32 s6, -1, s21
	s_add_nc_u64 s[4:5], s[26:27], s[4:5]
	v_bitop3_b32 v11, v9, s6, v9 bitop3:0x30
	s_load_u16 s7, s[4:5], 0x0
	s_not_b32 s29, s6
	s_delay_alu instid0(VALU_DEP_1) | instskip(SKIP_3) | instid1(VALU_DEP_3)
	v_lshlrev_b32_e32 v12, 30, v11
	v_bitop3_b32 v10, v9, 1, s6 bitop3:0x40
	v_dual_lshlrev_b32 v13, 29, v11 :: v_dual_lshlrev_b32 v17, 28, v11
	v_dual_lshlrev_b32 v18, 27, v11 :: v_dual_lshlrev_b32 v19, 26, v11
	v_add_co_u32 v9, s3, v10, -1
	s_delay_alu instid0(VALU_DEP_1)
	v_cndmask_b32_e64 v10, 0, 1, s3
	v_cmp_gt_i32_e64 s3, 0, v12
	s_wait_xcnt 0x0
	v_cmp_gt_i32_e64 s4, 0, v13
	v_cmp_gt_i32_e64 s5, 0, v17
	v_dual_lshlrev_b32 v20, 25, v11 :: v_dual_lshlrev_b32 v21, 24, v11
	v_cmp_ne_u32_e32 vcc_lo, 0, v10
	v_not_b32_e32 v10, v12
	v_not_b32_e32 v12, v13
	;; [unrolled: 1-line block ×4, first 2 shown]
	s_delay_alu instid0(VALU_DEP_4) | instskip(NEXT) | instid1(VALU_DEP_3)
	v_dual_ashrrev_i32 v10, 31, v10 :: v_dual_bitop2_b32 v9, vcc_lo, v9 bitop3:0x14
	v_dual_ashrrev_i32 v12, 31, v12 :: v_dual_ashrrev_i32 v13, 31, v13
	v_not_b32_e32 v22, v19
	s_wait_kmcnt 0x0
	v_mad_u32 v8, v8, s7, v14
	v_xor_b32_e32 v10, s3, v10
	v_xor_b32_e32 v12, s4, v12
	;; [unrolled: 1-line block ×3, first 2 shown]
	v_cmp_gt_i32_e32 vcc_lo, 0, v18
	v_cmp_gt_i32_e64 s3, 0, v19
	v_bitop3_b32 v9, v9, v10, exec_lo bitop3:0x80
	v_dual_ashrrev_i32 v10, 31, v17 :: v_dual_ashrrev_i32 v17, 31, v22
	v_mul_u32_u24_e32 v11, 0x44, v11
	s_delay_alu instid0(VALU_DEP_3)
	v_bitop3_b32 v9, v9, v13, v12 bitop3:0x80
	v_not_b32_e32 v12, v20
	v_not_b32_e32 v13, v21
	v_xor_b32_e32 v10, vcc_lo, v10
	v_dual_lshrrev_b32 v8, 3, v8 :: v_dual_bitop2_b32 v17, s3, v17 bitop3:0x14
	v_cmp_gt_i32_e32 vcc_lo, 0, v20
	v_ashrrev_i32_e32 v18, 31, v12
	v_cmp_gt_i32_e64 s3, 0, v21
	v_ashrrev_i32_e32 v13, 31, v13
	v_bitop3_b32 v9, v9, v17, v10 bitop3:0x80
	s_delay_alu instid0(VALU_DEP_4) | instskip(SKIP_1) | instid1(VALU_DEP_4)
	v_dual_mov_b32 v17, 0 :: v_dual_bitop2_b32 v10, vcc_lo, v18 bitop3:0x14
	v_and_b32_e32 v8, 0x1ffffffc, v8
	v_xor_b32_e32 v13, s3, v13
	v_mul_u32_u24_e32 v12, 36, v14
	ds_store_2addr_b32 v12, v17, v17 offset0:16 offset1:17
	ds_store_2addr_b32 v12, v17, v17 offset0:18 offset1:19
	;; [unrolled: 1-line block ×4, first 2 shown]
	v_bitop3_b32 v9, v9, v13, v10 bitop3:0x80
	v_add_nc_u32_e32 v13, v8, v11
	ds_store_b32 v12, v17 offset:96
	s_wait_dscnt 0x0
	s_barrier_signal -1
	v_mbcnt_lo_u32_b32 v10, v9, 0
	v_cmp_ne_u32_e64 s3, 0, v9
	s_barrier_wait -1
	s_delay_alu instid0(VALU_DEP_2) | instskip(SKIP_1) | instid1(SALU_CYCLE_1)
	v_cmp_eq_u32_e32 vcc_lo, 0, v10
	; wave barrier
	s_and_b32 s4, s3, vcc_lo
	s_and_saveexec_b32 s3, s4
; %bb.30:
	v_bcnt_u32_b32 v9, v9, 0
	ds_store_b32 v13, v9 offset:64
; %bb.31:
	s_or_b32 exec_lo, exec_lo, s3
	v_lshrrev_b32_e32 v2, 16, v2
	; wave barrier
	s_delay_alu instid0(VALU_DEP_1) | instskip(NEXT) | instid1(VALU_DEP_1)
	v_xor_b32_e32 v11, 0xffff8000, v2
	v_and_b32_e32 v2, 0xffff, v11
	s_delay_alu instid0(VALU_DEP_1) | instskip(NEXT) | instid1(VALU_DEP_1)
	v_lshrrev_b32_e32 v2, s20, v2
	v_and_b32_e32 v17, s29, v2
	s_delay_alu instid0(VALU_DEP_1) | instskip(SKIP_2) | instid1(VALU_DEP_3)
	v_lshlrev_b32_e32 v19, 29, v17
	v_bitop3_b32 v9, v2, 1, s29 bitop3:0x80
	v_lshlrev_b32_e32 v18, 30, v17
	v_cmp_gt_i32_e64 s4, 0, v19
	s_delay_alu instid0(VALU_DEP_3) | instskip(NEXT) | instid1(VALU_DEP_1)
	v_add_co_u32 v2, s3, v9, -1
	v_cndmask_b32_e64 v9, 0, 1, s3
	s_delay_alu instid0(VALU_DEP_4) | instskip(NEXT) | instid1(VALU_DEP_2)
	v_cmp_gt_i32_e64 s3, 0, v18
	v_cmp_ne_u32_e32 vcc_lo, 0, v9
	v_not_b32_e32 v9, v18
	v_not_b32_e32 v18, v19
	s_delay_alu instid0(VALU_DEP_2) | instskip(SKIP_3) | instid1(VALU_DEP_3)
	v_dual_ashrrev_i32 v9, 31, v9 :: v_dual_bitop2_b32 v2, vcc_lo, v2 bitop3:0x14
	v_dual_lshlrev_b32 v20, 28, v17 :: v_dual_lshlrev_b32 v21, 27, v17
	v_dual_lshlrev_b32 v22, 26, v17 :: v_dual_lshlrev_b32 v23, 25, v17
	v_lshlrev_b32_e32 v24, 24, v17
	v_not_b32_e32 v19, v20
	v_cmp_gt_i32_e64 s5, 0, v20
	v_cmp_gt_i32_e64 s6, 0, v21
	v_not_b32_e32 v20, v21
	v_not_b32_e32 v21, v22
	v_dual_ashrrev_i32 v18, 31, v18 :: v_dual_ashrrev_i32 v19, 31, v19
	s_delay_alu instid0(VALU_DEP_3)
	v_dual_ashrrev_i32 v20, 31, v20 :: v_dual_bitop2_b32 v9, s3, v9 bitop3:0x14
	v_cmp_gt_i32_e64 s7, 0, v22
	v_cmp_gt_i32_e64 s8, 0, v23
	v_not_b32_e32 v22, v23
	v_not_b32_e32 v23, v24
	v_dual_ashrrev_i32 v21, 31, v21 :: v_dual_bitop2_b32 v18, s4, v18 bitop3:0x14
	v_xor_b32_e32 v19, s5, v19
	v_bitop3_b32 v2, v2, v9, exec_lo bitop3:0x80
	v_cmp_gt_i32_e64 s9, 0, v24
	v_dual_ashrrev_i32 v9, 31, v22 :: v_dual_ashrrev_i32 v22, 31, v23
	v_xor_b32_e32 v20, s6, v20
	v_xor_b32_e32 v21, s7, v21
	v_bitop3_b32 v2, v2, v19, v18 bitop3:0x80
	v_mad_u32_u24 v18, 0x44, v17, v8
	v_xor_b32_e32 v9, s8, v9
	v_xor_b32_e32 v19, s9, v22
	s_delay_alu instid0(VALU_DEP_4) | instskip(SKIP_3) | instid1(VALU_DEP_2)
	v_bitop3_b32 v2, v2, v21, v20 bitop3:0x80
	ds_load_b32 v18, v18 offset:64
	; wave barrier
	v_bitop3_b32 v2, v2, v19, v9 bitop3:0x80
	v_mul_u32_u24_e32 v9, 0x44, v17
	v_mbcnt_lo_u32_b32 v19, v2, 0
	v_cmp_ne_u32_e64 s3, 0, v2
	s_delay_alu instid0(VALU_DEP_3) | instskip(NEXT) | instid1(VALU_DEP_3)
	v_add_nc_u32_e32 v20, v8, v9
	v_cmp_eq_u32_e32 vcc_lo, 0, v19
	s_and_b32 s4, s3, vcc_lo
	s_delay_alu instid0(SALU_CYCLE_1)
	s_and_saveexec_b32 s3, s4
	s_cbranch_execz .LBB722_33
; %bb.32:
	s_wait_dscnt 0x0
	v_bcnt_u32_b32 v2, v2, v18
	ds_store_b32 v20, v2 offset:64
.LBB722_33:
	s_or_b32 exec_lo, exec_lo, s3
	v_xor_b32_e32 v17, 0xffff8000, v3
	; wave barrier
	s_delay_alu instid0(VALU_DEP_1) | instskip(NEXT) | instid1(VALU_DEP_1)
	v_and_b32_e32 v2, 0xffff, v17
	v_lshrrev_b32_e32 v2, s20, v2
	s_delay_alu instid0(VALU_DEP_1) | instskip(NEXT) | instid1(VALU_DEP_1)
	v_and_b32_e32 v21, s29, v2
	v_lshlrev_b32_e32 v22, 30, v21
	v_bitop3_b32 v9, v2, 1, s29 bitop3:0x80
	s_delay_alu instid0(VALU_DEP_1) | instskip(NEXT) | instid1(VALU_DEP_1)
	v_add_co_u32 v2, s3, v9, -1
	v_cndmask_b32_e64 v9, 0, 1, s3
	s_delay_alu instid0(VALU_DEP_4) | instskip(NEXT) | instid1(VALU_DEP_2)
	v_cmp_gt_i32_e64 s3, 0, v22
	v_cmp_ne_u32_e32 vcc_lo, 0, v9
	v_not_b32_e32 v9, v22
	s_delay_alu instid0(VALU_DEP_1) | instskip(SKIP_3) | instid1(VALU_DEP_3)
	v_ashrrev_i32_e32 v9, 31, v9
	v_dual_lshlrev_b32 v23, 29, v21 :: v_dual_lshlrev_b32 v24, 28, v21
	v_dual_lshlrev_b32 v25, 27, v21 :: v_dual_lshlrev_b32 v26, 26, v21
	;; [unrolled: 1-line block ×3, first 2 shown]
	v_cmp_gt_i32_e64 s4, 0, v23
	v_not_b32_e32 v22, v23
	v_not_b32_e32 v23, v24
	v_cmp_gt_i32_e64 s5, 0, v24
	v_cmp_gt_i32_e64 s6, 0, v25
	v_not_b32_e32 v24, v25
	v_not_b32_e32 v25, v26
	v_dual_ashrrev_i32 v23, 31, v23 :: v_dual_bitop2_b32 v2, vcc_lo, v2 bitop3:0x14
	v_dual_ashrrev_i32 v22, 31, v22 :: v_dual_bitop2_b32 v9, s3, v9 bitop3:0x14
	v_cmp_gt_i32_e64 s7, 0, v26
	v_cmp_gt_i32_e64 s8, 0, v27
	v_not_b32_e32 v26, v27
	v_not_b32_e32 v27, v28
	v_dual_ashrrev_i32 v24, 31, v24 :: v_dual_ashrrev_i32 v25, 31, v25
	v_xor_b32_e32 v22, s4, v22
	v_xor_b32_e32 v23, s5, v23
	v_bitop3_b32 v2, v2, v9, exec_lo bitop3:0x80
	v_cmp_gt_i32_e64 s9, 0, v28
	v_dual_ashrrev_i32 v9, 31, v26 :: v_dual_ashrrev_i32 v26, 31, v27
	v_xor_b32_e32 v24, s6, v24
	v_xor_b32_e32 v25, s7, v25
	v_bitop3_b32 v2, v2, v23, v22 bitop3:0x80
	v_mad_u32_u24 v22, 0x44, v21, v8
	v_xor_b32_e32 v9, s8, v9
	v_xor_b32_e32 v23, s9, v26
	s_delay_alu instid0(VALU_DEP_4) | instskip(SKIP_3) | instid1(VALU_DEP_2)
	v_bitop3_b32 v2, v2, v25, v24 bitop3:0x80
	ds_load_b32 v22, v22 offset:64
	; wave barrier
	v_bitop3_b32 v2, v2, v23, v9 bitop3:0x80
	v_mul_u32_u24_e32 v9, 0x44, v21
	v_mbcnt_lo_u32_b32 v23, v2, 0
	v_cmp_ne_u32_e64 s3, 0, v2
	s_delay_alu instid0(VALU_DEP_3) | instskip(NEXT) | instid1(VALU_DEP_3)
	v_add_nc_u32_e32 v24, v8, v9
	v_cmp_eq_u32_e32 vcc_lo, 0, v23
	s_and_b32 s4, s3, vcc_lo
	s_delay_alu instid0(SALU_CYCLE_1)
	s_and_saveexec_b32 s3, s4
	s_cbranch_execz .LBB722_35
; %bb.34:
	s_wait_dscnt 0x0
	v_bcnt_u32_b32 v2, v2, v22
	ds_store_b32 v24, v2 offset:64
.LBB722_35:
	s_or_b32 exec_lo, exec_lo, s3
	v_lshrrev_b32_e32 v2, 16, v3
	; wave barrier
	s_delay_alu instid0(VALU_DEP_1) | instskip(NEXT) | instid1(VALU_DEP_1)
	v_xor_b32_e32 v21, 0xffff8000, v2
	v_and_b32_e32 v2, 0xffff, v21
	s_delay_alu instid0(VALU_DEP_1) | instskip(NEXT) | instid1(VALU_DEP_1)
	v_lshrrev_b32_e32 v2, s20, v2
	v_and_b32_e32 v9, s29, v2
	s_delay_alu instid0(VALU_DEP_1) | instskip(SKIP_2) | instid1(VALU_DEP_3)
	v_lshlrev_b32_e32 v26, 29, v9
	v_bitop3_b32 v3, v2, 1, s29 bitop3:0x80
	v_lshlrev_b32_e32 v25, 30, v9
	v_cmp_gt_i32_e64 s4, 0, v26
	s_delay_alu instid0(VALU_DEP_3) | instskip(NEXT) | instid1(VALU_DEP_1)
	v_add_co_u32 v2, s3, v3, -1
	v_cndmask_b32_e64 v3, 0, 1, s3
	s_delay_alu instid0(VALU_DEP_4) | instskip(NEXT) | instid1(VALU_DEP_2)
	v_cmp_gt_i32_e64 s3, 0, v25
	v_cmp_ne_u32_e32 vcc_lo, 0, v3
	v_not_b32_e32 v3, v25
	v_not_b32_e32 v25, v26
	s_delay_alu instid0(VALU_DEP_2) | instskip(SKIP_3) | instid1(VALU_DEP_3)
	v_dual_ashrrev_i32 v3, 31, v3 :: v_dual_bitop2_b32 v2, vcc_lo, v2 bitop3:0x14
	v_dual_lshlrev_b32 v27, 28, v9 :: v_dual_lshlrev_b32 v28, 27, v9
	v_dual_lshlrev_b32 v29, 26, v9 :: v_dual_lshlrev_b32 v30, 25, v9
	v_lshlrev_b32_e32 v31, 24, v9
	v_not_b32_e32 v26, v27
	v_cmp_gt_i32_e64 s5, 0, v27
	v_cmp_gt_i32_e64 s6, 0, v28
	v_not_b32_e32 v27, v28
	v_not_b32_e32 v28, v29
	v_dual_ashrrev_i32 v25, 31, v25 :: v_dual_ashrrev_i32 v26, 31, v26
	v_xor_b32_e32 v3, s3, v3
	v_cmp_gt_i32_e64 s7, 0, v29
	v_cmp_gt_i32_e64 s8, 0, v30
	v_not_b32_e32 v29, v30
	v_not_b32_e32 v30, v31
	v_dual_ashrrev_i32 v27, 31, v27 :: v_dual_bitop2_b32 v25, s4, v25 bitop3:0x14
	v_dual_ashrrev_i32 v28, 31, v28 :: v_dual_bitop2_b32 v26, s5, v26 bitop3:0x14
	v_bitop3_b32 v2, v2, v3, exec_lo bitop3:0x80
	v_cmp_gt_i32_e64 s9, 0, v31
	v_dual_ashrrev_i32 v3, 31, v29 :: v_dual_ashrrev_i32 v29, 31, v30
	v_xor_b32_e32 v27, s6, v27
	v_xor_b32_e32 v28, s7, v28
	v_bitop3_b32 v2, v2, v26, v25 bitop3:0x80
	v_mad_u32_u24 v25, 0x44, v9, v8
	v_xor_b32_e32 v3, s8, v3
	v_xor_b32_e32 v29, s9, v29
	s_delay_alu instid0(VALU_DEP_4) | instskip(SKIP_3) | instid1(VALU_DEP_2)
	v_bitop3_b32 v2, v2, v28, v27 bitop3:0x80
	ds_load_b32 v26, v25 offset:64
	; wave barrier
	v_bitop3_b32 v2, v2, v29, v3 bitop3:0x80
	v_mul_u32_u24_e32 v3, 0x44, v9
	v_mbcnt_lo_u32_b32 v27, v2, 0
	v_cmp_ne_u32_e64 s3, 0, v2
	s_delay_alu instid0(VALU_DEP_3) | instskip(NEXT) | instid1(VALU_DEP_3)
	v_add_nc_u32_e32 v28, v8, v3
	v_cmp_eq_u32_e32 vcc_lo, 0, v27
	s_and_b32 s4, s3, vcc_lo
	s_delay_alu instid0(SALU_CYCLE_1)
	s_and_saveexec_b32 s3, s4
	s_cbranch_execz .LBB722_37
; %bb.36:
	s_wait_dscnt 0x0
	v_bcnt_u32_b32 v2, v2, v26
	ds_store_b32 v28, v2 offset:64
.LBB722_37:
	s_or_b32 exec_lo, exec_lo, s3
	v_xor_b32_e32 v25, 0xffff8000, v4
	; wave barrier
	s_delay_alu instid0(VALU_DEP_1) | instskip(NEXT) | instid1(VALU_DEP_1)
	v_and_b32_e32 v2, 0xffff, v25
	v_lshrrev_b32_e32 v2, s20, v2
	s_delay_alu instid0(VALU_DEP_1) | instskip(NEXT) | instid1(VALU_DEP_1)
	v_and_b32_e32 v9, s29, v2
	v_lshlrev_b32_e32 v29, 30, v9
	v_bitop3_b32 v3, v2, 1, s29 bitop3:0x80
	s_delay_alu instid0(VALU_DEP_1) | instskip(NEXT) | instid1(VALU_DEP_1)
	v_add_co_u32 v2, s3, v3, -1
	v_cndmask_b32_e64 v3, 0, 1, s3
	s_delay_alu instid0(VALU_DEP_4) | instskip(NEXT) | instid1(VALU_DEP_2)
	v_cmp_gt_i32_e64 s3, 0, v29
	v_cmp_ne_u32_e32 vcc_lo, 0, v3
	v_not_b32_e32 v3, v29
	s_delay_alu instid0(VALU_DEP_1) | instskip(SKIP_3) | instid1(VALU_DEP_4)
	v_dual_ashrrev_i32 v3, 31, v3 :: v_dual_lshlrev_b32 v30, 29, v9
	v_dual_lshlrev_b32 v31, 28, v9 :: v_dual_lshlrev_b32 v32, 27, v9
	v_dual_lshlrev_b32 v33, 26, v9 :: v_dual_lshlrev_b32 v34, 25, v9
	v_lshlrev_b32_e32 v35, 24, v9
	v_cmp_gt_i32_e64 s4, 0, v30
	v_not_b32_e32 v29, v30
	v_not_b32_e32 v30, v31
	v_cmp_gt_i32_e64 s5, 0, v31
	v_cmp_gt_i32_e64 s6, 0, v32
	v_not_b32_e32 v31, v32
	v_not_b32_e32 v32, v33
	v_dual_ashrrev_i32 v29, 31, v29 :: v_dual_bitop2_b32 v2, vcc_lo, v2 bitop3:0x14
	v_dual_ashrrev_i32 v30, 31, v30 :: v_dual_bitop2_b32 v3, s3, v3 bitop3:0x14
	v_cmp_gt_i32_e64 s7, 0, v33
	v_cmp_gt_i32_e64 s8, 0, v34
	v_not_b32_e32 v33, v34
	v_not_b32_e32 v34, v35
	v_dual_ashrrev_i32 v31, 31, v31 :: v_dual_ashrrev_i32 v32, 31, v32
	v_xor_b32_e32 v29, s4, v29
	v_xor_b32_e32 v30, s5, v30
	v_bitop3_b32 v2, v2, v3, exec_lo bitop3:0x80
	v_cmp_gt_i32_e64 s9, 0, v35
	v_dual_ashrrev_i32 v3, 31, v33 :: v_dual_ashrrev_i32 v33, 31, v34
	v_xor_b32_e32 v31, s6, v31
	v_xor_b32_e32 v32, s7, v32
	v_bitop3_b32 v2, v2, v30, v29 bitop3:0x80
	v_mad_u32_u24 v29, 0x44, v9, v8
	v_xor_b32_e32 v3, s8, v3
	v_xor_b32_e32 v30, s9, v33
	s_delay_alu instid0(VALU_DEP_4) | instskip(SKIP_3) | instid1(VALU_DEP_2)
	v_bitop3_b32 v2, v2, v32, v31 bitop3:0x80
	ds_load_b32 v29, v29 offset:64
	; wave barrier
	v_bitop3_b32 v2, v2, v30, v3 bitop3:0x80
	v_mul_u32_u24_e32 v3, 0x44, v9
	v_mbcnt_lo_u32_b32 v31, v2, 0
	v_cmp_ne_u32_e64 s3, 0, v2
	s_delay_alu instid0(VALU_DEP_3) | instskip(NEXT) | instid1(VALU_DEP_3)
	v_add_nc_u32_e32 v32, v8, v3
	v_cmp_eq_u32_e32 vcc_lo, 0, v31
	s_and_b32 s4, s3, vcc_lo
	s_delay_alu instid0(SALU_CYCLE_1)
	s_and_saveexec_b32 s3, s4
	s_cbranch_execz .LBB722_39
; %bb.38:
	s_wait_dscnt 0x0
	v_bcnt_u32_b32 v2, v2, v29
	ds_store_b32 v32, v2 offset:64
.LBB722_39:
	s_or_b32 exec_lo, exec_lo, s3
	v_lshrrev_b32_e32 v2, 16, v4
	; wave barrier
	s_delay_alu instid0(VALU_DEP_1) | instskip(NEXT) | instid1(VALU_DEP_1)
	v_xor_b32_e32 v30, 0xffff8000, v2
	v_and_b32_e32 v2, 0xffff, v30
	s_delay_alu instid0(VALU_DEP_1) | instskip(NEXT) | instid1(VALU_DEP_1)
	v_lshrrev_b32_e32 v2, s20, v2
	v_and_b32_e32 v4, s29, v2
	s_delay_alu instid0(VALU_DEP_1) | instskip(SKIP_2) | instid1(VALU_DEP_3)
	v_lshlrev_b32_e32 v33, 29, v4
	v_bitop3_b32 v3, v2, 1, s29 bitop3:0x80
	v_lshlrev_b32_e32 v9, 30, v4
	v_cmp_gt_i32_e64 s4, 0, v33
	s_delay_alu instid0(VALU_DEP_3) | instskip(NEXT) | instid1(VALU_DEP_1)
	v_add_co_u32 v2, s3, v3, -1
	v_cndmask_b32_e64 v3, 0, 1, s3
	s_delay_alu instid0(VALU_DEP_4) | instskip(NEXT) | instid1(VALU_DEP_2)
	v_cmp_gt_i32_e64 s3, 0, v9
	v_cmp_ne_u32_e32 vcc_lo, 0, v3
	v_not_b32_e32 v3, v9
	v_not_b32_e32 v9, v33
	s_delay_alu instid0(VALU_DEP_2) | instskip(SKIP_3) | instid1(VALU_DEP_3)
	v_dual_ashrrev_i32 v3, 31, v3 :: v_dual_bitop2_b32 v2, vcc_lo, v2 bitop3:0x14
	v_dual_lshlrev_b32 v34, 28, v4 :: v_dual_lshlrev_b32 v35, 27, v4
	v_dual_lshlrev_b32 v36, 26, v4 :: v_dual_lshlrev_b32 v37, 25, v4
	v_lshlrev_b32_e32 v38, 24, v4
	v_not_b32_e32 v33, v34
	v_cmp_gt_i32_e64 s5, 0, v34
	v_cmp_gt_i32_e64 s6, 0, v35
	v_not_b32_e32 v34, v35
	v_not_b32_e32 v35, v36
	v_dual_ashrrev_i32 v9, 31, v9 :: v_dual_bitop2_b32 v3, s3, v3 bitop3:0x14
	s_delay_alu instid0(VALU_DEP_3)
	v_dual_ashrrev_i32 v33, 31, v33 :: v_dual_ashrrev_i32 v34, 31, v34
	v_cmp_gt_i32_e64 s7, 0, v36
	v_cmp_gt_i32_e64 s8, 0, v37
	v_not_b32_e32 v36, v37
	v_not_b32_e32 v37, v38
	v_dual_ashrrev_i32 v35, 31, v35 :: v_dual_bitop2_b32 v9, s4, v9 bitop3:0x14
	v_xor_b32_e32 v33, s5, v33
	v_bitop3_b32 v2, v2, v3, exec_lo bitop3:0x80
	v_cmp_gt_i32_e64 s9, 0, v38
	v_dual_ashrrev_i32 v3, 31, v36 :: v_dual_ashrrev_i32 v36, 31, v37
	v_xor_b32_e32 v34, s6, v34
	v_xor_b32_e32 v35, s7, v35
	v_bitop3_b32 v2, v2, v33, v9 bitop3:0x80
	v_mad_u32_u24 v9, 0x44, v4, v8
	v_xor_b32_e32 v3, s8, v3
	v_xor_b32_e32 v36, s9, v36
	s_delay_alu instid0(VALU_DEP_4) | instskip(SKIP_3) | instid1(VALU_DEP_2)
	v_bitop3_b32 v2, v2, v35, v34 bitop3:0x80
	ds_load_b32 v33, v9 offset:64
	; wave barrier
	v_bitop3_b32 v2, v2, v36, v3 bitop3:0x80
	v_mul_u32_u24_e32 v3, 0x44, v4
	v_mbcnt_lo_u32_b32 v34, v2, 0
	v_cmp_ne_u32_e64 s3, 0, v2
	s_delay_alu instid0(VALU_DEP_3) | instskip(NEXT) | instid1(VALU_DEP_3)
	v_add_nc_u32_e32 v37, v8, v3
	v_cmp_eq_u32_e32 vcc_lo, 0, v34
	s_and_b32 s4, s3, vcc_lo
	s_delay_alu instid0(SALU_CYCLE_1)
	s_and_saveexec_b32 s3, s4
	s_cbranch_execz .LBB722_41
; %bb.40:
	s_wait_dscnt 0x0
	v_bcnt_u32_b32 v2, v2, v33
	ds_store_b32 v37, v2 offset:64
.LBB722_41:
	s_or_b32 exec_lo, exec_lo, s3
	v_xor_b32_e32 v35, 0xffff8000, v5
	; wave barrier
	s_delay_alu instid0(VALU_DEP_1) | instskip(NEXT) | instid1(VALU_DEP_1)
	v_and_b32_e32 v2, 0xffff, v35
	v_lshrrev_b32_e32 v2, s20, v2
	s_delay_alu instid0(VALU_DEP_1) | instskip(NEXT) | instid1(VALU_DEP_1)
	v_and_b32_e32 v4, s29, v2
	v_lshlrev_b32_e32 v9, 30, v4
	v_bitop3_b32 v3, v2, 1, s29 bitop3:0x80
	s_delay_alu instid0(VALU_DEP_1) | instskip(NEXT) | instid1(VALU_DEP_1)
	v_add_co_u32 v2, s3, v3, -1
	v_cndmask_b32_e64 v3, 0, 1, s3
	s_delay_alu instid0(VALU_DEP_4) | instskip(NEXT) | instid1(VALU_DEP_2)
	v_cmp_gt_i32_e64 s3, 0, v9
	v_cmp_ne_u32_e32 vcc_lo, 0, v3
	v_not_b32_e32 v3, v9
	s_delay_alu instid0(VALU_DEP_1) | instskip(SKIP_3) | instid1(VALU_DEP_4)
	v_dual_ashrrev_i32 v3, 31, v3 :: v_dual_lshlrev_b32 v36, 29, v4
	v_dual_lshlrev_b32 v38, 28, v4 :: v_dual_lshlrev_b32 v39, 27, v4
	v_dual_lshlrev_b32 v40, 26, v4 :: v_dual_lshlrev_b32 v41, 25, v4
	v_lshlrev_b32_e32 v42, 24, v4
	v_cmp_gt_i32_e64 s4, 0, v36
	v_not_b32_e32 v9, v36
	v_not_b32_e32 v36, v38
	v_cmp_gt_i32_e64 s5, 0, v38
	v_cmp_gt_i32_e64 s6, 0, v39
	v_not_b32_e32 v38, v39
	v_not_b32_e32 v39, v40
	v_dual_ashrrev_i32 v9, 31, v9 :: v_dual_bitop2_b32 v2, vcc_lo, v2 bitop3:0x14
	v_dual_ashrrev_i32 v36, 31, v36 :: v_dual_bitop2_b32 v3, s3, v3 bitop3:0x14
	v_cmp_gt_i32_e64 s7, 0, v40
	v_cmp_gt_i32_e64 s8, 0, v41
	v_not_b32_e32 v40, v41
	v_not_b32_e32 v41, v42
	v_dual_ashrrev_i32 v38, 31, v38 :: v_dual_ashrrev_i32 v39, 31, v39
	v_xor_b32_e32 v9, s4, v9
	v_xor_b32_e32 v36, s5, v36
	v_bitop3_b32 v2, v2, v3, exec_lo bitop3:0x80
	v_cmp_gt_i32_e64 s9, 0, v42
	v_dual_ashrrev_i32 v3, 31, v40 :: v_dual_ashrrev_i32 v40, 31, v41
	v_xor_b32_e32 v38, s6, v38
	v_xor_b32_e32 v39, s7, v39
	v_bitop3_b32 v2, v2, v36, v9 bitop3:0x80
	v_mad_u32_u24 v9, 0x44, v4, v8
	v_xor_b32_e32 v3, s8, v3
	v_xor_b32_e32 v36, s9, v40
	s_delay_alu instid0(VALU_DEP_4) | instskip(SKIP_3) | instid1(VALU_DEP_2)
	v_bitop3_b32 v2, v2, v39, v38 bitop3:0x80
	ds_load_b32 v38, v9 offset:64
	; wave barrier
	v_bitop3_b32 v2, v2, v36, v3 bitop3:0x80
	v_mul_u32_u24_e32 v3, 0x44, v4
	v_mbcnt_lo_u32_b32 v39, v2, 0
	v_cmp_ne_u32_e64 s3, 0, v2
	s_delay_alu instid0(VALU_DEP_3) | instskip(NEXT) | instid1(VALU_DEP_3)
	v_add_nc_u32_e32 v42, v8, v3
	v_cmp_eq_u32_e32 vcc_lo, 0, v39
	s_and_b32 s4, s3, vcc_lo
	s_delay_alu instid0(SALU_CYCLE_1)
	s_and_saveexec_b32 s3, s4
	s_cbranch_execz .LBB722_43
; %bb.42:
	s_wait_dscnt 0x0
	v_bcnt_u32_b32 v2, v2, v38
	ds_store_b32 v42, v2 offset:64
.LBB722_43:
	s_or_b32 exec_lo, exec_lo, s3
	v_lshrrev_b32_e32 v2, 16, v5
	; wave barrier
	s_delay_alu instid0(VALU_DEP_1) | instskip(NEXT) | instid1(VALU_DEP_1)
	v_xor_b32_e32 v36, 0xffff8000, v2
	v_and_b32_e32 v2, 0xffff, v36
	s_delay_alu instid0(VALU_DEP_1) | instskip(NEXT) | instid1(VALU_DEP_1)
	v_lshrrev_b32_e32 v2, s20, v2
	v_and_b32_e32 v4, s29, v2
	s_delay_alu instid0(VALU_DEP_1) | instskip(SKIP_2) | instid1(VALU_DEP_3)
	v_lshlrev_b32_e32 v9, 29, v4
	v_bitop3_b32 v3, v2, 1, s29 bitop3:0x80
	v_lshlrev_b32_e32 v5, 30, v4
	v_cmp_gt_i32_e64 s4, 0, v9
	s_delay_alu instid0(VALU_DEP_3) | instskip(NEXT) | instid1(VALU_DEP_1)
	v_add_co_u32 v2, s3, v3, -1
	v_cndmask_b32_e64 v3, 0, 1, s3
	s_delay_alu instid0(VALU_DEP_4) | instskip(NEXT) | instid1(VALU_DEP_2)
	v_cmp_gt_i32_e64 s3, 0, v5
	v_cmp_ne_u32_e32 vcc_lo, 0, v3
	v_not_b32_e32 v3, v5
	v_not_b32_e32 v5, v9
	s_delay_alu instid0(VALU_DEP_2) | instskip(SKIP_3) | instid1(VALU_DEP_3)
	v_dual_ashrrev_i32 v3, 31, v3 :: v_dual_bitop2_b32 v2, vcc_lo, v2 bitop3:0x14
	v_dual_lshlrev_b32 v40, 28, v4 :: v_dual_lshlrev_b32 v41, 27, v4
	v_dual_lshlrev_b32 v43, 26, v4 :: v_dual_lshlrev_b32 v44, 25, v4
	v_lshlrev_b32_e32 v45, 24, v4
	v_not_b32_e32 v9, v40
	v_cmp_gt_i32_e64 s5, 0, v40
	v_cmp_gt_i32_e64 s6, 0, v41
	v_not_b32_e32 v40, v41
	v_not_b32_e32 v41, v43
	v_dual_ashrrev_i32 v5, 31, v5 :: v_dual_bitop2_b32 v3, s3, v3 bitop3:0x14
	s_delay_alu instid0(VALU_DEP_3)
	v_dual_ashrrev_i32 v9, 31, v9 :: v_dual_ashrrev_i32 v40, 31, v40
	v_cmp_gt_i32_e64 s7, 0, v43
	v_cmp_gt_i32_e64 s8, 0, v44
	v_not_b32_e32 v43, v44
	v_not_b32_e32 v44, v45
	v_ashrrev_i32_e32 v41, 31, v41
	v_xor_b32_e32 v5, s4, v5
	v_xor_b32_e32 v9, s5, v9
	v_bitop3_b32 v2, v2, v3, exec_lo bitop3:0x80
	v_cmp_gt_i32_e64 s9, 0, v45
	v_dual_ashrrev_i32 v3, 31, v43 :: v_dual_ashrrev_i32 v43, 31, v44
	v_xor_b32_e32 v40, s6, v40
	v_xor_b32_e32 v41, s7, v41
	v_bitop3_b32 v2, v2, v9, v5 bitop3:0x80
	v_mad_u32_u24 v5, 0x44, v4, v8
	v_xor_b32_e32 v3, s8, v3
	v_xor_b32_e32 v9, s9, v43
	s_delay_alu instid0(VALU_DEP_4) | instskip(SKIP_3) | instid1(VALU_DEP_2)
	v_bitop3_b32 v2, v2, v41, v40 bitop3:0x80
	ds_load_b32 v41, v5 offset:64
	; wave barrier
	v_bitop3_b32 v2, v2, v9, v3 bitop3:0x80
	v_mul_u32_u24_e32 v3, 0x44, v4
	v_mbcnt_lo_u32_b32 v43, v2, 0
	v_cmp_ne_u32_e64 s3, 0, v2
	s_delay_alu instid0(VALU_DEP_3) | instskip(NEXT) | instid1(VALU_DEP_3)
	v_add_nc_u32_e32 v47, v8, v3
	v_cmp_eq_u32_e32 vcc_lo, 0, v43
	s_and_b32 s4, s3, vcc_lo
	s_delay_alu instid0(SALU_CYCLE_1)
	s_and_saveexec_b32 s3, s4
	s_cbranch_execz .LBB722_45
; %bb.44:
	s_wait_dscnt 0x0
	v_bcnt_u32_b32 v2, v2, v41
	ds_store_b32 v47, v2 offset:64
.LBB722_45:
	s_or_b32 exec_lo, exec_lo, s3
	v_xor_b32_e32 v40, 0xffff8000, v6
	; wave barrier
	s_delay_alu instid0(VALU_DEP_1) | instskip(NEXT) | instid1(VALU_DEP_1)
	v_and_b32_e32 v2, 0xffff, v40
	v_lshrrev_b32_e32 v2, s20, v2
	s_delay_alu instid0(VALU_DEP_1) | instskip(NEXT) | instid1(VALU_DEP_1)
	v_and_b32_e32 v4, s29, v2
	v_lshlrev_b32_e32 v5, 30, v4
	v_bitop3_b32 v3, v2, 1, s29 bitop3:0x80
	s_delay_alu instid0(VALU_DEP_1) | instskip(NEXT) | instid1(VALU_DEP_1)
	v_add_co_u32 v2, s3, v3, -1
	v_cndmask_b32_e64 v3, 0, 1, s3
	s_delay_alu instid0(VALU_DEP_4) | instskip(NEXT) | instid1(VALU_DEP_2)
	v_cmp_gt_i32_e64 s3, 0, v5
	v_cmp_ne_u32_e32 vcc_lo, 0, v3
	v_not_b32_e32 v3, v5
	s_delay_alu instid0(VALU_DEP_1) | instskip(SKIP_3) | instid1(VALU_DEP_4)
	v_dual_ashrrev_i32 v3, 31, v3 :: v_dual_lshlrev_b32 v9, 29, v4
	v_dual_lshlrev_b32 v44, 28, v4 :: v_dual_lshlrev_b32 v45, 27, v4
	v_dual_lshlrev_b32 v46, 26, v4 :: v_dual_lshlrev_b32 v48, 25, v4
	v_lshlrev_b32_e32 v49, 24, v4
	v_cmp_gt_i32_e64 s4, 0, v9
	v_not_b32_e32 v5, v9
	v_not_b32_e32 v9, v44
	v_cmp_gt_i32_e64 s5, 0, v44
	v_cmp_gt_i32_e64 s6, 0, v45
	v_not_b32_e32 v44, v45
	v_not_b32_e32 v45, v46
	v_dual_ashrrev_i32 v5, 31, v5 :: v_dual_bitop2_b32 v2, vcc_lo, v2 bitop3:0x14
	v_dual_ashrrev_i32 v9, 31, v9 :: v_dual_bitop2_b32 v3, s3, v3 bitop3:0x14
	v_cmp_gt_i32_e64 s7, 0, v46
	v_cmp_gt_i32_e64 s8, 0, v48
	v_not_b32_e32 v46, v48
	v_not_b32_e32 v48, v49
	v_dual_ashrrev_i32 v44, 31, v44 :: v_dual_ashrrev_i32 v45, 31, v45
	v_xor_b32_e32 v5, s4, v5
	v_xor_b32_e32 v9, s5, v9
	v_bitop3_b32 v2, v2, v3, exec_lo bitop3:0x80
	v_cmp_gt_i32_e64 s9, 0, v49
	v_dual_ashrrev_i32 v3, 31, v46 :: v_dual_ashrrev_i32 v46, 31, v48
	v_xor_b32_e32 v44, s6, v44
	v_xor_b32_e32 v45, s7, v45
	v_bitop3_b32 v2, v2, v9, v5 bitop3:0x80
	v_mad_u32_u24 v5, 0x44, v4, v8
	v_xor_b32_e32 v3, s8, v3
	v_xor_b32_e32 v9, s9, v46
	s_delay_alu instid0(VALU_DEP_4) | instskip(SKIP_3) | instid1(VALU_DEP_2)
	v_bitop3_b32 v2, v2, v45, v44 bitop3:0x80
	ds_load_b32 v44, v5 offset:64
	; wave barrier
	v_bitop3_b32 v2, v2, v9, v3 bitop3:0x80
	v_mul_u32_u24_e32 v3, 0x44, v4
	v_mbcnt_lo_u32_b32 v46, v2, 0
	v_cmp_ne_u32_e64 s3, 0, v2
	s_delay_alu instid0(VALU_DEP_3) | instskip(NEXT) | instid1(VALU_DEP_3)
	v_add_nc_u32_e32 v51, v8, v3
	v_cmp_eq_u32_e32 vcc_lo, 0, v46
	s_and_b32 s4, s3, vcc_lo
	s_delay_alu instid0(SALU_CYCLE_1)
	s_and_saveexec_b32 s3, s4
	s_cbranch_execz .LBB722_47
; %bb.46:
	s_wait_dscnt 0x0
	v_bcnt_u32_b32 v2, v2, v44
	ds_store_b32 v51, v2 offset:64
.LBB722_47:
	s_or_b32 exec_lo, exec_lo, s3
	v_lshrrev_b32_e32 v2, 16, v6
	; wave barrier
	s_delay_alu instid0(VALU_DEP_1) | instskip(NEXT) | instid1(VALU_DEP_1)
	v_xor_b32_e32 v45, 0xffff8000, v2
	v_and_b32_e32 v2, 0xffff, v45
	s_delay_alu instid0(VALU_DEP_1) | instskip(NEXT) | instid1(VALU_DEP_1)
	v_lshrrev_b32_e32 v2, s20, v2
	v_and_b32_e32 v4, s29, v2
	s_delay_alu instid0(VALU_DEP_1) | instskip(SKIP_2) | instid1(VALU_DEP_3)
	v_lshlrev_b32_e32 v6, 29, v4
	v_bitop3_b32 v3, v2, 1, s29 bitop3:0x80
	v_lshlrev_b32_e32 v5, 30, v4
	v_cmp_gt_i32_e64 s4, 0, v6
	s_delay_alu instid0(VALU_DEP_3) | instskip(NEXT) | instid1(VALU_DEP_1)
	v_add_co_u32 v2, s3, v3, -1
	v_cndmask_b32_e64 v3, 0, 1, s3
	s_delay_alu instid0(VALU_DEP_4) | instskip(NEXT) | instid1(VALU_DEP_2)
	v_cmp_gt_i32_e64 s3, 0, v5
	v_cmp_ne_u32_e32 vcc_lo, 0, v3
	v_not_b32_e32 v3, v5
	v_not_b32_e32 v5, v6
	s_delay_alu instid0(VALU_DEP_2) | instskip(SKIP_3) | instid1(VALU_DEP_3)
	v_dual_ashrrev_i32 v3, 31, v3 :: v_dual_bitop2_b32 v2, vcc_lo, v2 bitop3:0x14
	v_dual_lshlrev_b32 v9, 28, v4 :: v_dual_lshlrev_b32 v48, 27, v4
	v_dual_lshlrev_b32 v49, 26, v4 :: v_dual_lshlrev_b32 v50, 25, v4
	v_lshlrev_b32_e32 v52, 24, v4
	v_not_b32_e32 v6, v9
	v_cmp_gt_i32_e64 s5, 0, v9
	v_cmp_gt_i32_e64 s6, 0, v48
	v_not_b32_e32 v9, v48
	v_not_b32_e32 v48, v49
	v_dual_ashrrev_i32 v5, 31, v5 :: v_dual_ashrrev_i32 v6, 31, v6
	s_delay_alu instid0(VALU_DEP_3)
	v_dual_ashrrev_i32 v9, 31, v9 :: v_dual_bitop2_b32 v3, s3, v3 bitop3:0x14
	v_cmp_gt_i32_e64 s7, 0, v49
	v_cmp_gt_i32_e64 s8, 0, v50
	v_not_b32_e32 v49, v50
	v_not_b32_e32 v50, v52
	v_dual_ashrrev_i32 v48, 31, v48 :: v_dual_bitop2_b32 v5, s4, v5 bitop3:0x14
	v_xor_b32_e32 v6, s5, v6
	v_bitop3_b32 v2, v2, v3, exec_lo bitop3:0x80
	v_cmp_gt_i32_e64 s9, 0, v52
	v_dual_ashrrev_i32 v3, 31, v49 :: v_dual_ashrrev_i32 v49, 31, v50
	v_xor_b32_e32 v9, s6, v9
	v_xor_b32_e32 v48, s7, v48
	v_bitop3_b32 v2, v2, v6, v5 bitop3:0x80
	v_mad_u32_u24 v5, 0x44, v4, v8
	v_xor_b32_e32 v3, s8, v3
	v_xor_b32_e32 v6, s9, v49
	s_delay_alu instid0(VALU_DEP_4) | instskip(SKIP_3) | instid1(VALU_DEP_2)
	v_bitop3_b32 v2, v2, v48, v9 bitop3:0x80
	ds_load_b32 v48, v5 offset:64
	; wave barrier
	v_bitop3_b32 v2, v2, v6, v3 bitop3:0x80
	v_mul_u32_u24_e32 v3, 0x44, v4
	v_mbcnt_lo_u32_b32 v50, v2, 0
	v_cmp_ne_u32_e64 s3, 0, v2
	s_delay_alu instid0(VALU_DEP_3) | instskip(NEXT) | instid1(VALU_DEP_3)
	v_add_nc_u32_e32 v55, v8, v3
	v_cmp_eq_u32_e32 vcc_lo, 0, v50
	s_and_b32 s4, s3, vcc_lo
	s_delay_alu instid0(SALU_CYCLE_1)
	s_and_saveexec_b32 s3, s4
	s_cbranch_execz .LBB722_49
; %bb.48:
	s_wait_dscnt 0x0
	v_bcnt_u32_b32 v2, v2, v48
	ds_store_b32 v55, v2 offset:64
.LBB722_49:
	s_or_b32 exec_lo, exec_lo, s3
	v_xor_b32_e32 v49, 0xffff8000, v7
	; wave barrier
	s_delay_alu instid0(VALU_DEP_1) | instskip(NEXT) | instid1(VALU_DEP_1)
	v_and_b32_e32 v2, 0xffff, v49
	v_lshrrev_b32_e32 v2, s20, v2
	s_delay_alu instid0(VALU_DEP_1) | instskip(NEXT) | instid1(VALU_DEP_1)
	v_and_b32_e32 v4, s29, v2
	v_lshlrev_b32_e32 v5, 30, v4
	v_bitop3_b32 v3, v2, 1, s29 bitop3:0x80
	s_delay_alu instid0(VALU_DEP_1) | instskip(NEXT) | instid1(VALU_DEP_1)
	v_add_co_u32 v2, s3, v3, -1
	v_cndmask_b32_e64 v3, 0, 1, s3
	s_delay_alu instid0(VALU_DEP_4) | instskip(NEXT) | instid1(VALU_DEP_2)
	v_cmp_gt_i32_e64 s3, 0, v5
	v_cmp_ne_u32_e32 vcc_lo, 0, v3
	v_not_b32_e32 v3, v5
	s_delay_alu instid0(VALU_DEP_1) | instskip(SKIP_3) | instid1(VALU_DEP_4)
	v_dual_ashrrev_i32 v3, 31, v3 :: v_dual_lshlrev_b32 v6, 29, v4
	v_dual_lshlrev_b32 v9, 28, v4 :: v_dual_lshlrev_b32 v52, 27, v4
	v_dual_lshlrev_b32 v53, 26, v4 :: v_dual_lshlrev_b32 v54, 25, v4
	v_lshlrev_b32_e32 v56, 24, v4
	v_cmp_gt_i32_e64 s4, 0, v6
	v_not_b32_e32 v5, v6
	v_not_b32_e32 v6, v9
	v_cmp_gt_i32_e64 s5, 0, v9
	v_cmp_gt_i32_e64 s6, 0, v52
	v_not_b32_e32 v9, v52
	v_not_b32_e32 v52, v53
	v_dual_ashrrev_i32 v5, 31, v5 :: v_dual_bitop2_b32 v2, vcc_lo, v2 bitop3:0x14
	v_dual_ashrrev_i32 v6, 31, v6 :: v_dual_bitop2_b32 v3, s3, v3 bitop3:0x14
	v_cmp_gt_i32_e64 s7, 0, v53
	v_cmp_gt_i32_e64 s8, 0, v54
	v_not_b32_e32 v53, v54
	v_not_b32_e32 v54, v56
	v_dual_ashrrev_i32 v9, 31, v9 :: v_dual_ashrrev_i32 v52, 31, v52
	v_xor_b32_e32 v5, s4, v5
	v_xor_b32_e32 v6, s5, v6
	v_bitop3_b32 v2, v2, v3, exec_lo bitop3:0x80
	v_cmp_gt_i32_e64 s9, 0, v56
	v_dual_ashrrev_i32 v3, 31, v53 :: v_dual_ashrrev_i32 v53, 31, v54
	v_xor_b32_e32 v9, s6, v9
	v_xor_b32_e32 v52, s7, v52
	v_bitop3_b32 v2, v2, v6, v5 bitop3:0x80
	v_mad_u32_u24 v5, 0x44, v4, v8
	v_xor_b32_e32 v3, s8, v3
	v_xor_b32_e32 v6, s9, v53
	s_delay_alu instid0(VALU_DEP_4) | instskip(SKIP_3) | instid1(VALU_DEP_2)
	v_bitop3_b32 v2, v2, v52, v9 bitop3:0x80
	ds_load_b32 v52, v5 offset:64
	; wave barrier
	v_bitop3_b32 v2, v2, v6, v3 bitop3:0x80
	v_mul_u32_u24_e32 v3, 0x44, v4
	v_mbcnt_lo_u32_b32 v53, v2, 0
	v_cmp_ne_u32_e64 s3, 0, v2
	s_delay_alu instid0(VALU_DEP_3) | instskip(NEXT) | instid1(VALU_DEP_3)
	v_add_nc_u32_e32 v58, v8, v3
	v_cmp_eq_u32_e32 vcc_lo, 0, v53
	s_and_b32 s4, s3, vcc_lo
	s_delay_alu instid0(SALU_CYCLE_1)
	s_and_saveexec_b32 s3, s4
	s_cbranch_execz .LBB722_51
; %bb.50:
	s_wait_dscnt 0x0
	v_bcnt_u32_b32 v2, v2, v52
	ds_store_b32 v58, v2 offset:64
.LBB722_51:
	s_or_b32 exec_lo, exec_lo, s3
	v_lshrrev_b32_e32 v2, 16, v7
	; wave barrier
	s_delay_alu instid0(VALU_DEP_1) | instskip(NEXT) | instid1(VALU_DEP_1)
	v_xor_b32_e32 v54, 0xffff8000, v2
	v_and_b32_e32 v2, 0xffff, v54
	s_delay_alu instid0(VALU_DEP_1) | instskip(NEXT) | instid1(VALU_DEP_1)
	v_lshrrev_b32_e32 v2, s20, v2
	v_and_b32_e32 v4, s29, v2
	s_delay_alu instid0(VALU_DEP_1) | instskip(SKIP_2) | instid1(VALU_DEP_3)
	v_lshlrev_b32_e32 v6, 29, v4
	v_bitop3_b32 v3, v2, 1, s29 bitop3:0x80
	v_lshlrev_b32_e32 v5, 30, v4
	v_cmp_gt_i32_e64 s4, 0, v6
	s_delay_alu instid0(VALU_DEP_3) | instskip(NEXT) | instid1(VALU_DEP_1)
	v_add_co_u32 v2, s3, v3, -1
	v_cndmask_b32_e64 v3, 0, 1, s3
	s_delay_alu instid0(VALU_DEP_4) | instskip(NEXT) | instid1(VALU_DEP_2)
	v_cmp_gt_i32_e64 s3, 0, v5
	v_cmp_ne_u32_e32 vcc_lo, 0, v3
	v_not_b32_e32 v3, v5
	v_not_b32_e32 v5, v6
	s_delay_alu instid0(VALU_DEP_2) | instskip(SKIP_3) | instid1(VALU_DEP_3)
	v_dual_ashrrev_i32 v3, 31, v3 :: v_dual_bitop2_b32 v2, vcc_lo, v2 bitop3:0x14
	v_dual_lshlrev_b32 v7, 28, v4 :: v_dual_lshlrev_b32 v9, 27, v4
	v_dual_lshlrev_b32 v56, 26, v4 :: v_dual_lshlrev_b32 v57, 25, v4
	v_lshlrev_b32_e32 v59, 24, v4
	v_not_b32_e32 v6, v7
	v_cmp_gt_i32_e64 s5, 0, v7
	v_cmp_gt_i32_e64 s6, 0, v9
	v_not_b32_e32 v7, v9
	v_not_b32_e32 v9, v56
	v_dual_ashrrev_i32 v5, 31, v5 :: v_dual_ashrrev_i32 v6, 31, v6
	v_xor_b32_e32 v3, s3, v3
	v_cmp_gt_i32_e64 s7, 0, v56
	v_cmp_gt_i32_e64 s8, 0, v57
	v_not_b32_e32 v56, v57
	v_not_b32_e32 v57, v59
	v_dual_ashrrev_i32 v7, 31, v7 :: v_dual_bitop2_b32 v5, s4, v5 bitop3:0x14
	v_dual_ashrrev_i32 v9, 31, v9 :: v_dual_bitop2_b32 v6, s5, v6 bitop3:0x14
	v_bitop3_b32 v2, v2, v3, exec_lo bitop3:0x80
	v_cmp_gt_i32_e64 s9, 0, v59
	v_dual_ashrrev_i32 v3, 31, v56 :: v_dual_ashrrev_i32 v56, 31, v57
	v_xor_b32_e32 v7, s6, v7
	v_xor_b32_e32 v9, s7, v9
	v_bitop3_b32 v2, v2, v6, v5 bitop3:0x80
	v_mad_u32_u24 v5, 0x44, v4, v8
	v_xor_b32_e32 v3, s8, v3
	v_xor_b32_e32 v6, s9, v56
	s_delay_alu instid0(VALU_DEP_4) | instskip(SKIP_3) | instid1(VALU_DEP_2)
	v_bitop3_b32 v2, v2, v9, v7 bitop3:0x80
	ds_load_b32 v56, v5 offset:64
	; wave barrier
	v_bitop3_b32 v2, v2, v6, v3 bitop3:0x80
	v_mul_u32_u24_e32 v3, 0x44, v4
	v_mbcnt_lo_u32_b32 v57, v2, 0
	v_cmp_ne_u32_e64 s3, 0, v2
	s_delay_alu instid0(VALU_DEP_3) | instskip(NEXT) | instid1(VALU_DEP_3)
	v_add_nc_u32_e32 v59, v8, v3
	v_cmp_eq_u32_e32 vcc_lo, 0, v57
	s_and_b32 s4, s3, vcc_lo
	s_delay_alu instid0(SALU_CYCLE_1)
	s_and_saveexec_b32 s3, s4
	s_cbranch_execz .LBB722_53
; %bb.52:
	s_wait_dscnt 0x0
	v_bcnt_u32_b32 v2, v2, v56
	ds_store_b32 v59, v2 offset:64
.LBB722_53:
	s_or_b32 exec_lo, exec_lo, s3
	; wave barrier
	s_wait_dscnt 0x0
	s_barrier_signal -1
	s_barrier_wait -1
	ds_load_2addr_b32 v[8:9], v12 offset0:16 offset1:17
	ds_load_2addr_b32 v[6:7], v12 offset0:18 offset1:19
	ds_load_2addr_b32 v[4:5], v12 offset0:20 offset1:21
	ds_load_2addr_b32 v[2:3], v12 offset0:22 offset1:23
	ds_load_b32 v60, v12 offset:96
	s_mov_b32 s7, exec_lo
	s_wait_dscnt 0x3
	v_add3_u32 v61, v9, v8, v6
	s_wait_dscnt 0x2
	s_delay_alu instid0(VALU_DEP_1) | instskip(SKIP_1) | instid1(VALU_DEP_1)
	v_add3_u32 v61, v61, v7, v4
	s_wait_dscnt 0x1
	v_add3_u32 v61, v61, v5, v2
	s_wait_dscnt 0x0
	s_delay_alu instid0(VALU_DEP_1) | instskip(SKIP_1) | instid1(VALU_DEP_2)
	v_add3_u32 v60, v61, v3, v60
	v_and_b32_e32 v61, 15, v15
	v_mov_b32_dpp v62, v60 row_shr:1 row_mask:0xf bank_mask:0xf
	s_delay_alu instid0(VALU_DEP_2) | instskip(NEXT) | instid1(VALU_DEP_2)
	v_cmp_eq_u32_e32 vcc_lo, 0, v61
	v_cndmask_b32_e64 v62, v62, 0, vcc_lo
	s_delay_alu instid0(VALU_DEP_1) | instskip(SKIP_3) | instid1(VALU_DEP_4)
	v_add_nc_u32_e32 v60, v62, v60
	v_cmp_lt_u32_e64 s3, 1, v61
	v_cmp_lt_u32_e64 s4, 3, v61
	;; [unrolled: 1-line block ×3, first 2 shown]
	v_mov_b32_dpp v62, v60 row_shr:2 row_mask:0xf bank_mask:0xf
	s_delay_alu instid0(VALU_DEP_1) | instskip(NEXT) | instid1(VALU_DEP_1)
	v_cndmask_b32_e64 v62, 0, v62, s3
	v_add_nc_u32_e32 v60, v60, v62
	s_delay_alu instid0(VALU_DEP_1) | instskip(NEXT) | instid1(VALU_DEP_1)
	v_mov_b32_dpp v62, v60 row_shr:4 row_mask:0xf bank_mask:0xf
	v_cndmask_b32_e64 v62, 0, v62, s4
	s_delay_alu instid0(VALU_DEP_1) | instskip(NEXT) | instid1(VALU_DEP_1)
	v_add_nc_u32_e32 v60, v60, v62
	v_mov_b32_dpp v62, v60 row_shr:8 row_mask:0xf bank_mask:0xf
	s_delay_alu instid0(VALU_DEP_1) | instskip(SKIP_1) | instid1(VALU_DEP_2)
	v_cndmask_b32_e64 v61, 0, v62, s5
	v_bfe_i32 v62, v15, 4, 1
	v_add_nc_u32_e32 v60, v60, v61
	ds_swizzle_b32 v61, v60 offset:swizzle(BROADCAST,32,15)
	s_wait_dscnt 0x0
	v_and_b32_e32 v61, v62, v61
	v_min_u32_e32 v62, 0x1e0, v16
	s_delay_alu instid0(VALU_DEP_2) | instskip(NEXT) | instid1(VALU_DEP_2)
	v_dual_add_nc_u32 v60, v60, v61 :: v_dual_lshrrev_b32 v61, 5, v14
	v_or_b32_e32 v62, 31, v62
	s_delay_alu instid0(VALU_DEP_1)
	v_cmpx_eq_u32_e64 v14, v62
; %bb.54:
	s_delay_alu instid0(VALU_DEP_3)
	v_lshlrev_b32_e32 v62, 2, v61
	ds_store_b32 v62, v60
; %bb.55:
	s_or_b32 exec_lo, exec_lo, s7
	s_delay_alu instid0(SALU_CYCLE_1)
	s_mov_b32 s7, exec_lo
	s_wait_dscnt 0x0
	s_barrier_signal -1
	s_barrier_wait -1
	v_cmpx_gt_u32_e32 16, v14
	s_cbranch_execz .LBB722_57
; %bb.56:
	v_lshlrev_b32_e32 v62, 2, v14
	ds_load_b32 v63, v62
	s_wait_dscnt 0x0
	v_mov_b32_dpp v64, v63 row_shr:1 row_mask:0xf bank_mask:0xf
	s_delay_alu instid0(VALU_DEP_1) | instskip(NEXT) | instid1(VALU_DEP_1)
	v_cndmask_b32_e64 v64, v64, 0, vcc_lo
	v_add_nc_u32_e32 v63, v64, v63
	s_delay_alu instid0(VALU_DEP_1) | instskip(NEXT) | instid1(VALU_DEP_1)
	v_mov_b32_dpp v64, v63 row_shr:2 row_mask:0xf bank_mask:0xf
	v_cndmask_b32_e64 v64, 0, v64, s3
	s_delay_alu instid0(VALU_DEP_1) | instskip(NEXT) | instid1(VALU_DEP_1)
	v_add_nc_u32_e32 v63, v63, v64
	v_mov_b32_dpp v64, v63 row_shr:4 row_mask:0xf bank_mask:0xf
	s_delay_alu instid0(VALU_DEP_1) | instskip(NEXT) | instid1(VALU_DEP_1)
	v_cndmask_b32_e64 v64, 0, v64, s4
	v_add_nc_u32_e32 v63, v63, v64
	s_delay_alu instid0(VALU_DEP_1) | instskip(NEXT) | instid1(VALU_DEP_1)
	v_mov_b32_dpp v64, v63 row_shr:8 row_mask:0xf bank_mask:0xf
	v_cndmask_b32_e64 v64, 0, v64, s5
	s_delay_alu instid0(VALU_DEP_1)
	v_add_nc_u32_e32 v63, v63, v64
	ds_store_b32 v62, v63
.LBB722_57:
	s_or_b32 exec_lo, exec_lo, s7
	v_mov_b32_e32 v62, 0
	s_mov_b32 s3, exec_lo
	s_wait_dscnt 0x0
	s_barrier_signal -1
	s_barrier_wait -1
	v_cmpx_lt_u32_e32 31, v14
; %bb.58:
	v_lshl_add_u32 v61, v61, 2, -4
	ds_load_b32 v62, v61
; %bb.59:
	s_or_b32 exec_lo, exec_lo, s3
	v_sub_co_u32 v61, vcc_lo, v15, 1
	s_wait_dscnt 0x0
	v_add_nc_u32_e32 v60, v62, v60
	s_delay_alu instid0(VALU_DEP_2) | instskip(NEXT) | instid1(VALU_DEP_1)
	v_cmp_gt_i32_e64 s3, 0, v61
	v_cndmask_b32_e64 v61, v61, v15, s3
	v_cmp_gt_u32_e64 s3, 0x100, v14
	s_delay_alu instid0(VALU_DEP_2) | instskip(SKIP_4) | instid1(VALU_DEP_2)
	v_lshlrev_b32_e32 v61, 2, v61
	ds_bpermute_b32 v60, v61, v60
	s_wait_dscnt 0x0
	v_cndmask_b32_e32 v60, v60, v62, vcc_lo
	v_cmp_lt_u32_e32 vcc_lo, 0xff, v14
	v_cndmask_b32_e64 v60, v60, 0, s2
	s_delay_alu instid0(VALU_DEP_1) | instskip(NEXT) | instid1(VALU_DEP_1)
	v_add_nc_u32_e32 v8, v60, v8
	v_add_nc_u32_e32 v9, v8, v9
	s_delay_alu instid0(VALU_DEP_1) | instskip(NEXT) | instid1(VALU_DEP_1)
	v_add_nc_u32_e32 v6, v9, v6
	v_add_nc_u32_e32 v7, v6, v7
	;; [unrolled: 3-line block ×4, first 2 shown]
	ds_store_2addr_b32 v12, v60, v8 offset0:16 offset1:17
	ds_store_2addr_b32 v12, v9, v6 offset0:18 offset1:19
	;; [unrolled: 1-line block ×4, first 2 shown]
	ds_store_b32 v12, v3 offset:96
	s_wait_dscnt 0x0
	s_barrier_signal -1
	s_barrier_wait -1
	ds_load_b32 v61, v13 offset:64
	ds_load_b32 v62, v20 offset:64
	;; [unrolled: 1-line block ×12, first 2 shown]
	v_mov_b64_e32 v[2:3], 0
                                        ; implicit-def: $vgpr4
	s_and_saveexec_b32 s5, s3
	s_cbranch_execz .LBB722_63
; %bb.60:
	v_mul_u32_u24_e32 v2, 0x44, v14
	v_dual_mov_b32 v3, 0x1800 :: v_dual_add_nc_u32 v4, 1, v14
	s_mov_b32 s6, exec_lo
	ds_load_b32 v2, v2 offset:64
	v_cmpx_ne_u32_e32 0x100, v4
; %bb.61:
	v_mul_u32_u24_e32 v3, 0x44, v4
	ds_load_b32 v3, v3 offset:64
; %bb.62:
	s_or_b32 exec_lo, exec_lo, s6
	s_wait_dscnt 0x0
	v_dual_mov_b32 v3, 0 :: v_dual_sub_nc_u32 v4, v3, v2
.LBB722_63:
	s_or_b32 exec_lo, exec_lo, s5
	v_dual_lshlrev_b32 v10, 1, v10 :: v_dual_lshlrev_b32 v19, 1, v19
	s_wait_dscnt 0xa
	v_lshlrev_b32_e32 v28, 1, v62
	v_dual_lshlrev_b32 v18, 1, v18 :: v_dual_lshlrev_b32 v23, 1, v23
	s_delay_alu instid0(VALU_DEP_3) | instskip(SKIP_2) | instid1(VALU_DEP_3)
	v_lshl_add_u32 v10, v61, 1, v10
	v_lshlrev_b32_e32 v22, 1, v22
	s_wait_dscnt 0x0
	v_add3_u32 v18, v28, v19, v18
	v_lshlrev_b32_e32 v19, 1, v60
	s_barrier_signal -1
	s_barrier_wait -1
	ds_store_b16 v10, v1 offset:2048
	ds_store_b16 v18, v11 offset:2048
	v_lshlrev_b32_e32 v10, 1, v24
	v_add3_u32 v1, v19, v23, v22
	v_dual_lshlrev_b32 v11, 1, v27 :: v_dual_lshlrev_b32 v18, 1, v26
	v_dual_lshlrev_b32 v22, 1, v29 :: v_dual_lshlrev_b32 v23, 1, v34
	;; [unrolled: 1-line block ×6, first 2 shown]
	ds_store_b16 v1, v17 offset:2048
	v_add3_u32 v1, v10, v11, v18
	v_add3_u32 v11, v13, v23, v24
	v_dual_lshlrev_b32 v13, 1, v43 :: v_dual_lshlrev_b32 v17, 1, v41
	v_add3_u32 v10, v19, v20, v22
	v_add3_u32 v12, v12, v26, v27
	ds_store_b16 v1, v21 offset:2048
	ds_store_b16 v10, v25 offset:2048
	;; [unrolled: 1-line block ×4, first 2 shown]
	v_add3_u32 v1, v9, v13, v17
	v_dual_lshlrev_b32 v8, 1, v8 :: v_dual_lshlrev_b32 v9, 1, v46
	v_dual_lshlrev_b32 v10, 1, v44 :: v_dual_lshlrev_b32 v7, 1, v7
	;; [unrolled: 1-line block ×6, first 2 shown]
	ds_store_b16 v1, v36 offset:2048
	v_add3_u32 v8, v8, v9, v10
	v_add3_u32 v9, v7, v11, v12
	v_dual_mov_b32 v7, 0 :: v_dual_lshlrev_b32 v1, 3, v14
	v_add3_u32 v6, v6, v13, v17
	v_add3_u32 v5, v5, v18, v19
	ds_store_b16 v8, v40 offset:2048
	ds_store_b16 v9, v45 offset:2048
	;; [unrolled: 1-line block ×4, first 2 shown]
	s_and_saveexec_b32 s4, s3
	s_cbranch_execz .LBB722_73
; %bb.64:
	v_lshl_add_u32 v6, s23, 8, v14
	v_dual_mov_b32 v10, 0 :: v_dual_bitop2_b32 v5, 2.0, v4 bitop3:0x54
	s_mov_b32 s5, 0
	s_mov_b32 s6, s23
	s_delay_alu instid0(VALU_DEP_2)
	v_lshl_add_u64 v[8:9], v[6:7], 2, s[10:11]
	global_store_b32 v6, v5, s[10:11] scale_offset scope:SCOPE_DEV
                                        ; implicit-def: $sgpr3
	s_branch .LBB722_67
.LBB722_65:                             ;   in Loop: Header=BB722_67 Depth=1
	s_or_b32 exec_lo, exec_lo, s8
.LBB722_66:                             ;   in Loop: Header=BB722_67 Depth=1
	s_delay_alu instid0(SALU_CYCLE_1) | instskip(SKIP_2) | instid1(VALU_DEP_2)
	s_or_b32 exec_lo, exec_lo, s7
	v_and_b32_e32 v6, 0x3fffffff, v5
	v_cmp_gt_i32_e64 s3, -2.0, v5
	v_add_nc_u32_e32 v10, v6, v10
	s_and_b32 s7, exec_lo, s3
	s_delay_alu instid0(SALU_CYCLE_1) | instskip(NEXT) | instid1(SALU_CYCLE_1)
	s_or_b32 s5, s7, s5
	s_and_not1_b32 exec_lo, exec_lo, s5
	s_cbranch_execz .LBB722_72
.LBB722_67:                             ; =>This Loop Header: Depth=1
                                        ;     Child Loop BB722_70 Depth 2
	s_or_b32 s3, s3, exec_lo
	s_cmp_eq_u32 s6, 0
	s_cbranch_scc1 .LBB722_71
; %bb.68:                               ;   in Loop: Header=BB722_67 Depth=1
	s_add_co_i32 s6, s6, -1
	s_mov_b32 s7, exec_lo
	s_wait_xcnt 0x0
	v_lshl_or_b32 v6, s6, 8, v14
	global_load_b32 v5, v6, s[10:11] scale_offset scope:SCOPE_DEV
	s_wait_loadcnt 0x0
	v_cmpx_gt_u32_e32 2.0, v5
	s_cbranch_execz .LBB722_66
; %bb.69:                               ;   in Loop: Header=BB722_67 Depth=1
	v_lshl_add_u64 v[12:13], v[6:7], 2, s[10:11]
	s_mov_b32 s8, 0
.LBB722_70:                             ;   Parent Loop BB722_67 Depth=1
                                        ; =>  This Inner Loop Header: Depth=2
	global_load_b32 v5, v[12:13], off scope:SCOPE_DEV
	s_wait_loadcnt 0x0
	v_cmp_lt_u32_e64 s3, 0x3fffffff, v5
	s_or_b32 s8, s3, s8
	s_wait_xcnt 0x0
	s_and_not1_b32 exec_lo, exec_lo, s8
	s_cbranch_execnz .LBB722_70
	s_branch .LBB722_65
.LBB722_71:                             ;   in Loop: Header=BB722_67 Depth=1
                                        ; implicit-def: $sgpr6
	s_and_b32 s7, exec_lo, s3
	s_delay_alu instid0(SALU_CYCLE_1)
	s_or_b32 s5, s7, s5
	s_wait_xcnt 0x0
	s_and_not1_b32 exec_lo, exec_lo, s5
	s_cbranch_execnz .LBB722_67
.LBB722_72:
	s_or_b32 exec_lo, exec_lo, s5
	v_dual_add_nc_u32 v5, v10, v4 :: v_dual_mov_b32 v11, 0
	s_delay_alu instid0(VALU_DEP_1)
	v_or_b32_e32 v5, 0x80000000, v5
	global_store_b32 v[8:9], v5, off scope:SCOPE_DEV
	global_load_b64 v[6:7], v14, s[12:13] scale_offset
	s_wait_xcnt 0x1
	v_sub_nc_u64_e32 v[8:9], v[10:11], v[2:3]
	s_wait_loadcnt 0x0
	s_delay_alu instid0(VALU_DEP_1)
	v_add_nc_u64_e32 v[6:7], v[8:9], v[6:7]
	ds_store_b64 v1, v[6:7]
.LBB722_73:
	s_wait_xcnt 0x0
	s_or_b32 exec_lo, exec_lo, s4
	v_mad_i32_i24 v5, v14, -6, v1
	s_mov_b32 s4, exec_lo
	s_wait_storecnt_dscnt 0x0
	s_barrier_signal -1
	s_barrier_wait -1
	v_cmpx_gt_u32_e64 s22, v14
	s_cbranch_execz .LBB722_75
; %bb.74:
	ds_load_u16 v10, v5 offset:2048
	v_dual_mov_b32 v9, 0 :: v_dual_lshlrev_b32 v8, 1, v14
	s_wait_dscnt 0x0
	v_and_b32_e32 v6, 0xffff, v10
	s_delay_alu instid0(VALU_DEP_1) | instskip(NEXT) | instid1(VALU_DEP_1)
	v_lshrrev_b32_e32 v6, s20, v6
	v_and_b32_e32 v6, s29, v6
	s_delay_alu instid0(VALU_DEP_1) | instskip(SKIP_3) | instid1(VALU_DEP_1)
	v_lshlrev_b32_e32 v6, 3, v6
	ds_load_b64 v[6:7], v6
	s_wait_dscnt 0x0
	v_lshl_add_u64 v[6:7], v[6:7], 1, s[18:19]
	v_add_nc_u64_e32 v[6:7], v[6:7], v[8:9]
	v_xor_b32_e32 v8, 0xffff8000, v10
	global_store_b16 v[6:7], v8, off
.LBB722_75:
	s_wait_xcnt 0x0
	s_or_b32 exec_lo, exec_lo, s4
	v_add_nc_u32_e32 v6, 0x200, v14
	s_mov_b32 s4, exec_lo
	s_delay_alu instid0(VALU_DEP_1)
	v_cmpx_gt_u32_e64 s22, v6
	s_cbranch_execz .LBB722_77
; %bb.76:
	ds_load_u16 v10, v5 offset:3072
	v_dual_mov_b32 v9, 0 :: v_dual_lshlrev_b32 v8, 1, v14
	s_wait_dscnt 0x0
	v_and_b32_e32 v6, 0xffff, v10
	s_delay_alu instid0(VALU_DEP_1) | instskip(NEXT) | instid1(VALU_DEP_1)
	v_lshrrev_b32_e32 v6, s20, v6
	v_and_b32_e32 v6, s29, v6
	s_delay_alu instid0(VALU_DEP_1) | instskip(SKIP_3) | instid1(VALU_DEP_1)
	v_lshlrev_b32_e32 v6, 3, v6
	ds_load_b64 v[6:7], v6
	s_wait_dscnt 0x0
	v_lshl_add_u64 v[6:7], v[6:7], 1, s[18:19]
	v_add_nc_u64_e32 v[6:7], v[6:7], v[8:9]
	v_xor_b32_e32 v8, 0xffff8000, v10
	global_store_b16 v[6:7], v8, off offset:1024
.LBB722_77:
	s_wait_xcnt 0x0
	s_or_b32 exec_lo, exec_lo, s4
	v_or_b32_e32 v6, 0x400, v14
	s_mov_b32 s4, exec_lo
	s_delay_alu instid0(VALU_DEP_1)
	v_cmpx_gt_u32_e64 s22, v6
	s_cbranch_execz .LBB722_79
; %bb.78:
	ds_load_u16 v10, v5 offset:4096
	v_dual_mov_b32 v9, 0 :: v_dual_lshlrev_b32 v8, 1, v14
	s_wait_dscnt 0x0
	v_and_b32_e32 v6, 0xffff, v10
	s_delay_alu instid0(VALU_DEP_1) | instskip(NEXT) | instid1(VALU_DEP_1)
	v_lshrrev_b32_e32 v6, s20, v6
	v_and_b32_e32 v6, s29, v6
	s_delay_alu instid0(VALU_DEP_1) | instskip(SKIP_3) | instid1(VALU_DEP_1)
	v_lshlrev_b32_e32 v6, 3, v6
	ds_load_b64 v[6:7], v6
	s_wait_dscnt 0x0
	v_lshl_add_u64 v[6:7], v[6:7], 1, s[18:19]
	v_add_nc_u64_e32 v[6:7], v[6:7], v[8:9]
	v_xor_b32_e32 v8, 0xffff8000, v10
	global_store_b16 v[6:7], v8, off offset:2048
.LBB722_79:
	s_wait_xcnt 0x0
	s_or_b32 exec_lo, exec_lo, s4
	v_add_nc_u32_e32 v6, 0x600, v14
	s_mov_b32 s4, exec_lo
	s_delay_alu instid0(VALU_DEP_1)
	v_cmpx_gt_u32_e64 s22, v6
	s_cbranch_execz .LBB722_81
; %bb.80:
	ds_load_u16 v10, v5 offset:5120
	v_dual_mov_b32 v9, 0 :: v_dual_lshlrev_b32 v8, 1, v14
	s_wait_dscnt 0x0
	v_and_b32_e32 v6, 0xffff, v10
	s_delay_alu instid0(VALU_DEP_1) | instskip(NEXT) | instid1(VALU_DEP_1)
	v_lshrrev_b32_e32 v6, s20, v6
	v_and_b32_e32 v6, s29, v6
	s_delay_alu instid0(VALU_DEP_1) | instskip(SKIP_3) | instid1(VALU_DEP_1)
	v_lshlrev_b32_e32 v6, 3, v6
	ds_load_b64 v[6:7], v6
	s_wait_dscnt 0x0
	v_lshl_add_u64 v[6:7], v[6:7], 1, s[18:19]
	v_add_nc_u64_e32 v[6:7], v[6:7], v[8:9]
	v_xor_b32_e32 v8, 0xffff8000, v10
	global_store_b16 v[6:7], v8, off offset:3072
.LBB722_81:
	s_wait_xcnt 0x0
	s_or_b32 exec_lo, exec_lo, s4
	v_or_b32_e32 v6, 0x800, v14
	s_mov_b32 s4, exec_lo
	s_delay_alu instid0(VALU_DEP_1)
	v_cmpx_gt_u32_e64 s22, v6
	s_cbranch_execz .LBB722_83
; %bb.82:
	ds_load_u16 v10, v5 offset:6144
	v_dual_mov_b32 v9, 0 :: v_dual_lshlrev_b32 v8, 1, v14
	s_wait_dscnt 0x0
	v_and_b32_e32 v6, 0xffff, v10
	s_delay_alu instid0(VALU_DEP_1) | instskip(NEXT) | instid1(VALU_DEP_1)
	v_lshrrev_b32_e32 v6, s20, v6
	v_and_b32_e32 v6, s29, v6
	s_delay_alu instid0(VALU_DEP_1) | instskip(SKIP_3) | instid1(VALU_DEP_1)
	v_lshlrev_b32_e32 v6, 3, v6
	ds_load_b64 v[6:7], v6
	s_wait_dscnt 0x0
	v_lshl_add_u64 v[6:7], v[6:7], 1, s[18:19]
	v_add_nc_u64_e32 v[6:7], v[6:7], v[8:9]
	v_xor_b32_e32 v8, 0xffff8000, v10
	global_store_b16 v[6:7], v8, off offset:4096
.LBB722_83:
	;; [unrolled: 48-line block ×3, first 2 shown]
	s_wait_xcnt 0x0
	s_or_b32 exec_lo, exec_lo, s4
	v_add_nc_u32_e32 v6, 0xe00, v14
	s_mov_b32 s4, exec_lo
	s_delay_alu instid0(VALU_DEP_1)
	v_cmpx_gt_u32_e64 s22, v6
	s_cbranch_execz .LBB722_89
; %bb.88:
	ds_load_u16 v5, v5 offset:9216
	v_dual_mov_b32 v9, 0 :: v_dual_lshlrev_b32 v8, 1, v14
	s_wait_dscnt 0x0
	v_and_b32_e32 v6, 0xffff, v5
	v_xor_b32_e32 v5, 0xffff8000, v5
	s_delay_alu instid0(VALU_DEP_2) | instskip(NEXT) | instid1(VALU_DEP_1)
	v_lshrrev_b32_e32 v6, s20, v6
	v_and_b32_e32 v6, s29, v6
	s_delay_alu instid0(VALU_DEP_1) | instskip(SKIP_3) | instid1(VALU_DEP_1)
	v_lshlrev_b32_e32 v6, 3, v6
	ds_load_b64 v[6:7], v6
	s_wait_dscnt 0x0
	v_lshl_add_u64 v[6:7], v[6:7], 1, s[18:19]
	v_add_nc_u64_e32 v[6:7], v[6:7], v[8:9]
	global_store_b16 v[6:7], v5, off offset:7168
.LBB722_89:
	s_wait_xcnt 0x0
	s_or_b32 exec_lo, exec_lo, s4
	v_or_b32_e32 v5, 0x1000, v14
	s_mov_b32 s4, exec_lo
	s_delay_alu instid0(VALU_DEP_1)
	v_cmpx_gt_u32_e64 s22, v5
	s_cbranch_execz .LBB722_91
; %bb.90:
	v_lshlrev_b32_e32 v6, 1, v14
	ds_load_u16 v5, v6 offset:10240
	s_wait_dscnt 0x0
	v_and_b32_e32 v7, 0xffff, v5
	v_xor_b32_e32 v5, 0xffff8000, v5
	s_delay_alu instid0(VALU_DEP_2) | instskip(NEXT) | instid1(VALU_DEP_1)
	v_lshrrev_b32_e32 v7, s20, v7
	v_and_b32_e32 v7, s29, v7
	s_delay_alu instid0(VALU_DEP_1) | instskip(SKIP_4) | instid1(VALU_DEP_1)
	v_lshlrev_b32_e32 v7, 3, v7
	ds_load_b64 v[8:9], v7
	v_mov_b32_e32 v7, 0
	s_wait_dscnt 0x0
	v_lshl_add_u64 v[8:9], v[8:9], 1, s[18:19]
	v_add_nc_u64_e32 v[6:7], v[8:9], v[6:7]
	global_store_b16 v[6:7], v5, off offset:8192
.LBB722_91:
	s_wait_xcnt 0x0
	s_or_b32 exec_lo, exec_lo, s4
	v_add_nc_u32_e32 v5, 0x1200, v14
	s_mov_b32 s4, exec_lo
	s_delay_alu instid0(VALU_DEP_1)
	v_cmpx_gt_u32_e64 s22, v5
	s_cbranch_execz .LBB722_93
; %bb.92:
	v_lshlrev_b32_e32 v6, 1, v14
	ds_load_u16 v5, v6 offset:11264
	s_wait_dscnt 0x0
	v_and_b32_e32 v7, 0xffff, v5
	v_xor_b32_e32 v5, 0xffff8000, v5
	s_delay_alu instid0(VALU_DEP_2) | instskip(NEXT) | instid1(VALU_DEP_1)
	v_lshrrev_b32_e32 v7, s20, v7
	v_and_b32_e32 v7, s29, v7
	s_delay_alu instid0(VALU_DEP_1) | instskip(SKIP_4) | instid1(VALU_DEP_1)
	v_lshlrev_b32_e32 v7, 3, v7
	ds_load_b64 v[8:9], v7
	v_mov_b32_e32 v7, 0
	s_wait_dscnt 0x0
	v_lshl_add_u64 v[8:9], v[8:9], 1, s[18:19]
	v_add_nc_u64_e32 v[6:7], v[8:9], v[6:7]
	global_store_b16 v[6:7], v5, off offset:9216
.LBB722_93:
	s_wait_xcnt 0x0
	s_or_b32 exec_lo, exec_lo, s4
	v_or_b32_e32 v5, 0x1400, v14
	s_mov_b32 s4, exec_lo
	s_delay_alu instid0(VALU_DEP_1)
	v_cmpx_gt_u32_e64 s22, v5
	s_cbranch_execz .LBB722_95
; %bb.94:
	v_lshlrev_b32_e32 v6, 1, v14
	ds_load_u16 v5, v6 offset:12288
	s_wait_dscnt 0x0
	v_and_b32_e32 v7, 0xffff, v5
	v_xor_b32_e32 v5, 0xffff8000, v5
	s_delay_alu instid0(VALU_DEP_2) | instskip(NEXT) | instid1(VALU_DEP_1)
	v_lshrrev_b32_e32 v7, s20, v7
	v_and_b32_e32 v7, s29, v7
	s_delay_alu instid0(VALU_DEP_1) | instskip(SKIP_4) | instid1(VALU_DEP_1)
	v_lshlrev_b32_e32 v7, 3, v7
	ds_load_b64 v[8:9], v7
	v_mov_b32_e32 v7, 0
	s_wait_dscnt 0x0
	v_lshl_add_u64 v[8:9], v[8:9], 1, s[18:19]
	v_add_nc_u64_e32 v[6:7], v[8:9], v[6:7]
	global_store_b16 v[6:7], v5, off offset:10240
.LBB722_95:
	s_wait_xcnt 0x0
	s_or_b32 exec_lo, exec_lo, s4
	v_add_nc_u32_e32 v5, 0x1600, v14
	s_mov_b32 s4, exec_lo
	s_delay_alu instid0(VALU_DEP_1)
	v_cmpx_gt_u32_e64 s22, v5
	s_cbranch_execz .LBB722_97
; %bb.96:
	v_lshlrev_b32_e32 v6, 1, v14
	ds_load_u16 v5, v6 offset:13312
	s_wait_dscnt 0x0
	v_and_b32_e32 v7, 0xffff, v5
	v_xor_b32_e32 v5, 0xffff8000, v5
	s_delay_alu instid0(VALU_DEP_2) | instskip(NEXT) | instid1(VALU_DEP_1)
	v_lshrrev_b32_e32 v7, s20, v7
	v_and_b32_e32 v7, s29, v7
	s_delay_alu instid0(VALU_DEP_1) | instskip(SKIP_4) | instid1(VALU_DEP_1)
	v_lshlrev_b32_e32 v7, 3, v7
	ds_load_b64 v[8:9], v7
	v_mov_b32_e32 v7, 0
	s_wait_dscnt 0x0
	v_lshl_add_u64 v[8:9], v[8:9], 1, s[18:19]
	v_add_nc_u64_e32 v[6:7], v[8:9], v[6:7]
	global_store_b16 v[6:7], v5, off offset:11264
.LBB722_97:
	s_wait_xcnt 0x0
	s_or_b32 exec_lo, exec_lo, s4
	s_add_co_i32 s25, s25, -1
	s_delay_alu instid0(SALU_CYCLE_1) | instskip(SKIP_2) | instid1(SALU_CYCLE_1)
	s_cmp_eq_u32 s23, s25
	s_cselect_b32 s3, -1, 0
	s_xor_b32 s4, vcc_lo, -1
	s_and_b32 s4, s4, s3
	s_delay_alu instid0(SALU_CYCLE_1)
	s_and_saveexec_b32 s3, s4
	s_cbranch_execz .LBB722_99
; %bb.98:
	ds_load_b64 v[6:7], v1
	v_mov_b32_e32 v5, 0
	s_delay_alu instid0(VALU_DEP_1) | instskip(SKIP_1) | instid1(VALU_DEP_1)
	v_add_nc_u64_e32 v[2:3], v[2:3], v[4:5]
	s_wait_dscnt 0x0
	v_add_nc_u64_e32 v[2:3], v[2:3], v[6:7]
	global_store_b64 v14, v[2:3], s[14:15] scale_offset
.LBB722_99:
	s_wait_xcnt 0x0
	s_or_b32 exec_lo, exec_lo, s3
	s_mov_b32 s4, 0
.LBB722_100:
	s_delay_alu instid0(SALU_CYCLE_1)
	s_and_b32 vcc_lo, exec_lo, s4
	s_cbranch_vccz .LBB722_147
; %bb.101:
	s_mov_b32 s25, 0
	v_dual_mov_b32 v9, 0 :: v_dual_lshlrev_b32 v8, 1, v15
	s_lshl_b64 s[4:5], s[24:25], 1
	v_mul_u32_u24_e32 v1, 12, v16
	s_add_nc_u64 s[4:5], s[16:17], s[4:5]
	v_bfe_u32 v12, v0, 10, 10
	v_add_nc_u64_e32 v[2:3], s[4:5], v[8:9]
	v_bfe_u32 v0, v0, 20, 10
	v_lshlrev_b32_e32 v8, 1, v1
	s_delay_alu instid0(VALU_DEP_1)
	v_add_nc_u64_e32 v[18:19], v[2:3], v[8:9]
	s_clause 0xb
	global_load_u16 v8, v[18:19], off
	global_load_u16 v10, v[18:19], off offset:64
	global_load_u16 v13, v[18:19], off offset:128
	;; [unrolled: 1-line block ×11, first 2 shown]
	s_clause 0x1
	s_load_b32 s8, s[0:1], 0x58
	s_load_u16 s3, s[0:1], 0x66
	s_wait_xcnt 0x0
	s_bfe_u32 s0, ttmp6, 0x4000c
	s_and_b32 s1, ttmp6, 15
	s_add_co_i32 s0, s0, 1
	s_delay_alu instid0(SALU_CYCLE_1) | instskip(NEXT) | instid1(SALU_CYCLE_1)
	s_mul_i32 s0, ttmp9, s0
	s_add_co_i32 s1, s1, s0
	s_cmp_eq_u32 s28, 0
	s_cselect_b32 s0, ttmp9, s1
	s_wait_kmcnt 0x0
	s_cmp_lt_u32 s0, s8
	v_mad_u32_u24 v0, v0, s3, v12
	s_cselect_b32 s24, 12, 18
	s_lshl_b32 s9, -1, s21
	s_add_nc_u64 s[0:1], s[26:27], s[24:25]
	s_load_u16 s16, s[0:1], 0x0
	s_wait_kmcnt 0x0
	v_mad_u32 v0, v0, s16, v14
	s_delay_alu instid0(VALU_DEP_1) | instskip(NEXT) | instid1(VALU_DEP_1)
	v_lshrrev_b32_e32 v0, 5, v0
	v_lshlrev_b32_e32 v0, 2, v0
	s_wait_loadcnt 0xb
	v_xor_b32_e32 v8, 0xffff8000, v8
	s_delay_alu instid0(VALU_DEP_1) | instskip(NEXT) | instid1(VALU_DEP_1)
	v_and_b32_e32 v11, 0xffff, v8
	v_lshrrev_b32_e32 v11, s20, v11
	s_delay_alu instid0(VALU_DEP_1) | instskip(SKIP_2) | instid1(VALU_DEP_2)
	v_bitop3_b32 v12, v11, 1, s9 bitop3:0x40
	v_bitop3_b32 v18, v11, s9, v11 bitop3:0x30
	s_not_b32 s9, s9
	v_add_co_u32 v11, s0, v12, -1
	s_delay_alu instid0(VALU_DEP_1) | instskip(NEXT) | instid1(VALU_DEP_3)
	v_cndmask_b32_e64 v12, 0, 1, s0
	v_dual_lshlrev_b32 v17, 30, v18 :: v_dual_lshlrev_b32 v19, 29, v18
	v_dual_lshlrev_b32 v21, 28, v18 :: v_dual_lshlrev_b32 v22, 27, v18
	s_delay_alu instid0(VALU_DEP_3) | instskip(NEXT) | instid1(VALU_DEP_3)
	v_cmp_ne_u32_e32 vcc_lo, 0, v12
	v_not_b32_e32 v12, v17
	v_dual_lshlrev_b32 v23, 26, v18 :: v_dual_lshlrev_b32 v25, 25, v18
	v_lshlrev_b32_e32 v26, 24, v18
	v_cmp_gt_i32_e64 s0, 0, v17
	v_cmp_gt_i32_e64 s1, 0, v19
	v_not_b32_e32 v17, v19
	v_not_b32_e32 v19, v21
	v_ashrrev_i32_e32 v12, 31, v12
	v_cmp_gt_i32_e64 s3, 0, v21
	v_cmp_gt_i32_e64 s4, 0, v22
	v_not_b32_e32 v21, v22
	v_not_b32_e32 v22, v23
	v_dual_ashrrev_i32 v17, 31, v17 :: v_dual_bitop2_b32 v11, vcc_lo, v11 bitop3:0x14
	v_dual_ashrrev_i32 v19, 31, v19 :: v_dual_bitop2_b32 v12, s0, v12 bitop3:0x14
	v_cmp_gt_i32_e64 s5, 0, v23
	v_cmp_gt_i32_e64 s6, 0, v25
	v_not_b32_e32 v23, v25
	v_not_b32_e32 v25, v26
	v_dual_ashrrev_i32 v21, 31, v21 :: v_dual_ashrrev_i32 v22, 31, v22
	v_xor_b32_e32 v17, s1, v17
	v_xor_b32_e32 v19, s3, v19
	v_bitop3_b32 v11, v11, v12, exec_lo bitop3:0x80
	v_cmp_gt_i32_e64 s7, 0, v26
	v_dual_ashrrev_i32 v12, 31, v23 :: v_dual_ashrrev_i32 v23, 31, v25
	v_xor_b32_e32 v21, s4, v21
	v_xor_b32_e32 v22, s5, v22
	v_bitop3_b32 v11, v11, v19, v17 bitop3:0x80
	s_delay_alu instid0(VALU_DEP_4) | instskip(SKIP_1) | instid1(VALU_DEP_3)
	v_xor_b32_e32 v12, s6, v12
	v_xor_b32_e32 v17, s7, v23
	v_bitop3_b32 v19, v11, v22, v21 bitop3:0x80
	v_mul_u32_u24_e32 v11, 36, v14
	ds_store_2addr_b32 v11, v9, v9 offset0:16 offset1:17
	ds_store_2addr_b32 v11, v9, v9 offset0:18 offset1:19
	ds_store_2addr_b32 v11, v9, v9 offset0:20 offset1:21
	ds_store_2addr_b32 v11, v9, v9 offset0:22 offset1:23
	v_bitop3_b32 v17, v19, v17, v12 bitop3:0x80
	ds_store_b32 v11, v9 offset:96
	v_mad_u32_u24 v12, 0x44, v18, v0
	s_wait_storecnt 0x0
	s_wait_loadcnt_dscnt 0x0
	s_barrier_signal -1
	v_mbcnt_lo_u32_b32 v9, v17, 0
	v_cmp_ne_u32_e64 s0, 0, v17
	s_barrier_wait -1
	s_delay_alu instid0(VALU_DEP_2) | instskip(SKIP_1) | instid1(SALU_CYCLE_1)
	v_cmp_eq_u32_e32 vcc_lo, 0, v9
	; wave barrier
	s_and_b32 s1, s0, vcc_lo
	s_and_saveexec_b32 s0, s1
; %bb.102:
	v_bcnt_u32_b32 v17, v17, 0
	ds_store_b32 v12, v17 offset:64
; %bb.103:
	s_or_b32 exec_lo, exec_lo, s0
	v_xor_b32_e32 v10, 0xffff8000, v10
	; wave barrier
	s_delay_alu instid0(VALU_DEP_1) | instskip(NEXT) | instid1(VALU_DEP_1)
	v_and_b32_e32 v17, 0xffff, v10
	v_lshrrev_b32_e32 v17, s20, v17
	s_delay_alu instid0(VALU_DEP_1) | instskip(SKIP_1) | instid1(VALU_DEP_2)
	v_bitop3_b32 v18, v17, 1, s9 bitop3:0x80
	v_and_b32_e32 v17, s9, v17
	v_add_co_u32 v18, s0, v18, -1
	s_delay_alu instid0(VALU_DEP_1) | instskip(NEXT) | instid1(VALU_DEP_3)
	v_cndmask_b32_e64 v19, 0, 1, s0
	v_dual_lshlrev_b32 v21, 30, v17 :: v_dual_lshlrev_b32 v22, 29, v17
	v_lshlrev_b32_e32 v23, 28, v17
	s_delay_alu instid0(VALU_DEP_3) | instskip(NEXT) | instid1(VALU_DEP_3)
	v_cmp_ne_u32_e32 vcc_lo, 0, v19
	v_cmp_gt_i32_e64 s0, 0, v21
	v_not_b32_e32 v19, v21
	v_cmp_gt_i32_e64 s1, 0, v22
	v_not_b32_e32 v21, v22
	v_not_b32_e32 v22, v23
	s_delay_alu instid0(VALU_DEP_4) | instskip(NEXT) | instid1(VALU_DEP_2)
	v_dual_ashrrev_i32 v19, 31, v19 :: v_dual_bitop2_b32 v18, vcc_lo, v18 bitop3:0x14
	v_dual_ashrrev_i32 v21, 31, v21 :: v_dual_ashrrev_i32 v22, 31, v22
	v_dual_lshlrev_b32 v25, 27, v17 :: v_dual_lshlrev_b32 v26, 26, v17
	v_dual_lshlrev_b32 v27, 25, v17 :: v_dual_lshlrev_b32 v28, 24, v17
	v_cmp_gt_i32_e64 s3, 0, v23
	s_delay_alu instid0(VALU_DEP_3)
	v_cmp_gt_i32_e64 s4, 0, v25
	v_not_b32_e32 v23, v25
	v_not_b32_e32 v25, v26
	v_xor_b32_e32 v19, s0, v19
	v_cmp_gt_i32_e64 s5, 0, v26
	v_cmp_gt_i32_e64 s6, 0, v27
	v_not_b32_e32 v26, v27
	v_not_b32_e32 v27, v28
	v_dual_ashrrev_i32 v23, 31, v23 :: v_dual_ashrrev_i32 v25, 31, v25
	s_delay_alu instid0(VALU_DEP_3) | instskip(NEXT) | instid1(VALU_DEP_3)
	v_dual_ashrrev_i32 v26, 31, v26 :: v_dual_bitop2_b32 v21, s1, v21 bitop3:0x14
	v_dual_ashrrev_i32 v27, 31, v27 :: v_dual_bitop2_b32 v22, s3, v22 bitop3:0x14
	v_bitop3_b32 v18, v18, v19, exec_lo bitop3:0x80
	v_cmp_gt_i32_e64 s7, 0, v28
	v_xor_b32_e32 v23, s4, v23
	v_xor_b32_e32 v25, s5, v25
	v_mad_u32_u24 v19, 0x44, v17, v0
	v_bitop3_b32 v18, v18, v22, v21 bitop3:0x80
	v_xor_b32_e32 v21, s6, v26
	v_xor_b32_e32 v22, s7, v27
	ds_load_b32 v17, v19 offset:64
	v_bitop3_b32 v18, v18, v25, v23 bitop3:0x80
	; wave barrier
	s_delay_alu instid0(VALU_DEP_1) | instskip(NEXT) | instid1(VALU_DEP_1)
	v_bitop3_b32 v21, v18, v22, v21 bitop3:0x80
	v_mbcnt_lo_u32_b32 v18, v21, 0
	v_cmp_ne_u32_e64 s0, 0, v21
	s_delay_alu instid0(VALU_DEP_2) | instskip(SKIP_1) | instid1(SALU_CYCLE_1)
	v_cmp_eq_u32_e32 vcc_lo, 0, v18
	s_and_b32 s1, s0, vcc_lo
	s_and_saveexec_b32 s0, s1
	s_cbranch_execz .LBB722_105
; %bb.104:
	s_wait_dscnt 0x0
	v_bcnt_u32_b32 v21, v21, v17
	ds_store_b32 v19, v21 offset:64
.LBB722_105:
	s_or_b32 exec_lo, exec_lo, s0
	v_xor_b32_e32 v13, 0xffff8000, v13
	; wave barrier
	s_delay_alu instid0(VALU_DEP_1) | instskip(NEXT) | instid1(VALU_DEP_1)
	v_and_b32_e32 v21, 0xffff, v13
	v_lshrrev_b32_e32 v21, s20, v21
	s_delay_alu instid0(VALU_DEP_1) | instskip(SKIP_1) | instid1(VALU_DEP_2)
	v_bitop3_b32 v22, v21, 1, s9 bitop3:0x80
	v_and_b32_e32 v21, s9, v21
	v_add_co_u32 v22, s0, v22, -1
	s_delay_alu instid0(VALU_DEP_1) | instskip(NEXT) | instid1(VALU_DEP_3)
	v_cndmask_b32_e64 v23, 0, 1, s0
	v_dual_lshlrev_b32 v25, 30, v21 :: v_dual_lshlrev_b32 v26, 29, v21
	v_lshlrev_b32_e32 v27, 28, v21
	s_delay_alu instid0(VALU_DEP_3) | instskip(NEXT) | instid1(VALU_DEP_3)
	v_cmp_ne_u32_e32 vcc_lo, 0, v23
	v_cmp_gt_i32_e64 s0, 0, v25
	v_not_b32_e32 v23, v25
	v_cmp_gt_i32_e64 s1, 0, v26
	v_not_b32_e32 v25, v26
	v_not_b32_e32 v26, v27
	s_delay_alu instid0(VALU_DEP_4) | instskip(NEXT) | instid1(VALU_DEP_2)
	v_dual_ashrrev_i32 v23, 31, v23 :: v_dual_bitop2_b32 v22, vcc_lo, v22 bitop3:0x14
	v_dual_ashrrev_i32 v25, 31, v25 :: v_dual_ashrrev_i32 v26, 31, v26
	v_dual_lshlrev_b32 v28, 27, v21 :: v_dual_lshlrev_b32 v29, 26, v21
	v_dual_lshlrev_b32 v30, 25, v21 :: v_dual_lshlrev_b32 v31, 24, v21
	v_cmp_gt_i32_e64 s3, 0, v27
	s_delay_alu instid0(VALU_DEP_3)
	v_cmp_gt_i32_e64 s4, 0, v28
	v_not_b32_e32 v27, v28
	v_not_b32_e32 v28, v29
	v_xor_b32_e32 v23, s0, v23
	v_cmp_gt_i32_e64 s5, 0, v29
	v_cmp_gt_i32_e64 s6, 0, v30
	v_not_b32_e32 v29, v30
	v_not_b32_e32 v30, v31
	v_dual_ashrrev_i32 v27, 31, v27 :: v_dual_ashrrev_i32 v28, 31, v28
	v_xor_b32_e32 v25, s1, v25
	s_delay_alu instid0(VALU_DEP_4) | instskip(SKIP_4) | instid1(VALU_DEP_4)
	v_dual_ashrrev_i32 v29, 31, v29 :: v_dual_bitop2_b32 v26, s3, v26 bitop3:0x14
	v_bitop3_b32 v22, v22, v23, exec_lo bitop3:0x80
	v_cmp_gt_i32_e64 s7, 0, v31
	v_dual_ashrrev_i32 v30, 31, v30 :: v_dual_bitop2_b32 v27, s4, v27 bitop3:0x14
	v_xor_b32_e32 v28, s5, v28
	v_bitop3_b32 v22, v22, v26, v25 bitop3:0x80
	v_mad_u32_u24 v23, 0x44, v21, v0
	v_xor_b32_e32 v25, s6, v29
	v_xor_b32_e32 v26, s7, v30
	s_delay_alu instid0(VALU_DEP_4) | instskip(SKIP_2) | instid1(VALU_DEP_1)
	v_bitop3_b32 v22, v22, v28, v27 bitop3:0x80
	ds_load_b32 v21, v23 offset:64
	; wave barrier
	v_bitop3_b32 v25, v22, v26, v25 bitop3:0x80
	v_mbcnt_lo_u32_b32 v22, v25, 0
	v_cmp_ne_u32_e64 s0, 0, v25
	s_delay_alu instid0(VALU_DEP_2) | instskip(SKIP_1) | instid1(SALU_CYCLE_1)
	v_cmp_eq_u32_e32 vcc_lo, 0, v22
	s_and_b32 s1, s0, vcc_lo
	s_and_saveexec_b32 s0, s1
	s_cbranch_execz .LBB722_107
; %bb.106:
	s_wait_dscnt 0x0
	v_bcnt_u32_b32 v25, v25, v21
	ds_store_b32 v23, v25 offset:64
.LBB722_107:
	s_or_b32 exec_lo, exec_lo, s0
	v_xor_b32_e32 v20, 0xffff8000, v20
	; wave barrier
	s_delay_alu instid0(VALU_DEP_1) | instskip(NEXT) | instid1(VALU_DEP_1)
	v_and_b32_e32 v25, 0xffff, v20
	v_lshrrev_b32_e32 v25, s20, v25
	s_delay_alu instid0(VALU_DEP_1) | instskip(SKIP_1) | instid1(VALU_DEP_2)
	v_bitop3_b32 v26, v25, 1, s9 bitop3:0x80
	v_and_b32_e32 v25, s9, v25
	v_add_co_u32 v26, s0, v26, -1
	s_delay_alu instid0(VALU_DEP_1) | instskip(NEXT) | instid1(VALU_DEP_3)
	v_cndmask_b32_e64 v27, 0, 1, s0
	v_dual_lshlrev_b32 v28, 30, v25 :: v_dual_lshlrev_b32 v29, 29, v25
	s_delay_alu instid0(VALU_DEP_2) | instskip(NEXT) | instid1(VALU_DEP_2)
	v_cmp_ne_u32_e32 vcc_lo, 0, v27
	v_cmp_gt_i32_e64 s0, 0, v28
	v_not_b32_e32 v27, v28
	s_delay_alu instid0(VALU_DEP_4) | instskip(SKIP_1) | instid1(VALU_DEP_3)
	v_not_b32_e32 v28, v29
	v_cmp_gt_i32_e64 s1, 0, v29
	v_dual_ashrrev_i32 v27, 31, v27 :: v_dual_bitop2_b32 v26, vcc_lo, v26 bitop3:0x14
	s_delay_alu instid0(VALU_DEP_3) | instskip(SKIP_2) | instid1(VALU_DEP_3)
	v_dual_ashrrev_i32 v28, 31, v28 :: v_dual_lshlrev_b32 v30, 28, v25
	v_dual_lshlrev_b32 v31, 27, v25 :: v_dual_lshlrev_b32 v32, 26, v25
	v_dual_lshlrev_b32 v33, 25, v25 :: v_dual_lshlrev_b32 v34, 24, v25
	v_not_b32_e32 v29, v30
	v_cmp_gt_i32_e64 s3, 0, v30
	s_delay_alu instid0(VALU_DEP_4)
	v_cmp_gt_i32_e64 s4, 0, v31
	v_not_b32_e32 v30, v31
	v_not_b32_e32 v31, v32
	v_dual_ashrrev_i32 v29, 31, v29 :: v_dual_bitop2_b32 v27, s0, v27 bitop3:0x14
	v_cmp_gt_i32_e64 s5, 0, v32
	v_cmp_gt_i32_e64 s6, 0, v33
	v_not_b32_e32 v32, v33
	v_not_b32_e32 v33, v34
	v_dual_ashrrev_i32 v30, 31, v30 :: v_dual_ashrrev_i32 v31, 31, v31
	v_xor_b32_e32 v28, s1, v28
	s_delay_alu instid0(VALU_DEP_4) | instskip(SKIP_4) | instid1(VALU_DEP_4)
	v_dual_ashrrev_i32 v32, 31, v32 :: v_dual_bitop2_b32 v29, s3, v29 bitop3:0x14
	v_bitop3_b32 v26, v26, v27, exec_lo bitop3:0x80
	v_cmp_gt_i32_e64 s7, 0, v34
	v_dual_ashrrev_i32 v33, 31, v33 :: v_dual_bitop2_b32 v30, s4, v30 bitop3:0x14
	v_xor_b32_e32 v31, s5, v31
	v_bitop3_b32 v26, v26, v29, v28 bitop3:0x80
	v_mad_u32_u24 v27, 0x44, v25, v0
	v_xor_b32_e32 v28, s6, v32
	v_xor_b32_e32 v29, s7, v33
	s_delay_alu instid0(VALU_DEP_4) | instskip(SKIP_2) | instid1(VALU_DEP_1)
	v_bitop3_b32 v26, v26, v31, v30 bitop3:0x80
	ds_load_b32 v25, v27 offset:64
	; wave barrier
	v_bitop3_b32 v28, v26, v29, v28 bitop3:0x80
	v_mbcnt_lo_u32_b32 v26, v28, 0
	v_cmp_ne_u32_e64 s0, 0, v28
	s_delay_alu instid0(VALU_DEP_2) | instskip(SKIP_1) | instid1(SALU_CYCLE_1)
	v_cmp_eq_u32_e32 vcc_lo, 0, v26
	s_and_b32 s1, s0, vcc_lo
	s_and_saveexec_b32 s0, s1
	s_cbranch_execz .LBB722_109
; %bb.108:
	s_wait_dscnt 0x0
	v_bcnt_u32_b32 v28, v28, v25
	ds_store_b32 v27, v28 offset:64
.LBB722_109:
	s_or_b32 exec_lo, exec_lo, s0
	v_xor_b32_e32 v24, 0xffff8000, v24
	; wave barrier
	s_delay_alu instid0(VALU_DEP_1) | instskip(NEXT) | instid1(VALU_DEP_1)
	v_and_b32_e32 v28, 0xffff, v24
	v_lshrrev_b32_e32 v28, s20, v28
	s_delay_alu instid0(VALU_DEP_1) | instskip(SKIP_1) | instid1(VALU_DEP_2)
	v_bitop3_b32 v29, v28, 1, s9 bitop3:0x80
	v_and_b32_e32 v28, s9, v28
	v_add_co_u32 v29, s0, v29, -1
	s_delay_alu instid0(VALU_DEP_1) | instskip(NEXT) | instid1(VALU_DEP_3)
	v_cndmask_b32_e64 v30, 0, 1, s0
	v_dual_lshlrev_b32 v31, 30, v28 :: v_dual_lshlrev_b32 v32, 29, v28
	s_delay_alu instid0(VALU_DEP_2) | instskip(NEXT) | instid1(VALU_DEP_2)
	v_cmp_ne_u32_e32 vcc_lo, 0, v30
	v_cmp_gt_i32_e64 s0, 0, v31
	v_not_b32_e32 v30, v31
	s_delay_alu instid0(VALU_DEP_4) | instskip(SKIP_1) | instid1(VALU_DEP_3)
	v_not_b32_e32 v31, v32
	v_cmp_gt_i32_e64 s1, 0, v32
	v_dual_ashrrev_i32 v30, 31, v30 :: v_dual_bitop2_b32 v29, vcc_lo, v29 bitop3:0x14
	s_delay_alu instid0(VALU_DEP_3) | instskip(SKIP_2) | instid1(VALU_DEP_3)
	v_dual_ashrrev_i32 v31, 31, v31 :: v_dual_lshlrev_b32 v33, 28, v28
	v_dual_lshlrev_b32 v34, 27, v28 :: v_dual_lshlrev_b32 v35, 26, v28
	v_dual_lshlrev_b32 v36, 25, v28 :: v_dual_lshlrev_b32 v37, 24, v28
	v_not_b32_e32 v32, v33
	v_cmp_gt_i32_e64 s3, 0, v33
	s_delay_alu instid0(VALU_DEP_4)
	v_cmp_gt_i32_e64 s4, 0, v34
	v_not_b32_e32 v33, v34
	v_not_b32_e32 v34, v35
	v_dual_ashrrev_i32 v32, 31, v32 :: v_dual_bitop2_b32 v30, s0, v30 bitop3:0x14
	v_cmp_gt_i32_e64 s5, 0, v35
	v_cmp_gt_i32_e64 s6, 0, v36
	v_not_b32_e32 v35, v36
	v_not_b32_e32 v36, v37
	v_dual_ashrrev_i32 v33, 31, v33 :: v_dual_ashrrev_i32 v34, 31, v34
	v_xor_b32_e32 v31, s1, v31
	v_xor_b32_e32 v32, s3, v32
	v_bitop3_b32 v29, v29, v30, exec_lo bitop3:0x80
	v_cmp_gt_i32_e64 s7, 0, v37
	v_dual_ashrrev_i32 v30, 31, v35 :: v_dual_ashrrev_i32 v35, 31, v36
	v_xor_b32_e32 v33, s4, v33
	v_xor_b32_e32 v34, s5, v34
	v_bitop3_b32 v29, v29, v32, v31 bitop3:0x80
	v_mad_u32_u24 v31, 0x44, v28, v0
	v_xor_b32_e32 v30, s6, v30
	v_xor_b32_e32 v32, s7, v35
	s_delay_alu instid0(VALU_DEP_4) | instskip(SKIP_2) | instid1(VALU_DEP_1)
	v_bitop3_b32 v29, v29, v34, v33 bitop3:0x80
	ds_load_b32 v28, v31 offset:64
	; wave barrier
	v_bitop3_b32 v29, v29, v32, v30 bitop3:0x80
	v_mbcnt_lo_u32_b32 v30, v29, 0
	v_cmp_ne_u32_e64 s0, 0, v29
	s_delay_alu instid0(VALU_DEP_2) | instskip(SKIP_1) | instid1(SALU_CYCLE_1)
	v_cmp_eq_u32_e32 vcc_lo, 0, v30
	s_and_b32 s1, s0, vcc_lo
	s_and_saveexec_b32 s0, s1
	s_cbranch_execz .LBB722_111
; %bb.110:
	s_wait_dscnt 0x0
	v_bcnt_u32_b32 v29, v29, v28
	ds_store_b32 v31, v29 offset:64
.LBB722_111:
	s_or_b32 exec_lo, exec_lo, s0
	v_xor_b32_e32 v29, 0xffff8000, v7
	; wave barrier
	s_delay_alu instid0(VALU_DEP_1) | instskip(NEXT) | instid1(VALU_DEP_1)
	v_and_b32_e32 v7, 0xffff, v29
	v_lshrrev_b32_e32 v7, s20, v7
	s_delay_alu instid0(VALU_DEP_1) | instskip(SKIP_1) | instid1(VALU_DEP_2)
	v_bitop3_b32 v32, v7, 1, s9 bitop3:0x80
	v_and_b32_e32 v7, s9, v7
	v_add_co_u32 v32, s0, v32, -1
	s_delay_alu instid0(VALU_DEP_1) | instskip(NEXT) | instid1(VALU_DEP_3)
	v_cndmask_b32_e64 v33, 0, 1, s0
	v_dual_lshlrev_b32 v34, 30, v7 :: v_dual_lshlrev_b32 v35, 29, v7
	s_delay_alu instid0(VALU_DEP_2) | instskip(NEXT) | instid1(VALU_DEP_2)
	v_cmp_ne_u32_e32 vcc_lo, 0, v33
	v_cmp_gt_i32_e64 s0, 0, v34
	v_not_b32_e32 v33, v34
	s_delay_alu instid0(VALU_DEP_4) | instskip(SKIP_1) | instid1(VALU_DEP_3)
	v_not_b32_e32 v34, v35
	v_cmp_gt_i32_e64 s1, 0, v35
	v_dual_ashrrev_i32 v33, 31, v33 :: v_dual_bitop2_b32 v32, vcc_lo, v32 bitop3:0x14
	s_delay_alu instid0(VALU_DEP_3) | instskip(SKIP_2) | instid1(VALU_DEP_3)
	v_dual_ashrrev_i32 v34, 31, v34 :: v_dual_lshlrev_b32 v36, 28, v7
	v_dual_lshlrev_b32 v37, 27, v7 :: v_dual_lshlrev_b32 v38, 26, v7
	v_dual_lshlrev_b32 v39, 25, v7 :: v_dual_lshlrev_b32 v40, 24, v7
	v_not_b32_e32 v35, v36
	v_cmp_gt_i32_e64 s3, 0, v36
	s_delay_alu instid0(VALU_DEP_4)
	v_cmp_gt_i32_e64 s4, 0, v37
	v_not_b32_e32 v36, v37
	v_not_b32_e32 v37, v38
	v_dual_ashrrev_i32 v35, 31, v35 :: v_dual_bitop2_b32 v33, s0, v33 bitop3:0x14
	v_cmp_gt_i32_e64 s5, 0, v38
	v_cmp_gt_i32_e64 s6, 0, v39
	v_not_b32_e32 v38, v39
	v_not_b32_e32 v39, v40
	v_dual_ashrrev_i32 v36, 31, v36 :: v_dual_ashrrev_i32 v37, 31, v37
	v_xor_b32_e32 v34, s1, v34
	v_xor_b32_e32 v35, s3, v35
	v_bitop3_b32 v32, v32, v33, exec_lo bitop3:0x80
	v_cmp_gt_i32_e64 s7, 0, v40
	v_dual_ashrrev_i32 v33, 31, v38 :: v_dual_ashrrev_i32 v38, 31, v39
	v_xor_b32_e32 v36, s4, v36
	v_xor_b32_e32 v37, s5, v37
	v_bitop3_b32 v32, v32, v35, v34 bitop3:0x80
	v_mad_u32_u24 v35, 0x44, v7, v0
	v_xor_b32_e32 v7, s6, v33
	v_xor_b32_e32 v33, s7, v38
	s_delay_alu instid0(VALU_DEP_4) | instskip(SKIP_2) | instid1(VALU_DEP_1)
	v_bitop3_b32 v34, v32, v37, v36 bitop3:0x80
	ds_load_b32 v32, v35 offset:64
	; wave barrier
	v_bitop3_b32 v7, v34, v33, v7 bitop3:0x80
	v_mbcnt_lo_u32_b32 v34, v7, 0
	v_cmp_ne_u32_e64 s0, 0, v7
	s_delay_alu instid0(VALU_DEP_2) | instskip(SKIP_1) | instid1(SALU_CYCLE_1)
	v_cmp_eq_u32_e32 vcc_lo, 0, v34
	s_and_b32 s1, s0, vcc_lo
	s_and_saveexec_b32 s0, s1
	s_cbranch_execz .LBB722_113
; %bb.112:
	s_wait_dscnt 0x0
	v_bcnt_u32_b32 v7, v7, v32
	ds_store_b32 v35, v7 offset:64
.LBB722_113:
	s_or_b32 exec_lo, exec_lo, s0
	v_xor_b32_e32 v33, 0xffff8000, v6
	; wave barrier
	s_delay_alu instid0(VALU_DEP_1) | instskip(NEXT) | instid1(VALU_DEP_1)
	v_and_b32_e32 v6, 0xffff, v33
	v_lshrrev_b32_e32 v6, s20, v6
	s_delay_alu instid0(VALU_DEP_1) | instskip(SKIP_1) | instid1(VALU_DEP_2)
	v_bitop3_b32 v7, v6, 1, s9 bitop3:0x80
	v_and_b32_e32 v6, s9, v6
	v_add_co_u32 v7, s0, v7, -1
	s_delay_alu instid0(VALU_DEP_1) | instskip(NEXT) | instid1(VALU_DEP_3)
	v_cndmask_b32_e64 v36, 0, 1, s0
	v_dual_lshlrev_b32 v37, 30, v6 :: v_dual_lshlrev_b32 v38, 29, v6
	s_delay_alu instid0(VALU_DEP_2) | instskip(NEXT) | instid1(VALU_DEP_2)
	v_cmp_ne_u32_e32 vcc_lo, 0, v36
	v_cmp_gt_i32_e64 s0, 0, v37
	v_not_b32_e32 v36, v37
	s_delay_alu instid0(VALU_DEP_4) | instskip(SKIP_1) | instid1(VALU_DEP_3)
	v_not_b32_e32 v37, v38
	v_cmp_gt_i32_e64 s1, 0, v38
	v_dual_ashrrev_i32 v36, 31, v36 :: v_dual_bitop2_b32 v7, vcc_lo, v7 bitop3:0x14
	s_delay_alu instid0(VALU_DEP_3) | instskip(SKIP_2) | instid1(VALU_DEP_3)
	v_dual_ashrrev_i32 v37, 31, v37 :: v_dual_lshlrev_b32 v39, 28, v6
	v_dual_lshlrev_b32 v40, 27, v6 :: v_dual_lshlrev_b32 v41, 26, v6
	v_dual_lshlrev_b32 v42, 25, v6 :: v_dual_lshlrev_b32 v43, 24, v6
	v_not_b32_e32 v38, v39
	v_cmp_gt_i32_e64 s3, 0, v39
	s_delay_alu instid0(VALU_DEP_4)
	v_cmp_gt_i32_e64 s4, 0, v40
	v_not_b32_e32 v39, v40
	v_not_b32_e32 v40, v41
	v_dual_ashrrev_i32 v38, 31, v38 :: v_dual_bitop2_b32 v36, s0, v36 bitop3:0x14
	v_cmp_gt_i32_e64 s5, 0, v41
	v_cmp_gt_i32_e64 s6, 0, v42
	v_not_b32_e32 v41, v42
	v_not_b32_e32 v42, v43
	v_dual_ashrrev_i32 v39, 31, v39 :: v_dual_ashrrev_i32 v40, 31, v40
	v_xor_b32_e32 v37, s1, v37
	v_xor_b32_e32 v38, s3, v38
	v_bitop3_b32 v7, v7, v36, exec_lo bitop3:0x80
	v_cmp_gt_i32_e64 s7, 0, v43
	v_dual_ashrrev_i32 v36, 31, v41 :: v_dual_ashrrev_i32 v41, 31, v42
	v_xor_b32_e32 v42, s4, v39
	v_xor_b32_e32 v40, s5, v40
	v_bitop3_b32 v7, v7, v38, v37 bitop3:0x80
	v_mad_u32_u24 v39, 0x44, v6, v0
	v_xor_b32_e32 v6, s6, v36
	v_xor_b32_e32 v36, s7, v41
	s_delay_alu instid0(VALU_DEP_4) | instskip(SKIP_2) | instid1(VALU_DEP_1)
	v_bitop3_b32 v7, v7, v40, v42 bitop3:0x80
	ds_load_b32 v37, v39 offset:64
	; wave barrier
	v_bitop3_b32 v6, v7, v36, v6 bitop3:0x80
	v_mbcnt_lo_u32_b32 v38, v6, 0
	v_cmp_ne_u32_e64 s0, 0, v6
	s_delay_alu instid0(VALU_DEP_2) | instskip(SKIP_1) | instid1(SALU_CYCLE_1)
	v_cmp_eq_u32_e32 vcc_lo, 0, v38
	s_and_b32 s1, s0, vcc_lo
	s_and_saveexec_b32 s0, s1
	s_cbranch_execz .LBB722_115
; %bb.114:
	s_wait_dscnt 0x0
	v_bcnt_u32_b32 v6, v6, v37
	ds_store_b32 v39, v6 offset:64
.LBB722_115:
	s_or_b32 exec_lo, exec_lo, s0
	v_xor_b32_e32 v36, 0xffff8000, v5
	; wave barrier
	s_delay_alu instid0(VALU_DEP_1) | instskip(NEXT) | instid1(VALU_DEP_1)
	v_and_b32_e32 v5, 0xffff, v36
	v_lshrrev_b32_e32 v5, s20, v5
	s_delay_alu instid0(VALU_DEP_1) | instskip(SKIP_1) | instid1(VALU_DEP_2)
	v_bitop3_b32 v6, v5, 1, s9 bitop3:0x80
	v_and_b32_e32 v5, s9, v5
	v_add_co_u32 v6, s0, v6, -1
	s_delay_alu instid0(VALU_DEP_1) | instskip(NEXT) | instid1(VALU_DEP_3)
	v_cndmask_b32_e64 v7, 0, 1, s0
	v_dual_lshlrev_b32 v40, 30, v5 :: v_dual_lshlrev_b32 v41, 29, v5
	s_delay_alu instid0(VALU_DEP_2) | instskip(NEXT) | instid1(VALU_DEP_2)
	v_cmp_ne_u32_e32 vcc_lo, 0, v7
	v_cmp_gt_i32_e64 s0, 0, v40
	v_not_b32_e32 v7, v40
	s_delay_alu instid0(VALU_DEP_4) | instskip(SKIP_1) | instid1(VALU_DEP_3)
	v_not_b32_e32 v40, v41
	v_cmp_gt_i32_e64 s1, 0, v41
	v_dual_ashrrev_i32 v7, 31, v7 :: v_dual_bitop2_b32 v6, vcc_lo, v6 bitop3:0x14
	s_delay_alu instid0(VALU_DEP_3) | instskip(SKIP_2) | instid1(VALU_DEP_3)
	v_dual_ashrrev_i32 v40, 31, v40 :: v_dual_lshlrev_b32 v42, 28, v5
	v_dual_lshlrev_b32 v43, 27, v5 :: v_dual_lshlrev_b32 v44, 26, v5
	v_dual_lshlrev_b32 v45, 25, v5 :: v_dual_lshlrev_b32 v46, 24, v5
	v_not_b32_e32 v41, v42
	v_cmp_gt_i32_e64 s3, 0, v42
	s_delay_alu instid0(VALU_DEP_4)
	v_cmp_gt_i32_e64 s4, 0, v43
	v_not_b32_e32 v42, v43
	v_not_b32_e32 v43, v44
	v_dual_ashrrev_i32 v41, 31, v41 :: v_dual_bitop2_b32 v7, s0, v7 bitop3:0x14
	v_cmp_gt_i32_e64 s5, 0, v44
	v_cmp_gt_i32_e64 s6, 0, v45
	v_not_b32_e32 v44, v45
	v_not_b32_e32 v45, v46
	v_dual_ashrrev_i32 v42, 31, v42 :: v_dual_ashrrev_i32 v43, 31, v43
	v_xor_b32_e32 v40, s1, v40
	v_xor_b32_e32 v41, s3, v41
	v_bitop3_b32 v6, v6, v7, exec_lo bitop3:0x80
	v_cmp_gt_i32_e64 s7, 0, v46
	v_dual_ashrrev_i32 v7, 31, v44 :: v_dual_ashrrev_i32 v44, 31, v45
	v_xor_b32_e32 v42, s4, v42
	v_xor_b32_e32 v45, s5, v43
	v_bitop3_b32 v6, v6, v41, v40 bitop3:0x80
	v_mad_u32_u24 v43, 0x44, v5, v0
	v_xor_b32_e32 v5, s6, v7
	v_xor_b32_e32 v7, s7, v44
	s_delay_alu instid0(VALU_DEP_4) | instskip(SKIP_2) | instid1(VALU_DEP_1)
	v_bitop3_b32 v6, v6, v45, v42 bitop3:0x80
	ds_load_b32 v41, v43 offset:64
	; wave barrier
	v_bitop3_b32 v5, v6, v7, v5 bitop3:0x80
	v_mbcnt_lo_u32_b32 v42, v5, 0
	v_cmp_ne_u32_e64 s0, 0, v5
	s_delay_alu instid0(VALU_DEP_2) | instskip(SKIP_1) | instid1(SALU_CYCLE_1)
	v_cmp_eq_u32_e32 vcc_lo, 0, v42
	s_and_b32 s1, s0, vcc_lo
	s_and_saveexec_b32 s0, s1
	s_cbranch_execz .LBB722_117
; %bb.116:
	s_wait_dscnt 0x0
	v_bcnt_u32_b32 v5, v5, v41
	ds_store_b32 v43, v5 offset:64
.LBB722_117:
	s_or_b32 exec_lo, exec_lo, s0
	v_xor_b32_e32 v40, 0xffff8000, v4
	; wave barrier
	s_delay_alu instid0(VALU_DEP_1) | instskip(NEXT) | instid1(VALU_DEP_1)
	v_and_b32_e32 v4, 0xffff, v40
	v_lshrrev_b32_e32 v4, s20, v4
	s_delay_alu instid0(VALU_DEP_1) | instskip(SKIP_1) | instid1(VALU_DEP_2)
	v_bitop3_b32 v5, v4, 1, s9 bitop3:0x80
	v_and_b32_e32 v4, s9, v4
	v_add_co_u32 v5, s0, v5, -1
	s_delay_alu instid0(VALU_DEP_1) | instskip(NEXT) | instid1(VALU_DEP_3)
	v_cndmask_b32_e64 v6, 0, 1, s0
	v_dual_lshlrev_b32 v7, 30, v4 :: v_dual_lshlrev_b32 v44, 29, v4
	s_delay_alu instid0(VALU_DEP_2) | instskip(NEXT) | instid1(VALU_DEP_2)
	v_cmp_ne_u32_e32 vcc_lo, 0, v6
	v_cmp_gt_i32_e64 s0, 0, v7
	v_not_b32_e32 v6, v7
	s_delay_alu instid0(VALU_DEP_4) | instskip(SKIP_1) | instid1(VALU_DEP_3)
	v_not_b32_e32 v7, v44
	v_cmp_gt_i32_e64 s1, 0, v44
	v_dual_ashrrev_i32 v6, 31, v6 :: v_dual_bitop2_b32 v5, vcc_lo, v5 bitop3:0x14
	s_delay_alu instid0(VALU_DEP_3) | instskip(SKIP_2) | instid1(VALU_DEP_3)
	v_dual_ashrrev_i32 v7, 31, v7 :: v_dual_lshlrev_b32 v45, 28, v4
	v_dual_lshlrev_b32 v46, 27, v4 :: v_dual_lshlrev_b32 v47, 26, v4
	v_dual_lshlrev_b32 v48, 25, v4 :: v_dual_lshlrev_b32 v49, 24, v4
	v_not_b32_e32 v44, v45
	v_cmp_gt_i32_e64 s3, 0, v45
	s_delay_alu instid0(VALU_DEP_4)
	v_cmp_gt_i32_e64 s4, 0, v46
	v_not_b32_e32 v45, v46
	v_not_b32_e32 v46, v47
	v_dual_ashrrev_i32 v44, 31, v44 :: v_dual_bitop2_b32 v6, s0, v6 bitop3:0x14
	v_cmp_gt_i32_e64 s5, 0, v47
	v_cmp_gt_i32_e64 s6, 0, v48
	v_not_b32_e32 v47, v48
	v_not_b32_e32 v48, v49
	v_dual_ashrrev_i32 v45, 31, v45 :: v_dual_ashrrev_i32 v46, 31, v46
	v_xor_b32_e32 v7, s1, v7
	v_xor_b32_e32 v44, s3, v44
	v_bitop3_b32 v5, v5, v6, exec_lo bitop3:0x80
	v_cmp_gt_i32_e64 s7, 0, v49
	v_dual_ashrrev_i32 v6, 31, v47 :: v_dual_ashrrev_i32 v48, 31, v48
	v_xor_b32_e32 v45, s4, v45
	v_xor_b32_e32 v46, s5, v46
	v_bitop3_b32 v5, v5, v44, v7 bitop3:0x80
	v_mad_u32_u24 v47, 0x44, v4, v0
	v_xor_b32_e32 v4, s6, v6
	v_xor_b32_e32 v6, s7, v48
	s_delay_alu instid0(VALU_DEP_4) | instskip(SKIP_2) | instid1(VALU_DEP_1)
	v_bitop3_b32 v5, v5, v46, v45 bitop3:0x80
	ds_load_b32 v45, v47 offset:64
	; wave barrier
	v_bitop3_b32 v4, v5, v6, v4 bitop3:0x80
	v_mbcnt_lo_u32_b32 v46, v4, 0
	v_cmp_ne_u32_e64 s0, 0, v4
	s_delay_alu instid0(VALU_DEP_2) | instskip(SKIP_1) | instid1(SALU_CYCLE_1)
	v_cmp_eq_u32_e32 vcc_lo, 0, v46
	s_and_b32 s1, s0, vcc_lo
	s_and_saveexec_b32 s0, s1
	s_cbranch_execz .LBB722_119
; %bb.118:
	s_wait_dscnt 0x0
	v_bcnt_u32_b32 v4, v4, v45
	ds_store_b32 v47, v4 offset:64
.LBB722_119:
	s_or_b32 exec_lo, exec_lo, s0
	v_xor_b32_e32 v44, 0xffff8000, v3
	; wave barrier
	s_delay_alu instid0(VALU_DEP_1) | instskip(NEXT) | instid1(VALU_DEP_1)
	v_and_b32_e32 v3, 0xffff, v44
	v_lshrrev_b32_e32 v3, s20, v3
	s_delay_alu instid0(VALU_DEP_1) | instskip(SKIP_1) | instid1(VALU_DEP_2)
	v_bitop3_b32 v4, v3, 1, s9 bitop3:0x80
	v_and_b32_e32 v3, s9, v3
	v_add_co_u32 v4, s0, v4, -1
	s_delay_alu instid0(VALU_DEP_1) | instskip(NEXT) | instid1(VALU_DEP_3)
	v_cndmask_b32_e64 v5, 0, 1, s0
	v_dual_lshlrev_b32 v6, 30, v3 :: v_dual_lshlrev_b32 v7, 29, v3
	s_delay_alu instid0(VALU_DEP_2) | instskip(NEXT) | instid1(VALU_DEP_2)
	v_cmp_ne_u32_e32 vcc_lo, 0, v5
	v_cmp_gt_i32_e64 s0, 0, v6
	v_not_b32_e32 v5, v6
	s_delay_alu instid0(VALU_DEP_4) | instskip(SKIP_1) | instid1(VALU_DEP_3)
	v_not_b32_e32 v6, v7
	v_cmp_gt_i32_e64 s1, 0, v7
	v_dual_ashrrev_i32 v5, 31, v5 :: v_dual_bitop2_b32 v4, vcc_lo, v4 bitop3:0x14
	s_delay_alu instid0(VALU_DEP_3) | instskip(SKIP_2) | instid1(VALU_DEP_3)
	v_dual_ashrrev_i32 v6, 31, v6 :: v_dual_lshlrev_b32 v48, 28, v3
	v_dual_lshlrev_b32 v49, 27, v3 :: v_dual_lshlrev_b32 v50, 26, v3
	v_dual_lshlrev_b32 v51, 25, v3 :: v_dual_lshlrev_b32 v52, 24, v3
	v_not_b32_e32 v7, v48
	v_cmp_gt_i32_e64 s3, 0, v48
	s_delay_alu instid0(VALU_DEP_4)
	v_cmp_gt_i32_e64 s4, 0, v49
	v_not_b32_e32 v48, v49
	v_not_b32_e32 v49, v50
	v_dual_ashrrev_i32 v7, 31, v7 :: v_dual_bitop2_b32 v5, s0, v5 bitop3:0x14
	v_cmp_gt_i32_e64 s5, 0, v50
	v_cmp_gt_i32_e64 s6, 0, v51
	v_not_b32_e32 v50, v51
	v_not_b32_e32 v51, v52
	v_dual_ashrrev_i32 v48, 31, v48 :: v_dual_ashrrev_i32 v49, 31, v49
	v_xor_b32_e32 v6, s1, v6
	v_xor_b32_e32 v7, s3, v7
	v_bitop3_b32 v4, v4, v5, exec_lo bitop3:0x80
	v_cmp_gt_i32_e64 s7, 0, v52
	v_dual_ashrrev_i32 v5, 31, v50 :: v_dual_ashrrev_i32 v50, 31, v51
	v_xor_b32_e32 v48, s4, v48
	v_xor_b32_e32 v49, s5, v49
	v_bitop3_b32 v4, v4, v7, v6 bitop3:0x80
	v_mad_u32_u24 v52, 0x44, v3, v0
	v_xor_b32_e32 v3, s6, v5
	v_xor_b32_e32 v5, s7, v50
	s_delay_alu instid0(VALU_DEP_4) | instskip(SKIP_2) | instid1(VALU_DEP_1)
	v_bitop3_b32 v4, v4, v49, v48 bitop3:0x80
	ds_load_b32 v48, v52 offset:64
	; wave barrier
	v_bitop3_b32 v3, v4, v5, v3 bitop3:0x80
	v_mbcnt_lo_u32_b32 v50, v3, 0
	v_cmp_ne_u32_e64 s0, 0, v3
	s_delay_alu instid0(VALU_DEP_2) | instskip(SKIP_1) | instid1(SALU_CYCLE_1)
	v_cmp_eq_u32_e32 vcc_lo, 0, v50
	s_and_b32 s1, s0, vcc_lo
	s_and_saveexec_b32 s0, s1
	s_cbranch_execz .LBB722_121
; %bb.120:
	s_wait_dscnt 0x0
	v_bcnt_u32_b32 v3, v3, v48
	ds_store_b32 v52, v3 offset:64
.LBB722_121:
	s_or_b32 exec_lo, exec_lo, s0
	v_xor_b32_e32 v49, 0xffff8000, v2
	; wave barrier
	s_delay_alu instid0(VALU_DEP_1) | instskip(NEXT) | instid1(VALU_DEP_1)
	v_and_b32_e32 v2, 0xffff, v49
	v_lshrrev_b32_e32 v2, s20, v2
	s_delay_alu instid0(VALU_DEP_1) | instskip(SKIP_1) | instid1(VALU_DEP_2)
	v_bitop3_b32 v3, v2, 1, s9 bitop3:0x80
	v_and_b32_e32 v2, s9, v2
	v_add_co_u32 v3, s0, v3, -1
	s_delay_alu instid0(VALU_DEP_1) | instskip(NEXT) | instid1(VALU_DEP_3)
	v_cndmask_b32_e64 v4, 0, 1, s0
	v_dual_lshlrev_b32 v5, 30, v2 :: v_dual_lshlrev_b32 v6, 29, v2
	s_delay_alu instid0(VALU_DEP_2) | instskip(NEXT) | instid1(VALU_DEP_2)
	v_cmp_ne_u32_e32 vcc_lo, 0, v4
	v_cmp_gt_i32_e64 s0, 0, v5
	v_not_b32_e32 v4, v5
	s_delay_alu instid0(VALU_DEP_4) | instskip(SKIP_1) | instid1(VALU_DEP_3)
	v_not_b32_e32 v5, v6
	v_cmp_gt_i32_e64 s1, 0, v6
	v_dual_ashrrev_i32 v4, 31, v4 :: v_dual_bitop2_b32 v3, vcc_lo, v3 bitop3:0x14
	s_delay_alu instid0(VALU_DEP_3) | instskip(SKIP_2) | instid1(VALU_DEP_3)
	v_dual_ashrrev_i32 v5, 31, v5 :: v_dual_lshlrev_b32 v7, 28, v2
	v_dual_lshlrev_b32 v51, 27, v2 :: v_dual_lshlrev_b32 v53, 26, v2
	v_dual_lshlrev_b32 v54, 25, v2 :: v_dual_lshlrev_b32 v55, 24, v2
	v_not_b32_e32 v6, v7
	v_cmp_gt_i32_e64 s3, 0, v7
	s_delay_alu instid0(VALU_DEP_4)
	v_cmp_gt_i32_e64 s4, 0, v51
	v_not_b32_e32 v7, v51
	v_not_b32_e32 v51, v53
	v_dual_ashrrev_i32 v6, 31, v6 :: v_dual_bitop2_b32 v4, s0, v4 bitop3:0x14
	v_cmp_gt_i32_e64 s5, 0, v53
	v_cmp_gt_i32_e64 s6, 0, v54
	v_not_b32_e32 v53, v54
	v_not_b32_e32 v54, v55
	v_dual_ashrrev_i32 v7, 31, v7 :: v_dual_bitop2_b32 v5, s1, v5 bitop3:0x14
	v_dual_ashrrev_i32 v51, 31, v51 :: v_dual_bitop2_b32 v6, s3, v6 bitop3:0x14
	v_bitop3_b32 v3, v3, v4, exec_lo bitop3:0x80
	v_cmp_gt_i32_e64 s7, 0, v55
	v_dual_ashrrev_i32 v4, 31, v53 :: v_dual_ashrrev_i32 v53, 31, v54
	v_xor_b32_e32 v7, s4, v7
	v_xor_b32_e32 v51, s5, v51
	v_bitop3_b32 v3, v3, v6, v5 bitop3:0x80
	v_mad_u32_u24 v57, 0x44, v2, v0
	v_xor_b32_e32 v2, s6, v4
	v_xor_b32_e32 v4, s7, v53
	s_delay_alu instid0(VALU_DEP_4) | instskip(SKIP_2) | instid1(VALU_DEP_1)
	v_bitop3_b32 v3, v3, v51, v7 bitop3:0x80
	ds_load_b32 v51, v57 offset:64
	; wave barrier
	v_bitop3_b32 v2, v3, v4, v2 bitop3:0x80
	v_mbcnt_lo_u32_b32 v54, v2, 0
	v_cmp_ne_u32_e64 s0, 0, v2
	s_delay_alu instid0(VALU_DEP_2) | instskip(SKIP_1) | instid1(SALU_CYCLE_1)
	v_cmp_eq_u32_e32 vcc_lo, 0, v54
	s_and_b32 s1, s0, vcc_lo
	s_and_saveexec_b32 s0, s1
	s_cbranch_execz .LBB722_123
; %bb.122:
	s_wait_dscnt 0x0
	v_bcnt_u32_b32 v2, v2, v51
	ds_store_b32 v57, v2 offset:64
.LBB722_123:
	s_or_b32 exec_lo, exec_lo, s0
	v_xor_b32_e32 v53, 0xffff8000, v1
	; wave barrier
	s_delay_alu instid0(VALU_DEP_1) | instskip(NEXT) | instid1(VALU_DEP_1)
	v_and_b32_e32 v1, 0xffff, v53
	v_lshrrev_b32_e32 v1, s20, v1
	s_delay_alu instid0(VALU_DEP_1) | instskip(SKIP_1) | instid1(VALU_DEP_2)
	v_bitop3_b32 v2, v1, 1, s9 bitop3:0x80
	v_and_b32_e32 v1, s9, v1
	v_add_co_u32 v2, s0, v2, -1
	s_delay_alu instid0(VALU_DEP_1) | instskip(NEXT) | instid1(VALU_DEP_3)
	v_cndmask_b32_e64 v3, 0, 1, s0
	v_dual_lshlrev_b32 v4, 30, v1 :: v_dual_lshlrev_b32 v5, 29, v1
	s_delay_alu instid0(VALU_DEP_2) | instskip(NEXT) | instid1(VALU_DEP_2)
	v_cmp_ne_u32_e32 vcc_lo, 0, v3
	v_cmp_gt_i32_e64 s0, 0, v4
	v_not_b32_e32 v3, v4
	s_delay_alu instid0(VALU_DEP_4) | instskip(SKIP_1) | instid1(VALU_DEP_3)
	v_not_b32_e32 v4, v5
	v_cmp_gt_i32_e64 s1, 0, v5
	v_dual_ashrrev_i32 v3, 31, v3 :: v_dual_bitop2_b32 v2, vcc_lo, v2 bitop3:0x14
	s_delay_alu instid0(VALU_DEP_3) | instskip(SKIP_2) | instid1(VALU_DEP_3)
	v_dual_ashrrev_i32 v4, 31, v4 :: v_dual_lshlrev_b32 v6, 28, v1
	v_dual_lshlrev_b32 v7, 27, v1 :: v_dual_lshlrev_b32 v55, 26, v1
	v_dual_lshlrev_b32 v56, 25, v1 :: v_dual_lshlrev_b32 v58, 24, v1
	v_not_b32_e32 v5, v6
	v_cmp_gt_i32_e64 s3, 0, v6
	s_delay_alu instid0(VALU_DEP_4)
	v_cmp_gt_i32_e64 s4, 0, v7
	v_not_b32_e32 v6, v7
	v_not_b32_e32 v7, v55
	v_dual_ashrrev_i32 v5, 31, v5 :: v_dual_bitop2_b32 v3, s0, v3 bitop3:0x14
	v_cmp_gt_i32_e64 s5, 0, v55
	v_cmp_gt_i32_e64 s6, 0, v56
	v_not_b32_e32 v55, v56
	v_not_b32_e32 v56, v58
	v_dual_ashrrev_i32 v6, 31, v6 :: v_dual_ashrrev_i32 v7, 31, v7
	v_xor_b32_e32 v4, s1, v4
	v_xor_b32_e32 v5, s3, v5
	v_bitop3_b32 v2, v2, v3, exec_lo bitop3:0x80
	v_cmp_gt_i32_e64 s7, 0, v58
	v_dual_ashrrev_i32 v3, 31, v55 :: v_dual_ashrrev_i32 v55, 31, v56
	v_xor_b32_e32 v6, s4, v6
	v_xor_b32_e32 v7, s5, v7
	v_bitop3_b32 v2, v2, v5, v4 bitop3:0x80
	v_mad_u32_u24 v58, 0x44, v1, v0
	v_xor_b32_e32 v0, s6, v3
	v_xor_b32_e32 v1, s7, v55
	s_delay_alu instid0(VALU_DEP_4) | instskip(SKIP_2) | instid1(VALU_DEP_1)
	v_bitop3_b32 v2, v2, v7, v6 bitop3:0x80
	ds_load_b32 v55, v58 offset:64
	; wave barrier
	v_bitop3_b32 v0, v2, v1, v0 bitop3:0x80
	v_mbcnt_lo_u32_b32 v56, v0, 0
	v_cmp_ne_u32_e64 s0, 0, v0
	s_delay_alu instid0(VALU_DEP_2) | instskip(SKIP_1) | instid1(SALU_CYCLE_1)
	v_cmp_eq_u32_e32 vcc_lo, 0, v56
	s_and_b32 s1, s0, vcc_lo
	s_and_saveexec_b32 s0, s1
	s_cbranch_execz .LBB722_125
; %bb.124:
	s_wait_dscnt 0x0
	v_bcnt_u32_b32 v0, v0, v55
	ds_store_b32 v58, v0 offset:64
.LBB722_125:
	s_or_b32 exec_lo, exec_lo, s0
	; wave barrier
	s_wait_dscnt 0x0
	s_barrier_signal -1
	s_barrier_wait -1
	ds_load_2addr_b32 v[6:7], v11 offset0:16 offset1:17
	ds_load_2addr_b32 v[4:5], v11 offset0:18 offset1:19
	;; [unrolled: 1-line block ×4, first 2 shown]
	ds_load_b32 v59, v11 offset:96
	v_min_u32_e32 v16, 0x1e0, v16
	s_mov_b32 s5, exec_lo
	s_delay_alu instid0(VALU_DEP_1) | instskip(SKIP_3) | instid1(VALU_DEP_1)
	v_or_b32_e32 v62, 31, v16
	s_wait_dscnt 0x3
	v_add3_u32 v60, v7, v6, v4
	s_wait_dscnt 0x2
	v_add3_u32 v60, v60, v5, v2
	s_wait_dscnt 0x1
	s_delay_alu instid0(VALU_DEP_1) | instskip(SKIP_1) | instid1(VALU_DEP_1)
	v_add3_u32 v60, v60, v3, v0
	s_wait_dscnt 0x0
	v_add3_u32 v59, v60, v1, v59
	v_and_b32_e32 v60, 15, v15
	s_delay_alu instid0(VALU_DEP_2) | instskip(NEXT) | instid1(VALU_DEP_2)
	v_mov_b32_dpp v61, v59 row_shr:1 row_mask:0xf bank_mask:0xf
	v_cmp_eq_u32_e32 vcc_lo, 0, v60
	v_cmp_lt_u32_e64 s0, 1, v60
	s_delay_alu instid0(VALU_DEP_3) | instskip(NEXT) | instid1(VALU_DEP_1)
	v_cndmask_b32_e64 v61, v61, 0, vcc_lo
	v_add_nc_u32_e32 v59, v61, v59
	s_delay_alu instid0(VALU_DEP_1) | instskip(NEXT) | instid1(VALU_DEP_1)
	v_mov_b32_dpp v61, v59 row_shr:2 row_mask:0xf bank_mask:0xf
	v_cndmask_b32_e64 v61, 0, v61, s0
	v_cmp_lt_u32_e64 s3, 7, v60
	v_cmp_lt_u32_e64 s1, 3, v60
	s_delay_alu instid0(VALU_DEP_3) | instskip(NEXT) | instid1(VALU_DEP_1)
	v_add_nc_u32_e32 v59, v59, v61
	v_mov_b32_dpp v61, v59 row_shr:4 row_mask:0xf bank_mask:0xf
	s_delay_alu instid0(VALU_DEP_1) | instskip(NEXT) | instid1(VALU_DEP_1)
	v_cndmask_b32_e64 v61, 0, v61, s1
	v_add_nc_u32_e32 v59, v59, v61
	s_delay_alu instid0(VALU_DEP_1) | instskip(NEXT) | instid1(VALU_DEP_1)
	v_mov_b32_dpp v61, v59 row_shr:8 row_mask:0xf bank_mask:0xf
	v_cndmask_b32_e64 v60, 0, v61, s3
	v_bfe_i32 v61, v15, 4, 1
	s_delay_alu instid0(VALU_DEP_2) | instskip(SKIP_3) | instid1(VALU_DEP_1)
	v_add_nc_u32_e32 v60, v59, v60
	ds_swizzle_b32 v59, v60 offset:swizzle(BROADCAST,32,15)
	s_wait_dscnt 0x0
	v_dual_lshrrev_b32 v59, 5, v14 :: v_dual_bitop2_b32 v61, v61, v59 bitop3:0x40
	v_add_nc_u32_e32 v16, v60, v61
	v_cmpx_eq_u32_e64 v14, v62
; %bb.126:
	s_delay_alu instid0(VALU_DEP_3)
	v_lshlrev_b32_e32 v60, 2, v59
	ds_store_b32 v60, v16
; %bb.127:
	s_or_b32 exec_lo, exec_lo, s5
	s_delay_alu instid0(SALU_CYCLE_1)
	s_mov_b32 s5, exec_lo
	s_wait_dscnt 0x0
	s_barrier_signal -1
	s_barrier_wait -1
	v_cmpx_gt_u32_e32 16, v14
	s_cbranch_execz .LBB722_129
; %bb.128:
	v_lshlrev_b32_e32 v60, 2, v14
	ds_load_b32 v61, v60
	s_wait_dscnt 0x0
	v_mov_b32_dpp v62, v61 row_shr:1 row_mask:0xf bank_mask:0xf
	s_delay_alu instid0(VALU_DEP_1) | instskip(NEXT) | instid1(VALU_DEP_1)
	v_cndmask_b32_e64 v62, v62, 0, vcc_lo
	v_add_nc_u32_e32 v61, v62, v61
	s_delay_alu instid0(VALU_DEP_1) | instskip(NEXT) | instid1(VALU_DEP_1)
	v_mov_b32_dpp v62, v61 row_shr:2 row_mask:0xf bank_mask:0xf
	v_cndmask_b32_e64 v62, 0, v62, s0
	s_delay_alu instid0(VALU_DEP_1) | instskip(NEXT) | instid1(VALU_DEP_1)
	v_add_nc_u32_e32 v61, v61, v62
	v_mov_b32_dpp v62, v61 row_shr:4 row_mask:0xf bank_mask:0xf
	s_delay_alu instid0(VALU_DEP_1) | instskip(NEXT) | instid1(VALU_DEP_1)
	v_cndmask_b32_e64 v62, 0, v62, s1
	v_add_nc_u32_e32 v61, v61, v62
	s_delay_alu instid0(VALU_DEP_1) | instskip(NEXT) | instid1(VALU_DEP_1)
	v_mov_b32_dpp v62, v61 row_shr:8 row_mask:0xf bank_mask:0xf
	v_cndmask_b32_e64 v62, 0, v62, s3
	s_delay_alu instid0(VALU_DEP_1)
	v_add_nc_u32_e32 v61, v61, v62
	ds_store_b32 v60, v61
.LBB722_129:
	s_or_b32 exec_lo, exec_lo, s5
	v_mov_b32_e32 v60, 0
	s_mov_b32 s0, exec_lo
	s_wait_dscnt 0x0
	s_barrier_signal -1
	s_barrier_wait -1
	v_cmpx_lt_u32_e32 31, v14
; %bb.130:
	v_lshl_add_u32 v59, v59, 2, -4
	ds_load_b32 v60, v59
; %bb.131:
	s_or_b32 exec_lo, exec_lo, s0
	v_sub_co_u32 v59, vcc_lo, v15, 1
	s_wait_dscnt 0x0
	v_add_nc_u32_e32 v16, v60, v16
	s_delay_alu instid0(VALU_DEP_2) | instskip(NEXT) | instid1(VALU_DEP_1)
	v_cmp_gt_i32_e64 s0, 0, v59
	v_cndmask_b32_e64 v15, v59, v15, s0
	v_cmp_gt_u32_e64 s0, 0x100, v14
	s_delay_alu instid0(VALU_DEP_2) | instskip(SKIP_4) | instid1(VALU_DEP_2)
	v_lshlrev_b32_e32 v15, 2, v15
	ds_bpermute_b32 v15, v15, v16
	s_wait_dscnt 0x0
	v_cndmask_b32_e32 v15, v15, v60, vcc_lo
	v_cmp_lt_u32_e32 vcc_lo, 0xff, v14
	v_cndmask_b32_e64 v15, v15, 0, s2
	s_delay_alu instid0(VALU_DEP_1) | instskip(NEXT) | instid1(VALU_DEP_1)
	v_add_nc_u32_e32 v6, v15, v6
	v_add_nc_u32_e32 v7, v6, v7
	s_delay_alu instid0(VALU_DEP_1) | instskip(NEXT) | instid1(VALU_DEP_1)
	v_add_nc_u32_e32 v4, v7, v4
	v_add_nc_u32_e32 v5, v4, v5
	;; [unrolled: 3-line block ×4, first 2 shown]
	ds_store_2addr_b32 v11, v15, v6 offset0:16 offset1:17
	ds_store_2addr_b32 v11, v7, v4 offset0:18 offset1:19
	;; [unrolled: 1-line block ×4, first 2 shown]
	ds_store_b32 v11, v1 offset:96
	s_wait_dscnt 0x0
	s_barrier_signal -1
	s_barrier_wait -1
	ds_load_b32 v59, v12 offset:64
	ds_load_b32 v60, v19 offset:64
	;; [unrolled: 1-line block ×12, first 2 shown]
	v_mov_b64_e32 v[0:1], 0
                                        ; implicit-def: $vgpr2
	s_and_saveexec_b32 s2, s0
	s_cbranch_execz .LBB722_135
; %bb.132:
	v_mul_u32_u24_e32 v0, 0x44, v14
	v_dual_mov_b32 v1, 0x1800 :: v_dual_add_nc_u32 v2, 1, v14
	s_mov_b32 s3, exec_lo
	ds_load_b32 v0, v0 offset:64
	v_cmpx_ne_u32_e32 0x100, v2
; %bb.133:
	v_mul_u32_u24_e32 v1, 0x44, v2
	ds_load_b32 v1, v1 offset:64
; %bb.134:
	s_or_b32 exec_lo, exec_lo, s3
	s_wait_dscnt 0x0
	v_dual_mov_b32 v1, 0 :: v_dual_sub_nc_u32 v2, v1, v0
.LBB722_135:
	s_or_b32 exec_lo, exec_lo, s2
	s_wait_dscnt 0xa
	v_dual_lshlrev_b32 v9, 1, v9 :: v_dual_lshlrev_b32 v23, 1, v60
	v_dual_lshlrev_b32 v18, 1, v18 :: v_dual_lshlrev_b32 v17, 1, v17
	v_lshlrev_b32_e32 v21, 1, v21
	s_delay_alu instid0(VALU_DEP_3)
	v_lshl_add_u32 v9, v59, 1, v9
	s_wait_dscnt 0x0
	s_barrier_signal -1
	v_add3_u32 v17, v23, v18, v17
	v_dual_lshlrev_b32 v18, 1, v19 :: v_dual_lshlrev_b32 v19, 1, v22
	s_barrier_wait -1
	ds_store_b16 v9, v8 offset:2048
	ds_store_b16 v17, v10 offset:2048
	v_lshlrev_b32_e32 v9, 1, v16
	v_add3_u32 v8, v18, v19, v21
	v_dual_lshlrev_b32 v10, 1, v26 :: v_dual_lshlrev_b32 v16, 1, v25
	v_dual_lshlrev_b32 v18, 1, v28 :: v_dual_lshlrev_b32 v19, 1, v34
	;; [unrolled: 1-line block ×6, first 2 shown]
	ds_store_b16 v8, v13 offset:2048
	v_add3_u32 v8, v9, v10, v16
	v_add3_u32 v10, v12, v19, v21
	v_dual_lshlrev_b32 v12, 1, v42 :: v_dual_lshlrev_b32 v13, 1, v41
	v_add3_u32 v9, v15, v17, v18
	v_add3_u32 v11, v11, v22, v23
	ds_store_b16 v8, v20 offset:2048
	ds_store_b16 v9, v24 offset:2048
	;; [unrolled: 1-line block ×4, first 2 shown]
	v_add3_u32 v7, v7, v12, v13
	v_dual_lshlrev_b32 v6, 1, v6 :: v_dual_lshlrev_b32 v9, 1, v45
	v_dual_lshlrev_b32 v8, 1, v46 :: v_dual_lshlrev_b32 v5, 1, v5
	;; [unrolled: 1-line block ×4, first 2 shown]
	v_lshlrev_b32_e32 v3, 1, v3
	v_dual_lshlrev_b32 v16, 1, v55 :: v_dual_lshlrev_b32 v4, 1, v4
	v_lshlrev_b32_e32 v12, 1, v54
	ds_store_b16 v7, v36 offset:2048
	v_add3_u32 v6, v6, v8, v9
	v_add3_u32 v7, v5, v10, v11
	v_mov_b32_e32 v5, 0
	v_add3_u32 v8, v3, v15, v16
	v_lshlrev_b32_e32 v3, 3, v14
	v_add3_u32 v4, v4, v12, v13
	ds_store_b16 v6, v40 offset:2048
	ds_store_b16 v7, v44 offset:2048
	;; [unrolled: 1-line block ×4, first 2 shown]
	s_and_saveexec_b32 s1, s0
	s_cbranch_execz .LBB722_145
; %bb.136:
	v_lshl_add_u32 v4, s23, 8, v14
	v_dual_mov_b32 v8, 0 :: v_dual_bitop2_b32 v9, 2.0, v2 bitop3:0x54
	s_mov_b32 s2, 0
	s_mov_b32 s3, s23
	s_delay_alu instid0(VALU_DEP_2)
	v_lshl_add_u64 v[6:7], v[4:5], 2, s[10:11]
	global_store_b32 v4, v9, s[10:11] scale_offset scope:SCOPE_DEV
                                        ; implicit-def: $sgpr0
	s_branch .LBB722_139
.LBB722_137:                            ;   in Loop: Header=BB722_139 Depth=1
	s_or_b32 exec_lo, exec_lo, s5
.LBB722_138:                            ;   in Loop: Header=BB722_139 Depth=1
	s_delay_alu instid0(SALU_CYCLE_1) | instskip(SKIP_2) | instid1(VALU_DEP_2)
	s_or_b32 exec_lo, exec_lo, s4
	v_and_b32_e32 v4, 0x3fffffff, v9
	v_cmp_gt_i32_e64 s0, -2.0, v9
	v_add_nc_u32_e32 v8, v4, v8
	s_and_b32 s4, exec_lo, s0
	s_delay_alu instid0(SALU_CYCLE_1) | instskip(NEXT) | instid1(SALU_CYCLE_1)
	s_or_b32 s2, s4, s2
	s_and_not1_b32 exec_lo, exec_lo, s2
	s_cbranch_execz .LBB722_144
.LBB722_139:                            ; =>This Loop Header: Depth=1
                                        ;     Child Loop BB722_142 Depth 2
	s_or_b32 s0, s0, exec_lo
	s_cmp_eq_u32 s3, 0
	s_cbranch_scc1 .LBB722_143
; %bb.140:                              ;   in Loop: Header=BB722_139 Depth=1
	s_add_co_i32 s3, s3, -1
	s_mov_b32 s4, exec_lo
	s_wait_xcnt 0x0
	v_lshl_or_b32 v4, s3, 8, v14
	global_load_b32 v9, v4, s[10:11] scale_offset scope:SCOPE_DEV
	s_wait_loadcnt 0x0
	v_cmpx_gt_u32_e32 2.0, v9
	s_cbranch_execz .LBB722_138
; %bb.141:                              ;   in Loop: Header=BB722_139 Depth=1
	v_lshl_add_u64 v[10:11], v[4:5], 2, s[10:11]
	s_mov_b32 s5, 0
.LBB722_142:                            ;   Parent Loop BB722_139 Depth=1
                                        ; =>  This Inner Loop Header: Depth=2
	global_load_b32 v9, v[10:11], off scope:SCOPE_DEV
	s_wait_loadcnt 0x0
	v_cmp_lt_u32_e64 s0, 0x3fffffff, v9
	s_or_b32 s5, s0, s5
	s_wait_xcnt 0x0
	s_and_not1_b32 exec_lo, exec_lo, s5
	s_cbranch_execnz .LBB722_142
	s_branch .LBB722_137
.LBB722_143:                            ;   in Loop: Header=BB722_139 Depth=1
                                        ; implicit-def: $sgpr3
	s_and_b32 s4, exec_lo, s0
	s_delay_alu instid0(SALU_CYCLE_1)
	s_or_b32 s2, s4, s2
	s_wait_xcnt 0x0
	s_and_not1_b32 exec_lo, exec_lo, s2
	s_cbranch_execnz .LBB722_139
.LBB722_144:
	s_or_b32 exec_lo, exec_lo, s2
	v_dual_mov_b32 v9, 0 :: v_dual_add_nc_u32 v4, v8, v2
	s_delay_alu instid0(VALU_DEP_1) | instskip(SKIP_4) | instid1(VALU_DEP_1)
	v_or_b32_e32 v4, 0x80000000, v4
	global_store_b32 v[6:7], v4, off scope:SCOPE_DEV
	global_load_b64 v[4:5], v14, s[12:13] scale_offset
	v_sub_nc_u64_e32 v[6:7], v[8:9], v[0:1]
	s_wait_loadcnt 0x0
	v_add_nc_u64_e32 v[4:5], v[6:7], v[4:5]
	ds_store_b64 v3, v[4:5]
.LBB722_145:
	s_wait_xcnt 0x0
	s_or_b32 exec_lo, exec_lo, s1
	v_mad_i32_i24 v15, v14, -6, v3
	s_wait_storecnt_dscnt 0x0
	s_barrier_signal -1
	s_barrier_wait -1
	ds_load_u16 v6, v15 offset:2048
	ds_load_u16 v7, v15 offset:3072
	;; [unrolled: 1-line block ×8, first 2 shown]
	v_dual_mov_b32 v5, 0 :: v_dual_lshlrev_b32 v4, 1, v14
	s_add_co_i32 s8, s8, -1
	s_delay_alu instid0(SALU_CYCLE_1) | instskip(SKIP_2) | instid1(SALU_CYCLE_1)
	s_cmp_eq_u32 s23, s8
	s_cselect_b32 s0, -1, 0
	s_xor_b32 s1, vcc_lo, -1
	s_and_b32 s0, s1, s0
	s_wait_dscnt 0x7
	v_and_b32_e32 v10, 0xffff, v6
	v_xor_b32_e32 v20, 0xffff8000, v6
	s_wait_dscnt 0x6
	v_and_b32_e32 v6, 0xffff, v7
	v_xor_b32_e32 v21, 0xffff8000, v7
	s_wait_dscnt 0x5
	v_and_b32_e32 v7, 0xffff, v8
	v_xor_b32_e32 v23, 0xffff8000, v8
	s_wait_dscnt 0x4
	v_and_b32_e32 v8, 0xffff, v9
	v_xor_b32_e32 v28, 0xffff8000, v9
	s_wait_dscnt 0x3
	v_and_b32_e32 v9, 0xffff, v22
	v_dual_lshrrev_b32 v10, s20, v10 :: v_dual_lshrrev_b32 v7, s20, v7
	v_dual_lshrrev_b32 v6, s20, v6 :: v_dual_lshrrev_b32 v8, s20, v8
	s_wait_dscnt 0x2
	v_and_b32_e32 v11, 0xffff, v24
	s_delay_alu instid0(VALU_DEP_3) | instskip(NEXT) | instid1(VALU_DEP_3)
	v_dual_lshrrev_b32 v16, s20, v9 :: v_dual_bitop2_b32 v9, s9, v10 bitop3:0x40
	v_and_b32_e32 v6, s9, v6
	v_and_b32_e32 v7, s9, v7
	s_wait_dscnt 0x1
	v_and_b32_e32 v12, 0xffff, v26
	s_wait_dscnt 0x0
	v_and_b32_e32 v13, 0xffff, v27
	v_dual_lshrrev_b32 v17, s20, v11 :: v_dual_bitop2_b32 v18, s9, v8 bitop3:0x40
	v_dual_lshlrev_b32 v8, 3, v9 :: v_dual_lshlrev_b32 v9, 3, v6
	v_dual_lshlrev_b32 v10, 3, v7 :: v_dual_lshrrev_b32 v12, s20, v12
	ds_load_u16 v29, v15 offset:10240
	ds_load_u16 v30, v15 offset:11264
	ds_load_u16 v31, v15 offset:12288
	ds_load_b64 v[6:7], v8
	ds_load_b64 v[8:9], v9
	;; [unrolled: 1-line block ×3, first 2 shown]
	v_dual_lshrrev_b32 v13, s20, v13 :: v_dual_bitop2_b32 v16, s9, v16 bitop3:0x40
	v_dual_lshlrev_b32 v18, 3, v18 :: v_dual_bitop2_b32 v17, s9, v17 bitop3:0x40
	v_and_b32_e32 v19, s9, v12
	s_delay_alu instid0(VALU_DEP_3)
	v_dual_lshlrev_b32 v16, 3, v16 :: v_dual_bitop2_b32 v25, s9, v13 bitop3:0x40
	ds_load_b64 v[12:13], v18
	v_dual_lshlrev_b32 v18, 3, v17 :: v_dual_lshlrev_b32 v32, 3, v19
	v_lshlrev_b32_e32 v25, 3, v25
	ds_load_u16 v15, v15 offset:13312
	ds_load_b64 v[16:17], v16
	ds_load_b64 v[18:19], v18
	s_wait_dscnt 0x9
	v_and_b32_e32 v33, 0xffff, v29
	s_wait_dscnt 0x8
	v_and_b32_e32 v34, 0xffff, v30
	;; [unrolled: 2-line block ×3, first 2 shown]
	s_wait_dscnt 0x6
	v_lshl_add_u64 v[6:7], v[6:7], 1, s[18:19]
	s_wait_dscnt 0x5
	v_lshl_add_u64 v[8:9], v[8:9], 1, s[18:19]
	;; [unrolled: 2-line block ×3, first 2 shown]
	v_dual_lshrrev_b32 v33, s20, v33 :: v_dual_lshrrev_b32 v34, s20, v34
	v_add_nc_u64_e32 v[6:7], v[6:7], v[4:5]
	v_add_nc_u64_e32 v[8:9], v[8:9], v[4:5]
	s_delay_alu instid0(VALU_DEP_4) | instskip(NEXT) | instid1(VALU_DEP_4)
	v_add_nc_u64_e32 v[10:11], v[10:11], v[4:5]
	v_and_b32_e32 v33, s9, v33
	s_clause 0x2
	global_store_b16 v[6:7], v20, off
	global_store_b16 v[8:9], v21, off offset:1024
	global_store_b16 v[10:11], v23, off offset:2048
	s_wait_dscnt 0x2
	s_wait_xcnt 0x0
	v_and_b32_e32 v10, 0xffff, v15
	v_dual_lshrrev_b32 v21, s20, v35 :: v_dual_bitop2_b32 v34, s9, v34 bitop3:0x40
	v_lshlrev_b32_e32 v20, 3, v33
	ds_load_b64 v[6:7], v32
	ds_load_b64 v[8:9], v25
	v_lshrrev_b32_e32 v25, s20, v10
	s_wait_dscnt 0x3
	v_lshl_add_u64 v[10:11], v[16:17], 1, s[18:19]
	v_dual_lshlrev_b32 v23, 3, v34 :: v_dual_bitop2_b32 v32, s9, v21 bitop3:0x40
	ds_load_b64 v[16:17], v20
	v_xor_b32_e32 v33, 0xffff8000, v22
	v_xor_b32_e32 v34, 0xffff8000, v24
	ds_load_b64 v[20:21], v23
	v_dual_lshlrev_b32 v25, 3, v32 :: v_dual_bitop2_b32 v23, s9, v25 bitop3:0x40
	v_lshl_add_u64 v[12:13], v[12:13], 1, s[18:19]
	s_wait_dscnt 0x4
	v_lshl_add_u64 v[18:19], v[18:19], 1, s[18:19]
	v_add_nc_u64_e32 v[10:11], v[10:11], v[4:5]
	v_lshlrev_b32_e32 v32, 3, v23
	ds_load_b64 v[22:23], v25
	v_add_nc_u64_e32 v[12:13], v[12:13], v[4:5]
	v_add_nc_u64_e32 v[18:19], v[18:19], v[4:5]
	ds_load_b64 v[24:25], v32
	s_wait_dscnt 0x5
	v_lshl_add_u64 v[6:7], v[6:7], 1, s[18:19]
	s_wait_dscnt 0x4
	v_lshl_add_u64 v[8:9], v[8:9], 1, s[18:19]
	s_clause 0x2
	global_store_b16 v[12:13], v28, off offset:3072
	global_store_b16 v[10:11], v33, off offset:4096
	;; [unrolled: 1-line block ×3, first 2 shown]
	v_add_nc_u64_e32 v[6:7], v[6:7], v[4:5]
	v_add_nc_u64_e32 v[8:9], v[8:9], v[4:5]
	s_wait_xcnt 0x0
	v_xor_b32_e32 v18, 0xffff8000, v26
	s_wait_dscnt 0x3
	v_lshl_add_u64 v[10:11], v[16:17], 1, s[18:19]
	v_xor_b32_e32 v16, 0xffff8000, v27
	s_wait_dscnt 0x2
	v_lshl_add_u64 v[12:13], v[20:21], 1, s[18:19]
	v_xor_b32_e32 v17, 0xffff8000, v29
	global_store_b16 v[6:7], v18, off offset:6144
	v_add_nc_u64_e32 v[10:11], v[10:11], v[4:5]
	global_store_b16 v[8:9], v16, off offset:7168
	s_wait_dscnt 0x1
	s_wait_xcnt 0x1
	v_lshl_add_u64 v[6:7], v[22:23], 1, s[18:19]
	v_add_nc_u64_e32 v[12:13], v[12:13], v[4:5]
	v_xor_b32_e32 v18, 0xffff8000, v30
	s_wait_dscnt 0x0
	s_wait_xcnt 0x0
	v_lshl_add_u64 v[8:9], v[24:25], 1, s[18:19]
	v_add_nc_u64_e32 v[6:7], v[6:7], v[4:5]
	global_store_b16 v[10:11], v17, off offset:8192
	s_wait_xcnt 0x0
	v_xor_b32_e32 v10, 0xffff8000, v31
	global_store_b16 v[12:13], v18, off offset:9216
	v_add_nc_u64_e32 v[8:9], v[8:9], v[4:5]
	v_xor_b32_e32 v4, 0xffff8000, v15
	s_clause 0x1
	global_store_b16 v[6:7], v10, off offset:10240
	global_store_b16 v[8:9], v4, off offset:11264
	s_wait_xcnt 0x0
	s_and_saveexec_b32 s1, s0
	s_cbranch_execz .LBB722_147
; %bb.146:
	ds_load_b64 v[6:7], v3
	v_mov_b32_e32 v3, v5
	s_delay_alu instid0(VALU_DEP_1) | instskip(SKIP_1) | instid1(VALU_DEP_1)
	v_add_nc_u64_e32 v[0:1], v[0:1], v[2:3]
	s_wait_dscnt 0x0
	v_add_nc_u64_e32 v[0:1], v[0:1], v[6:7]
	global_store_b64 v14, v[0:1], s[14:15] scale_offset
.LBB722_147:
	s_sendmsg sendmsg(MSG_DEALLOC_VGPRS)
	s_endpgm
	.section	.rodata,"a",@progbits
	.p2align	6, 0x0
	.amdhsa_kernel _ZN7rocprim17ROCPRIM_400000_NS6detail17trampoline_kernelINS0_14default_configENS1_35radix_sort_onesweep_config_selectorIsNS0_10empty_typeEEEZZNS1_29radix_sort_onesweep_iterationIS3_Lb0EPKsPsPS5_SB_mNS0_19identity_decomposerENS1_16block_id_wrapperIjLb1EEEEE10hipError_tT1_PNSt15iterator_traitsISG_E10value_typeET2_T3_PNSH_ISM_E10value_typeET4_T5_PSR_SS_PNS1_23onesweep_lookback_stateEbbT6_jjT7_P12ihipStream_tbENKUlT_T0_SG_SL_E_clISA_SA_SB_SB_EEDaSZ_S10_SG_SL_EUlSZ_E_NS1_11comp_targetILNS1_3genE0ELNS1_11target_archE4294967295ELNS1_3gpuE0ELNS1_3repE0EEENS1_47radix_sort_onesweep_sort_config_static_selectorELNS0_4arch9wavefront6targetE0EEEvSG_
		.amdhsa_group_segment_fixed_size 18504
		.amdhsa_private_segment_fixed_size 0
		.amdhsa_kernarg_size 344
		.amdhsa_user_sgpr_count 2
		.amdhsa_user_sgpr_dispatch_ptr 0
		.amdhsa_user_sgpr_queue_ptr 0
		.amdhsa_user_sgpr_kernarg_segment_ptr 1
		.amdhsa_user_sgpr_dispatch_id 0
		.amdhsa_user_sgpr_kernarg_preload_length 0
		.amdhsa_user_sgpr_kernarg_preload_offset 0
		.amdhsa_user_sgpr_private_segment_size 0
		.amdhsa_wavefront_size32 1
		.amdhsa_uses_dynamic_stack 0
		.amdhsa_enable_private_segment 0
		.amdhsa_system_sgpr_workgroup_id_x 1
		.amdhsa_system_sgpr_workgroup_id_y 0
		.amdhsa_system_sgpr_workgroup_id_z 0
		.amdhsa_system_sgpr_workgroup_info 0
		.amdhsa_system_vgpr_workitem_id 2
		.amdhsa_next_free_vgpr 65
		.amdhsa_next_free_sgpr 30
		.amdhsa_named_barrier_count 0
		.amdhsa_reserve_vcc 1
		.amdhsa_float_round_mode_32 0
		.amdhsa_float_round_mode_16_64 0
		.amdhsa_float_denorm_mode_32 3
		.amdhsa_float_denorm_mode_16_64 3
		.amdhsa_fp16_overflow 0
		.amdhsa_memory_ordered 1
		.amdhsa_forward_progress 1
		.amdhsa_inst_pref_size 137
		.amdhsa_round_robin_scheduling 0
		.amdhsa_exception_fp_ieee_invalid_op 0
		.amdhsa_exception_fp_denorm_src 0
		.amdhsa_exception_fp_ieee_div_zero 0
		.amdhsa_exception_fp_ieee_overflow 0
		.amdhsa_exception_fp_ieee_underflow 0
		.amdhsa_exception_fp_ieee_inexact 0
		.amdhsa_exception_int_div_zero 0
	.end_amdhsa_kernel
	.section	.text._ZN7rocprim17ROCPRIM_400000_NS6detail17trampoline_kernelINS0_14default_configENS1_35radix_sort_onesweep_config_selectorIsNS0_10empty_typeEEEZZNS1_29radix_sort_onesweep_iterationIS3_Lb0EPKsPsPS5_SB_mNS0_19identity_decomposerENS1_16block_id_wrapperIjLb1EEEEE10hipError_tT1_PNSt15iterator_traitsISG_E10value_typeET2_T3_PNSH_ISM_E10value_typeET4_T5_PSR_SS_PNS1_23onesweep_lookback_stateEbbT6_jjT7_P12ihipStream_tbENKUlT_T0_SG_SL_E_clISA_SA_SB_SB_EEDaSZ_S10_SG_SL_EUlSZ_E_NS1_11comp_targetILNS1_3genE0ELNS1_11target_archE4294967295ELNS1_3gpuE0ELNS1_3repE0EEENS1_47radix_sort_onesweep_sort_config_static_selectorELNS0_4arch9wavefront6targetE0EEEvSG_,"axG",@progbits,_ZN7rocprim17ROCPRIM_400000_NS6detail17trampoline_kernelINS0_14default_configENS1_35radix_sort_onesweep_config_selectorIsNS0_10empty_typeEEEZZNS1_29radix_sort_onesweep_iterationIS3_Lb0EPKsPsPS5_SB_mNS0_19identity_decomposerENS1_16block_id_wrapperIjLb1EEEEE10hipError_tT1_PNSt15iterator_traitsISG_E10value_typeET2_T3_PNSH_ISM_E10value_typeET4_T5_PSR_SS_PNS1_23onesweep_lookback_stateEbbT6_jjT7_P12ihipStream_tbENKUlT_T0_SG_SL_E_clISA_SA_SB_SB_EEDaSZ_S10_SG_SL_EUlSZ_E_NS1_11comp_targetILNS1_3genE0ELNS1_11target_archE4294967295ELNS1_3gpuE0ELNS1_3repE0EEENS1_47radix_sort_onesweep_sort_config_static_selectorELNS0_4arch9wavefront6targetE0EEEvSG_,comdat
.Lfunc_end722:
	.size	_ZN7rocprim17ROCPRIM_400000_NS6detail17trampoline_kernelINS0_14default_configENS1_35radix_sort_onesweep_config_selectorIsNS0_10empty_typeEEEZZNS1_29radix_sort_onesweep_iterationIS3_Lb0EPKsPsPS5_SB_mNS0_19identity_decomposerENS1_16block_id_wrapperIjLb1EEEEE10hipError_tT1_PNSt15iterator_traitsISG_E10value_typeET2_T3_PNSH_ISM_E10value_typeET4_T5_PSR_SS_PNS1_23onesweep_lookback_stateEbbT6_jjT7_P12ihipStream_tbENKUlT_T0_SG_SL_E_clISA_SA_SB_SB_EEDaSZ_S10_SG_SL_EUlSZ_E_NS1_11comp_targetILNS1_3genE0ELNS1_11target_archE4294967295ELNS1_3gpuE0ELNS1_3repE0EEENS1_47radix_sort_onesweep_sort_config_static_selectorELNS0_4arch9wavefront6targetE0EEEvSG_, .Lfunc_end722-_ZN7rocprim17ROCPRIM_400000_NS6detail17trampoline_kernelINS0_14default_configENS1_35radix_sort_onesweep_config_selectorIsNS0_10empty_typeEEEZZNS1_29radix_sort_onesweep_iterationIS3_Lb0EPKsPsPS5_SB_mNS0_19identity_decomposerENS1_16block_id_wrapperIjLb1EEEEE10hipError_tT1_PNSt15iterator_traitsISG_E10value_typeET2_T3_PNSH_ISM_E10value_typeET4_T5_PSR_SS_PNS1_23onesweep_lookback_stateEbbT6_jjT7_P12ihipStream_tbENKUlT_T0_SG_SL_E_clISA_SA_SB_SB_EEDaSZ_S10_SG_SL_EUlSZ_E_NS1_11comp_targetILNS1_3genE0ELNS1_11target_archE4294967295ELNS1_3gpuE0ELNS1_3repE0EEENS1_47radix_sort_onesweep_sort_config_static_selectorELNS0_4arch9wavefront6targetE0EEEvSG_
                                        ; -- End function
	.set _ZN7rocprim17ROCPRIM_400000_NS6detail17trampoline_kernelINS0_14default_configENS1_35radix_sort_onesweep_config_selectorIsNS0_10empty_typeEEEZZNS1_29radix_sort_onesweep_iterationIS3_Lb0EPKsPsPS5_SB_mNS0_19identity_decomposerENS1_16block_id_wrapperIjLb1EEEEE10hipError_tT1_PNSt15iterator_traitsISG_E10value_typeET2_T3_PNSH_ISM_E10value_typeET4_T5_PSR_SS_PNS1_23onesweep_lookback_stateEbbT6_jjT7_P12ihipStream_tbENKUlT_T0_SG_SL_E_clISA_SA_SB_SB_EEDaSZ_S10_SG_SL_EUlSZ_E_NS1_11comp_targetILNS1_3genE0ELNS1_11target_archE4294967295ELNS1_3gpuE0ELNS1_3repE0EEENS1_47radix_sort_onesweep_sort_config_static_selectorELNS0_4arch9wavefront6targetE0EEEvSG_.num_vgpr, 65
	.set _ZN7rocprim17ROCPRIM_400000_NS6detail17trampoline_kernelINS0_14default_configENS1_35radix_sort_onesweep_config_selectorIsNS0_10empty_typeEEEZZNS1_29radix_sort_onesweep_iterationIS3_Lb0EPKsPsPS5_SB_mNS0_19identity_decomposerENS1_16block_id_wrapperIjLb1EEEEE10hipError_tT1_PNSt15iterator_traitsISG_E10value_typeET2_T3_PNSH_ISM_E10value_typeET4_T5_PSR_SS_PNS1_23onesweep_lookback_stateEbbT6_jjT7_P12ihipStream_tbENKUlT_T0_SG_SL_E_clISA_SA_SB_SB_EEDaSZ_S10_SG_SL_EUlSZ_E_NS1_11comp_targetILNS1_3genE0ELNS1_11target_archE4294967295ELNS1_3gpuE0ELNS1_3repE0EEENS1_47radix_sort_onesweep_sort_config_static_selectorELNS0_4arch9wavefront6targetE0EEEvSG_.num_agpr, 0
	.set _ZN7rocprim17ROCPRIM_400000_NS6detail17trampoline_kernelINS0_14default_configENS1_35radix_sort_onesweep_config_selectorIsNS0_10empty_typeEEEZZNS1_29radix_sort_onesweep_iterationIS3_Lb0EPKsPsPS5_SB_mNS0_19identity_decomposerENS1_16block_id_wrapperIjLb1EEEEE10hipError_tT1_PNSt15iterator_traitsISG_E10value_typeET2_T3_PNSH_ISM_E10value_typeET4_T5_PSR_SS_PNS1_23onesweep_lookback_stateEbbT6_jjT7_P12ihipStream_tbENKUlT_T0_SG_SL_E_clISA_SA_SB_SB_EEDaSZ_S10_SG_SL_EUlSZ_E_NS1_11comp_targetILNS1_3genE0ELNS1_11target_archE4294967295ELNS1_3gpuE0ELNS1_3repE0EEENS1_47radix_sort_onesweep_sort_config_static_selectorELNS0_4arch9wavefront6targetE0EEEvSG_.numbered_sgpr, 30
	.set _ZN7rocprim17ROCPRIM_400000_NS6detail17trampoline_kernelINS0_14default_configENS1_35radix_sort_onesweep_config_selectorIsNS0_10empty_typeEEEZZNS1_29radix_sort_onesweep_iterationIS3_Lb0EPKsPsPS5_SB_mNS0_19identity_decomposerENS1_16block_id_wrapperIjLb1EEEEE10hipError_tT1_PNSt15iterator_traitsISG_E10value_typeET2_T3_PNSH_ISM_E10value_typeET4_T5_PSR_SS_PNS1_23onesweep_lookback_stateEbbT6_jjT7_P12ihipStream_tbENKUlT_T0_SG_SL_E_clISA_SA_SB_SB_EEDaSZ_S10_SG_SL_EUlSZ_E_NS1_11comp_targetILNS1_3genE0ELNS1_11target_archE4294967295ELNS1_3gpuE0ELNS1_3repE0EEENS1_47radix_sort_onesweep_sort_config_static_selectorELNS0_4arch9wavefront6targetE0EEEvSG_.num_named_barrier, 0
	.set _ZN7rocprim17ROCPRIM_400000_NS6detail17trampoline_kernelINS0_14default_configENS1_35radix_sort_onesweep_config_selectorIsNS0_10empty_typeEEEZZNS1_29radix_sort_onesweep_iterationIS3_Lb0EPKsPsPS5_SB_mNS0_19identity_decomposerENS1_16block_id_wrapperIjLb1EEEEE10hipError_tT1_PNSt15iterator_traitsISG_E10value_typeET2_T3_PNSH_ISM_E10value_typeET4_T5_PSR_SS_PNS1_23onesweep_lookback_stateEbbT6_jjT7_P12ihipStream_tbENKUlT_T0_SG_SL_E_clISA_SA_SB_SB_EEDaSZ_S10_SG_SL_EUlSZ_E_NS1_11comp_targetILNS1_3genE0ELNS1_11target_archE4294967295ELNS1_3gpuE0ELNS1_3repE0EEENS1_47radix_sort_onesweep_sort_config_static_selectorELNS0_4arch9wavefront6targetE0EEEvSG_.private_seg_size, 0
	.set _ZN7rocprim17ROCPRIM_400000_NS6detail17trampoline_kernelINS0_14default_configENS1_35radix_sort_onesweep_config_selectorIsNS0_10empty_typeEEEZZNS1_29radix_sort_onesweep_iterationIS3_Lb0EPKsPsPS5_SB_mNS0_19identity_decomposerENS1_16block_id_wrapperIjLb1EEEEE10hipError_tT1_PNSt15iterator_traitsISG_E10value_typeET2_T3_PNSH_ISM_E10value_typeET4_T5_PSR_SS_PNS1_23onesweep_lookback_stateEbbT6_jjT7_P12ihipStream_tbENKUlT_T0_SG_SL_E_clISA_SA_SB_SB_EEDaSZ_S10_SG_SL_EUlSZ_E_NS1_11comp_targetILNS1_3genE0ELNS1_11target_archE4294967295ELNS1_3gpuE0ELNS1_3repE0EEENS1_47radix_sort_onesweep_sort_config_static_selectorELNS0_4arch9wavefront6targetE0EEEvSG_.uses_vcc, 1
	.set _ZN7rocprim17ROCPRIM_400000_NS6detail17trampoline_kernelINS0_14default_configENS1_35radix_sort_onesweep_config_selectorIsNS0_10empty_typeEEEZZNS1_29radix_sort_onesweep_iterationIS3_Lb0EPKsPsPS5_SB_mNS0_19identity_decomposerENS1_16block_id_wrapperIjLb1EEEEE10hipError_tT1_PNSt15iterator_traitsISG_E10value_typeET2_T3_PNSH_ISM_E10value_typeET4_T5_PSR_SS_PNS1_23onesweep_lookback_stateEbbT6_jjT7_P12ihipStream_tbENKUlT_T0_SG_SL_E_clISA_SA_SB_SB_EEDaSZ_S10_SG_SL_EUlSZ_E_NS1_11comp_targetILNS1_3genE0ELNS1_11target_archE4294967295ELNS1_3gpuE0ELNS1_3repE0EEENS1_47radix_sort_onesweep_sort_config_static_selectorELNS0_4arch9wavefront6targetE0EEEvSG_.uses_flat_scratch, 0
	.set _ZN7rocprim17ROCPRIM_400000_NS6detail17trampoline_kernelINS0_14default_configENS1_35radix_sort_onesweep_config_selectorIsNS0_10empty_typeEEEZZNS1_29radix_sort_onesweep_iterationIS3_Lb0EPKsPsPS5_SB_mNS0_19identity_decomposerENS1_16block_id_wrapperIjLb1EEEEE10hipError_tT1_PNSt15iterator_traitsISG_E10value_typeET2_T3_PNSH_ISM_E10value_typeET4_T5_PSR_SS_PNS1_23onesweep_lookback_stateEbbT6_jjT7_P12ihipStream_tbENKUlT_T0_SG_SL_E_clISA_SA_SB_SB_EEDaSZ_S10_SG_SL_EUlSZ_E_NS1_11comp_targetILNS1_3genE0ELNS1_11target_archE4294967295ELNS1_3gpuE0ELNS1_3repE0EEENS1_47radix_sort_onesweep_sort_config_static_selectorELNS0_4arch9wavefront6targetE0EEEvSG_.has_dyn_sized_stack, 0
	.set _ZN7rocprim17ROCPRIM_400000_NS6detail17trampoline_kernelINS0_14default_configENS1_35radix_sort_onesweep_config_selectorIsNS0_10empty_typeEEEZZNS1_29radix_sort_onesweep_iterationIS3_Lb0EPKsPsPS5_SB_mNS0_19identity_decomposerENS1_16block_id_wrapperIjLb1EEEEE10hipError_tT1_PNSt15iterator_traitsISG_E10value_typeET2_T3_PNSH_ISM_E10value_typeET4_T5_PSR_SS_PNS1_23onesweep_lookback_stateEbbT6_jjT7_P12ihipStream_tbENKUlT_T0_SG_SL_E_clISA_SA_SB_SB_EEDaSZ_S10_SG_SL_EUlSZ_E_NS1_11comp_targetILNS1_3genE0ELNS1_11target_archE4294967295ELNS1_3gpuE0ELNS1_3repE0EEENS1_47radix_sort_onesweep_sort_config_static_selectorELNS0_4arch9wavefront6targetE0EEEvSG_.has_recursion, 0
	.set _ZN7rocprim17ROCPRIM_400000_NS6detail17trampoline_kernelINS0_14default_configENS1_35radix_sort_onesweep_config_selectorIsNS0_10empty_typeEEEZZNS1_29radix_sort_onesweep_iterationIS3_Lb0EPKsPsPS5_SB_mNS0_19identity_decomposerENS1_16block_id_wrapperIjLb1EEEEE10hipError_tT1_PNSt15iterator_traitsISG_E10value_typeET2_T3_PNSH_ISM_E10value_typeET4_T5_PSR_SS_PNS1_23onesweep_lookback_stateEbbT6_jjT7_P12ihipStream_tbENKUlT_T0_SG_SL_E_clISA_SA_SB_SB_EEDaSZ_S10_SG_SL_EUlSZ_E_NS1_11comp_targetILNS1_3genE0ELNS1_11target_archE4294967295ELNS1_3gpuE0ELNS1_3repE0EEENS1_47radix_sort_onesweep_sort_config_static_selectorELNS0_4arch9wavefront6targetE0EEEvSG_.has_indirect_call, 0
	.section	.AMDGPU.csdata,"",@progbits
; Kernel info:
; codeLenInByte = 17440
; TotalNumSgprs: 32
; NumVgprs: 65
; ScratchSize: 0
; MemoryBound: 0
; FloatMode: 240
; IeeeMode: 1
; LDSByteSize: 18504 bytes/workgroup (compile time only)
; SGPRBlocks: 0
; VGPRBlocks: 4
; NumSGPRsForWavesPerEU: 32
; NumVGPRsForWavesPerEU: 65
; NamedBarCnt: 0
; Occupancy: 12
; WaveLimiterHint : 0
; COMPUTE_PGM_RSRC2:SCRATCH_EN: 0
; COMPUTE_PGM_RSRC2:USER_SGPR: 2
; COMPUTE_PGM_RSRC2:TRAP_HANDLER: 0
; COMPUTE_PGM_RSRC2:TGID_X_EN: 1
; COMPUTE_PGM_RSRC2:TGID_Y_EN: 0
; COMPUTE_PGM_RSRC2:TGID_Z_EN: 0
; COMPUTE_PGM_RSRC2:TIDIG_COMP_CNT: 2
	.section	.text._ZN7rocprim17ROCPRIM_400000_NS6detail17trampoline_kernelINS0_14default_configENS1_35radix_sort_onesweep_config_selectorIsNS0_10empty_typeEEEZZNS1_29radix_sort_onesweep_iterationIS3_Lb0EPKsPsPS5_SB_mNS0_19identity_decomposerENS1_16block_id_wrapperIjLb1EEEEE10hipError_tT1_PNSt15iterator_traitsISG_E10value_typeET2_T3_PNSH_ISM_E10value_typeET4_T5_PSR_SS_PNS1_23onesweep_lookback_stateEbbT6_jjT7_P12ihipStream_tbENKUlT_T0_SG_SL_E_clISA_SA_SB_SB_EEDaSZ_S10_SG_SL_EUlSZ_E_NS1_11comp_targetILNS1_3genE6ELNS1_11target_archE950ELNS1_3gpuE13ELNS1_3repE0EEENS1_47radix_sort_onesweep_sort_config_static_selectorELNS0_4arch9wavefront6targetE0EEEvSG_,"axG",@progbits,_ZN7rocprim17ROCPRIM_400000_NS6detail17trampoline_kernelINS0_14default_configENS1_35radix_sort_onesweep_config_selectorIsNS0_10empty_typeEEEZZNS1_29radix_sort_onesweep_iterationIS3_Lb0EPKsPsPS5_SB_mNS0_19identity_decomposerENS1_16block_id_wrapperIjLb1EEEEE10hipError_tT1_PNSt15iterator_traitsISG_E10value_typeET2_T3_PNSH_ISM_E10value_typeET4_T5_PSR_SS_PNS1_23onesweep_lookback_stateEbbT6_jjT7_P12ihipStream_tbENKUlT_T0_SG_SL_E_clISA_SA_SB_SB_EEDaSZ_S10_SG_SL_EUlSZ_E_NS1_11comp_targetILNS1_3genE6ELNS1_11target_archE950ELNS1_3gpuE13ELNS1_3repE0EEENS1_47radix_sort_onesweep_sort_config_static_selectorELNS0_4arch9wavefront6targetE0EEEvSG_,comdat
	.protected	_ZN7rocprim17ROCPRIM_400000_NS6detail17trampoline_kernelINS0_14default_configENS1_35radix_sort_onesweep_config_selectorIsNS0_10empty_typeEEEZZNS1_29radix_sort_onesweep_iterationIS3_Lb0EPKsPsPS5_SB_mNS0_19identity_decomposerENS1_16block_id_wrapperIjLb1EEEEE10hipError_tT1_PNSt15iterator_traitsISG_E10value_typeET2_T3_PNSH_ISM_E10value_typeET4_T5_PSR_SS_PNS1_23onesweep_lookback_stateEbbT6_jjT7_P12ihipStream_tbENKUlT_T0_SG_SL_E_clISA_SA_SB_SB_EEDaSZ_S10_SG_SL_EUlSZ_E_NS1_11comp_targetILNS1_3genE6ELNS1_11target_archE950ELNS1_3gpuE13ELNS1_3repE0EEENS1_47radix_sort_onesweep_sort_config_static_selectorELNS0_4arch9wavefront6targetE0EEEvSG_ ; -- Begin function _ZN7rocprim17ROCPRIM_400000_NS6detail17trampoline_kernelINS0_14default_configENS1_35radix_sort_onesweep_config_selectorIsNS0_10empty_typeEEEZZNS1_29radix_sort_onesweep_iterationIS3_Lb0EPKsPsPS5_SB_mNS0_19identity_decomposerENS1_16block_id_wrapperIjLb1EEEEE10hipError_tT1_PNSt15iterator_traitsISG_E10value_typeET2_T3_PNSH_ISM_E10value_typeET4_T5_PSR_SS_PNS1_23onesweep_lookback_stateEbbT6_jjT7_P12ihipStream_tbENKUlT_T0_SG_SL_E_clISA_SA_SB_SB_EEDaSZ_S10_SG_SL_EUlSZ_E_NS1_11comp_targetILNS1_3genE6ELNS1_11target_archE950ELNS1_3gpuE13ELNS1_3repE0EEENS1_47radix_sort_onesweep_sort_config_static_selectorELNS0_4arch9wavefront6targetE0EEEvSG_
	.globl	_ZN7rocprim17ROCPRIM_400000_NS6detail17trampoline_kernelINS0_14default_configENS1_35radix_sort_onesweep_config_selectorIsNS0_10empty_typeEEEZZNS1_29radix_sort_onesweep_iterationIS3_Lb0EPKsPsPS5_SB_mNS0_19identity_decomposerENS1_16block_id_wrapperIjLb1EEEEE10hipError_tT1_PNSt15iterator_traitsISG_E10value_typeET2_T3_PNSH_ISM_E10value_typeET4_T5_PSR_SS_PNS1_23onesweep_lookback_stateEbbT6_jjT7_P12ihipStream_tbENKUlT_T0_SG_SL_E_clISA_SA_SB_SB_EEDaSZ_S10_SG_SL_EUlSZ_E_NS1_11comp_targetILNS1_3genE6ELNS1_11target_archE950ELNS1_3gpuE13ELNS1_3repE0EEENS1_47radix_sort_onesweep_sort_config_static_selectorELNS0_4arch9wavefront6targetE0EEEvSG_
	.p2align	8
	.type	_ZN7rocprim17ROCPRIM_400000_NS6detail17trampoline_kernelINS0_14default_configENS1_35radix_sort_onesweep_config_selectorIsNS0_10empty_typeEEEZZNS1_29radix_sort_onesweep_iterationIS3_Lb0EPKsPsPS5_SB_mNS0_19identity_decomposerENS1_16block_id_wrapperIjLb1EEEEE10hipError_tT1_PNSt15iterator_traitsISG_E10value_typeET2_T3_PNSH_ISM_E10value_typeET4_T5_PSR_SS_PNS1_23onesweep_lookback_stateEbbT6_jjT7_P12ihipStream_tbENKUlT_T0_SG_SL_E_clISA_SA_SB_SB_EEDaSZ_S10_SG_SL_EUlSZ_E_NS1_11comp_targetILNS1_3genE6ELNS1_11target_archE950ELNS1_3gpuE13ELNS1_3repE0EEENS1_47radix_sort_onesweep_sort_config_static_selectorELNS0_4arch9wavefront6targetE0EEEvSG_,@function
_ZN7rocprim17ROCPRIM_400000_NS6detail17trampoline_kernelINS0_14default_configENS1_35radix_sort_onesweep_config_selectorIsNS0_10empty_typeEEEZZNS1_29radix_sort_onesweep_iterationIS3_Lb0EPKsPsPS5_SB_mNS0_19identity_decomposerENS1_16block_id_wrapperIjLb1EEEEE10hipError_tT1_PNSt15iterator_traitsISG_E10value_typeET2_T3_PNSH_ISM_E10value_typeET4_T5_PSR_SS_PNS1_23onesweep_lookback_stateEbbT6_jjT7_P12ihipStream_tbENKUlT_T0_SG_SL_E_clISA_SA_SB_SB_EEDaSZ_S10_SG_SL_EUlSZ_E_NS1_11comp_targetILNS1_3genE6ELNS1_11target_archE950ELNS1_3gpuE13ELNS1_3repE0EEENS1_47radix_sort_onesweep_sort_config_static_selectorELNS0_4arch9wavefront6targetE0EEEvSG_: ; @_ZN7rocprim17ROCPRIM_400000_NS6detail17trampoline_kernelINS0_14default_configENS1_35radix_sort_onesweep_config_selectorIsNS0_10empty_typeEEEZZNS1_29radix_sort_onesweep_iterationIS3_Lb0EPKsPsPS5_SB_mNS0_19identity_decomposerENS1_16block_id_wrapperIjLb1EEEEE10hipError_tT1_PNSt15iterator_traitsISG_E10value_typeET2_T3_PNSH_ISM_E10value_typeET4_T5_PSR_SS_PNS1_23onesweep_lookback_stateEbbT6_jjT7_P12ihipStream_tbENKUlT_T0_SG_SL_E_clISA_SA_SB_SB_EEDaSZ_S10_SG_SL_EUlSZ_E_NS1_11comp_targetILNS1_3genE6ELNS1_11target_archE950ELNS1_3gpuE13ELNS1_3repE0EEENS1_47radix_sort_onesweep_sort_config_static_selectorELNS0_4arch9wavefront6targetE0EEEvSG_
; %bb.0:
	.section	.rodata,"a",@progbits
	.p2align	6, 0x0
	.amdhsa_kernel _ZN7rocprim17ROCPRIM_400000_NS6detail17trampoline_kernelINS0_14default_configENS1_35radix_sort_onesweep_config_selectorIsNS0_10empty_typeEEEZZNS1_29radix_sort_onesweep_iterationIS3_Lb0EPKsPsPS5_SB_mNS0_19identity_decomposerENS1_16block_id_wrapperIjLb1EEEEE10hipError_tT1_PNSt15iterator_traitsISG_E10value_typeET2_T3_PNSH_ISM_E10value_typeET4_T5_PSR_SS_PNS1_23onesweep_lookback_stateEbbT6_jjT7_P12ihipStream_tbENKUlT_T0_SG_SL_E_clISA_SA_SB_SB_EEDaSZ_S10_SG_SL_EUlSZ_E_NS1_11comp_targetILNS1_3genE6ELNS1_11target_archE950ELNS1_3gpuE13ELNS1_3repE0EEENS1_47radix_sort_onesweep_sort_config_static_selectorELNS0_4arch9wavefront6targetE0EEEvSG_
		.amdhsa_group_segment_fixed_size 0
		.amdhsa_private_segment_fixed_size 0
		.amdhsa_kernarg_size 88
		.amdhsa_user_sgpr_count 2
		.amdhsa_user_sgpr_dispatch_ptr 0
		.amdhsa_user_sgpr_queue_ptr 0
		.amdhsa_user_sgpr_kernarg_segment_ptr 1
		.amdhsa_user_sgpr_dispatch_id 0
		.amdhsa_user_sgpr_kernarg_preload_length 0
		.amdhsa_user_sgpr_kernarg_preload_offset 0
		.amdhsa_user_sgpr_private_segment_size 0
		.amdhsa_wavefront_size32 1
		.amdhsa_uses_dynamic_stack 0
		.amdhsa_enable_private_segment 0
		.amdhsa_system_sgpr_workgroup_id_x 1
		.amdhsa_system_sgpr_workgroup_id_y 0
		.amdhsa_system_sgpr_workgroup_id_z 0
		.amdhsa_system_sgpr_workgroup_info 0
		.amdhsa_system_vgpr_workitem_id 0
		.amdhsa_next_free_vgpr 1
		.amdhsa_next_free_sgpr 1
		.amdhsa_named_barrier_count 0
		.amdhsa_reserve_vcc 0
		.amdhsa_float_round_mode_32 0
		.amdhsa_float_round_mode_16_64 0
		.amdhsa_float_denorm_mode_32 3
		.amdhsa_float_denorm_mode_16_64 3
		.amdhsa_fp16_overflow 0
		.amdhsa_memory_ordered 1
		.amdhsa_forward_progress 1
		.amdhsa_inst_pref_size 0
		.amdhsa_round_robin_scheduling 0
		.amdhsa_exception_fp_ieee_invalid_op 0
		.amdhsa_exception_fp_denorm_src 0
		.amdhsa_exception_fp_ieee_div_zero 0
		.amdhsa_exception_fp_ieee_overflow 0
		.amdhsa_exception_fp_ieee_underflow 0
		.amdhsa_exception_fp_ieee_inexact 0
		.amdhsa_exception_int_div_zero 0
	.end_amdhsa_kernel
	.section	.text._ZN7rocprim17ROCPRIM_400000_NS6detail17trampoline_kernelINS0_14default_configENS1_35radix_sort_onesweep_config_selectorIsNS0_10empty_typeEEEZZNS1_29radix_sort_onesweep_iterationIS3_Lb0EPKsPsPS5_SB_mNS0_19identity_decomposerENS1_16block_id_wrapperIjLb1EEEEE10hipError_tT1_PNSt15iterator_traitsISG_E10value_typeET2_T3_PNSH_ISM_E10value_typeET4_T5_PSR_SS_PNS1_23onesweep_lookback_stateEbbT6_jjT7_P12ihipStream_tbENKUlT_T0_SG_SL_E_clISA_SA_SB_SB_EEDaSZ_S10_SG_SL_EUlSZ_E_NS1_11comp_targetILNS1_3genE6ELNS1_11target_archE950ELNS1_3gpuE13ELNS1_3repE0EEENS1_47radix_sort_onesweep_sort_config_static_selectorELNS0_4arch9wavefront6targetE0EEEvSG_,"axG",@progbits,_ZN7rocprim17ROCPRIM_400000_NS6detail17trampoline_kernelINS0_14default_configENS1_35radix_sort_onesweep_config_selectorIsNS0_10empty_typeEEEZZNS1_29radix_sort_onesweep_iterationIS3_Lb0EPKsPsPS5_SB_mNS0_19identity_decomposerENS1_16block_id_wrapperIjLb1EEEEE10hipError_tT1_PNSt15iterator_traitsISG_E10value_typeET2_T3_PNSH_ISM_E10value_typeET4_T5_PSR_SS_PNS1_23onesweep_lookback_stateEbbT6_jjT7_P12ihipStream_tbENKUlT_T0_SG_SL_E_clISA_SA_SB_SB_EEDaSZ_S10_SG_SL_EUlSZ_E_NS1_11comp_targetILNS1_3genE6ELNS1_11target_archE950ELNS1_3gpuE13ELNS1_3repE0EEENS1_47radix_sort_onesweep_sort_config_static_selectorELNS0_4arch9wavefront6targetE0EEEvSG_,comdat
.Lfunc_end723:
	.size	_ZN7rocprim17ROCPRIM_400000_NS6detail17trampoline_kernelINS0_14default_configENS1_35radix_sort_onesweep_config_selectorIsNS0_10empty_typeEEEZZNS1_29radix_sort_onesweep_iterationIS3_Lb0EPKsPsPS5_SB_mNS0_19identity_decomposerENS1_16block_id_wrapperIjLb1EEEEE10hipError_tT1_PNSt15iterator_traitsISG_E10value_typeET2_T3_PNSH_ISM_E10value_typeET4_T5_PSR_SS_PNS1_23onesweep_lookback_stateEbbT6_jjT7_P12ihipStream_tbENKUlT_T0_SG_SL_E_clISA_SA_SB_SB_EEDaSZ_S10_SG_SL_EUlSZ_E_NS1_11comp_targetILNS1_3genE6ELNS1_11target_archE950ELNS1_3gpuE13ELNS1_3repE0EEENS1_47radix_sort_onesweep_sort_config_static_selectorELNS0_4arch9wavefront6targetE0EEEvSG_, .Lfunc_end723-_ZN7rocprim17ROCPRIM_400000_NS6detail17trampoline_kernelINS0_14default_configENS1_35radix_sort_onesweep_config_selectorIsNS0_10empty_typeEEEZZNS1_29radix_sort_onesweep_iterationIS3_Lb0EPKsPsPS5_SB_mNS0_19identity_decomposerENS1_16block_id_wrapperIjLb1EEEEE10hipError_tT1_PNSt15iterator_traitsISG_E10value_typeET2_T3_PNSH_ISM_E10value_typeET4_T5_PSR_SS_PNS1_23onesweep_lookback_stateEbbT6_jjT7_P12ihipStream_tbENKUlT_T0_SG_SL_E_clISA_SA_SB_SB_EEDaSZ_S10_SG_SL_EUlSZ_E_NS1_11comp_targetILNS1_3genE6ELNS1_11target_archE950ELNS1_3gpuE13ELNS1_3repE0EEENS1_47radix_sort_onesweep_sort_config_static_selectorELNS0_4arch9wavefront6targetE0EEEvSG_
                                        ; -- End function
	.set _ZN7rocprim17ROCPRIM_400000_NS6detail17trampoline_kernelINS0_14default_configENS1_35radix_sort_onesweep_config_selectorIsNS0_10empty_typeEEEZZNS1_29radix_sort_onesweep_iterationIS3_Lb0EPKsPsPS5_SB_mNS0_19identity_decomposerENS1_16block_id_wrapperIjLb1EEEEE10hipError_tT1_PNSt15iterator_traitsISG_E10value_typeET2_T3_PNSH_ISM_E10value_typeET4_T5_PSR_SS_PNS1_23onesweep_lookback_stateEbbT6_jjT7_P12ihipStream_tbENKUlT_T0_SG_SL_E_clISA_SA_SB_SB_EEDaSZ_S10_SG_SL_EUlSZ_E_NS1_11comp_targetILNS1_3genE6ELNS1_11target_archE950ELNS1_3gpuE13ELNS1_3repE0EEENS1_47radix_sort_onesweep_sort_config_static_selectorELNS0_4arch9wavefront6targetE0EEEvSG_.num_vgpr, 0
	.set _ZN7rocprim17ROCPRIM_400000_NS6detail17trampoline_kernelINS0_14default_configENS1_35radix_sort_onesweep_config_selectorIsNS0_10empty_typeEEEZZNS1_29radix_sort_onesweep_iterationIS3_Lb0EPKsPsPS5_SB_mNS0_19identity_decomposerENS1_16block_id_wrapperIjLb1EEEEE10hipError_tT1_PNSt15iterator_traitsISG_E10value_typeET2_T3_PNSH_ISM_E10value_typeET4_T5_PSR_SS_PNS1_23onesweep_lookback_stateEbbT6_jjT7_P12ihipStream_tbENKUlT_T0_SG_SL_E_clISA_SA_SB_SB_EEDaSZ_S10_SG_SL_EUlSZ_E_NS1_11comp_targetILNS1_3genE6ELNS1_11target_archE950ELNS1_3gpuE13ELNS1_3repE0EEENS1_47radix_sort_onesweep_sort_config_static_selectorELNS0_4arch9wavefront6targetE0EEEvSG_.num_agpr, 0
	.set _ZN7rocprim17ROCPRIM_400000_NS6detail17trampoline_kernelINS0_14default_configENS1_35radix_sort_onesweep_config_selectorIsNS0_10empty_typeEEEZZNS1_29radix_sort_onesweep_iterationIS3_Lb0EPKsPsPS5_SB_mNS0_19identity_decomposerENS1_16block_id_wrapperIjLb1EEEEE10hipError_tT1_PNSt15iterator_traitsISG_E10value_typeET2_T3_PNSH_ISM_E10value_typeET4_T5_PSR_SS_PNS1_23onesweep_lookback_stateEbbT6_jjT7_P12ihipStream_tbENKUlT_T0_SG_SL_E_clISA_SA_SB_SB_EEDaSZ_S10_SG_SL_EUlSZ_E_NS1_11comp_targetILNS1_3genE6ELNS1_11target_archE950ELNS1_3gpuE13ELNS1_3repE0EEENS1_47radix_sort_onesweep_sort_config_static_selectorELNS0_4arch9wavefront6targetE0EEEvSG_.numbered_sgpr, 0
	.set _ZN7rocprim17ROCPRIM_400000_NS6detail17trampoline_kernelINS0_14default_configENS1_35radix_sort_onesweep_config_selectorIsNS0_10empty_typeEEEZZNS1_29radix_sort_onesweep_iterationIS3_Lb0EPKsPsPS5_SB_mNS0_19identity_decomposerENS1_16block_id_wrapperIjLb1EEEEE10hipError_tT1_PNSt15iterator_traitsISG_E10value_typeET2_T3_PNSH_ISM_E10value_typeET4_T5_PSR_SS_PNS1_23onesweep_lookback_stateEbbT6_jjT7_P12ihipStream_tbENKUlT_T0_SG_SL_E_clISA_SA_SB_SB_EEDaSZ_S10_SG_SL_EUlSZ_E_NS1_11comp_targetILNS1_3genE6ELNS1_11target_archE950ELNS1_3gpuE13ELNS1_3repE0EEENS1_47radix_sort_onesweep_sort_config_static_selectorELNS0_4arch9wavefront6targetE0EEEvSG_.num_named_barrier, 0
	.set _ZN7rocprim17ROCPRIM_400000_NS6detail17trampoline_kernelINS0_14default_configENS1_35radix_sort_onesweep_config_selectorIsNS0_10empty_typeEEEZZNS1_29radix_sort_onesweep_iterationIS3_Lb0EPKsPsPS5_SB_mNS0_19identity_decomposerENS1_16block_id_wrapperIjLb1EEEEE10hipError_tT1_PNSt15iterator_traitsISG_E10value_typeET2_T3_PNSH_ISM_E10value_typeET4_T5_PSR_SS_PNS1_23onesweep_lookback_stateEbbT6_jjT7_P12ihipStream_tbENKUlT_T0_SG_SL_E_clISA_SA_SB_SB_EEDaSZ_S10_SG_SL_EUlSZ_E_NS1_11comp_targetILNS1_3genE6ELNS1_11target_archE950ELNS1_3gpuE13ELNS1_3repE0EEENS1_47radix_sort_onesweep_sort_config_static_selectorELNS0_4arch9wavefront6targetE0EEEvSG_.private_seg_size, 0
	.set _ZN7rocprim17ROCPRIM_400000_NS6detail17trampoline_kernelINS0_14default_configENS1_35radix_sort_onesweep_config_selectorIsNS0_10empty_typeEEEZZNS1_29radix_sort_onesweep_iterationIS3_Lb0EPKsPsPS5_SB_mNS0_19identity_decomposerENS1_16block_id_wrapperIjLb1EEEEE10hipError_tT1_PNSt15iterator_traitsISG_E10value_typeET2_T3_PNSH_ISM_E10value_typeET4_T5_PSR_SS_PNS1_23onesweep_lookback_stateEbbT6_jjT7_P12ihipStream_tbENKUlT_T0_SG_SL_E_clISA_SA_SB_SB_EEDaSZ_S10_SG_SL_EUlSZ_E_NS1_11comp_targetILNS1_3genE6ELNS1_11target_archE950ELNS1_3gpuE13ELNS1_3repE0EEENS1_47radix_sort_onesweep_sort_config_static_selectorELNS0_4arch9wavefront6targetE0EEEvSG_.uses_vcc, 0
	.set _ZN7rocprim17ROCPRIM_400000_NS6detail17trampoline_kernelINS0_14default_configENS1_35radix_sort_onesweep_config_selectorIsNS0_10empty_typeEEEZZNS1_29radix_sort_onesweep_iterationIS3_Lb0EPKsPsPS5_SB_mNS0_19identity_decomposerENS1_16block_id_wrapperIjLb1EEEEE10hipError_tT1_PNSt15iterator_traitsISG_E10value_typeET2_T3_PNSH_ISM_E10value_typeET4_T5_PSR_SS_PNS1_23onesweep_lookback_stateEbbT6_jjT7_P12ihipStream_tbENKUlT_T0_SG_SL_E_clISA_SA_SB_SB_EEDaSZ_S10_SG_SL_EUlSZ_E_NS1_11comp_targetILNS1_3genE6ELNS1_11target_archE950ELNS1_3gpuE13ELNS1_3repE0EEENS1_47radix_sort_onesweep_sort_config_static_selectorELNS0_4arch9wavefront6targetE0EEEvSG_.uses_flat_scratch, 0
	.set _ZN7rocprim17ROCPRIM_400000_NS6detail17trampoline_kernelINS0_14default_configENS1_35radix_sort_onesweep_config_selectorIsNS0_10empty_typeEEEZZNS1_29radix_sort_onesweep_iterationIS3_Lb0EPKsPsPS5_SB_mNS0_19identity_decomposerENS1_16block_id_wrapperIjLb1EEEEE10hipError_tT1_PNSt15iterator_traitsISG_E10value_typeET2_T3_PNSH_ISM_E10value_typeET4_T5_PSR_SS_PNS1_23onesweep_lookback_stateEbbT6_jjT7_P12ihipStream_tbENKUlT_T0_SG_SL_E_clISA_SA_SB_SB_EEDaSZ_S10_SG_SL_EUlSZ_E_NS1_11comp_targetILNS1_3genE6ELNS1_11target_archE950ELNS1_3gpuE13ELNS1_3repE0EEENS1_47radix_sort_onesweep_sort_config_static_selectorELNS0_4arch9wavefront6targetE0EEEvSG_.has_dyn_sized_stack, 0
	.set _ZN7rocprim17ROCPRIM_400000_NS6detail17trampoline_kernelINS0_14default_configENS1_35radix_sort_onesweep_config_selectorIsNS0_10empty_typeEEEZZNS1_29radix_sort_onesweep_iterationIS3_Lb0EPKsPsPS5_SB_mNS0_19identity_decomposerENS1_16block_id_wrapperIjLb1EEEEE10hipError_tT1_PNSt15iterator_traitsISG_E10value_typeET2_T3_PNSH_ISM_E10value_typeET4_T5_PSR_SS_PNS1_23onesweep_lookback_stateEbbT6_jjT7_P12ihipStream_tbENKUlT_T0_SG_SL_E_clISA_SA_SB_SB_EEDaSZ_S10_SG_SL_EUlSZ_E_NS1_11comp_targetILNS1_3genE6ELNS1_11target_archE950ELNS1_3gpuE13ELNS1_3repE0EEENS1_47radix_sort_onesweep_sort_config_static_selectorELNS0_4arch9wavefront6targetE0EEEvSG_.has_recursion, 0
	.set _ZN7rocprim17ROCPRIM_400000_NS6detail17trampoline_kernelINS0_14default_configENS1_35radix_sort_onesweep_config_selectorIsNS0_10empty_typeEEEZZNS1_29radix_sort_onesweep_iterationIS3_Lb0EPKsPsPS5_SB_mNS0_19identity_decomposerENS1_16block_id_wrapperIjLb1EEEEE10hipError_tT1_PNSt15iterator_traitsISG_E10value_typeET2_T3_PNSH_ISM_E10value_typeET4_T5_PSR_SS_PNS1_23onesweep_lookback_stateEbbT6_jjT7_P12ihipStream_tbENKUlT_T0_SG_SL_E_clISA_SA_SB_SB_EEDaSZ_S10_SG_SL_EUlSZ_E_NS1_11comp_targetILNS1_3genE6ELNS1_11target_archE950ELNS1_3gpuE13ELNS1_3repE0EEENS1_47radix_sort_onesweep_sort_config_static_selectorELNS0_4arch9wavefront6targetE0EEEvSG_.has_indirect_call, 0
	.section	.AMDGPU.csdata,"",@progbits
; Kernel info:
; codeLenInByte = 0
; TotalNumSgprs: 0
; NumVgprs: 0
; ScratchSize: 0
; MemoryBound: 0
; FloatMode: 240
; IeeeMode: 1
; LDSByteSize: 0 bytes/workgroup (compile time only)
; SGPRBlocks: 0
; VGPRBlocks: 0
; NumSGPRsForWavesPerEU: 1
; NumVGPRsForWavesPerEU: 1
; NamedBarCnt: 0
; Occupancy: 16
; WaveLimiterHint : 0
; COMPUTE_PGM_RSRC2:SCRATCH_EN: 0
; COMPUTE_PGM_RSRC2:USER_SGPR: 2
; COMPUTE_PGM_RSRC2:TRAP_HANDLER: 0
; COMPUTE_PGM_RSRC2:TGID_X_EN: 1
; COMPUTE_PGM_RSRC2:TGID_Y_EN: 0
; COMPUTE_PGM_RSRC2:TGID_Z_EN: 0
; COMPUTE_PGM_RSRC2:TIDIG_COMP_CNT: 0
	.section	.text._ZN7rocprim17ROCPRIM_400000_NS6detail17trampoline_kernelINS0_14default_configENS1_35radix_sort_onesweep_config_selectorIsNS0_10empty_typeEEEZZNS1_29radix_sort_onesweep_iterationIS3_Lb0EPKsPsPS5_SB_mNS0_19identity_decomposerENS1_16block_id_wrapperIjLb1EEEEE10hipError_tT1_PNSt15iterator_traitsISG_E10value_typeET2_T3_PNSH_ISM_E10value_typeET4_T5_PSR_SS_PNS1_23onesweep_lookback_stateEbbT6_jjT7_P12ihipStream_tbENKUlT_T0_SG_SL_E_clISA_SA_SB_SB_EEDaSZ_S10_SG_SL_EUlSZ_E_NS1_11comp_targetILNS1_3genE5ELNS1_11target_archE942ELNS1_3gpuE9ELNS1_3repE0EEENS1_47radix_sort_onesweep_sort_config_static_selectorELNS0_4arch9wavefront6targetE0EEEvSG_,"axG",@progbits,_ZN7rocprim17ROCPRIM_400000_NS6detail17trampoline_kernelINS0_14default_configENS1_35radix_sort_onesweep_config_selectorIsNS0_10empty_typeEEEZZNS1_29radix_sort_onesweep_iterationIS3_Lb0EPKsPsPS5_SB_mNS0_19identity_decomposerENS1_16block_id_wrapperIjLb1EEEEE10hipError_tT1_PNSt15iterator_traitsISG_E10value_typeET2_T3_PNSH_ISM_E10value_typeET4_T5_PSR_SS_PNS1_23onesweep_lookback_stateEbbT6_jjT7_P12ihipStream_tbENKUlT_T0_SG_SL_E_clISA_SA_SB_SB_EEDaSZ_S10_SG_SL_EUlSZ_E_NS1_11comp_targetILNS1_3genE5ELNS1_11target_archE942ELNS1_3gpuE9ELNS1_3repE0EEENS1_47radix_sort_onesweep_sort_config_static_selectorELNS0_4arch9wavefront6targetE0EEEvSG_,comdat
	.protected	_ZN7rocprim17ROCPRIM_400000_NS6detail17trampoline_kernelINS0_14default_configENS1_35radix_sort_onesweep_config_selectorIsNS0_10empty_typeEEEZZNS1_29radix_sort_onesweep_iterationIS3_Lb0EPKsPsPS5_SB_mNS0_19identity_decomposerENS1_16block_id_wrapperIjLb1EEEEE10hipError_tT1_PNSt15iterator_traitsISG_E10value_typeET2_T3_PNSH_ISM_E10value_typeET4_T5_PSR_SS_PNS1_23onesweep_lookback_stateEbbT6_jjT7_P12ihipStream_tbENKUlT_T0_SG_SL_E_clISA_SA_SB_SB_EEDaSZ_S10_SG_SL_EUlSZ_E_NS1_11comp_targetILNS1_3genE5ELNS1_11target_archE942ELNS1_3gpuE9ELNS1_3repE0EEENS1_47radix_sort_onesweep_sort_config_static_selectorELNS0_4arch9wavefront6targetE0EEEvSG_ ; -- Begin function _ZN7rocprim17ROCPRIM_400000_NS6detail17trampoline_kernelINS0_14default_configENS1_35radix_sort_onesweep_config_selectorIsNS0_10empty_typeEEEZZNS1_29radix_sort_onesweep_iterationIS3_Lb0EPKsPsPS5_SB_mNS0_19identity_decomposerENS1_16block_id_wrapperIjLb1EEEEE10hipError_tT1_PNSt15iterator_traitsISG_E10value_typeET2_T3_PNSH_ISM_E10value_typeET4_T5_PSR_SS_PNS1_23onesweep_lookback_stateEbbT6_jjT7_P12ihipStream_tbENKUlT_T0_SG_SL_E_clISA_SA_SB_SB_EEDaSZ_S10_SG_SL_EUlSZ_E_NS1_11comp_targetILNS1_3genE5ELNS1_11target_archE942ELNS1_3gpuE9ELNS1_3repE0EEENS1_47radix_sort_onesweep_sort_config_static_selectorELNS0_4arch9wavefront6targetE0EEEvSG_
	.globl	_ZN7rocprim17ROCPRIM_400000_NS6detail17trampoline_kernelINS0_14default_configENS1_35radix_sort_onesweep_config_selectorIsNS0_10empty_typeEEEZZNS1_29radix_sort_onesweep_iterationIS3_Lb0EPKsPsPS5_SB_mNS0_19identity_decomposerENS1_16block_id_wrapperIjLb1EEEEE10hipError_tT1_PNSt15iterator_traitsISG_E10value_typeET2_T3_PNSH_ISM_E10value_typeET4_T5_PSR_SS_PNS1_23onesweep_lookback_stateEbbT6_jjT7_P12ihipStream_tbENKUlT_T0_SG_SL_E_clISA_SA_SB_SB_EEDaSZ_S10_SG_SL_EUlSZ_E_NS1_11comp_targetILNS1_3genE5ELNS1_11target_archE942ELNS1_3gpuE9ELNS1_3repE0EEENS1_47radix_sort_onesweep_sort_config_static_selectorELNS0_4arch9wavefront6targetE0EEEvSG_
	.p2align	8
	.type	_ZN7rocprim17ROCPRIM_400000_NS6detail17trampoline_kernelINS0_14default_configENS1_35radix_sort_onesweep_config_selectorIsNS0_10empty_typeEEEZZNS1_29radix_sort_onesweep_iterationIS3_Lb0EPKsPsPS5_SB_mNS0_19identity_decomposerENS1_16block_id_wrapperIjLb1EEEEE10hipError_tT1_PNSt15iterator_traitsISG_E10value_typeET2_T3_PNSH_ISM_E10value_typeET4_T5_PSR_SS_PNS1_23onesweep_lookback_stateEbbT6_jjT7_P12ihipStream_tbENKUlT_T0_SG_SL_E_clISA_SA_SB_SB_EEDaSZ_S10_SG_SL_EUlSZ_E_NS1_11comp_targetILNS1_3genE5ELNS1_11target_archE942ELNS1_3gpuE9ELNS1_3repE0EEENS1_47radix_sort_onesweep_sort_config_static_selectorELNS0_4arch9wavefront6targetE0EEEvSG_,@function
_ZN7rocprim17ROCPRIM_400000_NS6detail17trampoline_kernelINS0_14default_configENS1_35radix_sort_onesweep_config_selectorIsNS0_10empty_typeEEEZZNS1_29radix_sort_onesweep_iterationIS3_Lb0EPKsPsPS5_SB_mNS0_19identity_decomposerENS1_16block_id_wrapperIjLb1EEEEE10hipError_tT1_PNSt15iterator_traitsISG_E10value_typeET2_T3_PNSH_ISM_E10value_typeET4_T5_PSR_SS_PNS1_23onesweep_lookback_stateEbbT6_jjT7_P12ihipStream_tbENKUlT_T0_SG_SL_E_clISA_SA_SB_SB_EEDaSZ_S10_SG_SL_EUlSZ_E_NS1_11comp_targetILNS1_3genE5ELNS1_11target_archE942ELNS1_3gpuE9ELNS1_3repE0EEENS1_47radix_sort_onesweep_sort_config_static_selectorELNS0_4arch9wavefront6targetE0EEEvSG_: ; @_ZN7rocprim17ROCPRIM_400000_NS6detail17trampoline_kernelINS0_14default_configENS1_35radix_sort_onesweep_config_selectorIsNS0_10empty_typeEEEZZNS1_29radix_sort_onesweep_iterationIS3_Lb0EPKsPsPS5_SB_mNS0_19identity_decomposerENS1_16block_id_wrapperIjLb1EEEEE10hipError_tT1_PNSt15iterator_traitsISG_E10value_typeET2_T3_PNSH_ISM_E10value_typeET4_T5_PSR_SS_PNS1_23onesweep_lookback_stateEbbT6_jjT7_P12ihipStream_tbENKUlT_T0_SG_SL_E_clISA_SA_SB_SB_EEDaSZ_S10_SG_SL_EUlSZ_E_NS1_11comp_targetILNS1_3genE5ELNS1_11target_archE942ELNS1_3gpuE9ELNS1_3repE0EEENS1_47radix_sort_onesweep_sort_config_static_selectorELNS0_4arch9wavefront6targetE0EEEvSG_
; %bb.0:
	.section	.rodata,"a",@progbits
	.p2align	6, 0x0
	.amdhsa_kernel _ZN7rocprim17ROCPRIM_400000_NS6detail17trampoline_kernelINS0_14default_configENS1_35radix_sort_onesweep_config_selectorIsNS0_10empty_typeEEEZZNS1_29radix_sort_onesweep_iterationIS3_Lb0EPKsPsPS5_SB_mNS0_19identity_decomposerENS1_16block_id_wrapperIjLb1EEEEE10hipError_tT1_PNSt15iterator_traitsISG_E10value_typeET2_T3_PNSH_ISM_E10value_typeET4_T5_PSR_SS_PNS1_23onesweep_lookback_stateEbbT6_jjT7_P12ihipStream_tbENKUlT_T0_SG_SL_E_clISA_SA_SB_SB_EEDaSZ_S10_SG_SL_EUlSZ_E_NS1_11comp_targetILNS1_3genE5ELNS1_11target_archE942ELNS1_3gpuE9ELNS1_3repE0EEENS1_47radix_sort_onesweep_sort_config_static_selectorELNS0_4arch9wavefront6targetE0EEEvSG_
		.amdhsa_group_segment_fixed_size 0
		.amdhsa_private_segment_fixed_size 0
		.amdhsa_kernarg_size 88
		.amdhsa_user_sgpr_count 2
		.amdhsa_user_sgpr_dispatch_ptr 0
		.amdhsa_user_sgpr_queue_ptr 0
		.amdhsa_user_sgpr_kernarg_segment_ptr 1
		.amdhsa_user_sgpr_dispatch_id 0
		.amdhsa_user_sgpr_kernarg_preload_length 0
		.amdhsa_user_sgpr_kernarg_preload_offset 0
		.amdhsa_user_sgpr_private_segment_size 0
		.amdhsa_wavefront_size32 1
		.amdhsa_uses_dynamic_stack 0
		.amdhsa_enable_private_segment 0
		.amdhsa_system_sgpr_workgroup_id_x 1
		.amdhsa_system_sgpr_workgroup_id_y 0
		.amdhsa_system_sgpr_workgroup_id_z 0
		.amdhsa_system_sgpr_workgroup_info 0
		.amdhsa_system_vgpr_workitem_id 0
		.amdhsa_next_free_vgpr 1
		.amdhsa_next_free_sgpr 1
		.amdhsa_named_barrier_count 0
		.amdhsa_reserve_vcc 0
		.amdhsa_float_round_mode_32 0
		.amdhsa_float_round_mode_16_64 0
		.amdhsa_float_denorm_mode_32 3
		.amdhsa_float_denorm_mode_16_64 3
		.amdhsa_fp16_overflow 0
		.amdhsa_memory_ordered 1
		.amdhsa_forward_progress 1
		.amdhsa_inst_pref_size 0
		.amdhsa_round_robin_scheduling 0
		.amdhsa_exception_fp_ieee_invalid_op 0
		.amdhsa_exception_fp_denorm_src 0
		.amdhsa_exception_fp_ieee_div_zero 0
		.amdhsa_exception_fp_ieee_overflow 0
		.amdhsa_exception_fp_ieee_underflow 0
		.amdhsa_exception_fp_ieee_inexact 0
		.amdhsa_exception_int_div_zero 0
	.end_amdhsa_kernel
	.section	.text._ZN7rocprim17ROCPRIM_400000_NS6detail17trampoline_kernelINS0_14default_configENS1_35radix_sort_onesweep_config_selectorIsNS0_10empty_typeEEEZZNS1_29radix_sort_onesweep_iterationIS3_Lb0EPKsPsPS5_SB_mNS0_19identity_decomposerENS1_16block_id_wrapperIjLb1EEEEE10hipError_tT1_PNSt15iterator_traitsISG_E10value_typeET2_T3_PNSH_ISM_E10value_typeET4_T5_PSR_SS_PNS1_23onesweep_lookback_stateEbbT6_jjT7_P12ihipStream_tbENKUlT_T0_SG_SL_E_clISA_SA_SB_SB_EEDaSZ_S10_SG_SL_EUlSZ_E_NS1_11comp_targetILNS1_3genE5ELNS1_11target_archE942ELNS1_3gpuE9ELNS1_3repE0EEENS1_47radix_sort_onesweep_sort_config_static_selectorELNS0_4arch9wavefront6targetE0EEEvSG_,"axG",@progbits,_ZN7rocprim17ROCPRIM_400000_NS6detail17trampoline_kernelINS0_14default_configENS1_35radix_sort_onesweep_config_selectorIsNS0_10empty_typeEEEZZNS1_29radix_sort_onesweep_iterationIS3_Lb0EPKsPsPS5_SB_mNS0_19identity_decomposerENS1_16block_id_wrapperIjLb1EEEEE10hipError_tT1_PNSt15iterator_traitsISG_E10value_typeET2_T3_PNSH_ISM_E10value_typeET4_T5_PSR_SS_PNS1_23onesweep_lookback_stateEbbT6_jjT7_P12ihipStream_tbENKUlT_T0_SG_SL_E_clISA_SA_SB_SB_EEDaSZ_S10_SG_SL_EUlSZ_E_NS1_11comp_targetILNS1_3genE5ELNS1_11target_archE942ELNS1_3gpuE9ELNS1_3repE0EEENS1_47radix_sort_onesweep_sort_config_static_selectorELNS0_4arch9wavefront6targetE0EEEvSG_,comdat
.Lfunc_end724:
	.size	_ZN7rocprim17ROCPRIM_400000_NS6detail17trampoline_kernelINS0_14default_configENS1_35radix_sort_onesweep_config_selectorIsNS0_10empty_typeEEEZZNS1_29radix_sort_onesweep_iterationIS3_Lb0EPKsPsPS5_SB_mNS0_19identity_decomposerENS1_16block_id_wrapperIjLb1EEEEE10hipError_tT1_PNSt15iterator_traitsISG_E10value_typeET2_T3_PNSH_ISM_E10value_typeET4_T5_PSR_SS_PNS1_23onesweep_lookback_stateEbbT6_jjT7_P12ihipStream_tbENKUlT_T0_SG_SL_E_clISA_SA_SB_SB_EEDaSZ_S10_SG_SL_EUlSZ_E_NS1_11comp_targetILNS1_3genE5ELNS1_11target_archE942ELNS1_3gpuE9ELNS1_3repE0EEENS1_47radix_sort_onesweep_sort_config_static_selectorELNS0_4arch9wavefront6targetE0EEEvSG_, .Lfunc_end724-_ZN7rocprim17ROCPRIM_400000_NS6detail17trampoline_kernelINS0_14default_configENS1_35radix_sort_onesweep_config_selectorIsNS0_10empty_typeEEEZZNS1_29radix_sort_onesweep_iterationIS3_Lb0EPKsPsPS5_SB_mNS0_19identity_decomposerENS1_16block_id_wrapperIjLb1EEEEE10hipError_tT1_PNSt15iterator_traitsISG_E10value_typeET2_T3_PNSH_ISM_E10value_typeET4_T5_PSR_SS_PNS1_23onesweep_lookback_stateEbbT6_jjT7_P12ihipStream_tbENKUlT_T0_SG_SL_E_clISA_SA_SB_SB_EEDaSZ_S10_SG_SL_EUlSZ_E_NS1_11comp_targetILNS1_3genE5ELNS1_11target_archE942ELNS1_3gpuE9ELNS1_3repE0EEENS1_47radix_sort_onesweep_sort_config_static_selectorELNS0_4arch9wavefront6targetE0EEEvSG_
                                        ; -- End function
	.set _ZN7rocprim17ROCPRIM_400000_NS6detail17trampoline_kernelINS0_14default_configENS1_35radix_sort_onesweep_config_selectorIsNS0_10empty_typeEEEZZNS1_29radix_sort_onesweep_iterationIS3_Lb0EPKsPsPS5_SB_mNS0_19identity_decomposerENS1_16block_id_wrapperIjLb1EEEEE10hipError_tT1_PNSt15iterator_traitsISG_E10value_typeET2_T3_PNSH_ISM_E10value_typeET4_T5_PSR_SS_PNS1_23onesweep_lookback_stateEbbT6_jjT7_P12ihipStream_tbENKUlT_T0_SG_SL_E_clISA_SA_SB_SB_EEDaSZ_S10_SG_SL_EUlSZ_E_NS1_11comp_targetILNS1_3genE5ELNS1_11target_archE942ELNS1_3gpuE9ELNS1_3repE0EEENS1_47radix_sort_onesweep_sort_config_static_selectorELNS0_4arch9wavefront6targetE0EEEvSG_.num_vgpr, 0
	.set _ZN7rocprim17ROCPRIM_400000_NS6detail17trampoline_kernelINS0_14default_configENS1_35radix_sort_onesweep_config_selectorIsNS0_10empty_typeEEEZZNS1_29radix_sort_onesweep_iterationIS3_Lb0EPKsPsPS5_SB_mNS0_19identity_decomposerENS1_16block_id_wrapperIjLb1EEEEE10hipError_tT1_PNSt15iterator_traitsISG_E10value_typeET2_T3_PNSH_ISM_E10value_typeET4_T5_PSR_SS_PNS1_23onesweep_lookback_stateEbbT6_jjT7_P12ihipStream_tbENKUlT_T0_SG_SL_E_clISA_SA_SB_SB_EEDaSZ_S10_SG_SL_EUlSZ_E_NS1_11comp_targetILNS1_3genE5ELNS1_11target_archE942ELNS1_3gpuE9ELNS1_3repE0EEENS1_47radix_sort_onesweep_sort_config_static_selectorELNS0_4arch9wavefront6targetE0EEEvSG_.num_agpr, 0
	.set _ZN7rocprim17ROCPRIM_400000_NS6detail17trampoline_kernelINS0_14default_configENS1_35radix_sort_onesweep_config_selectorIsNS0_10empty_typeEEEZZNS1_29radix_sort_onesweep_iterationIS3_Lb0EPKsPsPS5_SB_mNS0_19identity_decomposerENS1_16block_id_wrapperIjLb1EEEEE10hipError_tT1_PNSt15iterator_traitsISG_E10value_typeET2_T3_PNSH_ISM_E10value_typeET4_T5_PSR_SS_PNS1_23onesweep_lookback_stateEbbT6_jjT7_P12ihipStream_tbENKUlT_T0_SG_SL_E_clISA_SA_SB_SB_EEDaSZ_S10_SG_SL_EUlSZ_E_NS1_11comp_targetILNS1_3genE5ELNS1_11target_archE942ELNS1_3gpuE9ELNS1_3repE0EEENS1_47radix_sort_onesweep_sort_config_static_selectorELNS0_4arch9wavefront6targetE0EEEvSG_.numbered_sgpr, 0
	.set _ZN7rocprim17ROCPRIM_400000_NS6detail17trampoline_kernelINS0_14default_configENS1_35radix_sort_onesweep_config_selectorIsNS0_10empty_typeEEEZZNS1_29radix_sort_onesweep_iterationIS3_Lb0EPKsPsPS5_SB_mNS0_19identity_decomposerENS1_16block_id_wrapperIjLb1EEEEE10hipError_tT1_PNSt15iterator_traitsISG_E10value_typeET2_T3_PNSH_ISM_E10value_typeET4_T5_PSR_SS_PNS1_23onesweep_lookback_stateEbbT6_jjT7_P12ihipStream_tbENKUlT_T0_SG_SL_E_clISA_SA_SB_SB_EEDaSZ_S10_SG_SL_EUlSZ_E_NS1_11comp_targetILNS1_3genE5ELNS1_11target_archE942ELNS1_3gpuE9ELNS1_3repE0EEENS1_47radix_sort_onesweep_sort_config_static_selectorELNS0_4arch9wavefront6targetE0EEEvSG_.num_named_barrier, 0
	.set _ZN7rocprim17ROCPRIM_400000_NS6detail17trampoline_kernelINS0_14default_configENS1_35radix_sort_onesweep_config_selectorIsNS0_10empty_typeEEEZZNS1_29radix_sort_onesweep_iterationIS3_Lb0EPKsPsPS5_SB_mNS0_19identity_decomposerENS1_16block_id_wrapperIjLb1EEEEE10hipError_tT1_PNSt15iterator_traitsISG_E10value_typeET2_T3_PNSH_ISM_E10value_typeET4_T5_PSR_SS_PNS1_23onesweep_lookback_stateEbbT6_jjT7_P12ihipStream_tbENKUlT_T0_SG_SL_E_clISA_SA_SB_SB_EEDaSZ_S10_SG_SL_EUlSZ_E_NS1_11comp_targetILNS1_3genE5ELNS1_11target_archE942ELNS1_3gpuE9ELNS1_3repE0EEENS1_47radix_sort_onesweep_sort_config_static_selectorELNS0_4arch9wavefront6targetE0EEEvSG_.private_seg_size, 0
	.set _ZN7rocprim17ROCPRIM_400000_NS6detail17trampoline_kernelINS0_14default_configENS1_35radix_sort_onesweep_config_selectorIsNS0_10empty_typeEEEZZNS1_29radix_sort_onesweep_iterationIS3_Lb0EPKsPsPS5_SB_mNS0_19identity_decomposerENS1_16block_id_wrapperIjLb1EEEEE10hipError_tT1_PNSt15iterator_traitsISG_E10value_typeET2_T3_PNSH_ISM_E10value_typeET4_T5_PSR_SS_PNS1_23onesweep_lookback_stateEbbT6_jjT7_P12ihipStream_tbENKUlT_T0_SG_SL_E_clISA_SA_SB_SB_EEDaSZ_S10_SG_SL_EUlSZ_E_NS1_11comp_targetILNS1_3genE5ELNS1_11target_archE942ELNS1_3gpuE9ELNS1_3repE0EEENS1_47radix_sort_onesweep_sort_config_static_selectorELNS0_4arch9wavefront6targetE0EEEvSG_.uses_vcc, 0
	.set _ZN7rocprim17ROCPRIM_400000_NS6detail17trampoline_kernelINS0_14default_configENS1_35radix_sort_onesweep_config_selectorIsNS0_10empty_typeEEEZZNS1_29radix_sort_onesweep_iterationIS3_Lb0EPKsPsPS5_SB_mNS0_19identity_decomposerENS1_16block_id_wrapperIjLb1EEEEE10hipError_tT1_PNSt15iterator_traitsISG_E10value_typeET2_T3_PNSH_ISM_E10value_typeET4_T5_PSR_SS_PNS1_23onesweep_lookback_stateEbbT6_jjT7_P12ihipStream_tbENKUlT_T0_SG_SL_E_clISA_SA_SB_SB_EEDaSZ_S10_SG_SL_EUlSZ_E_NS1_11comp_targetILNS1_3genE5ELNS1_11target_archE942ELNS1_3gpuE9ELNS1_3repE0EEENS1_47radix_sort_onesweep_sort_config_static_selectorELNS0_4arch9wavefront6targetE0EEEvSG_.uses_flat_scratch, 0
	.set _ZN7rocprim17ROCPRIM_400000_NS6detail17trampoline_kernelINS0_14default_configENS1_35radix_sort_onesweep_config_selectorIsNS0_10empty_typeEEEZZNS1_29radix_sort_onesweep_iterationIS3_Lb0EPKsPsPS5_SB_mNS0_19identity_decomposerENS1_16block_id_wrapperIjLb1EEEEE10hipError_tT1_PNSt15iterator_traitsISG_E10value_typeET2_T3_PNSH_ISM_E10value_typeET4_T5_PSR_SS_PNS1_23onesweep_lookback_stateEbbT6_jjT7_P12ihipStream_tbENKUlT_T0_SG_SL_E_clISA_SA_SB_SB_EEDaSZ_S10_SG_SL_EUlSZ_E_NS1_11comp_targetILNS1_3genE5ELNS1_11target_archE942ELNS1_3gpuE9ELNS1_3repE0EEENS1_47radix_sort_onesweep_sort_config_static_selectorELNS0_4arch9wavefront6targetE0EEEvSG_.has_dyn_sized_stack, 0
	.set _ZN7rocprim17ROCPRIM_400000_NS6detail17trampoline_kernelINS0_14default_configENS1_35radix_sort_onesweep_config_selectorIsNS0_10empty_typeEEEZZNS1_29radix_sort_onesweep_iterationIS3_Lb0EPKsPsPS5_SB_mNS0_19identity_decomposerENS1_16block_id_wrapperIjLb1EEEEE10hipError_tT1_PNSt15iterator_traitsISG_E10value_typeET2_T3_PNSH_ISM_E10value_typeET4_T5_PSR_SS_PNS1_23onesweep_lookback_stateEbbT6_jjT7_P12ihipStream_tbENKUlT_T0_SG_SL_E_clISA_SA_SB_SB_EEDaSZ_S10_SG_SL_EUlSZ_E_NS1_11comp_targetILNS1_3genE5ELNS1_11target_archE942ELNS1_3gpuE9ELNS1_3repE0EEENS1_47radix_sort_onesweep_sort_config_static_selectorELNS0_4arch9wavefront6targetE0EEEvSG_.has_recursion, 0
	.set _ZN7rocprim17ROCPRIM_400000_NS6detail17trampoline_kernelINS0_14default_configENS1_35radix_sort_onesweep_config_selectorIsNS0_10empty_typeEEEZZNS1_29radix_sort_onesweep_iterationIS3_Lb0EPKsPsPS5_SB_mNS0_19identity_decomposerENS1_16block_id_wrapperIjLb1EEEEE10hipError_tT1_PNSt15iterator_traitsISG_E10value_typeET2_T3_PNSH_ISM_E10value_typeET4_T5_PSR_SS_PNS1_23onesweep_lookback_stateEbbT6_jjT7_P12ihipStream_tbENKUlT_T0_SG_SL_E_clISA_SA_SB_SB_EEDaSZ_S10_SG_SL_EUlSZ_E_NS1_11comp_targetILNS1_3genE5ELNS1_11target_archE942ELNS1_3gpuE9ELNS1_3repE0EEENS1_47radix_sort_onesweep_sort_config_static_selectorELNS0_4arch9wavefront6targetE0EEEvSG_.has_indirect_call, 0
	.section	.AMDGPU.csdata,"",@progbits
; Kernel info:
; codeLenInByte = 0
; TotalNumSgprs: 0
; NumVgprs: 0
; ScratchSize: 0
; MemoryBound: 0
; FloatMode: 240
; IeeeMode: 1
; LDSByteSize: 0 bytes/workgroup (compile time only)
; SGPRBlocks: 0
; VGPRBlocks: 0
; NumSGPRsForWavesPerEU: 1
; NumVGPRsForWavesPerEU: 1
; NamedBarCnt: 0
; Occupancy: 16
; WaveLimiterHint : 0
; COMPUTE_PGM_RSRC2:SCRATCH_EN: 0
; COMPUTE_PGM_RSRC2:USER_SGPR: 2
; COMPUTE_PGM_RSRC2:TRAP_HANDLER: 0
; COMPUTE_PGM_RSRC2:TGID_X_EN: 1
; COMPUTE_PGM_RSRC2:TGID_Y_EN: 0
; COMPUTE_PGM_RSRC2:TGID_Z_EN: 0
; COMPUTE_PGM_RSRC2:TIDIG_COMP_CNT: 0
	.section	.text._ZN7rocprim17ROCPRIM_400000_NS6detail17trampoline_kernelINS0_14default_configENS1_35radix_sort_onesweep_config_selectorIsNS0_10empty_typeEEEZZNS1_29radix_sort_onesweep_iterationIS3_Lb0EPKsPsPS5_SB_mNS0_19identity_decomposerENS1_16block_id_wrapperIjLb1EEEEE10hipError_tT1_PNSt15iterator_traitsISG_E10value_typeET2_T3_PNSH_ISM_E10value_typeET4_T5_PSR_SS_PNS1_23onesweep_lookback_stateEbbT6_jjT7_P12ihipStream_tbENKUlT_T0_SG_SL_E_clISA_SA_SB_SB_EEDaSZ_S10_SG_SL_EUlSZ_E_NS1_11comp_targetILNS1_3genE2ELNS1_11target_archE906ELNS1_3gpuE6ELNS1_3repE0EEENS1_47radix_sort_onesweep_sort_config_static_selectorELNS0_4arch9wavefront6targetE0EEEvSG_,"axG",@progbits,_ZN7rocprim17ROCPRIM_400000_NS6detail17trampoline_kernelINS0_14default_configENS1_35radix_sort_onesweep_config_selectorIsNS0_10empty_typeEEEZZNS1_29radix_sort_onesweep_iterationIS3_Lb0EPKsPsPS5_SB_mNS0_19identity_decomposerENS1_16block_id_wrapperIjLb1EEEEE10hipError_tT1_PNSt15iterator_traitsISG_E10value_typeET2_T3_PNSH_ISM_E10value_typeET4_T5_PSR_SS_PNS1_23onesweep_lookback_stateEbbT6_jjT7_P12ihipStream_tbENKUlT_T0_SG_SL_E_clISA_SA_SB_SB_EEDaSZ_S10_SG_SL_EUlSZ_E_NS1_11comp_targetILNS1_3genE2ELNS1_11target_archE906ELNS1_3gpuE6ELNS1_3repE0EEENS1_47radix_sort_onesweep_sort_config_static_selectorELNS0_4arch9wavefront6targetE0EEEvSG_,comdat
	.protected	_ZN7rocprim17ROCPRIM_400000_NS6detail17trampoline_kernelINS0_14default_configENS1_35radix_sort_onesweep_config_selectorIsNS0_10empty_typeEEEZZNS1_29radix_sort_onesweep_iterationIS3_Lb0EPKsPsPS5_SB_mNS0_19identity_decomposerENS1_16block_id_wrapperIjLb1EEEEE10hipError_tT1_PNSt15iterator_traitsISG_E10value_typeET2_T3_PNSH_ISM_E10value_typeET4_T5_PSR_SS_PNS1_23onesweep_lookback_stateEbbT6_jjT7_P12ihipStream_tbENKUlT_T0_SG_SL_E_clISA_SA_SB_SB_EEDaSZ_S10_SG_SL_EUlSZ_E_NS1_11comp_targetILNS1_3genE2ELNS1_11target_archE906ELNS1_3gpuE6ELNS1_3repE0EEENS1_47radix_sort_onesweep_sort_config_static_selectorELNS0_4arch9wavefront6targetE0EEEvSG_ ; -- Begin function _ZN7rocprim17ROCPRIM_400000_NS6detail17trampoline_kernelINS0_14default_configENS1_35radix_sort_onesweep_config_selectorIsNS0_10empty_typeEEEZZNS1_29radix_sort_onesweep_iterationIS3_Lb0EPKsPsPS5_SB_mNS0_19identity_decomposerENS1_16block_id_wrapperIjLb1EEEEE10hipError_tT1_PNSt15iterator_traitsISG_E10value_typeET2_T3_PNSH_ISM_E10value_typeET4_T5_PSR_SS_PNS1_23onesweep_lookback_stateEbbT6_jjT7_P12ihipStream_tbENKUlT_T0_SG_SL_E_clISA_SA_SB_SB_EEDaSZ_S10_SG_SL_EUlSZ_E_NS1_11comp_targetILNS1_3genE2ELNS1_11target_archE906ELNS1_3gpuE6ELNS1_3repE0EEENS1_47radix_sort_onesweep_sort_config_static_selectorELNS0_4arch9wavefront6targetE0EEEvSG_
	.globl	_ZN7rocprim17ROCPRIM_400000_NS6detail17trampoline_kernelINS0_14default_configENS1_35radix_sort_onesweep_config_selectorIsNS0_10empty_typeEEEZZNS1_29radix_sort_onesweep_iterationIS3_Lb0EPKsPsPS5_SB_mNS0_19identity_decomposerENS1_16block_id_wrapperIjLb1EEEEE10hipError_tT1_PNSt15iterator_traitsISG_E10value_typeET2_T3_PNSH_ISM_E10value_typeET4_T5_PSR_SS_PNS1_23onesweep_lookback_stateEbbT6_jjT7_P12ihipStream_tbENKUlT_T0_SG_SL_E_clISA_SA_SB_SB_EEDaSZ_S10_SG_SL_EUlSZ_E_NS1_11comp_targetILNS1_3genE2ELNS1_11target_archE906ELNS1_3gpuE6ELNS1_3repE0EEENS1_47radix_sort_onesweep_sort_config_static_selectorELNS0_4arch9wavefront6targetE0EEEvSG_
	.p2align	8
	.type	_ZN7rocprim17ROCPRIM_400000_NS6detail17trampoline_kernelINS0_14default_configENS1_35radix_sort_onesweep_config_selectorIsNS0_10empty_typeEEEZZNS1_29radix_sort_onesweep_iterationIS3_Lb0EPKsPsPS5_SB_mNS0_19identity_decomposerENS1_16block_id_wrapperIjLb1EEEEE10hipError_tT1_PNSt15iterator_traitsISG_E10value_typeET2_T3_PNSH_ISM_E10value_typeET4_T5_PSR_SS_PNS1_23onesweep_lookback_stateEbbT6_jjT7_P12ihipStream_tbENKUlT_T0_SG_SL_E_clISA_SA_SB_SB_EEDaSZ_S10_SG_SL_EUlSZ_E_NS1_11comp_targetILNS1_3genE2ELNS1_11target_archE906ELNS1_3gpuE6ELNS1_3repE0EEENS1_47radix_sort_onesweep_sort_config_static_selectorELNS0_4arch9wavefront6targetE0EEEvSG_,@function
_ZN7rocprim17ROCPRIM_400000_NS6detail17trampoline_kernelINS0_14default_configENS1_35radix_sort_onesweep_config_selectorIsNS0_10empty_typeEEEZZNS1_29radix_sort_onesweep_iterationIS3_Lb0EPKsPsPS5_SB_mNS0_19identity_decomposerENS1_16block_id_wrapperIjLb1EEEEE10hipError_tT1_PNSt15iterator_traitsISG_E10value_typeET2_T3_PNSH_ISM_E10value_typeET4_T5_PSR_SS_PNS1_23onesweep_lookback_stateEbbT6_jjT7_P12ihipStream_tbENKUlT_T0_SG_SL_E_clISA_SA_SB_SB_EEDaSZ_S10_SG_SL_EUlSZ_E_NS1_11comp_targetILNS1_3genE2ELNS1_11target_archE906ELNS1_3gpuE6ELNS1_3repE0EEENS1_47radix_sort_onesweep_sort_config_static_selectorELNS0_4arch9wavefront6targetE0EEEvSG_: ; @_ZN7rocprim17ROCPRIM_400000_NS6detail17trampoline_kernelINS0_14default_configENS1_35radix_sort_onesweep_config_selectorIsNS0_10empty_typeEEEZZNS1_29radix_sort_onesweep_iterationIS3_Lb0EPKsPsPS5_SB_mNS0_19identity_decomposerENS1_16block_id_wrapperIjLb1EEEEE10hipError_tT1_PNSt15iterator_traitsISG_E10value_typeET2_T3_PNSH_ISM_E10value_typeET4_T5_PSR_SS_PNS1_23onesweep_lookback_stateEbbT6_jjT7_P12ihipStream_tbENKUlT_T0_SG_SL_E_clISA_SA_SB_SB_EEDaSZ_S10_SG_SL_EUlSZ_E_NS1_11comp_targetILNS1_3genE2ELNS1_11target_archE906ELNS1_3gpuE6ELNS1_3repE0EEENS1_47radix_sort_onesweep_sort_config_static_selectorELNS0_4arch9wavefront6targetE0EEEvSG_
; %bb.0:
	.section	.rodata,"a",@progbits
	.p2align	6, 0x0
	.amdhsa_kernel _ZN7rocprim17ROCPRIM_400000_NS6detail17trampoline_kernelINS0_14default_configENS1_35radix_sort_onesweep_config_selectorIsNS0_10empty_typeEEEZZNS1_29radix_sort_onesweep_iterationIS3_Lb0EPKsPsPS5_SB_mNS0_19identity_decomposerENS1_16block_id_wrapperIjLb1EEEEE10hipError_tT1_PNSt15iterator_traitsISG_E10value_typeET2_T3_PNSH_ISM_E10value_typeET4_T5_PSR_SS_PNS1_23onesweep_lookback_stateEbbT6_jjT7_P12ihipStream_tbENKUlT_T0_SG_SL_E_clISA_SA_SB_SB_EEDaSZ_S10_SG_SL_EUlSZ_E_NS1_11comp_targetILNS1_3genE2ELNS1_11target_archE906ELNS1_3gpuE6ELNS1_3repE0EEENS1_47radix_sort_onesweep_sort_config_static_selectorELNS0_4arch9wavefront6targetE0EEEvSG_
		.amdhsa_group_segment_fixed_size 0
		.amdhsa_private_segment_fixed_size 0
		.amdhsa_kernarg_size 88
		.amdhsa_user_sgpr_count 2
		.amdhsa_user_sgpr_dispatch_ptr 0
		.amdhsa_user_sgpr_queue_ptr 0
		.amdhsa_user_sgpr_kernarg_segment_ptr 1
		.amdhsa_user_sgpr_dispatch_id 0
		.amdhsa_user_sgpr_kernarg_preload_length 0
		.amdhsa_user_sgpr_kernarg_preload_offset 0
		.amdhsa_user_sgpr_private_segment_size 0
		.amdhsa_wavefront_size32 1
		.amdhsa_uses_dynamic_stack 0
		.amdhsa_enable_private_segment 0
		.amdhsa_system_sgpr_workgroup_id_x 1
		.amdhsa_system_sgpr_workgroup_id_y 0
		.amdhsa_system_sgpr_workgroup_id_z 0
		.amdhsa_system_sgpr_workgroup_info 0
		.amdhsa_system_vgpr_workitem_id 0
		.amdhsa_next_free_vgpr 1
		.amdhsa_next_free_sgpr 1
		.amdhsa_named_barrier_count 0
		.amdhsa_reserve_vcc 0
		.amdhsa_float_round_mode_32 0
		.amdhsa_float_round_mode_16_64 0
		.amdhsa_float_denorm_mode_32 3
		.amdhsa_float_denorm_mode_16_64 3
		.amdhsa_fp16_overflow 0
		.amdhsa_memory_ordered 1
		.amdhsa_forward_progress 1
		.amdhsa_inst_pref_size 0
		.amdhsa_round_robin_scheduling 0
		.amdhsa_exception_fp_ieee_invalid_op 0
		.amdhsa_exception_fp_denorm_src 0
		.amdhsa_exception_fp_ieee_div_zero 0
		.amdhsa_exception_fp_ieee_overflow 0
		.amdhsa_exception_fp_ieee_underflow 0
		.amdhsa_exception_fp_ieee_inexact 0
		.amdhsa_exception_int_div_zero 0
	.end_amdhsa_kernel
	.section	.text._ZN7rocprim17ROCPRIM_400000_NS6detail17trampoline_kernelINS0_14default_configENS1_35radix_sort_onesweep_config_selectorIsNS0_10empty_typeEEEZZNS1_29radix_sort_onesweep_iterationIS3_Lb0EPKsPsPS5_SB_mNS0_19identity_decomposerENS1_16block_id_wrapperIjLb1EEEEE10hipError_tT1_PNSt15iterator_traitsISG_E10value_typeET2_T3_PNSH_ISM_E10value_typeET4_T5_PSR_SS_PNS1_23onesweep_lookback_stateEbbT6_jjT7_P12ihipStream_tbENKUlT_T0_SG_SL_E_clISA_SA_SB_SB_EEDaSZ_S10_SG_SL_EUlSZ_E_NS1_11comp_targetILNS1_3genE2ELNS1_11target_archE906ELNS1_3gpuE6ELNS1_3repE0EEENS1_47radix_sort_onesweep_sort_config_static_selectorELNS0_4arch9wavefront6targetE0EEEvSG_,"axG",@progbits,_ZN7rocprim17ROCPRIM_400000_NS6detail17trampoline_kernelINS0_14default_configENS1_35radix_sort_onesweep_config_selectorIsNS0_10empty_typeEEEZZNS1_29radix_sort_onesweep_iterationIS3_Lb0EPKsPsPS5_SB_mNS0_19identity_decomposerENS1_16block_id_wrapperIjLb1EEEEE10hipError_tT1_PNSt15iterator_traitsISG_E10value_typeET2_T3_PNSH_ISM_E10value_typeET4_T5_PSR_SS_PNS1_23onesweep_lookback_stateEbbT6_jjT7_P12ihipStream_tbENKUlT_T0_SG_SL_E_clISA_SA_SB_SB_EEDaSZ_S10_SG_SL_EUlSZ_E_NS1_11comp_targetILNS1_3genE2ELNS1_11target_archE906ELNS1_3gpuE6ELNS1_3repE0EEENS1_47radix_sort_onesweep_sort_config_static_selectorELNS0_4arch9wavefront6targetE0EEEvSG_,comdat
.Lfunc_end725:
	.size	_ZN7rocprim17ROCPRIM_400000_NS6detail17trampoline_kernelINS0_14default_configENS1_35radix_sort_onesweep_config_selectorIsNS0_10empty_typeEEEZZNS1_29radix_sort_onesweep_iterationIS3_Lb0EPKsPsPS5_SB_mNS0_19identity_decomposerENS1_16block_id_wrapperIjLb1EEEEE10hipError_tT1_PNSt15iterator_traitsISG_E10value_typeET2_T3_PNSH_ISM_E10value_typeET4_T5_PSR_SS_PNS1_23onesweep_lookback_stateEbbT6_jjT7_P12ihipStream_tbENKUlT_T0_SG_SL_E_clISA_SA_SB_SB_EEDaSZ_S10_SG_SL_EUlSZ_E_NS1_11comp_targetILNS1_3genE2ELNS1_11target_archE906ELNS1_3gpuE6ELNS1_3repE0EEENS1_47radix_sort_onesweep_sort_config_static_selectorELNS0_4arch9wavefront6targetE0EEEvSG_, .Lfunc_end725-_ZN7rocprim17ROCPRIM_400000_NS6detail17trampoline_kernelINS0_14default_configENS1_35radix_sort_onesweep_config_selectorIsNS0_10empty_typeEEEZZNS1_29radix_sort_onesweep_iterationIS3_Lb0EPKsPsPS5_SB_mNS0_19identity_decomposerENS1_16block_id_wrapperIjLb1EEEEE10hipError_tT1_PNSt15iterator_traitsISG_E10value_typeET2_T3_PNSH_ISM_E10value_typeET4_T5_PSR_SS_PNS1_23onesweep_lookback_stateEbbT6_jjT7_P12ihipStream_tbENKUlT_T0_SG_SL_E_clISA_SA_SB_SB_EEDaSZ_S10_SG_SL_EUlSZ_E_NS1_11comp_targetILNS1_3genE2ELNS1_11target_archE906ELNS1_3gpuE6ELNS1_3repE0EEENS1_47radix_sort_onesweep_sort_config_static_selectorELNS0_4arch9wavefront6targetE0EEEvSG_
                                        ; -- End function
	.set _ZN7rocprim17ROCPRIM_400000_NS6detail17trampoline_kernelINS0_14default_configENS1_35radix_sort_onesweep_config_selectorIsNS0_10empty_typeEEEZZNS1_29radix_sort_onesweep_iterationIS3_Lb0EPKsPsPS5_SB_mNS0_19identity_decomposerENS1_16block_id_wrapperIjLb1EEEEE10hipError_tT1_PNSt15iterator_traitsISG_E10value_typeET2_T3_PNSH_ISM_E10value_typeET4_T5_PSR_SS_PNS1_23onesweep_lookback_stateEbbT6_jjT7_P12ihipStream_tbENKUlT_T0_SG_SL_E_clISA_SA_SB_SB_EEDaSZ_S10_SG_SL_EUlSZ_E_NS1_11comp_targetILNS1_3genE2ELNS1_11target_archE906ELNS1_3gpuE6ELNS1_3repE0EEENS1_47radix_sort_onesweep_sort_config_static_selectorELNS0_4arch9wavefront6targetE0EEEvSG_.num_vgpr, 0
	.set _ZN7rocprim17ROCPRIM_400000_NS6detail17trampoline_kernelINS0_14default_configENS1_35radix_sort_onesweep_config_selectorIsNS0_10empty_typeEEEZZNS1_29radix_sort_onesweep_iterationIS3_Lb0EPKsPsPS5_SB_mNS0_19identity_decomposerENS1_16block_id_wrapperIjLb1EEEEE10hipError_tT1_PNSt15iterator_traitsISG_E10value_typeET2_T3_PNSH_ISM_E10value_typeET4_T5_PSR_SS_PNS1_23onesweep_lookback_stateEbbT6_jjT7_P12ihipStream_tbENKUlT_T0_SG_SL_E_clISA_SA_SB_SB_EEDaSZ_S10_SG_SL_EUlSZ_E_NS1_11comp_targetILNS1_3genE2ELNS1_11target_archE906ELNS1_3gpuE6ELNS1_3repE0EEENS1_47radix_sort_onesweep_sort_config_static_selectorELNS0_4arch9wavefront6targetE0EEEvSG_.num_agpr, 0
	.set _ZN7rocprim17ROCPRIM_400000_NS6detail17trampoline_kernelINS0_14default_configENS1_35radix_sort_onesweep_config_selectorIsNS0_10empty_typeEEEZZNS1_29radix_sort_onesweep_iterationIS3_Lb0EPKsPsPS5_SB_mNS0_19identity_decomposerENS1_16block_id_wrapperIjLb1EEEEE10hipError_tT1_PNSt15iterator_traitsISG_E10value_typeET2_T3_PNSH_ISM_E10value_typeET4_T5_PSR_SS_PNS1_23onesweep_lookback_stateEbbT6_jjT7_P12ihipStream_tbENKUlT_T0_SG_SL_E_clISA_SA_SB_SB_EEDaSZ_S10_SG_SL_EUlSZ_E_NS1_11comp_targetILNS1_3genE2ELNS1_11target_archE906ELNS1_3gpuE6ELNS1_3repE0EEENS1_47radix_sort_onesweep_sort_config_static_selectorELNS0_4arch9wavefront6targetE0EEEvSG_.numbered_sgpr, 0
	.set _ZN7rocprim17ROCPRIM_400000_NS6detail17trampoline_kernelINS0_14default_configENS1_35radix_sort_onesweep_config_selectorIsNS0_10empty_typeEEEZZNS1_29radix_sort_onesweep_iterationIS3_Lb0EPKsPsPS5_SB_mNS0_19identity_decomposerENS1_16block_id_wrapperIjLb1EEEEE10hipError_tT1_PNSt15iterator_traitsISG_E10value_typeET2_T3_PNSH_ISM_E10value_typeET4_T5_PSR_SS_PNS1_23onesweep_lookback_stateEbbT6_jjT7_P12ihipStream_tbENKUlT_T0_SG_SL_E_clISA_SA_SB_SB_EEDaSZ_S10_SG_SL_EUlSZ_E_NS1_11comp_targetILNS1_3genE2ELNS1_11target_archE906ELNS1_3gpuE6ELNS1_3repE0EEENS1_47radix_sort_onesweep_sort_config_static_selectorELNS0_4arch9wavefront6targetE0EEEvSG_.num_named_barrier, 0
	.set _ZN7rocprim17ROCPRIM_400000_NS6detail17trampoline_kernelINS0_14default_configENS1_35radix_sort_onesweep_config_selectorIsNS0_10empty_typeEEEZZNS1_29radix_sort_onesweep_iterationIS3_Lb0EPKsPsPS5_SB_mNS0_19identity_decomposerENS1_16block_id_wrapperIjLb1EEEEE10hipError_tT1_PNSt15iterator_traitsISG_E10value_typeET2_T3_PNSH_ISM_E10value_typeET4_T5_PSR_SS_PNS1_23onesweep_lookback_stateEbbT6_jjT7_P12ihipStream_tbENKUlT_T0_SG_SL_E_clISA_SA_SB_SB_EEDaSZ_S10_SG_SL_EUlSZ_E_NS1_11comp_targetILNS1_3genE2ELNS1_11target_archE906ELNS1_3gpuE6ELNS1_3repE0EEENS1_47radix_sort_onesweep_sort_config_static_selectorELNS0_4arch9wavefront6targetE0EEEvSG_.private_seg_size, 0
	.set _ZN7rocprim17ROCPRIM_400000_NS6detail17trampoline_kernelINS0_14default_configENS1_35radix_sort_onesweep_config_selectorIsNS0_10empty_typeEEEZZNS1_29radix_sort_onesweep_iterationIS3_Lb0EPKsPsPS5_SB_mNS0_19identity_decomposerENS1_16block_id_wrapperIjLb1EEEEE10hipError_tT1_PNSt15iterator_traitsISG_E10value_typeET2_T3_PNSH_ISM_E10value_typeET4_T5_PSR_SS_PNS1_23onesweep_lookback_stateEbbT6_jjT7_P12ihipStream_tbENKUlT_T0_SG_SL_E_clISA_SA_SB_SB_EEDaSZ_S10_SG_SL_EUlSZ_E_NS1_11comp_targetILNS1_3genE2ELNS1_11target_archE906ELNS1_3gpuE6ELNS1_3repE0EEENS1_47radix_sort_onesweep_sort_config_static_selectorELNS0_4arch9wavefront6targetE0EEEvSG_.uses_vcc, 0
	.set _ZN7rocprim17ROCPRIM_400000_NS6detail17trampoline_kernelINS0_14default_configENS1_35radix_sort_onesweep_config_selectorIsNS0_10empty_typeEEEZZNS1_29radix_sort_onesweep_iterationIS3_Lb0EPKsPsPS5_SB_mNS0_19identity_decomposerENS1_16block_id_wrapperIjLb1EEEEE10hipError_tT1_PNSt15iterator_traitsISG_E10value_typeET2_T3_PNSH_ISM_E10value_typeET4_T5_PSR_SS_PNS1_23onesweep_lookback_stateEbbT6_jjT7_P12ihipStream_tbENKUlT_T0_SG_SL_E_clISA_SA_SB_SB_EEDaSZ_S10_SG_SL_EUlSZ_E_NS1_11comp_targetILNS1_3genE2ELNS1_11target_archE906ELNS1_3gpuE6ELNS1_3repE0EEENS1_47radix_sort_onesweep_sort_config_static_selectorELNS0_4arch9wavefront6targetE0EEEvSG_.uses_flat_scratch, 0
	.set _ZN7rocprim17ROCPRIM_400000_NS6detail17trampoline_kernelINS0_14default_configENS1_35radix_sort_onesweep_config_selectorIsNS0_10empty_typeEEEZZNS1_29radix_sort_onesweep_iterationIS3_Lb0EPKsPsPS5_SB_mNS0_19identity_decomposerENS1_16block_id_wrapperIjLb1EEEEE10hipError_tT1_PNSt15iterator_traitsISG_E10value_typeET2_T3_PNSH_ISM_E10value_typeET4_T5_PSR_SS_PNS1_23onesweep_lookback_stateEbbT6_jjT7_P12ihipStream_tbENKUlT_T0_SG_SL_E_clISA_SA_SB_SB_EEDaSZ_S10_SG_SL_EUlSZ_E_NS1_11comp_targetILNS1_3genE2ELNS1_11target_archE906ELNS1_3gpuE6ELNS1_3repE0EEENS1_47radix_sort_onesweep_sort_config_static_selectorELNS0_4arch9wavefront6targetE0EEEvSG_.has_dyn_sized_stack, 0
	.set _ZN7rocprim17ROCPRIM_400000_NS6detail17trampoline_kernelINS0_14default_configENS1_35radix_sort_onesweep_config_selectorIsNS0_10empty_typeEEEZZNS1_29radix_sort_onesweep_iterationIS3_Lb0EPKsPsPS5_SB_mNS0_19identity_decomposerENS1_16block_id_wrapperIjLb1EEEEE10hipError_tT1_PNSt15iterator_traitsISG_E10value_typeET2_T3_PNSH_ISM_E10value_typeET4_T5_PSR_SS_PNS1_23onesweep_lookback_stateEbbT6_jjT7_P12ihipStream_tbENKUlT_T0_SG_SL_E_clISA_SA_SB_SB_EEDaSZ_S10_SG_SL_EUlSZ_E_NS1_11comp_targetILNS1_3genE2ELNS1_11target_archE906ELNS1_3gpuE6ELNS1_3repE0EEENS1_47radix_sort_onesweep_sort_config_static_selectorELNS0_4arch9wavefront6targetE0EEEvSG_.has_recursion, 0
	.set _ZN7rocprim17ROCPRIM_400000_NS6detail17trampoline_kernelINS0_14default_configENS1_35radix_sort_onesweep_config_selectorIsNS0_10empty_typeEEEZZNS1_29radix_sort_onesweep_iterationIS3_Lb0EPKsPsPS5_SB_mNS0_19identity_decomposerENS1_16block_id_wrapperIjLb1EEEEE10hipError_tT1_PNSt15iterator_traitsISG_E10value_typeET2_T3_PNSH_ISM_E10value_typeET4_T5_PSR_SS_PNS1_23onesweep_lookback_stateEbbT6_jjT7_P12ihipStream_tbENKUlT_T0_SG_SL_E_clISA_SA_SB_SB_EEDaSZ_S10_SG_SL_EUlSZ_E_NS1_11comp_targetILNS1_3genE2ELNS1_11target_archE906ELNS1_3gpuE6ELNS1_3repE0EEENS1_47radix_sort_onesweep_sort_config_static_selectorELNS0_4arch9wavefront6targetE0EEEvSG_.has_indirect_call, 0
	.section	.AMDGPU.csdata,"",@progbits
; Kernel info:
; codeLenInByte = 0
; TotalNumSgprs: 0
; NumVgprs: 0
; ScratchSize: 0
; MemoryBound: 0
; FloatMode: 240
; IeeeMode: 1
; LDSByteSize: 0 bytes/workgroup (compile time only)
; SGPRBlocks: 0
; VGPRBlocks: 0
; NumSGPRsForWavesPerEU: 1
; NumVGPRsForWavesPerEU: 1
; NamedBarCnt: 0
; Occupancy: 16
; WaveLimiterHint : 0
; COMPUTE_PGM_RSRC2:SCRATCH_EN: 0
; COMPUTE_PGM_RSRC2:USER_SGPR: 2
; COMPUTE_PGM_RSRC2:TRAP_HANDLER: 0
; COMPUTE_PGM_RSRC2:TGID_X_EN: 1
; COMPUTE_PGM_RSRC2:TGID_Y_EN: 0
; COMPUTE_PGM_RSRC2:TGID_Z_EN: 0
; COMPUTE_PGM_RSRC2:TIDIG_COMP_CNT: 0
	.section	.text._ZN7rocprim17ROCPRIM_400000_NS6detail17trampoline_kernelINS0_14default_configENS1_35radix_sort_onesweep_config_selectorIsNS0_10empty_typeEEEZZNS1_29radix_sort_onesweep_iterationIS3_Lb0EPKsPsPS5_SB_mNS0_19identity_decomposerENS1_16block_id_wrapperIjLb1EEEEE10hipError_tT1_PNSt15iterator_traitsISG_E10value_typeET2_T3_PNSH_ISM_E10value_typeET4_T5_PSR_SS_PNS1_23onesweep_lookback_stateEbbT6_jjT7_P12ihipStream_tbENKUlT_T0_SG_SL_E_clISA_SA_SB_SB_EEDaSZ_S10_SG_SL_EUlSZ_E_NS1_11comp_targetILNS1_3genE4ELNS1_11target_archE910ELNS1_3gpuE8ELNS1_3repE0EEENS1_47radix_sort_onesweep_sort_config_static_selectorELNS0_4arch9wavefront6targetE0EEEvSG_,"axG",@progbits,_ZN7rocprim17ROCPRIM_400000_NS6detail17trampoline_kernelINS0_14default_configENS1_35radix_sort_onesweep_config_selectorIsNS0_10empty_typeEEEZZNS1_29radix_sort_onesweep_iterationIS3_Lb0EPKsPsPS5_SB_mNS0_19identity_decomposerENS1_16block_id_wrapperIjLb1EEEEE10hipError_tT1_PNSt15iterator_traitsISG_E10value_typeET2_T3_PNSH_ISM_E10value_typeET4_T5_PSR_SS_PNS1_23onesweep_lookback_stateEbbT6_jjT7_P12ihipStream_tbENKUlT_T0_SG_SL_E_clISA_SA_SB_SB_EEDaSZ_S10_SG_SL_EUlSZ_E_NS1_11comp_targetILNS1_3genE4ELNS1_11target_archE910ELNS1_3gpuE8ELNS1_3repE0EEENS1_47radix_sort_onesweep_sort_config_static_selectorELNS0_4arch9wavefront6targetE0EEEvSG_,comdat
	.protected	_ZN7rocprim17ROCPRIM_400000_NS6detail17trampoline_kernelINS0_14default_configENS1_35radix_sort_onesweep_config_selectorIsNS0_10empty_typeEEEZZNS1_29radix_sort_onesweep_iterationIS3_Lb0EPKsPsPS5_SB_mNS0_19identity_decomposerENS1_16block_id_wrapperIjLb1EEEEE10hipError_tT1_PNSt15iterator_traitsISG_E10value_typeET2_T3_PNSH_ISM_E10value_typeET4_T5_PSR_SS_PNS1_23onesweep_lookback_stateEbbT6_jjT7_P12ihipStream_tbENKUlT_T0_SG_SL_E_clISA_SA_SB_SB_EEDaSZ_S10_SG_SL_EUlSZ_E_NS1_11comp_targetILNS1_3genE4ELNS1_11target_archE910ELNS1_3gpuE8ELNS1_3repE0EEENS1_47radix_sort_onesweep_sort_config_static_selectorELNS0_4arch9wavefront6targetE0EEEvSG_ ; -- Begin function _ZN7rocprim17ROCPRIM_400000_NS6detail17trampoline_kernelINS0_14default_configENS1_35radix_sort_onesweep_config_selectorIsNS0_10empty_typeEEEZZNS1_29radix_sort_onesweep_iterationIS3_Lb0EPKsPsPS5_SB_mNS0_19identity_decomposerENS1_16block_id_wrapperIjLb1EEEEE10hipError_tT1_PNSt15iterator_traitsISG_E10value_typeET2_T3_PNSH_ISM_E10value_typeET4_T5_PSR_SS_PNS1_23onesweep_lookback_stateEbbT6_jjT7_P12ihipStream_tbENKUlT_T0_SG_SL_E_clISA_SA_SB_SB_EEDaSZ_S10_SG_SL_EUlSZ_E_NS1_11comp_targetILNS1_3genE4ELNS1_11target_archE910ELNS1_3gpuE8ELNS1_3repE0EEENS1_47radix_sort_onesweep_sort_config_static_selectorELNS0_4arch9wavefront6targetE0EEEvSG_
	.globl	_ZN7rocprim17ROCPRIM_400000_NS6detail17trampoline_kernelINS0_14default_configENS1_35radix_sort_onesweep_config_selectorIsNS0_10empty_typeEEEZZNS1_29radix_sort_onesweep_iterationIS3_Lb0EPKsPsPS5_SB_mNS0_19identity_decomposerENS1_16block_id_wrapperIjLb1EEEEE10hipError_tT1_PNSt15iterator_traitsISG_E10value_typeET2_T3_PNSH_ISM_E10value_typeET4_T5_PSR_SS_PNS1_23onesweep_lookback_stateEbbT6_jjT7_P12ihipStream_tbENKUlT_T0_SG_SL_E_clISA_SA_SB_SB_EEDaSZ_S10_SG_SL_EUlSZ_E_NS1_11comp_targetILNS1_3genE4ELNS1_11target_archE910ELNS1_3gpuE8ELNS1_3repE0EEENS1_47radix_sort_onesweep_sort_config_static_selectorELNS0_4arch9wavefront6targetE0EEEvSG_
	.p2align	8
	.type	_ZN7rocprim17ROCPRIM_400000_NS6detail17trampoline_kernelINS0_14default_configENS1_35radix_sort_onesweep_config_selectorIsNS0_10empty_typeEEEZZNS1_29radix_sort_onesweep_iterationIS3_Lb0EPKsPsPS5_SB_mNS0_19identity_decomposerENS1_16block_id_wrapperIjLb1EEEEE10hipError_tT1_PNSt15iterator_traitsISG_E10value_typeET2_T3_PNSH_ISM_E10value_typeET4_T5_PSR_SS_PNS1_23onesweep_lookback_stateEbbT6_jjT7_P12ihipStream_tbENKUlT_T0_SG_SL_E_clISA_SA_SB_SB_EEDaSZ_S10_SG_SL_EUlSZ_E_NS1_11comp_targetILNS1_3genE4ELNS1_11target_archE910ELNS1_3gpuE8ELNS1_3repE0EEENS1_47radix_sort_onesweep_sort_config_static_selectorELNS0_4arch9wavefront6targetE0EEEvSG_,@function
_ZN7rocprim17ROCPRIM_400000_NS6detail17trampoline_kernelINS0_14default_configENS1_35radix_sort_onesweep_config_selectorIsNS0_10empty_typeEEEZZNS1_29radix_sort_onesweep_iterationIS3_Lb0EPKsPsPS5_SB_mNS0_19identity_decomposerENS1_16block_id_wrapperIjLb1EEEEE10hipError_tT1_PNSt15iterator_traitsISG_E10value_typeET2_T3_PNSH_ISM_E10value_typeET4_T5_PSR_SS_PNS1_23onesweep_lookback_stateEbbT6_jjT7_P12ihipStream_tbENKUlT_T0_SG_SL_E_clISA_SA_SB_SB_EEDaSZ_S10_SG_SL_EUlSZ_E_NS1_11comp_targetILNS1_3genE4ELNS1_11target_archE910ELNS1_3gpuE8ELNS1_3repE0EEENS1_47radix_sort_onesweep_sort_config_static_selectorELNS0_4arch9wavefront6targetE0EEEvSG_: ; @_ZN7rocprim17ROCPRIM_400000_NS6detail17trampoline_kernelINS0_14default_configENS1_35radix_sort_onesweep_config_selectorIsNS0_10empty_typeEEEZZNS1_29radix_sort_onesweep_iterationIS3_Lb0EPKsPsPS5_SB_mNS0_19identity_decomposerENS1_16block_id_wrapperIjLb1EEEEE10hipError_tT1_PNSt15iterator_traitsISG_E10value_typeET2_T3_PNSH_ISM_E10value_typeET4_T5_PSR_SS_PNS1_23onesweep_lookback_stateEbbT6_jjT7_P12ihipStream_tbENKUlT_T0_SG_SL_E_clISA_SA_SB_SB_EEDaSZ_S10_SG_SL_EUlSZ_E_NS1_11comp_targetILNS1_3genE4ELNS1_11target_archE910ELNS1_3gpuE8ELNS1_3repE0EEENS1_47radix_sort_onesweep_sort_config_static_selectorELNS0_4arch9wavefront6targetE0EEEvSG_
; %bb.0:
	.section	.rodata,"a",@progbits
	.p2align	6, 0x0
	.amdhsa_kernel _ZN7rocprim17ROCPRIM_400000_NS6detail17trampoline_kernelINS0_14default_configENS1_35radix_sort_onesweep_config_selectorIsNS0_10empty_typeEEEZZNS1_29radix_sort_onesweep_iterationIS3_Lb0EPKsPsPS5_SB_mNS0_19identity_decomposerENS1_16block_id_wrapperIjLb1EEEEE10hipError_tT1_PNSt15iterator_traitsISG_E10value_typeET2_T3_PNSH_ISM_E10value_typeET4_T5_PSR_SS_PNS1_23onesweep_lookback_stateEbbT6_jjT7_P12ihipStream_tbENKUlT_T0_SG_SL_E_clISA_SA_SB_SB_EEDaSZ_S10_SG_SL_EUlSZ_E_NS1_11comp_targetILNS1_3genE4ELNS1_11target_archE910ELNS1_3gpuE8ELNS1_3repE0EEENS1_47radix_sort_onesweep_sort_config_static_selectorELNS0_4arch9wavefront6targetE0EEEvSG_
		.amdhsa_group_segment_fixed_size 0
		.amdhsa_private_segment_fixed_size 0
		.amdhsa_kernarg_size 88
		.amdhsa_user_sgpr_count 2
		.amdhsa_user_sgpr_dispatch_ptr 0
		.amdhsa_user_sgpr_queue_ptr 0
		.amdhsa_user_sgpr_kernarg_segment_ptr 1
		.amdhsa_user_sgpr_dispatch_id 0
		.amdhsa_user_sgpr_kernarg_preload_length 0
		.amdhsa_user_sgpr_kernarg_preload_offset 0
		.amdhsa_user_sgpr_private_segment_size 0
		.amdhsa_wavefront_size32 1
		.amdhsa_uses_dynamic_stack 0
		.amdhsa_enable_private_segment 0
		.amdhsa_system_sgpr_workgroup_id_x 1
		.amdhsa_system_sgpr_workgroup_id_y 0
		.amdhsa_system_sgpr_workgroup_id_z 0
		.amdhsa_system_sgpr_workgroup_info 0
		.amdhsa_system_vgpr_workitem_id 0
		.amdhsa_next_free_vgpr 1
		.amdhsa_next_free_sgpr 1
		.amdhsa_named_barrier_count 0
		.amdhsa_reserve_vcc 0
		.amdhsa_float_round_mode_32 0
		.amdhsa_float_round_mode_16_64 0
		.amdhsa_float_denorm_mode_32 3
		.amdhsa_float_denorm_mode_16_64 3
		.amdhsa_fp16_overflow 0
		.amdhsa_memory_ordered 1
		.amdhsa_forward_progress 1
		.amdhsa_inst_pref_size 0
		.amdhsa_round_robin_scheduling 0
		.amdhsa_exception_fp_ieee_invalid_op 0
		.amdhsa_exception_fp_denorm_src 0
		.amdhsa_exception_fp_ieee_div_zero 0
		.amdhsa_exception_fp_ieee_overflow 0
		.amdhsa_exception_fp_ieee_underflow 0
		.amdhsa_exception_fp_ieee_inexact 0
		.amdhsa_exception_int_div_zero 0
	.end_amdhsa_kernel
	.section	.text._ZN7rocprim17ROCPRIM_400000_NS6detail17trampoline_kernelINS0_14default_configENS1_35radix_sort_onesweep_config_selectorIsNS0_10empty_typeEEEZZNS1_29radix_sort_onesweep_iterationIS3_Lb0EPKsPsPS5_SB_mNS0_19identity_decomposerENS1_16block_id_wrapperIjLb1EEEEE10hipError_tT1_PNSt15iterator_traitsISG_E10value_typeET2_T3_PNSH_ISM_E10value_typeET4_T5_PSR_SS_PNS1_23onesweep_lookback_stateEbbT6_jjT7_P12ihipStream_tbENKUlT_T0_SG_SL_E_clISA_SA_SB_SB_EEDaSZ_S10_SG_SL_EUlSZ_E_NS1_11comp_targetILNS1_3genE4ELNS1_11target_archE910ELNS1_3gpuE8ELNS1_3repE0EEENS1_47radix_sort_onesweep_sort_config_static_selectorELNS0_4arch9wavefront6targetE0EEEvSG_,"axG",@progbits,_ZN7rocprim17ROCPRIM_400000_NS6detail17trampoline_kernelINS0_14default_configENS1_35radix_sort_onesweep_config_selectorIsNS0_10empty_typeEEEZZNS1_29radix_sort_onesweep_iterationIS3_Lb0EPKsPsPS5_SB_mNS0_19identity_decomposerENS1_16block_id_wrapperIjLb1EEEEE10hipError_tT1_PNSt15iterator_traitsISG_E10value_typeET2_T3_PNSH_ISM_E10value_typeET4_T5_PSR_SS_PNS1_23onesweep_lookback_stateEbbT6_jjT7_P12ihipStream_tbENKUlT_T0_SG_SL_E_clISA_SA_SB_SB_EEDaSZ_S10_SG_SL_EUlSZ_E_NS1_11comp_targetILNS1_3genE4ELNS1_11target_archE910ELNS1_3gpuE8ELNS1_3repE0EEENS1_47radix_sort_onesweep_sort_config_static_selectorELNS0_4arch9wavefront6targetE0EEEvSG_,comdat
.Lfunc_end726:
	.size	_ZN7rocprim17ROCPRIM_400000_NS6detail17trampoline_kernelINS0_14default_configENS1_35radix_sort_onesweep_config_selectorIsNS0_10empty_typeEEEZZNS1_29radix_sort_onesweep_iterationIS3_Lb0EPKsPsPS5_SB_mNS0_19identity_decomposerENS1_16block_id_wrapperIjLb1EEEEE10hipError_tT1_PNSt15iterator_traitsISG_E10value_typeET2_T3_PNSH_ISM_E10value_typeET4_T5_PSR_SS_PNS1_23onesweep_lookback_stateEbbT6_jjT7_P12ihipStream_tbENKUlT_T0_SG_SL_E_clISA_SA_SB_SB_EEDaSZ_S10_SG_SL_EUlSZ_E_NS1_11comp_targetILNS1_3genE4ELNS1_11target_archE910ELNS1_3gpuE8ELNS1_3repE0EEENS1_47radix_sort_onesweep_sort_config_static_selectorELNS0_4arch9wavefront6targetE0EEEvSG_, .Lfunc_end726-_ZN7rocprim17ROCPRIM_400000_NS6detail17trampoline_kernelINS0_14default_configENS1_35radix_sort_onesweep_config_selectorIsNS0_10empty_typeEEEZZNS1_29radix_sort_onesweep_iterationIS3_Lb0EPKsPsPS5_SB_mNS0_19identity_decomposerENS1_16block_id_wrapperIjLb1EEEEE10hipError_tT1_PNSt15iterator_traitsISG_E10value_typeET2_T3_PNSH_ISM_E10value_typeET4_T5_PSR_SS_PNS1_23onesweep_lookback_stateEbbT6_jjT7_P12ihipStream_tbENKUlT_T0_SG_SL_E_clISA_SA_SB_SB_EEDaSZ_S10_SG_SL_EUlSZ_E_NS1_11comp_targetILNS1_3genE4ELNS1_11target_archE910ELNS1_3gpuE8ELNS1_3repE0EEENS1_47radix_sort_onesweep_sort_config_static_selectorELNS0_4arch9wavefront6targetE0EEEvSG_
                                        ; -- End function
	.set _ZN7rocprim17ROCPRIM_400000_NS6detail17trampoline_kernelINS0_14default_configENS1_35radix_sort_onesweep_config_selectorIsNS0_10empty_typeEEEZZNS1_29radix_sort_onesweep_iterationIS3_Lb0EPKsPsPS5_SB_mNS0_19identity_decomposerENS1_16block_id_wrapperIjLb1EEEEE10hipError_tT1_PNSt15iterator_traitsISG_E10value_typeET2_T3_PNSH_ISM_E10value_typeET4_T5_PSR_SS_PNS1_23onesweep_lookback_stateEbbT6_jjT7_P12ihipStream_tbENKUlT_T0_SG_SL_E_clISA_SA_SB_SB_EEDaSZ_S10_SG_SL_EUlSZ_E_NS1_11comp_targetILNS1_3genE4ELNS1_11target_archE910ELNS1_3gpuE8ELNS1_3repE0EEENS1_47radix_sort_onesweep_sort_config_static_selectorELNS0_4arch9wavefront6targetE0EEEvSG_.num_vgpr, 0
	.set _ZN7rocprim17ROCPRIM_400000_NS6detail17trampoline_kernelINS0_14default_configENS1_35radix_sort_onesweep_config_selectorIsNS0_10empty_typeEEEZZNS1_29radix_sort_onesweep_iterationIS3_Lb0EPKsPsPS5_SB_mNS0_19identity_decomposerENS1_16block_id_wrapperIjLb1EEEEE10hipError_tT1_PNSt15iterator_traitsISG_E10value_typeET2_T3_PNSH_ISM_E10value_typeET4_T5_PSR_SS_PNS1_23onesweep_lookback_stateEbbT6_jjT7_P12ihipStream_tbENKUlT_T0_SG_SL_E_clISA_SA_SB_SB_EEDaSZ_S10_SG_SL_EUlSZ_E_NS1_11comp_targetILNS1_3genE4ELNS1_11target_archE910ELNS1_3gpuE8ELNS1_3repE0EEENS1_47radix_sort_onesweep_sort_config_static_selectorELNS0_4arch9wavefront6targetE0EEEvSG_.num_agpr, 0
	.set _ZN7rocprim17ROCPRIM_400000_NS6detail17trampoline_kernelINS0_14default_configENS1_35radix_sort_onesweep_config_selectorIsNS0_10empty_typeEEEZZNS1_29radix_sort_onesweep_iterationIS3_Lb0EPKsPsPS5_SB_mNS0_19identity_decomposerENS1_16block_id_wrapperIjLb1EEEEE10hipError_tT1_PNSt15iterator_traitsISG_E10value_typeET2_T3_PNSH_ISM_E10value_typeET4_T5_PSR_SS_PNS1_23onesweep_lookback_stateEbbT6_jjT7_P12ihipStream_tbENKUlT_T0_SG_SL_E_clISA_SA_SB_SB_EEDaSZ_S10_SG_SL_EUlSZ_E_NS1_11comp_targetILNS1_3genE4ELNS1_11target_archE910ELNS1_3gpuE8ELNS1_3repE0EEENS1_47radix_sort_onesweep_sort_config_static_selectorELNS0_4arch9wavefront6targetE0EEEvSG_.numbered_sgpr, 0
	.set _ZN7rocprim17ROCPRIM_400000_NS6detail17trampoline_kernelINS0_14default_configENS1_35radix_sort_onesweep_config_selectorIsNS0_10empty_typeEEEZZNS1_29radix_sort_onesweep_iterationIS3_Lb0EPKsPsPS5_SB_mNS0_19identity_decomposerENS1_16block_id_wrapperIjLb1EEEEE10hipError_tT1_PNSt15iterator_traitsISG_E10value_typeET2_T3_PNSH_ISM_E10value_typeET4_T5_PSR_SS_PNS1_23onesweep_lookback_stateEbbT6_jjT7_P12ihipStream_tbENKUlT_T0_SG_SL_E_clISA_SA_SB_SB_EEDaSZ_S10_SG_SL_EUlSZ_E_NS1_11comp_targetILNS1_3genE4ELNS1_11target_archE910ELNS1_3gpuE8ELNS1_3repE0EEENS1_47radix_sort_onesweep_sort_config_static_selectorELNS0_4arch9wavefront6targetE0EEEvSG_.num_named_barrier, 0
	.set _ZN7rocprim17ROCPRIM_400000_NS6detail17trampoline_kernelINS0_14default_configENS1_35radix_sort_onesweep_config_selectorIsNS0_10empty_typeEEEZZNS1_29radix_sort_onesweep_iterationIS3_Lb0EPKsPsPS5_SB_mNS0_19identity_decomposerENS1_16block_id_wrapperIjLb1EEEEE10hipError_tT1_PNSt15iterator_traitsISG_E10value_typeET2_T3_PNSH_ISM_E10value_typeET4_T5_PSR_SS_PNS1_23onesweep_lookback_stateEbbT6_jjT7_P12ihipStream_tbENKUlT_T0_SG_SL_E_clISA_SA_SB_SB_EEDaSZ_S10_SG_SL_EUlSZ_E_NS1_11comp_targetILNS1_3genE4ELNS1_11target_archE910ELNS1_3gpuE8ELNS1_3repE0EEENS1_47radix_sort_onesweep_sort_config_static_selectorELNS0_4arch9wavefront6targetE0EEEvSG_.private_seg_size, 0
	.set _ZN7rocprim17ROCPRIM_400000_NS6detail17trampoline_kernelINS0_14default_configENS1_35radix_sort_onesweep_config_selectorIsNS0_10empty_typeEEEZZNS1_29radix_sort_onesweep_iterationIS3_Lb0EPKsPsPS5_SB_mNS0_19identity_decomposerENS1_16block_id_wrapperIjLb1EEEEE10hipError_tT1_PNSt15iterator_traitsISG_E10value_typeET2_T3_PNSH_ISM_E10value_typeET4_T5_PSR_SS_PNS1_23onesweep_lookback_stateEbbT6_jjT7_P12ihipStream_tbENKUlT_T0_SG_SL_E_clISA_SA_SB_SB_EEDaSZ_S10_SG_SL_EUlSZ_E_NS1_11comp_targetILNS1_3genE4ELNS1_11target_archE910ELNS1_3gpuE8ELNS1_3repE0EEENS1_47radix_sort_onesweep_sort_config_static_selectorELNS0_4arch9wavefront6targetE0EEEvSG_.uses_vcc, 0
	.set _ZN7rocprim17ROCPRIM_400000_NS6detail17trampoline_kernelINS0_14default_configENS1_35radix_sort_onesweep_config_selectorIsNS0_10empty_typeEEEZZNS1_29radix_sort_onesweep_iterationIS3_Lb0EPKsPsPS5_SB_mNS0_19identity_decomposerENS1_16block_id_wrapperIjLb1EEEEE10hipError_tT1_PNSt15iterator_traitsISG_E10value_typeET2_T3_PNSH_ISM_E10value_typeET4_T5_PSR_SS_PNS1_23onesweep_lookback_stateEbbT6_jjT7_P12ihipStream_tbENKUlT_T0_SG_SL_E_clISA_SA_SB_SB_EEDaSZ_S10_SG_SL_EUlSZ_E_NS1_11comp_targetILNS1_3genE4ELNS1_11target_archE910ELNS1_3gpuE8ELNS1_3repE0EEENS1_47radix_sort_onesweep_sort_config_static_selectorELNS0_4arch9wavefront6targetE0EEEvSG_.uses_flat_scratch, 0
	.set _ZN7rocprim17ROCPRIM_400000_NS6detail17trampoline_kernelINS0_14default_configENS1_35radix_sort_onesweep_config_selectorIsNS0_10empty_typeEEEZZNS1_29radix_sort_onesweep_iterationIS3_Lb0EPKsPsPS5_SB_mNS0_19identity_decomposerENS1_16block_id_wrapperIjLb1EEEEE10hipError_tT1_PNSt15iterator_traitsISG_E10value_typeET2_T3_PNSH_ISM_E10value_typeET4_T5_PSR_SS_PNS1_23onesweep_lookback_stateEbbT6_jjT7_P12ihipStream_tbENKUlT_T0_SG_SL_E_clISA_SA_SB_SB_EEDaSZ_S10_SG_SL_EUlSZ_E_NS1_11comp_targetILNS1_3genE4ELNS1_11target_archE910ELNS1_3gpuE8ELNS1_3repE0EEENS1_47radix_sort_onesweep_sort_config_static_selectorELNS0_4arch9wavefront6targetE0EEEvSG_.has_dyn_sized_stack, 0
	.set _ZN7rocprim17ROCPRIM_400000_NS6detail17trampoline_kernelINS0_14default_configENS1_35radix_sort_onesweep_config_selectorIsNS0_10empty_typeEEEZZNS1_29radix_sort_onesweep_iterationIS3_Lb0EPKsPsPS5_SB_mNS0_19identity_decomposerENS1_16block_id_wrapperIjLb1EEEEE10hipError_tT1_PNSt15iterator_traitsISG_E10value_typeET2_T3_PNSH_ISM_E10value_typeET4_T5_PSR_SS_PNS1_23onesweep_lookback_stateEbbT6_jjT7_P12ihipStream_tbENKUlT_T0_SG_SL_E_clISA_SA_SB_SB_EEDaSZ_S10_SG_SL_EUlSZ_E_NS1_11comp_targetILNS1_3genE4ELNS1_11target_archE910ELNS1_3gpuE8ELNS1_3repE0EEENS1_47radix_sort_onesweep_sort_config_static_selectorELNS0_4arch9wavefront6targetE0EEEvSG_.has_recursion, 0
	.set _ZN7rocprim17ROCPRIM_400000_NS6detail17trampoline_kernelINS0_14default_configENS1_35radix_sort_onesweep_config_selectorIsNS0_10empty_typeEEEZZNS1_29radix_sort_onesweep_iterationIS3_Lb0EPKsPsPS5_SB_mNS0_19identity_decomposerENS1_16block_id_wrapperIjLb1EEEEE10hipError_tT1_PNSt15iterator_traitsISG_E10value_typeET2_T3_PNSH_ISM_E10value_typeET4_T5_PSR_SS_PNS1_23onesweep_lookback_stateEbbT6_jjT7_P12ihipStream_tbENKUlT_T0_SG_SL_E_clISA_SA_SB_SB_EEDaSZ_S10_SG_SL_EUlSZ_E_NS1_11comp_targetILNS1_3genE4ELNS1_11target_archE910ELNS1_3gpuE8ELNS1_3repE0EEENS1_47radix_sort_onesweep_sort_config_static_selectorELNS0_4arch9wavefront6targetE0EEEvSG_.has_indirect_call, 0
	.section	.AMDGPU.csdata,"",@progbits
; Kernel info:
; codeLenInByte = 0
; TotalNumSgprs: 0
; NumVgprs: 0
; ScratchSize: 0
; MemoryBound: 0
; FloatMode: 240
; IeeeMode: 1
; LDSByteSize: 0 bytes/workgroup (compile time only)
; SGPRBlocks: 0
; VGPRBlocks: 0
; NumSGPRsForWavesPerEU: 1
; NumVGPRsForWavesPerEU: 1
; NamedBarCnt: 0
; Occupancy: 16
; WaveLimiterHint : 0
; COMPUTE_PGM_RSRC2:SCRATCH_EN: 0
; COMPUTE_PGM_RSRC2:USER_SGPR: 2
; COMPUTE_PGM_RSRC2:TRAP_HANDLER: 0
; COMPUTE_PGM_RSRC2:TGID_X_EN: 1
; COMPUTE_PGM_RSRC2:TGID_Y_EN: 0
; COMPUTE_PGM_RSRC2:TGID_Z_EN: 0
; COMPUTE_PGM_RSRC2:TIDIG_COMP_CNT: 0
	.section	.text._ZN7rocprim17ROCPRIM_400000_NS6detail17trampoline_kernelINS0_14default_configENS1_35radix_sort_onesweep_config_selectorIsNS0_10empty_typeEEEZZNS1_29radix_sort_onesweep_iterationIS3_Lb0EPKsPsPS5_SB_mNS0_19identity_decomposerENS1_16block_id_wrapperIjLb1EEEEE10hipError_tT1_PNSt15iterator_traitsISG_E10value_typeET2_T3_PNSH_ISM_E10value_typeET4_T5_PSR_SS_PNS1_23onesweep_lookback_stateEbbT6_jjT7_P12ihipStream_tbENKUlT_T0_SG_SL_E_clISA_SA_SB_SB_EEDaSZ_S10_SG_SL_EUlSZ_E_NS1_11comp_targetILNS1_3genE3ELNS1_11target_archE908ELNS1_3gpuE7ELNS1_3repE0EEENS1_47radix_sort_onesweep_sort_config_static_selectorELNS0_4arch9wavefront6targetE0EEEvSG_,"axG",@progbits,_ZN7rocprim17ROCPRIM_400000_NS6detail17trampoline_kernelINS0_14default_configENS1_35radix_sort_onesweep_config_selectorIsNS0_10empty_typeEEEZZNS1_29radix_sort_onesweep_iterationIS3_Lb0EPKsPsPS5_SB_mNS0_19identity_decomposerENS1_16block_id_wrapperIjLb1EEEEE10hipError_tT1_PNSt15iterator_traitsISG_E10value_typeET2_T3_PNSH_ISM_E10value_typeET4_T5_PSR_SS_PNS1_23onesweep_lookback_stateEbbT6_jjT7_P12ihipStream_tbENKUlT_T0_SG_SL_E_clISA_SA_SB_SB_EEDaSZ_S10_SG_SL_EUlSZ_E_NS1_11comp_targetILNS1_3genE3ELNS1_11target_archE908ELNS1_3gpuE7ELNS1_3repE0EEENS1_47radix_sort_onesweep_sort_config_static_selectorELNS0_4arch9wavefront6targetE0EEEvSG_,comdat
	.protected	_ZN7rocprim17ROCPRIM_400000_NS6detail17trampoline_kernelINS0_14default_configENS1_35radix_sort_onesweep_config_selectorIsNS0_10empty_typeEEEZZNS1_29radix_sort_onesweep_iterationIS3_Lb0EPKsPsPS5_SB_mNS0_19identity_decomposerENS1_16block_id_wrapperIjLb1EEEEE10hipError_tT1_PNSt15iterator_traitsISG_E10value_typeET2_T3_PNSH_ISM_E10value_typeET4_T5_PSR_SS_PNS1_23onesweep_lookback_stateEbbT6_jjT7_P12ihipStream_tbENKUlT_T0_SG_SL_E_clISA_SA_SB_SB_EEDaSZ_S10_SG_SL_EUlSZ_E_NS1_11comp_targetILNS1_3genE3ELNS1_11target_archE908ELNS1_3gpuE7ELNS1_3repE0EEENS1_47radix_sort_onesweep_sort_config_static_selectorELNS0_4arch9wavefront6targetE0EEEvSG_ ; -- Begin function _ZN7rocprim17ROCPRIM_400000_NS6detail17trampoline_kernelINS0_14default_configENS1_35radix_sort_onesweep_config_selectorIsNS0_10empty_typeEEEZZNS1_29radix_sort_onesweep_iterationIS3_Lb0EPKsPsPS5_SB_mNS0_19identity_decomposerENS1_16block_id_wrapperIjLb1EEEEE10hipError_tT1_PNSt15iterator_traitsISG_E10value_typeET2_T3_PNSH_ISM_E10value_typeET4_T5_PSR_SS_PNS1_23onesweep_lookback_stateEbbT6_jjT7_P12ihipStream_tbENKUlT_T0_SG_SL_E_clISA_SA_SB_SB_EEDaSZ_S10_SG_SL_EUlSZ_E_NS1_11comp_targetILNS1_3genE3ELNS1_11target_archE908ELNS1_3gpuE7ELNS1_3repE0EEENS1_47radix_sort_onesweep_sort_config_static_selectorELNS0_4arch9wavefront6targetE0EEEvSG_
	.globl	_ZN7rocprim17ROCPRIM_400000_NS6detail17trampoline_kernelINS0_14default_configENS1_35radix_sort_onesweep_config_selectorIsNS0_10empty_typeEEEZZNS1_29radix_sort_onesweep_iterationIS3_Lb0EPKsPsPS5_SB_mNS0_19identity_decomposerENS1_16block_id_wrapperIjLb1EEEEE10hipError_tT1_PNSt15iterator_traitsISG_E10value_typeET2_T3_PNSH_ISM_E10value_typeET4_T5_PSR_SS_PNS1_23onesweep_lookback_stateEbbT6_jjT7_P12ihipStream_tbENKUlT_T0_SG_SL_E_clISA_SA_SB_SB_EEDaSZ_S10_SG_SL_EUlSZ_E_NS1_11comp_targetILNS1_3genE3ELNS1_11target_archE908ELNS1_3gpuE7ELNS1_3repE0EEENS1_47radix_sort_onesweep_sort_config_static_selectorELNS0_4arch9wavefront6targetE0EEEvSG_
	.p2align	8
	.type	_ZN7rocprim17ROCPRIM_400000_NS6detail17trampoline_kernelINS0_14default_configENS1_35radix_sort_onesweep_config_selectorIsNS0_10empty_typeEEEZZNS1_29radix_sort_onesweep_iterationIS3_Lb0EPKsPsPS5_SB_mNS0_19identity_decomposerENS1_16block_id_wrapperIjLb1EEEEE10hipError_tT1_PNSt15iterator_traitsISG_E10value_typeET2_T3_PNSH_ISM_E10value_typeET4_T5_PSR_SS_PNS1_23onesweep_lookback_stateEbbT6_jjT7_P12ihipStream_tbENKUlT_T0_SG_SL_E_clISA_SA_SB_SB_EEDaSZ_S10_SG_SL_EUlSZ_E_NS1_11comp_targetILNS1_3genE3ELNS1_11target_archE908ELNS1_3gpuE7ELNS1_3repE0EEENS1_47radix_sort_onesweep_sort_config_static_selectorELNS0_4arch9wavefront6targetE0EEEvSG_,@function
_ZN7rocprim17ROCPRIM_400000_NS6detail17trampoline_kernelINS0_14default_configENS1_35radix_sort_onesweep_config_selectorIsNS0_10empty_typeEEEZZNS1_29radix_sort_onesweep_iterationIS3_Lb0EPKsPsPS5_SB_mNS0_19identity_decomposerENS1_16block_id_wrapperIjLb1EEEEE10hipError_tT1_PNSt15iterator_traitsISG_E10value_typeET2_T3_PNSH_ISM_E10value_typeET4_T5_PSR_SS_PNS1_23onesweep_lookback_stateEbbT6_jjT7_P12ihipStream_tbENKUlT_T0_SG_SL_E_clISA_SA_SB_SB_EEDaSZ_S10_SG_SL_EUlSZ_E_NS1_11comp_targetILNS1_3genE3ELNS1_11target_archE908ELNS1_3gpuE7ELNS1_3repE0EEENS1_47radix_sort_onesweep_sort_config_static_selectorELNS0_4arch9wavefront6targetE0EEEvSG_: ; @_ZN7rocprim17ROCPRIM_400000_NS6detail17trampoline_kernelINS0_14default_configENS1_35radix_sort_onesweep_config_selectorIsNS0_10empty_typeEEEZZNS1_29radix_sort_onesweep_iterationIS3_Lb0EPKsPsPS5_SB_mNS0_19identity_decomposerENS1_16block_id_wrapperIjLb1EEEEE10hipError_tT1_PNSt15iterator_traitsISG_E10value_typeET2_T3_PNSH_ISM_E10value_typeET4_T5_PSR_SS_PNS1_23onesweep_lookback_stateEbbT6_jjT7_P12ihipStream_tbENKUlT_T0_SG_SL_E_clISA_SA_SB_SB_EEDaSZ_S10_SG_SL_EUlSZ_E_NS1_11comp_targetILNS1_3genE3ELNS1_11target_archE908ELNS1_3gpuE7ELNS1_3repE0EEENS1_47radix_sort_onesweep_sort_config_static_selectorELNS0_4arch9wavefront6targetE0EEEvSG_
; %bb.0:
	.section	.rodata,"a",@progbits
	.p2align	6, 0x0
	.amdhsa_kernel _ZN7rocprim17ROCPRIM_400000_NS6detail17trampoline_kernelINS0_14default_configENS1_35radix_sort_onesweep_config_selectorIsNS0_10empty_typeEEEZZNS1_29radix_sort_onesweep_iterationIS3_Lb0EPKsPsPS5_SB_mNS0_19identity_decomposerENS1_16block_id_wrapperIjLb1EEEEE10hipError_tT1_PNSt15iterator_traitsISG_E10value_typeET2_T3_PNSH_ISM_E10value_typeET4_T5_PSR_SS_PNS1_23onesweep_lookback_stateEbbT6_jjT7_P12ihipStream_tbENKUlT_T0_SG_SL_E_clISA_SA_SB_SB_EEDaSZ_S10_SG_SL_EUlSZ_E_NS1_11comp_targetILNS1_3genE3ELNS1_11target_archE908ELNS1_3gpuE7ELNS1_3repE0EEENS1_47radix_sort_onesweep_sort_config_static_selectorELNS0_4arch9wavefront6targetE0EEEvSG_
		.amdhsa_group_segment_fixed_size 0
		.amdhsa_private_segment_fixed_size 0
		.amdhsa_kernarg_size 88
		.amdhsa_user_sgpr_count 2
		.amdhsa_user_sgpr_dispatch_ptr 0
		.amdhsa_user_sgpr_queue_ptr 0
		.amdhsa_user_sgpr_kernarg_segment_ptr 1
		.amdhsa_user_sgpr_dispatch_id 0
		.amdhsa_user_sgpr_kernarg_preload_length 0
		.amdhsa_user_sgpr_kernarg_preload_offset 0
		.amdhsa_user_sgpr_private_segment_size 0
		.amdhsa_wavefront_size32 1
		.amdhsa_uses_dynamic_stack 0
		.amdhsa_enable_private_segment 0
		.amdhsa_system_sgpr_workgroup_id_x 1
		.amdhsa_system_sgpr_workgroup_id_y 0
		.amdhsa_system_sgpr_workgroup_id_z 0
		.amdhsa_system_sgpr_workgroup_info 0
		.amdhsa_system_vgpr_workitem_id 0
		.amdhsa_next_free_vgpr 1
		.amdhsa_next_free_sgpr 1
		.amdhsa_named_barrier_count 0
		.amdhsa_reserve_vcc 0
		.amdhsa_float_round_mode_32 0
		.amdhsa_float_round_mode_16_64 0
		.amdhsa_float_denorm_mode_32 3
		.amdhsa_float_denorm_mode_16_64 3
		.amdhsa_fp16_overflow 0
		.amdhsa_memory_ordered 1
		.amdhsa_forward_progress 1
		.amdhsa_inst_pref_size 0
		.amdhsa_round_robin_scheduling 0
		.amdhsa_exception_fp_ieee_invalid_op 0
		.amdhsa_exception_fp_denorm_src 0
		.amdhsa_exception_fp_ieee_div_zero 0
		.amdhsa_exception_fp_ieee_overflow 0
		.amdhsa_exception_fp_ieee_underflow 0
		.amdhsa_exception_fp_ieee_inexact 0
		.amdhsa_exception_int_div_zero 0
	.end_amdhsa_kernel
	.section	.text._ZN7rocprim17ROCPRIM_400000_NS6detail17trampoline_kernelINS0_14default_configENS1_35radix_sort_onesweep_config_selectorIsNS0_10empty_typeEEEZZNS1_29radix_sort_onesweep_iterationIS3_Lb0EPKsPsPS5_SB_mNS0_19identity_decomposerENS1_16block_id_wrapperIjLb1EEEEE10hipError_tT1_PNSt15iterator_traitsISG_E10value_typeET2_T3_PNSH_ISM_E10value_typeET4_T5_PSR_SS_PNS1_23onesweep_lookback_stateEbbT6_jjT7_P12ihipStream_tbENKUlT_T0_SG_SL_E_clISA_SA_SB_SB_EEDaSZ_S10_SG_SL_EUlSZ_E_NS1_11comp_targetILNS1_3genE3ELNS1_11target_archE908ELNS1_3gpuE7ELNS1_3repE0EEENS1_47radix_sort_onesweep_sort_config_static_selectorELNS0_4arch9wavefront6targetE0EEEvSG_,"axG",@progbits,_ZN7rocprim17ROCPRIM_400000_NS6detail17trampoline_kernelINS0_14default_configENS1_35radix_sort_onesweep_config_selectorIsNS0_10empty_typeEEEZZNS1_29radix_sort_onesweep_iterationIS3_Lb0EPKsPsPS5_SB_mNS0_19identity_decomposerENS1_16block_id_wrapperIjLb1EEEEE10hipError_tT1_PNSt15iterator_traitsISG_E10value_typeET2_T3_PNSH_ISM_E10value_typeET4_T5_PSR_SS_PNS1_23onesweep_lookback_stateEbbT6_jjT7_P12ihipStream_tbENKUlT_T0_SG_SL_E_clISA_SA_SB_SB_EEDaSZ_S10_SG_SL_EUlSZ_E_NS1_11comp_targetILNS1_3genE3ELNS1_11target_archE908ELNS1_3gpuE7ELNS1_3repE0EEENS1_47radix_sort_onesweep_sort_config_static_selectorELNS0_4arch9wavefront6targetE0EEEvSG_,comdat
.Lfunc_end727:
	.size	_ZN7rocprim17ROCPRIM_400000_NS6detail17trampoline_kernelINS0_14default_configENS1_35radix_sort_onesweep_config_selectorIsNS0_10empty_typeEEEZZNS1_29radix_sort_onesweep_iterationIS3_Lb0EPKsPsPS5_SB_mNS0_19identity_decomposerENS1_16block_id_wrapperIjLb1EEEEE10hipError_tT1_PNSt15iterator_traitsISG_E10value_typeET2_T3_PNSH_ISM_E10value_typeET4_T5_PSR_SS_PNS1_23onesweep_lookback_stateEbbT6_jjT7_P12ihipStream_tbENKUlT_T0_SG_SL_E_clISA_SA_SB_SB_EEDaSZ_S10_SG_SL_EUlSZ_E_NS1_11comp_targetILNS1_3genE3ELNS1_11target_archE908ELNS1_3gpuE7ELNS1_3repE0EEENS1_47radix_sort_onesweep_sort_config_static_selectorELNS0_4arch9wavefront6targetE0EEEvSG_, .Lfunc_end727-_ZN7rocprim17ROCPRIM_400000_NS6detail17trampoline_kernelINS0_14default_configENS1_35radix_sort_onesweep_config_selectorIsNS0_10empty_typeEEEZZNS1_29radix_sort_onesweep_iterationIS3_Lb0EPKsPsPS5_SB_mNS0_19identity_decomposerENS1_16block_id_wrapperIjLb1EEEEE10hipError_tT1_PNSt15iterator_traitsISG_E10value_typeET2_T3_PNSH_ISM_E10value_typeET4_T5_PSR_SS_PNS1_23onesweep_lookback_stateEbbT6_jjT7_P12ihipStream_tbENKUlT_T0_SG_SL_E_clISA_SA_SB_SB_EEDaSZ_S10_SG_SL_EUlSZ_E_NS1_11comp_targetILNS1_3genE3ELNS1_11target_archE908ELNS1_3gpuE7ELNS1_3repE0EEENS1_47radix_sort_onesweep_sort_config_static_selectorELNS0_4arch9wavefront6targetE0EEEvSG_
                                        ; -- End function
	.set _ZN7rocprim17ROCPRIM_400000_NS6detail17trampoline_kernelINS0_14default_configENS1_35radix_sort_onesweep_config_selectorIsNS0_10empty_typeEEEZZNS1_29radix_sort_onesweep_iterationIS3_Lb0EPKsPsPS5_SB_mNS0_19identity_decomposerENS1_16block_id_wrapperIjLb1EEEEE10hipError_tT1_PNSt15iterator_traitsISG_E10value_typeET2_T3_PNSH_ISM_E10value_typeET4_T5_PSR_SS_PNS1_23onesweep_lookback_stateEbbT6_jjT7_P12ihipStream_tbENKUlT_T0_SG_SL_E_clISA_SA_SB_SB_EEDaSZ_S10_SG_SL_EUlSZ_E_NS1_11comp_targetILNS1_3genE3ELNS1_11target_archE908ELNS1_3gpuE7ELNS1_3repE0EEENS1_47radix_sort_onesweep_sort_config_static_selectorELNS0_4arch9wavefront6targetE0EEEvSG_.num_vgpr, 0
	.set _ZN7rocprim17ROCPRIM_400000_NS6detail17trampoline_kernelINS0_14default_configENS1_35radix_sort_onesweep_config_selectorIsNS0_10empty_typeEEEZZNS1_29radix_sort_onesweep_iterationIS3_Lb0EPKsPsPS5_SB_mNS0_19identity_decomposerENS1_16block_id_wrapperIjLb1EEEEE10hipError_tT1_PNSt15iterator_traitsISG_E10value_typeET2_T3_PNSH_ISM_E10value_typeET4_T5_PSR_SS_PNS1_23onesweep_lookback_stateEbbT6_jjT7_P12ihipStream_tbENKUlT_T0_SG_SL_E_clISA_SA_SB_SB_EEDaSZ_S10_SG_SL_EUlSZ_E_NS1_11comp_targetILNS1_3genE3ELNS1_11target_archE908ELNS1_3gpuE7ELNS1_3repE0EEENS1_47radix_sort_onesweep_sort_config_static_selectorELNS0_4arch9wavefront6targetE0EEEvSG_.num_agpr, 0
	.set _ZN7rocprim17ROCPRIM_400000_NS6detail17trampoline_kernelINS0_14default_configENS1_35radix_sort_onesweep_config_selectorIsNS0_10empty_typeEEEZZNS1_29radix_sort_onesweep_iterationIS3_Lb0EPKsPsPS5_SB_mNS0_19identity_decomposerENS1_16block_id_wrapperIjLb1EEEEE10hipError_tT1_PNSt15iterator_traitsISG_E10value_typeET2_T3_PNSH_ISM_E10value_typeET4_T5_PSR_SS_PNS1_23onesweep_lookback_stateEbbT6_jjT7_P12ihipStream_tbENKUlT_T0_SG_SL_E_clISA_SA_SB_SB_EEDaSZ_S10_SG_SL_EUlSZ_E_NS1_11comp_targetILNS1_3genE3ELNS1_11target_archE908ELNS1_3gpuE7ELNS1_3repE0EEENS1_47radix_sort_onesweep_sort_config_static_selectorELNS0_4arch9wavefront6targetE0EEEvSG_.numbered_sgpr, 0
	.set _ZN7rocprim17ROCPRIM_400000_NS6detail17trampoline_kernelINS0_14default_configENS1_35radix_sort_onesweep_config_selectorIsNS0_10empty_typeEEEZZNS1_29radix_sort_onesweep_iterationIS3_Lb0EPKsPsPS5_SB_mNS0_19identity_decomposerENS1_16block_id_wrapperIjLb1EEEEE10hipError_tT1_PNSt15iterator_traitsISG_E10value_typeET2_T3_PNSH_ISM_E10value_typeET4_T5_PSR_SS_PNS1_23onesweep_lookback_stateEbbT6_jjT7_P12ihipStream_tbENKUlT_T0_SG_SL_E_clISA_SA_SB_SB_EEDaSZ_S10_SG_SL_EUlSZ_E_NS1_11comp_targetILNS1_3genE3ELNS1_11target_archE908ELNS1_3gpuE7ELNS1_3repE0EEENS1_47radix_sort_onesweep_sort_config_static_selectorELNS0_4arch9wavefront6targetE0EEEvSG_.num_named_barrier, 0
	.set _ZN7rocprim17ROCPRIM_400000_NS6detail17trampoline_kernelINS0_14default_configENS1_35radix_sort_onesweep_config_selectorIsNS0_10empty_typeEEEZZNS1_29radix_sort_onesweep_iterationIS3_Lb0EPKsPsPS5_SB_mNS0_19identity_decomposerENS1_16block_id_wrapperIjLb1EEEEE10hipError_tT1_PNSt15iterator_traitsISG_E10value_typeET2_T3_PNSH_ISM_E10value_typeET4_T5_PSR_SS_PNS1_23onesweep_lookback_stateEbbT6_jjT7_P12ihipStream_tbENKUlT_T0_SG_SL_E_clISA_SA_SB_SB_EEDaSZ_S10_SG_SL_EUlSZ_E_NS1_11comp_targetILNS1_3genE3ELNS1_11target_archE908ELNS1_3gpuE7ELNS1_3repE0EEENS1_47radix_sort_onesweep_sort_config_static_selectorELNS0_4arch9wavefront6targetE0EEEvSG_.private_seg_size, 0
	.set _ZN7rocprim17ROCPRIM_400000_NS6detail17trampoline_kernelINS0_14default_configENS1_35radix_sort_onesweep_config_selectorIsNS0_10empty_typeEEEZZNS1_29radix_sort_onesweep_iterationIS3_Lb0EPKsPsPS5_SB_mNS0_19identity_decomposerENS1_16block_id_wrapperIjLb1EEEEE10hipError_tT1_PNSt15iterator_traitsISG_E10value_typeET2_T3_PNSH_ISM_E10value_typeET4_T5_PSR_SS_PNS1_23onesweep_lookback_stateEbbT6_jjT7_P12ihipStream_tbENKUlT_T0_SG_SL_E_clISA_SA_SB_SB_EEDaSZ_S10_SG_SL_EUlSZ_E_NS1_11comp_targetILNS1_3genE3ELNS1_11target_archE908ELNS1_3gpuE7ELNS1_3repE0EEENS1_47radix_sort_onesweep_sort_config_static_selectorELNS0_4arch9wavefront6targetE0EEEvSG_.uses_vcc, 0
	.set _ZN7rocprim17ROCPRIM_400000_NS6detail17trampoline_kernelINS0_14default_configENS1_35radix_sort_onesweep_config_selectorIsNS0_10empty_typeEEEZZNS1_29radix_sort_onesweep_iterationIS3_Lb0EPKsPsPS5_SB_mNS0_19identity_decomposerENS1_16block_id_wrapperIjLb1EEEEE10hipError_tT1_PNSt15iterator_traitsISG_E10value_typeET2_T3_PNSH_ISM_E10value_typeET4_T5_PSR_SS_PNS1_23onesweep_lookback_stateEbbT6_jjT7_P12ihipStream_tbENKUlT_T0_SG_SL_E_clISA_SA_SB_SB_EEDaSZ_S10_SG_SL_EUlSZ_E_NS1_11comp_targetILNS1_3genE3ELNS1_11target_archE908ELNS1_3gpuE7ELNS1_3repE0EEENS1_47radix_sort_onesweep_sort_config_static_selectorELNS0_4arch9wavefront6targetE0EEEvSG_.uses_flat_scratch, 0
	.set _ZN7rocprim17ROCPRIM_400000_NS6detail17trampoline_kernelINS0_14default_configENS1_35radix_sort_onesweep_config_selectorIsNS0_10empty_typeEEEZZNS1_29radix_sort_onesweep_iterationIS3_Lb0EPKsPsPS5_SB_mNS0_19identity_decomposerENS1_16block_id_wrapperIjLb1EEEEE10hipError_tT1_PNSt15iterator_traitsISG_E10value_typeET2_T3_PNSH_ISM_E10value_typeET4_T5_PSR_SS_PNS1_23onesweep_lookback_stateEbbT6_jjT7_P12ihipStream_tbENKUlT_T0_SG_SL_E_clISA_SA_SB_SB_EEDaSZ_S10_SG_SL_EUlSZ_E_NS1_11comp_targetILNS1_3genE3ELNS1_11target_archE908ELNS1_3gpuE7ELNS1_3repE0EEENS1_47radix_sort_onesweep_sort_config_static_selectorELNS0_4arch9wavefront6targetE0EEEvSG_.has_dyn_sized_stack, 0
	.set _ZN7rocprim17ROCPRIM_400000_NS6detail17trampoline_kernelINS0_14default_configENS1_35radix_sort_onesweep_config_selectorIsNS0_10empty_typeEEEZZNS1_29radix_sort_onesweep_iterationIS3_Lb0EPKsPsPS5_SB_mNS0_19identity_decomposerENS1_16block_id_wrapperIjLb1EEEEE10hipError_tT1_PNSt15iterator_traitsISG_E10value_typeET2_T3_PNSH_ISM_E10value_typeET4_T5_PSR_SS_PNS1_23onesweep_lookback_stateEbbT6_jjT7_P12ihipStream_tbENKUlT_T0_SG_SL_E_clISA_SA_SB_SB_EEDaSZ_S10_SG_SL_EUlSZ_E_NS1_11comp_targetILNS1_3genE3ELNS1_11target_archE908ELNS1_3gpuE7ELNS1_3repE0EEENS1_47radix_sort_onesweep_sort_config_static_selectorELNS0_4arch9wavefront6targetE0EEEvSG_.has_recursion, 0
	.set _ZN7rocprim17ROCPRIM_400000_NS6detail17trampoline_kernelINS0_14default_configENS1_35radix_sort_onesweep_config_selectorIsNS0_10empty_typeEEEZZNS1_29radix_sort_onesweep_iterationIS3_Lb0EPKsPsPS5_SB_mNS0_19identity_decomposerENS1_16block_id_wrapperIjLb1EEEEE10hipError_tT1_PNSt15iterator_traitsISG_E10value_typeET2_T3_PNSH_ISM_E10value_typeET4_T5_PSR_SS_PNS1_23onesweep_lookback_stateEbbT6_jjT7_P12ihipStream_tbENKUlT_T0_SG_SL_E_clISA_SA_SB_SB_EEDaSZ_S10_SG_SL_EUlSZ_E_NS1_11comp_targetILNS1_3genE3ELNS1_11target_archE908ELNS1_3gpuE7ELNS1_3repE0EEENS1_47radix_sort_onesweep_sort_config_static_selectorELNS0_4arch9wavefront6targetE0EEEvSG_.has_indirect_call, 0
	.section	.AMDGPU.csdata,"",@progbits
; Kernel info:
; codeLenInByte = 0
; TotalNumSgprs: 0
; NumVgprs: 0
; ScratchSize: 0
; MemoryBound: 0
; FloatMode: 240
; IeeeMode: 1
; LDSByteSize: 0 bytes/workgroup (compile time only)
; SGPRBlocks: 0
; VGPRBlocks: 0
; NumSGPRsForWavesPerEU: 1
; NumVGPRsForWavesPerEU: 1
; NamedBarCnt: 0
; Occupancy: 16
; WaveLimiterHint : 0
; COMPUTE_PGM_RSRC2:SCRATCH_EN: 0
; COMPUTE_PGM_RSRC2:USER_SGPR: 2
; COMPUTE_PGM_RSRC2:TRAP_HANDLER: 0
; COMPUTE_PGM_RSRC2:TGID_X_EN: 1
; COMPUTE_PGM_RSRC2:TGID_Y_EN: 0
; COMPUTE_PGM_RSRC2:TGID_Z_EN: 0
; COMPUTE_PGM_RSRC2:TIDIG_COMP_CNT: 0
	.section	.text._ZN7rocprim17ROCPRIM_400000_NS6detail17trampoline_kernelINS0_14default_configENS1_35radix_sort_onesweep_config_selectorIsNS0_10empty_typeEEEZZNS1_29radix_sort_onesweep_iterationIS3_Lb0EPKsPsPS5_SB_mNS0_19identity_decomposerENS1_16block_id_wrapperIjLb1EEEEE10hipError_tT1_PNSt15iterator_traitsISG_E10value_typeET2_T3_PNSH_ISM_E10value_typeET4_T5_PSR_SS_PNS1_23onesweep_lookback_stateEbbT6_jjT7_P12ihipStream_tbENKUlT_T0_SG_SL_E_clISA_SA_SB_SB_EEDaSZ_S10_SG_SL_EUlSZ_E_NS1_11comp_targetILNS1_3genE10ELNS1_11target_archE1201ELNS1_3gpuE5ELNS1_3repE0EEENS1_47radix_sort_onesweep_sort_config_static_selectorELNS0_4arch9wavefront6targetE0EEEvSG_,"axG",@progbits,_ZN7rocprim17ROCPRIM_400000_NS6detail17trampoline_kernelINS0_14default_configENS1_35radix_sort_onesweep_config_selectorIsNS0_10empty_typeEEEZZNS1_29radix_sort_onesweep_iterationIS3_Lb0EPKsPsPS5_SB_mNS0_19identity_decomposerENS1_16block_id_wrapperIjLb1EEEEE10hipError_tT1_PNSt15iterator_traitsISG_E10value_typeET2_T3_PNSH_ISM_E10value_typeET4_T5_PSR_SS_PNS1_23onesweep_lookback_stateEbbT6_jjT7_P12ihipStream_tbENKUlT_T0_SG_SL_E_clISA_SA_SB_SB_EEDaSZ_S10_SG_SL_EUlSZ_E_NS1_11comp_targetILNS1_3genE10ELNS1_11target_archE1201ELNS1_3gpuE5ELNS1_3repE0EEENS1_47radix_sort_onesweep_sort_config_static_selectorELNS0_4arch9wavefront6targetE0EEEvSG_,comdat
	.protected	_ZN7rocprim17ROCPRIM_400000_NS6detail17trampoline_kernelINS0_14default_configENS1_35radix_sort_onesweep_config_selectorIsNS0_10empty_typeEEEZZNS1_29radix_sort_onesweep_iterationIS3_Lb0EPKsPsPS5_SB_mNS0_19identity_decomposerENS1_16block_id_wrapperIjLb1EEEEE10hipError_tT1_PNSt15iterator_traitsISG_E10value_typeET2_T3_PNSH_ISM_E10value_typeET4_T5_PSR_SS_PNS1_23onesweep_lookback_stateEbbT6_jjT7_P12ihipStream_tbENKUlT_T0_SG_SL_E_clISA_SA_SB_SB_EEDaSZ_S10_SG_SL_EUlSZ_E_NS1_11comp_targetILNS1_3genE10ELNS1_11target_archE1201ELNS1_3gpuE5ELNS1_3repE0EEENS1_47radix_sort_onesweep_sort_config_static_selectorELNS0_4arch9wavefront6targetE0EEEvSG_ ; -- Begin function _ZN7rocprim17ROCPRIM_400000_NS6detail17trampoline_kernelINS0_14default_configENS1_35radix_sort_onesweep_config_selectorIsNS0_10empty_typeEEEZZNS1_29radix_sort_onesweep_iterationIS3_Lb0EPKsPsPS5_SB_mNS0_19identity_decomposerENS1_16block_id_wrapperIjLb1EEEEE10hipError_tT1_PNSt15iterator_traitsISG_E10value_typeET2_T3_PNSH_ISM_E10value_typeET4_T5_PSR_SS_PNS1_23onesweep_lookback_stateEbbT6_jjT7_P12ihipStream_tbENKUlT_T0_SG_SL_E_clISA_SA_SB_SB_EEDaSZ_S10_SG_SL_EUlSZ_E_NS1_11comp_targetILNS1_3genE10ELNS1_11target_archE1201ELNS1_3gpuE5ELNS1_3repE0EEENS1_47radix_sort_onesweep_sort_config_static_selectorELNS0_4arch9wavefront6targetE0EEEvSG_
	.globl	_ZN7rocprim17ROCPRIM_400000_NS6detail17trampoline_kernelINS0_14default_configENS1_35radix_sort_onesweep_config_selectorIsNS0_10empty_typeEEEZZNS1_29radix_sort_onesweep_iterationIS3_Lb0EPKsPsPS5_SB_mNS0_19identity_decomposerENS1_16block_id_wrapperIjLb1EEEEE10hipError_tT1_PNSt15iterator_traitsISG_E10value_typeET2_T3_PNSH_ISM_E10value_typeET4_T5_PSR_SS_PNS1_23onesweep_lookback_stateEbbT6_jjT7_P12ihipStream_tbENKUlT_T0_SG_SL_E_clISA_SA_SB_SB_EEDaSZ_S10_SG_SL_EUlSZ_E_NS1_11comp_targetILNS1_3genE10ELNS1_11target_archE1201ELNS1_3gpuE5ELNS1_3repE0EEENS1_47radix_sort_onesweep_sort_config_static_selectorELNS0_4arch9wavefront6targetE0EEEvSG_
	.p2align	8
	.type	_ZN7rocprim17ROCPRIM_400000_NS6detail17trampoline_kernelINS0_14default_configENS1_35radix_sort_onesweep_config_selectorIsNS0_10empty_typeEEEZZNS1_29radix_sort_onesweep_iterationIS3_Lb0EPKsPsPS5_SB_mNS0_19identity_decomposerENS1_16block_id_wrapperIjLb1EEEEE10hipError_tT1_PNSt15iterator_traitsISG_E10value_typeET2_T3_PNSH_ISM_E10value_typeET4_T5_PSR_SS_PNS1_23onesweep_lookback_stateEbbT6_jjT7_P12ihipStream_tbENKUlT_T0_SG_SL_E_clISA_SA_SB_SB_EEDaSZ_S10_SG_SL_EUlSZ_E_NS1_11comp_targetILNS1_3genE10ELNS1_11target_archE1201ELNS1_3gpuE5ELNS1_3repE0EEENS1_47radix_sort_onesweep_sort_config_static_selectorELNS0_4arch9wavefront6targetE0EEEvSG_,@function
_ZN7rocprim17ROCPRIM_400000_NS6detail17trampoline_kernelINS0_14default_configENS1_35radix_sort_onesweep_config_selectorIsNS0_10empty_typeEEEZZNS1_29radix_sort_onesweep_iterationIS3_Lb0EPKsPsPS5_SB_mNS0_19identity_decomposerENS1_16block_id_wrapperIjLb1EEEEE10hipError_tT1_PNSt15iterator_traitsISG_E10value_typeET2_T3_PNSH_ISM_E10value_typeET4_T5_PSR_SS_PNS1_23onesweep_lookback_stateEbbT6_jjT7_P12ihipStream_tbENKUlT_T0_SG_SL_E_clISA_SA_SB_SB_EEDaSZ_S10_SG_SL_EUlSZ_E_NS1_11comp_targetILNS1_3genE10ELNS1_11target_archE1201ELNS1_3gpuE5ELNS1_3repE0EEENS1_47radix_sort_onesweep_sort_config_static_selectorELNS0_4arch9wavefront6targetE0EEEvSG_: ; @_ZN7rocprim17ROCPRIM_400000_NS6detail17trampoline_kernelINS0_14default_configENS1_35radix_sort_onesweep_config_selectorIsNS0_10empty_typeEEEZZNS1_29radix_sort_onesweep_iterationIS3_Lb0EPKsPsPS5_SB_mNS0_19identity_decomposerENS1_16block_id_wrapperIjLb1EEEEE10hipError_tT1_PNSt15iterator_traitsISG_E10value_typeET2_T3_PNSH_ISM_E10value_typeET4_T5_PSR_SS_PNS1_23onesweep_lookback_stateEbbT6_jjT7_P12ihipStream_tbENKUlT_T0_SG_SL_E_clISA_SA_SB_SB_EEDaSZ_S10_SG_SL_EUlSZ_E_NS1_11comp_targetILNS1_3genE10ELNS1_11target_archE1201ELNS1_3gpuE5ELNS1_3repE0EEENS1_47radix_sort_onesweep_sort_config_static_selectorELNS0_4arch9wavefront6targetE0EEEvSG_
; %bb.0:
	.section	.rodata,"a",@progbits
	.p2align	6, 0x0
	.amdhsa_kernel _ZN7rocprim17ROCPRIM_400000_NS6detail17trampoline_kernelINS0_14default_configENS1_35radix_sort_onesweep_config_selectorIsNS0_10empty_typeEEEZZNS1_29radix_sort_onesweep_iterationIS3_Lb0EPKsPsPS5_SB_mNS0_19identity_decomposerENS1_16block_id_wrapperIjLb1EEEEE10hipError_tT1_PNSt15iterator_traitsISG_E10value_typeET2_T3_PNSH_ISM_E10value_typeET4_T5_PSR_SS_PNS1_23onesweep_lookback_stateEbbT6_jjT7_P12ihipStream_tbENKUlT_T0_SG_SL_E_clISA_SA_SB_SB_EEDaSZ_S10_SG_SL_EUlSZ_E_NS1_11comp_targetILNS1_3genE10ELNS1_11target_archE1201ELNS1_3gpuE5ELNS1_3repE0EEENS1_47radix_sort_onesweep_sort_config_static_selectorELNS0_4arch9wavefront6targetE0EEEvSG_
		.amdhsa_group_segment_fixed_size 0
		.amdhsa_private_segment_fixed_size 0
		.amdhsa_kernarg_size 88
		.amdhsa_user_sgpr_count 2
		.amdhsa_user_sgpr_dispatch_ptr 0
		.amdhsa_user_sgpr_queue_ptr 0
		.amdhsa_user_sgpr_kernarg_segment_ptr 1
		.amdhsa_user_sgpr_dispatch_id 0
		.amdhsa_user_sgpr_kernarg_preload_length 0
		.amdhsa_user_sgpr_kernarg_preload_offset 0
		.amdhsa_user_sgpr_private_segment_size 0
		.amdhsa_wavefront_size32 1
		.amdhsa_uses_dynamic_stack 0
		.amdhsa_enable_private_segment 0
		.amdhsa_system_sgpr_workgroup_id_x 1
		.amdhsa_system_sgpr_workgroup_id_y 0
		.amdhsa_system_sgpr_workgroup_id_z 0
		.amdhsa_system_sgpr_workgroup_info 0
		.amdhsa_system_vgpr_workitem_id 0
		.amdhsa_next_free_vgpr 1
		.amdhsa_next_free_sgpr 1
		.amdhsa_named_barrier_count 0
		.amdhsa_reserve_vcc 0
		.amdhsa_float_round_mode_32 0
		.amdhsa_float_round_mode_16_64 0
		.amdhsa_float_denorm_mode_32 3
		.amdhsa_float_denorm_mode_16_64 3
		.amdhsa_fp16_overflow 0
		.amdhsa_memory_ordered 1
		.amdhsa_forward_progress 1
		.amdhsa_inst_pref_size 0
		.amdhsa_round_robin_scheduling 0
		.amdhsa_exception_fp_ieee_invalid_op 0
		.amdhsa_exception_fp_denorm_src 0
		.amdhsa_exception_fp_ieee_div_zero 0
		.amdhsa_exception_fp_ieee_overflow 0
		.amdhsa_exception_fp_ieee_underflow 0
		.amdhsa_exception_fp_ieee_inexact 0
		.amdhsa_exception_int_div_zero 0
	.end_amdhsa_kernel
	.section	.text._ZN7rocprim17ROCPRIM_400000_NS6detail17trampoline_kernelINS0_14default_configENS1_35radix_sort_onesweep_config_selectorIsNS0_10empty_typeEEEZZNS1_29radix_sort_onesweep_iterationIS3_Lb0EPKsPsPS5_SB_mNS0_19identity_decomposerENS1_16block_id_wrapperIjLb1EEEEE10hipError_tT1_PNSt15iterator_traitsISG_E10value_typeET2_T3_PNSH_ISM_E10value_typeET4_T5_PSR_SS_PNS1_23onesweep_lookback_stateEbbT6_jjT7_P12ihipStream_tbENKUlT_T0_SG_SL_E_clISA_SA_SB_SB_EEDaSZ_S10_SG_SL_EUlSZ_E_NS1_11comp_targetILNS1_3genE10ELNS1_11target_archE1201ELNS1_3gpuE5ELNS1_3repE0EEENS1_47radix_sort_onesweep_sort_config_static_selectorELNS0_4arch9wavefront6targetE0EEEvSG_,"axG",@progbits,_ZN7rocprim17ROCPRIM_400000_NS6detail17trampoline_kernelINS0_14default_configENS1_35radix_sort_onesweep_config_selectorIsNS0_10empty_typeEEEZZNS1_29radix_sort_onesweep_iterationIS3_Lb0EPKsPsPS5_SB_mNS0_19identity_decomposerENS1_16block_id_wrapperIjLb1EEEEE10hipError_tT1_PNSt15iterator_traitsISG_E10value_typeET2_T3_PNSH_ISM_E10value_typeET4_T5_PSR_SS_PNS1_23onesweep_lookback_stateEbbT6_jjT7_P12ihipStream_tbENKUlT_T0_SG_SL_E_clISA_SA_SB_SB_EEDaSZ_S10_SG_SL_EUlSZ_E_NS1_11comp_targetILNS1_3genE10ELNS1_11target_archE1201ELNS1_3gpuE5ELNS1_3repE0EEENS1_47radix_sort_onesweep_sort_config_static_selectorELNS0_4arch9wavefront6targetE0EEEvSG_,comdat
.Lfunc_end728:
	.size	_ZN7rocprim17ROCPRIM_400000_NS6detail17trampoline_kernelINS0_14default_configENS1_35radix_sort_onesweep_config_selectorIsNS0_10empty_typeEEEZZNS1_29radix_sort_onesweep_iterationIS3_Lb0EPKsPsPS5_SB_mNS0_19identity_decomposerENS1_16block_id_wrapperIjLb1EEEEE10hipError_tT1_PNSt15iterator_traitsISG_E10value_typeET2_T3_PNSH_ISM_E10value_typeET4_T5_PSR_SS_PNS1_23onesweep_lookback_stateEbbT6_jjT7_P12ihipStream_tbENKUlT_T0_SG_SL_E_clISA_SA_SB_SB_EEDaSZ_S10_SG_SL_EUlSZ_E_NS1_11comp_targetILNS1_3genE10ELNS1_11target_archE1201ELNS1_3gpuE5ELNS1_3repE0EEENS1_47radix_sort_onesweep_sort_config_static_selectorELNS0_4arch9wavefront6targetE0EEEvSG_, .Lfunc_end728-_ZN7rocprim17ROCPRIM_400000_NS6detail17trampoline_kernelINS0_14default_configENS1_35radix_sort_onesweep_config_selectorIsNS0_10empty_typeEEEZZNS1_29radix_sort_onesweep_iterationIS3_Lb0EPKsPsPS5_SB_mNS0_19identity_decomposerENS1_16block_id_wrapperIjLb1EEEEE10hipError_tT1_PNSt15iterator_traitsISG_E10value_typeET2_T3_PNSH_ISM_E10value_typeET4_T5_PSR_SS_PNS1_23onesweep_lookback_stateEbbT6_jjT7_P12ihipStream_tbENKUlT_T0_SG_SL_E_clISA_SA_SB_SB_EEDaSZ_S10_SG_SL_EUlSZ_E_NS1_11comp_targetILNS1_3genE10ELNS1_11target_archE1201ELNS1_3gpuE5ELNS1_3repE0EEENS1_47radix_sort_onesweep_sort_config_static_selectorELNS0_4arch9wavefront6targetE0EEEvSG_
                                        ; -- End function
	.set _ZN7rocprim17ROCPRIM_400000_NS6detail17trampoline_kernelINS0_14default_configENS1_35radix_sort_onesweep_config_selectorIsNS0_10empty_typeEEEZZNS1_29radix_sort_onesweep_iterationIS3_Lb0EPKsPsPS5_SB_mNS0_19identity_decomposerENS1_16block_id_wrapperIjLb1EEEEE10hipError_tT1_PNSt15iterator_traitsISG_E10value_typeET2_T3_PNSH_ISM_E10value_typeET4_T5_PSR_SS_PNS1_23onesweep_lookback_stateEbbT6_jjT7_P12ihipStream_tbENKUlT_T0_SG_SL_E_clISA_SA_SB_SB_EEDaSZ_S10_SG_SL_EUlSZ_E_NS1_11comp_targetILNS1_3genE10ELNS1_11target_archE1201ELNS1_3gpuE5ELNS1_3repE0EEENS1_47radix_sort_onesweep_sort_config_static_selectorELNS0_4arch9wavefront6targetE0EEEvSG_.num_vgpr, 0
	.set _ZN7rocprim17ROCPRIM_400000_NS6detail17trampoline_kernelINS0_14default_configENS1_35radix_sort_onesweep_config_selectorIsNS0_10empty_typeEEEZZNS1_29radix_sort_onesweep_iterationIS3_Lb0EPKsPsPS5_SB_mNS0_19identity_decomposerENS1_16block_id_wrapperIjLb1EEEEE10hipError_tT1_PNSt15iterator_traitsISG_E10value_typeET2_T3_PNSH_ISM_E10value_typeET4_T5_PSR_SS_PNS1_23onesweep_lookback_stateEbbT6_jjT7_P12ihipStream_tbENKUlT_T0_SG_SL_E_clISA_SA_SB_SB_EEDaSZ_S10_SG_SL_EUlSZ_E_NS1_11comp_targetILNS1_3genE10ELNS1_11target_archE1201ELNS1_3gpuE5ELNS1_3repE0EEENS1_47radix_sort_onesweep_sort_config_static_selectorELNS0_4arch9wavefront6targetE0EEEvSG_.num_agpr, 0
	.set _ZN7rocprim17ROCPRIM_400000_NS6detail17trampoline_kernelINS0_14default_configENS1_35radix_sort_onesweep_config_selectorIsNS0_10empty_typeEEEZZNS1_29radix_sort_onesweep_iterationIS3_Lb0EPKsPsPS5_SB_mNS0_19identity_decomposerENS1_16block_id_wrapperIjLb1EEEEE10hipError_tT1_PNSt15iterator_traitsISG_E10value_typeET2_T3_PNSH_ISM_E10value_typeET4_T5_PSR_SS_PNS1_23onesweep_lookback_stateEbbT6_jjT7_P12ihipStream_tbENKUlT_T0_SG_SL_E_clISA_SA_SB_SB_EEDaSZ_S10_SG_SL_EUlSZ_E_NS1_11comp_targetILNS1_3genE10ELNS1_11target_archE1201ELNS1_3gpuE5ELNS1_3repE0EEENS1_47radix_sort_onesweep_sort_config_static_selectorELNS0_4arch9wavefront6targetE0EEEvSG_.numbered_sgpr, 0
	.set _ZN7rocprim17ROCPRIM_400000_NS6detail17trampoline_kernelINS0_14default_configENS1_35radix_sort_onesweep_config_selectorIsNS0_10empty_typeEEEZZNS1_29radix_sort_onesweep_iterationIS3_Lb0EPKsPsPS5_SB_mNS0_19identity_decomposerENS1_16block_id_wrapperIjLb1EEEEE10hipError_tT1_PNSt15iterator_traitsISG_E10value_typeET2_T3_PNSH_ISM_E10value_typeET4_T5_PSR_SS_PNS1_23onesweep_lookback_stateEbbT6_jjT7_P12ihipStream_tbENKUlT_T0_SG_SL_E_clISA_SA_SB_SB_EEDaSZ_S10_SG_SL_EUlSZ_E_NS1_11comp_targetILNS1_3genE10ELNS1_11target_archE1201ELNS1_3gpuE5ELNS1_3repE0EEENS1_47radix_sort_onesweep_sort_config_static_selectorELNS0_4arch9wavefront6targetE0EEEvSG_.num_named_barrier, 0
	.set _ZN7rocprim17ROCPRIM_400000_NS6detail17trampoline_kernelINS0_14default_configENS1_35radix_sort_onesweep_config_selectorIsNS0_10empty_typeEEEZZNS1_29radix_sort_onesweep_iterationIS3_Lb0EPKsPsPS5_SB_mNS0_19identity_decomposerENS1_16block_id_wrapperIjLb1EEEEE10hipError_tT1_PNSt15iterator_traitsISG_E10value_typeET2_T3_PNSH_ISM_E10value_typeET4_T5_PSR_SS_PNS1_23onesweep_lookback_stateEbbT6_jjT7_P12ihipStream_tbENKUlT_T0_SG_SL_E_clISA_SA_SB_SB_EEDaSZ_S10_SG_SL_EUlSZ_E_NS1_11comp_targetILNS1_3genE10ELNS1_11target_archE1201ELNS1_3gpuE5ELNS1_3repE0EEENS1_47radix_sort_onesweep_sort_config_static_selectorELNS0_4arch9wavefront6targetE0EEEvSG_.private_seg_size, 0
	.set _ZN7rocprim17ROCPRIM_400000_NS6detail17trampoline_kernelINS0_14default_configENS1_35radix_sort_onesweep_config_selectorIsNS0_10empty_typeEEEZZNS1_29radix_sort_onesweep_iterationIS3_Lb0EPKsPsPS5_SB_mNS0_19identity_decomposerENS1_16block_id_wrapperIjLb1EEEEE10hipError_tT1_PNSt15iterator_traitsISG_E10value_typeET2_T3_PNSH_ISM_E10value_typeET4_T5_PSR_SS_PNS1_23onesweep_lookback_stateEbbT6_jjT7_P12ihipStream_tbENKUlT_T0_SG_SL_E_clISA_SA_SB_SB_EEDaSZ_S10_SG_SL_EUlSZ_E_NS1_11comp_targetILNS1_3genE10ELNS1_11target_archE1201ELNS1_3gpuE5ELNS1_3repE0EEENS1_47radix_sort_onesweep_sort_config_static_selectorELNS0_4arch9wavefront6targetE0EEEvSG_.uses_vcc, 0
	.set _ZN7rocprim17ROCPRIM_400000_NS6detail17trampoline_kernelINS0_14default_configENS1_35radix_sort_onesweep_config_selectorIsNS0_10empty_typeEEEZZNS1_29radix_sort_onesweep_iterationIS3_Lb0EPKsPsPS5_SB_mNS0_19identity_decomposerENS1_16block_id_wrapperIjLb1EEEEE10hipError_tT1_PNSt15iterator_traitsISG_E10value_typeET2_T3_PNSH_ISM_E10value_typeET4_T5_PSR_SS_PNS1_23onesweep_lookback_stateEbbT6_jjT7_P12ihipStream_tbENKUlT_T0_SG_SL_E_clISA_SA_SB_SB_EEDaSZ_S10_SG_SL_EUlSZ_E_NS1_11comp_targetILNS1_3genE10ELNS1_11target_archE1201ELNS1_3gpuE5ELNS1_3repE0EEENS1_47radix_sort_onesweep_sort_config_static_selectorELNS0_4arch9wavefront6targetE0EEEvSG_.uses_flat_scratch, 0
	.set _ZN7rocprim17ROCPRIM_400000_NS6detail17trampoline_kernelINS0_14default_configENS1_35radix_sort_onesweep_config_selectorIsNS0_10empty_typeEEEZZNS1_29radix_sort_onesweep_iterationIS3_Lb0EPKsPsPS5_SB_mNS0_19identity_decomposerENS1_16block_id_wrapperIjLb1EEEEE10hipError_tT1_PNSt15iterator_traitsISG_E10value_typeET2_T3_PNSH_ISM_E10value_typeET4_T5_PSR_SS_PNS1_23onesweep_lookback_stateEbbT6_jjT7_P12ihipStream_tbENKUlT_T0_SG_SL_E_clISA_SA_SB_SB_EEDaSZ_S10_SG_SL_EUlSZ_E_NS1_11comp_targetILNS1_3genE10ELNS1_11target_archE1201ELNS1_3gpuE5ELNS1_3repE0EEENS1_47radix_sort_onesweep_sort_config_static_selectorELNS0_4arch9wavefront6targetE0EEEvSG_.has_dyn_sized_stack, 0
	.set _ZN7rocprim17ROCPRIM_400000_NS6detail17trampoline_kernelINS0_14default_configENS1_35radix_sort_onesweep_config_selectorIsNS0_10empty_typeEEEZZNS1_29radix_sort_onesweep_iterationIS3_Lb0EPKsPsPS5_SB_mNS0_19identity_decomposerENS1_16block_id_wrapperIjLb1EEEEE10hipError_tT1_PNSt15iterator_traitsISG_E10value_typeET2_T3_PNSH_ISM_E10value_typeET4_T5_PSR_SS_PNS1_23onesweep_lookback_stateEbbT6_jjT7_P12ihipStream_tbENKUlT_T0_SG_SL_E_clISA_SA_SB_SB_EEDaSZ_S10_SG_SL_EUlSZ_E_NS1_11comp_targetILNS1_3genE10ELNS1_11target_archE1201ELNS1_3gpuE5ELNS1_3repE0EEENS1_47radix_sort_onesweep_sort_config_static_selectorELNS0_4arch9wavefront6targetE0EEEvSG_.has_recursion, 0
	.set _ZN7rocprim17ROCPRIM_400000_NS6detail17trampoline_kernelINS0_14default_configENS1_35radix_sort_onesweep_config_selectorIsNS0_10empty_typeEEEZZNS1_29radix_sort_onesweep_iterationIS3_Lb0EPKsPsPS5_SB_mNS0_19identity_decomposerENS1_16block_id_wrapperIjLb1EEEEE10hipError_tT1_PNSt15iterator_traitsISG_E10value_typeET2_T3_PNSH_ISM_E10value_typeET4_T5_PSR_SS_PNS1_23onesweep_lookback_stateEbbT6_jjT7_P12ihipStream_tbENKUlT_T0_SG_SL_E_clISA_SA_SB_SB_EEDaSZ_S10_SG_SL_EUlSZ_E_NS1_11comp_targetILNS1_3genE10ELNS1_11target_archE1201ELNS1_3gpuE5ELNS1_3repE0EEENS1_47radix_sort_onesweep_sort_config_static_selectorELNS0_4arch9wavefront6targetE0EEEvSG_.has_indirect_call, 0
	.section	.AMDGPU.csdata,"",@progbits
; Kernel info:
; codeLenInByte = 0
; TotalNumSgprs: 0
; NumVgprs: 0
; ScratchSize: 0
; MemoryBound: 0
; FloatMode: 240
; IeeeMode: 1
; LDSByteSize: 0 bytes/workgroup (compile time only)
; SGPRBlocks: 0
; VGPRBlocks: 0
; NumSGPRsForWavesPerEU: 1
; NumVGPRsForWavesPerEU: 1
; NamedBarCnt: 0
; Occupancy: 16
; WaveLimiterHint : 0
; COMPUTE_PGM_RSRC2:SCRATCH_EN: 0
; COMPUTE_PGM_RSRC2:USER_SGPR: 2
; COMPUTE_PGM_RSRC2:TRAP_HANDLER: 0
; COMPUTE_PGM_RSRC2:TGID_X_EN: 1
; COMPUTE_PGM_RSRC2:TGID_Y_EN: 0
; COMPUTE_PGM_RSRC2:TGID_Z_EN: 0
; COMPUTE_PGM_RSRC2:TIDIG_COMP_CNT: 0
	.section	.text._ZN7rocprim17ROCPRIM_400000_NS6detail17trampoline_kernelINS0_14default_configENS1_35radix_sort_onesweep_config_selectorIsNS0_10empty_typeEEEZZNS1_29radix_sort_onesweep_iterationIS3_Lb0EPKsPsPS5_SB_mNS0_19identity_decomposerENS1_16block_id_wrapperIjLb1EEEEE10hipError_tT1_PNSt15iterator_traitsISG_E10value_typeET2_T3_PNSH_ISM_E10value_typeET4_T5_PSR_SS_PNS1_23onesweep_lookback_stateEbbT6_jjT7_P12ihipStream_tbENKUlT_T0_SG_SL_E_clISA_SA_SB_SB_EEDaSZ_S10_SG_SL_EUlSZ_E_NS1_11comp_targetILNS1_3genE9ELNS1_11target_archE1100ELNS1_3gpuE3ELNS1_3repE0EEENS1_47radix_sort_onesweep_sort_config_static_selectorELNS0_4arch9wavefront6targetE0EEEvSG_,"axG",@progbits,_ZN7rocprim17ROCPRIM_400000_NS6detail17trampoline_kernelINS0_14default_configENS1_35radix_sort_onesweep_config_selectorIsNS0_10empty_typeEEEZZNS1_29radix_sort_onesweep_iterationIS3_Lb0EPKsPsPS5_SB_mNS0_19identity_decomposerENS1_16block_id_wrapperIjLb1EEEEE10hipError_tT1_PNSt15iterator_traitsISG_E10value_typeET2_T3_PNSH_ISM_E10value_typeET4_T5_PSR_SS_PNS1_23onesweep_lookback_stateEbbT6_jjT7_P12ihipStream_tbENKUlT_T0_SG_SL_E_clISA_SA_SB_SB_EEDaSZ_S10_SG_SL_EUlSZ_E_NS1_11comp_targetILNS1_3genE9ELNS1_11target_archE1100ELNS1_3gpuE3ELNS1_3repE0EEENS1_47radix_sort_onesweep_sort_config_static_selectorELNS0_4arch9wavefront6targetE0EEEvSG_,comdat
	.protected	_ZN7rocprim17ROCPRIM_400000_NS6detail17trampoline_kernelINS0_14default_configENS1_35radix_sort_onesweep_config_selectorIsNS0_10empty_typeEEEZZNS1_29radix_sort_onesweep_iterationIS3_Lb0EPKsPsPS5_SB_mNS0_19identity_decomposerENS1_16block_id_wrapperIjLb1EEEEE10hipError_tT1_PNSt15iterator_traitsISG_E10value_typeET2_T3_PNSH_ISM_E10value_typeET4_T5_PSR_SS_PNS1_23onesweep_lookback_stateEbbT6_jjT7_P12ihipStream_tbENKUlT_T0_SG_SL_E_clISA_SA_SB_SB_EEDaSZ_S10_SG_SL_EUlSZ_E_NS1_11comp_targetILNS1_3genE9ELNS1_11target_archE1100ELNS1_3gpuE3ELNS1_3repE0EEENS1_47radix_sort_onesweep_sort_config_static_selectorELNS0_4arch9wavefront6targetE0EEEvSG_ ; -- Begin function _ZN7rocprim17ROCPRIM_400000_NS6detail17trampoline_kernelINS0_14default_configENS1_35radix_sort_onesweep_config_selectorIsNS0_10empty_typeEEEZZNS1_29radix_sort_onesweep_iterationIS3_Lb0EPKsPsPS5_SB_mNS0_19identity_decomposerENS1_16block_id_wrapperIjLb1EEEEE10hipError_tT1_PNSt15iterator_traitsISG_E10value_typeET2_T3_PNSH_ISM_E10value_typeET4_T5_PSR_SS_PNS1_23onesweep_lookback_stateEbbT6_jjT7_P12ihipStream_tbENKUlT_T0_SG_SL_E_clISA_SA_SB_SB_EEDaSZ_S10_SG_SL_EUlSZ_E_NS1_11comp_targetILNS1_3genE9ELNS1_11target_archE1100ELNS1_3gpuE3ELNS1_3repE0EEENS1_47radix_sort_onesweep_sort_config_static_selectorELNS0_4arch9wavefront6targetE0EEEvSG_
	.globl	_ZN7rocprim17ROCPRIM_400000_NS6detail17trampoline_kernelINS0_14default_configENS1_35radix_sort_onesweep_config_selectorIsNS0_10empty_typeEEEZZNS1_29radix_sort_onesweep_iterationIS3_Lb0EPKsPsPS5_SB_mNS0_19identity_decomposerENS1_16block_id_wrapperIjLb1EEEEE10hipError_tT1_PNSt15iterator_traitsISG_E10value_typeET2_T3_PNSH_ISM_E10value_typeET4_T5_PSR_SS_PNS1_23onesweep_lookback_stateEbbT6_jjT7_P12ihipStream_tbENKUlT_T0_SG_SL_E_clISA_SA_SB_SB_EEDaSZ_S10_SG_SL_EUlSZ_E_NS1_11comp_targetILNS1_3genE9ELNS1_11target_archE1100ELNS1_3gpuE3ELNS1_3repE0EEENS1_47radix_sort_onesweep_sort_config_static_selectorELNS0_4arch9wavefront6targetE0EEEvSG_
	.p2align	8
	.type	_ZN7rocprim17ROCPRIM_400000_NS6detail17trampoline_kernelINS0_14default_configENS1_35radix_sort_onesweep_config_selectorIsNS0_10empty_typeEEEZZNS1_29radix_sort_onesweep_iterationIS3_Lb0EPKsPsPS5_SB_mNS0_19identity_decomposerENS1_16block_id_wrapperIjLb1EEEEE10hipError_tT1_PNSt15iterator_traitsISG_E10value_typeET2_T3_PNSH_ISM_E10value_typeET4_T5_PSR_SS_PNS1_23onesweep_lookback_stateEbbT6_jjT7_P12ihipStream_tbENKUlT_T0_SG_SL_E_clISA_SA_SB_SB_EEDaSZ_S10_SG_SL_EUlSZ_E_NS1_11comp_targetILNS1_3genE9ELNS1_11target_archE1100ELNS1_3gpuE3ELNS1_3repE0EEENS1_47radix_sort_onesweep_sort_config_static_selectorELNS0_4arch9wavefront6targetE0EEEvSG_,@function
_ZN7rocprim17ROCPRIM_400000_NS6detail17trampoline_kernelINS0_14default_configENS1_35radix_sort_onesweep_config_selectorIsNS0_10empty_typeEEEZZNS1_29radix_sort_onesweep_iterationIS3_Lb0EPKsPsPS5_SB_mNS0_19identity_decomposerENS1_16block_id_wrapperIjLb1EEEEE10hipError_tT1_PNSt15iterator_traitsISG_E10value_typeET2_T3_PNSH_ISM_E10value_typeET4_T5_PSR_SS_PNS1_23onesweep_lookback_stateEbbT6_jjT7_P12ihipStream_tbENKUlT_T0_SG_SL_E_clISA_SA_SB_SB_EEDaSZ_S10_SG_SL_EUlSZ_E_NS1_11comp_targetILNS1_3genE9ELNS1_11target_archE1100ELNS1_3gpuE3ELNS1_3repE0EEENS1_47radix_sort_onesweep_sort_config_static_selectorELNS0_4arch9wavefront6targetE0EEEvSG_: ; @_ZN7rocprim17ROCPRIM_400000_NS6detail17trampoline_kernelINS0_14default_configENS1_35radix_sort_onesweep_config_selectorIsNS0_10empty_typeEEEZZNS1_29radix_sort_onesweep_iterationIS3_Lb0EPKsPsPS5_SB_mNS0_19identity_decomposerENS1_16block_id_wrapperIjLb1EEEEE10hipError_tT1_PNSt15iterator_traitsISG_E10value_typeET2_T3_PNSH_ISM_E10value_typeET4_T5_PSR_SS_PNS1_23onesweep_lookback_stateEbbT6_jjT7_P12ihipStream_tbENKUlT_T0_SG_SL_E_clISA_SA_SB_SB_EEDaSZ_S10_SG_SL_EUlSZ_E_NS1_11comp_targetILNS1_3genE9ELNS1_11target_archE1100ELNS1_3gpuE3ELNS1_3repE0EEENS1_47radix_sort_onesweep_sort_config_static_selectorELNS0_4arch9wavefront6targetE0EEEvSG_
; %bb.0:
	.section	.rodata,"a",@progbits
	.p2align	6, 0x0
	.amdhsa_kernel _ZN7rocprim17ROCPRIM_400000_NS6detail17trampoline_kernelINS0_14default_configENS1_35radix_sort_onesweep_config_selectorIsNS0_10empty_typeEEEZZNS1_29radix_sort_onesweep_iterationIS3_Lb0EPKsPsPS5_SB_mNS0_19identity_decomposerENS1_16block_id_wrapperIjLb1EEEEE10hipError_tT1_PNSt15iterator_traitsISG_E10value_typeET2_T3_PNSH_ISM_E10value_typeET4_T5_PSR_SS_PNS1_23onesweep_lookback_stateEbbT6_jjT7_P12ihipStream_tbENKUlT_T0_SG_SL_E_clISA_SA_SB_SB_EEDaSZ_S10_SG_SL_EUlSZ_E_NS1_11comp_targetILNS1_3genE9ELNS1_11target_archE1100ELNS1_3gpuE3ELNS1_3repE0EEENS1_47radix_sort_onesweep_sort_config_static_selectorELNS0_4arch9wavefront6targetE0EEEvSG_
		.amdhsa_group_segment_fixed_size 0
		.amdhsa_private_segment_fixed_size 0
		.amdhsa_kernarg_size 88
		.amdhsa_user_sgpr_count 2
		.amdhsa_user_sgpr_dispatch_ptr 0
		.amdhsa_user_sgpr_queue_ptr 0
		.amdhsa_user_sgpr_kernarg_segment_ptr 1
		.amdhsa_user_sgpr_dispatch_id 0
		.amdhsa_user_sgpr_kernarg_preload_length 0
		.amdhsa_user_sgpr_kernarg_preload_offset 0
		.amdhsa_user_sgpr_private_segment_size 0
		.amdhsa_wavefront_size32 1
		.amdhsa_uses_dynamic_stack 0
		.amdhsa_enable_private_segment 0
		.amdhsa_system_sgpr_workgroup_id_x 1
		.amdhsa_system_sgpr_workgroup_id_y 0
		.amdhsa_system_sgpr_workgroup_id_z 0
		.amdhsa_system_sgpr_workgroup_info 0
		.amdhsa_system_vgpr_workitem_id 0
		.amdhsa_next_free_vgpr 1
		.amdhsa_next_free_sgpr 1
		.amdhsa_named_barrier_count 0
		.amdhsa_reserve_vcc 0
		.amdhsa_float_round_mode_32 0
		.amdhsa_float_round_mode_16_64 0
		.amdhsa_float_denorm_mode_32 3
		.amdhsa_float_denorm_mode_16_64 3
		.amdhsa_fp16_overflow 0
		.amdhsa_memory_ordered 1
		.amdhsa_forward_progress 1
		.amdhsa_inst_pref_size 0
		.amdhsa_round_robin_scheduling 0
		.amdhsa_exception_fp_ieee_invalid_op 0
		.amdhsa_exception_fp_denorm_src 0
		.amdhsa_exception_fp_ieee_div_zero 0
		.amdhsa_exception_fp_ieee_overflow 0
		.amdhsa_exception_fp_ieee_underflow 0
		.amdhsa_exception_fp_ieee_inexact 0
		.amdhsa_exception_int_div_zero 0
	.end_amdhsa_kernel
	.section	.text._ZN7rocprim17ROCPRIM_400000_NS6detail17trampoline_kernelINS0_14default_configENS1_35radix_sort_onesweep_config_selectorIsNS0_10empty_typeEEEZZNS1_29radix_sort_onesweep_iterationIS3_Lb0EPKsPsPS5_SB_mNS0_19identity_decomposerENS1_16block_id_wrapperIjLb1EEEEE10hipError_tT1_PNSt15iterator_traitsISG_E10value_typeET2_T3_PNSH_ISM_E10value_typeET4_T5_PSR_SS_PNS1_23onesweep_lookback_stateEbbT6_jjT7_P12ihipStream_tbENKUlT_T0_SG_SL_E_clISA_SA_SB_SB_EEDaSZ_S10_SG_SL_EUlSZ_E_NS1_11comp_targetILNS1_3genE9ELNS1_11target_archE1100ELNS1_3gpuE3ELNS1_3repE0EEENS1_47radix_sort_onesweep_sort_config_static_selectorELNS0_4arch9wavefront6targetE0EEEvSG_,"axG",@progbits,_ZN7rocprim17ROCPRIM_400000_NS6detail17trampoline_kernelINS0_14default_configENS1_35radix_sort_onesweep_config_selectorIsNS0_10empty_typeEEEZZNS1_29radix_sort_onesweep_iterationIS3_Lb0EPKsPsPS5_SB_mNS0_19identity_decomposerENS1_16block_id_wrapperIjLb1EEEEE10hipError_tT1_PNSt15iterator_traitsISG_E10value_typeET2_T3_PNSH_ISM_E10value_typeET4_T5_PSR_SS_PNS1_23onesweep_lookback_stateEbbT6_jjT7_P12ihipStream_tbENKUlT_T0_SG_SL_E_clISA_SA_SB_SB_EEDaSZ_S10_SG_SL_EUlSZ_E_NS1_11comp_targetILNS1_3genE9ELNS1_11target_archE1100ELNS1_3gpuE3ELNS1_3repE0EEENS1_47radix_sort_onesweep_sort_config_static_selectorELNS0_4arch9wavefront6targetE0EEEvSG_,comdat
.Lfunc_end729:
	.size	_ZN7rocprim17ROCPRIM_400000_NS6detail17trampoline_kernelINS0_14default_configENS1_35radix_sort_onesweep_config_selectorIsNS0_10empty_typeEEEZZNS1_29radix_sort_onesweep_iterationIS3_Lb0EPKsPsPS5_SB_mNS0_19identity_decomposerENS1_16block_id_wrapperIjLb1EEEEE10hipError_tT1_PNSt15iterator_traitsISG_E10value_typeET2_T3_PNSH_ISM_E10value_typeET4_T5_PSR_SS_PNS1_23onesweep_lookback_stateEbbT6_jjT7_P12ihipStream_tbENKUlT_T0_SG_SL_E_clISA_SA_SB_SB_EEDaSZ_S10_SG_SL_EUlSZ_E_NS1_11comp_targetILNS1_3genE9ELNS1_11target_archE1100ELNS1_3gpuE3ELNS1_3repE0EEENS1_47radix_sort_onesweep_sort_config_static_selectorELNS0_4arch9wavefront6targetE0EEEvSG_, .Lfunc_end729-_ZN7rocprim17ROCPRIM_400000_NS6detail17trampoline_kernelINS0_14default_configENS1_35radix_sort_onesweep_config_selectorIsNS0_10empty_typeEEEZZNS1_29radix_sort_onesweep_iterationIS3_Lb0EPKsPsPS5_SB_mNS0_19identity_decomposerENS1_16block_id_wrapperIjLb1EEEEE10hipError_tT1_PNSt15iterator_traitsISG_E10value_typeET2_T3_PNSH_ISM_E10value_typeET4_T5_PSR_SS_PNS1_23onesweep_lookback_stateEbbT6_jjT7_P12ihipStream_tbENKUlT_T0_SG_SL_E_clISA_SA_SB_SB_EEDaSZ_S10_SG_SL_EUlSZ_E_NS1_11comp_targetILNS1_3genE9ELNS1_11target_archE1100ELNS1_3gpuE3ELNS1_3repE0EEENS1_47radix_sort_onesweep_sort_config_static_selectorELNS0_4arch9wavefront6targetE0EEEvSG_
                                        ; -- End function
	.set _ZN7rocprim17ROCPRIM_400000_NS6detail17trampoline_kernelINS0_14default_configENS1_35radix_sort_onesweep_config_selectorIsNS0_10empty_typeEEEZZNS1_29radix_sort_onesweep_iterationIS3_Lb0EPKsPsPS5_SB_mNS0_19identity_decomposerENS1_16block_id_wrapperIjLb1EEEEE10hipError_tT1_PNSt15iterator_traitsISG_E10value_typeET2_T3_PNSH_ISM_E10value_typeET4_T5_PSR_SS_PNS1_23onesweep_lookback_stateEbbT6_jjT7_P12ihipStream_tbENKUlT_T0_SG_SL_E_clISA_SA_SB_SB_EEDaSZ_S10_SG_SL_EUlSZ_E_NS1_11comp_targetILNS1_3genE9ELNS1_11target_archE1100ELNS1_3gpuE3ELNS1_3repE0EEENS1_47radix_sort_onesweep_sort_config_static_selectorELNS0_4arch9wavefront6targetE0EEEvSG_.num_vgpr, 0
	.set _ZN7rocprim17ROCPRIM_400000_NS6detail17trampoline_kernelINS0_14default_configENS1_35radix_sort_onesweep_config_selectorIsNS0_10empty_typeEEEZZNS1_29radix_sort_onesweep_iterationIS3_Lb0EPKsPsPS5_SB_mNS0_19identity_decomposerENS1_16block_id_wrapperIjLb1EEEEE10hipError_tT1_PNSt15iterator_traitsISG_E10value_typeET2_T3_PNSH_ISM_E10value_typeET4_T5_PSR_SS_PNS1_23onesweep_lookback_stateEbbT6_jjT7_P12ihipStream_tbENKUlT_T0_SG_SL_E_clISA_SA_SB_SB_EEDaSZ_S10_SG_SL_EUlSZ_E_NS1_11comp_targetILNS1_3genE9ELNS1_11target_archE1100ELNS1_3gpuE3ELNS1_3repE0EEENS1_47radix_sort_onesweep_sort_config_static_selectorELNS0_4arch9wavefront6targetE0EEEvSG_.num_agpr, 0
	.set _ZN7rocprim17ROCPRIM_400000_NS6detail17trampoline_kernelINS0_14default_configENS1_35radix_sort_onesweep_config_selectorIsNS0_10empty_typeEEEZZNS1_29radix_sort_onesweep_iterationIS3_Lb0EPKsPsPS5_SB_mNS0_19identity_decomposerENS1_16block_id_wrapperIjLb1EEEEE10hipError_tT1_PNSt15iterator_traitsISG_E10value_typeET2_T3_PNSH_ISM_E10value_typeET4_T5_PSR_SS_PNS1_23onesweep_lookback_stateEbbT6_jjT7_P12ihipStream_tbENKUlT_T0_SG_SL_E_clISA_SA_SB_SB_EEDaSZ_S10_SG_SL_EUlSZ_E_NS1_11comp_targetILNS1_3genE9ELNS1_11target_archE1100ELNS1_3gpuE3ELNS1_3repE0EEENS1_47radix_sort_onesweep_sort_config_static_selectorELNS0_4arch9wavefront6targetE0EEEvSG_.numbered_sgpr, 0
	.set _ZN7rocprim17ROCPRIM_400000_NS6detail17trampoline_kernelINS0_14default_configENS1_35radix_sort_onesweep_config_selectorIsNS0_10empty_typeEEEZZNS1_29radix_sort_onesweep_iterationIS3_Lb0EPKsPsPS5_SB_mNS0_19identity_decomposerENS1_16block_id_wrapperIjLb1EEEEE10hipError_tT1_PNSt15iterator_traitsISG_E10value_typeET2_T3_PNSH_ISM_E10value_typeET4_T5_PSR_SS_PNS1_23onesweep_lookback_stateEbbT6_jjT7_P12ihipStream_tbENKUlT_T0_SG_SL_E_clISA_SA_SB_SB_EEDaSZ_S10_SG_SL_EUlSZ_E_NS1_11comp_targetILNS1_3genE9ELNS1_11target_archE1100ELNS1_3gpuE3ELNS1_3repE0EEENS1_47radix_sort_onesweep_sort_config_static_selectorELNS0_4arch9wavefront6targetE0EEEvSG_.num_named_barrier, 0
	.set _ZN7rocprim17ROCPRIM_400000_NS6detail17trampoline_kernelINS0_14default_configENS1_35radix_sort_onesweep_config_selectorIsNS0_10empty_typeEEEZZNS1_29radix_sort_onesweep_iterationIS3_Lb0EPKsPsPS5_SB_mNS0_19identity_decomposerENS1_16block_id_wrapperIjLb1EEEEE10hipError_tT1_PNSt15iterator_traitsISG_E10value_typeET2_T3_PNSH_ISM_E10value_typeET4_T5_PSR_SS_PNS1_23onesweep_lookback_stateEbbT6_jjT7_P12ihipStream_tbENKUlT_T0_SG_SL_E_clISA_SA_SB_SB_EEDaSZ_S10_SG_SL_EUlSZ_E_NS1_11comp_targetILNS1_3genE9ELNS1_11target_archE1100ELNS1_3gpuE3ELNS1_3repE0EEENS1_47radix_sort_onesweep_sort_config_static_selectorELNS0_4arch9wavefront6targetE0EEEvSG_.private_seg_size, 0
	.set _ZN7rocprim17ROCPRIM_400000_NS6detail17trampoline_kernelINS0_14default_configENS1_35radix_sort_onesweep_config_selectorIsNS0_10empty_typeEEEZZNS1_29radix_sort_onesweep_iterationIS3_Lb0EPKsPsPS5_SB_mNS0_19identity_decomposerENS1_16block_id_wrapperIjLb1EEEEE10hipError_tT1_PNSt15iterator_traitsISG_E10value_typeET2_T3_PNSH_ISM_E10value_typeET4_T5_PSR_SS_PNS1_23onesweep_lookback_stateEbbT6_jjT7_P12ihipStream_tbENKUlT_T0_SG_SL_E_clISA_SA_SB_SB_EEDaSZ_S10_SG_SL_EUlSZ_E_NS1_11comp_targetILNS1_3genE9ELNS1_11target_archE1100ELNS1_3gpuE3ELNS1_3repE0EEENS1_47radix_sort_onesweep_sort_config_static_selectorELNS0_4arch9wavefront6targetE0EEEvSG_.uses_vcc, 0
	.set _ZN7rocprim17ROCPRIM_400000_NS6detail17trampoline_kernelINS0_14default_configENS1_35radix_sort_onesweep_config_selectorIsNS0_10empty_typeEEEZZNS1_29radix_sort_onesweep_iterationIS3_Lb0EPKsPsPS5_SB_mNS0_19identity_decomposerENS1_16block_id_wrapperIjLb1EEEEE10hipError_tT1_PNSt15iterator_traitsISG_E10value_typeET2_T3_PNSH_ISM_E10value_typeET4_T5_PSR_SS_PNS1_23onesweep_lookback_stateEbbT6_jjT7_P12ihipStream_tbENKUlT_T0_SG_SL_E_clISA_SA_SB_SB_EEDaSZ_S10_SG_SL_EUlSZ_E_NS1_11comp_targetILNS1_3genE9ELNS1_11target_archE1100ELNS1_3gpuE3ELNS1_3repE0EEENS1_47radix_sort_onesweep_sort_config_static_selectorELNS0_4arch9wavefront6targetE0EEEvSG_.uses_flat_scratch, 0
	.set _ZN7rocprim17ROCPRIM_400000_NS6detail17trampoline_kernelINS0_14default_configENS1_35radix_sort_onesweep_config_selectorIsNS0_10empty_typeEEEZZNS1_29radix_sort_onesweep_iterationIS3_Lb0EPKsPsPS5_SB_mNS0_19identity_decomposerENS1_16block_id_wrapperIjLb1EEEEE10hipError_tT1_PNSt15iterator_traitsISG_E10value_typeET2_T3_PNSH_ISM_E10value_typeET4_T5_PSR_SS_PNS1_23onesweep_lookback_stateEbbT6_jjT7_P12ihipStream_tbENKUlT_T0_SG_SL_E_clISA_SA_SB_SB_EEDaSZ_S10_SG_SL_EUlSZ_E_NS1_11comp_targetILNS1_3genE9ELNS1_11target_archE1100ELNS1_3gpuE3ELNS1_3repE0EEENS1_47radix_sort_onesweep_sort_config_static_selectorELNS0_4arch9wavefront6targetE0EEEvSG_.has_dyn_sized_stack, 0
	.set _ZN7rocprim17ROCPRIM_400000_NS6detail17trampoline_kernelINS0_14default_configENS1_35radix_sort_onesweep_config_selectorIsNS0_10empty_typeEEEZZNS1_29radix_sort_onesweep_iterationIS3_Lb0EPKsPsPS5_SB_mNS0_19identity_decomposerENS1_16block_id_wrapperIjLb1EEEEE10hipError_tT1_PNSt15iterator_traitsISG_E10value_typeET2_T3_PNSH_ISM_E10value_typeET4_T5_PSR_SS_PNS1_23onesweep_lookback_stateEbbT6_jjT7_P12ihipStream_tbENKUlT_T0_SG_SL_E_clISA_SA_SB_SB_EEDaSZ_S10_SG_SL_EUlSZ_E_NS1_11comp_targetILNS1_3genE9ELNS1_11target_archE1100ELNS1_3gpuE3ELNS1_3repE0EEENS1_47radix_sort_onesweep_sort_config_static_selectorELNS0_4arch9wavefront6targetE0EEEvSG_.has_recursion, 0
	.set _ZN7rocprim17ROCPRIM_400000_NS6detail17trampoline_kernelINS0_14default_configENS1_35radix_sort_onesweep_config_selectorIsNS0_10empty_typeEEEZZNS1_29radix_sort_onesweep_iterationIS3_Lb0EPKsPsPS5_SB_mNS0_19identity_decomposerENS1_16block_id_wrapperIjLb1EEEEE10hipError_tT1_PNSt15iterator_traitsISG_E10value_typeET2_T3_PNSH_ISM_E10value_typeET4_T5_PSR_SS_PNS1_23onesweep_lookback_stateEbbT6_jjT7_P12ihipStream_tbENKUlT_T0_SG_SL_E_clISA_SA_SB_SB_EEDaSZ_S10_SG_SL_EUlSZ_E_NS1_11comp_targetILNS1_3genE9ELNS1_11target_archE1100ELNS1_3gpuE3ELNS1_3repE0EEENS1_47radix_sort_onesweep_sort_config_static_selectorELNS0_4arch9wavefront6targetE0EEEvSG_.has_indirect_call, 0
	.section	.AMDGPU.csdata,"",@progbits
; Kernel info:
; codeLenInByte = 0
; TotalNumSgprs: 0
; NumVgprs: 0
; ScratchSize: 0
; MemoryBound: 0
; FloatMode: 240
; IeeeMode: 1
; LDSByteSize: 0 bytes/workgroup (compile time only)
; SGPRBlocks: 0
; VGPRBlocks: 0
; NumSGPRsForWavesPerEU: 1
; NumVGPRsForWavesPerEU: 1
; NamedBarCnt: 0
; Occupancy: 16
; WaveLimiterHint : 0
; COMPUTE_PGM_RSRC2:SCRATCH_EN: 0
; COMPUTE_PGM_RSRC2:USER_SGPR: 2
; COMPUTE_PGM_RSRC2:TRAP_HANDLER: 0
; COMPUTE_PGM_RSRC2:TGID_X_EN: 1
; COMPUTE_PGM_RSRC2:TGID_Y_EN: 0
; COMPUTE_PGM_RSRC2:TGID_Z_EN: 0
; COMPUTE_PGM_RSRC2:TIDIG_COMP_CNT: 0
	.section	.text._ZN7rocprim17ROCPRIM_400000_NS6detail17trampoline_kernelINS0_14default_configENS1_35radix_sort_onesweep_config_selectorIsNS0_10empty_typeEEEZZNS1_29radix_sort_onesweep_iterationIS3_Lb0EPKsPsPS5_SB_mNS0_19identity_decomposerENS1_16block_id_wrapperIjLb1EEEEE10hipError_tT1_PNSt15iterator_traitsISG_E10value_typeET2_T3_PNSH_ISM_E10value_typeET4_T5_PSR_SS_PNS1_23onesweep_lookback_stateEbbT6_jjT7_P12ihipStream_tbENKUlT_T0_SG_SL_E_clISA_SA_SB_SB_EEDaSZ_S10_SG_SL_EUlSZ_E_NS1_11comp_targetILNS1_3genE8ELNS1_11target_archE1030ELNS1_3gpuE2ELNS1_3repE0EEENS1_47radix_sort_onesweep_sort_config_static_selectorELNS0_4arch9wavefront6targetE0EEEvSG_,"axG",@progbits,_ZN7rocprim17ROCPRIM_400000_NS6detail17trampoline_kernelINS0_14default_configENS1_35radix_sort_onesweep_config_selectorIsNS0_10empty_typeEEEZZNS1_29radix_sort_onesweep_iterationIS3_Lb0EPKsPsPS5_SB_mNS0_19identity_decomposerENS1_16block_id_wrapperIjLb1EEEEE10hipError_tT1_PNSt15iterator_traitsISG_E10value_typeET2_T3_PNSH_ISM_E10value_typeET4_T5_PSR_SS_PNS1_23onesweep_lookback_stateEbbT6_jjT7_P12ihipStream_tbENKUlT_T0_SG_SL_E_clISA_SA_SB_SB_EEDaSZ_S10_SG_SL_EUlSZ_E_NS1_11comp_targetILNS1_3genE8ELNS1_11target_archE1030ELNS1_3gpuE2ELNS1_3repE0EEENS1_47radix_sort_onesweep_sort_config_static_selectorELNS0_4arch9wavefront6targetE0EEEvSG_,comdat
	.protected	_ZN7rocprim17ROCPRIM_400000_NS6detail17trampoline_kernelINS0_14default_configENS1_35radix_sort_onesweep_config_selectorIsNS0_10empty_typeEEEZZNS1_29radix_sort_onesweep_iterationIS3_Lb0EPKsPsPS5_SB_mNS0_19identity_decomposerENS1_16block_id_wrapperIjLb1EEEEE10hipError_tT1_PNSt15iterator_traitsISG_E10value_typeET2_T3_PNSH_ISM_E10value_typeET4_T5_PSR_SS_PNS1_23onesweep_lookback_stateEbbT6_jjT7_P12ihipStream_tbENKUlT_T0_SG_SL_E_clISA_SA_SB_SB_EEDaSZ_S10_SG_SL_EUlSZ_E_NS1_11comp_targetILNS1_3genE8ELNS1_11target_archE1030ELNS1_3gpuE2ELNS1_3repE0EEENS1_47radix_sort_onesweep_sort_config_static_selectorELNS0_4arch9wavefront6targetE0EEEvSG_ ; -- Begin function _ZN7rocprim17ROCPRIM_400000_NS6detail17trampoline_kernelINS0_14default_configENS1_35radix_sort_onesweep_config_selectorIsNS0_10empty_typeEEEZZNS1_29radix_sort_onesweep_iterationIS3_Lb0EPKsPsPS5_SB_mNS0_19identity_decomposerENS1_16block_id_wrapperIjLb1EEEEE10hipError_tT1_PNSt15iterator_traitsISG_E10value_typeET2_T3_PNSH_ISM_E10value_typeET4_T5_PSR_SS_PNS1_23onesweep_lookback_stateEbbT6_jjT7_P12ihipStream_tbENKUlT_T0_SG_SL_E_clISA_SA_SB_SB_EEDaSZ_S10_SG_SL_EUlSZ_E_NS1_11comp_targetILNS1_3genE8ELNS1_11target_archE1030ELNS1_3gpuE2ELNS1_3repE0EEENS1_47radix_sort_onesweep_sort_config_static_selectorELNS0_4arch9wavefront6targetE0EEEvSG_
	.globl	_ZN7rocprim17ROCPRIM_400000_NS6detail17trampoline_kernelINS0_14default_configENS1_35radix_sort_onesweep_config_selectorIsNS0_10empty_typeEEEZZNS1_29radix_sort_onesweep_iterationIS3_Lb0EPKsPsPS5_SB_mNS0_19identity_decomposerENS1_16block_id_wrapperIjLb1EEEEE10hipError_tT1_PNSt15iterator_traitsISG_E10value_typeET2_T3_PNSH_ISM_E10value_typeET4_T5_PSR_SS_PNS1_23onesweep_lookback_stateEbbT6_jjT7_P12ihipStream_tbENKUlT_T0_SG_SL_E_clISA_SA_SB_SB_EEDaSZ_S10_SG_SL_EUlSZ_E_NS1_11comp_targetILNS1_3genE8ELNS1_11target_archE1030ELNS1_3gpuE2ELNS1_3repE0EEENS1_47radix_sort_onesweep_sort_config_static_selectorELNS0_4arch9wavefront6targetE0EEEvSG_
	.p2align	8
	.type	_ZN7rocprim17ROCPRIM_400000_NS6detail17trampoline_kernelINS0_14default_configENS1_35radix_sort_onesweep_config_selectorIsNS0_10empty_typeEEEZZNS1_29radix_sort_onesweep_iterationIS3_Lb0EPKsPsPS5_SB_mNS0_19identity_decomposerENS1_16block_id_wrapperIjLb1EEEEE10hipError_tT1_PNSt15iterator_traitsISG_E10value_typeET2_T3_PNSH_ISM_E10value_typeET4_T5_PSR_SS_PNS1_23onesweep_lookback_stateEbbT6_jjT7_P12ihipStream_tbENKUlT_T0_SG_SL_E_clISA_SA_SB_SB_EEDaSZ_S10_SG_SL_EUlSZ_E_NS1_11comp_targetILNS1_3genE8ELNS1_11target_archE1030ELNS1_3gpuE2ELNS1_3repE0EEENS1_47radix_sort_onesweep_sort_config_static_selectorELNS0_4arch9wavefront6targetE0EEEvSG_,@function
_ZN7rocprim17ROCPRIM_400000_NS6detail17trampoline_kernelINS0_14default_configENS1_35radix_sort_onesweep_config_selectorIsNS0_10empty_typeEEEZZNS1_29radix_sort_onesweep_iterationIS3_Lb0EPKsPsPS5_SB_mNS0_19identity_decomposerENS1_16block_id_wrapperIjLb1EEEEE10hipError_tT1_PNSt15iterator_traitsISG_E10value_typeET2_T3_PNSH_ISM_E10value_typeET4_T5_PSR_SS_PNS1_23onesweep_lookback_stateEbbT6_jjT7_P12ihipStream_tbENKUlT_T0_SG_SL_E_clISA_SA_SB_SB_EEDaSZ_S10_SG_SL_EUlSZ_E_NS1_11comp_targetILNS1_3genE8ELNS1_11target_archE1030ELNS1_3gpuE2ELNS1_3repE0EEENS1_47radix_sort_onesweep_sort_config_static_selectorELNS0_4arch9wavefront6targetE0EEEvSG_: ; @_ZN7rocprim17ROCPRIM_400000_NS6detail17trampoline_kernelINS0_14default_configENS1_35radix_sort_onesweep_config_selectorIsNS0_10empty_typeEEEZZNS1_29radix_sort_onesweep_iterationIS3_Lb0EPKsPsPS5_SB_mNS0_19identity_decomposerENS1_16block_id_wrapperIjLb1EEEEE10hipError_tT1_PNSt15iterator_traitsISG_E10value_typeET2_T3_PNSH_ISM_E10value_typeET4_T5_PSR_SS_PNS1_23onesweep_lookback_stateEbbT6_jjT7_P12ihipStream_tbENKUlT_T0_SG_SL_E_clISA_SA_SB_SB_EEDaSZ_S10_SG_SL_EUlSZ_E_NS1_11comp_targetILNS1_3genE8ELNS1_11target_archE1030ELNS1_3gpuE2ELNS1_3repE0EEENS1_47radix_sort_onesweep_sort_config_static_selectorELNS0_4arch9wavefront6targetE0EEEvSG_
; %bb.0:
	.section	.rodata,"a",@progbits
	.p2align	6, 0x0
	.amdhsa_kernel _ZN7rocprim17ROCPRIM_400000_NS6detail17trampoline_kernelINS0_14default_configENS1_35radix_sort_onesweep_config_selectorIsNS0_10empty_typeEEEZZNS1_29radix_sort_onesweep_iterationIS3_Lb0EPKsPsPS5_SB_mNS0_19identity_decomposerENS1_16block_id_wrapperIjLb1EEEEE10hipError_tT1_PNSt15iterator_traitsISG_E10value_typeET2_T3_PNSH_ISM_E10value_typeET4_T5_PSR_SS_PNS1_23onesweep_lookback_stateEbbT6_jjT7_P12ihipStream_tbENKUlT_T0_SG_SL_E_clISA_SA_SB_SB_EEDaSZ_S10_SG_SL_EUlSZ_E_NS1_11comp_targetILNS1_3genE8ELNS1_11target_archE1030ELNS1_3gpuE2ELNS1_3repE0EEENS1_47radix_sort_onesweep_sort_config_static_selectorELNS0_4arch9wavefront6targetE0EEEvSG_
		.amdhsa_group_segment_fixed_size 0
		.amdhsa_private_segment_fixed_size 0
		.amdhsa_kernarg_size 88
		.amdhsa_user_sgpr_count 2
		.amdhsa_user_sgpr_dispatch_ptr 0
		.amdhsa_user_sgpr_queue_ptr 0
		.amdhsa_user_sgpr_kernarg_segment_ptr 1
		.amdhsa_user_sgpr_dispatch_id 0
		.amdhsa_user_sgpr_kernarg_preload_length 0
		.amdhsa_user_sgpr_kernarg_preload_offset 0
		.amdhsa_user_sgpr_private_segment_size 0
		.amdhsa_wavefront_size32 1
		.amdhsa_uses_dynamic_stack 0
		.amdhsa_enable_private_segment 0
		.amdhsa_system_sgpr_workgroup_id_x 1
		.amdhsa_system_sgpr_workgroup_id_y 0
		.amdhsa_system_sgpr_workgroup_id_z 0
		.amdhsa_system_sgpr_workgroup_info 0
		.amdhsa_system_vgpr_workitem_id 0
		.amdhsa_next_free_vgpr 1
		.amdhsa_next_free_sgpr 1
		.amdhsa_named_barrier_count 0
		.amdhsa_reserve_vcc 0
		.amdhsa_float_round_mode_32 0
		.amdhsa_float_round_mode_16_64 0
		.amdhsa_float_denorm_mode_32 3
		.amdhsa_float_denorm_mode_16_64 3
		.amdhsa_fp16_overflow 0
		.amdhsa_memory_ordered 1
		.amdhsa_forward_progress 1
		.amdhsa_inst_pref_size 0
		.amdhsa_round_robin_scheduling 0
		.amdhsa_exception_fp_ieee_invalid_op 0
		.amdhsa_exception_fp_denorm_src 0
		.amdhsa_exception_fp_ieee_div_zero 0
		.amdhsa_exception_fp_ieee_overflow 0
		.amdhsa_exception_fp_ieee_underflow 0
		.amdhsa_exception_fp_ieee_inexact 0
		.amdhsa_exception_int_div_zero 0
	.end_amdhsa_kernel
	.section	.text._ZN7rocprim17ROCPRIM_400000_NS6detail17trampoline_kernelINS0_14default_configENS1_35radix_sort_onesweep_config_selectorIsNS0_10empty_typeEEEZZNS1_29radix_sort_onesweep_iterationIS3_Lb0EPKsPsPS5_SB_mNS0_19identity_decomposerENS1_16block_id_wrapperIjLb1EEEEE10hipError_tT1_PNSt15iterator_traitsISG_E10value_typeET2_T3_PNSH_ISM_E10value_typeET4_T5_PSR_SS_PNS1_23onesweep_lookback_stateEbbT6_jjT7_P12ihipStream_tbENKUlT_T0_SG_SL_E_clISA_SA_SB_SB_EEDaSZ_S10_SG_SL_EUlSZ_E_NS1_11comp_targetILNS1_3genE8ELNS1_11target_archE1030ELNS1_3gpuE2ELNS1_3repE0EEENS1_47radix_sort_onesweep_sort_config_static_selectorELNS0_4arch9wavefront6targetE0EEEvSG_,"axG",@progbits,_ZN7rocprim17ROCPRIM_400000_NS6detail17trampoline_kernelINS0_14default_configENS1_35radix_sort_onesweep_config_selectorIsNS0_10empty_typeEEEZZNS1_29radix_sort_onesweep_iterationIS3_Lb0EPKsPsPS5_SB_mNS0_19identity_decomposerENS1_16block_id_wrapperIjLb1EEEEE10hipError_tT1_PNSt15iterator_traitsISG_E10value_typeET2_T3_PNSH_ISM_E10value_typeET4_T5_PSR_SS_PNS1_23onesweep_lookback_stateEbbT6_jjT7_P12ihipStream_tbENKUlT_T0_SG_SL_E_clISA_SA_SB_SB_EEDaSZ_S10_SG_SL_EUlSZ_E_NS1_11comp_targetILNS1_3genE8ELNS1_11target_archE1030ELNS1_3gpuE2ELNS1_3repE0EEENS1_47radix_sort_onesweep_sort_config_static_selectorELNS0_4arch9wavefront6targetE0EEEvSG_,comdat
.Lfunc_end730:
	.size	_ZN7rocprim17ROCPRIM_400000_NS6detail17trampoline_kernelINS0_14default_configENS1_35radix_sort_onesweep_config_selectorIsNS0_10empty_typeEEEZZNS1_29radix_sort_onesweep_iterationIS3_Lb0EPKsPsPS5_SB_mNS0_19identity_decomposerENS1_16block_id_wrapperIjLb1EEEEE10hipError_tT1_PNSt15iterator_traitsISG_E10value_typeET2_T3_PNSH_ISM_E10value_typeET4_T5_PSR_SS_PNS1_23onesweep_lookback_stateEbbT6_jjT7_P12ihipStream_tbENKUlT_T0_SG_SL_E_clISA_SA_SB_SB_EEDaSZ_S10_SG_SL_EUlSZ_E_NS1_11comp_targetILNS1_3genE8ELNS1_11target_archE1030ELNS1_3gpuE2ELNS1_3repE0EEENS1_47radix_sort_onesweep_sort_config_static_selectorELNS0_4arch9wavefront6targetE0EEEvSG_, .Lfunc_end730-_ZN7rocprim17ROCPRIM_400000_NS6detail17trampoline_kernelINS0_14default_configENS1_35radix_sort_onesweep_config_selectorIsNS0_10empty_typeEEEZZNS1_29radix_sort_onesweep_iterationIS3_Lb0EPKsPsPS5_SB_mNS0_19identity_decomposerENS1_16block_id_wrapperIjLb1EEEEE10hipError_tT1_PNSt15iterator_traitsISG_E10value_typeET2_T3_PNSH_ISM_E10value_typeET4_T5_PSR_SS_PNS1_23onesweep_lookback_stateEbbT6_jjT7_P12ihipStream_tbENKUlT_T0_SG_SL_E_clISA_SA_SB_SB_EEDaSZ_S10_SG_SL_EUlSZ_E_NS1_11comp_targetILNS1_3genE8ELNS1_11target_archE1030ELNS1_3gpuE2ELNS1_3repE0EEENS1_47radix_sort_onesweep_sort_config_static_selectorELNS0_4arch9wavefront6targetE0EEEvSG_
                                        ; -- End function
	.set _ZN7rocprim17ROCPRIM_400000_NS6detail17trampoline_kernelINS0_14default_configENS1_35radix_sort_onesweep_config_selectorIsNS0_10empty_typeEEEZZNS1_29radix_sort_onesweep_iterationIS3_Lb0EPKsPsPS5_SB_mNS0_19identity_decomposerENS1_16block_id_wrapperIjLb1EEEEE10hipError_tT1_PNSt15iterator_traitsISG_E10value_typeET2_T3_PNSH_ISM_E10value_typeET4_T5_PSR_SS_PNS1_23onesweep_lookback_stateEbbT6_jjT7_P12ihipStream_tbENKUlT_T0_SG_SL_E_clISA_SA_SB_SB_EEDaSZ_S10_SG_SL_EUlSZ_E_NS1_11comp_targetILNS1_3genE8ELNS1_11target_archE1030ELNS1_3gpuE2ELNS1_3repE0EEENS1_47radix_sort_onesweep_sort_config_static_selectorELNS0_4arch9wavefront6targetE0EEEvSG_.num_vgpr, 0
	.set _ZN7rocprim17ROCPRIM_400000_NS6detail17trampoline_kernelINS0_14default_configENS1_35radix_sort_onesweep_config_selectorIsNS0_10empty_typeEEEZZNS1_29radix_sort_onesweep_iterationIS3_Lb0EPKsPsPS5_SB_mNS0_19identity_decomposerENS1_16block_id_wrapperIjLb1EEEEE10hipError_tT1_PNSt15iterator_traitsISG_E10value_typeET2_T3_PNSH_ISM_E10value_typeET4_T5_PSR_SS_PNS1_23onesweep_lookback_stateEbbT6_jjT7_P12ihipStream_tbENKUlT_T0_SG_SL_E_clISA_SA_SB_SB_EEDaSZ_S10_SG_SL_EUlSZ_E_NS1_11comp_targetILNS1_3genE8ELNS1_11target_archE1030ELNS1_3gpuE2ELNS1_3repE0EEENS1_47radix_sort_onesweep_sort_config_static_selectorELNS0_4arch9wavefront6targetE0EEEvSG_.num_agpr, 0
	.set _ZN7rocprim17ROCPRIM_400000_NS6detail17trampoline_kernelINS0_14default_configENS1_35radix_sort_onesweep_config_selectorIsNS0_10empty_typeEEEZZNS1_29radix_sort_onesweep_iterationIS3_Lb0EPKsPsPS5_SB_mNS0_19identity_decomposerENS1_16block_id_wrapperIjLb1EEEEE10hipError_tT1_PNSt15iterator_traitsISG_E10value_typeET2_T3_PNSH_ISM_E10value_typeET4_T5_PSR_SS_PNS1_23onesweep_lookback_stateEbbT6_jjT7_P12ihipStream_tbENKUlT_T0_SG_SL_E_clISA_SA_SB_SB_EEDaSZ_S10_SG_SL_EUlSZ_E_NS1_11comp_targetILNS1_3genE8ELNS1_11target_archE1030ELNS1_3gpuE2ELNS1_3repE0EEENS1_47radix_sort_onesweep_sort_config_static_selectorELNS0_4arch9wavefront6targetE0EEEvSG_.numbered_sgpr, 0
	.set _ZN7rocprim17ROCPRIM_400000_NS6detail17trampoline_kernelINS0_14default_configENS1_35radix_sort_onesweep_config_selectorIsNS0_10empty_typeEEEZZNS1_29radix_sort_onesweep_iterationIS3_Lb0EPKsPsPS5_SB_mNS0_19identity_decomposerENS1_16block_id_wrapperIjLb1EEEEE10hipError_tT1_PNSt15iterator_traitsISG_E10value_typeET2_T3_PNSH_ISM_E10value_typeET4_T5_PSR_SS_PNS1_23onesweep_lookback_stateEbbT6_jjT7_P12ihipStream_tbENKUlT_T0_SG_SL_E_clISA_SA_SB_SB_EEDaSZ_S10_SG_SL_EUlSZ_E_NS1_11comp_targetILNS1_3genE8ELNS1_11target_archE1030ELNS1_3gpuE2ELNS1_3repE0EEENS1_47radix_sort_onesweep_sort_config_static_selectorELNS0_4arch9wavefront6targetE0EEEvSG_.num_named_barrier, 0
	.set _ZN7rocprim17ROCPRIM_400000_NS6detail17trampoline_kernelINS0_14default_configENS1_35radix_sort_onesweep_config_selectorIsNS0_10empty_typeEEEZZNS1_29radix_sort_onesweep_iterationIS3_Lb0EPKsPsPS5_SB_mNS0_19identity_decomposerENS1_16block_id_wrapperIjLb1EEEEE10hipError_tT1_PNSt15iterator_traitsISG_E10value_typeET2_T3_PNSH_ISM_E10value_typeET4_T5_PSR_SS_PNS1_23onesweep_lookback_stateEbbT6_jjT7_P12ihipStream_tbENKUlT_T0_SG_SL_E_clISA_SA_SB_SB_EEDaSZ_S10_SG_SL_EUlSZ_E_NS1_11comp_targetILNS1_3genE8ELNS1_11target_archE1030ELNS1_3gpuE2ELNS1_3repE0EEENS1_47radix_sort_onesweep_sort_config_static_selectorELNS0_4arch9wavefront6targetE0EEEvSG_.private_seg_size, 0
	.set _ZN7rocprim17ROCPRIM_400000_NS6detail17trampoline_kernelINS0_14default_configENS1_35radix_sort_onesweep_config_selectorIsNS0_10empty_typeEEEZZNS1_29radix_sort_onesweep_iterationIS3_Lb0EPKsPsPS5_SB_mNS0_19identity_decomposerENS1_16block_id_wrapperIjLb1EEEEE10hipError_tT1_PNSt15iterator_traitsISG_E10value_typeET2_T3_PNSH_ISM_E10value_typeET4_T5_PSR_SS_PNS1_23onesweep_lookback_stateEbbT6_jjT7_P12ihipStream_tbENKUlT_T0_SG_SL_E_clISA_SA_SB_SB_EEDaSZ_S10_SG_SL_EUlSZ_E_NS1_11comp_targetILNS1_3genE8ELNS1_11target_archE1030ELNS1_3gpuE2ELNS1_3repE0EEENS1_47radix_sort_onesweep_sort_config_static_selectorELNS0_4arch9wavefront6targetE0EEEvSG_.uses_vcc, 0
	.set _ZN7rocprim17ROCPRIM_400000_NS6detail17trampoline_kernelINS0_14default_configENS1_35radix_sort_onesweep_config_selectorIsNS0_10empty_typeEEEZZNS1_29radix_sort_onesweep_iterationIS3_Lb0EPKsPsPS5_SB_mNS0_19identity_decomposerENS1_16block_id_wrapperIjLb1EEEEE10hipError_tT1_PNSt15iterator_traitsISG_E10value_typeET2_T3_PNSH_ISM_E10value_typeET4_T5_PSR_SS_PNS1_23onesweep_lookback_stateEbbT6_jjT7_P12ihipStream_tbENKUlT_T0_SG_SL_E_clISA_SA_SB_SB_EEDaSZ_S10_SG_SL_EUlSZ_E_NS1_11comp_targetILNS1_3genE8ELNS1_11target_archE1030ELNS1_3gpuE2ELNS1_3repE0EEENS1_47radix_sort_onesweep_sort_config_static_selectorELNS0_4arch9wavefront6targetE0EEEvSG_.uses_flat_scratch, 0
	.set _ZN7rocprim17ROCPRIM_400000_NS6detail17trampoline_kernelINS0_14default_configENS1_35radix_sort_onesweep_config_selectorIsNS0_10empty_typeEEEZZNS1_29radix_sort_onesweep_iterationIS3_Lb0EPKsPsPS5_SB_mNS0_19identity_decomposerENS1_16block_id_wrapperIjLb1EEEEE10hipError_tT1_PNSt15iterator_traitsISG_E10value_typeET2_T3_PNSH_ISM_E10value_typeET4_T5_PSR_SS_PNS1_23onesweep_lookback_stateEbbT6_jjT7_P12ihipStream_tbENKUlT_T0_SG_SL_E_clISA_SA_SB_SB_EEDaSZ_S10_SG_SL_EUlSZ_E_NS1_11comp_targetILNS1_3genE8ELNS1_11target_archE1030ELNS1_3gpuE2ELNS1_3repE0EEENS1_47radix_sort_onesweep_sort_config_static_selectorELNS0_4arch9wavefront6targetE0EEEvSG_.has_dyn_sized_stack, 0
	.set _ZN7rocprim17ROCPRIM_400000_NS6detail17trampoline_kernelINS0_14default_configENS1_35radix_sort_onesweep_config_selectorIsNS0_10empty_typeEEEZZNS1_29radix_sort_onesweep_iterationIS3_Lb0EPKsPsPS5_SB_mNS0_19identity_decomposerENS1_16block_id_wrapperIjLb1EEEEE10hipError_tT1_PNSt15iterator_traitsISG_E10value_typeET2_T3_PNSH_ISM_E10value_typeET4_T5_PSR_SS_PNS1_23onesweep_lookback_stateEbbT6_jjT7_P12ihipStream_tbENKUlT_T0_SG_SL_E_clISA_SA_SB_SB_EEDaSZ_S10_SG_SL_EUlSZ_E_NS1_11comp_targetILNS1_3genE8ELNS1_11target_archE1030ELNS1_3gpuE2ELNS1_3repE0EEENS1_47radix_sort_onesweep_sort_config_static_selectorELNS0_4arch9wavefront6targetE0EEEvSG_.has_recursion, 0
	.set _ZN7rocprim17ROCPRIM_400000_NS6detail17trampoline_kernelINS0_14default_configENS1_35radix_sort_onesweep_config_selectorIsNS0_10empty_typeEEEZZNS1_29radix_sort_onesweep_iterationIS3_Lb0EPKsPsPS5_SB_mNS0_19identity_decomposerENS1_16block_id_wrapperIjLb1EEEEE10hipError_tT1_PNSt15iterator_traitsISG_E10value_typeET2_T3_PNSH_ISM_E10value_typeET4_T5_PSR_SS_PNS1_23onesweep_lookback_stateEbbT6_jjT7_P12ihipStream_tbENKUlT_T0_SG_SL_E_clISA_SA_SB_SB_EEDaSZ_S10_SG_SL_EUlSZ_E_NS1_11comp_targetILNS1_3genE8ELNS1_11target_archE1030ELNS1_3gpuE2ELNS1_3repE0EEENS1_47radix_sort_onesweep_sort_config_static_selectorELNS0_4arch9wavefront6targetE0EEEvSG_.has_indirect_call, 0
	.section	.AMDGPU.csdata,"",@progbits
; Kernel info:
; codeLenInByte = 0
; TotalNumSgprs: 0
; NumVgprs: 0
; ScratchSize: 0
; MemoryBound: 0
; FloatMode: 240
; IeeeMode: 1
; LDSByteSize: 0 bytes/workgroup (compile time only)
; SGPRBlocks: 0
; VGPRBlocks: 0
; NumSGPRsForWavesPerEU: 1
; NumVGPRsForWavesPerEU: 1
; NamedBarCnt: 0
; Occupancy: 16
; WaveLimiterHint : 0
; COMPUTE_PGM_RSRC2:SCRATCH_EN: 0
; COMPUTE_PGM_RSRC2:USER_SGPR: 2
; COMPUTE_PGM_RSRC2:TRAP_HANDLER: 0
; COMPUTE_PGM_RSRC2:TGID_X_EN: 1
; COMPUTE_PGM_RSRC2:TGID_Y_EN: 0
; COMPUTE_PGM_RSRC2:TGID_Z_EN: 0
; COMPUTE_PGM_RSRC2:TIDIG_COMP_CNT: 0
	.section	.text._ZN7rocprim17ROCPRIM_400000_NS6detail17trampoline_kernelINS0_14default_configENS1_35radix_sort_onesweep_config_selectorIsNS0_10empty_typeEEEZZNS1_29radix_sort_onesweep_iterationIS3_Lb0EPKsPsPS5_SB_mNS0_19identity_decomposerENS1_16block_id_wrapperIjLb0EEEEE10hipError_tT1_PNSt15iterator_traitsISG_E10value_typeET2_T3_PNSH_ISM_E10value_typeET4_T5_PSR_SS_PNS1_23onesweep_lookback_stateEbbT6_jjT7_P12ihipStream_tbENKUlT_T0_SG_SL_E_clIS9_SA_SB_SB_EEDaSZ_S10_SG_SL_EUlSZ_E_NS1_11comp_targetILNS1_3genE0ELNS1_11target_archE4294967295ELNS1_3gpuE0ELNS1_3repE0EEENS1_47radix_sort_onesweep_sort_config_static_selectorELNS0_4arch9wavefront6targetE0EEEvSG_,"axG",@progbits,_ZN7rocprim17ROCPRIM_400000_NS6detail17trampoline_kernelINS0_14default_configENS1_35radix_sort_onesweep_config_selectorIsNS0_10empty_typeEEEZZNS1_29radix_sort_onesweep_iterationIS3_Lb0EPKsPsPS5_SB_mNS0_19identity_decomposerENS1_16block_id_wrapperIjLb0EEEEE10hipError_tT1_PNSt15iterator_traitsISG_E10value_typeET2_T3_PNSH_ISM_E10value_typeET4_T5_PSR_SS_PNS1_23onesweep_lookback_stateEbbT6_jjT7_P12ihipStream_tbENKUlT_T0_SG_SL_E_clIS9_SA_SB_SB_EEDaSZ_S10_SG_SL_EUlSZ_E_NS1_11comp_targetILNS1_3genE0ELNS1_11target_archE4294967295ELNS1_3gpuE0ELNS1_3repE0EEENS1_47radix_sort_onesweep_sort_config_static_selectorELNS0_4arch9wavefront6targetE0EEEvSG_,comdat
	.protected	_ZN7rocprim17ROCPRIM_400000_NS6detail17trampoline_kernelINS0_14default_configENS1_35radix_sort_onesweep_config_selectorIsNS0_10empty_typeEEEZZNS1_29radix_sort_onesweep_iterationIS3_Lb0EPKsPsPS5_SB_mNS0_19identity_decomposerENS1_16block_id_wrapperIjLb0EEEEE10hipError_tT1_PNSt15iterator_traitsISG_E10value_typeET2_T3_PNSH_ISM_E10value_typeET4_T5_PSR_SS_PNS1_23onesweep_lookback_stateEbbT6_jjT7_P12ihipStream_tbENKUlT_T0_SG_SL_E_clIS9_SA_SB_SB_EEDaSZ_S10_SG_SL_EUlSZ_E_NS1_11comp_targetILNS1_3genE0ELNS1_11target_archE4294967295ELNS1_3gpuE0ELNS1_3repE0EEENS1_47radix_sort_onesweep_sort_config_static_selectorELNS0_4arch9wavefront6targetE0EEEvSG_ ; -- Begin function _ZN7rocprim17ROCPRIM_400000_NS6detail17trampoline_kernelINS0_14default_configENS1_35radix_sort_onesweep_config_selectorIsNS0_10empty_typeEEEZZNS1_29radix_sort_onesweep_iterationIS3_Lb0EPKsPsPS5_SB_mNS0_19identity_decomposerENS1_16block_id_wrapperIjLb0EEEEE10hipError_tT1_PNSt15iterator_traitsISG_E10value_typeET2_T3_PNSH_ISM_E10value_typeET4_T5_PSR_SS_PNS1_23onesweep_lookback_stateEbbT6_jjT7_P12ihipStream_tbENKUlT_T0_SG_SL_E_clIS9_SA_SB_SB_EEDaSZ_S10_SG_SL_EUlSZ_E_NS1_11comp_targetILNS1_3genE0ELNS1_11target_archE4294967295ELNS1_3gpuE0ELNS1_3repE0EEENS1_47radix_sort_onesweep_sort_config_static_selectorELNS0_4arch9wavefront6targetE0EEEvSG_
	.globl	_ZN7rocprim17ROCPRIM_400000_NS6detail17trampoline_kernelINS0_14default_configENS1_35radix_sort_onesweep_config_selectorIsNS0_10empty_typeEEEZZNS1_29radix_sort_onesweep_iterationIS3_Lb0EPKsPsPS5_SB_mNS0_19identity_decomposerENS1_16block_id_wrapperIjLb0EEEEE10hipError_tT1_PNSt15iterator_traitsISG_E10value_typeET2_T3_PNSH_ISM_E10value_typeET4_T5_PSR_SS_PNS1_23onesweep_lookback_stateEbbT6_jjT7_P12ihipStream_tbENKUlT_T0_SG_SL_E_clIS9_SA_SB_SB_EEDaSZ_S10_SG_SL_EUlSZ_E_NS1_11comp_targetILNS1_3genE0ELNS1_11target_archE4294967295ELNS1_3gpuE0ELNS1_3repE0EEENS1_47radix_sort_onesweep_sort_config_static_selectorELNS0_4arch9wavefront6targetE0EEEvSG_
	.p2align	8
	.type	_ZN7rocprim17ROCPRIM_400000_NS6detail17trampoline_kernelINS0_14default_configENS1_35radix_sort_onesweep_config_selectorIsNS0_10empty_typeEEEZZNS1_29radix_sort_onesweep_iterationIS3_Lb0EPKsPsPS5_SB_mNS0_19identity_decomposerENS1_16block_id_wrapperIjLb0EEEEE10hipError_tT1_PNSt15iterator_traitsISG_E10value_typeET2_T3_PNSH_ISM_E10value_typeET4_T5_PSR_SS_PNS1_23onesweep_lookback_stateEbbT6_jjT7_P12ihipStream_tbENKUlT_T0_SG_SL_E_clIS9_SA_SB_SB_EEDaSZ_S10_SG_SL_EUlSZ_E_NS1_11comp_targetILNS1_3genE0ELNS1_11target_archE4294967295ELNS1_3gpuE0ELNS1_3repE0EEENS1_47radix_sort_onesweep_sort_config_static_selectorELNS0_4arch9wavefront6targetE0EEEvSG_,@function
_ZN7rocprim17ROCPRIM_400000_NS6detail17trampoline_kernelINS0_14default_configENS1_35radix_sort_onesweep_config_selectorIsNS0_10empty_typeEEEZZNS1_29radix_sort_onesweep_iterationIS3_Lb0EPKsPsPS5_SB_mNS0_19identity_decomposerENS1_16block_id_wrapperIjLb0EEEEE10hipError_tT1_PNSt15iterator_traitsISG_E10value_typeET2_T3_PNSH_ISM_E10value_typeET4_T5_PSR_SS_PNS1_23onesweep_lookback_stateEbbT6_jjT7_P12ihipStream_tbENKUlT_T0_SG_SL_E_clIS9_SA_SB_SB_EEDaSZ_S10_SG_SL_EUlSZ_E_NS1_11comp_targetILNS1_3genE0ELNS1_11target_archE4294967295ELNS1_3gpuE0ELNS1_3repE0EEENS1_47radix_sort_onesweep_sort_config_static_selectorELNS0_4arch9wavefront6targetE0EEEvSG_: ; @_ZN7rocprim17ROCPRIM_400000_NS6detail17trampoline_kernelINS0_14default_configENS1_35radix_sort_onesweep_config_selectorIsNS0_10empty_typeEEEZZNS1_29radix_sort_onesweep_iterationIS3_Lb0EPKsPsPS5_SB_mNS0_19identity_decomposerENS1_16block_id_wrapperIjLb0EEEEE10hipError_tT1_PNSt15iterator_traitsISG_E10value_typeET2_T3_PNSH_ISM_E10value_typeET4_T5_PSR_SS_PNS1_23onesweep_lookback_stateEbbT6_jjT7_P12ihipStream_tbENKUlT_T0_SG_SL_E_clIS9_SA_SB_SB_EEDaSZ_S10_SG_SL_EUlSZ_E_NS1_11comp_targetILNS1_3genE0ELNS1_11target_archE4294967295ELNS1_3gpuE0ELNS1_3repE0EEENS1_47radix_sort_onesweep_sort_config_static_selectorELNS0_4arch9wavefront6targetE0EEEvSG_
; %bb.0:
	s_clause 0x3
	s_load_b96 s[20:22], s[0:1], 0x44
	s_load_b64 s[10:11], s[0:1], 0x38
	s_load_b128 s[16:19], s[0:1], 0x0
	s_load_b128 s[12:15], s[0:1], 0x28
	s_bfe_u32 s2, ttmp6, 0x4000c
	s_and_b32 s3, ttmp6, 15
	s_add_co_i32 s2, s2, 1
	s_getreg_b32 s4, hwreg(HW_REG_IB_STS2, 6, 4)
	s_mul_i32 s5, ttmp9, s2
	v_mbcnt_lo_u32_b32 v14, -1, 0
	s_add_co_i32 s3, s3, s5
	s_cmp_eq_u32 s4, 0
	v_and_b32_e32 v15, 0x1e0, v0
	s_cselect_b32 s9, ttmp9, s3
	s_mov_b32 s25, 0
	s_mov_b32 s2, -1
	s_mul_i32 s24, s9, 0x1800
	s_add_nc_u64 s[26:27], s[0:1], 0x58
	s_wait_kmcnt 0x0
	s_cmp_ge_u32 s9, s22
	s_cbranch_scc0 .LBB731_96
; %bb.1:
	s_load_b32 s4, s[0:1], 0x20
	v_dual_mov_b32 v9, 0 :: v_dual_lshlrev_b32 v8, 1, v14
	s_lshl_b64 s[2:3], s[24:25], 1
	v_mul_u32_u24_e32 v1, 12, v15
	s_add_nc_u64 s[2:3], s[16:17], s[2:3]
	v_mov_b32_e32 v2, 0x7fff7fff
	v_add_nc_u64_e32 v[10:11], s[2:3], v[8:9]
	s_mul_i32 s5, s22, 0xffffe800
	v_dual_lshlrev_b32 v8, 1, v1 :: v_dual_bitop2_b32 v1, v14, v1 bitop3:0x54
	s_delay_alu instid0(VALU_DEP_3) | instskip(SKIP_1) | instid1(VALU_DEP_3)
	v_dual_mov_b32 v3, v2 :: v_dual_mov_b32 v4, v2
	v_dual_mov_b32 v5, v2 :: v_dual_mov_b32 v6, v2
	v_add_nc_u64_e32 v[10:11], v[10:11], v[8:9]
	v_mov_b32_e32 v7, v2
	s_mov_b32 s2, exec_lo
	s_wait_kmcnt 0x0
	s_add_co_i32 s22, s4, s5
	s_delay_alu instid0(SALU_CYCLE_1)
	v_cmpx_gt_u32_e64 s22, v1
	s_cbranch_execz .LBB731_3
; %bb.2:
	global_load_u16 v3, v[10:11], off
	s_movk_i32 s3, 0x7fff
	v_dual_mov_b32 v5, v2 :: v_dual_mov_b32 v6, v2
	v_dual_mov_b32 v7, v2 :: v_dual_mov_b32 v8, v2
	v_mov_b32_e32 v9, v2
	s_wait_loadcnt 0x0
	v_perm_b32 v4, s3, v3, 0x5040100
	s_delay_alu instid0(VALU_DEP_1)
	v_mov_b64_e32 v[2:3], v[4:5]
	v_mov_b64_e32 v[4:5], v[6:7]
	v_mov_b64_e32 v[6:7], v[8:9]
	v_mov_b64_e32 v[8:9], v[10:11]
.LBB731_3:
	s_or_b32 exec_lo, exec_lo, s2
	v_or_b32_e32 v8, 32, v1
	s_mov_b32 s2, exec_lo
	s_delay_alu instid0(VALU_DEP_1)
	v_cmpx_gt_u32_e64 s22, v8
	s_cbranch_execz .LBB731_5
; %bb.4:
	global_load_u16 v8, v[10:11], off offset:64
	s_wait_loadcnt 0x0
	v_perm_b32 v2, v8, v2, 0x5040100
.LBB731_5:
	s_or_b32 exec_lo, exec_lo, s2
	v_or_b32_e32 v8, 64, v1
	s_mov_b32 s2, exec_lo
	s_delay_alu instid0(VALU_DEP_1)
	v_cmpx_gt_u32_e64 s22, v8
	s_cbranch_execz .LBB731_7
; %bb.6:
	global_load_u16 v8, v[10:11], off offset:128
	s_wait_loadcnt 0x0
	v_bfi_b32 v3, 0xffff, v8, v3
.LBB731_7:
	s_or_b32 exec_lo, exec_lo, s2
	v_or_b32_e32 v8, 0x60, v1
	s_mov_b32 s2, exec_lo
	s_delay_alu instid0(VALU_DEP_1)
	v_cmpx_gt_u32_e64 s22, v8
	s_cbranch_execz .LBB731_9
; %bb.8:
	global_load_u16 v8, v[10:11], off offset:192
	s_wait_loadcnt 0x0
	v_perm_b32 v3, v8, v3, 0x5040100
.LBB731_9:
	s_or_b32 exec_lo, exec_lo, s2
	v_add_nc_u32_e32 v8, 0x80, v1
	s_mov_b32 s2, exec_lo
	s_delay_alu instid0(VALU_DEP_1)
	v_cmpx_gt_u32_e64 s22, v8
	s_cbranch_execz .LBB731_11
; %bb.10:
	global_load_u16 v8, v[10:11], off offset:256
	s_wait_loadcnt 0x0
	v_bfi_b32 v4, 0xffff, v8, v4
.LBB731_11:
	s_or_b32 exec_lo, exec_lo, s2
	v_add_nc_u32_e32 v8, 0xa0, v1
	s_mov_b32 s2, exec_lo
	s_delay_alu instid0(VALU_DEP_1)
	v_cmpx_gt_u32_e64 s22, v8
	s_cbranch_execz .LBB731_13
; %bb.12:
	global_load_u16 v8, v[10:11], off offset:320
	s_wait_loadcnt 0x0
	v_perm_b32 v4, v8, v4, 0x5040100
.LBB731_13:
	s_or_b32 exec_lo, exec_lo, s2
	v_add_nc_u32_e32 v8, 0xc0, v1
	s_mov_b32 s2, exec_lo
	s_delay_alu instid0(VALU_DEP_1)
	v_cmpx_gt_u32_e64 s22, v8
	s_cbranch_execz .LBB731_15
; %bb.14:
	global_load_u16 v8, v[10:11], off offset:384
	s_wait_loadcnt 0x0
	v_bfi_b32 v5, 0xffff, v8, v5
.LBB731_15:
	s_or_b32 exec_lo, exec_lo, s2
	v_add_nc_u32_e32 v8, 0xe0, v1
	;; [unrolled: 22-line block ×4, first 2 shown]
	v_and_b32_e32 v1, 0x3ff, v0
	s_mov_b32 s2, exec_lo
	s_delay_alu instid0(VALU_DEP_2)
	v_cmpx_gt_u32_e64 s22, v8
	s_cbranch_execz .LBB731_25
; %bb.24:
	global_load_u16 v8, v[10:11], off offset:704
	s_wait_loadcnt 0x0
	v_perm_b32 v7, v8, v7, 0x5040100
.LBB731_25:
	s_or_b32 exec_lo, exec_lo, s2
	s_clause 0x1
	s_load_b32 s23, s[0:1], 0x58
	s_load_u16 s4, s[0:1], 0x66
	v_xor_b32_e32 v10, 0xffff8000, v2
	v_bfe_u32 v9, v0, 10, 10
	v_bfe_u32 v11, v0, 20, 10
	s_mov_b32 s3, 0
	s_delay_alu instid0(VALU_DEP_3) | instskip(NEXT) | instid1(VALU_DEP_1)
	v_and_b32_e32 v8, 0xffff, v10
	v_lshrrev_b32_e32 v8, s20, v8
	s_wait_kmcnt 0x0
	s_cmp_lt_u32 s9, s23
	v_mad_u32_u24 v9, v11, s4, v9
	s_cselect_b32 s2, 12, 18
	s_lshl_b32 s25, -1, s21
	s_add_nc_u64 s[2:3], s[26:27], s[2:3]
	v_bitop3_b32 v11, v8, 1, s25 bitop3:0x40
	v_bitop3_b32 v12, v8, s25, v8 bitop3:0x30
	s_load_u16 s28, s[2:3], 0x0
	s_not_b32 s25, s25
	s_wait_xcnt 0x0
	v_add_co_u32 v8, s2, v11, -1
	s_delay_alu instid0(VALU_DEP_1) | instskip(SKIP_2) | instid1(VALU_DEP_3)
	v_cndmask_b32_e64 v11, 0, 1, s2
	v_dual_lshlrev_b32 v13, 30, v12 :: v_dual_lshlrev_b32 v16, 29, v12
	v_dual_lshlrev_b32 v17, 28, v12 :: v_dual_lshlrev_b32 v18, 27, v12
	v_cmp_ne_u32_e32 vcc_lo, 0, v11
	s_delay_alu instid0(VALU_DEP_3)
	v_not_b32_e32 v11, v13
	v_dual_lshlrev_b32 v19, 26, v12 :: v_dual_lshlrev_b32 v20, 25, v12
	v_cmp_gt_i32_e64 s2, 0, v13
	v_cmp_gt_i32_e64 s3, 0, v16
	v_not_b32_e32 v13, v16
	v_not_b32_e32 v16, v17
	v_dual_ashrrev_i32 v11, 31, v11 :: v_dual_lshlrev_b32 v21, 24, v12
	v_cmp_gt_i32_e64 s4, 0, v17
	v_cmp_gt_i32_e64 s5, 0, v18
	v_not_b32_e32 v17, v18
	v_not_b32_e32 v18, v19
	v_dual_ashrrev_i32 v13, 31, v13 :: v_dual_bitop2_b32 v8, vcc_lo, v8 bitop3:0x14
	v_dual_ashrrev_i32 v16, 31, v16 :: v_dual_bitop2_b32 v11, s2, v11 bitop3:0x14
	v_cmp_gt_i32_e64 s6, 0, v19
	v_not_b32_e32 v19, v20
	v_dual_ashrrev_i32 v17, 31, v17 :: v_dual_ashrrev_i32 v18, 31, v18
	v_xor_b32_e32 v13, s3, v13
	s_delay_alu instid0(VALU_DEP_3)
	v_dual_ashrrev_i32 v19, 31, v19 :: v_dual_bitop2_b32 v16, s4, v16 bitop3:0x14
	v_bitop3_b32 v8, v8, v11, exec_lo bitop3:0x80
	v_not_b32_e32 v11, v21
	v_cmp_gt_i32_e64 s7, 0, v20
	v_cmp_gt_i32_e64 s8, 0, v21
	v_xor_b32_e32 v17, s5, v17
	v_xor_b32_e32 v18, s6, v18
	v_bitop3_b32 v8, v8, v16, v13 bitop3:0x80
	v_ashrrev_i32_e32 v11, 31, v11
	s_wait_kmcnt 0x0
	v_mad_u32 v20, v9, s28, v1
	v_dual_mov_b32 v16, 0 :: v_dual_bitop2_b32 v19, s7, v19 bitop3:0x14
	v_bitop3_b32 v8, v8, v18, v17 bitop3:0x80
	v_mul_u32_u24_e32 v12, 0x44, v12
	v_xor_b32_e32 v9, s8, v11
	v_mul_u32_u24_e32 v13, 36, v1
	ds_store_2addr_b32 v13, v16, v16 offset0:16 offset1:17
	ds_store_2addr_b32 v13, v16, v16 offset0:18 offset1:19
	;; [unrolled: 1-line block ×4, first 2 shown]
	v_bitop3_b32 v9, v8, v9, v19 bitop3:0x80
	v_lshrrev_b32_e32 v8, 3, v20
	ds_store_b32 v13, v16 offset:96
	s_wait_dscnt 0x0
	s_barrier_signal -1
	v_mbcnt_lo_u32_b32 v11, v9, 0
	v_and_b32_e32 v8, 0x1ffffffc, v8
	v_cmp_ne_u32_e64 s2, 0, v9
	s_barrier_wait -1
	s_delay_alu instid0(VALU_DEP_3) | instskip(NEXT) | instid1(VALU_DEP_3)
	v_cmp_eq_u32_e32 vcc_lo, 0, v11
	v_add_nc_u32_e32 v16, v8, v12
	; wave barrier
	s_and_b32 s3, s2, vcc_lo
	s_delay_alu instid0(SALU_CYCLE_1)
	s_and_saveexec_b32 s2, s3
; %bb.26:
	v_bcnt_u32_b32 v9, v9, 0
	ds_store_b32 v16, v9 offset:64
; %bb.27:
	s_or_b32 exec_lo, exec_lo, s2
	v_lshrrev_b32_e32 v2, 16, v2
	; wave barrier
	s_delay_alu instid0(VALU_DEP_1) | instskip(NEXT) | instid1(VALU_DEP_1)
	v_xor_b32_e32 v12, 0xffff8000, v2
	v_and_b32_e32 v2, 0xffff, v12
	s_delay_alu instid0(VALU_DEP_1) | instskip(NEXT) | instid1(VALU_DEP_1)
	v_lshrrev_b32_e32 v2, s20, v2
	v_and_b32_e32 v17, s25, v2
	s_delay_alu instid0(VALU_DEP_1) | instskip(SKIP_2) | instid1(VALU_DEP_3)
	v_lshlrev_b32_e32 v19, 29, v17
	v_bitop3_b32 v9, v2, 1, s25 bitop3:0x80
	v_lshlrev_b32_e32 v18, 30, v17
	v_cmp_gt_i32_e64 s3, 0, v19
	s_delay_alu instid0(VALU_DEP_3) | instskip(NEXT) | instid1(VALU_DEP_1)
	v_add_co_u32 v2, s2, v9, -1
	v_cndmask_b32_e64 v9, 0, 1, s2
	s_delay_alu instid0(VALU_DEP_4) | instskip(NEXT) | instid1(VALU_DEP_2)
	v_cmp_gt_i32_e64 s2, 0, v18
	v_cmp_ne_u32_e32 vcc_lo, 0, v9
	v_not_b32_e32 v9, v18
	v_not_b32_e32 v18, v19
	s_delay_alu instid0(VALU_DEP_2) | instskip(SKIP_3) | instid1(VALU_DEP_3)
	v_dual_ashrrev_i32 v9, 31, v9 :: v_dual_bitop2_b32 v2, vcc_lo, v2 bitop3:0x14
	v_dual_lshlrev_b32 v20, 28, v17 :: v_dual_lshlrev_b32 v21, 27, v17
	v_dual_lshlrev_b32 v22, 26, v17 :: v_dual_lshlrev_b32 v23, 25, v17
	v_lshlrev_b32_e32 v24, 24, v17
	v_not_b32_e32 v19, v20
	v_cmp_gt_i32_e64 s4, 0, v20
	v_cmp_gt_i32_e64 s5, 0, v21
	v_not_b32_e32 v20, v21
	v_not_b32_e32 v21, v22
	v_dual_ashrrev_i32 v18, 31, v18 :: v_dual_ashrrev_i32 v19, 31, v19
	s_delay_alu instid0(VALU_DEP_3)
	v_dual_ashrrev_i32 v20, 31, v20 :: v_dual_bitop2_b32 v9, s2, v9 bitop3:0x14
	v_cmp_gt_i32_e64 s6, 0, v22
	v_cmp_gt_i32_e64 s7, 0, v23
	v_not_b32_e32 v22, v23
	v_not_b32_e32 v23, v24
	v_dual_ashrrev_i32 v21, 31, v21 :: v_dual_bitop2_b32 v18, s3, v18 bitop3:0x14
	v_xor_b32_e32 v19, s4, v19
	v_bitop3_b32 v2, v2, v9, exec_lo bitop3:0x80
	v_cmp_gt_i32_e64 s8, 0, v24
	v_dual_ashrrev_i32 v9, 31, v22 :: v_dual_ashrrev_i32 v22, 31, v23
	v_xor_b32_e32 v20, s5, v20
	v_xor_b32_e32 v21, s6, v21
	v_bitop3_b32 v2, v2, v19, v18 bitop3:0x80
	v_mad_u32_u24 v18, 0x44, v17, v8
	v_xor_b32_e32 v9, s7, v9
	v_xor_b32_e32 v19, s8, v22
	s_delay_alu instid0(VALU_DEP_4) | instskip(SKIP_3) | instid1(VALU_DEP_2)
	v_bitop3_b32 v2, v2, v21, v20 bitop3:0x80
	ds_load_b32 v18, v18 offset:64
	; wave barrier
	v_bitop3_b32 v2, v2, v19, v9 bitop3:0x80
	v_mul_u32_u24_e32 v9, 0x44, v17
	v_mbcnt_lo_u32_b32 v19, v2, 0
	v_cmp_ne_u32_e64 s2, 0, v2
	s_delay_alu instid0(VALU_DEP_3) | instskip(NEXT) | instid1(VALU_DEP_3)
	v_add_nc_u32_e32 v20, v8, v9
	v_cmp_eq_u32_e32 vcc_lo, 0, v19
	s_and_b32 s3, s2, vcc_lo
	s_delay_alu instid0(SALU_CYCLE_1)
	s_and_saveexec_b32 s2, s3
	s_cbranch_execz .LBB731_29
; %bb.28:
	s_wait_dscnt 0x0
	v_bcnt_u32_b32 v2, v2, v18
	ds_store_b32 v20, v2 offset:64
.LBB731_29:
	s_or_b32 exec_lo, exec_lo, s2
	v_xor_b32_e32 v17, 0xffff8000, v3
	; wave barrier
	s_delay_alu instid0(VALU_DEP_1) | instskip(NEXT) | instid1(VALU_DEP_1)
	v_and_b32_e32 v2, 0xffff, v17
	v_lshrrev_b32_e32 v2, s20, v2
	s_delay_alu instid0(VALU_DEP_1) | instskip(NEXT) | instid1(VALU_DEP_1)
	v_and_b32_e32 v21, s25, v2
	v_lshlrev_b32_e32 v22, 30, v21
	v_bitop3_b32 v9, v2, 1, s25 bitop3:0x80
	s_delay_alu instid0(VALU_DEP_1) | instskip(NEXT) | instid1(VALU_DEP_1)
	v_add_co_u32 v2, s2, v9, -1
	v_cndmask_b32_e64 v9, 0, 1, s2
	s_delay_alu instid0(VALU_DEP_4) | instskip(NEXT) | instid1(VALU_DEP_2)
	v_cmp_gt_i32_e64 s2, 0, v22
	v_cmp_ne_u32_e32 vcc_lo, 0, v9
	v_not_b32_e32 v9, v22
	s_delay_alu instid0(VALU_DEP_1) | instskip(SKIP_3) | instid1(VALU_DEP_3)
	v_ashrrev_i32_e32 v9, 31, v9
	v_dual_lshlrev_b32 v23, 29, v21 :: v_dual_lshlrev_b32 v24, 28, v21
	v_dual_lshlrev_b32 v25, 27, v21 :: v_dual_lshlrev_b32 v26, 26, v21
	v_dual_lshlrev_b32 v27, 25, v21 :: v_dual_lshlrev_b32 v28, 24, v21
	v_cmp_gt_i32_e64 s3, 0, v23
	v_not_b32_e32 v22, v23
	v_not_b32_e32 v23, v24
	v_cmp_gt_i32_e64 s4, 0, v24
	v_cmp_gt_i32_e64 s5, 0, v25
	v_not_b32_e32 v24, v25
	v_not_b32_e32 v25, v26
	v_dual_ashrrev_i32 v23, 31, v23 :: v_dual_bitop2_b32 v2, vcc_lo, v2 bitop3:0x14
	v_dual_ashrrev_i32 v22, 31, v22 :: v_dual_bitop2_b32 v9, s2, v9 bitop3:0x14
	v_cmp_gt_i32_e64 s6, 0, v26
	v_cmp_gt_i32_e64 s7, 0, v27
	v_not_b32_e32 v26, v27
	v_not_b32_e32 v27, v28
	v_dual_ashrrev_i32 v24, 31, v24 :: v_dual_ashrrev_i32 v25, 31, v25
	v_xor_b32_e32 v22, s3, v22
	v_xor_b32_e32 v23, s4, v23
	v_bitop3_b32 v2, v2, v9, exec_lo bitop3:0x80
	v_cmp_gt_i32_e64 s8, 0, v28
	v_dual_ashrrev_i32 v9, 31, v26 :: v_dual_ashrrev_i32 v26, 31, v27
	v_xor_b32_e32 v24, s5, v24
	v_xor_b32_e32 v25, s6, v25
	v_bitop3_b32 v2, v2, v23, v22 bitop3:0x80
	v_mad_u32_u24 v22, 0x44, v21, v8
	v_xor_b32_e32 v9, s7, v9
	v_xor_b32_e32 v23, s8, v26
	s_delay_alu instid0(VALU_DEP_4) | instskip(SKIP_3) | instid1(VALU_DEP_2)
	v_bitop3_b32 v2, v2, v25, v24 bitop3:0x80
	ds_load_b32 v22, v22 offset:64
	; wave barrier
	v_bitop3_b32 v2, v2, v23, v9 bitop3:0x80
	v_mul_u32_u24_e32 v9, 0x44, v21
	v_mbcnt_lo_u32_b32 v23, v2, 0
	v_cmp_ne_u32_e64 s2, 0, v2
	s_delay_alu instid0(VALU_DEP_3) | instskip(NEXT) | instid1(VALU_DEP_3)
	v_add_nc_u32_e32 v24, v8, v9
	v_cmp_eq_u32_e32 vcc_lo, 0, v23
	s_and_b32 s3, s2, vcc_lo
	s_delay_alu instid0(SALU_CYCLE_1)
	s_and_saveexec_b32 s2, s3
	s_cbranch_execz .LBB731_31
; %bb.30:
	s_wait_dscnt 0x0
	v_bcnt_u32_b32 v2, v2, v22
	ds_store_b32 v24, v2 offset:64
.LBB731_31:
	s_or_b32 exec_lo, exec_lo, s2
	v_lshrrev_b32_e32 v2, 16, v3
	; wave barrier
	s_delay_alu instid0(VALU_DEP_1) | instskip(NEXT) | instid1(VALU_DEP_1)
	v_xor_b32_e32 v21, 0xffff8000, v2
	v_and_b32_e32 v2, 0xffff, v21
	s_delay_alu instid0(VALU_DEP_1) | instskip(NEXT) | instid1(VALU_DEP_1)
	v_lshrrev_b32_e32 v2, s20, v2
	v_and_b32_e32 v9, s25, v2
	s_delay_alu instid0(VALU_DEP_1) | instskip(SKIP_2) | instid1(VALU_DEP_3)
	v_lshlrev_b32_e32 v26, 29, v9
	v_bitop3_b32 v3, v2, 1, s25 bitop3:0x80
	v_lshlrev_b32_e32 v25, 30, v9
	v_cmp_gt_i32_e64 s3, 0, v26
	s_delay_alu instid0(VALU_DEP_3) | instskip(NEXT) | instid1(VALU_DEP_1)
	v_add_co_u32 v2, s2, v3, -1
	v_cndmask_b32_e64 v3, 0, 1, s2
	s_delay_alu instid0(VALU_DEP_4) | instskip(NEXT) | instid1(VALU_DEP_2)
	v_cmp_gt_i32_e64 s2, 0, v25
	v_cmp_ne_u32_e32 vcc_lo, 0, v3
	v_not_b32_e32 v3, v25
	v_not_b32_e32 v25, v26
	s_delay_alu instid0(VALU_DEP_2) | instskip(SKIP_3) | instid1(VALU_DEP_3)
	v_dual_ashrrev_i32 v3, 31, v3 :: v_dual_bitop2_b32 v2, vcc_lo, v2 bitop3:0x14
	v_dual_lshlrev_b32 v27, 28, v9 :: v_dual_lshlrev_b32 v28, 27, v9
	v_dual_lshlrev_b32 v29, 26, v9 :: v_dual_lshlrev_b32 v30, 25, v9
	v_lshlrev_b32_e32 v31, 24, v9
	v_not_b32_e32 v26, v27
	v_cmp_gt_i32_e64 s4, 0, v27
	v_cmp_gt_i32_e64 s5, 0, v28
	v_not_b32_e32 v27, v28
	v_not_b32_e32 v28, v29
	v_dual_ashrrev_i32 v25, 31, v25 :: v_dual_ashrrev_i32 v26, 31, v26
	v_xor_b32_e32 v3, s2, v3
	v_cmp_gt_i32_e64 s6, 0, v29
	v_cmp_gt_i32_e64 s7, 0, v30
	v_not_b32_e32 v29, v30
	v_not_b32_e32 v30, v31
	v_dual_ashrrev_i32 v27, 31, v27 :: v_dual_bitop2_b32 v25, s3, v25 bitop3:0x14
	v_dual_ashrrev_i32 v28, 31, v28 :: v_dual_bitop2_b32 v26, s4, v26 bitop3:0x14
	v_bitop3_b32 v2, v2, v3, exec_lo bitop3:0x80
	v_cmp_gt_i32_e64 s8, 0, v31
	v_dual_ashrrev_i32 v3, 31, v29 :: v_dual_ashrrev_i32 v29, 31, v30
	v_xor_b32_e32 v27, s5, v27
	v_xor_b32_e32 v28, s6, v28
	v_bitop3_b32 v2, v2, v26, v25 bitop3:0x80
	v_mad_u32_u24 v25, 0x44, v9, v8
	v_xor_b32_e32 v3, s7, v3
	v_xor_b32_e32 v29, s8, v29
	s_delay_alu instid0(VALU_DEP_4) | instskip(SKIP_3) | instid1(VALU_DEP_2)
	v_bitop3_b32 v2, v2, v28, v27 bitop3:0x80
	ds_load_b32 v26, v25 offset:64
	; wave barrier
	v_bitop3_b32 v2, v2, v29, v3 bitop3:0x80
	v_mul_u32_u24_e32 v3, 0x44, v9
	v_mbcnt_lo_u32_b32 v27, v2, 0
	v_cmp_ne_u32_e64 s2, 0, v2
	s_delay_alu instid0(VALU_DEP_3) | instskip(NEXT) | instid1(VALU_DEP_3)
	v_add_nc_u32_e32 v28, v8, v3
	v_cmp_eq_u32_e32 vcc_lo, 0, v27
	s_and_b32 s3, s2, vcc_lo
	s_delay_alu instid0(SALU_CYCLE_1)
	s_and_saveexec_b32 s2, s3
	s_cbranch_execz .LBB731_33
; %bb.32:
	s_wait_dscnt 0x0
	v_bcnt_u32_b32 v2, v2, v26
	ds_store_b32 v28, v2 offset:64
.LBB731_33:
	s_or_b32 exec_lo, exec_lo, s2
	v_xor_b32_e32 v25, 0xffff8000, v4
	; wave barrier
	s_delay_alu instid0(VALU_DEP_1) | instskip(NEXT) | instid1(VALU_DEP_1)
	v_and_b32_e32 v2, 0xffff, v25
	v_lshrrev_b32_e32 v2, s20, v2
	s_delay_alu instid0(VALU_DEP_1) | instskip(NEXT) | instid1(VALU_DEP_1)
	v_and_b32_e32 v9, s25, v2
	v_lshlrev_b32_e32 v29, 30, v9
	v_bitop3_b32 v3, v2, 1, s25 bitop3:0x80
	s_delay_alu instid0(VALU_DEP_1) | instskip(NEXT) | instid1(VALU_DEP_1)
	v_add_co_u32 v2, s2, v3, -1
	v_cndmask_b32_e64 v3, 0, 1, s2
	s_delay_alu instid0(VALU_DEP_4) | instskip(NEXT) | instid1(VALU_DEP_2)
	v_cmp_gt_i32_e64 s2, 0, v29
	v_cmp_ne_u32_e32 vcc_lo, 0, v3
	v_not_b32_e32 v3, v29
	s_delay_alu instid0(VALU_DEP_1) | instskip(SKIP_3) | instid1(VALU_DEP_4)
	v_dual_ashrrev_i32 v3, 31, v3 :: v_dual_lshlrev_b32 v30, 29, v9
	v_dual_lshlrev_b32 v31, 28, v9 :: v_dual_lshlrev_b32 v32, 27, v9
	v_dual_lshlrev_b32 v33, 26, v9 :: v_dual_lshlrev_b32 v34, 25, v9
	v_lshlrev_b32_e32 v35, 24, v9
	v_cmp_gt_i32_e64 s3, 0, v30
	v_not_b32_e32 v29, v30
	v_not_b32_e32 v30, v31
	v_cmp_gt_i32_e64 s4, 0, v31
	v_cmp_gt_i32_e64 s5, 0, v32
	v_not_b32_e32 v31, v32
	v_not_b32_e32 v32, v33
	v_dual_ashrrev_i32 v29, 31, v29 :: v_dual_bitop2_b32 v2, vcc_lo, v2 bitop3:0x14
	v_dual_ashrrev_i32 v30, 31, v30 :: v_dual_bitop2_b32 v3, s2, v3 bitop3:0x14
	v_cmp_gt_i32_e64 s6, 0, v33
	v_cmp_gt_i32_e64 s7, 0, v34
	v_not_b32_e32 v33, v34
	v_not_b32_e32 v34, v35
	v_dual_ashrrev_i32 v31, 31, v31 :: v_dual_ashrrev_i32 v32, 31, v32
	v_xor_b32_e32 v29, s3, v29
	v_xor_b32_e32 v30, s4, v30
	v_bitop3_b32 v2, v2, v3, exec_lo bitop3:0x80
	v_cmp_gt_i32_e64 s8, 0, v35
	v_dual_ashrrev_i32 v3, 31, v33 :: v_dual_ashrrev_i32 v33, 31, v34
	v_xor_b32_e32 v31, s5, v31
	v_xor_b32_e32 v32, s6, v32
	v_bitop3_b32 v2, v2, v30, v29 bitop3:0x80
	v_mad_u32_u24 v29, 0x44, v9, v8
	v_xor_b32_e32 v3, s7, v3
	v_xor_b32_e32 v30, s8, v33
	s_delay_alu instid0(VALU_DEP_4) | instskip(SKIP_3) | instid1(VALU_DEP_2)
	v_bitop3_b32 v2, v2, v32, v31 bitop3:0x80
	ds_load_b32 v29, v29 offset:64
	; wave barrier
	v_bitop3_b32 v2, v2, v30, v3 bitop3:0x80
	v_mul_u32_u24_e32 v3, 0x44, v9
	v_mbcnt_lo_u32_b32 v31, v2, 0
	v_cmp_ne_u32_e64 s2, 0, v2
	s_delay_alu instid0(VALU_DEP_3) | instskip(NEXT) | instid1(VALU_DEP_3)
	v_add_nc_u32_e32 v32, v8, v3
	v_cmp_eq_u32_e32 vcc_lo, 0, v31
	s_and_b32 s3, s2, vcc_lo
	s_delay_alu instid0(SALU_CYCLE_1)
	s_and_saveexec_b32 s2, s3
	s_cbranch_execz .LBB731_35
; %bb.34:
	s_wait_dscnt 0x0
	v_bcnt_u32_b32 v2, v2, v29
	ds_store_b32 v32, v2 offset:64
.LBB731_35:
	s_or_b32 exec_lo, exec_lo, s2
	v_lshrrev_b32_e32 v2, 16, v4
	; wave barrier
	s_delay_alu instid0(VALU_DEP_1) | instskip(NEXT) | instid1(VALU_DEP_1)
	v_xor_b32_e32 v30, 0xffff8000, v2
	v_and_b32_e32 v2, 0xffff, v30
	s_delay_alu instid0(VALU_DEP_1) | instskip(NEXT) | instid1(VALU_DEP_1)
	v_lshrrev_b32_e32 v2, s20, v2
	v_and_b32_e32 v4, s25, v2
	s_delay_alu instid0(VALU_DEP_1) | instskip(SKIP_2) | instid1(VALU_DEP_3)
	v_lshlrev_b32_e32 v33, 29, v4
	v_bitop3_b32 v3, v2, 1, s25 bitop3:0x80
	v_lshlrev_b32_e32 v9, 30, v4
	v_cmp_gt_i32_e64 s3, 0, v33
	s_delay_alu instid0(VALU_DEP_3) | instskip(NEXT) | instid1(VALU_DEP_1)
	v_add_co_u32 v2, s2, v3, -1
	v_cndmask_b32_e64 v3, 0, 1, s2
	s_delay_alu instid0(VALU_DEP_4) | instskip(NEXT) | instid1(VALU_DEP_2)
	v_cmp_gt_i32_e64 s2, 0, v9
	v_cmp_ne_u32_e32 vcc_lo, 0, v3
	v_not_b32_e32 v3, v9
	v_not_b32_e32 v9, v33
	s_delay_alu instid0(VALU_DEP_2) | instskip(SKIP_3) | instid1(VALU_DEP_3)
	v_dual_ashrrev_i32 v3, 31, v3 :: v_dual_bitop2_b32 v2, vcc_lo, v2 bitop3:0x14
	v_dual_lshlrev_b32 v34, 28, v4 :: v_dual_lshlrev_b32 v35, 27, v4
	v_dual_lshlrev_b32 v36, 26, v4 :: v_dual_lshlrev_b32 v37, 25, v4
	v_lshlrev_b32_e32 v38, 24, v4
	v_not_b32_e32 v33, v34
	v_cmp_gt_i32_e64 s4, 0, v34
	v_cmp_gt_i32_e64 s5, 0, v35
	v_not_b32_e32 v34, v35
	v_not_b32_e32 v35, v36
	v_dual_ashrrev_i32 v9, 31, v9 :: v_dual_bitop2_b32 v3, s2, v3 bitop3:0x14
	s_delay_alu instid0(VALU_DEP_3)
	v_dual_ashrrev_i32 v33, 31, v33 :: v_dual_ashrrev_i32 v34, 31, v34
	v_cmp_gt_i32_e64 s6, 0, v36
	v_cmp_gt_i32_e64 s7, 0, v37
	v_not_b32_e32 v36, v37
	v_not_b32_e32 v37, v38
	v_dual_ashrrev_i32 v35, 31, v35 :: v_dual_bitop2_b32 v9, s3, v9 bitop3:0x14
	v_xor_b32_e32 v33, s4, v33
	v_bitop3_b32 v2, v2, v3, exec_lo bitop3:0x80
	v_cmp_gt_i32_e64 s8, 0, v38
	v_dual_ashrrev_i32 v3, 31, v36 :: v_dual_ashrrev_i32 v36, 31, v37
	v_xor_b32_e32 v34, s5, v34
	v_xor_b32_e32 v35, s6, v35
	v_bitop3_b32 v2, v2, v33, v9 bitop3:0x80
	v_mad_u32_u24 v9, 0x44, v4, v8
	v_xor_b32_e32 v3, s7, v3
	v_xor_b32_e32 v36, s8, v36
	s_delay_alu instid0(VALU_DEP_4) | instskip(SKIP_3) | instid1(VALU_DEP_2)
	v_bitop3_b32 v2, v2, v35, v34 bitop3:0x80
	ds_load_b32 v33, v9 offset:64
	; wave barrier
	v_bitop3_b32 v2, v2, v36, v3 bitop3:0x80
	v_mul_u32_u24_e32 v3, 0x44, v4
	v_mbcnt_lo_u32_b32 v34, v2, 0
	v_cmp_ne_u32_e64 s2, 0, v2
	s_delay_alu instid0(VALU_DEP_3) | instskip(NEXT) | instid1(VALU_DEP_3)
	v_add_nc_u32_e32 v37, v8, v3
	v_cmp_eq_u32_e32 vcc_lo, 0, v34
	s_and_b32 s3, s2, vcc_lo
	s_delay_alu instid0(SALU_CYCLE_1)
	s_and_saveexec_b32 s2, s3
	s_cbranch_execz .LBB731_37
; %bb.36:
	s_wait_dscnt 0x0
	v_bcnt_u32_b32 v2, v2, v33
	ds_store_b32 v37, v2 offset:64
.LBB731_37:
	s_or_b32 exec_lo, exec_lo, s2
	v_xor_b32_e32 v35, 0xffff8000, v5
	; wave barrier
	s_delay_alu instid0(VALU_DEP_1) | instskip(NEXT) | instid1(VALU_DEP_1)
	v_and_b32_e32 v2, 0xffff, v35
	v_lshrrev_b32_e32 v2, s20, v2
	s_delay_alu instid0(VALU_DEP_1) | instskip(NEXT) | instid1(VALU_DEP_1)
	v_and_b32_e32 v4, s25, v2
	v_lshlrev_b32_e32 v9, 30, v4
	v_bitop3_b32 v3, v2, 1, s25 bitop3:0x80
	s_delay_alu instid0(VALU_DEP_1) | instskip(NEXT) | instid1(VALU_DEP_1)
	v_add_co_u32 v2, s2, v3, -1
	v_cndmask_b32_e64 v3, 0, 1, s2
	s_delay_alu instid0(VALU_DEP_4) | instskip(NEXT) | instid1(VALU_DEP_2)
	v_cmp_gt_i32_e64 s2, 0, v9
	v_cmp_ne_u32_e32 vcc_lo, 0, v3
	v_not_b32_e32 v3, v9
	s_delay_alu instid0(VALU_DEP_1) | instskip(SKIP_3) | instid1(VALU_DEP_4)
	v_dual_ashrrev_i32 v3, 31, v3 :: v_dual_lshlrev_b32 v36, 29, v4
	v_dual_lshlrev_b32 v38, 28, v4 :: v_dual_lshlrev_b32 v39, 27, v4
	v_dual_lshlrev_b32 v40, 26, v4 :: v_dual_lshlrev_b32 v41, 25, v4
	v_lshlrev_b32_e32 v42, 24, v4
	v_cmp_gt_i32_e64 s3, 0, v36
	v_not_b32_e32 v9, v36
	v_not_b32_e32 v36, v38
	v_cmp_gt_i32_e64 s4, 0, v38
	v_cmp_gt_i32_e64 s5, 0, v39
	v_not_b32_e32 v38, v39
	v_not_b32_e32 v39, v40
	v_dual_ashrrev_i32 v9, 31, v9 :: v_dual_bitop2_b32 v2, vcc_lo, v2 bitop3:0x14
	v_dual_ashrrev_i32 v36, 31, v36 :: v_dual_bitop2_b32 v3, s2, v3 bitop3:0x14
	v_cmp_gt_i32_e64 s6, 0, v40
	v_cmp_gt_i32_e64 s7, 0, v41
	v_not_b32_e32 v40, v41
	v_not_b32_e32 v41, v42
	v_dual_ashrrev_i32 v38, 31, v38 :: v_dual_ashrrev_i32 v39, 31, v39
	v_xor_b32_e32 v9, s3, v9
	v_xor_b32_e32 v36, s4, v36
	v_bitop3_b32 v2, v2, v3, exec_lo bitop3:0x80
	v_cmp_gt_i32_e64 s8, 0, v42
	v_dual_ashrrev_i32 v3, 31, v40 :: v_dual_ashrrev_i32 v40, 31, v41
	v_xor_b32_e32 v38, s5, v38
	v_xor_b32_e32 v39, s6, v39
	v_bitop3_b32 v2, v2, v36, v9 bitop3:0x80
	v_mad_u32_u24 v9, 0x44, v4, v8
	v_xor_b32_e32 v3, s7, v3
	v_xor_b32_e32 v36, s8, v40
	s_delay_alu instid0(VALU_DEP_4) | instskip(SKIP_3) | instid1(VALU_DEP_2)
	v_bitop3_b32 v2, v2, v39, v38 bitop3:0x80
	ds_load_b32 v38, v9 offset:64
	; wave barrier
	v_bitop3_b32 v2, v2, v36, v3 bitop3:0x80
	v_mul_u32_u24_e32 v3, 0x44, v4
	v_mbcnt_lo_u32_b32 v39, v2, 0
	v_cmp_ne_u32_e64 s2, 0, v2
	s_delay_alu instid0(VALU_DEP_3) | instskip(NEXT) | instid1(VALU_DEP_3)
	v_add_nc_u32_e32 v42, v8, v3
	v_cmp_eq_u32_e32 vcc_lo, 0, v39
	s_and_b32 s3, s2, vcc_lo
	s_delay_alu instid0(SALU_CYCLE_1)
	s_and_saveexec_b32 s2, s3
	s_cbranch_execz .LBB731_39
; %bb.38:
	s_wait_dscnt 0x0
	v_bcnt_u32_b32 v2, v2, v38
	ds_store_b32 v42, v2 offset:64
.LBB731_39:
	s_or_b32 exec_lo, exec_lo, s2
	v_lshrrev_b32_e32 v2, 16, v5
	; wave barrier
	s_delay_alu instid0(VALU_DEP_1) | instskip(NEXT) | instid1(VALU_DEP_1)
	v_xor_b32_e32 v36, 0xffff8000, v2
	v_and_b32_e32 v2, 0xffff, v36
	s_delay_alu instid0(VALU_DEP_1) | instskip(NEXT) | instid1(VALU_DEP_1)
	v_lshrrev_b32_e32 v2, s20, v2
	v_and_b32_e32 v4, s25, v2
	s_delay_alu instid0(VALU_DEP_1) | instskip(SKIP_2) | instid1(VALU_DEP_3)
	v_lshlrev_b32_e32 v9, 29, v4
	v_bitop3_b32 v3, v2, 1, s25 bitop3:0x80
	v_lshlrev_b32_e32 v5, 30, v4
	v_cmp_gt_i32_e64 s3, 0, v9
	s_delay_alu instid0(VALU_DEP_3) | instskip(NEXT) | instid1(VALU_DEP_1)
	v_add_co_u32 v2, s2, v3, -1
	v_cndmask_b32_e64 v3, 0, 1, s2
	s_delay_alu instid0(VALU_DEP_4) | instskip(NEXT) | instid1(VALU_DEP_2)
	v_cmp_gt_i32_e64 s2, 0, v5
	v_cmp_ne_u32_e32 vcc_lo, 0, v3
	v_not_b32_e32 v3, v5
	v_not_b32_e32 v5, v9
	s_delay_alu instid0(VALU_DEP_2) | instskip(SKIP_3) | instid1(VALU_DEP_3)
	v_dual_ashrrev_i32 v3, 31, v3 :: v_dual_bitop2_b32 v2, vcc_lo, v2 bitop3:0x14
	v_dual_lshlrev_b32 v40, 28, v4 :: v_dual_lshlrev_b32 v41, 27, v4
	v_dual_lshlrev_b32 v43, 26, v4 :: v_dual_lshlrev_b32 v44, 25, v4
	v_lshlrev_b32_e32 v45, 24, v4
	v_not_b32_e32 v9, v40
	v_cmp_gt_i32_e64 s4, 0, v40
	v_cmp_gt_i32_e64 s5, 0, v41
	v_not_b32_e32 v40, v41
	v_not_b32_e32 v41, v43
	v_dual_ashrrev_i32 v5, 31, v5 :: v_dual_bitop2_b32 v3, s2, v3 bitop3:0x14
	s_delay_alu instid0(VALU_DEP_3)
	v_dual_ashrrev_i32 v9, 31, v9 :: v_dual_ashrrev_i32 v40, 31, v40
	v_cmp_gt_i32_e64 s6, 0, v43
	v_cmp_gt_i32_e64 s7, 0, v44
	v_not_b32_e32 v43, v44
	v_not_b32_e32 v44, v45
	v_ashrrev_i32_e32 v41, 31, v41
	v_xor_b32_e32 v5, s3, v5
	v_xor_b32_e32 v9, s4, v9
	v_bitop3_b32 v2, v2, v3, exec_lo bitop3:0x80
	v_cmp_gt_i32_e64 s8, 0, v45
	v_dual_ashrrev_i32 v3, 31, v43 :: v_dual_ashrrev_i32 v43, 31, v44
	v_xor_b32_e32 v40, s5, v40
	v_xor_b32_e32 v41, s6, v41
	v_bitop3_b32 v2, v2, v9, v5 bitop3:0x80
	v_mad_u32_u24 v5, 0x44, v4, v8
	v_xor_b32_e32 v3, s7, v3
	v_xor_b32_e32 v9, s8, v43
	s_delay_alu instid0(VALU_DEP_4) | instskip(SKIP_3) | instid1(VALU_DEP_2)
	v_bitop3_b32 v2, v2, v41, v40 bitop3:0x80
	ds_load_b32 v41, v5 offset:64
	; wave barrier
	v_bitop3_b32 v2, v2, v9, v3 bitop3:0x80
	v_mul_u32_u24_e32 v3, 0x44, v4
	v_mbcnt_lo_u32_b32 v43, v2, 0
	v_cmp_ne_u32_e64 s2, 0, v2
	s_delay_alu instid0(VALU_DEP_3) | instskip(NEXT) | instid1(VALU_DEP_3)
	v_add_nc_u32_e32 v47, v8, v3
	v_cmp_eq_u32_e32 vcc_lo, 0, v43
	s_and_b32 s3, s2, vcc_lo
	s_delay_alu instid0(SALU_CYCLE_1)
	s_and_saveexec_b32 s2, s3
	s_cbranch_execz .LBB731_41
; %bb.40:
	s_wait_dscnt 0x0
	v_bcnt_u32_b32 v2, v2, v41
	ds_store_b32 v47, v2 offset:64
.LBB731_41:
	s_or_b32 exec_lo, exec_lo, s2
	v_xor_b32_e32 v40, 0xffff8000, v6
	; wave barrier
	s_delay_alu instid0(VALU_DEP_1) | instskip(NEXT) | instid1(VALU_DEP_1)
	v_and_b32_e32 v2, 0xffff, v40
	v_lshrrev_b32_e32 v2, s20, v2
	s_delay_alu instid0(VALU_DEP_1) | instskip(NEXT) | instid1(VALU_DEP_1)
	v_and_b32_e32 v4, s25, v2
	v_lshlrev_b32_e32 v5, 30, v4
	v_bitop3_b32 v3, v2, 1, s25 bitop3:0x80
	s_delay_alu instid0(VALU_DEP_1) | instskip(NEXT) | instid1(VALU_DEP_1)
	v_add_co_u32 v2, s2, v3, -1
	v_cndmask_b32_e64 v3, 0, 1, s2
	s_delay_alu instid0(VALU_DEP_4) | instskip(NEXT) | instid1(VALU_DEP_2)
	v_cmp_gt_i32_e64 s2, 0, v5
	v_cmp_ne_u32_e32 vcc_lo, 0, v3
	v_not_b32_e32 v3, v5
	s_delay_alu instid0(VALU_DEP_1) | instskip(SKIP_3) | instid1(VALU_DEP_4)
	v_dual_ashrrev_i32 v3, 31, v3 :: v_dual_lshlrev_b32 v9, 29, v4
	v_dual_lshlrev_b32 v44, 28, v4 :: v_dual_lshlrev_b32 v45, 27, v4
	v_dual_lshlrev_b32 v46, 26, v4 :: v_dual_lshlrev_b32 v48, 25, v4
	v_lshlrev_b32_e32 v49, 24, v4
	v_cmp_gt_i32_e64 s3, 0, v9
	v_not_b32_e32 v5, v9
	v_not_b32_e32 v9, v44
	v_cmp_gt_i32_e64 s4, 0, v44
	v_cmp_gt_i32_e64 s5, 0, v45
	v_not_b32_e32 v44, v45
	v_not_b32_e32 v45, v46
	v_dual_ashrrev_i32 v5, 31, v5 :: v_dual_bitop2_b32 v2, vcc_lo, v2 bitop3:0x14
	v_dual_ashrrev_i32 v9, 31, v9 :: v_dual_bitop2_b32 v3, s2, v3 bitop3:0x14
	v_cmp_gt_i32_e64 s6, 0, v46
	v_cmp_gt_i32_e64 s7, 0, v48
	v_not_b32_e32 v46, v48
	v_not_b32_e32 v48, v49
	v_dual_ashrrev_i32 v44, 31, v44 :: v_dual_ashrrev_i32 v45, 31, v45
	v_xor_b32_e32 v5, s3, v5
	v_xor_b32_e32 v9, s4, v9
	v_bitop3_b32 v2, v2, v3, exec_lo bitop3:0x80
	v_cmp_gt_i32_e64 s8, 0, v49
	v_dual_ashrrev_i32 v3, 31, v46 :: v_dual_ashrrev_i32 v46, 31, v48
	v_xor_b32_e32 v44, s5, v44
	v_xor_b32_e32 v45, s6, v45
	v_bitop3_b32 v2, v2, v9, v5 bitop3:0x80
	v_mad_u32_u24 v5, 0x44, v4, v8
	v_xor_b32_e32 v3, s7, v3
	v_xor_b32_e32 v9, s8, v46
	s_delay_alu instid0(VALU_DEP_4) | instskip(SKIP_3) | instid1(VALU_DEP_2)
	v_bitop3_b32 v2, v2, v45, v44 bitop3:0x80
	ds_load_b32 v44, v5 offset:64
	; wave barrier
	v_bitop3_b32 v2, v2, v9, v3 bitop3:0x80
	v_mul_u32_u24_e32 v3, 0x44, v4
	v_mbcnt_lo_u32_b32 v46, v2, 0
	v_cmp_ne_u32_e64 s2, 0, v2
	s_delay_alu instid0(VALU_DEP_3) | instskip(NEXT) | instid1(VALU_DEP_3)
	v_add_nc_u32_e32 v51, v8, v3
	v_cmp_eq_u32_e32 vcc_lo, 0, v46
	s_and_b32 s3, s2, vcc_lo
	s_delay_alu instid0(SALU_CYCLE_1)
	s_and_saveexec_b32 s2, s3
	s_cbranch_execz .LBB731_43
; %bb.42:
	s_wait_dscnt 0x0
	v_bcnt_u32_b32 v2, v2, v44
	ds_store_b32 v51, v2 offset:64
.LBB731_43:
	s_or_b32 exec_lo, exec_lo, s2
	v_lshrrev_b32_e32 v2, 16, v6
	; wave barrier
	s_delay_alu instid0(VALU_DEP_1) | instskip(NEXT) | instid1(VALU_DEP_1)
	v_xor_b32_e32 v45, 0xffff8000, v2
	v_and_b32_e32 v2, 0xffff, v45
	s_delay_alu instid0(VALU_DEP_1) | instskip(NEXT) | instid1(VALU_DEP_1)
	v_lshrrev_b32_e32 v2, s20, v2
	v_and_b32_e32 v4, s25, v2
	s_delay_alu instid0(VALU_DEP_1) | instskip(SKIP_2) | instid1(VALU_DEP_3)
	v_lshlrev_b32_e32 v6, 29, v4
	v_bitop3_b32 v3, v2, 1, s25 bitop3:0x80
	v_lshlrev_b32_e32 v5, 30, v4
	v_cmp_gt_i32_e64 s3, 0, v6
	s_delay_alu instid0(VALU_DEP_3) | instskip(NEXT) | instid1(VALU_DEP_1)
	v_add_co_u32 v2, s2, v3, -1
	v_cndmask_b32_e64 v3, 0, 1, s2
	s_delay_alu instid0(VALU_DEP_4) | instskip(NEXT) | instid1(VALU_DEP_2)
	v_cmp_gt_i32_e64 s2, 0, v5
	v_cmp_ne_u32_e32 vcc_lo, 0, v3
	v_not_b32_e32 v3, v5
	v_not_b32_e32 v5, v6
	s_delay_alu instid0(VALU_DEP_2) | instskip(SKIP_3) | instid1(VALU_DEP_3)
	v_dual_ashrrev_i32 v3, 31, v3 :: v_dual_bitop2_b32 v2, vcc_lo, v2 bitop3:0x14
	v_dual_lshlrev_b32 v9, 28, v4 :: v_dual_lshlrev_b32 v48, 27, v4
	v_dual_lshlrev_b32 v49, 26, v4 :: v_dual_lshlrev_b32 v50, 25, v4
	v_lshlrev_b32_e32 v52, 24, v4
	v_not_b32_e32 v6, v9
	v_cmp_gt_i32_e64 s4, 0, v9
	v_cmp_gt_i32_e64 s5, 0, v48
	v_not_b32_e32 v9, v48
	v_not_b32_e32 v48, v49
	v_dual_ashrrev_i32 v5, 31, v5 :: v_dual_ashrrev_i32 v6, 31, v6
	s_delay_alu instid0(VALU_DEP_3)
	v_dual_ashrrev_i32 v9, 31, v9 :: v_dual_bitop2_b32 v3, s2, v3 bitop3:0x14
	v_cmp_gt_i32_e64 s6, 0, v49
	v_cmp_gt_i32_e64 s7, 0, v50
	v_not_b32_e32 v49, v50
	v_not_b32_e32 v50, v52
	v_dual_ashrrev_i32 v48, 31, v48 :: v_dual_bitop2_b32 v5, s3, v5 bitop3:0x14
	v_xor_b32_e32 v6, s4, v6
	v_bitop3_b32 v2, v2, v3, exec_lo bitop3:0x80
	v_cmp_gt_i32_e64 s8, 0, v52
	v_dual_ashrrev_i32 v3, 31, v49 :: v_dual_ashrrev_i32 v49, 31, v50
	v_xor_b32_e32 v9, s5, v9
	v_xor_b32_e32 v48, s6, v48
	v_bitop3_b32 v2, v2, v6, v5 bitop3:0x80
	v_mad_u32_u24 v5, 0x44, v4, v8
	v_xor_b32_e32 v3, s7, v3
	v_xor_b32_e32 v6, s8, v49
	s_delay_alu instid0(VALU_DEP_4) | instskip(SKIP_3) | instid1(VALU_DEP_2)
	v_bitop3_b32 v2, v2, v48, v9 bitop3:0x80
	ds_load_b32 v48, v5 offset:64
	; wave barrier
	v_bitop3_b32 v2, v2, v6, v3 bitop3:0x80
	v_mul_u32_u24_e32 v3, 0x44, v4
	v_mbcnt_lo_u32_b32 v50, v2, 0
	v_cmp_ne_u32_e64 s2, 0, v2
	s_delay_alu instid0(VALU_DEP_3) | instskip(NEXT) | instid1(VALU_DEP_3)
	v_add_nc_u32_e32 v55, v8, v3
	v_cmp_eq_u32_e32 vcc_lo, 0, v50
	s_and_b32 s3, s2, vcc_lo
	s_delay_alu instid0(SALU_CYCLE_1)
	s_and_saveexec_b32 s2, s3
	s_cbranch_execz .LBB731_45
; %bb.44:
	s_wait_dscnt 0x0
	v_bcnt_u32_b32 v2, v2, v48
	ds_store_b32 v55, v2 offset:64
.LBB731_45:
	s_or_b32 exec_lo, exec_lo, s2
	v_xor_b32_e32 v49, 0xffff8000, v7
	; wave barrier
	s_delay_alu instid0(VALU_DEP_1) | instskip(NEXT) | instid1(VALU_DEP_1)
	v_and_b32_e32 v2, 0xffff, v49
	v_lshrrev_b32_e32 v2, s20, v2
	s_delay_alu instid0(VALU_DEP_1) | instskip(NEXT) | instid1(VALU_DEP_1)
	v_and_b32_e32 v4, s25, v2
	v_lshlrev_b32_e32 v5, 30, v4
	v_bitop3_b32 v3, v2, 1, s25 bitop3:0x80
	s_delay_alu instid0(VALU_DEP_1) | instskip(NEXT) | instid1(VALU_DEP_1)
	v_add_co_u32 v2, s2, v3, -1
	v_cndmask_b32_e64 v3, 0, 1, s2
	s_delay_alu instid0(VALU_DEP_4) | instskip(NEXT) | instid1(VALU_DEP_2)
	v_cmp_gt_i32_e64 s2, 0, v5
	v_cmp_ne_u32_e32 vcc_lo, 0, v3
	v_not_b32_e32 v3, v5
	s_delay_alu instid0(VALU_DEP_1) | instskip(SKIP_3) | instid1(VALU_DEP_4)
	v_dual_ashrrev_i32 v3, 31, v3 :: v_dual_lshlrev_b32 v6, 29, v4
	v_dual_lshlrev_b32 v9, 28, v4 :: v_dual_lshlrev_b32 v52, 27, v4
	v_dual_lshlrev_b32 v53, 26, v4 :: v_dual_lshlrev_b32 v54, 25, v4
	v_lshlrev_b32_e32 v56, 24, v4
	v_cmp_gt_i32_e64 s3, 0, v6
	v_not_b32_e32 v5, v6
	v_not_b32_e32 v6, v9
	v_cmp_gt_i32_e64 s4, 0, v9
	v_cmp_gt_i32_e64 s5, 0, v52
	v_not_b32_e32 v9, v52
	v_not_b32_e32 v52, v53
	v_dual_ashrrev_i32 v5, 31, v5 :: v_dual_bitop2_b32 v2, vcc_lo, v2 bitop3:0x14
	v_dual_ashrrev_i32 v6, 31, v6 :: v_dual_bitop2_b32 v3, s2, v3 bitop3:0x14
	v_cmp_gt_i32_e64 s6, 0, v53
	v_cmp_gt_i32_e64 s7, 0, v54
	v_not_b32_e32 v53, v54
	v_not_b32_e32 v54, v56
	v_dual_ashrrev_i32 v9, 31, v9 :: v_dual_ashrrev_i32 v52, 31, v52
	v_xor_b32_e32 v5, s3, v5
	v_xor_b32_e32 v6, s4, v6
	v_bitop3_b32 v2, v2, v3, exec_lo bitop3:0x80
	v_cmp_gt_i32_e64 s8, 0, v56
	v_dual_ashrrev_i32 v3, 31, v53 :: v_dual_ashrrev_i32 v53, 31, v54
	v_xor_b32_e32 v9, s5, v9
	v_xor_b32_e32 v52, s6, v52
	v_bitop3_b32 v2, v2, v6, v5 bitop3:0x80
	v_mad_u32_u24 v5, 0x44, v4, v8
	v_xor_b32_e32 v3, s7, v3
	v_xor_b32_e32 v6, s8, v53
	s_delay_alu instid0(VALU_DEP_4) | instskip(SKIP_3) | instid1(VALU_DEP_2)
	v_bitop3_b32 v2, v2, v52, v9 bitop3:0x80
	ds_load_b32 v52, v5 offset:64
	; wave barrier
	v_bitop3_b32 v2, v2, v6, v3 bitop3:0x80
	v_mul_u32_u24_e32 v3, 0x44, v4
	v_mbcnt_lo_u32_b32 v53, v2, 0
	v_cmp_ne_u32_e64 s2, 0, v2
	s_delay_alu instid0(VALU_DEP_3) | instskip(NEXT) | instid1(VALU_DEP_3)
	v_add_nc_u32_e32 v58, v8, v3
	v_cmp_eq_u32_e32 vcc_lo, 0, v53
	s_and_b32 s3, s2, vcc_lo
	s_delay_alu instid0(SALU_CYCLE_1)
	s_and_saveexec_b32 s2, s3
	s_cbranch_execz .LBB731_47
; %bb.46:
	s_wait_dscnt 0x0
	v_bcnt_u32_b32 v2, v2, v52
	ds_store_b32 v58, v2 offset:64
.LBB731_47:
	s_or_b32 exec_lo, exec_lo, s2
	v_lshrrev_b32_e32 v2, 16, v7
	; wave barrier
	s_delay_alu instid0(VALU_DEP_1) | instskip(NEXT) | instid1(VALU_DEP_1)
	v_xor_b32_e32 v54, 0xffff8000, v2
	v_and_b32_e32 v2, 0xffff, v54
	s_delay_alu instid0(VALU_DEP_1) | instskip(NEXT) | instid1(VALU_DEP_1)
	v_lshrrev_b32_e32 v2, s20, v2
	v_and_b32_e32 v4, s25, v2
	s_delay_alu instid0(VALU_DEP_1) | instskip(SKIP_2) | instid1(VALU_DEP_3)
	v_lshlrev_b32_e32 v6, 29, v4
	v_bitop3_b32 v3, v2, 1, s25 bitop3:0x80
	v_lshlrev_b32_e32 v5, 30, v4
	v_cmp_gt_i32_e64 s3, 0, v6
	s_delay_alu instid0(VALU_DEP_3) | instskip(NEXT) | instid1(VALU_DEP_1)
	v_add_co_u32 v2, s2, v3, -1
	v_cndmask_b32_e64 v3, 0, 1, s2
	s_delay_alu instid0(VALU_DEP_4) | instskip(NEXT) | instid1(VALU_DEP_2)
	v_cmp_gt_i32_e64 s2, 0, v5
	v_cmp_ne_u32_e32 vcc_lo, 0, v3
	v_not_b32_e32 v3, v5
	v_not_b32_e32 v5, v6
	s_delay_alu instid0(VALU_DEP_2) | instskip(SKIP_3) | instid1(VALU_DEP_3)
	v_dual_ashrrev_i32 v3, 31, v3 :: v_dual_bitop2_b32 v2, vcc_lo, v2 bitop3:0x14
	v_dual_lshlrev_b32 v7, 28, v4 :: v_dual_lshlrev_b32 v9, 27, v4
	v_dual_lshlrev_b32 v56, 26, v4 :: v_dual_lshlrev_b32 v57, 25, v4
	v_lshlrev_b32_e32 v59, 24, v4
	v_not_b32_e32 v6, v7
	v_cmp_gt_i32_e64 s4, 0, v7
	v_cmp_gt_i32_e64 s5, 0, v9
	v_not_b32_e32 v7, v9
	v_not_b32_e32 v9, v56
	v_dual_ashrrev_i32 v5, 31, v5 :: v_dual_ashrrev_i32 v6, 31, v6
	v_xor_b32_e32 v3, s2, v3
	v_cmp_gt_i32_e64 s6, 0, v56
	v_cmp_gt_i32_e64 s7, 0, v57
	v_not_b32_e32 v56, v57
	v_not_b32_e32 v57, v59
	v_dual_ashrrev_i32 v7, 31, v7 :: v_dual_bitop2_b32 v5, s3, v5 bitop3:0x14
	v_dual_ashrrev_i32 v9, 31, v9 :: v_dual_bitop2_b32 v6, s4, v6 bitop3:0x14
	v_bitop3_b32 v2, v2, v3, exec_lo bitop3:0x80
	v_cmp_gt_i32_e64 s8, 0, v59
	v_dual_ashrrev_i32 v3, 31, v56 :: v_dual_ashrrev_i32 v56, 31, v57
	v_xor_b32_e32 v7, s5, v7
	v_xor_b32_e32 v9, s6, v9
	v_bitop3_b32 v2, v2, v6, v5 bitop3:0x80
	v_mad_u32_u24 v5, 0x44, v4, v8
	v_xor_b32_e32 v3, s7, v3
	v_xor_b32_e32 v6, s8, v56
	s_delay_alu instid0(VALU_DEP_4) | instskip(SKIP_3) | instid1(VALU_DEP_2)
	v_bitop3_b32 v2, v2, v9, v7 bitop3:0x80
	ds_load_b32 v56, v5 offset:64
	; wave barrier
	v_bitop3_b32 v2, v2, v6, v3 bitop3:0x80
	v_mul_u32_u24_e32 v3, 0x44, v4
	v_mbcnt_lo_u32_b32 v57, v2, 0
	v_cmp_ne_u32_e64 s2, 0, v2
	s_delay_alu instid0(VALU_DEP_3) | instskip(NEXT) | instid1(VALU_DEP_3)
	v_add_nc_u32_e32 v59, v8, v3
	v_cmp_eq_u32_e32 vcc_lo, 0, v57
	s_and_b32 s3, s2, vcc_lo
	s_delay_alu instid0(SALU_CYCLE_1)
	s_and_saveexec_b32 s2, s3
	s_cbranch_execz .LBB731_49
; %bb.48:
	s_wait_dscnt 0x0
	v_bcnt_u32_b32 v2, v2, v56
	ds_store_b32 v59, v2 offset:64
.LBB731_49:
	s_or_b32 exec_lo, exec_lo, s2
	; wave barrier
	s_wait_dscnt 0x0
	s_barrier_signal -1
	s_barrier_wait -1
	ds_load_2addr_b32 v[8:9], v13 offset0:16 offset1:17
	ds_load_2addr_b32 v[6:7], v13 offset0:18 offset1:19
	;; [unrolled: 1-line block ×4, first 2 shown]
	ds_load_b32 v60, v13 offset:96
	s_mov_b32 s6, exec_lo
	s_wait_dscnt 0x3
	v_add3_u32 v61, v9, v8, v6
	s_wait_dscnt 0x2
	s_delay_alu instid0(VALU_DEP_1) | instskip(SKIP_1) | instid1(VALU_DEP_1)
	v_add3_u32 v61, v61, v7, v4
	s_wait_dscnt 0x1
	v_add3_u32 v61, v61, v5, v2
	s_wait_dscnt 0x0
	s_delay_alu instid0(VALU_DEP_1) | instskip(SKIP_1) | instid1(VALU_DEP_2)
	v_add3_u32 v60, v61, v3, v60
	v_and_b32_e32 v61, 15, v14
	v_mov_b32_dpp v62, v60 row_shr:1 row_mask:0xf bank_mask:0xf
	s_delay_alu instid0(VALU_DEP_2) | instskip(NEXT) | instid1(VALU_DEP_2)
	v_cmp_eq_u32_e32 vcc_lo, 0, v61
	v_cndmask_b32_e64 v62, v62, 0, vcc_lo
	s_delay_alu instid0(VALU_DEP_1) | instskip(SKIP_3) | instid1(VALU_DEP_4)
	v_add_nc_u32_e32 v60, v62, v60
	v_cmp_lt_u32_e64 s2, 1, v61
	v_cmp_lt_u32_e64 s3, 3, v61
	;; [unrolled: 1-line block ×3, first 2 shown]
	v_mov_b32_dpp v62, v60 row_shr:2 row_mask:0xf bank_mask:0xf
	s_delay_alu instid0(VALU_DEP_1) | instskip(NEXT) | instid1(VALU_DEP_1)
	v_cndmask_b32_e64 v62, 0, v62, s2
	v_add_nc_u32_e32 v60, v60, v62
	s_delay_alu instid0(VALU_DEP_1) | instskip(NEXT) | instid1(VALU_DEP_1)
	v_mov_b32_dpp v62, v60 row_shr:4 row_mask:0xf bank_mask:0xf
	v_cndmask_b32_e64 v62, 0, v62, s3
	s_delay_alu instid0(VALU_DEP_1) | instskip(NEXT) | instid1(VALU_DEP_1)
	v_add_nc_u32_e32 v60, v60, v62
	v_mov_b32_dpp v62, v60 row_shr:8 row_mask:0xf bank_mask:0xf
	s_delay_alu instid0(VALU_DEP_1) | instskip(SKIP_1) | instid1(VALU_DEP_2)
	v_cndmask_b32_e64 v61, 0, v62, s4
	v_bfe_i32 v62, v14, 4, 1
	v_add_nc_u32_e32 v60, v60, v61
	ds_swizzle_b32 v61, v60 offset:swizzle(BROADCAST,32,15)
	s_wait_dscnt 0x0
	v_and_b32_e32 v61, v62, v61
	v_min_u32_e32 v62, 0x1e0, v15
	s_delay_alu instid0(VALU_DEP_1) | instskip(SKIP_1) | instid1(VALU_DEP_2)
	v_dual_add_nc_u32 v60, v60, v61 :: v_dual_bitop2_b32 v62, 31, v62 bitop3:0x54
	v_lshrrev_b32_e32 v61, 5, v1
	v_cmpx_eq_u32_e64 v1, v62
; %bb.50:
	s_delay_alu instid0(VALU_DEP_2)
	v_lshlrev_b32_e32 v62, 2, v61
	ds_store_b32 v62, v60
; %bb.51:
	s_or_b32 exec_lo, exec_lo, s6
	s_delay_alu instid0(SALU_CYCLE_1)
	s_mov_b32 s6, exec_lo
	s_wait_dscnt 0x0
	s_barrier_signal -1
	s_barrier_wait -1
	v_cmpx_gt_u32_e32 16, v1
	s_cbranch_execz .LBB731_53
; %bb.52:
	v_lshlrev_b32_e32 v62, 2, v1
	ds_load_b32 v63, v62
	s_wait_dscnt 0x0
	v_mov_b32_dpp v64, v63 row_shr:1 row_mask:0xf bank_mask:0xf
	s_delay_alu instid0(VALU_DEP_1) | instskip(NEXT) | instid1(VALU_DEP_1)
	v_cndmask_b32_e64 v64, v64, 0, vcc_lo
	v_add_nc_u32_e32 v63, v64, v63
	s_delay_alu instid0(VALU_DEP_1) | instskip(NEXT) | instid1(VALU_DEP_1)
	v_mov_b32_dpp v64, v63 row_shr:2 row_mask:0xf bank_mask:0xf
	v_cndmask_b32_e64 v64, 0, v64, s2
	s_delay_alu instid0(VALU_DEP_1) | instskip(NEXT) | instid1(VALU_DEP_1)
	v_add_nc_u32_e32 v63, v63, v64
	v_mov_b32_dpp v64, v63 row_shr:4 row_mask:0xf bank_mask:0xf
	s_delay_alu instid0(VALU_DEP_1) | instskip(NEXT) | instid1(VALU_DEP_1)
	v_cndmask_b32_e64 v64, 0, v64, s3
	v_add_nc_u32_e32 v63, v63, v64
	s_delay_alu instid0(VALU_DEP_1) | instskip(NEXT) | instid1(VALU_DEP_1)
	v_mov_b32_dpp v64, v63 row_shr:8 row_mask:0xf bank_mask:0xf
	v_cndmask_b32_e64 v64, 0, v64, s4
	s_delay_alu instid0(VALU_DEP_1)
	v_add_nc_u32_e32 v63, v63, v64
	ds_store_b32 v62, v63
.LBB731_53:
	s_or_b32 exec_lo, exec_lo, s6
	v_mov_b32_e32 v62, 0
	s_mov_b32 s2, exec_lo
	s_wait_dscnt 0x0
	s_barrier_signal -1
	s_barrier_wait -1
	v_cmpx_lt_u32_e32 31, v1
; %bb.54:
	v_lshl_add_u32 v61, v61, 2, -4
	ds_load_b32 v62, v61
; %bb.55:
	s_or_b32 exec_lo, exec_lo, s2
	v_sub_co_u32 v61, vcc_lo, v14, 1
	s_wait_dscnt 0x0
	v_add_nc_u32_e32 v60, v62, v60
	s_delay_alu instid0(VALU_DEP_2) | instskip(NEXT) | instid1(VALU_DEP_1)
	v_cmp_gt_i32_e64 s2, 0, v61
	v_cndmask_b32_e64 v61, v61, v14, s2
	v_cmp_gt_u32_e64 s2, 0x100, v1
	s_delay_alu instid0(VALU_DEP_2) | instskip(SKIP_4) | instid1(VALU_DEP_2)
	v_lshlrev_b32_e32 v61, 2, v61
	ds_bpermute_b32 v60, v61, v60
	s_wait_dscnt 0x0
	v_cndmask_b32_e32 v60, v60, v62, vcc_lo
	v_cmp_ne_u32_e32 vcc_lo, 0, v1
	v_cndmask_b32_e32 v60, 0, v60, vcc_lo
	v_cmp_lt_u32_e32 vcc_lo, 0xff, v1
	s_delay_alu instid0(VALU_DEP_2) | instskip(NEXT) | instid1(VALU_DEP_1)
	v_add_nc_u32_e32 v8, v60, v8
	v_add_nc_u32_e32 v9, v8, v9
	s_delay_alu instid0(VALU_DEP_1) | instskip(NEXT) | instid1(VALU_DEP_1)
	v_add_nc_u32_e32 v6, v9, v6
	v_add_nc_u32_e32 v7, v6, v7
	s_delay_alu instid0(VALU_DEP_1) | instskip(NEXT) | instid1(VALU_DEP_1)
	;; [unrolled: 3-line block ×3, first 2 shown]
	v_add_nc_u32_e32 v2, v5, v2
	v_add_nc_u32_e32 v3, v2, v3
	ds_store_2addr_b32 v13, v60, v8 offset0:16 offset1:17
	ds_store_2addr_b32 v13, v9, v6 offset0:18 offset1:19
	;; [unrolled: 1-line block ×4, first 2 shown]
	ds_store_b32 v13, v3 offset:96
	s_wait_dscnt 0x0
	s_barrier_signal -1
	s_barrier_wait -1
	ds_load_b32 v61, v16 offset:64
	ds_load_b32 v62, v20 offset:64
	;; [unrolled: 1-line block ×12, first 2 shown]
	v_mov_b64_e32 v[2:3], 0
                                        ; implicit-def: $vgpr4
	s_and_saveexec_b32 s4, s2
	s_cbranch_execz .LBB731_59
; %bb.56:
	v_mul_u32_u24_e32 v2, 0x44, v1
	v_dual_mov_b32 v3, 0x1800 :: v_dual_add_nc_u32 v4, 1, v1
	s_mov_b32 s5, exec_lo
	ds_load_b32 v2, v2 offset:64
	v_cmpx_ne_u32_e32 0x100, v4
; %bb.57:
	v_mul_u32_u24_e32 v3, 0x44, v4
	ds_load_b32 v3, v3 offset:64
; %bb.58:
	s_or_b32 exec_lo, exec_lo, s5
	s_wait_dscnt 0x0
	v_dual_mov_b32 v3, 0 :: v_dual_sub_nc_u32 v4, v3, v2
.LBB731_59:
	s_or_b32 exec_lo, exec_lo, s4
	s_wait_dscnt 0xa
	v_dual_lshlrev_b32 v11, 1, v11 :: v_dual_lshlrev_b32 v28, 1, v62
	v_dual_lshlrev_b32 v19, 1, v19 :: v_dual_lshlrev_b32 v18, 1, v18
	v_lshlrev_b32_e32 v22, 1, v22
	s_delay_alu instid0(VALU_DEP_3)
	v_lshl_add_u32 v11, v61, 1, v11
	v_lshlrev_b32_e32 v23, 1, v23
	s_wait_dscnt 0x0
	v_add3_u32 v18, v28, v19, v18
	v_lshlrev_b32_e32 v19, 1, v60
	s_barrier_signal -1
	s_barrier_wait -1
	ds_store_b16 v11, v10 offset:2048
	ds_store_b16 v18, v12 offset:2048
	v_lshlrev_b32_e32 v11, 1, v24
	v_add3_u32 v10, v19, v23, v22
	v_dual_lshlrev_b32 v12, 1, v27 :: v_dual_lshlrev_b32 v18, 1, v26
	v_dual_lshlrev_b32 v22, 1, v29 :: v_dual_lshlrev_b32 v16, 1, v16
	;; [unrolled: 1-line block ×6, first 2 shown]
	ds_store_b16 v10, v17 offset:2048
	v_add3_u32 v10, v11, v12, v18
	v_add3_u32 v12, v16, v23, v24
	v_dual_lshlrev_b32 v16, 1, v43 :: v_dual_lshlrev_b32 v17, 1, v41
	v_add3_u32 v11, v19, v20, v22
	v_add3_u32 v13, v13, v26, v27
	ds_store_b16 v10, v21 offset:2048
	ds_store_b16 v11, v25 offset:2048
	;; [unrolled: 1-line block ×4, first 2 shown]
	v_add3_u32 v9, v9, v16, v17
	v_dual_lshlrev_b32 v8, 1, v8 :: v_dual_lshlrev_b32 v10, 1, v46
	v_dual_lshlrev_b32 v11, 1, v44 :: v_dual_lshlrev_b32 v7, 1, v7
	;; [unrolled: 1-line block ×6, first 2 shown]
	ds_store_b16 v9, v36 offset:2048
	v_add3_u32 v8, v8, v10, v11
	v_add3_u32 v9, v7, v12, v13
	;; [unrolled: 1-line block ×3, first 2 shown]
	v_dual_mov_b32 v7, 0 :: v_dual_lshlrev_b32 v5, 3, v1
	v_add3_u32 v6, v6, v16, v17
	ds_store_b16 v8, v40 offset:2048
	ds_store_b16 v9, v45 offset:2048
	;; [unrolled: 1-line block ×4, first 2 shown]
	s_and_saveexec_b32 s3, s2
	s_cbranch_execz .LBB731_69
; %bb.60:
	v_lshl_add_u32 v6, s9, 8, v1
	v_dual_mov_b32 v10, 0 :: v_dual_bitop2_b32 v11, 2.0, v4 bitop3:0x54
	s_mov_b32 s4, 0
	s_mov_b32 s5, s9
	s_delay_alu instid0(VALU_DEP_2)
	v_lshl_add_u64 v[8:9], v[6:7], 2, s[10:11]
	global_store_b32 v6, v11, s[10:11] scale_offset scope:SCOPE_DEV
                                        ; implicit-def: $sgpr2
	s_branch .LBB731_63
.LBB731_61:                             ;   in Loop: Header=BB731_63 Depth=1
	s_or_b32 exec_lo, exec_lo, s7
.LBB731_62:                             ;   in Loop: Header=BB731_63 Depth=1
	s_delay_alu instid0(SALU_CYCLE_1) | instskip(SKIP_2) | instid1(VALU_DEP_2)
	s_or_b32 exec_lo, exec_lo, s6
	v_and_b32_e32 v6, 0x3fffffff, v11
	v_cmp_gt_i32_e64 s2, -2.0, v11
	v_add_nc_u32_e32 v10, v6, v10
	s_and_b32 s6, exec_lo, s2
	s_delay_alu instid0(SALU_CYCLE_1) | instskip(NEXT) | instid1(SALU_CYCLE_1)
	s_or_b32 s4, s6, s4
	s_and_not1_b32 exec_lo, exec_lo, s4
	s_cbranch_execz .LBB731_68
.LBB731_63:                             ; =>This Loop Header: Depth=1
                                        ;     Child Loop BB731_66 Depth 2
	s_or_b32 s2, s2, exec_lo
	s_cmp_eq_u32 s5, 0
	s_cbranch_scc1 .LBB731_67
; %bb.64:                               ;   in Loop: Header=BB731_63 Depth=1
	s_add_co_i32 s5, s5, -1
	s_mov_b32 s6, exec_lo
	s_wait_xcnt 0x0
	v_lshl_or_b32 v6, s5, 8, v1
	global_load_b32 v11, v6, s[10:11] scale_offset scope:SCOPE_DEV
	s_wait_loadcnt 0x0
	v_cmpx_gt_u32_e32 2.0, v11
	s_cbranch_execz .LBB731_62
; %bb.65:                               ;   in Loop: Header=BB731_63 Depth=1
	v_lshl_add_u64 v[12:13], v[6:7], 2, s[10:11]
	s_mov_b32 s7, 0
.LBB731_66:                             ;   Parent Loop BB731_63 Depth=1
                                        ; =>  This Inner Loop Header: Depth=2
	global_load_b32 v11, v[12:13], off scope:SCOPE_DEV
	s_wait_loadcnt 0x0
	v_cmp_lt_u32_e64 s2, 0x3fffffff, v11
	s_or_b32 s7, s2, s7
	s_wait_xcnt 0x0
	s_and_not1_b32 exec_lo, exec_lo, s7
	s_cbranch_execnz .LBB731_66
	s_branch .LBB731_61
.LBB731_67:                             ;   in Loop: Header=BB731_63 Depth=1
                                        ; implicit-def: $sgpr5
	s_and_b32 s6, exec_lo, s2
	s_delay_alu instid0(SALU_CYCLE_1)
	s_or_b32 s4, s6, s4
	s_wait_xcnt 0x0
	s_and_not1_b32 exec_lo, exec_lo, s4
	s_cbranch_execnz .LBB731_63
.LBB731_68:
	s_or_b32 exec_lo, exec_lo, s4
	v_dual_mov_b32 v11, 0 :: v_dual_add_nc_u32 v6, v10, v4
	s_delay_alu instid0(VALU_DEP_1) | instskip(SKIP_4) | instid1(VALU_DEP_1)
	v_or_b32_e32 v6, 0x80000000, v6
	global_store_b32 v[8:9], v6, off scope:SCOPE_DEV
	global_load_b64 v[6:7], v1, s[12:13] scale_offset
	v_sub_nc_u64_e32 v[8:9], v[10:11], v[2:3]
	s_wait_loadcnt 0x0
	v_add_nc_u64_e32 v[6:7], v[8:9], v[6:7]
	ds_store_b64 v5, v[6:7]
.LBB731_69:
	s_wait_xcnt 0x0
	s_or_b32 exec_lo, exec_lo, s3
	v_mad_i32_i24 v8, v1, -6, v5
	v_lshlrev_b32_e32 v6, 1, v1
	s_mov_b32 s3, exec_lo
	s_wait_storecnt_dscnt 0x0
	s_barrier_signal -1
	s_barrier_wait -1
	v_cmpx_gt_u32_e64 s22, v1
	s_cbranch_execz .LBB731_71
; %bb.70:
	ds_load_u16 v9, v8 offset:2048
	s_wait_dscnt 0x0
	v_and_b32_e32 v7, 0xffff, v9
	s_delay_alu instid0(VALU_DEP_1) | instskip(NEXT) | instid1(VALU_DEP_1)
	v_lshrrev_b32_e32 v7, s20, v7
	v_and_b32_e32 v7, s25, v7
	s_delay_alu instid0(VALU_DEP_1) | instskip(SKIP_4) | instid1(VALU_DEP_1)
	v_lshlrev_b32_e32 v7, 3, v7
	ds_load_b64 v[10:11], v7
	v_mov_b32_e32 v7, 0
	s_wait_dscnt 0x0
	v_lshl_add_u64 v[10:11], v[10:11], 1, s[18:19]
	v_add_nc_u64_e32 v[10:11], v[10:11], v[6:7]
	v_xor_b32_e32 v7, 0xffff8000, v9
	global_store_b16 v[10:11], v7, off
.LBB731_71:
	s_wait_xcnt 0x0
	s_or_b32 exec_lo, exec_lo, s3
	v_add_nc_u32_e32 v7, 0x200, v1
	s_mov_b32 s3, exec_lo
	s_delay_alu instid0(VALU_DEP_1)
	v_cmpx_gt_u32_e64 s22, v7
	s_cbranch_execz .LBB731_73
; %bb.72:
	ds_load_u16 v9, v8 offset:3072
	s_wait_dscnt 0x0
	v_and_b32_e32 v7, 0xffff, v9
	s_delay_alu instid0(VALU_DEP_1) | instskip(NEXT) | instid1(VALU_DEP_1)
	v_lshrrev_b32_e32 v7, s20, v7
	v_and_b32_e32 v7, s25, v7
	s_delay_alu instid0(VALU_DEP_1) | instskip(SKIP_4) | instid1(VALU_DEP_1)
	v_lshlrev_b32_e32 v7, 3, v7
	ds_load_b64 v[10:11], v7
	v_mov_b32_e32 v7, 0
	s_wait_dscnt 0x0
	v_lshl_add_u64 v[10:11], v[10:11], 1, s[18:19]
	v_add_nc_u64_e32 v[10:11], v[10:11], v[6:7]
	v_xor_b32_e32 v7, 0xffff8000, v9
	global_store_b16 v[10:11], v7, off offset:1024
.LBB731_73:
	s_wait_xcnt 0x0
	s_or_b32 exec_lo, exec_lo, s3
	v_or_b32_e32 v7, 0x400, v1
	s_mov_b32 s3, exec_lo
	s_delay_alu instid0(VALU_DEP_1)
	v_cmpx_gt_u32_e64 s22, v7
	s_cbranch_execz .LBB731_75
; %bb.74:
	ds_load_u16 v9, v8 offset:4096
	s_wait_dscnt 0x0
	v_and_b32_e32 v7, 0xffff, v9
	s_delay_alu instid0(VALU_DEP_1) | instskip(NEXT) | instid1(VALU_DEP_1)
	v_lshrrev_b32_e32 v7, s20, v7
	v_and_b32_e32 v7, s25, v7
	s_delay_alu instid0(VALU_DEP_1) | instskip(SKIP_4) | instid1(VALU_DEP_1)
	v_lshlrev_b32_e32 v7, 3, v7
	ds_load_b64 v[10:11], v7
	v_mov_b32_e32 v7, 0
	s_wait_dscnt 0x0
	v_lshl_add_u64 v[10:11], v[10:11], 1, s[18:19]
	v_add_nc_u64_e32 v[10:11], v[10:11], v[6:7]
	v_xor_b32_e32 v7, 0xffff8000, v9
	global_store_b16 v[10:11], v7, off offset:2048
.LBB731_75:
	s_wait_xcnt 0x0
	s_or_b32 exec_lo, exec_lo, s3
	v_add_nc_u32_e32 v7, 0x600, v1
	s_mov_b32 s3, exec_lo
	s_delay_alu instid0(VALU_DEP_1)
	v_cmpx_gt_u32_e64 s22, v7
	s_cbranch_execz .LBB731_77
; %bb.76:
	ds_load_u16 v9, v8 offset:5120
	s_wait_dscnt 0x0
	v_and_b32_e32 v7, 0xffff, v9
	s_delay_alu instid0(VALU_DEP_1) | instskip(NEXT) | instid1(VALU_DEP_1)
	v_lshrrev_b32_e32 v7, s20, v7
	v_and_b32_e32 v7, s25, v7
	s_delay_alu instid0(VALU_DEP_1) | instskip(SKIP_4) | instid1(VALU_DEP_1)
	v_lshlrev_b32_e32 v7, 3, v7
	ds_load_b64 v[10:11], v7
	v_mov_b32_e32 v7, 0
	s_wait_dscnt 0x0
	v_lshl_add_u64 v[10:11], v[10:11], 1, s[18:19]
	v_add_nc_u64_e32 v[10:11], v[10:11], v[6:7]
	v_xor_b32_e32 v7, 0xffff8000, v9
	global_store_b16 v[10:11], v7, off offset:3072
.LBB731_77:
	s_wait_xcnt 0x0
	s_or_b32 exec_lo, exec_lo, s3
	v_or_b32_e32 v7, 0x800, v1
	s_mov_b32 s3, exec_lo
	s_delay_alu instid0(VALU_DEP_1)
	v_cmpx_gt_u32_e64 s22, v7
	s_cbranch_execz .LBB731_79
; %bb.78:
	ds_load_u16 v9, v8 offset:6144
	s_wait_dscnt 0x0
	v_and_b32_e32 v7, 0xffff, v9
	s_delay_alu instid0(VALU_DEP_1) | instskip(NEXT) | instid1(VALU_DEP_1)
	v_lshrrev_b32_e32 v7, s20, v7
	v_and_b32_e32 v7, s25, v7
	s_delay_alu instid0(VALU_DEP_1) | instskip(SKIP_4) | instid1(VALU_DEP_1)
	v_lshlrev_b32_e32 v7, 3, v7
	ds_load_b64 v[10:11], v7
	v_mov_b32_e32 v7, 0
	s_wait_dscnt 0x0
	v_lshl_add_u64 v[10:11], v[10:11], 1, s[18:19]
	v_add_nc_u64_e32 v[10:11], v[10:11], v[6:7]
	v_xor_b32_e32 v7, 0xffff8000, v9
	global_store_b16 v[10:11], v7, off offset:4096
.LBB731_79:
	;; [unrolled: 48-line block ×5, first 2 shown]
	s_wait_xcnt 0x0
	s_or_b32 exec_lo, exec_lo, s3
	v_add_nc_u32_e32 v7, 0x1600, v1
	s_mov_b32 s3, exec_lo
	s_delay_alu instid0(VALU_DEP_1)
	v_cmpx_gt_u32_e64 s22, v7
	s_cbranch_execz .LBB731_93
; %bb.92:
	ds_load_u16 v10, v6 offset:13312
	s_wait_dscnt 0x0
	v_and_b32_e32 v7, 0xffff, v10
	s_delay_alu instid0(VALU_DEP_1) | instskip(NEXT) | instid1(VALU_DEP_1)
	v_lshrrev_b32_e32 v7, s20, v7
	v_and_b32_e32 v7, s25, v7
	s_delay_alu instid0(VALU_DEP_1) | instskip(SKIP_4) | instid1(VALU_DEP_1)
	v_lshlrev_b32_e32 v7, 3, v7
	ds_load_b64 v[8:9], v7
	v_mov_b32_e32 v7, 0
	s_wait_dscnt 0x0
	v_lshl_add_u64 v[8:9], v[8:9], 1, s[18:19]
	v_add_nc_u64_e32 v[6:7], v[8:9], v[6:7]
	v_xor_b32_e32 v8, 0xffff8000, v10
	global_store_b16 v[6:7], v8, off offset:11264
.LBB731_93:
	s_wait_xcnt 0x0
	s_or_b32 exec_lo, exec_lo, s3
	s_add_co_i32 s23, s23, -1
	s_delay_alu instid0(SALU_CYCLE_1) | instskip(SKIP_2) | instid1(SALU_CYCLE_1)
	s_cmp_eq_u32 s9, s23
	s_cselect_b32 s2, -1, 0
	s_xor_b32 s3, vcc_lo, -1
	s_and_b32 s3, s3, s2
	s_delay_alu instid0(SALU_CYCLE_1)
	s_and_saveexec_b32 s2, s3
	s_cbranch_execz .LBB731_95
; %bb.94:
	ds_load_b64 v[6:7], v5
	v_mov_b32_e32 v5, 0
	s_delay_alu instid0(VALU_DEP_1) | instskip(SKIP_1) | instid1(VALU_DEP_1)
	v_add_nc_u64_e32 v[2:3], v[2:3], v[4:5]
	s_wait_dscnt 0x0
	v_add_nc_u64_e32 v[2:3], v[2:3], v[6:7]
	global_store_b64 v1, v[2:3], s[14:15] scale_offset
.LBB731_95:
	s_wait_xcnt 0x0
	s_or_b32 exec_lo, exec_lo, s2
	s_mov_b32 s2, 0
.LBB731_96:
	s_delay_alu instid0(SALU_CYCLE_1)
	s_and_b32 vcc_lo, exec_lo, s2
	s_cbranch_vccz .LBB731_143
; %bb.97:
	s_mov_b32 s25, 0
	v_dual_mov_b32 v9, 0 :: v_dual_lshlrev_b32 v8, 1, v14
	s_lshl_b64 s[2:3], s[24:25], 1
	v_mul_u32_u24_e32 v1, 12, v15
	s_add_nc_u64 s[2:3], s[16:17], s[2:3]
	v_bfe_u32 v17, v0, 20, 10
	v_add_nc_u64_e32 v[2:3], s[2:3], v[8:9]
	s_delay_alu instid0(VALU_DEP_3) | instskip(NEXT) | instid1(VALU_DEP_1)
	v_lshlrev_b32_e32 v8, 1, v1
	v_add_nc_u64_e32 v[12:13], v[2:3], v[8:9]
	s_clause 0xb
	global_load_u16 v8, v[12:13], off
	global_load_u16 v10, v[12:13], off offset:64
	global_load_u16 v16, v[12:13], off offset:128
	;; [unrolled: 1-line block ×11, first 2 shown]
	s_clause 0x1
	s_load_b32 s7, s[0:1], 0x58
	s_load_u16 s2, s[0:1], 0x66
	v_bfe_u32 v13, v0, 10, 10
	v_and_b32_e32 v12, 0x3ff, v0
	s_wait_kmcnt 0x0
	s_cmp_lt_u32 s9, s7
	s_delay_alu instid0(VALU_DEP_2)
	v_mad_u32_u24 v0, v17, s2, v13
	s_cselect_b32 s24, 12, 18
	s_lshl_b32 s8, -1, s21
	s_add_nc_u64 s[0:1], s[26:27], s[24:25]
	s_load_u16 s16, s[0:1], 0x0
	s_wait_kmcnt 0x0
	v_mad_u32 v0, v0, s16, v12
	s_delay_alu instid0(VALU_DEP_1) | instskip(NEXT) | instid1(VALU_DEP_1)
	v_lshrrev_b32_e32 v0, 5, v0
	v_lshlrev_b32_e32 v0, 2, v0
	s_wait_loadcnt 0xb
	v_xor_b32_e32 v8, 0xffff8000, v8
	s_delay_alu instid0(VALU_DEP_1) | instskip(NEXT) | instid1(VALU_DEP_1)
	v_and_b32_e32 v11, 0xffff, v8
	v_lshrrev_b32_e32 v11, s20, v11
	s_delay_alu instid0(VALU_DEP_1) | instskip(SKIP_2) | instid1(VALU_DEP_2)
	v_bitop3_b32 v13, v11, 1, s8 bitop3:0x40
	v_bitop3_b32 v18, v11, s8, v11 bitop3:0x30
	s_not_b32 s8, s8
	v_add_co_u32 v11, s0, v13, -1
	s_delay_alu instid0(VALU_DEP_1) | instskip(NEXT) | instid1(VALU_DEP_3)
	v_cndmask_b32_e64 v13, 0, 1, s0
	v_dual_lshlrev_b32 v17, 30, v18 :: v_dual_lshlrev_b32 v19, 29, v18
	v_dual_lshlrev_b32 v21, 28, v18 :: v_dual_lshlrev_b32 v22, 27, v18
	s_delay_alu instid0(VALU_DEP_3) | instskip(NEXT) | instid1(VALU_DEP_3)
	v_cmp_ne_u32_e32 vcc_lo, 0, v13
	v_not_b32_e32 v13, v17
	v_dual_lshlrev_b32 v23, 26, v18 :: v_dual_lshlrev_b32 v25, 25, v18
	v_lshlrev_b32_e32 v26, 24, v18
	v_cmp_gt_i32_e64 s0, 0, v17
	v_cmp_gt_i32_e64 s1, 0, v19
	v_not_b32_e32 v17, v19
	v_not_b32_e32 v19, v21
	v_ashrrev_i32_e32 v13, 31, v13
	v_cmp_gt_i32_e64 s2, 0, v21
	v_cmp_gt_i32_e64 s3, 0, v22
	v_not_b32_e32 v21, v22
	v_not_b32_e32 v22, v23
	v_dual_ashrrev_i32 v17, 31, v17 :: v_dual_bitop2_b32 v11, vcc_lo, v11 bitop3:0x14
	v_dual_ashrrev_i32 v19, 31, v19 :: v_dual_bitop2_b32 v13, s0, v13 bitop3:0x14
	v_cmp_gt_i32_e64 s4, 0, v23
	v_cmp_gt_i32_e64 s5, 0, v25
	v_not_b32_e32 v23, v25
	v_not_b32_e32 v25, v26
	v_dual_ashrrev_i32 v21, 31, v21 :: v_dual_ashrrev_i32 v22, 31, v22
	v_xor_b32_e32 v17, s1, v17
	v_xor_b32_e32 v19, s2, v19
	v_bitop3_b32 v11, v11, v13, exec_lo bitop3:0x80
	v_cmp_gt_i32_e64 s6, 0, v26
	v_dual_ashrrev_i32 v13, 31, v23 :: v_dual_ashrrev_i32 v23, 31, v25
	v_xor_b32_e32 v21, s3, v21
	v_xor_b32_e32 v22, s4, v22
	v_bitop3_b32 v11, v11, v19, v17 bitop3:0x80
	s_delay_alu instid0(VALU_DEP_4) | instskip(SKIP_1) | instid1(VALU_DEP_3)
	v_xor_b32_e32 v13, s5, v13
	v_xor_b32_e32 v17, s6, v23
	v_bitop3_b32 v19, v11, v22, v21 bitop3:0x80
	v_mul_u32_u24_e32 v11, 36, v12
	ds_store_2addr_b32 v11, v9, v9 offset0:16 offset1:17
	ds_store_2addr_b32 v11, v9, v9 offset0:18 offset1:19
	;; [unrolled: 1-line block ×4, first 2 shown]
	v_bitop3_b32 v17, v19, v17, v13 bitop3:0x80
	ds_store_b32 v11, v9 offset:96
	v_mad_u32_u24 v13, 0x44, v18, v0
	s_wait_storecnt 0x0
	s_wait_loadcnt_dscnt 0x0
	s_barrier_signal -1
	v_mbcnt_lo_u32_b32 v9, v17, 0
	v_cmp_ne_u32_e64 s0, 0, v17
	s_barrier_wait -1
	s_delay_alu instid0(VALU_DEP_2) | instskip(SKIP_1) | instid1(SALU_CYCLE_1)
	v_cmp_eq_u32_e32 vcc_lo, 0, v9
	; wave barrier
	s_and_b32 s1, s0, vcc_lo
	s_and_saveexec_b32 s0, s1
; %bb.98:
	v_bcnt_u32_b32 v17, v17, 0
	ds_store_b32 v13, v17 offset:64
; %bb.99:
	s_or_b32 exec_lo, exec_lo, s0
	v_xor_b32_e32 v10, 0xffff8000, v10
	; wave barrier
	s_delay_alu instid0(VALU_DEP_1) | instskip(NEXT) | instid1(VALU_DEP_1)
	v_and_b32_e32 v17, 0xffff, v10
	v_lshrrev_b32_e32 v17, s20, v17
	s_delay_alu instid0(VALU_DEP_1) | instskip(SKIP_1) | instid1(VALU_DEP_2)
	v_bitop3_b32 v18, v17, 1, s8 bitop3:0x80
	v_and_b32_e32 v17, s8, v17
	v_add_co_u32 v18, s0, v18, -1
	s_delay_alu instid0(VALU_DEP_1) | instskip(NEXT) | instid1(VALU_DEP_3)
	v_cndmask_b32_e64 v19, 0, 1, s0
	v_dual_lshlrev_b32 v21, 30, v17 :: v_dual_lshlrev_b32 v22, 29, v17
	v_lshlrev_b32_e32 v23, 28, v17
	s_delay_alu instid0(VALU_DEP_3) | instskip(NEXT) | instid1(VALU_DEP_3)
	v_cmp_ne_u32_e32 vcc_lo, 0, v19
	v_cmp_gt_i32_e64 s0, 0, v21
	v_not_b32_e32 v19, v21
	v_cmp_gt_i32_e64 s1, 0, v22
	v_not_b32_e32 v21, v22
	v_not_b32_e32 v22, v23
	s_delay_alu instid0(VALU_DEP_4) | instskip(NEXT) | instid1(VALU_DEP_2)
	v_dual_ashrrev_i32 v19, 31, v19 :: v_dual_bitop2_b32 v18, vcc_lo, v18 bitop3:0x14
	v_dual_ashrrev_i32 v21, 31, v21 :: v_dual_ashrrev_i32 v22, 31, v22
	v_dual_lshlrev_b32 v25, 27, v17 :: v_dual_lshlrev_b32 v26, 26, v17
	v_dual_lshlrev_b32 v27, 25, v17 :: v_dual_lshlrev_b32 v28, 24, v17
	v_cmp_gt_i32_e64 s2, 0, v23
	s_delay_alu instid0(VALU_DEP_3)
	v_cmp_gt_i32_e64 s3, 0, v25
	v_not_b32_e32 v23, v25
	v_not_b32_e32 v25, v26
	v_xor_b32_e32 v19, s0, v19
	v_cmp_gt_i32_e64 s4, 0, v26
	v_cmp_gt_i32_e64 s5, 0, v27
	v_not_b32_e32 v26, v27
	v_not_b32_e32 v27, v28
	v_dual_ashrrev_i32 v23, 31, v23 :: v_dual_ashrrev_i32 v25, 31, v25
	s_delay_alu instid0(VALU_DEP_3) | instskip(NEXT) | instid1(VALU_DEP_3)
	v_dual_ashrrev_i32 v26, 31, v26 :: v_dual_bitop2_b32 v21, s1, v21 bitop3:0x14
	v_dual_ashrrev_i32 v27, 31, v27 :: v_dual_bitop2_b32 v22, s2, v22 bitop3:0x14
	v_bitop3_b32 v18, v18, v19, exec_lo bitop3:0x80
	v_cmp_gt_i32_e64 s6, 0, v28
	v_xor_b32_e32 v23, s3, v23
	v_xor_b32_e32 v25, s4, v25
	v_mad_u32_u24 v19, 0x44, v17, v0
	v_bitop3_b32 v18, v18, v22, v21 bitop3:0x80
	v_xor_b32_e32 v21, s5, v26
	v_xor_b32_e32 v22, s6, v27
	ds_load_b32 v17, v19 offset:64
	v_bitop3_b32 v18, v18, v25, v23 bitop3:0x80
	; wave barrier
	s_delay_alu instid0(VALU_DEP_1) | instskip(NEXT) | instid1(VALU_DEP_1)
	v_bitop3_b32 v21, v18, v22, v21 bitop3:0x80
	v_mbcnt_lo_u32_b32 v18, v21, 0
	v_cmp_ne_u32_e64 s0, 0, v21
	s_delay_alu instid0(VALU_DEP_2) | instskip(SKIP_1) | instid1(SALU_CYCLE_1)
	v_cmp_eq_u32_e32 vcc_lo, 0, v18
	s_and_b32 s1, s0, vcc_lo
	s_and_saveexec_b32 s0, s1
	s_cbranch_execz .LBB731_101
; %bb.100:
	s_wait_dscnt 0x0
	v_bcnt_u32_b32 v21, v21, v17
	ds_store_b32 v19, v21 offset:64
.LBB731_101:
	s_or_b32 exec_lo, exec_lo, s0
	v_xor_b32_e32 v16, 0xffff8000, v16
	; wave barrier
	s_delay_alu instid0(VALU_DEP_1) | instskip(NEXT) | instid1(VALU_DEP_1)
	v_and_b32_e32 v21, 0xffff, v16
	v_lshrrev_b32_e32 v21, s20, v21
	s_delay_alu instid0(VALU_DEP_1) | instskip(SKIP_1) | instid1(VALU_DEP_2)
	v_bitop3_b32 v22, v21, 1, s8 bitop3:0x80
	v_and_b32_e32 v21, s8, v21
	v_add_co_u32 v22, s0, v22, -1
	s_delay_alu instid0(VALU_DEP_1) | instskip(NEXT) | instid1(VALU_DEP_3)
	v_cndmask_b32_e64 v23, 0, 1, s0
	v_dual_lshlrev_b32 v25, 30, v21 :: v_dual_lshlrev_b32 v26, 29, v21
	v_lshlrev_b32_e32 v27, 28, v21
	s_delay_alu instid0(VALU_DEP_3) | instskip(NEXT) | instid1(VALU_DEP_3)
	v_cmp_ne_u32_e32 vcc_lo, 0, v23
	v_cmp_gt_i32_e64 s0, 0, v25
	v_not_b32_e32 v23, v25
	v_cmp_gt_i32_e64 s1, 0, v26
	v_not_b32_e32 v25, v26
	v_not_b32_e32 v26, v27
	s_delay_alu instid0(VALU_DEP_4) | instskip(NEXT) | instid1(VALU_DEP_2)
	v_dual_ashrrev_i32 v23, 31, v23 :: v_dual_bitop2_b32 v22, vcc_lo, v22 bitop3:0x14
	v_dual_ashrrev_i32 v25, 31, v25 :: v_dual_ashrrev_i32 v26, 31, v26
	v_dual_lshlrev_b32 v28, 27, v21 :: v_dual_lshlrev_b32 v29, 26, v21
	v_dual_lshlrev_b32 v30, 25, v21 :: v_dual_lshlrev_b32 v31, 24, v21
	v_cmp_gt_i32_e64 s2, 0, v27
	s_delay_alu instid0(VALU_DEP_3)
	v_cmp_gt_i32_e64 s3, 0, v28
	v_not_b32_e32 v27, v28
	v_not_b32_e32 v28, v29
	v_xor_b32_e32 v23, s0, v23
	v_cmp_gt_i32_e64 s4, 0, v29
	v_cmp_gt_i32_e64 s5, 0, v30
	v_not_b32_e32 v29, v30
	v_not_b32_e32 v30, v31
	v_dual_ashrrev_i32 v27, 31, v27 :: v_dual_ashrrev_i32 v28, 31, v28
	v_xor_b32_e32 v25, s1, v25
	s_delay_alu instid0(VALU_DEP_4) | instskip(SKIP_4) | instid1(VALU_DEP_4)
	v_dual_ashrrev_i32 v29, 31, v29 :: v_dual_bitop2_b32 v26, s2, v26 bitop3:0x14
	v_bitop3_b32 v22, v22, v23, exec_lo bitop3:0x80
	v_cmp_gt_i32_e64 s6, 0, v31
	v_dual_ashrrev_i32 v30, 31, v30 :: v_dual_bitop2_b32 v27, s3, v27 bitop3:0x14
	v_xor_b32_e32 v28, s4, v28
	v_bitop3_b32 v22, v22, v26, v25 bitop3:0x80
	v_mad_u32_u24 v23, 0x44, v21, v0
	v_xor_b32_e32 v25, s5, v29
	v_xor_b32_e32 v26, s6, v30
	s_delay_alu instid0(VALU_DEP_4) | instskip(SKIP_2) | instid1(VALU_DEP_1)
	v_bitop3_b32 v22, v22, v28, v27 bitop3:0x80
	ds_load_b32 v21, v23 offset:64
	; wave barrier
	v_bitop3_b32 v25, v22, v26, v25 bitop3:0x80
	v_mbcnt_lo_u32_b32 v22, v25, 0
	v_cmp_ne_u32_e64 s0, 0, v25
	s_delay_alu instid0(VALU_DEP_2) | instskip(SKIP_1) | instid1(SALU_CYCLE_1)
	v_cmp_eq_u32_e32 vcc_lo, 0, v22
	s_and_b32 s1, s0, vcc_lo
	s_and_saveexec_b32 s0, s1
	s_cbranch_execz .LBB731_103
; %bb.102:
	s_wait_dscnt 0x0
	v_bcnt_u32_b32 v25, v25, v21
	ds_store_b32 v23, v25 offset:64
.LBB731_103:
	s_or_b32 exec_lo, exec_lo, s0
	v_xor_b32_e32 v20, 0xffff8000, v20
	; wave barrier
	s_delay_alu instid0(VALU_DEP_1) | instskip(NEXT) | instid1(VALU_DEP_1)
	v_and_b32_e32 v25, 0xffff, v20
	v_lshrrev_b32_e32 v25, s20, v25
	s_delay_alu instid0(VALU_DEP_1) | instskip(SKIP_1) | instid1(VALU_DEP_2)
	v_bitop3_b32 v26, v25, 1, s8 bitop3:0x80
	v_and_b32_e32 v25, s8, v25
	v_add_co_u32 v26, s0, v26, -1
	s_delay_alu instid0(VALU_DEP_1) | instskip(NEXT) | instid1(VALU_DEP_3)
	v_cndmask_b32_e64 v27, 0, 1, s0
	v_dual_lshlrev_b32 v28, 30, v25 :: v_dual_lshlrev_b32 v29, 29, v25
	s_delay_alu instid0(VALU_DEP_2) | instskip(NEXT) | instid1(VALU_DEP_2)
	v_cmp_ne_u32_e32 vcc_lo, 0, v27
	v_cmp_gt_i32_e64 s0, 0, v28
	v_not_b32_e32 v27, v28
	s_delay_alu instid0(VALU_DEP_4) | instskip(SKIP_1) | instid1(VALU_DEP_3)
	v_not_b32_e32 v28, v29
	v_cmp_gt_i32_e64 s1, 0, v29
	v_dual_ashrrev_i32 v27, 31, v27 :: v_dual_bitop2_b32 v26, vcc_lo, v26 bitop3:0x14
	s_delay_alu instid0(VALU_DEP_3) | instskip(SKIP_2) | instid1(VALU_DEP_3)
	v_dual_ashrrev_i32 v28, 31, v28 :: v_dual_lshlrev_b32 v30, 28, v25
	v_dual_lshlrev_b32 v31, 27, v25 :: v_dual_lshlrev_b32 v32, 26, v25
	v_dual_lshlrev_b32 v33, 25, v25 :: v_dual_lshlrev_b32 v34, 24, v25
	v_not_b32_e32 v29, v30
	v_cmp_gt_i32_e64 s2, 0, v30
	s_delay_alu instid0(VALU_DEP_4)
	v_cmp_gt_i32_e64 s3, 0, v31
	v_not_b32_e32 v30, v31
	v_not_b32_e32 v31, v32
	v_dual_ashrrev_i32 v29, 31, v29 :: v_dual_bitop2_b32 v27, s0, v27 bitop3:0x14
	v_cmp_gt_i32_e64 s4, 0, v32
	v_cmp_gt_i32_e64 s5, 0, v33
	v_not_b32_e32 v32, v33
	v_not_b32_e32 v33, v34
	v_dual_ashrrev_i32 v30, 31, v30 :: v_dual_ashrrev_i32 v31, 31, v31
	v_xor_b32_e32 v28, s1, v28
	s_delay_alu instid0(VALU_DEP_4) | instskip(SKIP_4) | instid1(VALU_DEP_4)
	v_dual_ashrrev_i32 v32, 31, v32 :: v_dual_bitop2_b32 v29, s2, v29 bitop3:0x14
	v_bitop3_b32 v26, v26, v27, exec_lo bitop3:0x80
	v_cmp_gt_i32_e64 s6, 0, v34
	v_dual_ashrrev_i32 v33, 31, v33 :: v_dual_bitop2_b32 v30, s3, v30 bitop3:0x14
	v_xor_b32_e32 v31, s4, v31
	v_bitop3_b32 v26, v26, v29, v28 bitop3:0x80
	v_mad_u32_u24 v27, 0x44, v25, v0
	v_xor_b32_e32 v28, s5, v32
	v_xor_b32_e32 v29, s6, v33
	s_delay_alu instid0(VALU_DEP_4) | instskip(SKIP_2) | instid1(VALU_DEP_1)
	v_bitop3_b32 v26, v26, v31, v30 bitop3:0x80
	ds_load_b32 v25, v27 offset:64
	; wave barrier
	v_bitop3_b32 v28, v26, v29, v28 bitop3:0x80
	v_mbcnt_lo_u32_b32 v26, v28, 0
	v_cmp_ne_u32_e64 s0, 0, v28
	s_delay_alu instid0(VALU_DEP_2) | instskip(SKIP_1) | instid1(SALU_CYCLE_1)
	v_cmp_eq_u32_e32 vcc_lo, 0, v26
	s_and_b32 s1, s0, vcc_lo
	s_and_saveexec_b32 s0, s1
	s_cbranch_execz .LBB731_105
; %bb.104:
	s_wait_dscnt 0x0
	v_bcnt_u32_b32 v28, v28, v25
	ds_store_b32 v27, v28 offset:64
.LBB731_105:
	s_or_b32 exec_lo, exec_lo, s0
	v_xor_b32_e32 v24, 0xffff8000, v24
	; wave barrier
	s_delay_alu instid0(VALU_DEP_1) | instskip(NEXT) | instid1(VALU_DEP_1)
	v_and_b32_e32 v28, 0xffff, v24
	v_lshrrev_b32_e32 v28, s20, v28
	s_delay_alu instid0(VALU_DEP_1) | instskip(SKIP_1) | instid1(VALU_DEP_2)
	v_bitop3_b32 v29, v28, 1, s8 bitop3:0x80
	v_and_b32_e32 v28, s8, v28
	v_add_co_u32 v29, s0, v29, -1
	s_delay_alu instid0(VALU_DEP_1) | instskip(NEXT) | instid1(VALU_DEP_3)
	v_cndmask_b32_e64 v30, 0, 1, s0
	v_dual_lshlrev_b32 v31, 30, v28 :: v_dual_lshlrev_b32 v32, 29, v28
	s_delay_alu instid0(VALU_DEP_2) | instskip(NEXT) | instid1(VALU_DEP_2)
	v_cmp_ne_u32_e32 vcc_lo, 0, v30
	v_cmp_gt_i32_e64 s0, 0, v31
	v_not_b32_e32 v30, v31
	s_delay_alu instid0(VALU_DEP_4) | instskip(SKIP_1) | instid1(VALU_DEP_3)
	v_not_b32_e32 v31, v32
	v_cmp_gt_i32_e64 s1, 0, v32
	v_dual_ashrrev_i32 v30, 31, v30 :: v_dual_bitop2_b32 v29, vcc_lo, v29 bitop3:0x14
	s_delay_alu instid0(VALU_DEP_3) | instskip(SKIP_2) | instid1(VALU_DEP_3)
	v_dual_ashrrev_i32 v31, 31, v31 :: v_dual_lshlrev_b32 v33, 28, v28
	v_dual_lshlrev_b32 v34, 27, v28 :: v_dual_lshlrev_b32 v35, 26, v28
	v_dual_lshlrev_b32 v36, 25, v28 :: v_dual_lshlrev_b32 v37, 24, v28
	v_not_b32_e32 v32, v33
	v_cmp_gt_i32_e64 s2, 0, v33
	s_delay_alu instid0(VALU_DEP_4)
	v_cmp_gt_i32_e64 s3, 0, v34
	v_not_b32_e32 v33, v34
	v_not_b32_e32 v34, v35
	v_dual_ashrrev_i32 v32, 31, v32 :: v_dual_bitop2_b32 v30, s0, v30 bitop3:0x14
	v_cmp_gt_i32_e64 s4, 0, v35
	v_cmp_gt_i32_e64 s5, 0, v36
	v_not_b32_e32 v35, v36
	v_not_b32_e32 v36, v37
	v_dual_ashrrev_i32 v33, 31, v33 :: v_dual_ashrrev_i32 v34, 31, v34
	v_xor_b32_e32 v31, s1, v31
	v_xor_b32_e32 v32, s2, v32
	v_bitop3_b32 v29, v29, v30, exec_lo bitop3:0x80
	v_cmp_gt_i32_e64 s6, 0, v37
	v_dual_ashrrev_i32 v30, 31, v35 :: v_dual_ashrrev_i32 v35, 31, v36
	v_xor_b32_e32 v33, s3, v33
	v_xor_b32_e32 v34, s4, v34
	v_bitop3_b32 v29, v29, v32, v31 bitop3:0x80
	v_mad_u32_u24 v31, 0x44, v28, v0
	v_xor_b32_e32 v30, s5, v30
	v_xor_b32_e32 v32, s6, v35
	s_delay_alu instid0(VALU_DEP_4) | instskip(SKIP_2) | instid1(VALU_DEP_1)
	v_bitop3_b32 v29, v29, v34, v33 bitop3:0x80
	ds_load_b32 v28, v31 offset:64
	; wave barrier
	v_bitop3_b32 v29, v29, v32, v30 bitop3:0x80
	v_mbcnt_lo_u32_b32 v30, v29, 0
	v_cmp_ne_u32_e64 s0, 0, v29
	s_delay_alu instid0(VALU_DEP_2) | instskip(SKIP_1) | instid1(SALU_CYCLE_1)
	v_cmp_eq_u32_e32 vcc_lo, 0, v30
	s_and_b32 s1, s0, vcc_lo
	s_and_saveexec_b32 s0, s1
	s_cbranch_execz .LBB731_107
; %bb.106:
	s_wait_dscnt 0x0
	v_bcnt_u32_b32 v29, v29, v28
	ds_store_b32 v31, v29 offset:64
.LBB731_107:
	s_or_b32 exec_lo, exec_lo, s0
	v_xor_b32_e32 v29, 0xffff8000, v7
	; wave barrier
	s_delay_alu instid0(VALU_DEP_1) | instskip(NEXT) | instid1(VALU_DEP_1)
	v_and_b32_e32 v7, 0xffff, v29
	v_lshrrev_b32_e32 v7, s20, v7
	s_delay_alu instid0(VALU_DEP_1) | instskip(SKIP_1) | instid1(VALU_DEP_2)
	v_bitop3_b32 v32, v7, 1, s8 bitop3:0x80
	v_and_b32_e32 v7, s8, v7
	v_add_co_u32 v32, s0, v32, -1
	s_delay_alu instid0(VALU_DEP_1) | instskip(NEXT) | instid1(VALU_DEP_3)
	v_cndmask_b32_e64 v33, 0, 1, s0
	v_dual_lshlrev_b32 v34, 30, v7 :: v_dual_lshlrev_b32 v35, 29, v7
	s_delay_alu instid0(VALU_DEP_2) | instskip(NEXT) | instid1(VALU_DEP_2)
	v_cmp_ne_u32_e32 vcc_lo, 0, v33
	v_cmp_gt_i32_e64 s0, 0, v34
	v_not_b32_e32 v33, v34
	s_delay_alu instid0(VALU_DEP_4) | instskip(SKIP_1) | instid1(VALU_DEP_3)
	v_not_b32_e32 v34, v35
	v_cmp_gt_i32_e64 s1, 0, v35
	v_dual_ashrrev_i32 v33, 31, v33 :: v_dual_bitop2_b32 v32, vcc_lo, v32 bitop3:0x14
	s_delay_alu instid0(VALU_DEP_3) | instskip(SKIP_2) | instid1(VALU_DEP_3)
	v_dual_ashrrev_i32 v34, 31, v34 :: v_dual_lshlrev_b32 v36, 28, v7
	v_dual_lshlrev_b32 v37, 27, v7 :: v_dual_lshlrev_b32 v38, 26, v7
	v_dual_lshlrev_b32 v39, 25, v7 :: v_dual_lshlrev_b32 v40, 24, v7
	v_not_b32_e32 v35, v36
	v_cmp_gt_i32_e64 s2, 0, v36
	s_delay_alu instid0(VALU_DEP_4)
	v_cmp_gt_i32_e64 s3, 0, v37
	v_not_b32_e32 v36, v37
	v_not_b32_e32 v37, v38
	v_dual_ashrrev_i32 v35, 31, v35 :: v_dual_bitop2_b32 v33, s0, v33 bitop3:0x14
	v_cmp_gt_i32_e64 s4, 0, v38
	v_cmp_gt_i32_e64 s5, 0, v39
	v_not_b32_e32 v38, v39
	v_not_b32_e32 v39, v40
	v_dual_ashrrev_i32 v36, 31, v36 :: v_dual_ashrrev_i32 v37, 31, v37
	v_xor_b32_e32 v34, s1, v34
	v_xor_b32_e32 v35, s2, v35
	v_bitop3_b32 v32, v32, v33, exec_lo bitop3:0x80
	v_cmp_gt_i32_e64 s6, 0, v40
	v_dual_ashrrev_i32 v33, 31, v38 :: v_dual_ashrrev_i32 v38, 31, v39
	v_xor_b32_e32 v36, s3, v36
	v_xor_b32_e32 v37, s4, v37
	v_bitop3_b32 v32, v32, v35, v34 bitop3:0x80
	v_mad_u32_u24 v35, 0x44, v7, v0
	v_xor_b32_e32 v7, s5, v33
	v_xor_b32_e32 v33, s6, v38
	s_delay_alu instid0(VALU_DEP_4) | instskip(SKIP_2) | instid1(VALU_DEP_1)
	v_bitop3_b32 v34, v32, v37, v36 bitop3:0x80
	ds_load_b32 v32, v35 offset:64
	; wave barrier
	v_bitop3_b32 v7, v34, v33, v7 bitop3:0x80
	v_mbcnt_lo_u32_b32 v34, v7, 0
	v_cmp_ne_u32_e64 s0, 0, v7
	s_delay_alu instid0(VALU_DEP_2) | instskip(SKIP_1) | instid1(SALU_CYCLE_1)
	v_cmp_eq_u32_e32 vcc_lo, 0, v34
	s_and_b32 s1, s0, vcc_lo
	s_and_saveexec_b32 s0, s1
	s_cbranch_execz .LBB731_109
; %bb.108:
	s_wait_dscnt 0x0
	v_bcnt_u32_b32 v7, v7, v32
	ds_store_b32 v35, v7 offset:64
.LBB731_109:
	s_or_b32 exec_lo, exec_lo, s0
	v_xor_b32_e32 v33, 0xffff8000, v6
	; wave barrier
	s_delay_alu instid0(VALU_DEP_1) | instskip(NEXT) | instid1(VALU_DEP_1)
	v_and_b32_e32 v6, 0xffff, v33
	v_lshrrev_b32_e32 v6, s20, v6
	s_delay_alu instid0(VALU_DEP_1) | instskip(SKIP_1) | instid1(VALU_DEP_2)
	v_bitop3_b32 v7, v6, 1, s8 bitop3:0x80
	v_and_b32_e32 v6, s8, v6
	v_add_co_u32 v7, s0, v7, -1
	s_delay_alu instid0(VALU_DEP_1) | instskip(NEXT) | instid1(VALU_DEP_3)
	v_cndmask_b32_e64 v36, 0, 1, s0
	v_dual_lshlrev_b32 v37, 30, v6 :: v_dual_lshlrev_b32 v38, 29, v6
	s_delay_alu instid0(VALU_DEP_2) | instskip(NEXT) | instid1(VALU_DEP_2)
	v_cmp_ne_u32_e32 vcc_lo, 0, v36
	v_cmp_gt_i32_e64 s0, 0, v37
	v_not_b32_e32 v36, v37
	s_delay_alu instid0(VALU_DEP_4) | instskip(SKIP_1) | instid1(VALU_DEP_3)
	v_not_b32_e32 v37, v38
	v_cmp_gt_i32_e64 s1, 0, v38
	v_dual_ashrrev_i32 v36, 31, v36 :: v_dual_bitop2_b32 v7, vcc_lo, v7 bitop3:0x14
	s_delay_alu instid0(VALU_DEP_3) | instskip(SKIP_2) | instid1(VALU_DEP_3)
	v_dual_ashrrev_i32 v37, 31, v37 :: v_dual_lshlrev_b32 v39, 28, v6
	v_dual_lshlrev_b32 v40, 27, v6 :: v_dual_lshlrev_b32 v41, 26, v6
	v_dual_lshlrev_b32 v42, 25, v6 :: v_dual_lshlrev_b32 v43, 24, v6
	v_not_b32_e32 v38, v39
	v_cmp_gt_i32_e64 s2, 0, v39
	s_delay_alu instid0(VALU_DEP_4)
	v_cmp_gt_i32_e64 s3, 0, v40
	v_not_b32_e32 v39, v40
	v_not_b32_e32 v40, v41
	v_dual_ashrrev_i32 v38, 31, v38 :: v_dual_bitop2_b32 v36, s0, v36 bitop3:0x14
	v_cmp_gt_i32_e64 s4, 0, v41
	v_cmp_gt_i32_e64 s5, 0, v42
	v_not_b32_e32 v41, v42
	v_not_b32_e32 v42, v43
	v_dual_ashrrev_i32 v39, 31, v39 :: v_dual_ashrrev_i32 v40, 31, v40
	v_xor_b32_e32 v37, s1, v37
	v_xor_b32_e32 v38, s2, v38
	v_bitop3_b32 v7, v7, v36, exec_lo bitop3:0x80
	v_cmp_gt_i32_e64 s6, 0, v43
	v_dual_ashrrev_i32 v36, 31, v41 :: v_dual_ashrrev_i32 v41, 31, v42
	v_xor_b32_e32 v42, s3, v39
	v_xor_b32_e32 v40, s4, v40
	v_bitop3_b32 v7, v7, v38, v37 bitop3:0x80
	v_mad_u32_u24 v39, 0x44, v6, v0
	v_xor_b32_e32 v6, s5, v36
	v_xor_b32_e32 v36, s6, v41
	s_delay_alu instid0(VALU_DEP_4) | instskip(SKIP_2) | instid1(VALU_DEP_1)
	v_bitop3_b32 v7, v7, v40, v42 bitop3:0x80
	ds_load_b32 v37, v39 offset:64
	; wave barrier
	v_bitop3_b32 v6, v7, v36, v6 bitop3:0x80
	v_mbcnt_lo_u32_b32 v38, v6, 0
	v_cmp_ne_u32_e64 s0, 0, v6
	s_delay_alu instid0(VALU_DEP_2) | instskip(SKIP_1) | instid1(SALU_CYCLE_1)
	v_cmp_eq_u32_e32 vcc_lo, 0, v38
	s_and_b32 s1, s0, vcc_lo
	s_and_saveexec_b32 s0, s1
	s_cbranch_execz .LBB731_111
; %bb.110:
	s_wait_dscnt 0x0
	v_bcnt_u32_b32 v6, v6, v37
	ds_store_b32 v39, v6 offset:64
.LBB731_111:
	s_or_b32 exec_lo, exec_lo, s0
	v_xor_b32_e32 v36, 0xffff8000, v5
	; wave barrier
	s_delay_alu instid0(VALU_DEP_1) | instskip(NEXT) | instid1(VALU_DEP_1)
	v_and_b32_e32 v5, 0xffff, v36
	v_lshrrev_b32_e32 v5, s20, v5
	s_delay_alu instid0(VALU_DEP_1) | instskip(SKIP_1) | instid1(VALU_DEP_2)
	v_bitop3_b32 v6, v5, 1, s8 bitop3:0x80
	v_and_b32_e32 v5, s8, v5
	v_add_co_u32 v6, s0, v6, -1
	s_delay_alu instid0(VALU_DEP_1) | instskip(NEXT) | instid1(VALU_DEP_3)
	v_cndmask_b32_e64 v7, 0, 1, s0
	v_dual_lshlrev_b32 v40, 30, v5 :: v_dual_lshlrev_b32 v41, 29, v5
	s_delay_alu instid0(VALU_DEP_2) | instskip(NEXT) | instid1(VALU_DEP_2)
	v_cmp_ne_u32_e32 vcc_lo, 0, v7
	v_cmp_gt_i32_e64 s0, 0, v40
	v_not_b32_e32 v7, v40
	s_delay_alu instid0(VALU_DEP_4) | instskip(SKIP_1) | instid1(VALU_DEP_3)
	v_not_b32_e32 v40, v41
	v_cmp_gt_i32_e64 s1, 0, v41
	v_dual_ashrrev_i32 v7, 31, v7 :: v_dual_bitop2_b32 v6, vcc_lo, v6 bitop3:0x14
	s_delay_alu instid0(VALU_DEP_3) | instskip(SKIP_2) | instid1(VALU_DEP_3)
	v_dual_ashrrev_i32 v40, 31, v40 :: v_dual_lshlrev_b32 v42, 28, v5
	v_dual_lshlrev_b32 v43, 27, v5 :: v_dual_lshlrev_b32 v44, 26, v5
	v_dual_lshlrev_b32 v45, 25, v5 :: v_dual_lshlrev_b32 v46, 24, v5
	v_not_b32_e32 v41, v42
	v_cmp_gt_i32_e64 s2, 0, v42
	s_delay_alu instid0(VALU_DEP_4)
	v_cmp_gt_i32_e64 s3, 0, v43
	v_not_b32_e32 v42, v43
	v_not_b32_e32 v43, v44
	v_dual_ashrrev_i32 v41, 31, v41 :: v_dual_bitop2_b32 v7, s0, v7 bitop3:0x14
	v_cmp_gt_i32_e64 s4, 0, v44
	v_cmp_gt_i32_e64 s5, 0, v45
	v_not_b32_e32 v44, v45
	v_not_b32_e32 v45, v46
	v_dual_ashrrev_i32 v42, 31, v42 :: v_dual_ashrrev_i32 v43, 31, v43
	v_xor_b32_e32 v40, s1, v40
	v_xor_b32_e32 v41, s2, v41
	v_bitop3_b32 v6, v6, v7, exec_lo bitop3:0x80
	v_cmp_gt_i32_e64 s6, 0, v46
	v_dual_ashrrev_i32 v7, 31, v44 :: v_dual_ashrrev_i32 v44, 31, v45
	v_xor_b32_e32 v42, s3, v42
	v_xor_b32_e32 v45, s4, v43
	v_bitop3_b32 v6, v6, v41, v40 bitop3:0x80
	v_mad_u32_u24 v43, 0x44, v5, v0
	v_xor_b32_e32 v5, s5, v7
	v_xor_b32_e32 v7, s6, v44
	s_delay_alu instid0(VALU_DEP_4) | instskip(SKIP_2) | instid1(VALU_DEP_1)
	v_bitop3_b32 v6, v6, v45, v42 bitop3:0x80
	ds_load_b32 v41, v43 offset:64
	; wave barrier
	v_bitop3_b32 v5, v6, v7, v5 bitop3:0x80
	v_mbcnt_lo_u32_b32 v42, v5, 0
	v_cmp_ne_u32_e64 s0, 0, v5
	s_delay_alu instid0(VALU_DEP_2) | instskip(SKIP_1) | instid1(SALU_CYCLE_1)
	v_cmp_eq_u32_e32 vcc_lo, 0, v42
	s_and_b32 s1, s0, vcc_lo
	s_and_saveexec_b32 s0, s1
	s_cbranch_execz .LBB731_113
; %bb.112:
	s_wait_dscnt 0x0
	v_bcnt_u32_b32 v5, v5, v41
	ds_store_b32 v43, v5 offset:64
.LBB731_113:
	s_or_b32 exec_lo, exec_lo, s0
	v_xor_b32_e32 v40, 0xffff8000, v4
	; wave barrier
	s_delay_alu instid0(VALU_DEP_1) | instskip(NEXT) | instid1(VALU_DEP_1)
	v_and_b32_e32 v4, 0xffff, v40
	v_lshrrev_b32_e32 v4, s20, v4
	s_delay_alu instid0(VALU_DEP_1) | instskip(SKIP_1) | instid1(VALU_DEP_2)
	v_bitop3_b32 v5, v4, 1, s8 bitop3:0x80
	v_and_b32_e32 v4, s8, v4
	v_add_co_u32 v5, s0, v5, -1
	s_delay_alu instid0(VALU_DEP_1) | instskip(NEXT) | instid1(VALU_DEP_3)
	v_cndmask_b32_e64 v6, 0, 1, s0
	v_dual_lshlrev_b32 v7, 30, v4 :: v_dual_lshlrev_b32 v44, 29, v4
	s_delay_alu instid0(VALU_DEP_2) | instskip(NEXT) | instid1(VALU_DEP_2)
	v_cmp_ne_u32_e32 vcc_lo, 0, v6
	v_cmp_gt_i32_e64 s0, 0, v7
	v_not_b32_e32 v6, v7
	s_delay_alu instid0(VALU_DEP_4) | instskip(SKIP_1) | instid1(VALU_DEP_3)
	v_not_b32_e32 v7, v44
	v_cmp_gt_i32_e64 s1, 0, v44
	v_dual_ashrrev_i32 v6, 31, v6 :: v_dual_bitop2_b32 v5, vcc_lo, v5 bitop3:0x14
	s_delay_alu instid0(VALU_DEP_3) | instskip(SKIP_2) | instid1(VALU_DEP_3)
	v_dual_ashrrev_i32 v7, 31, v7 :: v_dual_lshlrev_b32 v45, 28, v4
	v_dual_lshlrev_b32 v46, 27, v4 :: v_dual_lshlrev_b32 v47, 26, v4
	v_dual_lshlrev_b32 v48, 25, v4 :: v_dual_lshlrev_b32 v49, 24, v4
	v_not_b32_e32 v44, v45
	v_cmp_gt_i32_e64 s2, 0, v45
	s_delay_alu instid0(VALU_DEP_4)
	v_cmp_gt_i32_e64 s3, 0, v46
	v_not_b32_e32 v45, v46
	v_not_b32_e32 v46, v47
	v_dual_ashrrev_i32 v44, 31, v44 :: v_dual_bitop2_b32 v6, s0, v6 bitop3:0x14
	v_cmp_gt_i32_e64 s4, 0, v47
	v_cmp_gt_i32_e64 s5, 0, v48
	v_not_b32_e32 v47, v48
	v_not_b32_e32 v48, v49
	v_dual_ashrrev_i32 v45, 31, v45 :: v_dual_ashrrev_i32 v46, 31, v46
	v_xor_b32_e32 v7, s1, v7
	v_xor_b32_e32 v44, s2, v44
	v_bitop3_b32 v5, v5, v6, exec_lo bitop3:0x80
	v_cmp_gt_i32_e64 s6, 0, v49
	v_dual_ashrrev_i32 v6, 31, v47 :: v_dual_ashrrev_i32 v48, 31, v48
	v_xor_b32_e32 v45, s3, v45
	v_xor_b32_e32 v46, s4, v46
	v_bitop3_b32 v5, v5, v44, v7 bitop3:0x80
	v_mad_u32_u24 v47, 0x44, v4, v0
	v_xor_b32_e32 v4, s5, v6
	v_xor_b32_e32 v6, s6, v48
	s_delay_alu instid0(VALU_DEP_4) | instskip(SKIP_2) | instid1(VALU_DEP_1)
	v_bitop3_b32 v5, v5, v46, v45 bitop3:0x80
	ds_load_b32 v45, v47 offset:64
	; wave barrier
	v_bitop3_b32 v4, v5, v6, v4 bitop3:0x80
	v_mbcnt_lo_u32_b32 v46, v4, 0
	v_cmp_ne_u32_e64 s0, 0, v4
	s_delay_alu instid0(VALU_DEP_2) | instskip(SKIP_1) | instid1(SALU_CYCLE_1)
	v_cmp_eq_u32_e32 vcc_lo, 0, v46
	s_and_b32 s1, s0, vcc_lo
	s_and_saveexec_b32 s0, s1
	s_cbranch_execz .LBB731_115
; %bb.114:
	s_wait_dscnt 0x0
	v_bcnt_u32_b32 v4, v4, v45
	ds_store_b32 v47, v4 offset:64
.LBB731_115:
	s_or_b32 exec_lo, exec_lo, s0
	v_xor_b32_e32 v44, 0xffff8000, v3
	; wave barrier
	s_delay_alu instid0(VALU_DEP_1) | instskip(NEXT) | instid1(VALU_DEP_1)
	v_and_b32_e32 v3, 0xffff, v44
	v_lshrrev_b32_e32 v3, s20, v3
	s_delay_alu instid0(VALU_DEP_1) | instskip(SKIP_1) | instid1(VALU_DEP_2)
	v_bitop3_b32 v4, v3, 1, s8 bitop3:0x80
	v_and_b32_e32 v3, s8, v3
	v_add_co_u32 v4, s0, v4, -1
	s_delay_alu instid0(VALU_DEP_1) | instskip(NEXT) | instid1(VALU_DEP_3)
	v_cndmask_b32_e64 v5, 0, 1, s0
	v_dual_lshlrev_b32 v6, 30, v3 :: v_dual_lshlrev_b32 v7, 29, v3
	s_delay_alu instid0(VALU_DEP_2) | instskip(NEXT) | instid1(VALU_DEP_2)
	v_cmp_ne_u32_e32 vcc_lo, 0, v5
	v_cmp_gt_i32_e64 s0, 0, v6
	v_not_b32_e32 v5, v6
	s_delay_alu instid0(VALU_DEP_4) | instskip(SKIP_1) | instid1(VALU_DEP_3)
	v_not_b32_e32 v6, v7
	v_cmp_gt_i32_e64 s1, 0, v7
	v_dual_ashrrev_i32 v5, 31, v5 :: v_dual_bitop2_b32 v4, vcc_lo, v4 bitop3:0x14
	s_delay_alu instid0(VALU_DEP_3) | instskip(SKIP_2) | instid1(VALU_DEP_3)
	v_dual_ashrrev_i32 v6, 31, v6 :: v_dual_lshlrev_b32 v48, 28, v3
	v_dual_lshlrev_b32 v49, 27, v3 :: v_dual_lshlrev_b32 v50, 26, v3
	v_dual_lshlrev_b32 v51, 25, v3 :: v_dual_lshlrev_b32 v52, 24, v3
	v_not_b32_e32 v7, v48
	v_cmp_gt_i32_e64 s2, 0, v48
	s_delay_alu instid0(VALU_DEP_4)
	v_cmp_gt_i32_e64 s3, 0, v49
	v_not_b32_e32 v48, v49
	v_not_b32_e32 v49, v50
	v_dual_ashrrev_i32 v7, 31, v7 :: v_dual_bitop2_b32 v5, s0, v5 bitop3:0x14
	v_cmp_gt_i32_e64 s4, 0, v50
	v_cmp_gt_i32_e64 s5, 0, v51
	v_not_b32_e32 v50, v51
	v_not_b32_e32 v51, v52
	v_dual_ashrrev_i32 v48, 31, v48 :: v_dual_ashrrev_i32 v49, 31, v49
	v_xor_b32_e32 v6, s1, v6
	v_xor_b32_e32 v7, s2, v7
	v_bitop3_b32 v4, v4, v5, exec_lo bitop3:0x80
	v_cmp_gt_i32_e64 s6, 0, v52
	v_dual_ashrrev_i32 v5, 31, v50 :: v_dual_ashrrev_i32 v50, 31, v51
	v_xor_b32_e32 v48, s3, v48
	v_xor_b32_e32 v49, s4, v49
	v_bitop3_b32 v4, v4, v7, v6 bitop3:0x80
	v_mad_u32_u24 v52, 0x44, v3, v0
	v_xor_b32_e32 v3, s5, v5
	v_xor_b32_e32 v5, s6, v50
	s_delay_alu instid0(VALU_DEP_4) | instskip(SKIP_2) | instid1(VALU_DEP_1)
	v_bitop3_b32 v4, v4, v49, v48 bitop3:0x80
	ds_load_b32 v48, v52 offset:64
	; wave barrier
	v_bitop3_b32 v3, v4, v5, v3 bitop3:0x80
	v_mbcnt_lo_u32_b32 v50, v3, 0
	v_cmp_ne_u32_e64 s0, 0, v3
	s_delay_alu instid0(VALU_DEP_2) | instskip(SKIP_1) | instid1(SALU_CYCLE_1)
	v_cmp_eq_u32_e32 vcc_lo, 0, v50
	s_and_b32 s1, s0, vcc_lo
	s_and_saveexec_b32 s0, s1
	s_cbranch_execz .LBB731_117
; %bb.116:
	s_wait_dscnt 0x0
	v_bcnt_u32_b32 v3, v3, v48
	ds_store_b32 v52, v3 offset:64
.LBB731_117:
	s_or_b32 exec_lo, exec_lo, s0
	v_xor_b32_e32 v49, 0xffff8000, v2
	; wave barrier
	s_delay_alu instid0(VALU_DEP_1) | instskip(NEXT) | instid1(VALU_DEP_1)
	v_and_b32_e32 v2, 0xffff, v49
	v_lshrrev_b32_e32 v2, s20, v2
	s_delay_alu instid0(VALU_DEP_1) | instskip(SKIP_1) | instid1(VALU_DEP_2)
	v_bitop3_b32 v3, v2, 1, s8 bitop3:0x80
	v_and_b32_e32 v2, s8, v2
	v_add_co_u32 v3, s0, v3, -1
	s_delay_alu instid0(VALU_DEP_1) | instskip(NEXT) | instid1(VALU_DEP_3)
	v_cndmask_b32_e64 v4, 0, 1, s0
	v_dual_lshlrev_b32 v5, 30, v2 :: v_dual_lshlrev_b32 v6, 29, v2
	s_delay_alu instid0(VALU_DEP_2) | instskip(NEXT) | instid1(VALU_DEP_2)
	v_cmp_ne_u32_e32 vcc_lo, 0, v4
	v_cmp_gt_i32_e64 s0, 0, v5
	v_not_b32_e32 v4, v5
	s_delay_alu instid0(VALU_DEP_4) | instskip(SKIP_1) | instid1(VALU_DEP_3)
	v_not_b32_e32 v5, v6
	v_cmp_gt_i32_e64 s1, 0, v6
	v_dual_ashrrev_i32 v4, 31, v4 :: v_dual_bitop2_b32 v3, vcc_lo, v3 bitop3:0x14
	s_delay_alu instid0(VALU_DEP_3) | instskip(SKIP_2) | instid1(VALU_DEP_3)
	v_dual_ashrrev_i32 v5, 31, v5 :: v_dual_lshlrev_b32 v7, 28, v2
	v_dual_lshlrev_b32 v51, 27, v2 :: v_dual_lshlrev_b32 v53, 26, v2
	v_dual_lshlrev_b32 v54, 25, v2 :: v_dual_lshlrev_b32 v55, 24, v2
	v_not_b32_e32 v6, v7
	v_cmp_gt_i32_e64 s2, 0, v7
	s_delay_alu instid0(VALU_DEP_4)
	v_cmp_gt_i32_e64 s3, 0, v51
	v_not_b32_e32 v7, v51
	v_not_b32_e32 v51, v53
	v_dual_ashrrev_i32 v6, 31, v6 :: v_dual_bitop2_b32 v4, s0, v4 bitop3:0x14
	v_cmp_gt_i32_e64 s4, 0, v53
	v_cmp_gt_i32_e64 s5, 0, v54
	v_not_b32_e32 v53, v54
	v_not_b32_e32 v54, v55
	v_dual_ashrrev_i32 v7, 31, v7 :: v_dual_bitop2_b32 v5, s1, v5 bitop3:0x14
	v_dual_ashrrev_i32 v51, 31, v51 :: v_dual_bitop2_b32 v6, s2, v6 bitop3:0x14
	v_bitop3_b32 v3, v3, v4, exec_lo bitop3:0x80
	v_cmp_gt_i32_e64 s6, 0, v55
	v_dual_ashrrev_i32 v4, 31, v53 :: v_dual_ashrrev_i32 v53, 31, v54
	v_xor_b32_e32 v7, s3, v7
	v_xor_b32_e32 v51, s4, v51
	v_bitop3_b32 v3, v3, v6, v5 bitop3:0x80
	v_mad_u32_u24 v57, 0x44, v2, v0
	v_xor_b32_e32 v2, s5, v4
	v_xor_b32_e32 v4, s6, v53
	s_delay_alu instid0(VALU_DEP_4) | instskip(SKIP_2) | instid1(VALU_DEP_1)
	v_bitop3_b32 v3, v3, v51, v7 bitop3:0x80
	ds_load_b32 v51, v57 offset:64
	; wave barrier
	v_bitop3_b32 v2, v3, v4, v2 bitop3:0x80
	v_mbcnt_lo_u32_b32 v54, v2, 0
	v_cmp_ne_u32_e64 s0, 0, v2
	s_delay_alu instid0(VALU_DEP_2) | instskip(SKIP_1) | instid1(SALU_CYCLE_1)
	v_cmp_eq_u32_e32 vcc_lo, 0, v54
	s_and_b32 s1, s0, vcc_lo
	s_and_saveexec_b32 s0, s1
	s_cbranch_execz .LBB731_119
; %bb.118:
	s_wait_dscnt 0x0
	v_bcnt_u32_b32 v2, v2, v51
	ds_store_b32 v57, v2 offset:64
.LBB731_119:
	s_or_b32 exec_lo, exec_lo, s0
	v_xor_b32_e32 v53, 0xffff8000, v1
	; wave barrier
	s_delay_alu instid0(VALU_DEP_1) | instskip(NEXT) | instid1(VALU_DEP_1)
	v_and_b32_e32 v1, 0xffff, v53
	v_lshrrev_b32_e32 v1, s20, v1
	s_delay_alu instid0(VALU_DEP_1) | instskip(SKIP_1) | instid1(VALU_DEP_2)
	v_bitop3_b32 v2, v1, 1, s8 bitop3:0x80
	v_and_b32_e32 v1, s8, v1
	v_add_co_u32 v2, s0, v2, -1
	s_delay_alu instid0(VALU_DEP_1) | instskip(NEXT) | instid1(VALU_DEP_3)
	v_cndmask_b32_e64 v3, 0, 1, s0
	v_dual_lshlrev_b32 v4, 30, v1 :: v_dual_lshlrev_b32 v5, 29, v1
	s_delay_alu instid0(VALU_DEP_2) | instskip(NEXT) | instid1(VALU_DEP_2)
	v_cmp_ne_u32_e32 vcc_lo, 0, v3
	v_cmp_gt_i32_e64 s0, 0, v4
	v_not_b32_e32 v3, v4
	s_delay_alu instid0(VALU_DEP_4) | instskip(SKIP_1) | instid1(VALU_DEP_3)
	v_not_b32_e32 v4, v5
	v_cmp_gt_i32_e64 s1, 0, v5
	v_dual_ashrrev_i32 v3, 31, v3 :: v_dual_bitop2_b32 v2, vcc_lo, v2 bitop3:0x14
	s_delay_alu instid0(VALU_DEP_3) | instskip(SKIP_2) | instid1(VALU_DEP_3)
	v_dual_ashrrev_i32 v4, 31, v4 :: v_dual_lshlrev_b32 v6, 28, v1
	v_dual_lshlrev_b32 v7, 27, v1 :: v_dual_lshlrev_b32 v55, 26, v1
	v_dual_lshlrev_b32 v56, 25, v1 :: v_dual_lshlrev_b32 v58, 24, v1
	v_not_b32_e32 v5, v6
	v_cmp_gt_i32_e64 s2, 0, v6
	s_delay_alu instid0(VALU_DEP_4)
	v_cmp_gt_i32_e64 s3, 0, v7
	v_not_b32_e32 v6, v7
	v_not_b32_e32 v7, v55
	v_dual_ashrrev_i32 v5, 31, v5 :: v_dual_bitop2_b32 v3, s0, v3 bitop3:0x14
	v_cmp_gt_i32_e64 s4, 0, v55
	v_cmp_gt_i32_e64 s5, 0, v56
	v_not_b32_e32 v55, v56
	v_not_b32_e32 v56, v58
	v_dual_ashrrev_i32 v6, 31, v6 :: v_dual_ashrrev_i32 v7, 31, v7
	v_xor_b32_e32 v4, s1, v4
	v_xor_b32_e32 v5, s2, v5
	v_bitop3_b32 v2, v2, v3, exec_lo bitop3:0x80
	v_cmp_gt_i32_e64 s6, 0, v58
	v_dual_ashrrev_i32 v3, 31, v55 :: v_dual_ashrrev_i32 v55, 31, v56
	v_xor_b32_e32 v6, s3, v6
	v_xor_b32_e32 v7, s4, v7
	v_bitop3_b32 v2, v2, v5, v4 bitop3:0x80
	v_mad_u32_u24 v58, 0x44, v1, v0
	v_xor_b32_e32 v0, s5, v3
	v_xor_b32_e32 v1, s6, v55
	s_delay_alu instid0(VALU_DEP_4) | instskip(SKIP_2) | instid1(VALU_DEP_1)
	v_bitop3_b32 v2, v2, v7, v6 bitop3:0x80
	ds_load_b32 v55, v58 offset:64
	; wave barrier
	v_bitop3_b32 v0, v2, v1, v0 bitop3:0x80
	v_mbcnt_lo_u32_b32 v56, v0, 0
	v_cmp_ne_u32_e64 s0, 0, v0
	s_delay_alu instid0(VALU_DEP_2) | instskip(SKIP_1) | instid1(SALU_CYCLE_1)
	v_cmp_eq_u32_e32 vcc_lo, 0, v56
	s_and_b32 s1, s0, vcc_lo
	s_and_saveexec_b32 s0, s1
	s_cbranch_execz .LBB731_121
; %bb.120:
	s_wait_dscnt 0x0
	v_bcnt_u32_b32 v0, v0, v55
	ds_store_b32 v58, v0 offset:64
.LBB731_121:
	s_or_b32 exec_lo, exec_lo, s0
	; wave barrier
	s_wait_dscnt 0x0
	s_barrier_signal -1
	s_barrier_wait -1
	ds_load_2addr_b32 v[6:7], v11 offset0:16 offset1:17
	ds_load_2addr_b32 v[4:5], v11 offset0:18 offset1:19
	ds_load_2addr_b32 v[2:3], v11 offset0:20 offset1:21
	ds_load_2addr_b32 v[0:1], v11 offset0:22 offset1:23
	ds_load_b32 v59, v11 offset:96
	v_min_u32_e32 v15, 0x1e0, v15
	s_mov_b32 s4, exec_lo
	s_wait_dscnt 0x3
	v_add3_u32 v60, v7, v6, v4
	s_wait_dscnt 0x2
	s_delay_alu instid0(VALU_DEP_1) | instskip(SKIP_1) | instid1(VALU_DEP_1)
	v_add3_u32 v60, v60, v5, v2
	s_wait_dscnt 0x1
	v_add3_u32 v60, v60, v3, v0
	s_wait_dscnt 0x0
	s_delay_alu instid0(VALU_DEP_1) | instskip(SKIP_1) | instid1(VALU_DEP_2)
	v_add3_u32 v59, v60, v1, v59
	v_and_b32_e32 v60, 15, v14
	v_mov_b32_dpp v61, v59 row_shr:1 row_mask:0xf bank_mask:0xf
	s_delay_alu instid0(VALU_DEP_2) | instskip(NEXT) | instid1(VALU_DEP_2)
	v_cmp_eq_u32_e32 vcc_lo, 0, v60
	v_cndmask_b32_e64 v61, v61, 0, vcc_lo
	s_delay_alu instid0(VALU_DEP_1) | instskip(SKIP_3) | instid1(VALU_DEP_4)
	v_add_nc_u32_e32 v59, v61, v59
	v_cmp_lt_u32_e64 s0, 1, v60
	v_cmp_lt_u32_e64 s1, 3, v60
	;; [unrolled: 1-line block ×3, first 2 shown]
	v_mov_b32_dpp v61, v59 row_shr:2 row_mask:0xf bank_mask:0xf
	s_delay_alu instid0(VALU_DEP_1) | instskip(NEXT) | instid1(VALU_DEP_1)
	v_cndmask_b32_e64 v61, 0, v61, s0
	v_add_nc_u32_e32 v59, v59, v61
	s_delay_alu instid0(VALU_DEP_1) | instskip(NEXT) | instid1(VALU_DEP_1)
	v_mov_b32_dpp v61, v59 row_shr:4 row_mask:0xf bank_mask:0xf
	v_cndmask_b32_e64 v61, 0, v61, s1
	s_delay_alu instid0(VALU_DEP_1) | instskip(NEXT) | instid1(VALU_DEP_1)
	v_add_nc_u32_e32 v59, v59, v61
	v_mov_b32_dpp v61, v59 row_shr:8 row_mask:0xf bank_mask:0xf
	s_delay_alu instid0(VALU_DEP_1) | instskip(SKIP_1) | instid1(VALU_DEP_2)
	v_cndmask_b32_e64 v60, 0, v61, s2
	v_bfe_i32 v61, v14, 4, 1
	v_add_nc_u32_e32 v60, v59, v60
	ds_swizzle_b32 v59, v60 offset:swizzle(BROADCAST,32,15)
	s_wait_dscnt 0x0
	v_dual_lshrrev_b32 v59, 5, v12 :: v_dual_bitop2_b32 v61, v61, v59 bitop3:0x40
	s_delay_alu instid0(VALU_DEP_1) | instskip(NEXT) | instid1(VALU_DEP_1)
	v_dual_add_nc_u32 v15, v60, v61 :: v_dual_bitop2_b32 v62, 31, v15 bitop3:0x54
	v_cmpx_eq_u32_e64 v12, v62
; %bb.122:
	s_delay_alu instid0(VALU_DEP_3)
	v_lshlrev_b32_e32 v60, 2, v59
	ds_store_b32 v60, v15
; %bb.123:
	s_or_b32 exec_lo, exec_lo, s4
	s_delay_alu instid0(SALU_CYCLE_1)
	s_mov_b32 s4, exec_lo
	s_wait_dscnt 0x0
	s_barrier_signal -1
	s_barrier_wait -1
	v_cmpx_gt_u32_e32 16, v12
	s_cbranch_execz .LBB731_125
; %bb.124:
	v_lshlrev_b32_e32 v60, 2, v12
	ds_load_b32 v61, v60
	s_wait_dscnt 0x0
	v_mov_b32_dpp v62, v61 row_shr:1 row_mask:0xf bank_mask:0xf
	s_delay_alu instid0(VALU_DEP_1) | instskip(NEXT) | instid1(VALU_DEP_1)
	v_cndmask_b32_e64 v62, v62, 0, vcc_lo
	v_add_nc_u32_e32 v61, v62, v61
	s_delay_alu instid0(VALU_DEP_1) | instskip(NEXT) | instid1(VALU_DEP_1)
	v_mov_b32_dpp v62, v61 row_shr:2 row_mask:0xf bank_mask:0xf
	v_cndmask_b32_e64 v62, 0, v62, s0
	s_delay_alu instid0(VALU_DEP_1) | instskip(NEXT) | instid1(VALU_DEP_1)
	v_add_nc_u32_e32 v61, v61, v62
	v_mov_b32_dpp v62, v61 row_shr:4 row_mask:0xf bank_mask:0xf
	s_delay_alu instid0(VALU_DEP_1) | instskip(NEXT) | instid1(VALU_DEP_1)
	v_cndmask_b32_e64 v62, 0, v62, s1
	v_add_nc_u32_e32 v61, v61, v62
	s_delay_alu instid0(VALU_DEP_1) | instskip(NEXT) | instid1(VALU_DEP_1)
	v_mov_b32_dpp v62, v61 row_shr:8 row_mask:0xf bank_mask:0xf
	v_cndmask_b32_e64 v62, 0, v62, s2
	s_delay_alu instid0(VALU_DEP_1)
	v_add_nc_u32_e32 v61, v61, v62
	ds_store_b32 v60, v61
.LBB731_125:
	s_or_b32 exec_lo, exec_lo, s4
	v_mov_b32_e32 v60, 0
	s_mov_b32 s0, exec_lo
	s_wait_dscnt 0x0
	s_barrier_signal -1
	s_barrier_wait -1
	v_cmpx_lt_u32_e32 31, v12
; %bb.126:
	v_lshl_add_u32 v59, v59, 2, -4
	ds_load_b32 v60, v59
; %bb.127:
	s_or_b32 exec_lo, exec_lo, s0
	v_sub_co_u32 v59, vcc_lo, v14, 1
	s_wait_dscnt 0x0
	v_add_nc_u32_e32 v15, v60, v15
	s_delay_alu instid0(VALU_DEP_2) | instskip(NEXT) | instid1(VALU_DEP_1)
	v_cmp_gt_i32_e64 s0, 0, v59
	v_cndmask_b32_e64 v14, v59, v14, s0
	v_cmp_gt_u32_e64 s0, 0x100, v12
	s_delay_alu instid0(VALU_DEP_2) | instskip(SKIP_4) | instid1(VALU_DEP_2)
	v_lshlrev_b32_e32 v14, 2, v14
	ds_bpermute_b32 v14, v14, v15
	s_wait_dscnt 0x0
	v_cndmask_b32_e32 v14, v14, v60, vcc_lo
	v_cmp_ne_u32_e32 vcc_lo, 0, v12
	v_cndmask_b32_e32 v14, 0, v14, vcc_lo
	v_cmp_lt_u32_e32 vcc_lo, 0xff, v12
	s_delay_alu instid0(VALU_DEP_2) | instskip(NEXT) | instid1(VALU_DEP_1)
	v_add_nc_u32_e32 v6, v14, v6
	v_add_nc_u32_e32 v7, v6, v7
	s_delay_alu instid0(VALU_DEP_1) | instskip(NEXT) | instid1(VALU_DEP_1)
	v_add_nc_u32_e32 v4, v7, v4
	v_add_nc_u32_e32 v5, v4, v5
	s_delay_alu instid0(VALU_DEP_1) | instskip(NEXT) | instid1(VALU_DEP_1)
	;; [unrolled: 3-line block ×3, first 2 shown]
	v_add_nc_u32_e32 v0, v3, v0
	v_add_nc_u32_e32 v1, v0, v1
	ds_store_2addr_b32 v11, v14, v6 offset0:16 offset1:17
	ds_store_2addr_b32 v11, v7, v4 offset0:18 offset1:19
	;; [unrolled: 1-line block ×4, first 2 shown]
	ds_store_b32 v11, v1 offset:96
	s_wait_dscnt 0x0
	s_barrier_signal -1
	s_barrier_wait -1
	ds_load_b32 v59, v13 offset:64
	ds_load_b32 v60, v19 offset:64
	;; [unrolled: 1-line block ×12, first 2 shown]
	v_mov_b64_e32 v[0:1], 0
                                        ; implicit-def: $vgpr2
	s_and_saveexec_b32 s2, s0
	s_cbranch_execz .LBB731_131
; %bb.128:
	v_mul_u32_u24_e32 v0, 0x44, v12
	v_dual_mov_b32 v1, 0x1800 :: v_dual_add_nc_u32 v2, 1, v12
	s_mov_b32 s3, exec_lo
	ds_load_b32 v0, v0 offset:64
	v_cmpx_ne_u32_e32 0x100, v2
; %bb.129:
	v_mul_u32_u24_e32 v1, 0x44, v2
	ds_load_b32 v1, v1 offset:64
; %bb.130:
	s_or_b32 exec_lo, exec_lo, s3
	s_wait_dscnt 0x0
	v_dual_mov_b32 v1, 0 :: v_dual_sub_nc_u32 v2, v1, v0
.LBB731_131:
	s_or_b32 exec_lo, exec_lo, s2
	s_wait_dscnt 0xa
	v_dual_lshlrev_b32 v9, 1, v9 :: v_dual_lshlrev_b32 v23, 1, v60
	v_dual_lshlrev_b32 v18, 1, v18 :: v_dual_lshlrev_b32 v17, 1, v17
	v_lshlrev_b32_e32 v21, 1, v21
	s_delay_alu instid0(VALU_DEP_3)
	v_lshl_add_u32 v9, v59, 1, v9
	s_wait_dscnt 0x0
	s_barrier_signal -1
	v_add3_u32 v17, v23, v18, v17
	v_dual_lshlrev_b32 v18, 1, v19 :: v_dual_lshlrev_b32 v19, 1, v22
	s_barrier_wait -1
	ds_store_b16 v9, v8 offset:2048
	ds_store_b16 v17, v10 offset:2048
	v_lshlrev_b32_e32 v9, 1, v15
	v_add3_u32 v8, v18, v19, v21
	v_dual_lshlrev_b32 v10, 1, v26 :: v_dual_lshlrev_b32 v15, 1, v25
	v_dual_lshlrev_b32 v14, 1, v14 :: v_dual_lshlrev_b32 v18, 1, v28
	;; [unrolled: 1-line block ×6, first 2 shown]
	ds_store_b16 v8, v16 offset:2048
	v_add3_u32 v8, v9, v10, v15
	v_add3_u32 v9, v14, v17, v18
	;; [unrolled: 1-line block ×3, first 2 shown]
	v_dual_lshlrev_b32 v13, 1, v42 :: v_dual_lshlrev_b32 v14, 1, v41
	v_add3_u32 v11, v11, v22, v23
	ds_store_b16 v8, v20 offset:2048
	ds_store_b16 v9, v24 offset:2048
	;; [unrolled: 1-line block ×4, first 2 shown]
	v_dual_lshlrev_b32 v6, 1, v6 :: v_dual_lshlrev_b32 v9, 1, v45
	v_add3_u32 v7, v7, v13, v14
	v_dual_lshlrev_b32 v8, 1, v46 :: v_dual_lshlrev_b32 v5, 1, v5
	v_dual_lshlrev_b32 v10, 1, v50 :: v_dual_lshlrev_b32 v11, 1, v48
	v_dual_lshlrev_b32 v14, 1, v51 :: v_dual_lshlrev_b32 v15, 1, v56
	v_lshlrev_b32_e32 v3, 1, v3
	v_dual_lshlrev_b32 v16, 1, v55 :: v_dual_lshlrev_b32 v4, 1, v4
	v_lshlrev_b32_e32 v13, 1, v54
	ds_store_b16 v7, v36 offset:2048
	v_add3_u32 v6, v6, v8, v9
	v_add3_u32 v7, v5, v10, v11
	v_mov_b32_e32 v5, 0
	v_add3_u32 v8, v3, v15, v16
	v_lshlrev_b32_e32 v3, 3, v12
	v_add3_u32 v4, v4, v13, v14
	ds_store_b16 v6, v40 offset:2048
	ds_store_b16 v7, v44 offset:2048
	;; [unrolled: 1-line block ×4, first 2 shown]
	s_and_saveexec_b32 s1, s0
	s_cbranch_execz .LBB731_141
; %bb.132:
	v_lshl_add_u32 v4, s9, 8, v12
	v_dual_mov_b32 v8, 0 :: v_dual_bitop2_b32 v9, 2.0, v2 bitop3:0x54
	s_mov_b32 s2, 0
	s_mov_b32 s3, s9
	s_delay_alu instid0(VALU_DEP_2)
	v_lshl_add_u64 v[6:7], v[4:5], 2, s[10:11]
	global_store_b32 v4, v9, s[10:11] scale_offset scope:SCOPE_DEV
                                        ; implicit-def: $sgpr0
	s_branch .LBB731_135
.LBB731_133:                            ;   in Loop: Header=BB731_135 Depth=1
	s_or_b32 exec_lo, exec_lo, s5
.LBB731_134:                            ;   in Loop: Header=BB731_135 Depth=1
	s_delay_alu instid0(SALU_CYCLE_1) | instskip(SKIP_2) | instid1(VALU_DEP_2)
	s_or_b32 exec_lo, exec_lo, s4
	v_and_b32_e32 v4, 0x3fffffff, v9
	v_cmp_gt_i32_e64 s0, -2.0, v9
	v_add_nc_u32_e32 v8, v4, v8
	s_and_b32 s4, exec_lo, s0
	s_delay_alu instid0(SALU_CYCLE_1) | instskip(NEXT) | instid1(SALU_CYCLE_1)
	s_or_b32 s2, s4, s2
	s_and_not1_b32 exec_lo, exec_lo, s2
	s_cbranch_execz .LBB731_140
.LBB731_135:                            ; =>This Loop Header: Depth=1
                                        ;     Child Loop BB731_138 Depth 2
	s_or_b32 s0, s0, exec_lo
	s_cmp_eq_u32 s3, 0
	s_cbranch_scc1 .LBB731_139
; %bb.136:                              ;   in Loop: Header=BB731_135 Depth=1
	s_add_co_i32 s3, s3, -1
	s_mov_b32 s4, exec_lo
	s_wait_xcnt 0x0
	v_lshl_or_b32 v4, s3, 8, v12
	global_load_b32 v9, v4, s[10:11] scale_offset scope:SCOPE_DEV
	s_wait_loadcnt 0x0
	v_cmpx_gt_u32_e32 2.0, v9
	s_cbranch_execz .LBB731_134
; %bb.137:                              ;   in Loop: Header=BB731_135 Depth=1
	v_lshl_add_u64 v[10:11], v[4:5], 2, s[10:11]
	s_mov_b32 s5, 0
.LBB731_138:                            ;   Parent Loop BB731_135 Depth=1
                                        ; =>  This Inner Loop Header: Depth=2
	global_load_b32 v9, v[10:11], off scope:SCOPE_DEV
	s_wait_loadcnt 0x0
	v_cmp_lt_u32_e64 s0, 0x3fffffff, v9
	s_or_b32 s5, s0, s5
	s_wait_xcnt 0x0
	s_and_not1_b32 exec_lo, exec_lo, s5
	s_cbranch_execnz .LBB731_138
	s_branch .LBB731_133
.LBB731_139:                            ;   in Loop: Header=BB731_135 Depth=1
                                        ; implicit-def: $sgpr3
	s_and_b32 s4, exec_lo, s0
	s_delay_alu instid0(SALU_CYCLE_1)
	s_or_b32 s2, s4, s2
	s_wait_xcnt 0x0
	s_and_not1_b32 exec_lo, exec_lo, s2
	s_cbranch_execnz .LBB731_135
.LBB731_140:
	s_or_b32 exec_lo, exec_lo, s2
	v_dual_mov_b32 v9, 0 :: v_dual_add_nc_u32 v4, v8, v2
	s_delay_alu instid0(VALU_DEP_1) | instskip(SKIP_4) | instid1(VALU_DEP_1)
	v_or_b32_e32 v4, 0x80000000, v4
	global_store_b32 v[6:7], v4, off scope:SCOPE_DEV
	global_load_b64 v[4:5], v12, s[12:13] scale_offset
	v_sub_nc_u64_e32 v[6:7], v[8:9], v[0:1]
	s_wait_loadcnt 0x0
	v_add_nc_u64_e32 v[4:5], v[6:7], v[4:5]
	ds_store_b64 v3, v[4:5]
.LBB731_141:
	s_wait_xcnt 0x0
	s_or_b32 exec_lo, exec_lo, s1
	v_mad_i32_i24 v13, v12, -6, v3
	s_wait_storecnt_dscnt 0x0
	s_barrier_signal -1
	s_barrier_wait -1
	ds_load_u16 v6, v13 offset:2048
	ds_load_u16 v7, v13 offset:3072
	;; [unrolled: 1-line block ×8, first 2 shown]
	v_dual_mov_b32 v5, 0 :: v_dual_lshlrev_b32 v4, 1, v12
	s_add_co_i32 s7, s7, -1
	s_delay_alu instid0(SALU_CYCLE_1) | instskip(SKIP_2) | instid1(SALU_CYCLE_1)
	s_cmp_eq_u32 s9, s7
	s_cselect_b32 s0, -1, 0
	s_xor_b32 s1, vcc_lo, -1
	s_and_b32 s0, s1, s0
	s_wait_dscnt 0x7
	v_and_b32_e32 v10, 0xffff, v6
	v_xor_b32_e32 v20, 0xffff8000, v6
	s_wait_dscnt 0x6
	v_and_b32_e32 v6, 0xffff, v7
	v_xor_b32_e32 v21, 0xffff8000, v7
	;; [unrolled: 3-line block ×4, first 2 shown]
	s_wait_dscnt 0x3
	v_and_b32_e32 v9, 0xffff, v22
	v_dual_lshrrev_b32 v10, s20, v10 :: v_dual_lshrrev_b32 v7, s20, v7
	v_dual_lshrrev_b32 v6, s20, v6 :: v_dual_lshrrev_b32 v8, s20, v8
	s_wait_dscnt 0x2
	v_and_b32_e32 v11, 0xffff, v24
	s_delay_alu instid0(VALU_DEP_3) | instskip(NEXT) | instid1(VALU_DEP_3)
	v_dual_lshrrev_b32 v16, s20, v9 :: v_dual_bitop2_b32 v9, s8, v10 bitop3:0x40
	v_and_b32_e32 v6, s8, v6
	v_and_b32_e32 v7, s8, v7
	s_wait_dscnt 0x1
	v_and_b32_e32 v14, 0xffff, v26
	s_wait_dscnt 0x0
	v_and_b32_e32 v15, 0xffff, v27
	v_dual_lshrrev_b32 v17, s20, v11 :: v_dual_bitop2_b32 v18, s8, v8 bitop3:0x40
	v_dual_lshlrev_b32 v8, 3, v9 :: v_dual_lshlrev_b32 v9, 3, v6
	v_dual_lshlrev_b32 v10, 3, v7 :: v_dual_lshrrev_b32 v14, s20, v14
	ds_load_u16 v29, v13 offset:10240
	ds_load_u16 v30, v13 offset:11264
	ds_load_u16 v31, v13 offset:12288
	ds_load_b64 v[6:7], v8
	ds_load_b64 v[8:9], v9
	;; [unrolled: 1-line block ×3, first 2 shown]
	v_dual_lshrrev_b32 v15, s20, v15 :: v_dual_bitop2_b32 v16, s8, v16 bitop3:0x40
	v_dual_lshlrev_b32 v18, 3, v18 :: v_dual_bitop2_b32 v17, s8, v17 bitop3:0x40
	v_and_b32_e32 v19, s8, v14
	s_delay_alu instid0(VALU_DEP_3)
	v_dual_lshlrev_b32 v16, 3, v16 :: v_dual_bitop2_b32 v25, s8, v15 bitop3:0x40
	ds_load_b64 v[14:15], v18
	v_dual_lshlrev_b32 v18, 3, v17 :: v_dual_lshlrev_b32 v32, 3, v19
	v_lshlrev_b32_e32 v25, 3, v25
	ds_load_u16 v13, v13 offset:13312
	ds_load_b64 v[16:17], v16
	ds_load_b64 v[18:19], v18
	s_wait_dscnt 0x9
	v_and_b32_e32 v33, 0xffff, v29
	s_wait_dscnt 0x8
	v_and_b32_e32 v34, 0xffff, v30
	;; [unrolled: 2-line block ×3, first 2 shown]
	s_wait_dscnt 0x6
	v_lshl_add_u64 v[6:7], v[6:7], 1, s[18:19]
	s_wait_dscnt 0x5
	v_lshl_add_u64 v[8:9], v[8:9], 1, s[18:19]
	;; [unrolled: 2-line block ×3, first 2 shown]
	v_dual_lshrrev_b32 v33, s20, v33 :: v_dual_lshrrev_b32 v34, s20, v34
	v_add_nc_u64_e32 v[6:7], v[6:7], v[4:5]
	v_add_nc_u64_e32 v[8:9], v[8:9], v[4:5]
	s_delay_alu instid0(VALU_DEP_4) | instskip(NEXT) | instid1(VALU_DEP_4)
	v_add_nc_u64_e32 v[10:11], v[10:11], v[4:5]
	v_and_b32_e32 v33, s8, v33
	s_clause 0x2
	global_store_b16 v[6:7], v20, off
	global_store_b16 v[8:9], v21, off offset:1024
	global_store_b16 v[10:11], v23, off offset:2048
	s_wait_dscnt 0x2
	s_wait_xcnt 0x0
	v_and_b32_e32 v10, 0xffff, v13
	v_dual_lshrrev_b32 v21, s20, v35 :: v_dual_bitop2_b32 v34, s8, v34 bitop3:0x40
	v_lshlrev_b32_e32 v20, 3, v33
	ds_load_b64 v[6:7], v32
	ds_load_b64 v[8:9], v25
	v_lshrrev_b32_e32 v25, s20, v10
	s_wait_dscnt 0x3
	v_lshl_add_u64 v[10:11], v[16:17], 1, s[18:19]
	v_dual_lshlrev_b32 v23, 3, v34 :: v_dual_bitop2_b32 v32, s8, v21 bitop3:0x40
	ds_load_b64 v[16:17], v20
	v_xor_b32_e32 v33, 0xffff8000, v22
	v_xor_b32_e32 v34, 0xffff8000, v24
	ds_load_b64 v[20:21], v23
	v_dual_lshlrev_b32 v25, 3, v32 :: v_dual_bitop2_b32 v23, s8, v25 bitop3:0x40
	v_lshl_add_u64 v[14:15], v[14:15], 1, s[18:19]
	s_wait_dscnt 0x4
	v_lshl_add_u64 v[18:19], v[18:19], 1, s[18:19]
	v_add_nc_u64_e32 v[10:11], v[10:11], v[4:5]
	v_lshlrev_b32_e32 v32, 3, v23
	ds_load_b64 v[22:23], v25
	v_add_nc_u64_e32 v[14:15], v[14:15], v[4:5]
	v_add_nc_u64_e32 v[18:19], v[18:19], v[4:5]
	ds_load_b64 v[24:25], v32
	s_wait_dscnt 0x5
	v_lshl_add_u64 v[6:7], v[6:7], 1, s[18:19]
	s_wait_dscnt 0x4
	v_lshl_add_u64 v[8:9], v[8:9], 1, s[18:19]
	s_clause 0x2
	global_store_b16 v[14:15], v28, off offset:3072
	global_store_b16 v[10:11], v33, off offset:4096
	;; [unrolled: 1-line block ×3, first 2 shown]
	v_add_nc_u64_e32 v[6:7], v[6:7], v[4:5]
	v_add_nc_u64_e32 v[8:9], v[8:9], v[4:5]
	s_wait_xcnt 0x0
	v_xor_b32_e32 v18, 0xffff8000, v26
	s_wait_dscnt 0x3
	v_lshl_add_u64 v[10:11], v[16:17], 1, s[18:19]
	v_xor_b32_e32 v16, 0xffff8000, v27
	s_wait_dscnt 0x2
	v_lshl_add_u64 v[14:15], v[20:21], 1, s[18:19]
	v_xor_b32_e32 v17, 0xffff8000, v29
	global_store_b16 v[6:7], v18, off offset:6144
	v_add_nc_u64_e32 v[10:11], v[10:11], v[4:5]
	global_store_b16 v[8:9], v16, off offset:7168
	s_wait_dscnt 0x1
	s_wait_xcnt 0x1
	v_lshl_add_u64 v[6:7], v[22:23], 1, s[18:19]
	v_add_nc_u64_e32 v[14:15], v[14:15], v[4:5]
	v_xor_b32_e32 v18, 0xffff8000, v30
	s_wait_dscnt 0x0
	s_wait_xcnt 0x0
	v_lshl_add_u64 v[8:9], v[24:25], 1, s[18:19]
	v_add_nc_u64_e32 v[6:7], v[6:7], v[4:5]
	global_store_b16 v[10:11], v17, off offset:8192
	s_wait_xcnt 0x0
	v_xor_b32_e32 v10, 0xffff8000, v31
	global_store_b16 v[14:15], v18, off offset:9216
	v_add_nc_u64_e32 v[8:9], v[8:9], v[4:5]
	v_xor_b32_e32 v4, 0xffff8000, v13
	s_clause 0x1
	global_store_b16 v[6:7], v10, off offset:10240
	global_store_b16 v[8:9], v4, off offset:11264
	s_wait_xcnt 0x0
	s_and_saveexec_b32 s1, s0
	s_cbranch_execz .LBB731_143
; %bb.142:
	ds_load_b64 v[6:7], v3
	v_mov_b32_e32 v3, v5
	s_delay_alu instid0(VALU_DEP_1) | instskip(SKIP_1) | instid1(VALU_DEP_1)
	v_add_nc_u64_e32 v[0:1], v[0:1], v[2:3]
	s_wait_dscnt 0x0
	v_add_nc_u64_e32 v[0:1], v[0:1], v[6:7]
	global_store_b64 v12, v[0:1], s[14:15] scale_offset
.LBB731_143:
	s_sendmsg sendmsg(MSG_DEALLOC_VGPRS)
	s_endpgm
	.section	.rodata,"a",@progbits
	.p2align	6, 0x0
	.amdhsa_kernel _ZN7rocprim17ROCPRIM_400000_NS6detail17trampoline_kernelINS0_14default_configENS1_35radix_sort_onesweep_config_selectorIsNS0_10empty_typeEEEZZNS1_29radix_sort_onesweep_iterationIS3_Lb0EPKsPsPS5_SB_mNS0_19identity_decomposerENS1_16block_id_wrapperIjLb0EEEEE10hipError_tT1_PNSt15iterator_traitsISG_E10value_typeET2_T3_PNSH_ISM_E10value_typeET4_T5_PSR_SS_PNS1_23onesweep_lookback_stateEbbT6_jjT7_P12ihipStream_tbENKUlT_T0_SG_SL_E_clIS9_SA_SB_SB_EEDaSZ_S10_SG_SL_EUlSZ_E_NS1_11comp_targetILNS1_3genE0ELNS1_11target_archE4294967295ELNS1_3gpuE0ELNS1_3repE0EEENS1_47radix_sort_onesweep_sort_config_static_selectorELNS0_4arch9wavefront6targetE0EEEvSG_
		.amdhsa_group_segment_fixed_size 18504
		.amdhsa_private_segment_fixed_size 0
		.amdhsa_kernarg_size 344
		.amdhsa_user_sgpr_count 2
		.amdhsa_user_sgpr_dispatch_ptr 0
		.amdhsa_user_sgpr_queue_ptr 0
		.amdhsa_user_sgpr_kernarg_segment_ptr 1
		.amdhsa_user_sgpr_dispatch_id 0
		.amdhsa_user_sgpr_kernarg_preload_length 0
		.amdhsa_user_sgpr_kernarg_preload_offset 0
		.amdhsa_user_sgpr_private_segment_size 0
		.amdhsa_wavefront_size32 1
		.amdhsa_uses_dynamic_stack 0
		.amdhsa_enable_private_segment 0
		.amdhsa_system_sgpr_workgroup_id_x 1
		.amdhsa_system_sgpr_workgroup_id_y 0
		.amdhsa_system_sgpr_workgroup_id_z 0
		.amdhsa_system_sgpr_workgroup_info 0
		.amdhsa_system_vgpr_workitem_id 2
		.amdhsa_next_free_vgpr 65
		.amdhsa_next_free_sgpr 29
		.amdhsa_named_barrier_count 0
		.amdhsa_reserve_vcc 1
		.amdhsa_float_round_mode_32 0
		.amdhsa_float_round_mode_16_64 0
		.amdhsa_float_denorm_mode_32 3
		.amdhsa_float_denorm_mode_16_64 3
		.amdhsa_fp16_overflow 0
		.amdhsa_memory_ordered 1
		.amdhsa_forward_progress 1
		.amdhsa_inst_pref_size 135
		.amdhsa_round_robin_scheduling 0
		.amdhsa_exception_fp_ieee_invalid_op 0
		.amdhsa_exception_fp_denorm_src 0
		.amdhsa_exception_fp_ieee_div_zero 0
		.amdhsa_exception_fp_ieee_overflow 0
		.amdhsa_exception_fp_ieee_underflow 0
		.amdhsa_exception_fp_ieee_inexact 0
		.amdhsa_exception_int_div_zero 0
	.end_amdhsa_kernel
	.section	.text._ZN7rocprim17ROCPRIM_400000_NS6detail17trampoline_kernelINS0_14default_configENS1_35radix_sort_onesweep_config_selectorIsNS0_10empty_typeEEEZZNS1_29radix_sort_onesweep_iterationIS3_Lb0EPKsPsPS5_SB_mNS0_19identity_decomposerENS1_16block_id_wrapperIjLb0EEEEE10hipError_tT1_PNSt15iterator_traitsISG_E10value_typeET2_T3_PNSH_ISM_E10value_typeET4_T5_PSR_SS_PNS1_23onesweep_lookback_stateEbbT6_jjT7_P12ihipStream_tbENKUlT_T0_SG_SL_E_clIS9_SA_SB_SB_EEDaSZ_S10_SG_SL_EUlSZ_E_NS1_11comp_targetILNS1_3genE0ELNS1_11target_archE4294967295ELNS1_3gpuE0ELNS1_3repE0EEENS1_47radix_sort_onesweep_sort_config_static_selectorELNS0_4arch9wavefront6targetE0EEEvSG_,"axG",@progbits,_ZN7rocprim17ROCPRIM_400000_NS6detail17trampoline_kernelINS0_14default_configENS1_35radix_sort_onesweep_config_selectorIsNS0_10empty_typeEEEZZNS1_29radix_sort_onesweep_iterationIS3_Lb0EPKsPsPS5_SB_mNS0_19identity_decomposerENS1_16block_id_wrapperIjLb0EEEEE10hipError_tT1_PNSt15iterator_traitsISG_E10value_typeET2_T3_PNSH_ISM_E10value_typeET4_T5_PSR_SS_PNS1_23onesweep_lookback_stateEbbT6_jjT7_P12ihipStream_tbENKUlT_T0_SG_SL_E_clIS9_SA_SB_SB_EEDaSZ_S10_SG_SL_EUlSZ_E_NS1_11comp_targetILNS1_3genE0ELNS1_11target_archE4294967295ELNS1_3gpuE0ELNS1_3repE0EEENS1_47radix_sort_onesweep_sort_config_static_selectorELNS0_4arch9wavefront6targetE0EEEvSG_,comdat
.Lfunc_end731:
	.size	_ZN7rocprim17ROCPRIM_400000_NS6detail17trampoline_kernelINS0_14default_configENS1_35radix_sort_onesweep_config_selectorIsNS0_10empty_typeEEEZZNS1_29radix_sort_onesweep_iterationIS3_Lb0EPKsPsPS5_SB_mNS0_19identity_decomposerENS1_16block_id_wrapperIjLb0EEEEE10hipError_tT1_PNSt15iterator_traitsISG_E10value_typeET2_T3_PNSH_ISM_E10value_typeET4_T5_PSR_SS_PNS1_23onesweep_lookback_stateEbbT6_jjT7_P12ihipStream_tbENKUlT_T0_SG_SL_E_clIS9_SA_SB_SB_EEDaSZ_S10_SG_SL_EUlSZ_E_NS1_11comp_targetILNS1_3genE0ELNS1_11target_archE4294967295ELNS1_3gpuE0ELNS1_3repE0EEENS1_47radix_sort_onesweep_sort_config_static_selectorELNS0_4arch9wavefront6targetE0EEEvSG_, .Lfunc_end731-_ZN7rocprim17ROCPRIM_400000_NS6detail17trampoline_kernelINS0_14default_configENS1_35radix_sort_onesweep_config_selectorIsNS0_10empty_typeEEEZZNS1_29radix_sort_onesweep_iterationIS3_Lb0EPKsPsPS5_SB_mNS0_19identity_decomposerENS1_16block_id_wrapperIjLb0EEEEE10hipError_tT1_PNSt15iterator_traitsISG_E10value_typeET2_T3_PNSH_ISM_E10value_typeET4_T5_PSR_SS_PNS1_23onesweep_lookback_stateEbbT6_jjT7_P12ihipStream_tbENKUlT_T0_SG_SL_E_clIS9_SA_SB_SB_EEDaSZ_S10_SG_SL_EUlSZ_E_NS1_11comp_targetILNS1_3genE0ELNS1_11target_archE4294967295ELNS1_3gpuE0ELNS1_3repE0EEENS1_47radix_sort_onesweep_sort_config_static_selectorELNS0_4arch9wavefront6targetE0EEEvSG_
                                        ; -- End function
	.set _ZN7rocprim17ROCPRIM_400000_NS6detail17trampoline_kernelINS0_14default_configENS1_35radix_sort_onesweep_config_selectorIsNS0_10empty_typeEEEZZNS1_29radix_sort_onesweep_iterationIS3_Lb0EPKsPsPS5_SB_mNS0_19identity_decomposerENS1_16block_id_wrapperIjLb0EEEEE10hipError_tT1_PNSt15iterator_traitsISG_E10value_typeET2_T3_PNSH_ISM_E10value_typeET4_T5_PSR_SS_PNS1_23onesweep_lookback_stateEbbT6_jjT7_P12ihipStream_tbENKUlT_T0_SG_SL_E_clIS9_SA_SB_SB_EEDaSZ_S10_SG_SL_EUlSZ_E_NS1_11comp_targetILNS1_3genE0ELNS1_11target_archE4294967295ELNS1_3gpuE0ELNS1_3repE0EEENS1_47radix_sort_onesweep_sort_config_static_selectorELNS0_4arch9wavefront6targetE0EEEvSG_.num_vgpr, 65
	.set _ZN7rocprim17ROCPRIM_400000_NS6detail17trampoline_kernelINS0_14default_configENS1_35radix_sort_onesweep_config_selectorIsNS0_10empty_typeEEEZZNS1_29radix_sort_onesweep_iterationIS3_Lb0EPKsPsPS5_SB_mNS0_19identity_decomposerENS1_16block_id_wrapperIjLb0EEEEE10hipError_tT1_PNSt15iterator_traitsISG_E10value_typeET2_T3_PNSH_ISM_E10value_typeET4_T5_PSR_SS_PNS1_23onesweep_lookback_stateEbbT6_jjT7_P12ihipStream_tbENKUlT_T0_SG_SL_E_clIS9_SA_SB_SB_EEDaSZ_S10_SG_SL_EUlSZ_E_NS1_11comp_targetILNS1_3genE0ELNS1_11target_archE4294967295ELNS1_3gpuE0ELNS1_3repE0EEENS1_47radix_sort_onesweep_sort_config_static_selectorELNS0_4arch9wavefront6targetE0EEEvSG_.num_agpr, 0
	.set _ZN7rocprim17ROCPRIM_400000_NS6detail17trampoline_kernelINS0_14default_configENS1_35radix_sort_onesweep_config_selectorIsNS0_10empty_typeEEEZZNS1_29radix_sort_onesweep_iterationIS3_Lb0EPKsPsPS5_SB_mNS0_19identity_decomposerENS1_16block_id_wrapperIjLb0EEEEE10hipError_tT1_PNSt15iterator_traitsISG_E10value_typeET2_T3_PNSH_ISM_E10value_typeET4_T5_PSR_SS_PNS1_23onesweep_lookback_stateEbbT6_jjT7_P12ihipStream_tbENKUlT_T0_SG_SL_E_clIS9_SA_SB_SB_EEDaSZ_S10_SG_SL_EUlSZ_E_NS1_11comp_targetILNS1_3genE0ELNS1_11target_archE4294967295ELNS1_3gpuE0ELNS1_3repE0EEENS1_47radix_sort_onesweep_sort_config_static_selectorELNS0_4arch9wavefront6targetE0EEEvSG_.numbered_sgpr, 29
	.set _ZN7rocprim17ROCPRIM_400000_NS6detail17trampoline_kernelINS0_14default_configENS1_35radix_sort_onesweep_config_selectorIsNS0_10empty_typeEEEZZNS1_29radix_sort_onesweep_iterationIS3_Lb0EPKsPsPS5_SB_mNS0_19identity_decomposerENS1_16block_id_wrapperIjLb0EEEEE10hipError_tT1_PNSt15iterator_traitsISG_E10value_typeET2_T3_PNSH_ISM_E10value_typeET4_T5_PSR_SS_PNS1_23onesweep_lookback_stateEbbT6_jjT7_P12ihipStream_tbENKUlT_T0_SG_SL_E_clIS9_SA_SB_SB_EEDaSZ_S10_SG_SL_EUlSZ_E_NS1_11comp_targetILNS1_3genE0ELNS1_11target_archE4294967295ELNS1_3gpuE0ELNS1_3repE0EEENS1_47radix_sort_onesweep_sort_config_static_selectorELNS0_4arch9wavefront6targetE0EEEvSG_.num_named_barrier, 0
	.set _ZN7rocprim17ROCPRIM_400000_NS6detail17trampoline_kernelINS0_14default_configENS1_35radix_sort_onesweep_config_selectorIsNS0_10empty_typeEEEZZNS1_29radix_sort_onesweep_iterationIS3_Lb0EPKsPsPS5_SB_mNS0_19identity_decomposerENS1_16block_id_wrapperIjLb0EEEEE10hipError_tT1_PNSt15iterator_traitsISG_E10value_typeET2_T3_PNSH_ISM_E10value_typeET4_T5_PSR_SS_PNS1_23onesweep_lookback_stateEbbT6_jjT7_P12ihipStream_tbENKUlT_T0_SG_SL_E_clIS9_SA_SB_SB_EEDaSZ_S10_SG_SL_EUlSZ_E_NS1_11comp_targetILNS1_3genE0ELNS1_11target_archE4294967295ELNS1_3gpuE0ELNS1_3repE0EEENS1_47radix_sort_onesweep_sort_config_static_selectorELNS0_4arch9wavefront6targetE0EEEvSG_.private_seg_size, 0
	.set _ZN7rocprim17ROCPRIM_400000_NS6detail17trampoline_kernelINS0_14default_configENS1_35radix_sort_onesweep_config_selectorIsNS0_10empty_typeEEEZZNS1_29radix_sort_onesweep_iterationIS3_Lb0EPKsPsPS5_SB_mNS0_19identity_decomposerENS1_16block_id_wrapperIjLb0EEEEE10hipError_tT1_PNSt15iterator_traitsISG_E10value_typeET2_T3_PNSH_ISM_E10value_typeET4_T5_PSR_SS_PNS1_23onesweep_lookback_stateEbbT6_jjT7_P12ihipStream_tbENKUlT_T0_SG_SL_E_clIS9_SA_SB_SB_EEDaSZ_S10_SG_SL_EUlSZ_E_NS1_11comp_targetILNS1_3genE0ELNS1_11target_archE4294967295ELNS1_3gpuE0ELNS1_3repE0EEENS1_47radix_sort_onesweep_sort_config_static_selectorELNS0_4arch9wavefront6targetE0EEEvSG_.uses_vcc, 1
	.set _ZN7rocprim17ROCPRIM_400000_NS6detail17trampoline_kernelINS0_14default_configENS1_35radix_sort_onesweep_config_selectorIsNS0_10empty_typeEEEZZNS1_29radix_sort_onesweep_iterationIS3_Lb0EPKsPsPS5_SB_mNS0_19identity_decomposerENS1_16block_id_wrapperIjLb0EEEEE10hipError_tT1_PNSt15iterator_traitsISG_E10value_typeET2_T3_PNSH_ISM_E10value_typeET4_T5_PSR_SS_PNS1_23onesweep_lookback_stateEbbT6_jjT7_P12ihipStream_tbENKUlT_T0_SG_SL_E_clIS9_SA_SB_SB_EEDaSZ_S10_SG_SL_EUlSZ_E_NS1_11comp_targetILNS1_3genE0ELNS1_11target_archE4294967295ELNS1_3gpuE0ELNS1_3repE0EEENS1_47radix_sort_onesweep_sort_config_static_selectorELNS0_4arch9wavefront6targetE0EEEvSG_.uses_flat_scratch, 0
	.set _ZN7rocprim17ROCPRIM_400000_NS6detail17trampoline_kernelINS0_14default_configENS1_35radix_sort_onesweep_config_selectorIsNS0_10empty_typeEEEZZNS1_29radix_sort_onesweep_iterationIS3_Lb0EPKsPsPS5_SB_mNS0_19identity_decomposerENS1_16block_id_wrapperIjLb0EEEEE10hipError_tT1_PNSt15iterator_traitsISG_E10value_typeET2_T3_PNSH_ISM_E10value_typeET4_T5_PSR_SS_PNS1_23onesweep_lookback_stateEbbT6_jjT7_P12ihipStream_tbENKUlT_T0_SG_SL_E_clIS9_SA_SB_SB_EEDaSZ_S10_SG_SL_EUlSZ_E_NS1_11comp_targetILNS1_3genE0ELNS1_11target_archE4294967295ELNS1_3gpuE0ELNS1_3repE0EEENS1_47radix_sort_onesweep_sort_config_static_selectorELNS0_4arch9wavefront6targetE0EEEvSG_.has_dyn_sized_stack, 0
	.set _ZN7rocprim17ROCPRIM_400000_NS6detail17trampoline_kernelINS0_14default_configENS1_35radix_sort_onesweep_config_selectorIsNS0_10empty_typeEEEZZNS1_29radix_sort_onesweep_iterationIS3_Lb0EPKsPsPS5_SB_mNS0_19identity_decomposerENS1_16block_id_wrapperIjLb0EEEEE10hipError_tT1_PNSt15iterator_traitsISG_E10value_typeET2_T3_PNSH_ISM_E10value_typeET4_T5_PSR_SS_PNS1_23onesweep_lookback_stateEbbT6_jjT7_P12ihipStream_tbENKUlT_T0_SG_SL_E_clIS9_SA_SB_SB_EEDaSZ_S10_SG_SL_EUlSZ_E_NS1_11comp_targetILNS1_3genE0ELNS1_11target_archE4294967295ELNS1_3gpuE0ELNS1_3repE0EEENS1_47radix_sort_onesweep_sort_config_static_selectorELNS0_4arch9wavefront6targetE0EEEvSG_.has_recursion, 0
	.set _ZN7rocprim17ROCPRIM_400000_NS6detail17trampoline_kernelINS0_14default_configENS1_35radix_sort_onesweep_config_selectorIsNS0_10empty_typeEEEZZNS1_29radix_sort_onesweep_iterationIS3_Lb0EPKsPsPS5_SB_mNS0_19identity_decomposerENS1_16block_id_wrapperIjLb0EEEEE10hipError_tT1_PNSt15iterator_traitsISG_E10value_typeET2_T3_PNSH_ISM_E10value_typeET4_T5_PSR_SS_PNS1_23onesweep_lookback_stateEbbT6_jjT7_P12ihipStream_tbENKUlT_T0_SG_SL_E_clIS9_SA_SB_SB_EEDaSZ_S10_SG_SL_EUlSZ_E_NS1_11comp_targetILNS1_3genE0ELNS1_11target_archE4294967295ELNS1_3gpuE0ELNS1_3repE0EEENS1_47radix_sort_onesweep_sort_config_static_selectorELNS0_4arch9wavefront6targetE0EEEvSG_.has_indirect_call, 0
	.section	.AMDGPU.csdata,"",@progbits
; Kernel info:
; codeLenInByte = 17208
; TotalNumSgprs: 31
; NumVgprs: 65
; ScratchSize: 0
; MemoryBound: 0
; FloatMode: 240
; IeeeMode: 1
; LDSByteSize: 18504 bytes/workgroup (compile time only)
; SGPRBlocks: 0
; VGPRBlocks: 4
; NumSGPRsForWavesPerEU: 31
; NumVGPRsForWavesPerEU: 65
; NamedBarCnt: 0
; Occupancy: 12
; WaveLimiterHint : 0
; COMPUTE_PGM_RSRC2:SCRATCH_EN: 0
; COMPUTE_PGM_RSRC2:USER_SGPR: 2
; COMPUTE_PGM_RSRC2:TRAP_HANDLER: 0
; COMPUTE_PGM_RSRC2:TGID_X_EN: 1
; COMPUTE_PGM_RSRC2:TGID_Y_EN: 0
; COMPUTE_PGM_RSRC2:TGID_Z_EN: 0
; COMPUTE_PGM_RSRC2:TIDIG_COMP_CNT: 2
	.section	.text._ZN7rocprim17ROCPRIM_400000_NS6detail17trampoline_kernelINS0_14default_configENS1_35radix_sort_onesweep_config_selectorIsNS0_10empty_typeEEEZZNS1_29radix_sort_onesweep_iterationIS3_Lb0EPKsPsPS5_SB_mNS0_19identity_decomposerENS1_16block_id_wrapperIjLb0EEEEE10hipError_tT1_PNSt15iterator_traitsISG_E10value_typeET2_T3_PNSH_ISM_E10value_typeET4_T5_PSR_SS_PNS1_23onesweep_lookback_stateEbbT6_jjT7_P12ihipStream_tbENKUlT_T0_SG_SL_E_clIS9_SA_SB_SB_EEDaSZ_S10_SG_SL_EUlSZ_E_NS1_11comp_targetILNS1_3genE6ELNS1_11target_archE950ELNS1_3gpuE13ELNS1_3repE0EEENS1_47radix_sort_onesweep_sort_config_static_selectorELNS0_4arch9wavefront6targetE0EEEvSG_,"axG",@progbits,_ZN7rocprim17ROCPRIM_400000_NS6detail17trampoline_kernelINS0_14default_configENS1_35radix_sort_onesweep_config_selectorIsNS0_10empty_typeEEEZZNS1_29radix_sort_onesweep_iterationIS3_Lb0EPKsPsPS5_SB_mNS0_19identity_decomposerENS1_16block_id_wrapperIjLb0EEEEE10hipError_tT1_PNSt15iterator_traitsISG_E10value_typeET2_T3_PNSH_ISM_E10value_typeET4_T5_PSR_SS_PNS1_23onesweep_lookback_stateEbbT6_jjT7_P12ihipStream_tbENKUlT_T0_SG_SL_E_clIS9_SA_SB_SB_EEDaSZ_S10_SG_SL_EUlSZ_E_NS1_11comp_targetILNS1_3genE6ELNS1_11target_archE950ELNS1_3gpuE13ELNS1_3repE0EEENS1_47radix_sort_onesweep_sort_config_static_selectorELNS0_4arch9wavefront6targetE0EEEvSG_,comdat
	.protected	_ZN7rocprim17ROCPRIM_400000_NS6detail17trampoline_kernelINS0_14default_configENS1_35radix_sort_onesweep_config_selectorIsNS0_10empty_typeEEEZZNS1_29radix_sort_onesweep_iterationIS3_Lb0EPKsPsPS5_SB_mNS0_19identity_decomposerENS1_16block_id_wrapperIjLb0EEEEE10hipError_tT1_PNSt15iterator_traitsISG_E10value_typeET2_T3_PNSH_ISM_E10value_typeET4_T5_PSR_SS_PNS1_23onesweep_lookback_stateEbbT6_jjT7_P12ihipStream_tbENKUlT_T0_SG_SL_E_clIS9_SA_SB_SB_EEDaSZ_S10_SG_SL_EUlSZ_E_NS1_11comp_targetILNS1_3genE6ELNS1_11target_archE950ELNS1_3gpuE13ELNS1_3repE0EEENS1_47radix_sort_onesweep_sort_config_static_selectorELNS0_4arch9wavefront6targetE0EEEvSG_ ; -- Begin function _ZN7rocprim17ROCPRIM_400000_NS6detail17trampoline_kernelINS0_14default_configENS1_35radix_sort_onesweep_config_selectorIsNS0_10empty_typeEEEZZNS1_29radix_sort_onesweep_iterationIS3_Lb0EPKsPsPS5_SB_mNS0_19identity_decomposerENS1_16block_id_wrapperIjLb0EEEEE10hipError_tT1_PNSt15iterator_traitsISG_E10value_typeET2_T3_PNSH_ISM_E10value_typeET4_T5_PSR_SS_PNS1_23onesweep_lookback_stateEbbT6_jjT7_P12ihipStream_tbENKUlT_T0_SG_SL_E_clIS9_SA_SB_SB_EEDaSZ_S10_SG_SL_EUlSZ_E_NS1_11comp_targetILNS1_3genE6ELNS1_11target_archE950ELNS1_3gpuE13ELNS1_3repE0EEENS1_47radix_sort_onesweep_sort_config_static_selectorELNS0_4arch9wavefront6targetE0EEEvSG_
	.globl	_ZN7rocprim17ROCPRIM_400000_NS6detail17trampoline_kernelINS0_14default_configENS1_35radix_sort_onesweep_config_selectorIsNS0_10empty_typeEEEZZNS1_29radix_sort_onesweep_iterationIS3_Lb0EPKsPsPS5_SB_mNS0_19identity_decomposerENS1_16block_id_wrapperIjLb0EEEEE10hipError_tT1_PNSt15iterator_traitsISG_E10value_typeET2_T3_PNSH_ISM_E10value_typeET4_T5_PSR_SS_PNS1_23onesweep_lookback_stateEbbT6_jjT7_P12ihipStream_tbENKUlT_T0_SG_SL_E_clIS9_SA_SB_SB_EEDaSZ_S10_SG_SL_EUlSZ_E_NS1_11comp_targetILNS1_3genE6ELNS1_11target_archE950ELNS1_3gpuE13ELNS1_3repE0EEENS1_47radix_sort_onesweep_sort_config_static_selectorELNS0_4arch9wavefront6targetE0EEEvSG_
	.p2align	8
	.type	_ZN7rocprim17ROCPRIM_400000_NS6detail17trampoline_kernelINS0_14default_configENS1_35radix_sort_onesweep_config_selectorIsNS0_10empty_typeEEEZZNS1_29radix_sort_onesweep_iterationIS3_Lb0EPKsPsPS5_SB_mNS0_19identity_decomposerENS1_16block_id_wrapperIjLb0EEEEE10hipError_tT1_PNSt15iterator_traitsISG_E10value_typeET2_T3_PNSH_ISM_E10value_typeET4_T5_PSR_SS_PNS1_23onesweep_lookback_stateEbbT6_jjT7_P12ihipStream_tbENKUlT_T0_SG_SL_E_clIS9_SA_SB_SB_EEDaSZ_S10_SG_SL_EUlSZ_E_NS1_11comp_targetILNS1_3genE6ELNS1_11target_archE950ELNS1_3gpuE13ELNS1_3repE0EEENS1_47radix_sort_onesweep_sort_config_static_selectorELNS0_4arch9wavefront6targetE0EEEvSG_,@function
_ZN7rocprim17ROCPRIM_400000_NS6detail17trampoline_kernelINS0_14default_configENS1_35radix_sort_onesweep_config_selectorIsNS0_10empty_typeEEEZZNS1_29radix_sort_onesweep_iterationIS3_Lb0EPKsPsPS5_SB_mNS0_19identity_decomposerENS1_16block_id_wrapperIjLb0EEEEE10hipError_tT1_PNSt15iterator_traitsISG_E10value_typeET2_T3_PNSH_ISM_E10value_typeET4_T5_PSR_SS_PNS1_23onesweep_lookback_stateEbbT6_jjT7_P12ihipStream_tbENKUlT_T0_SG_SL_E_clIS9_SA_SB_SB_EEDaSZ_S10_SG_SL_EUlSZ_E_NS1_11comp_targetILNS1_3genE6ELNS1_11target_archE950ELNS1_3gpuE13ELNS1_3repE0EEENS1_47radix_sort_onesweep_sort_config_static_selectorELNS0_4arch9wavefront6targetE0EEEvSG_: ; @_ZN7rocprim17ROCPRIM_400000_NS6detail17trampoline_kernelINS0_14default_configENS1_35radix_sort_onesweep_config_selectorIsNS0_10empty_typeEEEZZNS1_29radix_sort_onesweep_iterationIS3_Lb0EPKsPsPS5_SB_mNS0_19identity_decomposerENS1_16block_id_wrapperIjLb0EEEEE10hipError_tT1_PNSt15iterator_traitsISG_E10value_typeET2_T3_PNSH_ISM_E10value_typeET4_T5_PSR_SS_PNS1_23onesweep_lookback_stateEbbT6_jjT7_P12ihipStream_tbENKUlT_T0_SG_SL_E_clIS9_SA_SB_SB_EEDaSZ_S10_SG_SL_EUlSZ_E_NS1_11comp_targetILNS1_3genE6ELNS1_11target_archE950ELNS1_3gpuE13ELNS1_3repE0EEENS1_47radix_sort_onesweep_sort_config_static_selectorELNS0_4arch9wavefront6targetE0EEEvSG_
; %bb.0:
	.section	.rodata,"a",@progbits
	.p2align	6, 0x0
	.amdhsa_kernel _ZN7rocprim17ROCPRIM_400000_NS6detail17trampoline_kernelINS0_14default_configENS1_35radix_sort_onesweep_config_selectorIsNS0_10empty_typeEEEZZNS1_29radix_sort_onesweep_iterationIS3_Lb0EPKsPsPS5_SB_mNS0_19identity_decomposerENS1_16block_id_wrapperIjLb0EEEEE10hipError_tT1_PNSt15iterator_traitsISG_E10value_typeET2_T3_PNSH_ISM_E10value_typeET4_T5_PSR_SS_PNS1_23onesweep_lookback_stateEbbT6_jjT7_P12ihipStream_tbENKUlT_T0_SG_SL_E_clIS9_SA_SB_SB_EEDaSZ_S10_SG_SL_EUlSZ_E_NS1_11comp_targetILNS1_3genE6ELNS1_11target_archE950ELNS1_3gpuE13ELNS1_3repE0EEENS1_47radix_sort_onesweep_sort_config_static_selectorELNS0_4arch9wavefront6targetE0EEEvSG_
		.amdhsa_group_segment_fixed_size 0
		.amdhsa_private_segment_fixed_size 0
		.amdhsa_kernarg_size 88
		.amdhsa_user_sgpr_count 2
		.amdhsa_user_sgpr_dispatch_ptr 0
		.amdhsa_user_sgpr_queue_ptr 0
		.amdhsa_user_sgpr_kernarg_segment_ptr 1
		.amdhsa_user_sgpr_dispatch_id 0
		.amdhsa_user_sgpr_kernarg_preload_length 0
		.amdhsa_user_sgpr_kernarg_preload_offset 0
		.amdhsa_user_sgpr_private_segment_size 0
		.amdhsa_wavefront_size32 1
		.amdhsa_uses_dynamic_stack 0
		.amdhsa_enable_private_segment 0
		.amdhsa_system_sgpr_workgroup_id_x 1
		.amdhsa_system_sgpr_workgroup_id_y 0
		.amdhsa_system_sgpr_workgroup_id_z 0
		.amdhsa_system_sgpr_workgroup_info 0
		.amdhsa_system_vgpr_workitem_id 0
		.amdhsa_next_free_vgpr 1
		.amdhsa_next_free_sgpr 1
		.amdhsa_named_barrier_count 0
		.amdhsa_reserve_vcc 0
		.amdhsa_float_round_mode_32 0
		.amdhsa_float_round_mode_16_64 0
		.amdhsa_float_denorm_mode_32 3
		.amdhsa_float_denorm_mode_16_64 3
		.amdhsa_fp16_overflow 0
		.amdhsa_memory_ordered 1
		.amdhsa_forward_progress 1
		.amdhsa_inst_pref_size 0
		.amdhsa_round_robin_scheduling 0
		.amdhsa_exception_fp_ieee_invalid_op 0
		.amdhsa_exception_fp_denorm_src 0
		.amdhsa_exception_fp_ieee_div_zero 0
		.amdhsa_exception_fp_ieee_overflow 0
		.amdhsa_exception_fp_ieee_underflow 0
		.amdhsa_exception_fp_ieee_inexact 0
		.amdhsa_exception_int_div_zero 0
	.end_amdhsa_kernel
	.section	.text._ZN7rocprim17ROCPRIM_400000_NS6detail17trampoline_kernelINS0_14default_configENS1_35radix_sort_onesweep_config_selectorIsNS0_10empty_typeEEEZZNS1_29radix_sort_onesweep_iterationIS3_Lb0EPKsPsPS5_SB_mNS0_19identity_decomposerENS1_16block_id_wrapperIjLb0EEEEE10hipError_tT1_PNSt15iterator_traitsISG_E10value_typeET2_T3_PNSH_ISM_E10value_typeET4_T5_PSR_SS_PNS1_23onesweep_lookback_stateEbbT6_jjT7_P12ihipStream_tbENKUlT_T0_SG_SL_E_clIS9_SA_SB_SB_EEDaSZ_S10_SG_SL_EUlSZ_E_NS1_11comp_targetILNS1_3genE6ELNS1_11target_archE950ELNS1_3gpuE13ELNS1_3repE0EEENS1_47radix_sort_onesweep_sort_config_static_selectorELNS0_4arch9wavefront6targetE0EEEvSG_,"axG",@progbits,_ZN7rocprim17ROCPRIM_400000_NS6detail17trampoline_kernelINS0_14default_configENS1_35radix_sort_onesweep_config_selectorIsNS0_10empty_typeEEEZZNS1_29radix_sort_onesweep_iterationIS3_Lb0EPKsPsPS5_SB_mNS0_19identity_decomposerENS1_16block_id_wrapperIjLb0EEEEE10hipError_tT1_PNSt15iterator_traitsISG_E10value_typeET2_T3_PNSH_ISM_E10value_typeET4_T5_PSR_SS_PNS1_23onesweep_lookback_stateEbbT6_jjT7_P12ihipStream_tbENKUlT_T0_SG_SL_E_clIS9_SA_SB_SB_EEDaSZ_S10_SG_SL_EUlSZ_E_NS1_11comp_targetILNS1_3genE6ELNS1_11target_archE950ELNS1_3gpuE13ELNS1_3repE0EEENS1_47radix_sort_onesweep_sort_config_static_selectorELNS0_4arch9wavefront6targetE0EEEvSG_,comdat
.Lfunc_end732:
	.size	_ZN7rocprim17ROCPRIM_400000_NS6detail17trampoline_kernelINS0_14default_configENS1_35radix_sort_onesweep_config_selectorIsNS0_10empty_typeEEEZZNS1_29radix_sort_onesweep_iterationIS3_Lb0EPKsPsPS5_SB_mNS0_19identity_decomposerENS1_16block_id_wrapperIjLb0EEEEE10hipError_tT1_PNSt15iterator_traitsISG_E10value_typeET2_T3_PNSH_ISM_E10value_typeET4_T5_PSR_SS_PNS1_23onesweep_lookback_stateEbbT6_jjT7_P12ihipStream_tbENKUlT_T0_SG_SL_E_clIS9_SA_SB_SB_EEDaSZ_S10_SG_SL_EUlSZ_E_NS1_11comp_targetILNS1_3genE6ELNS1_11target_archE950ELNS1_3gpuE13ELNS1_3repE0EEENS1_47radix_sort_onesweep_sort_config_static_selectorELNS0_4arch9wavefront6targetE0EEEvSG_, .Lfunc_end732-_ZN7rocprim17ROCPRIM_400000_NS6detail17trampoline_kernelINS0_14default_configENS1_35radix_sort_onesweep_config_selectorIsNS0_10empty_typeEEEZZNS1_29radix_sort_onesweep_iterationIS3_Lb0EPKsPsPS5_SB_mNS0_19identity_decomposerENS1_16block_id_wrapperIjLb0EEEEE10hipError_tT1_PNSt15iterator_traitsISG_E10value_typeET2_T3_PNSH_ISM_E10value_typeET4_T5_PSR_SS_PNS1_23onesweep_lookback_stateEbbT6_jjT7_P12ihipStream_tbENKUlT_T0_SG_SL_E_clIS9_SA_SB_SB_EEDaSZ_S10_SG_SL_EUlSZ_E_NS1_11comp_targetILNS1_3genE6ELNS1_11target_archE950ELNS1_3gpuE13ELNS1_3repE0EEENS1_47radix_sort_onesweep_sort_config_static_selectorELNS0_4arch9wavefront6targetE0EEEvSG_
                                        ; -- End function
	.set _ZN7rocprim17ROCPRIM_400000_NS6detail17trampoline_kernelINS0_14default_configENS1_35radix_sort_onesweep_config_selectorIsNS0_10empty_typeEEEZZNS1_29radix_sort_onesweep_iterationIS3_Lb0EPKsPsPS5_SB_mNS0_19identity_decomposerENS1_16block_id_wrapperIjLb0EEEEE10hipError_tT1_PNSt15iterator_traitsISG_E10value_typeET2_T3_PNSH_ISM_E10value_typeET4_T5_PSR_SS_PNS1_23onesweep_lookback_stateEbbT6_jjT7_P12ihipStream_tbENKUlT_T0_SG_SL_E_clIS9_SA_SB_SB_EEDaSZ_S10_SG_SL_EUlSZ_E_NS1_11comp_targetILNS1_3genE6ELNS1_11target_archE950ELNS1_3gpuE13ELNS1_3repE0EEENS1_47radix_sort_onesweep_sort_config_static_selectorELNS0_4arch9wavefront6targetE0EEEvSG_.num_vgpr, 0
	.set _ZN7rocprim17ROCPRIM_400000_NS6detail17trampoline_kernelINS0_14default_configENS1_35radix_sort_onesweep_config_selectorIsNS0_10empty_typeEEEZZNS1_29radix_sort_onesweep_iterationIS3_Lb0EPKsPsPS5_SB_mNS0_19identity_decomposerENS1_16block_id_wrapperIjLb0EEEEE10hipError_tT1_PNSt15iterator_traitsISG_E10value_typeET2_T3_PNSH_ISM_E10value_typeET4_T5_PSR_SS_PNS1_23onesweep_lookback_stateEbbT6_jjT7_P12ihipStream_tbENKUlT_T0_SG_SL_E_clIS9_SA_SB_SB_EEDaSZ_S10_SG_SL_EUlSZ_E_NS1_11comp_targetILNS1_3genE6ELNS1_11target_archE950ELNS1_3gpuE13ELNS1_3repE0EEENS1_47radix_sort_onesweep_sort_config_static_selectorELNS0_4arch9wavefront6targetE0EEEvSG_.num_agpr, 0
	.set _ZN7rocprim17ROCPRIM_400000_NS6detail17trampoline_kernelINS0_14default_configENS1_35radix_sort_onesweep_config_selectorIsNS0_10empty_typeEEEZZNS1_29radix_sort_onesweep_iterationIS3_Lb0EPKsPsPS5_SB_mNS0_19identity_decomposerENS1_16block_id_wrapperIjLb0EEEEE10hipError_tT1_PNSt15iterator_traitsISG_E10value_typeET2_T3_PNSH_ISM_E10value_typeET4_T5_PSR_SS_PNS1_23onesweep_lookback_stateEbbT6_jjT7_P12ihipStream_tbENKUlT_T0_SG_SL_E_clIS9_SA_SB_SB_EEDaSZ_S10_SG_SL_EUlSZ_E_NS1_11comp_targetILNS1_3genE6ELNS1_11target_archE950ELNS1_3gpuE13ELNS1_3repE0EEENS1_47radix_sort_onesweep_sort_config_static_selectorELNS0_4arch9wavefront6targetE0EEEvSG_.numbered_sgpr, 0
	.set _ZN7rocprim17ROCPRIM_400000_NS6detail17trampoline_kernelINS0_14default_configENS1_35radix_sort_onesweep_config_selectorIsNS0_10empty_typeEEEZZNS1_29radix_sort_onesweep_iterationIS3_Lb0EPKsPsPS5_SB_mNS0_19identity_decomposerENS1_16block_id_wrapperIjLb0EEEEE10hipError_tT1_PNSt15iterator_traitsISG_E10value_typeET2_T3_PNSH_ISM_E10value_typeET4_T5_PSR_SS_PNS1_23onesweep_lookback_stateEbbT6_jjT7_P12ihipStream_tbENKUlT_T0_SG_SL_E_clIS9_SA_SB_SB_EEDaSZ_S10_SG_SL_EUlSZ_E_NS1_11comp_targetILNS1_3genE6ELNS1_11target_archE950ELNS1_3gpuE13ELNS1_3repE0EEENS1_47radix_sort_onesweep_sort_config_static_selectorELNS0_4arch9wavefront6targetE0EEEvSG_.num_named_barrier, 0
	.set _ZN7rocprim17ROCPRIM_400000_NS6detail17trampoline_kernelINS0_14default_configENS1_35radix_sort_onesweep_config_selectorIsNS0_10empty_typeEEEZZNS1_29radix_sort_onesweep_iterationIS3_Lb0EPKsPsPS5_SB_mNS0_19identity_decomposerENS1_16block_id_wrapperIjLb0EEEEE10hipError_tT1_PNSt15iterator_traitsISG_E10value_typeET2_T3_PNSH_ISM_E10value_typeET4_T5_PSR_SS_PNS1_23onesweep_lookback_stateEbbT6_jjT7_P12ihipStream_tbENKUlT_T0_SG_SL_E_clIS9_SA_SB_SB_EEDaSZ_S10_SG_SL_EUlSZ_E_NS1_11comp_targetILNS1_3genE6ELNS1_11target_archE950ELNS1_3gpuE13ELNS1_3repE0EEENS1_47radix_sort_onesweep_sort_config_static_selectorELNS0_4arch9wavefront6targetE0EEEvSG_.private_seg_size, 0
	.set _ZN7rocprim17ROCPRIM_400000_NS6detail17trampoline_kernelINS0_14default_configENS1_35radix_sort_onesweep_config_selectorIsNS0_10empty_typeEEEZZNS1_29radix_sort_onesweep_iterationIS3_Lb0EPKsPsPS5_SB_mNS0_19identity_decomposerENS1_16block_id_wrapperIjLb0EEEEE10hipError_tT1_PNSt15iterator_traitsISG_E10value_typeET2_T3_PNSH_ISM_E10value_typeET4_T5_PSR_SS_PNS1_23onesweep_lookback_stateEbbT6_jjT7_P12ihipStream_tbENKUlT_T0_SG_SL_E_clIS9_SA_SB_SB_EEDaSZ_S10_SG_SL_EUlSZ_E_NS1_11comp_targetILNS1_3genE6ELNS1_11target_archE950ELNS1_3gpuE13ELNS1_3repE0EEENS1_47radix_sort_onesweep_sort_config_static_selectorELNS0_4arch9wavefront6targetE0EEEvSG_.uses_vcc, 0
	.set _ZN7rocprim17ROCPRIM_400000_NS6detail17trampoline_kernelINS0_14default_configENS1_35radix_sort_onesweep_config_selectorIsNS0_10empty_typeEEEZZNS1_29radix_sort_onesweep_iterationIS3_Lb0EPKsPsPS5_SB_mNS0_19identity_decomposerENS1_16block_id_wrapperIjLb0EEEEE10hipError_tT1_PNSt15iterator_traitsISG_E10value_typeET2_T3_PNSH_ISM_E10value_typeET4_T5_PSR_SS_PNS1_23onesweep_lookback_stateEbbT6_jjT7_P12ihipStream_tbENKUlT_T0_SG_SL_E_clIS9_SA_SB_SB_EEDaSZ_S10_SG_SL_EUlSZ_E_NS1_11comp_targetILNS1_3genE6ELNS1_11target_archE950ELNS1_3gpuE13ELNS1_3repE0EEENS1_47radix_sort_onesweep_sort_config_static_selectorELNS0_4arch9wavefront6targetE0EEEvSG_.uses_flat_scratch, 0
	.set _ZN7rocprim17ROCPRIM_400000_NS6detail17trampoline_kernelINS0_14default_configENS1_35radix_sort_onesweep_config_selectorIsNS0_10empty_typeEEEZZNS1_29radix_sort_onesweep_iterationIS3_Lb0EPKsPsPS5_SB_mNS0_19identity_decomposerENS1_16block_id_wrapperIjLb0EEEEE10hipError_tT1_PNSt15iterator_traitsISG_E10value_typeET2_T3_PNSH_ISM_E10value_typeET4_T5_PSR_SS_PNS1_23onesweep_lookback_stateEbbT6_jjT7_P12ihipStream_tbENKUlT_T0_SG_SL_E_clIS9_SA_SB_SB_EEDaSZ_S10_SG_SL_EUlSZ_E_NS1_11comp_targetILNS1_3genE6ELNS1_11target_archE950ELNS1_3gpuE13ELNS1_3repE0EEENS1_47radix_sort_onesweep_sort_config_static_selectorELNS0_4arch9wavefront6targetE0EEEvSG_.has_dyn_sized_stack, 0
	.set _ZN7rocprim17ROCPRIM_400000_NS6detail17trampoline_kernelINS0_14default_configENS1_35radix_sort_onesweep_config_selectorIsNS0_10empty_typeEEEZZNS1_29radix_sort_onesweep_iterationIS3_Lb0EPKsPsPS5_SB_mNS0_19identity_decomposerENS1_16block_id_wrapperIjLb0EEEEE10hipError_tT1_PNSt15iterator_traitsISG_E10value_typeET2_T3_PNSH_ISM_E10value_typeET4_T5_PSR_SS_PNS1_23onesweep_lookback_stateEbbT6_jjT7_P12ihipStream_tbENKUlT_T0_SG_SL_E_clIS9_SA_SB_SB_EEDaSZ_S10_SG_SL_EUlSZ_E_NS1_11comp_targetILNS1_3genE6ELNS1_11target_archE950ELNS1_3gpuE13ELNS1_3repE0EEENS1_47radix_sort_onesweep_sort_config_static_selectorELNS0_4arch9wavefront6targetE0EEEvSG_.has_recursion, 0
	.set _ZN7rocprim17ROCPRIM_400000_NS6detail17trampoline_kernelINS0_14default_configENS1_35radix_sort_onesweep_config_selectorIsNS0_10empty_typeEEEZZNS1_29radix_sort_onesweep_iterationIS3_Lb0EPKsPsPS5_SB_mNS0_19identity_decomposerENS1_16block_id_wrapperIjLb0EEEEE10hipError_tT1_PNSt15iterator_traitsISG_E10value_typeET2_T3_PNSH_ISM_E10value_typeET4_T5_PSR_SS_PNS1_23onesweep_lookback_stateEbbT6_jjT7_P12ihipStream_tbENKUlT_T0_SG_SL_E_clIS9_SA_SB_SB_EEDaSZ_S10_SG_SL_EUlSZ_E_NS1_11comp_targetILNS1_3genE6ELNS1_11target_archE950ELNS1_3gpuE13ELNS1_3repE0EEENS1_47radix_sort_onesweep_sort_config_static_selectorELNS0_4arch9wavefront6targetE0EEEvSG_.has_indirect_call, 0
	.section	.AMDGPU.csdata,"",@progbits
; Kernel info:
; codeLenInByte = 0
; TotalNumSgprs: 0
; NumVgprs: 0
; ScratchSize: 0
; MemoryBound: 0
; FloatMode: 240
; IeeeMode: 1
; LDSByteSize: 0 bytes/workgroup (compile time only)
; SGPRBlocks: 0
; VGPRBlocks: 0
; NumSGPRsForWavesPerEU: 1
; NumVGPRsForWavesPerEU: 1
; NamedBarCnt: 0
; Occupancy: 16
; WaveLimiterHint : 0
; COMPUTE_PGM_RSRC2:SCRATCH_EN: 0
; COMPUTE_PGM_RSRC2:USER_SGPR: 2
; COMPUTE_PGM_RSRC2:TRAP_HANDLER: 0
; COMPUTE_PGM_RSRC2:TGID_X_EN: 1
; COMPUTE_PGM_RSRC2:TGID_Y_EN: 0
; COMPUTE_PGM_RSRC2:TGID_Z_EN: 0
; COMPUTE_PGM_RSRC2:TIDIG_COMP_CNT: 0
	.section	.text._ZN7rocprim17ROCPRIM_400000_NS6detail17trampoline_kernelINS0_14default_configENS1_35radix_sort_onesweep_config_selectorIsNS0_10empty_typeEEEZZNS1_29radix_sort_onesweep_iterationIS3_Lb0EPKsPsPS5_SB_mNS0_19identity_decomposerENS1_16block_id_wrapperIjLb0EEEEE10hipError_tT1_PNSt15iterator_traitsISG_E10value_typeET2_T3_PNSH_ISM_E10value_typeET4_T5_PSR_SS_PNS1_23onesweep_lookback_stateEbbT6_jjT7_P12ihipStream_tbENKUlT_T0_SG_SL_E_clIS9_SA_SB_SB_EEDaSZ_S10_SG_SL_EUlSZ_E_NS1_11comp_targetILNS1_3genE5ELNS1_11target_archE942ELNS1_3gpuE9ELNS1_3repE0EEENS1_47radix_sort_onesweep_sort_config_static_selectorELNS0_4arch9wavefront6targetE0EEEvSG_,"axG",@progbits,_ZN7rocprim17ROCPRIM_400000_NS6detail17trampoline_kernelINS0_14default_configENS1_35radix_sort_onesweep_config_selectorIsNS0_10empty_typeEEEZZNS1_29radix_sort_onesweep_iterationIS3_Lb0EPKsPsPS5_SB_mNS0_19identity_decomposerENS1_16block_id_wrapperIjLb0EEEEE10hipError_tT1_PNSt15iterator_traitsISG_E10value_typeET2_T3_PNSH_ISM_E10value_typeET4_T5_PSR_SS_PNS1_23onesweep_lookback_stateEbbT6_jjT7_P12ihipStream_tbENKUlT_T0_SG_SL_E_clIS9_SA_SB_SB_EEDaSZ_S10_SG_SL_EUlSZ_E_NS1_11comp_targetILNS1_3genE5ELNS1_11target_archE942ELNS1_3gpuE9ELNS1_3repE0EEENS1_47radix_sort_onesweep_sort_config_static_selectorELNS0_4arch9wavefront6targetE0EEEvSG_,comdat
	.protected	_ZN7rocprim17ROCPRIM_400000_NS6detail17trampoline_kernelINS0_14default_configENS1_35radix_sort_onesweep_config_selectorIsNS0_10empty_typeEEEZZNS1_29radix_sort_onesweep_iterationIS3_Lb0EPKsPsPS5_SB_mNS0_19identity_decomposerENS1_16block_id_wrapperIjLb0EEEEE10hipError_tT1_PNSt15iterator_traitsISG_E10value_typeET2_T3_PNSH_ISM_E10value_typeET4_T5_PSR_SS_PNS1_23onesweep_lookback_stateEbbT6_jjT7_P12ihipStream_tbENKUlT_T0_SG_SL_E_clIS9_SA_SB_SB_EEDaSZ_S10_SG_SL_EUlSZ_E_NS1_11comp_targetILNS1_3genE5ELNS1_11target_archE942ELNS1_3gpuE9ELNS1_3repE0EEENS1_47radix_sort_onesweep_sort_config_static_selectorELNS0_4arch9wavefront6targetE0EEEvSG_ ; -- Begin function _ZN7rocprim17ROCPRIM_400000_NS6detail17trampoline_kernelINS0_14default_configENS1_35radix_sort_onesweep_config_selectorIsNS0_10empty_typeEEEZZNS1_29radix_sort_onesweep_iterationIS3_Lb0EPKsPsPS5_SB_mNS0_19identity_decomposerENS1_16block_id_wrapperIjLb0EEEEE10hipError_tT1_PNSt15iterator_traitsISG_E10value_typeET2_T3_PNSH_ISM_E10value_typeET4_T5_PSR_SS_PNS1_23onesweep_lookback_stateEbbT6_jjT7_P12ihipStream_tbENKUlT_T0_SG_SL_E_clIS9_SA_SB_SB_EEDaSZ_S10_SG_SL_EUlSZ_E_NS1_11comp_targetILNS1_3genE5ELNS1_11target_archE942ELNS1_3gpuE9ELNS1_3repE0EEENS1_47radix_sort_onesweep_sort_config_static_selectorELNS0_4arch9wavefront6targetE0EEEvSG_
	.globl	_ZN7rocprim17ROCPRIM_400000_NS6detail17trampoline_kernelINS0_14default_configENS1_35radix_sort_onesweep_config_selectorIsNS0_10empty_typeEEEZZNS1_29radix_sort_onesweep_iterationIS3_Lb0EPKsPsPS5_SB_mNS0_19identity_decomposerENS1_16block_id_wrapperIjLb0EEEEE10hipError_tT1_PNSt15iterator_traitsISG_E10value_typeET2_T3_PNSH_ISM_E10value_typeET4_T5_PSR_SS_PNS1_23onesweep_lookback_stateEbbT6_jjT7_P12ihipStream_tbENKUlT_T0_SG_SL_E_clIS9_SA_SB_SB_EEDaSZ_S10_SG_SL_EUlSZ_E_NS1_11comp_targetILNS1_3genE5ELNS1_11target_archE942ELNS1_3gpuE9ELNS1_3repE0EEENS1_47radix_sort_onesweep_sort_config_static_selectorELNS0_4arch9wavefront6targetE0EEEvSG_
	.p2align	8
	.type	_ZN7rocprim17ROCPRIM_400000_NS6detail17trampoline_kernelINS0_14default_configENS1_35radix_sort_onesweep_config_selectorIsNS0_10empty_typeEEEZZNS1_29radix_sort_onesweep_iterationIS3_Lb0EPKsPsPS5_SB_mNS0_19identity_decomposerENS1_16block_id_wrapperIjLb0EEEEE10hipError_tT1_PNSt15iterator_traitsISG_E10value_typeET2_T3_PNSH_ISM_E10value_typeET4_T5_PSR_SS_PNS1_23onesweep_lookback_stateEbbT6_jjT7_P12ihipStream_tbENKUlT_T0_SG_SL_E_clIS9_SA_SB_SB_EEDaSZ_S10_SG_SL_EUlSZ_E_NS1_11comp_targetILNS1_3genE5ELNS1_11target_archE942ELNS1_3gpuE9ELNS1_3repE0EEENS1_47radix_sort_onesweep_sort_config_static_selectorELNS0_4arch9wavefront6targetE0EEEvSG_,@function
_ZN7rocprim17ROCPRIM_400000_NS6detail17trampoline_kernelINS0_14default_configENS1_35radix_sort_onesweep_config_selectorIsNS0_10empty_typeEEEZZNS1_29radix_sort_onesweep_iterationIS3_Lb0EPKsPsPS5_SB_mNS0_19identity_decomposerENS1_16block_id_wrapperIjLb0EEEEE10hipError_tT1_PNSt15iterator_traitsISG_E10value_typeET2_T3_PNSH_ISM_E10value_typeET4_T5_PSR_SS_PNS1_23onesweep_lookback_stateEbbT6_jjT7_P12ihipStream_tbENKUlT_T0_SG_SL_E_clIS9_SA_SB_SB_EEDaSZ_S10_SG_SL_EUlSZ_E_NS1_11comp_targetILNS1_3genE5ELNS1_11target_archE942ELNS1_3gpuE9ELNS1_3repE0EEENS1_47radix_sort_onesweep_sort_config_static_selectorELNS0_4arch9wavefront6targetE0EEEvSG_: ; @_ZN7rocprim17ROCPRIM_400000_NS6detail17trampoline_kernelINS0_14default_configENS1_35radix_sort_onesweep_config_selectorIsNS0_10empty_typeEEEZZNS1_29radix_sort_onesweep_iterationIS3_Lb0EPKsPsPS5_SB_mNS0_19identity_decomposerENS1_16block_id_wrapperIjLb0EEEEE10hipError_tT1_PNSt15iterator_traitsISG_E10value_typeET2_T3_PNSH_ISM_E10value_typeET4_T5_PSR_SS_PNS1_23onesweep_lookback_stateEbbT6_jjT7_P12ihipStream_tbENKUlT_T0_SG_SL_E_clIS9_SA_SB_SB_EEDaSZ_S10_SG_SL_EUlSZ_E_NS1_11comp_targetILNS1_3genE5ELNS1_11target_archE942ELNS1_3gpuE9ELNS1_3repE0EEENS1_47radix_sort_onesweep_sort_config_static_selectorELNS0_4arch9wavefront6targetE0EEEvSG_
; %bb.0:
	.section	.rodata,"a",@progbits
	.p2align	6, 0x0
	.amdhsa_kernel _ZN7rocprim17ROCPRIM_400000_NS6detail17trampoline_kernelINS0_14default_configENS1_35radix_sort_onesweep_config_selectorIsNS0_10empty_typeEEEZZNS1_29radix_sort_onesweep_iterationIS3_Lb0EPKsPsPS5_SB_mNS0_19identity_decomposerENS1_16block_id_wrapperIjLb0EEEEE10hipError_tT1_PNSt15iterator_traitsISG_E10value_typeET2_T3_PNSH_ISM_E10value_typeET4_T5_PSR_SS_PNS1_23onesweep_lookback_stateEbbT6_jjT7_P12ihipStream_tbENKUlT_T0_SG_SL_E_clIS9_SA_SB_SB_EEDaSZ_S10_SG_SL_EUlSZ_E_NS1_11comp_targetILNS1_3genE5ELNS1_11target_archE942ELNS1_3gpuE9ELNS1_3repE0EEENS1_47radix_sort_onesweep_sort_config_static_selectorELNS0_4arch9wavefront6targetE0EEEvSG_
		.amdhsa_group_segment_fixed_size 0
		.amdhsa_private_segment_fixed_size 0
		.amdhsa_kernarg_size 88
		.amdhsa_user_sgpr_count 2
		.amdhsa_user_sgpr_dispatch_ptr 0
		.amdhsa_user_sgpr_queue_ptr 0
		.amdhsa_user_sgpr_kernarg_segment_ptr 1
		.amdhsa_user_sgpr_dispatch_id 0
		.amdhsa_user_sgpr_kernarg_preload_length 0
		.amdhsa_user_sgpr_kernarg_preload_offset 0
		.amdhsa_user_sgpr_private_segment_size 0
		.amdhsa_wavefront_size32 1
		.amdhsa_uses_dynamic_stack 0
		.amdhsa_enable_private_segment 0
		.amdhsa_system_sgpr_workgroup_id_x 1
		.amdhsa_system_sgpr_workgroup_id_y 0
		.amdhsa_system_sgpr_workgroup_id_z 0
		.amdhsa_system_sgpr_workgroup_info 0
		.amdhsa_system_vgpr_workitem_id 0
		.amdhsa_next_free_vgpr 1
		.amdhsa_next_free_sgpr 1
		.amdhsa_named_barrier_count 0
		.amdhsa_reserve_vcc 0
		.amdhsa_float_round_mode_32 0
		.amdhsa_float_round_mode_16_64 0
		.amdhsa_float_denorm_mode_32 3
		.amdhsa_float_denorm_mode_16_64 3
		.amdhsa_fp16_overflow 0
		.amdhsa_memory_ordered 1
		.amdhsa_forward_progress 1
		.amdhsa_inst_pref_size 0
		.amdhsa_round_robin_scheduling 0
		.amdhsa_exception_fp_ieee_invalid_op 0
		.amdhsa_exception_fp_denorm_src 0
		.amdhsa_exception_fp_ieee_div_zero 0
		.amdhsa_exception_fp_ieee_overflow 0
		.amdhsa_exception_fp_ieee_underflow 0
		.amdhsa_exception_fp_ieee_inexact 0
		.amdhsa_exception_int_div_zero 0
	.end_amdhsa_kernel
	.section	.text._ZN7rocprim17ROCPRIM_400000_NS6detail17trampoline_kernelINS0_14default_configENS1_35radix_sort_onesweep_config_selectorIsNS0_10empty_typeEEEZZNS1_29radix_sort_onesweep_iterationIS3_Lb0EPKsPsPS5_SB_mNS0_19identity_decomposerENS1_16block_id_wrapperIjLb0EEEEE10hipError_tT1_PNSt15iterator_traitsISG_E10value_typeET2_T3_PNSH_ISM_E10value_typeET4_T5_PSR_SS_PNS1_23onesweep_lookback_stateEbbT6_jjT7_P12ihipStream_tbENKUlT_T0_SG_SL_E_clIS9_SA_SB_SB_EEDaSZ_S10_SG_SL_EUlSZ_E_NS1_11comp_targetILNS1_3genE5ELNS1_11target_archE942ELNS1_3gpuE9ELNS1_3repE0EEENS1_47radix_sort_onesweep_sort_config_static_selectorELNS0_4arch9wavefront6targetE0EEEvSG_,"axG",@progbits,_ZN7rocprim17ROCPRIM_400000_NS6detail17trampoline_kernelINS0_14default_configENS1_35radix_sort_onesweep_config_selectorIsNS0_10empty_typeEEEZZNS1_29radix_sort_onesweep_iterationIS3_Lb0EPKsPsPS5_SB_mNS0_19identity_decomposerENS1_16block_id_wrapperIjLb0EEEEE10hipError_tT1_PNSt15iterator_traitsISG_E10value_typeET2_T3_PNSH_ISM_E10value_typeET4_T5_PSR_SS_PNS1_23onesweep_lookback_stateEbbT6_jjT7_P12ihipStream_tbENKUlT_T0_SG_SL_E_clIS9_SA_SB_SB_EEDaSZ_S10_SG_SL_EUlSZ_E_NS1_11comp_targetILNS1_3genE5ELNS1_11target_archE942ELNS1_3gpuE9ELNS1_3repE0EEENS1_47radix_sort_onesweep_sort_config_static_selectorELNS0_4arch9wavefront6targetE0EEEvSG_,comdat
.Lfunc_end733:
	.size	_ZN7rocprim17ROCPRIM_400000_NS6detail17trampoline_kernelINS0_14default_configENS1_35radix_sort_onesweep_config_selectorIsNS0_10empty_typeEEEZZNS1_29radix_sort_onesweep_iterationIS3_Lb0EPKsPsPS5_SB_mNS0_19identity_decomposerENS1_16block_id_wrapperIjLb0EEEEE10hipError_tT1_PNSt15iterator_traitsISG_E10value_typeET2_T3_PNSH_ISM_E10value_typeET4_T5_PSR_SS_PNS1_23onesweep_lookback_stateEbbT6_jjT7_P12ihipStream_tbENKUlT_T0_SG_SL_E_clIS9_SA_SB_SB_EEDaSZ_S10_SG_SL_EUlSZ_E_NS1_11comp_targetILNS1_3genE5ELNS1_11target_archE942ELNS1_3gpuE9ELNS1_3repE0EEENS1_47radix_sort_onesweep_sort_config_static_selectorELNS0_4arch9wavefront6targetE0EEEvSG_, .Lfunc_end733-_ZN7rocprim17ROCPRIM_400000_NS6detail17trampoline_kernelINS0_14default_configENS1_35radix_sort_onesweep_config_selectorIsNS0_10empty_typeEEEZZNS1_29radix_sort_onesweep_iterationIS3_Lb0EPKsPsPS5_SB_mNS0_19identity_decomposerENS1_16block_id_wrapperIjLb0EEEEE10hipError_tT1_PNSt15iterator_traitsISG_E10value_typeET2_T3_PNSH_ISM_E10value_typeET4_T5_PSR_SS_PNS1_23onesweep_lookback_stateEbbT6_jjT7_P12ihipStream_tbENKUlT_T0_SG_SL_E_clIS9_SA_SB_SB_EEDaSZ_S10_SG_SL_EUlSZ_E_NS1_11comp_targetILNS1_3genE5ELNS1_11target_archE942ELNS1_3gpuE9ELNS1_3repE0EEENS1_47radix_sort_onesweep_sort_config_static_selectorELNS0_4arch9wavefront6targetE0EEEvSG_
                                        ; -- End function
	.set _ZN7rocprim17ROCPRIM_400000_NS6detail17trampoline_kernelINS0_14default_configENS1_35radix_sort_onesweep_config_selectorIsNS0_10empty_typeEEEZZNS1_29radix_sort_onesweep_iterationIS3_Lb0EPKsPsPS5_SB_mNS0_19identity_decomposerENS1_16block_id_wrapperIjLb0EEEEE10hipError_tT1_PNSt15iterator_traitsISG_E10value_typeET2_T3_PNSH_ISM_E10value_typeET4_T5_PSR_SS_PNS1_23onesweep_lookback_stateEbbT6_jjT7_P12ihipStream_tbENKUlT_T0_SG_SL_E_clIS9_SA_SB_SB_EEDaSZ_S10_SG_SL_EUlSZ_E_NS1_11comp_targetILNS1_3genE5ELNS1_11target_archE942ELNS1_3gpuE9ELNS1_3repE0EEENS1_47radix_sort_onesweep_sort_config_static_selectorELNS0_4arch9wavefront6targetE0EEEvSG_.num_vgpr, 0
	.set _ZN7rocprim17ROCPRIM_400000_NS6detail17trampoline_kernelINS0_14default_configENS1_35radix_sort_onesweep_config_selectorIsNS0_10empty_typeEEEZZNS1_29radix_sort_onesweep_iterationIS3_Lb0EPKsPsPS5_SB_mNS0_19identity_decomposerENS1_16block_id_wrapperIjLb0EEEEE10hipError_tT1_PNSt15iterator_traitsISG_E10value_typeET2_T3_PNSH_ISM_E10value_typeET4_T5_PSR_SS_PNS1_23onesweep_lookback_stateEbbT6_jjT7_P12ihipStream_tbENKUlT_T0_SG_SL_E_clIS9_SA_SB_SB_EEDaSZ_S10_SG_SL_EUlSZ_E_NS1_11comp_targetILNS1_3genE5ELNS1_11target_archE942ELNS1_3gpuE9ELNS1_3repE0EEENS1_47radix_sort_onesweep_sort_config_static_selectorELNS0_4arch9wavefront6targetE0EEEvSG_.num_agpr, 0
	.set _ZN7rocprim17ROCPRIM_400000_NS6detail17trampoline_kernelINS0_14default_configENS1_35radix_sort_onesweep_config_selectorIsNS0_10empty_typeEEEZZNS1_29radix_sort_onesweep_iterationIS3_Lb0EPKsPsPS5_SB_mNS0_19identity_decomposerENS1_16block_id_wrapperIjLb0EEEEE10hipError_tT1_PNSt15iterator_traitsISG_E10value_typeET2_T3_PNSH_ISM_E10value_typeET4_T5_PSR_SS_PNS1_23onesweep_lookback_stateEbbT6_jjT7_P12ihipStream_tbENKUlT_T0_SG_SL_E_clIS9_SA_SB_SB_EEDaSZ_S10_SG_SL_EUlSZ_E_NS1_11comp_targetILNS1_3genE5ELNS1_11target_archE942ELNS1_3gpuE9ELNS1_3repE0EEENS1_47radix_sort_onesweep_sort_config_static_selectorELNS0_4arch9wavefront6targetE0EEEvSG_.numbered_sgpr, 0
	.set _ZN7rocprim17ROCPRIM_400000_NS6detail17trampoline_kernelINS0_14default_configENS1_35radix_sort_onesweep_config_selectorIsNS0_10empty_typeEEEZZNS1_29radix_sort_onesweep_iterationIS3_Lb0EPKsPsPS5_SB_mNS0_19identity_decomposerENS1_16block_id_wrapperIjLb0EEEEE10hipError_tT1_PNSt15iterator_traitsISG_E10value_typeET2_T3_PNSH_ISM_E10value_typeET4_T5_PSR_SS_PNS1_23onesweep_lookback_stateEbbT6_jjT7_P12ihipStream_tbENKUlT_T0_SG_SL_E_clIS9_SA_SB_SB_EEDaSZ_S10_SG_SL_EUlSZ_E_NS1_11comp_targetILNS1_3genE5ELNS1_11target_archE942ELNS1_3gpuE9ELNS1_3repE0EEENS1_47radix_sort_onesweep_sort_config_static_selectorELNS0_4arch9wavefront6targetE0EEEvSG_.num_named_barrier, 0
	.set _ZN7rocprim17ROCPRIM_400000_NS6detail17trampoline_kernelINS0_14default_configENS1_35radix_sort_onesweep_config_selectorIsNS0_10empty_typeEEEZZNS1_29radix_sort_onesweep_iterationIS3_Lb0EPKsPsPS5_SB_mNS0_19identity_decomposerENS1_16block_id_wrapperIjLb0EEEEE10hipError_tT1_PNSt15iterator_traitsISG_E10value_typeET2_T3_PNSH_ISM_E10value_typeET4_T5_PSR_SS_PNS1_23onesweep_lookback_stateEbbT6_jjT7_P12ihipStream_tbENKUlT_T0_SG_SL_E_clIS9_SA_SB_SB_EEDaSZ_S10_SG_SL_EUlSZ_E_NS1_11comp_targetILNS1_3genE5ELNS1_11target_archE942ELNS1_3gpuE9ELNS1_3repE0EEENS1_47radix_sort_onesweep_sort_config_static_selectorELNS0_4arch9wavefront6targetE0EEEvSG_.private_seg_size, 0
	.set _ZN7rocprim17ROCPRIM_400000_NS6detail17trampoline_kernelINS0_14default_configENS1_35radix_sort_onesweep_config_selectorIsNS0_10empty_typeEEEZZNS1_29radix_sort_onesweep_iterationIS3_Lb0EPKsPsPS5_SB_mNS0_19identity_decomposerENS1_16block_id_wrapperIjLb0EEEEE10hipError_tT1_PNSt15iterator_traitsISG_E10value_typeET2_T3_PNSH_ISM_E10value_typeET4_T5_PSR_SS_PNS1_23onesweep_lookback_stateEbbT6_jjT7_P12ihipStream_tbENKUlT_T0_SG_SL_E_clIS9_SA_SB_SB_EEDaSZ_S10_SG_SL_EUlSZ_E_NS1_11comp_targetILNS1_3genE5ELNS1_11target_archE942ELNS1_3gpuE9ELNS1_3repE0EEENS1_47radix_sort_onesweep_sort_config_static_selectorELNS0_4arch9wavefront6targetE0EEEvSG_.uses_vcc, 0
	.set _ZN7rocprim17ROCPRIM_400000_NS6detail17trampoline_kernelINS0_14default_configENS1_35radix_sort_onesweep_config_selectorIsNS0_10empty_typeEEEZZNS1_29radix_sort_onesweep_iterationIS3_Lb0EPKsPsPS5_SB_mNS0_19identity_decomposerENS1_16block_id_wrapperIjLb0EEEEE10hipError_tT1_PNSt15iterator_traitsISG_E10value_typeET2_T3_PNSH_ISM_E10value_typeET4_T5_PSR_SS_PNS1_23onesweep_lookback_stateEbbT6_jjT7_P12ihipStream_tbENKUlT_T0_SG_SL_E_clIS9_SA_SB_SB_EEDaSZ_S10_SG_SL_EUlSZ_E_NS1_11comp_targetILNS1_3genE5ELNS1_11target_archE942ELNS1_3gpuE9ELNS1_3repE0EEENS1_47radix_sort_onesweep_sort_config_static_selectorELNS0_4arch9wavefront6targetE0EEEvSG_.uses_flat_scratch, 0
	.set _ZN7rocprim17ROCPRIM_400000_NS6detail17trampoline_kernelINS0_14default_configENS1_35radix_sort_onesweep_config_selectorIsNS0_10empty_typeEEEZZNS1_29radix_sort_onesweep_iterationIS3_Lb0EPKsPsPS5_SB_mNS0_19identity_decomposerENS1_16block_id_wrapperIjLb0EEEEE10hipError_tT1_PNSt15iterator_traitsISG_E10value_typeET2_T3_PNSH_ISM_E10value_typeET4_T5_PSR_SS_PNS1_23onesweep_lookback_stateEbbT6_jjT7_P12ihipStream_tbENKUlT_T0_SG_SL_E_clIS9_SA_SB_SB_EEDaSZ_S10_SG_SL_EUlSZ_E_NS1_11comp_targetILNS1_3genE5ELNS1_11target_archE942ELNS1_3gpuE9ELNS1_3repE0EEENS1_47radix_sort_onesweep_sort_config_static_selectorELNS0_4arch9wavefront6targetE0EEEvSG_.has_dyn_sized_stack, 0
	.set _ZN7rocprim17ROCPRIM_400000_NS6detail17trampoline_kernelINS0_14default_configENS1_35radix_sort_onesweep_config_selectorIsNS0_10empty_typeEEEZZNS1_29radix_sort_onesweep_iterationIS3_Lb0EPKsPsPS5_SB_mNS0_19identity_decomposerENS1_16block_id_wrapperIjLb0EEEEE10hipError_tT1_PNSt15iterator_traitsISG_E10value_typeET2_T3_PNSH_ISM_E10value_typeET4_T5_PSR_SS_PNS1_23onesweep_lookback_stateEbbT6_jjT7_P12ihipStream_tbENKUlT_T0_SG_SL_E_clIS9_SA_SB_SB_EEDaSZ_S10_SG_SL_EUlSZ_E_NS1_11comp_targetILNS1_3genE5ELNS1_11target_archE942ELNS1_3gpuE9ELNS1_3repE0EEENS1_47radix_sort_onesweep_sort_config_static_selectorELNS0_4arch9wavefront6targetE0EEEvSG_.has_recursion, 0
	.set _ZN7rocprim17ROCPRIM_400000_NS6detail17trampoline_kernelINS0_14default_configENS1_35radix_sort_onesweep_config_selectorIsNS0_10empty_typeEEEZZNS1_29radix_sort_onesweep_iterationIS3_Lb0EPKsPsPS5_SB_mNS0_19identity_decomposerENS1_16block_id_wrapperIjLb0EEEEE10hipError_tT1_PNSt15iterator_traitsISG_E10value_typeET2_T3_PNSH_ISM_E10value_typeET4_T5_PSR_SS_PNS1_23onesweep_lookback_stateEbbT6_jjT7_P12ihipStream_tbENKUlT_T0_SG_SL_E_clIS9_SA_SB_SB_EEDaSZ_S10_SG_SL_EUlSZ_E_NS1_11comp_targetILNS1_3genE5ELNS1_11target_archE942ELNS1_3gpuE9ELNS1_3repE0EEENS1_47radix_sort_onesweep_sort_config_static_selectorELNS0_4arch9wavefront6targetE0EEEvSG_.has_indirect_call, 0
	.section	.AMDGPU.csdata,"",@progbits
; Kernel info:
; codeLenInByte = 0
; TotalNumSgprs: 0
; NumVgprs: 0
; ScratchSize: 0
; MemoryBound: 0
; FloatMode: 240
; IeeeMode: 1
; LDSByteSize: 0 bytes/workgroup (compile time only)
; SGPRBlocks: 0
; VGPRBlocks: 0
; NumSGPRsForWavesPerEU: 1
; NumVGPRsForWavesPerEU: 1
; NamedBarCnt: 0
; Occupancy: 16
; WaveLimiterHint : 0
; COMPUTE_PGM_RSRC2:SCRATCH_EN: 0
; COMPUTE_PGM_RSRC2:USER_SGPR: 2
; COMPUTE_PGM_RSRC2:TRAP_HANDLER: 0
; COMPUTE_PGM_RSRC2:TGID_X_EN: 1
; COMPUTE_PGM_RSRC2:TGID_Y_EN: 0
; COMPUTE_PGM_RSRC2:TGID_Z_EN: 0
; COMPUTE_PGM_RSRC2:TIDIG_COMP_CNT: 0
	.section	.text._ZN7rocprim17ROCPRIM_400000_NS6detail17trampoline_kernelINS0_14default_configENS1_35radix_sort_onesweep_config_selectorIsNS0_10empty_typeEEEZZNS1_29radix_sort_onesweep_iterationIS3_Lb0EPKsPsPS5_SB_mNS0_19identity_decomposerENS1_16block_id_wrapperIjLb0EEEEE10hipError_tT1_PNSt15iterator_traitsISG_E10value_typeET2_T3_PNSH_ISM_E10value_typeET4_T5_PSR_SS_PNS1_23onesweep_lookback_stateEbbT6_jjT7_P12ihipStream_tbENKUlT_T0_SG_SL_E_clIS9_SA_SB_SB_EEDaSZ_S10_SG_SL_EUlSZ_E_NS1_11comp_targetILNS1_3genE2ELNS1_11target_archE906ELNS1_3gpuE6ELNS1_3repE0EEENS1_47radix_sort_onesweep_sort_config_static_selectorELNS0_4arch9wavefront6targetE0EEEvSG_,"axG",@progbits,_ZN7rocprim17ROCPRIM_400000_NS6detail17trampoline_kernelINS0_14default_configENS1_35radix_sort_onesweep_config_selectorIsNS0_10empty_typeEEEZZNS1_29radix_sort_onesweep_iterationIS3_Lb0EPKsPsPS5_SB_mNS0_19identity_decomposerENS1_16block_id_wrapperIjLb0EEEEE10hipError_tT1_PNSt15iterator_traitsISG_E10value_typeET2_T3_PNSH_ISM_E10value_typeET4_T5_PSR_SS_PNS1_23onesweep_lookback_stateEbbT6_jjT7_P12ihipStream_tbENKUlT_T0_SG_SL_E_clIS9_SA_SB_SB_EEDaSZ_S10_SG_SL_EUlSZ_E_NS1_11comp_targetILNS1_3genE2ELNS1_11target_archE906ELNS1_3gpuE6ELNS1_3repE0EEENS1_47radix_sort_onesweep_sort_config_static_selectorELNS0_4arch9wavefront6targetE0EEEvSG_,comdat
	.protected	_ZN7rocprim17ROCPRIM_400000_NS6detail17trampoline_kernelINS0_14default_configENS1_35radix_sort_onesweep_config_selectorIsNS0_10empty_typeEEEZZNS1_29radix_sort_onesweep_iterationIS3_Lb0EPKsPsPS5_SB_mNS0_19identity_decomposerENS1_16block_id_wrapperIjLb0EEEEE10hipError_tT1_PNSt15iterator_traitsISG_E10value_typeET2_T3_PNSH_ISM_E10value_typeET4_T5_PSR_SS_PNS1_23onesweep_lookback_stateEbbT6_jjT7_P12ihipStream_tbENKUlT_T0_SG_SL_E_clIS9_SA_SB_SB_EEDaSZ_S10_SG_SL_EUlSZ_E_NS1_11comp_targetILNS1_3genE2ELNS1_11target_archE906ELNS1_3gpuE6ELNS1_3repE0EEENS1_47radix_sort_onesweep_sort_config_static_selectorELNS0_4arch9wavefront6targetE0EEEvSG_ ; -- Begin function _ZN7rocprim17ROCPRIM_400000_NS6detail17trampoline_kernelINS0_14default_configENS1_35radix_sort_onesweep_config_selectorIsNS0_10empty_typeEEEZZNS1_29radix_sort_onesweep_iterationIS3_Lb0EPKsPsPS5_SB_mNS0_19identity_decomposerENS1_16block_id_wrapperIjLb0EEEEE10hipError_tT1_PNSt15iterator_traitsISG_E10value_typeET2_T3_PNSH_ISM_E10value_typeET4_T5_PSR_SS_PNS1_23onesweep_lookback_stateEbbT6_jjT7_P12ihipStream_tbENKUlT_T0_SG_SL_E_clIS9_SA_SB_SB_EEDaSZ_S10_SG_SL_EUlSZ_E_NS1_11comp_targetILNS1_3genE2ELNS1_11target_archE906ELNS1_3gpuE6ELNS1_3repE0EEENS1_47radix_sort_onesweep_sort_config_static_selectorELNS0_4arch9wavefront6targetE0EEEvSG_
	.globl	_ZN7rocprim17ROCPRIM_400000_NS6detail17trampoline_kernelINS0_14default_configENS1_35radix_sort_onesweep_config_selectorIsNS0_10empty_typeEEEZZNS1_29radix_sort_onesweep_iterationIS3_Lb0EPKsPsPS5_SB_mNS0_19identity_decomposerENS1_16block_id_wrapperIjLb0EEEEE10hipError_tT1_PNSt15iterator_traitsISG_E10value_typeET2_T3_PNSH_ISM_E10value_typeET4_T5_PSR_SS_PNS1_23onesweep_lookback_stateEbbT6_jjT7_P12ihipStream_tbENKUlT_T0_SG_SL_E_clIS9_SA_SB_SB_EEDaSZ_S10_SG_SL_EUlSZ_E_NS1_11comp_targetILNS1_3genE2ELNS1_11target_archE906ELNS1_3gpuE6ELNS1_3repE0EEENS1_47radix_sort_onesweep_sort_config_static_selectorELNS0_4arch9wavefront6targetE0EEEvSG_
	.p2align	8
	.type	_ZN7rocprim17ROCPRIM_400000_NS6detail17trampoline_kernelINS0_14default_configENS1_35radix_sort_onesweep_config_selectorIsNS0_10empty_typeEEEZZNS1_29radix_sort_onesweep_iterationIS3_Lb0EPKsPsPS5_SB_mNS0_19identity_decomposerENS1_16block_id_wrapperIjLb0EEEEE10hipError_tT1_PNSt15iterator_traitsISG_E10value_typeET2_T3_PNSH_ISM_E10value_typeET4_T5_PSR_SS_PNS1_23onesweep_lookback_stateEbbT6_jjT7_P12ihipStream_tbENKUlT_T0_SG_SL_E_clIS9_SA_SB_SB_EEDaSZ_S10_SG_SL_EUlSZ_E_NS1_11comp_targetILNS1_3genE2ELNS1_11target_archE906ELNS1_3gpuE6ELNS1_3repE0EEENS1_47radix_sort_onesweep_sort_config_static_selectorELNS0_4arch9wavefront6targetE0EEEvSG_,@function
_ZN7rocprim17ROCPRIM_400000_NS6detail17trampoline_kernelINS0_14default_configENS1_35radix_sort_onesweep_config_selectorIsNS0_10empty_typeEEEZZNS1_29radix_sort_onesweep_iterationIS3_Lb0EPKsPsPS5_SB_mNS0_19identity_decomposerENS1_16block_id_wrapperIjLb0EEEEE10hipError_tT1_PNSt15iterator_traitsISG_E10value_typeET2_T3_PNSH_ISM_E10value_typeET4_T5_PSR_SS_PNS1_23onesweep_lookback_stateEbbT6_jjT7_P12ihipStream_tbENKUlT_T0_SG_SL_E_clIS9_SA_SB_SB_EEDaSZ_S10_SG_SL_EUlSZ_E_NS1_11comp_targetILNS1_3genE2ELNS1_11target_archE906ELNS1_3gpuE6ELNS1_3repE0EEENS1_47radix_sort_onesweep_sort_config_static_selectorELNS0_4arch9wavefront6targetE0EEEvSG_: ; @_ZN7rocprim17ROCPRIM_400000_NS6detail17trampoline_kernelINS0_14default_configENS1_35radix_sort_onesweep_config_selectorIsNS0_10empty_typeEEEZZNS1_29radix_sort_onesweep_iterationIS3_Lb0EPKsPsPS5_SB_mNS0_19identity_decomposerENS1_16block_id_wrapperIjLb0EEEEE10hipError_tT1_PNSt15iterator_traitsISG_E10value_typeET2_T3_PNSH_ISM_E10value_typeET4_T5_PSR_SS_PNS1_23onesweep_lookback_stateEbbT6_jjT7_P12ihipStream_tbENKUlT_T0_SG_SL_E_clIS9_SA_SB_SB_EEDaSZ_S10_SG_SL_EUlSZ_E_NS1_11comp_targetILNS1_3genE2ELNS1_11target_archE906ELNS1_3gpuE6ELNS1_3repE0EEENS1_47radix_sort_onesweep_sort_config_static_selectorELNS0_4arch9wavefront6targetE0EEEvSG_
; %bb.0:
	.section	.rodata,"a",@progbits
	.p2align	6, 0x0
	.amdhsa_kernel _ZN7rocprim17ROCPRIM_400000_NS6detail17trampoline_kernelINS0_14default_configENS1_35radix_sort_onesweep_config_selectorIsNS0_10empty_typeEEEZZNS1_29radix_sort_onesweep_iterationIS3_Lb0EPKsPsPS5_SB_mNS0_19identity_decomposerENS1_16block_id_wrapperIjLb0EEEEE10hipError_tT1_PNSt15iterator_traitsISG_E10value_typeET2_T3_PNSH_ISM_E10value_typeET4_T5_PSR_SS_PNS1_23onesweep_lookback_stateEbbT6_jjT7_P12ihipStream_tbENKUlT_T0_SG_SL_E_clIS9_SA_SB_SB_EEDaSZ_S10_SG_SL_EUlSZ_E_NS1_11comp_targetILNS1_3genE2ELNS1_11target_archE906ELNS1_3gpuE6ELNS1_3repE0EEENS1_47radix_sort_onesweep_sort_config_static_selectorELNS0_4arch9wavefront6targetE0EEEvSG_
		.amdhsa_group_segment_fixed_size 0
		.amdhsa_private_segment_fixed_size 0
		.amdhsa_kernarg_size 88
		.amdhsa_user_sgpr_count 2
		.amdhsa_user_sgpr_dispatch_ptr 0
		.amdhsa_user_sgpr_queue_ptr 0
		.amdhsa_user_sgpr_kernarg_segment_ptr 1
		.amdhsa_user_sgpr_dispatch_id 0
		.amdhsa_user_sgpr_kernarg_preload_length 0
		.amdhsa_user_sgpr_kernarg_preload_offset 0
		.amdhsa_user_sgpr_private_segment_size 0
		.amdhsa_wavefront_size32 1
		.amdhsa_uses_dynamic_stack 0
		.amdhsa_enable_private_segment 0
		.amdhsa_system_sgpr_workgroup_id_x 1
		.amdhsa_system_sgpr_workgroup_id_y 0
		.amdhsa_system_sgpr_workgroup_id_z 0
		.amdhsa_system_sgpr_workgroup_info 0
		.amdhsa_system_vgpr_workitem_id 0
		.amdhsa_next_free_vgpr 1
		.amdhsa_next_free_sgpr 1
		.amdhsa_named_barrier_count 0
		.amdhsa_reserve_vcc 0
		.amdhsa_float_round_mode_32 0
		.amdhsa_float_round_mode_16_64 0
		.amdhsa_float_denorm_mode_32 3
		.amdhsa_float_denorm_mode_16_64 3
		.amdhsa_fp16_overflow 0
		.amdhsa_memory_ordered 1
		.amdhsa_forward_progress 1
		.amdhsa_inst_pref_size 0
		.amdhsa_round_robin_scheduling 0
		.amdhsa_exception_fp_ieee_invalid_op 0
		.amdhsa_exception_fp_denorm_src 0
		.amdhsa_exception_fp_ieee_div_zero 0
		.amdhsa_exception_fp_ieee_overflow 0
		.amdhsa_exception_fp_ieee_underflow 0
		.amdhsa_exception_fp_ieee_inexact 0
		.amdhsa_exception_int_div_zero 0
	.end_amdhsa_kernel
	.section	.text._ZN7rocprim17ROCPRIM_400000_NS6detail17trampoline_kernelINS0_14default_configENS1_35radix_sort_onesweep_config_selectorIsNS0_10empty_typeEEEZZNS1_29radix_sort_onesweep_iterationIS3_Lb0EPKsPsPS5_SB_mNS0_19identity_decomposerENS1_16block_id_wrapperIjLb0EEEEE10hipError_tT1_PNSt15iterator_traitsISG_E10value_typeET2_T3_PNSH_ISM_E10value_typeET4_T5_PSR_SS_PNS1_23onesweep_lookback_stateEbbT6_jjT7_P12ihipStream_tbENKUlT_T0_SG_SL_E_clIS9_SA_SB_SB_EEDaSZ_S10_SG_SL_EUlSZ_E_NS1_11comp_targetILNS1_3genE2ELNS1_11target_archE906ELNS1_3gpuE6ELNS1_3repE0EEENS1_47radix_sort_onesweep_sort_config_static_selectorELNS0_4arch9wavefront6targetE0EEEvSG_,"axG",@progbits,_ZN7rocprim17ROCPRIM_400000_NS6detail17trampoline_kernelINS0_14default_configENS1_35radix_sort_onesweep_config_selectorIsNS0_10empty_typeEEEZZNS1_29radix_sort_onesweep_iterationIS3_Lb0EPKsPsPS5_SB_mNS0_19identity_decomposerENS1_16block_id_wrapperIjLb0EEEEE10hipError_tT1_PNSt15iterator_traitsISG_E10value_typeET2_T3_PNSH_ISM_E10value_typeET4_T5_PSR_SS_PNS1_23onesweep_lookback_stateEbbT6_jjT7_P12ihipStream_tbENKUlT_T0_SG_SL_E_clIS9_SA_SB_SB_EEDaSZ_S10_SG_SL_EUlSZ_E_NS1_11comp_targetILNS1_3genE2ELNS1_11target_archE906ELNS1_3gpuE6ELNS1_3repE0EEENS1_47radix_sort_onesweep_sort_config_static_selectorELNS0_4arch9wavefront6targetE0EEEvSG_,comdat
.Lfunc_end734:
	.size	_ZN7rocprim17ROCPRIM_400000_NS6detail17trampoline_kernelINS0_14default_configENS1_35radix_sort_onesweep_config_selectorIsNS0_10empty_typeEEEZZNS1_29radix_sort_onesweep_iterationIS3_Lb0EPKsPsPS5_SB_mNS0_19identity_decomposerENS1_16block_id_wrapperIjLb0EEEEE10hipError_tT1_PNSt15iterator_traitsISG_E10value_typeET2_T3_PNSH_ISM_E10value_typeET4_T5_PSR_SS_PNS1_23onesweep_lookback_stateEbbT6_jjT7_P12ihipStream_tbENKUlT_T0_SG_SL_E_clIS9_SA_SB_SB_EEDaSZ_S10_SG_SL_EUlSZ_E_NS1_11comp_targetILNS1_3genE2ELNS1_11target_archE906ELNS1_3gpuE6ELNS1_3repE0EEENS1_47radix_sort_onesweep_sort_config_static_selectorELNS0_4arch9wavefront6targetE0EEEvSG_, .Lfunc_end734-_ZN7rocprim17ROCPRIM_400000_NS6detail17trampoline_kernelINS0_14default_configENS1_35radix_sort_onesweep_config_selectorIsNS0_10empty_typeEEEZZNS1_29radix_sort_onesweep_iterationIS3_Lb0EPKsPsPS5_SB_mNS0_19identity_decomposerENS1_16block_id_wrapperIjLb0EEEEE10hipError_tT1_PNSt15iterator_traitsISG_E10value_typeET2_T3_PNSH_ISM_E10value_typeET4_T5_PSR_SS_PNS1_23onesweep_lookback_stateEbbT6_jjT7_P12ihipStream_tbENKUlT_T0_SG_SL_E_clIS9_SA_SB_SB_EEDaSZ_S10_SG_SL_EUlSZ_E_NS1_11comp_targetILNS1_3genE2ELNS1_11target_archE906ELNS1_3gpuE6ELNS1_3repE0EEENS1_47radix_sort_onesweep_sort_config_static_selectorELNS0_4arch9wavefront6targetE0EEEvSG_
                                        ; -- End function
	.set _ZN7rocprim17ROCPRIM_400000_NS6detail17trampoline_kernelINS0_14default_configENS1_35radix_sort_onesweep_config_selectorIsNS0_10empty_typeEEEZZNS1_29radix_sort_onesweep_iterationIS3_Lb0EPKsPsPS5_SB_mNS0_19identity_decomposerENS1_16block_id_wrapperIjLb0EEEEE10hipError_tT1_PNSt15iterator_traitsISG_E10value_typeET2_T3_PNSH_ISM_E10value_typeET4_T5_PSR_SS_PNS1_23onesweep_lookback_stateEbbT6_jjT7_P12ihipStream_tbENKUlT_T0_SG_SL_E_clIS9_SA_SB_SB_EEDaSZ_S10_SG_SL_EUlSZ_E_NS1_11comp_targetILNS1_3genE2ELNS1_11target_archE906ELNS1_3gpuE6ELNS1_3repE0EEENS1_47radix_sort_onesweep_sort_config_static_selectorELNS0_4arch9wavefront6targetE0EEEvSG_.num_vgpr, 0
	.set _ZN7rocprim17ROCPRIM_400000_NS6detail17trampoline_kernelINS0_14default_configENS1_35radix_sort_onesweep_config_selectorIsNS0_10empty_typeEEEZZNS1_29radix_sort_onesweep_iterationIS3_Lb0EPKsPsPS5_SB_mNS0_19identity_decomposerENS1_16block_id_wrapperIjLb0EEEEE10hipError_tT1_PNSt15iterator_traitsISG_E10value_typeET2_T3_PNSH_ISM_E10value_typeET4_T5_PSR_SS_PNS1_23onesweep_lookback_stateEbbT6_jjT7_P12ihipStream_tbENKUlT_T0_SG_SL_E_clIS9_SA_SB_SB_EEDaSZ_S10_SG_SL_EUlSZ_E_NS1_11comp_targetILNS1_3genE2ELNS1_11target_archE906ELNS1_3gpuE6ELNS1_3repE0EEENS1_47radix_sort_onesweep_sort_config_static_selectorELNS0_4arch9wavefront6targetE0EEEvSG_.num_agpr, 0
	.set _ZN7rocprim17ROCPRIM_400000_NS6detail17trampoline_kernelINS0_14default_configENS1_35radix_sort_onesweep_config_selectorIsNS0_10empty_typeEEEZZNS1_29radix_sort_onesweep_iterationIS3_Lb0EPKsPsPS5_SB_mNS0_19identity_decomposerENS1_16block_id_wrapperIjLb0EEEEE10hipError_tT1_PNSt15iterator_traitsISG_E10value_typeET2_T3_PNSH_ISM_E10value_typeET4_T5_PSR_SS_PNS1_23onesweep_lookback_stateEbbT6_jjT7_P12ihipStream_tbENKUlT_T0_SG_SL_E_clIS9_SA_SB_SB_EEDaSZ_S10_SG_SL_EUlSZ_E_NS1_11comp_targetILNS1_3genE2ELNS1_11target_archE906ELNS1_3gpuE6ELNS1_3repE0EEENS1_47radix_sort_onesweep_sort_config_static_selectorELNS0_4arch9wavefront6targetE0EEEvSG_.numbered_sgpr, 0
	.set _ZN7rocprim17ROCPRIM_400000_NS6detail17trampoline_kernelINS0_14default_configENS1_35radix_sort_onesweep_config_selectorIsNS0_10empty_typeEEEZZNS1_29radix_sort_onesweep_iterationIS3_Lb0EPKsPsPS5_SB_mNS0_19identity_decomposerENS1_16block_id_wrapperIjLb0EEEEE10hipError_tT1_PNSt15iterator_traitsISG_E10value_typeET2_T3_PNSH_ISM_E10value_typeET4_T5_PSR_SS_PNS1_23onesweep_lookback_stateEbbT6_jjT7_P12ihipStream_tbENKUlT_T0_SG_SL_E_clIS9_SA_SB_SB_EEDaSZ_S10_SG_SL_EUlSZ_E_NS1_11comp_targetILNS1_3genE2ELNS1_11target_archE906ELNS1_3gpuE6ELNS1_3repE0EEENS1_47radix_sort_onesweep_sort_config_static_selectorELNS0_4arch9wavefront6targetE0EEEvSG_.num_named_barrier, 0
	.set _ZN7rocprim17ROCPRIM_400000_NS6detail17trampoline_kernelINS0_14default_configENS1_35radix_sort_onesweep_config_selectorIsNS0_10empty_typeEEEZZNS1_29radix_sort_onesweep_iterationIS3_Lb0EPKsPsPS5_SB_mNS0_19identity_decomposerENS1_16block_id_wrapperIjLb0EEEEE10hipError_tT1_PNSt15iterator_traitsISG_E10value_typeET2_T3_PNSH_ISM_E10value_typeET4_T5_PSR_SS_PNS1_23onesweep_lookback_stateEbbT6_jjT7_P12ihipStream_tbENKUlT_T0_SG_SL_E_clIS9_SA_SB_SB_EEDaSZ_S10_SG_SL_EUlSZ_E_NS1_11comp_targetILNS1_3genE2ELNS1_11target_archE906ELNS1_3gpuE6ELNS1_3repE0EEENS1_47radix_sort_onesweep_sort_config_static_selectorELNS0_4arch9wavefront6targetE0EEEvSG_.private_seg_size, 0
	.set _ZN7rocprim17ROCPRIM_400000_NS6detail17trampoline_kernelINS0_14default_configENS1_35radix_sort_onesweep_config_selectorIsNS0_10empty_typeEEEZZNS1_29radix_sort_onesweep_iterationIS3_Lb0EPKsPsPS5_SB_mNS0_19identity_decomposerENS1_16block_id_wrapperIjLb0EEEEE10hipError_tT1_PNSt15iterator_traitsISG_E10value_typeET2_T3_PNSH_ISM_E10value_typeET4_T5_PSR_SS_PNS1_23onesweep_lookback_stateEbbT6_jjT7_P12ihipStream_tbENKUlT_T0_SG_SL_E_clIS9_SA_SB_SB_EEDaSZ_S10_SG_SL_EUlSZ_E_NS1_11comp_targetILNS1_3genE2ELNS1_11target_archE906ELNS1_3gpuE6ELNS1_3repE0EEENS1_47radix_sort_onesweep_sort_config_static_selectorELNS0_4arch9wavefront6targetE0EEEvSG_.uses_vcc, 0
	.set _ZN7rocprim17ROCPRIM_400000_NS6detail17trampoline_kernelINS0_14default_configENS1_35radix_sort_onesweep_config_selectorIsNS0_10empty_typeEEEZZNS1_29radix_sort_onesweep_iterationIS3_Lb0EPKsPsPS5_SB_mNS0_19identity_decomposerENS1_16block_id_wrapperIjLb0EEEEE10hipError_tT1_PNSt15iterator_traitsISG_E10value_typeET2_T3_PNSH_ISM_E10value_typeET4_T5_PSR_SS_PNS1_23onesweep_lookback_stateEbbT6_jjT7_P12ihipStream_tbENKUlT_T0_SG_SL_E_clIS9_SA_SB_SB_EEDaSZ_S10_SG_SL_EUlSZ_E_NS1_11comp_targetILNS1_3genE2ELNS1_11target_archE906ELNS1_3gpuE6ELNS1_3repE0EEENS1_47radix_sort_onesweep_sort_config_static_selectorELNS0_4arch9wavefront6targetE0EEEvSG_.uses_flat_scratch, 0
	.set _ZN7rocprim17ROCPRIM_400000_NS6detail17trampoline_kernelINS0_14default_configENS1_35radix_sort_onesweep_config_selectorIsNS0_10empty_typeEEEZZNS1_29radix_sort_onesweep_iterationIS3_Lb0EPKsPsPS5_SB_mNS0_19identity_decomposerENS1_16block_id_wrapperIjLb0EEEEE10hipError_tT1_PNSt15iterator_traitsISG_E10value_typeET2_T3_PNSH_ISM_E10value_typeET4_T5_PSR_SS_PNS1_23onesweep_lookback_stateEbbT6_jjT7_P12ihipStream_tbENKUlT_T0_SG_SL_E_clIS9_SA_SB_SB_EEDaSZ_S10_SG_SL_EUlSZ_E_NS1_11comp_targetILNS1_3genE2ELNS1_11target_archE906ELNS1_3gpuE6ELNS1_3repE0EEENS1_47radix_sort_onesweep_sort_config_static_selectorELNS0_4arch9wavefront6targetE0EEEvSG_.has_dyn_sized_stack, 0
	.set _ZN7rocprim17ROCPRIM_400000_NS6detail17trampoline_kernelINS0_14default_configENS1_35radix_sort_onesweep_config_selectorIsNS0_10empty_typeEEEZZNS1_29radix_sort_onesweep_iterationIS3_Lb0EPKsPsPS5_SB_mNS0_19identity_decomposerENS1_16block_id_wrapperIjLb0EEEEE10hipError_tT1_PNSt15iterator_traitsISG_E10value_typeET2_T3_PNSH_ISM_E10value_typeET4_T5_PSR_SS_PNS1_23onesweep_lookback_stateEbbT6_jjT7_P12ihipStream_tbENKUlT_T0_SG_SL_E_clIS9_SA_SB_SB_EEDaSZ_S10_SG_SL_EUlSZ_E_NS1_11comp_targetILNS1_3genE2ELNS1_11target_archE906ELNS1_3gpuE6ELNS1_3repE0EEENS1_47radix_sort_onesweep_sort_config_static_selectorELNS0_4arch9wavefront6targetE0EEEvSG_.has_recursion, 0
	.set _ZN7rocprim17ROCPRIM_400000_NS6detail17trampoline_kernelINS0_14default_configENS1_35radix_sort_onesweep_config_selectorIsNS0_10empty_typeEEEZZNS1_29radix_sort_onesweep_iterationIS3_Lb0EPKsPsPS5_SB_mNS0_19identity_decomposerENS1_16block_id_wrapperIjLb0EEEEE10hipError_tT1_PNSt15iterator_traitsISG_E10value_typeET2_T3_PNSH_ISM_E10value_typeET4_T5_PSR_SS_PNS1_23onesweep_lookback_stateEbbT6_jjT7_P12ihipStream_tbENKUlT_T0_SG_SL_E_clIS9_SA_SB_SB_EEDaSZ_S10_SG_SL_EUlSZ_E_NS1_11comp_targetILNS1_3genE2ELNS1_11target_archE906ELNS1_3gpuE6ELNS1_3repE0EEENS1_47radix_sort_onesweep_sort_config_static_selectorELNS0_4arch9wavefront6targetE0EEEvSG_.has_indirect_call, 0
	.section	.AMDGPU.csdata,"",@progbits
; Kernel info:
; codeLenInByte = 0
; TotalNumSgprs: 0
; NumVgprs: 0
; ScratchSize: 0
; MemoryBound: 0
; FloatMode: 240
; IeeeMode: 1
; LDSByteSize: 0 bytes/workgroup (compile time only)
; SGPRBlocks: 0
; VGPRBlocks: 0
; NumSGPRsForWavesPerEU: 1
; NumVGPRsForWavesPerEU: 1
; NamedBarCnt: 0
; Occupancy: 16
; WaveLimiterHint : 0
; COMPUTE_PGM_RSRC2:SCRATCH_EN: 0
; COMPUTE_PGM_RSRC2:USER_SGPR: 2
; COMPUTE_PGM_RSRC2:TRAP_HANDLER: 0
; COMPUTE_PGM_RSRC2:TGID_X_EN: 1
; COMPUTE_PGM_RSRC2:TGID_Y_EN: 0
; COMPUTE_PGM_RSRC2:TGID_Z_EN: 0
; COMPUTE_PGM_RSRC2:TIDIG_COMP_CNT: 0
	.section	.text._ZN7rocprim17ROCPRIM_400000_NS6detail17trampoline_kernelINS0_14default_configENS1_35radix_sort_onesweep_config_selectorIsNS0_10empty_typeEEEZZNS1_29radix_sort_onesweep_iterationIS3_Lb0EPKsPsPS5_SB_mNS0_19identity_decomposerENS1_16block_id_wrapperIjLb0EEEEE10hipError_tT1_PNSt15iterator_traitsISG_E10value_typeET2_T3_PNSH_ISM_E10value_typeET4_T5_PSR_SS_PNS1_23onesweep_lookback_stateEbbT6_jjT7_P12ihipStream_tbENKUlT_T0_SG_SL_E_clIS9_SA_SB_SB_EEDaSZ_S10_SG_SL_EUlSZ_E_NS1_11comp_targetILNS1_3genE4ELNS1_11target_archE910ELNS1_3gpuE8ELNS1_3repE0EEENS1_47radix_sort_onesweep_sort_config_static_selectorELNS0_4arch9wavefront6targetE0EEEvSG_,"axG",@progbits,_ZN7rocprim17ROCPRIM_400000_NS6detail17trampoline_kernelINS0_14default_configENS1_35radix_sort_onesweep_config_selectorIsNS0_10empty_typeEEEZZNS1_29radix_sort_onesweep_iterationIS3_Lb0EPKsPsPS5_SB_mNS0_19identity_decomposerENS1_16block_id_wrapperIjLb0EEEEE10hipError_tT1_PNSt15iterator_traitsISG_E10value_typeET2_T3_PNSH_ISM_E10value_typeET4_T5_PSR_SS_PNS1_23onesweep_lookback_stateEbbT6_jjT7_P12ihipStream_tbENKUlT_T0_SG_SL_E_clIS9_SA_SB_SB_EEDaSZ_S10_SG_SL_EUlSZ_E_NS1_11comp_targetILNS1_3genE4ELNS1_11target_archE910ELNS1_3gpuE8ELNS1_3repE0EEENS1_47radix_sort_onesweep_sort_config_static_selectorELNS0_4arch9wavefront6targetE0EEEvSG_,comdat
	.protected	_ZN7rocprim17ROCPRIM_400000_NS6detail17trampoline_kernelINS0_14default_configENS1_35radix_sort_onesweep_config_selectorIsNS0_10empty_typeEEEZZNS1_29radix_sort_onesweep_iterationIS3_Lb0EPKsPsPS5_SB_mNS0_19identity_decomposerENS1_16block_id_wrapperIjLb0EEEEE10hipError_tT1_PNSt15iterator_traitsISG_E10value_typeET2_T3_PNSH_ISM_E10value_typeET4_T5_PSR_SS_PNS1_23onesweep_lookback_stateEbbT6_jjT7_P12ihipStream_tbENKUlT_T0_SG_SL_E_clIS9_SA_SB_SB_EEDaSZ_S10_SG_SL_EUlSZ_E_NS1_11comp_targetILNS1_3genE4ELNS1_11target_archE910ELNS1_3gpuE8ELNS1_3repE0EEENS1_47radix_sort_onesweep_sort_config_static_selectorELNS0_4arch9wavefront6targetE0EEEvSG_ ; -- Begin function _ZN7rocprim17ROCPRIM_400000_NS6detail17trampoline_kernelINS0_14default_configENS1_35radix_sort_onesweep_config_selectorIsNS0_10empty_typeEEEZZNS1_29radix_sort_onesweep_iterationIS3_Lb0EPKsPsPS5_SB_mNS0_19identity_decomposerENS1_16block_id_wrapperIjLb0EEEEE10hipError_tT1_PNSt15iterator_traitsISG_E10value_typeET2_T3_PNSH_ISM_E10value_typeET4_T5_PSR_SS_PNS1_23onesweep_lookback_stateEbbT6_jjT7_P12ihipStream_tbENKUlT_T0_SG_SL_E_clIS9_SA_SB_SB_EEDaSZ_S10_SG_SL_EUlSZ_E_NS1_11comp_targetILNS1_3genE4ELNS1_11target_archE910ELNS1_3gpuE8ELNS1_3repE0EEENS1_47radix_sort_onesweep_sort_config_static_selectorELNS0_4arch9wavefront6targetE0EEEvSG_
	.globl	_ZN7rocprim17ROCPRIM_400000_NS6detail17trampoline_kernelINS0_14default_configENS1_35radix_sort_onesweep_config_selectorIsNS0_10empty_typeEEEZZNS1_29radix_sort_onesweep_iterationIS3_Lb0EPKsPsPS5_SB_mNS0_19identity_decomposerENS1_16block_id_wrapperIjLb0EEEEE10hipError_tT1_PNSt15iterator_traitsISG_E10value_typeET2_T3_PNSH_ISM_E10value_typeET4_T5_PSR_SS_PNS1_23onesweep_lookback_stateEbbT6_jjT7_P12ihipStream_tbENKUlT_T0_SG_SL_E_clIS9_SA_SB_SB_EEDaSZ_S10_SG_SL_EUlSZ_E_NS1_11comp_targetILNS1_3genE4ELNS1_11target_archE910ELNS1_3gpuE8ELNS1_3repE0EEENS1_47radix_sort_onesweep_sort_config_static_selectorELNS0_4arch9wavefront6targetE0EEEvSG_
	.p2align	8
	.type	_ZN7rocprim17ROCPRIM_400000_NS6detail17trampoline_kernelINS0_14default_configENS1_35radix_sort_onesweep_config_selectorIsNS0_10empty_typeEEEZZNS1_29radix_sort_onesweep_iterationIS3_Lb0EPKsPsPS5_SB_mNS0_19identity_decomposerENS1_16block_id_wrapperIjLb0EEEEE10hipError_tT1_PNSt15iterator_traitsISG_E10value_typeET2_T3_PNSH_ISM_E10value_typeET4_T5_PSR_SS_PNS1_23onesweep_lookback_stateEbbT6_jjT7_P12ihipStream_tbENKUlT_T0_SG_SL_E_clIS9_SA_SB_SB_EEDaSZ_S10_SG_SL_EUlSZ_E_NS1_11comp_targetILNS1_3genE4ELNS1_11target_archE910ELNS1_3gpuE8ELNS1_3repE0EEENS1_47radix_sort_onesweep_sort_config_static_selectorELNS0_4arch9wavefront6targetE0EEEvSG_,@function
_ZN7rocprim17ROCPRIM_400000_NS6detail17trampoline_kernelINS0_14default_configENS1_35radix_sort_onesweep_config_selectorIsNS0_10empty_typeEEEZZNS1_29radix_sort_onesweep_iterationIS3_Lb0EPKsPsPS5_SB_mNS0_19identity_decomposerENS1_16block_id_wrapperIjLb0EEEEE10hipError_tT1_PNSt15iterator_traitsISG_E10value_typeET2_T3_PNSH_ISM_E10value_typeET4_T5_PSR_SS_PNS1_23onesweep_lookback_stateEbbT6_jjT7_P12ihipStream_tbENKUlT_T0_SG_SL_E_clIS9_SA_SB_SB_EEDaSZ_S10_SG_SL_EUlSZ_E_NS1_11comp_targetILNS1_3genE4ELNS1_11target_archE910ELNS1_3gpuE8ELNS1_3repE0EEENS1_47radix_sort_onesweep_sort_config_static_selectorELNS0_4arch9wavefront6targetE0EEEvSG_: ; @_ZN7rocprim17ROCPRIM_400000_NS6detail17trampoline_kernelINS0_14default_configENS1_35radix_sort_onesweep_config_selectorIsNS0_10empty_typeEEEZZNS1_29radix_sort_onesweep_iterationIS3_Lb0EPKsPsPS5_SB_mNS0_19identity_decomposerENS1_16block_id_wrapperIjLb0EEEEE10hipError_tT1_PNSt15iterator_traitsISG_E10value_typeET2_T3_PNSH_ISM_E10value_typeET4_T5_PSR_SS_PNS1_23onesweep_lookback_stateEbbT6_jjT7_P12ihipStream_tbENKUlT_T0_SG_SL_E_clIS9_SA_SB_SB_EEDaSZ_S10_SG_SL_EUlSZ_E_NS1_11comp_targetILNS1_3genE4ELNS1_11target_archE910ELNS1_3gpuE8ELNS1_3repE0EEENS1_47radix_sort_onesweep_sort_config_static_selectorELNS0_4arch9wavefront6targetE0EEEvSG_
; %bb.0:
	.section	.rodata,"a",@progbits
	.p2align	6, 0x0
	.amdhsa_kernel _ZN7rocprim17ROCPRIM_400000_NS6detail17trampoline_kernelINS0_14default_configENS1_35radix_sort_onesweep_config_selectorIsNS0_10empty_typeEEEZZNS1_29radix_sort_onesweep_iterationIS3_Lb0EPKsPsPS5_SB_mNS0_19identity_decomposerENS1_16block_id_wrapperIjLb0EEEEE10hipError_tT1_PNSt15iterator_traitsISG_E10value_typeET2_T3_PNSH_ISM_E10value_typeET4_T5_PSR_SS_PNS1_23onesweep_lookback_stateEbbT6_jjT7_P12ihipStream_tbENKUlT_T0_SG_SL_E_clIS9_SA_SB_SB_EEDaSZ_S10_SG_SL_EUlSZ_E_NS1_11comp_targetILNS1_3genE4ELNS1_11target_archE910ELNS1_3gpuE8ELNS1_3repE0EEENS1_47radix_sort_onesweep_sort_config_static_selectorELNS0_4arch9wavefront6targetE0EEEvSG_
		.amdhsa_group_segment_fixed_size 0
		.amdhsa_private_segment_fixed_size 0
		.amdhsa_kernarg_size 88
		.amdhsa_user_sgpr_count 2
		.amdhsa_user_sgpr_dispatch_ptr 0
		.amdhsa_user_sgpr_queue_ptr 0
		.amdhsa_user_sgpr_kernarg_segment_ptr 1
		.amdhsa_user_sgpr_dispatch_id 0
		.amdhsa_user_sgpr_kernarg_preload_length 0
		.amdhsa_user_sgpr_kernarg_preload_offset 0
		.amdhsa_user_sgpr_private_segment_size 0
		.amdhsa_wavefront_size32 1
		.amdhsa_uses_dynamic_stack 0
		.amdhsa_enable_private_segment 0
		.amdhsa_system_sgpr_workgroup_id_x 1
		.amdhsa_system_sgpr_workgroup_id_y 0
		.amdhsa_system_sgpr_workgroup_id_z 0
		.amdhsa_system_sgpr_workgroup_info 0
		.amdhsa_system_vgpr_workitem_id 0
		.amdhsa_next_free_vgpr 1
		.amdhsa_next_free_sgpr 1
		.amdhsa_named_barrier_count 0
		.amdhsa_reserve_vcc 0
		.amdhsa_float_round_mode_32 0
		.amdhsa_float_round_mode_16_64 0
		.amdhsa_float_denorm_mode_32 3
		.amdhsa_float_denorm_mode_16_64 3
		.amdhsa_fp16_overflow 0
		.amdhsa_memory_ordered 1
		.amdhsa_forward_progress 1
		.amdhsa_inst_pref_size 0
		.amdhsa_round_robin_scheduling 0
		.amdhsa_exception_fp_ieee_invalid_op 0
		.amdhsa_exception_fp_denorm_src 0
		.amdhsa_exception_fp_ieee_div_zero 0
		.amdhsa_exception_fp_ieee_overflow 0
		.amdhsa_exception_fp_ieee_underflow 0
		.amdhsa_exception_fp_ieee_inexact 0
		.amdhsa_exception_int_div_zero 0
	.end_amdhsa_kernel
	.section	.text._ZN7rocprim17ROCPRIM_400000_NS6detail17trampoline_kernelINS0_14default_configENS1_35radix_sort_onesweep_config_selectorIsNS0_10empty_typeEEEZZNS1_29radix_sort_onesweep_iterationIS3_Lb0EPKsPsPS5_SB_mNS0_19identity_decomposerENS1_16block_id_wrapperIjLb0EEEEE10hipError_tT1_PNSt15iterator_traitsISG_E10value_typeET2_T3_PNSH_ISM_E10value_typeET4_T5_PSR_SS_PNS1_23onesweep_lookback_stateEbbT6_jjT7_P12ihipStream_tbENKUlT_T0_SG_SL_E_clIS9_SA_SB_SB_EEDaSZ_S10_SG_SL_EUlSZ_E_NS1_11comp_targetILNS1_3genE4ELNS1_11target_archE910ELNS1_3gpuE8ELNS1_3repE0EEENS1_47radix_sort_onesweep_sort_config_static_selectorELNS0_4arch9wavefront6targetE0EEEvSG_,"axG",@progbits,_ZN7rocprim17ROCPRIM_400000_NS6detail17trampoline_kernelINS0_14default_configENS1_35radix_sort_onesweep_config_selectorIsNS0_10empty_typeEEEZZNS1_29radix_sort_onesweep_iterationIS3_Lb0EPKsPsPS5_SB_mNS0_19identity_decomposerENS1_16block_id_wrapperIjLb0EEEEE10hipError_tT1_PNSt15iterator_traitsISG_E10value_typeET2_T3_PNSH_ISM_E10value_typeET4_T5_PSR_SS_PNS1_23onesweep_lookback_stateEbbT6_jjT7_P12ihipStream_tbENKUlT_T0_SG_SL_E_clIS9_SA_SB_SB_EEDaSZ_S10_SG_SL_EUlSZ_E_NS1_11comp_targetILNS1_3genE4ELNS1_11target_archE910ELNS1_3gpuE8ELNS1_3repE0EEENS1_47radix_sort_onesweep_sort_config_static_selectorELNS0_4arch9wavefront6targetE0EEEvSG_,comdat
.Lfunc_end735:
	.size	_ZN7rocprim17ROCPRIM_400000_NS6detail17trampoline_kernelINS0_14default_configENS1_35radix_sort_onesweep_config_selectorIsNS0_10empty_typeEEEZZNS1_29radix_sort_onesweep_iterationIS3_Lb0EPKsPsPS5_SB_mNS0_19identity_decomposerENS1_16block_id_wrapperIjLb0EEEEE10hipError_tT1_PNSt15iterator_traitsISG_E10value_typeET2_T3_PNSH_ISM_E10value_typeET4_T5_PSR_SS_PNS1_23onesweep_lookback_stateEbbT6_jjT7_P12ihipStream_tbENKUlT_T0_SG_SL_E_clIS9_SA_SB_SB_EEDaSZ_S10_SG_SL_EUlSZ_E_NS1_11comp_targetILNS1_3genE4ELNS1_11target_archE910ELNS1_3gpuE8ELNS1_3repE0EEENS1_47radix_sort_onesweep_sort_config_static_selectorELNS0_4arch9wavefront6targetE0EEEvSG_, .Lfunc_end735-_ZN7rocprim17ROCPRIM_400000_NS6detail17trampoline_kernelINS0_14default_configENS1_35radix_sort_onesweep_config_selectorIsNS0_10empty_typeEEEZZNS1_29radix_sort_onesweep_iterationIS3_Lb0EPKsPsPS5_SB_mNS0_19identity_decomposerENS1_16block_id_wrapperIjLb0EEEEE10hipError_tT1_PNSt15iterator_traitsISG_E10value_typeET2_T3_PNSH_ISM_E10value_typeET4_T5_PSR_SS_PNS1_23onesweep_lookback_stateEbbT6_jjT7_P12ihipStream_tbENKUlT_T0_SG_SL_E_clIS9_SA_SB_SB_EEDaSZ_S10_SG_SL_EUlSZ_E_NS1_11comp_targetILNS1_3genE4ELNS1_11target_archE910ELNS1_3gpuE8ELNS1_3repE0EEENS1_47radix_sort_onesweep_sort_config_static_selectorELNS0_4arch9wavefront6targetE0EEEvSG_
                                        ; -- End function
	.set _ZN7rocprim17ROCPRIM_400000_NS6detail17trampoline_kernelINS0_14default_configENS1_35radix_sort_onesweep_config_selectorIsNS0_10empty_typeEEEZZNS1_29radix_sort_onesweep_iterationIS3_Lb0EPKsPsPS5_SB_mNS0_19identity_decomposerENS1_16block_id_wrapperIjLb0EEEEE10hipError_tT1_PNSt15iterator_traitsISG_E10value_typeET2_T3_PNSH_ISM_E10value_typeET4_T5_PSR_SS_PNS1_23onesweep_lookback_stateEbbT6_jjT7_P12ihipStream_tbENKUlT_T0_SG_SL_E_clIS9_SA_SB_SB_EEDaSZ_S10_SG_SL_EUlSZ_E_NS1_11comp_targetILNS1_3genE4ELNS1_11target_archE910ELNS1_3gpuE8ELNS1_3repE0EEENS1_47radix_sort_onesweep_sort_config_static_selectorELNS0_4arch9wavefront6targetE0EEEvSG_.num_vgpr, 0
	.set _ZN7rocprim17ROCPRIM_400000_NS6detail17trampoline_kernelINS0_14default_configENS1_35radix_sort_onesweep_config_selectorIsNS0_10empty_typeEEEZZNS1_29radix_sort_onesweep_iterationIS3_Lb0EPKsPsPS5_SB_mNS0_19identity_decomposerENS1_16block_id_wrapperIjLb0EEEEE10hipError_tT1_PNSt15iterator_traitsISG_E10value_typeET2_T3_PNSH_ISM_E10value_typeET4_T5_PSR_SS_PNS1_23onesweep_lookback_stateEbbT6_jjT7_P12ihipStream_tbENKUlT_T0_SG_SL_E_clIS9_SA_SB_SB_EEDaSZ_S10_SG_SL_EUlSZ_E_NS1_11comp_targetILNS1_3genE4ELNS1_11target_archE910ELNS1_3gpuE8ELNS1_3repE0EEENS1_47radix_sort_onesweep_sort_config_static_selectorELNS0_4arch9wavefront6targetE0EEEvSG_.num_agpr, 0
	.set _ZN7rocprim17ROCPRIM_400000_NS6detail17trampoline_kernelINS0_14default_configENS1_35radix_sort_onesweep_config_selectorIsNS0_10empty_typeEEEZZNS1_29radix_sort_onesweep_iterationIS3_Lb0EPKsPsPS5_SB_mNS0_19identity_decomposerENS1_16block_id_wrapperIjLb0EEEEE10hipError_tT1_PNSt15iterator_traitsISG_E10value_typeET2_T3_PNSH_ISM_E10value_typeET4_T5_PSR_SS_PNS1_23onesweep_lookback_stateEbbT6_jjT7_P12ihipStream_tbENKUlT_T0_SG_SL_E_clIS9_SA_SB_SB_EEDaSZ_S10_SG_SL_EUlSZ_E_NS1_11comp_targetILNS1_3genE4ELNS1_11target_archE910ELNS1_3gpuE8ELNS1_3repE0EEENS1_47radix_sort_onesweep_sort_config_static_selectorELNS0_4arch9wavefront6targetE0EEEvSG_.numbered_sgpr, 0
	.set _ZN7rocprim17ROCPRIM_400000_NS6detail17trampoline_kernelINS0_14default_configENS1_35radix_sort_onesweep_config_selectorIsNS0_10empty_typeEEEZZNS1_29radix_sort_onesweep_iterationIS3_Lb0EPKsPsPS5_SB_mNS0_19identity_decomposerENS1_16block_id_wrapperIjLb0EEEEE10hipError_tT1_PNSt15iterator_traitsISG_E10value_typeET2_T3_PNSH_ISM_E10value_typeET4_T5_PSR_SS_PNS1_23onesweep_lookback_stateEbbT6_jjT7_P12ihipStream_tbENKUlT_T0_SG_SL_E_clIS9_SA_SB_SB_EEDaSZ_S10_SG_SL_EUlSZ_E_NS1_11comp_targetILNS1_3genE4ELNS1_11target_archE910ELNS1_3gpuE8ELNS1_3repE0EEENS1_47radix_sort_onesweep_sort_config_static_selectorELNS0_4arch9wavefront6targetE0EEEvSG_.num_named_barrier, 0
	.set _ZN7rocprim17ROCPRIM_400000_NS6detail17trampoline_kernelINS0_14default_configENS1_35radix_sort_onesweep_config_selectorIsNS0_10empty_typeEEEZZNS1_29radix_sort_onesweep_iterationIS3_Lb0EPKsPsPS5_SB_mNS0_19identity_decomposerENS1_16block_id_wrapperIjLb0EEEEE10hipError_tT1_PNSt15iterator_traitsISG_E10value_typeET2_T3_PNSH_ISM_E10value_typeET4_T5_PSR_SS_PNS1_23onesweep_lookback_stateEbbT6_jjT7_P12ihipStream_tbENKUlT_T0_SG_SL_E_clIS9_SA_SB_SB_EEDaSZ_S10_SG_SL_EUlSZ_E_NS1_11comp_targetILNS1_3genE4ELNS1_11target_archE910ELNS1_3gpuE8ELNS1_3repE0EEENS1_47radix_sort_onesweep_sort_config_static_selectorELNS0_4arch9wavefront6targetE0EEEvSG_.private_seg_size, 0
	.set _ZN7rocprim17ROCPRIM_400000_NS6detail17trampoline_kernelINS0_14default_configENS1_35radix_sort_onesweep_config_selectorIsNS0_10empty_typeEEEZZNS1_29radix_sort_onesweep_iterationIS3_Lb0EPKsPsPS5_SB_mNS0_19identity_decomposerENS1_16block_id_wrapperIjLb0EEEEE10hipError_tT1_PNSt15iterator_traitsISG_E10value_typeET2_T3_PNSH_ISM_E10value_typeET4_T5_PSR_SS_PNS1_23onesweep_lookback_stateEbbT6_jjT7_P12ihipStream_tbENKUlT_T0_SG_SL_E_clIS9_SA_SB_SB_EEDaSZ_S10_SG_SL_EUlSZ_E_NS1_11comp_targetILNS1_3genE4ELNS1_11target_archE910ELNS1_3gpuE8ELNS1_3repE0EEENS1_47radix_sort_onesweep_sort_config_static_selectorELNS0_4arch9wavefront6targetE0EEEvSG_.uses_vcc, 0
	.set _ZN7rocprim17ROCPRIM_400000_NS6detail17trampoline_kernelINS0_14default_configENS1_35radix_sort_onesweep_config_selectorIsNS0_10empty_typeEEEZZNS1_29radix_sort_onesweep_iterationIS3_Lb0EPKsPsPS5_SB_mNS0_19identity_decomposerENS1_16block_id_wrapperIjLb0EEEEE10hipError_tT1_PNSt15iterator_traitsISG_E10value_typeET2_T3_PNSH_ISM_E10value_typeET4_T5_PSR_SS_PNS1_23onesweep_lookback_stateEbbT6_jjT7_P12ihipStream_tbENKUlT_T0_SG_SL_E_clIS9_SA_SB_SB_EEDaSZ_S10_SG_SL_EUlSZ_E_NS1_11comp_targetILNS1_3genE4ELNS1_11target_archE910ELNS1_3gpuE8ELNS1_3repE0EEENS1_47radix_sort_onesweep_sort_config_static_selectorELNS0_4arch9wavefront6targetE0EEEvSG_.uses_flat_scratch, 0
	.set _ZN7rocprim17ROCPRIM_400000_NS6detail17trampoline_kernelINS0_14default_configENS1_35radix_sort_onesweep_config_selectorIsNS0_10empty_typeEEEZZNS1_29radix_sort_onesweep_iterationIS3_Lb0EPKsPsPS5_SB_mNS0_19identity_decomposerENS1_16block_id_wrapperIjLb0EEEEE10hipError_tT1_PNSt15iterator_traitsISG_E10value_typeET2_T3_PNSH_ISM_E10value_typeET4_T5_PSR_SS_PNS1_23onesweep_lookback_stateEbbT6_jjT7_P12ihipStream_tbENKUlT_T0_SG_SL_E_clIS9_SA_SB_SB_EEDaSZ_S10_SG_SL_EUlSZ_E_NS1_11comp_targetILNS1_3genE4ELNS1_11target_archE910ELNS1_3gpuE8ELNS1_3repE0EEENS1_47radix_sort_onesweep_sort_config_static_selectorELNS0_4arch9wavefront6targetE0EEEvSG_.has_dyn_sized_stack, 0
	.set _ZN7rocprim17ROCPRIM_400000_NS6detail17trampoline_kernelINS0_14default_configENS1_35radix_sort_onesweep_config_selectorIsNS0_10empty_typeEEEZZNS1_29radix_sort_onesweep_iterationIS3_Lb0EPKsPsPS5_SB_mNS0_19identity_decomposerENS1_16block_id_wrapperIjLb0EEEEE10hipError_tT1_PNSt15iterator_traitsISG_E10value_typeET2_T3_PNSH_ISM_E10value_typeET4_T5_PSR_SS_PNS1_23onesweep_lookback_stateEbbT6_jjT7_P12ihipStream_tbENKUlT_T0_SG_SL_E_clIS9_SA_SB_SB_EEDaSZ_S10_SG_SL_EUlSZ_E_NS1_11comp_targetILNS1_3genE4ELNS1_11target_archE910ELNS1_3gpuE8ELNS1_3repE0EEENS1_47radix_sort_onesweep_sort_config_static_selectorELNS0_4arch9wavefront6targetE0EEEvSG_.has_recursion, 0
	.set _ZN7rocprim17ROCPRIM_400000_NS6detail17trampoline_kernelINS0_14default_configENS1_35radix_sort_onesweep_config_selectorIsNS0_10empty_typeEEEZZNS1_29radix_sort_onesweep_iterationIS3_Lb0EPKsPsPS5_SB_mNS0_19identity_decomposerENS1_16block_id_wrapperIjLb0EEEEE10hipError_tT1_PNSt15iterator_traitsISG_E10value_typeET2_T3_PNSH_ISM_E10value_typeET4_T5_PSR_SS_PNS1_23onesweep_lookback_stateEbbT6_jjT7_P12ihipStream_tbENKUlT_T0_SG_SL_E_clIS9_SA_SB_SB_EEDaSZ_S10_SG_SL_EUlSZ_E_NS1_11comp_targetILNS1_3genE4ELNS1_11target_archE910ELNS1_3gpuE8ELNS1_3repE0EEENS1_47radix_sort_onesweep_sort_config_static_selectorELNS0_4arch9wavefront6targetE0EEEvSG_.has_indirect_call, 0
	.section	.AMDGPU.csdata,"",@progbits
; Kernel info:
; codeLenInByte = 0
; TotalNumSgprs: 0
; NumVgprs: 0
; ScratchSize: 0
; MemoryBound: 0
; FloatMode: 240
; IeeeMode: 1
; LDSByteSize: 0 bytes/workgroup (compile time only)
; SGPRBlocks: 0
; VGPRBlocks: 0
; NumSGPRsForWavesPerEU: 1
; NumVGPRsForWavesPerEU: 1
; NamedBarCnt: 0
; Occupancy: 16
; WaveLimiterHint : 0
; COMPUTE_PGM_RSRC2:SCRATCH_EN: 0
; COMPUTE_PGM_RSRC2:USER_SGPR: 2
; COMPUTE_PGM_RSRC2:TRAP_HANDLER: 0
; COMPUTE_PGM_RSRC2:TGID_X_EN: 1
; COMPUTE_PGM_RSRC2:TGID_Y_EN: 0
; COMPUTE_PGM_RSRC2:TGID_Z_EN: 0
; COMPUTE_PGM_RSRC2:TIDIG_COMP_CNT: 0
	.section	.text._ZN7rocprim17ROCPRIM_400000_NS6detail17trampoline_kernelINS0_14default_configENS1_35radix_sort_onesweep_config_selectorIsNS0_10empty_typeEEEZZNS1_29radix_sort_onesweep_iterationIS3_Lb0EPKsPsPS5_SB_mNS0_19identity_decomposerENS1_16block_id_wrapperIjLb0EEEEE10hipError_tT1_PNSt15iterator_traitsISG_E10value_typeET2_T3_PNSH_ISM_E10value_typeET4_T5_PSR_SS_PNS1_23onesweep_lookback_stateEbbT6_jjT7_P12ihipStream_tbENKUlT_T0_SG_SL_E_clIS9_SA_SB_SB_EEDaSZ_S10_SG_SL_EUlSZ_E_NS1_11comp_targetILNS1_3genE3ELNS1_11target_archE908ELNS1_3gpuE7ELNS1_3repE0EEENS1_47radix_sort_onesweep_sort_config_static_selectorELNS0_4arch9wavefront6targetE0EEEvSG_,"axG",@progbits,_ZN7rocprim17ROCPRIM_400000_NS6detail17trampoline_kernelINS0_14default_configENS1_35radix_sort_onesweep_config_selectorIsNS0_10empty_typeEEEZZNS1_29radix_sort_onesweep_iterationIS3_Lb0EPKsPsPS5_SB_mNS0_19identity_decomposerENS1_16block_id_wrapperIjLb0EEEEE10hipError_tT1_PNSt15iterator_traitsISG_E10value_typeET2_T3_PNSH_ISM_E10value_typeET4_T5_PSR_SS_PNS1_23onesweep_lookback_stateEbbT6_jjT7_P12ihipStream_tbENKUlT_T0_SG_SL_E_clIS9_SA_SB_SB_EEDaSZ_S10_SG_SL_EUlSZ_E_NS1_11comp_targetILNS1_3genE3ELNS1_11target_archE908ELNS1_3gpuE7ELNS1_3repE0EEENS1_47radix_sort_onesweep_sort_config_static_selectorELNS0_4arch9wavefront6targetE0EEEvSG_,comdat
	.protected	_ZN7rocprim17ROCPRIM_400000_NS6detail17trampoline_kernelINS0_14default_configENS1_35radix_sort_onesweep_config_selectorIsNS0_10empty_typeEEEZZNS1_29radix_sort_onesweep_iterationIS3_Lb0EPKsPsPS5_SB_mNS0_19identity_decomposerENS1_16block_id_wrapperIjLb0EEEEE10hipError_tT1_PNSt15iterator_traitsISG_E10value_typeET2_T3_PNSH_ISM_E10value_typeET4_T5_PSR_SS_PNS1_23onesweep_lookback_stateEbbT6_jjT7_P12ihipStream_tbENKUlT_T0_SG_SL_E_clIS9_SA_SB_SB_EEDaSZ_S10_SG_SL_EUlSZ_E_NS1_11comp_targetILNS1_3genE3ELNS1_11target_archE908ELNS1_3gpuE7ELNS1_3repE0EEENS1_47radix_sort_onesweep_sort_config_static_selectorELNS0_4arch9wavefront6targetE0EEEvSG_ ; -- Begin function _ZN7rocprim17ROCPRIM_400000_NS6detail17trampoline_kernelINS0_14default_configENS1_35radix_sort_onesweep_config_selectorIsNS0_10empty_typeEEEZZNS1_29radix_sort_onesweep_iterationIS3_Lb0EPKsPsPS5_SB_mNS0_19identity_decomposerENS1_16block_id_wrapperIjLb0EEEEE10hipError_tT1_PNSt15iterator_traitsISG_E10value_typeET2_T3_PNSH_ISM_E10value_typeET4_T5_PSR_SS_PNS1_23onesweep_lookback_stateEbbT6_jjT7_P12ihipStream_tbENKUlT_T0_SG_SL_E_clIS9_SA_SB_SB_EEDaSZ_S10_SG_SL_EUlSZ_E_NS1_11comp_targetILNS1_3genE3ELNS1_11target_archE908ELNS1_3gpuE7ELNS1_3repE0EEENS1_47radix_sort_onesweep_sort_config_static_selectorELNS0_4arch9wavefront6targetE0EEEvSG_
	.globl	_ZN7rocprim17ROCPRIM_400000_NS6detail17trampoline_kernelINS0_14default_configENS1_35radix_sort_onesweep_config_selectorIsNS0_10empty_typeEEEZZNS1_29radix_sort_onesweep_iterationIS3_Lb0EPKsPsPS5_SB_mNS0_19identity_decomposerENS1_16block_id_wrapperIjLb0EEEEE10hipError_tT1_PNSt15iterator_traitsISG_E10value_typeET2_T3_PNSH_ISM_E10value_typeET4_T5_PSR_SS_PNS1_23onesweep_lookback_stateEbbT6_jjT7_P12ihipStream_tbENKUlT_T0_SG_SL_E_clIS9_SA_SB_SB_EEDaSZ_S10_SG_SL_EUlSZ_E_NS1_11comp_targetILNS1_3genE3ELNS1_11target_archE908ELNS1_3gpuE7ELNS1_3repE0EEENS1_47radix_sort_onesweep_sort_config_static_selectorELNS0_4arch9wavefront6targetE0EEEvSG_
	.p2align	8
	.type	_ZN7rocprim17ROCPRIM_400000_NS6detail17trampoline_kernelINS0_14default_configENS1_35radix_sort_onesweep_config_selectorIsNS0_10empty_typeEEEZZNS1_29radix_sort_onesweep_iterationIS3_Lb0EPKsPsPS5_SB_mNS0_19identity_decomposerENS1_16block_id_wrapperIjLb0EEEEE10hipError_tT1_PNSt15iterator_traitsISG_E10value_typeET2_T3_PNSH_ISM_E10value_typeET4_T5_PSR_SS_PNS1_23onesweep_lookback_stateEbbT6_jjT7_P12ihipStream_tbENKUlT_T0_SG_SL_E_clIS9_SA_SB_SB_EEDaSZ_S10_SG_SL_EUlSZ_E_NS1_11comp_targetILNS1_3genE3ELNS1_11target_archE908ELNS1_3gpuE7ELNS1_3repE0EEENS1_47radix_sort_onesweep_sort_config_static_selectorELNS0_4arch9wavefront6targetE0EEEvSG_,@function
_ZN7rocprim17ROCPRIM_400000_NS6detail17trampoline_kernelINS0_14default_configENS1_35radix_sort_onesweep_config_selectorIsNS0_10empty_typeEEEZZNS1_29radix_sort_onesweep_iterationIS3_Lb0EPKsPsPS5_SB_mNS0_19identity_decomposerENS1_16block_id_wrapperIjLb0EEEEE10hipError_tT1_PNSt15iterator_traitsISG_E10value_typeET2_T3_PNSH_ISM_E10value_typeET4_T5_PSR_SS_PNS1_23onesweep_lookback_stateEbbT6_jjT7_P12ihipStream_tbENKUlT_T0_SG_SL_E_clIS9_SA_SB_SB_EEDaSZ_S10_SG_SL_EUlSZ_E_NS1_11comp_targetILNS1_3genE3ELNS1_11target_archE908ELNS1_3gpuE7ELNS1_3repE0EEENS1_47radix_sort_onesweep_sort_config_static_selectorELNS0_4arch9wavefront6targetE0EEEvSG_: ; @_ZN7rocprim17ROCPRIM_400000_NS6detail17trampoline_kernelINS0_14default_configENS1_35radix_sort_onesweep_config_selectorIsNS0_10empty_typeEEEZZNS1_29radix_sort_onesweep_iterationIS3_Lb0EPKsPsPS5_SB_mNS0_19identity_decomposerENS1_16block_id_wrapperIjLb0EEEEE10hipError_tT1_PNSt15iterator_traitsISG_E10value_typeET2_T3_PNSH_ISM_E10value_typeET4_T5_PSR_SS_PNS1_23onesweep_lookback_stateEbbT6_jjT7_P12ihipStream_tbENKUlT_T0_SG_SL_E_clIS9_SA_SB_SB_EEDaSZ_S10_SG_SL_EUlSZ_E_NS1_11comp_targetILNS1_3genE3ELNS1_11target_archE908ELNS1_3gpuE7ELNS1_3repE0EEENS1_47radix_sort_onesweep_sort_config_static_selectorELNS0_4arch9wavefront6targetE0EEEvSG_
; %bb.0:
	.section	.rodata,"a",@progbits
	.p2align	6, 0x0
	.amdhsa_kernel _ZN7rocprim17ROCPRIM_400000_NS6detail17trampoline_kernelINS0_14default_configENS1_35radix_sort_onesweep_config_selectorIsNS0_10empty_typeEEEZZNS1_29radix_sort_onesweep_iterationIS3_Lb0EPKsPsPS5_SB_mNS0_19identity_decomposerENS1_16block_id_wrapperIjLb0EEEEE10hipError_tT1_PNSt15iterator_traitsISG_E10value_typeET2_T3_PNSH_ISM_E10value_typeET4_T5_PSR_SS_PNS1_23onesweep_lookback_stateEbbT6_jjT7_P12ihipStream_tbENKUlT_T0_SG_SL_E_clIS9_SA_SB_SB_EEDaSZ_S10_SG_SL_EUlSZ_E_NS1_11comp_targetILNS1_3genE3ELNS1_11target_archE908ELNS1_3gpuE7ELNS1_3repE0EEENS1_47radix_sort_onesweep_sort_config_static_selectorELNS0_4arch9wavefront6targetE0EEEvSG_
		.amdhsa_group_segment_fixed_size 0
		.amdhsa_private_segment_fixed_size 0
		.amdhsa_kernarg_size 88
		.amdhsa_user_sgpr_count 2
		.amdhsa_user_sgpr_dispatch_ptr 0
		.amdhsa_user_sgpr_queue_ptr 0
		.amdhsa_user_sgpr_kernarg_segment_ptr 1
		.amdhsa_user_sgpr_dispatch_id 0
		.amdhsa_user_sgpr_kernarg_preload_length 0
		.amdhsa_user_sgpr_kernarg_preload_offset 0
		.amdhsa_user_sgpr_private_segment_size 0
		.amdhsa_wavefront_size32 1
		.amdhsa_uses_dynamic_stack 0
		.amdhsa_enable_private_segment 0
		.amdhsa_system_sgpr_workgroup_id_x 1
		.amdhsa_system_sgpr_workgroup_id_y 0
		.amdhsa_system_sgpr_workgroup_id_z 0
		.amdhsa_system_sgpr_workgroup_info 0
		.amdhsa_system_vgpr_workitem_id 0
		.amdhsa_next_free_vgpr 1
		.amdhsa_next_free_sgpr 1
		.amdhsa_named_barrier_count 0
		.amdhsa_reserve_vcc 0
		.amdhsa_float_round_mode_32 0
		.amdhsa_float_round_mode_16_64 0
		.amdhsa_float_denorm_mode_32 3
		.amdhsa_float_denorm_mode_16_64 3
		.amdhsa_fp16_overflow 0
		.amdhsa_memory_ordered 1
		.amdhsa_forward_progress 1
		.amdhsa_inst_pref_size 0
		.amdhsa_round_robin_scheduling 0
		.amdhsa_exception_fp_ieee_invalid_op 0
		.amdhsa_exception_fp_denorm_src 0
		.amdhsa_exception_fp_ieee_div_zero 0
		.amdhsa_exception_fp_ieee_overflow 0
		.amdhsa_exception_fp_ieee_underflow 0
		.amdhsa_exception_fp_ieee_inexact 0
		.amdhsa_exception_int_div_zero 0
	.end_amdhsa_kernel
	.section	.text._ZN7rocprim17ROCPRIM_400000_NS6detail17trampoline_kernelINS0_14default_configENS1_35radix_sort_onesweep_config_selectorIsNS0_10empty_typeEEEZZNS1_29radix_sort_onesweep_iterationIS3_Lb0EPKsPsPS5_SB_mNS0_19identity_decomposerENS1_16block_id_wrapperIjLb0EEEEE10hipError_tT1_PNSt15iterator_traitsISG_E10value_typeET2_T3_PNSH_ISM_E10value_typeET4_T5_PSR_SS_PNS1_23onesweep_lookback_stateEbbT6_jjT7_P12ihipStream_tbENKUlT_T0_SG_SL_E_clIS9_SA_SB_SB_EEDaSZ_S10_SG_SL_EUlSZ_E_NS1_11comp_targetILNS1_3genE3ELNS1_11target_archE908ELNS1_3gpuE7ELNS1_3repE0EEENS1_47radix_sort_onesweep_sort_config_static_selectorELNS0_4arch9wavefront6targetE0EEEvSG_,"axG",@progbits,_ZN7rocprim17ROCPRIM_400000_NS6detail17trampoline_kernelINS0_14default_configENS1_35radix_sort_onesweep_config_selectorIsNS0_10empty_typeEEEZZNS1_29radix_sort_onesweep_iterationIS3_Lb0EPKsPsPS5_SB_mNS0_19identity_decomposerENS1_16block_id_wrapperIjLb0EEEEE10hipError_tT1_PNSt15iterator_traitsISG_E10value_typeET2_T3_PNSH_ISM_E10value_typeET4_T5_PSR_SS_PNS1_23onesweep_lookback_stateEbbT6_jjT7_P12ihipStream_tbENKUlT_T0_SG_SL_E_clIS9_SA_SB_SB_EEDaSZ_S10_SG_SL_EUlSZ_E_NS1_11comp_targetILNS1_3genE3ELNS1_11target_archE908ELNS1_3gpuE7ELNS1_3repE0EEENS1_47radix_sort_onesweep_sort_config_static_selectorELNS0_4arch9wavefront6targetE0EEEvSG_,comdat
.Lfunc_end736:
	.size	_ZN7rocprim17ROCPRIM_400000_NS6detail17trampoline_kernelINS0_14default_configENS1_35radix_sort_onesweep_config_selectorIsNS0_10empty_typeEEEZZNS1_29radix_sort_onesweep_iterationIS3_Lb0EPKsPsPS5_SB_mNS0_19identity_decomposerENS1_16block_id_wrapperIjLb0EEEEE10hipError_tT1_PNSt15iterator_traitsISG_E10value_typeET2_T3_PNSH_ISM_E10value_typeET4_T5_PSR_SS_PNS1_23onesweep_lookback_stateEbbT6_jjT7_P12ihipStream_tbENKUlT_T0_SG_SL_E_clIS9_SA_SB_SB_EEDaSZ_S10_SG_SL_EUlSZ_E_NS1_11comp_targetILNS1_3genE3ELNS1_11target_archE908ELNS1_3gpuE7ELNS1_3repE0EEENS1_47radix_sort_onesweep_sort_config_static_selectorELNS0_4arch9wavefront6targetE0EEEvSG_, .Lfunc_end736-_ZN7rocprim17ROCPRIM_400000_NS6detail17trampoline_kernelINS0_14default_configENS1_35radix_sort_onesweep_config_selectorIsNS0_10empty_typeEEEZZNS1_29radix_sort_onesweep_iterationIS3_Lb0EPKsPsPS5_SB_mNS0_19identity_decomposerENS1_16block_id_wrapperIjLb0EEEEE10hipError_tT1_PNSt15iterator_traitsISG_E10value_typeET2_T3_PNSH_ISM_E10value_typeET4_T5_PSR_SS_PNS1_23onesweep_lookback_stateEbbT6_jjT7_P12ihipStream_tbENKUlT_T0_SG_SL_E_clIS9_SA_SB_SB_EEDaSZ_S10_SG_SL_EUlSZ_E_NS1_11comp_targetILNS1_3genE3ELNS1_11target_archE908ELNS1_3gpuE7ELNS1_3repE0EEENS1_47radix_sort_onesweep_sort_config_static_selectorELNS0_4arch9wavefront6targetE0EEEvSG_
                                        ; -- End function
	.set _ZN7rocprim17ROCPRIM_400000_NS6detail17trampoline_kernelINS0_14default_configENS1_35radix_sort_onesweep_config_selectorIsNS0_10empty_typeEEEZZNS1_29radix_sort_onesweep_iterationIS3_Lb0EPKsPsPS5_SB_mNS0_19identity_decomposerENS1_16block_id_wrapperIjLb0EEEEE10hipError_tT1_PNSt15iterator_traitsISG_E10value_typeET2_T3_PNSH_ISM_E10value_typeET4_T5_PSR_SS_PNS1_23onesweep_lookback_stateEbbT6_jjT7_P12ihipStream_tbENKUlT_T0_SG_SL_E_clIS9_SA_SB_SB_EEDaSZ_S10_SG_SL_EUlSZ_E_NS1_11comp_targetILNS1_3genE3ELNS1_11target_archE908ELNS1_3gpuE7ELNS1_3repE0EEENS1_47radix_sort_onesweep_sort_config_static_selectorELNS0_4arch9wavefront6targetE0EEEvSG_.num_vgpr, 0
	.set _ZN7rocprim17ROCPRIM_400000_NS6detail17trampoline_kernelINS0_14default_configENS1_35radix_sort_onesweep_config_selectorIsNS0_10empty_typeEEEZZNS1_29radix_sort_onesweep_iterationIS3_Lb0EPKsPsPS5_SB_mNS0_19identity_decomposerENS1_16block_id_wrapperIjLb0EEEEE10hipError_tT1_PNSt15iterator_traitsISG_E10value_typeET2_T3_PNSH_ISM_E10value_typeET4_T5_PSR_SS_PNS1_23onesweep_lookback_stateEbbT6_jjT7_P12ihipStream_tbENKUlT_T0_SG_SL_E_clIS9_SA_SB_SB_EEDaSZ_S10_SG_SL_EUlSZ_E_NS1_11comp_targetILNS1_3genE3ELNS1_11target_archE908ELNS1_3gpuE7ELNS1_3repE0EEENS1_47radix_sort_onesweep_sort_config_static_selectorELNS0_4arch9wavefront6targetE0EEEvSG_.num_agpr, 0
	.set _ZN7rocprim17ROCPRIM_400000_NS6detail17trampoline_kernelINS0_14default_configENS1_35radix_sort_onesweep_config_selectorIsNS0_10empty_typeEEEZZNS1_29radix_sort_onesweep_iterationIS3_Lb0EPKsPsPS5_SB_mNS0_19identity_decomposerENS1_16block_id_wrapperIjLb0EEEEE10hipError_tT1_PNSt15iterator_traitsISG_E10value_typeET2_T3_PNSH_ISM_E10value_typeET4_T5_PSR_SS_PNS1_23onesweep_lookback_stateEbbT6_jjT7_P12ihipStream_tbENKUlT_T0_SG_SL_E_clIS9_SA_SB_SB_EEDaSZ_S10_SG_SL_EUlSZ_E_NS1_11comp_targetILNS1_3genE3ELNS1_11target_archE908ELNS1_3gpuE7ELNS1_3repE0EEENS1_47radix_sort_onesweep_sort_config_static_selectorELNS0_4arch9wavefront6targetE0EEEvSG_.numbered_sgpr, 0
	.set _ZN7rocprim17ROCPRIM_400000_NS6detail17trampoline_kernelINS0_14default_configENS1_35radix_sort_onesweep_config_selectorIsNS0_10empty_typeEEEZZNS1_29radix_sort_onesweep_iterationIS3_Lb0EPKsPsPS5_SB_mNS0_19identity_decomposerENS1_16block_id_wrapperIjLb0EEEEE10hipError_tT1_PNSt15iterator_traitsISG_E10value_typeET2_T3_PNSH_ISM_E10value_typeET4_T5_PSR_SS_PNS1_23onesweep_lookback_stateEbbT6_jjT7_P12ihipStream_tbENKUlT_T0_SG_SL_E_clIS9_SA_SB_SB_EEDaSZ_S10_SG_SL_EUlSZ_E_NS1_11comp_targetILNS1_3genE3ELNS1_11target_archE908ELNS1_3gpuE7ELNS1_3repE0EEENS1_47radix_sort_onesweep_sort_config_static_selectorELNS0_4arch9wavefront6targetE0EEEvSG_.num_named_barrier, 0
	.set _ZN7rocprim17ROCPRIM_400000_NS6detail17trampoline_kernelINS0_14default_configENS1_35radix_sort_onesweep_config_selectorIsNS0_10empty_typeEEEZZNS1_29radix_sort_onesweep_iterationIS3_Lb0EPKsPsPS5_SB_mNS0_19identity_decomposerENS1_16block_id_wrapperIjLb0EEEEE10hipError_tT1_PNSt15iterator_traitsISG_E10value_typeET2_T3_PNSH_ISM_E10value_typeET4_T5_PSR_SS_PNS1_23onesweep_lookback_stateEbbT6_jjT7_P12ihipStream_tbENKUlT_T0_SG_SL_E_clIS9_SA_SB_SB_EEDaSZ_S10_SG_SL_EUlSZ_E_NS1_11comp_targetILNS1_3genE3ELNS1_11target_archE908ELNS1_3gpuE7ELNS1_3repE0EEENS1_47radix_sort_onesweep_sort_config_static_selectorELNS0_4arch9wavefront6targetE0EEEvSG_.private_seg_size, 0
	.set _ZN7rocprim17ROCPRIM_400000_NS6detail17trampoline_kernelINS0_14default_configENS1_35radix_sort_onesweep_config_selectorIsNS0_10empty_typeEEEZZNS1_29radix_sort_onesweep_iterationIS3_Lb0EPKsPsPS5_SB_mNS0_19identity_decomposerENS1_16block_id_wrapperIjLb0EEEEE10hipError_tT1_PNSt15iterator_traitsISG_E10value_typeET2_T3_PNSH_ISM_E10value_typeET4_T5_PSR_SS_PNS1_23onesweep_lookback_stateEbbT6_jjT7_P12ihipStream_tbENKUlT_T0_SG_SL_E_clIS9_SA_SB_SB_EEDaSZ_S10_SG_SL_EUlSZ_E_NS1_11comp_targetILNS1_3genE3ELNS1_11target_archE908ELNS1_3gpuE7ELNS1_3repE0EEENS1_47radix_sort_onesweep_sort_config_static_selectorELNS0_4arch9wavefront6targetE0EEEvSG_.uses_vcc, 0
	.set _ZN7rocprim17ROCPRIM_400000_NS6detail17trampoline_kernelINS0_14default_configENS1_35radix_sort_onesweep_config_selectorIsNS0_10empty_typeEEEZZNS1_29radix_sort_onesweep_iterationIS3_Lb0EPKsPsPS5_SB_mNS0_19identity_decomposerENS1_16block_id_wrapperIjLb0EEEEE10hipError_tT1_PNSt15iterator_traitsISG_E10value_typeET2_T3_PNSH_ISM_E10value_typeET4_T5_PSR_SS_PNS1_23onesweep_lookback_stateEbbT6_jjT7_P12ihipStream_tbENKUlT_T0_SG_SL_E_clIS9_SA_SB_SB_EEDaSZ_S10_SG_SL_EUlSZ_E_NS1_11comp_targetILNS1_3genE3ELNS1_11target_archE908ELNS1_3gpuE7ELNS1_3repE0EEENS1_47radix_sort_onesweep_sort_config_static_selectorELNS0_4arch9wavefront6targetE0EEEvSG_.uses_flat_scratch, 0
	.set _ZN7rocprim17ROCPRIM_400000_NS6detail17trampoline_kernelINS0_14default_configENS1_35radix_sort_onesweep_config_selectorIsNS0_10empty_typeEEEZZNS1_29radix_sort_onesweep_iterationIS3_Lb0EPKsPsPS5_SB_mNS0_19identity_decomposerENS1_16block_id_wrapperIjLb0EEEEE10hipError_tT1_PNSt15iterator_traitsISG_E10value_typeET2_T3_PNSH_ISM_E10value_typeET4_T5_PSR_SS_PNS1_23onesweep_lookback_stateEbbT6_jjT7_P12ihipStream_tbENKUlT_T0_SG_SL_E_clIS9_SA_SB_SB_EEDaSZ_S10_SG_SL_EUlSZ_E_NS1_11comp_targetILNS1_3genE3ELNS1_11target_archE908ELNS1_3gpuE7ELNS1_3repE0EEENS1_47radix_sort_onesweep_sort_config_static_selectorELNS0_4arch9wavefront6targetE0EEEvSG_.has_dyn_sized_stack, 0
	.set _ZN7rocprim17ROCPRIM_400000_NS6detail17trampoline_kernelINS0_14default_configENS1_35radix_sort_onesweep_config_selectorIsNS0_10empty_typeEEEZZNS1_29radix_sort_onesweep_iterationIS3_Lb0EPKsPsPS5_SB_mNS0_19identity_decomposerENS1_16block_id_wrapperIjLb0EEEEE10hipError_tT1_PNSt15iterator_traitsISG_E10value_typeET2_T3_PNSH_ISM_E10value_typeET4_T5_PSR_SS_PNS1_23onesweep_lookback_stateEbbT6_jjT7_P12ihipStream_tbENKUlT_T0_SG_SL_E_clIS9_SA_SB_SB_EEDaSZ_S10_SG_SL_EUlSZ_E_NS1_11comp_targetILNS1_3genE3ELNS1_11target_archE908ELNS1_3gpuE7ELNS1_3repE0EEENS1_47radix_sort_onesweep_sort_config_static_selectorELNS0_4arch9wavefront6targetE0EEEvSG_.has_recursion, 0
	.set _ZN7rocprim17ROCPRIM_400000_NS6detail17trampoline_kernelINS0_14default_configENS1_35radix_sort_onesweep_config_selectorIsNS0_10empty_typeEEEZZNS1_29radix_sort_onesweep_iterationIS3_Lb0EPKsPsPS5_SB_mNS0_19identity_decomposerENS1_16block_id_wrapperIjLb0EEEEE10hipError_tT1_PNSt15iterator_traitsISG_E10value_typeET2_T3_PNSH_ISM_E10value_typeET4_T5_PSR_SS_PNS1_23onesweep_lookback_stateEbbT6_jjT7_P12ihipStream_tbENKUlT_T0_SG_SL_E_clIS9_SA_SB_SB_EEDaSZ_S10_SG_SL_EUlSZ_E_NS1_11comp_targetILNS1_3genE3ELNS1_11target_archE908ELNS1_3gpuE7ELNS1_3repE0EEENS1_47radix_sort_onesweep_sort_config_static_selectorELNS0_4arch9wavefront6targetE0EEEvSG_.has_indirect_call, 0
	.section	.AMDGPU.csdata,"",@progbits
; Kernel info:
; codeLenInByte = 0
; TotalNumSgprs: 0
; NumVgprs: 0
; ScratchSize: 0
; MemoryBound: 0
; FloatMode: 240
; IeeeMode: 1
; LDSByteSize: 0 bytes/workgroup (compile time only)
; SGPRBlocks: 0
; VGPRBlocks: 0
; NumSGPRsForWavesPerEU: 1
; NumVGPRsForWavesPerEU: 1
; NamedBarCnt: 0
; Occupancy: 16
; WaveLimiterHint : 0
; COMPUTE_PGM_RSRC2:SCRATCH_EN: 0
; COMPUTE_PGM_RSRC2:USER_SGPR: 2
; COMPUTE_PGM_RSRC2:TRAP_HANDLER: 0
; COMPUTE_PGM_RSRC2:TGID_X_EN: 1
; COMPUTE_PGM_RSRC2:TGID_Y_EN: 0
; COMPUTE_PGM_RSRC2:TGID_Z_EN: 0
; COMPUTE_PGM_RSRC2:TIDIG_COMP_CNT: 0
	.section	.text._ZN7rocprim17ROCPRIM_400000_NS6detail17trampoline_kernelINS0_14default_configENS1_35radix_sort_onesweep_config_selectorIsNS0_10empty_typeEEEZZNS1_29radix_sort_onesweep_iterationIS3_Lb0EPKsPsPS5_SB_mNS0_19identity_decomposerENS1_16block_id_wrapperIjLb0EEEEE10hipError_tT1_PNSt15iterator_traitsISG_E10value_typeET2_T3_PNSH_ISM_E10value_typeET4_T5_PSR_SS_PNS1_23onesweep_lookback_stateEbbT6_jjT7_P12ihipStream_tbENKUlT_T0_SG_SL_E_clIS9_SA_SB_SB_EEDaSZ_S10_SG_SL_EUlSZ_E_NS1_11comp_targetILNS1_3genE10ELNS1_11target_archE1201ELNS1_3gpuE5ELNS1_3repE0EEENS1_47radix_sort_onesweep_sort_config_static_selectorELNS0_4arch9wavefront6targetE0EEEvSG_,"axG",@progbits,_ZN7rocprim17ROCPRIM_400000_NS6detail17trampoline_kernelINS0_14default_configENS1_35radix_sort_onesweep_config_selectorIsNS0_10empty_typeEEEZZNS1_29radix_sort_onesweep_iterationIS3_Lb0EPKsPsPS5_SB_mNS0_19identity_decomposerENS1_16block_id_wrapperIjLb0EEEEE10hipError_tT1_PNSt15iterator_traitsISG_E10value_typeET2_T3_PNSH_ISM_E10value_typeET4_T5_PSR_SS_PNS1_23onesweep_lookback_stateEbbT6_jjT7_P12ihipStream_tbENKUlT_T0_SG_SL_E_clIS9_SA_SB_SB_EEDaSZ_S10_SG_SL_EUlSZ_E_NS1_11comp_targetILNS1_3genE10ELNS1_11target_archE1201ELNS1_3gpuE5ELNS1_3repE0EEENS1_47radix_sort_onesweep_sort_config_static_selectorELNS0_4arch9wavefront6targetE0EEEvSG_,comdat
	.protected	_ZN7rocprim17ROCPRIM_400000_NS6detail17trampoline_kernelINS0_14default_configENS1_35radix_sort_onesweep_config_selectorIsNS0_10empty_typeEEEZZNS1_29radix_sort_onesweep_iterationIS3_Lb0EPKsPsPS5_SB_mNS0_19identity_decomposerENS1_16block_id_wrapperIjLb0EEEEE10hipError_tT1_PNSt15iterator_traitsISG_E10value_typeET2_T3_PNSH_ISM_E10value_typeET4_T5_PSR_SS_PNS1_23onesweep_lookback_stateEbbT6_jjT7_P12ihipStream_tbENKUlT_T0_SG_SL_E_clIS9_SA_SB_SB_EEDaSZ_S10_SG_SL_EUlSZ_E_NS1_11comp_targetILNS1_3genE10ELNS1_11target_archE1201ELNS1_3gpuE5ELNS1_3repE0EEENS1_47radix_sort_onesweep_sort_config_static_selectorELNS0_4arch9wavefront6targetE0EEEvSG_ ; -- Begin function _ZN7rocprim17ROCPRIM_400000_NS6detail17trampoline_kernelINS0_14default_configENS1_35radix_sort_onesweep_config_selectorIsNS0_10empty_typeEEEZZNS1_29radix_sort_onesweep_iterationIS3_Lb0EPKsPsPS5_SB_mNS0_19identity_decomposerENS1_16block_id_wrapperIjLb0EEEEE10hipError_tT1_PNSt15iterator_traitsISG_E10value_typeET2_T3_PNSH_ISM_E10value_typeET4_T5_PSR_SS_PNS1_23onesweep_lookback_stateEbbT6_jjT7_P12ihipStream_tbENKUlT_T0_SG_SL_E_clIS9_SA_SB_SB_EEDaSZ_S10_SG_SL_EUlSZ_E_NS1_11comp_targetILNS1_3genE10ELNS1_11target_archE1201ELNS1_3gpuE5ELNS1_3repE0EEENS1_47radix_sort_onesweep_sort_config_static_selectorELNS0_4arch9wavefront6targetE0EEEvSG_
	.globl	_ZN7rocprim17ROCPRIM_400000_NS6detail17trampoline_kernelINS0_14default_configENS1_35radix_sort_onesweep_config_selectorIsNS0_10empty_typeEEEZZNS1_29radix_sort_onesweep_iterationIS3_Lb0EPKsPsPS5_SB_mNS0_19identity_decomposerENS1_16block_id_wrapperIjLb0EEEEE10hipError_tT1_PNSt15iterator_traitsISG_E10value_typeET2_T3_PNSH_ISM_E10value_typeET4_T5_PSR_SS_PNS1_23onesweep_lookback_stateEbbT6_jjT7_P12ihipStream_tbENKUlT_T0_SG_SL_E_clIS9_SA_SB_SB_EEDaSZ_S10_SG_SL_EUlSZ_E_NS1_11comp_targetILNS1_3genE10ELNS1_11target_archE1201ELNS1_3gpuE5ELNS1_3repE0EEENS1_47radix_sort_onesweep_sort_config_static_selectorELNS0_4arch9wavefront6targetE0EEEvSG_
	.p2align	8
	.type	_ZN7rocprim17ROCPRIM_400000_NS6detail17trampoline_kernelINS0_14default_configENS1_35radix_sort_onesweep_config_selectorIsNS0_10empty_typeEEEZZNS1_29radix_sort_onesweep_iterationIS3_Lb0EPKsPsPS5_SB_mNS0_19identity_decomposerENS1_16block_id_wrapperIjLb0EEEEE10hipError_tT1_PNSt15iterator_traitsISG_E10value_typeET2_T3_PNSH_ISM_E10value_typeET4_T5_PSR_SS_PNS1_23onesweep_lookback_stateEbbT6_jjT7_P12ihipStream_tbENKUlT_T0_SG_SL_E_clIS9_SA_SB_SB_EEDaSZ_S10_SG_SL_EUlSZ_E_NS1_11comp_targetILNS1_3genE10ELNS1_11target_archE1201ELNS1_3gpuE5ELNS1_3repE0EEENS1_47radix_sort_onesweep_sort_config_static_selectorELNS0_4arch9wavefront6targetE0EEEvSG_,@function
_ZN7rocprim17ROCPRIM_400000_NS6detail17trampoline_kernelINS0_14default_configENS1_35radix_sort_onesweep_config_selectorIsNS0_10empty_typeEEEZZNS1_29radix_sort_onesweep_iterationIS3_Lb0EPKsPsPS5_SB_mNS0_19identity_decomposerENS1_16block_id_wrapperIjLb0EEEEE10hipError_tT1_PNSt15iterator_traitsISG_E10value_typeET2_T3_PNSH_ISM_E10value_typeET4_T5_PSR_SS_PNS1_23onesweep_lookback_stateEbbT6_jjT7_P12ihipStream_tbENKUlT_T0_SG_SL_E_clIS9_SA_SB_SB_EEDaSZ_S10_SG_SL_EUlSZ_E_NS1_11comp_targetILNS1_3genE10ELNS1_11target_archE1201ELNS1_3gpuE5ELNS1_3repE0EEENS1_47radix_sort_onesweep_sort_config_static_selectorELNS0_4arch9wavefront6targetE0EEEvSG_: ; @_ZN7rocprim17ROCPRIM_400000_NS6detail17trampoline_kernelINS0_14default_configENS1_35radix_sort_onesweep_config_selectorIsNS0_10empty_typeEEEZZNS1_29radix_sort_onesweep_iterationIS3_Lb0EPKsPsPS5_SB_mNS0_19identity_decomposerENS1_16block_id_wrapperIjLb0EEEEE10hipError_tT1_PNSt15iterator_traitsISG_E10value_typeET2_T3_PNSH_ISM_E10value_typeET4_T5_PSR_SS_PNS1_23onesweep_lookback_stateEbbT6_jjT7_P12ihipStream_tbENKUlT_T0_SG_SL_E_clIS9_SA_SB_SB_EEDaSZ_S10_SG_SL_EUlSZ_E_NS1_11comp_targetILNS1_3genE10ELNS1_11target_archE1201ELNS1_3gpuE5ELNS1_3repE0EEENS1_47radix_sort_onesweep_sort_config_static_selectorELNS0_4arch9wavefront6targetE0EEEvSG_
; %bb.0:
	.section	.rodata,"a",@progbits
	.p2align	6, 0x0
	.amdhsa_kernel _ZN7rocprim17ROCPRIM_400000_NS6detail17trampoline_kernelINS0_14default_configENS1_35radix_sort_onesweep_config_selectorIsNS0_10empty_typeEEEZZNS1_29radix_sort_onesweep_iterationIS3_Lb0EPKsPsPS5_SB_mNS0_19identity_decomposerENS1_16block_id_wrapperIjLb0EEEEE10hipError_tT1_PNSt15iterator_traitsISG_E10value_typeET2_T3_PNSH_ISM_E10value_typeET4_T5_PSR_SS_PNS1_23onesweep_lookback_stateEbbT6_jjT7_P12ihipStream_tbENKUlT_T0_SG_SL_E_clIS9_SA_SB_SB_EEDaSZ_S10_SG_SL_EUlSZ_E_NS1_11comp_targetILNS1_3genE10ELNS1_11target_archE1201ELNS1_3gpuE5ELNS1_3repE0EEENS1_47radix_sort_onesweep_sort_config_static_selectorELNS0_4arch9wavefront6targetE0EEEvSG_
		.amdhsa_group_segment_fixed_size 0
		.amdhsa_private_segment_fixed_size 0
		.amdhsa_kernarg_size 88
		.amdhsa_user_sgpr_count 2
		.amdhsa_user_sgpr_dispatch_ptr 0
		.amdhsa_user_sgpr_queue_ptr 0
		.amdhsa_user_sgpr_kernarg_segment_ptr 1
		.amdhsa_user_sgpr_dispatch_id 0
		.amdhsa_user_sgpr_kernarg_preload_length 0
		.amdhsa_user_sgpr_kernarg_preload_offset 0
		.amdhsa_user_sgpr_private_segment_size 0
		.amdhsa_wavefront_size32 1
		.amdhsa_uses_dynamic_stack 0
		.amdhsa_enable_private_segment 0
		.amdhsa_system_sgpr_workgroup_id_x 1
		.amdhsa_system_sgpr_workgroup_id_y 0
		.amdhsa_system_sgpr_workgroup_id_z 0
		.amdhsa_system_sgpr_workgroup_info 0
		.amdhsa_system_vgpr_workitem_id 0
		.amdhsa_next_free_vgpr 1
		.amdhsa_next_free_sgpr 1
		.amdhsa_named_barrier_count 0
		.amdhsa_reserve_vcc 0
		.amdhsa_float_round_mode_32 0
		.amdhsa_float_round_mode_16_64 0
		.amdhsa_float_denorm_mode_32 3
		.amdhsa_float_denorm_mode_16_64 3
		.amdhsa_fp16_overflow 0
		.amdhsa_memory_ordered 1
		.amdhsa_forward_progress 1
		.amdhsa_inst_pref_size 0
		.amdhsa_round_robin_scheduling 0
		.amdhsa_exception_fp_ieee_invalid_op 0
		.amdhsa_exception_fp_denorm_src 0
		.amdhsa_exception_fp_ieee_div_zero 0
		.amdhsa_exception_fp_ieee_overflow 0
		.amdhsa_exception_fp_ieee_underflow 0
		.amdhsa_exception_fp_ieee_inexact 0
		.amdhsa_exception_int_div_zero 0
	.end_amdhsa_kernel
	.section	.text._ZN7rocprim17ROCPRIM_400000_NS6detail17trampoline_kernelINS0_14default_configENS1_35radix_sort_onesweep_config_selectorIsNS0_10empty_typeEEEZZNS1_29radix_sort_onesweep_iterationIS3_Lb0EPKsPsPS5_SB_mNS0_19identity_decomposerENS1_16block_id_wrapperIjLb0EEEEE10hipError_tT1_PNSt15iterator_traitsISG_E10value_typeET2_T3_PNSH_ISM_E10value_typeET4_T5_PSR_SS_PNS1_23onesweep_lookback_stateEbbT6_jjT7_P12ihipStream_tbENKUlT_T0_SG_SL_E_clIS9_SA_SB_SB_EEDaSZ_S10_SG_SL_EUlSZ_E_NS1_11comp_targetILNS1_3genE10ELNS1_11target_archE1201ELNS1_3gpuE5ELNS1_3repE0EEENS1_47radix_sort_onesweep_sort_config_static_selectorELNS0_4arch9wavefront6targetE0EEEvSG_,"axG",@progbits,_ZN7rocprim17ROCPRIM_400000_NS6detail17trampoline_kernelINS0_14default_configENS1_35radix_sort_onesweep_config_selectorIsNS0_10empty_typeEEEZZNS1_29radix_sort_onesweep_iterationIS3_Lb0EPKsPsPS5_SB_mNS0_19identity_decomposerENS1_16block_id_wrapperIjLb0EEEEE10hipError_tT1_PNSt15iterator_traitsISG_E10value_typeET2_T3_PNSH_ISM_E10value_typeET4_T5_PSR_SS_PNS1_23onesweep_lookback_stateEbbT6_jjT7_P12ihipStream_tbENKUlT_T0_SG_SL_E_clIS9_SA_SB_SB_EEDaSZ_S10_SG_SL_EUlSZ_E_NS1_11comp_targetILNS1_3genE10ELNS1_11target_archE1201ELNS1_3gpuE5ELNS1_3repE0EEENS1_47radix_sort_onesweep_sort_config_static_selectorELNS0_4arch9wavefront6targetE0EEEvSG_,comdat
.Lfunc_end737:
	.size	_ZN7rocprim17ROCPRIM_400000_NS6detail17trampoline_kernelINS0_14default_configENS1_35radix_sort_onesweep_config_selectorIsNS0_10empty_typeEEEZZNS1_29radix_sort_onesweep_iterationIS3_Lb0EPKsPsPS5_SB_mNS0_19identity_decomposerENS1_16block_id_wrapperIjLb0EEEEE10hipError_tT1_PNSt15iterator_traitsISG_E10value_typeET2_T3_PNSH_ISM_E10value_typeET4_T5_PSR_SS_PNS1_23onesweep_lookback_stateEbbT6_jjT7_P12ihipStream_tbENKUlT_T0_SG_SL_E_clIS9_SA_SB_SB_EEDaSZ_S10_SG_SL_EUlSZ_E_NS1_11comp_targetILNS1_3genE10ELNS1_11target_archE1201ELNS1_3gpuE5ELNS1_3repE0EEENS1_47radix_sort_onesweep_sort_config_static_selectorELNS0_4arch9wavefront6targetE0EEEvSG_, .Lfunc_end737-_ZN7rocprim17ROCPRIM_400000_NS6detail17trampoline_kernelINS0_14default_configENS1_35radix_sort_onesweep_config_selectorIsNS0_10empty_typeEEEZZNS1_29radix_sort_onesweep_iterationIS3_Lb0EPKsPsPS5_SB_mNS0_19identity_decomposerENS1_16block_id_wrapperIjLb0EEEEE10hipError_tT1_PNSt15iterator_traitsISG_E10value_typeET2_T3_PNSH_ISM_E10value_typeET4_T5_PSR_SS_PNS1_23onesweep_lookback_stateEbbT6_jjT7_P12ihipStream_tbENKUlT_T0_SG_SL_E_clIS9_SA_SB_SB_EEDaSZ_S10_SG_SL_EUlSZ_E_NS1_11comp_targetILNS1_3genE10ELNS1_11target_archE1201ELNS1_3gpuE5ELNS1_3repE0EEENS1_47radix_sort_onesweep_sort_config_static_selectorELNS0_4arch9wavefront6targetE0EEEvSG_
                                        ; -- End function
	.set _ZN7rocprim17ROCPRIM_400000_NS6detail17trampoline_kernelINS0_14default_configENS1_35radix_sort_onesweep_config_selectorIsNS0_10empty_typeEEEZZNS1_29radix_sort_onesweep_iterationIS3_Lb0EPKsPsPS5_SB_mNS0_19identity_decomposerENS1_16block_id_wrapperIjLb0EEEEE10hipError_tT1_PNSt15iterator_traitsISG_E10value_typeET2_T3_PNSH_ISM_E10value_typeET4_T5_PSR_SS_PNS1_23onesweep_lookback_stateEbbT6_jjT7_P12ihipStream_tbENKUlT_T0_SG_SL_E_clIS9_SA_SB_SB_EEDaSZ_S10_SG_SL_EUlSZ_E_NS1_11comp_targetILNS1_3genE10ELNS1_11target_archE1201ELNS1_3gpuE5ELNS1_3repE0EEENS1_47radix_sort_onesweep_sort_config_static_selectorELNS0_4arch9wavefront6targetE0EEEvSG_.num_vgpr, 0
	.set _ZN7rocprim17ROCPRIM_400000_NS6detail17trampoline_kernelINS0_14default_configENS1_35radix_sort_onesweep_config_selectorIsNS0_10empty_typeEEEZZNS1_29radix_sort_onesweep_iterationIS3_Lb0EPKsPsPS5_SB_mNS0_19identity_decomposerENS1_16block_id_wrapperIjLb0EEEEE10hipError_tT1_PNSt15iterator_traitsISG_E10value_typeET2_T3_PNSH_ISM_E10value_typeET4_T5_PSR_SS_PNS1_23onesweep_lookback_stateEbbT6_jjT7_P12ihipStream_tbENKUlT_T0_SG_SL_E_clIS9_SA_SB_SB_EEDaSZ_S10_SG_SL_EUlSZ_E_NS1_11comp_targetILNS1_3genE10ELNS1_11target_archE1201ELNS1_3gpuE5ELNS1_3repE0EEENS1_47radix_sort_onesweep_sort_config_static_selectorELNS0_4arch9wavefront6targetE0EEEvSG_.num_agpr, 0
	.set _ZN7rocprim17ROCPRIM_400000_NS6detail17trampoline_kernelINS0_14default_configENS1_35radix_sort_onesweep_config_selectorIsNS0_10empty_typeEEEZZNS1_29radix_sort_onesweep_iterationIS3_Lb0EPKsPsPS5_SB_mNS0_19identity_decomposerENS1_16block_id_wrapperIjLb0EEEEE10hipError_tT1_PNSt15iterator_traitsISG_E10value_typeET2_T3_PNSH_ISM_E10value_typeET4_T5_PSR_SS_PNS1_23onesweep_lookback_stateEbbT6_jjT7_P12ihipStream_tbENKUlT_T0_SG_SL_E_clIS9_SA_SB_SB_EEDaSZ_S10_SG_SL_EUlSZ_E_NS1_11comp_targetILNS1_3genE10ELNS1_11target_archE1201ELNS1_3gpuE5ELNS1_3repE0EEENS1_47radix_sort_onesweep_sort_config_static_selectorELNS0_4arch9wavefront6targetE0EEEvSG_.numbered_sgpr, 0
	.set _ZN7rocprim17ROCPRIM_400000_NS6detail17trampoline_kernelINS0_14default_configENS1_35radix_sort_onesweep_config_selectorIsNS0_10empty_typeEEEZZNS1_29radix_sort_onesweep_iterationIS3_Lb0EPKsPsPS5_SB_mNS0_19identity_decomposerENS1_16block_id_wrapperIjLb0EEEEE10hipError_tT1_PNSt15iterator_traitsISG_E10value_typeET2_T3_PNSH_ISM_E10value_typeET4_T5_PSR_SS_PNS1_23onesweep_lookback_stateEbbT6_jjT7_P12ihipStream_tbENKUlT_T0_SG_SL_E_clIS9_SA_SB_SB_EEDaSZ_S10_SG_SL_EUlSZ_E_NS1_11comp_targetILNS1_3genE10ELNS1_11target_archE1201ELNS1_3gpuE5ELNS1_3repE0EEENS1_47radix_sort_onesweep_sort_config_static_selectorELNS0_4arch9wavefront6targetE0EEEvSG_.num_named_barrier, 0
	.set _ZN7rocprim17ROCPRIM_400000_NS6detail17trampoline_kernelINS0_14default_configENS1_35radix_sort_onesweep_config_selectorIsNS0_10empty_typeEEEZZNS1_29radix_sort_onesweep_iterationIS3_Lb0EPKsPsPS5_SB_mNS0_19identity_decomposerENS1_16block_id_wrapperIjLb0EEEEE10hipError_tT1_PNSt15iterator_traitsISG_E10value_typeET2_T3_PNSH_ISM_E10value_typeET4_T5_PSR_SS_PNS1_23onesweep_lookback_stateEbbT6_jjT7_P12ihipStream_tbENKUlT_T0_SG_SL_E_clIS9_SA_SB_SB_EEDaSZ_S10_SG_SL_EUlSZ_E_NS1_11comp_targetILNS1_3genE10ELNS1_11target_archE1201ELNS1_3gpuE5ELNS1_3repE0EEENS1_47radix_sort_onesweep_sort_config_static_selectorELNS0_4arch9wavefront6targetE0EEEvSG_.private_seg_size, 0
	.set _ZN7rocprim17ROCPRIM_400000_NS6detail17trampoline_kernelINS0_14default_configENS1_35radix_sort_onesweep_config_selectorIsNS0_10empty_typeEEEZZNS1_29radix_sort_onesweep_iterationIS3_Lb0EPKsPsPS5_SB_mNS0_19identity_decomposerENS1_16block_id_wrapperIjLb0EEEEE10hipError_tT1_PNSt15iterator_traitsISG_E10value_typeET2_T3_PNSH_ISM_E10value_typeET4_T5_PSR_SS_PNS1_23onesweep_lookback_stateEbbT6_jjT7_P12ihipStream_tbENKUlT_T0_SG_SL_E_clIS9_SA_SB_SB_EEDaSZ_S10_SG_SL_EUlSZ_E_NS1_11comp_targetILNS1_3genE10ELNS1_11target_archE1201ELNS1_3gpuE5ELNS1_3repE0EEENS1_47radix_sort_onesweep_sort_config_static_selectorELNS0_4arch9wavefront6targetE0EEEvSG_.uses_vcc, 0
	.set _ZN7rocprim17ROCPRIM_400000_NS6detail17trampoline_kernelINS0_14default_configENS1_35radix_sort_onesweep_config_selectorIsNS0_10empty_typeEEEZZNS1_29radix_sort_onesweep_iterationIS3_Lb0EPKsPsPS5_SB_mNS0_19identity_decomposerENS1_16block_id_wrapperIjLb0EEEEE10hipError_tT1_PNSt15iterator_traitsISG_E10value_typeET2_T3_PNSH_ISM_E10value_typeET4_T5_PSR_SS_PNS1_23onesweep_lookback_stateEbbT6_jjT7_P12ihipStream_tbENKUlT_T0_SG_SL_E_clIS9_SA_SB_SB_EEDaSZ_S10_SG_SL_EUlSZ_E_NS1_11comp_targetILNS1_3genE10ELNS1_11target_archE1201ELNS1_3gpuE5ELNS1_3repE0EEENS1_47radix_sort_onesweep_sort_config_static_selectorELNS0_4arch9wavefront6targetE0EEEvSG_.uses_flat_scratch, 0
	.set _ZN7rocprim17ROCPRIM_400000_NS6detail17trampoline_kernelINS0_14default_configENS1_35radix_sort_onesweep_config_selectorIsNS0_10empty_typeEEEZZNS1_29radix_sort_onesweep_iterationIS3_Lb0EPKsPsPS5_SB_mNS0_19identity_decomposerENS1_16block_id_wrapperIjLb0EEEEE10hipError_tT1_PNSt15iterator_traitsISG_E10value_typeET2_T3_PNSH_ISM_E10value_typeET4_T5_PSR_SS_PNS1_23onesweep_lookback_stateEbbT6_jjT7_P12ihipStream_tbENKUlT_T0_SG_SL_E_clIS9_SA_SB_SB_EEDaSZ_S10_SG_SL_EUlSZ_E_NS1_11comp_targetILNS1_3genE10ELNS1_11target_archE1201ELNS1_3gpuE5ELNS1_3repE0EEENS1_47radix_sort_onesweep_sort_config_static_selectorELNS0_4arch9wavefront6targetE0EEEvSG_.has_dyn_sized_stack, 0
	.set _ZN7rocprim17ROCPRIM_400000_NS6detail17trampoline_kernelINS0_14default_configENS1_35radix_sort_onesweep_config_selectorIsNS0_10empty_typeEEEZZNS1_29radix_sort_onesweep_iterationIS3_Lb0EPKsPsPS5_SB_mNS0_19identity_decomposerENS1_16block_id_wrapperIjLb0EEEEE10hipError_tT1_PNSt15iterator_traitsISG_E10value_typeET2_T3_PNSH_ISM_E10value_typeET4_T5_PSR_SS_PNS1_23onesweep_lookback_stateEbbT6_jjT7_P12ihipStream_tbENKUlT_T0_SG_SL_E_clIS9_SA_SB_SB_EEDaSZ_S10_SG_SL_EUlSZ_E_NS1_11comp_targetILNS1_3genE10ELNS1_11target_archE1201ELNS1_3gpuE5ELNS1_3repE0EEENS1_47radix_sort_onesweep_sort_config_static_selectorELNS0_4arch9wavefront6targetE0EEEvSG_.has_recursion, 0
	.set _ZN7rocprim17ROCPRIM_400000_NS6detail17trampoline_kernelINS0_14default_configENS1_35radix_sort_onesweep_config_selectorIsNS0_10empty_typeEEEZZNS1_29radix_sort_onesweep_iterationIS3_Lb0EPKsPsPS5_SB_mNS0_19identity_decomposerENS1_16block_id_wrapperIjLb0EEEEE10hipError_tT1_PNSt15iterator_traitsISG_E10value_typeET2_T3_PNSH_ISM_E10value_typeET4_T5_PSR_SS_PNS1_23onesweep_lookback_stateEbbT6_jjT7_P12ihipStream_tbENKUlT_T0_SG_SL_E_clIS9_SA_SB_SB_EEDaSZ_S10_SG_SL_EUlSZ_E_NS1_11comp_targetILNS1_3genE10ELNS1_11target_archE1201ELNS1_3gpuE5ELNS1_3repE0EEENS1_47radix_sort_onesweep_sort_config_static_selectorELNS0_4arch9wavefront6targetE0EEEvSG_.has_indirect_call, 0
	.section	.AMDGPU.csdata,"",@progbits
; Kernel info:
; codeLenInByte = 0
; TotalNumSgprs: 0
; NumVgprs: 0
; ScratchSize: 0
; MemoryBound: 0
; FloatMode: 240
; IeeeMode: 1
; LDSByteSize: 0 bytes/workgroup (compile time only)
; SGPRBlocks: 0
; VGPRBlocks: 0
; NumSGPRsForWavesPerEU: 1
; NumVGPRsForWavesPerEU: 1
; NamedBarCnt: 0
; Occupancy: 16
; WaveLimiterHint : 0
; COMPUTE_PGM_RSRC2:SCRATCH_EN: 0
; COMPUTE_PGM_RSRC2:USER_SGPR: 2
; COMPUTE_PGM_RSRC2:TRAP_HANDLER: 0
; COMPUTE_PGM_RSRC2:TGID_X_EN: 1
; COMPUTE_PGM_RSRC2:TGID_Y_EN: 0
; COMPUTE_PGM_RSRC2:TGID_Z_EN: 0
; COMPUTE_PGM_RSRC2:TIDIG_COMP_CNT: 0
	.section	.text._ZN7rocprim17ROCPRIM_400000_NS6detail17trampoline_kernelINS0_14default_configENS1_35radix_sort_onesweep_config_selectorIsNS0_10empty_typeEEEZZNS1_29radix_sort_onesweep_iterationIS3_Lb0EPKsPsPS5_SB_mNS0_19identity_decomposerENS1_16block_id_wrapperIjLb0EEEEE10hipError_tT1_PNSt15iterator_traitsISG_E10value_typeET2_T3_PNSH_ISM_E10value_typeET4_T5_PSR_SS_PNS1_23onesweep_lookback_stateEbbT6_jjT7_P12ihipStream_tbENKUlT_T0_SG_SL_E_clIS9_SA_SB_SB_EEDaSZ_S10_SG_SL_EUlSZ_E_NS1_11comp_targetILNS1_3genE9ELNS1_11target_archE1100ELNS1_3gpuE3ELNS1_3repE0EEENS1_47radix_sort_onesweep_sort_config_static_selectorELNS0_4arch9wavefront6targetE0EEEvSG_,"axG",@progbits,_ZN7rocprim17ROCPRIM_400000_NS6detail17trampoline_kernelINS0_14default_configENS1_35radix_sort_onesweep_config_selectorIsNS0_10empty_typeEEEZZNS1_29radix_sort_onesweep_iterationIS3_Lb0EPKsPsPS5_SB_mNS0_19identity_decomposerENS1_16block_id_wrapperIjLb0EEEEE10hipError_tT1_PNSt15iterator_traitsISG_E10value_typeET2_T3_PNSH_ISM_E10value_typeET4_T5_PSR_SS_PNS1_23onesweep_lookback_stateEbbT6_jjT7_P12ihipStream_tbENKUlT_T0_SG_SL_E_clIS9_SA_SB_SB_EEDaSZ_S10_SG_SL_EUlSZ_E_NS1_11comp_targetILNS1_3genE9ELNS1_11target_archE1100ELNS1_3gpuE3ELNS1_3repE0EEENS1_47radix_sort_onesweep_sort_config_static_selectorELNS0_4arch9wavefront6targetE0EEEvSG_,comdat
	.protected	_ZN7rocprim17ROCPRIM_400000_NS6detail17trampoline_kernelINS0_14default_configENS1_35radix_sort_onesweep_config_selectorIsNS0_10empty_typeEEEZZNS1_29radix_sort_onesweep_iterationIS3_Lb0EPKsPsPS5_SB_mNS0_19identity_decomposerENS1_16block_id_wrapperIjLb0EEEEE10hipError_tT1_PNSt15iterator_traitsISG_E10value_typeET2_T3_PNSH_ISM_E10value_typeET4_T5_PSR_SS_PNS1_23onesweep_lookback_stateEbbT6_jjT7_P12ihipStream_tbENKUlT_T0_SG_SL_E_clIS9_SA_SB_SB_EEDaSZ_S10_SG_SL_EUlSZ_E_NS1_11comp_targetILNS1_3genE9ELNS1_11target_archE1100ELNS1_3gpuE3ELNS1_3repE0EEENS1_47radix_sort_onesweep_sort_config_static_selectorELNS0_4arch9wavefront6targetE0EEEvSG_ ; -- Begin function _ZN7rocprim17ROCPRIM_400000_NS6detail17trampoline_kernelINS0_14default_configENS1_35radix_sort_onesweep_config_selectorIsNS0_10empty_typeEEEZZNS1_29radix_sort_onesweep_iterationIS3_Lb0EPKsPsPS5_SB_mNS0_19identity_decomposerENS1_16block_id_wrapperIjLb0EEEEE10hipError_tT1_PNSt15iterator_traitsISG_E10value_typeET2_T3_PNSH_ISM_E10value_typeET4_T5_PSR_SS_PNS1_23onesweep_lookback_stateEbbT6_jjT7_P12ihipStream_tbENKUlT_T0_SG_SL_E_clIS9_SA_SB_SB_EEDaSZ_S10_SG_SL_EUlSZ_E_NS1_11comp_targetILNS1_3genE9ELNS1_11target_archE1100ELNS1_3gpuE3ELNS1_3repE0EEENS1_47radix_sort_onesweep_sort_config_static_selectorELNS0_4arch9wavefront6targetE0EEEvSG_
	.globl	_ZN7rocprim17ROCPRIM_400000_NS6detail17trampoline_kernelINS0_14default_configENS1_35radix_sort_onesweep_config_selectorIsNS0_10empty_typeEEEZZNS1_29radix_sort_onesweep_iterationIS3_Lb0EPKsPsPS5_SB_mNS0_19identity_decomposerENS1_16block_id_wrapperIjLb0EEEEE10hipError_tT1_PNSt15iterator_traitsISG_E10value_typeET2_T3_PNSH_ISM_E10value_typeET4_T5_PSR_SS_PNS1_23onesweep_lookback_stateEbbT6_jjT7_P12ihipStream_tbENKUlT_T0_SG_SL_E_clIS9_SA_SB_SB_EEDaSZ_S10_SG_SL_EUlSZ_E_NS1_11comp_targetILNS1_3genE9ELNS1_11target_archE1100ELNS1_3gpuE3ELNS1_3repE0EEENS1_47radix_sort_onesweep_sort_config_static_selectorELNS0_4arch9wavefront6targetE0EEEvSG_
	.p2align	8
	.type	_ZN7rocprim17ROCPRIM_400000_NS6detail17trampoline_kernelINS0_14default_configENS1_35radix_sort_onesweep_config_selectorIsNS0_10empty_typeEEEZZNS1_29radix_sort_onesweep_iterationIS3_Lb0EPKsPsPS5_SB_mNS0_19identity_decomposerENS1_16block_id_wrapperIjLb0EEEEE10hipError_tT1_PNSt15iterator_traitsISG_E10value_typeET2_T3_PNSH_ISM_E10value_typeET4_T5_PSR_SS_PNS1_23onesweep_lookback_stateEbbT6_jjT7_P12ihipStream_tbENKUlT_T0_SG_SL_E_clIS9_SA_SB_SB_EEDaSZ_S10_SG_SL_EUlSZ_E_NS1_11comp_targetILNS1_3genE9ELNS1_11target_archE1100ELNS1_3gpuE3ELNS1_3repE0EEENS1_47radix_sort_onesweep_sort_config_static_selectorELNS0_4arch9wavefront6targetE0EEEvSG_,@function
_ZN7rocprim17ROCPRIM_400000_NS6detail17trampoline_kernelINS0_14default_configENS1_35radix_sort_onesweep_config_selectorIsNS0_10empty_typeEEEZZNS1_29radix_sort_onesweep_iterationIS3_Lb0EPKsPsPS5_SB_mNS0_19identity_decomposerENS1_16block_id_wrapperIjLb0EEEEE10hipError_tT1_PNSt15iterator_traitsISG_E10value_typeET2_T3_PNSH_ISM_E10value_typeET4_T5_PSR_SS_PNS1_23onesweep_lookback_stateEbbT6_jjT7_P12ihipStream_tbENKUlT_T0_SG_SL_E_clIS9_SA_SB_SB_EEDaSZ_S10_SG_SL_EUlSZ_E_NS1_11comp_targetILNS1_3genE9ELNS1_11target_archE1100ELNS1_3gpuE3ELNS1_3repE0EEENS1_47radix_sort_onesweep_sort_config_static_selectorELNS0_4arch9wavefront6targetE0EEEvSG_: ; @_ZN7rocprim17ROCPRIM_400000_NS6detail17trampoline_kernelINS0_14default_configENS1_35radix_sort_onesweep_config_selectorIsNS0_10empty_typeEEEZZNS1_29radix_sort_onesweep_iterationIS3_Lb0EPKsPsPS5_SB_mNS0_19identity_decomposerENS1_16block_id_wrapperIjLb0EEEEE10hipError_tT1_PNSt15iterator_traitsISG_E10value_typeET2_T3_PNSH_ISM_E10value_typeET4_T5_PSR_SS_PNS1_23onesweep_lookback_stateEbbT6_jjT7_P12ihipStream_tbENKUlT_T0_SG_SL_E_clIS9_SA_SB_SB_EEDaSZ_S10_SG_SL_EUlSZ_E_NS1_11comp_targetILNS1_3genE9ELNS1_11target_archE1100ELNS1_3gpuE3ELNS1_3repE0EEENS1_47radix_sort_onesweep_sort_config_static_selectorELNS0_4arch9wavefront6targetE0EEEvSG_
; %bb.0:
	.section	.rodata,"a",@progbits
	.p2align	6, 0x0
	.amdhsa_kernel _ZN7rocprim17ROCPRIM_400000_NS6detail17trampoline_kernelINS0_14default_configENS1_35radix_sort_onesweep_config_selectorIsNS0_10empty_typeEEEZZNS1_29radix_sort_onesweep_iterationIS3_Lb0EPKsPsPS5_SB_mNS0_19identity_decomposerENS1_16block_id_wrapperIjLb0EEEEE10hipError_tT1_PNSt15iterator_traitsISG_E10value_typeET2_T3_PNSH_ISM_E10value_typeET4_T5_PSR_SS_PNS1_23onesweep_lookback_stateEbbT6_jjT7_P12ihipStream_tbENKUlT_T0_SG_SL_E_clIS9_SA_SB_SB_EEDaSZ_S10_SG_SL_EUlSZ_E_NS1_11comp_targetILNS1_3genE9ELNS1_11target_archE1100ELNS1_3gpuE3ELNS1_3repE0EEENS1_47radix_sort_onesweep_sort_config_static_selectorELNS0_4arch9wavefront6targetE0EEEvSG_
		.amdhsa_group_segment_fixed_size 0
		.amdhsa_private_segment_fixed_size 0
		.amdhsa_kernarg_size 88
		.amdhsa_user_sgpr_count 2
		.amdhsa_user_sgpr_dispatch_ptr 0
		.amdhsa_user_sgpr_queue_ptr 0
		.amdhsa_user_sgpr_kernarg_segment_ptr 1
		.amdhsa_user_sgpr_dispatch_id 0
		.amdhsa_user_sgpr_kernarg_preload_length 0
		.amdhsa_user_sgpr_kernarg_preload_offset 0
		.amdhsa_user_sgpr_private_segment_size 0
		.amdhsa_wavefront_size32 1
		.amdhsa_uses_dynamic_stack 0
		.amdhsa_enable_private_segment 0
		.amdhsa_system_sgpr_workgroup_id_x 1
		.amdhsa_system_sgpr_workgroup_id_y 0
		.amdhsa_system_sgpr_workgroup_id_z 0
		.amdhsa_system_sgpr_workgroup_info 0
		.amdhsa_system_vgpr_workitem_id 0
		.amdhsa_next_free_vgpr 1
		.amdhsa_next_free_sgpr 1
		.amdhsa_named_barrier_count 0
		.amdhsa_reserve_vcc 0
		.amdhsa_float_round_mode_32 0
		.amdhsa_float_round_mode_16_64 0
		.amdhsa_float_denorm_mode_32 3
		.amdhsa_float_denorm_mode_16_64 3
		.amdhsa_fp16_overflow 0
		.amdhsa_memory_ordered 1
		.amdhsa_forward_progress 1
		.amdhsa_inst_pref_size 0
		.amdhsa_round_robin_scheduling 0
		.amdhsa_exception_fp_ieee_invalid_op 0
		.amdhsa_exception_fp_denorm_src 0
		.amdhsa_exception_fp_ieee_div_zero 0
		.amdhsa_exception_fp_ieee_overflow 0
		.amdhsa_exception_fp_ieee_underflow 0
		.amdhsa_exception_fp_ieee_inexact 0
		.amdhsa_exception_int_div_zero 0
	.end_amdhsa_kernel
	.section	.text._ZN7rocprim17ROCPRIM_400000_NS6detail17trampoline_kernelINS0_14default_configENS1_35radix_sort_onesweep_config_selectorIsNS0_10empty_typeEEEZZNS1_29radix_sort_onesweep_iterationIS3_Lb0EPKsPsPS5_SB_mNS0_19identity_decomposerENS1_16block_id_wrapperIjLb0EEEEE10hipError_tT1_PNSt15iterator_traitsISG_E10value_typeET2_T3_PNSH_ISM_E10value_typeET4_T5_PSR_SS_PNS1_23onesweep_lookback_stateEbbT6_jjT7_P12ihipStream_tbENKUlT_T0_SG_SL_E_clIS9_SA_SB_SB_EEDaSZ_S10_SG_SL_EUlSZ_E_NS1_11comp_targetILNS1_3genE9ELNS1_11target_archE1100ELNS1_3gpuE3ELNS1_3repE0EEENS1_47radix_sort_onesweep_sort_config_static_selectorELNS0_4arch9wavefront6targetE0EEEvSG_,"axG",@progbits,_ZN7rocprim17ROCPRIM_400000_NS6detail17trampoline_kernelINS0_14default_configENS1_35radix_sort_onesweep_config_selectorIsNS0_10empty_typeEEEZZNS1_29radix_sort_onesweep_iterationIS3_Lb0EPKsPsPS5_SB_mNS0_19identity_decomposerENS1_16block_id_wrapperIjLb0EEEEE10hipError_tT1_PNSt15iterator_traitsISG_E10value_typeET2_T3_PNSH_ISM_E10value_typeET4_T5_PSR_SS_PNS1_23onesweep_lookback_stateEbbT6_jjT7_P12ihipStream_tbENKUlT_T0_SG_SL_E_clIS9_SA_SB_SB_EEDaSZ_S10_SG_SL_EUlSZ_E_NS1_11comp_targetILNS1_3genE9ELNS1_11target_archE1100ELNS1_3gpuE3ELNS1_3repE0EEENS1_47radix_sort_onesweep_sort_config_static_selectorELNS0_4arch9wavefront6targetE0EEEvSG_,comdat
.Lfunc_end738:
	.size	_ZN7rocprim17ROCPRIM_400000_NS6detail17trampoline_kernelINS0_14default_configENS1_35radix_sort_onesweep_config_selectorIsNS0_10empty_typeEEEZZNS1_29radix_sort_onesweep_iterationIS3_Lb0EPKsPsPS5_SB_mNS0_19identity_decomposerENS1_16block_id_wrapperIjLb0EEEEE10hipError_tT1_PNSt15iterator_traitsISG_E10value_typeET2_T3_PNSH_ISM_E10value_typeET4_T5_PSR_SS_PNS1_23onesweep_lookback_stateEbbT6_jjT7_P12ihipStream_tbENKUlT_T0_SG_SL_E_clIS9_SA_SB_SB_EEDaSZ_S10_SG_SL_EUlSZ_E_NS1_11comp_targetILNS1_3genE9ELNS1_11target_archE1100ELNS1_3gpuE3ELNS1_3repE0EEENS1_47radix_sort_onesweep_sort_config_static_selectorELNS0_4arch9wavefront6targetE0EEEvSG_, .Lfunc_end738-_ZN7rocprim17ROCPRIM_400000_NS6detail17trampoline_kernelINS0_14default_configENS1_35radix_sort_onesweep_config_selectorIsNS0_10empty_typeEEEZZNS1_29radix_sort_onesweep_iterationIS3_Lb0EPKsPsPS5_SB_mNS0_19identity_decomposerENS1_16block_id_wrapperIjLb0EEEEE10hipError_tT1_PNSt15iterator_traitsISG_E10value_typeET2_T3_PNSH_ISM_E10value_typeET4_T5_PSR_SS_PNS1_23onesweep_lookback_stateEbbT6_jjT7_P12ihipStream_tbENKUlT_T0_SG_SL_E_clIS9_SA_SB_SB_EEDaSZ_S10_SG_SL_EUlSZ_E_NS1_11comp_targetILNS1_3genE9ELNS1_11target_archE1100ELNS1_3gpuE3ELNS1_3repE0EEENS1_47radix_sort_onesweep_sort_config_static_selectorELNS0_4arch9wavefront6targetE0EEEvSG_
                                        ; -- End function
	.set _ZN7rocprim17ROCPRIM_400000_NS6detail17trampoline_kernelINS0_14default_configENS1_35radix_sort_onesweep_config_selectorIsNS0_10empty_typeEEEZZNS1_29radix_sort_onesweep_iterationIS3_Lb0EPKsPsPS5_SB_mNS0_19identity_decomposerENS1_16block_id_wrapperIjLb0EEEEE10hipError_tT1_PNSt15iterator_traitsISG_E10value_typeET2_T3_PNSH_ISM_E10value_typeET4_T5_PSR_SS_PNS1_23onesweep_lookback_stateEbbT6_jjT7_P12ihipStream_tbENKUlT_T0_SG_SL_E_clIS9_SA_SB_SB_EEDaSZ_S10_SG_SL_EUlSZ_E_NS1_11comp_targetILNS1_3genE9ELNS1_11target_archE1100ELNS1_3gpuE3ELNS1_3repE0EEENS1_47radix_sort_onesweep_sort_config_static_selectorELNS0_4arch9wavefront6targetE0EEEvSG_.num_vgpr, 0
	.set _ZN7rocprim17ROCPRIM_400000_NS6detail17trampoline_kernelINS0_14default_configENS1_35radix_sort_onesweep_config_selectorIsNS0_10empty_typeEEEZZNS1_29radix_sort_onesweep_iterationIS3_Lb0EPKsPsPS5_SB_mNS0_19identity_decomposerENS1_16block_id_wrapperIjLb0EEEEE10hipError_tT1_PNSt15iterator_traitsISG_E10value_typeET2_T3_PNSH_ISM_E10value_typeET4_T5_PSR_SS_PNS1_23onesweep_lookback_stateEbbT6_jjT7_P12ihipStream_tbENKUlT_T0_SG_SL_E_clIS9_SA_SB_SB_EEDaSZ_S10_SG_SL_EUlSZ_E_NS1_11comp_targetILNS1_3genE9ELNS1_11target_archE1100ELNS1_3gpuE3ELNS1_3repE0EEENS1_47radix_sort_onesweep_sort_config_static_selectorELNS0_4arch9wavefront6targetE0EEEvSG_.num_agpr, 0
	.set _ZN7rocprim17ROCPRIM_400000_NS6detail17trampoline_kernelINS0_14default_configENS1_35radix_sort_onesweep_config_selectorIsNS0_10empty_typeEEEZZNS1_29radix_sort_onesweep_iterationIS3_Lb0EPKsPsPS5_SB_mNS0_19identity_decomposerENS1_16block_id_wrapperIjLb0EEEEE10hipError_tT1_PNSt15iterator_traitsISG_E10value_typeET2_T3_PNSH_ISM_E10value_typeET4_T5_PSR_SS_PNS1_23onesweep_lookback_stateEbbT6_jjT7_P12ihipStream_tbENKUlT_T0_SG_SL_E_clIS9_SA_SB_SB_EEDaSZ_S10_SG_SL_EUlSZ_E_NS1_11comp_targetILNS1_3genE9ELNS1_11target_archE1100ELNS1_3gpuE3ELNS1_3repE0EEENS1_47radix_sort_onesweep_sort_config_static_selectorELNS0_4arch9wavefront6targetE0EEEvSG_.numbered_sgpr, 0
	.set _ZN7rocprim17ROCPRIM_400000_NS6detail17trampoline_kernelINS0_14default_configENS1_35radix_sort_onesweep_config_selectorIsNS0_10empty_typeEEEZZNS1_29radix_sort_onesweep_iterationIS3_Lb0EPKsPsPS5_SB_mNS0_19identity_decomposerENS1_16block_id_wrapperIjLb0EEEEE10hipError_tT1_PNSt15iterator_traitsISG_E10value_typeET2_T3_PNSH_ISM_E10value_typeET4_T5_PSR_SS_PNS1_23onesweep_lookback_stateEbbT6_jjT7_P12ihipStream_tbENKUlT_T0_SG_SL_E_clIS9_SA_SB_SB_EEDaSZ_S10_SG_SL_EUlSZ_E_NS1_11comp_targetILNS1_3genE9ELNS1_11target_archE1100ELNS1_3gpuE3ELNS1_3repE0EEENS1_47radix_sort_onesweep_sort_config_static_selectorELNS0_4arch9wavefront6targetE0EEEvSG_.num_named_barrier, 0
	.set _ZN7rocprim17ROCPRIM_400000_NS6detail17trampoline_kernelINS0_14default_configENS1_35radix_sort_onesweep_config_selectorIsNS0_10empty_typeEEEZZNS1_29radix_sort_onesweep_iterationIS3_Lb0EPKsPsPS5_SB_mNS0_19identity_decomposerENS1_16block_id_wrapperIjLb0EEEEE10hipError_tT1_PNSt15iterator_traitsISG_E10value_typeET2_T3_PNSH_ISM_E10value_typeET4_T5_PSR_SS_PNS1_23onesweep_lookback_stateEbbT6_jjT7_P12ihipStream_tbENKUlT_T0_SG_SL_E_clIS9_SA_SB_SB_EEDaSZ_S10_SG_SL_EUlSZ_E_NS1_11comp_targetILNS1_3genE9ELNS1_11target_archE1100ELNS1_3gpuE3ELNS1_3repE0EEENS1_47radix_sort_onesweep_sort_config_static_selectorELNS0_4arch9wavefront6targetE0EEEvSG_.private_seg_size, 0
	.set _ZN7rocprim17ROCPRIM_400000_NS6detail17trampoline_kernelINS0_14default_configENS1_35radix_sort_onesweep_config_selectorIsNS0_10empty_typeEEEZZNS1_29radix_sort_onesweep_iterationIS3_Lb0EPKsPsPS5_SB_mNS0_19identity_decomposerENS1_16block_id_wrapperIjLb0EEEEE10hipError_tT1_PNSt15iterator_traitsISG_E10value_typeET2_T3_PNSH_ISM_E10value_typeET4_T5_PSR_SS_PNS1_23onesweep_lookback_stateEbbT6_jjT7_P12ihipStream_tbENKUlT_T0_SG_SL_E_clIS9_SA_SB_SB_EEDaSZ_S10_SG_SL_EUlSZ_E_NS1_11comp_targetILNS1_3genE9ELNS1_11target_archE1100ELNS1_3gpuE3ELNS1_3repE0EEENS1_47radix_sort_onesweep_sort_config_static_selectorELNS0_4arch9wavefront6targetE0EEEvSG_.uses_vcc, 0
	.set _ZN7rocprim17ROCPRIM_400000_NS6detail17trampoline_kernelINS0_14default_configENS1_35radix_sort_onesweep_config_selectorIsNS0_10empty_typeEEEZZNS1_29radix_sort_onesweep_iterationIS3_Lb0EPKsPsPS5_SB_mNS0_19identity_decomposerENS1_16block_id_wrapperIjLb0EEEEE10hipError_tT1_PNSt15iterator_traitsISG_E10value_typeET2_T3_PNSH_ISM_E10value_typeET4_T5_PSR_SS_PNS1_23onesweep_lookback_stateEbbT6_jjT7_P12ihipStream_tbENKUlT_T0_SG_SL_E_clIS9_SA_SB_SB_EEDaSZ_S10_SG_SL_EUlSZ_E_NS1_11comp_targetILNS1_3genE9ELNS1_11target_archE1100ELNS1_3gpuE3ELNS1_3repE0EEENS1_47radix_sort_onesweep_sort_config_static_selectorELNS0_4arch9wavefront6targetE0EEEvSG_.uses_flat_scratch, 0
	.set _ZN7rocprim17ROCPRIM_400000_NS6detail17trampoline_kernelINS0_14default_configENS1_35radix_sort_onesweep_config_selectorIsNS0_10empty_typeEEEZZNS1_29radix_sort_onesweep_iterationIS3_Lb0EPKsPsPS5_SB_mNS0_19identity_decomposerENS1_16block_id_wrapperIjLb0EEEEE10hipError_tT1_PNSt15iterator_traitsISG_E10value_typeET2_T3_PNSH_ISM_E10value_typeET4_T5_PSR_SS_PNS1_23onesweep_lookback_stateEbbT6_jjT7_P12ihipStream_tbENKUlT_T0_SG_SL_E_clIS9_SA_SB_SB_EEDaSZ_S10_SG_SL_EUlSZ_E_NS1_11comp_targetILNS1_3genE9ELNS1_11target_archE1100ELNS1_3gpuE3ELNS1_3repE0EEENS1_47radix_sort_onesweep_sort_config_static_selectorELNS0_4arch9wavefront6targetE0EEEvSG_.has_dyn_sized_stack, 0
	.set _ZN7rocprim17ROCPRIM_400000_NS6detail17trampoline_kernelINS0_14default_configENS1_35radix_sort_onesweep_config_selectorIsNS0_10empty_typeEEEZZNS1_29radix_sort_onesweep_iterationIS3_Lb0EPKsPsPS5_SB_mNS0_19identity_decomposerENS1_16block_id_wrapperIjLb0EEEEE10hipError_tT1_PNSt15iterator_traitsISG_E10value_typeET2_T3_PNSH_ISM_E10value_typeET4_T5_PSR_SS_PNS1_23onesweep_lookback_stateEbbT6_jjT7_P12ihipStream_tbENKUlT_T0_SG_SL_E_clIS9_SA_SB_SB_EEDaSZ_S10_SG_SL_EUlSZ_E_NS1_11comp_targetILNS1_3genE9ELNS1_11target_archE1100ELNS1_3gpuE3ELNS1_3repE0EEENS1_47radix_sort_onesweep_sort_config_static_selectorELNS0_4arch9wavefront6targetE0EEEvSG_.has_recursion, 0
	.set _ZN7rocprim17ROCPRIM_400000_NS6detail17trampoline_kernelINS0_14default_configENS1_35radix_sort_onesweep_config_selectorIsNS0_10empty_typeEEEZZNS1_29radix_sort_onesweep_iterationIS3_Lb0EPKsPsPS5_SB_mNS0_19identity_decomposerENS1_16block_id_wrapperIjLb0EEEEE10hipError_tT1_PNSt15iterator_traitsISG_E10value_typeET2_T3_PNSH_ISM_E10value_typeET4_T5_PSR_SS_PNS1_23onesweep_lookback_stateEbbT6_jjT7_P12ihipStream_tbENKUlT_T0_SG_SL_E_clIS9_SA_SB_SB_EEDaSZ_S10_SG_SL_EUlSZ_E_NS1_11comp_targetILNS1_3genE9ELNS1_11target_archE1100ELNS1_3gpuE3ELNS1_3repE0EEENS1_47radix_sort_onesweep_sort_config_static_selectorELNS0_4arch9wavefront6targetE0EEEvSG_.has_indirect_call, 0
	.section	.AMDGPU.csdata,"",@progbits
; Kernel info:
; codeLenInByte = 0
; TotalNumSgprs: 0
; NumVgprs: 0
; ScratchSize: 0
; MemoryBound: 0
; FloatMode: 240
; IeeeMode: 1
; LDSByteSize: 0 bytes/workgroup (compile time only)
; SGPRBlocks: 0
; VGPRBlocks: 0
; NumSGPRsForWavesPerEU: 1
; NumVGPRsForWavesPerEU: 1
; NamedBarCnt: 0
; Occupancy: 16
; WaveLimiterHint : 0
; COMPUTE_PGM_RSRC2:SCRATCH_EN: 0
; COMPUTE_PGM_RSRC2:USER_SGPR: 2
; COMPUTE_PGM_RSRC2:TRAP_HANDLER: 0
; COMPUTE_PGM_RSRC2:TGID_X_EN: 1
; COMPUTE_PGM_RSRC2:TGID_Y_EN: 0
; COMPUTE_PGM_RSRC2:TGID_Z_EN: 0
; COMPUTE_PGM_RSRC2:TIDIG_COMP_CNT: 0
	.section	.text._ZN7rocprim17ROCPRIM_400000_NS6detail17trampoline_kernelINS0_14default_configENS1_35radix_sort_onesweep_config_selectorIsNS0_10empty_typeEEEZZNS1_29radix_sort_onesweep_iterationIS3_Lb0EPKsPsPS5_SB_mNS0_19identity_decomposerENS1_16block_id_wrapperIjLb0EEEEE10hipError_tT1_PNSt15iterator_traitsISG_E10value_typeET2_T3_PNSH_ISM_E10value_typeET4_T5_PSR_SS_PNS1_23onesweep_lookback_stateEbbT6_jjT7_P12ihipStream_tbENKUlT_T0_SG_SL_E_clIS9_SA_SB_SB_EEDaSZ_S10_SG_SL_EUlSZ_E_NS1_11comp_targetILNS1_3genE8ELNS1_11target_archE1030ELNS1_3gpuE2ELNS1_3repE0EEENS1_47radix_sort_onesweep_sort_config_static_selectorELNS0_4arch9wavefront6targetE0EEEvSG_,"axG",@progbits,_ZN7rocprim17ROCPRIM_400000_NS6detail17trampoline_kernelINS0_14default_configENS1_35radix_sort_onesweep_config_selectorIsNS0_10empty_typeEEEZZNS1_29radix_sort_onesweep_iterationIS3_Lb0EPKsPsPS5_SB_mNS0_19identity_decomposerENS1_16block_id_wrapperIjLb0EEEEE10hipError_tT1_PNSt15iterator_traitsISG_E10value_typeET2_T3_PNSH_ISM_E10value_typeET4_T5_PSR_SS_PNS1_23onesweep_lookback_stateEbbT6_jjT7_P12ihipStream_tbENKUlT_T0_SG_SL_E_clIS9_SA_SB_SB_EEDaSZ_S10_SG_SL_EUlSZ_E_NS1_11comp_targetILNS1_3genE8ELNS1_11target_archE1030ELNS1_3gpuE2ELNS1_3repE0EEENS1_47radix_sort_onesweep_sort_config_static_selectorELNS0_4arch9wavefront6targetE0EEEvSG_,comdat
	.protected	_ZN7rocprim17ROCPRIM_400000_NS6detail17trampoline_kernelINS0_14default_configENS1_35radix_sort_onesweep_config_selectorIsNS0_10empty_typeEEEZZNS1_29radix_sort_onesweep_iterationIS3_Lb0EPKsPsPS5_SB_mNS0_19identity_decomposerENS1_16block_id_wrapperIjLb0EEEEE10hipError_tT1_PNSt15iterator_traitsISG_E10value_typeET2_T3_PNSH_ISM_E10value_typeET4_T5_PSR_SS_PNS1_23onesweep_lookback_stateEbbT6_jjT7_P12ihipStream_tbENKUlT_T0_SG_SL_E_clIS9_SA_SB_SB_EEDaSZ_S10_SG_SL_EUlSZ_E_NS1_11comp_targetILNS1_3genE8ELNS1_11target_archE1030ELNS1_3gpuE2ELNS1_3repE0EEENS1_47radix_sort_onesweep_sort_config_static_selectorELNS0_4arch9wavefront6targetE0EEEvSG_ ; -- Begin function _ZN7rocprim17ROCPRIM_400000_NS6detail17trampoline_kernelINS0_14default_configENS1_35radix_sort_onesweep_config_selectorIsNS0_10empty_typeEEEZZNS1_29radix_sort_onesweep_iterationIS3_Lb0EPKsPsPS5_SB_mNS0_19identity_decomposerENS1_16block_id_wrapperIjLb0EEEEE10hipError_tT1_PNSt15iterator_traitsISG_E10value_typeET2_T3_PNSH_ISM_E10value_typeET4_T5_PSR_SS_PNS1_23onesweep_lookback_stateEbbT6_jjT7_P12ihipStream_tbENKUlT_T0_SG_SL_E_clIS9_SA_SB_SB_EEDaSZ_S10_SG_SL_EUlSZ_E_NS1_11comp_targetILNS1_3genE8ELNS1_11target_archE1030ELNS1_3gpuE2ELNS1_3repE0EEENS1_47radix_sort_onesweep_sort_config_static_selectorELNS0_4arch9wavefront6targetE0EEEvSG_
	.globl	_ZN7rocprim17ROCPRIM_400000_NS6detail17trampoline_kernelINS0_14default_configENS1_35radix_sort_onesweep_config_selectorIsNS0_10empty_typeEEEZZNS1_29radix_sort_onesweep_iterationIS3_Lb0EPKsPsPS5_SB_mNS0_19identity_decomposerENS1_16block_id_wrapperIjLb0EEEEE10hipError_tT1_PNSt15iterator_traitsISG_E10value_typeET2_T3_PNSH_ISM_E10value_typeET4_T5_PSR_SS_PNS1_23onesweep_lookback_stateEbbT6_jjT7_P12ihipStream_tbENKUlT_T0_SG_SL_E_clIS9_SA_SB_SB_EEDaSZ_S10_SG_SL_EUlSZ_E_NS1_11comp_targetILNS1_3genE8ELNS1_11target_archE1030ELNS1_3gpuE2ELNS1_3repE0EEENS1_47radix_sort_onesweep_sort_config_static_selectorELNS0_4arch9wavefront6targetE0EEEvSG_
	.p2align	8
	.type	_ZN7rocprim17ROCPRIM_400000_NS6detail17trampoline_kernelINS0_14default_configENS1_35radix_sort_onesweep_config_selectorIsNS0_10empty_typeEEEZZNS1_29radix_sort_onesweep_iterationIS3_Lb0EPKsPsPS5_SB_mNS0_19identity_decomposerENS1_16block_id_wrapperIjLb0EEEEE10hipError_tT1_PNSt15iterator_traitsISG_E10value_typeET2_T3_PNSH_ISM_E10value_typeET4_T5_PSR_SS_PNS1_23onesweep_lookback_stateEbbT6_jjT7_P12ihipStream_tbENKUlT_T0_SG_SL_E_clIS9_SA_SB_SB_EEDaSZ_S10_SG_SL_EUlSZ_E_NS1_11comp_targetILNS1_3genE8ELNS1_11target_archE1030ELNS1_3gpuE2ELNS1_3repE0EEENS1_47radix_sort_onesweep_sort_config_static_selectorELNS0_4arch9wavefront6targetE0EEEvSG_,@function
_ZN7rocprim17ROCPRIM_400000_NS6detail17trampoline_kernelINS0_14default_configENS1_35radix_sort_onesweep_config_selectorIsNS0_10empty_typeEEEZZNS1_29radix_sort_onesweep_iterationIS3_Lb0EPKsPsPS5_SB_mNS0_19identity_decomposerENS1_16block_id_wrapperIjLb0EEEEE10hipError_tT1_PNSt15iterator_traitsISG_E10value_typeET2_T3_PNSH_ISM_E10value_typeET4_T5_PSR_SS_PNS1_23onesweep_lookback_stateEbbT6_jjT7_P12ihipStream_tbENKUlT_T0_SG_SL_E_clIS9_SA_SB_SB_EEDaSZ_S10_SG_SL_EUlSZ_E_NS1_11comp_targetILNS1_3genE8ELNS1_11target_archE1030ELNS1_3gpuE2ELNS1_3repE0EEENS1_47radix_sort_onesweep_sort_config_static_selectorELNS0_4arch9wavefront6targetE0EEEvSG_: ; @_ZN7rocprim17ROCPRIM_400000_NS6detail17trampoline_kernelINS0_14default_configENS1_35radix_sort_onesweep_config_selectorIsNS0_10empty_typeEEEZZNS1_29radix_sort_onesweep_iterationIS3_Lb0EPKsPsPS5_SB_mNS0_19identity_decomposerENS1_16block_id_wrapperIjLb0EEEEE10hipError_tT1_PNSt15iterator_traitsISG_E10value_typeET2_T3_PNSH_ISM_E10value_typeET4_T5_PSR_SS_PNS1_23onesweep_lookback_stateEbbT6_jjT7_P12ihipStream_tbENKUlT_T0_SG_SL_E_clIS9_SA_SB_SB_EEDaSZ_S10_SG_SL_EUlSZ_E_NS1_11comp_targetILNS1_3genE8ELNS1_11target_archE1030ELNS1_3gpuE2ELNS1_3repE0EEENS1_47radix_sort_onesweep_sort_config_static_selectorELNS0_4arch9wavefront6targetE0EEEvSG_
; %bb.0:
	.section	.rodata,"a",@progbits
	.p2align	6, 0x0
	.amdhsa_kernel _ZN7rocprim17ROCPRIM_400000_NS6detail17trampoline_kernelINS0_14default_configENS1_35radix_sort_onesweep_config_selectorIsNS0_10empty_typeEEEZZNS1_29radix_sort_onesweep_iterationIS3_Lb0EPKsPsPS5_SB_mNS0_19identity_decomposerENS1_16block_id_wrapperIjLb0EEEEE10hipError_tT1_PNSt15iterator_traitsISG_E10value_typeET2_T3_PNSH_ISM_E10value_typeET4_T5_PSR_SS_PNS1_23onesweep_lookback_stateEbbT6_jjT7_P12ihipStream_tbENKUlT_T0_SG_SL_E_clIS9_SA_SB_SB_EEDaSZ_S10_SG_SL_EUlSZ_E_NS1_11comp_targetILNS1_3genE8ELNS1_11target_archE1030ELNS1_3gpuE2ELNS1_3repE0EEENS1_47radix_sort_onesweep_sort_config_static_selectorELNS0_4arch9wavefront6targetE0EEEvSG_
		.amdhsa_group_segment_fixed_size 0
		.amdhsa_private_segment_fixed_size 0
		.amdhsa_kernarg_size 88
		.amdhsa_user_sgpr_count 2
		.amdhsa_user_sgpr_dispatch_ptr 0
		.amdhsa_user_sgpr_queue_ptr 0
		.amdhsa_user_sgpr_kernarg_segment_ptr 1
		.amdhsa_user_sgpr_dispatch_id 0
		.amdhsa_user_sgpr_kernarg_preload_length 0
		.amdhsa_user_sgpr_kernarg_preload_offset 0
		.amdhsa_user_sgpr_private_segment_size 0
		.amdhsa_wavefront_size32 1
		.amdhsa_uses_dynamic_stack 0
		.amdhsa_enable_private_segment 0
		.amdhsa_system_sgpr_workgroup_id_x 1
		.amdhsa_system_sgpr_workgroup_id_y 0
		.amdhsa_system_sgpr_workgroup_id_z 0
		.amdhsa_system_sgpr_workgroup_info 0
		.amdhsa_system_vgpr_workitem_id 0
		.amdhsa_next_free_vgpr 1
		.amdhsa_next_free_sgpr 1
		.amdhsa_named_barrier_count 0
		.amdhsa_reserve_vcc 0
		.amdhsa_float_round_mode_32 0
		.amdhsa_float_round_mode_16_64 0
		.amdhsa_float_denorm_mode_32 3
		.amdhsa_float_denorm_mode_16_64 3
		.amdhsa_fp16_overflow 0
		.amdhsa_memory_ordered 1
		.amdhsa_forward_progress 1
		.amdhsa_inst_pref_size 0
		.amdhsa_round_robin_scheduling 0
		.amdhsa_exception_fp_ieee_invalid_op 0
		.amdhsa_exception_fp_denorm_src 0
		.amdhsa_exception_fp_ieee_div_zero 0
		.amdhsa_exception_fp_ieee_overflow 0
		.amdhsa_exception_fp_ieee_underflow 0
		.amdhsa_exception_fp_ieee_inexact 0
		.amdhsa_exception_int_div_zero 0
	.end_amdhsa_kernel
	.section	.text._ZN7rocprim17ROCPRIM_400000_NS6detail17trampoline_kernelINS0_14default_configENS1_35radix_sort_onesweep_config_selectorIsNS0_10empty_typeEEEZZNS1_29radix_sort_onesweep_iterationIS3_Lb0EPKsPsPS5_SB_mNS0_19identity_decomposerENS1_16block_id_wrapperIjLb0EEEEE10hipError_tT1_PNSt15iterator_traitsISG_E10value_typeET2_T3_PNSH_ISM_E10value_typeET4_T5_PSR_SS_PNS1_23onesweep_lookback_stateEbbT6_jjT7_P12ihipStream_tbENKUlT_T0_SG_SL_E_clIS9_SA_SB_SB_EEDaSZ_S10_SG_SL_EUlSZ_E_NS1_11comp_targetILNS1_3genE8ELNS1_11target_archE1030ELNS1_3gpuE2ELNS1_3repE0EEENS1_47radix_sort_onesweep_sort_config_static_selectorELNS0_4arch9wavefront6targetE0EEEvSG_,"axG",@progbits,_ZN7rocprim17ROCPRIM_400000_NS6detail17trampoline_kernelINS0_14default_configENS1_35radix_sort_onesweep_config_selectorIsNS0_10empty_typeEEEZZNS1_29radix_sort_onesweep_iterationIS3_Lb0EPKsPsPS5_SB_mNS0_19identity_decomposerENS1_16block_id_wrapperIjLb0EEEEE10hipError_tT1_PNSt15iterator_traitsISG_E10value_typeET2_T3_PNSH_ISM_E10value_typeET4_T5_PSR_SS_PNS1_23onesweep_lookback_stateEbbT6_jjT7_P12ihipStream_tbENKUlT_T0_SG_SL_E_clIS9_SA_SB_SB_EEDaSZ_S10_SG_SL_EUlSZ_E_NS1_11comp_targetILNS1_3genE8ELNS1_11target_archE1030ELNS1_3gpuE2ELNS1_3repE0EEENS1_47radix_sort_onesweep_sort_config_static_selectorELNS0_4arch9wavefront6targetE0EEEvSG_,comdat
.Lfunc_end739:
	.size	_ZN7rocprim17ROCPRIM_400000_NS6detail17trampoline_kernelINS0_14default_configENS1_35radix_sort_onesweep_config_selectorIsNS0_10empty_typeEEEZZNS1_29radix_sort_onesweep_iterationIS3_Lb0EPKsPsPS5_SB_mNS0_19identity_decomposerENS1_16block_id_wrapperIjLb0EEEEE10hipError_tT1_PNSt15iterator_traitsISG_E10value_typeET2_T3_PNSH_ISM_E10value_typeET4_T5_PSR_SS_PNS1_23onesweep_lookback_stateEbbT6_jjT7_P12ihipStream_tbENKUlT_T0_SG_SL_E_clIS9_SA_SB_SB_EEDaSZ_S10_SG_SL_EUlSZ_E_NS1_11comp_targetILNS1_3genE8ELNS1_11target_archE1030ELNS1_3gpuE2ELNS1_3repE0EEENS1_47radix_sort_onesweep_sort_config_static_selectorELNS0_4arch9wavefront6targetE0EEEvSG_, .Lfunc_end739-_ZN7rocprim17ROCPRIM_400000_NS6detail17trampoline_kernelINS0_14default_configENS1_35radix_sort_onesweep_config_selectorIsNS0_10empty_typeEEEZZNS1_29radix_sort_onesweep_iterationIS3_Lb0EPKsPsPS5_SB_mNS0_19identity_decomposerENS1_16block_id_wrapperIjLb0EEEEE10hipError_tT1_PNSt15iterator_traitsISG_E10value_typeET2_T3_PNSH_ISM_E10value_typeET4_T5_PSR_SS_PNS1_23onesweep_lookback_stateEbbT6_jjT7_P12ihipStream_tbENKUlT_T0_SG_SL_E_clIS9_SA_SB_SB_EEDaSZ_S10_SG_SL_EUlSZ_E_NS1_11comp_targetILNS1_3genE8ELNS1_11target_archE1030ELNS1_3gpuE2ELNS1_3repE0EEENS1_47radix_sort_onesweep_sort_config_static_selectorELNS0_4arch9wavefront6targetE0EEEvSG_
                                        ; -- End function
	.set _ZN7rocprim17ROCPRIM_400000_NS6detail17trampoline_kernelINS0_14default_configENS1_35radix_sort_onesweep_config_selectorIsNS0_10empty_typeEEEZZNS1_29radix_sort_onesweep_iterationIS3_Lb0EPKsPsPS5_SB_mNS0_19identity_decomposerENS1_16block_id_wrapperIjLb0EEEEE10hipError_tT1_PNSt15iterator_traitsISG_E10value_typeET2_T3_PNSH_ISM_E10value_typeET4_T5_PSR_SS_PNS1_23onesweep_lookback_stateEbbT6_jjT7_P12ihipStream_tbENKUlT_T0_SG_SL_E_clIS9_SA_SB_SB_EEDaSZ_S10_SG_SL_EUlSZ_E_NS1_11comp_targetILNS1_3genE8ELNS1_11target_archE1030ELNS1_3gpuE2ELNS1_3repE0EEENS1_47radix_sort_onesweep_sort_config_static_selectorELNS0_4arch9wavefront6targetE0EEEvSG_.num_vgpr, 0
	.set _ZN7rocprim17ROCPRIM_400000_NS6detail17trampoline_kernelINS0_14default_configENS1_35radix_sort_onesweep_config_selectorIsNS0_10empty_typeEEEZZNS1_29radix_sort_onesweep_iterationIS3_Lb0EPKsPsPS5_SB_mNS0_19identity_decomposerENS1_16block_id_wrapperIjLb0EEEEE10hipError_tT1_PNSt15iterator_traitsISG_E10value_typeET2_T3_PNSH_ISM_E10value_typeET4_T5_PSR_SS_PNS1_23onesweep_lookback_stateEbbT6_jjT7_P12ihipStream_tbENKUlT_T0_SG_SL_E_clIS9_SA_SB_SB_EEDaSZ_S10_SG_SL_EUlSZ_E_NS1_11comp_targetILNS1_3genE8ELNS1_11target_archE1030ELNS1_3gpuE2ELNS1_3repE0EEENS1_47radix_sort_onesweep_sort_config_static_selectorELNS0_4arch9wavefront6targetE0EEEvSG_.num_agpr, 0
	.set _ZN7rocprim17ROCPRIM_400000_NS6detail17trampoline_kernelINS0_14default_configENS1_35radix_sort_onesweep_config_selectorIsNS0_10empty_typeEEEZZNS1_29radix_sort_onesweep_iterationIS3_Lb0EPKsPsPS5_SB_mNS0_19identity_decomposerENS1_16block_id_wrapperIjLb0EEEEE10hipError_tT1_PNSt15iterator_traitsISG_E10value_typeET2_T3_PNSH_ISM_E10value_typeET4_T5_PSR_SS_PNS1_23onesweep_lookback_stateEbbT6_jjT7_P12ihipStream_tbENKUlT_T0_SG_SL_E_clIS9_SA_SB_SB_EEDaSZ_S10_SG_SL_EUlSZ_E_NS1_11comp_targetILNS1_3genE8ELNS1_11target_archE1030ELNS1_3gpuE2ELNS1_3repE0EEENS1_47radix_sort_onesweep_sort_config_static_selectorELNS0_4arch9wavefront6targetE0EEEvSG_.numbered_sgpr, 0
	.set _ZN7rocprim17ROCPRIM_400000_NS6detail17trampoline_kernelINS0_14default_configENS1_35radix_sort_onesweep_config_selectorIsNS0_10empty_typeEEEZZNS1_29radix_sort_onesweep_iterationIS3_Lb0EPKsPsPS5_SB_mNS0_19identity_decomposerENS1_16block_id_wrapperIjLb0EEEEE10hipError_tT1_PNSt15iterator_traitsISG_E10value_typeET2_T3_PNSH_ISM_E10value_typeET4_T5_PSR_SS_PNS1_23onesweep_lookback_stateEbbT6_jjT7_P12ihipStream_tbENKUlT_T0_SG_SL_E_clIS9_SA_SB_SB_EEDaSZ_S10_SG_SL_EUlSZ_E_NS1_11comp_targetILNS1_3genE8ELNS1_11target_archE1030ELNS1_3gpuE2ELNS1_3repE0EEENS1_47radix_sort_onesweep_sort_config_static_selectorELNS0_4arch9wavefront6targetE0EEEvSG_.num_named_barrier, 0
	.set _ZN7rocprim17ROCPRIM_400000_NS6detail17trampoline_kernelINS0_14default_configENS1_35radix_sort_onesweep_config_selectorIsNS0_10empty_typeEEEZZNS1_29radix_sort_onesweep_iterationIS3_Lb0EPKsPsPS5_SB_mNS0_19identity_decomposerENS1_16block_id_wrapperIjLb0EEEEE10hipError_tT1_PNSt15iterator_traitsISG_E10value_typeET2_T3_PNSH_ISM_E10value_typeET4_T5_PSR_SS_PNS1_23onesweep_lookback_stateEbbT6_jjT7_P12ihipStream_tbENKUlT_T0_SG_SL_E_clIS9_SA_SB_SB_EEDaSZ_S10_SG_SL_EUlSZ_E_NS1_11comp_targetILNS1_3genE8ELNS1_11target_archE1030ELNS1_3gpuE2ELNS1_3repE0EEENS1_47radix_sort_onesweep_sort_config_static_selectorELNS0_4arch9wavefront6targetE0EEEvSG_.private_seg_size, 0
	.set _ZN7rocprim17ROCPRIM_400000_NS6detail17trampoline_kernelINS0_14default_configENS1_35radix_sort_onesweep_config_selectorIsNS0_10empty_typeEEEZZNS1_29radix_sort_onesweep_iterationIS3_Lb0EPKsPsPS5_SB_mNS0_19identity_decomposerENS1_16block_id_wrapperIjLb0EEEEE10hipError_tT1_PNSt15iterator_traitsISG_E10value_typeET2_T3_PNSH_ISM_E10value_typeET4_T5_PSR_SS_PNS1_23onesweep_lookback_stateEbbT6_jjT7_P12ihipStream_tbENKUlT_T0_SG_SL_E_clIS9_SA_SB_SB_EEDaSZ_S10_SG_SL_EUlSZ_E_NS1_11comp_targetILNS1_3genE8ELNS1_11target_archE1030ELNS1_3gpuE2ELNS1_3repE0EEENS1_47radix_sort_onesweep_sort_config_static_selectorELNS0_4arch9wavefront6targetE0EEEvSG_.uses_vcc, 0
	.set _ZN7rocprim17ROCPRIM_400000_NS6detail17trampoline_kernelINS0_14default_configENS1_35radix_sort_onesweep_config_selectorIsNS0_10empty_typeEEEZZNS1_29radix_sort_onesweep_iterationIS3_Lb0EPKsPsPS5_SB_mNS0_19identity_decomposerENS1_16block_id_wrapperIjLb0EEEEE10hipError_tT1_PNSt15iterator_traitsISG_E10value_typeET2_T3_PNSH_ISM_E10value_typeET4_T5_PSR_SS_PNS1_23onesweep_lookback_stateEbbT6_jjT7_P12ihipStream_tbENKUlT_T0_SG_SL_E_clIS9_SA_SB_SB_EEDaSZ_S10_SG_SL_EUlSZ_E_NS1_11comp_targetILNS1_3genE8ELNS1_11target_archE1030ELNS1_3gpuE2ELNS1_3repE0EEENS1_47radix_sort_onesweep_sort_config_static_selectorELNS0_4arch9wavefront6targetE0EEEvSG_.uses_flat_scratch, 0
	.set _ZN7rocprim17ROCPRIM_400000_NS6detail17trampoline_kernelINS0_14default_configENS1_35radix_sort_onesweep_config_selectorIsNS0_10empty_typeEEEZZNS1_29radix_sort_onesweep_iterationIS3_Lb0EPKsPsPS5_SB_mNS0_19identity_decomposerENS1_16block_id_wrapperIjLb0EEEEE10hipError_tT1_PNSt15iterator_traitsISG_E10value_typeET2_T3_PNSH_ISM_E10value_typeET4_T5_PSR_SS_PNS1_23onesweep_lookback_stateEbbT6_jjT7_P12ihipStream_tbENKUlT_T0_SG_SL_E_clIS9_SA_SB_SB_EEDaSZ_S10_SG_SL_EUlSZ_E_NS1_11comp_targetILNS1_3genE8ELNS1_11target_archE1030ELNS1_3gpuE2ELNS1_3repE0EEENS1_47radix_sort_onesweep_sort_config_static_selectorELNS0_4arch9wavefront6targetE0EEEvSG_.has_dyn_sized_stack, 0
	.set _ZN7rocprim17ROCPRIM_400000_NS6detail17trampoline_kernelINS0_14default_configENS1_35radix_sort_onesweep_config_selectorIsNS0_10empty_typeEEEZZNS1_29radix_sort_onesweep_iterationIS3_Lb0EPKsPsPS5_SB_mNS0_19identity_decomposerENS1_16block_id_wrapperIjLb0EEEEE10hipError_tT1_PNSt15iterator_traitsISG_E10value_typeET2_T3_PNSH_ISM_E10value_typeET4_T5_PSR_SS_PNS1_23onesweep_lookback_stateEbbT6_jjT7_P12ihipStream_tbENKUlT_T0_SG_SL_E_clIS9_SA_SB_SB_EEDaSZ_S10_SG_SL_EUlSZ_E_NS1_11comp_targetILNS1_3genE8ELNS1_11target_archE1030ELNS1_3gpuE2ELNS1_3repE0EEENS1_47radix_sort_onesweep_sort_config_static_selectorELNS0_4arch9wavefront6targetE0EEEvSG_.has_recursion, 0
	.set _ZN7rocprim17ROCPRIM_400000_NS6detail17trampoline_kernelINS0_14default_configENS1_35radix_sort_onesweep_config_selectorIsNS0_10empty_typeEEEZZNS1_29radix_sort_onesweep_iterationIS3_Lb0EPKsPsPS5_SB_mNS0_19identity_decomposerENS1_16block_id_wrapperIjLb0EEEEE10hipError_tT1_PNSt15iterator_traitsISG_E10value_typeET2_T3_PNSH_ISM_E10value_typeET4_T5_PSR_SS_PNS1_23onesweep_lookback_stateEbbT6_jjT7_P12ihipStream_tbENKUlT_T0_SG_SL_E_clIS9_SA_SB_SB_EEDaSZ_S10_SG_SL_EUlSZ_E_NS1_11comp_targetILNS1_3genE8ELNS1_11target_archE1030ELNS1_3gpuE2ELNS1_3repE0EEENS1_47radix_sort_onesweep_sort_config_static_selectorELNS0_4arch9wavefront6targetE0EEEvSG_.has_indirect_call, 0
	.section	.AMDGPU.csdata,"",@progbits
; Kernel info:
; codeLenInByte = 0
; TotalNumSgprs: 0
; NumVgprs: 0
; ScratchSize: 0
; MemoryBound: 0
; FloatMode: 240
; IeeeMode: 1
; LDSByteSize: 0 bytes/workgroup (compile time only)
; SGPRBlocks: 0
; VGPRBlocks: 0
; NumSGPRsForWavesPerEU: 1
; NumVGPRsForWavesPerEU: 1
; NamedBarCnt: 0
; Occupancy: 16
; WaveLimiterHint : 0
; COMPUTE_PGM_RSRC2:SCRATCH_EN: 0
; COMPUTE_PGM_RSRC2:USER_SGPR: 2
; COMPUTE_PGM_RSRC2:TRAP_HANDLER: 0
; COMPUTE_PGM_RSRC2:TGID_X_EN: 1
; COMPUTE_PGM_RSRC2:TGID_Y_EN: 0
; COMPUTE_PGM_RSRC2:TGID_Z_EN: 0
; COMPUTE_PGM_RSRC2:TIDIG_COMP_CNT: 0
	.section	.text._ZN7rocprim17ROCPRIM_400000_NS6detail17trampoline_kernelINS0_14default_configENS1_35radix_sort_onesweep_config_selectorIsNS0_10empty_typeEEEZZNS1_29radix_sort_onesweep_iterationIS3_Lb0EPKsPsPS5_SB_mNS0_19identity_decomposerENS1_16block_id_wrapperIjLb0EEEEE10hipError_tT1_PNSt15iterator_traitsISG_E10value_typeET2_T3_PNSH_ISM_E10value_typeET4_T5_PSR_SS_PNS1_23onesweep_lookback_stateEbbT6_jjT7_P12ihipStream_tbENKUlT_T0_SG_SL_E_clISA_SA_SB_SB_EEDaSZ_S10_SG_SL_EUlSZ_E_NS1_11comp_targetILNS1_3genE0ELNS1_11target_archE4294967295ELNS1_3gpuE0ELNS1_3repE0EEENS1_47radix_sort_onesweep_sort_config_static_selectorELNS0_4arch9wavefront6targetE0EEEvSG_,"axG",@progbits,_ZN7rocprim17ROCPRIM_400000_NS6detail17trampoline_kernelINS0_14default_configENS1_35radix_sort_onesweep_config_selectorIsNS0_10empty_typeEEEZZNS1_29radix_sort_onesweep_iterationIS3_Lb0EPKsPsPS5_SB_mNS0_19identity_decomposerENS1_16block_id_wrapperIjLb0EEEEE10hipError_tT1_PNSt15iterator_traitsISG_E10value_typeET2_T3_PNSH_ISM_E10value_typeET4_T5_PSR_SS_PNS1_23onesweep_lookback_stateEbbT6_jjT7_P12ihipStream_tbENKUlT_T0_SG_SL_E_clISA_SA_SB_SB_EEDaSZ_S10_SG_SL_EUlSZ_E_NS1_11comp_targetILNS1_3genE0ELNS1_11target_archE4294967295ELNS1_3gpuE0ELNS1_3repE0EEENS1_47radix_sort_onesweep_sort_config_static_selectorELNS0_4arch9wavefront6targetE0EEEvSG_,comdat
	.protected	_ZN7rocprim17ROCPRIM_400000_NS6detail17trampoline_kernelINS0_14default_configENS1_35radix_sort_onesweep_config_selectorIsNS0_10empty_typeEEEZZNS1_29radix_sort_onesweep_iterationIS3_Lb0EPKsPsPS5_SB_mNS0_19identity_decomposerENS1_16block_id_wrapperIjLb0EEEEE10hipError_tT1_PNSt15iterator_traitsISG_E10value_typeET2_T3_PNSH_ISM_E10value_typeET4_T5_PSR_SS_PNS1_23onesweep_lookback_stateEbbT6_jjT7_P12ihipStream_tbENKUlT_T0_SG_SL_E_clISA_SA_SB_SB_EEDaSZ_S10_SG_SL_EUlSZ_E_NS1_11comp_targetILNS1_3genE0ELNS1_11target_archE4294967295ELNS1_3gpuE0ELNS1_3repE0EEENS1_47radix_sort_onesweep_sort_config_static_selectorELNS0_4arch9wavefront6targetE0EEEvSG_ ; -- Begin function _ZN7rocprim17ROCPRIM_400000_NS6detail17trampoline_kernelINS0_14default_configENS1_35radix_sort_onesweep_config_selectorIsNS0_10empty_typeEEEZZNS1_29radix_sort_onesweep_iterationIS3_Lb0EPKsPsPS5_SB_mNS0_19identity_decomposerENS1_16block_id_wrapperIjLb0EEEEE10hipError_tT1_PNSt15iterator_traitsISG_E10value_typeET2_T3_PNSH_ISM_E10value_typeET4_T5_PSR_SS_PNS1_23onesweep_lookback_stateEbbT6_jjT7_P12ihipStream_tbENKUlT_T0_SG_SL_E_clISA_SA_SB_SB_EEDaSZ_S10_SG_SL_EUlSZ_E_NS1_11comp_targetILNS1_3genE0ELNS1_11target_archE4294967295ELNS1_3gpuE0ELNS1_3repE0EEENS1_47radix_sort_onesweep_sort_config_static_selectorELNS0_4arch9wavefront6targetE0EEEvSG_
	.globl	_ZN7rocprim17ROCPRIM_400000_NS6detail17trampoline_kernelINS0_14default_configENS1_35radix_sort_onesweep_config_selectorIsNS0_10empty_typeEEEZZNS1_29radix_sort_onesweep_iterationIS3_Lb0EPKsPsPS5_SB_mNS0_19identity_decomposerENS1_16block_id_wrapperIjLb0EEEEE10hipError_tT1_PNSt15iterator_traitsISG_E10value_typeET2_T3_PNSH_ISM_E10value_typeET4_T5_PSR_SS_PNS1_23onesweep_lookback_stateEbbT6_jjT7_P12ihipStream_tbENKUlT_T0_SG_SL_E_clISA_SA_SB_SB_EEDaSZ_S10_SG_SL_EUlSZ_E_NS1_11comp_targetILNS1_3genE0ELNS1_11target_archE4294967295ELNS1_3gpuE0ELNS1_3repE0EEENS1_47radix_sort_onesweep_sort_config_static_selectorELNS0_4arch9wavefront6targetE0EEEvSG_
	.p2align	8
	.type	_ZN7rocprim17ROCPRIM_400000_NS6detail17trampoline_kernelINS0_14default_configENS1_35radix_sort_onesweep_config_selectorIsNS0_10empty_typeEEEZZNS1_29radix_sort_onesweep_iterationIS3_Lb0EPKsPsPS5_SB_mNS0_19identity_decomposerENS1_16block_id_wrapperIjLb0EEEEE10hipError_tT1_PNSt15iterator_traitsISG_E10value_typeET2_T3_PNSH_ISM_E10value_typeET4_T5_PSR_SS_PNS1_23onesweep_lookback_stateEbbT6_jjT7_P12ihipStream_tbENKUlT_T0_SG_SL_E_clISA_SA_SB_SB_EEDaSZ_S10_SG_SL_EUlSZ_E_NS1_11comp_targetILNS1_3genE0ELNS1_11target_archE4294967295ELNS1_3gpuE0ELNS1_3repE0EEENS1_47radix_sort_onesweep_sort_config_static_selectorELNS0_4arch9wavefront6targetE0EEEvSG_,@function
_ZN7rocprim17ROCPRIM_400000_NS6detail17trampoline_kernelINS0_14default_configENS1_35radix_sort_onesweep_config_selectorIsNS0_10empty_typeEEEZZNS1_29radix_sort_onesweep_iterationIS3_Lb0EPKsPsPS5_SB_mNS0_19identity_decomposerENS1_16block_id_wrapperIjLb0EEEEE10hipError_tT1_PNSt15iterator_traitsISG_E10value_typeET2_T3_PNSH_ISM_E10value_typeET4_T5_PSR_SS_PNS1_23onesweep_lookback_stateEbbT6_jjT7_P12ihipStream_tbENKUlT_T0_SG_SL_E_clISA_SA_SB_SB_EEDaSZ_S10_SG_SL_EUlSZ_E_NS1_11comp_targetILNS1_3genE0ELNS1_11target_archE4294967295ELNS1_3gpuE0ELNS1_3repE0EEENS1_47radix_sort_onesweep_sort_config_static_selectorELNS0_4arch9wavefront6targetE0EEEvSG_: ; @_ZN7rocprim17ROCPRIM_400000_NS6detail17trampoline_kernelINS0_14default_configENS1_35radix_sort_onesweep_config_selectorIsNS0_10empty_typeEEEZZNS1_29radix_sort_onesweep_iterationIS3_Lb0EPKsPsPS5_SB_mNS0_19identity_decomposerENS1_16block_id_wrapperIjLb0EEEEE10hipError_tT1_PNSt15iterator_traitsISG_E10value_typeET2_T3_PNSH_ISM_E10value_typeET4_T5_PSR_SS_PNS1_23onesweep_lookback_stateEbbT6_jjT7_P12ihipStream_tbENKUlT_T0_SG_SL_E_clISA_SA_SB_SB_EEDaSZ_S10_SG_SL_EUlSZ_E_NS1_11comp_targetILNS1_3genE0ELNS1_11target_archE4294967295ELNS1_3gpuE0ELNS1_3repE0EEENS1_47radix_sort_onesweep_sort_config_static_selectorELNS0_4arch9wavefront6targetE0EEEvSG_
; %bb.0:
	s_clause 0x3
	s_load_b96 s[20:22], s[0:1], 0x44
	s_load_b64 s[10:11], s[0:1], 0x38
	s_load_b128 s[16:19], s[0:1], 0x0
	s_load_b128 s[12:15], s[0:1], 0x28
	s_bfe_u32 s2, ttmp6, 0x4000c
	s_and_b32 s3, ttmp6, 15
	s_add_co_i32 s2, s2, 1
	s_getreg_b32 s4, hwreg(HW_REG_IB_STS2, 6, 4)
	s_mul_i32 s5, ttmp9, s2
	v_mbcnt_lo_u32_b32 v14, -1, 0
	s_add_co_i32 s3, s3, s5
	s_cmp_eq_u32 s4, 0
	v_and_b32_e32 v15, 0x1e0, v0
	s_cselect_b32 s9, ttmp9, s3
	s_mov_b32 s25, 0
	s_mov_b32 s2, -1
	s_mul_i32 s24, s9, 0x1800
	s_add_nc_u64 s[26:27], s[0:1], 0x58
	s_wait_kmcnt 0x0
	s_cmp_ge_u32 s9, s22
	s_cbranch_scc0 .LBB740_96
; %bb.1:
	s_load_b32 s4, s[0:1], 0x20
	v_dual_mov_b32 v9, 0 :: v_dual_lshlrev_b32 v8, 1, v14
	s_lshl_b64 s[2:3], s[24:25], 1
	v_mul_u32_u24_e32 v1, 12, v15
	s_add_nc_u64 s[2:3], s[16:17], s[2:3]
	v_mov_b32_e32 v2, 0x7fff7fff
	v_add_nc_u64_e32 v[10:11], s[2:3], v[8:9]
	s_mul_i32 s5, s22, 0xffffe800
	v_dual_lshlrev_b32 v8, 1, v1 :: v_dual_bitop2_b32 v1, v14, v1 bitop3:0x54
	s_delay_alu instid0(VALU_DEP_3) | instskip(SKIP_1) | instid1(VALU_DEP_3)
	v_dual_mov_b32 v3, v2 :: v_dual_mov_b32 v4, v2
	v_dual_mov_b32 v5, v2 :: v_dual_mov_b32 v6, v2
	v_add_nc_u64_e32 v[10:11], v[10:11], v[8:9]
	v_mov_b32_e32 v7, v2
	s_mov_b32 s2, exec_lo
	s_wait_kmcnt 0x0
	s_add_co_i32 s22, s4, s5
	s_delay_alu instid0(SALU_CYCLE_1)
	v_cmpx_gt_u32_e64 s22, v1
	s_cbranch_execz .LBB740_3
; %bb.2:
	global_load_u16 v3, v[10:11], off
	s_movk_i32 s3, 0x7fff
	v_dual_mov_b32 v5, v2 :: v_dual_mov_b32 v6, v2
	v_dual_mov_b32 v7, v2 :: v_dual_mov_b32 v8, v2
	v_mov_b32_e32 v9, v2
	s_wait_loadcnt 0x0
	v_perm_b32 v4, s3, v3, 0x5040100
	s_delay_alu instid0(VALU_DEP_1)
	v_mov_b64_e32 v[2:3], v[4:5]
	v_mov_b64_e32 v[4:5], v[6:7]
	;; [unrolled: 1-line block ×4, first 2 shown]
.LBB740_3:
	s_or_b32 exec_lo, exec_lo, s2
	v_or_b32_e32 v8, 32, v1
	s_mov_b32 s2, exec_lo
	s_delay_alu instid0(VALU_DEP_1)
	v_cmpx_gt_u32_e64 s22, v8
	s_cbranch_execz .LBB740_5
; %bb.4:
	global_load_u16 v8, v[10:11], off offset:64
	s_wait_loadcnt 0x0
	v_perm_b32 v2, v8, v2, 0x5040100
.LBB740_5:
	s_or_b32 exec_lo, exec_lo, s2
	v_or_b32_e32 v8, 64, v1
	s_mov_b32 s2, exec_lo
	s_delay_alu instid0(VALU_DEP_1)
	v_cmpx_gt_u32_e64 s22, v8
	s_cbranch_execz .LBB740_7
; %bb.6:
	global_load_u16 v8, v[10:11], off offset:128
	s_wait_loadcnt 0x0
	v_bfi_b32 v3, 0xffff, v8, v3
.LBB740_7:
	s_or_b32 exec_lo, exec_lo, s2
	v_or_b32_e32 v8, 0x60, v1
	s_mov_b32 s2, exec_lo
	s_delay_alu instid0(VALU_DEP_1)
	v_cmpx_gt_u32_e64 s22, v8
	s_cbranch_execz .LBB740_9
; %bb.8:
	global_load_u16 v8, v[10:11], off offset:192
	s_wait_loadcnt 0x0
	v_perm_b32 v3, v8, v3, 0x5040100
.LBB740_9:
	s_or_b32 exec_lo, exec_lo, s2
	v_add_nc_u32_e32 v8, 0x80, v1
	s_mov_b32 s2, exec_lo
	s_delay_alu instid0(VALU_DEP_1)
	v_cmpx_gt_u32_e64 s22, v8
	s_cbranch_execz .LBB740_11
; %bb.10:
	global_load_u16 v8, v[10:11], off offset:256
	s_wait_loadcnt 0x0
	v_bfi_b32 v4, 0xffff, v8, v4
.LBB740_11:
	s_or_b32 exec_lo, exec_lo, s2
	v_add_nc_u32_e32 v8, 0xa0, v1
	s_mov_b32 s2, exec_lo
	s_delay_alu instid0(VALU_DEP_1)
	v_cmpx_gt_u32_e64 s22, v8
	s_cbranch_execz .LBB740_13
; %bb.12:
	global_load_u16 v8, v[10:11], off offset:320
	s_wait_loadcnt 0x0
	v_perm_b32 v4, v8, v4, 0x5040100
.LBB740_13:
	s_or_b32 exec_lo, exec_lo, s2
	v_add_nc_u32_e32 v8, 0xc0, v1
	s_mov_b32 s2, exec_lo
	s_delay_alu instid0(VALU_DEP_1)
	v_cmpx_gt_u32_e64 s22, v8
	s_cbranch_execz .LBB740_15
; %bb.14:
	global_load_u16 v8, v[10:11], off offset:384
	s_wait_loadcnt 0x0
	v_bfi_b32 v5, 0xffff, v8, v5
.LBB740_15:
	s_or_b32 exec_lo, exec_lo, s2
	v_add_nc_u32_e32 v8, 0xe0, v1
	;; [unrolled: 22-line block ×4, first 2 shown]
	v_and_b32_e32 v1, 0x3ff, v0
	s_mov_b32 s2, exec_lo
	s_delay_alu instid0(VALU_DEP_2)
	v_cmpx_gt_u32_e64 s22, v8
	s_cbranch_execz .LBB740_25
; %bb.24:
	global_load_u16 v8, v[10:11], off offset:704
	s_wait_loadcnt 0x0
	v_perm_b32 v7, v8, v7, 0x5040100
.LBB740_25:
	s_or_b32 exec_lo, exec_lo, s2
	s_clause 0x1
	s_load_b32 s23, s[0:1], 0x58
	s_load_u16 s4, s[0:1], 0x66
	v_xor_b32_e32 v10, 0xffff8000, v2
	v_bfe_u32 v9, v0, 10, 10
	v_bfe_u32 v11, v0, 20, 10
	s_mov_b32 s3, 0
	s_delay_alu instid0(VALU_DEP_3) | instskip(NEXT) | instid1(VALU_DEP_1)
	v_and_b32_e32 v8, 0xffff, v10
	v_lshrrev_b32_e32 v8, s20, v8
	s_wait_kmcnt 0x0
	s_cmp_lt_u32 s9, s23
	v_mad_u32_u24 v9, v11, s4, v9
	s_cselect_b32 s2, 12, 18
	s_lshl_b32 s25, -1, s21
	s_add_nc_u64 s[2:3], s[26:27], s[2:3]
	v_bitop3_b32 v11, v8, 1, s25 bitop3:0x40
	v_bitop3_b32 v12, v8, s25, v8 bitop3:0x30
	s_load_u16 s28, s[2:3], 0x0
	s_not_b32 s25, s25
	s_wait_xcnt 0x0
	v_add_co_u32 v8, s2, v11, -1
	s_delay_alu instid0(VALU_DEP_1) | instskip(SKIP_2) | instid1(VALU_DEP_3)
	v_cndmask_b32_e64 v11, 0, 1, s2
	v_dual_lshlrev_b32 v13, 30, v12 :: v_dual_lshlrev_b32 v16, 29, v12
	v_dual_lshlrev_b32 v17, 28, v12 :: v_dual_lshlrev_b32 v18, 27, v12
	v_cmp_ne_u32_e32 vcc_lo, 0, v11
	s_delay_alu instid0(VALU_DEP_3)
	v_not_b32_e32 v11, v13
	v_dual_lshlrev_b32 v19, 26, v12 :: v_dual_lshlrev_b32 v20, 25, v12
	v_cmp_gt_i32_e64 s2, 0, v13
	v_cmp_gt_i32_e64 s3, 0, v16
	v_not_b32_e32 v13, v16
	v_not_b32_e32 v16, v17
	v_dual_ashrrev_i32 v11, 31, v11 :: v_dual_lshlrev_b32 v21, 24, v12
	v_cmp_gt_i32_e64 s4, 0, v17
	v_cmp_gt_i32_e64 s5, 0, v18
	v_not_b32_e32 v17, v18
	v_not_b32_e32 v18, v19
	v_dual_ashrrev_i32 v13, 31, v13 :: v_dual_bitop2_b32 v8, vcc_lo, v8 bitop3:0x14
	v_dual_ashrrev_i32 v16, 31, v16 :: v_dual_bitop2_b32 v11, s2, v11 bitop3:0x14
	v_cmp_gt_i32_e64 s6, 0, v19
	v_not_b32_e32 v19, v20
	v_dual_ashrrev_i32 v17, 31, v17 :: v_dual_ashrrev_i32 v18, 31, v18
	v_xor_b32_e32 v13, s3, v13
	s_delay_alu instid0(VALU_DEP_3)
	v_dual_ashrrev_i32 v19, 31, v19 :: v_dual_bitop2_b32 v16, s4, v16 bitop3:0x14
	v_bitop3_b32 v8, v8, v11, exec_lo bitop3:0x80
	v_not_b32_e32 v11, v21
	v_cmp_gt_i32_e64 s7, 0, v20
	v_cmp_gt_i32_e64 s8, 0, v21
	v_xor_b32_e32 v17, s5, v17
	v_xor_b32_e32 v18, s6, v18
	v_bitop3_b32 v8, v8, v16, v13 bitop3:0x80
	v_ashrrev_i32_e32 v11, 31, v11
	s_wait_kmcnt 0x0
	v_mad_u32 v20, v9, s28, v1
	v_dual_mov_b32 v16, 0 :: v_dual_bitop2_b32 v19, s7, v19 bitop3:0x14
	v_bitop3_b32 v8, v8, v18, v17 bitop3:0x80
	v_mul_u32_u24_e32 v12, 0x44, v12
	v_xor_b32_e32 v9, s8, v11
	v_mul_u32_u24_e32 v13, 36, v1
	ds_store_2addr_b32 v13, v16, v16 offset0:16 offset1:17
	ds_store_2addr_b32 v13, v16, v16 offset0:18 offset1:19
	;; [unrolled: 1-line block ×4, first 2 shown]
	v_bitop3_b32 v9, v8, v9, v19 bitop3:0x80
	v_lshrrev_b32_e32 v8, 3, v20
	ds_store_b32 v13, v16 offset:96
	s_wait_dscnt 0x0
	s_barrier_signal -1
	v_mbcnt_lo_u32_b32 v11, v9, 0
	v_and_b32_e32 v8, 0x1ffffffc, v8
	v_cmp_ne_u32_e64 s2, 0, v9
	s_barrier_wait -1
	s_delay_alu instid0(VALU_DEP_3) | instskip(NEXT) | instid1(VALU_DEP_3)
	v_cmp_eq_u32_e32 vcc_lo, 0, v11
	v_add_nc_u32_e32 v16, v8, v12
	; wave barrier
	s_and_b32 s3, s2, vcc_lo
	s_delay_alu instid0(SALU_CYCLE_1)
	s_and_saveexec_b32 s2, s3
; %bb.26:
	v_bcnt_u32_b32 v9, v9, 0
	ds_store_b32 v16, v9 offset:64
; %bb.27:
	s_or_b32 exec_lo, exec_lo, s2
	v_lshrrev_b32_e32 v2, 16, v2
	; wave barrier
	s_delay_alu instid0(VALU_DEP_1) | instskip(NEXT) | instid1(VALU_DEP_1)
	v_xor_b32_e32 v12, 0xffff8000, v2
	v_and_b32_e32 v2, 0xffff, v12
	s_delay_alu instid0(VALU_DEP_1) | instskip(NEXT) | instid1(VALU_DEP_1)
	v_lshrrev_b32_e32 v2, s20, v2
	v_and_b32_e32 v17, s25, v2
	s_delay_alu instid0(VALU_DEP_1) | instskip(SKIP_2) | instid1(VALU_DEP_3)
	v_lshlrev_b32_e32 v19, 29, v17
	v_bitop3_b32 v9, v2, 1, s25 bitop3:0x80
	v_lshlrev_b32_e32 v18, 30, v17
	v_cmp_gt_i32_e64 s3, 0, v19
	s_delay_alu instid0(VALU_DEP_3) | instskip(NEXT) | instid1(VALU_DEP_1)
	v_add_co_u32 v2, s2, v9, -1
	v_cndmask_b32_e64 v9, 0, 1, s2
	s_delay_alu instid0(VALU_DEP_4) | instskip(NEXT) | instid1(VALU_DEP_2)
	v_cmp_gt_i32_e64 s2, 0, v18
	v_cmp_ne_u32_e32 vcc_lo, 0, v9
	v_not_b32_e32 v9, v18
	v_not_b32_e32 v18, v19
	s_delay_alu instid0(VALU_DEP_2) | instskip(SKIP_3) | instid1(VALU_DEP_3)
	v_dual_ashrrev_i32 v9, 31, v9 :: v_dual_bitop2_b32 v2, vcc_lo, v2 bitop3:0x14
	v_dual_lshlrev_b32 v20, 28, v17 :: v_dual_lshlrev_b32 v21, 27, v17
	v_dual_lshlrev_b32 v22, 26, v17 :: v_dual_lshlrev_b32 v23, 25, v17
	v_lshlrev_b32_e32 v24, 24, v17
	v_not_b32_e32 v19, v20
	v_cmp_gt_i32_e64 s4, 0, v20
	v_cmp_gt_i32_e64 s5, 0, v21
	v_not_b32_e32 v20, v21
	v_not_b32_e32 v21, v22
	v_dual_ashrrev_i32 v18, 31, v18 :: v_dual_ashrrev_i32 v19, 31, v19
	s_delay_alu instid0(VALU_DEP_3)
	v_dual_ashrrev_i32 v20, 31, v20 :: v_dual_bitop2_b32 v9, s2, v9 bitop3:0x14
	v_cmp_gt_i32_e64 s6, 0, v22
	v_cmp_gt_i32_e64 s7, 0, v23
	v_not_b32_e32 v22, v23
	v_not_b32_e32 v23, v24
	v_dual_ashrrev_i32 v21, 31, v21 :: v_dual_bitop2_b32 v18, s3, v18 bitop3:0x14
	v_xor_b32_e32 v19, s4, v19
	v_bitop3_b32 v2, v2, v9, exec_lo bitop3:0x80
	v_cmp_gt_i32_e64 s8, 0, v24
	v_dual_ashrrev_i32 v9, 31, v22 :: v_dual_ashrrev_i32 v22, 31, v23
	v_xor_b32_e32 v20, s5, v20
	v_xor_b32_e32 v21, s6, v21
	v_bitop3_b32 v2, v2, v19, v18 bitop3:0x80
	v_mad_u32_u24 v18, 0x44, v17, v8
	v_xor_b32_e32 v9, s7, v9
	v_xor_b32_e32 v19, s8, v22
	s_delay_alu instid0(VALU_DEP_4) | instskip(SKIP_3) | instid1(VALU_DEP_2)
	v_bitop3_b32 v2, v2, v21, v20 bitop3:0x80
	ds_load_b32 v18, v18 offset:64
	; wave barrier
	v_bitop3_b32 v2, v2, v19, v9 bitop3:0x80
	v_mul_u32_u24_e32 v9, 0x44, v17
	v_mbcnt_lo_u32_b32 v19, v2, 0
	v_cmp_ne_u32_e64 s2, 0, v2
	s_delay_alu instid0(VALU_DEP_3) | instskip(NEXT) | instid1(VALU_DEP_3)
	v_add_nc_u32_e32 v20, v8, v9
	v_cmp_eq_u32_e32 vcc_lo, 0, v19
	s_and_b32 s3, s2, vcc_lo
	s_delay_alu instid0(SALU_CYCLE_1)
	s_and_saveexec_b32 s2, s3
	s_cbranch_execz .LBB740_29
; %bb.28:
	s_wait_dscnt 0x0
	v_bcnt_u32_b32 v2, v2, v18
	ds_store_b32 v20, v2 offset:64
.LBB740_29:
	s_or_b32 exec_lo, exec_lo, s2
	v_xor_b32_e32 v17, 0xffff8000, v3
	; wave barrier
	s_delay_alu instid0(VALU_DEP_1) | instskip(NEXT) | instid1(VALU_DEP_1)
	v_and_b32_e32 v2, 0xffff, v17
	v_lshrrev_b32_e32 v2, s20, v2
	s_delay_alu instid0(VALU_DEP_1) | instskip(NEXT) | instid1(VALU_DEP_1)
	v_and_b32_e32 v21, s25, v2
	v_lshlrev_b32_e32 v22, 30, v21
	v_bitop3_b32 v9, v2, 1, s25 bitop3:0x80
	s_delay_alu instid0(VALU_DEP_1) | instskip(NEXT) | instid1(VALU_DEP_1)
	v_add_co_u32 v2, s2, v9, -1
	v_cndmask_b32_e64 v9, 0, 1, s2
	s_delay_alu instid0(VALU_DEP_4) | instskip(NEXT) | instid1(VALU_DEP_2)
	v_cmp_gt_i32_e64 s2, 0, v22
	v_cmp_ne_u32_e32 vcc_lo, 0, v9
	v_not_b32_e32 v9, v22
	s_delay_alu instid0(VALU_DEP_1) | instskip(SKIP_3) | instid1(VALU_DEP_3)
	v_ashrrev_i32_e32 v9, 31, v9
	v_dual_lshlrev_b32 v23, 29, v21 :: v_dual_lshlrev_b32 v24, 28, v21
	v_dual_lshlrev_b32 v25, 27, v21 :: v_dual_lshlrev_b32 v26, 26, v21
	v_dual_lshlrev_b32 v27, 25, v21 :: v_dual_lshlrev_b32 v28, 24, v21
	v_cmp_gt_i32_e64 s3, 0, v23
	v_not_b32_e32 v22, v23
	v_not_b32_e32 v23, v24
	v_cmp_gt_i32_e64 s4, 0, v24
	v_cmp_gt_i32_e64 s5, 0, v25
	v_not_b32_e32 v24, v25
	v_not_b32_e32 v25, v26
	v_dual_ashrrev_i32 v23, 31, v23 :: v_dual_bitop2_b32 v2, vcc_lo, v2 bitop3:0x14
	v_dual_ashrrev_i32 v22, 31, v22 :: v_dual_bitop2_b32 v9, s2, v9 bitop3:0x14
	v_cmp_gt_i32_e64 s6, 0, v26
	v_cmp_gt_i32_e64 s7, 0, v27
	v_not_b32_e32 v26, v27
	v_not_b32_e32 v27, v28
	v_dual_ashrrev_i32 v24, 31, v24 :: v_dual_ashrrev_i32 v25, 31, v25
	v_xor_b32_e32 v22, s3, v22
	v_xor_b32_e32 v23, s4, v23
	v_bitop3_b32 v2, v2, v9, exec_lo bitop3:0x80
	v_cmp_gt_i32_e64 s8, 0, v28
	v_dual_ashrrev_i32 v9, 31, v26 :: v_dual_ashrrev_i32 v26, 31, v27
	v_xor_b32_e32 v24, s5, v24
	v_xor_b32_e32 v25, s6, v25
	v_bitop3_b32 v2, v2, v23, v22 bitop3:0x80
	v_mad_u32_u24 v22, 0x44, v21, v8
	v_xor_b32_e32 v9, s7, v9
	v_xor_b32_e32 v23, s8, v26
	s_delay_alu instid0(VALU_DEP_4) | instskip(SKIP_3) | instid1(VALU_DEP_2)
	v_bitop3_b32 v2, v2, v25, v24 bitop3:0x80
	ds_load_b32 v22, v22 offset:64
	; wave barrier
	v_bitop3_b32 v2, v2, v23, v9 bitop3:0x80
	v_mul_u32_u24_e32 v9, 0x44, v21
	v_mbcnt_lo_u32_b32 v23, v2, 0
	v_cmp_ne_u32_e64 s2, 0, v2
	s_delay_alu instid0(VALU_DEP_3) | instskip(NEXT) | instid1(VALU_DEP_3)
	v_add_nc_u32_e32 v24, v8, v9
	v_cmp_eq_u32_e32 vcc_lo, 0, v23
	s_and_b32 s3, s2, vcc_lo
	s_delay_alu instid0(SALU_CYCLE_1)
	s_and_saveexec_b32 s2, s3
	s_cbranch_execz .LBB740_31
; %bb.30:
	s_wait_dscnt 0x0
	v_bcnt_u32_b32 v2, v2, v22
	ds_store_b32 v24, v2 offset:64
.LBB740_31:
	s_or_b32 exec_lo, exec_lo, s2
	v_lshrrev_b32_e32 v2, 16, v3
	; wave barrier
	s_delay_alu instid0(VALU_DEP_1) | instskip(NEXT) | instid1(VALU_DEP_1)
	v_xor_b32_e32 v21, 0xffff8000, v2
	v_and_b32_e32 v2, 0xffff, v21
	s_delay_alu instid0(VALU_DEP_1) | instskip(NEXT) | instid1(VALU_DEP_1)
	v_lshrrev_b32_e32 v2, s20, v2
	v_and_b32_e32 v9, s25, v2
	s_delay_alu instid0(VALU_DEP_1) | instskip(SKIP_2) | instid1(VALU_DEP_3)
	v_lshlrev_b32_e32 v26, 29, v9
	v_bitop3_b32 v3, v2, 1, s25 bitop3:0x80
	v_lshlrev_b32_e32 v25, 30, v9
	v_cmp_gt_i32_e64 s3, 0, v26
	s_delay_alu instid0(VALU_DEP_3) | instskip(NEXT) | instid1(VALU_DEP_1)
	v_add_co_u32 v2, s2, v3, -1
	v_cndmask_b32_e64 v3, 0, 1, s2
	s_delay_alu instid0(VALU_DEP_4) | instskip(NEXT) | instid1(VALU_DEP_2)
	v_cmp_gt_i32_e64 s2, 0, v25
	v_cmp_ne_u32_e32 vcc_lo, 0, v3
	v_not_b32_e32 v3, v25
	v_not_b32_e32 v25, v26
	s_delay_alu instid0(VALU_DEP_2) | instskip(SKIP_3) | instid1(VALU_DEP_3)
	v_dual_ashrrev_i32 v3, 31, v3 :: v_dual_bitop2_b32 v2, vcc_lo, v2 bitop3:0x14
	v_dual_lshlrev_b32 v27, 28, v9 :: v_dual_lshlrev_b32 v28, 27, v9
	v_dual_lshlrev_b32 v29, 26, v9 :: v_dual_lshlrev_b32 v30, 25, v9
	v_lshlrev_b32_e32 v31, 24, v9
	v_not_b32_e32 v26, v27
	v_cmp_gt_i32_e64 s4, 0, v27
	v_cmp_gt_i32_e64 s5, 0, v28
	v_not_b32_e32 v27, v28
	v_not_b32_e32 v28, v29
	v_dual_ashrrev_i32 v25, 31, v25 :: v_dual_ashrrev_i32 v26, 31, v26
	v_xor_b32_e32 v3, s2, v3
	v_cmp_gt_i32_e64 s6, 0, v29
	v_cmp_gt_i32_e64 s7, 0, v30
	v_not_b32_e32 v29, v30
	v_not_b32_e32 v30, v31
	v_dual_ashrrev_i32 v27, 31, v27 :: v_dual_bitop2_b32 v25, s3, v25 bitop3:0x14
	v_dual_ashrrev_i32 v28, 31, v28 :: v_dual_bitop2_b32 v26, s4, v26 bitop3:0x14
	v_bitop3_b32 v2, v2, v3, exec_lo bitop3:0x80
	v_cmp_gt_i32_e64 s8, 0, v31
	v_dual_ashrrev_i32 v3, 31, v29 :: v_dual_ashrrev_i32 v29, 31, v30
	v_xor_b32_e32 v27, s5, v27
	v_xor_b32_e32 v28, s6, v28
	v_bitop3_b32 v2, v2, v26, v25 bitop3:0x80
	v_mad_u32_u24 v25, 0x44, v9, v8
	v_xor_b32_e32 v3, s7, v3
	v_xor_b32_e32 v29, s8, v29
	s_delay_alu instid0(VALU_DEP_4) | instskip(SKIP_3) | instid1(VALU_DEP_2)
	v_bitop3_b32 v2, v2, v28, v27 bitop3:0x80
	ds_load_b32 v26, v25 offset:64
	; wave barrier
	v_bitop3_b32 v2, v2, v29, v3 bitop3:0x80
	v_mul_u32_u24_e32 v3, 0x44, v9
	v_mbcnt_lo_u32_b32 v27, v2, 0
	v_cmp_ne_u32_e64 s2, 0, v2
	s_delay_alu instid0(VALU_DEP_3) | instskip(NEXT) | instid1(VALU_DEP_3)
	v_add_nc_u32_e32 v28, v8, v3
	v_cmp_eq_u32_e32 vcc_lo, 0, v27
	s_and_b32 s3, s2, vcc_lo
	s_delay_alu instid0(SALU_CYCLE_1)
	s_and_saveexec_b32 s2, s3
	s_cbranch_execz .LBB740_33
; %bb.32:
	s_wait_dscnt 0x0
	v_bcnt_u32_b32 v2, v2, v26
	ds_store_b32 v28, v2 offset:64
.LBB740_33:
	s_or_b32 exec_lo, exec_lo, s2
	v_xor_b32_e32 v25, 0xffff8000, v4
	; wave barrier
	s_delay_alu instid0(VALU_DEP_1) | instskip(NEXT) | instid1(VALU_DEP_1)
	v_and_b32_e32 v2, 0xffff, v25
	v_lshrrev_b32_e32 v2, s20, v2
	s_delay_alu instid0(VALU_DEP_1) | instskip(NEXT) | instid1(VALU_DEP_1)
	v_and_b32_e32 v9, s25, v2
	v_lshlrev_b32_e32 v29, 30, v9
	v_bitop3_b32 v3, v2, 1, s25 bitop3:0x80
	s_delay_alu instid0(VALU_DEP_1) | instskip(NEXT) | instid1(VALU_DEP_1)
	v_add_co_u32 v2, s2, v3, -1
	v_cndmask_b32_e64 v3, 0, 1, s2
	s_delay_alu instid0(VALU_DEP_4) | instskip(NEXT) | instid1(VALU_DEP_2)
	v_cmp_gt_i32_e64 s2, 0, v29
	v_cmp_ne_u32_e32 vcc_lo, 0, v3
	v_not_b32_e32 v3, v29
	s_delay_alu instid0(VALU_DEP_1) | instskip(SKIP_3) | instid1(VALU_DEP_4)
	v_dual_ashrrev_i32 v3, 31, v3 :: v_dual_lshlrev_b32 v30, 29, v9
	v_dual_lshlrev_b32 v31, 28, v9 :: v_dual_lshlrev_b32 v32, 27, v9
	v_dual_lshlrev_b32 v33, 26, v9 :: v_dual_lshlrev_b32 v34, 25, v9
	v_lshlrev_b32_e32 v35, 24, v9
	v_cmp_gt_i32_e64 s3, 0, v30
	v_not_b32_e32 v29, v30
	v_not_b32_e32 v30, v31
	v_cmp_gt_i32_e64 s4, 0, v31
	v_cmp_gt_i32_e64 s5, 0, v32
	v_not_b32_e32 v31, v32
	v_not_b32_e32 v32, v33
	v_dual_ashrrev_i32 v29, 31, v29 :: v_dual_bitop2_b32 v2, vcc_lo, v2 bitop3:0x14
	v_dual_ashrrev_i32 v30, 31, v30 :: v_dual_bitop2_b32 v3, s2, v3 bitop3:0x14
	v_cmp_gt_i32_e64 s6, 0, v33
	v_cmp_gt_i32_e64 s7, 0, v34
	v_not_b32_e32 v33, v34
	v_not_b32_e32 v34, v35
	v_dual_ashrrev_i32 v31, 31, v31 :: v_dual_ashrrev_i32 v32, 31, v32
	v_xor_b32_e32 v29, s3, v29
	v_xor_b32_e32 v30, s4, v30
	v_bitop3_b32 v2, v2, v3, exec_lo bitop3:0x80
	v_cmp_gt_i32_e64 s8, 0, v35
	v_dual_ashrrev_i32 v3, 31, v33 :: v_dual_ashrrev_i32 v33, 31, v34
	v_xor_b32_e32 v31, s5, v31
	v_xor_b32_e32 v32, s6, v32
	v_bitop3_b32 v2, v2, v30, v29 bitop3:0x80
	v_mad_u32_u24 v29, 0x44, v9, v8
	v_xor_b32_e32 v3, s7, v3
	v_xor_b32_e32 v30, s8, v33
	s_delay_alu instid0(VALU_DEP_4) | instskip(SKIP_3) | instid1(VALU_DEP_2)
	v_bitop3_b32 v2, v2, v32, v31 bitop3:0x80
	ds_load_b32 v29, v29 offset:64
	; wave barrier
	v_bitop3_b32 v2, v2, v30, v3 bitop3:0x80
	v_mul_u32_u24_e32 v3, 0x44, v9
	v_mbcnt_lo_u32_b32 v31, v2, 0
	v_cmp_ne_u32_e64 s2, 0, v2
	s_delay_alu instid0(VALU_DEP_3) | instskip(NEXT) | instid1(VALU_DEP_3)
	v_add_nc_u32_e32 v32, v8, v3
	v_cmp_eq_u32_e32 vcc_lo, 0, v31
	s_and_b32 s3, s2, vcc_lo
	s_delay_alu instid0(SALU_CYCLE_1)
	s_and_saveexec_b32 s2, s3
	s_cbranch_execz .LBB740_35
; %bb.34:
	s_wait_dscnt 0x0
	v_bcnt_u32_b32 v2, v2, v29
	ds_store_b32 v32, v2 offset:64
.LBB740_35:
	s_or_b32 exec_lo, exec_lo, s2
	v_lshrrev_b32_e32 v2, 16, v4
	; wave barrier
	s_delay_alu instid0(VALU_DEP_1) | instskip(NEXT) | instid1(VALU_DEP_1)
	v_xor_b32_e32 v30, 0xffff8000, v2
	v_and_b32_e32 v2, 0xffff, v30
	s_delay_alu instid0(VALU_DEP_1) | instskip(NEXT) | instid1(VALU_DEP_1)
	v_lshrrev_b32_e32 v2, s20, v2
	v_and_b32_e32 v4, s25, v2
	s_delay_alu instid0(VALU_DEP_1) | instskip(SKIP_2) | instid1(VALU_DEP_3)
	v_lshlrev_b32_e32 v33, 29, v4
	v_bitop3_b32 v3, v2, 1, s25 bitop3:0x80
	v_lshlrev_b32_e32 v9, 30, v4
	v_cmp_gt_i32_e64 s3, 0, v33
	s_delay_alu instid0(VALU_DEP_3) | instskip(NEXT) | instid1(VALU_DEP_1)
	v_add_co_u32 v2, s2, v3, -1
	v_cndmask_b32_e64 v3, 0, 1, s2
	s_delay_alu instid0(VALU_DEP_4) | instskip(NEXT) | instid1(VALU_DEP_2)
	v_cmp_gt_i32_e64 s2, 0, v9
	v_cmp_ne_u32_e32 vcc_lo, 0, v3
	v_not_b32_e32 v3, v9
	v_not_b32_e32 v9, v33
	s_delay_alu instid0(VALU_DEP_2) | instskip(SKIP_3) | instid1(VALU_DEP_3)
	v_dual_ashrrev_i32 v3, 31, v3 :: v_dual_bitop2_b32 v2, vcc_lo, v2 bitop3:0x14
	v_dual_lshlrev_b32 v34, 28, v4 :: v_dual_lshlrev_b32 v35, 27, v4
	v_dual_lshlrev_b32 v36, 26, v4 :: v_dual_lshlrev_b32 v37, 25, v4
	v_lshlrev_b32_e32 v38, 24, v4
	v_not_b32_e32 v33, v34
	v_cmp_gt_i32_e64 s4, 0, v34
	v_cmp_gt_i32_e64 s5, 0, v35
	v_not_b32_e32 v34, v35
	v_not_b32_e32 v35, v36
	v_dual_ashrrev_i32 v9, 31, v9 :: v_dual_bitop2_b32 v3, s2, v3 bitop3:0x14
	s_delay_alu instid0(VALU_DEP_3)
	v_dual_ashrrev_i32 v33, 31, v33 :: v_dual_ashrrev_i32 v34, 31, v34
	v_cmp_gt_i32_e64 s6, 0, v36
	v_cmp_gt_i32_e64 s7, 0, v37
	v_not_b32_e32 v36, v37
	v_not_b32_e32 v37, v38
	v_dual_ashrrev_i32 v35, 31, v35 :: v_dual_bitop2_b32 v9, s3, v9 bitop3:0x14
	v_xor_b32_e32 v33, s4, v33
	v_bitop3_b32 v2, v2, v3, exec_lo bitop3:0x80
	v_cmp_gt_i32_e64 s8, 0, v38
	v_dual_ashrrev_i32 v3, 31, v36 :: v_dual_ashrrev_i32 v36, 31, v37
	v_xor_b32_e32 v34, s5, v34
	v_xor_b32_e32 v35, s6, v35
	v_bitop3_b32 v2, v2, v33, v9 bitop3:0x80
	v_mad_u32_u24 v9, 0x44, v4, v8
	v_xor_b32_e32 v3, s7, v3
	v_xor_b32_e32 v36, s8, v36
	s_delay_alu instid0(VALU_DEP_4) | instskip(SKIP_3) | instid1(VALU_DEP_2)
	v_bitop3_b32 v2, v2, v35, v34 bitop3:0x80
	ds_load_b32 v33, v9 offset:64
	; wave barrier
	v_bitop3_b32 v2, v2, v36, v3 bitop3:0x80
	v_mul_u32_u24_e32 v3, 0x44, v4
	v_mbcnt_lo_u32_b32 v34, v2, 0
	v_cmp_ne_u32_e64 s2, 0, v2
	s_delay_alu instid0(VALU_DEP_3) | instskip(NEXT) | instid1(VALU_DEP_3)
	v_add_nc_u32_e32 v37, v8, v3
	v_cmp_eq_u32_e32 vcc_lo, 0, v34
	s_and_b32 s3, s2, vcc_lo
	s_delay_alu instid0(SALU_CYCLE_1)
	s_and_saveexec_b32 s2, s3
	s_cbranch_execz .LBB740_37
; %bb.36:
	s_wait_dscnt 0x0
	v_bcnt_u32_b32 v2, v2, v33
	ds_store_b32 v37, v2 offset:64
.LBB740_37:
	s_or_b32 exec_lo, exec_lo, s2
	v_xor_b32_e32 v35, 0xffff8000, v5
	; wave barrier
	s_delay_alu instid0(VALU_DEP_1) | instskip(NEXT) | instid1(VALU_DEP_1)
	v_and_b32_e32 v2, 0xffff, v35
	v_lshrrev_b32_e32 v2, s20, v2
	s_delay_alu instid0(VALU_DEP_1) | instskip(NEXT) | instid1(VALU_DEP_1)
	v_and_b32_e32 v4, s25, v2
	v_lshlrev_b32_e32 v9, 30, v4
	v_bitop3_b32 v3, v2, 1, s25 bitop3:0x80
	s_delay_alu instid0(VALU_DEP_1) | instskip(NEXT) | instid1(VALU_DEP_1)
	v_add_co_u32 v2, s2, v3, -1
	v_cndmask_b32_e64 v3, 0, 1, s2
	s_delay_alu instid0(VALU_DEP_4) | instskip(NEXT) | instid1(VALU_DEP_2)
	v_cmp_gt_i32_e64 s2, 0, v9
	v_cmp_ne_u32_e32 vcc_lo, 0, v3
	v_not_b32_e32 v3, v9
	s_delay_alu instid0(VALU_DEP_1) | instskip(SKIP_3) | instid1(VALU_DEP_4)
	v_dual_ashrrev_i32 v3, 31, v3 :: v_dual_lshlrev_b32 v36, 29, v4
	v_dual_lshlrev_b32 v38, 28, v4 :: v_dual_lshlrev_b32 v39, 27, v4
	v_dual_lshlrev_b32 v40, 26, v4 :: v_dual_lshlrev_b32 v41, 25, v4
	v_lshlrev_b32_e32 v42, 24, v4
	v_cmp_gt_i32_e64 s3, 0, v36
	v_not_b32_e32 v9, v36
	v_not_b32_e32 v36, v38
	v_cmp_gt_i32_e64 s4, 0, v38
	v_cmp_gt_i32_e64 s5, 0, v39
	v_not_b32_e32 v38, v39
	v_not_b32_e32 v39, v40
	v_dual_ashrrev_i32 v9, 31, v9 :: v_dual_bitop2_b32 v2, vcc_lo, v2 bitop3:0x14
	v_dual_ashrrev_i32 v36, 31, v36 :: v_dual_bitop2_b32 v3, s2, v3 bitop3:0x14
	v_cmp_gt_i32_e64 s6, 0, v40
	v_cmp_gt_i32_e64 s7, 0, v41
	v_not_b32_e32 v40, v41
	v_not_b32_e32 v41, v42
	v_dual_ashrrev_i32 v38, 31, v38 :: v_dual_ashrrev_i32 v39, 31, v39
	v_xor_b32_e32 v9, s3, v9
	v_xor_b32_e32 v36, s4, v36
	v_bitop3_b32 v2, v2, v3, exec_lo bitop3:0x80
	v_cmp_gt_i32_e64 s8, 0, v42
	v_dual_ashrrev_i32 v3, 31, v40 :: v_dual_ashrrev_i32 v40, 31, v41
	v_xor_b32_e32 v38, s5, v38
	v_xor_b32_e32 v39, s6, v39
	v_bitop3_b32 v2, v2, v36, v9 bitop3:0x80
	v_mad_u32_u24 v9, 0x44, v4, v8
	v_xor_b32_e32 v3, s7, v3
	v_xor_b32_e32 v36, s8, v40
	s_delay_alu instid0(VALU_DEP_4) | instskip(SKIP_3) | instid1(VALU_DEP_2)
	v_bitop3_b32 v2, v2, v39, v38 bitop3:0x80
	ds_load_b32 v38, v9 offset:64
	; wave barrier
	v_bitop3_b32 v2, v2, v36, v3 bitop3:0x80
	v_mul_u32_u24_e32 v3, 0x44, v4
	v_mbcnt_lo_u32_b32 v39, v2, 0
	v_cmp_ne_u32_e64 s2, 0, v2
	s_delay_alu instid0(VALU_DEP_3) | instskip(NEXT) | instid1(VALU_DEP_3)
	v_add_nc_u32_e32 v42, v8, v3
	v_cmp_eq_u32_e32 vcc_lo, 0, v39
	s_and_b32 s3, s2, vcc_lo
	s_delay_alu instid0(SALU_CYCLE_1)
	s_and_saveexec_b32 s2, s3
	s_cbranch_execz .LBB740_39
; %bb.38:
	s_wait_dscnt 0x0
	v_bcnt_u32_b32 v2, v2, v38
	ds_store_b32 v42, v2 offset:64
.LBB740_39:
	s_or_b32 exec_lo, exec_lo, s2
	v_lshrrev_b32_e32 v2, 16, v5
	; wave barrier
	s_delay_alu instid0(VALU_DEP_1) | instskip(NEXT) | instid1(VALU_DEP_1)
	v_xor_b32_e32 v36, 0xffff8000, v2
	v_and_b32_e32 v2, 0xffff, v36
	s_delay_alu instid0(VALU_DEP_1) | instskip(NEXT) | instid1(VALU_DEP_1)
	v_lshrrev_b32_e32 v2, s20, v2
	v_and_b32_e32 v4, s25, v2
	s_delay_alu instid0(VALU_DEP_1) | instskip(SKIP_2) | instid1(VALU_DEP_3)
	v_lshlrev_b32_e32 v9, 29, v4
	v_bitop3_b32 v3, v2, 1, s25 bitop3:0x80
	v_lshlrev_b32_e32 v5, 30, v4
	v_cmp_gt_i32_e64 s3, 0, v9
	s_delay_alu instid0(VALU_DEP_3) | instskip(NEXT) | instid1(VALU_DEP_1)
	v_add_co_u32 v2, s2, v3, -1
	v_cndmask_b32_e64 v3, 0, 1, s2
	s_delay_alu instid0(VALU_DEP_4) | instskip(NEXT) | instid1(VALU_DEP_2)
	v_cmp_gt_i32_e64 s2, 0, v5
	v_cmp_ne_u32_e32 vcc_lo, 0, v3
	v_not_b32_e32 v3, v5
	v_not_b32_e32 v5, v9
	s_delay_alu instid0(VALU_DEP_2) | instskip(SKIP_3) | instid1(VALU_DEP_3)
	v_dual_ashrrev_i32 v3, 31, v3 :: v_dual_bitop2_b32 v2, vcc_lo, v2 bitop3:0x14
	v_dual_lshlrev_b32 v40, 28, v4 :: v_dual_lshlrev_b32 v41, 27, v4
	v_dual_lshlrev_b32 v43, 26, v4 :: v_dual_lshlrev_b32 v44, 25, v4
	v_lshlrev_b32_e32 v45, 24, v4
	v_not_b32_e32 v9, v40
	v_cmp_gt_i32_e64 s4, 0, v40
	v_cmp_gt_i32_e64 s5, 0, v41
	v_not_b32_e32 v40, v41
	v_not_b32_e32 v41, v43
	v_dual_ashrrev_i32 v5, 31, v5 :: v_dual_bitop2_b32 v3, s2, v3 bitop3:0x14
	s_delay_alu instid0(VALU_DEP_3)
	v_dual_ashrrev_i32 v9, 31, v9 :: v_dual_ashrrev_i32 v40, 31, v40
	v_cmp_gt_i32_e64 s6, 0, v43
	v_cmp_gt_i32_e64 s7, 0, v44
	v_not_b32_e32 v43, v44
	v_not_b32_e32 v44, v45
	v_ashrrev_i32_e32 v41, 31, v41
	v_xor_b32_e32 v5, s3, v5
	v_xor_b32_e32 v9, s4, v9
	v_bitop3_b32 v2, v2, v3, exec_lo bitop3:0x80
	v_cmp_gt_i32_e64 s8, 0, v45
	v_dual_ashrrev_i32 v3, 31, v43 :: v_dual_ashrrev_i32 v43, 31, v44
	v_xor_b32_e32 v40, s5, v40
	v_xor_b32_e32 v41, s6, v41
	v_bitop3_b32 v2, v2, v9, v5 bitop3:0x80
	v_mad_u32_u24 v5, 0x44, v4, v8
	v_xor_b32_e32 v3, s7, v3
	v_xor_b32_e32 v9, s8, v43
	s_delay_alu instid0(VALU_DEP_4) | instskip(SKIP_3) | instid1(VALU_DEP_2)
	v_bitop3_b32 v2, v2, v41, v40 bitop3:0x80
	ds_load_b32 v41, v5 offset:64
	; wave barrier
	v_bitop3_b32 v2, v2, v9, v3 bitop3:0x80
	v_mul_u32_u24_e32 v3, 0x44, v4
	v_mbcnt_lo_u32_b32 v43, v2, 0
	v_cmp_ne_u32_e64 s2, 0, v2
	s_delay_alu instid0(VALU_DEP_3) | instskip(NEXT) | instid1(VALU_DEP_3)
	v_add_nc_u32_e32 v47, v8, v3
	v_cmp_eq_u32_e32 vcc_lo, 0, v43
	s_and_b32 s3, s2, vcc_lo
	s_delay_alu instid0(SALU_CYCLE_1)
	s_and_saveexec_b32 s2, s3
	s_cbranch_execz .LBB740_41
; %bb.40:
	s_wait_dscnt 0x0
	v_bcnt_u32_b32 v2, v2, v41
	ds_store_b32 v47, v2 offset:64
.LBB740_41:
	s_or_b32 exec_lo, exec_lo, s2
	v_xor_b32_e32 v40, 0xffff8000, v6
	; wave barrier
	s_delay_alu instid0(VALU_DEP_1) | instskip(NEXT) | instid1(VALU_DEP_1)
	v_and_b32_e32 v2, 0xffff, v40
	v_lshrrev_b32_e32 v2, s20, v2
	s_delay_alu instid0(VALU_DEP_1) | instskip(NEXT) | instid1(VALU_DEP_1)
	v_and_b32_e32 v4, s25, v2
	v_lshlrev_b32_e32 v5, 30, v4
	v_bitop3_b32 v3, v2, 1, s25 bitop3:0x80
	s_delay_alu instid0(VALU_DEP_1) | instskip(NEXT) | instid1(VALU_DEP_1)
	v_add_co_u32 v2, s2, v3, -1
	v_cndmask_b32_e64 v3, 0, 1, s2
	s_delay_alu instid0(VALU_DEP_4) | instskip(NEXT) | instid1(VALU_DEP_2)
	v_cmp_gt_i32_e64 s2, 0, v5
	v_cmp_ne_u32_e32 vcc_lo, 0, v3
	v_not_b32_e32 v3, v5
	s_delay_alu instid0(VALU_DEP_1) | instskip(SKIP_3) | instid1(VALU_DEP_4)
	v_dual_ashrrev_i32 v3, 31, v3 :: v_dual_lshlrev_b32 v9, 29, v4
	v_dual_lshlrev_b32 v44, 28, v4 :: v_dual_lshlrev_b32 v45, 27, v4
	v_dual_lshlrev_b32 v46, 26, v4 :: v_dual_lshlrev_b32 v48, 25, v4
	v_lshlrev_b32_e32 v49, 24, v4
	v_cmp_gt_i32_e64 s3, 0, v9
	v_not_b32_e32 v5, v9
	v_not_b32_e32 v9, v44
	v_cmp_gt_i32_e64 s4, 0, v44
	v_cmp_gt_i32_e64 s5, 0, v45
	v_not_b32_e32 v44, v45
	v_not_b32_e32 v45, v46
	v_dual_ashrrev_i32 v5, 31, v5 :: v_dual_bitop2_b32 v2, vcc_lo, v2 bitop3:0x14
	v_dual_ashrrev_i32 v9, 31, v9 :: v_dual_bitop2_b32 v3, s2, v3 bitop3:0x14
	v_cmp_gt_i32_e64 s6, 0, v46
	v_cmp_gt_i32_e64 s7, 0, v48
	v_not_b32_e32 v46, v48
	v_not_b32_e32 v48, v49
	v_dual_ashrrev_i32 v44, 31, v44 :: v_dual_ashrrev_i32 v45, 31, v45
	v_xor_b32_e32 v5, s3, v5
	v_xor_b32_e32 v9, s4, v9
	v_bitop3_b32 v2, v2, v3, exec_lo bitop3:0x80
	v_cmp_gt_i32_e64 s8, 0, v49
	v_dual_ashrrev_i32 v3, 31, v46 :: v_dual_ashrrev_i32 v46, 31, v48
	v_xor_b32_e32 v44, s5, v44
	v_xor_b32_e32 v45, s6, v45
	v_bitop3_b32 v2, v2, v9, v5 bitop3:0x80
	v_mad_u32_u24 v5, 0x44, v4, v8
	v_xor_b32_e32 v3, s7, v3
	v_xor_b32_e32 v9, s8, v46
	s_delay_alu instid0(VALU_DEP_4) | instskip(SKIP_3) | instid1(VALU_DEP_2)
	v_bitop3_b32 v2, v2, v45, v44 bitop3:0x80
	ds_load_b32 v44, v5 offset:64
	; wave barrier
	v_bitop3_b32 v2, v2, v9, v3 bitop3:0x80
	v_mul_u32_u24_e32 v3, 0x44, v4
	v_mbcnt_lo_u32_b32 v46, v2, 0
	v_cmp_ne_u32_e64 s2, 0, v2
	s_delay_alu instid0(VALU_DEP_3) | instskip(NEXT) | instid1(VALU_DEP_3)
	v_add_nc_u32_e32 v51, v8, v3
	v_cmp_eq_u32_e32 vcc_lo, 0, v46
	s_and_b32 s3, s2, vcc_lo
	s_delay_alu instid0(SALU_CYCLE_1)
	s_and_saveexec_b32 s2, s3
	s_cbranch_execz .LBB740_43
; %bb.42:
	s_wait_dscnt 0x0
	v_bcnt_u32_b32 v2, v2, v44
	ds_store_b32 v51, v2 offset:64
.LBB740_43:
	s_or_b32 exec_lo, exec_lo, s2
	v_lshrrev_b32_e32 v2, 16, v6
	; wave barrier
	s_delay_alu instid0(VALU_DEP_1) | instskip(NEXT) | instid1(VALU_DEP_1)
	v_xor_b32_e32 v45, 0xffff8000, v2
	v_and_b32_e32 v2, 0xffff, v45
	s_delay_alu instid0(VALU_DEP_1) | instskip(NEXT) | instid1(VALU_DEP_1)
	v_lshrrev_b32_e32 v2, s20, v2
	v_and_b32_e32 v4, s25, v2
	s_delay_alu instid0(VALU_DEP_1) | instskip(SKIP_2) | instid1(VALU_DEP_3)
	v_lshlrev_b32_e32 v6, 29, v4
	v_bitop3_b32 v3, v2, 1, s25 bitop3:0x80
	v_lshlrev_b32_e32 v5, 30, v4
	v_cmp_gt_i32_e64 s3, 0, v6
	s_delay_alu instid0(VALU_DEP_3) | instskip(NEXT) | instid1(VALU_DEP_1)
	v_add_co_u32 v2, s2, v3, -1
	v_cndmask_b32_e64 v3, 0, 1, s2
	s_delay_alu instid0(VALU_DEP_4) | instskip(NEXT) | instid1(VALU_DEP_2)
	v_cmp_gt_i32_e64 s2, 0, v5
	v_cmp_ne_u32_e32 vcc_lo, 0, v3
	v_not_b32_e32 v3, v5
	v_not_b32_e32 v5, v6
	s_delay_alu instid0(VALU_DEP_2) | instskip(SKIP_3) | instid1(VALU_DEP_3)
	v_dual_ashrrev_i32 v3, 31, v3 :: v_dual_bitop2_b32 v2, vcc_lo, v2 bitop3:0x14
	v_dual_lshlrev_b32 v9, 28, v4 :: v_dual_lshlrev_b32 v48, 27, v4
	v_dual_lshlrev_b32 v49, 26, v4 :: v_dual_lshlrev_b32 v50, 25, v4
	v_lshlrev_b32_e32 v52, 24, v4
	v_not_b32_e32 v6, v9
	v_cmp_gt_i32_e64 s4, 0, v9
	v_cmp_gt_i32_e64 s5, 0, v48
	v_not_b32_e32 v9, v48
	v_not_b32_e32 v48, v49
	v_dual_ashrrev_i32 v5, 31, v5 :: v_dual_ashrrev_i32 v6, 31, v6
	s_delay_alu instid0(VALU_DEP_3)
	v_dual_ashrrev_i32 v9, 31, v9 :: v_dual_bitop2_b32 v3, s2, v3 bitop3:0x14
	v_cmp_gt_i32_e64 s6, 0, v49
	v_cmp_gt_i32_e64 s7, 0, v50
	v_not_b32_e32 v49, v50
	v_not_b32_e32 v50, v52
	v_dual_ashrrev_i32 v48, 31, v48 :: v_dual_bitop2_b32 v5, s3, v5 bitop3:0x14
	v_xor_b32_e32 v6, s4, v6
	v_bitop3_b32 v2, v2, v3, exec_lo bitop3:0x80
	v_cmp_gt_i32_e64 s8, 0, v52
	v_dual_ashrrev_i32 v3, 31, v49 :: v_dual_ashrrev_i32 v49, 31, v50
	v_xor_b32_e32 v9, s5, v9
	v_xor_b32_e32 v48, s6, v48
	v_bitop3_b32 v2, v2, v6, v5 bitop3:0x80
	v_mad_u32_u24 v5, 0x44, v4, v8
	v_xor_b32_e32 v3, s7, v3
	v_xor_b32_e32 v6, s8, v49
	s_delay_alu instid0(VALU_DEP_4) | instskip(SKIP_3) | instid1(VALU_DEP_2)
	v_bitop3_b32 v2, v2, v48, v9 bitop3:0x80
	ds_load_b32 v48, v5 offset:64
	; wave barrier
	v_bitop3_b32 v2, v2, v6, v3 bitop3:0x80
	v_mul_u32_u24_e32 v3, 0x44, v4
	v_mbcnt_lo_u32_b32 v50, v2, 0
	v_cmp_ne_u32_e64 s2, 0, v2
	s_delay_alu instid0(VALU_DEP_3) | instskip(NEXT) | instid1(VALU_DEP_3)
	v_add_nc_u32_e32 v55, v8, v3
	v_cmp_eq_u32_e32 vcc_lo, 0, v50
	s_and_b32 s3, s2, vcc_lo
	s_delay_alu instid0(SALU_CYCLE_1)
	s_and_saveexec_b32 s2, s3
	s_cbranch_execz .LBB740_45
; %bb.44:
	s_wait_dscnt 0x0
	v_bcnt_u32_b32 v2, v2, v48
	ds_store_b32 v55, v2 offset:64
.LBB740_45:
	s_or_b32 exec_lo, exec_lo, s2
	v_xor_b32_e32 v49, 0xffff8000, v7
	; wave barrier
	s_delay_alu instid0(VALU_DEP_1) | instskip(NEXT) | instid1(VALU_DEP_1)
	v_and_b32_e32 v2, 0xffff, v49
	v_lshrrev_b32_e32 v2, s20, v2
	s_delay_alu instid0(VALU_DEP_1) | instskip(NEXT) | instid1(VALU_DEP_1)
	v_and_b32_e32 v4, s25, v2
	v_lshlrev_b32_e32 v5, 30, v4
	v_bitop3_b32 v3, v2, 1, s25 bitop3:0x80
	s_delay_alu instid0(VALU_DEP_1) | instskip(NEXT) | instid1(VALU_DEP_1)
	v_add_co_u32 v2, s2, v3, -1
	v_cndmask_b32_e64 v3, 0, 1, s2
	s_delay_alu instid0(VALU_DEP_4) | instskip(NEXT) | instid1(VALU_DEP_2)
	v_cmp_gt_i32_e64 s2, 0, v5
	v_cmp_ne_u32_e32 vcc_lo, 0, v3
	v_not_b32_e32 v3, v5
	s_delay_alu instid0(VALU_DEP_1) | instskip(SKIP_3) | instid1(VALU_DEP_4)
	v_dual_ashrrev_i32 v3, 31, v3 :: v_dual_lshlrev_b32 v6, 29, v4
	v_dual_lshlrev_b32 v9, 28, v4 :: v_dual_lshlrev_b32 v52, 27, v4
	v_dual_lshlrev_b32 v53, 26, v4 :: v_dual_lshlrev_b32 v54, 25, v4
	v_lshlrev_b32_e32 v56, 24, v4
	v_cmp_gt_i32_e64 s3, 0, v6
	v_not_b32_e32 v5, v6
	v_not_b32_e32 v6, v9
	v_cmp_gt_i32_e64 s4, 0, v9
	v_cmp_gt_i32_e64 s5, 0, v52
	v_not_b32_e32 v9, v52
	v_not_b32_e32 v52, v53
	v_dual_ashrrev_i32 v5, 31, v5 :: v_dual_bitop2_b32 v2, vcc_lo, v2 bitop3:0x14
	v_dual_ashrrev_i32 v6, 31, v6 :: v_dual_bitop2_b32 v3, s2, v3 bitop3:0x14
	v_cmp_gt_i32_e64 s6, 0, v53
	v_cmp_gt_i32_e64 s7, 0, v54
	v_not_b32_e32 v53, v54
	v_not_b32_e32 v54, v56
	v_dual_ashrrev_i32 v9, 31, v9 :: v_dual_ashrrev_i32 v52, 31, v52
	v_xor_b32_e32 v5, s3, v5
	v_xor_b32_e32 v6, s4, v6
	v_bitop3_b32 v2, v2, v3, exec_lo bitop3:0x80
	v_cmp_gt_i32_e64 s8, 0, v56
	v_dual_ashrrev_i32 v3, 31, v53 :: v_dual_ashrrev_i32 v53, 31, v54
	v_xor_b32_e32 v9, s5, v9
	v_xor_b32_e32 v52, s6, v52
	v_bitop3_b32 v2, v2, v6, v5 bitop3:0x80
	v_mad_u32_u24 v5, 0x44, v4, v8
	v_xor_b32_e32 v3, s7, v3
	v_xor_b32_e32 v6, s8, v53
	s_delay_alu instid0(VALU_DEP_4) | instskip(SKIP_3) | instid1(VALU_DEP_2)
	v_bitop3_b32 v2, v2, v52, v9 bitop3:0x80
	ds_load_b32 v52, v5 offset:64
	; wave barrier
	v_bitop3_b32 v2, v2, v6, v3 bitop3:0x80
	v_mul_u32_u24_e32 v3, 0x44, v4
	v_mbcnt_lo_u32_b32 v53, v2, 0
	v_cmp_ne_u32_e64 s2, 0, v2
	s_delay_alu instid0(VALU_DEP_3) | instskip(NEXT) | instid1(VALU_DEP_3)
	v_add_nc_u32_e32 v58, v8, v3
	v_cmp_eq_u32_e32 vcc_lo, 0, v53
	s_and_b32 s3, s2, vcc_lo
	s_delay_alu instid0(SALU_CYCLE_1)
	s_and_saveexec_b32 s2, s3
	s_cbranch_execz .LBB740_47
; %bb.46:
	s_wait_dscnt 0x0
	v_bcnt_u32_b32 v2, v2, v52
	ds_store_b32 v58, v2 offset:64
.LBB740_47:
	s_or_b32 exec_lo, exec_lo, s2
	v_lshrrev_b32_e32 v2, 16, v7
	; wave barrier
	s_delay_alu instid0(VALU_DEP_1) | instskip(NEXT) | instid1(VALU_DEP_1)
	v_xor_b32_e32 v54, 0xffff8000, v2
	v_and_b32_e32 v2, 0xffff, v54
	s_delay_alu instid0(VALU_DEP_1) | instskip(NEXT) | instid1(VALU_DEP_1)
	v_lshrrev_b32_e32 v2, s20, v2
	v_and_b32_e32 v4, s25, v2
	s_delay_alu instid0(VALU_DEP_1) | instskip(SKIP_2) | instid1(VALU_DEP_3)
	v_lshlrev_b32_e32 v6, 29, v4
	v_bitop3_b32 v3, v2, 1, s25 bitop3:0x80
	v_lshlrev_b32_e32 v5, 30, v4
	v_cmp_gt_i32_e64 s3, 0, v6
	s_delay_alu instid0(VALU_DEP_3) | instskip(NEXT) | instid1(VALU_DEP_1)
	v_add_co_u32 v2, s2, v3, -1
	v_cndmask_b32_e64 v3, 0, 1, s2
	s_delay_alu instid0(VALU_DEP_4) | instskip(NEXT) | instid1(VALU_DEP_2)
	v_cmp_gt_i32_e64 s2, 0, v5
	v_cmp_ne_u32_e32 vcc_lo, 0, v3
	v_not_b32_e32 v3, v5
	v_not_b32_e32 v5, v6
	s_delay_alu instid0(VALU_DEP_2) | instskip(SKIP_3) | instid1(VALU_DEP_3)
	v_dual_ashrrev_i32 v3, 31, v3 :: v_dual_bitop2_b32 v2, vcc_lo, v2 bitop3:0x14
	v_dual_lshlrev_b32 v7, 28, v4 :: v_dual_lshlrev_b32 v9, 27, v4
	v_dual_lshlrev_b32 v56, 26, v4 :: v_dual_lshlrev_b32 v57, 25, v4
	v_lshlrev_b32_e32 v59, 24, v4
	v_not_b32_e32 v6, v7
	v_cmp_gt_i32_e64 s4, 0, v7
	v_cmp_gt_i32_e64 s5, 0, v9
	v_not_b32_e32 v7, v9
	v_not_b32_e32 v9, v56
	v_dual_ashrrev_i32 v5, 31, v5 :: v_dual_ashrrev_i32 v6, 31, v6
	v_xor_b32_e32 v3, s2, v3
	v_cmp_gt_i32_e64 s6, 0, v56
	v_cmp_gt_i32_e64 s7, 0, v57
	v_not_b32_e32 v56, v57
	v_not_b32_e32 v57, v59
	v_dual_ashrrev_i32 v7, 31, v7 :: v_dual_bitop2_b32 v5, s3, v5 bitop3:0x14
	v_dual_ashrrev_i32 v9, 31, v9 :: v_dual_bitop2_b32 v6, s4, v6 bitop3:0x14
	v_bitop3_b32 v2, v2, v3, exec_lo bitop3:0x80
	v_cmp_gt_i32_e64 s8, 0, v59
	v_dual_ashrrev_i32 v3, 31, v56 :: v_dual_ashrrev_i32 v56, 31, v57
	v_xor_b32_e32 v7, s5, v7
	v_xor_b32_e32 v9, s6, v9
	v_bitop3_b32 v2, v2, v6, v5 bitop3:0x80
	v_mad_u32_u24 v5, 0x44, v4, v8
	v_xor_b32_e32 v3, s7, v3
	v_xor_b32_e32 v6, s8, v56
	s_delay_alu instid0(VALU_DEP_4) | instskip(SKIP_3) | instid1(VALU_DEP_2)
	v_bitop3_b32 v2, v2, v9, v7 bitop3:0x80
	ds_load_b32 v56, v5 offset:64
	; wave barrier
	v_bitop3_b32 v2, v2, v6, v3 bitop3:0x80
	v_mul_u32_u24_e32 v3, 0x44, v4
	v_mbcnt_lo_u32_b32 v57, v2, 0
	v_cmp_ne_u32_e64 s2, 0, v2
	s_delay_alu instid0(VALU_DEP_3) | instskip(NEXT) | instid1(VALU_DEP_3)
	v_add_nc_u32_e32 v59, v8, v3
	v_cmp_eq_u32_e32 vcc_lo, 0, v57
	s_and_b32 s3, s2, vcc_lo
	s_delay_alu instid0(SALU_CYCLE_1)
	s_and_saveexec_b32 s2, s3
	s_cbranch_execz .LBB740_49
; %bb.48:
	s_wait_dscnt 0x0
	v_bcnt_u32_b32 v2, v2, v56
	ds_store_b32 v59, v2 offset:64
.LBB740_49:
	s_or_b32 exec_lo, exec_lo, s2
	; wave barrier
	s_wait_dscnt 0x0
	s_barrier_signal -1
	s_barrier_wait -1
	ds_load_2addr_b32 v[8:9], v13 offset0:16 offset1:17
	ds_load_2addr_b32 v[6:7], v13 offset0:18 offset1:19
	;; [unrolled: 1-line block ×4, first 2 shown]
	ds_load_b32 v60, v13 offset:96
	s_mov_b32 s6, exec_lo
	s_wait_dscnt 0x3
	v_add3_u32 v61, v9, v8, v6
	s_wait_dscnt 0x2
	s_delay_alu instid0(VALU_DEP_1) | instskip(SKIP_1) | instid1(VALU_DEP_1)
	v_add3_u32 v61, v61, v7, v4
	s_wait_dscnt 0x1
	v_add3_u32 v61, v61, v5, v2
	s_wait_dscnt 0x0
	s_delay_alu instid0(VALU_DEP_1) | instskip(SKIP_1) | instid1(VALU_DEP_2)
	v_add3_u32 v60, v61, v3, v60
	v_and_b32_e32 v61, 15, v14
	v_mov_b32_dpp v62, v60 row_shr:1 row_mask:0xf bank_mask:0xf
	s_delay_alu instid0(VALU_DEP_2) | instskip(NEXT) | instid1(VALU_DEP_2)
	v_cmp_eq_u32_e32 vcc_lo, 0, v61
	v_cndmask_b32_e64 v62, v62, 0, vcc_lo
	s_delay_alu instid0(VALU_DEP_1) | instskip(SKIP_3) | instid1(VALU_DEP_4)
	v_add_nc_u32_e32 v60, v62, v60
	v_cmp_lt_u32_e64 s2, 1, v61
	v_cmp_lt_u32_e64 s3, 3, v61
	;; [unrolled: 1-line block ×3, first 2 shown]
	v_mov_b32_dpp v62, v60 row_shr:2 row_mask:0xf bank_mask:0xf
	s_delay_alu instid0(VALU_DEP_1) | instskip(NEXT) | instid1(VALU_DEP_1)
	v_cndmask_b32_e64 v62, 0, v62, s2
	v_add_nc_u32_e32 v60, v60, v62
	s_delay_alu instid0(VALU_DEP_1) | instskip(NEXT) | instid1(VALU_DEP_1)
	v_mov_b32_dpp v62, v60 row_shr:4 row_mask:0xf bank_mask:0xf
	v_cndmask_b32_e64 v62, 0, v62, s3
	s_delay_alu instid0(VALU_DEP_1) | instskip(NEXT) | instid1(VALU_DEP_1)
	v_add_nc_u32_e32 v60, v60, v62
	v_mov_b32_dpp v62, v60 row_shr:8 row_mask:0xf bank_mask:0xf
	s_delay_alu instid0(VALU_DEP_1) | instskip(SKIP_1) | instid1(VALU_DEP_2)
	v_cndmask_b32_e64 v61, 0, v62, s4
	v_bfe_i32 v62, v14, 4, 1
	v_add_nc_u32_e32 v60, v60, v61
	ds_swizzle_b32 v61, v60 offset:swizzle(BROADCAST,32,15)
	s_wait_dscnt 0x0
	v_and_b32_e32 v61, v62, v61
	v_min_u32_e32 v62, 0x1e0, v15
	s_delay_alu instid0(VALU_DEP_1) | instskip(SKIP_1) | instid1(VALU_DEP_2)
	v_dual_add_nc_u32 v60, v60, v61 :: v_dual_bitop2_b32 v62, 31, v62 bitop3:0x54
	v_lshrrev_b32_e32 v61, 5, v1
	v_cmpx_eq_u32_e64 v1, v62
; %bb.50:
	s_delay_alu instid0(VALU_DEP_2)
	v_lshlrev_b32_e32 v62, 2, v61
	ds_store_b32 v62, v60
; %bb.51:
	s_or_b32 exec_lo, exec_lo, s6
	s_delay_alu instid0(SALU_CYCLE_1)
	s_mov_b32 s6, exec_lo
	s_wait_dscnt 0x0
	s_barrier_signal -1
	s_barrier_wait -1
	v_cmpx_gt_u32_e32 16, v1
	s_cbranch_execz .LBB740_53
; %bb.52:
	v_lshlrev_b32_e32 v62, 2, v1
	ds_load_b32 v63, v62
	s_wait_dscnt 0x0
	v_mov_b32_dpp v64, v63 row_shr:1 row_mask:0xf bank_mask:0xf
	s_delay_alu instid0(VALU_DEP_1) | instskip(NEXT) | instid1(VALU_DEP_1)
	v_cndmask_b32_e64 v64, v64, 0, vcc_lo
	v_add_nc_u32_e32 v63, v64, v63
	s_delay_alu instid0(VALU_DEP_1) | instskip(NEXT) | instid1(VALU_DEP_1)
	v_mov_b32_dpp v64, v63 row_shr:2 row_mask:0xf bank_mask:0xf
	v_cndmask_b32_e64 v64, 0, v64, s2
	s_delay_alu instid0(VALU_DEP_1) | instskip(NEXT) | instid1(VALU_DEP_1)
	v_add_nc_u32_e32 v63, v63, v64
	v_mov_b32_dpp v64, v63 row_shr:4 row_mask:0xf bank_mask:0xf
	s_delay_alu instid0(VALU_DEP_1) | instskip(NEXT) | instid1(VALU_DEP_1)
	v_cndmask_b32_e64 v64, 0, v64, s3
	v_add_nc_u32_e32 v63, v63, v64
	s_delay_alu instid0(VALU_DEP_1) | instskip(NEXT) | instid1(VALU_DEP_1)
	v_mov_b32_dpp v64, v63 row_shr:8 row_mask:0xf bank_mask:0xf
	v_cndmask_b32_e64 v64, 0, v64, s4
	s_delay_alu instid0(VALU_DEP_1)
	v_add_nc_u32_e32 v63, v63, v64
	ds_store_b32 v62, v63
.LBB740_53:
	s_or_b32 exec_lo, exec_lo, s6
	v_mov_b32_e32 v62, 0
	s_mov_b32 s2, exec_lo
	s_wait_dscnt 0x0
	s_barrier_signal -1
	s_barrier_wait -1
	v_cmpx_lt_u32_e32 31, v1
; %bb.54:
	v_lshl_add_u32 v61, v61, 2, -4
	ds_load_b32 v62, v61
; %bb.55:
	s_or_b32 exec_lo, exec_lo, s2
	v_sub_co_u32 v61, vcc_lo, v14, 1
	s_wait_dscnt 0x0
	v_add_nc_u32_e32 v60, v62, v60
	s_delay_alu instid0(VALU_DEP_2) | instskip(NEXT) | instid1(VALU_DEP_1)
	v_cmp_gt_i32_e64 s2, 0, v61
	v_cndmask_b32_e64 v61, v61, v14, s2
	v_cmp_gt_u32_e64 s2, 0x100, v1
	s_delay_alu instid0(VALU_DEP_2) | instskip(SKIP_4) | instid1(VALU_DEP_2)
	v_lshlrev_b32_e32 v61, 2, v61
	ds_bpermute_b32 v60, v61, v60
	s_wait_dscnt 0x0
	v_cndmask_b32_e32 v60, v60, v62, vcc_lo
	v_cmp_ne_u32_e32 vcc_lo, 0, v1
	v_cndmask_b32_e32 v60, 0, v60, vcc_lo
	v_cmp_lt_u32_e32 vcc_lo, 0xff, v1
	s_delay_alu instid0(VALU_DEP_2) | instskip(NEXT) | instid1(VALU_DEP_1)
	v_add_nc_u32_e32 v8, v60, v8
	v_add_nc_u32_e32 v9, v8, v9
	s_delay_alu instid0(VALU_DEP_1) | instskip(NEXT) | instid1(VALU_DEP_1)
	v_add_nc_u32_e32 v6, v9, v6
	v_add_nc_u32_e32 v7, v6, v7
	s_delay_alu instid0(VALU_DEP_1) | instskip(NEXT) | instid1(VALU_DEP_1)
	;; [unrolled: 3-line block ×3, first 2 shown]
	v_add_nc_u32_e32 v2, v5, v2
	v_add_nc_u32_e32 v3, v2, v3
	ds_store_2addr_b32 v13, v60, v8 offset0:16 offset1:17
	ds_store_2addr_b32 v13, v9, v6 offset0:18 offset1:19
	;; [unrolled: 1-line block ×4, first 2 shown]
	ds_store_b32 v13, v3 offset:96
	s_wait_dscnt 0x0
	s_barrier_signal -1
	s_barrier_wait -1
	ds_load_b32 v61, v16 offset:64
	ds_load_b32 v62, v20 offset:64
	;; [unrolled: 1-line block ×12, first 2 shown]
	v_mov_b64_e32 v[2:3], 0
                                        ; implicit-def: $vgpr4
	s_and_saveexec_b32 s4, s2
	s_cbranch_execz .LBB740_59
; %bb.56:
	v_mul_u32_u24_e32 v2, 0x44, v1
	v_dual_mov_b32 v3, 0x1800 :: v_dual_add_nc_u32 v4, 1, v1
	s_mov_b32 s5, exec_lo
	ds_load_b32 v2, v2 offset:64
	v_cmpx_ne_u32_e32 0x100, v4
; %bb.57:
	v_mul_u32_u24_e32 v3, 0x44, v4
	ds_load_b32 v3, v3 offset:64
; %bb.58:
	s_or_b32 exec_lo, exec_lo, s5
	s_wait_dscnt 0x0
	v_dual_mov_b32 v3, 0 :: v_dual_sub_nc_u32 v4, v3, v2
.LBB740_59:
	s_or_b32 exec_lo, exec_lo, s4
	s_wait_dscnt 0xa
	v_dual_lshlrev_b32 v11, 1, v11 :: v_dual_lshlrev_b32 v28, 1, v62
	v_dual_lshlrev_b32 v19, 1, v19 :: v_dual_lshlrev_b32 v18, 1, v18
	v_lshlrev_b32_e32 v22, 1, v22
	s_delay_alu instid0(VALU_DEP_3)
	v_lshl_add_u32 v11, v61, 1, v11
	v_lshlrev_b32_e32 v23, 1, v23
	s_wait_dscnt 0x0
	v_add3_u32 v18, v28, v19, v18
	v_lshlrev_b32_e32 v19, 1, v60
	s_barrier_signal -1
	s_barrier_wait -1
	ds_store_b16 v11, v10 offset:2048
	ds_store_b16 v18, v12 offset:2048
	v_lshlrev_b32_e32 v11, 1, v24
	v_add3_u32 v10, v19, v23, v22
	v_dual_lshlrev_b32 v12, 1, v27 :: v_dual_lshlrev_b32 v18, 1, v26
	v_dual_lshlrev_b32 v22, 1, v29 :: v_dual_lshlrev_b32 v16, 1, v16
	;; [unrolled: 1-line block ×6, first 2 shown]
	ds_store_b16 v10, v17 offset:2048
	v_add3_u32 v10, v11, v12, v18
	v_add3_u32 v12, v16, v23, v24
	v_dual_lshlrev_b32 v16, 1, v43 :: v_dual_lshlrev_b32 v17, 1, v41
	v_add3_u32 v11, v19, v20, v22
	v_add3_u32 v13, v13, v26, v27
	ds_store_b16 v10, v21 offset:2048
	ds_store_b16 v11, v25 offset:2048
	;; [unrolled: 1-line block ×4, first 2 shown]
	v_add3_u32 v9, v9, v16, v17
	v_dual_lshlrev_b32 v8, 1, v8 :: v_dual_lshlrev_b32 v10, 1, v46
	v_dual_lshlrev_b32 v11, 1, v44 :: v_dual_lshlrev_b32 v7, 1, v7
	;; [unrolled: 1-line block ×6, first 2 shown]
	ds_store_b16 v9, v36 offset:2048
	v_add3_u32 v8, v8, v10, v11
	v_add3_u32 v9, v7, v12, v13
	;; [unrolled: 1-line block ×3, first 2 shown]
	v_dual_mov_b32 v7, 0 :: v_dual_lshlrev_b32 v5, 3, v1
	v_add3_u32 v6, v6, v16, v17
	ds_store_b16 v8, v40 offset:2048
	ds_store_b16 v9, v45 offset:2048
	;; [unrolled: 1-line block ×4, first 2 shown]
	s_and_saveexec_b32 s3, s2
	s_cbranch_execz .LBB740_69
; %bb.60:
	v_lshl_add_u32 v6, s9, 8, v1
	v_dual_mov_b32 v10, 0 :: v_dual_bitop2_b32 v11, 2.0, v4 bitop3:0x54
	s_mov_b32 s4, 0
	s_mov_b32 s5, s9
	s_delay_alu instid0(VALU_DEP_2)
	v_lshl_add_u64 v[8:9], v[6:7], 2, s[10:11]
	global_store_b32 v6, v11, s[10:11] scale_offset scope:SCOPE_DEV
                                        ; implicit-def: $sgpr2
	s_branch .LBB740_63
.LBB740_61:                             ;   in Loop: Header=BB740_63 Depth=1
	s_or_b32 exec_lo, exec_lo, s7
.LBB740_62:                             ;   in Loop: Header=BB740_63 Depth=1
	s_delay_alu instid0(SALU_CYCLE_1) | instskip(SKIP_2) | instid1(VALU_DEP_2)
	s_or_b32 exec_lo, exec_lo, s6
	v_and_b32_e32 v6, 0x3fffffff, v11
	v_cmp_gt_i32_e64 s2, -2.0, v11
	v_add_nc_u32_e32 v10, v6, v10
	s_and_b32 s6, exec_lo, s2
	s_delay_alu instid0(SALU_CYCLE_1) | instskip(NEXT) | instid1(SALU_CYCLE_1)
	s_or_b32 s4, s6, s4
	s_and_not1_b32 exec_lo, exec_lo, s4
	s_cbranch_execz .LBB740_68
.LBB740_63:                             ; =>This Loop Header: Depth=1
                                        ;     Child Loop BB740_66 Depth 2
	s_or_b32 s2, s2, exec_lo
	s_cmp_eq_u32 s5, 0
	s_cbranch_scc1 .LBB740_67
; %bb.64:                               ;   in Loop: Header=BB740_63 Depth=1
	s_add_co_i32 s5, s5, -1
	s_mov_b32 s6, exec_lo
	s_wait_xcnt 0x0
	v_lshl_or_b32 v6, s5, 8, v1
	global_load_b32 v11, v6, s[10:11] scale_offset scope:SCOPE_DEV
	s_wait_loadcnt 0x0
	v_cmpx_gt_u32_e32 2.0, v11
	s_cbranch_execz .LBB740_62
; %bb.65:                               ;   in Loop: Header=BB740_63 Depth=1
	v_lshl_add_u64 v[12:13], v[6:7], 2, s[10:11]
	s_mov_b32 s7, 0
.LBB740_66:                             ;   Parent Loop BB740_63 Depth=1
                                        ; =>  This Inner Loop Header: Depth=2
	global_load_b32 v11, v[12:13], off scope:SCOPE_DEV
	s_wait_loadcnt 0x0
	v_cmp_lt_u32_e64 s2, 0x3fffffff, v11
	s_or_b32 s7, s2, s7
	s_wait_xcnt 0x0
	s_and_not1_b32 exec_lo, exec_lo, s7
	s_cbranch_execnz .LBB740_66
	s_branch .LBB740_61
.LBB740_67:                             ;   in Loop: Header=BB740_63 Depth=1
                                        ; implicit-def: $sgpr5
	s_and_b32 s6, exec_lo, s2
	s_delay_alu instid0(SALU_CYCLE_1)
	s_or_b32 s4, s6, s4
	s_wait_xcnt 0x0
	s_and_not1_b32 exec_lo, exec_lo, s4
	s_cbranch_execnz .LBB740_63
.LBB740_68:
	s_or_b32 exec_lo, exec_lo, s4
	v_dual_mov_b32 v11, 0 :: v_dual_add_nc_u32 v6, v10, v4
	s_delay_alu instid0(VALU_DEP_1) | instskip(SKIP_4) | instid1(VALU_DEP_1)
	v_or_b32_e32 v6, 0x80000000, v6
	global_store_b32 v[8:9], v6, off scope:SCOPE_DEV
	global_load_b64 v[6:7], v1, s[12:13] scale_offset
	v_sub_nc_u64_e32 v[8:9], v[10:11], v[2:3]
	s_wait_loadcnt 0x0
	v_add_nc_u64_e32 v[6:7], v[8:9], v[6:7]
	ds_store_b64 v5, v[6:7]
.LBB740_69:
	s_wait_xcnt 0x0
	s_or_b32 exec_lo, exec_lo, s3
	v_mad_i32_i24 v8, v1, -6, v5
	v_lshlrev_b32_e32 v6, 1, v1
	s_mov_b32 s3, exec_lo
	s_wait_storecnt_dscnt 0x0
	s_barrier_signal -1
	s_barrier_wait -1
	v_cmpx_gt_u32_e64 s22, v1
	s_cbranch_execz .LBB740_71
; %bb.70:
	ds_load_u16 v9, v8 offset:2048
	s_wait_dscnt 0x0
	v_and_b32_e32 v7, 0xffff, v9
	s_delay_alu instid0(VALU_DEP_1) | instskip(NEXT) | instid1(VALU_DEP_1)
	v_lshrrev_b32_e32 v7, s20, v7
	v_and_b32_e32 v7, s25, v7
	s_delay_alu instid0(VALU_DEP_1) | instskip(SKIP_4) | instid1(VALU_DEP_1)
	v_lshlrev_b32_e32 v7, 3, v7
	ds_load_b64 v[10:11], v7
	v_mov_b32_e32 v7, 0
	s_wait_dscnt 0x0
	v_lshl_add_u64 v[10:11], v[10:11], 1, s[18:19]
	v_add_nc_u64_e32 v[10:11], v[10:11], v[6:7]
	v_xor_b32_e32 v7, 0xffff8000, v9
	global_store_b16 v[10:11], v7, off
.LBB740_71:
	s_wait_xcnt 0x0
	s_or_b32 exec_lo, exec_lo, s3
	v_add_nc_u32_e32 v7, 0x200, v1
	s_mov_b32 s3, exec_lo
	s_delay_alu instid0(VALU_DEP_1)
	v_cmpx_gt_u32_e64 s22, v7
	s_cbranch_execz .LBB740_73
; %bb.72:
	ds_load_u16 v9, v8 offset:3072
	s_wait_dscnt 0x0
	v_and_b32_e32 v7, 0xffff, v9
	s_delay_alu instid0(VALU_DEP_1) | instskip(NEXT) | instid1(VALU_DEP_1)
	v_lshrrev_b32_e32 v7, s20, v7
	v_and_b32_e32 v7, s25, v7
	s_delay_alu instid0(VALU_DEP_1) | instskip(SKIP_4) | instid1(VALU_DEP_1)
	v_lshlrev_b32_e32 v7, 3, v7
	ds_load_b64 v[10:11], v7
	v_mov_b32_e32 v7, 0
	s_wait_dscnt 0x0
	v_lshl_add_u64 v[10:11], v[10:11], 1, s[18:19]
	v_add_nc_u64_e32 v[10:11], v[10:11], v[6:7]
	v_xor_b32_e32 v7, 0xffff8000, v9
	global_store_b16 v[10:11], v7, off offset:1024
.LBB740_73:
	s_wait_xcnt 0x0
	s_or_b32 exec_lo, exec_lo, s3
	v_or_b32_e32 v7, 0x400, v1
	s_mov_b32 s3, exec_lo
	s_delay_alu instid0(VALU_DEP_1)
	v_cmpx_gt_u32_e64 s22, v7
	s_cbranch_execz .LBB740_75
; %bb.74:
	ds_load_u16 v9, v8 offset:4096
	s_wait_dscnt 0x0
	v_and_b32_e32 v7, 0xffff, v9
	s_delay_alu instid0(VALU_DEP_1) | instskip(NEXT) | instid1(VALU_DEP_1)
	v_lshrrev_b32_e32 v7, s20, v7
	v_and_b32_e32 v7, s25, v7
	s_delay_alu instid0(VALU_DEP_1) | instskip(SKIP_4) | instid1(VALU_DEP_1)
	v_lshlrev_b32_e32 v7, 3, v7
	ds_load_b64 v[10:11], v7
	v_mov_b32_e32 v7, 0
	s_wait_dscnt 0x0
	v_lshl_add_u64 v[10:11], v[10:11], 1, s[18:19]
	v_add_nc_u64_e32 v[10:11], v[10:11], v[6:7]
	v_xor_b32_e32 v7, 0xffff8000, v9
	global_store_b16 v[10:11], v7, off offset:2048
.LBB740_75:
	s_wait_xcnt 0x0
	s_or_b32 exec_lo, exec_lo, s3
	v_add_nc_u32_e32 v7, 0x600, v1
	s_mov_b32 s3, exec_lo
	s_delay_alu instid0(VALU_DEP_1)
	v_cmpx_gt_u32_e64 s22, v7
	s_cbranch_execz .LBB740_77
; %bb.76:
	ds_load_u16 v9, v8 offset:5120
	s_wait_dscnt 0x0
	v_and_b32_e32 v7, 0xffff, v9
	s_delay_alu instid0(VALU_DEP_1) | instskip(NEXT) | instid1(VALU_DEP_1)
	v_lshrrev_b32_e32 v7, s20, v7
	v_and_b32_e32 v7, s25, v7
	s_delay_alu instid0(VALU_DEP_1) | instskip(SKIP_4) | instid1(VALU_DEP_1)
	v_lshlrev_b32_e32 v7, 3, v7
	ds_load_b64 v[10:11], v7
	v_mov_b32_e32 v7, 0
	s_wait_dscnt 0x0
	v_lshl_add_u64 v[10:11], v[10:11], 1, s[18:19]
	v_add_nc_u64_e32 v[10:11], v[10:11], v[6:7]
	v_xor_b32_e32 v7, 0xffff8000, v9
	global_store_b16 v[10:11], v7, off offset:3072
.LBB740_77:
	s_wait_xcnt 0x0
	s_or_b32 exec_lo, exec_lo, s3
	v_or_b32_e32 v7, 0x800, v1
	s_mov_b32 s3, exec_lo
	s_delay_alu instid0(VALU_DEP_1)
	v_cmpx_gt_u32_e64 s22, v7
	s_cbranch_execz .LBB740_79
; %bb.78:
	ds_load_u16 v9, v8 offset:6144
	s_wait_dscnt 0x0
	v_and_b32_e32 v7, 0xffff, v9
	s_delay_alu instid0(VALU_DEP_1) | instskip(NEXT) | instid1(VALU_DEP_1)
	v_lshrrev_b32_e32 v7, s20, v7
	v_and_b32_e32 v7, s25, v7
	s_delay_alu instid0(VALU_DEP_1) | instskip(SKIP_4) | instid1(VALU_DEP_1)
	v_lshlrev_b32_e32 v7, 3, v7
	ds_load_b64 v[10:11], v7
	v_mov_b32_e32 v7, 0
	s_wait_dscnt 0x0
	v_lshl_add_u64 v[10:11], v[10:11], 1, s[18:19]
	v_add_nc_u64_e32 v[10:11], v[10:11], v[6:7]
	v_xor_b32_e32 v7, 0xffff8000, v9
	global_store_b16 v[10:11], v7, off offset:4096
.LBB740_79:
	;; [unrolled: 48-line block ×5, first 2 shown]
	s_wait_xcnt 0x0
	s_or_b32 exec_lo, exec_lo, s3
	v_add_nc_u32_e32 v7, 0x1600, v1
	s_mov_b32 s3, exec_lo
	s_delay_alu instid0(VALU_DEP_1)
	v_cmpx_gt_u32_e64 s22, v7
	s_cbranch_execz .LBB740_93
; %bb.92:
	ds_load_u16 v10, v6 offset:13312
	s_wait_dscnt 0x0
	v_and_b32_e32 v7, 0xffff, v10
	s_delay_alu instid0(VALU_DEP_1) | instskip(NEXT) | instid1(VALU_DEP_1)
	v_lshrrev_b32_e32 v7, s20, v7
	v_and_b32_e32 v7, s25, v7
	s_delay_alu instid0(VALU_DEP_1) | instskip(SKIP_4) | instid1(VALU_DEP_1)
	v_lshlrev_b32_e32 v7, 3, v7
	ds_load_b64 v[8:9], v7
	v_mov_b32_e32 v7, 0
	s_wait_dscnt 0x0
	v_lshl_add_u64 v[8:9], v[8:9], 1, s[18:19]
	v_add_nc_u64_e32 v[6:7], v[8:9], v[6:7]
	v_xor_b32_e32 v8, 0xffff8000, v10
	global_store_b16 v[6:7], v8, off offset:11264
.LBB740_93:
	s_wait_xcnt 0x0
	s_or_b32 exec_lo, exec_lo, s3
	s_add_co_i32 s23, s23, -1
	s_delay_alu instid0(SALU_CYCLE_1) | instskip(SKIP_2) | instid1(SALU_CYCLE_1)
	s_cmp_eq_u32 s9, s23
	s_cselect_b32 s2, -1, 0
	s_xor_b32 s3, vcc_lo, -1
	s_and_b32 s3, s3, s2
	s_delay_alu instid0(SALU_CYCLE_1)
	s_and_saveexec_b32 s2, s3
	s_cbranch_execz .LBB740_95
; %bb.94:
	ds_load_b64 v[6:7], v5
	v_mov_b32_e32 v5, 0
	s_delay_alu instid0(VALU_DEP_1) | instskip(SKIP_1) | instid1(VALU_DEP_1)
	v_add_nc_u64_e32 v[2:3], v[2:3], v[4:5]
	s_wait_dscnt 0x0
	v_add_nc_u64_e32 v[2:3], v[2:3], v[6:7]
	global_store_b64 v1, v[2:3], s[14:15] scale_offset
.LBB740_95:
	s_wait_xcnt 0x0
	s_or_b32 exec_lo, exec_lo, s2
	s_mov_b32 s2, 0
.LBB740_96:
	s_delay_alu instid0(SALU_CYCLE_1)
	s_and_b32 vcc_lo, exec_lo, s2
	s_cbranch_vccz .LBB740_143
; %bb.97:
	s_mov_b32 s25, 0
	v_dual_mov_b32 v9, 0 :: v_dual_lshlrev_b32 v8, 1, v14
	s_lshl_b64 s[2:3], s[24:25], 1
	v_mul_u32_u24_e32 v1, 12, v15
	s_add_nc_u64 s[2:3], s[16:17], s[2:3]
	v_bfe_u32 v17, v0, 20, 10
	v_add_nc_u64_e32 v[2:3], s[2:3], v[8:9]
	s_delay_alu instid0(VALU_DEP_3) | instskip(NEXT) | instid1(VALU_DEP_1)
	v_lshlrev_b32_e32 v8, 1, v1
	v_add_nc_u64_e32 v[12:13], v[2:3], v[8:9]
	s_clause 0xb
	global_load_u16 v8, v[12:13], off
	global_load_u16 v10, v[12:13], off offset:64
	global_load_u16 v16, v[12:13], off offset:128
	;; [unrolled: 1-line block ×11, first 2 shown]
	s_clause 0x1
	s_load_b32 s7, s[0:1], 0x58
	s_load_u16 s2, s[0:1], 0x66
	v_bfe_u32 v13, v0, 10, 10
	v_and_b32_e32 v12, 0x3ff, v0
	s_wait_kmcnt 0x0
	s_cmp_lt_u32 s9, s7
	s_delay_alu instid0(VALU_DEP_2)
	v_mad_u32_u24 v0, v17, s2, v13
	s_cselect_b32 s24, 12, 18
	s_lshl_b32 s8, -1, s21
	s_add_nc_u64 s[0:1], s[26:27], s[24:25]
	s_load_u16 s16, s[0:1], 0x0
	s_wait_kmcnt 0x0
	v_mad_u32 v0, v0, s16, v12
	s_delay_alu instid0(VALU_DEP_1) | instskip(NEXT) | instid1(VALU_DEP_1)
	v_lshrrev_b32_e32 v0, 5, v0
	v_lshlrev_b32_e32 v0, 2, v0
	s_wait_loadcnt 0xb
	v_xor_b32_e32 v8, 0xffff8000, v8
	s_delay_alu instid0(VALU_DEP_1) | instskip(NEXT) | instid1(VALU_DEP_1)
	v_and_b32_e32 v11, 0xffff, v8
	v_lshrrev_b32_e32 v11, s20, v11
	s_delay_alu instid0(VALU_DEP_1) | instskip(SKIP_2) | instid1(VALU_DEP_2)
	v_bitop3_b32 v13, v11, 1, s8 bitop3:0x40
	v_bitop3_b32 v18, v11, s8, v11 bitop3:0x30
	s_not_b32 s8, s8
	v_add_co_u32 v11, s0, v13, -1
	s_delay_alu instid0(VALU_DEP_1) | instskip(NEXT) | instid1(VALU_DEP_3)
	v_cndmask_b32_e64 v13, 0, 1, s0
	v_dual_lshlrev_b32 v17, 30, v18 :: v_dual_lshlrev_b32 v19, 29, v18
	v_dual_lshlrev_b32 v21, 28, v18 :: v_dual_lshlrev_b32 v22, 27, v18
	s_delay_alu instid0(VALU_DEP_3) | instskip(NEXT) | instid1(VALU_DEP_3)
	v_cmp_ne_u32_e32 vcc_lo, 0, v13
	v_not_b32_e32 v13, v17
	v_dual_lshlrev_b32 v23, 26, v18 :: v_dual_lshlrev_b32 v25, 25, v18
	v_lshlrev_b32_e32 v26, 24, v18
	v_cmp_gt_i32_e64 s0, 0, v17
	v_cmp_gt_i32_e64 s1, 0, v19
	v_not_b32_e32 v17, v19
	v_not_b32_e32 v19, v21
	v_ashrrev_i32_e32 v13, 31, v13
	v_cmp_gt_i32_e64 s2, 0, v21
	v_cmp_gt_i32_e64 s3, 0, v22
	v_not_b32_e32 v21, v22
	v_not_b32_e32 v22, v23
	v_dual_ashrrev_i32 v17, 31, v17 :: v_dual_bitop2_b32 v11, vcc_lo, v11 bitop3:0x14
	v_dual_ashrrev_i32 v19, 31, v19 :: v_dual_bitop2_b32 v13, s0, v13 bitop3:0x14
	v_cmp_gt_i32_e64 s4, 0, v23
	v_cmp_gt_i32_e64 s5, 0, v25
	v_not_b32_e32 v23, v25
	v_not_b32_e32 v25, v26
	v_dual_ashrrev_i32 v21, 31, v21 :: v_dual_ashrrev_i32 v22, 31, v22
	v_xor_b32_e32 v17, s1, v17
	v_xor_b32_e32 v19, s2, v19
	v_bitop3_b32 v11, v11, v13, exec_lo bitop3:0x80
	v_cmp_gt_i32_e64 s6, 0, v26
	v_dual_ashrrev_i32 v13, 31, v23 :: v_dual_ashrrev_i32 v23, 31, v25
	v_xor_b32_e32 v21, s3, v21
	v_xor_b32_e32 v22, s4, v22
	v_bitop3_b32 v11, v11, v19, v17 bitop3:0x80
	s_delay_alu instid0(VALU_DEP_4) | instskip(SKIP_1) | instid1(VALU_DEP_3)
	v_xor_b32_e32 v13, s5, v13
	v_xor_b32_e32 v17, s6, v23
	v_bitop3_b32 v19, v11, v22, v21 bitop3:0x80
	v_mul_u32_u24_e32 v11, 36, v12
	ds_store_2addr_b32 v11, v9, v9 offset0:16 offset1:17
	ds_store_2addr_b32 v11, v9, v9 offset0:18 offset1:19
	;; [unrolled: 1-line block ×4, first 2 shown]
	v_bitop3_b32 v17, v19, v17, v13 bitop3:0x80
	ds_store_b32 v11, v9 offset:96
	v_mad_u32_u24 v13, 0x44, v18, v0
	s_wait_storecnt 0x0
	s_wait_loadcnt_dscnt 0x0
	s_barrier_signal -1
	v_mbcnt_lo_u32_b32 v9, v17, 0
	v_cmp_ne_u32_e64 s0, 0, v17
	s_barrier_wait -1
	s_delay_alu instid0(VALU_DEP_2) | instskip(SKIP_1) | instid1(SALU_CYCLE_1)
	v_cmp_eq_u32_e32 vcc_lo, 0, v9
	; wave barrier
	s_and_b32 s1, s0, vcc_lo
	s_and_saveexec_b32 s0, s1
; %bb.98:
	v_bcnt_u32_b32 v17, v17, 0
	ds_store_b32 v13, v17 offset:64
; %bb.99:
	s_or_b32 exec_lo, exec_lo, s0
	v_xor_b32_e32 v10, 0xffff8000, v10
	; wave barrier
	s_delay_alu instid0(VALU_DEP_1) | instskip(NEXT) | instid1(VALU_DEP_1)
	v_and_b32_e32 v17, 0xffff, v10
	v_lshrrev_b32_e32 v17, s20, v17
	s_delay_alu instid0(VALU_DEP_1) | instskip(SKIP_1) | instid1(VALU_DEP_2)
	v_bitop3_b32 v18, v17, 1, s8 bitop3:0x80
	v_and_b32_e32 v17, s8, v17
	v_add_co_u32 v18, s0, v18, -1
	s_delay_alu instid0(VALU_DEP_1) | instskip(NEXT) | instid1(VALU_DEP_3)
	v_cndmask_b32_e64 v19, 0, 1, s0
	v_dual_lshlrev_b32 v21, 30, v17 :: v_dual_lshlrev_b32 v22, 29, v17
	v_lshlrev_b32_e32 v23, 28, v17
	s_delay_alu instid0(VALU_DEP_3) | instskip(NEXT) | instid1(VALU_DEP_3)
	v_cmp_ne_u32_e32 vcc_lo, 0, v19
	v_cmp_gt_i32_e64 s0, 0, v21
	v_not_b32_e32 v19, v21
	v_cmp_gt_i32_e64 s1, 0, v22
	v_not_b32_e32 v21, v22
	v_not_b32_e32 v22, v23
	s_delay_alu instid0(VALU_DEP_4) | instskip(NEXT) | instid1(VALU_DEP_2)
	v_dual_ashrrev_i32 v19, 31, v19 :: v_dual_bitop2_b32 v18, vcc_lo, v18 bitop3:0x14
	v_dual_ashrrev_i32 v21, 31, v21 :: v_dual_ashrrev_i32 v22, 31, v22
	v_dual_lshlrev_b32 v25, 27, v17 :: v_dual_lshlrev_b32 v26, 26, v17
	v_dual_lshlrev_b32 v27, 25, v17 :: v_dual_lshlrev_b32 v28, 24, v17
	v_cmp_gt_i32_e64 s2, 0, v23
	s_delay_alu instid0(VALU_DEP_3)
	v_cmp_gt_i32_e64 s3, 0, v25
	v_not_b32_e32 v23, v25
	v_not_b32_e32 v25, v26
	v_xor_b32_e32 v19, s0, v19
	v_cmp_gt_i32_e64 s4, 0, v26
	v_cmp_gt_i32_e64 s5, 0, v27
	v_not_b32_e32 v26, v27
	v_not_b32_e32 v27, v28
	v_dual_ashrrev_i32 v23, 31, v23 :: v_dual_ashrrev_i32 v25, 31, v25
	s_delay_alu instid0(VALU_DEP_3) | instskip(NEXT) | instid1(VALU_DEP_3)
	v_dual_ashrrev_i32 v26, 31, v26 :: v_dual_bitop2_b32 v21, s1, v21 bitop3:0x14
	v_dual_ashrrev_i32 v27, 31, v27 :: v_dual_bitop2_b32 v22, s2, v22 bitop3:0x14
	v_bitop3_b32 v18, v18, v19, exec_lo bitop3:0x80
	v_cmp_gt_i32_e64 s6, 0, v28
	v_xor_b32_e32 v23, s3, v23
	v_xor_b32_e32 v25, s4, v25
	v_mad_u32_u24 v19, 0x44, v17, v0
	v_bitop3_b32 v18, v18, v22, v21 bitop3:0x80
	v_xor_b32_e32 v21, s5, v26
	v_xor_b32_e32 v22, s6, v27
	ds_load_b32 v17, v19 offset:64
	v_bitop3_b32 v18, v18, v25, v23 bitop3:0x80
	; wave barrier
	s_delay_alu instid0(VALU_DEP_1) | instskip(NEXT) | instid1(VALU_DEP_1)
	v_bitop3_b32 v21, v18, v22, v21 bitop3:0x80
	v_mbcnt_lo_u32_b32 v18, v21, 0
	v_cmp_ne_u32_e64 s0, 0, v21
	s_delay_alu instid0(VALU_DEP_2) | instskip(SKIP_1) | instid1(SALU_CYCLE_1)
	v_cmp_eq_u32_e32 vcc_lo, 0, v18
	s_and_b32 s1, s0, vcc_lo
	s_and_saveexec_b32 s0, s1
	s_cbranch_execz .LBB740_101
; %bb.100:
	s_wait_dscnt 0x0
	v_bcnt_u32_b32 v21, v21, v17
	ds_store_b32 v19, v21 offset:64
.LBB740_101:
	s_or_b32 exec_lo, exec_lo, s0
	v_xor_b32_e32 v16, 0xffff8000, v16
	; wave barrier
	s_delay_alu instid0(VALU_DEP_1) | instskip(NEXT) | instid1(VALU_DEP_1)
	v_and_b32_e32 v21, 0xffff, v16
	v_lshrrev_b32_e32 v21, s20, v21
	s_delay_alu instid0(VALU_DEP_1) | instskip(SKIP_1) | instid1(VALU_DEP_2)
	v_bitop3_b32 v22, v21, 1, s8 bitop3:0x80
	v_and_b32_e32 v21, s8, v21
	v_add_co_u32 v22, s0, v22, -1
	s_delay_alu instid0(VALU_DEP_1) | instskip(NEXT) | instid1(VALU_DEP_3)
	v_cndmask_b32_e64 v23, 0, 1, s0
	v_dual_lshlrev_b32 v25, 30, v21 :: v_dual_lshlrev_b32 v26, 29, v21
	v_lshlrev_b32_e32 v27, 28, v21
	s_delay_alu instid0(VALU_DEP_3) | instskip(NEXT) | instid1(VALU_DEP_3)
	v_cmp_ne_u32_e32 vcc_lo, 0, v23
	v_cmp_gt_i32_e64 s0, 0, v25
	v_not_b32_e32 v23, v25
	v_cmp_gt_i32_e64 s1, 0, v26
	v_not_b32_e32 v25, v26
	v_not_b32_e32 v26, v27
	s_delay_alu instid0(VALU_DEP_4) | instskip(NEXT) | instid1(VALU_DEP_2)
	v_dual_ashrrev_i32 v23, 31, v23 :: v_dual_bitop2_b32 v22, vcc_lo, v22 bitop3:0x14
	v_dual_ashrrev_i32 v25, 31, v25 :: v_dual_ashrrev_i32 v26, 31, v26
	v_dual_lshlrev_b32 v28, 27, v21 :: v_dual_lshlrev_b32 v29, 26, v21
	v_dual_lshlrev_b32 v30, 25, v21 :: v_dual_lshlrev_b32 v31, 24, v21
	v_cmp_gt_i32_e64 s2, 0, v27
	s_delay_alu instid0(VALU_DEP_3)
	v_cmp_gt_i32_e64 s3, 0, v28
	v_not_b32_e32 v27, v28
	v_not_b32_e32 v28, v29
	v_xor_b32_e32 v23, s0, v23
	v_cmp_gt_i32_e64 s4, 0, v29
	v_cmp_gt_i32_e64 s5, 0, v30
	v_not_b32_e32 v29, v30
	v_not_b32_e32 v30, v31
	v_dual_ashrrev_i32 v27, 31, v27 :: v_dual_ashrrev_i32 v28, 31, v28
	v_xor_b32_e32 v25, s1, v25
	s_delay_alu instid0(VALU_DEP_4) | instskip(SKIP_4) | instid1(VALU_DEP_4)
	v_dual_ashrrev_i32 v29, 31, v29 :: v_dual_bitop2_b32 v26, s2, v26 bitop3:0x14
	v_bitop3_b32 v22, v22, v23, exec_lo bitop3:0x80
	v_cmp_gt_i32_e64 s6, 0, v31
	v_dual_ashrrev_i32 v30, 31, v30 :: v_dual_bitop2_b32 v27, s3, v27 bitop3:0x14
	v_xor_b32_e32 v28, s4, v28
	v_bitop3_b32 v22, v22, v26, v25 bitop3:0x80
	v_mad_u32_u24 v23, 0x44, v21, v0
	v_xor_b32_e32 v25, s5, v29
	v_xor_b32_e32 v26, s6, v30
	s_delay_alu instid0(VALU_DEP_4) | instskip(SKIP_2) | instid1(VALU_DEP_1)
	v_bitop3_b32 v22, v22, v28, v27 bitop3:0x80
	ds_load_b32 v21, v23 offset:64
	; wave barrier
	v_bitop3_b32 v25, v22, v26, v25 bitop3:0x80
	v_mbcnt_lo_u32_b32 v22, v25, 0
	v_cmp_ne_u32_e64 s0, 0, v25
	s_delay_alu instid0(VALU_DEP_2) | instskip(SKIP_1) | instid1(SALU_CYCLE_1)
	v_cmp_eq_u32_e32 vcc_lo, 0, v22
	s_and_b32 s1, s0, vcc_lo
	s_and_saveexec_b32 s0, s1
	s_cbranch_execz .LBB740_103
; %bb.102:
	s_wait_dscnt 0x0
	v_bcnt_u32_b32 v25, v25, v21
	ds_store_b32 v23, v25 offset:64
.LBB740_103:
	s_or_b32 exec_lo, exec_lo, s0
	v_xor_b32_e32 v20, 0xffff8000, v20
	; wave barrier
	s_delay_alu instid0(VALU_DEP_1) | instskip(NEXT) | instid1(VALU_DEP_1)
	v_and_b32_e32 v25, 0xffff, v20
	v_lshrrev_b32_e32 v25, s20, v25
	s_delay_alu instid0(VALU_DEP_1) | instskip(SKIP_1) | instid1(VALU_DEP_2)
	v_bitop3_b32 v26, v25, 1, s8 bitop3:0x80
	v_and_b32_e32 v25, s8, v25
	v_add_co_u32 v26, s0, v26, -1
	s_delay_alu instid0(VALU_DEP_1) | instskip(NEXT) | instid1(VALU_DEP_3)
	v_cndmask_b32_e64 v27, 0, 1, s0
	v_dual_lshlrev_b32 v28, 30, v25 :: v_dual_lshlrev_b32 v29, 29, v25
	s_delay_alu instid0(VALU_DEP_2) | instskip(NEXT) | instid1(VALU_DEP_2)
	v_cmp_ne_u32_e32 vcc_lo, 0, v27
	v_cmp_gt_i32_e64 s0, 0, v28
	v_not_b32_e32 v27, v28
	s_delay_alu instid0(VALU_DEP_4) | instskip(SKIP_1) | instid1(VALU_DEP_3)
	v_not_b32_e32 v28, v29
	v_cmp_gt_i32_e64 s1, 0, v29
	v_dual_ashrrev_i32 v27, 31, v27 :: v_dual_bitop2_b32 v26, vcc_lo, v26 bitop3:0x14
	s_delay_alu instid0(VALU_DEP_3) | instskip(SKIP_2) | instid1(VALU_DEP_3)
	v_dual_ashrrev_i32 v28, 31, v28 :: v_dual_lshlrev_b32 v30, 28, v25
	v_dual_lshlrev_b32 v31, 27, v25 :: v_dual_lshlrev_b32 v32, 26, v25
	v_dual_lshlrev_b32 v33, 25, v25 :: v_dual_lshlrev_b32 v34, 24, v25
	v_not_b32_e32 v29, v30
	v_cmp_gt_i32_e64 s2, 0, v30
	s_delay_alu instid0(VALU_DEP_4)
	v_cmp_gt_i32_e64 s3, 0, v31
	v_not_b32_e32 v30, v31
	v_not_b32_e32 v31, v32
	v_dual_ashrrev_i32 v29, 31, v29 :: v_dual_bitop2_b32 v27, s0, v27 bitop3:0x14
	v_cmp_gt_i32_e64 s4, 0, v32
	v_cmp_gt_i32_e64 s5, 0, v33
	v_not_b32_e32 v32, v33
	v_not_b32_e32 v33, v34
	v_dual_ashrrev_i32 v30, 31, v30 :: v_dual_ashrrev_i32 v31, 31, v31
	v_xor_b32_e32 v28, s1, v28
	s_delay_alu instid0(VALU_DEP_4) | instskip(SKIP_4) | instid1(VALU_DEP_4)
	v_dual_ashrrev_i32 v32, 31, v32 :: v_dual_bitop2_b32 v29, s2, v29 bitop3:0x14
	v_bitop3_b32 v26, v26, v27, exec_lo bitop3:0x80
	v_cmp_gt_i32_e64 s6, 0, v34
	v_dual_ashrrev_i32 v33, 31, v33 :: v_dual_bitop2_b32 v30, s3, v30 bitop3:0x14
	v_xor_b32_e32 v31, s4, v31
	v_bitop3_b32 v26, v26, v29, v28 bitop3:0x80
	v_mad_u32_u24 v27, 0x44, v25, v0
	v_xor_b32_e32 v28, s5, v32
	v_xor_b32_e32 v29, s6, v33
	s_delay_alu instid0(VALU_DEP_4) | instskip(SKIP_2) | instid1(VALU_DEP_1)
	v_bitop3_b32 v26, v26, v31, v30 bitop3:0x80
	ds_load_b32 v25, v27 offset:64
	; wave barrier
	v_bitop3_b32 v28, v26, v29, v28 bitop3:0x80
	v_mbcnt_lo_u32_b32 v26, v28, 0
	v_cmp_ne_u32_e64 s0, 0, v28
	s_delay_alu instid0(VALU_DEP_2) | instskip(SKIP_1) | instid1(SALU_CYCLE_1)
	v_cmp_eq_u32_e32 vcc_lo, 0, v26
	s_and_b32 s1, s0, vcc_lo
	s_and_saveexec_b32 s0, s1
	s_cbranch_execz .LBB740_105
; %bb.104:
	s_wait_dscnt 0x0
	v_bcnt_u32_b32 v28, v28, v25
	ds_store_b32 v27, v28 offset:64
.LBB740_105:
	s_or_b32 exec_lo, exec_lo, s0
	v_xor_b32_e32 v24, 0xffff8000, v24
	; wave barrier
	s_delay_alu instid0(VALU_DEP_1) | instskip(NEXT) | instid1(VALU_DEP_1)
	v_and_b32_e32 v28, 0xffff, v24
	v_lshrrev_b32_e32 v28, s20, v28
	s_delay_alu instid0(VALU_DEP_1) | instskip(SKIP_1) | instid1(VALU_DEP_2)
	v_bitop3_b32 v29, v28, 1, s8 bitop3:0x80
	v_and_b32_e32 v28, s8, v28
	v_add_co_u32 v29, s0, v29, -1
	s_delay_alu instid0(VALU_DEP_1) | instskip(NEXT) | instid1(VALU_DEP_3)
	v_cndmask_b32_e64 v30, 0, 1, s0
	v_dual_lshlrev_b32 v31, 30, v28 :: v_dual_lshlrev_b32 v32, 29, v28
	s_delay_alu instid0(VALU_DEP_2) | instskip(NEXT) | instid1(VALU_DEP_2)
	v_cmp_ne_u32_e32 vcc_lo, 0, v30
	v_cmp_gt_i32_e64 s0, 0, v31
	v_not_b32_e32 v30, v31
	s_delay_alu instid0(VALU_DEP_4) | instskip(SKIP_1) | instid1(VALU_DEP_3)
	v_not_b32_e32 v31, v32
	v_cmp_gt_i32_e64 s1, 0, v32
	v_dual_ashrrev_i32 v30, 31, v30 :: v_dual_bitop2_b32 v29, vcc_lo, v29 bitop3:0x14
	s_delay_alu instid0(VALU_DEP_3) | instskip(SKIP_2) | instid1(VALU_DEP_3)
	v_dual_ashrrev_i32 v31, 31, v31 :: v_dual_lshlrev_b32 v33, 28, v28
	v_dual_lshlrev_b32 v34, 27, v28 :: v_dual_lshlrev_b32 v35, 26, v28
	v_dual_lshlrev_b32 v36, 25, v28 :: v_dual_lshlrev_b32 v37, 24, v28
	v_not_b32_e32 v32, v33
	v_cmp_gt_i32_e64 s2, 0, v33
	s_delay_alu instid0(VALU_DEP_4)
	v_cmp_gt_i32_e64 s3, 0, v34
	v_not_b32_e32 v33, v34
	v_not_b32_e32 v34, v35
	v_dual_ashrrev_i32 v32, 31, v32 :: v_dual_bitop2_b32 v30, s0, v30 bitop3:0x14
	v_cmp_gt_i32_e64 s4, 0, v35
	v_cmp_gt_i32_e64 s5, 0, v36
	v_not_b32_e32 v35, v36
	v_not_b32_e32 v36, v37
	v_dual_ashrrev_i32 v33, 31, v33 :: v_dual_ashrrev_i32 v34, 31, v34
	v_xor_b32_e32 v31, s1, v31
	v_xor_b32_e32 v32, s2, v32
	v_bitop3_b32 v29, v29, v30, exec_lo bitop3:0x80
	v_cmp_gt_i32_e64 s6, 0, v37
	v_dual_ashrrev_i32 v30, 31, v35 :: v_dual_ashrrev_i32 v35, 31, v36
	v_xor_b32_e32 v33, s3, v33
	v_xor_b32_e32 v34, s4, v34
	v_bitop3_b32 v29, v29, v32, v31 bitop3:0x80
	v_mad_u32_u24 v31, 0x44, v28, v0
	v_xor_b32_e32 v30, s5, v30
	v_xor_b32_e32 v32, s6, v35
	s_delay_alu instid0(VALU_DEP_4) | instskip(SKIP_2) | instid1(VALU_DEP_1)
	v_bitop3_b32 v29, v29, v34, v33 bitop3:0x80
	ds_load_b32 v28, v31 offset:64
	; wave barrier
	v_bitop3_b32 v29, v29, v32, v30 bitop3:0x80
	v_mbcnt_lo_u32_b32 v30, v29, 0
	v_cmp_ne_u32_e64 s0, 0, v29
	s_delay_alu instid0(VALU_DEP_2) | instskip(SKIP_1) | instid1(SALU_CYCLE_1)
	v_cmp_eq_u32_e32 vcc_lo, 0, v30
	s_and_b32 s1, s0, vcc_lo
	s_and_saveexec_b32 s0, s1
	s_cbranch_execz .LBB740_107
; %bb.106:
	s_wait_dscnt 0x0
	v_bcnt_u32_b32 v29, v29, v28
	ds_store_b32 v31, v29 offset:64
.LBB740_107:
	s_or_b32 exec_lo, exec_lo, s0
	v_xor_b32_e32 v29, 0xffff8000, v7
	; wave barrier
	s_delay_alu instid0(VALU_DEP_1) | instskip(NEXT) | instid1(VALU_DEP_1)
	v_and_b32_e32 v7, 0xffff, v29
	v_lshrrev_b32_e32 v7, s20, v7
	s_delay_alu instid0(VALU_DEP_1) | instskip(SKIP_1) | instid1(VALU_DEP_2)
	v_bitop3_b32 v32, v7, 1, s8 bitop3:0x80
	v_and_b32_e32 v7, s8, v7
	v_add_co_u32 v32, s0, v32, -1
	s_delay_alu instid0(VALU_DEP_1) | instskip(NEXT) | instid1(VALU_DEP_3)
	v_cndmask_b32_e64 v33, 0, 1, s0
	v_dual_lshlrev_b32 v34, 30, v7 :: v_dual_lshlrev_b32 v35, 29, v7
	s_delay_alu instid0(VALU_DEP_2) | instskip(NEXT) | instid1(VALU_DEP_2)
	v_cmp_ne_u32_e32 vcc_lo, 0, v33
	v_cmp_gt_i32_e64 s0, 0, v34
	v_not_b32_e32 v33, v34
	s_delay_alu instid0(VALU_DEP_4) | instskip(SKIP_1) | instid1(VALU_DEP_3)
	v_not_b32_e32 v34, v35
	v_cmp_gt_i32_e64 s1, 0, v35
	v_dual_ashrrev_i32 v33, 31, v33 :: v_dual_bitop2_b32 v32, vcc_lo, v32 bitop3:0x14
	s_delay_alu instid0(VALU_DEP_3) | instskip(SKIP_2) | instid1(VALU_DEP_3)
	v_dual_ashrrev_i32 v34, 31, v34 :: v_dual_lshlrev_b32 v36, 28, v7
	v_dual_lshlrev_b32 v37, 27, v7 :: v_dual_lshlrev_b32 v38, 26, v7
	v_dual_lshlrev_b32 v39, 25, v7 :: v_dual_lshlrev_b32 v40, 24, v7
	v_not_b32_e32 v35, v36
	v_cmp_gt_i32_e64 s2, 0, v36
	s_delay_alu instid0(VALU_DEP_4)
	v_cmp_gt_i32_e64 s3, 0, v37
	v_not_b32_e32 v36, v37
	v_not_b32_e32 v37, v38
	v_dual_ashrrev_i32 v35, 31, v35 :: v_dual_bitop2_b32 v33, s0, v33 bitop3:0x14
	v_cmp_gt_i32_e64 s4, 0, v38
	v_cmp_gt_i32_e64 s5, 0, v39
	v_not_b32_e32 v38, v39
	v_not_b32_e32 v39, v40
	v_dual_ashrrev_i32 v36, 31, v36 :: v_dual_ashrrev_i32 v37, 31, v37
	v_xor_b32_e32 v34, s1, v34
	v_xor_b32_e32 v35, s2, v35
	v_bitop3_b32 v32, v32, v33, exec_lo bitop3:0x80
	v_cmp_gt_i32_e64 s6, 0, v40
	v_dual_ashrrev_i32 v33, 31, v38 :: v_dual_ashrrev_i32 v38, 31, v39
	v_xor_b32_e32 v36, s3, v36
	v_xor_b32_e32 v37, s4, v37
	v_bitop3_b32 v32, v32, v35, v34 bitop3:0x80
	v_mad_u32_u24 v35, 0x44, v7, v0
	v_xor_b32_e32 v7, s5, v33
	v_xor_b32_e32 v33, s6, v38
	s_delay_alu instid0(VALU_DEP_4) | instskip(SKIP_2) | instid1(VALU_DEP_1)
	v_bitop3_b32 v34, v32, v37, v36 bitop3:0x80
	ds_load_b32 v32, v35 offset:64
	; wave barrier
	v_bitop3_b32 v7, v34, v33, v7 bitop3:0x80
	v_mbcnt_lo_u32_b32 v34, v7, 0
	v_cmp_ne_u32_e64 s0, 0, v7
	s_delay_alu instid0(VALU_DEP_2) | instskip(SKIP_1) | instid1(SALU_CYCLE_1)
	v_cmp_eq_u32_e32 vcc_lo, 0, v34
	s_and_b32 s1, s0, vcc_lo
	s_and_saveexec_b32 s0, s1
	s_cbranch_execz .LBB740_109
; %bb.108:
	s_wait_dscnt 0x0
	v_bcnt_u32_b32 v7, v7, v32
	ds_store_b32 v35, v7 offset:64
.LBB740_109:
	s_or_b32 exec_lo, exec_lo, s0
	v_xor_b32_e32 v33, 0xffff8000, v6
	; wave barrier
	s_delay_alu instid0(VALU_DEP_1) | instskip(NEXT) | instid1(VALU_DEP_1)
	v_and_b32_e32 v6, 0xffff, v33
	v_lshrrev_b32_e32 v6, s20, v6
	s_delay_alu instid0(VALU_DEP_1) | instskip(SKIP_1) | instid1(VALU_DEP_2)
	v_bitop3_b32 v7, v6, 1, s8 bitop3:0x80
	v_and_b32_e32 v6, s8, v6
	v_add_co_u32 v7, s0, v7, -1
	s_delay_alu instid0(VALU_DEP_1) | instskip(NEXT) | instid1(VALU_DEP_3)
	v_cndmask_b32_e64 v36, 0, 1, s0
	v_dual_lshlrev_b32 v37, 30, v6 :: v_dual_lshlrev_b32 v38, 29, v6
	s_delay_alu instid0(VALU_DEP_2) | instskip(NEXT) | instid1(VALU_DEP_2)
	v_cmp_ne_u32_e32 vcc_lo, 0, v36
	v_cmp_gt_i32_e64 s0, 0, v37
	v_not_b32_e32 v36, v37
	s_delay_alu instid0(VALU_DEP_4) | instskip(SKIP_1) | instid1(VALU_DEP_3)
	v_not_b32_e32 v37, v38
	v_cmp_gt_i32_e64 s1, 0, v38
	v_dual_ashrrev_i32 v36, 31, v36 :: v_dual_bitop2_b32 v7, vcc_lo, v7 bitop3:0x14
	s_delay_alu instid0(VALU_DEP_3) | instskip(SKIP_2) | instid1(VALU_DEP_3)
	v_dual_ashrrev_i32 v37, 31, v37 :: v_dual_lshlrev_b32 v39, 28, v6
	v_dual_lshlrev_b32 v40, 27, v6 :: v_dual_lshlrev_b32 v41, 26, v6
	v_dual_lshlrev_b32 v42, 25, v6 :: v_dual_lshlrev_b32 v43, 24, v6
	v_not_b32_e32 v38, v39
	v_cmp_gt_i32_e64 s2, 0, v39
	s_delay_alu instid0(VALU_DEP_4)
	v_cmp_gt_i32_e64 s3, 0, v40
	v_not_b32_e32 v39, v40
	v_not_b32_e32 v40, v41
	v_dual_ashrrev_i32 v38, 31, v38 :: v_dual_bitop2_b32 v36, s0, v36 bitop3:0x14
	v_cmp_gt_i32_e64 s4, 0, v41
	v_cmp_gt_i32_e64 s5, 0, v42
	v_not_b32_e32 v41, v42
	v_not_b32_e32 v42, v43
	v_dual_ashrrev_i32 v39, 31, v39 :: v_dual_ashrrev_i32 v40, 31, v40
	v_xor_b32_e32 v37, s1, v37
	v_xor_b32_e32 v38, s2, v38
	v_bitop3_b32 v7, v7, v36, exec_lo bitop3:0x80
	v_cmp_gt_i32_e64 s6, 0, v43
	v_dual_ashrrev_i32 v36, 31, v41 :: v_dual_ashrrev_i32 v41, 31, v42
	v_xor_b32_e32 v42, s3, v39
	v_xor_b32_e32 v40, s4, v40
	v_bitop3_b32 v7, v7, v38, v37 bitop3:0x80
	v_mad_u32_u24 v39, 0x44, v6, v0
	v_xor_b32_e32 v6, s5, v36
	v_xor_b32_e32 v36, s6, v41
	s_delay_alu instid0(VALU_DEP_4) | instskip(SKIP_2) | instid1(VALU_DEP_1)
	v_bitop3_b32 v7, v7, v40, v42 bitop3:0x80
	ds_load_b32 v37, v39 offset:64
	; wave barrier
	v_bitop3_b32 v6, v7, v36, v6 bitop3:0x80
	v_mbcnt_lo_u32_b32 v38, v6, 0
	v_cmp_ne_u32_e64 s0, 0, v6
	s_delay_alu instid0(VALU_DEP_2) | instskip(SKIP_1) | instid1(SALU_CYCLE_1)
	v_cmp_eq_u32_e32 vcc_lo, 0, v38
	s_and_b32 s1, s0, vcc_lo
	s_and_saveexec_b32 s0, s1
	s_cbranch_execz .LBB740_111
; %bb.110:
	s_wait_dscnt 0x0
	v_bcnt_u32_b32 v6, v6, v37
	ds_store_b32 v39, v6 offset:64
.LBB740_111:
	s_or_b32 exec_lo, exec_lo, s0
	v_xor_b32_e32 v36, 0xffff8000, v5
	; wave barrier
	s_delay_alu instid0(VALU_DEP_1) | instskip(NEXT) | instid1(VALU_DEP_1)
	v_and_b32_e32 v5, 0xffff, v36
	v_lshrrev_b32_e32 v5, s20, v5
	s_delay_alu instid0(VALU_DEP_1) | instskip(SKIP_1) | instid1(VALU_DEP_2)
	v_bitop3_b32 v6, v5, 1, s8 bitop3:0x80
	v_and_b32_e32 v5, s8, v5
	v_add_co_u32 v6, s0, v6, -1
	s_delay_alu instid0(VALU_DEP_1) | instskip(NEXT) | instid1(VALU_DEP_3)
	v_cndmask_b32_e64 v7, 0, 1, s0
	v_dual_lshlrev_b32 v40, 30, v5 :: v_dual_lshlrev_b32 v41, 29, v5
	s_delay_alu instid0(VALU_DEP_2) | instskip(NEXT) | instid1(VALU_DEP_2)
	v_cmp_ne_u32_e32 vcc_lo, 0, v7
	v_cmp_gt_i32_e64 s0, 0, v40
	v_not_b32_e32 v7, v40
	s_delay_alu instid0(VALU_DEP_4) | instskip(SKIP_1) | instid1(VALU_DEP_3)
	v_not_b32_e32 v40, v41
	v_cmp_gt_i32_e64 s1, 0, v41
	v_dual_ashrrev_i32 v7, 31, v7 :: v_dual_bitop2_b32 v6, vcc_lo, v6 bitop3:0x14
	s_delay_alu instid0(VALU_DEP_3) | instskip(SKIP_2) | instid1(VALU_DEP_3)
	v_dual_ashrrev_i32 v40, 31, v40 :: v_dual_lshlrev_b32 v42, 28, v5
	v_dual_lshlrev_b32 v43, 27, v5 :: v_dual_lshlrev_b32 v44, 26, v5
	v_dual_lshlrev_b32 v45, 25, v5 :: v_dual_lshlrev_b32 v46, 24, v5
	v_not_b32_e32 v41, v42
	v_cmp_gt_i32_e64 s2, 0, v42
	s_delay_alu instid0(VALU_DEP_4)
	v_cmp_gt_i32_e64 s3, 0, v43
	v_not_b32_e32 v42, v43
	v_not_b32_e32 v43, v44
	v_dual_ashrrev_i32 v41, 31, v41 :: v_dual_bitop2_b32 v7, s0, v7 bitop3:0x14
	v_cmp_gt_i32_e64 s4, 0, v44
	v_cmp_gt_i32_e64 s5, 0, v45
	v_not_b32_e32 v44, v45
	v_not_b32_e32 v45, v46
	v_dual_ashrrev_i32 v42, 31, v42 :: v_dual_ashrrev_i32 v43, 31, v43
	v_xor_b32_e32 v40, s1, v40
	v_xor_b32_e32 v41, s2, v41
	v_bitop3_b32 v6, v6, v7, exec_lo bitop3:0x80
	v_cmp_gt_i32_e64 s6, 0, v46
	v_dual_ashrrev_i32 v7, 31, v44 :: v_dual_ashrrev_i32 v44, 31, v45
	v_xor_b32_e32 v42, s3, v42
	v_xor_b32_e32 v45, s4, v43
	v_bitop3_b32 v6, v6, v41, v40 bitop3:0x80
	v_mad_u32_u24 v43, 0x44, v5, v0
	v_xor_b32_e32 v5, s5, v7
	v_xor_b32_e32 v7, s6, v44
	s_delay_alu instid0(VALU_DEP_4) | instskip(SKIP_2) | instid1(VALU_DEP_1)
	v_bitop3_b32 v6, v6, v45, v42 bitop3:0x80
	ds_load_b32 v41, v43 offset:64
	; wave barrier
	v_bitop3_b32 v5, v6, v7, v5 bitop3:0x80
	v_mbcnt_lo_u32_b32 v42, v5, 0
	v_cmp_ne_u32_e64 s0, 0, v5
	s_delay_alu instid0(VALU_DEP_2) | instskip(SKIP_1) | instid1(SALU_CYCLE_1)
	v_cmp_eq_u32_e32 vcc_lo, 0, v42
	s_and_b32 s1, s0, vcc_lo
	s_and_saveexec_b32 s0, s1
	s_cbranch_execz .LBB740_113
; %bb.112:
	s_wait_dscnt 0x0
	v_bcnt_u32_b32 v5, v5, v41
	ds_store_b32 v43, v5 offset:64
.LBB740_113:
	s_or_b32 exec_lo, exec_lo, s0
	v_xor_b32_e32 v40, 0xffff8000, v4
	; wave barrier
	s_delay_alu instid0(VALU_DEP_1) | instskip(NEXT) | instid1(VALU_DEP_1)
	v_and_b32_e32 v4, 0xffff, v40
	v_lshrrev_b32_e32 v4, s20, v4
	s_delay_alu instid0(VALU_DEP_1) | instskip(SKIP_1) | instid1(VALU_DEP_2)
	v_bitop3_b32 v5, v4, 1, s8 bitop3:0x80
	v_and_b32_e32 v4, s8, v4
	v_add_co_u32 v5, s0, v5, -1
	s_delay_alu instid0(VALU_DEP_1) | instskip(NEXT) | instid1(VALU_DEP_3)
	v_cndmask_b32_e64 v6, 0, 1, s0
	v_dual_lshlrev_b32 v7, 30, v4 :: v_dual_lshlrev_b32 v44, 29, v4
	s_delay_alu instid0(VALU_DEP_2) | instskip(NEXT) | instid1(VALU_DEP_2)
	v_cmp_ne_u32_e32 vcc_lo, 0, v6
	v_cmp_gt_i32_e64 s0, 0, v7
	v_not_b32_e32 v6, v7
	s_delay_alu instid0(VALU_DEP_4) | instskip(SKIP_1) | instid1(VALU_DEP_3)
	v_not_b32_e32 v7, v44
	v_cmp_gt_i32_e64 s1, 0, v44
	v_dual_ashrrev_i32 v6, 31, v6 :: v_dual_bitop2_b32 v5, vcc_lo, v5 bitop3:0x14
	s_delay_alu instid0(VALU_DEP_3) | instskip(SKIP_2) | instid1(VALU_DEP_3)
	v_dual_ashrrev_i32 v7, 31, v7 :: v_dual_lshlrev_b32 v45, 28, v4
	v_dual_lshlrev_b32 v46, 27, v4 :: v_dual_lshlrev_b32 v47, 26, v4
	v_dual_lshlrev_b32 v48, 25, v4 :: v_dual_lshlrev_b32 v49, 24, v4
	v_not_b32_e32 v44, v45
	v_cmp_gt_i32_e64 s2, 0, v45
	s_delay_alu instid0(VALU_DEP_4)
	v_cmp_gt_i32_e64 s3, 0, v46
	v_not_b32_e32 v45, v46
	v_not_b32_e32 v46, v47
	v_dual_ashrrev_i32 v44, 31, v44 :: v_dual_bitop2_b32 v6, s0, v6 bitop3:0x14
	v_cmp_gt_i32_e64 s4, 0, v47
	v_cmp_gt_i32_e64 s5, 0, v48
	v_not_b32_e32 v47, v48
	v_not_b32_e32 v48, v49
	v_dual_ashrrev_i32 v45, 31, v45 :: v_dual_ashrrev_i32 v46, 31, v46
	v_xor_b32_e32 v7, s1, v7
	v_xor_b32_e32 v44, s2, v44
	v_bitop3_b32 v5, v5, v6, exec_lo bitop3:0x80
	v_cmp_gt_i32_e64 s6, 0, v49
	v_dual_ashrrev_i32 v6, 31, v47 :: v_dual_ashrrev_i32 v48, 31, v48
	v_xor_b32_e32 v45, s3, v45
	v_xor_b32_e32 v46, s4, v46
	v_bitop3_b32 v5, v5, v44, v7 bitop3:0x80
	v_mad_u32_u24 v47, 0x44, v4, v0
	v_xor_b32_e32 v4, s5, v6
	v_xor_b32_e32 v6, s6, v48
	s_delay_alu instid0(VALU_DEP_4) | instskip(SKIP_2) | instid1(VALU_DEP_1)
	v_bitop3_b32 v5, v5, v46, v45 bitop3:0x80
	ds_load_b32 v45, v47 offset:64
	; wave barrier
	v_bitop3_b32 v4, v5, v6, v4 bitop3:0x80
	v_mbcnt_lo_u32_b32 v46, v4, 0
	v_cmp_ne_u32_e64 s0, 0, v4
	s_delay_alu instid0(VALU_DEP_2) | instskip(SKIP_1) | instid1(SALU_CYCLE_1)
	v_cmp_eq_u32_e32 vcc_lo, 0, v46
	s_and_b32 s1, s0, vcc_lo
	s_and_saveexec_b32 s0, s1
	s_cbranch_execz .LBB740_115
; %bb.114:
	s_wait_dscnt 0x0
	v_bcnt_u32_b32 v4, v4, v45
	ds_store_b32 v47, v4 offset:64
.LBB740_115:
	s_or_b32 exec_lo, exec_lo, s0
	v_xor_b32_e32 v44, 0xffff8000, v3
	; wave barrier
	s_delay_alu instid0(VALU_DEP_1) | instskip(NEXT) | instid1(VALU_DEP_1)
	v_and_b32_e32 v3, 0xffff, v44
	v_lshrrev_b32_e32 v3, s20, v3
	s_delay_alu instid0(VALU_DEP_1) | instskip(SKIP_1) | instid1(VALU_DEP_2)
	v_bitop3_b32 v4, v3, 1, s8 bitop3:0x80
	v_and_b32_e32 v3, s8, v3
	v_add_co_u32 v4, s0, v4, -1
	s_delay_alu instid0(VALU_DEP_1) | instskip(NEXT) | instid1(VALU_DEP_3)
	v_cndmask_b32_e64 v5, 0, 1, s0
	v_dual_lshlrev_b32 v6, 30, v3 :: v_dual_lshlrev_b32 v7, 29, v3
	s_delay_alu instid0(VALU_DEP_2) | instskip(NEXT) | instid1(VALU_DEP_2)
	v_cmp_ne_u32_e32 vcc_lo, 0, v5
	v_cmp_gt_i32_e64 s0, 0, v6
	v_not_b32_e32 v5, v6
	s_delay_alu instid0(VALU_DEP_4) | instskip(SKIP_1) | instid1(VALU_DEP_3)
	v_not_b32_e32 v6, v7
	v_cmp_gt_i32_e64 s1, 0, v7
	v_dual_ashrrev_i32 v5, 31, v5 :: v_dual_bitop2_b32 v4, vcc_lo, v4 bitop3:0x14
	s_delay_alu instid0(VALU_DEP_3) | instskip(SKIP_2) | instid1(VALU_DEP_3)
	v_dual_ashrrev_i32 v6, 31, v6 :: v_dual_lshlrev_b32 v48, 28, v3
	v_dual_lshlrev_b32 v49, 27, v3 :: v_dual_lshlrev_b32 v50, 26, v3
	v_dual_lshlrev_b32 v51, 25, v3 :: v_dual_lshlrev_b32 v52, 24, v3
	v_not_b32_e32 v7, v48
	v_cmp_gt_i32_e64 s2, 0, v48
	s_delay_alu instid0(VALU_DEP_4)
	v_cmp_gt_i32_e64 s3, 0, v49
	v_not_b32_e32 v48, v49
	v_not_b32_e32 v49, v50
	v_dual_ashrrev_i32 v7, 31, v7 :: v_dual_bitop2_b32 v5, s0, v5 bitop3:0x14
	v_cmp_gt_i32_e64 s4, 0, v50
	v_cmp_gt_i32_e64 s5, 0, v51
	v_not_b32_e32 v50, v51
	v_not_b32_e32 v51, v52
	v_dual_ashrrev_i32 v48, 31, v48 :: v_dual_ashrrev_i32 v49, 31, v49
	v_xor_b32_e32 v6, s1, v6
	v_xor_b32_e32 v7, s2, v7
	v_bitop3_b32 v4, v4, v5, exec_lo bitop3:0x80
	v_cmp_gt_i32_e64 s6, 0, v52
	v_dual_ashrrev_i32 v5, 31, v50 :: v_dual_ashrrev_i32 v50, 31, v51
	v_xor_b32_e32 v48, s3, v48
	v_xor_b32_e32 v49, s4, v49
	v_bitop3_b32 v4, v4, v7, v6 bitop3:0x80
	v_mad_u32_u24 v52, 0x44, v3, v0
	v_xor_b32_e32 v3, s5, v5
	v_xor_b32_e32 v5, s6, v50
	s_delay_alu instid0(VALU_DEP_4) | instskip(SKIP_2) | instid1(VALU_DEP_1)
	v_bitop3_b32 v4, v4, v49, v48 bitop3:0x80
	ds_load_b32 v48, v52 offset:64
	; wave barrier
	v_bitop3_b32 v3, v4, v5, v3 bitop3:0x80
	v_mbcnt_lo_u32_b32 v50, v3, 0
	v_cmp_ne_u32_e64 s0, 0, v3
	s_delay_alu instid0(VALU_DEP_2) | instskip(SKIP_1) | instid1(SALU_CYCLE_1)
	v_cmp_eq_u32_e32 vcc_lo, 0, v50
	s_and_b32 s1, s0, vcc_lo
	s_and_saveexec_b32 s0, s1
	s_cbranch_execz .LBB740_117
; %bb.116:
	s_wait_dscnt 0x0
	v_bcnt_u32_b32 v3, v3, v48
	ds_store_b32 v52, v3 offset:64
.LBB740_117:
	s_or_b32 exec_lo, exec_lo, s0
	v_xor_b32_e32 v49, 0xffff8000, v2
	; wave barrier
	s_delay_alu instid0(VALU_DEP_1) | instskip(NEXT) | instid1(VALU_DEP_1)
	v_and_b32_e32 v2, 0xffff, v49
	v_lshrrev_b32_e32 v2, s20, v2
	s_delay_alu instid0(VALU_DEP_1) | instskip(SKIP_1) | instid1(VALU_DEP_2)
	v_bitop3_b32 v3, v2, 1, s8 bitop3:0x80
	v_and_b32_e32 v2, s8, v2
	v_add_co_u32 v3, s0, v3, -1
	s_delay_alu instid0(VALU_DEP_1) | instskip(NEXT) | instid1(VALU_DEP_3)
	v_cndmask_b32_e64 v4, 0, 1, s0
	v_dual_lshlrev_b32 v5, 30, v2 :: v_dual_lshlrev_b32 v6, 29, v2
	s_delay_alu instid0(VALU_DEP_2) | instskip(NEXT) | instid1(VALU_DEP_2)
	v_cmp_ne_u32_e32 vcc_lo, 0, v4
	v_cmp_gt_i32_e64 s0, 0, v5
	v_not_b32_e32 v4, v5
	s_delay_alu instid0(VALU_DEP_4) | instskip(SKIP_1) | instid1(VALU_DEP_3)
	v_not_b32_e32 v5, v6
	v_cmp_gt_i32_e64 s1, 0, v6
	v_dual_ashrrev_i32 v4, 31, v4 :: v_dual_bitop2_b32 v3, vcc_lo, v3 bitop3:0x14
	s_delay_alu instid0(VALU_DEP_3) | instskip(SKIP_2) | instid1(VALU_DEP_3)
	v_dual_ashrrev_i32 v5, 31, v5 :: v_dual_lshlrev_b32 v7, 28, v2
	v_dual_lshlrev_b32 v51, 27, v2 :: v_dual_lshlrev_b32 v53, 26, v2
	v_dual_lshlrev_b32 v54, 25, v2 :: v_dual_lshlrev_b32 v55, 24, v2
	v_not_b32_e32 v6, v7
	v_cmp_gt_i32_e64 s2, 0, v7
	s_delay_alu instid0(VALU_DEP_4)
	v_cmp_gt_i32_e64 s3, 0, v51
	v_not_b32_e32 v7, v51
	v_not_b32_e32 v51, v53
	v_dual_ashrrev_i32 v6, 31, v6 :: v_dual_bitop2_b32 v4, s0, v4 bitop3:0x14
	v_cmp_gt_i32_e64 s4, 0, v53
	v_cmp_gt_i32_e64 s5, 0, v54
	v_not_b32_e32 v53, v54
	v_not_b32_e32 v54, v55
	v_dual_ashrrev_i32 v7, 31, v7 :: v_dual_bitop2_b32 v5, s1, v5 bitop3:0x14
	v_dual_ashrrev_i32 v51, 31, v51 :: v_dual_bitop2_b32 v6, s2, v6 bitop3:0x14
	v_bitop3_b32 v3, v3, v4, exec_lo bitop3:0x80
	v_cmp_gt_i32_e64 s6, 0, v55
	v_dual_ashrrev_i32 v4, 31, v53 :: v_dual_ashrrev_i32 v53, 31, v54
	v_xor_b32_e32 v7, s3, v7
	v_xor_b32_e32 v51, s4, v51
	v_bitop3_b32 v3, v3, v6, v5 bitop3:0x80
	v_mad_u32_u24 v57, 0x44, v2, v0
	v_xor_b32_e32 v2, s5, v4
	v_xor_b32_e32 v4, s6, v53
	s_delay_alu instid0(VALU_DEP_4) | instskip(SKIP_2) | instid1(VALU_DEP_1)
	v_bitop3_b32 v3, v3, v51, v7 bitop3:0x80
	ds_load_b32 v51, v57 offset:64
	; wave barrier
	v_bitop3_b32 v2, v3, v4, v2 bitop3:0x80
	v_mbcnt_lo_u32_b32 v54, v2, 0
	v_cmp_ne_u32_e64 s0, 0, v2
	s_delay_alu instid0(VALU_DEP_2) | instskip(SKIP_1) | instid1(SALU_CYCLE_1)
	v_cmp_eq_u32_e32 vcc_lo, 0, v54
	s_and_b32 s1, s0, vcc_lo
	s_and_saveexec_b32 s0, s1
	s_cbranch_execz .LBB740_119
; %bb.118:
	s_wait_dscnt 0x0
	v_bcnt_u32_b32 v2, v2, v51
	ds_store_b32 v57, v2 offset:64
.LBB740_119:
	s_or_b32 exec_lo, exec_lo, s0
	v_xor_b32_e32 v53, 0xffff8000, v1
	; wave barrier
	s_delay_alu instid0(VALU_DEP_1) | instskip(NEXT) | instid1(VALU_DEP_1)
	v_and_b32_e32 v1, 0xffff, v53
	v_lshrrev_b32_e32 v1, s20, v1
	s_delay_alu instid0(VALU_DEP_1) | instskip(SKIP_1) | instid1(VALU_DEP_2)
	v_bitop3_b32 v2, v1, 1, s8 bitop3:0x80
	v_and_b32_e32 v1, s8, v1
	v_add_co_u32 v2, s0, v2, -1
	s_delay_alu instid0(VALU_DEP_1) | instskip(NEXT) | instid1(VALU_DEP_3)
	v_cndmask_b32_e64 v3, 0, 1, s0
	v_dual_lshlrev_b32 v4, 30, v1 :: v_dual_lshlrev_b32 v5, 29, v1
	s_delay_alu instid0(VALU_DEP_2) | instskip(NEXT) | instid1(VALU_DEP_2)
	v_cmp_ne_u32_e32 vcc_lo, 0, v3
	v_cmp_gt_i32_e64 s0, 0, v4
	v_not_b32_e32 v3, v4
	s_delay_alu instid0(VALU_DEP_4) | instskip(SKIP_1) | instid1(VALU_DEP_3)
	v_not_b32_e32 v4, v5
	v_cmp_gt_i32_e64 s1, 0, v5
	v_dual_ashrrev_i32 v3, 31, v3 :: v_dual_bitop2_b32 v2, vcc_lo, v2 bitop3:0x14
	s_delay_alu instid0(VALU_DEP_3) | instskip(SKIP_2) | instid1(VALU_DEP_3)
	v_dual_ashrrev_i32 v4, 31, v4 :: v_dual_lshlrev_b32 v6, 28, v1
	v_dual_lshlrev_b32 v7, 27, v1 :: v_dual_lshlrev_b32 v55, 26, v1
	v_dual_lshlrev_b32 v56, 25, v1 :: v_dual_lshlrev_b32 v58, 24, v1
	v_not_b32_e32 v5, v6
	v_cmp_gt_i32_e64 s2, 0, v6
	s_delay_alu instid0(VALU_DEP_4)
	v_cmp_gt_i32_e64 s3, 0, v7
	v_not_b32_e32 v6, v7
	v_not_b32_e32 v7, v55
	v_dual_ashrrev_i32 v5, 31, v5 :: v_dual_bitop2_b32 v3, s0, v3 bitop3:0x14
	v_cmp_gt_i32_e64 s4, 0, v55
	v_cmp_gt_i32_e64 s5, 0, v56
	v_not_b32_e32 v55, v56
	v_not_b32_e32 v56, v58
	v_dual_ashrrev_i32 v6, 31, v6 :: v_dual_ashrrev_i32 v7, 31, v7
	v_xor_b32_e32 v4, s1, v4
	v_xor_b32_e32 v5, s2, v5
	v_bitop3_b32 v2, v2, v3, exec_lo bitop3:0x80
	v_cmp_gt_i32_e64 s6, 0, v58
	v_dual_ashrrev_i32 v3, 31, v55 :: v_dual_ashrrev_i32 v55, 31, v56
	v_xor_b32_e32 v6, s3, v6
	v_xor_b32_e32 v7, s4, v7
	v_bitop3_b32 v2, v2, v5, v4 bitop3:0x80
	v_mad_u32_u24 v58, 0x44, v1, v0
	v_xor_b32_e32 v0, s5, v3
	v_xor_b32_e32 v1, s6, v55
	s_delay_alu instid0(VALU_DEP_4) | instskip(SKIP_2) | instid1(VALU_DEP_1)
	v_bitop3_b32 v2, v2, v7, v6 bitop3:0x80
	ds_load_b32 v55, v58 offset:64
	; wave barrier
	v_bitop3_b32 v0, v2, v1, v0 bitop3:0x80
	v_mbcnt_lo_u32_b32 v56, v0, 0
	v_cmp_ne_u32_e64 s0, 0, v0
	s_delay_alu instid0(VALU_DEP_2) | instskip(SKIP_1) | instid1(SALU_CYCLE_1)
	v_cmp_eq_u32_e32 vcc_lo, 0, v56
	s_and_b32 s1, s0, vcc_lo
	s_and_saveexec_b32 s0, s1
	s_cbranch_execz .LBB740_121
; %bb.120:
	s_wait_dscnt 0x0
	v_bcnt_u32_b32 v0, v0, v55
	ds_store_b32 v58, v0 offset:64
.LBB740_121:
	s_or_b32 exec_lo, exec_lo, s0
	; wave barrier
	s_wait_dscnt 0x0
	s_barrier_signal -1
	s_barrier_wait -1
	ds_load_2addr_b32 v[6:7], v11 offset0:16 offset1:17
	ds_load_2addr_b32 v[4:5], v11 offset0:18 offset1:19
	;; [unrolled: 1-line block ×4, first 2 shown]
	ds_load_b32 v59, v11 offset:96
	v_min_u32_e32 v15, 0x1e0, v15
	s_mov_b32 s4, exec_lo
	s_wait_dscnt 0x3
	v_add3_u32 v60, v7, v6, v4
	s_wait_dscnt 0x2
	s_delay_alu instid0(VALU_DEP_1) | instskip(SKIP_1) | instid1(VALU_DEP_1)
	v_add3_u32 v60, v60, v5, v2
	s_wait_dscnt 0x1
	v_add3_u32 v60, v60, v3, v0
	s_wait_dscnt 0x0
	s_delay_alu instid0(VALU_DEP_1) | instskip(SKIP_1) | instid1(VALU_DEP_2)
	v_add3_u32 v59, v60, v1, v59
	v_and_b32_e32 v60, 15, v14
	v_mov_b32_dpp v61, v59 row_shr:1 row_mask:0xf bank_mask:0xf
	s_delay_alu instid0(VALU_DEP_2) | instskip(NEXT) | instid1(VALU_DEP_2)
	v_cmp_eq_u32_e32 vcc_lo, 0, v60
	v_cndmask_b32_e64 v61, v61, 0, vcc_lo
	s_delay_alu instid0(VALU_DEP_1) | instskip(SKIP_3) | instid1(VALU_DEP_4)
	v_add_nc_u32_e32 v59, v61, v59
	v_cmp_lt_u32_e64 s0, 1, v60
	v_cmp_lt_u32_e64 s1, 3, v60
	;; [unrolled: 1-line block ×3, first 2 shown]
	v_mov_b32_dpp v61, v59 row_shr:2 row_mask:0xf bank_mask:0xf
	s_delay_alu instid0(VALU_DEP_1) | instskip(NEXT) | instid1(VALU_DEP_1)
	v_cndmask_b32_e64 v61, 0, v61, s0
	v_add_nc_u32_e32 v59, v59, v61
	s_delay_alu instid0(VALU_DEP_1) | instskip(NEXT) | instid1(VALU_DEP_1)
	v_mov_b32_dpp v61, v59 row_shr:4 row_mask:0xf bank_mask:0xf
	v_cndmask_b32_e64 v61, 0, v61, s1
	s_delay_alu instid0(VALU_DEP_1) | instskip(NEXT) | instid1(VALU_DEP_1)
	v_add_nc_u32_e32 v59, v59, v61
	v_mov_b32_dpp v61, v59 row_shr:8 row_mask:0xf bank_mask:0xf
	s_delay_alu instid0(VALU_DEP_1) | instskip(SKIP_1) | instid1(VALU_DEP_2)
	v_cndmask_b32_e64 v60, 0, v61, s2
	v_bfe_i32 v61, v14, 4, 1
	v_add_nc_u32_e32 v60, v59, v60
	ds_swizzle_b32 v59, v60 offset:swizzle(BROADCAST,32,15)
	s_wait_dscnt 0x0
	v_dual_lshrrev_b32 v59, 5, v12 :: v_dual_bitop2_b32 v61, v61, v59 bitop3:0x40
	s_delay_alu instid0(VALU_DEP_1) | instskip(NEXT) | instid1(VALU_DEP_1)
	v_dual_add_nc_u32 v15, v60, v61 :: v_dual_bitop2_b32 v62, 31, v15 bitop3:0x54
	v_cmpx_eq_u32_e64 v12, v62
; %bb.122:
	s_delay_alu instid0(VALU_DEP_3)
	v_lshlrev_b32_e32 v60, 2, v59
	ds_store_b32 v60, v15
; %bb.123:
	s_or_b32 exec_lo, exec_lo, s4
	s_delay_alu instid0(SALU_CYCLE_1)
	s_mov_b32 s4, exec_lo
	s_wait_dscnt 0x0
	s_barrier_signal -1
	s_barrier_wait -1
	v_cmpx_gt_u32_e32 16, v12
	s_cbranch_execz .LBB740_125
; %bb.124:
	v_lshlrev_b32_e32 v60, 2, v12
	ds_load_b32 v61, v60
	s_wait_dscnt 0x0
	v_mov_b32_dpp v62, v61 row_shr:1 row_mask:0xf bank_mask:0xf
	s_delay_alu instid0(VALU_DEP_1) | instskip(NEXT) | instid1(VALU_DEP_1)
	v_cndmask_b32_e64 v62, v62, 0, vcc_lo
	v_add_nc_u32_e32 v61, v62, v61
	s_delay_alu instid0(VALU_DEP_1) | instskip(NEXT) | instid1(VALU_DEP_1)
	v_mov_b32_dpp v62, v61 row_shr:2 row_mask:0xf bank_mask:0xf
	v_cndmask_b32_e64 v62, 0, v62, s0
	s_delay_alu instid0(VALU_DEP_1) | instskip(NEXT) | instid1(VALU_DEP_1)
	v_add_nc_u32_e32 v61, v61, v62
	v_mov_b32_dpp v62, v61 row_shr:4 row_mask:0xf bank_mask:0xf
	s_delay_alu instid0(VALU_DEP_1) | instskip(NEXT) | instid1(VALU_DEP_1)
	v_cndmask_b32_e64 v62, 0, v62, s1
	v_add_nc_u32_e32 v61, v61, v62
	s_delay_alu instid0(VALU_DEP_1) | instskip(NEXT) | instid1(VALU_DEP_1)
	v_mov_b32_dpp v62, v61 row_shr:8 row_mask:0xf bank_mask:0xf
	v_cndmask_b32_e64 v62, 0, v62, s2
	s_delay_alu instid0(VALU_DEP_1)
	v_add_nc_u32_e32 v61, v61, v62
	ds_store_b32 v60, v61
.LBB740_125:
	s_or_b32 exec_lo, exec_lo, s4
	v_mov_b32_e32 v60, 0
	s_mov_b32 s0, exec_lo
	s_wait_dscnt 0x0
	s_barrier_signal -1
	s_barrier_wait -1
	v_cmpx_lt_u32_e32 31, v12
; %bb.126:
	v_lshl_add_u32 v59, v59, 2, -4
	ds_load_b32 v60, v59
; %bb.127:
	s_or_b32 exec_lo, exec_lo, s0
	v_sub_co_u32 v59, vcc_lo, v14, 1
	s_wait_dscnt 0x0
	v_add_nc_u32_e32 v15, v60, v15
	s_delay_alu instid0(VALU_DEP_2) | instskip(NEXT) | instid1(VALU_DEP_1)
	v_cmp_gt_i32_e64 s0, 0, v59
	v_cndmask_b32_e64 v14, v59, v14, s0
	v_cmp_gt_u32_e64 s0, 0x100, v12
	s_delay_alu instid0(VALU_DEP_2) | instskip(SKIP_4) | instid1(VALU_DEP_2)
	v_lshlrev_b32_e32 v14, 2, v14
	ds_bpermute_b32 v14, v14, v15
	s_wait_dscnt 0x0
	v_cndmask_b32_e32 v14, v14, v60, vcc_lo
	v_cmp_ne_u32_e32 vcc_lo, 0, v12
	v_cndmask_b32_e32 v14, 0, v14, vcc_lo
	v_cmp_lt_u32_e32 vcc_lo, 0xff, v12
	s_delay_alu instid0(VALU_DEP_2) | instskip(NEXT) | instid1(VALU_DEP_1)
	v_add_nc_u32_e32 v6, v14, v6
	v_add_nc_u32_e32 v7, v6, v7
	s_delay_alu instid0(VALU_DEP_1) | instskip(NEXT) | instid1(VALU_DEP_1)
	v_add_nc_u32_e32 v4, v7, v4
	v_add_nc_u32_e32 v5, v4, v5
	s_delay_alu instid0(VALU_DEP_1) | instskip(NEXT) | instid1(VALU_DEP_1)
	;; [unrolled: 3-line block ×3, first 2 shown]
	v_add_nc_u32_e32 v0, v3, v0
	v_add_nc_u32_e32 v1, v0, v1
	ds_store_2addr_b32 v11, v14, v6 offset0:16 offset1:17
	ds_store_2addr_b32 v11, v7, v4 offset0:18 offset1:19
	;; [unrolled: 1-line block ×4, first 2 shown]
	ds_store_b32 v11, v1 offset:96
	s_wait_dscnt 0x0
	s_barrier_signal -1
	s_barrier_wait -1
	ds_load_b32 v59, v13 offset:64
	ds_load_b32 v60, v19 offset:64
	;; [unrolled: 1-line block ×12, first 2 shown]
	v_mov_b64_e32 v[0:1], 0
                                        ; implicit-def: $vgpr2
	s_and_saveexec_b32 s2, s0
	s_cbranch_execz .LBB740_131
; %bb.128:
	v_mul_u32_u24_e32 v0, 0x44, v12
	v_dual_mov_b32 v1, 0x1800 :: v_dual_add_nc_u32 v2, 1, v12
	s_mov_b32 s3, exec_lo
	ds_load_b32 v0, v0 offset:64
	v_cmpx_ne_u32_e32 0x100, v2
; %bb.129:
	v_mul_u32_u24_e32 v1, 0x44, v2
	ds_load_b32 v1, v1 offset:64
; %bb.130:
	s_or_b32 exec_lo, exec_lo, s3
	s_wait_dscnt 0x0
	v_dual_mov_b32 v1, 0 :: v_dual_sub_nc_u32 v2, v1, v0
.LBB740_131:
	s_or_b32 exec_lo, exec_lo, s2
	s_wait_dscnt 0xa
	v_dual_lshlrev_b32 v9, 1, v9 :: v_dual_lshlrev_b32 v23, 1, v60
	v_dual_lshlrev_b32 v18, 1, v18 :: v_dual_lshlrev_b32 v17, 1, v17
	v_lshlrev_b32_e32 v21, 1, v21
	s_delay_alu instid0(VALU_DEP_3)
	v_lshl_add_u32 v9, v59, 1, v9
	s_wait_dscnt 0x0
	s_barrier_signal -1
	v_add3_u32 v17, v23, v18, v17
	v_dual_lshlrev_b32 v18, 1, v19 :: v_dual_lshlrev_b32 v19, 1, v22
	s_barrier_wait -1
	ds_store_b16 v9, v8 offset:2048
	ds_store_b16 v17, v10 offset:2048
	v_lshlrev_b32_e32 v9, 1, v15
	v_add3_u32 v8, v18, v19, v21
	v_dual_lshlrev_b32 v10, 1, v26 :: v_dual_lshlrev_b32 v15, 1, v25
	v_dual_lshlrev_b32 v14, 1, v14 :: v_dual_lshlrev_b32 v18, 1, v28
	;; [unrolled: 1-line block ×6, first 2 shown]
	ds_store_b16 v8, v16 offset:2048
	v_add3_u32 v8, v9, v10, v15
	v_add3_u32 v9, v14, v17, v18
	;; [unrolled: 1-line block ×3, first 2 shown]
	v_dual_lshlrev_b32 v13, 1, v42 :: v_dual_lshlrev_b32 v14, 1, v41
	v_add3_u32 v11, v11, v22, v23
	ds_store_b16 v8, v20 offset:2048
	ds_store_b16 v9, v24 offset:2048
	ds_store_b16 v10, v29 offset:2048
	ds_store_b16 v11, v33 offset:2048
	v_dual_lshlrev_b32 v6, 1, v6 :: v_dual_lshlrev_b32 v9, 1, v45
	v_add3_u32 v7, v7, v13, v14
	v_dual_lshlrev_b32 v8, 1, v46 :: v_dual_lshlrev_b32 v5, 1, v5
	v_dual_lshlrev_b32 v10, 1, v50 :: v_dual_lshlrev_b32 v11, 1, v48
	;; [unrolled: 1-line block ×3, first 2 shown]
	v_lshlrev_b32_e32 v3, 1, v3
	v_dual_lshlrev_b32 v16, 1, v55 :: v_dual_lshlrev_b32 v4, 1, v4
	v_lshlrev_b32_e32 v13, 1, v54
	ds_store_b16 v7, v36 offset:2048
	v_add3_u32 v6, v6, v8, v9
	v_add3_u32 v7, v5, v10, v11
	v_mov_b32_e32 v5, 0
	v_add3_u32 v8, v3, v15, v16
	v_lshlrev_b32_e32 v3, 3, v12
	v_add3_u32 v4, v4, v13, v14
	ds_store_b16 v6, v40 offset:2048
	ds_store_b16 v7, v44 offset:2048
	;; [unrolled: 1-line block ×4, first 2 shown]
	s_and_saveexec_b32 s1, s0
	s_cbranch_execz .LBB740_141
; %bb.132:
	v_lshl_add_u32 v4, s9, 8, v12
	v_dual_mov_b32 v8, 0 :: v_dual_bitop2_b32 v9, 2.0, v2 bitop3:0x54
	s_mov_b32 s2, 0
	s_mov_b32 s3, s9
	s_delay_alu instid0(VALU_DEP_2)
	v_lshl_add_u64 v[6:7], v[4:5], 2, s[10:11]
	global_store_b32 v4, v9, s[10:11] scale_offset scope:SCOPE_DEV
                                        ; implicit-def: $sgpr0
	s_branch .LBB740_135
.LBB740_133:                            ;   in Loop: Header=BB740_135 Depth=1
	s_or_b32 exec_lo, exec_lo, s5
.LBB740_134:                            ;   in Loop: Header=BB740_135 Depth=1
	s_delay_alu instid0(SALU_CYCLE_1) | instskip(SKIP_2) | instid1(VALU_DEP_2)
	s_or_b32 exec_lo, exec_lo, s4
	v_and_b32_e32 v4, 0x3fffffff, v9
	v_cmp_gt_i32_e64 s0, -2.0, v9
	v_add_nc_u32_e32 v8, v4, v8
	s_and_b32 s4, exec_lo, s0
	s_delay_alu instid0(SALU_CYCLE_1) | instskip(NEXT) | instid1(SALU_CYCLE_1)
	s_or_b32 s2, s4, s2
	s_and_not1_b32 exec_lo, exec_lo, s2
	s_cbranch_execz .LBB740_140
.LBB740_135:                            ; =>This Loop Header: Depth=1
                                        ;     Child Loop BB740_138 Depth 2
	s_or_b32 s0, s0, exec_lo
	s_cmp_eq_u32 s3, 0
	s_cbranch_scc1 .LBB740_139
; %bb.136:                              ;   in Loop: Header=BB740_135 Depth=1
	s_add_co_i32 s3, s3, -1
	s_mov_b32 s4, exec_lo
	s_wait_xcnt 0x0
	v_lshl_or_b32 v4, s3, 8, v12
	global_load_b32 v9, v4, s[10:11] scale_offset scope:SCOPE_DEV
	s_wait_loadcnt 0x0
	v_cmpx_gt_u32_e32 2.0, v9
	s_cbranch_execz .LBB740_134
; %bb.137:                              ;   in Loop: Header=BB740_135 Depth=1
	v_lshl_add_u64 v[10:11], v[4:5], 2, s[10:11]
	s_mov_b32 s5, 0
.LBB740_138:                            ;   Parent Loop BB740_135 Depth=1
                                        ; =>  This Inner Loop Header: Depth=2
	global_load_b32 v9, v[10:11], off scope:SCOPE_DEV
	s_wait_loadcnt 0x0
	v_cmp_lt_u32_e64 s0, 0x3fffffff, v9
	s_or_b32 s5, s0, s5
	s_wait_xcnt 0x0
	s_and_not1_b32 exec_lo, exec_lo, s5
	s_cbranch_execnz .LBB740_138
	s_branch .LBB740_133
.LBB740_139:                            ;   in Loop: Header=BB740_135 Depth=1
                                        ; implicit-def: $sgpr3
	s_and_b32 s4, exec_lo, s0
	s_delay_alu instid0(SALU_CYCLE_1)
	s_or_b32 s2, s4, s2
	s_wait_xcnt 0x0
	s_and_not1_b32 exec_lo, exec_lo, s2
	s_cbranch_execnz .LBB740_135
.LBB740_140:
	s_or_b32 exec_lo, exec_lo, s2
	v_dual_mov_b32 v9, 0 :: v_dual_add_nc_u32 v4, v8, v2
	s_delay_alu instid0(VALU_DEP_1) | instskip(SKIP_4) | instid1(VALU_DEP_1)
	v_or_b32_e32 v4, 0x80000000, v4
	global_store_b32 v[6:7], v4, off scope:SCOPE_DEV
	global_load_b64 v[4:5], v12, s[12:13] scale_offset
	v_sub_nc_u64_e32 v[6:7], v[8:9], v[0:1]
	s_wait_loadcnt 0x0
	v_add_nc_u64_e32 v[4:5], v[6:7], v[4:5]
	ds_store_b64 v3, v[4:5]
.LBB740_141:
	s_wait_xcnt 0x0
	s_or_b32 exec_lo, exec_lo, s1
	v_mad_i32_i24 v13, v12, -6, v3
	s_wait_storecnt_dscnt 0x0
	s_barrier_signal -1
	s_barrier_wait -1
	ds_load_u16 v6, v13 offset:2048
	ds_load_u16 v7, v13 offset:3072
	;; [unrolled: 1-line block ×8, first 2 shown]
	v_dual_mov_b32 v5, 0 :: v_dual_lshlrev_b32 v4, 1, v12
	s_add_co_i32 s7, s7, -1
	s_delay_alu instid0(SALU_CYCLE_1) | instskip(SKIP_2) | instid1(SALU_CYCLE_1)
	s_cmp_eq_u32 s9, s7
	s_cselect_b32 s0, -1, 0
	s_xor_b32 s1, vcc_lo, -1
	s_and_b32 s0, s1, s0
	s_wait_dscnt 0x7
	v_and_b32_e32 v10, 0xffff, v6
	v_xor_b32_e32 v20, 0xffff8000, v6
	s_wait_dscnt 0x6
	v_and_b32_e32 v6, 0xffff, v7
	v_xor_b32_e32 v21, 0xffff8000, v7
	;; [unrolled: 3-line block ×4, first 2 shown]
	s_wait_dscnt 0x3
	v_and_b32_e32 v9, 0xffff, v22
	v_dual_lshrrev_b32 v10, s20, v10 :: v_dual_lshrrev_b32 v7, s20, v7
	v_dual_lshrrev_b32 v6, s20, v6 :: v_dual_lshrrev_b32 v8, s20, v8
	s_wait_dscnt 0x2
	v_and_b32_e32 v11, 0xffff, v24
	s_delay_alu instid0(VALU_DEP_3) | instskip(NEXT) | instid1(VALU_DEP_3)
	v_dual_lshrrev_b32 v16, s20, v9 :: v_dual_bitop2_b32 v9, s8, v10 bitop3:0x40
	v_and_b32_e32 v6, s8, v6
	v_and_b32_e32 v7, s8, v7
	s_wait_dscnt 0x1
	v_and_b32_e32 v14, 0xffff, v26
	s_wait_dscnt 0x0
	v_and_b32_e32 v15, 0xffff, v27
	v_dual_lshrrev_b32 v17, s20, v11 :: v_dual_bitop2_b32 v18, s8, v8 bitop3:0x40
	v_dual_lshlrev_b32 v8, 3, v9 :: v_dual_lshlrev_b32 v9, 3, v6
	v_dual_lshlrev_b32 v10, 3, v7 :: v_dual_lshrrev_b32 v14, s20, v14
	ds_load_u16 v29, v13 offset:10240
	ds_load_u16 v30, v13 offset:11264
	;; [unrolled: 1-line block ×3, first 2 shown]
	ds_load_b64 v[6:7], v8
	ds_load_b64 v[8:9], v9
	;; [unrolled: 1-line block ×3, first 2 shown]
	v_dual_lshrrev_b32 v15, s20, v15 :: v_dual_bitop2_b32 v16, s8, v16 bitop3:0x40
	v_dual_lshlrev_b32 v18, 3, v18 :: v_dual_bitop2_b32 v17, s8, v17 bitop3:0x40
	v_and_b32_e32 v19, s8, v14
	s_delay_alu instid0(VALU_DEP_3)
	v_dual_lshlrev_b32 v16, 3, v16 :: v_dual_bitop2_b32 v25, s8, v15 bitop3:0x40
	ds_load_b64 v[14:15], v18
	v_dual_lshlrev_b32 v18, 3, v17 :: v_dual_lshlrev_b32 v32, 3, v19
	v_lshlrev_b32_e32 v25, 3, v25
	ds_load_u16 v13, v13 offset:13312
	ds_load_b64 v[16:17], v16
	ds_load_b64 v[18:19], v18
	s_wait_dscnt 0x9
	v_and_b32_e32 v33, 0xffff, v29
	s_wait_dscnt 0x8
	v_and_b32_e32 v34, 0xffff, v30
	;; [unrolled: 2-line block ×3, first 2 shown]
	s_wait_dscnt 0x6
	v_lshl_add_u64 v[6:7], v[6:7], 1, s[18:19]
	s_wait_dscnt 0x5
	v_lshl_add_u64 v[8:9], v[8:9], 1, s[18:19]
	s_wait_dscnt 0x4
	v_lshl_add_u64 v[10:11], v[10:11], 1, s[18:19]
	v_dual_lshrrev_b32 v33, s20, v33 :: v_dual_lshrrev_b32 v34, s20, v34
	v_add_nc_u64_e32 v[6:7], v[6:7], v[4:5]
	v_add_nc_u64_e32 v[8:9], v[8:9], v[4:5]
	s_delay_alu instid0(VALU_DEP_4) | instskip(NEXT) | instid1(VALU_DEP_4)
	v_add_nc_u64_e32 v[10:11], v[10:11], v[4:5]
	v_and_b32_e32 v33, s8, v33
	s_clause 0x2
	global_store_b16 v[6:7], v20, off
	global_store_b16 v[8:9], v21, off offset:1024
	global_store_b16 v[10:11], v23, off offset:2048
	s_wait_dscnt 0x2
	s_wait_xcnt 0x0
	v_and_b32_e32 v10, 0xffff, v13
	v_dual_lshrrev_b32 v21, s20, v35 :: v_dual_bitop2_b32 v34, s8, v34 bitop3:0x40
	v_lshlrev_b32_e32 v20, 3, v33
	ds_load_b64 v[6:7], v32
	ds_load_b64 v[8:9], v25
	v_lshrrev_b32_e32 v25, s20, v10
	s_wait_dscnt 0x3
	v_lshl_add_u64 v[10:11], v[16:17], 1, s[18:19]
	v_dual_lshlrev_b32 v23, 3, v34 :: v_dual_bitop2_b32 v32, s8, v21 bitop3:0x40
	ds_load_b64 v[16:17], v20
	v_xor_b32_e32 v33, 0xffff8000, v22
	v_xor_b32_e32 v34, 0xffff8000, v24
	ds_load_b64 v[20:21], v23
	v_dual_lshlrev_b32 v25, 3, v32 :: v_dual_bitop2_b32 v23, s8, v25 bitop3:0x40
	v_lshl_add_u64 v[14:15], v[14:15], 1, s[18:19]
	s_wait_dscnt 0x4
	v_lshl_add_u64 v[18:19], v[18:19], 1, s[18:19]
	v_add_nc_u64_e32 v[10:11], v[10:11], v[4:5]
	v_lshlrev_b32_e32 v32, 3, v23
	ds_load_b64 v[22:23], v25
	v_add_nc_u64_e32 v[14:15], v[14:15], v[4:5]
	v_add_nc_u64_e32 v[18:19], v[18:19], v[4:5]
	ds_load_b64 v[24:25], v32
	s_wait_dscnt 0x5
	v_lshl_add_u64 v[6:7], v[6:7], 1, s[18:19]
	s_wait_dscnt 0x4
	v_lshl_add_u64 v[8:9], v[8:9], 1, s[18:19]
	s_clause 0x2
	global_store_b16 v[14:15], v28, off offset:3072
	global_store_b16 v[10:11], v33, off offset:4096
	;; [unrolled: 1-line block ×3, first 2 shown]
	v_add_nc_u64_e32 v[6:7], v[6:7], v[4:5]
	v_add_nc_u64_e32 v[8:9], v[8:9], v[4:5]
	s_wait_xcnt 0x0
	v_xor_b32_e32 v18, 0xffff8000, v26
	s_wait_dscnt 0x3
	v_lshl_add_u64 v[10:11], v[16:17], 1, s[18:19]
	v_xor_b32_e32 v16, 0xffff8000, v27
	s_wait_dscnt 0x2
	v_lshl_add_u64 v[14:15], v[20:21], 1, s[18:19]
	v_xor_b32_e32 v17, 0xffff8000, v29
	global_store_b16 v[6:7], v18, off offset:6144
	v_add_nc_u64_e32 v[10:11], v[10:11], v[4:5]
	global_store_b16 v[8:9], v16, off offset:7168
	s_wait_dscnt 0x1
	s_wait_xcnt 0x1
	v_lshl_add_u64 v[6:7], v[22:23], 1, s[18:19]
	v_add_nc_u64_e32 v[14:15], v[14:15], v[4:5]
	v_xor_b32_e32 v18, 0xffff8000, v30
	s_wait_dscnt 0x0
	s_wait_xcnt 0x0
	v_lshl_add_u64 v[8:9], v[24:25], 1, s[18:19]
	v_add_nc_u64_e32 v[6:7], v[6:7], v[4:5]
	global_store_b16 v[10:11], v17, off offset:8192
	s_wait_xcnt 0x0
	v_xor_b32_e32 v10, 0xffff8000, v31
	global_store_b16 v[14:15], v18, off offset:9216
	v_add_nc_u64_e32 v[8:9], v[8:9], v[4:5]
	v_xor_b32_e32 v4, 0xffff8000, v13
	s_clause 0x1
	global_store_b16 v[6:7], v10, off offset:10240
	global_store_b16 v[8:9], v4, off offset:11264
	s_wait_xcnt 0x0
	s_and_saveexec_b32 s1, s0
	s_cbranch_execz .LBB740_143
; %bb.142:
	ds_load_b64 v[6:7], v3
	v_mov_b32_e32 v3, v5
	s_delay_alu instid0(VALU_DEP_1) | instskip(SKIP_1) | instid1(VALU_DEP_1)
	v_add_nc_u64_e32 v[0:1], v[0:1], v[2:3]
	s_wait_dscnt 0x0
	v_add_nc_u64_e32 v[0:1], v[0:1], v[6:7]
	global_store_b64 v12, v[0:1], s[14:15] scale_offset
.LBB740_143:
	s_sendmsg sendmsg(MSG_DEALLOC_VGPRS)
	s_endpgm
	.section	.rodata,"a",@progbits
	.p2align	6, 0x0
	.amdhsa_kernel _ZN7rocprim17ROCPRIM_400000_NS6detail17trampoline_kernelINS0_14default_configENS1_35radix_sort_onesweep_config_selectorIsNS0_10empty_typeEEEZZNS1_29radix_sort_onesweep_iterationIS3_Lb0EPKsPsPS5_SB_mNS0_19identity_decomposerENS1_16block_id_wrapperIjLb0EEEEE10hipError_tT1_PNSt15iterator_traitsISG_E10value_typeET2_T3_PNSH_ISM_E10value_typeET4_T5_PSR_SS_PNS1_23onesweep_lookback_stateEbbT6_jjT7_P12ihipStream_tbENKUlT_T0_SG_SL_E_clISA_SA_SB_SB_EEDaSZ_S10_SG_SL_EUlSZ_E_NS1_11comp_targetILNS1_3genE0ELNS1_11target_archE4294967295ELNS1_3gpuE0ELNS1_3repE0EEENS1_47radix_sort_onesweep_sort_config_static_selectorELNS0_4arch9wavefront6targetE0EEEvSG_
		.amdhsa_group_segment_fixed_size 18504
		.amdhsa_private_segment_fixed_size 0
		.amdhsa_kernarg_size 344
		.amdhsa_user_sgpr_count 2
		.amdhsa_user_sgpr_dispatch_ptr 0
		.amdhsa_user_sgpr_queue_ptr 0
		.amdhsa_user_sgpr_kernarg_segment_ptr 1
		.amdhsa_user_sgpr_dispatch_id 0
		.amdhsa_user_sgpr_kernarg_preload_length 0
		.amdhsa_user_sgpr_kernarg_preload_offset 0
		.amdhsa_user_sgpr_private_segment_size 0
		.amdhsa_wavefront_size32 1
		.amdhsa_uses_dynamic_stack 0
		.amdhsa_enable_private_segment 0
		.amdhsa_system_sgpr_workgroup_id_x 1
		.amdhsa_system_sgpr_workgroup_id_y 0
		.amdhsa_system_sgpr_workgroup_id_z 0
		.amdhsa_system_sgpr_workgroup_info 0
		.amdhsa_system_vgpr_workitem_id 2
		.amdhsa_next_free_vgpr 65
		.amdhsa_next_free_sgpr 29
		.amdhsa_named_barrier_count 0
		.amdhsa_reserve_vcc 1
		.amdhsa_float_round_mode_32 0
		.amdhsa_float_round_mode_16_64 0
		.amdhsa_float_denorm_mode_32 3
		.amdhsa_float_denorm_mode_16_64 3
		.amdhsa_fp16_overflow 0
		.amdhsa_memory_ordered 1
		.amdhsa_forward_progress 1
		.amdhsa_inst_pref_size 135
		.amdhsa_round_robin_scheduling 0
		.amdhsa_exception_fp_ieee_invalid_op 0
		.amdhsa_exception_fp_denorm_src 0
		.amdhsa_exception_fp_ieee_div_zero 0
		.amdhsa_exception_fp_ieee_overflow 0
		.amdhsa_exception_fp_ieee_underflow 0
		.amdhsa_exception_fp_ieee_inexact 0
		.amdhsa_exception_int_div_zero 0
	.end_amdhsa_kernel
	.section	.text._ZN7rocprim17ROCPRIM_400000_NS6detail17trampoline_kernelINS0_14default_configENS1_35radix_sort_onesweep_config_selectorIsNS0_10empty_typeEEEZZNS1_29radix_sort_onesweep_iterationIS3_Lb0EPKsPsPS5_SB_mNS0_19identity_decomposerENS1_16block_id_wrapperIjLb0EEEEE10hipError_tT1_PNSt15iterator_traitsISG_E10value_typeET2_T3_PNSH_ISM_E10value_typeET4_T5_PSR_SS_PNS1_23onesweep_lookback_stateEbbT6_jjT7_P12ihipStream_tbENKUlT_T0_SG_SL_E_clISA_SA_SB_SB_EEDaSZ_S10_SG_SL_EUlSZ_E_NS1_11comp_targetILNS1_3genE0ELNS1_11target_archE4294967295ELNS1_3gpuE0ELNS1_3repE0EEENS1_47radix_sort_onesweep_sort_config_static_selectorELNS0_4arch9wavefront6targetE0EEEvSG_,"axG",@progbits,_ZN7rocprim17ROCPRIM_400000_NS6detail17trampoline_kernelINS0_14default_configENS1_35radix_sort_onesweep_config_selectorIsNS0_10empty_typeEEEZZNS1_29radix_sort_onesweep_iterationIS3_Lb0EPKsPsPS5_SB_mNS0_19identity_decomposerENS1_16block_id_wrapperIjLb0EEEEE10hipError_tT1_PNSt15iterator_traitsISG_E10value_typeET2_T3_PNSH_ISM_E10value_typeET4_T5_PSR_SS_PNS1_23onesweep_lookback_stateEbbT6_jjT7_P12ihipStream_tbENKUlT_T0_SG_SL_E_clISA_SA_SB_SB_EEDaSZ_S10_SG_SL_EUlSZ_E_NS1_11comp_targetILNS1_3genE0ELNS1_11target_archE4294967295ELNS1_3gpuE0ELNS1_3repE0EEENS1_47radix_sort_onesweep_sort_config_static_selectorELNS0_4arch9wavefront6targetE0EEEvSG_,comdat
.Lfunc_end740:
	.size	_ZN7rocprim17ROCPRIM_400000_NS6detail17trampoline_kernelINS0_14default_configENS1_35radix_sort_onesweep_config_selectorIsNS0_10empty_typeEEEZZNS1_29radix_sort_onesweep_iterationIS3_Lb0EPKsPsPS5_SB_mNS0_19identity_decomposerENS1_16block_id_wrapperIjLb0EEEEE10hipError_tT1_PNSt15iterator_traitsISG_E10value_typeET2_T3_PNSH_ISM_E10value_typeET4_T5_PSR_SS_PNS1_23onesweep_lookback_stateEbbT6_jjT7_P12ihipStream_tbENKUlT_T0_SG_SL_E_clISA_SA_SB_SB_EEDaSZ_S10_SG_SL_EUlSZ_E_NS1_11comp_targetILNS1_3genE0ELNS1_11target_archE4294967295ELNS1_3gpuE0ELNS1_3repE0EEENS1_47radix_sort_onesweep_sort_config_static_selectorELNS0_4arch9wavefront6targetE0EEEvSG_, .Lfunc_end740-_ZN7rocprim17ROCPRIM_400000_NS6detail17trampoline_kernelINS0_14default_configENS1_35radix_sort_onesweep_config_selectorIsNS0_10empty_typeEEEZZNS1_29radix_sort_onesweep_iterationIS3_Lb0EPKsPsPS5_SB_mNS0_19identity_decomposerENS1_16block_id_wrapperIjLb0EEEEE10hipError_tT1_PNSt15iterator_traitsISG_E10value_typeET2_T3_PNSH_ISM_E10value_typeET4_T5_PSR_SS_PNS1_23onesweep_lookback_stateEbbT6_jjT7_P12ihipStream_tbENKUlT_T0_SG_SL_E_clISA_SA_SB_SB_EEDaSZ_S10_SG_SL_EUlSZ_E_NS1_11comp_targetILNS1_3genE0ELNS1_11target_archE4294967295ELNS1_3gpuE0ELNS1_3repE0EEENS1_47radix_sort_onesweep_sort_config_static_selectorELNS0_4arch9wavefront6targetE0EEEvSG_
                                        ; -- End function
	.set _ZN7rocprim17ROCPRIM_400000_NS6detail17trampoline_kernelINS0_14default_configENS1_35radix_sort_onesweep_config_selectorIsNS0_10empty_typeEEEZZNS1_29radix_sort_onesweep_iterationIS3_Lb0EPKsPsPS5_SB_mNS0_19identity_decomposerENS1_16block_id_wrapperIjLb0EEEEE10hipError_tT1_PNSt15iterator_traitsISG_E10value_typeET2_T3_PNSH_ISM_E10value_typeET4_T5_PSR_SS_PNS1_23onesweep_lookback_stateEbbT6_jjT7_P12ihipStream_tbENKUlT_T0_SG_SL_E_clISA_SA_SB_SB_EEDaSZ_S10_SG_SL_EUlSZ_E_NS1_11comp_targetILNS1_3genE0ELNS1_11target_archE4294967295ELNS1_3gpuE0ELNS1_3repE0EEENS1_47radix_sort_onesweep_sort_config_static_selectorELNS0_4arch9wavefront6targetE0EEEvSG_.num_vgpr, 65
	.set _ZN7rocprim17ROCPRIM_400000_NS6detail17trampoline_kernelINS0_14default_configENS1_35radix_sort_onesweep_config_selectorIsNS0_10empty_typeEEEZZNS1_29radix_sort_onesweep_iterationIS3_Lb0EPKsPsPS5_SB_mNS0_19identity_decomposerENS1_16block_id_wrapperIjLb0EEEEE10hipError_tT1_PNSt15iterator_traitsISG_E10value_typeET2_T3_PNSH_ISM_E10value_typeET4_T5_PSR_SS_PNS1_23onesweep_lookback_stateEbbT6_jjT7_P12ihipStream_tbENKUlT_T0_SG_SL_E_clISA_SA_SB_SB_EEDaSZ_S10_SG_SL_EUlSZ_E_NS1_11comp_targetILNS1_3genE0ELNS1_11target_archE4294967295ELNS1_3gpuE0ELNS1_3repE0EEENS1_47radix_sort_onesweep_sort_config_static_selectorELNS0_4arch9wavefront6targetE0EEEvSG_.num_agpr, 0
	.set _ZN7rocprim17ROCPRIM_400000_NS6detail17trampoline_kernelINS0_14default_configENS1_35radix_sort_onesweep_config_selectorIsNS0_10empty_typeEEEZZNS1_29radix_sort_onesweep_iterationIS3_Lb0EPKsPsPS5_SB_mNS0_19identity_decomposerENS1_16block_id_wrapperIjLb0EEEEE10hipError_tT1_PNSt15iterator_traitsISG_E10value_typeET2_T3_PNSH_ISM_E10value_typeET4_T5_PSR_SS_PNS1_23onesweep_lookback_stateEbbT6_jjT7_P12ihipStream_tbENKUlT_T0_SG_SL_E_clISA_SA_SB_SB_EEDaSZ_S10_SG_SL_EUlSZ_E_NS1_11comp_targetILNS1_3genE0ELNS1_11target_archE4294967295ELNS1_3gpuE0ELNS1_3repE0EEENS1_47radix_sort_onesweep_sort_config_static_selectorELNS0_4arch9wavefront6targetE0EEEvSG_.numbered_sgpr, 29
	.set _ZN7rocprim17ROCPRIM_400000_NS6detail17trampoline_kernelINS0_14default_configENS1_35radix_sort_onesweep_config_selectorIsNS0_10empty_typeEEEZZNS1_29radix_sort_onesweep_iterationIS3_Lb0EPKsPsPS5_SB_mNS0_19identity_decomposerENS1_16block_id_wrapperIjLb0EEEEE10hipError_tT1_PNSt15iterator_traitsISG_E10value_typeET2_T3_PNSH_ISM_E10value_typeET4_T5_PSR_SS_PNS1_23onesweep_lookback_stateEbbT6_jjT7_P12ihipStream_tbENKUlT_T0_SG_SL_E_clISA_SA_SB_SB_EEDaSZ_S10_SG_SL_EUlSZ_E_NS1_11comp_targetILNS1_3genE0ELNS1_11target_archE4294967295ELNS1_3gpuE0ELNS1_3repE0EEENS1_47radix_sort_onesweep_sort_config_static_selectorELNS0_4arch9wavefront6targetE0EEEvSG_.num_named_barrier, 0
	.set _ZN7rocprim17ROCPRIM_400000_NS6detail17trampoline_kernelINS0_14default_configENS1_35radix_sort_onesweep_config_selectorIsNS0_10empty_typeEEEZZNS1_29radix_sort_onesweep_iterationIS3_Lb0EPKsPsPS5_SB_mNS0_19identity_decomposerENS1_16block_id_wrapperIjLb0EEEEE10hipError_tT1_PNSt15iterator_traitsISG_E10value_typeET2_T3_PNSH_ISM_E10value_typeET4_T5_PSR_SS_PNS1_23onesweep_lookback_stateEbbT6_jjT7_P12ihipStream_tbENKUlT_T0_SG_SL_E_clISA_SA_SB_SB_EEDaSZ_S10_SG_SL_EUlSZ_E_NS1_11comp_targetILNS1_3genE0ELNS1_11target_archE4294967295ELNS1_3gpuE0ELNS1_3repE0EEENS1_47radix_sort_onesweep_sort_config_static_selectorELNS0_4arch9wavefront6targetE0EEEvSG_.private_seg_size, 0
	.set _ZN7rocprim17ROCPRIM_400000_NS6detail17trampoline_kernelINS0_14default_configENS1_35radix_sort_onesweep_config_selectorIsNS0_10empty_typeEEEZZNS1_29radix_sort_onesweep_iterationIS3_Lb0EPKsPsPS5_SB_mNS0_19identity_decomposerENS1_16block_id_wrapperIjLb0EEEEE10hipError_tT1_PNSt15iterator_traitsISG_E10value_typeET2_T3_PNSH_ISM_E10value_typeET4_T5_PSR_SS_PNS1_23onesweep_lookback_stateEbbT6_jjT7_P12ihipStream_tbENKUlT_T0_SG_SL_E_clISA_SA_SB_SB_EEDaSZ_S10_SG_SL_EUlSZ_E_NS1_11comp_targetILNS1_3genE0ELNS1_11target_archE4294967295ELNS1_3gpuE0ELNS1_3repE0EEENS1_47radix_sort_onesweep_sort_config_static_selectorELNS0_4arch9wavefront6targetE0EEEvSG_.uses_vcc, 1
	.set _ZN7rocprim17ROCPRIM_400000_NS6detail17trampoline_kernelINS0_14default_configENS1_35radix_sort_onesweep_config_selectorIsNS0_10empty_typeEEEZZNS1_29radix_sort_onesweep_iterationIS3_Lb0EPKsPsPS5_SB_mNS0_19identity_decomposerENS1_16block_id_wrapperIjLb0EEEEE10hipError_tT1_PNSt15iterator_traitsISG_E10value_typeET2_T3_PNSH_ISM_E10value_typeET4_T5_PSR_SS_PNS1_23onesweep_lookback_stateEbbT6_jjT7_P12ihipStream_tbENKUlT_T0_SG_SL_E_clISA_SA_SB_SB_EEDaSZ_S10_SG_SL_EUlSZ_E_NS1_11comp_targetILNS1_3genE0ELNS1_11target_archE4294967295ELNS1_3gpuE0ELNS1_3repE0EEENS1_47radix_sort_onesweep_sort_config_static_selectorELNS0_4arch9wavefront6targetE0EEEvSG_.uses_flat_scratch, 0
	.set _ZN7rocprim17ROCPRIM_400000_NS6detail17trampoline_kernelINS0_14default_configENS1_35radix_sort_onesweep_config_selectorIsNS0_10empty_typeEEEZZNS1_29radix_sort_onesweep_iterationIS3_Lb0EPKsPsPS5_SB_mNS0_19identity_decomposerENS1_16block_id_wrapperIjLb0EEEEE10hipError_tT1_PNSt15iterator_traitsISG_E10value_typeET2_T3_PNSH_ISM_E10value_typeET4_T5_PSR_SS_PNS1_23onesweep_lookback_stateEbbT6_jjT7_P12ihipStream_tbENKUlT_T0_SG_SL_E_clISA_SA_SB_SB_EEDaSZ_S10_SG_SL_EUlSZ_E_NS1_11comp_targetILNS1_3genE0ELNS1_11target_archE4294967295ELNS1_3gpuE0ELNS1_3repE0EEENS1_47radix_sort_onesweep_sort_config_static_selectorELNS0_4arch9wavefront6targetE0EEEvSG_.has_dyn_sized_stack, 0
	.set _ZN7rocprim17ROCPRIM_400000_NS6detail17trampoline_kernelINS0_14default_configENS1_35radix_sort_onesweep_config_selectorIsNS0_10empty_typeEEEZZNS1_29radix_sort_onesweep_iterationIS3_Lb0EPKsPsPS5_SB_mNS0_19identity_decomposerENS1_16block_id_wrapperIjLb0EEEEE10hipError_tT1_PNSt15iterator_traitsISG_E10value_typeET2_T3_PNSH_ISM_E10value_typeET4_T5_PSR_SS_PNS1_23onesweep_lookback_stateEbbT6_jjT7_P12ihipStream_tbENKUlT_T0_SG_SL_E_clISA_SA_SB_SB_EEDaSZ_S10_SG_SL_EUlSZ_E_NS1_11comp_targetILNS1_3genE0ELNS1_11target_archE4294967295ELNS1_3gpuE0ELNS1_3repE0EEENS1_47radix_sort_onesweep_sort_config_static_selectorELNS0_4arch9wavefront6targetE0EEEvSG_.has_recursion, 0
	.set _ZN7rocprim17ROCPRIM_400000_NS6detail17trampoline_kernelINS0_14default_configENS1_35radix_sort_onesweep_config_selectorIsNS0_10empty_typeEEEZZNS1_29radix_sort_onesweep_iterationIS3_Lb0EPKsPsPS5_SB_mNS0_19identity_decomposerENS1_16block_id_wrapperIjLb0EEEEE10hipError_tT1_PNSt15iterator_traitsISG_E10value_typeET2_T3_PNSH_ISM_E10value_typeET4_T5_PSR_SS_PNS1_23onesweep_lookback_stateEbbT6_jjT7_P12ihipStream_tbENKUlT_T0_SG_SL_E_clISA_SA_SB_SB_EEDaSZ_S10_SG_SL_EUlSZ_E_NS1_11comp_targetILNS1_3genE0ELNS1_11target_archE4294967295ELNS1_3gpuE0ELNS1_3repE0EEENS1_47radix_sort_onesweep_sort_config_static_selectorELNS0_4arch9wavefront6targetE0EEEvSG_.has_indirect_call, 0
	.section	.AMDGPU.csdata,"",@progbits
; Kernel info:
; codeLenInByte = 17208
; TotalNumSgprs: 31
; NumVgprs: 65
; ScratchSize: 0
; MemoryBound: 0
; FloatMode: 240
; IeeeMode: 1
; LDSByteSize: 18504 bytes/workgroup (compile time only)
; SGPRBlocks: 0
; VGPRBlocks: 4
; NumSGPRsForWavesPerEU: 31
; NumVGPRsForWavesPerEU: 65
; NamedBarCnt: 0
; Occupancy: 12
; WaveLimiterHint : 0
; COMPUTE_PGM_RSRC2:SCRATCH_EN: 0
; COMPUTE_PGM_RSRC2:USER_SGPR: 2
; COMPUTE_PGM_RSRC2:TRAP_HANDLER: 0
; COMPUTE_PGM_RSRC2:TGID_X_EN: 1
; COMPUTE_PGM_RSRC2:TGID_Y_EN: 0
; COMPUTE_PGM_RSRC2:TGID_Z_EN: 0
; COMPUTE_PGM_RSRC2:TIDIG_COMP_CNT: 2
	.section	.text._ZN7rocprim17ROCPRIM_400000_NS6detail17trampoline_kernelINS0_14default_configENS1_35radix_sort_onesweep_config_selectorIsNS0_10empty_typeEEEZZNS1_29radix_sort_onesweep_iterationIS3_Lb0EPKsPsPS5_SB_mNS0_19identity_decomposerENS1_16block_id_wrapperIjLb0EEEEE10hipError_tT1_PNSt15iterator_traitsISG_E10value_typeET2_T3_PNSH_ISM_E10value_typeET4_T5_PSR_SS_PNS1_23onesweep_lookback_stateEbbT6_jjT7_P12ihipStream_tbENKUlT_T0_SG_SL_E_clISA_SA_SB_SB_EEDaSZ_S10_SG_SL_EUlSZ_E_NS1_11comp_targetILNS1_3genE6ELNS1_11target_archE950ELNS1_3gpuE13ELNS1_3repE0EEENS1_47radix_sort_onesweep_sort_config_static_selectorELNS0_4arch9wavefront6targetE0EEEvSG_,"axG",@progbits,_ZN7rocprim17ROCPRIM_400000_NS6detail17trampoline_kernelINS0_14default_configENS1_35radix_sort_onesweep_config_selectorIsNS0_10empty_typeEEEZZNS1_29radix_sort_onesweep_iterationIS3_Lb0EPKsPsPS5_SB_mNS0_19identity_decomposerENS1_16block_id_wrapperIjLb0EEEEE10hipError_tT1_PNSt15iterator_traitsISG_E10value_typeET2_T3_PNSH_ISM_E10value_typeET4_T5_PSR_SS_PNS1_23onesweep_lookback_stateEbbT6_jjT7_P12ihipStream_tbENKUlT_T0_SG_SL_E_clISA_SA_SB_SB_EEDaSZ_S10_SG_SL_EUlSZ_E_NS1_11comp_targetILNS1_3genE6ELNS1_11target_archE950ELNS1_3gpuE13ELNS1_3repE0EEENS1_47radix_sort_onesweep_sort_config_static_selectorELNS0_4arch9wavefront6targetE0EEEvSG_,comdat
	.protected	_ZN7rocprim17ROCPRIM_400000_NS6detail17trampoline_kernelINS0_14default_configENS1_35radix_sort_onesweep_config_selectorIsNS0_10empty_typeEEEZZNS1_29radix_sort_onesweep_iterationIS3_Lb0EPKsPsPS5_SB_mNS0_19identity_decomposerENS1_16block_id_wrapperIjLb0EEEEE10hipError_tT1_PNSt15iterator_traitsISG_E10value_typeET2_T3_PNSH_ISM_E10value_typeET4_T5_PSR_SS_PNS1_23onesweep_lookback_stateEbbT6_jjT7_P12ihipStream_tbENKUlT_T0_SG_SL_E_clISA_SA_SB_SB_EEDaSZ_S10_SG_SL_EUlSZ_E_NS1_11comp_targetILNS1_3genE6ELNS1_11target_archE950ELNS1_3gpuE13ELNS1_3repE0EEENS1_47radix_sort_onesweep_sort_config_static_selectorELNS0_4arch9wavefront6targetE0EEEvSG_ ; -- Begin function _ZN7rocprim17ROCPRIM_400000_NS6detail17trampoline_kernelINS0_14default_configENS1_35radix_sort_onesweep_config_selectorIsNS0_10empty_typeEEEZZNS1_29radix_sort_onesweep_iterationIS3_Lb0EPKsPsPS5_SB_mNS0_19identity_decomposerENS1_16block_id_wrapperIjLb0EEEEE10hipError_tT1_PNSt15iterator_traitsISG_E10value_typeET2_T3_PNSH_ISM_E10value_typeET4_T5_PSR_SS_PNS1_23onesweep_lookback_stateEbbT6_jjT7_P12ihipStream_tbENKUlT_T0_SG_SL_E_clISA_SA_SB_SB_EEDaSZ_S10_SG_SL_EUlSZ_E_NS1_11comp_targetILNS1_3genE6ELNS1_11target_archE950ELNS1_3gpuE13ELNS1_3repE0EEENS1_47radix_sort_onesweep_sort_config_static_selectorELNS0_4arch9wavefront6targetE0EEEvSG_
	.globl	_ZN7rocprim17ROCPRIM_400000_NS6detail17trampoline_kernelINS0_14default_configENS1_35radix_sort_onesweep_config_selectorIsNS0_10empty_typeEEEZZNS1_29radix_sort_onesweep_iterationIS3_Lb0EPKsPsPS5_SB_mNS0_19identity_decomposerENS1_16block_id_wrapperIjLb0EEEEE10hipError_tT1_PNSt15iterator_traitsISG_E10value_typeET2_T3_PNSH_ISM_E10value_typeET4_T5_PSR_SS_PNS1_23onesweep_lookback_stateEbbT6_jjT7_P12ihipStream_tbENKUlT_T0_SG_SL_E_clISA_SA_SB_SB_EEDaSZ_S10_SG_SL_EUlSZ_E_NS1_11comp_targetILNS1_3genE6ELNS1_11target_archE950ELNS1_3gpuE13ELNS1_3repE0EEENS1_47radix_sort_onesweep_sort_config_static_selectorELNS0_4arch9wavefront6targetE0EEEvSG_
	.p2align	8
	.type	_ZN7rocprim17ROCPRIM_400000_NS6detail17trampoline_kernelINS0_14default_configENS1_35radix_sort_onesweep_config_selectorIsNS0_10empty_typeEEEZZNS1_29radix_sort_onesweep_iterationIS3_Lb0EPKsPsPS5_SB_mNS0_19identity_decomposerENS1_16block_id_wrapperIjLb0EEEEE10hipError_tT1_PNSt15iterator_traitsISG_E10value_typeET2_T3_PNSH_ISM_E10value_typeET4_T5_PSR_SS_PNS1_23onesweep_lookback_stateEbbT6_jjT7_P12ihipStream_tbENKUlT_T0_SG_SL_E_clISA_SA_SB_SB_EEDaSZ_S10_SG_SL_EUlSZ_E_NS1_11comp_targetILNS1_3genE6ELNS1_11target_archE950ELNS1_3gpuE13ELNS1_3repE0EEENS1_47radix_sort_onesweep_sort_config_static_selectorELNS0_4arch9wavefront6targetE0EEEvSG_,@function
_ZN7rocprim17ROCPRIM_400000_NS6detail17trampoline_kernelINS0_14default_configENS1_35radix_sort_onesweep_config_selectorIsNS0_10empty_typeEEEZZNS1_29radix_sort_onesweep_iterationIS3_Lb0EPKsPsPS5_SB_mNS0_19identity_decomposerENS1_16block_id_wrapperIjLb0EEEEE10hipError_tT1_PNSt15iterator_traitsISG_E10value_typeET2_T3_PNSH_ISM_E10value_typeET4_T5_PSR_SS_PNS1_23onesweep_lookback_stateEbbT6_jjT7_P12ihipStream_tbENKUlT_T0_SG_SL_E_clISA_SA_SB_SB_EEDaSZ_S10_SG_SL_EUlSZ_E_NS1_11comp_targetILNS1_3genE6ELNS1_11target_archE950ELNS1_3gpuE13ELNS1_3repE0EEENS1_47radix_sort_onesweep_sort_config_static_selectorELNS0_4arch9wavefront6targetE0EEEvSG_: ; @_ZN7rocprim17ROCPRIM_400000_NS6detail17trampoline_kernelINS0_14default_configENS1_35radix_sort_onesweep_config_selectorIsNS0_10empty_typeEEEZZNS1_29radix_sort_onesweep_iterationIS3_Lb0EPKsPsPS5_SB_mNS0_19identity_decomposerENS1_16block_id_wrapperIjLb0EEEEE10hipError_tT1_PNSt15iterator_traitsISG_E10value_typeET2_T3_PNSH_ISM_E10value_typeET4_T5_PSR_SS_PNS1_23onesweep_lookback_stateEbbT6_jjT7_P12ihipStream_tbENKUlT_T0_SG_SL_E_clISA_SA_SB_SB_EEDaSZ_S10_SG_SL_EUlSZ_E_NS1_11comp_targetILNS1_3genE6ELNS1_11target_archE950ELNS1_3gpuE13ELNS1_3repE0EEENS1_47radix_sort_onesweep_sort_config_static_selectorELNS0_4arch9wavefront6targetE0EEEvSG_
; %bb.0:
	.section	.rodata,"a",@progbits
	.p2align	6, 0x0
	.amdhsa_kernel _ZN7rocprim17ROCPRIM_400000_NS6detail17trampoline_kernelINS0_14default_configENS1_35radix_sort_onesweep_config_selectorIsNS0_10empty_typeEEEZZNS1_29radix_sort_onesweep_iterationIS3_Lb0EPKsPsPS5_SB_mNS0_19identity_decomposerENS1_16block_id_wrapperIjLb0EEEEE10hipError_tT1_PNSt15iterator_traitsISG_E10value_typeET2_T3_PNSH_ISM_E10value_typeET4_T5_PSR_SS_PNS1_23onesweep_lookback_stateEbbT6_jjT7_P12ihipStream_tbENKUlT_T0_SG_SL_E_clISA_SA_SB_SB_EEDaSZ_S10_SG_SL_EUlSZ_E_NS1_11comp_targetILNS1_3genE6ELNS1_11target_archE950ELNS1_3gpuE13ELNS1_3repE0EEENS1_47radix_sort_onesweep_sort_config_static_selectorELNS0_4arch9wavefront6targetE0EEEvSG_
		.amdhsa_group_segment_fixed_size 0
		.amdhsa_private_segment_fixed_size 0
		.amdhsa_kernarg_size 88
		.amdhsa_user_sgpr_count 2
		.amdhsa_user_sgpr_dispatch_ptr 0
		.amdhsa_user_sgpr_queue_ptr 0
		.amdhsa_user_sgpr_kernarg_segment_ptr 1
		.amdhsa_user_sgpr_dispatch_id 0
		.amdhsa_user_sgpr_kernarg_preload_length 0
		.amdhsa_user_sgpr_kernarg_preload_offset 0
		.amdhsa_user_sgpr_private_segment_size 0
		.amdhsa_wavefront_size32 1
		.amdhsa_uses_dynamic_stack 0
		.amdhsa_enable_private_segment 0
		.amdhsa_system_sgpr_workgroup_id_x 1
		.amdhsa_system_sgpr_workgroup_id_y 0
		.amdhsa_system_sgpr_workgroup_id_z 0
		.amdhsa_system_sgpr_workgroup_info 0
		.amdhsa_system_vgpr_workitem_id 0
		.amdhsa_next_free_vgpr 1
		.amdhsa_next_free_sgpr 1
		.amdhsa_named_barrier_count 0
		.amdhsa_reserve_vcc 0
		.amdhsa_float_round_mode_32 0
		.amdhsa_float_round_mode_16_64 0
		.amdhsa_float_denorm_mode_32 3
		.amdhsa_float_denorm_mode_16_64 3
		.amdhsa_fp16_overflow 0
		.amdhsa_memory_ordered 1
		.amdhsa_forward_progress 1
		.amdhsa_inst_pref_size 0
		.amdhsa_round_robin_scheduling 0
		.amdhsa_exception_fp_ieee_invalid_op 0
		.amdhsa_exception_fp_denorm_src 0
		.amdhsa_exception_fp_ieee_div_zero 0
		.amdhsa_exception_fp_ieee_overflow 0
		.amdhsa_exception_fp_ieee_underflow 0
		.amdhsa_exception_fp_ieee_inexact 0
		.amdhsa_exception_int_div_zero 0
	.end_amdhsa_kernel
	.section	.text._ZN7rocprim17ROCPRIM_400000_NS6detail17trampoline_kernelINS0_14default_configENS1_35radix_sort_onesweep_config_selectorIsNS0_10empty_typeEEEZZNS1_29radix_sort_onesweep_iterationIS3_Lb0EPKsPsPS5_SB_mNS0_19identity_decomposerENS1_16block_id_wrapperIjLb0EEEEE10hipError_tT1_PNSt15iterator_traitsISG_E10value_typeET2_T3_PNSH_ISM_E10value_typeET4_T5_PSR_SS_PNS1_23onesweep_lookback_stateEbbT6_jjT7_P12ihipStream_tbENKUlT_T0_SG_SL_E_clISA_SA_SB_SB_EEDaSZ_S10_SG_SL_EUlSZ_E_NS1_11comp_targetILNS1_3genE6ELNS1_11target_archE950ELNS1_3gpuE13ELNS1_3repE0EEENS1_47radix_sort_onesweep_sort_config_static_selectorELNS0_4arch9wavefront6targetE0EEEvSG_,"axG",@progbits,_ZN7rocprim17ROCPRIM_400000_NS6detail17trampoline_kernelINS0_14default_configENS1_35radix_sort_onesweep_config_selectorIsNS0_10empty_typeEEEZZNS1_29radix_sort_onesweep_iterationIS3_Lb0EPKsPsPS5_SB_mNS0_19identity_decomposerENS1_16block_id_wrapperIjLb0EEEEE10hipError_tT1_PNSt15iterator_traitsISG_E10value_typeET2_T3_PNSH_ISM_E10value_typeET4_T5_PSR_SS_PNS1_23onesweep_lookback_stateEbbT6_jjT7_P12ihipStream_tbENKUlT_T0_SG_SL_E_clISA_SA_SB_SB_EEDaSZ_S10_SG_SL_EUlSZ_E_NS1_11comp_targetILNS1_3genE6ELNS1_11target_archE950ELNS1_3gpuE13ELNS1_3repE0EEENS1_47radix_sort_onesweep_sort_config_static_selectorELNS0_4arch9wavefront6targetE0EEEvSG_,comdat
.Lfunc_end741:
	.size	_ZN7rocprim17ROCPRIM_400000_NS6detail17trampoline_kernelINS0_14default_configENS1_35radix_sort_onesweep_config_selectorIsNS0_10empty_typeEEEZZNS1_29radix_sort_onesweep_iterationIS3_Lb0EPKsPsPS5_SB_mNS0_19identity_decomposerENS1_16block_id_wrapperIjLb0EEEEE10hipError_tT1_PNSt15iterator_traitsISG_E10value_typeET2_T3_PNSH_ISM_E10value_typeET4_T5_PSR_SS_PNS1_23onesweep_lookback_stateEbbT6_jjT7_P12ihipStream_tbENKUlT_T0_SG_SL_E_clISA_SA_SB_SB_EEDaSZ_S10_SG_SL_EUlSZ_E_NS1_11comp_targetILNS1_3genE6ELNS1_11target_archE950ELNS1_3gpuE13ELNS1_3repE0EEENS1_47radix_sort_onesweep_sort_config_static_selectorELNS0_4arch9wavefront6targetE0EEEvSG_, .Lfunc_end741-_ZN7rocprim17ROCPRIM_400000_NS6detail17trampoline_kernelINS0_14default_configENS1_35radix_sort_onesweep_config_selectorIsNS0_10empty_typeEEEZZNS1_29radix_sort_onesweep_iterationIS3_Lb0EPKsPsPS5_SB_mNS0_19identity_decomposerENS1_16block_id_wrapperIjLb0EEEEE10hipError_tT1_PNSt15iterator_traitsISG_E10value_typeET2_T3_PNSH_ISM_E10value_typeET4_T5_PSR_SS_PNS1_23onesweep_lookback_stateEbbT6_jjT7_P12ihipStream_tbENKUlT_T0_SG_SL_E_clISA_SA_SB_SB_EEDaSZ_S10_SG_SL_EUlSZ_E_NS1_11comp_targetILNS1_3genE6ELNS1_11target_archE950ELNS1_3gpuE13ELNS1_3repE0EEENS1_47radix_sort_onesweep_sort_config_static_selectorELNS0_4arch9wavefront6targetE0EEEvSG_
                                        ; -- End function
	.set _ZN7rocprim17ROCPRIM_400000_NS6detail17trampoline_kernelINS0_14default_configENS1_35radix_sort_onesweep_config_selectorIsNS0_10empty_typeEEEZZNS1_29radix_sort_onesweep_iterationIS3_Lb0EPKsPsPS5_SB_mNS0_19identity_decomposerENS1_16block_id_wrapperIjLb0EEEEE10hipError_tT1_PNSt15iterator_traitsISG_E10value_typeET2_T3_PNSH_ISM_E10value_typeET4_T5_PSR_SS_PNS1_23onesweep_lookback_stateEbbT6_jjT7_P12ihipStream_tbENKUlT_T0_SG_SL_E_clISA_SA_SB_SB_EEDaSZ_S10_SG_SL_EUlSZ_E_NS1_11comp_targetILNS1_3genE6ELNS1_11target_archE950ELNS1_3gpuE13ELNS1_3repE0EEENS1_47radix_sort_onesweep_sort_config_static_selectorELNS0_4arch9wavefront6targetE0EEEvSG_.num_vgpr, 0
	.set _ZN7rocprim17ROCPRIM_400000_NS6detail17trampoline_kernelINS0_14default_configENS1_35radix_sort_onesweep_config_selectorIsNS0_10empty_typeEEEZZNS1_29radix_sort_onesweep_iterationIS3_Lb0EPKsPsPS5_SB_mNS0_19identity_decomposerENS1_16block_id_wrapperIjLb0EEEEE10hipError_tT1_PNSt15iterator_traitsISG_E10value_typeET2_T3_PNSH_ISM_E10value_typeET4_T5_PSR_SS_PNS1_23onesweep_lookback_stateEbbT6_jjT7_P12ihipStream_tbENKUlT_T0_SG_SL_E_clISA_SA_SB_SB_EEDaSZ_S10_SG_SL_EUlSZ_E_NS1_11comp_targetILNS1_3genE6ELNS1_11target_archE950ELNS1_3gpuE13ELNS1_3repE0EEENS1_47radix_sort_onesweep_sort_config_static_selectorELNS0_4arch9wavefront6targetE0EEEvSG_.num_agpr, 0
	.set _ZN7rocprim17ROCPRIM_400000_NS6detail17trampoline_kernelINS0_14default_configENS1_35radix_sort_onesweep_config_selectorIsNS0_10empty_typeEEEZZNS1_29radix_sort_onesweep_iterationIS3_Lb0EPKsPsPS5_SB_mNS0_19identity_decomposerENS1_16block_id_wrapperIjLb0EEEEE10hipError_tT1_PNSt15iterator_traitsISG_E10value_typeET2_T3_PNSH_ISM_E10value_typeET4_T5_PSR_SS_PNS1_23onesweep_lookback_stateEbbT6_jjT7_P12ihipStream_tbENKUlT_T0_SG_SL_E_clISA_SA_SB_SB_EEDaSZ_S10_SG_SL_EUlSZ_E_NS1_11comp_targetILNS1_3genE6ELNS1_11target_archE950ELNS1_3gpuE13ELNS1_3repE0EEENS1_47radix_sort_onesweep_sort_config_static_selectorELNS0_4arch9wavefront6targetE0EEEvSG_.numbered_sgpr, 0
	.set _ZN7rocprim17ROCPRIM_400000_NS6detail17trampoline_kernelINS0_14default_configENS1_35radix_sort_onesweep_config_selectorIsNS0_10empty_typeEEEZZNS1_29radix_sort_onesweep_iterationIS3_Lb0EPKsPsPS5_SB_mNS0_19identity_decomposerENS1_16block_id_wrapperIjLb0EEEEE10hipError_tT1_PNSt15iterator_traitsISG_E10value_typeET2_T3_PNSH_ISM_E10value_typeET4_T5_PSR_SS_PNS1_23onesweep_lookback_stateEbbT6_jjT7_P12ihipStream_tbENKUlT_T0_SG_SL_E_clISA_SA_SB_SB_EEDaSZ_S10_SG_SL_EUlSZ_E_NS1_11comp_targetILNS1_3genE6ELNS1_11target_archE950ELNS1_3gpuE13ELNS1_3repE0EEENS1_47radix_sort_onesweep_sort_config_static_selectorELNS0_4arch9wavefront6targetE0EEEvSG_.num_named_barrier, 0
	.set _ZN7rocprim17ROCPRIM_400000_NS6detail17trampoline_kernelINS0_14default_configENS1_35radix_sort_onesweep_config_selectorIsNS0_10empty_typeEEEZZNS1_29radix_sort_onesweep_iterationIS3_Lb0EPKsPsPS5_SB_mNS0_19identity_decomposerENS1_16block_id_wrapperIjLb0EEEEE10hipError_tT1_PNSt15iterator_traitsISG_E10value_typeET2_T3_PNSH_ISM_E10value_typeET4_T5_PSR_SS_PNS1_23onesweep_lookback_stateEbbT6_jjT7_P12ihipStream_tbENKUlT_T0_SG_SL_E_clISA_SA_SB_SB_EEDaSZ_S10_SG_SL_EUlSZ_E_NS1_11comp_targetILNS1_3genE6ELNS1_11target_archE950ELNS1_3gpuE13ELNS1_3repE0EEENS1_47radix_sort_onesweep_sort_config_static_selectorELNS0_4arch9wavefront6targetE0EEEvSG_.private_seg_size, 0
	.set _ZN7rocprim17ROCPRIM_400000_NS6detail17trampoline_kernelINS0_14default_configENS1_35radix_sort_onesweep_config_selectorIsNS0_10empty_typeEEEZZNS1_29radix_sort_onesweep_iterationIS3_Lb0EPKsPsPS5_SB_mNS0_19identity_decomposerENS1_16block_id_wrapperIjLb0EEEEE10hipError_tT1_PNSt15iterator_traitsISG_E10value_typeET2_T3_PNSH_ISM_E10value_typeET4_T5_PSR_SS_PNS1_23onesweep_lookback_stateEbbT6_jjT7_P12ihipStream_tbENKUlT_T0_SG_SL_E_clISA_SA_SB_SB_EEDaSZ_S10_SG_SL_EUlSZ_E_NS1_11comp_targetILNS1_3genE6ELNS1_11target_archE950ELNS1_3gpuE13ELNS1_3repE0EEENS1_47radix_sort_onesweep_sort_config_static_selectorELNS0_4arch9wavefront6targetE0EEEvSG_.uses_vcc, 0
	.set _ZN7rocprim17ROCPRIM_400000_NS6detail17trampoline_kernelINS0_14default_configENS1_35radix_sort_onesweep_config_selectorIsNS0_10empty_typeEEEZZNS1_29radix_sort_onesweep_iterationIS3_Lb0EPKsPsPS5_SB_mNS0_19identity_decomposerENS1_16block_id_wrapperIjLb0EEEEE10hipError_tT1_PNSt15iterator_traitsISG_E10value_typeET2_T3_PNSH_ISM_E10value_typeET4_T5_PSR_SS_PNS1_23onesweep_lookback_stateEbbT6_jjT7_P12ihipStream_tbENKUlT_T0_SG_SL_E_clISA_SA_SB_SB_EEDaSZ_S10_SG_SL_EUlSZ_E_NS1_11comp_targetILNS1_3genE6ELNS1_11target_archE950ELNS1_3gpuE13ELNS1_3repE0EEENS1_47radix_sort_onesweep_sort_config_static_selectorELNS0_4arch9wavefront6targetE0EEEvSG_.uses_flat_scratch, 0
	.set _ZN7rocprim17ROCPRIM_400000_NS6detail17trampoline_kernelINS0_14default_configENS1_35radix_sort_onesweep_config_selectorIsNS0_10empty_typeEEEZZNS1_29radix_sort_onesweep_iterationIS3_Lb0EPKsPsPS5_SB_mNS0_19identity_decomposerENS1_16block_id_wrapperIjLb0EEEEE10hipError_tT1_PNSt15iterator_traitsISG_E10value_typeET2_T3_PNSH_ISM_E10value_typeET4_T5_PSR_SS_PNS1_23onesweep_lookback_stateEbbT6_jjT7_P12ihipStream_tbENKUlT_T0_SG_SL_E_clISA_SA_SB_SB_EEDaSZ_S10_SG_SL_EUlSZ_E_NS1_11comp_targetILNS1_3genE6ELNS1_11target_archE950ELNS1_3gpuE13ELNS1_3repE0EEENS1_47radix_sort_onesweep_sort_config_static_selectorELNS0_4arch9wavefront6targetE0EEEvSG_.has_dyn_sized_stack, 0
	.set _ZN7rocprim17ROCPRIM_400000_NS6detail17trampoline_kernelINS0_14default_configENS1_35radix_sort_onesweep_config_selectorIsNS0_10empty_typeEEEZZNS1_29radix_sort_onesweep_iterationIS3_Lb0EPKsPsPS5_SB_mNS0_19identity_decomposerENS1_16block_id_wrapperIjLb0EEEEE10hipError_tT1_PNSt15iterator_traitsISG_E10value_typeET2_T3_PNSH_ISM_E10value_typeET4_T5_PSR_SS_PNS1_23onesweep_lookback_stateEbbT6_jjT7_P12ihipStream_tbENKUlT_T0_SG_SL_E_clISA_SA_SB_SB_EEDaSZ_S10_SG_SL_EUlSZ_E_NS1_11comp_targetILNS1_3genE6ELNS1_11target_archE950ELNS1_3gpuE13ELNS1_3repE0EEENS1_47radix_sort_onesweep_sort_config_static_selectorELNS0_4arch9wavefront6targetE0EEEvSG_.has_recursion, 0
	.set _ZN7rocprim17ROCPRIM_400000_NS6detail17trampoline_kernelINS0_14default_configENS1_35radix_sort_onesweep_config_selectorIsNS0_10empty_typeEEEZZNS1_29radix_sort_onesweep_iterationIS3_Lb0EPKsPsPS5_SB_mNS0_19identity_decomposerENS1_16block_id_wrapperIjLb0EEEEE10hipError_tT1_PNSt15iterator_traitsISG_E10value_typeET2_T3_PNSH_ISM_E10value_typeET4_T5_PSR_SS_PNS1_23onesweep_lookback_stateEbbT6_jjT7_P12ihipStream_tbENKUlT_T0_SG_SL_E_clISA_SA_SB_SB_EEDaSZ_S10_SG_SL_EUlSZ_E_NS1_11comp_targetILNS1_3genE6ELNS1_11target_archE950ELNS1_3gpuE13ELNS1_3repE0EEENS1_47radix_sort_onesweep_sort_config_static_selectorELNS0_4arch9wavefront6targetE0EEEvSG_.has_indirect_call, 0
	.section	.AMDGPU.csdata,"",@progbits
; Kernel info:
; codeLenInByte = 0
; TotalNumSgprs: 0
; NumVgprs: 0
; ScratchSize: 0
; MemoryBound: 0
; FloatMode: 240
; IeeeMode: 1
; LDSByteSize: 0 bytes/workgroup (compile time only)
; SGPRBlocks: 0
; VGPRBlocks: 0
; NumSGPRsForWavesPerEU: 1
; NumVGPRsForWavesPerEU: 1
; NamedBarCnt: 0
; Occupancy: 16
; WaveLimiterHint : 0
; COMPUTE_PGM_RSRC2:SCRATCH_EN: 0
; COMPUTE_PGM_RSRC2:USER_SGPR: 2
; COMPUTE_PGM_RSRC2:TRAP_HANDLER: 0
; COMPUTE_PGM_RSRC2:TGID_X_EN: 1
; COMPUTE_PGM_RSRC2:TGID_Y_EN: 0
; COMPUTE_PGM_RSRC2:TGID_Z_EN: 0
; COMPUTE_PGM_RSRC2:TIDIG_COMP_CNT: 0
	.section	.text._ZN7rocprim17ROCPRIM_400000_NS6detail17trampoline_kernelINS0_14default_configENS1_35radix_sort_onesweep_config_selectorIsNS0_10empty_typeEEEZZNS1_29radix_sort_onesweep_iterationIS3_Lb0EPKsPsPS5_SB_mNS0_19identity_decomposerENS1_16block_id_wrapperIjLb0EEEEE10hipError_tT1_PNSt15iterator_traitsISG_E10value_typeET2_T3_PNSH_ISM_E10value_typeET4_T5_PSR_SS_PNS1_23onesweep_lookback_stateEbbT6_jjT7_P12ihipStream_tbENKUlT_T0_SG_SL_E_clISA_SA_SB_SB_EEDaSZ_S10_SG_SL_EUlSZ_E_NS1_11comp_targetILNS1_3genE5ELNS1_11target_archE942ELNS1_3gpuE9ELNS1_3repE0EEENS1_47radix_sort_onesweep_sort_config_static_selectorELNS0_4arch9wavefront6targetE0EEEvSG_,"axG",@progbits,_ZN7rocprim17ROCPRIM_400000_NS6detail17trampoline_kernelINS0_14default_configENS1_35radix_sort_onesweep_config_selectorIsNS0_10empty_typeEEEZZNS1_29radix_sort_onesweep_iterationIS3_Lb0EPKsPsPS5_SB_mNS0_19identity_decomposerENS1_16block_id_wrapperIjLb0EEEEE10hipError_tT1_PNSt15iterator_traitsISG_E10value_typeET2_T3_PNSH_ISM_E10value_typeET4_T5_PSR_SS_PNS1_23onesweep_lookback_stateEbbT6_jjT7_P12ihipStream_tbENKUlT_T0_SG_SL_E_clISA_SA_SB_SB_EEDaSZ_S10_SG_SL_EUlSZ_E_NS1_11comp_targetILNS1_3genE5ELNS1_11target_archE942ELNS1_3gpuE9ELNS1_3repE0EEENS1_47radix_sort_onesweep_sort_config_static_selectorELNS0_4arch9wavefront6targetE0EEEvSG_,comdat
	.protected	_ZN7rocprim17ROCPRIM_400000_NS6detail17trampoline_kernelINS0_14default_configENS1_35radix_sort_onesweep_config_selectorIsNS0_10empty_typeEEEZZNS1_29radix_sort_onesweep_iterationIS3_Lb0EPKsPsPS5_SB_mNS0_19identity_decomposerENS1_16block_id_wrapperIjLb0EEEEE10hipError_tT1_PNSt15iterator_traitsISG_E10value_typeET2_T3_PNSH_ISM_E10value_typeET4_T5_PSR_SS_PNS1_23onesweep_lookback_stateEbbT6_jjT7_P12ihipStream_tbENKUlT_T0_SG_SL_E_clISA_SA_SB_SB_EEDaSZ_S10_SG_SL_EUlSZ_E_NS1_11comp_targetILNS1_3genE5ELNS1_11target_archE942ELNS1_3gpuE9ELNS1_3repE0EEENS1_47radix_sort_onesweep_sort_config_static_selectorELNS0_4arch9wavefront6targetE0EEEvSG_ ; -- Begin function _ZN7rocprim17ROCPRIM_400000_NS6detail17trampoline_kernelINS0_14default_configENS1_35radix_sort_onesweep_config_selectorIsNS0_10empty_typeEEEZZNS1_29radix_sort_onesweep_iterationIS3_Lb0EPKsPsPS5_SB_mNS0_19identity_decomposerENS1_16block_id_wrapperIjLb0EEEEE10hipError_tT1_PNSt15iterator_traitsISG_E10value_typeET2_T3_PNSH_ISM_E10value_typeET4_T5_PSR_SS_PNS1_23onesweep_lookback_stateEbbT6_jjT7_P12ihipStream_tbENKUlT_T0_SG_SL_E_clISA_SA_SB_SB_EEDaSZ_S10_SG_SL_EUlSZ_E_NS1_11comp_targetILNS1_3genE5ELNS1_11target_archE942ELNS1_3gpuE9ELNS1_3repE0EEENS1_47radix_sort_onesweep_sort_config_static_selectorELNS0_4arch9wavefront6targetE0EEEvSG_
	.globl	_ZN7rocprim17ROCPRIM_400000_NS6detail17trampoline_kernelINS0_14default_configENS1_35radix_sort_onesweep_config_selectorIsNS0_10empty_typeEEEZZNS1_29radix_sort_onesweep_iterationIS3_Lb0EPKsPsPS5_SB_mNS0_19identity_decomposerENS1_16block_id_wrapperIjLb0EEEEE10hipError_tT1_PNSt15iterator_traitsISG_E10value_typeET2_T3_PNSH_ISM_E10value_typeET4_T5_PSR_SS_PNS1_23onesweep_lookback_stateEbbT6_jjT7_P12ihipStream_tbENKUlT_T0_SG_SL_E_clISA_SA_SB_SB_EEDaSZ_S10_SG_SL_EUlSZ_E_NS1_11comp_targetILNS1_3genE5ELNS1_11target_archE942ELNS1_3gpuE9ELNS1_3repE0EEENS1_47radix_sort_onesweep_sort_config_static_selectorELNS0_4arch9wavefront6targetE0EEEvSG_
	.p2align	8
	.type	_ZN7rocprim17ROCPRIM_400000_NS6detail17trampoline_kernelINS0_14default_configENS1_35radix_sort_onesweep_config_selectorIsNS0_10empty_typeEEEZZNS1_29radix_sort_onesweep_iterationIS3_Lb0EPKsPsPS5_SB_mNS0_19identity_decomposerENS1_16block_id_wrapperIjLb0EEEEE10hipError_tT1_PNSt15iterator_traitsISG_E10value_typeET2_T3_PNSH_ISM_E10value_typeET4_T5_PSR_SS_PNS1_23onesweep_lookback_stateEbbT6_jjT7_P12ihipStream_tbENKUlT_T0_SG_SL_E_clISA_SA_SB_SB_EEDaSZ_S10_SG_SL_EUlSZ_E_NS1_11comp_targetILNS1_3genE5ELNS1_11target_archE942ELNS1_3gpuE9ELNS1_3repE0EEENS1_47radix_sort_onesweep_sort_config_static_selectorELNS0_4arch9wavefront6targetE0EEEvSG_,@function
_ZN7rocprim17ROCPRIM_400000_NS6detail17trampoline_kernelINS0_14default_configENS1_35radix_sort_onesweep_config_selectorIsNS0_10empty_typeEEEZZNS1_29radix_sort_onesweep_iterationIS3_Lb0EPKsPsPS5_SB_mNS0_19identity_decomposerENS1_16block_id_wrapperIjLb0EEEEE10hipError_tT1_PNSt15iterator_traitsISG_E10value_typeET2_T3_PNSH_ISM_E10value_typeET4_T5_PSR_SS_PNS1_23onesweep_lookback_stateEbbT6_jjT7_P12ihipStream_tbENKUlT_T0_SG_SL_E_clISA_SA_SB_SB_EEDaSZ_S10_SG_SL_EUlSZ_E_NS1_11comp_targetILNS1_3genE5ELNS1_11target_archE942ELNS1_3gpuE9ELNS1_3repE0EEENS1_47radix_sort_onesweep_sort_config_static_selectorELNS0_4arch9wavefront6targetE0EEEvSG_: ; @_ZN7rocprim17ROCPRIM_400000_NS6detail17trampoline_kernelINS0_14default_configENS1_35radix_sort_onesweep_config_selectorIsNS0_10empty_typeEEEZZNS1_29radix_sort_onesweep_iterationIS3_Lb0EPKsPsPS5_SB_mNS0_19identity_decomposerENS1_16block_id_wrapperIjLb0EEEEE10hipError_tT1_PNSt15iterator_traitsISG_E10value_typeET2_T3_PNSH_ISM_E10value_typeET4_T5_PSR_SS_PNS1_23onesweep_lookback_stateEbbT6_jjT7_P12ihipStream_tbENKUlT_T0_SG_SL_E_clISA_SA_SB_SB_EEDaSZ_S10_SG_SL_EUlSZ_E_NS1_11comp_targetILNS1_3genE5ELNS1_11target_archE942ELNS1_3gpuE9ELNS1_3repE0EEENS1_47radix_sort_onesweep_sort_config_static_selectorELNS0_4arch9wavefront6targetE0EEEvSG_
; %bb.0:
	.section	.rodata,"a",@progbits
	.p2align	6, 0x0
	.amdhsa_kernel _ZN7rocprim17ROCPRIM_400000_NS6detail17trampoline_kernelINS0_14default_configENS1_35radix_sort_onesweep_config_selectorIsNS0_10empty_typeEEEZZNS1_29radix_sort_onesweep_iterationIS3_Lb0EPKsPsPS5_SB_mNS0_19identity_decomposerENS1_16block_id_wrapperIjLb0EEEEE10hipError_tT1_PNSt15iterator_traitsISG_E10value_typeET2_T3_PNSH_ISM_E10value_typeET4_T5_PSR_SS_PNS1_23onesweep_lookback_stateEbbT6_jjT7_P12ihipStream_tbENKUlT_T0_SG_SL_E_clISA_SA_SB_SB_EEDaSZ_S10_SG_SL_EUlSZ_E_NS1_11comp_targetILNS1_3genE5ELNS1_11target_archE942ELNS1_3gpuE9ELNS1_3repE0EEENS1_47radix_sort_onesweep_sort_config_static_selectorELNS0_4arch9wavefront6targetE0EEEvSG_
		.amdhsa_group_segment_fixed_size 0
		.amdhsa_private_segment_fixed_size 0
		.amdhsa_kernarg_size 88
		.amdhsa_user_sgpr_count 2
		.amdhsa_user_sgpr_dispatch_ptr 0
		.amdhsa_user_sgpr_queue_ptr 0
		.amdhsa_user_sgpr_kernarg_segment_ptr 1
		.amdhsa_user_sgpr_dispatch_id 0
		.amdhsa_user_sgpr_kernarg_preload_length 0
		.amdhsa_user_sgpr_kernarg_preload_offset 0
		.amdhsa_user_sgpr_private_segment_size 0
		.amdhsa_wavefront_size32 1
		.amdhsa_uses_dynamic_stack 0
		.amdhsa_enable_private_segment 0
		.amdhsa_system_sgpr_workgroup_id_x 1
		.amdhsa_system_sgpr_workgroup_id_y 0
		.amdhsa_system_sgpr_workgroup_id_z 0
		.amdhsa_system_sgpr_workgroup_info 0
		.amdhsa_system_vgpr_workitem_id 0
		.amdhsa_next_free_vgpr 1
		.amdhsa_next_free_sgpr 1
		.amdhsa_named_barrier_count 0
		.amdhsa_reserve_vcc 0
		.amdhsa_float_round_mode_32 0
		.amdhsa_float_round_mode_16_64 0
		.amdhsa_float_denorm_mode_32 3
		.amdhsa_float_denorm_mode_16_64 3
		.amdhsa_fp16_overflow 0
		.amdhsa_memory_ordered 1
		.amdhsa_forward_progress 1
		.amdhsa_inst_pref_size 0
		.amdhsa_round_robin_scheduling 0
		.amdhsa_exception_fp_ieee_invalid_op 0
		.amdhsa_exception_fp_denorm_src 0
		.amdhsa_exception_fp_ieee_div_zero 0
		.amdhsa_exception_fp_ieee_overflow 0
		.amdhsa_exception_fp_ieee_underflow 0
		.amdhsa_exception_fp_ieee_inexact 0
		.amdhsa_exception_int_div_zero 0
	.end_amdhsa_kernel
	.section	.text._ZN7rocprim17ROCPRIM_400000_NS6detail17trampoline_kernelINS0_14default_configENS1_35radix_sort_onesweep_config_selectorIsNS0_10empty_typeEEEZZNS1_29radix_sort_onesweep_iterationIS3_Lb0EPKsPsPS5_SB_mNS0_19identity_decomposerENS1_16block_id_wrapperIjLb0EEEEE10hipError_tT1_PNSt15iterator_traitsISG_E10value_typeET2_T3_PNSH_ISM_E10value_typeET4_T5_PSR_SS_PNS1_23onesweep_lookback_stateEbbT6_jjT7_P12ihipStream_tbENKUlT_T0_SG_SL_E_clISA_SA_SB_SB_EEDaSZ_S10_SG_SL_EUlSZ_E_NS1_11comp_targetILNS1_3genE5ELNS1_11target_archE942ELNS1_3gpuE9ELNS1_3repE0EEENS1_47radix_sort_onesweep_sort_config_static_selectorELNS0_4arch9wavefront6targetE0EEEvSG_,"axG",@progbits,_ZN7rocprim17ROCPRIM_400000_NS6detail17trampoline_kernelINS0_14default_configENS1_35radix_sort_onesweep_config_selectorIsNS0_10empty_typeEEEZZNS1_29radix_sort_onesweep_iterationIS3_Lb0EPKsPsPS5_SB_mNS0_19identity_decomposerENS1_16block_id_wrapperIjLb0EEEEE10hipError_tT1_PNSt15iterator_traitsISG_E10value_typeET2_T3_PNSH_ISM_E10value_typeET4_T5_PSR_SS_PNS1_23onesweep_lookback_stateEbbT6_jjT7_P12ihipStream_tbENKUlT_T0_SG_SL_E_clISA_SA_SB_SB_EEDaSZ_S10_SG_SL_EUlSZ_E_NS1_11comp_targetILNS1_3genE5ELNS1_11target_archE942ELNS1_3gpuE9ELNS1_3repE0EEENS1_47radix_sort_onesweep_sort_config_static_selectorELNS0_4arch9wavefront6targetE0EEEvSG_,comdat
.Lfunc_end742:
	.size	_ZN7rocprim17ROCPRIM_400000_NS6detail17trampoline_kernelINS0_14default_configENS1_35radix_sort_onesweep_config_selectorIsNS0_10empty_typeEEEZZNS1_29radix_sort_onesweep_iterationIS3_Lb0EPKsPsPS5_SB_mNS0_19identity_decomposerENS1_16block_id_wrapperIjLb0EEEEE10hipError_tT1_PNSt15iterator_traitsISG_E10value_typeET2_T3_PNSH_ISM_E10value_typeET4_T5_PSR_SS_PNS1_23onesweep_lookback_stateEbbT6_jjT7_P12ihipStream_tbENKUlT_T0_SG_SL_E_clISA_SA_SB_SB_EEDaSZ_S10_SG_SL_EUlSZ_E_NS1_11comp_targetILNS1_3genE5ELNS1_11target_archE942ELNS1_3gpuE9ELNS1_3repE0EEENS1_47radix_sort_onesweep_sort_config_static_selectorELNS0_4arch9wavefront6targetE0EEEvSG_, .Lfunc_end742-_ZN7rocprim17ROCPRIM_400000_NS6detail17trampoline_kernelINS0_14default_configENS1_35radix_sort_onesweep_config_selectorIsNS0_10empty_typeEEEZZNS1_29radix_sort_onesweep_iterationIS3_Lb0EPKsPsPS5_SB_mNS0_19identity_decomposerENS1_16block_id_wrapperIjLb0EEEEE10hipError_tT1_PNSt15iterator_traitsISG_E10value_typeET2_T3_PNSH_ISM_E10value_typeET4_T5_PSR_SS_PNS1_23onesweep_lookback_stateEbbT6_jjT7_P12ihipStream_tbENKUlT_T0_SG_SL_E_clISA_SA_SB_SB_EEDaSZ_S10_SG_SL_EUlSZ_E_NS1_11comp_targetILNS1_3genE5ELNS1_11target_archE942ELNS1_3gpuE9ELNS1_3repE0EEENS1_47radix_sort_onesweep_sort_config_static_selectorELNS0_4arch9wavefront6targetE0EEEvSG_
                                        ; -- End function
	.set _ZN7rocprim17ROCPRIM_400000_NS6detail17trampoline_kernelINS0_14default_configENS1_35radix_sort_onesweep_config_selectorIsNS0_10empty_typeEEEZZNS1_29radix_sort_onesweep_iterationIS3_Lb0EPKsPsPS5_SB_mNS0_19identity_decomposerENS1_16block_id_wrapperIjLb0EEEEE10hipError_tT1_PNSt15iterator_traitsISG_E10value_typeET2_T3_PNSH_ISM_E10value_typeET4_T5_PSR_SS_PNS1_23onesweep_lookback_stateEbbT6_jjT7_P12ihipStream_tbENKUlT_T0_SG_SL_E_clISA_SA_SB_SB_EEDaSZ_S10_SG_SL_EUlSZ_E_NS1_11comp_targetILNS1_3genE5ELNS1_11target_archE942ELNS1_3gpuE9ELNS1_3repE0EEENS1_47radix_sort_onesweep_sort_config_static_selectorELNS0_4arch9wavefront6targetE0EEEvSG_.num_vgpr, 0
	.set _ZN7rocprim17ROCPRIM_400000_NS6detail17trampoline_kernelINS0_14default_configENS1_35radix_sort_onesweep_config_selectorIsNS0_10empty_typeEEEZZNS1_29radix_sort_onesweep_iterationIS3_Lb0EPKsPsPS5_SB_mNS0_19identity_decomposerENS1_16block_id_wrapperIjLb0EEEEE10hipError_tT1_PNSt15iterator_traitsISG_E10value_typeET2_T3_PNSH_ISM_E10value_typeET4_T5_PSR_SS_PNS1_23onesweep_lookback_stateEbbT6_jjT7_P12ihipStream_tbENKUlT_T0_SG_SL_E_clISA_SA_SB_SB_EEDaSZ_S10_SG_SL_EUlSZ_E_NS1_11comp_targetILNS1_3genE5ELNS1_11target_archE942ELNS1_3gpuE9ELNS1_3repE0EEENS1_47radix_sort_onesweep_sort_config_static_selectorELNS0_4arch9wavefront6targetE0EEEvSG_.num_agpr, 0
	.set _ZN7rocprim17ROCPRIM_400000_NS6detail17trampoline_kernelINS0_14default_configENS1_35radix_sort_onesweep_config_selectorIsNS0_10empty_typeEEEZZNS1_29radix_sort_onesweep_iterationIS3_Lb0EPKsPsPS5_SB_mNS0_19identity_decomposerENS1_16block_id_wrapperIjLb0EEEEE10hipError_tT1_PNSt15iterator_traitsISG_E10value_typeET2_T3_PNSH_ISM_E10value_typeET4_T5_PSR_SS_PNS1_23onesweep_lookback_stateEbbT6_jjT7_P12ihipStream_tbENKUlT_T0_SG_SL_E_clISA_SA_SB_SB_EEDaSZ_S10_SG_SL_EUlSZ_E_NS1_11comp_targetILNS1_3genE5ELNS1_11target_archE942ELNS1_3gpuE9ELNS1_3repE0EEENS1_47radix_sort_onesweep_sort_config_static_selectorELNS0_4arch9wavefront6targetE0EEEvSG_.numbered_sgpr, 0
	.set _ZN7rocprim17ROCPRIM_400000_NS6detail17trampoline_kernelINS0_14default_configENS1_35radix_sort_onesweep_config_selectorIsNS0_10empty_typeEEEZZNS1_29radix_sort_onesweep_iterationIS3_Lb0EPKsPsPS5_SB_mNS0_19identity_decomposerENS1_16block_id_wrapperIjLb0EEEEE10hipError_tT1_PNSt15iterator_traitsISG_E10value_typeET2_T3_PNSH_ISM_E10value_typeET4_T5_PSR_SS_PNS1_23onesweep_lookback_stateEbbT6_jjT7_P12ihipStream_tbENKUlT_T0_SG_SL_E_clISA_SA_SB_SB_EEDaSZ_S10_SG_SL_EUlSZ_E_NS1_11comp_targetILNS1_3genE5ELNS1_11target_archE942ELNS1_3gpuE9ELNS1_3repE0EEENS1_47radix_sort_onesweep_sort_config_static_selectorELNS0_4arch9wavefront6targetE0EEEvSG_.num_named_barrier, 0
	.set _ZN7rocprim17ROCPRIM_400000_NS6detail17trampoline_kernelINS0_14default_configENS1_35radix_sort_onesweep_config_selectorIsNS0_10empty_typeEEEZZNS1_29radix_sort_onesweep_iterationIS3_Lb0EPKsPsPS5_SB_mNS0_19identity_decomposerENS1_16block_id_wrapperIjLb0EEEEE10hipError_tT1_PNSt15iterator_traitsISG_E10value_typeET2_T3_PNSH_ISM_E10value_typeET4_T5_PSR_SS_PNS1_23onesweep_lookback_stateEbbT6_jjT7_P12ihipStream_tbENKUlT_T0_SG_SL_E_clISA_SA_SB_SB_EEDaSZ_S10_SG_SL_EUlSZ_E_NS1_11comp_targetILNS1_3genE5ELNS1_11target_archE942ELNS1_3gpuE9ELNS1_3repE0EEENS1_47radix_sort_onesweep_sort_config_static_selectorELNS0_4arch9wavefront6targetE0EEEvSG_.private_seg_size, 0
	.set _ZN7rocprim17ROCPRIM_400000_NS6detail17trampoline_kernelINS0_14default_configENS1_35radix_sort_onesweep_config_selectorIsNS0_10empty_typeEEEZZNS1_29radix_sort_onesweep_iterationIS3_Lb0EPKsPsPS5_SB_mNS0_19identity_decomposerENS1_16block_id_wrapperIjLb0EEEEE10hipError_tT1_PNSt15iterator_traitsISG_E10value_typeET2_T3_PNSH_ISM_E10value_typeET4_T5_PSR_SS_PNS1_23onesweep_lookback_stateEbbT6_jjT7_P12ihipStream_tbENKUlT_T0_SG_SL_E_clISA_SA_SB_SB_EEDaSZ_S10_SG_SL_EUlSZ_E_NS1_11comp_targetILNS1_3genE5ELNS1_11target_archE942ELNS1_3gpuE9ELNS1_3repE0EEENS1_47radix_sort_onesweep_sort_config_static_selectorELNS0_4arch9wavefront6targetE0EEEvSG_.uses_vcc, 0
	.set _ZN7rocprim17ROCPRIM_400000_NS6detail17trampoline_kernelINS0_14default_configENS1_35radix_sort_onesweep_config_selectorIsNS0_10empty_typeEEEZZNS1_29radix_sort_onesweep_iterationIS3_Lb0EPKsPsPS5_SB_mNS0_19identity_decomposerENS1_16block_id_wrapperIjLb0EEEEE10hipError_tT1_PNSt15iterator_traitsISG_E10value_typeET2_T3_PNSH_ISM_E10value_typeET4_T5_PSR_SS_PNS1_23onesweep_lookback_stateEbbT6_jjT7_P12ihipStream_tbENKUlT_T0_SG_SL_E_clISA_SA_SB_SB_EEDaSZ_S10_SG_SL_EUlSZ_E_NS1_11comp_targetILNS1_3genE5ELNS1_11target_archE942ELNS1_3gpuE9ELNS1_3repE0EEENS1_47radix_sort_onesweep_sort_config_static_selectorELNS0_4arch9wavefront6targetE0EEEvSG_.uses_flat_scratch, 0
	.set _ZN7rocprim17ROCPRIM_400000_NS6detail17trampoline_kernelINS0_14default_configENS1_35radix_sort_onesweep_config_selectorIsNS0_10empty_typeEEEZZNS1_29radix_sort_onesweep_iterationIS3_Lb0EPKsPsPS5_SB_mNS0_19identity_decomposerENS1_16block_id_wrapperIjLb0EEEEE10hipError_tT1_PNSt15iterator_traitsISG_E10value_typeET2_T3_PNSH_ISM_E10value_typeET4_T5_PSR_SS_PNS1_23onesweep_lookback_stateEbbT6_jjT7_P12ihipStream_tbENKUlT_T0_SG_SL_E_clISA_SA_SB_SB_EEDaSZ_S10_SG_SL_EUlSZ_E_NS1_11comp_targetILNS1_3genE5ELNS1_11target_archE942ELNS1_3gpuE9ELNS1_3repE0EEENS1_47radix_sort_onesweep_sort_config_static_selectorELNS0_4arch9wavefront6targetE0EEEvSG_.has_dyn_sized_stack, 0
	.set _ZN7rocprim17ROCPRIM_400000_NS6detail17trampoline_kernelINS0_14default_configENS1_35radix_sort_onesweep_config_selectorIsNS0_10empty_typeEEEZZNS1_29radix_sort_onesweep_iterationIS3_Lb0EPKsPsPS5_SB_mNS0_19identity_decomposerENS1_16block_id_wrapperIjLb0EEEEE10hipError_tT1_PNSt15iterator_traitsISG_E10value_typeET2_T3_PNSH_ISM_E10value_typeET4_T5_PSR_SS_PNS1_23onesweep_lookback_stateEbbT6_jjT7_P12ihipStream_tbENKUlT_T0_SG_SL_E_clISA_SA_SB_SB_EEDaSZ_S10_SG_SL_EUlSZ_E_NS1_11comp_targetILNS1_3genE5ELNS1_11target_archE942ELNS1_3gpuE9ELNS1_3repE0EEENS1_47radix_sort_onesweep_sort_config_static_selectorELNS0_4arch9wavefront6targetE0EEEvSG_.has_recursion, 0
	.set _ZN7rocprim17ROCPRIM_400000_NS6detail17trampoline_kernelINS0_14default_configENS1_35radix_sort_onesweep_config_selectorIsNS0_10empty_typeEEEZZNS1_29radix_sort_onesweep_iterationIS3_Lb0EPKsPsPS5_SB_mNS0_19identity_decomposerENS1_16block_id_wrapperIjLb0EEEEE10hipError_tT1_PNSt15iterator_traitsISG_E10value_typeET2_T3_PNSH_ISM_E10value_typeET4_T5_PSR_SS_PNS1_23onesweep_lookback_stateEbbT6_jjT7_P12ihipStream_tbENKUlT_T0_SG_SL_E_clISA_SA_SB_SB_EEDaSZ_S10_SG_SL_EUlSZ_E_NS1_11comp_targetILNS1_3genE5ELNS1_11target_archE942ELNS1_3gpuE9ELNS1_3repE0EEENS1_47radix_sort_onesweep_sort_config_static_selectorELNS0_4arch9wavefront6targetE0EEEvSG_.has_indirect_call, 0
	.section	.AMDGPU.csdata,"",@progbits
; Kernel info:
; codeLenInByte = 0
; TotalNumSgprs: 0
; NumVgprs: 0
; ScratchSize: 0
; MemoryBound: 0
; FloatMode: 240
; IeeeMode: 1
; LDSByteSize: 0 bytes/workgroup (compile time only)
; SGPRBlocks: 0
; VGPRBlocks: 0
; NumSGPRsForWavesPerEU: 1
; NumVGPRsForWavesPerEU: 1
; NamedBarCnt: 0
; Occupancy: 16
; WaveLimiterHint : 0
; COMPUTE_PGM_RSRC2:SCRATCH_EN: 0
; COMPUTE_PGM_RSRC2:USER_SGPR: 2
; COMPUTE_PGM_RSRC2:TRAP_HANDLER: 0
; COMPUTE_PGM_RSRC2:TGID_X_EN: 1
; COMPUTE_PGM_RSRC2:TGID_Y_EN: 0
; COMPUTE_PGM_RSRC2:TGID_Z_EN: 0
; COMPUTE_PGM_RSRC2:TIDIG_COMP_CNT: 0
	.section	.text._ZN7rocprim17ROCPRIM_400000_NS6detail17trampoline_kernelINS0_14default_configENS1_35radix_sort_onesweep_config_selectorIsNS0_10empty_typeEEEZZNS1_29radix_sort_onesweep_iterationIS3_Lb0EPKsPsPS5_SB_mNS0_19identity_decomposerENS1_16block_id_wrapperIjLb0EEEEE10hipError_tT1_PNSt15iterator_traitsISG_E10value_typeET2_T3_PNSH_ISM_E10value_typeET4_T5_PSR_SS_PNS1_23onesweep_lookback_stateEbbT6_jjT7_P12ihipStream_tbENKUlT_T0_SG_SL_E_clISA_SA_SB_SB_EEDaSZ_S10_SG_SL_EUlSZ_E_NS1_11comp_targetILNS1_3genE2ELNS1_11target_archE906ELNS1_3gpuE6ELNS1_3repE0EEENS1_47radix_sort_onesweep_sort_config_static_selectorELNS0_4arch9wavefront6targetE0EEEvSG_,"axG",@progbits,_ZN7rocprim17ROCPRIM_400000_NS6detail17trampoline_kernelINS0_14default_configENS1_35radix_sort_onesweep_config_selectorIsNS0_10empty_typeEEEZZNS1_29radix_sort_onesweep_iterationIS3_Lb0EPKsPsPS5_SB_mNS0_19identity_decomposerENS1_16block_id_wrapperIjLb0EEEEE10hipError_tT1_PNSt15iterator_traitsISG_E10value_typeET2_T3_PNSH_ISM_E10value_typeET4_T5_PSR_SS_PNS1_23onesweep_lookback_stateEbbT6_jjT7_P12ihipStream_tbENKUlT_T0_SG_SL_E_clISA_SA_SB_SB_EEDaSZ_S10_SG_SL_EUlSZ_E_NS1_11comp_targetILNS1_3genE2ELNS1_11target_archE906ELNS1_3gpuE6ELNS1_3repE0EEENS1_47radix_sort_onesweep_sort_config_static_selectorELNS0_4arch9wavefront6targetE0EEEvSG_,comdat
	.protected	_ZN7rocprim17ROCPRIM_400000_NS6detail17trampoline_kernelINS0_14default_configENS1_35radix_sort_onesweep_config_selectorIsNS0_10empty_typeEEEZZNS1_29radix_sort_onesweep_iterationIS3_Lb0EPKsPsPS5_SB_mNS0_19identity_decomposerENS1_16block_id_wrapperIjLb0EEEEE10hipError_tT1_PNSt15iterator_traitsISG_E10value_typeET2_T3_PNSH_ISM_E10value_typeET4_T5_PSR_SS_PNS1_23onesweep_lookback_stateEbbT6_jjT7_P12ihipStream_tbENKUlT_T0_SG_SL_E_clISA_SA_SB_SB_EEDaSZ_S10_SG_SL_EUlSZ_E_NS1_11comp_targetILNS1_3genE2ELNS1_11target_archE906ELNS1_3gpuE6ELNS1_3repE0EEENS1_47radix_sort_onesweep_sort_config_static_selectorELNS0_4arch9wavefront6targetE0EEEvSG_ ; -- Begin function _ZN7rocprim17ROCPRIM_400000_NS6detail17trampoline_kernelINS0_14default_configENS1_35radix_sort_onesweep_config_selectorIsNS0_10empty_typeEEEZZNS1_29radix_sort_onesweep_iterationIS3_Lb0EPKsPsPS5_SB_mNS0_19identity_decomposerENS1_16block_id_wrapperIjLb0EEEEE10hipError_tT1_PNSt15iterator_traitsISG_E10value_typeET2_T3_PNSH_ISM_E10value_typeET4_T5_PSR_SS_PNS1_23onesweep_lookback_stateEbbT6_jjT7_P12ihipStream_tbENKUlT_T0_SG_SL_E_clISA_SA_SB_SB_EEDaSZ_S10_SG_SL_EUlSZ_E_NS1_11comp_targetILNS1_3genE2ELNS1_11target_archE906ELNS1_3gpuE6ELNS1_3repE0EEENS1_47radix_sort_onesweep_sort_config_static_selectorELNS0_4arch9wavefront6targetE0EEEvSG_
	.globl	_ZN7rocprim17ROCPRIM_400000_NS6detail17trampoline_kernelINS0_14default_configENS1_35radix_sort_onesweep_config_selectorIsNS0_10empty_typeEEEZZNS1_29radix_sort_onesweep_iterationIS3_Lb0EPKsPsPS5_SB_mNS0_19identity_decomposerENS1_16block_id_wrapperIjLb0EEEEE10hipError_tT1_PNSt15iterator_traitsISG_E10value_typeET2_T3_PNSH_ISM_E10value_typeET4_T5_PSR_SS_PNS1_23onesweep_lookback_stateEbbT6_jjT7_P12ihipStream_tbENKUlT_T0_SG_SL_E_clISA_SA_SB_SB_EEDaSZ_S10_SG_SL_EUlSZ_E_NS1_11comp_targetILNS1_3genE2ELNS1_11target_archE906ELNS1_3gpuE6ELNS1_3repE0EEENS1_47radix_sort_onesweep_sort_config_static_selectorELNS0_4arch9wavefront6targetE0EEEvSG_
	.p2align	8
	.type	_ZN7rocprim17ROCPRIM_400000_NS6detail17trampoline_kernelINS0_14default_configENS1_35radix_sort_onesweep_config_selectorIsNS0_10empty_typeEEEZZNS1_29radix_sort_onesweep_iterationIS3_Lb0EPKsPsPS5_SB_mNS0_19identity_decomposerENS1_16block_id_wrapperIjLb0EEEEE10hipError_tT1_PNSt15iterator_traitsISG_E10value_typeET2_T3_PNSH_ISM_E10value_typeET4_T5_PSR_SS_PNS1_23onesweep_lookback_stateEbbT6_jjT7_P12ihipStream_tbENKUlT_T0_SG_SL_E_clISA_SA_SB_SB_EEDaSZ_S10_SG_SL_EUlSZ_E_NS1_11comp_targetILNS1_3genE2ELNS1_11target_archE906ELNS1_3gpuE6ELNS1_3repE0EEENS1_47radix_sort_onesweep_sort_config_static_selectorELNS0_4arch9wavefront6targetE0EEEvSG_,@function
_ZN7rocprim17ROCPRIM_400000_NS6detail17trampoline_kernelINS0_14default_configENS1_35radix_sort_onesweep_config_selectorIsNS0_10empty_typeEEEZZNS1_29radix_sort_onesweep_iterationIS3_Lb0EPKsPsPS5_SB_mNS0_19identity_decomposerENS1_16block_id_wrapperIjLb0EEEEE10hipError_tT1_PNSt15iterator_traitsISG_E10value_typeET2_T3_PNSH_ISM_E10value_typeET4_T5_PSR_SS_PNS1_23onesweep_lookback_stateEbbT6_jjT7_P12ihipStream_tbENKUlT_T0_SG_SL_E_clISA_SA_SB_SB_EEDaSZ_S10_SG_SL_EUlSZ_E_NS1_11comp_targetILNS1_3genE2ELNS1_11target_archE906ELNS1_3gpuE6ELNS1_3repE0EEENS1_47radix_sort_onesweep_sort_config_static_selectorELNS0_4arch9wavefront6targetE0EEEvSG_: ; @_ZN7rocprim17ROCPRIM_400000_NS6detail17trampoline_kernelINS0_14default_configENS1_35radix_sort_onesweep_config_selectorIsNS0_10empty_typeEEEZZNS1_29radix_sort_onesweep_iterationIS3_Lb0EPKsPsPS5_SB_mNS0_19identity_decomposerENS1_16block_id_wrapperIjLb0EEEEE10hipError_tT1_PNSt15iterator_traitsISG_E10value_typeET2_T3_PNSH_ISM_E10value_typeET4_T5_PSR_SS_PNS1_23onesweep_lookback_stateEbbT6_jjT7_P12ihipStream_tbENKUlT_T0_SG_SL_E_clISA_SA_SB_SB_EEDaSZ_S10_SG_SL_EUlSZ_E_NS1_11comp_targetILNS1_3genE2ELNS1_11target_archE906ELNS1_3gpuE6ELNS1_3repE0EEENS1_47radix_sort_onesweep_sort_config_static_selectorELNS0_4arch9wavefront6targetE0EEEvSG_
; %bb.0:
	.section	.rodata,"a",@progbits
	.p2align	6, 0x0
	.amdhsa_kernel _ZN7rocprim17ROCPRIM_400000_NS6detail17trampoline_kernelINS0_14default_configENS1_35radix_sort_onesweep_config_selectorIsNS0_10empty_typeEEEZZNS1_29radix_sort_onesweep_iterationIS3_Lb0EPKsPsPS5_SB_mNS0_19identity_decomposerENS1_16block_id_wrapperIjLb0EEEEE10hipError_tT1_PNSt15iterator_traitsISG_E10value_typeET2_T3_PNSH_ISM_E10value_typeET4_T5_PSR_SS_PNS1_23onesweep_lookback_stateEbbT6_jjT7_P12ihipStream_tbENKUlT_T0_SG_SL_E_clISA_SA_SB_SB_EEDaSZ_S10_SG_SL_EUlSZ_E_NS1_11comp_targetILNS1_3genE2ELNS1_11target_archE906ELNS1_3gpuE6ELNS1_3repE0EEENS1_47radix_sort_onesweep_sort_config_static_selectorELNS0_4arch9wavefront6targetE0EEEvSG_
		.amdhsa_group_segment_fixed_size 0
		.amdhsa_private_segment_fixed_size 0
		.amdhsa_kernarg_size 88
		.amdhsa_user_sgpr_count 2
		.amdhsa_user_sgpr_dispatch_ptr 0
		.amdhsa_user_sgpr_queue_ptr 0
		.amdhsa_user_sgpr_kernarg_segment_ptr 1
		.amdhsa_user_sgpr_dispatch_id 0
		.amdhsa_user_sgpr_kernarg_preload_length 0
		.amdhsa_user_sgpr_kernarg_preload_offset 0
		.amdhsa_user_sgpr_private_segment_size 0
		.amdhsa_wavefront_size32 1
		.amdhsa_uses_dynamic_stack 0
		.amdhsa_enable_private_segment 0
		.amdhsa_system_sgpr_workgroup_id_x 1
		.amdhsa_system_sgpr_workgroup_id_y 0
		.amdhsa_system_sgpr_workgroup_id_z 0
		.amdhsa_system_sgpr_workgroup_info 0
		.amdhsa_system_vgpr_workitem_id 0
		.amdhsa_next_free_vgpr 1
		.amdhsa_next_free_sgpr 1
		.amdhsa_named_barrier_count 0
		.amdhsa_reserve_vcc 0
		.amdhsa_float_round_mode_32 0
		.amdhsa_float_round_mode_16_64 0
		.amdhsa_float_denorm_mode_32 3
		.amdhsa_float_denorm_mode_16_64 3
		.amdhsa_fp16_overflow 0
		.amdhsa_memory_ordered 1
		.amdhsa_forward_progress 1
		.amdhsa_inst_pref_size 0
		.amdhsa_round_robin_scheduling 0
		.amdhsa_exception_fp_ieee_invalid_op 0
		.amdhsa_exception_fp_denorm_src 0
		.amdhsa_exception_fp_ieee_div_zero 0
		.amdhsa_exception_fp_ieee_overflow 0
		.amdhsa_exception_fp_ieee_underflow 0
		.amdhsa_exception_fp_ieee_inexact 0
		.amdhsa_exception_int_div_zero 0
	.end_amdhsa_kernel
	.section	.text._ZN7rocprim17ROCPRIM_400000_NS6detail17trampoline_kernelINS0_14default_configENS1_35radix_sort_onesweep_config_selectorIsNS0_10empty_typeEEEZZNS1_29radix_sort_onesweep_iterationIS3_Lb0EPKsPsPS5_SB_mNS0_19identity_decomposerENS1_16block_id_wrapperIjLb0EEEEE10hipError_tT1_PNSt15iterator_traitsISG_E10value_typeET2_T3_PNSH_ISM_E10value_typeET4_T5_PSR_SS_PNS1_23onesweep_lookback_stateEbbT6_jjT7_P12ihipStream_tbENKUlT_T0_SG_SL_E_clISA_SA_SB_SB_EEDaSZ_S10_SG_SL_EUlSZ_E_NS1_11comp_targetILNS1_3genE2ELNS1_11target_archE906ELNS1_3gpuE6ELNS1_3repE0EEENS1_47radix_sort_onesweep_sort_config_static_selectorELNS0_4arch9wavefront6targetE0EEEvSG_,"axG",@progbits,_ZN7rocprim17ROCPRIM_400000_NS6detail17trampoline_kernelINS0_14default_configENS1_35radix_sort_onesweep_config_selectorIsNS0_10empty_typeEEEZZNS1_29radix_sort_onesweep_iterationIS3_Lb0EPKsPsPS5_SB_mNS0_19identity_decomposerENS1_16block_id_wrapperIjLb0EEEEE10hipError_tT1_PNSt15iterator_traitsISG_E10value_typeET2_T3_PNSH_ISM_E10value_typeET4_T5_PSR_SS_PNS1_23onesweep_lookback_stateEbbT6_jjT7_P12ihipStream_tbENKUlT_T0_SG_SL_E_clISA_SA_SB_SB_EEDaSZ_S10_SG_SL_EUlSZ_E_NS1_11comp_targetILNS1_3genE2ELNS1_11target_archE906ELNS1_3gpuE6ELNS1_3repE0EEENS1_47radix_sort_onesweep_sort_config_static_selectorELNS0_4arch9wavefront6targetE0EEEvSG_,comdat
.Lfunc_end743:
	.size	_ZN7rocprim17ROCPRIM_400000_NS6detail17trampoline_kernelINS0_14default_configENS1_35radix_sort_onesweep_config_selectorIsNS0_10empty_typeEEEZZNS1_29radix_sort_onesweep_iterationIS3_Lb0EPKsPsPS5_SB_mNS0_19identity_decomposerENS1_16block_id_wrapperIjLb0EEEEE10hipError_tT1_PNSt15iterator_traitsISG_E10value_typeET2_T3_PNSH_ISM_E10value_typeET4_T5_PSR_SS_PNS1_23onesweep_lookback_stateEbbT6_jjT7_P12ihipStream_tbENKUlT_T0_SG_SL_E_clISA_SA_SB_SB_EEDaSZ_S10_SG_SL_EUlSZ_E_NS1_11comp_targetILNS1_3genE2ELNS1_11target_archE906ELNS1_3gpuE6ELNS1_3repE0EEENS1_47radix_sort_onesweep_sort_config_static_selectorELNS0_4arch9wavefront6targetE0EEEvSG_, .Lfunc_end743-_ZN7rocprim17ROCPRIM_400000_NS6detail17trampoline_kernelINS0_14default_configENS1_35radix_sort_onesweep_config_selectorIsNS0_10empty_typeEEEZZNS1_29radix_sort_onesweep_iterationIS3_Lb0EPKsPsPS5_SB_mNS0_19identity_decomposerENS1_16block_id_wrapperIjLb0EEEEE10hipError_tT1_PNSt15iterator_traitsISG_E10value_typeET2_T3_PNSH_ISM_E10value_typeET4_T5_PSR_SS_PNS1_23onesweep_lookback_stateEbbT6_jjT7_P12ihipStream_tbENKUlT_T0_SG_SL_E_clISA_SA_SB_SB_EEDaSZ_S10_SG_SL_EUlSZ_E_NS1_11comp_targetILNS1_3genE2ELNS1_11target_archE906ELNS1_3gpuE6ELNS1_3repE0EEENS1_47radix_sort_onesweep_sort_config_static_selectorELNS0_4arch9wavefront6targetE0EEEvSG_
                                        ; -- End function
	.set _ZN7rocprim17ROCPRIM_400000_NS6detail17trampoline_kernelINS0_14default_configENS1_35radix_sort_onesweep_config_selectorIsNS0_10empty_typeEEEZZNS1_29radix_sort_onesweep_iterationIS3_Lb0EPKsPsPS5_SB_mNS0_19identity_decomposerENS1_16block_id_wrapperIjLb0EEEEE10hipError_tT1_PNSt15iterator_traitsISG_E10value_typeET2_T3_PNSH_ISM_E10value_typeET4_T5_PSR_SS_PNS1_23onesweep_lookback_stateEbbT6_jjT7_P12ihipStream_tbENKUlT_T0_SG_SL_E_clISA_SA_SB_SB_EEDaSZ_S10_SG_SL_EUlSZ_E_NS1_11comp_targetILNS1_3genE2ELNS1_11target_archE906ELNS1_3gpuE6ELNS1_3repE0EEENS1_47radix_sort_onesweep_sort_config_static_selectorELNS0_4arch9wavefront6targetE0EEEvSG_.num_vgpr, 0
	.set _ZN7rocprim17ROCPRIM_400000_NS6detail17trampoline_kernelINS0_14default_configENS1_35radix_sort_onesweep_config_selectorIsNS0_10empty_typeEEEZZNS1_29radix_sort_onesweep_iterationIS3_Lb0EPKsPsPS5_SB_mNS0_19identity_decomposerENS1_16block_id_wrapperIjLb0EEEEE10hipError_tT1_PNSt15iterator_traitsISG_E10value_typeET2_T3_PNSH_ISM_E10value_typeET4_T5_PSR_SS_PNS1_23onesweep_lookback_stateEbbT6_jjT7_P12ihipStream_tbENKUlT_T0_SG_SL_E_clISA_SA_SB_SB_EEDaSZ_S10_SG_SL_EUlSZ_E_NS1_11comp_targetILNS1_3genE2ELNS1_11target_archE906ELNS1_3gpuE6ELNS1_3repE0EEENS1_47radix_sort_onesweep_sort_config_static_selectorELNS0_4arch9wavefront6targetE0EEEvSG_.num_agpr, 0
	.set _ZN7rocprim17ROCPRIM_400000_NS6detail17trampoline_kernelINS0_14default_configENS1_35radix_sort_onesweep_config_selectorIsNS0_10empty_typeEEEZZNS1_29radix_sort_onesweep_iterationIS3_Lb0EPKsPsPS5_SB_mNS0_19identity_decomposerENS1_16block_id_wrapperIjLb0EEEEE10hipError_tT1_PNSt15iterator_traitsISG_E10value_typeET2_T3_PNSH_ISM_E10value_typeET4_T5_PSR_SS_PNS1_23onesweep_lookback_stateEbbT6_jjT7_P12ihipStream_tbENKUlT_T0_SG_SL_E_clISA_SA_SB_SB_EEDaSZ_S10_SG_SL_EUlSZ_E_NS1_11comp_targetILNS1_3genE2ELNS1_11target_archE906ELNS1_3gpuE6ELNS1_3repE0EEENS1_47radix_sort_onesweep_sort_config_static_selectorELNS0_4arch9wavefront6targetE0EEEvSG_.numbered_sgpr, 0
	.set _ZN7rocprim17ROCPRIM_400000_NS6detail17trampoline_kernelINS0_14default_configENS1_35radix_sort_onesweep_config_selectorIsNS0_10empty_typeEEEZZNS1_29radix_sort_onesweep_iterationIS3_Lb0EPKsPsPS5_SB_mNS0_19identity_decomposerENS1_16block_id_wrapperIjLb0EEEEE10hipError_tT1_PNSt15iterator_traitsISG_E10value_typeET2_T3_PNSH_ISM_E10value_typeET4_T5_PSR_SS_PNS1_23onesweep_lookback_stateEbbT6_jjT7_P12ihipStream_tbENKUlT_T0_SG_SL_E_clISA_SA_SB_SB_EEDaSZ_S10_SG_SL_EUlSZ_E_NS1_11comp_targetILNS1_3genE2ELNS1_11target_archE906ELNS1_3gpuE6ELNS1_3repE0EEENS1_47radix_sort_onesweep_sort_config_static_selectorELNS0_4arch9wavefront6targetE0EEEvSG_.num_named_barrier, 0
	.set _ZN7rocprim17ROCPRIM_400000_NS6detail17trampoline_kernelINS0_14default_configENS1_35radix_sort_onesweep_config_selectorIsNS0_10empty_typeEEEZZNS1_29radix_sort_onesweep_iterationIS3_Lb0EPKsPsPS5_SB_mNS0_19identity_decomposerENS1_16block_id_wrapperIjLb0EEEEE10hipError_tT1_PNSt15iterator_traitsISG_E10value_typeET2_T3_PNSH_ISM_E10value_typeET4_T5_PSR_SS_PNS1_23onesweep_lookback_stateEbbT6_jjT7_P12ihipStream_tbENKUlT_T0_SG_SL_E_clISA_SA_SB_SB_EEDaSZ_S10_SG_SL_EUlSZ_E_NS1_11comp_targetILNS1_3genE2ELNS1_11target_archE906ELNS1_3gpuE6ELNS1_3repE0EEENS1_47radix_sort_onesweep_sort_config_static_selectorELNS0_4arch9wavefront6targetE0EEEvSG_.private_seg_size, 0
	.set _ZN7rocprim17ROCPRIM_400000_NS6detail17trampoline_kernelINS0_14default_configENS1_35radix_sort_onesweep_config_selectorIsNS0_10empty_typeEEEZZNS1_29radix_sort_onesweep_iterationIS3_Lb0EPKsPsPS5_SB_mNS0_19identity_decomposerENS1_16block_id_wrapperIjLb0EEEEE10hipError_tT1_PNSt15iterator_traitsISG_E10value_typeET2_T3_PNSH_ISM_E10value_typeET4_T5_PSR_SS_PNS1_23onesweep_lookback_stateEbbT6_jjT7_P12ihipStream_tbENKUlT_T0_SG_SL_E_clISA_SA_SB_SB_EEDaSZ_S10_SG_SL_EUlSZ_E_NS1_11comp_targetILNS1_3genE2ELNS1_11target_archE906ELNS1_3gpuE6ELNS1_3repE0EEENS1_47radix_sort_onesweep_sort_config_static_selectorELNS0_4arch9wavefront6targetE0EEEvSG_.uses_vcc, 0
	.set _ZN7rocprim17ROCPRIM_400000_NS6detail17trampoline_kernelINS0_14default_configENS1_35radix_sort_onesweep_config_selectorIsNS0_10empty_typeEEEZZNS1_29radix_sort_onesweep_iterationIS3_Lb0EPKsPsPS5_SB_mNS0_19identity_decomposerENS1_16block_id_wrapperIjLb0EEEEE10hipError_tT1_PNSt15iterator_traitsISG_E10value_typeET2_T3_PNSH_ISM_E10value_typeET4_T5_PSR_SS_PNS1_23onesweep_lookback_stateEbbT6_jjT7_P12ihipStream_tbENKUlT_T0_SG_SL_E_clISA_SA_SB_SB_EEDaSZ_S10_SG_SL_EUlSZ_E_NS1_11comp_targetILNS1_3genE2ELNS1_11target_archE906ELNS1_3gpuE6ELNS1_3repE0EEENS1_47radix_sort_onesweep_sort_config_static_selectorELNS0_4arch9wavefront6targetE0EEEvSG_.uses_flat_scratch, 0
	.set _ZN7rocprim17ROCPRIM_400000_NS6detail17trampoline_kernelINS0_14default_configENS1_35radix_sort_onesweep_config_selectorIsNS0_10empty_typeEEEZZNS1_29radix_sort_onesweep_iterationIS3_Lb0EPKsPsPS5_SB_mNS0_19identity_decomposerENS1_16block_id_wrapperIjLb0EEEEE10hipError_tT1_PNSt15iterator_traitsISG_E10value_typeET2_T3_PNSH_ISM_E10value_typeET4_T5_PSR_SS_PNS1_23onesweep_lookback_stateEbbT6_jjT7_P12ihipStream_tbENKUlT_T0_SG_SL_E_clISA_SA_SB_SB_EEDaSZ_S10_SG_SL_EUlSZ_E_NS1_11comp_targetILNS1_3genE2ELNS1_11target_archE906ELNS1_3gpuE6ELNS1_3repE0EEENS1_47radix_sort_onesweep_sort_config_static_selectorELNS0_4arch9wavefront6targetE0EEEvSG_.has_dyn_sized_stack, 0
	.set _ZN7rocprim17ROCPRIM_400000_NS6detail17trampoline_kernelINS0_14default_configENS1_35radix_sort_onesweep_config_selectorIsNS0_10empty_typeEEEZZNS1_29radix_sort_onesweep_iterationIS3_Lb0EPKsPsPS5_SB_mNS0_19identity_decomposerENS1_16block_id_wrapperIjLb0EEEEE10hipError_tT1_PNSt15iterator_traitsISG_E10value_typeET2_T3_PNSH_ISM_E10value_typeET4_T5_PSR_SS_PNS1_23onesweep_lookback_stateEbbT6_jjT7_P12ihipStream_tbENKUlT_T0_SG_SL_E_clISA_SA_SB_SB_EEDaSZ_S10_SG_SL_EUlSZ_E_NS1_11comp_targetILNS1_3genE2ELNS1_11target_archE906ELNS1_3gpuE6ELNS1_3repE0EEENS1_47radix_sort_onesweep_sort_config_static_selectorELNS0_4arch9wavefront6targetE0EEEvSG_.has_recursion, 0
	.set _ZN7rocprim17ROCPRIM_400000_NS6detail17trampoline_kernelINS0_14default_configENS1_35radix_sort_onesweep_config_selectorIsNS0_10empty_typeEEEZZNS1_29radix_sort_onesweep_iterationIS3_Lb0EPKsPsPS5_SB_mNS0_19identity_decomposerENS1_16block_id_wrapperIjLb0EEEEE10hipError_tT1_PNSt15iterator_traitsISG_E10value_typeET2_T3_PNSH_ISM_E10value_typeET4_T5_PSR_SS_PNS1_23onesweep_lookback_stateEbbT6_jjT7_P12ihipStream_tbENKUlT_T0_SG_SL_E_clISA_SA_SB_SB_EEDaSZ_S10_SG_SL_EUlSZ_E_NS1_11comp_targetILNS1_3genE2ELNS1_11target_archE906ELNS1_3gpuE6ELNS1_3repE0EEENS1_47radix_sort_onesweep_sort_config_static_selectorELNS0_4arch9wavefront6targetE0EEEvSG_.has_indirect_call, 0
	.section	.AMDGPU.csdata,"",@progbits
; Kernel info:
; codeLenInByte = 0
; TotalNumSgprs: 0
; NumVgprs: 0
; ScratchSize: 0
; MemoryBound: 0
; FloatMode: 240
; IeeeMode: 1
; LDSByteSize: 0 bytes/workgroup (compile time only)
; SGPRBlocks: 0
; VGPRBlocks: 0
; NumSGPRsForWavesPerEU: 1
; NumVGPRsForWavesPerEU: 1
; NamedBarCnt: 0
; Occupancy: 16
; WaveLimiterHint : 0
; COMPUTE_PGM_RSRC2:SCRATCH_EN: 0
; COMPUTE_PGM_RSRC2:USER_SGPR: 2
; COMPUTE_PGM_RSRC2:TRAP_HANDLER: 0
; COMPUTE_PGM_RSRC2:TGID_X_EN: 1
; COMPUTE_PGM_RSRC2:TGID_Y_EN: 0
; COMPUTE_PGM_RSRC2:TGID_Z_EN: 0
; COMPUTE_PGM_RSRC2:TIDIG_COMP_CNT: 0
	.section	.text._ZN7rocprim17ROCPRIM_400000_NS6detail17trampoline_kernelINS0_14default_configENS1_35radix_sort_onesweep_config_selectorIsNS0_10empty_typeEEEZZNS1_29radix_sort_onesweep_iterationIS3_Lb0EPKsPsPS5_SB_mNS0_19identity_decomposerENS1_16block_id_wrapperIjLb0EEEEE10hipError_tT1_PNSt15iterator_traitsISG_E10value_typeET2_T3_PNSH_ISM_E10value_typeET4_T5_PSR_SS_PNS1_23onesweep_lookback_stateEbbT6_jjT7_P12ihipStream_tbENKUlT_T0_SG_SL_E_clISA_SA_SB_SB_EEDaSZ_S10_SG_SL_EUlSZ_E_NS1_11comp_targetILNS1_3genE4ELNS1_11target_archE910ELNS1_3gpuE8ELNS1_3repE0EEENS1_47radix_sort_onesweep_sort_config_static_selectorELNS0_4arch9wavefront6targetE0EEEvSG_,"axG",@progbits,_ZN7rocprim17ROCPRIM_400000_NS6detail17trampoline_kernelINS0_14default_configENS1_35radix_sort_onesweep_config_selectorIsNS0_10empty_typeEEEZZNS1_29radix_sort_onesweep_iterationIS3_Lb0EPKsPsPS5_SB_mNS0_19identity_decomposerENS1_16block_id_wrapperIjLb0EEEEE10hipError_tT1_PNSt15iterator_traitsISG_E10value_typeET2_T3_PNSH_ISM_E10value_typeET4_T5_PSR_SS_PNS1_23onesweep_lookback_stateEbbT6_jjT7_P12ihipStream_tbENKUlT_T0_SG_SL_E_clISA_SA_SB_SB_EEDaSZ_S10_SG_SL_EUlSZ_E_NS1_11comp_targetILNS1_3genE4ELNS1_11target_archE910ELNS1_3gpuE8ELNS1_3repE0EEENS1_47radix_sort_onesweep_sort_config_static_selectorELNS0_4arch9wavefront6targetE0EEEvSG_,comdat
	.protected	_ZN7rocprim17ROCPRIM_400000_NS6detail17trampoline_kernelINS0_14default_configENS1_35radix_sort_onesweep_config_selectorIsNS0_10empty_typeEEEZZNS1_29radix_sort_onesweep_iterationIS3_Lb0EPKsPsPS5_SB_mNS0_19identity_decomposerENS1_16block_id_wrapperIjLb0EEEEE10hipError_tT1_PNSt15iterator_traitsISG_E10value_typeET2_T3_PNSH_ISM_E10value_typeET4_T5_PSR_SS_PNS1_23onesweep_lookback_stateEbbT6_jjT7_P12ihipStream_tbENKUlT_T0_SG_SL_E_clISA_SA_SB_SB_EEDaSZ_S10_SG_SL_EUlSZ_E_NS1_11comp_targetILNS1_3genE4ELNS1_11target_archE910ELNS1_3gpuE8ELNS1_3repE0EEENS1_47radix_sort_onesweep_sort_config_static_selectorELNS0_4arch9wavefront6targetE0EEEvSG_ ; -- Begin function _ZN7rocprim17ROCPRIM_400000_NS6detail17trampoline_kernelINS0_14default_configENS1_35radix_sort_onesweep_config_selectorIsNS0_10empty_typeEEEZZNS1_29radix_sort_onesweep_iterationIS3_Lb0EPKsPsPS5_SB_mNS0_19identity_decomposerENS1_16block_id_wrapperIjLb0EEEEE10hipError_tT1_PNSt15iterator_traitsISG_E10value_typeET2_T3_PNSH_ISM_E10value_typeET4_T5_PSR_SS_PNS1_23onesweep_lookback_stateEbbT6_jjT7_P12ihipStream_tbENKUlT_T0_SG_SL_E_clISA_SA_SB_SB_EEDaSZ_S10_SG_SL_EUlSZ_E_NS1_11comp_targetILNS1_3genE4ELNS1_11target_archE910ELNS1_3gpuE8ELNS1_3repE0EEENS1_47radix_sort_onesweep_sort_config_static_selectorELNS0_4arch9wavefront6targetE0EEEvSG_
	.globl	_ZN7rocprim17ROCPRIM_400000_NS6detail17trampoline_kernelINS0_14default_configENS1_35radix_sort_onesweep_config_selectorIsNS0_10empty_typeEEEZZNS1_29radix_sort_onesweep_iterationIS3_Lb0EPKsPsPS5_SB_mNS0_19identity_decomposerENS1_16block_id_wrapperIjLb0EEEEE10hipError_tT1_PNSt15iterator_traitsISG_E10value_typeET2_T3_PNSH_ISM_E10value_typeET4_T5_PSR_SS_PNS1_23onesweep_lookback_stateEbbT6_jjT7_P12ihipStream_tbENKUlT_T0_SG_SL_E_clISA_SA_SB_SB_EEDaSZ_S10_SG_SL_EUlSZ_E_NS1_11comp_targetILNS1_3genE4ELNS1_11target_archE910ELNS1_3gpuE8ELNS1_3repE0EEENS1_47radix_sort_onesweep_sort_config_static_selectorELNS0_4arch9wavefront6targetE0EEEvSG_
	.p2align	8
	.type	_ZN7rocprim17ROCPRIM_400000_NS6detail17trampoline_kernelINS0_14default_configENS1_35radix_sort_onesweep_config_selectorIsNS0_10empty_typeEEEZZNS1_29radix_sort_onesweep_iterationIS3_Lb0EPKsPsPS5_SB_mNS0_19identity_decomposerENS1_16block_id_wrapperIjLb0EEEEE10hipError_tT1_PNSt15iterator_traitsISG_E10value_typeET2_T3_PNSH_ISM_E10value_typeET4_T5_PSR_SS_PNS1_23onesweep_lookback_stateEbbT6_jjT7_P12ihipStream_tbENKUlT_T0_SG_SL_E_clISA_SA_SB_SB_EEDaSZ_S10_SG_SL_EUlSZ_E_NS1_11comp_targetILNS1_3genE4ELNS1_11target_archE910ELNS1_3gpuE8ELNS1_3repE0EEENS1_47radix_sort_onesweep_sort_config_static_selectorELNS0_4arch9wavefront6targetE0EEEvSG_,@function
_ZN7rocprim17ROCPRIM_400000_NS6detail17trampoline_kernelINS0_14default_configENS1_35radix_sort_onesweep_config_selectorIsNS0_10empty_typeEEEZZNS1_29radix_sort_onesweep_iterationIS3_Lb0EPKsPsPS5_SB_mNS0_19identity_decomposerENS1_16block_id_wrapperIjLb0EEEEE10hipError_tT1_PNSt15iterator_traitsISG_E10value_typeET2_T3_PNSH_ISM_E10value_typeET4_T5_PSR_SS_PNS1_23onesweep_lookback_stateEbbT6_jjT7_P12ihipStream_tbENKUlT_T0_SG_SL_E_clISA_SA_SB_SB_EEDaSZ_S10_SG_SL_EUlSZ_E_NS1_11comp_targetILNS1_3genE4ELNS1_11target_archE910ELNS1_3gpuE8ELNS1_3repE0EEENS1_47radix_sort_onesweep_sort_config_static_selectorELNS0_4arch9wavefront6targetE0EEEvSG_: ; @_ZN7rocprim17ROCPRIM_400000_NS6detail17trampoline_kernelINS0_14default_configENS1_35radix_sort_onesweep_config_selectorIsNS0_10empty_typeEEEZZNS1_29radix_sort_onesweep_iterationIS3_Lb0EPKsPsPS5_SB_mNS0_19identity_decomposerENS1_16block_id_wrapperIjLb0EEEEE10hipError_tT1_PNSt15iterator_traitsISG_E10value_typeET2_T3_PNSH_ISM_E10value_typeET4_T5_PSR_SS_PNS1_23onesweep_lookback_stateEbbT6_jjT7_P12ihipStream_tbENKUlT_T0_SG_SL_E_clISA_SA_SB_SB_EEDaSZ_S10_SG_SL_EUlSZ_E_NS1_11comp_targetILNS1_3genE4ELNS1_11target_archE910ELNS1_3gpuE8ELNS1_3repE0EEENS1_47radix_sort_onesweep_sort_config_static_selectorELNS0_4arch9wavefront6targetE0EEEvSG_
; %bb.0:
	.section	.rodata,"a",@progbits
	.p2align	6, 0x0
	.amdhsa_kernel _ZN7rocprim17ROCPRIM_400000_NS6detail17trampoline_kernelINS0_14default_configENS1_35radix_sort_onesweep_config_selectorIsNS0_10empty_typeEEEZZNS1_29radix_sort_onesweep_iterationIS3_Lb0EPKsPsPS5_SB_mNS0_19identity_decomposerENS1_16block_id_wrapperIjLb0EEEEE10hipError_tT1_PNSt15iterator_traitsISG_E10value_typeET2_T3_PNSH_ISM_E10value_typeET4_T5_PSR_SS_PNS1_23onesweep_lookback_stateEbbT6_jjT7_P12ihipStream_tbENKUlT_T0_SG_SL_E_clISA_SA_SB_SB_EEDaSZ_S10_SG_SL_EUlSZ_E_NS1_11comp_targetILNS1_3genE4ELNS1_11target_archE910ELNS1_3gpuE8ELNS1_3repE0EEENS1_47radix_sort_onesweep_sort_config_static_selectorELNS0_4arch9wavefront6targetE0EEEvSG_
		.amdhsa_group_segment_fixed_size 0
		.amdhsa_private_segment_fixed_size 0
		.amdhsa_kernarg_size 88
		.amdhsa_user_sgpr_count 2
		.amdhsa_user_sgpr_dispatch_ptr 0
		.amdhsa_user_sgpr_queue_ptr 0
		.amdhsa_user_sgpr_kernarg_segment_ptr 1
		.amdhsa_user_sgpr_dispatch_id 0
		.amdhsa_user_sgpr_kernarg_preload_length 0
		.amdhsa_user_sgpr_kernarg_preload_offset 0
		.amdhsa_user_sgpr_private_segment_size 0
		.amdhsa_wavefront_size32 1
		.amdhsa_uses_dynamic_stack 0
		.amdhsa_enable_private_segment 0
		.amdhsa_system_sgpr_workgroup_id_x 1
		.amdhsa_system_sgpr_workgroup_id_y 0
		.amdhsa_system_sgpr_workgroup_id_z 0
		.amdhsa_system_sgpr_workgroup_info 0
		.amdhsa_system_vgpr_workitem_id 0
		.amdhsa_next_free_vgpr 1
		.amdhsa_next_free_sgpr 1
		.amdhsa_named_barrier_count 0
		.amdhsa_reserve_vcc 0
		.amdhsa_float_round_mode_32 0
		.amdhsa_float_round_mode_16_64 0
		.amdhsa_float_denorm_mode_32 3
		.amdhsa_float_denorm_mode_16_64 3
		.amdhsa_fp16_overflow 0
		.amdhsa_memory_ordered 1
		.amdhsa_forward_progress 1
		.amdhsa_inst_pref_size 0
		.amdhsa_round_robin_scheduling 0
		.amdhsa_exception_fp_ieee_invalid_op 0
		.amdhsa_exception_fp_denorm_src 0
		.amdhsa_exception_fp_ieee_div_zero 0
		.amdhsa_exception_fp_ieee_overflow 0
		.amdhsa_exception_fp_ieee_underflow 0
		.amdhsa_exception_fp_ieee_inexact 0
		.amdhsa_exception_int_div_zero 0
	.end_amdhsa_kernel
	.section	.text._ZN7rocprim17ROCPRIM_400000_NS6detail17trampoline_kernelINS0_14default_configENS1_35radix_sort_onesweep_config_selectorIsNS0_10empty_typeEEEZZNS1_29radix_sort_onesweep_iterationIS3_Lb0EPKsPsPS5_SB_mNS0_19identity_decomposerENS1_16block_id_wrapperIjLb0EEEEE10hipError_tT1_PNSt15iterator_traitsISG_E10value_typeET2_T3_PNSH_ISM_E10value_typeET4_T5_PSR_SS_PNS1_23onesweep_lookback_stateEbbT6_jjT7_P12ihipStream_tbENKUlT_T0_SG_SL_E_clISA_SA_SB_SB_EEDaSZ_S10_SG_SL_EUlSZ_E_NS1_11comp_targetILNS1_3genE4ELNS1_11target_archE910ELNS1_3gpuE8ELNS1_3repE0EEENS1_47radix_sort_onesweep_sort_config_static_selectorELNS0_4arch9wavefront6targetE0EEEvSG_,"axG",@progbits,_ZN7rocprim17ROCPRIM_400000_NS6detail17trampoline_kernelINS0_14default_configENS1_35radix_sort_onesweep_config_selectorIsNS0_10empty_typeEEEZZNS1_29radix_sort_onesweep_iterationIS3_Lb0EPKsPsPS5_SB_mNS0_19identity_decomposerENS1_16block_id_wrapperIjLb0EEEEE10hipError_tT1_PNSt15iterator_traitsISG_E10value_typeET2_T3_PNSH_ISM_E10value_typeET4_T5_PSR_SS_PNS1_23onesweep_lookback_stateEbbT6_jjT7_P12ihipStream_tbENKUlT_T0_SG_SL_E_clISA_SA_SB_SB_EEDaSZ_S10_SG_SL_EUlSZ_E_NS1_11comp_targetILNS1_3genE4ELNS1_11target_archE910ELNS1_3gpuE8ELNS1_3repE0EEENS1_47radix_sort_onesweep_sort_config_static_selectorELNS0_4arch9wavefront6targetE0EEEvSG_,comdat
.Lfunc_end744:
	.size	_ZN7rocprim17ROCPRIM_400000_NS6detail17trampoline_kernelINS0_14default_configENS1_35radix_sort_onesweep_config_selectorIsNS0_10empty_typeEEEZZNS1_29radix_sort_onesweep_iterationIS3_Lb0EPKsPsPS5_SB_mNS0_19identity_decomposerENS1_16block_id_wrapperIjLb0EEEEE10hipError_tT1_PNSt15iterator_traitsISG_E10value_typeET2_T3_PNSH_ISM_E10value_typeET4_T5_PSR_SS_PNS1_23onesweep_lookback_stateEbbT6_jjT7_P12ihipStream_tbENKUlT_T0_SG_SL_E_clISA_SA_SB_SB_EEDaSZ_S10_SG_SL_EUlSZ_E_NS1_11comp_targetILNS1_3genE4ELNS1_11target_archE910ELNS1_3gpuE8ELNS1_3repE0EEENS1_47radix_sort_onesweep_sort_config_static_selectorELNS0_4arch9wavefront6targetE0EEEvSG_, .Lfunc_end744-_ZN7rocprim17ROCPRIM_400000_NS6detail17trampoline_kernelINS0_14default_configENS1_35radix_sort_onesweep_config_selectorIsNS0_10empty_typeEEEZZNS1_29radix_sort_onesweep_iterationIS3_Lb0EPKsPsPS5_SB_mNS0_19identity_decomposerENS1_16block_id_wrapperIjLb0EEEEE10hipError_tT1_PNSt15iterator_traitsISG_E10value_typeET2_T3_PNSH_ISM_E10value_typeET4_T5_PSR_SS_PNS1_23onesweep_lookback_stateEbbT6_jjT7_P12ihipStream_tbENKUlT_T0_SG_SL_E_clISA_SA_SB_SB_EEDaSZ_S10_SG_SL_EUlSZ_E_NS1_11comp_targetILNS1_3genE4ELNS1_11target_archE910ELNS1_3gpuE8ELNS1_3repE0EEENS1_47radix_sort_onesweep_sort_config_static_selectorELNS0_4arch9wavefront6targetE0EEEvSG_
                                        ; -- End function
	.set _ZN7rocprim17ROCPRIM_400000_NS6detail17trampoline_kernelINS0_14default_configENS1_35radix_sort_onesweep_config_selectorIsNS0_10empty_typeEEEZZNS1_29radix_sort_onesweep_iterationIS3_Lb0EPKsPsPS5_SB_mNS0_19identity_decomposerENS1_16block_id_wrapperIjLb0EEEEE10hipError_tT1_PNSt15iterator_traitsISG_E10value_typeET2_T3_PNSH_ISM_E10value_typeET4_T5_PSR_SS_PNS1_23onesweep_lookback_stateEbbT6_jjT7_P12ihipStream_tbENKUlT_T0_SG_SL_E_clISA_SA_SB_SB_EEDaSZ_S10_SG_SL_EUlSZ_E_NS1_11comp_targetILNS1_3genE4ELNS1_11target_archE910ELNS1_3gpuE8ELNS1_3repE0EEENS1_47radix_sort_onesweep_sort_config_static_selectorELNS0_4arch9wavefront6targetE0EEEvSG_.num_vgpr, 0
	.set _ZN7rocprim17ROCPRIM_400000_NS6detail17trampoline_kernelINS0_14default_configENS1_35radix_sort_onesweep_config_selectorIsNS0_10empty_typeEEEZZNS1_29radix_sort_onesweep_iterationIS3_Lb0EPKsPsPS5_SB_mNS0_19identity_decomposerENS1_16block_id_wrapperIjLb0EEEEE10hipError_tT1_PNSt15iterator_traitsISG_E10value_typeET2_T3_PNSH_ISM_E10value_typeET4_T5_PSR_SS_PNS1_23onesweep_lookback_stateEbbT6_jjT7_P12ihipStream_tbENKUlT_T0_SG_SL_E_clISA_SA_SB_SB_EEDaSZ_S10_SG_SL_EUlSZ_E_NS1_11comp_targetILNS1_3genE4ELNS1_11target_archE910ELNS1_3gpuE8ELNS1_3repE0EEENS1_47radix_sort_onesweep_sort_config_static_selectorELNS0_4arch9wavefront6targetE0EEEvSG_.num_agpr, 0
	.set _ZN7rocprim17ROCPRIM_400000_NS6detail17trampoline_kernelINS0_14default_configENS1_35radix_sort_onesweep_config_selectorIsNS0_10empty_typeEEEZZNS1_29radix_sort_onesweep_iterationIS3_Lb0EPKsPsPS5_SB_mNS0_19identity_decomposerENS1_16block_id_wrapperIjLb0EEEEE10hipError_tT1_PNSt15iterator_traitsISG_E10value_typeET2_T3_PNSH_ISM_E10value_typeET4_T5_PSR_SS_PNS1_23onesweep_lookback_stateEbbT6_jjT7_P12ihipStream_tbENKUlT_T0_SG_SL_E_clISA_SA_SB_SB_EEDaSZ_S10_SG_SL_EUlSZ_E_NS1_11comp_targetILNS1_3genE4ELNS1_11target_archE910ELNS1_3gpuE8ELNS1_3repE0EEENS1_47radix_sort_onesweep_sort_config_static_selectorELNS0_4arch9wavefront6targetE0EEEvSG_.numbered_sgpr, 0
	.set _ZN7rocprim17ROCPRIM_400000_NS6detail17trampoline_kernelINS0_14default_configENS1_35radix_sort_onesweep_config_selectorIsNS0_10empty_typeEEEZZNS1_29radix_sort_onesweep_iterationIS3_Lb0EPKsPsPS5_SB_mNS0_19identity_decomposerENS1_16block_id_wrapperIjLb0EEEEE10hipError_tT1_PNSt15iterator_traitsISG_E10value_typeET2_T3_PNSH_ISM_E10value_typeET4_T5_PSR_SS_PNS1_23onesweep_lookback_stateEbbT6_jjT7_P12ihipStream_tbENKUlT_T0_SG_SL_E_clISA_SA_SB_SB_EEDaSZ_S10_SG_SL_EUlSZ_E_NS1_11comp_targetILNS1_3genE4ELNS1_11target_archE910ELNS1_3gpuE8ELNS1_3repE0EEENS1_47radix_sort_onesweep_sort_config_static_selectorELNS0_4arch9wavefront6targetE0EEEvSG_.num_named_barrier, 0
	.set _ZN7rocprim17ROCPRIM_400000_NS6detail17trampoline_kernelINS0_14default_configENS1_35radix_sort_onesweep_config_selectorIsNS0_10empty_typeEEEZZNS1_29radix_sort_onesweep_iterationIS3_Lb0EPKsPsPS5_SB_mNS0_19identity_decomposerENS1_16block_id_wrapperIjLb0EEEEE10hipError_tT1_PNSt15iterator_traitsISG_E10value_typeET2_T3_PNSH_ISM_E10value_typeET4_T5_PSR_SS_PNS1_23onesweep_lookback_stateEbbT6_jjT7_P12ihipStream_tbENKUlT_T0_SG_SL_E_clISA_SA_SB_SB_EEDaSZ_S10_SG_SL_EUlSZ_E_NS1_11comp_targetILNS1_3genE4ELNS1_11target_archE910ELNS1_3gpuE8ELNS1_3repE0EEENS1_47radix_sort_onesweep_sort_config_static_selectorELNS0_4arch9wavefront6targetE0EEEvSG_.private_seg_size, 0
	.set _ZN7rocprim17ROCPRIM_400000_NS6detail17trampoline_kernelINS0_14default_configENS1_35radix_sort_onesweep_config_selectorIsNS0_10empty_typeEEEZZNS1_29radix_sort_onesweep_iterationIS3_Lb0EPKsPsPS5_SB_mNS0_19identity_decomposerENS1_16block_id_wrapperIjLb0EEEEE10hipError_tT1_PNSt15iterator_traitsISG_E10value_typeET2_T3_PNSH_ISM_E10value_typeET4_T5_PSR_SS_PNS1_23onesweep_lookback_stateEbbT6_jjT7_P12ihipStream_tbENKUlT_T0_SG_SL_E_clISA_SA_SB_SB_EEDaSZ_S10_SG_SL_EUlSZ_E_NS1_11comp_targetILNS1_3genE4ELNS1_11target_archE910ELNS1_3gpuE8ELNS1_3repE0EEENS1_47radix_sort_onesweep_sort_config_static_selectorELNS0_4arch9wavefront6targetE0EEEvSG_.uses_vcc, 0
	.set _ZN7rocprim17ROCPRIM_400000_NS6detail17trampoline_kernelINS0_14default_configENS1_35radix_sort_onesweep_config_selectorIsNS0_10empty_typeEEEZZNS1_29radix_sort_onesweep_iterationIS3_Lb0EPKsPsPS5_SB_mNS0_19identity_decomposerENS1_16block_id_wrapperIjLb0EEEEE10hipError_tT1_PNSt15iterator_traitsISG_E10value_typeET2_T3_PNSH_ISM_E10value_typeET4_T5_PSR_SS_PNS1_23onesweep_lookback_stateEbbT6_jjT7_P12ihipStream_tbENKUlT_T0_SG_SL_E_clISA_SA_SB_SB_EEDaSZ_S10_SG_SL_EUlSZ_E_NS1_11comp_targetILNS1_3genE4ELNS1_11target_archE910ELNS1_3gpuE8ELNS1_3repE0EEENS1_47radix_sort_onesweep_sort_config_static_selectorELNS0_4arch9wavefront6targetE0EEEvSG_.uses_flat_scratch, 0
	.set _ZN7rocprim17ROCPRIM_400000_NS6detail17trampoline_kernelINS0_14default_configENS1_35radix_sort_onesweep_config_selectorIsNS0_10empty_typeEEEZZNS1_29radix_sort_onesweep_iterationIS3_Lb0EPKsPsPS5_SB_mNS0_19identity_decomposerENS1_16block_id_wrapperIjLb0EEEEE10hipError_tT1_PNSt15iterator_traitsISG_E10value_typeET2_T3_PNSH_ISM_E10value_typeET4_T5_PSR_SS_PNS1_23onesweep_lookback_stateEbbT6_jjT7_P12ihipStream_tbENKUlT_T0_SG_SL_E_clISA_SA_SB_SB_EEDaSZ_S10_SG_SL_EUlSZ_E_NS1_11comp_targetILNS1_3genE4ELNS1_11target_archE910ELNS1_3gpuE8ELNS1_3repE0EEENS1_47radix_sort_onesweep_sort_config_static_selectorELNS0_4arch9wavefront6targetE0EEEvSG_.has_dyn_sized_stack, 0
	.set _ZN7rocprim17ROCPRIM_400000_NS6detail17trampoline_kernelINS0_14default_configENS1_35radix_sort_onesweep_config_selectorIsNS0_10empty_typeEEEZZNS1_29radix_sort_onesweep_iterationIS3_Lb0EPKsPsPS5_SB_mNS0_19identity_decomposerENS1_16block_id_wrapperIjLb0EEEEE10hipError_tT1_PNSt15iterator_traitsISG_E10value_typeET2_T3_PNSH_ISM_E10value_typeET4_T5_PSR_SS_PNS1_23onesweep_lookback_stateEbbT6_jjT7_P12ihipStream_tbENKUlT_T0_SG_SL_E_clISA_SA_SB_SB_EEDaSZ_S10_SG_SL_EUlSZ_E_NS1_11comp_targetILNS1_3genE4ELNS1_11target_archE910ELNS1_3gpuE8ELNS1_3repE0EEENS1_47radix_sort_onesweep_sort_config_static_selectorELNS0_4arch9wavefront6targetE0EEEvSG_.has_recursion, 0
	.set _ZN7rocprim17ROCPRIM_400000_NS6detail17trampoline_kernelINS0_14default_configENS1_35radix_sort_onesweep_config_selectorIsNS0_10empty_typeEEEZZNS1_29radix_sort_onesweep_iterationIS3_Lb0EPKsPsPS5_SB_mNS0_19identity_decomposerENS1_16block_id_wrapperIjLb0EEEEE10hipError_tT1_PNSt15iterator_traitsISG_E10value_typeET2_T3_PNSH_ISM_E10value_typeET4_T5_PSR_SS_PNS1_23onesweep_lookback_stateEbbT6_jjT7_P12ihipStream_tbENKUlT_T0_SG_SL_E_clISA_SA_SB_SB_EEDaSZ_S10_SG_SL_EUlSZ_E_NS1_11comp_targetILNS1_3genE4ELNS1_11target_archE910ELNS1_3gpuE8ELNS1_3repE0EEENS1_47radix_sort_onesweep_sort_config_static_selectorELNS0_4arch9wavefront6targetE0EEEvSG_.has_indirect_call, 0
	.section	.AMDGPU.csdata,"",@progbits
; Kernel info:
; codeLenInByte = 0
; TotalNumSgprs: 0
; NumVgprs: 0
; ScratchSize: 0
; MemoryBound: 0
; FloatMode: 240
; IeeeMode: 1
; LDSByteSize: 0 bytes/workgroup (compile time only)
; SGPRBlocks: 0
; VGPRBlocks: 0
; NumSGPRsForWavesPerEU: 1
; NumVGPRsForWavesPerEU: 1
; NamedBarCnt: 0
; Occupancy: 16
; WaveLimiterHint : 0
; COMPUTE_PGM_RSRC2:SCRATCH_EN: 0
; COMPUTE_PGM_RSRC2:USER_SGPR: 2
; COMPUTE_PGM_RSRC2:TRAP_HANDLER: 0
; COMPUTE_PGM_RSRC2:TGID_X_EN: 1
; COMPUTE_PGM_RSRC2:TGID_Y_EN: 0
; COMPUTE_PGM_RSRC2:TGID_Z_EN: 0
; COMPUTE_PGM_RSRC2:TIDIG_COMP_CNT: 0
	.section	.text._ZN7rocprim17ROCPRIM_400000_NS6detail17trampoline_kernelINS0_14default_configENS1_35radix_sort_onesweep_config_selectorIsNS0_10empty_typeEEEZZNS1_29radix_sort_onesweep_iterationIS3_Lb0EPKsPsPS5_SB_mNS0_19identity_decomposerENS1_16block_id_wrapperIjLb0EEEEE10hipError_tT1_PNSt15iterator_traitsISG_E10value_typeET2_T3_PNSH_ISM_E10value_typeET4_T5_PSR_SS_PNS1_23onesweep_lookback_stateEbbT6_jjT7_P12ihipStream_tbENKUlT_T0_SG_SL_E_clISA_SA_SB_SB_EEDaSZ_S10_SG_SL_EUlSZ_E_NS1_11comp_targetILNS1_3genE3ELNS1_11target_archE908ELNS1_3gpuE7ELNS1_3repE0EEENS1_47radix_sort_onesweep_sort_config_static_selectorELNS0_4arch9wavefront6targetE0EEEvSG_,"axG",@progbits,_ZN7rocprim17ROCPRIM_400000_NS6detail17trampoline_kernelINS0_14default_configENS1_35radix_sort_onesweep_config_selectorIsNS0_10empty_typeEEEZZNS1_29radix_sort_onesweep_iterationIS3_Lb0EPKsPsPS5_SB_mNS0_19identity_decomposerENS1_16block_id_wrapperIjLb0EEEEE10hipError_tT1_PNSt15iterator_traitsISG_E10value_typeET2_T3_PNSH_ISM_E10value_typeET4_T5_PSR_SS_PNS1_23onesweep_lookback_stateEbbT6_jjT7_P12ihipStream_tbENKUlT_T0_SG_SL_E_clISA_SA_SB_SB_EEDaSZ_S10_SG_SL_EUlSZ_E_NS1_11comp_targetILNS1_3genE3ELNS1_11target_archE908ELNS1_3gpuE7ELNS1_3repE0EEENS1_47radix_sort_onesweep_sort_config_static_selectorELNS0_4arch9wavefront6targetE0EEEvSG_,comdat
	.protected	_ZN7rocprim17ROCPRIM_400000_NS6detail17trampoline_kernelINS0_14default_configENS1_35radix_sort_onesweep_config_selectorIsNS0_10empty_typeEEEZZNS1_29radix_sort_onesweep_iterationIS3_Lb0EPKsPsPS5_SB_mNS0_19identity_decomposerENS1_16block_id_wrapperIjLb0EEEEE10hipError_tT1_PNSt15iterator_traitsISG_E10value_typeET2_T3_PNSH_ISM_E10value_typeET4_T5_PSR_SS_PNS1_23onesweep_lookback_stateEbbT6_jjT7_P12ihipStream_tbENKUlT_T0_SG_SL_E_clISA_SA_SB_SB_EEDaSZ_S10_SG_SL_EUlSZ_E_NS1_11comp_targetILNS1_3genE3ELNS1_11target_archE908ELNS1_3gpuE7ELNS1_3repE0EEENS1_47radix_sort_onesweep_sort_config_static_selectorELNS0_4arch9wavefront6targetE0EEEvSG_ ; -- Begin function _ZN7rocprim17ROCPRIM_400000_NS6detail17trampoline_kernelINS0_14default_configENS1_35radix_sort_onesweep_config_selectorIsNS0_10empty_typeEEEZZNS1_29radix_sort_onesweep_iterationIS3_Lb0EPKsPsPS5_SB_mNS0_19identity_decomposerENS1_16block_id_wrapperIjLb0EEEEE10hipError_tT1_PNSt15iterator_traitsISG_E10value_typeET2_T3_PNSH_ISM_E10value_typeET4_T5_PSR_SS_PNS1_23onesweep_lookback_stateEbbT6_jjT7_P12ihipStream_tbENKUlT_T0_SG_SL_E_clISA_SA_SB_SB_EEDaSZ_S10_SG_SL_EUlSZ_E_NS1_11comp_targetILNS1_3genE3ELNS1_11target_archE908ELNS1_3gpuE7ELNS1_3repE0EEENS1_47radix_sort_onesweep_sort_config_static_selectorELNS0_4arch9wavefront6targetE0EEEvSG_
	.globl	_ZN7rocprim17ROCPRIM_400000_NS6detail17trampoline_kernelINS0_14default_configENS1_35radix_sort_onesweep_config_selectorIsNS0_10empty_typeEEEZZNS1_29radix_sort_onesweep_iterationIS3_Lb0EPKsPsPS5_SB_mNS0_19identity_decomposerENS1_16block_id_wrapperIjLb0EEEEE10hipError_tT1_PNSt15iterator_traitsISG_E10value_typeET2_T3_PNSH_ISM_E10value_typeET4_T5_PSR_SS_PNS1_23onesweep_lookback_stateEbbT6_jjT7_P12ihipStream_tbENKUlT_T0_SG_SL_E_clISA_SA_SB_SB_EEDaSZ_S10_SG_SL_EUlSZ_E_NS1_11comp_targetILNS1_3genE3ELNS1_11target_archE908ELNS1_3gpuE7ELNS1_3repE0EEENS1_47radix_sort_onesweep_sort_config_static_selectorELNS0_4arch9wavefront6targetE0EEEvSG_
	.p2align	8
	.type	_ZN7rocprim17ROCPRIM_400000_NS6detail17trampoline_kernelINS0_14default_configENS1_35radix_sort_onesweep_config_selectorIsNS0_10empty_typeEEEZZNS1_29radix_sort_onesweep_iterationIS3_Lb0EPKsPsPS5_SB_mNS0_19identity_decomposerENS1_16block_id_wrapperIjLb0EEEEE10hipError_tT1_PNSt15iterator_traitsISG_E10value_typeET2_T3_PNSH_ISM_E10value_typeET4_T5_PSR_SS_PNS1_23onesweep_lookback_stateEbbT6_jjT7_P12ihipStream_tbENKUlT_T0_SG_SL_E_clISA_SA_SB_SB_EEDaSZ_S10_SG_SL_EUlSZ_E_NS1_11comp_targetILNS1_3genE3ELNS1_11target_archE908ELNS1_3gpuE7ELNS1_3repE0EEENS1_47radix_sort_onesweep_sort_config_static_selectorELNS0_4arch9wavefront6targetE0EEEvSG_,@function
_ZN7rocprim17ROCPRIM_400000_NS6detail17trampoline_kernelINS0_14default_configENS1_35radix_sort_onesweep_config_selectorIsNS0_10empty_typeEEEZZNS1_29radix_sort_onesweep_iterationIS3_Lb0EPKsPsPS5_SB_mNS0_19identity_decomposerENS1_16block_id_wrapperIjLb0EEEEE10hipError_tT1_PNSt15iterator_traitsISG_E10value_typeET2_T3_PNSH_ISM_E10value_typeET4_T5_PSR_SS_PNS1_23onesweep_lookback_stateEbbT6_jjT7_P12ihipStream_tbENKUlT_T0_SG_SL_E_clISA_SA_SB_SB_EEDaSZ_S10_SG_SL_EUlSZ_E_NS1_11comp_targetILNS1_3genE3ELNS1_11target_archE908ELNS1_3gpuE7ELNS1_3repE0EEENS1_47radix_sort_onesweep_sort_config_static_selectorELNS0_4arch9wavefront6targetE0EEEvSG_: ; @_ZN7rocprim17ROCPRIM_400000_NS6detail17trampoline_kernelINS0_14default_configENS1_35radix_sort_onesweep_config_selectorIsNS0_10empty_typeEEEZZNS1_29radix_sort_onesweep_iterationIS3_Lb0EPKsPsPS5_SB_mNS0_19identity_decomposerENS1_16block_id_wrapperIjLb0EEEEE10hipError_tT1_PNSt15iterator_traitsISG_E10value_typeET2_T3_PNSH_ISM_E10value_typeET4_T5_PSR_SS_PNS1_23onesweep_lookback_stateEbbT6_jjT7_P12ihipStream_tbENKUlT_T0_SG_SL_E_clISA_SA_SB_SB_EEDaSZ_S10_SG_SL_EUlSZ_E_NS1_11comp_targetILNS1_3genE3ELNS1_11target_archE908ELNS1_3gpuE7ELNS1_3repE0EEENS1_47radix_sort_onesweep_sort_config_static_selectorELNS0_4arch9wavefront6targetE0EEEvSG_
; %bb.0:
	.section	.rodata,"a",@progbits
	.p2align	6, 0x0
	.amdhsa_kernel _ZN7rocprim17ROCPRIM_400000_NS6detail17trampoline_kernelINS0_14default_configENS1_35radix_sort_onesweep_config_selectorIsNS0_10empty_typeEEEZZNS1_29radix_sort_onesweep_iterationIS3_Lb0EPKsPsPS5_SB_mNS0_19identity_decomposerENS1_16block_id_wrapperIjLb0EEEEE10hipError_tT1_PNSt15iterator_traitsISG_E10value_typeET2_T3_PNSH_ISM_E10value_typeET4_T5_PSR_SS_PNS1_23onesweep_lookback_stateEbbT6_jjT7_P12ihipStream_tbENKUlT_T0_SG_SL_E_clISA_SA_SB_SB_EEDaSZ_S10_SG_SL_EUlSZ_E_NS1_11comp_targetILNS1_3genE3ELNS1_11target_archE908ELNS1_3gpuE7ELNS1_3repE0EEENS1_47radix_sort_onesweep_sort_config_static_selectorELNS0_4arch9wavefront6targetE0EEEvSG_
		.amdhsa_group_segment_fixed_size 0
		.amdhsa_private_segment_fixed_size 0
		.amdhsa_kernarg_size 88
		.amdhsa_user_sgpr_count 2
		.amdhsa_user_sgpr_dispatch_ptr 0
		.amdhsa_user_sgpr_queue_ptr 0
		.amdhsa_user_sgpr_kernarg_segment_ptr 1
		.amdhsa_user_sgpr_dispatch_id 0
		.amdhsa_user_sgpr_kernarg_preload_length 0
		.amdhsa_user_sgpr_kernarg_preload_offset 0
		.amdhsa_user_sgpr_private_segment_size 0
		.amdhsa_wavefront_size32 1
		.amdhsa_uses_dynamic_stack 0
		.amdhsa_enable_private_segment 0
		.amdhsa_system_sgpr_workgroup_id_x 1
		.amdhsa_system_sgpr_workgroup_id_y 0
		.amdhsa_system_sgpr_workgroup_id_z 0
		.amdhsa_system_sgpr_workgroup_info 0
		.amdhsa_system_vgpr_workitem_id 0
		.amdhsa_next_free_vgpr 1
		.amdhsa_next_free_sgpr 1
		.amdhsa_named_barrier_count 0
		.amdhsa_reserve_vcc 0
		.amdhsa_float_round_mode_32 0
		.amdhsa_float_round_mode_16_64 0
		.amdhsa_float_denorm_mode_32 3
		.amdhsa_float_denorm_mode_16_64 3
		.amdhsa_fp16_overflow 0
		.amdhsa_memory_ordered 1
		.amdhsa_forward_progress 1
		.amdhsa_inst_pref_size 0
		.amdhsa_round_robin_scheduling 0
		.amdhsa_exception_fp_ieee_invalid_op 0
		.amdhsa_exception_fp_denorm_src 0
		.amdhsa_exception_fp_ieee_div_zero 0
		.amdhsa_exception_fp_ieee_overflow 0
		.amdhsa_exception_fp_ieee_underflow 0
		.amdhsa_exception_fp_ieee_inexact 0
		.amdhsa_exception_int_div_zero 0
	.end_amdhsa_kernel
	.section	.text._ZN7rocprim17ROCPRIM_400000_NS6detail17trampoline_kernelINS0_14default_configENS1_35radix_sort_onesweep_config_selectorIsNS0_10empty_typeEEEZZNS1_29radix_sort_onesweep_iterationIS3_Lb0EPKsPsPS5_SB_mNS0_19identity_decomposerENS1_16block_id_wrapperIjLb0EEEEE10hipError_tT1_PNSt15iterator_traitsISG_E10value_typeET2_T3_PNSH_ISM_E10value_typeET4_T5_PSR_SS_PNS1_23onesweep_lookback_stateEbbT6_jjT7_P12ihipStream_tbENKUlT_T0_SG_SL_E_clISA_SA_SB_SB_EEDaSZ_S10_SG_SL_EUlSZ_E_NS1_11comp_targetILNS1_3genE3ELNS1_11target_archE908ELNS1_3gpuE7ELNS1_3repE0EEENS1_47radix_sort_onesweep_sort_config_static_selectorELNS0_4arch9wavefront6targetE0EEEvSG_,"axG",@progbits,_ZN7rocprim17ROCPRIM_400000_NS6detail17trampoline_kernelINS0_14default_configENS1_35radix_sort_onesweep_config_selectorIsNS0_10empty_typeEEEZZNS1_29radix_sort_onesweep_iterationIS3_Lb0EPKsPsPS5_SB_mNS0_19identity_decomposerENS1_16block_id_wrapperIjLb0EEEEE10hipError_tT1_PNSt15iterator_traitsISG_E10value_typeET2_T3_PNSH_ISM_E10value_typeET4_T5_PSR_SS_PNS1_23onesweep_lookback_stateEbbT6_jjT7_P12ihipStream_tbENKUlT_T0_SG_SL_E_clISA_SA_SB_SB_EEDaSZ_S10_SG_SL_EUlSZ_E_NS1_11comp_targetILNS1_3genE3ELNS1_11target_archE908ELNS1_3gpuE7ELNS1_3repE0EEENS1_47radix_sort_onesweep_sort_config_static_selectorELNS0_4arch9wavefront6targetE0EEEvSG_,comdat
.Lfunc_end745:
	.size	_ZN7rocprim17ROCPRIM_400000_NS6detail17trampoline_kernelINS0_14default_configENS1_35radix_sort_onesweep_config_selectorIsNS0_10empty_typeEEEZZNS1_29radix_sort_onesweep_iterationIS3_Lb0EPKsPsPS5_SB_mNS0_19identity_decomposerENS1_16block_id_wrapperIjLb0EEEEE10hipError_tT1_PNSt15iterator_traitsISG_E10value_typeET2_T3_PNSH_ISM_E10value_typeET4_T5_PSR_SS_PNS1_23onesweep_lookback_stateEbbT6_jjT7_P12ihipStream_tbENKUlT_T0_SG_SL_E_clISA_SA_SB_SB_EEDaSZ_S10_SG_SL_EUlSZ_E_NS1_11comp_targetILNS1_3genE3ELNS1_11target_archE908ELNS1_3gpuE7ELNS1_3repE0EEENS1_47radix_sort_onesweep_sort_config_static_selectorELNS0_4arch9wavefront6targetE0EEEvSG_, .Lfunc_end745-_ZN7rocprim17ROCPRIM_400000_NS6detail17trampoline_kernelINS0_14default_configENS1_35radix_sort_onesweep_config_selectorIsNS0_10empty_typeEEEZZNS1_29radix_sort_onesweep_iterationIS3_Lb0EPKsPsPS5_SB_mNS0_19identity_decomposerENS1_16block_id_wrapperIjLb0EEEEE10hipError_tT1_PNSt15iterator_traitsISG_E10value_typeET2_T3_PNSH_ISM_E10value_typeET4_T5_PSR_SS_PNS1_23onesweep_lookback_stateEbbT6_jjT7_P12ihipStream_tbENKUlT_T0_SG_SL_E_clISA_SA_SB_SB_EEDaSZ_S10_SG_SL_EUlSZ_E_NS1_11comp_targetILNS1_3genE3ELNS1_11target_archE908ELNS1_3gpuE7ELNS1_3repE0EEENS1_47radix_sort_onesweep_sort_config_static_selectorELNS0_4arch9wavefront6targetE0EEEvSG_
                                        ; -- End function
	.set _ZN7rocprim17ROCPRIM_400000_NS6detail17trampoline_kernelINS0_14default_configENS1_35radix_sort_onesweep_config_selectorIsNS0_10empty_typeEEEZZNS1_29radix_sort_onesweep_iterationIS3_Lb0EPKsPsPS5_SB_mNS0_19identity_decomposerENS1_16block_id_wrapperIjLb0EEEEE10hipError_tT1_PNSt15iterator_traitsISG_E10value_typeET2_T3_PNSH_ISM_E10value_typeET4_T5_PSR_SS_PNS1_23onesweep_lookback_stateEbbT6_jjT7_P12ihipStream_tbENKUlT_T0_SG_SL_E_clISA_SA_SB_SB_EEDaSZ_S10_SG_SL_EUlSZ_E_NS1_11comp_targetILNS1_3genE3ELNS1_11target_archE908ELNS1_3gpuE7ELNS1_3repE0EEENS1_47radix_sort_onesweep_sort_config_static_selectorELNS0_4arch9wavefront6targetE0EEEvSG_.num_vgpr, 0
	.set _ZN7rocprim17ROCPRIM_400000_NS6detail17trampoline_kernelINS0_14default_configENS1_35radix_sort_onesweep_config_selectorIsNS0_10empty_typeEEEZZNS1_29radix_sort_onesweep_iterationIS3_Lb0EPKsPsPS5_SB_mNS0_19identity_decomposerENS1_16block_id_wrapperIjLb0EEEEE10hipError_tT1_PNSt15iterator_traitsISG_E10value_typeET2_T3_PNSH_ISM_E10value_typeET4_T5_PSR_SS_PNS1_23onesweep_lookback_stateEbbT6_jjT7_P12ihipStream_tbENKUlT_T0_SG_SL_E_clISA_SA_SB_SB_EEDaSZ_S10_SG_SL_EUlSZ_E_NS1_11comp_targetILNS1_3genE3ELNS1_11target_archE908ELNS1_3gpuE7ELNS1_3repE0EEENS1_47radix_sort_onesweep_sort_config_static_selectorELNS0_4arch9wavefront6targetE0EEEvSG_.num_agpr, 0
	.set _ZN7rocprim17ROCPRIM_400000_NS6detail17trampoline_kernelINS0_14default_configENS1_35radix_sort_onesweep_config_selectorIsNS0_10empty_typeEEEZZNS1_29radix_sort_onesweep_iterationIS3_Lb0EPKsPsPS5_SB_mNS0_19identity_decomposerENS1_16block_id_wrapperIjLb0EEEEE10hipError_tT1_PNSt15iterator_traitsISG_E10value_typeET2_T3_PNSH_ISM_E10value_typeET4_T5_PSR_SS_PNS1_23onesweep_lookback_stateEbbT6_jjT7_P12ihipStream_tbENKUlT_T0_SG_SL_E_clISA_SA_SB_SB_EEDaSZ_S10_SG_SL_EUlSZ_E_NS1_11comp_targetILNS1_3genE3ELNS1_11target_archE908ELNS1_3gpuE7ELNS1_3repE0EEENS1_47radix_sort_onesweep_sort_config_static_selectorELNS0_4arch9wavefront6targetE0EEEvSG_.numbered_sgpr, 0
	.set _ZN7rocprim17ROCPRIM_400000_NS6detail17trampoline_kernelINS0_14default_configENS1_35radix_sort_onesweep_config_selectorIsNS0_10empty_typeEEEZZNS1_29radix_sort_onesweep_iterationIS3_Lb0EPKsPsPS5_SB_mNS0_19identity_decomposerENS1_16block_id_wrapperIjLb0EEEEE10hipError_tT1_PNSt15iterator_traitsISG_E10value_typeET2_T3_PNSH_ISM_E10value_typeET4_T5_PSR_SS_PNS1_23onesweep_lookback_stateEbbT6_jjT7_P12ihipStream_tbENKUlT_T0_SG_SL_E_clISA_SA_SB_SB_EEDaSZ_S10_SG_SL_EUlSZ_E_NS1_11comp_targetILNS1_3genE3ELNS1_11target_archE908ELNS1_3gpuE7ELNS1_3repE0EEENS1_47radix_sort_onesweep_sort_config_static_selectorELNS0_4arch9wavefront6targetE0EEEvSG_.num_named_barrier, 0
	.set _ZN7rocprim17ROCPRIM_400000_NS6detail17trampoline_kernelINS0_14default_configENS1_35radix_sort_onesweep_config_selectorIsNS0_10empty_typeEEEZZNS1_29radix_sort_onesweep_iterationIS3_Lb0EPKsPsPS5_SB_mNS0_19identity_decomposerENS1_16block_id_wrapperIjLb0EEEEE10hipError_tT1_PNSt15iterator_traitsISG_E10value_typeET2_T3_PNSH_ISM_E10value_typeET4_T5_PSR_SS_PNS1_23onesweep_lookback_stateEbbT6_jjT7_P12ihipStream_tbENKUlT_T0_SG_SL_E_clISA_SA_SB_SB_EEDaSZ_S10_SG_SL_EUlSZ_E_NS1_11comp_targetILNS1_3genE3ELNS1_11target_archE908ELNS1_3gpuE7ELNS1_3repE0EEENS1_47radix_sort_onesweep_sort_config_static_selectorELNS0_4arch9wavefront6targetE0EEEvSG_.private_seg_size, 0
	.set _ZN7rocprim17ROCPRIM_400000_NS6detail17trampoline_kernelINS0_14default_configENS1_35radix_sort_onesweep_config_selectorIsNS0_10empty_typeEEEZZNS1_29radix_sort_onesweep_iterationIS3_Lb0EPKsPsPS5_SB_mNS0_19identity_decomposerENS1_16block_id_wrapperIjLb0EEEEE10hipError_tT1_PNSt15iterator_traitsISG_E10value_typeET2_T3_PNSH_ISM_E10value_typeET4_T5_PSR_SS_PNS1_23onesweep_lookback_stateEbbT6_jjT7_P12ihipStream_tbENKUlT_T0_SG_SL_E_clISA_SA_SB_SB_EEDaSZ_S10_SG_SL_EUlSZ_E_NS1_11comp_targetILNS1_3genE3ELNS1_11target_archE908ELNS1_3gpuE7ELNS1_3repE0EEENS1_47radix_sort_onesweep_sort_config_static_selectorELNS0_4arch9wavefront6targetE0EEEvSG_.uses_vcc, 0
	.set _ZN7rocprim17ROCPRIM_400000_NS6detail17trampoline_kernelINS0_14default_configENS1_35radix_sort_onesweep_config_selectorIsNS0_10empty_typeEEEZZNS1_29radix_sort_onesweep_iterationIS3_Lb0EPKsPsPS5_SB_mNS0_19identity_decomposerENS1_16block_id_wrapperIjLb0EEEEE10hipError_tT1_PNSt15iterator_traitsISG_E10value_typeET2_T3_PNSH_ISM_E10value_typeET4_T5_PSR_SS_PNS1_23onesweep_lookback_stateEbbT6_jjT7_P12ihipStream_tbENKUlT_T0_SG_SL_E_clISA_SA_SB_SB_EEDaSZ_S10_SG_SL_EUlSZ_E_NS1_11comp_targetILNS1_3genE3ELNS1_11target_archE908ELNS1_3gpuE7ELNS1_3repE0EEENS1_47radix_sort_onesweep_sort_config_static_selectorELNS0_4arch9wavefront6targetE0EEEvSG_.uses_flat_scratch, 0
	.set _ZN7rocprim17ROCPRIM_400000_NS6detail17trampoline_kernelINS0_14default_configENS1_35radix_sort_onesweep_config_selectorIsNS0_10empty_typeEEEZZNS1_29radix_sort_onesweep_iterationIS3_Lb0EPKsPsPS5_SB_mNS0_19identity_decomposerENS1_16block_id_wrapperIjLb0EEEEE10hipError_tT1_PNSt15iterator_traitsISG_E10value_typeET2_T3_PNSH_ISM_E10value_typeET4_T5_PSR_SS_PNS1_23onesweep_lookback_stateEbbT6_jjT7_P12ihipStream_tbENKUlT_T0_SG_SL_E_clISA_SA_SB_SB_EEDaSZ_S10_SG_SL_EUlSZ_E_NS1_11comp_targetILNS1_3genE3ELNS1_11target_archE908ELNS1_3gpuE7ELNS1_3repE0EEENS1_47radix_sort_onesweep_sort_config_static_selectorELNS0_4arch9wavefront6targetE0EEEvSG_.has_dyn_sized_stack, 0
	.set _ZN7rocprim17ROCPRIM_400000_NS6detail17trampoline_kernelINS0_14default_configENS1_35radix_sort_onesweep_config_selectorIsNS0_10empty_typeEEEZZNS1_29radix_sort_onesweep_iterationIS3_Lb0EPKsPsPS5_SB_mNS0_19identity_decomposerENS1_16block_id_wrapperIjLb0EEEEE10hipError_tT1_PNSt15iterator_traitsISG_E10value_typeET2_T3_PNSH_ISM_E10value_typeET4_T5_PSR_SS_PNS1_23onesweep_lookback_stateEbbT6_jjT7_P12ihipStream_tbENKUlT_T0_SG_SL_E_clISA_SA_SB_SB_EEDaSZ_S10_SG_SL_EUlSZ_E_NS1_11comp_targetILNS1_3genE3ELNS1_11target_archE908ELNS1_3gpuE7ELNS1_3repE0EEENS1_47radix_sort_onesweep_sort_config_static_selectorELNS0_4arch9wavefront6targetE0EEEvSG_.has_recursion, 0
	.set _ZN7rocprim17ROCPRIM_400000_NS6detail17trampoline_kernelINS0_14default_configENS1_35radix_sort_onesweep_config_selectorIsNS0_10empty_typeEEEZZNS1_29radix_sort_onesweep_iterationIS3_Lb0EPKsPsPS5_SB_mNS0_19identity_decomposerENS1_16block_id_wrapperIjLb0EEEEE10hipError_tT1_PNSt15iterator_traitsISG_E10value_typeET2_T3_PNSH_ISM_E10value_typeET4_T5_PSR_SS_PNS1_23onesweep_lookback_stateEbbT6_jjT7_P12ihipStream_tbENKUlT_T0_SG_SL_E_clISA_SA_SB_SB_EEDaSZ_S10_SG_SL_EUlSZ_E_NS1_11comp_targetILNS1_3genE3ELNS1_11target_archE908ELNS1_3gpuE7ELNS1_3repE0EEENS1_47radix_sort_onesweep_sort_config_static_selectorELNS0_4arch9wavefront6targetE0EEEvSG_.has_indirect_call, 0
	.section	.AMDGPU.csdata,"",@progbits
; Kernel info:
; codeLenInByte = 0
; TotalNumSgprs: 0
; NumVgprs: 0
; ScratchSize: 0
; MemoryBound: 0
; FloatMode: 240
; IeeeMode: 1
; LDSByteSize: 0 bytes/workgroup (compile time only)
; SGPRBlocks: 0
; VGPRBlocks: 0
; NumSGPRsForWavesPerEU: 1
; NumVGPRsForWavesPerEU: 1
; NamedBarCnt: 0
; Occupancy: 16
; WaveLimiterHint : 0
; COMPUTE_PGM_RSRC2:SCRATCH_EN: 0
; COMPUTE_PGM_RSRC2:USER_SGPR: 2
; COMPUTE_PGM_RSRC2:TRAP_HANDLER: 0
; COMPUTE_PGM_RSRC2:TGID_X_EN: 1
; COMPUTE_PGM_RSRC2:TGID_Y_EN: 0
; COMPUTE_PGM_RSRC2:TGID_Z_EN: 0
; COMPUTE_PGM_RSRC2:TIDIG_COMP_CNT: 0
	.section	.text._ZN7rocprim17ROCPRIM_400000_NS6detail17trampoline_kernelINS0_14default_configENS1_35radix_sort_onesweep_config_selectorIsNS0_10empty_typeEEEZZNS1_29radix_sort_onesweep_iterationIS3_Lb0EPKsPsPS5_SB_mNS0_19identity_decomposerENS1_16block_id_wrapperIjLb0EEEEE10hipError_tT1_PNSt15iterator_traitsISG_E10value_typeET2_T3_PNSH_ISM_E10value_typeET4_T5_PSR_SS_PNS1_23onesweep_lookback_stateEbbT6_jjT7_P12ihipStream_tbENKUlT_T0_SG_SL_E_clISA_SA_SB_SB_EEDaSZ_S10_SG_SL_EUlSZ_E_NS1_11comp_targetILNS1_3genE10ELNS1_11target_archE1201ELNS1_3gpuE5ELNS1_3repE0EEENS1_47radix_sort_onesweep_sort_config_static_selectorELNS0_4arch9wavefront6targetE0EEEvSG_,"axG",@progbits,_ZN7rocprim17ROCPRIM_400000_NS6detail17trampoline_kernelINS0_14default_configENS1_35radix_sort_onesweep_config_selectorIsNS0_10empty_typeEEEZZNS1_29radix_sort_onesweep_iterationIS3_Lb0EPKsPsPS5_SB_mNS0_19identity_decomposerENS1_16block_id_wrapperIjLb0EEEEE10hipError_tT1_PNSt15iterator_traitsISG_E10value_typeET2_T3_PNSH_ISM_E10value_typeET4_T5_PSR_SS_PNS1_23onesweep_lookback_stateEbbT6_jjT7_P12ihipStream_tbENKUlT_T0_SG_SL_E_clISA_SA_SB_SB_EEDaSZ_S10_SG_SL_EUlSZ_E_NS1_11comp_targetILNS1_3genE10ELNS1_11target_archE1201ELNS1_3gpuE5ELNS1_3repE0EEENS1_47radix_sort_onesweep_sort_config_static_selectorELNS0_4arch9wavefront6targetE0EEEvSG_,comdat
	.protected	_ZN7rocprim17ROCPRIM_400000_NS6detail17trampoline_kernelINS0_14default_configENS1_35radix_sort_onesweep_config_selectorIsNS0_10empty_typeEEEZZNS1_29radix_sort_onesweep_iterationIS3_Lb0EPKsPsPS5_SB_mNS0_19identity_decomposerENS1_16block_id_wrapperIjLb0EEEEE10hipError_tT1_PNSt15iterator_traitsISG_E10value_typeET2_T3_PNSH_ISM_E10value_typeET4_T5_PSR_SS_PNS1_23onesweep_lookback_stateEbbT6_jjT7_P12ihipStream_tbENKUlT_T0_SG_SL_E_clISA_SA_SB_SB_EEDaSZ_S10_SG_SL_EUlSZ_E_NS1_11comp_targetILNS1_3genE10ELNS1_11target_archE1201ELNS1_3gpuE5ELNS1_3repE0EEENS1_47radix_sort_onesweep_sort_config_static_selectorELNS0_4arch9wavefront6targetE0EEEvSG_ ; -- Begin function _ZN7rocprim17ROCPRIM_400000_NS6detail17trampoline_kernelINS0_14default_configENS1_35radix_sort_onesweep_config_selectorIsNS0_10empty_typeEEEZZNS1_29radix_sort_onesweep_iterationIS3_Lb0EPKsPsPS5_SB_mNS0_19identity_decomposerENS1_16block_id_wrapperIjLb0EEEEE10hipError_tT1_PNSt15iterator_traitsISG_E10value_typeET2_T3_PNSH_ISM_E10value_typeET4_T5_PSR_SS_PNS1_23onesweep_lookback_stateEbbT6_jjT7_P12ihipStream_tbENKUlT_T0_SG_SL_E_clISA_SA_SB_SB_EEDaSZ_S10_SG_SL_EUlSZ_E_NS1_11comp_targetILNS1_3genE10ELNS1_11target_archE1201ELNS1_3gpuE5ELNS1_3repE0EEENS1_47radix_sort_onesweep_sort_config_static_selectorELNS0_4arch9wavefront6targetE0EEEvSG_
	.globl	_ZN7rocprim17ROCPRIM_400000_NS6detail17trampoline_kernelINS0_14default_configENS1_35radix_sort_onesweep_config_selectorIsNS0_10empty_typeEEEZZNS1_29radix_sort_onesweep_iterationIS3_Lb0EPKsPsPS5_SB_mNS0_19identity_decomposerENS1_16block_id_wrapperIjLb0EEEEE10hipError_tT1_PNSt15iterator_traitsISG_E10value_typeET2_T3_PNSH_ISM_E10value_typeET4_T5_PSR_SS_PNS1_23onesweep_lookback_stateEbbT6_jjT7_P12ihipStream_tbENKUlT_T0_SG_SL_E_clISA_SA_SB_SB_EEDaSZ_S10_SG_SL_EUlSZ_E_NS1_11comp_targetILNS1_3genE10ELNS1_11target_archE1201ELNS1_3gpuE5ELNS1_3repE0EEENS1_47radix_sort_onesweep_sort_config_static_selectorELNS0_4arch9wavefront6targetE0EEEvSG_
	.p2align	8
	.type	_ZN7rocprim17ROCPRIM_400000_NS6detail17trampoline_kernelINS0_14default_configENS1_35radix_sort_onesweep_config_selectorIsNS0_10empty_typeEEEZZNS1_29radix_sort_onesweep_iterationIS3_Lb0EPKsPsPS5_SB_mNS0_19identity_decomposerENS1_16block_id_wrapperIjLb0EEEEE10hipError_tT1_PNSt15iterator_traitsISG_E10value_typeET2_T3_PNSH_ISM_E10value_typeET4_T5_PSR_SS_PNS1_23onesweep_lookback_stateEbbT6_jjT7_P12ihipStream_tbENKUlT_T0_SG_SL_E_clISA_SA_SB_SB_EEDaSZ_S10_SG_SL_EUlSZ_E_NS1_11comp_targetILNS1_3genE10ELNS1_11target_archE1201ELNS1_3gpuE5ELNS1_3repE0EEENS1_47radix_sort_onesweep_sort_config_static_selectorELNS0_4arch9wavefront6targetE0EEEvSG_,@function
_ZN7rocprim17ROCPRIM_400000_NS6detail17trampoline_kernelINS0_14default_configENS1_35radix_sort_onesweep_config_selectorIsNS0_10empty_typeEEEZZNS1_29radix_sort_onesweep_iterationIS3_Lb0EPKsPsPS5_SB_mNS0_19identity_decomposerENS1_16block_id_wrapperIjLb0EEEEE10hipError_tT1_PNSt15iterator_traitsISG_E10value_typeET2_T3_PNSH_ISM_E10value_typeET4_T5_PSR_SS_PNS1_23onesweep_lookback_stateEbbT6_jjT7_P12ihipStream_tbENKUlT_T0_SG_SL_E_clISA_SA_SB_SB_EEDaSZ_S10_SG_SL_EUlSZ_E_NS1_11comp_targetILNS1_3genE10ELNS1_11target_archE1201ELNS1_3gpuE5ELNS1_3repE0EEENS1_47radix_sort_onesweep_sort_config_static_selectorELNS0_4arch9wavefront6targetE0EEEvSG_: ; @_ZN7rocprim17ROCPRIM_400000_NS6detail17trampoline_kernelINS0_14default_configENS1_35radix_sort_onesweep_config_selectorIsNS0_10empty_typeEEEZZNS1_29radix_sort_onesweep_iterationIS3_Lb0EPKsPsPS5_SB_mNS0_19identity_decomposerENS1_16block_id_wrapperIjLb0EEEEE10hipError_tT1_PNSt15iterator_traitsISG_E10value_typeET2_T3_PNSH_ISM_E10value_typeET4_T5_PSR_SS_PNS1_23onesweep_lookback_stateEbbT6_jjT7_P12ihipStream_tbENKUlT_T0_SG_SL_E_clISA_SA_SB_SB_EEDaSZ_S10_SG_SL_EUlSZ_E_NS1_11comp_targetILNS1_3genE10ELNS1_11target_archE1201ELNS1_3gpuE5ELNS1_3repE0EEENS1_47radix_sort_onesweep_sort_config_static_selectorELNS0_4arch9wavefront6targetE0EEEvSG_
; %bb.0:
	.section	.rodata,"a",@progbits
	.p2align	6, 0x0
	.amdhsa_kernel _ZN7rocprim17ROCPRIM_400000_NS6detail17trampoline_kernelINS0_14default_configENS1_35radix_sort_onesweep_config_selectorIsNS0_10empty_typeEEEZZNS1_29radix_sort_onesweep_iterationIS3_Lb0EPKsPsPS5_SB_mNS0_19identity_decomposerENS1_16block_id_wrapperIjLb0EEEEE10hipError_tT1_PNSt15iterator_traitsISG_E10value_typeET2_T3_PNSH_ISM_E10value_typeET4_T5_PSR_SS_PNS1_23onesweep_lookback_stateEbbT6_jjT7_P12ihipStream_tbENKUlT_T0_SG_SL_E_clISA_SA_SB_SB_EEDaSZ_S10_SG_SL_EUlSZ_E_NS1_11comp_targetILNS1_3genE10ELNS1_11target_archE1201ELNS1_3gpuE5ELNS1_3repE0EEENS1_47radix_sort_onesweep_sort_config_static_selectorELNS0_4arch9wavefront6targetE0EEEvSG_
		.amdhsa_group_segment_fixed_size 0
		.amdhsa_private_segment_fixed_size 0
		.amdhsa_kernarg_size 88
		.amdhsa_user_sgpr_count 2
		.amdhsa_user_sgpr_dispatch_ptr 0
		.amdhsa_user_sgpr_queue_ptr 0
		.amdhsa_user_sgpr_kernarg_segment_ptr 1
		.amdhsa_user_sgpr_dispatch_id 0
		.amdhsa_user_sgpr_kernarg_preload_length 0
		.amdhsa_user_sgpr_kernarg_preload_offset 0
		.amdhsa_user_sgpr_private_segment_size 0
		.amdhsa_wavefront_size32 1
		.amdhsa_uses_dynamic_stack 0
		.amdhsa_enable_private_segment 0
		.amdhsa_system_sgpr_workgroup_id_x 1
		.amdhsa_system_sgpr_workgroup_id_y 0
		.amdhsa_system_sgpr_workgroup_id_z 0
		.amdhsa_system_sgpr_workgroup_info 0
		.amdhsa_system_vgpr_workitem_id 0
		.amdhsa_next_free_vgpr 1
		.amdhsa_next_free_sgpr 1
		.amdhsa_named_barrier_count 0
		.amdhsa_reserve_vcc 0
		.amdhsa_float_round_mode_32 0
		.amdhsa_float_round_mode_16_64 0
		.amdhsa_float_denorm_mode_32 3
		.amdhsa_float_denorm_mode_16_64 3
		.amdhsa_fp16_overflow 0
		.amdhsa_memory_ordered 1
		.amdhsa_forward_progress 1
		.amdhsa_inst_pref_size 0
		.amdhsa_round_robin_scheduling 0
		.amdhsa_exception_fp_ieee_invalid_op 0
		.amdhsa_exception_fp_denorm_src 0
		.amdhsa_exception_fp_ieee_div_zero 0
		.amdhsa_exception_fp_ieee_overflow 0
		.amdhsa_exception_fp_ieee_underflow 0
		.amdhsa_exception_fp_ieee_inexact 0
		.amdhsa_exception_int_div_zero 0
	.end_amdhsa_kernel
	.section	.text._ZN7rocprim17ROCPRIM_400000_NS6detail17trampoline_kernelINS0_14default_configENS1_35radix_sort_onesweep_config_selectorIsNS0_10empty_typeEEEZZNS1_29radix_sort_onesweep_iterationIS3_Lb0EPKsPsPS5_SB_mNS0_19identity_decomposerENS1_16block_id_wrapperIjLb0EEEEE10hipError_tT1_PNSt15iterator_traitsISG_E10value_typeET2_T3_PNSH_ISM_E10value_typeET4_T5_PSR_SS_PNS1_23onesweep_lookback_stateEbbT6_jjT7_P12ihipStream_tbENKUlT_T0_SG_SL_E_clISA_SA_SB_SB_EEDaSZ_S10_SG_SL_EUlSZ_E_NS1_11comp_targetILNS1_3genE10ELNS1_11target_archE1201ELNS1_3gpuE5ELNS1_3repE0EEENS1_47radix_sort_onesweep_sort_config_static_selectorELNS0_4arch9wavefront6targetE0EEEvSG_,"axG",@progbits,_ZN7rocprim17ROCPRIM_400000_NS6detail17trampoline_kernelINS0_14default_configENS1_35radix_sort_onesweep_config_selectorIsNS0_10empty_typeEEEZZNS1_29radix_sort_onesweep_iterationIS3_Lb0EPKsPsPS5_SB_mNS0_19identity_decomposerENS1_16block_id_wrapperIjLb0EEEEE10hipError_tT1_PNSt15iterator_traitsISG_E10value_typeET2_T3_PNSH_ISM_E10value_typeET4_T5_PSR_SS_PNS1_23onesweep_lookback_stateEbbT6_jjT7_P12ihipStream_tbENKUlT_T0_SG_SL_E_clISA_SA_SB_SB_EEDaSZ_S10_SG_SL_EUlSZ_E_NS1_11comp_targetILNS1_3genE10ELNS1_11target_archE1201ELNS1_3gpuE5ELNS1_3repE0EEENS1_47radix_sort_onesweep_sort_config_static_selectorELNS0_4arch9wavefront6targetE0EEEvSG_,comdat
.Lfunc_end746:
	.size	_ZN7rocprim17ROCPRIM_400000_NS6detail17trampoline_kernelINS0_14default_configENS1_35radix_sort_onesweep_config_selectorIsNS0_10empty_typeEEEZZNS1_29radix_sort_onesweep_iterationIS3_Lb0EPKsPsPS5_SB_mNS0_19identity_decomposerENS1_16block_id_wrapperIjLb0EEEEE10hipError_tT1_PNSt15iterator_traitsISG_E10value_typeET2_T3_PNSH_ISM_E10value_typeET4_T5_PSR_SS_PNS1_23onesweep_lookback_stateEbbT6_jjT7_P12ihipStream_tbENKUlT_T0_SG_SL_E_clISA_SA_SB_SB_EEDaSZ_S10_SG_SL_EUlSZ_E_NS1_11comp_targetILNS1_3genE10ELNS1_11target_archE1201ELNS1_3gpuE5ELNS1_3repE0EEENS1_47radix_sort_onesweep_sort_config_static_selectorELNS0_4arch9wavefront6targetE0EEEvSG_, .Lfunc_end746-_ZN7rocprim17ROCPRIM_400000_NS6detail17trampoline_kernelINS0_14default_configENS1_35radix_sort_onesweep_config_selectorIsNS0_10empty_typeEEEZZNS1_29radix_sort_onesweep_iterationIS3_Lb0EPKsPsPS5_SB_mNS0_19identity_decomposerENS1_16block_id_wrapperIjLb0EEEEE10hipError_tT1_PNSt15iterator_traitsISG_E10value_typeET2_T3_PNSH_ISM_E10value_typeET4_T5_PSR_SS_PNS1_23onesweep_lookback_stateEbbT6_jjT7_P12ihipStream_tbENKUlT_T0_SG_SL_E_clISA_SA_SB_SB_EEDaSZ_S10_SG_SL_EUlSZ_E_NS1_11comp_targetILNS1_3genE10ELNS1_11target_archE1201ELNS1_3gpuE5ELNS1_3repE0EEENS1_47radix_sort_onesweep_sort_config_static_selectorELNS0_4arch9wavefront6targetE0EEEvSG_
                                        ; -- End function
	.set _ZN7rocprim17ROCPRIM_400000_NS6detail17trampoline_kernelINS0_14default_configENS1_35radix_sort_onesweep_config_selectorIsNS0_10empty_typeEEEZZNS1_29radix_sort_onesweep_iterationIS3_Lb0EPKsPsPS5_SB_mNS0_19identity_decomposerENS1_16block_id_wrapperIjLb0EEEEE10hipError_tT1_PNSt15iterator_traitsISG_E10value_typeET2_T3_PNSH_ISM_E10value_typeET4_T5_PSR_SS_PNS1_23onesweep_lookback_stateEbbT6_jjT7_P12ihipStream_tbENKUlT_T0_SG_SL_E_clISA_SA_SB_SB_EEDaSZ_S10_SG_SL_EUlSZ_E_NS1_11comp_targetILNS1_3genE10ELNS1_11target_archE1201ELNS1_3gpuE5ELNS1_3repE0EEENS1_47radix_sort_onesweep_sort_config_static_selectorELNS0_4arch9wavefront6targetE0EEEvSG_.num_vgpr, 0
	.set _ZN7rocprim17ROCPRIM_400000_NS6detail17trampoline_kernelINS0_14default_configENS1_35radix_sort_onesweep_config_selectorIsNS0_10empty_typeEEEZZNS1_29radix_sort_onesweep_iterationIS3_Lb0EPKsPsPS5_SB_mNS0_19identity_decomposerENS1_16block_id_wrapperIjLb0EEEEE10hipError_tT1_PNSt15iterator_traitsISG_E10value_typeET2_T3_PNSH_ISM_E10value_typeET4_T5_PSR_SS_PNS1_23onesweep_lookback_stateEbbT6_jjT7_P12ihipStream_tbENKUlT_T0_SG_SL_E_clISA_SA_SB_SB_EEDaSZ_S10_SG_SL_EUlSZ_E_NS1_11comp_targetILNS1_3genE10ELNS1_11target_archE1201ELNS1_3gpuE5ELNS1_3repE0EEENS1_47radix_sort_onesweep_sort_config_static_selectorELNS0_4arch9wavefront6targetE0EEEvSG_.num_agpr, 0
	.set _ZN7rocprim17ROCPRIM_400000_NS6detail17trampoline_kernelINS0_14default_configENS1_35radix_sort_onesweep_config_selectorIsNS0_10empty_typeEEEZZNS1_29radix_sort_onesweep_iterationIS3_Lb0EPKsPsPS5_SB_mNS0_19identity_decomposerENS1_16block_id_wrapperIjLb0EEEEE10hipError_tT1_PNSt15iterator_traitsISG_E10value_typeET2_T3_PNSH_ISM_E10value_typeET4_T5_PSR_SS_PNS1_23onesweep_lookback_stateEbbT6_jjT7_P12ihipStream_tbENKUlT_T0_SG_SL_E_clISA_SA_SB_SB_EEDaSZ_S10_SG_SL_EUlSZ_E_NS1_11comp_targetILNS1_3genE10ELNS1_11target_archE1201ELNS1_3gpuE5ELNS1_3repE0EEENS1_47radix_sort_onesweep_sort_config_static_selectorELNS0_4arch9wavefront6targetE0EEEvSG_.numbered_sgpr, 0
	.set _ZN7rocprim17ROCPRIM_400000_NS6detail17trampoline_kernelINS0_14default_configENS1_35radix_sort_onesweep_config_selectorIsNS0_10empty_typeEEEZZNS1_29radix_sort_onesweep_iterationIS3_Lb0EPKsPsPS5_SB_mNS0_19identity_decomposerENS1_16block_id_wrapperIjLb0EEEEE10hipError_tT1_PNSt15iterator_traitsISG_E10value_typeET2_T3_PNSH_ISM_E10value_typeET4_T5_PSR_SS_PNS1_23onesweep_lookback_stateEbbT6_jjT7_P12ihipStream_tbENKUlT_T0_SG_SL_E_clISA_SA_SB_SB_EEDaSZ_S10_SG_SL_EUlSZ_E_NS1_11comp_targetILNS1_3genE10ELNS1_11target_archE1201ELNS1_3gpuE5ELNS1_3repE0EEENS1_47radix_sort_onesweep_sort_config_static_selectorELNS0_4arch9wavefront6targetE0EEEvSG_.num_named_barrier, 0
	.set _ZN7rocprim17ROCPRIM_400000_NS6detail17trampoline_kernelINS0_14default_configENS1_35radix_sort_onesweep_config_selectorIsNS0_10empty_typeEEEZZNS1_29radix_sort_onesweep_iterationIS3_Lb0EPKsPsPS5_SB_mNS0_19identity_decomposerENS1_16block_id_wrapperIjLb0EEEEE10hipError_tT1_PNSt15iterator_traitsISG_E10value_typeET2_T3_PNSH_ISM_E10value_typeET4_T5_PSR_SS_PNS1_23onesweep_lookback_stateEbbT6_jjT7_P12ihipStream_tbENKUlT_T0_SG_SL_E_clISA_SA_SB_SB_EEDaSZ_S10_SG_SL_EUlSZ_E_NS1_11comp_targetILNS1_3genE10ELNS1_11target_archE1201ELNS1_3gpuE5ELNS1_3repE0EEENS1_47radix_sort_onesweep_sort_config_static_selectorELNS0_4arch9wavefront6targetE0EEEvSG_.private_seg_size, 0
	.set _ZN7rocprim17ROCPRIM_400000_NS6detail17trampoline_kernelINS0_14default_configENS1_35radix_sort_onesweep_config_selectorIsNS0_10empty_typeEEEZZNS1_29radix_sort_onesweep_iterationIS3_Lb0EPKsPsPS5_SB_mNS0_19identity_decomposerENS1_16block_id_wrapperIjLb0EEEEE10hipError_tT1_PNSt15iterator_traitsISG_E10value_typeET2_T3_PNSH_ISM_E10value_typeET4_T5_PSR_SS_PNS1_23onesweep_lookback_stateEbbT6_jjT7_P12ihipStream_tbENKUlT_T0_SG_SL_E_clISA_SA_SB_SB_EEDaSZ_S10_SG_SL_EUlSZ_E_NS1_11comp_targetILNS1_3genE10ELNS1_11target_archE1201ELNS1_3gpuE5ELNS1_3repE0EEENS1_47radix_sort_onesweep_sort_config_static_selectorELNS0_4arch9wavefront6targetE0EEEvSG_.uses_vcc, 0
	.set _ZN7rocprim17ROCPRIM_400000_NS6detail17trampoline_kernelINS0_14default_configENS1_35radix_sort_onesweep_config_selectorIsNS0_10empty_typeEEEZZNS1_29radix_sort_onesweep_iterationIS3_Lb0EPKsPsPS5_SB_mNS0_19identity_decomposerENS1_16block_id_wrapperIjLb0EEEEE10hipError_tT1_PNSt15iterator_traitsISG_E10value_typeET2_T3_PNSH_ISM_E10value_typeET4_T5_PSR_SS_PNS1_23onesweep_lookback_stateEbbT6_jjT7_P12ihipStream_tbENKUlT_T0_SG_SL_E_clISA_SA_SB_SB_EEDaSZ_S10_SG_SL_EUlSZ_E_NS1_11comp_targetILNS1_3genE10ELNS1_11target_archE1201ELNS1_3gpuE5ELNS1_3repE0EEENS1_47radix_sort_onesweep_sort_config_static_selectorELNS0_4arch9wavefront6targetE0EEEvSG_.uses_flat_scratch, 0
	.set _ZN7rocprim17ROCPRIM_400000_NS6detail17trampoline_kernelINS0_14default_configENS1_35radix_sort_onesweep_config_selectorIsNS0_10empty_typeEEEZZNS1_29radix_sort_onesweep_iterationIS3_Lb0EPKsPsPS5_SB_mNS0_19identity_decomposerENS1_16block_id_wrapperIjLb0EEEEE10hipError_tT1_PNSt15iterator_traitsISG_E10value_typeET2_T3_PNSH_ISM_E10value_typeET4_T5_PSR_SS_PNS1_23onesweep_lookback_stateEbbT6_jjT7_P12ihipStream_tbENKUlT_T0_SG_SL_E_clISA_SA_SB_SB_EEDaSZ_S10_SG_SL_EUlSZ_E_NS1_11comp_targetILNS1_3genE10ELNS1_11target_archE1201ELNS1_3gpuE5ELNS1_3repE0EEENS1_47radix_sort_onesweep_sort_config_static_selectorELNS0_4arch9wavefront6targetE0EEEvSG_.has_dyn_sized_stack, 0
	.set _ZN7rocprim17ROCPRIM_400000_NS6detail17trampoline_kernelINS0_14default_configENS1_35radix_sort_onesweep_config_selectorIsNS0_10empty_typeEEEZZNS1_29radix_sort_onesweep_iterationIS3_Lb0EPKsPsPS5_SB_mNS0_19identity_decomposerENS1_16block_id_wrapperIjLb0EEEEE10hipError_tT1_PNSt15iterator_traitsISG_E10value_typeET2_T3_PNSH_ISM_E10value_typeET4_T5_PSR_SS_PNS1_23onesweep_lookback_stateEbbT6_jjT7_P12ihipStream_tbENKUlT_T0_SG_SL_E_clISA_SA_SB_SB_EEDaSZ_S10_SG_SL_EUlSZ_E_NS1_11comp_targetILNS1_3genE10ELNS1_11target_archE1201ELNS1_3gpuE5ELNS1_3repE0EEENS1_47radix_sort_onesweep_sort_config_static_selectorELNS0_4arch9wavefront6targetE0EEEvSG_.has_recursion, 0
	.set _ZN7rocprim17ROCPRIM_400000_NS6detail17trampoline_kernelINS0_14default_configENS1_35radix_sort_onesweep_config_selectorIsNS0_10empty_typeEEEZZNS1_29radix_sort_onesweep_iterationIS3_Lb0EPKsPsPS5_SB_mNS0_19identity_decomposerENS1_16block_id_wrapperIjLb0EEEEE10hipError_tT1_PNSt15iterator_traitsISG_E10value_typeET2_T3_PNSH_ISM_E10value_typeET4_T5_PSR_SS_PNS1_23onesweep_lookback_stateEbbT6_jjT7_P12ihipStream_tbENKUlT_T0_SG_SL_E_clISA_SA_SB_SB_EEDaSZ_S10_SG_SL_EUlSZ_E_NS1_11comp_targetILNS1_3genE10ELNS1_11target_archE1201ELNS1_3gpuE5ELNS1_3repE0EEENS1_47radix_sort_onesweep_sort_config_static_selectorELNS0_4arch9wavefront6targetE0EEEvSG_.has_indirect_call, 0
	.section	.AMDGPU.csdata,"",@progbits
; Kernel info:
; codeLenInByte = 0
; TotalNumSgprs: 0
; NumVgprs: 0
; ScratchSize: 0
; MemoryBound: 0
; FloatMode: 240
; IeeeMode: 1
; LDSByteSize: 0 bytes/workgroup (compile time only)
; SGPRBlocks: 0
; VGPRBlocks: 0
; NumSGPRsForWavesPerEU: 1
; NumVGPRsForWavesPerEU: 1
; NamedBarCnt: 0
; Occupancy: 16
; WaveLimiterHint : 0
; COMPUTE_PGM_RSRC2:SCRATCH_EN: 0
; COMPUTE_PGM_RSRC2:USER_SGPR: 2
; COMPUTE_PGM_RSRC2:TRAP_HANDLER: 0
; COMPUTE_PGM_RSRC2:TGID_X_EN: 1
; COMPUTE_PGM_RSRC2:TGID_Y_EN: 0
; COMPUTE_PGM_RSRC2:TGID_Z_EN: 0
; COMPUTE_PGM_RSRC2:TIDIG_COMP_CNT: 0
	.section	.text._ZN7rocprim17ROCPRIM_400000_NS6detail17trampoline_kernelINS0_14default_configENS1_35radix_sort_onesweep_config_selectorIsNS0_10empty_typeEEEZZNS1_29radix_sort_onesweep_iterationIS3_Lb0EPKsPsPS5_SB_mNS0_19identity_decomposerENS1_16block_id_wrapperIjLb0EEEEE10hipError_tT1_PNSt15iterator_traitsISG_E10value_typeET2_T3_PNSH_ISM_E10value_typeET4_T5_PSR_SS_PNS1_23onesweep_lookback_stateEbbT6_jjT7_P12ihipStream_tbENKUlT_T0_SG_SL_E_clISA_SA_SB_SB_EEDaSZ_S10_SG_SL_EUlSZ_E_NS1_11comp_targetILNS1_3genE9ELNS1_11target_archE1100ELNS1_3gpuE3ELNS1_3repE0EEENS1_47radix_sort_onesweep_sort_config_static_selectorELNS0_4arch9wavefront6targetE0EEEvSG_,"axG",@progbits,_ZN7rocprim17ROCPRIM_400000_NS6detail17trampoline_kernelINS0_14default_configENS1_35radix_sort_onesweep_config_selectorIsNS0_10empty_typeEEEZZNS1_29radix_sort_onesweep_iterationIS3_Lb0EPKsPsPS5_SB_mNS0_19identity_decomposerENS1_16block_id_wrapperIjLb0EEEEE10hipError_tT1_PNSt15iterator_traitsISG_E10value_typeET2_T3_PNSH_ISM_E10value_typeET4_T5_PSR_SS_PNS1_23onesweep_lookback_stateEbbT6_jjT7_P12ihipStream_tbENKUlT_T0_SG_SL_E_clISA_SA_SB_SB_EEDaSZ_S10_SG_SL_EUlSZ_E_NS1_11comp_targetILNS1_3genE9ELNS1_11target_archE1100ELNS1_3gpuE3ELNS1_3repE0EEENS1_47radix_sort_onesweep_sort_config_static_selectorELNS0_4arch9wavefront6targetE0EEEvSG_,comdat
	.protected	_ZN7rocprim17ROCPRIM_400000_NS6detail17trampoline_kernelINS0_14default_configENS1_35radix_sort_onesweep_config_selectorIsNS0_10empty_typeEEEZZNS1_29radix_sort_onesweep_iterationIS3_Lb0EPKsPsPS5_SB_mNS0_19identity_decomposerENS1_16block_id_wrapperIjLb0EEEEE10hipError_tT1_PNSt15iterator_traitsISG_E10value_typeET2_T3_PNSH_ISM_E10value_typeET4_T5_PSR_SS_PNS1_23onesweep_lookback_stateEbbT6_jjT7_P12ihipStream_tbENKUlT_T0_SG_SL_E_clISA_SA_SB_SB_EEDaSZ_S10_SG_SL_EUlSZ_E_NS1_11comp_targetILNS1_3genE9ELNS1_11target_archE1100ELNS1_3gpuE3ELNS1_3repE0EEENS1_47radix_sort_onesweep_sort_config_static_selectorELNS0_4arch9wavefront6targetE0EEEvSG_ ; -- Begin function _ZN7rocprim17ROCPRIM_400000_NS6detail17trampoline_kernelINS0_14default_configENS1_35radix_sort_onesweep_config_selectorIsNS0_10empty_typeEEEZZNS1_29radix_sort_onesweep_iterationIS3_Lb0EPKsPsPS5_SB_mNS0_19identity_decomposerENS1_16block_id_wrapperIjLb0EEEEE10hipError_tT1_PNSt15iterator_traitsISG_E10value_typeET2_T3_PNSH_ISM_E10value_typeET4_T5_PSR_SS_PNS1_23onesweep_lookback_stateEbbT6_jjT7_P12ihipStream_tbENKUlT_T0_SG_SL_E_clISA_SA_SB_SB_EEDaSZ_S10_SG_SL_EUlSZ_E_NS1_11comp_targetILNS1_3genE9ELNS1_11target_archE1100ELNS1_3gpuE3ELNS1_3repE0EEENS1_47radix_sort_onesweep_sort_config_static_selectorELNS0_4arch9wavefront6targetE0EEEvSG_
	.globl	_ZN7rocprim17ROCPRIM_400000_NS6detail17trampoline_kernelINS0_14default_configENS1_35radix_sort_onesweep_config_selectorIsNS0_10empty_typeEEEZZNS1_29radix_sort_onesweep_iterationIS3_Lb0EPKsPsPS5_SB_mNS0_19identity_decomposerENS1_16block_id_wrapperIjLb0EEEEE10hipError_tT1_PNSt15iterator_traitsISG_E10value_typeET2_T3_PNSH_ISM_E10value_typeET4_T5_PSR_SS_PNS1_23onesweep_lookback_stateEbbT6_jjT7_P12ihipStream_tbENKUlT_T0_SG_SL_E_clISA_SA_SB_SB_EEDaSZ_S10_SG_SL_EUlSZ_E_NS1_11comp_targetILNS1_3genE9ELNS1_11target_archE1100ELNS1_3gpuE3ELNS1_3repE0EEENS1_47radix_sort_onesweep_sort_config_static_selectorELNS0_4arch9wavefront6targetE0EEEvSG_
	.p2align	8
	.type	_ZN7rocprim17ROCPRIM_400000_NS6detail17trampoline_kernelINS0_14default_configENS1_35radix_sort_onesweep_config_selectorIsNS0_10empty_typeEEEZZNS1_29radix_sort_onesweep_iterationIS3_Lb0EPKsPsPS5_SB_mNS0_19identity_decomposerENS1_16block_id_wrapperIjLb0EEEEE10hipError_tT1_PNSt15iterator_traitsISG_E10value_typeET2_T3_PNSH_ISM_E10value_typeET4_T5_PSR_SS_PNS1_23onesweep_lookback_stateEbbT6_jjT7_P12ihipStream_tbENKUlT_T0_SG_SL_E_clISA_SA_SB_SB_EEDaSZ_S10_SG_SL_EUlSZ_E_NS1_11comp_targetILNS1_3genE9ELNS1_11target_archE1100ELNS1_3gpuE3ELNS1_3repE0EEENS1_47radix_sort_onesweep_sort_config_static_selectorELNS0_4arch9wavefront6targetE0EEEvSG_,@function
_ZN7rocprim17ROCPRIM_400000_NS6detail17trampoline_kernelINS0_14default_configENS1_35radix_sort_onesweep_config_selectorIsNS0_10empty_typeEEEZZNS1_29radix_sort_onesweep_iterationIS3_Lb0EPKsPsPS5_SB_mNS0_19identity_decomposerENS1_16block_id_wrapperIjLb0EEEEE10hipError_tT1_PNSt15iterator_traitsISG_E10value_typeET2_T3_PNSH_ISM_E10value_typeET4_T5_PSR_SS_PNS1_23onesweep_lookback_stateEbbT6_jjT7_P12ihipStream_tbENKUlT_T0_SG_SL_E_clISA_SA_SB_SB_EEDaSZ_S10_SG_SL_EUlSZ_E_NS1_11comp_targetILNS1_3genE9ELNS1_11target_archE1100ELNS1_3gpuE3ELNS1_3repE0EEENS1_47radix_sort_onesweep_sort_config_static_selectorELNS0_4arch9wavefront6targetE0EEEvSG_: ; @_ZN7rocprim17ROCPRIM_400000_NS6detail17trampoline_kernelINS0_14default_configENS1_35radix_sort_onesweep_config_selectorIsNS0_10empty_typeEEEZZNS1_29radix_sort_onesweep_iterationIS3_Lb0EPKsPsPS5_SB_mNS0_19identity_decomposerENS1_16block_id_wrapperIjLb0EEEEE10hipError_tT1_PNSt15iterator_traitsISG_E10value_typeET2_T3_PNSH_ISM_E10value_typeET4_T5_PSR_SS_PNS1_23onesweep_lookback_stateEbbT6_jjT7_P12ihipStream_tbENKUlT_T0_SG_SL_E_clISA_SA_SB_SB_EEDaSZ_S10_SG_SL_EUlSZ_E_NS1_11comp_targetILNS1_3genE9ELNS1_11target_archE1100ELNS1_3gpuE3ELNS1_3repE0EEENS1_47radix_sort_onesweep_sort_config_static_selectorELNS0_4arch9wavefront6targetE0EEEvSG_
; %bb.0:
	.section	.rodata,"a",@progbits
	.p2align	6, 0x0
	.amdhsa_kernel _ZN7rocprim17ROCPRIM_400000_NS6detail17trampoline_kernelINS0_14default_configENS1_35radix_sort_onesweep_config_selectorIsNS0_10empty_typeEEEZZNS1_29radix_sort_onesweep_iterationIS3_Lb0EPKsPsPS5_SB_mNS0_19identity_decomposerENS1_16block_id_wrapperIjLb0EEEEE10hipError_tT1_PNSt15iterator_traitsISG_E10value_typeET2_T3_PNSH_ISM_E10value_typeET4_T5_PSR_SS_PNS1_23onesweep_lookback_stateEbbT6_jjT7_P12ihipStream_tbENKUlT_T0_SG_SL_E_clISA_SA_SB_SB_EEDaSZ_S10_SG_SL_EUlSZ_E_NS1_11comp_targetILNS1_3genE9ELNS1_11target_archE1100ELNS1_3gpuE3ELNS1_3repE0EEENS1_47radix_sort_onesweep_sort_config_static_selectorELNS0_4arch9wavefront6targetE0EEEvSG_
		.amdhsa_group_segment_fixed_size 0
		.amdhsa_private_segment_fixed_size 0
		.amdhsa_kernarg_size 88
		.amdhsa_user_sgpr_count 2
		.amdhsa_user_sgpr_dispatch_ptr 0
		.amdhsa_user_sgpr_queue_ptr 0
		.amdhsa_user_sgpr_kernarg_segment_ptr 1
		.amdhsa_user_sgpr_dispatch_id 0
		.amdhsa_user_sgpr_kernarg_preload_length 0
		.amdhsa_user_sgpr_kernarg_preload_offset 0
		.amdhsa_user_sgpr_private_segment_size 0
		.amdhsa_wavefront_size32 1
		.amdhsa_uses_dynamic_stack 0
		.amdhsa_enable_private_segment 0
		.amdhsa_system_sgpr_workgroup_id_x 1
		.amdhsa_system_sgpr_workgroup_id_y 0
		.amdhsa_system_sgpr_workgroup_id_z 0
		.amdhsa_system_sgpr_workgroup_info 0
		.amdhsa_system_vgpr_workitem_id 0
		.amdhsa_next_free_vgpr 1
		.amdhsa_next_free_sgpr 1
		.amdhsa_named_barrier_count 0
		.amdhsa_reserve_vcc 0
		.amdhsa_float_round_mode_32 0
		.amdhsa_float_round_mode_16_64 0
		.amdhsa_float_denorm_mode_32 3
		.amdhsa_float_denorm_mode_16_64 3
		.amdhsa_fp16_overflow 0
		.amdhsa_memory_ordered 1
		.amdhsa_forward_progress 1
		.amdhsa_inst_pref_size 0
		.amdhsa_round_robin_scheduling 0
		.amdhsa_exception_fp_ieee_invalid_op 0
		.amdhsa_exception_fp_denorm_src 0
		.amdhsa_exception_fp_ieee_div_zero 0
		.amdhsa_exception_fp_ieee_overflow 0
		.amdhsa_exception_fp_ieee_underflow 0
		.amdhsa_exception_fp_ieee_inexact 0
		.amdhsa_exception_int_div_zero 0
	.end_amdhsa_kernel
	.section	.text._ZN7rocprim17ROCPRIM_400000_NS6detail17trampoline_kernelINS0_14default_configENS1_35radix_sort_onesweep_config_selectorIsNS0_10empty_typeEEEZZNS1_29radix_sort_onesweep_iterationIS3_Lb0EPKsPsPS5_SB_mNS0_19identity_decomposerENS1_16block_id_wrapperIjLb0EEEEE10hipError_tT1_PNSt15iterator_traitsISG_E10value_typeET2_T3_PNSH_ISM_E10value_typeET4_T5_PSR_SS_PNS1_23onesweep_lookback_stateEbbT6_jjT7_P12ihipStream_tbENKUlT_T0_SG_SL_E_clISA_SA_SB_SB_EEDaSZ_S10_SG_SL_EUlSZ_E_NS1_11comp_targetILNS1_3genE9ELNS1_11target_archE1100ELNS1_3gpuE3ELNS1_3repE0EEENS1_47radix_sort_onesweep_sort_config_static_selectorELNS0_4arch9wavefront6targetE0EEEvSG_,"axG",@progbits,_ZN7rocprim17ROCPRIM_400000_NS6detail17trampoline_kernelINS0_14default_configENS1_35radix_sort_onesweep_config_selectorIsNS0_10empty_typeEEEZZNS1_29radix_sort_onesweep_iterationIS3_Lb0EPKsPsPS5_SB_mNS0_19identity_decomposerENS1_16block_id_wrapperIjLb0EEEEE10hipError_tT1_PNSt15iterator_traitsISG_E10value_typeET2_T3_PNSH_ISM_E10value_typeET4_T5_PSR_SS_PNS1_23onesweep_lookback_stateEbbT6_jjT7_P12ihipStream_tbENKUlT_T0_SG_SL_E_clISA_SA_SB_SB_EEDaSZ_S10_SG_SL_EUlSZ_E_NS1_11comp_targetILNS1_3genE9ELNS1_11target_archE1100ELNS1_3gpuE3ELNS1_3repE0EEENS1_47radix_sort_onesweep_sort_config_static_selectorELNS0_4arch9wavefront6targetE0EEEvSG_,comdat
.Lfunc_end747:
	.size	_ZN7rocprim17ROCPRIM_400000_NS6detail17trampoline_kernelINS0_14default_configENS1_35radix_sort_onesweep_config_selectorIsNS0_10empty_typeEEEZZNS1_29radix_sort_onesweep_iterationIS3_Lb0EPKsPsPS5_SB_mNS0_19identity_decomposerENS1_16block_id_wrapperIjLb0EEEEE10hipError_tT1_PNSt15iterator_traitsISG_E10value_typeET2_T3_PNSH_ISM_E10value_typeET4_T5_PSR_SS_PNS1_23onesweep_lookback_stateEbbT6_jjT7_P12ihipStream_tbENKUlT_T0_SG_SL_E_clISA_SA_SB_SB_EEDaSZ_S10_SG_SL_EUlSZ_E_NS1_11comp_targetILNS1_3genE9ELNS1_11target_archE1100ELNS1_3gpuE3ELNS1_3repE0EEENS1_47radix_sort_onesweep_sort_config_static_selectorELNS0_4arch9wavefront6targetE0EEEvSG_, .Lfunc_end747-_ZN7rocprim17ROCPRIM_400000_NS6detail17trampoline_kernelINS0_14default_configENS1_35radix_sort_onesweep_config_selectorIsNS0_10empty_typeEEEZZNS1_29radix_sort_onesweep_iterationIS3_Lb0EPKsPsPS5_SB_mNS0_19identity_decomposerENS1_16block_id_wrapperIjLb0EEEEE10hipError_tT1_PNSt15iterator_traitsISG_E10value_typeET2_T3_PNSH_ISM_E10value_typeET4_T5_PSR_SS_PNS1_23onesweep_lookback_stateEbbT6_jjT7_P12ihipStream_tbENKUlT_T0_SG_SL_E_clISA_SA_SB_SB_EEDaSZ_S10_SG_SL_EUlSZ_E_NS1_11comp_targetILNS1_3genE9ELNS1_11target_archE1100ELNS1_3gpuE3ELNS1_3repE0EEENS1_47radix_sort_onesweep_sort_config_static_selectorELNS0_4arch9wavefront6targetE0EEEvSG_
                                        ; -- End function
	.set _ZN7rocprim17ROCPRIM_400000_NS6detail17trampoline_kernelINS0_14default_configENS1_35radix_sort_onesweep_config_selectorIsNS0_10empty_typeEEEZZNS1_29radix_sort_onesweep_iterationIS3_Lb0EPKsPsPS5_SB_mNS0_19identity_decomposerENS1_16block_id_wrapperIjLb0EEEEE10hipError_tT1_PNSt15iterator_traitsISG_E10value_typeET2_T3_PNSH_ISM_E10value_typeET4_T5_PSR_SS_PNS1_23onesweep_lookback_stateEbbT6_jjT7_P12ihipStream_tbENKUlT_T0_SG_SL_E_clISA_SA_SB_SB_EEDaSZ_S10_SG_SL_EUlSZ_E_NS1_11comp_targetILNS1_3genE9ELNS1_11target_archE1100ELNS1_3gpuE3ELNS1_3repE0EEENS1_47radix_sort_onesweep_sort_config_static_selectorELNS0_4arch9wavefront6targetE0EEEvSG_.num_vgpr, 0
	.set _ZN7rocprim17ROCPRIM_400000_NS6detail17trampoline_kernelINS0_14default_configENS1_35radix_sort_onesweep_config_selectorIsNS0_10empty_typeEEEZZNS1_29radix_sort_onesweep_iterationIS3_Lb0EPKsPsPS5_SB_mNS0_19identity_decomposerENS1_16block_id_wrapperIjLb0EEEEE10hipError_tT1_PNSt15iterator_traitsISG_E10value_typeET2_T3_PNSH_ISM_E10value_typeET4_T5_PSR_SS_PNS1_23onesweep_lookback_stateEbbT6_jjT7_P12ihipStream_tbENKUlT_T0_SG_SL_E_clISA_SA_SB_SB_EEDaSZ_S10_SG_SL_EUlSZ_E_NS1_11comp_targetILNS1_3genE9ELNS1_11target_archE1100ELNS1_3gpuE3ELNS1_3repE0EEENS1_47radix_sort_onesweep_sort_config_static_selectorELNS0_4arch9wavefront6targetE0EEEvSG_.num_agpr, 0
	.set _ZN7rocprim17ROCPRIM_400000_NS6detail17trampoline_kernelINS0_14default_configENS1_35radix_sort_onesweep_config_selectorIsNS0_10empty_typeEEEZZNS1_29radix_sort_onesweep_iterationIS3_Lb0EPKsPsPS5_SB_mNS0_19identity_decomposerENS1_16block_id_wrapperIjLb0EEEEE10hipError_tT1_PNSt15iterator_traitsISG_E10value_typeET2_T3_PNSH_ISM_E10value_typeET4_T5_PSR_SS_PNS1_23onesweep_lookback_stateEbbT6_jjT7_P12ihipStream_tbENKUlT_T0_SG_SL_E_clISA_SA_SB_SB_EEDaSZ_S10_SG_SL_EUlSZ_E_NS1_11comp_targetILNS1_3genE9ELNS1_11target_archE1100ELNS1_3gpuE3ELNS1_3repE0EEENS1_47radix_sort_onesweep_sort_config_static_selectorELNS0_4arch9wavefront6targetE0EEEvSG_.numbered_sgpr, 0
	.set _ZN7rocprim17ROCPRIM_400000_NS6detail17trampoline_kernelINS0_14default_configENS1_35radix_sort_onesweep_config_selectorIsNS0_10empty_typeEEEZZNS1_29radix_sort_onesweep_iterationIS3_Lb0EPKsPsPS5_SB_mNS0_19identity_decomposerENS1_16block_id_wrapperIjLb0EEEEE10hipError_tT1_PNSt15iterator_traitsISG_E10value_typeET2_T3_PNSH_ISM_E10value_typeET4_T5_PSR_SS_PNS1_23onesweep_lookback_stateEbbT6_jjT7_P12ihipStream_tbENKUlT_T0_SG_SL_E_clISA_SA_SB_SB_EEDaSZ_S10_SG_SL_EUlSZ_E_NS1_11comp_targetILNS1_3genE9ELNS1_11target_archE1100ELNS1_3gpuE3ELNS1_3repE0EEENS1_47radix_sort_onesweep_sort_config_static_selectorELNS0_4arch9wavefront6targetE0EEEvSG_.num_named_barrier, 0
	.set _ZN7rocprim17ROCPRIM_400000_NS6detail17trampoline_kernelINS0_14default_configENS1_35radix_sort_onesweep_config_selectorIsNS0_10empty_typeEEEZZNS1_29radix_sort_onesweep_iterationIS3_Lb0EPKsPsPS5_SB_mNS0_19identity_decomposerENS1_16block_id_wrapperIjLb0EEEEE10hipError_tT1_PNSt15iterator_traitsISG_E10value_typeET2_T3_PNSH_ISM_E10value_typeET4_T5_PSR_SS_PNS1_23onesweep_lookback_stateEbbT6_jjT7_P12ihipStream_tbENKUlT_T0_SG_SL_E_clISA_SA_SB_SB_EEDaSZ_S10_SG_SL_EUlSZ_E_NS1_11comp_targetILNS1_3genE9ELNS1_11target_archE1100ELNS1_3gpuE3ELNS1_3repE0EEENS1_47radix_sort_onesweep_sort_config_static_selectorELNS0_4arch9wavefront6targetE0EEEvSG_.private_seg_size, 0
	.set _ZN7rocprim17ROCPRIM_400000_NS6detail17trampoline_kernelINS0_14default_configENS1_35radix_sort_onesweep_config_selectorIsNS0_10empty_typeEEEZZNS1_29radix_sort_onesweep_iterationIS3_Lb0EPKsPsPS5_SB_mNS0_19identity_decomposerENS1_16block_id_wrapperIjLb0EEEEE10hipError_tT1_PNSt15iterator_traitsISG_E10value_typeET2_T3_PNSH_ISM_E10value_typeET4_T5_PSR_SS_PNS1_23onesweep_lookback_stateEbbT6_jjT7_P12ihipStream_tbENKUlT_T0_SG_SL_E_clISA_SA_SB_SB_EEDaSZ_S10_SG_SL_EUlSZ_E_NS1_11comp_targetILNS1_3genE9ELNS1_11target_archE1100ELNS1_3gpuE3ELNS1_3repE0EEENS1_47radix_sort_onesweep_sort_config_static_selectorELNS0_4arch9wavefront6targetE0EEEvSG_.uses_vcc, 0
	.set _ZN7rocprim17ROCPRIM_400000_NS6detail17trampoline_kernelINS0_14default_configENS1_35radix_sort_onesweep_config_selectorIsNS0_10empty_typeEEEZZNS1_29radix_sort_onesweep_iterationIS3_Lb0EPKsPsPS5_SB_mNS0_19identity_decomposerENS1_16block_id_wrapperIjLb0EEEEE10hipError_tT1_PNSt15iterator_traitsISG_E10value_typeET2_T3_PNSH_ISM_E10value_typeET4_T5_PSR_SS_PNS1_23onesweep_lookback_stateEbbT6_jjT7_P12ihipStream_tbENKUlT_T0_SG_SL_E_clISA_SA_SB_SB_EEDaSZ_S10_SG_SL_EUlSZ_E_NS1_11comp_targetILNS1_3genE9ELNS1_11target_archE1100ELNS1_3gpuE3ELNS1_3repE0EEENS1_47radix_sort_onesweep_sort_config_static_selectorELNS0_4arch9wavefront6targetE0EEEvSG_.uses_flat_scratch, 0
	.set _ZN7rocprim17ROCPRIM_400000_NS6detail17trampoline_kernelINS0_14default_configENS1_35radix_sort_onesweep_config_selectorIsNS0_10empty_typeEEEZZNS1_29radix_sort_onesweep_iterationIS3_Lb0EPKsPsPS5_SB_mNS0_19identity_decomposerENS1_16block_id_wrapperIjLb0EEEEE10hipError_tT1_PNSt15iterator_traitsISG_E10value_typeET2_T3_PNSH_ISM_E10value_typeET4_T5_PSR_SS_PNS1_23onesweep_lookback_stateEbbT6_jjT7_P12ihipStream_tbENKUlT_T0_SG_SL_E_clISA_SA_SB_SB_EEDaSZ_S10_SG_SL_EUlSZ_E_NS1_11comp_targetILNS1_3genE9ELNS1_11target_archE1100ELNS1_3gpuE3ELNS1_3repE0EEENS1_47radix_sort_onesweep_sort_config_static_selectorELNS0_4arch9wavefront6targetE0EEEvSG_.has_dyn_sized_stack, 0
	.set _ZN7rocprim17ROCPRIM_400000_NS6detail17trampoline_kernelINS0_14default_configENS1_35radix_sort_onesweep_config_selectorIsNS0_10empty_typeEEEZZNS1_29radix_sort_onesweep_iterationIS3_Lb0EPKsPsPS5_SB_mNS0_19identity_decomposerENS1_16block_id_wrapperIjLb0EEEEE10hipError_tT1_PNSt15iterator_traitsISG_E10value_typeET2_T3_PNSH_ISM_E10value_typeET4_T5_PSR_SS_PNS1_23onesweep_lookback_stateEbbT6_jjT7_P12ihipStream_tbENKUlT_T0_SG_SL_E_clISA_SA_SB_SB_EEDaSZ_S10_SG_SL_EUlSZ_E_NS1_11comp_targetILNS1_3genE9ELNS1_11target_archE1100ELNS1_3gpuE3ELNS1_3repE0EEENS1_47radix_sort_onesweep_sort_config_static_selectorELNS0_4arch9wavefront6targetE0EEEvSG_.has_recursion, 0
	.set _ZN7rocprim17ROCPRIM_400000_NS6detail17trampoline_kernelINS0_14default_configENS1_35radix_sort_onesweep_config_selectorIsNS0_10empty_typeEEEZZNS1_29radix_sort_onesweep_iterationIS3_Lb0EPKsPsPS5_SB_mNS0_19identity_decomposerENS1_16block_id_wrapperIjLb0EEEEE10hipError_tT1_PNSt15iterator_traitsISG_E10value_typeET2_T3_PNSH_ISM_E10value_typeET4_T5_PSR_SS_PNS1_23onesweep_lookback_stateEbbT6_jjT7_P12ihipStream_tbENKUlT_T0_SG_SL_E_clISA_SA_SB_SB_EEDaSZ_S10_SG_SL_EUlSZ_E_NS1_11comp_targetILNS1_3genE9ELNS1_11target_archE1100ELNS1_3gpuE3ELNS1_3repE0EEENS1_47radix_sort_onesweep_sort_config_static_selectorELNS0_4arch9wavefront6targetE0EEEvSG_.has_indirect_call, 0
	.section	.AMDGPU.csdata,"",@progbits
; Kernel info:
; codeLenInByte = 0
; TotalNumSgprs: 0
; NumVgprs: 0
; ScratchSize: 0
; MemoryBound: 0
; FloatMode: 240
; IeeeMode: 1
; LDSByteSize: 0 bytes/workgroup (compile time only)
; SGPRBlocks: 0
; VGPRBlocks: 0
; NumSGPRsForWavesPerEU: 1
; NumVGPRsForWavesPerEU: 1
; NamedBarCnt: 0
; Occupancy: 16
; WaveLimiterHint : 0
; COMPUTE_PGM_RSRC2:SCRATCH_EN: 0
; COMPUTE_PGM_RSRC2:USER_SGPR: 2
; COMPUTE_PGM_RSRC2:TRAP_HANDLER: 0
; COMPUTE_PGM_RSRC2:TGID_X_EN: 1
; COMPUTE_PGM_RSRC2:TGID_Y_EN: 0
; COMPUTE_PGM_RSRC2:TGID_Z_EN: 0
; COMPUTE_PGM_RSRC2:TIDIG_COMP_CNT: 0
	.section	.text._ZN7rocprim17ROCPRIM_400000_NS6detail17trampoline_kernelINS0_14default_configENS1_35radix_sort_onesweep_config_selectorIsNS0_10empty_typeEEEZZNS1_29radix_sort_onesweep_iterationIS3_Lb0EPKsPsPS5_SB_mNS0_19identity_decomposerENS1_16block_id_wrapperIjLb0EEEEE10hipError_tT1_PNSt15iterator_traitsISG_E10value_typeET2_T3_PNSH_ISM_E10value_typeET4_T5_PSR_SS_PNS1_23onesweep_lookback_stateEbbT6_jjT7_P12ihipStream_tbENKUlT_T0_SG_SL_E_clISA_SA_SB_SB_EEDaSZ_S10_SG_SL_EUlSZ_E_NS1_11comp_targetILNS1_3genE8ELNS1_11target_archE1030ELNS1_3gpuE2ELNS1_3repE0EEENS1_47radix_sort_onesweep_sort_config_static_selectorELNS0_4arch9wavefront6targetE0EEEvSG_,"axG",@progbits,_ZN7rocprim17ROCPRIM_400000_NS6detail17trampoline_kernelINS0_14default_configENS1_35radix_sort_onesweep_config_selectorIsNS0_10empty_typeEEEZZNS1_29radix_sort_onesweep_iterationIS3_Lb0EPKsPsPS5_SB_mNS0_19identity_decomposerENS1_16block_id_wrapperIjLb0EEEEE10hipError_tT1_PNSt15iterator_traitsISG_E10value_typeET2_T3_PNSH_ISM_E10value_typeET4_T5_PSR_SS_PNS1_23onesweep_lookback_stateEbbT6_jjT7_P12ihipStream_tbENKUlT_T0_SG_SL_E_clISA_SA_SB_SB_EEDaSZ_S10_SG_SL_EUlSZ_E_NS1_11comp_targetILNS1_3genE8ELNS1_11target_archE1030ELNS1_3gpuE2ELNS1_3repE0EEENS1_47radix_sort_onesweep_sort_config_static_selectorELNS0_4arch9wavefront6targetE0EEEvSG_,comdat
	.protected	_ZN7rocprim17ROCPRIM_400000_NS6detail17trampoline_kernelINS0_14default_configENS1_35radix_sort_onesweep_config_selectorIsNS0_10empty_typeEEEZZNS1_29radix_sort_onesweep_iterationIS3_Lb0EPKsPsPS5_SB_mNS0_19identity_decomposerENS1_16block_id_wrapperIjLb0EEEEE10hipError_tT1_PNSt15iterator_traitsISG_E10value_typeET2_T3_PNSH_ISM_E10value_typeET4_T5_PSR_SS_PNS1_23onesweep_lookback_stateEbbT6_jjT7_P12ihipStream_tbENKUlT_T0_SG_SL_E_clISA_SA_SB_SB_EEDaSZ_S10_SG_SL_EUlSZ_E_NS1_11comp_targetILNS1_3genE8ELNS1_11target_archE1030ELNS1_3gpuE2ELNS1_3repE0EEENS1_47radix_sort_onesweep_sort_config_static_selectorELNS0_4arch9wavefront6targetE0EEEvSG_ ; -- Begin function _ZN7rocprim17ROCPRIM_400000_NS6detail17trampoline_kernelINS0_14default_configENS1_35radix_sort_onesweep_config_selectorIsNS0_10empty_typeEEEZZNS1_29radix_sort_onesweep_iterationIS3_Lb0EPKsPsPS5_SB_mNS0_19identity_decomposerENS1_16block_id_wrapperIjLb0EEEEE10hipError_tT1_PNSt15iterator_traitsISG_E10value_typeET2_T3_PNSH_ISM_E10value_typeET4_T5_PSR_SS_PNS1_23onesweep_lookback_stateEbbT6_jjT7_P12ihipStream_tbENKUlT_T0_SG_SL_E_clISA_SA_SB_SB_EEDaSZ_S10_SG_SL_EUlSZ_E_NS1_11comp_targetILNS1_3genE8ELNS1_11target_archE1030ELNS1_3gpuE2ELNS1_3repE0EEENS1_47radix_sort_onesweep_sort_config_static_selectorELNS0_4arch9wavefront6targetE0EEEvSG_
	.globl	_ZN7rocprim17ROCPRIM_400000_NS6detail17trampoline_kernelINS0_14default_configENS1_35radix_sort_onesweep_config_selectorIsNS0_10empty_typeEEEZZNS1_29radix_sort_onesweep_iterationIS3_Lb0EPKsPsPS5_SB_mNS0_19identity_decomposerENS1_16block_id_wrapperIjLb0EEEEE10hipError_tT1_PNSt15iterator_traitsISG_E10value_typeET2_T3_PNSH_ISM_E10value_typeET4_T5_PSR_SS_PNS1_23onesweep_lookback_stateEbbT6_jjT7_P12ihipStream_tbENKUlT_T0_SG_SL_E_clISA_SA_SB_SB_EEDaSZ_S10_SG_SL_EUlSZ_E_NS1_11comp_targetILNS1_3genE8ELNS1_11target_archE1030ELNS1_3gpuE2ELNS1_3repE0EEENS1_47radix_sort_onesweep_sort_config_static_selectorELNS0_4arch9wavefront6targetE0EEEvSG_
	.p2align	8
	.type	_ZN7rocprim17ROCPRIM_400000_NS6detail17trampoline_kernelINS0_14default_configENS1_35radix_sort_onesweep_config_selectorIsNS0_10empty_typeEEEZZNS1_29radix_sort_onesweep_iterationIS3_Lb0EPKsPsPS5_SB_mNS0_19identity_decomposerENS1_16block_id_wrapperIjLb0EEEEE10hipError_tT1_PNSt15iterator_traitsISG_E10value_typeET2_T3_PNSH_ISM_E10value_typeET4_T5_PSR_SS_PNS1_23onesweep_lookback_stateEbbT6_jjT7_P12ihipStream_tbENKUlT_T0_SG_SL_E_clISA_SA_SB_SB_EEDaSZ_S10_SG_SL_EUlSZ_E_NS1_11comp_targetILNS1_3genE8ELNS1_11target_archE1030ELNS1_3gpuE2ELNS1_3repE0EEENS1_47radix_sort_onesweep_sort_config_static_selectorELNS0_4arch9wavefront6targetE0EEEvSG_,@function
_ZN7rocprim17ROCPRIM_400000_NS6detail17trampoline_kernelINS0_14default_configENS1_35radix_sort_onesweep_config_selectorIsNS0_10empty_typeEEEZZNS1_29radix_sort_onesweep_iterationIS3_Lb0EPKsPsPS5_SB_mNS0_19identity_decomposerENS1_16block_id_wrapperIjLb0EEEEE10hipError_tT1_PNSt15iterator_traitsISG_E10value_typeET2_T3_PNSH_ISM_E10value_typeET4_T5_PSR_SS_PNS1_23onesweep_lookback_stateEbbT6_jjT7_P12ihipStream_tbENKUlT_T0_SG_SL_E_clISA_SA_SB_SB_EEDaSZ_S10_SG_SL_EUlSZ_E_NS1_11comp_targetILNS1_3genE8ELNS1_11target_archE1030ELNS1_3gpuE2ELNS1_3repE0EEENS1_47radix_sort_onesweep_sort_config_static_selectorELNS0_4arch9wavefront6targetE0EEEvSG_: ; @_ZN7rocprim17ROCPRIM_400000_NS6detail17trampoline_kernelINS0_14default_configENS1_35radix_sort_onesweep_config_selectorIsNS0_10empty_typeEEEZZNS1_29radix_sort_onesweep_iterationIS3_Lb0EPKsPsPS5_SB_mNS0_19identity_decomposerENS1_16block_id_wrapperIjLb0EEEEE10hipError_tT1_PNSt15iterator_traitsISG_E10value_typeET2_T3_PNSH_ISM_E10value_typeET4_T5_PSR_SS_PNS1_23onesweep_lookback_stateEbbT6_jjT7_P12ihipStream_tbENKUlT_T0_SG_SL_E_clISA_SA_SB_SB_EEDaSZ_S10_SG_SL_EUlSZ_E_NS1_11comp_targetILNS1_3genE8ELNS1_11target_archE1030ELNS1_3gpuE2ELNS1_3repE0EEENS1_47radix_sort_onesweep_sort_config_static_selectorELNS0_4arch9wavefront6targetE0EEEvSG_
; %bb.0:
	.section	.rodata,"a",@progbits
	.p2align	6, 0x0
	.amdhsa_kernel _ZN7rocprim17ROCPRIM_400000_NS6detail17trampoline_kernelINS0_14default_configENS1_35radix_sort_onesweep_config_selectorIsNS0_10empty_typeEEEZZNS1_29radix_sort_onesweep_iterationIS3_Lb0EPKsPsPS5_SB_mNS0_19identity_decomposerENS1_16block_id_wrapperIjLb0EEEEE10hipError_tT1_PNSt15iterator_traitsISG_E10value_typeET2_T3_PNSH_ISM_E10value_typeET4_T5_PSR_SS_PNS1_23onesweep_lookback_stateEbbT6_jjT7_P12ihipStream_tbENKUlT_T0_SG_SL_E_clISA_SA_SB_SB_EEDaSZ_S10_SG_SL_EUlSZ_E_NS1_11comp_targetILNS1_3genE8ELNS1_11target_archE1030ELNS1_3gpuE2ELNS1_3repE0EEENS1_47radix_sort_onesweep_sort_config_static_selectorELNS0_4arch9wavefront6targetE0EEEvSG_
		.amdhsa_group_segment_fixed_size 0
		.amdhsa_private_segment_fixed_size 0
		.amdhsa_kernarg_size 88
		.amdhsa_user_sgpr_count 2
		.amdhsa_user_sgpr_dispatch_ptr 0
		.amdhsa_user_sgpr_queue_ptr 0
		.amdhsa_user_sgpr_kernarg_segment_ptr 1
		.amdhsa_user_sgpr_dispatch_id 0
		.amdhsa_user_sgpr_kernarg_preload_length 0
		.amdhsa_user_sgpr_kernarg_preload_offset 0
		.amdhsa_user_sgpr_private_segment_size 0
		.amdhsa_wavefront_size32 1
		.amdhsa_uses_dynamic_stack 0
		.amdhsa_enable_private_segment 0
		.amdhsa_system_sgpr_workgroup_id_x 1
		.amdhsa_system_sgpr_workgroup_id_y 0
		.amdhsa_system_sgpr_workgroup_id_z 0
		.amdhsa_system_sgpr_workgroup_info 0
		.amdhsa_system_vgpr_workitem_id 0
		.amdhsa_next_free_vgpr 1
		.amdhsa_next_free_sgpr 1
		.amdhsa_named_barrier_count 0
		.amdhsa_reserve_vcc 0
		.amdhsa_float_round_mode_32 0
		.amdhsa_float_round_mode_16_64 0
		.amdhsa_float_denorm_mode_32 3
		.amdhsa_float_denorm_mode_16_64 3
		.amdhsa_fp16_overflow 0
		.amdhsa_memory_ordered 1
		.amdhsa_forward_progress 1
		.amdhsa_inst_pref_size 0
		.amdhsa_round_robin_scheduling 0
		.amdhsa_exception_fp_ieee_invalid_op 0
		.amdhsa_exception_fp_denorm_src 0
		.amdhsa_exception_fp_ieee_div_zero 0
		.amdhsa_exception_fp_ieee_overflow 0
		.amdhsa_exception_fp_ieee_underflow 0
		.amdhsa_exception_fp_ieee_inexact 0
		.amdhsa_exception_int_div_zero 0
	.end_amdhsa_kernel
	.section	.text._ZN7rocprim17ROCPRIM_400000_NS6detail17trampoline_kernelINS0_14default_configENS1_35radix_sort_onesweep_config_selectorIsNS0_10empty_typeEEEZZNS1_29radix_sort_onesweep_iterationIS3_Lb0EPKsPsPS5_SB_mNS0_19identity_decomposerENS1_16block_id_wrapperIjLb0EEEEE10hipError_tT1_PNSt15iterator_traitsISG_E10value_typeET2_T3_PNSH_ISM_E10value_typeET4_T5_PSR_SS_PNS1_23onesweep_lookback_stateEbbT6_jjT7_P12ihipStream_tbENKUlT_T0_SG_SL_E_clISA_SA_SB_SB_EEDaSZ_S10_SG_SL_EUlSZ_E_NS1_11comp_targetILNS1_3genE8ELNS1_11target_archE1030ELNS1_3gpuE2ELNS1_3repE0EEENS1_47radix_sort_onesweep_sort_config_static_selectorELNS0_4arch9wavefront6targetE0EEEvSG_,"axG",@progbits,_ZN7rocprim17ROCPRIM_400000_NS6detail17trampoline_kernelINS0_14default_configENS1_35radix_sort_onesweep_config_selectorIsNS0_10empty_typeEEEZZNS1_29radix_sort_onesweep_iterationIS3_Lb0EPKsPsPS5_SB_mNS0_19identity_decomposerENS1_16block_id_wrapperIjLb0EEEEE10hipError_tT1_PNSt15iterator_traitsISG_E10value_typeET2_T3_PNSH_ISM_E10value_typeET4_T5_PSR_SS_PNS1_23onesweep_lookback_stateEbbT6_jjT7_P12ihipStream_tbENKUlT_T0_SG_SL_E_clISA_SA_SB_SB_EEDaSZ_S10_SG_SL_EUlSZ_E_NS1_11comp_targetILNS1_3genE8ELNS1_11target_archE1030ELNS1_3gpuE2ELNS1_3repE0EEENS1_47radix_sort_onesweep_sort_config_static_selectorELNS0_4arch9wavefront6targetE0EEEvSG_,comdat
.Lfunc_end748:
	.size	_ZN7rocprim17ROCPRIM_400000_NS6detail17trampoline_kernelINS0_14default_configENS1_35radix_sort_onesweep_config_selectorIsNS0_10empty_typeEEEZZNS1_29radix_sort_onesweep_iterationIS3_Lb0EPKsPsPS5_SB_mNS0_19identity_decomposerENS1_16block_id_wrapperIjLb0EEEEE10hipError_tT1_PNSt15iterator_traitsISG_E10value_typeET2_T3_PNSH_ISM_E10value_typeET4_T5_PSR_SS_PNS1_23onesweep_lookback_stateEbbT6_jjT7_P12ihipStream_tbENKUlT_T0_SG_SL_E_clISA_SA_SB_SB_EEDaSZ_S10_SG_SL_EUlSZ_E_NS1_11comp_targetILNS1_3genE8ELNS1_11target_archE1030ELNS1_3gpuE2ELNS1_3repE0EEENS1_47radix_sort_onesweep_sort_config_static_selectorELNS0_4arch9wavefront6targetE0EEEvSG_, .Lfunc_end748-_ZN7rocprim17ROCPRIM_400000_NS6detail17trampoline_kernelINS0_14default_configENS1_35radix_sort_onesweep_config_selectorIsNS0_10empty_typeEEEZZNS1_29radix_sort_onesweep_iterationIS3_Lb0EPKsPsPS5_SB_mNS0_19identity_decomposerENS1_16block_id_wrapperIjLb0EEEEE10hipError_tT1_PNSt15iterator_traitsISG_E10value_typeET2_T3_PNSH_ISM_E10value_typeET4_T5_PSR_SS_PNS1_23onesweep_lookback_stateEbbT6_jjT7_P12ihipStream_tbENKUlT_T0_SG_SL_E_clISA_SA_SB_SB_EEDaSZ_S10_SG_SL_EUlSZ_E_NS1_11comp_targetILNS1_3genE8ELNS1_11target_archE1030ELNS1_3gpuE2ELNS1_3repE0EEENS1_47radix_sort_onesweep_sort_config_static_selectorELNS0_4arch9wavefront6targetE0EEEvSG_
                                        ; -- End function
	.set _ZN7rocprim17ROCPRIM_400000_NS6detail17trampoline_kernelINS0_14default_configENS1_35radix_sort_onesweep_config_selectorIsNS0_10empty_typeEEEZZNS1_29radix_sort_onesweep_iterationIS3_Lb0EPKsPsPS5_SB_mNS0_19identity_decomposerENS1_16block_id_wrapperIjLb0EEEEE10hipError_tT1_PNSt15iterator_traitsISG_E10value_typeET2_T3_PNSH_ISM_E10value_typeET4_T5_PSR_SS_PNS1_23onesweep_lookback_stateEbbT6_jjT7_P12ihipStream_tbENKUlT_T0_SG_SL_E_clISA_SA_SB_SB_EEDaSZ_S10_SG_SL_EUlSZ_E_NS1_11comp_targetILNS1_3genE8ELNS1_11target_archE1030ELNS1_3gpuE2ELNS1_3repE0EEENS1_47radix_sort_onesweep_sort_config_static_selectorELNS0_4arch9wavefront6targetE0EEEvSG_.num_vgpr, 0
	.set _ZN7rocprim17ROCPRIM_400000_NS6detail17trampoline_kernelINS0_14default_configENS1_35radix_sort_onesweep_config_selectorIsNS0_10empty_typeEEEZZNS1_29radix_sort_onesweep_iterationIS3_Lb0EPKsPsPS5_SB_mNS0_19identity_decomposerENS1_16block_id_wrapperIjLb0EEEEE10hipError_tT1_PNSt15iterator_traitsISG_E10value_typeET2_T3_PNSH_ISM_E10value_typeET4_T5_PSR_SS_PNS1_23onesweep_lookback_stateEbbT6_jjT7_P12ihipStream_tbENKUlT_T0_SG_SL_E_clISA_SA_SB_SB_EEDaSZ_S10_SG_SL_EUlSZ_E_NS1_11comp_targetILNS1_3genE8ELNS1_11target_archE1030ELNS1_3gpuE2ELNS1_3repE0EEENS1_47radix_sort_onesweep_sort_config_static_selectorELNS0_4arch9wavefront6targetE0EEEvSG_.num_agpr, 0
	.set _ZN7rocprim17ROCPRIM_400000_NS6detail17trampoline_kernelINS0_14default_configENS1_35radix_sort_onesweep_config_selectorIsNS0_10empty_typeEEEZZNS1_29radix_sort_onesweep_iterationIS3_Lb0EPKsPsPS5_SB_mNS0_19identity_decomposerENS1_16block_id_wrapperIjLb0EEEEE10hipError_tT1_PNSt15iterator_traitsISG_E10value_typeET2_T3_PNSH_ISM_E10value_typeET4_T5_PSR_SS_PNS1_23onesweep_lookback_stateEbbT6_jjT7_P12ihipStream_tbENKUlT_T0_SG_SL_E_clISA_SA_SB_SB_EEDaSZ_S10_SG_SL_EUlSZ_E_NS1_11comp_targetILNS1_3genE8ELNS1_11target_archE1030ELNS1_3gpuE2ELNS1_3repE0EEENS1_47radix_sort_onesweep_sort_config_static_selectorELNS0_4arch9wavefront6targetE0EEEvSG_.numbered_sgpr, 0
	.set _ZN7rocprim17ROCPRIM_400000_NS6detail17trampoline_kernelINS0_14default_configENS1_35radix_sort_onesweep_config_selectorIsNS0_10empty_typeEEEZZNS1_29radix_sort_onesweep_iterationIS3_Lb0EPKsPsPS5_SB_mNS0_19identity_decomposerENS1_16block_id_wrapperIjLb0EEEEE10hipError_tT1_PNSt15iterator_traitsISG_E10value_typeET2_T3_PNSH_ISM_E10value_typeET4_T5_PSR_SS_PNS1_23onesweep_lookback_stateEbbT6_jjT7_P12ihipStream_tbENKUlT_T0_SG_SL_E_clISA_SA_SB_SB_EEDaSZ_S10_SG_SL_EUlSZ_E_NS1_11comp_targetILNS1_3genE8ELNS1_11target_archE1030ELNS1_3gpuE2ELNS1_3repE0EEENS1_47radix_sort_onesweep_sort_config_static_selectorELNS0_4arch9wavefront6targetE0EEEvSG_.num_named_barrier, 0
	.set _ZN7rocprim17ROCPRIM_400000_NS6detail17trampoline_kernelINS0_14default_configENS1_35radix_sort_onesweep_config_selectorIsNS0_10empty_typeEEEZZNS1_29radix_sort_onesweep_iterationIS3_Lb0EPKsPsPS5_SB_mNS0_19identity_decomposerENS1_16block_id_wrapperIjLb0EEEEE10hipError_tT1_PNSt15iterator_traitsISG_E10value_typeET2_T3_PNSH_ISM_E10value_typeET4_T5_PSR_SS_PNS1_23onesweep_lookback_stateEbbT6_jjT7_P12ihipStream_tbENKUlT_T0_SG_SL_E_clISA_SA_SB_SB_EEDaSZ_S10_SG_SL_EUlSZ_E_NS1_11comp_targetILNS1_3genE8ELNS1_11target_archE1030ELNS1_3gpuE2ELNS1_3repE0EEENS1_47radix_sort_onesweep_sort_config_static_selectorELNS0_4arch9wavefront6targetE0EEEvSG_.private_seg_size, 0
	.set _ZN7rocprim17ROCPRIM_400000_NS6detail17trampoline_kernelINS0_14default_configENS1_35radix_sort_onesweep_config_selectorIsNS0_10empty_typeEEEZZNS1_29radix_sort_onesweep_iterationIS3_Lb0EPKsPsPS5_SB_mNS0_19identity_decomposerENS1_16block_id_wrapperIjLb0EEEEE10hipError_tT1_PNSt15iterator_traitsISG_E10value_typeET2_T3_PNSH_ISM_E10value_typeET4_T5_PSR_SS_PNS1_23onesweep_lookback_stateEbbT6_jjT7_P12ihipStream_tbENKUlT_T0_SG_SL_E_clISA_SA_SB_SB_EEDaSZ_S10_SG_SL_EUlSZ_E_NS1_11comp_targetILNS1_3genE8ELNS1_11target_archE1030ELNS1_3gpuE2ELNS1_3repE0EEENS1_47radix_sort_onesweep_sort_config_static_selectorELNS0_4arch9wavefront6targetE0EEEvSG_.uses_vcc, 0
	.set _ZN7rocprim17ROCPRIM_400000_NS6detail17trampoline_kernelINS0_14default_configENS1_35radix_sort_onesweep_config_selectorIsNS0_10empty_typeEEEZZNS1_29radix_sort_onesweep_iterationIS3_Lb0EPKsPsPS5_SB_mNS0_19identity_decomposerENS1_16block_id_wrapperIjLb0EEEEE10hipError_tT1_PNSt15iterator_traitsISG_E10value_typeET2_T3_PNSH_ISM_E10value_typeET4_T5_PSR_SS_PNS1_23onesweep_lookback_stateEbbT6_jjT7_P12ihipStream_tbENKUlT_T0_SG_SL_E_clISA_SA_SB_SB_EEDaSZ_S10_SG_SL_EUlSZ_E_NS1_11comp_targetILNS1_3genE8ELNS1_11target_archE1030ELNS1_3gpuE2ELNS1_3repE0EEENS1_47radix_sort_onesweep_sort_config_static_selectorELNS0_4arch9wavefront6targetE0EEEvSG_.uses_flat_scratch, 0
	.set _ZN7rocprim17ROCPRIM_400000_NS6detail17trampoline_kernelINS0_14default_configENS1_35radix_sort_onesweep_config_selectorIsNS0_10empty_typeEEEZZNS1_29radix_sort_onesweep_iterationIS3_Lb0EPKsPsPS5_SB_mNS0_19identity_decomposerENS1_16block_id_wrapperIjLb0EEEEE10hipError_tT1_PNSt15iterator_traitsISG_E10value_typeET2_T3_PNSH_ISM_E10value_typeET4_T5_PSR_SS_PNS1_23onesweep_lookback_stateEbbT6_jjT7_P12ihipStream_tbENKUlT_T0_SG_SL_E_clISA_SA_SB_SB_EEDaSZ_S10_SG_SL_EUlSZ_E_NS1_11comp_targetILNS1_3genE8ELNS1_11target_archE1030ELNS1_3gpuE2ELNS1_3repE0EEENS1_47radix_sort_onesweep_sort_config_static_selectorELNS0_4arch9wavefront6targetE0EEEvSG_.has_dyn_sized_stack, 0
	.set _ZN7rocprim17ROCPRIM_400000_NS6detail17trampoline_kernelINS0_14default_configENS1_35radix_sort_onesweep_config_selectorIsNS0_10empty_typeEEEZZNS1_29radix_sort_onesweep_iterationIS3_Lb0EPKsPsPS5_SB_mNS0_19identity_decomposerENS1_16block_id_wrapperIjLb0EEEEE10hipError_tT1_PNSt15iterator_traitsISG_E10value_typeET2_T3_PNSH_ISM_E10value_typeET4_T5_PSR_SS_PNS1_23onesweep_lookback_stateEbbT6_jjT7_P12ihipStream_tbENKUlT_T0_SG_SL_E_clISA_SA_SB_SB_EEDaSZ_S10_SG_SL_EUlSZ_E_NS1_11comp_targetILNS1_3genE8ELNS1_11target_archE1030ELNS1_3gpuE2ELNS1_3repE0EEENS1_47radix_sort_onesweep_sort_config_static_selectorELNS0_4arch9wavefront6targetE0EEEvSG_.has_recursion, 0
	.set _ZN7rocprim17ROCPRIM_400000_NS6detail17trampoline_kernelINS0_14default_configENS1_35radix_sort_onesweep_config_selectorIsNS0_10empty_typeEEEZZNS1_29radix_sort_onesweep_iterationIS3_Lb0EPKsPsPS5_SB_mNS0_19identity_decomposerENS1_16block_id_wrapperIjLb0EEEEE10hipError_tT1_PNSt15iterator_traitsISG_E10value_typeET2_T3_PNSH_ISM_E10value_typeET4_T5_PSR_SS_PNS1_23onesweep_lookback_stateEbbT6_jjT7_P12ihipStream_tbENKUlT_T0_SG_SL_E_clISA_SA_SB_SB_EEDaSZ_S10_SG_SL_EUlSZ_E_NS1_11comp_targetILNS1_3genE8ELNS1_11target_archE1030ELNS1_3gpuE2ELNS1_3repE0EEENS1_47radix_sort_onesweep_sort_config_static_selectorELNS0_4arch9wavefront6targetE0EEEvSG_.has_indirect_call, 0
	.section	.AMDGPU.csdata,"",@progbits
; Kernel info:
; codeLenInByte = 0
; TotalNumSgprs: 0
; NumVgprs: 0
; ScratchSize: 0
; MemoryBound: 0
; FloatMode: 240
; IeeeMode: 1
; LDSByteSize: 0 bytes/workgroup (compile time only)
; SGPRBlocks: 0
; VGPRBlocks: 0
; NumSGPRsForWavesPerEU: 1
; NumVGPRsForWavesPerEU: 1
; NamedBarCnt: 0
; Occupancy: 16
; WaveLimiterHint : 0
; COMPUTE_PGM_RSRC2:SCRATCH_EN: 0
; COMPUTE_PGM_RSRC2:USER_SGPR: 2
; COMPUTE_PGM_RSRC2:TRAP_HANDLER: 0
; COMPUTE_PGM_RSRC2:TGID_X_EN: 1
; COMPUTE_PGM_RSRC2:TGID_Y_EN: 0
; COMPUTE_PGM_RSRC2:TGID_Z_EN: 0
; COMPUTE_PGM_RSRC2:TIDIG_COMP_CNT: 0
	.section	.text._ZN7rocprim17ROCPRIM_400000_NS6detail17trampoline_kernelINS0_13kernel_configILj256ELj4ELj4294967295EEENS1_37radix_sort_block_sort_config_selectorIiNS0_10empty_typeEEEZNS1_21radix_sort_block_sortIS4_Lb1EPKiPiPS6_SC_NS0_19identity_decomposerEEE10hipError_tT1_T2_T3_T4_jRjT5_jjP12ihipStream_tbEUlT_E_NS1_11comp_targetILNS1_3genE0ELNS1_11target_archE4294967295ELNS1_3gpuE0ELNS1_3repE0EEENS1_44radix_sort_block_sort_config_static_selectorELNS0_4arch9wavefront6targetE0EEEvSF_,"axG",@progbits,_ZN7rocprim17ROCPRIM_400000_NS6detail17trampoline_kernelINS0_13kernel_configILj256ELj4ELj4294967295EEENS1_37radix_sort_block_sort_config_selectorIiNS0_10empty_typeEEEZNS1_21radix_sort_block_sortIS4_Lb1EPKiPiPS6_SC_NS0_19identity_decomposerEEE10hipError_tT1_T2_T3_T4_jRjT5_jjP12ihipStream_tbEUlT_E_NS1_11comp_targetILNS1_3genE0ELNS1_11target_archE4294967295ELNS1_3gpuE0ELNS1_3repE0EEENS1_44radix_sort_block_sort_config_static_selectorELNS0_4arch9wavefront6targetE0EEEvSF_,comdat
	.protected	_ZN7rocprim17ROCPRIM_400000_NS6detail17trampoline_kernelINS0_13kernel_configILj256ELj4ELj4294967295EEENS1_37radix_sort_block_sort_config_selectorIiNS0_10empty_typeEEEZNS1_21radix_sort_block_sortIS4_Lb1EPKiPiPS6_SC_NS0_19identity_decomposerEEE10hipError_tT1_T2_T3_T4_jRjT5_jjP12ihipStream_tbEUlT_E_NS1_11comp_targetILNS1_3genE0ELNS1_11target_archE4294967295ELNS1_3gpuE0ELNS1_3repE0EEENS1_44radix_sort_block_sort_config_static_selectorELNS0_4arch9wavefront6targetE0EEEvSF_ ; -- Begin function _ZN7rocprim17ROCPRIM_400000_NS6detail17trampoline_kernelINS0_13kernel_configILj256ELj4ELj4294967295EEENS1_37radix_sort_block_sort_config_selectorIiNS0_10empty_typeEEEZNS1_21radix_sort_block_sortIS4_Lb1EPKiPiPS6_SC_NS0_19identity_decomposerEEE10hipError_tT1_T2_T3_T4_jRjT5_jjP12ihipStream_tbEUlT_E_NS1_11comp_targetILNS1_3genE0ELNS1_11target_archE4294967295ELNS1_3gpuE0ELNS1_3repE0EEENS1_44radix_sort_block_sort_config_static_selectorELNS0_4arch9wavefront6targetE0EEEvSF_
	.globl	_ZN7rocprim17ROCPRIM_400000_NS6detail17trampoline_kernelINS0_13kernel_configILj256ELj4ELj4294967295EEENS1_37radix_sort_block_sort_config_selectorIiNS0_10empty_typeEEEZNS1_21radix_sort_block_sortIS4_Lb1EPKiPiPS6_SC_NS0_19identity_decomposerEEE10hipError_tT1_T2_T3_T4_jRjT5_jjP12ihipStream_tbEUlT_E_NS1_11comp_targetILNS1_3genE0ELNS1_11target_archE4294967295ELNS1_3gpuE0ELNS1_3repE0EEENS1_44radix_sort_block_sort_config_static_selectorELNS0_4arch9wavefront6targetE0EEEvSF_
	.p2align	8
	.type	_ZN7rocprim17ROCPRIM_400000_NS6detail17trampoline_kernelINS0_13kernel_configILj256ELj4ELj4294967295EEENS1_37radix_sort_block_sort_config_selectorIiNS0_10empty_typeEEEZNS1_21radix_sort_block_sortIS4_Lb1EPKiPiPS6_SC_NS0_19identity_decomposerEEE10hipError_tT1_T2_T3_T4_jRjT5_jjP12ihipStream_tbEUlT_E_NS1_11comp_targetILNS1_3genE0ELNS1_11target_archE4294967295ELNS1_3gpuE0ELNS1_3repE0EEENS1_44radix_sort_block_sort_config_static_selectorELNS0_4arch9wavefront6targetE0EEEvSF_,@function
_ZN7rocprim17ROCPRIM_400000_NS6detail17trampoline_kernelINS0_13kernel_configILj256ELj4ELj4294967295EEENS1_37radix_sort_block_sort_config_selectorIiNS0_10empty_typeEEEZNS1_21radix_sort_block_sortIS4_Lb1EPKiPiPS6_SC_NS0_19identity_decomposerEEE10hipError_tT1_T2_T3_T4_jRjT5_jjP12ihipStream_tbEUlT_E_NS1_11comp_targetILNS1_3genE0ELNS1_11target_archE4294967295ELNS1_3gpuE0ELNS1_3repE0EEENS1_44radix_sort_block_sort_config_static_selectorELNS0_4arch9wavefront6targetE0EEEvSF_: ; @_ZN7rocprim17ROCPRIM_400000_NS6detail17trampoline_kernelINS0_13kernel_configILj256ELj4ELj4294967295EEENS1_37radix_sort_block_sort_config_selectorIiNS0_10empty_typeEEEZNS1_21radix_sort_block_sortIS4_Lb1EPKiPiPS6_SC_NS0_19identity_decomposerEEE10hipError_tT1_T2_T3_T4_jRjT5_jjP12ihipStream_tbEUlT_E_NS1_11comp_targetILNS1_3genE0ELNS1_11target_archE4294967295ELNS1_3gpuE0ELNS1_3repE0EEENS1_44radix_sort_block_sort_config_static_selectorELNS0_4arch9wavefront6targetE0EEEvSF_
; %bb.0:
	s_clause 0x1
	s_load_b32 s4, s[0:1], 0x20
	s_load_b128 s[16:19], s[0:1], 0x0
	s_bfe_u32 s5, ttmp6, 0x4000c
	s_and_b32 s2, ttmp6, 15
	s_add_co_i32 s5, s5, 1
	s_getreg_b32 s6, hwreg(HW_REG_IB_STS2, 6, 4)
	s_mul_i32 s5, ttmp9, s5
	v_and_b32_e32 v14, 0x3ff, v0
	s_add_co_i32 s2, s2, s5
	s_cmp_eq_u32 s6, 0
	v_mbcnt_lo_u32_b32 v1, -1, 0
	s_cselect_b32 s5, ttmp9, s2
	v_dual_mov_b32 v7, 0 :: v_dual_lshlrev_b32 v8, 2, v14
	s_lshl_b32 s2, s5, 10
	s_mov_b32 s3, 0
	v_lshlrev_b32_e32 v6, 2, v1
	s_delay_alu instid0(VALU_DEP_2) | instskip(SKIP_2) | instid1(SALU_CYCLE_1)
	v_and_b32_e32 v9, 0x380, v8
	s_wait_kmcnt 0x0
	s_lshr_b32 s8, s4, 10
	s_cmp_lg_u32 s5, s8
	s_cselect_b32 s25, -1, 0
	s_lshl_b64 s[20:21], s[2:3], 2
	s_cmp_eq_u32 s5, s8
	s_add_nc_u64 s[6:7], s[16:17], s[20:21]
	s_mov_b32 s5, -1
	v_add_nc_u64_e32 v[2:3], s[6:7], v[6:7]
	v_lshlrev_b32_e32 v6, 2, v9
	s_delay_alu instid0(VALU_DEP_1)
	v_add_nc_u64_e32 v[10:11], v[2:3], v[6:7]
                                        ; implicit-def: $vgpr2_vgpr3_vgpr4_vgpr5
	s_cbranch_scc0 .LBB749_24
; %bb.1:
	s_load_b64 s[22:23], s[0:1], 0x28
	s_and_not1_b32 vcc_lo, exec_lo, s5
	s_sub_co_i32 s24, s4, s2
	s_cbranch_vccz .LBB749_25
.LBB749_2:
	s_and_saveexec_b32 s2, s3
	s_cbranch_execz .LBB749_4
.LBB749_3:
	global_load_b32 v5, v[10:11], off offset:384
.LBB749_4:
	s_wait_xcnt 0x0
	s_or_b32 exec_lo, exec_lo, s2
	s_load_b32 s6, s[0:1], 0x3c
	v_bfe_u32 v7, v0, 10, 10
	v_bfe_u32 v0, v0, 20, 10
	s_get_pc_i64 s[4:5]
	s_add_nc_u64 s[4:5], s[4:5], _ZN7rocprim17ROCPRIM_400000_NS16block_radix_sortIiLj256ELj4ENS0_10empty_typeELj1ELj1ELj0ELNS0_26block_radix_rank_algorithmE1ELNS0_18block_padding_hintE2ELNS0_4arch9wavefront6targetE0EE19radix_bits_per_passE@rel64+4
	v_sub_co_u32 v13, s2, v1, 1
	v_and_b32_e32 v12, 0x3e0, v14
	s_load_b32 s26, s[4:5], 0x0
	v_dual_lshlrev_b32 v9, 5, v14 :: v_dual_bitop2_b32 v10, 15, v1 bitop3:0x40
	s_delay_alu instid0(VALU_DEP_3)
	v_cmp_gt_i32_e32 vcc_lo, 0, v13
	v_dual_lshrrev_b32 v15, 3, v14 :: v_dual_bitop2_b32 v11, 16, v1 bitop3:0x40
	v_and_b32_e32 v17, 7, v1
	s_wait_xcnt 0x0
	v_cmp_eq_u32_e64 s4, 0, v10
	v_cmp_lt_u32_e64 s5, 1, v10
	s_mov_b32 s14, 0
	v_mul_i32_i24_e32 v16, 0xffffffe4, v14
	v_and_b32_e32 v15, 0x7c, v15
	s_mov_b32 s15, s14
	s_wait_kmcnt 0x0
	s_lshr_b32 s7, s6, 16
	s_and_b32 s6, s6, 0xffff
	v_mad_u32_u24 v0, v0, s7, v7
	v_min_u32_e32 v7, 0xe0, v12
	v_cmp_lt_u32_e64 s7, 7, v10
	s_mov_b32 s16, s14
	s_mov_b32 s17, s14
	v_mad_u32 v0, v0, s6, v14
	v_cmp_lt_u32_e64 s6, 3, v10
	v_dual_cndmask_b32 v10, v13, v1, vcc_lo :: v_dual_bitop2_b32 v7, 31, v7 bitop3:0x54
	v_cmp_eq_u32_e64 s8, 0, v11
	v_cmp_eq_u32_e64 s9, 0, v17
	v_cmp_lt_u32_e64 s10, 1, v17
	v_cmp_lt_u32_e64 s11, 3, v17
	v_dual_lshlrev_b32 v17, 2, v10 :: v_dual_add_nc_u32 v18, -4, v15
	v_mov_b64_e32 v[10:11], s[14:15]
	v_lshrrev_b32_e32 v0, 3, v0
	v_mov_b64_e32 v[12:13], s[16:17]
	s_wait_loadcnt 0x2
	v_xor_b32_e32 v2, 0x7fffffff, v2
	s_wait_loadcnt 0x0
	v_xor_b32_e32 v3, 0x7fffffff, v3
	v_xor_b32_e32 v4, 0x7fffffff, v4
	;; [unrolled: 1-line block ×3, first 2 shown]
	v_cmp_gt_u32_e64 s0, 8, v14
	v_cmp_lt_u32_e64 s1, 31, v14
	v_cmp_eq_u32_e64 s3, 0, v14
	v_cmp_eq_u32_e64 s12, v14, v7
	v_and_b32_e32 v19, 0x1ffffffc, v0
	v_lshl_add_u32 v20, v1, 2, v6
	v_add_nc_u32_e32 v16, v9, v16
	s_add_co_i32 s27, s23, s22
	s_branch .LBB749_6
.LBB749_5:                              ;   in Loop: Header=BB749_6 Depth=1
	s_and_not1_b32 vcc_lo, exec_lo, s14
	s_mov_b32 s23, s13
	s_cbranch_vccz .LBB749_22
.LBB749_6:                              ; =>This Inner Loop Header: Depth=1
	v_mov_b32_e32 v21, v2
	s_min_u32 s13, s26, s23
	ds_store_2addr_b64 v9, v[10:11], v[12:13] offset0:4 offset1:5
	ds_store_2addr_b64 v9, v[10:11], v[12:13] offset0:6 offset1:7
	s_lshl_b32 s28, -1, s13
	s_wait_dscnt 0x0
	v_lshrrev_b32_e32 v0, s22, v21
	s_barrier_signal -1
	s_barrier_wait -1
	s_delay_alu instid0(VALU_DEP_1) | instskip(NEXT) | instid1(VALU_DEP_1)
	v_bitop3_b32 v2, v0, s28, v0 bitop3:0x30
	; wave barrier
	v_lshlrev_b32_e32 v7, 29, v2
	v_bitop3_b32 v1, v0, 1, s28 bitop3:0x40
	v_dual_lshlrev_b32 v6, 30, v2 :: v_dual_lshlrev_b32 v22, 28, v2
	v_dual_lshlrev_b32 v23, 27, v2 :: v_dual_lshlrev_b32 v24, 26, v2
	v_lshlrev_b32_e32 v25, 25, v2
	s_delay_alu instid0(VALU_DEP_4) | instskip(NEXT) | instid1(VALU_DEP_1)
	v_add_co_u32 v0, s13, v1, -1
	v_cndmask_b32_e64 v1, 0, 1, s13
	v_cmp_gt_i32_e64 s13, 0, v6
	v_cmp_gt_i32_e64 s14, 0, v7
	;; [unrolled: 1-line block ×4, first 2 shown]
	v_cmp_ne_u32_e32 vcc_lo, 0, v1
	v_not_b32_e32 v1, v6
	v_lshlrev_b32_e32 v26, 24, v2
	v_not_b32_e32 v6, v7
	v_not_b32_e32 v7, v22
	;; [unrolled: 1-line block ×3, first 2 shown]
	v_dual_ashrrev_i32 v1, 31, v1 :: v_dual_bitop2_b32 v0, vcc_lo, v0 bitop3:0x14
	s_delay_alu instid0(VALU_DEP_3) | instskip(SKIP_1) | instid1(VALU_DEP_3)
	v_dual_ashrrev_i32 v6, 31, v6 :: v_dual_ashrrev_i32 v7, 31, v7
	v_not_b32_e32 v23, v24
	v_xor_b32_e32 v1, s13, v1
	v_cmp_gt_i32_e64 s17, 0, v24
	s_delay_alu instid0(VALU_DEP_4) | instskip(NEXT) | instid1(VALU_DEP_4)
	v_dual_ashrrev_i32 v22, 31, v22 :: v_dual_bitop2_b32 v7, s15, v7 bitop3:0x14
	v_dual_ashrrev_i32 v23, 31, v23 :: v_dual_bitop2_b32 v6, s14, v6 bitop3:0x14
	s_delay_alu instid0(VALU_DEP_4)
	v_bitop3_b32 v0, v0, v1, exec_lo bitop3:0x80
	v_not_b32_e32 v1, v25
	v_not_b32_e32 v24, v26
	v_xor_b32_e32 v22, s16, v22
	v_cmp_gt_i32_e32 vcc_lo, 0, v25
	v_bitop3_b32 v0, v0, v7, v6 bitop3:0x80
	v_ashrrev_i32_e32 v1, 31, v1
	v_cmp_gt_i32_e64 s13, 0, v26
	v_dual_ashrrev_i32 v6, 31, v24 :: v_dual_bitop2_b32 v7, s17, v23 bitop3:0x14
	s_delay_alu instid0(VALU_DEP_3) | instskip(NEXT) | instid1(VALU_DEP_2)
	v_dual_mov_b32 v23, v4 :: v_dual_bitop2_b32 v1, vcc_lo, v1 bitop3:0x14
	v_dual_mov_b32 v24, v3 :: v_dual_bitop2_b32 v6, s13, v6 bitop3:0x14
	s_delay_alu instid0(VALU_DEP_3) | instskip(SKIP_1) | instid1(VALU_DEP_2)
	v_bitop3_b32 v0, v0, v7, v22 bitop3:0x80
	v_mov_b32_e32 v22, v5
	v_bitop3_b32 v0, v0, v6, v1 bitop3:0x80
	v_lshlrev_b32_e32 v1, 5, v2
	s_delay_alu instid0(VALU_DEP_2) | instskip(SKIP_1) | instid1(VALU_DEP_3)
	v_mbcnt_lo_u32_b32 v25, v0, 0
	v_cmp_ne_u32_e64 s13, 0, v0
	v_add_nc_u32_e32 v26, v19, v1
	s_delay_alu instid0(VALU_DEP_3) | instskip(SKIP_1) | instid1(SALU_CYCLE_1)
	v_cmp_eq_u32_e32 vcc_lo, 0, v25
	s_and_b32 s14, s13, vcc_lo
	s_and_saveexec_b32 s13, s14
; %bb.7:                                ;   in Loop: Header=BB749_6 Depth=1
	v_bcnt_u32_b32 v0, v0, 0
	ds_store_b32 v26, v0 offset:32
; %bb.8:                                ;   in Loop: Header=BB749_6 Depth=1
	s_or_b32 exec_lo, exec_lo, s13
	v_lshrrev_b32_e32 v0, s22, v24
	s_not_b32 s17, s28
	; wave barrier
	s_delay_alu instid0(VALU_DEP_1) | instid1(SALU_CYCLE_1)
	v_and_b32_e32 v1, s17, v0
	s_delay_alu instid0(VALU_DEP_1) | instskip(SKIP_1) | instid1(VALU_DEP_2)
	v_lshlrev_b32_e32 v2, 5, v1
	v_bitop3_b32 v0, v0, 1, s17 bitop3:0x80
	v_dual_lshlrev_b32 v4, 30, v1 :: v_dual_add_nc_u32 v28, v19, v2
	s_delay_alu instid0(VALU_DEP_2) | instskip(NEXT) | instid1(VALU_DEP_1)
	v_add_co_u32 v0, s13, v0, -1
	v_cndmask_b32_e64 v3, 0, 1, s13
	s_delay_alu instid0(VALU_DEP_1) | instskip(NEXT) | instid1(VALU_DEP_4)
	v_cmp_ne_u32_e32 vcc_lo, 0, v3
	v_not_b32_e32 v3, v4
	s_delay_alu instid0(VALU_DEP_1) | instskip(SKIP_4) | instid1(VALU_DEP_4)
	v_dual_ashrrev_i32 v3, 31, v3 :: v_dual_bitop2_b32 v0, vcc_lo, v0 bitop3:0x14
	v_dual_lshlrev_b32 v5, 29, v1 :: v_dual_lshlrev_b32 v6, 28, v1
	v_lshlrev_b32_e32 v7, 27, v1
	v_cmp_gt_i32_e64 s13, 0, v4
	v_lshlrev_b32_e32 v27, 26, v1
	v_cmp_gt_i32_e64 s14, 0, v5
	v_not_b32_e32 v4, v5
	v_not_b32_e32 v5, v6
	v_cmp_gt_i32_e64 s15, 0, v6
	v_xor_b32_e32 v3, s13, v3
	v_not_b32_e32 v6, v7
	s_delay_alu instid0(VALU_DEP_4) | instskip(SKIP_3) | instid1(VALU_DEP_4)
	v_dual_ashrrev_i32 v4, 31, v4 :: v_dual_ashrrev_i32 v5, 31, v5
	v_cmp_gt_i32_e64 s16, 0, v7
	v_not_b32_e32 v7, v27
	v_bitop3_b32 v0, v0, v3, exec_lo bitop3:0x80
	v_dual_ashrrev_i32 v3, 31, v6 :: v_dual_bitop2_b32 v4, s14, v4 bitop3:0x14
	s_delay_alu instid0(VALU_DEP_3) | instskip(SKIP_1) | instid1(VALU_DEP_3)
	v_dual_ashrrev_i32 v7, 31, v7 :: v_dual_bitop2_b32 v5, s15, v5 bitop3:0x14
	v_dual_lshlrev_b32 v6, 25, v1 :: v_dual_lshlrev_b32 v1, 24, v1
	v_xor_b32_e32 v3, s16, v3
	v_cmp_gt_i32_e32 vcc_lo, 0, v27
	s_delay_alu instid0(VALU_DEP_4) | instskip(NEXT) | instid1(VALU_DEP_4)
	v_bitop3_b32 v0, v0, v5, v4 bitop3:0x80
	v_not_b32_e32 v4, v6
	v_not_b32_e32 v5, v1
	v_cmp_gt_i32_e64 s13, 0, v1
	v_xor_b32_e32 v7, vcc_lo, v7
	v_cmp_gt_i32_e32 vcc_lo, 0, v6
	s_delay_alu instid0(VALU_DEP_4) | instskip(SKIP_4) | instid1(VALU_DEP_1)
	v_dual_ashrrev_i32 v4, 31, v4 :: v_dual_ashrrev_i32 v1, 31, v5
	ds_load_b32 v27, v28 offset:32
	v_bitop3_b32 v0, v0, v7, v3 bitop3:0x80
	v_xor_b32_e32 v2, vcc_lo, v4
	v_xor_b32_e32 v1, s13, v1
	; wave barrier
	v_bitop3_b32 v0, v0, v1, v2 bitop3:0x80
	s_delay_alu instid0(VALU_DEP_1) | instskip(SKIP_1) | instid1(VALU_DEP_2)
	v_mbcnt_lo_u32_b32 v29, v0, 0
	v_cmp_ne_u32_e64 s13, 0, v0
	v_cmp_eq_u32_e32 vcc_lo, 0, v29
	s_and_b32 s14, s13, vcc_lo
	s_delay_alu instid0(SALU_CYCLE_1)
	s_and_saveexec_b32 s13, s14
	s_cbranch_execz .LBB749_10
; %bb.9:                                ;   in Loop: Header=BB749_6 Depth=1
	s_wait_dscnt 0x0
	v_bcnt_u32_b32 v0, v0, v27
	ds_store_b32 v28, v0 offset:32
.LBB749_10:                             ;   in Loop: Header=BB749_6 Depth=1
	s_or_b32 exec_lo, exec_lo, s13
	v_lshrrev_b32_e32 v0, s22, v23
	; wave barrier
	s_delay_alu instid0(VALU_DEP_1) | instskip(NEXT) | instid1(VALU_DEP_1)
	v_and_b32_e32 v1, s17, v0
	v_lshlrev_b32_e32 v2, 5, v1
	v_bitop3_b32 v0, v0, 1, s17 bitop3:0x80
	v_lshlrev_b32_e32 v4, 30, v1
	s_delay_alu instid0(VALU_DEP_2) | instskip(NEXT) | instid1(VALU_DEP_1)
	v_add_co_u32 v0, s13, v0, -1
	v_cndmask_b32_e64 v3, 0, 1, s13
	s_delay_alu instid0(VALU_DEP_1) | instskip(NEXT) | instid1(VALU_DEP_4)
	v_cmp_ne_u32_e32 vcc_lo, 0, v3
	v_not_b32_e32 v3, v4
	s_delay_alu instid0(VALU_DEP_1) | instskip(SKIP_4) | instid1(VALU_DEP_4)
	v_dual_ashrrev_i32 v3, 31, v3 :: v_dual_bitop2_b32 v0, vcc_lo, v0 bitop3:0x14
	v_dual_lshlrev_b32 v5, 29, v1 :: v_dual_lshlrev_b32 v6, 28, v1
	v_dual_lshlrev_b32 v7, 27, v1 :: v_dual_lshlrev_b32 v30, 26, v1
	v_lshlrev_b32_e32 v31, 25, v1
	v_cmp_gt_i32_e64 s13, 0, v4
	v_cmp_gt_i32_e64 s14, 0, v5
	v_not_b32_e32 v4, v5
	v_not_b32_e32 v5, v6
	v_lshlrev_b32_e32 v1, 24, v1
	v_cmp_gt_i32_e64 s15, 0, v6
	v_not_b32_e32 v32, v30
	s_delay_alu instid0(VALU_DEP_4) | instskip(SKIP_3) | instid1(VALU_DEP_4)
	v_dual_ashrrev_i32 v4, 31, v4 :: v_dual_ashrrev_i32 v5, 31, v5
	v_xor_b32_e32 v3, s13, v3
	v_not_b32_e32 v6, v7
	v_cmp_gt_i32_e32 vcc_lo, 0, v7
	v_xor_b32_e32 v4, s14, v4
	v_xor_b32_e32 v5, s15, v5
	v_bitop3_b32 v0, v0, v3, exec_lo bitop3:0x80
	v_ashrrev_i32_e32 v3, 31, v6
	v_cmp_gt_i32_e64 s13, 0, v30
	v_ashrrev_i32_e32 v6, 31, v32
	s_delay_alu instid0(VALU_DEP_4)
	v_bitop3_b32 v0, v0, v5, v4 bitop3:0x80
	v_not_b32_e32 v4, v31
	v_not_b32_e32 v5, v1
	v_xor_b32_e32 v3, vcc_lo, v3
	v_xor_b32_e32 v6, s13, v6
	v_cmp_gt_i32_e32 vcc_lo, 0, v31
	v_ashrrev_i32_e32 v4, 31, v4
	v_cmp_gt_i32_e64 s13, 0, v1
	v_dual_ashrrev_i32 v1, 31, v5 :: v_dual_add_nc_u32 v32, v19, v2
	v_bitop3_b32 v0, v0, v6, v3 bitop3:0x80
	s_delay_alu instid0(VALU_DEP_4) | instskip(NEXT) | instid1(VALU_DEP_3)
	v_xor_b32_e32 v2, vcc_lo, v4
	v_xor_b32_e32 v1, s13, v1
	ds_load_b32 v30, v32 offset:32
	; wave barrier
	v_bitop3_b32 v0, v0, v1, v2 bitop3:0x80
	s_delay_alu instid0(VALU_DEP_1) | instskip(SKIP_1) | instid1(VALU_DEP_2)
	v_mbcnt_lo_u32_b32 v31, v0, 0
	v_cmp_ne_u32_e64 s13, 0, v0
	v_cmp_eq_u32_e32 vcc_lo, 0, v31
	s_and_b32 s14, s13, vcc_lo
	s_delay_alu instid0(SALU_CYCLE_1)
	s_and_saveexec_b32 s13, s14
	s_cbranch_execz .LBB749_12
; %bb.11:                               ;   in Loop: Header=BB749_6 Depth=1
	s_wait_dscnt 0x0
	v_bcnt_u32_b32 v0, v0, v30
	ds_store_b32 v32, v0 offset:32
.LBB749_12:                             ;   in Loop: Header=BB749_6 Depth=1
	s_or_b32 exec_lo, exec_lo, s13
	v_lshrrev_b32_e32 v0, s22, v22
	; wave barrier
	s_delay_alu instid0(VALU_DEP_1) | instskip(NEXT) | instid1(VALU_DEP_1)
	v_and_b32_e32 v1, s17, v0
	v_lshlrev_b32_e32 v2, 5, v1
	v_bitop3_b32 v0, v0, 1, s17 bitop3:0x80
	v_lshlrev_b32_e32 v4, 30, v1
	s_delay_alu instid0(VALU_DEP_2) | instskip(NEXT) | instid1(VALU_DEP_1)
	v_add_co_u32 v0, s13, v0, -1
	v_cndmask_b32_e64 v3, 0, 1, s13
	s_delay_alu instid0(VALU_DEP_1) | instskip(NEXT) | instid1(VALU_DEP_4)
	v_cmp_ne_u32_e32 vcc_lo, 0, v3
	v_not_b32_e32 v3, v4
	s_delay_alu instid0(VALU_DEP_1) | instskip(SKIP_4) | instid1(VALU_DEP_4)
	v_dual_ashrrev_i32 v3, 31, v3 :: v_dual_bitop2_b32 v0, vcc_lo, v0 bitop3:0x14
	v_dual_lshlrev_b32 v5, 29, v1 :: v_dual_lshlrev_b32 v6, 28, v1
	v_lshlrev_b32_e32 v7, 27, v1
	v_cmp_gt_i32_e64 s13, 0, v4
	v_dual_lshlrev_b32 v33, 26, v1 :: v_dual_lshlrev_b32 v34, 25, v1
	v_cmp_gt_i32_e64 s14, 0, v5
	v_not_b32_e32 v4, v5
	v_not_b32_e32 v5, v6
	v_lshlrev_b32_e32 v1, 24, v1
	v_cmp_gt_i32_e64 s15, 0, v6
	s_delay_alu instid0(VALU_DEP_4) | instskip(NEXT) | instid1(VALU_DEP_4)
	v_dual_ashrrev_i32 v4, 31, v4 :: v_dual_bitop2_b32 v3, s13, v3 bitop3:0x14
	v_ashrrev_i32_e32 v5, 31, v5
	v_not_b32_e32 v6, v7
	v_not_b32_e32 v35, v33
	s_delay_alu instid0(VALU_DEP_4)
	v_bitop3_b32 v0, v0, v3, exec_lo bitop3:0x80
	v_xor_b32_e32 v4, s14, v4
	v_xor_b32_e32 v5, s15, v5
	v_cmp_gt_i32_e32 vcc_lo, 0, v7
	v_ashrrev_i32_e32 v3, 31, v6
	v_cmp_gt_i32_e64 s13, 0, v33
	v_ashrrev_i32_e32 v6, 31, v35
	v_bitop3_b32 v0, v0, v5, v4 bitop3:0x80
	v_not_b32_e32 v4, v34
	v_not_b32_e32 v5, v1
	v_xor_b32_e32 v3, vcc_lo, v3
	v_xor_b32_e32 v6, s13, v6
	v_cmp_gt_i32_e32 vcc_lo, 0, v34
	v_ashrrev_i32_e32 v4, 31, v4
	v_cmp_gt_i32_e64 s13, 0, v1
	v_dual_ashrrev_i32 v1, 31, v5 :: v_dual_add_nc_u32 v35, v19, v2
	v_bitop3_b32 v0, v0, v6, v3 bitop3:0x80
	s_delay_alu instid0(VALU_DEP_4) | instskip(NEXT) | instid1(VALU_DEP_3)
	v_xor_b32_e32 v2, vcc_lo, v4
	v_xor_b32_e32 v1, s13, v1
	ds_load_b32 v33, v35 offset:32
	; wave barrier
	v_bitop3_b32 v0, v0, v1, v2 bitop3:0x80
	s_delay_alu instid0(VALU_DEP_1) | instskip(SKIP_1) | instid1(VALU_DEP_2)
	v_mbcnt_lo_u32_b32 v34, v0, 0
	v_cmp_ne_u32_e64 s13, 0, v0
	v_cmp_eq_u32_e32 vcc_lo, 0, v34
	s_and_b32 s14, s13, vcc_lo
	s_delay_alu instid0(SALU_CYCLE_1)
	s_and_saveexec_b32 s13, s14
	s_cbranch_execz .LBB749_14
; %bb.13:                               ;   in Loop: Header=BB749_6 Depth=1
	s_wait_dscnt 0x0
	v_bcnt_u32_b32 v0, v0, v33
	ds_store_b32 v35, v0 offset:32
.LBB749_14:                             ;   in Loop: Header=BB749_6 Depth=1
	s_or_b32 exec_lo, exec_lo, s13
	; wave barrier
	s_wait_dscnt 0x0
	s_barrier_signal -1
	s_barrier_wait -1
	ds_load_2addr_b64 v[4:7], v9 offset0:4 offset1:5
	ds_load_2addr_b64 v[0:3], v9 offset0:6 offset1:7
	s_wait_dscnt 0x1
	v_add_nc_u32_e32 v36, v5, v4
	s_delay_alu instid0(VALU_DEP_1) | instskip(SKIP_1) | instid1(VALU_DEP_1)
	v_add3_u32 v36, v36, v6, v7
	s_wait_dscnt 0x0
	v_add3_u32 v36, v36, v0, v1
	s_delay_alu instid0(VALU_DEP_1) | instskip(NEXT) | instid1(VALU_DEP_1)
	v_add3_u32 v3, v36, v2, v3
	v_mov_b32_dpp v36, v3 row_shr:1 row_mask:0xf bank_mask:0xf
	s_delay_alu instid0(VALU_DEP_1) | instskip(NEXT) | instid1(VALU_DEP_1)
	v_cndmask_b32_e64 v36, v36, 0, s4
	v_add_nc_u32_e32 v3, v36, v3
	s_delay_alu instid0(VALU_DEP_1) | instskip(NEXT) | instid1(VALU_DEP_1)
	v_mov_b32_dpp v36, v3 row_shr:2 row_mask:0xf bank_mask:0xf
	v_cndmask_b32_e64 v36, 0, v36, s5
	s_delay_alu instid0(VALU_DEP_1) | instskip(NEXT) | instid1(VALU_DEP_1)
	v_add_nc_u32_e32 v3, v3, v36
	v_mov_b32_dpp v36, v3 row_shr:4 row_mask:0xf bank_mask:0xf
	s_delay_alu instid0(VALU_DEP_1) | instskip(NEXT) | instid1(VALU_DEP_1)
	v_cndmask_b32_e64 v36, 0, v36, s6
	v_add_nc_u32_e32 v3, v3, v36
	s_delay_alu instid0(VALU_DEP_1) | instskip(NEXT) | instid1(VALU_DEP_1)
	v_mov_b32_dpp v36, v3 row_shr:8 row_mask:0xf bank_mask:0xf
	v_cndmask_b32_e64 v36, 0, v36, s7
	s_delay_alu instid0(VALU_DEP_1) | instskip(SKIP_3) | instid1(VALU_DEP_1)
	v_add_nc_u32_e32 v3, v3, v36
	ds_swizzle_b32 v36, v3 offset:swizzle(BROADCAST,32,15)
	s_wait_dscnt 0x0
	v_cndmask_b32_e64 v36, v36, 0, s8
	v_add_nc_u32_e32 v3, v3, v36
	s_and_saveexec_b32 s13, s12
; %bb.15:                               ;   in Loop: Header=BB749_6 Depth=1
	ds_store_b32 v15, v3
; %bb.16:                               ;   in Loop: Header=BB749_6 Depth=1
	s_or_b32 exec_lo, exec_lo, s13
	s_wait_dscnt 0x0
	s_barrier_signal -1
	s_barrier_wait -1
	s_and_saveexec_b32 s13, s0
	s_cbranch_execz .LBB749_18
; %bb.17:                               ;   in Loop: Header=BB749_6 Depth=1
	ds_load_b32 v36, v16
	s_wait_dscnt 0x0
	v_mov_b32_dpp v37, v36 row_shr:1 row_mask:0xf bank_mask:0xf
	s_delay_alu instid0(VALU_DEP_1) | instskip(NEXT) | instid1(VALU_DEP_1)
	v_cndmask_b32_e64 v37, v37, 0, s9
	v_add_nc_u32_e32 v36, v37, v36
	s_delay_alu instid0(VALU_DEP_1) | instskip(NEXT) | instid1(VALU_DEP_1)
	v_mov_b32_dpp v37, v36 row_shr:2 row_mask:0xf bank_mask:0xf
	v_cndmask_b32_e64 v37, 0, v37, s10
	s_delay_alu instid0(VALU_DEP_1) | instskip(NEXT) | instid1(VALU_DEP_1)
	v_add_nc_u32_e32 v36, v36, v37
	v_mov_b32_dpp v37, v36 row_shr:4 row_mask:0xf bank_mask:0xf
	s_delay_alu instid0(VALU_DEP_1) | instskip(NEXT) | instid1(VALU_DEP_1)
	v_cndmask_b32_e64 v37, 0, v37, s11
	v_add_nc_u32_e32 v36, v36, v37
	ds_store_b32 v16, v36
.LBB749_18:                             ;   in Loop: Header=BB749_6 Depth=1
	s_or_b32 exec_lo, exec_lo, s13
	v_mov_b32_e32 v36, 0
	s_wait_dscnt 0x0
	s_barrier_signal -1
	s_barrier_wait -1
	s_and_saveexec_b32 s13, s1
; %bb.19:                               ;   in Loop: Header=BB749_6 Depth=1
	ds_load_b32 v36, v18
; %bb.20:                               ;   in Loop: Header=BB749_6 Depth=1
	s_or_b32 exec_lo, exec_lo, s13
	s_wait_dscnt 0x0
	v_add_nc_u32_e32 v3, v36, v3
	s_add_co_i32 s22, s22, 8
	s_mov_b32 s14, -1
	s_cmp_ge_u32 s22, s27
	ds_bpermute_b32 v3, v17, v3
	s_wait_dscnt 0x0
	v_cndmask_b32_e64 v3, v3, v36, s2
	s_delay_alu instid0(VALU_DEP_1) | instskip(NEXT) | instid1(VALU_DEP_1)
	v_cndmask_b32_e64 v36, v3, 0, s3
	v_add_nc_u32_e32 v37, v36, v4
	s_delay_alu instid0(VALU_DEP_1) | instskip(NEXT) | instid1(VALU_DEP_1)
	v_add_nc_u32_e32 v4, v37, v5
	v_add_nc_u32_e32 v5, v4, v6
	s_delay_alu instid0(VALU_DEP_1) | instskip(NEXT) | instid1(VALU_DEP_1)
	v_add_nc_u32_e32 v6, v5, v7
	;; [unrolled: 3-line block ×3, first 2 shown]
	v_add_nc_u32_e32 v1, v0, v2
	ds_store_2addr_b64 v9, v[36:37], v[4:5] offset0:4 offset1:5
	ds_store_2addr_b64 v9, v[6:7], v[0:1] offset0:6 offset1:7
	s_wait_dscnt 0x0
	s_barrier_signal -1
	s_barrier_wait -1
	ds_load_b32 v0, v28 offset:32
	ds_load_b32 v1, v32 offset:32
	;; [unrolled: 1-line block ×4, first 2 shown]
	v_lshlrev_b32_e32 v4, 2, v25
	v_dual_lshlrev_b32 v5, 2, v29 :: v_dual_lshlrev_b32 v6, 2, v27
	v_dual_lshlrev_b32 v7, 2, v31 :: v_dual_lshlrev_b32 v25, 2, v30
	;; [unrolled: 1-line block ×3, first 2 shown]
	s_wait_dscnt 0x0
	v_dual_lshlrev_b32 v28, 2, v0 :: v_dual_lshlrev_b32 v29, 2, v1
	v_lshlrev_b32_e32 v2, 2, v2
	v_lshl_add_u32 v0, v3, 2, v4
	s_delay_alu instid0(VALU_DEP_3) | instskip(NEXT) | instid1(VALU_DEP_4)
	v_add3_u32 v1, v5, v6, v28
	v_add3_u32 v6, v7, v25, v29
	s_delay_alu instid0(VALU_DEP_4) | instskip(NEXT) | instid1(VALU_DEP_4)
	v_add3_u32 v7, v26, v27, v2
	v_readfirstlane_b32 s13, v0
                                        ; implicit-def: $vgpr5
                                        ; implicit-def: $vgpr3
	s_cbranch_scc1 .LBB749_5
; %bb.21:                               ;   in Loop: Header=BB749_6 Depth=1
	s_barrier_signal -1
	s_barrier_wait -1
	ds_store_b32 v0, v21
	ds_store_b32 v1, v24
	;; [unrolled: 1-line block ×4, first 2 shown]
	s_wait_dscnt 0x0
	s_barrier_signal -1
	s_barrier_wait -1
	ds_load_2addr_b32 v[2:3], v20 offset1:32
	ds_load_2addr_b32 v[4:5], v20 offset0:64 offset1:96
	s_add_co_i32 s13, s23, -8
	s_mov_b32 s14, 0
	s_wait_dscnt 0x0
	s_barrier_signal -1
	s_barrier_wait -1
	s_branch .LBB749_5
.LBB749_22:
	s_barrier_signal -1
	s_barrier_wait -1
	ds_store_b32 v0, v21
	ds_store_b32 v1, v24
	;; [unrolled: 1-line block ×4, first 2 shown]
	s_wait_dscnt 0x0
	s_barrier_signal -1
	s_barrier_wait -1
	ds_load_2addr_stride64_b32 v[6:7], v16 offset1:4
	ds_load_2addr_stride64_b32 v[0:1], v16 offset0:8 offset1:12
	v_mov_b32_e32 v9, 0
	s_add_nc_u64 s[0:1], s[18:19], s[20:21]
	s_and_not1_b32 vcc_lo, exec_lo, s25
	s_delay_alu instid0(VALU_DEP_1)
	v_add_nc_u64_e32 v[2:3], s[0:1], v[8:9]
	s_wait_dscnt 0x1
	v_xor_b32_e32 v5, 0x7fffffff, v6
	v_xor_b32_e32 v4, 0x7fffffff, v7
	s_wait_dscnt 0x0
	v_xor_b32_e32 v0, 0x7fffffff, v0
	s_cbranch_vccnz .LBB749_32
; %bb.23:
	s_mov_b32 s0, -1
	s_clause 0x2
	global_store_b32 v[2:3], v5, off
	global_store_b32 v[2:3], v4, off offset:1024
	global_store_b32 v[2:3], v0, off offset:2048
	s_cbranch_execz .LBB749_33
	s_branch .LBB749_40
.LBB749_24:
	s_clause 0x2
	global_load_b32 v2, v[10:11], off
	global_load_b32 v3, v[10:11], off offset:128
	global_load_b32 v4, v[10:11], off offset:256
	s_mov_b32 s3, -1
	s_load_b64 s[22:23], s[0:1], 0x28
	s_sub_co_i32 s24, s4, s2
	s_cbranch_execnz .LBB749_2
.LBB749_25:
	s_wait_loadcnt 0x2
	v_bfrev_b32_e32 v2, 1
	v_or_b32_e32 v7, v1, v9
	s_mov_b32 s2, exec_lo
	s_wait_loadcnt 0x0
	s_delay_alu instid0(VALU_DEP_2)
	v_dual_mov_b32 v3, v2 :: v_dual_mov_b32 v4, v2
	v_mov_b32_e32 v5, v2
	v_cmpx_gt_u32_e64 s24, v7
	s_cbranch_execz .LBB749_27
; %bb.26:
	global_load_b32 v16, v[10:11], off
	v_dual_mov_b32 v17, v2 :: v_dual_mov_b32 v18, v2
	v_mov_b32_e32 v19, v2
	s_wait_loadcnt 0x0
	s_delay_alu instid0(VALU_DEP_2) | instskip(NEXT) | instid1(VALU_DEP_2)
	v_mov_b64_e32 v[2:3], v[16:17]
	v_mov_b64_e32 v[4:5], v[18:19]
.LBB749_27:
	s_or_b32 exec_lo, exec_lo, s2
	v_or_b32_e32 v9, 32, v7
	s_mov_b32 s2, exec_lo
	s_delay_alu instid0(VALU_DEP_1)
	v_cmpx_gt_u32_e64 s24, v9
	s_cbranch_execz .LBB749_29
; %bb.28:
	global_load_b32 v3, v[10:11], off offset:128
.LBB749_29:
	s_wait_xcnt 0x0
	s_or_b32 exec_lo, exec_lo, s2
	v_or_b32_e32 v9, 64, v7
	s_mov_b32 s2, exec_lo
	s_delay_alu instid0(VALU_DEP_1)
	v_cmpx_gt_u32_e64 s24, v9
	s_cbranch_execz .LBB749_31
; %bb.30:
	global_load_b32 v4, v[10:11], off offset:256
.LBB749_31:
	s_wait_xcnt 0x0
	s_or_b32 exec_lo, exec_lo, s2
	v_or_b32_e32 v7, 0x60, v7
	s_delay_alu instid0(VALU_DEP_1)
	v_cmp_gt_u32_e64 s3, s24, v7
	s_and_saveexec_b32 s2, s3
	s_cbranch_execnz .LBB749_3
	s_branch .LBB749_4
.LBB749_32:
	s_mov_b32 s0, 0
.LBB749_33:
	s_mov_b32 s0, exec_lo
	s_wait_xcnt 0x0
	v_cmpx_gt_u32_e64 s24, v14
	s_cbranch_execz .LBB749_35
; %bb.34:
	global_store_b32 v[2:3], v5, off
.LBB749_35:
	s_wait_xcnt 0x0
	s_or_b32 exec_lo, exec_lo, s0
	v_add_nc_u32_e32 v5, 0x100, v14
	s_mov_b32 s0, exec_lo
	s_delay_alu instid0(VALU_DEP_1)
	v_cmpx_gt_u32_e64 s24, v5
	s_cbranch_execz .LBB749_37
; %bb.36:
	global_store_b32 v[2:3], v4, off offset:1024
.LBB749_37:
	s_wait_xcnt 0x0
	s_or_b32 exec_lo, exec_lo, s0
	v_add_nc_u32_e32 v4, 0x200, v14
	s_mov_b32 s0, exec_lo
	s_delay_alu instid0(VALU_DEP_1)
	v_cmpx_gt_u32_e64 s24, v4
	s_cbranch_execz .LBB749_39
; %bb.38:
	global_store_b32 v[2:3], v0, off offset:2048
.LBB749_39:
	s_wait_xcnt 0x0
	s_or_b32 exec_lo, exec_lo, s0
	v_add_nc_u32_e32 v0, 0x300, v14
	s_delay_alu instid0(VALU_DEP_1)
	v_cmp_gt_u32_e64 s0, s24, v0
.LBB749_40:
	s_wait_xcnt 0x0
	s_delay_alu instid0(VALU_DEP_1)
	s_and_saveexec_b32 s1, s0
	s_cbranch_execnz .LBB749_42
; %bb.41:
	s_endpgm
.LBB749_42:
	v_xor_b32_e32 v0, 0x7fffffff, v1
	global_store_b32 v[2:3], v0, off offset:3072
	s_endpgm
	.section	.rodata,"a",@progbits
	.p2align	6, 0x0
	.amdhsa_kernel _ZN7rocprim17ROCPRIM_400000_NS6detail17trampoline_kernelINS0_13kernel_configILj256ELj4ELj4294967295EEENS1_37radix_sort_block_sort_config_selectorIiNS0_10empty_typeEEEZNS1_21radix_sort_block_sortIS4_Lb1EPKiPiPS6_SC_NS0_19identity_decomposerEEE10hipError_tT1_T2_T3_T4_jRjT5_jjP12ihipStream_tbEUlT_E_NS1_11comp_targetILNS1_3genE0ELNS1_11target_archE4294967295ELNS1_3gpuE0ELNS1_3repE0EEENS1_44radix_sort_block_sort_config_static_selectorELNS0_4arch9wavefront6targetE0EEEvSF_
		.amdhsa_group_segment_fixed_size 8224
		.amdhsa_private_segment_fixed_size 0
		.amdhsa_kernarg_size 304
		.amdhsa_user_sgpr_count 2
		.amdhsa_user_sgpr_dispatch_ptr 0
		.amdhsa_user_sgpr_queue_ptr 0
		.amdhsa_user_sgpr_kernarg_segment_ptr 1
		.amdhsa_user_sgpr_dispatch_id 0
		.amdhsa_user_sgpr_kernarg_preload_length 0
		.amdhsa_user_sgpr_kernarg_preload_offset 0
		.amdhsa_user_sgpr_private_segment_size 0
		.amdhsa_wavefront_size32 1
		.amdhsa_uses_dynamic_stack 0
		.amdhsa_enable_private_segment 0
		.amdhsa_system_sgpr_workgroup_id_x 1
		.amdhsa_system_sgpr_workgroup_id_y 0
		.amdhsa_system_sgpr_workgroup_id_z 0
		.amdhsa_system_sgpr_workgroup_info 0
		.amdhsa_system_vgpr_workitem_id 2
		.amdhsa_next_free_vgpr 38
		.amdhsa_next_free_sgpr 29
		.amdhsa_named_barrier_count 0
		.amdhsa_reserve_vcc 1
		.amdhsa_float_round_mode_32 0
		.amdhsa_float_round_mode_16_64 0
		.amdhsa_float_denorm_mode_32 3
		.amdhsa_float_denorm_mode_16_64 3
		.amdhsa_fp16_overflow 0
		.amdhsa_memory_ordered 1
		.amdhsa_forward_progress 1
		.amdhsa_inst_pref_size 28
		.amdhsa_round_robin_scheduling 0
		.amdhsa_exception_fp_ieee_invalid_op 0
		.amdhsa_exception_fp_denorm_src 0
		.amdhsa_exception_fp_ieee_div_zero 0
		.amdhsa_exception_fp_ieee_overflow 0
		.amdhsa_exception_fp_ieee_underflow 0
		.amdhsa_exception_fp_ieee_inexact 0
		.amdhsa_exception_int_div_zero 0
	.end_amdhsa_kernel
	.section	.text._ZN7rocprim17ROCPRIM_400000_NS6detail17trampoline_kernelINS0_13kernel_configILj256ELj4ELj4294967295EEENS1_37radix_sort_block_sort_config_selectorIiNS0_10empty_typeEEEZNS1_21radix_sort_block_sortIS4_Lb1EPKiPiPS6_SC_NS0_19identity_decomposerEEE10hipError_tT1_T2_T3_T4_jRjT5_jjP12ihipStream_tbEUlT_E_NS1_11comp_targetILNS1_3genE0ELNS1_11target_archE4294967295ELNS1_3gpuE0ELNS1_3repE0EEENS1_44radix_sort_block_sort_config_static_selectorELNS0_4arch9wavefront6targetE0EEEvSF_,"axG",@progbits,_ZN7rocprim17ROCPRIM_400000_NS6detail17trampoline_kernelINS0_13kernel_configILj256ELj4ELj4294967295EEENS1_37radix_sort_block_sort_config_selectorIiNS0_10empty_typeEEEZNS1_21radix_sort_block_sortIS4_Lb1EPKiPiPS6_SC_NS0_19identity_decomposerEEE10hipError_tT1_T2_T3_T4_jRjT5_jjP12ihipStream_tbEUlT_E_NS1_11comp_targetILNS1_3genE0ELNS1_11target_archE4294967295ELNS1_3gpuE0ELNS1_3repE0EEENS1_44radix_sort_block_sort_config_static_selectorELNS0_4arch9wavefront6targetE0EEEvSF_,comdat
.Lfunc_end749:
	.size	_ZN7rocprim17ROCPRIM_400000_NS6detail17trampoline_kernelINS0_13kernel_configILj256ELj4ELj4294967295EEENS1_37radix_sort_block_sort_config_selectorIiNS0_10empty_typeEEEZNS1_21radix_sort_block_sortIS4_Lb1EPKiPiPS6_SC_NS0_19identity_decomposerEEE10hipError_tT1_T2_T3_T4_jRjT5_jjP12ihipStream_tbEUlT_E_NS1_11comp_targetILNS1_3genE0ELNS1_11target_archE4294967295ELNS1_3gpuE0ELNS1_3repE0EEENS1_44radix_sort_block_sort_config_static_selectorELNS0_4arch9wavefront6targetE0EEEvSF_, .Lfunc_end749-_ZN7rocprim17ROCPRIM_400000_NS6detail17trampoline_kernelINS0_13kernel_configILj256ELj4ELj4294967295EEENS1_37radix_sort_block_sort_config_selectorIiNS0_10empty_typeEEEZNS1_21radix_sort_block_sortIS4_Lb1EPKiPiPS6_SC_NS0_19identity_decomposerEEE10hipError_tT1_T2_T3_T4_jRjT5_jjP12ihipStream_tbEUlT_E_NS1_11comp_targetILNS1_3genE0ELNS1_11target_archE4294967295ELNS1_3gpuE0ELNS1_3repE0EEENS1_44radix_sort_block_sort_config_static_selectorELNS0_4arch9wavefront6targetE0EEEvSF_
                                        ; -- End function
	.set _ZN7rocprim17ROCPRIM_400000_NS6detail17trampoline_kernelINS0_13kernel_configILj256ELj4ELj4294967295EEENS1_37radix_sort_block_sort_config_selectorIiNS0_10empty_typeEEEZNS1_21radix_sort_block_sortIS4_Lb1EPKiPiPS6_SC_NS0_19identity_decomposerEEE10hipError_tT1_T2_T3_T4_jRjT5_jjP12ihipStream_tbEUlT_E_NS1_11comp_targetILNS1_3genE0ELNS1_11target_archE4294967295ELNS1_3gpuE0ELNS1_3repE0EEENS1_44radix_sort_block_sort_config_static_selectorELNS0_4arch9wavefront6targetE0EEEvSF_.num_vgpr, 38
	.set _ZN7rocprim17ROCPRIM_400000_NS6detail17trampoline_kernelINS0_13kernel_configILj256ELj4ELj4294967295EEENS1_37radix_sort_block_sort_config_selectorIiNS0_10empty_typeEEEZNS1_21radix_sort_block_sortIS4_Lb1EPKiPiPS6_SC_NS0_19identity_decomposerEEE10hipError_tT1_T2_T3_T4_jRjT5_jjP12ihipStream_tbEUlT_E_NS1_11comp_targetILNS1_3genE0ELNS1_11target_archE4294967295ELNS1_3gpuE0ELNS1_3repE0EEENS1_44radix_sort_block_sort_config_static_selectorELNS0_4arch9wavefront6targetE0EEEvSF_.num_agpr, 0
	.set _ZN7rocprim17ROCPRIM_400000_NS6detail17trampoline_kernelINS0_13kernel_configILj256ELj4ELj4294967295EEENS1_37radix_sort_block_sort_config_selectorIiNS0_10empty_typeEEEZNS1_21radix_sort_block_sortIS4_Lb1EPKiPiPS6_SC_NS0_19identity_decomposerEEE10hipError_tT1_T2_T3_T4_jRjT5_jjP12ihipStream_tbEUlT_E_NS1_11comp_targetILNS1_3genE0ELNS1_11target_archE4294967295ELNS1_3gpuE0ELNS1_3repE0EEENS1_44radix_sort_block_sort_config_static_selectorELNS0_4arch9wavefront6targetE0EEEvSF_.numbered_sgpr, 29
	.set _ZN7rocprim17ROCPRIM_400000_NS6detail17trampoline_kernelINS0_13kernel_configILj256ELj4ELj4294967295EEENS1_37radix_sort_block_sort_config_selectorIiNS0_10empty_typeEEEZNS1_21radix_sort_block_sortIS4_Lb1EPKiPiPS6_SC_NS0_19identity_decomposerEEE10hipError_tT1_T2_T3_T4_jRjT5_jjP12ihipStream_tbEUlT_E_NS1_11comp_targetILNS1_3genE0ELNS1_11target_archE4294967295ELNS1_3gpuE0ELNS1_3repE0EEENS1_44radix_sort_block_sort_config_static_selectorELNS0_4arch9wavefront6targetE0EEEvSF_.num_named_barrier, 0
	.set _ZN7rocprim17ROCPRIM_400000_NS6detail17trampoline_kernelINS0_13kernel_configILj256ELj4ELj4294967295EEENS1_37radix_sort_block_sort_config_selectorIiNS0_10empty_typeEEEZNS1_21radix_sort_block_sortIS4_Lb1EPKiPiPS6_SC_NS0_19identity_decomposerEEE10hipError_tT1_T2_T3_T4_jRjT5_jjP12ihipStream_tbEUlT_E_NS1_11comp_targetILNS1_3genE0ELNS1_11target_archE4294967295ELNS1_3gpuE0ELNS1_3repE0EEENS1_44radix_sort_block_sort_config_static_selectorELNS0_4arch9wavefront6targetE0EEEvSF_.private_seg_size, 0
	.set _ZN7rocprim17ROCPRIM_400000_NS6detail17trampoline_kernelINS0_13kernel_configILj256ELj4ELj4294967295EEENS1_37radix_sort_block_sort_config_selectorIiNS0_10empty_typeEEEZNS1_21radix_sort_block_sortIS4_Lb1EPKiPiPS6_SC_NS0_19identity_decomposerEEE10hipError_tT1_T2_T3_T4_jRjT5_jjP12ihipStream_tbEUlT_E_NS1_11comp_targetILNS1_3genE0ELNS1_11target_archE4294967295ELNS1_3gpuE0ELNS1_3repE0EEENS1_44radix_sort_block_sort_config_static_selectorELNS0_4arch9wavefront6targetE0EEEvSF_.uses_vcc, 1
	.set _ZN7rocprim17ROCPRIM_400000_NS6detail17trampoline_kernelINS0_13kernel_configILj256ELj4ELj4294967295EEENS1_37radix_sort_block_sort_config_selectorIiNS0_10empty_typeEEEZNS1_21radix_sort_block_sortIS4_Lb1EPKiPiPS6_SC_NS0_19identity_decomposerEEE10hipError_tT1_T2_T3_T4_jRjT5_jjP12ihipStream_tbEUlT_E_NS1_11comp_targetILNS1_3genE0ELNS1_11target_archE4294967295ELNS1_3gpuE0ELNS1_3repE0EEENS1_44radix_sort_block_sort_config_static_selectorELNS0_4arch9wavefront6targetE0EEEvSF_.uses_flat_scratch, 0
	.set _ZN7rocprim17ROCPRIM_400000_NS6detail17trampoline_kernelINS0_13kernel_configILj256ELj4ELj4294967295EEENS1_37radix_sort_block_sort_config_selectorIiNS0_10empty_typeEEEZNS1_21radix_sort_block_sortIS4_Lb1EPKiPiPS6_SC_NS0_19identity_decomposerEEE10hipError_tT1_T2_T3_T4_jRjT5_jjP12ihipStream_tbEUlT_E_NS1_11comp_targetILNS1_3genE0ELNS1_11target_archE4294967295ELNS1_3gpuE0ELNS1_3repE0EEENS1_44radix_sort_block_sort_config_static_selectorELNS0_4arch9wavefront6targetE0EEEvSF_.has_dyn_sized_stack, 0
	.set _ZN7rocprim17ROCPRIM_400000_NS6detail17trampoline_kernelINS0_13kernel_configILj256ELj4ELj4294967295EEENS1_37radix_sort_block_sort_config_selectorIiNS0_10empty_typeEEEZNS1_21radix_sort_block_sortIS4_Lb1EPKiPiPS6_SC_NS0_19identity_decomposerEEE10hipError_tT1_T2_T3_T4_jRjT5_jjP12ihipStream_tbEUlT_E_NS1_11comp_targetILNS1_3genE0ELNS1_11target_archE4294967295ELNS1_3gpuE0ELNS1_3repE0EEENS1_44radix_sort_block_sort_config_static_selectorELNS0_4arch9wavefront6targetE0EEEvSF_.has_recursion, 0
	.set _ZN7rocprim17ROCPRIM_400000_NS6detail17trampoline_kernelINS0_13kernel_configILj256ELj4ELj4294967295EEENS1_37radix_sort_block_sort_config_selectorIiNS0_10empty_typeEEEZNS1_21radix_sort_block_sortIS4_Lb1EPKiPiPS6_SC_NS0_19identity_decomposerEEE10hipError_tT1_T2_T3_T4_jRjT5_jjP12ihipStream_tbEUlT_E_NS1_11comp_targetILNS1_3genE0ELNS1_11target_archE4294967295ELNS1_3gpuE0ELNS1_3repE0EEENS1_44radix_sort_block_sort_config_static_selectorELNS0_4arch9wavefront6targetE0EEEvSF_.has_indirect_call, 0
	.section	.AMDGPU.csdata,"",@progbits
; Kernel info:
; codeLenInByte = 3488
; TotalNumSgprs: 31
; NumVgprs: 38
; ScratchSize: 0
; MemoryBound: 0
; FloatMode: 240
; IeeeMode: 1
; LDSByteSize: 8224 bytes/workgroup (compile time only)
; SGPRBlocks: 0
; VGPRBlocks: 2
; NumSGPRsForWavesPerEU: 31
; NumVGPRsForWavesPerEU: 38
; NamedBarCnt: 0
; Occupancy: 16
; WaveLimiterHint : 1
; COMPUTE_PGM_RSRC2:SCRATCH_EN: 0
; COMPUTE_PGM_RSRC2:USER_SGPR: 2
; COMPUTE_PGM_RSRC2:TRAP_HANDLER: 0
; COMPUTE_PGM_RSRC2:TGID_X_EN: 1
; COMPUTE_PGM_RSRC2:TGID_Y_EN: 0
; COMPUTE_PGM_RSRC2:TGID_Z_EN: 0
; COMPUTE_PGM_RSRC2:TIDIG_COMP_CNT: 2
	.section	.text._ZN7rocprim17ROCPRIM_400000_NS6detail17trampoline_kernelINS0_13kernel_configILj256ELj4ELj4294967295EEENS1_37radix_sort_block_sort_config_selectorIiNS0_10empty_typeEEEZNS1_21radix_sort_block_sortIS4_Lb1EPKiPiPS6_SC_NS0_19identity_decomposerEEE10hipError_tT1_T2_T3_T4_jRjT5_jjP12ihipStream_tbEUlT_E_NS1_11comp_targetILNS1_3genE5ELNS1_11target_archE942ELNS1_3gpuE9ELNS1_3repE0EEENS1_44radix_sort_block_sort_config_static_selectorELNS0_4arch9wavefront6targetE0EEEvSF_,"axG",@progbits,_ZN7rocprim17ROCPRIM_400000_NS6detail17trampoline_kernelINS0_13kernel_configILj256ELj4ELj4294967295EEENS1_37radix_sort_block_sort_config_selectorIiNS0_10empty_typeEEEZNS1_21radix_sort_block_sortIS4_Lb1EPKiPiPS6_SC_NS0_19identity_decomposerEEE10hipError_tT1_T2_T3_T4_jRjT5_jjP12ihipStream_tbEUlT_E_NS1_11comp_targetILNS1_3genE5ELNS1_11target_archE942ELNS1_3gpuE9ELNS1_3repE0EEENS1_44radix_sort_block_sort_config_static_selectorELNS0_4arch9wavefront6targetE0EEEvSF_,comdat
	.protected	_ZN7rocprim17ROCPRIM_400000_NS6detail17trampoline_kernelINS0_13kernel_configILj256ELj4ELj4294967295EEENS1_37radix_sort_block_sort_config_selectorIiNS0_10empty_typeEEEZNS1_21radix_sort_block_sortIS4_Lb1EPKiPiPS6_SC_NS0_19identity_decomposerEEE10hipError_tT1_T2_T3_T4_jRjT5_jjP12ihipStream_tbEUlT_E_NS1_11comp_targetILNS1_3genE5ELNS1_11target_archE942ELNS1_3gpuE9ELNS1_3repE0EEENS1_44radix_sort_block_sort_config_static_selectorELNS0_4arch9wavefront6targetE0EEEvSF_ ; -- Begin function _ZN7rocprim17ROCPRIM_400000_NS6detail17trampoline_kernelINS0_13kernel_configILj256ELj4ELj4294967295EEENS1_37radix_sort_block_sort_config_selectorIiNS0_10empty_typeEEEZNS1_21radix_sort_block_sortIS4_Lb1EPKiPiPS6_SC_NS0_19identity_decomposerEEE10hipError_tT1_T2_T3_T4_jRjT5_jjP12ihipStream_tbEUlT_E_NS1_11comp_targetILNS1_3genE5ELNS1_11target_archE942ELNS1_3gpuE9ELNS1_3repE0EEENS1_44radix_sort_block_sort_config_static_selectorELNS0_4arch9wavefront6targetE0EEEvSF_
	.globl	_ZN7rocprim17ROCPRIM_400000_NS6detail17trampoline_kernelINS0_13kernel_configILj256ELj4ELj4294967295EEENS1_37radix_sort_block_sort_config_selectorIiNS0_10empty_typeEEEZNS1_21radix_sort_block_sortIS4_Lb1EPKiPiPS6_SC_NS0_19identity_decomposerEEE10hipError_tT1_T2_T3_T4_jRjT5_jjP12ihipStream_tbEUlT_E_NS1_11comp_targetILNS1_3genE5ELNS1_11target_archE942ELNS1_3gpuE9ELNS1_3repE0EEENS1_44radix_sort_block_sort_config_static_selectorELNS0_4arch9wavefront6targetE0EEEvSF_
	.p2align	8
	.type	_ZN7rocprim17ROCPRIM_400000_NS6detail17trampoline_kernelINS0_13kernel_configILj256ELj4ELj4294967295EEENS1_37radix_sort_block_sort_config_selectorIiNS0_10empty_typeEEEZNS1_21radix_sort_block_sortIS4_Lb1EPKiPiPS6_SC_NS0_19identity_decomposerEEE10hipError_tT1_T2_T3_T4_jRjT5_jjP12ihipStream_tbEUlT_E_NS1_11comp_targetILNS1_3genE5ELNS1_11target_archE942ELNS1_3gpuE9ELNS1_3repE0EEENS1_44radix_sort_block_sort_config_static_selectorELNS0_4arch9wavefront6targetE0EEEvSF_,@function
_ZN7rocprim17ROCPRIM_400000_NS6detail17trampoline_kernelINS0_13kernel_configILj256ELj4ELj4294967295EEENS1_37radix_sort_block_sort_config_selectorIiNS0_10empty_typeEEEZNS1_21radix_sort_block_sortIS4_Lb1EPKiPiPS6_SC_NS0_19identity_decomposerEEE10hipError_tT1_T2_T3_T4_jRjT5_jjP12ihipStream_tbEUlT_E_NS1_11comp_targetILNS1_3genE5ELNS1_11target_archE942ELNS1_3gpuE9ELNS1_3repE0EEENS1_44radix_sort_block_sort_config_static_selectorELNS0_4arch9wavefront6targetE0EEEvSF_: ; @_ZN7rocprim17ROCPRIM_400000_NS6detail17trampoline_kernelINS0_13kernel_configILj256ELj4ELj4294967295EEENS1_37radix_sort_block_sort_config_selectorIiNS0_10empty_typeEEEZNS1_21radix_sort_block_sortIS4_Lb1EPKiPiPS6_SC_NS0_19identity_decomposerEEE10hipError_tT1_T2_T3_T4_jRjT5_jjP12ihipStream_tbEUlT_E_NS1_11comp_targetILNS1_3genE5ELNS1_11target_archE942ELNS1_3gpuE9ELNS1_3repE0EEENS1_44radix_sort_block_sort_config_static_selectorELNS0_4arch9wavefront6targetE0EEEvSF_
; %bb.0:
	.section	.rodata,"a",@progbits
	.p2align	6, 0x0
	.amdhsa_kernel _ZN7rocprim17ROCPRIM_400000_NS6detail17trampoline_kernelINS0_13kernel_configILj256ELj4ELj4294967295EEENS1_37radix_sort_block_sort_config_selectorIiNS0_10empty_typeEEEZNS1_21radix_sort_block_sortIS4_Lb1EPKiPiPS6_SC_NS0_19identity_decomposerEEE10hipError_tT1_T2_T3_T4_jRjT5_jjP12ihipStream_tbEUlT_E_NS1_11comp_targetILNS1_3genE5ELNS1_11target_archE942ELNS1_3gpuE9ELNS1_3repE0EEENS1_44radix_sort_block_sort_config_static_selectorELNS0_4arch9wavefront6targetE0EEEvSF_
		.amdhsa_group_segment_fixed_size 0
		.amdhsa_private_segment_fixed_size 0
		.amdhsa_kernarg_size 48
		.amdhsa_user_sgpr_count 2
		.amdhsa_user_sgpr_dispatch_ptr 0
		.amdhsa_user_sgpr_queue_ptr 0
		.amdhsa_user_sgpr_kernarg_segment_ptr 1
		.amdhsa_user_sgpr_dispatch_id 0
		.amdhsa_user_sgpr_kernarg_preload_length 0
		.amdhsa_user_sgpr_kernarg_preload_offset 0
		.amdhsa_user_sgpr_private_segment_size 0
		.amdhsa_wavefront_size32 1
		.amdhsa_uses_dynamic_stack 0
		.amdhsa_enable_private_segment 0
		.amdhsa_system_sgpr_workgroup_id_x 1
		.amdhsa_system_sgpr_workgroup_id_y 0
		.amdhsa_system_sgpr_workgroup_id_z 0
		.amdhsa_system_sgpr_workgroup_info 0
		.amdhsa_system_vgpr_workitem_id 0
		.amdhsa_next_free_vgpr 1
		.amdhsa_next_free_sgpr 1
		.amdhsa_named_barrier_count 0
		.amdhsa_reserve_vcc 0
		.amdhsa_float_round_mode_32 0
		.amdhsa_float_round_mode_16_64 0
		.amdhsa_float_denorm_mode_32 3
		.amdhsa_float_denorm_mode_16_64 3
		.amdhsa_fp16_overflow 0
		.amdhsa_memory_ordered 1
		.amdhsa_forward_progress 1
		.amdhsa_inst_pref_size 0
		.amdhsa_round_robin_scheduling 0
		.amdhsa_exception_fp_ieee_invalid_op 0
		.amdhsa_exception_fp_denorm_src 0
		.amdhsa_exception_fp_ieee_div_zero 0
		.amdhsa_exception_fp_ieee_overflow 0
		.amdhsa_exception_fp_ieee_underflow 0
		.amdhsa_exception_fp_ieee_inexact 0
		.amdhsa_exception_int_div_zero 0
	.end_amdhsa_kernel
	.section	.text._ZN7rocprim17ROCPRIM_400000_NS6detail17trampoline_kernelINS0_13kernel_configILj256ELj4ELj4294967295EEENS1_37radix_sort_block_sort_config_selectorIiNS0_10empty_typeEEEZNS1_21radix_sort_block_sortIS4_Lb1EPKiPiPS6_SC_NS0_19identity_decomposerEEE10hipError_tT1_T2_T3_T4_jRjT5_jjP12ihipStream_tbEUlT_E_NS1_11comp_targetILNS1_3genE5ELNS1_11target_archE942ELNS1_3gpuE9ELNS1_3repE0EEENS1_44radix_sort_block_sort_config_static_selectorELNS0_4arch9wavefront6targetE0EEEvSF_,"axG",@progbits,_ZN7rocprim17ROCPRIM_400000_NS6detail17trampoline_kernelINS0_13kernel_configILj256ELj4ELj4294967295EEENS1_37radix_sort_block_sort_config_selectorIiNS0_10empty_typeEEEZNS1_21radix_sort_block_sortIS4_Lb1EPKiPiPS6_SC_NS0_19identity_decomposerEEE10hipError_tT1_T2_T3_T4_jRjT5_jjP12ihipStream_tbEUlT_E_NS1_11comp_targetILNS1_3genE5ELNS1_11target_archE942ELNS1_3gpuE9ELNS1_3repE0EEENS1_44radix_sort_block_sort_config_static_selectorELNS0_4arch9wavefront6targetE0EEEvSF_,comdat
.Lfunc_end750:
	.size	_ZN7rocprim17ROCPRIM_400000_NS6detail17trampoline_kernelINS0_13kernel_configILj256ELj4ELj4294967295EEENS1_37radix_sort_block_sort_config_selectorIiNS0_10empty_typeEEEZNS1_21radix_sort_block_sortIS4_Lb1EPKiPiPS6_SC_NS0_19identity_decomposerEEE10hipError_tT1_T2_T3_T4_jRjT5_jjP12ihipStream_tbEUlT_E_NS1_11comp_targetILNS1_3genE5ELNS1_11target_archE942ELNS1_3gpuE9ELNS1_3repE0EEENS1_44radix_sort_block_sort_config_static_selectorELNS0_4arch9wavefront6targetE0EEEvSF_, .Lfunc_end750-_ZN7rocprim17ROCPRIM_400000_NS6detail17trampoline_kernelINS0_13kernel_configILj256ELj4ELj4294967295EEENS1_37radix_sort_block_sort_config_selectorIiNS0_10empty_typeEEEZNS1_21radix_sort_block_sortIS4_Lb1EPKiPiPS6_SC_NS0_19identity_decomposerEEE10hipError_tT1_T2_T3_T4_jRjT5_jjP12ihipStream_tbEUlT_E_NS1_11comp_targetILNS1_3genE5ELNS1_11target_archE942ELNS1_3gpuE9ELNS1_3repE0EEENS1_44radix_sort_block_sort_config_static_selectorELNS0_4arch9wavefront6targetE0EEEvSF_
                                        ; -- End function
	.set _ZN7rocprim17ROCPRIM_400000_NS6detail17trampoline_kernelINS0_13kernel_configILj256ELj4ELj4294967295EEENS1_37radix_sort_block_sort_config_selectorIiNS0_10empty_typeEEEZNS1_21radix_sort_block_sortIS4_Lb1EPKiPiPS6_SC_NS0_19identity_decomposerEEE10hipError_tT1_T2_T3_T4_jRjT5_jjP12ihipStream_tbEUlT_E_NS1_11comp_targetILNS1_3genE5ELNS1_11target_archE942ELNS1_3gpuE9ELNS1_3repE0EEENS1_44radix_sort_block_sort_config_static_selectorELNS0_4arch9wavefront6targetE0EEEvSF_.num_vgpr, 0
	.set _ZN7rocprim17ROCPRIM_400000_NS6detail17trampoline_kernelINS0_13kernel_configILj256ELj4ELj4294967295EEENS1_37radix_sort_block_sort_config_selectorIiNS0_10empty_typeEEEZNS1_21radix_sort_block_sortIS4_Lb1EPKiPiPS6_SC_NS0_19identity_decomposerEEE10hipError_tT1_T2_T3_T4_jRjT5_jjP12ihipStream_tbEUlT_E_NS1_11comp_targetILNS1_3genE5ELNS1_11target_archE942ELNS1_3gpuE9ELNS1_3repE0EEENS1_44radix_sort_block_sort_config_static_selectorELNS0_4arch9wavefront6targetE0EEEvSF_.num_agpr, 0
	.set _ZN7rocprim17ROCPRIM_400000_NS6detail17trampoline_kernelINS0_13kernel_configILj256ELj4ELj4294967295EEENS1_37radix_sort_block_sort_config_selectorIiNS0_10empty_typeEEEZNS1_21radix_sort_block_sortIS4_Lb1EPKiPiPS6_SC_NS0_19identity_decomposerEEE10hipError_tT1_T2_T3_T4_jRjT5_jjP12ihipStream_tbEUlT_E_NS1_11comp_targetILNS1_3genE5ELNS1_11target_archE942ELNS1_3gpuE9ELNS1_3repE0EEENS1_44radix_sort_block_sort_config_static_selectorELNS0_4arch9wavefront6targetE0EEEvSF_.numbered_sgpr, 0
	.set _ZN7rocprim17ROCPRIM_400000_NS6detail17trampoline_kernelINS0_13kernel_configILj256ELj4ELj4294967295EEENS1_37radix_sort_block_sort_config_selectorIiNS0_10empty_typeEEEZNS1_21radix_sort_block_sortIS4_Lb1EPKiPiPS6_SC_NS0_19identity_decomposerEEE10hipError_tT1_T2_T3_T4_jRjT5_jjP12ihipStream_tbEUlT_E_NS1_11comp_targetILNS1_3genE5ELNS1_11target_archE942ELNS1_3gpuE9ELNS1_3repE0EEENS1_44radix_sort_block_sort_config_static_selectorELNS0_4arch9wavefront6targetE0EEEvSF_.num_named_barrier, 0
	.set _ZN7rocprim17ROCPRIM_400000_NS6detail17trampoline_kernelINS0_13kernel_configILj256ELj4ELj4294967295EEENS1_37radix_sort_block_sort_config_selectorIiNS0_10empty_typeEEEZNS1_21radix_sort_block_sortIS4_Lb1EPKiPiPS6_SC_NS0_19identity_decomposerEEE10hipError_tT1_T2_T3_T4_jRjT5_jjP12ihipStream_tbEUlT_E_NS1_11comp_targetILNS1_3genE5ELNS1_11target_archE942ELNS1_3gpuE9ELNS1_3repE0EEENS1_44radix_sort_block_sort_config_static_selectorELNS0_4arch9wavefront6targetE0EEEvSF_.private_seg_size, 0
	.set _ZN7rocprim17ROCPRIM_400000_NS6detail17trampoline_kernelINS0_13kernel_configILj256ELj4ELj4294967295EEENS1_37radix_sort_block_sort_config_selectorIiNS0_10empty_typeEEEZNS1_21radix_sort_block_sortIS4_Lb1EPKiPiPS6_SC_NS0_19identity_decomposerEEE10hipError_tT1_T2_T3_T4_jRjT5_jjP12ihipStream_tbEUlT_E_NS1_11comp_targetILNS1_3genE5ELNS1_11target_archE942ELNS1_3gpuE9ELNS1_3repE0EEENS1_44radix_sort_block_sort_config_static_selectorELNS0_4arch9wavefront6targetE0EEEvSF_.uses_vcc, 0
	.set _ZN7rocprim17ROCPRIM_400000_NS6detail17trampoline_kernelINS0_13kernel_configILj256ELj4ELj4294967295EEENS1_37radix_sort_block_sort_config_selectorIiNS0_10empty_typeEEEZNS1_21radix_sort_block_sortIS4_Lb1EPKiPiPS6_SC_NS0_19identity_decomposerEEE10hipError_tT1_T2_T3_T4_jRjT5_jjP12ihipStream_tbEUlT_E_NS1_11comp_targetILNS1_3genE5ELNS1_11target_archE942ELNS1_3gpuE9ELNS1_3repE0EEENS1_44radix_sort_block_sort_config_static_selectorELNS0_4arch9wavefront6targetE0EEEvSF_.uses_flat_scratch, 0
	.set _ZN7rocprim17ROCPRIM_400000_NS6detail17trampoline_kernelINS0_13kernel_configILj256ELj4ELj4294967295EEENS1_37radix_sort_block_sort_config_selectorIiNS0_10empty_typeEEEZNS1_21radix_sort_block_sortIS4_Lb1EPKiPiPS6_SC_NS0_19identity_decomposerEEE10hipError_tT1_T2_T3_T4_jRjT5_jjP12ihipStream_tbEUlT_E_NS1_11comp_targetILNS1_3genE5ELNS1_11target_archE942ELNS1_3gpuE9ELNS1_3repE0EEENS1_44radix_sort_block_sort_config_static_selectorELNS0_4arch9wavefront6targetE0EEEvSF_.has_dyn_sized_stack, 0
	.set _ZN7rocprim17ROCPRIM_400000_NS6detail17trampoline_kernelINS0_13kernel_configILj256ELj4ELj4294967295EEENS1_37radix_sort_block_sort_config_selectorIiNS0_10empty_typeEEEZNS1_21radix_sort_block_sortIS4_Lb1EPKiPiPS6_SC_NS0_19identity_decomposerEEE10hipError_tT1_T2_T3_T4_jRjT5_jjP12ihipStream_tbEUlT_E_NS1_11comp_targetILNS1_3genE5ELNS1_11target_archE942ELNS1_3gpuE9ELNS1_3repE0EEENS1_44radix_sort_block_sort_config_static_selectorELNS0_4arch9wavefront6targetE0EEEvSF_.has_recursion, 0
	.set _ZN7rocprim17ROCPRIM_400000_NS6detail17trampoline_kernelINS0_13kernel_configILj256ELj4ELj4294967295EEENS1_37radix_sort_block_sort_config_selectorIiNS0_10empty_typeEEEZNS1_21radix_sort_block_sortIS4_Lb1EPKiPiPS6_SC_NS0_19identity_decomposerEEE10hipError_tT1_T2_T3_T4_jRjT5_jjP12ihipStream_tbEUlT_E_NS1_11comp_targetILNS1_3genE5ELNS1_11target_archE942ELNS1_3gpuE9ELNS1_3repE0EEENS1_44radix_sort_block_sort_config_static_selectorELNS0_4arch9wavefront6targetE0EEEvSF_.has_indirect_call, 0
	.section	.AMDGPU.csdata,"",@progbits
; Kernel info:
; codeLenInByte = 0
; TotalNumSgprs: 0
; NumVgprs: 0
; ScratchSize: 0
; MemoryBound: 0
; FloatMode: 240
; IeeeMode: 1
; LDSByteSize: 0 bytes/workgroup (compile time only)
; SGPRBlocks: 0
; VGPRBlocks: 0
; NumSGPRsForWavesPerEU: 1
; NumVGPRsForWavesPerEU: 1
; NamedBarCnt: 0
; Occupancy: 16
; WaveLimiterHint : 0
; COMPUTE_PGM_RSRC2:SCRATCH_EN: 0
; COMPUTE_PGM_RSRC2:USER_SGPR: 2
; COMPUTE_PGM_RSRC2:TRAP_HANDLER: 0
; COMPUTE_PGM_RSRC2:TGID_X_EN: 1
; COMPUTE_PGM_RSRC2:TGID_Y_EN: 0
; COMPUTE_PGM_RSRC2:TGID_Z_EN: 0
; COMPUTE_PGM_RSRC2:TIDIG_COMP_CNT: 0
	.section	.text._ZN7rocprim17ROCPRIM_400000_NS6detail17trampoline_kernelINS0_13kernel_configILj256ELj4ELj4294967295EEENS1_37radix_sort_block_sort_config_selectorIiNS0_10empty_typeEEEZNS1_21radix_sort_block_sortIS4_Lb1EPKiPiPS6_SC_NS0_19identity_decomposerEEE10hipError_tT1_T2_T3_T4_jRjT5_jjP12ihipStream_tbEUlT_E_NS1_11comp_targetILNS1_3genE4ELNS1_11target_archE910ELNS1_3gpuE8ELNS1_3repE0EEENS1_44radix_sort_block_sort_config_static_selectorELNS0_4arch9wavefront6targetE0EEEvSF_,"axG",@progbits,_ZN7rocprim17ROCPRIM_400000_NS6detail17trampoline_kernelINS0_13kernel_configILj256ELj4ELj4294967295EEENS1_37radix_sort_block_sort_config_selectorIiNS0_10empty_typeEEEZNS1_21radix_sort_block_sortIS4_Lb1EPKiPiPS6_SC_NS0_19identity_decomposerEEE10hipError_tT1_T2_T3_T4_jRjT5_jjP12ihipStream_tbEUlT_E_NS1_11comp_targetILNS1_3genE4ELNS1_11target_archE910ELNS1_3gpuE8ELNS1_3repE0EEENS1_44radix_sort_block_sort_config_static_selectorELNS0_4arch9wavefront6targetE0EEEvSF_,comdat
	.protected	_ZN7rocprim17ROCPRIM_400000_NS6detail17trampoline_kernelINS0_13kernel_configILj256ELj4ELj4294967295EEENS1_37radix_sort_block_sort_config_selectorIiNS0_10empty_typeEEEZNS1_21radix_sort_block_sortIS4_Lb1EPKiPiPS6_SC_NS0_19identity_decomposerEEE10hipError_tT1_T2_T3_T4_jRjT5_jjP12ihipStream_tbEUlT_E_NS1_11comp_targetILNS1_3genE4ELNS1_11target_archE910ELNS1_3gpuE8ELNS1_3repE0EEENS1_44radix_sort_block_sort_config_static_selectorELNS0_4arch9wavefront6targetE0EEEvSF_ ; -- Begin function _ZN7rocprim17ROCPRIM_400000_NS6detail17trampoline_kernelINS0_13kernel_configILj256ELj4ELj4294967295EEENS1_37radix_sort_block_sort_config_selectorIiNS0_10empty_typeEEEZNS1_21radix_sort_block_sortIS4_Lb1EPKiPiPS6_SC_NS0_19identity_decomposerEEE10hipError_tT1_T2_T3_T4_jRjT5_jjP12ihipStream_tbEUlT_E_NS1_11comp_targetILNS1_3genE4ELNS1_11target_archE910ELNS1_3gpuE8ELNS1_3repE0EEENS1_44radix_sort_block_sort_config_static_selectorELNS0_4arch9wavefront6targetE0EEEvSF_
	.globl	_ZN7rocprim17ROCPRIM_400000_NS6detail17trampoline_kernelINS0_13kernel_configILj256ELj4ELj4294967295EEENS1_37radix_sort_block_sort_config_selectorIiNS0_10empty_typeEEEZNS1_21radix_sort_block_sortIS4_Lb1EPKiPiPS6_SC_NS0_19identity_decomposerEEE10hipError_tT1_T2_T3_T4_jRjT5_jjP12ihipStream_tbEUlT_E_NS1_11comp_targetILNS1_3genE4ELNS1_11target_archE910ELNS1_3gpuE8ELNS1_3repE0EEENS1_44radix_sort_block_sort_config_static_selectorELNS0_4arch9wavefront6targetE0EEEvSF_
	.p2align	8
	.type	_ZN7rocprim17ROCPRIM_400000_NS6detail17trampoline_kernelINS0_13kernel_configILj256ELj4ELj4294967295EEENS1_37radix_sort_block_sort_config_selectorIiNS0_10empty_typeEEEZNS1_21radix_sort_block_sortIS4_Lb1EPKiPiPS6_SC_NS0_19identity_decomposerEEE10hipError_tT1_T2_T3_T4_jRjT5_jjP12ihipStream_tbEUlT_E_NS1_11comp_targetILNS1_3genE4ELNS1_11target_archE910ELNS1_3gpuE8ELNS1_3repE0EEENS1_44radix_sort_block_sort_config_static_selectorELNS0_4arch9wavefront6targetE0EEEvSF_,@function
_ZN7rocprim17ROCPRIM_400000_NS6detail17trampoline_kernelINS0_13kernel_configILj256ELj4ELj4294967295EEENS1_37radix_sort_block_sort_config_selectorIiNS0_10empty_typeEEEZNS1_21radix_sort_block_sortIS4_Lb1EPKiPiPS6_SC_NS0_19identity_decomposerEEE10hipError_tT1_T2_T3_T4_jRjT5_jjP12ihipStream_tbEUlT_E_NS1_11comp_targetILNS1_3genE4ELNS1_11target_archE910ELNS1_3gpuE8ELNS1_3repE0EEENS1_44radix_sort_block_sort_config_static_selectorELNS0_4arch9wavefront6targetE0EEEvSF_: ; @_ZN7rocprim17ROCPRIM_400000_NS6detail17trampoline_kernelINS0_13kernel_configILj256ELj4ELj4294967295EEENS1_37radix_sort_block_sort_config_selectorIiNS0_10empty_typeEEEZNS1_21radix_sort_block_sortIS4_Lb1EPKiPiPS6_SC_NS0_19identity_decomposerEEE10hipError_tT1_T2_T3_T4_jRjT5_jjP12ihipStream_tbEUlT_E_NS1_11comp_targetILNS1_3genE4ELNS1_11target_archE910ELNS1_3gpuE8ELNS1_3repE0EEENS1_44radix_sort_block_sort_config_static_selectorELNS0_4arch9wavefront6targetE0EEEvSF_
; %bb.0:
	.section	.rodata,"a",@progbits
	.p2align	6, 0x0
	.amdhsa_kernel _ZN7rocprim17ROCPRIM_400000_NS6detail17trampoline_kernelINS0_13kernel_configILj256ELj4ELj4294967295EEENS1_37radix_sort_block_sort_config_selectorIiNS0_10empty_typeEEEZNS1_21radix_sort_block_sortIS4_Lb1EPKiPiPS6_SC_NS0_19identity_decomposerEEE10hipError_tT1_T2_T3_T4_jRjT5_jjP12ihipStream_tbEUlT_E_NS1_11comp_targetILNS1_3genE4ELNS1_11target_archE910ELNS1_3gpuE8ELNS1_3repE0EEENS1_44radix_sort_block_sort_config_static_selectorELNS0_4arch9wavefront6targetE0EEEvSF_
		.amdhsa_group_segment_fixed_size 0
		.amdhsa_private_segment_fixed_size 0
		.amdhsa_kernarg_size 48
		.amdhsa_user_sgpr_count 2
		.amdhsa_user_sgpr_dispatch_ptr 0
		.amdhsa_user_sgpr_queue_ptr 0
		.amdhsa_user_sgpr_kernarg_segment_ptr 1
		.amdhsa_user_sgpr_dispatch_id 0
		.amdhsa_user_sgpr_kernarg_preload_length 0
		.amdhsa_user_sgpr_kernarg_preload_offset 0
		.amdhsa_user_sgpr_private_segment_size 0
		.amdhsa_wavefront_size32 1
		.amdhsa_uses_dynamic_stack 0
		.amdhsa_enable_private_segment 0
		.amdhsa_system_sgpr_workgroup_id_x 1
		.amdhsa_system_sgpr_workgroup_id_y 0
		.amdhsa_system_sgpr_workgroup_id_z 0
		.amdhsa_system_sgpr_workgroup_info 0
		.amdhsa_system_vgpr_workitem_id 0
		.amdhsa_next_free_vgpr 1
		.amdhsa_next_free_sgpr 1
		.amdhsa_named_barrier_count 0
		.amdhsa_reserve_vcc 0
		.amdhsa_float_round_mode_32 0
		.amdhsa_float_round_mode_16_64 0
		.amdhsa_float_denorm_mode_32 3
		.amdhsa_float_denorm_mode_16_64 3
		.amdhsa_fp16_overflow 0
		.amdhsa_memory_ordered 1
		.amdhsa_forward_progress 1
		.amdhsa_inst_pref_size 0
		.amdhsa_round_robin_scheduling 0
		.amdhsa_exception_fp_ieee_invalid_op 0
		.amdhsa_exception_fp_denorm_src 0
		.amdhsa_exception_fp_ieee_div_zero 0
		.amdhsa_exception_fp_ieee_overflow 0
		.amdhsa_exception_fp_ieee_underflow 0
		.amdhsa_exception_fp_ieee_inexact 0
		.amdhsa_exception_int_div_zero 0
	.end_amdhsa_kernel
	.section	.text._ZN7rocprim17ROCPRIM_400000_NS6detail17trampoline_kernelINS0_13kernel_configILj256ELj4ELj4294967295EEENS1_37radix_sort_block_sort_config_selectorIiNS0_10empty_typeEEEZNS1_21radix_sort_block_sortIS4_Lb1EPKiPiPS6_SC_NS0_19identity_decomposerEEE10hipError_tT1_T2_T3_T4_jRjT5_jjP12ihipStream_tbEUlT_E_NS1_11comp_targetILNS1_3genE4ELNS1_11target_archE910ELNS1_3gpuE8ELNS1_3repE0EEENS1_44radix_sort_block_sort_config_static_selectorELNS0_4arch9wavefront6targetE0EEEvSF_,"axG",@progbits,_ZN7rocprim17ROCPRIM_400000_NS6detail17trampoline_kernelINS0_13kernel_configILj256ELj4ELj4294967295EEENS1_37radix_sort_block_sort_config_selectorIiNS0_10empty_typeEEEZNS1_21radix_sort_block_sortIS4_Lb1EPKiPiPS6_SC_NS0_19identity_decomposerEEE10hipError_tT1_T2_T3_T4_jRjT5_jjP12ihipStream_tbEUlT_E_NS1_11comp_targetILNS1_3genE4ELNS1_11target_archE910ELNS1_3gpuE8ELNS1_3repE0EEENS1_44radix_sort_block_sort_config_static_selectorELNS0_4arch9wavefront6targetE0EEEvSF_,comdat
.Lfunc_end751:
	.size	_ZN7rocprim17ROCPRIM_400000_NS6detail17trampoline_kernelINS0_13kernel_configILj256ELj4ELj4294967295EEENS1_37radix_sort_block_sort_config_selectorIiNS0_10empty_typeEEEZNS1_21radix_sort_block_sortIS4_Lb1EPKiPiPS6_SC_NS0_19identity_decomposerEEE10hipError_tT1_T2_T3_T4_jRjT5_jjP12ihipStream_tbEUlT_E_NS1_11comp_targetILNS1_3genE4ELNS1_11target_archE910ELNS1_3gpuE8ELNS1_3repE0EEENS1_44radix_sort_block_sort_config_static_selectorELNS0_4arch9wavefront6targetE0EEEvSF_, .Lfunc_end751-_ZN7rocprim17ROCPRIM_400000_NS6detail17trampoline_kernelINS0_13kernel_configILj256ELj4ELj4294967295EEENS1_37radix_sort_block_sort_config_selectorIiNS0_10empty_typeEEEZNS1_21radix_sort_block_sortIS4_Lb1EPKiPiPS6_SC_NS0_19identity_decomposerEEE10hipError_tT1_T2_T3_T4_jRjT5_jjP12ihipStream_tbEUlT_E_NS1_11comp_targetILNS1_3genE4ELNS1_11target_archE910ELNS1_3gpuE8ELNS1_3repE0EEENS1_44radix_sort_block_sort_config_static_selectorELNS0_4arch9wavefront6targetE0EEEvSF_
                                        ; -- End function
	.set _ZN7rocprim17ROCPRIM_400000_NS6detail17trampoline_kernelINS0_13kernel_configILj256ELj4ELj4294967295EEENS1_37radix_sort_block_sort_config_selectorIiNS0_10empty_typeEEEZNS1_21radix_sort_block_sortIS4_Lb1EPKiPiPS6_SC_NS0_19identity_decomposerEEE10hipError_tT1_T2_T3_T4_jRjT5_jjP12ihipStream_tbEUlT_E_NS1_11comp_targetILNS1_3genE4ELNS1_11target_archE910ELNS1_3gpuE8ELNS1_3repE0EEENS1_44radix_sort_block_sort_config_static_selectorELNS0_4arch9wavefront6targetE0EEEvSF_.num_vgpr, 0
	.set _ZN7rocprim17ROCPRIM_400000_NS6detail17trampoline_kernelINS0_13kernel_configILj256ELj4ELj4294967295EEENS1_37radix_sort_block_sort_config_selectorIiNS0_10empty_typeEEEZNS1_21radix_sort_block_sortIS4_Lb1EPKiPiPS6_SC_NS0_19identity_decomposerEEE10hipError_tT1_T2_T3_T4_jRjT5_jjP12ihipStream_tbEUlT_E_NS1_11comp_targetILNS1_3genE4ELNS1_11target_archE910ELNS1_3gpuE8ELNS1_3repE0EEENS1_44radix_sort_block_sort_config_static_selectorELNS0_4arch9wavefront6targetE0EEEvSF_.num_agpr, 0
	.set _ZN7rocprim17ROCPRIM_400000_NS6detail17trampoline_kernelINS0_13kernel_configILj256ELj4ELj4294967295EEENS1_37radix_sort_block_sort_config_selectorIiNS0_10empty_typeEEEZNS1_21radix_sort_block_sortIS4_Lb1EPKiPiPS6_SC_NS0_19identity_decomposerEEE10hipError_tT1_T2_T3_T4_jRjT5_jjP12ihipStream_tbEUlT_E_NS1_11comp_targetILNS1_3genE4ELNS1_11target_archE910ELNS1_3gpuE8ELNS1_3repE0EEENS1_44radix_sort_block_sort_config_static_selectorELNS0_4arch9wavefront6targetE0EEEvSF_.numbered_sgpr, 0
	.set _ZN7rocprim17ROCPRIM_400000_NS6detail17trampoline_kernelINS0_13kernel_configILj256ELj4ELj4294967295EEENS1_37radix_sort_block_sort_config_selectorIiNS0_10empty_typeEEEZNS1_21radix_sort_block_sortIS4_Lb1EPKiPiPS6_SC_NS0_19identity_decomposerEEE10hipError_tT1_T2_T3_T4_jRjT5_jjP12ihipStream_tbEUlT_E_NS1_11comp_targetILNS1_3genE4ELNS1_11target_archE910ELNS1_3gpuE8ELNS1_3repE0EEENS1_44radix_sort_block_sort_config_static_selectorELNS0_4arch9wavefront6targetE0EEEvSF_.num_named_barrier, 0
	.set _ZN7rocprim17ROCPRIM_400000_NS6detail17trampoline_kernelINS0_13kernel_configILj256ELj4ELj4294967295EEENS1_37radix_sort_block_sort_config_selectorIiNS0_10empty_typeEEEZNS1_21radix_sort_block_sortIS4_Lb1EPKiPiPS6_SC_NS0_19identity_decomposerEEE10hipError_tT1_T2_T3_T4_jRjT5_jjP12ihipStream_tbEUlT_E_NS1_11comp_targetILNS1_3genE4ELNS1_11target_archE910ELNS1_3gpuE8ELNS1_3repE0EEENS1_44radix_sort_block_sort_config_static_selectorELNS0_4arch9wavefront6targetE0EEEvSF_.private_seg_size, 0
	.set _ZN7rocprim17ROCPRIM_400000_NS6detail17trampoline_kernelINS0_13kernel_configILj256ELj4ELj4294967295EEENS1_37radix_sort_block_sort_config_selectorIiNS0_10empty_typeEEEZNS1_21radix_sort_block_sortIS4_Lb1EPKiPiPS6_SC_NS0_19identity_decomposerEEE10hipError_tT1_T2_T3_T4_jRjT5_jjP12ihipStream_tbEUlT_E_NS1_11comp_targetILNS1_3genE4ELNS1_11target_archE910ELNS1_3gpuE8ELNS1_3repE0EEENS1_44radix_sort_block_sort_config_static_selectorELNS0_4arch9wavefront6targetE0EEEvSF_.uses_vcc, 0
	.set _ZN7rocprim17ROCPRIM_400000_NS6detail17trampoline_kernelINS0_13kernel_configILj256ELj4ELj4294967295EEENS1_37radix_sort_block_sort_config_selectorIiNS0_10empty_typeEEEZNS1_21radix_sort_block_sortIS4_Lb1EPKiPiPS6_SC_NS0_19identity_decomposerEEE10hipError_tT1_T2_T3_T4_jRjT5_jjP12ihipStream_tbEUlT_E_NS1_11comp_targetILNS1_3genE4ELNS1_11target_archE910ELNS1_3gpuE8ELNS1_3repE0EEENS1_44radix_sort_block_sort_config_static_selectorELNS0_4arch9wavefront6targetE0EEEvSF_.uses_flat_scratch, 0
	.set _ZN7rocprim17ROCPRIM_400000_NS6detail17trampoline_kernelINS0_13kernel_configILj256ELj4ELj4294967295EEENS1_37radix_sort_block_sort_config_selectorIiNS0_10empty_typeEEEZNS1_21radix_sort_block_sortIS4_Lb1EPKiPiPS6_SC_NS0_19identity_decomposerEEE10hipError_tT1_T2_T3_T4_jRjT5_jjP12ihipStream_tbEUlT_E_NS1_11comp_targetILNS1_3genE4ELNS1_11target_archE910ELNS1_3gpuE8ELNS1_3repE0EEENS1_44radix_sort_block_sort_config_static_selectorELNS0_4arch9wavefront6targetE0EEEvSF_.has_dyn_sized_stack, 0
	.set _ZN7rocprim17ROCPRIM_400000_NS6detail17trampoline_kernelINS0_13kernel_configILj256ELj4ELj4294967295EEENS1_37radix_sort_block_sort_config_selectorIiNS0_10empty_typeEEEZNS1_21radix_sort_block_sortIS4_Lb1EPKiPiPS6_SC_NS0_19identity_decomposerEEE10hipError_tT1_T2_T3_T4_jRjT5_jjP12ihipStream_tbEUlT_E_NS1_11comp_targetILNS1_3genE4ELNS1_11target_archE910ELNS1_3gpuE8ELNS1_3repE0EEENS1_44radix_sort_block_sort_config_static_selectorELNS0_4arch9wavefront6targetE0EEEvSF_.has_recursion, 0
	.set _ZN7rocprim17ROCPRIM_400000_NS6detail17trampoline_kernelINS0_13kernel_configILj256ELj4ELj4294967295EEENS1_37radix_sort_block_sort_config_selectorIiNS0_10empty_typeEEEZNS1_21radix_sort_block_sortIS4_Lb1EPKiPiPS6_SC_NS0_19identity_decomposerEEE10hipError_tT1_T2_T3_T4_jRjT5_jjP12ihipStream_tbEUlT_E_NS1_11comp_targetILNS1_3genE4ELNS1_11target_archE910ELNS1_3gpuE8ELNS1_3repE0EEENS1_44radix_sort_block_sort_config_static_selectorELNS0_4arch9wavefront6targetE0EEEvSF_.has_indirect_call, 0
	.section	.AMDGPU.csdata,"",@progbits
; Kernel info:
; codeLenInByte = 0
; TotalNumSgprs: 0
; NumVgprs: 0
; ScratchSize: 0
; MemoryBound: 0
; FloatMode: 240
; IeeeMode: 1
; LDSByteSize: 0 bytes/workgroup (compile time only)
; SGPRBlocks: 0
; VGPRBlocks: 0
; NumSGPRsForWavesPerEU: 1
; NumVGPRsForWavesPerEU: 1
; NamedBarCnt: 0
; Occupancy: 16
; WaveLimiterHint : 0
; COMPUTE_PGM_RSRC2:SCRATCH_EN: 0
; COMPUTE_PGM_RSRC2:USER_SGPR: 2
; COMPUTE_PGM_RSRC2:TRAP_HANDLER: 0
; COMPUTE_PGM_RSRC2:TGID_X_EN: 1
; COMPUTE_PGM_RSRC2:TGID_Y_EN: 0
; COMPUTE_PGM_RSRC2:TGID_Z_EN: 0
; COMPUTE_PGM_RSRC2:TIDIG_COMP_CNT: 0
	.section	.text._ZN7rocprim17ROCPRIM_400000_NS6detail17trampoline_kernelINS0_13kernel_configILj256ELj4ELj4294967295EEENS1_37radix_sort_block_sort_config_selectorIiNS0_10empty_typeEEEZNS1_21radix_sort_block_sortIS4_Lb1EPKiPiPS6_SC_NS0_19identity_decomposerEEE10hipError_tT1_T2_T3_T4_jRjT5_jjP12ihipStream_tbEUlT_E_NS1_11comp_targetILNS1_3genE3ELNS1_11target_archE908ELNS1_3gpuE7ELNS1_3repE0EEENS1_44radix_sort_block_sort_config_static_selectorELNS0_4arch9wavefront6targetE0EEEvSF_,"axG",@progbits,_ZN7rocprim17ROCPRIM_400000_NS6detail17trampoline_kernelINS0_13kernel_configILj256ELj4ELj4294967295EEENS1_37radix_sort_block_sort_config_selectorIiNS0_10empty_typeEEEZNS1_21radix_sort_block_sortIS4_Lb1EPKiPiPS6_SC_NS0_19identity_decomposerEEE10hipError_tT1_T2_T3_T4_jRjT5_jjP12ihipStream_tbEUlT_E_NS1_11comp_targetILNS1_3genE3ELNS1_11target_archE908ELNS1_3gpuE7ELNS1_3repE0EEENS1_44radix_sort_block_sort_config_static_selectorELNS0_4arch9wavefront6targetE0EEEvSF_,comdat
	.protected	_ZN7rocprim17ROCPRIM_400000_NS6detail17trampoline_kernelINS0_13kernel_configILj256ELj4ELj4294967295EEENS1_37radix_sort_block_sort_config_selectorIiNS0_10empty_typeEEEZNS1_21radix_sort_block_sortIS4_Lb1EPKiPiPS6_SC_NS0_19identity_decomposerEEE10hipError_tT1_T2_T3_T4_jRjT5_jjP12ihipStream_tbEUlT_E_NS1_11comp_targetILNS1_3genE3ELNS1_11target_archE908ELNS1_3gpuE7ELNS1_3repE0EEENS1_44radix_sort_block_sort_config_static_selectorELNS0_4arch9wavefront6targetE0EEEvSF_ ; -- Begin function _ZN7rocprim17ROCPRIM_400000_NS6detail17trampoline_kernelINS0_13kernel_configILj256ELj4ELj4294967295EEENS1_37radix_sort_block_sort_config_selectorIiNS0_10empty_typeEEEZNS1_21radix_sort_block_sortIS4_Lb1EPKiPiPS6_SC_NS0_19identity_decomposerEEE10hipError_tT1_T2_T3_T4_jRjT5_jjP12ihipStream_tbEUlT_E_NS1_11comp_targetILNS1_3genE3ELNS1_11target_archE908ELNS1_3gpuE7ELNS1_3repE0EEENS1_44radix_sort_block_sort_config_static_selectorELNS0_4arch9wavefront6targetE0EEEvSF_
	.globl	_ZN7rocprim17ROCPRIM_400000_NS6detail17trampoline_kernelINS0_13kernel_configILj256ELj4ELj4294967295EEENS1_37radix_sort_block_sort_config_selectorIiNS0_10empty_typeEEEZNS1_21radix_sort_block_sortIS4_Lb1EPKiPiPS6_SC_NS0_19identity_decomposerEEE10hipError_tT1_T2_T3_T4_jRjT5_jjP12ihipStream_tbEUlT_E_NS1_11comp_targetILNS1_3genE3ELNS1_11target_archE908ELNS1_3gpuE7ELNS1_3repE0EEENS1_44radix_sort_block_sort_config_static_selectorELNS0_4arch9wavefront6targetE0EEEvSF_
	.p2align	8
	.type	_ZN7rocprim17ROCPRIM_400000_NS6detail17trampoline_kernelINS0_13kernel_configILj256ELj4ELj4294967295EEENS1_37radix_sort_block_sort_config_selectorIiNS0_10empty_typeEEEZNS1_21radix_sort_block_sortIS4_Lb1EPKiPiPS6_SC_NS0_19identity_decomposerEEE10hipError_tT1_T2_T3_T4_jRjT5_jjP12ihipStream_tbEUlT_E_NS1_11comp_targetILNS1_3genE3ELNS1_11target_archE908ELNS1_3gpuE7ELNS1_3repE0EEENS1_44radix_sort_block_sort_config_static_selectorELNS0_4arch9wavefront6targetE0EEEvSF_,@function
_ZN7rocprim17ROCPRIM_400000_NS6detail17trampoline_kernelINS0_13kernel_configILj256ELj4ELj4294967295EEENS1_37radix_sort_block_sort_config_selectorIiNS0_10empty_typeEEEZNS1_21radix_sort_block_sortIS4_Lb1EPKiPiPS6_SC_NS0_19identity_decomposerEEE10hipError_tT1_T2_T3_T4_jRjT5_jjP12ihipStream_tbEUlT_E_NS1_11comp_targetILNS1_3genE3ELNS1_11target_archE908ELNS1_3gpuE7ELNS1_3repE0EEENS1_44radix_sort_block_sort_config_static_selectorELNS0_4arch9wavefront6targetE0EEEvSF_: ; @_ZN7rocprim17ROCPRIM_400000_NS6detail17trampoline_kernelINS0_13kernel_configILj256ELj4ELj4294967295EEENS1_37radix_sort_block_sort_config_selectorIiNS0_10empty_typeEEEZNS1_21radix_sort_block_sortIS4_Lb1EPKiPiPS6_SC_NS0_19identity_decomposerEEE10hipError_tT1_T2_T3_T4_jRjT5_jjP12ihipStream_tbEUlT_E_NS1_11comp_targetILNS1_3genE3ELNS1_11target_archE908ELNS1_3gpuE7ELNS1_3repE0EEENS1_44radix_sort_block_sort_config_static_selectorELNS0_4arch9wavefront6targetE0EEEvSF_
; %bb.0:
	.section	.rodata,"a",@progbits
	.p2align	6, 0x0
	.amdhsa_kernel _ZN7rocprim17ROCPRIM_400000_NS6detail17trampoline_kernelINS0_13kernel_configILj256ELj4ELj4294967295EEENS1_37radix_sort_block_sort_config_selectorIiNS0_10empty_typeEEEZNS1_21radix_sort_block_sortIS4_Lb1EPKiPiPS6_SC_NS0_19identity_decomposerEEE10hipError_tT1_T2_T3_T4_jRjT5_jjP12ihipStream_tbEUlT_E_NS1_11comp_targetILNS1_3genE3ELNS1_11target_archE908ELNS1_3gpuE7ELNS1_3repE0EEENS1_44radix_sort_block_sort_config_static_selectorELNS0_4arch9wavefront6targetE0EEEvSF_
		.amdhsa_group_segment_fixed_size 0
		.amdhsa_private_segment_fixed_size 0
		.amdhsa_kernarg_size 48
		.amdhsa_user_sgpr_count 2
		.amdhsa_user_sgpr_dispatch_ptr 0
		.amdhsa_user_sgpr_queue_ptr 0
		.amdhsa_user_sgpr_kernarg_segment_ptr 1
		.amdhsa_user_sgpr_dispatch_id 0
		.amdhsa_user_sgpr_kernarg_preload_length 0
		.amdhsa_user_sgpr_kernarg_preload_offset 0
		.amdhsa_user_sgpr_private_segment_size 0
		.amdhsa_wavefront_size32 1
		.amdhsa_uses_dynamic_stack 0
		.amdhsa_enable_private_segment 0
		.amdhsa_system_sgpr_workgroup_id_x 1
		.amdhsa_system_sgpr_workgroup_id_y 0
		.amdhsa_system_sgpr_workgroup_id_z 0
		.amdhsa_system_sgpr_workgroup_info 0
		.amdhsa_system_vgpr_workitem_id 0
		.amdhsa_next_free_vgpr 1
		.amdhsa_next_free_sgpr 1
		.amdhsa_named_barrier_count 0
		.amdhsa_reserve_vcc 0
		.amdhsa_float_round_mode_32 0
		.amdhsa_float_round_mode_16_64 0
		.amdhsa_float_denorm_mode_32 3
		.amdhsa_float_denorm_mode_16_64 3
		.amdhsa_fp16_overflow 0
		.amdhsa_memory_ordered 1
		.amdhsa_forward_progress 1
		.amdhsa_inst_pref_size 0
		.amdhsa_round_robin_scheduling 0
		.amdhsa_exception_fp_ieee_invalid_op 0
		.amdhsa_exception_fp_denorm_src 0
		.amdhsa_exception_fp_ieee_div_zero 0
		.amdhsa_exception_fp_ieee_overflow 0
		.amdhsa_exception_fp_ieee_underflow 0
		.amdhsa_exception_fp_ieee_inexact 0
		.amdhsa_exception_int_div_zero 0
	.end_amdhsa_kernel
	.section	.text._ZN7rocprim17ROCPRIM_400000_NS6detail17trampoline_kernelINS0_13kernel_configILj256ELj4ELj4294967295EEENS1_37radix_sort_block_sort_config_selectorIiNS0_10empty_typeEEEZNS1_21radix_sort_block_sortIS4_Lb1EPKiPiPS6_SC_NS0_19identity_decomposerEEE10hipError_tT1_T2_T3_T4_jRjT5_jjP12ihipStream_tbEUlT_E_NS1_11comp_targetILNS1_3genE3ELNS1_11target_archE908ELNS1_3gpuE7ELNS1_3repE0EEENS1_44radix_sort_block_sort_config_static_selectorELNS0_4arch9wavefront6targetE0EEEvSF_,"axG",@progbits,_ZN7rocprim17ROCPRIM_400000_NS6detail17trampoline_kernelINS0_13kernel_configILj256ELj4ELj4294967295EEENS1_37radix_sort_block_sort_config_selectorIiNS0_10empty_typeEEEZNS1_21radix_sort_block_sortIS4_Lb1EPKiPiPS6_SC_NS0_19identity_decomposerEEE10hipError_tT1_T2_T3_T4_jRjT5_jjP12ihipStream_tbEUlT_E_NS1_11comp_targetILNS1_3genE3ELNS1_11target_archE908ELNS1_3gpuE7ELNS1_3repE0EEENS1_44radix_sort_block_sort_config_static_selectorELNS0_4arch9wavefront6targetE0EEEvSF_,comdat
.Lfunc_end752:
	.size	_ZN7rocprim17ROCPRIM_400000_NS6detail17trampoline_kernelINS0_13kernel_configILj256ELj4ELj4294967295EEENS1_37radix_sort_block_sort_config_selectorIiNS0_10empty_typeEEEZNS1_21radix_sort_block_sortIS4_Lb1EPKiPiPS6_SC_NS0_19identity_decomposerEEE10hipError_tT1_T2_T3_T4_jRjT5_jjP12ihipStream_tbEUlT_E_NS1_11comp_targetILNS1_3genE3ELNS1_11target_archE908ELNS1_3gpuE7ELNS1_3repE0EEENS1_44radix_sort_block_sort_config_static_selectorELNS0_4arch9wavefront6targetE0EEEvSF_, .Lfunc_end752-_ZN7rocprim17ROCPRIM_400000_NS6detail17trampoline_kernelINS0_13kernel_configILj256ELj4ELj4294967295EEENS1_37radix_sort_block_sort_config_selectorIiNS0_10empty_typeEEEZNS1_21radix_sort_block_sortIS4_Lb1EPKiPiPS6_SC_NS0_19identity_decomposerEEE10hipError_tT1_T2_T3_T4_jRjT5_jjP12ihipStream_tbEUlT_E_NS1_11comp_targetILNS1_3genE3ELNS1_11target_archE908ELNS1_3gpuE7ELNS1_3repE0EEENS1_44radix_sort_block_sort_config_static_selectorELNS0_4arch9wavefront6targetE0EEEvSF_
                                        ; -- End function
	.set _ZN7rocprim17ROCPRIM_400000_NS6detail17trampoline_kernelINS0_13kernel_configILj256ELj4ELj4294967295EEENS1_37radix_sort_block_sort_config_selectorIiNS0_10empty_typeEEEZNS1_21radix_sort_block_sortIS4_Lb1EPKiPiPS6_SC_NS0_19identity_decomposerEEE10hipError_tT1_T2_T3_T4_jRjT5_jjP12ihipStream_tbEUlT_E_NS1_11comp_targetILNS1_3genE3ELNS1_11target_archE908ELNS1_3gpuE7ELNS1_3repE0EEENS1_44radix_sort_block_sort_config_static_selectorELNS0_4arch9wavefront6targetE0EEEvSF_.num_vgpr, 0
	.set _ZN7rocprim17ROCPRIM_400000_NS6detail17trampoline_kernelINS0_13kernel_configILj256ELj4ELj4294967295EEENS1_37radix_sort_block_sort_config_selectorIiNS0_10empty_typeEEEZNS1_21radix_sort_block_sortIS4_Lb1EPKiPiPS6_SC_NS0_19identity_decomposerEEE10hipError_tT1_T2_T3_T4_jRjT5_jjP12ihipStream_tbEUlT_E_NS1_11comp_targetILNS1_3genE3ELNS1_11target_archE908ELNS1_3gpuE7ELNS1_3repE0EEENS1_44radix_sort_block_sort_config_static_selectorELNS0_4arch9wavefront6targetE0EEEvSF_.num_agpr, 0
	.set _ZN7rocprim17ROCPRIM_400000_NS6detail17trampoline_kernelINS0_13kernel_configILj256ELj4ELj4294967295EEENS1_37radix_sort_block_sort_config_selectorIiNS0_10empty_typeEEEZNS1_21radix_sort_block_sortIS4_Lb1EPKiPiPS6_SC_NS0_19identity_decomposerEEE10hipError_tT1_T2_T3_T4_jRjT5_jjP12ihipStream_tbEUlT_E_NS1_11comp_targetILNS1_3genE3ELNS1_11target_archE908ELNS1_3gpuE7ELNS1_3repE0EEENS1_44radix_sort_block_sort_config_static_selectorELNS0_4arch9wavefront6targetE0EEEvSF_.numbered_sgpr, 0
	.set _ZN7rocprim17ROCPRIM_400000_NS6detail17trampoline_kernelINS0_13kernel_configILj256ELj4ELj4294967295EEENS1_37radix_sort_block_sort_config_selectorIiNS0_10empty_typeEEEZNS1_21radix_sort_block_sortIS4_Lb1EPKiPiPS6_SC_NS0_19identity_decomposerEEE10hipError_tT1_T2_T3_T4_jRjT5_jjP12ihipStream_tbEUlT_E_NS1_11comp_targetILNS1_3genE3ELNS1_11target_archE908ELNS1_3gpuE7ELNS1_3repE0EEENS1_44radix_sort_block_sort_config_static_selectorELNS0_4arch9wavefront6targetE0EEEvSF_.num_named_barrier, 0
	.set _ZN7rocprim17ROCPRIM_400000_NS6detail17trampoline_kernelINS0_13kernel_configILj256ELj4ELj4294967295EEENS1_37radix_sort_block_sort_config_selectorIiNS0_10empty_typeEEEZNS1_21radix_sort_block_sortIS4_Lb1EPKiPiPS6_SC_NS0_19identity_decomposerEEE10hipError_tT1_T2_T3_T4_jRjT5_jjP12ihipStream_tbEUlT_E_NS1_11comp_targetILNS1_3genE3ELNS1_11target_archE908ELNS1_3gpuE7ELNS1_3repE0EEENS1_44radix_sort_block_sort_config_static_selectorELNS0_4arch9wavefront6targetE0EEEvSF_.private_seg_size, 0
	.set _ZN7rocprim17ROCPRIM_400000_NS6detail17trampoline_kernelINS0_13kernel_configILj256ELj4ELj4294967295EEENS1_37radix_sort_block_sort_config_selectorIiNS0_10empty_typeEEEZNS1_21radix_sort_block_sortIS4_Lb1EPKiPiPS6_SC_NS0_19identity_decomposerEEE10hipError_tT1_T2_T3_T4_jRjT5_jjP12ihipStream_tbEUlT_E_NS1_11comp_targetILNS1_3genE3ELNS1_11target_archE908ELNS1_3gpuE7ELNS1_3repE0EEENS1_44radix_sort_block_sort_config_static_selectorELNS0_4arch9wavefront6targetE0EEEvSF_.uses_vcc, 0
	.set _ZN7rocprim17ROCPRIM_400000_NS6detail17trampoline_kernelINS0_13kernel_configILj256ELj4ELj4294967295EEENS1_37radix_sort_block_sort_config_selectorIiNS0_10empty_typeEEEZNS1_21radix_sort_block_sortIS4_Lb1EPKiPiPS6_SC_NS0_19identity_decomposerEEE10hipError_tT1_T2_T3_T4_jRjT5_jjP12ihipStream_tbEUlT_E_NS1_11comp_targetILNS1_3genE3ELNS1_11target_archE908ELNS1_3gpuE7ELNS1_3repE0EEENS1_44radix_sort_block_sort_config_static_selectorELNS0_4arch9wavefront6targetE0EEEvSF_.uses_flat_scratch, 0
	.set _ZN7rocprim17ROCPRIM_400000_NS6detail17trampoline_kernelINS0_13kernel_configILj256ELj4ELj4294967295EEENS1_37radix_sort_block_sort_config_selectorIiNS0_10empty_typeEEEZNS1_21radix_sort_block_sortIS4_Lb1EPKiPiPS6_SC_NS0_19identity_decomposerEEE10hipError_tT1_T2_T3_T4_jRjT5_jjP12ihipStream_tbEUlT_E_NS1_11comp_targetILNS1_3genE3ELNS1_11target_archE908ELNS1_3gpuE7ELNS1_3repE0EEENS1_44radix_sort_block_sort_config_static_selectorELNS0_4arch9wavefront6targetE0EEEvSF_.has_dyn_sized_stack, 0
	.set _ZN7rocprim17ROCPRIM_400000_NS6detail17trampoline_kernelINS0_13kernel_configILj256ELj4ELj4294967295EEENS1_37radix_sort_block_sort_config_selectorIiNS0_10empty_typeEEEZNS1_21radix_sort_block_sortIS4_Lb1EPKiPiPS6_SC_NS0_19identity_decomposerEEE10hipError_tT1_T2_T3_T4_jRjT5_jjP12ihipStream_tbEUlT_E_NS1_11comp_targetILNS1_3genE3ELNS1_11target_archE908ELNS1_3gpuE7ELNS1_3repE0EEENS1_44radix_sort_block_sort_config_static_selectorELNS0_4arch9wavefront6targetE0EEEvSF_.has_recursion, 0
	.set _ZN7rocprim17ROCPRIM_400000_NS6detail17trampoline_kernelINS0_13kernel_configILj256ELj4ELj4294967295EEENS1_37radix_sort_block_sort_config_selectorIiNS0_10empty_typeEEEZNS1_21radix_sort_block_sortIS4_Lb1EPKiPiPS6_SC_NS0_19identity_decomposerEEE10hipError_tT1_T2_T3_T4_jRjT5_jjP12ihipStream_tbEUlT_E_NS1_11comp_targetILNS1_3genE3ELNS1_11target_archE908ELNS1_3gpuE7ELNS1_3repE0EEENS1_44radix_sort_block_sort_config_static_selectorELNS0_4arch9wavefront6targetE0EEEvSF_.has_indirect_call, 0
	.section	.AMDGPU.csdata,"",@progbits
; Kernel info:
; codeLenInByte = 0
; TotalNumSgprs: 0
; NumVgprs: 0
; ScratchSize: 0
; MemoryBound: 0
; FloatMode: 240
; IeeeMode: 1
; LDSByteSize: 0 bytes/workgroup (compile time only)
; SGPRBlocks: 0
; VGPRBlocks: 0
; NumSGPRsForWavesPerEU: 1
; NumVGPRsForWavesPerEU: 1
; NamedBarCnt: 0
; Occupancy: 16
; WaveLimiterHint : 0
; COMPUTE_PGM_RSRC2:SCRATCH_EN: 0
; COMPUTE_PGM_RSRC2:USER_SGPR: 2
; COMPUTE_PGM_RSRC2:TRAP_HANDLER: 0
; COMPUTE_PGM_RSRC2:TGID_X_EN: 1
; COMPUTE_PGM_RSRC2:TGID_Y_EN: 0
; COMPUTE_PGM_RSRC2:TGID_Z_EN: 0
; COMPUTE_PGM_RSRC2:TIDIG_COMP_CNT: 0
	.section	.text._ZN7rocprim17ROCPRIM_400000_NS6detail17trampoline_kernelINS0_13kernel_configILj256ELj4ELj4294967295EEENS1_37radix_sort_block_sort_config_selectorIiNS0_10empty_typeEEEZNS1_21radix_sort_block_sortIS4_Lb1EPKiPiPS6_SC_NS0_19identity_decomposerEEE10hipError_tT1_T2_T3_T4_jRjT5_jjP12ihipStream_tbEUlT_E_NS1_11comp_targetILNS1_3genE2ELNS1_11target_archE906ELNS1_3gpuE6ELNS1_3repE0EEENS1_44radix_sort_block_sort_config_static_selectorELNS0_4arch9wavefront6targetE0EEEvSF_,"axG",@progbits,_ZN7rocprim17ROCPRIM_400000_NS6detail17trampoline_kernelINS0_13kernel_configILj256ELj4ELj4294967295EEENS1_37radix_sort_block_sort_config_selectorIiNS0_10empty_typeEEEZNS1_21radix_sort_block_sortIS4_Lb1EPKiPiPS6_SC_NS0_19identity_decomposerEEE10hipError_tT1_T2_T3_T4_jRjT5_jjP12ihipStream_tbEUlT_E_NS1_11comp_targetILNS1_3genE2ELNS1_11target_archE906ELNS1_3gpuE6ELNS1_3repE0EEENS1_44radix_sort_block_sort_config_static_selectorELNS0_4arch9wavefront6targetE0EEEvSF_,comdat
	.protected	_ZN7rocprim17ROCPRIM_400000_NS6detail17trampoline_kernelINS0_13kernel_configILj256ELj4ELj4294967295EEENS1_37radix_sort_block_sort_config_selectorIiNS0_10empty_typeEEEZNS1_21radix_sort_block_sortIS4_Lb1EPKiPiPS6_SC_NS0_19identity_decomposerEEE10hipError_tT1_T2_T3_T4_jRjT5_jjP12ihipStream_tbEUlT_E_NS1_11comp_targetILNS1_3genE2ELNS1_11target_archE906ELNS1_3gpuE6ELNS1_3repE0EEENS1_44radix_sort_block_sort_config_static_selectorELNS0_4arch9wavefront6targetE0EEEvSF_ ; -- Begin function _ZN7rocprim17ROCPRIM_400000_NS6detail17trampoline_kernelINS0_13kernel_configILj256ELj4ELj4294967295EEENS1_37radix_sort_block_sort_config_selectorIiNS0_10empty_typeEEEZNS1_21radix_sort_block_sortIS4_Lb1EPKiPiPS6_SC_NS0_19identity_decomposerEEE10hipError_tT1_T2_T3_T4_jRjT5_jjP12ihipStream_tbEUlT_E_NS1_11comp_targetILNS1_3genE2ELNS1_11target_archE906ELNS1_3gpuE6ELNS1_3repE0EEENS1_44radix_sort_block_sort_config_static_selectorELNS0_4arch9wavefront6targetE0EEEvSF_
	.globl	_ZN7rocprim17ROCPRIM_400000_NS6detail17trampoline_kernelINS0_13kernel_configILj256ELj4ELj4294967295EEENS1_37radix_sort_block_sort_config_selectorIiNS0_10empty_typeEEEZNS1_21radix_sort_block_sortIS4_Lb1EPKiPiPS6_SC_NS0_19identity_decomposerEEE10hipError_tT1_T2_T3_T4_jRjT5_jjP12ihipStream_tbEUlT_E_NS1_11comp_targetILNS1_3genE2ELNS1_11target_archE906ELNS1_3gpuE6ELNS1_3repE0EEENS1_44radix_sort_block_sort_config_static_selectorELNS0_4arch9wavefront6targetE0EEEvSF_
	.p2align	8
	.type	_ZN7rocprim17ROCPRIM_400000_NS6detail17trampoline_kernelINS0_13kernel_configILj256ELj4ELj4294967295EEENS1_37radix_sort_block_sort_config_selectorIiNS0_10empty_typeEEEZNS1_21radix_sort_block_sortIS4_Lb1EPKiPiPS6_SC_NS0_19identity_decomposerEEE10hipError_tT1_T2_T3_T4_jRjT5_jjP12ihipStream_tbEUlT_E_NS1_11comp_targetILNS1_3genE2ELNS1_11target_archE906ELNS1_3gpuE6ELNS1_3repE0EEENS1_44radix_sort_block_sort_config_static_selectorELNS0_4arch9wavefront6targetE0EEEvSF_,@function
_ZN7rocprim17ROCPRIM_400000_NS6detail17trampoline_kernelINS0_13kernel_configILj256ELj4ELj4294967295EEENS1_37radix_sort_block_sort_config_selectorIiNS0_10empty_typeEEEZNS1_21radix_sort_block_sortIS4_Lb1EPKiPiPS6_SC_NS0_19identity_decomposerEEE10hipError_tT1_T2_T3_T4_jRjT5_jjP12ihipStream_tbEUlT_E_NS1_11comp_targetILNS1_3genE2ELNS1_11target_archE906ELNS1_3gpuE6ELNS1_3repE0EEENS1_44radix_sort_block_sort_config_static_selectorELNS0_4arch9wavefront6targetE0EEEvSF_: ; @_ZN7rocprim17ROCPRIM_400000_NS6detail17trampoline_kernelINS0_13kernel_configILj256ELj4ELj4294967295EEENS1_37radix_sort_block_sort_config_selectorIiNS0_10empty_typeEEEZNS1_21radix_sort_block_sortIS4_Lb1EPKiPiPS6_SC_NS0_19identity_decomposerEEE10hipError_tT1_T2_T3_T4_jRjT5_jjP12ihipStream_tbEUlT_E_NS1_11comp_targetILNS1_3genE2ELNS1_11target_archE906ELNS1_3gpuE6ELNS1_3repE0EEENS1_44radix_sort_block_sort_config_static_selectorELNS0_4arch9wavefront6targetE0EEEvSF_
; %bb.0:
	.section	.rodata,"a",@progbits
	.p2align	6, 0x0
	.amdhsa_kernel _ZN7rocprim17ROCPRIM_400000_NS6detail17trampoline_kernelINS0_13kernel_configILj256ELj4ELj4294967295EEENS1_37radix_sort_block_sort_config_selectorIiNS0_10empty_typeEEEZNS1_21radix_sort_block_sortIS4_Lb1EPKiPiPS6_SC_NS0_19identity_decomposerEEE10hipError_tT1_T2_T3_T4_jRjT5_jjP12ihipStream_tbEUlT_E_NS1_11comp_targetILNS1_3genE2ELNS1_11target_archE906ELNS1_3gpuE6ELNS1_3repE0EEENS1_44radix_sort_block_sort_config_static_selectorELNS0_4arch9wavefront6targetE0EEEvSF_
		.amdhsa_group_segment_fixed_size 0
		.amdhsa_private_segment_fixed_size 0
		.amdhsa_kernarg_size 48
		.amdhsa_user_sgpr_count 2
		.amdhsa_user_sgpr_dispatch_ptr 0
		.amdhsa_user_sgpr_queue_ptr 0
		.amdhsa_user_sgpr_kernarg_segment_ptr 1
		.amdhsa_user_sgpr_dispatch_id 0
		.amdhsa_user_sgpr_kernarg_preload_length 0
		.amdhsa_user_sgpr_kernarg_preload_offset 0
		.amdhsa_user_sgpr_private_segment_size 0
		.amdhsa_wavefront_size32 1
		.amdhsa_uses_dynamic_stack 0
		.amdhsa_enable_private_segment 0
		.amdhsa_system_sgpr_workgroup_id_x 1
		.amdhsa_system_sgpr_workgroup_id_y 0
		.amdhsa_system_sgpr_workgroup_id_z 0
		.amdhsa_system_sgpr_workgroup_info 0
		.amdhsa_system_vgpr_workitem_id 0
		.amdhsa_next_free_vgpr 1
		.amdhsa_next_free_sgpr 1
		.amdhsa_named_barrier_count 0
		.amdhsa_reserve_vcc 0
		.amdhsa_float_round_mode_32 0
		.amdhsa_float_round_mode_16_64 0
		.amdhsa_float_denorm_mode_32 3
		.amdhsa_float_denorm_mode_16_64 3
		.amdhsa_fp16_overflow 0
		.amdhsa_memory_ordered 1
		.amdhsa_forward_progress 1
		.amdhsa_inst_pref_size 0
		.amdhsa_round_robin_scheduling 0
		.amdhsa_exception_fp_ieee_invalid_op 0
		.amdhsa_exception_fp_denorm_src 0
		.amdhsa_exception_fp_ieee_div_zero 0
		.amdhsa_exception_fp_ieee_overflow 0
		.amdhsa_exception_fp_ieee_underflow 0
		.amdhsa_exception_fp_ieee_inexact 0
		.amdhsa_exception_int_div_zero 0
	.end_amdhsa_kernel
	.section	.text._ZN7rocprim17ROCPRIM_400000_NS6detail17trampoline_kernelINS0_13kernel_configILj256ELj4ELj4294967295EEENS1_37radix_sort_block_sort_config_selectorIiNS0_10empty_typeEEEZNS1_21radix_sort_block_sortIS4_Lb1EPKiPiPS6_SC_NS0_19identity_decomposerEEE10hipError_tT1_T2_T3_T4_jRjT5_jjP12ihipStream_tbEUlT_E_NS1_11comp_targetILNS1_3genE2ELNS1_11target_archE906ELNS1_3gpuE6ELNS1_3repE0EEENS1_44radix_sort_block_sort_config_static_selectorELNS0_4arch9wavefront6targetE0EEEvSF_,"axG",@progbits,_ZN7rocprim17ROCPRIM_400000_NS6detail17trampoline_kernelINS0_13kernel_configILj256ELj4ELj4294967295EEENS1_37radix_sort_block_sort_config_selectorIiNS0_10empty_typeEEEZNS1_21radix_sort_block_sortIS4_Lb1EPKiPiPS6_SC_NS0_19identity_decomposerEEE10hipError_tT1_T2_T3_T4_jRjT5_jjP12ihipStream_tbEUlT_E_NS1_11comp_targetILNS1_3genE2ELNS1_11target_archE906ELNS1_3gpuE6ELNS1_3repE0EEENS1_44radix_sort_block_sort_config_static_selectorELNS0_4arch9wavefront6targetE0EEEvSF_,comdat
.Lfunc_end753:
	.size	_ZN7rocprim17ROCPRIM_400000_NS6detail17trampoline_kernelINS0_13kernel_configILj256ELj4ELj4294967295EEENS1_37radix_sort_block_sort_config_selectorIiNS0_10empty_typeEEEZNS1_21radix_sort_block_sortIS4_Lb1EPKiPiPS6_SC_NS0_19identity_decomposerEEE10hipError_tT1_T2_T3_T4_jRjT5_jjP12ihipStream_tbEUlT_E_NS1_11comp_targetILNS1_3genE2ELNS1_11target_archE906ELNS1_3gpuE6ELNS1_3repE0EEENS1_44radix_sort_block_sort_config_static_selectorELNS0_4arch9wavefront6targetE0EEEvSF_, .Lfunc_end753-_ZN7rocprim17ROCPRIM_400000_NS6detail17trampoline_kernelINS0_13kernel_configILj256ELj4ELj4294967295EEENS1_37radix_sort_block_sort_config_selectorIiNS0_10empty_typeEEEZNS1_21radix_sort_block_sortIS4_Lb1EPKiPiPS6_SC_NS0_19identity_decomposerEEE10hipError_tT1_T2_T3_T4_jRjT5_jjP12ihipStream_tbEUlT_E_NS1_11comp_targetILNS1_3genE2ELNS1_11target_archE906ELNS1_3gpuE6ELNS1_3repE0EEENS1_44radix_sort_block_sort_config_static_selectorELNS0_4arch9wavefront6targetE0EEEvSF_
                                        ; -- End function
	.set _ZN7rocprim17ROCPRIM_400000_NS6detail17trampoline_kernelINS0_13kernel_configILj256ELj4ELj4294967295EEENS1_37radix_sort_block_sort_config_selectorIiNS0_10empty_typeEEEZNS1_21radix_sort_block_sortIS4_Lb1EPKiPiPS6_SC_NS0_19identity_decomposerEEE10hipError_tT1_T2_T3_T4_jRjT5_jjP12ihipStream_tbEUlT_E_NS1_11comp_targetILNS1_3genE2ELNS1_11target_archE906ELNS1_3gpuE6ELNS1_3repE0EEENS1_44radix_sort_block_sort_config_static_selectorELNS0_4arch9wavefront6targetE0EEEvSF_.num_vgpr, 0
	.set _ZN7rocprim17ROCPRIM_400000_NS6detail17trampoline_kernelINS0_13kernel_configILj256ELj4ELj4294967295EEENS1_37radix_sort_block_sort_config_selectorIiNS0_10empty_typeEEEZNS1_21radix_sort_block_sortIS4_Lb1EPKiPiPS6_SC_NS0_19identity_decomposerEEE10hipError_tT1_T2_T3_T4_jRjT5_jjP12ihipStream_tbEUlT_E_NS1_11comp_targetILNS1_3genE2ELNS1_11target_archE906ELNS1_3gpuE6ELNS1_3repE0EEENS1_44radix_sort_block_sort_config_static_selectorELNS0_4arch9wavefront6targetE0EEEvSF_.num_agpr, 0
	.set _ZN7rocprim17ROCPRIM_400000_NS6detail17trampoline_kernelINS0_13kernel_configILj256ELj4ELj4294967295EEENS1_37radix_sort_block_sort_config_selectorIiNS0_10empty_typeEEEZNS1_21radix_sort_block_sortIS4_Lb1EPKiPiPS6_SC_NS0_19identity_decomposerEEE10hipError_tT1_T2_T3_T4_jRjT5_jjP12ihipStream_tbEUlT_E_NS1_11comp_targetILNS1_3genE2ELNS1_11target_archE906ELNS1_3gpuE6ELNS1_3repE0EEENS1_44radix_sort_block_sort_config_static_selectorELNS0_4arch9wavefront6targetE0EEEvSF_.numbered_sgpr, 0
	.set _ZN7rocprim17ROCPRIM_400000_NS6detail17trampoline_kernelINS0_13kernel_configILj256ELj4ELj4294967295EEENS1_37radix_sort_block_sort_config_selectorIiNS0_10empty_typeEEEZNS1_21radix_sort_block_sortIS4_Lb1EPKiPiPS6_SC_NS0_19identity_decomposerEEE10hipError_tT1_T2_T3_T4_jRjT5_jjP12ihipStream_tbEUlT_E_NS1_11comp_targetILNS1_3genE2ELNS1_11target_archE906ELNS1_3gpuE6ELNS1_3repE0EEENS1_44radix_sort_block_sort_config_static_selectorELNS0_4arch9wavefront6targetE0EEEvSF_.num_named_barrier, 0
	.set _ZN7rocprim17ROCPRIM_400000_NS6detail17trampoline_kernelINS0_13kernel_configILj256ELj4ELj4294967295EEENS1_37radix_sort_block_sort_config_selectorIiNS0_10empty_typeEEEZNS1_21radix_sort_block_sortIS4_Lb1EPKiPiPS6_SC_NS0_19identity_decomposerEEE10hipError_tT1_T2_T3_T4_jRjT5_jjP12ihipStream_tbEUlT_E_NS1_11comp_targetILNS1_3genE2ELNS1_11target_archE906ELNS1_3gpuE6ELNS1_3repE0EEENS1_44radix_sort_block_sort_config_static_selectorELNS0_4arch9wavefront6targetE0EEEvSF_.private_seg_size, 0
	.set _ZN7rocprim17ROCPRIM_400000_NS6detail17trampoline_kernelINS0_13kernel_configILj256ELj4ELj4294967295EEENS1_37radix_sort_block_sort_config_selectorIiNS0_10empty_typeEEEZNS1_21radix_sort_block_sortIS4_Lb1EPKiPiPS6_SC_NS0_19identity_decomposerEEE10hipError_tT1_T2_T3_T4_jRjT5_jjP12ihipStream_tbEUlT_E_NS1_11comp_targetILNS1_3genE2ELNS1_11target_archE906ELNS1_3gpuE6ELNS1_3repE0EEENS1_44radix_sort_block_sort_config_static_selectorELNS0_4arch9wavefront6targetE0EEEvSF_.uses_vcc, 0
	.set _ZN7rocprim17ROCPRIM_400000_NS6detail17trampoline_kernelINS0_13kernel_configILj256ELj4ELj4294967295EEENS1_37radix_sort_block_sort_config_selectorIiNS0_10empty_typeEEEZNS1_21radix_sort_block_sortIS4_Lb1EPKiPiPS6_SC_NS0_19identity_decomposerEEE10hipError_tT1_T2_T3_T4_jRjT5_jjP12ihipStream_tbEUlT_E_NS1_11comp_targetILNS1_3genE2ELNS1_11target_archE906ELNS1_3gpuE6ELNS1_3repE0EEENS1_44radix_sort_block_sort_config_static_selectorELNS0_4arch9wavefront6targetE0EEEvSF_.uses_flat_scratch, 0
	.set _ZN7rocprim17ROCPRIM_400000_NS6detail17trampoline_kernelINS0_13kernel_configILj256ELj4ELj4294967295EEENS1_37radix_sort_block_sort_config_selectorIiNS0_10empty_typeEEEZNS1_21radix_sort_block_sortIS4_Lb1EPKiPiPS6_SC_NS0_19identity_decomposerEEE10hipError_tT1_T2_T3_T4_jRjT5_jjP12ihipStream_tbEUlT_E_NS1_11comp_targetILNS1_3genE2ELNS1_11target_archE906ELNS1_3gpuE6ELNS1_3repE0EEENS1_44radix_sort_block_sort_config_static_selectorELNS0_4arch9wavefront6targetE0EEEvSF_.has_dyn_sized_stack, 0
	.set _ZN7rocprim17ROCPRIM_400000_NS6detail17trampoline_kernelINS0_13kernel_configILj256ELj4ELj4294967295EEENS1_37radix_sort_block_sort_config_selectorIiNS0_10empty_typeEEEZNS1_21radix_sort_block_sortIS4_Lb1EPKiPiPS6_SC_NS0_19identity_decomposerEEE10hipError_tT1_T2_T3_T4_jRjT5_jjP12ihipStream_tbEUlT_E_NS1_11comp_targetILNS1_3genE2ELNS1_11target_archE906ELNS1_3gpuE6ELNS1_3repE0EEENS1_44radix_sort_block_sort_config_static_selectorELNS0_4arch9wavefront6targetE0EEEvSF_.has_recursion, 0
	.set _ZN7rocprim17ROCPRIM_400000_NS6detail17trampoline_kernelINS0_13kernel_configILj256ELj4ELj4294967295EEENS1_37radix_sort_block_sort_config_selectorIiNS0_10empty_typeEEEZNS1_21radix_sort_block_sortIS4_Lb1EPKiPiPS6_SC_NS0_19identity_decomposerEEE10hipError_tT1_T2_T3_T4_jRjT5_jjP12ihipStream_tbEUlT_E_NS1_11comp_targetILNS1_3genE2ELNS1_11target_archE906ELNS1_3gpuE6ELNS1_3repE0EEENS1_44radix_sort_block_sort_config_static_selectorELNS0_4arch9wavefront6targetE0EEEvSF_.has_indirect_call, 0
	.section	.AMDGPU.csdata,"",@progbits
; Kernel info:
; codeLenInByte = 0
; TotalNumSgprs: 0
; NumVgprs: 0
; ScratchSize: 0
; MemoryBound: 0
; FloatMode: 240
; IeeeMode: 1
; LDSByteSize: 0 bytes/workgroup (compile time only)
; SGPRBlocks: 0
; VGPRBlocks: 0
; NumSGPRsForWavesPerEU: 1
; NumVGPRsForWavesPerEU: 1
; NamedBarCnt: 0
; Occupancy: 16
; WaveLimiterHint : 0
; COMPUTE_PGM_RSRC2:SCRATCH_EN: 0
; COMPUTE_PGM_RSRC2:USER_SGPR: 2
; COMPUTE_PGM_RSRC2:TRAP_HANDLER: 0
; COMPUTE_PGM_RSRC2:TGID_X_EN: 1
; COMPUTE_PGM_RSRC2:TGID_Y_EN: 0
; COMPUTE_PGM_RSRC2:TGID_Z_EN: 0
; COMPUTE_PGM_RSRC2:TIDIG_COMP_CNT: 0
	.section	.text._ZN7rocprim17ROCPRIM_400000_NS6detail17trampoline_kernelINS0_13kernel_configILj256ELj4ELj4294967295EEENS1_37radix_sort_block_sort_config_selectorIiNS0_10empty_typeEEEZNS1_21radix_sort_block_sortIS4_Lb1EPKiPiPS6_SC_NS0_19identity_decomposerEEE10hipError_tT1_T2_T3_T4_jRjT5_jjP12ihipStream_tbEUlT_E_NS1_11comp_targetILNS1_3genE10ELNS1_11target_archE1201ELNS1_3gpuE5ELNS1_3repE0EEENS1_44radix_sort_block_sort_config_static_selectorELNS0_4arch9wavefront6targetE0EEEvSF_,"axG",@progbits,_ZN7rocprim17ROCPRIM_400000_NS6detail17trampoline_kernelINS0_13kernel_configILj256ELj4ELj4294967295EEENS1_37radix_sort_block_sort_config_selectorIiNS0_10empty_typeEEEZNS1_21radix_sort_block_sortIS4_Lb1EPKiPiPS6_SC_NS0_19identity_decomposerEEE10hipError_tT1_T2_T3_T4_jRjT5_jjP12ihipStream_tbEUlT_E_NS1_11comp_targetILNS1_3genE10ELNS1_11target_archE1201ELNS1_3gpuE5ELNS1_3repE0EEENS1_44radix_sort_block_sort_config_static_selectorELNS0_4arch9wavefront6targetE0EEEvSF_,comdat
	.protected	_ZN7rocprim17ROCPRIM_400000_NS6detail17trampoline_kernelINS0_13kernel_configILj256ELj4ELj4294967295EEENS1_37radix_sort_block_sort_config_selectorIiNS0_10empty_typeEEEZNS1_21radix_sort_block_sortIS4_Lb1EPKiPiPS6_SC_NS0_19identity_decomposerEEE10hipError_tT1_T2_T3_T4_jRjT5_jjP12ihipStream_tbEUlT_E_NS1_11comp_targetILNS1_3genE10ELNS1_11target_archE1201ELNS1_3gpuE5ELNS1_3repE0EEENS1_44radix_sort_block_sort_config_static_selectorELNS0_4arch9wavefront6targetE0EEEvSF_ ; -- Begin function _ZN7rocprim17ROCPRIM_400000_NS6detail17trampoline_kernelINS0_13kernel_configILj256ELj4ELj4294967295EEENS1_37radix_sort_block_sort_config_selectorIiNS0_10empty_typeEEEZNS1_21radix_sort_block_sortIS4_Lb1EPKiPiPS6_SC_NS0_19identity_decomposerEEE10hipError_tT1_T2_T3_T4_jRjT5_jjP12ihipStream_tbEUlT_E_NS1_11comp_targetILNS1_3genE10ELNS1_11target_archE1201ELNS1_3gpuE5ELNS1_3repE0EEENS1_44radix_sort_block_sort_config_static_selectorELNS0_4arch9wavefront6targetE0EEEvSF_
	.globl	_ZN7rocprim17ROCPRIM_400000_NS6detail17trampoline_kernelINS0_13kernel_configILj256ELj4ELj4294967295EEENS1_37radix_sort_block_sort_config_selectorIiNS0_10empty_typeEEEZNS1_21radix_sort_block_sortIS4_Lb1EPKiPiPS6_SC_NS0_19identity_decomposerEEE10hipError_tT1_T2_T3_T4_jRjT5_jjP12ihipStream_tbEUlT_E_NS1_11comp_targetILNS1_3genE10ELNS1_11target_archE1201ELNS1_3gpuE5ELNS1_3repE0EEENS1_44radix_sort_block_sort_config_static_selectorELNS0_4arch9wavefront6targetE0EEEvSF_
	.p2align	8
	.type	_ZN7rocprim17ROCPRIM_400000_NS6detail17trampoline_kernelINS0_13kernel_configILj256ELj4ELj4294967295EEENS1_37radix_sort_block_sort_config_selectorIiNS0_10empty_typeEEEZNS1_21radix_sort_block_sortIS4_Lb1EPKiPiPS6_SC_NS0_19identity_decomposerEEE10hipError_tT1_T2_T3_T4_jRjT5_jjP12ihipStream_tbEUlT_E_NS1_11comp_targetILNS1_3genE10ELNS1_11target_archE1201ELNS1_3gpuE5ELNS1_3repE0EEENS1_44radix_sort_block_sort_config_static_selectorELNS0_4arch9wavefront6targetE0EEEvSF_,@function
_ZN7rocprim17ROCPRIM_400000_NS6detail17trampoline_kernelINS0_13kernel_configILj256ELj4ELj4294967295EEENS1_37radix_sort_block_sort_config_selectorIiNS0_10empty_typeEEEZNS1_21radix_sort_block_sortIS4_Lb1EPKiPiPS6_SC_NS0_19identity_decomposerEEE10hipError_tT1_T2_T3_T4_jRjT5_jjP12ihipStream_tbEUlT_E_NS1_11comp_targetILNS1_3genE10ELNS1_11target_archE1201ELNS1_3gpuE5ELNS1_3repE0EEENS1_44radix_sort_block_sort_config_static_selectorELNS0_4arch9wavefront6targetE0EEEvSF_: ; @_ZN7rocprim17ROCPRIM_400000_NS6detail17trampoline_kernelINS0_13kernel_configILj256ELj4ELj4294967295EEENS1_37radix_sort_block_sort_config_selectorIiNS0_10empty_typeEEEZNS1_21radix_sort_block_sortIS4_Lb1EPKiPiPS6_SC_NS0_19identity_decomposerEEE10hipError_tT1_T2_T3_T4_jRjT5_jjP12ihipStream_tbEUlT_E_NS1_11comp_targetILNS1_3genE10ELNS1_11target_archE1201ELNS1_3gpuE5ELNS1_3repE0EEENS1_44radix_sort_block_sort_config_static_selectorELNS0_4arch9wavefront6targetE0EEEvSF_
; %bb.0:
	.section	.rodata,"a",@progbits
	.p2align	6, 0x0
	.amdhsa_kernel _ZN7rocprim17ROCPRIM_400000_NS6detail17trampoline_kernelINS0_13kernel_configILj256ELj4ELj4294967295EEENS1_37radix_sort_block_sort_config_selectorIiNS0_10empty_typeEEEZNS1_21radix_sort_block_sortIS4_Lb1EPKiPiPS6_SC_NS0_19identity_decomposerEEE10hipError_tT1_T2_T3_T4_jRjT5_jjP12ihipStream_tbEUlT_E_NS1_11comp_targetILNS1_3genE10ELNS1_11target_archE1201ELNS1_3gpuE5ELNS1_3repE0EEENS1_44radix_sort_block_sort_config_static_selectorELNS0_4arch9wavefront6targetE0EEEvSF_
		.amdhsa_group_segment_fixed_size 0
		.amdhsa_private_segment_fixed_size 0
		.amdhsa_kernarg_size 48
		.amdhsa_user_sgpr_count 2
		.amdhsa_user_sgpr_dispatch_ptr 0
		.amdhsa_user_sgpr_queue_ptr 0
		.amdhsa_user_sgpr_kernarg_segment_ptr 1
		.amdhsa_user_sgpr_dispatch_id 0
		.amdhsa_user_sgpr_kernarg_preload_length 0
		.amdhsa_user_sgpr_kernarg_preload_offset 0
		.amdhsa_user_sgpr_private_segment_size 0
		.amdhsa_wavefront_size32 1
		.amdhsa_uses_dynamic_stack 0
		.amdhsa_enable_private_segment 0
		.amdhsa_system_sgpr_workgroup_id_x 1
		.amdhsa_system_sgpr_workgroup_id_y 0
		.amdhsa_system_sgpr_workgroup_id_z 0
		.amdhsa_system_sgpr_workgroup_info 0
		.amdhsa_system_vgpr_workitem_id 0
		.amdhsa_next_free_vgpr 1
		.amdhsa_next_free_sgpr 1
		.amdhsa_named_barrier_count 0
		.amdhsa_reserve_vcc 0
		.amdhsa_float_round_mode_32 0
		.amdhsa_float_round_mode_16_64 0
		.amdhsa_float_denorm_mode_32 3
		.amdhsa_float_denorm_mode_16_64 3
		.amdhsa_fp16_overflow 0
		.amdhsa_memory_ordered 1
		.amdhsa_forward_progress 1
		.amdhsa_inst_pref_size 0
		.amdhsa_round_robin_scheduling 0
		.amdhsa_exception_fp_ieee_invalid_op 0
		.amdhsa_exception_fp_denorm_src 0
		.amdhsa_exception_fp_ieee_div_zero 0
		.amdhsa_exception_fp_ieee_overflow 0
		.amdhsa_exception_fp_ieee_underflow 0
		.amdhsa_exception_fp_ieee_inexact 0
		.amdhsa_exception_int_div_zero 0
	.end_amdhsa_kernel
	.section	.text._ZN7rocprim17ROCPRIM_400000_NS6detail17trampoline_kernelINS0_13kernel_configILj256ELj4ELj4294967295EEENS1_37radix_sort_block_sort_config_selectorIiNS0_10empty_typeEEEZNS1_21radix_sort_block_sortIS4_Lb1EPKiPiPS6_SC_NS0_19identity_decomposerEEE10hipError_tT1_T2_T3_T4_jRjT5_jjP12ihipStream_tbEUlT_E_NS1_11comp_targetILNS1_3genE10ELNS1_11target_archE1201ELNS1_3gpuE5ELNS1_3repE0EEENS1_44radix_sort_block_sort_config_static_selectorELNS0_4arch9wavefront6targetE0EEEvSF_,"axG",@progbits,_ZN7rocprim17ROCPRIM_400000_NS6detail17trampoline_kernelINS0_13kernel_configILj256ELj4ELj4294967295EEENS1_37radix_sort_block_sort_config_selectorIiNS0_10empty_typeEEEZNS1_21radix_sort_block_sortIS4_Lb1EPKiPiPS6_SC_NS0_19identity_decomposerEEE10hipError_tT1_T2_T3_T4_jRjT5_jjP12ihipStream_tbEUlT_E_NS1_11comp_targetILNS1_3genE10ELNS1_11target_archE1201ELNS1_3gpuE5ELNS1_3repE0EEENS1_44radix_sort_block_sort_config_static_selectorELNS0_4arch9wavefront6targetE0EEEvSF_,comdat
.Lfunc_end754:
	.size	_ZN7rocprim17ROCPRIM_400000_NS6detail17trampoline_kernelINS0_13kernel_configILj256ELj4ELj4294967295EEENS1_37radix_sort_block_sort_config_selectorIiNS0_10empty_typeEEEZNS1_21radix_sort_block_sortIS4_Lb1EPKiPiPS6_SC_NS0_19identity_decomposerEEE10hipError_tT1_T2_T3_T4_jRjT5_jjP12ihipStream_tbEUlT_E_NS1_11comp_targetILNS1_3genE10ELNS1_11target_archE1201ELNS1_3gpuE5ELNS1_3repE0EEENS1_44radix_sort_block_sort_config_static_selectorELNS0_4arch9wavefront6targetE0EEEvSF_, .Lfunc_end754-_ZN7rocprim17ROCPRIM_400000_NS6detail17trampoline_kernelINS0_13kernel_configILj256ELj4ELj4294967295EEENS1_37radix_sort_block_sort_config_selectorIiNS0_10empty_typeEEEZNS1_21radix_sort_block_sortIS4_Lb1EPKiPiPS6_SC_NS0_19identity_decomposerEEE10hipError_tT1_T2_T3_T4_jRjT5_jjP12ihipStream_tbEUlT_E_NS1_11comp_targetILNS1_3genE10ELNS1_11target_archE1201ELNS1_3gpuE5ELNS1_3repE0EEENS1_44radix_sort_block_sort_config_static_selectorELNS0_4arch9wavefront6targetE0EEEvSF_
                                        ; -- End function
	.set _ZN7rocprim17ROCPRIM_400000_NS6detail17trampoline_kernelINS0_13kernel_configILj256ELj4ELj4294967295EEENS1_37radix_sort_block_sort_config_selectorIiNS0_10empty_typeEEEZNS1_21radix_sort_block_sortIS4_Lb1EPKiPiPS6_SC_NS0_19identity_decomposerEEE10hipError_tT1_T2_T3_T4_jRjT5_jjP12ihipStream_tbEUlT_E_NS1_11comp_targetILNS1_3genE10ELNS1_11target_archE1201ELNS1_3gpuE5ELNS1_3repE0EEENS1_44radix_sort_block_sort_config_static_selectorELNS0_4arch9wavefront6targetE0EEEvSF_.num_vgpr, 0
	.set _ZN7rocprim17ROCPRIM_400000_NS6detail17trampoline_kernelINS0_13kernel_configILj256ELj4ELj4294967295EEENS1_37radix_sort_block_sort_config_selectorIiNS0_10empty_typeEEEZNS1_21radix_sort_block_sortIS4_Lb1EPKiPiPS6_SC_NS0_19identity_decomposerEEE10hipError_tT1_T2_T3_T4_jRjT5_jjP12ihipStream_tbEUlT_E_NS1_11comp_targetILNS1_3genE10ELNS1_11target_archE1201ELNS1_3gpuE5ELNS1_3repE0EEENS1_44radix_sort_block_sort_config_static_selectorELNS0_4arch9wavefront6targetE0EEEvSF_.num_agpr, 0
	.set _ZN7rocprim17ROCPRIM_400000_NS6detail17trampoline_kernelINS0_13kernel_configILj256ELj4ELj4294967295EEENS1_37radix_sort_block_sort_config_selectorIiNS0_10empty_typeEEEZNS1_21radix_sort_block_sortIS4_Lb1EPKiPiPS6_SC_NS0_19identity_decomposerEEE10hipError_tT1_T2_T3_T4_jRjT5_jjP12ihipStream_tbEUlT_E_NS1_11comp_targetILNS1_3genE10ELNS1_11target_archE1201ELNS1_3gpuE5ELNS1_3repE0EEENS1_44radix_sort_block_sort_config_static_selectorELNS0_4arch9wavefront6targetE0EEEvSF_.numbered_sgpr, 0
	.set _ZN7rocprim17ROCPRIM_400000_NS6detail17trampoline_kernelINS0_13kernel_configILj256ELj4ELj4294967295EEENS1_37radix_sort_block_sort_config_selectorIiNS0_10empty_typeEEEZNS1_21radix_sort_block_sortIS4_Lb1EPKiPiPS6_SC_NS0_19identity_decomposerEEE10hipError_tT1_T2_T3_T4_jRjT5_jjP12ihipStream_tbEUlT_E_NS1_11comp_targetILNS1_3genE10ELNS1_11target_archE1201ELNS1_3gpuE5ELNS1_3repE0EEENS1_44radix_sort_block_sort_config_static_selectorELNS0_4arch9wavefront6targetE0EEEvSF_.num_named_barrier, 0
	.set _ZN7rocprim17ROCPRIM_400000_NS6detail17trampoline_kernelINS0_13kernel_configILj256ELj4ELj4294967295EEENS1_37radix_sort_block_sort_config_selectorIiNS0_10empty_typeEEEZNS1_21radix_sort_block_sortIS4_Lb1EPKiPiPS6_SC_NS0_19identity_decomposerEEE10hipError_tT1_T2_T3_T4_jRjT5_jjP12ihipStream_tbEUlT_E_NS1_11comp_targetILNS1_3genE10ELNS1_11target_archE1201ELNS1_3gpuE5ELNS1_3repE0EEENS1_44radix_sort_block_sort_config_static_selectorELNS0_4arch9wavefront6targetE0EEEvSF_.private_seg_size, 0
	.set _ZN7rocprim17ROCPRIM_400000_NS6detail17trampoline_kernelINS0_13kernel_configILj256ELj4ELj4294967295EEENS1_37radix_sort_block_sort_config_selectorIiNS0_10empty_typeEEEZNS1_21radix_sort_block_sortIS4_Lb1EPKiPiPS6_SC_NS0_19identity_decomposerEEE10hipError_tT1_T2_T3_T4_jRjT5_jjP12ihipStream_tbEUlT_E_NS1_11comp_targetILNS1_3genE10ELNS1_11target_archE1201ELNS1_3gpuE5ELNS1_3repE0EEENS1_44radix_sort_block_sort_config_static_selectorELNS0_4arch9wavefront6targetE0EEEvSF_.uses_vcc, 0
	.set _ZN7rocprim17ROCPRIM_400000_NS6detail17trampoline_kernelINS0_13kernel_configILj256ELj4ELj4294967295EEENS1_37radix_sort_block_sort_config_selectorIiNS0_10empty_typeEEEZNS1_21radix_sort_block_sortIS4_Lb1EPKiPiPS6_SC_NS0_19identity_decomposerEEE10hipError_tT1_T2_T3_T4_jRjT5_jjP12ihipStream_tbEUlT_E_NS1_11comp_targetILNS1_3genE10ELNS1_11target_archE1201ELNS1_3gpuE5ELNS1_3repE0EEENS1_44radix_sort_block_sort_config_static_selectorELNS0_4arch9wavefront6targetE0EEEvSF_.uses_flat_scratch, 0
	.set _ZN7rocprim17ROCPRIM_400000_NS6detail17trampoline_kernelINS0_13kernel_configILj256ELj4ELj4294967295EEENS1_37radix_sort_block_sort_config_selectorIiNS0_10empty_typeEEEZNS1_21radix_sort_block_sortIS4_Lb1EPKiPiPS6_SC_NS0_19identity_decomposerEEE10hipError_tT1_T2_T3_T4_jRjT5_jjP12ihipStream_tbEUlT_E_NS1_11comp_targetILNS1_3genE10ELNS1_11target_archE1201ELNS1_3gpuE5ELNS1_3repE0EEENS1_44radix_sort_block_sort_config_static_selectorELNS0_4arch9wavefront6targetE0EEEvSF_.has_dyn_sized_stack, 0
	.set _ZN7rocprim17ROCPRIM_400000_NS6detail17trampoline_kernelINS0_13kernel_configILj256ELj4ELj4294967295EEENS1_37radix_sort_block_sort_config_selectorIiNS0_10empty_typeEEEZNS1_21radix_sort_block_sortIS4_Lb1EPKiPiPS6_SC_NS0_19identity_decomposerEEE10hipError_tT1_T2_T3_T4_jRjT5_jjP12ihipStream_tbEUlT_E_NS1_11comp_targetILNS1_3genE10ELNS1_11target_archE1201ELNS1_3gpuE5ELNS1_3repE0EEENS1_44radix_sort_block_sort_config_static_selectorELNS0_4arch9wavefront6targetE0EEEvSF_.has_recursion, 0
	.set _ZN7rocprim17ROCPRIM_400000_NS6detail17trampoline_kernelINS0_13kernel_configILj256ELj4ELj4294967295EEENS1_37radix_sort_block_sort_config_selectorIiNS0_10empty_typeEEEZNS1_21radix_sort_block_sortIS4_Lb1EPKiPiPS6_SC_NS0_19identity_decomposerEEE10hipError_tT1_T2_T3_T4_jRjT5_jjP12ihipStream_tbEUlT_E_NS1_11comp_targetILNS1_3genE10ELNS1_11target_archE1201ELNS1_3gpuE5ELNS1_3repE0EEENS1_44radix_sort_block_sort_config_static_selectorELNS0_4arch9wavefront6targetE0EEEvSF_.has_indirect_call, 0
	.section	.AMDGPU.csdata,"",@progbits
; Kernel info:
; codeLenInByte = 0
; TotalNumSgprs: 0
; NumVgprs: 0
; ScratchSize: 0
; MemoryBound: 0
; FloatMode: 240
; IeeeMode: 1
; LDSByteSize: 0 bytes/workgroup (compile time only)
; SGPRBlocks: 0
; VGPRBlocks: 0
; NumSGPRsForWavesPerEU: 1
; NumVGPRsForWavesPerEU: 1
; NamedBarCnt: 0
; Occupancy: 16
; WaveLimiterHint : 0
; COMPUTE_PGM_RSRC2:SCRATCH_EN: 0
; COMPUTE_PGM_RSRC2:USER_SGPR: 2
; COMPUTE_PGM_RSRC2:TRAP_HANDLER: 0
; COMPUTE_PGM_RSRC2:TGID_X_EN: 1
; COMPUTE_PGM_RSRC2:TGID_Y_EN: 0
; COMPUTE_PGM_RSRC2:TGID_Z_EN: 0
; COMPUTE_PGM_RSRC2:TIDIG_COMP_CNT: 0
	.section	.text._ZN7rocprim17ROCPRIM_400000_NS6detail17trampoline_kernelINS0_13kernel_configILj256ELj4ELj4294967295EEENS1_37radix_sort_block_sort_config_selectorIiNS0_10empty_typeEEEZNS1_21radix_sort_block_sortIS4_Lb1EPKiPiPS6_SC_NS0_19identity_decomposerEEE10hipError_tT1_T2_T3_T4_jRjT5_jjP12ihipStream_tbEUlT_E_NS1_11comp_targetILNS1_3genE10ELNS1_11target_archE1200ELNS1_3gpuE4ELNS1_3repE0EEENS1_44radix_sort_block_sort_config_static_selectorELNS0_4arch9wavefront6targetE0EEEvSF_,"axG",@progbits,_ZN7rocprim17ROCPRIM_400000_NS6detail17trampoline_kernelINS0_13kernel_configILj256ELj4ELj4294967295EEENS1_37radix_sort_block_sort_config_selectorIiNS0_10empty_typeEEEZNS1_21radix_sort_block_sortIS4_Lb1EPKiPiPS6_SC_NS0_19identity_decomposerEEE10hipError_tT1_T2_T3_T4_jRjT5_jjP12ihipStream_tbEUlT_E_NS1_11comp_targetILNS1_3genE10ELNS1_11target_archE1200ELNS1_3gpuE4ELNS1_3repE0EEENS1_44radix_sort_block_sort_config_static_selectorELNS0_4arch9wavefront6targetE0EEEvSF_,comdat
	.protected	_ZN7rocprim17ROCPRIM_400000_NS6detail17trampoline_kernelINS0_13kernel_configILj256ELj4ELj4294967295EEENS1_37radix_sort_block_sort_config_selectorIiNS0_10empty_typeEEEZNS1_21radix_sort_block_sortIS4_Lb1EPKiPiPS6_SC_NS0_19identity_decomposerEEE10hipError_tT1_T2_T3_T4_jRjT5_jjP12ihipStream_tbEUlT_E_NS1_11comp_targetILNS1_3genE10ELNS1_11target_archE1200ELNS1_3gpuE4ELNS1_3repE0EEENS1_44radix_sort_block_sort_config_static_selectorELNS0_4arch9wavefront6targetE0EEEvSF_ ; -- Begin function _ZN7rocprim17ROCPRIM_400000_NS6detail17trampoline_kernelINS0_13kernel_configILj256ELj4ELj4294967295EEENS1_37radix_sort_block_sort_config_selectorIiNS0_10empty_typeEEEZNS1_21radix_sort_block_sortIS4_Lb1EPKiPiPS6_SC_NS0_19identity_decomposerEEE10hipError_tT1_T2_T3_T4_jRjT5_jjP12ihipStream_tbEUlT_E_NS1_11comp_targetILNS1_3genE10ELNS1_11target_archE1200ELNS1_3gpuE4ELNS1_3repE0EEENS1_44radix_sort_block_sort_config_static_selectorELNS0_4arch9wavefront6targetE0EEEvSF_
	.globl	_ZN7rocprim17ROCPRIM_400000_NS6detail17trampoline_kernelINS0_13kernel_configILj256ELj4ELj4294967295EEENS1_37radix_sort_block_sort_config_selectorIiNS0_10empty_typeEEEZNS1_21radix_sort_block_sortIS4_Lb1EPKiPiPS6_SC_NS0_19identity_decomposerEEE10hipError_tT1_T2_T3_T4_jRjT5_jjP12ihipStream_tbEUlT_E_NS1_11comp_targetILNS1_3genE10ELNS1_11target_archE1200ELNS1_3gpuE4ELNS1_3repE0EEENS1_44radix_sort_block_sort_config_static_selectorELNS0_4arch9wavefront6targetE0EEEvSF_
	.p2align	8
	.type	_ZN7rocprim17ROCPRIM_400000_NS6detail17trampoline_kernelINS0_13kernel_configILj256ELj4ELj4294967295EEENS1_37radix_sort_block_sort_config_selectorIiNS0_10empty_typeEEEZNS1_21radix_sort_block_sortIS4_Lb1EPKiPiPS6_SC_NS0_19identity_decomposerEEE10hipError_tT1_T2_T3_T4_jRjT5_jjP12ihipStream_tbEUlT_E_NS1_11comp_targetILNS1_3genE10ELNS1_11target_archE1200ELNS1_3gpuE4ELNS1_3repE0EEENS1_44radix_sort_block_sort_config_static_selectorELNS0_4arch9wavefront6targetE0EEEvSF_,@function
_ZN7rocprim17ROCPRIM_400000_NS6detail17trampoline_kernelINS0_13kernel_configILj256ELj4ELj4294967295EEENS1_37radix_sort_block_sort_config_selectorIiNS0_10empty_typeEEEZNS1_21radix_sort_block_sortIS4_Lb1EPKiPiPS6_SC_NS0_19identity_decomposerEEE10hipError_tT1_T2_T3_T4_jRjT5_jjP12ihipStream_tbEUlT_E_NS1_11comp_targetILNS1_3genE10ELNS1_11target_archE1200ELNS1_3gpuE4ELNS1_3repE0EEENS1_44radix_sort_block_sort_config_static_selectorELNS0_4arch9wavefront6targetE0EEEvSF_: ; @_ZN7rocprim17ROCPRIM_400000_NS6detail17trampoline_kernelINS0_13kernel_configILj256ELj4ELj4294967295EEENS1_37radix_sort_block_sort_config_selectorIiNS0_10empty_typeEEEZNS1_21radix_sort_block_sortIS4_Lb1EPKiPiPS6_SC_NS0_19identity_decomposerEEE10hipError_tT1_T2_T3_T4_jRjT5_jjP12ihipStream_tbEUlT_E_NS1_11comp_targetILNS1_3genE10ELNS1_11target_archE1200ELNS1_3gpuE4ELNS1_3repE0EEENS1_44radix_sort_block_sort_config_static_selectorELNS0_4arch9wavefront6targetE0EEEvSF_
; %bb.0:
	.section	.rodata,"a",@progbits
	.p2align	6, 0x0
	.amdhsa_kernel _ZN7rocprim17ROCPRIM_400000_NS6detail17trampoline_kernelINS0_13kernel_configILj256ELj4ELj4294967295EEENS1_37radix_sort_block_sort_config_selectorIiNS0_10empty_typeEEEZNS1_21radix_sort_block_sortIS4_Lb1EPKiPiPS6_SC_NS0_19identity_decomposerEEE10hipError_tT1_T2_T3_T4_jRjT5_jjP12ihipStream_tbEUlT_E_NS1_11comp_targetILNS1_3genE10ELNS1_11target_archE1200ELNS1_3gpuE4ELNS1_3repE0EEENS1_44radix_sort_block_sort_config_static_selectorELNS0_4arch9wavefront6targetE0EEEvSF_
		.amdhsa_group_segment_fixed_size 0
		.amdhsa_private_segment_fixed_size 0
		.amdhsa_kernarg_size 48
		.amdhsa_user_sgpr_count 2
		.amdhsa_user_sgpr_dispatch_ptr 0
		.amdhsa_user_sgpr_queue_ptr 0
		.amdhsa_user_sgpr_kernarg_segment_ptr 1
		.amdhsa_user_sgpr_dispatch_id 0
		.amdhsa_user_sgpr_kernarg_preload_length 0
		.amdhsa_user_sgpr_kernarg_preload_offset 0
		.amdhsa_user_sgpr_private_segment_size 0
		.amdhsa_wavefront_size32 1
		.amdhsa_uses_dynamic_stack 0
		.amdhsa_enable_private_segment 0
		.amdhsa_system_sgpr_workgroup_id_x 1
		.amdhsa_system_sgpr_workgroup_id_y 0
		.amdhsa_system_sgpr_workgroup_id_z 0
		.amdhsa_system_sgpr_workgroup_info 0
		.amdhsa_system_vgpr_workitem_id 0
		.amdhsa_next_free_vgpr 1
		.amdhsa_next_free_sgpr 1
		.amdhsa_named_barrier_count 0
		.amdhsa_reserve_vcc 0
		.amdhsa_float_round_mode_32 0
		.amdhsa_float_round_mode_16_64 0
		.amdhsa_float_denorm_mode_32 3
		.amdhsa_float_denorm_mode_16_64 3
		.amdhsa_fp16_overflow 0
		.amdhsa_memory_ordered 1
		.amdhsa_forward_progress 1
		.amdhsa_inst_pref_size 0
		.amdhsa_round_robin_scheduling 0
		.amdhsa_exception_fp_ieee_invalid_op 0
		.amdhsa_exception_fp_denorm_src 0
		.amdhsa_exception_fp_ieee_div_zero 0
		.amdhsa_exception_fp_ieee_overflow 0
		.amdhsa_exception_fp_ieee_underflow 0
		.amdhsa_exception_fp_ieee_inexact 0
		.amdhsa_exception_int_div_zero 0
	.end_amdhsa_kernel
	.section	.text._ZN7rocprim17ROCPRIM_400000_NS6detail17trampoline_kernelINS0_13kernel_configILj256ELj4ELj4294967295EEENS1_37radix_sort_block_sort_config_selectorIiNS0_10empty_typeEEEZNS1_21radix_sort_block_sortIS4_Lb1EPKiPiPS6_SC_NS0_19identity_decomposerEEE10hipError_tT1_T2_T3_T4_jRjT5_jjP12ihipStream_tbEUlT_E_NS1_11comp_targetILNS1_3genE10ELNS1_11target_archE1200ELNS1_3gpuE4ELNS1_3repE0EEENS1_44radix_sort_block_sort_config_static_selectorELNS0_4arch9wavefront6targetE0EEEvSF_,"axG",@progbits,_ZN7rocprim17ROCPRIM_400000_NS6detail17trampoline_kernelINS0_13kernel_configILj256ELj4ELj4294967295EEENS1_37radix_sort_block_sort_config_selectorIiNS0_10empty_typeEEEZNS1_21radix_sort_block_sortIS4_Lb1EPKiPiPS6_SC_NS0_19identity_decomposerEEE10hipError_tT1_T2_T3_T4_jRjT5_jjP12ihipStream_tbEUlT_E_NS1_11comp_targetILNS1_3genE10ELNS1_11target_archE1200ELNS1_3gpuE4ELNS1_3repE0EEENS1_44radix_sort_block_sort_config_static_selectorELNS0_4arch9wavefront6targetE0EEEvSF_,comdat
.Lfunc_end755:
	.size	_ZN7rocprim17ROCPRIM_400000_NS6detail17trampoline_kernelINS0_13kernel_configILj256ELj4ELj4294967295EEENS1_37radix_sort_block_sort_config_selectorIiNS0_10empty_typeEEEZNS1_21radix_sort_block_sortIS4_Lb1EPKiPiPS6_SC_NS0_19identity_decomposerEEE10hipError_tT1_T2_T3_T4_jRjT5_jjP12ihipStream_tbEUlT_E_NS1_11comp_targetILNS1_3genE10ELNS1_11target_archE1200ELNS1_3gpuE4ELNS1_3repE0EEENS1_44radix_sort_block_sort_config_static_selectorELNS0_4arch9wavefront6targetE0EEEvSF_, .Lfunc_end755-_ZN7rocprim17ROCPRIM_400000_NS6detail17trampoline_kernelINS0_13kernel_configILj256ELj4ELj4294967295EEENS1_37radix_sort_block_sort_config_selectorIiNS0_10empty_typeEEEZNS1_21radix_sort_block_sortIS4_Lb1EPKiPiPS6_SC_NS0_19identity_decomposerEEE10hipError_tT1_T2_T3_T4_jRjT5_jjP12ihipStream_tbEUlT_E_NS1_11comp_targetILNS1_3genE10ELNS1_11target_archE1200ELNS1_3gpuE4ELNS1_3repE0EEENS1_44radix_sort_block_sort_config_static_selectorELNS0_4arch9wavefront6targetE0EEEvSF_
                                        ; -- End function
	.set _ZN7rocprim17ROCPRIM_400000_NS6detail17trampoline_kernelINS0_13kernel_configILj256ELj4ELj4294967295EEENS1_37radix_sort_block_sort_config_selectorIiNS0_10empty_typeEEEZNS1_21radix_sort_block_sortIS4_Lb1EPKiPiPS6_SC_NS0_19identity_decomposerEEE10hipError_tT1_T2_T3_T4_jRjT5_jjP12ihipStream_tbEUlT_E_NS1_11comp_targetILNS1_3genE10ELNS1_11target_archE1200ELNS1_3gpuE4ELNS1_3repE0EEENS1_44radix_sort_block_sort_config_static_selectorELNS0_4arch9wavefront6targetE0EEEvSF_.num_vgpr, 0
	.set _ZN7rocprim17ROCPRIM_400000_NS6detail17trampoline_kernelINS0_13kernel_configILj256ELj4ELj4294967295EEENS1_37radix_sort_block_sort_config_selectorIiNS0_10empty_typeEEEZNS1_21radix_sort_block_sortIS4_Lb1EPKiPiPS6_SC_NS0_19identity_decomposerEEE10hipError_tT1_T2_T3_T4_jRjT5_jjP12ihipStream_tbEUlT_E_NS1_11comp_targetILNS1_3genE10ELNS1_11target_archE1200ELNS1_3gpuE4ELNS1_3repE0EEENS1_44radix_sort_block_sort_config_static_selectorELNS0_4arch9wavefront6targetE0EEEvSF_.num_agpr, 0
	.set _ZN7rocprim17ROCPRIM_400000_NS6detail17trampoline_kernelINS0_13kernel_configILj256ELj4ELj4294967295EEENS1_37radix_sort_block_sort_config_selectorIiNS0_10empty_typeEEEZNS1_21radix_sort_block_sortIS4_Lb1EPKiPiPS6_SC_NS0_19identity_decomposerEEE10hipError_tT1_T2_T3_T4_jRjT5_jjP12ihipStream_tbEUlT_E_NS1_11comp_targetILNS1_3genE10ELNS1_11target_archE1200ELNS1_3gpuE4ELNS1_3repE0EEENS1_44radix_sort_block_sort_config_static_selectorELNS0_4arch9wavefront6targetE0EEEvSF_.numbered_sgpr, 0
	.set _ZN7rocprim17ROCPRIM_400000_NS6detail17trampoline_kernelINS0_13kernel_configILj256ELj4ELj4294967295EEENS1_37radix_sort_block_sort_config_selectorIiNS0_10empty_typeEEEZNS1_21radix_sort_block_sortIS4_Lb1EPKiPiPS6_SC_NS0_19identity_decomposerEEE10hipError_tT1_T2_T3_T4_jRjT5_jjP12ihipStream_tbEUlT_E_NS1_11comp_targetILNS1_3genE10ELNS1_11target_archE1200ELNS1_3gpuE4ELNS1_3repE0EEENS1_44radix_sort_block_sort_config_static_selectorELNS0_4arch9wavefront6targetE0EEEvSF_.num_named_barrier, 0
	.set _ZN7rocprim17ROCPRIM_400000_NS6detail17trampoline_kernelINS0_13kernel_configILj256ELj4ELj4294967295EEENS1_37radix_sort_block_sort_config_selectorIiNS0_10empty_typeEEEZNS1_21radix_sort_block_sortIS4_Lb1EPKiPiPS6_SC_NS0_19identity_decomposerEEE10hipError_tT1_T2_T3_T4_jRjT5_jjP12ihipStream_tbEUlT_E_NS1_11comp_targetILNS1_3genE10ELNS1_11target_archE1200ELNS1_3gpuE4ELNS1_3repE0EEENS1_44radix_sort_block_sort_config_static_selectorELNS0_4arch9wavefront6targetE0EEEvSF_.private_seg_size, 0
	.set _ZN7rocprim17ROCPRIM_400000_NS6detail17trampoline_kernelINS0_13kernel_configILj256ELj4ELj4294967295EEENS1_37radix_sort_block_sort_config_selectorIiNS0_10empty_typeEEEZNS1_21radix_sort_block_sortIS4_Lb1EPKiPiPS6_SC_NS0_19identity_decomposerEEE10hipError_tT1_T2_T3_T4_jRjT5_jjP12ihipStream_tbEUlT_E_NS1_11comp_targetILNS1_3genE10ELNS1_11target_archE1200ELNS1_3gpuE4ELNS1_3repE0EEENS1_44radix_sort_block_sort_config_static_selectorELNS0_4arch9wavefront6targetE0EEEvSF_.uses_vcc, 0
	.set _ZN7rocprim17ROCPRIM_400000_NS6detail17trampoline_kernelINS0_13kernel_configILj256ELj4ELj4294967295EEENS1_37radix_sort_block_sort_config_selectorIiNS0_10empty_typeEEEZNS1_21radix_sort_block_sortIS4_Lb1EPKiPiPS6_SC_NS0_19identity_decomposerEEE10hipError_tT1_T2_T3_T4_jRjT5_jjP12ihipStream_tbEUlT_E_NS1_11comp_targetILNS1_3genE10ELNS1_11target_archE1200ELNS1_3gpuE4ELNS1_3repE0EEENS1_44radix_sort_block_sort_config_static_selectorELNS0_4arch9wavefront6targetE0EEEvSF_.uses_flat_scratch, 0
	.set _ZN7rocprim17ROCPRIM_400000_NS6detail17trampoline_kernelINS0_13kernel_configILj256ELj4ELj4294967295EEENS1_37radix_sort_block_sort_config_selectorIiNS0_10empty_typeEEEZNS1_21radix_sort_block_sortIS4_Lb1EPKiPiPS6_SC_NS0_19identity_decomposerEEE10hipError_tT1_T2_T3_T4_jRjT5_jjP12ihipStream_tbEUlT_E_NS1_11comp_targetILNS1_3genE10ELNS1_11target_archE1200ELNS1_3gpuE4ELNS1_3repE0EEENS1_44radix_sort_block_sort_config_static_selectorELNS0_4arch9wavefront6targetE0EEEvSF_.has_dyn_sized_stack, 0
	.set _ZN7rocprim17ROCPRIM_400000_NS6detail17trampoline_kernelINS0_13kernel_configILj256ELj4ELj4294967295EEENS1_37radix_sort_block_sort_config_selectorIiNS0_10empty_typeEEEZNS1_21radix_sort_block_sortIS4_Lb1EPKiPiPS6_SC_NS0_19identity_decomposerEEE10hipError_tT1_T2_T3_T4_jRjT5_jjP12ihipStream_tbEUlT_E_NS1_11comp_targetILNS1_3genE10ELNS1_11target_archE1200ELNS1_3gpuE4ELNS1_3repE0EEENS1_44radix_sort_block_sort_config_static_selectorELNS0_4arch9wavefront6targetE0EEEvSF_.has_recursion, 0
	.set _ZN7rocprim17ROCPRIM_400000_NS6detail17trampoline_kernelINS0_13kernel_configILj256ELj4ELj4294967295EEENS1_37radix_sort_block_sort_config_selectorIiNS0_10empty_typeEEEZNS1_21radix_sort_block_sortIS4_Lb1EPKiPiPS6_SC_NS0_19identity_decomposerEEE10hipError_tT1_T2_T3_T4_jRjT5_jjP12ihipStream_tbEUlT_E_NS1_11comp_targetILNS1_3genE10ELNS1_11target_archE1200ELNS1_3gpuE4ELNS1_3repE0EEENS1_44radix_sort_block_sort_config_static_selectorELNS0_4arch9wavefront6targetE0EEEvSF_.has_indirect_call, 0
	.section	.AMDGPU.csdata,"",@progbits
; Kernel info:
; codeLenInByte = 0
; TotalNumSgprs: 0
; NumVgprs: 0
; ScratchSize: 0
; MemoryBound: 0
; FloatMode: 240
; IeeeMode: 1
; LDSByteSize: 0 bytes/workgroup (compile time only)
; SGPRBlocks: 0
; VGPRBlocks: 0
; NumSGPRsForWavesPerEU: 1
; NumVGPRsForWavesPerEU: 1
; NamedBarCnt: 0
; Occupancy: 16
; WaveLimiterHint : 0
; COMPUTE_PGM_RSRC2:SCRATCH_EN: 0
; COMPUTE_PGM_RSRC2:USER_SGPR: 2
; COMPUTE_PGM_RSRC2:TRAP_HANDLER: 0
; COMPUTE_PGM_RSRC2:TGID_X_EN: 1
; COMPUTE_PGM_RSRC2:TGID_Y_EN: 0
; COMPUTE_PGM_RSRC2:TGID_Z_EN: 0
; COMPUTE_PGM_RSRC2:TIDIG_COMP_CNT: 0
	.section	.text._ZN7rocprim17ROCPRIM_400000_NS6detail17trampoline_kernelINS0_13kernel_configILj256ELj4ELj4294967295EEENS1_37radix_sort_block_sort_config_selectorIiNS0_10empty_typeEEEZNS1_21radix_sort_block_sortIS4_Lb1EPKiPiPS6_SC_NS0_19identity_decomposerEEE10hipError_tT1_T2_T3_T4_jRjT5_jjP12ihipStream_tbEUlT_E_NS1_11comp_targetILNS1_3genE9ELNS1_11target_archE1100ELNS1_3gpuE3ELNS1_3repE0EEENS1_44radix_sort_block_sort_config_static_selectorELNS0_4arch9wavefront6targetE0EEEvSF_,"axG",@progbits,_ZN7rocprim17ROCPRIM_400000_NS6detail17trampoline_kernelINS0_13kernel_configILj256ELj4ELj4294967295EEENS1_37radix_sort_block_sort_config_selectorIiNS0_10empty_typeEEEZNS1_21radix_sort_block_sortIS4_Lb1EPKiPiPS6_SC_NS0_19identity_decomposerEEE10hipError_tT1_T2_T3_T4_jRjT5_jjP12ihipStream_tbEUlT_E_NS1_11comp_targetILNS1_3genE9ELNS1_11target_archE1100ELNS1_3gpuE3ELNS1_3repE0EEENS1_44radix_sort_block_sort_config_static_selectorELNS0_4arch9wavefront6targetE0EEEvSF_,comdat
	.protected	_ZN7rocprim17ROCPRIM_400000_NS6detail17trampoline_kernelINS0_13kernel_configILj256ELj4ELj4294967295EEENS1_37radix_sort_block_sort_config_selectorIiNS0_10empty_typeEEEZNS1_21radix_sort_block_sortIS4_Lb1EPKiPiPS6_SC_NS0_19identity_decomposerEEE10hipError_tT1_T2_T3_T4_jRjT5_jjP12ihipStream_tbEUlT_E_NS1_11comp_targetILNS1_3genE9ELNS1_11target_archE1100ELNS1_3gpuE3ELNS1_3repE0EEENS1_44radix_sort_block_sort_config_static_selectorELNS0_4arch9wavefront6targetE0EEEvSF_ ; -- Begin function _ZN7rocprim17ROCPRIM_400000_NS6detail17trampoline_kernelINS0_13kernel_configILj256ELj4ELj4294967295EEENS1_37radix_sort_block_sort_config_selectorIiNS0_10empty_typeEEEZNS1_21radix_sort_block_sortIS4_Lb1EPKiPiPS6_SC_NS0_19identity_decomposerEEE10hipError_tT1_T2_T3_T4_jRjT5_jjP12ihipStream_tbEUlT_E_NS1_11comp_targetILNS1_3genE9ELNS1_11target_archE1100ELNS1_3gpuE3ELNS1_3repE0EEENS1_44radix_sort_block_sort_config_static_selectorELNS0_4arch9wavefront6targetE0EEEvSF_
	.globl	_ZN7rocprim17ROCPRIM_400000_NS6detail17trampoline_kernelINS0_13kernel_configILj256ELj4ELj4294967295EEENS1_37radix_sort_block_sort_config_selectorIiNS0_10empty_typeEEEZNS1_21radix_sort_block_sortIS4_Lb1EPKiPiPS6_SC_NS0_19identity_decomposerEEE10hipError_tT1_T2_T3_T4_jRjT5_jjP12ihipStream_tbEUlT_E_NS1_11comp_targetILNS1_3genE9ELNS1_11target_archE1100ELNS1_3gpuE3ELNS1_3repE0EEENS1_44radix_sort_block_sort_config_static_selectorELNS0_4arch9wavefront6targetE0EEEvSF_
	.p2align	8
	.type	_ZN7rocprim17ROCPRIM_400000_NS6detail17trampoline_kernelINS0_13kernel_configILj256ELj4ELj4294967295EEENS1_37radix_sort_block_sort_config_selectorIiNS0_10empty_typeEEEZNS1_21radix_sort_block_sortIS4_Lb1EPKiPiPS6_SC_NS0_19identity_decomposerEEE10hipError_tT1_T2_T3_T4_jRjT5_jjP12ihipStream_tbEUlT_E_NS1_11comp_targetILNS1_3genE9ELNS1_11target_archE1100ELNS1_3gpuE3ELNS1_3repE0EEENS1_44radix_sort_block_sort_config_static_selectorELNS0_4arch9wavefront6targetE0EEEvSF_,@function
_ZN7rocprim17ROCPRIM_400000_NS6detail17trampoline_kernelINS0_13kernel_configILj256ELj4ELj4294967295EEENS1_37radix_sort_block_sort_config_selectorIiNS0_10empty_typeEEEZNS1_21radix_sort_block_sortIS4_Lb1EPKiPiPS6_SC_NS0_19identity_decomposerEEE10hipError_tT1_T2_T3_T4_jRjT5_jjP12ihipStream_tbEUlT_E_NS1_11comp_targetILNS1_3genE9ELNS1_11target_archE1100ELNS1_3gpuE3ELNS1_3repE0EEENS1_44radix_sort_block_sort_config_static_selectorELNS0_4arch9wavefront6targetE0EEEvSF_: ; @_ZN7rocprim17ROCPRIM_400000_NS6detail17trampoline_kernelINS0_13kernel_configILj256ELj4ELj4294967295EEENS1_37radix_sort_block_sort_config_selectorIiNS0_10empty_typeEEEZNS1_21radix_sort_block_sortIS4_Lb1EPKiPiPS6_SC_NS0_19identity_decomposerEEE10hipError_tT1_T2_T3_T4_jRjT5_jjP12ihipStream_tbEUlT_E_NS1_11comp_targetILNS1_3genE9ELNS1_11target_archE1100ELNS1_3gpuE3ELNS1_3repE0EEENS1_44radix_sort_block_sort_config_static_selectorELNS0_4arch9wavefront6targetE0EEEvSF_
; %bb.0:
	.section	.rodata,"a",@progbits
	.p2align	6, 0x0
	.amdhsa_kernel _ZN7rocprim17ROCPRIM_400000_NS6detail17trampoline_kernelINS0_13kernel_configILj256ELj4ELj4294967295EEENS1_37radix_sort_block_sort_config_selectorIiNS0_10empty_typeEEEZNS1_21radix_sort_block_sortIS4_Lb1EPKiPiPS6_SC_NS0_19identity_decomposerEEE10hipError_tT1_T2_T3_T4_jRjT5_jjP12ihipStream_tbEUlT_E_NS1_11comp_targetILNS1_3genE9ELNS1_11target_archE1100ELNS1_3gpuE3ELNS1_3repE0EEENS1_44radix_sort_block_sort_config_static_selectorELNS0_4arch9wavefront6targetE0EEEvSF_
		.amdhsa_group_segment_fixed_size 0
		.amdhsa_private_segment_fixed_size 0
		.amdhsa_kernarg_size 48
		.amdhsa_user_sgpr_count 2
		.amdhsa_user_sgpr_dispatch_ptr 0
		.amdhsa_user_sgpr_queue_ptr 0
		.amdhsa_user_sgpr_kernarg_segment_ptr 1
		.amdhsa_user_sgpr_dispatch_id 0
		.amdhsa_user_sgpr_kernarg_preload_length 0
		.amdhsa_user_sgpr_kernarg_preload_offset 0
		.amdhsa_user_sgpr_private_segment_size 0
		.amdhsa_wavefront_size32 1
		.amdhsa_uses_dynamic_stack 0
		.amdhsa_enable_private_segment 0
		.amdhsa_system_sgpr_workgroup_id_x 1
		.amdhsa_system_sgpr_workgroup_id_y 0
		.amdhsa_system_sgpr_workgroup_id_z 0
		.amdhsa_system_sgpr_workgroup_info 0
		.amdhsa_system_vgpr_workitem_id 0
		.amdhsa_next_free_vgpr 1
		.amdhsa_next_free_sgpr 1
		.amdhsa_named_barrier_count 0
		.amdhsa_reserve_vcc 0
		.amdhsa_float_round_mode_32 0
		.amdhsa_float_round_mode_16_64 0
		.amdhsa_float_denorm_mode_32 3
		.amdhsa_float_denorm_mode_16_64 3
		.amdhsa_fp16_overflow 0
		.amdhsa_memory_ordered 1
		.amdhsa_forward_progress 1
		.amdhsa_inst_pref_size 0
		.amdhsa_round_robin_scheduling 0
		.amdhsa_exception_fp_ieee_invalid_op 0
		.amdhsa_exception_fp_denorm_src 0
		.amdhsa_exception_fp_ieee_div_zero 0
		.amdhsa_exception_fp_ieee_overflow 0
		.amdhsa_exception_fp_ieee_underflow 0
		.amdhsa_exception_fp_ieee_inexact 0
		.amdhsa_exception_int_div_zero 0
	.end_amdhsa_kernel
	.section	.text._ZN7rocprim17ROCPRIM_400000_NS6detail17trampoline_kernelINS0_13kernel_configILj256ELj4ELj4294967295EEENS1_37radix_sort_block_sort_config_selectorIiNS0_10empty_typeEEEZNS1_21radix_sort_block_sortIS4_Lb1EPKiPiPS6_SC_NS0_19identity_decomposerEEE10hipError_tT1_T2_T3_T4_jRjT5_jjP12ihipStream_tbEUlT_E_NS1_11comp_targetILNS1_3genE9ELNS1_11target_archE1100ELNS1_3gpuE3ELNS1_3repE0EEENS1_44radix_sort_block_sort_config_static_selectorELNS0_4arch9wavefront6targetE0EEEvSF_,"axG",@progbits,_ZN7rocprim17ROCPRIM_400000_NS6detail17trampoline_kernelINS0_13kernel_configILj256ELj4ELj4294967295EEENS1_37radix_sort_block_sort_config_selectorIiNS0_10empty_typeEEEZNS1_21radix_sort_block_sortIS4_Lb1EPKiPiPS6_SC_NS0_19identity_decomposerEEE10hipError_tT1_T2_T3_T4_jRjT5_jjP12ihipStream_tbEUlT_E_NS1_11comp_targetILNS1_3genE9ELNS1_11target_archE1100ELNS1_3gpuE3ELNS1_3repE0EEENS1_44radix_sort_block_sort_config_static_selectorELNS0_4arch9wavefront6targetE0EEEvSF_,comdat
.Lfunc_end756:
	.size	_ZN7rocprim17ROCPRIM_400000_NS6detail17trampoline_kernelINS0_13kernel_configILj256ELj4ELj4294967295EEENS1_37radix_sort_block_sort_config_selectorIiNS0_10empty_typeEEEZNS1_21radix_sort_block_sortIS4_Lb1EPKiPiPS6_SC_NS0_19identity_decomposerEEE10hipError_tT1_T2_T3_T4_jRjT5_jjP12ihipStream_tbEUlT_E_NS1_11comp_targetILNS1_3genE9ELNS1_11target_archE1100ELNS1_3gpuE3ELNS1_3repE0EEENS1_44radix_sort_block_sort_config_static_selectorELNS0_4arch9wavefront6targetE0EEEvSF_, .Lfunc_end756-_ZN7rocprim17ROCPRIM_400000_NS6detail17trampoline_kernelINS0_13kernel_configILj256ELj4ELj4294967295EEENS1_37radix_sort_block_sort_config_selectorIiNS0_10empty_typeEEEZNS1_21radix_sort_block_sortIS4_Lb1EPKiPiPS6_SC_NS0_19identity_decomposerEEE10hipError_tT1_T2_T3_T4_jRjT5_jjP12ihipStream_tbEUlT_E_NS1_11comp_targetILNS1_3genE9ELNS1_11target_archE1100ELNS1_3gpuE3ELNS1_3repE0EEENS1_44radix_sort_block_sort_config_static_selectorELNS0_4arch9wavefront6targetE0EEEvSF_
                                        ; -- End function
	.set _ZN7rocprim17ROCPRIM_400000_NS6detail17trampoline_kernelINS0_13kernel_configILj256ELj4ELj4294967295EEENS1_37radix_sort_block_sort_config_selectorIiNS0_10empty_typeEEEZNS1_21radix_sort_block_sortIS4_Lb1EPKiPiPS6_SC_NS0_19identity_decomposerEEE10hipError_tT1_T2_T3_T4_jRjT5_jjP12ihipStream_tbEUlT_E_NS1_11comp_targetILNS1_3genE9ELNS1_11target_archE1100ELNS1_3gpuE3ELNS1_3repE0EEENS1_44radix_sort_block_sort_config_static_selectorELNS0_4arch9wavefront6targetE0EEEvSF_.num_vgpr, 0
	.set _ZN7rocprim17ROCPRIM_400000_NS6detail17trampoline_kernelINS0_13kernel_configILj256ELj4ELj4294967295EEENS1_37radix_sort_block_sort_config_selectorIiNS0_10empty_typeEEEZNS1_21radix_sort_block_sortIS4_Lb1EPKiPiPS6_SC_NS0_19identity_decomposerEEE10hipError_tT1_T2_T3_T4_jRjT5_jjP12ihipStream_tbEUlT_E_NS1_11comp_targetILNS1_3genE9ELNS1_11target_archE1100ELNS1_3gpuE3ELNS1_3repE0EEENS1_44radix_sort_block_sort_config_static_selectorELNS0_4arch9wavefront6targetE0EEEvSF_.num_agpr, 0
	.set _ZN7rocprim17ROCPRIM_400000_NS6detail17trampoline_kernelINS0_13kernel_configILj256ELj4ELj4294967295EEENS1_37radix_sort_block_sort_config_selectorIiNS0_10empty_typeEEEZNS1_21radix_sort_block_sortIS4_Lb1EPKiPiPS6_SC_NS0_19identity_decomposerEEE10hipError_tT1_T2_T3_T4_jRjT5_jjP12ihipStream_tbEUlT_E_NS1_11comp_targetILNS1_3genE9ELNS1_11target_archE1100ELNS1_3gpuE3ELNS1_3repE0EEENS1_44radix_sort_block_sort_config_static_selectorELNS0_4arch9wavefront6targetE0EEEvSF_.numbered_sgpr, 0
	.set _ZN7rocprim17ROCPRIM_400000_NS6detail17trampoline_kernelINS0_13kernel_configILj256ELj4ELj4294967295EEENS1_37radix_sort_block_sort_config_selectorIiNS0_10empty_typeEEEZNS1_21radix_sort_block_sortIS4_Lb1EPKiPiPS6_SC_NS0_19identity_decomposerEEE10hipError_tT1_T2_T3_T4_jRjT5_jjP12ihipStream_tbEUlT_E_NS1_11comp_targetILNS1_3genE9ELNS1_11target_archE1100ELNS1_3gpuE3ELNS1_3repE0EEENS1_44radix_sort_block_sort_config_static_selectorELNS0_4arch9wavefront6targetE0EEEvSF_.num_named_barrier, 0
	.set _ZN7rocprim17ROCPRIM_400000_NS6detail17trampoline_kernelINS0_13kernel_configILj256ELj4ELj4294967295EEENS1_37radix_sort_block_sort_config_selectorIiNS0_10empty_typeEEEZNS1_21radix_sort_block_sortIS4_Lb1EPKiPiPS6_SC_NS0_19identity_decomposerEEE10hipError_tT1_T2_T3_T4_jRjT5_jjP12ihipStream_tbEUlT_E_NS1_11comp_targetILNS1_3genE9ELNS1_11target_archE1100ELNS1_3gpuE3ELNS1_3repE0EEENS1_44radix_sort_block_sort_config_static_selectorELNS0_4arch9wavefront6targetE0EEEvSF_.private_seg_size, 0
	.set _ZN7rocprim17ROCPRIM_400000_NS6detail17trampoline_kernelINS0_13kernel_configILj256ELj4ELj4294967295EEENS1_37radix_sort_block_sort_config_selectorIiNS0_10empty_typeEEEZNS1_21radix_sort_block_sortIS4_Lb1EPKiPiPS6_SC_NS0_19identity_decomposerEEE10hipError_tT1_T2_T3_T4_jRjT5_jjP12ihipStream_tbEUlT_E_NS1_11comp_targetILNS1_3genE9ELNS1_11target_archE1100ELNS1_3gpuE3ELNS1_3repE0EEENS1_44radix_sort_block_sort_config_static_selectorELNS0_4arch9wavefront6targetE0EEEvSF_.uses_vcc, 0
	.set _ZN7rocprim17ROCPRIM_400000_NS6detail17trampoline_kernelINS0_13kernel_configILj256ELj4ELj4294967295EEENS1_37radix_sort_block_sort_config_selectorIiNS0_10empty_typeEEEZNS1_21radix_sort_block_sortIS4_Lb1EPKiPiPS6_SC_NS0_19identity_decomposerEEE10hipError_tT1_T2_T3_T4_jRjT5_jjP12ihipStream_tbEUlT_E_NS1_11comp_targetILNS1_3genE9ELNS1_11target_archE1100ELNS1_3gpuE3ELNS1_3repE0EEENS1_44radix_sort_block_sort_config_static_selectorELNS0_4arch9wavefront6targetE0EEEvSF_.uses_flat_scratch, 0
	.set _ZN7rocprim17ROCPRIM_400000_NS6detail17trampoline_kernelINS0_13kernel_configILj256ELj4ELj4294967295EEENS1_37radix_sort_block_sort_config_selectorIiNS0_10empty_typeEEEZNS1_21radix_sort_block_sortIS4_Lb1EPKiPiPS6_SC_NS0_19identity_decomposerEEE10hipError_tT1_T2_T3_T4_jRjT5_jjP12ihipStream_tbEUlT_E_NS1_11comp_targetILNS1_3genE9ELNS1_11target_archE1100ELNS1_3gpuE3ELNS1_3repE0EEENS1_44radix_sort_block_sort_config_static_selectorELNS0_4arch9wavefront6targetE0EEEvSF_.has_dyn_sized_stack, 0
	.set _ZN7rocprim17ROCPRIM_400000_NS6detail17trampoline_kernelINS0_13kernel_configILj256ELj4ELj4294967295EEENS1_37radix_sort_block_sort_config_selectorIiNS0_10empty_typeEEEZNS1_21radix_sort_block_sortIS4_Lb1EPKiPiPS6_SC_NS0_19identity_decomposerEEE10hipError_tT1_T2_T3_T4_jRjT5_jjP12ihipStream_tbEUlT_E_NS1_11comp_targetILNS1_3genE9ELNS1_11target_archE1100ELNS1_3gpuE3ELNS1_3repE0EEENS1_44radix_sort_block_sort_config_static_selectorELNS0_4arch9wavefront6targetE0EEEvSF_.has_recursion, 0
	.set _ZN7rocprim17ROCPRIM_400000_NS6detail17trampoline_kernelINS0_13kernel_configILj256ELj4ELj4294967295EEENS1_37radix_sort_block_sort_config_selectorIiNS0_10empty_typeEEEZNS1_21radix_sort_block_sortIS4_Lb1EPKiPiPS6_SC_NS0_19identity_decomposerEEE10hipError_tT1_T2_T3_T4_jRjT5_jjP12ihipStream_tbEUlT_E_NS1_11comp_targetILNS1_3genE9ELNS1_11target_archE1100ELNS1_3gpuE3ELNS1_3repE0EEENS1_44radix_sort_block_sort_config_static_selectorELNS0_4arch9wavefront6targetE0EEEvSF_.has_indirect_call, 0
	.section	.AMDGPU.csdata,"",@progbits
; Kernel info:
; codeLenInByte = 0
; TotalNumSgprs: 0
; NumVgprs: 0
; ScratchSize: 0
; MemoryBound: 0
; FloatMode: 240
; IeeeMode: 1
; LDSByteSize: 0 bytes/workgroup (compile time only)
; SGPRBlocks: 0
; VGPRBlocks: 0
; NumSGPRsForWavesPerEU: 1
; NumVGPRsForWavesPerEU: 1
; NamedBarCnt: 0
; Occupancy: 16
; WaveLimiterHint : 0
; COMPUTE_PGM_RSRC2:SCRATCH_EN: 0
; COMPUTE_PGM_RSRC2:USER_SGPR: 2
; COMPUTE_PGM_RSRC2:TRAP_HANDLER: 0
; COMPUTE_PGM_RSRC2:TGID_X_EN: 1
; COMPUTE_PGM_RSRC2:TGID_Y_EN: 0
; COMPUTE_PGM_RSRC2:TGID_Z_EN: 0
; COMPUTE_PGM_RSRC2:TIDIG_COMP_CNT: 0
	.section	.text._ZN7rocprim17ROCPRIM_400000_NS6detail17trampoline_kernelINS0_13kernel_configILj256ELj4ELj4294967295EEENS1_37radix_sort_block_sort_config_selectorIiNS0_10empty_typeEEEZNS1_21radix_sort_block_sortIS4_Lb1EPKiPiPS6_SC_NS0_19identity_decomposerEEE10hipError_tT1_T2_T3_T4_jRjT5_jjP12ihipStream_tbEUlT_E_NS1_11comp_targetILNS1_3genE8ELNS1_11target_archE1030ELNS1_3gpuE2ELNS1_3repE0EEENS1_44radix_sort_block_sort_config_static_selectorELNS0_4arch9wavefront6targetE0EEEvSF_,"axG",@progbits,_ZN7rocprim17ROCPRIM_400000_NS6detail17trampoline_kernelINS0_13kernel_configILj256ELj4ELj4294967295EEENS1_37radix_sort_block_sort_config_selectorIiNS0_10empty_typeEEEZNS1_21radix_sort_block_sortIS4_Lb1EPKiPiPS6_SC_NS0_19identity_decomposerEEE10hipError_tT1_T2_T3_T4_jRjT5_jjP12ihipStream_tbEUlT_E_NS1_11comp_targetILNS1_3genE8ELNS1_11target_archE1030ELNS1_3gpuE2ELNS1_3repE0EEENS1_44radix_sort_block_sort_config_static_selectorELNS0_4arch9wavefront6targetE0EEEvSF_,comdat
	.protected	_ZN7rocprim17ROCPRIM_400000_NS6detail17trampoline_kernelINS0_13kernel_configILj256ELj4ELj4294967295EEENS1_37radix_sort_block_sort_config_selectorIiNS0_10empty_typeEEEZNS1_21radix_sort_block_sortIS4_Lb1EPKiPiPS6_SC_NS0_19identity_decomposerEEE10hipError_tT1_T2_T3_T4_jRjT5_jjP12ihipStream_tbEUlT_E_NS1_11comp_targetILNS1_3genE8ELNS1_11target_archE1030ELNS1_3gpuE2ELNS1_3repE0EEENS1_44radix_sort_block_sort_config_static_selectorELNS0_4arch9wavefront6targetE0EEEvSF_ ; -- Begin function _ZN7rocprim17ROCPRIM_400000_NS6detail17trampoline_kernelINS0_13kernel_configILj256ELj4ELj4294967295EEENS1_37radix_sort_block_sort_config_selectorIiNS0_10empty_typeEEEZNS1_21radix_sort_block_sortIS4_Lb1EPKiPiPS6_SC_NS0_19identity_decomposerEEE10hipError_tT1_T2_T3_T4_jRjT5_jjP12ihipStream_tbEUlT_E_NS1_11comp_targetILNS1_3genE8ELNS1_11target_archE1030ELNS1_3gpuE2ELNS1_3repE0EEENS1_44radix_sort_block_sort_config_static_selectorELNS0_4arch9wavefront6targetE0EEEvSF_
	.globl	_ZN7rocprim17ROCPRIM_400000_NS6detail17trampoline_kernelINS0_13kernel_configILj256ELj4ELj4294967295EEENS1_37radix_sort_block_sort_config_selectorIiNS0_10empty_typeEEEZNS1_21radix_sort_block_sortIS4_Lb1EPKiPiPS6_SC_NS0_19identity_decomposerEEE10hipError_tT1_T2_T3_T4_jRjT5_jjP12ihipStream_tbEUlT_E_NS1_11comp_targetILNS1_3genE8ELNS1_11target_archE1030ELNS1_3gpuE2ELNS1_3repE0EEENS1_44radix_sort_block_sort_config_static_selectorELNS0_4arch9wavefront6targetE0EEEvSF_
	.p2align	8
	.type	_ZN7rocprim17ROCPRIM_400000_NS6detail17trampoline_kernelINS0_13kernel_configILj256ELj4ELj4294967295EEENS1_37radix_sort_block_sort_config_selectorIiNS0_10empty_typeEEEZNS1_21radix_sort_block_sortIS4_Lb1EPKiPiPS6_SC_NS0_19identity_decomposerEEE10hipError_tT1_T2_T3_T4_jRjT5_jjP12ihipStream_tbEUlT_E_NS1_11comp_targetILNS1_3genE8ELNS1_11target_archE1030ELNS1_3gpuE2ELNS1_3repE0EEENS1_44radix_sort_block_sort_config_static_selectorELNS0_4arch9wavefront6targetE0EEEvSF_,@function
_ZN7rocprim17ROCPRIM_400000_NS6detail17trampoline_kernelINS0_13kernel_configILj256ELj4ELj4294967295EEENS1_37radix_sort_block_sort_config_selectorIiNS0_10empty_typeEEEZNS1_21radix_sort_block_sortIS4_Lb1EPKiPiPS6_SC_NS0_19identity_decomposerEEE10hipError_tT1_T2_T3_T4_jRjT5_jjP12ihipStream_tbEUlT_E_NS1_11comp_targetILNS1_3genE8ELNS1_11target_archE1030ELNS1_3gpuE2ELNS1_3repE0EEENS1_44radix_sort_block_sort_config_static_selectorELNS0_4arch9wavefront6targetE0EEEvSF_: ; @_ZN7rocprim17ROCPRIM_400000_NS6detail17trampoline_kernelINS0_13kernel_configILj256ELj4ELj4294967295EEENS1_37radix_sort_block_sort_config_selectorIiNS0_10empty_typeEEEZNS1_21radix_sort_block_sortIS4_Lb1EPKiPiPS6_SC_NS0_19identity_decomposerEEE10hipError_tT1_T2_T3_T4_jRjT5_jjP12ihipStream_tbEUlT_E_NS1_11comp_targetILNS1_3genE8ELNS1_11target_archE1030ELNS1_3gpuE2ELNS1_3repE0EEENS1_44radix_sort_block_sort_config_static_selectorELNS0_4arch9wavefront6targetE0EEEvSF_
; %bb.0:
	.section	.rodata,"a",@progbits
	.p2align	6, 0x0
	.amdhsa_kernel _ZN7rocprim17ROCPRIM_400000_NS6detail17trampoline_kernelINS0_13kernel_configILj256ELj4ELj4294967295EEENS1_37radix_sort_block_sort_config_selectorIiNS0_10empty_typeEEEZNS1_21radix_sort_block_sortIS4_Lb1EPKiPiPS6_SC_NS0_19identity_decomposerEEE10hipError_tT1_T2_T3_T4_jRjT5_jjP12ihipStream_tbEUlT_E_NS1_11comp_targetILNS1_3genE8ELNS1_11target_archE1030ELNS1_3gpuE2ELNS1_3repE0EEENS1_44radix_sort_block_sort_config_static_selectorELNS0_4arch9wavefront6targetE0EEEvSF_
		.amdhsa_group_segment_fixed_size 0
		.amdhsa_private_segment_fixed_size 0
		.amdhsa_kernarg_size 48
		.amdhsa_user_sgpr_count 2
		.amdhsa_user_sgpr_dispatch_ptr 0
		.amdhsa_user_sgpr_queue_ptr 0
		.amdhsa_user_sgpr_kernarg_segment_ptr 1
		.amdhsa_user_sgpr_dispatch_id 0
		.amdhsa_user_sgpr_kernarg_preload_length 0
		.amdhsa_user_sgpr_kernarg_preload_offset 0
		.amdhsa_user_sgpr_private_segment_size 0
		.amdhsa_wavefront_size32 1
		.amdhsa_uses_dynamic_stack 0
		.amdhsa_enable_private_segment 0
		.amdhsa_system_sgpr_workgroup_id_x 1
		.amdhsa_system_sgpr_workgroup_id_y 0
		.amdhsa_system_sgpr_workgroup_id_z 0
		.amdhsa_system_sgpr_workgroup_info 0
		.amdhsa_system_vgpr_workitem_id 0
		.amdhsa_next_free_vgpr 1
		.amdhsa_next_free_sgpr 1
		.amdhsa_named_barrier_count 0
		.amdhsa_reserve_vcc 0
		.amdhsa_float_round_mode_32 0
		.amdhsa_float_round_mode_16_64 0
		.amdhsa_float_denorm_mode_32 3
		.amdhsa_float_denorm_mode_16_64 3
		.amdhsa_fp16_overflow 0
		.amdhsa_memory_ordered 1
		.amdhsa_forward_progress 1
		.amdhsa_inst_pref_size 0
		.amdhsa_round_robin_scheduling 0
		.amdhsa_exception_fp_ieee_invalid_op 0
		.amdhsa_exception_fp_denorm_src 0
		.amdhsa_exception_fp_ieee_div_zero 0
		.amdhsa_exception_fp_ieee_overflow 0
		.amdhsa_exception_fp_ieee_underflow 0
		.amdhsa_exception_fp_ieee_inexact 0
		.amdhsa_exception_int_div_zero 0
	.end_amdhsa_kernel
	.section	.text._ZN7rocprim17ROCPRIM_400000_NS6detail17trampoline_kernelINS0_13kernel_configILj256ELj4ELj4294967295EEENS1_37radix_sort_block_sort_config_selectorIiNS0_10empty_typeEEEZNS1_21radix_sort_block_sortIS4_Lb1EPKiPiPS6_SC_NS0_19identity_decomposerEEE10hipError_tT1_T2_T3_T4_jRjT5_jjP12ihipStream_tbEUlT_E_NS1_11comp_targetILNS1_3genE8ELNS1_11target_archE1030ELNS1_3gpuE2ELNS1_3repE0EEENS1_44radix_sort_block_sort_config_static_selectorELNS0_4arch9wavefront6targetE0EEEvSF_,"axG",@progbits,_ZN7rocprim17ROCPRIM_400000_NS6detail17trampoline_kernelINS0_13kernel_configILj256ELj4ELj4294967295EEENS1_37radix_sort_block_sort_config_selectorIiNS0_10empty_typeEEEZNS1_21radix_sort_block_sortIS4_Lb1EPKiPiPS6_SC_NS0_19identity_decomposerEEE10hipError_tT1_T2_T3_T4_jRjT5_jjP12ihipStream_tbEUlT_E_NS1_11comp_targetILNS1_3genE8ELNS1_11target_archE1030ELNS1_3gpuE2ELNS1_3repE0EEENS1_44radix_sort_block_sort_config_static_selectorELNS0_4arch9wavefront6targetE0EEEvSF_,comdat
.Lfunc_end757:
	.size	_ZN7rocprim17ROCPRIM_400000_NS6detail17trampoline_kernelINS0_13kernel_configILj256ELj4ELj4294967295EEENS1_37radix_sort_block_sort_config_selectorIiNS0_10empty_typeEEEZNS1_21radix_sort_block_sortIS4_Lb1EPKiPiPS6_SC_NS0_19identity_decomposerEEE10hipError_tT1_T2_T3_T4_jRjT5_jjP12ihipStream_tbEUlT_E_NS1_11comp_targetILNS1_3genE8ELNS1_11target_archE1030ELNS1_3gpuE2ELNS1_3repE0EEENS1_44radix_sort_block_sort_config_static_selectorELNS0_4arch9wavefront6targetE0EEEvSF_, .Lfunc_end757-_ZN7rocprim17ROCPRIM_400000_NS6detail17trampoline_kernelINS0_13kernel_configILj256ELj4ELj4294967295EEENS1_37radix_sort_block_sort_config_selectorIiNS0_10empty_typeEEEZNS1_21radix_sort_block_sortIS4_Lb1EPKiPiPS6_SC_NS0_19identity_decomposerEEE10hipError_tT1_T2_T3_T4_jRjT5_jjP12ihipStream_tbEUlT_E_NS1_11comp_targetILNS1_3genE8ELNS1_11target_archE1030ELNS1_3gpuE2ELNS1_3repE0EEENS1_44radix_sort_block_sort_config_static_selectorELNS0_4arch9wavefront6targetE0EEEvSF_
                                        ; -- End function
	.set _ZN7rocprim17ROCPRIM_400000_NS6detail17trampoline_kernelINS0_13kernel_configILj256ELj4ELj4294967295EEENS1_37radix_sort_block_sort_config_selectorIiNS0_10empty_typeEEEZNS1_21radix_sort_block_sortIS4_Lb1EPKiPiPS6_SC_NS0_19identity_decomposerEEE10hipError_tT1_T2_T3_T4_jRjT5_jjP12ihipStream_tbEUlT_E_NS1_11comp_targetILNS1_3genE8ELNS1_11target_archE1030ELNS1_3gpuE2ELNS1_3repE0EEENS1_44radix_sort_block_sort_config_static_selectorELNS0_4arch9wavefront6targetE0EEEvSF_.num_vgpr, 0
	.set _ZN7rocprim17ROCPRIM_400000_NS6detail17trampoline_kernelINS0_13kernel_configILj256ELj4ELj4294967295EEENS1_37radix_sort_block_sort_config_selectorIiNS0_10empty_typeEEEZNS1_21radix_sort_block_sortIS4_Lb1EPKiPiPS6_SC_NS0_19identity_decomposerEEE10hipError_tT1_T2_T3_T4_jRjT5_jjP12ihipStream_tbEUlT_E_NS1_11comp_targetILNS1_3genE8ELNS1_11target_archE1030ELNS1_3gpuE2ELNS1_3repE0EEENS1_44radix_sort_block_sort_config_static_selectorELNS0_4arch9wavefront6targetE0EEEvSF_.num_agpr, 0
	.set _ZN7rocprim17ROCPRIM_400000_NS6detail17trampoline_kernelINS0_13kernel_configILj256ELj4ELj4294967295EEENS1_37radix_sort_block_sort_config_selectorIiNS0_10empty_typeEEEZNS1_21radix_sort_block_sortIS4_Lb1EPKiPiPS6_SC_NS0_19identity_decomposerEEE10hipError_tT1_T2_T3_T4_jRjT5_jjP12ihipStream_tbEUlT_E_NS1_11comp_targetILNS1_3genE8ELNS1_11target_archE1030ELNS1_3gpuE2ELNS1_3repE0EEENS1_44radix_sort_block_sort_config_static_selectorELNS0_4arch9wavefront6targetE0EEEvSF_.numbered_sgpr, 0
	.set _ZN7rocprim17ROCPRIM_400000_NS6detail17trampoline_kernelINS0_13kernel_configILj256ELj4ELj4294967295EEENS1_37radix_sort_block_sort_config_selectorIiNS0_10empty_typeEEEZNS1_21radix_sort_block_sortIS4_Lb1EPKiPiPS6_SC_NS0_19identity_decomposerEEE10hipError_tT1_T2_T3_T4_jRjT5_jjP12ihipStream_tbEUlT_E_NS1_11comp_targetILNS1_3genE8ELNS1_11target_archE1030ELNS1_3gpuE2ELNS1_3repE0EEENS1_44radix_sort_block_sort_config_static_selectorELNS0_4arch9wavefront6targetE0EEEvSF_.num_named_barrier, 0
	.set _ZN7rocprim17ROCPRIM_400000_NS6detail17trampoline_kernelINS0_13kernel_configILj256ELj4ELj4294967295EEENS1_37radix_sort_block_sort_config_selectorIiNS0_10empty_typeEEEZNS1_21radix_sort_block_sortIS4_Lb1EPKiPiPS6_SC_NS0_19identity_decomposerEEE10hipError_tT1_T2_T3_T4_jRjT5_jjP12ihipStream_tbEUlT_E_NS1_11comp_targetILNS1_3genE8ELNS1_11target_archE1030ELNS1_3gpuE2ELNS1_3repE0EEENS1_44radix_sort_block_sort_config_static_selectorELNS0_4arch9wavefront6targetE0EEEvSF_.private_seg_size, 0
	.set _ZN7rocprim17ROCPRIM_400000_NS6detail17trampoline_kernelINS0_13kernel_configILj256ELj4ELj4294967295EEENS1_37radix_sort_block_sort_config_selectorIiNS0_10empty_typeEEEZNS1_21radix_sort_block_sortIS4_Lb1EPKiPiPS6_SC_NS0_19identity_decomposerEEE10hipError_tT1_T2_T3_T4_jRjT5_jjP12ihipStream_tbEUlT_E_NS1_11comp_targetILNS1_3genE8ELNS1_11target_archE1030ELNS1_3gpuE2ELNS1_3repE0EEENS1_44radix_sort_block_sort_config_static_selectorELNS0_4arch9wavefront6targetE0EEEvSF_.uses_vcc, 0
	.set _ZN7rocprim17ROCPRIM_400000_NS6detail17trampoline_kernelINS0_13kernel_configILj256ELj4ELj4294967295EEENS1_37radix_sort_block_sort_config_selectorIiNS0_10empty_typeEEEZNS1_21radix_sort_block_sortIS4_Lb1EPKiPiPS6_SC_NS0_19identity_decomposerEEE10hipError_tT1_T2_T3_T4_jRjT5_jjP12ihipStream_tbEUlT_E_NS1_11comp_targetILNS1_3genE8ELNS1_11target_archE1030ELNS1_3gpuE2ELNS1_3repE0EEENS1_44radix_sort_block_sort_config_static_selectorELNS0_4arch9wavefront6targetE0EEEvSF_.uses_flat_scratch, 0
	.set _ZN7rocprim17ROCPRIM_400000_NS6detail17trampoline_kernelINS0_13kernel_configILj256ELj4ELj4294967295EEENS1_37radix_sort_block_sort_config_selectorIiNS0_10empty_typeEEEZNS1_21radix_sort_block_sortIS4_Lb1EPKiPiPS6_SC_NS0_19identity_decomposerEEE10hipError_tT1_T2_T3_T4_jRjT5_jjP12ihipStream_tbEUlT_E_NS1_11comp_targetILNS1_3genE8ELNS1_11target_archE1030ELNS1_3gpuE2ELNS1_3repE0EEENS1_44radix_sort_block_sort_config_static_selectorELNS0_4arch9wavefront6targetE0EEEvSF_.has_dyn_sized_stack, 0
	.set _ZN7rocprim17ROCPRIM_400000_NS6detail17trampoline_kernelINS0_13kernel_configILj256ELj4ELj4294967295EEENS1_37radix_sort_block_sort_config_selectorIiNS0_10empty_typeEEEZNS1_21radix_sort_block_sortIS4_Lb1EPKiPiPS6_SC_NS0_19identity_decomposerEEE10hipError_tT1_T2_T3_T4_jRjT5_jjP12ihipStream_tbEUlT_E_NS1_11comp_targetILNS1_3genE8ELNS1_11target_archE1030ELNS1_3gpuE2ELNS1_3repE0EEENS1_44radix_sort_block_sort_config_static_selectorELNS0_4arch9wavefront6targetE0EEEvSF_.has_recursion, 0
	.set _ZN7rocprim17ROCPRIM_400000_NS6detail17trampoline_kernelINS0_13kernel_configILj256ELj4ELj4294967295EEENS1_37radix_sort_block_sort_config_selectorIiNS0_10empty_typeEEEZNS1_21radix_sort_block_sortIS4_Lb1EPKiPiPS6_SC_NS0_19identity_decomposerEEE10hipError_tT1_T2_T3_T4_jRjT5_jjP12ihipStream_tbEUlT_E_NS1_11comp_targetILNS1_3genE8ELNS1_11target_archE1030ELNS1_3gpuE2ELNS1_3repE0EEENS1_44radix_sort_block_sort_config_static_selectorELNS0_4arch9wavefront6targetE0EEEvSF_.has_indirect_call, 0
	.section	.AMDGPU.csdata,"",@progbits
; Kernel info:
; codeLenInByte = 0
; TotalNumSgprs: 0
; NumVgprs: 0
; ScratchSize: 0
; MemoryBound: 0
; FloatMode: 240
; IeeeMode: 1
; LDSByteSize: 0 bytes/workgroup (compile time only)
; SGPRBlocks: 0
; VGPRBlocks: 0
; NumSGPRsForWavesPerEU: 1
; NumVGPRsForWavesPerEU: 1
; NamedBarCnt: 0
; Occupancy: 16
; WaveLimiterHint : 0
; COMPUTE_PGM_RSRC2:SCRATCH_EN: 0
; COMPUTE_PGM_RSRC2:USER_SGPR: 2
; COMPUTE_PGM_RSRC2:TRAP_HANDLER: 0
; COMPUTE_PGM_RSRC2:TGID_X_EN: 1
; COMPUTE_PGM_RSRC2:TGID_Y_EN: 0
; COMPUTE_PGM_RSRC2:TGID_Z_EN: 0
; COMPUTE_PGM_RSRC2:TIDIG_COMP_CNT: 0
	.section	.text._ZN7rocprim17ROCPRIM_400000_NS6detail44device_merge_sort_compile_time_verifier_archINS1_11comp_targetILNS1_3genE0ELNS1_11target_archE4294967295ELNS1_3gpuE0ELNS1_3repE0EEES8_NS1_28merge_sort_block_sort_configILj256ELj4ELNS0_20block_sort_algorithmE0EEENS0_14default_configENS1_37merge_sort_block_sort_config_selectorIiNS0_10empty_typeEEENS1_38merge_sort_block_merge_config_selectorIiSE_EEEEvv,"axG",@progbits,_ZN7rocprim17ROCPRIM_400000_NS6detail44device_merge_sort_compile_time_verifier_archINS1_11comp_targetILNS1_3genE0ELNS1_11target_archE4294967295ELNS1_3gpuE0ELNS1_3repE0EEES8_NS1_28merge_sort_block_sort_configILj256ELj4ELNS0_20block_sort_algorithmE0EEENS0_14default_configENS1_37merge_sort_block_sort_config_selectorIiNS0_10empty_typeEEENS1_38merge_sort_block_merge_config_selectorIiSE_EEEEvv,comdat
	.protected	_ZN7rocprim17ROCPRIM_400000_NS6detail44device_merge_sort_compile_time_verifier_archINS1_11comp_targetILNS1_3genE0ELNS1_11target_archE4294967295ELNS1_3gpuE0ELNS1_3repE0EEES8_NS1_28merge_sort_block_sort_configILj256ELj4ELNS0_20block_sort_algorithmE0EEENS0_14default_configENS1_37merge_sort_block_sort_config_selectorIiNS0_10empty_typeEEENS1_38merge_sort_block_merge_config_selectorIiSE_EEEEvv ; -- Begin function _ZN7rocprim17ROCPRIM_400000_NS6detail44device_merge_sort_compile_time_verifier_archINS1_11comp_targetILNS1_3genE0ELNS1_11target_archE4294967295ELNS1_3gpuE0ELNS1_3repE0EEES8_NS1_28merge_sort_block_sort_configILj256ELj4ELNS0_20block_sort_algorithmE0EEENS0_14default_configENS1_37merge_sort_block_sort_config_selectorIiNS0_10empty_typeEEENS1_38merge_sort_block_merge_config_selectorIiSE_EEEEvv
	.globl	_ZN7rocprim17ROCPRIM_400000_NS6detail44device_merge_sort_compile_time_verifier_archINS1_11comp_targetILNS1_3genE0ELNS1_11target_archE4294967295ELNS1_3gpuE0ELNS1_3repE0EEES8_NS1_28merge_sort_block_sort_configILj256ELj4ELNS0_20block_sort_algorithmE0EEENS0_14default_configENS1_37merge_sort_block_sort_config_selectorIiNS0_10empty_typeEEENS1_38merge_sort_block_merge_config_selectorIiSE_EEEEvv
	.p2align	8
	.type	_ZN7rocprim17ROCPRIM_400000_NS6detail44device_merge_sort_compile_time_verifier_archINS1_11comp_targetILNS1_3genE0ELNS1_11target_archE4294967295ELNS1_3gpuE0ELNS1_3repE0EEES8_NS1_28merge_sort_block_sort_configILj256ELj4ELNS0_20block_sort_algorithmE0EEENS0_14default_configENS1_37merge_sort_block_sort_config_selectorIiNS0_10empty_typeEEENS1_38merge_sort_block_merge_config_selectorIiSE_EEEEvv,@function
_ZN7rocprim17ROCPRIM_400000_NS6detail44device_merge_sort_compile_time_verifier_archINS1_11comp_targetILNS1_3genE0ELNS1_11target_archE4294967295ELNS1_3gpuE0ELNS1_3repE0EEES8_NS1_28merge_sort_block_sort_configILj256ELj4ELNS0_20block_sort_algorithmE0EEENS0_14default_configENS1_37merge_sort_block_sort_config_selectorIiNS0_10empty_typeEEENS1_38merge_sort_block_merge_config_selectorIiSE_EEEEvv: ; @_ZN7rocprim17ROCPRIM_400000_NS6detail44device_merge_sort_compile_time_verifier_archINS1_11comp_targetILNS1_3genE0ELNS1_11target_archE4294967295ELNS1_3gpuE0ELNS1_3repE0EEES8_NS1_28merge_sort_block_sort_configILj256ELj4ELNS0_20block_sort_algorithmE0EEENS0_14default_configENS1_37merge_sort_block_sort_config_selectorIiNS0_10empty_typeEEENS1_38merge_sort_block_merge_config_selectorIiSE_EEEEvv
; %bb.0:
	s_endpgm
	.section	.rodata,"a",@progbits
	.p2align	6, 0x0
	.amdhsa_kernel _ZN7rocprim17ROCPRIM_400000_NS6detail44device_merge_sort_compile_time_verifier_archINS1_11comp_targetILNS1_3genE0ELNS1_11target_archE4294967295ELNS1_3gpuE0ELNS1_3repE0EEES8_NS1_28merge_sort_block_sort_configILj256ELj4ELNS0_20block_sort_algorithmE0EEENS0_14default_configENS1_37merge_sort_block_sort_config_selectorIiNS0_10empty_typeEEENS1_38merge_sort_block_merge_config_selectorIiSE_EEEEvv
		.amdhsa_group_segment_fixed_size 0
		.amdhsa_private_segment_fixed_size 0
		.amdhsa_kernarg_size 0
		.amdhsa_user_sgpr_count 0
		.amdhsa_user_sgpr_dispatch_ptr 0
		.amdhsa_user_sgpr_queue_ptr 0
		.amdhsa_user_sgpr_kernarg_segment_ptr 0
		.amdhsa_user_sgpr_dispatch_id 0
		.amdhsa_user_sgpr_kernarg_preload_length 0
		.amdhsa_user_sgpr_kernarg_preload_offset 0
		.amdhsa_user_sgpr_private_segment_size 0
		.amdhsa_wavefront_size32 1
		.amdhsa_uses_dynamic_stack 0
		.amdhsa_enable_private_segment 0
		.amdhsa_system_sgpr_workgroup_id_x 1
		.amdhsa_system_sgpr_workgroup_id_y 0
		.amdhsa_system_sgpr_workgroup_id_z 0
		.amdhsa_system_sgpr_workgroup_info 0
		.amdhsa_system_vgpr_workitem_id 0
		.amdhsa_next_free_vgpr 1
		.amdhsa_next_free_sgpr 1
		.amdhsa_named_barrier_count 0
		.amdhsa_reserve_vcc 0
		.amdhsa_float_round_mode_32 0
		.amdhsa_float_round_mode_16_64 0
		.amdhsa_float_denorm_mode_32 3
		.amdhsa_float_denorm_mode_16_64 3
		.amdhsa_fp16_overflow 0
		.amdhsa_memory_ordered 1
		.amdhsa_forward_progress 1
		.amdhsa_inst_pref_size 1
		.amdhsa_round_robin_scheduling 0
		.amdhsa_exception_fp_ieee_invalid_op 0
		.amdhsa_exception_fp_denorm_src 0
		.amdhsa_exception_fp_ieee_div_zero 0
		.amdhsa_exception_fp_ieee_overflow 0
		.amdhsa_exception_fp_ieee_underflow 0
		.amdhsa_exception_fp_ieee_inexact 0
		.amdhsa_exception_int_div_zero 0
	.end_amdhsa_kernel
	.section	.text._ZN7rocprim17ROCPRIM_400000_NS6detail44device_merge_sort_compile_time_verifier_archINS1_11comp_targetILNS1_3genE0ELNS1_11target_archE4294967295ELNS1_3gpuE0ELNS1_3repE0EEES8_NS1_28merge_sort_block_sort_configILj256ELj4ELNS0_20block_sort_algorithmE0EEENS0_14default_configENS1_37merge_sort_block_sort_config_selectorIiNS0_10empty_typeEEENS1_38merge_sort_block_merge_config_selectorIiSE_EEEEvv,"axG",@progbits,_ZN7rocprim17ROCPRIM_400000_NS6detail44device_merge_sort_compile_time_verifier_archINS1_11comp_targetILNS1_3genE0ELNS1_11target_archE4294967295ELNS1_3gpuE0ELNS1_3repE0EEES8_NS1_28merge_sort_block_sort_configILj256ELj4ELNS0_20block_sort_algorithmE0EEENS0_14default_configENS1_37merge_sort_block_sort_config_selectorIiNS0_10empty_typeEEENS1_38merge_sort_block_merge_config_selectorIiSE_EEEEvv,comdat
.Lfunc_end758:
	.size	_ZN7rocprim17ROCPRIM_400000_NS6detail44device_merge_sort_compile_time_verifier_archINS1_11comp_targetILNS1_3genE0ELNS1_11target_archE4294967295ELNS1_3gpuE0ELNS1_3repE0EEES8_NS1_28merge_sort_block_sort_configILj256ELj4ELNS0_20block_sort_algorithmE0EEENS0_14default_configENS1_37merge_sort_block_sort_config_selectorIiNS0_10empty_typeEEENS1_38merge_sort_block_merge_config_selectorIiSE_EEEEvv, .Lfunc_end758-_ZN7rocprim17ROCPRIM_400000_NS6detail44device_merge_sort_compile_time_verifier_archINS1_11comp_targetILNS1_3genE0ELNS1_11target_archE4294967295ELNS1_3gpuE0ELNS1_3repE0EEES8_NS1_28merge_sort_block_sort_configILj256ELj4ELNS0_20block_sort_algorithmE0EEENS0_14default_configENS1_37merge_sort_block_sort_config_selectorIiNS0_10empty_typeEEENS1_38merge_sort_block_merge_config_selectorIiSE_EEEEvv
                                        ; -- End function
	.set _ZN7rocprim17ROCPRIM_400000_NS6detail44device_merge_sort_compile_time_verifier_archINS1_11comp_targetILNS1_3genE0ELNS1_11target_archE4294967295ELNS1_3gpuE0ELNS1_3repE0EEES8_NS1_28merge_sort_block_sort_configILj256ELj4ELNS0_20block_sort_algorithmE0EEENS0_14default_configENS1_37merge_sort_block_sort_config_selectorIiNS0_10empty_typeEEENS1_38merge_sort_block_merge_config_selectorIiSE_EEEEvv.num_vgpr, 0
	.set _ZN7rocprim17ROCPRIM_400000_NS6detail44device_merge_sort_compile_time_verifier_archINS1_11comp_targetILNS1_3genE0ELNS1_11target_archE4294967295ELNS1_3gpuE0ELNS1_3repE0EEES8_NS1_28merge_sort_block_sort_configILj256ELj4ELNS0_20block_sort_algorithmE0EEENS0_14default_configENS1_37merge_sort_block_sort_config_selectorIiNS0_10empty_typeEEENS1_38merge_sort_block_merge_config_selectorIiSE_EEEEvv.num_agpr, 0
	.set _ZN7rocprim17ROCPRIM_400000_NS6detail44device_merge_sort_compile_time_verifier_archINS1_11comp_targetILNS1_3genE0ELNS1_11target_archE4294967295ELNS1_3gpuE0ELNS1_3repE0EEES8_NS1_28merge_sort_block_sort_configILj256ELj4ELNS0_20block_sort_algorithmE0EEENS0_14default_configENS1_37merge_sort_block_sort_config_selectorIiNS0_10empty_typeEEENS1_38merge_sort_block_merge_config_selectorIiSE_EEEEvv.numbered_sgpr, 0
	.set _ZN7rocprim17ROCPRIM_400000_NS6detail44device_merge_sort_compile_time_verifier_archINS1_11comp_targetILNS1_3genE0ELNS1_11target_archE4294967295ELNS1_3gpuE0ELNS1_3repE0EEES8_NS1_28merge_sort_block_sort_configILj256ELj4ELNS0_20block_sort_algorithmE0EEENS0_14default_configENS1_37merge_sort_block_sort_config_selectorIiNS0_10empty_typeEEENS1_38merge_sort_block_merge_config_selectorIiSE_EEEEvv.num_named_barrier, 0
	.set _ZN7rocprim17ROCPRIM_400000_NS6detail44device_merge_sort_compile_time_verifier_archINS1_11comp_targetILNS1_3genE0ELNS1_11target_archE4294967295ELNS1_3gpuE0ELNS1_3repE0EEES8_NS1_28merge_sort_block_sort_configILj256ELj4ELNS0_20block_sort_algorithmE0EEENS0_14default_configENS1_37merge_sort_block_sort_config_selectorIiNS0_10empty_typeEEENS1_38merge_sort_block_merge_config_selectorIiSE_EEEEvv.private_seg_size, 0
	.set _ZN7rocprim17ROCPRIM_400000_NS6detail44device_merge_sort_compile_time_verifier_archINS1_11comp_targetILNS1_3genE0ELNS1_11target_archE4294967295ELNS1_3gpuE0ELNS1_3repE0EEES8_NS1_28merge_sort_block_sort_configILj256ELj4ELNS0_20block_sort_algorithmE0EEENS0_14default_configENS1_37merge_sort_block_sort_config_selectorIiNS0_10empty_typeEEENS1_38merge_sort_block_merge_config_selectorIiSE_EEEEvv.uses_vcc, 0
	.set _ZN7rocprim17ROCPRIM_400000_NS6detail44device_merge_sort_compile_time_verifier_archINS1_11comp_targetILNS1_3genE0ELNS1_11target_archE4294967295ELNS1_3gpuE0ELNS1_3repE0EEES8_NS1_28merge_sort_block_sort_configILj256ELj4ELNS0_20block_sort_algorithmE0EEENS0_14default_configENS1_37merge_sort_block_sort_config_selectorIiNS0_10empty_typeEEENS1_38merge_sort_block_merge_config_selectorIiSE_EEEEvv.uses_flat_scratch, 0
	.set _ZN7rocprim17ROCPRIM_400000_NS6detail44device_merge_sort_compile_time_verifier_archINS1_11comp_targetILNS1_3genE0ELNS1_11target_archE4294967295ELNS1_3gpuE0ELNS1_3repE0EEES8_NS1_28merge_sort_block_sort_configILj256ELj4ELNS0_20block_sort_algorithmE0EEENS0_14default_configENS1_37merge_sort_block_sort_config_selectorIiNS0_10empty_typeEEENS1_38merge_sort_block_merge_config_selectorIiSE_EEEEvv.has_dyn_sized_stack, 0
	.set _ZN7rocprim17ROCPRIM_400000_NS6detail44device_merge_sort_compile_time_verifier_archINS1_11comp_targetILNS1_3genE0ELNS1_11target_archE4294967295ELNS1_3gpuE0ELNS1_3repE0EEES8_NS1_28merge_sort_block_sort_configILj256ELj4ELNS0_20block_sort_algorithmE0EEENS0_14default_configENS1_37merge_sort_block_sort_config_selectorIiNS0_10empty_typeEEENS1_38merge_sort_block_merge_config_selectorIiSE_EEEEvv.has_recursion, 0
	.set _ZN7rocprim17ROCPRIM_400000_NS6detail44device_merge_sort_compile_time_verifier_archINS1_11comp_targetILNS1_3genE0ELNS1_11target_archE4294967295ELNS1_3gpuE0ELNS1_3repE0EEES8_NS1_28merge_sort_block_sort_configILj256ELj4ELNS0_20block_sort_algorithmE0EEENS0_14default_configENS1_37merge_sort_block_sort_config_selectorIiNS0_10empty_typeEEENS1_38merge_sort_block_merge_config_selectorIiSE_EEEEvv.has_indirect_call, 0
	.section	.AMDGPU.csdata,"",@progbits
; Kernel info:
; codeLenInByte = 4
; TotalNumSgprs: 0
; NumVgprs: 0
; ScratchSize: 0
; MemoryBound: 0
; FloatMode: 240
; IeeeMode: 1
; LDSByteSize: 0 bytes/workgroup (compile time only)
; SGPRBlocks: 0
; VGPRBlocks: 0
; NumSGPRsForWavesPerEU: 1
; NumVGPRsForWavesPerEU: 1
; NamedBarCnt: 0
; Occupancy: 16
; WaveLimiterHint : 0
; COMPUTE_PGM_RSRC2:SCRATCH_EN: 0
; COMPUTE_PGM_RSRC2:USER_SGPR: 0
; COMPUTE_PGM_RSRC2:TRAP_HANDLER: 0
; COMPUTE_PGM_RSRC2:TGID_X_EN: 1
; COMPUTE_PGM_RSRC2:TGID_Y_EN: 0
; COMPUTE_PGM_RSRC2:TGID_Z_EN: 0
; COMPUTE_PGM_RSRC2:TIDIG_COMP_CNT: 0
	.section	.text._ZN7rocprim17ROCPRIM_400000_NS6detail44device_merge_sort_compile_time_verifier_archINS1_11comp_targetILNS1_3genE5ELNS1_11target_archE942ELNS1_3gpuE9ELNS1_3repE0EEES8_NS1_28merge_sort_block_sort_configILj256ELj4ELNS0_20block_sort_algorithmE0EEENS0_14default_configENS1_37merge_sort_block_sort_config_selectorIiNS0_10empty_typeEEENS1_38merge_sort_block_merge_config_selectorIiSE_EEEEvv,"axG",@progbits,_ZN7rocprim17ROCPRIM_400000_NS6detail44device_merge_sort_compile_time_verifier_archINS1_11comp_targetILNS1_3genE5ELNS1_11target_archE942ELNS1_3gpuE9ELNS1_3repE0EEES8_NS1_28merge_sort_block_sort_configILj256ELj4ELNS0_20block_sort_algorithmE0EEENS0_14default_configENS1_37merge_sort_block_sort_config_selectorIiNS0_10empty_typeEEENS1_38merge_sort_block_merge_config_selectorIiSE_EEEEvv,comdat
	.protected	_ZN7rocprim17ROCPRIM_400000_NS6detail44device_merge_sort_compile_time_verifier_archINS1_11comp_targetILNS1_3genE5ELNS1_11target_archE942ELNS1_3gpuE9ELNS1_3repE0EEES8_NS1_28merge_sort_block_sort_configILj256ELj4ELNS0_20block_sort_algorithmE0EEENS0_14default_configENS1_37merge_sort_block_sort_config_selectorIiNS0_10empty_typeEEENS1_38merge_sort_block_merge_config_selectorIiSE_EEEEvv ; -- Begin function _ZN7rocprim17ROCPRIM_400000_NS6detail44device_merge_sort_compile_time_verifier_archINS1_11comp_targetILNS1_3genE5ELNS1_11target_archE942ELNS1_3gpuE9ELNS1_3repE0EEES8_NS1_28merge_sort_block_sort_configILj256ELj4ELNS0_20block_sort_algorithmE0EEENS0_14default_configENS1_37merge_sort_block_sort_config_selectorIiNS0_10empty_typeEEENS1_38merge_sort_block_merge_config_selectorIiSE_EEEEvv
	.globl	_ZN7rocprim17ROCPRIM_400000_NS6detail44device_merge_sort_compile_time_verifier_archINS1_11comp_targetILNS1_3genE5ELNS1_11target_archE942ELNS1_3gpuE9ELNS1_3repE0EEES8_NS1_28merge_sort_block_sort_configILj256ELj4ELNS0_20block_sort_algorithmE0EEENS0_14default_configENS1_37merge_sort_block_sort_config_selectorIiNS0_10empty_typeEEENS1_38merge_sort_block_merge_config_selectorIiSE_EEEEvv
	.p2align	8
	.type	_ZN7rocprim17ROCPRIM_400000_NS6detail44device_merge_sort_compile_time_verifier_archINS1_11comp_targetILNS1_3genE5ELNS1_11target_archE942ELNS1_3gpuE9ELNS1_3repE0EEES8_NS1_28merge_sort_block_sort_configILj256ELj4ELNS0_20block_sort_algorithmE0EEENS0_14default_configENS1_37merge_sort_block_sort_config_selectorIiNS0_10empty_typeEEENS1_38merge_sort_block_merge_config_selectorIiSE_EEEEvv,@function
_ZN7rocprim17ROCPRIM_400000_NS6detail44device_merge_sort_compile_time_verifier_archINS1_11comp_targetILNS1_3genE5ELNS1_11target_archE942ELNS1_3gpuE9ELNS1_3repE0EEES8_NS1_28merge_sort_block_sort_configILj256ELj4ELNS0_20block_sort_algorithmE0EEENS0_14default_configENS1_37merge_sort_block_sort_config_selectorIiNS0_10empty_typeEEENS1_38merge_sort_block_merge_config_selectorIiSE_EEEEvv: ; @_ZN7rocprim17ROCPRIM_400000_NS6detail44device_merge_sort_compile_time_verifier_archINS1_11comp_targetILNS1_3genE5ELNS1_11target_archE942ELNS1_3gpuE9ELNS1_3repE0EEES8_NS1_28merge_sort_block_sort_configILj256ELj4ELNS0_20block_sort_algorithmE0EEENS0_14default_configENS1_37merge_sort_block_sort_config_selectorIiNS0_10empty_typeEEENS1_38merge_sort_block_merge_config_selectorIiSE_EEEEvv
; %bb.0:
	s_endpgm
	.section	.rodata,"a",@progbits
	.p2align	6, 0x0
	.amdhsa_kernel _ZN7rocprim17ROCPRIM_400000_NS6detail44device_merge_sort_compile_time_verifier_archINS1_11comp_targetILNS1_3genE5ELNS1_11target_archE942ELNS1_3gpuE9ELNS1_3repE0EEES8_NS1_28merge_sort_block_sort_configILj256ELj4ELNS0_20block_sort_algorithmE0EEENS0_14default_configENS1_37merge_sort_block_sort_config_selectorIiNS0_10empty_typeEEENS1_38merge_sort_block_merge_config_selectorIiSE_EEEEvv
		.amdhsa_group_segment_fixed_size 0
		.amdhsa_private_segment_fixed_size 0
		.amdhsa_kernarg_size 0
		.amdhsa_user_sgpr_count 0
		.amdhsa_user_sgpr_dispatch_ptr 0
		.amdhsa_user_sgpr_queue_ptr 0
		.amdhsa_user_sgpr_kernarg_segment_ptr 0
		.amdhsa_user_sgpr_dispatch_id 0
		.amdhsa_user_sgpr_kernarg_preload_length 0
		.amdhsa_user_sgpr_kernarg_preload_offset 0
		.amdhsa_user_sgpr_private_segment_size 0
		.amdhsa_wavefront_size32 1
		.amdhsa_uses_dynamic_stack 0
		.amdhsa_enable_private_segment 0
		.amdhsa_system_sgpr_workgroup_id_x 1
		.amdhsa_system_sgpr_workgroup_id_y 0
		.amdhsa_system_sgpr_workgroup_id_z 0
		.amdhsa_system_sgpr_workgroup_info 0
		.amdhsa_system_vgpr_workitem_id 0
		.amdhsa_next_free_vgpr 1
		.amdhsa_next_free_sgpr 1
		.amdhsa_named_barrier_count 0
		.amdhsa_reserve_vcc 0
		.amdhsa_float_round_mode_32 0
		.amdhsa_float_round_mode_16_64 0
		.amdhsa_float_denorm_mode_32 3
		.amdhsa_float_denorm_mode_16_64 3
		.amdhsa_fp16_overflow 0
		.amdhsa_memory_ordered 1
		.amdhsa_forward_progress 1
		.amdhsa_inst_pref_size 1
		.amdhsa_round_robin_scheduling 0
		.amdhsa_exception_fp_ieee_invalid_op 0
		.amdhsa_exception_fp_denorm_src 0
		.amdhsa_exception_fp_ieee_div_zero 0
		.amdhsa_exception_fp_ieee_overflow 0
		.amdhsa_exception_fp_ieee_underflow 0
		.amdhsa_exception_fp_ieee_inexact 0
		.amdhsa_exception_int_div_zero 0
	.end_amdhsa_kernel
	.section	.text._ZN7rocprim17ROCPRIM_400000_NS6detail44device_merge_sort_compile_time_verifier_archINS1_11comp_targetILNS1_3genE5ELNS1_11target_archE942ELNS1_3gpuE9ELNS1_3repE0EEES8_NS1_28merge_sort_block_sort_configILj256ELj4ELNS0_20block_sort_algorithmE0EEENS0_14default_configENS1_37merge_sort_block_sort_config_selectorIiNS0_10empty_typeEEENS1_38merge_sort_block_merge_config_selectorIiSE_EEEEvv,"axG",@progbits,_ZN7rocprim17ROCPRIM_400000_NS6detail44device_merge_sort_compile_time_verifier_archINS1_11comp_targetILNS1_3genE5ELNS1_11target_archE942ELNS1_3gpuE9ELNS1_3repE0EEES8_NS1_28merge_sort_block_sort_configILj256ELj4ELNS0_20block_sort_algorithmE0EEENS0_14default_configENS1_37merge_sort_block_sort_config_selectorIiNS0_10empty_typeEEENS1_38merge_sort_block_merge_config_selectorIiSE_EEEEvv,comdat
.Lfunc_end759:
	.size	_ZN7rocprim17ROCPRIM_400000_NS6detail44device_merge_sort_compile_time_verifier_archINS1_11comp_targetILNS1_3genE5ELNS1_11target_archE942ELNS1_3gpuE9ELNS1_3repE0EEES8_NS1_28merge_sort_block_sort_configILj256ELj4ELNS0_20block_sort_algorithmE0EEENS0_14default_configENS1_37merge_sort_block_sort_config_selectorIiNS0_10empty_typeEEENS1_38merge_sort_block_merge_config_selectorIiSE_EEEEvv, .Lfunc_end759-_ZN7rocprim17ROCPRIM_400000_NS6detail44device_merge_sort_compile_time_verifier_archINS1_11comp_targetILNS1_3genE5ELNS1_11target_archE942ELNS1_3gpuE9ELNS1_3repE0EEES8_NS1_28merge_sort_block_sort_configILj256ELj4ELNS0_20block_sort_algorithmE0EEENS0_14default_configENS1_37merge_sort_block_sort_config_selectorIiNS0_10empty_typeEEENS1_38merge_sort_block_merge_config_selectorIiSE_EEEEvv
                                        ; -- End function
	.set _ZN7rocprim17ROCPRIM_400000_NS6detail44device_merge_sort_compile_time_verifier_archINS1_11comp_targetILNS1_3genE5ELNS1_11target_archE942ELNS1_3gpuE9ELNS1_3repE0EEES8_NS1_28merge_sort_block_sort_configILj256ELj4ELNS0_20block_sort_algorithmE0EEENS0_14default_configENS1_37merge_sort_block_sort_config_selectorIiNS0_10empty_typeEEENS1_38merge_sort_block_merge_config_selectorIiSE_EEEEvv.num_vgpr, 0
	.set _ZN7rocprim17ROCPRIM_400000_NS6detail44device_merge_sort_compile_time_verifier_archINS1_11comp_targetILNS1_3genE5ELNS1_11target_archE942ELNS1_3gpuE9ELNS1_3repE0EEES8_NS1_28merge_sort_block_sort_configILj256ELj4ELNS0_20block_sort_algorithmE0EEENS0_14default_configENS1_37merge_sort_block_sort_config_selectorIiNS0_10empty_typeEEENS1_38merge_sort_block_merge_config_selectorIiSE_EEEEvv.num_agpr, 0
	.set _ZN7rocprim17ROCPRIM_400000_NS6detail44device_merge_sort_compile_time_verifier_archINS1_11comp_targetILNS1_3genE5ELNS1_11target_archE942ELNS1_3gpuE9ELNS1_3repE0EEES8_NS1_28merge_sort_block_sort_configILj256ELj4ELNS0_20block_sort_algorithmE0EEENS0_14default_configENS1_37merge_sort_block_sort_config_selectorIiNS0_10empty_typeEEENS1_38merge_sort_block_merge_config_selectorIiSE_EEEEvv.numbered_sgpr, 0
	.set _ZN7rocprim17ROCPRIM_400000_NS6detail44device_merge_sort_compile_time_verifier_archINS1_11comp_targetILNS1_3genE5ELNS1_11target_archE942ELNS1_3gpuE9ELNS1_3repE0EEES8_NS1_28merge_sort_block_sort_configILj256ELj4ELNS0_20block_sort_algorithmE0EEENS0_14default_configENS1_37merge_sort_block_sort_config_selectorIiNS0_10empty_typeEEENS1_38merge_sort_block_merge_config_selectorIiSE_EEEEvv.num_named_barrier, 0
	.set _ZN7rocprim17ROCPRIM_400000_NS6detail44device_merge_sort_compile_time_verifier_archINS1_11comp_targetILNS1_3genE5ELNS1_11target_archE942ELNS1_3gpuE9ELNS1_3repE0EEES8_NS1_28merge_sort_block_sort_configILj256ELj4ELNS0_20block_sort_algorithmE0EEENS0_14default_configENS1_37merge_sort_block_sort_config_selectorIiNS0_10empty_typeEEENS1_38merge_sort_block_merge_config_selectorIiSE_EEEEvv.private_seg_size, 0
	.set _ZN7rocprim17ROCPRIM_400000_NS6detail44device_merge_sort_compile_time_verifier_archINS1_11comp_targetILNS1_3genE5ELNS1_11target_archE942ELNS1_3gpuE9ELNS1_3repE0EEES8_NS1_28merge_sort_block_sort_configILj256ELj4ELNS0_20block_sort_algorithmE0EEENS0_14default_configENS1_37merge_sort_block_sort_config_selectorIiNS0_10empty_typeEEENS1_38merge_sort_block_merge_config_selectorIiSE_EEEEvv.uses_vcc, 0
	.set _ZN7rocprim17ROCPRIM_400000_NS6detail44device_merge_sort_compile_time_verifier_archINS1_11comp_targetILNS1_3genE5ELNS1_11target_archE942ELNS1_3gpuE9ELNS1_3repE0EEES8_NS1_28merge_sort_block_sort_configILj256ELj4ELNS0_20block_sort_algorithmE0EEENS0_14default_configENS1_37merge_sort_block_sort_config_selectorIiNS0_10empty_typeEEENS1_38merge_sort_block_merge_config_selectorIiSE_EEEEvv.uses_flat_scratch, 0
	.set _ZN7rocprim17ROCPRIM_400000_NS6detail44device_merge_sort_compile_time_verifier_archINS1_11comp_targetILNS1_3genE5ELNS1_11target_archE942ELNS1_3gpuE9ELNS1_3repE0EEES8_NS1_28merge_sort_block_sort_configILj256ELj4ELNS0_20block_sort_algorithmE0EEENS0_14default_configENS1_37merge_sort_block_sort_config_selectorIiNS0_10empty_typeEEENS1_38merge_sort_block_merge_config_selectorIiSE_EEEEvv.has_dyn_sized_stack, 0
	.set _ZN7rocprim17ROCPRIM_400000_NS6detail44device_merge_sort_compile_time_verifier_archINS1_11comp_targetILNS1_3genE5ELNS1_11target_archE942ELNS1_3gpuE9ELNS1_3repE0EEES8_NS1_28merge_sort_block_sort_configILj256ELj4ELNS0_20block_sort_algorithmE0EEENS0_14default_configENS1_37merge_sort_block_sort_config_selectorIiNS0_10empty_typeEEENS1_38merge_sort_block_merge_config_selectorIiSE_EEEEvv.has_recursion, 0
	.set _ZN7rocprim17ROCPRIM_400000_NS6detail44device_merge_sort_compile_time_verifier_archINS1_11comp_targetILNS1_3genE5ELNS1_11target_archE942ELNS1_3gpuE9ELNS1_3repE0EEES8_NS1_28merge_sort_block_sort_configILj256ELj4ELNS0_20block_sort_algorithmE0EEENS0_14default_configENS1_37merge_sort_block_sort_config_selectorIiNS0_10empty_typeEEENS1_38merge_sort_block_merge_config_selectorIiSE_EEEEvv.has_indirect_call, 0
	.section	.AMDGPU.csdata,"",@progbits
; Kernel info:
; codeLenInByte = 4
; TotalNumSgprs: 0
; NumVgprs: 0
; ScratchSize: 0
; MemoryBound: 0
; FloatMode: 240
; IeeeMode: 1
; LDSByteSize: 0 bytes/workgroup (compile time only)
; SGPRBlocks: 0
; VGPRBlocks: 0
; NumSGPRsForWavesPerEU: 1
; NumVGPRsForWavesPerEU: 1
; NamedBarCnt: 0
; Occupancy: 16
; WaveLimiterHint : 0
; COMPUTE_PGM_RSRC2:SCRATCH_EN: 0
; COMPUTE_PGM_RSRC2:USER_SGPR: 0
; COMPUTE_PGM_RSRC2:TRAP_HANDLER: 0
; COMPUTE_PGM_RSRC2:TGID_X_EN: 1
; COMPUTE_PGM_RSRC2:TGID_Y_EN: 0
; COMPUTE_PGM_RSRC2:TGID_Z_EN: 0
; COMPUTE_PGM_RSRC2:TIDIG_COMP_CNT: 0
	.section	.text._ZN7rocprim17ROCPRIM_400000_NS6detail44device_merge_sort_compile_time_verifier_archINS1_11comp_targetILNS1_3genE4ELNS1_11target_archE910ELNS1_3gpuE8ELNS1_3repE0EEES8_NS1_28merge_sort_block_sort_configILj256ELj4ELNS0_20block_sort_algorithmE0EEENS0_14default_configENS1_37merge_sort_block_sort_config_selectorIiNS0_10empty_typeEEENS1_38merge_sort_block_merge_config_selectorIiSE_EEEEvv,"axG",@progbits,_ZN7rocprim17ROCPRIM_400000_NS6detail44device_merge_sort_compile_time_verifier_archINS1_11comp_targetILNS1_3genE4ELNS1_11target_archE910ELNS1_3gpuE8ELNS1_3repE0EEES8_NS1_28merge_sort_block_sort_configILj256ELj4ELNS0_20block_sort_algorithmE0EEENS0_14default_configENS1_37merge_sort_block_sort_config_selectorIiNS0_10empty_typeEEENS1_38merge_sort_block_merge_config_selectorIiSE_EEEEvv,comdat
	.protected	_ZN7rocprim17ROCPRIM_400000_NS6detail44device_merge_sort_compile_time_verifier_archINS1_11comp_targetILNS1_3genE4ELNS1_11target_archE910ELNS1_3gpuE8ELNS1_3repE0EEES8_NS1_28merge_sort_block_sort_configILj256ELj4ELNS0_20block_sort_algorithmE0EEENS0_14default_configENS1_37merge_sort_block_sort_config_selectorIiNS0_10empty_typeEEENS1_38merge_sort_block_merge_config_selectorIiSE_EEEEvv ; -- Begin function _ZN7rocprim17ROCPRIM_400000_NS6detail44device_merge_sort_compile_time_verifier_archINS1_11comp_targetILNS1_3genE4ELNS1_11target_archE910ELNS1_3gpuE8ELNS1_3repE0EEES8_NS1_28merge_sort_block_sort_configILj256ELj4ELNS0_20block_sort_algorithmE0EEENS0_14default_configENS1_37merge_sort_block_sort_config_selectorIiNS0_10empty_typeEEENS1_38merge_sort_block_merge_config_selectorIiSE_EEEEvv
	.globl	_ZN7rocprim17ROCPRIM_400000_NS6detail44device_merge_sort_compile_time_verifier_archINS1_11comp_targetILNS1_3genE4ELNS1_11target_archE910ELNS1_3gpuE8ELNS1_3repE0EEES8_NS1_28merge_sort_block_sort_configILj256ELj4ELNS0_20block_sort_algorithmE0EEENS0_14default_configENS1_37merge_sort_block_sort_config_selectorIiNS0_10empty_typeEEENS1_38merge_sort_block_merge_config_selectorIiSE_EEEEvv
	.p2align	8
	.type	_ZN7rocprim17ROCPRIM_400000_NS6detail44device_merge_sort_compile_time_verifier_archINS1_11comp_targetILNS1_3genE4ELNS1_11target_archE910ELNS1_3gpuE8ELNS1_3repE0EEES8_NS1_28merge_sort_block_sort_configILj256ELj4ELNS0_20block_sort_algorithmE0EEENS0_14default_configENS1_37merge_sort_block_sort_config_selectorIiNS0_10empty_typeEEENS1_38merge_sort_block_merge_config_selectorIiSE_EEEEvv,@function
_ZN7rocprim17ROCPRIM_400000_NS6detail44device_merge_sort_compile_time_verifier_archINS1_11comp_targetILNS1_3genE4ELNS1_11target_archE910ELNS1_3gpuE8ELNS1_3repE0EEES8_NS1_28merge_sort_block_sort_configILj256ELj4ELNS0_20block_sort_algorithmE0EEENS0_14default_configENS1_37merge_sort_block_sort_config_selectorIiNS0_10empty_typeEEENS1_38merge_sort_block_merge_config_selectorIiSE_EEEEvv: ; @_ZN7rocprim17ROCPRIM_400000_NS6detail44device_merge_sort_compile_time_verifier_archINS1_11comp_targetILNS1_3genE4ELNS1_11target_archE910ELNS1_3gpuE8ELNS1_3repE0EEES8_NS1_28merge_sort_block_sort_configILj256ELj4ELNS0_20block_sort_algorithmE0EEENS0_14default_configENS1_37merge_sort_block_sort_config_selectorIiNS0_10empty_typeEEENS1_38merge_sort_block_merge_config_selectorIiSE_EEEEvv
; %bb.0:
	s_endpgm
	.section	.rodata,"a",@progbits
	.p2align	6, 0x0
	.amdhsa_kernel _ZN7rocprim17ROCPRIM_400000_NS6detail44device_merge_sort_compile_time_verifier_archINS1_11comp_targetILNS1_3genE4ELNS1_11target_archE910ELNS1_3gpuE8ELNS1_3repE0EEES8_NS1_28merge_sort_block_sort_configILj256ELj4ELNS0_20block_sort_algorithmE0EEENS0_14default_configENS1_37merge_sort_block_sort_config_selectorIiNS0_10empty_typeEEENS1_38merge_sort_block_merge_config_selectorIiSE_EEEEvv
		.amdhsa_group_segment_fixed_size 0
		.amdhsa_private_segment_fixed_size 0
		.amdhsa_kernarg_size 0
		.amdhsa_user_sgpr_count 0
		.amdhsa_user_sgpr_dispatch_ptr 0
		.amdhsa_user_sgpr_queue_ptr 0
		.amdhsa_user_sgpr_kernarg_segment_ptr 0
		.amdhsa_user_sgpr_dispatch_id 0
		.amdhsa_user_sgpr_kernarg_preload_length 0
		.amdhsa_user_sgpr_kernarg_preload_offset 0
		.amdhsa_user_sgpr_private_segment_size 0
		.amdhsa_wavefront_size32 1
		.amdhsa_uses_dynamic_stack 0
		.amdhsa_enable_private_segment 0
		.amdhsa_system_sgpr_workgroup_id_x 1
		.amdhsa_system_sgpr_workgroup_id_y 0
		.amdhsa_system_sgpr_workgroup_id_z 0
		.amdhsa_system_sgpr_workgroup_info 0
		.amdhsa_system_vgpr_workitem_id 0
		.amdhsa_next_free_vgpr 1
		.amdhsa_next_free_sgpr 1
		.amdhsa_named_barrier_count 0
		.amdhsa_reserve_vcc 0
		.amdhsa_float_round_mode_32 0
		.amdhsa_float_round_mode_16_64 0
		.amdhsa_float_denorm_mode_32 3
		.amdhsa_float_denorm_mode_16_64 3
		.amdhsa_fp16_overflow 0
		.amdhsa_memory_ordered 1
		.amdhsa_forward_progress 1
		.amdhsa_inst_pref_size 1
		.amdhsa_round_robin_scheduling 0
		.amdhsa_exception_fp_ieee_invalid_op 0
		.amdhsa_exception_fp_denorm_src 0
		.amdhsa_exception_fp_ieee_div_zero 0
		.amdhsa_exception_fp_ieee_overflow 0
		.amdhsa_exception_fp_ieee_underflow 0
		.amdhsa_exception_fp_ieee_inexact 0
		.amdhsa_exception_int_div_zero 0
	.end_amdhsa_kernel
	.section	.text._ZN7rocprim17ROCPRIM_400000_NS6detail44device_merge_sort_compile_time_verifier_archINS1_11comp_targetILNS1_3genE4ELNS1_11target_archE910ELNS1_3gpuE8ELNS1_3repE0EEES8_NS1_28merge_sort_block_sort_configILj256ELj4ELNS0_20block_sort_algorithmE0EEENS0_14default_configENS1_37merge_sort_block_sort_config_selectorIiNS0_10empty_typeEEENS1_38merge_sort_block_merge_config_selectorIiSE_EEEEvv,"axG",@progbits,_ZN7rocprim17ROCPRIM_400000_NS6detail44device_merge_sort_compile_time_verifier_archINS1_11comp_targetILNS1_3genE4ELNS1_11target_archE910ELNS1_3gpuE8ELNS1_3repE0EEES8_NS1_28merge_sort_block_sort_configILj256ELj4ELNS0_20block_sort_algorithmE0EEENS0_14default_configENS1_37merge_sort_block_sort_config_selectorIiNS0_10empty_typeEEENS1_38merge_sort_block_merge_config_selectorIiSE_EEEEvv,comdat
.Lfunc_end760:
	.size	_ZN7rocprim17ROCPRIM_400000_NS6detail44device_merge_sort_compile_time_verifier_archINS1_11comp_targetILNS1_3genE4ELNS1_11target_archE910ELNS1_3gpuE8ELNS1_3repE0EEES8_NS1_28merge_sort_block_sort_configILj256ELj4ELNS0_20block_sort_algorithmE0EEENS0_14default_configENS1_37merge_sort_block_sort_config_selectorIiNS0_10empty_typeEEENS1_38merge_sort_block_merge_config_selectorIiSE_EEEEvv, .Lfunc_end760-_ZN7rocprim17ROCPRIM_400000_NS6detail44device_merge_sort_compile_time_verifier_archINS1_11comp_targetILNS1_3genE4ELNS1_11target_archE910ELNS1_3gpuE8ELNS1_3repE0EEES8_NS1_28merge_sort_block_sort_configILj256ELj4ELNS0_20block_sort_algorithmE0EEENS0_14default_configENS1_37merge_sort_block_sort_config_selectorIiNS0_10empty_typeEEENS1_38merge_sort_block_merge_config_selectorIiSE_EEEEvv
                                        ; -- End function
	.set _ZN7rocprim17ROCPRIM_400000_NS6detail44device_merge_sort_compile_time_verifier_archINS1_11comp_targetILNS1_3genE4ELNS1_11target_archE910ELNS1_3gpuE8ELNS1_3repE0EEES8_NS1_28merge_sort_block_sort_configILj256ELj4ELNS0_20block_sort_algorithmE0EEENS0_14default_configENS1_37merge_sort_block_sort_config_selectorIiNS0_10empty_typeEEENS1_38merge_sort_block_merge_config_selectorIiSE_EEEEvv.num_vgpr, 0
	.set _ZN7rocprim17ROCPRIM_400000_NS6detail44device_merge_sort_compile_time_verifier_archINS1_11comp_targetILNS1_3genE4ELNS1_11target_archE910ELNS1_3gpuE8ELNS1_3repE0EEES8_NS1_28merge_sort_block_sort_configILj256ELj4ELNS0_20block_sort_algorithmE0EEENS0_14default_configENS1_37merge_sort_block_sort_config_selectorIiNS0_10empty_typeEEENS1_38merge_sort_block_merge_config_selectorIiSE_EEEEvv.num_agpr, 0
	.set _ZN7rocprim17ROCPRIM_400000_NS6detail44device_merge_sort_compile_time_verifier_archINS1_11comp_targetILNS1_3genE4ELNS1_11target_archE910ELNS1_3gpuE8ELNS1_3repE0EEES8_NS1_28merge_sort_block_sort_configILj256ELj4ELNS0_20block_sort_algorithmE0EEENS0_14default_configENS1_37merge_sort_block_sort_config_selectorIiNS0_10empty_typeEEENS1_38merge_sort_block_merge_config_selectorIiSE_EEEEvv.numbered_sgpr, 0
	.set _ZN7rocprim17ROCPRIM_400000_NS6detail44device_merge_sort_compile_time_verifier_archINS1_11comp_targetILNS1_3genE4ELNS1_11target_archE910ELNS1_3gpuE8ELNS1_3repE0EEES8_NS1_28merge_sort_block_sort_configILj256ELj4ELNS0_20block_sort_algorithmE0EEENS0_14default_configENS1_37merge_sort_block_sort_config_selectorIiNS0_10empty_typeEEENS1_38merge_sort_block_merge_config_selectorIiSE_EEEEvv.num_named_barrier, 0
	.set _ZN7rocprim17ROCPRIM_400000_NS6detail44device_merge_sort_compile_time_verifier_archINS1_11comp_targetILNS1_3genE4ELNS1_11target_archE910ELNS1_3gpuE8ELNS1_3repE0EEES8_NS1_28merge_sort_block_sort_configILj256ELj4ELNS0_20block_sort_algorithmE0EEENS0_14default_configENS1_37merge_sort_block_sort_config_selectorIiNS0_10empty_typeEEENS1_38merge_sort_block_merge_config_selectorIiSE_EEEEvv.private_seg_size, 0
	.set _ZN7rocprim17ROCPRIM_400000_NS6detail44device_merge_sort_compile_time_verifier_archINS1_11comp_targetILNS1_3genE4ELNS1_11target_archE910ELNS1_3gpuE8ELNS1_3repE0EEES8_NS1_28merge_sort_block_sort_configILj256ELj4ELNS0_20block_sort_algorithmE0EEENS0_14default_configENS1_37merge_sort_block_sort_config_selectorIiNS0_10empty_typeEEENS1_38merge_sort_block_merge_config_selectorIiSE_EEEEvv.uses_vcc, 0
	.set _ZN7rocprim17ROCPRIM_400000_NS6detail44device_merge_sort_compile_time_verifier_archINS1_11comp_targetILNS1_3genE4ELNS1_11target_archE910ELNS1_3gpuE8ELNS1_3repE0EEES8_NS1_28merge_sort_block_sort_configILj256ELj4ELNS0_20block_sort_algorithmE0EEENS0_14default_configENS1_37merge_sort_block_sort_config_selectorIiNS0_10empty_typeEEENS1_38merge_sort_block_merge_config_selectorIiSE_EEEEvv.uses_flat_scratch, 0
	.set _ZN7rocprim17ROCPRIM_400000_NS6detail44device_merge_sort_compile_time_verifier_archINS1_11comp_targetILNS1_3genE4ELNS1_11target_archE910ELNS1_3gpuE8ELNS1_3repE0EEES8_NS1_28merge_sort_block_sort_configILj256ELj4ELNS0_20block_sort_algorithmE0EEENS0_14default_configENS1_37merge_sort_block_sort_config_selectorIiNS0_10empty_typeEEENS1_38merge_sort_block_merge_config_selectorIiSE_EEEEvv.has_dyn_sized_stack, 0
	.set _ZN7rocprim17ROCPRIM_400000_NS6detail44device_merge_sort_compile_time_verifier_archINS1_11comp_targetILNS1_3genE4ELNS1_11target_archE910ELNS1_3gpuE8ELNS1_3repE0EEES8_NS1_28merge_sort_block_sort_configILj256ELj4ELNS0_20block_sort_algorithmE0EEENS0_14default_configENS1_37merge_sort_block_sort_config_selectorIiNS0_10empty_typeEEENS1_38merge_sort_block_merge_config_selectorIiSE_EEEEvv.has_recursion, 0
	.set _ZN7rocprim17ROCPRIM_400000_NS6detail44device_merge_sort_compile_time_verifier_archINS1_11comp_targetILNS1_3genE4ELNS1_11target_archE910ELNS1_3gpuE8ELNS1_3repE0EEES8_NS1_28merge_sort_block_sort_configILj256ELj4ELNS0_20block_sort_algorithmE0EEENS0_14default_configENS1_37merge_sort_block_sort_config_selectorIiNS0_10empty_typeEEENS1_38merge_sort_block_merge_config_selectorIiSE_EEEEvv.has_indirect_call, 0
	.section	.AMDGPU.csdata,"",@progbits
; Kernel info:
; codeLenInByte = 4
; TotalNumSgprs: 0
; NumVgprs: 0
; ScratchSize: 0
; MemoryBound: 0
; FloatMode: 240
; IeeeMode: 1
; LDSByteSize: 0 bytes/workgroup (compile time only)
; SGPRBlocks: 0
; VGPRBlocks: 0
; NumSGPRsForWavesPerEU: 1
; NumVGPRsForWavesPerEU: 1
; NamedBarCnt: 0
; Occupancy: 16
; WaveLimiterHint : 0
; COMPUTE_PGM_RSRC2:SCRATCH_EN: 0
; COMPUTE_PGM_RSRC2:USER_SGPR: 0
; COMPUTE_PGM_RSRC2:TRAP_HANDLER: 0
; COMPUTE_PGM_RSRC2:TGID_X_EN: 1
; COMPUTE_PGM_RSRC2:TGID_Y_EN: 0
; COMPUTE_PGM_RSRC2:TGID_Z_EN: 0
; COMPUTE_PGM_RSRC2:TIDIG_COMP_CNT: 0
	.section	.text._ZN7rocprim17ROCPRIM_400000_NS6detail44device_merge_sort_compile_time_verifier_archINS1_11comp_targetILNS1_3genE3ELNS1_11target_archE908ELNS1_3gpuE7ELNS1_3repE0EEES8_NS1_28merge_sort_block_sort_configILj256ELj4ELNS0_20block_sort_algorithmE0EEENS0_14default_configENS1_37merge_sort_block_sort_config_selectorIiNS0_10empty_typeEEENS1_38merge_sort_block_merge_config_selectorIiSE_EEEEvv,"axG",@progbits,_ZN7rocprim17ROCPRIM_400000_NS6detail44device_merge_sort_compile_time_verifier_archINS1_11comp_targetILNS1_3genE3ELNS1_11target_archE908ELNS1_3gpuE7ELNS1_3repE0EEES8_NS1_28merge_sort_block_sort_configILj256ELj4ELNS0_20block_sort_algorithmE0EEENS0_14default_configENS1_37merge_sort_block_sort_config_selectorIiNS0_10empty_typeEEENS1_38merge_sort_block_merge_config_selectorIiSE_EEEEvv,comdat
	.protected	_ZN7rocprim17ROCPRIM_400000_NS6detail44device_merge_sort_compile_time_verifier_archINS1_11comp_targetILNS1_3genE3ELNS1_11target_archE908ELNS1_3gpuE7ELNS1_3repE0EEES8_NS1_28merge_sort_block_sort_configILj256ELj4ELNS0_20block_sort_algorithmE0EEENS0_14default_configENS1_37merge_sort_block_sort_config_selectorIiNS0_10empty_typeEEENS1_38merge_sort_block_merge_config_selectorIiSE_EEEEvv ; -- Begin function _ZN7rocprim17ROCPRIM_400000_NS6detail44device_merge_sort_compile_time_verifier_archINS1_11comp_targetILNS1_3genE3ELNS1_11target_archE908ELNS1_3gpuE7ELNS1_3repE0EEES8_NS1_28merge_sort_block_sort_configILj256ELj4ELNS0_20block_sort_algorithmE0EEENS0_14default_configENS1_37merge_sort_block_sort_config_selectorIiNS0_10empty_typeEEENS1_38merge_sort_block_merge_config_selectorIiSE_EEEEvv
	.globl	_ZN7rocprim17ROCPRIM_400000_NS6detail44device_merge_sort_compile_time_verifier_archINS1_11comp_targetILNS1_3genE3ELNS1_11target_archE908ELNS1_3gpuE7ELNS1_3repE0EEES8_NS1_28merge_sort_block_sort_configILj256ELj4ELNS0_20block_sort_algorithmE0EEENS0_14default_configENS1_37merge_sort_block_sort_config_selectorIiNS0_10empty_typeEEENS1_38merge_sort_block_merge_config_selectorIiSE_EEEEvv
	.p2align	8
	.type	_ZN7rocprim17ROCPRIM_400000_NS6detail44device_merge_sort_compile_time_verifier_archINS1_11comp_targetILNS1_3genE3ELNS1_11target_archE908ELNS1_3gpuE7ELNS1_3repE0EEES8_NS1_28merge_sort_block_sort_configILj256ELj4ELNS0_20block_sort_algorithmE0EEENS0_14default_configENS1_37merge_sort_block_sort_config_selectorIiNS0_10empty_typeEEENS1_38merge_sort_block_merge_config_selectorIiSE_EEEEvv,@function
_ZN7rocprim17ROCPRIM_400000_NS6detail44device_merge_sort_compile_time_verifier_archINS1_11comp_targetILNS1_3genE3ELNS1_11target_archE908ELNS1_3gpuE7ELNS1_3repE0EEES8_NS1_28merge_sort_block_sort_configILj256ELj4ELNS0_20block_sort_algorithmE0EEENS0_14default_configENS1_37merge_sort_block_sort_config_selectorIiNS0_10empty_typeEEENS1_38merge_sort_block_merge_config_selectorIiSE_EEEEvv: ; @_ZN7rocprim17ROCPRIM_400000_NS6detail44device_merge_sort_compile_time_verifier_archINS1_11comp_targetILNS1_3genE3ELNS1_11target_archE908ELNS1_3gpuE7ELNS1_3repE0EEES8_NS1_28merge_sort_block_sort_configILj256ELj4ELNS0_20block_sort_algorithmE0EEENS0_14default_configENS1_37merge_sort_block_sort_config_selectorIiNS0_10empty_typeEEENS1_38merge_sort_block_merge_config_selectorIiSE_EEEEvv
; %bb.0:
	s_endpgm
	.section	.rodata,"a",@progbits
	.p2align	6, 0x0
	.amdhsa_kernel _ZN7rocprim17ROCPRIM_400000_NS6detail44device_merge_sort_compile_time_verifier_archINS1_11comp_targetILNS1_3genE3ELNS1_11target_archE908ELNS1_3gpuE7ELNS1_3repE0EEES8_NS1_28merge_sort_block_sort_configILj256ELj4ELNS0_20block_sort_algorithmE0EEENS0_14default_configENS1_37merge_sort_block_sort_config_selectorIiNS0_10empty_typeEEENS1_38merge_sort_block_merge_config_selectorIiSE_EEEEvv
		.amdhsa_group_segment_fixed_size 0
		.amdhsa_private_segment_fixed_size 0
		.amdhsa_kernarg_size 0
		.amdhsa_user_sgpr_count 0
		.amdhsa_user_sgpr_dispatch_ptr 0
		.amdhsa_user_sgpr_queue_ptr 0
		.amdhsa_user_sgpr_kernarg_segment_ptr 0
		.amdhsa_user_sgpr_dispatch_id 0
		.amdhsa_user_sgpr_kernarg_preload_length 0
		.amdhsa_user_sgpr_kernarg_preload_offset 0
		.amdhsa_user_sgpr_private_segment_size 0
		.amdhsa_wavefront_size32 1
		.amdhsa_uses_dynamic_stack 0
		.amdhsa_enable_private_segment 0
		.amdhsa_system_sgpr_workgroup_id_x 1
		.amdhsa_system_sgpr_workgroup_id_y 0
		.amdhsa_system_sgpr_workgroup_id_z 0
		.amdhsa_system_sgpr_workgroup_info 0
		.amdhsa_system_vgpr_workitem_id 0
		.amdhsa_next_free_vgpr 1
		.amdhsa_next_free_sgpr 1
		.amdhsa_named_barrier_count 0
		.amdhsa_reserve_vcc 0
		.amdhsa_float_round_mode_32 0
		.amdhsa_float_round_mode_16_64 0
		.amdhsa_float_denorm_mode_32 3
		.amdhsa_float_denorm_mode_16_64 3
		.amdhsa_fp16_overflow 0
		.amdhsa_memory_ordered 1
		.amdhsa_forward_progress 1
		.amdhsa_inst_pref_size 1
		.amdhsa_round_robin_scheduling 0
		.amdhsa_exception_fp_ieee_invalid_op 0
		.amdhsa_exception_fp_denorm_src 0
		.amdhsa_exception_fp_ieee_div_zero 0
		.amdhsa_exception_fp_ieee_overflow 0
		.amdhsa_exception_fp_ieee_underflow 0
		.amdhsa_exception_fp_ieee_inexact 0
		.amdhsa_exception_int_div_zero 0
	.end_amdhsa_kernel
	.section	.text._ZN7rocprim17ROCPRIM_400000_NS6detail44device_merge_sort_compile_time_verifier_archINS1_11comp_targetILNS1_3genE3ELNS1_11target_archE908ELNS1_3gpuE7ELNS1_3repE0EEES8_NS1_28merge_sort_block_sort_configILj256ELj4ELNS0_20block_sort_algorithmE0EEENS0_14default_configENS1_37merge_sort_block_sort_config_selectorIiNS0_10empty_typeEEENS1_38merge_sort_block_merge_config_selectorIiSE_EEEEvv,"axG",@progbits,_ZN7rocprim17ROCPRIM_400000_NS6detail44device_merge_sort_compile_time_verifier_archINS1_11comp_targetILNS1_3genE3ELNS1_11target_archE908ELNS1_3gpuE7ELNS1_3repE0EEES8_NS1_28merge_sort_block_sort_configILj256ELj4ELNS0_20block_sort_algorithmE0EEENS0_14default_configENS1_37merge_sort_block_sort_config_selectorIiNS0_10empty_typeEEENS1_38merge_sort_block_merge_config_selectorIiSE_EEEEvv,comdat
.Lfunc_end761:
	.size	_ZN7rocprim17ROCPRIM_400000_NS6detail44device_merge_sort_compile_time_verifier_archINS1_11comp_targetILNS1_3genE3ELNS1_11target_archE908ELNS1_3gpuE7ELNS1_3repE0EEES8_NS1_28merge_sort_block_sort_configILj256ELj4ELNS0_20block_sort_algorithmE0EEENS0_14default_configENS1_37merge_sort_block_sort_config_selectorIiNS0_10empty_typeEEENS1_38merge_sort_block_merge_config_selectorIiSE_EEEEvv, .Lfunc_end761-_ZN7rocprim17ROCPRIM_400000_NS6detail44device_merge_sort_compile_time_verifier_archINS1_11comp_targetILNS1_3genE3ELNS1_11target_archE908ELNS1_3gpuE7ELNS1_3repE0EEES8_NS1_28merge_sort_block_sort_configILj256ELj4ELNS0_20block_sort_algorithmE0EEENS0_14default_configENS1_37merge_sort_block_sort_config_selectorIiNS0_10empty_typeEEENS1_38merge_sort_block_merge_config_selectorIiSE_EEEEvv
                                        ; -- End function
	.set _ZN7rocprim17ROCPRIM_400000_NS6detail44device_merge_sort_compile_time_verifier_archINS1_11comp_targetILNS1_3genE3ELNS1_11target_archE908ELNS1_3gpuE7ELNS1_3repE0EEES8_NS1_28merge_sort_block_sort_configILj256ELj4ELNS0_20block_sort_algorithmE0EEENS0_14default_configENS1_37merge_sort_block_sort_config_selectorIiNS0_10empty_typeEEENS1_38merge_sort_block_merge_config_selectorIiSE_EEEEvv.num_vgpr, 0
	.set _ZN7rocprim17ROCPRIM_400000_NS6detail44device_merge_sort_compile_time_verifier_archINS1_11comp_targetILNS1_3genE3ELNS1_11target_archE908ELNS1_3gpuE7ELNS1_3repE0EEES8_NS1_28merge_sort_block_sort_configILj256ELj4ELNS0_20block_sort_algorithmE0EEENS0_14default_configENS1_37merge_sort_block_sort_config_selectorIiNS0_10empty_typeEEENS1_38merge_sort_block_merge_config_selectorIiSE_EEEEvv.num_agpr, 0
	.set _ZN7rocprim17ROCPRIM_400000_NS6detail44device_merge_sort_compile_time_verifier_archINS1_11comp_targetILNS1_3genE3ELNS1_11target_archE908ELNS1_3gpuE7ELNS1_3repE0EEES8_NS1_28merge_sort_block_sort_configILj256ELj4ELNS0_20block_sort_algorithmE0EEENS0_14default_configENS1_37merge_sort_block_sort_config_selectorIiNS0_10empty_typeEEENS1_38merge_sort_block_merge_config_selectorIiSE_EEEEvv.numbered_sgpr, 0
	.set _ZN7rocprim17ROCPRIM_400000_NS6detail44device_merge_sort_compile_time_verifier_archINS1_11comp_targetILNS1_3genE3ELNS1_11target_archE908ELNS1_3gpuE7ELNS1_3repE0EEES8_NS1_28merge_sort_block_sort_configILj256ELj4ELNS0_20block_sort_algorithmE0EEENS0_14default_configENS1_37merge_sort_block_sort_config_selectorIiNS0_10empty_typeEEENS1_38merge_sort_block_merge_config_selectorIiSE_EEEEvv.num_named_barrier, 0
	.set _ZN7rocprim17ROCPRIM_400000_NS6detail44device_merge_sort_compile_time_verifier_archINS1_11comp_targetILNS1_3genE3ELNS1_11target_archE908ELNS1_3gpuE7ELNS1_3repE0EEES8_NS1_28merge_sort_block_sort_configILj256ELj4ELNS0_20block_sort_algorithmE0EEENS0_14default_configENS1_37merge_sort_block_sort_config_selectorIiNS0_10empty_typeEEENS1_38merge_sort_block_merge_config_selectorIiSE_EEEEvv.private_seg_size, 0
	.set _ZN7rocprim17ROCPRIM_400000_NS6detail44device_merge_sort_compile_time_verifier_archINS1_11comp_targetILNS1_3genE3ELNS1_11target_archE908ELNS1_3gpuE7ELNS1_3repE0EEES8_NS1_28merge_sort_block_sort_configILj256ELj4ELNS0_20block_sort_algorithmE0EEENS0_14default_configENS1_37merge_sort_block_sort_config_selectorIiNS0_10empty_typeEEENS1_38merge_sort_block_merge_config_selectorIiSE_EEEEvv.uses_vcc, 0
	.set _ZN7rocprim17ROCPRIM_400000_NS6detail44device_merge_sort_compile_time_verifier_archINS1_11comp_targetILNS1_3genE3ELNS1_11target_archE908ELNS1_3gpuE7ELNS1_3repE0EEES8_NS1_28merge_sort_block_sort_configILj256ELj4ELNS0_20block_sort_algorithmE0EEENS0_14default_configENS1_37merge_sort_block_sort_config_selectorIiNS0_10empty_typeEEENS1_38merge_sort_block_merge_config_selectorIiSE_EEEEvv.uses_flat_scratch, 0
	.set _ZN7rocprim17ROCPRIM_400000_NS6detail44device_merge_sort_compile_time_verifier_archINS1_11comp_targetILNS1_3genE3ELNS1_11target_archE908ELNS1_3gpuE7ELNS1_3repE0EEES8_NS1_28merge_sort_block_sort_configILj256ELj4ELNS0_20block_sort_algorithmE0EEENS0_14default_configENS1_37merge_sort_block_sort_config_selectorIiNS0_10empty_typeEEENS1_38merge_sort_block_merge_config_selectorIiSE_EEEEvv.has_dyn_sized_stack, 0
	.set _ZN7rocprim17ROCPRIM_400000_NS6detail44device_merge_sort_compile_time_verifier_archINS1_11comp_targetILNS1_3genE3ELNS1_11target_archE908ELNS1_3gpuE7ELNS1_3repE0EEES8_NS1_28merge_sort_block_sort_configILj256ELj4ELNS0_20block_sort_algorithmE0EEENS0_14default_configENS1_37merge_sort_block_sort_config_selectorIiNS0_10empty_typeEEENS1_38merge_sort_block_merge_config_selectorIiSE_EEEEvv.has_recursion, 0
	.set _ZN7rocprim17ROCPRIM_400000_NS6detail44device_merge_sort_compile_time_verifier_archINS1_11comp_targetILNS1_3genE3ELNS1_11target_archE908ELNS1_3gpuE7ELNS1_3repE0EEES8_NS1_28merge_sort_block_sort_configILj256ELj4ELNS0_20block_sort_algorithmE0EEENS0_14default_configENS1_37merge_sort_block_sort_config_selectorIiNS0_10empty_typeEEENS1_38merge_sort_block_merge_config_selectorIiSE_EEEEvv.has_indirect_call, 0
	.section	.AMDGPU.csdata,"",@progbits
; Kernel info:
; codeLenInByte = 4
; TotalNumSgprs: 0
; NumVgprs: 0
; ScratchSize: 0
; MemoryBound: 0
; FloatMode: 240
; IeeeMode: 1
; LDSByteSize: 0 bytes/workgroup (compile time only)
; SGPRBlocks: 0
; VGPRBlocks: 0
; NumSGPRsForWavesPerEU: 1
; NumVGPRsForWavesPerEU: 1
; NamedBarCnt: 0
; Occupancy: 16
; WaveLimiterHint : 0
; COMPUTE_PGM_RSRC2:SCRATCH_EN: 0
; COMPUTE_PGM_RSRC2:USER_SGPR: 0
; COMPUTE_PGM_RSRC2:TRAP_HANDLER: 0
; COMPUTE_PGM_RSRC2:TGID_X_EN: 1
; COMPUTE_PGM_RSRC2:TGID_Y_EN: 0
; COMPUTE_PGM_RSRC2:TGID_Z_EN: 0
; COMPUTE_PGM_RSRC2:TIDIG_COMP_CNT: 0
	.section	.text._ZN7rocprim17ROCPRIM_400000_NS6detail44device_merge_sort_compile_time_verifier_archINS1_11comp_targetILNS1_3genE2ELNS1_11target_archE906ELNS1_3gpuE6ELNS1_3repE0EEES8_NS1_28merge_sort_block_sort_configILj256ELj4ELNS0_20block_sort_algorithmE0EEENS0_14default_configENS1_37merge_sort_block_sort_config_selectorIiNS0_10empty_typeEEENS1_38merge_sort_block_merge_config_selectorIiSE_EEEEvv,"axG",@progbits,_ZN7rocprim17ROCPRIM_400000_NS6detail44device_merge_sort_compile_time_verifier_archINS1_11comp_targetILNS1_3genE2ELNS1_11target_archE906ELNS1_3gpuE6ELNS1_3repE0EEES8_NS1_28merge_sort_block_sort_configILj256ELj4ELNS0_20block_sort_algorithmE0EEENS0_14default_configENS1_37merge_sort_block_sort_config_selectorIiNS0_10empty_typeEEENS1_38merge_sort_block_merge_config_selectorIiSE_EEEEvv,comdat
	.protected	_ZN7rocprim17ROCPRIM_400000_NS6detail44device_merge_sort_compile_time_verifier_archINS1_11comp_targetILNS1_3genE2ELNS1_11target_archE906ELNS1_3gpuE6ELNS1_3repE0EEES8_NS1_28merge_sort_block_sort_configILj256ELj4ELNS0_20block_sort_algorithmE0EEENS0_14default_configENS1_37merge_sort_block_sort_config_selectorIiNS0_10empty_typeEEENS1_38merge_sort_block_merge_config_selectorIiSE_EEEEvv ; -- Begin function _ZN7rocprim17ROCPRIM_400000_NS6detail44device_merge_sort_compile_time_verifier_archINS1_11comp_targetILNS1_3genE2ELNS1_11target_archE906ELNS1_3gpuE6ELNS1_3repE0EEES8_NS1_28merge_sort_block_sort_configILj256ELj4ELNS0_20block_sort_algorithmE0EEENS0_14default_configENS1_37merge_sort_block_sort_config_selectorIiNS0_10empty_typeEEENS1_38merge_sort_block_merge_config_selectorIiSE_EEEEvv
	.globl	_ZN7rocprim17ROCPRIM_400000_NS6detail44device_merge_sort_compile_time_verifier_archINS1_11comp_targetILNS1_3genE2ELNS1_11target_archE906ELNS1_3gpuE6ELNS1_3repE0EEES8_NS1_28merge_sort_block_sort_configILj256ELj4ELNS0_20block_sort_algorithmE0EEENS0_14default_configENS1_37merge_sort_block_sort_config_selectorIiNS0_10empty_typeEEENS1_38merge_sort_block_merge_config_selectorIiSE_EEEEvv
	.p2align	8
	.type	_ZN7rocprim17ROCPRIM_400000_NS6detail44device_merge_sort_compile_time_verifier_archINS1_11comp_targetILNS1_3genE2ELNS1_11target_archE906ELNS1_3gpuE6ELNS1_3repE0EEES8_NS1_28merge_sort_block_sort_configILj256ELj4ELNS0_20block_sort_algorithmE0EEENS0_14default_configENS1_37merge_sort_block_sort_config_selectorIiNS0_10empty_typeEEENS1_38merge_sort_block_merge_config_selectorIiSE_EEEEvv,@function
_ZN7rocprim17ROCPRIM_400000_NS6detail44device_merge_sort_compile_time_verifier_archINS1_11comp_targetILNS1_3genE2ELNS1_11target_archE906ELNS1_3gpuE6ELNS1_3repE0EEES8_NS1_28merge_sort_block_sort_configILj256ELj4ELNS0_20block_sort_algorithmE0EEENS0_14default_configENS1_37merge_sort_block_sort_config_selectorIiNS0_10empty_typeEEENS1_38merge_sort_block_merge_config_selectorIiSE_EEEEvv: ; @_ZN7rocprim17ROCPRIM_400000_NS6detail44device_merge_sort_compile_time_verifier_archINS1_11comp_targetILNS1_3genE2ELNS1_11target_archE906ELNS1_3gpuE6ELNS1_3repE0EEES8_NS1_28merge_sort_block_sort_configILj256ELj4ELNS0_20block_sort_algorithmE0EEENS0_14default_configENS1_37merge_sort_block_sort_config_selectorIiNS0_10empty_typeEEENS1_38merge_sort_block_merge_config_selectorIiSE_EEEEvv
; %bb.0:
	s_endpgm
	.section	.rodata,"a",@progbits
	.p2align	6, 0x0
	.amdhsa_kernel _ZN7rocprim17ROCPRIM_400000_NS6detail44device_merge_sort_compile_time_verifier_archINS1_11comp_targetILNS1_3genE2ELNS1_11target_archE906ELNS1_3gpuE6ELNS1_3repE0EEES8_NS1_28merge_sort_block_sort_configILj256ELj4ELNS0_20block_sort_algorithmE0EEENS0_14default_configENS1_37merge_sort_block_sort_config_selectorIiNS0_10empty_typeEEENS1_38merge_sort_block_merge_config_selectorIiSE_EEEEvv
		.amdhsa_group_segment_fixed_size 0
		.amdhsa_private_segment_fixed_size 0
		.amdhsa_kernarg_size 0
		.amdhsa_user_sgpr_count 0
		.amdhsa_user_sgpr_dispatch_ptr 0
		.amdhsa_user_sgpr_queue_ptr 0
		.amdhsa_user_sgpr_kernarg_segment_ptr 0
		.amdhsa_user_sgpr_dispatch_id 0
		.amdhsa_user_sgpr_kernarg_preload_length 0
		.amdhsa_user_sgpr_kernarg_preload_offset 0
		.amdhsa_user_sgpr_private_segment_size 0
		.amdhsa_wavefront_size32 1
		.amdhsa_uses_dynamic_stack 0
		.amdhsa_enable_private_segment 0
		.amdhsa_system_sgpr_workgroup_id_x 1
		.amdhsa_system_sgpr_workgroup_id_y 0
		.amdhsa_system_sgpr_workgroup_id_z 0
		.amdhsa_system_sgpr_workgroup_info 0
		.amdhsa_system_vgpr_workitem_id 0
		.amdhsa_next_free_vgpr 1
		.amdhsa_next_free_sgpr 1
		.amdhsa_named_barrier_count 0
		.amdhsa_reserve_vcc 0
		.amdhsa_float_round_mode_32 0
		.amdhsa_float_round_mode_16_64 0
		.amdhsa_float_denorm_mode_32 3
		.amdhsa_float_denorm_mode_16_64 3
		.amdhsa_fp16_overflow 0
		.amdhsa_memory_ordered 1
		.amdhsa_forward_progress 1
		.amdhsa_inst_pref_size 1
		.amdhsa_round_robin_scheduling 0
		.amdhsa_exception_fp_ieee_invalid_op 0
		.amdhsa_exception_fp_denorm_src 0
		.amdhsa_exception_fp_ieee_div_zero 0
		.amdhsa_exception_fp_ieee_overflow 0
		.amdhsa_exception_fp_ieee_underflow 0
		.amdhsa_exception_fp_ieee_inexact 0
		.amdhsa_exception_int_div_zero 0
	.end_amdhsa_kernel
	.section	.text._ZN7rocprim17ROCPRIM_400000_NS6detail44device_merge_sort_compile_time_verifier_archINS1_11comp_targetILNS1_3genE2ELNS1_11target_archE906ELNS1_3gpuE6ELNS1_3repE0EEES8_NS1_28merge_sort_block_sort_configILj256ELj4ELNS0_20block_sort_algorithmE0EEENS0_14default_configENS1_37merge_sort_block_sort_config_selectorIiNS0_10empty_typeEEENS1_38merge_sort_block_merge_config_selectorIiSE_EEEEvv,"axG",@progbits,_ZN7rocprim17ROCPRIM_400000_NS6detail44device_merge_sort_compile_time_verifier_archINS1_11comp_targetILNS1_3genE2ELNS1_11target_archE906ELNS1_3gpuE6ELNS1_3repE0EEES8_NS1_28merge_sort_block_sort_configILj256ELj4ELNS0_20block_sort_algorithmE0EEENS0_14default_configENS1_37merge_sort_block_sort_config_selectorIiNS0_10empty_typeEEENS1_38merge_sort_block_merge_config_selectorIiSE_EEEEvv,comdat
.Lfunc_end762:
	.size	_ZN7rocprim17ROCPRIM_400000_NS6detail44device_merge_sort_compile_time_verifier_archINS1_11comp_targetILNS1_3genE2ELNS1_11target_archE906ELNS1_3gpuE6ELNS1_3repE0EEES8_NS1_28merge_sort_block_sort_configILj256ELj4ELNS0_20block_sort_algorithmE0EEENS0_14default_configENS1_37merge_sort_block_sort_config_selectorIiNS0_10empty_typeEEENS1_38merge_sort_block_merge_config_selectorIiSE_EEEEvv, .Lfunc_end762-_ZN7rocprim17ROCPRIM_400000_NS6detail44device_merge_sort_compile_time_verifier_archINS1_11comp_targetILNS1_3genE2ELNS1_11target_archE906ELNS1_3gpuE6ELNS1_3repE0EEES8_NS1_28merge_sort_block_sort_configILj256ELj4ELNS0_20block_sort_algorithmE0EEENS0_14default_configENS1_37merge_sort_block_sort_config_selectorIiNS0_10empty_typeEEENS1_38merge_sort_block_merge_config_selectorIiSE_EEEEvv
                                        ; -- End function
	.set _ZN7rocprim17ROCPRIM_400000_NS6detail44device_merge_sort_compile_time_verifier_archINS1_11comp_targetILNS1_3genE2ELNS1_11target_archE906ELNS1_3gpuE6ELNS1_3repE0EEES8_NS1_28merge_sort_block_sort_configILj256ELj4ELNS0_20block_sort_algorithmE0EEENS0_14default_configENS1_37merge_sort_block_sort_config_selectorIiNS0_10empty_typeEEENS1_38merge_sort_block_merge_config_selectorIiSE_EEEEvv.num_vgpr, 0
	.set _ZN7rocprim17ROCPRIM_400000_NS6detail44device_merge_sort_compile_time_verifier_archINS1_11comp_targetILNS1_3genE2ELNS1_11target_archE906ELNS1_3gpuE6ELNS1_3repE0EEES8_NS1_28merge_sort_block_sort_configILj256ELj4ELNS0_20block_sort_algorithmE0EEENS0_14default_configENS1_37merge_sort_block_sort_config_selectorIiNS0_10empty_typeEEENS1_38merge_sort_block_merge_config_selectorIiSE_EEEEvv.num_agpr, 0
	.set _ZN7rocprim17ROCPRIM_400000_NS6detail44device_merge_sort_compile_time_verifier_archINS1_11comp_targetILNS1_3genE2ELNS1_11target_archE906ELNS1_3gpuE6ELNS1_3repE0EEES8_NS1_28merge_sort_block_sort_configILj256ELj4ELNS0_20block_sort_algorithmE0EEENS0_14default_configENS1_37merge_sort_block_sort_config_selectorIiNS0_10empty_typeEEENS1_38merge_sort_block_merge_config_selectorIiSE_EEEEvv.numbered_sgpr, 0
	.set _ZN7rocprim17ROCPRIM_400000_NS6detail44device_merge_sort_compile_time_verifier_archINS1_11comp_targetILNS1_3genE2ELNS1_11target_archE906ELNS1_3gpuE6ELNS1_3repE0EEES8_NS1_28merge_sort_block_sort_configILj256ELj4ELNS0_20block_sort_algorithmE0EEENS0_14default_configENS1_37merge_sort_block_sort_config_selectorIiNS0_10empty_typeEEENS1_38merge_sort_block_merge_config_selectorIiSE_EEEEvv.num_named_barrier, 0
	.set _ZN7rocprim17ROCPRIM_400000_NS6detail44device_merge_sort_compile_time_verifier_archINS1_11comp_targetILNS1_3genE2ELNS1_11target_archE906ELNS1_3gpuE6ELNS1_3repE0EEES8_NS1_28merge_sort_block_sort_configILj256ELj4ELNS0_20block_sort_algorithmE0EEENS0_14default_configENS1_37merge_sort_block_sort_config_selectorIiNS0_10empty_typeEEENS1_38merge_sort_block_merge_config_selectorIiSE_EEEEvv.private_seg_size, 0
	.set _ZN7rocprim17ROCPRIM_400000_NS6detail44device_merge_sort_compile_time_verifier_archINS1_11comp_targetILNS1_3genE2ELNS1_11target_archE906ELNS1_3gpuE6ELNS1_3repE0EEES8_NS1_28merge_sort_block_sort_configILj256ELj4ELNS0_20block_sort_algorithmE0EEENS0_14default_configENS1_37merge_sort_block_sort_config_selectorIiNS0_10empty_typeEEENS1_38merge_sort_block_merge_config_selectorIiSE_EEEEvv.uses_vcc, 0
	.set _ZN7rocprim17ROCPRIM_400000_NS6detail44device_merge_sort_compile_time_verifier_archINS1_11comp_targetILNS1_3genE2ELNS1_11target_archE906ELNS1_3gpuE6ELNS1_3repE0EEES8_NS1_28merge_sort_block_sort_configILj256ELj4ELNS0_20block_sort_algorithmE0EEENS0_14default_configENS1_37merge_sort_block_sort_config_selectorIiNS0_10empty_typeEEENS1_38merge_sort_block_merge_config_selectorIiSE_EEEEvv.uses_flat_scratch, 0
	.set _ZN7rocprim17ROCPRIM_400000_NS6detail44device_merge_sort_compile_time_verifier_archINS1_11comp_targetILNS1_3genE2ELNS1_11target_archE906ELNS1_3gpuE6ELNS1_3repE0EEES8_NS1_28merge_sort_block_sort_configILj256ELj4ELNS0_20block_sort_algorithmE0EEENS0_14default_configENS1_37merge_sort_block_sort_config_selectorIiNS0_10empty_typeEEENS1_38merge_sort_block_merge_config_selectorIiSE_EEEEvv.has_dyn_sized_stack, 0
	.set _ZN7rocprim17ROCPRIM_400000_NS6detail44device_merge_sort_compile_time_verifier_archINS1_11comp_targetILNS1_3genE2ELNS1_11target_archE906ELNS1_3gpuE6ELNS1_3repE0EEES8_NS1_28merge_sort_block_sort_configILj256ELj4ELNS0_20block_sort_algorithmE0EEENS0_14default_configENS1_37merge_sort_block_sort_config_selectorIiNS0_10empty_typeEEENS1_38merge_sort_block_merge_config_selectorIiSE_EEEEvv.has_recursion, 0
	.set _ZN7rocprim17ROCPRIM_400000_NS6detail44device_merge_sort_compile_time_verifier_archINS1_11comp_targetILNS1_3genE2ELNS1_11target_archE906ELNS1_3gpuE6ELNS1_3repE0EEES8_NS1_28merge_sort_block_sort_configILj256ELj4ELNS0_20block_sort_algorithmE0EEENS0_14default_configENS1_37merge_sort_block_sort_config_selectorIiNS0_10empty_typeEEENS1_38merge_sort_block_merge_config_selectorIiSE_EEEEvv.has_indirect_call, 0
	.section	.AMDGPU.csdata,"",@progbits
; Kernel info:
; codeLenInByte = 4
; TotalNumSgprs: 0
; NumVgprs: 0
; ScratchSize: 0
; MemoryBound: 0
; FloatMode: 240
; IeeeMode: 1
; LDSByteSize: 0 bytes/workgroup (compile time only)
; SGPRBlocks: 0
; VGPRBlocks: 0
; NumSGPRsForWavesPerEU: 1
; NumVGPRsForWavesPerEU: 1
; NamedBarCnt: 0
; Occupancy: 16
; WaveLimiterHint : 0
; COMPUTE_PGM_RSRC2:SCRATCH_EN: 0
; COMPUTE_PGM_RSRC2:USER_SGPR: 0
; COMPUTE_PGM_RSRC2:TRAP_HANDLER: 0
; COMPUTE_PGM_RSRC2:TGID_X_EN: 1
; COMPUTE_PGM_RSRC2:TGID_Y_EN: 0
; COMPUTE_PGM_RSRC2:TGID_Z_EN: 0
; COMPUTE_PGM_RSRC2:TIDIG_COMP_CNT: 0
	.section	.text._ZN7rocprim17ROCPRIM_400000_NS6detail44device_merge_sort_compile_time_verifier_archINS1_11comp_targetILNS1_3genE10ELNS1_11target_archE1201ELNS1_3gpuE5ELNS1_3repE0EEES8_NS1_28merge_sort_block_sort_configILj256ELj4ELNS0_20block_sort_algorithmE0EEENS0_14default_configENS1_37merge_sort_block_sort_config_selectorIiNS0_10empty_typeEEENS1_38merge_sort_block_merge_config_selectorIiSE_EEEEvv,"axG",@progbits,_ZN7rocprim17ROCPRIM_400000_NS6detail44device_merge_sort_compile_time_verifier_archINS1_11comp_targetILNS1_3genE10ELNS1_11target_archE1201ELNS1_3gpuE5ELNS1_3repE0EEES8_NS1_28merge_sort_block_sort_configILj256ELj4ELNS0_20block_sort_algorithmE0EEENS0_14default_configENS1_37merge_sort_block_sort_config_selectorIiNS0_10empty_typeEEENS1_38merge_sort_block_merge_config_selectorIiSE_EEEEvv,comdat
	.protected	_ZN7rocprim17ROCPRIM_400000_NS6detail44device_merge_sort_compile_time_verifier_archINS1_11comp_targetILNS1_3genE10ELNS1_11target_archE1201ELNS1_3gpuE5ELNS1_3repE0EEES8_NS1_28merge_sort_block_sort_configILj256ELj4ELNS0_20block_sort_algorithmE0EEENS0_14default_configENS1_37merge_sort_block_sort_config_selectorIiNS0_10empty_typeEEENS1_38merge_sort_block_merge_config_selectorIiSE_EEEEvv ; -- Begin function _ZN7rocprim17ROCPRIM_400000_NS6detail44device_merge_sort_compile_time_verifier_archINS1_11comp_targetILNS1_3genE10ELNS1_11target_archE1201ELNS1_3gpuE5ELNS1_3repE0EEES8_NS1_28merge_sort_block_sort_configILj256ELj4ELNS0_20block_sort_algorithmE0EEENS0_14default_configENS1_37merge_sort_block_sort_config_selectorIiNS0_10empty_typeEEENS1_38merge_sort_block_merge_config_selectorIiSE_EEEEvv
	.globl	_ZN7rocprim17ROCPRIM_400000_NS6detail44device_merge_sort_compile_time_verifier_archINS1_11comp_targetILNS1_3genE10ELNS1_11target_archE1201ELNS1_3gpuE5ELNS1_3repE0EEES8_NS1_28merge_sort_block_sort_configILj256ELj4ELNS0_20block_sort_algorithmE0EEENS0_14default_configENS1_37merge_sort_block_sort_config_selectorIiNS0_10empty_typeEEENS1_38merge_sort_block_merge_config_selectorIiSE_EEEEvv
	.p2align	8
	.type	_ZN7rocprim17ROCPRIM_400000_NS6detail44device_merge_sort_compile_time_verifier_archINS1_11comp_targetILNS1_3genE10ELNS1_11target_archE1201ELNS1_3gpuE5ELNS1_3repE0EEES8_NS1_28merge_sort_block_sort_configILj256ELj4ELNS0_20block_sort_algorithmE0EEENS0_14default_configENS1_37merge_sort_block_sort_config_selectorIiNS0_10empty_typeEEENS1_38merge_sort_block_merge_config_selectorIiSE_EEEEvv,@function
_ZN7rocprim17ROCPRIM_400000_NS6detail44device_merge_sort_compile_time_verifier_archINS1_11comp_targetILNS1_3genE10ELNS1_11target_archE1201ELNS1_3gpuE5ELNS1_3repE0EEES8_NS1_28merge_sort_block_sort_configILj256ELj4ELNS0_20block_sort_algorithmE0EEENS0_14default_configENS1_37merge_sort_block_sort_config_selectorIiNS0_10empty_typeEEENS1_38merge_sort_block_merge_config_selectorIiSE_EEEEvv: ; @_ZN7rocprim17ROCPRIM_400000_NS6detail44device_merge_sort_compile_time_verifier_archINS1_11comp_targetILNS1_3genE10ELNS1_11target_archE1201ELNS1_3gpuE5ELNS1_3repE0EEES8_NS1_28merge_sort_block_sort_configILj256ELj4ELNS0_20block_sort_algorithmE0EEENS0_14default_configENS1_37merge_sort_block_sort_config_selectorIiNS0_10empty_typeEEENS1_38merge_sort_block_merge_config_selectorIiSE_EEEEvv
; %bb.0:
	s_endpgm
	.section	.rodata,"a",@progbits
	.p2align	6, 0x0
	.amdhsa_kernel _ZN7rocprim17ROCPRIM_400000_NS6detail44device_merge_sort_compile_time_verifier_archINS1_11comp_targetILNS1_3genE10ELNS1_11target_archE1201ELNS1_3gpuE5ELNS1_3repE0EEES8_NS1_28merge_sort_block_sort_configILj256ELj4ELNS0_20block_sort_algorithmE0EEENS0_14default_configENS1_37merge_sort_block_sort_config_selectorIiNS0_10empty_typeEEENS1_38merge_sort_block_merge_config_selectorIiSE_EEEEvv
		.amdhsa_group_segment_fixed_size 0
		.amdhsa_private_segment_fixed_size 0
		.amdhsa_kernarg_size 0
		.amdhsa_user_sgpr_count 0
		.amdhsa_user_sgpr_dispatch_ptr 0
		.amdhsa_user_sgpr_queue_ptr 0
		.amdhsa_user_sgpr_kernarg_segment_ptr 0
		.amdhsa_user_sgpr_dispatch_id 0
		.amdhsa_user_sgpr_kernarg_preload_length 0
		.amdhsa_user_sgpr_kernarg_preload_offset 0
		.amdhsa_user_sgpr_private_segment_size 0
		.amdhsa_wavefront_size32 1
		.amdhsa_uses_dynamic_stack 0
		.amdhsa_enable_private_segment 0
		.amdhsa_system_sgpr_workgroup_id_x 1
		.amdhsa_system_sgpr_workgroup_id_y 0
		.amdhsa_system_sgpr_workgroup_id_z 0
		.amdhsa_system_sgpr_workgroup_info 0
		.amdhsa_system_vgpr_workitem_id 0
		.amdhsa_next_free_vgpr 1
		.amdhsa_next_free_sgpr 1
		.amdhsa_named_barrier_count 0
		.amdhsa_reserve_vcc 0
		.amdhsa_float_round_mode_32 0
		.amdhsa_float_round_mode_16_64 0
		.amdhsa_float_denorm_mode_32 3
		.amdhsa_float_denorm_mode_16_64 3
		.amdhsa_fp16_overflow 0
		.amdhsa_memory_ordered 1
		.amdhsa_forward_progress 1
		.amdhsa_inst_pref_size 1
		.amdhsa_round_robin_scheduling 0
		.amdhsa_exception_fp_ieee_invalid_op 0
		.amdhsa_exception_fp_denorm_src 0
		.amdhsa_exception_fp_ieee_div_zero 0
		.amdhsa_exception_fp_ieee_overflow 0
		.amdhsa_exception_fp_ieee_underflow 0
		.amdhsa_exception_fp_ieee_inexact 0
		.amdhsa_exception_int_div_zero 0
	.end_amdhsa_kernel
	.section	.text._ZN7rocprim17ROCPRIM_400000_NS6detail44device_merge_sort_compile_time_verifier_archINS1_11comp_targetILNS1_3genE10ELNS1_11target_archE1201ELNS1_3gpuE5ELNS1_3repE0EEES8_NS1_28merge_sort_block_sort_configILj256ELj4ELNS0_20block_sort_algorithmE0EEENS0_14default_configENS1_37merge_sort_block_sort_config_selectorIiNS0_10empty_typeEEENS1_38merge_sort_block_merge_config_selectorIiSE_EEEEvv,"axG",@progbits,_ZN7rocprim17ROCPRIM_400000_NS6detail44device_merge_sort_compile_time_verifier_archINS1_11comp_targetILNS1_3genE10ELNS1_11target_archE1201ELNS1_3gpuE5ELNS1_3repE0EEES8_NS1_28merge_sort_block_sort_configILj256ELj4ELNS0_20block_sort_algorithmE0EEENS0_14default_configENS1_37merge_sort_block_sort_config_selectorIiNS0_10empty_typeEEENS1_38merge_sort_block_merge_config_selectorIiSE_EEEEvv,comdat
.Lfunc_end763:
	.size	_ZN7rocprim17ROCPRIM_400000_NS6detail44device_merge_sort_compile_time_verifier_archINS1_11comp_targetILNS1_3genE10ELNS1_11target_archE1201ELNS1_3gpuE5ELNS1_3repE0EEES8_NS1_28merge_sort_block_sort_configILj256ELj4ELNS0_20block_sort_algorithmE0EEENS0_14default_configENS1_37merge_sort_block_sort_config_selectorIiNS0_10empty_typeEEENS1_38merge_sort_block_merge_config_selectorIiSE_EEEEvv, .Lfunc_end763-_ZN7rocprim17ROCPRIM_400000_NS6detail44device_merge_sort_compile_time_verifier_archINS1_11comp_targetILNS1_3genE10ELNS1_11target_archE1201ELNS1_3gpuE5ELNS1_3repE0EEES8_NS1_28merge_sort_block_sort_configILj256ELj4ELNS0_20block_sort_algorithmE0EEENS0_14default_configENS1_37merge_sort_block_sort_config_selectorIiNS0_10empty_typeEEENS1_38merge_sort_block_merge_config_selectorIiSE_EEEEvv
                                        ; -- End function
	.set _ZN7rocprim17ROCPRIM_400000_NS6detail44device_merge_sort_compile_time_verifier_archINS1_11comp_targetILNS1_3genE10ELNS1_11target_archE1201ELNS1_3gpuE5ELNS1_3repE0EEES8_NS1_28merge_sort_block_sort_configILj256ELj4ELNS0_20block_sort_algorithmE0EEENS0_14default_configENS1_37merge_sort_block_sort_config_selectorIiNS0_10empty_typeEEENS1_38merge_sort_block_merge_config_selectorIiSE_EEEEvv.num_vgpr, 0
	.set _ZN7rocprim17ROCPRIM_400000_NS6detail44device_merge_sort_compile_time_verifier_archINS1_11comp_targetILNS1_3genE10ELNS1_11target_archE1201ELNS1_3gpuE5ELNS1_3repE0EEES8_NS1_28merge_sort_block_sort_configILj256ELj4ELNS0_20block_sort_algorithmE0EEENS0_14default_configENS1_37merge_sort_block_sort_config_selectorIiNS0_10empty_typeEEENS1_38merge_sort_block_merge_config_selectorIiSE_EEEEvv.num_agpr, 0
	.set _ZN7rocprim17ROCPRIM_400000_NS6detail44device_merge_sort_compile_time_verifier_archINS1_11comp_targetILNS1_3genE10ELNS1_11target_archE1201ELNS1_3gpuE5ELNS1_3repE0EEES8_NS1_28merge_sort_block_sort_configILj256ELj4ELNS0_20block_sort_algorithmE0EEENS0_14default_configENS1_37merge_sort_block_sort_config_selectorIiNS0_10empty_typeEEENS1_38merge_sort_block_merge_config_selectorIiSE_EEEEvv.numbered_sgpr, 0
	.set _ZN7rocprim17ROCPRIM_400000_NS6detail44device_merge_sort_compile_time_verifier_archINS1_11comp_targetILNS1_3genE10ELNS1_11target_archE1201ELNS1_3gpuE5ELNS1_3repE0EEES8_NS1_28merge_sort_block_sort_configILj256ELj4ELNS0_20block_sort_algorithmE0EEENS0_14default_configENS1_37merge_sort_block_sort_config_selectorIiNS0_10empty_typeEEENS1_38merge_sort_block_merge_config_selectorIiSE_EEEEvv.num_named_barrier, 0
	.set _ZN7rocprim17ROCPRIM_400000_NS6detail44device_merge_sort_compile_time_verifier_archINS1_11comp_targetILNS1_3genE10ELNS1_11target_archE1201ELNS1_3gpuE5ELNS1_3repE0EEES8_NS1_28merge_sort_block_sort_configILj256ELj4ELNS0_20block_sort_algorithmE0EEENS0_14default_configENS1_37merge_sort_block_sort_config_selectorIiNS0_10empty_typeEEENS1_38merge_sort_block_merge_config_selectorIiSE_EEEEvv.private_seg_size, 0
	.set _ZN7rocprim17ROCPRIM_400000_NS6detail44device_merge_sort_compile_time_verifier_archINS1_11comp_targetILNS1_3genE10ELNS1_11target_archE1201ELNS1_3gpuE5ELNS1_3repE0EEES8_NS1_28merge_sort_block_sort_configILj256ELj4ELNS0_20block_sort_algorithmE0EEENS0_14default_configENS1_37merge_sort_block_sort_config_selectorIiNS0_10empty_typeEEENS1_38merge_sort_block_merge_config_selectorIiSE_EEEEvv.uses_vcc, 0
	.set _ZN7rocprim17ROCPRIM_400000_NS6detail44device_merge_sort_compile_time_verifier_archINS1_11comp_targetILNS1_3genE10ELNS1_11target_archE1201ELNS1_3gpuE5ELNS1_3repE0EEES8_NS1_28merge_sort_block_sort_configILj256ELj4ELNS0_20block_sort_algorithmE0EEENS0_14default_configENS1_37merge_sort_block_sort_config_selectorIiNS0_10empty_typeEEENS1_38merge_sort_block_merge_config_selectorIiSE_EEEEvv.uses_flat_scratch, 0
	.set _ZN7rocprim17ROCPRIM_400000_NS6detail44device_merge_sort_compile_time_verifier_archINS1_11comp_targetILNS1_3genE10ELNS1_11target_archE1201ELNS1_3gpuE5ELNS1_3repE0EEES8_NS1_28merge_sort_block_sort_configILj256ELj4ELNS0_20block_sort_algorithmE0EEENS0_14default_configENS1_37merge_sort_block_sort_config_selectorIiNS0_10empty_typeEEENS1_38merge_sort_block_merge_config_selectorIiSE_EEEEvv.has_dyn_sized_stack, 0
	.set _ZN7rocprim17ROCPRIM_400000_NS6detail44device_merge_sort_compile_time_verifier_archINS1_11comp_targetILNS1_3genE10ELNS1_11target_archE1201ELNS1_3gpuE5ELNS1_3repE0EEES8_NS1_28merge_sort_block_sort_configILj256ELj4ELNS0_20block_sort_algorithmE0EEENS0_14default_configENS1_37merge_sort_block_sort_config_selectorIiNS0_10empty_typeEEENS1_38merge_sort_block_merge_config_selectorIiSE_EEEEvv.has_recursion, 0
	.set _ZN7rocprim17ROCPRIM_400000_NS6detail44device_merge_sort_compile_time_verifier_archINS1_11comp_targetILNS1_3genE10ELNS1_11target_archE1201ELNS1_3gpuE5ELNS1_3repE0EEES8_NS1_28merge_sort_block_sort_configILj256ELj4ELNS0_20block_sort_algorithmE0EEENS0_14default_configENS1_37merge_sort_block_sort_config_selectorIiNS0_10empty_typeEEENS1_38merge_sort_block_merge_config_selectorIiSE_EEEEvv.has_indirect_call, 0
	.section	.AMDGPU.csdata,"",@progbits
; Kernel info:
; codeLenInByte = 4
; TotalNumSgprs: 0
; NumVgprs: 0
; ScratchSize: 0
; MemoryBound: 0
; FloatMode: 240
; IeeeMode: 1
; LDSByteSize: 0 bytes/workgroup (compile time only)
; SGPRBlocks: 0
; VGPRBlocks: 0
; NumSGPRsForWavesPerEU: 1
; NumVGPRsForWavesPerEU: 1
; NamedBarCnt: 0
; Occupancy: 16
; WaveLimiterHint : 0
; COMPUTE_PGM_RSRC2:SCRATCH_EN: 0
; COMPUTE_PGM_RSRC2:USER_SGPR: 0
; COMPUTE_PGM_RSRC2:TRAP_HANDLER: 0
; COMPUTE_PGM_RSRC2:TGID_X_EN: 1
; COMPUTE_PGM_RSRC2:TGID_Y_EN: 0
; COMPUTE_PGM_RSRC2:TGID_Z_EN: 0
; COMPUTE_PGM_RSRC2:TIDIG_COMP_CNT: 0
	.section	.text._ZN7rocprim17ROCPRIM_400000_NS6detail44device_merge_sort_compile_time_verifier_archINS1_11comp_targetILNS1_3genE10ELNS1_11target_archE1200ELNS1_3gpuE4ELNS1_3repE0EEENS3_ILS4_10ELS5_1201ELS6_5ELS7_0EEENS1_28merge_sort_block_sort_configILj256ELj4ELNS0_20block_sort_algorithmE0EEENS0_14default_configENS1_37merge_sort_block_sort_config_selectorIiNS0_10empty_typeEEENS1_38merge_sort_block_merge_config_selectorIiSF_EEEEvv,"axG",@progbits,_ZN7rocprim17ROCPRIM_400000_NS6detail44device_merge_sort_compile_time_verifier_archINS1_11comp_targetILNS1_3genE10ELNS1_11target_archE1200ELNS1_3gpuE4ELNS1_3repE0EEENS3_ILS4_10ELS5_1201ELS6_5ELS7_0EEENS1_28merge_sort_block_sort_configILj256ELj4ELNS0_20block_sort_algorithmE0EEENS0_14default_configENS1_37merge_sort_block_sort_config_selectorIiNS0_10empty_typeEEENS1_38merge_sort_block_merge_config_selectorIiSF_EEEEvv,comdat
	.protected	_ZN7rocprim17ROCPRIM_400000_NS6detail44device_merge_sort_compile_time_verifier_archINS1_11comp_targetILNS1_3genE10ELNS1_11target_archE1200ELNS1_3gpuE4ELNS1_3repE0EEENS3_ILS4_10ELS5_1201ELS6_5ELS7_0EEENS1_28merge_sort_block_sort_configILj256ELj4ELNS0_20block_sort_algorithmE0EEENS0_14default_configENS1_37merge_sort_block_sort_config_selectorIiNS0_10empty_typeEEENS1_38merge_sort_block_merge_config_selectorIiSF_EEEEvv ; -- Begin function _ZN7rocprim17ROCPRIM_400000_NS6detail44device_merge_sort_compile_time_verifier_archINS1_11comp_targetILNS1_3genE10ELNS1_11target_archE1200ELNS1_3gpuE4ELNS1_3repE0EEENS3_ILS4_10ELS5_1201ELS6_5ELS7_0EEENS1_28merge_sort_block_sort_configILj256ELj4ELNS0_20block_sort_algorithmE0EEENS0_14default_configENS1_37merge_sort_block_sort_config_selectorIiNS0_10empty_typeEEENS1_38merge_sort_block_merge_config_selectorIiSF_EEEEvv
	.globl	_ZN7rocprim17ROCPRIM_400000_NS6detail44device_merge_sort_compile_time_verifier_archINS1_11comp_targetILNS1_3genE10ELNS1_11target_archE1200ELNS1_3gpuE4ELNS1_3repE0EEENS3_ILS4_10ELS5_1201ELS6_5ELS7_0EEENS1_28merge_sort_block_sort_configILj256ELj4ELNS0_20block_sort_algorithmE0EEENS0_14default_configENS1_37merge_sort_block_sort_config_selectorIiNS0_10empty_typeEEENS1_38merge_sort_block_merge_config_selectorIiSF_EEEEvv
	.p2align	8
	.type	_ZN7rocprim17ROCPRIM_400000_NS6detail44device_merge_sort_compile_time_verifier_archINS1_11comp_targetILNS1_3genE10ELNS1_11target_archE1200ELNS1_3gpuE4ELNS1_3repE0EEENS3_ILS4_10ELS5_1201ELS6_5ELS7_0EEENS1_28merge_sort_block_sort_configILj256ELj4ELNS0_20block_sort_algorithmE0EEENS0_14default_configENS1_37merge_sort_block_sort_config_selectorIiNS0_10empty_typeEEENS1_38merge_sort_block_merge_config_selectorIiSF_EEEEvv,@function
_ZN7rocprim17ROCPRIM_400000_NS6detail44device_merge_sort_compile_time_verifier_archINS1_11comp_targetILNS1_3genE10ELNS1_11target_archE1200ELNS1_3gpuE4ELNS1_3repE0EEENS3_ILS4_10ELS5_1201ELS6_5ELS7_0EEENS1_28merge_sort_block_sort_configILj256ELj4ELNS0_20block_sort_algorithmE0EEENS0_14default_configENS1_37merge_sort_block_sort_config_selectorIiNS0_10empty_typeEEENS1_38merge_sort_block_merge_config_selectorIiSF_EEEEvv: ; @_ZN7rocprim17ROCPRIM_400000_NS6detail44device_merge_sort_compile_time_verifier_archINS1_11comp_targetILNS1_3genE10ELNS1_11target_archE1200ELNS1_3gpuE4ELNS1_3repE0EEENS3_ILS4_10ELS5_1201ELS6_5ELS7_0EEENS1_28merge_sort_block_sort_configILj256ELj4ELNS0_20block_sort_algorithmE0EEENS0_14default_configENS1_37merge_sort_block_sort_config_selectorIiNS0_10empty_typeEEENS1_38merge_sort_block_merge_config_selectorIiSF_EEEEvv
; %bb.0:
	s_endpgm
	.section	.rodata,"a",@progbits
	.p2align	6, 0x0
	.amdhsa_kernel _ZN7rocprim17ROCPRIM_400000_NS6detail44device_merge_sort_compile_time_verifier_archINS1_11comp_targetILNS1_3genE10ELNS1_11target_archE1200ELNS1_3gpuE4ELNS1_3repE0EEENS3_ILS4_10ELS5_1201ELS6_5ELS7_0EEENS1_28merge_sort_block_sort_configILj256ELj4ELNS0_20block_sort_algorithmE0EEENS0_14default_configENS1_37merge_sort_block_sort_config_selectorIiNS0_10empty_typeEEENS1_38merge_sort_block_merge_config_selectorIiSF_EEEEvv
		.amdhsa_group_segment_fixed_size 0
		.amdhsa_private_segment_fixed_size 0
		.amdhsa_kernarg_size 0
		.amdhsa_user_sgpr_count 0
		.amdhsa_user_sgpr_dispatch_ptr 0
		.amdhsa_user_sgpr_queue_ptr 0
		.amdhsa_user_sgpr_kernarg_segment_ptr 0
		.amdhsa_user_sgpr_dispatch_id 0
		.amdhsa_user_sgpr_kernarg_preload_length 0
		.amdhsa_user_sgpr_kernarg_preload_offset 0
		.amdhsa_user_sgpr_private_segment_size 0
		.amdhsa_wavefront_size32 1
		.amdhsa_uses_dynamic_stack 0
		.amdhsa_enable_private_segment 0
		.amdhsa_system_sgpr_workgroup_id_x 1
		.amdhsa_system_sgpr_workgroup_id_y 0
		.amdhsa_system_sgpr_workgroup_id_z 0
		.amdhsa_system_sgpr_workgroup_info 0
		.amdhsa_system_vgpr_workitem_id 0
		.amdhsa_next_free_vgpr 1
		.amdhsa_next_free_sgpr 1
		.amdhsa_named_barrier_count 0
		.amdhsa_reserve_vcc 0
		.amdhsa_float_round_mode_32 0
		.amdhsa_float_round_mode_16_64 0
		.amdhsa_float_denorm_mode_32 3
		.amdhsa_float_denorm_mode_16_64 3
		.amdhsa_fp16_overflow 0
		.amdhsa_memory_ordered 1
		.amdhsa_forward_progress 1
		.amdhsa_inst_pref_size 1
		.amdhsa_round_robin_scheduling 0
		.amdhsa_exception_fp_ieee_invalid_op 0
		.amdhsa_exception_fp_denorm_src 0
		.amdhsa_exception_fp_ieee_div_zero 0
		.amdhsa_exception_fp_ieee_overflow 0
		.amdhsa_exception_fp_ieee_underflow 0
		.amdhsa_exception_fp_ieee_inexact 0
		.amdhsa_exception_int_div_zero 0
	.end_amdhsa_kernel
	.section	.text._ZN7rocprim17ROCPRIM_400000_NS6detail44device_merge_sort_compile_time_verifier_archINS1_11comp_targetILNS1_3genE10ELNS1_11target_archE1200ELNS1_3gpuE4ELNS1_3repE0EEENS3_ILS4_10ELS5_1201ELS6_5ELS7_0EEENS1_28merge_sort_block_sort_configILj256ELj4ELNS0_20block_sort_algorithmE0EEENS0_14default_configENS1_37merge_sort_block_sort_config_selectorIiNS0_10empty_typeEEENS1_38merge_sort_block_merge_config_selectorIiSF_EEEEvv,"axG",@progbits,_ZN7rocprim17ROCPRIM_400000_NS6detail44device_merge_sort_compile_time_verifier_archINS1_11comp_targetILNS1_3genE10ELNS1_11target_archE1200ELNS1_3gpuE4ELNS1_3repE0EEENS3_ILS4_10ELS5_1201ELS6_5ELS7_0EEENS1_28merge_sort_block_sort_configILj256ELj4ELNS0_20block_sort_algorithmE0EEENS0_14default_configENS1_37merge_sort_block_sort_config_selectorIiNS0_10empty_typeEEENS1_38merge_sort_block_merge_config_selectorIiSF_EEEEvv,comdat
.Lfunc_end764:
	.size	_ZN7rocprim17ROCPRIM_400000_NS6detail44device_merge_sort_compile_time_verifier_archINS1_11comp_targetILNS1_3genE10ELNS1_11target_archE1200ELNS1_3gpuE4ELNS1_3repE0EEENS3_ILS4_10ELS5_1201ELS6_5ELS7_0EEENS1_28merge_sort_block_sort_configILj256ELj4ELNS0_20block_sort_algorithmE0EEENS0_14default_configENS1_37merge_sort_block_sort_config_selectorIiNS0_10empty_typeEEENS1_38merge_sort_block_merge_config_selectorIiSF_EEEEvv, .Lfunc_end764-_ZN7rocprim17ROCPRIM_400000_NS6detail44device_merge_sort_compile_time_verifier_archINS1_11comp_targetILNS1_3genE10ELNS1_11target_archE1200ELNS1_3gpuE4ELNS1_3repE0EEENS3_ILS4_10ELS5_1201ELS6_5ELS7_0EEENS1_28merge_sort_block_sort_configILj256ELj4ELNS0_20block_sort_algorithmE0EEENS0_14default_configENS1_37merge_sort_block_sort_config_selectorIiNS0_10empty_typeEEENS1_38merge_sort_block_merge_config_selectorIiSF_EEEEvv
                                        ; -- End function
	.set _ZN7rocprim17ROCPRIM_400000_NS6detail44device_merge_sort_compile_time_verifier_archINS1_11comp_targetILNS1_3genE10ELNS1_11target_archE1200ELNS1_3gpuE4ELNS1_3repE0EEENS3_ILS4_10ELS5_1201ELS6_5ELS7_0EEENS1_28merge_sort_block_sort_configILj256ELj4ELNS0_20block_sort_algorithmE0EEENS0_14default_configENS1_37merge_sort_block_sort_config_selectorIiNS0_10empty_typeEEENS1_38merge_sort_block_merge_config_selectorIiSF_EEEEvv.num_vgpr, 0
	.set _ZN7rocprim17ROCPRIM_400000_NS6detail44device_merge_sort_compile_time_verifier_archINS1_11comp_targetILNS1_3genE10ELNS1_11target_archE1200ELNS1_3gpuE4ELNS1_3repE0EEENS3_ILS4_10ELS5_1201ELS6_5ELS7_0EEENS1_28merge_sort_block_sort_configILj256ELj4ELNS0_20block_sort_algorithmE0EEENS0_14default_configENS1_37merge_sort_block_sort_config_selectorIiNS0_10empty_typeEEENS1_38merge_sort_block_merge_config_selectorIiSF_EEEEvv.num_agpr, 0
	.set _ZN7rocprim17ROCPRIM_400000_NS6detail44device_merge_sort_compile_time_verifier_archINS1_11comp_targetILNS1_3genE10ELNS1_11target_archE1200ELNS1_3gpuE4ELNS1_3repE0EEENS3_ILS4_10ELS5_1201ELS6_5ELS7_0EEENS1_28merge_sort_block_sort_configILj256ELj4ELNS0_20block_sort_algorithmE0EEENS0_14default_configENS1_37merge_sort_block_sort_config_selectorIiNS0_10empty_typeEEENS1_38merge_sort_block_merge_config_selectorIiSF_EEEEvv.numbered_sgpr, 0
	.set _ZN7rocprim17ROCPRIM_400000_NS6detail44device_merge_sort_compile_time_verifier_archINS1_11comp_targetILNS1_3genE10ELNS1_11target_archE1200ELNS1_3gpuE4ELNS1_3repE0EEENS3_ILS4_10ELS5_1201ELS6_5ELS7_0EEENS1_28merge_sort_block_sort_configILj256ELj4ELNS0_20block_sort_algorithmE0EEENS0_14default_configENS1_37merge_sort_block_sort_config_selectorIiNS0_10empty_typeEEENS1_38merge_sort_block_merge_config_selectorIiSF_EEEEvv.num_named_barrier, 0
	.set _ZN7rocprim17ROCPRIM_400000_NS6detail44device_merge_sort_compile_time_verifier_archINS1_11comp_targetILNS1_3genE10ELNS1_11target_archE1200ELNS1_3gpuE4ELNS1_3repE0EEENS3_ILS4_10ELS5_1201ELS6_5ELS7_0EEENS1_28merge_sort_block_sort_configILj256ELj4ELNS0_20block_sort_algorithmE0EEENS0_14default_configENS1_37merge_sort_block_sort_config_selectorIiNS0_10empty_typeEEENS1_38merge_sort_block_merge_config_selectorIiSF_EEEEvv.private_seg_size, 0
	.set _ZN7rocprim17ROCPRIM_400000_NS6detail44device_merge_sort_compile_time_verifier_archINS1_11comp_targetILNS1_3genE10ELNS1_11target_archE1200ELNS1_3gpuE4ELNS1_3repE0EEENS3_ILS4_10ELS5_1201ELS6_5ELS7_0EEENS1_28merge_sort_block_sort_configILj256ELj4ELNS0_20block_sort_algorithmE0EEENS0_14default_configENS1_37merge_sort_block_sort_config_selectorIiNS0_10empty_typeEEENS1_38merge_sort_block_merge_config_selectorIiSF_EEEEvv.uses_vcc, 0
	.set _ZN7rocprim17ROCPRIM_400000_NS6detail44device_merge_sort_compile_time_verifier_archINS1_11comp_targetILNS1_3genE10ELNS1_11target_archE1200ELNS1_3gpuE4ELNS1_3repE0EEENS3_ILS4_10ELS5_1201ELS6_5ELS7_0EEENS1_28merge_sort_block_sort_configILj256ELj4ELNS0_20block_sort_algorithmE0EEENS0_14default_configENS1_37merge_sort_block_sort_config_selectorIiNS0_10empty_typeEEENS1_38merge_sort_block_merge_config_selectorIiSF_EEEEvv.uses_flat_scratch, 0
	.set _ZN7rocprim17ROCPRIM_400000_NS6detail44device_merge_sort_compile_time_verifier_archINS1_11comp_targetILNS1_3genE10ELNS1_11target_archE1200ELNS1_3gpuE4ELNS1_3repE0EEENS3_ILS4_10ELS5_1201ELS6_5ELS7_0EEENS1_28merge_sort_block_sort_configILj256ELj4ELNS0_20block_sort_algorithmE0EEENS0_14default_configENS1_37merge_sort_block_sort_config_selectorIiNS0_10empty_typeEEENS1_38merge_sort_block_merge_config_selectorIiSF_EEEEvv.has_dyn_sized_stack, 0
	.set _ZN7rocprim17ROCPRIM_400000_NS6detail44device_merge_sort_compile_time_verifier_archINS1_11comp_targetILNS1_3genE10ELNS1_11target_archE1200ELNS1_3gpuE4ELNS1_3repE0EEENS3_ILS4_10ELS5_1201ELS6_5ELS7_0EEENS1_28merge_sort_block_sort_configILj256ELj4ELNS0_20block_sort_algorithmE0EEENS0_14default_configENS1_37merge_sort_block_sort_config_selectorIiNS0_10empty_typeEEENS1_38merge_sort_block_merge_config_selectorIiSF_EEEEvv.has_recursion, 0
	.set _ZN7rocprim17ROCPRIM_400000_NS6detail44device_merge_sort_compile_time_verifier_archINS1_11comp_targetILNS1_3genE10ELNS1_11target_archE1200ELNS1_3gpuE4ELNS1_3repE0EEENS3_ILS4_10ELS5_1201ELS6_5ELS7_0EEENS1_28merge_sort_block_sort_configILj256ELj4ELNS0_20block_sort_algorithmE0EEENS0_14default_configENS1_37merge_sort_block_sort_config_selectorIiNS0_10empty_typeEEENS1_38merge_sort_block_merge_config_selectorIiSF_EEEEvv.has_indirect_call, 0
	.section	.AMDGPU.csdata,"",@progbits
; Kernel info:
; codeLenInByte = 4
; TotalNumSgprs: 0
; NumVgprs: 0
; ScratchSize: 0
; MemoryBound: 0
; FloatMode: 240
; IeeeMode: 1
; LDSByteSize: 0 bytes/workgroup (compile time only)
; SGPRBlocks: 0
; VGPRBlocks: 0
; NumSGPRsForWavesPerEU: 1
; NumVGPRsForWavesPerEU: 1
; NamedBarCnt: 0
; Occupancy: 16
; WaveLimiterHint : 0
; COMPUTE_PGM_RSRC2:SCRATCH_EN: 0
; COMPUTE_PGM_RSRC2:USER_SGPR: 0
; COMPUTE_PGM_RSRC2:TRAP_HANDLER: 0
; COMPUTE_PGM_RSRC2:TGID_X_EN: 1
; COMPUTE_PGM_RSRC2:TGID_Y_EN: 0
; COMPUTE_PGM_RSRC2:TGID_Z_EN: 0
; COMPUTE_PGM_RSRC2:TIDIG_COMP_CNT: 0
	.section	.text._ZN7rocprim17ROCPRIM_400000_NS6detail44device_merge_sort_compile_time_verifier_archINS1_11comp_targetILNS1_3genE9ELNS1_11target_archE1100ELNS1_3gpuE3ELNS1_3repE0EEES8_NS1_28merge_sort_block_sort_configILj256ELj4ELNS0_20block_sort_algorithmE0EEENS0_14default_configENS1_37merge_sort_block_sort_config_selectorIiNS0_10empty_typeEEENS1_38merge_sort_block_merge_config_selectorIiSE_EEEEvv,"axG",@progbits,_ZN7rocprim17ROCPRIM_400000_NS6detail44device_merge_sort_compile_time_verifier_archINS1_11comp_targetILNS1_3genE9ELNS1_11target_archE1100ELNS1_3gpuE3ELNS1_3repE0EEES8_NS1_28merge_sort_block_sort_configILj256ELj4ELNS0_20block_sort_algorithmE0EEENS0_14default_configENS1_37merge_sort_block_sort_config_selectorIiNS0_10empty_typeEEENS1_38merge_sort_block_merge_config_selectorIiSE_EEEEvv,comdat
	.protected	_ZN7rocprim17ROCPRIM_400000_NS6detail44device_merge_sort_compile_time_verifier_archINS1_11comp_targetILNS1_3genE9ELNS1_11target_archE1100ELNS1_3gpuE3ELNS1_3repE0EEES8_NS1_28merge_sort_block_sort_configILj256ELj4ELNS0_20block_sort_algorithmE0EEENS0_14default_configENS1_37merge_sort_block_sort_config_selectorIiNS0_10empty_typeEEENS1_38merge_sort_block_merge_config_selectorIiSE_EEEEvv ; -- Begin function _ZN7rocprim17ROCPRIM_400000_NS6detail44device_merge_sort_compile_time_verifier_archINS1_11comp_targetILNS1_3genE9ELNS1_11target_archE1100ELNS1_3gpuE3ELNS1_3repE0EEES8_NS1_28merge_sort_block_sort_configILj256ELj4ELNS0_20block_sort_algorithmE0EEENS0_14default_configENS1_37merge_sort_block_sort_config_selectorIiNS0_10empty_typeEEENS1_38merge_sort_block_merge_config_selectorIiSE_EEEEvv
	.globl	_ZN7rocprim17ROCPRIM_400000_NS6detail44device_merge_sort_compile_time_verifier_archINS1_11comp_targetILNS1_3genE9ELNS1_11target_archE1100ELNS1_3gpuE3ELNS1_3repE0EEES8_NS1_28merge_sort_block_sort_configILj256ELj4ELNS0_20block_sort_algorithmE0EEENS0_14default_configENS1_37merge_sort_block_sort_config_selectorIiNS0_10empty_typeEEENS1_38merge_sort_block_merge_config_selectorIiSE_EEEEvv
	.p2align	8
	.type	_ZN7rocprim17ROCPRIM_400000_NS6detail44device_merge_sort_compile_time_verifier_archINS1_11comp_targetILNS1_3genE9ELNS1_11target_archE1100ELNS1_3gpuE3ELNS1_3repE0EEES8_NS1_28merge_sort_block_sort_configILj256ELj4ELNS0_20block_sort_algorithmE0EEENS0_14default_configENS1_37merge_sort_block_sort_config_selectorIiNS0_10empty_typeEEENS1_38merge_sort_block_merge_config_selectorIiSE_EEEEvv,@function
_ZN7rocprim17ROCPRIM_400000_NS6detail44device_merge_sort_compile_time_verifier_archINS1_11comp_targetILNS1_3genE9ELNS1_11target_archE1100ELNS1_3gpuE3ELNS1_3repE0EEES8_NS1_28merge_sort_block_sort_configILj256ELj4ELNS0_20block_sort_algorithmE0EEENS0_14default_configENS1_37merge_sort_block_sort_config_selectorIiNS0_10empty_typeEEENS1_38merge_sort_block_merge_config_selectorIiSE_EEEEvv: ; @_ZN7rocprim17ROCPRIM_400000_NS6detail44device_merge_sort_compile_time_verifier_archINS1_11comp_targetILNS1_3genE9ELNS1_11target_archE1100ELNS1_3gpuE3ELNS1_3repE0EEES8_NS1_28merge_sort_block_sort_configILj256ELj4ELNS0_20block_sort_algorithmE0EEENS0_14default_configENS1_37merge_sort_block_sort_config_selectorIiNS0_10empty_typeEEENS1_38merge_sort_block_merge_config_selectorIiSE_EEEEvv
; %bb.0:
	s_endpgm
	.section	.rodata,"a",@progbits
	.p2align	6, 0x0
	.amdhsa_kernel _ZN7rocprim17ROCPRIM_400000_NS6detail44device_merge_sort_compile_time_verifier_archINS1_11comp_targetILNS1_3genE9ELNS1_11target_archE1100ELNS1_3gpuE3ELNS1_3repE0EEES8_NS1_28merge_sort_block_sort_configILj256ELj4ELNS0_20block_sort_algorithmE0EEENS0_14default_configENS1_37merge_sort_block_sort_config_selectorIiNS0_10empty_typeEEENS1_38merge_sort_block_merge_config_selectorIiSE_EEEEvv
		.amdhsa_group_segment_fixed_size 0
		.amdhsa_private_segment_fixed_size 0
		.amdhsa_kernarg_size 0
		.amdhsa_user_sgpr_count 0
		.amdhsa_user_sgpr_dispatch_ptr 0
		.amdhsa_user_sgpr_queue_ptr 0
		.amdhsa_user_sgpr_kernarg_segment_ptr 0
		.amdhsa_user_sgpr_dispatch_id 0
		.amdhsa_user_sgpr_kernarg_preload_length 0
		.amdhsa_user_sgpr_kernarg_preload_offset 0
		.amdhsa_user_sgpr_private_segment_size 0
		.amdhsa_wavefront_size32 1
		.amdhsa_uses_dynamic_stack 0
		.amdhsa_enable_private_segment 0
		.amdhsa_system_sgpr_workgroup_id_x 1
		.amdhsa_system_sgpr_workgroup_id_y 0
		.amdhsa_system_sgpr_workgroup_id_z 0
		.amdhsa_system_sgpr_workgroup_info 0
		.amdhsa_system_vgpr_workitem_id 0
		.amdhsa_next_free_vgpr 1
		.amdhsa_next_free_sgpr 1
		.amdhsa_named_barrier_count 0
		.amdhsa_reserve_vcc 0
		.amdhsa_float_round_mode_32 0
		.amdhsa_float_round_mode_16_64 0
		.amdhsa_float_denorm_mode_32 3
		.amdhsa_float_denorm_mode_16_64 3
		.amdhsa_fp16_overflow 0
		.amdhsa_memory_ordered 1
		.amdhsa_forward_progress 1
		.amdhsa_inst_pref_size 1
		.amdhsa_round_robin_scheduling 0
		.amdhsa_exception_fp_ieee_invalid_op 0
		.amdhsa_exception_fp_denorm_src 0
		.amdhsa_exception_fp_ieee_div_zero 0
		.amdhsa_exception_fp_ieee_overflow 0
		.amdhsa_exception_fp_ieee_underflow 0
		.amdhsa_exception_fp_ieee_inexact 0
		.amdhsa_exception_int_div_zero 0
	.end_amdhsa_kernel
	.section	.text._ZN7rocprim17ROCPRIM_400000_NS6detail44device_merge_sort_compile_time_verifier_archINS1_11comp_targetILNS1_3genE9ELNS1_11target_archE1100ELNS1_3gpuE3ELNS1_3repE0EEES8_NS1_28merge_sort_block_sort_configILj256ELj4ELNS0_20block_sort_algorithmE0EEENS0_14default_configENS1_37merge_sort_block_sort_config_selectorIiNS0_10empty_typeEEENS1_38merge_sort_block_merge_config_selectorIiSE_EEEEvv,"axG",@progbits,_ZN7rocprim17ROCPRIM_400000_NS6detail44device_merge_sort_compile_time_verifier_archINS1_11comp_targetILNS1_3genE9ELNS1_11target_archE1100ELNS1_3gpuE3ELNS1_3repE0EEES8_NS1_28merge_sort_block_sort_configILj256ELj4ELNS0_20block_sort_algorithmE0EEENS0_14default_configENS1_37merge_sort_block_sort_config_selectorIiNS0_10empty_typeEEENS1_38merge_sort_block_merge_config_selectorIiSE_EEEEvv,comdat
.Lfunc_end765:
	.size	_ZN7rocprim17ROCPRIM_400000_NS6detail44device_merge_sort_compile_time_verifier_archINS1_11comp_targetILNS1_3genE9ELNS1_11target_archE1100ELNS1_3gpuE3ELNS1_3repE0EEES8_NS1_28merge_sort_block_sort_configILj256ELj4ELNS0_20block_sort_algorithmE0EEENS0_14default_configENS1_37merge_sort_block_sort_config_selectorIiNS0_10empty_typeEEENS1_38merge_sort_block_merge_config_selectorIiSE_EEEEvv, .Lfunc_end765-_ZN7rocprim17ROCPRIM_400000_NS6detail44device_merge_sort_compile_time_verifier_archINS1_11comp_targetILNS1_3genE9ELNS1_11target_archE1100ELNS1_3gpuE3ELNS1_3repE0EEES8_NS1_28merge_sort_block_sort_configILj256ELj4ELNS0_20block_sort_algorithmE0EEENS0_14default_configENS1_37merge_sort_block_sort_config_selectorIiNS0_10empty_typeEEENS1_38merge_sort_block_merge_config_selectorIiSE_EEEEvv
                                        ; -- End function
	.set _ZN7rocprim17ROCPRIM_400000_NS6detail44device_merge_sort_compile_time_verifier_archINS1_11comp_targetILNS1_3genE9ELNS1_11target_archE1100ELNS1_3gpuE3ELNS1_3repE0EEES8_NS1_28merge_sort_block_sort_configILj256ELj4ELNS0_20block_sort_algorithmE0EEENS0_14default_configENS1_37merge_sort_block_sort_config_selectorIiNS0_10empty_typeEEENS1_38merge_sort_block_merge_config_selectorIiSE_EEEEvv.num_vgpr, 0
	.set _ZN7rocprim17ROCPRIM_400000_NS6detail44device_merge_sort_compile_time_verifier_archINS1_11comp_targetILNS1_3genE9ELNS1_11target_archE1100ELNS1_3gpuE3ELNS1_3repE0EEES8_NS1_28merge_sort_block_sort_configILj256ELj4ELNS0_20block_sort_algorithmE0EEENS0_14default_configENS1_37merge_sort_block_sort_config_selectorIiNS0_10empty_typeEEENS1_38merge_sort_block_merge_config_selectorIiSE_EEEEvv.num_agpr, 0
	.set _ZN7rocprim17ROCPRIM_400000_NS6detail44device_merge_sort_compile_time_verifier_archINS1_11comp_targetILNS1_3genE9ELNS1_11target_archE1100ELNS1_3gpuE3ELNS1_3repE0EEES8_NS1_28merge_sort_block_sort_configILj256ELj4ELNS0_20block_sort_algorithmE0EEENS0_14default_configENS1_37merge_sort_block_sort_config_selectorIiNS0_10empty_typeEEENS1_38merge_sort_block_merge_config_selectorIiSE_EEEEvv.numbered_sgpr, 0
	.set _ZN7rocprim17ROCPRIM_400000_NS6detail44device_merge_sort_compile_time_verifier_archINS1_11comp_targetILNS1_3genE9ELNS1_11target_archE1100ELNS1_3gpuE3ELNS1_3repE0EEES8_NS1_28merge_sort_block_sort_configILj256ELj4ELNS0_20block_sort_algorithmE0EEENS0_14default_configENS1_37merge_sort_block_sort_config_selectorIiNS0_10empty_typeEEENS1_38merge_sort_block_merge_config_selectorIiSE_EEEEvv.num_named_barrier, 0
	.set _ZN7rocprim17ROCPRIM_400000_NS6detail44device_merge_sort_compile_time_verifier_archINS1_11comp_targetILNS1_3genE9ELNS1_11target_archE1100ELNS1_3gpuE3ELNS1_3repE0EEES8_NS1_28merge_sort_block_sort_configILj256ELj4ELNS0_20block_sort_algorithmE0EEENS0_14default_configENS1_37merge_sort_block_sort_config_selectorIiNS0_10empty_typeEEENS1_38merge_sort_block_merge_config_selectorIiSE_EEEEvv.private_seg_size, 0
	.set _ZN7rocprim17ROCPRIM_400000_NS6detail44device_merge_sort_compile_time_verifier_archINS1_11comp_targetILNS1_3genE9ELNS1_11target_archE1100ELNS1_3gpuE3ELNS1_3repE0EEES8_NS1_28merge_sort_block_sort_configILj256ELj4ELNS0_20block_sort_algorithmE0EEENS0_14default_configENS1_37merge_sort_block_sort_config_selectorIiNS0_10empty_typeEEENS1_38merge_sort_block_merge_config_selectorIiSE_EEEEvv.uses_vcc, 0
	.set _ZN7rocprim17ROCPRIM_400000_NS6detail44device_merge_sort_compile_time_verifier_archINS1_11comp_targetILNS1_3genE9ELNS1_11target_archE1100ELNS1_3gpuE3ELNS1_3repE0EEES8_NS1_28merge_sort_block_sort_configILj256ELj4ELNS0_20block_sort_algorithmE0EEENS0_14default_configENS1_37merge_sort_block_sort_config_selectorIiNS0_10empty_typeEEENS1_38merge_sort_block_merge_config_selectorIiSE_EEEEvv.uses_flat_scratch, 0
	.set _ZN7rocprim17ROCPRIM_400000_NS6detail44device_merge_sort_compile_time_verifier_archINS1_11comp_targetILNS1_3genE9ELNS1_11target_archE1100ELNS1_3gpuE3ELNS1_3repE0EEES8_NS1_28merge_sort_block_sort_configILj256ELj4ELNS0_20block_sort_algorithmE0EEENS0_14default_configENS1_37merge_sort_block_sort_config_selectorIiNS0_10empty_typeEEENS1_38merge_sort_block_merge_config_selectorIiSE_EEEEvv.has_dyn_sized_stack, 0
	.set _ZN7rocprim17ROCPRIM_400000_NS6detail44device_merge_sort_compile_time_verifier_archINS1_11comp_targetILNS1_3genE9ELNS1_11target_archE1100ELNS1_3gpuE3ELNS1_3repE0EEES8_NS1_28merge_sort_block_sort_configILj256ELj4ELNS0_20block_sort_algorithmE0EEENS0_14default_configENS1_37merge_sort_block_sort_config_selectorIiNS0_10empty_typeEEENS1_38merge_sort_block_merge_config_selectorIiSE_EEEEvv.has_recursion, 0
	.set _ZN7rocprim17ROCPRIM_400000_NS6detail44device_merge_sort_compile_time_verifier_archINS1_11comp_targetILNS1_3genE9ELNS1_11target_archE1100ELNS1_3gpuE3ELNS1_3repE0EEES8_NS1_28merge_sort_block_sort_configILj256ELj4ELNS0_20block_sort_algorithmE0EEENS0_14default_configENS1_37merge_sort_block_sort_config_selectorIiNS0_10empty_typeEEENS1_38merge_sort_block_merge_config_selectorIiSE_EEEEvv.has_indirect_call, 0
	.section	.AMDGPU.csdata,"",@progbits
; Kernel info:
; codeLenInByte = 4
; TotalNumSgprs: 0
; NumVgprs: 0
; ScratchSize: 0
; MemoryBound: 0
; FloatMode: 240
; IeeeMode: 1
; LDSByteSize: 0 bytes/workgroup (compile time only)
; SGPRBlocks: 0
; VGPRBlocks: 0
; NumSGPRsForWavesPerEU: 1
; NumVGPRsForWavesPerEU: 1
; NamedBarCnt: 0
; Occupancy: 16
; WaveLimiterHint : 0
; COMPUTE_PGM_RSRC2:SCRATCH_EN: 0
; COMPUTE_PGM_RSRC2:USER_SGPR: 0
; COMPUTE_PGM_RSRC2:TRAP_HANDLER: 0
; COMPUTE_PGM_RSRC2:TGID_X_EN: 1
; COMPUTE_PGM_RSRC2:TGID_Y_EN: 0
; COMPUTE_PGM_RSRC2:TGID_Z_EN: 0
; COMPUTE_PGM_RSRC2:TIDIG_COMP_CNT: 0
	.section	.text._ZN7rocprim17ROCPRIM_400000_NS6detail44device_merge_sort_compile_time_verifier_archINS1_11comp_targetILNS1_3genE8ELNS1_11target_archE1030ELNS1_3gpuE2ELNS1_3repE0EEES8_NS1_28merge_sort_block_sort_configILj256ELj4ELNS0_20block_sort_algorithmE0EEENS0_14default_configENS1_37merge_sort_block_sort_config_selectorIiNS0_10empty_typeEEENS1_38merge_sort_block_merge_config_selectorIiSE_EEEEvv,"axG",@progbits,_ZN7rocprim17ROCPRIM_400000_NS6detail44device_merge_sort_compile_time_verifier_archINS1_11comp_targetILNS1_3genE8ELNS1_11target_archE1030ELNS1_3gpuE2ELNS1_3repE0EEES8_NS1_28merge_sort_block_sort_configILj256ELj4ELNS0_20block_sort_algorithmE0EEENS0_14default_configENS1_37merge_sort_block_sort_config_selectorIiNS0_10empty_typeEEENS1_38merge_sort_block_merge_config_selectorIiSE_EEEEvv,comdat
	.protected	_ZN7rocprim17ROCPRIM_400000_NS6detail44device_merge_sort_compile_time_verifier_archINS1_11comp_targetILNS1_3genE8ELNS1_11target_archE1030ELNS1_3gpuE2ELNS1_3repE0EEES8_NS1_28merge_sort_block_sort_configILj256ELj4ELNS0_20block_sort_algorithmE0EEENS0_14default_configENS1_37merge_sort_block_sort_config_selectorIiNS0_10empty_typeEEENS1_38merge_sort_block_merge_config_selectorIiSE_EEEEvv ; -- Begin function _ZN7rocprim17ROCPRIM_400000_NS6detail44device_merge_sort_compile_time_verifier_archINS1_11comp_targetILNS1_3genE8ELNS1_11target_archE1030ELNS1_3gpuE2ELNS1_3repE0EEES8_NS1_28merge_sort_block_sort_configILj256ELj4ELNS0_20block_sort_algorithmE0EEENS0_14default_configENS1_37merge_sort_block_sort_config_selectorIiNS0_10empty_typeEEENS1_38merge_sort_block_merge_config_selectorIiSE_EEEEvv
	.globl	_ZN7rocprim17ROCPRIM_400000_NS6detail44device_merge_sort_compile_time_verifier_archINS1_11comp_targetILNS1_3genE8ELNS1_11target_archE1030ELNS1_3gpuE2ELNS1_3repE0EEES8_NS1_28merge_sort_block_sort_configILj256ELj4ELNS0_20block_sort_algorithmE0EEENS0_14default_configENS1_37merge_sort_block_sort_config_selectorIiNS0_10empty_typeEEENS1_38merge_sort_block_merge_config_selectorIiSE_EEEEvv
	.p2align	8
	.type	_ZN7rocprim17ROCPRIM_400000_NS6detail44device_merge_sort_compile_time_verifier_archINS1_11comp_targetILNS1_3genE8ELNS1_11target_archE1030ELNS1_3gpuE2ELNS1_3repE0EEES8_NS1_28merge_sort_block_sort_configILj256ELj4ELNS0_20block_sort_algorithmE0EEENS0_14default_configENS1_37merge_sort_block_sort_config_selectorIiNS0_10empty_typeEEENS1_38merge_sort_block_merge_config_selectorIiSE_EEEEvv,@function
_ZN7rocprim17ROCPRIM_400000_NS6detail44device_merge_sort_compile_time_verifier_archINS1_11comp_targetILNS1_3genE8ELNS1_11target_archE1030ELNS1_3gpuE2ELNS1_3repE0EEES8_NS1_28merge_sort_block_sort_configILj256ELj4ELNS0_20block_sort_algorithmE0EEENS0_14default_configENS1_37merge_sort_block_sort_config_selectorIiNS0_10empty_typeEEENS1_38merge_sort_block_merge_config_selectorIiSE_EEEEvv: ; @_ZN7rocprim17ROCPRIM_400000_NS6detail44device_merge_sort_compile_time_verifier_archINS1_11comp_targetILNS1_3genE8ELNS1_11target_archE1030ELNS1_3gpuE2ELNS1_3repE0EEES8_NS1_28merge_sort_block_sort_configILj256ELj4ELNS0_20block_sort_algorithmE0EEENS0_14default_configENS1_37merge_sort_block_sort_config_selectorIiNS0_10empty_typeEEENS1_38merge_sort_block_merge_config_selectorIiSE_EEEEvv
; %bb.0:
	s_endpgm
	.section	.rodata,"a",@progbits
	.p2align	6, 0x0
	.amdhsa_kernel _ZN7rocprim17ROCPRIM_400000_NS6detail44device_merge_sort_compile_time_verifier_archINS1_11comp_targetILNS1_3genE8ELNS1_11target_archE1030ELNS1_3gpuE2ELNS1_3repE0EEES8_NS1_28merge_sort_block_sort_configILj256ELj4ELNS0_20block_sort_algorithmE0EEENS0_14default_configENS1_37merge_sort_block_sort_config_selectorIiNS0_10empty_typeEEENS1_38merge_sort_block_merge_config_selectorIiSE_EEEEvv
		.amdhsa_group_segment_fixed_size 0
		.amdhsa_private_segment_fixed_size 0
		.amdhsa_kernarg_size 0
		.amdhsa_user_sgpr_count 0
		.amdhsa_user_sgpr_dispatch_ptr 0
		.amdhsa_user_sgpr_queue_ptr 0
		.amdhsa_user_sgpr_kernarg_segment_ptr 0
		.amdhsa_user_sgpr_dispatch_id 0
		.amdhsa_user_sgpr_kernarg_preload_length 0
		.amdhsa_user_sgpr_kernarg_preload_offset 0
		.amdhsa_user_sgpr_private_segment_size 0
		.amdhsa_wavefront_size32 1
		.amdhsa_uses_dynamic_stack 0
		.amdhsa_enable_private_segment 0
		.amdhsa_system_sgpr_workgroup_id_x 1
		.amdhsa_system_sgpr_workgroup_id_y 0
		.amdhsa_system_sgpr_workgroup_id_z 0
		.amdhsa_system_sgpr_workgroup_info 0
		.amdhsa_system_vgpr_workitem_id 0
		.amdhsa_next_free_vgpr 1
		.amdhsa_next_free_sgpr 1
		.amdhsa_named_barrier_count 0
		.amdhsa_reserve_vcc 0
		.amdhsa_float_round_mode_32 0
		.amdhsa_float_round_mode_16_64 0
		.amdhsa_float_denorm_mode_32 3
		.amdhsa_float_denorm_mode_16_64 3
		.amdhsa_fp16_overflow 0
		.amdhsa_memory_ordered 1
		.amdhsa_forward_progress 1
		.amdhsa_inst_pref_size 1
		.amdhsa_round_robin_scheduling 0
		.amdhsa_exception_fp_ieee_invalid_op 0
		.amdhsa_exception_fp_denorm_src 0
		.amdhsa_exception_fp_ieee_div_zero 0
		.amdhsa_exception_fp_ieee_overflow 0
		.amdhsa_exception_fp_ieee_underflow 0
		.amdhsa_exception_fp_ieee_inexact 0
		.amdhsa_exception_int_div_zero 0
	.end_amdhsa_kernel
	.section	.text._ZN7rocprim17ROCPRIM_400000_NS6detail44device_merge_sort_compile_time_verifier_archINS1_11comp_targetILNS1_3genE8ELNS1_11target_archE1030ELNS1_3gpuE2ELNS1_3repE0EEES8_NS1_28merge_sort_block_sort_configILj256ELj4ELNS0_20block_sort_algorithmE0EEENS0_14default_configENS1_37merge_sort_block_sort_config_selectorIiNS0_10empty_typeEEENS1_38merge_sort_block_merge_config_selectorIiSE_EEEEvv,"axG",@progbits,_ZN7rocprim17ROCPRIM_400000_NS6detail44device_merge_sort_compile_time_verifier_archINS1_11comp_targetILNS1_3genE8ELNS1_11target_archE1030ELNS1_3gpuE2ELNS1_3repE0EEES8_NS1_28merge_sort_block_sort_configILj256ELj4ELNS0_20block_sort_algorithmE0EEENS0_14default_configENS1_37merge_sort_block_sort_config_selectorIiNS0_10empty_typeEEENS1_38merge_sort_block_merge_config_selectorIiSE_EEEEvv,comdat
.Lfunc_end766:
	.size	_ZN7rocprim17ROCPRIM_400000_NS6detail44device_merge_sort_compile_time_verifier_archINS1_11comp_targetILNS1_3genE8ELNS1_11target_archE1030ELNS1_3gpuE2ELNS1_3repE0EEES8_NS1_28merge_sort_block_sort_configILj256ELj4ELNS0_20block_sort_algorithmE0EEENS0_14default_configENS1_37merge_sort_block_sort_config_selectorIiNS0_10empty_typeEEENS1_38merge_sort_block_merge_config_selectorIiSE_EEEEvv, .Lfunc_end766-_ZN7rocprim17ROCPRIM_400000_NS6detail44device_merge_sort_compile_time_verifier_archINS1_11comp_targetILNS1_3genE8ELNS1_11target_archE1030ELNS1_3gpuE2ELNS1_3repE0EEES8_NS1_28merge_sort_block_sort_configILj256ELj4ELNS0_20block_sort_algorithmE0EEENS0_14default_configENS1_37merge_sort_block_sort_config_selectorIiNS0_10empty_typeEEENS1_38merge_sort_block_merge_config_selectorIiSE_EEEEvv
                                        ; -- End function
	.set _ZN7rocprim17ROCPRIM_400000_NS6detail44device_merge_sort_compile_time_verifier_archINS1_11comp_targetILNS1_3genE8ELNS1_11target_archE1030ELNS1_3gpuE2ELNS1_3repE0EEES8_NS1_28merge_sort_block_sort_configILj256ELj4ELNS0_20block_sort_algorithmE0EEENS0_14default_configENS1_37merge_sort_block_sort_config_selectorIiNS0_10empty_typeEEENS1_38merge_sort_block_merge_config_selectorIiSE_EEEEvv.num_vgpr, 0
	.set _ZN7rocprim17ROCPRIM_400000_NS6detail44device_merge_sort_compile_time_verifier_archINS1_11comp_targetILNS1_3genE8ELNS1_11target_archE1030ELNS1_3gpuE2ELNS1_3repE0EEES8_NS1_28merge_sort_block_sort_configILj256ELj4ELNS0_20block_sort_algorithmE0EEENS0_14default_configENS1_37merge_sort_block_sort_config_selectorIiNS0_10empty_typeEEENS1_38merge_sort_block_merge_config_selectorIiSE_EEEEvv.num_agpr, 0
	.set _ZN7rocprim17ROCPRIM_400000_NS6detail44device_merge_sort_compile_time_verifier_archINS1_11comp_targetILNS1_3genE8ELNS1_11target_archE1030ELNS1_3gpuE2ELNS1_3repE0EEES8_NS1_28merge_sort_block_sort_configILj256ELj4ELNS0_20block_sort_algorithmE0EEENS0_14default_configENS1_37merge_sort_block_sort_config_selectorIiNS0_10empty_typeEEENS1_38merge_sort_block_merge_config_selectorIiSE_EEEEvv.numbered_sgpr, 0
	.set _ZN7rocprim17ROCPRIM_400000_NS6detail44device_merge_sort_compile_time_verifier_archINS1_11comp_targetILNS1_3genE8ELNS1_11target_archE1030ELNS1_3gpuE2ELNS1_3repE0EEES8_NS1_28merge_sort_block_sort_configILj256ELj4ELNS0_20block_sort_algorithmE0EEENS0_14default_configENS1_37merge_sort_block_sort_config_selectorIiNS0_10empty_typeEEENS1_38merge_sort_block_merge_config_selectorIiSE_EEEEvv.num_named_barrier, 0
	.set _ZN7rocprim17ROCPRIM_400000_NS6detail44device_merge_sort_compile_time_verifier_archINS1_11comp_targetILNS1_3genE8ELNS1_11target_archE1030ELNS1_3gpuE2ELNS1_3repE0EEES8_NS1_28merge_sort_block_sort_configILj256ELj4ELNS0_20block_sort_algorithmE0EEENS0_14default_configENS1_37merge_sort_block_sort_config_selectorIiNS0_10empty_typeEEENS1_38merge_sort_block_merge_config_selectorIiSE_EEEEvv.private_seg_size, 0
	.set _ZN7rocprim17ROCPRIM_400000_NS6detail44device_merge_sort_compile_time_verifier_archINS1_11comp_targetILNS1_3genE8ELNS1_11target_archE1030ELNS1_3gpuE2ELNS1_3repE0EEES8_NS1_28merge_sort_block_sort_configILj256ELj4ELNS0_20block_sort_algorithmE0EEENS0_14default_configENS1_37merge_sort_block_sort_config_selectorIiNS0_10empty_typeEEENS1_38merge_sort_block_merge_config_selectorIiSE_EEEEvv.uses_vcc, 0
	.set _ZN7rocprim17ROCPRIM_400000_NS6detail44device_merge_sort_compile_time_verifier_archINS1_11comp_targetILNS1_3genE8ELNS1_11target_archE1030ELNS1_3gpuE2ELNS1_3repE0EEES8_NS1_28merge_sort_block_sort_configILj256ELj4ELNS0_20block_sort_algorithmE0EEENS0_14default_configENS1_37merge_sort_block_sort_config_selectorIiNS0_10empty_typeEEENS1_38merge_sort_block_merge_config_selectorIiSE_EEEEvv.uses_flat_scratch, 0
	.set _ZN7rocprim17ROCPRIM_400000_NS6detail44device_merge_sort_compile_time_verifier_archINS1_11comp_targetILNS1_3genE8ELNS1_11target_archE1030ELNS1_3gpuE2ELNS1_3repE0EEES8_NS1_28merge_sort_block_sort_configILj256ELj4ELNS0_20block_sort_algorithmE0EEENS0_14default_configENS1_37merge_sort_block_sort_config_selectorIiNS0_10empty_typeEEENS1_38merge_sort_block_merge_config_selectorIiSE_EEEEvv.has_dyn_sized_stack, 0
	.set _ZN7rocprim17ROCPRIM_400000_NS6detail44device_merge_sort_compile_time_verifier_archINS1_11comp_targetILNS1_3genE8ELNS1_11target_archE1030ELNS1_3gpuE2ELNS1_3repE0EEES8_NS1_28merge_sort_block_sort_configILj256ELj4ELNS0_20block_sort_algorithmE0EEENS0_14default_configENS1_37merge_sort_block_sort_config_selectorIiNS0_10empty_typeEEENS1_38merge_sort_block_merge_config_selectorIiSE_EEEEvv.has_recursion, 0
	.set _ZN7rocprim17ROCPRIM_400000_NS6detail44device_merge_sort_compile_time_verifier_archINS1_11comp_targetILNS1_3genE8ELNS1_11target_archE1030ELNS1_3gpuE2ELNS1_3repE0EEES8_NS1_28merge_sort_block_sort_configILj256ELj4ELNS0_20block_sort_algorithmE0EEENS0_14default_configENS1_37merge_sort_block_sort_config_selectorIiNS0_10empty_typeEEENS1_38merge_sort_block_merge_config_selectorIiSE_EEEEvv.has_indirect_call, 0
	.section	.AMDGPU.csdata,"",@progbits
; Kernel info:
; codeLenInByte = 4
; TotalNumSgprs: 0
; NumVgprs: 0
; ScratchSize: 0
; MemoryBound: 0
; FloatMode: 240
; IeeeMode: 1
; LDSByteSize: 0 bytes/workgroup (compile time only)
; SGPRBlocks: 0
; VGPRBlocks: 0
; NumSGPRsForWavesPerEU: 1
; NumVGPRsForWavesPerEU: 1
; NamedBarCnt: 0
; Occupancy: 16
; WaveLimiterHint : 0
; COMPUTE_PGM_RSRC2:SCRATCH_EN: 0
; COMPUTE_PGM_RSRC2:USER_SGPR: 0
; COMPUTE_PGM_RSRC2:TRAP_HANDLER: 0
; COMPUTE_PGM_RSRC2:TGID_X_EN: 1
; COMPUTE_PGM_RSRC2:TGID_Y_EN: 0
; COMPUTE_PGM_RSRC2:TGID_Z_EN: 0
; COMPUTE_PGM_RSRC2:TIDIG_COMP_CNT: 0
	.section	.text._ZN7rocprim17ROCPRIM_400000_NS6detail17trampoline_kernelINS0_14default_configENS1_38merge_sort_block_merge_config_selectorIiNS0_10empty_typeEEEZZNS1_27merge_sort_block_merge_implIS3_PiPS5_jNS1_19radix_merge_compareILb1ELb0EiNS0_19identity_decomposerEEEEE10hipError_tT0_T1_T2_jT3_P12ihipStream_tbPNSt15iterator_traitsISE_E10value_typeEPNSK_ISF_E10value_typeEPSG_NS1_7vsmem_tEENKUlT_SE_SF_SG_E_clIS8_S8_S9_S9_EESD_ST_SE_SF_SG_EUlST_E_NS1_11comp_targetILNS1_3genE0ELNS1_11target_archE4294967295ELNS1_3gpuE0ELNS1_3repE0EEENS1_48merge_mergepath_partition_config_static_selectorELNS0_4arch9wavefront6targetE0EEEvSF_,"axG",@progbits,_ZN7rocprim17ROCPRIM_400000_NS6detail17trampoline_kernelINS0_14default_configENS1_38merge_sort_block_merge_config_selectorIiNS0_10empty_typeEEEZZNS1_27merge_sort_block_merge_implIS3_PiPS5_jNS1_19radix_merge_compareILb1ELb0EiNS0_19identity_decomposerEEEEE10hipError_tT0_T1_T2_jT3_P12ihipStream_tbPNSt15iterator_traitsISE_E10value_typeEPNSK_ISF_E10value_typeEPSG_NS1_7vsmem_tEENKUlT_SE_SF_SG_E_clIS8_S8_S9_S9_EESD_ST_SE_SF_SG_EUlST_E_NS1_11comp_targetILNS1_3genE0ELNS1_11target_archE4294967295ELNS1_3gpuE0ELNS1_3repE0EEENS1_48merge_mergepath_partition_config_static_selectorELNS0_4arch9wavefront6targetE0EEEvSF_,comdat
	.protected	_ZN7rocprim17ROCPRIM_400000_NS6detail17trampoline_kernelINS0_14default_configENS1_38merge_sort_block_merge_config_selectorIiNS0_10empty_typeEEEZZNS1_27merge_sort_block_merge_implIS3_PiPS5_jNS1_19radix_merge_compareILb1ELb0EiNS0_19identity_decomposerEEEEE10hipError_tT0_T1_T2_jT3_P12ihipStream_tbPNSt15iterator_traitsISE_E10value_typeEPNSK_ISF_E10value_typeEPSG_NS1_7vsmem_tEENKUlT_SE_SF_SG_E_clIS8_S8_S9_S9_EESD_ST_SE_SF_SG_EUlST_E_NS1_11comp_targetILNS1_3genE0ELNS1_11target_archE4294967295ELNS1_3gpuE0ELNS1_3repE0EEENS1_48merge_mergepath_partition_config_static_selectorELNS0_4arch9wavefront6targetE0EEEvSF_ ; -- Begin function _ZN7rocprim17ROCPRIM_400000_NS6detail17trampoline_kernelINS0_14default_configENS1_38merge_sort_block_merge_config_selectorIiNS0_10empty_typeEEEZZNS1_27merge_sort_block_merge_implIS3_PiPS5_jNS1_19radix_merge_compareILb1ELb0EiNS0_19identity_decomposerEEEEE10hipError_tT0_T1_T2_jT3_P12ihipStream_tbPNSt15iterator_traitsISE_E10value_typeEPNSK_ISF_E10value_typeEPSG_NS1_7vsmem_tEENKUlT_SE_SF_SG_E_clIS8_S8_S9_S9_EESD_ST_SE_SF_SG_EUlST_E_NS1_11comp_targetILNS1_3genE0ELNS1_11target_archE4294967295ELNS1_3gpuE0ELNS1_3repE0EEENS1_48merge_mergepath_partition_config_static_selectorELNS0_4arch9wavefront6targetE0EEEvSF_
	.globl	_ZN7rocprim17ROCPRIM_400000_NS6detail17trampoline_kernelINS0_14default_configENS1_38merge_sort_block_merge_config_selectorIiNS0_10empty_typeEEEZZNS1_27merge_sort_block_merge_implIS3_PiPS5_jNS1_19radix_merge_compareILb1ELb0EiNS0_19identity_decomposerEEEEE10hipError_tT0_T1_T2_jT3_P12ihipStream_tbPNSt15iterator_traitsISE_E10value_typeEPNSK_ISF_E10value_typeEPSG_NS1_7vsmem_tEENKUlT_SE_SF_SG_E_clIS8_S8_S9_S9_EESD_ST_SE_SF_SG_EUlST_E_NS1_11comp_targetILNS1_3genE0ELNS1_11target_archE4294967295ELNS1_3gpuE0ELNS1_3repE0EEENS1_48merge_mergepath_partition_config_static_selectorELNS0_4arch9wavefront6targetE0EEEvSF_
	.p2align	8
	.type	_ZN7rocprim17ROCPRIM_400000_NS6detail17trampoline_kernelINS0_14default_configENS1_38merge_sort_block_merge_config_selectorIiNS0_10empty_typeEEEZZNS1_27merge_sort_block_merge_implIS3_PiPS5_jNS1_19radix_merge_compareILb1ELb0EiNS0_19identity_decomposerEEEEE10hipError_tT0_T1_T2_jT3_P12ihipStream_tbPNSt15iterator_traitsISE_E10value_typeEPNSK_ISF_E10value_typeEPSG_NS1_7vsmem_tEENKUlT_SE_SF_SG_E_clIS8_S8_S9_S9_EESD_ST_SE_SF_SG_EUlST_E_NS1_11comp_targetILNS1_3genE0ELNS1_11target_archE4294967295ELNS1_3gpuE0ELNS1_3repE0EEENS1_48merge_mergepath_partition_config_static_selectorELNS0_4arch9wavefront6targetE0EEEvSF_,@function
_ZN7rocprim17ROCPRIM_400000_NS6detail17trampoline_kernelINS0_14default_configENS1_38merge_sort_block_merge_config_selectorIiNS0_10empty_typeEEEZZNS1_27merge_sort_block_merge_implIS3_PiPS5_jNS1_19radix_merge_compareILb1ELb0EiNS0_19identity_decomposerEEEEE10hipError_tT0_T1_T2_jT3_P12ihipStream_tbPNSt15iterator_traitsISE_E10value_typeEPNSK_ISF_E10value_typeEPSG_NS1_7vsmem_tEENKUlT_SE_SF_SG_E_clIS8_S8_S9_S9_EESD_ST_SE_SF_SG_EUlST_E_NS1_11comp_targetILNS1_3genE0ELNS1_11target_archE4294967295ELNS1_3gpuE0ELNS1_3repE0EEENS1_48merge_mergepath_partition_config_static_selectorELNS0_4arch9wavefront6targetE0EEEvSF_: ; @_ZN7rocprim17ROCPRIM_400000_NS6detail17trampoline_kernelINS0_14default_configENS1_38merge_sort_block_merge_config_selectorIiNS0_10empty_typeEEEZZNS1_27merge_sort_block_merge_implIS3_PiPS5_jNS1_19radix_merge_compareILb1ELb0EiNS0_19identity_decomposerEEEEE10hipError_tT0_T1_T2_jT3_P12ihipStream_tbPNSt15iterator_traitsISE_E10value_typeEPNSK_ISF_E10value_typeEPSG_NS1_7vsmem_tEENKUlT_SE_SF_SG_E_clIS8_S8_S9_S9_EESD_ST_SE_SF_SG_EUlST_E_NS1_11comp_targetILNS1_3genE0ELNS1_11target_archE4294967295ELNS1_3gpuE0ELNS1_3repE0EEENS1_48merge_mergepath_partition_config_static_selectorELNS0_4arch9wavefront6targetE0EEEvSF_
; %bb.0:
	s_load_b32 s2, s[0:1], 0x0
	s_bfe_u32 s3, ttmp6, 0x4000c
	s_and_b32 s4, ttmp6, 15
	s_add_co_i32 s3, s3, 1
	s_getreg_b32 s5, hwreg(HW_REG_IB_STS2, 6, 4)
	s_mul_i32 s3, ttmp9, s3
	s_delay_alu instid0(SALU_CYCLE_1) | instskip(SKIP_2) | instid1(SALU_CYCLE_1)
	s_add_co_i32 s4, s4, s3
	s_cmp_eq_u32 s5, 0
	s_cselect_b32 s3, ttmp9, s4
	v_lshl_or_b32 v8, s3, 7, v0
	s_wait_kmcnt 0x0
	s_delay_alu instid0(VALU_DEP_1)
	v_cmp_gt_u32_e32 vcc_lo, s2, v8
	s_and_saveexec_b32 s2, vcc_lo
	s_cbranch_execz .LBB767_6
; %bb.1:
	s_load_b64 s[2:3], s[0:1], 0x4
	s_wait_kmcnt 0x0
	s_lshr_b32 s4, s2, 9
	s_delay_alu instid0(SALU_CYCLE_1) | instskip(NEXT) | instid1(SALU_CYCLE_1)
	s_and_b32 s4, s4, 0x7ffffe
	s_sub_co_i32 s5, 0, s4
	s_add_co_i32 s4, s4, -1
	s_delay_alu instid0(SALU_CYCLE_1) | instskip(SKIP_2) | instid1(VALU_DEP_1)
	v_and_b32_e32 v1, s4, v8
	v_and_b32_e32 v0, s5, v8
	s_mov_b32 s4, exec_lo
	v_dual_lshlrev_b32 v1, 10, v1 :: v_dual_lshlrev_b32 v0, 10, v0
	s_delay_alu instid0(VALU_DEP_1) | instskip(SKIP_1) | instid1(VALU_DEP_2)
	v_add_min_u32_e64 v2, v0, s2, s3
	v_min_u32_e32 v0, s3, v0
	v_add_min_u32_e64 v3, v2, s2, s3
	s_load_b64 s[2:3], s[0:1], 0x20
	s_delay_alu instid0(VALU_DEP_1) | instskip(NEXT) | instid1(VALU_DEP_1)
	v_dual_sub_nc_u32 v4, v3, v0 :: v_dual_sub_nc_u32 v3, v3, v2
	v_min_u32_e32 v10, v4, v1
	v_sub_nc_u32_e32 v1, v2, v0
	s_delay_alu instid0(VALU_DEP_2) | instskip(NEXT) | instid1(VALU_DEP_2)
	v_sub_nc_u32_e64 v9, v10, v3 clamp
	v_min_u32_e32 v11, v10, v1
	s_delay_alu instid0(VALU_DEP_1)
	v_cmpx_lt_u32_e64 v9, v11
	s_cbranch_execz .LBB767_5
; %bb.2:
	s_wait_xcnt 0x0
	s_load_b64 s[0:1], s[0:1], 0x10
	v_mov_b32_e32 v3, 0
	s_delay_alu instid0(VALU_DEP_1) | instskip(SKIP_1) | instid1(VALU_DEP_1)
	v_mov_b32_e32 v1, v3
	s_wait_kmcnt 0x0
	v_lshl_add_u64 v[4:5], v[0:1], 2, s[0:1]
	v_lshl_add_u64 v[6:7], v[2:3], 2, s[0:1]
	s_mov_b32 s0, 0
.LBB767_3:                              ; =>This Inner Loop Header: Depth=1
	v_add_nc_u32_e32 v1, v11, v9
	s_delay_alu instid0(VALU_DEP_1) | instskip(NEXT) | instid1(VALU_DEP_1)
	v_dual_mov_b32 v13, v3 :: v_dual_lshrrev_b32 v2, 1, v1
	v_xad_u32 v12, v2, -1, v10
	v_lshl_add_u64 v[14:15], v[2:3], 2, v[4:5]
	s_delay_alu instid0(VALU_DEP_2)
	v_lshl_add_u64 v[12:13], v[12:13], 2, v[6:7]
	s_clause 0x1
	global_load_b32 v1, v[14:15], off
	global_load_b32 v16, v[12:13], off
	s_wait_xcnt 0x0
	v_add_nc_u32_e32 v12, 1, v2
	s_wait_loadcnt 0x0
	v_cmp_gt_i32_e32 vcc_lo, v16, v1
	s_delay_alu instid0(VALU_DEP_2) | instskip(NEXT) | instid1(VALU_DEP_1)
	v_dual_cndmask_b32 v11, v11, v2, vcc_lo :: v_dual_cndmask_b32 v9, v12, v9, vcc_lo
	v_cmp_ge_u32_e32 vcc_lo, v9, v11
	s_or_b32 s0, vcc_lo, s0
	s_delay_alu instid0(SALU_CYCLE_1)
	s_and_not1_b32 exec_lo, exec_lo, s0
	s_cbranch_execnz .LBB767_3
; %bb.4:
	s_or_b32 exec_lo, exec_lo, s0
.LBB767_5:
	s_delay_alu instid0(SALU_CYCLE_1)
	s_or_b32 exec_lo, exec_lo, s4
	v_add_nc_u32_e32 v0, v9, v0
	s_wait_kmcnt 0x0
	global_store_b32 v8, v0, s[2:3] scale_offset
.LBB767_6:
	s_endpgm
	.section	.rodata,"a",@progbits
	.p2align	6, 0x0
	.amdhsa_kernel _ZN7rocprim17ROCPRIM_400000_NS6detail17trampoline_kernelINS0_14default_configENS1_38merge_sort_block_merge_config_selectorIiNS0_10empty_typeEEEZZNS1_27merge_sort_block_merge_implIS3_PiPS5_jNS1_19radix_merge_compareILb1ELb0EiNS0_19identity_decomposerEEEEE10hipError_tT0_T1_T2_jT3_P12ihipStream_tbPNSt15iterator_traitsISE_E10value_typeEPNSK_ISF_E10value_typeEPSG_NS1_7vsmem_tEENKUlT_SE_SF_SG_E_clIS8_S8_S9_S9_EESD_ST_SE_SF_SG_EUlST_E_NS1_11comp_targetILNS1_3genE0ELNS1_11target_archE4294967295ELNS1_3gpuE0ELNS1_3repE0EEENS1_48merge_mergepath_partition_config_static_selectorELNS0_4arch9wavefront6targetE0EEEvSF_
		.amdhsa_group_segment_fixed_size 0
		.amdhsa_private_segment_fixed_size 0
		.amdhsa_kernarg_size 40
		.amdhsa_user_sgpr_count 2
		.amdhsa_user_sgpr_dispatch_ptr 0
		.amdhsa_user_sgpr_queue_ptr 0
		.amdhsa_user_sgpr_kernarg_segment_ptr 1
		.amdhsa_user_sgpr_dispatch_id 0
		.amdhsa_user_sgpr_kernarg_preload_length 0
		.amdhsa_user_sgpr_kernarg_preload_offset 0
		.amdhsa_user_sgpr_private_segment_size 0
		.amdhsa_wavefront_size32 1
		.amdhsa_uses_dynamic_stack 0
		.amdhsa_enable_private_segment 0
		.amdhsa_system_sgpr_workgroup_id_x 1
		.amdhsa_system_sgpr_workgroup_id_y 0
		.amdhsa_system_sgpr_workgroup_id_z 0
		.amdhsa_system_sgpr_workgroup_info 0
		.amdhsa_system_vgpr_workitem_id 0
		.amdhsa_next_free_vgpr 17
		.amdhsa_next_free_sgpr 6
		.amdhsa_named_barrier_count 0
		.amdhsa_reserve_vcc 1
		.amdhsa_float_round_mode_32 0
		.amdhsa_float_round_mode_16_64 0
		.amdhsa_float_denorm_mode_32 3
		.amdhsa_float_denorm_mode_16_64 3
		.amdhsa_fp16_overflow 0
		.amdhsa_memory_ordered 1
		.amdhsa_forward_progress 1
		.amdhsa_inst_pref_size 4
		.amdhsa_round_robin_scheduling 0
		.amdhsa_exception_fp_ieee_invalid_op 0
		.amdhsa_exception_fp_denorm_src 0
		.amdhsa_exception_fp_ieee_div_zero 0
		.amdhsa_exception_fp_ieee_overflow 0
		.amdhsa_exception_fp_ieee_underflow 0
		.amdhsa_exception_fp_ieee_inexact 0
		.amdhsa_exception_int_div_zero 0
	.end_amdhsa_kernel
	.section	.text._ZN7rocprim17ROCPRIM_400000_NS6detail17trampoline_kernelINS0_14default_configENS1_38merge_sort_block_merge_config_selectorIiNS0_10empty_typeEEEZZNS1_27merge_sort_block_merge_implIS3_PiPS5_jNS1_19radix_merge_compareILb1ELb0EiNS0_19identity_decomposerEEEEE10hipError_tT0_T1_T2_jT3_P12ihipStream_tbPNSt15iterator_traitsISE_E10value_typeEPNSK_ISF_E10value_typeEPSG_NS1_7vsmem_tEENKUlT_SE_SF_SG_E_clIS8_S8_S9_S9_EESD_ST_SE_SF_SG_EUlST_E_NS1_11comp_targetILNS1_3genE0ELNS1_11target_archE4294967295ELNS1_3gpuE0ELNS1_3repE0EEENS1_48merge_mergepath_partition_config_static_selectorELNS0_4arch9wavefront6targetE0EEEvSF_,"axG",@progbits,_ZN7rocprim17ROCPRIM_400000_NS6detail17trampoline_kernelINS0_14default_configENS1_38merge_sort_block_merge_config_selectorIiNS0_10empty_typeEEEZZNS1_27merge_sort_block_merge_implIS3_PiPS5_jNS1_19radix_merge_compareILb1ELb0EiNS0_19identity_decomposerEEEEE10hipError_tT0_T1_T2_jT3_P12ihipStream_tbPNSt15iterator_traitsISE_E10value_typeEPNSK_ISF_E10value_typeEPSG_NS1_7vsmem_tEENKUlT_SE_SF_SG_E_clIS8_S8_S9_S9_EESD_ST_SE_SF_SG_EUlST_E_NS1_11comp_targetILNS1_3genE0ELNS1_11target_archE4294967295ELNS1_3gpuE0ELNS1_3repE0EEENS1_48merge_mergepath_partition_config_static_selectorELNS0_4arch9wavefront6targetE0EEEvSF_,comdat
.Lfunc_end767:
	.size	_ZN7rocprim17ROCPRIM_400000_NS6detail17trampoline_kernelINS0_14default_configENS1_38merge_sort_block_merge_config_selectorIiNS0_10empty_typeEEEZZNS1_27merge_sort_block_merge_implIS3_PiPS5_jNS1_19radix_merge_compareILb1ELb0EiNS0_19identity_decomposerEEEEE10hipError_tT0_T1_T2_jT3_P12ihipStream_tbPNSt15iterator_traitsISE_E10value_typeEPNSK_ISF_E10value_typeEPSG_NS1_7vsmem_tEENKUlT_SE_SF_SG_E_clIS8_S8_S9_S9_EESD_ST_SE_SF_SG_EUlST_E_NS1_11comp_targetILNS1_3genE0ELNS1_11target_archE4294967295ELNS1_3gpuE0ELNS1_3repE0EEENS1_48merge_mergepath_partition_config_static_selectorELNS0_4arch9wavefront6targetE0EEEvSF_, .Lfunc_end767-_ZN7rocprim17ROCPRIM_400000_NS6detail17trampoline_kernelINS0_14default_configENS1_38merge_sort_block_merge_config_selectorIiNS0_10empty_typeEEEZZNS1_27merge_sort_block_merge_implIS3_PiPS5_jNS1_19radix_merge_compareILb1ELb0EiNS0_19identity_decomposerEEEEE10hipError_tT0_T1_T2_jT3_P12ihipStream_tbPNSt15iterator_traitsISE_E10value_typeEPNSK_ISF_E10value_typeEPSG_NS1_7vsmem_tEENKUlT_SE_SF_SG_E_clIS8_S8_S9_S9_EESD_ST_SE_SF_SG_EUlST_E_NS1_11comp_targetILNS1_3genE0ELNS1_11target_archE4294967295ELNS1_3gpuE0ELNS1_3repE0EEENS1_48merge_mergepath_partition_config_static_selectorELNS0_4arch9wavefront6targetE0EEEvSF_
                                        ; -- End function
	.set _ZN7rocprim17ROCPRIM_400000_NS6detail17trampoline_kernelINS0_14default_configENS1_38merge_sort_block_merge_config_selectorIiNS0_10empty_typeEEEZZNS1_27merge_sort_block_merge_implIS3_PiPS5_jNS1_19radix_merge_compareILb1ELb0EiNS0_19identity_decomposerEEEEE10hipError_tT0_T1_T2_jT3_P12ihipStream_tbPNSt15iterator_traitsISE_E10value_typeEPNSK_ISF_E10value_typeEPSG_NS1_7vsmem_tEENKUlT_SE_SF_SG_E_clIS8_S8_S9_S9_EESD_ST_SE_SF_SG_EUlST_E_NS1_11comp_targetILNS1_3genE0ELNS1_11target_archE4294967295ELNS1_3gpuE0ELNS1_3repE0EEENS1_48merge_mergepath_partition_config_static_selectorELNS0_4arch9wavefront6targetE0EEEvSF_.num_vgpr, 17
	.set _ZN7rocprim17ROCPRIM_400000_NS6detail17trampoline_kernelINS0_14default_configENS1_38merge_sort_block_merge_config_selectorIiNS0_10empty_typeEEEZZNS1_27merge_sort_block_merge_implIS3_PiPS5_jNS1_19radix_merge_compareILb1ELb0EiNS0_19identity_decomposerEEEEE10hipError_tT0_T1_T2_jT3_P12ihipStream_tbPNSt15iterator_traitsISE_E10value_typeEPNSK_ISF_E10value_typeEPSG_NS1_7vsmem_tEENKUlT_SE_SF_SG_E_clIS8_S8_S9_S9_EESD_ST_SE_SF_SG_EUlST_E_NS1_11comp_targetILNS1_3genE0ELNS1_11target_archE4294967295ELNS1_3gpuE0ELNS1_3repE0EEENS1_48merge_mergepath_partition_config_static_selectorELNS0_4arch9wavefront6targetE0EEEvSF_.num_agpr, 0
	.set _ZN7rocprim17ROCPRIM_400000_NS6detail17trampoline_kernelINS0_14default_configENS1_38merge_sort_block_merge_config_selectorIiNS0_10empty_typeEEEZZNS1_27merge_sort_block_merge_implIS3_PiPS5_jNS1_19radix_merge_compareILb1ELb0EiNS0_19identity_decomposerEEEEE10hipError_tT0_T1_T2_jT3_P12ihipStream_tbPNSt15iterator_traitsISE_E10value_typeEPNSK_ISF_E10value_typeEPSG_NS1_7vsmem_tEENKUlT_SE_SF_SG_E_clIS8_S8_S9_S9_EESD_ST_SE_SF_SG_EUlST_E_NS1_11comp_targetILNS1_3genE0ELNS1_11target_archE4294967295ELNS1_3gpuE0ELNS1_3repE0EEENS1_48merge_mergepath_partition_config_static_selectorELNS0_4arch9wavefront6targetE0EEEvSF_.numbered_sgpr, 6
	.set _ZN7rocprim17ROCPRIM_400000_NS6detail17trampoline_kernelINS0_14default_configENS1_38merge_sort_block_merge_config_selectorIiNS0_10empty_typeEEEZZNS1_27merge_sort_block_merge_implIS3_PiPS5_jNS1_19radix_merge_compareILb1ELb0EiNS0_19identity_decomposerEEEEE10hipError_tT0_T1_T2_jT3_P12ihipStream_tbPNSt15iterator_traitsISE_E10value_typeEPNSK_ISF_E10value_typeEPSG_NS1_7vsmem_tEENKUlT_SE_SF_SG_E_clIS8_S8_S9_S9_EESD_ST_SE_SF_SG_EUlST_E_NS1_11comp_targetILNS1_3genE0ELNS1_11target_archE4294967295ELNS1_3gpuE0ELNS1_3repE0EEENS1_48merge_mergepath_partition_config_static_selectorELNS0_4arch9wavefront6targetE0EEEvSF_.num_named_barrier, 0
	.set _ZN7rocprim17ROCPRIM_400000_NS6detail17trampoline_kernelINS0_14default_configENS1_38merge_sort_block_merge_config_selectorIiNS0_10empty_typeEEEZZNS1_27merge_sort_block_merge_implIS3_PiPS5_jNS1_19radix_merge_compareILb1ELb0EiNS0_19identity_decomposerEEEEE10hipError_tT0_T1_T2_jT3_P12ihipStream_tbPNSt15iterator_traitsISE_E10value_typeEPNSK_ISF_E10value_typeEPSG_NS1_7vsmem_tEENKUlT_SE_SF_SG_E_clIS8_S8_S9_S9_EESD_ST_SE_SF_SG_EUlST_E_NS1_11comp_targetILNS1_3genE0ELNS1_11target_archE4294967295ELNS1_3gpuE0ELNS1_3repE0EEENS1_48merge_mergepath_partition_config_static_selectorELNS0_4arch9wavefront6targetE0EEEvSF_.private_seg_size, 0
	.set _ZN7rocprim17ROCPRIM_400000_NS6detail17trampoline_kernelINS0_14default_configENS1_38merge_sort_block_merge_config_selectorIiNS0_10empty_typeEEEZZNS1_27merge_sort_block_merge_implIS3_PiPS5_jNS1_19radix_merge_compareILb1ELb0EiNS0_19identity_decomposerEEEEE10hipError_tT0_T1_T2_jT3_P12ihipStream_tbPNSt15iterator_traitsISE_E10value_typeEPNSK_ISF_E10value_typeEPSG_NS1_7vsmem_tEENKUlT_SE_SF_SG_E_clIS8_S8_S9_S9_EESD_ST_SE_SF_SG_EUlST_E_NS1_11comp_targetILNS1_3genE0ELNS1_11target_archE4294967295ELNS1_3gpuE0ELNS1_3repE0EEENS1_48merge_mergepath_partition_config_static_selectorELNS0_4arch9wavefront6targetE0EEEvSF_.uses_vcc, 1
	.set _ZN7rocprim17ROCPRIM_400000_NS6detail17trampoline_kernelINS0_14default_configENS1_38merge_sort_block_merge_config_selectorIiNS0_10empty_typeEEEZZNS1_27merge_sort_block_merge_implIS3_PiPS5_jNS1_19radix_merge_compareILb1ELb0EiNS0_19identity_decomposerEEEEE10hipError_tT0_T1_T2_jT3_P12ihipStream_tbPNSt15iterator_traitsISE_E10value_typeEPNSK_ISF_E10value_typeEPSG_NS1_7vsmem_tEENKUlT_SE_SF_SG_E_clIS8_S8_S9_S9_EESD_ST_SE_SF_SG_EUlST_E_NS1_11comp_targetILNS1_3genE0ELNS1_11target_archE4294967295ELNS1_3gpuE0ELNS1_3repE0EEENS1_48merge_mergepath_partition_config_static_selectorELNS0_4arch9wavefront6targetE0EEEvSF_.uses_flat_scratch, 0
	.set _ZN7rocprim17ROCPRIM_400000_NS6detail17trampoline_kernelINS0_14default_configENS1_38merge_sort_block_merge_config_selectorIiNS0_10empty_typeEEEZZNS1_27merge_sort_block_merge_implIS3_PiPS5_jNS1_19radix_merge_compareILb1ELb0EiNS0_19identity_decomposerEEEEE10hipError_tT0_T1_T2_jT3_P12ihipStream_tbPNSt15iterator_traitsISE_E10value_typeEPNSK_ISF_E10value_typeEPSG_NS1_7vsmem_tEENKUlT_SE_SF_SG_E_clIS8_S8_S9_S9_EESD_ST_SE_SF_SG_EUlST_E_NS1_11comp_targetILNS1_3genE0ELNS1_11target_archE4294967295ELNS1_3gpuE0ELNS1_3repE0EEENS1_48merge_mergepath_partition_config_static_selectorELNS0_4arch9wavefront6targetE0EEEvSF_.has_dyn_sized_stack, 0
	.set _ZN7rocprim17ROCPRIM_400000_NS6detail17trampoline_kernelINS0_14default_configENS1_38merge_sort_block_merge_config_selectorIiNS0_10empty_typeEEEZZNS1_27merge_sort_block_merge_implIS3_PiPS5_jNS1_19radix_merge_compareILb1ELb0EiNS0_19identity_decomposerEEEEE10hipError_tT0_T1_T2_jT3_P12ihipStream_tbPNSt15iterator_traitsISE_E10value_typeEPNSK_ISF_E10value_typeEPSG_NS1_7vsmem_tEENKUlT_SE_SF_SG_E_clIS8_S8_S9_S9_EESD_ST_SE_SF_SG_EUlST_E_NS1_11comp_targetILNS1_3genE0ELNS1_11target_archE4294967295ELNS1_3gpuE0ELNS1_3repE0EEENS1_48merge_mergepath_partition_config_static_selectorELNS0_4arch9wavefront6targetE0EEEvSF_.has_recursion, 0
	.set _ZN7rocprim17ROCPRIM_400000_NS6detail17trampoline_kernelINS0_14default_configENS1_38merge_sort_block_merge_config_selectorIiNS0_10empty_typeEEEZZNS1_27merge_sort_block_merge_implIS3_PiPS5_jNS1_19radix_merge_compareILb1ELb0EiNS0_19identity_decomposerEEEEE10hipError_tT0_T1_T2_jT3_P12ihipStream_tbPNSt15iterator_traitsISE_E10value_typeEPNSK_ISF_E10value_typeEPSG_NS1_7vsmem_tEENKUlT_SE_SF_SG_E_clIS8_S8_S9_S9_EESD_ST_SE_SF_SG_EUlST_E_NS1_11comp_targetILNS1_3genE0ELNS1_11target_archE4294967295ELNS1_3gpuE0ELNS1_3repE0EEENS1_48merge_mergepath_partition_config_static_selectorELNS0_4arch9wavefront6targetE0EEEvSF_.has_indirect_call, 0
	.section	.AMDGPU.csdata,"",@progbits
; Kernel info:
; codeLenInByte = 436
; TotalNumSgprs: 8
; NumVgprs: 17
; ScratchSize: 0
; MemoryBound: 0
; FloatMode: 240
; IeeeMode: 1
; LDSByteSize: 0 bytes/workgroup (compile time only)
; SGPRBlocks: 0
; VGPRBlocks: 1
; NumSGPRsForWavesPerEU: 8
; NumVGPRsForWavesPerEU: 17
; NamedBarCnt: 0
; Occupancy: 16
; WaveLimiterHint : 0
; COMPUTE_PGM_RSRC2:SCRATCH_EN: 0
; COMPUTE_PGM_RSRC2:USER_SGPR: 2
; COMPUTE_PGM_RSRC2:TRAP_HANDLER: 0
; COMPUTE_PGM_RSRC2:TGID_X_EN: 1
; COMPUTE_PGM_RSRC2:TGID_Y_EN: 0
; COMPUTE_PGM_RSRC2:TGID_Z_EN: 0
; COMPUTE_PGM_RSRC2:TIDIG_COMP_CNT: 0
	.section	.text._ZN7rocprim17ROCPRIM_400000_NS6detail17trampoline_kernelINS0_14default_configENS1_38merge_sort_block_merge_config_selectorIiNS0_10empty_typeEEEZZNS1_27merge_sort_block_merge_implIS3_PiPS5_jNS1_19radix_merge_compareILb1ELb0EiNS0_19identity_decomposerEEEEE10hipError_tT0_T1_T2_jT3_P12ihipStream_tbPNSt15iterator_traitsISE_E10value_typeEPNSK_ISF_E10value_typeEPSG_NS1_7vsmem_tEENKUlT_SE_SF_SG_E_clIS8_S8_S9_S9_EESD_ST_SE_SF_SG_EUlST_E_NS1_11comp_targetILNS1_3genE10ELNS1_11target_archE1201ELNS1_3gpuE5ELNS1_3repE0EEENS1_48merge_mergepath_partition_config_static_selectorELNS0_4arch9wavefront6targetE0EEEvSF_,"axG",@progbits,_ZN7rocprim17ROCPRIM_400000_NS6detail17trampoline_kernelINS0_14default_configENS1_38merge_sort_block_merge_config_selectorIiNS0_10empty_typeEEEZZNS1_27merge_sort_block_merge_implIS3_PiPS5_jNS1_19radix_merge_compareILb1ELb0EiNS0_19identity_decomposerEEEEE10hipError_tT0_T1_T2_jT3_P12ihipStream_tbPNSt15iterator_traitsISE_E10value_typeEPNSK_ISF_E10value_typeEPSG_NS1_7vsmem_tEENKUlT_SE_SF_SG_E_clIS8_S8_S9_S9_EESD_ST_SE_SF_SG_EUlST_E_NS1_11comp_targetILNS1_3genE10ELNS1_11target_archE1201ELNS1_3gpuE5ELNS1_3repE0EEENS1_48merge_mergepath_partition_config_static_selectorELNS0_4arch9wavefront6targetE0EEEvSF_,comdat
	.protected	_ZN7rocprim17ROCPRIM_400000_NS6detail17trampoline_kernelINS0_14default_configENS1_38merge_sort_block_merge_config_selectorIiNS0_10empty_typeEEEZZNS1_27merge_sort_block_merge_implIS3_PiPS5_jNS1_19radix_merge_compareILb1ELb0EiNS0_19identity_decomposerEEEEE10hipError_tT0_T1_T2_jT3_P12ihipStream_tbPNSt15iterator_traitsISE_E10value_typeEPNSK_ISF_E10value_typeEPSG_NS1_7vsmem_tEENKUlT_SE_SF_SG_E_clIS8_S8_S9_S9_EESD_ST_SE_SF_SG_EUlST_E_NS1_11comp_targetILNS1_3genE10ELNS1_11target_archE1201ELNS1_3gpuE5ELNS1_3repE0EEENS1_48merge_mergepath_partition_config_static_selectorELNS0_4arch9wavefront6targetE0EEEvSF_ ; -- Begin function _ZN7rocprim17ROCPRIM_400000_NS6detail17trampoline_kernelINS0_14default_configENS1_38merge_sort_block_merge_config_selectorIiNS0_10empty_typeEEEZZNS1_27merge_sort_block_merge_implIS3_PiPS5_jNS1_19radix_merge_compareILb1ELb0EiNS0_19identity_decomposerEEEEE10hipError_tT0_T1_T2_jT3_P12ihipStream_tbPNSt15iterator_traitsISE_E10value_typeEPNSK_ISF_E10value_typeEPSG_NS1_7vsmem_tEENKUlT_SE_SF_SG_E_clIS8_S8_S9_S9_EESD_ST_SE_SF_SG_EUlST_E_NS1_11comp_targetILNS1_3genE10ELNS1_11target_archE1201ELNS1_3gpuE5ELNS1_3repE0EEENS1_48merge_mergepath_partition_config_static_selectorELNS0_4arch9wavefront6targetE0EEEvSF_
	.globl	_ZN7rocprim17ROCPRIM_400000_NS6detail17trampoline_kernelINS0_14default_configENS1_38merge_sort_block_merge_config_selectorIiNS0_10empty_typeEEEZZNS1_27merge_sort_block_merge_implIS3_PiPS5_jNS1_19radix_merge_compareILb1ELb0EiNS0_19identity_decomposerEEEEE10hipError_tT0_T1_T2_jT3_P12ihipStream_tbPNSt15iterator_traitsISE_E10value_typeEPNSK_ISF_E10value_typeEPSG_NS1_7vsmem_tEENKUlT_SE_SF_SG_E_clIS8_S8_S9_S9_EESD_ST_SE_SF_SG_EUlST_E_NS1_11comp_targetILNS1_3genE10ELNS1_11target_archE1201ELNS1_3gpuE5ELNS1_3repE0EEENS1_48merge_mergepath_partition_config_static_selectorELNS0_4arch9wavefront6targetE0EEEvSF_
	.p2align	8
	.type	_ZN7rocprim17ROCPRIM_400000_NS6detail17trampoline_kernelINS0_14default_configENS1_38merge_sort_block_merge_config_selectorIiNS0_10empty_typeEEEZZNS1_27merge_sort_block_merge_implIS3_PiPS5_jNS1_19radix_merge_compareILb1ELb0EiNS0_19identity_decomposerEEEEE10hipError_tT0_T1_T2_jT3_P12ihipStream_tbPNSt15iterator_traitsISE_E10value_typeEPNSK_ISF_E10value_typeEPSG_NS1_7vsmem_tEENKUlT_SE_SF_SG_E_clIS8_S8_S9_S9_EESD_ST_SE_SF_SG_EUlST_E_NS1_11comp_targetILNS1_3genE10ELNS1_11target_archE1201ELNS1_3gpuE5ELNS1_3repE0EEENS1_48merge_mergepath_partition_config_static_selectorELNS0_4arch9wavefront6targetE0EEEvSF_,@function
_ZN7rocprim17ROCPRIM_400000_NS6detail17trampoline_kernelINS0_14default_configENS1_38merge_sort_block_merge_config_selectorIiNS0_10empty_typeEEEZZNS1_27merge_sort_block_merge_implIS3_PiPS5_jNS1_19radix_merge_compareILb1ELb0EiNS0_19identity_decomposerEEEEE10hipError_tT0_T1_T2_jT3_P12ihipStream_tbPNSt15iterator_traitsISE_E10value_typeEPNSK_ISF_E10value_typeEPSG_NS1_7vsmem_tEENKUlT_SE_SF_SG_E_clIS8_S8_S9_S9_EESD_ST_SE_SF_SG_EUlST_E_NS1_11comp_targetILNS1_3genE10ELNS1_11target_archE1201ELNS1_3gpuE5ELNS1_3repE0EEENS1_48merge_mergepath_partition_config_static_selectorELNS0_4arch9wavefront6targetE0EEEvSF_: ; @_ZN7rocprim17ROCPRIM_400000_NS6detail17trampoline_kernelINS0_14default_configENS1_38merge_sort_block_merge_config_selectorIiNS0_10empty_typeEEEZZNS1_27merge_sort_block_merge_implIS3_PiPS5_jNS1_19radix_merge_compareILb1ELb0EiNS0_19identity_decomposerEEEEE10hipError_tT0_T1_T2_jT3_P12ihipStream_tbPNSt15iterator_traitsISE_E10value_typeEPNSK_ISF_E10value_typeEPSG_NS1_7vsmem_tEENKUlT_SE_SF_SG_E_clIS8_S8_S9_S9_EESD_ST_SE_SF_SG_EUlST_E_NS1_11comp_targetILNS1_3genE10ELNS1_11target_archE1201ELNS1_3gpuE5ELNS1_3repE0EEENS1_48merge_mergepath_partition_config_static_selectorELNS0_4arch9wavefront6targetE0EEEvSF_
; %bb.0:
	.section	.rodata,"a",@progbits
	.p2align	6, 0x0
	.amdhsa_kernel _ZN7rocprim17ROCPRIM_400000_NS6detail17trampoline_kernelINS0_14default_configENS1_38merge_sort_block_merge_config_selectorIiNS0_10empty_typeEEEZZNS1_27merge_sort_block_merge_implIS3_PiPS5_jNS1_19radix_merge_compareILb1ELb0EiNS0_19identity_decomposerEEEEE10hipError_tT0_T1_T2_jT3_P12ihipStream_tbPNSt15iterator_traitsISE_E10value_typeEPNSK_ISF_E10value_typeEPSG_NS1_7vsmem_tEENKUlT_SE_SF_SG_E_clIS8_S8_S9_S9_EESD_ST_SE_SF_SG_EUlST_E_NS1_11comp_targetILNS1_3genE10ELNS1_11target_archE1201ELNS1_3gpuE5ELNS1_3repE0EEENS1_48merge_mergepath_partition_config_static_selectorELNS0_4arch9wavefront6targetE0EEEvSF_
		.amdhsa_group_segment_fixed_size 0
		.amdhsa_private_segment_fixed_size 0
		.amdhsa_kernarg_size 40
		.amdhsa_user_sgpr_count 2
		.amdhsa_user_sgpr_dispatch_ptr 0
		.amdhsa_user_sgpr_queue_ptr 0
		.amdhsa_user_sgpr_kernarg_segment_ptr 1
		.amdhsa_user_sgpr_dispatch_id 0
		.amdhsa_user_sgpr_kernarg_preload_length 0
		.amdhsa_user_sgpr_kernarg_preload_offset 0
		.amdhsa_user_sgpr_private_segment_size 0
		.amdhsa_wavefront_size32 1
		.amdhsa_uses_dynamic_stack 0
		.amdhsa_enable_private_segment 0
		.amdhsa_system_sgpr_workgroup_id_x 1
		.amdhsa_system_sgpr_workgroup_id_y 0
		.amdhsa_system_sgpr_workgroup_id_z 0
		.amdhsa_system_sgpr_workgroup_info 0
		.amdhsa_system_vgpr_workitem_id 0
		.amdhsa_next_free_vgpr 1
		.amdhsa_next_free_sgpr 1
		.amdhsa_named_barrier_count 0
		.amdhsa_reserve_vcc 0
		.amdhsa_float_round_mode_32 0
		.amdhsa_float_round_mode_16_64 0
		.amdhsa_float_denorm_mode_32 3
		.amdhsa_float_denorm_mode_16_64 3
		.amdhsa_fp16_overflow 0
		.amdhsa_memory_ordered 1
		.amdhsa_forward_progress 1
		.amdhsa_inst_pref_size 0
		.amdhsa_round_robin_scheduling 0
		.amdhsa_exception_fp_ieee_invalid_op 0
		.amdhsa_exception_fp_denorm_src 0
		.amdhsa_exception_fp_ieee_div_zero 0
		.amdhsa_exception_fp_ieee_overflow 0
		.amdhsa_exception_fp_ieee_underflow 0
		.amdhsa_exception_fp_ieee_inexact 0
		.amdhsa_exception_int_div_zero 0
	.end_amdhsa_kernel
	.section	.text._ZN7rocprim17ROCPRIM_400000_NS6detail17trampoline_kernelINS0_14default_configENS1_38merge_sort_block_merge_config_selectorIiNS0_10empty_typeEEEZZNS1_27merge_sort_block_merge_implIS3_PiPS5_jNS1_19radix_merge_compareILb1ELb0EiNS0_19identity_decomposerEEEEE10hipError_tT0_T1_T2_jT3_P12ihipStream_tbPNSt15iterator_traitsISE_E10value_typeEPNSK_ISF_E10value_typeEPSG_NS1_7vsmem_tEENKUlT_SE_SF_SG_E_clIS8_S8_S9_S9_EESD_ST_SE_SF_SG_EUlST_E_NS1_11comp_targetILNS1_3genE10ELNS1_11target_archE1201ELNS1_3gpuE5ELNS1_3repE0EEENS1_48merge_mergepath_partition_config_static_selectorELNS0_4arch9wavefront6targetE0EEEvSF_,"axG",@progbits,_ZN7rocprim17ROCPRIM_400000_NS6detail17trampoline_kernelINS0_14default_configENS1_38merge_sort_block_merge_config_selectorIiNS0_10empty_typeEEEZZNS1_27merge_sort_block_merge_implIS3_PiPS5_jNS1_19radix_merge_compareILb1ELb0EiNS0_19identity_decomposerEEEEE10hipError_tT0_T1_T2_jT3_P12ihipStream_tbPNSt15iterator_traitsISE_E10value_typeEPNSK_ISF_E10value_typeEPSG_NS1_7vsmem_tEENKUlT_SE_SF_SG_E_clIS8_S8_S9_S9_EESD_ST_SE_SF_SG_EUlST_E_NS1_11comp_targetILNS1_3genE10ELNS1_11target_archE1201ELNS1_3gpuE5ELNS1_3repE0EEENS1_48merge_mergepath_partition_config_static_selectorELNS0_4arch9wavefront6targetE0EEEvSF_,comdat
.Lfunc_end768:
	.size	_ZN7rocprim17ROCPRIM_400000_NS6detail17trampoline_kernelINS0_14default_configENS1_38merge_sort_block_merge_config_selectorIiNS0_10empty_typeEEEZZNS1_27merge_sort_block_merge_implIS3_PiPS5_jNS1_19radix_merge_compareILb1ELb0EiNS0_19identity_decomposerEEEEE10hipError_tT0_T1_T2_jT3_P12ihipStream_tbPNSt15iterator_traitsISE_E10value_typeEPNSK_ISF_E10value_typeEPSG_NS1_7vsmem_tEENKUlT_SE_SF_SG_E_clIS8_S8_S9_S9_EESD_ST_SE_SF_SG_EUlST_E_NS1_11comp_targetILNS1_3genE10ELNS1_11target_archE1201ELNS1_3gpuE5ELNS1_3repE0EEENS1_48merge_mergepath_partition_config_static_selectorELNS0_4arch9wavefront6targetE0EEEvSF_, .Lfunc_end768-_ZN7rocprim17ROCPRIM_400000_NS6detail17trampoline_kernelINS0_14default_configENS1_38merge_sort_block_merge_config_selectorIiNS0_10empty_typeEEEZZNS1_27merge_sort_block_merge_implIS3_PiPS5_jNS1_19radix_merge_compareILb1ELb0EiNS0_19identity_decomposerEEEEE10hipError_tT0_T1_T2_jT3_P12ihipStream_tbPNSt15iterator_traitsISE_E10value_typeEPNSK_ISF_E10value_typeEPSG_NS1_7vsmem_tEENKUlT_SE_SF_SG_E_clIS8_S8_S9_S9_EESD_ST_SE_SF_SG_EUlST_E_NS1_11comp_targetILNS1_3genE10ELNS1_11target_archE1201ELNS1_3gpuE5ELNS1_3repE0EEENS1_48merge_mergepath_partition_config_static_selectorELNS0_4arch9wavefront6targetE0EEEvSF_
                                        ; -- End function
	.set _ZN7rocprim17ROCPRIM_400000_NS6detail17trampoline_kernelINS0_14default_configENS1_38merge_sort_block_merge_config_selectorIiNS0_10empty_typeEEEZZNS1_27merge_sort_block_merge_implIS3_PiPS5_jNS1_19radix_merge_compareILb1ELb0EiNS0_19identity_decomposerEEEEE10hipError_tT0_T1_T2_jT3_P12ihipStream_tbPNSt15iterator_traitsISE_E10value_typeEPNSK_ISF_E10value_typeEPSG_NS1_7vsmem_tEENKUlT_SE_SF_SG_E_clIS8_S8_S9_S9_EESD_ST_SE_SF_SG_EUlST_E_NS1_11comp_targetILNS1_3genE10ELNS1_11target_archE1201ELNS1_3gpuE5ELNS1_3repE0EEENS1_48merge_mergepath_partition_config_static_selectorELNS0_4arch9wavefront6targetE0EEEvSF_.num_vgpr, 0
	.set _ZN7rocprim17ROCPRIM_400000_NS6detail17trampoline_kernelINS0_14default_configENS1_38merge_sort_block_merge_config_selectorIiNS0_10empty_typeEEEZZNS1_27merge_sort_block_merge_implIS3_PiPS5_jNS1_19radix_merge_compareILb1ELb0EiNS0_19identity_decomposerEEEEE10hipError_tT0_T1_T2_jT3_P12ihipStream_tbPNSt15iterator_traitsISE_E10value_typeEPNSK_ISF_E10value_typeEPSG_NS1_7vsmem_tEENKUlT_SE_SF_SG_E_clIS8_S8_S9_S9_EESD_ST_SE_SF_SG_EUlST_E_NS1_11comp_targetILNS1_3genE10ELNS1_11target_archE1201ELNS1_3gpuE5ELNS1_3repE0EEENS1_48merge_mergepath_partition_config_static_selectorELNS0_4arch9wavefront6targetE0EEEvSF_.num_agpr, 0
	.set _ZN7rocprim17ROCPRIM_400000_NS6detail17trampoline_kernelINS0_14default_configENS1_38merge_sort_block_merge_config_selectorIiNS0_10empty_typeEEEZZNS1_27merge_sort_block_merge_implIS3_PiPS5_jNS1_19radix_merge_compareILb1ELb0EiNS0_19identity_decomposerEEEEE10hipError_tT0_T1_T2_jT3_P12ihipStream_tbPNSt15iterator_traitsISE_E10value_typeEPNSK_ISF_E10value_typeEPSG_NS1_7vsmem_tEENKUlT_SE_SF_SG_E_clIS8_S8_S9_S9_EESD_ST_SE_SF_SG_EUlST_E_NS1_11comp_targetILNS1_3genE10ELNS1_11target_archE1201ELNS1_3gpuE5ELNS1_3repE0EEENS1_48merge_mergepath_partition_config_static_selectorELNS0_4arch9wavefront6targetE0EEEvSF_.numbered_sgpr, 0
	.set _ZN7rocprim17ROCPRIM_400000_NS6detail17trampoline_kernelINS0_14default_configENS1_38merge_sort_block_merge_config_selectorIiNS0_10empty_typeEEEZZNS1_27merge_sort_block_merge_implIS3_PiPS5_jNS1_19radix_merge_compareILb1ELb0EiNS0_19identity_decomposerEEEEE10hipError_tT0_T1_T2_jT3_P12ihipStream_tbPNSt15iterator_traitsISE_E10value_typeEPNSK_ISF_E10value_typeEPSG_NS1_7vsmem_tEENKUlT_SE_SF_SG_E_clIS8_S8_S9_S9_EESD_ST_SE_SF_SG_EUlST_E_NS1_11comp_targetILNS1_3genE10ELNS1_11target_archE1201ELNS1_3gpuE5ELNS1_3repE0EEENS1_48merge_mergepath_partition_config_static_selectorELNS0_4arch9wavefront6targetE0EEEvSF_.num_named_barrier, 0
	.set _ZN7rocprim17ROCPRIM_400000_NS6detail17trampoline_kernelINS0_14default_configENS1_38merge_sort_block_merge_config_selectorIiNS0_10empty_typeEEEZZNS1_27merge_sort_block_merge_implIS3_PiPS5_jNS1_19radix_merge_compareILb1ELb0EiNS0_19identity_decomposerEEEEE10hipError_tT0_T1_T2_jT3_P12ihipStream_tbPNSt15iterator_traitsISE_E10value_typeEPNSK_ISF_E10value_typeEPSG_NS1_7vsmem_tEENKUlT_SE_SF_SG_E_clIS8_S8_S9_S9_EESD_ST_SE_SF_SG_EUlST_E_NS1_11comp_targetILNS1_3genE10ELNS1_11target_archE1201ELNS1_3gpuE5ELNS1_3repE0EEENS1_48merge_mergepath_partition_config_static_selectorELNS0_4arch9wavefront6targetE0EEEvSF_.private_seg_size, 0
	.set _ZN7rocprim17ROCPRIM_400000_NS6detail17trampoline_kernelINS0_14default_configENS1_38merge_sort_block_merge_config_selectorIiNS0_10empty_typeEEEZZNS1_27merge_sort_block_merge_implIS3_PiPS5_jNS1_19radix_merge_compareILb1ELb0EiNS0_19identity_decomposerEEEEE10hipError_tT0_T1_T2_jT3_P12ihipStream_tbPNSt15iterator_traitsISE_E10value_typeEPNSK_ISF_E10value_typeEPSG_NS1_7vsmem_tEENKUlT_SE_SF_SG_E_clIS8_S8_S9_S9_EESD_ST_SE_SF_SG_EUlST_E_NS1_11comp_targetILNS1_3genE10ELNS1_11target_archE1201ELNS1_3gpuE5ELNS1_3repE0EEENS1_48merge_mergepath_partition_config_static_selectorELNS0_4arch9wavefront6targetE0EEEvSF_.uses_vcc, 0
	.set _ZN7rocprim17ROCPRIM_400000_NS6detail17trampoline_kernelINS0_14default_configENS1_38merge_sort_block_merge_config_selectorIiNS0_10empty_typeEEEZZNS1_27merge_sort_block_merge_implIS3_PiPS5_jNS1_19radix_merge_compareILb1ELb0EiNS0_19identity_decomposerEEEEE10hipError_tT0_T1_T2_jT3_P12ihipStream_tbPNSt15iterator_traitsISE_E10value_typeEPNSK_ISF_E10value_typeEPSG_NS1_7vsmem_tEENKUlT_SE_SF_SG_E_clIS8_S8_S9_S9_EESD_ST_SE_SF_SG_EUlST_E_NS1_11comp_targetILNS1_3genE10ELNS1_11target_archE1201ELNS1_3gpuE5ELNS1_3repE0EEENS1_48merge_mergepath_partition_config_static_selectorELNS0_4arch9wavefront6targetE0EEEvSF_.uses_flat_scratch, 0
	.set _ZN7rocprim17ROCPRIM_400000_NS6detail17trampoline_kernelINS0_14default_configENS1_38merge_sort_block_merge_config_selectorIiNS0_10empty_typeEEEZZNS1_27merge_sort_block_merge_implIS3_PiPS5_jNS1_19radix_merge_compareILb1ELb0EiNS0_19identity_decomposerEEEEE10hipError_tT0_T1_T2_jT3_P12ihipStream_tbPNSt15iterator_traitsISE_E10value_typeEPNSK_ISF_E10value_typeEPSG_NS1_7vsmem_tEENKUlT_SE_SF_SG_E_clIS8_S8_S9_S9_EESD_ST_SE_SF_SG_EUlST_E_NS1_11comp_targetILNS1_3genE10ELNS1_11target_archE1201ELNS1_3gpuE5ELNS1_3repE0EEENS1_48merge_mergepath_partition_config_static_selectorELNS0_4arch9wavefront6targetE0EEEvSF_.has_dyn_sized_stack, 0
	.set _ZN7rocprim17ROCPRIM_400000_NS6detail17trampoline_kernelINS0_14default_configENS1_38merge_sort_block_merge_config_selectorIiNS0_10empty_typeEEEZZNS1_27merge_sort_block_merge_implIS3_PiPS5_jNS1_19radix_merge_compareILb1ELb0EiNS0_19identity_decomposerEEEEE10hipError_tT0_T1_T2_jT3_P12ihipStream_tbPNSt15iterator_traitsISE_E10value_typeEPNSK_ISF_E10value_typeEPSG_NS1_7vsmem_tEENKUlT_SE_SF_SG_E_clIS8_S8_S9_S9_EESD_ST_SE_SF_SG_EUlST_E_NS1_11comp_targetILNS1_3genE10ELNS1_11target_archE1201ELNS1_3gpuE5ELNS1_3repE0EEENS1_48merge_mergepath_partition_config_static_selectorELNS0_4arch9wavefront6targetE0EEEvSF_.has_recursion, 0
	.set _ZN7rocprim17ROCPRIM_400000_NS6detail17trampoline_kernelINS0_14default_configENS1_38merge_sort_block_merge_config_selectorIiNS0_10empty_typeEEEZZNS1_27merge_sort_block_merge_implIS3_PiPS5_jNS1_19radix_merge_compareILb1ELb0EiNS0_19identity_decomposerEEEEE10hipError_tT0_T1_T2_jT3_P12ihipStream_tbPNSt15iterator_traitsISE_E10value_typeEPNSK_ISF_E10value_typeEPSG_NS1_7vsmem_tEENKUlT_SE_SF_SG_E_clIS8_S8_S9_S9_EESD_ST_SE_SF_SG_EUlST_E_NS1_11comp_targetILNS1_3genE10ELNS1_11target_archE1201ELNS1_3gpuE5ELNS1_3repE0EEENS1_48merge_mergepath_partition_config_static_selectorELNS0_4arch9wavefront6targetE0EEEvSF_.has_indirect_call, 0
	.section	.AMDGPU.csdata,"",@progbits
; Kernel info:
; codeLenInByte = 0
; TotalNumSgprs: 0
; NumVgprs: 0
; ScratchSize: 0
; MemoryBound: 0
; FloatMode: 240
; IeeeMode: 1
; LDSByteSize: 0 bytes/workgroup (compile time only)
; SGPRBlocks: 0
; VGPRBlocks: 0
; NumSGPRsForWavesPerEU: 1
; NumVGPRsForWavesPerEU: 1
; NamedBarCnt: 0
; Occupancy: 16
; WaveLimiterHint : 0
; COMPUTE_PGM_RSRC2:SCRATCH_EN: 0
; COMPUTE_PGM_RSRC2:USER_SGPR: 2
; COMPUTE_PGM_RSRC2:TRAP_HANDLER: 0
; COMPUTE_PGM_RSRC2:TGID_X_EN: 1
; COMPUTE_PGM_RSRC2:TGID_Y_EN: 0
; COMPUTE_PGM_RSRC2:TGID_Z_EN: 0
; COMPUTE_PGM_RSRC2:TIDIG_COMP_CNT: 0
	.section	.text._ZN7rocprim17ROCPRIM_400000_NS6detail17trampoline_kernelINS0_14default_configENS1_38merge_sort_block_merge_config_selectorIiNS0_10empty_typeEEEZZNS1_27merge_sort_block_merge_implIS3_PiPS5_jNS1_19radix_merge_compareILb1ELb0EiNS0_19identity_decomposerEEEEE10hipError_tT0_T1_T2_jT3_P12ihipStream_tbPNSt15iterator_traitsISE_E10value_typeEPNSK_ISF_E10value_typeEPSG_NS1_7vsmem_tEENKUlT_SE_SF_SG_E_clIS8_S8_S9_S9_EESD_ST_SE_SF_SG_EUlST_E_NS1_11comp_targetILNS1_3genE5ELNS1_11target_archE942ELNS1_3gpuE9ELNS1_3repE0EEENS1_48merge_mergepath_partition_config_static_selectorELNS0_4arch9wavefront6targetE0EEEvSF_,"axG",@progbits,_ZN7rocprim17ROCPRIM_400000_NS6detail17trampoline_kernelINS0_14default_configENS1_38merge_sort_block_merge_config_selectorIiNS0_10empty_typeEEEZZNS1_27merge_sort_block_merge_implIS3_PiPS5_jNS1_19radix_merge_compareILb1ELb0EiNS0_19identity_decomposerEEEEE10hipError_tT0_T1_T2_jT3_P12ihipStream_tbPNSt15iterator_traitsISE_E10value_typeEPNSK_ISF_E10value_typeEPSG_NS1_7vsmem_tEENKUlT_SE_SF_SG_E_clIS8_S8_S9_S9_EESD_ST_SE_SF_SG_EUlST_E_NS1_11comp_targetILNS1_3genE5ELNS1_11target_archE942ELNS1_3gpuE9ELNS1_3repE0EEENS1_48merge_mergepath_partition_config_static_selectorELNS0_4arch9wavefront6targetE0EEEvSF_,comdat
	.protected	_ZN7rocprim17ROCPRIM_400000_NS6detail17trampoline_kernelINS0_14default_configENS1_38merge_sort_block_merge_config_selectorIiNS0_10empty_typeEEEZZNS1_27merge_sort_block_merge_implIS3_PiPS5_jNS1_19radix_merge_compareILb1ELb0EiNS0_19identity_decomposerEEEEE10hipError_tT0_T1_T2_jT3_P12ihipStream_tbPNSt15iterator_traitsISE_E10value_typeEPNSK_ISF_E10value_typeEPSG_NS1_7vsmem_tEENKUlT_SE_SF_SG_E_clIS8_S8_S9_S9_EESD_ST_SE_SF_SG_EUlST_E_NS1_11comp_targetILNS1_3genE5ELNS1_11target_archE942ELNS1_3gpuE9ELNS1_3repE0EEENS1_48merge_mergepath_partition_config_static_selectorELNS0_4arch9wavefront6targetE0EEEvSF_ ; -- Begin function _ZN7rocprim17ROCPRIM_400000_NS6detail17trampoline_kernelINS0_14default_configENS1_38merge_sort_block_merge_config_selectorIiNS0_10empty_typeEEEZZNS1_27merge_sort_block_merge_implIS3_PiPS5_jNS1_19radix_merge_compareILb1ELb0EiNS0_19identity_decomposerEEEEE10hipError_tT0_T1_T2_jT3_P12ihipStream_tbPNSt15iterator_traitsISE_E10value_typeEPNSK_ISF_E10value_typeEPSG_NS1_7vsmem_tEENKUlT_SE_SF_SG_E_clIS8_S8_S9_S9_EESD_ST_SE_SF_SG_EUlST_E_NS1_11comp_targetILNS1_3genE5ELNS1_11target_archE942ELNS1_3gpuE9ELNS1_3repE0EEENS1_48merge_mergepath_partition_config_static_selectorELNS0_4arch9wavefront6targetE0EEEvSF_
	.globl	_ZN7rocprim17ROCPRIM_400000_NS6detail17trampoline_kernelINS0_14default_configENS1_38merge_sort_block_merge_config_selectorIiNS0_10empty_typeEEEZZNS1_27merge_sort_block_merge_implIS3_PiPS5_jNS1_19radix_merge_compareILb1ELb0EiNS0_19identity_decomposerEEEEE10hipError_tT0_T1_T2_jT3_P12ihipStream_tbPNSt15iterator_traitsISE_E10value_typeEPNSK_ISF_E10value_typeEPSG_NS1_7vsmem_tEENKUlT_SE_SF_SG_E_clIS8_S8_S9_S9_EESD_ST_SE_SF_SG_EUlST_E_NS1_11comp_targetILNS1_3genE5ELNS1_11target_archE942ELNS1_3gpuE9ELNS1_3repE0EEENS1_48merge_mergepath_partition_config_static_selectorELNS0_4arch9wavefront6targetE0EEEvSF_
	.p2align	8
	.type	_ZN7rocprim17ROCPRIM_400000_NS6detail17trampoline_kernelINS0_14default_configENS1_38merge_sort_block_merge_config_selectorIiNS0_10empty_typeEEEZZNS1_27merge_sort_block_merge_implIS3_PiPS5_jNS1_19radix_merge_compareILb1ELb0EiNS0_19identity_decomposerEEEEE10hipError_tT0_T1_T2_jT3_P12ihipStream_tbPNSt15iterator_traitsISE_E10value_typeEPNSK_ISF_E10value_typeEPSG_NS1_7vsmem_tEENKUlT_SE_SF_SG_E_clIS8_S8_S9_S9_EESD_ST_SE_SF_SG_EUlST_E_NS1_11comp_targetILNS1_3genE5ELNS1_11target_archE942ELNS1_3gpuE9ELNS1_3repE0EEENS1_48merge_mergepath_partition_config_static_selectorELNS0_4arch9wavefront6targetE0EEEvSF_,@function
_ZN7rocprim17ROCPRIM_400000_NS6detail17trampoline_kernelINS0_14default_configENS1_38merge_sort_block_merge_config_selectorIiNS0_10empty_typeEEEZZNS1_27merge_sort_block_merge_implIS3_PiPS5_jNS1_19radix_merge_compareILb1ELb0EiNS0_19identity_decomposerEEEEE10hipError_tT0_T1_T2_jT3_P12ihipStream_tbPNSt15iterator_traitsISE_E10value_typeEPNSK_ISF_E10value_typeEPSG_NS1_7vsmem_tEENKUlT_SE_SF_SG_E_clIS8_S8_S9_S9_EESD_ST_SE_SF_SG_EUlST_E_NS1_11comp_targetILNS1_3genE5ELNS1_11target_archE942ELNS1_3gpuE9ELNS1_3repE0EEENS1_48merge_mergepath_partition_config_static_selectorELNS0_4arch9wavefront6targetE0EEEvSF_: ; @_ZN7rocprim17ROCPRIM_400000_NS6detail17trampoline_kernelINS0_14default_configENS1_38merge_sort_block_merge_config_selectorIiNS0_10empty_typeEEEZZNS1_27merge_sort_block_merge_implIS3_PiPS5_jNS1_19radix_merge_compareILb1ELb0EiNS0_19identity_decomposerEEEEE10hipError_tT0_T1_T2_jT3_P12ihipStream_tbPNSt15iterator_traitsISE_E10value_typeEPNSK_ISF_E10value_typeEPSG_NS1_7vsmem_tEENKUlT_SE_SF_SG_E_clIS8_S8_S9_S9_EESD_ST_SE_SF_SG_EUlST_E_NS1_11comp_targetILNS1_3genE5ELNS1_11target_archE942ELNS1_3gpuE9ELNS1_3repE0EEENS1_48merge_mergepath_partition_config_static_selectorELNS0_4arch9wavefront6targetE0EEEvSF_
; %bb.0:
	.section	.rodata,"a",@progbits
	.p2align	6, 0x0
	.amdhsa_kernel _ZN7rocprim17ROCPRIM_400000_NS6detail17trampoline_kernelINS0_14default_configENS1_38merge_sort_block_merge_config_selectorIiNS0_10empty_typeEEEZZNS1_27merge_sort_block_merge_implIS3_PiPS5_jNS1_19radix_merge_compareILb1ELb0EiNS0_19identity_decomposerEEEEE10hipError_tT0_T1_T2_jT3_P12ihipStream_tbPNSt15iterator_traitsISE_E10value_typeEPNSK_ISF_E10value_typeEPSG_NS1_7vsmem_tEENKUlT_SE_SF_SG_E_clIS8_S8_S9_S9_EESD_ST_SE_SF_SG_EUlST_E_NS1_11comp_targetILNS1_3genE5ELNS1_11target_archE942ELNS1_3gpuE9ELNS1_3repE0EEENS1_48merge_mergepath_partition_config_static_selectorELNS0_4arch9wavefront6targetE0EEEvSF_
		.amdhsa_group_segment_fixed_size 0
		.amdhsa_private_segment_fixed_size 0
		.amdhsa_kernarg_size 40
		.amdhsa_user_sgpr_count 2
		.amdhsa_user_sgpr_dispatch_ptr 0
		.amdhsa_user_sgpr_queue_ptr 0
		.amdhsa_user_sgpr_kernarg_segment_ptr 1
		.amdhsa_user_sgpr_dispatch_id 0
		.amdhsa_user_sgpr_kernarg_preload_length 0
		.amdhsa_user_sgpr_kernarg_preload_offset 0
		.amdhsa_user_sgpr_private_segment_size 0
		.amdhsa_wavefront_size32 1
		.amdhsa_uses_dynamic_stack 0
		.amdhsa_enable_private_segment 0
		.amdhsa_system_sgpr_workgroup_id_x 1
		.amdhsa_system_sgpr_workgroup_id_y 0
		.amdhsa_system_sgpr_workgroup_id_z 0
		.amdhsa_system_sgpr_workgroup_info 0
		.amdhsa_system_vgpr_workitem_id 0
		.amdhsa_next_free_vgpr 1
		.amdhsa_next_free_sgpr 1
		.amdhsa_named_barrier_count 0
		.amdhsa_reserve_vcc 0
		.amdhsa_float_round_mode_32 0
		.amdhsa_float_round_mode_16_64 0
		.amdhsa_float_denorm_mode_32 3
		.amdhsa_float_denorm_mode_16_64 3
		.amdhsa_fp16_overflow 0
		.amdhsa_memory_ordered 1
		.amdhsa_forward_progress 1
		.amdhsa_inst_pref_size 0
		.amdhsa_round_robin_scheduling 0
		.amdhsa_exception_fp_ieee_invalid_op 0
		.amdhsa_exception_fp_denorm_src 0
		.amdhsa_exception_fp_ieee_div_zero 0
		.amdhsa_exception_fp_ieee_overflow 0
		.amdhsa_exception_fp_ieee_underflow 0
		.amdhsa_exception_fp_ieee_inexact 0
		.amdhsa_exception_int_div_zero 0
	.end_amdhsa_kernel
	.section	.text._ZN7rocprim17ROCPRIM_400000_NS6detail17trampoline_kernelINS0_14default_configENS1_38merge_sort_block_merge_config_selectorIiNS0_10empty_typeEEEZZNS1_27merge_sort_block_merge_implIS3_PiPS5_jNS1_19radix_merge_compareILb1ELb0EiNS0_19identity_decomposerEEEEE10hipError_tT0_T1_T2_jT3_P12ihipStream_tbPNSt15iterator_traitsISE_E10value_typeEPNSK_ISF_E10value_typeEPSG_NS1_7vsmem_tEENKUlT_SE_SF_SG_E_clIS8_S8_S9_S9_EESD_ST_SE_SF_SG_EUlST_E_NS1_11comp_targetILNS1_3genE5ELNS1_11target_archE942ELNS1_3gpuE9ELNS1_3repE0EEENS1_48merge_mergepath_partition_config_static_selectorELNS0_4arch9wavefront6targetE0EEEvSF_,"axG",@progbits,_ZN7rocprim17ROCPRIM_400000_NS6detail17trampoline_kernelINS0_14default_configENS1_38merge_sort_block_merge_config_selectorIiNS0_10empty_typeEEEZZNS1_27merge_sort_block_merge_implIS3_PiPS5_jNS1_19radix_merge_compareILb1ELb0EiNS0_19identity_decomposerEEEEE10hipError_tT0_T1_T2_jT3_P12ihipStream_tbPNSt15iterator_traitsISE_E10value_typeEPNSK_ISF_E10value_typeEPSG_NS1_7vsmem_tEENKUlT_SE_SF_SG_E_clIS8_S8_S9_S9_EESD_ST_SE_SF_SG_EUlST_E_NS1_11comp_targetILNS1_3genE5ELNS1_11target_archE942ELNS1_3gpuE9ELNS1_3repE0EEENS1_48merge_mergepath_partition_config_static_selectorELNS0_4arch9wavefront6targetE0EEEvSF_,comdat
.Lfunc_end769:
	.size	_ZN7rocprim17ROCPRIM_400000_NS6detail17trampoline_kernelINS0_14default_configENS1_38merge_sort_block_merge_config_selectorIiNS0_10empty_typeEEEZZNS1_27merge_sort_block_merge_implIS3_PiPS5_jNS1_19radix_merge_compareILb1ELb0EiNS0_19identity_decomposerEEEEE10hipError_tT0_T1_T2_jT3_P12ihipStream_tbPNSt15iterator_traitsISE_E10value_typeEPNSK_ISF_E10value_typeEPSG_NS1_7vsmem_tEENKUlT_SE_SF_SG_E_clIS8_S8_S9_S9_EESD_ST_SE_SF_SG_EUlST_E_NS1_11comp_targetILNS1_3genE5ELNS1_11target_archE942ELNS1_3gpuE9ELNS1_3repE0EEENS1_48merge_mergepath_partition_config_static_selectorELNS0_4arch9wavefront6targetE0EEEvSF_, .Lfunc_end769-_ZN7rocprim17ROCPRIM_400000_NS6detail17trampoline_kernelINS0_14default_configENS1_38merge_sort_block_merge_config_selectorIiNS0_10empty_typeEEEZZNS1_27merge_sort_block_merge_implIS3_PiPS5_jNS1_19radix_merge_compareILb1ELb0EiNS0_19identity_decomposerEEEEE10hipError_tT0_T1_T2_jT3_P12ihipStream_tbPNSt15iterator_traitsISE_E10value_typeEPNSK_ISF_E10value_typeEPSG_NS1_7vsmem_tEENKUlT_SE_SF_SG_E_clIS8_S8_S9_S9_EESD_ST_SE_SF_SG_EUlST_E_NS1_11comp_targetILNS1_3genE5ELNS1_11target_archE942ELNS1_3gpuE9ELNS1_3repE0EEENS1_48merge_mergepath_partition_config_static_selectorELNS0_4arch9wavefront6targetE0EEEvSF_
                                        ; -- End function
	.set _ZN7rocprim17ROCPRIM_400000_NS6detail17trampoline_kernelINS0_14default_configENS1_38merge_sort_block_merge_config_selectorIiNS0_10empty_typeEEEZZNS1_27merge_sort_block_merge_implIS3_PiPS5_jNS1_19radix_merge_compareILb1ELb0EiNS0_19identity_decomposerEEEEE10hipError_tT0_T1_T2_jT3_P12ihipStream_tbPNSt15iterator_traitsISE_E10value_typeEPNSK_ISF_E10value_typeEPSG_NS1_7vsmem_tEENKUlT_SE_SF_SG_E_clIS8_S8_S9_S9_EESD_ST_SE_SF_SG_EUlST_E_NS1_11comp_targetILNS1_3genE5ELNS1_11target_archE942ELNS1_3gpuE9ELNS1_3repE0EEENS1_48merge_mergepath_partition_config_static_selectorELNS0_4arch9wavefront6targetE0EEEvSF_.num_vgpr, 0
	.set _ZN7rocprim17ROCPRIM_400000_NS6detail17trampoline_kernelINS0_14default_configENS1_38merge_sort_block_merge_config_selectorIiNS0_10empty_typeEEEZZNS1_27merge_sort_block_merge_implIS3_PiPS5_jNS1_19radix_merge_compareILb1ELb0EiNS0_19identity_decomposerEEEEE10hipError_tT0_T1_T2_jT3_P12ihipStream_tbPNSt15iterator_traitsISE_E10value_typeEPNSK_ISF_E10value_typeEPSG_NS1_7vsmem_tEENKUlT_SE_SF_SG_E_clIS8_S8_S9_S9_EESD_ST_SE_SF_SG_EUlST_E_NS1_11comp_targetILNS1_3genE5ELNS1_11target_archE942ELNS1_3gpuE9ELNS1_3repE0EEENS1_48merge_mergepath_partition_config_static_selectorELNS0_4arch9wavefront6targetE0EEEvSF_.num_agpr, 0
	.set _ZN7rocprim17ROCPRIM_400000_NS6detail17trampoline_kernelINS0_14default_configENS1_38merge_sort_block_merge_config_selectorIiNS0_10empty_typeEEEZZNS1_27merge_sort_block_merge_implIS3_PiPS5_jNS1_19radix_merge_compareILb1ELb0EiNS0_19identity_decomposerEEEEE10hipError_tT0_T1_T2_jT3_P12ihipStream_tbPNSt15iterator_traitsISE_E10value_typeEPNSK_ISF_E10value_typeEPSG_NS1_7vsmem_tEENKUlT_SE_SF_SG_E_clIS8_S8_S9_S9_EESD_ST_SE_SF_SG_EUlST_E_NS1_11comp_targetILNS1_3genE5ELNS1_11target_archE942ELNS1_3gpuE9ELNS1_3repE0EEENS1_48merge_mergepath_partition_config_static_selectorELNS0_4arch9wavefront6targetE0EEEvSF_.numbered_sgpr, 0
	.set _ZN7rocprim17ROCPRIM_400000_NS6detail17trampoline_kernelINS0_14default_configENS1_38merge_sort_block_merge_config_selectorIiNS0_10empty_typeEEEZZNS1_27merge_sort_block_merge_implIS3_PiPS5_jNS1_19radix_merge_compareILb1ELb0EiNS0_19identity_decomposerEEEEE10hipError_tT0_T1_T2_jT3_P12ihipStream_tbPNSt15iterator_traitsISE_E10value_typeEPNSK_ISF_E10value_typeEPSG_NS1_7vsmem_tEENKUlT_SE_SF_SG_E_clIS8_S8_S9_S9_EESD_ST_SE_SF_SG_EUlST_E_NS1_11comp_targetILNS1_3genE5ELNS1_11target_archE942ELNS1_3gpuE9ELNS1_3repE0EEENS1_48merge_mergepath_partition_config_static_selectorELNS0_4arch9wavefront6targetE0EEEvSF_.num_named_barrier, 0
	.set _ZN7rocprim17ROCPRIM_400000_NS6detail17trampoline_kernelINS0_14default_configENS1_38merge_sort_block_merge_config_selectorIiNS0_10empty_typeEEEZZNS1_27merge_sort_block_merge_implIS3_PiPS5_jNS1_19radix_merge_compareILb1ELb0EiNS0_19identity_decomposerEEEEE10hipError_tT0_T1_T2_jT3_P12ihipStream_tbPNSt15iterator_traitsISE_E10value_typeEPNSK_ISF_E10value_typeEPSG_NS1_7vsmem_tEENKUlT_SE_SF_SG_E_clIS8_S8_S9_S9_EESD_ST_SE_SF_SG_EUlST_E_NS1_11comp_targetILNS1_3genE5ELNS1_11target_archE942ELNS1_3gpuE9ELNS1_3repE0EEENS1_48merge_mergepath_partition_config_static_selectorELNS0_4arch9wavefront6targetE0EEEvSF_.private_seg_size, 0
	.set _ZN7rocprim17ROCPRIM_400000_NS6detail17trampoline_kernelINS0_14default_configENS1_38merge_sort_block_merge_config_selectorIiNS0_10empty_typeEEEZZNS1_27merge_sort_block_merge_implIS3_PiPS5_jNS1_19radix_merge_compareILb1ELb0EiNS0_19identity_decomposerEEEEE10hipError_tT0_T1_T2_jT3_P12ihipStream_tbPNSt15iterator_traitsISE_E10value_typeEPNSK_ISF_E10value_typeEPSG_NS1_7vsmem_tEENKUlT_SE_SF_SG_E_clIS8_S8_S9_S9_EESD_ST_SE_SF_SG_EUlST_E_NS1_11comp_targetILNS1_3genE5ELNS1_11target_archE942ELNS1_3gpuE9ELNS1_3repE0EEENS1_48merge_mergepath_partition_config_static_selectorELNS0_4arch9wavefront6targetE0EEEvSF_.uses_vcc, 0
	.set _ZN7rocprim17ROCPRIM_400000_NS6detail17trampoline_kernelINS0_14default_configENS1_38merge_sort_block_merge_config_selectorIiNS0_10empty_typeEEEZZNS1_27merge_sort_block_merge_implIS3_PiPS5_jNS1_19radix_merge_compareILb1ELb0EiNS0_19identity_decomposerEEEEE10hipError_tT0_T1_T2_jT3_P12ihipStream_tbPNSt15iterator_traitsISE_E10value_typeEPNSK_ISF_E10value_typeEPSG_NS1_7vsmem_tEENKUlT_SE_SF_SG_E_clIS8_S8_S9_S9_EESD_ST_SE_SF_SG_EUlST_E_NS1_11comp_targetILNS1_3genE5ELNS1_11target_archE942ELNS1_3gpuE9ELNS1_3repE0EEENS1_48merge_mergepath_partition_config_static_selectorELNS0_4arch9wavefront6targetE0EEEvSF_.uses_flat_scratch, 0
	.set _ZN7rocprim17ROCPRIM_400000_NS6detail17trampoline_kernelINS0_14default_configENS1_38merge_sort_block_merge_config_selectorIiNS0_10empty_typeEEEZZNS1_27merge_sort_block_merge_implIS3_PiPS5_jNS1_19radix_merge_compareILb1ELb0EiNS0_19identity_decomposerEEEEE10hipError_tT0_T1_T2_jT3_P12ihipStream_tbPNSt15iterator_traitsISE_E10value_typeEPNSK_ISF_E10value_typeEPSG_NS1_7vsmem_tEENKUlT_SE_SF_SG_E_clIS8_S8_S9_S9_EESD_ST_SE_SF_SG_EUlST_E_NS1_11comp_targetILNS1_3genE5ELNS1_11target_archE942ELNS1_3gpuE9ELNS1_3repE0EEENS1_48merge_mergepath_partition_config_static_selectorELNS0_4arch9wavefront6targetE0EEEvSF_.has_dyn_sized_stack, 0
	.set _ZN7rocprim17ROCPRIM_400000_NS6detail17trampoline_kernelINS0_14default_configENS1_38merge_sort_block_merge_config_selectorIiNS0_10empty_typeEEEZZNS1_27merge_sort_block_merge_implIS3_PiPS5_jNS1_19radix_merge_compareILb1ELb0EiNS0_19identity_decomposerEEEEE10hipError_tT0_T1_T2_jT3_P12ihipStream_tbPNSt15iterator_traitsISE_E10value_typeEPNSK_ISF_E10value_typeEPSG_NS1_7vsmem_tEENKUlT_SE_SF_SG_E_clIS8_S8_S9_S9_EESD_ST_SE_SF_SG_EUlST_E_NS1_11comp_targetILNS1_3genE5ELNS1_11target_archE942ELNS1_3gpuE9ELNS1_3repE0EEENS1_48merge_mergepath_partition_config_static_selectorELNS0_4arch9wavefront6targetE0EEEvSF_.has_recursion, 0
	.set _ZN7rocprim17ROCPRIM_400000_NS6detail17trampoline_kernelINS0_14default_configENS1_38merge_sort_block_merge_config_selectorIiNS0_10empty_typeEEEZZNS1_27merge_sort_block_merge_implIS3_PiPS5_jNS1_19radix_merge_compareILb1ELb0EiNS0_19identity_decomposerEEEEE10hipError_tT0_T1_T2_jT3_P12ihipStream_tbPNSt15iterator_traitsISE_E10value_typeEPNSK_ISF_E10value_typeEPSG_NS1_7vsmem_tEENKUlT_SE_SF_SG_E_clIS8_S8_S9_S9_EESD_ST_SE_SF_SG_EUlST_E_NS1_11comp_targetILNS1_3genE5ELNS1_11target_archE942ELNS1_3gpuE9ELNS1_3repE0EEENS1_48merge_mergepath_partition_config_static_selectorELNS0_4arch9wavefront6targetE0EEEvSF_.has_indirect_call, 0
	.section	.AMDGPU.csdata,"",@progbits
; Kernel info:
; codeLenInByte = 0
; TotalNumSgprs: 0
; NumVgprs: 0
; ScratchSize: 0
; MemoryBound: 0
; FloatMode: 240
; IeeeMode: 1
; LDSByteSize: 0 bytes/workgroup (compile time only)
; SGPRBlocks: 0
; VGPRBlocks: 0
; NumSGPRsForWavesPerEU: 1
; NumVGPRsForWavesPerEU: 1
; NamedBarCnt: 0
; Occupancy: 16
; WaveLimiterHint : 0
; COMPUTE_PGM_RSRC2:SCRATCH_EN: 0
; COMPUTE_PGM_RSRC2:USER_SGPR: 2
; COMPUTE_PGM_RSRC2:TRAP_HANDLER: 0
; COMPUTE_PGM_RSRC2:TGID_X_EN: 1
; COMPUTE_PGM_RSRC2:TGID_Y_EN: 0
; COMPUTE_PGM_RSRC2:TGID_Z_EN: 0
; COMPUTE_PGM_RSRC2:TIDIG_COMP_CNT: 0
	.section	.text._ZN7rocprim17ROCPRIM_400000_NS6detail17trampoline_kernelINS0_14default_configENS1_38merge_sort_block_merge_config_selectorIiNS0_10empty_typeEEEZZNS1_27merge_sort_block_merge_implIS3_PiPS5_jNS1_19radix_merge_compareILb1ELb0EiNS0_19identity_decomposerEEEEE10hipError_tT0_T1_T2_jT3_P12ihipStream_tbPNSt15iterator_traitsISE_E10value_typeEPNSK_ISF_E10value_typeEPSG_NS1_7vsmem_tEENKUlT_SE_SF_SG_E_clIS8_S8_S9_S9_EESD_ST_SE_SF_SG_EUlST_E_NS1_11comp_targetILNS1_3genE4ELNS1_11target_archE910ELNS1_3gpuE8ELNS1_3repE0EEENS1_48merge_mergepath_partition_config_static_selectorELNS0_4arch9wavefront6targetE0EEEvSF_,"axG",@progbits,_ZN7rocprim17ROCPRIM_400000_NS6detail17trampoline_kernelINS0_14default_configENS1_38merge_sort_block_merge_config_selectorIiNS0_10empty_typeEEEZZNS1_27merge_sort_block_merge_implIS3_PiPS5_jNS1_19radix_merge_compareILb1ELb0EiNS0_19identity_decomposerEEEEE10hipError_tT0_T1_T2_jT3_P12ihipStream_tbPNSt15iterator_traitsISE_E10value_typeEPNSK_ISF_E10value_typeEPSG_NS1_7vsmem_tEENKUlT_SE_SF_SG_E_clIS8_S8_S9_S9_EESD_ST_SE_SF_SG_EUlST_E_NS1_11comp_targetILNS1_3genE4ELNS1_11target_archE910ELNS1_3gpuE8ELNS1_3repE0EEENS1_48merge_mergepath_partition_config_static_selectorELNS0_4arch9wavefront6targetE0EEEvSF_,comdat
	.protected	_ZN7rocprim17ROCPRIM_400000_NS6detail17trampoline_kernelINS0_14default_configENS1_38merge_sort_block_merge_config_selectorIiNS0_10empty_typeEEEZZNS1_27merge_sort_block_merge_implIS3_PiPS5_jNS1_19radix_merge_compareILb1ELb0EiNS0_19identity_decomposerEEEEE10hipError_tT0_T1_T2_jT3_P12ihipStream_tbPNSt15iterator_traitsISE_E10value_typeEPNSK_ISF_E10value_typeEPSG_NS1_7vsmem_tEENKUlT_SE_SF_SG_E_clIS8_S8_S9_S9_EESD_ST_SE_SF_SG_EUlST_E_NS1_11comp_targetILNS1_3genE4ELNS1_11target_archE910ELNS1_3gpuE8ELNS1_3repE0EEENS1_48merge_mergepath_partition_config_static_selectorELNS0_4arch9wavefront6targetE0EEEvSF_ ; -- Begin function _ZN7rocprim17ROCPRIM_400000_NS6detail17trampoline_kernelINS0_14default_configENS1_38merge_sort_block_merge_config_selectorIiNS0_10empty_typeEEEZZNS1_27merge_sort_block_merge_implIS3_PiPS5_jNS1_19radix_merge_compareILb1ELb0EiNS0_19identity_decomposerEEEEE10hipError_tT0_T1_T2_jT3_P12ihipStream_tbPNSt15iterator_traitsISE_E10value_typeEPNSK_ISF_E10value_typeEPSG_NS1_7vsmem_tEENKUlT_SE_SF_SG_E_clIS8_S8_S9_S9_EESD_ST_SE_SF_SG_EUlST_E_NS1_11comp_targetILNS1_3genE4ELNS1_11target_archE910ELNS1_3gpuE8ELNS1_3repE0EEENS1_48merge_mergepath_partition_config_static_selectorELNS0_4arch9wavefront6targetE0EEEvSF_
	.globl	_ZN7rocprim17ROCPRIM_400000_NS6detail17trampoline_kernelINS0_14default_configENS1_38merge_sort_block_merge_config_selectorIiNS0_10empty_typeEEEZZNS1_27merge_sort_block_merge_implIS3_PiPS5_jNS1_19radix_merge_compareILb1ELb0EiNS0_19identity_decomposerEEEEE10hipError_tT0_T1_T2_jT3_P12ihipStream_tbPNSt15iterator_traitsISE_E10value_typeEPNSK_ISF_E10value_typeEPSG_NS1_7vsmem_tEENKUlT_SE_SF_SG_E_clIS8_S8_S9_S9_EESD_ST_SE_SF_SG_EUlST_E_NS1_11comp_targetILNS1_3genE4ELNS1_11target_archE910ELNS1_3gpuE8ELNS1_3repE0EEENS1_48merge_mergepath_partition_config_static_selectorELNS0_4arch9wavefront6targetE0EEEvSF_
	.p2align	8
	.type	_ZN7rocprim17ROCPRIM_400000_NS6detail17trampoline_kernelINS0_14default_configENS1_38merge_sort_block_merge_config_selectorIiNS0_10empty_typeEEEZZNS1_27merge_sort_block_merge_implIS3_PiPS5_jNS1_19radix_merge_compareILb1ELb0EiNS0_19identity_decomposerEEEEE10hipError_tT0_T1_T2_jT3_P12ihipStream_tbPNSt15iterator_traitsISE_E10value_typeEPNSK_ISF_E10value_typeEPSG_NS1_7vsmem_tEENKUlT_SE_SF_SG_E_clIS8_S8_S9_S9_EESD_ST_SE_SF_SG_EUlST_E_NS1_11comp_targetILNS1_3genE4ELNS1_11target_archE910ELNS1_3gpuE8ELNS1_3repE0EEENS1_48merge_mergepath_partition_config_static_selectorELNS0_4arch9wavefront6targetE0EEEvSF_,@function
_ZN7rocprim17ROCPRIM_400000_NS6detail17trampoline_kernelINS0_14default_configENS1_38merge_sort_block_merge_config_selectorIiNS0_10empty_typeEEEZZNS1_27merge_sort_block_merge_implIS3_PiPS5_jNS1_19radix_merge_compareILb1ELb0EiNS0_19identity_decomposerEEEEE10hipError_tT0_T1_T2_jT3_P12ihipStream_tbPNSt15iterator_traitsISE_E10value_typeEPNSK_ISF_E10value_typeEPSG_NS1_7vsmem_tEENKUlT_SE_SF_SG_E_clIS8_S8_S9_S9_EESD_ST_SE_SF_SG_EUlST_E_NS1_11comp_targetILNS1_3genE4ELNS1_11target_archE910ELNS1_3gpuE8ELNS1_3repE0EEENS1_48merge_mergepath_partition_config_static_selectorELNS0_4arch9wavefront6targetE0EEEvSF_: ; @_ZN7rocprim17ROCPRIM_400000_NS6detail17trampoline_kernelINS0_14default_configENS1_38merge_sort_block_merge_config_selectorIiNS0_10empty_typeEEEZZNS1_27merge_sort_block_merge_implIS3_PiPS5_jNS1_19radix_merge_compareILb1ELb0EiNS0_19identity_decomposerEEEEE10hipError_tT0_T1_T2_jT3_P12ihipStream_tbPNSt15iterator_traitsISE_E10value_typeEPNSK_ISF_E10value_typeEPSG_NS1_7vsmem_tEENKUlT_SE_SF_SG_E_clIS8_S8_S9_S9_EESD_ST_SE_SF_SG_EUlST_E_NS1_11comp_targetILNS1_3genE4ELNS1_11target_archE910ELNS1_3gpuE8ELNS1_3repE0EEENS1_48merge_mergepath_partition_config_static_selectorELNS0_4arch9wavefront6targetE0EEEvSF_
; %bb.0:
	.section	.rodata,"a",@progbits
	.p2align	6, 0x0
	.amdhsa_kernel _ZN7rocprim17ROCPRIM_400000_NS6detail17trampoline_kernelINS0_14default_configENS1_38merge_sort_block_merge_config_selectorIiNS0_10empty_typeEEEZZNS1_27merge_sort_block_merge_implIS3_PiPS5_jNS1_19radix_merge_compareILb1ELb0EiNS0_19identity_decomposerEEEEE10hipError_tT0_T1_T2_jT3_P12ihipStream_tbPNSt15iterator_traitsISE_E10value_typeEPNSK_ISF_E10value_typeEPSG_NS1_7vsmem_tEENKUlT_SE_SF_SG_E_clIS8_S8_S9_S9_EESD_ST_SE_SF_SG_EUlST_E_NS1_11comp_targetILNS1_3genE4ELNS1_11target_archE910ELNS1_3gpuE8ELNS1_3repE0EEENS1_48merge_mergepath_partition_config_static_selectorELNS0_4arch9wavefront6targetE0EEEvSF_
		.amdhsa_group_segment_fixed_size 0
		.amdhsa_private_segment_fixed_size 0
		.amdhsa_kernarg_size 40
		.amdhsa_user_sgpr_count 2
		.amdhsa_user_sgpr_dispatch_ptr 0
		.amdhsa_user_sgpr_queue_ptr 0
		.amdhsa_user_sgpr_kernarg_segment_ptr 1
		.amdhsa_user_sgpr_dispatch_id 0
		.amdhsa_user_sgpr_kernarg_preload_length 0
		.amdhsa_user_sgpr_kernarg_preload_offset 0
		.amdhsa_user_sgpr_private_segment_size 0
		.amdhsa_wavefront_size32 1
		.amdhsa_uses_dynamic_stack 0
		.amdhsa_enable_private_segment 0
		.amdhsa_system_sgpr_workgroup_id_x 1
		.amdhsa_system_sgpr_workgroup_id_y 0
		.amdhsa_system_sgpr_workgroup_id_z 0
		.amdhsa_system_sgpr_workgroup_info 0
		.amdhsa_system_vgpr_workitem_id 0
		.amdhsa_next_free_vgpr 1
		.amdhsa_next_free_sgpr 1
		.amdhsa_named_barrier_count 0
		.amdhsa_reserve_vcc 0
		.amdhsa_float_round_mode_32 0
		.amdhsa_float_round_mode_16_64 0
		.amdhsa_float_denorm_mode_32 3
		.amdhsa_float_denorm_mode_16_64 3
		.amdhsa_fp16_overflow 0
		.amdhsa_memory_ordered 1
		.amdhsa_forward_progress 1
		.amdhsa_inst_pref_size 0
		.amdhsa_round_robin_scheduling 0
		.amdhsa_exception_fp_ieee_invalid_op 0
		.amdhsa_exception_fp_denorm_src 0
		.amdhsa_exception_fp_ieee_div_zero 0
		.amdhsa_exception_fp_ieee_overflow 0
		.amdhsa_exception_fp_ieee_underflow 0
		.amdhsa_exception_fp_ieee_inexact 0
		.amdhsa_exception_int_div_zero 0
	.end_amdhsa_kernel
	.section	.text._ZN7rocprim17ROCPRIM_400000_NS6detail17trampoline_kernelINS0_14default_configENS1_38merge_sort_block_merge_config_selectorIiNS0_10empty_typeEEEZZNS1_27merge_sort_block_merge_implIS3_PiPS5_jNS1_19radix_merge_compareILb1ELb0EiNS0_19identity_decomposerEEEEE10hipError_tT0_T1_T2_jT3_P12ihipStream_tbPNSt15iterator_traitsISE_E10value_typeEPNSK_ISF_E10value_typeEPSG_NS1_7vsmem_tEENKUlT_SE_SF_SG_E_clIS8_S8_S9_S9_EESD_ST_SE_SF_SG_EUlST_E_NS1_11comp_targetILNS1_3genE4ELNS1_11target_archE910ELNS1_3gpuE8ELNS1_3repE0EEENS1_48merge_mergepath_partition_config_static_selectorELNS0_4arch9wavefront6targetE0EEEvSF_,"axG",@progbits,_ZN7rocprim17ROCPRIM_400000_NS6detail17trampoline_kernelINS0_14default_configENS1_38merge_sort_block_merge_config_selectorIiNS0_10empty_typeEEEZZNS1_27merge_sort_block_merge_implIS3_PiPS5_jNS1_19radix_merge_compareILb1ELb0EiNS0_19identity_decomposerEEEEE10hipError_tT0_T1_T2_jT3_P12ihipStream_tbPNSt15iterator_traitsISE_E10value_typeEPNSK_ISF_E10value_typeEPSG_NS1_7vsmem_tEENKUlT_SE_SF_SG_E_clIS8_S8_S9_S9_EESD_ST_SE_SF_SG_EUlST_E_NS1_11comp_targetILNS1_3genE4ELNS1_11target_archE910ELNS1_3gpuE8ELNS1_3repE0EEENS1_48merge_mergepath_partition_config_static_selectorELNS0_4arch9wavefront6targetE0EEEvSF_,comdat
.Lfunc_end770:
	.size	_ZN7rocprim17ROCPRIM_400000_NS6detail17trampoline_kernelINS0_14default_configENS1_38merge_sort_block_merge_config_selectorIiNS0_10empty_typeEEEZZNS1_27merge_sort_block_merge_implIS3_PiPS5_jNS1_19radix_merge_compareILb1ELb0EiNS0_19identity_decomposerEEEEE10hipError_tT0_T1_T2_jT3_P12ihipStream_tbPNSt15iterator_traitsISE_E10value_typeEPNSK_ISF_E10value_typeEPSG_NS1_7vsmem_tEENKUlT_SE_SF_SG_E_clIS8_S8_S9_S9_EESD_ST_SE_SF_SG_EUlST_E_NS1_11comp_targetILNS1_3genE4ELNS1_11target_archE910ELNS1_3gpuE8ELNS1_3repE0EEENS1_48merge_mergepath_partition_config_static_selectorELNS0_4arch9wavefront6targetE0EEEvSF_, .Lfunc_end770-_ZN7rocprim17ROCPRIM_400000_NS6detail17trampoline_kernelINS0_14default_configENS1_38merge_sort_block_merge_config_selectorIiNS0_10empty_typeEEEZZNS1_27merge_sort_block_merge_implIS3_PiPS5_jNS1_19radix_merge_compareILb1ELb0EiNS0_19identity_decomposerEEEEE10hipError_tT0_T1_T2_jT3_P12ihipStream_tbPNSt15iterator_traitsISE_E10value_typeEPNSK_ISF_E10value_typeEPSG_NS1_7vsmem_tEENKUlT_SE_SF_SG_E_clIS8_S8_S9_S9_EESD_ST_SE_SF_SG_EUlST_E_NS1_11comp_targetILNS1_3genE4ELNS1_11target_archE910ELNS1_3gpuE8ELNS1_3repE0EEENS1_48merge_mergepath_partition_config_static_selectorELNS0_4arch9wavefront6targetE0EEEvSF_
                                        ; -- End function
	.set _ZN7rocprim17ROCPRIM_400000_NS6detail17trampoline_kernelINS0_14default_configENS1_38merge_sort_block_merge_config_selectorIiNS0_10empty_typeEEEZZNS1_27merge_sort_block_merge_implIS3_PiPS5_jNS1_19radix_merge_compareILb1ELb0EiNS0_19identity_decomposerEEEEE10hipError_tT0_T1_T2_jT3_P12ihipStream_tbPNSt15iterator_traitsISE_E10value_typeEPNSK_ISF_E10value_typeEPSG_NS1_7vsmem_tEENKUlT_SE_SF_SG_E_clIS8_S8_S9_S9_EESD_ST_SE_SF_SG_EUlST_E_NS1_11comp_targetILNS1_3genE4ELNS1_11target_archE910ELNS1_3gpuE8ELNS1_3repE0EEENS1_48merge_mergepath_partition_config_static_selectorELNS0_4arch9wavefront6targetE0EEEvSF_.num_vgpr, 0
	.set _ZN7rocprim17ROCPRIM_400000_NS6detail17trampoline_kernelINS0_14default_configENS1_38merge_sort_block_merge_config_selectorIiNS0_10empty_typeEEEZZNS1_27merge_sort_block_merge_implIS3_PiPS5_jNS1_19radix_merge_compareILb1ELb0EiNS0_19identity_decomposerEEEEE10hipError_tT0_T1_T2_jT3_P12ihipStream_tbPNSt15iterator_traitsISE_E10value_typeEPNSK_ISF_E10value_typeEPSG_NS1_7vsmem_tEENKUlT_SE_SF_SG_E_clIS8_S8_S9_S9_EESD_ST_SE_SF_SG_EUlST_E_NS1_11comp_targetILNS1_3genE4ELNS1_11target_archE910ELNS1_3gpuE8ELNS1_3repE0EEENS1_48merge_mergepath_partition_config_static_selectorELNS0_4arch9wavefront6targetE0EEEvSF_.num_agpr, 0
	.set _ZN7rocprim17ROCPRIM_400000_NS6detail17trampoline_kernelINS0_14default_configENS1_38merge_sort_block_merge_config_selectorIiNS0_10empty_typeEEEZZNS1_27merge_sort_block_merge_implIS3_PiPS5_jNS1_19radix_merge_compareILb1ELb0EiNS0_19identity_decomposerEEEEE10hipError_tT0_T1_T2_jT3_P12ihipStream_tbPNSt15iterator_traitsISE_E10value_typeEPNSK_ISF_E10value_typeEPSG_NS1_7vsmem_tEENKUlT_SE_SF_SG_E_clIS8_S8_S9_S9_EESD_ST_SE_SF_SG_EUlST_E_NS1_11comp_targetILNS1_3genE4ELNS1_11target_archE910ELNS1_3gpuE8ELNS1_3repE0EEENS1_48merge_mergepath_partition_config_static_selectorELNS0_4arch9wavefront6targetE0EEEvSF_.numbered_sgpr, 0
	.set _ZN7rocprim17ROCPRIM_400000_NS6detail17trampoline_kernelINS0_14default_configENS1_38merge_sort_block_merge_config_selectorIiNS0_10empty_typeEEEZZNS1_27merge_sort_block_merge_implIS3_PiPS5_jNS1_19radix_merge_compareILb1ELb0EiNS0_19identity_decomposerEEEEE10hipError_tT0_T1_T2_jT3_P12ihipStream_tbPNSt15iterator_traitsISE_E10value_typeEPNSK_ISF_E10value_typeEPSG_NS1_7vsmem_tEENKUlT_SE_SF_SG_E_clIS8_S8_S9_S9_EESD_ST_SE_SF_SG_EUlST_E_NS1_11comp_targetILNS1_3genE4ELNS1_11target_archE910ELNS1_3gpuE8ELNS1_3repE0EEENS1_48merge_mergepath_partition_config_static_selectorELNS0_4arch9wavefront6targetE0EEEvSF_.num_named_barrier, 0
	.set _ZN7rocprim17ROCPRIM_400000_NS6detail17trampoline_kernelINS0_14default_configENS1_38merge_sort_block_merge_config_selectorIiNS0_10empty_typeEEEZZNS1_27merge_sort_block_merge_implIS3_PiPS5_jNS1_19radix_merge_compareILb1ELb0EiNS0_19identity_decomposerEEEEE10hipError_tT0_T1_T2_jT3_P12ihipStream_tbPNSt15iterator_traitsISE_E10value_typeEPNSK_ISF_E10value_typeEPSG_NS1_7vsmem_tEENKUlT_SE_SF_SG_E_clIS8_S8_S9_S9_EESD_ST_SE_SF_SG_EUlST_E_NS1_11comp_targetILNS1_3genE4ELNS1_11target_archE910ELNS1_3gpuE8ELNS1_3repE0EEENS1_48merge_mergepath_partition_config_static_selectorELNS0_4arch9wavefront6targetE0EEEvSF_.private_seg_size, 0
	.set _ZN7rocprim17ROCPRIM_400000_NS6detail17trampoline_kernelINS0_14default_configENS1_38merge_sort_block_merge_config_selectorIiNS0_10empty_typeEEEZZNS1_27merge_sort_block_merge_implIS3_PiPS5_jNS1_19radix_merge_compareILb1ELb0EiNS0_19identity_decomposerEEEEE10hipError_tT0_T1_T2_jT3_P12ihipStream_tbPNSt15iterator_traitsISE_E10value_typeEPNSK_ISF_E10value_typeEPSG_NS1_7vsmem_tEENKUlT_SE_SF_SG_E_clIS8_S8_S9_S9_EESD_ST_SE_SF_SG_EUlST_E_NS1_11comp_targetILNS1_3genE4ELNS1_11target_archE910ELNS1_3gpuE8ELNS1_3repE0EEENS1_48merge_mergepath_partition_config_static_selectorELNS0_4arch9wavefront6targetE0EEEvSF_.uses_vcc, 0
	.set _ZN7rocprim17ROCPRIM_400000_NS6detail17trampoline_kernelINS0_14default_configENS1_38merge_sort_block_merge_config_selectorIiNS0_10empty_typeEEEZZNS1_27merge_sort_block_merge_implIS3_PiPS5_jNS1_19radix_merge_compareILb1ELb0EiNS0_19identity_decomposerEEEEE10hipError_tT0_T1_T2_jT3_P12ihipStream_tbPNSt15iterator_traitsISE_E10value_typeEPNSK_ISF_E10value_typeEPSG_NS1_7vsmem_tEENKUlT_SE_SF_SG_E_clIS8_S8_S9_S9_EESD_ST_SE_SF_SG_EUlST_E_NS1_11comp_targetILNS1_3genE4ELNS1_11target_archE910ELNS1_3gpuE8ELNS1_3repE0EEENS1_48merge_mergepath_partition_config_static_selectorELNS0_4arch9wavefront6targetE0EEEvSF_.uses_flat_scratch, 0
	.set _ZN7rocprim17ROCPRIM_400000_NS6detail17trampoline_kernelINS0_14default_configENS1_38merge_sort_block_merge_config_selectorIiNS0_10empty_typeEEEZZNS1_27merge_sort_block_merge_implIS3_PiPS5_jNS1_19radix_merge_compareILb1ELb0EiNS0_19identity_decomposerEEEEE10hipError_tT0_T1_T2_jT3_P12ihipStream_tbPNSt15iterator_traitsISE_E10value_typeEPNSK_ISF_E10value_typeEPSG_NS1_7vsmem_tEENKUlT_SE_SF_SG_E_clIS8_S8_S9_S9_EESD_ST_SE_SF_SG_EUlST_E_NS1_11comp_targetILNS1_3genE4ELNS1_11target_archE910ELNS1_3gpuE8ELNS1_3repE0EEENS1_48merge_mergepath_partition_config_static_selectorELNS0_4arch9wavefront6targetE0EEEvSF_.has_dyn_sized_stack, 0
	.set _ZN7rocprim17ROCPRIM_400000_NS6detail17trampoline_kernelINS0_14default_configENS1_38merge_sort_block_merge_config_selectorIiNS0_10empty_typeEEEZZNS1_27merge_sort_block_merge_implIS3_PiPS5_jNS1_19radix_merge_compareILb1ELb0EiNS0_19identity_decomposerEEEEE10hipError_tT0_T1_T2_jT3_P12ihipStream_tbPNSt15iterator_traitsISE_E10value_typeEPNSK_ISF_E10value_typeEPSG_NS1_7vsmem_tEENKUlT_SE_SF_SG_E_clIS8_S8_S9_S9_EESD_ST_SE_SF_SG_EUlST_E_NS1_11comp_targetILNS1_3genE4ELNS1_11target_archE910ELNS1_3gpuE8ELNS1_3repE0EEENS1_48merge_mergepath_partition_config_static_selectorELNS0_4arch9wavefront6targetE0EEEvSF_.has_recursion, 0
	.set _ZN7rocprim17ROCPRIM_400000_NS6detail17trampoline_kernelINS0_14default_configENS1_38merge_sort_block_merge_config_selectorIiNS0_10empty_typeEEEZZNS1_27merge_sort_block_merge_implIS3_PiPS5_jNS1_19radix_merge_compareILb1ELb0EiNS0_19identity_decomposerEEEEE10hipError_tT0_T1_T2_jT3_P12ihipStream_tbPNSt15iterator_traitsISE_E10value_typeEPNSK_ISF_E10value_typeEPSG_NS1_7vsmem_tEENKUlT_SE_SF_SG_E_clIS8_S8_S9_S9_EESD_ST_SE_SF_SG_EUlST_E_NS1_11comp_targetILNS1_3genE4ELNS1_11target_archE910ELNS1_3gpuE8ELNS1_3repE0EEENS1_48merge_mergepath_partition_config_static_selectorELNS0_4arch9wavefront6targetE0EEEvSF_.has_indirect_call, 0
	.section	.AMDGPU.csdata,"",@progbits
; Kernel info:
; codeLenInByte = 0
; TotalNumSgprs: 0
; NumVgprs: 0
; ScratchSize: 0
; MemoryBound: 0
; FloatMode: 240
; IeeeMode: 1
; LDSByteSize: 0 bytes/workgroup (compile time only)
; SGPRBlocks: 0
; VGPRBlocks: 0
; NumSGPRsForWavesPerEU: 1
; NumVGPRsForWavesPerEU: 1
; NamedBarCnt: 0
; Occupancy: 16
; WaveLimiterHint : 0
; COMPUTE_PGM_RSRC2:SCRATCH_EN: 0
; COMPUTE_PGM_RSRC2:USER_SGPR: 2
; COMPUTE_PGM_RSRC2:TRAP_HANDLER: 0
; COMPUTE_PGM_RSRC2:TGID_X_EN: 1
; COMPUTE_PGM_RSRC2:TGID_Y_EN: 0
; COMPUTE_PGM_RSRC2:TGID_Z_EN: 0
; COMPUTE_PGM_RSRC2:TIDIG_COMP_CNT: 0
	.section	.text._ZN7rocprim17ROCPRIM_400000_NS6detail17trampoline_kernelINS0_14default_configENS1_38merge_sort_block_merge_config_selectorIiNS0_10empty_typeEEEZZNS1_27merge_sort_block_merge_implIS3_PiPS5_jNS1_19radix_merge_compareILb1ELb0EiNS0_19identity_decomposerEEEEE10hipError_tT0_T1_T2_jT3_P12ihipStream_tbPNSt15iterator_traitsISE_E10value_typeEPNSK_ISF_E10value_typeEPSG_NS1_7vsmem_tEENKUlT_SE_SF_SG_E_clIS8_S8_S9_S9_EESD_ST_SE_SF_SG_EUlST_E_NS1_11comp_targetILNS1_3genE3ELNS1_11target_archE908ELNS1_3gpuE7ELNS1_3repE0EEENS1_48merge_mergepath_partition_config_static_selectorELNS0_4arch9wavefront6targetE0EEEvSF_,"axG",@progbits,_ZN7rocprim17ROCPRIM_400000_NS6detail17trampoline_kernelINS0_14default_configENS1_38merge_sort_block_merge_config_selectorIiNS0_10empty_typeEEEZZNS1_27merge_sort_block_merge_implIS3_PiPS5_jNS1_19radix_merge_compareILb1ELb0EiNS0_19identity_decomposerEEEEE10hipError_tT0_T1_T2_jT3_P12ihipStream_tbPNSt15iterator_traitsISE_E10value_typeEPNSK_ISF_E10value_typeEPSG_NS1_7vsmem_tEENKUlT_SE_SF_SG_E_clIS8_S8_S9_S9_EESD_ST_SE_SF_SG_EUlST_E_NS1_11comp_targetILNS1_3genE3ELNS1_11target_archE908ELNS1_3gpuE7ELNS1_3repE0EEENS1_48merge_mergepath_partition_config_static_selectorELNS0_4arch9wavefront6targetE0EEEvSF_,comdat
	.protected	_ZN7rocprim17ROCPRIM_400000_NS6detail17trampoline_kernelINS0_14default_configENS1_38merge_sort_block_merge_config_selectorIiNS0_10empty_typeEEEZZNS1_27merge_sort_block_merge_implIS3_PiPS5_jNS1_19radix_merge_compareILb1ELb0EiNS0_19identity_decomposerEEEEE10hipError_tT0_T1_T2_jT3_P12ihipStream_tbPNSt15iterator_traitsISE_E10value_typeEPNSK_ISF_E10value_typeEPSG_NS1_7vsmem_tEENKUlT_SE_SF_SG_E_clIS8_S8_S9_S9_EESD_ST_SE_SF_SG_EUlST_E_NS1_11comp_targetILNS1_3genE3ELNS1_11target_archE908ELNS1_3gpuE7ELNS1_3repE0EEENS1_48merge_mergepath_partition_config_static_selectorELNS0_4arch9wavefront6targetE0EEEvSF_ ; -- Begin function _ZN7rocprim17ROCPRIM_400000_NS6detail17trampoline_kernelINS0_14default_configENS1_38merge_sort_block_merge_config_selectorIiNS0_10empty_typeEEEZZNS1_27merge_sort_block_merge_implIS3_PiPS5_jNS1_19radix_merge_compareILb1ELb0EiNS0_19identity_decomposerEEEEE10hipError_tT0_T1_T2_jT3_P12ihipStream_tbPNSt15iterator_traitsISE_E10value_typeEPNSK_ISF_E10value_typeEPSG_NS1_7vsmem_tEENKUlT_SE_SF_SG_E_clIS8_S8_S9_S9_EESD_ST_SE_SF_SG_EUlST_E_NS1_11comp_targetILNS1_3genE3ELNS1_11target_archE908ELNS1_3gpuE7ELNS1_3repE0EEENS1_48merge_mergepath_partition_config_static_selectorELNS0_4arch9wavefront6targetE0EEEvSF_
	.globl	_ZN7rocprim17ROCPRIM_400000_NS6detail17trampoline_kernelINS0_14default_configENS1_38merge_sort_block_merge_config_selectorIiNS0_10empty_typeEEEZZNS1_27merge_sort_block_merge_implIS3_PiPS5_jNS1_19radix_merge_compareILb1ELb0EiNS0_19identity_decomposerEEEEE10hipError_tT0_T1_T2_jT3_P12ihipStream_tbPNSt15iterator_traitsISE_E10value_typeEPNSK_ISF_E10value_typeEPSG_NS1_7vsmem_tEENKUlT_SE_SF_SG_E_clIS8_S8_S9_S9_EESD_ST_SE_SF_SG_EUlST_E_NS1_11comp_targetILNS1_3genE3ELNS1_11target_archE908ELNS1_3gpuE7ELNS1_3repE0EEENS1_48merge_mergepath_partition_config_static_selectorELNS0_4arch9wavefront6targetE0EEEvSF_
	.p2align	8
	.type	_ZN7rocprim17ROCPRIM_400000_NS6detail17trampoline_kernelINS0_14default_configENS1_38merge_sort_block_merge_config_selectorIiNS0_10empty_typeEEEZZNS1_27merge_sort_block_merge_implIS3_PiPS5_jNS1_19radix_merge_compareILb1ELb0EiNS0_19identity_decomposerEEEEE10hipError_tT0_T1_T2_jT3_P12ihipStream_tbPNSt15iterator_traitsISE_E10value_typeEPNSK_ISF_E10value_typeEPSG_NS1_7vsmem_tEENKUlT_SE_SF_SG_E_clIS8_S8_S9_S9_EESD_ST_SE_SF_SG_EUlST_E_NS1_11comp_targetILNS1_3genE3ELNS1_11target_archE908ELNS1_3gpuE7ELNS1_3repE0EEENS1_48merge_mergepath_partition_config_static_selectorELNS0_4arch9wavefront6targetE0EEEvSF_,@function
_ZN7rocprim17ROCPRIM_400000_NS6detail17trampoline_kernelINS0_14default_configENS1_38merge_sort_block_merge_config_selectorIiNS0_10empty_typeEEEZZNS1_27merge_sort_block_merge_implIS3_PiPS5_jNS1_19radix_merge_compareILb1ELb0EiNS0_19identity_decomposerEEEEE10hipError_tT0_T1_T2_jT3_P12ihipStream_tbPNSt15iterator_traitsISE_E10value_typeEPNSK_ISF_E10value_typeEPSG_NS1_7vsmem_tEENKUlT_SE_SF_SG_E_clIS8_S8_S9_S9_EESD_ST_SE_SF_SG_EUlST_E_NS1_11comp_targetILNS1_3genE3ELNS1_11target_archE908ELNS1_3gpuE7ELNS1_3repE0EEENS1_48merge_mergepath_partition_config_static_selectorELNS0_4arch9wavefront6targetE0EEEvSF_: ; @_ZN7rocprim17ROCPRIM_400000_NS6detail17trampoline_kernelINS0_14default_configENS1_38merge_sort_block_merge_config_selectorIiNS0_10empty_typeEEEZZNS1_27merge_sort_block_merge_implIS3_PiPS5_jNS1_19radix_merge_compareILb1ELb0EiNS0_19identity_decomposerEEEEE10hipError_tT0_T1_T2_jT3_P12ihipStream_tbPNSt15iterator_traitsISE_E10value_typeEPNSK_ISF_E10value_typeEPSG_NS1_7vsmem_tEENKUlT_SE_SF_SG_E_clIS8_S8_S9_S9_EESD_ST_SE_SF_SG_EUlST_E_NS1_11comp_targetILNS1_3genE3ELNS1_11target_archE908ELNS1_3gpuE7ELNS1_3repE0EEENS1_48merge_mergepath_partition_config_static_selectorELNS0_4arch9wavefront6targetE0EEEvSF_
; %bb.0:
	.section	.rodata,"a",@progbits
	.p2align	6, 0x0
	.amdhsa_kernel _ZN7rocprim17ROCPRIM_400000_NS6detail17trampoline_kernelINS0_14default_configENS1_38merge_sort_block_merge_config_selectorIiNS0_10empty_typeEEEZZNS1_27merge_sort_block_merge_implIS3_PiPS5_jNS1_19radix_merge_compareILb1ELb0EiNS0_19identity_decomposerEEEEE10hipError_tT0_T1_T2_jT3_P12ihipStream_tbPNSt15iterator_traitsISE_E10value_typeEPNSK_ISF_E10value_typeEPSG_NS1_7vsmem_tEENKUlT_SE_SF_SG_E_clIS8_S8_S9_S9_EESD_ST_SE_SF_SG_EUlST_E_NS1_11comp_targetILNS1_3genE3ELNS1_11target_archE908ELNS1_3gpuE7ELNS1_3repE0EEENS1_48merge_mergepath_partition_config_static_selectorELNS0_4arch9wavefront6targetE0EEEvSF_
		.amdhsa_group_segment_fixed_size 0
		.amdhsa_private_segment_fixed_size 0
		.amdhsa_kernarg_size 40
		.amdhsa_user_sgpr_count 2
		.amdhsa_user_sgpr_dispatch_ptr 0
		.amdhsa_user_sgpr_queue_ptr 0
		.amdhsa_user_sgpr_kernarg_segment_ptr 1
		.amdhsa_user_sgpr_dispatch_id 0
		.amdhsa_user_sgpr_kernarg_preload_length 0
		.amdhsa_user_sgpr_kernarg_preload_offset 0
		.amdhsa_user_sgpr_private_segment_size 0
		.amdhsa_wavefront_size32 1
		.amdhsa_uses_dynamic_stack 0
		.amdhsa_enable_private_segment 0
		.amdhsa_system_sgpr_workgroup_id_x 1
		.amdhsa_system_sgpr_workgroup_id_y 0
		.amdhsa_system_sgpr_workgroup_id_z 0
		.amdhsa_system_sgpr_workgroup_info 0
		.amdhsa_system_vgpr_workitem_id 0
		.amdhsa_next_free_vgpr 1
		.amdhsa_next_free_sgpr 1
		.amdhsa_named_barrier_count 0
		.amdhsa_reserve_vcc 0
		.amdhsa_float_round_mode_32 0
		.amdhsa_float_round_mode_16_64 0
		.amdhsa_float_denorm_mode_32 3
		.amdhsa_float_denorm_mode_16_64 3
		.amdhsa_fp16_overflow 0
		.amdhsa_memory_ordered 1
		.amdhsa_forward_progress 1
		.amdhsa_inst_pref_size 0
		.amdhsa_round_robin_scheduling 0
		.amdhsa_exception_fp_ieee_invalid_op 0
		.amdhsa_exception_fp_denorm_src 0
		.amdhsa_exception_fp_ieee_div_zero 0
		.amdhsa_exception_fp_ieee_overflow 0
		.amdhsa_exception_fp_ieee_underflow 0
		.amdhsa_exception_fp_ieee_inexact 0
		.amdhsa_exception_int_div_zero 0
	.end_amdhsa_kernel
	.section	.text._ZN7rocprim17ROCPRIM_400000_NS6detail17trampoline_kernelINS0_14default_configENS1_38merge_sort_block_merge_config_selectorIiNS0_10empty_typeEEEZZNS1_27merge_sort_block_merge_implIS3_PiPS5_jNS1_19radix_merge_compareILb1ELb0EiNS0_19identity_decomposerEEEEE10hipError_tT0_T1_T2_jT3_P12ihipStream_tbPNSt15iterator_traitsISE_E10value_typeEPNSK_ISF_E10value_typeEPSG_NS1_7vsmem_tEENKUlT_SE_SF_SG_E_clIS8_S8_S9_S9_EESD_ST_SE_SF_SG_EUlST_E_NS1_11comp_targetILNS1_3genE3ELNS1_11target_archE908ELNS1_3gpuE7ELNS1_3repE0EEENS1_48merge_mergepath_partition_config_static_selectorELNS0_4arch9wavefront6targetE0EEEvSF_,"axG",@progbits,_ZN7rocprim17ROCPRIM_400000_NS6detail17trampoline_kernelINS0_14default_configENS1_38merge_sort_block_merge_config_selectorIiNS0_10empty_typeEEEZZNS1_27merge_sort_block_merge_implIS3_PiPS5_jNS1_19radix_merge_compareILb1ELb0EiNS0_19identity_decomposerEEEEE10hipError_tT0_T1_T2_jT3_P12ihipStream_tbPNSt15iterator_traitsISE_E10value_typeEPNSK_ISF_E10value_typeEPSG_NS1_7vsmem_tEENKUlT_SE_SF_SG_E_clIS8_S8_S9_S9_EESD_ST_SE_SF_SG_EUlST_E_NS1_11comp_targetILNS1_3genE3ELNS1_11target_archE908ELNS1_3gpuE7ELNS1_3repE0EEENS1_48merge_mergepath_partition_config_static_selectorELNS0_4arch9wavefront6targetE0EEEvSF_,comdat
.Lfunc_end771:
	.size	_ZN7rocprim17ROCPRIM_400000_NS6detail17trampoline_kernelINS0_14default_configENS1_38merge_sort_block_merge_config_selectorIiNS0_10empty_typeEEEZZNS1_27merge_sort_block_merge_implIS3_PiPS5_jNS1_19radix_merge_compareILb1ELb0EiNS0_19identity_decomposerEEEEE10hipError_tT0_T1_T2_jT3_P12ihipStream_tbPNSt15iterator_traitsISE_E10value_typeEPNSK_ISF_E10value_typeEPSG_NS1_7vsmem_tEENKUlT_SE_SF_SG_E_clIS8_S8_S9_S9_EESD_ST_SE_SF_SG_EUlST_E_NS1_11comp_targetILNS1_3genE3ELNS1_11target_archE908ELNS1_3gpuE7ELNS1_3repE0EEENS1_48merge_mergepath_partition_config_static_selectorELNS0_4arch9wavefront6targetE0EEEvSF_, .Lfunc_end771-_ZN7rocprim17ROCPRIM_400000_NS6detail17trampoline_kernelINS0_14default_configENS1_38merge_sort_block_merge_config_selectorIiNS0_10empty_typeEEEZZNS1_27merge_sort_block_merge_implIS3_PiPS5_jNS1_19radix_merge_compareILb1ELb0EiNS0_19identity_decomposerEEEEE10hipError_tT0_T1_T2_jT3_P12ihipStream_tbPNSt15iterator_traitsISE_E10value_typeEPNSK_ISF_E10value_typeEPSG_NS1_7vsmem_tEENKUlT_SE_SF_SG_E_clIS8_S8_S9_S9_EESD_ST_SE_SF_SG_EUlST_E_NS1_11comp_targetILNS1_3genE3ELNS1_11target_archE908ELNS1_3gpuE7ELNS1_3repE0EEENS1_48merge_mergepath_partition_config_static_selectorELNS0_4arch9wavefront6targetE0EEEvSF_
                                        ; -- End function
	.set _ZN7rocprim17ROCPRIM_400000_NS6detail17trampoline_kernelINS0_14default_configENS1_38merge_sort_block_merge_config_selectorIiNS0_10empty_typeEEEZZNS1_27merge_sort_block_merge_implIS3_PiPS5_jNS1_19radix_merge_compareILb1ELb0EiNS0_19identity_decomposerEEEEE10hipError_tT0_T1_T2_jT3_P12ihipStream_tbPNSt15iterator_traitsISE_E10value_typeEPNSK_ISF_E10value_typeEPSG_NS1_7vsmem_tEENKUlT_SE_SF_SG_E_clIS8_S8_S9_S9_EESD_ST_SE_SF_SG_EUlST_E_NS1_11comp_targetILNS1_3genE3ELNS1_11target_archE908ELNS1_3gpuE7ELNS1_3repE0EEENS1_48merge_mergepath_partition_config_static_selectorELNS0_4arch9wavefront6targetE0EEEvSF_.num_vgpr, 0
	.set _ZN7rocprim17ROCPRIM_400000_NS6detail17trampoline_kernelINS0_14default_configENS1_38merge_sort_block_merge_config_selectorIiNS0_10empty_typeEEEZZNS1_27merge_sort_block_merge_implIS3_PiPS5_jNS1_19radix_merge_compareILb1ELb0EiNS0_19identity_decomposerEEEEE10hipError_tT0_T1_T2_jT3_P12ihipStream_tbPNSt15iterator_traitsISE_E10value_typeEPNSK_ISF_E10value_typeEPSG_NS1_7vsmem_tEENKUlT_SE_SF_SG_E_clIS8_S8_S9_S9_EESD_ST_SE_SF_SG_EUlST_E_NS1_11comp_targetILNS1_3genE3ELNS1_11target_archE908ELNS1_3gpuE7ELNS1_3repE0EEENS1_48merge_mergepath_partition_config_static_selectorELNS0_4arch9wavefront6targetE0EEEvSF_.num_agpr, 0
	.set _ZN7rocprim17ROCPRIM_400000_NS6detail17trampoline_kernelINS0_14default_configENS1_38merge_sort_block_merge_config_selectorIiNS0_10empty_typeEEEZZNS1_27merge_sort_block_merge_implIS3_PiPS5_jNS1_19radix_merge_compareILb1ELb0EiNS0_19identity_decomposerEEEEE10hipError_tT0_T1_T2_jT3_P12ihipStream_tbPNSt15iterator_traitsISE_E10value_typeEPNSK_ISF_E10value_typeEPSG_NS1_7vsmem_tEENKUlT_SE_SF_SG_E_clIS8_S8_S9_S9_EESD_ST_SE_SF_SG_EUlST_E_NS1_11comp_targetILNS1_3genE3ELNS1_11target_archE908ELNS1_3gpuE7ELNS1_3repE0EEENS1_48merge_mergepath_partition_config_static_selectorELNS0_4arch9wavefront6targetE0EEEvSF_.numbered_sgpr, 0
	.set _ZN7rocprim17ROCPRIM_400000_NS6detail17trampoline_kernelINS0_14default_configENS1_38merge_sort_block_merge_config_selectorIiNS0_10empty_typeEEEZZNS1_27merge_sort_block_merge_implIS3_PiPS5_jNS1_19radix_merge_compareILb1ELb0EiNS0_19identity_decomposerEEEEE10hipError_tT0_T1_T2_jT3_P12ihipStream_tbPNSt15iterator_traitsISE_E10value_typeEPNSK_ISF_E10value_typeEPSG_NS1_7vsmem_tEENKUlT_SE_SF_SG_E_clIS8_S8_S9_S9_EESD_ST_SE_SF_SG_EUlST_E_NS1_11comp_targetILNS1_3genE3ELNS1_11target_archE908ELNS1_3gpuE7ELNS1_3repE0EEENS1_48merge_mergepath_partition_config_static_selectorELNS0_4arch9wavefront6targetE0EEEvSF_.num_named_barrier, 0
	.set _ZN7rocprim17ROCPRIM_400000_NS6detail17trampoline_kernelINS0_14default_configENS1_38merge_sort_block_merge_config_selectorIiNS0_10empty_typeEEEZZNS1_27merge_sort_block_merge_implIS3_PiPS5_jNS1_19radix_merge_compareILb1ELb0EiNS0_19identity_decomposerEEEEE10hipError_tT0_T1_T2_jT3_P12ihipStream_tbPNSt15iterator_traitsISE_E10value_typeEPNSK_ISF_E10value_typeEPSG_NS1_7vsmem_tEENKUlT_SE_SF_SG_E_clIS8_S8_S9_S9_EESD_ST_SE_SF_SG_EUlST_E_NS1_11comp_targetILNS1_3genE3ELNS1_11target_archE908ELNS1_3gpuE7ELNS1_3repE0EEENS1_48merge_mergepath_partition_config_static_selectorELNS0_4arch9wavefront6targetE0EEEvSF_.private_seg_size, 0
	.set _ZN7rocprim17ROCPRIM_400000_NS6detail17trampoline_kernelINS0_14default_configENS1_38merge_sort_block_merge_config_selectorIiNS0_10empty_typeEEEZZNS1_27merge_sort_block_merge_implIS3_PiPS5_jNS1_19radix_merge_compareILb1ELb0EiNS0_19identity_decomposerEEEEE10hipError_tT0_T1_T2_jT3_P12ihipStream_tbPNSt15iterator_traitsISE_E10value_typeEPNSK_ISF_E10value_typeEPSG_NS1_7vsmem_tEENKUlT_SE_SF_SG_E_clIS8_S8_S9_S9_EESD_ST_SE_SF_SG_EUlST_E_NS1_11comp_targetILNS1_3genE3ELNS1_11target_archE908ELNS1_3gpuE7ELNS1_3repE0EEENS1_48merge_mergepath_partition_config_static_selectorELNS0_4arch9wavefront6targetE0EEEvSF_.uses_vcc, 0
	.set _ZN7rocprim17ROCPRIM_400000_NS6detail17trampoline_kernelINS0_14default_configENS1_38merge_sort_block_merge_config_selectorIiNS0_10empty_typeEEEZZNS1_27merge_sort_block_merge_implIS3_PiPS5_jNS1_19radix_merge_compareILb1ELb0EiNS0_19identity_decomposerEEEEE10hipError_tT0_T1_T2_jT3_P12ihipStream_tbPNSt15iterator_traitsISE_E10value_typeEPNSK_ISF_E10value_typeEPSG_NS1_7vsmem_tEENKUlT_SE_SF_SG_E_clIS8_S8_S9_S9_EESD_ST_SE_SF_SG_EUlST_E_NS1_11comp_targetILNS1_3genE3ELNS1_11target_archE908ELNS1_3gpuE7ELNS1_3repE0EEENS1_48merge_mergepath_partition_config_static_selectorELNS0_4arch9wavefront6targetE0EEEvSF_.uses_flat_scratch, 0
	.set _ZN7rocprim17ROCPRIM_400000_NS6detail17trampoline_kernelINS0_14default_configENS1_38merge_sort_block_merge_config_selectorIiNS0_10empty_typeEEEZZNS1_27merge_sort_block_merge_implIS3_PiPS5_jNS1_19radix_merge_compareILb1ELb0EiNS0_19identity_decomposerEEEEE10hipError_tT0_T1_T2_jT3_P12ihipStream_tbPNSt15iterator_traitsISE_E10value_typeEPNSK_ISF_E10value_typeEPSG_NS1_7vsmem_tEENKUlT_SE_SF_SG_E_clIS8_S8_S9_S9_EESD_ST_SE_SF_SG_EUlST_E_NS1_11comp_targetILNS1_3genE3ELNS1_11target_archE908ELNS1_3gpuE7ELNS1_3repE0EEENS1_48merge_mergepath_partition_config_static_selectorELNS0_4arch9wavefront6targetE0EEEvSF_.has_dyn_sized_stack, 0
	.set _ZN7rocprim17ROCPRIM_400000_NS6detail17trampoline_kernelINS0_14default_configENS1_38merge_sort_block_merge_config_selectorIiNS0_10empty_typeEEEZZNS1_27merge_sort_block_merge_implIS3_PiPS5_jNS1_19radix_merge_compareILb1ELb0EiNS0_19identity_decomposerEEEEE10hipError_tT0_T1_T2_jT3_P12ihipStream_tbPNSt15iterator_traitsISE_E10value_typeEPNSK_ISF_E10value_typeEPSG_NS1_7vsmem_tEENKUlT_SE_SF_SG_E_clIS8_S8_S9_S9_EESD_ST_SE_SF_SG_EUlST_E_NS1_11comp_targetILNS1_3genE3ELNS1_11target_archE908ELNS1_3gpuE7ELNS1_3repE0EEENS1_48merge_mergepath_partition_config_static_selectorELNS0_4arch9wavefront6targetE0EEEvSF_.has_recursion, 0
	.set _ZN7rocprim17ROCPRIM_400000_NS6detail17trampoline_kernelINS0_14default_configENS1_38merge_sort_block_merge_config_selectorIiNS0_10empty_typeEEEZZNS1_27merge_sort_block_merge_implIS3_PiPS5_jNS1_19radix_merge_compareILb1ELb0EiNS0_19identity_decomposerEEEEE10hipError_tT0_T1_T2_jT3_P12ihipStream_tbPNSt15iterator_traitsISE_E10value_typeEPNSK_ISF_E10value_typeEPSG_NS1_7vsmem_tEENKUlT_SE_SF_SG_E_clIS8_S8_S9_S9_EESD_ST_SE_SF_SG_EUlST_E_NS1_11comp_targetILNS1_3genE3ELNS1_11target_archE908ELNS1_3gpuE7ELNS1_3repE0EEENS1_48merge_mergepath_partition_config_static_selectorELNS0_4arch9wavefront6targetE0EEEvSF_.has_indirect_call, 0
	.section	.AMDGPU.csdata,"",@progbits
; Kernel info:
; codeLenInByte = 0
; TotalNumSgprs: 0
; NumVgprs: 0
; ScratchSize: 0
; MemoryBound: 0
; FloatMode: 240
; IeeeMode: 1
; LDSByteSize: 0 bytes/workgroup (compile time only)
; SGPRBlocks: 0
; VGPRBlocks: 0
; NumSGPRsForWavesPerEU: 1
; NumVGPRsForWavesPerEU: 1
; NamedBarCnt: 0
; Occupancy: 16
; WaveLimiterHint : 0
; COMPUTE_PGM_RSRC2:SCRATCH_EN: 0
; COMPUTE_PGM_RSRC2:USER_SGPR: 2
; COMPUTE_PGM_RSRC2:TRAP_HANDLER: 0
; COMPUTE_PGM_RSRC2:TGID_X_EN: 1
; COMPUTE_PGM_RSRC2:TGID_Y_EN: 0
; COMPUTE_PGM_RSRC2:TGID_Z_EN: 0
; COMPUTE_PGM_RSRC2:TIDIG_COMP_CNT: 0
	.section	.text._ZN7rocprim17ROCPRIM_400000_NS6detail17trampoline_kernelINS0_14default_configENS1_38merge_sort_block_merge_config_selectorIiNS0_10empty_typeEEEZZNS1_27merge_sort_block_merge_implIS3_PiPS5_jNS1_19radix_merge_compareILb1ELb0EiNS0_19identity_decomposerEEEEE10hipError_tT0_T1_T2_jT3_P12ihipStream_tbPNSt15iterator_traitsISE_E10value_typeEPNSK_ISF_E10value_typeEPSG_NS1_7vsmem_tEENKUlT_SE_SF_SG_E_clIS8_S8_S9_S9_EESD_ST_SE_SF_SG_EUlST_E_NS1_11comp_targetILNS1_3genE2ELNS1_11target_archE906ELNS1_3gpuE6ELNS1_3repE0EEENS1_48merge_mergepath_partition_config_static_selectorELNS0_4arch9wavefront6targetE0EEEvSF_,"axG",@progbits,_ZN7rocprim17ROCPRIM_400000_NS6detail17trampoline_kernelINS0_14default_configENS1_38merge_sort_block_merge_config_selectorIiNS0_10empty_typeEEEZZNS1_27merge_sort_block_merge_implIS3_PiPS5_jNS1_19radix_merge_compareILb1ELb0EiNS0_19identity_decomposerEEEEE10hipError_tT0_T1_T2_jT3_P12ihipStream_tbPNSt15iterator_traitsISE_E10value_typeEPNSK_ISF_E10value_typeEPSG_NS1_7vsmem_tEENKUlT_SE_SF_SG_E_clIS8_S8_S9_S9_EESD_ST_SE_SF_SG_EUlST_E_NS1_11comp_targetILNS1_3genE2ELNS1_11target_archE906ELNS1_3gpuE6ELNS1_3repE0EEENS1_48merge_mergepath_partition_config_static_selectorELNS0_4arch9wavefront6targetE0EEEvSF_,comdat
	.protected	_ZN7rocprim17ROCPRIM_400000_NS6detail17trampoline_kernelINS0_14default_configENS1_38merge_sort_block_merge_config_selectorIiNS0_10empty_typeEEEZZNS1_27merge_sort_block_merge_implIS3_PiPS5_jNS1_19radix_merge_compareILb1ELb0EiNS0_19identity_decomposerEEEEE10hipError_tT0_T1_T2_jT3_P12ihipStream_tbPNSt15iterator_traitsISE_E10value_typeEPNSK_ISF_E10value_typeEPSG_NS1_7vsmem_tEENKUlT_SE_SF_SG_E_clIS8_S8_S9_S9_EESD_ST_SE_SF_SG_EUlST_E_NS1_11comp_targetILNS1_3genE2ELNS1_11target_archE906ELNS1_3gpuE6ELNS1_3repE0EEENS1_48merge_mergepath_partition_config_static_selectorELNS0_4arch9wavefront6targetE0EEEvSF_ ; -- Begin function _ZN7rocprim17ROCPRIM_400000_NS6detail17trampoline_kernelINS0_14default_configENS1_38merge_sort_block_merge_config_selectorIiNS0_10empty_typeEEEZZNS1_27merge_sort_block_merge_implIS3_PiPS5_jNS1_19radix_merge_compareILb1ELb0EiNS0_19identity_decomposerEEEEE10hipError_tT0_T1_T2_jT3_P12ihipStream_tbPNSt15iterator_traitsISE_E10value_typeEPNSK_ISF_E10value_typeEPSG_NS1_7vsmem_tEENKUlT_SE_SF_SG_E_clIS8_S8_S9_S9_EESD_ST_SE_SF_SG_EUlST_E_NS1_11comp_targetILNS1_3genE2ELNS1_11target_archE906ELNS1_3gpuE6ELNS1_3repE0EEENS1_48merge_mergepath_partition_config_static_selectorELNS0_4arch9wavefront6targetE0EEEvSF_
	.globl	_ZN7rocprim17ROCPRIM_400000_NS6detail17trampoline_kernelINS0_14default_configENS1_38merge_sort_block_merge_config_selectorIiNS0_10empty_typeEEEZZNS1_27merge_sort_block_merge_implIS3_PiPS5_jNS1_19radix_merge_compareILb1ELb0EiNS0_19identity_decomposerEEEEE10hipError_tT0_T1_T2_jT3_P12ihipStream_tbPNSt15iterator_traitsISE_E10value_typeEPNSK_ISF_E10value_typeEPSG_NS1_7vsmem_tEENKUlT_SE_SF_SG_E_clIS8_S8_S9_S9_EESD_ST_SE_SF_SG_EUlST_E_NS1_11comp_targetILNS1_3genE2ELNS1_11target_archE906ELNS1_3gpuE6ELNS1_3repE0EEENS1_48merge_mergepath_partition_config_static_selectorELNS0_4arch9wavefront6targetE0EEEvSF_
	.p2align	8
	.type	_ZN7rocprim17ROCPRIM_400000_NS6detail17trampoline_kernelINS0_14default_configENS1_38merge_sort_block_merge_config_selectorIiNS0_10empty_typeEEEZZNS1_27merge_sort_block_merge_implIS3_PiPS5_jNS1_19radix_merge_compareILb1ELb0EiNS0_19identity_decomposerEEEEE10hipError_tT0_T1_T2_jT3_P12ihipStream_tbPNSt15iterator_traitsISE_E10value_typeEPNSK_ISF_E10value_typeEPSG_NS1_7vsmem_tEENKUlT_SE_SF_SG_E_clIS8_S8_S9_S9_EESD_ST_SE_SF_SG_EUlST_E_NS1_11comp_targetILNS1_3genE2ELNS1_11target_archE906ELNS1_3gpuE6ELNS1_3repE0EEENS1_48merge_mergepath_partition_config_static_selectorELNS0_4arch9wavefront6targetE0EEEvSF_,@function
_ZN7rocprim17ROCPRIM_400000_NS6detail17trampoline_kernelINS0_14default_configENS1_38merge_sort_block_merge_config_selectorIiNS0_10empty_typeEEEZZNS1_27merge_sort_block_merge_implIS3_PiPS5_jNS1_19radix_merge_compareILb1ELb0EiNS0_19identity_decomposerEEEEE10hipError_tT0_T1_T2_jT3_P12ihipStream_tbPNSt15iterator_traitsISE_E10value_typeEPNSK_ISF_E10value_typeEPSG_NS1_7vsmem_tEENKUlT_SE_SF_SG_E_clIS8_S8_S9_S9_EESD_ST_SE_SF_SG_EUlST_E_NS1_11comp_targetILNS1_3genE2ELNS1_11target_archE906ELNS1_3gpuE6ELNS1_3repE0EEENS1_48merge_mergepath_partition_config_static_selectorELNS0_4arch9wavefront6targetE0EEEvSF_: ; @_ZN7rocprim17ROCPRIM_400000_NS6detail17trampoline_kernelINS0_14default_configENS1_38merge_sort_block_merge_config_selectorIiNS0_10empty_typeEEEZZNS1_27merge_sort_block_merge_implIS3_PiPS5_jNS1_19radix_merge_compareILb1ELb0EiNS0_19identity_decomposerEEEEE10hipError_tT0_T1_T2_jT3_P12ihipStream_tbPNSt15iterator_traitsISE_E10value_typeEPNSK_ISF_E10value_typeEPSG_NS1_7vsmem_tEENKUlT_SE_SF_SG_E_clIS8_S8_S9_S9_EESD_ST_SE_SF_SG_EUlST_E_NS1_11comp_targetILNS1_3genE2ELNS1_11target_archE906ELNS1_3gpuE6ELNS1_3repE0EEENS1_48merge_mergepath_partition_config_static_selectorELNS0_4arch9wavefront6targetE0EEEvSF_
; %bb.0:
	.section	.rodata,"a",@progbits
	.p2align	6, 0x0
	.amdhsa_kernel _ZN7rocprim17ROCPRIM_400000_NS6detail17trampoline_kernelINS0_14default_configENS1_38merge_sort_block_merge_config_selectorIiNS0_10empty_typeEEEZZNS1_27merge_sort_block_merge_implIS3_PiPS5_jNS1_19radix_merge_compareILb1ELb0EiNS0_19identity_decomposerEEEEE10hipError_tT0_T1_T2_jT3_P12ihipStream_tbPNSt15iterator_traitsISE_E10value_typeEPNSK_ISF_E10value_typeEPSG_NS1_7vsmem_tEENKUlT_SE_SF_SG_E_clIS8_S8_S9_S9_EESD_ST_SE_SF_SG_EUlST_E_NS1_11comp_targetILNS1_3genE2ELNS1_11target_archE906ELNS1_3gpuE6ELNS1_3repE0EEENS1_48merge_mergepath_partition_config_static_selectorELNS0_4arch9wavefront6targetE0EEEvSF_
		.amdhsa_group_segment_fixed_size 0
		.amdhsa_private_segment_fixed_size 0
		.amdhsa_kernarg_size 40
		.amdhsa_user_sgpr_count 2
		.amdhsa_user_sgpr_dispatch_ptr 0
		.amdhsa_user_sgpr_queue_ptr 0
		.amdhsa_user_sgpr_kernarg_segment_ptr 1
		.amdhsa_user_sgpr_dispatch_id 0
		.amdhsa_user_sgpr_kernarg_preload_length 0
		.amdhsa_user_sgpr_kernarg_preload_offset 0
		.amdhsa_user_sgpr_private_segment_size 0
		.amdhsa_wavefront_size32 1
		.amdhsa_uses_dynamic_stack 0
		.amdhsa_enable_private_segment 0
		.amdhsa_system_sgpr_workgroup_id_x 1
		.amdhsa_system_sgpr_workgroup_id_y 0
		.amdhsa_system_sgpr_workgroup_id_z 0
		.amdhsa_system_sgpr_workgroup_info 0
		.amdhsa_system_vgpr_workitem_id 0
		.amdhsa_next_free_vgpr 1
		.amdhsa_next_free_sgpr 1
		.amdhsa_named_barrier_count 0
		.amdhsa_reserve_vcc 0
		.amdhsa_float_round_mode_32 0
		.amdhsa_float_round_mode_16_64 0
		.amdhsa_float_denorm_mode_32 3
		.amdhsa_float_denorm_mode_16_64 3
		.amdhsa_fp16_overflow 0
		.amdhsa_memory_ordered 1
		.amdhsa_forward_progress 1
		.amdhsa_inst_pref_size 0
		.amdhsa_round_robin_scheduling 0
		.amdhsa_exception_fp_ieee_invalid_op 0
		.amdhsa_exception_fp_denorm_src 0
		.amdhsa_exception_fp_ieee_div_zero 0
		.amdhsa_exception_fp_ieee_overflow 0
		.amdhsa_exception_fp_ieee_underflow 0
		.amdhsa_exception_fp_ieee_inexact 0
		.amdhsa_exception_int_div_zero 0
	.end_amdhsa_kernel
	.section	.text._ZN7rocprim17ROCPRIM_400000_NS6detail17trampoline_kernelINS0_14default_configENS1_38merge_sort_block_merge_config_selectorIiNS0_10empty_typeEEEZZNS1_27merge_sort_block_merge_implIS3_PiPS5_jNS1_19radix_merge_compareILb1ELb0EiNS0_19identity_decomposerEEEEE10hipError_tT0_T1_T2_jT3_P12ihipStream_tbPNSt15iterator_traitsISE_E10value_typeEPNSK_ISF_E10value_typeEPSG_NS1_7vsmem_tEENKUlT_SE_SF_SG_E_clIS8_S8_S9_S9_EESD_ST_SE_SF_SG_EUlST_E_NS1_11comp_targetILNS1_3genE2ELNS1_11target_archE906ELNS1_3gpuE6ELNS1_3repE0EEENS1_48merge_mergepath_partition_config_static_selectorELNS0_4arch9wavefront6targetE0EEEvSF_,"axG",@progbits,_ZN7rocprim17ROCPRIM_400000_NS6detail17trampoline_kernelINS0_14default_configENS1_38merge_sort_block_merge_config_selectorIiNS0_10empty_typeEEEZZNS1_27merge_sort_block_merge_implIS3_PiPS5_jNS1_19radix_merge_compareILb1ELb0EiNS0_19identity_decomposerEEEEE10hipError_tT0_T1_T2_jT3_P12ihipStream_tbPNSt15iterator_traitsISE_E10value_typeEPNSK_ISF_E10value_typeEPSG_NS1_7vsmem_tEENKUlT_SE_SF_SG_E_clIS8_S8_S9_S9_EESD_ST_SE_SF_SG_EUlST_E_NS1_11comp_targetILNS1_3genE2ELNS1_11target_archE906ELNS1_3gpuE6ELNS1_3repE0EEENS1_48merge_mergepath_partition_config_static_selectorELNS0_4arch9wavefront6targetE0EEEvSF_,comdat
.Lfunc_end772:
	.size	_ZN7rocprim17ROCPRIM_400000_NS6detail17trampoline_kernelINS0_14default_configENS1_38merge_sort_block_merge_config_selectorIiNS0_10empty_typeEEEZZNS1_27merge_sort_block_merge_implIS3_PiPS5_jNS1_19radix_merge_compareILb1ELb0EiNS0_19identity_decomposerEEEEE10hipError_tT0_T1_T2_jT3_P12ihipStream_tbPNSt15iterator_traitsISE_E10value_typeEPNSK_ISF_E10value_typeEPSG_NS1_7vsmem_tEENKUlT_SE_SF_SG_E_clIS8_S8_S9_S9_EESD_ST_SE_SF_SG_EUlST_E_NS1_11comp_targetILNS1_3genE2ELNS1_11target_archE906ELNS1_3gpuE6ELNS1_3repE0EEENS1_48merge_mergepath_partition_config_static_selectorELNS0_4arch9wavefront6targetE0EEEvSF_, .Lfunc_end772-_ZN7rocprim17ROCPRIM_400000_NS6detail17trampoline_kernelINS0_14default_configENS1_38merge_sort_block_merge_config_selectorIiNS0_10empty_typeEEEZZNS1_27merge_sort_block_merge_implIS3_PiPS5_jNS1_19radix_merge_compareILb1ELb0EiNS0_19identity_decomposerEEEEE10hipError_tT0_T1_T2_jT3_P12ihipStream_tbPNSt15iterator_traitsISE_E10value_typeEPNSK_ISF_E10value_typeEPSG_NS1_7vsmem_tEENKUlT_SE_SF_SG_E_clIS8_S8_S9_S9_EESD_ST_SE_SF_SG_EUlST_E_NS1_11comp_targetILNS1_3genE2ELNS1_11target_archE906ELNS1_3gpuE6ELNS1_3repE0EEENS1_48merge_mergepath_partition_config_static_selectorELNS0_4arch9wavefront6targetE0EEEvSF_
                                        ; -- End function
	.set _ZN7rocprim17ROCPRIM_400000_NS6detail17trampoline_kernelINS0_14default_configENS1_38merge_sort_block_merge_config_selectorIiNS0_10empty_typeEEEZZNS1_27merge_sort_block_merge_implIS3_PiPS5_jNS1_19radix_merge_compareILb1ELb0EiNS0_19identity_decomposerEEEEE10hipError_tT0_T1_T2_jT3_P12ihipStream_tbPNSt15iterator_traitsISE_E10value_typeEPNSK_ISF_E10value_typeEPSG_NS1_7vsmem_tEENKUlT_SE_SF_SG_E_clIS8_S8_S9_S9_EESD_ST_SE_SF_SG_EUlST_E_NS1_11comp_targetILNS1_3genE2ELNS1_11target_archE906ELNS1_3gpuE6ELNS1_3repE0EEENS1_48merge_mergepath_partition_config_static_selectorELNS0_4arch9wavefront6targetE0EEEvSF_.num_vgpr, 0
	.set _ZN7rocprim17ROCPRIM_400000_NS6detail17trampoline_kernelINS0_14default_configENS1_38merge_sort_block_merge_config_selectorIiNS0_10empty_typeEEEZZNS1_27merge_sort_block_merge_implIS3_PiPS5_jNS1_19radix_merge_compareILb1ELb0EiNS0_19identity_decomposerEEEEE10hipError_tT0_T1_T2_jT3_P12ihipStream_tbPNSt15iterator_traitsISE_E10value_typeEPNSK_ISF_E10value_typeEPSG_NS1_7vsmem_tEENKUlT_SE_SF_SG_E_clIS8_S8_S9_S9_EESD_ST_SE_SF_SG_EUlST_E_NS1_11comp_targetILNS1_3genE2ELNS1_11target_archE906ELNS1_3gpuE6ELNS1_3repE0EEENS1_48merge_mergepath_partition_config_static_selectorELNS0_4arch9wavefront6targetE0EEEvSF_.num_agpr, 0
	.set _ZN7rocprim17ROCPRIM_400000_NS6detail17trampoline_kernelINS0_14default_configENS1_38merge_sort_block_merge_config_selectorIiNS0_10empty_typeEEEZZNS1_27merge_sort_block_merge_implIS3_PiPS5_jNS1_19radix_merge_compareILb1ELb0EiNS0_19identity_decomposerEEEEE10hipError_tT0_T1_T2_jT3_P12ihipStream_tbPNSt15iterator_traitsISE_E10value_typeEPNSK_ISF_E10value_typeEPSG_NS1_7vsmem_tEENKUlT_SE_SF_SG_E_clIS8_S8_S9_S9_EESD_ST_SE_SF_SG_EUlST_E_NS1_11comp_targetILNS1_3genE2ELNS1_11target_archE906ELNS1_3gpuE6ELNS1_3repE0EEENS1_48merge_mergepath_partition_config_static_selectorELNS0_4arch9wavefront6targetE0EEEvSF_.numbered_sgpr, 0
	.set _ZN7rocprim17ROCPRIM_400000_NS6detail17trampoline_kernelINS0_14default_configENS1_38merge_sort_block_merge_config_selectorIiNS0_10empty_typeEEEZZNS1_27merge_sort_block_merge_implIS3_PiPS5_jNS1_19radix_merge_compareILb1ELb0EiNS0_19identity_decomposerEEEEE10hipError_tT0_T1_T2_jT3_P12ihipStream_tbPNSt15iterator_traitsISE_E10value_typeEPNSK_ISF_E10value_typeEPSG_NS1_7vsmem_tEENKUlT_SE_SF_SG_E_clIS8_S8_S9_S9_EESD_ST_SE_SF_SG_EUlST_E_NS1_11comp_targetILNS1_3genE2ELNS1_11target_archE906ELNS1_3gpuE6ELNS1_3repE0EEENS1_48merge_mergepath_partition_config_static_selectorELNS0_4arch9wavefront6targetE0EEEvSF_.num_named_barrier, 0
	.set _ZN7rocprim17ROCPRIM_400000_NS6detail17trampoline_kernelINS0_14default_configENS1_38merge_sort_block_merge_config_selectorIiNS0_10empty_typeEEEZZNS1_27merge_sort_block_merge_implIS3_PiPS5_jNS1_19radix_merge_compareILb1ELb0EiNS0_19identity_decomposerEEEEE10hipError_tT0_T1_T2_jT3_P12ihipStream_tbPNSt15iterator_traitsISE_E10value_typeEPNSK_ISF_E10value_typeEPSG_NS1_7vsmem_tEENKUlT_SE_SF_SG_E_clIS8_S8_S9_S9_EESD_ST_SE_SF_SG_EUlST_E_NS1_11comp_targetILNS1_3genE2ELNS1_11target_archE906ELNS1_3gpuE6ELNS1_3repE0EEENS1_48merge_mergepath_partition_config_static_selectorELNS0_4arch9wavefront6targetE0EEEvSF_.private_seg_size, 0
	.set _ZN7rocprim17ROCPRIM_400000_NS6detail17trampoline_kernelINS0_14default_configENS1_38merge_sort_block_merge_config_selectorIiNS0_10empty_typeEEEZZNS1_27merge_sort_block_merge_implIS3_PiPS5_jNS1_19radix_merge_compareILb1ELb0EiNS0_19identity_decomposerEEEEE10hipError_tT0_T1_T2_jT3_P12ihipStream_tbPNSt15iterator_traitsISE_E10value_typeEPNSK_ISF_E10value_typeEPSG_NS1_7vsmem_tEENKUlT_SE_SF_SG_E_clIS8_S8_S9_S9_EESD_ST_SE_SF_SG_EUlST_E_NS1_11comp_targetILNS1_3genE2ELNS1_11target_archE906ELNS1_3gpuE6ELNS1_3repE0EEENS1_48merge_mergepath_partition_config_static_selectorELNS0_4arch9wavefront6targetE0EEEvSF_.uses_vcc, 0
	.set _ZN7rocprim17ROCPRIM_400000_NS6detail17trampoline_kernelINS0_14default_configENS1_38merge_sort_block_merge_config_selectorIiNS0_10empty_typeEEEZZNS1_27merge_sort_block_merge_implIS3_PiPS5_jNS1_19radix_merge_compareILb1ELb0EiNS0_19identity_decomposerEEEEE10hipError_tT0_T1_T2_jT3_P12ihipStream_tbPNSt15iterator_traitsISE_E10value_typeEPNSK_ISF_E10value_typeEPSG_NS1_7vsmem_tEENKUlT_SE_SF_SG_E_clIS8_S8_S9_S9_EESD_ST_SE_SF_SG_EUlST_E_NS1_11comp_targetILNS1_3genE2ELNS1_11target_archE906ELNS1_3gpuE6ELNS1_3repE0EEENS1_48merge_mergepath_partition_config_static_selectorELNS0_4arch9wavefront6targetE0EEEvSF_.uses_flat_scratch, 0
	.set _ZN7rocprim17ROCPRIM_400000_NS6detail17trampoline_kernelINS0_14default_configENS1_38merge_sort_block_merge_config_selectorIiNS0_10empty_typeEEEZZNS1_27merge_sort_block_merge_implIS3_PiPS5_jNS1_19radix_merge_compareILb1ELb0EiNS0_19identity_decomposerEEEEE10hipError_tT0_T1_T2_jT3_P12ihipStream_tbPNSt15iterator_traitsISE_E10value_typeEPNSK_ISF_E10value_typeEPSG_NS1_7vsmem_tEENKUlT_SE_SF_SG_E_clIS8_S8_S9_S9_EESD_ST_SE_SF_SG_EUlST_E_NS1_11comp_targetILNS1_3genE2ELNS1_11target_archE906ELNS1_3gpuE6ELNS1_3repE0EEENS1_48merge_mergepath_partition_config_static_selectorELNS0_4arch9wavefront6targetE0EEEvSF_.has_dyn_sized_stack, 0
	.set _ZN7rocprim17ROCPRIM_400000_NS6detail17trampoline_kernelINS0_14default_configENS1_38merge_sort_block_merge_config_selectorIiNS0_10empty_typeEEEZZNS1_27merge_sort_block_merge_implIS3_PiPS5_jNS1_19radix_merge_compareILb1ELb0EiNS0_19identity_decomposerEEEEE10hipError_tT0_T1_T2_jT3_P12ihipStream_tbPNSt15iterator_traitsISE_E10value_typeEPNSK_ISF_E10value_typeEPSG_NS1_7vsmem_tEENKUlT_SE_SF_SG_E_clIS8_S8_S9_S9_EESD_ST_SE_SF_SG_EUlST_E_NS1_11comp_targetILNS1_3genE2ELNS1_11target_archE906ELNS1_3gpuE6ELNS1_3repE0EEENS1_48merge_mergepath_partition_config_static_selectorELNS0_4arch9wavefront6targetE0EEEvSF_.has_recursion, 0
	.set _ZN7rocprim17ROCPRIM_400000_NS6detail17trampoline_kernelINS0_14default_configENS1_38merge_sort_block_merge_config_selectorIiNS0_10empty_typeEEEZZNS1_27merge_sort_block_merge_implIS3_PiPS5_jNS1_19radix_merge_compareILb1ELb0EiNS0_19identity_decomposerEEEEE10hipError_tT0_T1_T2_jT3_P12ihipStream_tbPNSt15iterator_traitsISE_E10value_typeEPNSK_ISF_E10value_typeEPSG_NS1_7vsmem_tEENKUlT_SE_SF_SG_E_clIS8_S8_S9_S9_EESD_ST_SE_SF_SG_EUlST_E_NS1_11comp_targetILNS1_3genE2ELNS1_11target_archE906ELNS1_3gpuE6ELNS1_3repE0EEENS1_48merge_mergepath_partition_config_static_selectorELNS0_4arch9wavefront6targetE0EEEvSF_.has_indirect_call, 0
	.section	.AMDGPU.csdata,"",@progbits
; Kernel info:
; codeLenInByte = 0
; TotalNumSgprs: 0
; NumVgprs: 0
; ScratchSize: 0
; MemoryBound: 0
; FloatMode: 240
; IeeeMode: 1
; LDSByteSize: 0 bytes/workgroup (compile time only)
; SGPRBlocks: 0
; VGPRBlocks: 0
; NumSGPRsForWavesPerEU: 1
; NumVGPRsForWavesPerEU: 1
; NamedBarCnt: 0
; Occupancy: 16
; WaveLimiterHint : 0
; COMPUTE_PGM_RSRC2:SCRATCH_EN: 0
; COMPUTE_PGM_RSRC2:USER_SGPR: 2
; COMPUTE_PGM_RSRC2:TRAP_HANDLER: 0
; COMPUTE_PGM_RSRC2:TGID_X_EN: 1
; COMPUTE_PGM_RSRC2:TGID_Y_EN: 0
; COMPUTE_PGM_RSRC2:TGID_Z_EN: 0
; COMPUTE_PGM_RSRC2:TIDIG_COMP_CNT: 0
	.section	.text._ZN7rocprim17ROCPRIM_400000_NS6detail17trampoline_kernelINS0_14default_configENS1_38merge_sort_block_merge_config_selectorIiNS0_10empty_typeEEEZZNS1_27merge_sort_block_merge_implIS3_PiPS5_jNS1_19radix_merge_compareILb1ELb0EiNS0_19identity_decomposerEEEEE10hipError_tT0_T1_T2_jT3_P12ihipStream_tbPNSt15iterator_traitsISE_E10value_typeEPNSK_ISF_E10value_typeEPSG_NS1_7vsmem_tEENKUlT_SE_SF_SG_E_clIS8_S8_S9_S9_EESD_ST_SE_SF_SG_EUlST_E_NS1_11comp_targetILNS1_3genE9ELNS1_11target_archE1100ELNS1_3gpuE3ELNS1_3repE0EEENS1_48merge_mergepath_partition_config_static_selectorELNS0_4arch9wavefront6targetE0EEEvSF_,"axG",@progbits,_ZN7rocprim17ROCPRIM_400000_NS6detail17trampoline_kernelINS0_14default_configENS1_38merge_sort_block_merge_config_selectorIiNS0_10empty_typeEEEZZNS1_27merge_sort_block_merge_implIS3_PiPS5_jNS1_19radix_merge_compareILb1ELb0EiNS0_19identity_decomposerEEEEE10hipError_tT0_T1_T2_jT3_P12ihipStream_tbPNSt15iterator_traitsISE_E10value_typeEPNSK_ISF_E10value_typeEPSG_NS1_7vsmem_tEENKUlT_SE_SF_SG_E_clIS8_S8_S9_S9_EESD_ST_SE_SF_SG_EUlST_E_NS1_11comp_targetILNS1_3genE9ELNS1_11target_archE1100ELNS1_3gpuE3ELNS1_3repE0EEENS1_48merge_mergepath_partition_config_static_selectorELNS0_4arch9wavefront6targetE0EEEvSF_,comdat
	.protected	_ZN7rocprim17ROCPRIM_400000_NS6detail17trampoline_kernelINS0_14default_configENS1_38merge_sort_block_merge_config_selectorIiNS0_10empty_typeEEEZZNS1_27merge_sort_block_merge_implIS3_PiPS5_jNS1_19radix_merge_compareILb1ELb0EiNS0_19identity_decomposerEEEEE10hipError_tT0_T1_T2_jT3_P12ihipStream_tbPNSt15iterator_traitsISE_E10value_typeEPNSK_ISF_E10value_typeEPSG_NS1_7vsmem_tEENKUlT_SE_SF_SG_E_clIS8_S8_S9_S9_EESD_ST_SE_SF_SG_EUlST_E_NS1_11comp_targetILNS1_3genE9ELNS1_11target_archE1100ELNS1_3gpuE3ELNS1_3repE0EEENS1_48merge_mergepath_partition_config_static_selectorELNS0_4arch9wavefront6targetE0EEEvSF_ ; -- Begin function _ZN7rocprim17ROCPRIM_400000_NS6detail17trampoline_kernelINS0_14default_configENS1_38merge_sort_block_merge_config_selectorIiNS0_10empty_typeEEEZZNS1_27merge_sort_block_merge_implIS3_PiPS5_jNS1_19radix_merge_compareILb1ELb0EiNS0_19identity_decomposerEEEEE10hipError_tT0_T1_T2_jT3_P12ihipStream_tbPNSt15iterator_traitsISE_E10value_typeEPNSK_ISF_E10value_typeEPSG_NS1_7vsmem_tEENKUlT_SE_SF_SG_E_clIS8_S8_S9_S9_EESD_ST_SE_SF_SG_EUlST_E_NS1_11comp_targetILNS1_3genE9ELNS1_11target_archE1100ELNS1_3gpuE3ELNS1_3repE0EEENS1_48merge_mergepath_partition_config_static_selectorELNS0_4arch9wavefront6targetE0EEEvSF_
	.globl	_ZN7rocprim17ROCPRIM_400000_NS6detail17trampoline_kernelINS0_14default_configENS1_38merge_sort_block_merge_config_selectorIiNS0_10empty_typeEEEZZNS1_27merge_sort_block_merge_implIS3_PiPS5_jNS1_19radix_merge_compareILb1ELb0EiNS0_19identity_decomposerEEEEE10hipError_tT0_T1_T2_jT3_P12ihipStream_tbPNSt15iterator_traitsISE_E10value_typeEPNSK_ISF_E10value_typeEPSG_NS1_7vsmem_tEENKUlT_SE_SF_SG_E_clIS8_S8_S9_S9_EESD_ST_SE_SF_SG_EUlST_E_NS1_11comp_targetILNS1_3genE9ELNS1_11target_archE1100ELNS1_3gpuE3ELNS1_3repE0EEENS1_48merge_mergepath_partition_config_static_selectorELNS0_4arch9wavefront6targetE0EEEvSF_
	.p2align	8
	.type	_ZN7rocprim17ROCPRIM_400000_NS6detail17trampoline_kernelINS0_14default_configENS1_38merge_sort_block_merge_config_selectorIiNS0_10empty_typeEEEZZNS1_27merge_sort_block_merge_implIS3_PiPS5_jNS1_19radix_merge_compareILb1ELb0EiNS0_19identity_decomposerEEEEE10hipError_tT0_T1_T2_jT3_P12ihipStream_tbPNSt15iterator_traitsISE_E10value_typeEPNSK_ISF_E10value_typeEPSG_NS1_7vsmem_tEENKUlT_SE_SF_SG_E_clIS8_S8_S9_S9_EESD_ST_SE_SF_SG_EUlST_E_NS1_11comp_targetILNS1_3genE9ELNS1_11target_archE1100ELNS1_3gpuE3ELNS1_3repE0EEENS1_48merge_mergepath_partition_config_static_selectorELNS0_4arch9wavefront6targetE0EEEvSF_,@function
_ZN7rocprim17ROCPRIM_400000_NS6detail17trampoline_kernelINS0_14default_configENS1_38merge_sort_block_merge_config_selectorIiNS0_10empty_typeEEEZZNS1_27merge_sort_block_merge_implIS3_PiPS5_jNS1_19radix_merge_compareILb1ELb0EiNS0_19identity_decomposerEEEEE10hipError_tT0_T1_T2_jT3_P12ihipStream_tbPNSt15iterator_traitsISE_E10value_typeEPNSK_ISF_E10value_typeEPSG_NS1_7vsmem_tEENKUlT_SE_SF_SG_E_clIS8_S8_S9_S9_EESD_ST_SE_SF_SG_EUlST_E_NS1_11comp_targetILNS1_3genE9ELNS1_11target_archE1100ELNS1_3gpuE3ELNS1_3repE0EEENS1_48merge_mergepath_partition_config_static_selectorELNS0_4arch9wavefront6targetE0EEEvSF_: ; @_ZN7rocprim17ROCPRIM_400000_NS6detail17trampoline_kernelINS0_14default_configENS1_38merge_sort_block_merge_config_selectorIiNS0_10empty_typeEEEZZNS1_27merge_sort_block_merge_implIS3_PiPS5_jNS1_19radix_merge_compareILb1ELb0EiNS0_19identity_decomposerEEEEE10hipError_tT0_T1_T2_jT3_P12ihipStream_tbPNSt15iterator_traitsISE_E10value_typeEPNSK_ISF_E10value_typeEPSG_NS1_7vsmem_tEENKUlT_SE_SF_SG_E_clIS8_S8_S9_S9_EESD_ST_SE_SF_SG_EUlST_E_NS1_11comp_targetILNS1_3genE9ELNS1_11target_archE1100ELNS1_3gpuE3ELNS1_3repE0EEENS1_48merge_mergepath_partition_config_static_selectorELNS0_4arch9wavefront6targetE0EEEvSF_
; %bb.0:
	.section	.rodata,"a",@progbits
	.p2align	6, 0x0
	.amdhsa_kernel _ZN7rocprim17ROCPRIM_400000_NS6detail17trampoline_kernelINS0_14default_configENS1_38merge_sort_block_merge_config_selectorIiNS0_10empty_typeEEEZZNS1_27merge_sort_block_merge_implIS3_PiPS5_jNS1_19radix_merge_compareILb1ELb0EiNS0_19identity_decomposerEEEEE10hipError_tT0_T1_T2_jT3_P12ihipStream_tbPNSt15iterator_traitsISE_E10value_typeEPNSK_ISF_E10value_typeEPSG_NS1_7vsmem_tEENKUlT_SE_SF_SG_E_clIS8_S8_S9_S9_EESD_ST_SE_SF_SG_EUlST_E_NS1_11comp_targetILNS1_3genE9ELNS1_11target_archE1100ELNS1_3gpuE3ELNS1_3repE0EEENS1_48merge_mergepath_partition_config_static_selectorELNS0_4arch9wavefront6targetE0EEEvSF_
		.amdhsa_group_segment_fixed_size 0
		.amdhsa_private_segment_fixed_size 0
		.amdhsa_kernarg_size 40
		.amdhsa_user_sgpr_count 2
		.amdhsa_user_sgpr_dispatch_ptr 0
		.amdhsa_user_sgpr_queue_ptr 0
		.amdhsa_user_sgpr_kernarg_segment_ptr 1
		.amdhsa_user_sgpr_dispatch_id 0
		.amdhsa_user_sgpr_kernarg_preload_length 0
		.amdhsa_user_sgpr_kernarg_preload_offset 0
		.amdhsa_user_sgpr_private_segment_size 0
		.amdhsa_wavefront_size32 1
		.amdhsa_uses_dynamic_stack 0
		.amdhsa_enable_private_segment 0
		.amdhsa_system_sgpr_workgroup_id_x 1
		.amdhsa_system_sgpr_workgroup_id_y 0
		.amdhsa_system_sgpr_workgroup_id_z 0
		.amdhsa_system_sgpr_workgroup_info 0
		.amdhsa_system_vgpr_workitem_id 0
		.amdhsa_next_free_vgpr 1
		.amdhsa_next_free_sgpr 1
		.amdhsa_named_barrier_count 0
		.amdhsa_reserve_vcc 0
		.amdhsa_float_round_mode_32 0
		.amdhsa_float_round_mode_16_64 0
		.amdhsa_float_denorm_mode_32 3
		.amdhsa_float_denorm_mode_16_64 3
		.amdhsa_fp16_overflow 0
		.amdhsa_memory_ordered 1
		.amdhsa_forward_progress 1
		.amdhsa_inst_pref_size 0
		.amdhsa_round_robin_scheduling 0
		.amdhsa_exception_fp_ieee_invalid_op 0
		.amdhsa_exception_fp_denorm_src 0
		.amdhsa_exception_fp_ieee_div_zero 0
		.amdhsa_exception_fp_ieee_overflow 0
		.amdhsa_exception_fp_ieee_underflow 0
		.amdhsa_exception_fp_ieee_inexact 0
		.amdhsa_exception_int_div_zero 0
	.end_amdhsa_kernel
	.section	.text._ZN7rocprim17ROCPRIM_400000_NS6detail17trampoline_kernelINS0_14default_configENS1_38merge_sort_block_merge_config_selectorIiNS0_10empty_typeEEEZZNS1_27merge_sort_block_merge_implIS3_PiPS5_jNS1_19radix_merge_compareILb1ELb0EiNS0_19identity_decomposerEEEEE10hipError_tT0_T1_T2_jT3_P12ihipStream_tbPNSt15iterator_traitsISE_E10value_typeEPNSK_ISF_E10value_typeEPSG_NS1_7vsmem_tEENKUlT_SE_SF_SG_E_clIS8_S8_S9_S9_EESD_ST_SE_SF_SG_EUlST_E_NS1_11comp_targetILNS1_3genE9ELNS1_11target_archE1100ELNS1_3gpuE3ELNS1_3repE0EEENS1_48merge_mergepath_partition_config_static_selectorELNS0_4arch9wavefront6targetE0EEEvSF_,"axG",@progbits,_ZN7rocprim17ROCPRIM_400000_NS6detail17trampoline_kernelINS0_14default_configENS1_38merge_sort_block_merge_config_selectorIiNS0_10empty_typeEEEZZNS1_27merge_sort_block_merge_implIS3_PiPS5_jNS1_19radix_merge_compareILb1ELb0EiNS0_19identity_decomposerEEEEE10hipError_tT0_T1_T2_jT3_P12ihipStream_tbPNSt15iterator_traitsISE_E10value_typeEPNSK_ISF_E10value_typeEPSG_NS1_7vsmem_tEENKUlT_SE_SF_SG_E_clIS8_S8_S9_S9_EESD_ST_SE_SF_SG_EUlST_E_NS1_11comp_targetILNS1_3genE9ELNS1_11target_archE1100ELNS1_3gpuE3ELNS1_3repE0EEENS1_48merge_mergepath_partition_config_static_selectorELNS0_4arch9wavefront6targetE0EEEvSF_,comdat
.Lfunc_end773:
	.size	_ZN7rocprim17ROCPRIM_400000_NS6detail17trampoline_kernelINS0_14default_configENS1_38merge_sort_block_merge_config_selectorIiNS0_10empty_typeEEEZZNS1_27merge_sort_block_merge_implIS3_PiPS5_jNS1_19radix_merge_compareILb1ELb0EiNS0_19identity_decomposerEEEEE10hipError_tT0_T1_T2_jT3_P12ihipStream_tbPNSt15iterator_traitsISE_E10value_typeEPNSK_ISF_E10value_typeEPSG_NS1_7vsmem_tEENKUlT_SE_SF_SG_E_clIS8_S8_S9_S9_EESD_ST_SE_SF_SG_EUlST_E_NS1_11comp_targetILNS1_3genE9ELNS1_11target_archE1100ELNS1_3gpuE3ELNS1_3repE0EEENS1_48merge_mergepath_partition_config_static_selectorELNS0_4arch9wavefront6targetE0EEEvSF_, .Lfunc_end773-_ZN7rocprim17ROCPRIM_400000_NS6detail17trampoline_kernelINS0_14default_configENS1_38merge_sort_block_merge_config_selectorIiNS0_10empty_typeEEEZZNS1_27merge_sort_block_merge_implIS3_PiPS5_jNS1_19radix_merge_compareILb1ELb0EiNS0_19identity_decomposerEEEEE10hipError_tT0_T1_T2_jT3_P12ihipStream_tbPNSt15iterator_traitsISE_E10value_typeEPNSK_ISF_E10value_typeEPSG_NS1_7vsmem_tEENKUlT_SE_SF_SG_E_clIS8_S8_S9_S9_EESD_ST_SE_SF_SG_EUlST_E_NS1_11comp_targetILNS1_3genE9ELNS1_11target_archE1100ELNS1_3gpuE3ELNS1_3repE0EEENS1_48merge_mergepath_partition_config_static_selectorELNS0_4arch9wavefront6targetE0EEEvSF_
                                        ; -- End function
	.set _ZN7rocprim17ROCPRIM_400000_NS6detail17trampoline_kernelINS0_14default_configENS1_38merge_sort_block_merge_config_selectorIiNS0_10empty_typeEEEZZNS1_27merge_sort_block_merge_implIS3_PiPS5_jNS1_19radix_merge_compareILb1ELb0EiNS0_19identity_decomposerEEEEE10hipError_tT0_T1_T2_jT3_P12ihipStream_tbPNSt15iterator_traitsISE_E10value_typeEPNSK_ISF_E10value_typeEPSG_NS1_7vsmem_tEENKUlT_SE_SF_SG_E_clIS8_S8_S9_S9_EESD_ST_SE_SF_SG_EUlST_E_NS1_11comp_targetILNS1_3genE9ELNS1_11target_archE1100ELNS1_3gpuE3ELNS1_3repE0EEENS1_48merge_mergepath_partition_config_static_selectorELNS0_4arch9wavefront6targetE0EEEvSF_.num_vgpr, 0
	.set _ZN7rocprim17ROCPRIM_400000_NS6detail17trampoline_kernelINS0_14default_configENS1_38merge_sort_block_merge_config_selectorIiNS0_10empty_typeEEEZZNS1_27merge_sort_block_merge_implIS3_PiPS5_jNS1_19radix_merge_compareILb1ELb0EiNS0_19identity_decomposerEEEEE10hipError_tT0_T1_T2_jT3_P12ihipStream_tbPNSt15iterator_traitsISE_E10value_typeEPNSK_ISF_E10value_typeEPSG_NS1_7vsmem_tEENKUlT_SE_SF_SG_E_clIS8_S8_S9_S9_EESD_ST_SE_SF_SG_EUlST_E_NS1_11comp_targetILNS1_3genE9ELNS1_11target_archE1100ELNS1_3gpuE3ELNS1_3repE0EEENS1_48merge_mergepath_partition_config_static_selectorELNS0_4arch9wavefront6targetE0EEEvSF_.num_agpr, 0
	.set _ZN7rocprim17ROCPRIM_400000_NS6detail17trampoline_kernelINS0_14default_configENS1_38merge_sort_block_merge_config_selectorIiNS0_10empty_typeEEEZZNS1_27merge_sort_block_merge_implIS3_PiPS5_jNS1_19radix_merge_compareILb1ELb0EiNS0_19identity_decomposerEEEEE10hipError_tT0_T1_T2_jT3_P12ihipStream_tbPNSt15iterator_traitsISE_E10value_typeEPNSK_ISF_E10value_typeEPSG_NS1_7vsmem_tEENKUlT_SE_SF_SG_E_clIS8_S8_S9_S9_EESD_ST_SE_SF_SG_EUlST_E_NS1_11comp_targetILNS1_3genE9ELNS1_11target_archE1100ELNS1_3gpuE3ELNS1_3repE0EEENS1_48merge_mergepath_partition_config_static_selectorELNS0_4arch9wavefront6targetE0EEEvSF_.numbered_sgpr, 0
	.set _ZN7rocprim17ROCPRIM_400000_NS6detail17trampoline_kernelINS0_14default_configENS1_38merge_sort_block_merge_config_selectorIiNS0_10empty_typeEEEZZNS1_27merge_sort_block_merge_implIS3_PiPS5_jNS1_19radix_merge_compareILb1ELb0EiNS0_19identity_decomposerEEEEE10hipError_tT0_T1_T2_jT3_P12ihipStream_tbPNSt15iterator_traitsISE_E10value_typeEPNSK_ISF_E10value_typeEPSG_NS1_7vsmem_tEENKUlT_SE_SF_SG_E_clIS8_S8_S9_S9_EESD_ST_SE_SF_SG_EUlST_E_NS1_11comp_targetILNS1_3genE9ELNS1_11target_archE1100ELNS1_3gpuE3ELNS1_3repE0EEENS1_48merge_mergepath_partition_config_static_selectorELNS0_4arch9wavefront6targetE0EEEvSF_.num_named_barrier, 0
	.set _ZN7rocprim17ROCPRIM_400000_NS6detail17trampoline_kernelINS0_14default_configENS1_38merge_sort_block_merge_config_selectorIiNS0_10empty_typeEEEZZNS1_27merge_sort_block_merge_implIS3_PiPS5_jNS1_19radix_merge_compareILb1ELb0EiNS0_19identity_decomposerEEEEE10hipError_tT0_T1_T2_jT3_P12ihipStream_tbPNSt15iterator_traitsISE_E10value_typeEPNSK_ISF_E10value_typeEPSG_NS1_7vsmem_tEENKUlT_SE_SF_SG_E_clIS8_S8_S9_S9_EESD_ST_SE_SF_SG_EUlST_E_NS1_11comp_targetILNS1_3genE9ELNS1_11target_archE1100ELNS1_3gpuE3ELNS1_3repE0EEENS1_48merge_mergepath_partition_config_static_selectorELNS0_4arch9wavefront6targetE0EEEvSF_.private_seg_size, 0
	.set _ZN7rocprim17ROCPRIM_400000_NS6detail17trampoline_kernelINS0_14default_configENS1_38merge_sort_block_merge_config_selectorIiNS0_10empty_typeEEEZZNS1_27merge_sort_block_merge_implIS3_PiPS5_jNS1_19radix_merge_compareILb1ELb0EiNS0_19identity_decomposerEEEEE10hipError_tT0_T1_T2_jT3_P12ihipStream_tbPNSt15iterator_traitsISE_E10value_typeEPNSK_ISF_E10value_typeEPSG_NS1_7vsmem_tEENKUlT_SE_SF_SG_E_clIS8_S8_S9_S9_EESD_ST_SE_SF_SG_EUlST_E_NS1_11comp_targetILNS1_3genE9ELNS1_11target_archE1100ELNS1_3gpuE3ELNS1_3repE0EEENS1_48merge_mergepath_partition_config_static_selectorELNS0_4arch9wavefront6targetE0EEEvSF_.uses_vcc, 0
	.set _ZN7rocprim17ROCPRIM_400000_NS6detail17trampoline_kernelINS0_14default_configENS1_38merge_sort_block_merge_config_selectorIiNS0_10empty_typeEEEZZNS1_27merge_sort_block_merge_implIS3_PiPS5_jNS1_19radix_merge_compareILb1ELb0EiNS0_19identity_decomposerEEEEE10hipError_tT0_T1_T2_jT3_P12ihipStream_tbPNSt15iterator_traitsISE_E10value_typeEPNSK_ISF_E10value_typeEPSG_NS1_7vsmem_tEENKUlT_SE_SF_SG_E_clIS8_S8_S9_S9_EESD_ST_SE_SF_SG_EUlST_E_NS1_11comp_targetILNS1_3genE9ELNS1_11target_archE1100ELNS1_3gpuE3ELNS1_3repE0EEENS1_48merge_mergepath_partition_config_static_selectorELNS0_4arch9wavefront6targetE0EEEvSF_.uses_flat_scratch, 0
	.set _ZN7rocprim17ROCPRIM_400000_NS6detail17trampoline_kernelINS0_14default_configENS1_38merge_sort_block_merge_config_selectorIiNS0_10empty_typeEEEZZNS1_27merge_sort_block_merge_implIS3_PiPS5_jNS1_19radix_merge_compareILb1ELb0EiNS0_19identity_decomposerEEEEE10hipError_tT0_T1_T2_jT3_P12ihipStream_tbPNSt15iterator_traitsISE_E10value_typeEPNSK_ISF_E10value_typeEPSG_NS1_7vsmem_tEENKUlT_SE_SF_SG_E_clIS8_S8_S9_S9_EESD_ST_SE_SF_SG_EUlST_E_NS1_11comp_targetILNS1_3genE9ELNS1_11target_archE1100ELNS1_3gpuE3ELNS1_3repE0EEENS1_48merge_mergepath_partition_config_static_selectorELNS0_4arch9wavefront6targetE0EEEvSF_.has_dyn_sized_stack, 0
	.set _ZN7rocprim17ROCPRIM_400000_NS6detail17trampoline_kernelINS0_14default_configENS1_38merge_sort_block_merge_config_selectorIiNS0_10empty_typeEEEZZNS1_27merge_sort_block_merge_implIS3_PiPS5_jNS1_19radix_merge_compareILb1ELb0EiNS0_19identity_decomposerEEEEE10hipError_tT0_T1_T2_jT3_P12ihipStream_tbPNSt15iterator_traitsISE_E10value_typeEPNSK_ISF_E10value_typeEPSG_NS1_7vsmem_tEENKUlT_SE_SF_SG_E_clIS8_S8_S9_S9_EESD_ST_SE_SF_SG_EUlST_E_NS1_11comp_targetILNS1_3genE9ELNS1_11target_archE1100ELNS1_3gpuE3ELNS1_3repE0EEENS1_48merge_mergepath_partition_config_static_selectorELNS0_4arch9wavefront6targetE0EEEvSF_.has_recursion, 0
	.set _ZN7rocprim17ROCPRIM_400000_NS6detail17trampoline_kernelINS0_14default_configENS1_38merge_sort_block_merge_config_selectorIiNS0_10empty_typeEEEZZNS1_27merge_sort_block_merge_implIS3_PiPS5_jNS1_19radix_merge_compareILb1ELb0EiNS0_19identity_decomposerEEEEE10hipError_tT0_T1_T2_jT3_P12ihipStream_tbPNSt15iterator_traitsISE_E10value_typeEPNSK_ISF_E10value_typeEPSG_NS1_7vsmem_tEENKUlT_SE_SF_SG_E_clIS8_S8_S9_S9_EESD_ST_SE_SF_SG_EUlST_E_NS1_11comp_targetILNS1_3genE9ELNS1_11target_archE1100ELNS1_3gpuE3ELNS1_3repE0EEENS1_48merge_mergepath_partition_config_static_selectorELNS0_4arch9wavefront6targetE0EEEvSF_.has_indirect_call, 0
	.section	.AMDGPU.csdata,"",@progbits
; Kernel info:
; codeLenInByte = 0
; TotalNumSgprs: 0
; NumVgprs: 0
; ScratchSize: 0
; MemoryBound: 0
; FloatMode: 240
; IeeeMode: 1
; LDSByteSize: 0 bytes/workgroup (compile time only)
; SGPRBlocks: 0
; VGPRBlocks: 0
; NumSGPRsForWavesPerEU: 1
; NumVGPRsForWavesPerEU: 1
; NamedBarCnt: 0
; Occupancy: 16
; WaveLimiterHint : 0
; COMPUTE_PGM_RSRC2:SCRATCH_EN: 0
; COMPUTE_PGM_RSRC2:USER_SGPR: 2
; COMPUTE_PGM_RSRC2:TRAP_HANDLER: 0
; COMPUTE_PGM_RSRC2:TGID_X_EN: 1
; COMPUTE_PGM_RSRC2:TGID_Y_EN: 0
; COMPUTE_PGM_RSRC2:TGID_Z_EN: 0
; COMPUTE_PGM_RSRC2:TIDIG_COMP_CNT: 0
	.section	.text._ZN7rocprim17ROCPRIM_400000_NS6detail17trampoline_kernelINS0_14default_configENS1_38merge_sort_block_merge_config_selectorIiNS0_10empty_typeEEEZZNS1_27merge_sort_block_merge_implIS3_PiPS5_jNS1_19radix_merge_compareILb1ELb0EiNS0_19identity_decomposerEEEEE10hipError_tT0_T1_T2_jT3_P12ihipStream_tbPNSt15iterator_traitsISE_E10value_typeEPNSK_ISF_E10value_typeEPSG_NS1_7vsmem_tEENKUlT_SE_SF_SG_E_clIS8_S8_S9_S9_EESD_ST_SE_SF_SG_EUlST_E_NS1_11comp_targetILNS1_3genE8ELNS1_11target_archE1030ELNS1_3gpuE2ELNS1_3repE0EEENS1_48merge_mergepath_partition_config_static_selectorELNS0_4arch9wavefront6targetE0EEEvSF_,"axG",@progbits,_ZN7rocprim17ROCPRIM_400000_NS6detail17trampoline_kernelINS0_14default_configENS1_38merge_sort_block_merge_config_selectorIiNS0_10empty_typeEEEZZNS1_27merge_sort_block_merge_implIS3_PiPS5_jNS1_19radix_merge_compareILb1ELb0EiNS0_19identity_decomposerEEEEE10hipError_tT0_T1_T2_jT3_P12ihipStream_tbPNSt15iterator_traitsISE_E10value_typeEPNSK_ISF_E10value_typeEPSG_NS1_7vsmem_tEENKUlT_SE_SF_SG_E_clIS8_S8_S9_S9_EESD_ST_SE_SF_SG_EUlST_E_NS1_11comp_targetILNS1_3genE8ELNS1_11target_archE1030ELNS1_3gpuE2ELNS1_3repE0EEENS1_48merge_mergepath_partition_config_static_selectorELNS0_4arch9wavefront6targetE0EEEvSF_,comdat
	.protected	_ZN7rocprim17ROCPRIM_400000_NS6detail17trampoline_kernelINS0_14default_configENS1_38merge_sort_block_merge_config_selectorIiNS0_10empty_typeEEEZZNS1_27merge_sort_block_merge_implIS3_PiPS5_jNS1_19radix_merge_compareILb1ELb0EiNS0_19identity_decomposerEEEEE10hipError_tT0_T1_T2_jT3_P12ihipStream_tbPNSt15iterator_traitsISE_E10value_typeEPNSK_ISF_E10value_typeEPSG_NS1_7vsmem_tEENKUlT_SE_SF_SG_E_clIS8_S8_S9_S9_EESD_ST_SE_SF_SG_EUlST_E_NS1_11comp_targetILNS1_3genE8ELNS1_11target_archE1030ELNS1_3gpuE2ELNS1_3repE0EEENS1_48merge_mergepath_partition_config_static_selectorELNS0_4arch9wavefront6targetE0EEEvSF_ ; -- Begin function _ZN7rocprim17ROCPRIM_400000_NS6detail17trampoline_kernelINS0_14default_configENS1_38merge_sort_block_merge_config_selectorIiNS0_10empty_typeEEEZZNS1_27merge_sort_block_merge_implIS3_PiPS5_jNS1_19radix_merge_compareILb1ELb0EiNS0_19identity_decomposerEEEEE10hipError_tT0_T1_T2_jT3_P12ihipStream_tbPNSt15iterator_traitsISE_E10value_typeEPNSK_ISF_E10value_typeEPSG_NS1_7vsmem_tEENKUlT_SE_SF_SG_E_clIS8_S8_S9_S9_EESD_ST_SE_SF_SG_EUlST_E_NS1_11comp_targetILNS1_3genE8ELNS1_11target_archE1030ELNS1_3gpuE2ELNS1_3repE0EEENS1_48merge_mergepath_partition_config_static_selectorELNS0_4arch9wavefront6targetE0EEEvSF_
	.globl	_ZN7rocprim17ROCPRIM_400000_NS6detail17trampoline_kernelINS0_14default_configENS1_38merge_sort_block_merge_config_selectorIiNS0_10empty_typeEEEZZNS1_27merge_sort_block_merge_implIS3_PiPS5_jNS1_19radix_merge_compareILb1ELb0EiNS0_19identity_decomposerEEEEE10hipError_tT0_T1_T2_jT3_P12ihipStream_tbPNSt15iterator_traitsISE_E10value_typeEPNSK_ISF_E10value_typeEPSG_NS1_7vsmem_tEENKUlT_SE_SF_SG_E_clIS8_S8_S9_S9_EESD_ST_SE_SF_SG_EUlST_E_NS1_11comp_targetILNS1_3genE8ELNS1_11target_archE1030ELNS1_3gpuE2ELNS1_3repE0EEENS1_48merge_mergepath_partition_config_static_selectorELNS0_4arch9wavefront6targetE0EEEvSF_
	.p2align	8
	.type	_ZN7rocprim17ROCPRIM_400000_NS6detail17trampoline_kernelINS0_14default_configENS1_38merge_sort_block_merge_config_selectorIiNS0_10empty_typeEEEZZNS1_27merge_sort_block_merge_implIS3_PiPS5_jNS1_19radix_merge_compareILb1ELb0EiNS0_19identity_decomposerEEEEE10hipError_tT0_T1_T2_jT3_P12ihipStream_tbPNSt15iterator_traitsISE_E10value_typeEPNSK_ISF_E10value_typeEPSG_NS1_7vsmem_tEENKUlT_SE_SF_SG_E_clIS8_S8_S9_S9_EESD_ST_SE_SF_SG_EUlST_E_NS1_11comp_targetILNS1_3genE8ELNS1_11target_archE1030ELNS1_3gpuE2ELNS1_3repE0EEENS1_48merge_mergepath_partition_config_static_selectorELNS0_4arch9wavefront6targetE0EEEvSF_,@function
_ZN7rocprim17ROCPRIM_400000_NS6detail17trampoline_kernelINS0_14default_configENS1_38merge_sort_block_merge_config_selectorIiNS0_10empty_typeEEEZZNS1_27merge_sort_block_merge_implIS3_PiPS5_jNS1_19radix_merge_compareILb1ELb0EiNS0_19identity_decomposerEEEEE10hipError_tT0_T1_T2_jT3_P12ihipStream_tbPNSt15iterator_traitsISE_E10value_typeEPNSK_ISF_E10value_typeEPSG_NS1_7vsmem_tEENKUlT_SE_SF_SG_E_clIS8_S8_S9_S9_EESD_ST_SE_SF_SG_EUlST_E_NS1_11comp_targetILNS1_3genE8ELNS1_11target_archE1030ELNS1_3gpuE2ELNS1_3repE0EEENS1_48merge_mergepath_partition_config_static_selectorELNS0_4arch9wavefront6targetE0EEEvSF_: ; @_ZN7rocprim17ROCPRIM_400000_NS6detail17trampoline_kernelINS0_14default_configENS1_38merge_sort_block_merge_config_selectorIiNS0_10empty_typeEEEZZNS1_27merge_sort_block_merge_implIS3_PiPS5_jNS1_19radix_merge_compareILb1ELb0EiNS0_19identity_decomposerEEEEE10hipError_tT0_T1_T2_jT3_P12ihipStream_tbPNSt15iterator_traitsISE_E10value_typeEPNSK_ISF_E10value_typeEPSG_NS1_7vsmem_tEENKUlT_SE_SF_SG_E_clIS8_S8_S9_S9_EESD_ST_SE_SF_SG_EUlST_E_NS1_11comp_targetILNS1_3genE8ELNS1_11target_archE1030ELNS1_3gpuE2ELNS1_3repE0EEENS1_48merge_mergepath_partition_config_static_selectorELNS0_4arch9wavefront6targetE0EEEvSF_
; %bb.0:
	.section	.rodata,"a",@progbits
	.p2align	6, 0x0
	.amdhsa_kernel _ZN7rocprim17ROCPRIM_400000_NS6detail17trampoline_kernelINS0_14default_configENS1_38merge_sort_block_merge_config_selectorIiNS0_10empty_typeEEEZZNS1_27merge_sort_block_merge_implIS3_PiPS5_jNS1_19radix_merge_compareILb1ELb0EiNS0_19identity_decomposerEEEEE10hipError_tT0_T1_T2_jT3_P12ihipStream_tbPNSt15iterator_traitsISE_E10value_typeEPNSK_ISF_E10value_typeEPSG_NS1_7vsmem_tEENKUlT_SE_SF_SG_E_clIS8_S8_S9_S9_EESD_ST_SE_SF_SG_EUlST_E_NS1_11comp_targetILNS1_3genE8ELNS1_11target_archE1030ELNS1_3gpuE2ELNS1_3repE0EEENS1_48merge_mergepath_partition_config_static_selectorELNS0_4arch9wavefront6targetE0EEEvSF_
		.amdhsa_group_segment_fixed_size 0
		.amdhsa_private_segment_fixed_size 0
		.amdhsa_kernarg_size 40
		.amdhsa_user_sgpr_count 2
		.amdhsa_user_sgpr_dispatch_ptr 0
		.amdhsa_user_sgpr_queue_ptr 0
		.amdhsa_user_sgpr_kernarg_segment_ptr 1
		.amdhsa_user_sgpr_dispatch_id 0
		.amdhsa_user_sgpr_kernarg_preload_length 0
		.amdhsa_user_sgpr_kernarg_preload_offset 0
		.amdhsa_user_sgpr_private_segment_size 0
		.amdhsa_wavefront_size32 1
		.amdhsa_uses_dynamic_stack 0
		.amdhsa_enable_private_segment 0
		.amdhsa_system_sgpr_workgroup_id_x 1
		.amdhsa_system_sgpr_workgroup_id_y 0
		.amdhsa_system_sgpr_workgroup_id_z 0
		.amdhsa_system_sgpr_workgroup_info 0
		.amdhsa_system_vgpr_workitem_id 0
		.amdhsa_next_free_vgpr 1
		.amdhsa_next_free_sgpr 1
		.amdhsa_named_barrier_count 0
		.amdhsa_reserve_vcc 0
		.amdhsa_float_round_mode_32 0
		.amdhsa_float_round_mode_16_64 0
		.amdhsa_float_denorm_mode_32 3
		.amdhsa_float_denorm_mode_16_64 3
		.amdhsa_fp16_overflow 0
		.amdhsa_memory_ordered 1
		.amdhsa_forward_progress 1
		.amdhsa_inst_pref_size 0
		.amdhsa_round_robin_scheduling 0
		.amdhsa_exception_fp_ieee_invalid_op 0
		.amdhsa_exception_fp_denorm_src 0
		.amdhsa_exception_fp_ieee_div_zero 0
		.amdhsa_exception_fp_ieee_overflow 0
		.amdhsa_exception_fp_ieee_underflow 0
		.amdhsa_exception_fp_ieee_inexact 0
		.amdhsa_exception_int_div_zero 0
	.end_amdhsa_kernel
	.section	.text._ZN7rocprim17ROCPRIM_400000_NS6detail17trampoline_kernelINS0_14default_configENS1_38merge_sort_block_merge_config_selectorIiNS0_10empty_typeEEEZZNS1_27merge_sort_block_merge_implIS3_PiPS5_jNS1_19radix_merge_compareILb1ELb0EiNS0_19identity_decomposerEEEEE10hipError_tT0_T1_T2_jT3_P12ihipStream_tbPNSt15iterator_traitsISE_E10value_typeEPNSK_ISF_E10value_typeEPSG_NS1_7vsmem_tEENKUlT_SE_SF_SG_E_clIS8_S8_S9_S9_EESD_ST_SE_SF_SG_EUlST_E_NS1_11comp_targetILNS1_3genE8ELNS1_11target_archE1030ELNS1_3gpuE2ELNS1_3repE0EEENS1_48merge_mergepath_partition_config_static_selectorELNS0_4arch9wavefront6targetE0EEEvSF_,"axG",@progbits,_ZN7rocprim17ROCPRIM_400000_NS6detail17trampoline_kernelINS0_14default_configENS1_38merge_sort_block_merge_config_selectorIiNS0_10empty_typeEEEZZNS1_27merge_sort_block_merge_implIS3_PiPS5_jNS1_19radix_merge_compareILb1ELb0EiNS0_19identity_decomposerEEEEE10hipError_tT0_T1_T2_jT3_P12ihipStream_tbPNSt15iterator_traitsISE_E10value_typeEPNSK_ISF_E10value_typeEPSG_NS1_7vsmem_tEENKUlT_SE_SF_SG_E_clIS8_S8_S9_S9_EESD_ST_SE_SF_SG_EUlST_E_NS1_11comp_targetILNS1_3genE8ELNS1_11target_archE1030ELNS1_3gpuE2ELNS1_3repE0EEENS1_48merge_mergepath_partition_config_static_selectorELNS0_4arch9wavefront6targetE0EEEvSF_,comdat
.Lfunc_end774:
	.size	_ZN7rocprim17ROCPRIM_400000_NS6detail17trampoline_kernelINS0_14default_configENS1_38merge_sort_block_merge_config_selectorIiNS0_10empty_typeEEEZZNS1_27merge_sort_block_merge_implIS3_PiPS5_jNS1_19radix_merge_compareILb1ELb0EiNS0_19identity_decomposerEEEEE10hipError_tT0_T1_T2_jT3_P12ihipStream_tbPNSt15iterator_traitsISE_E10value_typeEPNSK_ISF_E10value_typeEPSG_NS1_7vsmem_tEENKUlT_SE_SF_SG_E_clIS8_S8_S9_S9_EESD_ST_SE_SF_SG_EUlST_E_NS1_11comp_targetILNS1_3genE8ELNS1_11target_archE1030ELNS1_3gpuE2ELNS1_3repE0EEENS1_48merge_mergepath_partition_config_static_selectorELNS0_4arch9wavefront6targetE0EEEvSF_, .Lfunc_end774-_ZN7rocprim17ROCPRIM_400000_NS6detail17trampoline_kernelINS0_14default_configENS1_38merge_sort_block_merge_config_selectorIiNS0_10empty_typeEEEZZNS1_27merge_sort_block_merge_implIS3_PiPS5_jNS1_19radix_merge_compareILb1ELb0EiNS0_19identity_decomposerEEEEE10hipError_tT0_T1_T2_jT3_P12ihipStream_tbPNSt15iterator_traitsISE_E10value_typeEPNSK_ISF_E10value_typeEPSG_NS1_7vsmem_tEENKUlT_SE_SF_SG_E_clIS8_S8_S9_S9_EESD_ST_SE_SF_SG_EUlST_E_NS1_11comp_targetILNS1_3genE8ELNS1_11target_archE1030ELNS1_3gpuE2ELNS1_3repE0EEENS1_48merge_mergepath_partition_config_static_selectorELNS0_4arch9wavefront6targetE0EEEvSF_
                                        ; -- End function
	.set _ZN7rocprim17ROCPRIM_400000_NS6detail17trampoline_kernelINS0_14default_configENS1_38merge_sort_block_merge_config_selectorIiNS0_10empty_typeEEEZZNS1_27merge_sort_block_merge_implIS3_PiPS5_jNS1_19radix_merge_compareILb1ELb0EiNS0_19identity_decomposerEEEEE10hipError_tT0_T1_T2_jT3_P12ihipStream_tbPNSt15iterator_traitsISE_E10value_typeEPNSK_ISF_E10value_typeEPSG_NS1_7vsmem_tEENKUlT_SE_SF_SG_E_clIS8_S8_S9_S9_EESD_ST_SE_SF_SG_EUlST_E_NS1_11comp_targetILNS1_3genE8ELNS1_11target_archE1030ELNS1_3gpuE2ELNS1_3repE0EEENS1_48merge_mergepath_partition_config_static_selectorELNS0_4arch9wavefront6targetE0EEEvSF_.num_vgpr, 0
	.set _ZN7rocprim17ROCPRIM_400000_NS6detail17trampoline_kernelINS0_14default_configENS1_38merge_sort_block_merge_config_selectorIiNS0_10empty_typeEEEZZNS1_27merge_sort_block_merge_implIS3_PiPS5_jNS1_19radix_merge_compareILb1ELb0EiNS0_19identity_decomposerEEEEE10hipError_tT0_T1_T2_jT3_P12ihipStream_tbPNSt15iterator_traitsISE_E10value_typeEPNSK_ISF_E10value_typeEPSG_NS1_7vsmem_tEENKUlT_SE_SF_SG_E_clIS8_S8_S9_S9_EESD_ST_SE_SF_SG_EUlST_E_NS1_11comp_targetILNS1_3genE8ELNS1_11target_archE1030ELNS1_3gpuE2ELNS1_3repE0EEENS1_48merge_mergepath_partition_config_static_selectorELNS0_4arch9wavefront6targetE0EEEvSF_.num_agpr, 0
	.set _ZN7rocprim17ROCPRIM_400000_NS6detail17trampoline_kernelINS0_14default_configENS1_38merge_sort_block_merge_config_selectorIiNS0_10empty_typeEEEZZNS1_27merge_sort_block_merge_implIS3_PiPS5_jNS1_19radix_merge_compareILb1ELb0EiNS0_19identity_decomposerEEEEE10hipError_tT0_T1_T2_jT3_P12ihipStream_tbPNSt15iterator_traitsISE_E10value_typeEPNSK_ISF_E10value_typeEPSG_NS1_7vsmem_tEENKUlT_SE_SF_SG_E_clIS8_S8_S9_S9_EESD_ST_SE_SF_SG_EUlST_E_NS1_11comp_targetILNS1_3genE8ELNS1_11target_archE1030ELNS1_3gpuE2ELNS1_3repE0EEENS1_48merge_mergepath_partition_config_static_selectorELNS0_4arch9wavefront6targetE0EEEvSF_.numbered_sgpr, 0
	.set _ZN7rocprim17ROCPRIM_400000_NS6detail17trampoline_kernelINS0_14default_configENS1_38merge_sort_block_merge_config_selectorIiNS0_10empty_typeEEEZZNS1_27merge_sort_block_merge_implIS3_PiPS5_jNS1_19radix_merge_compareILb1ELb0EiNS0_19identity_decomposerEEEEE10hipError_tT0_T1_T2_jT3_P12ihipStream_tbPNSt15iterator_traitsISE_E10value_typeEPNSK_ISF_E10value_typeEPSG_NS1_7vsmem_tEENKUlT_SE_SF_SG_E_clIS8_S8_S9_S9_EESD_ST_SE_SF_SG_EUlST_E_NS1_11comp_targetILNS1_3genE8ELNS1_11target_archE1030ELNS1_3gpuE2ELNS1_3repE0EEENS1_48merge_mergepath_partition_config_static_selectorELNS0_4arch9wavefront6targetE0EEEvSF_.num_named_barrier, 0
	.set _ZN7rocprim17ROCPRIM_400000_NS6detail17trampoline_kernelINS0_14default_configENS1_38merge_sort_block_merge_config_selectorIiNS0_10empty_typeEEEZZNS1_27merge_sort_block_merge_implIS3_PiPS5_jNS1_19radix_merge_compareILb1ELb0EiNS0_19identity_decomposerEEEEE10hipError_tT0_T1_T2_jT3_P12ihipStream_tbPNSt15iterator_traitsISE_E10value_typeEPNSK_ISF_E10value_typeEPSG_NS1_7vsmem_tEENKUlT_SE_SF_SG_E_clIS8_S8_S9_S9_EESD_ST_SE_SF_SG_EUlST_E_NS1_11comp_targetILNS1_3genE8ELNS1_11target_archE1030ELNS1_3gpuE2ELNS1_3repE0EEENS1_48merge_mergepath_partition_config_static_selectorELNS0_4arch9wavefront6targetE0EEEvSF_.private_seg_size, 0
	.set _ZN7rocprim17ROCPRIM_400000_NS6detail17trampoline_kernelINS0_14default_configENS1_38merge_sort_block_merge_config_selectorIiNS0_10empty_typeEEEZZNS1_27merge_sort_block_merge_implIS3_PiPS5_jNS1_19radix_merge_compareILb1ELb0EiNS0_19identity_decomposerEEEEE10hipError_tT0_T1_T2_jT3_P12ihipStream_tbPNSt15iterator_traitsISE_E10value_typeEPNSK_ISF_E10value_typeEPSG_NS1_7vsmem_tEENKUlT_SE_SF_SG_E_clIS8_S8_S9_S9_EESD_ST_SE_SF_SG_EUlST_E_NS1_11comp_targetILNS1_3genE8ELNS1_11target_archE1030ELNS1_3gpuE2ELNS1_3repE0EEENS1_48merge_mergepath_partition_config_static_selectorELNS0_4arch9wavefront6targetE0EEEvSF_.uses_vcc, 0
	.set _ZN7rocprim17ROCPRIM_400000_NS6detail17trampoline_kernelINS0_14default_configENS1_38merge_sort_block_merge_config_selectorIiNS0_10empty_typeEEEZZNS1_27merge_sort_block_merge_implIS3_PiPS5_jNS1_19radix_merge_compareILb1ELb0EiNS0_19identity_decomposerEEEEE10hipError_tT0_T1_T2_jT3_P12ihipStream_tbPNSt15iterator_traitsISE_E10value_typeEPNSK_ISF_E10value_typeEPSG_NS1_7vsmem_tEENKUlT_SE_SF_SG_E_clIS8_S8_S9_S9_EESD_ST_SE_SF_SG_EUlST_E_NS1_11comp_targetILNS1_3genE8ELNS1_11target_archE1030ELNS1_3gpuE2ELNS1_3repE0EEENS1_48merge_mergepath_partition_config_static_selectorELNS0_4arch9wavefront6targetE0EEEvSF_.uses_flat_scratch, 0
	.set _ZN7rocprim17ROCPRIM_400000_NS6detail17trampoline_kernelINS0_14default_configENS1_38merge_sort_block_merge_config_selectorIiNS0_10empty_typeEEEZZNS1_27merge_sort_block_merge_implIS3_PiPS5_jNS1_19radix_merge_compareILb1ELb0EiNS0_19identity_decomposerEEEEE10hipError_tT0_T1_T2_jT3_P12ihipStream_tbPNSt15iterator_traitsISE_E10value_typeEPNSK_ISF_E10value_typeEPSG_NS1_7vsmem_tEENKUlT_SE_SF_SG_E_clIS8_S8_S9_S9_EESD_ST_SE_SF_SG_EUlST_E_NS1_11comp_targetILNS1_3genE8ELNS1_11target_archE1030ELNS1_3gpuE2ELNS1_3repE0EEENS1_48merge_mergepath_partition_config_static_selectorELNS0_4arch9wavefront6targetE0EEEvSF_.has_dyn_sized_stack, 0
	.set _ZN7rocprim17ROCPRIM_400000_NS6detail17trampoline_kernelINS0_14default_configENS1_38merge_sort_block_merge_config_selectorIiNS0_10empty_typeEEEZZNS1_27merge_sort_block_merge_implIS3_PiPS5_jNS1_19radix_merge_compareILb1ELb0EiNS0_19identity_decomposerEEEEE10hipError_tT0_T1_T2_jT3_P12ihipStream_tbPNSt15iterator_traitsISE_E10value_typeEPNSK_ISF_E10value_typeEPSG_NS1_7vsmem_tEENKUlT_SE_SF_SG_E_clIS8_S8_S9_S9_EESD_ST_SE_SF_SG_EUlST_E_NS1_11comp_targetILNS1_3genE8ELNS1_11target_archE1030ELNS1_3gpuE2ELNS1_3repE0EEENS1_48merge_mergepath_partition_config_static_selectorELNS0_4arch9wavefront6targetE0EEEvSF_.has_recursion, 0
	.set _ZN7rocprim17ROCPRIM_400000_NS6detail17trampoline_kernelINS0_14default_configENS1_38merge_sort_block_merge_config_selectorIiNS0_10empty_typeEEEZZNS1_27merge_sort_block_merge_implIS3_PiPS5_jNS1_19radix_merge_compareILb1ELb0EiNS0_19identity_decomposerEEEEE10hipError_tT0_T1_T2_jT3_P12ihipStream_tbPNSt15iterator_traitsISE_E10value_typeEPNSK_ISF_E10value_typeEPSG_NS1_7vsmem_tEENKUlT_SE_SF_SG_E_clIS8_S8_S9_S9_EESD_ST_SE_SF_SG_EUlST_E_NS1_11comp_targetILNS1_3genE8ELNS1_11target_archE1030ELNS1_3gpuE2ELNS1_3repE0EEENS1_48merge_mergepath_partition_config_static_selectorELNS0_4arch9wavefront6targetE0EEEvSF_.has_indirect_call, 0
	.section	.AMDGPU.csdata,"",@progbits
; Kernel info:
; codeLenInByte = 0
; TotalNumSgprs: 0
; NumVgprs: 0
; ScratchSize: 0
; MemoryBound: 0
; FloatMode: 240
; IeeeMode: 1
; LDSByteSize: 0 bytes/workgroup (compile time only)
; SGPRBlocks: 0
; VGPRBlocks: 0
; NumSGPRsForWavesPerEU: 1
; NumVGPRsForWavesPerEU: 1
; NamedBarCnt: 0
; Occupancy: 16
; WaveLimiterHint : 0
; COMPUTE_PGM_RSRC2:SCRATCH_EN: 0
; COMPUTE_PGM_RSRC2:USER_SGPR: 2
; COMPUTE_PGM_RSRC2:TRAP_HANDLER: 0
; COMPUTE_PGM_RSRC2:TGID_X_EN: 1
; COMPUTE_PGM_RSRC2:TGID_Y_EN: 0
; COMPUTE_PGM_RSRC2:TGID_Z_EN: 0
; COMPUTE_PGM_RSRC2:TIDIG_COMP_CNT: 0
	.section	.text._ZN7rocprim17ROCPRIM_400000_NS6detail17trampoline_kernelINS0_14default_configENS1_38merge_sort_block_merge_config_selectorIiNS0_10empty_typeEEEZZNS1_27merge_sort_block_merge_implIS3_PiPS5_jNS1_19radix_merge_compareILb1ELb0EiNS0_19identity_decomposerEEEEE10hipError_tT0_T1_T2_jT3_P12ihipStream_tbPNSt15iterator_traitsISE_E10value_typeEPNSK_ISF_E10value_typeEPSG_NS1_7vsmem_tEENKUlT_SE_SF_SG_E_clIS8_S8_S9_S9_EESD_ST_SE_SF_SG_EUlST_E0_NS1_11comp_targetILNS1_3genE0ELNS1_11target_archE4294967295ELNS1_3gpuE0ELNS1_3repE0EEENS1_38merge_mergepath_config_static_selectorELNS0_4arch9wavefront6targetE0EEEvSF_,"axG",@progbits,_ZN7rocprim17ROCPRIM_400000_NS6detail17trampoline_kernelINS0_14default_configENS1_38merge_sort_block_merge_config_selectorIiNS0_10empty_typeEEEZZNS1_27merge_sort_block_merge_implIS3_PiPS5_jNS1_19radix_merge_compareILb1ELb0EiNS0_19identity_decomposerEEEEE10hipError_tT0_T1_T2_jT3_P12ihipStream_tbPNSt15iterator_traitsISE_E10value_typeEPNSK_ISF_E10value_typeEPSG_NS1_7vsmem_tEENKUlT_SE_SF_SG_E_clIS8_S8_S9_S9_EESD_ST_SE_SF_SG_EUlST_E0_NS1_11comp_targetILNS1_3genE0ELNS1_11target_archE4294967295ELNS1_3gpuE0ELNS1_3repE0EEENS1_38merge_mergepath_config_static_selectorELNS0_4arch9wavefront6targetE0EEEvSF_,comdat
	.protected	_ZN7rocprim17ROCPRIM_400000_NS6detail17trampoline_kernelINS0_14default_configENS1_38merge_sort_block_merge_config_selectorIiNS0_10empty_typeEEEZZNS1_27merge_sort_block_merge_implIS3_PiPS5_jNS1_19radix_merge_compareILb1ELb0EiNS0_19identity_decomposerEEEEE10hipError_tT0_T1_T2_jT3_P12ihipStream_tbPNSt15iterator_traitsISE_E10value_typeEPNSK_ISF_E10value_typeEPSG_NS1_7vsmem_tEENKUlT_SE_SF_SG_E_clIS8_S8_S9_S9_EESD_ST_SE_SF_SG_EUlST_E0_NS1_11comp_targetILNS1_3genE0ELNS1_11target_archE4294967295ELNS1_3gpuE0ELNS1_3repE0EEENS1_38merge_mergepath_config_static_selectorELNS0_4arch9wavefront6targetE0EEEvSF_ ; -- Begin function _ZN7rocprim17ROCPRIM_400000_NS6detail17trampoline_kernelINS0_14default_configENS1_38merge_sort_block_merge_config_selectorIiNS0_10empty_typeEEEZZNS1_27merge_sort_block_merge_implIS3_PiPS5_jNS1_19radix_merge_compareILb1ELb0EiNS0_19identity_decomposerEEEEE10hipError_tT0_T1_T2_jT3_P12ihipStream_tbPNSt15iterator_traitsISE_E10value_typeEPNSK_ISF_E10value_typeEPSG_NS1_7vsmem_tEENKUlT_SE_SF_SG_E_clIS8_S8_S9_S9_EESD_ST_SE_SF_SG_EUlST_E0_NS1_11comp_targetILNS1_3genE0ELNS1_11target_archE4294967295ELNS1_3gpuE0ELNS1_3repE0EEENS1_38merge_mergepath_config_static_selectorELNS0_4arch9wavefront6targetE0EEEvSF_
	.globl	_ZN7rocprim17ROCPRIM_400000_NS6detail17trampoline_kernelINS0_14default_configENS1_38merge_sort_block_merge_config_selectorIiNS0_10empty_typeEEEZZNS1_27merge_sort_block_merge_implIS3_PiPS5_jNS1_19radix_merge_compareILb1ELb0EiNS0_19identity_decomposerEEEEE10hipError_tT0_T1_T2_jT3_P12ihipStream_tbPNSt15iterator_traitsISE_E10value_typeEPNSK_ISF_E10value_typeEPSG_NS1_7vsmem_tEENKUlT_SE_SF_SG_E_clIS8_S8_S9_S9_EESD_ST_SE_SF_SG_EUlST_E0_NS1_11comp_targetILNS1_3genE0ELNS1_11target_archE4294967295ELNS1_3gpuE0ELNS1_3repE0EEENS1_38merge_mergepath_config_static_selectorELNS0_4arch9wavefront6targetE0EEEvSF_
	.p2align	8
	.type	_ZN7rocprim17ROCPRIM_400000_NS6detail17trampoline_kernelINS0_14default_configENS1_38merge_sort_block_merge_config_selectorIiNS0_10empty_typeEEEZZNS1_27merge_sort_block_merge_implIS3_PiPS5_jNS1_19radix_merge_compareILb1ELb0EiNS0_19identity_decomposerEEEEE10hipError_tT0_T1_T2_jT3_P12ihipStream_tbPNSt15iterator_traitsISE_E10value_typeEPNSK_ISF_E10value_typeEPSG_NS1_7vsmem_tEENKUlT_SE_SF_SG_E_clIS8_S8_S9_S9_EESD_ST_SE_SF_SG_EUlST_E0_NS1_11comp_targetILNS1_3genE0ELNS1_11target_archE4294967295ELNS1_3gpuE0ELNS1_3repE0EEENS1_38merge_mergepath_config_static_selectorELNS0_4arch9wavefront6targetE0EEEvSF_,@function
_ZN7rocprim17ROCPRIM_400000_NS6detail17trampoline_kernelINS0_14default_configENS1_38merge_sort_block_merge_config_selectorIiNS0_10empty_typeEEEZZNS1_27merge_sort_block_merge_implIS3_PiPS5_jNS1_19radix_merge_compareILb1ELb0EiNS0_19identity_decomposerEEEEE10hipError_tT0_T1_T2_jT3_P12ihipStream_tbPNSt15iterator_traitsISE_E10value_typeEPNSK_ISF_E10value_typeEPSG_NS1_7vsmem_tEENKUlT_SE_SF_SG_E_clIS8_S8_S9_S9_EESD_ST_SE_SF_SG_EUlST_E0_NS1_11comp_targetILNS1_3genE0ELNS1_11target_archE4294967295ELNS1_3gpuE0ELNS1_3repE0EEENS1_38merge_mergepath_config_static_selectorELNS0_4arch9wavefront6targetE0EEEvSF_: ; @_ZN7rocprim17ROCPRIM_400000_NS6detail17trampoline_kernelINS0_14default_configENS1_38merge_sort_block_merge_config_selectorIiNS0_10empty_typeEEEZZNS1_27merge_sort_block_merge_implIS3_PiPS5_jNS1_19radix_merge_compareILb1ELb0EiNS0_19identity_decomposerEEEEE10hipError_tT0_T1_T2_jT3_P12ihipStream_tbPNSt15iterator_traitsISE_E10value_typeEPNSK_ISF_E10value_typeEPSG_NS1_7vsmem_tEENKUlT_SE_SF_SG_E_clIS8_S8_S9_S9_EESD_ST_SE_SF_SG_EUlST_E0_NS1_11comp_targetILNS1_3genE0ELNS1_11target_archE4294967295ELNS1_3gpuE0ELNS1_3repE0EEENS1_38merge_mergepath_config_static_selectorELNS0_4arch9wavefront6targetE0EEEvSF_
; %bb.0:
	s_bfe_u32 s2, ttmp6, 0x40010
	s_and_b32 s4, ttmp7, 0xffff
	s_add_co_i32 s5, s2, 1
	s_clause 0x1
	s_load_b32 s6, s[0:1], 0x30
	s_load_b64 s[2:3], s[0:1], 0x40
	s_bfe_u32 s8, ttmp6, 0x4000c
	s_mul_i32 s5, s4, s5
	s_bfe_u32 s7, ttmp6, 0x40004
	s_add_co_i32 s8, s8, 1
	s_bfe_u32 s9, ttmp6, 0x40014
	s_add_co_i32 s7, s7, s5
	s_and_b32 s5, ttmp6, 15
	s_mul_i32 s8, ttmp9, s8
	s_lshr_b32 s10, ttmp7, 16
	s_add_co_i32 s9, s9, 1
	s_add_co_i32 s5, s5, s8
	s_mul_i32 s8, s10, s9
	s_bfe_u32 s9, ttmp6, 0x40008
	s_getreg_b32 s11, hwreg(HW_REG_IB_STS2, 6, 4)
	s_add_co_i32 s9, s9, s8
	s_cmp_eq_u32 s11, 0
	s_cselect_b32 s8, s10, s9
	s_cselect_b32 s4, s4, s7
	s_wait_kmcnt 0x0
	s_mul_i32 s8, s3, s8
	s_cselect_b32 s3, ttmp9, s5
	s_add_co_i32 s4, s8, s4
	s_mov_b32 s5, 0
	s_mul_i32 s4, s4, s2
	s_delay_alu instid0(SALU_CYCLE_1) | instskip(NEXT) | instid1(SALU_CYCLE_1)
	s_add_co_i32 s4, s4, s3
	s_cmp_ge_u32 s4, s6
	s_cbranch_scc1 .LBB775_43
; %bb.1:
	v_mov_b32_e32 v11, 0
	s_add_nc_u64 s[6:7], s[0:1], 64
	v_lshlrev_b32_e32 v10, 2, v0
	global_load_b32 v1, v11, s[6:7] offset:14
	s_clause 0x2
	s_load_b64 s[8:9], s[0:1], 0x28
	s_load_b64 s[10:11], s[0:1], 0x38
	;; [unrolled: 1-line block ×3, first 2 shown]
	s_wait_kmcnt 0x0
	s_lshr_b32 s22, s8, 10
	s_delay_alu instid0(SALU_CYCLE_1) | instskip(SKIP_2) | instid1(SALU_CYCLE_1)
	s_cmp_lg_u32 s4, s22
	s_cselect_b32 s14, -1, 0
	s_lshl_b64 s[12:13], s[4:5], 2
	s_add_nc_u64 s[10:11], s[10:11], s[12:13]
	s_load_b64 s[12:13], s[10:11], 0x0
	s_wait_xcnt 0x0
	s_lshr_b32 s10, s9, 9
	s_delay_alu instid0(SALU_CYCLE_1) | instskip(NEXT) | instid1(SALU_CYCLE_1)
	s_and_b32 s10, s10, 0x7ffffe
	s_sub_co_i32 s11, 0, s10
	s_lshl_b32 s10, s4, 10
	s_and_b32 s15, s4, s11
	s_or_b32 s11, s4, s11
	s_lshl_b32 s18, s15, 11
	s_lshl_b32 s15, s15, 10
	s_add_co_i32 s18, s18, s9
	s_sub_co_i32 s19, s10, s15
	s_sub_co_i32 s15, s18, s15
	s_add_co_i32 s18, s18, s19
	s_min_u32 s20, s8, s15
	s_add_co_i32 s15, s15, s9
	s_wait_kmcnt 0x0
	s_sub_co_i32 s9, s18, s12
	s_sub_co_i32 s19, s18, s13
	s_min_u32 s18, s8, s9
	s_add_co_i32 s9, s19, 0x400
	s_cmp_eq_u32 s11, -1
	s_mov_b32 s19, s5
	s_cselect_b32 s9, s15, s9
	s_cselect_b32 s11, s20, s13
	s_mov_b32 s13, s5
	s_min_u32 s15, s9, s8
	s_lshl_b64 s[20:21], s[18:19], 2
	s_sub_co_i32 s9, s11, s12
	s_lshl_b64 s[12:13], s[12:13], 2
	s_sub_co_i32 s15, s15, s18
	s_cmp_lt_u32 s3, s2
	s_mov_b32 s3, s5
	s_cselect_b32 s2, 12, 18
	s_add_nc_u64 s[12:13], s[16:17], s[12:13]
	s_add_nc_u64 s[2:3], s[6:7], s[2:3]
	s_cmp_eq_u32 s4, s22
	s_load_u16 s2, s[2:3], 0x0
	s_add_nc_u64 s[6:7], s[16:17], s[20:21]
	s_wait_loadcnt 0x0
	v_lshrrev_b32_e32 v2, 16, v1
	v_and_b32_e32 v1, 0xffff, v1
	s_delay_alu instid0(VALU_DEP_1) | instskip(SKIP_1) | instid1(VALU_DEP_1)
	v_mul_lo_u32 v1, v1, v2
	s_wait_kmcnt 0x0
	v_mul_lo_u32 v1, v1, s2
	s_mov_b32 s2, -1
	s_delay_alu instid0(VALU_DEP_1) | instskip(NEXT) | instid1(VALU_DEP_1)
	v_add_nc_u32_e32 v14, v1, v0
	v_add_nc_u32_e32 v12, v14, v1
	s_cbranch_scc1 .LBB775_3
; %bb.2:
	v_sub_co_u32 v4, vcc_lo, v0, s9
	v_dual_mov_b32 v5, v11 :: v_dual_mov_b32 v15, v11
	v_add_nc_u64_e32 v[2:3], s[12:13], v[10:11]
	v_sub_co_u32 v8, s2, v14, s9
	s_delay_alu instid0(VALU_DEP_3) | instskip(SKIP_3) | instid1(VALU_DEP_4)
	v_lshl_add_u64 v[4:5], v[4:5], 2, s[6:7]
	v_dual_mov_b32 v9, v11 :: v_dual_mov_b32 v13, v11
	v_lshl_add_u64 v[6:7], v[14:15], 2, s[12:13]
	v_dual_mov_b32 v17, v11 :: v_dual_add_nc_u32 v18, v12, v1
	v_dual_cndmask_b32 v3, v5, v3 :: v_dual_cndmask_b32 v2, v4, v2
	s_delay_alu instid0(VALU_DEP_4) | instskip(SKIP_3) | instid1(VALU_DEP_4)
	v_lshl_add_u64 v[4:5], v[8:9], 2, s[6:7]
	v_sub_co_u32 v16, vcc_lo, v12, s9
	v_mov_b32_e32 v19, v11
	v_lshl_add_u64 v[8:9], v[12:13], 2, s[12:13]
	v_dual_cndmask_b32 v5, v5, v7, s2 :: v_dual_cndmask_b32 v4, v4, v6, s2
	v_mov_b32_e32 v21, v11
	v_lshl_add_u64 v[6:7], v[16:17], 2, s[6:7]
	v_lshl_add_u64 v[16:17], v[18:19], 2, s[12:13]
	v_sub_co_u32 v20, s2, v18, s9
	v_dual_mov_b32 v23, v11 :: v_dual_add_nc_u32 v18, v18, v1
	global_load_b32 v2, v[2:3], off
	global_load_b32 v3, v[4:5], off
	s_wait_xcnt 0x0
	v_dual_cndmask_b32 v5, v7, v9 :: v_dual_cndmask_b32 v4, v6, v8
	v_lshl_add_u64 v[6:7], v[20:21], 2, s[6:7]
	v_lshl_add_u64 v[8:9], v[18:19], 2, s[12:13]
	v_sub_co_u32 v20, vcc_lo, v18, s9
	v_dual_mov_b32 v25, v11 :: v_dual_add_nc_u32 v18, v18, v1
	s_delay_alu instid0(VALU_DEP_4) | instskip(NEXT) | instid1(VALU_DEP_3)
	v_dual_cndmask_b32 v17, v7, v17, s2 :: v_dual_cndmask_b32 v16, v6, v16, s2
	v_lshl_add_u64 v[6:7], v[20:21], 2, s[6:7]
	s_delay_alu instid0(VALU_DEP_3) | instskip(SKIP_2) | instid1(VALU_DEP_4)
	v_lshl_add_u64 v[20:21], v[18:19], 2, s[12:13]
	v_add_nc_u32_e32 v22, v18, v1
	v_sub_co_u32 v18, s2, v18, s9
	v_dual_cndmask_b32 v31, v7, v9 :: v_dual_cndmask_b32 v30, v6, v8
	global_load_b32 v4, v[4:5], off
	v_lshl_add_u64 v[18:19], v[18:19], 2, s[6:7]
	s_add_co_i32 s11, s15, s9
	s_delay_alu instid0(VALU_DEP_1) | instskip(SKIP_3) | instid1(VALU_DEP_1)
	v_cndmask_b32_e64 v18, v18, v20, s2
	v_lshl_add_u64 v[26:27], v[22:23], 2, s[12:13]
	v_add_nc_u32_e32 v24, v22, v1
	v_sub_co_u32 v22, s3, v22, s9
	v_lshl_add_u64 v[22:23], v[22:23], 2, s[6:7]
	v_cndmask_b32_e64 v19, v19, v21, s2
	s_delay_alu instid0(VALU_DEP_2) | instskip(SKIP_3) | instid1(VALU_DEP_2)
	v_cndmask_b32_e64 v21, v23, v27, s3
	v_lshl_add_u64 v[28:29], v[24:25], 2, s[12:13]
	v_sub_co_u32 v24, s4, v24, s9
	v_cndmask_b32_e64 v20, v22, v26, s3
	v_lshl_add_u64 v[6:7], v[24:25], 2, s[6:7]
	s_delay_alu instid0(VALU_DEP_1)
	v_dual_cndmask_b32 v23, v7, v29, s4 :: v_dual_cndmask_b32 v22, v6, v28, s4
	global_load_b32 v5, v[16:17], off
	global_load_b32 v6, v[30:31], off
	;; [unrolled: 1-line block ×5, first 2 shown]
	s_cbranch_execz .LBB775_4
	s_branch .LBB775_19
.LBB775_3:
                                        ; implicit-def: $vgpr2_vgpr3_vgpr4_vgpr5_vgpr6_vgpr7_vgpr8_vgpr9
                                        ; implicit-def: $sgpr11
	s_and_not1_b32 vcc_lo, exec_lo, s2
	s_cbranch_vccnz .LBB775_19
.LBB775_4:
	s_wait_loadcnt 0x7
	v_mov_b32_e32 v2, 0
	s_add_co_i32 s11, s15, s9
	s_mov_b32 s2, exec_lo
	s_wait_loadcnt 0x5
	s_delay_alu instid0(VALU_DEP_1)
	v_dual_mov_b32 v3, v2 :: v_dual_mov_b32 v4, v2
	s_wait_loadcnt 0x3
	v_dual_mov_b32 v5, v2 :: v_dual_mov_b32 v6, v2
	s_wait_loadcnt 0x1
	;; [unrolled: 2-line block ×3, first 2 shown]
	v_mov_b32_e32 v9, v2
	v_cmpx_gt_u32_e64 s11, v0
	s_cbranch_execnz .LBB775_44
; %bb.5:
	s_or_b32 exec_lo, exec_lo, s2
	s_delay_alu instid0(SALU_CYCLE_1)
	s_mov_b32 s2, exec_lo
	v_cmpx_gt_u32_e64 s11, v14
	s_cbranch_execnz .LBB775_45
.LBB775_6:
	s_or_b32 exec_lo, exec_lo, s2
	s_delay_alu instid0(SALU_CYCLE_1)
	s_mov_b32 s2, exec_lo
	v_cmpx_gt_u32_e64 s11, v12
	s_cbranch_execz .LBB775_8
.LBB775_7:
	v_sub_co_u32 v16, vcc_lo, v12, s9
	v_mov_b32_e32 v13, 0
	s_delay_alu instid0(VALU_DEP_1) | instskip(SKIP_1) | instid1(VALU_DEP_1)
	v_lshl_add_u64 v[14:15], v[12:13], 2, s[12:13]
	v_mov_b32_e32 v17, v13
	v_lshl_add_u64 v[16:17], v[16:17], 2, s[6:7]
	s_delay_alu instid0(VALU_DEP_1)
	v_dual_cndmask_b32 v15, v17, v15 :: v_dual_cndmask_b32 v14, v16, v14
	global_load_b32 v4, v[14:15], off
.LBB775_8:
	s_wait_xcnt 0x0
	s_or_b32 exec_lo, exec_lo, s2
	v_add_nc_u32_e32 v12, v12, v1
	s_mov_b32 s2, exec_lo
	s_delay_alu instid0(VALU_DEP_1)
	v_cmpx_gt_u32_e64 s11, v12
	s_cbranch_execz .LBB775_10
; %bb.9:
	v_sub_co_u32 v16, vcc_lo, v12, s9
	v_mov_b32_e32 v13, 0
	s_delay_alu instid0(VALU_DEP_1) | instskip(SKIP_1) | instid1(VALU_DEP_1)
	v_lshl_add_u64 v[14:15], v[12:13], 2, s[12:13]
	v_mov_b32_e32 v17, v13
	v_lshl_add_u64 v[16:17], v[16:17], 2, s[6:7]
	s_delay_alu instid0(VALU_DEP_1)
	v_dual_cndmask_b32 v15, v17, v15 :: v_dual_cndmask_b32 v14, v16, v14
	global_load_b32 v5, v[14:15], off
.LBB775_10:
	s_wait_xcnt 0x0
	s_or_b32 exec_lo, exec_lo, s2
	v_add_nc_u32_e32 v12, v12, v1
	s_mov_b32 s2, exec_lo
	s_delay_alu instid0(VALU_DEP_1)
	v_cmpx_gt_u32_e64 s11, v12
	s_cbranch_execz .LBB775_12
; %bb.11:
	v_sub_co_u32 v16, vcc_lo, v12, s9
	v_mov_b32_e32 v13, 0
	s_delay_alu instid0(VALU_DEP_1) | instskip(SKIP_1) | instid1(VALU_DEP_1)
	v_lshl_add_u64 v[14:15], v[12:13], 2, s[12:13]
	v_mov_b32_e32 v17, v13
	v_lshl_add_u64 v[16:17], v[16:17], 2, s[6:7]
	s_delay_alu instid0(VALU_DEP_1)
	v_dual_cndmask_b32 v15, v17, v15 :: v_dual_cndmask_b32 v14, v16, v14
	global_load_b32 v6, v[14:15], off
.LBB775_12:
	;; [unrolled: 18-line block ×4, first 2 shown]
	s_wait_xcnt 0x0
	s_or_b32 exec_lo, exec_lo, s2
	v_add_nc_u32_e32 v12, v12, v1
	s_mov_b32 s2, exec_lo
	s_delay_alu instid0(VALU_DEP_1)
	v_cmpx_gt_u32_e64 s11, v12
	s_cbranch_execz .LBB775_18
; %bb.17:
	v_mov_b32_e32 v13, 0
	s_delay_alu instid0(VALU_DEP_1) | instskip(SKIP_1) | instid1(VALU_DEP_1)
	v_lshl_add_u64 v[14:15], v[12:13], 2, s[12:13]
	v_sub_co_u32 v12, vcc_lo, v12, s9
	v_lshl_add_u64 v[12:13], v[12:13], 2, s[6:7]
	s_delay_alu instid0(VALU_DEP_1)
	v_dual_cndmask_b32 v13, v13, v15 :: v_dual_cndmask_b32 v12, v12, v14
	global_load_b32 v9, v[12:13], off
.LBB775_18:
	s_wait_xcnt 0x0
	s_or_b32 exec_lo, exec_lo, s2
.LBB775_19:
	s_load_b64 s[12:13], s[0:1], 0x10
	v_lshlrev_b32_e32 v1, 3, v0
	s_wait_xcnt 0x0
	s_mov_b32 s0, exec_lo
	s_wait_loadcnt 0x0
	ds_store_2addr_stride64_b32 v10, v2, v3 offset1:2
	ds_store_2addr_stride64_b32 v10, v4, v5 offset0:4 offset1:6
	ds_store_2addr_stride64_b32 v10, v6, v7 offset0:8 offset1:10
	;; [unrolled: 1-line block ×3, first 2 shown]
	s_wait_dscnt 0x0
	s_barrier_signal -1
	v_min_u32_e32 v12, s11, v1
	s_barrier_wait -1
	s_delay_alu instid0(VALU_DEP_1) | instskip(SKIP_1) | instid1(VALU_DEP_1)
	v_sub_nc_u32_e64 v11, v12, s15 clamp
	v_min_u32_e32 v13, s9, v12
	v_cmpx_lt_u32_e64 v11, v13
	s_cbranch_execz .LBB775_23
; %bb.20:
	v_lshlrev_b32_e32 v14, 2, v12
	s_mov_b32 s1, 0
	s_delay_alu instid0(VALU_DEP_1)
	v_lshl_add_u32 v14, s9, 2, v14
.LBB775_21:                             ; =>This Inner Loop Header: Depth=1
	v_add_nc_u32_e32 v15, v13, v11
	s_delay_alu instid0(VALU_DEP_1) | instskip(NEXT) | instid1(VALU_DEP_1)
	v_lshrrev_b32_e32 v15, 1, v15
	v_not_b32_e32 v16, v15
	v_dual_lshlrev_b32 v17, 2, v15 :: v_dual_add_nc_u32 v18, 1, v15
	s_delay_alu instid0(VALU_DEP_2)
	v_lshl_add_u32 v16, v16, 2, v14
	ds_load_b32 v17, v17
	ds_load_b32 v16, v16
	s_wait_dscnt 0x0
	v_cmp_gt_i32_e32 vcc_lo, v16, v17
	v_cndmask_b32_e32 v13, v13, v15, vcc_lo
	v_cndmask_b32_e32 v11, v18, v11, vcc_lo
	s_delay_alu instid0(VALU_DEP_1) | instskip(SKIP_1) | instid1(SALU_CYCLE_1)
	v_cmp_ge_u32_e32 vcc_lo, v11, v13
	s_or_b32 s1, vcc_lo, s1
	s_and_not1_b32 exec_lo, exec_lo, s1
	s_cbranch_execnz .LBB775_21
; %bb.22:
	s_or_b32 exec_lo, exec_lo, s1
.LBB775_23:
	s_delay_alu instid0(SALU_CYCLE_1) | instskip(SKIP_2) | instid1(VALU_DEP_2)
	s_or_b32 exec_lo, exec_lo, s0
	v_sub_nc_u32_e32 v12, v12, v11
	v_cmp_ge_u32_e32 vcc_lo, s9, v11
	v_add_nc_u32_e32 v12, s9, v12
	s_delay_alu instid0(VALU_DEP_1) | instskip(SKIP_1) | instid1(SALU_CYCLE_1)
	v_cmp_ge_u32_e64 s0, s11, v12
	s_or_b32 s0, vcc_lo, s0
	s_and_saveexec_b32 s15, s0
	s_cbranch_execz .LBB775_29
; %bb.24:
	v_cmp_gt_u32_e32 vcc_lo, s9, v11
                                        ; implicit-def: $vgpr2
	s_and_saveexec_b32 s0, vcc_lo
; %bb.25:
	v_lshlrev_b32_e32 v2, 2, v11
	ds_load_b32 v2, v2
; %bb.26:
	s_or_b32 exec_lo, exec_lo, s0
	v_cmp_le_u32_e64 s0, s11, v12
	s_mov_b32 s2, exec_lo
                                        ; implicit-def: $vgpr3
	v_cmpx_gt_u32_e64 s11, v12
; %bb.27:
	v_lshlrev_b32_e32 v3, 2, v12
	ds_load_b32 v3, v3
; %bb.28:
	s_or_b32 exec_lo, exec_lo, s2
	s_wait_dscnt 0x0
	v_cmp_le_i32_e64 s1, v3, v2
	s_and_b32 s1, vcc_lo, s1
	s_delay_alu instid0(SALU_CYCLE_1) | instskip(SKIP_1) | instid1(VALU_DEP_1)
	s_or_b32 vcc_lo, s0, s1
	v_dual_mov_b32 v4, s9 :: v_dual_cndmask_b32 v5, v12, v11
	v_dual_cndmask_b32 v6, s11, v4 :: v_dual_add_nc_u32 v5, 1, v5
	s_delay_alu instid0(VALU_DEP_1) | instskip(SKIP_1) | instid1(VALU_DEP_2)
	v_add_min_u32_e64 v6, v6, -1, v5
	v_dual_cndmask_b32 v7, v11, v5, vcc_lo :: v_dual_cndmask_b32 v5, v5, v12, vcc_lo
	v_lshlrev_b32_e32 v6, 2, v6
	s_delay_alu instid0(VALU_DEP_2) | instskip(NEXT) | instid1(VALU_DEP_3)
	v_cmp_gt_u32_e64 s0, s9, v7
	v_cmp_le_u32_e64 s2, s11, v5
	ds_load_b32 v6, v6
	s_wait_dscnt 0x0
	v_cndmask_b32_e32 v8, v6, v3, vcc_lo
	v_cndmask_b32_e32 v6, v2, v6, vcc_lo
	;; [unrolled: 1-line block ×3, first 2 shown]
	s_delay_alu instid0(VALU_DEP_2) | instskip(SKIP_1) | instid1(SALU_CYCLE_1)
	v_cmp_le_i32_e64 s1, v8, v6
	s_and_b32 s0, s0, s1
	s_or_b32 s0, s2, s0
	s_delay_alu instid0(SALU_CYCLE_1) | instskip(SKIP_1) | instid1(VALU_DEP_2)
	v_cndmask_b32_e64 v9, v5, v7, s0
	v_cndmask_b32_e64 v11, s11, v4, s0
	v_dual_cndmask_b32 v3, v8, v6, s0 :: v_dual_add_nc_u32 v9, 1, v9
	s_delay_alu instid0(VALU_DEP_1) | instskip(SKIP_1) | instid1(VALU_DEP_2)
	v_add_min_u32_e64 v11, v11, -1, v9
	v_cndmask_b32_e64 v7, v7, v9, s0
	v_dual_cndmask_b32 v5, v9, v5, s0 :: v_dual_lshlrev_b32 v11, 2, v11
	s_delay_alu instid0(VALU_DEP_2) | instskip(NEXT) | instid1(VALU_DEP_2)
	v_cmp_gt_u32_e64 s1, s9, v7
	v_cmp_le_u32_e64 s3, s11, v5
	ds_load_b32 v11, v11
	s_wait_dscnt 0x0
	v_dual_cndmask_b32 v12, v11, v8, s0 :: v_dual_cndmask_b32 v11, v6, v11, s0
	s_delay_alu instid0(VALU_DEP_1) | instskip(SKIP_1) | instid1(SALU_CYCLE_1)
	v_cmp_le_i32_e64 s2, v12, v11
	s_and_b32 s1, s1, s2
	s_or_b32 s1, s3, s1
	s_delay_alu instid0(SALU_CYCLE_1) | instskip(NEXT) | instid1(VALU_DEP_1)
	v_cndmask_b32_e64 v9, v5, v7, s1
	v_dual_cndmask_b32 v13, s11, v4, s1 :: v_dual_add_nc_u32 v9, 1, v9
	s_delay_alu instid0(VALU_DEP_1) | instskip(NEXT) | instid1(VALU_DEP_1)
	v_add_min_u32_e64 v13, v13, -1, v9
	v_lshlrev_b32_e32 v13, 2, v13
	ds_load_b32 v13, v13
	s_wait_dscnt 0x0
	v_dual_cndmask_b32 v7, v7, v9, s1 :: v_dual_cndmask_b32 v14, v13, v12, s1
	v_cndmask_b32_e64 v5, v9, v5, s1
	v_cndmask_b32_e64 v13, v11, v13, s1
	s_delay_alu instid0(VALU_DEP_3) | instskip(NEXT) | instid1(VALU_DEP_3)
	v_cmp_gt_u32_e64 s2, s9, v7
	v_cmp_le_u32_e64 s4, s11, v5
	s_delay_alu instid0(VALU_DEP_3) | instskip(SKIP_1) | instid1(SALU_CYCLE_1)
	v_cmp_le_i32_e64 s3, v14, v13
	s_and_b32 s2, s2, s3
	s_or_b32 s2, s4, s2
	s_delay_alu instid0(SALU_CYCLE_1) | instskip(NEXT) | instid1(VALU_DEP_1)
	v_cndmask_b32_e64 v9, v5, v7, s2
	v_dual_cndmask_b32 v15, s11, v4, s2 :: v_dual_add_nc_u32 v9, 1, v9
	s_delay_alu instid0(VALU_DEP_1) | instskip(NEXT) | instid1(VALU_DEP_1)
	v_add_min_u32_e64 v15, v15, -1, v9
	v_lshlrev_b32_e32 v15, 2, v15
	ds_load_b32 v15, v15
	v_cndmask_b32_e64 v7, v7, v9, s2
	s_wait_dscnt 0x0
	v_dual_cndmask_b32 v16, v15, v14, s2 :: v_dual_cndmask_b32 v15, v13, v15, s2
	v_cndmask_b32_e64 v5, v9, v5, s2
	s_delay_alu instid0(VALU_DEP_3) | instskip(NEXT) | instid1(VALU_DEP_3)
	v_cmp_gt_u32_e64 s3, s9, v7
	v_cmp_le_i32_e64 s4, v16, v15
	s_delay_alu instid0(VALU_DEP_3) | instskip(SKIP_1) | instid1(SALU_CYCLE_1)
	v_cmp_le_u32_e64 s5, s11, v5
	s_and_b32 s3, s3, s4
	s_or_b32 s3, s5, s3
	s_delay_alu instid0(SALU_CYCLE_1) | instskip(NEXT) | instid1(VALU_DEP_1)
	v_cndmask_b32_e64 v9, v5, v7, s3
	v_dual_cndmask_b32 v17, s11, v4, s3 :: v_dual_add_nc_u32 v9, 1, v9
	s_delay_alu instid0(VALU_DEP_1) | instskip(NEXT) | instid1(VALU_DEP_1)
	v_add_min_u32_e64 v17, v17, -1, v9
	v_lshlrev_b32_e32 v17, 2, v17
	ds_load_b32 v17, v17
	s_wait_dscnt 0x0
	v_dual_cndmask_b32 v7, v7, v9, s3 :: v_dual_cndmask_b32 v18, v17, v16, s3
	v_cndmask_b32_e64 v5, v9, v5, s3
	v_cndmask_b32_e64 v17, v15, v17, s3
	s_delay_alu instid0(VALU_DEP_3) | instskip(NEXT) | instid1(VALU_DEP_3)
	v_cmp_gt_u32_e64 s4, s9, v7
	v_cmp_le_u32_e64 s6, s11, v5
	s_delay_alu instid0(VALU_DEP_3) | instskip(SKIP_1) | instid1(SALU_CYCLE_1)
	v_cmp_le_i32_e64 s5, v18, v17
	s_and_b32 s4, s4, s5
	s_or_b32 s4, s6, s4
	s_delay_alu instid0(SALU_CYCLE_1) | instskip(NEXT) | instid1(VALU_DEP_1)
	v_cndmask_b32_e64 v9, v5, v7, s4
	v_dual_cndmask_b32 v19, s11, v4, s4 :: v_dual_add_nc_u32 v9, 1, v9
	s_delay_alu instid0(VALU_DEP_1) | instskip(NEXT) | instid1(VALU_DEP_1)
	v_add_min_u32_e64 v19, v19, -1, v9
	v_lshlrev_b32_e32 v19, 2, v19
	ds_load_b32 v19, v19
	v_cndmask_b32_e64 v7, v7, v9, s4
	s_wait_dscnt 0x0
	v_dual_cndmask_b32 v20, v19, v18, s4 :: v_dual_cndmask_b32 v19, v17, v19, s4
	v_cndmask_b32_e64 v5, v9, v5, s4
	s_delay_alu instid0(VALU_DEP_3) | instskip(NEXT) | instid1(VALU_DEP_3)
	v_cmp_gt_u32_e64 s5, s9, v7
	v_cmp_le_i32_e64 s6, v20, v19
	s_delay_alu instid0(VALU_DEP_3) | instskip(SKIP_1) | instid1(SALU_CYCLE_1)
	v_cmp_le_u32_e64 s7, s11, v5
	s_and_b32 s5, s5, s6
	s_or_b32 s5, s7, s5
	s_delay_alu instid0(SALU_CYCLE_1) | instskip(SKIP_1) | instid1(VALU_DEP_2)
	v_cndmask_b32_e64 v9, v5, v7, s5
	v_cndmask_b32_e64 v4, s11, v4, s5
	v_dual_cndmask_b32 v8, v20, v19, s5 :: v_dual_add_nc_u32 v9, 1, v9
	s_delay_alu instid0(VALU_DEP_1) | instskip(NEXT) | instid1(VALU_DEP_1)
	v_add_min_u32_e64 v4, v4, -1, v9
	v_dual_lshlrev_b32 v4, 2, v4 :: v_dual_cndmask_b32 v6, v9, v5, s5
	v_cndmask_b32_e64 v5, v14, v13, s2
	ds_load_b32 v4, v4
	s_wait_dscnt 0x0
	v_dual_cndmask_b32 v7, v7, v9, s5 :: v_dual_cndmask_b32 v21, v4, v20, s5
	v_cndmask_b32_e64 v22, v19, v4, s5
	s_delay_alu instid0(VALU_DEP_2)
	v_cmp_gt_u32_e32 vcc_lo, s9, v7
	v_cndmask_b32_e64 v4, v12, v11, s1
	v_cmp_le_u32_e64 s1, s11, v6
	v_cndmask_b32_e64 v6, v16, v15, s3
	v_cmp_le_i32_e64 s0, v21, v22
	v_cndmask_b32_e64 v7, v18, v17, s4
	s_and_b32 s0, vcc_lo, s0
	s_delay_alu instid0(SALU_CYCLE_1)
	s_or_b32 vcc_lo, s1, s0
	v_cndmask_b32_e32 v9, v21, v22, vcc_lo
.LBB775_29:
	s_or_b32 exec_lo, exec_lo, s15
	v_or_b32_e32 v14, 0x80, v0
	v_or_b32_e32 v12, 0x100, v0
	v_and_b32_e32 v11, 0x7c, v0
	v_lshrrev_b32_e32 v13, 3, v0
	s_delay_alu instid0(VALU_DEP_3) | instskip(NEXT) | instid1(VALU_DEP_3)
	v_dual_lshrrev_b32 v15, 3, v14 :: v_dual_lshrrev_b32 v16, 3, v12
	v_lshl_add_u32 v1, v1, 2, v11
	s_delay_alu instid0(VALU_DEP_3)
	v_and_b32_e32 v11, 12, v13
	v_or_b32_e32 v13, 0x180, v0
	s_barrier_signal -1
	s_barrier_wait -1
	s_barrier_signal -1
	s_barrier_wait -1
	v_and_b32_e32 v15, 28, v15
	ds_store_2addr_b32 v1, v2, v3 offset1:1
	ds_store_2addr_b32 v1, v4, v5 offset0:2 offset1:3
	ds_store_2addr_b32 v1, v6, v7 offset0:4 offset1:5
	;; [unrolled: 1-line block ×3, first 2 shown]
	v_dual_add_nc_u32 v8, v11, v10 :: v_dual_bitop2_b32 v16, 44, v16 bitop3:0x40
	v_lshrrev_b32_e32 v1, 3, v13
	v_or_b32_e32 v6, 0x200, v0
	v_or_b32_e32 v5, 0x280, v0
	;; [unrolled: 1-line block ×3, first 2 shown]
	v_dual_add_nc_u32 v9, v15, v10 :: v_dual_add_nc_u32 v15, v16, v10
	s_delay_alu instid0(VALU_DEP_4) | instskip(SKIP_1) | instid1(VALU_DEP_4)
	v_dual_lshrrev_b32 v3, 3, v6 :: v_dual_bitop2_b32 v2, 60, v1 bitop3:0x40
	v_or_b32_e32 v1, 0x380, v0
	v_dual_lshrrev_b32 v7, 3, v5 :: v_dual_lshrrev_b32 v11, 3, v4
	s_delay_alu instid0(VALU_DEP_3) | instskip(SKIP_1) | instid1(VALU_DEP_3)
	v_add_nc_u32_e32 v16, v2, v10
	s_mov_b32 s11, 0
	v_lshrrev_b32_e32 v2, 3, v1
	v_and_b32_e32 v3, 0x4c, v3
	v_and_b32_e32 v19, 0x6c, v11
	v_mov_b32_e32 v11, 0
	s_lshl_b64 s[0:1], s[10:11], 2
	v_and_b32_e32 v7, 0x5c, v7
	v_and_b32_e32 v20, 0x7c, v2
	s_wait_kmcnt 0x0
	s_add_nc_u64 s[0:1], s[12:13], s[0:1]
	v_add_nc_u32_e32 v17, v3, v10
	v_add_nc_u64_e32 v[2:3], s[0:1], v[10:11]
	v_add_nc_u32_e32 v18, v7, v10
	v_dual_add_nc_u32 v19, v19, v10 :: v_dual_add_nc_u32 v10, v20, v10
	s_and_b32 vcc_lo, exec_lo, s14
	s_wait_dscnt 0x0
	s_cbranch_vccz .LBB775_31
; %bb.30:
	s_barrier_signal -1
	s_barrier_wait -1
	ds_load_b32 v11, v8
	ds_load_b32 v20, v9 offset:512
	ds_load_b32 v21, v15 offset:1024
	;; [unrolled: 1-line block ×7, first 2 shown]
	s_mov_b32 s11, -1
	s_wait_dscnt 0x7
	global_store_b32 v[2:3], v11, off
	s_wait_dscnt 0x6
	global_store_b32 v[2:3], v20, off offset:512
	s_wait_dscnt 0x5
	global_store_b32 v[2:3], v21, off offset:1024
	;; [unrolled: 2-line block ×6, first 2 shown]
	s_cbranch_execz .LBB775_32
	s_branch .LBB775_41
.LBB775_31:
                                        ; implicit-def: $vgpr7
.LBB775_32:
	s_barrier_signal -1
	s_barrier_wait -1
	s_wait_storecnt_dscnt 0x0
	s_wait_xcnt 0x4
	ds_load_b32 v21, v9 offset:512
	ds_load_b32 v20, v15 offset:1024
	ds_load_b32 v16, v16 offset:1536
	ds_load_b32 v15, v17 offset:2048
	ds_load_b32 v11, v18 offset:2560
	ds_load_b32 v9, v19 offset:3072
	ds_load_b32 v7, v10 offset:3584
	s_sub_co_i32 s0, s8, s10
	s_mov_b32 s1, exec_lo
	s_wait_xcnt 0x0
	v_cmpx_gt_u32_e64 s0, v0
	s_cbranch_execnz .LBB775_46
; %bb.33:
	s_or_b32 exec_lo, exec_lo, s1
	s_delay_alu instid0(SALU_CYCLE_1)
	s_mov_b32 s1, exec_lo
	v_cmpx_gt_u32_e64 s0, v14
	s_cbranch_execnz .LBB775_47
.LBB775_34:
	s_or_b32 exec_lo, exec_lo, s1
	s_delay_alu instid0(SALU_CYCLE_1)
	s_mov_b32 s1, exec_lo
	v_cmpx_gt_u32_e64 s0, v12
	s_cbranch_execnz .LBB775_48
.LBB775_35:
	s_or_b32 exec_lo, exec_lo, s1
	s_delay_alu instid0(SALU_CYCLE_1)
	s_mov_b32 s1, exec_lo
	v_cmpx_gt_u32_e64 s0, v13
	s_cbranch_execnz .LBB775_49
.LBB775_36:
	s_or_b32 exec_lo, exec_lo, s1
	s_delay_alu instid0(SALU_CYCLE_1)
	s_mov_b32 s1, exec_lo
	v_cmpx_gt_u32_e64 s0, v6
	s_cbranch_execnz .LBB775_50
.LBB775_37:
	s_or_b32 exec_lo, exec_lo, s1
	s_delay_alu instid0(SALU_CYCLE_1)
	s_mov_b32 s1, exec_lo
	v_cmpx_gt_u32_e64 s0, v5
	s_cbranch_execnz .LBB775_51
.LBB775_38:
	s_or_b32 exec_lo, exec_lo, s1
	s_delay_alu instid0(SALU_CYCLE_1)
	s_mov_b32 s1, exec_lo
	v_cmpx_gt_u32_e64 s0, v4
	s_cbranch_execz .LBB775_40
.LBB775_39:
	s_wait_dscnt 0x1
	global_store_b32 v[2:3], v9, off offset:3072
.LBB775_40:
	s_wait_xcnt 0x0
	s_or_b32 exec_lo, exec_lo, s1
	v_cmp_gt_u32_e64 s11, s0, v1
.LBB775_41:
	s_wait_xcnt 0x0
	s_delay_alu instid0(VALU_DEP_1)
	s_and_saveexec_b32 s0, s11
	s_cbranch_execz .LBB775_43
; %bb.42:
	s_wait_dscnt 0x0
	global_store_b32 v[2:3], v7, off offset:3584
.LBB775_43:
	s_endpgm
.LBB775_44:
	v_dual_mov_b32 v11, v2 :: v_dual_mov_b32 v5, v2
	v_sub_co_u32 v4, vcc_lo, v0, s9
	v_dual_mov_b32 v17, v2 :: v_dual_mov_b32 v18, v2
	s_delay_alu instid0(VALU_DEP_3) | instskip(NEXT) | instid1(VALU_DEP_3)
	v_add_nc_u64_e32 v[6:7], s[12:13], v[10:11]
	v_lshl_add_u64 v[4:5], v[4:5], 2, s[6:7]
	v_dual_mov_b32 v19, v2 :: v_dual_mov_b32 v20, v2
	v_dual_mov_b32 v21, v2 :: v_dual_mov_b32 v22, v2
	s_delay_alu instid0(VALU_DEP_3) | instskip(NEXT) | instid1(VALU_DEP_4)
	v_dual_mov_b32 v23, v2 :: v_dual_cndmask_b32 v5, v5, v7, vcc_lo
	v_cndmask_b32_e32 v4, v4, v6, vcc_lo
	global_load_b32 v16, v[4:5], off
	s_wait_loadcnt 0x0
	v_mov_b64_e32 v[2:3], v[16:17]
	v_mov_b64_e32 v[4:5], v[18:19]
	v_mov_b64_e32 v[6:7], v[20:21]
	v_mov_b64_e32 v[8:9], v[22:23]
	s_or_b32 exec_lo, exec_lo, s2
	s_delay_alu instid0(SALU_CYCLE_1)
	s_mov_b32 s2, exec_lo
	v_cmpx_gt_u32_e64 s11, v14
	s_cbranch_execz .LBB775_6
.LBB775_45:
	v_mov_b32_e32 v15, 0
	s_delay_alu instid0(VALU_DEP_1) | instskip(SKIP_1) | instid1(VALU_DEP_1)
	v_lshl_add_u64 v[16:17], v[14:15], 2, s[12:13]
	v_sub_co_u32 v14, vcc_lo, v14, s9
	v_lshl_add_u64 v[14:15], v[14:15], 2, s[6:7]
	s_delay_alu instid0(VALU_DEP_1) | instskip(SKIP_3) | instid1(SALU_CYCLE_1)
	v_dual_cndmask_b32 v15, v15, v17 :: v_dual_cndmask_b32 v14, v14, v16
	global_load_b32 v3, v[14:15], off
	s_wait_xcnt 0x0
	s_or_b32 exec_lo, exec_lo, s2
	s_mov_b32 s2, exec_lo
	v_cmpx_gt_u32_e64 s11, v12
	s_cbranch_execnz .LBB775_7
	s_branch .LBB775_8
.LBB775_46:
	ds_load_b32 v0, v8
	s_wait_dscnt 0x0
	global_store_b32 v[2:3], v0, off
	s_wait_xcnt 0x0
	s_or_b32 exec_lo, exec_lo, s1
	s_delay_alu instid0(SALU_CYCLE_1)
	s_mov_b32 s1, exec_lo
	v_cmpx_gt_u32_e64 s0, v14
	s_cbranch_execz .LBB775_34
.LBB775_47:
	s_wait_dscnt 0x6
	global_store_b32 v[2:3], v21, off offset:512
	s_wait_xcnt 0x0
	s_or_b32 exec_lo, exec_lo, s1
	s_delay_alu instid0(SALU_CYCLE_1)
	s_mov_b32 s1, exec_lo
	v_cmpx_gt_u32_e64 s0, v12
	s_cbranch_execz .LBB775_35
.LBB775_48:
	s_wait_dscnt 0x5
	global_store_b32 v[2:3], v20, off offset:1024
	s_wait_xcnt 0x0
	s_or_b32 exec_lo, exec_lo, s1
	s_delay_alu instid0(SALU_CYCLE_1)
	s_mov_b32 s1, exec_lo
	v_cmpx_gt_u32_e64 s0, v13
	s_cbranch_execz .LBB775_36
.LBB775_49:
	s_wait_dscnt 0x4
	global_store_b32 v[2:3], v16, off offset:1536
	s_wait_xcnt 0x0
	s_or_b32 exec_lo, exec_lo, s1
	s_delay_alu instid0(SALU_CYCLE_1)
	s_mov_b32 s1, exec_lo
	v_cmpx_gt_u32_e64 s0, v6
	s_cbranch_execz .LBB775_37
.LBB775_50:
	s_wait_dscnt 0x3
	global_store_b32 v[2:3], v15, off offset:2048
	s_wait_xcnt 0x0
	s_or_b32 exec_lo, exec_lo, s1
	s_delay_alu instid0(SALU_CYCLE_1)
	s_mov_b32 s1, exec_lo
	v_cmpx_gt_u32_e64 s0, v5
	s_cbranch_execz .LBB775_38
.LBB775_51:
	s_wait_dscnt 0x2
	global_store_b32 v[2:3], v11, off offset:2560
	s_wait_xcnt 0x0
	s_or_b32 exec_lo, exec_lo, s1
	s_delay_alu instid0(SALU_CYCLE_1)
	s_mov_b32 s1, exec_lo
	v_cmpx_gt_u32_e64 s0, v4
	s_cbranch_execnz .LBB775_39
	s_branch .LBB775_40
	.section	.rodata,"a",@progbits
	.p2align	6, 0x0
	.amdhsa_kernel _ZN7rocprim17ROCPRIM_400000_NS6detail17trampoline_kernelINS0_14default_configENS1_38merge_sort_block_merge_config_selectorIiNS0_10empty_typeEEEZZNS1_27merge_sort_block_merge_implIS3_PiPS5_jNS1_19radix_merge_compareILb1ELb0EiNS0_19identity_decomposerEEEEE10hipError_tT0_T1_T2_jT3_P12ihipStream_tbPNSt15iterator_traitsISE_E10value_typeEPNSK_ISF_E10value_typeEPSG_NS1_7vsmem_tEENKUlT_SE_SF_SG_E_clIS8_S8_S9_S9_EESD_ST_SE_SF_SG_EUlST_E0_NS1_11comp_targetILNS1_3genE0ELNS1_11target_archE4294967295ELNS1_3gpuE0ELNS1_3repE0EEENS1_38merge_mergepath_config_static_selectorELNS0_4arch9wavefront6targetE0EEEvSF_
		.amdhsa_group_segment_fixed_size 4224
		.amdhsa_private_segment_fixed_size 0
		.amdhsa_kernarg_size 320
		.amdhsa_user_sgpr_count 2
		.amdhsa_user_sgpr_dispatch_ptr 0
		.amdhsa_user_sgpr_queue_ptr 0
		.amdhsa_user_sgpr_kernarg_segment_ptr 1
		.amdhsa_user_sgpr_dispatch_id 0
		.amdhsa_user_sgpr_kernarg_preload_length 0
		.amdhsa_user_sgpr_kernarg_preload_offset 0
		.amdhsa_user_sgpr_private_segment_size 0
		.amdhsa_wavefront_size32 1
		.amdhsa_uses_dynamic_stack 0
		.amdhsa_enable_private_segment 0
		.amdhsa_system_sgpr_workgroup_id_x 1
		.amdhsa_system_sgpr_workgroup_id_y 1
		.amdhsa_system_sgpr_workgroup_id_z 1
		.amdhsa_system_sgpr_workgroup_info 0
		.amdhsa_system_vgpr_workitem_id 0
		.amdhsa_next_free_vgpr 32
		.amdhsa_next_free_sgpr 23
		.amdhsa_named_barrier_count 0
		.amdhsa_reserve_vcc 1
		.amdhsa_float_round_mode_32 0
		.amdhsa_float_round_mode_16_64 0
		.amdhsa_float_denorm_mode_32 3
		.amdhsa_float_denorm_mode_16_64 3
		.amdhsa_fp16_overflow 0
		.amdhsa_memory_ordered 1
		.amdhsa_forward_progress 1
		.amdhsa_inst_pref_size 33
		.amdhsa_round_robin_scheduling 0
		.amdhsa_exception_fp_ieee_invalid_op 0
		.amdhsa_exception_fp_denorm_src 0
		.amdhsa_exception_fp_ieee_div_zero 0
		.amdhsa_exception_fp_ieee_overflow 0
		.amdhsa_exception_fp_ieee_underflow 0
		.amdhsa_exception_fp_ieee_inexact 0
		.amdhsa_exception_int_div_zero 0
	.end_amdhsa_kernel
	.section	.text._ZN7rocprim17ROCPRIM_400000_NS6detail17trampoline_kernelINS0_14default_configENS1_38merge_sort_block_merge_config_selectorIiNS0_10empty_typeEEEZZNS1_27merge_sort_block_merge_implIS3_PiPS5_jNS1_19radix_merge_compareILb1ELb0EiNS0_19identity_decomposerEEEEE10hipError_tT0_T1_T2_jT3_P12ihipStream_tbPNSt15iterator_traitsISE_E10value_typeEPNSK_ISF_E10value_typeEPSG_NS1_7vsmem_tEENKUlT_SE_SF_SG_E_clIS8_S8_S9_S9_EESD_ST_SE_SF_SG_EUlST_E0_NS1_11comp_targetILNS1_3genE0ELNS1_11target_archE4294967295ELNS1_3gpuE0ELNS1_3repE0EEENS1_38merge_mergepath_config_static_selectorELNS0_4arch9wavefront6targetE0EEEvSF_,"axG",@progbits,_ZN7rocprim17ROCPRIM_400000_NS6detail17trampoline_kernelINS0_14default_configENS1_38merge_sort_block_merge_config_selectorIiNS0_10empty_typeEEEZZNS1_27merge_sort_block_merge_implIS3_PiPS5_jNS1_19radix_merge_compareILb1ELb0EiNS0_19identity_decomposerEEEEE10hipError_tT0_T1_T2_jT3_P12ihipStream_tbPNSt15iterator_traitsISE_E10value_typeEPNSK_ISF_E10value_typeEPSG_NS1_7vsmem_tEENKUlT_SE_SF_SG_E_clIS8_S8_S9_S9_EESD_ST_SE_SF_SG_EUlST_E0_NS1_11comp_targetILNS1_3genE0ELNS1_11target_archE4294967295ELNS1_3gpuE0ELNS1_3repE0EEENS1_38merge_mergepath_config_static_selectorELNS0_4arch9wavefront6targetE0EEEvSF_,comdat
.Lfunc_end775:
	.size	_ZN7rocprim17ROCPRIM_400000_NS6detail17trampoline_kernelINS0_14default_configENS1_38merge_sort_block_merge_config_selectorIiNS0_10empty_typeEEEZZNS1_27merge_sort_block_merge_implIS3_PiPS5_jNS1_19radix_merge_compareILb1ELb0EiNS0_19identity_decomposerEEEEE10hipError_tT0_T1_T2_jT3_P12ihipStream_tbPNSt15iterator_traitsISE_E10value_typeEPNSK_ISF_E10value_typeEPSG_NS1_7vsmem_tEENKUlT_SE_SF_SG_E_clIS8_S8_S9_S9_EESD_ST_SE_SF_SG_EUlST_E0_NS1_11comp_targetILNS1_3genE0ELNS1_11target_archE4294967295ELNS1_3gpuE0ELNS1_3repE0EEENS1_38merge_mergepath_config_static_selectorELNS0_4arch9wavefront6targetE0EEEvSF_, .Lfunc_end775-_ZN7rocprim17ROCPRIM_400000_NS6detail17trampoline_kernelINS0_14default_configENS1_38merge_sort_block_merge_config_selectorIiNS0_10empty_typeEEEZZNS1_27merge_sort_block_merge_implIS3_PiPS5_jNS1_19radix_merge_compareILb1ELb0EiNS0_19identity_decomposerEEEEE10hipError_tT0_T1_T2_jT3_P12ihipStream_tbPNSt15iterator_traitsISE_E10value_typeEPNSK_ISF_E10value_typeEPSG_NS1_7vsmem_tEENKUlT_SE_SF_SG_E_clIS8_S8_S9_S9_EESD_ST_SE_SF_SG_EUlST_E0_NS1_11comp_targetILNS1_3genE0ELNS1_11target_archE4294967295ELNS1_3gpuE0ELNS1_3repE0EEENS1_38merge_mergepath_config_static_selectorELNS0_4arch9wavefront6targetE0EEEvSF_
                                        ; -- End function
	.set _ZN7rocprim17ROCPRIM_400000_NS6detail17trampoline_kernelINS0_14default_configENS1_38merge_sort_block_merge_config_selectorIiNS0_10empty_typeEEEZZNS1_27merge_sort_block_merge_implIS3_PiPS5_jNS1_19radix_merge_compareILb1ELb0EiNS0_19identity_decomposerEEEEE10hipError_tT0_T1_T2_jT3_P12ihipStream_tbPNSt15iterator_traitsISE_E10value_typeEPNSK_ISF_E10value_typeEPSG_NS1_7vsmem_tEENKUlT_SE_SF_SG_E_clIS8_S8_S9_S9_EESD_ST_SE_SF_SG_EUlST_E0_NS1_11comp_targetILNS1_3genE0ELNS1_11target_archE4294967295ELNS1_3gpuE0ELNS1_3repE0EEENS1_38merge_mergepath_config_static_selectorELNS0_4arch9wavefront6targetE0EEEvSF_.num_vgpr, 32
	.set _ZN7rocprim17ROCPRIM_400000_NS6detail17trampoline_kernelINS0_14default_configENS1_38merge_sort_block_merge_config_selectorIiNS0_10empty_typeEEEZZNS1_27merge_sort_block_merge_implIS3_PiPS5_jNS1_19radix_merge_compareILb1ELb0EiNS0_19identity_decomposerEEEEE10hipError_tT0_T1_T2_jT3_P12ihipStream_tbPNSt15iterator_traitsISE_E10value_typeEPNSK_ISF_E10value_typeEPSG_NS1_7vsmem_tEENKUlT_SE_SF_SG_E_clIS8_S8_S9_S9_EESD_ST_SE_SF_SG_EUlST_E0_NS1_11comp_targetILNS1_3genE0ELNS1_11target_archE4294967295ELNS1_3gpuE0ELNS1_3repE0EEENS1_38merge_mergepath_config_static_selectorELNS0_4arch9wavefront6targetE0EEEvSF_.num_agpr, 0
	.set _ZN7rocprim17ROCPRIM_400000_NS6detail17trampoline_kernelINS0_14default_configENS1_38merge_sort_block_merge_config_selectorIiNS0_10empty_typeEEEZZNS1_27merge_sort_block_merge_implIS3_PiPS5_jNS1_19radix_merge_compareILb1ELb0EiNS0_19identity_decomposerEEEEE10hipError_tT0_T1_T2_jT3_P12ihipStream_tbPNSt15iterator_traitsISE_E10value_typeEPNSK_ISF_E10value_typeEPSG_NS1_7vsmem_tEENKUlT_SE_SF_SG_E_clIS8_S8_S9_S9_EESD_ST_SE_SF_SG_EUlST_E0_NS1_11comp_targetILNS1_3genE0ELNS1_11target_archE4294967295ELNS1_3gpuE0ELNS1_3repE0EEENS1_38merge_mergepath_config_static_selectorELNS0_4arch9wavefront6targetE0EEEvSF_.numbered_sgpr, 23
	.set _ZN7rocprim17ROCPRIM_400000_NS6detail17trampoline_kernelINS0_14default_configENS1_38merge_sort_block_merge_config_selectorIiNS0_10empty_typeEEEZZNS1_27merge_sort_block_merge_implIS3_PiPS5_jNS1_19radix_merge_compareILb1ELb0EiNS0_19identity_decomposerEEEEE10hipError_tT0_T1_T2_jT3_P12ihipStream_tbPNSt15iterator_traitsISE_E10value_typeEPNSK_ISF_E10value_typeEPSG_NS1_7vsmem_tEENKUlT_SE_SF_SG_E_clIS8_S8_S9_S9_EESD_ST_SE_SF_SG_EUlST_E0_NS1_11comp_targetILNS1_3genE0ELNS1_11target_archE4294967295ELNS1_3gpuE0ELNS1_3repE0EEENS1_38merge_mergepath_config_static_selectorELNS0_4arch9wavefront6targetE0EEEvSF_.num_named_barrier, 0
	.set _ZN7rocprim17ROCPRIM_400000_NS6detail17trampoline_kernelINS0_14default_configENS1_38merge_sort_block_merge_config_selectorIiNS0_10empty_typeEEEZZNS1_27merge_sort_block_merge_implIS3_PiPS5_jNS1_19radix_merge_compareILb1ELb0EiNS0_19identity_decomposerEEEEE10hipError_tT0_T1_T2_jT3_P12ihipStream_tbPNSt15iterator_traitsISE_E10value_typeEPNSK_ISF_E10value_typeEPSG_NS1_7vsmem_tEENKUlT_SE_SF_SG_E_clIS8_S8_S9_S9_EESD_ST_SE_SF_SG_EUlST_E0_NS1_11comp_targetILNS1_3genE0ELNS1_11target_archE4294967295ELNS1_3gpuE0ELNS1_3repE0EEENS1_38merge_mergepath_config_static_selectorELNS0_4arch9wavefront6targetE0EEEvSF_.private_seg_size, 0
	.set _ZN7rocprim17ROCPRIM_400000_NS6detail17trampoline_kernelINS0_14default_configENS1_38merge_sort_block_merge_config_selectorIiNS0_10empty_typeEEEZZNS1_27merge_sort_block_merge_implIS3_PiPS5_jNS1_19radix_merge_compareILb1ELb0EiNS0_19identity_decomposerEEEEE10hipError_tT0_T1_T2_jT3_P12ihipStream_tbPNSt15iterator_traitsISE_E10value_typeEPNSK_ISF_E10value_typeEPSG_NS1_7vsmem_tEENKUlT_SE_SF_SG_E_clIS8_S8_S9_S9_EESD_ST_SE_SF_SG_EUlST_E0_NS1_11comp_targetILNS1_3genE0ELNS1_11target_archE4294967295ELNS1_3gpuE0ELNS1_3repE0EEENS1_38merge_mergepath_config_static_selectorELNS0_4arch9wavefront6targetE0EEEvSF_.uses_vcc, 1
	.set _ZN7rocprim17ROCPRIM_400000_NS6detail17trampoline_kernelINS0_14default_configENS1_38merge_sort_block_merge_config_selectorIiNS0_10empty_typeEEEZZNS1_27merge_sort_block_merge_implIS3_PiPS5_jNS1_19radix_merge_compareILb1ELb0EiNS0_19identity_decomposerEEEEE10hipError_tT0_T1_T2_jT3_P12ihipStream_tbPNSt15iterator_traitsISE_E10value_typeEPNSK_ISF_E10value_typeEPSG_NS1_7vsmem_tEENKUlT_SE_SF_SG_E_clIS8_S8_S9_S9_EESD_ST_SE_SF_SG_EUlST_E0_NS1_11comp_targetILNS1_3genE0ELNS1_11target_archE4294967295ELNS1_3gpuE0ELNS1_3repE0EEENS1_38merge_mergepath_config_static_selectorELNS0_4arch9wavefront6targetE0EEEvSF_.uses_flat_scratch, 0
	.set _ZN7rocprim17ROCPRIM_400000_NS6detail17trampoline_kernelINS0_14default_configENS1_38merge_sort_block_merge_config_selectorIiNS0_10empty_typeEEEZZNS1_27merge_sort_block_merge_implIS3_PiPS5_jNS1_19radix_merge_compareILb1ELb0EiNS0_19identity_decomposerEEEEE10hipError_tT0_T1_T2_jT3_P12ihipStream_tbPNSt15iterator_traitsISE_E10value_typeEPNSK_ISF_E10value_typeEPSG_NS1_7vsmem_tEENKUlT_SE_SF_SG_E_clIS8_S8_S9_S9_EESD_ST_SE_SF_SG_EUlST_E0_NS1_11comp_targetILNS1_3genE0ELNS1_11target_archE4294967295ELNS1_3gpuE0ELNS1_3repE0EEENS1_38merge_mergepath_config_static_selectorELNS0_4arch9wavefront6targetE0EEEvSF_.has_dyn_sized_stack, 0
	.set _ZN7rocprim17ROCPRIM_400000_NS6detail17trampoline_kernelINS0_14default_configENS1_38merge_sort_block_merge_config_selectorIiNS0_10empty_typeEEEZZNS1_27merge_sort_block_merge_implIS3_PiPS5_jNS1_19radix_merge_compareILb1ELb0EiNS0_19identity_decomposerEEEEE10hipError_tT0_T1_T2_jT3_P12ihipStream_tbPNSt15iterator_traitsISE_E10value_typeEPNSK_ISF_E10value_typeEPSG_NS1_7vsmem_tEENKUlT_SE_SF_SG_E_clIS8_S8_S9_S9_EESD_ST_SE_SF_SG_EUlST_E0_NS1_11comp_targetILNS1_3genE0ELNS1_11target_archE4294967295ELNS1_3gpuE0ELNS1_3repE0EEENS1_38merge_mergepath_config_static_selectorELNS0_4arch9wavefront6targetE0EEEvSF_.has_recursion, 0
	.set _ZN7rocprim17ROCPRIM_400000_NS6detail17trampoline_kernelINS0_14default_configENS1_38merge_sort_block_merge_config_selectorIiNS0_10empty_typeEEEZZNS1_27merge_sort_block_merge_implIS3_PiPS5_jNS1_19radix_merge_compareILb1ELb0EiNS0_19identity_decomposerEEEEE10hipError_tT0_T1_T2_jT3_P12ihipStream_tbPNSt15iterator_traitsISE_E10value_typeEPNSK_ISF_E10value_typeEPSG_NS1_7vsmem_tEENKUlT_SE_SF_SG_E_clIS8_S8_S9_S9_EESD_ST_SE_SF_SG_EUlST_E0_NS1_11comp_targetILNS1_3genE0ELNS1_11target_archE4294967295ELNS1_3gpuE0ELNS1_3repE0EEENS1_38merge_mergepath_config_static_selectorELNS0_4arch9wavefront6targetE0EEEvSF_.has_indirect_call, 0
	.section	.AMDGPU.csdata,"",@progbits
; Kernel info:
; codeLenInByte = 4156
; TotalNumSgprs: 25
; NumVgprs: 32
; ScratchSize: 0
; MemoryBound: 0
; FloatMode: 240
; IeeeMode: 1
; LDSByteSize: 4224 bytes/workgroup (compile time only)
; SGPRBlocks: 0
; VGPRBlocks: 1
; NumSGPRsForWavesPerEU: 25
; NumVGPRsForWavesPerEU: 32
; NamedBarCnt: 0
; Occupancy: 16
; WaveLimiterHint : 1
; COMPUTE_PGM_RSRC2:SCRATCH_EN: 0
; COMPUTE_PGM_RSRC2:USER_SGPR: 2
; COMPUTE_PGM_RSRC2:TRAP_HANDLER: 0
; COMPUTE_PGM_RSRC2:TGID_X_EN: 1
; COMPUTE_PGM_RSRC2:TGID_Y_EN: 1
; COMPUTE_PGM_RSRC2:TGID_Z_EN: 1
; COMPUTE_PGM_RSRC2:TIDIG_COMP_CNT: 0
	.section	.text._ZN7rocprim17ROCPRIM_400000_NS6detail17trampoline_kernelINS0_14default_configENS1_38merge_sort_block_merge_config_selectorIiNS0_10empty_typeEEEZZNS1_27merge_sort_block_merge_implIS3_PiPS5_jNS1_19radix_merge_compareILb1ELb0EiNS0_19identity_decomposerEEEEE10hipError_tT0_T1_T2_jT3_P12ihipStream_tbPNSt15iterator_traitsISE_E10value_typeEPNSK_ISF_E10value_typeEPSG_NS1_7vsmem_tEENKUlT_SE_SF_SG_E_clIS8_S8_S9_S9_EESD_ST_SE_SF_SG_EUlST_E0_NS1_11comp_targetILNS1_3genE10ELNS1_11target_archE1201ELNS1_3gpuE5ELNS1_3repE0EEENS1_38merge_mergepath_config_static_selectorELNS0_4arch9wavefront6targetE0EEEvSF_,"axG",@progbits,_ZN7rocprim17ROCPRIM_400000_NS6detail17trampoline_kernelINS0_14default_configENS1_38merge_sort_block_merge_config_selectorIiNS0_10empty_typeEEEZZNS1_27merge_sort_block_merge_implIS3_PiPS5_jNS1_19radix_merge_compareILb1ELb0EiNS0_19identity_decomposerEEEEE10hipError_tT0_T1_T2_jT3_P12ihipStream_tbPNSt15iterator_traitsISE_E10value_typeEPNSK_ISF_E10value_typeEPSG_NS1_7vsmem_tEENKUlT_SE_SF_SG_E_clIS8_S8_S9_S9_EESD_ST_SE_SF_SG_EUlST_E0_NS1_11comp_targetILNS1_3genE10ELNS1_11target_archE1201ELNS1_3gpuE5ELNS1_3repE0EEENS1_38merge_mergepath_config_static_selectorELNS0_4arch9wavefront6targetE0EEEvSF_,comdat
	.protected	_ZN7rocprim17ROCPRIM_400000_NS6detail17trampoline_kernelINS0_14default_configENS1_38merge_sort_block_merge_config_selectorIiNS0_10empty_typeEEEZZNS1_27merge_sort_block_merge_implIS3_PiPS5_jNS1_19radix_merge_compareILb1ELb0EiNS0_19identity_decomposerEEEEE10hipError_tT0_T1_T2_jT3_P12ihipStream_tbPNSt15iterator_traitsISE_E10value_typeEPNSK_ISF_E10value_typeEPSG_NS1_7vsmem_tEENKUlT_SE_SF_SG_E_clIS8_S8_S9_S9_EESD_ST_SE_SF_SG_EUlST_E0_NS1_11comp_targetILNS1_3genE10ELNS1_11target_archE1201ELNS1_3gpuE5ELNS1_3repE0EEENS1_38merge_mergepath_config_static_selectorELNS0_4arch9wavefront6targetE0EEEvSF_ ; -- Begin function _ZN7rocprim17ROCPRIM_400000_NS6detail17trampoline_kernelINS0_14default_configENS1_38merge_sort_block_merge_config_selectorIiNS0_10empty_typeEEEZZNS1_27merge_sort_block_merge_implIS3_PiPS5_jNS1_19radix_merge_compareILb1ELb0EiNS0_19identity_decomposerEEEEE10hipError_tT0_T1_T2_jT3_P12ihipStream_tbPNSt15iterator_traitsISE_E10value_typeEPNSK_ISF_E10value_typeEPSG_NS1_7vsmem_tEENKUlT_SE_SF_SG_E_clIS8_S8_S9_S9_EESD_ST_SE_SF_SG_EUlST_E0_NS1_11comp_targetILNS1_3genE10ELNS1_11target_archE1201ELNS1_3gpuE5ELNS1_3repE0EEENS1_38merge_mergepath_config_static_selectorELNS0_4arch9wavefront6targetE0EEEvSF_
	.globl	_ZN7rocprim17ROCPRIM_400000_NS6detail17trampoline_kernelINS0_14default_configENS1_38merge_sort_block_merge_config_selectorIiNS0_10empty_typeEEEZZNS1_27merge_sort_block_merge_implIS3_PiPS5_jNS1_19radix_merge_compareILb1ELb0EiNS0_19identity_decomposerEEEEE10hipError_tT0_T1_T2_jT3_P12ihipStream_tbPNSt15iterator_traitsISE_E10value_typeEPNSK_ISF_E10value_typeEPSG_NS1_7vsmem_tEENKUlT_SE_SF_SG_E_clIS8_S8_S9_S9_EESD_ST_SE_SF_SG_EUlST_E0_NS1_11comp_targetILNS1_3genE10ELNS1_11target_archE1201ELNS1_3gpuE5ELNS1_3repE0EEENS1_38merge_mergepath_config_static_selectorELNS0_4arch9wavefront6targetE0EEEvSF_
	.p2align	8
	.type	_ZN7rocprim17ROCPRIM_400000_NS6detail17trampoline_kernelINS0_14default_configENS1_38merge_sort_block_merge_config_selectorIiNS0_10empty_typeEEEZZNS1_27merge_sort_block_merge_implIS3_PiPS5_jNS1_19radix_merge_compareILb1ELb0EiNS0_19identity_decomposerEEEEE10hipError_tT0_T1_T2_jT3_P12ihipStream_tbPNSt15iterator_traitsISE_E10value_typeEPNSK_ISF_E10value_typeEPSG_NS1_7vsmem_tEENKUlT_SE_SF_SG_E_clIS8_S8_S9_S9_EESD_ST_SE_SF_SG_EUlST_E0_NS1_11comp_targetILNS1_3genE10ELNS1_11target_archE1201ELNS1_3gpuE5ELNS1_3repE0EEENS1_38merge_mergepath_config_static_selectorELNS0_4arch9wavefront6targetE0EEEvSF_,@function
_ZN7rocprim17ROCPRIM_400000_NS6detail17trampoline_kernelINS0_14default_configENS1_38merge_sort_block_merge_config_selectorIiNS0_10empty_typeEEEZZNS1_27merge_sort_block_merge_implIS3_PiPS5_jNS1_19radix_merge_compareILb1ELb0EiNS0_19identity_decomposerEEEEE10hipError_tT0_T1_T2_jT3_P12ihipStream_tbPNSt15iterator_traitsISE_E10value_typeEPNSK_ISF_E10value_typeEPSG_NS1_7vsmem_tEENKUlT_SE_SF_SG_E_clIS8_S8_S9_S9_EESD_ST_SE_SF_SG_EUlST_E0_NS1_11comp_targetILNS1_3genE10ELNS1_11target_archE1201ELNS1_3gpuE5ELNS1_3repE0EEENS1_38merge_mergepath_config_static_selectorELNS0_4arch9wavefront6targetE0EEEvSF_: ; @_ZN7rocprim17ROCPRIM_400000_NS6detail17trampoline_kernelINS0_14default_configENS1_38merge_sort_block_merge_config_selectorIiNS0_10empty_typeEEEZZNS1_27merge_sort_block_merge_implIS3_PiPS5_jNS1_19radix_merge_compareILb1ELb0EiNS0_19identity_decomposerEEEEE10hipError_tT0_T1_T2_jT3_P12ihipStream_tbPNSt15iterator_traitsISE_E10value_typeEPNSK_ISF_E10value_typeEPSG_NS1_7vsmem_tEENKUlT_SE_SF_SG_E_clIS8_S8_S9_S9_EESD_ST_SE_SF_SG_EUlST_E0_NS1_11comp_targetILNS1_3genE10ELNS1_11target_archE1201ELNS1_3gpuE5ELNS1_3repE0EEENS1_38merge_mergepath_config_static_selectorELNS0_4arch9wavefront6targetE0EEEvSF_
; %bb.0:
	.section	.rodata,"a",@progbits
	.p2align	6, 0x0
	.amdhsa_kernel _ZN7rocprim17ROCPRIM_400000_NS6detail17trampoline_kernelINS0_14default_configENS1_38merge_sort_block_merge_config_selectorIiNS0_10empty_typeEEEZZNS1_27merge_sort_block_merge_implIS3_PiPS5_jNS1_19radix_merge_compareILb1ELb0EiNS0_19identity_decomposerEEEEE10hipError_tT0_T1_T2_jT3_P12ihipStream_tbPNSt15iterator_traitsISE_E10value_typeEPNSK_ISF_E10value_typeEPSG_NS1_7vsmem_tEENKUlT_SE_SF_SG_E_clIS8_S8_S9_S9_EESD_ST_SE_SF_SG_EUlST_E0_NS1_11comp_targetILNS1_3genE10ELNS1_11target_archE1201ELNS1_3gpuE5ELNS1_3repE0EEENS1_38merge_mergepath_config_static_selectorELNS0_4arch9wavefront6targetE0EEEvSF_
		.amdhsa_group_segment_fixed_size 0
		.amdhsa_private_segment_fixed_size 0
		.amdhsa_kernarg_size 64
		.amdhsa_user_sgpr_count 2
		.amdhsa_user_sgpr_dispatch_ptr 0
		.amdhsa_user_sgpr_queue_ptr 0
		.amdhsa_user_sgpr_kernarg_segment_ptr 1
		.amdhsa_user_sgpr_dispatch_id 0
		.amdhsa_user_sgpr_kernarg_preload_length 0
		.amdhsa_user_sgpr_kernarg_preload_offset 0
		.amdhsa_user_sgpr_private_segment_size 0
		.amdhsa_wavefront_size32 1
		.amdhsa_uses_dynamic_stack 0
		.amdhsa_enable_private_segment 0
		.amdhsa_system_sgpr_workgroup_id_x 1
		.amdhsa_system_sgpr_workgroup_id_y 0
		.amdhsa_system_sgpr_workgroup_id_z 0
		.amdhsa_system_sgpr_workgroup_info 0
		.amdhsa_system_vgpr_workitem_id 0
		.amdhsa_next_free_vgpr 1
		.amdhsa_next_free_sgpr 1
		.amdhsa_named_barrier_count 0
		.amdhsa_reserve_vcc 0
		.amdhsa_float_round_mode_32 0
		.amdhsa_float_round_mode_16_64 0
		.amdhsa_float_denorm_mode_32 3
		.amdhsa_float_denorm_mode_16_64 3
		.amdhsa_fp16_overflow 0
		.amdhsa_memory_ordered 1
		.amdhsa_forward_progress 1
		.amdhsa_inst_pref_size 0
		.amdhsa_round_robin_scheduling 0
		.amdhsa_exception_fp_ieee_invalid_op 0
		.amdhsa_exception_fp_denorm_src 0
		.amdhsa_exception_fp_ieee_div_zero 0
		.amdhsa_exception_fp_ieee_overflow 0
		.amdhsa_exception_fp_ieee_underflow 0
		.amdhsa_exception_fp_ieee_inexact 0
		.amdhsa_exception_int_div_zero 0
	.end_amdhsa_kernel
	.section	.text._ZN7rocprim17ROCPRIM_400000_NS6detail17trampoline_kernelINS0_14default_configENS1_38merge_sort_block_merge_config_selectorIiNS0_10empty_typeEEEZZNS1_27merge_sort_block_merge_implIS3_PiPS5_jNS1_19radix_merge_compareILb1ELb0EiNS0_19identity_decomposerEEEEE10hipError_tT0_T1_T2_jT3_P12ihipStream_tbPNSt15iterator_traitsISE_E10value_typeEPNSK_ISF_E10value_typeEPSG_NS1_7vsmem_tEENKUlT_SE_SF_SG_E_clIS8_S8_S9_S9_EESD_ST_SE_SF_SG_EUlST_E0_NS1_11comp_targetILNS1_3genE10ELNS1_11target_archE1201ELNS1_3gpuE5ELNS1_3repE0EEENS1_38merge_mergepath_config_static_selectorELNS0_4arch9wavefront6targetE0EEEvSF_,"axG",@progbits,_ZN7rocprim17ROCPRIM_400000_NS6detail17trampoline_kernelINS0_14default_configENS1_38merge_sort_block_merge_config_selectorIiNS0_10empty_typeEEEZZNS1_27merge_sort_block_merge_implIS3_PiPS5_jNS1_19radix_merge_compareILb1ELb0EiNS0_19identity_decomposerEEEEE10hipError_tT0_T1_T2_jT3_P12ihipStream_tbPNSt15iterator_traitsISE_E10value_typeEPNSK_ISF_E10value_typeEPSG_NS1_7vsmem_tEENKUlT_SE_SF_SG_E_clIS8_S8_S9_S9_EESD_ST_SE_SF_SG_EUlST_E0_NS1_11comp_targetILNS1_3genE10ELNS1_11target_archE1201ELNS1_3gpuE5ELNS1_3repE0EEENS1_38merge_mergepath_config_static_selectorELNS0_4arch9wavefront6targetE0EEEvSF_,comdat
.Lfunc_end776:
	.size	_ZN7rocprim17ROCPRIM_400000_NS6detail17trampoline_kernelINS0_14default_configENS1_38merge_sort_block_merge_config_selectorIiNS0_10empty_typeEEEZZNS1_27merge_sort_block_merge_implIS3_PiPS5_jNS1_19radix_merge_compareILb1ELb0EiNS0_19identity_decomposerEEEEE10hipError_tT0_T1_T2_jT3_P12ihipStream_tbPNSt15iterator_traitsISE_E10value_typeEPNSK_ISF_E10value_typeEPSG_NS1_7vsmem_tEENKUlT_SE_SF_SG_E_clIS8_S8_S9_S9_EESD_ST_SE_SF_SG_EUlST_E0_NS1_11comp_targetILNS1_3genE10ELNS1_11target_archE1201ELNS1_3gpuE5ELNS1_3repE0EEENS1_38merge_mergepath_config_static_selectorELNS0_4arch9wavefront6targetE0EEEvSF_, .Lfunc_end776-_ZN7rocprim17ROCPRIM_400000_NS6detail17trampoline_kernelINS0_14default_configENS1_38merge_sort_block_merge_config_selectorIiNS0_10empty_typeEEEZZNS1_27merge_sort_block_merge_implIS3_PiPS5_jNS1_19radix_merge_compareILb1ELb0EiNS0_19identity_decomposerEEEEE10hipError_tT0_T1_T2_jT3_P12ihipStream_tbPNSt15iterator_traitsISE_E10value_typeEPNSK_ISF_E10value_typeEPSG_NS1_7vsmem_tEENKUlT_SE_SF_SG_E_clIS8_S8_S9_S9_EESD_ST_SE_SF_SG_EUlST_E0_NS1_11comp_targetILNS1_3genE10ELNS1_11target_archE1201ELNS1_3gpuE5ELNS1_3repE0EEENS1_38merge_mergepath_config_static_selectorELNS0_4arch9wavefront6targetE0EEEvSF_
                                        ; -- End function
	.set _ZN7rocprim17ROCPRIM_400000_NS6detail17trampoline_kernelINS0_14default_configENS1_38merge_sort_block_merge_config_selectorIiNS0_10empty_typeEEEZZNS1_27merge_sort_block_merge_implIS3_PiPS5_jNS1_19radix_merge_compareILb1ELb0EiNS0_19identity_decomposerEEEEE10hipError_tT0_T1_T2_jT3_P12ihipStream_tbPNSt15iterator_traitsISE_E10value_typeEPNSK_ISF_E10value_typeEPSG_NS1_7vsmem_tEENKUlT_SE_SF_SG_E_clIS8_S8_S9_S9_EESD_ST_SE_SF_SG_EUlST_E0_NS1_11comp_targetILNS1_3genE10ELNS1_11target_archE1201ELNS1_3gpuE5ELNS1_3repE0EEENS1_38merge_mergepath_config_static_selectorELNS0_4arch9wavefront6targetE0EEEvSF_.num_vgpr, 0
	.set _ZN7rocprim17ROCPRIM_400000_NS6detail17trampoline_kernelINS0_14default_configENS1_38merge_sort_block_merge_config_selectorIiNS0_10empty_typeEEEZZNS1_27merge_sort_block_merge_implIS3_PiPS5_jNS1_19radix_merge_compareILb1ELb0EiNS0_19identity_decomposerEEEEE10hipError_tT0_T1_T2_jT3_P12ihipStream_tbPNSt15iterator_traitsISE_E10value_typeEPNSK_ISF_E10value_typeEPSG_NS1_7vsmem_tEENKUlT_SE_SF_SG_E_clIS8_S8_S9_S9_EESD_ST_SE_SF_SG_EUlST_E0_NS1_11comp_targetILNS1_3genE10ELNS1_11target_archE1201ELNS1_3gpuE5ELNS1_3repE0EEENS1_38merge_mergepath_config_static_selectorELNS0_4arch9wavefront6targetE0EEEvSF_.num_agpr, 0
	.set _ZN7rocprim17ROCPRIM_400000_NS6detail17trampoline_kernelINS0_14default_configENS1_38merge_sort_block_merge_config_selectorIiNS0_10empty_typeEEEZZNS1_27merge_sort_block_merge_implIS3_PiPS5_jNS1_19radix_merge_compareILb1ELb0EiNS0_19identity_decomposerEEEEE10hipError_tT0_T1_T2_jT3_P12ihipStream_tbPNSt15iterator_traitsISE_E10value_typeEPNSK_ISF_E10value_typeEPSG_NS1_7vsmem_tEENKUlT_SE_SF_SG_E_clIS8_S8_S9_S9_EESD_ST_SE_SF_SG_EUlST_E0_NS1_11comp_targetILNS1_3genE10ELNS1_11target_archE1201ELNS1_3gpuE5ELNS1_3repE0EEENS1_38merge_mergepath_config_static_selectorELNS0_4arch9wavefront6targetE0EEEvSF_.numbered_sgpr, 0
	.set _ZN7rocprim17ROCPRIM_400000_NS6detail17trampoline_kernelINS0_14default_configENS1_38merge_sort_block_merge_config_selectorIiNS0_10empty_typeEEEZZNS1_27merge_sort_block_merge_implIS3_PiPS5_jNS1_19radix_merge_compareILb1ELb0EiNS0_19identity_decomposerEEEEE10hipError_tT0_T1_T2_jT3_P12ihipStream_tbPNSt15iterator_traitsISE_E10value_typeEPNSK_ISF_E10value_typeEPSG_NS1_7vsmem_tEENKUlT_SE_SF_SG_E_clIS8_S8_S9_S9_EESD_ST_SE_SF_SG_EUlST_E0_NS1_11comp_targetILNS1_3genE10ELNS1_11target_archE1201ELNS1_3gpuE5ELNS1_3repE0EEENS1_38merge_mergepath_config_static_selectorELNS0_4arch9wavefront6targetE0EEEvSF_.num_named_barrier, 0
	.set _ZN7rocprim17ROCPRIM_400000_NS6detail17trampoline_kernelINS0_14default_configENS1_38merge_sort_block_merge_config_selectorIiNS0_10empty_typeEEEZZNS1_27merge_sort_block_merge_implIS3_PiPS5_jNS1_19radix_merge_compareILb1ELb0EiNS0_19identity_decomposerEEEEE10hipError_tT0_T1_T2_jT3_P12ihipStream_tbPNSt15iterator_traitsISE_E10value_typeEPNSK_ISF_E10value_typeEPSG_NS1_7vsmem_tEENKUlT_SE_SF_SG_E_clIS8_S8_S9_S9_EESD_ST_SE_SF_SG_EUlST_E0_NS1_11comp_targetILNS1_3genE10ELNS1_11target_archE1201ELNS1_3gpuE5ELNS1_3repE0EEENS1_38merge_mergepath_config_static_selectorELNS0_4arch9wavefront6targetE0EEEvSF_.private_seg_size, 0
	.set _ZN7rocprim17ROCPRIM_400000_NS6detail17trampoline_kernelINS0_14default_configENS1_38merge_sort_block_merge_config_selectorIiNS0_10empty_typeEEEZZNS1_27merge_sort_block_merge_implIS3_PiPS5_jNS1_19radix_merge_compareILb1ELb0EiNS0_19identity_decomposerEEEEE10hipError_tT0_T1_T2_jT3_P12ihipStream_tbPNSt15iterator_traitsISE_E10value_typeEPNSK_ISF_E10value_typeEPSG_NS1_7vsmem_tEENKUlT_SE_SF_SG_E_clIS8_S8_S9_S9_EESD_ST_SE_SF_SG_EUlST_E0_NS1_11comp_targetILNS1_3genE10ELNS1_11target_archE1201ELNS1_3gpuE5ELNS1_3repE0EEENS1_38merge_mergepath_config_static_selectorELNS0_4arch9wavefront6targetE0EEEvSF_.uses_vcc, 0
	.set _ZN7rocprim17ROCPRIM_400000_NS6detail17trampoline_kernelINS0_14default_configENS1_38merge_sort_block_merge_config_selectorIiNS0_10empty_typeEEEZZNS1_27merge_sort_block_merge_implIS3_PiPS5_jNS1_19radix_merge_compareILb1ELb0EiNS0_19identity_decomposerEEEEE10hipError_tT0_T1_T2_jT3_P12ihipStream_tbPNSt15iterator_traitsISE_E10value_typeEPNSK_ISF_E10value_typeEPSG_NS1_7vsmem_tEENKUlT_SE_SF_SG_E_clIS8_S8_S9_S9_EESD_ST_SE_SF_SG_EUlST_E0_NS1_11comp_targetILNS1_3genE10ELNS1_11target_archE1201ELNS1_3gpuE5ELNS1_3repE0EEENS1_38merge_mergepath_config_static_selectorELNS0_4arch9wavefront6targetE0EEEvSF_.uses_flat_scratch, 0
	.set _ZN7rocprim17ROCPRIM_400000_NS6detail17trampoline_kernelINS0_14default_configENS1_38merge_sort_block_merge_config_selectorIiNS0_10empty_typeEEEZZNS1_27merge_sort_block_merge_implIS3_PiPS5_jNS1_19radix_merge_compareILb1ELb0EiNS0_19identity_decomposerEEEEE10hipError_tT0_T1_T2_jT3_P12ihipStream_tbPNSt15iterator_traitsISE_E10value_typeEPNSK_ISF_E10value_typeEPSG_NS1_7vsmem_tEENKUlT_SE_SF_SG_E_clIS8_S8_S9_S9_EESD_ST_SE_SF_SG_EUlST_E0_NS1_11comp_targetILNS1_3genE10ELNS1_11target_archE1201ELNS1_3gpuE5ELNS1_3repE0EEENS1_38merge_mergepath_config_static_selectorELNS0_4arch9wavefront6targetE0EEEvSF_.has_dyn_sized_stack, 0
	.set _ZN7rocprim17ROCPRIM_400000_NS6detail17trampoline_kernelINS0_14default_configENS1_38merge_sort_block_merge_config_selectorIiNS0_10empty_typeEEEZZNS1_27merge_sort_block_merge_implIS3_PiPS5_jNS1_19radix_merge_compareILb1ELb0EiNS0_19identity_decomposerEEEEE10hipError_tT0_T1_T2_jT3_P12ihipStream_tbPNSt15iterator_traitsISE_E10value_typeEPNSK_ISF_E10value_typeEPSG_NS1_7vsmem_tEENKUlT_SE_SF_SG_E_clIS8_S8_S9_S9_EESD_ST_SE_SF_SG_EUlST_E0_NS1_11comp_targetILNS1_3genE10ELNS1_11target_archE1201ELNS1_3gpuE5ELNS1_3repE0EEENS1_38merge_mergepath_config_static_selectorELNS0_4arch9wavefront6targetE0EEEvSF_.has_recursion, 0
	.set _ZN7rocprim17ROCPRIM_400000_NS6detail17trampoline_kernelINS0_14default_configENS1_38merge_sort_block_merge_config_selectorIiNS0_10empty_typeEEEZZNS1_27merge_sort_block_merge_implIS3_PiPS5_jNS1_19radix_merge_compareILb1ELb0EiNS0_19identity_decomposerEEEEE10hipError_tT0_T1_T2_jT3_P12ihipStream_tbPNSt15iterator_traitsISE_E10value_typeEPNSK_ISF_E10value_typeEPSG_NS1_7vsmem_tEENKUlT_SE_SF_SG_E_clIS8_S8_S9_S9_EESD_ST_SE_SF_SG_EUlST_E0_NS1_11comp_targetILNS1_3genE10ELNS1_11target_archE1201ELNS1_3gpuE5ELNS1_3repE0EEENS1_38merge_mergepath_config_static_selectorELNS0_4arch9wavefront6targetE0EEEvSF_.has_indirect_call, 0
	.section	.AMDGPU.csdata,"",@progbits
; Kernel info:
; codeLenInByte = 0
; TotalNumSgprs: 0
; NumVgprs: 0
; ScratchSize: 0
; MemoryBound: 0
; FloatMode: 240
; IeeeMode: 1
; LDSByteSize: 0 bytes/workgroup (compile time only)
; SGPRBlocks: 0
; VGPRBlocks: 0
; NumSGPRsForWavesPerEU: 1
; NumVGPRsForWavesPerEU: 1
; NamedBarCnt: 0
; Occupancy: 16
; WaveLimiterHint : 0
; COMPUTE_PGM_RSRC2:SCRATCH_EN: 0
; COMPUTE_PGM_RSRC2:USER_SGPR: 2
; COMPUTE_PGM_RSRC2:TRAP_HANDLER: 0
; COMPUTE_PGM_RSRC2:TGID_X_EN: 1
; COMPUTE_PGM_RSRC2:TGID_Y_EN: 0
; COMPUTE_PGM_RSRC2:TGID_Z_EN: 0
; COMPUTE_PGM_RSRC2:TIDIG_COMP_CNT: 0
	.section	.text._ZN7rocprim17ROCPRIM_400000_NS6detail17trampoline_kernelINS0_14default_configENS1_38merge_sort_block_merge_config_selectorIiNS0_10empty_typeEEEZZNS1_27merge_sort_block_merge_implIS3_PiPS5_jNS1_19radix_merge_compareILb1ELb0EiNS0_19identity_decomposerEEEEE10hipError_tT0_T1_T2_jT3_P12ihipStream_tbPNSt15iterator_traitsISE_E10value_typeEPNSK_ISF_E10value_typeEPSG_NS1_7vsmem_tEENKUlT_SE_SF_SG_E_clIS8_S8_S9_S9_EESD_ST_SE_SF_SG_EUlST_E0_NS1_11comp_targetILNS1_3genE5ELNS1_11target_archE942ELNS1_3gpuE9ELNS1_3repE0EEENS1_38merge_mergepath_config_static_selectorELNS0_4arch9wavefront6targetE0EEEvSF_,"axG",@progbits,_ZN7rocprim17ROCPRIM_400000_NS6detail17trampoline_kernelINS0_14default_configENS1_38merge_sort_block_merge_config_selectorIiNS0_10empty_typeEEEZZNS1_27merge_sort_block_merge_implIS3_PiPS5_jNS1_19radix_merge_compareILb1ELb0EiNS0_19identity_decomposerEEEEE10hipError_tT0_T1_T2_jT3_P12ihipStream_tbPNSt15iterator_traitsISE_E10value_typeEPNSK_ISF_E10value_typeEPSG_NS1_7vsmem_tEENKUlT_SE_SF_SG_E_clIS8_S8_S9_S9_EESD_ST_SE_SF_SG_EUlST_E0_NS1_11comp_targetILNS1_3genE5ELNS1_11target_archE942ELNS1_3gpuE9ELNS1_3repE0EEENS1_38merge_mergepath_config_static_selectorELNS0_4arch9wavefront6targetE0EEEvSF_,comdat
	.protected	_ZN7rocprim17ROCPRIM_400000_NS6detail17trampoline_kernelINS0_14default_configENS1_38merge_sort_block_merge_config_selectorIiNS0_10empty_typeEEEZZNS1_27merge_sort_block_merge_implIS3_PiPS5_jNS1_19radix_merge_compareILb1ELb0EiNS0_19identity_decomposerEEEEE10hipError_tT0_T1_T2_jT3_P12ihipStream_tbPNSt15iterator_traitsISE_E10value_typeEPNSK_ISF_E10value_typeEPSG_NS1_7vsmem_tEENKUlT_SE_SF_SG_E_clIS8_S8_S9_S9_EESD_ST_SE_SF_SG_EUlST_E0_NS1_11comp_targetILNS1_3genE5ELNS1_11target_archE942ELNS1_3gpuE9ELNS1_3repE0EEENS1_38merge_mergepath_config_static_selectorELNS0_4arch9wavefront6targetE0EEEvSF_ ; -- Begin function _ZN7rocprim17ROCPRIM_400000_NS6detail17trampoline_kernelINS0_14default_configENS1_38merge_sort_block_merge_config_selectorIiNS0_10empty_typeEEEZZNS1_27merge_sort_block_merge_implIS3_PiPS5_jNS1_19radix_merge_compareILb1ELb0EiNS0_19identity_decomposerEEEEE10hipError_tT0_T1_T2_jT3_P12ihipStream_tbPNSt15iterator_traitsISE_E10value_typeEPNSK_ISF_E10value_typeEPSG_NS1_7vsmem_tEENKUlT_SE_SF_SG_E_clIS8_S8_S9_S9_EESD_ST_SE_SF_SG_EUlST_E0_NS1_11comp_targetILNS1_3genE5ELNS1_11target_archE942ELNS1_3gpuE9ELNS1_3repE0EEENS1_38merge_mergepath_config_static_selectorELNS0_4arch9wavefront6targetE0EEEvSF_
	.globl	_ZN7rocprim17ROCPRIM_400000_NS6detail17trampoline_kernelINS0_14default_configENS1_38merge_sort_block_merge_config_selectorIiNS0_10empty_typeEEEZZNS1_27merge_sort_block_merge_implIS3_PiPS5_jNS1_19radix_merge_compareILb1ELb0EiNS0_19identity_decomposerEEEEE10hipError_tT0_T1_T2_jT3_P12ihipStream_tbPNSt15iterator_traitsISE_E10value_typeEPNSK_ISF_E10value_typeEPSG_NS1_7vsmem_tEENKUlT_SE_SF_SG_E_clIS8_S8_S9_S9_EESD_ST_SE_SF_SG_EUlST_E0_NS1_11comp_targetILNS1_3genE5ELNS1_11target_archE942ELNS1_3gpuE9ELNS1_3repE0EEENS1_38merge_mergepath_config_static_selectorELNS0_4arch9wavefront6targetE0EEEvSF_
	.p2align	8
	.type	_ZN7rocprim17ROCPRIM_400000_NS6detail17trampoline_kernelINS0_14default_configENS1_38merge_sort_block_merge_config_selectorIiNS0_10empty_typeEEEZZNS1_27merge_sort_block_merge_implIS3_PiPS5_jNS1_19radix_merge_compareILb1ELb0EiNS0_19identity_decomposerEEEEE10hipError_tT0_T1_T2_jT3_P12ihipStream_tbPNSt15iterator_traitsISE_E10value_typeEPNSK_ISF_E10value_typeEPSG_NS1_7vsmem_tEENKUlT_SE_SF_SG_E_clIS8_S8_S9_S9_EESD_ST_SE_SF_SG_EUlST_E0_NS1_11comp_targetILNS1_3genE5ELNS1_11target_archE942ELNS1_3gpuE9ELNS1_3repE0EEENS1_38merge_mergepath_config_static_selectorELNS0_4arch9wavefront6targetE0EEEvSF_,@function
_ZN7rocprim17ROCPRIM_400000_NS6detail17trampoline_kernelINS0_14default_configENS1_38merge_sort_block_merge_config_selectorIiNS0_10empty_typeEEEZZNS1_27merge_sort_block_merge_implIS3_PiPS5_jNS1_19radix_merge_compareILb1ELb0EiNS0_19identity_decomposerEEEEE10hipError_tT0_T1_T2_jT3_P12ihipStream_tbPNSt15iterator_traitsISE_E10value_typeEPNSK_ISF_E10value_typeEPSG_NS1_7vsmem_tEENKUlT_SE_SF_SG_E_clIS8_S8_S9_S9_EESD_ST_SE_SF_SG_EUlST_E0_NS1_11comp_targetILNS1_3genE5ELNS1_11target_archE942ELNS1_3gpuE9ELNS1_3repE0EEENS1_38merge_mergepath_config_static_selectorELNS0_4arch9wavefront6targetE0EEEvSF_: ; @_ZN7rocprim17ROCPRIM_400000_NS6detail17trampoline_kernelINS0_14default_configENS1_38merge_sort_block_merge_config_selectorIiNS0_10empty_typeEEEZZNS1_27merge_sort_block_merge_implIS3_PiPS5_jNS1_19radix_merge_compareILb1ELb0EiNS0_19identity_decomposerEEEEE10hipError_tT0_T1_T2_jT3_P12ihipStream_tbPNSt15iterator_traitsISE_E10value_typeEPNSK_ISF_E10value_typeEPSG_NS1_7vsmem_tEENKUlT_SE_SF_SG_E_clIS8_S8_S9_S9_EESD_ST_SE_SF_SG_EUlST_E0_NS1_11comp_targetILNS1_3genE5ELNS1_11target_archE942ELNS1_3gpuE9ELNS1_3repE0EEENS1_38merge_mergepath_config_static_selectorELNS0_4arch9wavefront6targetE0EEEvSF_
; %bb.0:
	.section	.rodata,"a",@progbits
	.p2align	6, 0x0
	.amdhsa_kernel _ZN7rocprim17ROCPRIM_400000_NS6detail17trampoline_kernelINS0_14default_configENS1_38merge_sort_block_merge_config_selectorIiNS0_10empty_typeEEEZZNS1_27merge_sort_block_merge_implIS3_PiPS5_jNS1_19radix_merge_compareILb1ELb0EiNS0_19identity_decomposerEEEEE10hipError_tT0_T1_T2_jT3_P12ihipStream_tbPNSt15iterator_traitsISE_E10value_typeEPNSK_ISF_E10value_typeEPSG_NS1_7vsmem_tEENKUlT_SE_SF_SG_E_clIS8_S8_S9_S9_EESD_ST_SE_SF_SG_EUlST_E0_NS1_11comp_targetILNS1_3genE5ELNS1_11target_archE942ELNS1_3gpuE9ELNS1_3repE0EEENS1_38merge_mergepath_config_static_selectorELNS0_4arch9wavefront6targetE0EEEvSF_
		.amdhsa_group_segment_fixed_size 0
		.amdhsa_private_segment_fixed_size 0
		.amdhsa_kernarg_size 64
		.amdhsa_user_sgpr_count 2
		.amdhsa_user_sgpr_dispatch_ptr 0
		.amdhsa_user_sgpr_queue_ptr 0
		.amdhsa_user_sgpr_kernarg_segment_ptr 1
		.amdhsa_user_sgpr_dispatch_id 0
		.amdhsa_user_sgpr_kernarg_preload_length 0
		.amdhsa_user_sgpr_kernarg_preload_offset 0
		.amdhsa_user_sgpr_private_segment_size 0
		.amdhsa_wavefront_size32 1
		.amdhsa_uses_dynamic_stack 0
		.amdhsa_enable_private_segment 0
		.amdhsa_system_sgpr_workgroup_id_x 1
		.amdhsa_system_sgpr_workgroup_id_y 0
		.amdhsa_system_sgpr_workgroup_id_z 0
		.amdhsa_system_sgpr_workgroup_info 0
		.amdhsa_system_vgpr_workitem_id 0
		.amdhsa_next_free_vgpr 1
		.amdhsa_next_free_sgpr 1
		.amdhsa_named_barrier_count 0
		.amdhsa_reserve_vcc 0
		.amdhsa_float_round_mode_32 0
		.amdhsa_float_round_mode_16_64 0
		.amdhsa_float_denorm_mode_32 3
		.amdhsa_float_denorm_mode_16_64 3
		.amdhsa_fp16_overflow 0
		.amdhsa_memory_ordered 1
		.amdhsa_forward_progress 1
		.amdhsa_inst_pref_size 0
		.amdhsa_round_robin_scheduling 0
		.amdhsa_exception_fp_ieee_invalid_op 0
		.amdhsa_exception_fp_denorm_src 0
		.amdhsa_exception_fp_ieee_div_zero 0
		.amdhsa_exception_fp_ieee_overflow 0
		.amdhsa_exception_fp_ieee_underflow 0
		.amdhsa_exception_fp_ieee_inexact 0
		.amdhsa_exception_int_div_zero 0
	.end_amdhsa_kernel
	.section	.text._ZN7rocprim17ROCPRIM_400000_NS6detail17trampoline_kernelINS0_14default_configENS1_38merge_sort_block_merge_config_selectorIiNS0_10empty_typeEEEZZNS1_27merge_sort_block_merge_implIS3_PiPS5_jNS1_19radix_merge_compareILb1ELb0EiNS0_19identity_decomposerEEEEE10hipError_tT0_T1_T2_jT3_P12ihipStream_tbPNSt15iterator_traitsISE_E10value_typeEPNSK_ISF_E10value_typeEPSG_NS1_7vsmem_tEENKUlT_SE_SF_SG_E_clIS8_S8_S9_S9_EESD_ST_SE_SF_SG_EUlST_E0_NS1_11comp_targetILNS1_3genE5ELNS1_11target_archE942ELNS1_3gpuE9ELNS1_3repE0EEENS1_38merge_mergepath_config_static_selectorELNS0_4arch9wavefront6targetE0EEEvSF_,"axG",@progbits,_ZN7rocprim17ROCPRIM_400000_NS6detail17trampoline_kernelINS0_14default_configENS1_38merge_sort_block_merge_config_selectorIiNS0_10empty_typeEEEZZNS1_27merge_sort_block_merge_implIS3_PiPS5_jNS1_19radix_merge_compareILb1ELb0EiNS0_19identity_decomposerEEEEE10hipError_tT0_T1_T2_jT3_P12ihipStream_tbPNSt15iterator_traitsISE_E10value_typeEPNSK_ISF_E10value_typeEPSG_NS1_7vsmem_tEENKUlT_SE_SF_SG_E_clIS8_S8_S9_S9_EESD_ST_SE_SF_SG_EUlST_E0_NS1_11comp_targetILNS1_3genE5ELNS1_11target_archE942ELNS1_3gpuE9ELNS1_3repE0EEENS1_38merge_mergepath_config_static_selectorELNS0_4arch9wavefront6targetE0EEEvSF_,comdat
.Lfunc_end777:
	.size	_ZN7rocprim17ROCPRIM_400000_NS6detail17trampoline_kernelINS0_14default_configENS1_38merge_sort_block_merge_config_selectorIiNS0_10empty_typeEEEZZNS1_27merge_sort_block_merge_implIS3_PiPS5_jNS1_19radix_merge_compareILb1ELb0EiNS0_19identity_decomposerEEEEE10hipError_tT0_T1_T2_jT3_P12ihipStream_tbPNSt15iterator_traitsISE_E10value_typeEPNSK_ISF_E10value_typeEPSG_NS1_7vsmem_tEENKUlT_SE_SF_SG_E_clIS8_S8_S9_S9_EESD_ST_SE_SF_SG_EUlST_E0_NS1_11comp_targetILNS1_3genE5ELNS1_11target_archE942ELNS1_3gpuE9ELNS1_3repE0EEENS1_38merge_mergepath_config_static_selectorELNS0_4arch9wavefront6targetE0EEEvSF_, .Lfunc_end777-_ZN7rocprim17ROCPRIM_400000_NS6detail17trampoline_kernelINS0_14default_configENS1_38merge_sort_block_merge_config_selectorIiNS0_10empty_typeEEEZZNS1_27merge_sort_block_merge_implIS3_PiPS5_jNS1_19radix_merge_compareILb1ELb0EiNS0_19identity_decomposerEEEEE10hipError_tT0_T1_T2_jT3_P12ihipStream_tbPNSt15iterator_traitsISE_E10value_typeEPNSK_ISF_E10value_typeEPSG_NS1_7vsmem_tEENKUlT_SE_SF_SG_E_clIS8_S8_S9_S9_EESD_ST_SE_SF_SG_EUlST_E0_NS1_11comp_targetILNS1_3genE5ELNS1_11target_archE942ELNS1_3gpuE9ELNS1_3repE0EEENS1_38merge_mergepath_config_static_selectorELNS0_4arch9wavefront6targetE0EEEvSF_
                                        ; -- End function
	.set _ZN7rocprim17ROCPRIM_400000_NS6detail17trampoline_kernelINS0_14default_configENS1_38merge_sort_block_merge_config_selectorIiNS0_10empty_typeEEEZZNS1_27merge_sort_block_merge_implIS3_PiPS5_jNS1_19radix_merge_compareILb1ELb0EiNS0_19identity_decomposerEEEEE10hipError_tT0_T1_T2_jT3_P12ihipStream_tbPNSt15iterator_traitsISE_E10value_typeEPNSK_ISF_E10value_typeEPSG_NS1_7vsmem_tEENKUlT_SE_SF_SG_E_clIS8_S8_S9_S9_EESD_ST_SE_SF_SG_EUlST_E0_NS1_11comp_targetILNS1_3genE5ELNS1_11target_archE942ELNS1_3gpuE9ELNS1_3repE0EEENS1_38merge_mergepath_config_static_selectorELNS0_4arch9wavefront6targetE0EEEvSF_.num_vgpr, 0
	.set _ZN7rocprim17ROCPRIM_400000_NS6detail17trampoline_kernelINS0_14default_configENS1_38merge_sort_block_merge_config_selectorIiNS0_10empty_typeEEEZZNS1_27merge_sort_block_merge_implIS3_PiPS5_jNS1_19radix_merge_compareILb1ELb0EiNS0_19identity_decomposerEEEEE10hipError_tT0_T1_T2_jT3_P12ihipStream_tbPNSt15iterator_traitsISE_E10value_typeEPNSK_ISF_E10value_typeEPSG_NS1_7vsmem_tEENKUlT_SE_SF_SG_E_clIS8_S8_S9_S9_EESD_ST_SE_SF_SG_EUlST_E0_NS1_11comp_targetILNS1_3genE5ELNS1_11target_archE942ELNS1_3gpuE9ELNS1_3repE0EEENS1_38merge_mergepath_config_static_selectorELNS0_4arch9wavefront6targetE0EEEvSF_.num_agpr, 0
	.set _ZN7rocprim17ROCPRIM_400000_NS6detail17trampoline_kernelINS0_14default_configENS1_38merge_sort_block_merge_config_selectorIiNS0_10empty_typeEEEZZNS1_27merge_sort_block_merge_implIS3_PiPS5_jNS1_19radix_merge_compareILb1ELb0EiNS0_19identity_decomposerEEEEE10hipError_tT0_T1_T2_jT3_P12ihipStream_tbPNSt15iterator_traitsISE_E10value_typeEPNSK_ISF_E10value_typeEPSG_NS1_7vsmem_tEENKUlT_SE_SF_SG_E_clIS8_S8_S9_S9_EESD_ST_SE_SF_SG_EUlST_E0_NS1_11comp_targetILNS1_3genE5ELNS1_11target_archE942ELNS1_3gpuE9ELNS1_3repE0EEENS1_38merge_mergepath_config_static_selectorELNS0_4arch9wavefront6targetE0EEEvSF_.numbered_sgpr, 0
	.set _ZN7rocprim17ROCPRIM_400000_NS6detail17trampoline_kernelINS0_14default_configENS1_38merge_sort_block_merge_config_selectorIiNS0_10empty_typeEEEZZNS1_27merge_sort_block_merge_implIS3_PiPS5_jNS1_19radix_merge_compareILb1ELb0EiNS0_19identity_decomposerEEEEE10hipError_tT0_T1_T2_jT3_P12ihipStream_tbPNSt15iterator_traitsISE_E10value_typeEPNSK_ISF_E10value_typeEPSG_NS1_7vsmem_tEENKUlT_SE_SF_SG_E_clIS8_S8_S9_S9_EESD_ST_SE_SF_SG_EUlST_E0_NS1_11comp_targetILNS1_3genE5ELNS1_11target_archE942ELNS1_3gpuE9ELNS1_3repE0EEENS1_38merge_mergepath_config_static_selectorELNS0_4arch9wavefront6targetE0EEEvSF_.num_named_barrier, 0
	.set _ZN7rocprim17ROCPRIM_400000_NS6detail17trampoline_kernelINS0_14default_configENS1_38merge_sort_block_merge_config_selectorIiNS0_10empty_typeEEEZZNS1_27merge_sort_block_merge_implIS3_PiPS5_jNS1_19radix_merge_compareILb1ELb0EiNS0_19identity_decomposerEEEEE10hipError_tT0_T1_T2_jT3_P12ihipStream_tbPNSt15iterator_traitsISE_E10value_typeEPNSK_ISF_E10value_typeEPSG_NS1_7vsmem_tEENKUlT_SE_SF_SG_E_clIS8_S8_S9_S9_EESD_ST_SE_SF_SG_EUlST_E0_NS1_11comp_targetILNS1_3genE5ELNS1_11target_archE942ELNS1_3gpuE9ELNS1_3repE0EEENS1_38merge_mergepath_config_static_selectorELNS0_4arch9wavefront6targetE0EEEvSF_.private_seg_size, 0
	.set _ZN7rocprim17ROCPRIM_400000_NS6detail17trampoline_kernelINS0_14default_configENS1_38merge_sort_block_merge_config_selectorIiNS0_10empty_typeEEEZZNS1_27merge_sort_block_merge_implIS3_PiPS5_jNS1_19radix_merge_compareILb1ELb0EiNS0_19identity_decomposerEEEEE10hipError_tT0_T1_T2_jT3_P12ihipStream_tbPNSt15iterator_traitsISE_E10value_typeEPNSK_ISF_E10value_typeEPSG_NS1_7vsmem_tEENKUlT_SE_SF_SG_E_clIS8_S8_S9_S9_EESD_ST_SE_SF_SG_EUlST_E0_NS1_11comp_targetILNS1_3genE5ELNS1_11target_archE942ELNS1_3gpuE9ELNS1_3repE0EEENS1_38merge_mergepath_config_static_selectorELNS0_4arch9wavefront6targetE0EEEvSF_.uses_vcc, 0
	.set _ZN7rocprim17ROCPRIM_400000_NS6detail17trampoline_kernelINS0_14default_configENS1_38merge_sort_block_merge_config_selectorIiNS0_10empty_typeEEEZZNS1_27merge_sort_block_merge_implIS3_PiPS5_jNS1_19radix_merge_compareILb1ELb0EiNS0_19identity_decomposerEEEEE10hipError_tT0_T1_T2_jT3_P12ihipStream_tbPNSt15iterator_traitsISE_E10value_typeEPNSK_ISF_E10value_typeEPSG_NS1_7vsmem_tEENKUlT_SE_SF_SG_E_clIS8_S8_S9_S9_EESD_ST_SE_SF_SG_EUlST_E0_NS1_11comp_targetILNS1_3genE5ELNS1_11target_archE942ELNS1_3gpuE9ELNS1_3repE0EEENS1_38merge_mergepath_config_static_selectorELNS0_4arch9wavefront6targetE0EEEvSF_.uses_flat_scratch, 0
	.set _ZN7rocprim17ROCPRIM_400000_NS6detail17trampoline_kernelINS0_14default_configENS1_38merge_sort_block_merge_config_selectorIiNS0_10empty_typeEEEZZNS1_27merge_sort_block_merge_implIS3_PiPS5_jNS1_19radix_merge_compareILb1ELb0EiNS0_19identity_decomposerEEEEE10hipError_tT0_T1_T2_jT3_P12ihipStream_tbPNSt15iterator_traitsISE_E10value_typeEPNSK_ISF_E10value_typeEPSG_NS1_7vsmem_tEENKUlT_SE_SF_SG_E_clIS8_S8_S9_S9_EESD_ST_SE_SF_SG_EUlST_E0_NS1_11comp_targetILNS1_3genE5ELNS1_11target_archE942ELNS1_3gpuE9ELNS1_3repE0EEENS1_38merge_mergepath_config_static_selectorELNS0_4arch9wavefront6targetE0EEEvSF_.has_dyn_sized_stack, 0
	.set _ZN7rocprim17ROCPRIM_400000_NS6detail17trampoline_kernelINS0_14default_configENS1_38merge_sort_block_merge_config_selectorIiNS0_10empty_typeEEEZZNS1_27merge_sort_block_merge_implIS3_PiPS5_jNS1_19radix_merge_compareILb1ELb0EiNS0_19identity_decomposerEEEEE10hipError_tT0_T1_T2_jT3_P12ihipStream_tbPNSt15iterator_traitsISE_E10value_typeEPNSK_ISF_E10value_typeEPSG_NS1_7vsmem_tEENKUlT_SE_SF_SG_E_clIS8_S8_S9_S9_EESD_ST_SE_SF_SG_EUlST_E0_NS1_11comp_targetILNS1_3genE5ELNS1_11target_archE942ELNS1_3gpuE9ELNS1_3repE0EEENS1_38merge_mergepath_config_static_selectorELNS0_4arch9wavefront6targetE0EEEvSF_.has_recursion, 0
	.set _ZN7rocprim17ROCPRIM_400000_NS6detail17trampoline_kernelINS0_14default_configENS1_38merge_sort_block_merge_config_selectorIiNS0_10empty_typeEEEZZNS1_27merge_sort_block_merge_implIS3_PiPS5_jNS1_19radix_merge_compareILb1ELb0EiNS0_19identity_decomposerEEEEE10hipError_tT0_T1_T2_jT3_P12ihipStream_tbPNSt15iterator_traitsISE_E10value_typeEPNSK_ISF_E10value_typeEPSG_NS1_7vsmem_tEENKUlT_SE_SF_SG_E_clIS8_S8_S9_S9_EESD_ST_SE_SF_SG_EUlST_E0_NS1_11comp_targetILNS1_3genE5ELNS1_11target_archE942ELNS1_3gpuE9ELNS1_3repE0EEENS1_38merge_mergepath_config_static_selectorELNS0_4arch9wavefront6targetE0EEEvSF_.has_indirect_call, 0
	.section	.AMDGPU.csdata,"",@progbits
; Kernel info:
; codeLenInByte = 0
; TotalNumSgprs: 0
; NumVgprs: 0
; ScratchSize: 0
; MemoryBound: 0
; FloatMode: 240
; IeeeMode: 1
; LDSByteSize: 0 bytes/workgroup (compile time only)
; SGPRBlocks: 0
; VGPRBlocks: 0
; NumSGPRsForWavesPerEU: 1
; NumVGPRsForWavesPerEU: 1
; NamedBarCnt: 0
; Occupancy: 16
; WaveLimiterHint : 0
; COMPUTE_PGM_RSRC2:SCRATCH_EN: 0
; COMPUTE_PGM_RSRC2:USER_SGPR: 2
; COMPUTE_PGM_RSRC2:TRAP_HANDLER: 0
; COMPUTE_PGM_RSRC2:TGID_X_EN: 1
; COMPUTE_PGM_RSRC2:TGID_Y_EN: 0
; COMPUTE_PGM_RSRC2:TGID_Z_EN: 0
; COMPUTE_PGM_RSRC2:TIDIG_COMP_CNT: 0
	.section	.text._ZN7rocprim17ROCPRIM_400000_NS6detail17trampoline_kernelINS0_14default_configENS1_38merge_sort_block_merge_config_selectorIiNS0_10empty_typeEEEZZNS1_27merge_sort_block_merge_implIS3_PiPS5_jNS1_19radix_merge_compareILb1ELb0EiNS0_19identity_decomposerEEEEE10hipError_tT0_T1_T2_jT3_P12ihipStream_tbPNSt15iterator_traitsISE_E10value_typeEPNSK_ISF_E10value_typeEPSG_NS1_7vsmem_tEENKUlT_SE_SF_SG_E_clIS8_S8_S9_S9_EESD_ST_SE_SF_SG_EUlST_E0_NS1_11comp_targetILNS1_3genE4ELNS1_11target_archE910ELNS1_3gpuE8ELNS1_3repE0EEENS1_38merge_mergepath_config_static_selectorELNS0_4arch9wavefront6targetE0EEEvSF_,"axG",@progbits,_ZN7rocprim17ROCPRIM_400000_NS6detail17trampoline_kernelINS0_14default_configENS1_38merge_sort_block_merge_config_selectorIiNS0_10empty_typeEEEZZNS1_27merge_sort_block_merge_implIS3_PiPS5_jNS1_19radix_merge_compareILb1ELb0EiNS0_19identity_decomposerEEEEE10hipError_tT0_T1_T2_jT3_P12ihipStream_tbPNSt15iterator_traitsISE_E10value_typeEPNSK_ISF_E10value_typeEPSG_NS1_7vsmem_tEENKUlT_SE_SF_SG_E_clIS8_S8_S9_S9_EESD_ST_SE_SF_SG_EUlST_E0_NS1_11comp_targetILNS1_3genE4ELNS1_11target_archE910ELNS1_3gpuE8ELNS1_3repE0EEENS1_38merge_mergepath_config_static_selectorELNS0_4arch9wavefront6targetE0EEEvSF_,comdat
	.protected	_ZN7rocprim17ROCPRIM_400000_NS6detail17trampoline_kernelINS0_14default_configENS1_38merge_sort_block_merge_config_selectorIiNS0_10empty_typeEEEZZNS1_27merge_sort_block_merge_implIS3_PiPS5_jNS1_19radix_merge_compareILb1ELb0EiNS0_19identity_decomposerEEEEE10hipError_tT0_T1_T2_jT3_P12ihipStream_tbPNSt15iterator_traitsISE_E10value_typeEPNSK_ISF_E10value_typeEPSG_NS1_7vsmem_tEENKUlT_SE_SF_SG_E_clIS8_S8_S9_S9_EESD_ST_SE_SF_SG_EUlST_E0_NS1_11comp_targetILNS1_3genE4ELNS1_11target_archE910ELNS1_3gpuE8ELNS1_3repE0EEENS1_38merge_mergepath_config_static_selectorELNS0_4arch9wavefront6targetE0EEEvSF_ ; -- Begin function _ZN7rocprim17ROCPRIM_400000_NS6detail17trampoline_kernelINS0_14default_configENS1_38merge_sort_block_merge_config_selectorIiNS0_10empty_typeEEEZZNS1_27merge_sort_block_merge_implIS3_PiPS5_jNS1_19radix_merge_compareILb1ELb0EiNS0_19identity_decomposerEEEEE10hipError_tT0_T1_T2_jT3_P12ihipStream_tbPNSt15iterator_traitsISE_E10value_typeEPNSK_ISF_E10value_typeEPSG_NS1_7vsmem_tEENKUlT_SE_SF_SG_E_clIS8_S8_S9_S9_EESD_ST_SE_SF_SG_EUlST_E0_NS1_11comp_targetILNS1_3genE4ELNS1_11target_archE910ELNS1_3gpuE8ELNS1_3repE0EEENS1_38merge_mergepath_config_static_selectorELNS0_4arch9wavefront6targetE0EEEvSF_
	.globl	_ZN7rocprim17ROCPRIM_400000_NS6detail17trampoline_kernelINS0_14default_configENS1_38merge_sort_block_merge_config_selectorIiNS0_10empty_typeEEEZZNS1_27merge_sort_block_merge_implIS3_PiPS5_jNS1_19radix_merge_compareILb1ELb0EiNS0_19identity_decomposerEEEEE10hipError_tT0_T1_T2_jT3_P12ihipStream_tbPNSt15iterator_traitsISE_E10value_typeEPNSK_ISF_E10value_typeEPSG_NS1_7vsmem_tEENKUlT_SE_SF_SG_E_clIS8_S8_S9_S9_EESD_ST_SE_SF_SG_EUlST_E0_NS1_11comp_targetILNS1_3genE4ELNS1_11target_archE910ELNS1_3gpuE8ELNS1_3repE0EEENS1_38merge_mergepath_config_static_selectorELNS0_4arch9wavefront6targetE0EEEvSF_
	.p2align	8
	.type	_ZN7rocprim17ROCPRIM_400000_NS6detail17trampoline_kernelINS0_14default_configENS1_38merge_sort_block_merge_config_selectorIiNS0_10empty_typeEEEZZNS1_27merge_sort_block_merge_implIS3_PiPS5_jNS1_19radix_merge_compareILb1ELb0EiNS0_19identity_decomposerEEEEE10hipError_tT0_T1_T2_jT3_P12ihipStream_tbPNSt15iterator_traitsISE_E10value_typeEPNSK_ISF_E10value_typeEPSG_NS1_7vsmem_tEENKUlT_SE_SF_SG_E_clIS8_S8_S9_S9_EESD_ST_SE_SF_SG_EUlST_E0_NS1_11comp_targetILNS1_3genE4ELNS1_11target_archE910ELNS1_3gpuE8ELNS1_3repE0EEENS1_38merge_mergepath_config_static_selectorELNS0_4arch9wavefront6targetE0EEEvSF_,@function
_ZN7rocprim17ROCPRIM_400000_NS6detail17trampoline_kernelINS0_14default_configENS1_38merge_sort_block_merge_config_selectorIiNS0_10empty_typeEEEZZNS1_27merge_sort_block_merge_implIS3_PiPS5_jNS1_19radix_merge_compareILb1ELb0EiNS0_19identity_decomposerEEEEE10hipError_tT0_T1_T2_jT3_P12ihipStream_tbPNSt15iterator_traitsISE_E10value_typeEPNSK_ISF_E10value_typeEPSG_NS1_7vsmem_tEENKUlT_SE_SF_SG_E_clIS8_S8_S9_S9_EESD_ST_SE_SF_SG_EUlST_E0_NS1_11comp_targetILNS1_3genE4ELNS1_11target_archE910ELNS1_3gpuE8ELNS1_3repE0EEENS1_38merge_mergepath_config_static_selectorELNS0_4arch9wavefront6targetE0EEEvSF_: ; @_ZN7rocprim17ROCPRIM_400000_NS6detail17trampoline_kernelINS0_14default_configENS1_38merge_sort_block_merge_config_selectorIiNS0_10empty_typeEEEZZNS1_27merge_sort_block_merge_implIS3_PiPS5_jNS1_19radix_merge_compareILb1ELb0EiNS0_19identity_decomposerEEEEE10hipError_tT0_T1_T2_jT3_P12ihipStream_tbPNSt15iterator_traitsISE_E10value_typeEPNSK_ISF_E10value_typeEPSG_NS1_7vsmem_tEENKUlT_SE_SF_SG_E_clIS8_S8_S9_S9_EESD_ST_SE_SF_SG_EUlST_E0_NS1_11comp_targetILNS1_3genE4ELNS1_11target_archE910ELNS1_3gpuE8ELNS1_3repE0EEENS1_38merge_mergepath_config_static_selectorELNS0_4arch9wavefront6targetE0EEEvSF_
; %bb.0:
	.section	.rodata,"a",@progbits
	.p2align	6, 0x0
	.amdhsa_kernel _ZN7rocprim17ROCPRIM_400000_NS6detail17trampoline_kernelINS0_14default_configENS1_38merge_sort_block_merge_config_selectorIiNS0_10empty_typeEEEZZNS1_27merge_sort_block_merge_implIS3_PiPS5_jNS1_19radix_merge_compareILb1ELb0EiNS0_19identity_decomposerEEEEE10hipError_tT0_T1_T2_jT3_P12ihipStream_tbPNSt15iterator_traitsISE_E10value_typeEPNSK_ISF_E10value_typeEPSG_NS1_7vsmem_tEENKUlT_SE_SF_SG_E_clIS8_S8_S9_S9_EESD_ST_SE_SF_SG_EUlST_E0_NS1_11comp_targetILNS1_3genE4ELNS1_11target_archE910ELNS1_3gpuE8ELNS1_3repE0EEENS1_38merge_mergepath_config_static_selectorELNS0_4arch9wavefront6targetE0EEEvSF_
		.amdhsa_group_segment_fixed_size 0
		.amdhsa_private_segment_fixed_size 0
		.amdhsa_kernarg_size 64
		.amdhsa_user_sgpr_count 2
		.amdhsa_user_sgpr_dispatch_ptr 0
		.amdhsa_user_sgpr_queue_ptr 0
		.amdhsa_user_sgpr_kernarg_segment_ptr 1
		.amdhsa_user_sgpr_dispatch_id 0
		.amdhsa_user_sgpr_kernarg_preload_length 0
		.amdhsa_user_sgpr_kernarg_preload_offset 0
		.amdhsa_user_sgpr_private_segment_size 0
		.amdhsa_wavefront_size32 1
		.amdhsa_uses_dynamic_stack 0
		.amdhsa_enable_private_segment 0
		.amdhsa_system_sgpr_workgroup_id_x 1
		.amdhsa_system_sgpr_workgroup_id_y 0
		.amdhsa_system_sgpr_workgroup_id_z 0
		.amdhsa_system_sgpr_workgroup_info 0
		.amdhsa_system_vgpr_workitem_id 0
		.amdhsa_next_free_vgpr 1
		.amdhsa_next_free_sgpr 1
		.amdhsa_named_barrier_count 0
		.amdhsa_reserve_vcc 0
		.amdhsa_float_round_mode_32 0
		.amdhsa_float_round_mode_16_64 0
		.amdhsa_float_denorm_mode_32 3
		.amdhsa_float_denorm_mode_16_64 3
		.amdhsa_fp16_overflow 0
		.amdhsa_memory_ordered 1
		.amdhsa_forward_progress 1
		.amdhsa_inst_pref_size 0
		.amdhsa_round_robin_scheduling 0
		.amdhsa_exception_fp_ieee_invalid_op 0
		.amdhsa_exception_fp_denorm_src 0
		.amdhsa_exception_fp_ieee_div_zero 0
		.amdhsa_exception_fp_ieee_overflow 0
		.amdhsa_exception_fp_ieee_underflow 0
		.amdhsa_exception_fp_ieee_inexact 0
		.amdhsa_exception_int_div_zero 0
	.end_amdhsa_kernel
	.section	.text._ZN7rocprim17ROCPRIM_400000_NS6detail17trampoline_kernelINS0_14default_configENS1_38merge_sort_block_merge_config_selectorIiNS0_10empty_typeEEEZZNS1_27merge_sort_block_merge_implIS3_PiPS5_jNS1_19radix_merge_compareILb1ELb0EiNS0_19identity_decomposerEEEEE10hipError_tT0_T1_T2_jT3_P12ihipStream_tbPNSt15iterator_traitsISE_E10value_typeEPNSK_ISF_E10value_typeEPSG_NS1_7vsmem_tEENKUlT_SE_SF_SG_E_clIS8_S8_S9_S9_EESD_ST_SE_SF_SG_EUlST_E0_NS1_11comp_targetILNS1_3genE4ELNS1_11target_archE910ELNS1_3gpuE8ELNS1_3repE0EEENS1_38merge_mergepath_config_static_selectorELNS0_4arch9wavefront6targetE0EEEvSF_,"axG",@progbits,_ZN7rocprim17ROCPRIM_400000_NS6detail17trampoline_kernelINS0_14default_configENS1_38merge_sort_block_merge_config_selectorIiNS0_10empty_typeEEEZZNS1_27merge_sort_block_merge_implIS3_PiPS5_jNS1_19radix_merge_compareILb1ELb0EiNS0_19identity_decomposerEEEEE10hipError_tT0_T1_T2_jT3_P12ihipStream_tbPNSt15iterator_traitsISE_E10value_typeEPNSK_ISF_E10value_typeEPSG_NS1_7vsmem_tEENKUlT_SE_SF_SG_E_clIS8_S8_S9_S9_EESD_ST_SE_SF_SG_EUlST_E0_NS1_11comp_targetILNS1_3genE4ELNS1_11target_archE910ELNS1_3gpuE8ELNS1_3repE0EEENS1_38merge_mergepath_config_static_selectorELNS0_4arch9wavefront6targetE0EEEvSF_,comdat
.Lfunc_end778:
	.size	_ZN7rocprim17ROCPRIM_400000_NS6detail17trampoline_kernelINS0_14default_configENS1_38merge_sort_block_merge_config_selectorIiNS0_10empty_typeEEEZZNS1_27merge_sort_block_merge_implIS3_PiPS5_jNS1_19radix_merge_compareILb1ELb0EiNS0_19identity_decomposerEEEEE10hipError_tT0_T1_T2_jT3_P12ihipStream_tbPNSt15iterator_traitsISE_E10value_typeEPNSK_ISF_E10value_typeEPSG_NS1_7vsmem_tEENKUlT_SE_SF_SG_E_clIS8_S8_S9_S9_EESD_ST_SE_SF_SG_EUlST_E0_NS1_11comp_targetILNS1_3genE4ELNS1_11target_archE910ELNS1_3gpuE8ELNS1_3repE0EEENS1_38merge_mergepath_config_static_selectorELNS0_4arch9wavefront6targetE0EEEvSF_, .Lfunc_end778-_ZN7rocprim17ROCPRIM_400000_NS6detail17trampoline_kernelINS0_14default_configENS1_38merge_sort_block_merge_config_selectorIiNS0_10empty_typeEEEZZNS1_27merge_sort_block_merge_implIS3_PiPS5_jNS1_19radix_merge_compareILb1ELb0EiNS0_19identity_decomposerEEEEE10hipError_tT0_T1_T2_jT3_P12ihipStream_tbPNSt15iterator_traitsISE_E10value_typeEPNSK_ISF_E10value_typeEPSG_NS1_7vsmem_tEENKUlT_SE_SF_SG_E_clIS8_S8_S9_S9_EESD_ST_SE_SF_SG_EUlST_E0_NS1_11comp_targetILNS1_3genE4ELNS1_11target_archE910ELNS1_3gpuE8ELNS1_3repE0EEENS1_38merge_mergepath_config_static_selectorELNS0_4arch9wavefront6targetE0EEEvSF_
                                        ; -- End function
	.set _ZN7rocprim17ROCPRIM_400000_NS6detail17trampoline_kernelINS0_14default_configENS1_38merge_sort_block_merge_config_selectorIiNS0_10empty_typeEEEZZNS1_27merge_sort_block_merge_implIS3_PiPS5_jNS1_19radix_merge_compareILb1ELb0EiNS0_19identity_decomposerEEEEE10hipError_tT0_T1_T2_jT3_P12ihipStream_tbPNSt15iterator_traitsISE_E10value_typeEPNSK_ISF_E10value_typeEPSG_NS1_7vsmem_tEENKUlT_SE_SF_SG_E_clIS8_S8_S9_S9_EESD_ST_SE_SF_SG_EUlST_E0_NS1_11comp_targetILNS1_3genE4ELNS1_11target_archE910ELNS1_3gpuE8ELNS1_3repE0EEENS1_38merge_mergepath_config_static_selectorELNS0_4arch9wavefront6targetE0EEEvSF_.num_vgpr, 0
	.set _ZN7rocprim17ROCPRIM_400000_NS6detail17trampoline_kernelINS0_14default_configENS1_38merge_sort_block_merge_config_selectorIiNS0_10empty_typeEEEZZNS1_27merge_sort_block_merge_implIS3_PiPS5_jNS1_19radix_merge_compareILb1ELb0EiNS0_19identity_decomposerEEEEE10hipError_tT0_T1_T2_jT3_P12ihipStream_tbPNSt15iterator_traitsISE_E10value_typeEPNSK_ISF_E10value_typeEPSG_NS1_7vsmem_tEENKUlT_SE_SF_SG_E_clIS8_S8_S9_S9_EESD_ST_SE_SF_SG_EUlST_E0_NS1_11comp_targetILNS1_3genE4ELNS1_11target_archE910ELNS1_3gpuE8ELNS1_3repE0EEENS1_38merge_mergepath_config_static_selectorELNS0_4arch9wavefront6targetE0EEEvSF_.num_agpr, 0
	.set _ZN7rocprim17ROCPRIM_400000_NS6detail17trampoline_kernelINS0_14default_configENS1_38merge_sort_block_merge_config_selectorIiNS0_10empty_typeEEEZZNS1_27merge_sort_block_merge_implIS3_PiPS5_jNS1_19radix_merge_compareILb1ELb0EiNS0_19identity_decomposerEEEEE10hipError_tT0_T1_T2_jT3_P12ihipStream_tbPNSt15iterator_traitsISE_E10value_typeEPNSK_ISF_E10value_typeEPSG_NS1_7vsmem_tEENKUlT_SE_SF_SG_E_clIS8_S8_S9_S9_EESD_ST_SE_SF_SG_EUlST_E0_NS1_11comp_targetILNS1_3genE4ELNS1_11target_archE910ELNS1_3gpuE8ELNS1_3repE0EEENS1_38merge_mergepath_config_static_selectorELNS0_4arch9wavefront6targetE0EEEvSF_.numbered_sgpr, 0
	.set _ZN7rocprim17ROCPRIM_400000_NS6detail17trampoline_kernelINS0_14default_configENS1_38merge_sort_block_merge_config_selectorIiNS0_10empty_typeEEEZZNS1_27merge_sort_block_merge_implIS3_PiPS5_jNS1_19radix_merge_compareILb1ELb0EiNS0_19identity_decomposerEEEEE10hipError_tT0_T1_T2_jT3_P12ihipStream_tbPNSt15iterator_traitsISE_E10value_typeEPNSK_ISF_E10value_typeEPSG_NS1_7vsmem_tEENKUlT_SE_SF_SG_E_clIS8_S8_S9_S9_EESD_ST_SE_SF_SG_EUlST_E0_NS1_11comp_targetILNS1_3genE4ELNS1_11target_archE910ELNS1_3gpuE8ELNS1_3repE0EEENS1_38merge_mergepath_config_static_selectorELNS0_4arch9wavefront6targetE0EEEvSF_.num_named_barrier, 0
	.set _ZN7rocprim17ROCPRIM_400000_NS6detail17trampoline_kernelINS0_14default_configENS1_38merge_sort_block_merge_config_selectorIiNS0_10empty_typeEEEZZNS1_27merge_sort_block_merge_implIS3_PiPS5_jNS1_19radix_merge_compareILb1ELb0EiNS0_19identity_decomposerEEEEE10hipError_tT0_T1_T2_jT3_P12ihipStream_tbPNSt15iterator_traitsISE_E10value_typeEPNSK_ISF_E10value_typeEPSG_NS1_7vsmem_tEENKUlT_SE_SF_SG_E_clIS8_S8_S9_S9_EESD_ST_SE_SF_SG_EUlST_E0_NS1_11comp_targetILNS1_3genE4ELNS1_11target_archE910ELNS1_3gpuE8ELNS1_3repE0EEENS1_38merge_mergepath_config_static_selectorELNS0_4arch9wavefront6targetE0EEEvSF_.private_seg_size, 0
	.set _ZN7rocprim17ROCPRIM_400000_NS6detail17trampoline_kernelINS0_14default_configENS1_38merge_sort_block_merge_config_selectorIiNS0_10empty_typeEEEZZNS1_27merge_sort_block_merge_implIS3_PiPS5_jNS1_19radix_merge_compareILb1ELb0EiNS0_19identity_decomposerEEEEE10hipError_tT0_T1_T2_jT3_P12ihipStream_tbPNSt15iterator_traitsISE_E10value_typeEPNSK_ISF_E10value_typeEPSG_NS1_7vsmem_tEENKUlT_SE_SF_SG_E_clIS8_S8_S9_S9_EESD_ST_SE_SF_SG_EUlST_E0_NS1_11comp_targetILNS1_3genE4ELNS1_11target_archE910ELNS1_3gpuE8ELNS1_3repE0EEENS1_38merge_mergepath_config_static_selectorELNS0_4arch9wavefront6targetE0EEEvSF_.uses_vcc, 0
	.set _ZN7rocprim17ROCPRIM_400000_NS6detail17trampoline_kernelINS0_14default_configENS1_38merge_sort_block_merge_config_selectorIiNS0_10empty_typeEEEZZNS1_27merge_sort_block_merge_implIS3_PiPS5_jNS1_19radix_merge_compareILb1ELb0EiNS0_19identity_decomposerEEEEE10hipError_tT0_T1_T2_jT3_P12ihipStream_tbPNSt15iterator_traitsISE_E10value_typeEPNSK_ISF_E10value_typeEPSG_NS1_7vsmem_tEENKUlT_SE_SF_SG_E_clIS8_S8_S9_S9_EESD_ST_SE_SF_SG_EUlST_E0_NS1_11comp_targetILNS1_3genE4ELNS1_11target_archE910ELNS1_3gpuE8ELNS1_3repE0EEENS1_38merge_mergepath_config_static_selectorELNS0_4arch9wavefront6targetE0EEEvSF_.uses_flat_scratch, 0
	.set _ZN7rocprim17ROCPRIM_400000_NS6detail17trampoline_kernelINS0_14default_configENS1_38merge_sort_block_merge_config_selectorIiNS0_10empty_typeEEEZZNS1_27merge_sort_block_merge_implIS3_PiPS5_jNS1_19radix_merge_compareILb1ELb0EiNS0_19identity_decomposerEEEEE10hipError_tT0_T1_T2_jT3_P12ihipStream_tbPNSt15iterator_traitsISE_E10value_typeEPNSK_ISF_E10value_typeEPSG_NS1_7vsmem_tEENKUlT_SE_SF_SG_E_clIS8_S8_S9_S9_EESD_ST_SE_SF_SG_EUlST_E0_NS1_11comp_targetILNS1_3genE4ELNS1_11target_archE910ELNS1_3gpuE8ELNS1_3repE0EEENS1_38merge_mergepath_config_static_selectorELNS0_4arch9wavefront6targetE0EEEvSF_.has_dyn_sized_stack, 0
	.set _ZN7rocprim17ROCPRIM_400000_NS6detail17trampoline_kernelINS0_14default_configENS1_38merge_sort_block_merge_config_selectorIiNS0_10empty_typeEEEZZNS1_27merge_sort_block_merge_implIS3_PiPS5_jNS1_19radix_merge_compareILb1ELb0EiNS0_19identity_decomposerEEEEE10hipError_tT0_T1_T2_jT3_P12ihipStream_tbPNSt15iterator_traitsISE_E10value_typeEPNSK_ISF_E10value_typeEPSG_NS1_7vsmem_tEENKUlT_SE_SF_SG_E_clIS8_S8_S9_S9_EESD_ST_SE_SF_SG_EUlST_E0_NS1_11comp_targetILNS1_3genE4ELNS1_11target_archE910ELNS1_3gpuE8ELNS1_3repE0EEENS1_38merge_mergepath_config_static_selectorELNS0_4arch9wavefront6targetE0EEEvSF_.has_recursion, 0
	.set _ZN7rocprim17ROCPRIM_400000_NS6detail17trampoline_kernelINS0_14default_configENS1_38merge_sort_block_merge_config_selectorIiNS0_10empty_typeEEEZZNS1_27merge_sort_block_merge_implIS3_PiPS5_jNS1_19radix_merge_compareILb1ELb0EiNS0_19identity_decomposerEEEEE10hipError_tT0_T1_T2_jT3_P12ihipStream_tbPNSt15iterator_traitsISE_E10value_typeEPNSK_ISF_E10value_typeEPSG_NS1_7vsmem_tEENKUlT_SE_SF_SG_E_clIS8_S8_S9_S9_EESD_ST_SE_SF_SG_EUlST_E0_NS1_11comp_targetILNS1_3genE4ELNS1_11target_archE910ELNS1_3gpuE8ELNS1_3repE0EEENS1_38merge_mergepath_config_static_selectorELNS0_4arch9wavefront6targetE0EEEvSF_.has_indirect_call, 0
	.section	.AMDGPU.csdata,"",@progbits
; Kernel info:
; codeLenInByte = 0
; TotalNumSgprs: 0
; NumVgprs: 0
; ScratchSize: 0
; MemoryBound: 0
; FloatMode: 240
; IeeeMode: 1
; LDSByteSize: 0 bytes/workgroup (compile time only)
; SGPRBlocks: 0
; VGPRBlocks: 0
; NumSGPRsForWavesPerEU: 1
; NumVGPRsForWavesPerEU: 1
; NamedBarCnt: 0
; Occupancy: 16
; WaveLimiterHint : 0
; COMPUTE_PGM_RSRC2:SCRATCH_EN: 0
; COMPUTE_PGM_RSRC2:USER_SGPR: 2
; COMPUTE_PGM_RSRC2:TRAP_HANDLER: 0
; COMPUTE_PGM_RSRC2:TGID_X_EN: 1
; COMPUTE_PGM_RSRC2:TGID_Y_EN: 0
; COMPUTE_PGM_RSRC2:TGID_Z_EN: 0
; COMPUTE_PGM_RSRC2:TIDIG_COMP_CNT: 0
	.section	.text._ZN7rocprim17ROCPRIM_400000_NS6detail17trampoline_kernelINS0_14default_configENS1_38merge_sort_block_merge_config_selectorIiNS0_10empty_typeEEEZZNS1_27merge_sort_block_merge_implIS3_PiPS5_jNS1_19radix_merge_compareILb1ELb0EiNS0_19identity_decomposerEEEEE10hipError_tT0_T1_T2_jT3_P12ihipStream_tbPNSt15iterator_traitsISE_E10value_typeEPNSK_ISF_E10value_typeEPSG_NS1_7vsmem_tEENKUlT_SE_SF_SG_E_clIS8_S8_S9_S9_EESD_ST_SE_SF_SG_EUlST_E0_NS1_11comp_targetILNS1_3genE3ELNS1_11target_archE908ELNS1_3gpuE7ELNS1_3repE0EEENS1_38merge_mergepath_config_static_selectorELNS0_4arch9wavefront6targetE0EEEvSF_,"axG",@progbits,_ZN7rocprim17ROCPRIM_400000_NS6detail17trampoline_kernelINS0_14default_configENS1_38merge_sort_block_merge_config_selectorIiNS0_10empty_typeEEEZZNS1_27merge_sort_block_merge_implIS3_PiPS5_jNS1_19radix_merge_compareILb1ELb0EiNS0_19identity_decomposerEEEEE10hipError_tT0_T1_T2_jT3_P12ihipStream_tbPNSt15iterator_traitsISE_E10value_typeEPNSK_ISF_E10value_typeEPSG_NS1_7vsmem_tEENKUlT_SE_SF_SG_E_clIS8_S8_S9_S9_EESD_ST_SE_SF_SG_EUlST_E0_NS1_11comp_targetILNS1_3genE3ELNS1_11target_archE908ELNS1_3gpuE7ELNS1_3repE0EEENS1_38merge_mergepath_config_static_selectorELNS0_4arch9wavefront6targetE0EEEvSF_,comdat
	.protected	_ZN7rocprim17ROCPRIM_400000_NS6detail17trampoline_kernelINS0_14default_configENS1_38merge_sort_block_merge_config_selectorIiNS0_10empty_typeEEEZZNS1_27merge_sort_block_merge_implIS3_PiPS5_jNS1_19radix_merge_compareILb1ELb0EiNS0_19identity_decomposerEEEEE10hipError_tT0_T1_T2_jT3_P12ihipStream_tbPNSt15iterator_traitsISE_E10value_typeEPNSK_ISF_E10value_typeEPSG_NS1_7vsmem_tEENKUlT_SE_SF_SG_E_clIS8_S8_S9_S9_EESD_ST_SE_SF_SG_EUlST_E0_NS1_11comp_targetILNS1_3genE3ELNS1_11target_archE908ELNS1_3gpuE7ELNS1_3repE0EEENS1_38merge_mergepath_config_static_selectorELNS0_4arch9wavefront6targetE0EEEvSF_ ; -- Begin function _ZN7rocprim17ROCPRIM_400000_NS6detail17trampoline_kernelINS0_14default_configENS1_38merge_sort_block_merge_config_selectorIiNS0_10empty_typeEEEZZNS1_27merge_sort_block_merge_implIS3_PiPS5_jNS1_19radix_merge_compareILb1ELb0EiNS0_19identity_decomposerEEEEE10hipError_tT0_T1_T2_jT3_P12ihipStream_tbPNSt15iterator_traitsISE_E10value_typeEPNSK_ISF_E10value_typeEPSG_NS1_7vsmem_tEENKUlT_SE_SF_SG_E_clIS8_S8_S9_S9_EESD_ST_SE_SF_SG_EUlST_E0_NS1_11comp_targetILNS1_3genE3ELNS1_11target_archE908ELNS1_3gpuE7ELNS1_3repE0EEENS1_38merge_mergepath_config_static_selectorELNS0_4arch9wavefront6targetE0EEEvSF_
	.globl	_ZN7rocprim17ROCPRIM_400000_NS6detail17trampoline_kernelINS0_14default_configENS1_38merge_sort_block_merge_config_selectorIiNS0_10empty_typeEEEZZNS1_27merge_sort_block_merge_implIS3_PiPS5_jNS1_19radix_merge_compareILb1ELb0EiNS0_19identity_decomposerEEEEE10hipError_tT0_T1_T2_jT3_P12ihipStream_tbPNSt15iterator_traitsISE_E10value_typeEPNSK_ISF_E10value_typeEPSG_NS1_7vsmem_tEENKUlT_SE_SF_SG_E_clIS8_S8_S9_S9_EESD_ST_SE_SF_SG_EUlST_E0_NS1_11comp_targetILNS1_3genE3ELNS1_11target_archE908ELNS1_3gpuE7ELNS1_3repE0EEENS1_38merge_mergepath_config_static_selectorELNS0_4arch9wavefront6targetE0EEEvSF_
	.p2align	8
	.type	_ZN7rocprim17ROCPRIM_400000_NS6detail17trampoline_kernelINS0_14default_configENS1_38merge_sort_block_merge_config_selectorIiNS0_10empty_typeEEEZZNS1_27merge_sort_block_merge_implIS3_PiPS5_jNS1_19radix_merge_compareILb1ELb0EiNS0_19identity_decomposerEEEEE10hipError_tT0_T1_T2_jT3_P12ihipStream_tbPNSt15iterator_traitsISE_E10value_typeEPNSK_ISF_E10value_typeEPSG_NS1_7vsmem_tEENKUlT_SE_SF_SG_E_clIS8_S8_S9_S9_EESD_ST_SE_SF_SG_EUlST_E0_NS1_11comp_targetILNS1_3genE3ELNS1_11target_archE908ELNS1_3gpuE7ELNS1_3repE0EEENS1_38merge_mergepath_config_static_selectorELNS0_4arch9wavefront6targetE0EEEvSF_,@function
_ZN7rocprim17ROCPRIM_400000_NS6detail17trampoline_kernelINS0_14default_configENS1_38merge_sort_block_merge_config_selectorIiNS0_10empty_typeEEEZZNS1_27merge_sort_block_merge_implIS3_PiPS5_jNS1_19radix_merge_compareILb1ELb0EiNS0_19identity_decomposerEEEEE10hipError_tT0_T1_T2_jT3_P12ihipStream_tbPNSt15iterator_traitsISE_E10value_typeEPNSK_ISF_E10value_typeEPSG_NS1_7vsmem_tEENKUlT_SE_SF_SG_E_clIS8_S8_S9_S9_EESD_ST_SE_SF_SG_EUlST_E0_NS1_11comp_targetILNS1_3genE3ELNS1_11target_archE908ELNS1_3gpuE7ELNS1_3repE0EEENS1_38merge_mergepath_config_static_selectorELNS0_4arch9wavefront6targetE0EEEvSF_: ; @_ZN7rocprim17ROCPRIM_400000_NS6detail17trampoline_kernelINS0_14default_configENS1_38merge_sort_block_merge_config_selectorIiNS0_10empty_typeEEEZZNS1_27merge_sort_block_merge_implIS3_PiPS5_jNS1_19radix_merge_compareILb1ELb0EiNS0_19identity_decomposerEEEEE10hipError_tT0_T1_T2_jT3_P12ihipStream_tbPNSt15iterator_traitsISE_E10value_typeEPNSK_ISF_E10value_typeEPSG_NS1_7vsmem_tEENKUlT_SE_SF_SG_E_clIS8_S8_S9_S9_EESD_ST_SE_SF_SG_EUlST_E0_NS1_11comp_targetILNS1_3genE3ELNS1_11target_archE908ELNS1_3gpuE7ELNS1_3repE0EEENS1_38merge_mergepath_config_static_selectorELNS0_4arch9wavefront6targetE0EEEvSF_
; %bb.0:
	.section	.rodata,"a",@progbits
	.p2align	6, 0x0
	.amdhsa_kernel _ZN7rocprim17ROCPRIM_400000_NS6detail17trampoline_kernelINS0_14default_configENS1_38merge_sort_block_merge_config_selectorIiNS0_10empty_typeEEEZZNS1_27merge_sort_block_merge_implIS3_PiPS5_jNS1_19radix_merge_compareILb1ELb0EiNS0_19identity_decomposerEEEEE10hipError_tT0_T1_T2_jT3_P12ihipStream_tbPNSt15iterator_traitsISE_E10value_typeEPNSK_ISF_E10value_typeEPSG_NS1_7vsmem_tEENKUlT_SE_SF_SG_E_clIS8_S8_S9_S9_EESD_ST_SE_SF_SG_EUlST_E0_NS1_11comp_targetILNS1_3genE3ELNS1_11target_archE908ELNS1_3gpuE7ELNS1_3repE0EEENS1_38merge_mergepath_config_static_selectorELNS0_4arch9wavefront6targetE0EEEvSF_
		.amdhsa_group_segment_fixed_size 0
		.amdhsa_private_segment_fixed_size 0
		.amdhsa_kernarg_size 64
		.amdhsa_user_sgpr_count 2
		.amdhsa_user_sgpr_dispatch_ptr 0
		.amdhsa_user_sgpr_queue_ptr 0
		.amdhsa_user_sgpr_kernarg_segment_ptr 1
		.amdhsa_user_sgpr_dispatch_id 0
		.amdhsa_user_sgpr_kernarg_preload_length 0
		.amdhsa_user_sgpr_kernarg_preload_offset 0
		.amdhsa_user_sgpr_private_segment_size 0
		.amdhsa_wavefront_size32 1
		.amdhsa_uses_dynamic_stack 0
		.amdhsa_enable_private_segment 0
		.amdhsa_system_sgpr_workgroup_id_x 1
		.amdhsa_system_sgpr_workgroup_id_y 0
		.amdhsa_system_sgpr_workgroup_id_z 0
		.amdhsa_system_sgpr_workgroup_info 0
		.amdhsa_system_vgpr_workitem_id 0
		.amdhsa_next_free_vgpr 1
		.amdhsa_next_free_sgpr 1
		.amdhsa_named_barrier_count 0
		.amdhsa_reserve_vcc 0
		.amdhsa_float_round_mode_32 0
		.amdhsa_float_round_mode_16_64 0
		.amdhsa_float_denorm_mode_32 3
		.amdhsa_float_denorm_mode_16_64 3
		.amdhsa_fp16_overflow 0
		.amdhsa_memory_ordered 1
		.amdhsa_forward_progress 1
		.amdhsa_inst_pref_size 0
		.amdhsa_round_robin_scheduling 0
		.amdhsa_exception_fp_ieee_invalid_op 0
		.amdhsa_exception_fp_denorm_src 0
		.amdhsa_exception_fp_ieee_div_zero 0
		.amdhsa_exception_fp_ieee_overflow 0
		.amdhsa_exception_fp_ieee_underflow 0
		.amdhsa_exception_fp_ieee_inexact 0
		.amdhsa_exception_int_div_zero 0
	.end_amdhsa_kernel
	.section	.text._ZN7rocprim17ROCPRIM_400000_NS6detail17trampoline_kernelINS0_14default_configENS1_38merge_sort_block_merge_config_selectorIiNS0_10empty_typeEEEZZNS1_27merge_sort_block_merge_implIS3_PiPS5_jNS1_19radix_merge_compareILb1ELb0EiNS0_19identity_decomposerEEEEE10hipError_tT0_T1_T2_jT3_P12ihipStream_tbPNSt15iterator_traitsISE_E10value_typeEPNSK_ISF_E10value_typeEPSG_NS1_7vsmem_tEENKUlT_SE_SF_SG_E_clIS8_S8_S9_S9_EESD_ST_SE_SF_SG_EUlST_E0_NS1_11comp_targetILNS1_3genE3ELNS1_11target_archE908ELNS1_3gpuE7ELNS1_3repE0EEENS1_38merge_mergepath_config_static_selectorELNS0_4arch9wavefront6targetE0EEEvSF_,"axG",@progbits,_ZN7rocprim17ROCPRIM_400000_NS6detail17trampoline_kernelINS0_14default_configENS1_38merge_sort_block_merge_config_selectorIiNS0_10empty_typeEEEZZNS1_27merge_sort_block_merge_implIS3_PiPS5_jNS1_19radix_merge_compareILb1ELb0EiNS0_19identity_decomposerEEEEE10hipError_tT0_T1_T2_jT3_P12ihipStream_tbPNSt15iterator_traitsISE_E10value_typeEPNSK_ISF_E10value_typeEPSG_NS1_7vsmem_tEENKUlT_SE_SF_SG_E_clIS8_S8_S9_S9_EESD_ST_SE_SF_SG_EUlST_E0_NS1_11comp_targetILNS1_3genE3ELNS1_11target_archE908ELNS1_3gpuE7ELNS1_3repE0EEENS1_38merge_mergepath_config_static_selectorELNS0_4arch9wavefront6targetE0EEEvSF_,comdat
.Lfunc_end779:
	.size	_ZN7rocprim17ROCPRIM_400000_NS6detail17trampoline_kernelINS0_14default_configENS1_38merge_sort_block_merge_config_selectorIiNS0_10empty_typeEEEZZNS1_27merge_sort_block_merge_implIS3_PiPS5_jNS1_19radix_merge_compareILb1ELb0EiNS0_19identity_decomposerEEEEE10hipError_tT0_T1_T2_jT3_P12ihipStream_tbPNSt15iterator_traitsISE_E10value_typeEPNSK_ISF_E10value_typeEPSG_NS1_7vsmem_tEENKUlT_SE_SF_SG_E_clIS8_S8_S9_S9_EESD_ST_SE_SF_SG_EUlST_E0_NS1_11comp_targetILNS1_3genE3ELNS1_11target_archE908ELNS1_3gpuE7ELNS1_3repE0EEENS1_38merge_mergepath_config_static_selectorELNS0_4arch9wavefront6targetE0EEEvSF_, .Lfunc_end779-_ZN7rocprim17ROCPRIM_400000_NS6detail17trampoline_kernelINS0_14default_configENS1_38merge_sort_block_merge_config_selectorIiNS0_10empty_typeEEEZZNS1_27merge_sort_block_merge_implIS3_PiPS5_jNS1_19radix_merge_compareILb1ELb0EiNS0_19identity_decomposerEEEEE10hipError_tT0_T1_T2_jT3_P12ihipStream_tbPNSt15iterator_traitsISE_E10value_typeEPNSK_ISF_E10value_typeEPSG_NS1_7vsmem_tEENKUlT_SE_SF_SG_E_clIS8_S8_S9_S9_EESD_ST_SE_SF_SG_EUlST_E0_NS1_11comp_targetILNS1_3genE3ELNS1_11target_archE908ELNS1_3gpuE7ELNS1_3repE0EEENS1_38merge_mergepath_config_static_selectorELNS0_4arch9wavefront6targetE0EEEvSF_
                                        ; -- End function
	.set _ZN7rocprim17ROCPRIM_400000_NS6detail17trampoline_kernelINS0_14default_configENS1_38merge_sort_block_merge_config_selectorIiNS0_10empty_typeEEEZZNS1_27merge_sort_block_merge_implIS3_PiPS5_jNS1_19radix_merge_compareILb1ELb0EiNS0_19identity_decomposerEEEEE10hipError_tT0_T1_T2_jT3_P12ihipStream_tbPNSt15iterator_traitsISE_E10value_typeEPNSK_ISF_E10value_typeEPSG_NS1_7vsmem_tEENKUlT_SE_SF_SG_E_clIS8_S8_S9_S9_EESD_ST_SE_SF_SG_EUlST_E0_NS1_11comp_targetILNS1_3genE3ELNS1_11target_archE908ELNS1_3gpuE7ELNS1_3repE0EEENS1_38merge_mergepath_config_static_selectorELNS0_4arch9wavefront6targetE0EEEvSF_.num_vgpr, 0
	.set _ZN7rocprim17ROCPRIM_400000_NS6detail17trampoline_kernelINS0_14default_configENS1_38merge_sort_block_merge_config_selectorIiNS0_10empty_typeEEEZZNS1_27merge_sort_block_merge_implIS3_PiPS5_jNS1_19radix_merge_compareILb1ELb0EiNS0_19identity_decomposerEEEEE10hipError_tT0_T1_T2_jT3_P12ihipStream_tbPNSt15iterator_traitsISE_E10value_typeEPNSK_ISF_E10value_typeEPSG_NS1_7vsmem_tEENKUlT_SE_SF_SG_E_clIS8_S8_S9_S9_EESD_ST_SE_SF_SG_EUlST_E0_NS1_11comp_targetILNS1_3genE3ELNS1_11target_archE908ELNS1_3gpuE7ELNS1_3repE0EEENS1_38merge_mergepath_config_static_selectorELNS0_4arch9wavefront6targetE0EEEvSF_.num_agpr, 0
	.set _ZN7rocprim17ROCPRIM_400000_NS6detail17trampoline_kernelINS0_14default_configENS1_38merge_sort_block_merge_config_selectorIiNS0_10empty_typeEEEZZNS1_27merge_sort_block_merge_implIS3_PiPS5_jNS1_19radix_merge_compareILb1ELb0EiNS0_19identity_decomposerEEEEE10hipError_tT0_T1_T2_jT3_P12ihipStream_tbPNSt15iterator_traitsISE_E10value_typeEPNSK_ISF_E10value_typeEPSG_NS1_7vsmem_tEENKUlT_SE_SF_SG_E_clIS8_S8_S9_S9_EESD_ST_SE_SF_SG_EUlST_E0_NS1_11comp_targetILNS1_3genE3ELNS1_11target_archE908ELNS1_3gpuE7ELNS1_3repE0EEENS1_38merge_mergepath_config_static_selectorELNS0_4arch9wavefront6targetE0EEEvSF_.numbered_sgpr, 0
	.set _ZN7rocprim17ROCPRIM_400000_NS6detail17trampoline_kernelINS0_14default_configENS1_38merge_sort_block_merge_config_selectorIiNS0_10empty_typeEEEZZNS1_27merge_sort_block_merge_implIS3_PiPS5_jNS1_19radix_merge_compareILb1ELb0EiNS0_19identity_decomposerEEEEE10hipError_tT0_T1_T2_jT3_P12ihipStream_tbPNSt15iterator_traitsISE_E10value_typeEPNSK_ISF_E10value_typeEPSG_NS1_7vsmem_tEENKUlT_SE_SF_SG_E_clIS8_S8_S9_S9_EESD_ST_SE_SF_SG_EUlST_E0_NS1_11comp_targetILNS1_3genE3ELNS1_11target_archE908ELNS1_3gpuE7ELNS1_3repE0EEENS1_38merge_mergepath_config_static_selectorELNS0_4arch9wavefront6targetE0EEEvSF_.num_named_barrier, 0
	.set _ZN7rocprim17ROCPRIM_400000_NS6detail17trampoline_kernelINS0_14default_configENS1_38merge_sort_block_merge_config_selectorIiNS0_10empty_typeEEEZZNS1_27merge_sort_block_merge_implIS3_PiPS5_jNS1_19radix_merge_compareILb1ELb0EiNS0_19identity_decomposerEEEEE10hipError_tT0_T1_T2_jT3_P12ihipStream_tbPNSt15iterator_traitsISE_E10value_typeEPNSK_ISF_E10value_typeEPSG_NS1_7vsmem_tEENKUlT_SE_SF_SG_E_clIS8_S8_S9_S9_EESD_ST_SE_SF_SG_EUlST_E0_NS1_11comp_targetILNS1_3genE3ELNS1_11target_archE908ELNS1_3gpuE7ELNS1_3repE0EEENS1_38merge_mergepath_config_static_selectorELNS0_4arch9wavefront6targetE0EEEvSF_.private_seg_size, 0
	.set _ZN7rocprim17ROCPRIM_400000_NS6detail17trampoline_kernelINS0_14default_configENS1_38merge_sort_block_merge_config_selectorIiNS0_10empty_typeEEEZZNS1_27merge_sort_block_merge_implIS3_PiPS5_jNS1_19radix_merge_compareILb1ELb0EiNS0_19identity_decomposerEEEEE10hipError_tT0_T1_T2_jT3_P12ihipStream_tbPNSt15iterator_traitsISE_E10value_typeEPNSK_ISF_E10value_typeEPSG_NS1_7vsmem_tEENKUlT_SE_SF_SG_E_clIS8_S8_S9_S9_EESD_ST_SE_SF_SG_EUlST_E0_NS1_11comp_targetILNS1_3genE3ELNS1_11target_archE908ELNS1_3gpuE7ELNS1_3repE0EEENS1_38merge_mergepath_config_static_selectorELNS0_4arch9wavefront6targetE0EEEvSF_.uses_vcc, 0
	.set _ZN7rocprim17ROCPRIM_400000_NS6detail17trampoline_kernelINS0_14default_configENS1_38merge_sort_block_merge_config_selectorIiNS0_10empty_typeEEEZZNS1_27merge_sort_block_merge_implIS3_PiPS5_jNS1_19radix_merge_compareILb1ELb0EiNS0_19identity_decomposerEEEEE10hipError_tT0_T1_T2_jT3_P12ihipStream_tbPNSt15iterator_traitsISE_E10value_typeEPNSK_ISF_E10value_typeEPSG_NS1_7vsmem_tEENKUlT_SE_SF_SG_E_clIS8_S8_S9_S9_EESD_ST_SE_SF_SG_EUlST_E0_NS1_11comp_targetILNS1_3genE3ELNS1_11target_archE908ELNS1_3gpuE7ELNS1_3repE0EEENS1_38merge_mergepath_config_static_selectorELNS0_4arch9wavefront6targetE0EEEvSF_.uses_flat_scratch, 0
	.set _ZN7rocprim17ROCPRIM_400000_NS6detail17trampoline_kernelINS0_14default_configENS1_38merge_sort_block_merge_config_selectorIiNS0_10empty_typeEEEZZNS1_27merge_sort_block_merge_implIS3_PiPS5_jNS1_19radix_merge_compareILb1ELb0EiNS0_19identity_decomposerEEEEE10hipError_tT0_T1_T2_jT3_P12ihipStream_tbPNSt15iterator_traitsISE_E10value_typeEPNSK_ISF_E10value_typeEPSG_NS1_7vsmem_tEENKUlT_SE_SF_SG_E_clIS8_S8_S9_S9_EESD_ST_SE_SF_SG_EUlST_E0_NS1_11comp_targetILNS1_3genE3ELNS1_11target_archE908ELNS1_3gpuE7ELNS1_3repE0EEENS1_38merge_mergepath_config_static_selectorELNS0_4arch9wavefront6targetE0EEEvSF_.has_dyn_sized_stack, 0
	.set _ZN7rocprim17ROCPRIM_400000_NS6detail17trampoline_kernelINS0_14default_configENS1_38merge_sort_block_merge_config_selectorIiNS0_10empty_typeEEEZZNS1_27merge_sort_block_merge_implIS3_PiPS5_jNS1_19radix_merge_compareILb1ELb0EiNS0_19identity_decomposerEEEEE10hipError_tT0_T1_T2_jT3_P12ihipStream_tbPNSt15iterator_traitsISE_E10value_typeEPNSK_ISF_E10value_typeEPSG_NS1_7vsmem_tEENKUlT_SE_SF_SG_E_clIS8_S8_S9_S9_EESD_ST_SE_SF_SG_EUlST_E0_NS1_11comp_targetILNS1_3genE3ELNS1_11target_archE908ELNS1_3gpuE7ELNS1_3repE0EEENS1_38merge_mergepath_config_static_selectorELNS0_4arch9wavefront6targetE0EEEvSF_.has_recursion, 0
	.set _ZN7rocprim17ROCPRIM_400000_NS6detail17trampoline_kernelINS0_14default_configENS1_38merge_sort_block_merge_config_selectorIiNS0_10empty_typeEEEZZNS1_27merge_sort_block_merge_implIS3_PiPS5_jNS1_19radix_merge_compareILb1ELb0EiNS0_19identity_decomposerEEEEE10hipError_tT0_T1_T2_jT3_P12ihipStream_tbPNSt15iterator_traitsISE_E10value_typeEPNSK_ISF_E10value_typeEPSG_NS1_7vsmem_tEENKUlT_SE_SF_SG_E_clIS8_S8_S9_S9_EESD_ST_SE_SF_SG_EUlST_E0_NS1_11comp_targetILNS1_3genE3ELNS1_11target_archE908ELNS1_3gpuE7ELNS1_3repE0EEENS1_38merge_mergepath_config_static_selectorELNS0_4arch9wavefront6targetE0EEEvSF_.has_indirect_call, 0
	.section	.AMDGPU.csdata,"",@progbits
; Kernel info:
; codeLenInByte = 0
; TotalNumSgprs: 0
; NumVgprs: 0
; ScratchSize: 0
; MemoryBound: 0
; FloatMode: 240
; IeeeMode: 1
; LDSByteSize: 0 bytes/workgroup (compile time only)
; SGPRBlocks: 0
; VGPRBlocks: 0
; NumSGPRsForWavesPerEU: 1
; NumVGPRsForWavesPerEU: 1
; NamedBarCnt: 0
; Occupancy: 16
; WaveLimiterHint : 0
; COMPUTE_PGM_RSRC2:SCRATCH_EN: 0
; COMPUTE_PGM_RSRC2:USER_SGPR: 2
; COMPUTE_PGM_RSRC2:TRAP_HANDLER: 0
; COMPUTE_PGM_RSRC2:TGID_X_EN: 1
; COMPUTE_PGM_RSRC2:TGID_Y_EN: 0
; COMPUTE_PGM_RSRC2:TGID_Z_EN: 0
; COMPUTE_PGM_RSRC2:TIDIG_COMP_CNT: 0
	.section	.text._ZN7rocprim17ROCPRIM_400000_NS6detail17trampoline_kernelINS0_14default_configENS1_38merge_sort_block_merge_config_selectorIiNS0_10empty_typeEEEZZNS1_27merge_sort_block_merge_implIS3_PiPS5_jNS1_19radix_merge_compareILb1ELb0EiNS0_19identity_decomposerEEEEE10hipError_tT0_T1_T2_jT3_P12ihipStream_tbPNSt15iterator_traitsISE_E10value_typeEPNSK_ISF_E10value_typeEPSG_NS1_7vsmem_tEENKUlT_SE_SF_SG_E_clIS8_S8_S9_S9_EESD_ST_SE_SF_SG_EUlST_E0_NS1_11comp_targetILNS1_3genE2ELNS1_11target_archE906ELNS1_3gpuE6ELNS1_3repE0EEENS1_38merge_mergepath_config_static_selectorELNS0_4arch9wavefront6targetE0EEEvSF_,"axG",@progbits,_ZN7rocprim17ROCPRIM_400000_NS6detail17trampoline_kernelINS0_14default_configENS1_38merge_sort_block_merge_config_selectorIiNS0_10empty_typeEEEZZNS1_27merge_sort_block_merge_implIS3_PiPS5_jNS1_19radix_merge_compareILb1ELb0EiNS0_19identity_decomposerEEEEE10hipError_tT0_T1_T2_jT3_P12ihipStream_tbPNSt15iterator_traitsISE_E10value_typeEPNSK_ISF_E10value_typeEPSG_NS1_7vsmem_tEENKUlT_SE_SF_SG_E_clIS8_S8_S9_S9_EESD_ST_SE_SF_SG_EUlST_E0_NS1_11comp_targetILNS1_3genE2ELNS1_11target_archE906ELNS1_3gpuE6ELNS1_3repE0EEENS1_38merge_mergepath_config_static_selectorELNS0_4arch9wavefront6targetE0EEEvSF_,comdat
	.protected	_ZN7rocprim17ROCPRIM_400000_NS6detail17trampoline_kernelINS0_14default_configENS1_38merge_sort_block_merge_config_selectorIiNS0_10empty_typeEEEZZNS1_27merge_sort_block_merge_implIS3_PiPS5_jNS1_19radix_merge_compareILb1ELb0EiNS0_19identity_decomposerEEEEE10hipError_tT0_T1_T2_jT3_P12ihipStream_tbPNSt15iterator_traitsISE_E10value_typeEPNSK_ISF_E10value_typeEPSG_NS1_7vsmem_tEENKUlT_SE_SF_SG_E_clIS8_S8_S9_S9_EESD_ST_SE_SF_SG_EUlST_E0_NS1_11comp_targetILNS1_3genE2ELNS1_11target_archE906ELNS1_3gpuE6ELNS1_3repE0EEENS1_38merge_mergepath_config_static_selectorELNS0_4arch9wavefront6targetE0EEEvSF_ ; -- Begin function _ZN7rocprim17ROCPRIM_400000_NS6detail17trampoline_kernelINS0_14default_configENS1_38merge_sort_block_merge_config_selectorIiNS0_10empty_typeEEEZZNS1_27merge_sort_block_merge_implIS3_PiPS5_jNS1_19radix_merge_compareILb1ELb0EiNS0_19identity_decomposerEEEEE10hipError_tT0_T1_T2_jT3_P12ihipStream_tbPNSt15iterator_traitsISE_E10value_typeEPNSK_ISF_E10value_typeEPSG_NS1_7vsmem_tEENKUlT_SE_SF_SG_E_clIS8_S8_S9_S9_EESD_ST_SE_SF_SG_EUlST_E0_NS1_11comp_targetILNS1_3genE2ELNS1_11target_archE906ELNS1_3gpuE6ELNS1_3repE0EEENS1_38merge_mergepath_config_static_selectorELNS0_4arch9wavefront6targetE0EEEvSF_
	.globl	_ZN7rocprim17ROCPRIM_400000_NS6detail17trampoline_kernelINS0_14default_configENS1_38merge_sort_block_merge_config_selectorIiNS0_10empty_typeEEEZZNS1_27merge_sort_block_merge_implIS3_PiPS5_jNS1_19radix_merge_compareILb1ELb0EiNS0_19identity_decomposerEEEEE10hipError_tT0_T1_T2_jT3_P12ihipStream_tbPNSt15iterator_traitsISE_E10value_typeEPNSK_ISF_E10value_typeEPSG_NS1_7vsmem_tEENKUlT_SE_SF_SG_E_clIS8_S8_S9_S9_EESD_ST_SE_SF_SG_EUlST_E0_NS1_11comp_targetILNS1_3genE2ELNS1_11target_archE906ELNS1_3gpuE6ELNS1_3repE0EEENS1_38merge_mergepath_config_static_selectorELNS0_4arch9wavefront6targetE0EEEvSF_
	.p2align	8
	.type	_ZN7rocprim17ROCPRIM_400000_NS6detail17trampoline_kernelINS0_14default_configENS1_38merge_sort_block_merge_config_selectorIiNS0_10empty_typeEEEZZNS1_27merge_sort_block_merge_implIS3_PiPS5_jNS1_19radix_merge_compareILb1ELb0EiNS0_19identity_decomposerEEEEE10hipError_tT0_T1_T2_jT3_P12ihipStream_tbPNSt15iterator_traitsISE_E10value_typeEPNSK_ISF_E10value_typeEPSG_NS1_7vsmem_tEENKUlT_SE_SF_SG_E_clIS8_S8_S9_S9_EESD_ST_SE_SF_SG_EUlST_E0_NS1_11comp_targetILNS1_3genE2ELNS1_11target_archE906ELNS1_3gpuE6ELNS1_3repE0EEENS1_38merge_mergepath_config_static_selectorELNS0_4arch9wavefront6targetE0EEEvSF_,@function
_ZN7rocprim17ROCPRIM_400000_NS6detail17trampoline_kernelINS0_14default_configENS1_38merge_sort_block_merge_config_selectorIiNS0_10empty_typeEEEZZNS1_27merge_sort_block_merge_implIS3_PiPS5_jNS1_19radix_merge_compareILb1ELb0EiNS0_19identity_decomposerEEEEE10hipError_tT0_T1_T2_jT3_P12ihipStream_tbPNSt15iterator_traitsISE_E10value_typeEPNSK_ISF_E10value_typeEPSG_NS1_7vsmem_tEENKUlT_SE_SF_SG_E_clIS8_S8_S9_S9_EESD_ST_SE_SF_SG_EUlST_E0_NS1_11comp_targetILNS1_3genE2ELNS1_11target_archE906ELNS1_3gpuE6ELNS1_3repE0EEENS1_38merge_mergepath_config_static_selectorELNS0_4arch9wavefront6targetE0EEEvSF_: ; @_ZN7rocprim17ROCPRIM_400000_NS6detail17trampoline_kernelINS0_14default_configENS1_38merge_sort_block_merge_config_selectorIiNS0_10empty_typeEEEZZNS1_27merge_sort_block_merge_implIS3_PiPS5_jNS1_19radix_merge_compareILb1ELb0EiNS0_19identity_decomposerEEEEE10hipError_tT0_T1_T2_jT3_P12ihipStream_tbPNSt15iterator_traitsISE_E10value_typeEPNSK_ISF_E10value_typeEPSG_NS1_7vsmem_tEENKUlT_SE_SF_SG_E_clIS8_S8_S9_S9_EESD_ST_SE_SF_SG_EUlST_E0_NS1_11comp_targetILNS1_3genE2ELNS1_11target_archE906ELNS1_3gpuE6ELNS1_3repE0EEENS1_38merge_mergepath_config_static_selectorELNS0_4arch9wavefront6targetE0EEEvSF_
; %bb.0:
	.section	.rodata,"a",@progbits
	.p2align	6, 0x0
	.amdhsa_kernel _ZN7rocprim17ROCPRIM_400000_NS6detail17trampoline_kernelINS0_14default_configENS1_38merge_sort_block_merge_config_selectorIiNS0_10empty_typeEEEZZNS1_27merge_sort_block_merge_implIS3_PiPS5_jNS1_19radix_merge_compareILb1ELb0EiNS0_19identity_decomposerEEEEE10hipError_tT0_T1_T2_jT3_P12ihipStream_tbPNSt15iterator_traitsISE_E10value_typeEPNSK_ISF_E10value_typeEPSG_NS1_7vsmem_tEENKUlT_SE_SF_SG_E_clIS8_S8_S9_S9_EESD_ST_SE_SF_SG_EUlST_E0_NS1_11comp_targetILNS1_3genE2ELNS1_11target_archE906ELNS1_3gpuE6ELNS1_3repE0EEENS1_38merge_mergepath_config_static_selectorELNS0_4arch9wavefront6targetE0EEEvSF_
		.amdhsa_group_segment_fixed_size 0
		.amdhsa_private_segment_fixed_size 0
		.amdhsa_kernarg_size 64
		.amdhsa_user_sgpr_count 2
		.amdhsa_user_sgpr_dispatch_ptr 0
		.amdhsa_user_sgpr_queue_ptr 0
		.amdhsa_user_sgpr_kernarg_segment_ptr 1
		.amdhsa_user_sgpr_dispatch_id 0
		.amdhsa_user_sgpr_kernarg_preload_length 0
		.amdhsa_user_sgpr_kernarg_preload_offset 0
		.amdhsa_user_sgpr_private_segment_size 0
		.amdhsa_wavefront_size32 1
		.amdhsa_uses_dynamic_stack 0
		.amdhsa_enable_private_segment 0
		.amdhsa_system_sgpr_workgroup_id_x 1
		.amdhsa_system_sgpr_workgroup_id_y 0
		.amdhsa_system_sgpr_workgroup_id_z 0
		.amdhsa_system_sgpr_workgroup_info 0
		.amdhsa_system_vgpr_workitem_id 0
		.amdhsa_next_free_vgpr 1
		.amdhsa_next_free_sgpr 1
		.amdhsa_named_barrier_count 0
		.amdhsa_reserve_vcc 0
		.amdhsa_float_round_mode_32 0
		.amdhsa_float_round_mode_16_64 0
		.amdhsa_float_denorm_mode_32 3
		.amdhsa_float_denorm_mode_16_64 3
		.amdhsa_fp16_overflow 0
		.amdhsa_memory_ordered 1
		.amdhsa_forward_progress 1
		.amdhsa_inst_pref_size 0
		.amdhsa_round_robin_scheduling 0
		.amdhsa_exception_fp_ieee_invalid_op 0
		.amdhsa_exception_fp_denorm_src 0
		.amdhsa_exception_fp_ieee_div_zero 0
		.amdhsa_exception_fp_ieee_overflow 0
		.amdhsa_exception_fp_ieee_underflow 0
		.amdhsa_exception_fp_ieee_inexact 0
		.amdhsa_exception_int_div_zero 0
	.end_amdhsa_kernel
	.section	.text._ZN7rocprim17ROCPRIM_400000_NS6detail17trampoline_kernelINS0_14default_configENS1_38merge_sort_block_merge_config_selectorIiNS0_10empty_typeEEEZZNS1_27merge_sort_block_merge_implIS3_PiPS5_jNS1_19radix_merge_compareILb1ELb0EiNS0_19identity_decomposerEEEEE10hipError_tT0_T1_T2_jT3_P12ihipStream_tbPNSt15iterator_traitsISE_E10value_typeEPNSK_ISF_E10value_typeEPSG_NS1_7vsmem_tEENKUlT_SE_SF_SG_E_clIS8_S8_S9_S9_EESD_ST_SE_SF_SG_EUlST_E0_NS1_11comp_targetILNS1_3genE2ELNS1_11target_archE906ELNS1_3gpuE6ELNS1_3repE0EEENS1_38merge_mergepath_config_static_selectorELNS0_4arch9wavefront6targetE0EEEvSF_,"axG",@progbits,_ZN7rocprim17ROCPRIM_400000_NS6detail17trampoline_kernelINS0_14default_configENS1_38merge_sort_block_merge_config_selectorIiNS0_10empty_typeEEEZZNS1_27merge_sort_block_merge_implIS3_PiPS5_jNS1_19radix_merge_compareILb1ELb0EiNS0_19identity_decomposerEEEEE10hipError_tT0_T1_T2_jT3_P12ihipStream_tbPNSt15iterator_traitsISE_E10value_typeEPNSK_ISF_E10value_typeEPSG_NS1_7vsmem_tEENKUlT_SE_SF_SG_E_clIS8_S8_S9_S9_EESD_ST_SE_SF_SG_EUlST_E0_NS1_11comp_targetILNS1_3genE2ELNS1_11target_archE906ELNS1_3gpuE6ELNS1_3repE0EEENS1_38merge_mergepath_config_static_selectorELNS0_4arch9wavefront6targetE0EEEvSF_,comdat
.Lfunc_end780:
	.size	_ZN7rocprim17ROCPRIM_400000_NS6detail17trampoline_kernelINS0_14default_configENS1_38merge_sort_block_merge_config_selectorIiNS0_10empty_typeEEEZZNS1_27merge_sort_block_merge_implIS3_PiPS5_jNS1_19radix_merge_compareILb1ELb0EiNS0_19identity_decomposerEEEEE10hipError_tT0_T1_T2_jT3_P12ihipStream_tbPNSt15iterator_traitsISE_E10value_typeEPNSK_ISF_E10value_typeEPSG_NS1_7vsmem_tEENKUlT_SE_SF_SG_E_clIS8_S8_S9_S9_EESD_ST_SE_SF_SG_EUlST_E0_NS1_11comp_targetILNS1_3genE2ELNS1_11target_archE906ELNS1_3gpuE6ELNS1_3repE0EEENS1_38merge_mergepath_config_static_selectorELNS0_4arch9wavefront6targetE0EEEvSF_, .Lfunc_end780-_ZN7rocprim17ROCPRIM_400000_NS6detail17trampoline_kernelINS0_14default_configENS1_38merge_sort_block_merge_config_selectorIiNS0_10empty_typeEEEZZNS1_27merge_sort_block_merge_implIS3_PiPS5_jNS1_19radix_merge_compareILb1ELb0EiNS0_19identity_decomposerEEEEE10hipError_tT0_T1_T2_jT3_P12ihipStream_tbPNSt15iterator_traitsISE_E10value_typeEPNSK_ISF_E10value_typeEPSG_NS1_7vsmem_tEENKUlT_SE_SF_SG_E_clIS8_S8_S9_S9_EESD_ST_SE_SF_SG_EUlST_E0_NS1_11comp_targetILNS1_3genE2ELNS1_11target_archE906ELNS1_3gpuE6ELNS1_3repE0EEENS1_38merge_mergepath_config_static_selectorELNS0_4arch9wavefront6targetE0EEEvSF_
                                        ; -- End function
	.set _ZN7rocprim17ROCPRIM_400000_NS6detail17trampoline_kernelINS0_14default_configENS1_38merge_sort_block_merge_config_selectorIiNS0_10empty_typeEEEZZNS1_27merge_sort_block_merge_implIS3_PiPS5_jNS1_19radix_merge_compareILb1ELb0EiNS0_19identity_decomposerEEEEE10hipError_tT0_T1_T2_jT3_P12ihipStream_tbPNSt15iterator_traitsISE_E10value_typeEPNSK_ISF_E10value_typeEPSG_NS1_7vsmem_tEENKUlT_SE_SF_SG_E_clIS8_S8_S9_S9_EESD_ST_SE_SF_SG_EUlST_E0_NS1_11comp_targetILNS1_3genE2ELNS1_11target_archE906ELNS1_3gpuE6ELNS1_3repE0EEENS1_38merge_mergepath_config_static_selectorELNS0_4arch9wavefront6targetE0EEEvSF_.num_vgpr, 0
	.set _ZN7rocprim17ROCPRIM_400000_NS6detail17trampoline_kernelINS0_14default_configENS1_38merge_sort_block_merge_config_selectorIiNS0_10empty_typeEEEZZNS1_27merge_sort_block_merge_implIS3_PiPS5_jNS1_19radix_merge_compareILb1ELb0EiNS0_19identity_decomposerEEEEE10hipError_tT0_T1_T2_jT3_P12ihipStream_tbPNSt15iterator_traitsISE_E10value_typeEPNSK_ISF_E10value_typeEPSG_NS1_7vsmem_tEENKUlT_SE_SF_SG_E_clIS8_S8_S9_S9_EESD_ST_SE_SF_SG_EUlST_E0_NS1_11comp_targetILNS1_3genE2ELNS1_11target_archE906ELNS1_3gpuE6ELNS1_3repE0EEENS1_38merge_mergepath_config_static_selectorELNS0_4arch9wavefront6targetE0EEEvSF_.num_agpr, 0
	.set _ZN7rocprim17ROCPRIM_400000_NS6detail17trampoline_kernelINS0_14default_configENS1_38merge_sort_block_merge_config_selectorIiNS0_10empty_typeEEEZZNS1_27merge_sort_block_merge_implIS3_PiPS5_jNS1_19radix_merge_compareILb1ELb0EiNS0_19identity_decomposerEEEEE10hipError_tT0_T1_T2_jT3_P12ihipStream_tbPNSt15iterator_traitsISE_E10value_typeEPNSK_ISF_E10value_typeEPSG_NS1_7vsmem_tEENKUlT_SE_SF_SG_E_clIS8_S8_S9_S9_EESD_ST_SE_SF_SG_EUlST_E0_NS1_11comp_targetILNS1_3genE2ELNS1_11target_archE906ELNS1_3gpuE6ELNS1_3repE0EEENS1_38merge_mergepath_config_static_selectorELNS0_4arch9wavefront6targetE0EEEvSF_.numbered_sgpr, 0
	.set _ZN7rocprim17ROCPRIM_400000_NS6detail17trampoline_kernelINS0_14default_configENS1_38merge_sort_block_merge_config_selectorIiNS0_10empty_typeEEEZZNS1_27merge_sort_block_merge_implIS3_PiPS5_jNS1_19radix_merge_compareILb1ELb0EiNS0_19identity_decomposerEEEEE10hipError_tT0_T1_T2_jT3_P12ihipStream_tbPNSt15iterator_traitsISE_E10value_typeEPNSK_ISF_E10value_typeEPSG_NS1_7vsmem_tEENKUlT_SE_SF_SG_E_clIS8_S8_S9_S9_EESD_ST_SE_SF_SG_EUlST_E0_NS1_11comp_targetILNS1_3genE2ELNS1_11target_archE906ELNS1_3gpuE6ELNS1_3repE0EEENS1_38merge_mergepath_config_static_selectorELNS0_4arch9wavefront6targetE0EEEvSF_.num_named_barrier, 0
	.set _ZN7rocprim17ROCPRIM_400000_NS6detail17trampoline_kernelINS0_14default_configENS1_38merge_sort_block_merge_config_selectorIiNS0_10empty_typeEEEZZNS1_27merge_sort_block_merge_implIS3_PiPS5_jNS1_19radix_merge_compareILb1ELb0EiNS0_19identity_decomposerEEEEE10hipError_tT0_T1_T2_jT3_P12ihipStream_tbPNSt15iterator_traitsISE_E10value_typeEPNSK_ISF_E10value_typeEPSG_NS1_7vsmem_tEENKUlT_SE_SF_SG_E_clIS8_S8_S9_S9_EESD_ST_SE_SF_SG_EUlST_E0_NS1_11comp_targetILNS1_3genE2ELNS1_11target_archE906ELNS1_3gpuE6ELNS1_3repE0EEENS1_38merge_mergepath_config_static_selectorELNS0_4arch9wavefront6targetE0EEEvSF_.private_seg_size, 0
	.set _ZN7rocprim17ROCPRIM_400000_NS6detail17trampoline_kernelINS0_14default_configENS1_38merge_sort_block_merge_config_selectorIiNS0_10empty_typeEEEZZNS1_27merge_sort_block_merge_implIS3_PiPS5_jNS1_19radix_merge_compareILb1ELb0EiNS0_19identity_decomposerEEEEE10hipError_tT0_T1_T2_jT3_P12ihipStream_tbPNSt15iterator_traitsISE_E10value_typeEPNSK_ISF_E10value_typeEPSG_NS1_7vsmem_tEENKUlT_SE_SF_SG_E_clIS8_S8_S9_S9_EESD_ST_SE_SF_SG_EUlST_E0_NS1_11comp_targetILNS1_3genE2ELNS1_11target_archE906ELNS1_3gpuE6ELNS1_3repE0EEENS1_38merge_mergepath_config_static_selectorELNS0_4arch9wavefront6targetE0EEEvSF_.uses_vcc, 0
	.set _ZN7rocprim17ROCPRIM_400000_NS6detail17trampoline_kernelINS0_14default_configENS1_38merge_sort_block_merge_config_selectorIiNS0_10empty_typeEEEZZNS1_27merge_sort_block_merge_implIS3_PiPS5_jNS1_19radix_merge_compareILb1ELb0EiNS0_19identity_decomposerEEEEE10hipError_tT0_T1_T2_jT3_P12ihipStream_tbPNSt15iterator_traitsISE_E10value_typeEPNSK_ISF_E10value_typeEPSG_NS1_7vsmem_tEENKUlT_SE_SF_SG_E_clIS8_S8_S9_S9_EESD_ST_SE_SF_SG_EUlST_E0_NS1_11comp_targetILNS1_3genE2ELNS1_11target_archE906ELNS1_3gpuE6ELNS1_3repE0EEENS1_38merge_mergepath_config_static_selectorELNS0_4arch9wavefront6targetE0EEEvSF_.uses_flat_scratch, 0
	.set _ZN7rocprim17ROCPRIM_400000_NS6detail17trampoline_kernelINS0_14default_configENS1_38merge_sort_block_merge_config_selectorIiNS0_10empty_typeEEEZZNS1_27merge_sort_block_merge_implIS3_PiPS5_jNS1_19radix_merge_compareILb1ELb0EiNS0_19identity_decomposerEEEEE10hipError_tT0_T1_T2_jT3_P12ihipStream_tbPNSt15iterator_traitsISE_E10value_typeEPNSK_ISF_E10value_typeEPSG_NS1_7vsmem_tEENKUlT_SE_SF_SG_E_clIS8_S8_S9_S9_EESD_ST_SE_SF_SG_EUlST_E0_NS1_11comp_targetILNS1_3genE2ELNS1_11target_archE906ELNS1_3gpuE6ELNS1_3repE0EEENS1_38merge_mergepath_config_static_selectorELNS0_4arch9wavefront6targetE0EEEvSF_.has_dyn_sized_stack, 0
	.set _ZN7rocprim17ROCPRIM_400000_NS6detail17trampoline_kernelINS0_14default_configENS1_38merge_sort_block_merge_config_selectorIiNS0_10empty_typeEEEZZNS1_27merge_sort_block_merge_implIS3_PiPS5_jNS1_19radix_merge_compareILb1ELb0EiNS0_19identity_decomposerEEEEE10hipError_tT0_T1_T2_jT3_P12ihipStream_tbPNSt15iterator_traitsISE_E10value_typeEPNSK_ISF_E10value_typeEPSG_NS1_7vsmem_tEENKUlT_SE_SF_SG_E_clIS8_S8_S9_S9_EESD_ST_SE_SF_SG_EUlST_E0_NS1_11comp_targetILNS1_3genE2ELNS1_11target_archE906ELNS1_3gpuE6ELNS1_3repE0EEENS1_38merge_mergepath_config_static_selectorELNS0_4arch9wavefront6targetE0EEEvSF_.has_recursion, 0
	.set _ZN7rocprim17ROCPRIM_400000_NS6detail17trampoline_kernelINS0_14default_configENS1_38merge_sort_block_merge_config_selectorIiNS0_10empty_typeEEEZZNS1_27merge_sort_block_merge_implIS3_PiPS5_jNS1_19radix_merge_compareILb1ELb0EiNS0_19identity_decomposerEEEEE10hipError_tT0_T1_T2_jT3_P12ihipStream_tbPNSt15iterator_traitsISE_E10value_typeEPNSK_ISF_E10value_typeEPSG_NS1_7vsmem_tEENKUlT_SE_SF_SG_E_clIS8_S8_S9_S9_EESD_ST_SE_SF_SG_EUlST_E0_NS1_11comp_targetILNS1_3genE2ELNS1_11target_archE906ELNS1_3gpuE6ELNS1_3repE0EEENS1_38merge_mergepath_config_static_selectorELNS0_4arch9wavefront6targetE0EEEvSF_.has_indirect_call, 0
	.section	.AMDGPU.csdata,"",@progbits
; Kernel info:
; codeLenInByte = 0
; TotalNumSgprs: 0
; NumVgprs: 0
; ScratchSize: 0
; MemoryBound: 0
; FloatMode: 240
; IeeeMode: 1
; LDSByteSize: 0 bytes/workgroup (compile time only)
; SGPRBlocks: 0
; VGPRBlocks: 0
; NumSGPRsForWavesPerEU: 1
; NumVGPRsForWavesPerEU: 1
; NamedBarCnt: 0
; Occupancy: 16
; WaveLimiterHint : 0
; COMPUTE_PGM_RSRC2:SCRATCH_EN: 0
; COMPUTE_PGM_RSRC2:USER_SGPR: 2
; COMPUTE_PGM_RSRC2:TRAP_HANDLER: 0
; COMPUTE_PGM_RSRC2:TGID_X_EN: 1
; COMPUTE_PGM_RSRC2:TGID_Y_EN: 0
; COMPUTE_PGM_RSRC2:TGID_Z_EN: 0
; COMPUTE_PGM_RSRC2:TIDIG_COMP_CNT: 0
	.section	.text._ZN7rocprim17ROCPRIM_400000_NS6detail17trampoline_kernelINS0_14default_configENS1_38merge_sort_block_merge_config_selectorIiNS0_10empty_typeEEEZZNS1_27merge_sort_block_merge_implIS3_PiPS5_jNS1_19radix_merge_compareILb1ELb0EiNS0_19identity_decomposerEEEEE10hipError_tT0_T1_T2_jT3_P12ihipStream_tbPNSt15iterator_traitsISE_E10value_typeEPNSK_ISF_E10value_typeEPSG_NS1_7vsmem_tEENKUlT_SE_SF_SG_E_clIS8_S8_S9_S9_EESD_ST_SE_SF_SG_EUlST_E0_NS1_11comp_targetILNS1_3genE9ELNS1_11target_archE1100ELNS1_3gpuE3ELNS1_3repE0EEENS1_38merge_mergepath_config_static_selectorELNS0_4arch9wavefront6targetE0EEEvSF_,"axG",@progbits,_ZN7rocprim17ROCPRIM_400000_NS6detail17trampoline_kernelINS0_14default_configENS1_38merge_sort_block_merge_config_selectorIiNS0_10empty_typeEEEZZNS1_27merge_sort_block_merge_implIS3_PiPS5_jNS1_19radix_merge_compareILb1ELb0EiNS0_19identity_decomposerEEEEE10hipError_tT0_T1_T2_jT3_P12ihipStream_tbPNSt15iterator_traitsISE_E10value_typeEPNSK_ISF_E10value_typeEPSG_NS1_7vsmem_tEENKUlT_SE_SF_SG_E_clIS8_S8_S9_S9_EESD_ST_SE_SF_SG_EUlST_E0_NS1_11comp_targetILNS1_3genE9ELNS1_11target_archE1100ELNS1_3gpuE3ELNS1_3repE0EEENS1_38merge_mergepath_config_static_selectorELNS0_4arch9wavefront6targetE0EEEvSF_,comdat
	.protected	_ZN7rocprim17ROCPRIM_400000_NS6detail17trampoline_kernelINS0_14default_configENS1_38merge_sort_block_merge_config_selectorIiNS0_10empty_typeEEEZZNS1_27merge_sort_block_merge_implIS3_PiPS5_jNS1_19radix_merge_compareILb1ELb0EiNS0_19identity_decomposerEEEEE10hipError_tT0_T1_T2_jT3_P12ihipStream_tbPNSt15iterator_traitsISE_E10value_typeEPNSK_ISF_E10value_typeEPSG_NS1_7vsmem_tEENKUlT_SE_SF_SG_E_clIS8_S8_S9_S9_EESD_ST_SE_SF_SG_EUlST_E0_NS1_11comp_targetILNS1_3genE9ELNS1_11target_archE1100ELNS1_3gpuE3ELNS1_3repE0EEENS1_38merge_mergepath_config_static_selectorELNS0_4arch9wavefront6targetE0EEEvSF_ ; -- Begin function _ZN7rocprim17ROCPRIM_400000_NS6detail17trampoline_kernelINS0_14default_configENS1_38merge_sort_block_merge_config_selectorIiNS0_10empty_typeEEEZZNS1_27merge_sort_block_merge_implIS3_PiPS5_jNS1_19radix_merge_compareILb1ELb0EiNS0_19identity_decomposerEEEEE10hipError_tT0_T1_T2_jT3_P12ihipStream_tbPNSt15iterator_traitsISE_E10value_typeEPNSK_ISF_E10value_typeEPSG_NS1_7vsmem_tEENKUlT_SE_SF_SG_E_clIS8_S8_S9_S9_EESD_ST_SE_SF_SG_EUlST_E0_NS1_11comp_targetILNS1_3genE9ELNS1_11target_archE1100ELNS1_3gpuE3ELNS1_3repE0EEENS1_38merge_mergepath_config_static_selectorELNS0_4arch9wavefront6targetE0EEEvSF_
	.globl	_ZN7rocprim17ROCPRIM_400000_NS6detail17trampoline_kernelINS0_14default_configENS1_38merge_sort_block_merge_config_selectorIiNS0_10empty_typeEEEZZNS1_27merge_sort_block_merge_implIS3_PiPS5_jNS1_19radix_merge_compareILb1ELb0EiNS0_19identity_decomposerEEEEE10hipError_tT0_T1_T2_jT3_P12ihipStream_tbPNSt15iterator_traitsISE_E10value_typeEPNSK_ISF_E10value_typeEPSG_NS1_7vsmem_tEENKUlT_SE_SF_SG_E_clIS8_S8_S9_S9_EESD_ST_SE_SF_SG_EUlST_E0_NS1_11comp_targetILNS1_3genE9ELNS1_11target_archE1100ELNS1_3gpuE3ELNS1_3repE0EEENS1_38merge_mergepath_config_static_selectorELNS0_4arch9wavefront6targetE0EEEvSF_
	.p2align	8
	.type	_ZN7rocprim17ROCPRIM_400000_NS6detail17trampoline_kernelINS0_14default_configENS1_38merge_sort_block_merge_config_selectorIiNS0_10empty_typeEEEZZNS1_27merge_sort_block_merge_implIS3_PiPS5_jNS1_19radix_merge_compareILb1ELb0EiNS0_19identity_decomposerEEEEE10hipError_tT0_T1_T2_jT3_P12ihipStream_tbPNSt15iterator_traitsISE_E10value_typeEPNSK_ISF_E10value_typeEPSG_NS1_7vsmem_tEENKUlT_SE_SF_SG_E_clIS8_S8_S9_S9_EESD_ST_SE_SF_SG_EUlST_E0_NS1_11comp_targetILNS1_3genE9ELNS1_11target_archE1100ELNS1_3gpuE3ELNS1_3repE0EEENS1_38merge_mergepath_config_static_selectorELNS0_4arch9wavefront6targetE0EEEvSF_,@function
_ZN7rocprim17ROCPRIM_400000_NS6detail17trampoline_kernelINS0_14default_configENS1_38merge_sort_block_merge_config_selectorIiNS0_10empty_typeEEEZZNS1_27merge_sort_block_merge_implIS3_PiPS5_jNS1_19radix_merge_compareILb1ELb0EiNS0_19identity_decomposerEEEEE10hipError_tT0_T1_T2_jT3_P12ihipStream_tbPNSt15iterator_traitsISE_E10value_typeEPNSK_ISF_E10value_typeEPSG_NS1_7vsmem_tEENKUlT_SE_SF_SG_E_clIS8_S8_S9_S9_EESD_ST_SE_SF_SG_EUlST_E0_NS1_11comp_targetILNS1_3genE9ELNS1_11target_archE1100ELNS1_3gpuE3ELNS1_3repE0EEENS1_38merge_mergepath_config_static_selectorELNS0_4arch9wavefront6targetE0EEEvSF_: ; @_ZN7rocprim17ROCPRIM_400000_NS6detail17trampoline_kernelINS0_14default_configENS1_38merge_sort_block_merge_config_selectorIiNS0_10empty_typeEEEZZNS1_27merge_sort_block_merge_implIS3_PiPS5_jNS1_19radix_merge_compareILb1ELb0EiNS0_19identity_decomposerEEEEE10hipError_tT0_T1_T2_jT3_P12ihipStream_tbPNSt15iterator_traitsISE_E10value_typeEPNSK_ISF_E10value_typeEPSG_NS1_7vsmem_tEENKUlT_SE_SF_SG_E_clIS8_S8_S9_S9_EESD_ST_SE_SF_SG_EUlST_E0_NS1_11comp_targetILNS1_3genE9ELNS1_11target_archE1100ELNS1_3gpuE3ELNS1_3repE0EEENS1_38merge_mergepath_config_static_selectorELNS0_4arch9wavefront6targetE0EEEvSF_
; %bb.0:
	.section	.rodata,"a",@progbits
	.p2align	6, 0x0
	.amdhsa_kernel _ZN7rocprim17ROCPRIM_400000_NS6detail17trampoline_kernelINS0_14default_configENS1_38merge_sort_block_merge_config_selectorIiNS0_10empty_typeEEEZZNS1_27merge_sort_block_merge_implIS3_PiPS5_jNS1_19radix_merge_compareILb1ELb0EiNS0_19identity_decomposerEEEEE10hipError_tT0_T1_T2_jT3_P12ihipStream_tbPNSt15iterator_traitsISE_E10value_typeEPNSK_ISF_E10value_typeEPSG_NS1_7vsmem_tEENKUlT_SE_SF_SG_E_clIS8_S8_S9_S9_EESD_ST_SE_SF_SG_EUlST_E0_NS1_11comp_targetILNS1_3genE9ELNS1_11target_archE1100ELNS1_3gpuE3ELNS1_3repE0EEENS1_38merge_mergepath_config_static_selectorELNS0_4arch9wavefront6targetE0EEEvSF_
		.amdhsa_group_segment_fixed_size 0
		.amdhsa_private_segment_fixed_size 0
		.amdhsa_kernarg_size 64
		.amdhsa_user_sgpr_count 2
		.amdhsa_user_sgpr_dispatch_ptr 0
		.amdhsa_user_sgpr_queue_ptr 0
		.amdhsa_user_sgpr_kernarg_segment_ptr 1
		.amdhsa_user_sgpr_dispatch_id 0
		.amdhsa_user_sgpr_kernarg_preload_length 0
		.amdhsa_user_sgpr_kernarg_preload_offset 0
		.amdhsa_user_sgpr_private_segment_size 0
		.amdhsa_wavefront_size32 1
		.amdhsa_uses_dynamic_stack 0
		.amdhsa_enable_private_segment 0
		.amdhsa_system_sgpr_workgroup_id_x 1
		.amdhsa_system_sgpr_workgroup_id_y 0
		.amdhsa_system_sgpr_workgroup_id_z 0
		.amdhsa_system_sgpr_workgroup_info 0
		.amdhsa_system_vgpr_workitem_id 0
		.amdhsa_next_free_vgpr 1
		.amdhsa_next_free_sgpr 1
		.amdhsa_named_barrier_count 0
		.amdhsa_reserve_vcc 0
		.amdhsa_float_round_mode_32 0
		.amdhsa_float_round_mode_16_64 0
		.amdhsa_float_denorm_mode_32 3
		.amdhsa_float_denorm_mode_16_64 3
		.amdhsa_fp16_overflow 0
		.amdhsa_memory_ordered 1
		.amdhsa_forward_progress 1
		.amdhsa_inst_pref_size 0
		.amdhsa_round_robin_scheduling 0
		.amdhsa_exception_fp_ieee_invalid_op 0
		.amdhsa_exception_fp_denorm_src 0
		.amdhsa_exception_fp_ieee_div_zero 0
		.amdhsa_exception_fp_ieee_overflow 0
		.amdhsa_exception_fp_ieee_underflow 0
		.amdhsa_exception_fp_ieee_inexact 0
		.amdhsa_exception_int_div_zero 0
	.end_amdhsa_kernel
	.section	.text._ZN7rocprim17ROCPRIM_400000_NS6detail17trampoline_kernelINS0_14default_configENS1_38merge_sort_block_merge_config_selectorIiNS0_10empty_typeEEEZZNS1_27merge_sort_block_merge_implIS3_PiPS5_jNS1_19radix_merge_compareILb1ELb0EiNS0_19identity_decomposerEEEEE10hipError_tT0_T1_T2_jT3_P12ihipStream_tbPNSt15iterator_traitsISE_E10value_typeEPNSK_ISF_E10value_typeEPSG_NS1_7vsmem_tEENKUlT_SE_SF_SG_E_clIS8_S8_S9_S9_EESD_ST_SE_SF_SG_EUlST_E0_NS1_11comp_targetILNS1_3genE9ELNS1_11target_archE1100ELNS1_3gpuE3ELNS1_3repE0EEENS1_38merge_mergepath_config_static_selectorELNS0_4arch9wavefront6targetE0EEEvSF_,"axG",@progbits,_ZN7rocprim17ROCPRIM_400000_NS6detail17trampoline_kernelINS0_14default_configENS1_38merge_sort_block_merge_config_selectorIiNS0_10empty_typeEEEZZNS1_27merge_sort_block_merge_implIS3_PiPS5_jNS1_19radix_merge_compareILb1ELb0EiNS0_19identity_decomposerEEEEE10hipError_tT0_T1_T2_jT3_P12ihipStream_tbPNSt15iterator_traitsISE_E10value_typeEPNSK_ISF_E10value_typeEPSG_NS1_7vsmem_tEENKUlT_SE_SF_SG_E_clIS8_S8_S9_S9_EESD_ST_SE_SF_SG_EUlST_E0_NS1_11comp_targetILNS1_3genE9ELNS1_11target_archE1100ELNS1_3gpuE3ELNS1_3repE0EEENS1_38merge_mergepath_config_static_selectorELNS0_4arch9wavefront6targetE0EEEvSF_,comdat
.Lfunc_end781:
	.size	_ZN7rocprim17ROCPRIM_400000_NS6detail17trampoline_kernelINS0_14default_configENS1_38merge_sort_block_merge_config_selectorIiNS0_10empty_typeEEEZZNS1_27merge_sort_block_merge_implIS3_PiPS5_jNS1_19radix_merge_compareILb1ELb0EiNS0_19identity_decomposerEEEEE10hipError_tT0_T1_T2_jT3_P12ihipStream_tbPNSt15iterator_traitsISE_E10value_typeEPNSK_ISF_E10value_typeEPSG_NS1_7vsmem_tEENKUlT_SE_SF_SG_E_clIS8_S8_S9_S9_EESD_ST_SE_SF_SG_EUlST_E0_NS1_11comp_targetILNS1_3genE9ELNS1_11target_archE1100ELNS1_3gpuE3ELNS1_3repE0EEENS1_38merge_mergepath_config_static_selectorELNS0_4arch9wavefront6targetE0EEEvSF_, .Lfunc_end781-_ZN7rocprim17ROCPRIM_400000_NS6detail17trampoline_kernelINS0_14default_configENS1_38merge_sort_block_merge_config_selectorIiNS0_10empty_typeEEEZZNS1_27merge_sort_block_merge_implIS3_PiPS5_jNS1_19radix_merge_compareILb1ELb0EiNS0_19identity_decomposerEEEEE10hipError_tT0_T1_T2_jT3_P12ihipStream_tbPNSt15iterator_traitsISE_E10value_typeEPNSK_ISF_E10value_typeEPSG_NS1_7vsmem_tEENKUlT_SE_SF_SG_E_clIS8_S8_S9_S9_EESD_ST_SE_SF_SG_EUlST_E0_NS1_11comp_targetILNS1_3genE9ELNS1_11target_archE1100ELNS1_3gpuE3ELNS1_3repE0EEENS1_38merge_mergepath_config_static_selectorELNS0_4arch9wavefront6targetE0EEEvSF_
                                        ; -- End function
	.set _ZN7rocprim17ROCPRIM_400000_NS6detail17trampoline_kernelINS0_14default_configENS1_38merge_sort_block_merge_config_selectorIiNS0_10empty_typeEEEZZNS1_27merge_sort_block_merge_implIS3_PiPS5_jNS1_19radix_merge_compareILb1ELb0EiNS0_19identity_decomposerEEEEE10hipError_tT0_T1_T2_jT3_P12ihipStream_tbPNSt15iterator_traitsISE_E10value_typeEPNSK_ISF_E10value_typeEPSG_NS1_7vsmem_tEENKUlT_SE_SF_SG_E_clIS8_S8_S9_S9_EESD_ST_SE_SF_SG_EUlST_E0_NS1_11comp_targetILNS1_3genE9ELNS1_11target_archE1100ELNS1_3gpuE3ELNS1_3repE0EEENS1_38merge_mergepath_config_static_selectorELNS0_4arch9wavefront6targetE0EEEvSF_.num_vgpr, 0
	.set _ZN7rocprim17ROCPRIM_400000_NS6detail17trampoline_kernelINS0_14default_configENS1_38merge_sort_block_merge_config_selectorIiNS0_10empty_typeEEEZZNS1_27merge_sort_block_merge_implIS3_PiPS5_jNS1_19radix_merge_compareILb1ELb0EiNS0_19identity_decomposerEEEEE10hipError_tT0_T1_T2_jT3_P12ihipStream_tbPNSt15iterator_traitsISE_E10value_typeEPNSK_ISF_E10value_typeEPSG_NS1_7vsmem_tEENKUlT_SE_SF_SG_E_clIS8_S8_S9_S9_EESD_ST_SE_SF_SG_EUlST_E0_NS1_11comp_targetILNS1_3genE9ELNS1_11target_archE1100ELNS1_3gpuE3ELNS1_3repE0EEENS1_38merge_mergepath_config_static_selectorELNS0_4arch9wavefront6targetE0EEEvSF_.num_agpr, 0
	.set _ZN7rocprim17ROCPRIM_400000_NS6detail17trampoline_kernelINS0_14default_configENS1_38merge_sort_block_merge_config_selectorIiNS0_10empty_typeEEEZZNS1_27merge_sort_block_merge_implIS3_PiPS5_jNS1_19radix_merge_compareILb1ELb0EiNS0_19identity_decomposerEEEEE10hipError_tT0_T1_T2_jT3_P12ihipStream_tbPNSt15iterator_traitsISE_E10value_typeEPNSK_ISF_E10value_typeEPSG_NS1_7vsmem_tEENKUlT_SE_SF_SG_E_clIS8_S8_S9_S9_EESD_ST_SE_SF_SG_EUlST_E0_NS1_11comp_targetILNS1_3genE9ELNS1_11target_archE1100ELNS1_3gpuE3ELNS1_3repE0EEENS1_38merge_mergepath_config_static_selectorELNS0_4arch9wavefront6targetE0EEEvSF_.numbered_sgpr, 0
	.set _ZN7rocprim17ROCPRIM_400000_NS6detail17trampoline_kernelINS0_14default_configENS1_38merge_sort_block_merge_config_selectorIiNS0_10empty_typeEEEZZNS1_27merge_sort_block_merge_implIS3_PiPS5_jNS1_19radix_merge_compareILb1ELb0EiNS0_19identity_decomposerEEEEE10hipError_tT0_T1_T2_jT3_P12ihipStream_tbPNSt15iterator_traitsISE_E10value_typeEPNSK_ISF_E10value_typeEPSG_NS1_7vsmem_tEENKUlT_SE_SF_SG_E_clIS8_S8_S9_S9_EESD_ST_SE_SF_SG_EUlST_E0_NS1_11comp_targetILNS1_3genE9ELNS1_11target_archE1100ELNS1_3gpuE3ELNS1_3repE0EEENS1_38merge_mergepath_config_static_selectorELNS0_4arch9wavefront6targetE0EEEvSF_.num_named_barrier, 0
	.set _ZN7rocprim17ROCPRIM_400000_NS6detail17trampoline_kernelINS0_14default_configENS1_38merge_sort_block_merge_config_selectorIiNS0_10empty_typeEEEZZNS1_27merge_sort_block_merge_implIS3_PiPS5_jNS1_19radix_merge_compareILb1ELb0EiNS0_19identity_decomposerEEEEE10hipError_tT0_T1_T2_jT3_P12ihipStream_tbPNSt15iterator_traitsISE_E10value_typeEPNSK_ISF_E10value_typeEPSG_NS1_7vsmem_tEENKUlT_SE_SF_SG_E_clIS8_S8_S9_S9_EESD_ST_SE_SF_SG_EUlST_E0_NS1_11comp_targetILNS1_3genE9ELNS1_11target_archE1100ELNS1_3gpuE3ELNS1_3repE0EEENS1_38merge_mergepath_config_static_selectorELNS0_4arch9wavefront6targetE0EEEvSF_.private_seg_size, 0
	.set _ZN7rocprim17ROCPRIM_400000_NS6detail17trampoline_kernelINS0_14default_configENS1_38merge_sort_block_merge_config_selectorIiNS0_10empty_typeEEEZZNS1_27merge_sort_block_merge_implIS3_PiPS5_jNS1_19radix_merge_compareILb1ELb0EiNS0_19identity_decomposerEEEEE10hipError_tT0_T1_T2_jT3_P12ihipStream_tbPNSt15iterator_traitsISE_E10value_typeEPNSK_ISF_E10value_typeEPSG_NS1_7vsmem_tEENKUlT_SE_SF_SG_E_clIS8_S8_S9_S9_EESD_ST_SE_SF_SG_EUlST_E0_NS1_11comp_targetILNS1_3genE9ELNS1_11target_archE1100ELNS1_3gpuE3ELNS1_3repE0EEENS1_38merge_mergepath_config_static_selectorELNS0_4arch9wavefront6targetE0EEEvSF_.uses_vcc, 0
	.set _ZN7rocprim17ROCPRIM_400000_NS6detail17trampoline_kernelINS0_14default_configENS1_38merge_sort_block_merge_config_selectorIiNS0_10empty_typeEEEZZNS1_27merge_sort_block_merge_implIS3_PiPS5_jNS1_19radix_merge_compareILb1ELb0EiNS0_19identity_decomposerEEEEE10hipError_tT0_T1_T2_jT3_P12ihipStream_tbPNSt15iterator_traitsISE_E10value_typeEPNSK_ISF_E10value_typeEPSG_NS1_7vsmem_tEENKUlT_SE_SF_SG_E_clIS8_S8_S9_S9_EESD_ST_SE_SF_SG_EUlST_E0_NS1_11comp_targetILNS1_3genE9ELNS1_11target_archE1100ELNS1_3gpuE3ELNS1_3repE0EEENS1_38merge_mergepath_config_static_selectorELNS0_4arch9wavefront6targetE0EEEvSF_.uses_flat_scratch, 0
	.set _ZN7rocprim17ROCPRIM_400000_NS6detail17trampoline_kernelINS0_14default_configENS1_38merge_sort_block_merge_config_selectorIiNS0_10empty_typeEEEZZNS1_27merge_sort_block_merge_implIS3_PiPS5_jNS1_19radix_merge_compareILb1ELb0EiNS0_19identity_decomposerEEEEE10hipError_tT0_T1_T2_jT3_P12ihipStream_tbPNSt15iterator_traitsISE_E10value_typeEPNSK_ISF_E10value_typeEPSG_NS1_7vsmem_tEENKUlT_SE_SF_SG_E_clIS8_S8_S9_S9_EESD_ST_SE_SF_SG_EUlST_E0_NS1_11comp_targetILNS1_3genE9ELNS1_11target_archE1100ELNS1_3gpuE3ELNS1_3repE0EEENS1_38merge_mergepath_config_static_selectorELNS0_4arch9wavefront6targetE0EEEvSF_.has_dyn_sized_stack, 0
	.set _ZN7rocprim17ROCPRIM_400000_NS6detail17trampoline_kernelINS0_14default_configENS1_38merge_sort_block_merge_config_selectorIiNS0_10empty_typeEEEZZNS1_27merge_sort_block_merge_implIS3_PiPS5_jNS1_19radix_merge_compareILb1ELb0EiNS0_19identity_decomposerEEEEE10hipError_tT0_T1_T2_jT3_P12ihipStream_tbPNSt15iterator_traitsISE_E10value_typeEPNSK_ISF_E10value_typeEPSG_NS1_7vsmem_tEENKUlT_SE_SF_SG_E_clIS8_S8_S9_S9_EESD_ST_SE_SF_SG_EUlST_E0_NS1_11comp_targetILNS1_3genE9ELNS1_11target_archE1100ELNS1_3gpuE3ELNS1_3repE0EEENS1_38merge_mergepath_config_static_selectorELNS0_4arch9wavefront6targetE0EEEvSF_.has_recursion, 0
	.set _ZN7rocprim17ROCPRIM_400000_NS6detail17trampoline_kernelINS0_14default_configENS1_38merge_sort_block_merge_config_selectorIiNS0_10empty_typeEEEZZNS1_27merge_sort_block_merge_implIS3_PiPS5_jNS1_19radix_merge_compareILb1ELb0EiNS0_19identity_decomposerEEEEE10hipError_tT0_T1_T2_jT3_P12ihipStream_tbPNSt15iterator_traitsISE_E10value_typeEPNSK_ISF_E10value_typeEPSG_NS1_7vsmem_tEENKUlT_SE_SF_SG_E_clIS8_S8_S9_S9_EESD_ST_SE_SF_SG_EUlST_E0_NS1_11comp_targetILNS1_3genE9ELNS1_11target_archE1100ELNS1_3gpuE3ELNS1_3repE0EEENS1_38merge_mergepath_config_static_selectorELNS0_4arch9wavefront6targetE0EEEvSF_.has_indirect_call, 0
	.section	.AMDGPU.csdata,"",@progbits
; Kernel info:
; codeLenInByte = 0
; TotalNumSgprs: 0
; NumVgprs: 0
; ScratchSize: 0
; MemoryBound: 0
; FloatMode: 240
; IeeeMode: 1
; LDSByteSize: 0 bytes/workgroup (compile time only)
; SGPRBlocks: 0
; VGPRBlocks: 0
; NumSGPRsForWavesPerEU: 1
; NumVGPRsForWavesPerEU: 1
; NamedBarCnt: 0
; Occupancy: 16
; WaveLimiterHint : 0
; COMPUTE_PGM_RSRC2:SCRATCH_EN: 0
; COMPUTE_PGM_RSRC2:USER_SGPR: 2
; COMPUTE_PGM_RSRC2:TRAP_HANDLER: 0
; COMPUTE_PGM_RSRC2:TGID_X_EN: 1
; COMPUTE_PGM_RSRC2:TGID_Y_EN: 0
; COMPUTE_PGM_RSRC2:TGID_Z_EN: 0
; COMPUTE_PGM_RSRC2:TIDIG_COMP_CNT: 0
	.section	.text._ZN7rocprim17ROCPRIM_400000_NS6detail17trampoline_kernelINS0_14default_configENS1_38merge_sort_block_merge_config_selectorIiNS0_10empty_typeEEEZZNS1_27merge_sort_block_merge_implIS3_PiPS5_jNS1_19radix_merge_compareILb1ELb0EiNS0_19identity_decomposerEEEEE10hipError_tT0_T1_T2_jT3_P12ihipStream_tbPNSt15iterator_traitsISE_E10value_typeEPNSK_ISF_E10value_typeEPSG_NS1_7vsmem_tEENKUlT_SE_SF_SG_E_clIS8_S8_S9_S9_EESD_ST_SE_SF_SG_EUlST_E0_NS1_11comp_targetILNS1_3genE8ELNS1_11target_archE1030ELNS1_3gpuE2ELNS1_3repE0EEENS1_38merge_mergepath_config_static_selectorELNS0_4arch9wavefront6targetE0EEEvSF_,"axG",@progbits,_ZN7rocprim17ROCPRIM_400000_NS6detail17trampoline_kernelINS0_14default_configENS1_38merge_sort_block_merge_config_selectorIiNS0_10empty_typeEEEZZNS1_27merge_sort_block_merge_implIS3_PiPS5_jNS1_19radix_merge_compareILb1ELb0EiNS0_19identity_decomposerEEEEE10hipError_tT0_T1_T2_jT3_P12ihipStream_tbPNSt15iterator_traitsISE_E10value_typeEPNSK_ISF_E10value_typeEPSG_NS1_7vsmem_tEENKUlT_SE_SF_SG_E_clIS8_S8_S9_S9_EESD_ST_SE_SF_SG_EUlST_E0_NS1_11comp_targetILNS1_3genE8ELNS1_11target_archE1030ELNS1_3gpuE2ELNS1_3repE0EEENS1_38merge_mergepath_config_static_selectorELNS0_4arch9wavefront6targetE0EEEvSF_,comdat
	.protected	_ZN7rocprim17ROCPRIM_400000_NS6detail17trampoline_kernelINS0_14default_configENS1_38merge_sort_block_merge_config_selectorIiNS0_10empty_typeEEEZZNS1_27merge_sort_block_merge_implIS3_PiPS5_jNS1_19radix_merge_compareILb1ELb0EiNS0_19identity_decomposerEEEEE10hipError_tT0_T1_T2_jT3_P12ihipStream_tbPNSt15iterator_traitsISE_E10value_typeEPNSK_ISF_E10value_typeEPSG_NS1_7vsmem_tEENKUlT_SE_SF_SG_E_clIS8_S8_S9_S9_EESD_ST_SE_SF_SG_EUlST_E0_NS1_11comp_targetILNS1_3genE8ELNS1_11target_archE1030ELNS1_3gpuE2ELNS1_3repE0EEENS1_38merge_mergepath_config_static_selectorELNS0_4arch9wavefront6targetE0EEEvSF_ ; -- Begin function _ZN7rocprim17ROCPRIM_400000_NS6detail17trampoline_kernelINS0_14default_configENS1_38merge_sort_block_merge_config_selectorIiNS0_10empty_typeEEEZZNS1_27merge_sort_block_merge_implIS3_PiPS5_jNS1_19radix_merge_compareILb1ELb0EiNS0_19identity_decomposerEEEEE10hipError_tT0_T1_T2_jT3_P12ihipStream_tbPNSt15iterator_traitsISE_E10value_typeEPNSK_ISF_E10value_typeEPSG_NS1_7vsmem_tEENKUlT_SE_SF_SG_E_clIS8_S8_S9_S9_EESD_ST_SE_SF_SG_EUlST_E0_NS1_11comp_targetILNS1_3genE8ELNS1_11target_archE1030ELNS1_3gpuE2ELNS1_3repE0EEENS1_38merge_mergepath_config_static_selectorELNS0_4arch9wavefront6targetE0EEEvSF_
	.globl	_ZN7rocprim17ROCPRIM_400000_NS6detail17trampoline_kernelINS0_14default_configENS1_38merge_sort_block_merge_config_selectorIiNS0_10empty_typeEEEZZNS1_27merge_sort_block_merge_implIS3_PiPS5_jNS1_19radix_merge_compareILb1ELb0EiNS0_19identity_decomposerEEEEE10hipError_tT0_T1_T2_jT3_P12ihipStream_tbPNSt15iterator_traitsISE_E10value_typeEPNSK_ISF_E10value_typeEPSG_NS1_7vsmem_tEENKUlT_SE_SF_SG_E_clIS8_S8_S9_S9_EESD_ST_SE_SF_SG_EUlST_E0_NS1_11comp_targetILNS1_3genE8ELNS1_11target_archE1030ELNS1_3gpuE2ELNS1_3repE0EEENS1_38merge_mergepath_config_static_selectorELNS0_4arch9wavefront6targetE0EEEvSF_
	.p2align	8
	.type	_ZN7rocprim17ROCPRIM_400000_NS6detail17trampoline_kernelINS0_14default_configENS1_38merge_sort_block_merge_config_selectorIiNS0_10empty_typeEEEZZNS1_27merge_sort_block_merge_implIS3_PiPS5_jNS1_19radix_merge_compareILb1ELb0EiNS0_19identity_decomposerEEEEE10hipError_tT0_T1_T2_jT3_P12ihipStream_tbPNSt15iterator_traitsISE_E10value_typeEPNSK_ISF_E10value_typeEPSG_NS1_7vsmem_tEENKUlT_SE_SF_SG_E_clIS8_S8_S9_S9_EESD_ST_SE_SF_SG_EUlST_E0_NS1_11comp_targetILNS1_3genE8ELNS1_11target_archE1030ELNS1_3gpuE2ELNS1_3repE0EEENS1_38merge_mergepath_config_static_selectorELNS0_4arch9wavefront6targetE0EEEvSF_,@function
_ZN7rocprim17ROCPRIM_400000_NS6detail17trampoline_kernelINS0_14default_configENS1_38merge_sort_block_merge_config_selectorIiNS0_10empty_typeEEEZZNS1_27merge_sort_block_merge_implIS3_PiPS5_jNS1_19radix_merge_compareILb1ELb0EiNS0_19identity_decomposerEEEEE10hipError_tT0_T1_T2_jT3_P12ihipStream_tbPNSt15iterator_traitsISE_E10value_typeEPNSK_ISF_E10value_typeEPSG_NS1_7vsmem_tEENKUlT_SE_SF_SG_E_clIS8_S8_S9_S9_EESD_ST_SE_SF_SG_EUlST_E0_NS1_11comp_targetILNS1_3genE8ELNS1_11target_archE1030ELNS1_3gpuE2ELNS1_3repE0EEENS1_38merge_mergepath_config_static_selectorELNS0_4arch9wavefront6targetE0EEEvSF_: ; @_ZN7rocprim17ROCPRIM_400000_NS6detail17trampoline_kernelINS0_14default_configENS1_38merge_sort_block_merge_config_selectorIiNS0_10empty_typeEEEZZNS1_27merge_sort_block_merge_implIS3_PiPS5_jNS1_19radix_merge_compareILb1ELb0EiNS0_19identity_decomposerEEEEE10hipError_tT0_T1_T2_jT3_P12ihipStream_tbPNSt15iterator_traitsISE_E10value_typeEPNSK_ISF_E10value_typeEPSG_NS1_7vsmem_tEENKUlT_SE_SF_SG_E_clIS8_S8_S9_S9_EESD_ST_SE_SF_SG_EUlST_E0_NS1_11comp_targetILNS1_3genE8ELNS1_11target_archE1030ELNS1_3gpuE2ELNS1_3repE0EEENS1_38merge_mergepath_config_static_selectorELNS0_4arch9wavefront6targetE0EEEvSF_
; %bb.0:
	.section	.rodata,"a",@progbits
	.p2align	6, 0x0
	.amdhsa_kernel _ZN7rocprim17ROCPRIM_400000_NS6detail17trampoline_kernelINS0_14default_configENS1_38merge_sort_block_merge_config_selectorIiNS0_10empty_typeEEEZZNS1_27merge_sort_block_merge_implIS3_PiPS5_jNS1_19radix_merge_compareILb1ELb0EiNS0_19identity_decomposerEEEEE10hipError_tT0_T1_T2_jT3_P12ihipStream_tbPNSt15iterator_traitsISE_E10value_typeEPNSK_ISF_E10value_typeEPSG_NS1_7vsmem_tEENKUlT_SE_SF_SG_E_clIS8_S8_S9_S9_EESD_ST_SE_SF_SG_EUlST_E0_NS1_11comp_targetILNS1_3genE8ELNS1_11target_archE1030ELNS1_3gpuE2ELNS1_3repE0EEENS1_38merge_mergepath_config_static_selectorELNS0_4arch9wavefront6targetE0EEEvSF_
		.amdhsa_group_segment_fixed_size 0
		.amdhsa_private_segment_fixed_size 0
		.amdhsa_kernarg_size 64
		.amdhsa_user_sgpr_count 2
		.amdhsa_user_sgpr_dispatch_ptr 0
		.amdhsa_user_sgpr_queue_ptr 0
		.amdhsa_user_sgpr_kernarg_segment_ptr 1
		.amdhsa_user_sgpr_dispatch_id 0
		.amdhsa_user_sgpr_kernarg_preload_length 0
		.amdhsa_user_sgpr_kernarg_preload_offset 0
		.amdhsa_user_sgpr_private_segment_size 0
		.amdhsa_wavefront_size32 1
		.amdhsa_uses_dynamic_stack 0
		.amdhsa_enable_private_segment 0
		.amdhsa_system_sgpr_workgroup_id_x 1
		.amdhsa_system_sgpr_workgroup_id_y 0
		.amdhsa_system_sgpr_workgroup_id_z 0
		.amdhsa_system_sgpr_workgroup_info 0
		.amdhsa_system_vgpr_workitem_id 0
		.amdhsa_next_free_vgpr 1
		.amdhsa_next_free_sgpr 1
		.amdhsa_named_barrier_count 0
		.amdhsa_reserve_vcc 0
		.amdhsa_float_round_mode_32 0
		.amdhsa_float_round_mode_16_64 0
		.amdhsa_float_denorm_mode_32 3
		.amdhsa_float_denorm_mode_16_64 3
		.amdhsa_fp16_overflow 0
		.amdhsa_memory_ordered 1
		.amdhsa_forward_progress 1
		.amdhsa_inst_pref_size 0
		.amdhsa_round_robin_scheduling 0
		.amdhsa_exception_fp_ieee_invalid_op 0
		.amdhsa_exception_fp_denorm_src 0
		.amdhsa_exception_fp_ieee_div_zero 0
		.amdhsa_exception_fp_ieee_overflow 0
		.amdhsa_exception_fp_ieee_underflow 0
		.amdhsa_exception_fp_ieee_inexact 0
		.amdhsa_exception_int_div_zero 0
	.end_amdhsa_kernel
	.section	.text._ZN7rocprim17ROCPRIM_400000_NS6detail17trampoline_kernelINS0_14default_configENS1_38merge_sort_block_merge_config_selectorIiNS0_10empty_typeEEEZZNS1_27merge_sort_block_merge_implIS3_PiPS5_jNS1_19radix_merge_compareILb1ELb0EiNS0_19identity_decomposerEEEEE10hipError_tT0_T1_T2_jT3_P12ihipStream_tbPNSt15iterator_traitsISE_E10value_typeEPNSK_ISF_E10value_typeEPSG_NS1_7vsmem_tEENKUlT_SE_SF_SG_E_clIS8_S8_S9_S9_EESD_ST_SE_SF_SG_EUlST_E0_NS1_11comp_targetILNS1_3genE8ELNS1_11target_archE1030ELNS1_3gpuE2ELNS1_3repE0EEENS1_38merge_mergepath_config_static_selectorELNS0_4arch9wavefront6targetE0EEEvSF_,"axG",@progbits,_ZN7rocprim17ROCPRIM_400000_NS6detail17trampoline_kernelINS0_14default_configENS1_38merge_sort_block_merge_config_selectorIiNS0_10empty_typeEEEZZNS1_27merge_sort_block_merge_implIS3_PiPS5_jNS1_19radix_merge_compareILb1ELb0EiNS0_19identity_decomposerEEEEE10hipError_tT0_T1_T2_jT3_P12ihipStream_tbPNSt15iterator_traitsISE_E10value_typeEPNSK_ISF_E10value_typeEPSG_NS1_7vsmem_tEENKUlT_SE_SF_SG_E_clIS8_S8_S9_S9_EESD_ST_SE_SF_SG_EUlST_E0_NS1_11comp_targetILNS1_3genE8ELNS1_11target_archE1030ELNS1_3gpuE2ELNS1_3repE0EEENS1_38merge_mergepath_config_static_selectorELNS0_4arch9wavefront6targetE0EEEvSF_,comdat
.Lfunc_end782:
	.size	_ZN7rocprim17ROCPRIM_400000_NS6detail17trampoline_kernelINS0_14default_configENS1_38merge_sort_block_merge_config_selectorIiNS0_10empty_typeEEEZZNS1_27merge_sort_block_merge_implIS3_PiPS5_jNS1_19radix_merge_compareILb1ELb0EiNS0_19identity_decomposerEEEEE10hipError_tT0_T1_T2_jT3_P12ihipStream_tbPNSt15iterator_traitsISE_E10value_typeEPNSK_ISF_E10value_typeEPSG_NS1_7vsmem_tEENKUlT_SE_SF_SG_E_clIS8_S8_S9_S9_EESD_ST_SE_SF_SG_EUlST_E0_NS1_11comp_targetILNS1_3genE8ELNS1_11target_archE1030ELNS1_3gpuE2ELNS1_3repE0EEENS1_38merge_mergepath_config_static_selectorELNS0_4arch9wavefront6targetE0EEEvSF_, .Lfunc_end782-_ZN7rocprim17ROCPRIM_400000_NS6detail17trampoline_kernelINS0_14default_configENS1_38merge_sort_block_merge_config_selectorIiNS0_10empty_typeEEEZZNS1_27merge_sort_block_merge_implIS3_PiPS5_jNS1_19radix_merge_compareILb1ELb0EiNS0_19identity_decomposerEEEEE10hipError_tT0_T1_T2_jT3_P12ihipStream_tbPNSt15iterator_traitsISE_E10value_typeEPNSK_ISF_E10value_typeEPSG_NS1_7vsmem_tEENKUlT_SE_SF_SG_E_clIS8_S8_S9_S9_EESD_ST_SE_SF_SG_EUlST_E0_NS1_11comp_targetILNS1_3genE8ELNS1_11target_archE1030ELNS1_3gpuE2ELNS1_3repE0EEENS1_38merge_mergepath_config_static_selectorELNS0_4arch9wavefront6targetE0EEEvSF_
                                        ; -- End function
	.set _ZN7rocprim17ROCPRIM_400000_NS6detail17trampoline_kernelINS0_14default_configENS1_38merge_sort_block_merge_config_selectorIiNS0_10empty_typeEEEZZNS1_27merge_sort_block_merge_implIS3_PiPS5_jNS1_19radix_merge_compareILb1ELb0EiNS0_19identity_decomposerEEEEE10hipError_tT0_T1_T2_jT3_P12ihipStream_tbPNSt15iterator_traitsISE_E10value_typeEPNSK_ISF_E10value_typeEPSG_NS1_7vsmem_tEENKUlT_SE_SF_SG_E_clIS8_S8_S9_S9_EESD_ST_SE_SF_SG_EUlST_E0_NS1_11comp_targetILNS1_3genE8ELNS1_11target_archE1030ELNS1_3gpuE2ELNS1_3repE0EEENS1_38merge_mergepath_config_static_selectorELNS0_4arch9wavefront6targetE0EEEvSF_.num_vgpr, 0
	.set _ZN7rocprim17ROCPRIM_400000_NS6detail17trampoline_kernelINS0_14default_configENS1_38merge_sort_block_merge_config_selectorIiNS0_10empty_typeEEEZZNS1_27merge_sort_block_merge_implIS3_PiPS5_jNS1_19radix_merge_compareILb1ELb0EiNS0_19identity_decomposerEEEEE10hipError_tT0_T1_T2_jT3_P12ihipStream_tbPNSt15iterator_traitsISE_E10value_typeEPNSK_ISF_E10value_typeEPSG_NS1_7vsmem_tEENKUlT_SE_SF_SG_E_clIS8_S8_S9_S9_EESD_ST_SE_SF_SG_EUlST_E0_NS1_11comp_targetILNS1_3genE8ELNS1_11target_archE1030ELNS1_3gpuE2ELNS1_3repE0EEENS1_38merge_mergepath_config_static_selectorELNS0_4arch9wavefront6targetE0EEEvSF_.num_agpr, 0
	.set _ZN7rocprim17ROCPRIM_400000_NS6detail17trampoline_kernelINS0_14default_configENS1_38merge_sort_block_merge_config_selectorIiNS0_10empty_typeEEEZZNS1_27merge_sort_block_merge_implIS3_PiPS5_jNS1_19radix_merge_compareILb1ELb0EiNS0_19identity_decomposerEEEEE10hipError_tT0_T1_T2_jT3_P12ihipStream_tbPNSt15iterator_traitsISE_E10value_typeEPNSK_ISF_E10value_typeEPSG_NS1_7vsmem_tEENKUlT_SE_SF_SG_E_clIS8_S8_S9_S9_EESD_ST_SE_SF_SG_EUlST_E0_NS1_11comp_targetILNS1_3genE8ELNS1_11target_archE1030ELNS1_3gpuE2ELNS1_3repE0EEENS1_38merge_mergepath_config_static_selectorELNS0_4arch9wavefront6targetE0EEEvSF_.numbered_sgpr, 0
	.set _ZN7rocprim17ROCPRIM_400000_NS6detail17trampoline_kernelINS0_14default_configENS1_38merge_sort_block_merge_config_selectorIiNS0_10empty_typeEEEZZNS1_27merge_sort_block_merge_implIS3_PiPS5_jNS1_19radix_merge_compareILb1ELb0EiNS0_19identity_decomposerEEEEE10hipError_tT0_T1_T2_jT3_P12ihipStream_tbPNSt15iterator_traitsISE_E10value_typeEPNSK_ISF_E10value_typeEPSG_NS1_7vsmem_tEENKUlT_SE_SF_SG_E_clIS8_S8_S9_S9_EESD_ST_SE_SF_SG_EUlST_E0_NS1_11comp_targetILNS1_3genE8ELNS1_11target_archE1030ELNS1_3gpuE2ELNS1_3repE0EEENS1_38merge_mergepath_config_static_selectorELNS0_4arch9wavefront6targetE0EEEvSF_.num_named_barrier, 0
	.set _ZN7rocprim17ROCPRIM_400000_NS6detail17trampoline_kernelINS0_14default_configENS1_38merge_sort_block_merge_config_selectorIiNS0_10empty_typeEEEZZNS1_27merge_sort_block_merge_implIS3_PiPS5_jNS1_19radix_merge_compareILb1ELb0EiNS0_19identity_decomposerEEEEE10hipError_tT0_T1_T2_jT3_P12ihipStream_tbPNSt15iterator_traitsISE_E10value_typeEPNSK_ISF_E10value_typeEPSG_NS1_7vsmem_tEENKUlT_SE_SF_SG_E_clIS8_S8_S9_S9_EESD_ST_SE_SF_SG_EUlST_E0_NS1_11comp_targetILNS1_3genE8ELNS1_11target_archE1030ELNS1_3gpuE2ELNS1_3repE0EEENS1_38merge_mergepath_config_static_selectorELNS0_4arch9wavefront6targetE0EEEvSF_.private_seg_size, 0
	.set _ZN7rocprim17ROCPRIM_400000_NS6detail17trampoline_kernelINS0_14default_configENS1_38merge_sort_block_merge_config_selectorIiNS0_10empty_typeEEEZZNS1_27merge_sort_block_merge_implIS3_PiPS5_jNS1_19radix_merge_compareILb1ELb0EiNS0_19identity_decomposerEEEEE10hipError_tT0_T1_T2_jT3_P12ihipStream_tbPNSt15iterator_traitsISE_E10value_typeEPNSK_ISF_E10value_typeEPSG_NS1_7vsmem_tEENKUlT_SE_SF_SG_E_clIS8_S8_S9_S9_EESD_ST_SE_SF_SG_EUlST_E0_NS1_11comp_targetILNS1_3genE8ELNS1_11target_archE1030ELNS1_3gpuE2ELNS1_3repE0EEENS1_38merge_mergepath_config_static_selectorELNS0_4arch9wavefront6targetE0EEEvSF_.uses_vcc, 0
	.set _ZN7rocprim17ROCPRIM_400000_NS6detail17trampoline_kernelINS0_14default_configENS1_38merge_sort_block_merge_config_selectorIiNS0_10empty_typeEEEZZNS1_27merge_sort_block_merge_implIS3_PiPS5_jNS1_19radix_merge_compareILb1ELb0EiNS0_19identity_decomposerEEEEE10hipError_tT0_T1_T2_jT3_P12ihipStream_tbPNSt15iterator_traitsISE_E10value_typeEPNSK_ISF_E10value_typeEPSG_NS1_7vsmem_tEENKUlT_SE_SF_SG_E_clIS8_S8_S9_S9_EESD_ST_SE_SF_SG_EUlST_E0_NS1_11comp_targetILNS1_3genE8ELNS1_11target_archE1030ELNS1_3gpuE2ELNS1_3repE0EEENS1_38merge_mergepath_config_static_selectorELNS0_4arch9wavefront6targetE0EEEvSF_.uses_flat_scratch, 0
	.set _ZN7rocprim17ROCPRIM_400000_NS6detail17trampoline_kernelINS0_14default_configENS1_38merge_sort_block_merge_config_selectorIiNS0_10empty_typeEEEZZNS1_27merge_sort_block_merge_implIS3_PiPS5_jNS1_19radix_merge_compareILb1ELb0EiNS0_19identity_decomposerEEEEE10hipError_tT0_T1_T2_jT3_P12ihipStream_tbPNSt15iterator_traitsISE_E10value_typeEPNSK_ISF_E10value_typeEPSG_NS1_7vsmem_tEENKUlT_SE_SF_SG_E_clIS8_S8_S9_S9_EESD_ST_SE_SF_SG_EUlST_E0_NS1_11comp_targetILNS1_3genE8ELNS1_11target_archE1030ELNS1_3gpuE2ELNS1_3repE0EEENS1_38merge_mergepath_config_static_selectorELNS0_4arch9wavefront6targetE0EEEvSF_.has_dyn_sized_stack, 0
	.set _ZN7rocprim17ROCPRIM_400000_NS6detail17trampoline_kernelINS0_14default_configENS1_38merge_sort_block_merge_config_selectorIiNS0_10empty_typeEEEZZNS1_27merge_sort_block_merge_implIS3_PiPS5_jNS1_19radix_merge_compareILb1ELb0EiNS0_19identity_decomposerEEEEE10hipError_tT0_T1_T2_jT3_P12ihipStream_tbPNSt15iterator_traitsISE_E10value_typeEPNSK_ISF_E10value_typeEPSG_NS1_7vsmem_tEENKUlT_SE_SF_SG_E_clIS8_S8_S9_S9_EESD_ST_SE_SF_SG_EUlST_E0_NS1_11comp_targetILNS1_3genE8ELNS1_11target_archE1030ELNS1_3gpuE2ELNS1_3repE0EEENS1_38merge_mergepath_config_static_selectorELNS0_4arch9wavefront6targetE0EEEvSF_.has_recursion, 0
	.set _ZN7rocprim17ROCPRIM_400000_NS6detail17trampoline_kernelINS0_14default_configENS1_38merge_sort_block_merge_config_selectorIiNS0_10empty_typeEEEZZNS1_27merge_sort_block_merge_implIS3_PiPS5_jNS1_19radix_merge_compareILb1ELb0EiNS0_19identity_decomposerEEEEE10hipError_tT0_T1_T2_jT3_P12ihipStream_tbPNSt15iterator_traitsISE_E10value_typeEPNSK_ISF_E10value_typeEPSG_NS1_7vsmem_tEENKUlT_SE_SF_SG_E_clIS8_S8_S9_S9_EESD_ST_SE_SF_SG_EUlST_E0_NS1_11comp_targetILNS1_3genE8ELNS1_11target_archE1030ELNS1_3gpuE2ELNS1_3repE0EEENS1_38merge_mergepath_config_static_selectorELNS0_4arch9wavefront6targetE0EEEvSF_.has_indirect_call, 0
	.section	.AMDGPU.csdata,"",@progbits
; Kernel info:
; codeLenInByte = 0
; TotalNumSgprs: 0
; NumVgprs: 0
; ScratchSize: 0
; MemoryBound: 0
; FloatMode: 240
; IeeeMode: 1
; LDSByteSize: 0 bytes/workgroup (compile time only)
; SGPRBlocks: 0
; VGPRBlocks: 0
; NumSGPRsForWavesPerEU: 1
; NumVGPRsForWavesPerEU: 1
; NamedBarCnt: 0
; Occupancy: 16
; WaveLimiterHint : 0
; COMPUTE_PGM_RSRC2:SCRATCH_EN: 0
; COMPUTE_PGM_RSRC2:USER_SGPR: 2
; COMPUTE_PGM_RSRC2:TRAP_HANDLER: 0
; COMPUTE_PGM_RSRC2:TGID_X_EN: 1
; COMPUTE_PGM_RSRC2:TGID_Y_EN: 0
; COMPUTE_PGM_RSRC2:TGID_Z_EN: 0
; COMPUTE_PGM_RSRC2:TIDIG_COMP_CNT: 0
	.section	.text._ZN7rocprim17ROCPRIM_400000_NS6detail17trampoline_kernelINS0_14default_configENS1_38merge_sort_block_merge_config_selectorIiNS0_10empty_typeEEEZZNS1_27merge_sort_block_merge_implIS3_PiPS5_jNS1_19radix_merge_compareILb1ELb0EiNS0_19identity_decomposerEEEEE10hipError_tT0_T1_T2_jT3_P12ihipStream_tbPNSt15iterator_traitsISE_E10value_typeEPNSK_ISF_E10value_typeEPSG_NS1_7vsmem_tEENKUlT_SE_SF_SG_E_clIS8_S8_S9_S9_EESD_ST_SE_SF_SG_EUlST_E1_NS1_11comp_targetILNS1_3genE0ELNS1_11target_archE4294967295ELNS1_3gpuE0ELNS1_3repE0EEENS1_36merge_oddeven_config_static_selectorELNS0_4arch9wavefront6targetE0EEEvSF_,"axG",@progbits,_ZN7rocprim17ROCPRIM_400000_NS6detail17trampoline_kernelINS0_14default_configENS1_38merge_sort_block_merge_config_selectorIiNS0_10empty_typeEEEZZNS1_27merge_sort_block_merge_implIS3_PiPS5_jNS1_19radix_merge_compareILb1ELb0EiNS0_19identity_decomposerEEEEE10hipError_tT0_T1_T2_jT3_P12ihipStream_tbPNSt15iterator_traitsISE_E10value_typeEPNSK_ISF_E10value_typeEPSG_NS1_7vsmem_tEENKUlT_SE_SF_SG_E_clIS8_S8_S9_S9_EESD_ST_SE_SF_SG_EUlST_E1_NS1_11comp_targetILNS1_3genE0ELNS1_11target_archE4294967295ELNS1_3gpuE0ELNS1_3repE0EEENS1_36merge_oddeven_config_static_selectorELNS0_4arch9wavefront6targetE0EEEvSF_,comdat
	.protected	_ZN7rocprim17ROCPRIM_400000_NS6detail17trampoline_kernelINS0_14default_configENS1_38merge_sort_block_merge_config_selectorIiNS0_10empty_typeEEEZZNS1_27merge_sort_block_merge_implIS3_PiPS5_jNS1_19radix_merge_compareILb1ELb0EiNS0_19identity_decomposerEEEEE10hipError_tT0_T1_T2_jT3_P12ihipStream_tbPNSt15iterator_traitsISE_E10value_typeEPNSK_ISF_E10value_typeEPSG_NS1_7vsmem_tEENKUlT_SE_SF_SG_E_clIS8_S8_S9_S9_EESD_ST_SE_SF_SG_EUlST_E1_NS1_11comp_targetILNS1_3genE0ELNS1_11target_archE4294967295ELNS1_3gpuE0ELNS1_3repE0EEENS1_36merge_oddeven_config_static_selectorELNS0_4arch9wavefront6targetE0EEEvSF_ ; -- Begin function _ZN7rocprim17ROCPRIM_400000_NS6detail17trampoline_kernelINS0_14default_configENS1_38merge_sort_block_merge_config_selectorIiNS0_10empty_typeEEEZZNS1_27merge_sort_block_merge_implIS3_PiPS5_jNS1_19radix_merge_compareILb1ELb0EiNS0_19identity_decomposerEEEEE10hipError_tT0_T1_T2_jT3_P12ihipStream_tbPNSt15iterator_traitsISE_E10value_typeEPNSK_ISF_E10value_typeEPSG_NS1_7vsmem_tEENKUlT_SE_SF_SG_E_clIS8_S8_S9_S9_EESD_ST_SE_SF_SG_EUlST_E1_NS1_11comp_targetILNS1_3genE0ELNS1_11target_archE4294967295ELNS1_3gpuE0ELNS1_3repE0EEENS1_36merge_oddeven_config_static_selectorELNS0_4arch9wavefront6targetE0EEEvSF_
	.globl	_ZN7rocprim17ROCPRIM_400000_NS6detail17trampoline_kernelINS0_14default_configENS1_38merge_sort_block_merge_config_selectorIiNS0_10empty_typeEEEZZNS1_27merge_sort_block_merge_implIS3_PiPS5_jNS1_19radix_merge_compareILb1ELb0EiNS0_19identity_decomposerEEEEE10hipError_tT0_T1_T2_jT3_P12ihipStream_tbPNSt15iterator_traitsISE_E10value_typeEPNSK_ISF_E10value_typeEPSG_NS1_7vsmem_tEENKUlT_SE_SF_SG_E_clIS8_S8_S9_S9_EESD_ST_SE_SF_SG_EUlST_E1_NS1_11comp_targetILNS1_3genE0ELNS1_11target_archE4294967295ELNS1_3gpuE0ELNS1_3repE0EEENS1_36merge_oddeven_config_static_selectorELNS0_4arch9wavefront6targetE0EEEvSF_
	.p2align	8
	.type	_ZN7rocprim17ROCPRIM_400000_NS6detail17trampoline_kernelINS0_14default_configENS1_38merge_sort_block_merge_config_selectorIiNS0_10empty_typeEEEZZNS1_27merge_sort_block_merge_implIS3_PiPS5_jNS1_19radix_merge_compareILb1ELb0EiNS0_19identity_decomposerEEEEE10hipError_tT0_T1_T2_jT3_P12ihipStream_tbPNSt15iterator_traitsISE_E10value_typeEPNSK_ISF_E10value_typeEPSG_NS1_7vsmem_tEENKUlT_SE_SF_SG_E_clIS8_S8_S9_S9_EESD_ST_SE_SF_SG_EUlST_E1_NS1_11comp_targetILNS1_3genE0ELNS1_11target_archE4294967295ELNS1_3gpuE0ELNS1_3repE0EEENS1_36merge_oddeven_config_static_selectorELNS0_4arch9wavefront6targetE0EEEvSF_,@function
_ZN7rocprim17ROCPRIM_400000_NS6detail17trampoline_kernelINS0_14default_configENS1_38merge_sort_block_merge_config_selectorIiNS0_10empty_typeEEEZZNS1_27merge_sort_block_merge_implIS3_PiPS5_jNS1_19radix_merge_compareILb1ELb0EiNS0_19identity_decomposerEEEEE10hipError_tT0_T1_T2_jT3_P12ihipStream_tbPNSt15iterator_traitsISE_E10value_typeEPNSK_ISF_E10value_typeEPSG_NS1_7vsmem_tEENKUlT_SE_SF_SG_E_clIS8_S8_S9_S9_EESD_ST_SE_SF_SG_EUlST_E1_NS1_11comp_targetILNS1_3genE0ELNS1_11target_archE4294967295ELNS1_3gpuE0ELNS1_3repE0EEENS1_36merge_oddeven_config_static_selectorELNS0_4arch9wavefront6targetE0EEEvSF_: ; @_ZN7rocprim17ROCPRIM_400000_NS6detail17trampoline_kernelINS0_14default_configENS1_38merge_sort_block_merge_config_selectorIiNS0_10empty_typeEEEZZNS1_27merge_sort_block_merge_implIS3_PiPS5_jNS1_19radix_merge_compareILb1ELb0EiNS0_19identity_decomposerEEEEE10hipError_tT0_T1_T2_jT3_P12ihipStream_tbPNSt15iterator_traitsISE_E10value_typeEPNSK_ISF_E10value_typeEPSG_NS1_7vsmem_tEENKUlT_SE_SF_SG_E_clIS8_S8_S9_S9_EESD_ST_SE_SF_SG_EUlST_E1_NS1_11comp_targetILNS1_3genE0ELNS1_11target_archE4294967295ELNS1_3gpuE0ELNS1_3repE0EEENS1_36merge_oddeven_config_static_selectorELNS0_4arch9wavefront6targetE0EEEvSF_
; %bb.0:
	s_load_b32 s10, s[0:1], 0x20
	s_bfe_u32 s2, ttmp6, 0x4000c
	s_and_b32 s3, ttmp6, 15
	s_add_co_i32 s2, s2, 1
	s_getreg_b32 s4, hwreg(HW_REG_IB_STS2, 6, 4)
	s_mul_i32 s2, ttmp9, s2
	s_mov_b32 s9, 0
	s_add_co_i32 s3, s3, s2
	s_cmp_eq_u32 s4, 0
	s_cselect_b32 s13, ttmp9, s3
	s_wait_kmcnt 0x0
	s_lshr_b32 s2, s10, 8
	s_delay_alu instid0(SALU_CYCLE_1) | instskip(SKIP_4) | instid1(SALU_CYCLE_1)
	s_cmp_lg_u32 s13, s2
	s_cselect_b32 s3, -1, 0
	s_cmp_eq_u32 s13, s2
	s_cselect_b32 s11, -1, 0
	s_lshl_b32 s8, s13, 8
	s_sub_co_i32 s2, s10, s8
	s_delay_alu instid0(SALU_CYCLE_1) | instskip(SKIP_1) | instid1(SALU_CYCLE_1)
	v_cmp_gt_u32_e64 s2, s2, v0
	s_or_b32 s4, s3, s2
	s_and_saveexec_b32 s5, s4
	s_cbranch_execz .LBB783_20
; %bb.1:
	s_clause 0x1
	s_load_b128 s[4:7], s[0:1], 0x0
	s_load_b32 s12, s[0:1], 0x24
	s_lshl_b64 s[14:15], s[8:9], 2
	v_add_nc_u32_e32 v2, s8, v0
	s_wait_kmcnt 0x0
	s_add_nc_u64 s[0:1], s[4:5], s[14:15]
	global_load_b32 v1, v0, s[0:1] scale_offset
	s_wait_xcnt 0x0
	s_lshr_b32 s0, s12, 8
	s_delay_alu instid0(SALU_CYCLE_1) | instskip(NEXT) | instid1(SALU_CYCLE_1)
	s_sub_co_i32 s1, 0, s0
	s_and_b32 s1, s13, s1
	s_delay_alu instid0(SALU_CYCLE_1) | instskip(SKIP_4) | instid1(SALU_CYCLE_1)
	s_and_b32 s0, s1, s0
	s_lshl_b32 s13, s1, 8
	s_sub_co_i32 s1, 0, s12
	s_cmp_eq_u32 s0, 0
	s_cselect_b32 s0, -1, 0
	s_and_b32 s14, s0, exec_lo
	s_cselect_b32 s1, s12, s1
	s_delay_alu instid0(SALU_CYCLE_1) | instskip(NEXT) | instid1(SALU_CYCLE_1)
	s_add_co_i32 s1, s1, s13
	s_cmp_gt_u32 s10, s1
	s_cbranch_scc1 .LBB783_3
; %bb.2:
	v_cmp_gt_u32_e32 vcc_lo, s10, v2
	s_or_b32 s8, vcc_lo, s3
	s_delay_alu instid0(SALU_CYCLE_1)
	s_and_b32 s9, s8, exec_lo
	s_cbranch_execz .LBB783_4
	s_branch .LBB783_18
.LBB783_3:
.LBB783_4:
	s_min_u32 s3, s1, s10
	s_and_b32 vcc_lo, exec_lo, s11
	s_add_co_i32 s8, s13, s3
	s_add_co_i32 s12, s3, s12
	v_subrev_nc_u32_e32 v0, s8, v2
	s_min_u32 s8, s13, s3
	s_delay_alu instid0(VALU_DEP_1) | instid1(SALU_CYCLE_1)
	v_add_nc_u32_e32 v0, s8, v0
	s_min_u32 s8, s12, s10
	s_cbranch_vccz .LBB783_12
; %bb.5:
                                        ; implicit-def: $vgpr2
	s_and_saveexec_b32 s10, s2
	s_cbranch_execz .LBB783_11
; %bb.6:
	v_mov_b32_e32 v2, s3
	s_cmp_ge_u32 s1, s8
	s_cbranch_scc1 .LBB783_10
; %bb.7:
	v_dual_mov_b32 v3, s8 :: v_dual_mov_b32 v2, s3
	s_mov_b32 s2, 0
.LBB783_8:                              ; =>This Inner Loop Header: Depth=1
	s_delay_alu instid0(VALU_DEP_1) | instskip(NEXT) | instid1(VALU_DEP_1)
	v_add_nc_u32_e32 v4, v2, v3
	v_lshrrev_b32_e32 v4, 1, v4
	global_load_b32 v5, v4, s[4:5] scale_offset
	s_wait_loadcnt 0x0
	v_cmp_gt_i32_e32 vcc_lo, v5, v1
	v_cndmask_b32_e64 v6, 0, 1, vcc_lo
	v_cmp_le_i32_e32 vcc_lo, v1, v5
	v_cndmask_b32_e64 v5, 0, 1, vcc_lo
	s_delay_alu instid0(VALU_DEP_1) | instskip(NEXT) | instid1(VALU_DEP_1)
	v_cndmask_b32_e64 v5, v5, v6, s0
	v_and_b32_e32 v5, 1, v5
	s_delay_alu instid0(VALU_DEP_1) | instskip(SKIP_1) | instid1(VALU_DEP_1)
	v_cmp_eq_u32_e32 vcc_lo, 1, v5
	v_dual_cndmask_b32 v3, v4, v3 :: v_dual_add_nc_u32 v6, 1, v4
	v_cndmask_b32_e32 v2, v2, v6, vcc_lo
	s_delay_alu instid0(VALU_DEP_1) | instskip(SKIP_1) | instid1(SALU_CYCLE_1)
	v_cmp_ge_u32_e32 vcc_lo, v2, v3
	s_or_b32 s2, vcc_lo, s2
	s_and_not1_b32 exec_lo, exec_lo, s2
	s_cbranch_execnz .LBB783_8
; %bb.9:
	s_or_b32 exec_lo, exec_lo, s2
.LBB783_10:
	s_delay_alu instid0(VALU_DEP_1)
	v_add_nc_u32_e32 v2, v2, v0
	s_or_b32 s9, s9, exec_lo
.LBB783_11:
	s_or_b32 exec_lo, exec_lo, s10
	s_branch .LBB783_18
.LBB783_12:
                                        ; implicit-def: $vgpr2
	s_cbranch_execz .LBB783_18
; %bb.13:
	v_mov_b32_e32 v2, s3
	s_cmp_ge_u32 s1, s8
	s_cbranch_scc1 .LBB783_17
; %bb.14:
	v_dual_mov_b32 v3, s8 :: v_dual_mov_b32 v2, s3
	s_mov_b32 s1, 0
.LBB783_15:                             ; =>This Inner Loop Header: Depth=1
	s_delay_alu instid0(VALU_DEP_1) | instskip(NEXT) | instid1(VALU_DEP_1)
	v_add_nc_u32_e32 v4, v2, v3
	v_lshrrev_b32_e32 v4, 1, v4
	global_load_b32 v5, v4, s[4:5] scale_offset
	s_wait_loadcnt 0x0
	v_cmp_gt_i32_e32 vcc_lo, v5, v1
	v_cndmask_b32_e64 v6, 0, 1, vcc_lo
	v_cmp_le_i32_e32 vcc_lo, v1, v5
	v_cndmask_b32_e64 v5, 0, 1, vcc_lo
	s_delay_alu instid0(VALU_DEP_1) | instskip(NEXT) | instid1(VALU_DEP_1)
	v_cndmask_b32_e64 v5, v5, v6, s0
	v_and_b32_e32 v5, 1, v5
	s_delay_alu instid0(VALU_DEP_1) | instskip(SKIP_1) | instid1(VALU_DEP_1)
	v_cmp_eq_u32_e32 vcc_lo, 1, v5
	v_dual_cndmask_b32 v3, v4, v3 :: v_dual_add_nc_u32 v6, 1, v4
	v_cndmask_b32_e32 v2, v2, v6, vcc_lo
	s_delay_alu instid0(VALU_DEP_1) | instskip(SKIP_1) | instid1(SALU_CYCLE_1)
	v_cmp_ge_u32_e32 vcc_lo, v2, v3
	s_or_b32 s1, vcc_lo, s1
	s_and_not1_b32 exec_lo, exec_lo, s1
	s_cbranch_execnz .LBB783_15
; %bb.16:
	s_or_b32 exec_lo, exec_lo, s1
.LBB783_17:
	s_delay_alu instid0(VALU_DEP_1)
	v_add_nc_u32_e32 v2, v2, v0
	s_mov_b32 s9, -1
.LBB783_18:
	s_delay_alu instid0(SALU_CYCLE_1)
	s_and_b32 exec_lo, exec_lo, s9
	s_cbranch_execz .LBB783_20
; %bb.19:
	s_wait_loadcnt 0x0
	global_store_b32 v2, v1, s[6:7] scale_offset
.LBB783_20:
	s_endpgm
	.section	.rodata,"a",@progbits
	.p2align	6, 0x0
	.amdhsa_kernel _ZN7rocprim17ROCPRIM_400000_NS6detail17trampoline_kernelINS0_14default_configENS1_38merge_sort_block_merge_config_selectorIiNS0_10empty_typeEEEZZNS1_27merge_sort_block_merge_implIS3_PiPS5_jNS1_19radix_merge_compareILb1ELb0EiNS0_19identity_decomposerEEEEE10hipError_tT0_T1_T2_jT3_P12ihipStream_tbPNSt15iterator_traitsISE_E10value_typeEPNSK_ISF_E10value_typeEPSG_NS1_7vsmem_tEENKUlT_SE_SF_SG_E_clIS8_S8_S9_S9_EESD_ST_SE_SF_SG_EUlST_E1_NS1_11comp_targetILNS1_3genE0ELNS1_11target_archE4294967295ELNS1_3gpuE0ELNS1_3repE0EEENS1_36merge_oddeven_config_static_selectorELNS0_4arch9wavefront6targetE0EEEvSF_
		.amdhsa_group_segment_fixed_size 0
		.amdhsa_private_segment_fixed_size 0
		.amdhsa_kernarg_size 48
		.amdhsa_user_sgpr_count 2
		.amdhsa_user_sgpr_dispatch_ptr 0
		.amdhsa_user_sgpr_queue_ptr 0
		.amdhsa_user_sgpr_kernarg_segment_ptr 1
		.amdhsa_user_sgpr_dispatch_id 0
		.amdhsa_user_sgpr_kernarg_preload_length 0
		.amdhsa_user_sgpr_kernarg_preload_offset 0
		.amdhsa_user_sgpr_private_segment_size 0
		.amdhsa_wavefront_size32 1
		.amdhsa_uses_dynamic_stack 0
		.amdhsa_enable_private_segment 0
		.amdhsa_system_sgpr_workgroup_id_x 1
		.amdhsa_system_sgpr_workgroup_id_y 0
		.amdhsa_system_sgpr_workgroup_id_z 0
		.amdhsa_system_sgpr_workgroup_info 0
		.amdhsa_system_vgpr_workitem_id 0
		.amdhsa_next_free_vgpr 7
		.amdhsa_next_free_sgpr 16
		.amdhsa_named_barrier_count 0
		.amdhsa_reserve_vcc 1
		.amdhsa_float_round_mode_32 0
		.amdhsa_float_round_mode_16_64 0
		.amdhsa_float_denorm_mode_32 3
		.amdhsa_float_denorm_mode_16_64 3
		.amdhsa_fp16_overflow 0
		.amdhsa_memory_ordered 1
		.amdhsa_forward_progress 1
		.amdhsa_inst_pref_size 5
		.amdhsa_round_robin_scheduling 0
		.amdhsa_exception_fp_ieee_invalid_op 0
		.amdhsa_exception_fp_denorm_src 0
		.amdhsa_exception_fp_ieee_div_zero 0
		.amdhsa_exception_fp_ieee_overflow 0
		.amdhsa_exception_fp_ieee_underflow 0
		.amdhsa_exception_fp_ieee_inexact 0
		.amdhsa_exception_int_div_zero 0
	.end_amdhsa_kernel
	.section	.text._ZN7rocprim17ROCPRIM_400000_NS6detail17trampoline_kernelINS0_14default_configENS1_38merge_sort_block_merge_config_selectorIiNS0_10empty_typeEEEZZNS1_27merge_sort_block_merge_implIS3_PiPS5_jNS1_19radix_merge_compareILb1ELb0EiNS0_19identity_decomposerEEEEE10hipError_tT0_T1_T2_jT3_P12ihipStream_tbPNSt15iterator_traitsISE_E10value_typeEPNSK_ISF_E10value_typeEPSG_NS1_7vsmem_tEENKUlT_SE_SF_SG_E_clIS8_S8_S9_S9_EESD_ST_SE_SF_SG_EUlST_E1_NS1_11comp_targetILNS1_3genE0ELNS1_11target_archE4294967295ELNS1_3gpuE0ELNS1_3repE0EEENS1_36merge_oddeven_config_static_selectorELNS0_4arch9wavefront6targetE0EEEvSF_,"axG",@progbits,_ZN7rocprim17ROCPRIM_400000_NS6detail17trampoline_kernelINS0_14default_configENS1_38merge_sort_block_merge_config_selectorIiNS0_10empty_typeEEEZZNS1_27merge_sort_block_merge_implIS3_PiPS5_jNS1_19radix_merge_compareILb1ELb0EiNS0_19identity_decomposerEEEEE10hipError_tT0_T1_T2_jT3_P12ihipStream_tbPNSt15iterator_traitsISE_E10value_typeEPNSK_ISF_E10value_typeEPSG_NS1_7vsmem_tEENKUlT_SE_SF_SG_E_clIS8_S8_S9_S9_EESD_ST_SE_SF_SG_EUlST_E1_NS1_11comp_targetILNS1_3genE0ELNS1_11target_archE4294967295ELNS1_3gpuE0ELNS1_3repE0EEENS1_36merge_oddeven_config_static_selectorELNS0_4arch9wavefront6targetE0EEEvSF_,comdat
.Lfunc_end783:
	.size	_ZN7rocprim17ROCPRIM_400000_NS6detail17trampoline_kernelINS0_14default_configENS1_38merge_sort_block_merge_config_selectorIiNS0_10empty_typeEEEZZNS1_27merge_sort_block_merge_implIS3_PiPS5_jNS1_19radix_merge_compareILb1ELb0EiNS0_19identity_decomposerEEEEE10hipError_tT0_T1_T2_jT3_P12ihipStream_tbPNSt15iterator_traitsISE_E10value_typeEPNSK_ISF_E10value_typeEPSG_NS1_7vsmem_tEENKUlT_SE_SF_SG_E_clIS8_S8_S9_S9_EESD_ST_SE_SF_SG_EUlST_E1_NS1_11comp_targetILNS1_3genE0ELNS1_11target_archE4294967295ELNS1_3gpuE0ELNS1_3repE0EEENS1_36merge_oddeven_config_static_selectorELNS0_4arch9wavefront6targetE0EEEvSF_, .Lfunc_end783-_ZN7rocprim17ROCPRIM_400000_NS6detail17trampoline_kernelINS0_14default_configENS1_38merge_sort_block_merge_config_selectorIiNS0_10empty_typeEEEZZNS1_27merge_sort_block_merge_implIS3_PiPS5_jNS1_19radix_merge_compareILb1ELb0EiNS0_19identity_decomposerEEEEE10hipError_tT0_T1_T2_jT3_P12ihipStream_tbPNSt15iterator_traitsISE_E10value_typeEPNSK_ISF_E10value_typeEPSG_NS1_7vsmem_tEENKUlT_SE_SF_SG_E_clIS8_S8_S9_S9_EESD_ST_SE_SF_SG_EUlST_E1_NS1_11comp_targetILNS1_3genE0ELNS1_11target_archE4294967295ELNS1_3gpuE0ELNS1_3repE0EEENS1_36merge_oddeven_config_static_selectorELNS0_4arch9wavefront6targetE0EEEvSF_
                                        ; -- End function
	.set _ZN7rocprim17ROCPRIM_400000_NS6detail17trampoline_kernelINS0_14default_configENS1_38merge_sort_block_merge_config_selectorIiNS0_10empty_typeEEEZZNS1_27merge_sort_block_merge_implIS3_PiPS5_jNS1_19radix_merge_compareILb1ELb0EiNS0_19identity_decomposerEEEEE10hipError_tT0_T1_T2_jT3_P12ihipStream_tbPNSt15iterator_traitsISE_E10value_typeEPNSK_ISF_E10value_typeEPSG_NS1_7vsmem_tEENKUlT_SE_SF_SG_E_clIS8_S8_S9_S9_EESD_ST_SE_SF_SG_EUlST_E1_NS1_11comp_targetILNS1_3genE0ELNS1_11target_archE4294967295ELNS1_3gpuE0ELNS1_3repE0EEENS1_36merge_oddeven_config_static_selectorELNS0_4arch9wavefront6targetE0EEEvSF_.num_vgpr, 7
	.set _ZN7rocprim17ROCPRIM_400000_NS6detail17trampoline_kernelINS0_14default_configENS1_38merge_sort_block_merge_config_selectorIiNS0_10empty_typeEEEZZNS1_27merge_sort_block_merge_implIS3_PiPS5_jNS1_19radix_merge_compareILb1ELb0EiNS0_19identity_decomposerEEEEE10hipError_tT0_T1_T2_jT3_P12ihipStream_tbPNSt15iterator_traitsISE_E10value_typeEPNSK_ISF_E10value_typeEPSG_NS1_7vsmem_tEENKUlT_SE_SF_SG_E_clIS8_S8_S9_S9_EESD_ST_SE_SF_SG_EUlST_E1_NS1_11comp_targetILNS1_3genE0ELNS1_11target_archE4294967295ELNS1_3gpuE0ELNS1_3repE0EEENS1_36merge_oddeven_config_static_selectorELNS0_4arch9wavefront6targetE0EEEvSF_.num_agpr, 0
	.set _ZN7rocprim17ROCPRIM_400000_NS6detail17trampoline_kernelINS0_14default_configENS1_38merge_sort_block_merge_config_selectorIiNS0_10empty_typeEEEZZNS1_27merge_sort_block_merge_implIS3_PiPS5_jNS1_19radix_merge_compareILb1ELb0EiNS0_19identity_decomposerEEEEE10hipError_tT0_T1_T2_jT3_P12ihipStream_tbPNSt15iterator_traitsISE_E10value_typeEPNSK_ISF_E10value_typeEPSG_NS1_7vsmem_tEENKUlT_SE_SF_SG_E_clIS8_S8_S9_S9_EESD_ST_SE_SF_SG_EUlST_E1_NS1_11comp_targetILNS1_3genE0ELNS1_11target_archE4294967295ELNS1_3gpuE0ELNS1_3repE0EEENS1_36merge_oddeven_config_static_selectorELNS0_4arch9wavefront6targetE0EEEvSF_.numbered_sgpr, 16
	.set _ZN7rocprim17ROCPRIM_400000_NS6detail17trampoline_kernelINS0_14default_configENS1_38merge_sort_block_merge_config_selectorIiNS0_10empty_typeEEEZZNS1_27merge_sort_block_merge_implIS3_PiPS5_jNS1_19radix_merge_compareILb1ELb0EiNS0_19identity_decomposerEEEEE10hipError_tT0_T1_T2_jT3_P12ihipStream_tbPNSt15iterator_traitsISE_E10value_typeEPNSK_ISF_E10value_typeEPSG_NS1_7vsmem_tEENKUlT_SE_SF_SG_E_clIS8_S8_S9_S9_EESD_ST_SE_SF_SG_EUlST_E1_NS1_11comp_targetILNS1_3genE0ELNS1_11target_archE4294967295ELNS1_3gpuE0ELNS1_3repE0EEENS1_36merge_oddeven_config_static_selectorELNS0_4arch9wavefront6targetE0EEEvSF_.num_named_barrier, 0
	.set _ZN7rocprim17ROCPRIM_400000_NS6detail17trampoline_kernelINS0_14default_configENS1_38merge_sort_block_merge_config_selectorIiNS0_10empty_typeEEEZZNS1_27merge_sort_block_merge_implIS3_PiPS5_jNS1_19radix_merge_compareILb1ELb0EiNS0_19identity_decomposerEEEEE10hipError_tT0_T1_T2_jT3_P12ihipStream_tbPNSt15iterator_traitsISE_E10value_typeEPNSK_ISF_E10value_typeEPSG_NS1_7vsmem_tEENKUlT_SE_SF_SG_E_clIS8_S8_S9_S9_EESD_ST_SE_SF_SG_EUlST_E1_NS1_11comp_targetILNS1_3genE0ELNS1_11target_archE4294967295ELNS1_3gpuE0ELNS1_3repE0EEENS1_36merge_oddeven_config_static_selectorELNS0_4arch9wavefront6targetE0EEEvSF_.private_seg_size, 0
	.set _ZN7rocprim17ROCPRIM_400000_NS6detail17trampoline_kernelINS0_14default_configENS1_38merge_sort_block_merge_config_selectorIiNS0_10empty_typeEEEZZNS1_27merge_sort_block_merge_implIS3_PiPS5_jNS1_19radix_merge_compareILb1ELb0EiNS0_19identity_decomposerEEEEE10hipError_tT0_T1_T2_jT3_P12ihipStream_tbPNSt15iterator_traitsISE_E10value_typeEPNSK_ISF_E10value_typeEPSG_NS1_7vsmem_tEENKUlT_SE_SF_SG_E_clIS8_S8_S9_S9_EESD_ST_SE_SF_SG_EUlST_E1_NS1_11comp_targetILNS1_3genE0ELNS1_11target_archE4294967295ELNS1_3gpuE0ELNS1_3repE0EEENS1_36merge_oddeven_config_static_selectorELNS0_4arch9wavefront6targetE0EEEvSF_.uses_vcc, 1
	.set _ZN7rocprim17ROCPRIM_400000_NS6detail17trampoline_kernelINS0_14default_configENS1_38merge_sort_block_merge_config_selectorIiNS0_10empty_typeEEEZZNS1_27merge_sort_block_merge_implIS3_PiPS5_jNS1_19radix_merge_compareILb1ELb0EiNS0_19identity_decomposerEEEEE10hipError_tT0_T1_T2_jT3_P12ihipStream_tbPNSt15iterator_traitsISE_E10value_typeEPNSK_ISF_E10value_typeEPSG_NS1_7vsmem_tEENKUlT_SE_SF_SG_E_clIS8_S8_S9_S9_EESD_ST_SE_SF_SG_EUlST_E1_NS1_11comp_targetILNS1_3genE0ELNS1_11target_archE4294967295ELNS1_3gpuE0ELNS1_3repE0EEENS1_36merge_oddeven_config_static_selectorELNS0_4arch9wavefront6targetE0EEEvSF_.uses_flat_scratch, 0
	.set _ZN7rocprim17ROCPRIM_400000_NS6detail17trampoline_kernelINS0_14default_configENS1_38merge_sort_block_merge_config_selectorIiNS0_10empty_typeEEEZZNS1_27merge_sort_block_merge_implIS3_PiPS5_jNS1_19radix_merge_compareILb1ELb0EiNS0_19identity_decomposerEEEEE10hipError_tT0_T1_T2_jT3_P12ihipStream_tbPNSt15iterator_traitsISE_E10value_typeEPNSK_ISF_E10value_typeEPSG_NS1_7vsmem_tEENKUlT_SE_SF_SG_E_clIS8_S8_S9_S9_EESD_ST_SE_SF_SG_EUlST_E1_NS1_11comp_targetILNS1_3genE0ELNS1_11target_archE4294967295ELNS1_3gpuE0ELNS1_3repE0EEENS1_36merge_oddeven_config_static_selectorELNS0_4arch9wavefront6targetE0EEEvSF_.has_dyn_sized_stack, 0
	.set _ZN7rocprim17ROCPRIM_400000_NS6detail17trampoline_kernelINS0_14default_configENS1_38merge_sort_block_merge_config_selectorIiNS0_10empty_typeEEEZZNS1_27merge_sort_block_merge_implIS3_PiPS5_jNS1_19radix_merge_compareILb1ELb0EiNS0_19identity_decomposerEEEEE10hipError_tT0_T1_T2_jT3_P12ihipStream_tbPNSt15iterator_traitsISE_E10value_typeEPNSK_ISF_E10value_typeEPSG_NS1_7vsmem_tEENKUlT_SE_SF_SG_E_clIS8_S8_S9_S9_EESD_ST_SE_SF_SG_EUlST_E1_NS1_11comp_targetILNS1_3genE0ELNS1_11target_archE4294967295ELNS1_3gpuE0ELNS1_3repE0EEENS1_36merge_oddeven_config_static_selectorELNS0_4arch9wavefront6targetE0EEEvSF_.has_recursion, 0
	.set _ZN7rocprim17ROCPRIM_400000_NS6detail17trampoline_kernelINS0_14default_configENS1_38merge_sort_block_merge_config_selectorIiNS0_10empty_typeEEEZZNS1_27merge_sort_block_merge_implIS3_PiPS5_jNS1_19radix_merge_compareILb1ELb0EiNS0_19identity_decomposerEEEEE10hipError_tT0_T1_T2_jT3_P12ihipStream_tbPNSt15iterator_traitsISE_E10value_typeEPNSK_ISF_E10value_typeEPSG_NS1_7vsmem_tEENKUlT_SE_SF_SG_E_clIS8_S8_S9_S9_EESD_ST_SE_SF_SG_EUlST_E1_NS1_11comp_targetILNS1_3genE0ELNS1_11target_archE4294967295ELNS1_3gpuE0ELNS1_3repE0EEENS1_36merge_oddeven_config_static_selectorELNS0_4arch9wavefront6targetE0EEEvSF_.has_indirect_call, 0
	.section	.AMDGPU.csdata,"",@progbits
; Kernel info:
; codeLenInByte = 636
; TotalNumSgprs: 18
; NumVgprs: 7
; ScratchSize: 0
; MemoryBound: 0
; FloatMode: 240
; IeeeMode: 1
; LDSByteSize: 0 bytes/workgroup (compile time only)
; SGPRBlocks: 0
; VGPRBlocks: 0
; NumSGPRsForWavesPerEU: 18
; NumVGPRsForWavesPerEU: 7
; NamedBarCnt: 0
; Occupancy: 16
; WaveLimiterHint : 0
; COMPUTE_PGM_RSRC2:SCRATCH_EN: 0
; COMPUTE_PGM_RSRC2:USER_SGPR: 2
; COMPUTE_PGM_RSRC2:TRAP_HANDLER: 0
; COMPUTE_PGM_RSRC2:TGID_X_EN: 1
; COMPUTE_PGM_RSRC2:TGID_Y_EN: 0
; COMPUTE_PGM_RSRC2:TGID_Z_EN: 0
; COMPUTE_PGM_RSRC2:TIDIG_COMP_CNT: 0
	.section	.text._ZN7rocprim17ROCPRIM_400000_NS6detail17trampoline_kernelINS0_14default_configENS1_38merge_sort_block_merge_config_selectorIiNS0_10empty_typeEEEZZNS1_27merge_sort_block_merge_implIS3_PiPS5_jNS1_19radix_merge_compareILb1ELb0EiNS0_19identity_decomposerEEEEE10hipError_tT0_T1_T2_jT3_P12ihipStream_tbPNSt15iterator_traitsISE_E10value_typeEPNSK_ISF_E10value_typeEPSG_NS1_7vsmem_tEENKUlT_SE_SF_SG_E_clIS8_S8_S9_S9_EESD_ST_SE_SF_SG_EUlST_E1_NS1_11comp_targetILNS1_3genE10ELNS1_11target_archE1201ELNS1_3gpuE5ELNS1_3repE0EEENS1_36merge_oddeven_config_static_selectorELNS0_4arch9wavefront6targetE0EEEvSF_,"axG",@progbits,_ZN7rocprim17ROCPRIM_400000_NS6detail17trampoline_kernelINS0_14default_configENS1_38merge_sort_block_merge_config_selectorIiNS0_10empty_typeEEEZZNS1_27merge_sort_block_merge_implIS3_PiPS5_jNS1_19radix_merge_compareILb1ELb0EiNS0_19identity_decomposerEEEEE10hipError_tT0_T1_T2_jT3_P12ihipStream_tbPNSt15iterator_traitsISE_E10value_typeEPNSK_ISF_E10value_typeEPSG_NS1_7vsmem_tEENKUlT_SE_SF_SG_E_clIS8_S8_S9_S9_EESD_ST_SE_SF_SG_EUlST_E1_NS1_11comp_targetILNS1_3genE10ELNS1_11target_archE1201ELNS1_3gpuE5ELNS1_3repE0EEENS1_36merge_oddeven_config_static_selectorELNS0_4arch9wavefront6targetE0EEEvSF_,comdat
	.protected	_ZN7rocprim17ROCPRIM_400000_NS6detail17trampoline_kernelINS0_14default_configENS1_38merge_sort_block_merge_config_selectorIiNS0_10empty_typeEEEZZNS1_27merge_sort_block_merge_implIS3_PiPS5_jNS1_19radix_merge_compareILb1ELb0EiNS0_19identity_decomposerEEEEE10hipError_tT0_T1_T2_jT3_P12ihipStream_tbPNSt15iterator_traitsISE_E10value_typeEPNSK_ISF_E10value_typeEPSG_NS1_7vsmem_tEENKUlT_SE_SF_SG_E_clIS8_S8_S9_S9_EESD_ST_SE_SF_SG_EUlST_E1_NS1_11comp_targetILNS1_3genE10ELNS1_11target_archE1201ELNS1_3gpuE5ELNS1_3repE0EEENS1_36merge_oddeven_config_static_selectorELNS0_4arch9wavefront6targetE0EEEvSF_ ; -- Begin function _ZN7rocprim17ROCPRIM_400000_NS6detail17trampoline_kernelINS0_14default_configENS1_38merge_sort_block_merge_config_selectorIiNS0_10empty_typeEEEZZNS1_27merge_sort_block_merge_implIS3_PiPS5_jNS1_19radix_merge_compareILb1ELb0EiNS0_19identity_decomposerEEEEE10hipError_tT0_T1_T2_jT3_P12ihipStream_tbPNSt15iterator_traitsISE_E10value_typeEPNSK_ISF_E10value_typeEPSG_NS1_7vsmem_tEENKUlT_SE_SF_SG_E_clIS8_S8_S9_S9_EESD_ST_SE_SF_SG_EUlST_E1_NS1_11comp_targetILNS1_3genE10ELNS1_11target_archE1201ELNS1_3gpuE5ELNS1_3repE0EEENS1_36merge_oddeven_config_static_selectorELNS0_4arch9wavefront6targetE0EEEvSF_
	.globl	_ZN7rocprim17ROCPRIM_400000_NS6detail17trampoline_kernelINS0_14default_configENS1_38merge_sort_block_merge_config_selectorIiNS0_10empty_typeEEEZZNS1_27merge_sort_block_merge_implIS3_PiPS5_jNS1_19radix_merge_compareILb1ELb0EiNS0_19identity_decomposerEEEEE10hipError_tT0_T1_T2_jT3_P12ihipStream_tbPNSt15iterator_traitsISE_E10value_typeEPNSK_ISF_E10value_typeEPSG_NS1_7vsmem_tEENKUlT_SE_SF_SG_E_clIS8_S8_S9_S9_EESD_ST_SE_SF_SG_EUlST_E1_NS1_11comp_targetILNS1_3genE10ELNS1_11target_archE1201ELNS1_3gpuE5ELNS1_3repE0EEENS1_36merge_oddeven_config_static_selectorELNS0_4arch9wavefront6targetE0EEEvSF_
	.p2align	8
	.type	_ZN7rocprim17ROCPRIM_400000_NS6detail17trampoline_kernelINS0_14default_configENS1_38merge_sort_block_merge_config_selectorIiNS0_10empty_typeEEEZZNS1_27merge_sort_block_merge_implIS3_PiPS5_jNS1_19radix_merge_compareILb1ELb0EiNS0_19identity_decomposerEEEEE10hipError_tT0_T1_T2_jT3_P12ihipStream_tbPNSt15iterator_traitsISE_E10value_typeEPNSK_ISF_E10value_typeEPSG_NS1_7vsmem_tEENKUlT_SE_SF_SG_E_clIS8_S8_S9_S9_EESD_ST_SE_SF_SG_EUlST_E1_NS1_11comp_targetILNS1_3genE10ELNS1_11target_archE1201ELNS1_3gpuE5ELNS1_3repE0EEENS1_36merge_oddeven_config_static_selectorELNS0_4arch9wavefront6targetE0EEEvSF_,@function
_ZN7rocprim17ROCPRIM_400000_NS6detail17trampoline_kernelINS0_14default_configENS1_38merge_sort_block_merge_config_selectorIiNS0_10empty_typeEEEZZNS1_27merge_sort_block_merge_implIS3_PiPS5_jNS1_19radix_merge_compareILb1ELb0EiNS0_19identity_decomposerEEEEE10hipError_tT0_T1_T2_jT3_P12ihipStream_tbPNSt15iterator_traitsISE_E10value_typeEPNSK_ISF_E10value_typeEPSG_NS1_7vsmem_tEENKUlT_SE_SF_SG_E_clIS8_S8_S9_S9_EESD_ST_SE_SF_SG_EUlST_E1_NS1_11comp_targetILNS1_3genE10ELNS1_11target_archE1201ELNS1_3gpuE5ELNS1_3repE0EEENS1_36merge_oddeven_config_static_selectorELNS0_4arch9wavefront6targetE0EEEvSF_: ; @_ZN7rocprim17ROCPRIM_400000_NS6detail17trampoline_kernelINS0_14default_configENS1_38merge_sort_block_merge_config_selectorIiNS0_10empty_typeEEEZZNS1_27merge_sort_block_merge_implIS3_PiPS5_jNS1_19radix_merge_compareILb1ELb0EiNS0_19identity_decomposerEEEEE10hipError_tT0_T1_T2_jT3_P12ihipStream_tbPNSt15iterator_traitsISE_E10value_typeEPNSK_ISF_E10value_typeEPSG_NS1_7vsmem_tEENKUlT_SE_SF_SG_E_clIS8_S8_S9_S9_EESD_ST_SE_SF_SG_EUlST_E1_NS1_11comp_targetILNS1_3genE10ELNS1_11target_archE1201ELNS1_3gpuE5ELNS1_3repE0EEENS1_36merge_oddeven_config_static_selectorELNS0_4arch9wavefront6targetE0EEEvSF_
; %bb.0:
	.section	.rodata,"a",@progbits
	.p2align	6, 0x0
	.amdhsa_kernel _ZN7rocprim17ROCPRIM_400000_NS6detail17trampoline_kernelINS0_14default_configENS1_38merge_sort_block_merge_config_selectorIiNS0_10empty_typeEEEZZNS1_27merge_sort_block_merge_implIS3_PiPS5_jNS1_19radix_merge_compareILb1ELb0EiNS0_19identity_decomposerEEEEE10hipError_tT0_T1_T2_jT3_P12ihipStream_tbPNSt15iterator_traitsISE_E10value_typeEPNSK_ISF_E10value_typeEPSG_NS1_7vsmem_tEENKUlT_SE_SF_SG_E_clIS8_S8_S9_S9_EESD_ST_SE_SF_SG_EUlST_E1_NS1_11comp_targetILNS1_3genE10ELNS1_11target_archE1201ELNS1_3gpuE5ELNS1_3repE0EEENS1_36merge_oddeven_config_static_selectorELNS0_4arch9wavefront6targetE0EEEvSF_
		.amdhsa_group_segment_fixed_size 0
		.amdhsa_private_segment_fixed_size 0
		.amdhsa_kernarg_size 48
		.amdhsa_user_sgpr_count 2
		.amdhsa_user_sgpr_dispatch_ptr 0
		.amdhsa_user_sgpr_queue_ptr 0
		.amdhsa_user_sgpr_kernarg_segment_ptr 1
		.amdhsa_user_sgpr_dispatch_id 0
		.amdhsa_user_sgpr_kernarg_preload_length 0
		.amdhsa_user_sgpr_kernarg_preload_offset 0
		.amdhsa_user_sgpr_private_segment_size 0
		.amdhsa_wavefront_size32 1
		.amdhsa_uses_dynamic_stack 0
		.amdhsa_enable_private_segment 0
		.amdhsa_system_sgpr_workgroup_id_x 1
		.amdhsa_system_sgpr_workgroup_id_y 0
		.amdhsa_system_sgpr_workgroup_id_z 0
		.amdhsa_system_sgpr_workgroup_info 0
		.amdhsa_system_vgpr_workitem_id 0
		.amdhsa_next_free_vgpr 1
		.amdhsa_next_free_sgpr 1
		.amdhsa_named_barrier_count 0
		.amdhsa_reserve_vcc 0
		.amdhsa_float_round_mode_32 0
		.amdhsa_float_round_mode_16_64 0
		.amdhsa_float_denorm_mode_32 3
		.amdhsa_float_denorm_mode_16_64 3
		.amdhsa_fp16_overflow 0
		.amdhsa_memory_ordered 1
		.amdhsa_forward_progress 1
		.amdhsa_inst_pref_size 0
		.amdhsa_round_robin_scheduling 0
		.amdhsa_exception_fp_ieee_invalid_op 0
		.amdhsa_exception_fp_denorm_src 0
		.amdhsa_exception_fp_ieee_div_zero 0
		.amdhsa_exception_fp_ieee_overflow 0
		.amdhsa_exception_fp_ieee_underflow 0
		.amdhsa_exception_fp_ieee_inexact 0
		.amdhsa_exception_int_div_zero 0
	.end_amdhsa_kernel
	.section	.text._ZN7rocprim17ROCPRIM_400000_NS6detail17trampoline_kernelINS0_14default_configENS1_38merge_sort_block_merge_config_selectorIiNS0_10empty_typeEEEZZNS1_27merge_sort_block_merge_implIS3_PiPS5_jNS1_19radix_merge_compareILb1ELb0EiNS0_19identity_decomposerEEEEE10hipError_tT0_T1_T2_jT3_P12ihipStream_tbPNSt15iterator_traitsISE_E10value_typeEPNSK_ISF_E10value_typeEPSG_NS1_7vsmem_tEENKUlT_SE_SF_SG_E_clIS8_S8_S9_S9_EESD_ST_SE_SF_SG_EUlST_E1_NS1_11comp_targetILNS1_3genE10ELNS1_11target_archE1201ELNS1_3gpuE5ELNS1_3repE0EEENS1_36merge_oddeven_config_static_selectorELNS0_4arch9wavefront6targetE0EEEvSF_,"axG",@progbits,_ZN7rocprim17ROCPRIM_400000_NS6detail17trampoline_kernelINS0_14default_configENS1_38merge_sort_block_merge_config_selectorIiNS0_10empty_typeEEEZZNS1_27merge_sort_block_merge_implIS3_PiPS5_jNS1_19radix_merge_compareILb1ELb0EiNS0_19identity_decomposerEEEEE10hipError_tT0_T1_T2_jT3_P12ihipStream_tbPNSt15iterator_traitsISE_E10value_typeEPNSK_ISF_E10value_typeEPSG_NS1_7vsmem_tEENKUlT_SE_SF_SG_E_clIS8_S8_S9_S9_EESD_ST_SE_SF_SG_EUlST_E1_NS1_11comp_targetILNS1_3genE10ELNS1_11target_archE1201ELNS1_3gpuE5ELNS1_3repE0EEENS1_36merge_oddeven_config_static_selectorELNS0_4arch9wavefront6targetE0EEEvSF_,comdat
.Lfunc_end784:
	.size	_ZN7rocprim17ROCPRIM_400000_NS6detail17trampoline_kernelINS0_14default_configENS1_38merge_sort_block_merge_config_selectorIiNS0_10empty_typeEEEZZNS1_27merge_sort_block_merge_implIS3_PiPS5_jNS1_19radix_merge_compareILb1ELb0EiNS0_19identity_decomposerEEEEE10hipError_tT0_T1_T2_jT3_P12ihipStream_tbPNSt15iterator_traitsISE_E10value_typeEPNSK_ISF_E10value_typeEPSG_NS1_7vsmem_tEENKUlT_SE_SF_SG_E_clIS8_S8_S9_S9_EESD_ST_SE_SF_SG_EUlST_E1_NS1_11comp_targetILNS1_3genE10ELNS1_11target_archE1201ELNS1_3gpuE5ELNS1_3repE0EEENS1_36merge_oddeven_config_static_selectorELNS0_4arch9wavefront6targetE0EEEvSF_, .Lfunc_end784-_ZN7rocprim17ROCPRIM_400000_NS6detail17trampoline_kernelINS0_14default_configENS1_38merge_sort_block_merge_config_selectorIiNS0_10empty_typeEEEZZNS1_27merge_sort_block_merge_implIS3_PiPS5_jNS1_19radix_merge_compareILb1ELb0EiNS0_19identity_decomposerEEEEE10hipError_tT0_T1_T2_jT3_P12ihipStream_tbPNSt15iterator_traitsISE_E10value_typeEPNSK_ISF_E10value_typeEPSG_NS1_7vsmem_tEENKUlT_SE_SF_SG_E_clIS8_S8_S9_S9_EESD_ST_SE_SF_SG_EUlST_E1_NS1_11comp_targetILNS1_3genE10ELNS1_11target_archE1201ELNS1_3gpuE5ELNS1_3repE0EEENS1_36merge_oddeven_config_static_selectorELNS0_4arch9wavefront6targetE0EEEvSF_
                                        ; -- End function
	.set _ZN7rocprim17ROCPRIM_400000_NS6detail17trampoline_kernelINS0_14default_configENS1_38merge_sort_block_merge_config_selectorIiNS0_10empty_typeEEEZZNS1_27merge_sort_block_merge_implIS3_PiPS5_jNS1_19radix_merge_compareILb1ELb0EiNS0_19identity_decomposerEEEEE10hipError_tT0_T1_T2_jT3_P12ihipStream_tbPNSt15iterator_traitsISE_E10value_typeEPNSK_ISF_E10value_typeEPSG_NS1_7vsmem_tEENKUlT_SE_SF_SG_E_clIS8_S8_S9_S9_EESD_ST_SE_SF_SG_EUlST_E1_NS1_11comp_targetILNS1_3genE10ELNS1_11target_archE1201ELNS1_3gpuE5ELNS1_3repE0EEENS1_36merge_oddeven_config_static_selectorELNS0_4arch9wavefront6targetE0EEEvSF_.num_vgpr, 0
	.set _ZN7rocprim17ROCPRIM_400000_NS6detail17trampoline_kernelINS0_14default_configENS1_38merge_sort_block_merge_config_selectorIiNS0_10empty_typeEEEZZNS1_27merge_sort_block_merge_implIS3_PiPS5_jNS1_19radix_merge_compareILb1ELb0EiNS0_19identity_decomposerEEEEE10hipError_tT0_T1_T2_jT3_P12ihipStream_tbPNSt15iterator_traitsISE_E10value_typeEPNSK_ISF_E10value_typeEPSG_NS1_7vsmem_tEENKUlT_SE_SF_SG_E_clIS8_S8_S9_S9_EESD_ST_SE_SF_SG_EUlST_E1_NS1_11comp_targetILNS1_3genE10ELNS1_11target_archE1201ELNS1_3gpuE5ELNS1_3repE0EEENS1_36merge_oddeven_config_static_selectorELNS0_4arch9wavefront6targetE0EEEvSF_.num_agpr, 0
	.set _ZN7rocprim17ROCPRIM_400000_NS6detail17trampoline_kernelINS0_14default_configENS1_38merge_sort_block_merge_config_selectorIiNS0_10empty_typeEEEZZNS1_27merge_sort_block_merge_implIS3_PiPS5_jNS1_19radix_merge_compareILb1ELb0EiNS0_19identity_decomposerEEEEE10hipError_tT0_T1_T2_jT3_P12ihipStream_tbPNSt15iterator_traitsISE_E10value_typeEPNSK_ISF_E10value_typeEPSG_NS1_7vsmem_tEENKUlT_SE_SF_SG_E_clIS8_S8_S9_S9_EESD_ST_SE_SF_SG_EUlST_E1_NS1_11comp_targetILNS1_3genE10ELNS1_11target_archE1201ELNS1_3gpuE5ELNS1_3repE0EEENS1_36merge_oddeven_config_static_selectorELNS0_4arch9wavefront6targetE0EEEvSF_.numbered_sgpr, 0
	.set _ZN7rocprim17ROCPRIM_400000_NS6detail17trampoline_kernelINS0_14default_configENS1_38merge_sort_block_merge_config_selectorIiNS0_10empty_typeEEEZZNS1_27merge_sort_block_merge_implIS3_PiPS5_jNS1_19radix_merge_compareILb1ELb0EiNS0_19identity_decomposerEEEEE10hipError_tT0_T1_T2_jT3_P12ihipStream_tbPNSt15iterator_traitsISE_E10value_typeEPNSK_ISF_E10value_typeEPSG_NS1_7vsmem_tEENKUlT_SE_SF_SG_E_clIS8_S8_S9_S9_EESD_ST_SE_SF_SG_EUlST_E1_NS1_11comp_targetILNS1_3genE10ELNS1_11target_archE1201ELNS1_3gpuE5ELNS1_3repE0EEENS1_36merge_oddeven_config_static_selectorELNS0_4arch9wavefront6targetE0EEEvSF_.num_named_barrier, 0
	.set _ZN7rocprim17ROCPRIM_400000_NS6detail17trampoline_kernelINS0_14default_configENS1_38merge_sort_block_merge_config_selectorIiNS0_10empty_typeEEEZZNS1_27merge_sort_block_merge_implIS3_PiPS5_jNS1_19radix_merge_compareILb1ELb0EiNS0_19identity_decomposerEEEEE10hipError_tT0_T1_T2_jT3_P12ihipStream_tbPNSt15iterator_traitsISE_E10value_typeEPNSK_ISF_E10value_typeEPSG_NS1_7vsmem_tEENKUlT_SE_SF_SG_E_clIS8_S8_S9_S9_EESD_ST_SE_SF_SG_EUlST_E1_NS1_11comp_targetILNS1_3genE10ELNS1_11target_archE1201ELNS1_3gpuE5ELNS1_3repE0EEENS1_36merge_oddeven_config_static_selectorELNS0_4arch9wavefront6targetE0EEEvSF_.private_seg_size, 0
	.set _ZN7rocprim17ROCPRIM_400000_NS6detail17trampoline_kernelINS0_14default_configENS1_38merge_sort_block_merge_config_selectorIiNS0_10empty_typeEEEZZNS1_27merge_sort_block_merge_implIS3_PiPS5_jNS1_19radix_merge_compareILb1ELb0EiNS0_19identity_decomposerEEEEE10hipError_tT0_T1_T2_jT3_P12ihipStream_tbPNSt15iterator_traitsISE_E10value_typeEPNSK_ISF_E10value_typeEPSG_NS1_7vsmem_tEENKUlT_SE_SF_SG_E_clIS8_S8_S9_S9_EESD_ST_SE_SF_SG_EUlST_E1_NS1_11comp_targetILNS1_3genE10ELNS1_11target_archE1201ELNS1_3gpuE5ELNS1_3repE0EEENS1_36merge_oddeven_config_static_selectorELNS0_4arch9wavefront6targetE0EEEvSF_.uses_vcc, 0
	.set _ZN7rocprim17ROCPRIM_400000_NS6detail17trampoline_kernelINS0_14default_configENS1_38merge_sort_block_merge_config_selectorIiNS0_10empty_typeEEEZZNS1_27merge_sort_block_merge_implIS3_PiPS5_jNS1_19radix_merge_compareILb1ELb0EiNS0_19identity_decomposerEEEEE10hipError_tT0_T1_T2_jT3_P12ihipStream_tbPNSt15iterator_traitsISE_E10value_typeEPNSK_ISF_E10value_typeEPSG_NS1_7vsmem_tEENKUlT_SE_SF_SG_E_clIS8_S8_S9_S9_EESD_ST_SE_SF_SG_EUlST_E1_NS1_11comp_targetILNS1_3genE10ELNS1_11target_archE1201ELNS1_3gpuE5ELNS1_3repE0EEENS1_36merge_oddeven_config_static_selectorELNS0_4arch9wavefront6targetE0EEEvSF_.uses_flat_scratch, 0
	.set _ZN7rocprim17ROCPRIM_400000_NS6detail17trampoline_kernelINS0_14default_configENS1_38merge_sort_block_merge_config_selectorIiNS0_10empty_typeEEEZZNS1_27merge_sort_block_merge_implIS3_PiPS5_jNS1_19radix_merge_compareILb1ELb0EiNS0_19identity_decomposerEEEEE10hipError_tT0_T1_T2_jT3_P12ihipStream_tbPNSt15iterator_traitsISE_E10value_typeEPNSK_ISF_E10value_typeEPSG_NS1_7vsmem_tEENKUlT_SE_SF_SG_E_clIS8_S8_S9_S9_EESD_ST_SE_SF_SG_EUlST_E1_NS1_11comp_targetILNS1_3genE10ELNS1_11target_archE1201ELNS1_3gpuE5ELNS1_3repE0EEENS1_36merge_oddeven_config_static_selectorELNS0_4arch9wavefront6targetE0EEEvSF_.has_dyn_sized_stack, 0
	.set _ZN7rocprim17ROCPRIM_400000_NS6detail17trampoline_kernelINS0_14default_configENS1_38merge_sort_block_merge_config_selectorIiNS0_10empty_typeEEEZZNS1_27merge_sort_block_merge_implIS3_PiPS5_jNS1_19radix_merge_compareILb1ELb0EiNS0_19identity_decomposerEEEEE10hipError_tT0_T1_T2_jT3_P12ihipStream_tbPNSt15iterator_traitsISE_E10value_typeEPNSK_ISF_E10value_typeEPSG_NS1_7vsmem_tEENKUlT_SE_SF_SG_E_clIS8_S8_S9_S9_EESD_ST_SE_SF_SG_EUlST_E1_NS1_11comp_targetILNS1_3genE10ELNS1_11target_archE1201ELNS1_3gpuE5ELNS1_3repE0EEENS1_36merge_oddeven_config_static_selectorELNS0_4arch9wavefront6targetE0EEEvSF_.has_recursion, 0
	.set _ZN7rocprim17ROCPRIM_400000_NS6detail17trampoline_kernelINS0_14default_configENS1_38merge_sort_block_merge_config_selectorIiNS0_10empty_typeEEEZZNS1_27merge_sort_block_merge_implIS3_PiPS5_jNS1_19radix_merge_compareILb1ELb0EiNS0_19identity_decomposerEEEEE10hipError_tT0_T1_T2_jT3_P12ihipStream_tbPNSt15iterator_traitsISE_E10value_typeEPNSK_ISF_E10value_typeEPSG_NS1_7vsmem_tEENKUlT_SE_SF_SG_E_clIS8_S8_S9_S9_EESD_ST_SE_SF_SG_EUlST_E1_NS1_11comp_targetILNS1_3genE10ELNS1_11target_archE1201ELNS1_3gpuE5ELNS1_3repE0EEENS1_36merge_oddeven_config_static_selectorELNS0_4arch9wavefront6targetE0EEEvSF_.has_indirect_call, 0
	.section	.AMDGPU.csdata,"",@progbits
; Kernel info:
; codeLenInByte = 0
; TotalNumSgprs: 0
; NumVgprs: 0
; ScratchSize: 0
; MemoryBound: 0
; FloatMode: 240
; IeeeMode: 1
; LDSByteSize: 0 bytes/workgroup (compile time only)
; SGPRBlocks: 0
; VGPRBlocks: 0
; NumSGPRsForWavesPerEU: 1
; NumVGPRsForWavesPerEU: 1
; NamedBarCnt: 0
; Occupancy: 16
; WaveLimiterHint : 0
; COMPUTE_PGM_RSRC2:SCRATCH_EN: 0
; COMPUTE_PGM_RSRC2:USER_SGPR: 2
; COMPUTE_PGM_RSRC2:TRAP_HANDLER: 0
; COMPUTE_PGM_RSRC2:TGID_X_EN: 1
; COMPUTE_PGM_RSRC2:TGID_Y_EN: 0
; COMPUTE_PGM_RSRC2:TGID_Z_EN: 0
; COMPUTE_PGM_RSRC2:TIDIG_COMP_CNT: 0
	.section	.text._ZN7rocprim17ROCPRIM_400000_NS6detail17trampoline_kernelINS0_14default_configENS1_38merge_sort_block_merge_config_selectorIiNS0_10empty_typeEEEZZNS1_27merge_sort_block_merge_implIS3_PiPS5_jNS1_19radix_merge_compareILb1ELb0EiNS0_19identity_decomposerEEEEE10hipError_tT0_T1_T2_jT3_P12ihipStream_tbPNSt15iterator_traitsISE_E10value_typeEPNSK_ISF_E10value_typeEPSG_NS1_7vsmem_tEENKUlT_SE_SF_SG_E_clIS8_S8_S9_S9_EESD_ST_SE_SF_SG_EUlST_E1_NS1_11comp_targetILNS1_3genE5ELNS1_11target_archE942ELNS1_3gpuE9ELNS1_3repE0EEENS1_36merge_oddeven_config_static_selectorELNS0_4arch9wavefront6targetE0EEEvSF_,"axG",@progbits,_ZN7rocprim17ROCPRIM_400000_NS6detail17trampoline_kernelINS0_14default_configENS1_38merge_sort_block_merge_config_selectorIiNS0_10empty_typeEEEZZNS1_27merge_sort_block_merge_implIS3_PiPS5_jNS1_19radix_merge_compareILb1ELb0EiNS0_19identity_decomposerEEEEE10hipError_tT0_T1_T2_jT3_P12ihipStream_tbPNSt15iterator_traitsISE_E10value_typeEPNSK_ISF_E10value_typeEPSG_NS1_7vsmem_tEENKUlT_SE_SF_SG_E_clIS8_S8_S9_S9_EESD_ST_SE_SF_SG_EUlST_E1_NS1_11comp_targetILNS1_3genE5ELNS1_11target_archE942ELNS1_3gpuE9ELNS1_3repE0EEENS1_36merge_oddeven_config_static_selectorELNS0_4arch9wavefront6targetE0EEEvSF_,comdat
	.protected	_ZN7rocprim17ROCPRIM_400000_NS6detail17trampoline_kernelINS0_14default_configENS1_38merge_sort_block_merge_config_selectorIiNS0_10empty_typeEEEZZNS1_27merge_sort_block_merge_implIS3_PiPS5_jNS1_19radix_merge_compareILb1ELb0EiNS0_19identity_decomposerEEEEE10hipError_tT0_T1_T2_jT3_P12ihipStream_tbPNSt15iterator_traitsISE_E10value_typeEPNSK_ISF_E10value_typeEPSG_NS1_7vsmem_tEENKUlT_SE_SF_SG_E_clIS8_S8_S9_S9_EESD_ST_SE_SF_SG_EUlST_E1_NS1_11comp_targetILNS1_3genE5ELNS1_11target_archE942ELNS1_3gpuE9ELNS1_3repE0EEENS1_36merge_oddeven_config_static_selectorELNS0_4arch9wavefront6targetE0EEEvSF_ ; -- Begin function _ZN7rocprim17ROCPRIM_400000_NS6detail17trampoline_kernelINS0_14default_configENS1_38merge_sort_block_merge_config_selectorIiNS0_10empty_typeEEEZZNS1_27merge_sort_block_merge_implIS3_PiPS5_jNS1_19radix_merge_compareILb1ELb0EiNS0_19identity_decomposerEEEEE10hipError_tT0_T1_T2_jT3_P12ihipStream_tbPNSt15iterator_traitsISE_E10value_typeEPNSK_ISF_E10value_typeEPSG_NS1_7vsmem_tEENKUlT_SE_SF_SG_E_clIS8_S8_S9_S9_EESD_ST_SE_SF_SG_EUlST_E1_NS1_11comp_targetILNS1_3genE5ELNS1_11target_archE942ELNS1_3gpuE9ELNS1_3repE0EEENS1_36merge_oddeven_config_static_selectorELNS0_4arch9wavefront6targetE0EEEvSF_
	.globl	_ZN7rocprim17ROCPRIM_400000_NS6detail17trampoline_kernelINS0_14default_configENS1_38merge_sort_block_merge_config_selectorIiNS0_10empty_typeEEEZZNS1_27merge_sort_block_merge_implIS3_PiPS5_jNS1_19radix_merge_compareILb1ELb0EiNS0_19identity_decomposerEEEEE10hipError_tT0_T1_T2_jT3_P12ihipStream_tbPNSt15iterator_traitsISE_E10value_typeEPNSK_ISF_E10value_typeEPSG_NS1_7vsmem_tEENKUlT_SE_SF_SG_E_clIS8_S8_S9_S9_EESD_ST_SE_SF_SG_EUlST_E1_NS1_11comp_targetILNS1_3genE5ELNS1_11target_archE942ELNS1_3gpuE9ELNS1_3repE0EEENS1_36merge_oddeven_config_static_selectorELNS0_4arch9wavefront6targetE0EEEvSF_
	.p2align	8
	.type	_ZN7rocprim17ROCPRIM_400000_NS6detail17trampoline_kernelINS0_14default_configENS1_38merge_sort_block_merge_config_selectorIiNS0_10empty_typeEEEZZNS1_27merge_sort_block_merge_implIS3_PiPS5_jNS1_19radix_merge_compareILb1ELb0EiNS0_19identity_decomposerEEEEE10hipError_tT0_T1_T2_jT3_P12ihipStream_tbPNSt15iterator_traitsISE_E10value_typeEPNSK_ISF_E10value_typeEPSG_NS1_7vsmem_tEENKUlT_SE_SF_SG_E_clIS8_S8_S9_S9_EESD_ST_SE_SF_SG_EUlST_E1_NS1_11comp_targetILNS1_3genE5ELNS1_11target_archE942ELNS1_3gpuE9ELNS1_3repE0EEENS1_36merge_oddeven_config_static_selectorELNS0_4arch9wavefront6targetE0EEEvSF_,@function
_ZN7rocprim17ROCPRIM_400000_NS6detail17trampoline_kernelINS0_14default_configENS1_38merge_sort_block_merge_config_selectorIiNS0_10empty_typeEEEZZNS1_27merge_sort_block_merge_implIS3_PiPS5_jNS1_19radix_merge_compareILb1ELb0EiNS0_19identity_decomposerEEEEE10hipError_tT0_T1_T2_jT3_P12ihipStream_tbPNSt15iterator_traitsISE_E10value_typeEPNSK_ISF_E10value_typeEPSG_NS1_7vsmem_tEENKUlT_SE_SF_SG_E_clIS8_S8_S9_S9_EESD_ST_SE_SF_SG_EUlST_E1_NS1_11comp_targetILNS1_3genE5ELNS1_11target_archE942ELNS1_3gpuE9ELNS1_3repE0EEENS1_36merge_oddeven_config_static_selectorELNS0_4arch9wavefront6targetE0EEEvSF_: ; @_ZN7rocprim17ROCPRIM_400000_NS6detail17trampoline_kernelINS0_14default_configENS1_38merge_sort_block_merge_config_selectorIiNS0_10empty_typeEEEZZNS1_27merge_sort_block_merge_implIS3_PiPS5_jNS1_19radix_merge_compareILb1ELb0EiNS0_19identity_decomposerEEEEE10hipError_tT0_T1_T2_jT3_P12ihipStream_tbPNSt15iterator_traitsISE_E10value_typeEPNSK_ISF_E10value_typeEPSG_NS1_7vsmem_tEENKUlT_SE_SF_SG_E_clIS8_S8_S9_S9_EESD_ST_SE_SF_SG_EUlST_E1_NS1_11comp_targetILNS1_3genE5ELNS1_11target_archE942ELNS1_3gpuE9ELNS1_3repE0EEENS1_36merge_oddeven_config_static_selectorELNS0_4arch9wavefront6targetE0EEEvSF_
; %bb.0:
	.section	.rodata,"a",@progbits
	.p2align	6, 0x0
	.amdhsa_kernel _ZN7rocprim17ROCPRIM_400000_NS6detail17trampoline_kernelINS0_14default_configENS1_38merge_sort_block_merge_config_selectorIiNS0_10empty_typeEEEZZNS1_27merge_sort_block_merge_implIS3_PiPS5_jNS1_19radix_merge_compareILb1ELb0EiNS0_19identity_decomposerEEEEE10hipError_tT0_T1_T2_jT3_P12ihipStream_tbPNSt15iterator_traitsISE_E10value_typeEPNSK_ISF_E10value_typeEPSG_NS1_7vsmem_tEENKUlT_SE_SF_SG_E_clIS8_S8_S9_S9_EESD_ST_SE_SF_SG_EUlST_E1_NS1_11comp_targetILNS1_3genE5ELNS1_11target_archE942ELNS1_3gpuE9ELNS1_3repE0EEENS1_36merge_oddeven_config_static_selectorELNS0_4arch9wavefront6targetE0EEEvSF_
		.amdhsa_group_segment_fixed_size 0
		.amdhsa_private_segment_fixed_size 0
		.amdhsa_kernarg_size 48
		.amdhsa_user_sgpr_count 2
		.amdhsa_user_sgpr_dispatch_ptr 0
		.amdhsa_user_sgpr_queue_ptr 0
		.amdhsa_user_sgpr_kernarg_segment_ptr 1
		.amdhsa_user_sgpr_dispatch_id 0
		.amdhsa_user_sgpr_kernarg_preload_length 0
		.amdhsa_user_sgpr_kernarg_preload_offset 0
		.amdhsa_user_sgpr_private_segment_size 0
		.amdhsa_wavefront_size32 1
		.amdhsa_uses_dynamic_stack 0
		.amdhsa_enable_private_segment 0
		.amdhsa_system_sgpr_workgroup_id_x 1
		.amdhsa_system_sgpr_workgroup_id_y 0
		.amdhsa_system_sgpr_workgroup_id_z 0
		.amdhsa_system_sgpr_workgroup_info 0
		.amdhsa_system_vgpr_workitem_id 0
		.amdhsa_next_free_vgpr 1
		.amdhsa_next_free_sgpr 1
		.amdhsa_named_barrier_count 0
		.amdhsa_reserve_vcc 0
		.amdhsa_float_round_mode_32 0
		.amdhsa_float_round_mode_16_64 0
		.amdhsa_float_denorm_mode_32 3
		.amdhsa_float_denorm_mode_16_64 3
		.amdhsa_fp16_overflow 0
		.amdhsa_memory_ordered 1
		.amdhsa_forward_progress 1
		.amdhsa_inst_pref_size 0
		.amdhsa_round_robin_scheduling 0
		.amdhsa_exception_fp_ieee_invalid_op 0
		.amdhsa_exception_fp_denorm_src 0
		.amdhsa_exception_fp_ieee_div_zero 0
		.amdhsa_exception_fp_ieee_overflow 0
		.amdhsa_exception_fp_ieee_underflow 0
		.amdhsa_exception_fp_ieee_inexact 0
		.amdhsa_exception_int_div_zero 0
	.end_amdhsa_kernel
	.section	.text._ZN7rocprim17ROCPRIM_400000_NS6detail17trampoline_kernelINS0_14default_configENS1_38merge_sort_block_merge_config_selectorIiNS0_10empty_typeEEEZZNS1_27merge_sort_block_merge_implIS3_PiPS5_jNS1_19radix_merge_compareILb1ELb0EiNS0_19identity_decomposerEEEEE10hipError_tT0_T1_T2_jT3_P12ihipStream_tbPNSt15iterator_traitsISE_E10value_typeEPNSK_ISF_E10value_typeEPSG_NS1_7vsmem_tEENKUlT_SE_SF_SG_E_clIS8_S8_S9_S9_EESD_ST_SE_SF_SG_EUlST_E1_NS1_11comp_targetILNS1_3genE5ELNS1_11target_archE942ELNS1_3gpuE9ELNS1_3repE0EEENS1_36merge_oddeven_config_static_selectorELNS0_4arch9wavefront6targetE0EEEvSF_,"axG",@progbits,_ZN7rocprim17ROCPRIM_400000_NS6detail17trampoline_kernelINS0_14default_configENS1_38merge_sort_block_merge_config_selectorIiNS0_10empty_typeEEEZZNS1_27merge_sort_block_merge_implIS3_PiPS5_jNS1_19radix_merge_compareILb1ELb0EiNS0_19identity_decomposerEEEEE10hipError_tT0_T1_T2_jT3_P12ihipStream_tbPNSt15iterator_traitsISE_E10value_typeEPNSK_ISF_E10value_typeEPSG_NS1_7vsmem_tEENKUlT_SE_SF_SG_E_clIS8_S8_S9_S9_EESD_ST_SE_SF_SG_EUlST_E1_NS1_11comp_targetILNS1_3genE5ELNS1_11target_archE942ELNS1_3gpuE9ELNS1_3repE0EEENS1_36merge_oddeven_config_static_selectorELNS0_4arch9wavefront6targetE0EEEvSF_,comdat
.Lfunc_end785:
	.size	_ZN7rocprim17ROCPRIM_400000_NS6detail17trampoline_kernelINS0_14default_configENS1_38merge_sort_block_merge_config_selectorIiNS0_10empty_typeEEEZZNS1_27merge_sort_block_merge_implIS3_PiPS5_jNS1_19radix_merge_compareILb1ELb0EiNS0_19identity_decomposerEEEEE10hipError_tT0_T1_T2_jT3_P12ihipStream_tbPNSt15iterator_traitsISE_E10value_typeEPNSK_ISF_E10value_typeEPSG_NS1_7vsmem_tEENKUlT_SE_SF_SG_E_clIS8_S8_S9_S9_EESD_ST_SE_SF_SG_EUlST_E1_NS1_11comp_targetILNS1_3genE5ELNS1_11target_archE942ELNS1_3gpuE9ELNS1_3repE0EEENS1_36merge_oddeven_config_static_selectorELNS0_4arch9wavefront6targetE0EEEvSF_, .Lfunc_end785-_ZN7rocprim17ROCPRIM_400000_NS6detail17trampoline_kernelINS0_14default_configENS1_38merge_sort_block_merge_config_selectorIiNS0_10empty_typeEEEZZNS1_27merge_sort_block_merge_implIS3_PiPS5_jNS1_19radix_merge_compareILb1ELb0EiNS0_19identity_decomposerEEEEE10hipError_tT0_T1_T2_jT3_P12ihipStream_tbPNSt15iterator_traitsISE_E10value_typeEPNSK_ISF_E10value_typeEPSG_NS1_7vsmem_tEENKUlT_SE_SF_SG_E_clIS8_S8_S9_S9_EESD_ST_SE_SF_SG_EUlST_E1_NS1_11comp_targetILNS1_3genE5ELNS1_11target_archE942ELNS1_3gpuE9ELNS1_3repE0EEENS1_36merge_oddeven_config_static_selectorELNS0_4arch9wavefront6targetE0EEEvSF_
                                        ; -- End function
	.set _ZN7rocprim17ROCPRIM_400000_NS6detail17trampoline_kernelINS0_14default_configENS1_38merge_sort_block_merge_config_selectorIiNS0_10empty_typeEEEZZNS1_27merge_sort_block_merge_implIS3_PiPS5_jNS1_19radix_merge_compareILb1ELb0EiNS0_19identity_decomposerEEEEE10hipError_tT0_T1_T2_jT3_P12ihipStream_tbPNSt15iterator_traitsISE_E10value_typeEPNSK_ISF_E10value_typeEPSG_NS1_7vsmem_tEENKUlT_SE_SF_SG_E_clIS8_S8_S9_S9_EESD_ST_SE_SF_SG_EUlST_E1_NS1_11comp_targetILNS1_3genE5ELNS1_11target_archE942ELNS1_3gpuE9ELNS1_3repE0EEENS1_36merge_oddeven_config_static_selectorELNS0_4arch9wavefront6targetE0EEEvSF_.num_vgpr, 0
	.set _ZN7rocprim17ROCPRIM_400000_NS6detail17trampoline_kernelINS0_14default_configENS1_38merge_sort_block_merge_config_selectorIiNS0_10empty_typeEEEZZNS1_27merge_sort_block_merge_implIS3_PiPS5_jNS1_19radix_merge_compareILb1ELb0EiNS0_19identity_decomposerEEEEE10hipError_tT0_T1_T2_jT3_P12ihipStream_tbPNSt15iterator_traitsISE_E10value_typeEPNSK_ISF_E10value_typeEPSG_NS1_7vsmem_tEENKUlT_SE_SF_SG_E_clIS8_S8_S9_S9_EESD_ST_SE_SF_SG_EUlST_E1_NS1_11comp_targetILNS1_3genE5ELNS1_11target_archE942ELNS1_3gpuE9ELNS1_3repE0EEENS1_36merge_oddeven_config_static_selectorELNS0_4arch9wavefront6targetE0EEEvSF_.num_agpr, 0
	.set _ZN7rocprim17ROCPRIM_400000_NS6detail17trampoline_kernelINS0_14default_configENS1_38merge_sort_block_merge_config_selectorIiNS0_10empty_typeEEEZZNS1_27merge_sort_block_merge_implIS3_PiPS5_jNS1_19radix_merge_compareILb1ELb0EiNS0_19identity_decomposerEEEEE10hipError_tT0_T1_T2_jT3_P12ihipStream_tbPNSt15iterator_traitsISE_E10value_typeEPNSK_ISF_E10value_typeEPSG_NS1_7vsmem_tEENKUlT_SE_SF_SG_E_clIS8_S8_S9_S9_EESD_ST_SE_SF_SG_EUlST_E1_NS1_11comp_targetILNS1_3genE5ELNS1_11target_archE942ELNS1_3gpuE9ELNS1_3repE0EEENS1_36merge_oddeven_config_static_selectorELNS0_4arch9wavefront6targetE0EEEvSF_.numbered_sgpr, 0
	.set _ZN7rocprim17ROCPRIM_400000_NS6detail17trampoline_kernelINS0_14default_configENS1_38merge_sort_block_merge_config_selectorIiNS0_10empty_typeEEEZZNS1_27merge_sort_block_merge_implIS3_PiPS5_jNS1_19radix_merge_compareILb1ELb0EiNS0_19identity_decomposerEEEEE10hipError_tT0_T1_T2_jT3_P12ihipStream_tbPNSt15iterator_traitsISE_E10value_typeEPNSK_ISF_E10value_typeEPSG_NS1_7vsmem_tEENKUlT_SE_SF_SG_E_clIS8_S8_S9_S9_EESD_ST_SE_SF_SG_EUlST_E1_NS1_11comp_targetILNS1_3genE5ELNS1_11target_archE942ELNS1_3gpuE9ELNS1_3repE0EEENS1_36merge_oddeven_config_static_selectorELNS0_4arch9wavefront6targetE0EEEvSF_.num_named_barrier, 0
	.set _ZN7rocprim17ROCPRIM_400000_NS6detail17trampoline_kernelINS0_14default_configENS1_38merge_sort_block_merge_config_selectorIiNS0_10empty_typeEEEZZNS1_27merge_sort_block_merge_implIS3_PiPS5_jNS1_19radix_merge_compareILb1ELb0EiNS0_19identity_decomposerEEEEE10hipError_tT0_T1_T2_jT3_P12ihipStream_tbPNSt15iterator_traitsISE_E10value_typeEPNSK_ISF_E10value_typeEPSG_NS1_7vsmem_tEENKUlT_SE_SF_SG_E_clIS8_S8_S9_S9_EESD_ST_SE_SF_SG_EUlST_E1_NS1_11comp_targetILNS1_3genE5ELNS1_11target_archE942ELNS1_3gpuE9ELNS1_3repE0EEENS1_36merge_oddeven_config_static_selectorELNS0_4arch9wavefront6targetE0EEEvSF_.private_seg_size, 0
	.set _ZN7rocprim17ROCPRIM_400000_NS6detail17trampoline_kernelINS0_14default_configENS1_38merge_sort_block_merge_config_selectorIiNS0_10empty_typeEEEZZNS1_27merge_sort_block_merge_implIS3_PiPS5_jNS1_19radix_merge_compareILb1ELb0EiNS0_19identity_decomposerEEEEE10hipError_tT0_T1_T2_jT3_P12ihipStream_tbPNSt15iterator_traitsISE_E10value_typeEPNSK_ISF_E10value_typeEPSG_NS1_7vsmem_tEENKUlT_SE_SF_SG_E_clIS8_S8_S9_S9_EESD_ST_SE_SF_SG_EUlST_E1_NS1_11comp_targetILNS1_3genE5ELNS1_11target_archE942ELNS1_3gpuE9ELNS1_3repE0EEENS1_36merge_oddeven_config_static_selectorELNS0_4arch9wavefront6targetE0EEEvSF_.uses_vcc, 0
	.set _ZN7rocprim17ROCPRIM_400000_NS6detail17trampoline_kernelINS0_14default_configENS1_38merge_sort_block_merge_config_selectorIiNS0_10empty_typeEEEZZNS1_27merge_sort_block_merge_implIS3_PiPS5_jNS1_19radix_merge_compareILb1ELb0EiNS0_19identity_decomposerEEEEE10hipError_tT0_T1_T2_jT3_P12ihipStream_tbPNSt15iterator_traitsISE_E10value_typeEPNSK_ISF_E10value_typeEPSG_NS1_7vsmem_tEENKUlT_SE_SF_SG_E_clIS8_S8_S9_S9_EESD_ST_SE_SF_SG_EUlST_E1_NS1_11comp_targetILNS1_3genE5ELNS1_11target_archE942ELNS1_3gpuE9ELNS1_3repE0EEENS1_36merge_oddeven_config_static_selectorELNS0_4arch9wavefront6targetE0EEEvSF_.uses_flat_scratch, 0
	.set _ZN7rocprim17ROCPRIM_400000_NS6detail17trampoline_kernelINS0_14default_configENS1_38merge_sort_block_merge_config_selectorIiNS0_10empty_typeEEEZZNS1_27merge_sort_block_merge_implIS3_PiPS5_jNS1_19radix_merge_compareILb1ELb0EiNS0_19identity_decomposerEEEEE10hipError_tT0_T1_T2_jT3_P12ihipStream_tbPNSt15iterator_traitsISE_E10value_typeEPNSK_ISF_E10value_typeEPSG_NS1_7vsmem_tEENKUlT_SE_SF_SG_E_clIS8_S8_S9_S9_EESD_ST_SE_SF_SG_EUlST_E1_NS1_11comp_targetILNS1_3genE5ELNS1_11target_archE942ELNS1_3gpuE9ELNS1_3repE0EEENS1_36merge_oddeven_config_static_selectorELNS0_4arch9wavefront6targetE0EEEvSF_.has_dyn_sized_stack, 0
	.set _ZN7rocprim17ROCPRIM_400000_NS6detail17trampoline_kernelINS0_14default_configENS1_38merge_sort_block_merge_config_selectorIiNS0_10empty_typeEEEZZNS1_27merge_sort_block_merge_implIS3_PiPS5_jNS1_19radix_merge_compareILb1ELb0EiNS0_19identity_decomposerEEEEE10hipError_tT0_T1_T2_jT3_P12ihipStream_tbPNSt15iterator_traitsISE_E10value_typeEPNSK_ISF_E10value_typeEPSG_NS1_7vsmem_tEENKUlT_SE_SF_SG_E_clIS8_S8_S9_S9_EESD_ST_SE_SF_SG_EUlST_E1_NS1_11comp_targetILNS1_3genE5ELNS1_11target_archE942ELNS1_3gpuE9ELNS1_3repE0EEENS1_36merge_oddeven_config_static_selectorELNS0_4arch9wavefront6targetE0EEEvSF_.has_recursion, 0
	.set _ZN7rocprim17ROCPRIM_400000_NS6detail17trampoline_kernelINS0_14default_configENS1_38merge_sort_block_merge_config_selectorIiNS0_10empty_typeEEEZZNS1_27merge_sort_block_merge_implIS3_PiPS5_jNS1_19radix_merge_compareILb1ELb0EiNS0_19identity_decomposerEEEEE10hipError_tT0_T1_T2_jT3_P12ihipStream_tbPNSt15iterator_traitsISE_E10value_typeEPNSK_ISF_E10value_typeEPSG_NS1_7vsmem_tEENKUlT_SE_SF_SG_E_clIS8_S8_S9_S9_EESD_ST_SE_SF_SG_EUlST_E1_NS1_11comp_targetILNS1_3genE5ELNS1_11target_archE942ELNS1_3gpuE9ELNS1_3repE0EEENS1_36merge_oddeven_config_static_selectorELNS0_4arch9wavefront6targetE0EEEvSF_.has_indirect_call, 0
	.section	.AMDGPU.csdata,"",@progbits
; Kernel info:
; codeLenInByte = 0
; TotalNumSgprs: 0
; NumVgprs: 0
; ScratchSize: 0
; MemoryBound: 0
; FloatMode: 240
; IeeeMode: 1
; LDSByteSize: 0 bytes/workgroup (compile time only)
; SGPRBlocks: 0
; VGPRBlocks: 0
; NumSGPRsForWavesPerEU: 1
; NumVGPRsForWavesPerEU: 1
; NamedBarCnt: 0
; Occupancy: 16
; WaveLimiterHint : 0
; COMPUTE_PGM_RSRC2:SCRATCH_EN: 0
; COMPUTE_PGM_RSRC2:USER_SGPR: 2
; COMPUTE_PGM_RSRC2:TRAP_HANDLER: 0
; COMPUTE_PGM_RSRC2:TGID_X_EN: 1
; COMPUTE_PGM_RSRC2:TGID_Y_EN: 0
; COMPUTE_PGM_RSRC2:TGID_Z_EN: 0
; COMPUTE_PGM_RSRC2:TIDIG_COMP_CNT: 0
	.section	.text._ZN7rocprim17ROCPRIM_400000_NS6detail17trampoline_kernelINS0_14default_configENS1_38merge_sort_block_merge_config_selectorIiNS0_10empty_typeEEEZZNS1_27merge_sort_block_merge_implIS3_PiPS5_jNS1_19radix_merge_compareILb1ELb0EiNS0_19identity_decomposerEEEEE10hipError_tT0_T1_T2_jT3_P12ihipStream_tbPNSt15iterator_traitsISE_E10value_typeEPNSK_ISF_E10value_typeEPSG_NS1_7vsmem_tEENKUlT_SE_SF_SG_E_clIS8_S8_S9_S9_EESD_ST_SE_SF_SG_EUlST_E1_NS1_11comp_targetILNS1_3genE4ELNS1_11target_archE910ELNS1_3gpuE8ELNS1_3repE0EEENS1_36merge_oddeven_config_static_selectorELNS0_4arch9wavefront6targetE0EEEvSF_,"axG",@progbits,_ZN7rocprim17ROCPRIM_400000_NS6detail17trampoline_kernelINS0_14default_configENS1_38merge_sort_block_merge_config_selectorIiNS0_10empty_typeEEEZZNS1_27merge_sort_block_merge_implIS3_PiPS5_jNS1_19radix_merge_compareILb1ELb0EiNS0_19identity_decomposerEEEEE10hipError_tT0_T1_T2_jT3_P12ihipStream_tbPNSt15iterator_traitsISE_E10value_typeEPNSK_ISF_E10value_typeEPSG_NS1_7vsmem_tEENKUlT_SE_SF_SG_E_clIS8_S8_S9_S9_EESD_ST_SE_SF_SG_EUlST_E1_NS1_11comp_targetILNS1_3genE4ELNS1_11target_archE910ELNS1_3gpuE8ELNS1_3repE0EEENS1_36merge_oddeven_config_static_selectorELNS0_4arch9wavefront6targetE0EEEvSF_,comdat
	.protected	_ZN7rocprim17ROCPRIM_400000_NS6detail17trampoline_kernelINS0_14default_configENS1_38merge_sort_block_merge_config_selectorIiNS0_10empty_typeEEEZZNS1_27merge_sort_block_merge_implIS3_PiPS5_jNS1_19radix_merge_compareILb1ELb0EiNS0_19identity_decomposerEEEEE10hipError_tT0_T1_T2_jT3_P12ihipStream_tbPNSt15iterator_traitsISE_E10value_typeEPNSK_ISF_E10value_typeEPSG_NS1_7vsmem_tEENKUlT_SE_SF_SG_E_clIS8_S8_S9_S9_EESD_ST_SE_SF_SG_EUlST_E1_NS1_11comp_targetILNS1_3genE4ELNS1_11target_archE910ELNS1_3gpuE8ELNS1_3repE0EEENS1_36merge_oddeven_config_static_selectorELNS0_4arch9wavefront6targetE0EEEvSF_ ; -- Begin function _ZN7rocprim17ROCPRIM_400000_NS6detail17trampoline_kernelINS0_14default_configENS1_38merge_sort_block_merge_config_selectorIiNS0_10empty_typeEEEZZNS1_27merge_sort_block_merge_implIS3_PiPS5_jNS1_19radix_merge_compareILb1ELb0EiNS0_19identity_decomposerEEEEE10hipError_tT0_T1_T2_jT3_P12ihipStream_tbPNSt15iterator_traitsISE_E10value_typeEPNSK_ISF_E10value_typeEPSG_NS1_7vsmem_tEENKUlT_SE_SF_SG_E_clIS8_S8_S9_S9_EESD_ST_SE_SF_SG_EUlST_E1_NS1_11comp_targetILNS1_3genE4ELNS1_11target_archE910ELNS1_3gpuE8ELNS1_3repE0EEENS1_36merge_oddeven_config_static_selectorELNS0_4arch9wavefront6targetE0EEEvSF_
	.globl	_ZN7rocprim17ROCPRIM_400000_NS6detail17trampoline_kernelINS0_14default_configENS1_38merge_sort_block_merge_config_selectorIiNS0_10empty_typeEEEZZNS1_27merge_sort_block_merge_implIS3_PiPS5_jNS1_19radix_merge_compareILb1ELb0EiNS0_19identity_decomposerEEEEE10hipError_tT0_T1_T2_jT3_P12ihipStream_tbPNSt15iterator_traitsISE_E10value_typeEPNSK_ISF_E10value_typeEPSG_NS1_7vsmem_tEENKUlT_SE_SF_SG_E_clIS8_S8_S9_S9_EESD_ST_SE_SF_SG_EUlST_E1_NS1_11comp_targetILNS1_3genE4ELNS1_11target_archE910ELNS1_3gpuE8ELNS1_3repE0EEENS1_36merge_oddeven_config_static_selectorELNS0_4arch9wavefront6targetE0EEEvSF_
	.p2align	8
	.type	_ZN7rocprim17ROCPRIM_400000_NS6detail17trampoline_kernelINS0_14default_configENS1_38merge_sort_block_merge_config_selectorIiNS0_10empty_typeEEEZZNS1_27merge_sort_block_merge_implIS3_PiPS5_jNS1_19radix_merge_compareILb1ELb0EiNS0_19identity_decomposerEEEEE10hipError_tT0_T1_T2_jT3_P12ihipStream_tbPNSt15iterator_traitsISE_E10value_typeEPNSK_ISF_E10value_typeEPSG_NS1_7vsmem_tEENKUlT_SE_SF_SG_E_clIS8_S8_S9_S9_EESD_ST_SE_SF_SG_EUlST_E1_NS1_11comp_targetILNS1_3genE4ELNS1_11target_archE910ELNS1_3gpuE8ELNS1_3repE0EEENS1_36merge_oddeven_config_static_selectorELNS0_4arch9wavefront6targetE0EEEvSF_,@function
_ZN7rocprim17ROCPRIM_400000_NS6detail17trampoline_kernelINS0_14default_configENS1_38merge_sort_block_merge_config_selectorIiNS0_10empty_typeEEEZZNS1_27merge_sort_block_merge_implIS3_PiPS5_jNS1_19radix_merge_compareILb1ELb0EiNS0_19identity_decomposerEEEEE10hipError_tT0_T1_T2_jT3_P12ihipStream_tbPNSt15iterator_traitsISE_E10value_typeEPNSK_ISF_E10value_typeEPSG_NS1_7vsmem_tEENKUlT_SE_SF_SG_E_clIS8_S8_S9_S9_EESD_ST_SE_SF_SG_EUlST_E1_NS1_11comp_targetILNS1_3genE4ELNS1_11target_archE910ELNS1_3gpuE8ELNS1_3repE0EEENS1_36merge_oddeven_config_static_selectorELNS0_4arch9wavefront6targetE0EEEvSF_: ; @_ZN7rocprim17ROCPRIM_400000_NS6detail17trampoline_kernelINS0_14default_configENS1_38merge_sort_block_merge_config_selectorIiNS0_10empty_typeEEEZZNS1_27merge_sort_block_merge_implIS3_PiPS5_jNS1_19radix_merge_compareILb1ELb0EiNS0_19identity_decomposerEEEEE10hipError_tT0_T1_T2_jT3_P12ihipStream_tbPNSt15iterator_traitsISE_E10value_typeEPNSK_ISF_E10value_typeEPSG_NS1_7vsmem_tEENKUlT_SE_SF_SG_E_clIS8_S8_S9_S9_EESD_ST_SE_SF_SG_EUlST_E1_NS1_11comp_targetILNS1_3genE4ELNS1_11target_archE910ELNS1_3gpuE8ELNS1_3repE0EEENS1_36merge_oddeven_config_static_selectorELNS0_4arch9wavefront6targetE0EEEvSF_
; %bb.0:
	.section	.rodata,"a",@progbits
	.p2align	6, 0x0
	.amdhsa_kernel _ZN7rocprim17ROCPRIM_400000_NS6detail17trampoline_kernelINS0_14default_configENS1_38merge_sort_block_merge_config_selectorIiNS0_10empty_typeEEEZZNS1_27merge_sort_block_merge_implIS3_PiPS5_jNS1_19radix_merge_compareILb1ELb0EiNS0_19identity_decomposerEEEEE10hipError_tT0_T1_T2_jT3_P12ihipStream_tbPNSt15iterator_traitsISE_E10value_typeEPNSK_ISF_E10value_typeEPSG_NS1_7vsmem_tEENKUlT_SE_SF_SG_E_clIS8_S8_S9_S9_EESD_ST_SE_SF_SG_EUlST_E1_NS1_11comp_targetILNS1_3genE4ELNS1_11target_archE910ELNS1_3gpuE8ELNS1_3repE0EEENS1_36merge_oddeven_config_static_selectorELNS0_4arch9wavefront6targetE0EEEvSF_
		.amdhsa_group_segment_fixed_size 0
		.amdhsa_private_segment_fixed_size 0
		.amdhsa_kernarg_size 48
		.amdhsa_user_sgpr_count 2
		.amdhsa_user_sgpr_dispatch_ptr 0
		.amdhsa_user_sgpr_queue_ptr 0
		.amdhsa_user_sgpr_kernarg_segment_ptr 1
		.amdhsa_user_sgpr_dispatch_id 0
		.amdhsa_user_sgpr_kernarg_preload_length 0
		.amdhsa_user_sgpr_kernarg_preload_offset 0
		.amdhsa_user_sgpr_private_segment_size 0
		.amdhsa_wavefront_size32 1
		.amdhsa_uses_dynamic_stack 0
		.amdhsa_enable_private_segment 0
		.amdhsa_system_sgpr_workgroup_id_x 1
		.amdhsa_system_sgpr_workgroup_id_y 0
		.amdhsa_system_sgpr_workgroup_id_z 0
		.amdhsa_system_sgpr_workgroup_info 0
		.amdhsa_system_vgpr_workitem_id 0
		.amdhsa_next_free_vgpr 1
		.amdhsa_next_free_sgpr 1
		.amdhsa_named_barrier_count 0
		.amdhsa_reserve_vcc 0
		.amdhsa_float_round_mode_32 0
		.amdhsa_float_round_mode_16_64 0
		.amdhsa_float_denorm_mode_32 3
		.amdhsa_float_denorm_mode_16_64 3
		.amdhsa_fp16_overflow 0
		.amdhsa_memory_ordered 1
		.amdhsa_forward_progress 1
		.amdhsa_inst_pref_size 0
		.amdhsa_round_robin_scheduling 0
		.amdhsa_exception_fp_ieee_invalid_op 0
		.amdhsa_exception_fp_denorm_src 0
		.amdhsa_exception_fp_ieee_div_zero 0
		.amdhsa_exception_fp_ieee_overflow 0
		.amdhsa_exception_fp_ieee_underflow 0
		.amdhsa_exception_fp_ieee_inexact 0
		.amdhsa_exception_int_div_zero 0
	.end_amdhsa_kernel
	.section	.text._ZN7rocprim17ROCPRIM_400000_NS6detail17trampoline_kernelINS0_14default_configENS1_38merge_sort_block_merge_config_selectorIiNS0_10empty_typeEEEZZNS1_27merge_sort_block_merge_implIS3_PiPS5_jNS1_19radix_merge_compareILb1ELb0EiNS0_19identity_decomposerEEEEE10hipError_tT0_T1_T2_jT3_P12ihipStream_tbPNSt15iterator_traitsISE_E10value_typeEPNSK_ISF_E10value_typeEPSG_NS1_7vsmem_tEENKUlT_SE_SF_SG_E_clIS8_S8_S9_S9_EESD_ST_SE_SF_SG_EUlST_E1_NS1_11comp_targetILNS1_3genE4ELNS1_11target_archE910ELNS1_3gpuE8ELNS1_3repE0EEENS1_36merge_oddeven_config_static_selectorELNS0_4arch9wavefront6targetE0EEEvSF_,"axG",@progbits,_ZN7rocprim17ROCPRIM_400000_NS6detail17trampoline_kernelINS0_14default_configENS1_38merge_sort_block_merge_config_selectorIiNS0_10empty_typeEEEZZNS1_27merge_sort_block_merge_implIS3_PiPS5_jNS1_19radix_merge_compareILb1ELb0EiNS0_19identity_decomposerEEEEE10hipError_tT0_T1_T2_jT3_P12ihipStream_tbPNSt15iterator_traitsISE_E10value_typeEPNSK_ISF_E10value_typeEPSG_NS1_7vsmem_tEENKUlT_SE_SF_SG_E_clIS8_S8_S9_S9_EESD_ST_SE_SF_SG_EUlST_E1_NS1_11comp_targetILNS1_3genE4ELNS1_11target_archE910ELNS1_3gpuE8ELNS1_3repE0EEENS1_36merge_oddeven_config_static_selectorELNS0_4arch9wavefront6targetE0EEEvSF_,comdat
.Lfunc_end786:
	.size	_ZN7rocprim17ROCPRIM_400000_NS6detail17trampoline_kernelINS0_14default_configENS1_38merge_sort_block_merge_config_selectorIiNS0_10empty_typeEEEZZNS1_27merge_sort_block_merge_implIS3_PiPS5_jNS1_19radix_merge_compareILb1ELb0EiNS0_19identity_decomposerEEEEE10hipError_tT0_T1_T2_jT3_P12ihipStream_tbPNSt15iterator_traitsISE_E10value_typeEPNSK_ISF_E10value_typeEPSG_NS1_7vsmem_tEENKUlT_SE_SF_SG_E_clIS8_S8_S9_S9_EESD_ST_SE_SF_SG_EUlST_E1_NS1_11comp_targetILNS1_3genE4ELNS1_11target_archE910ELNS1_3gpuE8ELNS1_3repE0EEENS1_36merge_oddeven_config_static_selectorELNS0_4arch9wavefront6targetE0EEEvSF_, .Lfunc_end786-_ZN7rocprim17ROCPRIM_400000_NS6detail17trampoline_kernelINS0_14default_configENS1_38merge_sort_block_merge_config_selectorIiNS0_10empty_typeEEEZZNS1_27merge_sort_block_merge_implIS3_PiPS5_jNS1_19radix_merge_compareILb1ELb0EiNS0_19identity_decomposerEEEEE10hipError_tT0_T1_T2_jT3_P12ihipStream_tbPNSt15iterator_traitsISE_E10value_typeEPNSK_ISF_E10value_typeEPSG_NS1_7vsmem_tEENKUlT_SE_SF_SG_E_clIS8_S8_S9_S9_EESD_ST_SE_SF_SG_EUlST_E1_NS1_11comp_targetILNS1_3genE4ELNS1_11target_archE910ELNS1_3gpuE8ELNS1_3repE0EEENS1_36merge_oddeven_config_static_selectorELNS0_4arch9wavefront6targetE0EEEvSF_
                                        ; -- End function
	.set _ZN7rocprim17ROCPRIM_400000_NS6detail17trampoline_kernelINS0_14default_configENS1_38merge_sort_block_merge_config_selectorIiNS0_10empty_typeEEEZZNS1_27merge_sort_block_merge_implIS3_PiPS5_jNS1_19radix_merge_compareILb1ELb0EiNS0_19identity_decomposerEEEEE10hipError_tT0_T1_T2_jT3_P12ihipStream_tbPNSt15iterator_traitsISE_E10value_typeEPNSK_ISF_E10value_typeEPSG_NS1_7vsmem_tEENKUlT_SE_SF_SG_E_clIS8_S8_S9_S9_EESD_ST_SE_SF_SG_EUlST_E1_NS1_11comp_targetILNS1_3genE4ELNS1_11target_archE910ELNS1_3gpuE8ELNS1_3repE0EEENS1_36merge_oddeven_config_static_selectorELNS0_4arch9wavefront6targetE0EEEvSF_.num_vgpr, 0
	.set _ZN7rocprim17ROCPRIM_400000_NS6detail17trampoline_kernelINS0_14default_configENS1_38merge_sort_block_merge_config_selectorIiNS0_10empty_typeEEEZZNS1_27merge_sort_block_merge_implIS3_PiPS5_jNS1_19radix_merge_compareILb1ELb0EiNS0_19identity_decomposerEEEEE10hipError_tT0_T1_T2_jT3_P12ihipStream_tbPNSt15iterator_traitsISE_E10value_typeEPNSK_ISF_E10value_typeEPSG_NS1_7vsmem_tEENKUlT_SE_SF_SG_E_clIS8_S8_S9_S9_EESD_ST_SE_SF_SG_EUlST_E1_NS1_11comp_targetILNS1_3genE4ELNS1_11target_archE910ELNS1_3gpuE8ELNS1_3repE0EEENS1_36merge_oddeven_config_static_selectorELNS0_4arch9wavefront6targetE0EEEvSF_.num_agpr, 0
	.set _ZN7rocprim17ROCPRIM_400000_NS6detail17trampoline_kernelINS0_14default_configENS1_38merge_sort_block_merge_config_selectorIiNS0_10empty_typeEEEZZNS1_27merge_sort_block_merge_implIS3_PiPS5_jNS1_19radix_merge_compareILb1ELb0EiNS0_19identity_decomposerEEEEE10hipError_tT0_T1_T2_jT3_P12ihipStream_tbPNSt15iterator_traitsISE_E10value_typeEPNSK_ISF_E10value_typeEPSG_NS1_7vsmem_tEENKUlT_SE_SF_SG_E_clIS8_S8_S9_S9_EESD_ST_SE_SF_SG_EUlST_E1_NS1_11comp_targetILNS1_3genE4ELNS1_11target_archE910ELNS1_3gpuE8ELNS1_3repE0EEENS1_36merge_oddeven_config_static_selectorELNS0_4arch9wavefront6targetE0EEEvSF_.numbered_sgpr, 0
	.set _ZN7rocprim17ROCPRIM_400000_NS6detail17trampoline_kernelINS0_14default_configENS1_38merge_sort_block_merge_config_selectorIiNS0_10empty_typeEEEZZNS1_27merge_sort_block_merge_implIS3_PiPS5_jNS1_19radix_merge_compareILb1ELb0EiNS0_19identity_decomposerEEEEE10hipError_tT0_T1_T2_jT3_P12ihipStream_tbPNSt15iterator_traitsISE_E10value_typeEPNSK_ISF_E10value_typeEPSG_NS1_7vsmem_tEENKUlT_SE_SF_SG_E_clIS8_S8_S9_S9_EESD_ST_SE_SF_SG_EUlST_E1_NS1_11comp_targetILNS1_3genE4ELNS1_11target_archE910ELNS1_3gpuE8ELNS1_3repE0EEENS1_36merge_oddeven_config_static_selectorELNS0_4arch9wavefront6targetE0EEEvSF_.num_named_barrier, 0
	.set _ZN7rocprim17ROCPRIM_400000_NS6detail17trampoline_kernelINS0_14default_configENS1_38merge_sort_block_merge_config_selectorIiNS0_10empty_typeEEEZZNS1_27merge_sort_block_merge_implIS3_PiPS5_jNS1_19radix_merge_compareILb1ELb0EiNS0_19identity_decomposerEEEEE10hipError_tT0_T1_T2_jT3_P12ihipStream_tbPNSt15iterator_traitsISE_E10value_typeEPNSK_ISF_E10value_typeEPSG_NS1_7vsmem_tEENKUlT_SE_SF_SG_E_clIS8_S8_S9_S9_EESD_ST_SE_SF_SG_EUlST_E1_NS1_11comp_targetILNS1_3genE4ELNS1_11target_archE910ELNS1_3gpuE8ELNS1_3repE0EEENS1_36merge_oddeven_config_static_selectorELNS0_4arch9wavefront6targetE0EEEvSF_.private_seg_size, 0
	.set _ZN7rocprim17ROCPRIM_400000_NS6detail17trampoline_kernelINS0_14default_configENS1_38merge_sort_block_merge_config_selectorIiNS0_10empty_typeEEEZZNS1_27merge_sort_block_merge_implIS3_PiPS5_jNS1_19radix_merge_compareILb1ELb0EiNS0_19identity_decomposerEEEEE10hipError_tT0_T1_T2_jT3_P12ihipStream_tbPNSt15iterator_traitsISE_E10value_typeEPNSK_ISF_E10value_typeEPSG_NS1_7vsmem_tEENKUlT_SE_SF_SG_E_clIS8_S8_S9_S9_EESD_ST_SE_SF_SG_EUlST_E1_NS1_11comp_targetILNS1_3genE4ELNS1_11target_archE910ELNS1_3gpuE8ELNS1_3repE0EEENS1_36merge_oddeven_config_static_selectorELNS0_4arch9wavefront6targetE0EEEvSF_.uses_vcc, 0
	.set _ZN7rocprim17ROCPRIM_400000_NS6detail17trampoline_kernelINS0_14default_configENS1_38merge_sort_block_merge_config_selectorIiNS0_10empty_typeEEEZZNS1_27merge_sort_block_merge_implIS3_PiPS5_jNS1_19radix_merge_compareILb1ELb0EiNS0_19identity_decomposerEEEEE10hipError_tT0_T1_T2_jT3_P12ihipStream_tbPNSt15iterator_traitsISE_E10value_typeEPNSK_ISF_E10value_typeEPSG_NS1_7vsmem_tEENKUlT_SE_SF_SG_E_clIS8_S8_S9_S9_EESD_ST_SE_SF_SG_EUlST_E1_NS1_11comp_targetILNS1_3genE4ELNS1_11target_archE910ELNS1_3gpuE8ELNS1_3repE0EEENS1_36merge_oddeven_config_static_selectorELNS0_4arch9wavefront6targetE0EEEvSF_.uses_flat_scratch, 0
	.set _ZN7rocprim17ROCPRIM_400000_NS6detail17trampoline_kernelINS0_14default_configENS1_38merge_sort_block_merge_config_selectorIiNS0_10empty_typeEEEZZNS1_27merge_sort_block_merge_implIS3_PiPS5_jNS1_19radix_merge_compareILb1ELb0EiNS0_19identity_decomposerEEEEE10hipError_tT0_T1_T2_jT3_P12ihipStream_tbPNSt15iterator_traitsISE_E10value_typeEPNSK_ISF_E10value_typeEPSG_NS1_7vsmem_tEENKUlT_SE_SF_SG_E_clIS8_S8_S9_S9_EESD_ST_SE_SF_SG_EUlST_E1_NS1_11comp_targetILNS1_3genE4ELNS1_11target_archE910ELNS1_3gpuE8ELNS1_3repE0EEENS1_36merge_oddeven_config_static_selectorELNS0_4arch9wavefront6targetE0EEEvSF_.has_dyn_sized_stack, 0
	.set _ZN7rocprim17ROCPRIM_400000_NS6detail17trampoline_kernelINS0_14default_configENS1_38merge_sort_block_merge_config_selectorIiNS0_10empty_typeEEEZZNS1_27merge_sort_block_merge_implIS3_PiPS5_jNS1_19radix_merge_compareILb1ELb0EiNS0_19identity_decomposerEEEEE10hipError_tT0_T1_T2_jT3_P12ihipStream_tbPNSt15iterator_traitsISE_E10value_typeEPNSK_ISF_E10value_typeEPSG_NS1_7vsmem_tEENKUlT_SE_SF_SG_E_clIS8_S8_S9_S9_EESD_ST_SE_SF_SG_EUlST_E1_NS1_11comp_targetILNS1_3genE4ELNS1_11target_archE910ELNS1_3gpuE8ELNS1_3repE0EEENS1_36merge_oddeven_config_static_selectorELNS0_4arch9wavefront6targetE0EEEvSF_.has_recursion, 0
	.set _ZN7rocprim17ROCPRIM_400000_NS6detail17trampoline_kernelINS0_14default_configENS1_38merge_sort_block_merge_config_selectorIiNS0_10empty_typeEEEZZNS1_27merge_sort_block_merge_implIS3_PiPS5_jNS1_19radix_merge_compareILb1ELb0EiNS0_19identity_decomposerEEEEE10hipError_tT0_T1_T2_jT3_P12ihipStream_tbPNSt15iterator_traitsISE_E10value_typeEPNSK_ISF_E10value_typeEPSG_NS1_7vsmem_tEENKUlT_SE_SF_SG_E_clIS8_S8_S9_S9_EESD_ST_SE_SF_SG_EUlST_E1_NS1_11comp_targetILNS1_3genE4ELNS1_11target_archE910ELNS1_3gpuE8ELNS1_3repE0EEENS1_36merge_oddeven_config_static_selectorELNS0_4arch9wavefront6targetE0EEEvSF_.has_indirect_call, 0
	.section	.AMDGPU.csdata,"",@progbits
; Kernel info:
; codeLenInByte = 0
; TotalNumSgprs: 0
; NumVgprs: 0
; ScratchSize: 0
; MemoryBound: 0
; FloatMode: 240
; IeeeMode: 1
; LDSByteSize: 0 bytes/workgroup (compile time only)
; SGPRBlocks: 0
; VGPRBlocks: 0
; NumSGPRsForWavesPerEU: 1
; NumVGPRsForWavesPerEU: 1
; NamedBarCnt: 0
; Occupancy: 16
; WaveLimiterHint : 0
; COMPUTE_PGM_RSRC2:SCRATCH_EN: 0
; COMPUTE_PGM_RSRC2:USER_SGPR: 2
; COMPUTE_PGM_RSRC2:TRAP_HANDLER: 0
; COMPUTE_PGM_RSRC2:TGID_X_EN: 1
; COMPUTE_PGM_RSRC2:TGID_Y_EN: 0
; COMPUTE_PGM_RSRC2:TGID_Z_EN: 0
; COMPUTE_PGM_RSRC2:TIDIG_COMP_CNT: 0
	.section	.text._ZN7rocprim17ROCPRIM_400000_NS6detail17trampoline_kernelINS0_14default_configENS1_38merge_sort_block_merge_config_selectorIiNS0_10empty_typeEEEZZNS1_27merge_sort_block_merge_implIS3_PiPS5_jNS1_19radix_merge_compareILb1ELb0EiNS0_19identity_decomposerEEEEE10hipError_tT0_T1_T2_jT3_P12ihipStream_tbPNSt15iterator_traitsISE_E10value_typeEPNSK_ISF_E10value_typeEPSG_NS1_7vsmem_tEENKUlT_SE_SF_SG_E_clIS8_S8_S9_S9_EESD_ST_SE_SF_SG_EUlST_E1_NS1_11comp_targetILNS1_3genE3ELNS1_11target_archE908ELNS1_3gpuE7ELNS1_3repE0EEENS1_36merge_oddeven_config_static_selectorELNS0_4arch9wavefront6targetE0EEEvSF_,"axG",@progbits,_ZN7rocprim17ROCPRIM_400000_NS6detail17trampoline_kernelINS0_14default_configENS1_38merge_sort_block_merge_config_selectorIiNS0_10empty_typeEEEZZNS1_27merge_sort_block_merge_implIS3_PiPS5_jNS1_19radix_merge_compareILb1ELb0EiNS0_19identity_decomposerEEEEE10hipError_tT0_T1_T2_jT3_P12ihipStream_tbPNSt15iterator_traitsISE_E10value_typeEPNSK_ISF_E10value_typeEPSG_NS1_7vsmem_tEENKUlT_SE_SF_SG_E_clIS8_S8_S9_S9_EESD_ST_SE_SF_SG_EUlST_E1_NS1_11comp_targetILNS1_3genE3ELNS1_11target_archE908ELNS1_3gpuE7ELNS1_3repE0EEENS1_36merge_oddeven_config_static_selectorELNS0_4arch9wavefront6targetE0EEEvSF_,comdat
	.protected	_ZN7rocprim17ROCPRIM_400000_NS6detail17trampoline_kernelINS0_14default_configENS1_38merge_sort_block_merge_config_selectorIiNS0_10empty_typeEEEZZNS1_27merge_sort_block_merge_implIS3_PiPS5_jNS1_19radix_merge_compareILb1ELb0EiNS0_19identity_decomposerEEEEE10hipError_tT0_T1_T2_jT3_P12ihipStream_tbPNSt15iterator_traitsISE_E10value_typeEPNSK_ISF_E10value_typeEPSG_NS1_7vsmem_tEENKUlT_SE_SF_SG_E_clIS8_S8_S9_S9_EESD_ST_SE_SF_SG_EUlST_E1_NS1_11comp_targetILNS1_3genE3ELNS1_11target_archE908ELNS1_3gpuE7ELNS1_3repE0EEENS1_36merge_oddeven_config_static_selectorELNS0_4arch9wavefront6targetE0EEEvSF_ ; -- Begin function _ZN7rocprim17ROCPRIM_400000_NS6detail17trampoline_kernelINS0_14default_configENS1_38merge_sort_block_merge_config_selectorIiNS0_10empty_typeEEEZZNS1_27merge_sort_block_merge_implIS3_PiPS5_jNS1_19radix_merge_compareILb1ELb0EiNS0_19identity_decomposerEEEEE10hipError_tT0_T1_T2_jT3_P12ihipStream_tbPNSt15iterator_traitsISE_E10value_typeEPNSK_ISF_E10value_typeEPSG_NS1_7vsmem_tEENKUlT_SE_SF_SG_E_clIS8_S8_S9_S9_EESD_ST_SE_SF_SG_EUlST_E1_NS1_11comp_targetILNS1_3genE3ELNS1_11target_archE908ELNS1_3gpuE7ELNS1_3repE0EEENS1_36merge_oddeven_config_static_selectorELNS0_4arch9wavefront6targetE0EEEvSF_
	.globl	_ZN7rocprim17ROCPRIM_400000_NS6detail17trampoline_kernelINS0_14default_configENS1_38merge_sort_block_merge_config_selectorIiNS0_10empty_typeEEEZZNS1_27merge_sort_block_merge_implIS3_PiPS5_jNS1_19radix_merge_compareILb1ELb0EiNS0_19identity_decomposerEEEEE10hipError_tT0_T1_T2_jT3_P12ihipStream_tbPNSt15iterator_traitsISE_E10value_typeEPNSK_ISF_E10value_typeEPSG_NS1_7vsmem_tEENKUlT_SE_SF_SG_E_clIS8_S8_S9_S9_EESD_ST_SE_SF_SG_EUlST_E1_NS1_11comp_targetILNS1_3genE3ELNS1_11target_archE908ELNS1_3gpuE7ELNS1_3repE0EEENS1_36merge_oddeven_config_static_selectorELNS0_4arch9wavefront6targetE0EEEvSF_
	.p2align	8
	.type	_ZN7rocprim17ROCPRIM_400000_NS6detail17trampoline_kernelINS0_14default_configENS1_38merge_sort_block_merge_config_selectorIiNS0_10empty_typeEEEZZNS1_27merge_sort_block_merge_implIS3_PiPS5_jNS1_19radix_merge_compareILb1ELb0EiNS0_19identity_decomposerEEEEE10hipError_tT0_T1_T2_jT3_P12ihipStream_tbPNSt15iterator_traitsISE_E10value_typeEPNSK_ISF_E10value_typeEPSG_NS1_7vsmem_tEENKUlT_SE_SF_SG_E_clIS8_S8_S9_S9_EESD_ST_SE_SF_SG_EUlST_E1_NS1_11comp_targetILNS1_3genE3ELNS1_11target_archE908ELNS1_3gpuE7ELNS1_3repE0EEENS1_36merge_oddeven_config_static_selectorELNS0_4arch9wavefront6targetE0EEEvSF_,@function
_ZN7rocprim17ROCPRIM_400000_NS6detail17trampoline_kernelINS0_14default_configENS1_38merge_sort_block_merge_config_selectorIiNS0_10empty_typeEEEZZNS1_27merge_sort_block_merge_implIS3_PiPS5_jNS1_19radix_merge_compareILb1ELb0EiNS0_19identity_decomposerEEEEE10hipError_tT0_T1_T2_jT3_P12ihipStream_tbPNSt15iterator_traitsISE_E10value_typeEPNSK_ISF_E10value_typeEPSG_NS1_7vsmem_tEENKUlT_SE_SF_SG_E_clIS8_S8_S9_S9_EESD_ST_SE_SF_SG_EUlST_E1_NS1_11comp_targetILNS1_3genE3ELNS1_11target_archE908ELNS1_3gpuE7ELNS1_3repE0EEENS1_36merge_oddeven_config_static_selectorELNS0_4arch9wavefront6targetE0EEEvSF_: ; @_ZN7rocprim17ROCPRIM_400000_NS6detail17trampoline_kernelINS0_14default_configENS1_38merge_sort_block_merge_config_selectorIiNS0_10empty_typeEEEZZNS1_27merge_sort_block_merge_implIS3_PiPS5_jNS1_19radix_merge_compareILb1ELb0EiNS0_19identity_decomposerEEEEE10hipError_tT0_T1_T2_jT3_P12ihipStream_tbPNSt15iterator_traitsISE_E10value_typeEPNSK_ISF_E10value_typeEPSG_NS1_7vsmem_tEENKUlT_SE_SF_SG_E_clIS8_S8_S9_S9_EESD_ST_SE_SF_SG_EUlST_E1_NS1_11comp_targetILNS1_3genE3ELNS1_11target_archE908ELNS1_3gpuE7ELNS1_3repE0EEENS1_36merge_oddeven_config_static_selectorELNS0_4arch9wavefront6targetE0EEEvSF_
; %bb.0:
	.section	.rodata,"a",@progbits
	.p2align	6, 0x0
	.amdhsa_kernel _ZN7rocprim17ROCPRIM_400000_NS6detail17trampoline_kernelINS0_14default_configENS1_38merge_sort_block_merge_config_selectorIiNS0_10empty_typeEEEZZNS1_27merge_sort_block_merge_implIS3_PiPS5_jNS1_19radix_merge_compareILb1ELb0EiNS0_19identity_decomposerEEEEE10hipError_tT0_T1_T2_jT3_P12ihipStream_tbPNSt15iterator_traitsISE_E10value_typeEPNSK_ISF_E10value_typeEPSG_NS1_7vsmem_tEENKUlT_SE_SF_SG_E_clIS8_S8_S9_S9_EESD_ST_SE_SF_SG_EUlST_E1_NS1_11comp_targetILNS1_3genE3ELNS1_11target_archE908ELNS1_3gpuE7ELNS1_3repE0EEENS1_36merge_oddeven_config_static_selectorELNS0_4arch9wavefront6targetE0EEEvSF_
		.amdhsa_group_segment_fixed_size 0
		.amdhsa_private_segment_fixed_size 0
		.amdhsa_kernarg_size 48
		.amdhsa_user_sgpr_count 2
		.amdhsa_user_sgpr_dispatch_ptr 0
		.amdhsa_user_sgpr_queue_ptr 0
		.amdhsa_user_sgpr_kernarg_segment_ptr 1
		.amdhsa_user_sgpr_dispatch_id 0
		.amdhsa_user_sgpr_kernarg_preload_length 0
		.amdhsa_user_sgpr_kernarg_preload_offset 0
		.amdhsa_user_sgpr_private_segment_size 0
		.amdhsa_wavefront_size32 1
		.amdhsa_uses_dynamic_stack 0
		.amdhsa_enable_private_segment 0
		.amdhsa_system_sgpr_workgroup_id_x 1
		.amdhsa_system_sgpr_workgroup_id_y 0
		.amdhsa_system_sgpr_workgroup_id_z 0
		.amdhsa_system_sgpr_workgroup_info 0
		.amdhsa_system_vgpr_workitem_id 0
		.amdhsa_next_free_vgpr 1
		.amdhsa_next_free_sgpr 1
		.amdhsa_named_barrier_count 0
		.amdhsa_reserve_vcc 0
		.amdhsa_float_round_mode_32 0
		.amdhsa_float_round_mode_16_64 0
		.amdhsa_float_denorm_mode_32 3
		.amdhsa_float_denorm_mode_16_64 3
		.amdhsa_fp16_overflow 0
		.amdhsa_memory_ordered 1
		.amdhsa_forward_progress 1
		.amdhsa_inst_pref_size 0
		.amdhsa_round_robin_scheduling 0
		.amdhsa_exception_fp_ieee_invalid_op 0
		.amdhsa_exception_fp_denorm_src 0
		.amdhsa_exception_fp_ieee_div_zero 0
		.amdhsa_exception_fp_ieee_overflow 0
		.amdhsa_exception_fp_ieee_underflow 0
		.amdhsa_exception_fp_ieee_inexact 0
		.amdhsa_exception_int_div_zero 0
	.end_amdhsa_kernel
	.section	.text._ZN7rocprim17ROCPRIM_400000_NS6detail17trampoline_kernelINS0_14default_configENS1_38merge_sort_block_merge_config_selectorIiNS0_10empty_typeEEEZZNS1_27merge_sort_block_merge_implIS3_PiPS5_jNS1_19radix_merge_compareILb1ELb0EiNS0_19identity_decomposerEEEEE10hipError_tT0_T1_T2_jT3_P12ihipStream_tbPNSt15iterator_traitsISE_E10value_typeEPNSK_ISF_E10value_typeEPSG_NS1_7vsmem_tEENKUlT_SE_SF_SG_E_clIS8_S8_S9_S9_EESD_ST_SE_SF_SG_EUlST_E1_NS1_11comp_targetILNS1_3genE3ELNS1_11target_archE908ELNS1_3gpuE7ELNS1_3repE0EEENS1_36merge_oddeven_config_static_selectorELNS0_4arch9wavefront6targetE0EEEvSF_,"axG",@progbits,_ZN7rocprim17ROCPRIM_400000_NS6detail17trampoline_kernelINS0_14default_configENS1_38merge_sort_block_merge_config_selectorIiNS0_10empty_typeEEEZZNS1_27merge_sort_block_merge_implIS3_PiPS5_jNS1_19radix_merge_compareILb1ELb0EiNS0_19identity_decomposerEEEEE10hipError_tT0_T1_T2_jT3_P12ihipStream_tbPNSt15iterator_traitsISE_E10value_typeEPNSK_ISF_E10value_typeEPSG_NS1_7vsmem_tEENKUlT_SE_SF_SG_E_clIS8_S8_S9_S9_EESD_ST_SE_SF_SG_EUlST_E1_NS1_11comp_targetILNS1_3genE3ELNS1_11target_archE908ELNS1_3gpuE7ELNS1_3repE0EEENS1_36merge_oddeven_config_static_selectorELNS0_4arch9wavefront6targetE0EEEvSF_,comdat
.Lfunc_end787:
	.size	_ZN7rocprim17ROCPRIM_400000_NS6detail17trampoline_kernelINS0_14default_configENS1_38merge_sort_block_merge_config_selectorIiNS0_10empty_typeEEEZZNS1_27merge_sort_block_merge_implIS3_PiPS5_jNS1_19radix_merge_compareILb1ELb0EiNS0_19identity_decomposerEEEEE10hipError_tT0_T1_T2_jT3_P12ihipStream_tbPNSt15iterator_traitsISE_E10value_typeEPNSK_ISF_E10value_typeEPSG_NS1_7vsmem_tEENKUlT_SE_SF_SG_E_clIS8_S8_S9_S9_EESD_ST_SE_SF_SG_EUlST_E1_NS1_11comp_targetILNS1_3genE3ELNS1_11target_archE908ELNS1_3gpuE7ELNS1_3repE0EEENS1_36merge_oddeven_config_static_selectorELNS0_4arch9wavefront6targetE0EEEvSF_, .Lfunc_end787-_ZN7rocprim17ROCPRIM_400000_NS6detail17trampoline_kernelINS0_14default_configENS1_38merge_sort_block_merge_config_selectorIiNS0_10empty_typeEEEZZNS1_27merge_sort_block_merge_implIS3_PiPS5_jNS1_19radix_merge_compareILb1ELb0EiNS0_19identity_decomposerEEEEE10hipError_tT0_T1_T2_jT3_P12ihipStream_tbPNSt15iterator_traitsISE_E10value_typeEPNSK_ISF_E10value_typeEPSG_NS1_7vsmem_tEENKUlT_SE_SF_SG_E_clIS8_S8_S9_S9_EESD_ST_SE_SF_SG_EUlST_E1_NS1_11comp_targetILNS1_3genE3ELNS1_11target_archE908ELNS1_3gpuE7ELNS1_3repE0EEENS1_36merge_oddeven_config_static_selectorELNS0_4arch9wavefront6targetE0EEEvSF_
                                        ; -- End function
	.set _ZN7rocprim17ROCPRIM_400000_NS6detail17trampoline_kernelINS0_14default_configENS1_38merge_sort_block_merge_config_selectorIiNS0_10empty_typeEEEZZNS1_27merge_sort_block_merge_implIS3_PiPS5_jNS1_19radix_merge_compareILb1ELb0EiNS0_19identity_decomposerEEEEE10hipError_tT0_T1_T2_jT3_P12ihipStream_tbPNSt15iterator_traitsISE_E10value_typeEPNSK_ISF_E10value_typeEPSG_NS1_7vsmem_tEENKUlT_SE_SF_SG_E_clIS8_S8_S9_S9_EESD_ST_SE_SF_SG_EUlST_E1_NS1_11comp_targetILNS1_3genE3ELNS1_11target_archE908ELNS1_3gpuE7ELNS1_3repE0EEENS1_36merge_oddeven_config_static_selectorELNS0_4arch9wavefront6targetE0EEEvSF_.num_vgpr, 0
	.set _ZN7rocprim17ROCPRIM_400000_NS6detail17trampoline_kernelINS0_14default_configENS1_38merge_sort_block_merge_config_selectorIiNS0_10empty_typeEEEZZNS1_27merge_sort_block_merge_implIS3_PiPS5_jNS1_19radix_merge_compareILb1ELb0EiNS0_19identity_decomposerEEEEE10hipError_tT0_T1_T2_jT3_P12ihipStream_tbPNSt15iterator_traitsISE_E10value_typeEPNSK_ISF_E10value_typeEPSG_NS1_7vsmem_tEENKUlT_SE_SF_SG_E_clIS8_S8_S9_S9_EESD_ST_SE_SF_SG_EUlST_E1_NS1_11comp_targetILNS1_3genE3ELNS1_11target_archE908ELNS1_3gpuE7ELNS1_3repE0EEENS1_36merge_oddeven_config_static_selectorELNS0_4arch9wavefront6targetE0EEEvSF_.num_agpr, 0
	.set _ZN7rocprim17ROCPRIM_400000_NS6detail17trampoline_kernelINS0_14default_configENS1_38merge_sort_block_merge_config_selectorIiNS0_10empty_typeEEEZZNS1_27merge_sort_block_merge_implIS3_PiPS5_jNS1_19radix_merge_compareILb1ELb0EiNS0_19identity_decomposerEEEEE10hipError_tT0_T1_T2_jT3_P12ihipStream_tbPNSt15iterator_traitsISE_E10value_typeEPNSK_ISF_E10value_typeEPSG_NS1_7vsmem_tEENKUlT_SE_SF_SG_E_clIS8_S8_S9_S9_EESD_ST_SE_SF_SG_EUlST_E1_NS1_11comp_targetILNS1_3genE3ELNS1_11target_archE908ELNS1_3gpuE7ELNS1_3repE0EEENS1_36merge_oddeven_config_static_selectorELNS0_4arch9wavefront6targetE0EEEvSF_.numbered_sgpr, 0
	.set _ZN7rocprim17ROCPRIM_400000_NS6detail17trampoline_kernelINS0_14default_configENS1_38merge_sort_block_merge_config_selectorIiNS0_10empty_typeEEEZZNS1_27merge_sort_block_merge_implIS3_PiPS5_jNS1_19radix_merge_compareILb1ELb0EiNS0_19identity_decomposerEEEEE10hipError_tT0_T1_T2_jT3_P12ihipStream_tbPNSt15iterator_traitsISE_E10value_typeEPNSK_ISF_E10value_typeEPSG_NS1_7vsmem_tEENKUlT_SE_SF_SG_E_clIS8_S8_S9_S9_EESD_ST_SE_SF_SG_EUlST_E1_NS1_11comp_targetILNS1_3genE3ELNS1_11target_archE908ELNS1_3gpuE7ELNS1_3repE0EEENS1_36merge_oddeven_config_static_selectorELNS0_4arch9wavefront6targetE0EEEvSF_.num_named_barrier, 0
	.set _ZN7rocprim17ROCPRIM_400000_NS6detail17trampoline_kernelINS0_14default_configENS1_38merge_sort_block_merge_config_selectorIiNS0_10empty_typeEEEZZNS1_27merge_sort_block_merge_implIS3_PiPS5_jNS1_19radix_merge_compareILb1ELb0EiNS0_19identity_decomposerEEEEE10hipError_tT0_T1_T2_jT3_P12ihipStream_tbPNSt15iterator_traitsISE_E10value_typeEPNSK_ISF_E10value_typeEPSG_NS1_7vsmem_tEENKUlT_SE_SF_SG_E_clIS8_S8_S9_S9_EESD_ST_SE_SF_SG_EUlST_E1_NS1_11comp_targetILNS1_3genE3ELNS1_11target_archE908ELNS1_3gpuE7ELNS1_3repE0EEENS1_36merge_oddeven_config_static_selectorELNS0_4arch9wavefront6targetE0EEEvSF_.private_seg_size, 0
	.set _ZN7rocprim17ROCPRIM_400000_NS6detail17trampoline_kernelINS0_14default_configENS1_38merge_sort_block_merge_config_selectorIiNS0_10empty_typeEEEZZNS1_27merge_sort_block_merge_implIS3_PiPS5_jNS1_19radix_merge_compareILb1ELb0EiNS0_19identity_decomposerEEEEE10hipError_tT0_T1_T2_jT3_P12ihipStream_tbPNSt15iterator_traitsISE_E10value_typeEPNSK_ISF_E10value_typeEPSG_NS1_7vsmem_tEENKUlT_SE_SF_SG_E_clIS8_S8_S9_S9_EESD_ST_SE_SF_SG_EUlST_E1_NS1_11comp_targetILNS1_3genE3ELNS1_11target_archE908ELNS1_3gpuE7ELNS1_3repE0EEENS1_36merge_oddeven_config_static_selectorELNS0_4arch9wavefront6targetE0EEEvSF_.uses_vcc, 0
	.set _ZN7rocprim17ROCPRIM_400000_NS6detail17trampoline_kernelINS0_14default_configENS1_38merge_sort_block_merge_config_selectorIiNS0_10empty_typeEEEZZNS1_27merge_sort_block_merge_implIS3_PiPS5_jNS1_19radix_merge_compareILb1ELb0EiNS0_19identity_decomposerEEEEE10hipError_tT0_T1_T2_jT3_P12ihipStream_tbPNSt15iterator_traitsISE_E10value_typeEPNSK_ISF_E10value_typeEPSG_NS1_7vsmem_tEENKUlT_SE_SF_SG_E_clIS8_S8_S9_S9_EESD_ST_SE_SF_SG_EUlST_E1_NS1_11comp_targetILNS1_3genE3ELNS1_11target_archE908ELNS1_3gpuE7ELNS1_3repE0EEENS1_36merge_oddeven_config_static_selectorELNS0_4arch9wavefront6targetE0EEEvSF_.uses_flat_scratch, 0
	.set _ZN7rocprim17ROCPRIM_400000_NS6detail17trampoline_kernelINS0_14default_configENS1_38merge_sort_block_merge_config_selectorIiNS0_10empty_typeEEEZZNS1_27merge_sort_block_merge_implIS3_PiPS5_jNS1_19radix_merge_compareILb1ELb0EiNS0_19identity_decomposerEEEEE10hipError_tT0_T1_T2_jT3_P12ihipStream_tbPNSt15iterator_traitsISE_E10value_typeEPNSK_ISF_E10value_typeEPSG_NS1_7vsmem_tEENKUlT_SE_SF_SG_E_clIS8_S8_S9_S9_EESD_ST_SE_SF_SG_EUlST_E1_NS1_11comp_targetILNS1_3genE3ELNS1_11target_archE908ELNS1_3gpuE7ELNS1_3repE0EEENS1_36merge_oddeven_config_static_selectorELNS0_4arch9wavefront6targetE0EEEvSF_.has_dyn_sized_stack, 0
	.set _ZN7rocprim17ROCPRIM_400000_NS6detail17trampoline_kernelINS0_14default_configENS1_38merge_sort_block_merge_config_selectorIiNS0_10empty_typeEEEZZNS1_27merge_sort_block_merge_implIS3_PiPS5_jNS1_19radix_merge_compareILb1ELb0EiNS0_19identity_decomposerEEEEE10hipError_tT0_T1_T2_jT3_P12ihipStream_tbPNSt15iterator_traitsISE_E10value_typeEPNSK_ISF_E10value_typeEPSG_NS1_7vsmem_tEENKUlT_SE_SF_SG_E_clIS8_S8_S9_S9_EESD_ST_SE_SF_SG_EUlST_E1_NS1_11comp_targetILNS1_3genE3ELNS1_11target_archE908ELNS1_3gpuE7ELNS1_3repE0EEENS1_36merge_oddeven_config_static_selectorELNS0_4arch9wavefront6targetE0EEEvSF_.has_recursion, 0
	.set _ZN7rocprim17ROCPRIM_400000_NS6detail17trampoline_kernelINS0_14default_configENS1_38merge_sort_block_merge_config_selectorIiNS0_10empty_typeEEEZZNS1_27merge_sort_block_merge_implIS3_PiPS5_jNS1_19radix_merge_compareILb1ELb0EiNS0_19identity_decomposerEEEEE10hipError_tT0_T1_T2_jT3_P12ihipStream_tbPNSt15iterator_traitsISE_E10value_typeEPNSK_ISF_E10value_typeEPSG_NS1_7vsmem_tEENKUlT_SE_SF_SG_E_clIS8_S8_S9_S9_EESD_ST_SE_SF_SG_EUlST_E1_NS1_11comp_targetILNS1_3genE3ELNS1_11target_archE908ELNS1_3gpuE7ELNS1_3repE0EEENS1_36merge_oddeven_config_static_selectorELNS0_4arch9wavefront6targetE0EEEvSF_.has_indirect_call, 0
	.section	.AMDGPU.csdata,"",@progbits
; Kernel info:
; codeLenInByte = 0
; TotalNumSgprs: 0
; NumVgprs: 0
; ScratchSize: 0
; MemoryBound: 0
; FloatMode: 240
; IeeeMode: 1
; LDSByteSize: 0 bytes/workgroup (compile time only)
; SGPRBlocks: 0
; VGPRBlocks: 0
; NumSGPRsForWavesPerEU: 1
; NumVGPRsForWavesPerEU: 1
; NamedBarCnt: 0
; Occupancy: 16
; WaveLimiterHint : 0
; COMPUTE_PGM_RSRC2:SCRATCH_EN: 0
; COMPUTE_PGM_RSRC2:USER_SGPR: 2
; COMPUTE_PGM_RSRC2:TRAP_HANDLER: 0
; COMPUTE_PGM_RSRC2:TGID_X_EN: 1
; COMPUTE_PGM_RSRC2:TGID_Y_EN: 0
; COMPUTE_PGM_RSRC2:TGID_Z_EN: 0
; COMPUTE_PGM_RSRC2:TIDIG_COMP_CNT: 0
	.section	.text._ZN7rocprim17ROCPRIM_400000_NS6detail17trampoline_kernelINS0_14default_configENS1_38merge_sort_block_merge_config_selectorIiNS0_10empty_typeEEEZZNS1_27merge_sort_block_merge_implIS3_PiPS5_jNS1_19radix_merge_compareILb1ELb0EiNS0_19identity_decomposerEEEEE10hipError_tT0_T1_T2_jT3_P12ihipStream_tbPNSt15iterator_traitsISE_E10value_typeEPNSK_ISF_E10value_typeEPSG_NS1_7vsmem_tEENKUlT_SE_SF_SG_E_clIS8_S8_S9_S9_EESD_ST_SE_SF_SG_EUlST_E1_NS1_11comp_targetILNS1_3genE2ELNS1_11target_archE906ELNS1_3gpuE6ELNS1_3repE0EEENS1_36merge_oddeven_config_static_selectorELNS0_4arch9wavefront6targetE0EEEvSF_,"axG",@progbits,_ZN7rocprim17ROCPRIM_400000_NS6detail17trampoline_kernelINS0_14default_configENS1_38merge_sort_block_merge_config_selectorIiNS0_10empty_typeEEEZZNS1_27merge_sort_block_merge_implIS3_PiPS5_jNS1_19radix_merge_compareILb1ELb0EiNS0_19identity_decomposerEEEEE10hipError_tT0_T1_T2_jT3_P12ihipStream_tbPNSt15iterator_traitsISE_E10value_typeEPNSK_ISF_E10value_typeEPSG_NS1_7vsmem_tEENKUlT_SE_SF_SG_E_clIS8_S8_S9_S9_EESD_ST_SE_SF_SG_EUlST_E1_NS1_11comp_targetILNS1_3genE2ELNS1_11target_archE906ELNS1_3gpuE6ELNS1_3repE0EEENS1_36merge_oddeven_config_static_selectorELNS0_4arch9wavefront6targetE0EEEvSF_,comdat
	.protected	_ZN7rocprim17ROCPRIM_400000_NS6detail17trampoline_kernelINS0_14default_configENS1_38merge_sort_block_merge_config_selectorIiNS0_10empty_typeEEEZZNS1_27merge_sort_block_merge_implIS3_PiPS5_jNS1_19radix_merge_compareILb1ELb0EiNS0_19identity_decomposerEEEEE10hipError_tT0_T1_T2_jT3_P12ihipStream_tbPNSt15iterator_traitsISE_E10value_typeEPNSK_ISF_E10value_typeEPSG_NS1_7vsmem_tEENKUlT_SE_SF_SG_E_clIS8_S8_S9_S9_EESD_ST_SE_SF_SG_EUlST_E1_NS1_11comp_targetILNS1_3genE2ELNS1_11target_archE906ELNS1_3gpuE6ELNS1_3repE0EEENS1_36merge_oddeven_config_static_selectorELNS0_4arch9wavefront6targetE0EEEvSF_ ; -- Begin function _ZN7rocprim17ROCPRIM_400000_NS6detail17trampoline_kernelINS0_14default_configENS1_38merge_sort_block_merge_config_selectorIiNS0_10empty_typeEEEZZNS1_27merge_sort_block_merge_implIS3_PiPS5_jNS1_19radix_merge_compareILb1ELb0EiNS0_19identity_decomposerEEEEE10hipError_tT0_T1_T2_jT3_P12ihipStream_tbPNSt15iterator_traitsISE_E10value_typeEPNSK_ISF_E10value_typeEPSG_NS1_7vsmem_tEENKUlT_SE_SF_SG_E_clIS8_S8_S9_S9_EESD_ST_SE_SF_SG_EUlST_E1_NS1_11comp_targetILNS1_3genE2ELNS1_11target_archE906ELNS1_3gpuE6ELNS1_3repE0EEENS1_36merge_oddeven_config_static_selectorELNS0_4arch9wavefront6targetE0EEEvSF_
	.globl	_ZN7rocprim17ROCPRIM_400000_NS6detail17trampoline_kernelINS0_14default_configENS1_38merge_sort_block_merge_config_selectorIiNS0_10empty_typeEEEZZNS1_27merge_sort_block_merge_implIS3_PiPS5_jNS1_19radix_merge_compareILb1ELb0EiNS0_19identity_decomposerEEEEE10hipError_tT0_T1_T2_jT3_P12ihipStream_tbPNSt15iterator_traitsISE_E10value_typeEPNSK_ISF_E10value_typeEPSG_NS1_7vsmem_tEENKUlT_SE_SF_SG_E_clIS8_S8_S9_S9_EESD_ST_SE_SF_SG_EUlST_E1_NS1_11comp_targetILNS1_3genE2ELNS1_11target_archE906ELNS1_3gpuE6ELNS1_3repE0EEENS1_36merge_oddeven_config_static_selectorELNS0_4arch9wavefront6targetE0EEEvSF_
	.p2align	8
	.type	_ZN7rocprim17ROCPRIM_400000_NS6detail17trampoline_kernelINS0_14default_configENS1_38merge_sort_block_merge_config_selectorIiNS0_10empty_typeEEEZZNS1_27merge_sort_block_merge_implIS3_PiPS5_jNS1_19radix_merge_compareILb1ELb0EiNS0_19identity_decomposerEEEEE10hipError_tT0_T1_T2_jT3_P12ihipStream_tbPNSt15iterator_traitsISE_E10value_typeEPNSK_ISF_E10value_typeEPSG_NS1_7vsmem_tEENKUlT_SE_SF_SG_E_clIS8_S8_S9_S9_EESD_ST_SE_SF_SG_EUlST_E1_NS1_11comp_targetILNS1_3genE2ELNS1_11target_archE906ELNS1_3gpuE6ELNS1_3repE0EEENS1_36merge_oddeven_config_static_selectorELNS0_4arch9wavefront6targetE0EEEvSF_,@function
_ZN7rocprim17ROCPRIM_400000_NS6detail17trampoline_kernelINS0_14default_configENS1_38merge_sort_block_merge_config_selectorIiNS0_10empty_typeEEEZZNS1_27merge_sort_block_merge_implIS3_PiPS5_jNS1_19radix_merge_compareILb1ELb0EiNS0_19identity_decomposerEEEEE10hipError_tT0_T1_T2_jT3_P12ihipStream_tbPNSt15iterator_traitsISE_E10value_typeEPNSK_ISF_E10value_typeEPSG_NS1_7vsmem_tEENKUlT_SE_SF_SG_E_clIS8_S8_S9_S9_EESD_ST_SE_SF_SG_EUlST_E1_NS1_11comp_targetILNS1_3genE2ELNS1_11target_archE906ELNS1_3gpuE6ELNS1_3repE0EEENS1_36merge_oddeven_config_static_selectorELNS0_4arch9wavefront6targetE0EEEvSF_: ; @_ZN7rocprim17ROCPRIM_400000_NS6detail17trampoline_kernelINS0_14default_configENS1_38merge_sort_block_merge_config_selectorIiNS0_10empty_typeEEEZZNS1_27merge_sort_block_merge_implIS3_PiPS5_jNS1_19radix_merge_compareILb1ELb0EiNS0_19identity_decomposerEEEEE10hipError_tT0_T1_T2_jT3_P12ihipStream_tbPNSt15iterator_traitsISE_E10value_typeEPNSK_ISF_E10value_typeEPSG_NS1_7vsmem_tEENKUlT_SE_SF_SG_E_clIS8_S8_S9_S9_EESD_ST_SE_SF_SG_EUlST_E1_NS1_11comp_targetILNS1_3genE2ELNS1_11target_archE906ELNS1_3gpuE6ELNS1_3repE0EEENS1_36merge_oddeven_config_static_selectorELNS0_4arch9wavefront6targetE0EEEvSF_
; %bb.0:
	.section	.rodata,"a",@progbits
	.p2align	6, 0x0
	.amdhsa_kernel _ZN7rocprim17ROCPRIM_400000_NS6detail17trampoline_kernelINS0_14default_configENS1_38merge_sort_block_merge_config_selectorIiNS0_10empty_typeEEEZZNS1_27merge_sort_block_merge_implIS3_PiPS5_jNS1_19radix_merge_compareILb1ELb0EiNS0_19identity_decomposerEEEEE10hipError_tT0_T1_T2_jT3_P12ihipStream_tbPNSt15iterator_traitsISE_E10value_typeEPNSK_ISF_E10value_typeEPSG_NS1_7vsmem_tEENKUlT_SE_SF_SG_E_clIS8_S8_S9_S9_EESD_ST_SE_SF_SG_EUlST_E1_NS1_11comp_targetILNS1_3genE2ELNS1_11target_archE906ELNS1_3gpuE6ELNS1_3repE0EEENS1_36merge_oddeven_config_static_selectorELNS0_4arch9wavefront6targetE0EEEvSF_
		.amdhsa_group_segment_fixed_size 0
		.amdhsa_private_segment_fixed_size 0
		.amdhsa_kernarg_size 48
		.amdhsa_user_sgpr_count 2
		.amdhsa_user_sgpr_dispatch_ptr 0
		.amdhsa_user_sgpr_queue_ptr 0
		.amdhsa_user_sgpr_kernarg_segment_ptr 1
		.amdhsa_user_sgpr_dispatch_id 0
		.amdhsa_user_sgpr_kernarg_preload_length 0
		.amdhsa_user_sgpr_kernarg_preload_offset 0
		.amdhsa_user_sgpr_private_segment_size 0
		.amdhsa_wavefront_size32 1
		.amdhsa_uses_dynamic_stack 0
		.amdhsa_enable_private_segment 0
		.amdhsa_system_sgpr_workgroup_id_x 1
		.amdhsa_system_sgpr_workgroup_id_y 0
		.amdhsa_system_sgpr_workgroup_id_z 0
		.amdhsa_system_sgpr_workgroup_info 0
		.amdhsa_system_vgpr_workitem_id 0
		.amdhsa_next_free_vgpr 1
		.amdhsa_next_free_sgpr 1
		.amdhsa_named_barrier_count 0
		.amdhsa_reserve_vcc 0
		.amdhsa_float_round_mode_32 0
		.amdhsa_float_round_mode_16_64 0
		.amdhsa_float_denorm_mode_32 3
		.amdhsa_float_denorm_mode_16_64 3
		.amdhsa_fp16_overflow 0
		.amdhsa_memory_ordered 1
		.amdhsa_forward_progress 1
		.amdhsa_inst_pref_size 0
		.amdhsa_round_robin_scheduling 0
		.amdhsa_exception_fp_ieee_invalid_op 0
		.amdhsa_exception_fp_denorm_src 0
		.amdhsa_exception_fp_ieee_div_zero 0
		.amdhsa_exception_fp_ieee_overflow 0
		.amdhsa_exception_fp_ieee_underflow 0
		.amdhsa_exception_fp_ieee_inexact 0
		.amdhsa_exception_int_div_zero 0
	.end_amdhsa_kernel
	.section	.text._ZN7rocprim17ROCPRIM_400000_NS6detail17trampoline_kernelINS0_14default_configENS1_38merge_sort_block_merge_config_selectorIiNS0_10empty_typeEEEZZNS1_27merge_sort_block_merge_implIS3_PiPS5_jNS1_19radix_merge_compareILb1ELb0EiNS0_19identity_decomposerEEEEE10hipError_tT0_T1_T2_jT3_P12ihipStream_tbPNSt15iterator_traitsISE_E10value_typeEPNSK_ISF_E10value_typeEPSG_NS1_7vsmem_tEENKUlT_SE_SF_SG_E_clIS8_S8_S9_S9_EESD_ST_SE_SF_SG_EUlST_E1_NS1_11comp_targetILNS1_3genE2ELNS1_11target_archE906ELNS1_3gpuE6ELNS1_3repE0EEENS1_36merge_oddeven_config_static_selectorELNS0_4arch9wavefront6targetE0EEEvSF_,"axG",@progbits,_ZN7rocprim17ROCPRIM_400000_NS6detail17trampoline_kernelINS0_14default_configENS1_38merge_sort_block_merge_config_selectorIiNS0_10empty_typeEEEZZNS1_27merge_sort_block_merge_implIS3_PiPS5_jNS1_19radix_merge_compareILb1ELb0EiNS0_19identity_decomposerEEEEE10hipError_tT0_T1_T2_jT3_P12ihipStream_tbPNSt15iterator_traitsISE_E10value_typeEPNSK_ISF_E10value_typeEPSG_NS1_7vsmem_tEENKUlT_SE_SF_SG_E_clIS8_S8_S9_S9_EESD_ST_SE_SF_SG_EUlST_E1_NS1_11comp_targetILNS1_3genE2ELNS1_11target_archE906ELNS1_3gpuE6ELNS1_3repE0EEENS1_36merge_oddeven_config_static_selectorELNS0_4arch9wavefront6targetE0EEEvSF_,comdat
.Lfunc_end788:
	.size	_ZN7rocprim17ROCPRIM_400000_NS6detail17trampoline_kernelINS0_14default_configENS1_38merge_sort_block_merge_config_selectorIiNS0_10empty_typeEEEZZNS1_27merge_sort_block_merge_implIS3_PiPS5_jNS1_19radix_merge_compareILb1ELb0EiNS0_19identity_decomposerEEEEE10hipError_tT0_T1_T2_jT3_P12ihipStream_tbPNSt15iterator_traitsISE_E10value_typeEPNSK_ISF_E10value_typeEPSG_NS1_7vsmem_tEENKUlT_SE_SF_SG_E_clIS8_S8_S9_S9_EESD_ST_SE_SF_SG_EUlST_E1_NS1_11comp_targetILNS1_3genE2ELNS1_11target_archE906ELNS1_3gpuE6ELNS1_3repE0EEENS1_36merge_oddeven_config_static_selectorELNS0_4arch9wavefront6targetE0EEEvSF_, .Lfunc_end788-_ZN7rocprim17ROCPRIM_400000_NS6detail17trampoline_kernelINS0_14default_configENS1_38merge_sort_block_merge_config_selectorIiNS0_10empty_typeEEEZZNS1_27merge_sort_block_merge_implIS3_PiPS5_jNS1_19radix_merge_compareILb1ELb0EiNS0_19identity_decomposerEEEEE10hipError_tT0_T1_T2_jT3_P12ihipStream_tbPNSt15iterator_traitsISE_E10value_typeEPNSK_ISF_E10value_typeEPSG_NS1_7vsmem_tEENKUlT_SE_SF_SG_E_clIS8_S8_S9_S9_EESD_ST_SE_SF_SG_EUlST_E1_NS1_11comp_targetILNS1_3genE2ELNS1_11target_archE906ELNS1_3gpuE6ELNS1_3repE0EEENS1_36merge_oddeven_config_static_selectorELNS0_4arch9wavefront6targetE0EEEvSF_
                                        ; -- End function
	.set _ZN7rocprim17ROCPRIM_400000_NS6detail17trampoline_kernelINS0_14default_configENS1_38merge_sort_block_merge_config_selectorIiNS0_10empty_typeEEEZZNS1_27merge_sort_block_merge_implIS3_PiPS5_jNS1_19radix_merge_compareILb1ELb0EiNS0_19identity_decomposerEEEEE10hipError_tT0_T1_T2_jT3_P12ihipStream_tbPNSt15iterator_traitsISE_E10value_typeEPNSK_ISF_E10value_typeEPSG_NS1_7vsmem_tEENKUlT_SE_SF_SG_E_clIS8_S8_S9_S9_EESD_ST_SE_SF_SG_EUlST_E1_NS1_11comp_targetILNS1_3genE2ELNS1_11target_archE906ELNS1_3gpuE6ELNS1_3repE0EEENS1_36merge_oddeven_config_static_selectorELNS0_4arch9wavefront6targetE0EEEvSF_.num_vgpr, 0
	.set _ZN7rocprim17ROCPRIM_400000_NS6detail17trampoline_kernelINS0_14default_configENS1_38merge_sort_block_merge_config_selectorIiNS0_10empty_typeEEEZZNS1_27merge_sort_block_merge_implIS3_PiPS5_jNS1_19radix_merge_compareILb1ELb0EiNS0_19identity_decomposerEEEEE10hipError_tT0_T1_T2_jT3_P12ihipStream_tbPNSt15iterator_traitsISE_E10value_typeEPNSK_ISF_E10value_typeEPSG_NS1_7vsmem_tEENKUlT_SE_SF_SG_E_clIS8_S8_S9_S9_EESD_ST_SE_SF_SG_EUlST_E1_NS1_11comp_targetILNS1_3genE2ELNS1_11target_archE906ELNS1_3gpuE6ELNS1_3repE0EEENS1_36merge_oddeven_config_static_selectorELNS0_4arch9wavefront6targetE0EEEvSF_.num_agpr, 0
	.set _ZN7rocprim17ROCPRIM_400000_NS6detail17trampoline_kernelINS0_14default_configENS1_38merge_sort_block_merge_config_selectorIiNS0_10empty_typeEEEZZNS1_27merge_sort_block_merge_implIS3_PiPS5_jNS1_19radix_merge_compareILb1ELb0EiNS0_19identity_decomposerEEEEE10hipError_tT0_T1_T2_jT3_P12ihipStream_tbPNSt15iterator_traitsISE_E10value_typeEPNSK_ISF_E10value_typeEPSG_NS1_7vsmem_tEENKUlT_SE_SF_SG_E_clIS8_S8_S9_S9_EESD_ST_SE_SF_SG_EUlST_E1_NS1_11comp_targetILNS1_3genE2ELNS1_11target_archE906ELNS1_3gpuE6ELNS1_3repE0EEENS1_36merge_oddeven_config_static_selectorELNS0_4arch9wavefront6targetE0EEEvSF_.numbered_sgpr, 0
	.set _ZN7rocprim17ROCPRIM_400000_NS6detail17trampoline_kernelINS0_14default_configENS1_38merge_sort_block_merge_config_selectorIiNS0_10empty_typeEEEZZNS1_27merge_sort_block_merge_implIS3_PiPS5_jNS1_19radix_merge_compareILb1ELb0EiNS0_19identity_decomposerEEEEE10hipError_tT0_T1_T2_jT3_P12ihipStream_tbPNSt15iterator_traitsISE_E10value_typeEPNSK_ISF_E10value_typeEPSG_NS1_7vsmem_tEENKUlT_SE_SF_SG_E_clIS8_S8_S9_S9_EESD_ST_SE_SF_SG_EUlST_E1_NS1_11comp_targetILNS1_3genE2ELNS1_11target_archE906ELNS1_3gpuE6ELNS1_3repE0EEENS1_36merge_oddeven_config_static_selectorELNS0_4arch9wavefront6targetE0EEEvSF_.num_named_barrier, 0
	.set _ZN7rocprim17ROCPRIM_400000_NS6detail17trampoline_kernelINS0_14default_configENS1_38merge_sort_block_merge_config_selectorIiNS0_10empty_typeEEEZZNS1_27merge_sort_block_merge_implIS3_PiPS5_jNS1_19radix_merge_compareILb1ELb0EiNS0_19identity_decomposerEEEEE10hipError_tT0_T1_T2_jT3_P12ihipStream_tbPNSt15iterator_traitsISE_E10value_typeEPNSK_ISF_E10value_typeEPSG_NS1_7vsmem_tEENKUlT_SE_SF_SG_E_clIS8_S8_S9_S9_EESD_ST_SE_SF_SG_EUlST_E1_NS1_11comp_targetILNS1_3genE2ELNS1_11target_archE906ELNS1_3gpuE6ELNS1_3repE0EEENS1_36merge_oddeven_config_static_selectorELNS0_4arch9wavefront6targetE0EEEvSF_.private_seg_size, 0
	.set _ZN7rocprim17ROCPRIM_400000_NS6detail17trampoline_kernelINS0_14default_configENS1_38merge_sort_block_merge_config_selectorIiNS0_10empty_typeEEEZZNS1_27merge_sort_block_merge_implIS3_PiPS5_jNS1_19radix_merge_compareILb1ELb0EiNS0_19identity_decomposerEEEEE10hipError_tT0_T1_T2_jT3_P12ihipStream_tbPNSt15iterator_traitsISE_E10value_typeEPNSK_ISF_E10value_typeEPSG_NS1_7vsmem_tEENKUlT_SE_SF_SG_E_clIS8_S8_S9_S9_EESD_ST_SE_SF_SG_EUlST_E1_NS1_11comp_targetILNS1_3genE2ELNS1_11target_archE906ELNS1_3gpuE6ELNS1_3repE0EEENS1_36merge_oddeven_config_static_selectorELNS0_4arch9wavefront6targetE0EEEvSF_.uses_vcc, 0
	.set _ZN7rocprim17ROCPRIM_400000_NS6detail17trampoline_kernelINS0_14default_configENS1_38merge_sort_block_merge_config_selectorIiNS0_10empty_typeEEEZZNS1_27merge_sort_block_merge_implIS3_PiPS5_jNS1_19radix_merge_compareILb1ELb0EiNS0_19identity_decomposerEEEEE10hipError_tT0_T1_T2_jT3_P12ihipStream_tbPNSt15iterator_traitsISE_E10value_typeEPNSK_ISF_E10value_typeEPSG_NS1_7vsmem_tEENKUlT_SE_SF_SG_E_clIS8_S8_S9_S9_EESD_ST_SE_SF_SG_EUlST_E1_NS1_11comp_targetILNS1_3genE2ELNS1_11target_archE906ELNS1_3gpuE6ELNS1_3repE0EEENS1_36merge_oddeven_config_static_selectorELNS0_4arch9wavefront6targetE0EEEvSF_.uses_flat_scratch, 0
	.set _ZN7rocprim17ROCPRIM_400000_NS6detail17trampoline_kernelINS0_14default_configENS1_38merge_sort_block_merge_config_selectorIiNS0_10empty_typeEEEZZNS1_27merge_sort_block_merge_implIS3_PiPS5_jNS1_19radix_merge_compareILb1ELb0EiNS0_19identity_decomposerEEEEE10hipError_tT0_T1_T2_jT3_P12ihipStream_tbPNSt15iterator_traitsISE_E10value_typeEPNSK_ISF_E10value_typeEPSG_NS1_7vsmem_tEENKUlT_SE_SF_SG_E_clIS8_S8_S9_S9_EESD_ST_SE_SF_SG_EUlST_E1_NS1_11comp_targetILNS1_3genE2ELNS1_11target_archE906ELNS1_3gpuE6ELNS1_3repE0EEENS1_36merge_oddeven_config_static_selectorELNS0_4arch9wavefront6targetE0EEEvSF_.has_dyn_sized_stack, 0
	.set _ZN7rocprim17ROCPRIM_400000_NS6detail17trampoline_kernelINS0_14default_configENS1_38merge_sort_block_merge_config_selectorIiNS0_10empty_typeEEEZZNS1_27merge_sort_block_merge_implIS3_PiPS5_jNS1_19radix_merge_compareILb1ELb0EiNS0_19identity_decomposerEEEEE10hipError_tT0_T1_T2_jT3_P12ihipStream_tbPNSt15iterator_traitsISE_E10value_typeEPNSK_ISF_E10value_typeEPSG_NS1_7vsmem_tEENKUlT_SE_SF_SG_E_clIS8_S8_S9_S9_EESD_ST_SE_SF_SG_EUlST_E1_NS1_11comp_targetILNS1_3genE2ELNS1_11target_archE906ELNS1_3gpuE6ELNS1_3repE0EEENS1_36merge_oddeven_config_static_selectorELNS0_4arch9wavefront6targetE0EEEvSF_.has_recursion, 0
	.set _ZN7rocprim17ROCPRIM_400000_NS6detail17trampoline_kernelINS0_14default_configENS1_38merge_sort_block_merge_config_selectorIiNS0_10empty_typeEEEZZNS1_27merge_sort_block_merge_implIS3_PiPS5_jNS1_19radix_merge_compareILb1ELb0EiNS0_19identity_decomposerEEEEE10hipError_tT0_T1_T2_jT3_P12ihipStream_tbPNSt15iterator_traitsISE_E10value_typeEPNSK_ISF_E10value_typeEPSG_NS1_7vsmem_tEENKUlT_SE_SF_SG_E_clIS8_S8_S9_S9_EESD_ST_SE_SF_SG_EUlST_E1_NS1_11comp_targetILNS1_3genE2ELNS1_11target_archE906ELNS1_3gpuE6ELNS1_3repE0EEENS1_36merge_oddeven_config_static_selectorELNS0_4arch9wavefront6targetE0EEEvSF_.has_indirect_call, 0
	.section	.AMDGPU.csdata,"",@progbits
; Kernel info:
; codeLenInByte = 0
; TotalNumSgprs: 0
; NumVgprs: 0
; ScratchSize: 0
; MemoryBound: 0
; FloatMode: 240
; IeeeMode: 1
; LDSByteSize: 0 bytes/workgroup (compile time only)
; SGPRBlocks: 0
; VGPRBlocks: 0
; NumSGPRsForWavesPerEU: 1
; NumVGPRsForWavesPerEU: 1
; NamedBarCnt: 0
; Occupancy: 16
; WaveLimiterHint : 0
; COMPUTE_PGM_RSRC2:SCRATCH_EN: 0
; COMPUTE_PGM_RSRC2:USER_SGPR: 2
; COMPUTE_PGM_RSRC2:TRAP_HANDLER: 0
; COMPUTE_PGM_RSRC2:TGID_X_EN: 1
; COMPUTE_PGM_RSRC2:TGID_Y_EN: 0
; COMPUTE_PGM_RSRC2:TGID_Z_EN: 0
; COMPUTE_PGM_RSRC2:TIDIG_COMP_CNT: 0
	.section	.text._ZN7rocprim17ROCPRIM_400000_NS6detail17trampoline_kernelINS0_14default_configENS1_38merge_sort_block_merge_config_selectorIiNS0_10empty_typeEEEZZNS1_27merge_sort_block_merge_implIS3_PiPS5_jNS1_19radix_merge_compareILb1ELb0EiNS0_19identity_decomposerEEEEE10hipError_tT0_T1_T2_jT3_P12ihipStream_tbPNSt15iterator_traitsISE_E10value_typeEPNSK_ISF_E10value_typeEPSG_NS1_7vsmem_tEENKUlT_SE_SF_SG_E_clIS8_S8_S9_S9_EESD_ST_SE_SF_SG_EUlST_E1_NS1_11comp_targetILNS1_3genE9ELNS1_11target_archE1100ELNS1_3gpuE3ELNS1_3repE0EEENS1_36merge_oddeven_config_static_selectorELNS0_4arch9wavefront6targetE0EEEvSF_,"axG",@progbits,_ZN7rocprim17ROCPRIM_400000_NS6detail17trampoline_kernelINS0_14default_configENS1_38merge_sort_block_merge_config_selectorIiNS0_10empty_typeEEEZZNS1_27merge_sort_block_merge_implIS3_PiPS5_jNS1_19radix_merge_compareILb1ELb0EiNS0_19identity_decomposerEEEEE10hipError_tT0_T1_T2_jT3_P12ihipStream_tbPNSt15iterator_traitsISE_E10value_typeEPNSK_ISF_E10value_typeEPSG_NS1_7vsmem_tEENKUlT_SE_SF_SG_E_clIS8_S8_S9_S9_EESD_ST_SE_SF_SG_EUlST_E1_NS1_11comp_targetILNS1_3genE9ELNS1_11target_archE1100ELNS1_3gpuE3ELNS1_3repE0EEENS1_36merge_oddeven_config_static_selectorELNS0_4arch9wavefront6targetE0EEEvSF_,comdat
	.protected	_ZN7rocprim17ROCPRIM_400000_NS6detail17trampoline_kernelINS0_14default_configENS1_38merge_sort_block_merge_config_selectorIiNS0_10empty_typeEEEZZNS1_27merge_sort_block_merge_implIS3_PiPS5_jNS1_19radix_merge_compareILb1ELb0EiNS0_19identity_decomposerEEEEE10hipError_tT0_T1_T2_jT3_P12ihipStream_tbPNSt15iterator_traitsISE_E10value_typeEPNSK_ISF_E10value_typeEPSG_NS1_7vsmem_tEENKUlT_SE_SF_SG_E_clIS8_S8_S9_S9_EESD_ST_SE_SF_SG_EUlST_E1_NS1_11comp_targetILNS1_3genE9ELNS1_11target_archE1100ELNS1_3gpuE3ELNS1_3repE0EEENS1_36merge_oddeven_config_static_selectorELNS0_4arch9wavefront6targetE0EEEvSF_ ; -- Begin function _ZN7rocprim17ROCPRIM_400000_NS6detail17trampoline_kernelINS0_14default_configENS1_38merge_sort_block_merge_config_selectorIiNS0_10empty_typeEEEZZNS1_27merge_sort_block_merge_implIS3_PiPS5_jNS1_19radix_merge_compareILb1ELb0EiNS0_19identity_decomposerEEEEE10hipError_tT0_T1_T2_jT3_P12ihipStream_tbPNSt15iterator_traitsISE_E10value_typeEPNSK_ISF_E10value_typeEPSG_NS1_7vsmem_tEENKUlT_SE_SF_SG_E_clIS8_S8_S9_S9_EESD_ST_SE_SF_SG_EUlST_E1_NS1_11comp_targetILNS1_3genE9ELNS1_11target_archE1100ELNS1_3gpuE3ELNS1_3repE0EEENS1_36merge_oddeven_config_static_selectorELNS0_4arch9wavefront6targetE0EEEvSF_
	.globl	_ZN7rocprim17ROCPRIM_400000_NS6detail17trampoline_kernelINS0_14default_configENS1_38merge_sort_block_merge_config_selectorIiNS0_10empty_typeEEEZZNS1_27merge_sort_block_merge_implIS3_PiPS5_jNS1_19radix_merge_compareILb1ELb0EiNS0_19identity_decomposerEEEEE10hipError_tT0_T1_T2_jT3_P12ihipStream_tbPNSt15iterator_traitsISE_E10value_typeEPNSK_ISF_E10value_typeEPSG_NS1_7vsmem_tEENKUlT_SE_SF_SG_E_clIS8_S8_S9_S9_EESD_ST_SE_SF_SG_EUlST_E1_NS1_11comp_targetILNS1_3genE9ELNS1_11target_archE1100ELNS1_3gpuE3ELNS1_3repE0EEENS1_36merge_oddeven_config_static_selectorELNS0_4arch9wavefront6targetE0EEEvSF_
	.p2align	8
	.type	_ZN7rocprim17ROCPRIM_400000_NS6detail17trampoline_kernelINS0_14default_configENS1_38merge_sort_block_merge_config_selectorIiNS0_10empty_typeEEEZZNS1_27merge_sort_block_merge_implIS3_PiPS5_jNS1_19radix_merge_compareILb1ELb0EiNS0_19identity_decomposerEEEEE10hipError_tT0_T1_T2_jT3_P12ihipStream_tbPNSt15iterator_traitsISE_E10value_typeEPNSK_ISF_E10value_typeEPSG_NS1_7vsmem_tEENKUlT_SE_SF_SG_E_clIS8_S8_S9_S9_EESD_ST_SE_SF_SG_EUlST_E1_NS1_11comp_targetILNS1_3genE9ELNS1_11target_archE1100ELNS1_3gpuE3ELNS1_3repE0EEENS1_36merge_oddeven_config_static_selectorELNS0_4arch9wavefront6targetE0EEEvSF_,@function
_ZN7rocprim17ROCPRIM_400000_NS6detail17trampoline_kernelINS0_14default_configENS1_38merge_sort_block_merge_config_selectorIiNS0_10empty_typeEEEZZNS1_27merge_sort_block_merge_implIS3_PiPS5_jNS1_19radix_merge_compareILb1ELb0EiNS0_19identity_decomposerEEEEE10hipError_tT0_T1_T2_jT3_P12ihipStream_tbPNSt15iterator_traitsISE_E10value_typeEPNSK_ISF_E10value_typeEPSG_NS1_7vsmem_tEENKUlT_SE_SF_SG_E_clIS8_S8_S9_S9_EESD_ST_SE_SF_SG_EUlST_E1_NS1_11comp_targetILNS1_3genE9ELNS1_11target_archE1100ELNS1_3gpuE3ELNS1_3repE0EEENS1_36merge_oddeven_config_static_selectorELNS0_4arch9wavefront6targetE0EEEvSF_: ; @_ZN7rocprim17ROCPRIM_400000_NS6detail17trampoline_kernelINS0_14default_configENS1_38merge_sort_block_merge_config_selectorIiNS0_10empty_typeEEEZZNS1_27merge_sort_block_merge_implIS3_PiPS5_jNS1_19radix_merge_compareILb1ELb0EiNS0_19identity_decomposerEEEEE10hipError_tT0_T1_T2_jT3_P12ihipStream_tbPNSt15iterator_traitsISE_E10value_typeEPNSK_ISF_E10value_typeEPSG_NS1_7vsmem_tEENKUlT_SE_SF_SG_E_clIS8_S8_S9_S9_EESD_ST_SE_SF_SG_EUlST_E1_NS1_11comp_targetILNS1_3genE9ELNS1_11target_archE1100ELNS1_3gpuE3ELNS1_3repE0EEENS1_36merge_oddeven_config_static_selectorELNS0_4arch9wavefront6targetE0EEEvSF_
; %bb.0:
	.section	.rodata,"a",@progbits
	.p2align	6, 0x0
	.amdhsa_kernel _ZN7rocprim17ROCPRIM_400000_NS6detail17trampoline_kernelINS0_14default_configENS1_38merge_sort_block_merge_config_selectorIiNS0_10empty_typeEEEZZNS1_27merge_sort_block_merge_implIS3_PiPS5_jNS1_19radix_merge_compareILb1ELb0EiNS0_19identity_decomposerEEEEE10hipError_tT0_T1_T2_jT3_P12ihipStream_tbPNSt15iterator_traitsISE_E10value_typeEPNSK_ISF_E10value_typeEPSG_NS1_7vsmem_tEENKUlT_SE_SF_SG_E_clIS8_S8_S9_S9_EESD_ST_SE_SF_SG_EUlST_E1_NS1_11comp_targetILNS1_3genE9ELNS1_11target_archE1100ELNS1_3gpuE3ELNS1_3repE0EEENS1_36merge_oddeven_config_static_selectorELNS0_4arch9wavefront6targetE0EEEvSF_
		.amdhsa_group_segment_fixed_size 0
		.amdhsa_private_segment_fixed_size 0
		.amdhsa_kernarg_size 48
		.amdhsa_user_sgpr_count 2
		.amdhsa_user_sgpr_dispatch_ptr 0
		.amdhsa_user_sgpr_queue_ptr 0
		.amdhsa_user_sgpr_kernarg_segment_ptr 1
		.amdhsa_user_sgpr_dispatch_id 0
		.amdhsa_user_sgpr_kernarg_preload_length 0
		.amdhsa_user_sgpr_kernarg_preload_offset 0
		.amdhsa_user_sgpr_private_segment_size 0
		.amdhsa_wavefront_size32 1
		.amdhsa_uses_dynamic_stack 0
		.amdhsa_enable_private_segment 0
		.amdhsa_system_sgpr_workgroup_id_x 1
		.amdhsa_system_sgpr_workgroup_id_y 0
		.amdhsa_system_sgpr_workgroup_id_z 0
		.amdhsa_system_sgpr_workgroup_info 0
		.amdhsa_system_vgpr_workitem_id 0
		.amdhsa_next_free_vgpr 1
		.amdhsa_next_free_sgpr 1
		.amdhsa_named_barrier_count 0
		.amdhsa_reserve_vcc 0
		.amdhsa_float_round_mode_32 0
		.amdhsa_float_round_mode_16_64 0
		.amdhsa_float_denorm_mode_32 3
		.amdhsa_float_denorm_mode_16_64 3
		.amdhsa_fp16_overflow 0
		.amdhsa_memory_ordered 1
		.amdhsa_forward_progress 1
		.amdhsa_inst_pref_size 0
		.amdhsa_round_robin_scheduling 0
		.amdhsa_exception_fp_ieee_invalid_op 0
		.amdhsa_exception_fp_denorm_src 0
		.amdhsa_exception_fp_ieee_div_zero 0
		.amdhsa_exception_fp_ieee_overflow 0
		.amdhsa_exception_fp_ieee_underflow 0
		.amdhsa_exception_fp_ieee_inexact 0
		.amdhsa_exception_int_div_zero 0
	.end_amdhsa_kernel
	.section	.text._ZN7rocprim17ROCPRIM_400000_NS6detail17trampoline_kernelINS0_14default_configENS1_38merge_sort_block_merge_config_selectorIiNS0_10empty_typeEEEZZNS1_27merge_sort_block_merge_implIS3_PiPS5_jNS1_19radix_merge_compareILb1ELb0EiNS0_19identity_decomposerEEEEE10hipError_tT0_T1_T2_jT3_P12ihipStream_tbPNSt15iterator_traitsISE_E10value_typeEPNSK_ISF_E10value_typeEPSG_NS1_7vsmem_tEENKUlT_SE_SF_SG_E_clIS8_S8_S9_S9_EESD_ST_SE_SF_SG_EUlST_E1_NS1_11comp_targetILNS1_3genE9ELNS1_11target_archE1100ELNS1_3gpuE3ELNS1_3repE0EEENS1_36merge_oddeven_config_static_selectorELNS0_4arch9wavefront6targetE0EEEvSF_,"axG",@progbits,_ZN7rocprim17ROCPRIM_400000_NS6detail17trampoline_kernelINS0_14default_configENS1_38merge_sort_block_merge_config_selectorIiNS0_10empty_typeEEEZZNS1_27merge_sort_block_merge_implIS3_PiPS5_jNS1_19radix_merge_compareILb1ELb0EiNS0_19identity_decomposerEEEEE10hipError_tT0_T1_T2_jT3_P12ihipStream_tbPNSt15iterator_traitsISE_E10value_typeEPNSK_ISF_E10value_typeEPSG_NS1_7vsmem_tEENKUlT_SE_SF_SG_E_clIS8_S8_S9_S9_EESD_ST_SE_SF_SG_EUlST_E1_NS1_11comp_targetILNS1_3genE9ELNS1_11target_archE1100ELNS1_3gpuE3ELNS1_3repE0EEENS1_36merge_oddeven_config_static_selectorELNS0_4arch9wavefront6targetE0EEEvSF_,comdat
.Lfunc_end789:
	.size	_ZN7rocprim17ROCPRIM_400000_NS6detail17trampoline_kernelINS0_14default_configENS1_38merge_sort_block_merge_config_selectorIiNS0_10empty_typeEEEZZNS1_27merge_sort_block_merge_implIS3_PiPS5_jNS1_19radix_merge_compareILb1ELb0EiNS0_19identity_decomposerEEEEE10hipError_tT0_T1_T2_jT3_P12ihipStream_tbPNSt15iterator_traitsISE_E10value_typeEPNSK_ISF_E10value_typeEPSG_NS1_7vsmem_tEENKUlT_SE_SF_SG_E_clIS8_S8_S9_S9_EESD_ST_SE_SF_SG_EUlST_E1_NS1_11comp_targetILNS1_3genE9ELNS1_11target_archE1100ELNS1_3gpuE3ELNS1_3repE0EEENS1_36merge_oddeven_config_static_selectorELNS0_4arch9wavefront6targetE0EEEvSF_, .Lfunc_end789-_ZN7rocprim17ROCPRIM_400000_NS6detail17trampoline_kernelINS0_14default_configENS1_38merge_sort_block_merge_config_selectorIiNS0_10empty_typeEEEZZNS1_27merge_sort_block_merge_implIS3_PiPS5_jNS1_19radix_merge_compareILb1ELb0EiNS0_19identity_decomposerEEEEE10hipError_tT0_T1_T2_jT3_P12ihipStream_tbPNSt15iterator_traitsISE_E10value_typeEPNSK_ISF_E10value_typeEPSG_NS1_7vsmem_tEENKUlT_SE_SF_SG_E_clIS8_S8_S9_S9_EESD_ST_SE_SF_SG_EUlST_E1_NS1_11comp_targetILNS1_3genE9ELNS1_11target_archE1100ELNS1_3gpuE3ELNS1_3repE0EEENS1_36merge_oddeven_config_static_selectorELNS0_4arch9wavefront6targetE0EEEvSF_
                                        ; -- End function
	.set _ZN7rocprim17ROCPRIM_400000_NS6detail17trampoline_kernelINS0_14default_configENS1_38merge_sort_block_merge_config_selectorIiNS0_10empty_typeEEEZZNS1_27merge_sort_block_merge_implIS3_PiPS5_jNS1_19radix_merge_compareILb1ELb0EiNS0_19identity_decomposerEEEEE10hipError_tT0_T1_T2_jT3_P12ihipStream_tbPNSt15iterator_traitsISE_E10value_typeEPNSK_ISF_E10value_typeEPSG_NS1_7vsmem_tEENKUlT_SE_SF_SG_E_clIS8_S8_S9_S9_EESD_ST_SE_SF_SG_EUlST_E1_NS1_11comp_targetILNS1_3genE9ELNS1_11target_archE1100ELNS1_3gpuE3ELNS1_3repE0EEENS1_36merge_oddeven_config_static_selectorELNS0_4arch9wavefront6targetE0EEEvSF_.num_vgpr, 0
	.set _ZN7rocprim17ROCPRIM_400000_NS6detail17trampoline_kernelINS0_14default_configENS1_38merge_sort_block_merge_config_selectorIiNS0_10empty_typeEEEZZNS1_27merge_sort_block_merge_implIS3_PiPS5_jNS1_19radix_merge_compareILb1ELb0EiNS0_19identity_decomposerEEEEE10hipError_tT0_T1_T2_jT3_P12ihipStream_tbPNSt15iterator_traitsISE_E10value_typeEPNSK_ISF_E10value_typeEPSG_NS1_7vsmem_tEENKUlT_SE_SF_SG_E_clIS8_S8_S9_S9_EESD_ST_SE_SF_SG_EUlST_E1_NS1_11comp_targetILNS1_3genE9ELNS1_11target_archE1100ELNS1_3gpuE3ELNS1_3repE0EEENS1_36merge_oddeven_config_static_selectorELNS0_4arch9wavefront6targetE0EEEvSF_.num_agpr, 0
	.set _ZN7rocprim17ROCPRIM_400000_NS6detail17trampoline_kernelINS0_14default_configENS1_38merge_sort_block_merge_config_selectorIiNS0_10empty_typeEEEZZNS1_27merge_sort_block_merge_implIS3_PiPS5_jNS1_19radix_merge_compareILb1ELb0EiNS0_19identity_decomposerEEEEE10hipError_tT0_T1_T2_jT3_P12ihipStream_tbPNSt15iterator_traitsISE_E10value_typeEPNSK_ISF_E10value_typeEPSG_NS1_7vsmem_tEENKUlT_SE_SF_SG_E_clIS8_S8_S9_S9_EESD_ST_SE_SF_SG_EUlST_E1_NS1_11comp_targetILNS1_3genE9ELNS1_11target_archE1100ELNS1_3gpuE3ELNS1_3repE0EEENS1_36merge_oddeven_config_static_selectorELNS0_4arch9wavefront6targetE0EEEvSF_.numbered_sgpr, 0
	.set _ZN7rocprim17ROCPRIM_400000_NS6detail17trampoline_kernelINS0_14default_configENS1_38merge_sort_block_merge_config_selectorIiNS0_10empty_typeEEEZZNS1_27merge_sort_block_merge_implIS3_PiPS5_jNS1_19radix_merge_compareILb1ELb0EiNS0_19identity_decomposerEEEEE10hipError_tT0_T1_T2_jT3_P12ihipStream_tbPNSt15iterator_traitsISE_E10value_typeEPNSK_ISF_E10value_typeEPSG_NS1_7vsmem_tEENKUlT_SE_SF_SG_E_clIS8_S8_S9_S9_EESD_ST_SE_SF_SG_EUlST_E1_NS1_11comp_targetILNS1_3genE9ELNS1_11target_archE1100ELNS1_3gpuE3ELNS1_3repE0EEENS1_36merge_oddeven_config_static_selectorELNS0_4arch9wavefront6targetE0EEEvSF_.num_named_barrier, 0
	.set _ZN7rocprim17ROCPRIM_400000_NS6detail17trampoline_kernelINS0_14default_configENS1_38merge_sort_block_merge_config_selectorIiNS0_10empty_typeEEEZZNS1_27merge_sort_block_merge_implIS3_PiPS5_jNS1_19radix_merge_compareILb1ELb0EiNS0_19identity_decomposerEEEEE10hipError_tT0_T1_T2_jT3_P12ihipStream_tbPNSt15iterator_traitsISE_E10value_typeEPNSK_ISF_E10value_typeEPSG_NS1_7vsmem_tEENKUlT_SE_SF_SG_E_clIS8_S8_S9_S9_EESD_ST_SE_SF_SG_EUlST_E1_NS1_11comp_targetILNS1_3genE9ELNS1_11target_archE1100ELNS1_3gpuE3ELNS1_3repE0EEENS1_36merge_oddeven_config_static_selectorELNS0_4arch9wavefront6targetE0EEEvSF_.private_seg_size, 0
	.set _ZN7rocprim17ROCPRIM_400000_NS6detail17trampoline_kernelINS0_14default_configENS1_38merge_sort_block_merge_config_selectorIiNS0_10empty_typeEEEZZNS1_27merge_sort_block_merge_implIS3_PiPS5_jNS1_19radix_merge_compareILb1ELb0EiNS0_19identity_decomposerEEEEE10hipError_tT0_T1_T2_jT3_P12ihipStream_tbPNSt15iterator_traitsISE_E10value_typeEPNSK_ISF_E10value_typeEPSG_NS1_7vsmem_tEENKUlT_SE_SF_SG_E_clIS8_S8_S9_S9_EESD_ST_SE_SF_SG_EUlST_E1_NS1_11comp_targetILNS1_3genE9ELNS1_11target_archE1100ELNS1_3gpuE3ELNS1_3repE0EEENS1_36merge_oddeven_config_static_selectorELNS0_4arch9wavefront6targetE0EEEvSF_.uses_vcc, 0
	.set _ZN7rocprim17ROCPRIM_400000_NS6detail17trampoline_kernelINS0_14default_configENS1_38merge_sort_block_merge_config_selectorIiNS0_10empty_typeEEEZZNS1_27merge_sort_block_merge_implIS3_PiPS5_jNS1_19radix_merge_compareILb1ELb0EiNS0_19identity_decomposerEEEEE10hipError_tT0_T1_T2_jT3_P12ihipStream_tbPNSt15iterator_traitsISE_E10value_typeEPNSK_ISF_E10value_typeEPSG_NS1_7vsmem_tEENKUlT_SE_SF_SG_E_clIS8_S8_S9_S9_EESD_ST_SE_SF_SG_EUlST_E1_NS1_11comp_targetILNS1_3genE9ELNS1_11target_archE1100ELNS1_3gpuE3ELNS1_3repE0EEENS1_36merge_oddeven_config_static_selectorELNS0_4arch9wavefront6targetE0EEEvSF_.uses_flat_scratch, 0
	.set _ZN7rocprim17ROCPRIM_400000_NS6detail17trampoline_kernelINS0_14default_configENS1_38merge_sort_block_merge_config_selectorIiNS0_10empty_typeEEEZZNS1_27merge_sort_block_merge_implIS3_PiPS5_jNS1_19radix_merge_compareILb1ELb0EiNS0_19identity_decomposerEEEEE10hipError_tT0_T1_T2_jT3_P12ihipStream_tbPNSt15iterator_traitsISE_E10value_typeEPNSK_ISF_E10value_typeEPSG_NS1_7vsmem_tEENKUlT_SE_SF_SG_E_clIS8_S8_S9_S9_EESD_ST_SE_SF_SG_EUlST_E1_NS1_11comp_targetILNS1_3genE9ELNS1_11target_archE1100ELNS1_3gpuE3ELNS1_3repE0EEENS1_36merge_oddeven_config_static_selectorELNS0_4arch9wavefront6targetE0EEEvSF_.has_dyn_sized_stack, 0
	.set _ZN7rocprim17ROCPRIM_400000_NS6detail17trampoline_kernelINS0_14default_configENS1_38merge_sort_block_merge_config_selectorIiNS0_10empty_typeEEEZZNS1_27merge_sort_block_merge_implIS3_PiPS5_jNS1_19radix_merge_compareILb1ELb0EiNS0_19identity_decomposerEEEEE10hipError_tT0_T1_T2_jT3_P12ihipStream_tbPNSt15iterator_traitsISE_E10value_typeEPNSK_ISF_E10value_typeEPSG_NS1_7vsmem_tEENKUlT_SE_SF_SG_E_clIS8_S8_S9_S9_EESD_ST_SE_SF_SG_EUlST_E1_NS1_11comp_targetILNS1_3genE9ELNS1_11target_archE1100ELNS1_3gpuE3ELNS1_3repE0EEENS1_36merge_oddeven_config_static_selectorELNS0_4arch9wavefront6targetE0EEEvSF_.has_recursion, 0
	.set _ZN7rocprim17ROCPRIM_400000_NS6detail17trampoline_kernelINS0_14default_configENS1_38merge_sort_block_merge_config_selectorIiNS0_10empty_typeEEEZZNS1_27merge_sort_block_merge_implIS3_PiPS5_jNS1_19radix_merge_compareILb1ELb0EiNS0_19identity_decomposerEEEEE10hipError_tT0_T1_T2_jT3_P12ihipStream_tbPNSt15iterator_traitsISE_E10value_typeEPNSK_ISF_E10value_typeEPSG_NS1_7vsmem_tEENKUlT_SE_SF_SG_E_clIS8_S8_S9_S9_EESD_ST_SE_SF_SG_EUlST_E1_NS1_11comp_targetILNS1_3genE9ELNS1_11target_archE1100ELNS1_3gpuE3ELNS1_3repE0EEENS1_36merge_oddeven_config_static_selectorELNS0_4arch9wavefront6targetE0EEEvSF_.has_indirect_call, 0
	.section	.AMDGPU.csdata,"",@progbits
; Kernel info:
; codeLenInByte = 0
; TotalNumSgprs: 0
; NumVgprs: 0
; ScratchSize: 0
; MemoryBound: 0
; FloatMode: 240
; IeeeMode: 1
; LDSByteSize: 0 bytes/workgroup (compile time only)
; SGPRBlocks: 0
; VGPRBlocks: 0
; NumSGPRsForWavesPerEU: 1
; NumVGPRsForWavesPerEU: 1
; NamedBarCnt: 0
; Occupancy: 16
; WaveLimiterHint : 0
; COMPUTE_PGM_RSRC2:SCRATCH_EN: 0
; COMPUTE_PGM_RSRC2:USER_SGPR: 2
; COMPUTE_PGM_RSRC2:TRAP_HANDLER: 0
; COMPUTE_PGM_RSRC2:TGID_X_EN: 1
; COMPUTE_PGM_RSRC2:TGID_Y_EN: 0
; COMPUTE_PGM_RSRC2:TGID_Z_EN: 0
; COMPUTE_PGM_RSRC2:TIDIG_COMP_CNT: 0
	.section	.text._ZN7rocprim17ROCPRIM_400000_NS6detail17trampoline_kernelINS0_14default_configENS1_38merge_sort_block_merge_config_selectorIiNS0_10empty_typeEEEZZNS1_27merge_sort_block_merge_implIS3_PiPS5_jNS1_19radix_merge_compareILb1ELb0EiNS0_19identity_decomposerEEEEE10hipError_tT0_T1_T2_jT3_P12ihipStream_tbPNSt15iterator_traitsISE_E10value_typeEPNSK_ISF_E10value_typeEPSG_NS1_7vsmem_tEENKUlT_SE_SF_SG_E_clIS8_S8_S9_S9_EESD_ST_SE_SF_SG_EUlST_E1_NS1_11comp_targetILNS1_3genE8ELNS1_11target_archE1030ELNS1_3gpuE2ELNS1_3repE0EEENS1_36merge_oddeven_config_static_selectorELNS0_4arch9wavefront6targetE0EEEvSF_,"axG",@progbits,_ZN7rocprim17ROCPRIM_400000_NS6detail17trampoline_kernelINS0_14default_configENS1_38merge_sort_block_merge_config_selectorIiNS0_10empty_typeEEEZZNS1_27merge_sort_block_merge_implIS3_PiPS5_jNS1_19radix_merge_compareILb1ELb0EiNS0_19identity_decomposerEEEEE10hipError_tT0_T1_T2_jT3_P12ihipStream_tbPNSt15iterator_traitsISE_E10value_typeEPNSK_ISF_E10value_typeEPSG_NS1_7vsmem_tEENKUlT_SE_SF_SG_E_clIS8_S8_S9_S9_EESD_ST_SE_SF_SG_EUlST_E1_NS1_11comp_targetILNS1_3genE8ELNS1_11target_archE1030ELNS1_3gpuE2ELNS1_3repE0EEENS1_36merge_oddeven_config_static_selectorELNS0_4arch9wavefront6targetE0EEEvSF_,comdat
	.protected	_ZN7rocprim17ROCPRIM_400000_NS6detail17trampoline_kernelINS0_14default_configENS1_38merge_sort_block_merge_config_selectorIiNS0_10empty_typeEEEZZNS1_27merge_sort_block_merge_implIS3_PiPS5_jNS1_19radix_merge_compareILb1ELb0EiNS0_19identity_decomposerEEEEE10hipError_tT0_T1_T2_jT3_P12ihipStream_tbPNSt15iterator_traitsISE_E10value_typeEPNSK_ISF_E10value_typeEPSG_NS1_7vsmem_tEENKUlT_SE_SF_SG_E_clIS8_S8_S9_S9_EESD_ST_SE_SF_SG_EUlST_E1_NS1_11comp_targetILNS1_3genE8ELNS1_11target_archE1030ELNS1_3gpuE2ELNS1_3repE0EEENS1_36merge_oddeven_config_static_selectorELNS0_4arch9wavefront6targetE0EEEvSF_ ; -- Begin function _ZN7rocprim17ROCPRIM_400000_NS6detail17trampoline_kernelINS0_14default_configENS1_38merge_sort_block_merge_config_selectorIiNS0_10empty_typeEEEZZNS1_27merge_sort_block_merge_implIS3_PiPS5_jNS1_19radix_merge_compareILb1ELb0EiNS0_19identity_decomposerEEEEE10hipError_tT0_T1_T2_jT3_P12ihipStream_tbPNSt15iterator_traitsISE_E10value_typeEPNSK_ISF_E10value_typeEPSG_NS1_7vsmem_tEENKUlT_SE_SF_SG_E_clIS8_S8_S9_S9_EESD_ST_SE_SF_SG_EUlST_E1_NS1_11comp_targetILNS1_3genE8ELNS1_11target_archE1030ELNS1_3gpuE2ELNS1_3repE0EEENS1_36merge_oddeven_config_static_selectorELNS0_4arch9wavefront6targetE0EEEvSF_
	.globl	_ZN7rocprim17ROCPRIM_400000_NS6detail17trampoline_kernelINS0_14default_configENS1_38merge_sort_block_merge_config_selectorIiNS0_10empty_typeEEEZZNS1_27merge_sort_block_merge_implIS3_PiPS5_jNS1_19radix_merge_compareILb1ELb0EiNS0_19identity_decomposerEEEEE10hipError_tT0_T1_T2_jT3_P12ihipStream_tbPNSt15iterator_traitsISE_E10value_typeEPNSK_ISF_E10value_typeEPSG_NS1_7vsmem_tEENKUlT_SE_SF_SG_E_clIS8_S8_S9_S9_EESD_ST_SE_SF_SG_EUlST_E1_NS1_11comp_targetILNS1_3genE8ELNS1_11target_archE1030ELNS1_3gpuE2ELNS1_3repE0EEENS1_36merge_oddeven_config_static_selectorELNS0_4arch9wavefront6targetE0EEEvSF_
	.p2align	8
	.type	_ZN7rocprim17ROCPRIM_400000_NS6detail17trampoline_kernelINS0_14default_configENS1_38merge_sort_block_merge_config_selectorIiNS0_10empty_typeEEEZZNS1_27merge_sort_block_merge_implIS3_PiPS5_jNS1_19radix_merge_compareILb1ELb0EiNS0_19identity_decomposerEEEEE10hipError_tT0_T1_T2_jT3_P12ihipStream_tbPNSt15iterator_traitsISE_E10value_typeEPNSK_ISF_E10value_typeEPSG_NS1_7vsmem_tEENKUlT_SE_SF_SG_E_clIS8_S8_S9_S9_EESD_ST_SE_SF_SG_EUlST_E1_NS1_11comp_targetILNS1_3genE8ELNS1_11target_archE1030ELNS1_3gpuE2ELNS1_3repE0EEENS1_36merge_oddeven_config_static_selectorELNS0_4arch9wavefront6targetE0EEEvSF_,@function
_ZN7rocprim17ROCPRIM_400000_NS6detail17trampoline_kernelINS0_14default_configENS1_38merge_sort_block_merge_config_selectorIiNS0_10empty_typeEEEZZNS1_27merge_sort_block_merge_implIS3_PiPS5_jNS1_19radix_merge_compareILb1ELb0EiNS0_19identity_decomposerEEEEE10hipError_tT0_T1_T2_jT3_P12ihipStream_tbPNSt15iterator_traitsISE_E10value_typeEPNSK_ISF_E10value_typeEPSG_NS1_7vsmem_tEENKUlT_SE_SF_SG_E_clIS8_S8_S9_S9_EESD_ST_SE_SF_SG_EUlST_E1_NS1_11comp_targetILNS1_3genE8ELNS1_11target_archE1030ELNS1_3gpuE2ELNS1_3repE0EEENS1_36merge_oddeven_config_static_selectorELNS0_4arch9wavefront6targetE0EEEvSF_: ; @_ZN7rocprim17ROCPRIM_400000_NS6detail17trampoline_kernelINS0_14default_configENS1_38merge_sort_block_merge_config_selectorIiNS0_10empty_typeEEEZZNS1_27merge_sort_block_merge_implIS3_PiPS5_jNS1_19radix_merge_compareILb1ELb0EiNS0_19identity_decomposerEEEEE10hipError_tT0_T1_T2_jT3_P12ihipStream_tbPNSt15iterator_traitsISE_E10value_typeEPNSK_ISF_E10value_typeEPSG_NS1_7vsmem_tEENKUlT_SE_SF_SG_E_clIS8_S8_S9_S9_EESD_ST_SE_SF_SG_EUlST_E1_NS1_11comp_targetILNS1_3genE8ELNS1_11target_archE1030ELNS1_3gpuE2ELNS1_3repE0EEENS1_36merge_oddeven_config_static_selectorELNS0_4arch9wavefront6targetE0EEEvSF_
; %bb.0:
	.section	.rodata,"a",@progbits
	.p2align	6, 0x0
	.amdhsa_kernel _ZN7rocprim17ROCPRIM_400000_NS6detail17trampoline_kernelINS0_14default_configENS1_38merge_sort_block_merge_config_selectorIiNS0_10empty_typeEEEZZNS1_27merge_sort_block_merge_implIS3_PiPS5_jNS1_19radix_merge_compareILb1ELb0EiNS0_19identity_decomposerEEEEE10hipError_tT0_T1_T2_jT3_P12ihipStream_tbPNSt15iterator_traitsISE_E10value_typeEPNSK_ISF_E10value_typeEPSG_NS1_7vsmem_tEENKUlT_SE_SF_SG_E_clIS8_S8_S9_S9_EESD_ST_SE_SF_SG_EUlST_E1_NS1_11comp_targetILNS1_3genE8ELNS1_11target_archE1030ELNS1_3gpuE2ELNS1_3repE0EEENS1_36merge_oddeven_config_static_selectorELNS0_4arch9wavefront6targetE0EEEvSF_
		.amdhsa_group_segment_fixed_size 0
		.amdhsa_private_segment_fixed_size 0
		.amdhsa_kernarg_size 48
		.amdhsa_user_sgpr_count 2
		.amdhsa_user_sgpr_dispatch_ptr 0
		.amdhsa_user_sgpr_queue_ptr 0
		.amdhsa_user_sgpr_kernarg_segment_ptr 1
		.amdhsa_user_sgpr_dispatch_id 0
		.amdhsa_user_sgpr_kernarg_preload_length 0
		.amdhsa_user_sgpr_kernarg_preload_offset 0
		.amdhsa_user_sgpr_private_segment_size 0
		.amdhsa_wavefront_size32 1
		.amdhsa_uses_dynamic_stack 0
		.amdhsa_enable_private_segment 0
		.amdhsa_system_sgpr_workgroup_id_x 1
		.amdhsa_system_sgpr_workgroup_id_y 0
		.amdhsa_system_sgpr_workgroup_id_z 0
		.amdhsa_system_sgpr_workgroup_info 0
		.amdhsa_system_vgpr_workitem_id 0
		.amdhsa_next_free_vgpr 1
		.amdhsa_next_free_sgpr 1
		.amdhsa_named_barrier_count 0
		.amdhsa_reserve_vcc 0
		.amdhsa_float_round_mode_32 0
		.amdhsa_float_round_mode_16_64 0
		.amdhsa_float_denorm_mode_32 3
		.amdhsa_float_denorm_mode_16_64 3
		.amdhsa_fp16_overflow 0
		.amdhsa_memory_ordered 1
		.amdhsa_forward_progress 1
		.amdhsa_inst_pref_size 0
		.amdhsa_round_robin_scheduling 0
		.amdhsa_exception_fp_ieee_invalid_op 0
		.amdhsa_exception_fp_denorm_src 0
		.amdhsa_exception_fp_ieee_div_zero 0
		.amdhsa_exception_fp_ieee_overflow 0
		.amdhsa_exception_fp_ieee_underflow 0
		.amdhsa_exception_fp_ieee_inexact 0
		.amdhsa_exception_int_div_zero 0
	.end_amdhsa_kernel
	.section	.text._ZN7rocprim17ROCPRIM_400000_NS6detail17trampoline_kernelINS0_14default_configENS1_38merge_sort_block_merge_config_selectorIiNS0_10empty_typeEEEZZNS1_27merge_sort_block_merge_implIS3_PiPS5_jNS1_19radix_merge_compareILb1ELb0EiNS0_19identity_decomposerEEEEE10hipError_tT0_T1_T2_jT3_P12ihipStream_tbPNSt15iterator_traitsISE_E10value_typeEPNSK_ISF_E10value_typeEPSG_NS1_7vsmem_tEENKUlT_SE_SF_SG_E_clIS8_S8_S9_S9_EESD_ST_SE_SF_SG_EUlST_E1_NS1_11comp_targetILNS1_3genE8ELNS1_11target_archE1030ELNS1_3gpuE2ELNS1_3repE0EEENS1_36merge_oddeven_config_static_selectorELNS0_4arch9wavefront6targetE0EEEvSF_,"axG",@progbits,_ZN7rocprim17ROCPRIM_400000_NS6detail17trampoline_kernelINS0_14default_configENS1_38merge_sort_block_merge_config_selectorIiNS0_10empty_typeEEEZZNS1_27merge_sort_block_merge_implIS3_PiPS5_jNS1_19radix_merge_compareILb1ELb0EiNS0_19identity_decomposerEEEEE10hipError_tT0_T1_T2_jT3_P12ihipStream_tbPNSt15iterator_traitsISE_E10value_typeEPNSK_ISF_E10value_typeEPSG_NS1_7vsmem_tEENKUlT_SE_SF_SG_E_clIS8_S8_S9_S9_EESD_ST_SE_SF_SG_EUlST_E1_NS1_11comp_targetILNS1_3genE8ELNS1_11target_archE1030ELNS1_3gpuE2ELNS1_3repE0EEENS1_36merge_oddeven_config_static_selectorELNS0_4arch9wavefront6targetE0EEEvSF_,comdat
.Lfunc_end790:
	.size	_ZN7rocprim17ROCPRIM_400000_NS6detail17trampoline_kernelINS0_14default_configENS1_38merge_sort_block_merge_config_selectorIiNS0_10empty_typeEEEZZNS1_27merge_sort_block_merge_implIS3_PiPS5_jNS1_19radix_merge_compareILb1ELb0EiNS0_19identity_decomposerEEEEE10hipError_tT0_T1_T2_jT3_P12ihipStream_tbPNSt15iterator_traitsISE_E10value_typeEPNSK_ISF_E10value_typeEPSG_NS1_7vsmem_tEENKUlT_SE_SF_SG_E_clIS8_S8_S9_S9_EESD_ST_SE_SF_SG_EUlST_E1_NS1_11comp_targetILNS1_3genE8ELNS1_11target_archE1030ELNS1_3gpuE2ELNS1_3repE0EEENS1_36merge_oddeven_config_static_selectorELNS0_4arch9wavefront6targetE0EEEvSF_, .Lfunc_end790-_ZN7rocprim17ROCPRIM_400000_NS6detail17trampoline_kernelINS0_14default_configENS1_38merge_sort_block_merge_config_selectorIiNS0_10empty_typeEEEZZNS1_27merge_sort_block_merge_implIS3_PiPS5_jNS1_19radix_merge_compareILb1ELb0EiNS0_19identity_decomposerEEEEE10hipError_tT0_T1_T2_jT3_P12ihipStream_tbPNSt15iterator_traitsISE_E10value_typeEPNSK_ISF_E10value_typeEPSG_NS1_7vsmem_tEENKUlT_SE_SF_SG_E_clIS8_S8_S9_S9_EESD_ST_SE_SF_SG_EUlST_E1_NS1_11comp_targetILNS1_3genE8ELNS1_11target_archE1030ELNS1_3gpuE2ELNS1_3repE0EEENS1_36merge_oddeven_config_static_selectorELNS0_4arch9wavefront6targetE0EEEvSF_
                                        ; -- End function
	.set _ZN7rocprim17ROCPRIM_400000_NS6detail17trampoline_kernelINS0_14default_configENS1_38merge_sort_block_merge_config_selectorIiNS0_10empty_typeEEEZZNS1_27merge_sort_block_merge_implIS3_PiPS5_jNS1_19radix_merge_compareILb1ELb0EiNS0_19identity_decomposerEEEEE10hipError_tT0_T1_T2_jT3_P12ihipStream_tbPNSt15iterator_traitsISE_E10value_typeEPNSK_ISF_E10value_typeEPSG_NS1_7vsmem_tEENKUlT_SE_SF_SG_E_clIS8_S8_S9_S9_EESD_ST_SE_SF_SG_EUlST_E1_NS1_11comp_targetILNS1_3genE8ELNS1_11target_archE1030ELNS1_3gpuE2ELNS1_3repE0EEENS1_36merge_oddeven_config_static_selectorELNS0_4arch9wavefront6targetE0EEEvSF_.num_vgpr, 0
	.set _ZN7rocprim17ROCPRIM_400000_NS6detail17trampoline_kernelINS0_14default_configENS1_38merge_sort_block_merge_config_selectorIiNS0_10empty_typeEEEZZNS1_27merge_sort_block_merge_implIS3_PiPS5_jNS1_19radix_merge_compareILb1ELb0EiNS0_19identity_decomposerEEEEE10hipError_tT0_T1_T2_jT3_P12ihipStream_tbPNSt15iterator_traitsISE_E10value_typeEPNSK_ISF_E10value_typeEPSG_NS1_7vsmem_tEENKUlT_SE_SF_SG_E_clIS8_S8_S9_S9_EESD_ST_SE_SF_SG_EUlST_E1_NS1_11comp_targetILNS1_3genE8ELNS1_11target_archE1030ELNS1_3gpuE2ELNS1_3repE0EEENS1_36merge_oddeven_config_static_selectorELNS0_4arch9wavefront6targetE0EEEvSF_.num_agpr, 0
	.set _ZN7rocprim17ROCPRIM_400000_NS6detail17trampoline_kernelINS0_14default_configENS1_38merge_sort_block_merge_config_selectorIiNS0_10empty_typeEEEZZNS1_27merge_sort_block_merge_implIS3_PiPS5_jNS1_19radix_merge_compareILb1ELb0EiNS0_19identity_decomposerEEEEE10hipError_tT0_T1_T2_jT3_P12ihipStream_tbPNSt15iterator_traitsISE_E10value_typeEPNSK_ISF_E10value_typeEPSG_NS1_7vsmem_tEENKUlT_SE_SF_SG_E_clIS8_S8_S9_S9_EESD_ST_SE_SF_SG_EUlST_E1_NS1_11comp_targetILNS1_3genE8ELNS1_11target_archE1030ELNS1_3gpuE2ELNS1_3repE0EEENS1_36merge_oddeven_config_static_selectorELNS0_4arch9wavefront6targetE0EEEvSF_.numbered_sgpr, 0
	.set _ZN7rocprim17ROCPRIM_400000_NS6detail17trampoline_kernelINS0_14default_configENS1_38merge_sort_block_merge_config_selectorIiNS0_10empty_typeEEEZZNS1_27merge_sort_block_merge_implIS3_PiPS5_jNS1_19radix_merge_compareILb1ELb0EiNS0_19identity_decomposerEEEEE10hipError_tT0_T1_T2_jT3_P12ihipStream_tbPNSt15iterator_traitsISE_E10value_typeEPNSK_ISF_E10value_typeEPSG_NS1_7vsmem_tEENKUlT_SE_SF_SG_E_clIS8_S8_S9_S9_EESD_ST_SE_SF_SG_EUlST_E1_NS1_11comp_targetILNS1_3genE8ELNS1_11target_archE1030ELNS1_3gpuE2ELNS1_3repE0EEENS1_36merge_oddeven_config_static_selectorELNS0_4arch9wavefront6targetE0EEEvSF_.num_named_barrier, 0
	.set _ZN7rocprim17ROCPRIM_400000_NS6detail17trampoline_kernelINS0_14default_configENS1_38merge_sort_block_merge_config_selectorIiNS0_10empty_typeEEEZZNS1_27merge_sort_block_merge_implIS3_PiPS5_jNS1_19radix_merge_compareILb1ELb0EiNS0_19identity_decomposerEEEEE10hipError_tT0_T1_T2_jT3_P12ihipStream_tbPNSt15iterator_traitsISE_E10value_typeEPNSK_ISF_E10value_typeEPSG_NS1_7vsmem_tEENKUlT_SE_SF_SG_E_clIS8_S8_S9_S9_EESD_ST_SE_SF_SG_EUlST_E1_NS1_11comp_targetILNS1_3genE8ELNS1_11target_archE1030ELNS1_3gpuE2ELNS1_3repE0EEENS1_36merge_oddeven_config_static_selectorELNS0_4arch9wavefront6targetE0EEEvSF_.private_seg_size, 0
	.set _ZN7rocprim17ROCPRIM_400000_NS6detail17trampoline_kernelINS0_14default_configENS1_38merge_sort_block_merge_config_selectorIiNS0_10empty_typeEEEZZNS1_27merge_sort_block_merge_implIS3_PiPS5_jNS1_19radix_merge_compareILb1ELb0EiNS0_19identity_decomposerEEEEE10hipError_tT0_T1_T2_jT3_P12ihipStream_tbPNSt15iterator_traitsISE_E10value_typeEPNSK_ISF_E10value_typeEPSG_NS1_7vsmem_tEENKUlT_SE_SF_SG_E_clIS8_S8_S9_S9_EESD_ST_SE_SF_SG_EUlST_E1_NS1_11comp_targetILNS1_3genE8ELNS1_11target_archE1030ELNS1_3gpuE2ELNS1_3repE0EEENS1_36merge_oddeven_config_static_selectorELNS0_4arch9wavefront6targetE0EEEvSF_.uses_vcc, 0
	.set _ZN7rocprim17ROCPRIM_400000_NS6detail17trampoline_kernelINS0_14default_configENS1_38merge_sort_block_merge_config_selectorIiNS0_10empty_typeEEEZZNS1_27merge_sort_block_merge_implIS3_PiPS5_jNS1_19radix_merge_compareILb1ELb0EiNS0_19identity_decomposerEEEEE10hipError_tT0_T1_T2_jT3_P12ihipStream_tbPNSt15iterator_traitsISE_E10value_typeEPNSK_ISF_E10value_typeEPSG_NS1_7vsmem_tEENKUlT_SE_SF_SG_E_clIS8_S8_S9_S9_EESD_ST_SE_SF_SG_EUlST_E1_NS1_11comp_targetILNS1_3genE8ELNS1_11target_archE1030ELNS1_3gpuE2ELNS1_3repE0EEENS1_36merge_oddeven_config_static_selectorELNS0_4arch9wavefront6targetE0EEEvSF_.uses_flat_scratch, 0
	.set _ZN7rocprim17ROCPRIM_400000_NS6detail17trampoline_kernelINS0_14default_configENS1_38merge_sort_block_merge_config_selectorIiNS0_10empty_typeEEEZZNS1_27merge_sort_block_merge_implIS3_PiPS5_jNS1_19radix_merge_compareILb1ELb0EiNS0_19identity_decomposerEEEEE10hipError_tT0_T1_T2_jT3_P12ihipStream_tbPNSt15iterator_traitsISE_E10value_typeEPNSK_ISF_E10value_typeEPSG_NS1_7vsmem_tEENKUlT_SE_SF_SG_E_clIS8_S8_S9_S9_EESD_ST_SE_SF_SG_EUlST_E1_NS1_11comp_targetILNS1_3genE8ELNS1_11target_archE1030ELNS1_3gpuE2ELNS1_3repE0EEENS1_36merge_oddeven_config_static_selectorELNS0_4arch9wavefront6targetE0EEEvSF_.has_dyn_sized_stack, 0
	.set _ZN7rocprim17ROCPRIM_400000_NS6detail17trampoline_kernelINS0_14default_configENS1_38merge_sort_block_merge_config_selectorIiNS0_10empty_typeEEEZZNS1_27merge_sort_block_merge_implIS3_PiPS5_jNS1_19radix_merge_compareILb1ELb0EiNS0_19identity_decomposerEEEEE10hipError_tT0_T1_T2_jT3_P12ihipStream_tbPNSt15iterator_traitsISE_E10value_typeEPNSK_ISF_E10value_typeEPSG_NS1_7vsmem_tEENKUlT_SE_SF_SG_E_clIS8_S8_S9_S9_EESD_ST_SE_SF_SG_EUlST_E1_NS1_11comp_targetILNS1_3genE8ELNS1_11target_archE1030ELNS1_3gpuE2ELNS1_3repE0EEENS1_36merge_oddeven_config_static_selectorELNS0_4arch9wavefront6targetE0EEEvSF_.has_recursion, 0
	.set _ZN7rocprim17ROCPRIM_400000_NS6detail17trampoline_kernelINS0_14default_configENS1_38merge_sort_block_merge_config_selectorIiNS0_10empty_typeEEEZZNS1_27merge_sort_block_merge_implIS3_PiPS5_jNS1_19radix_merge_compareILb1ELb0EiNS0_19identity_decomposerEEEEE10hipError_tT0_T1_T2_jT3_P12ihipStream_tbPNSt15iterator_traitsISE_E10value_typeEPNSK_ISF_E10value_typeEPSG_NS1_7vsmem_tEENKUlT_SE_SF_SG_E_clIS8_S8_S9_S9_EESD_ST_SE_SF_SG_EUlST_E1_NS1_11comp_targetILNS1_3genE8ELNS1_11target_archE1030ELNS1_3gpuE2ELNS1_3repE0EEENS1_36merge_oddeven_config_static_selectorELNS0_4arch9wavefront6targetE0EEEvSF_.has_indirect_call, 0
	.section	.AMDGPU.csdata,"",@progbits
; Kernel info:
; codeLenInByte = 0
; TotalNumSgprs: 0
; NumVgprs: 0
; ScratchSize: 0
; MemoryBound: 0
; FloatMode: 240
; IeeeMode: 1
; LDSByteSize: 0 bytes/workgroup (compile time only)
; SGPRBlocks: 0
; VGPRBlocks: 0
; NumSGPRsForWavesPerEU: 1
; NumVGPRsForWavesPerEU: 1
; NamedBarCnt: 0
; Occupancy: 16
; WaveLimiterHint : 0
; COMPUTE_PGM_RSRC2:SCRATCH_EN: 0
; COMPUTE_PGM_RSRC2:USER_SGPR: 2
; COMPUTE_PGM_RSRC2:TRAP_HANDLER: 0
; COMPUTE_PGM_RSRC2:TGID_X_EN: 1
; COMPUTE_PGM_RSRC2:TGID_Y_EN: 0
; COMPUTE_PGM_RSRC2:TGID_Z_EN: 0
; COMPUTE_PGM_RSRC2:TIDIG_COMP_CNT: 0
	.section	.text._ZN7rocprim17ROCPRIM_400000_NS6detail17trampoline_kernelINS0_14default_configENS1_25transform_config_selectorIiLb1EEEZNS1_14transform_implILb1ES3_S5_PiS7_NS0_8identityIiEEEE10hipError_tT2_T3_mT4_P12ihipStream_tbEUlT_E_NS1_11comp_targetILNS1_3genE0ELNS1_11target_archE4294967295ELNS1_3gpuE0ELNS1_3repE0EEENS1_30default_config_static_selectorELNS0_4arch9wavefront6targetE0EEEvT1_,"axG",@progbits,_ZN7rocprim17ROCPRIM_400000_NS6detail17trampoline_kernelINS0_14default_configENS1_25transform_config_selectorIiLb1EEEZNS1_14transform_implILb1ES3_S5_PiS7_NS0_8identityIiEEEE10hipError_tT2_T3_mT4_P12ihipStream_tbEUlT_E_NS1_11comp_targetILNS1_3genE0ELNS1_11target_archE4294967295ELNS1_3gpuE0ELNS1_3repE0EEENS1_30default_config_static_selectorELNS0_4arch9wavefront6targetE0EEEvT1_,comdat
	.protected	_ZN7rocprim17ROCPRIM_400000_NS6detail17trampoline_kernelINS0_14default_configENS1_25transform_config_selectorIiLb1EEEZNS1_14transform_implILb1ES3_S5_PiS7_NS0_8identityIiEEEE10hipError_tT2_T3_mT4_P12ihipStream_tbEUlT_E_NS1_11comp_targetILNS1_3genE0ELNS1_11target_archE4294967295ELNS1_3gpuE0ELNS1_3repE0EEENS1_30default_config_static_selectorELNS0_4arch9wavefront6targetE0EEEvT1_ ; -- Begin function _ZN7rocprim17ROCPRIM_400000_NS6detail17trampoline_kernelINS0_14default_configENS1_25transform_config_selectorIiLb1EEEZNS1_14transform_implILb1ES3_S5_PiS7_NS0_8identityIiEEEE10hipError_tT2_T3_mT4_P12ihipStream_tbEUlT_E_NS1_11comp_targetILNS1_3genE0ELNS1_11target_archE4294967295ELNS1_3gpuE0ELNS1_3repE0EEENS1_30default_config_static_selectorELNS0_4arch9wavefront6targetE0EEEvT1_
	.globl	_ZN7rocprim17ROCPRIM_400000_NS6detail17trampoline_kernelINS0_14default_configENS1_25transform_config_selectorIiLb1EEEZNS1_14transform_implILb1ES3_S5_PiS7_NS0_8identityIiEEEE10hipError_tT2_T3_mT4_P12ihipStream_tbEUlT_E_NS1_11comp_targetILNS1_3genE0ELNS1_11target_archE4294967295ELNS1_3gpuE0ELNS1_3repE0EEENS1_30default_config_static_selectorELNS0_4arch9wavefront6targetE0EEEvT1_
	.p2align	8
	.type	_ZN7rocprim17ROCPRIM_400000_NS6detail17trampoline_kernelINS0_14default_configENS1_25transform_config_selectorIiLb1EEEZNS1_14transform_implILb1ES3_S5_PiS7_NS0_8identityIiEEEE10hipError_tT2_T3_mT4_P12ihipStream_tbEUlT_E_NS1_11comp_targetILNS1_3genE0ELNS1_11target_archE4294967295ELNS1_3gpuE0ELNS1_3repE0EEENS1_30default_config_static_selectorELNS0_4arch9wavefront6targetE0EEEvT1_,@function
_ZN7rocprim17ROCPRIM_400000_NS6detail17trampoline_kernelINS0_14default_configENS1_25transform_config_selectorIiLb1EEEZNS1_14transform_implILb1ES3_S5_PiS7_NS0_8identityIiEEEE10hipError_tT2_T3_mT4_P12ihipStream_tbEUlT_E_NS1_11comp_targetILNS1_3genE0ELNS1_11target_archE4294967295ELNS1_3gpuE0ELNS1_3repE0EEENS1_30default_config_static_selectorELNS0_4arch9wavefront6targetE0EEEvT1_: ; @_ZN7rocprim17ROCPRIM_400000_NS6detail17trampoline_kernelINS0_14default_configENS1_25transform_config_selectorIiLb1EEEZNS1_14transform_implILb1ES3_S5_PiS7_NS0_8identityIiEEEE10hipError_tT2_T3_mT4_P12ihipStream_tbEUlT_E_NS1_11comp_targetILNS1_3genE0ELNS1_11target_archE4294967295ELNS1_3gpuE0ELNS1_3repE0EEENS1_30default_config_static_selectorELNS0_4arch9wavefront6targetE0EEEvT1_
; %bb.0:
	s_clause 0x1
	s_load_b256 s[4:11], s[0:1], 0x0
	s_load_b32 s12, s[0:1], 0x28
	s_wait_xcnt 0x0
	s_bfe_u32 s0, ttmp6, 0x4000c
	s_and_b32 s2, ttmp6, 15
	s_add_co_i32 s0, s0, 1
	s_wait_kmcnt 0x0
	s_getreg_b32 s9, hwreg(HW_REG_IB_STS2, 6, 4)
	s_mul_i32 s0, ttmp9, s0
	s_mov_b32 s1, 0
	s_add_co_i32 s0, s2, s0
	s_lshl_b64 s[2:3], s[6:7], 2
	s_cmp_eq_u32 s9, 0
	s_add_nc_u64 s[6:7], s[4:5], s[2:3]
	s_cselect_b32 s13, ttmp9, s0
	s_add_co_i32 s12, s12, -1
	s_lshl_b32 s0, s13, 8
	s_add_nc_u64 s[2:3], s[10:11], s[2:3]
	s_lshl_b64 s[4:5], s[0:1], 2
	s_mov_b32 s9, -1
	s_cmp_lg_u32 s13, s12
	s_add_nc_u64 s[6:7], s[6:7], s[4:5]
	s_cbranch_scc0 .LBB791_2
; %bb.1:
	global_load_b64 v[2:3], v0, s[6:7] scale_offset
	s_add_nc_u64 s[10:11], s[2:3], s[4:5]
	s_mov_b32 s9, 0
	s_wait_loadcnt 0x0
	global_store_b64 v0, v[2:3], s[10:11] scale_offset
.LBB791_2:
	s_and_not1_b32 vcc_lo, exec_lo, s9
	s_cbranch_vccnz .LBB791_11
; %bb.3:
	s_sub_co_i32 s1, s8, s0
	s_wait_xcnt 0x0
	v_mov_b64_e32 v[2:3], 0
	v_cmp_gt_u32_e32 vcc_lo, s1, v0
	s_and_saveexec_b32 s0, vcc_lo
	s_cbranch_execz .LBB791_5
; %bb.4:
	global_load_b32 v2, v0, s[6:7] scale_offset
	v_mov_b32_e32 v3, 0
.LBB791_5:
	s_wait_xcnt 0x0
	s_or_b32 exec_lo, exec_lo, s0
	v_or_b32_e32 v1, 0x80, v0
	s_delay_alu instid0(VALU_DEP_1) | instskip(SKIP_2) | instid1(SALU_CYCLE_1)
	v_cmp_gt_u32_e64 s0, s1, v1
	v_cmp_le_u32_e64 s1, s1, v1
	s_and_saveexec_b32 s8, s1
	s_xor_b32 s1, exec_lo, s8
	s_delay_alu instid0(SALU_CYCLE_1)
	s_and_not1_saveexec_b32 s1, s1
	s_cbranch_execz .LBB791_7
; %bb.6:
	global_load_b32 v3, v0, s[6:7] offset:512 scale_offset
.LBB791_7:
	s_wait_xcnt 0x0
	s_or_b32 exec_lo, exec_lo, s1
	v_dual_mov_b32 v1, 0 :: v_dual_lshlrev_b32 v0, 2, v0
	s_add_nc_u64 s[2:3], s[2:3], s[4:5]
	s_wait_loadcnt 0x0
	v_cndmask_b32_e32 v2, 0, v2, vcc_lo
	s_delay_alu instid0(VALU_DEP_2)
	v_add_nc_u64_e32 v[0:1], s[2:3], v[0:1]
	s_and_saveexec_b32 s1, vcc_lo
	s_cbranch_execz .LBB791_9
; %bb.8:
	global_store_b32 v[0:1], v2, off
.LBB791_9:
	s_wait_xcnt 0x0
	s_or_b32 exec_lo, exec_lo, s1
	s_and_saveexec_b32 s1, s0
	s_cbranch_execz .LBB791_11
; %bb.10:
	v_cndmask_b32_e64 v2, 0, v3, s0
	global_store_b32 v[0:1], v2, off offset:512
.LBB791_11:
	s_endpgm
	.section	.rodata,"a",@progbits
	.p2align	6, 0x0
	.amdhsa_kernel _ZN7rocprim17ROCPRIM_400000_NS6detail17trampoline_kernelINS0_14default_configENS1_25transform_config_selectorIiLb1EEEZNS1_14transform_implILb1ES3_S5_PiS7_NS0_8identityIiEEEE10hipError_tT2_T3_mT4_P12ihipStream_tbEUlT_E_NS1_11comp_targetILNS1_3genE0ELNS1_11target_archE4294967295ELNS1_3gpuE0ELNS1_3repE0EEENS1_30default_config_static_selectorELNS0_4arch9wavefront6targetE0EEEvT1_
		.amdhsa_group_segment_fixed_size 0
		.amdhsa_private_segment_fixed_size 0
		.amdhsa_kernarg_size 296
		.amdhsa_user_sgpr_count 2
		.amdhsa_user_sgpr_dispatch_ptr 0
		.amdhsa_user_sgpr_queue_ptr 0
		.amdhsa_user_sgpr_kernarg_segment_ptr 1
		.amdhsa_user_sgpr_dispatch_id 0
		.amdhsa_user_sgpr_kernarg_preload_length 0
		.amdhsa_user_sgpr_kernarg_preload_offset 0
		.amdhsa_user_sgpr_private_segment_size 0
		.amdhsa_wavefront_size32 1
		.amdhsa_uses_dynamic_stack 0
		.amdhsa_enable_private_segment 0
		.amdhsa_system_sgpr_workgroup_id_x 1
		.amdhsa_system_sgpr_workgroup_id_y 0
		.amdhsa_system_sgpr_workgroup_id_z 0
		.amdhsa_system_sgpr_workgroup_info 0
		.amdhsa_system_vgpr_workitem_id 0
		.amdhsa_next_free_vgpr 4
		.amdhsa_next_free_sgpr 14
		.amdhsa_named_barrier_count 0
		.amdhsa_reserve_vcc 1
		.amdhsa_float_round_mode_32 0
		.amdhsa_float_round_mode_16_64 0
		.amdhsa_float_denorm_mode_32 3
		.amdhsa_float_denorm_mode_16_64 3
		.amdhsa_fp16_overflow 0
		.amdhsa_memory_ordered 1
		.amdhsa_forward_progress 1
		.amdhsa_inst_pref_size 3
		.amdhsa_round_robin_scheduling 0
		.amdhsa_exception_fp_ieee_invalid_op 0
		.amdhsa_exception_fp_denorm_src 0
		.amdhsa_exception_fp_ieee_div_zero 0
		.amdhsa_exception_fp_ieee_overflow 0
		.amdhsa_exception_fp_ieee_underflow 0
		.amdhsa_exception_fp_ieee_inexact 0
		.amdhsa_exception_int_div_zero 0
	.end_amdhsa_kernel
	.section	.text._ZN7rocprim17ROCPRIM_400000_NS6detail17trampoline_kernelINS0_14default_configENS1_25transform_config_selectorIiLb1EEEZNS1_14transform_implILb1ES3_S5_PiS7_NS0_8identityIiEEEE10hipError_tT2_T3_mT4_P12ihipStream_tbEUlT_E_NS1_11comp_targetILNS1_3genE0ELNS1_11target_archE4294967295ELNS1_3gpuE0ELNS1_3repE0EEENS1_30default_config_static_selectorELNS0_4arch9wavefront6targetE0EEEvT1_,"axG",@progbits,_ZN7rocprim17ROCPRIM_400000_NS6detail17trampoline_kernelINS0_14default_configENS1_25transform_config_selectorIiLb1EEEZNS1_14transform_implILb1ES3_S5_PiS7_NS0_8identityIiEEEE10hipError_tT2_T3_mT4_P12ihipStream_tbEUlT_E_NS1_11comp_targetILNS1_3genE0ELNS1_11target_archE4294967295ELNS1_3gpuE0ELNS1_3repE0EEENS1_30default_config_static_selectorELNS0_4arch9wavefront6targetE0EEEvT1_,comdat
.Lfunc_end791:
	.size	_ZN7rocprim17ROCPRIM_400000_NS6detail17trampoline_kernelINS0_14default_configENS1_25transform_config_selectorIiLb1EEEZNS1_14transform_implILb1ES3_S5_PiS7_NS0_8identityIiEEEE10hipError_tT2_T3_mT4_P12ihipStream_tbEUlT_E_NS1_11comp_targetILNS1_3genE0ELNS1_11target_archE4294967295ELNS1_3gpuE0ELNS1_3repE0EEENS1_30default_config_static_selectorELNS0_4arch9wavefront6targetE0EEEvT1_, .Lfunc_end791-_ZN7rocprim17ROCPRIM_400000_NS6detail17trampoline_kernelINS0_14default_configENS1_25transform_config_selectorIiLb1EEEZNS1_14transform_implILb1ES3_S5_PiS7_NS0_8identityIiEEEE10hipError_tT2_T3_mT4_P12ihipStream_tbEUlT_E_NS1_11comp_targetILNS1_3genE0ELNS1_11target_archE4294967295ELNS1_3gpuE0ELNS1_3repE0EEENS1_30default_config_static_selectorELNS0_4arch9wavefront6targetE0EEEvT1_
                                        ; -- End function
	.set _ZN7rocprim17ROCPRIM_400000_NS6detail17trampoline_kernelINS0_14default_configENS1_25transform_config_selectorIiLb1EEEZNS1_14transform_implILb1ES3_S5_PiS7_NS0_8identityIiEEEE10hipError_tT2_T3_mT4_P12ihipStream_tbEUlT_E_NS1_11comp_targetILNS1_3genE0ELNS1_11target_archE4294967295ELNS1_3gpuE0ELNS1_3repE0EEENS1_30default_config_static_selectorELNS0_4arch9wavefront6targetE0EEEvT1_.num_vgpr, 4
	.set _ZN7rocprim17ROCPRIM_400000_NS6detail17trampoline_kernelINS0_14default_configENS1_25transform_config_selectorIiLb1EEEZNS1_14transform_implILb1ES3_S5_PiS7_NS0_8identityIiEEEE10hipError_tT2_T3_mT4_P12ihipStream_tbEUlT_E_NS1_11comp_targetILNS1_3genE0ELNS1_11target_archE4294967295ELNS1_3gpuE0ELNS1_3repE0EEENS1_30default_config_static_selectorELNS0_4arch9wavefront6targetE0EEEvT1_.num_agpr, 0
	.set _ZN7rocprim17ROCPRIM_400000_NS6detail17trampoline_kernelINS0_14default_configENS1_25transform_config_selectorIiLb1EEEZNS1_14transform_implILb1ES3_S5_PiS7_NS0_8identityIiEEEE10hipError_tT2_T3_mT4_P12ihipStream_tbEUlT_E_NS1_11comp_targetILNS1_3genE0ELNS1_11target_archE4294967295ELNS1_3gpuE0ELNS1_3repE0EEENS1_30default_config_static_selectorELNS0_4arch9wavefront6targetE0EEEvT1_.numbered_sgpr, 14
	.set _ZN7rocprim17ROCPRIM_400000_NS6detail17trampoline_kernelINS0_14default_configENS1_25transform_config_selectorIiLb1EEEZNS1_14transform_implILb1ES3_S5_PiS7_NS0_8identityIiEEEE10hipError_tT2_T3_mT4_P12ihipStream_tbEUlT_E_NS1_11comp_targetILNS1_3genE0ELNS1_11target_archE4294967295ELNS1_3gpuE0ELNS1_3repE0EEENS1_30default_config_static_selectorELNS0_4arch9wavefront6targetE0EEEvT1_.num_named_barrier, 0
	.set _ZN7rocprim17ROCPRIM_400000_NS6detail17trampoline_kernelINS0_14default_configENS1_25transform_config_selectorIiLb1EEEZNS1_14transform_implILb1ES3_S5_PiS7_NS0_8identityIiEEEE10hipError_tT2_T3_mT4_P12ihipStream_tbEUlT_E_NS1_11comp_targetILNS1_3genE0ELNS1_11target_archE4294967295ELNS1_3gpuE0ELNS1_3repE0EEENS1_30default_config_static_selectorELNS0_4arch9wavefront6targetE0EEEvT1_.private_seg_size, 0
	.set _ZN7rocprim17ROCPRIM_400000_NS6detail17trampoline_kernelINS0_14default_configENS1_25transform_config_selectorIiLb1EEEZNS1_14transform_implILb1ES3_S5_PiS7_NS0_8identityIiEEEE10hipError_tT2_T3_mT4_P12ihipStream_tbEUlT_E_NS1_11comp_targetILNS1_3genE0ELNS1_11target_archE4294967295ELNS1_3gpuE0ELNS1_3repE0EEENS1_30default_config_static_selectorELNS0_4arch9wavefront6targetE0EEEvT1_.uses_vcc, 1
	.set _ZN7rocprim17ROCPRIM_400000_NS6detail17trampoline_kernelINS0_14default_configENS1_25transform_config_selectorIiLb1EEEZNS1_14transform_implILb1ES3_S5_PiS7_NS0_8identityIiEEEE10hipError_tT2_T3_mT4_P12ihipStream_tbEUlT_E_NS1_11comp_targetILNS1_3genE0ELNS1_11target_archE4294967295ELNS1_3gpuE0ELNS1_3repE0EEENS1_30default_config_static_selectorELNS0_4arch9wavefront6targetE0EEEvT1_.uses_flat_scratch, 0
	.set _ZN7rocprim17ROCPRIM_400000_NS6detail17trampoline_kernelINS0_14default_configENS1_25transform_config_selectorIiLb1EEEZNS1_14transform_implILb1ES3_S5_PiS7_NS0_8identityIiEEEE10hipError_tT2_T3_mT4_P12ihipStream_tbEUlT_E_NS1_11comp_targetILNS1_3genE0ELNS1_11target_archE4294967295ELNS1_3gpuE0ELNS1_3repE0EEENS1_30default_config_static_selectorELNS0_4arch9wavefront6targetE0EEEvT1_.has_dyn_sized_stack, 0
	.set _ZN7rocprim17ROCPRIM_400000_NS6detail17trampoline_kernelINS0_14default_configENS1_25transform_config_selectorIiLb1EEEZNS1_14transform_implILb1ES3_S5_PiS7_NS0_8identityIiEEEE10hipError_tT2_T3_mT4_P12ihipStream_tbEUlT_E_NS1_11comp_targetILNS1_3genE0ELNS1_11target_archE4294967295ELNS1_3gpuE0ELNS1_3repE0EEENS1_30default_config_static_selectorELNS0_4arch9wavefront6targetE0EEEvT1_.has_recursion, 0
	.set _ZN7rocprim17ROCPRIM_400000_NS6detail17trampoline_kernelINS0_14default_configENS1_25transform_config_selectorIiLb1EEEZNS1_14transform_implILb1ES3_S5_PiS7_NS0_8identityIiEEEE10hipError_tT2_T3_mT4_P12ihipStream_tbEUlT_E_NS1_11comp_targetILNS1_3genE0ELNS1_11target_archE4294967295ELNS1_3gpuE0ELNS1_3repE0EEENS1_30default_config_static_selectorELNS0_4arch9wavefront6targetE0EEEvT1_.has_indirect_call, 0
	.section	.AMDGPU.csdata,"",@progbits
; Kernel info:
; codeLenInByte = 356
; TotalNumSgprs: 16
; NumVgprs: 4
; ScratchSize: 0
; MemoryBound: 0
; FloatMode: 240
; IeeeMode: 1
; LDSByteSize: 0 bytes/workgroup (compile time only)
; SGPRBlocks: 0
; VGPRBlocks: 0
; NumSGPRsForWavesPerEU: 16
; NumVGPRsForWavesPerEU: 4
; NamedBarCnt: 0
; Occupancy: 16
; WaveLimiterHint : 0
; COMPUTE_PGM_RSRC2:SCRATCH_EN: 0
; COMPUTE_PGM_RSRC2:USER_SGPR: 2
; COMPUTE_PGM_RSRC2:TRAP_HANDLER: 0
; COMPUTE_PGM_RSRC2:TGID_X_EN: 1
; COMPUTE_PGM_RSRC2:TGID_Y_EN: 0
; COMPUTE_PGM_RSRC2:TGID_Z_EN: 0
; COMPUTE_PGM_RSRC2:TIDIG_COMP_CNT: 0
	.section	.text._ZN7rocprim17ROCPRIM_400000_NS6detail17trampoline_kernelINS0_14default_configENS1_25transform_config_selectorIiLb1EEEZNS1_14transform_implILb1ES3_S5_PiS7_NS0_8identityIiEEEE10hipError_tT2_T3_mT4_P12ihipStream_tbEUlT_E_NS1_11comp_targetILNS1_3genE10ELNS1_11target_archE1201ELNS1_3gpuE5ELNS1_3repE0EEENS1_30default_config_static_selectorELNS0_4arch9wavefront6targetE0EEEvT1_,"axG",@progbits,_ZN7rocprim17ROCPRIM_400000_NS6detail17trampoline_kernelINS0_14default_configENS1_25transform_config_selectorIiLb1EEEZNS1_14transform_implILb1ES3_S5_PiS7_NS0_8identityIiEEEE10hipError_tT2_T3_mT4_P12ihipStream_tbEUlT_E_NS1_11comp_targetILNS1_3genE10ELNS1_11target_archE1201ELNS1_3gpuE5ELNS1_3repE0EEENS1_30default_config_static_selectorELNS0_4arch9wavefront6targetE0EEEvT1_,comdat
	.protected	_ZN7rocprim17ROCPRIM_400000_NS6detail17trampoline_kernelINS0_14default_configENS1_25transform_config_selectorIiLb1EEEZNS1_14transform_implILb1ES3_S5_PiS7_NS0_8identityIiEEEE10hipError_tT2_T3_mT4_P12ihipStream_tbEUlT_E_NS1_11comp_targetILNS1_3genE10ELNS1_11target_archE1201ELNS1_3gpuE5ELNS1_3repE0EEENS1_30default_config_static_selectorELNS0_4arch9wavefront6targetE0EEEvT1_ ; -- Begin function _ZN7rocprim17ROCPRIM_400000_NS6detail17trampoline_kernelINS0_14default_configENS1_25transform_config_selectorIiLb1EEEZNS1_14transform_implILb1ES3_S5_PiS7_NS0_8identityIiEEEE10hipError_tT2_T3_mT4_P12ihipStream_tbEUlT_E_NS1_11comp_targetILNS1_3genE10ELNS1_11target_archE1201ELNS1_3gpuE5ELNS1_3repE0EEENS1_30default_config_static_selectorELNS0_4arch9wavefront6targetE0EEEvT1_
	.globl	_ZN7rocprim17ROCPRIM_400000_NS6detail17trampoline_kernelINS0_14default_configENS1_25transform_config_selectorIiLb1EEEZNS1_14transform_implILb1ES3_S5_PiS7_NS0_8identityIiEEEE10hipError_tT2_T3_mT4_P12ihipStream_tbEUlT_E_NS1_11comp_targetILNS1_3genE10ELNS1_11target_archE1201ELNS1_3gpuE5ELNS1_3repE0EEENS1_30default_config_static_selectorELNS0_4arch9wavefront6targetE0EEEvT1_
	.p2align	8
	.type	_ZN7rocprim17ROCPRIM_400000_NS6detail17trampoline_kernelINS0_14default_configENS1_25transform_config_selectorIiLb1EEEZNS1_14transform_implILb1ES3_S5_PiS7_NS0_8identityIiEEEE10hipError_tT2_T3_mT4_P12ihipStream_tbEUlT_E_NS1_11comp_targetILNS1_3genE10ELNS1_11target_archE1201ELNS1_3gpuE5ELNS1_3repE0EEENS1_30default_config_static_selectorELNS0_4arch9wavefront6targetE0EEEvT1_,@function
_ZN7rocprim17ROCPRIM_400000_NS6detail17trampoline_kernelINS0_14default_configENS1_25transform_config_selectorIiLb1EEEZNS1_14transform_implILb1ES3_S5_PiS7_NS0_8identityIiEEEE10hipError_tT2_T3_mT4_P12ihipStream_tbEUlT_E_NS1_11comp_targetILNS1_3genE10ELNS1_11target_archE1201ELNS1_3gpuE5ELNS1_3repE0EEENS1_30default_config_static_selectorELNS0_4arch9wavefront6targetE0EEEvT1_: ; @_ZN7rocprim17ROCPRIM_400000_NS6detail17trampoline_kernelINS0_14default_configENS1_25transform_config_selectorIiLb1EEEZNS1_14transform_implILb1ES3_S5_PiS7_NS0_8identityIiEEEE10hipError_tT2_T3_mT4_P12ihipStream_tbEUlT_E_NS1_11comp_targetILNS1_3genE10ELNS1_11target_archE1201ELNS1_3gpuE5ELNS1_3repE0EEENS1_30default_config_static_selectorELNS0_4arch9wavefront6targetE0EEEvT1_
; %bb.0:
	.section	.rodata,"a",@progbits
	.p2align	6, 0x0
	.amdhsa_kernel _ZN7rocprim17ROCPRIM_400000_NS6detail17trampoline_kernelINS0_14default_configENS1_25transform_config_selectorIiLb1EEEZNS1_14transform_implILb1ES3_S5_PiS7_NS0_8identityIiEEEE10hipError_tT2_T3_mT4_P12ihipStream_tbEUlT_E_NS1_11comp_targetILNS1_3genE10ELNS1_11target_archE1201ELNS1_3gpuE5ELNS1_3repE0EEENS1_30default_config_static_selectorELNS0_4arch9wavefront6targetE0EEEvT1_
		.amdhsa_group_segment_fixed_size 0
		.amdhsa_private_segment_fixed_size 0
		.amdhsa_kernarg_size 40
		.amdhsa_user_sgpr_count 2
		.amdhsa_user_sgpr_dispatch_ptr 0
		.amdhsa_user_sgpr_queue_ptr 0
		.amdhsa_user_sgpr_kernarg_segment_ptr 1
		.amdhsa_user_sgpr_dispatch_id 0
		.amdhsa_user_sgpr_kernarg_preload_length 0
		.amdhsa_user_sgpr_kernarg_preload_offset 0
		.amdhsa_user_sgpr_private_segment_size 0
		.amdhsa_wavefront_size32 1
		.amdhsa_uses_dynamic_stack 0
		.amdhsa_enable_private_segment 0
		.amdhsa_system_sgpr_workgroup_id_x 1
		.amdhsa_system_sgpr_workgroup_id_y 0
		.amdhsa_system_sgpr_workgroup_id_z 0
		.amdhsa_system_sgpr_workgroup_info 0
		.amdhsa_system_vgpr_workitem_id 0
		.amdhsa_next_free_vgpr 1
		.amdhsa_next_free_sgpr 1
		.amdhsa_named_barrier_count 0
		.amdhsa_reserve_vcc 0
		.amdhsa_float_round_mode_32 0
		.amdhsa_float_round_mode_16_64 0
		.amdhsa_float_denorm_mode_32 3
		.amdhsa_float_denorm_mode_16_64 3
		.amdhsa_fp16_overflow 0
		.amdhsa_memory_ordered 1
		.amdhsa_forward_progress 1
		.amdhsa_inst_pref_size 0
		.amdhsa_round_robin_scheduling 0
		.amdhsa_exception_fp_ieee_invalid_op 0
		.amdhsa_exception_fp_denorm_src 0
		.amdhsa_exception_fp_ieee_div_zero 0
		.amdhsa_exception_fp_ieee_overflow 0
		.amdhsa_exception_fp_ieee_underflow 0
		.amdhsa_exception_fp_ieee_inexact 0
		.amdhsa_exception_int_div_zero 0
	.end_amdhsa_kernel
	.section	.text._ZN7rocprim17ROCPRIM_400000_NS6detail17trampoline_kernelINS0_14default_configENS1_25transform_config_selectorIiLb1EEEZNS1_14transform_implILb1ES3_S5_PiS7_NS0_8identityIiEEEE10hipError_tT2_T3_mT4_P12ihipStream_tbEUlT_E_NS1_11comp_targetILNS1_3genE10ELNS1_11target_archE1201ELNS1_3gpuE5ELNS1_3repE0EEENS1_30default_config_static_selectorELNS0_4arch9wavefront6targetE0EEEvT1_,"axG",@progbits,_ZN7rocprim17ROCPRIM_400000_NS6detail17trampoline_kernelINS0_14default_configENS1_25transform_config_selectorIiLb1EEEZNS1_14transform_implILb1ES3_S5_PiS7_NS0_8identityIiEEEE10hipError_tT2_T3_mT4_P12ihipStream_tbEUlT_E_NS1_11comp_targetILNS1_3genE10ELNS1_11target_archE1201ELNS1_3gpuE5ELNS1_3repE0EEENS1_30default_config_static_selectorELNS0_4arch9wavefront6targetE0EEEvT1_,comdat
.Lfunc_end792:
	.size	_ZN7rocprim17ROCPRIM_400000_NS6detail17trampoline_kernelINS0_14default_configENS1_25transform_config_selectorIiLb1EEEZNS1_14transform_implILb1ES3_S5_PiS7_NS0_8identityIiEEEE10hipError_tT2_T3_mT4_P12ihipStream_tbEUlT_E_NS1_11comp_targetILNS1_3genE10ELNS1_11target_archE1201ELNS1_3gpuE5ELNS1_3repE0EEENS1_30default_config_static_selectorELNS0_4arch9wavefront6targetE0EEEvT1_, .Lfunc_end792-_ZN7rocprim17ROCPRIM_400000_NS6detail17trampoline_kernelINS0_14default_configENS1_25transform_config_selectorIiLb1EEEZNS1_14transform_implILb1ES3_S5_PiS7_NS0_8identityIiEEEE10hipError_tT2_T3_mT4_P12ihipStream_tbEUlT_E_NS1_11comp_targetILNS1_3genE10ELNS1_11target_archE1201ELNS1_3gpuE5ELNS1_3repE0EEENS1_30default_config_static_selectorELNS0_4arch9wavefront6targetE0EEEvT1_
                                        ; -- End function
	.set _ZN7rocprim17ROCPRIM_400000_NS6detail17trampoline_kernelINS0_14default_configENS1_25transform_config_selectorIiLb1EEEZNS1_14transform_implILb1ES3_S5_PiS7_NS0_8identityIiEEEE10hipError_tT2_T3_mT4_P12ihipStream_tbEUlT_E_NS1_11comp_targetILNS1_3genE10ELNS1_11target_archE1201ELNS1_3gpuE5ELNS1_3repE0EEENS1_30default_config_static_selectorELNS0_4arch9wavefront6targetE0EEEvT1_.num_vgpr, 0
	.set _ZN7rocprim17ROCPRIM_400000_NS6detail17trampoline_kernelINS0_14default_configENS1_25transform_config_selectorIiLb1EEEZNS1_14transform_implILb1ES3_S5_PiS7_NS0_8identityIiEEEE10hipError_tT2_T3_mT4_P12ihipStream_tbEUlT_E_NS1_11comp_targetILNS1_3genE10ELNS1_11target_archE1201ELNS1_3gpuE5ELNS1_3repE0EEENS1_30default_config_static_selectorELNS0_4arch9wavefront6targetE0EEEvT1_.num_agpr, 0
	.set _ZN7rocprim17ROCPRIM_400000_NS6detail17trampoline_kernelINS0_14default_configENS1_25transform_config_selectorIiLb1EEEZNS1_14transform_implILb1ES3_S5_PiS7_NS0_8identityIiEEEE10hipError_tT2_T3_mT4_P12ihipStream_tbEUlT_E_NS1_11comp_targetILNS1_3genE10ELNS1_11target_archE1201ELNS1_3gpuE5ELNS1_3repE0EEENS1_30default_config_static_selectorELNS0_4arch9wavefront6targetE0EEEvT1_.numbered_sgpr, 0
	.set _ZN7rocprim17ROCPRIM_400000_NS6detail17trampoline_kernelINS0_14default_configENS1_25transform_config_selectorIiLb1EEEZNS1_14transform_implILb1ES3_S5_PiS7_NS0_8identityIiEEEE10hipError_tT2_T3_mT4_P12ihipStream_tbEUlT_E_NS1_11comp_targetILNS1_3genE10ELNS1_11target_archE1201ELNS1_3gpuE5ELNS1_3repE0EEENS1_30default_config_static_selectorELNS0_4arch9wavefront6targetE0EEEvT1_.num_named_barrier, 0
	.set _ZN7rocprim17ROCPRIM_400000_NS6detail17trampoline_kernelINS0_14default_configENS1_25transform_config_selectorIiLb1EEEZNS1_14transform_implILb1ES3_S5_PiS7_NS0_8identityIiEEEE10hipError_tT2_T3_mT4_P12ihipStream_tbEUlT_E_NS1_11comp_targetILNS1_3genE10ELNS1_11target_archE1201ELNS1_3gpuE5ELNS1_3repE0EEENS1_30default_config_static_selectorELNS0_4arch9wavefront6targetE0EEEvT1_.private_seg_size, 0
	.set _ZN7rocprim17ROCPRIM_400000_NS6detail17trampoline_kernelINS0_14default_configENS1_25transform_config_selectorIiLb1EEEZNS1_14transform_implILb1ES3_S5_PiS7_NS0_8identityIiEEEE10hipError_tT2_T3_mT4_P12ihipStream_tbEUlT_E_NS1_11comp_targetILNS1_3genE10ELNS1_11target_archE1201ELNS1_3gpuE5ELNS1_3repE0EEENS1_30default_config_static_selectorELNS0_4arch9wavefront6targetE0EEEvT1_.uses_vcc, 0
	.set _ZN7rocprim17ROCPRIM_400000_NS6detail17trampoline_kernelINS0_14default_configENS1_25transform_config_selectorIiLb1EEEZNS1_14transform_implILb1ES3_S5_PiS7_NS0_8identityIiEEEE10hipError_tT2_T3_mT4_P12ihipStream_tbEUlT_E_NS1_11comp_targetILNS1_3genE10ELNS1_11target_archE1201ELNS1_3gpuE5ELNS1_3repE0EEENS1_30default_config_static_selectorELNS0_4arch9wavefront6targetE0EEEvT1_.uses_flat_scratch, 0
	.set _ZN7rocprim17ROCPRIM_400000_NS6detail17trampoline_kernelINS0_14default_configENS1_25transform_config_selectorIiLb1EEEZNS1_14transform_implILb1ES3_S5_PiS7_NS0_8identityIiEEEE10hipError_tT2_T3_mT4_P12ihipStream_tbEUlT_E_NS1_11comp_targetILNS1_3genE10ELNS1_11target_archE1201ELNS1_3gpuE5ELNS1_3repE0EEENS1_30default_config_static_selectorELNS0_4arch9wavefront6targetE0EEEvT1_.has_dyn_sized_stack, 0
	.set _ZN7rocprim17ROCPRIM_400000_NS6detail17trampoline_kernelINS0_14default_configENS1_25transform_config_selectorIiLb1EEEZNS1_14transform_implILb1ES3_S5_PiS7_NS0_8identityIiEEEE10hipError_tT2_T3_mT4_P12ihipStream_tbEUlT_E_NS1_11comp_targetILNS1_3genE10ELNS1_11target_archE1201ELNS1_3gpuE5ELNS1_3repE0EEENS1_30default_config_static_selectorELNS0_4arch9wavefront6targetE0EEEvT1_.has_recursion, 0
	.set _ZN7rocprim17ROCPRIM_400000_NS6detail17trampoline_kernelINS0_14default_configENS1_25transform_config_selectorIiLb1EEEZNS1_14transform_implILb1ES3_S5_PiS7_NS0_8identityIiEEEE10hipError_tT2_T3_mT4_P12ihipStream_tbEUlT_E_NS1_11comp_targetILNS1_3genE10ELNS1_11target_archE1201ELNS1_3gpuE5ELNS1_3repE0EEENS1_30default_config_static_selectorELNS0_4arch9wavefront6targetE0EEEvT1_.has_indirect_call, 0
	.section	.AMDGPU.csdata,"",@progbits
; Kernel info:
; codeLenInByte = 0
; TotalNumSgprs: 0
; NumVgprs: 0
; ScratchSize: 0
; MemoryBound: 0
; FloatMode: 240
; IeeeMode: 1
; LDSByteSize: 0 bytes/workgroup (compile time only)
; SGPRBlocks: 0
; VGPRBlocks: 0
; NumSGPRsForWavesPerEU: 1
; NumVGPRsForWavesPerEU: 1
; NamedBarCnt: 0
; Occupancy: 16
; WaveLimiterHint : 0
; COMPUTE_PGM_RSRC2:SCRATCH_EN: 0
; COMPUTE_PGM_RSRC2:USER_SGPR: 2
; COMPUTE_PGM_RSRC2:TRAP_HANDLER: 0
; COMPUTE_PGM_RSRC2:TGID_X_EN: 1
; COMPUTE_PGM_RSRC2:TGID_Y_EN: 0
; COMPUTE_PGM_RSRC2:TGID_Z_EN: 0
; COMPUTE_PGM_RSRC2:TIDIG_COMP_CNT: 0
	.section	.text._ZN7rocprim17ROCPRIM_400000_NS6detail17trampoline_kernelINS0_14default_configENS1_25transform_config_selectorIiLb1EEEZNS1_14transform_implILb1ES3_S5_PiS7_NS0_8identityIiEEEE10hipError_tT2_T3_mT4_P12ihipStream_tbEUlT_E_NS1_11comp_targetILNS1_3genE5ELNS1_11target_archE942ELNS1_3gpuE9ELNS1_3repE0EEENS1_30default_config_static_selectorELNS0_4arch9wavefront6targetE0EEEvT1_,"axG",@progbits,_ZN7rocprim17ROCPRIM_400000_NS6detail17trampoline_kernelINS0_14default_configENS1_25transform_config_selectorIiLb1EEEZNS1_14transform_implILb1ES3_S5_PiS7_NS0_8identityIiEEEE10hipError_tT2_T3_mT4_P12ihipStream_tbEUlT_E_NS1_11comp_targetILNS1_3genE5ELNS1_11target_archE942ELNS1_3gpuE9ELNS1_3repE0EEENS1_30default_config_static_selectorELNS0_4arch9wavefront6targetE0EEEvT1_,comdat
	.protected	_ZN7rocprim17ROCPRIM_400000_NS6detail17trampoline_kernelINS0_14default_configENS1_25transform_config_selectorIiLb1EEEZNS1_14transform_implILb1ES3_S5_PiS7_NS0_8identityIiEEEE10hipError_tT2_T3_mT4_P12ihipStream_tbEUlT_E_NS1_11comp_targetILNS1_3genE5ELNS1_11target_archE942ELNS1_3gpuE9ELNS1_3repE0EEENS1_30default_config_static_selectorELNS0_4arch9wavefront6targetE0EEEvT1_ ; -- Begin function _ZN7rocprim17ROCPRIM_400000_NS6detail17trampoline_kernelINS0_14default_configENS1_25transform_config_selectorIiLb1EEEZNS1_14transform_implILb1ES3_S5_PiS7_NS0_8identityIiEEEE10hipError_tT2_T3_mT4_P12ihipStream_tbEUlT_E_NS1_11comp_targetILNS1_3genE5ELNS1_11target_archE942ELNS1_3gpuE9ELNS1_3repE0EEENS1_30default_config_static_selectorELNS0_4arch9wavefront6targetE0EEEvT1_
	.globl	_ZN7rocprim17ROCPRIM_400000_NS6detail17trampoline_kernelINS0_14default_configENS1_25transform_config_selectorIiLb1EEEZNS1_14transform_implILb1ES3_S5_PiS7_NS0_8identityIiEEEE10hipError_tT2_T3_mT4_P12ihipStream_tbEUlT_E_NS1_11comp_targetILNS1_3genE5ELNS1_11target_archE942ELNS1_3gpuE9ELNS1_3repE0EEENS1_30default_config_static_selectorELNS0_4arch9wavefront6targetE0EEEvT1_
	.p2align	8
	.type	_ZN7rocprim17ROCPRIM_400000_NS6detail17trampoline_kernelINS0_14default_configENS1_25transform_config_selectorIiLb1EEEZNS1_14transform_implILb1ES3_S5_PiS7_NS0_8identityIiEEEE10hipError_tT2_T3_mT4_P12ihipStream_tbEUlT_E_NS1_11comp_targetILNS1_3genE5ELNS1_11target_archE942ELNS1_3gpuE9ELNS1_3repE0EEENS1_30default_config_static_selectorELNS0_4arch9wavefront6targetE0EEEvT1_,@function
_ZN7rocprim17ROCPRIM_400000_NS6detail17trampoline_kernelINS0_14default_configENS1_25transform_config_selectorIiLb1EEEZNS1_14transform_implILb1ES3_S5_PiS7_NS0_8identityIiEEEE10hipError_tT2_T3_mT4_P12ihipStream_tbEUlT_E_NS1_11comp_targetILNS1_3genE5ELNS1_11target_archE942ELNS1_3gpuE9ELNS1_3repE0EEENS1_30default_config_static_selectorELNS0_4arch9wavefront6targetE0EEEvT1_: ; @_ZN7rocprim17ROCPRIM_400000_NS6detail17trampoline_kernelINS0_14default_configENS1_25transform_config_selectorIiLb1EEEZNS1_14transform_implILb1ES3_S5_PiS7_NS0_8identityIiEEEE10hipError_tT2_T3_mT4_P12ihipStream_tbEUlT_E_NS1_11comp_targetILNS1_3genE5ELNS1_11target_archE942ELNS1_3gpuE9ELNS1_3repE0EEENS1_30default_config_static_selectorELNS0_4arch9wavefront6targetE0EEEvT1_
; %bb.0:
	.section	.rodata,"a",@progbits
	.p2align	6, 0x0
	.amdhsa_kernel _ZN7rocprim17ROCPRIM_400000_NS6detail17trampoline_kernelINS0_14default_configENS1_25transform_config_selectorIiLb1EEEZNS1_14transform_implILb1ES3_S5_PiS7_NS0_8identityIiEEEE10hipError_tT2_T3_mT4_P12ihipStream_tbEUlT_E_NS1_11comp_targetILNS1_3genE5ELNS1_11target_archE942ELNS1_3gpuE9ELNS1_3repE0EEENS1_30default_config_static_selectorELNS0_4arch9wavefront6targetE0EEEvT1_
		.amdhsa_group_segment_fixed_size 0
		.amdhsa_private_segment_fixed_size 0
		.amdhsa_kernarg_size 40
		.amdhsa_user_sgpr_count 2
		.amdhsa_user_sgpr_dispatch_ptr 0
		.amdhsa_user_sgpr_queue_ptr 0
		.amdhsa_user_sgpr_kernarg_segment_ptr 1
		.amdhsa_user_sgpr_dispatch_id 0
		.amdhsa_user_sgpr_kernarg_preload_length 0
		.amdhsa_user_sgpr_kernarg_preload_offset 0
		.amdhsa_user_sgpr_private_segment_size 0
		.amdhsa_wavefront_size32 1
		.amdhsa_uses_dynamic_stack 0
		.amdhsa_enable_private_segment 0
		.amdhsa_system_sgpr_workgroup_id_x 1
		.amdhsa_system_sgpr_workgroup_id_y 0
		.amdhsa_system_sgpr_workgroup_id_z 0
		.amdhsa_system_sgpr_workgroup_info 0
		.amdhsa_system_vgpr_workitem_id 0
		.amdhsa_next_free_vgpr 1
		.amdhsa_next_free_sgpr 1
		.amdhsa_named_barrier_count 0
		.amdhsa_reserve_vcc 0
		.amdhsa_float_round_mode_32 0
		.amdhsa_float_round_mode_16_64 0
		.amdhsa_float_denorm_mode_32 3
		.amdhsa_float_denorm_mode_16_64 3
		.amdhsa_fp16_overflow 0
		.amdhsa_memory_ordered 1
		.amdhsa_forward_progress 1
		.amdhsa_inst_pref_size 0
		.amdhsa_round_robin_scheduling 0
		.amdhsa_exception_fp_ieee_invalid_op 0
		.amdhsa_exception_fp_denorm_src 0
		.amdhsa_exception_fp_ieee_div_zero 0
		.amdhsa_exception_fp_ieee_overflow 0
		.amdhsa_exception_fp_ieee_underflow 0
		.amdhsa_exception_fp_ieee_inexact 0
		.amdhsa_exception_int_div_zero 0
	.end_amdhsa_kernel
	.section	.text._ZN7rocprim17ROCPRIM_400000_NS6detail17trampoline_kernelINS0_14default_configENS1_25transform_config_selectorIiLb1EEEZNS1_14transform_implILb1ES3_S5_PiS7_NS0_8identityIiEEEE10hipError_tT2_T3_mT4_P12ihipStream_tbEUlT_E_NS1_11comp_targetILNS1_3genE5ELNS1_11target_archE942ELNS1_3gpuE9ELNS1_3repE0EEENS1_30default_config_static_selectorELNS0_4arch9wavefront6targetE0EEEvT1_,"axG",@progbits,_ZN7rocprim17ROCPRIM_400000_NS6detail17trampoline_kernelINS0_14default_configENS1_25transform_config_selectorIiLb1EEEZNS1_14transform_implILb1ES3_S5_PiS7_NS0_8identityIiEEEE10hipError_tT2_T3_mT4_P12ihipStream_tbEUlT_E_NS1_11comp_targetILNS1_3genE5ELNS1_11target_archE942ELNS1_3gpuE9ELNS1_3repE0EEENS1_30default_config_static_selectorELNS0_4arch9wavefront6targetE0EEEvT1_,comdat
.Lfunc_end793:
	.size	_ZN7rocprim17ROCPRIM_400000_NS6detail17trampoline_kernelINS0_14default_configENS1_25transform_config_selectorIiLb1EEEZNS1_14transform_implILb1ES3_S5_PiS7_NS0_8identityIiEEEE10hipError_tT2_T3_mT4_P12ihipStream_tbEUlT_E_NS1_11comp_targetILNS1_3genE5ELNS1_11target_archE942ELNS1_3gpuE9ELNS1_3repE0EEENS1_30default_config_static_selectorELNS0_4arch9wavefront6targetE0EEEvT1_, .Lfunc_end793-_ZN7rocprim17ROCPRIM_400000_NS6detail17trampoline_kernelINS0_14default_configENS1_25transform_config_selectorIiLb1EEEZNS1_14transform_implILb1ES3_S5_PiS7_NS0_8identityIiEEEE10hipError_tT2_T3_mT4_P12ihipStream_tbEUlT_E_NS1_11comp_targetILNS1_3genE5ELNS1_11target_archE942ELNS1_3gpuE9ELNS1_3repE0EEENS1_30default_config_static_selectorELNS0_4arch9wavefront6targetE0EEEvT1_
                                        ; -- End function
	.set _ZN7rocprim17ROCPRIM_400000_NS6detail17trampoline_kernelINS0_14default_configENS1_25transform_config_selectorIiLb1EEEZNS1_14transform_implILb1ES3_S5_PiS7_NS0_8identityIiEEEE10hipError_tT2_T3_mT4_P12ihipStream_tbEUlT_E_NS1_11comp_targetILNS1_3genE5ELNS1_11target_archE942ELNS1_3gpuE9ELNS1_3repE0EEENS1_30default_config_static_selectorELNS0_4arch9wavefront6targetE0EEEvT1_.num_vgpr, 0
	.set _ZN7rocprim17ROCPRIM_400000_NS6detail17trampoline_kernelINS0_14default_configENS1_25transform_config_selectorIiLb1EEEZNS1_14transform_implILb1ES3_S5_PiS7_NS0_8identityIiEEEE10hipError_tT2_T3_mT4_P12ihipStream_tbEUlT_E_NS1_11comp_targetILNS1_3genE5ELNS1_11target_archE942ELNS1_3gpuE9ELNS1_3repE0EEENS1_30default_config_static_selectorELNS0_4arch9wavefront6targetE0EEEvT1_.num_agpr, 0
	.set _ZN7rocprim17ROCPRIM_400000_NS6detail17trampoline_kernelINS0_14default_configENS1_25transform_config_selectorIiLb1EEEZNS1_14transform_implILb1ES3_S5_PiS7_NS0_8identityIiEEEE10hipError_tT2_T3_mT4_P12ihipStream_tbEUlT_E_NS1_11comp_targetILNS1_3genE5ELNS1_11target_archE942ELNS1_3gpuE9ELNS1_3repE0EEENS1_30default_config_static_selectorELNS0_4arch9wavefront6targetE0EEEvT1_.numbered_sgpr, 0
	.set _ZN7rocprim17ROCPRIM_400000_NS6detail17trampoline_kernelINS0_14default_configENS1_25transform_config_selectorIiLb1EEEZNS1_14transform_implILb1ES3_S5_PiS7_NS0_8identityIiEEEE10hipError_tT2_T3_mT4_P12ihipStream_tbEUlT_E_NS1_11comp_targetILNS1_3genE5ELNS1_11target_archE942ELNS1_3gpuE9ELNS1_3repE0EEENS1_30default_config_static_selectorELNS0_4arch9wavefront6targetE0EEEvT1_.num_named_barrier, 0
	.set _ZN7rocprim17ROCPRIM_400000_NS6detail17trampoline_kernelINS0_14default_configENS1_25transform_config_selectorIiLb1EEEZNS1_14transform_implILb1ES3_S5_PiS7_NS0_8identityIiEEEE10hipError_tT2_T3_mT4_P12ihipStream_tbEUlT_E_NS1_11comp_targetILNS1_3genE5ELNS1_11target_archE942ELNS1_3gpuE9ELNS1_3repE0EEENS1_30default_config_static_selectorELNS0_4arch9wavefront6targetE0EEEvT1_.private_seg_size, 0
	.set _ZN7rocprim17ROCPRIM_400000_NS6detail17trampoline_kernelINS0_14default_configENS1_25transform_config_selectorIiLb1EEEZNS1_14transform_implILb1ES3_S5_PiS7_NS0_8identityIiEEEE10hipError_tT2_T3_mT4_P12ihipStream_tbEUlT_E_NS1_11comp_targetILNS1_3genE5ELNS1_11target_archE942ELNS1_3gpuE9ELNS1_3repE0EEENS1_30default_config_static_selectorELNS0_4arch9wavefront6targetE0EEEvT1_.uses_vcc, 0
	.set _ZN7rocprim17ROCPRIM_400000_NS6detail17trampoline_kernelINS0_14default_configENS1_25transform_config_selectorIiLb1EEEZNS1_14transform_implILb1ES3_S5_PiS7_NS0_8identityIiEEEE10hipError_tT2_T3_mT4_P12ihipStream_tbEUlT_E_NS1_11comp_targetILNS1_3genE5ELNS1_11target_archE942ELNS1_3gpuE9ELNS1_3repE0EEENS1_30default_config_static_selectorELNS0_4arch9wavefront6targetE0EEEvT1_.uses_flat_scratch, 0
	.set _ZN7rocprim17ROCPRIM_400000_NS6detail17trampoline_kernelINS0_14default_configENS1_25transform_config_selectorIiLb1EEEZNS1_14transform_implILb1ES3_S5_PiS7_NS0_8identityIiEEEE10hipError_tT2_T3_mT4_P12ihipStream_tbEUlT_E_NS1_11comp_targetILNS1_3genE5ELNS1_11target_archE942ELNS1_3gpuE9ELNS1_3repE0EEENS1_30default_config_static_selectorELNS0_4arch9wavefront6targetE0EEEvT1_.has_dyn_sized_stack, 0
	.set _ZN7rocprim17ROCPRIM_400000_NS6detail17trampoline_kernelINS0_14default_configENS1_25transform_config_selectorIiLb1EEEZNS1_14transform_implILb1ES3_S5_PiS7_NS0_8identityIiEEEE10hipError_tT2_T3_mT4_P12ihipStream_tbEUlT_E_NS1_11comp_targetILNS1_3genE5ELNS1_11target_archE942ELNS1_3gpuE9ELNS1_3repE0EEENS1_30default_config_static_selectorELNS0_4arch9wavefront6targetE0EEEvT1_.has_recursion, 0
	.set _ZN7rocprim17ROCPRIM_400000_NS6detail17trampoline_kernelINS0_14default_configENS1_25transform_config_selectorIiLb1EEEZNS1_14transform_implILb1ES3_S5_PiS7_NS0_8identityIiEEEE10hipError_tT2_T3_mT4_P12ihipStream_tbEUlT_E_NS1_11comp_targetILNS1_3genE5ELNS1_11target_archE942ELNS1_3gpuE9ELNS1_3repE0EEENS1_30default_config_static_selectorELNS0_4arch9wavefront6targetE0EEEvT1_.has_indirect_call, 0
	.section	.AMDGPU.csdata,"",@progbits
; Kernel info:
; codeLenInByte = 0
; TotalNumSgprs: 0
; NumVgprs: 0
; ScratchSize: 0
; MemoryBound: 0
; FloatMode: 240
; IeeeMode: 1
; LDSByteSize: 0 bytes/workgroup (compile time only)
; SGPRBlocks: 0
; VGPRBlocks: 0
; NumSGPRsForWavesPerEU: 1
; NumVGPRsForWavesPerEU: 1
; NamedBarCnt: 0
; Occupancy: 16
; WaveLimiterHint : 0
; COMPUTE_PGM_RSRC2:SCRATCH_EN: 0
; COMPUTE_PGM_RSRC2:USER_SGPR: 2
; COMPUTE_PGM_RSRC2:TRAP_HANDLER: 0
; COMPUTE_PGM_RSRC2:TGID_X_EN: 1
; COMPUTE_PGM_RSRC2:TGID_Y_EN: 0
; COMPUTE_PGM_RSRC2:TGID_Z_EN: 0
; COMPUTE_PGM_RSRC2:TIDIG_COMP_CNT: 0
	.section	.text._ZN7rocprim17ROCPRIM_400000_NS6detail17trampoline_kernelINS0_14default_configENS1_25transform_config_selectorIiLb1EEEZNS1_14transform_implILb1ES3_S5_PiS7_NS0_8identityIiEEEE10hipError_tT2_T3_mT4_P12ihipStream_tbEUlT_E_NS1_11comp_targetILNS1_3genE4ELNS1_11target_archE910ELNS1_3gpuE8ELNS1_3repE0EEENS1_30default_config_static_selectorELNS0_4arch9wavefront6targetE0EEEvT1_,"axG",@progbits,_ZN7rocprim17ROCPRIM_400000_NS6detail17trampoline_kernelINS0_14default_configENS1_25transform_config_selectorIiLb1EEEZNS1_14transform_implILb1ES3_S5_PiS7_NS0_8identityIiEEEE10hipError_tT2_T3_mT4_P12ihipStream_tbEUlT_E_NS1_11comp_targetILNS1_3genE4ELNS1_11target_archE910ELNS1_3gpuE8ELNS1_3repE0EEENS1_30default_config_static_selectorELNS0_4arch9wavefront6targetE0EEEvT1_,comdat
	.protected	_ZN7rocprim17ROCPRIM_400000_NS6detail17trampoline_kernelINS0_14default_configENS1_25transform_config_selectorIiLb1EEEZNS1_14transform_implILb1ES3_S5_PiS7_NS0_8identityIiEEEE10hipError_tT2_T3_mT4_P12ihipStream_tbEUlT_E_NS1_11comp_targetILNS1_3genE4ELNS1_11target_archE910ELNS1_3gpuE8ELNS1_3repE0EEENS1_30default_config_static_selectorELNS0_4arch9wavefront6targetE0EEEvT1_ ; -- Begin function _ZN7rocprim17ROCPRIM_400000_NS6detail17trampoline_kernelINS0_14default_configENS1_25transform_config_selectorIiLb1EEEZNS1_14transform_implILb1ES3_S5_PiS7_NS0_8identityIiEEEE10hipError_tT2_T3_mT4_P12ihipStream_tbEUlT_E_NS1_11comp_targetILNS1_3genE4ELNS1_11target_archE910ELNS1_3gpuE8ELNS1_3repE0EEENS1_30default_config_static_selectorELNS0_4arch9wavefront6targetE0EEEvT1_
	.globl	_ZN7rocprim17ROCPRIM_400000_NS6detail17trampoline_kernelINS0_14default_configENS1_25transform_config_selectorIiLb1EEEZNS1_14transform_implILb1ES3_S5_PiS7_NS0_8identityIiEEEE10hipError_tT2_T3_mT4_P12ihipStream_tbEUlT_E_NS1_11comp_targetILNS1_3genE4ELNS1_11target_archE910ELNS1_3gpuE8ELNS1_3repE0EEENS1_30default_config_static_selectorELNS0_4arch9wavefront6targetE0EEEvT1_
	.p2align	8
	.type	_ZN7rocprim17ROCPRIM_400000_NS6detail17trampoline_kernelINS0_14default_configENS1_25transform_config_selectorIiLb1EEEZNS1_14transform_implILb1ES3_S5_PiS7_NS0_8identityIiEEEE10hipError_tT2_T3_mT4_P12ihipStream_tbEUlT_E_NS1_11comp_targetILNS1_3genE4ELNS1_11target_archE910ELNS1_3gpuE8ELNS1_3repE0EEENS1_30default_config_static_selectorELNS0_4arch9wavefront6targetE0EEEvT1_,@function
_ZN7rocprim17ROCPRIM_400000_NS6detail17trampoline_kernelINS0_14default_configENS1_25transform_config_selectorIiLb1EEEZNS1_14transform_implILb1ES3_S5_PiS7_NS0_8identityIiEEEE10hipError_tT2_T3_mT4_P12ihipStream_tbEUlT_E_NS1_11comp_targetILNS1_3genE4ELNS1_11target_archE910ELNS1_3gpuE8ELNS1_3repE0EEENS1_30default_config_static_selectorELNS0_4arch9wavefront6targetE0EEEvT1_: ; @_ZN7rocprim17ROCPRIM_400000_NS6detail17trampoline_kernelINS0_14default_configENS1_25transform_config_selectorIiLb1EEEZNS1_14transform_implILb1ES3_S5_PiS7_NS0_8identityIiEEEE10hipError_tT2_T3_mT4_P12ihipStream_tbEUlT_E_NS1_11comp_targetILNS1_3genE4ELNS1_11target_archE910ELNS1_3gpuE8ELNS1_3repE0EEENS1_30default_config_static_selectorELNS0_4arch9wavefront6targetE0EEEvT1_
; %bb.0:
	.section	.rodata,"a",@progbits
	.p2align	6, 0x0
	.amdhsa_kernel _ZN7rocprim17ROCPRIM_400000_NS6detail17trampoline_kernelINS0_14default_configENS1_25transform_config_selectorIiLb1EEEZNS1_14transform_implILb1ES3_S5_PiS7_NS0_8identityIiEEEE10hipError_tT2_T3_mT4_P12ihipStream_tbEUlT_E_NS1_11comp_targetILNS1_3genE4ELNS1_11target_archE910ELNS1_3gpuE8ELNS1_3repE0EEENS1_30default_config_static_selectorELNS0_4arch9wavefront6targetE0EEEvT1_
		.amdhsa_group_segment_fixed_size 0
		.amdhsa_private_segment_fixed_size 0
		.amdhsa_kernarg_size 40
		.amdhsa_user_sgpr_count 2
		.amdhsa_user_sgpr_dispatch_ptr 0
		.amdhsa_user_sgpr_queue_ptr 0
		.amdhsa_user_sgpr_kernarg_segment_ptr 1
		.amdhsa_user_sgpr_dispatch_id 0
		.amdhsa_user_sgpr_kernarg_preload_length 0
		.amdhsa_user_sgpr_kernarg_preload_offset 0
		.amdhsa_user_sgpr_private_segment_size 0
		.amdhsa_wavefront_size32 1
		.amdhsa_uses_dynamic_stack 0
		.amdhsa_enable_private_segment 0
		.amdhsa_system_sgpr_workgroup_id_x 1
		.amdhsa_system_sgpr_workgroup_id_y 0
		.amdhsa_system_sgpr_workgroup_id_z 0
		.amdhsa_system_sgpr_workgroup_info 0
		.amdhsa_system_vgpr_workitem_id 0
		.amdhsa_next_free_vgpr 1
		.amdhsa_next_free_sgpr 1
		.amdhsa_named_barrier_count 0
		.amdhsa_reserve_vcc 0
		.amdhsa_float_round_mode_32 0
		.amdhsa_float_round_mode_16_64 0
		.amdhsa_float_denorm_mode_32 3
		.amdhsa_float_denorm_mode_16_64 3
		.amdhsa_fp16_overflow 0
		.amdhsa_memory_ordered 1
		.amdhsa_forward_progress 1
		.amdhsa_inst_pref_size 0
		.amdhsa_round_robin_scheduling 0
		.amdhsa_exception_fp_ieee_invalid_op 0
		.amdhsa_exception_fp_denorm_src 0
		.amdhsa_exception_fp_ieee_div_zero 0
		.amdhsa_exception_fp_ieee_overflow 0
		.amdhsa_exception_fp_ieee_underflow 0
		.amdhsa_exception_fp_ieee_inexact 0
		.amdhsa_exception_int_div_zero 0
	.end_amdhsa_kernel
	.section	.text._ZN7rocprim17ROCPRIM_400000_NS6detail17trampoline_kernelINS0_14default_configENS1_25transform_config_selectorIiLb1EEEZNS1_14transform_implILb1ES3_S5_PiS7_NS0_8identityIiEEEE10hipError_tT2_T3_mT4_P12ihipStream_tbEUlT_E_NS1_11comp_targetILNS1_3genE4ELNS1_11target_archE910ELNS1_3gpuE8ELNS1_3repE0EEENS1_30default_config_static_selectorELNS0_4arch9wavefront6targetE0EEEvT1_,"axG",@progbits,_ZN7rocprim17ROCPRIM_400000_NS6detail17trampoline_kernelINS0_14default_configENS1_25transform_config_selectorIiLb1EEEZNS1_14transform_implILb1ES3_S5_PiS7_NS0_8identityIiEEEE10hipError_tT2_T3_mT4_P12ihipStream_tbEUlT_E_NS1_11comp_targetILNS1_3genE4ELNS1_11target_archE910ELNS1_3gpuE8ELNS1_3repE0EEENS1_30default_config_static_selectorELNS0_4arch9wavefront6targetE0EEEvT1_,comdat
.Lfunc_end794:
	.size	_ZN7rocprim17ROCPRIM_400000_NS6detail17trampoline_kernelINS0_14default_configENS1_25transform_config_selectorIiLb1EEEZNS1_14transform_implILb1ES3_S5_PiS7_NS0_8identityIiEEEE10hipError_tT2_T3_mT4_P12ihipStream_tbEUlT_E_NS1_11comp_targetILNS1_3genE4ELNS1_11target_archE910ELNS1_3gpuE8ELNS1_3repE0EEENS1_30default_config_static_selectorELNS0_4arch9wavefront6targetE0EEEvT1_, .Lfunc_end794-_ZN7rocprim17ROCPRIM_400000_NS6detail17trampoline_kernelINS0_14default_configENS1_25transform_config_selectorIiLb1EEEZNS1_14transform_implILb1ES3_S5_PiS7_NS0_8identityIiEEEE10hipError_tT2_T3_mT4_P12ihipStream_tbEUlT_E_NS1_11comp_targetILNS1_3genE4ELNS1_11target_archE910ELNS1_3gpuE8ELNS1_3repE0EEENS1_30default_config_static_selectorELNS0_4arch9wavefront6targetE0EEEvT1_
                                        ; -- End function
	.set _ZN7rocprim17ROCPRIM_400000_NS6detail17trampoline_kernelINS0_14default_configENS1_25transform_config_selectorIiLb1EEEZNS1_14transform_implILb1ES3_S5_PiS7_NS0_8identityIiEEEE10hipError_tT2_T3_mT4_P12ihipStream_tbEUlT_E_NS1_11comp_targetILNS1_3genE4ELNS1_11target_archE910ELNS1_3gpuE8ELNS1_3repE0EEENS1_30default_config_static_selectorELNS0_4arch9wavefront6targetE0EEEvT1_.num_vgpr, 0
	.set _ZN7rocprim17ROCPRIM_400000_NS6detail17trampoline_kernelINS0_14default_configENS1_25transform_config_selectorIiLb1EEEZNS1_14transform_implILb1ES3_S5_PiS7_NS0_8identityIiEEEE10hipError_tT2_T3_mT4_P12ihipStream_tbEUlT_E_NS1_11comp_targetILNS1_3genE4ELNS1_11target_archE910ELNS1_3gpuE8ELNS1_3repE0EEENS1_30default_config_static_selectorELNS0_4arch9wavefront6targetE0EEEvT1_.num_agpr, 0
	.set _ZN7rocprim17ROCPRIM_400000_NS6detail17trampoline_kernelINS0_14default_configENS1_25transform_config_selectorIiLb1EEEZNS1_14transform_implILb1ES3_S5_PiS7_NS0_8identityIiEEEE10hipError_tT2_T3_mT4_P12ihipStream_tbEUlT_E_NS1_11comp_targetILNS1_3genE4ELNS1_11target_archE910ELNS1_3gpuE8ELNS1_3repE0EEENS1_30default_config_static_selectorELNS0_4arch9wavefront6targetE0EEEvT1_.numbered_sgpr, 0
	.set _ZN7rocprim17ROCPRIM_400000_NS6detail17trampoline_kernelINS0_14default_configENS1_25transform_config_selectorIiLb1EEEZNS1_14transform_implILb1ES3_S5_PiS7_NS0_8identityIiEEEE10hipError_tT2_T3_mT4_P12ihipStream_tbEUlT_E_NS1_11comp_targetILNS1_3genE4ELNS1_11target_archE910ELNS1_3gpuE8ELNS1_3repE0EEENS1_30default_config_static_selectorELNS0_4arch9wavefront6targetE0EEEvT1_.num_named_barrier, 0
	.set _ZN7rocprim17ROCPRIM_400000_NS6detail17trampoline_kernelINS0_14default_configENS1_25transform_config_selectorIiLb1EEEZNS1_14transform_implILb1ES3_S5_PiS7_NS0_8identityIiEEEE10hipError_tT2_T3_mT4_P12ihipStream_tbEUlT_E_NS1_11comp_targetILNS1_3genE4ELNS1_11target_archE910ELNS1_3gpuE8ELNS1_3repE0EEENS1_30default_config_static_selectorELNS0_4arch9wavefront6targetE0EEEvT1_.private_seg_size, 0
	.set _ZN7rocprim17ROCPRIM_400000_NS6detail17trampoline_kernelINS0_14default_configENS1_25transform_config_selectorIiLb1EEEZNS1_14transform_implILb1ES3_S5_PiS7_NS0_8identityIiEEEE10hipError_tT2_T3_mT4_P12ihipStream_tbEUlT_E_NS1_11comp_targetILNS1_3genE4ELNS1_11target_archE910ELNS1_3gpuE8ELNS1_3repE0EEENS1_30default_config_static_selectorELNS0_4arch9wavefront6targetE0EEEvT1_.uses_vcc, 0
	.set _ZN7rocprim17ROCPRIM_400000_NS6detail17trampoline_kernelINS0_14default_configENS1_25transform_config_selectorIiLb1EEEZNS1_14transform_implILb1ES3_S5_PiS7_NS0_8identityIiEEEE10hipError_tT2_T3_mT4_P12ihipStream_tbEUlT_E_NS1_11comp_targetILNS1_3genE4ELNS1_11target_archE910ELNS1_3gpuE8ELNS1_3repE0EEENS1_30default_config_static_selectorELNS0_4arch9wavefront6targetE0EEEvT1_.uses_flat_scratch, 0
	.set _ZN7rocprim17ROCPRIM_400000_NS6detail17trampoline_kernelINS0_14default_configENS1_25transform_config_selectorIiLb1EEEZNS1_14transform_implILb1ES3_S5_PiS7_NS0_8identityIiEEEE10hipError_tT2_T3_mT4_P12ihipStream_tbEUlT_E_NS1_11comp_targetILNS1_3genE4ELNS1_11target_archE910ELNS1_3gpuE8ELNS1_3repE0EEENS1_30default_config_static_selectorELNS0_4arch9wavefront6targetE0EEEvT1_.has_dyn_sized_stack, 0
	.set _ZN7rocprim17ROCPRIM_400000_NS6detail17trampoline_kernelINS0_14default_configENS1_25transform_config_selectorIiLb1EEEZNS1_14transform_implILb1ES3_S5_PiS7_NS0_8identityIiEEEE10hipError_tT2_T3_mT4_P12ihipStream_tbEUlT_E_NS1_11comp_targetILNS1_3genE4ELNS1_11target_archE910ELNS1_3gpuE8ELNS1_3repE0EEENS1_30default_config_static_selectorELNS0_4arch9wavefront6targetE0EEEvT1_.has_recursion, 0
	.set _ZN7rocprim17ROCPRIM_400000_NS6detail17trampoline_kernelINS0_14default_configENS1_25transform_config_selectorIiLb1EEEZNS1_14transform_implILb1ES3_S5_PiS7_NS0_8identityIiEEEE10hipError_tT2_T3_mT4_P12ihipStream_tbEUlT_E_NS1_11comp_targetILNS1_3genE4ELNS1_11target_archE910ELNS1_3gpuE8ELNS1_3repE0EEENS1_30default_config_static_selectorELNS0_4arch9wavefront6targetE0EEEvT1_.has_indirect_call, 0
	.section	.AMDGPU.csdata,"",@progbits
; Kernel info:
; codeLenInByte = 0
; TotalNumSgprs: 0
; NumVgprs: 0
; ScratchSize: 0
; MemoryBound: 0
; FloatMode: 240
; IeeeMode: 1
; LDSByteSize: 0 bytes/workgroup (compile time only)
; SGPRBlocks: 0
; VGPRBlocks: 0
; NumSGPRsForWavesPerEU: 1
; NumVGPRsForWavesPerEU: 1
; NamedBarCnt: 0
; Occupancy: 16
; WaveLimiterHint : 0
; COMPUTE_PGM_RSRC2:SCRATCH_EN: 0
; COMPUTE_PGM_RSRC2:USER_SGPR: 2
; COMPUTE_PGM_RSRC2:TRAP_HANDLER: 0
; COMPUTE_PGM_RSRC2:TGID_X_EN: 1
; COMPUTE_PGM_RSRC2:TGID_Y_EN: 0
; COMPUTE_PGM_RSRC2:TGID_Z_EN: 0
; COMPUTE_PGM_RSRC2:TIDIG_COMP_CNT: 0
	.section	.text._ZN7rocprim17ROCPRIM_400000_NS6detail17trampoline_kernelINS0_14default_configENS1_25transform_config_selectorIiLb1EEEZNS1_14transform_implILb1ES3_S5_PiS7_NS0_8identityIiEEEE10hipError_tT2_T3_mT4_P12ihipStream_tbEUlT_E_NS1_11comp_targetILNS1_3genE3ELNS1_11target_archE908ELNS1_3gpuE7ELNS1_3repE0EEENS1_30default_config_static_selectorELNS0_4arch9wavefront6targetE0EEEvT1_,"axG",@progbits,_ZN7rocprim17ROCPRIM_400000_NS6detail17trampoline_kernelINS0_14default_configENS1_25transform_config_selectorIiLb1EEEZNS1_14transform_implILb1ES3_S5_PiS7_NS0_8identityIiEEEE10hipError_tT2_T3_mT4_P12ihipStream_tbEUlT_E_NS1_11comp_targetILNS1_3genE3ELNS1_11target_archE908ELNS1_3gpuE7ELNS1_3repE0EEENS1_30default_config_static_selectorELNS0_4arch9wavefront6targetE0EEEvT1_,comdat
	.protected	_ZN7rocprim17ROCPRIM_400000_NS6detail17trampoline_kernelINS0_14default_configENS1_25transform_config_selectorIiLb1EEEZNS1_14transform_implILb1ES3_S5_PiS7_NS0_8identityIiEEEE10hipError_tT2_T3_mT4_P12ihipStream_tbEUlT_E_NS1_11comp_targetILNS1_3genE3ELNS1_11target_archE908ELNS1_3gpuE7ELNS1_3repE0EEENS1_30default_config_static_selectorELNS0_4arch9wavefront6targetE0EEEvT1_ ; -- Begin function _ZN7rocprim17ROCPRIM_400000_NS6detail17trampoline_kernelINS0_14default_configENS1_25transform_config_selectorIiLb1EEEZNS1_14transform_implILb1ES3_S5_PiS7_NS0_8identityIiEEEE10hipError_tT2_T3_mT4_P12ihipStream_tbEUlT_E_NS1_11comp_targetILNS1_3genE3ELNS1_11target_archE908ELNS1_3gpuE7ELNS1_3repE0EEENS1_30default_config_static_selectorELNS0_4arch9wavefront6targetE0EEEvT1_
	.globl	_ZN7rocprim17ROCPRIM_400000_NS6detail17trampoline_kernelINS0_14default_configENS1_25transform_config_selectorIiLb1EEEZNS1_14transform_implILb1ES3_S5_PiS7_NS0_8identityIiEEEE10hipError_tT2_T3_mT4_P12ihipStream_tbEUlT_E_NS1_11comp_targetILNS1_3genE3ELNS1_11target_archE908ELNS1_3gpuE7ELNS1_3repE0EEENS1_30default_config_static_selectorELNS0_4arch9wavefront6targetE0EEEvT1_
	.p2align	8
	.type	_ZN7rocprim17ROCPRIM_400000_NS6detail17trampoline_kernelINS0_14default_configENS1_25transform_config_selectorIiLb1EEEZNS1_14transform_implILb1ES3_S5_PiS7_NS0_8identityIiEEEE10hipError_tT2_T3_mT4_P12ihipStream_tbEUlT_E_NS1_11comp_targetILNS1_3genE3ELNS1_11target_archE908ELNS1_3gpuE7ELNS1_3repE0EEENS1_30default_config_static_selectorELNS0_4arch9wavefront6targetE0EEEvT1_,@function
_ZN7rocprim17ROCPRIM_400000_NS6detail17trampoline_kernelINS0_14default_configENS1_25transform_config_selectorIiLb1EEEZNS1_14transform_implILb1ES3_S5_PiS7_NS0_8identityIiEEEE10hipError_tT2_T3_mT4_P12ihipStream_tbEUlT_E_NS1_11comp_targetILNS1_3genE3ELNS1_11target_archE908ELNS1_3gpuE7ELNS1_3repE0EEENS1_30default_config_static_selectorELNS0_4arch9wavefront6targetE0EEEvT1_: ; @_ZN7rocprim17ROCPRIM_400000_NS6detail17trampoline_kernelINS0_14default_configENS1_25transform_config_selectorIiLb1EEEZNS1_14transform_implILb1ES3_S5_PiS7_NS0_8identityIiEEEE10hipError_tT2_T3_mT4_P12ihipStream_tbEUlT_E_NS1_11comp_targetILNS1_3genE3ELNS1_11target_archE908ELNS1_3gpuE7ELNS1_3repE0EEENS1_30default_config_static_selectorELNS0_4arch9wavefront6targetE0EEEvT1_
; %bb.0:
	.section	.rodata,"a",@progbits
	.p2align	6, 0x0
	.amdhsa_kernel _ZN7rocprim17ROCPRIM_400000_NS6detail17trampoline_kernelINS0_14default_configENS1_25transform_config_selectorIiLb1EEEZNS1_14transform_implILb1ES3_S5_PiS7_NS0_8identityIiEEEE10hipError_tT2_T3_mT4_P12ihipStream_tbEUlT_E_NS1_11comp_targetILNS1_3genE3ELNS1_11target_archE908ELNS1_3gpuE7ELNS1_3repE0EEENS1_30default_config_static_selectorELNS0_4arch9wavefront6targetE0EEEvT1_
		.amdhsa_group_segment_fixed_size 0
		.amdhsa_private_segment_fixed_size 0
		.amdhsa_kernarg_size 40
		.amdhsa_user_sgpr_count 2
		.amdhsa_user_sgpr_dispatch_ptr 0
		.amdhsa_user_sgpr_queue_ptr 0
		.amdhsa_user_sgpr_kernarg_segment_ptr 1
		.amdhsa_user_sgpr_dispatch_id 0
		.amdhsa_user_sgpr_kernarg_preload_length 0
		.amdhsa_user_sgpr_kernarg_preload_offset 0
		.amdhsa_user_sgpr_private_segment_size 0
		.amdhsa_wavefront_size32 1
		.amdhsa_uses_dynamic_stack 0
		.amdhsa_enable_private_segment 0
		.amdhsa_system_sgpr_workgroup_id_x 1
		.amdhsa_system_sgpr_workgroup_id_y 0
		.amdhsa_system_sgpr_workgroup_id_z 0
		.amdhsa_system_sgpr_workgroup_info 0
		.amdhsa_system_vgpr_workitem_id 0
		.amdhsa_next_free_vgpr 1
		.amdhsa_next_free_sgpr 1
		.amdhsa_named_barrier_count 0
		.amdhsa_reserve_vcc 0
		.amdhsa_float_round_mode_32 0
		.amdhsa_float_round_mode_16_64 0
		.amdhsa_float_denorm_mode_32 3
		.amdhsa_float_denorm_mode_16_64 3
		.amdhsa_fp16_overflow 0
		.amdhsa_memory_ordered 1
		.amdhsa_forward_progress 1
		.amdhsa_inst_pref_size 0
		.amdhsa_round_robin_scheduling 0
		.amdhsa_exception_fp_ieee_invalid_op 0
		.amdhsa_exception_fp_denorm_src 0
		.amdhsa_exception_fp_ieee_div_zero 0
		.amdhsa_exception_fp_ieee_overflow 0
		.amdhsa_exception_fp_ieee_underflow 0
		.amdhsa_exception_fp_ieee_inexact 0
		.amdhsa_exception_int_div_zero 0
	.end_amdhsa_kernel
	.section	.text._ZN7rocprim17ROCPRIM_400000_NS6detail17trampoline_kernelINS0_14default_configENS1_25transform_config_selectorIiLb1EEEZNS1_14transform_implILb1ES3_S5_PiS7_NS0_8identityIiEEEE10hipError_tT2_T3_mT4_P12ihipStream_tbEUlT_E_NS1_11comp_targetILNS1_3genE3ELNS1_11target_archE908ELNS1_3gpuE7ELNS1_3repE0EEENS1_30default_config_static_selectorELNS0_4arch9wavefront6targetE0EEEvT1_,"axG",@progbits,_ZN7rocprim17ROCPRIM_400000_NS6detail17trampoline_kernelINS0_14default_configENS1_25transform_config_selectorIiLb1EEEZNS1_14transform_implILb1ES3_S5_PiS7_NS0_8identityIiEEEE10hipError_tT2_T3_mT4_P12ihipStream_tbEUlT_E_NS1_11comp_targetILNS1_3genE3ELNS1_11target_archE908ELNS1_3gpuE7ELNS1_3repE0EEENS1_30default_config_static_selectorELNS0_4arch9wavefront6targetE0EEEvT1_,comdat
.Lfunc_end795:
	.size	_ZN7rocprim17ROCPRIM_400000_NS6detail17trampoline_kernelINS0_14default_configENS1_25transform_config_selectorIiLb1EEEZNS1_14transform_implILb1ES3_S5_PiS7_NS0_8identityIiEEEE10hipError_tT2_T3_mT4_P12ihipStream_tbEUlT_E_NS1_11comp_targetILNS1_3genE3ELNS1_11target_archE908ELNS1_3gpuE7ELNS1_3repE0EEENS1_30default_config_static_selectorELNS0_4arch9wavefront6targetE0EEEvT1_, .Lfunc_end795-_ZN7rocprim17ROCPRIM_400000_NS6detail17trampoline_kernelINS0_14default_configENS1_25transform_config_selectorIiLb1EEEZNS1_14transform_implILb1ES3_S5_PiS7_NS0_8identityIiEEEE10hipError_tT2_T3_mT4_P12ihipStream_tbEUlT_E_NS1_11comp_targetILNS1_3genE3ELNS1_11target_archE908ELNS1_3gpuE7ELNS1_3repE0EEENS1_30default_config_static_selectorELNS0_4arch9wavefront6targetE0EEEvT1_
                                        ; -- End function
	.set _ZN7rocprim17ROCPRIM_400000_NS6detail17trampoline_kernelINS0_14default_configENS1_25transform_config_selectorIiLb1EEEZNS1_14transform_implILb1ES3_S5_PiS7_NS0_8identityIiEEEE10hipError_tT2_T3_mT4_P12ihipStream_tbEUlT_E_NS1_11comp_targetILNS1_3genE3ELNS1_11target_archE908ELNS1_3gpuE7ELNS1_3repE0EEENS1_30default_config_static_selectorELNS0_4arch9wavefront6targetE0EEEvT1_.num_vgpr, 0
	.set _ZN7rocprim17ROCPRIM_400000_NS6detail17trampoline_kernelINS0_14default_configENS1_25transform_config_selectorIiLb1EEEZNS1_14transform_implILb1ES3_S5_PiS7_NS0_8identityIiEEEE10hipError_tT2_T3_mT4_P12ihipStream_tbEUlT_E_NS1_11comp_targetILNS1_3genE3ELNS1_11target_archE908ELNS1_3gpuE7ELNS1_3repE0EEENS1_30default_config_static_selectorELNS0_4arch9wavefront6targetE0EEEvT1_.num_agpr, 0
	.set _ZN7rocprim17ROCPRIM_400000_NS6detail17trampoline_kernelINS0_14default_configENS1_25transform_config_selectorIiLb1EEEZNS1_14transform_implILb1ES3_S5_PiS7_NS0_8identityIiEEEE10hipError_tT2_T3_mT4_P12ihipStream_tbEUlT_E_NS1_11comp_targetILNS1_3genE3ELNS1_11target_archE908ELNS1_3gpuE7ELNS1_3repE0EEENS1_30default_config_static_selectorELNS0_4arch9wavefront6targetE0EEEvT1_.numbered_sgpr, 0
	.set _ZN7rocprim17ROCPRIM_400000_NS6detail17trampoline_kernelINS0_14default_configENS1_25transform_config_selectorIiLb1EEEZNS1_14transform_implILb1ES3_S5_PiS7_NS0_8identityIiEEEE10hipError_tT2_T3_mT4_P12ihipStream_tbEUlT_E_NS1_11comp_targetILNS1_3genE3ELNS1_11target_archE908ELNS1_3gpuE7ELNS1_3repE0EEENS1_30default_config_static_selectorELNS0_4arch9wavefront6targetE0EEEvT1_.num_named_barrier, 0
	.set _ZN7rocprim17ROCPRIM_400000_NS6detail17trampoline_kernelINS0_14default_configENS1_25transform_config_selectorIiLb1EEEZNS1_14transform_implILb1ES3_S5_PiS7_NS0_8identityIiEEEE10hipError_tT2_T3_mT4_P12ihipStream_tbEUlT_E_NS1_11comp_targetILNS1_3genE3ELNS1_11target_archE908ELNS1_3gpuE7ELNS1_3repE0EEENS1_30default_config_static_selectorELNS0_4arch9wavefront6targetE0EEEvT1_.private_seg_size, 0
	.set _ZN7rocprim17ROCPRIM_400000_NS6detail17trampoline_kernelINS0_14default_configENS1_25transform_config_selectorIiLb1EEEZNS1_14transform_implILb1ES3_S5_PiS7_NS0_8identityIiEEEE10hipError_tT2_T3_mT4_P12ihipStream_tbEUlT_E_NS1_11comp_targetILNS1_3genE3ELNS1_11target_archE908ELNS1_3gpuE7ELNS1_3repE0EEENS1_30default_config_static_selectorELNS0_4arch9wavefront6targetE0EEEvT1_.uses_vcc, 0
	.set _ZN7rocprim17ROCPRIM_400000_NS6detail17trampoline_kernelINS0_14default_configENS1_25transform_config_selectorIiLb1EEEZNS1_14transform_implILb1ES3_S5_PiS7_NS0_8identityIiEEEE10hipError_tT2_T3_mT4_P12ihipStream_tbEUlT_E_NS1_11comp_targetILNS1_3genE3ELNS1_11target_archE908ELNS1_3gpuE7ELNS1_3repE0EEENS1_30default_config_static_selectorELNS0_4arch9wavefront6targetE0EEEvT1_.uses_flat_scratch, 0
	.set _ZN7rocprim17ROCPRIM_400000_NS6detail17trampoline_kernelINS0_14default_configENS1_25transform_config_selectorIiLb1EEEZNS1_14transform_implILb1ES3_S5_PiS7_NS0_8identityIiEEEE10hipError_tT2_T3_mT4_P12ihipStream_tbEUlT_E_NS1_11comp_targetILNS1_3genE3ELNS1_11target_archE908ELNS1_3gpuE7ELNS1_3repE0EEENS1_30default_config_static_selectorELNS0_4arch9wavefront6targetE0EEEvT1_.has_dyn_sized_stack, 0
	.set _ZN7rocprim17ROCPRIM_400000_NS6detail17trampoline_kernelINS0_14default_configENS1_25transform_config_selectorIiLb1EEEZNS1_14transform_implILb1ES3_S5_PiS7_NS0_8identityIiEEEE10hipError_tT2_T3_mT4_P12ihipStream_tbEUlT_E_NS1_11comp_targetILNS1_3genE3ELNS1_11target_archE908ELNS1_3gpuE7ELNS1_3repE0EEENS1_30default_config_static_selectorELNS0_4arch9wavefront6targetE0EEEvT1_.has_recursion, 0
	.set _ZN7rocprim17ROCPRIM_400000_NS6detail17trampoline_kernelINS0_14default_configENS1_25transform_config_selectorIiLb1EEEZNS1_14transform_implILb1ES3_S5_PiS7_NS0_8identityIiEEEE10hipError_tT2_T3_mT4_P12ihipStream_tbEUlT_E_NS1_11comp_targetILNS1_3genE3ELNS1_11target_archE908ELNS1_3gpuE7ELNS1_3repE0EEENS1_30default_config_static_selectorELNS0_4arch9wavefront6targetE0EEEvT1_.has_indirect_call, 0
	.section	.AMDGPU.csdata,"",@progbits
; Kernel info:
; codeLenInByte = 0
; TotalNumSgprs: 0
; NumVgprs: 0
; ScratchSize: 0
; MemoryBound: 0
; FloatMode: 240
; IeeeMode: 1
; LDSByteSize: 0 bytes/workgroup (compile time only)
; SGPRBlocks: 0
; VGPRBlocks: 0
; NumSGPRsForWavesPerEU: 1
; NumVGPRsForWavesPerEU: 1
; NamedBarCnt: 0
; Occupancy: 16
; WaveLimiterHint : 0
; COMPUTE_PGM_RSRC2:SCRATCH_EN: 0
; COMPUTE_PGM_RSRC2:USER_SGPR: 2
; COMPUTE_PGM_RSRC2:TRAP_HANDLER: 0
; COMPUTE_PGM_RSRC2:TGID_X_EN: 1
; COMPUTE_PGM_RSRC2:TGID_Y_EN: 0
; COMPUTE_PGM_RSRC2:TGID_Z_EN: 0
; COMPUTE_PGM_RSRC2:TIDIG_COMP_CNT: 0
	.section	.text._ZN7rocprim17ROCPRIM_400000_NS6detail17trampoline_kernelINS0_14default_configENS1_25transform_config_selectorIiLb1EEEZNS1_14transform_implILb1ES3_S5_PiS7_NS0_8identityIiEEEE10hipError_tT2_T3_mT4_P12ihipStream_tbEUlT_E_NS1_11comp_targetILNS1_3genE2ELNS1_11target_archE906ELNS1_3gpuE6ELNS1_3repE0EEENS1_30default_config_static_selectorELNS0_4arch9wavefront6targetE0EEEvT1_,"axG",@progbits,_ZN7rocprim17ROCPRIM_400000_NS6detail17trampoline_kernelINS0_14default_configENS1_25transform_config_selectorIiLb1EEEZNS1_14transform_implILb1ES3_S5_PiS7_NS0_8identityIiEEEE10hipError_tT2_T3_mT4_P12ihipStream_tbEUlT_E_NS1_11comp_targetILNS1_3genE2ELNS1_11target_archE906ELNS1_3gpuE6ELNS1_3repE0EEENS1_30default_config_static_selectorELNS0_4arch9wavefront6targetE0EEEvT1_,comdat
	.protected	_ZN7rocprim17ROCPRIM_400000_NS6detail17trampoline_kernelINS0_14default_configENS1_25transform_config_selectorIiLb1EEEZNS1_14transform_implILb1ES3_S5_PiS7_NS0_8identityIiEEEE10hipError_tT2_T3_mT4_P12ihipStream_tbEUlT_E_NS1_11comp_targetILNS1_3genE2ELNS1_11target_archE906ELNS1_3gpuE6ELNS1_3repE0EEENS1_30default_config_static_selectorELNS0_4arch9wavefront6targetE0EEEvT1_ ; -- Begin function _ZN7rocprim17ROCPRIM_400000_NS6detail17trampoline_kernelINS0_14default_configENS1_25transform_config_selectorIiLb1EEEZNS1_14transform_implILb1ES3_S5_PiS7_NS0_8identityIiEEEE10hipError_tT2_T3_mT4_P12ihipStream_tbEUlT_E_NS1_11comp_targetILNS1_3genE2ELNS1_11target_archE906ELNS1_3gpuE6ELNS1_3repE0EEENS1_30default_config_static_selectorELNS0_4arch9wavefront6targetE0EEEvT1_
	.globl	_ZN7rocprim17ROCPRIM_400000_NS6detail17trampoline_kernelINS0_14default_configENS1_25transform_config_selectorIiLb1EEEZNS1_14transform_implILb1ES3_S5_PiS7_NS0_8identityIiEEEE10hipError_tT2_T3_mT4_P12ihipStream_tbEUlT_E_NS1_11comp_targetILNS1_3genE2ELNS1_11target_archE906ELNS1_3gpuE6ELNS1_3repE0EEENS1_30default_config_static_selectorELNS0_4arch9wavefront6targetE0EEEvT1_
	.p2align	8
	.type	_ZN7rocprim17ROCPRIM_400000_NS6detail17trampoline_kernelINS0_14default_configENS1_25transform_config_selectorIiLb1EEEZNS1_14transform_implILb1ES3_S5_PiS7_NS0_8identityIiEEEE10hipError_tT2_T3_mT4_P12ihipStream_tbEUlT_E_NS1_11comp_targetILNS1_3genE2ELNS1_11target_archE906ELNS1_3gpuE6ELNS1_3repE0EEENS1_30default_config_static_selectorELNS0_4arch9wavefront6targetE0EEEvT1_,@function
_ZN7rocprim17ROCPRIM_400000_NS6detail17trampoline_kernelINS0_14default_configENS1_25transform_config_selectorIiLb1EEEZNS1_14transform_implILb1ES3_S5_PiS7_NS0_8identityIiEEEE10hipError_tT2_T3_mT4_P12ihipStream_tbEUlT_E_NS1_11comp_targetILNS1_3genE2ELNS1_11target_archE906ELNS1_3gpuE6ELNS1_3repE0EEENS1_30default_config_static_selectorELNS0_4arch9wavefront6targetE0EEEvT1_: ; @_ZN7rocprim17ROCPRIM_400000_NS6detail17trampoline_kernelINS0_14default_configENS1_25transform_config_selectorIiLb1EEEZNS1_14transform_implILb1ES3_S5_PiS7_NS0_8identityIiEEEE10hipError_tT2_T3_mT4_P12ihipStream_tbEUlT_E_NS1_11comp_targetILNS1_3genE2ELNS1_11target_archE906ELNS1_3gpuE6ELNS1_3repE0EEENS1_30default_config_static_selectorELNS0_4arch9wavefront6targetE0EEEvT1_
; %bb.0:
	.section	.rodata,"a",@progbits
	.p2align	6, 0x0
	.amdhsa_kernel _ZN7rocprim17ROCPRIM_400000_NS6detail17trampoline_kernelINS0_14default_configENS1_25transform_config_selectorIiLb1EEEZNS1_14transform_implILb1ES3_S5_PiS7_NS0_8identityIiEEEE10hipError_tT2_T3_mT4_P12ihipStream_tbEUlT_E_NS1_11comp_targetILNS1_3genE2ELNS1_11target_archE906ELNS1_3gpuE6ELNS1_3repE0EEENS1_30default_config_static_selectorELNS0_4arch9wavefront6targetE0EEEvT1_
		.amdhsa_group_segment_fixed_size 0
		.amdhsa_private_segment_fixed_size 0
		.amdhsa_kernarg_size 40
		.amdhsa_user_sgpr_count 2
		.amdhsa_user_sgpr_dispatch_ptr 0
		.amdhsa_user_sgpr_queue_ptr 0
		.amdhsa_user_sgpr_kernarg_segment_ptr 1
		.amdhsa_user_sgpr_dispatch_id 0
		.amdhsa_user_sgpr_kernarg_preload_length 0
		.amdhsa_user_sgpr_kernarg_preload_offset 0
		.amdhsa_user_sgpr_private_segment_size 0
		.amdhsa_wavefront_size32 1
		.amdhsa_uses_dynamic_stack 0
		.amdhsa_enable_private_segment 0
		.amdhsa_system_sgpr_workgroup_id_x 1
		.amdhsa_system_sgpr_workgroup_id_y 0
		.amdhsa_system_sgpr_workgroup_id_z 0
		.amdhsa_system_sgpr_workgroup_info 0
		.amdhsa_system_vgpr_workitem_id 0
		.amdhsa_next_free_vgpr 1
		.amdhsa_next_free_sgpr 1
		.amdhsa_named_barrier_count 0
		.amdhsa_reserve_vcc 0
		.amdhsa_float_round_mode_32 0
		.amdhsa_float_round_mode_16_64 0
		.amdhsa_float_denorm_mode_32 3
		.amdhsa_float_denorm_mode_16_64 3
		.amdhsa_fp16_overflow 0
		.amdhsa_memory_ordered 1
		.amdhsa_forward_progress 1
		.amdhsa_inst_pref_size 0
		.amdhsa_round_robin_scheduling 0
		.amdhsa_exception_fp_ieee_invalid_op 0
		.amdhsa_exception_fp_denorm_src 0
		.amdhsa_exception_fp_ieee_div_zero 0
		.amdhsa_exception_fp_ieee_overflow 0
		.amdhsa_exception_fp_ieee_underflow 0
		.amdhsa_exception_fp_ieee_inexact 0
		.amdhsa_exception_int_div_zero 0
	.end_amdhsa_kernel
	.section	.text._ZN7rocprim17ROCPRIM_400000_NS6detail17trampoline_kernelINS0_14default_configENS1_25transform_config_selectorIiLb1EEEZNS1_14transform_implILb1ES3_S5_PiS7_NS0_8identityIiEEEE10hipError_tT2_T3_mT4_P12ihipStream_tbEUlT_E_NS1_11comp_targetILNS1_3genE2ELNS1_11target_archE906ELNS1_3gpuE6ELNS1_3repE0EEENS1_30default_config_static_selectorELNS0_4arch9wavefront6targetE0EEEvT1_,"axG",@progbits,_ZN7rocprim17ROCPRIM_400000_NS6detail17trampoline_kernelINS0_14default_configENS1_25transform_config_selectorIiLb1EEEZNS1_14transform_implILb1ES3_S5_PiS7_NS0_8identityIiEEEE10hipError_tT2_T3_mT4_P12ihipStream_tbEUlT_E_NS1_11comp_targetILNS1_3genE2ELNS1_11target_archE906ELNS1_3gpuE6ELNS1_3repE0EEENS1_30default_config_static_selectorELNS0_4arch9wavefront6targetE0EEEvT1_,comdat
.Lfunc_end796:
	.size	_ZN7rocprim17ROCPRIM_400000_NS6detail17trampoline_kernelINS0_14default_configENS1_25transform_config_selectorIiLb1EEEZNS1_14transform_implILb1ES3_S5_PiS7_NS0_8identityIiEEEE10hipError_tT2_T3_mT4_P12ihipStream_tbEUlT_E_NS1_11comp_targetILNS1_3genE2ELNS1_11target_archE906ELNS1_3gpuE6ELNS1_3repE0EEENS1_30default_config_static_selectorELNS0_4arch9wavefront6targetE0EEEvT1_, .Lfunc_end796-_ZN7rocprim17ROCPRIM_400000_NS6detail17trampoline_kernelINS0_14default_configENS1_25transform_config_selectorIiLb1EEEZNS1_14transform_implILb1ES3_S5_PiS7_NS0_8identityIiEEEE10hipError_tT2_T3_mT4_P12ihipStream_tbEUlT_E_NS1_11comp_targetILNS1_3genE2ELNS1_11target_archE906ELNS1_3gpuE6ELNS1_3repE0EEENS1_30default_config_static_selectorELNS0_4arch9wavefront6targetE0EEEvT1_
                                        ; -- End function
	.set _ZN7rocprim17ROCPRIM_400000_NS6detail17trampoline_kernelINS0_14default_configENS1_25transform_config_selectorIiLb1EEEZNS1_14transform_implILb1ES3_S5_PiS7_NS0_8identityIiEEEE10hipError_tT2_T3_mT4_P12ihipStream_tbEUlT_E_NS1_11comp_targetILNS1_3genE2ELNS1_11target_archE906ELNS1_3gpuE6ELNS1_3repE0EEENS1_30default_config_static_selectorELNS0_4arch9wavefront6targetE0EEEvT1_.num_vgpr, 0
	.set _ZN7rocprim17ROCPRIM_400000_NS6detail17trampoline_kernelINS0_14default_configENS1_25transform_config_selectorIiLb1EEEZNS1_14transform_implILb1ES3_S5_PiS7_NS0_8identityIiEEEE10hipError_tT2_T3_mT4_P12ihipStream_tbEUlT_E_NS1_11comp_targetILNS1_3genE2ELNS1_11target_archE906ELNS1_3gpuE6ELNS1_3repE0EEENS1_30default_config_static_selectorELNS0_4arch9wavefront6targetE0EEEvT1_.num_agpr, 0
	.set _ZN7rocprim17ROCPRIM_400000_NS6detail17trampoline_kernelINS0_14default_configENS1_25transform_config_selectorIiLb1EEEZNS1_14transform_implILb1ES3_S5_PiS7_NS0_8identityIiEEEE10hipError_tT2_T3_mT4_P12ihipStream_tbEUlT_E_NS1_11comp_targetILNS1_3genE2ELNS1_11target_archE906ELNS1_3gpuE6ELNS1_3repE0EEENS1_30default_config_static_selectorELNS0_4arch9wavefront6targetE0EEEvT1_.numbered_sgpr, 0
	.set _ZN7rocprim17ROCPRIM_400000_NS6detail17trampoline_kernelINS0_14default_configENS1_25transform_config_selectorIiLb1EEEZNS1_14transform_implILb1ES3_S5_PiS7_NS0_8identityIiEEEE10hipError_tT2_T3_mT4_P12ihipStream_tbEUlT_E_NS1_11comp_targetILNS1_3genE2ELNS1_11target_archE906ELNS1_3gpuE6ELNS1_3repE0EEENS1_30default_config_static_selectorELNS0_4arch9wavefront6targetE0EEEvT1_.num_named_barrier, 0
	.set _ZN7rocprim17ROCPRIM_400000_NS6detail17trampoline_kernelINS0_14default_configENS1_25transform_config_selectorIiLb1EEEZNS1_14transform_implILb1ES3_S5_PiS7_NS0_8identityIiEEEE10hipError_tT2_T3_mT4_P12ihipStream_tbEUlT_E_NS1_11comp_targetILNS1_3genE2ELNS1_11target_archE906ELNS1_3gpuE6ELNS1_3repE0EEENS1_30default_config_static_selectorELNS0_4arch9wavefront6targetE0EEEvT1_.private_seg_size, 0
	.set _ZN7rocprim17ROCPRIM_400000_NS6detail17trampoline_kernelINS0_14default_configENS1_25transform_config_selectorIiLb1EEEZNS1_14transform_implILb1ES3_S5_PiS7_NS0_8identityIiEEEE10hipError_tT2_T3_mT4_P12ihipStream_tbEUlT_E_NS1_11comp_targetILNS1_3genE2ELNS1_11target_archE906ELNS1_3gpuE6ELNS1_3repE0EEENS1_30default_config_static_selectorELNS0_4arch9wavefront6targetE0EEEvT1_.uses_vcc, 0
	.set _ZN7rocprim17ROCPRIM_400000_NS6detail17trampoline_kernelINS0_14default_configENS1_25transform_config_selectorIiLb1EEEZNS1_14transform_implILb1ES3_S5_PiS7_NS0_8identityIiEEEE10hipError_tT2_T3_mT4_P12ihipStream_tbEUlT_E_NS1_11comp_targetILNS1_3genE2ELNS1_11target_archE906ELNS1_3gpuE6ELNS1_3repE0EEENS1_30default_config_static_selectorELNS0_4arch9wavefront6targetE0EEEvT1_.uses_flat_scratch, 0
	.set _ZN7rocprim17ROCPRIM_400000_NS6detail17trampoline_kernelINS0_14default_configENS1_25transform_config_selectorIiLb1EEEZNS1_14transform_implILb1ES3_S5_PiS7_NS0_8identityIiEEEE10hipError_tT2_T3_mT4_P12ihipStream_tbEUlT_E_NS1_11comp_targetILNS1_3genE2ELNS1_11target_archE906ELNS1_3gpuE6ELNS1_3repE0EEENS1_30default_config_static_selectorELNS0_4arch9wavefront6targetE0EEEvT1_.has_dyn_sized_stack, 0
	.set _ZN7rocprim17ROCPRIM_400000_NS6detail17trampoline_kernelINS0_14default_configENS1_25transform_config_selectorIiLb1EEEZNS1_14transform_implILb1ES3_S5_PiS7_NS0_8identityIiEEEE10hipError_tT2_T3_mT4_P12ihipStream_tbEUlT_E_NS1_11comp_targetILNS1_3genE2ELNS1_11target_archE906ELNS1_3gpuE6ELNS1_3repE0EEENS1_30default_config_static_selectorELNS0_4arch9wavefront6targetE0EEEvT1_.has_recursion, 0
	.set _ZN7rocprim17ROCPRIM_400000_NS6detail17trampoline_kernelINS0_14default_configENS1_25transform_config_selectorIiLb1EEEZNS1_14transform_implILb1ES3_S5_PiS7_NS0_8identityIiEEEE10hipError_tT2_T3_mT4_P12ihipStream_tbEUlT_E_NS1_11comp_targetILNS1_3genE2ELNS1_11target_archE906ELNS1_3gpuE6ELNS1_3repE0EEENS1_30default_config_static_selectorELNS0_4arch9wavefront6targetE0EEEvT1_.has_indirect_call, 0
	.section	.AMDGPU.csdata,"",@progbits
; Kernel info:
; codeLenInByte = 0
; TotalNumSgprs: 0
; NumVgprs: 0
; ScratchSize: 0
; MemoryBound: 0
; FloatMode: 240
; IeeeMode: 1
; LDSByteSize: 0 bytes/workgroup (compile time only)
; SGPRBlocks: 0
; VGPRBlocks: 0
; NumSGPRsForWavesPerEU: 1
; NumVGPRsForWavesPerEU: 1
; NamedBarCnt: 0
; Occupancy: 16
; WaveLimiterHint : 0
; COMPUTE_PGM_RSRC2:SCRATCH_EN: 0
; COMPUTE_PGM_RSRC2:USER_SGPR: 2
; COMPUTE_PGM_RSRC2:TRAP_HANDLER: 0
; COMPUTE_PGM_RSRC2:TGID_X_EN: 1
; COMPUTE_PGM_RSRC2:TGID_Y_EN: 0
; COMPUTE_PGM_RSRC2:TGID_Z_EN: 0
; COMPUTE_PGM_RSRC2:TIDIG_COMP_CNT: 0
	.section	.text._ZN7rocprim17ROCPRIM_400000_NS6detail17trampoline_kernelINS0_14default_configENS1_25transform_config_selectorIiLb1EEEZNS1_14transform_implILb1ES3_S5_PiS7_NS0_8identityIiEEEE10hipError_tT2_T3_mT4_P12ihipStream_tbEUlT_E_NS1_11comp_targetILNS1_3genE9ELNS1_11target_archE1100ELNS1_3gpuE3ELNS1_3repE0EEENS1_30default_config_static_selectorELNS0_4arch9wavefront6targetE0EEEvT1_,"axG",@progbits,_ZN7rocprim17ROCPRIM_400000_NS6detail17trampoline_kernelINS0_14default_configENS1_25transform_config_selectorIiLb1EEEZNS1_14transform_implILb1ES3_S5_PiS7_NS0_8identityIiEEEE10hipError_tT2_T3_mT4_P12ihipStream_tbEUlT_E_NS1_11comp_targetILNS1_3genE9ELNS1_11target_archE1100ELNS1_3gpuE3ELNS1_3repE0EEENS1_30default_config_static_selectorELNS0_4arch9wavefront6targetE0EEEvT1_,comdat
	.protected	_ZN7rocprim17ROCPRIM_400000_NS6detail17trampoline_kernelINS0_14default_configENS1_25transform_config_selectorIiLb1EEEZNS1_14transform_implILb1ES3_S5_PiS7_NS0_8identityIiEEEE10hipError_tT2_T3_mT4_P12ihipStream_tbEUlT_E_NS1_11comp_targetILNS1_3genE9ELNS1_11target_archE1100ELNS1_3gpuE3ELNS1_3repE0EEENS1_30default_config_static_selectorELNS0_4arch9wavefront6targetE0EEEvT1_ ; -- Begin function _ZN7rocprim17ROCPRIM_400000_NS6detail17trampoline_kernelINS0_14default_configENS1_25transform_config_selectorIiLb1EEEZNS1_14transform_implILb1ES3_S5_PiS7_NS0_8identityIiEEEE10hipError_tT2_T3_mT4_P12ihipStream_tbEUlT_E_NS1_11comp_targetILNS1_3genE9ELNS1_11target_archE1100ELNS1_3gpuE3ELNS1_3repE0EEENS1_30default_config_static_selectorELNS0_4arch9wavefront6targetE0EEEvT1_
	.globl	_ZN7rocprim17ROCPRIM_400000_NS6detail17trampoline_kernelINS0_14default_configENS1_25transform_config_selectorIiLb1EEEZNS1_14transform_implILb1ES3_S5_PiS7_NS0_8identityIiEEEE10hipError_tT2_T3_mT4_P12ihipStream_tbEUlT_E_NS1_11comp_targetILNS1_3genE9ELNS1_11target_archE1100ELNS1_3gpuE3ELNS1_3repE0EEENS1_30default_config_static_selectorELNS0_4arch9wavefront6targetE0EEEvT1_
	.p2align	8
	.type	_ZN7rocprim17ROCPRIM_400000_NS6detail17trampoline_kernelINS0_14default_configENS1_25transform_config_selectorIiLb1EEEZNS1_14transform_implILb1ES3_S5_PiS7_NS0_8identityIiEEEE10hipError_tT2_T3_mT4_P12ihipStream_tbEUlT_E_NS1_11comp_targetILNS1_3genE9ELNS1_11target_archE1100ELNS1_3gpuE3ELNS1_3repE0EEENS1_30default_config_static_selectorELNS0_4arch9wavefront6targetE0EEEvT1_,@function
_ZN7rocprim17ROCPRIM_400000_NS6detail17trampoline_kernelINS0_14default_configENS1_25transform_config_selectorIiLb1EEEZNS1_14transform_implILb1ES3_S5_PiS7_NS0_8identityIiEEEE10hipError_tT2_T3_mT4_P12ihipStream_tbEUlT_E_NS1_11comp_targetILNS1_3genE9ELNS1_11target_archE1100ELNS1_3gpuE3ELNS1_3repE0EEENS1_30default_config_static_selectorELNS0_4arch9wavefront6targetE0EEEvT1_: ; @_ZN7rocprim17ROCPRIM_400000_NS6detail17trampoline_kernelINS0_14default_configENS1_25transform_config_selectorIiLb1EEEZNS1_14transform_implILb1ES3_S5_PiS7_NS0_8identityIiEEEE10hipError_tT2_T3_mT4_P12ihipStream_tbEUlT_E_NS1_11comp_targetILNS1_3genE9ELNS1_11target_archE1100ELNS1_3gpuE3ELNS1_3repE0EEENS1_30default_config_static_selectorELNS0_4arch9wavefront6targetE0EEEvT1_
; %bb.0:
	.section	.rodata,"a",@progbits
	.p2align	6, 0x0
	.amdhsa_kernel _ZN7rocprim17ROCPRIM_400000_NS6detail17trampoline_kernelINS0_14default_configENS1_25transform_config_selectorIiLb1EEEZNS1_14transform_implILb1ES3_S5_PiS7_NS0_8identityIiEEEE10hipError_tT2_T3_mT4_P12ihipStream_tbEUlT_E_NS1_11comp_targetILNS1_3genE9ELNS1_11target_archE1100ELNS1_3gpuE3ELNS1_3repE0EEENS1_30default_config_static_selectorELNS0_4arch9wavefront6targetE0EEEvT1_
		.amdhsa_group_segment_fixed_size 0
		.amdhsa_private_segment_fixed_size 0
		.amdhsa_kernarg_size 40
		.amdhsa_user_sgpr_count 2
		.amdhsa_user_sgpr_dispatch_ptr 0
		.amdhsa_user_sgpr_queue_ptr 0
		.amdhsa_user_sgpr_kernarg_segment_ptr 1
		.amdhsa_user_sgpr_dispatch_id 0
		.amdhsa_user_sgpr_kernarg_preload_length 0
		.amdhsa_user_sgpr_kernarg_preload_offset 0
		.amdhsa_user_sgpr_private_segment_size 0
		.amdhsa_wavefront_size32 1
		.amdhsa_uses_dynamic_stack 0
		.amdhsa_enable_private_segment 0
		.amdhsa_system_sgpr_workgroup_id_x 1
		.amdhsa_system_sgpr_workgroup_id_y 0
		.amdhsa_system_sgpr_workgroup_id_z 0
		.amdhsa_system_sgpr_workgroup_info 0
		.amdhsa_system_vgpr_workitem_id 0
		.amdhsa_next_free_vgpr 1
		.amdhsa_next_free_sgpr 1
		.amdhsa_named_barrier_count 0
		.amdhsa_reserve_vcc 0
		.amdhsa_float_round_mode_32 0
		.amdhsa_float_round_mode_16_64 0
		.amdhsa_float_denorm_mode_32 3
		.amdhsa_float_denorm_mode_16_64 3
		.amdhsa_fp16_overflow 0
		.amdhsa_memory_ordered 1
		.amdhsa_forward_progress 1
		.amdhsa_inst_pref_size 0
		.amdhsa_round_robin_scheduling 0
		.amdhsa_exception_fp_ieee_invalid_op 0
		.amdhsa_exception_fp_denorm_src 0
		.amdhsa_exception_fp_ieee_div_zero 0
		.amdhsa_exception_fp_ieee_overflow 0
		.amdhsa_exception_fp_ieee_underflow 0
		.amdhsa_exception_fp_ieee_inexact 0
		.amdhsa_exception_int_div_zero 0
	.end_amdhsa_kernel
	.section	.text._ZN7rocprim17ROCPRIM_400000_NS6detail17trampoline_kernelINS0_14default_configENS1_25transform_config_selectorIiLb1EEEZNS1_14transform_implILb1ES3_S5_PiS7_NS0_8identityIiEEEE10hipError_tT2_T3_mT4_P12ihipStream_tbEUlT_E_NS1_11comp_targetILNS1_3genE9ELNS1_11target_archE1100ELNS1_3gpuE3ELNS1_3repE0EEENS1_30default_config_static_selectorELNS0_4arch9wavefront6targetE0EEEvT1_,"axG",@progbits,_ZN7rocprim17ROCPRIM_400000_NS6detail17trampoline_kernelINS0_14default_configENS1_25transform_config_selectorIiLb1EEEZNS1_14transform_implILb1ES3_S5_PiS7_NS0_8identityIiEEEE10hipError_tT2_T3_mT4_P12ihipStream_tbEUlT_E_NS1_11comp_targetILNS1_3genE9ELNS1_11target_archE1100ELNS1_3gpuE3ELNS1_3repE0EEENS1_30default_config_static_selectorELNS0_4arch9wavefront6targetE0EEEvT1_,comdat
.Lfunc_end797:
	.size	_ZN7rocprim17ROCPRIM_400000_NS6detail17trampoline_kernelINS0_14default_configENS1_25transform_config_selectorIiLb1EEEZNS1_14transform_implILb1ES3_S5_PiS7_NS0_8identityIiEEEE10hipError_tT2_T3_mT4_P12ihipStream_tbEUlT_E_NS1_11comp_targetILNS1_3genE9ELNS1_11target_archE1100ELNS1_3gpuE3ELNS1_3repE0EEENS1_30default_config_static_selectorELNS0_4arch9wavefront6targetE0EEEvT1_, .Lfunc_end797-_ZN7rocprim17ROCPRIM_400000_NS6detail17trampoline_kernelINS0_14default_configENS1_25transform_config_selectorIiLb1EEEZNS1_14transform_implILb1ES3_S5_PiS7_NS0_8identityIiEEEE10hipError_tT2_T3_mT4_P12ihipStream_tbEUlT_E_NS1_11comp_targetILNS1_3genE9ELNS1_11target_archE1100ELNS1_3gpuE3ELNS1_3repE0EEENS1_30default_config_static_selectorELNS0_4arch9wavefront6targetE0EEEvT1_
                                        ; -- End function
	.set _ZN7rocprim17ROCPRIM_400000_NS6detail17trampoline_kernelINS0_14default_configENS1_25transform_config_selectorIiLb1EEEZNS1_14transform_implILb1ES3_S5_PiS7_NS0_8identityIiEEEE10hipError_tT2_T3_mT4_P12ihipStream_tbEUlT_E_NS1_11comp_targetILNS1_3genE9ELNS1_11target_archE1100ELNS1_3gpuE3ELNS1_3repE0EEENS1_30default_config_static_selectorELNS0_4arch9wavefront6targetE0EEEvT1_.num_vgpr, 0
	.set _ZN7rocprim17ROCPRIM_400000_NS6detail17trampoline_kernelINS0_14default_configENS1_25transform_config_selectorIiLb1EEEZNS1_14transform_implILb1ES3_S5_PiS7_NS0_8identityIiEEEE10hipError_tT2_T3_mT4_P12ihipStream_tbEUlT_E_NS1_11comp_targetILNS1_3genE9ELNS1_11target_archE1100ELNS1_3gpuE3ELNS1_3repE0EEENS1_30default_config_static_selectorELNS0_4arch9wavefront6targetE0EEEvT1_.num_agpr, 0
	.set _ZN7rocprim17ROCPRIM_400000_NS6detail17trampoline_kernelINS0_14default_configENS1_25transform_config_selectorIiLb1EEEZNS1_14transform_implILb1ES3_S5_PiS7_NS0_8identityIiEEEE10hipError_tT2_T3_mT4_P12ihipStream_tbEUlT_E_NS1_11comp_targetILNS1_3genE9ELNS1_11target_archE1100ELNS1_3gpuE3ELNS1_3repE0EEENS1_30default_config_static_selectorELNS0_4arch9wavefront6targetE0EEEvT1_.numbered_sgpr, 0
	.set _ZN7rocprim17ROCPRIM_400000_NS6detail17trampoline_kernelINS0_14default_configENS1_25transform_config_selectorIiLb1EEEZNS1_14transform_implILb1ES3_S5_PiS7_NS0_8identityIiEEEE10hipError_tT2_T3_mT4_P12ihipStream_tbEUlT_E_NS1_11comp_targetILNS1_3genE9ELNS1_11target_archE1100ELNS1_3gpuE3ELNS1_3repE0EEENS1_30default_config_static_selectorELNS0_4arch9wavefront6targetE0EEEvT1_.num_named_barrier, 0
	.set _ZN7rocprim17ROCPRIM_400000_NS6detail17trampoline_kernelINS0_14default_configENS1_25transform_config_selectorIiLb1EEEZNS1_14transform_implILb1ES3_S5_PiS7_NS0_8identityIiEEEE10hipError_tT2_T3_mT4_P12ihipStream_tbEUlT_E_NS1_11comp_targetILNS1_3genE9ELNS1_11target_archE1100ELNS1_3gpuE3ELNS1_3repE0EEENS1_30default_config_static_selectorELNS0_4arch9wavefront6targetE0EEEvT1_.private_seg_size, 0
	.set _ZN7rocprim17ROCPRIM_400000_NS6detail17trampoline_kernelINS0_14default_configENS1_25transform_config_selectorIiLb1EEEZNS1_14transform_implILb1ES3_S5_PiS7_NS0_8identityIiEEEE10hipError_tT2_T3_mT4_P12ihipStream_tbEUlT_E_NS1_11comp_targetILNS1_3genE9ELNS1_11target_archE1100ELNS1_3gpuE3ELNS1_3repE0EEENS1_30default_config_static_selectorELNS0_4arch9wavefront6targetE0EEEvT1_.uses_vcc, 0
	.set _ZN7rocprim17ROCPRIM_400000_NS6detail17trampoline_kernelINS0_14default_configENS1_25transform_config_selectorIiLb1EEEZNS1_14transform_implILb1ES3_S5_PiS7_NS0_8identityIiEEEE10hipError_tT2_T3_mT4_P12ihipStream_tbEUlT_E_NS1_11comp_targetILNS1_3genE9ELNS1_11target_archE1100ELNS1_3gpuE3ELNS1_3repE0EEENS1_30default_config_static_selectorELNS0_4arch9wavefront6targetE0EEEvT1_.uses_flat_scratch, 0
	.set _ZN7rocprim17ROCPRIM_400000_NS6detail17trampoline_kernelINS0_14default_configENS1_25transform_config_selectorIiLb1EEEZNS1_14transform_implILb1ES3_S5_PiS7_NS0_8identityIiEEEE10hipError_tT2_T3_mT4_P12ihipStream_tbEUlT_E_NS1_11comp_targetILNS1_3genE9ELNS1_11target_archE1100ELNS1_3gpuE3ELNS1_3repE0EEENS1_30default_config_static_selectorELNS0_4arch9wavefront6targetE0EEEvT1_.has_dyn_sized_stack, 0
	.set _ZN7rocprim17ROCPRIM_400000_NS6detail17trampoline_kernelINS0_14default_configENS1_25transform_config_selectorIiLb1EEEZNS1_14transform_implILb1ES3_S5_PiS7_NS0_8identityIiEEEE10hipError_tT2_T3_mT4_P12ihipStream_tbEUlT_E_NS1_11comp_targetILNS1_3genE9ELNS1_11target_archE1100ELNS1_3gpuE3ELNS1_3repE0EEENS1_30default_config_static_selectorELNS0_4arch9wavefront6targetE0EEEvT1_.has_recursion, 0
	.set _ZN7rocprim17ROCPRIM_400000_NS6detail17trampoline_kernelINS0_14default_configENS1_25transform_config_selectorIiLb1EEEZNS1_14transform_implILb1ES3_S5_PiS7_NS0_8identityIiEEEE10hipError_tT2_T3_mT4_P12ihipStream_tbEUlT_E_NS1_11comp_targetILNS1_3genE9ELNS1_11target_archE1100ELNS1_3gpuE3ELNS1_3repE0EEENS1_30default_config_static_selectorELNS0_4arch9wavefront6targetE0EEEvT1_.has_indirect_call, 0
	.section	.AMDGPU.csdata,"",@progbits
; Kernel info:
; codeLenInByte = 0
; TotalNumSgprs: 0
; NumVgprs: 0
; ScratchSize: 0
; MemoryBound: 0
; FloatMode: 240
; IeeeMode: 1
; LDSByteSize: 0 bytes/workgroup (compile time only)
; SGPRBlocks: 0
; VGPRBlocks: 0
; NumSGPRsForWavesPerEU: 1
; NumVGPRsForWavesPerEU: 1
; NamedBarCnt: 0
; Occupancy: 16
; WaveLimiterHint : 0
; COMPUTE_PGM_RSRC2:SCRATCH_EN: 0
; COMPUTE_PGM_RSRC2:USER_SGPR: 2
; COMPUTE_PGM_RSRC2:TRAP_HANDLER: 0
; COMPUTE_PGM_RSRC2:TGID_X_EN: 1
; COMPUTE_PGM_RSRC2:TGID_Y_EN: 0
; COMPUTE_PGM_RSRC2:TGID_Z_EN: 0
; COMPUTE_PGM_RSRC2:TIDIG_COMP_CNT: 0
	.section	.text._ZN7rocprim17ROCPRIM_400000_NS6detail17trampoline_kernelINS0_14default_configENS1_25transform_config_selectorIiLb1EEEZNS1_14transform_implILb1ES3_S5_PiS7_NS0_8identityIiEEEE10hipError_tT2_T3_mT4_P12ihipStream_tbEUlT_E_NS1_11comp_targetILNS1_3genE8ELNS1_11target_archE1030ELNS1_3gpuE2ELNS1_3repE0EEENS1_30default_config_static_selectorELNS0_4arch9wavefront6targetE0EEEvT1_,"axG",@progbits,_ZN7rocprim17ROCPRIM_400000_NS6detail17trampoline_kernelINS0_14default_configENS1_25transform_config_selectorIiLb1EEEZNS1_14transform_implILb1ES3_S5_PiS7_NS0_8identityIiEEEE10hipError_tT2_T3_mT4_P12ihipStream_tbEUlT_E_NS1_11comp_targetILNS1_3genE8ELNS1_11target_archE1030ELNS1_3gpuE2ELNS1_3repE0EEENS1_30default_config_static_selectorELNS0_4arch9wavefront6targetE0EEEvT1_,comdat
	.protected	_ZN7rocprim17ROCPRIM_400000_NS6detail17trampoline_kernelINS0_14default_configENS1_25transform_config_selectorIiLb1EEEZNS1_14transform_implILb1ES3_S5_PiS7_NS0_8identityIiEEEE10hipError_tT2_T3_mT4_P12ihipStream_tbEUlT_E_NS1_11comp_targetILNS1_3genE8ELNS1_11target_archE1030ELNS1_3gpuE2ELNS1_3repE0EEENS1_30default_config_static_selectorELNS0_4arch9wavefront6targetE0EEEvT1_ ; -- Begin function _ZN7rocprim17ROCPRIM_400000_NS6detail17trampoline_kernelINS0_14default_configENS1_25transform_config_selectorIiLb1EEEZNS1_14transform_implILb1ES3_S5_PiS7_NS0_8identityIiEEEE10hipError_tT2_T3_mT4_P12ihipStream_tbEUlT_E_NS1_11comp_targetILNS1_3genE8ELNS1_11target_archE1030ELNS1_3gpuE2ELNS1_3repE0EEENS1_30default_config_static_selectorELNS0_4arch9wavefront6targetE0EEEvT1_
	.globl	_ZN7rocprim17ROCPRIM_400000_NS6detail17trampoline_kernelINS0_14default_configENS1_25transform_config_selectorIiLb1EEEZNS1_14transform_implILb1ES3_S5_PiS7_NS0_8identityIiEEEE10hipError_tT2_T3_mT4_P12ihipStream_tbEUlT_E_NS1_11comp_targetILNS1_3genE8ELNS1_11target_archE1030ELNS1_3gpuE2ELNS1_3repE0EEENS1_30default_config_static_selectorELNS0_4arch9wavefront6targetE0EEEvT1_
	.p2align	8
	.type	_ZN7rocprim17ROCPRIM_400000_NS6detail17trampoline_kernelINS0_14default_configENS1_25transform_config_selectorIiLb1EEEZNS1_14transform_implILb1ES3_S5_PiS7_NS0_8identityIiEEEE10hipError_tT2_T3_mT4_P12ihipStream_tbEUlT_E_NS1_11comp_targetILNS1_3genE8ELNS1_11target_archE1030ELNS1_3gpuE2ELNS1_3repE0EEENS1_30default_config_static_selectorELNS0_4arch9wavefront6targetE0EEEvT1_,@function
_ZN7rocprim17ROCPRIM_400000_NS6detail17trampoline_kernelINS0_14default_configENS1_25transform_config_selectorIiLb1EEEZNS1_14transform_implILb1ES3_S5_PiS7_NS0_8identityIiEEEE10hipError_tT2_T3_mT4_P12ihipStream_tbEUlT_E_NS1_11comp_targetILNS1_3genE8ELNS1_11target_archE1030ELNS1_3gpuE2ELNS1_3repE0EEENS1_30default_config_static_selectorELNS0_4arch9wavefront6targetE0EEEvT1_: ; @_ZN7rocprim17ROCPRIM_400000_NS6detail17trampoline_kernelINS0_14default_configENS1_25transform_config_selectorIiLb1EEEZNS1_14transform_implILb1ES3_S5_PiS7_NS0_8identityIiEEEE10hipError_tT2_T3_mT4_P12ihipStream_tbEUlT_E_NS1_11comp_targetILNS1_3genE8ELNS1_11target_archE1030ELNS1_3gpuE2ELNS1_3repE0EEENS1_30default_config_static_selectorELNS0_4arch9wavefront6targetE0EEEvT1_
; %bb.0:
	.section	.rodata,"a",@progbits
	.p2align	6, 0x0
	.amdhsa_kernel _ZN7rocprim17ROCPRIM_400000_NS6detail17trampoline_kernelINS0_14default_configENS1_25transform_config_selectorIiLb1EEEZNS1_14transform_implILb1ES3_S5_PiS7_NS0_8identityIiEEEE10hipError_tT2_T3_mT4_P12ihipStream_tbEUlT_E_NS1_11comp_targetILNS1_3genE8ELNS1_11target_archE1030ELNS1_3gpuE2ELNS1_3repE0EEENS1_30default_config_static_selectorELNS0_4arch9wavefront6targetE0EEEvT1_
		.amdhsa_group_segment_fixed_size 0
		.amdhsa_private_segment_fixed_size 0
		.amdhsa_kernarg_size 40
		.amdhsa_user_sgpr_count 2
		.amdhsa_user_sgpr_dispatch_ptr 0
		.amdhsa_user_sgpr_queue_ptr 0
		.amdhsa_user_sgpr_kernarg_segment_ptr 1
		.amdhsa_user_sgpr_dispatch_id 0
		.amdhsa_user_sgpr_kernarg_preload_length 0
		.amdhsa_user_sgpr_kernarg_preload_offset 0
		.amdhsa_user_sgpr_private_segment_size 0
		.amdhsa_wavefront_size32 1
		.amdhsa_uses_dynamic_stack 0
		.amdhsa_enable_private_segment 0
		.amdhsa_system_sgpr_workgroup_id_x 1
		.amdhsa_system_sgpr_workgroup_id_y 0
		.amdhsa_system_sgpr_workgroup_id_z 0
		.amdhsa_system_sgpr_workgroup_info 0
		.amdhsa_system_vgpr_workitem_id 0
		.amdhsa_next_free_vgpr 1
		.amdhsa_next_free_sgpr 1
		.amdhsa_named_barrier_count 0
		.amdhsa_reserve_vcc 0
		.amdhsa_float_round_mode_32 0
		.amdhsa_float_round_mode_16_64 0
		.amdhsa_float_denorm_mode_32 3
		.amdhsa_float_denorm_mode_16_64 3
		.amdhsa_fp16_overflow 0
		.amdhsa_memory_ordered 1
		.amdhsa_forward_progress 1
		.amdhsa_inst_pref_size 0
		.amdhsa_round_robin_scheduling 0
		.amdhsa_exception_fp_ieee_invalid_op 0
		.amdhsa_exception_fp_denorm_src 0
		.amdhsa_exception_fp_ieee_div_zero 0
		.amdhsa_exception_fp_ieee_overflow 0
		.amdhsa_exception_fp_ieee_underflow 0
		.amdhsa_exception_fp_ieee_inexact 0
		.amdhsa_exception_int_div_zero 0
	.end_amdhsa_kernel
	.section	.text._ZN7rocprim17ROCPRIM_400000_NS6detail17trampoline_kernelINS0_14default_configENS1_25transform_config_selectorIiLb1EEEZNS1_14transform_implILb1ES3_S5_PiS7_NS0_8identityIiEEEE10hipError_tT2_T3_mT4_P12ihipStream_tbEUlT_E_NS1_11comp_targetILNS1_3genE8ELNS1_11target_archE1030ELNS1_3gpuE2ELNS1_3repE0EEENS1_30default_config_static_selectorELNS0_4arch9wavefront6targetE0EEEvT1_,"axG",@progbits,_ZN7rocprim17ROCPRIM_400000_NS6detail17trampoline_kernelINS0_14default_configENS1_25transform_config_selectorIiLb1EEEZNS1_14transform_implILb1ES3_S5_PiS7_NS0_8identityIiEEEE10hipError_tT2_T3_mT4_P12ihipStream_tbEUlT_E_NS1_11comp_targetILNS1_3genE8ELNS1_11target_archE1030ELNS1_3gpuE2ELNS1_3repE0EEENS1_30default_config_static_selectorELNS0_4arch9wavefront6targetE0EEEvT1_,comdat
.Lfunc_end798:
	.size	_ZN7rocprim17ROCPRIM_400000_NS6detail17trampoline_kernelINS0_14default_configENS1_25transform_config_selectorIiLb1EEEZNS1_14transform_implILb1ES3_S5_PiS7_NS0_8identityIiEEEE10hipError_tT2_T3_mT4_P12ihipStream_tbEUlT_E_NS1_11comp_targetILNS1_3genE8ELNS1_11target_archE1030ELNS1_3gpuE2ELNS1_3repE0EEENS1_30default_config_static_selectorELNS0_4arch9wavefront6targetE0EEEvT1_, .Lfunc_end798-_ZN7rocprim17ROCPRIM_400000_NS6detail17trampoline_kernelINS0_14default_configENS1_25transform_config_selectorIiLb1EEEZNS1_14transform_implILb1ES3_S5_PiS7_NS0_8identityIiEEEE10hipError_tT2_T3_mT4_P12ihipStream_tbEUlT_E_NS1_11comp_targetILNS1_3genE8ELNS1_11target_archE1030ELNS1_3gpuE2ELNS1_3repE0EEENS1_30default_config_static_selectorELNS0_4arch9wavefront6targetE0EEEvT1_
                                        ; -- End function
	.set _ZN7rocprim17ROCPRIM_400000_NS6detail17trampoline_kernelINS0_14default_configENS1_25transform_config_selectorIiLb1EEEZNS1_14transform_implILb1ES3_S5_PiS7_NS0_8identityIiEEEE10hipError_tT2_T3_mT4_P12ihipStream_tbEUlT_E_NS1_11comp_targetILNS1_3genE8ELNS1_11target_archE1030ELNS1_3gpuE2ELNS1_3repE0EEENS1_30default_config_static_selectorELNS0_4arch9wavefront6targetE0EEEvT1_.num_vgpr, 0
	.set _ZN7rocprim17ROCPRIM_400000_NS6detail17trampoline_kernelINS0_14default_configENS1_25transform_config_selectorIiLb1EEEZNS1_14transform_implILb1ES3_S5_PiS7_NS0_8identityIiEEEE10hipError_tT2_T3_mT4_P12ihipStream_tbEUlT_E_NS1_11comp_targetILNS1_3genE8ELNS1_11target_archE1030ELNS1_3gpuE2ELNS1_3repE0EEENS1_30default_config_static_selectorELNS0_4arch9wavefront6targetE0EEEvT1_.num_agpr, 0
	.set _ZN7rocprim17ROCPRIM_400000_NS6detail17trampoline_kernelINS0_14default_configENS1_25transform_config_selectorIiLb1EEEZNS1_14transform_implILb1ES3_S5_PiS7_NS0_8identityIiEEEE10hipError_tT2_T3_mT4_P12ihipStream_tbEUlT_E_NS1_11comp_targetILNS1_3genE8ELNS1_11target_archE1030ELNS1_3gpuE2ELNS1_3repE0EEENS1_30default_config_static_selectorELNS0_4arch9wavefront6targetE0EEEvT1_.numbered_sgpr, 0
	.set _ZN7rocprim17ROCPRIM_400000_NS6detail17trampoline_kernelINS0_14default_configENS1_25transform_config_selectorIiLb1EEEZNS1_14transform_implILb1ES3_S5_PiS7_NS0_8identityIiEEEE10hipError_tT2_T3_mT4_P12ihipStream_tbEUlT_E_NS1_11comp_targetILNS1_3genE8ELNS1_11target_archE1030ELNS1_3gpuE2ELNS1_3repE0EEENS1_30default_config_static_selectorELNS0_4arch9wavefront6targetE0EEEvT1_.num_named_barrier, 0
	.set _ZN7rocprim17ROCPRIM_400000_NS6detail17trampoline_kernelINS0_14default_configENS1_25transform_config_selectorIiLb1EEEZNS1_14transform_implILb1ES3_S5_PiS7_NS0_8identityIiEEEE10hipError_tT2_T3_mT4_P12ihipStream_tbEUlT_E_NS1_11comp_targetILNS1_3genE8ELNS1_11target_archE1030ELNS1_3gpuE2ELNS1_3repE0EEENS1_30default_config_static_selectorELNS0_4arch9wavefront6targetE0EEEvT1_.private_seg_size, 0
	.set _ZN7rocprim17ROCPRIM_400000_NS6detail17trampoline_kernelINS0_14default_configENS1_25transform_config_selectorIiLb1EEEZNS1_14transform_implILb1ES3_S5_PiS7_NS0_8identityIiEEEE10hipError_tT2_T3_mT4_P12ihipStream_tbEUlT_E_NS1_11comp_targetILNS1_3genE8ELNS1_11target_archE1030ELNS1_3gpuE2ELNS1_3repE0EEENS1_30default_config_static_selectorELNS0_4arch9wavefront6targetE0EEEvT1_.uses_vcc, 0
	.set _ZN7rocprim17ROCPRIM_400000_NS6detail17trampoline_kernelINS0_14default_configENS1_25transform_config_selectorIiLb1EEEZNS1_14transform_implILb1ES3_S5_PiS7_NS0_8identityIiEEEE10hipError_tT2_T3_mT4_P12ihipStream_tbEUlT_E_NS1_11comp_targetILNS1_3genE8ELNS1_11target_archE1030ELNS1_3gpuE2ELNS1_3repE0EEENS1_30default_config_static_selectorELNS0_4arch9wavefront6targetE0EEEvT1_.uses_flat_scratch, 0
	.set _ZN7rocprim17ROCPRIM_400000_NS6detail17trampoline_kernelINS0_14default_configENS1_25transform_config_selectorIiLb1EEEZNS1_14transform_implILb1ES3_S5_PiS7_NS0_8identityIiEEEE10hipError_tT2_T3_mT4_P12ihipStream_tbEUlT_E_NS1_11comp_targetILNS1_3genE8ELNS1_11target_archE1030ELNS1_3gpuE2ELNS1_3repE0EEENS1_30default_config_static_selectorELNS0_4arch9wavefront6targetE0EEEvT1_.has_dyn_sized_stack, 0
	.set _ZN7rocprim17ROCPRIM_400000_NS6detail17trampoline_kernelINS0_14default_configENS1_25transform_config_selectorIiLb1EEEZNS1_14transform_implILb1ES3_S5_PiS7_NS0_8identityIiEEEE10hipError_tT2_T3_mT4_P12ihipStream_tbEUlT_E_NS1_11comp_targetILNS1_3genE8ELNS1_11target_archE1030ELNS1_3gpuE2ELNS1_3repE0EEENS1_30default_config_static_selectorELNS0_4arch9wavefront6targetE0EEEvT1_.has_recursion, 0
	.set _ZN7rocprim17ROCPRIM_400000_NS6detail17trampoline_kernelINS0_14default_configENS1_25transform_config_selectorIiLb1EEEZNS1_14transform_implILb1ES3_S5_PiS7_NS0_8identityIiEEEE10hipError_tT2_T3_mT4_P12ihipStream_tbEUlT_E_NS1_11comp_targetILNS1_3genE8ELNS1_11target_archE1030ELNS1_3gpuE2ELNS1_3repE0EEENS1_30default_config_static_selectorELNS0_4arch9wavefront6targetE0EEEvT1_.has_indirect_call, 0
	.section	.AMDGPU.csdata,"",@progbits
; Kernel info:
; codeLenInByte = 0
; TotalNumSgprs: 0
; NumVgprs: 0
; ScratchSize: 0
; MemoryBound: 0
; FloatMode: 240
; IeeeMode: 1
; LDSByteSize: 0 bytes/workgroup (compile time only)
; SGPRBlocks: 0
; VGPRBlocks: 0
; NumSGPRsForWavesPerEU: 1
; NumVGPRsForWavesPerEU: 1
; NamedBarCnt: 0
; Occupancy: 16
; WaveLimiterHint : 0
; COMPUTE_PGM_RSRC2:SCRATCH_EN: 0
; COMPUTE_PGM_RSRC2:USER_SGPR: 2
; COMPUTE_PGM_RSRC2:TRAP_HANDLER: 0
; COMPUTE_PGM_RSRC2:TGID_X_EN: 1
; COMPUTE_PGM_RSRC2:TGID_Y_EN: 0
; COMPUTE_PGM_RSRC2:TGID_Z_EN: 0
; COMPUTE_PGM_RSRC2:TIDIG_COMP_CNT: 0
	.section	.text._ZN7rocprim17ROCPRIM_400000_NS6detail17trampoline_kernelINS0_14default_configENS1_38merge_sort_block_merge_config_selectorIiNS0_10empty_typeEEEZZNS1_27merge_sort_block_merge_implIS3_PiPS5_jNS1_19radix_merge_compareILb1ELb1EiNS0_19identity_decomposerEEEEE10hipError_tT0_T1_T2_jT3_P12ihipStream_tbPNSt15iterator_traitsISE_E10value_typeEPNSK_ISF_E10value_typeEPSG_NS1_7vsmem_tEENKUlT_SE_SF_SG_E_clIS8_S8_S9_S9_EESD_ST_SE_SF_SG_EUlST_E_NS1_11comp_targetILNS1_3genE0ELNS1_11target_archE4294967295ELNS1_3gpuE0ELNS1_3repE0EEENS1_48merge_mergepath_partition_config_static_selectorELNS0_4arch9wavefront6targetE0EEEvSF_,"axG",@progbits,_ZN7rocprim17ROCPRIM_400000_NS6detail17trampoline_kernelINS0_14default_configENS1_38merge_sort_block_merge_config_selectorIiNS0_10empty_typeEEEZZNS1_27merge_sort_block_merge_implIS3_PiPS5_jNS1_19radix_merge_compareILb1ELb1EiNS0_19identity_decomposerEEEEE10hipError_tT0_T1_T2_jT3_P12ihipStream_tbPNSt15iterator_traitsISE_E10value_typeEPNSK_ISF_E10value_typeEPSG_NS1_7vsmem_tEENKUlT_SE_SF_SG_E_clIS8_S8_S9_S9_EESD_ST_SE_SF_SG_EUlST_E_NS1_11comp_targetILNS1_3genE0ELNS1_11target_archE4294967295ELNS1_3gpuE0ELNS1_3repE0EEENS1_48merge_mergepath_partition_config_static_selectorELNS0_4arch9wavefront6targetE0EEEvSF_,comdat
	.protected	_ZN7rocprim17ROCPRIM_400000_NS6detail17trampoline_kernelINS0_14default_configENS1_38merge_sort_block_merge_config_selectorIiNS0_10empty_typeEEEZZNS1_27merge_sort_block_merge_implIS3_PiPS5_jNS1_19radix_merge_compareILb1ELb1EiNS0_19identity_decomposerEEEEE10hipError_tT0_T1_T2_jT3_P12ihipStream_tbPNSt15iterator_traitsISE_E10value_typeEPNSK_ISF_E10value_typeEPSG_NS1_7vsmem_tEENKUlT_SE_SF_SG_E_clIS8_S8_S9_S9_EESD_ST_SE_SF_SG_EUlST_E_NS1_11comp_targetILNS1_3genE0ELNS1_11target_archE4294967295ELNS1_3gpuE0ELNS1_3repE0EEENS1_48merge_mergepath_partition_config_static_selectorELNS0_4arch9wavefront6targetE0EEEvSF_ ; -- Begin function _ZN7rocprim17ROCPRIM_400000_NS6detail17trampoline_kernelINS0_14default_configENS1_38merge_sort_block_merge_config_selectorIiNS0_10empty_typeEEEZZNS1_27merge_sort_block_merge_implIS3_PiPS5_jNS1_19radix_merge_compareILb1ELb1EiNS0_19identity_decomposerEEEEE10hipError_tT0_T1_T2_jT3_P12ihipStream_tbPNSt15iterator_traitsISE_E10value_typeEPNSK_ISF_E10value_typeEPSG_NS1_7vsmem_tEENKUlT_SE_SF_SG_E_clIS8_S8_S9_S9_EESD_ST_SE_SF_SG_EUlST_E_NS1_11comp_targetILNS1_3genE0ELNS1_11target_archE4294967295ELNS1_3gpuE0ELNS1_3repE0EEENS1_48merge_mergepath_partition_config_static_selectorELNS0_4arch9wavefront6targetE0EEEvSF_
	.globl	_ZN7rocprim17ROCPRIM_400000_NS6detail17trampoline_kernelINS0_14default_configENS1_38merge_sort_block_merge_config_selectorIiNS0_10empty_typeEEEZZNS1_27merge_sort_block_merge_implIS3_PiPS5_jNS1_19radix_merge_compareILb1ELb1EiNS0_19identity_decomposerEEEEE10hipError_tT0_T1_T2_jT3_P12ihipStream_tbPNSt15iterator_traitsISE_E10value_typeEPNSK_ISF_E10value_typeEPSG_NS1_7vsmem_tEENKUlT_SE_SF_SG_E_clIS8_S8_S9_S9_EESD_ST_SE_SF_SG_EUlST_E_NS1_11comp_targetILNS1_3genE0ELNS1_11target_archE4294967295ELNS1_3gpuE0ELNS1_3repE0EEENS1_48merge_mergepath_partition_config_static_selectorELNS0_4arch9wavefront6targetE0EEEvSF_
	.p2align	8
	.type	_ZN7rocprim17ROCPRIM_400000_NS6detail17trampoline_kernelINS0_14default_configENS1_38merge_sort_block_merge_config_selectorIiNS0_10empty_typeEEEZZNS1_27merge_sort_block_merge_implIS3_PiPS5_jNS1_19radix_merge_compareILb1ELb1EiNS0_19identity_decomposerEEEEE10hipError_tT0_T1_T2_jT3_P12ihipStream_tbPNSt15iterator_traitsISE_E10value_typeEPNSK_ISF_E10value_typeEPSG_NS1_7vsmem_tEENKUlT_SE_SF_SG_E_clIS8_S8_S9_S9_EESD_ST_SE_SF_SG_EUlST_E_NS1_11comp_targetILNS1_3genE0ELNS1_11target_archE4294967295ELNS1_3gpuE0ELNS1_3repE0EEENS1_48merge_mergepath_partition_config_static_selectorELNS0_4arch9wavefront6targetE0EEEvSF_,@function
_ZN7rocprim17ROCPRIM_400000_NS6detail17trampoline_kernelINS0_14default_configENS1_38merge_sort_block_merge_config_selectorIiNS0_10empty_typeEEEZZNS1_27merge_sort_block_merge_implIS3_PiPS5_jNS1_19radix_merge_compareILb1ELb1EiNS0_19identity_decomposerEEEEE10hipError_tT0_T1_T2_jT3_P12ihipStream_tbPNSt15iterator_traitsISE_E10value_typeEPNSK_ISF_E10value_typeEPSG_NS1_7vsmem_tEENKUlT_SE_SF_SG_E_clIS8_S8_S9_S9_EESD_ST_SE_SF_SG_EUlST_E_NS1_11comp_targetILNS1_3genE0ELNS1_11target_archE4294967295ELNS1_3gpuE0ELNS1_3repE0EEENS1_48merge_mergepath_partition_config_static_selectorELNS0_4arch9wavefront6targetE0EEEvSF_: ; @_ZN7rocprim17ROCPRIM_400000_NS6detail17trampoline_kernelINS0_14default_configENS1_38merge_sort_block_merge_config_selectorIiNS0_10empty_typeEEEZZNS1_27merge_sort_block_merge_implIS3_PiPS5_jNS1_19radix_merge_compareILb1ELb1EiNS0_19identity_decomposerEEEEE10hipError_tT0_T1_T2_jT3_P12ihipStream_tbPNSt15iterator_traitsISE_E10value_typeEPNSK_ISF_E10value_typeEPSG_NS1_7vsmem_tEENKUlT_SE_SF_SG_E_clIS8_S8_S9_S9_EESD_ST_SE_SF_SG_EUlST_E_NS1_11comp_targetILNS1_3genE0ELNS1_11target_archE4294967295ELNS1_3gpuE0ELNS1_3repE0EEENS1_48merge_mergepath_partition_config_static_selectorELNS0_4arch9wavefront6targetE0EEEvSF_
; %bb.0:
	s_load_b32 s2, s[0:1], 0x0
	s_bfe_u32 s3, ttmp6, 0x4000c
	s_and_b32 s4, ttmp6, 15
	s_add_co_i32 s3, s3, 1
	s_getreg_b32 s5, hwreg(HW_REG_IB_STS2, 6, 4)
	s_mul_i32 s3, ttmp9, s3
	s_delay_alu instid0(SALU_CYCLE_1) | instskip(SKIP_2) | instid1(SALU_CYCLE_1)
	s_add_co_i32 s4, s4, s3
	s_cmp_eq_u32 s5, 0
	s_cselect_b32 s3, ttmp9, s4
	v_lshl_or_b32 v8, s3, 7, v0
	s_wait_kmcnt 0x0
	s_delay_alu instid0(VALU_DEP_1)
	v_cmp_gt_u32_e32 vcc_lo, s2, v8
	s_and_saveexec_b32 s2, vcc_lo
	s_cbranch_execz .LBB799_6
; %bb.1:
	s_load_b64 s[2:3], s[0:1], 0x4
	s_mov_b32 s7, exec_lo
	s_wait_kmcnt 0x0
	s_lshr_b32 s4, s2, 9
	s_delay_alu instid0(SALU_CYCLE_1) | instskip(NEXT) | instid1(SALU_CYCLE_1)
	s_and_b32 s4, s4, 0x7ffffe
	s_sub_co_i32 s5, 0, s4
	s_add_co_i32 s4, s4, -1
	s_delay_alu instid0(SALU_CYCLE_1) | instskip(NEXT) | instid1(VALU_DEP_1)
	v_and_b32_e32 v1, s4, v8
	v_dual_lshlrev_b32 v1, 10, v1 :: v_dual_bitop2_b32 v0, s5, v8 bitop3:0x40
	s_delay_alu instid0(VALU_DEP_1) | instskip(NEXT) | instid1(VALU_DEP_1)
	v_lshlrev_b32_e32 v0, 10, v0
	v_add_min_u32_e64 v2, v0, s2, s3
	v_min_u32_e32 v0, s3, v0
	s_delay_alu instid0(VALU_DEP_2) | instskip(SKIP_1) | instid1(VALU_DEP_1)
	v_add_min_u32_e64 v3, v2, s2, s3
	s_load_b64 s[2:3], s[0:1], 0x20
	v_dual_sub_nc_u32 v4, v3, v0 :: v_dual_sub_nc_u32 v3, v3, v2
	s_delay_alu instid0(VALU_DEP_1) | instskip(SKIP_1) | instid1(VALU_DEP_2)
	v_min_u32_e32 v10, v4, v1
	v_sub_nc_u32_e32 v1, v2, v0
	v_sub_nc_u32_e64 v9, v10, v3 clamp
	s_delay_alu instid0(VALU_DEP_2) | instskip(NEXT) | instid1(VALU_DEP_1)
	v_min_u32_e32 v11, v10, v1
	v_cmpx_lt_u32_e64 v9, v11
	s_cbranch_execz .LBB799_5
; %bb.2:
	s_load_b96 s[4:6], s[0:1], 0x10
	v_mov_b32_e32 v3, 0
	s_wait_xcnt 0x0
	s_mov_b32 s0, 0
	s_delay_alu instid0(VALU_DEP_1) | instskip(SKIP_1) | instid1(VALU_DEP_1)
	v_mov_b32_e32 v1, v3
	s_wait_kmcnt 0x0
	v_lshl_add_u64 v[4:5], v[0:1], 2, s[4:5]
	v_lshl_add_u64 v[6:7], v[2:3], 2, s[4:5]
.LBB799_3:                              ; =>This Inner Loop Header: Depth=1
	v_add_nc_u32_e32 v1, v11, v9
	s_delay_alu instid0(VALU_DEP_1) | instskip(NEXT) | instid1(VALU_DEP_1)
	v_dual_mov_b32 v13, v3 :: v_dual_lshrrev_b32 v2, 1, v1
	v_xad_u32 v12, v2, -1, v10
	v_lshl_add_u64 v[14:15], v[2:3], 2, v[4:5]
	s_delay_alu instid0(VALU_DEP_2)
	v_lshl_add_u64 v[12:13], v[12:13], 2, v[6:7]
	s_clause 0x1
	global_load_b32 v1, v[14:15], off
	global_load_b32 v16, v[12:13], off
	s_wait_loadcnt 0x1
	s_wait_xcnt 0x0
	v_dual_add_nc_u32 v13, 1, v2 :: v_dual_bitop2_b32 v1, s6, v1 bitop3:0x40
	s_wait_loadcnt 0x0
	v_and_b32_e32 v12, s6, v16
	s_delay_alu instid0(VALU_DEP_1) | instskip(NEXT) | instid1(VALU_DEP_3)
	v_cmp_gt_i32_e32 vcc_lo, v12, v1
	v_dual_cndmask_b32 v11, v11, v2, vcc_lo :: v_dual_cndmask_b32 v9, v13, v9, vcc_lo
	s_delay_alu instid0(VALU_DEP_1) | instskip(SKIP_1) | instid1(SALU_CYCLE_1)
	v_cmp_ge_u32_e32 vcc_lo, v9, v11
	s_or_b32 s0, vcc_lo, s0
	s_and_not1_b32 exec_lo, exec_lo, s0
	s_cbranch_execnz .LBB799_3
; %bb.4:
	s_or_b32 exec_lo, exec_lo, s0
.LBB799_5:
	s_delay_alu instid0(SALU_CYCLE_1)
	s_or_b32 exec_lo, exec_lo, s7
	v_add_nc_u32_e32 v0, v9, v0
	s_wait_kmcnt 0x0
	global_store_b32 v8, v0, s[2:3] scale_offset
.LBB799_6:
	s_endpgm
	.section	.rodata,"a",@progbits
	.p2align	6, 0x0
	.amdhsa_kernel _ZN7rocprim17ROCPRIM_400000_NS6detail17trampoline_kernelINS0_14default_configENS1_38merge_sort_block_merge_config_selectorIiNS0_10empty_typeEEEZZNS1_27merge_sort_block_merge_implIS3_PiPS5_jNS1_19radix_merge_compareILb1ELb1EiNS0_19identity_decomposerEEEEE10hipError_tT0_T1_T2_jT3_P12ihipStream_tbPNSt15iterator_traitsISE_E10value_typeEPNSK_ISF_E10value_typeEPSG_NS1_7vsmem_tEENKUlT_SE_SF_SG_E_clIS8_S8_S9_S9_EESD_ST_SE_SF_SG_EUlST_E_NS1_11comp_targetILNS1_3genE0ELNS1_11target_archE4294967295ELNS1_3gpuE0ELNS1_3repE0EEENS1_48merge_mergepath_partition_config_static_selectorELNS0_4arch9wavefront6targetE0EEEvSF_
		.amdhsa_group_segment_fixed_size 0
		.amdhsa_private_segment_fixed_size 0
		.amdhsa_kernarg_size 40
		.amdhsa_user_sgpr_count 2
		.amdhsa_user_sgpr_dispatch_ptr 0
		.amdhsa_user_sgpr_queue_ptr 0
		.amdhsa_user_sgpr_kernarg_segment_ptr 1
		.amdhsa_user_sgpr_dispatch_id 0
		.amdhsa_user_sgpr_kernarg_preload_length 0
		.amdhsa_user_sgpr_kernarg_preload_offset 0
		.amdhsa_user_sgpr_private_segment_size 0
		.amdhsa_wavefront_size32 1
		.amdhsa_uses_dynamic_stack 0
		.amdhsa_enable_private_segment 0
		.amdhsa_system_sgpr_workgroup_id_x 1
		.amdhsa_system_sgpr_workgroup_id_y 0
		.amdhsa_system_sgpr_workgroup_id_z 0
		.amdhsa_system_sgpr_workgroup_info 0
		.amdhsa_system_vgpr_workitem_id 0
		.amdhsa_next_free_vgpr 17
		.amdhsa_next_free_sgpr 8
		.amdhsa_named_barrier_count 0
		.amdhsa_reserve_vcc 1
		.amdhsa_float_round_mode_32 0
		.amdhsa_float_round_mode_16_64 0
		.amdhsa_float_denorm_mode_32 3
		.amdhsa_float_denorm_mode_16_64 3
		.amdhsa_fp16_overflow 0
		.amdhsa_memory_ordered 1
		.amdhsa_forward_progress 1
		.amdhsa_inst_pref_size 4
		.amdhsa_round_robin_scheduling 0
		.amdhsa_exception_fp_ieee_invalid_op 0
		.amdhsa_exception_fp_denorm_src 0
		.amdhsa_exception_fp_ieee_div_zero 0
		.amdhsa_exception_fp_ieee_overflow 0
		.amdhsa_exception_fp_ieee_underflow 0
		.amdhsa_exception_fp_ieee_inexact 0
		.amdhsa_exception_int_div_zero 0
	.end_amdhsa_kernel
	.section	.text._ZN7rocprim17ROCPRIM_400000_NS6detail17trampoline_kernelINS0_14default_configENS1_38merge_sort_block_merge_config_selectorIiNS0_10empty_typeEEEZZNS1_27merge_sort_block_merge_implIS3_PiPS5_jNS1_19radix_merge_compareILb1ELb1EiNS0_19identity_decomposerEEEEE10hipError_tT0_T1_T2_jT3_P12ihipStream_tbPNSt15iterator_traitsISE_E10value_typeEPNSK_ISF_E10value_typeEPSG_NS1_7vsmem_tEENKUlT_SE_SF_SG_E_clIS8_S8_S9_S9_EESD_ST_SE_SF_SG_EUlST_E_NS1_11comp_targetILNS1_3genE0ELNS1_11target_archE4294967295ELNS1_3gpuE0ELNS1_3repE0EEENS1_48merge_mergepath_partition_config_static_selectorELNS0_4arch9wavefront6targetE0EEEvSF_,"axG",@progbits,_ZN7rocprim17ROCPRIM_400000_NS6detail17trampoline_kernelINS0_14default_configENS1_38merge_sort_block_merge_config_selectorIiNS0_10empty_typeEEEZZNS1_27merge_sort_block_merge_implIS3_PiPS5_jNS1_19radix_merge_compareILb1ELb1EiNS0_19identity_decomposerEEEEE10hipError_tT0_T1_T2_jT3_P12ihipStream_tbPNSt15iterator_traitsISE_E10value_typeEPNSK_ISF_E10value_typeEPSG_NS1_7vsmem_tEENKUlT_SE_SF_SG_E_clIS8_S8_S9_S9_EESD_ST_SE_SF_SG_EUlST_E_NS1_11comp_targetILNS1_3genE0ELNS1_11target_archE4294967295ELNS1_3gpuE0ELNS1_3repE0EEENS1_48merge_mergepath_partition_config_static_selectorELNS0_4arch9wavefront6targetE0EEEvSF_,comdat
.Lfunc_end799:
	.size	_ZN7rocprim17ROCPRIM_400000_NS6detail17trampoline_kernelINS0_14default_configENS1_38merge_sort_block_merge_config_selectorIiNS0_10empty_typeEEEZZNS1_27merge_sort_block_merge_implIS3_PiPS5_jNS1_19radix_merge_compareILb1ELb1EiNS0_19identity_decomposerEEEEE10hipError_tT0_T1_T2_jT3_P12ihipStream_tbPNSt15iterator_traitsISE_E10value_typeEPNSK_ISF_E10value_typeEPSG_NS1_7vsmem_tEENKUlT_SE_SF_SG_E_clIS8_S8_S9_S9_EESD_ST_SE_SF_SG_EUlST_E_NS1_11comp_targetILNS1_3genE0ELNS1_11target_archE4294967295ELNS1_3gpuE0ELNS1_3repE0EEENS1_48merge_mergepath_partition_config_static_selectorELNS0_4arch9wavefront6targetE0EEEvSF_, .Lfunc_end799-_ZN7rocprim17ROCPRIM_400000_NS6detail17trampoline_kernelINS0_14default_configENS1_38merge_sort_block_merge_config_selectorIiNS0_10empty_typeEEEZZNS1_27merge_sort_block_merge_implIS3_PiPS5_jNS1_19radix_merge_compareILb1ELb1EiNS0_19identity_decomposerEEEEE10hipError_tT0_T1_T2_jT3_P12ihipStream_tbPNSt15iterator_traitsISE_E10value_typeEPNSK_ISF_E10value_typeEPSG_NS1_7vsmem_tEENKUlT_SE_SF_SG_E_clIS8_S8_S9_S9_EESD_ST_SE_SF_SG_EUlST_E_NS1_11comp_targetILNS1_3genE0ELNS1_11target_archE4294967295ELNS1_3gpuE0ELNS1_3repE0EEENS1_48merge_mergepath_partition_config_static_selectorELNS0_4arch9wavefront6targetE0EEEvSF_
                                        ; -- End function
	.set _ZN7rocprim17ROCPRIM_400000_NS6detail17trampoline_kernelINS0_14default_configENS1_38merge_sort_block_merge_config_selectorIiNS0_10empty_typeEEEZZNS1_27merge_sort_block_merge_implIS3_PiPS5_jNS1_19radix_merge_compareILb1ELb1EiNS0_19identity_decomposerEEEEE10hipError_tT0_T1_T2_jT3_P12ihipStream_tbPNSt15iterator_traitsISE_E10value_typeEPNSK_ISF_E10value_typeEPSG_NS1_7vsmem_tEENKUlT_SE_SF_SG_E_clIS8_S8_S9_S9_EESD_ST_SE_SF_SG_EUlST_E_NS1_11comp_targetILNS1_3genE0ELNS1_11target_archE4294967295ELNS1_3gpuE0ELNS1_3repE0EEENS1_48merge_mergepath_partition_config_static_selectorELNS0_4arch9wavefront6targetE0EEEvSF_.num_vgpr, 17
	.set _ZN7rocprim17ROCPRIM_400000_NS6detail17trampoline_kernelINS0_14default_configENS1_38merge_sort_block_merge_config_selectorIiNS0_10empty_typeEEEZZNS1_27merge_sort_block_merge_implIS3_PiPS5_jNS1_19radix_merge_compareILb1ELb1EiNS0_19identity_decomposerEEEEE10hipError_tT0_T1_T2_jT3_P12ihipStream_tbPNSt15iterator_traitsISE_E10value_typeEPNSK_ISF_E10value_typeEPSG_NS1_7vsmem_tEENKUlT_SE_SF_SG_E_clIS8_S8_S9_S9_EESD_ST_SE_SF_SG_EUlST_E_NS1_11comp_targetILNS1_3genE0ELNS1_11target_archE4294967295ELNS1_3gpuE0ELNS1_3repE0EEENS1_48merge_mergepath_partition_config_static_selectorELNS0_4arch9wavefront6targetE0EEEvSF_.num_agpr, 0
	.set _ZN7rocprim17ROCPRIM_400000_NS6detail17trampoline_kernelINS0_14default_configENS1_38merge_sort_block_merge_config_selectorIiNS0_10empty_typeEEEZZNS1_27merge_sort_block_merge_implIS3_PiPS5_jNS1_19radix_merge_compareILb1ELb1EiNS0_19identity_decomposerEEEEE10hipError_tT0_T1_T2_jT3_P12ihipStream_tbPNSt15iterator_traitsISE_E10value_typeEPNSK_ISF_E10value_typeEPSG_NS1_7vsmem_tEENKUlT_SE_SF_SG_E_clIS8_S8_S9_S9_EESD_ST_SE_SF_SG_EUlST_E_NS1_11comp_targetILNS1_3genE0ELNS1_11target_archE4294967295ELNS1_3gpuE0ELNS1_3repE0EEENS1_48merge_mergepath_partition_config_static_selectorELNS0_4arch9wavefront6targetE0EEEvSF_.numbered_sgpr, 8
	.set _ZN7rocprim17ROCPRIM_400000_NS6detail17trampoline_kernelINS0_14default_configENS1_38merge_sort_block_merge_config_selectorIiNS0_10empty_typeEEEZZNS1_27merge_sort_block_merge_implIS3_PiPS5_jNS1_19radix_merge_compareILb1ELb1EiNS0_19identity_decomposerEEEEE10hipError_tT0_T1_T2_jT3_P12ihipStream_tbPNSt15iterator_traitsISE_E10value_typeEPNSK_ISF_E10value_typeEPSG_NS1_7vsmem_tEENKUlT_SE_SF_SG_E_clIS8_S8_S9_S9_EESD_ST_SE_SF_SG_EUlST_E_NS1_11comp_targetILNS1_3genE0ELNS1_11target_archE4294967295ELNS1_3gpuE0ELNS1_3repE0EEENS1_48merge_mergepath_partition_config_static_selectorELNS0_4arch9wavefront6targetE0EEEvSF_.num_named_barrier, 0
	.set _ZN7rocprim17ROCPRIM_400000_NS6detail17trampoline_kernelINS0_14default_configENS1_38merge_sort_block_merge_config_selectorIiNS0_10empty_typeEEEZZNS1_27merge_sort_block_merge_implIS3_PiPS5_jNS1_19radix_merge_compareILb1ELb1EiNS0_19identity_decomposerEEEEE10hipError_tT0_T1_T2_jT3_P12ihipStream_tbPNSt15iterator_traitsISE_E10value_typeEPNSK_ISF_E10value_typeEPSG_NS1_7vsmem_tEENKUlT_SE_SF_SG_E_clIS8_S8_S9_S9_EESD_ST_SE_SF_SG_EUlST_E_NS1_11comp_targetILNS1_3genE0ELNS1_11target_archE4294967295ELNS1_3gpuE0ELNS1_3repE0EEENS1_48merge_mergepath_partition_config_static_selectorELNS0_4arch9wavefront6targetE0EEEvSF_.private_seg_size, 0
	.set _ZN7rocprim17ROCPRIM_400000_NS6detail17trampoline_kernelINS0_14default_configENS1_38merge_sort_block_merge_config_selectorIiNS0_10empty_typeEEEZZNS1_27merge_sort_block_merge_implIS3_PiPS5_jNS1_19radix_merge_compareILb1ELb1EiNS0_19identity_decomposerEEEEE10hipError_tT0_T1_T2_jT3_P12ihipStream_tbPNSt15iterator_traitsISE_E10value_typeEPNSK_ISF_E10value_typeEPSG_NS1_7vsmem_tEENKUlT_SE_SF_SG_E_clIS8_S8_S9_S9_EESD_ST_SE_SF_SG_EUlST_E_NS1_11comp_targetILNS1_3genE0ELNS1_11target_archE4294967295ELNS1_3gpuE0ELNS1_3repE0EEENS1_48merge_mergepath_partition_config_static_selectorELNS0_4arch9wavefront6targetE0EEEvSF_.uses_vcc, 1
	.set _ZN7rocprim17ROCPRIM_400000_NS6detail17trampoline_kernelINS0_14default_configENS1_38merge_sort_block_merge_config_selectorIiNS0_10empty_typeEEEZZNS1_27merge_sort_block_merge_implIS3_PiPS5_jNS1_19radix_merge_compareILb1ELb1EiNS0_19identity_decomposerEEEEE10hipError_tT0_T1_T2_jT3_P12ihipStream_tbPNSt15iterator_traitsISE_E10value_typeEPNSK_ISF_E10value_typeEPSG_NS1_7vsmem_tEENKUlT_SE_SF_SG_E_clIS8_S8_S9_S9_EESD_ST_SE_SF_SG_EUlST_E_NS1_11comp_targetILNS1_3genE0ELNS1_11target_archE4294967295ELNS1_3gpuE0ELNS1_3repE0EEENS1_48merge_mergepath_partition_config_static_selectorELNS0_4arch9wavefront6targetE0EEEvSF_.uses_flat_scratch, 0
	.set _ZN7rocprim17ROCPRIM_400000_NS6detail17trampoline_kernelINS0_14default_configENS1_38merge_sort_block_merge_config_selectorIiNS0_10empty_typeEEEZZNS1_27merge_sort_block_merge_implIS3_PiPS5_jNS1_19radix_merge_compareILb1ELb1EiNS0_19identity_decomposerEEEEE10hipError_tT0_T1_T2_jT3_P12ihipStream_tbPNSt15iterator_traitsISE_E10value_typeEPNSK_ISF_E10value_typeEPSG_NS1_7vsmem_tEENKUlT_SE_SF_SG_E_clIS8_S8_S9_S9_EESD_ST_SE_SF_SG_EUlST_E_NS1_11comp_targetILNS1_3genE0ELNS1_11target_archE4294967295ELNS1_3gpuE0ELNS1_3repE0EEENS1_48merge_mergepath_partition_config_static_selectorELNS0_4arch9wavefront6targetE0EEEvSF_.has_dyn_sized_stack, 0
	.set _ZN7rocprim17ROCPRIM_400000_NS6detail17trampoline_kernelINS0_14default_configENS1_38merge_sort_block_merge_config_selectorIiNS0_10empty_typeEEEZZNS1_27merge_sort_block_merge_implIS3_PiPS5_jNS1_19radix_merge_compareILb1ELb1EiNS0_19identity_decomposerEEEEE10hipError_tT0_T1_T2_jT3_P12ihipStream_tbPNSt15iterator_traitsISE_E10value_typeEPNSK_ISF_E10value_typeEPSG_NS1_7vsmem_tEENKUlT_SE_SF_SG_E_clIS8_S8_S9_S9_EESD_ST_SE_SF_SG_EUlST_E_NS1_11comp_targetILNS1_3genE0ELNS1_11target_archE4294967295ELNS1_3gpuE0ELNS1_3repE0EEENS1_48merge_mergepath_partition_config_static_selectorELNS0_4arch9wavefront6targetE0EEEvSF_.has_recursion, 0
	.set _ZN7rocprim17ROCPRIM_400000_NS6detail17trampoline_kernelINS0_14default_configENS1_38merge_sort_block_merge_config_selectorIiNS0_10empty_typeEEEZZNS1_27merge_sort_block_merge_implIS3_PiPS5_jNS1_19radix_merge_compareILb1ELb1EiNS0_19identity_decomposerEEEEE10hipError_tT0_T1_T2_jT3_P12ihipStream_tbPNSt15iterator_traitsISE_E10value_typeEPNSK_ISF_E10value_typeEPSG_NS1_7vsmem_tEENKUlT_SE_SF_SG_E_clIS8_S8_S9_S9_EESD_ST_SE_SF_SG_EUlST_E_NS1_11comp_targetILNS1_3genE0ELNS1_11target_archE4294967295ELNS1_3gpuE0ELNS1_3repE0EEENS1_48merge_mergepath_partition_config_static_selectorELNS0_4arch9wavefront6targetE0EEEvSF_.has_indirect_call, 0
	.section	.AMDGPU.csdata,"",@progbits
; Kernel info:
; codeLenInByte = 452
; TotalNumSgprs: 10
; NumVgprs: 17
; ScratchSize: 0
; MemoryBound: 0
; FloatMode: 240
; IeeeMode: 1
; LDSByteSize: 0 bytes/workgroup (compile time only)
; SGPRBlocks: 0
; VGPRBlocks: 1
; NumSGPRsForWavesPerEU: 10
; NumVGPRsForWavesPerEU: 17
; NamedBarCnt: 0
; Occupancy: 16
; WaveLimiterHint : 0
; COMPUTE_PGM_RSRC2:SCRATCH_EN: 0
; COMPUTE_PGM_RSRC2:USER_SGPR: 2
; COMPUTE_PGM_RSRC2:TRAP_HANDLER: 0
; COMPUTE_PGM_RSRC2:TGID_X_EN: 1
; COMPUTE_PGM_RSRC2:TGID_Y_EN: 0
; COMPUTE_PGM_RSRC2:TGID_Z_EN: 0
; COMPUTE_PGM_RSRC2:TIDIG_COMP_CNT: 0
	.section	.text._ZN7rocprim17ROCPRIM_400000_NS6detail17trampoline_kernelINS0_14default_configENS1_38merge_sort_block_merge_config_selectorIiNS0_10empty_typeEEEZZNS1_27merge_sort_block_merge_implIS3_PiPS5_jNS1_19radix_merge_compareILb1ELb1EiNS0_19identity_decomposerEEEEE10hipError_tT0_T1_T2_jT3_P12ihipStream_tbPNSt15iterator_traitsISE_E10value_typeEPNSK_ISF_E10value_typeEPSG_NS1_7vsmem_tEENKUlT_SE_SF_SG_E_clIS8_S8_S9_S9_EESD_ST_SE_SF_SG_EUlST_E_NS1_11comp_targetILNS1_3genE10ELNS1_11target_archE1201ELNS1_3gpuE5ELNS1_3repE0EEENS1_48merge_mergepath_partition_config_static_selectorELNS0_4arch9wavefront6targetE0EEEvSF_,"axG",@progbits,_ZN7rocprim17ROCPRIM_400000_NS6detail17trampoline_kernelINS0_14default_configENS1_38merge_sort_block_merge_config_selectorIiNS0_10empty_typeEEEZZNS1_27merge_sort_block_merge_implIS3_PiPS5_jNS1_19radix_merge_compareILb1ELb1EiNS0_19identity_decomposerEEEEE10hipError_tT0_T1_T2_jT3_P12ihipStream_tbPNSt15iterator_traitsISE_E10value_typeEPNSK_ISF_E10value_typeEPSG_NS1_7vsmem_tEENKUlT_SE_SF_SG_E_clIS8_S8_S9_S9_EESD_ST_SE_SF_SG_EUlST_E_NS1_11comp_targetILNS1_3genE10ELNS1_11target_archE1201ELNS1_3gpuE5ELNS1_3repE0EEENS1_48merge_mergepath_partition_config_static_selectorELNS0_4arch9wavefront6targetE0EEEvSF_,comdat
	.protected	_ZN7rocprim17ROCPRIM_400000_NS6detail17trampoline_kernelINS0_14default_configENS1_38merge_sort_block_merge_config_selectorIiNS0_10empty_typeEEEZZNS1_27merge_sort_block_merge_implIS3_PiPS5_jNS1_19radix_merge_compareILb1ELb1EiNS0_19identity_decomposerEEEEE10hipError_tT0_T1_T2_jT3_P12ihipStream_tbPNSt15iterator_traitsISE_E10value_typeEPNSK_ISF_E10value_typeEPSG_NS1_7vsmem_tEENKUlT_SE_SF_SG_E_clIS8_S8_S9_S9_EESD_ST_SE_SF_SG_EUlST_E_NS1_11comp_targetILNS1_3genE10ELNS1_11target_archE1201ELNS1_3gpuE5ELNS1_3repE0EEENS1_48merge_mergepath_partition_config_static_selectorELNS0_4arch9wavefront6targetE0EEEvSF_ ; -- Begin function _ZN7rocprim17ROCPRIM_400000_NS6detail17trampoline_kernelINS0_14default_configENS1_38merge_sort_block_merge_config_selectorIiNS0_10empty_typeEEEZZNS1_27merge_sort_block_merge_implIS3_PiPS5_jNS1_19radix_merge_compareILb1ELb1EiNS0_19identity_decomposerEEEEE10hipError_tT0_T1_T2_jT3_P12ihipStream_tbPNSt15iterator_traitsISE_E10value_typeEPNSK_ISF_E10value_typeEPSG_NS1_7vsmem_tEENKUlT_SE_SF_SG_E_clIS8_S8_S9_S9_EESD_ST_SE_SF_SG_EUlST_E_NS1_11comp_targetILNS1_3genE10ELNS1_11target_archE1201ELNS1_3gpuE5ELNS1_3repE0EEENS1_48merge_mergepath_partition_config_static_selectorELNS0_4arch9wavefront6targetE0EEEvSF_
	.globl	_ZN7rocprim17ROCPRIM_400000_NS6detail17trampoline_kernelINS0_14default_configENS1_38merge_sort_block_merge_config_selectorIiNS0_10empty_typeEEEZZNS1_27merge_sort_block_merge_implIS3_PiPS5_jNS1_19radix_merge_compareILb1ELb1EiNS0_19identity_decomposerEEEEE10hipError_tT0_T1_T2_jT3_P12ihipStream_tbPNSt15iterator_traitsISE_E10value_typeEPNSK_ISF_E10value_typeEPSG_NS1_7vsmem_tEENKUlT_SE_SF_SG_E_clIS8_S8_S9_S9_EESD_ST_SE_SF_SG_EUlST_E_NS1_11comp_targetILNS1_3genE10ELNS1_11target_archE1201ELNS1_3gpuE5ELNS1_3repE0EEENS1_48merge_mergepath_partition_config_static_selectorELNS0_4arch9wavefront6targetE0EEEvSF_
	.p2align	8
	.type	_ZN7rocprim17ROCPRIM_400000_NS6detail17trampoline_kernelINS0_14default_configENS1_38merge_sort_block_merge_config_selectorIiNS0_10empty_typeEEEZZNS1_27merge_sort_block_merge_implIS3_PiPS5_jNS1_19radix_merge_compareILb1ELb1EiNS0_19identity_decomposerEEEEE10hipError_tT0_T1_T2_jT3_P12ihipStream_tbPNSt15iterator_traitsISE_E10value_typeEPNSK_ISF_E10value_typeEPSG_NS1_7vsmem_tEENKUlT_SE_SF_SG_E_clIS8_S8_S9_S9_EESD_ST_SE_SF_SG_EUlST_E_NS1_11comp_targetILNS1_3genE10ELNS1_11target_archE1201ELNS1_3gpuE5ELNS1_3repE0EEENS1_48merge_mergepath_partition_config_static_selectorELNS0_4arch9wavefront6targetE0EEEvSF_,@function
_ZN7rocprim17ROCPRIM_400000_NS6detail17trampoline_kernelINS0_14default_configENS1_38merge_sort_block_merge_config_selectorIiNS0_10empty_typeEEEZZNS1_27merge_sort_block_merge_implIS3_PiPS5_jNS1_19radix_merge_compareILb1ELb1EiNS0_19identity_decomposerEEEEE10hipError_tT0_T1_T2_jT3_P12ihipStream_tbPNSt15iterator_traitsISE_E10value_typeEPNSK_ISF_E10value_typeEPSG_NS1_7vsmem_tEENKUlT_SE_SF_SG_E_clIS8_S8_S9_S9_EESD_ST_SE_SF_SG_EUlST_E_NS1_11comp_targetILNS1_3genE10ELNS1_11target_archE1201ELNS1_3gpuE5ELNS1_3repE0EEENS1_48merge_mergepath_partition_config_static_selectorELNS0_4arch9wavefront6targetE0EEEvSF_: ; @_ZN7rocprim17ROCPRIM_400000_NS6detail17trampoline_kernelINS0_14default_configENS1_38merge_sort_block_merge_config_selectorIiNS0_10empty_typeEEEZZNS1_27merge_sort_block_merge_implIS3_PiPS5_jNS1_19radix_merge_compareILb1ELb1EiNS0_19identity_decomposerEEEEE10hipError_tT0_T1_T2_jT3_P12ihipStream_tbPNSt15iterator_traitsISE_E10value_typeEPNSK_ISF_E10value_typeEPSG_NS1_7vsmem_tEENKUlT_SE_SF_SG_E_clIS8_S8_S9_S9_EESD_ST_SE_SF_SG_EUlST_E_NS1_11comp_targetILNS1_3genE10ELNS1_11target_archE1201ELNS1_3gpuE5ELNS1_3repE0EEENS1_48merge_mergepath_partition_config_static_selectorELNS0_4arch9wavefront6targetE0EEEvSF_
; %bb.0:
	.section	.rodata,"a",@progbits
	.p2align	6, 0x0
	.amdhsa_kernel _ZN7rocprim17ROCPRIM_400000_NS6detail17trampoline_kernelINS0_14default_configENS1_38merge_sort_block_merge_config_selectorIiNS0_10empty_typeEEEZZNS1_27merge_sort_block_merge_implIS3_PiPS5_jNS1_19radix_merge_compareILb1ELb1EiNS0_19identity_decomposerEEEEE10hipError_tT0_T1_T2_jT3_P12ihipStream_tbPNSt15iterator_traitsISE_E10value_typeEPNSK_ISF_E10value_typeEPSG_NS1_7vsmem_tEENKUlT_SE_SF_SG_E_clIS8_S8_S9_S9_EESD_ST_SE_SF_SG_EUlST_E_NS1_11comp_targetILNS1_3genE10ELNS1_11target_archE1201ELNS1_3gpuE5ELNS1_3repE0EEENS1_48merge_mergepath_partition_config_static_selectorELNS0_4arch9wavefront6targetE0EEEvSF_
		.amdhsa_group_segment_fixed_size 0
		.amdhsa_private_segment_fixed_size 0
		.amdhsa_kernarg_size 40
		.amdhsa_user_sgpr_count 2
		.amdhsa_user_sgpr_dispatch_ptr 0
		.amdhsa_user_sgpr_queue_ptr 0
		.amdhsa_user_sgpr_kernarg_segment_ptr 1
		.amdhsa_user_sgpr_dispatch_id 0
		.amdhsa_user_sgpr_kernarg_preload_length 0
		.amdhsa_user_sgpr_kernarg_preload_offset 0
		.amdhsa_user_sgpr_private_segment_size 0
		.amdhsa_wavefront_size32 1
		.amdhsa_uses_dynamic_stack 0
		.amdhsa_enable_private_segment 0
		.amdhsa_system_sgpr_workgroup_id_x 1
		.amdhsa_system_sgpr_workgroup_id_y 0
		.amdhsa_system_sgpr_workgroup_id_z 0
		.amdhsa_system_sgpr_workgroup_info 0
		.amdhsa_system_vgpr_workitem_id 0
		.amdhsa_next_free_vgpr 1
		.amdhsa_next_free_sgpr 1
		.amdhsa_named_barrier_count 0
		.amdhsa_reserve_vcc 0
		.amdhsa_float_round_mode_32 0
		.amdhsa_float_round_mode_16_64 0
		.amdhsa_float_denorm_mode_32 3
		.amdhsa_float_denorm_mode_16_64 3
		.amdhsa_fp16_overflow 0
		.amdhsa_memory_ordered 1
		.amdhsa_forward_progress 1
		.amdhsa_inst_pref_size 0
		.amdhsa_round_robin_scheduling 0
		.amdhsa_exception_fp_ieee_invalid_op 0
		.amdhsa_exception_fp_denorm_src 0
		.amdhsa_exception_fp_ieee_div_zero 0
		.amdhsa_exception_fp_ieee_overflow 0
		.amdhsa_exception_fp_ieee_underflow 0
		.amdhsa_exception_fp_ieee_inexact 0
		.amdhsa_exception_int_div_zero 0
	.end_amdhsa_kernel
	.section	.text._ZN7rocprim17ROCPRIM_400000_NS6detail17trampoline_kernelINS0_14default_configENS1_38merge_sort_block_merge_config_selectorIiNS0_10empty_typeEEEZZNS1_27merge_sort_block_merge_implIS3_PiPS5_jNS1_19radix_merge_compareILb1ELb1EiNS0_19identity_decomposerEEEEE10hipError_tT0_T1_T2_jT3_P12ihipStream_tbPNSt15iterator_traitsISE_E10value_typeEPNSK_ISF_E10value_typeEPSG_NS1_7vsmem_tEENKUlT_SE_SF_SG_E_clIS8_S8_S9_S9_EESD_ST_SE_SF_SG_EUlST_E_NS1_11comp_targetILNS1_3genE10ELNS1_11target_archE1201ELNS1_3gpuE5ELNS1_3repE0EEENS1_48merge_mergepath_partition_config_static_selectorELNS0_4arch9wavefront6targetE0EEEvSF_,"axG",@progbits,_ZN7rocprim17ROCPRIM_400000_NS6detail17trampoline_kernelINS0_14default_configENS1_38merge_sort_block_merge_config_selectorIiNS0_10empty_typeEEEZZNS1_27merge_sort_block_merge_implIS3_PiPS5_jNS1_19radix_merge_compareILb1ELb1EiNS0_19identity_decomposerEEEEE10hipError_tT0_T1_T2_jT3_P12ihipStream_tbPNSt15iterator_traitsISE_E10value_typeEPNSK_ISF_E10value_typeEPSG_NS1_7vsmem_tEENKUlT_SE_SF_SG_E_clIS8_S8_S9_S9_EESD_ST_SE_SF_SG_EUlST_E_NS1_11comp_targetILNS1_3genE10ELNS1_11target_archE1201ELNS1_3gpuE5ELNS1_3repE0EEENS1_48merge_mergepath_partition_config_static_selectorELNS0_4arch9wavefront6targetE0EEEvSF_,comdat
.Lfunc_end800:
	.size	_ZN7rocprim17ROCPRIM_400000_NS6detail17trampoline_kernelINS0_14default_configENS1_38merge_sort_block_merge_config_selectorIiNS0_10empty_typeEEEZZNS1_27merge_sort_block_merge_implIS3_PiPS5_jNS1_19radix_merge_compareILb1ELb1EiNS0_19identity_decomposerEEEEE10hipError_tT0_T1_T2_jT3_P12ihipStream_tbPNSt15iterator_traitsISE_E10value_typeEPNSK_ISF_E10value_typeEPSG_NS1_7vsmem_tEENKUlT_SE_SF_SG_E_clIS8_S8_S9_S9_EESD_ST_SE_SF_SG_EUlST_E_NS1_11comp_targetILNS1_3genE10ELNS1_11target_archE1201ELNS1_3gpuE5ELNS1_3repE0EEENS1_48merge_mergepath_partition_config_static_selectorELNS0_4arch9wavefront6targetE0EEEvSF_, .Lfunc_end800-_ZN7rocprim17ROCPRIM_400000_NS6detail17trampoline_kernelINS0_14default_configENS1_38merge_sort_block_merge_config_selectorIiNS0_10empty_typeEEEZZNS1_27merge_sort_block_merge_implIS3_PiPS5_jNS1_19radix_merge_compareILb1ELb1EiNS0_19identity_decomposerEEEEE10hipError_tT0_T1_T2_jT3_P12ihipStream_tbPNSt15iterator_traitsISE_E10value_typeEPNSK_ISF_E10value_typeEPSG_NS1_7vsmem_tEENKUlT_SE_SF_SG_E_clIS8_S8_S9_S9_EESD_ST_SE_SF_SG_EUlST_E_NS1_11comp_targetILNS1_3genE10ELNS1_11target_archE1201ELNS1_3gpuE5ELNS1_3repE0EEENS1_48merge_mergepath_partition_config_static_selectorELNS0_4arch9wavefront6targetE0EEEvSF_
                                        ; -- End function
	.set _ZN7rocprim17ROCPRIM_400000_NS6detail17trampoline_kernelINS0_14default_configENS1_38merge_sort_block_merge_config_selectorIiNS0_10empty_typeEEEZZNS1_27merge_sort_block_merge_implIS3_PiPS5_jNS1_19radix_merge_compareILb1ELb1EiNS0_19identity_decomposerEEEEE10hipError_tT0_T1_T2_jT3_P12ihipStream_tbPNSt15iterator_traitsISE_E10value_typeEPNSK_ISF_E10value_typeEPSG_NS1_7vsmem_tEENKUlT_SE_SF_SG_E_clIS8_S8_S9_S9_EESD_ST_SE_SF_SG_EUlST_E_NS1_11comp_targetILNS1_3genE10ELNS1_11target_archE1201ELNS1_3gpuE5ELNS1_3repE0EEENS1_48merge_mergepath_partition_config_static_selectorELNS0_4arch9wavefront6targetE0EEEvSF_.num_vgpr, 0
	.set _ZN7rocprim17ROCPRIM_400000_NS6detail17trampoline_kernelINS0_14default_configENS1_38merge_sort_block_merge_config_selectorIiNS0_10empty_typeEEEZZNS1_27merge_sort_block_merge_implIS3_PiPS5_jNS1_19radix_merge_compareILb1ELb1EiNS0_19identity_decomposerEEEEE10hipError_tT0_T1_T2_jT3_P12ihipStream_tbPNSt15iterator_traitsISE_E10value_typeEPNSK_ISF_E10value_typeEPSG_NS1_7vsmem_tEENKUlT_SE_SF_SG_E_clIS8_S8_S9_S9_EESD_ST_SE_SF_SG_EUlST_E_NS1_11comp_targetILNS1_3genE10ELNS1_11target_archE1201ELNS1_3gpuE5ELNS1_3repE0EEENS1_48merge_mergepath_partition_config_static_selectorELNS0_4arch9wavefront6targetE0EEEvSF_.num_agpr, 0
	.set _ZN7rocprim17ROCPRIM_400000_NS6detail17trampoline_kernelINS0_14default_configENS1_38merge_sort_block_merge_config_selectorIiNS0_10empty_typeEEEZZNS1_27merge_sort_block_merge_implIS3_PiPS5_jNS1_19radix_merge_compareILb1ELb1EiNS0_19identity_decomposerEEEEE10hipError_tT0_T1_T2_jT3_P12ihipStream_tbPNSt15iterator_traitsISE_E10value_typeEPNSK_ISF_E10value_typeEPSG_NS1_7vsmem_tEENKUlT_SE_SF_SG_E_clIS8_S8_S9_S9_EESD_ST_SE_SF_SG_EUlST_E_NS1_11comp_targetILNS1_3genE10ELNS1_11target_archE1201ELNS1_3gpuE5ELNS1_3repE0EEENS1_48merge_mergepath_partition_config_static_selectorELNS0_4arch9wavefront6targetE0EEEvSF_.numbered_sgpr, 0
	.set _ZN7rocprim17ROCPRIM_400000_NS6detail17trampoline_kernelINS0_14default_configENS1_38merge_sort_block_merge_config_selectorIiNS0_10empty_typeEEEZZNS1_27merge_sort_block_merge_implIS3_PiPS5_jNS1_19radix_merge_compareILb1ELb1EiNS0_19identity_decomposerEEEEE10hipError_tT0_T1_T2_jT3_P12ihipStream_tbPNSt15iterator_traitsISE_E10value_typeEPNSK_ISF_E10value_typeEPSG_NS1_7vsmem_tEENKUlT_SE_SF_SG_E_clIS8_S8_S9_S9_EESD_ST_SE_SF_SG_EUlST_E_NS1_11comp_targetILNS1_3genE10ELNS1_11target_archE1201ELNS1_3gpuE5ELNS1_3repE0EEENS1_48merge_mergepath_partition_config_static_selectorELNS0_4arch9wavefront6targetE0EEEvSF_.num_named_barrier, 0
	.set _ZN7rocprim17ROCPRIM_400000_NS6detail17trampoline_kernelINS0_14default_configENS1_38merge_sort_block_merge_config_selectorIiNS0_10empty_typeEEEZZNS1_27merge_sort_block_merge_implIS3_PiPS5_jNS1_19radix_merge_compareILb1ELb1EiNS0_19identity_decomposerEEEEE10hipError_tT0_T1_T2_jT3_P12ihipStream_tbPNSt15iterator_traitsISE_E10value_typeEPNSK_ISF_E10value_typeEPSG_NS1_7vsmem_tEENKUlT_SE_SF_SG_E_clIS8_S8_S9_S9_EESD_ST_SE_SF_SG_EUlST_E_NS1_11comp_targetILNS1_3genE10ELNS1_11target_archE1201ELNS1_3gpuE5ELNS1_3repE0EEENS1_48merge_mergepath_partition_config_static_selectorELNS0_4arch9wavefront6targetE0EEEvSF_.private_seg_size, 0
	.set _ZN7rocprim17ROCPRIM_400000_NS6detail17trampoline_kernelINS0_14default_configENS1_38merge_sort_block_merge_config_selectorIiNS0_10empty_typeEEEZZNS1_27merge_sort_block_merge_implIS3_PiPS5_jNS1_19radix_merge_compareILb1ELb1EiNS0_19identity_decomposerEEEEE10hipError_tT0_T1_T2_jT3_P12ihipStream_tbPNSt15iterator_traitsISE_E10value_typeEPNSK_ISF_E10value_typeEPSG_NS1_7vsmem_tEENKUlT_SE_SF_SG_E_clIS8_S8_S9_S9_EESD_ST_SE_SF_SG_EUlST_E_NS1_11comp_targetILNS1_3genE10ELNS1_11target_archE1201ELNS1_3gpuE5ELNS1_3repE0EEENS1_48merge_mergepath_partition_config_static_selectorELNS0_4arch9wavefront6targetE0EEEvSF_.uses_vcc, 0
	.set _ZN7rocprim17ROCPRIM_400000_NS6detail17trampoline_kernelINS0_14default_configENS1_38merge_sort_block_merge_config_selectorIiNS0_10empty_typeEEEZZNS1_27merge_sort_block_merge_implIS3_PiPS5_jNS1_19radix_merge_compareILb1ELb1EiNS0_19identity_decomposerEEEEE10hipError_tT0_T1_T2_jT3_P12ihipStream_tbPNSt15iterator_traitsISE_E10value_typeEPNSK_ISF_E10value_typeEPSG_NS1_7vsmem_tEENKUlT_SE_SF_SG_E_clIS8_S8_S9_S9_EESD_ST_SE_SF_SG_EUlST_E_NS1_11comp_targetILNS1_3genE10ELNS1_11target_archE1201ELNS1_3gpuE5ELNS1_3repE0EEENS1_48merge_mergepath_partition_config_static_selectorELNS0_4arch9wavefront6targetE0EEEvSF_.uses_flat_scratch, 0
	.set _ZN7rocprim17ROCPRIM_400000_NS6detail17trampoline_kernelINS0_14default_configENS1_38merge_sort_block_merge_config_selectorIiNS0_10empty_typeEEEZZNS1_27merge_sort_block_merge_implIS3_PiPS5_jNS1_19radix_merge_compareILb1ELb1EiNS0_19identity_decomposerEEEEE10hipError_tT0_T1_T2_jT3_P12ihipStream_tbPNSt15iterator_traitsISE_E10value_typeEPNSK_ISF_E10value_typeEPSG_NS1_7vsmem_tEENKUlT_SE_SF_SG_E_clIS8_S8_S9_S9_EESD_ST_SE_SF_SG_EUlST_E_NS1_11comp_targetILNS1_3genE10ELNS1_11target_archE1201ELNS1_3gpuE5ELNS1_3repE0EEENS1_48merge_mergepath_partition_config_static_selectorELNS0_4arch9wavefront6targetE0EEEvSF_.has_dyn_sized_stack, 0
	.set _ZN7rocprim17ROCPRIM_400000_NS6detail17trampoline_kernelINS0_14default_configENS1_38merge_sort_block_merge_config_selectorIiNS0_10empty_typeEEEZZNS1_27merge_sort_block_merge_implIS3_PiPS5_jNS1_19radix_merge_compareILb1ELb1EiNS0_19identity_decomposerEEEEE10hipError_tT0_T1_T2_jT3_P12ihipStream_tbPNSt15iterator_traitsISE_E10value_typeEPNSK_ISF_E10value_typeEPSG_NS1_7vsmem_tEENKUlT_SE_SF_SG_E_clIS8_S8_S9_S9_EESD_ST_SE_SF_SG_EUlST_E_NS1_11comp_targetILNS1_3genE10ELNS1_11target_archE1201ELNS1_3gpuE5ELNS1_3repE0EEENS1_48merge_mergepath_partition_config_static_selectorELNS0_4arch9wavefront6targetE0EEEvSF_.has_recursion, 0
	.set _ZN7rocprim17ROCPRIM_400000_NS6detail17trampoline_kernelINS0_14default_configENS1_38merge_sort_block_merge_config_selectorIiNS0_10empty_typeEEEZZNS1_27merge_sort_block_merge_implIS3_PiPS5_jNS1_19radix_merge_compareILb1ELb1EiNS0_19identity_decomposerEEEEE10hipError_tT0_T1_T2_jT3_P12ihipStream_tbPNSt15iterator_traitsISE_E10value_typeEPNSK_ISF_E10value_typeEPSG_NS1_7vsmem_tEENKUlT_SE_SF_SG_E_clIS8_S8_S9_S9_EESD_ST_SE_SF_SG_EUlST_E_NS1_11comp_targetILNS1_3genE10ELNS1_11target_archE1201ELNS1_3gpuE5ELNS1_3repE0EEENS1_48merge_mergepath_partition_config_static_selectorELNS0_4arch9wavefront6targetE0EEEvSF_.has_indirect_call, 0
	.section	.AMDGPU.csdata,"",@progbits
; Kernel info:
; codeLenInByte = 0
; TotalNumSgprs: 0
; NumVgprs: 0
; ScratchSize: 0
; MemoryBound: 0
; FloatMode: 240
; IeeeMode: 1
; LDSByteSize: 0 bytes/workgroup (compile time only)
; SGPRBlocks: 0
; VGPRBlocks: 0
; NumSGPRsForWavesPerEU: 1
; NumVGPRsForWavesPerEU: 1
; NamedBarCnt: 0
; Occupancy: 16
; WaveLimiterHint : 0
; COMPUTE_PGM_RSRC2:SCRATCH_EN: 0
; COMPUTE_PGM_RSRC2:USER_SGPR: 2
; COMPUTE_PGM_RSRC2:TRAP_HANDLER: 0
; COMPUTE_PGM_RSRC2:TGID_X_EN: 1
; COMPUTE_PGM_RSRC2:TGID_Y_EN: 0
; COMPUTE_PGM_RSRC2:TGID_Z_EN: 0
; COMPUTE_PGM_RSRC2:TIDIG_COMP_CNT: 0
	.section	.text._ZN7rocprim17ROCPRIM_400000_NS6detail17trampoline_kernelINS0_14default_configENS1_38merge_sort_block_merge_config_selectorIiNS0_10empty_typeEEEZZNS1_27merge_sort_block_merge_implIS3_PiPS5_jNS1_19radix_merge_compareILb1ELb1EiNS0_19identity_decomposerEEEEE10hipError_tT0_T1_T2_jT3_P12ihipStream_tbPNSt15iterator_traitsISE_E10value_typeEPNSK_ISF_E10value_typeEPSG_NS1_7vsmem_tEENKUlT_SE_SF_SG_E_clIS8_S8_S9_S9_EESD_ST_SE_SF_SG_EUlST_E_NS1_11comp_targetILNS1_3genE5ELNS1_11target_archE942ELNS1_3gpuE9ELNS1_3repE0EEENS1_48merge_mergepath_partition_config_static_selectorELNS0_4arch9wavefront6targetE0EEEvSF_,"axG",@progbits,_ZN7rocprim17ROCPRIM_400000_NS6detail17trampoline_kernelINS0_14default_configENS1_38merge_sort_block_merge_config_selectorIiNS0_10empty_typeEEEZZNS1_27merge_sort_block_merge_implIS3_PiPS5_jNS1_19radix_merge_compareILb1ELb1EiNS0_19identity_decomposerEEEEE10hipError_tT0_T1_T2_jT3_P12ihipStream_tbPNSt15iterator_traitsISE_E10value_typeEPNSK_ISF_E10value_typeEPSG_NS1_7vsmem_tEENKUlT_SE_SF_SG_E_clIS8_S8_S9_S9_EESD_ST_SE_SF_SG_EUlST_E_NS1_11comp_targetILNS1_3genE5ELNS1_11target_archE942ELNS1_3gpuE9ELNS1_3repE0EEENS1_48merge_mergepath_partition_config_static_selectorELNS0_4arch9wavefront6targetE0EEEvSF_,comdat
	.protected	_ZN7rocprim17ROCPRIM_400000_NS6detail17trampoline_kernelINS0_14default_configENS1_38merge_sort_block_merge_config_selectorIiNS0_10empty_typeEEEZZNS1_27merge_sort_block_merge_implIS3_PiPS5_jNS1_19radix_merge_compareILb1ELb1EiNS0_19identity_decomposerEEEEE10hipError_tT0_T1_T2_jT3_P12ihipStream_tbPNSt15iterator_traitsISE_E10value_typeEPNSK_ISF_E10value_typeEPSG_NS1_7vsmem_tEENKUlT_SE_SF_SG_E_clIS8_S8_S9_S9_EESD_ST_SE_SF_SG_EUlST_E_NS1_11comp_targetILNS1_3genE5ELNS1_11target_archE942ELNS1_3gpuE9ELNS1_3repE0EEENS1_48merge_mergepath_partition_config_static_selectorELNS0_4arch9wavefront6targetE0EEEvSF_ ; -- Begin function _ZN7rocprim17ROCPRIM_400000_NS6detail17trampoline_kernelINS0_14default_configENS1_38merge_sort_block_merge_config_selectorIiNS0_10empty_typeEEEZZNS1_27merge_sort_block_merge_implIS3_PiPS5_jNS1_19radix_merge_compareILb1ELb1EiNS0_19identity_decomposerEEEEE10hipError_tT0_T1_T2_jT3_P12ihipStream_tbPNSt15iterator_traitsISE_E10value_typeEPNSK_ISF_E10value_typeEPSG_NS1_7vsmem_tEENKUlT_SE_SF_SG_E_clIS8_S8_S9_S9_EESD_ST_SE_SF_SG_EUlST_E_NS1_11comp_targetILNS1_3genE5ELNS1_11target_archE942ELNS1_3gpuE9ELNS1_3repE0EEENS1_48merge_mergepath_partition_config_static_selectorELNS0_4arch9wavefront6targetE0EEEvSF_
	.globl	_ZN7rocprim17ROCPRIM_400000_NS6detail17trampoline_kernelINS0_14default_configENS1_38merge_sort_block_merge_config_selectorIiNS0_10empty_typeEEEZZNS1_27merge_sort_block_merge_implIS3_PiPS5_jNS1_19radix_merge_compareILb1ELb1EiNS0_19identity_decomposerEEEEE10hipError_tT0_T1_T2_jT3_P12ihipStream_tbPNSt15iterator_traitsISE_E10value_typeEPNSK_ISF_E10value_typeEPSG_NS1_7vsmem_tEENKUlT_SE_SF_SG_E_clIS8_S8_S9_S9_EESD_ST_SE_SF_SG_EUlST_E_NS1_11comp_targetILNS1_3genE5ELNS1_11target_archE942ELNS1_3gpuE9ELNS1_3repE0EEENS1_48merge_mergepath_partition_config_static_selectorELNS0_4arch9wavefront6targetE0EEEvSF_
	.p2align	8
	.type	_ZN7rocprim17ROCPRIM_400000_NS6detail17trampoline_kernelINS0_14default_configENS1_38merge_sort_block_merge_config_selectorIiNS0_10empty_typeEEEZZNS1_27merge_sort_block_merge_implIS3_PiPS5_jNS1_19radix_merge_compareILb1ELb1EiNS0_19identity_decomposerEEEEE10hipError_tT0_T1_T2_jT3_P12ihipStream_tbPNSt15iterator_traitsISE_E10value_typeEPNSK_ISF_E10value_typeEPSG_NS1_7vsmem_tEENKUlT_SE_SF_SG_E_clIS8_S8_S9_S9_EESD_ST_SE_SF_SG_EUlST_E_NS1_11comp_targetILNS1_3genE5ELNS1_11target_archE942ELNS1_3gpuE9ELNS1_3repE0EEENS1_48merge_mergepath_partition_config_static_selectorELNS0_4arch9wavefront6targetE0EEEvSF_,@function
_ZN7rocprim17ROCPRIM_400000_NS6detail17trampoline_kernelINS0_14default_configENS1_38merge_sort_block_merge_config_selectorIiNS0_10empty_typeEEEZZNS1_27merge_sort_block_merge_implIS3_PiPS5_jNS1_19radix_merge_compareILb1ELb1EiNS0_19identity_decomposerEEEEE10hipError_tT0_T1_T2_jT3_P12ihipStream_tbPNSt15iterator_traitsISE_E10value_typeEPNSK_ISF_E10value_typeEPSG_NS1_7vsmem_tEENKUlT_SE_SF_SG_E_clIS8_S8_S9_S9_EESD_ST_SE_SF_SG_EUlST_E_NS1_11comp_targetILNS1_3genE5ELNS1_11target_archE942ELNS1_3gpuE9ELNS1_3repE0EEENS1_48merge_mergepath_partition_config_static_selectorELNS0_4arch9wavefront6targetE0EEEvSF_: ; @_ZN7rocprim17ROCPRIM_400000_NS6detail17trampoline_kernelINS0_14default_configENS1_38merge_sort_block_merge_config_selectorIiNS0_10empty_typeEEEZZNS1_27merge_sort_block_merge_implIS3_PiPS5_jNS1_19radix_merge_compareILb1ELb1EiNS0_19identity_decomposerEEEEE10hipError_tT0_T1_T2_jT3_P12ihipStream_tbPNSt15iterator_traitsISE_E10value_typeEPNSK_ISF_E10value_typeEPSG_NS1_7vsmem_tEENKUlT_SE_SF_SG_E_clIS8_S8_S9_S9_EESD_ST_SE_SF_SG_EUlST_E_NS1_11comp_targetILNS1_3genE5ELNS1_11target_archE942ELNS1_3gpuE9ELNS1_3repE0EEENS1_48merge_mergepath_partition_config_static_selectorELNS0_4arch9wavefront6targetE0EEEvSF_
; %bb.0:
	.section	.rodata,"a",@progbits
	.p2align	6, 0x0
	.amdhsa_kernel _ZN7rocprim17ROCPRIM_400000_NS6detail17trampoline_kernelINS0_14default_configENS1_38merge_sort_block_merge_config_selectorIiNS0_10empty_typeEEEZZNS1_27merge_sort_block_merge_implIS3_PiPS5_jNS1_19radix_merge_compareILb1ELb1EiNS0_19identity_decomposerEEEEE10hipError_tT0_T1_T2_jT3_P12ihipStream_tbPNSt15iterator_traitsISE_E10value_typeEPNSK_ISF_E10value_typeEPSG_NS1_7vsmem_tEENKUlT_SE_SF_SG_E_clIS8_S8_S9_S9_EESD_ST_SE_SF_SG_EUlST_E_NS1_11comp_targetILNS1_3genE5ELNS1_11target_archE942ELNS1_3gpuE9ELNS1_3repE0EEENS1_48merge_mergepath_partition_config_static_selectorELNS0_4arch9wavefront6targetE0EEEvSF_
		.amdhsa_group_segment_fixed_size 0
		.amdhsa_private_segment_fixed_size 0
		.amdhsa_kernarg_size 40
		.amdhsa_user_sgpr_count 2
		.amdhsa_user_sgpr_dispatch_ptr 0
		.amdhsa_user_sgpr_queue_ptr 0
		.amdhsa_user_sgpr_kernarg_segment_ptr 1
		.amdhsa_user_sgpr_dispatch_id 0
		.amdhsa_user_sgpr_kernarg_preload_length 0
		.amdhsa_user_sgpr_kernarg_preload_offset 0
		.amdhsa_user_sgpr_private_segment_size 0
		.amdhsa_wavefront_size32 1
		.amdhsa_uses_dynamic_stack 0
		.amdhsa_enable_private_segment 0
		.amdhsa_system_sgpr_workgroup_id_x 1
		.amdhsa_system_sgpr_workgroup_id_y 0
		.amdhsa_system_sgpr_workgroup_id_z 0
		.amdhsa_system_sgpr_workgroup_info 0
		.amdhsa_system_vgpr_workitem_id 0
		.amdhsa_next_free_vgpr 1
		.amdhsa_next_free_sgpr 1
		.amdhsa_named_barrier_count 0
		.amdhsa_reserve_vcc 0
		.amdhsa_float_round_mode_32 0
		.amdhsa_float_round_mode_16_64 0
		.amdhsa_float_denorm_mode_32 3
		.amdhsa_float_denorm_mode_16_64 3
		.amdhsa_fp16_overflow 0
		.amdhsa_memory_ordered 1
		.amdhsa_forward_progress 1
		.amdhsa_inst_pref_size 0
		.amdhsa_round_robin_scheduling 0
		.amdhsa_exception_fp_ieee_invalid_op 0
		.amdhsa_exception_fp_denorm_src 0
		.amdhsa_exception_fp_ieee_div_zero 0
		.amdhsa_exception_fp_ieee_overflow 0
		.amdhsa_exception_fp_ieee_underflow 0
		.amdhsa_exception_fp_ieee_inexact 0
		.amdhsa_exception_int_div_zero 0
	.end_amdhsa_kernel
	.section	.text._ZN7rocprim17ROCPRIM_400000_NS6detail17trampoline_kernelINS0_14default_configENS1_38merge_sort_block_merge_config_selectorIiNS0_10empty_typeEEEZZNS1_27merge_sort_block_merge_implIS3_PiPS5_jNS1_19radix_merge_compareILb1ELb1EiNS0_19identity_decomposerEEEEE10hipError_tT0_T1_T2_jT3_P12ihipStream_tbPNSt15iterator_traitsISE_E10value_typeEPNSK_ISF_E10value_typeEPSG_NS1_7vsmem_tEENKUlT_SE_SF_SG_E_clIS8_S8_S9_S9_EESD_ST_SE_SF_SG_EUlST_E_NS1_11comp_targetILNS1_3genE5ELNS1_11target_archE942ELNS1_3gpuE9ELNS1_3repE0EEENS1_48merge_mergepath_partition_config_static_selectorELNS0_4arch9wavefront6targetE0EEEvSF_,"axG",@progbits,_ZN7rocprim17ROCPRIM_400000_NS6detail17trampoline_kernelINS0_14default_configENS1_38merge_sort_block_merge_config_selectorIiNS0_10empty_typeEEEZZNS1_27merge_sort_block_merge_implIS3_PiPS5_jNS1_19radix_merge_compareILb1ELb1EiNS0_19identity_decomposerEEEEE10hipError_tT0_T1_T2_jT3_P12ihipStream_tbPNSt15iterator_traitsISE_E10value_typeEPNSK_ISF_E10value_typeEPSG_NS1_7vsmem_tEENKUlT_SE_SF_SG_E_clIS8_S8_S9_S9_EESD_ST_SE_SF_SG_EUlST_E_NS1_11comp_targetILNS1_3genE5ELNS1_11target_archE942ELNS1_3gpuE9ELNS1_3repE0EEENS1_48merge_mergepath_partition_config_static_selectorELNS0_4arch9wavefront6targetE0EEEvSF_,comdat
.Lfunc_end801:
	.size	_ZN7rocprim17ROCPRIM_400000_NS6detail17trampoline_kernelINS0_14default_configENS1_38merge_sort_block_merge_config_selectorIiNS0_10empty_typeEEEZZNS1_27merge_sort_block_merge_implIS3_PiPS5_jNS1_19radix_merge_compareILb1ELb1EiNS0_19identity_decomposerEEEEE10hipError_tT0_T1_T2_jT3_P12ihipStream_tbPNSt15iterator_traitsISE_E10value_typeEPNSK_ISF_E10value_typeEPSG_NS1_7vsmem_tEENKUlT_SE_SF_SG_E_clIS8_S8_S9_S9_EESD_ST_SE_SF_SG_EUlST_E_NS1_11comp_targetILNS1_3genE5ELNS1_11target_archE942ELNS1_3gpuE9ELNS1_3repE0EEENS1_48merge_mergepath_partition_config_static_selectorELNS0_4arch9wavefront6targetE0EEEvSF_, .Lfunc_end801-_ZN7rocprim17ROCPRIM_400000_NS6detail17trampoline_kernelINS0_14default_configENS1_38merge_sort_block_merge_config_selectorIiNS0_10empty_typeEEEZZNS1_27merge_sort_block_merge_implIS3_PiPS5_jNS1_19radix_merge_compareILb1ELb1EiNS0_19identity_decomposerEEEEE10hipError_tT0_T1_T2_jT3_P12ihipStream_tbPNSt15iterator_traitsISE_E10value_typeEPNSK_ISF_E10value_typeEPSG_NS1_7vsmem_tEENKUlT_SE_SF_SG_E_clIS8_S8_S9_S9_EESD_ST_SE_SF_SG_EUlST_E_NS1_11comp_targetILNS1_3genE5ELNS1_11target_archE942ELNS1_3gpuE9ELNS1_3repE0EEENS1_48merge_mergepath_partition_config_static_selectorELNS0_4arch9wavefront6targetE0EEEvSF_
                                        ; -- End function
	.set _ZN7rocprim17ROCPRIM_400000_NS6detail17trampoline_kernelINS0_14default_configENS1_38merge_sort_block_merge_config_selectorIiNS0_10empty_typeEEEZZNS1_27merge_sort_block_merge_implIS3_PiPS5_jNS1_19radix_merge_compareILb1ELb1EiNS0_19identity_decomposerEEEEE10hipError_tT0_T1_T2_jT3_P12ihipStream_tbPNSt15iterator_traitsISE_E10value_typeEPNSK_ISF_E10value_typeEPSG_NS1_7vsmem_tEENKUlT_SE_SF_SG_E_clIS8_S8_S9_S9_EESD_ST_SE_SF_SG_EUlST_E_NS1_11comp_targetILNS1_3genE5ELNS1_11target_archE942ELNS1_3gpuE9ELNS1_3repE0EEENS1_48merge_mergepath_partition_config_static_selectorELNS0_4arch9wavefront6targetE0EEEvSF_.num_vgpr, 0
	.set _ZN7rocprim17ROCPRIM_400000_NS6detail17trampoline_kernelINS0_14default_configENS1_38merge_sort_block_merge_config_selectorIiNS0_10empty_typeEEEZZNS1_27merge_sort_block_merge_implIS3_PiPS5_jNS1_19radix_merge_compareILb1ELb1EiNS0_19identity_decomposerEEEEE10hipError_tT0_T1_T2_jT3_P12ihipStream_tbPNSt15iterator_traitsISE_E10value_typeEPNSK_ISF_E10value_typeEPSG_NS1_7vsmem_tEENKUlT_SE_SF_SG_E_clIS8_S8_S9_S9_EESD_ST_SE_SF_SG_EUlST_E_NS1_11comp_targetILNS1_3genE5ELNS1_11target_archE942ELNS1_3gpuE9ELNS1_3repE0EEENS1_48merge_mergepath_partition_config_static_selectorELNS0_4arch9wavefront6targetE0EEEvSF_.num_agpr, 0
	.set _ZN7rocprim17ROCPRIM_400000_NS6detail17trampoline_kernelINS0_14default_configENS1_38merge_sort_block_merge_config_selectorIiNS0_10empty_typeEEEZZNS1_27merge_sort_block_merge_implIS3_PiPS5_jNS1_19radix_merge_compareILb1ELb1EiNS0_19identity_decomposerEEEEE10hipError_tT0_T1_T2_jT3_P12ihipStream_tbPNSt15iterator_traitsISE_E10value_typeEPNSK_ISF_E10value_typeEPSG_NS1_7vsmem_tEENKUlT_SE_SF_SG_E_clIS8_S8_S9_S9_EESD_ST_SE_SF_SG_EUlST_E_NS1_11comp_targetILNS1_3genE5ELNS1_11target_archE942ELNS1_3gpuE9ELNS1_3repE0EEENS1_48merge_mergepath_partition_config_static_selectorELNS0_4arch9wavefront6targetE0EEEvSF_.numbered_sgpr, 0
	.set _ZN7rocprim17ROCPRIM_400000_NS6detail17trampoline_kernelINS0_14default_configENS1_38merge_sort_block_merge_config_selectorIiNS0_10empty_typeEEEZZNS1_27merge_sort_block_merge_implIS3_PiPS5_jNS1_19radix_merge_compareILb1ELb1EiNS0_19identity_decomposerEEEEE10hipError_tT0_T1_T2_jT3_P12ihipStream_tbPNSt15iterator_traitsISE_E10value_typeEPNSK_ISF_E10value_typeEPSG_NS1_7vsmem_tEENKUlT_SE_SF_SG_E_clIS8_S8_S9_S9_EESD_ST_SE_SF_SG_EUlST_E_NS1_11comp_targetILNS1_3genE5ELNS1_11target_archE942ELNS1_3gpuE9ELNS1_3repE0EEENS1_48merge_mergepath_partition_config_static_selectorELNS0_4arch9wavefront6targetE0EEEvSF_.num_named_barrier, 0
	.set _ZN7rocprim17ROCPRIM_400000_NS6detail17trampoline_kernelINS0_14default_configENS1_38merge_sort_block_merge_config_selectorIiNS0_10empty_typeEEEZZNS1_27merge_sort_block_merge_implIS3_PiPS5_jNS1_19radix_merge_compareILb1ELb1EiNS0_19identity_decomposerEEEEE10hipError_tT0_T1_T2_jT3_P12ihipStream_tbPNSt15iterator_traitsISE_E10value_typeEPNSK_ISF_E10value_typeEPSG_NS1_7vsmem_tEENKUlT_SE_SF_SG_E_clIS8_S8_S9_S9_EESD_ST_SE_SF_SG_EUlST_E_NS1_11comp_targetILNS1_3genE5ELNS1_11target_archE942ELNS1_3gpuE9ELNS1_3repE0EEENS1_48merge_mergepath_partition_config_static_selectorELNS0_4arch9wavefront6targetE0EEEvSF_.private_seg_size, 0
	.set _ZN7rocprim17ROCPRIM_400000_NS6detail17trampoline_kernelINS0_14default_configENS1_38merge_sort_block_merge_config_selectorIiNS0_10empty_typeEEEZZNS1_27merge_sort_block_merge_implIS3_PiPS5_jNS1_19radix_merge_compareILb1ELb1EiNS0_19identity_decomposerEEEEE10hipError_tT0_T1_T2_jT3_P12ihipStream_tbPNSt15iterator_traitsISE_E10value_typeEPNSK_ISF_E10value_typeEPSG_NS1_7vsmem_tEENKUlT_SE_SF_SG_E_clIS8_S8_S9_S9_EESD_ST_SE_SF_SG_EUlST_E_NS1_11comp_targetILNS1_3genE5ELNS1_11target_archE942ELNS1_3gpuE9ELNS1_3repE0EEENS1_48merge_mergepath_partition_config_static_selectorELNS0_4arch9wavefront6targetE0EEEvSF_.uses_vcc, 0
	.set _ZN7rocprim17ROCPRIM_400000_NS6detail17trampoline_kernelINS0_14default_configENS1_38merge_sort_block_merge_config_selectorIiNS0_10empty_typeEEEZZNS1_27merge_sort_block_merge_implIS3_PiPS5_jNS1_19radix_merge_compareILb1ELb1EiNS0_19identity_decomposerEEEEE10hipError_tT0_T1_T2_jT3_P12ihipStream_tbPNSt15iterator_traitsISE_E10value_typeEPNSK_ISF_E10value_typeEPSG_NS1_7vsmem_tEENKUlT_SE_SF_SG_E_clIS8_S8_S9_S9_EESD_ST_SE_SF_SG_EUlST_E_NS1_11comp_targetILNS1_3genE5ELNS1_11target_archE942ELNS1_3gpuE9ELNS1_3repE0EEENS1_48merge_mergepath_partition_config_static_selectorELNS0_4arch9wavefront6targetE0EEEvSF_.uses_flat_scratch, 0
	.set _ZN7rocprim17ROCPRIM_400000_NS6detail17trampoline_kernelINS0_14default_configENS1_38merge_sort_block_merge_config_selectorIiNS0_10empty_typeEEEZZNS1_27merge_sort_block_merge_implIS3_PiPS5_jNS1_19radix_merge_compareILb1ELb1EiNS0_19identity_decomposerEEEEE10hipError_tT0_T1_T2_jT3_P12ihipStream_tbPNSt15iterator_traitsISE_E10value_typeEPNSK_ISF_E10value_typeEPSG_NS1_7vsmem_tEENKUlT_SE_SF_SG_E_clIS8_S8_S9_S9_EESD_ST_SE_SF_SG_EUlST_E_NS1_11comp_targetILNS1_3genE5ELNS1_11target_archE942ELNS1_3gpuE9ELNS1_3repE0EEENS1_48merge_mergepath_partition_config_static_selectorELNS0_4arch9wavefront6targetE0EEEvSF_.has_dyn_sized_stack, 0
	.set _ZN7rocprim17ROCPRIM_400000_NS6detail17trampoline_kernelINS0_14default_configENS1_38merge_sort_block_merge_config_selectorIiNS0_10empty_typeEEEZZNS1_27merge_sort_block_merge_implIS3_PiPS5_jNS1_19radix_merge_compareILb1ELb1EiNS0_19identity_decomposerEEEEE10hipError_tT0_T1_T2_jT3_P12ihipStream_tbPNSt15iterator_traitsISE_E10value_typeEPNSK_ISF_E10value_typeEPSG_NS1_7vsmem_tEENKUlT_SE_SF_SG_E_clIS8_S8_S9_S9_EESD_ST_SE_SF_SG_EUlST_E_NS1_11comp_targetILNS1_3genE5ELNS1_11target_archE942ELNS1_3gpuE9ELNS1_3repE0EEENS1_48merge_mergepath_partition_config_static_selectorELNS0_4arch9wavefront6targetE0EEEvSF_.has_recursion, 0
	.set _ZN7rocprim17ROCPRIM_400000_NS6detail17trampoline_kernelINS0_14default_configENS1_38merge_sort_block_merge_config_selectorIiNS0_10empty_typeEEEZZNS1_27merge_sort_block_merge_implIS3_PiPS5_jNS1_19radix_merge_compareILb1ELb1EiNS0_19identity_decomposerEEEEE10hipError_tT0_T1_T2_jT3_P12ihipStream_tbPNSt15iterator_traitsISE_E10value_typeEPNSK_ISF_E10value_typeEPSG_NS1_7vsmem_tEENKUlT_SE_SF_SG_E_clIS8_S8_S9_S9_EESD_ST_SE_SF_SG_EUlST_E_NS1_11comp_targetILNS1_3genE5ELNS1_11target_archE942ELNS1_3gpuE9ELNS1_3repE0EEENS1_48merge_mergepath_partition_config_static_selectorELNS0_4arch9wavefront6targetE0EEEvSF_.has_indirect_call, 0
	.section	.AMDGPU.csdata,"",@progbits
; Kernel info:
; codeLenInByte = 0
; TotalNumSgprs: 0
; NumVgprs: 0
; ScratchSize: 0
; MemoryBound: 0
; FloatMode: 240
; IeeeMode: 1
; LDSByteSize: 0 bytes/workgroup (compile time only)
; SGPRBlocks: 0
; VGPRBlocks: 0
; NumSGPRsForWavesPerEU: 1
; NumVGPRsForWavesPerEU: 1
; NamedBarCnt: 0
; Occupancy: 16
; WaveLimiterHint : 0
; COMPUTE_PGM_RSRC2:SCRATCH_EN: 0
; COMPUTE_PGM_RSRC2:USER_SGPR: 2
; COMPUTE_PGM_RSRC2:TRAP_HANDLER: 0
; COMPUTE_PGM_RSRC2:TGID_X_EN: 1
; COMPUTE_PGM_RSRC2:TGID_Y_EN: 0
; COMPUTE_PGM_RSRC2:TGID_Z_EN: 0
; COMPUTE_PGM_RSRC2:TIDIG_COMP_CNT: 0
	.section	.text._ZN7rocprim17ROCPRIM_400000_NS6detail17trampoline_kernelINS0_14default_configENS1_38merge_sort_block_merge_config_selectorIiNS0_10empty_typeEEEZZNS1_27merge_sort_block_merge_implIS3_PiPS5_jNS1_19radix_merge_compareILb1ELb1EiNS0_19identity_decomposerEEEEE10hipError_tT0_T1_T2_jT3_P12ihipStream_tbPNSt15iterator_traitsISE_E10value_typeEPNSK_ISF_E10value_typeEPSG_NS1_7vsmem_tEENKUlT_SE_SF_SG_E_clIS8_S8_S9_S9_EESD_ST_SE_SF_SG_EUlST_E_NS1_11comp_targetILNS1_3genE4ELNS1_11target_archE910ELNS1_3gpuE8ELNS1_3repE0EEENS1_48merge_mergepath_partition_config_static_selectorELNS0_4arch9wavefront6targetE0EEEvSF_,"axG",@progbits,_ZN7rocprim17ROCPRIM_400000_NS6detail17trampoline_kernelINS0_14default_configENS1_38merge_sort_block_merge_config_selectorIiNS0_10empty_typeEEEZZNS1_27merge_sort_block_merge_implIS3_PiPS5_jNS1_19radix_merge_compareILb1ELb1EiNS0_19identity_decomposerEEEEE10hipError_tT0_T1_T2_jT3_P12ihipStream_tbPNSt15iterator_traitsISE_E10value_typeEPNSK_ISF_E10value_typeEPSG_NS1_7vsmem_tEENKUlT_SE_SF_SG_E_clIS8_S8_S9_S9_EESD_ST_SE_SF_SG_EUlST_E_NS1_11comp_targetILNS1_3genE4ELNS1_11target_archE910ELNS1_3gpuE8ELNS1_3repE0EEENS1_48merge_mergepath_partition_config_static_selectorELNS0_4arch9wavefront6targetE0EEEvSF_,comdat
	.protected	_ZN7rocprim17ROCPRIM_400000_NS6detail17trampoline_kernelINS0_14default_configENS1_38merge_sort_block_merge_config_selectorIiNS0_10empty_typeEEEZZNS1_27merge_sort_block_merge_implIS3_PiPS5_jNS1_19radix_merge_compareILb1ELb1EiNS0_19identity_decomposerEEEEE10hipError_tT0_T1_T2_jT3_P12ihipStream_tbPNSt15iterator_traitsISE_E10value_typeEPNSK_ISF_E10value_typeEPSG_NS1_7vsmem_tEENKUlT_SE_SF_SG_E_clIS8_S8_S9_S9_EESD_ST_SE_SF_SG_EUlST_E_NS1_11comp_targetILNS1_3genE4ELNS1_11target_archE910ELNS1_3gpuE8ELNS1_3repE0EEENS1_48merge_mergepath_partition_config_static_selectorELNS0_4arch9wavefront6targetE0EEEvSF_ ; -- Begin function _ZN7rocprim17ROCPRIM_400000_NS6detail17trampoline_kernelINS0_14default_configENS1_38merge_sort_block_merge_config_selectorIiNS0_10empty_typeEEEZZNS1_27merge_sort_block_merge_implIS3_PiPS5_jNS1_19radix_merge_compareILb1ELb1EiNS0_19identity_decomposerEEEEE10hipError_tT0_T1_T2_jT3_P12ihipStream_tbPNSt15iterator_traitsISE_E10value_typeEPNSK_ISF_E10value_typeEPSG_NS1_7vsmem_tEENKUlT_SE_SF_SG_E_clIS8_S8_S9_S9_EESD_ST_SE_SF_SG_EUlST_E_NS1_11comp_targetILNS1_3genE4ELNS1_11target_archE910ELNS1_3gpuE8ELNS1_3repE0EEENS1_48merge_mergepath_partition_config_static_selectorELNS0_4arch9wavefront6targetE0EEEvSF_
	.globl	_ZN7rocprim17ROCPRIM_400000_NS6detail17trampoline_kernelINS0_14default_configENS1_38merge_sort_block_merge_config_selectorIiNS0_10empty_typeEEEZZNS1_27merge_sort_block_merge_implIS3_PiPS5_jNS1_19radix_merge_compareILb1ELb1EiNS0_19identity_decomposerEEEEE10hipError_tT0_T1_T2_jT3_P12ihipStream_tbPNSt15iterator_traitsISE_E10value_typeEPNSK_ISF_E10value_typeEPSG_NS1_7vsmem_tEENKUlT_SE_SF_SG_E_clIS8_S8_S9_S9_EESD_ST_SE_SF_SG_EUlST_E_NS1_11comp_targetILNS1_3genE4ELNS1_11target_archE910ELNS1_3gpuE8ELNS1_3repE0EEENS1_48merge_mergepath_partition_config_static_selectorELNS0_4arch9wavefront6targetE0EEEvSF_
	.p2align	8
	.type	_ZN7rocprim17ROCPRIM_400000_NS6detail17trampoline_kernelINS0_14default_configENS1_38merge_sort_block_merge_config_selectorIiNS0_10empty_typeEEEZZNS1_27merge_sort_block_merge_implIS3_PiPS5_jNS1_19radix_merge_compareILb1ELb1EiNS0_19identity_decomposerEEEEE10hipError_tT0_T1_T2_jT3_P12ihipStream_tbPNSt15iterator_traitsISE_E10value_typeEPNSK_ISF_E10value_typeEPSG_NS1_7vsmem_tEENKUlT_SE_SF_SG_E_clIS8_S8_S9_S9_EESD_ST_SE_SF_SG_EUlST_E_NS1_11comp_targetILNS1_3genE4ELNS1_11target_archE910ELNS1_3gpuE8ELNS1_3repE0EEENS1_48merge_mergepath_partition_config_static_selectorELNS0_4arch9wavefront6targetE0EEEvSF_,@function
_ZN7rocprim17ROCPRIM_400000_NS6detail17trampoline_kernelINS0_14default_configENS1_38merge_sort_block_merge_config_selectorIiNS0_10empty_typeEEEZZNS1_27merge_sort_block_merge_implIS3_PiPS5_jNS1_19radix_merge_compareILb1ELb1EiNS0_19identity_decomposerEEEEE10hipError_tT0_T1_T2_jT3_P12ihipStream_tbPNSt15iterator_traitsISE_E10value_typeEPNSK_ISF_E10value_typeEPSG_NS1_7vsmem_tEENKUlT_SE_SF_SG_E_clIS8_S8_S9_S9_EESD_ST_SE_SF_SG_EUlST_E_NS1_11comp_targetILNS1_3genE4ELNS1_11target_archE910ELNS1_3gpuE8ELNS1_3repE0EEENS1_48merge_mergepath_partition_config_static_selectorELNS0_4arch9wavefront6targetE0EEEvSF_: ; @_ZN7rocprim17ROCPRIM_400000_NS6detail17trampoline_kernelINS0_14default_configENS1_38merge_sort_block_merge_config_selectorIiNS0_10empty_typeEEEZZNS1_27merge_sort_block_merge_implIS3_PiPS5_jNS1_19radix_merge_compareILb1ELb1EiNS0_19identity_decomposerEEEEE10hipError_tT0_T1_T2_jT3_P12ihipStream_tbPNSt15iterator_traitsISE_E10value_typeEPNSK_ISF_E10value_typeEPSG_NS1_7vsmem_tEENKUlT_SE_SF_SG_E_clIS8_S8_S9_S9_EESD_ST_SE_SF_SG_EUlST_E_NS1_11comp_targetILNS1_3genE4ELNS1_11target_archE910ELNS1_3gpuE8ELNS1_3repE0EEENS1_48merge_mergepath_partition_config_static_selectorELNS0_4arch9wavefront6targetE0EEEvSF_
; %bb.0:
	.section	.rodata,"a",@progbits
	.p2align	6, 0x0
	.amdhsa_kernel _ZN7rocprim17ROCPRIM_400000_NS6detail17trampoline_kernelINS0_14default_configENS1_38merge_sort_block_merge_config_selectorIiNS0_10empty_typeEEEZZNS1_27merge_sort_block_merge_implIS3_PiPS5_jNS1_19radix_merge_compareILb1ELb1EiNS0_19identity_decomposerEEEEE10hipError_tT0_T1_T2_jT3_P12ihipStream_tbPNSt15iterator_traitsISE_E10value_typeEPNSK_ISF_E10value_typeEPSG_NS1_7vsmem_tEENKUlT_SE_SF_SG_E_clIS8_S8_S9_S9_EESD_ST_SE_SF_SG_EUlST_E_NS1_11comp_targetILNS1_3genE4ELNS1_11target_archE910ELNS1_3gpuE8ELNS1_3repE0EEENS1_48merge_mergepath_partition_config_static_selectorELNS0_4arch9wavefront6targetE0EEEvSF_
		.amdhsa_group_segment_fixed_size 0
		.amdhsa_private_segment_fixed_size 0
		.amdhsa_kernarg_size 40
		.amdhsa_user_sgpr_count 2
		.amdhsa_user_sgpr_dispatch_ptr 0
		.amdhsa_user_sgpr_queue_ptr 0
		.amdhsa_user_sgpr_kernarg_segment_ptr 1
		.amdhsa_user_sgpr_dispatch_id 0
		.amdhsa_user_sgpr_kernarg_preload_length 0
		.amdhsa_user_sgpr_kernarg_preload_offset 0
		.amdhsa_user_sgpr_private_segment_size 0
		.amdhsa_wavefront_size32 1
		.amdhsa_uses_dynamic_stack 0
		.amdhsa_enable_private_segment 0
		.amdhsa_system_sgpr_workgroup_id_x 1
		.amdhsa_system_sgpr_workgroup_id_y 0
		.amdhsa_system_sgpr_workgroup_id_z 0
		.amdhsa_system_sgpr_workgroup_info 0
		.amdhsa_system_vgpr_workitem_id 0
		.amdhsa_next_free_vgpr 1
		.amdhsa_next_free_sgpr 1
		.amdhsa_named_barrier_count 0
		.amdhsa_reserve_vcc 0
		.amdhsa_float_round_mode_32 0
		.amdhsa_float_round_mode_16_64 0
		.amdhsa_float_denorm_mode_32 3
		.amdhsa_float_denorm_mode_16_64 3
		.amdhsa_fp16_overflow 0
		.amdhsa_memory_ordered 1
		.amdhsa_forward_progress 1
		.amdhsa_inst_pref_size 0
		.amdhsa_round_robin_scheduling 0
		.amdhsa_exception_fp_ieee_invalid_op 0
		.amdhsa_exception_fp_denorm_src 0
		.amdhsa_exception_fp_ieee_div_zero 0
		.amdhsa_exception_fp_ieee_overflow 0
		.amdhsa_exception_fp_ieee_underflow 0
		.amdhsa_exception_fp_ieee_inexact 0
		.amdhsa_exception_int_div_zero 0
	.end_amdhsa_kernel
	.section	.text._ZN7rocprim17ROCPRIM_400000_NS6detail17trampoline_kernelINS0_14default_configENS1_38merge_sort_block_merge_config_selectorIiNS0_10empty_typeEEEZZNS1_27merge_sort_block_merge_implIS3_PiPS5_jNS1_19radix_merge_compareILb1ELb1EiNS0_19identity_decomposerEEEEE10hipError_tT0_T1_T2_jT3_P12ihipStream_tbPNSt15iterator_traitsISE_E10value_typeEPNSK_ISF_E10value_typeEPSG_NS1_7vsmem_tEENKUlT_SE_SF_SG_E_clIS8_S8_S9_S9_EESD_ST_SE_SF_SG_EUlST_E_NS1_11comp_targetILNS1_3genE4ELNS1_11target_archE910ELNS1_3gpuE8ELNS1_3repE0EEENS1_48merge_mergepath_partition_config_static_selectorELNS0_4arch9wavefront6targetE0EEEvSF_,"axG",@progbits,_ZN7rocprim17ROCPRIM_400000_NS6detail17trampoline_kernelINS0_14default_configENS1_38merge_sort_block_merge_config_selectorIiNS0_10empty_typeEEEZZNS1_27merge_sort_block_merge_implIS3_PiPS5_jNS1_19radix_merge_compareILb1ELb1EiNS0_19identity_decomposerEEEEE10hipError_tT0_T1_T2_jT3_P12ihipStream_tbPNSt15iterator_traitsISE_E10value_typeEPNSK_ISF_E10value_typeEPSG_NS1_7vsmem_tEENKUlT_SE_SF_SG_E_clIS8_S8_S9_S9_EESD_ST_SE_SF_SG_EUlST_E_NS1_11comp_targetILNS1_3genE4ELNS1_11target_archE910ELNS1_3gpuE8ELNS1_3repE0EEENS1_48merge_mergepath_partition_config_static_selectorELNS0_4arch9wavefront6targetE0EEEvSF_,comdat
.Lfunc_end802:
	.size	_ZN7rocprim17ROCPRIM_400000_NS6detail17trampoline_kernelINS0_14default_configENS1_38merge_sort_block_merge_config_selectorIiNS0_10empty_typeEEEZZNS1_27merge_sort_block_merge_implIS3_PiPS5_jNS1_19radix_merge_compareILb1ELb1EiNS0_19identity_decomposerEEEEE10hipError_tT0_T1_T2_jT3_P12ihipStream_tbPNSt15iterator_traitsISE_E10value_typeEPNSK_ISF_E10value_typeEPSG_NS1_7vsmem_tEENKUlT_SE_SF_SG_E_clIS8_S8_S9_S9_EESD_ST_SE_SF_SG_EUlST_E_NS1_11comp_targetILNS1_3genE4ELNS1_11target_archE910ELNS1_3gpuE8ELNS1_3repE0EEENS1_48merge_mergepath_partition_config_static_selectorELNS0_4arch9wavefront6targetE0EEEvSF_, .Lfunc_end802-_ZN7rocprim17ROCPRIM_400000_NS6detail17trampoline_kernelINS0_14default_configENS1_38merge_sort_block_merge_config_selectorIiNS0_10empty_typeEEEZZNS1_27merge_sort_block_merge_implIS3_PiPS5_jNS1_19radix_merge_compareILb1ELb1EiNS0_19identity_decomposerEEEEE10hipError_tT0_T1_T2_jT3_P12ihipStream_tbPNSt15iterator_traitsISE_E10value_typeEPNSK_ISF_E10value_typeEPSG_NS1_7vsmem_tEENKUlT_SE_SF_SG_E_clIS8_S8_S9_S9_EESD_ST_SE_SF_SG_EUlST_E_NS1_11comp_targetILNS1_3genE4ELNS1_11target_archE910ELNS1_3gpuE8ELNS1_3repE0EEENS1_48merge_mergepath_partition_config_static_selectorELNS0_4arch9wavefront6targetE0EEEvSF_
                                        ; -- End function
	.set _ZN7rocprim17ROCPRIM_400000_NS6detail17trampoline_kernelINS0_14default_configENS1_38merge_sort_block_merge_config_selectorIiNS0_10empty_typeEEEZZNS1_27merge_sort_block_merge_implIS3_PiPS5_jNS1_19radix_merge_compareILb1ELb1EiNS0_19identity_decomposerEEEEE10hipError_tT0_T1_T2_jT3_P12ihipStream_tbPNSt15iterator_traitsISE_E10value_typeEPNSK_ISF_E10value_typeEPSG_NS1_7vsmem_tEENKUlT_SE_SF_SG_E_clIS8_S8_S9_S9_EESD_ST_SE_SF_SG_EUlST_E_NS1_11comp_targetILNS1_3genE4ELNS1_11target_archE910ELNS1_3gpuE8ELNS1_3repE0EEENS1_48merge_mergepath_partition_config_static_selectorELNS0_4arch9wavefront6targetE0EEEvSF_.num_vgpr, 0
	.set _ZN7rocprim17ROCPRIM_400000_NS6detail17trampoline_kernelINS0_14default_configENS1_38merge_sort_block_merge_config_selectorIiNS0_10empty_typeEEEZZNS1_27merge_sort_block_merge_implIS3_PiPS5_jNS1_19radix_merge_compareILb1ELb1EiNS0_19identity_decomposerEEEEE10hipError_tT0_T1_T2_jT3_P12ihipStream_tbPNSt15iterator_traitsISE_E10value_typeEPNSK_ISF_E10value_typeEPSG_NS1_7vsmem_tEENKUlT_SE_SF_SG_E_clIS8_S8_S9_S9_EESD_ST_SE_SF_SG_EUlST_E_NS1_11comp_targetILNS1_3genE4ELNS1_11target_archE910ELNS1_3gpuE8ELNS1_3repE0EEENS1_48merge_mergepath_partition_config_static_selectorELNS0_4arch9wavefront6targetE0EEEvSF_.num_agpr, 0
	.set _ZN7rocprim17ROCPRIM_400000_NS6detail17trampoline_kernelINS0_14default_configENS1_38merge_sort_block_merge_config_selectorIiNS0_10empty_typeEEEZZNS1_27merge_sort_block_merge_implIS3_PiPS5_jNS1_19radix_merge_compareILb1ELb1EiNS0_19identity_decomposerEEEEE10hipError_tT0_T1_T2_jT3_P12ihipStream_tbPNSt15iterator_traitsISE_E10value_typeEPNSK_ISF_E10value_typeEPSG_NS1_7vsmem_tEENKUlT_SE_SF_SG_E_clIS8_S8_S9_S9_EESD_ST_SE_SF_SG_EUlST_E_NS1_11comp_targetILNS1_3genE4ELNS1_11target_archE910ELNS1_3gpuE8ELNS1_3repE0EEENS1_48merge_mergepath_partition_config_static_selectorELNS0_4arch9wavefront6targetE0EEEvSF_.numbered_sgpr, 0
	.set _ZN7rocprim17ROCPRIM_400000_NS6detail17trampoline_kernelINS0_14default_configENS1_38merge_sort_block_merge_config_selectorIiNS0_10empty_typeEEEZZNS1_27merge_sort_block_merge_implIS3_PiPS5_jNS1_19radix_merge_compareILb1ELb1EiNS0_19identity_decomposerEEEEE10hipError_tT0_T1_T2_jT3_P12ihipStream_tbPNSt15iterator_traitsISE_E10value_typeEPNSK_ISF_E10value_typeEPSG_NS1_7vsmem_tEENKUlT_SE_SF_SG_E_clIS8_S8_S9_S9_EESD_ST_SE_SF_SG_EUlST_E_NS1_11comp_targetILNS1_3genE4ELNS1_11target_archE910ELNS1_3gpuE8ELNS1_3repE0EEENS1_48merge_mergepath_partition_config_static_selectorELNS0_4arch9wavefront6targetE0EEEvSF_.num_named_barrier, 0
	.set _ZN7rocprim17ROCPRIM_400000_NS6detail17trampoline_kernelINS0_14default_configENS1_38merge_sort_block_merge_config_selectorIiNS0_10empty_typeEEEZZNS1_27merge_sort_block_merge_implIS3_PiPS5_jNS1_19radix_merge_compareILb1ELb1EiNS0_19identity_decomposerEEEEE10hipError_tT0_T1_T2_jT3_P12ihipStream_tbPNSt15iterator_traitsISE_E10value_typeEPNSK_ISF_E10value_typeEPSG_NS1_7vsmem_tEENKUlT_SE_SF_SG_E_clIS8_S8_S9_S9_EESD_ST_SE_SF_SG_EUlST_E_NS1_11comp_targetILNS1_3genE4ELNS1_11target_archE910ELNS1_3gpuE8ELNS1_3repE0EEENS1_48merge_mergepath_partition_config_static_selectorELNS0_4arch9wavefront6targetE0EEEvSF_.private_seg_size, 0
	.set _ZN7rocprim17ROCPRIM_400000_NS6detail17trampoline_kernelINS0_14default_configENS1_38merge_sort_block_merge_config_selectorIiNS0_10empty_typeEEEZZNS1_27merge_sort_block_merge_implIS3_PiPS5_jNS1_19radix_merge_compareILb1ELb1EiNS0_19identity_decomposerEEEEE10hipError_tT0_T1_T2_jT3_P12ihipStream_tbPNSt15iterator_traitsISE_E10value_typeEPNSK_ISF_E10value_typeEPSG_NS1_7vsmem_tEENKUlT_SE_SF_SG_E_clIS8_S8_S9_S9_EESD_ST_SE_SF_SG_EUlST_E_NS1_11comp_targetILNS1_3genE4ELNS1_11target_archE910ELNS1_3gpuE8ELNS1_3repE0EEENS1_48merge_mergepath_partition_config_static_selectorELNS0_4arch9wavefront6targetE0EEEvSF_.uses_vcc, 0
	.set _ZN7rocprim17ROCPRIM_400000_NS6detail17trampoline_kernelINS0_14default_configENS1_38merge_sort_block_merge_config_selectorIiNS0_10empty_typeEEEZZNS1_27merge_sort_block_merge_implIS3_PiPS5_jNS1_19radix_merge_compareILb1ELb1EiNS0_19identity_decomposerEEEEE10hipError_tT0_T1_T2_jT3_P12ihipStream_tbPNSt15iterator_traitsISE_E10value_typeEPNSK_ISF_E10value_typeEPSG_NS1_7vsmem_tEENKUlT_SE_SF_SG_E_clIS8_S8_S9_S9_EESD_ST_SE_SF_SG_EUlST_E_NS1_11comp_targetILNS1_3genE4ELNS1_11target_archE910ELNS1_3gpuE8ELNS1_3repE0EEENS1_48merge_mergepath_partition_config_static_selectorELNS0_4arch9wavefront6targetE0EEEvSF_.uses_flat_scratch, 0
	.set _ZN7rocprim17ROCPRIM_400000_NS6detail17trampoline_kernelINS0_14default_configENS1_38merge_sort_block_merge_config_selectorIiNS0_10empty_typeEEEZZNS1_27merge_sort_block_merge_implIS3_PiPS5_jNS1_19radix_merge_compareILb1ELb1EiNS0_19identity_decomposerEEEEE10hipError_tT0_T1_T2_jT3_P12ihipStream_tbPNSt15iterator_traitsISE_E10value_typeEPNSK_ISF_E10value_typeEPSG_NS1_7vsmem_tEENKUlT_SE_SF_SG_E_clIS8_S8_S9_S9_EESD_ST_SE_SF_SG_EUlST_E_NS1_11comp_targetILNS1_3genE4ELNS1_11target_archE910ELNS1_3gpuE8ELNS1_3repE0EEENS1_48merge_mergepath_partition_config_static_selectorELNS0_4arch9wavefront6targetE0EEEvSF_.has_dyn_sized_stack, 0
	.set _ZN7rocprim17ROCPRIM_400000_NS6detail17trampoline_kernelINS0_14default_configENS1_38merge_sort_block_merge_config_selectorIiNS0_10empty_typeEEEZZNS1_27merge_sort_block_merge_implIS3_PiPS5_jNS1_19radix_merge_compareILb1ELb1EiNS0_19identity_decomposerEEEEE10hipError_tT0_T1_T2_jT3_P12ihipStream_tbPNSt15iterator_traitsISE_E10value_typeEPNSK_ISF_E10value_typeEPSG_NS1_7vsmem_tEENKUlT_SE_SF_SG_E_clIS8_S8_S9_S9_EESD_ST_SE_SF_SG_EUlST_E_NS1_11comp_targetILNS1_3genE4ELNS1_11target_archE910ELNS1_3gpuE8ELNS1_3repE0EEENS1_48merge_mergepath_partition_config_static_selectorELNS0_4arch9wavefront6targetE0EEEvSF_.has_recursion, 0
	.set _ZN7rocprim17ROCPRIM_400000_NS6detail17trampoline_kernelINS0_14default_configENS1_38merge_sort_block_merge_config_selectorIiNS0_10empty_typeEEEZZNS1_27merge_sort_block_merge_implIS3_PiPS5_jNS1_19radix_merge_compareILb1ELb1EiNS0_19identity_decomposerEEEEE10hipError_tT0_T1_T2_jT3_P12ihipStream_tbPNSt15iterator_traitsISE_E10value_typeEPNSK_ISF_E10value_typeEPSG_NS1_7vsmem_tEENKUlT_SE_SF_SG_E_clIS8_S8_S9_S9_EESD_ST_SE_SF_SG_EUlST_E_NS1_11comp_targetILNS1_3genE4ELNS1_11target_archE910ELNS1_3gpuE8ELNS1_3repE0EEENS1_48merge_mergepath_partition_config_static_selectorELNS0_4arch9wavefront6targetE0EEEvSF_.has_indirect_call, 0
	.section	.AMDGPU.csdata,"",@progbits
; Kernel info:
; codeLenInByte = 0
; TotalNumSgprs: 0
; NumVgprs: 0
; ScratchSize: 0
; MemoryBound: 0
; FloatMode: 240
; IeeeMode: 1
; LDSByteSize: 0 bytes/workgroup (compile time only)
; SGPRBlocks: 0
; VGPRBlocks: 0
; NumSGPRsForWavesPerEU: 1
; NumVGPRsForWavesPerEU: 1
; NamedBarCnt: 0
; Occupancy: 16
; WaveLimiterHint : 0
; COMPUTE_PGM_RSRC2:SCRATCH_EN: 0
; COMPUTE_PGM_RSRC2:USER_SGPR: 2
; COMPUTE_PGM_RSRC2:TRAP_HANDLER: 0
; COMPUTE_PGM_RSRC2:TGID_X_EN: 1
; COMPUTE_PGM_RSRC2:TGID_Y_EN: 0
; COMPUTE_PGM_RSRC2:TGID_Z_EN: 0
; COMPUTE_PGM_RSRC2:TIDIG_COMP_CNT: 0
	.section	.text._ZN7rocprim17ROCPRIM_400000_NS6detail17trampoline_kernelINS0_14default_configENS1_38merge_sort_block_merge_config_selectorIiNS0_10empty_typeEEEZZNS1_27merge_sort_block_merge_implIS3_PiPS5_jNS1_19radix_merge_compareILb1ELb1EiNS0_19identity_decomposerEEEEE10hipError_tT0_T1_T2_jT3_P12ihipStream_tbPNSt15iterator_traitsISE_E10value_typeEPNSK_ISF_E10value_typeEPSG_NS1_7vsmem_tEENKUlT_SE_SF_SG_E_clIS8_S8_S9_S9_EESD_ST_SE_SF_SG_EUlST_E_NS1_11comp_targetILNS1_3genE3ELNS1_11target_archE908ELNS1_3gpuE7ELNS1_3repE0EEENS1_48merge_mergepath_partition_config_static_selectorELNS0_4arch9wavefront6targetE0EEEvSF_,"axG",@progbits,_ZN7rocprim17ROCPRIM_400000_NS6detail17trampoline_kernelINS0_14default_configENS1_38merge_sort_block_merge_config_selectorIiNS0_10empty_typeEEEZZNS1_27merge_sort_block_merge_implIS3_PiPS5_jNS1_19radix_merge_compareILb1ELb1EiNS0_19identity_decomposerEEEEE10hipError_tT0_T1_T2_jT3_P12ihipStream_tbPNSt15iterator_traitsISE_E10value_typeEPNSK_ISF_E10value_typeEPSG_NS1_7vsmem_tEENKUlT_SE_SF_SG_E_clIS8_S8_S9_S9_EESD_ST_SE_SF_SG_EUlST_E_NS1_11comp_targetILNS1_3genE3ELNS1_11target_archE908ELNS1_3gpuE7ELNS1_3repE0EEENS1_48merge_mergepath_partition_config_static_selectorELNS0_4arch9wavefront6targetE0EEEvSF_,comdat
	.protected	_ZN7rocprim17ROCPRIM_400000_NS6detail17trampoline_kernelINS0_14default_configENS1_38merge_sort_block_merge_config_selectorIiNS0_10empty_typeEEEZZNS1_27merge_sort_block_merge_implIS3_PiPS5_jNS1_19radix_merge_compareILb1ELb1EiNS0_19identity_decomposerEEEEE10hipError_tT0_T1_T2_jT3_P12ihipStream_tbPNSt15iterator_traitsISE_E10value_typeEPNSK_ISF_E10value_typeEPSG_NS1_7vsmem_tEENKUlT_SE_SF_SG_E_clIS8_S8_S9_S9_EESD_ST_SE_SF_SG_EUlST_E_NS1_11comp_targetILNS1_3genE3ELNS1_11target_archE908ELNS1_3gpuE7ELNS1_3repE0EEENS1_48merge_mergepath_partition_config_static_selectorELNS0_4arch9wavefront6targetE0EEEvSF_ ; -- Begin function _ZN7rocprim17ROCPRIM_400000_NS6detail17trampoline_kernelINS0_14default_configENS1_38merge_sort_block_merge_config_selectorIiNS0_10empty_typeEEEZZNS1_27merge_sort_block_merge_implIS3_PiPS5_jNS1_19radix_merge_compareILb1ELb1EiNS0_19identity_decomposerEEEEE10hipError_tT0_T1_T2_jT3_P12ihipStream_tbPNSt15iterator_traitsISE_E10value_typeEPNSK_ISF_E10value_typeEPSG_NS1_7vsmem_tEENKUlT_SE_SF_SG_E_clIS8_S8_S9_S9_EESD_ST_SE_SF_SG_EUlST_E_NS1_11comp_targetILNS1_3genE3ELNS1_11target_archE908ELNS1_3gpuE7ELNS1_3repE0EEENS1_48merge_mergepath_partition_config_static_selectorELNS0_4arch9wavefront6targetE0EEEvSF_
	.globl	_ZN7rocprim17ROCPRIM_400000_NS6detail17trampoline_kernelINS0_14default_configENS1_38merge_sort_block_merge_config_selectorIiNS0_10empty_typeEEEZZNS1_27merge_sort_block_merge_implIS3_PiPS5_jNS1_19radix_merge_compareILb1ELb1EiNS0_19identity_decomposerEEEEE10hipError_tT0_T1_T2_jT3_P12ihipStream_tbPNSt15iterator_traitsISE_E10value_typeEPNSK_ISF_E10value_typeEPSG_NS1_7vsmem_tEENKUlT_SE_SF_SG_E_clIS8_S8_S9_S9_EESD_ST_SE_SF_SG_EUlST_E_NS1_11comp_targetILNS1_3genE3ELNS1_11target_archE908ELNS1_3gpuE7ELNS1_3repE0EEENS1_48merge_mergepath_partition_config_static_selectorELNS0_4arch9wavefront6targetE0EEEvSF_
	.p2align	8
	.type	_ZN7rocprim17ROCPRIM_400000_NS6detail17trampoline_kernelINS0_14default_configENS1_38merge_sort_block_merge_config_selectorIiNS0_10empty_typeEEEZZNS1_27merge_sort_block_merge_implIS3_PiPS5_jNS1_19radix_merge_compareILb1ELb1EiNS0_19identity_decomposerEEEEE10hipError_tT0_T1_T2_jT3_P12ihipStream_tbPNSt15iterator_traitsISE_E10value_typeEPNSK_ISF_E10value_typeEPSG_NS1_7vsmem_tEENKUlT_SE_SF_SG_E_clIS8_S8_S9_S9_EESD_ST_SE_SF_SG_EUlST_E_NS1_11comp_targetILNS1_3genE3ELNS1_11target_archE908ELNS1_3gpuE7ELNS1_3repE0EEENS1_48merge_mergepath_partition_config_static_selectorELNS0_4arch9wavefront6targetE0EEEvSF_,@function
_ZN7rocprim17ROCPRIM_400000_NS6detail17trampoline_kernelINS0_14default_configENS1_38merge_sort_block_merge_config_selectorIiNS0_10empty_typeEEEZZNS1_27merge_sort_block_merge_implIS3_PiPS5_jNS1_19radix_merge_compareILb1ELb1EiNS0_19identity_decomposerEEEEE10hipError_tT0_T1_T2_jT3_P12ihipStream_tbPNSt15iterator_traitsISE_E10value_typeEPNSK_ISF_E10value_typeEPSG_NS1_7vsmem_tEENKUlT_SE_SF_SG_E_clIS8_S8_S9_S9_EESD_ST_SE_SF_SG_EUlST_E_NS1_11comp_targetILNS1_3genE3ELNS1_11target_archE908ELNS1_3gpuE7ELNS1_3repE0EEENS1_48merge_mergepath_partition_config_static_selectorELNS0_4arch9wavefront6targetE0EEEvSF_: ; @_ZN7rocprim17ROCPRIM_400000_NS6detail17trampoline_kernelINS0_14default_configENS1_38merge_sort_block_merge_config_selectorIiNS0_10empty_typeEEEZZNS1_27merge_sort_block_merge_implIS3_PiPS5_jNS1_19radix_merge_compareILb1ELb1EiNS0_19identity_decomposerEEEEE10hipError_tT0_T1_T2_jT3_P12ihipStream_tbPNSt15iterator_traitsISE_E10value_typeEPNSK_ISF_E10value_typeEPSG_NS1_7vsmem_tEENKUlT_SE_SF_SG_E_clIS8_S8_S9_S9_EESD_ST_SE_SF_SG_EUlST_E_NS1_11comp_targetILNS1_3genE3ELNS1_11target_archE908ELNS1_3gpuE7ELNS1_3repE0EEENS1_48merge_mergepath_partition_config_static_selectorELNS0_4arch9wavefront6targetE0EEEvSF_
; %bb.0:
	.section	.rodata,"a",@progbits
	.p2align	6, 0x0
	.amdhsa_kernel _ZN7rocprim17ROCPRIM_400000_NS6detail17trampoline_kernelINS0_14default_configENS1_38merge_sort_block_merge_config_selectorIiNS0_10empty_typeEEEZZNS1_27merge_sort_block_merge_implIS3_PiPS5_jNS1_19radix_merge_compareILb1ELb1EiNS0_19identity_decomposerEEEEE10hipError_tT0_T1_T2_jT3_P12ihipStream_tbPNSt15iterator_traitsISE_E10value_typeEPNSK_ISF_E10value_typeEPSG_NS1_7vsmem_tEENKUlT_SE_SF_SG_E_clIS8_S8_S9_S9_EESD_ST_SE_SF_SG_EUlST_E_NS1_11comp_targetILNS1_3genE3ELNS1_11target_archE908ELNS1_3gpuE7ELNS1_3repE0EEENS1_48merge_mergepath_partition_config_static_selectorELNS0_4arch9wavefront6targetE0EEEvSF_
		.amdhsa_group_segment_fixed_size 0
		.amdhsa_private_segment_fixed_size 0
		.amdhsa_kernarg_size 40
		.amdhsa_user_sgpr_count 2
		.amdhsa_user_sgpr_dispatch_ptr 0
		.amdhsa_user_sgpr_queue_ptr 0
		.amdhsa_user_sgpr_kernarg_segment_ptr 1
		.amdhsa_user_sgpr_dispatch_id 0
		.amdhsa_user_sgpr_kernarg_preload_length 0
		.amdhsa_user_sgpr_kernarg_preload_offset 0
		.amdhsa_user_sgpr_private_segment_size 0
		.amdhsa_wavefront_size32 1
		.amdhsa_uses_dynamic_stack 0
		.amdhsa_enable_private_segment 0
		.amdhsa_system_sgpr_workgroup_id_x 1
		.amdhsa_system_sgpr_workgroup_id_y 0
		.amdhsa_system_sgpr_workgroup_id_z 0
		.amdhsa_system_sgpr_workgroup_info 0
		.amdhsa_system_vgpr_workitem_id 0
		.amdhsa_next_free_vgpr 1
		.amdhsa_next_free_sgpr 1
		.amdhsa_named_barrier_count 0
		.amdhsa_reserve_vcc 0
		.amdhsa_float_round_mode_32 0
		.amdhsa_float_round_mode_16_64 0
		.amdhsa_float_denorm_mode_32 3
		.amdhsa_float_denorm_mode_16_64 3
		.amdhsa_fp16_overflow 0
		.amdhsa_memory_ordered 1
		.amdhsa_forward_progress 1
		.amdhsa_inst_pref_size 0
		.amdhsa_round_robin_scheduling 0
		.amdhsa_exception_fp_ieee_invalid_op 0
		.amdhsa_exception_fp_denorm_src 0
		.amdhsa_exception_fp_ieee_div_zero 0
		.amdhsa_exception_fp_ieee_overflow 0
		.amdhsa_exception_fp_ieee_underflow 0
		.amdhsa_exception_fp_ieee_inexact 0
		.amdhsa_exception_int_div_zero 0
	.end_amdhsa_kernel
	.section	.text._ZN7rocprim17ROCPRIM_400000_NS6detail17trampoline_kernelINS0_14default_configENS1_38merge_sort_block_merge_config_selectorIiNS0_10empty_typeEEEZZNS1_27merge_sort_block_merge_implIS3_PiPS5_jNS1_19radix_merge_compareILb1ELb1EiNS0_19identity_decomposerEEEEE10hipError_tT0_T1_T2_jT3_P12ihipStream_tbPNSt15iterator_traitsISE_E10value_typeEPNSK_ISF_E10value_typeEPSG_NS1_7vsmem_tEENKUlT_SE_SF_SG_E_clIS8_S8_S9_S9_EESD_ST_SE_SF_SG_EUlST_E_NS1_11comp_targetILNS1_3genE3ELNS1_11target_archE908ELNS1_3gpuE7ELNS1_3repE0EEENS1_48merge_mergepath_partition_config_static_selectorELNS0_4arch9wavefront6targetE0EEEvSF_,"axG",@progbits,_ZN7rocprim17ROCPRIM_400000_NS6detail17trampoline_kernelINS0_14default_configENS1_38merge_sort_block_merge_config_selectorIiNS0_10empty_typeEEEZZNS1_27merge_sort_block_merge_implIS3_PiPS5_jNS1_19radix_merge_compareILb1ELb1EiNS0_19identity_decomposerEEEEE10hipError_tT0_T1_T2_jT3_P12ihipStream_tbPNSt15iterator_traitsISE_E10value_typeEPNSK_ISF_E10value_typeEPSG_NS1_7vsmem_tEENKUlT_SE_SF_SG_E_clIS8_S8_S9_S9_EESD_ST_SE_SF_SG_EUlST_E_NS1_11comp_targetILNS1_3genE3ELNS1_11target_archE908ELNS1_3gpuE7ELNS1_3repE0EEENS1_48merge_mergepath_partition_config_static_selectorELNS0_4arch9wavefront6targetE0EEEvSF_,comdat
.Lfunc_end803:
	.size	_ZN7rocprim17ROCPRIM_400000_NS6detail17trampoline_kernelINS0_14default_configENS1_38merge_sort_block_merge_config_selectorIiNS0_10empty_typeEEEZZNS1_27merge_sort_block_merge_implIS3_PiPS5_jNS1_19radix_merge_compareILb1ELb1EiNS0_19identity_decomposerEEEEE10hipError_tT0_T1_T2_jT3_P12ihipStream_tbPNSt15iterator_traitsISE_E10value_typeEPNSK_ISF_E10value_typeEPSG_NS1_7vsmem_tEENKUlT_SE_SF_SG_E_clIS8_S8_S9_S9_EESD_ST_SE_SF_SG_EUlST_E_NS1_11comp_targetILNS1_3genE3ELNS1_11target_archE908ELNS1_3gpuE7ELNS1_3repE0EEENS1_48merge_mergepath_partition_config_static_selectorELNS0_4arch9wavefront6targetE0EEEvSF_, .Lfunc_end803-_ZN7rocprim17ROCPRIM_400000_NS6detail17trampoline_kernelINS0_14default_configENS1_38merge_sort_block_merge_config_selectorIiNS0_10empty_typeEEEZZNS1_27merge_sort_block_merge_implIS3_PiPS5_jNS1_19radix_merge_compareILb1ELb1EiNS0_19identity_decomposerEEEEE10hipError_tT0_T1_T2_jT3_P12ihipStream_tbPNSt15iterator_traitsISE_E10value_typeEPNSK_ISF_E10value_typeEPSG_NS1_7vsmem_tEENKUlT_SE_SF_SG_E_clIS8_S8_S9_S9_EESD_ST_SE_SF_SG_EUlST_E_NS1_11comp_targetILNS1_3genE3ELNS1_11target_archE908ELNS1_3gpuE7ELNS1_3repE0EEENS1_48merge_mergepath_partition_config_static_selectorELNS0_4arch9wavefront6targetE0EEEvSF_
                                        ; -- End function
	.set _ZN7rocprim17ROCPRIM_400000_NS6detail17trampoline_kernelINS0_14default_configENS1_38merge_sort_block_merge_config_selectorIiNS0_10empty_typeEEEZZNS1_27merge_sort_block_merge_implIS3_PiPS5_jNS1_19radix_merge_compareILb1ELb1EiNS0_19identity_decomposerEEEEE10hipError_tT0_T1_T2_jT3_P12ihipStream_tbPNSt15iterator_traitsISE_E10value_typeEPNSK_ISF_E10value_typeEPSG_NS1_7vsmem_tEENKUlT_SE_SF_SG_E_clIS8_S8_S9_S9_EESD_ST_SE_SF_SG_EUlST_E_NS1_11comp_targetILNS1_3genE3ELNS1_11target_archE908ELNS1_3gpuE7ELNS1_3repE0EEENS1_48merge_mergepath_partition_config_static_selectorELNS0_4arch9wavefront6targetE0EEEvSF_.num_vgpr, 0
	.set _ZN7rocprim17ROCPRIM_400000_NS6detail17trampoline_kernelINS0_14default_configENS1_38merge_sort_block_merge_config_selectorIiNS0_10empty_typeEEEZZNS1_27merge_sort_block_merge_implIS3_PiPS5_jNS1_19radix_merge_compareILb1ELb1EiNS0_19identity_decomposerEEEEE10hipError_tT0_T1_T2_jT3_P12ihipStream_tbPNSt15iterator_traitsISE_E10value_typeEPNSK_ISF_E10value_typeEPSG_NS1_7vsmem_tEENKUlT_SE_SF_SG_E_clIS8_S8_S9_S9_EESD_ST_SE_SF_SG_EUlST_E_NS1_11comp_targetILNS1_3genE3ELNS1_11target_archE908ELNS1_3gpuE7ELNS1_3repE0EEENS1_48merge_mergepath_partition_config_static_selectorELNS0_4arch9wavefront6targetE0EEEvSF_.num_agpr, 0
	.set _ZN7rocprim17ROCPRIM_400000_NS6detail17trampoline_kernelINS0_14default_configENS1_38merge_sort_block_merge_config_selectorIiNS0_10empty_typeEEEZZNS1_27merge_sort_block_merge_implIS3_PiPS5_jNS1_19radix_merge_compareILb1ELb1EiNS0_19identity_decomposerEEEEE10hipError_tT0_T1_T2_jT3_P12ihipStream_tbPNSt15iterator_traitsISE_E10value_typeEPNSK_ISF_E10value_typeEPSG_NS1_7vsmem_tEENKUlT_SE_SF_SG_E_clIS8_S8_S9_S9_EESD_ST_SE_SF_SG_EUlST_E_NS1_11comp_targetILNS1_3genE3ELNS1_11target_archE908ELNS1_3gpuE7ELNS1_3repE0EEENS1_48merge_mergepath_partition_config_static_selectorELNS0_4arch9wavefront6targetE0EEEvSF_.numbered_sgpr, 0
	.set _ZN7rocprim17ROCPRIM_400000_NS6detail17trampoline_kernelINS0_14default_configENS1_38merge_sort_block_merge_config_selectorIiNS0_10empty_typeEEEZZNS1_27merge_sort_block_merge_implIS3_PiPS5_jNS1_19radix_merge_compareILb1ELb1EiNS0_19identity_decomposerEEEEE10hipError_tT0_T1_T2_jT3_P12ihipStream_tbPNSt15iterator_traitsISE_E10value_typeEPNSK_ISF_E10value_typeEPSG_NS1_7vsmem_tEENKUlT_SE_SF_SG_E_clIS8_S8_S9_S9_EESD_ST_SE_SF_SG_EUlST_E_NS1_11comp_targetILNS1_3genE3ELNS1_11target_archE908ELNS1_3gpuE7ELNS1_3repE0EEENS1_48merge_mergepath_partition_config_static_selectorELNS0_4arch9wavefront6targetE0EEEvSF_.num_named_barrier, 0
	.set _ZN7rocprim17ROCPRIM_400000_NS6detail17trampoline_kernelINS0_14default_configENS1_38merge_sort_block_merge_config_selectorIiNS0_10empty_typeEEEZZNS1_27merge_sort_block_merge_implIS3_PiPS5_jNS1_19radix_merge_compareILb1ELb1EiNS0_19identity_decomposerEEEEE10hipError_tT0_T1_T2_jT3_P12ihipStream_tbPNSt15iterator_traitsISE_E10value_typeEPNSK_ISF_E10value_typeEPSG_NS1_7vsmem_tEENKUlT_SE_SF_SG_E_clIS8_S8_S9_S9_EESD_ST_SE_SF_SG_EUlST_E_NS1_11comp_targetILNS1_3genE3ELNS1_11target_archE908ELNS1_3gpuE7ELNS1_3repE0EEENS1_48merge_mergepath_partition_config_static_selectorELNS0_4arch9wavefront6targetE0EEEvSF_.private_seg_size, 0
	.set _ZN7rocprim17ROCPRIM_400000_NS6detail17trampoline_kernelINS0_14default_configENS1_38merge_sort_block_merge_config_selectorIiNS0_10empty_typeEEEZZNS1_27merge_sort_block_merge_implIS3_PiPS5_jNS1_19radix_merge_compareILb1ELb1EiNS0_19identity_decomposerEEEEE10hipError_tT0_T1_T2_jT3_P12ihipStream_tbPNSt15iterator_traitsISE_E10value_typeEPNSK_ISF_E10value_typeEPSG_NS1_7vsmem_tEENKUlT_SE_SF_SG_E_clIS8_S8_S9_S9_EESD_ST_SE_SF_SG_EUlST_E_NS1_11comp_targetILNS1_3genE3ELNS1_11target_archE908ELNS1_3gpuE7ELNS1_3repE0EEENS1_48merge_mergepath_partition_config_static_selectorELNS0_4arch9wavefront6targetE0EEEvSF_.uses_vcc, 0
	.set _ZN7rocprim17ROCPRIM_400000_NS6detail17trampoline_kernelINS0_14default_configENS1_38merge_sort_block_merge_config_selectorIiNS0_10empty_typeEEEZZNS1_27merge_sort_block_merge_implIS3_PiPS5_jNS1_19radix_merge_compareILb1ELb1EiNS0_19identity_decomposerEEEEE10hipError_tT0_T1_T2_jT3_P12ihipStream_tbPNSt15iterator_traitsISE_E10value_typeEPNSK_ISF_E10value_typeEPSG_NS1_7vsmem_tEENKUlT_SE_SF_SG_E_clIS8_S8_S9_S9_EESD_ST_SE_SF_SG_EUlST_E_NS1_11comp_targetILNS1_3genE3ELNS1_11target_archE908ELNS1_3gpuE7ELNS1_3repE0EEENS1_48merge_mergepath_partition_config_static_selectorELNS0_4arch9wavefront6targetE0EEEvSF_.uses_flat_scratch, 0
	.set _ZN7rocprim17ROCPRIM_400000_NS6detail17trampoline_kernelINS0_14default_configENS1_38merge_sort_block_merge_config_selectorIiNS0_10empty_typeEEEZZNS1_27merge_sort_block_merge_implIS3_PiPS5_jNS1_19radix_merge_compareILb1ELb1EiNS0_19identity_decomposerEEEEE10hipError_tT0_T1_T2_jT3_P12ihipStream_tbPNSt15iterator_traitsISE_E10value_typeEPNSK_ISF_E10value_typeEPSG_NS1_7vsmem_tEENKUlT_SE_SF_SG_E_clIS8_S8_S9_S9_EESD_ST_SE_SF_SG_EUlST_E_NS1_11comp_targetILNS1_3genE3ELNS1_11target_archE908ELNS1_3gpuE7ELNS1_3repE0EEENS1_48merge_mergepath_partition_config_static_selectorELNS0_4arch9wavefront6targetE0EEEvSF_.has_dyn_sized_stack, 0
	.set _ZN7rocprim17ROCPRIM_400000_NS6detail17trampoline_kernelINS0_14default_configENS1_38merge_sort_block_merge_config_selectorIiNS0_10empty_typeEEEZZNS1_27merge_sort_block_merge_implIS3_PiPS5_jNS1_19radix_merge_compareILb1ELb1EiNS0_19identity_decomposerEEEEE10hipError_tT0_T1_T2_jT3_P12ihipStream_tbPNSt15iterator_traitsISE_E10value_typeEPNSK_ISF_E10value_typeEPSG_NS1_7vsmem_tEENKUlT_SE_SF_SG_E_clIS8_S8_S9_S9_EESD_ST_SE_SF_SG_EUlST_E_NS1_11comp_targetILNS1_3genE3ELNS1_11target_archE908ELNS1_3gpuE7ELNS1_3repE0EEENS1_48merge_mergepath_partition_config_static_selectorELNS0_4arch9wavefront6targetE0EEEvSF_.has_recursion, 0
	.set _ZN7rocprim17ROCPRIM_400000_NS6detail17trampoline_kernelINS0_14default_configENS1_38merge_sort_block_merge_config_selectorIiNS0_10empty_typeEEEZZNS1_27merge_sort_block_merge_implIS3_PiPS5_jNS1_19radix_merge_compareILb1ELb1EiNS0_19identity_decomposerEEEEE10hipError_tT0_T1_T2_jT3_P12ihipStream_tbPNSt15iterator_traitsISE_E10value_typeEPNSK_ISF_E10value_typeEPSG_NS1_7vsmem_tEENKUlT_SE_SF_SG_E_clIS8_S8_S9_S9_EESD_ST_SE_SF_SG_EUlST_E_NS1_11comp_targetILNS1_3genE3ELNS1_11target_archE908ELNS1_3gpuE7ELNS1_3repE0EEENS1_48merge_mergepath_partition_config_static_selectorELNS0_4arch9wavefront6targetE0EEEvSF_.has_indirect_call, 0
	.section	.AMDGPU.csdata,"",@progbits
; Kernel info:
; codeLenInByte = 0
; TotalNumSgprs: 0
; NumVgprs: 0
; ScratchSize: 0
; MemoryBound: 0
; FloatMode: 240
; IeeeMode: 1
; LDSByteSize: 0 bytes/workgroup (compile time only)
; SGPRBlocks: 0
; VGPRBlocks: 0
; NumSGPRsForWavesPerEU: 1
; NumVGPRsForWavesPerEU: 1
; NamedBarCnt: 0
; Occupancy: 16
; WaveLimiterHint : 0
; COMPUTE_PGM_RSRC2:SCRATCH_EN: 0
; COMPUTE_PGM_RSRC2:USER_SGPR: 2
; COMPUTE_PGM_RSRC2:TRAP_HANDLER: 0
; COMPUTE_PGM_RSRC2:TGID_X_EN: 1
; COMPUTE_PGM_RSRC2:TGID_Y_EN: 0
; COMPUTE_PGM_RSRC2:TGID_Z_EN: 0
; COMPUTE_PGM_RSRC2:TIDIG_COMP_CNT: 0
	.section	.text._ZN7rocprim17ROCPRIM_400000_NS6detail17trampoline_kernelINS0_14default_configENS1_38merge_sort_block_merge_config_selectorIiNS0_10empty_typeEEEZZNS1_27merge_sort_block_merge_implIS3_PiPS5_jNS1_19radix_merge_compareILb1ELb1EiNS0_19identity_decomposerEEEEE10hipError_tT0_T1_T2_jT3_P12ihipStream_tbPNSt15iterator_traitsISE_E10value_typeEPNSK_ISF_E10value_typeEPSG_NS1_7vsmem_tEENKUlT_SE_SF_SG_E_clIS8_S8_S9_S9_EESD_ST_SE_SF_SG_EUlST_E_NS1_11comp_targetILNS1_3genE2ELNS1_11target_archE906ELNS1_3gpuE6ELNS1_3repE0EEENS1_48merge_mergepath_partition_config_static_selectorELNS0_4arch9wavefront6targetE0EEEvSF_,"axG",@progbits,_ZN7rocprim17ROCPRIM_400000_NS6detail17trampoline_kernelINS0_14default_configENS1_38merge_sort_block_merge_config_selectorIiNS0_10empty_typeEEEZZNS1_27merge_sort_block_merge_implIS3_PiPS5_jNS1_19radix_merge_compareILb1ELb1EiNS0_19identity_decomposerEEEEE10hipError_tT0_T1_T2_jT3_P12ihipStream_tbPNSt15iterator_traitsISE_E10value_typeEPNSK_ISF_E10value_typeEPSG_NS1_7vsmem_tEENKUlT_SE_SF_SG_E_clIS8_S8_S9_S9_EESD_ST_SE_SF_SG_EUlST_E_NS1_11comp_targetILNS1_3genE2ELNS1_11target_archE906ELNS1_3gpuE6ELNS1_3repE0EEENS1_48merge_mergepath_partition_config_static_selectorELNS0_4arch9wavefront6targetE0EEEvSF_,comdat
	.protected	_ZN7rocprim17ROCPRIM_400000_NS6detail17trampoline_kernelINS0_14default_configENS1_38merge_sort_block_merge_config_selectorIiNS0_10empty_typeEEEZZNS1_27merge_sort_block_merge_implIS3_PiPS5_jNS1_19radix_merge_compareILb1ELb1EiNS0_19identity_decomposerEEEEE10hipError_tT0_T1_T2_jT3_P12ihipStream_tbPNSt15iterator_traitsISE_E10value_typeEPNSK_ISF_E10value_typeEPSG_NS1_7vsmem_tEENKUlT_SE_SF_SG_E_clIS8_S8_S9_S9_EESD_ST_SE_SF_SG_EUlST_E_NS1_11comp_targetILNS1_3genE2ELNS1_11target_archE906ELNS1_3gpuE6ELNS1_3repE0EEENS1_48merge_mergepath_partition_config_static_selectorELNS0_4arch9wavefront6targetE0EEEvSF_ ; -- Begin function _ZN7rocprim17ROCPRIM_400000_NS6detail17trampoline_kernelINS0_14default_configENS1_38merge_sort_block_merge_config_selectorIiNS0_10empty_typeEEEZZNS1_27merge_sort_block_merge_implIS3_PiPS5_jNS1_19radix_merge_compareILb1ELb1EiNS0_19identity_decomposerEEEEE10hipError_tT0_T1_T2_jT3_P12ihipStream_tbPNSt15iterator_traitsISE_E10value_typeEPNSK_ISF_E10value_typeEPSG_NS1_7vsmem_tEENKUlT_SE_SF_SG_E_clIS8_S8_S9_S9_EESD_ST_SE_SF_SG_EUlST_E_NS1_11comp_targetILNS1_3genE2ELNS1_11target_archE906ELNS1_3gpuE6ELNS1_3repE0EEENS1_48merge_mergepath_partition_config_static_selectorELNS0_4arch9wavefront6targetE0EEEvSF_
	.globl	_ZN7rocprim17ROCPRIM_400000_NS6detail17trampoline_kernelINS0_14default_configENS1_38merge_sort_block_merge_config_selectorIiNS0_10empty_typeEEEZZNS1_27merge_sort_block_merge_implIS3_PiPS5_jNS1_19radix_merge_compareILb1ELb1EiNS0_19identity_decomposerEEEEE10hipError_tT0_T1_T2_jT3_P12ihipStream_tbPNSt15iterator_traitsISE_E10value_typeEPNSK_ISF_E10value_typeEPSG_NS1_7vsmem_tEENKUlT_SE_SF_SG_E_clIS8_S8_S9_S9_EESD_ST_SE_SF_SG_EUlST_E_NS1_11comp_targetILNS1_3genE2ELNS1_11target_archE906ELNS1_3gpuE6ELNS1_3repE0EEENS1_48merge_mergepath_partition_config_static_selectorELNS0_4arch9wavefront6targetE0EEEvSF_
	.p2align	8
	.type	_ZN7rocprim17ROCPRIM_400000_NS6detail17trampoline_kernelINS0_14default_configENS1_38merge_sort_block_merge_config_selectorIiNS0_10empty_typeEEEZZNS1_27merge_sort_block_merge_implIS3_PiPS5_jNS1_19radix_merge_compareILb1ELb1EiNS0_19identity_decomposerEEEEE10hipError_tT0_T1_T2_jT3_P12ihipStream_tbPNSt15iterator_traitsISE_E10value_typeEPNSK_ISF_E10value_typeEPSG_NS1_7vsmem_tEENKUlT_SE_SF_SG_E_clIS8_S8_S9_S9_EESD_ST_SE_SF_SG_EUlST_E_NS1_11comp_targetILNS1_3genE2ELNS1_11target_archE906ELNS1_3gpuE6ELNS1_3repE0EEENS1_48merge_mergepath_partition_config_static_selectorELNS0_4arch9wavefront6targetE0EEEvSF_,@function
_ZN7rocprim17ROCPRIM_400000_NS6detail17trampoline_kernelINS0_14default_configENS1_38merge_sort_block_merge_config_selectorIiNS0_10empty_typeEEEZZNS1_27merge_sort_block_merge_implIS3_PiPS5_jNS1_19radix_merge_compareILb1ELb1EiNS0_19identity_decomposerEEEEE10hipError_tT0_T1_T2_jT3_P12ihipStream_tbPNSt15iterator_traitsISE_E10value_typeEPNSK_ISF_E10value_typeEPSG_NS1_7vsmem_tEENKUlT_SE_SF_SG_E_clIS8_S8_S9_S9_EESD_ST_SE_SF_SG_EUlST_E_NS1_11comp_targetILNS1_3genE2ELNS1_11target_archE906ELNS1_3gpuE6ELNS1_3repE0EEENS1_48merge_mergepath_partition_config_static_selectorELNS0_4arch9wavefront6targetE0EEEvSF_: ; @_ZN7rocprim17ROCPRIM_400000_NS6detail17trampoline_kernelINS0_14default_configENS1_38merge_sort_block_merge_config_selectorIiNS0_10empty_typeEEEZZNS1_27merge_sort_block_merge_implIS3_PiPS5_jNS1_19radix_merge_compareILb1ELb1EiNS0_19identity_decomposerEEEEE10hipError_tT0_T1_T2_jT3_P12ihipStream_tbPNSt15iterator_traitsISE_E10value_typeEPNSK_ISF_E10value_typeEPSG_NS1_7vsmem_tEENKUlT_SE_SF_SG_E_clIS8_S8_S9_S9_EESD_ST_SE_SF_SG_EUlST_E_NS1_11comp_targetILNS1_3genE2ELNS1_11target_archE906ELNS1_3gpuE6ELNS1_3repE0EEENS1_48merge_mergepath_partition_config_static_selectorELNS0_4arch9wavefront6targetE0EEEvSF_
; %bb.0:
	.section	.rodata,"a",@progbits
	.p2align	6, 0x0
	.amdhsa_kernel _ZN7rocprim17ROCPRIM_400000_NS6detail17trampoline_kernelINS0_14default_configENS1_38merge_sort_block_merge_config_selectorIiNS0_10empty_typeEEEZZNS1_27merge_sort_block_merge_implIS3_PiPS5_jNS1_19radix_merge_compareILb1ELb1EiNS0_19identity_decomposerEEEEE10hipError_tT0_T1_T2_jT3_P12ihipStream_tbPNSt15iterator_traitsISE_E10value_typeEPNSK_ISF_E10value_typeEPSG_NS1_7vsmem_tEENKUlT_SE_SF_SG_E_clIS8_S8_S9_S9_EESD_ST_SE_SF_SG_EUlST_E_NS1_11comp_targetILNS1_3genE2ELNS1_11target_archE906ELNS1_3gpuE6ELNS1_3repE0EEENS1_48merge_mergepath_partition_config_static_selectorELNS0_4arch9wavefront6targetE0EEEvSF_
		.amdhsa_group_segment_fixed_size 0
		.amdhsa_private_segment_fixed_size 0
		.amdhsa_kernarg_size 40
		.amdhsa_user_sgpr_count 2
		.amdhsa_user_sgpr_dispatch_ptr 0
		.amdhsa_user_sgpr_queue_ptr 0
		.amdhsa_user_sgpr_kernarg_segment_ptr 1
		.amdhsa_user_sgpr_dispatch_id 0
		.amdhsa_user_sgpr_kernarg_preload_length 0
		.amdhsa_user_sgpr_kernarg_preload_offset 0
		.amdhsa_user_sgpr_private_segment_size 0
		.amdhsa_wavefront_size32 1
		.amdhsa_uses_dynamic_stack 0
		.amdhsa_enable_private_segment 0
		.amdhsa_system_sgpr_workgroup_id_x 1
		.amdhsa_system_sgpr_workgroup_id_y 0
		.amdhsa_system_sgpr_workgroup_id_z 0
		.amdhsa_system_sgpr_workgroup_info 0
		.amdhsa_system_vgpr_workitem_id 0
		.amdhsa_next_free_vgpr 1
		.amdhsa_next_free_sgpr 1
		.amdhsa_named_barrier_count 0
		.amdhsa_reserve_vcc 0
		.amdhsa_float_round_mode_32 0
		.amdhsa_float_round_mode_16_64 0
		.amdhsa_float_denorm_mode_32 3
		.amdhsa_float_denorm_mode_16_64 3
		.amdhsa_fp16_overflow 0
		.amdhsa_memory_ordered 1
		.amdhsa_forward_progress 1
		.amdhsa_inst_pref_size 0
		.amdhsa_round_robin_scheduling 0
		.amdhsa_exception_fp_ieee_invalid_op 0
		.amdhsa_exception_fp_denorm_src 0
		.amdhsa_exception_fp_ieee_div_zero 0
		.amdhsa_exception_fp_ieee_overflow 0
		.amdhsa_exception_fp_ieee_underflow 0
		.amdhsa_exception_fp_ieee_inexact 0
		.amdhsa_exception_int_div_zero 0
	.end_amdhsa_kernel
	.section	.text._ZN7rocprim17ROCPRIM_400000_NS6detail17trampoline_kernelINS0_14default_configENS1_38merge_sort_block_merge_config_selectorIiNS0_10empty_typeEEEZZNS1_27merge_sort_block_merge_implIS3_PiPS5_jNS1_19radix_merge_compareILb1ELb1EiNS0_19identity_decomposerEEEEE10hipError_tT0_T1_T2_jT3_P12ihipStream_tbPNSt15iterator_traitsISE_E10value_typeEPNSK_ISF_E10value_typeEPSG_NS1_7vsmem_tEENKUlT_SE_SF_SG_E_clIS8_S8_S9_S9_EESD_ST_SE_SF_SG_EUlST_E_NS1_11comp_targetILNS1_3genE2ELNS1_11target_archE906ELNS1_3gpuE6ELNS1_3repE0EEENS1_48merge_mergepath_partition_config_static_selectorELNS0_4arch9wavefront6targetE0EEEvSF_,"axG",@progbits,_ZN7rocprim17ROCPRIM_400000_NS6detail17trampoline_kernelINS0_14default_configENS1_38merge_sort_block_merge_config_selectorIiNS0_10empty_typeEEEZZNS1_27merge_sort_block_merge_implIS3_PiPS5_jNS1_19radix_merge_compareILb1ELb1EiNS0_19identity_decomposerEEEEE10hipError_tT0_T1_T2_jT3_P12ihipStream_tbPNSt15iterator_traitsISE_E10value_typeEPNSK_ISF_E10value_typeEPSG_NS1_7vsmem_tEENKUlT_SE_SF_SG_E_clIS8_S8_S9_S9_EESD_ST_SE_SF_SG_EUlST_E_NS1_11comp_targetILNS1_3genE2ELNS1_11target_archE906ELNS1_3gpuE6ELNS1_3repE0EEENS1_48merge_mergepath_partition_config_static_selectorELNS0_4arch9wavefront6targetE0EEEvSF_,comdat
.Lfunc_end804:
	.size	_ZN7rocprim17ROCPRIM_400000_NS6detail17trampoline_kernelINS0_14default_configENS1_38merge_sort_block_merge_config_selectorIiNS0_10empty_typeEEEZZNS1_27merge_sort_block_merge_implIS3_PiPS5_jNS1_19radix_merge_compareILb1ELb1EiNS0_19identity_decomposerEEEEE10hipError_tT0_T1_T2_jT3_P12ihipStream_tbPNSt15iterator_traitsISE_E10value_typeEPNSK_ISF_E10value_typeEPSG_NS1_7vsmem_tEENKUlT_SE_SF_SG_E_clIS8_S8_S9_S9_EESD_ST_SE_SF_SG_EUlST_E_NS1_11comp_targetILNS1_3genE2ELNS1_11target_archE906ELNS1_3gpuE6ELNS1_3repE0EEENS1_48merge_mergepath_partition_config_static_selectorELNS0_4arch9wavefront6targetE0EEEvSF_, .Lfunc_end804-_ZN7rocprim17ROCPRIM_400000_NS6detail17trampoline_kernelINS0_14default_configENS1_38merge_sort_block_merge_config_selectorIiNS0_10empty_typeEEEZZNS1_27merge_sort_block_merge_implIS3_PiPS5_jNS1_19radix_merge_compareILb1ELb1EiNS0_19identity_decomposerEEEEE10hipError_tT0_T1_T2_jT3_P12ihipStream_tbPNSt15iterator_traitsISE_E10value_typeEPNSK_ISF_E10value_typeEPSG_NS1_7vsmem_tEENKUlT_SE_SF_SG_E_clIS8_S8_S9_S9_EESD_ST_SE_SF_SG_EUlST_E_NS1_11comp_targetILNS1_3genE2ELNS1_11target_archE906ELNS1_3gpuE6ELNS1_3repE0EEENS1_48merge_mergepath_partition_config_static_selectorELNS0_4arch9wavefront6targetE0EEEvSF_
                                        ; -- End function
	.set _ZN7rocprim17ROCPRIM_400000_NS6detail17trampoline_kernelINS0_14default_configENS1_38merge_sort_block_merge_config_selectorIiNS0_10empty_typeEEEZZNS1_27merge_sort_block_merge_implIS3_PiPS5_jNS1_19radix_merge_compareILb1ELb1EiNS0_19identity_decomposerEEEEE10hipError_tT0_T1_T2_jT3_P12ihipStream_tbPNSt15iterator_traitsISE_E10value_typeEPNSK_ISF_E10value_typeEPSG_NS1_7vsmem_tEENKUlT_SE_SF_SG_E_clIS8_S8_S9_S9_EESD_ST_SE_SF_SG_EUlST_E_NS1_11comp_targetILNS1_3genE2ELNS1_11target_archE906ELNS1_3gpuE6ELNS1_3repE0EEENS1_48merge_mergepath_partition_config_static_selectorELNS0_4arch9wavefront6targetE0EEEvSF_.num_vgpr, 0
	.set _ZN7rocprim17ROCPRIM_400000_NS6detail17trampoline_kernelINS0_14default_configENS1_38merge_sort_block_merge_config_selectorIiNS0_10empty_typeEEEZZNS1_27merge_sort_block_merge_implIS3_PiPS5_jNS1_19radix_merge_compareILb1ELb1EiNS0_19identity_decomposerEEEEE10hipError_tT0_T1_T2_jT3_P12ihipStream_tbPNSt15iterator_traitsISE_E10value_typeEPNSK_ISF_E10value_typeEPSG_NS1_7vsmem_tEENKUlT_SE_SF_SG_E_clIS8_S8_S9_S9_EESD_ST_SE_SF_SG_EUlST_E_NS1_11comp_targetILNS1_3genE2ELNS1_11target_archE906ELNS1_3gpuE6ELNS1_3repE0EEENS1_48merge_mergepath_partition_config_static_selectorELNS0_4arch9wavefront6targetE0EEEvSF_.num_agpr, 0
	.set _ZN7rocprim17ROCPRIM_400000_NS6detail17trampoline_kernelINS0_14default_configENS1_38merge_sort_block_merge_config_selectorIiNS0_10empty_typeEEEZZNS1_27merge_sort_block_merge_implIS3_PiPS5_jNS1_19radix_merge_compareILb1ELb1EiNS0_19identity_decomposerEEEEE10hipError_tT0_T1_T2_jT3_P12ihipStream_tbPNSt15iterator_traitsISE_E10value_typeEPNSK_ISF_E10value_typeEPSG_NS1_7vsmem_tEENKUlT_SE_SF_SG_E_clIS8_S8_S9_S9_EESD_ST_SE_SF_SG_EUlST_E_NS1_11comp_targetILNS1_3genE2ELNS1_11target_archE906ELNS1_3gpuE6ELNS1_3repE0EEENS1_48merge_mergepath_partition_config_static_selectorELNS0_4arch9wavefront6targetE0EEEvSF_.numbered_sgpr, 0
	.set _ZN7rocprim17ROCPRIM_400000_NS6detail17trampoline_kernelINS0_14default_configENS1_38merge_sort_block_merge_config_selectorIiNS0_10empty_typeEEEZZNS1_27merge_sort_block_merge_implIS3_PiPS5_jNS1_19radix_merge_compareILb1ELb1EiNS0_19identity_decomposerEEEEE10hipError_tT0_T1_T2_jT3_P12ihipStream_tbPNSt15iterator_traitsISE_E10value_typeEPNSK_ISF_E10value_typeEPSG_NS1_7vsmem_tEENKUlT_SE_SF_SG_E_clIS8_S8_S9_S9_EESD_ST_SE_SF_SG_EUlST_E_NS1_11comp_targetILNS1_3genE2ELNS1_11target_archE906ELNS1_3gpuE6ELNS1_3repE0EEENS1_48merge_mergepath_partition_config_static_selectorELNS0_4arch9wavefront6targetE0EEEvSF_.num_named_barrier, 0
	.set _ZN7rocprim17ROCPRIM_400000_NS6detail17trampoline_kernelINS0_14default_configENS1_38merge_sort_block_merge_config_selectorIiNS0_10empty_typeEEEZZNS1_27merge_sort_block_merge_implIS3_PiPS5_jNS1_19radix_merge_compareILb1ELb1EiNS0_19identity_decomposerEEEEE10hipError_tT0_T1_T2_jT3_P12ihipStream_tbPNSt15iterator_traitsISE_E10value_typeEPNSK_ISF_E10value_typeEPSG_NS1_7vsmem_tEENKUlT_SE_SF_SG_E_clIS8_S8_S9_S9_EESD_ST_SE_SF_SG_EUlST_E_NS1_11comp_targetILNS1_3genE2ELNS1_11target_archE906ELNS1_3gpuE6ELNS1_3repE0EEENS1_48merge_mergepath_partition_config_static_selectorELNS0_4arch9wavefront6targetE0EEEvSF_.private_seg_size, 0
	.set _ZN7rocprim17ROCPRIM_400000_NS6detail17trampoline_kernelINS0_14default_configENS1_38merge_sort_block_merge_config_selectorIiNS0_10empty_typeEEEZZNS1_27merge_sort_block_merge_implIS3_PiPS5_jNS1_19radix_merge_compareILb1ELb1EiNS0_19identity_decomposerEEEEE10hipError_tT0_T1_T2_jT3_P12ihipStream_tbPNSt15iterator_traitsISE_E10value_typeEPNSK_ISF_E10value_typeEPSG_NS1_7vsmem_tEENKUlT_SE_SF_SG_E_clIS8_S8_S9_S9_EESD_ST_SE_SF_SG_EUlST_E_NS1_11comp_targetILNS1_3genE2ELNS1_11target_archE906ELNS1_3gpuE6ELNS1_3repE0EEENS1_48merge_mergepath_partition_config_static_selectorELNS0_4arch9wavefront6targetE0EEEvSF_.uses_vcc, 0
	.set _ZN7rocprim17ROCPRIM_400000_NS6detail17trampoline_kernelINS0_14default_configENS1_38merge_sort_block_merge_config_selectorIiNS0_10empty_typeEEEZZNS1_27merge_sort_block_merge_implIS3_PiPS5_jNS1_19radix_merge_compareILb1ELb1EiNS0_19identity_decomposerEEEEE10hipError_tT0_T1_T2_jT3_P12ihipStream_tbPNSt15iterator_traitsISE_E10value_typeEPNSK_ISF_E10value_typeEPSG_NS1_7vsmem_tEENKUlT_SE_SF_SG_E_clIS8_S8_S9_S9_EESD_ST_SE_SF_SG_EUlST_E_NS1_11comp_targetILNS1_3genE2ELNS1_11target_archE906ELNS1_3gpuE6ELNS1_3repE0EEENS1_48merge_mergepath_partition_config_static_selectorELNS0_4arch9wavefront6targetE0EEEvSF_.uses_flat_scratch, 0
	.set _ZN7rocprim17ROCPRIM_400000_NS6detail17trampoline_kernelINS0_14default_configENS1_38merge_sort_block_merge_config_selectorIiNS0_10empty_typeEEEZZNS1_27merge_sort_block_merge_implIS3_PiPS5_jNS1_19radix_merge_compareILb1ELb1EiNS0_19identity_decomposerEEEEE10hipError_tT0_T1_T2_jT3_P12ihipStream_tbPNSt15iterator_traitsISE_E10value_typeEPNSK_ISF_E10value_typeEPSG_NS1_7vsmem_tEENKUlT_SE_SF_SG_E_clIS8_S8_S9_S9_EESD_ST_SE_SF_SG_EUlST_E_NS1_11comp_targetILNS1_3genE2ELNS1_11target_archE906ELNS1_3gpuE6ELNS1_3repE0EEENS1_48merge_mergepath_partition_config_static_selectorELNS0_4arch9wavefront6targetE0EEEvSF_.has_dyn_sized_stack, 0
	.set _ZN7rocprim17ROCPRIM_400000_NS6detail17trampoline_kernelINS0_14default_configENS1_38merge_sort_block_merge_config_selectorIiNS0_10empty_typeEEEZZNS1_27merge_sort_block_merge_implIS3_PiPS5_jNS1_19radix_merge_compareILb1ELb1EiNS0_19identity_decomposerEEEEE10hipError_tT0_T1_T2_jT3_P12ihipStream_tbPNSt15iterator_traitsISE_E10value_typeEPNSK_ISF_E10value_typeEPSG_NS1_7vsmem_tEENKUlT_SE_SF_SG_E_clIS8_S8_S9_S9_EESD_ST_SE_SF_SG_EUlST_E_NS1_11comp_targetILNS1_3genE2ELNS1_11target_archE906ELNS1_3gpuE6ELNS1_3repE0EEENS1_48merge_mergepath_partition_config_static_selectorELNS0_4arch9wavefront6targetE0EEEvSF_.has_recursion, 0
	.set _ZN7rocprim17ROCPRIM_400000_NS6detail17trampoline_kernelINS0_14default_configENS1_38merge_sort_block_merge_config_selectorIiNS0_10empty_typeEEEZZNS1_27merge_sort_block_merge_implIS3_PiPS5_jNS1_19radix_merge_compareILb1ELb1EiNS0_19identity_decomposerEEEEE10hipError_tT0_T1_T2_jT3_P12ihipStream_tbPNSt15iterator_traitsISE_E10value_typeEPNSK_ISF_E10value_typeEPSG_NS1_7vsmem_tEENKUlT_SE_SF_SG_E_clIS8_S8_S9_S9_EESD_ST_SE_SF_SG_EUlST_E_NS1_11comp_targetILNS1_3genE2ELNS1_11target_archE906ELNS1_3gpuE6ELNS1_3repE0EEENS1_48merge_mergepath_partition_config_static_selectorELNS0_4arch9wavefront6targetE0EEEvSF_.has_indirect_call, 0
	.section	.AMDGPU.csdata,"",@progbits
; Kernel info:
; codeLenInByte = 0
; TotalNumSgprs: 0
; NumVgprs: 0
; ScratchSize: 0
; MemoryBound: 0
; FloatMode: 240
; IeeeMode: 1
; LDSByteSize: 0 bytes/workgroup (compile time only)
; SGPRBlocks: 0
; VGPRBlocks: 0
; NumSGPRsForWavesPerEU: 1
; NumVGPRsForWavesPerEU: 1
; NamedBarCnt: 0
; Occupancy: 16
; WaveLimiterHint : 0
; COMPUTE_PGM_RSRC2:SCRATCH_EN: 0
; COMPUTE_PGM_RSRC2:USER_SGPR: 2
; COMPUTE_PGM_RSRC2:TRAP_HANDLER: 0
; COMPUTE_PGM_RSRC2:TGID_X_EN: 1
; COMPUTE_PGM_RSRC2:TGID_Y_EN: 0
; COMPUTE_PGM_RSRC2:TGID_Z_EN: 0
; COMPUTE_PGM_RSRC2:TIDIG_COMP_CNT: 0
	.section	.text._ZN7rocprim17ROCPRIM_400000_NS6detail17trampoline_kernelINS0_14default_configENS1_38merge_sort_block_merge_config_selectorIiNS0_10empty_typeEEEZZNS1_27merge_sort_block_merge_implIS3_PiPS5_jNS1_19radix_merge_compareILb1ELb1EiNS0_19identity_decomposerEEEEE10hipError_tT0_T1_T2_jT3_P12ihipStream_tbPNSt15iterator_traitsISE_E10value_typeEPNSK_ISF_E10value_typeEPSG_NS1_7vsmem_tEENKUlT_SE_SF_SG_E_clIS8_S8_S9_S9_EESD_ST_SE_SF_SG_EUlST_E_NS1_11comp_targetILNS1_3genE9ELNS1_11target_archE1100ELNS1_3gpuE3ELNS1_3repE0EEENS1_48merge_mergepath_partition_config_static_selectorELNS0_4arch9wavefront6targetE0EEEvSF_,"axG",@progbits,_ZN7rocprim17ROCPRIM_400000_NS6detail17trampoline_kernelINS0_14default_configENS1_38merge_sort_block_merge_config_selectorIiNS0_10empty_typeEEEZZNS1_27merge_sort_block_merge_implIS3_PiPS5_jNS1_19radix_merge_compareILb1ELb1EiNS0_19identity_decomposerEEEEE10hipError_tT0_T1_T2_jT3_P12ihipStream_tbPNSt15iterator_traitsISE_E10value_typeEPNSK_ISF_E10value_typeEPSG_NS1_7vsmem_tEENKUlT_SE_SF_SG_E_clIS8_S8_S9_S9_EESD_ST_SE_SF_SG_EUlST_E_NS1_11comp_targetILNS1_3genE9ELNS1_11target_archE1100ELNS1_3gpuE3ELNS1_3repE0EEENS1_48merge_mergepath_partition_config_static_selectorELNS0_4arch9wavefront6targetE0EEEvSF_,comdat
	.protected	_ZN7rocprim17ROCPRIM_400000_NS6detail17trampoline_kernelINS0_14default_configENS1_38merge_sort_block_merge_config_selectorIiNS0_10empty_typeEEEZZNS1_27merge_sort_block_merge_implIS3_PiPS5_jNS1_19radix_merge_compareILb1ELb1EiNS0_19identity_decomposerEEEEE10hipError_tT0_T1_T2_jT3_P12ihipStream_tbPNSt15iterator_traitsISE_E10value_typeEPNSK_ISF_E10value_typeEPSG_NS1_7vsmem_tEENKUlT_SE_SF_SG_E_clIS8_S8_S9_S9_EESD_ST_SE_SF_SG_EUlST_E_NS1_11comp_targetILNS1_3genE9ELNS1_11target_archE1100ELNS1_3gpuE3ELNS1_3repE0EEENS1_48merge_mergepath_partition_config_static_selectorELNS0_4arch9wavefront6targetE0EEEvSF_ ; -- Begin function _ZN7rocprim17ROCPRIM_400000_NS6detail17trampoline_kernelINS0_14default_configENS1_38merge_sort_block_merge_config_selectorIiNS0_10empty_typeEEEZZNS1_27merge_sort_block_merge_implIS3_PiPS5_jNS1_19radix_merge_compareILb1ELb1EiNS0_19identity_decomposerEEEEE10hipError_tT0_T1_T2_jT3_P12ihipStream_tbPNSt15iterator_traitsISE_E10value_typeEPNSK_ISF_E10value_typeEPSG_NS1_7vsmem_tEENKUlT_SE_SF_SG_E_clIS8_S8_S9_S9_EESD_ST_SE_SF_SG_EUlST_E_NS1_11comp_targetILNS1_3genE9ELNS1_11target_archE1100ELNS1_3gpuE3ELNS1_3repE0EEENS1_48merge_mergepath_partition_config_static_selectorELNS0_4arch9wavefront6targetE0EEEvSF_
	.globl	_ZN7rocprim17ROCPRIM_400000_NS6detail17trampoline_kernelINS0_14default_configENS1_38merge_sort_block_merge_config_selectorIiNS0_10empty_typeEEEZZNS1_27merge_sort_block_merge_implIS3_PiPS5_jNS1_19radix_merge_compareILb1ELb1EiNS0_19identity_decomposerEEEEE10hipError_tT0_T1_T2_jT3_P12ihipStream_tbPNSt15iterator_traitsISE_E10value_typeEPNSK_ISF_E10value_typeEPSG_NS1_7vsmem_tEENKUlT_SE_SF_SG_E_clIS8_S8_S9_S9_EESD_ST_SE_SF_SG_EUlST_E_NS1_11comp_targetILNS1_3genE9ELNS1_11target_archE1100ELNS1_3gpuE3ELNS1_3repE0EEENS1_48merge_mergepath_partition_config_static_selectorELNS0_4arch9wavefront6targetE0EEEvSF_
	.p2align	8
	.type	_ZN7rocprim17ROCPRIM_400000_NS6detail17trampoline_kernelINS0_14default_configENS1_38merge_sort_block_merge_config_selectorIiNS0_10empty_typeEEEZZNS1_27merge_sort_block_merge_implIS3_PiPS5_jNS1_19radix_merge_compareILb1ELb1EiNS0_19identity_decomposerEEEEE10hipError_tT0_T1_T2_jT3_P12ihipStream_tbPNSt15iterator_traitsISE_E10value_typeEPNSK_ISF_E10value_typeEPSG_NS1_7vsmem_tEENKUlT_SE_SF_SG_E_clIS8_S8_S9_S9_EESD_ST_SE_SF_SG_EUlST_E_NS1_11comp_targetILNS1_3genE9ELNS1_11target_archE1100ELNS1_3gpuE3ELNS1_3repE0EEENS1_48merge_mergepath_partition_config_static_selectorELNS0_4arch9wavefront6targetE0EEEvSF_,@function
_ZN7rocprim17ROCPRIM_400000_NS6detail17trampoline_kernelINS0_14default_configENS1_38merge_sort_block_merge_config_selectorIiNS0_10empty_typeEEEZZNS1_27merge_sort_block_merge_implIS3_PiPS5_jNS1_19radix_merge_compareILb1ELb1EiNS0_19identity_decomposerEEEEE10hipError_tT0_T1_T2_jT3_P12ihipStream_tbPNSt15iterator_traitsISE_E10value_typeEPNSK_ISF_E10value_typeEPSG_NS1_7vsmem_tEENKUlT_SE_SF_SG_E_clIS8_S8_S9_S9_EESD_ST_SE_SF_SG_EUlST_E_NS1_11comp_targetILNS1_3genE9ELNS1_11target_archE1100ELNS1_3gpuE3ELNS1_3repE0EEENS1_48merge_mergepath_partition_config_static_selectorELNS0_4arch9wavefront6targetE0EEEvSF_: ; @_ZN7rocprim17ROCPRIM_400000_NS6detail17trampoline_kernelINS0_14default_configENS1_38merge_sort_block_merge_config_selectorIiNS0_10empty_typeEEEZZNS1_27merge_sort_block_merge_implIS3_PiPS5_jNS1_19radix_merge_compareILb1ELb1EiNS0_19identity_decomposerEEEEE10hipError_tT0_T1_T2_jT3_P12ihipStream_tbPNSt15iterator_traitsISE_E10value_typeEPNSK_ISF_E10value_typeEPSG_NS1_7vsmem_tEENKUlT_SE_SF_SG_E_clIS8_S8_S9_S9_EESD_ST_SE_SF_SG_EUlST_E_NS1_11comp_targetILNS1_3genE9ELNS1_11target_archE1100ELNS1_3gpuE3ELNS1_3repE0EEENS1_48merge_mergepath_partition_config_static_selectorELNS0_4arch9wavefront6targetE0EEEvSF_
; %bb.0:
	.section	.rodata,"a",@progbits
	.p2align	6, 0x0
	.amdhsa_kernel _ZN7rocprim17ROCPRIM_400000_NS6detail17trampoline_kernelINS0_14default_configENS1_38merge_sort_block_merge_config_selectorIiNS0_10empty_typeEEEZZNS1_27merge_sort_block_merge_implIS3_PiPS5_jNS1_19radix_merge_compareILb1ELb1EiNS0_19identity_decomposerEEEEE10hipError_tT0_T1_T2_jT3_P12ihipStream_tbPNSt15iterator_traitsISE_E10value_typeEPNSK_ISF_E10value_typeEPSG_NS1_7vsmem_tEENKUlT_SE_SF_SG_E_clIS8_S8_S9_S9_EESD_ST_SE_SF_SG_EUlST_E_NS1_11comp_targetILNS1_3genE9ELNS1_11target_archE1100ELNS1_3gpuE3ELNS1_3repE0EEENS1_48merge_mergepath_partition_config_static_selectorELNS0_4arch9wavefront6targetE0EEEvSF_
		.amdhsa_group_segment_fixed_size 0
		.amdhsa_private_segment_fixed_size 0
		.amdhsa_kernarg_size 40
		.amdhsa_user_sgpr_count 2
		.amdhsa_user_sgpr_dispatch_ptr 0
		.amdhsa_user_sgpr_queue_ptr 0
		.amdhsa_user_sgpr_kernarg_segment_ptr 1
		.amdhsa_user_sgpr_dispatch_id 0
		.amdhsa_user_sgpr_kernarg_preload_length 0
		.amdhsa_user_sgpr_kernarg_preload_offset 0
		.amdhsa_user_sgpr_private_segment_size 0
		.amdhsa_wavefront_size32 1
		.amdhsa_uses_dynamic_stack 0
		.amdhsa_enable_private_segment 0
		.amdhsa_system_sgpr_workgroup_id_x 1
		.amdhsa_system_sgpr_workgroup_id_y 0
		.amdhsa_system_sgpr_workgroup_id_z 0
		.amdhsa_system_sgpr_workgroup_info 0
		.amdhsa_system_vgpr_workitem_id 0
		.amdhsa_next_free_vgpr 1
		.amdhsa_next_free_sgpr 1
		.amdhsa_named_barrier_count 0
		.amdhsa_reserve_vcc 0
		.amdhsa_float_round_mode_32 0
		.amdhsa_float_round_mode_16_64 0
		.amdhsa_float_denorm_mode_32 3
		.amdhsa_float_denorm_mode_16_64 3
		.amdhsa_fp16_overflow 0
		.amdhsa_memory_ordered 1
		.amdhsa_forward_progress 1
		.amdhsa_inst_pref_size 0
		.amdhsa_round_robin_scheduling 0
		.amdhsa_exception_fp_ieee_invalid_op 0
		.amdhsa_exception_fp_denorm_src 0
		.amdhsa_exception_fp_ieee_div_zero 0
		.amdhsa_exception_fp_ieee_overflow 0
		.amdhsa_exception_fp_ieee_underflow 0
		.amdhsa_exception_fp_ieee_inexact 0
		.amdhsa_exception_int_div_zero 0
	.end_amdhsa_kernel
	.section	.text._ZN7rocprim17ROCPRIM_400000_NS6detail17trampoline_kernelINS0_14default_configENS1_38merge_sort_block_merge_config_selectorIiNS0_10empty_typeEEEZZNS1_27merge_sort_block_merge_implIS3_PiPS5_jNS1_19radix_merge_compareILb1ELb1EiNS0_19identity_decomposerEEEEE10hipError_tT0_T1_T2_jT3_P12ihipStream_tbPNSt15iterator_traitsISE_E10value_typeEPNSK_ISF_E10value_typeEPSG_NS1_7vsmem_tEENKUlT_SE_SF_SG_E_clIS8_S8_S9_S9_EESD_ST_SE_SF_SG_EUlST_E_NS1_11comp_targetILNS1_3genE9ELNS1_11target_archE1100ELNS1_3gpuE3ELNS1_3repE0EEENS1_48merge_mergepath_partition_config_static_selectorELNS0_4arch9wavefront6targetE0EEEvSF_,"axG",@progbits,_ZN7rocprim17ROCPRIM_400000_NS6detail17trampoline_kernelINS0_14default_configENS1_38merge_sort_block_merge_config_selectorIiNS0_10empty_typeEEEZZNS1_27merge_sort_block_merge_implIS3_PiPS5_jNS1_19radix_merge_compareILb1ELb1EiNS0_19identity_decomposerEEEEE10hipError_tT0_T1_T2_jT3_P12ihipStream_tbPNSt15iterator_traitsISE_E10value_typeEPNSK_ISF_E10value_typeEPSG_NS1_7vsmem_tEENKUlT_SE_SF_SG_E_clIS8_S8_S9_S9_EESD_ST_SE_SF_SG_EUlST_E_NS1_11comp_targetILNS1_3genE9ELNS1_11target_archE1100ELNS1_3gpuE3ELNS1_3repE0EEENS1_48merge_mergepath_partition_config_static_selectorELNS0_4arch9wavefront6targetE0EEEvSF_,comdat
.Lfunc_end805:
	.size	_ZN7rocprim17ROCPRIM_400000_NS6detail17trampoline_kernelINS0_14default_configENS1_38merge_sort_block_merge_config_selectorIiNS0_10empty_typeEEEZZNS1_27merge_sort_block_merge_implIS3_PiPS5_jNS1_19radix_merge_compareILb1ELb1EiNS0_19identity_decomposerEEEEE10hipError_tT0_T1_T2_jT3_P12ihipStream_tbPNSt15iterator_traitsISE_E10value_typeEPNSK_ISF_E10value_typeEPSG_NS1_7vsmem_tEENKUlT_SE_SF_SG_E_clIS8_S8_S9_S9_EESD_ST_SE_SF_SG_EUlST_E_NS1_11comp_targetILNS1_3genE9ELNS1_11target_archE1100ELNS1_3gpuE3ELNS1_3repE0EEENS1_48merge_mergepath_partition_config_static_selectorELNS0_4arch9wavefront6targetE0EEEvSF_, .Lfunc_end805-_ZN7rocprim17ROCPRIM_400000_NS6detail17trampoline_kernelINS0_14default_configENS1_38merge_sort_block_merge_config_selectorIiNS0_10empty_typeEEEZZNS1_27merge_sort_block_merge_implIS3_PiPS5_jNS1_19radix_merge_compareILb1ELb1EiNS0_19identity_decomposerEEEEE10hipError_tT0_T1_T2_jT3_P12ihipStream_tbPNSt15iterator_traitsISE_E10value_typeEPNSK_ISF_E10value_typeEPSG_NS1_7vsmem_tEENKUlT_SE_SF_SG_E_clIS8_S8_S9_S9_EESD_ST_SE_SF_SG_EUlST_E_NS1_11comp_targetILNS1_3genE9ELNS1_11target_archE1100ELNS1_3gpuE3ELNS1_3repE0EEENS1_48merge_mergepath_partition_config_static_selectorELNS0_4arch9wavefront6targetE0EEEvSF_
                                        ; -- End function
	.set _ZN7rocprim17ROCPRIM_400000_NS6detail17trampoline_kernelINS0_14default_configENS1_38merge_sort_block_merge_config_selectorIiNS0_10empty_typeEEEZZNS1_27merge_sort_block_merge_implIS3_PiPS5_jNS1_19radix_merge_compareILb1ELb1EiNS0_19identity_decomposerEEEEE10hipError_tT0_T1_T2_jT3_P12ihipStream_tbPNSt15iterator_traitsISE_E10value_typeEPNSK_ISF_E10value_typeEPSG_NS1_7vsmem_tEENKUlT_SE_SF_SG_E_clIS8_S8_S9_S9_EESD_ST_SE_SF_SG_EUlST_E_NS1_11comp_targetILNS1_3genE9ELNS1_11target_archE1100ELNS1_3gpuE3ELNS1_3repE0EEENS1_48merge_mergepath_partition_config_static_selectorELNS0_4arch9wavefront6targetE0EEEvSF_.num_vgpr, 0
	.set _ZN7rocprim17ROCPRIM_400000_NS6detail17trampoline_kernelINS0_14default_configENS1_38merge_sort_block_merge_config_selectorIiNS0_10empty_typeEEEZZNS1_27merge_sort_block_merge_implIS3_PiPS5_jNS1_19radix_merge_compareILb1ELb1EiNS0_19identity_decomposerEEEEE10hipError_tT0_T1_T2_jT3_P12ihipStream_tbPNSt15iterator_traitsISE_E10value_typeEPNSK_ISF_E10value_typeEPSG_NS1_7vsmem_tEENKUlT_SE_SF_SG_E_clIS8_S8_S9_S9_EESD_ST_SE_SF_SG_EUlST_E_NS1_11comp_targetILNS1_3genE9ELNS1_11target_archE1100ELNS1_3gpuE3ELNS1_3repE0EEENS1_48merge_mergepath_partition_config_static_selectorELNS0_4arch9wavefront6targetE0EEEvSF_.num_agpr, 0
	.set _ZN7rocprim17ROCPRIM_400000_NS6detail17trampoline_kernelINS0_14default_configENS1_38merge_sort_block_merge_config_selectorIiNS0_10empty_typeEEEZZNS1_27merge_sort_block_merge_implIS3_PiPS5_jNS1_19radix_merge_compareILb1ELb1EiNS0_19identity_decomposerEEEEE10hipError_tT0_T1_T2_jT3_P12ihipStream_tbPNSt15iterator_traitsISE_E10value_typeEPNSK_ISF_E10value_typeEPSG_NS1_7vsmem_tEENKUlT_SE_SF_SG_E_clIS8_S8_S9_S9_EESD_ST_SE_SF_SG_EUlST_E_NS1_11comp_targetILNS1_3genE9ELNS1_11target_archE1100ELNS1_3gpuE3ELNS1_3repE0EEENS1_48merge_mergepath_partition_config_static_selectorELNS0_4arch9wavefront6targetE0EEEvSF_.numbered_sgpr, 0
	.set _ZN7rocprim17ROCPRIM_400000_NS6detail17trampoline_kernelINS0_14default_configENS1_38merge_sort_block_merge_config_selectorIiNS0_10empty_typeEEEZZNS1_27merge_sort_block_merge_implIS3_PiPS5_jNS1_19radix_merge_compareILb1ELb1EiNS0_19identity_decomposerEEEEE10hipError_tT0_T1_T2_jT3_P12ihipStream_tbPNSt15iterator_traitsISE_E10value_typeEPNSK_ISF_E10value_typeEPSG_NS1_7vsmem_tEENKUlT_SE_SF_SG_E_clIS8_S8_S9_S9_EESD_ST_SE_SF_SG_EUlST_E_NS1_11comp_targetILNS1_3genE9ELNS1_11target_archE1100ELNS1_3gpuE3ELNS1_3repE0EEENS1_48merge_mergepath_partition_config_static_selectorELNS0_4arch9wavefront6targetE0EEEvSF_.num_named_barrier, 0
	.set _ZN7rocprim17ROCPRIM_400000_NS6detail17trampoline_kernelINS0_14default_configENS1_38merge_sort_block_merge_config_selectorIiNS0_10empty_typeEEEZZNS1_27merge_sort_block_merge_implIS3_PiPS5_jNS1_19radix_merge_compareILb1ELb1EiNS0_19identity_decomposerEEEEE10hipError_tT0_T1_T2_jT3_P12ihipStream_tbPNSt15iterator_traitsISE_E10value_typeEPNSK_ISF_E10value_typeEPSG_NS1_7vsmem_tEENKUlT_SE_SF_SG_E_clIS8_S8_S9_S9_EESD_ST_SE_SF_SG_EUlST_E_NS1_11comp_targetILNS1_3genE9ELNS1_11target_archE1100ELNS1_3gpuE3ELNS1_3repE0EEENS1_48merge_mergepath_partition_config_static_selectorELNS0_4arch9wavefront6targetE0EEEvSF_.private_seg_size, 0
	.set _ZN7rocprim17ROCPRIM_400000_NS6detail17trampoline_kernelINS0_14default_configENS1_38merge_sort_block_merge_config_selectorIiNS0_10empty_typeEEEZZNS1_27merge_sort_block_merge_implIS3_PiPS5_jNS1_19radix_merge_compareILb1ELb1EiNS0_19identity_decomposerEEEEE10hipError_tT0_T1_T2_jT3_P12ihipStream_tbPNSt15iterator_traitsISE_E10value_typeEPNSK_ISF_E10value_typeEPSG_NS1_7vsmem_tEENKUlT_SE_SF_SG_E_clIS8_S8_S9_S9_EESD_ST_SE_SF_SG_EUlST_E_NS1_11comp_targetILNS1_3genE9ELNS1_11target_archE1100ELNS1_3gpuE3ELNS1_3repE0EEENS1_48merge_mergepath_partition_config_static_selectorELNS0_4arch9wavefront6targetE0EEEvSF_.uses_vcc, 0
	.set _ZN7rocprim17ROCPRIM_400000_NS6detail17trampoline_kernelINS0_14default_configENS1_38merge_sort_block_merge_config_selectorIiNS0_10empty_typeEEEZZNS1_27merge_sort_block_merge_implIS3_PiPS5_jNS1_19radix_merge_compareILb1ELb1EiNS0_19identity_decomposerEEEEE10hipError_tT0_T1_T2_jT3_P12ihipStream_tbPNSt15iterator_traitsISE_E10value_typeEPNSK_ISF_E10value_typeEPSG_NS1_7vsmem_tEENKUlT_SE_SF_SG_E_clIS8_S8_S9_S9_EESD_ST_SE_SF_SG_EUlST_E_NS1_11comp_targetILNS1_3genE9ELNS1_11target_archE1100ELNS1_3gpuE3ELNS1_3repE0EEENS1_48merge_mergepath_partition_config_static_selectorELNS0_4arch9wavefront6targetE0EEEvSF_.uses_flat_scratch, 0
	.set _ZN7rocprim17ROCPRIM_400000_NS6detail17trampoline_kernelINS0_14default_configENS1_38merge_sort_block_merge_config_selectorIiNS0_10empty_typeEEEZZNS1_27merge_sort_block_merge_implIS3_PiPS5_jNS1_19radix_merge_compareILb1ELb1EiNS0_19identity_decomposerEEEEE10hipError_tT0_T1_T2_jT3_P12ihipStream_tbPNSt15iterator_traitsISE_E10value_typeEPNSK_ISF_E10value_typeEPSG_NS1_7vsmem_tEENKUlT_SE_SF_SG_E_clIS8_S8_S9_S9_EESD_ST_SE_SF_SG_EUlST_E_NS1_11comp_targetILNS1_3genE9ELNS1_11target_archE1100ELNS1_3gpuE3ELNS1_3repE0EEENS1_48merge_mergepath_partition_config_static_selectorELNS0_4arch9wavefront6targetE0EEEvSF_.has_dyn_sized_stack, 0
	.set _ZN7rocprim17ROCPRIM_400000_NS6detail17trampoline_kernelINS0_14default_configENS1_38merge_sort_block_merge_config_selectorIiNS0_10empty_typeEEEZZNS1_27merge_sort_block_merge_implIS3_PiPS5_jNS1_19radix_merge_compareILb1ELb1EiNS0_19identity_decomposerEEEEE10hipError_tT0_T1_T2_jT3_P12ihipStream_tbPNSt15iterator_traitsISE_E10value_typeEPNSK_ISF_E10value_typeEPSG_NS1_7vsmem_tEENKUlT_SE_SF_SG_E_clIS8_S8_S9_S9_EESD_ST_SE_SF_SG_EUlST_E_NS1_11comp_targetILNS1_3genE9ELNS1_11target_archE1100ELNS1_3gpuE3ELNS1_3repE0EEENS1_48merge_mergepath_partition_config_static_selectorELNS0_4arch9wavefront6targetE0EEEvSF_.has_recursion, 0
	.set _ZN7rocprim17ROCPRIM_400000_NS6detail17trampoline_kernelINS0_14default_configENS1_38merge_sort_block_merge_config_selectorIiNS0_10empty_typeEEEZZNS1_27merge_sort_block_merge_implIS3_PiPS5_jNS1_19radix_merge_compareILb1ELb1EiNS0_19identity_decomposerEEEEE10hipError_tT0_T1_T2_jT3_P12ihipStream_tbPNSt15iterator_traitsISE_E10value_typeEPNSK_ISF_E10value_typeEPSG_NS1_7vsmem_tEENKUlT_SE_SF_SG_E_clIS8_S8_S9_S9_EESD_ST_SE_SF_SG_EUlST_E_NS1_11comp_targetILNS1_3genE9ELNS1_11target_archE1100ELNS1_3gpuE3ELNS1_3repE0EEENS1_48merge_mergepath_partition_config_static_selectorELNS0_4arch9wavefront6targetE0EEEvSF_.has_indirect_call, 0
	.section	.AMDGPU.csdata,"",@progbits
; Kernel info:
; codeLenInByte = 0
; TotalNumSgprs: 0
; NumVgprs: 0
; ScratchSize: 0
; MemoryBound: 0
; FloatMode: 240
; IeeeMode: 1
; LDSByteSize: 0 bytes/workgroup (compile time only)
; SGPRBlocks: 0
; VGPRBlocks: 0
; NumSGPRsForWavesPerEU: 1
; NumVGPRsForWavesPerEU: 1
; NamedBarCnt: 0
; Occupancy: 16
; WaveLimiterHint : 0
; COMPUTE_PGM_RSRC2:SCRATCH_EN: 0
; COMPUTE_PGM_RSRC2:USER_SGPR: 2
; COMPUTE_PGM_RSRC2:TRAP_HANDLER: 0
; COMPUTE_PGM_RSRC2:TGID_X_EN: 1
; COMPUTE_PGM_RSRC2:TGID_Y_EN: 0
; COMPUTE_PGM_RSRC2:TGID_Z_EN: 0
; COMPUTE_PGM_RSRC2:TIDIG_COMP_CNT: 0
	.section	.text._ZN7rocprim17ROCPRIM_400000_NS6detail17trampoline_kernelINS0_14default_configENS1_38merge_sort_block_merge_config_selectorIiNS0_10empty_typeEEEZZNS1_27merge_sort_block_merge_implIS3_PiPS5_jNS1_19radix_merge_compareILb1ELb1EiNS0_19identity_decomposerEEEEE10hipError_tT0_T1_T2_jT3_P12ihipStream_tbPNSt15iterator_traitsISE_E10value_typeEPNSK_ISF_E10value_typeEPSG_NS1_7vsmem_tEENKUlT_SE_SF_SG_E_clIS8_S8_S9_S9_EESD_ST_SE_SF_SG_EUlST_E_NS1_11comp_targetILNS1_3genE8ELNS1_11target_archE1030ELNS1_3gpuE2ELNS1_3repE0EEENS1_48merge_mergepath_partition_config_static_selectorELNS0_4arch9wavefront6targetE0EEEvSF_,"axG",@progbits,_ZN7rocprim17ROCPRIM_400000_NS6detail17trampoline_kernelINS0_14default_configENS1_38merge_sort_block_merge_config_selectorIiNS0_10empty_typeEEEZZNS1_27merge_sort_block_merge_implIS3_PiPS5_jNS1_19radix_merge_compareILb1ELb1EiNS0_19identity_decomposerEEEEE10hipError_tT0_T1_T2_jT3_P12ihipStream_tbPNSt15iterator_traitsISE_E10value_typeEPNSK_ISF_E10value_typeEPSG_NS1_7vsmem_tEENKUlT_SE_SF_SG_E_clIS8_S8_S9_S9_EESD_ST_SE_SF_SG_EUlST_E_NS1_11comp_targetILNS1_3genE8ELNS1_11target_archE1030ELNS1_3gpuE2ELNS1_3repE0EEENS1_48merge_mergepath_partition_config_static_selectorELNS0_4arch9wavefront6targetE0EEEvSF_,comdat
	.protected	_ZN7rocprim17ROCPRIM_400000_NS6detail17trampoline_kernelINS0_14default_configENS1_38merge_sort_block_merge_config_selectorIiNS0_10empty_typeEEEZZNS1_27merge_sort_block_merge_implIS3_PiPS5_jNS1_19radix_merge_compareILb1ELb1EiNS0_19identity_decomposerEEEEE10hipError_tT0_T1_T2_jT3_P12ihipStream_tbPNSt15iterator_traitsISE_E10value_typeEPNSK_ISF_E10value_typeEPSG_NS1_7vsmem_tEENKUlT_SE_SF_SG_E_clIS8_S8_S9_S9_EESD_ST_SE_SF_SG_EUlST_E_NS1_11comp_targetILNS1_3genE8ELNS1_11target_archE1030ELNS1_3gpuE2ELNS1_3repE0EEENS1_48merge_mergepath_partition_config_static_selectorELNS0_4arch9wavefront6targetE0EEEvSF_ ; -- Begin function _ZN7rocprim17ROCPRIM_400000_NS6detail17trampoline_kernelINS0_14default_configENS1_38merge_sort_block_merge_config_selectorIiNS0_10empty_typeEEEZZNS1_27merge_sort_block_merge_implIS3_PiPS5_jNS1_19radix_merge_compareILb1ELb1EiNS0_19identity_decomposerEEEEE10hipError_tT0_T1_T2_jT3_P12ihipStream_tbPNSt15iterator_traitsISE_E10value_typeEPNSK_ISF_E10value_typeEPSG_NS1_7vsmem_tEENKUlT_SE_SF_SG_E_clIS8_S8_S9_S9_EESD_ST_SE_SF_SG_EUlST_E_NS1_11comp_targetILNS1_3genE8ELNS1_11target_archE1030ELNS1_3gpuE2ELNS1_3repE0EEENS1_48merge_mergepath_partition_config_static_selectorELNS0_4arch9wavefront6targetE0EEEvSF_
	.globl	_ZN7rocprim17ROCPRIM_400000_NS6detail17trampoline_kernelINS0_14default_configENS1_38merge_sort_block_merge_config_selectorIiNS0_10empty_typeEEEZZNS1_27merge_sort_block_merge_implIS3_PiPS5_jNS1_19radix_merge_compareILb1ELb1EiNS0_19identity_decomposerEEEEE10hipError_tT0_T1_T2_jT3_P12ihipStream_tbPNSt15iterator_traitsISE_E10value_typeEPNSK_ISF_E10value_typeEPSG_NS1_7vsmem_tEENKUlT_SE_SF_SG_E_clIS8_S8_S9_S9_EESD_ST_SE_SF_SG_EUlST_E_NS1_11comp_targetILNS1_3genE8ELNS1_11target_archE1030ELNS1_3gpuE2ELNS1_3repE0EEENS1_48merge_mergepath_partition_config_static_selectorELNS0_4arch9wavefront6targetE0EEEvSF_
	.p2align	8
	.type	_ZN7rocprim17ROCPRIM_400000_NS6detail17trampoline_kernelINS0_14default_configENS1_38merge_sort_block_merge_config_selectorIiNS0_10empty_typeEEEZZNS1_27merge_sort_block_merge_implIS3_PiPS5_jNS1_19radix_merge_compareILb1ELb1EiNS0_19identity_decomposerEEEEE10hipError_tT0_T1_T2_jT3_P12ihipStream_tbPNSt15iterator_traitsISE_E10value_typeEPNSK_ISF_E10value_typeEPSG_NS1_7vsmem_tEENKUlT_SE_SF_SG_E_clIS8_S8_S9_S9_EESD_ST_SE_SF_SG_EUlST_E_NS1_11comp_targetILNS1_3genE8ELNS1_11target_archE1030ELNS1_3gpuE2ELNS1_3repE0EEENS1_48merge_mergepath_partition_config_static_selectorELNS0_4arch9wavefront6targetE0EEEvSF_,@function
_ZN7rocprim17ROCPRIM_400000_NS6detail17trampoline_kernelINS0_14default_configENS1_38merge_sort_block_merge_config_selectorIiNS0_10empty_typeEEEZZNS1_27merge_sort_block_merge_implIS3_PiPS5_jNS1_19radix_merge_compareILb1ELb1EiNS0_19identity_decomposerEEEEE10hipError_tT0_T1_T2_jT3_P12ihipStream_tbPNSt15iterator_traitsISE_E10value_typeEPNSK_ISF_E10value_typeEPSG_NS1_7vsmem_tEENKUlT_SE_SF_SG_E_clIS8_S8_S9_S9_EESD_ST_SE_SF_SG_EUlST_E_NS1_11comp_targetILNS1_3genE8ELNS1_11target_archE1030ELNS1_3gpuE2ELNS1_3repE0EEENS1_48merge_mergepath_partition_config_static_selectorELNS0_4arch9wavefront6targetE0EEEvSF_: ; @_ZN7rocprim17ROCPRIM_400000_NS6detail17trampoline_kernelINS0_14default_configENS1_38merge_sort_block_merge_config_selectorIiNS0_10empty_typeEEEZZNS1_27merge_sort_block_merge_implIS3_PiPS5_jNS1_19radix_merge_compareILb1ELb1EiNS0_19identity_decomposerEEEEE10hipError_tT0_T1_T2_jT3_P12ihipStream_tbPNSt15iterator_traitsISE_E10value_typeEPNSK_ISF_E10value_typeEPSG_NS1_7vsmem_tEENKUlT_SE_SF_SG_E_clIS8_S8_S9_S9_EESD_ST_SE_SF_SG_EUlST_E_NS1_11comp_targetILNS1_3genE8ELNS1_11target_archE1030ELNS1_3gpuE2ELNS1_3repE0EEENS1_48merge_mergepath_partition_config_static_selectorELNS0_4arch9wavefront6targetE0EEEvSF_
; %bb.0:
	.section	.rodata,"a",@progbits
	.p2align	6, 0x0
	.amdhsa_kernel _ZN7rocprim17ROCPRIM_400000_NS6detail17trampoline_kernelINS0_14default_configENS1_38merge_sort_block_merge_config_selectorIiNS0_10empty_typeEEEZZNS1_27merge_sort_block_merge_implIS3_PiPS5_jNS1_19radix_merge_compareILb1ELb1EiNS0_19identity_decomposerEEEEE10hipError_tT0_T1_T2_jT3_P12ihipStream_tbPNSt15iterator_traitsISE_E10value_typeEPNSK_ISF_E10value_typeEPSG_NS1_7vsmem_tEENKUlT_SE_SF_SG_E_clIS8_S8_S9_S9_EESD_ST_SE_SF_SG_EUlST_E_NS1_11comp_targetILNS1_3genE8ELNS1_11target_archE1030ELNS1_3gpuE2ELNS1_3repE0EEENS1_48merge_mergepath_partition_config_static_selectorELNS0_4arch9wavefront6targetE0EEEvSF_
		.amdhsa_group_segment_fixed_size 0
		.amdhsa_private_segment_fixed_size 0
		.amdhsa_kernarg_size 40
		.amdhsa_user_sgpr_count 2
		.amdhsa_user_sgpr_dispatch_ptr 0
		.amdhsa_user_sgpr_queue_ptr 0
		.amdhsa_user_sgpr_kernarg_segment_ptr 1
		.amdhsa_user_sgpr_dispatch_id 0
		.amdhsa_user_sgpr_kernarg_preload_length 0
		.amdhsa_user_sgpr_kernarg_preload_offset 0
		.amdhsa_user_sgpr_private_segment_size 0
		.amdhsa_wavefront_size32 1
		.amdhsa_uses_dynamic_stack 0
		.amdhsa_enable_private_segment 0
		.amdhsa_system_sgpr_workgroup_id_x 1
		.amdhsa_system_sgpr_workgroup_id_y 0
		.amdhsa_system_sgpr_workgroup_id_z 0
		.amdhsa_system_sgpr_workgroup_info 0
		.amdhsa_system_vgpr_workitem_id 0
		.amdhsa_next_free_vgpr 1
		.amdhsa_next_free_sgpr 1
		.amdhsa_named_barrier_count 0
		.amdhsa_reserve_vcc 0
		.amdhsa_float_round_mode_32 0
		.amdhsa_float_round_mode_16_64 0
		.amdhsa_float_denorm_mode_32 3
		.amdhsa_float_denorm_mode_16_64 3
		.amdhsa_fp16_overflow 0
		.amdhsa_memory_ordered 1
		.amdhsa_forward_progress 1
		.amdhsa_inst_pref_size 0
		.amdhsa_round_robin_scheduling 0
		.amdhsa_exception_fp_ieee_invalid_op 0
		.amdhsa_exception_fp_denorm_src 0
		.amdhsa_exception_fp_ieee_div_zero 0
		.amdhsa_exception_fp_ieee_overflow 0
		.amdhsa_exception_fp_ieee_underflow 0
		.amdhsa_exception_fp_ieee_inexact 0
		.amdhsa_exception_int_div_zero 0
	.end_amdhsa_kernel
	.section	.text._ZN7rocprim17ROCPRIM_400000_NS6detail17trampoline_kernelINS0_14default_configENS1_38merge_sort_block_merge_config_selectorIiNS0_10empty_typeEEEZZNS1_27merge_sort_block_merge_implIS3_PiPS5_jNS1_19radix_merge_compareILb1ELb1EiNS0_19identity_decomposerEEEEE10hipError_tT0_T1_T2_jT3_P12ihipStream_tbPNSt15iterator_traitsISE_E10value_typeEPNSK_ISF_E10value_typeEPSG_NS1_7vsmem_tEENKUlT_SE_SF_SG_E_clIS8_S8_S9_S9_EESD_ST_SE_SF_SG_EUlST_E_NS1_11comp_targetILNS1_3genE8ELNS1_11target_archE1030ELNS1_3gpuE2ELNS1_3repE0EEENS1_48merge_mergepath_partition_config_static_selectorELNS0_4arch9wavefront6targetE0EEEvSF_,"axG",@progbits,_ZN7rocprim17ROCPRIM_400000_NS6detail17trampoline_kernelINS0_14default_configENS1_38merge_sort_block_merge_config_selectorIiNS0_10empty_typeEEEZZNS1_27merge_sort_block_merge_implIS3_PiPS5_jNS1_19radix_merge_compareILb1ELb1EiNS0_19identity_decomposerEEEEE10hipError_tT0_T1_T2_jT3_P12ihipStream_tbPNSt15iterator_traitsISE_E10value_typeEPNSK_ISF_E10value_typeEPSG_NS1_7vsmem_tEENKUlT_SE_SF_SG_E_clIS8_S8_S9_S9_EESD_ST_SE_SF_SG_EUlST_E_NS1_11comp_targetILNS1_3genE8ELNS1_11target_archE1030ELNS1_3gpuE2ELNS1_3repE0EEENS1_48merge_mergepath_partition_config_static_selectorELNS0_4arch9wavefront6targetE0EEEvSF_,comdat
.Lfunc_end806:
	.size	_ZN7rocprim17ROCPRIM_400000_NS6detail17trampoline_kernelINS0_14default_configENS1_38merge_sort_block_merge_config_selectorIiNS0_10empty_typeEEEZZNS1_27merge_sort_block_merge_implIS3_PiPS5_jNS1_19radix_merge_compareILb1ELb1EiNS0_19identity_decomposerEEEEE10hipError_tT0_T1_T2_jT3_P12ihipStream_tbPNSt15iterator_traitsISE_E10value_typeEPNSK_ISF_E10value_typeEPSG_NS1_7vsmem_tEENKUlT_SE_SF_SG_E_clIS8_S8_S9_S9_EESD_ST_SE_SF_SG_EUlST_E_NS1_11comp_targetILNS1_3genE8ELNS1_11target_archE1030ELNS1_3gpuE2ELNS1_3repE0EEENS1_48merge_mergepath_partition_config_static_selectorELNS0_4arch9wavefront6targetE0EEEvSF_, .Lfunc_end806-_ZN7rocprim17ROCPRIM_400000_NS6detail17trampoline_kernelINS0_14default_configENS1_38merge_sort_block_merge_config_selectorIiNS0_10empty_typeEEEZZNS1_27merge_sort_block_merge_implIS3_PiPS5_jNS1_19radix_merge_compareILb1ELb1EiNS0_19identity_decomposerEEEEE10hipError_tT0_T1_T2_jT3_P12ihipStream_tbPNSt15iterator_traitsISE_E10value_typeEPNSK_ISF_E10value_typeEPSG_NS1_7vsmem_tEENKUlT_SE_SF_SG_E_clIS8_S8_S9_S9_EESD_ST_SE_SF_SG_EUlST_E_NS1_11comp_targetILNS1_3genE8ELNS1_11target_archE1030ELNS1_3gpuE2ELNS1_3repE0EEENS1_48merge_mergepath_partition_config_static_selectorELNS0_4arch9wavefront6targetE0EEEvSF_
                                        ; -- End function
	.set _ZN7rocprim17ROCPRIM_400000_NS6detail17trampoline_kernelINS0_14default_configENS1_38merge_sort_block_merge_config_selectorIiNS0_10empty_typeEEEZZNS1_27merge_sort_block_merge_implIS3_PiPS5_jNS1_19radix_merge_compareILb1ELb1EiNS0_19identity_decomposerEEEEE10hipError_tT0_T1_T2_jT3_P12ihipStream_tbPNSt15iterator_traitsISE_E10value_typeEPNSK_ISF_E10value_typeEPSG_NS1_7vsmem_tEENKUlT_SE_SF_SG_E_clIS8_S8_S9_S9_EESD_ST_SE_SF_SG_EUlST_E_NS1_11comp_targetILNS1_3genE8ELNS1_11target_archE1030ELNS1_3gpuE2ELNS1_3repE0EEENS1_48merge_mergepath_partition_config_static_selectorELNS0_4arch9wavefront6targetE0EEEvSF_.num_vgpr, 0
	.set _ZN7rocprim17ROCPRIM_400000_NS6detail17trampoline_kernelINS0_14default_configENS1_38merge_sort_block_merge_config_selectorIiNS0_10empty_typeEEEZZNS1_27merge_sort_block_merge_implIS3_PiPS5_jNS1_19radix_merge_compareILb1ELb1EiNS0_19identity_decomposerEEEEE10hipError_tT0_T1_T2_jT3_P12ihipStream_tbPNSt15iterator_traitsISE_E10value_typeEPNSK_ISF_E10value_typeEPSG_NS1_7vsmem_tEENKUlT_SE_SF_SG_E_clIS8_S8_S9_S9_EESD_ST_SE_SF_SG_EUlST_E_NS1_11comp_targetILNS1_3genE8ELNS1_11target_archE1030ELNS1_3gpuE2ELNS1_3repE0EEENS1_48merge_mergepath_partition_config_static_selectorELNS0_4arch9wavefront6targetE0EEEvSF_.num_agpr, 0
	.set _ZN7rocprim17ROCPRIM_400000_NS6detail17trampoline_kernelINS0_14default_configENS1_38merge_sort_block_merge_config_selectorIiNS0_10empty_typeEEEZZNS1_27merge_sort_block_merge_implIS3_PiPS5_jNS1_19radix_merge_compareILb1ELb1EiNS0_19identity_decomposerEEEEE10hipError_tT0_T1_T2_jT3_P12ihipStream_tbPNSt15iterator_traitsISE_E10value_typeEPNSK_ISF_E10value_typeEPSG_NS1_7vsmem_tEENKUlT_SE_SF_SG_E_clIS8_S8_S9_S9_EESD_ST_SE_SF_SG_EUlST_E_NS1_11comp_targetILNS1_3genE8ELNS1_11target_archE1030ELNS1_3gpuE2ELNS1_3repE0EEENS1_48merge_mergepath_partition_config_static_selectorELNS0_4arch9wavefront6targetE0EEEvSF_.numbered_sgpr, 0
	.set _ZN7rocprim17ROCPRIM_400000_NS6detail17trampoline_kernelINS0_14default_configENS1_38merge_sort_block_merge_config_selectorIiNS0_10empty_typeEEEZZNS1_27merge_sort_block_merge_implIS3_PiPS5_jNS1_19radix_merge_compareILb1ELb1EiNS0_19identity_decomposerEEEEE10hipError_tT0_T1_T2_jT3_P12ihipStream_tbPNSt15iterator_traitsISE_E10value_typeEPNSK_ISF_E10value_typeEPSG_NS1_7vsmem_tEENKUlT_SE_SF_SG_E_clIS8_S8_S9_S9_EESD_ST_SE_SF_SG_EUlST_E_NS1_11comp_targetILNS1_3genE8ELNS1_11target_archE1030ELNS1_3gpuE2ELNS1_3repE0EEENS1_48merge_mergepath_partition_config_static_selectorELNS0_4arch9wavefront6targetE0EEEvSF_.num_named_barrier, 0
	.set _ZN7rocprim17ROCPRIM_400000_NS6detail17trampoline_kernelINS0_14default_configENS1_38merge_sort_block_merge_config_selectorIiNS0_10empty_typeEEEZZNS1_27merge_sort_block_merge_implIS3_PiPS5_jNS1_19radix_merge_compareILb1ELb1EiNS0_19identity_decomposerEEEEE10hipError_tT0_T1_T2_jT3_P12ihipStream_tbPNSt15iterator_traitsISE_E10value_typeEPNSK_ISF_E10value_typeEPSG_NS1_7vsmem_tEENKUlT_SE_SF_SG_E_clIS8_S8_S9_S9_EESD_ST_SE_SF_SG_EUlST_E_NS1_11comp_targetILNS1_3genE8ELNS1_11target_archE1030ELNS1_3gpuE2ELNS1_3repE0EEENS1_48merge_mergepath_partition_config_static_selectorELNS0_4arch9wavefront6targetE0EEEvSF_.private_seg_size, 0
	.set _ZN7rocprim17ROCPRIM_400000_NS6detail17trampoline_kernelINS0_14default_configENS1_38merge_sort_block_merge_config_selectorIiNS0_10empty_typeEEEZZNS1_27merge_sort_block_merge_implIS3_PiPS5_jNS1_19radix_merge_compareILb1ELb1EiNS0_19identity_decomposerEEEEE10hipError_tT0_T1_T2_jT3_P12ihipStream_tbPNSt15iterator_traitsISE_E10value_typeEPNSK_ISF_E10value_typeEPSG_NS1_7vsmem_tEENKUlT_SE_SF_SG_E_clIS8_S8_S9_S9_EESD_ST_SE_SF_SG_EUlST_E_NS1_11comp_targetILNS1_3genE8ELNS1_11target_archE1030ELNS1_3gpuE2ELNS1_3repE0EEENS1_48merge_mergepath_partition_config_static_selectorELNS0_4arch9wavefront6targetE0EEEvSF_.uses_vcc, 0
	.set _ZN7rocprim17ROCPRIM_400000_NS6detail17trampoline_kernelINS0_14default_configENS1_38merge_sort_block_merge_config_selectorIiNS0_10empty_typeEEEZZNS1_27merge_sort_block_merge_implIS3_PiPS5_jNS1_19radix_merge_compareILb1ELb1EiNS0_19identity_decomposerEEEEE10hipError_tT0_T1_T2_jT3_P12ihipStream_tbPNSt15iterator_traitsISE_E10value_typeEPNSK_ISF_E10value_typeEPSG_NS1_7vsmem_tEENKUlT_SE_SF_SG_E_clIS8_S8_S9_S9_EESD_ST_SE_SF_SG_EUlST_E_NS1_11comp_targetILNS1_3genE8ELNS1_11target_archE1030ELNS1_3gpuE2ELNS1_3repE0EEENS1_48merge_mergepath_partition_config_static_selectorELNS0_4arch9wavefront6targetE0EEEvSF_.uses_flat_scratch, 0
	.set _ZN7rocprim17ROCPRIM_400000_NS6detail17trampoline_kernelINS0_14default_configENS1_38merge_sort_block_merge_config_selectorIiNS0_10empty_typeEEEZZNS1_27merge_sort_block_merge_implIS3_PiPS5_jNS1_19radix_merge_compareILb1ELb1EiNS0_19identity_decomposerEEEEE10hipError_tT0_T1_T2_jT3_P12ihipStream_tbPNSt15iterator_traitsISE_E10value_typeEPNSK_ISF_E10value_typeEPSG_NS1_7vsmem_tEENKUlT_SE_SF_SG_E_clIS8_S8_S9_S9_EESD_ST_SE_SF_SG_EUlST_E_NS1_11comp_targetILNS1_3genE8ELNS1_11target_archE1030ELNS1_3gpuE2ELNS1_3repE0EEENS1_48merge_mergepath_partition_config_static_selectorELNS0_4arch9wavefront6targetE0EEEvSF_.has_dyn_sized_stack, 0
	.set _ZN7rocprim17ROCPRIM_400000_NS6detail17trampoline_kernelINS0_14default_configENS1_38merge_sort_block_merge_config_selectorIiNS0_10empty_typeEEEZZNS1_27merge_sort_block_merge_implIS3_PiPS5_jNS1_19radix_merge_compareILb1ELb1EiNS0_19identity_decomposerEEEEE10hipError_tT0_T1_T2_jT3_P12ihipStream_tbPNSt15iterator_traitsISE_E10value_typeEPNSK_ISF_E10value_typeEPSG_NS1_7vsmem_tEENKUlT_SE_SF_SG_E_clIS8_S8_S9_S9_EESD_ST_SE_SF_SG_EUlST_E_NS1_11comp_targetILNS1_3genE8ELNS1_11target_archE1030ELNS1_3gpuE2ELNS1_3repE0EEENS1_48merge_mergepath_partition_config_static_selectorELNS0_4arch9wavefront6targetE0EEEvSF_.has_recursion, 0
	.set _ZN7rocprim17ROCPRIM_400000_NS6detail17trampoline_kernelINS0_14default_configENS1_38merge_sort_block_merge_config_selectorIiNS0_10empty_typeEEEZZNS1_27merge_sort_block_merge_implIS3_PiPS5_jNS1_19radix_merge_compareILb1ELb1EiNS0_19identity_decomposerEEEEE10hipError_tT0_T1_T2_jT3_P12ihipStream_tbPNSt15iterator_traitsISE_E10value_typeEPNSK_ISF_E10value_typeEPSG_NS1_7vsmem_tEENKUlT_SE_SF_SG_E_clIS8_S8_S9_S9_EESD_ST_SE_SF_SG_EUlST_E_NS1_11comp_targetILNS1_3genE8ELNS1_11target_archE1030ELNS1_3gpuE2ELNS1_3repE0EEENS1_48merge_mergepath_partition_config_static_selectorELNS0_4arch9wavefront6targetE0EEEvSF_.has_indirect_call, 0
	.section	.AMDGPU.csdata,"",@progbits
; Kernel info:
; codeLenInByte = 0
; TotalNumSgprs: 0
; NumVgprs: 0
; ScratchSize: 0
; MemoryBound: 0
; FloatMode: 240
; IeeeMode: 1
; LDSByteSize: 0 bytes/workgroup (compile time only)
; SGPRBlocks: 0
; VGPRBlocks: 0
; NumSGPRsForWavesPerEU: 1
; NumVGPRsForWavesPerEU: 1
; NamedBarCnt: 0
; Occupancy: 16
; WaveLimiterHint : 0
; COMPUTE_PGM_RSRC2:SCRATCH_EN: 0
; COMPUTE_PGM_RSRC2:USER_SGPR: 2
; COMPUTE_PGM_RSRC2:TRAP_HANDLER: 0
; COMPUTE_PGM_RSRC2:TGID_X_EN: 1
; COMPUTE_PGM_RSRC2:TGID_Y_EN: 0
; COMPUTE_PGM_RSRC2:TGID_Z_EN: 0
; COMPUTE_PGM_RSRC2:TIDIG_COMP_CNT: 0
	.section	.text._ZN7rocprim17ROCPRIM_400000_NS6detail17trampoline_kernelINS0_14default_configENS1_38merge_sort_block_merge_config_selectorIiNS0_10empty_typeEEEZZNS1_27merge_sort_block_merge_implIS3_PiPS5_jNS1_19radix_merge_compareILb1ELb1EiNS0_19identity_decomposerEEEEE10hipError_tT0_T1_T2_jT3_P12ihipStream_tbPNSt15iterator_traitsISE_E10value_typeEPNSK_ISF_E10value_typeEPSG_NS1_7vsmem_tEENKUlT_SE_SF_SG_E_clIS8_S8_S9_S9_EESD_ST_SE_SF_SG_EUlST_E0_NS1_11comp_targetILNS1_3genE0ELNS1_11target_archE4294967295ELNS1_3gpuE0ELNS1_3repE0EEENS1_38merge_mergepath_config_static_selectorELNS0_4arch9wavefront6targetE0EEEvSF_,"axG",@progbits,_ZN7rocprim17ROCPRIM_400000_NS6detail17trampoline_kernelINS0_14default_configENS1_38merge_sort_block_merge_config_selectorIiNS0_10empty_typeEEEZZNS1_27merge_sort_block_merge_implIS3_PiPS5_jNS1_19radix_merge_compareILb1ELb1EiNS0_19identity_decomposerEEEEE10hipError_tT0_T1_T2_jT3_P12ihipStream_tbPNSt15iterator_traitsISE_E10value_typeEPNSK_ISF_E10value_typeEPSG_NS1_7vsmem_tEENKUlT_SE_SF_SG_E_clIS8_S8_S9_S9_EESD_ST_SE_SF_SG_EUlST_E0_NS1_11comp_targetILNS1_3genE0ELNS1_11target_archE4294967295ELNS1_3gpuE0ELNS1_3repE0EEENS1_38merge_mergepath_config_static_selectorELNS0_4arch9wavefront6targetE0EEEvSF_,comdat
	.protected	_ZN7rocprim17ROCPRIM_400000_NS6detail17trampoline_kernelINS0_14default_configENS1_38merge_sort_block_merge_config_selectorIiNS0_10empty_typeEEEZZNS1_27merge_sort_block_merge_implIS3_PiPS5_jNS1_19radix_merge_compareILb1ELb1EiNS0_19identity_decomposerEEEEE10hipError_tT0_T1_T2_jT3_P12ihipStream_tbPNSt15iterator_traitsISE_E10value_typeEPNSK_ISF_E10value_typeEPSG_NS1_7vsmem_tEENKUlT_SE_SF_SG_E_clIS8_S8_S9_S9_EESD_ST_SE_SF_SG_EUlST_E0_NS1_11comp_targetILNS1_3genE0ELNS1_11target_archE4294967295ELNS1_3gpuE0ELNS1_3repE0EEENS1_38merge_mergepath_config_static_selectorELNS0_4arch9wavefront6targetE0EEEvSF_ ; -- Begin function _ZN7rocprim17ROCPRIM_400000_NS6detail17trampoline_kernelINS0_14default_configENS1_38merge_sort_block_merge_config_selectorIiNS0_10empty_typeEEEZZNS1_27merge_sort_block_merge_implIS3_PiPS5_jNS1_19radix_merge_compareILb1ELb1EiNS0_19identity_decomposerEEEEE10hipError_tT0_T1_T2_jT3_P12ihipStream_tbPNSt15iterator_traitsISE_E10value_typeEPNSK_ISF_E10value_typeEPSG_NS1_7vsmem_tEENKUlT_SE_SF_SG_E_clIS8_S8_S9_S9_EESD_ST_SE_SF_SG_EUlST_E0_NS1_11comp_targetILNS1_3genE0ELNS1_11target_archE4294967295ELNS1_3gpuE0ELNS1_3repE0EEENS1_38merge_mergepath_config_static_selectorELNS0_4arch9wavefront6targetE0EEEvSF_
	.globl	_ZN7rocprim17ROCPRIM_400000_NS6detail17trampoline_kernelINS0_14default_configENS1_38merge_sort_block_merge_config_selectorIiNS0_10empty_typeEEEZZNS1_27merge_sort_block_merge_implIS3_PiPS5_jNS1_19radix_merge_compareILb1ELb1EiNS0_19identity_decomposerEEEEE10hipError_tT0_T1_T2_jT3_P12ihipStream_tbPNSt15iterator_traitsISE_E10value_typeEPNSK_ISF_E10value_typeEPSG_NS1_7vsmem_tEENKUlT_SE_SF_SG_E_clIS8_S8_S9_S9_EESD_ST_SE_SF_SG_EUlST_E0_NS1_11comp_targetILNS1_3genE0ELNS1_11target_archE4294967295ELNS1_3gpuE0ELNS1_3repE0EEENS1_38merge_mergepath_config_static_selectorELNS0_4arch9wavefront6targetE0EEEvSF_
	.p2align	8
	.type	_ZN7rocprim17ROCPRIM_400000_NS6detail17trampoline_kernelINS0_14default_configENS1_38merge_sort_block_merge_config_selectorIiNS0_10empty_typeEEEZZNS1_27merge_sort_block_merge_implIS3_PiPS5_jNS1_19radix_merge_compareILb1ELb1EiNS0_19identity_decomposerEEEEE10hipError_tT0_T1_T2_jT3_P12ihipStream_tbPNSt15iterator_traitsISE_E10value_typeEPNSK_ISF_E10value_typeEPSG_NS1_7vsmem_tEENKUlT_SE_SF_SG_E_clIS8_S8_S9_S9_EESD_ST_SE_SF_SG_EUlST_E0_NS1_11comp_targetILNS1_3genE0ELNS1_11target_archE4294967295ELNS1_3gpuE0ELNS1_3repE0EEENS1_38merge_mergepath_config_static_selectorELNS0_4arch9wavefront6targetE0EEEvSF_,@function
_ZN7rocprim17ROCPRIM_400000_NS6detail17trampoline_kernelINS0_14default_configENS1_38merge_sort_block_merge_config_selectorIiNS0_10empty_typeEEEZZNS1_27merge_sort_block_merge_implIS3_PiPS5_jNS1_19radix_merge_compareILb1ELb1EiNS0_19identity_decomposerEEEEE10hipError_tT0_T1_T2_jT3_P12ihipStream_tbPNSt15iterator_traitsISE_E10value_typeEPNSK_ISF_E10value_typeEPSG_NS1_7vsmem_tEENKUlT_SE_SF_SG_E_clIS8_S8_S9_S9_EESD_ST_SE_SF_SG_EUlST_E0_NS1_11comp_targetILNS1_3genE0ELNS1_11target_archE4294967295ELNS1_3gpuE0ELNS1_3repE0EEENS1_38merge_mergepath_config_static_selectorELNS0_4arch9wavefront6targetE0EEEvSF_: ; @_ZN7rocprim17ROCPRIM_400000_NS6detail17trampoline_kernelINS0_14default_configENS1_38merge_sort_block_merge_config_selectorIiNS0_10empty_typeEEEZZNS1_27merge_sort_block_merge_implIS3_PiPS5_jNS1_19radix_merge_compareILb1ELb1EiNS0_19identity_decomposerEEEEE10hipError_tT0_T1_T2_jT3_P12ihipStream_tbPNSt15iterator_traitsISE_E10value_typeEPNSK_ISF_E10value_typeEPSG_NS1_7vsmem_tEENKUlT_SE_SF_SG_E_clIS8_S8_S9_S9_EESD_ST_SE_SF_SG_EUlST_E0_NS1_11comp_targetILNS1_3genE0ELNS1_11target_archE4294967295ELNS1_3gpuE0ELNS1_3repE0EEENS1_38merge_mergepath_config_static_selectorELNS0_4arch9wavefront6targetE0EEEvSF_
; %bb.0:
	s_bfe_u32 s2, ttmp6, 0x40010
	s_and_b32 s4, ttmp7, 0xffff
	s_add_co_i32 s5, s2, 1
	s_clause 0x1
	s_load_b64 s[10:11], s[0:1], 0x30
	s_load_b64 s[2:3], s[0:1], 0x40
	s_bfe_u32 s7, ttmp6, 0x4000c
	s_mul_i32 s5, s4, s5
	s_bfe_u32 s6, ttmp6, 0x40004
	s_add_co_i32 s7, s7, 1
	s_bfe_u32 s8, ttmp6, 0x40014
	s_add_co_i32 s6, s6, s5
	s_and_b32 s5, ttmp6, 15
	s_mul_i32 s7, ttmp9, s7
	s_lshr_b32 s9, ttmp7, 16
	s_add_co_i32 s8, s8, 1
	s_add_co_i32 s5, s5, s7
	s_mul_i32 s7, s9, s8
	s_bfe_u32 s8, ttmp6, 0x40008
	s_getreg_b32 s12, hwreg(HW_REG_IB_STS2, 6, 4)
	s_add_co_i32 s8, s8, s7
	s_cmp_eq_u32 s12, 0
	s_cselect_b32 s7, s9, s8
	s_cselect_b32 s4, s4, s6
	s_wait_kmcnt 0x0
	s_mul_i32 s7, s3, s7
	s_cselect_b32 s3, ttmp9, s5
	s_add_co_i32 s4, s7, s4
	s_mov_b32 s5, 0
	s_mul_i32 s4, s4, s2
	s_delay_alu instid0(SALU_CYCLE_1) | instskip(NEXT) | instid1(SALU_CYCLE_1)
	s_add_co_i32 s4, s4, s3
	s_cmp_ge_u32 s4, s10
	s_cbranch_scc1 .LBB807_43
; %bb.1:
	v_mov_b32_e32 v11, 0
	s_add_nc_u64 s[6:7], s[0:1], 64
	v_lshlrev_b32_e32 v10, 2, v0
	global_load_b32 v1, v11, s[6:7] offset:14
	s_clause 0x2
	s_load_b64 s[8:9], s[0:1], 0x28
	s_load_b64 s[12:13], s[0:1], 0x38
	;; [unrolled: 1-line block ×3, first 2 shown]
	s_wait_kmcnt 0x0
	s_lshr_b32 s15, s8, 10
	s_delay_alu instid0(SALU_CYCLE_1)
	s_cmp_lg_u32 s4, s15
	s_cselect_b32 s14, -1, 0
	s_lshl_b64 s[16:17], s[4:5], 2
	s_lshr_b32 s10, s9, 9
	s_add_nc_u64 s[12:13], s[12:13], s[16:17]
	s_and_b32 s10, s10, 0x7ffffe
	s_load_b64 s[16:17], s[12:13], 0x0
	s_wait_xcnt 0x0
	s_sub_co_i32 s12, 0, s10
	s_lshl_b32 s10, s4, 10
	s_and_b32 s13, s4, s12
	s_or_b32 s20, s4, s12
	s_lshl_b32 s12, s13, 11
	s_lshl_b32 s13, s13, 10
	s_add_co_i32 s12, s12, s9
	s_sub_co_i32 s21, s10, s13
	s_sub_co_i32 s13, s12, s13
	s_add_co_i32 s12, s12, s21
	s_min_u32 s21, s8, s13
	s_add_co_i32 s9, s13, s9
	s_wait_kmcnt 0x0
	s_sub_co_i32 s13, s12, s16
	s_sub_co_i32 s22, s12, s17
	s_min_u32 s12, s8, s13
	s_addk_co_i32 s22, 0x400
	s_cmp_eq_u32 s20, -1
	s_mov_b32 s13, s5
	s_cselect_b32 s9, s9, s22
	s_cselect_b32 s22, s21, s17
	s_mov_b32 s17, s5
	s_lshl_b64 s[20:21], s[12:13], 2
	s_min_u32 s13, s9, s8
	s_sub_co_i32 s9, s22, s16
	s_lshl_b64 s[22:23], s[16:17], 2
	s_sub_co_i32 s16, s13, s12
	s_cmp_lt_u32 s3, s2
	s_mov_b32 s3, s5
	s_cselect_b32 s2, 12, 18
	s_add_nc_u64 s[12:13], s[18:19], s[22:23]
	s_add_nc_u64 s[2:3], s[6:7], s[2:3]
	s_cmp_eq_u32 s4, s15
	s_load_u16 s2, s[2:3], 0x0
	s_add_nc_u64 s[6:7], s[18:19], s[20:21]
	s_wait_loadcnt 0x0
	v_lshrrev_b32_e32 v2, 16, v1
	v_and_b32_e32 v1, 0xffff, v1
	s_delay_alu instid0(VALU_DEP_1) | instskip(SKIP_1) | instid1(VALU_DEP_1)
	v_mul_lo_u32 v1, v1, v2
	s_wait_kmcnt 0x0
	v_mul_lo_u32 v1, v1, s2
	s_mov_b32 s2, -1
	s_delay_alu instid0(VALU_DEP_1) | instskip(NEXT) | instid1(VALU_DEP_1)
	v_add_nc_u32_e32 v14, v1, v0
	v_add_nc_u32_e32 v12, v14, v1
	s_cbranch_scc1 .LBB807_3
; %bb.2:
	v_sub_co_u32 v4, vcc_lo, v0, s9
	v_dual_mov_b32 v5, v11 :: v_dual_mov_b32 v15, v11
	v_add_nc_u64_e32 v[2:3], s[12:13], v[10:11]
	v_sub_co_u32 v8, s2, v14, s9
	s_delay_alu instid0(VALU_DEP_3) | instskip(SKIP_3) | instid1(VALU_DEP_4)
	v_lshl_add_u64 v[4:5], v[4:5], 2, s[6:7]
	v_dual_mov_b32 v9, v11 :: v_dual_mov_b32 v13, v11
	v_lshl_add_u64 v[6:7], v[14:15], 2, s[12:13]
	v_dual_mov_b32 v17, v11 :: v_dual_add_nc_u32 v18, v12, v1
	v_dual_cndmask_b32 v3, v5, v3 :: v_dual_cndmask_b32 v2, v4, v2
	s_delay_alu instid0(VALU_DEP_4) | instskip(SKIP_3) | instid1(VALU_DEP_4)
	v_lshl_add_u64 v[4:5], v[8:9], 2, s[6:7]
	v_sub_co_u32 v16, vcc_lo, v12, s9
	v_mov_b32_e32 v19, v11
	v_lshl_add_u64 v[8:9], v[12:13], 2, s[12:13]
	v_dual_cndmask_b32 v5, v5, v7, s2 :: v_dual_cndmask_b32 v4, v4, v6, s2
	v_mov_b32_e32 v21, v11
	v_lshl_add_u64 v[6:7], v[16:17], 2, s[6:7]
	v_lshl_add_u64 v[16:17], v[18:19], 2, s[12:13]
	v_sub_co_u32 v20, s2, v18, s9
	v_dual_mov_b32 v23, v11 :: v_dual_add_nc_u32 v18, v18, v1
	global_load_b32 v2, v[2:3], off
	global_load_b32 v3, v[4:5], off
	s_wait_xcnt 0x0
	v_dual_cndmask_b32 v5, v7, v9 :: v_dual_cndmask_b32 v4, v6, v8
	v_lshl_add_u64 v[6:7], v[20:21], 2, s[6:7]
	v_lshl_add_u64 v[8:9], v[18:19], 2, s[12:13]
	v_sub_co_u32 v20, vcc_lo, v18, s9
	v_dual_mov_b32 v25, v11 :: v_dual_add_nc_u32 v18, v18, v1
	s_delay_alu instid0(VALU_DEP_4) | instskip(NEXT) | instid1(VALU_DEP_3)
	v_dual_cndmask_b32 v17, v7, v17, s2 :: v_dual_cndmask_b32 v16, v6, v16, s2
	v_lshl_add_u64 v[6:7], v[20:21], 2, s[6:7]
	s_delay_alu instid0(VALU_DEP_3) | instskip(SKIP_2) | instid1(VALU_DEP_4)
	v_lshl_add_u64 v[20:21], v[18:19], 2, s[12:13]
	v_add_nc_u32_e32 v22, v18, v1
	v_sub_co_u32 v18, s2, v18, s9
	v_dual_cndmask_b32 v31, v7, v9 :: v_dual_cndmask_b32 v30, v6, v8
	global_load_b32 v4, v[4:5], off
	v_lshl_add_u64 v[18:19], v[18:19], 2, s[6:7]
	s_add_co_i32 s15, s16, s9
	s_delay_alu instid0(VALU_DEP_1) | instskip(SKIP_3) | instid1(VALU_DEP_1)
	v_cndmask_b32_e64 v18, v18, v20, s2
	v_lshl_add_u64 v[26:27], v[22:23], 2, s[12:13]
	v_add_nc_u32_e32 v24, v22, v1
	v_sub_co_u32 v22, s3, v22, s9
	v_lshl_add_u64 v[22:23], v[22:23], 2, s[6:7]
	v_cndmask_b32_e64 v19, v19, v21, s2
	s_delay_alu instid0(VALU_DEP_2) | instskip(SKIP_3) | instid1(VALU_DEP_2)
	v_cndmask_b32_e64 v21, v23, v27, s3
	v_lshl_add_u64 v[28:29], v[24:25], 2, s[12:13]
	v_sub_co_u32 v24, s4, v24, s9
	v_cndmask_b32_e64 v20, v22, v26, s3
	v_lshl_add_u64 v[6:7], v[24:25], 2, s[6:7]
	s_delay_alu instid0(VALU_DEP_1)
	v_dual_cndmask_b32 v23, v7, v29, s4 :: v_dual_cndmask_b32 v22, v6, v28, s4
	global_load_b32 v5, v[16:17], off
	global_load_b32 v6, v[30:31], off
	;; [unrolled: 1-line block ×5, first 2 shown]
	s_cbranch_execz .LBB807_4
	s_branch .LBB807_19
.LBB807_3:
                                        ; implicit-def: $vgpr2_vgpr3_vgpr4_vgpr5_vgpr6_vgpr7_vgpr8_vgpr9
                                        ; implicit-def: $sgpr15
	s_and_not1_b32 vcc_lo, exec_lo, s2
	s_cbranch_vccnz .LBB807_19
.LBB807_4:
	s_wait_loadcnt 0x7
	v_mov_b32_e32 v2, 0
	s_add_co_i32 s15, s16, s9
	s_mov_b32 s2, exec_lo
	s_wait_loadcnt 0x5
	s_delay_alu instid0(VALU_DEP_1)
	v_dual_mov_b32 v3, v2 :: v_dual_mov_b32 v4, v2
	s_wait_loadcnt 0x3
	v_dual_mov_b32 v5, v2 :: v_dual_mov_b32 v6, v2
	s_wait_loadcnt 0x1
	;; [unrolled: 2-line block ×3, first 2 shown]
	v_mov_b32_e32 v9, v2
	v_cmpx_gt_u32_e64 s15, v0
	s_cbranch_execnz .LBB807_44
; %bb.5:
	s_or_b32 exec_lo, exec_lo, s2
	s_delay_alu instid0(SALU_CYCLE_1)
	s_mov_b32 s2, exec_lo
	v_cmpx_gt_u32_e64 s15, v14
	s_cbranch_execnz .LBB807_45
.LBB807_6:
	s_or_b32 exec_lo, exec_lo, s2
	s_delay_alu instid0(SALU_CYCLE_1)
	s_mov_b32 s2, exec_lo
	v_cmpx_gt_u32_e64 s15, v12
	s_cbranch_execz .LBB807_8
.LBB807_7:
	v_sub_co_u32 v16, vcc_lo, v12, s9
	v_mov_b32_e32 v13, 0
	s_delay_alu instid0(VALU_DEP_1) | instskip(SKIP_1) | instid1(VALU_DEP_1)
	v_lshl_add_u64 v[14:15], v[12:13], 2, s[12:13]
	v_mov_b32_e32 v17, v13
	v_lshl_add_u64 v[16:17], v[16:17], 2, s[6:7]
	s_delay_alu instid0(VALU_DEP_1)
	v_dual_cndmask_b32 v15, v17, v15 :: v_dual_cndmask_b32 v14, v16, v14
	global_load_b32 v4, v[14:15], off
.LBB807_8:
	s_wait_xcnt 0x0
	s_or_b32 exec_lo, exec_lo, s2
	v_add_nc_u32_e32 v12, v12, v1
	s_mov_b32 s2, exec_lo
	s_delay_alu instid0(VALU_DEP_1)
	v_cmpx_gt_u32_e64 s15, v12
	s_cbranch_execz .LBB807_10
; %bb.9:
	v_sub_co_u32 v16, vcc_lo, v12, s9
	v_mov_b32_e32 v13, 0
	s_delay_alu instid0(VALU_DEP_1) | instskip(SKIP_1) | instid1(VALU_DEP_1)
	v_lshl_add_u64 v[14:15], v[12:13], 2, s[12:13]
	v_mov_b32_e32 v17, v13
	v_lshl_add_u64 v[16:17], v[16:17], 2, s[6:7]
	s_delay_alu instid0(VALU_DEP_1)
	v_dual_cndmask_b32 v15, v17, v15 :: v_dual_cndmask_b32 v14, v16, v14
	global_load_b32 v5, v[14:15], off
.LBB807_10:
	s_wait_xcnt 0x0
	s_or_b32 exec_lo, exec_lo, s2
	v_add_nc_u32_e32 v12, v12, v1
	s_mov_b32 s2, exec_lo
	s_delay_alu instid0(VALU_DEP_1)
	v_cmpx_gt_u32_e64 s15, v12
	s_cbranch_execz .LBB807_12
; %bb.11:
	v_sub_co_u32 v16, vcc_lo, v12, s9
	v_mov_b32_e32 v13, 0
	s_delay_alu instid0(VALU_DEP_1) | instskip(SKIP_1) | instid1(VALU_DEP_1)
	v_lshl_add_u64 v[14:15], v[12:13], 2, s[12:13]
	v_mov_b32_e32 v17, v13
	v_lshl_add_u64 v[16:17], v[16:17], 2, s[6:7]
	s_delay_alu instid0(VALU_DEP_1)
	v_dual_cndmask_b32 v15, v17, v15 :: v_dual_cndmask_b32 v14, v16, v14
	global_load_b32 v6, v[14:15], off
.LBB807_12:
	;; [unrolled: 18-line block ×4, first 2 shown]
	s_wait_xcnt 0x0
	s_or_b32 exec_lo, exec_lo, s2
	v_add_nc_u32_e32 v12, v12, v1
	s_mov_b32 s2, exec_lo
	s_delay_alu instid0(VALU_DEP_1)
	v_cmpx_gt_u32_e64 s15, v12
	s_cbranch_execz .LBB807_18
; %bb.17:
	v_mov_b32_e32 v13, 0
	s_delay_alu instid0(VALU_DEP_1) | instskip(SKIP_1) | instid1(VALU_DEP_1)
	v_lshl_add_u64 v[14:15], v[12:13], 2, s[12:13]
	v_sub_co_u32 v12, vcc_lo, v12, s9
	v_lshl_add_u64 v[12:13], v[12:13], 2, s[6:7]
	s_delay_alu instid0(VALU_DEP_1)
	v_dual_cndmask_b32 v13, v13, v15 :: v_dual_cndmask_b32 v12, v12, v14
	global_load_b32 v9, v[12:13], off
.LBB807_18:
	s_wait_xcnt 0x0
	s_or_b32 exec_lo, exec_lo, s2
.LBB807_19:
	s_load_b64 s[12:13], s[0:1], 0x10
	v_lshlrev_b32_e32 v1, 3, v0
	s_wait_xcnt 0x0
	s_mov_b32 s0, exec_lo
	s_wait_loadcnt 0x0
	ds_store_2addr_stride64_b32 v10, v2, v3 offset1:2
	ds_store_2addr_stride64_b32 v10, v4, v5 offset0:4 offset1:6
	ds_store_2addr_stride64_b32 v10, v6, v7 offset0:8 offset1:10
	;; [unrolled: 1-line block ×3, first 2 shown]
	s_wait_dscnt 0x0
	s_barrier_signal -1
	v_min_u32_e32 v12, s15, v1
	s_barrier_wait -1
	s_delay_alu instid0(VALU_DEP_1) | instskip(SKIP_1) | instid1(VALU_DEP_1)
	v_sub_nc_u32_e64 v11, v12, s16 clamp
	v_min_u32_e32 v13, s9, v12
	v_cmpx_lt_u32_e64 v11, v13
	s_cbranch_execz .LBB807_23
; %bb.20:
	v_lshlrev_b32_e32 v14, 2, v12
	s_mov_b32 s1, 0
	s_delay_alu instid0(VALU_DEP_1)
	v_lshl_add_u32 v14, s9, 2, v14
.LBB807_21:                             ; =>This Inner Loop Header: Depth=1
	v_add_nc_u32_e32 v15, v13, v11
	s_delay_alu instid0(VALU_DEP_1) | instskip(NEXT) | instid1(VALU_DEP_1)
	v_lshrrev_b32_e32 v15, 1, v15
	v_not_b32_e32 v16, v15
	v_lshlrev_b32_e32 v17, 2, v15
	s_delay_alu instid0(VALU_DEP_2)
	v_lshl_add_u32 v16, v16, 2, v14
	ds_load_b32 v17, v17
	ds_load_b32 v16, v16
	s_wait_dscnt 0x1
	v_and_b32_e32 v17, s11, v17
	s_wait_dscnt 0x0
	v_dual_add_nc_u32 v18, 1, v15 :: v_dual_bitop2_b32 v16, s11, v16 bitop3:0x40
	s_delay_alu instid0(VALU_DEP_1) | instskip(SKIP_1) | instid1(VALU_DEP_3)
	v_cmp_gt_i32_e32 vcc_lo, v16, v17
	v_cndmask_b32_e32 v13, v13, v15, vcc_lo
	v_cndmask_b32_e32 v11, v18, v11, vcc_lo
	s_delay_alu instid0(VALU_DEP_1) | instskip(SKIP_1) | instid1(SALU_CYCLE_1)
	v_cmp_ge_u32_e32 vcc_lo, v11, v13
	s_or_b32 s1, vcc_lo, s1
	s_and_not1_b32 exec_lo, exec_lo, s1
	s_cbranch_execnz .LBB807_21
; %bb.22:
	s_or_b32 exec_lo, exec_lo, s1
.LBB807_23:
	s_delay_alu instid0(SALU_CYCLE_1) | instskip(SKIP_2) | instid1(VALU_DEP_2)
	s_or_b32 exec_lo, exec_lo, s0
	v_sub_nc_u32_e32 v12, v12, v11
	v_cmp_ge_u32_e32 vcc_lo, s9, v11
	v_add_nc_u32_e32 v12, s9, v12
	s_delay_alu instid0(VALU_DEP_1) | instskip(SKIP_1) | instid1(SALU_CYCLE_1)
	v_cmp_ge_u32_e64 s0, s15, v12
	s_or_b32 s0, vcc_lo, s0
	s_and_saveexec_b32 s16, s0
	s_cbranch_execz .LBB807_29
; %bb.24:
	v_cmp_gt_u32_e32 vcc_lo, s9, v11
                                        ; implicit-def: $vgpr2
	s_and_saveexec_b32 s0, vcc_lo
; %bb.25:
	v_lshlrev_b32_e32 v2, 2, v11
	ds_load_b32 v2, v2
; %bb.26:
	s_or_b32 exec_lo, exec_lo, s0
	v_cmp_le_u32_e64 s0, s15, v12
	s_mov_b32 s2, exec_lo
                                        ; implicit-def: $vgpr3
	v_cmpx_gt_u32_e64 s15, v12
; %bb.27:
	v_lshlrev_b32_e32 v3, 2, v12
	ds_load_b32 v3, v3
; %bb.28:
	s_or_b32 exec_lo, exec_lo, s2
	s_wait_dscnt 0x0
	v_and_b32_e32 v4, s11, v3
	v_and_b32_e32 v5, s11, v2
	s_delay_alu instid0(VALU_DEP_1) | instskip(SKIP_2) | instid1(SALU_CYCLE_1)
	v_cmp_le_i32_e64 s1, v4, v5
	v_mov_b32_e32 v4, s9
	s_and_b32 s1, vcc_lo, s1
	s_or_b32 vcc_lo, s0, s1
	v_cndmask_b32_e32 v5, v12, v11, vcc_lo
	s_delay_alu instid0(VALU_DEP_1) | instskip(NEXT) | instid1(VALU_DEP_1)
	v_dual_cndmask_b32 v6, s15, v4 :: v_dual_add_nc_u32 v5, 1, v5
	v_add_min_u32_e64 v6, v6, -1, v5
	v_dual_cndmask_b32 v8, v11, v5 :: v_dual_cndmask_b32 v5, v5, v12
	s_delay_alu instid0(VALU_DEP_2) | instskip(NEXT) | instid1(VALU_DEP_2)
	v_lshlrev_b32_e32 v6, 2, v6
	v_cmp_gt_u32_e64 s0, s9, v8
	s_delay_alu instid0(VALU_DEP_3) | instskip(SKIP_4) | instid1(VALU_DEP_2)
	v_cmp_le_u32_e64 s2, s15, v5
	ds_load_b32 v6, v6
	s_wait_dscnt 0x0
	v_cndmask_b32_e32 v7, v6, v3, vcc_lo
	v_cndmask_b32_e32 v6, v2, v6, vcc_lo
	v_dual_cndmask_b32 v2, v3, v2, vcc_lo :: v_dual_bitop2_b32 v9, s11, v7 bitop3:0x40
	s_delay_alu instid0(VALU_DEP_2) | instskip(NEXT) | instid1(VALU_DEP_1)
	v_and_b32_e32 v11, s11, v6
	v_cmp_le_i32_e64 s1, v9, v11
	s_and_b32 s0, s0, s1
	s_delay_alu instid0(SALU_CYCLE_1) | instskip(NEXT) | instid1(SALU_CYCLE_1)
	s_or_b32 s0, s2, s0
	v_cndmask_b32_e64 v9, v5, v8, s0
	s_delay_alu instid0(VALU_DEP_1) | instskip(NEXT) | instid1(VALU_DEP_1)
	v_dual_cndmask_b32 v11, s15, v4, s0 :: v_dual_add_nc_u32 v9, 1, v9
	v_add_min_u32_e64 v11, v11, -1, v9
	v_cndmask_b32_e64 v8, v8, v9, s0
	s_delay_alu instid0(VALU_DEP_2) | instskip(NEXT) | instid1(VALU_DEP_2)
	v_dual_cndmask_b32 v5, v9, v5, s0 :: v_dual_lshlrev_b32 v11, 2, v11
	v_cmp_gt_u32_e64 s1, s9, v8
	s_delay_alu instid0(VALU_DEP_2) | instskip(SKIP_3) | instid1(VALU_DEP_1)
	v_cmp_le_u32_e64 s3, s15, v5
	ds_load_b32 v11, v11
	s_wait_dscnt 0x0
	v_cndmask_b32_e64 v12, v11, v7, s0
	v_dual_cndmask_b32 v11, v6, v11, s0 :: v_dual_bitop2_b32 v13, s11, v12 bitop3:0x40
	s_delay_alu instid0(VALU_DEP_1) | instskip(NEXT) | instid1(VALU_DEP_1)
	v_and_b32_e32 v14, s11, v11
	v_cmp_le_i32_e64 s2, v13, v14
	s_and_b32 s1, s1, s2
	s_delay_alu instid0(SALU_CYCLE_1) | instskip(NEXT) | instid1(SALU_CYCLE_1)
	s_or_b32 s1, s3, s1
	v_cndmask_b32_e64 v9, v5, v8, s1
	s_delay_alu instid0(VALU_DEP_1) | instskip(NEXT) | instid1(VALU_DEP_1)
	v_dual_cndmask_b32 v13, s15, v4, s1 :: v_dual_add_nc_u32 v9, 1, v9
	v_add_min_u32_e64 v13, v13, -1, v9
	v_cndmask_b32_e64 v5, v9, v5, s1
	s_delay_alu instid0(VALU_DEP_2) | instskip(NEXT) | instid1(VALU_DEP_2)
	v_lshlrev_b32_e32 v13, 2, v13
	v_cmp_le_u32_e64 s4, s15, v5
	ds_load_b32 v13, v13
	s_wait_dscnt 0x0
	v_dual_cndmask_b32 v14, v13, v12, s1 :: v_dual_cndmask_b32 v13, v11, v13, s1
	s_delay_alu instid0(VALU_DEP_1) | instskip(NEXT) | instid1(VALU_DEP_2)
	v_dual_cndmask_b32 v8, v8, v9, s1 :: v_dual_bitop2_b32 v15, s11, v14 bitop3:0x40
	v_and_b32_e32 v16, s11, v13
	s_delay_alu instid0(VALU_DEP_2) | instskip(NEXT) | instid1(VALU_DEP_2)
	v_cmp_gt_u32_e64 s2, s9, v8
	v_cmp_le_i32_e64 s3, v15, v16
	s_and_b32 s2, s2, s3
	s_delay_alu instid0(SALU_CYCLE_1) | instskip(NEXT) | instid1(SALU_CYCLE_1)
	s_or_b32 s2, s4, s2
	v_cndmask_b32_e64 v9, v5, v8, s2
	s_delay_alu instid0(VALU_DEP_1) | instskip(NEXT) | instid1(VALU_DEP_1)
	v_dual_cndmask_b32 v15, s15, v4, s2 :: v_dual_add_nc_u32 v9, 1, v9
	v_add_min_u32_e64 v15, v15, -1, v9
	s_delay_alu instid0(VALU_DEP_1) | instskip(SKIP_4) | instid1(VALU_DEP_1)
	v_dual_lshlrev_b32 v15, 2, v15 :: v_dual_cndmask_b32 v5, v9, v5, s2
	ds_load_b32 v15, v15
	v_cmp_le_u32_e64 s5, s15, v5
	s_wait_dscnt 0x0
	v_dual_cndmask_b32 v16, v15, v14, s2 :: v_dual_cndmask_b32 v15, v13, v15, s2
	v_dual_cndmask_b32 v8, v8, v9, s2 :: v_dual_bitop2_b32 v17, s11, v16 bitop3:0x40
	s_delay_alu instid0(VALU_DEP_2) | instskip(NEXT) | instid1(VALU_DEP_2)
	v_and_b32_e32 v18, s11, v15
	v_cmp_gt_u32_e64 s3, s9, v8
	s_delay_alu instid0(VALU_DEP_2) | instskip(SKIP_1) | instid1(SALU_CYCLE_1)
	v_cmp_le_i32_e64 s4, v17, v18
	s_and_b32 s3, s3, s4
	s_or_b32 s3, s5, s3
	s_delay_alu instid0(SALU_CYCLE_1) | instskip(NEXT) | instid1(VALU_DEP_1)
	v_cndmask_b32_e64 v9, v5, v8, s3
	v_dual_cndmask_b32 v17, s15, v4, s3 :: v_dual_add_nc_u32 v9, 1, v9
	s_delay_alu instid0(VALU_DEP_1) | instskip(SKIP_1) | instid1(VALU_DEP_2)
	v_add_min_u32_e64 v17, v17, -1, v9
	v_cndmask_b32_e64 v5, v9, v5, s3
	v_lshlrev_b32_e32 v17, 2, v17
	s_delay_alu instid0(VALU_DEP_2) | instskip(SKIP_3) | instid1(VALU_DEP_1)
	v_cmp_le_u32_e64 s6, s15, v5
	ds_load_b32 v17, v17
	s_wait_dscnt 0x0
	v_dual_cndmask_b32 v18, v17, v16, s3 :: v_dual_cndmask_b32 v17, v15, v17, s3
	v_dual_cndmask_b32 v8, v8, v9, s3 :: v_dual_bitop2_b32 v19, s11, v18 bitop3:0x40
	s_delay_alu instid0(VALU_DEP_2) | instskip(NEXT) | instid1(VALU_DEP_2)
	v_and_b32_e32 v20, s11, v17
	v_cmp_gt_u32_e64 s4, s9, v8
	s_delay_alu instid0(VALU_DEP_2) | instskip(SKIP_1) | instid1(SALU_CYCLE_1)
	v_cmp_le_i32_e64 s5, v19, v20
	s_and_b32 s4, s4, s5
	s_or_b32 s4, s6, s4
	s_delay_alu instid0(SALU_CYCLE_1) | instskip(NEXT) | instid1(VALU_DEP_1)
	v_cndmask_b32_e64 v9, v5, v8, s4
	v_dual_cndmask_b32 v19, s15, v4, s4 :: v_dual_add_nc_u32 v9, 1, v9
	s_delay_alu instid0(VALU_DEP_1) | instskip(NEXT) | instid1(VALU_DEP_1)
	v_add_min_u32_e64 v19, v19, -1, v9
	v_dual_lshlrev_b32 v19, 2, v19 :: v_dual_cndmask_b32 v5, v9, v5, s4
	ds_load_b32 v19, v19
	v_cmp_le_u32_e64 s7, s15, v5
	s_wait_dscnt 0x0
	v_dual_cndmask_b32 v20, v19, v18, s4 :: v_dual_cndmask_b32 v19, v17, v19, s4
	s_delay_alu instid0(VALU_DEP_1) | instskip(NEXT) | instid1(VALU_DEP_2)
	v_dual_cndmask_b32 v8, v8, v9, s4 :: v_dual_bitop2_b32 v21, s11, v20 bitop3:0x40
	v_and_b32_e32 v22, s11, v19
	s_delay_alu instid0(VALU_DEP_2) | instskip(NEXT) | instid1(VALU_DEP_2)
	v_cmp_gt_u32_e64 s5, s9, v8
	v_cmp_le_i32_e64 s6, v21, v22
	s_and_b32 s5, s5, s6
	s_delay_alu instid0(SALU_CYCLE_1) | instskip(NEXT) | instid1(SALU_CYCLE_1)
	s_or_b32 s5, s7, s5
	v_cndmask_b32_e64 v9, v5, v8, s5
	s_delay_alu instid0(VALU_DEP_1) | instskip(SKIP_1) | instid1(VALU_DEP_2)
	v_dual_cndmask_b32 v4, s15, v4, s5 :: v_dual_add_nc_u32 v9, 1, v9
	v_dual_cndmask_b32 v3, v7, v6, s0 :: v_dual_cndmask_b32 v7, v18, v17, s4
	v_add_min_u32_e64 v4, v4, -1, v9
	v_cndmask_b32_e64 v8, v8, v9, s5
	v_cndmask_b32_e64 v6, v9, v5, s5
	s_delay_alu instid0(VALU_DEP_3) | instskip(NEXT) | instid1(VALU_DEP_3)
	v_dual_cndmask_b32 v5, v14, v13, s2 :: v_dual_lshlrev_b32 v4, 2, v4
	v_cmp_gt_u32_e32 vcc_lo, s9, v8
	ds_load_b32 v4, v4
	s_wait_dscnt 0x0
	v_cndmask_b32_e64 v22, v19, v4, s5
	v_cndmask_b32_e64 v21, v4, v20, s5
	;; [unrolled: 1-line block ×3, first 2 shown]
	v_cmp_le_u32_e64 s1, s15, v6
	s_delay_alu instid0(VALU_DEP_4) | instskip(NEXT) | instid1(VALU_DEP_4)
	v_dual_cndmask_b32 v6, v16, v15, s3 :: v_dual_bitop2_b32 v24, s11, v22 bitop3:0x40
	v_and_b32_e32 v23, s11, v21
	s_delay_alu instid0(VALU_DEP_1) | instskip(SKIP_1) | instid1(SALU_CYCLE_1)
	v_cmp_le_i32_e64 s0, v23, v24
	s_and_b32 s0, vcc_lo, s0
	s_or_b32 vcc_lo, s1, s0
	s_delay_alu instid0(SALU_CYCLE_1)
	v_dual_cndmask_b32 v8, v20, v19, s5 :: v_dual_cndmask_b32 v9, v21, v22, vcc_lo
.LBB807_29:
	s_or_b32 exec_lo, exec_lo, s16
	v_or_b32_e32 v14, 0x80, v0
	v_or_b32_e32 v12, 0x100, v0
	v_and_b32_e32 v11, 0x7c, v0
	v_lshrrev_b32_e32 v13, 3, v0
	s_delay_alu instid0(VALU_DEP_3) | instskip(NEXT) | instid1(VALU_DEP_3)
	v_dual_lshrrev_b32 v15, 3, v14 :: v_dual_lshrrev_b32 v16, 3, v12
	v_lshl_add_u32 v1, v1, 2, v11
	s_delay_alu instid0(VALU_DEP_3)
	v_and_b32_e32 v11, 12, v13
	v_or_b32_e32 v13, 0x180, v0
	s_barrier_signal -1
	s_barrier_wait -1
	s_barrier_signal -1
	s_barrier_wait -1
	v_and_b32_e32 v15, 28, v15
	ds_store_2addr_b32 v1, v2, v3 offset1:1
	ds_store_2addr_b32 v1, v4, v5 offset0:2 offset1:3
	ds_store_2addr_b32 v1, v6, v7 offset0:4 offset1:5
	;; [unrolled: 1-line block ×3, first 2 shown]
	v_dual_add_nc_u32 v8, v11, v10 :: v_dual_bitop2_b32 v16, 44, v16 bitop3:0x40
	v_lshrrev_b32_e32 v1, 3, v13
	v_or_b32_e32 v6, 0x200, v0
	v_or_b32_e32 v5, 0x280, v0
	;; [unrolled: 1-line block ×3, first 2 shown]
	v_dual_add_nc_u32 v9, v15, v10 :: v_dual_add_nc_u32 v15, v16, v10
	s_delay_alu instid0(VALU_DEP_4) | instskip(SKIP_1) | instid1(VALU_DEP_4)
	v_dual_lshrrev_b32 v3, 3, v6 :: v_dual_bitop2_b32 v2, 60, v1 bitop3:0x40
	v_or_b32_e32 v1, 0x380, v0
	v_dual_lshrrev_b32 v7, 3, v5 :: v_dual_lshrrev_b32 v11, 3, v4
	s_delay_alu instid0(VALU_DEP_3) | instskip(SKIP_1) | instid1(VALU_DEP_3)
	v_add_nc_u32_e32 v16, v2, v10
	s_mov_b32 s11, 0
	v_lshrrev_b32_e32 v2, 3, v1
	v_and_b32_e32 v3, 0x4c, v3
	v_and_b32_e32 v19, 0x6c, v11
	v_mov_b32_e32 v11, 0
	s_lshl_b64 s[0:1], s[10:11], 2
	v_and_b32_e32 v7, 0x5c, v7
	v_and_b32_e32 v20, 0x7c, v2
	s_wait_kmcnt 0x0
	s_add_nc_u64 s[0:1], s[12:13], s[0:1]
	v_add_nc_u32_e32 v17, v3, v10
	v_add_nc_u64_e32 v[2:3], s[0:1], v[10:11]
	v_add_nc_u32_e32 v18, v7, v10
	v_dual_add_nc_u32 v19, v19, v10 :: v_dual_add_nc_u32 v10, v20, v10
	s_and_b32 vcc_lo, exec_lo, s14
	s_wait_dscnt 0x0
	s_cbranch_vccz .LBB807_31
; %bb.30:
	s_barrier_signal -1
	s_barrier_wait -1
	ds_load_b32 v11, v8
	ds_load_b32 v20, v9 offset:512
	ds_load_b32 v21, v15 offset:1024
	;; [unrolled: 1-line block ×7, first 2 shown]
	s_mov_b32 s11, -1
	s_wait_dscnt 0x7
	global_store_b32 v[2:3], v11, off
	s_wait_dscnt 0x6
	global_store_b32 v[2:3], v20, off offset:512
	s_wait_dscnt 0x5
	global_store_b32 v[2:3], v21, off offset:1024
	;; [unrolled: 2-line block ×6, first 2 shown]
	s_cbranch_execz .LBB807_32
	s_branch .LBB807_41
.LBB807_31:
                                        ; implicit-def: $vgpr7
.LBB807_32:
	s_barrier_signal -1
	s_barrier_wait -1
	s_wait_storecnt_dscnt 0x0
	s_wait_xcnt 0x4
	ds_load_b32 v21, v9 offset:512
	ds_load_b32 v20, v15 offset:1024
	;; [unrolled: 1-line block ×7, first 2 shown]
	s_sub_co_i32 s0, s8, s10
	s_mov_b32 s1, exec_lo
	s_wait_xcnt 0x0
	v_cmpx_gt_u32_e64 s0, v0
	s_cbranch_execnz .LBB807_46
; %bb.33:
	s_or_b32 exec_lo, exec_lo, s1
	s_delay_alu instid0(SALU_CYCLE_1)
	s_mov_b32 s1, exec_lo
	v_cmpx_gt_u32_e64 s0, v14
	s_cbranch_execnz .LBB807_47
.LBB807_34:
	s_or_b32 exec_lo, exec_lo, s1
	s_delay_alu instid0(SALU_CYCLE_1)
	s_mov_b32 s1, exec_lo
	v_cmpx_gt_u32_e64 s0, v12
	s_cbranch_execnz .LBB807_48
.LBB807_35:
	s_or_b32 exec_lo, exec_lo, s1
	s_delay_alu instid0(SALU_CYCLE_1)
	s_mov_b32 s1, exec_lo
	v_cmpx_gt_u32_e64 s0, v13
	s_cbranch_execnz .LBB807_49
.LBB807_36:
	s_or_b32 exec_lo, exec_lo, s1
	s_delay_alu instid0(SALU_CYCLE_1)
	s_mov_b32 s1, exec_lo
	v_cmpx_gt_u32_e64 s0, v6
	s_cbranch_execnz .LBB807_50
.LBB807_37:
	s_or_b32 exec_lo, exec_lo, s1
	s_delay_alu instid0(SALU_CYCLE_1)
	s_mov_b32 s1, exec_lo
	v_cmpx_gt_u32_e64 s0, v5
	s_cbranch_execnz .LBB807_51
.LBB807_38:
	s_or_b32 exec_lo, exec_lo, s1
	s_delay_alu instid0(SALU_CYCLE_1)
	s_mov_b32 s1, exec_lo
	v_cmpx_gt_u32_e64 s0, v4
	s_cbranch_execz .LBB807_40
.LBB807_39:
	s_wait_dscnt 0x1
	global_store_b32 v[2:3], v9, off offset:3072
.LBB807_40:
	s_wait_xcnt 0x0
	s_or_b32 exec_lo, exec_lo, s1
	v_cmp_gt_u32_e64 s11, s0, v1
.LBB807_41:
	s_wait_xcnt 0x0
	s_delay_alu instid0(VALU_DEP_1)
	s_and_saveexec_b32 s0, s11
	s_cbranch_execz .LBB807_43
; %bb.42:
	s_wait_dscnt 0x0
	global_store_b32 v[2:3], v7, off offset:3584
.LBB807_43:
	s_endpgm
.LBB807_44:
	v_dual_mov_b32 v11, v2 :: v_dual_mov_b32 v5, v2
	v_sub_co_u32 v4, vcc_lo, v0, s9
	v_dual_mov_b32 v17, v2 :: v_dual_mov_b32 v18, v2
	s_delay_alu instid0(VALU_DEP_3) | instskip(NEXT) | instid1(VALU_DEP_3)
	v_add_nc_u64_e32 v[6:7], s[12:13], v[10:11]
	v_lshl_add_u64 v[4:5], v[4:5], 2, s[6:7]
	v_dual_mov_b32 v19, v2 :: v_dual_mov_b32 v20, v2
	v_dual_mov_b32 v21, v2 :: v_dual_mov_b32 v22, v2
	s_delay_alu instid0(VALU_DEP_3) | instskip(NEXT) | instid1(VALU_DEP_4)
	v_dual_mov_b32 v23, v2 :: v_dual_cndmask_b32 v5, v5, v7, vcc_lo
	v_cndmask_b32_e32 v4, v4, v6, vcc_lo
	global_load_b32 v16, v[4:5], off
	s_wait_loadcnt 0x0
	v_mov_b64_e32 v[2:3], v[16:17]
	v_mov_b64_e32 v[4:5], v[18:19]
	v_mov_b64_e32 v[6:7], v[20:21]
	v_mov_b64_e32 v[8:9], v[22:23]
	s_or_b32 exec_lo, exec_lo, s2
	s_delay_alu instid0(SALU_CYCLE_1)
	s_mov_b32 s2, exec_lo
	v_cmpx_gt_u32_e64 s15, v14
	s_cbranch_execz .LBB807_6
.LBB807_45:
	v_mov_b32_e32 v15, 0
	s_delay_alu instid0(VALU_DEP_1) | instskip(SKIP_1) | instid1(VALU_DEP_1)
	v_lshl_add_u64 v[16:17], v[14:15], 2, s[12:13]
	v_sub_co_u32 v14, vcc_lo, v14, s9
	v_lshl_add_u64 v[14:15], v[14:15], 2, s[6:7]
	s_delay_alu instid0(VALU_DEP_1) | instskip(SKIP_3) | instid1(SALU_CYCLE_1)
	v_dual_cndmask_b32 v15, v15, v17 :: v_dual_cndmask_b32 v14, v14, v16
	global_load_b32 v3, v[14:15], off
	s_wait_xcnt 0x0
	s_or_b32 exec_lo, exec_lo, s2
	s_mov_b32 s2, exec_lo
	v_cmpx_gt_u32_e64 s15, v12
	s_cbranch_execnz .LBB807_7
	s_branch .LBB807_8
.LBB807_46:
	ds_load_b32 v0, v8
	s_wait_dscnt 0x0
	global_store_b32 v[2:3], v0, off
	s_wait_xcnt 0x0
	s_or_b32 exec_lo, exec_lo, s1
	s_delay_alu instid0(SALU_CYCLE_1)
	s_mov_b32 s1, exec_lo
	v_cmpx_gt_u32_e64 s0, v14
	s_cbranch_execz .LBB807_34
.LBB807_47:
	s_wait_dscnt 0x6
	global_store_b32 v[2:3], v21, off offset:512
	s_wait_xcnt 0x0
	s_or_b32 exec_lo, exec_lo, s1
	s_delay_alu instid0(SALU_CYCLE_1)
	s_mov_b32 s1, exec_lo
	v_cmpx_gt_u32_e64 s0, v12
	s_cbranch_execz .LBB807_35
.LBB807_48:
	s_wait_dscnt 0x5
	global_store_b32 v[2:3], v20, off offset:1024
	s_wait_xcnt 0x0
	s_or_b32 exec_lo, exec_lo, s1
	s_delay_alu instid0(SALU_CYCLE_1)
	s_mov_b32 s1, exec_lo
	v_cmpx_gt_u32_e64 s0, v13
	s_cbranch_execz .LBB807_36
.LBB807_49:
	s_wait_dscnt 0x4
	global_store_b32 v[2:3], v16, off offset:1536
	s_wait_xcnt 0x0
	s_or_b32 exec_lo, exec_lo, s1
	s_delay_alu instid0(SALU_CYCLE_1)
	s_mov_b32 s1, exec_lo
	v_cmpx_gt_u32_e64 s0, v6
	s_cbranch_execz .LBB807_37
.LBB807_50:
	s_wait_dscnt 0x3
	global_store_b32 v[2:3], v15, off offset:2048
	s_wait_xcnt 0x0
	s_or_b32 exec_lo, exec_lo, s1
	s_delay_alu instid0(SALU_CYCLE_1)
	s_mov_b32 s1, exec_lo
	v_cmpx_gt_u32_e64 s0, v5
	s_cbranch_execz .LBB807_38
.LBB807_51:
	s_wait_dscnt 0x2
	global_store_b32 v[2:3], v11, off offset:2560
	s_wait_xcnt 0x0
	s_or_b32 exec_lo, exec_lo, s1
	s_delay_alu instid0(SALU_CYCLE_1)
	s_mov_b32 s1, exec_lo
	v_cmpx_gt_u32_e64 s0, v4
	s_cbranch_execnz .LBB807_39
	s_branch .LBB807_40
	.section	.rodata,"a",@progbits
	.p2align	6, 0x0
	.amdhsa_kernel _ZN7rocprim17ROCPRIM_400000_NS6detail17trampoline_kernelINS0_14default_configENS1_38merge_sort_block_merge_config_selectorIiNS0_10empty_typeEEEZZNS1_27merge_sort_block_merge_implIS3_PiPS5_jNS1_19radix_merge_compareILb1ELb1EiNS0_19identity_decomposerEEEEE10hipError_tT0_T1_T2_jT3_P12ihipStream_tbPNSt15iterator_traitsISE_E10value_typeEPNSK_ISF_E10value_typeEPSG_NS1_7vsmem_tEENKUlT_SE_SF_SG_E_clIS8_S8_S9_S9_EESD_ST_SE_SF_SG_EUlST_E0_NS1_11comp_targetILNS1_3genE0ELNS1_11target_archE4294967295ELNS1_3gpuE0ELNS1_3repE0EEENS1_38merge_mergepath_config_static_selectorELNS0_4arch9wavefront6targetE0EEEvSF_
		.amdhsa_group_segment_fixed_size 4224
		.amdhsa_private_segment_fixed_size 0
		.amdhsa_kernarg_size 320
		.amdhsa_user_sgpr_count 2
		.amdhsa_user_sgpr_dispatch_ptr 0
		.amdhsa_user_sgpr_queue_ptr 0
		.amdhsa_user_sgpr_kernarg_segment_ptr 1
		.amdhsa_user_sgpr_dispatch_id 0
		.amdhsa_user_sgpr_kernarg_preload_length 0
		.amdhsa_user_sgpr_kernarg_preload_offset 0
		.amdhsa_user_sgpr_private_segment_size 0
		.amdhsa_wavefront_size32 1
		.amdhsa_uses_dynamic_stack 0
		.amdhsa_enable_private_segment 0
		.amdhsa_system_sgpr_workgroup_id_x 1
		.amdhsa_system_sgpr_workgroup_id_y 1
		.amdhsa_system_sgpr_workgroup_id_z 1
		.amdhsa_system_sgpr_workgroup_info 0
		.amdhsa_system_vgpr_workitem_id 0
		.amdhsa_next_free_vgpr 32
		.amdhsa_next_free_sgpr 24
		.amdhsa_named_barrier_count 0
		.amdhsa_reserve_vcc 1
		.amdhsa_float_round_mode_32 0
		.amdhsa_float_round_mode_16_64 0
		.amdhsa_float_denorm_mode_32 3
		.amdhsa_float_denorm_mode_16_64 3
		.amdhsa_fp16_overflow 0
		.amdhsa_memory_ordered 1
		.amdhsa_forward_progress 1
		.amdhsa_inst_pref_size 34
		.amdhsa_round_robin_scheduling 0
		.amdhsa_exception_fp_ieee_invalid_op 0
		.amdhsa_exception_fp_denorm_src 0
		.amdhsa_exception_fp_ieee_div_zero 0
		.amdhsa_exception_fp_ieee_overflow 0
		.amdhsa_exception_fp_ieee_underflow 0
		.amdhsa_exception_fp_ieee_inexact 0
		.amdhsa_exception_int_div_zero 0
	.end_amdhsa_kernel
	.section	.text._ZN7rocprim17ROCPRIM_400000_NS6detail17trampoline_kernelINS0_14default_configENS1_38merge_sort_block_merge_config_selectorIiNS0_10empty_typeEEEZZNS1_27merge_sort_block_merge_implIS3_PiPS5_jNS1_19radix_merge_compareILb1ELb1EiNS0_19identity_decomposerEEEEE10hipError_tT0_T1_T2_jT3_P12ihipStream_tbPNSt15iterator_traitsISE_E10value_typeEPNSK_ISF_E10value_typeEPSG_NS1_7vsmem_tEENKUlT_SE_SF_SG_E_clIS8_S8_S9_S9_EESD_ST_SE_SF_SG_EUlST_E0_NS1_11comp_targetILNS1_3genE0ELNS1_11target_archE4294967295ELNS1_3gpuE0ELNS1_3repE0EEENS1_38merge_mergepath_config_static_selectorELNS0_4arch9wavefront6targetE0EEEvSF_,"axG",@progbits,_ZN7rocprim17ROCPRIM_400000_NS6detail17trampoline_kernelINS0_14default_configENS1_38merge_sort_block_merge_config_selectorIiNS0_10empty_typeEEEZZNS1_27merge_sort_block_merge_implIS3_PiPS5_jNS1_19radix_merge_compareILb1ELb1EiNS0_19identity_decomposerEEEEE10hipError_tT0_T1_T2_jT3_P12ihipStream_tbPNSt15iterator_traitsISE_E10value_typeEPNSK_ISF_E10value_typeEPSG_NS1_7vsmem_tEENKUlT_SE_SF_SG_E_clIS8_S8_S9_S9_EESD_ST_SE_SF_SG_EUlST_E0_NS1_11comp_targetILNS1_3genE0ELNS1_11target_archE4294967295ELNS1_3gpuE0ELNS1_3repE0EEENS1_38merge_mergepath_config_static_selectorELNS0_4arch9wavefront6targetE0EEEvSF_,comdat
.Lfunc_end807:
	.size	_ZN7rocprim17ROCPRIM_400000_NS6detail17trampoline_kernelINS0_14default_configENS1_38merge_sort_block_merge_config_selectorIiNS0_10empty_typeEEEZZNS1_27merge_sort_block_merge_implIS3_PiPS5_jNS1_19radix_merge_compareILb1ELb1EiNS0_19identity_decomposerEEEEE10hipError_tT0_T1_T2_jT3_P12ihipStream_tbPNSt15iterator_traitsISE_E10value_typeEPNSK_ISF_E10value_typeEPSG_NS1_7vsmem_tEENKUlT_SE_SF_SG_E_clIS8_S8_S9_S9_EESD_ST_SE_SF_SG_EUlST_E0_NS1_11comp_targetILNS1_3genE0ELNS1_11target_archE4294967295ELNS1_3gpuE0ELNS1_3repE0EEENS1_38merge_mergepath_config_static_selectorELNS0_4arch9wavefront6targetE0EEEvSF_, .Lfunc_end807-_ZN7rocprim17ROCPRIM_400000_NS6detail17trampoline_kernelINS0_14default_configENS1_38merge_sort_block_merge_config_selectorIiNS0_10empty_typeEEEZZNS1_27merge_sort_block_merge_implIS3_PiPS5_jNS1_19radix_merge_compareILb1ELb1EiNS0_19identity_decomposerEEEEE10hipError_tT0_T1_T2_jT3_P12ihipStream_tbPNSt15iterator_traitsISE_E10value_typeEPNSK_ISF_E10value_typeEPSG_NS1_7vsmem_tEENKUlT_SE_SF_SG_E_clIS8_S8_S9_S9_EESD_ST_SE_SF_SG_EUlST_E0_NS1_11comp_targetILNS1_3genE0ELNS1_11target_archE4294967295ELNS1_3gpuE0ELNS1_3repE0EEENS1_38merge_mergepath_config_static_selectorELNS0_4arch9wavefront6targetE0EEEvSF_
                                        ; -- End function
	.set _ZN7rocprim17ROCPRIM_400000_NS6detail17trampoline_kernelINS0_14default_configENS1_38merge_sort_block_merge_config_selectorIiNS0_10empty_typeEEEZZNS1_27merge_sort_block_merge_implIS3_PiPS5_jNS1_19radix_merge_compareILb1ELb1EiNS0_19identity_decomposerEEEEE10hipError_tT0_T1_T2_jT3_P12ihipStream_tbPNSt15iterator_traitsISE_E10value_typeEPNSK_ISF_E10value_typeEPSG_NS1_7vsmem_tEENKUlT_SE_SF_SG_E_clIS8_S8_S9_S9_EESD_ST_SE_SF_SG_EUlST_E0_NS1_11comp_targetILNS1_3genE0ELNS1_11target_archE4294967295ELNS1_3gpuE0ELNS1_3repE0EEENS1_38merge_mergepath_config_static_selectorELNS0_4arch9wavefront6targetE0EEEvSF_.num_vgpr, 32
	.set _ZN7rocprim17ROCPRIM_400000_NS6detail17trampoline_kernelINS0_14default_configENS1_38merge_sort_block_merge_config_selectorIiNS0_10empty_typeEEEZZNS1_27merge_sort_block_merge_implIS3_PiPS5_jNS1_19radix_merge_compareILb1ELb1EiNS0_19identity_decomposerEEEEE10hipError_tT0_T1_T2_jT3_P12ihipStream_tbPNSt15iterator_traitsISE_E10value_typeEPNSK_ISF_E10value_typeEPSG_NS1_7vsmem_tEENKUlT_SE_SF_SG_E_clIS8_S8_S9_S9_EESD_ST_SE_SF_SG_EUlST_E0_NS1_11comp_targetILNS1_3genE0ELNS1_11target_archE4294967295ELNS1_3gpuE0ELNS1_3repE0EEENS1_38merge_mergepath_config_static_selectorELNS0_4arch9wavefront6targetE0EEEvSF_.num_agpr, 0
	.set _ZN7rocprim17ROCPRIM_400000_NS6detail17trampoline_kernelINS0_14default_configENS1_38merge_sort_block_merge_config_selectorIiNS0_10empty_typeEEEZZNS1_27merge_sort_block_merge_implIS3_PiPS5_jNS1_19radix_merge_compareILb1ELb1EiNS0_19identity_decomposerEEEEE10hipError_tT0_T1_T2_jT3_P12ihipStream_tbPNSt15iterator_traitsISE_E10value_typeEPNSK_ISF_E10value_typeEPSG_NS1_7vsmem_tEENKUlT_SE_SF_SG_E_clIS8_S8_S9_S9_EESD_ST_SE_SF_SG_EUlST_E0_NS1_11comp_targetILNS1_3genE0ELNS1_11target_archE4294967295ELNS1_3gpuE0ELNS1_3repE0EEENS1_38merge_mergepath_config_static_selectorELNS0_4arch9wavefront6targetE0EEEvSF_.numbered_sgpr, 24
	.set _ZN7rocprim17ROCPRIM_400000_NS6detail17trampoline_kernelINS0_14default_configENS1_38merge_sort_block_merge_config_selectorIiNS0_10empty_typeEEEZZNS1_27merge_sort_block_merge_implIS3_PiPS5_jNS1_19radix_merge_compareILb1ELb1EiNS0_19identity_decomposerEEEEE10hipError_tT0_T1_T2_jT3_P12ihipStream_tbPNSt15iterator_traitsISE_E10value_typeEPNSK_ISF_E10value_typeEPSG_NS1_7vsmem_tEENKUlT_SE_SF_SG_E_clIS8_S8_S9_S9_EESD_ST_SE_SF_SG_EUlST_E0_NS1_11comp_targetILNS1_3genE0ELNS1_11target_archE4294967295ELNS1_3gpuE0ELNS1_3repE0EEENS1_38merge_mergepath_config_static_selectorELNS0_4arch9wavefront6targetE0EEEvSF_.num_named_barrier, 0
	.set _ZN7rocprim17ROCPRIM_400000_NS6detail17trampoline_kernelINS0_14default_configENS1_38merge_sort_block_merge_config_selectorIiNS0_10empty_typeEEEZZNS1_27merge_sort_block_merge_implIS3_PiPS5_jNS1_19radix_merge_compareILb1ELb1EiNS0_19identity_decomposerEEEEE10hipError_tT0_T1_T2_jT3_P12ihipStream_tbPNSt15iterator_traitsISE_E10value_typeEPNSK_ISF_E10value_typeEPSG_NS1_7vsmem_tEENKUlT_SE_SF_SG_E_clIS8_S8_S9_S9_EESD_ST_SE_SF_SG_EUlST_E0_NS1_11comp_targetILNS1_3genE0ELNS1_11target_archE4294967295ELNS1_3gpuE0ELNS1_3repE0EEENS1_38merge_mergepath_config_static_selectorELNS0_4arch9wavefront6targetE0EEEvSF_.private_seg_size, 0
	.set _ZN7rocprim17ROCPRIM_400000_NS6detail17trampoline_kernelINS0_14default_configENS1_38merge_sort_block_merge_config_selectorIiNS0_10empty_typeEEEZZNS1_27merge_sort_block_merge_implIS3_PiPS5_jNS1_19radix_merge_compareILb1ELb1EiNS0_19identity_decomposerEEEEE10hipError_tT0_T1_T2_jT3_P12ihipStream_tbPNSt15iterator_traitsISE_E10value_typeEPNSK_ISF_E10value_typeEPSG_NS1_7vsmem_tEENKUlT_SE_SF_SG_E_clIS8_S8_S9_S9_EESD_ST_SE_SF_SG_EUlST_E0_NS1_11comp_targetILNS1_3genE0ELNS1_11target_archE4294967295ELNS1_3gpuE0ELNS1_3repE0EEENS1_38merge_mergepath_config_static_selectorELNS0_4arch9wavefront6targetE0EEEvSF_.uses_vcc, 1
	.set _ZN7rocprim17ROCPRIM_400000_NS6detail17trampoline_kernelINS0_14default_configENS1_38merge_sort_block_merge_config_selectorIiNS0_10empty_typeEEEZZNS1_27merge_sort_block_merge_implIS3_PiPS5_jNS1_19radix_merge_compareILb1ELb1EiNS0_19identity_decomposerEEEEE10hipError_tT0_T1_T2_jT3_P12ihipStream_tbPNSt15iterator_traitsISE_E10value_typeEPNSK_ISF_E10value_typeEPSG_NS1_7vsmem_tEENKUlT_SE_SF_SG_E_clIS8_S8_S9_S9_EESD_ST_SE_SF_SG_EUlST_E0_NS1_11comp_targetILNS1_3genE0ELNS1_11target_archE4294967295ELNS1_3gpuE0ELNS1_3repE0EEENS1_38merge_mergepath_config_static_selectorELNS0_4arch9wavefront6targetE0EEEvSF_.uses_flat_scratch, 0
	.set _ZN7rocprim17ROCPRIM_400000_NS6detail17trampoline_kernelINS0_14default_configENS1_38merge_sort_block_merge_config_selectorIiNS0_10empty_typeEEEZZNS1_27merge_sort_block_merge_implIS3_PiPS5_jNS1_19radix_merge_compareILb1ELb1EiNS0_19identity_decomposerEEEEE10hipError_tT0_T1_T2_jT3_P12ihipStream_tbPNSt15iterator_traitsISE_E10value_typeEPNSK_ISF_E10value_typeEPSG_NS1_7vsmem_tEENKUlT_SE_SF_SG_E_clIS8_S8_S9_S9_EESD_ST_SE_SF_SG_EUlST_E0_NS1_11comp_targetILNS1_3genE0ELNS1_11target_archE4294967295ELNS1_3gpuE0ELNS1_3repE0EEENS1_38merge_mergepath_config_static_selectorELNS0_4arch9wavefront6targetE0EEEvSF_.has_dyn_sized_stack, 0
	.set _ZN7rocprim17ROCPRIM_400000_NS6detail17trampoline_kernelINS0_14default_configENS1_38merge_sort_block_merge_config_selectorIiNS0_10empty_typeEEEZZNS1_27merge_sort_block_merge_implIS3_PiPS5_jNS1_19radix_merge_compareILb1ELb1EiNS0_19identity_decomposerEEEEE10hipError_tT0_T1_T2_jT3_P12ihipStream_tbPNSt15iterator_traitsISE_E10value_typeEPNSK_ISF_E10value_typeEPSG_NS1_7vsmem_tEENKUlT_SE_SF_SG_E_clIS8_S8_S9_S9_EESD_ST_SE_SF_SG_EUlST_E0_NS1_11comp_targetILNS1_3genE0ELNS1_11target_archE4294967295ELNS1_3gpuE0ELNS1_3repE0EEENS1_38merge_mergepath_config_static_selectorELNS0_4arch9wavefront6targetE0EEEvSF_.has_recursion, 0
	.set _ZN7rocprim17ROCPRIM_400000_NS6detail17trampoline_kernelINS0_14default_configENS1_38merge_sort_block_merge_config_selectorIiNS0_10empty_typeEEEZZNS1_27merge_sort_block_merge_implIS3_PiPS5_jNS1_19radix_merge_compareILb1ELb1EiNS0_19identity_decomposerEEEEE10hipError_tT0_T1_T2_jT3_P12ihipStream_tbPNSt15iterator_traitsISE_E10value_typeEPNSK_ISF_E10value_typeEPSG_NS1_7vsmem_tEENKUlT_SE_SF_SG_E_clIS8_S8_S9_S9_EESD_ST_SE_SF_SG_EUlST_E0_NS1_11comp_targetILNS1_3genE0ELNS1_11target_archE4294967295ELNS1_3gpuE0ELNS1_3repE0EEENS1_38merge_mergepath_config_static_selectorELNS0_4arch9wavefront6targetE0EEEvSF_.has_indirect_call, 0
	.section	.AMDGPU.csdata,"",@progbits
; Kernel info:
; codeLenInByte = 4260
; TotalNumSgprs: 26
; NumVgprs: 32
; ScratchSize: 0
; MemoryBound: 0
; FloatMode: 240
; IeeeMode: 1
; LDSByteSize: 4224 bytes/workgroup (compile time only)
; SGPRBlocks: 0
; VGPRBlocks: 1
; NumSGPRsForWavesPerEU: 26
; NumVGPRsForWavesPerEU: 32
; NamedBarCnt: 0
; Occupancy: 16
; WaveLimiterHint : 1
; COMPUTE_PGM_RSRC2:SCRATCH_EN: 0
; COMPUTE_PGM_RSRC2:USER_SGPR: 2
; COMPUTE_PGM_RSRC2:TRAP_HANDLER: 0
; COMPUTE_PGM_RSRC2:TGID_X_EN: 1
; COMPUTE_PGM_RSRC2:TGID_Y_EN: 1
; COMPUTE_PGM_RSRC2:TGID_Z_EN: 1
; COMPUTE_PGM_RSRC2:TIDIG_COMP_CNT: 0
	.section	.text._ZN7rocprim17ROCPRIM_400000_NS6detail17trampoline_kernelINS0_14default_configENS1_38merge_sort_block_merge_config_selectorIiNS0_10empty_typeEEEZZNS1_27merge_sort_block_merge_implIS3_PiPS5_jNS1_19radix_merge_compareILb1ELb1EiNS0_19identity_decomposerEEEEE10hipError_tT0_T1_T2_jT3_P12ihipStream_tbPNSt15iterator_traitsISE_E10value_typeEPNSK_ISF_E10value_typeEPSG_NS1_7vsmem_tEENKUlT_SE_SF_SG_E_clIS8_S8_S9_S9_EESD_ST_SE_SF_SG_EUlST_E0_NS1_11comp_targetILNS1_3genE10ELNS1_11target_archE1201ELNS1_3gpuE5ELNS1_3repE0EEENS1_38merge_mergepath_config_static_selectorELNS0_4arch9wavefront6targetE0EEEvSF_,"axG",@progbits,_ZN7rocprim17ROCPRIM_400000_NS6detail17trampoline_kernelINS0_14default_configENS1_38merge_sort_block_merge_config_selectorIiNS0_10empty_typeEEEZZNS1_27merge_sort_block_merge_implIS3_PiPS5_jNS1_19radix_merge_compareILb1ELb1EiNS0_19identity_decomposerEEEEE10hipError_tT0_T1_T2_jT3_P12ihipStream_tbPNSt15iterator_traitsISE_E10value_typeEPNSK_ISF_E10value_typeEPSG_NS1_7vsmem_tEENKUlT_SE_SF_SG_E_clIS8_S8_S9_S9_EESD_ST_SE_SF_SG_EUlST_E0_NS1_11comp_targetILNS1_3genE10ELNS1_11target_archE1201ELNS1_3gpuE5ELNS1_3repE0EEENS1_38merge_mergepath_config_static_selectorELNS0_4arch9wavefront6targetE0EEEvSF_,comdat
	.protected	_ZN7rocprim17ROCPRIM_400000_NS6detail17trampoline_kernelINS0_14default_configENS1_38merge_sort_block_merge_config_selectorIiNS0_10empty_typeEEEZZNS1_27merge_sort_block_merge_implIS3_PiPS5_jNS1_19radix_merge_compareILb1ELb1EiNS0_19identity_decomposerEEEEE10hipError_tT0_T1_T2_jT3_P12ihipStream_tbPNSt15iterator_traitsISE_E10value_typeEPNSK_ISF_E10value_typeEPSG_NS1_7vsmem_tEENKUlT_SE_SF_SG_E_clIS8_S8_S9_S9_EESD_ST_SE_SF_SG_EUlST_E0_NS1_11comp_targetILNS1_3genE10ELNS1_11target_archE1201ELNS1_3gpuE5ELNS1_3repE0EEENS1_38merge_mergepath_config_static_selectorELNS0_4arch9wavefront6targetE0EEEvSF_ ; -- Begin function _ZN7rocprim17ROCPRIM_400000_NS6detail17trampoline_kernelINS0_14default_configENS1_38merge_sort_block_merge_config_selectorIiNS0_10empty_typeEEEZZNS1_27merge_sort_block_merge_implIS3_PiPS5_jNS1_19radix_merge_compareILb1ELb1EiNS0_19identity_decomposerEEEEE10hipError_tT0_T1_T2_jT3_P12ihipStream_tbPNSt15iterator_traitsISE_E10value_typeEPNSK_ISF_E10value_typeEPSG_NS1_7vsmem_tEENKUlT_SE_SF_SG_E_clIS8_S8_S9_S9_EESD_ST_SE_SF_SG_EUlST_E0_NS1_11comp_targetILNS1_3genE10ELNS1_11target_archE1201ELNS1_3gpuE5ELNS1_3repE0EEENS1_38merge_mergepath_config_static_selectorELNS0_4arch9wavefront6targetE0EEEvSF_
	.globl	_ZN7rocprim17ROCPRIM_400000_NS6detail17trampoline_kernelINS0_14default_configENS1_38merge_sort_block_merge_config_selectorIiNS0_10empty_typeEEEZZNS1_27merge_sort_block_merge_implIS3_PiPS5_jNS1_19radix_merge_compareILb1ELb1EiNS0_19identity_decomposerEEEEE10hipError_tT0_T1_T2_jT3_P12ihipStream_tbPNSt15iterator_traitsISE_E10value_typeEPNSK_ISF_E10value_typeEPSG_NS1_7vsmem_tEENKUlT_SE_SF_SG_E_clIS8_S8_S9_S9_EESD_ST_SE_SF_SG_EUlST_E0_NS1_11comp_targetILNS1_3genE10ELNS1_11target_archE1201ELNS1_3gpuE5ELNS1_3repE0EEENS1_38merge_mergepath_config_static_selectorELNS0_4arch9wavefront6targetE0EEEvSF_
	.p2align	8
	.type	_ZN7rocprim17ROCPRIM_400000_NS6detail17trampoline_kernelINS0_14default_configENS1_38merge_sort_block_merge_config_selectorIiNS0_10empty_typeEEEZZNS1_27merge_sort_block_merge_implIS3_PiPS5_jNS1_19radix_merge_compareILb1ELb1EiNS0_19identity_decomposerEEEEE10hipError_tT0_T1_T2_jT3_P12ihipStream_tbPNSt15iterator_traitsISE_E10value_typeEPNSK_ISF_E10value_typeEPSG_NS1_7vsmem_tEENKUlT_SE_SF_SG_E_clIS8_S8_S9_S9_EESD_ST_SE_SF_SG_EUlST_E0_NS1_11comp_targetILNS1_3genE10ELNS1_11target_archE1201ELNS1_3gpuE5ELNS1_3repE0EEENS1_38merge_mergepath_config_static_selectorELNS0_4arch9wavefront6targetE0EEEvSF_,@function
_ZN7rocprim17ROCPRIM_400000_NS6detail17trampoline_kernelINS0_14default_configENS1_38merge_sort_block_merge_config_selectorIiNS0_10empty_typeEEEZZNS1_27merge_sort_block_merge_implIS3_PiPS5_jNS1_19radix_merge_compareILb1ELb1EiNS0_19identity_decomposerEEEEE10hipError_tT0_T1_T2_jT3_P12ihipStream_tbPNSt15iterator_traitsISE_E10value_typeEPNSK_ISF_E10value_typeEPSG_NS1_7vsmem_tEENKUlT_SE_SF_SG_E_clIS8_S8_S9_S9_EESD_ST_SE_SF_SG_EUlST_E0_NS1_11comp_targetILNS1_3genE10ELNS1_11target_archE1201ELNS1_3gpuE5ELNS1_3repE0EEENS1_38merge_mergepath_config_static_selectorELNS0_4arch9wavefront6targetE0EEEvSF_: ; @_ZN7rocprim17ROCPRIM_400000_NS6detail17trampoline_kernelINS0_14default_configENS1_38merge_sort_block_merge_config_selectorIiNS0_10empty_typeEEEZZNS1_27merge_sort_block_merge_implIS3_PiPS5_jNS1_19radix_merge_compareILb1ELb1EiNS0_19identity_decomposerEEEEE10hipError_tT0_T1_T2_jT3_P12ihipStream_tbPNSt15iterator_traitsISE_E10value_typeEPNSK_ISF_E10value_typeEPSG_NS1_7vsmem_tEENKUlT_SE_SF_SG_E_clIS8_S8_S9_S9_EESD_ST_SE_SF_SG_EUlST_E0_NS1_11comp_targetILNS1_3genE10ELNS1_11target_archE1201ELNS1_3gpuE5ELNS1_3repE0EEENS1_38merge_mergepath_config_static_selectorELNS0_4arch9wavefront6targetE0EEEvSF_
; %bb.0:
	.section	.rodata,"a",@progbits
	.p2align	6, 0x0
	.amdhsa_kernel _ZN7rocprim17ROCPRIM_400000_NS6detail17trampoline_kernelINS0_14default_configENS1_38merge_sort_block_merge_config_selectorIiNS0_10empty_typeEEEZZNS1_27merge_sort_block_merge_implIS3_PiPS5_jNS1_19radix_merge_compareILb1ELb1EiNS0_19identity_decomposerEEEEE10hipError_tT0_T1_T2_jT3_P12ihipStream_tbPNSt15iterator_traitsISE_E10value_typeEPNSK_ISF_E10value_typeEPSG_NS1_7vsmem_tEENKUlT_SE_SF_SG_E_clIS8_S8_S9_S9_EESD_ST_SE_SF_SG_EUlST_E0_NS1_11comp_targetILNS1_3genE10ELNS1_11target_archE1201ELNS1_3gpuE5ELNS1_3repE0EEENS1_38merge_mergepath_config_static_selectorELNS0_4arch9wavefront6targetE0EEEvSF_
		.amdhsa_group_segment_fixed_size 0
		.amdhsa_private_segment_fixed_size 0
		.amdhsa_kernarg_size 64
		.amdhsa_user_sgpr_count 2
		.amdhsa_user_sgpr_dispatch_ptr 0
		.amdhsa_user_sgpr_queue_ptr 0
		.amdhsa_user_sgpr_kernarg_segment_ptr 1
		.amdhsa_user_sgpr_dispatch_id 0
		.amdhsa_user_sgpr_kernarg_preload_length 0
		.amdhsa_user_sgpr_kernarg_preload_offset 0
		.amdhsa_user_sgpr_private_segment_size 0
		.amdhsa_wavefront_size32 1
		.amdhsa_uses_dynamic_stack 0
		.amdhsa_enable_private_segment 0
		.amdhsa_system_sgpr_workgroup_id_x 1
		.amdhsa_system_sgpr_workgroup_id_y 0
		.amdhsa_system_sgpr_workgroup_id_z 0
		.amdhsa_system_sgpr_workgroup_info 0
		.amdhsa_system_vgpr_workitem_id 0
		.amdhsa_next_free_vgpr 1
		.amdhsa_next_free_sgpr 1
		.amdhsa_named_barrier_count 0
		.amdhsa_reserve_vcc 0
		.amdhsa_float_round_mode_32 0
		.amdhsa_float_round_mode_16_64 0
		.amdhsa_float_denorm_mode_32 3
		.amdhsa_float_denorm_mode_16_64 3
		.amdhsa_fp16_overflow 0
		.amdhsa_memory_ordered 1
		.amdhsa_forward_progress 1
		.amdhsa_inst_pref_size 0
		.amdhsa_round_robin_scheduling 0
		.amdhsa_exception_fp_ieee_invalid_op 0
		.amdhsa_exception_fp_denorm_src 0
		.amdhsa_exception_fp_ieee_div_zero 0
		.amdhsa_exception_fp_ieee_overflow 0
		.amdhsa_exception_fp_ieee_underflow 0
		.amdhsa_exception_fp_ieee_inexact 0
		.amdhsa_exception_int_div_zero 0
	.end_amdhsa_kernel
	.section	.text._ZN7rocprim17ROCPRIM_400000_NS6detail17trampoline_kernelINS0_14default_configENS1_38merge_sort_block_merge_config_selectorIiNS0_10empty_typeEEEZZNS1_27merge_sort_block_merge_implIS3_PiPS5_jNS1_19radix_merge_compareILb1ELb1EiNS0_19identity_decomposerEEEEE10hipError_tT0_T1_T2_jT3_P12ihipStream_tbPNSt15iterator_traitsISE_E10value_typeEPNSK_ISF_E10value_typeEPSG_NS1_7vsmem_tEENKUlT_SE_SF_SG_E_clIS8_S8_S9_S9_EESD_ST_SE_SF_SG_EUlST_E0_NS1_11comp_targetILNS1_3genE10ELNS1_11target_archE1201ELNS1_3gpuE5ELNS1_3repE0EEENS1_38merge_mergepath_config_static_selectorELNS0_4arch9wavefront6targetE0EEEvSF_,"axG",@progbits,_ZN7rocprim17ROCPRIM_400000_NS6detail17trampoline_kernelINS0_14default_configENS1_38merge_sort_block_merge_config_selectorIiNS0_10empty_typeEEEZZNS1_27merge_sort_block_merge_implIS3_PiPS5_jNS1_19radix_merge_compareILb1ELb1EiNS0_19identity_decomposerEEEEE10hipError_tT0_T1_T2_jT3_P12ihipStream_tbPNSt15iterator_traitsISE_E10value_typeEPNSK_ISF_E10value_typeEPSG_NS1_7vsmem_tEENKUlT_SE_SF_SG_E_clIS8_S8_S9_S9_EESD_ST_SE_SF_SG_EUlST_E0_NS1_11comp_targetILNS1_3genE10ELNS1_11target_archE1201ELNS1_3gpuE5ELNS1_3repE0EEENS1_38merge_mergepath_config_static_selectorELNS0_4arch9wavefront6targetE0EEEvSF_,comdat
.Lfunc_end808:
	.size	_ZN7rocprim17ROCPRIM_400000_NS6detail17trampoline_kernelINS0_14default_configENS1_38merge_sort_block_merge_config_selectorIiNS0_10empty_typeEEEZZNS1_27merge_sort_block_merge_implIS3_PiPS5_jNS1_19radix_merge_compareILb1ELb1EiNS0_19identity_decomposerEEEEE10hipError_tT0_T1_T2_jT3_P12ihipStream_tbPNSt15iterator_traitsISE_E10value_typeEPNSK_ISF_E10value_typeEPSG_NS1_7vsmem_tEENKUlT_SE_SF_SG_E_clIS8_S8_S9_S9_EESD_ST_SE_SF_SG_EUlST_E0_NS1_11comp_targetILNS1_3genE10ELNS1_11target_archE1201ELNS1_3gpuE5ELNS1_3repE0EEENS1_38merge_mergepath_config_static_selectorELNS0_4arch9wavefront6targetE0EEEvSF_, .Lfunc_end808-_ZN7rocprim17ROCPRIM_400000_NS6detail17trampoline_kernelINS0_14default_configENS1_38merge_sort_block_merge_config_selectorIiNS0_10empty_typeEEEZZNS1_27merge_sort_block_merge_implIS3_PiPS5_jNS1_19radix_merge_compareILb1ELb1EiNS0_19identity_decomposerEEEEE10hipError_tT0_T1_T2_jT3_P12ihipStream_tbPNSt15iterator_traitsISE_E10value_typeEPNSK_ISF_E10value_typeEPSG_NS1_7vsmem_tEENKUlT_SE_SF_SG_E_clIS8_S8_S9_S9_EESD_ST_SE_SF_SG_EUlST_E0_NS1_11comp_targetILNS1_3genE10ELNS1_11target_archE1201ELNS1_3gpuE5ELNS1_3repE0EEENS1_38merge_mergepath_config_static_selectorELNS0_4arch9wavefront6targetE0EEEvSF_
                                        ; -- End function
	.set _ZN7rocprim17ROCPRIM_400000_NS6detail17trampoline_kernelINS0_14default_configENS1_38merge_sort_block_merge_config_selectorIiNS0_10empty_typeEEEZZNS1_27merge_sort_block_merge_implIS3_PiPS5_jNS1_19radix_merge_compareILb1ELb1EiNS0_19identity_decomposerEEEEE10hipError_tT0_T1_T2_jT3_P12ihipStream_tbPNSt15iterator_traitsISE_E10value_typeEPNSK_ISF_E10value_typeEPSG_NS1_7vsmem_tEENKUlT_SE_SF_SG_E_clIS8_S8_S9_S9_EESD_ST_SE_SF_SG_EUlST_E0_NS1_11comp_targetILNS1_3genE10ELNS1_11target_archE1201ELNS1_3gpuE5ELNS1_3repE0EEENS1_38merge_mergepath_config_static_selectorELNS0_4arch9wavefront6targetE0EEEvSF_.num_vgpr, 0
	.set _ZN7rocprim17ROCPRIM_400000_NS6detail17trampoline_kernelINS0_14default_configENS1_38merge_sort_block_merge_config_selectorIiNS0_10empty_typeEEEZZNS1_27merge_sort_block_merge_implIS3_PiPS5_jNS1_19radix_merge_compareILb1ELb1EiNS0_19identity_decomposerEEEEE10hipError_tT0_T1_T2_jT3_P12ihipStream_tbPNSt15iterator_traitsISE_E10value_typeEPNSK_ISF_E10value_typeEPSG_NS1_7vsmem_tEENKUlT_SE_SF_SG_E_clIS8_S8_S9_S9_EESD_ST_SE_SF_SG_EUlST_E0_NS1_11comp_targetILNS1_3genE10ELNS1_11target_archE1201ELNS1_3gpuE5ELNS1_3repE0EEENS1_38merge_mergepath_config_static_selectorELNS0_4arch9wavefront6targetE0EEEvSF_.num_agpr, 0
	.set _ZN7rocprim17ROCPRIM_400000_NS6detail17trampoline_kernelINS0_14default_configENS1_38merge_sort_block_merge_config_selectorIiNS0_10empty_typeEEEZZNS1_27merge_sort_block_merge_implIS3_PiPS5_jNS1_19radix_merge_compareILb1ELb1EiNS0_19identity_decomposerEEEEE10hipError_tT0_T1_T2_jT3_P12ihipStream_tbPNSt15iterator_traitsISE_E10value_typeEPNSK_ISF_E10value_typeEPSG_NS1_7vsmem_tEENKUlT_SE_SF_SG_E_clIS8_S8_S9_S9_EESD_ST_SE_SF_SG_EUlST_E0_NS1_11comp_targetILNS1_3genE10ELNS1_11target_archE1201ELNS1_3gpuE5ELNS1_3repE0EEENS1_38merge_mergepath_config_static_selectorELNS0_4arch9wavefront6targetE0EEEvSF_.numbered_sgpr, 0
	.set _ZN7rocprim17ROCPRIM_400000_NS6detail17trampoline_kernelINS0_14default_configENS1_38merge_sort_block_merge_config_selectorIiNS0_10empty_typeEEEZZNS1_27merge_sort_block_merge_implIS3_PiPS5_jNS1_19radix_merge_compareILb1ELb1EiNS0_19identity_decomposerEEEEE10hipError_tT0_T1_T2_jT3_P12ihipStream_tbPNSt15iterator_traitsISE_E10value_typeEPNSK_ISF_E10value_typeEPSG_NS1_7vsmem_tEENKUlT_SE_SF_SG_E_clIS8_S8_S9_S9_EESD_ST_SE_SF_SG_EUlST_E0_NS1_11comp_targetILNS1_3genE10ELNS1_11target_archE1201ELNS1_3gpuE5ELNS1_3repE0EEENS1_38merge_mergepath_config_static_selectorELNS0_4arch9wavefront6targetE0EEEvSF_.num_named_barrier, 0
	.set _ZN7rocprim17ROCPRIM_400000_NS6detail17trampoline_kernelINS0_14default_configENS1_38merge_sort_block_merge_config_selectorIiNS0_10empty_typeEEEZZNS1_27merge_sort_block_merge_implIS3_PiPS5_jNS1_19radix_merge_compareILb1ELb1EiNS0_19identity_decomposerEEEEE10hipError_tT0_T1_T2_jT3_P12ihipStream_tbPNSt15iterator_traitsISE_E10value_typeEPNSK_ISF_E10value_typeEPSG_NS1_7vsmem_tEENKUlT_SE_SF_SG_E_clIS8_S8_S9_S9_EESD_ST_SE_SF_SG_EUlST_E0_NS1_11comp_targetILNS1_3genE10ELNS1_11target_archE1201ELNS1_3gpuE5ELNS1_3repE0EEENS1_38merge_mergepath_config_static_selectorELNS0_4arch9wavefront6targetE0EEEvSF_.private_seg_size, 0
	.set _ZN7rocprim17ROCPRIM_400000_NS6detail17trampoline_kernelINS0_14default_configENS1_38merge_sort_block_merge_config_selectorIiNS0_10empty_typeEEEZZNS1_27merge_sort_block_merge_implIS3_PiPS5_jNS1_19radix_merge_compareILb1ELb1EiNS0_19identity_decomposerEEEEE10hipError_tT0_T1_T2_jT3_P12ihipStream_tbPNSt15iterator_traitsISE_E10value_typeEPNSK_ISF_E10value_typeEPSG_NS1_7vsmem_tEENKUlT_SE_SF_SG_E_clIS8_S8_S9_S9_EESD_ST_SE_SF_SG_EUlST_E0_NS1_11comp_targetILNS1_3genE10ELNS1_11target_archE1201ELNS1_3gpuE5ELNS1_3repE0EEENS1_38merge_mergepath_config_static_selectorELNS0_4arch9wavefront6targetE0EEEvSF_.uses_vcc, 0
	.set _ZN7rocprim17ROCPRIM_400000_NS6detail17trampoline_kernelINS0_14default_configENS1_38merge_sort_block_merge_config_selectorIiNS0_10empty_typeEEEZZNS1_27merge_sort_block_merge_implIS3_PiPS5_jNS1_19radix_merge_compareILb1ELb1EiNS0_19identity_decomposerEEEEE10hipError_tT0_T1_T2_jT3_P12ihipStream_tbPNSt15iterator_traitsISE_E10value_typeEPNSK_ISF_E10value_typeEPSG_NS1_7vsmem_tEENKUlT_SE_SF_SG_E_clIS8_S8_S9_S9_EESD_ST_SE_SF_SG_EUlST_E0_NS1_11comp_targetILNS1_3genE10ELNS1_11target_archE1201ELNS1_3gpuE5ELNS1_3repE0EEENS1_38merge_mergepath_config_static_selectorELNS0_4arch9wavefront6targetE0EEEvSF_.uses_flat_scratch, 0
	.set _ZN7rocprim17ROCPRIM_400000_NS6detail17trampoline_kernelINS0_14default_configENS1_38merge_sort_block_merge_config_selectorIiNS0_10empty_typeEEEZZNS1_27merge_sort_block_merge_implIS3_PiPS5_jNS1_19radix_merge_compareILb1ELb1EiNS0_19identity_decomposerEEEEE10hipError_tT0_T1_T2_jT3_P12ihipStream_tbPNSt15iterator_traitsISE_E10value_typeEPNSK_ISF_E10value_typeEPSG_NS1_7vsmem_tEENKUlT_SE_SF_SG_E_clIS8_S8_S9_S9_EESD_ST_SE_SF_SG_EUlST_E0_NS1_11comp_targetILNS1_3genE10ELNS1_11target_archE1201ELNS1_3gpuE5ELNS1_3repE0EEENS1_38merge_mergepath_config_static_selectorELNS0_4arch9wavefront6targetE0EEEvSF_.has_dyn_sized_stack, 0
	.set _ZN7rocprim17ROCPRIM_400000_NS6detail17trampoline_kernelINS0_14default_configENS1_38merge_sort_block_merge_config_selectorIiNS0_10empty_typeEEEZZNS1_27merge_sort_block_merge_implIS3_PiPS5_jNS1_19radix_merge_compareILb1ELb1EiNS0_19identity_decomposerEEEEE10hipError_tT0_T1_T2_jT3_P12ihipStream_tbPNSt15iterator_traitsISE_E10value_typeEPNSK_ISF_E10value_typeEPSG_NS1_7vsmem_tEENKUlT_SE_SF_SG_E_clIS8_S8_S9_S9_EESD_ST_SE_SF_SG_EUlST_E0_NS1_11comp_targetILNS1_3genE10ELNS1_11target_archE1201ELNS1_3gpuE5ELNS1_3repE0EEENS1_38merge_mergepath_config_static_selectorELNS0_4arch9wavefront6targetE0EEEvSF_.has_recursion, 0
	.set _ZN7rocprim17ROCPRIM_400000_NS6detail17trampoline_kernelINS0_14default_configENS1_38merge_sort_block_merge_config_selectorIiNS0_10empty_typeEEEZZNS1_27merge_sort_block_merge_implIS3_PiPS5_jNS1_19radix_merge_compareILb1ELb1EiNS0_19identity_decomposerEEEEE10hipError_tT0_T1_T2_jT3_P12ihipStream_tbPNSt15iterator_traitsISE_E10value_typeEPNSK_ISF_E10value_typeEPSG_NS1_7vsmem_tEENKUlT_SE_SF_SG_E_clIS8_S8_S9_S9_EESD_ST_SE_SF_SG_EUlST_E0_NS1_11comp_targetILNS1_3genE10ELNS1_11target_archE1201ELNS1_3gpuE5ELNS1_3repE0EEENS1_38merge_mergepath_config_static_selectorELNS0_4arch9wavefront6targetE0EEEvSF_.has_indirect_call, 0
	.section	.AMDGPU.csdata,"",@progbits
; Kernel info:
; codeLenInByte = 0
; TotalNumSgprs: 0
; NumVgprs: 0
; ScratchSize: 0
; MemoryBound: 0
; FloatMode: 240
; IeeeMode: 1
; LDSByteSize: 0 bytes/workgroup (compile time only)
; SGPRBlocks: 0
; VGPRBlocks: 0
; NumSGPRsForWavesPerEU: 1
; NumVGPRsForWavesPerEU: 1
; NamedBarCnt: 0
; Occupancy: 16
; WaveLimiterHint : 0
; COMPUTE_PGM_RSRC2:SCRATCH_EN: 0
; COMPUTE_PGM_RSRC2:USER_SGPR: 2
; COMPUTE_PGM_RSRC2:TRAP_HANDLER: 0
; COMPUTE_PGM_RSRC2:TGID_X_EN: 1
; COMPUTE_PGM_RSRC2:TGID_Y_EN: 0
; COMPUTE_PGM_RSRC2:TGID_Z_EN: 0
; COMPUTE_PGM_RSRC2:TIDIG_COMP_CNT: 0
	.section	.text._ZN7rocprim17ROCPRIM_400000_NS6detail17trampoline_kernelINS0_14default_configENS1_38merge_sort_block_merge_config_selectorIiNS0_10empty_typeEEEZZNS1_27merge_sort_block_merge_implIS3_PiPS5_jNS1_19radix_merge_compareILb1ELb1EiNS0_19identity_decomposerEEEEE10hipError_tT0_T1_T2_jT3_P12ihipStream_tbPNSt15iterator_traitsISE_E10value_typeEPNSK_ISF_E10value_typeEPSG_NS1_7vsmem_tEENKUlT_SE_SF_SG_E_clIS8_S8_S9_S9_EESD_ST_SE_SF_SG_EUlST_E0_NS1_11comp_targetILNS1_3genE5ELNS1_11target_archE942ELNS1_3gpuE9ELNS1_3repE0EEENS1_38merge_mergepath_config_static_selectorELNS0_4arch9wavefront6targetE0EEEvSF_,"axG",@progbits,_ZN7rocprim17ROCPRIM_400000_NS6detail17trampoline_kernelINS0_14default_configENS1_38merge_sort_block_merge_config_selectorIiNS0_10empty_typeEEEZZNS1_27merge_sort_block_merge_implIS3_PiPS5_jNS1_19radix_merge_compareILb1ELb1EiNS0_19identity_decomposerEEEEE10hipError_tT0_T1_T2_jT3_P12ihipStream_tbPNSt15iterator_traitsISE_E10value_typeEPNSK_ISF_E10value_typeEPSG_NS1_7vsmem_tEENKUlT_SE_SF_SG_E_clIS8_S8_S9_S9_EESD_ST_SE_SF_SG_EUlST_E0_NS1_11comp_targetILNS1_3genE5ELNS1_11target_archE942ELNS1_3gpuE9ELNS1_3repE0EEENS1_38merge_mergepath_config_static_selectorELNS0_4arch9wavefront6targetE0EEEvSF_,comdat
	.protected	_ZN7rocprim17ROCPRIM_400000_NS6detail17trampoline_kernelINS0_14default_configENS1_38merge_sort_block_merge_config_selectorIiNS0_10empty_typeEEEZZNS1_27merge_sort_block_merge_implIS3_PiPS5_jNS1_19radix_merge_compareILb1ELb1EiNS0_19identity_decomposerEEEEE10hipError_tT0_T1_T2_jT3_P12ihipStream_tbPNSt15iterator_traitsISE_E10value_typeEPNSK_ISF_E10value_typeEPSG_NS1_7vsmem_tEENKUlT_SE_SF_SG_E_clIS8_S8_S9_S9_EESD_ST_SE_SF_SG_EUlST_E0_NS1_11comp_targetILNS1_3genE5ELNS1_11target_archE942ELNS1_3gpuE9ELNS1_3repE0EEENS1_38merge_mergepath_config_static_selectorELNS0_4arch9wavefront6targetE0EEEvSF_ ; -- Begin function _ZN7rocprim17ROCPRIM_400000_NS6detail17trampoline_kernelINS0_14default_configENS1_38merge_sort_block_merge_config_selectorIiNS0_10empty_typeEEEZZNS1_27merge_sort_block_merge_implIS3_PiPS5_jNS1_19radix_merge_compareILb1ELb1EiNS0_19identity_decomposerEEEEE10hipError_tT0_T1_T2_jT3_P12ihipStream_tbPNSt15iterator_traitsISE_E10value_typeEPNSK_ISF_E10value_typeEPSG_NS1_7vsmem_tEENKUlT_SE_SF_SG_E_clIS8_S8_S9_S9_EESD_ST_SE_SF_SG_EUlST_E0_NS1_11comp_targetILNS1_3genE5ELNS1_11target_archE942ELNS1_3gpuE9ELNS1_3repE0EEENS1_38merge_mergepath_config_static_selectorELNS0_4arch9wavefront6targetE0EEEvSF_
	.globl	_ZN7rocprim17ROCPRIM_400000_NS6detail17trampoline_kernelINS0_14default_configENS1_38merge_sort_block_merge_config_selectorIiNS0_10empty_typeEEEZZNS1_27merge_sort_block_merge_implIS3_PiPS5_jNS1_19radix_merge_compareILb1ELb1EiNS0_19identity_decomposerEEEEE10hipError_tT0_T1_T2_jT3_P12ihipStream_tbPNSt15iterator_traitsISE_E10value_typeEPNSK_ISF_E10value_typeEPSG_NS1_7vsmem_tEENKUlT_SE_SF_SG_E_clIS8_S8_S9_S9_EESD_ST_SE_SF_SG_EUlST_E0_NS1_11comp_targetILNS1_3genE5ELNS1_11target_archE942ELNS1_3gpuE9ELNS1_3repE0EEENS1_38merge_mergepath_config_static_selectorELNS0_4arch9wavefront6targetE0EEEvSF_
	.p2align	8
	.type	_ZN7rocprim17ROCPRIM_400000_NS6detail17trampoline_kernelINS0_14default_configENS1_38merge_sort_block_merge_config_selectorIiNS0_10empty_typeEEEZZNS1_27merge_sort_block_merge_implIS3_PiPS5_jNS1_19radix_merge_compareILb1ELb1EiNS0_19identity_decomposerEEEEE10hipError_tT0_T1_T2_jT3_P12ihipStream_tbPNSt15iterator_traitsISE_E10value_typeEPNSK_ISF_E10value_typeEPSG_NS1_7vsmem_tEENKUlT_SE_SF_SG_E_clIS8_S8_S9_S9_EESD_ST_SE_SF_SG_EUlST_E0_NS1_11comp_targetILNS1_3genE5ELNS1_11target_archE942ELNS1_3gpuE9ELNS1_3repE0EEENS1_38merge_mergepath_config_static_selectorELNS0_4arch9wavefront6targetE0EEEvSF_,@function
_ZN7rocprim17ROCPRIM_400000_NS6detail17trampoline_kernelINS0_14default_configENS1_38merge_sort_block_merge_config_selectorIiNS0_10empty_typeEEEZZNS1_27merge_sort_block_merge_implIS3_PiPS5_jNS1_19radix_merge_compareILb1ELb1EiNS0_19identity_decomposerEEEEE10hipError_tT0_T1_T2_jT3_P12ihipStream_tbPNSt15iterator_traitsISE_E10value_typeEPNSK_ISF_E10value_typeEPSG_NS1_7vsmem_tEENKUlT_SE_SF_SG_E_clIS8_S8_S9_S9_EESD_ST_SE_SF_SG_EUlST_E0_NS1_11comp_targetILNS1_3genE5ELNS1_11target_archE942ELNS1_3gpuE9ELNS1_3repE0EEENS1_38merge_mergepath_config_static_selectorELNS0_4arch9wavefront6targetE0EEEvSF_: ; @_ZN7rocprim17ROCPRIM_400000_NS6detail17trampoline_kernelINS0_14default_configENS1_38merge_sort_block_merge_config_selectorIiNS0_10empty_typeEEEZZNS1_27merge_sort_block_merge_implIS3_PiPS5_jNS1_19radix_merge_compareILb1ELb1EiNS0_19identity_decomposerEEEEE10hipError_tT0_T1_T2_jT3_P12ihipStream_tbPNSt15iterator_traitsISE_E10value_typeEPNSK_ISF_E10value_typeEPSG_NS1_7vsmem_tEENKUlT_SE_SF_SG_E_clIS8_S8_S9_S9_EESD_ST_SE_SF_SG_EUlST_E0_NS1_11comp_targetILNS1_3genE5ELNS1_11target_archE942ELNS1_3gpuE9ELNS1_3repE0EEENS1_38merge_mergepath_config_static_selectorELNS0_4arch9wavefront6targetE0EEEvSF_
; %bb.0:
	.section	.rodata,"a",@progbits
	.p2align	6, 0x0
	.amdhsa_kernel _ZN7rocprim17ROCPRIM_400000_NS6detail17trampoline_kernelINS0_14default_configENS1_38merge_sort_block_merge_config_selectorIiNS0_10empty_typeEEEZZNS1_27merge_sort_block_merge_implIS3_PiPS5_jNS1_19radix_merge_compareILb1ELb1EiNS0_19identity_decomposerEEEEE10hipError_tT0_T1_T2_jT3_P12ihipStream_tbPNSt15iterator_traitsISE_E10value_typeEPNSK_ISF_E10value_typeEPSG_NS1_7vsmem_tEENKUlT_SE_SF_SG_E_clIS8_S8_S9_S9_EESD_ST_SE_SF_SG_EUlST_E0_NS1_11comp_targetILNS1_3genE5ELNS1_11target_archE942ELNS1_3gpuE9ELNS1_3repE0EEENS1_38merge_mergepath_config_static_selectorELNS0_4arch9wavefront6targetE0EEEvSF_
		.amdhsa_group_segment_fixed_size 0
		.amdhsa_private_segment_fixed_size 0
		.amdhsa_kernarg_size 64
		.amdhsa_user_sgpr_count 2
		.amdhsa_user_sgpr_dispatch_ptr 0
		.amdhsa_user_sgpr_queue_ptr 0
		.amdhsa_user_sgpr_kernarg_segment_ptr 1
		.amdhsa_user_sgpr_dispatch_id 0
		.amdhsa_user_sgpr_kernarg_preload_length 0
		.amdhsa_user_sgpr_kernarg_preload_offset 0
		.amdhsa_user_sgpr_private_segment_size 0
		.amdhsa_wavefront_size32 1
		.amdhsa_uses_dynamic_stack 0
		.amdhsa_enable_private_segment 0
		.amdhsa_system_sgpr_workgroup_id_x 1
		.amdhsa_system_sgpr_workgroup_id_y 0
		.amdhsa_system_sgpr_workgroup_id_z 0
		.amdhsa_system_sgpr_workgroup_info 0
		.amdhsa_system_vgpr_workitem_id 0
		.amdhsa_next_free_vgpr 1
		.amdhsa_next_free_sgpr 1
		.amdhsa_named_barrier_count 0
		.amdhsa_reserve_vcc 0
		.amdhsa_float_round_mode_32 0
		.amdhsa_float_round_mode_16_64 0
		.amdhsa_float_denorm_mode_32 3
		.amdhsa_float_denorm_mode_16_64 3
		.amdhsa_fp16_overflow 0
		.amdhsa_memory_ordered 1
		.amdhsa_forward_progress 1
		.amdhsa_inst_pref_size 0
		.amdhsa_round_robin_scheduling 0
		.amdhsa_exception_fp_ieee_invalid_op 0
		.amdhsa_exception_fp_denorm_src 0
		.amdhsa_exception_fp_ieee_div_zero 0
		.amdhsa_exception_fp_ieee_overflow 0
		.amdhsa_exception_fp_ieee_underflow 0
		.amdhsa_exception_fp_ieee_inexact 0
		.amdhsa_exception_int_div_zero 0
	.end_amdhsa_kernel
	.section	.text._ZN7rocprim17ROCPRIM_400000_NS6detail17trampoline_kernelINS0_14default_configENS1_38merge_sort_block_merge_config_selectorIiNS0_10empty_typeEEEZZNS1_27merge_sort_block_merge_implIS3_PiPS5_jNS1_19radix_merge_compareILb1ELb1EiNS0_19identity_decomposerEEEEE10hipError_tT0_T1_T2_jT3_P12ihipStream_tbPNSt15iterator_traitsISE_E10value_typeEPNSK_ISF_E10value_typeEPSG_NS1_7vsmem_tEENKUlT_SE_SF_SG_E_clIS8_S8_S9_S9_EESD_ST_SE_SF_SG_EUlST_E0_NS1_11comp_targetILNS1_3genE5ELNS1_11target_archE942ELNS1_3gpuE9ELNS1_3repE0EEENS1_38merge_mergepath_config_static_selectorELNS0_4arch9wavefront6targetE0EEEvSF_,"axG",@progbits,_ZN7rocprim17ROCPRIM_400000_NS6detail17trampoline_kernelINS0_14default_configENS1_38merge_sort_block_merge_config_selectorIiNS0_10empty_typeEEEZZNS1_27merge_sort_block_merge_implIS3_PiPS5_jNS1_19radix_merge_compareILb1ELb1EiNS0_19identity_decomposerEEEEE10hipError_tT0_T1_T2_jT3_P12ihipStream_tbPNSt15iterator_traitsISE_E10value_typeEPNSK_ISF_E10value_typeEPSG_NS1_7vsmem_tEENKUlT_SE_SF_SG_E_clIS8_S8_S9_S9_EESD_ST_SE_SF_SG_EUlST_E0_NS1_11comp_targetILNS1_3genE5ELNS1_11target_archE942ELNS1_3gpuE9ELNS1_3repE0EEENS1_38merge_mergepath_config_static_selectorELNS0_4arch9wavefront6targetE0EEEvSF_,comdat
.Lfunc_end809:
	.size	_ZN7rocprim17ROCPRIM_400000_NS6detail17trampoline_kernelINS0_14default_configENS1_38merge_sort_block_merge_config_selectorIiNS0_10empty_typeEEEZZNS1_27merge_sort_block_merge_implIS3_PiPS5_jNS1_19radix_merge_compareILb1ELb1EiNS0_19identity_decomposerEEEEE10hipError_tT0_T1_T2_jT3_P12ihipStream_tbPNSt15iterator_traitsISE_E10value_typeEPNSK_ISF_E10value_typeEPSG_NS1_7vsmem_tEENKUlT_SE_SF_SG_E_clIS8_S8_S9_S9_EESD_ST_SE_SF_SG_EUlST_E0_NS1_11comp_targetILNS1_3genE5ELNS1_11target_archE942ELNS1_3gpuE9ELNS1_3repE0EEENS1_38merge_mergepath_config_static_selectorELNS0_4arch9wavefront6targetE0EEEvSF_, .Lfunc_end809-_ZN7rocprim17ROCPRIM_400000_NS6detail17trampoline_kernelINS0_14default_configENS1_38merge_sort_block_merge_config_selectorIiNS0_10empty_typeEEEZZNS1_27merge_sort_block_merge_implIS3_PiPS5_jNS1_19radix_merge_compareILb1ELb1EiNS0_19identity_decomposerEEEEE10hipError_tT0_T1_T2_jT3_P12ihipStream_tbPNSt15iterator_traitsISE_E10value_typeEPNSK_ISF_E10value_typeEPSG_NS1_7vsmem_tEENKUlT_SE_SF_SG_E_clIS8_S8_S9_S9_EESD_ST_SE_SF_SG_EUlST_E0_NS1_11comp_targetILNS1_3genE5ELNS1_11target_archE942ELNS1_3gpuE9ELNS1_3repE0EEENS1_38merge_mergepath_config_static_selectorELNS0_4arch9wavefront6targetE0EEEvSF_
                                        ; -- End function
	.set _ZN7rocprim17ROCPRIM_400000_NS6detail17trampoline_kernelINS0_14default_configENS1_38merge_sort_block_merge_config_selectorIiNS0_10empty_typeEEEZZNS1_27merge_sort_block_merge_implIS3_PiPS5_jNS1_19radix_merge_compareILb1ELb1EiNS0_19identity_decomposerEEEEE10hipError_tT0_T1_T2_jT3_P12ihipStream_tbPNSt15iterator_traitsISE_E10value_typeEPNSK_ISF_E10value_typeEPSG_NS1_7vsmem_tEENKUlT_SE_SF_SG_E_clIS8_S8_S9_S9_EESD_ST_SE_SF_SG_EUlST_E0_NS1_11comp_targetILNS1_3genE5ELNS1_11target_archE942ELNS1_3gpuE9ELNS1_3repE0EEENS1_38merge_mergepath_config_static_selectorELNS0_4arch9wavefront6targetE0EEEvSF_.num_vgpr, 0
	.set _ZN7rocprim17ROCPRIM_400000_NS6detail17trampoline_kernelINS0_14default_configENS1_38merge_sort_block_merge_config_selectorIiNS0_10empty_typeEEEZZNS1_27merge_sort_block_merge_implIS3_PiPS5_jNS1_19radix_merge_compareILb1ELb1EiNS0_19identity_decomposerEEEEE10hipError_tT0_T1_T2_jT3_P12ihipStream_tbPNSt15iterator_traitsISE_E10value_typeEPNSK_ISF_E10value_typeEPSG_NS1_7vsmem_tEENKUlT_SE_SF_SG_E_clIS8_S8_S9_S9_EESD_ST_SE_SF_SG_EUlST_E0_NS1_11comp_targetILNS1_3genE5ELNS1_11target_archE942ELNS1_3gpuE9ELNS1_3repE0EEENS1_38merge_mergepath_config_static_selectorELNS0_4arch9wavefront6targetE0EEEvSF_.num_agpr, 0
	.set _ZN7rocprim17ROCPRIM_400000_NS6detail17trampoline_kernelINS0_14default_configENS1_38merge_sort_block_merge_config_selectorIiNS0_10empty_typeEEEZZNS1_27merge_sort_block_merge_implIS3_PiPS5_jNS1_19radix_merge_compareILb1ELb1EiNS0_19identity_decomposerEEEEE10hipError_tT0_T1_T2_jT3_P12ihipStream_tbPNSt15iterator_traitsISE_E10value_typeEPNSK_ISF_E10value_typeEPSG_NS1_7vsmem_tEENKUlT_SE_SF_SG_E_clIS8_S8_S9_S9_EESD_ST_SE_SF_SG_EUlST_E0_NS1_11comp_targetILNS1_3genE5ELNS1_11target_archE942ELNS1_3gpuE9ELNS1_3repE0EEENS1_38merge_mergepath_config_static_selectorELNS0_4arch9wavefront6targetE0EEEvSF_.numbered_sgpr, 0
	.set _ZN7rocprim17ROCPRIM_400000_NS6detail17trampoline_kernelINS0_14default_configENS1_38merge_sort_block_merge_config_selectorIiNS0_10empty_typeEEEZZNS1_27merge_sort_block_merge_implIS3_PiPS5_jNS1_19radix_merge_compareILb1ELb1EiNS0_19identity_decomposerEEEEE10hipError_tT0_T1_T2_jT3_P12ihipStream_tbPNSt15iterator_traitsISE_E10value_typeEPNSK_ISF_E10value_typeEPSG_NS1_7vsmem_tEENKUlT_SE_SF_SG_E_clIS8_S8_S9_S9_EESD_ST_SE_SF_SG_EUlST_E0_NS1_11comp_targetILNS1_3genE5ELNS1_11target_archE942ELNS1_3gpuE9ELNS1_3repE0EEENS1_38merge_mergepath_config_static_selectorELNS0_4arch9wavefront6targetE0EEEvSF_.num_named_barrier, 0
	.set _ZN7rocprim17ROCPRIM_400000_NS6detail17trampoline_kernelINS0_14default_configENS1_38merge_sort_block_merge_config_selectorIiNS0_10empty_typeEEEZZNS1_27merge_sort_block_merge_implIS3_PiPS5_jNS1_19radix_merge_compareILb1ELb1EiNS0_19identity_decomposerEEEEE10hipError_tT0_T1_T2_jT3_P12ihipStream_tbPNSt15iterator_traitsISE_E10value_typeEPNSK_ISF_E10value_typeEPSG_NS1_7vsmem_tEENKUlT_SE_SF_SG_E_clIS8_S8_S9_S9_EESD_ST_SE_SF_SG_EUlST_E0_NS1_11comp_targetILNS1_3genE5ELNS1_11target_archE942ELNS1_3gpuE9ELNS1_3repE0EEENS1_38merge_mergepath_config_static_selectorELNS0_4arch9wavefront6targetE0EEEvSF_.private_seg_size, 0
	.set _ZN7rocprim17ROCPRIM_400000_NS6detail17trampoline_kernelINS0_14default_configENS1_38merge_sort_block_merge_config_selectorIiNS0_10empty_typeEEEZZNS1_27merge_sort_block_merge_implIS3_PiPS5_jNS1_19radix_merge_compareILb1ELb1EiNS0_19identity_decomposerEEEEE10hipError_tT0_T1_T2_jT3_P12ihipStream_tbPNSt15iterator_traitsISE_E10value_typeEPNSK_ISF_E10value_typeEPSG_NS1_7vsmem_tEENKUlT_SE_SF_SG_E_clIS8_S8_S9_S9_EESD_ST_SE_SF_SG_EUlST_E0_NS1_11comp_targetILNS1_3genE5ELNS1_11target_archE942ELNS1_3gpuE9ELNS1_3repE0EEENS1_38merge_mergepath_config_static_selectorELNS0_4arch9wavefront6targetE0EEEvSF_.uses_vcc, 0
	.set _ZN7rocprim17ROCPRIM_400000_NS6detail17trampoline_kernelINS0_14default_configENS1_38merge_sort_block_merge_config_selectorIiNS0_10empty_typeEEEZZNS1_27merge_sort_block_merge_implIS3_PiPS5_jNS1_19radix_merge_compareILb1ELb1EiNS0_19identity_decomposerEEEEE10hipError_tT0_T1_T2_jT3_P12ihipStream_tbPNSt15iterator_traitsISE_E10value_typeEPNSK_ISF_E10value_typeEPSG_NS1_7vsmem_tEENKUlT_SE_SF_SG_E_clIS8_S8_S9_S9_EESD_ST_SE_SF_SG_EUlST_E0_NS1_11comp_targetILNS1_3genE5ELNS1_11target_archE942ELNS1_3gpuE9ELNS1_3repE0EEENS1_38merge_mergepath_config_static_selectorELNS0_4arch9wavefront6targetE0EEEvSF_.uses_flat_scratch, 0
	.set _ZN7rocprim17ROCPRIM_400000_NS6detail17trampoline_kernelINS0_14default_configENS1_38merge_sort_block_merge_config_selectorIiNS0_10empty_typeEEEZZNS1_27merge_sort_block_merge_implIS3_PiPS5_jNS1_19radix_merge_compareILb1ELb1EiNS0_19identity_decomposerEEEEE10hipError_tT0_T1_T2_jT3_P12ihipStream_tbPNSt15iterator_traitsISE_E10value_typeEPNSK_ISF_E10value_typeEPSG_NS1_7vsmem_tEENKUlT_SE_SF_SG_E_clIS8_S8_S9_S9_EESD_ST_SE_SF_SG_EUlST_E0_NS1_11comp_targetILNS1_3genE5ELNS1_11target_archE942ELNS1_3gpuE9ELNS1_3repE0EEENS1_38merge_mergepath_config_static_selectorELNS0_4arch9wavefront6targetE0EEEvSF_.has_dyn_sized_stack, 0
	.set _ZN7rocprim17ROCPRIM_400000_NS6detail17trampoline_kernelINS0_14default_configENS1_38merge_sort_block_merge_config_selectorIiNS0_10empty_typeEEEZZNS1_27merge_sort_block_merge_implIS3_PiPS5_jNS1_19radix_merge_compareILb1ELb1EiNS0_19identity_decomposerEEEEE10hipError_tT0_T1_T2_jT3_P12ihipStream_tbPNSt15iterator_traitsISE_E10value_typeEPNSK_ISF_E10value_typeEPSG_NS1_7vsmem_tEENKUlT_SE_SF_SG_E_clIS8_S8_S9_S9_EESD_ST_SE_SF_SG_EUlST_E0_NS1_11comp_targetILNS1_3genE5ELNS1_11target_archE942ELNS1_3gpuE9ELNS1_3repE0EEENS1_38merge_mergepath_config_static_selectorELNS0_4arch9wavefront6targetE0EEEvSF_.has_recursion, 0
	.set _ZN7rocprim17ROCPRIM_400000_NS6detail17trampoline_kernelINS0_14default_configENS1_38merge_sort_block_merge_config_selectorIiNS0_10empty_typeEEEZZNS1_27merge_sort_block_merge_implIS3_PiPS5_jNS1_19radix_merge_compareILb1ELb1EiNS0_19identity_decomposerEEEEE10hipError_tT0_T1_T2_jT3_P12ihipStream_tbPNSt15iterator_traitsISE_E10value_typeEPNSK_ISF_E10value_typeEPSG_NS1_7vsmem_tEENKUlT_SE_SF_SG_E_clIS8_S8_S9_S9_EESD_ST_SE_SF_SG_EUlST_E0_NS1_11comp_targetILNS1_3genE5ELNS1_11target_archE942ELNS1_3gpuE9ELNS1_3repE0EEENS1_38merge_mergepath_config_static_selectorELNS0_4arch9wavefront6targetE0EEEvSF_.has_indirect_call, 0
	.section	.AMDGPU.csdata,"",@progbits
; Kernel info:
; codeLenInByte = 0
; TotalNumSgprs: 0
; NumVgprs: 0
; ScratchSize: 0
; MemoryBound: 0
; FloatMode: 240
; IeeeMode: 1
; LDSByteSize: 0 bytes/workgroup (compile time only)
; SGPRBlocks: 0
; VGPRBlocks: 0
; NumSGPRsForWavesPerEU: 1
; NumVGPRsForWavesPerEU: 1
; NamedBarCnt: 0
; Occupancy: 16
; WaveLimiterHint : 0
; COMPUTE_PGM_RSRC2:SCRATCH_EN: 0
; COMPUTE_PGM_RSRC2:USER_SGPR: 2
; COMPUTE_PGM_RSRC2:TRAP_HANDLER: 0
; COMPUTE_PGM_RSRC2:TGID_X_EN: 1
; COMPUTE_PGM_RSRC2:TGID_Y_EN: 0
; COMPUTE_PGM_RSRC2:TGID_Z_EN: 0
; COMPUTE_PGM_RSRC2:TIDIG_COMP_CNT: 0
	.section	.text._ZN7rocprim17ROCPRIM_400000_NS6detail17trampoline_kernelINS0_14default_configENS1_38merge_sort_block_merge_config_selectorIiNS0_10empty_typeEEEZZNS1_27merge_sort_block_merge_implIS3_PiPS5_jNS1_19radix_merge_compareILb1ELb1EiNS0_19identity_decomposerEEEEE10hipError_tT0_T1_T2_jT3_P12ihipStream_tbPNSt15iterator_traitsISE_E10value_typeEPNSK_ISF_E10value_typeEPSG_NS1_7vsmem_tEENKUlT_SE_SF_SG_E_clIS8_S8_S9_S9_EESD_ST_SE_SF_SG_EUlST_E0_NS1_11comp_targetILNS1_3genE4ELNS1_11target_archE910ELNS1_3gpuE8ELNS1_3repE0EEENS1_38merge_mergepath_config_static_selectorELNS0_4arch9wavefront6targetE0EEEvSF_,"axG",@progbits,_ZN7rocprim17ROCPRIM_400000_NS6detail17trampoline_kernelINS0_14default_configENS1_38merge_sort_block_merge_config_selectorIiNS0_10empty_typeEEEZZNS1_27merge_sort_block_merge_implIS3_PiPS5_jNS1_19radix_merge_compareILb1ELb1EiNS0_19identity_decomposerEEEEE10hipError_tT0_T1_T2_jT3_P12ihipStream_tbPNSt15iterator_traitsISE_E10value_typeEPNSK_ISF_E10value_typeEPSG_NS1_7vsmem_tEENKUlT_SE_SF_SG_E_clIS8_S8_S9_S9_EESD_ST_SE_SF_SG_EUlST_E0_NS1_11comp_targetILNS1_3genE4ELNS1_11target_archE910ELNS1_3gpuE8ELNS1_3repE0EEENS1_38merge_mergepath_config_static_selectorELNS0_4arch9wavefront6targetE0EEEvSF_,comdat
	.protected	_ZN7rocprim17ROCPRIM_400000_NS6detail17trampoline_kernelINS0_14default_configENS1_38merge_sort_block_merge_config_selectorIiNS0_10empty_typeEEEZZNS1_27merge_sort_block_merge_implIS3_PiPS5_jNS1_19radix_merge_compareILb1ELb1EiNS0_19identity_decomposerEEEEE10hipError_tT0_T1_T2_jT3_P12ihipStream_tbPNSt15iterator_traitsISE_E10value_typeEPNSK_ISF_E10value_typeEPSG_NS1_7vsmem_tEENKUlT_SE_SF_SG_E_clIS8_S8_S9_S9_EESD_ST_SE_SF_SG_EUlST_E0_NS1_11comp_targetILNS1_3genE4ELNS1_11target_archE910ELNS1_3gpuE8ELNS1_3repE0EEENS1_38merge_mergepath_config_static_selectorELNS0_4arch9wavefront6targetE0EEEvSF_ ; -- Begin function _ZN7rocprim17ROCPRIM_400000_NS6detail17trampoline_kernelINS0_14default_configENS1_38merge_sort_block_merge_config_selectorIiNS0_10empty_typeEEEZZNS1_27merge_sort_block_merge_implIS3_PiPS5_jNS1_19radix_merge_compareILb1ELb1EiNS0_19identity_decomposerEEEEE10hipError_tT0_T1_T2_jT3_P12ihipStream_tbPNSt15iterator_traitsISE_E10value_typeEPNSK_ISF_E10value_typeEPSG_NS1_7vsmem_tEENKUlT_SE_SF_SG_E_clIS8_S8_S9_S9_EESD_ST_SE_SF_SG_EUlST_E0_NS1_11comp_targetILNS1_3genE4ELNS1_11target_archE910ELNS1_3gpuE8ELNS1_3repE0EEENS1_38merge_mergepath_config_static_selectorELNS0_4arch9wavefront6targetE0EEEvSF_
	.globl	_ZN7rocprim17ROCPRIM_400000_NS6detail17trampoline_kernelINS0_14default_configENS1_38merge_sort_block_merge_config_selectorIiNS0_10empty_typeEEEZZNS1_27merge_sort_block_merge_implIS3_PiPS5_jNS1_19radix_merge_compareILb1ELb1EiNS0_19identity_decomposerEEEEE10hipError_tT0_T1_T2_jT3_P12ihipStream_tbPNSt15iterator_traitsISE_E10value_typeEPNSK_ISF_E10value_typeEPSG_NS1_7vsmem_tEENKUlT_SE_SF_SG_E_clIS8_S8_S9_S9_EESD_ST_SE_SF_SG_EUlST_E0_NS1_11comp_targetILNS1_3genE4ELNS1_11target_archE910ELNS1_3gpuE8ELNS1_3repE0EEENS1_38merge_mergepath_config_static_selectorELNS0_4arch9wavefront6targetE0EEEvSF_
	.p2align	8
	.type	_ZN7rocprim17ROCPRIM_400000_NS6detail17trampoline_kernelINS0_14default_configENS1_38merge_sort_block_merge_config_selectorIiNS0_10empty_typeEEEZZNS1_27merge_sort_block_merge_implIS3_PiPS5_jNS1_19radix_merge_compareILb1ELb1EiNS0_19identity_decomposerEEEEE10hipError_tT0_T1_T2_jT3_P12ihipStream_tbPNSt15iterator_traitsISE_E10value_typeEPNSK_ISF_E10value_typeEPSG_NS1_7vsmem_tEENKUlT_SE_SF_SG_E_clIS8_S8_S9_S9_EESD_ST_SE_SF_SG_EUlST_E0_NS1_11comp_targetILNS1_3genE4ELNS1_11target_archE910ELNS1_3gpuE8ELNS1_3repE0EEENS1_38merge_mergepath_config_static_selectorELNS0_4arch9wavefront6targetE0EEEvSF_,@function
_ZN7rocprim17ROCPRIM_400000_NS6detail17trampoline_kernelINS0_14default_configENS1_38merge_sort_block_merge_config_selectorIiNS0_10empty_typeEEEZZNS1_27merge_sort_block_merge_implIS3_PiPS5_jNS1_19radix_merge_compareILb1ELb1EiNS0_19identity_decomposerEEEEE10hipError_tT0_T1_T2_jT3_P12ihipStream_tbPNSt15iterator_traitsISE_E10value_typeEPNSK_ISF_E10value_typeEPSG_NS1_7vsmem_tEENKUlT_SE_SF_SG_E_clIS8_S8_S9_S9_EESD_ST_SE_SF_SG_EUlST_E0_NS1_11comp_targetILNS1_3genE4ELNS1_11target_archE910ELNS1_3gpuE8ELNS1_3repE0EEENS1_38merge_mergepath_config_static_selectorELNS0_4arch9wavefront6targetE0EEEvSF_: ; @_ZN7rocprim17ROCPRIM_400000_NS6detail17trampoline_kernelINS0_14default_configENS1_38merge_sort_block_merge_config_selectorIiNS0_10empty_typeEEEZZNS1_27merge_sort_block_merge_implIS3_PiPS5_jNS1_19radix_merge_compareILb1ELb1EiNS0_19identity_decomposerEEEEE10hipError_tT0_T1_T2_jT3_P12ihipStream_tbPNSt15iterator_traitsISE_E10value_typeEPNSK_ISF_E10value_typeEPSG_NS1_7vsmem_tEENKUlT_SE_SF_SG_E_clIS8_S8_S9_S9_EESD_ST_SE_SF_SG_EUlST_E0_NS1_11comp_targetILNS1_3genE4ELNS1_11target_archE910ELNS1_3gpuE8ELNS1_3repE0EEENS1_38merge_mergepath_config_static_selectorELNS0_4arch9wavefront6targetE0EEEvSF_
; %bb.0:
	.section	.rodata,"a",@progbits
	.p2align	6, 0x0
	.amdhsa_kernel _ZN7rocprim17ROCPRIM_400000_NS6detail17trampoline_kernelINS0_14default_configENS1_38merge_sort_block_merge_config_selectorIiNS0_10empty_typeEEEZZNS1_27merge_sort_block_merge_implIS3_PiPS5_jNS1_19radix_merge_compareILb1ELb1EiNS0_19identity_decomposerEEEEE10hipError_tT0_T1_T2_jT3_P12ihipStream_tbPNSt15iterator_traitsISE_E10value_typeEPNSK_ISF_E10value_typeEPSG_NS1_7vsmem_tEENKUlT_SE_SF_SG_E_clIS8_S8_S9_S9_EESD_ST_SE_SF_SG_EUlST_E0_NS1_11comp_targetILNS1_3genE4ELNS1_11target_archE910ELNS1_3gpuE8ELNS1_3repE0EEENS1_38merge_mergepath_config_static_selectorELNS0_4arch9wavefront6targetE0EEEvSF_
		.amdhsa_group_segment_fixed_size 0
		.amdhsa_private_segment_fixed_size 0
		.amdhsa_kernarg_size 64
		.amdhsa_user_sgpr_count 2
		.amdhsa_user_sgpr_dispatch_ptr 0
		.amdhsa_user_sgpr_queue_ptr 0
		.amdhsa_user_sgpr_kernarg_segment_ptr 1
		.amdhsa_user_sgpr_dispatch_id 0
		.amdhsa_user_sgpr_kernarg_preload_length 0
		.amdhsa_user_sgpr_kernarg_preload_offset 0
		.amdhsa_user_sgpr_private_segment_size 0
		.amdhsa_wavefront_size32 1
		.amdhsa_uses_dynamic_stack 0
		.amdhsa_enable_private_segment 0
		.amdhsa_system_sgpr_workgroup_id_x 1
		.amdhsa_system_sgpr_workgroup_id_y 0
		.amdhsa_system_sgpr_workgroup_id_z 0
		.amdhsa_system_sgpr_workgroup_info 0
		.amdhsa_system_vgpr_workitem_id 0
		.amdhsa_next_free_vgpr 1
		.amdhsa_next_free_sgpr 1
		.amdhsa_named_barrier_count 0
		.amdhsa_reserve_vcc 0
		.amdhsa_float_round_mode_32 0
		.amdhsa_float_round_mode_16_64 0
		.amdhsa_float_denorm_mode_32 3
		.amdhsa_float_denorm_mode_16_64 3
		.amdhsa_fp16_overflow 0
		.amdhsa_memory_ordered 1
		.amdhsa_forward_progress 1
		.amdhsa_inst_pref_size 0
		.amdhsa_round_robin_scheduling 0
		.amdhsa_exception_fp_ieee_invalid_op 0
		.amdhsa_exception_fp_denorm_src 0
		.amdhsa_exception_fp_ieee_div_zero 0
		.amdhsa_exception_fp_ieee_overflow 0
		.amdhsa_exception_fp_ieee_underflow 0
		.amdhsa_exception_fp_ieee_inexact 0
		.amdhsa_exception_int_div_zero 0
	.end_amdhsa_kernel
	.section	.text._ZN7rocprim17ROCPRIM_400000_NS6detail17trampoline_kernelINS0_14default_configENS1_38merge_sort_block_merge_config_selectorIiNS0_10empty_typeEEEZZNS1_27merge_sort_block_merge_implIS3_PiPS5_jNS1_19radix_merge_compareILb1ELb1EiNS0_19identity_decomposerEEEEE10hipError_tT0_T1_T2_jT3_P12ihipStream_tbPNSt15iterator_traitsISE_E10value_typeEPNSK_ISF_E10value_typeEPSG_NS1_7vsmem_tEENKUlT_SE_SF_SG_E_clIS8_S8_S9_S9_EESD_ST_SE_SF_SG_EUlST_E0_NS1_11comp_targetILNS1_3genE4ELNS1_11target_archE910ELNS1_3gpuE8ELNS1_3repE0EEENS1_38merge_mergepath_config_static_selectorELNS0_4arch9wavefront6targetE0EEEvSF_,"axG",@progbits,_ZN7rocprim17ROCPRIM_400000_NS6detail17trampoline_kernelINS0_14default_configENS1_38merge_sort_block_merge_config_selectorIiNS0_10empty_typeEEEZZNS1_27merge_sort_block_merge_implIS3_PiPS5_jNS1_19radix_merge_compareILb1ELb1EiNS0_19identity_decomposerEEEEE10hipError_tT0_T1_T2_jT3_P12ihipStream_tbPNSt15iterator_traitsISE_E10value_typeEPNSK_ISF_E10value_typeEPSG_NS1_7vsmem_tEENKUlT_SE_SF_SG_E_clIS8_S8_S9_S9_EESD_ST_SE_SF_SG_EUlST_E0_NS1_11comp_targetILNS1_3genE4ELNS1_11target_archE910ELNS1_3gpuE8ELNS1_3repE0EEENS1_38merge_mergepath_config_static_selectorELNS0_4arch9wavefront6targetE0EEEvSF_,comdat
.Lfunc_end810:
	.size	_ZN7rocprim17ROCPRIM_400000_NS6detail17trampoline_kernelINS0_14default_configENS1_38merge_sort_block_merge_config_selectorIiNS0_10empty_typeEEEZZNS1_27merge_sort_block_merge_implIS3_PiPS5_jNS1_19radix_merge_compareILb1ELb1EiNS0_19identity_decomposerEEEEE10hipError_tT0_T1_T2_jT3_P12ihipStream_tbPNSt15iterator_traitsISE_E10value_typeEPNSK_ISF_E10value_typeEPSG_NS1_7vsmem_tEENKUlT_SE_SF_SG_E_clIS8_S8_S9_S9_EESD_ST_SE_SF_SG_EUlST_E0_NS1_11comp_targetILNS1_3genE4ELNS1_11target_archE910ELNS1_3gpuE8ELNS1_3repE0EEENS1_38merge_mergepath_config_static_selectorELNS0_4arch9wavefront6targetE0EEEvSF_, .Lfunc_end810-_ZN7rocprim17ROCPRIM_400000_NS6detail17trampoline_kernelINS0_14default_configENS1_38merge_sort_block_merge_config_selectorIiNS0_10empty_typeEEEZZNS1_27merge_sort_block_merge_implIS3_PiPS5_jNS1_19radix_merge_compareILb1ELb1EiNS0_19identity_decomposerEEEEE10hipError_tT0_T1_T2_jT3_P12ihipStream_tbPNSt15iterator_traitsISE_E10value_typeEPNSK_ISF_E10value_typeEPSG_NS1_7vsmem_tEENKUlT_SE_SF_SG_E_clIS8_S8_S9_S9_EESD_ST_SE_SF_SG_EUlST_E0_NS1_11comp_targetILNS1_3genE4ELNS1_11target_archE910ELNS1_3gpuE8ELNS1_3repE0EEENS1_38merge_mergepath_config_static_selectorELNS0_4arch9wavefront6targetE0EEEvSF_
                                        ; -- End function
	.set _ZN7rocprim17ROCPRIM_400000_NS6detail17trampoline_kernelINS0_14default_configENS1_38merge_sort_block_merge_config_selectorIiNS0_10empty_typeEEEZZNS1_27merge_sort_block_merge_implIS3_PiPS5_jNS1_19radix_merge_compareILb1ELb1EiNS0_19identity_decomposerEEEEE10hipError_tT0_T1_T2_jT3_P12ihipStream_tbPNSt15iterator_traitsISE_E10value_typeEPNSK_ISF_E10value_typeEPSG_NS1_7vsmem_tEENKUlT_SE_SF_SG_E_clIS8_S8_S9_S9_EESD_ST_SE_SF_SG_EUlST_E0_NS1_11comp_targetILNS1_3genE4ELNS1_11target_archE910ELNS1_3gpuE8ELNS1_3repE0EEENS1_38merge_mergepath_config_static_selectorELNS0_4arch9wavefront6targetE0EEEvSF_.num_vgpr, 0
	.set _ZN7rocprim17ROCPRIM_400000_NS6detail17trampoline_kernelINS0_14default_configENS1_38merge_sort_block_merge_config_selectorIiNS0_10empty_typeEEEZZNS1_27merge_sort_block_merge_implIS3_PiPS5_jNS1_19radix_merge_compareILb1ELb1EiNS0_19identity_decomposerEEEEE10hipError_tT0_T1_T2_jT3_P12ihipStream_tbPNSt15iterator_traitsISE_E10value_typeEPNSK_ISF_E10value_typeEPSG_NS1_7vsmem_tEENKUlT_SE_SF_SG_E_clIS8_S8_S9_S9_EESD_ST_SE_SF_SG_EUlST_E0_NS1_11comp_targetILNS1_3genE4ELNS1_11target_archE910ELNS1_3gpuE8ELNS1_3repE0EEENS1_38merge_mergepath_config_static_selectorELNS0_4arch9wavefront6targetE0EEEvSF_.num_agpr, 0
	.set _ZN7rocprim17ROCPRIM_400000_NS6detail17trampoline_kernelINS0_14default_configENS1_38merge_sort_block_merge_config_selectorIiNS0_10empty_typeEEEZZNS1_27merge_sort_block_merge_implIS3_PiPS5_jNS1_19radix_merge_compareILb1ELb1EiNS0_19identity_decomposerEEEEE10hipError_tT0_T1_T2_jT3_P12ihipStream_tbPNSt15iterator_traitsISE_E10value_typeEPNSK_ISF_E10value_typeEPSG_NS1_7vsmem_tEENKUlT_SE_SF_SG_E_clIS8_S8_S9_S9_EESD_ST_SE_SF_SG_EUlST_E0_NS1_11comp_targetILNS1_3genE4ELNS1_11target_archE910ELNS1_3gpuE8ELNS1_3repE0EEENS1_38merge_mergepath_config_static_selectorELNS0_4arch9wavefront6targetE0EEEvSF_.numbered_sgpr, 0
	.set _ZN7rocprim17ROCPRIM_400000_NS6detail17trampoline_kernelINS0_14default_configENS1_38merge_sort_block_merge_config_selectorIiNS0_10empty_typeEEEZZNS1_27merge_sort_block_merge_implIS3_PiPS5_jNS1_19radix_merge_compareILb1ELb1EiNS0_19identity_decomposerEEEEE10hipError_tT0_T1_T2_jT3_P12ihipStream_tbPNSt15iterator_traitsISE_E10value_typeEPNSK_ISF_E10value_typeEPSG_NS1_7vsmem_tEENKUlT_SE_SF_SG_E_clIS8_S8_S9_S9_EESD_ST_SE_SF_SG_EUlST_E0_NS1_11comp_targetILNS1_3genE4ELNS1_11target_archE910ELNS1_3gpuE8ELNS1_3repE0EEENS1_38merge_mergepath_config_static_selectorELNS0_4arch9wavefront6targetE0EEEvSF_.num_named_barrier, 0
	.set _ZN7rocprim17ROCPRIM_400000_NS6detail17trampoline_kernelINS0_14default_configENS1_38merge_sort_block_merge_config_selectorIiNS0_10empty_typeEEEZZNS1_27merge_sort_block_merge_implIS3_PiPS5_jNS1_19radix_merge_compareILb1ELb1EiNS0_19identity_decomposerEEEEE10hipError_tT0_T1_T2_jT3_P12ihipStream_tbPNSt15iterator_traitsISE_E10value_typeEPNSK_ISF_E10value_typeEPSG_NS1_7vsmem_tEENKUlT_SE_SF_SG_E_clIS8_S8_S9_S9_EESD_ST_SE_SF_SG_EUlST_E0_NS1_11comp_targetILNS1_3genE4ELNS1_11target_archE910ELNS1_3gpuE8ELNS1_3repE0EEENS1_38merge_mergepath_config_static_selectorELNS0_4arch9wavefront6targetE0EEEvSF_.private_seg_size, 0
	.set _ZN7rocprim17ROCPRIM_400000_NS6detail17trampoline_kernelINS0_14default_configENS1_38merge_sort_block_merge_config_selectorIiNS0_10empty_typeEEEZZNS1_27merge_sort_block_merge_implIS3_PiPS5_jNS1_19radix_merge_compareILb1ELb1EiNS0_19identity_decomposerEEEEE10hipError_tT0_T1_T2_jT3_P12ihipStream_tbPNSt15iterator_traitsISE_E10value_typeEPNSK_ISF_E10value_typeEPSG_NS1_7vsmem_tEENKUlT_SE_SF_SG_E_clIS8_S8_S9_S9_EESD_ST_SE_SF_SG_EUlST_E0_NS1_11comp_targetILNS1_3genE4ELNS1_11target_archE910ELNS1_3gpuE8ELNS1_3repE0EEENS1_38merge_mergepath_config_static_selectorELNS0_4arch9wavefront6targetE0EEEvSF_.uses_vcc, 0
	.set _ZN7rocprim17ROCPRIM_400000_NS6detail17trampoline_kernelINS0_14default_configENS1_38merge_sort_block_merge_config_selectorIiNS0_10empty_typeEEEZZNS1_27merge_sort_block_merge_implIS3_PiPS5_jNS1_19radix_merge_compareILb1ELb1EiNS0_19identity_decomposerEEEEE10hipError_tT0_T1_T2_jT3_P12ihipStream_tbPNSt15iterator_traitsISE_E10value_typeEPNSK_ISF_E10value_typeEPSG_NS1_7vsmem_tEENKUlT_SE_SF_SG_E_clIS8_S8_S9_S9_EESD_ST_SE_SF_SG_EUlST_E0_NS1_11comp_targetILNS1_3genE4ELNS1_11target_archE910ELNS1_3gpuE8ELNS1_3repE0EEENS1_38merge_mergepath_config_static_selectorELNS0_4arch9wavefront6targetE0EEEvSF_.uses_flat_scratch, 0
	.set _ZN7rocprim17ROCPRIM_400000_NS6detail17trampoline_kernelINS0_14default_configENS1_38merge_sort_block_merge_config_selectorIiNS0_10empty_typeEEEZZNS1_27merge_sort_block_merge_implIS3_PiPS5_jNS1_19radix_merge_compareILb1ELb1EiNS0_19identity_decomposerEEEEE10hipError_tT0_T1_T2_jT3_P12ihipStream_tbPNSt15iterator_traitsISE_E10value_typeEPNSK_ISF_E10value_typeEPSG_NS1_7vsmem_tEENKUlT_SE_SF_SG_E_clIS8_S8_S9_S9_EESD_ST_SE_SF_SG_EUlST_E0_NS1_11comp_targetILNS1_3genE4ELNS1_11target_archE910ELNS1_3gpuE8ELNS1_3repE0EEENS1_38merge_mergepath_config_static_selectorELNS0_4arch9wavefront6targetE0EEEvSF_.has_dyn_sized_stack, 0
	.set _ZN7rocprim17ROCPRIM_400000_NS6detail17trampoline_kernelINS0_14default_configENS1_38merge_sort_block_merge_config_selectorIiNS0_10empty_typeEEEZZNS1_27merge_sort_block_merge_implIS3_PiPS5_jNS1_19radix_merge_compareILb1ELb1EiNS0_19identity_decomposerEEEEE10hipError_tT0_T1_T2_jT3_P12ihipStream_tbPNSt15iterator_traitsISE_E10value_typeEPNSK_ISF_E10value_typeEPSG_NS1_7vsmem_tEENKUlT_SE_SF_SG_E_clIS8_S8_S9_S9_EESD_ST_SE_SF_SG_EUlST_E0_NS1_11comp_targetILNS1_3genE4ELNS1_11target_archE910ELNS1_3gpuE8ELNS1_3repE0EEENS1_38merge_mergepath_config_static_selectorELNS0_4arch9wavefront6targetE0EEEvSF_.has_recursion, 0
	.set _ZN7rocprim17ROCPRIM_400000_NS6detail17trampoline_kernelINS0_14default_configENS1_38merge_sort_block_merge_config_selectorIiNS0_10empty_typeEEEZZNS1_27merge_sort_block_merge_implIS3_PiPS5_jNS1_19radix_merge_compareILb1ELb1EiNS0_19identity_decomposerEEEEE10hipError_tT0_T1_T2_jT3_P12ihipStream_tbPNSt15iterator_traitsISE_E10value_typeEPNSK_ISF_E10value_typeEPSG_NS1_7vsmem_tEENKUlT_SE_SF_SG_E_clIS8_S8_S9_S9_EESD_ST_SE_SF_SG_EUlST_E0_NS1_11comp_targetILNS1_3genE4ELNS1_11target_archE910ELNS1_3gpuE8ELNS1_3repE0EEENS1_38merge_mergepath_config_static_selectorELNS0_4arch9wavefront6targetE0EEEvSF_.has_indirect_call, 0
	.section	.AMDGPU.csdata,"",@progbits
; Kernel info:
; codeLenInByte = 0
; TotalNumSgprs: 0
; NumVgprs: 0
; ScratchSize: 0
; MemoryBound: 0
; FloatMode: 240
; IeeeMode: 1
; LDSByteSize: 0 bytes/workgroup (compile time only)
; SGPRBlocks: 0
; VGPRBlocks: 0
; NumSGPRsForWavesPerEU: 1
; NumVGPRsForWavesPerEU: 1
; NamedBarCnt: 0
; Occupancy: 16
; WaveLimiterHint : 0
; COMPUTE_PGM_RSRC2:SCRATCH_EN: 0
; COMPUTE_PGM_RSRC2:USER_SGPR: 2
; COMPUTE_PGM_RSRC2:TRAP_HANDLER: 0
; COMPUTE_PGM_RSRC2:TGID_X_EN: 1
; COMPUTE_PGM_RSRC2:TGID_Y_EN: 0
; COMPUTE_PGM_RSRC2:TGID_Z_EN: 0
; COMPUTE_PGM_RSRC2:TIDIG_COMP_CNT: 0
	.section	.text._ZN7rocprim17ROCPRIM_400000_NS6detail17trampoline_kernelINS0_14default_configENS1_38merge_sort_block_merge_config_selectorIiNS0_10empty_typeEEEZZNS1_27merge_sort_block_merge_implIS3_PiPS5_jNS1_19radix_merge_compareILb1ELb1EiNS0_19identity_decomposerEEEEE10hipError_tT0_T1_T2_jT3_P12ihipStream_tbPNSt15iterator_traitsISE_E10value_typeEPNSK_ISF_E10value_typeEPSG_NS1_7vsmem_tEENKUlT_SE_SF_SG_E_clIS8_S8_S9_S9_EESD_ST_SE_SF_SG_EUlST_E0_NS1_11comp_targetILNS1_3genE3ELNS1_11target_archE908ELNS1_3gpuE7ELNS1_3repE0EEENS1_38merge_mergepath_config_static_selectorELNS0_4arch9wavefront6targetE0EEEvSF_,"axG",@progbits,_ZN7rocprim17ROCPRIM_400000_NS6detail17trampoline_kernelINS0_14default_configENS1_38merge_sort_block_merge_config_selectorIiNS0_10empty_typeEEEZZNS1_27merge_sort_block_merge_implIS3_PiPS5_jNS1_19radix_merge_compareILb1ELb1EiNS0_19identity_decomposerEEEEE10hipError_tT0_T1_T2_jT3_P12ihipStream_tbPNSt15iterator_traitsISE_E10value_typeEPNSK_ISF_E10value_typeEPSG_NS1_7vsmem_tEENKUlT_SE_SF_SG_E_clIS8_S8_S9_S9_EESD_ST_SE_SF_SG_EUlST_E0_NS1_11comp_targetILNS1_3genE3ELNS1_11target_archE908ELNS1_3gpuE7ELNS1_3repE0EEENS1_38merge_mergepath_config_static_selectorELNS0_4arch9wavefront6targetE0EEEvSF_,comdat
	.protected	_ZN7rocprim17ROCPRIM_400000_NS6detail17trampoline_kernelINS0_14default_configENS1_38merge_sort_block_merge_config_selectorIiNS0_10empty_typeEEEZZNS1_27merge_sort_block_merge_implIS3_PiPS5_jNS1_19radix_merge_compareILb1ELb1EiNS0_19identity_decomposerEEEEE10hipError_tT0_T1_T2_jT3_P12ihipStream_tbPNSt15iterator_traitsISE_E10value_typeEPNSK_ISF_E10value_typeEPSG_NS1_7vsmem_tEENKUlT_SE_SF_SG_E_clIS8_S8_S9_S9_EESD_ST_SE_SF_SG_EUlST_E0_NS1_11comp_targetILNS1_3genE3ELNS1_11target_archE908ELNS1_3gpuE7ELNS1_3repE0EEENS1_38merge_mergepath_config_static_selectorELNS0_4arch9wavefront6targetE0EEEvSF_ ; -- Begin function _ZN7rocprim17ROCPRIM_400000_NS6detail17trampoline_kernelINS0_14default_configENS1_38merge_sort_block_merge_config_selectorIiNS0_10empty_typeEEEZZNS1_27merge_sort_block_merge_implIS3_PiPS5_jNS1_19radix_merge_compareILb1ELb1EiNS0_19identity_decomposerEEEEE10hipError_tT0_T1_T2_jT3_P12ihipStream_tbPNSt15iterator_traitsISE_E10value_typeEPNSK_ISF_E10value_typeEPSG_NS1_7vsmem_tEENKUlT_SE_SF_SG_E_clIS8_S8_S9_S9_EESD_ST_SE_SF_SG_EUlST_E0_NS1_11comp_targetILNS1_3genE3ELNS1_11target_archE908ELNS1_3gpuE7ELNS1_3repE0EEENS1_38merge_mergepath_config_static_selectorELNS0_4arch9wavefront6targetE0EEEvSF_
	.globl	_ZN7rocprim17ROCPRIM_400000_NS6detail17trampoline_kernelINS0_14default_configENS1_38merge_sort_block_merge_config_selectorIiNS0_10empty_typeEEEZZNS1_27merge_sort_block_merge_implIS3_PiPS5_jNS1_19radix_merge_compareILb1ELb1EiNS0_19identity_decomposerEEEEE10hipError_tT0_T1_T2_jT3_P12ihipStream_tbPNSt15iterator_traitsISE_E10value_typeEPNSK_ISF_E10value_typeEPSG_NS1_7vsmem_tEENKUlT_SE_SF_SG_E_clIS8_S8_S9_S9_EESD_ST_SE_SF_SG_EUlST_E0_NS1_11comp_targetILNS1_3genE3ELNS1_11target_archE908ELNS1_3gpuE7ELNS1_3repE0EEENS1_38merge_mergepath_config_static_selectorELNS0_4arch9wavefront6targetE0EEEvSF_
	.p2align	8
	.type	_ZN7rocprim17ROCPRIM_400000_NS6detail17trampoline_kernelINS0_14default_configENS1_38merge_sort_block_merge_config_selectorIiNS0_10empty_typeEEEZZNS1_27merge_sort_block_merge_implIS3_PiPS5_jNS1_19radix_merge_compareILb1ELb1EiNS0_19identity_decomposerEEEEE10hipError_tT0_T1_T2_jT3_P12ihipStream_tbPNSt15iterator_traitsISE_E10value_typeEPNSK_ISF_E10value_typeEPSG_NS1_7vsmem_tEENKUlT_SE_SF_SG_E_clIS8_S8_S9_S9_EESD_ST_SE_SF_SG_EUlST_E0_NS1_11comp_targetILNS1_3genE3ELNS1_11target_archE908ELNS1_3gpuE7ELNS1_3repE0EEENS1_38merge_mergepath_config_static_selectorELNS0_4arch9wavefront6targetE0EEEvSF_,@function
_ZN7rocprim17ROCPRIM_400000_NS6detail17trampoline_kernelINS0_14default_configENS1_38merge_sort_block_merge_config_selectorIiNS0_10empty_typeEEEZZNS1_27merge_sort_block_merge_implIS3_PiPS5_jNS1_19radix_merge_compareILb1ELb1EiNS0_19identity_decomposerEEEEE10hipError_tT0_T1_T2_jT3_P12ihipStream_tbPNSt15iterator_traitsISE_E10value_typeEPNSK_ISF_E10value_typeEPSG_NS1_7vsmem_tEENKUlT_SE_SF_SG_E_clIS8_S8_S9_S9_EESD_ST_SE_SF_SG_EUlST_E0_NS1_11comp_targetILNS1_3genE3ELNS1_11target_archE908ELNS1_3gpuE7ELNS1_3repE0EEENS1_38merge_mergepath_config_static_selectorELNS0_4arch9wavefront6targetE0EEEvSF_: ; @_ZN7rocprim17ROCPRIM_400000_NS6detail17trampoline_kernelINS0_14default_configENS1_38merge_sort_block_merge_config_selectorIiNS0_10empty_typeEEEZZNS1_27merge_sort_block_merge_implIS3_PiPS5_jNS1_19radix_merge_compareILb1ELb1EiNS0_19identity_decomposerEEEEE10hipError_tT0_T1_T2_jT3_P12ihipStream_tbPNSt15iterator_traitsISE_E10value_typeEPNSK_ISF_E10value_typeEPSG_NS1_7vsmem_tEENKUlT_SE_SF_SG_E_clIS8_S8_S9_S9_EESD_ST_SE_SF_SG_EUlST_E0_NS1_11comp_targetILNS1_3genE3ELNS1_11target_archE908ELNS1_3gpuE7ELNS1_3repE0EEENS1_38merge_mergepath_config_static_selectorELNS0_4arch9wavefront6targetE0EEEvSF_
; %bb.0:
	.section	.rodata,"a",@progbits
	.p2align	6, 0x0
	.amdhsa_kernel _ZN7rocprim17ROCPRIM_400000_NS6detail17trampoline_kernelINS0_14default_configENS1_38merge_sort_block_merge_config_selectorIiNS0_10empty_typeEEEZZNS1_27merge_sort_block_merge_implIS3_PiPS5_jNS1_19radix_merge_compareILb1ELb1EiNS0_19identity_decomposerEEEEE10hipError_tT0_T1_T2_jT3_P12ihipStream_tbPNSt15iterator_traitsISE_E10value_typeEPNSK_ISF_E10value_typeEPSG_NS1_7vsmem_tEENKUlT_SE_SF_SG_E_clIS8_S8_S9_S9_EESD_ST_SE_SF_SG_EUlST_E0_NS1_11comp_targetILNS1_3genE3ELNS1_11target_archE908ELNS1_3gpuE7ELNS1_3repE0EEENS1_38merge_mergepath_config_static_selectorELNS0_4arch9wavefront6targetE0EEEvSF_
		.amdhsa_group_segment_fixed_size 0
		.amdhsa_private_segment_fixed_size 0
		.amdhsa_kernarg_size 64
		.amdhsa_user_sgpr_count 2
		.amdhsa_user_sgpr_dispatch_ptr 0
		.amdhsa_user_sgpr_queue_ptr 0
		.amdhsa_user_sgpr_kernarg_segment_ptr 1
		.amdhsa_user_sgpr_dispatch_id 0
		.amdhsa_user_sgpr_kernarg_preload_length 0
		.amdhsa_user_sgpr_kernarg_preload_offset 0
		.amdhsa_user_sgpr_private_segment_size 0
		.amdhsa_wavefront_size32 1
		.amdhsa_uses_dynamic_stack 0
		.amdhsa_enable_private_segment 0
		.amdhsa_system_sgpr_workgroup_id_x 1
		.amdhsa_system_sgpr_workgroup_id_y 0
		.amdhsa_system_sgpr_workgroup_id_z 0
		.amdhsa_system_sgpr_workgroup_info 0
		.amdhsa_system_vgpr_workitem_id 0
		.amdhsa_next_free_vgpr 1
		.amdhsa_next_free_sgpr 1
		.amdhsa_named_barrier_count 0
		.amdhsa_reserve_vcc 0
		.amdhsa_float_round_mode_32 0
		.amdhsa_float_round_mode_16_64 0
		.amdhsa_float_denorm_mode_32 3
		.amdhsa_float_denorm_mode_16_64 3
		.amdhsa_fp16_overflow 0
		.amdhsa_memory_ordered 1
		.amdhsa_forward_progress 1
		.amdhsa_inst_pref_size 0
		.amdhsa_round_robin_scheduling 0
		.amdhsa_exception_fp_ieee_invalid_op 0
		.amdhsa_exception_fp_denorm_src 0
		.amdhsa_exception_fp_ieee_div_zero 0
		.amdhsa_exception_fp_ieee_overflow 0
		.amdhsa_exception_fp_ieee_underflow 0
		.amdhsa_exception_fp_ieee_inexact 0
		.amdhsa_exception_int_div_zero 0
	.end_amdhsa_kernel
	.section	.text._ZN7rocprim17ROCPRIM_400000_NS6detail17trampoline_kernelINS0_14default_configENS1_38merge_sort_block_merge_config_selectorIiNS0_10empty_typeEEEZZNS1_27merge_sort_block_merge_implIS3_PiPS5_jNS1_19radix_merge_compareILb1ELb1EiNS0_19identity_decomposerEEEEE10hipError_tT0_T1_T2_jT3_P12ihipStream_tbPNSt15iterator_traitsISE_E10value_typeEPNSK_ISF_E10value_typeEPSG_NS1_7vsmem_tEENKUlT_SE_SF_SG_E_clIS8_S8_S9_S9_EESD_ST_SE_SF_SG_EUlST_E0_NS1_11comp_targetILNS1_3genE3ELNS1_11target_archE908ELNS1_3gpuE7ELNS1_3repE0EEENS1_38merge_mergepath_config_static_selectorELNS0_4arch9wavefront6targetE0EEEvSF_,"axG",@progbits,_ZN7rocprim17ROCPRIM_400000_NS6detail17trampoline_kernelINS0_14default_configENS1_38merge_sort_block_merge_config_selectorIiNS0_10empty_typeEEEZZNS1_27merge_sort_block_merge_implIS3_PiPS5_jNS1_19radix_merge_compareILb1ELb1EiNS0_19identity_decomposerEEEEE10hipError_tT0_T1_T2_jT3_P12ihipStream_tbPNSt15iterator_traitsISE_E10value_typeEPNSK_ISF_E10value_typeEPSG_NS1_7vsmem_tEENKUlT_SE_SF_SG_E_clIS8_S8_S9_S9_EESD_ST_SE_SF_SG_EUlST_E0_NS1_11comp_targetILNS1_3genE3ELNS1_11target_archE908ELNS1_3gpuE7ELNS1_3repE0EEENS1_38merge_mergepath_config_static_selectorELNS0_4arch9wavefront6targetE0EEEvSF_,comdat
.Lfunc_end811:
	.size	_ZN7rocprim17ROCPRIM_400000_NS6detail17trampoline_kernelINS0_14default_configENS1_38merge_sort_block_merge_config_selectorIiNS0_10empty_typeEEEZZNS1_27merge_sort_block_merge_implIS3_PiPS5_jNS1_19radix_merge_compareILb1ELb1EiNS0_19identity_decomposerEEEEE10hipError_tT0_T1_T2_jT3_P12ihipStream_tbPNSt15iterator_traitsISE_E10value_typeEPNSK_ISF_E10value_typeEPSG_NS1_7vsmem_tEENKUlT_SE_SF_SG_E_clIS8_S8_S9_S9_EESD_ST_SE_SF_SG_EUlST_E0_NS1_11comp_targetILNS1_3genE3ELNS1_11target_archE908ELNS1_3gpuE7ELNS1_3repE0EEENS1_38merge_mergepath_config_static_selectorELNS0_4arch9wavefront6targetE0EEEvSF_, .Lfunc_end811-_ZN7rocprim17ROCPRIM_400000_NS6detail17trampoline_kernelINS0_14default_configENS1_38merge_sort_block_merge_config_selectorIiNS0_10empty_typeEEEZZNS1_27merge_sort_block_merge_implIS3_PiPS5_jNS1_19radix_merge_compareILb1ELb1EiNS0_19identity_decomposerEEEEE10hipError_tT0_T1_T2_jT3_P12ihipStream_tbPNSt15iterator_traitsISE_E10value_typeEPNSK_ISF_E10value_typeEPSG_NS1_7vsmem_tEENKUlT_SE_SF_SG_E_clIS8_S8_S9_S9_EESD_ST_SE_SF_SG_EUlST_E0_NS1_11comp_targetILNS1_3genE3ELNS1_11target_archE908ELNS1_3gpuE7ELNS1_3repE0EEENS1_38merge_mergepath_config_static_selectorELNS0_4arch9wavefront6targetE0EEEvSF_
                                        ; -- End function
	.set _ZN7rocprim17ROCPRIM_400000_NS6detail17trampoline_kernelINS0_14default_configENS1_38merge_sort_block_merge_config_selectorIiNS0_10empty_typeEEEZZNS1_27merge_sort_block_merge_implIS3_PiPS5_jNS1_19radix_merge_compareILb1ELb1EiNS0_19identity_decomposerEEEEE10hipError_tT0_T1_T2_jT3_P12ihipStream_tbPNSt15iterator_traitsISE_E10value_typeEPNSK_ISF_E10value_typeEPSG_NS1_7vsmem_tEENKUlT_SE_SF_SG_E_clIS8_S8_S9_S9_EESD_ST_SE_SF_SG_EUlST_E0_NS1_11comp_targetILNS1_3genE3ELNS1_11target_archE908ELNS1_3gpuE7ELNS1_3repE0EEENS1_38merge_mergepath_config_static_selectorELNS0_4arch9wavefront6targetE0EEEvSF_.num_vgpr, 0
	.set _ZN7rocprim17ROCPRIM_400000_NS6detail17trampoline_kernelINS0_14default_configENS1_38merge_sort_block_merge_config_selectorIiNS0_10empty_typeEEEZZNS1_27merge_sort_block_merge_implIS3_PiPS5_jNS1_19radix_merge_compareILb1ELb1EiNS0_19identity_decomposerEEEEE10hipError_tT0_T1_T2_jT3_P12ihipStream_tbPNSt15iterator_traitsISE_E10value_typeEPNSK_ISF_E10value_typeEPSG_NS1_7vsmem_tEENKUlT_SE_SF_SG_E_clIS8_S8_S9_S9_EESD_ST_SE_SF_SG_EUlST_E0_NS1_11comp_targetILNS1_3genE3ELNS1_11target_archE908ELNS1_3gpuE7ELNS1_3repE0EEENS1_38merge_mergepath_config_static_selectorELNS0_4arch9wavefront6targetE0EEEvSF_.num_agpr, 0
	.set _ZN7rocprim17ROCPRIM_400000_NS6detail17trampoline_kernelINS0_14default_configENS1_38merge_sort_block_merge_config_selectorIiNS0_10empty_typeEEEZZNS1_27merge_sort_block_merge_implIS3_PiPS5_jNS1_19radix_merge_compareILb1ELb1EiNS0_19identity_decomposerEEEEE10hipError_tT0_T1_T2_jT3_P12ihipStream_tbPNSt15iterator_traitsISE_E10value_typeEPNSK_ISF_E10value_typeEPSG_NS1_7vsmem_tEENKUlT_SE_SF_SG_E_clIS8_S8_S9_S9_EESD_ST_SE_SF_SG_EUlST_E0_NS1_11comp_targetILNS1_3genE3ELNS1_11target_archE908ELNS1_3gpuE7ELNS1_3repE0EEENS1_38merge_mergepath_config_static_selectorELNS0_4arch9wavefront6targetE0EEEvSF_.numbered_sgpr, 0
	.set _ZN7rocprim17ROCPRIM_400000_NS6detail17trampoline_kernelINS0_14default_configENS1_38merge_sort_block_merge_config_selectorIiNS0_10empty_typeEEEZZNS1_27merge_sort_block_merge_implIS3_PiPS5_jNS1_19radix_merge_compareILb1ELb1EiNS0_19identity_decomposerEEEEE10hipError_tT0_T1_T2_jT3_P12ihipStream_tbPNSt15iterator_traitsISE_E10value_typeEPNSK_ISF_E10value_typeEPSG_NS1_7vsmem_tEENKUlT_SE_SF_SG_E_clIS8_S8_S9_S9_EESD_ST_SE_SF_SG_EUlST_E0_NS1_11comp_targetILNS1_3genE3ELNS1_11target_archE908ELNS1_3gpuE7ELNS1_3repE0EEENS1_38merge_mergepath_config_static_selectorELNS0_4arch9wavefront6targetE0EEEvSF_.num_named_barrier, 0
	.set _ZN7rocprim17ROCPRIM_400000_NS6detail17trampoline_kernelINS0_14default_configENS1_38merge_sort_block_merge_config_selectorIiNS0_10empty_typeEEEZZNS1_27merge_sort_block_merge_implIS3_PiPS5_jNS1_19radix_merge_compareILb1ELb1EiNS0_19identity_decomposerEEEEE10hipError_tT0_T1_T2_jT3_P12ihipStream_tbPNSt15iterator_traitsISE_E10value_typeEPNSK_ISF_E10value_typeEPSG_NS1_7vsmem_tEENKUlT_SE_SF_SG_E_clIS8_S8_S9_S9_EESD_ST_SE_SF_SG_EUlST_E0_NS1_11comp_targetILNS1_3genE3ELNS1_11target_archE908ELNS1_3gpuE7ELNS1_3repE0EEENS1_38merge_mergepath_config_static_selectorELNS0_4arch9wavefront6targetE0EEEvSF_.private_seg_size, 0
	.set _ZN7rocprim17ROCPRIM_400000_NS6detail17trampoline_kernelINS0_14default_configENS1_38merge_sort_block_merge_config_selectorIiNS0_10empty_typeEEEZZNS1_27merge_sort_block_merge_implIS3_PiPS5_jNS1_19radix_merge_compareILb1ELb1EiNS0_19identity_decomposerEEEEE10hipError_tT0_T1_T2_jT3_P12ihipStream_tbPNSt15iterator_traitsISE_E10value_typeEPNSK_ISF_E10value_typeEPSG_NS1_7vsmem_tEENKUlT_SE_SF_SG_E_clIS8_S8_S9_S9_EESD_ST_SE_SF_SG_EUlST_E0_NS1_11comp_targetILNS1_3genE3ELNS1_11target_archE908ELNS1_3gpuE7ELNS1_3repE0EEENS1_38merge_mergepath_config_static_selectorELNS0_4arch9wavefront6targetE0EEEvSF_.uses_vcc, 0
	.set _ZN7rocprim17ROCPRIM_400000_NS6detail17trampoline_kernelINS0_14default_configENS1_38merge_sort_block_merge_config_selectorIiNS0_10empty_typeEEEZZNS1_27merge_sort_block_merge_implIS3_PiPS5_jNS1_19radix_merge_compareILb1ELb1EiNS0_19identity_decomposerEEEEE10hipError_tT0_T1_T2_jT3_P12ihipStream_tbPNSt15iterator_traitsISE_E10value_typeEPNSK_ISF_E10value_typeEPSG_NS1_7vsmem_tEENKUlT_SE_SF_SG_E_clIS8_S8_S9_S9_EESD_ST_SE_SF_SG_EUlST_E0_NS1_11comp_targetILNS1_3genE3ELNS1_11target_archE908ELNS1_3gpuE7ELNS1_3repE0EEENS1_38merge_mergepath_config_static_selectorELNS0_4arch9wavefront6targetE0EEEvSF_.uses_flat_scratch, 0
	.set _ZN7rocprim17ROCPRIM_400000_NS6detail17trampoline_kernelINS0_14default_configENS1_38merge_sort_block_merge_config_selectorIiNS0_10empty_typeEEEZZNS1_27merge_sort_block_merge_implIS3_PiPS5_jNS1_19radix_merge_compareILb1ELb1EiNS0_19identity_decomposerEEEEE10hipError_tT0_T1_T2_jT3_P12ihipStream_tbPNSt15iterator_traitsISE_E10value_typeEPNSK_ISF_E10value_typeEPSG_NS1_7vsmem_tEENKUlT_SE_SF_SG_E_clIS8_S8_S9_S9_EESD_ST_SE_SF_SG_EUlST_E0_NS1_11comp_targetILNS1_3genE3ELNS1_11target_archE908ELNS1_3gpuE7ELNS1_3repE0EEENS1_38merge_mergepath_config_static_selectorELNS0_4arch9wavefront6targetE0EEEvSF_.has_dyn_sized_stack, 0
	.set _ZN7rocprim17ROCPRIM_400000_NS6detail17trampoline_kernelINS0_14default_configENS1_38merge_sort_block_merge_config_selectorIiNS0_10empty_typeEEEZZNS1_27merge_sort_block_merge_implIS3_PiPS5_jNS1_19radix_merge_compareILb1ELb1EiNS0_19identity_decomposerEEEEE10hipError_tT0_T1_T2_jT3_P12ihipStream_tbPNSt15iterator_traitsISE_E10value_typeEPNSK_ISF_E10value_typeEPSG_NS1_7vsmem_tEENKUlT_SE_SF_SG_E_clIS8_S8_S9_S9_EESD_ST_SE_SF_SG_EUlST_E0_NS1_11comp_targetILNS1_3genE3ELNS1_11target_archE908ELNS1_3gpuE7ELNS1_3repE0EEENS1_38merge_mergepath_config_static_selectorELNS0_4arch9wavefront6targetE0EEEvSF_.has_recursion, 0
	.set _ZN7rocprim17ROCPRIM_400000_NS6detail17trampoline_kernelINS0_14default_configENS1_38merge_sort_block_merge_config_selectorIiNS0_10empty_typeEEEZZNS1_27merge_sort_block_merge_implIS3_PiPS5_jNS1_19radix_merge_compareILb1ELb1EiNS0_19identity_decomposerEEEEE10hipError_tT0_T1_T2_jT3_P12ihipStream_tbPNSt15iterator_traitsISE_E10value_typeEPNSK_ISF_E10value_typeEPSG_NS1_7vsmem_tEENKUlT_SE_SF_SG_E_clIS8_S8_S9_S9_EESD_ST_SE_SF_SG_EUlST_E0_NS1_11comp_targetILNS1_3genE3ELNS1_11target_archE908ELNS1_3gpuE7ELNS1_3repE0EEENS1_38merge_mergepath_config_static_selectorELNS0_4arch9wavefront6targetE0EEEvSF_.has_indirect_call, 0
	.section	.AMDGPU.csdata,"",@progbits
; Kernel info:
; codeLenInByte = 0
; TotalNumSgprs: 0
; NumVgprs: 0
; ScratchSize: 0
; MemoryBound: 0
; FloatMode: 240
; IeeeMode: 1
; LDSByteSize: 0 bytes/workgroup (compile time only)
; SGPRBlocks: 0
; VGPRBlocks: 0
; NumSGPRsForWavesPerEU: 1
; NumVGPRsForWavesPerEU: 1
; NamedBarCnt: 0
; Occupancy: 16
; WaveLimiterHint : 0
; COMPUTE_PGM_RSRC2:SCRATCH_EN: 0
; COMPUTE_PGM_RSRC2:USER_SGPR: 2
; COMPUTE_PGM_RSRC2:TRAP_HANDLER: 0
; COMPUTE_PGM_RSRC2:TGID_X_EN: 1
; COMPUTE_PGM_RSRC2:TGID_Y_EN: 0
; COMPUTE_PGM_RSRC2:TGID_Z_EN: 0
; COMPUTE_PGM_RSRC2:TIDIG_COMP_CNT: 0
	.section	.text._ZN7rocprim17ROCPRIM_400000_NS6detail17trampoline_kernelINS0_14default_configENS1_38merge_sort_block_merge_config_selectorIiNS0_10empty_typeEEEZZNS1_27merge_sort_block_merge_implIS3_PiPS5_jNS1_19radix_merge_compareILb1ELb1EiNS0_19identity_decomposerEEEEE10hipError_tT0_T1_T2_jT3_P12ihipStream_tbPNSt15iterator_traitsISE_E10value_typeEPNSK_ISF_E10value_typeEPSG_NS1_7vsmem_tEENKUlT_SE_SF_SG_E_clIS8_S8_S9_S9_EESD_ST_SE_SF_SG_EUlST_E0_NS1_11comp_targetILNS1_3genE2ELNS1_11target_archE906ELNS1_3gpuE6ELNS1_3repE0EEENS1_38merge_mergepath_config_static_selectorELNS0_4arch9wavefront6targetE0EEEvSF_,"axG",@progbits,_ZN7rocprim17ROCPRIM_400000_NS6detail17trampoline_kernelINS0_14default_configENS1_38merge_sort_block_merge_config_selectorIiNS0_10empty_typeEEEZZNS1_27merge_sort_block_merge_implIS3_PiPS5_jNS1_19radix_merge_compareILb1ELb1EiNS0_19identity_decomposerEEEEE10hipError_tT0_T1_T2_jT3_P12ihipStream_tbPNSt15iterator_traitsISE_E10value_typeEPNSK_ISF_E10value_typeEPSG_NS1_7vsmem_tEENKUlT_SE_SF_SG_E_clIS8_S8_S9_S9_EESD_ST_SE_SF_SG_EUlST_E0_NS1_11comp_targetILNS1_3genE2ELNS1_11target_archE906ELNS1_3gpuE6ELNS1_3repE0EEENS1_38merge_mergepath_config_static_selectorELNS0_4arch9wavefront6targetE0EEEvSF_,comdat
	.protected	_ZN7rocprim17ROCPRIM_400000_NS6detail17trampoline_kernelINS0_14default_configENS1_38merge_sort_block_merge_config_selectorIiNS0_10empty_typeEEEZZNS1_27merge_sort_block_merge_implIS3_PiPS5_jNS1_19radix_merge_compareILb1ELb1EiNS0_19identity_decomposerEEEEE10hipError_tT0_T1_T2_jT3_P12ihipStream_tbPNSt15iterator_traitsISE_E10value_typeEPNSK_ISF_E10value_typeEPSG_NS1_7vsmem_tEENKUlT_SE_SF_SG_E_clIS8_S8_S9_S9_EESD_ST_SE_SF_SG_EUlST_E0_NS1_11comp_targetILNS1_3genE2ELNS1_11target_archE906ELNS1_3gpuE6ELNS1_3repE0EEENS1_38merge_mergepath_config_static_selectorELNS0_4arch9wavefront6targetE0EEEvSF_ ; -- Begin function _ZN7rocprim17ROCPRIM_400000_NS6detail17trampoline_kernelINS0_14default_configENS1_38merge_sort_block_merge_config_selectorIiNS0_10empty_typeEEEZZNS1_27merge_sort_block_merge_implIS3_PiPS5_jNS1_19radix_merge_compareILb1ELb1EiNS0_19identity_decomposerEEEEE10hipError_tT0_T1_T2_jT3_P12ihipStream_tbPNSt15iterator_traitsISE_E10value_typeEPNSK_ISF_E10value_typeEPSG_NS1_7vsmem_tEENKUlT_SE_SF_SG_E_clIS8_S8_S9_S9_EESD_ST_SE_SF_SG_EUlST_E0_NS1_11comp_targetILNS1_3genE2ELNS1_11target_archE906ELNS1_3gpuE6ELNS1_3repE0EEENS1_38merge_mergepath_config_static_selectorELNS0_4arch9wavefront6targetE0EEEvSF_
	.globl	_ZN7rocprim17ROCPRIM_400000_NS6detail17trampoline_kernelINS0_14default_configENS1_38merge_sort_block_merge_config_selectorIiNS0_10empty_typeEEEZZNS1_27merge_sort_block_merge_implIS3_PiPS5_jNS1_19radix_merge_compareILb1ELb1EiNS0_19identity_decomposerEEEEE10hipError_tT0_T1_T2_jT3_P12ihipStream_tbPNSt15iterator_traitsISE_E10value_typeEPNSK_ISF_E10value_typeEPSG_NS1_7vsmem_tEENKUlT_SE_SF_SG_E_clIS8_S8_S9_S9_EESD_ST_SE_SF_SG_EUlST_E0_NS1_11comp_targetILNS1_3genE2ELNS1_11target_archE906ELNS1_3gpuE6ELNS1_3repE0EEENS1_38merge_mergepath_config_static_selectorELNS0_4arch9wavefront6targetE0EEEvSF_
	.p2align	8
	.type	_ZN7rocprim17ROCPRIM_400000_NS6detail17trampoline_kernelINS0_14default_configENS1_38merge_sort_block_merge_config_selectorIiNS0_10empty_typeEEEZZNS1_27merge_sort_block_merge_implIS3_PiPS5_jNS1_19radix_merge_compareILb1ELb1EiNS0_19identity_decomposerEEEEE10hipError_tT0_T1_T2_jT3_P12ihipStream_tbPNSt15iterator_traitsISE_E10value_typeEPNSK_ISF_E10value_typeEPSG_NS1_7vsmem_tEENKUlT_SE_SF_SG_E_clIS8_S8_S9_S9_EESD_ST_SE_SF_SG_EUlST_E0_NS1_11comp_targetILNS1_3genE2ELNS1_11target_archE906ELNS1_3gpuE6ELNS1_3repE0EEENS1_38merge_mergepath_config_static_selectorELNS0_4arch9wavefront6targetE0EEEvSF_,@function
_ZN7rocprim17ROCPRIM_400000_NS6detail17trampoline_kernelINS0_14default_configENS1_38merge_sort_block_merge_config_selectorIiNS0_10empty_typeEEEZZNS1_27merge_sort_block_merge_implIS3_PiPS5_jNS1_19radix_merge_compareILb1ELb1EiNS0_19identity_decomposerEEEEE10hipError_tT0_T1_T2_jT3_P12ihipStream_tbPNSt15iterator_traitsISE_E10value_typeEPNSK_ISF_E10value_typeEPSG_NS1_7vsmem_tEENKUlT_SE_SF_SG_E_clIS8_S8_S9_S9_EESD_ST_SE_SF_SG_EUlST_E0_NS1_11comp_targetILNS1_3genE2ELNS1_11target_archE906ELNS1_3gpuE6ELNS1_3repE0EEENS1_38merge_mergepath_config_static_selectorELNS0_4arch9wavefront6targetE0EEEvSF_: ; @_ZN7rocprim17ROCPRIM_400000_NS6detail17trampoline_kernelINS0_14default_configENS1_38merge_sort_block_merge_config_selectorIiNS0_10empty_typeEEEZZNS1_27merge_sort_block_merge_implIS3_PiPS5_jNS1_19radix_merge_compareILb1ELb1EiNS0_19identity_decomposerEEEEE10hipError_tT0_T1_T2_jT3_P12ihipStream_tbPNSt15iterator_traitsISE_E10value_typeEPNSK_ISF_E10value_typeEPSG_NS1_7vsmem_tEENKUlT_SE_SF_SG_E_clIS8_S8_S9_S9_EESD_ST_SE_SF_SG_EUlST_E0_NS1_11comp_targetILNS1_3genE2ELNS1_11target_archE906ELNS1_3gpuE6ELNS1_3repE0EEENS1_38merge_mergepath_config_static_selectorELNS0_4arch9wavefront6targetE0EEEvSF_
; %bb.0:
	.section	.rodata,"a",@progbits
	.p2align	6, 0x0
	.amdhsa_kernel _ZN7rocprim17ROCPRIM_400000_NS6detail17trampoline_kernelINS0_14default_configENS1_38merge_sort_block_merge_config_selectorIiNS0_10empty_typeEEEZZNS1_27merge_sort_block_merge_implIS3_PiPS5_jNS1_19radix_merge_compareILb1ELb1EiNS0_19identity_decomposerEEEEE10hipError_tT0_T1_T2_jT3_P12ihipStream_tbPNSt15iterator_traitsISE_E10value_typeEPNSK_ISF_E10value_typeEPSG_NS1_7vsmem_tEENKUlT_SE_SF_SG_E_clIS8_S8_S9_S9_EESD_ST_SE_SF_SG_EUlST_E0_NS1_11comp_targetILNS1_3genE2ELNS1_11target_archE906ELNS1_3gpuE6ELNS1_3repE0EEENS1_38merge_mergepath_config_static_selectorELNS0_4arch9wavefront6targetE0EEEvSF_
		.amdhsa_group_segment_fixed_size 0
		.amdhsa_private_segment_fixed_size 0
		.amdhsa_kernarg_size 64
		.amdhsa_user_sgpr_count 2
		.amdhsa_user_sgpr_dispatch_ptr 0
		.amdhsa_user_sgpr_queue_ptr 0
		.amdhsa_user_sgpr_kernarg_segment_ptr 1
		.amdhsa_user_sgpr_dispatch_id 0
		.amdhsa_user_sgpr_kernarg_preload_length 0
		.amdhsa_user_sgpr_kernarg_preload_offset 0
		.amdhsa_user_sgpr_private_segment_size 0
		.amdhsa_wavefront_size32 1
		.amdhsa_uses_dynamic_stack 0
		.amdhsa_enable_private_segment 0
		.amdhsa_system_sgpr_workgroup_id_x 1
		.amdhsa_system_sgpr_workgroup_id_y 0
		.amdhsa_system_sgpr_workgroup_id_z 0
		.amdhsa_system_sgpr_workgroup_info 0
		.amdhsa_system_vgpr_workitem_id 0
		.amdhsa_next_free_vgpr 1
		.amdhsa_next_free_sgpr 1
		.amdhsa_named_barrier_count 0
		.amdhsa_reserve_vcc 0
		.amdhsa_float_round_mode_32 0
		.amdhsa_float_round_mode_16_64 0
		.amdhsa_float_denorm_mode_32 3
		.amdhsa_float_denorm_mode_16_64 3
		.amdhsa_fp16_overflow 0
		.amdhsa_memory_ordered 1
		.amdhsa_forward_progress 1
		.amdhsa_inst_pref_size 0
		.amdhsa_round_robin_scheduling 0
		.amdhsa_exception_fp_ieee_invalid_op 0
		.amdhsa_exception_fp_denorm_src 0
		.amdhsa_exception_fp_ieee_div_zero 0
		.amdhsa_exception_fp_ieee_overflow 0
		.amdhsa_exception_fp_ieee_underflow 0
		.amdhsa_exception_fp_ieee_inexact 0
		.amdhsa_exception_int_div_zero 0
	.end_amdhsa_kernel
	.section	.text._ZN7rocprim17ROCPRIM_400000_NS6detail17trampoline_kernelINS0_14default_configENS1_38merge_sort_block_merge_config_selectorIiNS0_10empty_typeEEEZZNS1_27merge_sort_block_merge_implIS3_PiPS5_jNS1_19radix_merge_compareILb1ELb1EiNS0_19identity_decomposerEEEEE10hipError_tT0_T1_T2_jT3_P12ihipStream_tbPNSt15iterator_traitsISE_E10value_typeEPNSK_ISF_E10value_typeEPSG_NS1_7vsmem_tEENKUlT_SE_SF_SG_E_clIS8_S8_S9_S9_EESD_ST_SE_SF_SG_EUlST_E0_NS1_11comp_targetILNS1_3genE2ELNS1_11target_archE906ELNS1_3gpuE6ELNS1_3repE0EEENS1_38merge_mergepath_config_static_selectorELNS0_4arch9wavefront6targetE0EEEvSF_,"axG",@progbits,_ZN7rocprim17ROCPRIM_400000_NS6detail17trampoline_kernelINS0_14default_configENS1_38merge_sort_block_merge_config_selectorIiNS0_10empty_typeEEEZZNS1_27merge_sort_block_merge_implIS3_PiPS5_jNS1_19radix_merge_compareILb1ELb1EiNS0_19identity_decomposerEEEEE10hipError_tT0_T1_T2_jT3_P12ihipStream_tbPNSt15iterator_traitsISE_E10value_typeEPNSK_ISF_E10value_typeEPSG_NS1_7vsmem_tEENKUlT_SE_SF_SG_E_clIS8_S8_S9_S9_EESD_ST_SE_SF_SG_EUlST_E0_NS1_11comp_targetILNS1_3genE2ELNS1_11target_archE906ELNS1_3gpuE6ELNS1_3repE0EEENS1_38merge_mergepath_config_static_selectorELNS0_4arch9wavefront6targetE0EEEvSF_,comdat
.Lfunc_end812:
	.size	_ZN7rocprim17ROCPRIM_400000_NS6detail17trampoline_kernelINS0_14default_configENS1_38merge_sort_block_merge_config_selectorIiNS0_10empty_typeEEEZZNS1_27merge_sort_block_merge_implIS3_PiPS5_jNS1_19radix_merge_compareILb1ELb1EiNS0_19identity_decomposerEEEEE10hipError_tT0_T1_T2_jT3_P12ihipStream_tbPNSt15iterator_traitsISE_E10value_typeEPNSK_ISF_E10value_typeEPSG_NS1_7vsmem_tEENKUlT_SE_SF_SG_E_clIS8_S8_S9_S9_EESD_ST_SE_SF_SG_EUlST_E0_NS1_11comp_targetILNS1_3genE2ELNS1_11target_archE906ELNS1_3gpuE6ELNS1_3repE0EEENS1_38merge_mergepath_config_static_selectorELNS0_4arch9wavefront6targetE0EEEvSF_, .Lfunc_end812-_ZN7rocprim17ROCPRIM_400000_NS6detail17trampoline_kernelINS0_14default_configENS1_38merge_sort_block_merge_config_selectorIiNS0_10empty_typeEEEZZNS1_27merge_sort_block_merge_implIS3_PiPS5_jNS1_19radix_merge_compareILb1ELb1EiNS0_19identity_decomposerEEEEE10hipError_tT0_T1_T2_jT3_P12ihipStream_tbPNSt15iterator_traitsISE_E10value_typeEPNSK_ISF_E10value_typeEPSG_NS1_7vsmem_tEENKUlT_SE_SF_SG_E_clIS8_S8_S9_S9_EESD_ST_SE_SF_SG_EUlST_E0_NS1_11comp_targetILNS1_3genE2ELNS1_11target_archE906ELNS1_3gpuE6ELNS1_3repE0EEENS1_38merge_mergepath_config_static_selectorELNS0_4arch9wavefront6targetE0EEEvSF_
                                        ; -- End function
	.set _ZN7rocprim17ROCPRIM_400000_NS6detail17trampoline_kernelINS0_14default_configENS1_38merge_sort_block_merge_config_selectorIiNS0_10empty_typeEEEZZNS1_27merge_sort_block_merge_implIS3_PiPS5_jNS1_19radix_merge_compareILb1ELb1EiNS0_19identity_decomposerEEEEE10hipError_tT0_T1_T2_jT3_P12ihipStream_tbPNSt15iterator_traitsISE_E10value_typeEPNSK_ISF_E10value_typeEPSG_NS1_7vsmem_tEENKUlT_SE_SF_SG_E_clIS8_S8_S9_S9_EESD_ST_SE_SF_SG_EUlST_E0_NS1_11comp_targetILNS1_3genE2ELNS1_11target_archE906ELNS1_3gpuE6ELNS1_3repE0EEENS1_38merge_mergepath_config_static_selectorELNS0_4arch9wavefront6targetE0EEEvSF_.num_vgpr, 0
	.set _ZN7rocprim17ROCPRIM_400000_NS6detail17trampoline_kernelINS0_14default_configENS1_38merge_sort_block_merge_config_selectorIiNS0_10empty_typeEEEZZNS1_27merge_sort_block_merge_implIS3_PiPS5_jNS1_19radix_merge_compareILb1ELb1EiNS0_19identity_decomposerEEEEE10hipError_tT0_T1_T2_jT3_P12ihipStream_tbPNSt15iterator_traitsISE_E10value_typeEPNSK_ISF_E10value_typeEPSG_NS1_7vsmem_tEENKUlT_SE_SF_SG_E_clIS8_S8_S9_S9_EESD_ST_SE_SF_SG_EUlST_E0_NS1_11comp_targetILNS1_3genE2ELNS1_11target_archE906ELNS1_3gpuE6ELNS1_3repE0EEENS1_38merge_mergepath_config_static_selectorELNS0_4arch9wavefront6targetE0EEEvSF_.num_agpr, 0
	.set _ZN7rocprim17ROCPRIM_400000_NS6detail17trampoline_kernelINS0_14default_configENS1_38merge_sort_block_merge_config_selectorIiNS0_10empty_typeEEEZZNS1_27merge_sort_block_merge_implIS3_PiPS5_jNS1_19radix_merge_compareILb1ELb1EiNS0_19identity_decomposerEEEEE10hipError_tT0_T1_T2_jT3_P12ihipStream_tbPNSt15iterator_traitsISE_E10value_typeEPNSK_ISF_E10value_typeEPSG_NS1_7vsmem_tEENKUlT_SE_SF_SG_E_clIS8_S8_S9_S9_EESD_ST_SE_SF_SG_EUlST_E0_NS1_11comp_targetILNS1_3genE2ELNS1_11target_archE906ELNS1_3gpuE6ELNS1_3repE0EEENS1_38merge_mergepath_config_static_selectorELNS0_4arch9wavefront6targetE0EEEvSF_.numbered_sgpr, 0
	.set _ZN7rocprim17ROCPRIM_400000_NS6detail17trampoline_kernelINS0_14default_configENS1_38merge_sort_block_merge_config_selectorIiNS0_10empty_typeEEEZZNS1_27merge_sort_block_merge_implIS3_PiPS5_jNS1_19radix_merge_compareILb1ELb1EiNS0_19identity_decomposerEEEEE10hipError_tT0_T1_T2_jT3_P12ihipStream_tbPNSt15iterator_traitsISE_E10value_typeEPNSK_ISF_E10value_typeEPSG_NS1_7vsmem_tEENKUlT_SE_SF_SG_E_clIS8_S8_S9_S9_EESD_ST_SE_SF_SG_EUlST_E0_NS1_11comp_targetILNS1_3genE2ELNS1_11target_archE906ELNS1_3gpuE6ELNS1_3repE0EEENS1_38merge_mergepath_config_static_selectorELNS0_4arch9wavefront6targetE0EEEvSF_.num_named_barrier, 0
	.set _ZN7rocprim17ROCPRIM_400000_NS6detail17trampoline_kernelINS0_14default_configENS1_38merge_sort_block_merge_config_selectorIiNS0_10empty_typeEEEZZNS1_27merge_sort_block_merge_implIS3_PiPS5_jNS1_19radix_merge_compareILb1ELb1EiNS0_19identity_decomposerEEEEE10hipError_tT0_T1_T2_jT3_P12ihipStream_tbPNSt15iterator_traitsISE_E10value_typeEPNSK_ISF_E10value_typeEPSG_NS1_7vsmem_tEENKUlT_SE_SF_SG_E_clIS8_S8_S9_S9_EESD_ST_SE_SF_SG_EUlST_E0_NS1_11comp_targetILNS1_3genE2ELNS1_11target_archE906ELNS1_3gpuE6ELNS1_3repE0EEENS1_38merge_mergepath_config_static_selectorELNS0_4arch9wavefront6targetE0EEEvSF_.private_seg_size, 0
	.set _ZN7rocprim17ROCPRIM_400000_NS6detail17trampoline_kernelINS0_14default_configENS1_38merge_sort_block_merge_config_selectorIiNS0_10empty_typeEEEZZNS1_27merge_sort_block_merge_implIS3_PiPS5_jNS1_19radix_merge_compareILb1ELb1EiNS0_19identity_decomposerEEEEE10hipError_tT0_T1_T2_jT3_P12ihipStream_tbPNSt15iterator_traitsISE_E10value_typeEPNSK_ISF_E10value_typeEPSG_NS1_7vsmem_tEENKUlT_SE_SF_SG_E_clIS8_S8_S9_S9_EESD_ST_SE_SF_SG_EUlST_E0_NS1_11comp_targetILNS1_3genE2ELNS1_11target_archE906ELNS1_3gpuE6ELNS1_3repE0EEENS1_38merge_mergepath_config_static_selectorELNS0_4arch9wavefront6targetE0EEEvSF_.uses_vcc, 0
	.set _ZN7rocprim17ROCPRIM_400000_NS6detail17trampoline_kernelINS0_14default_configENS1_38merge_sort_block_merge_config_selectorIiNS0_10empty_typeEEEZZNS1_27merge_sort_block_merge_implIS3_PiPS5_jNS1_19radix_merge_compareILb1ELb1EiNS0_19identity_decomposerEEEEE10hipError_tT0_T1_T2_jT3_P12ihipStream_tbPNSt15iterator_traitsISE_E10value_typeEPNSK_ISF_E10value_typeEPSG_NS1_7vsmem_tEENKUlT_SE_SF_SG_E_clIS8_S8_S9_S9_EESD_ST_SE_SF_SG_EUlST_E0_NS1_11comp_targetILNS1_3genE2ELNS1_11target_archE906ELNS1_3gpuE6ELNS1_3repE0EEENS1_38merge_mergepath_config_static_selectorELNS0_4arch9wavefront6targetE0EEEvSF_.uses_flat_scratch, 0
	.set _ZN7rocprim17ROCPRIM_400000_NS6detail17trampoline_kernelINS0_14default_configENS1_38merge_sort_block_merge_config_selectorIiNS0_10empty_typeEEEZZNS1_27merge_sort_block_merge_implIS3_PiPS5_jNS1_19radix_merge_compareILb1ELb1EiNS0_19identity_decomposerEEEEE10hipError_tT0_T1_T2_jT3_P12ihipStream_tbPNSt15iterator_traitsISE_E10value_typeEPNSK_ISF_E10value_typeEPSG_NS1_7vsmem_tEENKUlT_SE_SF_SG_E_clIS8_S8_S9_S9_EESD_ST_SE_SF_SG_EUlST_E0_NS1_11comp_targetILNS1_3genE2ELNS1_11target_archE906ELNS1_3gpuE6ELNS1_3repE0EEENS1_38merge_mergepath_config_static_selectorELNS0_4arch9wavefront6targetE0EEEvSF_.has_dyn_sized_stack, 0
	.set _ZN7rocprim17ROCPRIM_400000_NS6detail17trampoline_kernelINS0_14default_configENS1_38merge_sort_block_merge_config_selectorIiNS0_10empty_typeEEEZZNS1_27merge_sort_block_merge_implIS3_PiPS5_jNS1_19radix_merge_compareILb1ELb1EiNS0_19identity_decomposerEEEEE10hipError_tT0_T1_T2_jT3_P12ihipStream_tbPNSt15iterator_traitsISE_E10value_typeEPNSK_ISF_E10value_typeEPSG_NS1_7vsmem_tEENKUlT_SE_SF_SG_E_clIS8_S8_S9_S9_EESD_ST_SE_SF_SG_EUlST_E0_NS1_11comp_targetILNS1_3genE2ELNS1_11target_archE906ELNS1_3gpuE6ELNS1_3repE0EEENS1_38merge_mergepath_config_static_selectorELNS0_4arch9wavefront6targetE0EEEvSF_.has_recursion, 0
	.set _ZN7rocprim17ROCPRIM_400000_NS6detail17trampoline_kernelINS0_14default_configENS1_38merge_sort_block_merge_config_selectorIiNS0_10empty_typeEEEZZNS1_27merge_sort_block_merge_implIS3_PiPS5_jNS1_19radix_merge_compareILb1ELb1EiNS0_19identity_decomposerEEEEE10hipError_tT0_T1_T2_jT3_P12ihipStream_tbPNSt15iterator_traitsISE_E10value_typeEPNSK_ISF_E10value_typeEPSG_NS1_7vsmem_tEENKUlT_SE_SF_SG_E_clIS8_S8_S9_S9_EESD_ST_SE_SF_SG_EUlST_E0_NS1_11comp_targetILNS1_3genE2ELNS1_11target_archE906ELNS1_3gpuE6ELNS1_3repE0EEENS1_38merge_mergepath_config_static_selectorELNS0_4arch9wavefront6targetE0EEEvSF_.has_indirect_call, 0
	.section	.AMDGPU.csdata,"",@progbits
; Kernel info:
; codeLenInByte = 0
; TotalNumSgprs: 0
; NumVgprs: 0
; ScratchSize: 0
; MemoryBound: 0
; FloatMode: 240
; IeeeMode: 1
; LDSByteSize: 0 bytes/workgroup (compile time only)
; SGPRBlocks: 0
; VGPRBlocks: 0
; NumSGPRsForWavesPerEU: 1
; NumVGPRsForWavesPerEU: 1
; NamedBarCnt: 0
; Occupancy: 16
; WaveLimiterHint : 0
; COMPUTE_PGM_RSRC2:SCRATCH_EN: 0
; COMPUTE_PGM_RSRC2:USER_SGPR: 2
; COMPUTE_PGM_RSRC2:TRAP_HANDLER: 0
; COMPUTE_PGM_RSRC2:TGID_X_EN: 1
; COMPUTE_PGM_RSRC2:TGID_Y_EN: 0
; COMPUTE_PGM_RSRC2:TGID_Z_EN: 0
; COMPUTE_PGM_RSRC2:TIDIG_COMP_CNT: 0
	.section	.text._ZN7rocprim17ROCPRIM_400000_NS6detail17trampoline_kernelINS0_14default_configENS1_38merge_sort_block_merge_config_selectorIiNS0_10empty_typeEEEZZNS1_27merge_sort_block_merge_implIS3_PiPS5_jNS1_19radix_merge_compareILb1ELb1EiNS0_19identity_decomposerEEEEE10hipError_tT0_T1_T2_jT3_P12ihipStream_tbPNSt15iterator_traitsISE_E10value_typeEPNSK_ISF_E10value_typeEPSG_NS1_7vsmem_tEENKUlT_SE_SF_SG_E_clIS8_S8_S9_S9_EESD_ST_SE_SF_SG_EUlST_E0_NS1_11comp_targetILNS1_3genE9ELNS1_11target_archE1100ELNS1_3gpuE3ELNS1_3repE0EEENS1_38merge_mergepath_config_static_selectorELNS0_4arch9wavefront6targetE0EEEvSF_,"axG",@progbits,_ZN7rocprim17ROCPRIM_400000_NS6detail17trampoline_kernelINS0_14default_configENS1_38merge_sort_block_merge_config_selectorIiNS0_10empty_typeEEEZZNS1_27merge_sort_block_merge_implIS3_PiPS5_jNS1_19radix_merge_compareILb1ELb1EiNS0_19identity_decomposerEEEEE10hipError_tT0_T1_T2_jT3_P12ihipStream_tbPNSt15iterator_traitsISE_E10value_typeEPNSK_ISF_E10value_typeEPSG_NS1_7vsmem_tEENKUlT_SE_SF_SG_E_clIS8_S8_S9_S9_EESD_ST_SE_SF_SG_EUlST_E0_NS1_11comp_targetILNS1_3genE9ELNS1_11target_archE1100ELNS1_3gpuE3ELNS1_3repE0EEENS1_38merge_mergepath_config_static_selectorELNS0_4arch9wavefront6targetE0EEEvSF_,comdat
	.protected	_ZN7rocprim17ROCPRIM_400000_NS6detail17trampoline_kernelINS0_14default_configENS1_38merge_sort_block_merge_config_selectorIiNS0_10empty_typeEEEZZNS1_27merge_sort_block_merge_implIS3_PiPS5_jNS1_19radix_merge_compareILb1ELb1EiNS0_19identity_decomposerEEEEE10hipError_tT0_T1_T2_jT3_P12ihipStream_tbPNSt15iterator_traitsISE_E10value_typeEPNSK_ISF_E10value_typeEPSG_NS1_7vsmem_tEENKUlT_SE_SF_SG_E_clIS8_S8_S9_S9_EESD_ST_SE_SF_SG_EUlST_E0_NS1_11comp_targetILNS1_3genE9ELNS1_11target_archE1100ELNS1_3gpuE3ELNS1_3repE0EEENS1_38merge_mergepath_config_static_selectorELNS0_4arch9wavefront6targetE0EEEvSF_ ; -- Begin function _ZN7rocprim17ROCPRIM_400000_NS6detail17trampoline_kernelINS0_14default_configENS1_38merge_sort_block_merge_config_selectorIiNS0_10empty_typeEEEZZNS1_27merge_sort_block_merge_implIS3_PiPS5_jNS1_19radix_merge_compareILb1ELb1EiNS0_19identity_decomposerEEEEE10hipError_tT0_T1_T2_jT3_P12ihipStream_tbPNSt15iterator_traitsISE_E10value_typeEPNSK_ISF_E10value_typeEPSG_NS1_7vsmem_tEENKUlT_SE_SF_SG_E_clIS8_S8_S9_S9_EESD_ST_SE_SF_SG_EUlST_E0_NS1_11comp_targetILNS1_3genE9ELNS1_11target_archE1100ELNS1_3gpuE3ELNS1_3repE0EEENS1_38merge_mergepath_config_static_selectorELNS0_4arch9wavefront6targetE0EEEvSF_
	.globl	_ZN7rocprim17ROCPRIM_400000_NS6detail17trampoline_kernelINS0_14default_configENS1_38merge_sort_block_merge_config_selectorIiNS0_10empty_typeEEEZZNS1_27merge_sort_block_merge_implIS3_PiPS5_jNS1_19radix_merge_compareILb1ELb1EiNS0_19identity_decomposerEEEEE10hipError_tT0_T1_T2_jT3_P12ihipStream_tbPNSt15iterator_traitsISE_E10value_typeEPNSK_ISF_E10value_typeEPSG_NS1_7vsmem_tEENKUlT_SE_SF_SG_E_clIS8_S8_S9_S9_EESD_ST_SE_SF_SG_EUlST_E0_NS1_11comp_targetILNS1_3genE9ELNS1_11target_archE1100ELNS1_3gpuE3ELNS1_3repE0EEENS1_38merge_mergepath_config_static_selectorELNS0_4arch9wavefront6targetE0EEEvSF_
	.p2align	8
	.type	_ZN7rocprim17ROCPRIM_400000_NS6detail17trampoline_kernelINS0_14default_configENS1_38merge_sort_block_merge_config_selectorIiNS0_10empty_typeEEEZZNS1_27merge_sort_block_merge_implIS3_PiPS5_jNS1_19radix_merge_compareILb1ELb1EiNS0_19identity_decomposerEEEEE10hipError_tT0_T1_T2_jT3_P12ihipStream_tbPNSt15iterator_traitsISE_E10value_typeEPNSK_ISF_E10value_typeEPSG_NS1_7vsmem_tEENKUlT_SE_SF_SG_E_clIS8_S8_S9_S9_EESD_ST_SE_SF_SG_EUlST_E0_NS1_11comp_targetILNS1_3genE9ELNS1_11target_archE1100ELNS1_3gpuE3ELNS1_3repE0EEENS1_38merge_mergepath_config_static_selectorELNS0_4arch9wavefront6targetE0EEEvSF_,@function
_ZN7rocprim17ROCPRIM_400000_NS6detail17trampoline_kernelINS0_14default_configENS1_38merge_sort_block_merge_config_selectorIiNS0_10empty_typeEEEZZNS1_27merge_sort_block_merge_implIS3_PiPS5_jNS1_19radix_merge_compareILb1ELb1EiNS0_19identity_decomposerEEEEE10hipError_tT0_T1_T2_jT3_P12ihipStream_tbPNSt15iterator_traitsISE_E10value_typeEPNSK_ISF_E10value_typeEPSG_NS1_7vsmem_tEENKUlT_SE_SF_SG_E_clIS8_S8_S9_S9_EESD_ST_SE_SF_SG_EUlST_E0_NS1_11comp_targetILNS1_3genE9ELNS1_11target_archE1100ELNS1_3gpuE3ELNS1_3repE0EEENS1_38merge_mergepath_config_static_selectorELNS0_4arch9wavefront6targetE0EEEvSF_: ; @_ZN7rocprim17ROCPRIM_400000_NS6detail17trampoline_kernelINS0_14default_configENS1_38merge_sort_block_merge_config_selectorIiNS0_10empty_typeEEEZZNS1_27merge_sort_block_merge_implIS3_PiPS5_jNS1_19radix_merge_compareILb1ELb1EiNS0_19identity_decomposerEEEEE10hipError_tT0_T1_T2_jT3_P12ihipStream_tbPNSt15iterator_traitsISE_E10value_typeEPNSK_ISF_E10value_typeEPSG_NS1_7vsmem_tEENKUlT_SE_SF_SG_E_clIS8_S8_S9_S9_EESD_ST_SE_SF_SG_EUlST_E0_NS1_11comp_targetILNS1_3genE9ELNS1_11target_archE1100ELNS1_3gpuE3ELNS1_3repE0EEENS1_38merge_mergepath_config_static_selectorELNS0_4arch9wavefront6targetE0EEEvSF_
; %bb.0:
	.section	.rodata,"a",@progbits
	.p2align	6, 0x0
	.amdhsa_kernel _ZN7rocprim17ROCPRIM_400000_NS6detail17trampoline_kernelINS0_14default_configENS1_38merge_sort_block_merge_config_selectorIiNS0_10empty_typeEEEZZNS1_27merge_sort_block_merge_implIS3_PiPS5_jNS1_19radix_merge_compareILb1ELb1EiNS0_19identity_decomposerEEEEE10hipError_tT0_T1_T2_jT3_P12ihipStream_tbPNSt15iterator_traitsISE_E10value_typeEPNSK_ISF_E10value_typeEPSG_NS1_7vsmem_tEENKUlT_SE_SF_SG_E_clIS8_S8_S9_S9_EESD_ST_SE_SF_SG_EUlST_E0_NS1_11comp_targetILNS1_3genE9ELNS1_11target_archE1100ELNS1_3gpuE3ELNS1_3repE0EEENS1_38merge_mergepath_config_static_selectorELNS0_4arch9wavefront6targetE0EEEvSF_
		.amdhsa_group_segment_fixed_size 0
		.amdhsa_private_segment_fixed_size 0
		.amdhsa_kernarg_size 64
		.amdhsa_user_sgpr_count 2
		.amdhsa_user_sgpr_dispatch_ptr 0
		.amdhsa_user_sgpr_queue_ptr 0
		.amdhsa_user_sgpr_kernarg_segment_ptr 1
		.amdhsa_user_sgpr_dispatch_id 0
		.amdhsa_user_sgpr_kernarg_preload_length 0
		.amdhsa_user_sgpr_kernarg_preload_offset 0
		.amdhsa_user_sgpr_private_segment_size 0
		.amdhsa_wavefront_size32 1
		.amdhsa_uses_dynamic_stack 0
		.amdhsa_enable_private_segment 0
		.amdhsa_system_sgpr_workgroup_id_x 1
		.amdhsa_system_sgpr_workgroup_id_y 0
		.amdhsa_system_sgpr_workgroup_id_z 0
		.amdhsa_system_sgpr_workgroup_info 0
		.amdhsa_system_vgpr_workitem_id 0
		.amdhsa_next_free_vgpr 1
		.amdhsa_next_free_sgpr 1
		.amdhsa_named_barrier_count 0
		.amdhsa_reserve_vcc 0
		.amdhsa_float_round_mode_32 0
		.amdhsa_float_round_mode_16_64 0
		.amdhsa_float_denorm_mode_32 3
		.amdhsa_float_denorm_mode_16_64 3
		.amdhsa_fp16_overflow 0
		.amdhsa_memory_ordered 1
		.amdhsa_forward_progress 1
		.amdhsa_inst_pref_size 0
		.amdhsa_round_robin_scheduling 0
		.amdhsa_exception_fp_ieee_invalid_op 0
		.amdhsa_exception_fp_denorm_src 0
		.amdhsa_exception_fp_ieee_div_zero 0
		.amdhsa_exception_fp_ieee_overflow 0
		.amdhsa_exception_fp_ieee_underflow 0
		.amdhsa_exception_fp_ieee_inexact 0
		.amdhsa_exception_int_div_zero 0
	.end_amdhsa_kernel
	.section	.text._ZN7rocprim17ROCPRIM_400000_NS6detail17trampoline_kernelINS0_14default_configENS1_38merge_sort_block_merge_config_selectorIiNS0_10empty_typeEEEZZNS1_27merge_sort_block_merge_implIS3_PiPS5_jNS1_19radix_merge_compareILb1ELb1EiNS0_19identity_decomposerEEEEE10hipError_tT0_T1_T2_jT3_P12ihipStream_tbPNSt15iterator_traitsISE_E10value_typeEPNSK_ISF_E10value_typeEPSG_NS1_7vsmem_tEENKUlT_SE_SF_SG_E_clIS8_S8_S9_S9_EESD_ST_SE_SF_SG_EUlST_E0_NS1_11comp_targetILNS1_3genE9ELNS1_11target_archE1100ELNS1_3gpuE3ELNS1_3repE0EEENS1_38merge_mergepath_config_static_selectorELNS0_4arch9wavefront6targetE0EEEvSF_,"axG",@progbits,_ZN7rocprim17ROCPRIM_400000_NS6detail17trampoline_kernelINS0_14default_configENS1_38merge_sort_block_merge_config_selectorIiNS0_10empty_typeEEEZZNS1_27merge_sort_block_merge_implIS3_PiPS5_jNS1_19radix_merge_compareILb1ELb1EiNS0_19identity_decomposerEEEEE10hipError_tT0_T1_T2_jT3_P12ihipStream_tbPNSt15iterator_traitsISE_E10value_typeEPNSK_ISF_E10value_typeEPSG_NS1_7vsmem_tEENKUlT_SE_SF_SG_E_clIS8_S8_S9_S9_EESD_ST_SE_SF_SG_EUlST_E0_NS1_11comp_targetILNS1_3genE9ELNS1_11target_archE1100ELNS1_3gpuE3ELNS1_3repE0EEENS1_38merge_mergepath_config_static_selectorELNS0_4arch9wavefront6targetE0EEEvSF_,comdat
.Lfunc_end813:
	.size	_ZN7rocprim17ROCPRIM_400000_NS6detail17trampoline_kernelINS0_14default_configENS1_38merge_sort_block_merge_config_selectorIiNS0_10empty_typeEEEZZNS1_27merge_sort_block_merge_implIS3_PiPS5_jNS1_19radix_merge_compareILb1ELb1EiNS0_19identity_decomposerEEEEE10hipError_tT0_T1_T2_jT3_P12ihipStream_tbPNSt15iterator_traitsISE_E10value_typeEPNSK_ISF_E10value_typeEPSG_NS1_7vsmem_tEENKUlT_SE_SF_SG_E_clIS8_S8_S9_S9_EESD_ST_SE_SF_SG_EUlST_E0_NS1_11comp_targetILNS1_3genE9ELNS1_11target_archE1100ELNS1_3gpuE3ELNS1_3repE0EEENS1_38merge_mergepath_config_static_selectorELNS0_4arch9wavefront6targetE0EEEvSF_, .Lfunc_end813-_ZN7rocprim17ROCPRIM_400000_NS6detail17trampoline_kernelINS0_14default_configENS1_38merge_sort_block_merge_config_selectorIiNS0_10empty_typeEEEZZNS1_27merge_sort_block_merge_implIS3_PiPS5_jNS1_19radix_merge_compareILb1ELb1EiNS0_19identity_decomposerEEEEE10hipError_tT0_T1_T2_jT3_P12ihipStream_tbPNSt15iterator_traitsISE_E10value_typeEPNSK_ISF_E10value_typeEPSG_NS1_7vsmem_tEENKUlT_SE_SF_SG_E_clIS8_S8_S9_S9_EESD_ST_SE_SF_SG_EUlST_E0_NS1_11comp_targetILNS1_3genE9ELNS1_11target_archE1100ELNS1_3gpuE3ELNS1_3repE0EEENS1_38merge_mergepath_config_static_selectorELNS0_4arch9wavefront6targetE0EEEvSF_
                                        ; -- End function
	.set _ZN7rocprim17ROCPRIM_400000_NS6detail17trampoline_kernelINS0_14default_configENS1_38merge_sort_block_merge_config_selectorIiNS0_10empty_typeEEEZZNS1_27merge_sort_block_merge_implIS3_PiPS5_jNS1_19radix_merge_compareILb1ELb1EiNS0_19identity_decomposerEEEEE10hipError_tT0_T1_T2_jT3_P12ihipStream_tbPNSt15iterator_traitsISE_E10value_typeEPNSK_ISF_E10value_typeEPSG_NS1_7vsmem_tEENKUlT_SE_SF_SG_E_clIS8_S8_S9_S9_EESD_ST_SE_SF_SG_EUlST_E0_NS1_11comp_targetILNS1_3genE9ELNS1_11target_archE1100ELNS1_3gpuE3ELNS1_3repE0EEENS1_38merge_mergepath_config_static_selectorELNS0_4arch9wavefront6targetE0EEEvSF_.num_vgpr, 0
	.set _ZN7rocprim17ROCPRIM_400000_NS6detail17trampoline_kernelINS0_14default_configENS1_38merge_sort_block_merge_config_selectorIiNS0_10empty_typeEEEZZNS1_27merge_sort_block_merge_implIS3_PiPS5_jNS1_19radix_merge_compareILb1ELb1EiNS0_19identity_decomposerEEEEE10hipError_tT0_T1_T2_jT3_P12ihipStream_tbPNSt15iterator_traitsISE_E10value_typeEPNSK_ISF_E10value_typeEPSG_NS1_7vsmem_tEENKUlT_SE_SF_SG_E_clIS8_S8_S9_S9_EESD_ST_SE_SF_SG_EUlST_E0_NS1_11comp_targetILNS1_3genE9ELNS1_11target_archE1100ELNS1_3gpuE3ELNS1_3repE0EEENS1_38merge_mergepath_config_static_selectorELNS0_4arch9wavefront6targetE0EEEvSF_.num_agpr, 0
	.set _ZN7rocprim17ROCPRIM_400000_NS6detail17trampoline_kernelINS0_14default_configENS1_38merge_sort_block_merge_config_selectorIiNS0_10empty_typeEEEZZNS1_27merge_sort_block_merge_implIS3_PiPS5_jNS1_19radix_merge_compareILb1ELb1EiNS0_19identity_decomposerEEEEE10hipError_tT0_T1_T2_jT3_P12ihipStream_tbPNSt15iterator_traitsISE_E10value_typeEPNSK_ISF_E10value_typeEPSG_NS1_7vsmem_tEENKUlT_SE_SF_SG_E_clIS8_S8_S9_S9_EESD_ST_SE_SF_SG_EUlST_E0_NS1_11comp_targetILNS1_3genE9ELNS1_11target_archE1100ELNS1_3gpuE3ELNS1_3repE0EEENS1_38merge_mergepath_config_static_selectorELNS0_4arch9wavefront6targetE0EEEvSF_.numbered_sgpr, 0
	.set _ZN7rocprim17ROCPRIM_400000_NS6detail17trampoline_kernelINS0_14default_configENS1_38merge_sort_block_merge_config_selectorIiNS0_10empty_typeEEEZZNS1_27merge_sort_block_merge_implIS3_PiPS5_jNS1_19radix_merge_compareILb1ELb1EiNS0_19identity_decomposerEEEEE10hipError_tT0_T1_T2_jT3_P12ihipStream_tbPNSt15iterator_traitsISE_E10value_typeEPNSK_ISF_E10value_typeEPSG_NS1_7vsmem_tEENKUlT_SE_SF_SG_E_clIS8_S8_S9_S9_EESD_ST_SE_SF_SG_EUlST_E0_NS1_11comp_targetILNS1_3genE9ELNS1_11target_archE1100ELNS1_3gpuE3ELNS1_3repE0EEENS1_38merge_mergepath_config_static_selectorELNS0_4arch9wavefront6targetE0EEEvSF_.num_named_barrier, 0
	.set _ZN7rocprim17ROCPRIM_400000_NS6detail17trampoline_kernelINS0_14default_configENS1_38merge_sort_block_merge_config_selectorIiNS0_10empty_typeEEEZZNS1_27merge_sort_block_merge_implIS3_PiPS5_jNS1_19radix_merge_compareILb1ELb1EiNS0_19identity_decomposerEEEEE10hipError_tT0_T1_T2_jT3_P12ihipStream_tbPNSt15iterator_traitsISE_E10value_typeEPNSK_ISF_E10value_typeEPSG_NS1_7vsmem_tEENKUlT_SE_SF_SG_E_clIS8_S8_S9_S9_EESD_ST_SE_SF_SG_EUlST_E0_NS1_11comp_targetILNS1_3genE9ELNS1_11target_archE1100ELNS1_3gpuE3ELNS1_3repE0EEENS1_38merge_mergepath_config_static_selectorELNS0_4arch9wavefront6targetE0EEEvSF_.private_seg_size, 0
	.set _ZN7rocprim17ROCPRIM_400000_NS6detail17trampoline_kernelINS0_14default_configENS1_38merge_sort_block_merge_config_selectorIiNS0_10empty_typeEEEZZNS1_27merge_sort_block_merge_implIS3_PiPS5_jNS1_19radix_merge_compareILb1ELb1EiNS0_19identity_decomposerEEEEE10hipError_tT0_T1_T2_jT3_P12ihipStream_tbPNSt15iterator_traitsISE_E10value_typeEPNSK_ISF_E10value_typeEPSG_NS1_7vsmem_tEENKUlT_SE_SF_SG_E_clIS8_S8_S9_S9_EESD_ST_SE_SF_SG_EUlST_E0_NS1_11comp_targetILNS1_3genE9ELNS1_11target_archE1100ELNS1_3gpuE3ELNS1_3repE0EEENS1_38merge_mergepath_config_static_selectorELNS0_4arch9wavefront6targetE0EEEvSF_.uses_vcc, 0
	.set _ZN7rocprim17ROCPRIM_400000_NS6detail17trampoline_kernelINS0_14default_configENS1_38merge_sort_block_merge_config_selectorIiNS0_10empty_typeEEEZZNS1_27merge_sort_block_merge_implIS3_PiPS5_jNS1_19radix_merge_compareILb1ELb1EiNS0_19identity_decomposerEEEEE10hipError_tT0_T1_T2_jT3_P12ihipStream_tbPNSt15iterator_traitsISE_E10value_typeEPNSK_ISF_E10value_typeEPSG_NS1_7vsmem_tEENKUlT_SE_SF_SG_E_clIS8_S8_S9_S9_EESD_ST_SE_SF_SG_EUlST_E0_NS1_11comp_targetILNS1_3genE9ELNS1_11target_archE1100ELNS1_3gpuE3ELNS1_3repE0EEENS1_38merge_mergepath_config_static_selectorELNS0_4arch9wavefront6targetE0EEEvSF_.uses_flat_scratch, 0
	.set _ZN7rocprim17ROCPRIM_400000_NS6detail17trampoline_kernelINS0_14default_configENS1_38merge_sort_block_merge_config_selectorIiNS0_10empty_typeEEEZZNS1_27merge_sort_block_merge_implIS3_PiPS5_jNS1_19radix_merge_compareILb1ELb1EiNS0_19identity_decomposerEEEEE10hipError_tT0_T1_T2_jT3_P12ihipStream_tbPNSt15iterator_traitsISE_E10value_typeEPNSK_ISF_E10value_typeEPSG_NS1_7vsmem_tEENKUlT_SE_SF_SG_E_clIS8_S8_S9_S9_EESD_ST_SE_SF_SG_EUlST_E0_NS1_11comp_targetILNS1_3genE9ELNS1_11target_archE1100ELNS1_3gpuE3ELNS1_3repE0EEENS1_38merge_mergepath_config_static_selectorELNS0_4arch9wavefront6targetE0EEEvSF_.has_dyn_sized_stack, 0
	.set _ZN7rocprim17ROCPRIM_400000_NS6detail17trampoline_kernelINS0_14default_configENS1_38merge_sort_block_merge_config_selectorIiNS0_10empty_typeEEEZZNS1_27merge_sort_block_merge_implIS3_PiPS5_jNS1_19radix_merge_compareILb1ELb1EiNS0_19identity_decomposerEEEEE10hipError_tT0_T1_T2_jT3_P12ihipStream_tbPNSt15iterator_traitsISE_E10value_typeEPNSK_ISF_E10value_typeEPSG_NS1_7vsmem_tEENKUlT_SE_SF_SG_E_clIS8_S8_S9_S9_EESD_ST_SE_SF_SG_EUlST_E0_NS1_11comp_targetILNS1_3genE9ELNS1_11target_archE1100ELNS1_3gpuE3ELNS1_3repE0EEENS1_38merge_mergepath_config_static_selectorELNS0_4arch9wavefront6targetE0EEEvSF_.has_recursion, 0
	.set _ZN7rocprim17ROCPRIM_400000_NS6detail17trampoline_kernelINS0_14default_configENS1_38merge_sort_block_merge_config_selectorIiNS0_10empty_typeEEEZZNS1_27merge_sort_block_merge_implIS3_PiPS5_jNS1_19radix_merge_compareILb1ELb1EiNS0_19identity_decomposerEEEEE10hipError_tT0_T1_T2_jT3_P12ihipStream_tbPNSt15iterator_traitsISE_E10value_typeEPNSK_ISF_E10value_typeEPSG_NS1_7vsmem_tEENKUlT_SE_SF_SG_E_clIS8_S8_S9_S9_EESD_ST_SE_SF_SG_EUlST_E0_NS1_11comp_targetILNS1_3genE9ELNS1_11target_archE1100ELNS1_3gpuE3ELNS1_3repE0EEENS1_38merge_mergepath_config_static_selectorELNS0_4arch9wavefront6targetE0EEEvSF_.has_indirect_call, 0
	.section	.AMDGPU.csdata,"",@progbits
; Kernel info:
; codeLenInByte = 0
; TotalNumSgprs: 0
; NumVgprs: 0
; ScratchSize: 0
; MemoryBound: 0
; FloatMode: 240
; IeeeMode: 1
; LDSByteSize: 0 bytes/workgroup (compile time only)
; SGPRBlocks: 0
; VGPRBlocks: 0
; NumSGPRsForWavesPerEU: 1
; NumVGPRsForWavesPerEU: 1
; NamedBarCnt: 0
; Occupancy: 16
; WaveLimiterHint : 0
; COMPUTE_PGM_RSRC2:SCRATCH_EN: 0
; COMPUTE_PGM_RSRC2:USER_SGPR: 2
; COMPUTE_PGM_RSRC2:TRAP_HANDLER: 0
; COMPUTE_PGM_RSRC2:TGID_X_EN: 1
; COMPUTE_PGM_RSRC2:TGID_Y_EN: 0
; COMPUTE_PGM_RSRC2:TGID_Z_EN: 0
; COMPUTE_PGM_RSRC2:TIDIG_COMP_CNT: 0
	.section	.text._ZN7rocprim17ROCPRIM_400000_NS6detail17trampoline_kernelINS0_14default_configENS1_38merge_sort_block_merge_config_selectorIiNS0_10empty_typeEEEZZNS1_27merge_sort_block_merge_implIS3_PiPS5_jNS1_19radix_merge_compareILb1ELb1EiNS0_19identity_decomposerEEEEE10hipError_tT0_T1_T2_jT3_P12ihipStream_tbPNSt15iterator_traitsISE_E10value_typeEPNSK_ISF_E10value_typeEPSG_NS1_7vsmem_tEENKUlT_SE_SF_SG_E_clIS8_S8_S9_S9_EESD_ST_SE_SF_SG_EUlST_E0_NS1_11comp_targetILNS1_3genE8ELNS1_11target_archE1030ELNS1_3gpuE2ELNS1_3repE0EEENS1_38merge_mergepath_config_static_selectorELNS0_4arch9wavefront6targetE0EEEvSF_,"axG",@progbits,_ZN7rocprim17ROCPRIM_400000_NS6detail17trampoline_kernelINS0_14default_configENS1_38merge_sort_block_merge_config_selectorIiNS0_10empty_typeEEEZZNS1_27merge_sort_block_merge_implIS3_PiPS5_jNS1_19radix_merge_compareILb1ELb1EiNS0_19identity_decomposerEEEEE10hipError_tT0_T1_T2_jT3_P12ihipStream_tbPNSt15iterator_traitsISE_E10value_typeEPNSK_ISF_E10value_typeEPSG_NS1_7vsmem_tEENKUlT_SE_SF_SG_E_clIS8_S8_S9_S9_EESD_ST_SE_SF_SG_EUlST_E0_NS1_11comp_targetILNS1_3genE8ELNS1_11target_archE1030ELNS1_3gpuE2ELNS1_3repE0EEENS1_38merge_mergepath_config_static_selectorELNS0_4arch9wavefront6targetE0EEEvSF_,comdat
	.protected	_ZN7rocprim17ROCPRIM_400000_NS6detail17trampoline_kernelINS0_14default_configENS1_38merge_sort_block_merge_config_selectorIiNS0_10empty_typeEEEZZNS1_27merge_sort_block_merge_implIS3_PiPS5_jNS1_19radix_merge_compareILb1ELb1EiNS0_19identity_decomposerEEEEE10hipError_tT0_T1_T2_jT3_P12ihipStream_tbPNSt15iterator_traitsISE_E10value_typeEPNSK_ISF_E10value_typeEPSG_NS1_7vsmem_tEENKUlT_SE_SF_SG_E_clIS8_S8_S9_S9_EESD_ST_SE_SF_SG_EUlST_E0_NS1_11comp_targetILNS1_3genE8ELNS1_11target_archE1030ELNS1_3gpuE2ELNS1_3repE0EEENS1_38merge_mergepath_config_static_selectorELNS0_4arch9wavefront6targetE0EEEvSF_ ; -- Begin function _ZN7rocprim17ROCPRIM_400000_NS6detail17trampoline_kernelINS0_14default_configENS1_38merge_sort_block_merge_config_selectorIiNS0_10empty_typeEEEZZNS1_27merge_sort_block_merge_implIS3_PiPS5_jNS1_19radix_merge_compareILb1ELb1EiNS0_19identity_decomposerEEEEE10hipError_tT0_T1_T2_jT3_P12ihipStream_tbPNSt15iterator_traitsISE_E10value_typeEPNSK_ISF_E10value_typeEPSG_NS1_7vsmem_tEENKUlT_SE_SF_SG_E_clIS8_S8_S9_S9_EESD_ST_SE_SF_SG_EUlST_E0_NS1_11comp_targetILNS1_3genE8ELNS1_11target_archE1030ELNS1_3gpuE2ELNS1_3repE0EEENS1_38merge_mergepath_config_static_selectorELNS0_4arch9wavefront6targetE0EEEvSF_
	.globl	_ZN7rocprim17ROCPRIM_400000_NS6detail17trampoline_kernelINS0_14default_configENS1_38merge_sort_block_merge_config_selectorIiNS0_10empty_typeEEEZZNS1_27merge_sort_block_merge_implIS3_PiPS5_jNS1_19radix_merge_compareILb1ELb1EiNS0_19identity_decomposerEEEEE10hipError_tT0_T1_T2_jT3_P12ihipStream_tbPNSt15iterator_traitsISE_E10value_typeEPNSK_ISF_E10value_typeEPSG_NS1_7vsmem_tEENKUlT_SE_SF_SG_E_clIS8_S8_S9_S9_EESD_ST_SE_SF_SG_EUlST_E0_NS1_11comp_targetILNS1_3genE8ELNS1_11target_archE1030ELNS1_3gpuE2ELNS1_3repE0EEENS1_38merge_mergepath_config_static_selectorELNS0_4arch9wavefront6targetE0EEEvSF_
	.p2align	8
	.type	_ZN7rocprim17ROCPRIM_400000_NS6detail17trampoline_kernelINS0_14default_configENS1_38merge_sort_block_merge_config_selectorIiNS0_10empty_typeEEEZZNS1_27merge_sort_block_merge_implIS3_PiPS5_jNS1_19radix_merge_compareILb1ELb1EiNS0_19identity_decomposerEEEEE10hipError_tT0_T1_T2_jT3_P12ihipStream_tbPNSt15iterator_traitsISE_E10value_typeEPNSK_ISF_E10value_typeEPSG_NS1_7vsmem_tEENKUlT_SE_SF_SG_E_clIS8_S8_S9_S9_EESD_ST_SE_SF_SG_EUlST_E0_NS1_11comp_targetILNS1_3genE8ELNS1_11target_archE1030ELNS1_3gpuE2ELNS1_3repE0EEENS1_38merge_mergepath_config_static_selectorELNS0_4arch9wavefront6targetE0EEEvSF_,@function
_ZN7rocprim17ROCPRIM_400000_NS6detail17trampoline_kernelINS0_14default_configENS1_38merge_sort_block_merge_config_selectorIiNS0_10empty_typeEEEZZNS1_27merge_sort_block_merge_implIS3_PiPS5_jNS1_19radix_merge_compareILb1ELb1EiNS0_19identity_decomposerEEEEE10hipError_tT0_T1_T2_jT3_P12ihipStream_tbPNSt15iterator_traitsISE_E10value_typeEPNSK_ISF_E10value_typeEPSG_NS1_7vsmem_tEENKUlT_SE_SF_SG_E_clIS8_S8_S9_S9_EESD_ST_SE_SF_SG_EUlST_E0_NS1_11comp_targetILNS1_3genE8ELNS1_11target_archE1030ELNS1_3gpuE2ELNS1_3repE0EEENS1_38merge_mergepath_config_static_selectorELNS0_4arch9wavefront6targetE0EEEvSF_: ; @_ZN7rocprim17ROCPRIM_400000_NS6detail17trampoline_kernelINS0_14default_configENS1_38merge_sort_block_merge_config_selectorIiNS0_10empty_typeEEEZZNS1_27merge_sort_block_merge_implIS3_PiPS5_jNS1_19radix_merge_compareILb1ELb1EiNS0_19identity_decomposerEEEEE10hipError_tT0_T1_T2_jT3_P12ihipStream_tbPNSt15iterator_traitsISE_E10value_typeEPNSK_ISF_E10value_typeEPSG_NS1_7vsmem_tEENKUlT_SE_SF_SG_E_clIS8_S8_S9_S9_EESD_ST_SE_SF_SG_EUlST_E0_NS1_11comp_targetILNS1_3genE8ELNS1_11target_archE1030ELNS1_3gpuE2ELNS1_3repE0EEENS1_38merge_mergepath_config_static_selectorELNS0_4arch9wavefront6targetE0EEEvSF_
; %bb.0:
	.section	.rodata,"a",@progbits
	.p2align	6, 0x0
	.amdhsa_kernel _ZN7rocprim17ROCPRIM_400000_NS6detail17trampoline_kernelINS0_14default_configENS1_38merge_sort_block_merge_config_selectorIiNS0_10empty_typeEEEZZNS1_27merge_sort_block_merge_implIS3_PiPS5_jNS1_19radix_merge_compareILb1ELb1EiNS0_19identity_decomposerEEEEE10hipError_tT0_T1_T2_jT3_P12ihipStream_tbPNSt15iterator_traitsISE_E10value_typeEPNSK_ISF_E10value_typeEPSG_NS1_7vsmem_tEENKUlT_SE_SF_SG_E_clIS8_S8_S9_S9_EESD_ST_SE_SF_SG_EUlST_E0_NS1_11comp_targetILNS1_3genE8ELNS1_11target_archE1030ELNS1_3gpuE2ELNS1_3repE0EEENS1_38merge_mergepath_config_static_selectorELNS0_4arch9wavefront6targetE0EEEvSF_
		.amdhsa_group_segment_fixed_size 0
		.amdhsa_private_segment_fixed_size 0
		.amdhsa_kernarg_size 64
		.amdhsa_user_sgpr_count 2
		.amdhsa_user_sgpr_dispatch_ptr 0
		.amdhsa_user_sgpr_queue_ptr 0
		.amdhsa_user_sgpr_kernarg_segment_ptr 1
		.amdhsa_user_sgpr_dispatch_id 0
		.amdhsa_user_sgpr_kernarg_preload_length 0
		.amdhsa_user_sgpr_kernarg_preload_offset 0
		.amdhsa_user_sgpr_private_segment_size 0
		.amdhsa_wavefront_size32 1
		.amdhsa_uses_dynamic_stack 0
		.amdhsa_enable_private_segment 0
		.amdhsa_system_sgpr_workgroup_id_x 1
		.amdhsa_system_sgpr_workgroup_id_y 0
		.amdhsa_system_sgpr_workgroup_id_z 0
		.amdhsa_system_sgpr_workgroup_info 0
		.amdhsa_system_vgpr_workitem_id 0
		.amdhsa_next_free_vgpr 1
		.amdhsa_next_free_sgpr 1
		.amdhsa_named_barrier_count 0
		.amdhsa_reserve_vcc 0
		.amdhsa_float_round_mode_32 0
		.amdhsa_float_round_mode_16_64 0
		.amdhsa_float_denorm_mode_32 3
		.amdhsa_float_denorm_mode_16_64 3
		.amdhsa_fp16_overflow 0
		.amdhsa_memory_ordered 1
		.amdhsa_forward_progress 1
		.amdhsa_inst_pref_size 0
		.amdhsa_round_robin_scheduling 0
		.amdhsa_exception_fp_ieee_invalid_op 0
		.amdhsa_exception_fp_denorm_src 0
		.amdhsa_exception_fp_ieee_div_zero 0
		.amdhsa_exception_fp_ieee_overflow 0
		.amdhsa_exception_fp_ieee_underflow 0
		.amdhsa_exception_fp_ieee_inexact 0
		.amdhsa_exception_int_div_zero 0
	.end_amdhsa_kernel
	.section	.text._ZN7rocprim17ROCPRIM_400000_NS6detail17trampoline_kernelINS0_14default_configENS1_38merge_sort_block_merge_config_selectorIiNS0_10empty_typeEEEZZNS1_27merge_sort_block_merge_implIS3_PiPS5_jNS1_19radix_merge_compareILb1ELb1EiNS0_19identity_decomposerEEEEE10hipError_tT0_T1_T2_jT3_P12ihipStream_tbPNSt15iterator_traitsISE_E10value_typeEPNSK_ISF_E10value_typeEPSG_NS1_7vsmem_tEENKUlT_SE_SF_SG_E_clIS8_S8_S9_S9_EESD_ST_SE_SF_SG_EUlST_E0_NS1_11comp_targetILNS1_3genE8ELNS1_11target_archE1030ELNS1_3gpuE2ELNS1_3repE0EEENS1_38merge_mergepath_config_static_selectorELNS0_4arch9wavefront6targetE0EEEvSF_,"axG",@progbits,_ZN7rocprim17ROCPRIM_400000_NS6detail17trampoline_kernelINS0_14default_configENS1_38merge_sort_block_merge_config_selectorIiNS0_10empty_typeEEEZZNS1_27merge_sort_block_merge_implIS3_PiPS5_jNS1_19radix_merge_compareILb1ELb1EiNS0_19identity_decomposerEEEEE10hipError_tT0_T1_T2_jT3_P12ihipStream_tbPNSt15iterator_traitsISE_E10value_typeEPNSK_ISF_E10value_typeEPSG_NS1_7vsmem_tEENKUlT_SE_SF_SG_E_clIS8_S8_S9_S9_EESD_ST_SE_SF_SG_EUlST_E0_NS1_11comp_targetILNS1_3genE8ELNS1_11target_archE1030ELNS1_3gpuE2ELNS1_3repE0EEENS1_38merge_mergepath_config_static_selectorELNS0_4arch9wavefront6targetE0EEEvSF_,comdat
.Lfunc_end814:
	.size	_ZN7rocprim17ROCPRIM_400000_NS6detail17trampoline_kernelINS0_14default_configENS1_38merge_sort_block_merge_config_selectorIiNS0_10empty_typeEEEZZNS1_27merge_sort_block_merge_implIS3_PiPS5_jNS1_19radix_merge_compareILb1ELb1EiNS0_19identity_decomposerEEEEE10hipError_tT0_T1_T2_jT3_P12ihipStream_tbPNSt15iterator_traitsISE_E10value_typeEPNSK_ISF_E10value_typeEPSG_NS1_7vsmem_tEENKUlT_SE_SF_SG_E_clIS8_S8_S9_S9_EESD_ST_SE_SF_SG_EUlST_E0_NS1_11comp_targetILNS1_3genE8ELNS1_11target_archE1030ELNS1_3gpuE2ELNS1_3repE0EEENS1_38merge_mergepath_config_static_selectorELNS0_4arch9wavefront6targetE0EEEvSF_, .Lfunc_end814-_ZN7rocprim17ROCPRIM_400000_NS6detail17trampoline_kernelINS0_14default_configENS1_38merge_sort_block_merge_config_selectorIiNS0_10empty_typeEEEZZNS1_27merge_sort_block_merge_implIS3_PiPS5_jNS1_19radix_merge_compareILb1ELb1EiNS0_19identity_decomposerEEEEE10hipError_tT0_T1_T2_jT3_P12ihipStream_tbPNSt15iterator_traitsISE_E10value_typeEPNSK_ISF_E10value_typeEPSG_NS1_7vsmem_tEENKUlT_SE_SF_SG_E_clIS8_S8_S9_S9_EESD_ST_SE_SF_SG_EUlST_E0_NS1_11comp_targetILNS1_3genE8ELNS1_11target_archE1030ELNS1_3gpuE2ELNS1_3repE0EEENS1_38merge_mergepath_config_static_selectorELNS0_4arch9wavefront6targetE0EEEvSF_
                                        ; -- End function
	.set _ZN7rocprim17ROCPRIM_400000_NS6detail17trampoline_kernelINS0_14default_configENS1_38merge_sort_block_merge_config_selectorIiNS0_10empty_typeEEEZZNS1_27merge_sort_block_merge_implIS3_PiPS5_jNS1_19radix_merge_compareILb1ELb1EiNS0_19identity_decomposerEEEEE10hipError_tT0_T1_T2_jT3_P12ihipStream_tbPNSt15iterator_traitsISE_E10value_typeEPNSK_ISF_E10value_typeEPSG_NS1_7vsmem_tEENKUlT_SE_SF_SG_E_clIS8_S8_S9_S9_EESD_ST_SE_SF_SG_EUlST_E0_NS1_11comp_targetILNS1_3genE8ELNS1_11target_archE1030ELNS1_3gpuE2ELNS1_3repE0EEENS1_38merge_mergepath_config_static_selectorELNS0_4arch9wavefront6targetE0EEEvSF_.num_vgpr, 0
	.set _ZN7rocprim17ROCPRIM_400000_NS6detail17trampoline_kernelINS0_14default_configENS1_38merge_sort_block_merge_config_selectorIiNS0_10empty_typeEEEZZNS1_27merge_sort_block_merge_implIS3_PiPS5_jNS1_19radix_merge_compareILb1ELb1EiNS0_19identity_decomposerEEEEE10hipError_tT0_T1_T2_jT3_P12ihipStream_tbPNSt15iterator_traitsISE_E10value_typeEPNSK_ISF_E10value_typeEPSG_NS1_7vsmem_tEENKUlT_SE_SF_SG_E_clIS8_S8_S9_S9_EESD_ST_SE_SF_SG_EUlST_E0_NS1_11comp_targetILNS1_3genE8ELNS1_11target_archE1030ELNS1_3gpuE2ELNS1_3repE0EEENS1_38merge_mergepath_config_static_selectorELNS0_4arch9wavefront6targetE0EEEvSF_.num_agpr, 0
	.set _ZN7rocprim17ROCPRIM_400000_NS6detail17trampoline_kernelINS0_14default_configENS1_38merge_sort_block_merge_config_selectorIiNS0_10empty_typeEEEZZNS1_27merge_sort_block_merge_implIS3_PiPS5_jNS1_19radix_merge_compareILb1ELb1EiNS0_19identity_decomposerEEEEE10hipError_tT0_T1_T2_jT3_P12ihipStream_tbPNSt15iterator_traitsISE_E10value_typeEPNSK_ISF_E10value_typeEPSG_NS1_7vsmem_tEENKUlT_SE_SF_SG_E_clIS8_S8_S9_S9_EESD_ST_SE_SF_SG_EUlST_E0_NS1_11comp_targetILNS1_3genE8ELNS1_11target_archE1030ELNS1_3gpuE2ELNS1_3repE0EEENS1_38merge_mergepath_config_static_selectorELNS0_4arch9wavefront6targetE0EEEvSF_.numbered_sgpr, 0
	.set _ZN7rocprim17ROCPRIM_400000_NS6detail17trampoline_kernelINS0_14default_configENS1_38merge_sort_block_merge_config_selectorIiNS0_10empty_typeEEEZZNS1_27merge_sort_block_merge_implIS3_PiPS5_jNS1_19radix_merge_compareILb1ELb1EiNS0_19identity_decomposerEEEEE10hipError_tT0_T1_T2_jT3_P12ihipStream_tbPNSt15iterator_traitsISE_E10value_typeEPNSK_ISF_E10value_typeEPSG_NS1_7vsmem_tEENKUlT_SE_SF_SG_E_clIS8_S8_S9_S9_EESD_ST_SE_SF_SG_EUlST_E0_NS1_11comp_targetILNS1_3genE8ELNS1_11target_archE1030ELNS1_3gpuE2ELNS1_3repE0EEENS1_38merge_mergepath_config_static_selectorELNS0_4arch9wavefront6targetE0EEEvSF_.num_named_barrier, 0
	.set _ZN7rocprim17ROCPRIM_400000_NS6detail17trampoline_kernelINS0_14default_configENS1_38merge_sort_block_merge_config_selectorIiNS0_10empty_typeEEEZZNS1_27merge_sort_block_merge_implIS3_PiPS5_jNS1_19radix_merge_compareILb1ELb1EiNS0_19identity_decomposerEEEEE10hipError_tT0_T1_T2_jT3_P12ihipStream_tbPNSt15iterator_traitsISE_E10value_typeEPNSK_ISF_E10value_typeEPSG_NS1_7vsmem_tEENKUlT_SE_SF_SG_E_clIS8_S8_S9_S9_EESD_ST_SE_SF_SG_EUlST_E0_NS1_11comp_targetILNS1_3genE8ELNS1_11target_archE1030ELNS1_3gpuE2ELNS1_3repE0EEENS1_38merge_mergepath_config_static_selectorELNS0_4arch9wavefront6targetE0EEEvSF_.private_seg_size, 0
	.set _ZN7rocprim17ROCPRIM_400000_NS6detail17trampoline_kernelINS0_14default_configENS1_38merge_sort_block_merge_config_selectorIiNS0_10empty_typeEEEZZNS1_27merge_sort_block_merge_implIS3_PiPS5_jNS1_19radix_merge_compareILb1ELb1EiNS0_19identity_decomposerEEEEE10hipError_tT0_T1_T2_jT3_P12ihipStream_tbPNSt15iterator_traitsISE_E10value_typeEPNSK_ISF_E10value_typeEPSG_NS1_7vsmem_tEENKUlT_SE_SF_SG_E_clIS8_S8_S9_S9_EESD_ST_SE_SF_SG_EUlST_E0_NS1_11comp_targetILNS1_3genE8ELNS1_11target_archE1030ELNS1_3gpuE2ELNS1_3repE0EEENS1_38merge_mergepath_config_static_selectorELNS0_4arch9wavefront6targetE0EEEvSF_.uses_vcc, 0
	.set _ZN7rocprim17ROCPRIM_400000_NS6detail17trampoline_kernelINS0_14default_configENS1_38merge_sort_block_merge_config_selectorIiNS0_10empty_typeEEEZZNS1_27merge_sort_block_merge_implIS3_PiPS5_jNS1_19radix_merge_compareILb1ELb1EiNS0_19identity_decomposerEEEEE10hipError_tT0_T1_T2_jT3_P12ihipStream_tbPNSt15iterator_traitsISE_E10value_typeEPNSK_ISF_E10value_typeEPSG_NS1_7vsmem_tEENKUlT_SE_SF_SG_E_clIS8_S8_S9_S9_EESD_ST_SE_SF_SG_EUlST_E0_NS1_11comp_targetILNS1_3genE8ELNS1_11target_archE1030ELNS1_3gpuE2ELNS1_3repE0EEENS1_38merge_mergepath_config_static_selectorELNS0_4arch9wavefront6targetE0EEEvSF_.uses_flat_scratch, 0
	.set _ZN7rocprim17ROCPRIM_400000_NS6detail17trampoline_kernelINS0_14default_configENS1_38merge_sort_block_merge_config_selectorIiNS0_10empty_typeEEEZZNS1_27merge_sort_block_merge_implIS3_PiPS5_jNS1_19radix_merge_compareILb1ELb1EiNS0_19identity_decomposerEEEEE10hipError_tT0_T1_T2_jT3_P12ihipStream_tbPNSt15iterator_traitsISE_E10value_typeEPNSK_ISF_E10value_typeEPSG_NS1_7vsmem_tEENKUlT_SE_SF_SG_E_clIS8_S8_S9_S9_EESD_ST_SE_SF_SG_EUlST_E0_NS1_11comp_targetILNS1_3genE8ELNS1_11target_archE1030ELNS1_3gpuE2ELNS1_3repE0EEENS1_38merge_mergepath_config_static_selectorELNS0_4arch9wavefront6targetE0EEEvSF_.has_dyn_sized_stack, 0
	.set _ZN7rocprim17ROCPRIM_400000_NS6detail17trampoline_kernelINS0_14default_configENS1_38merge_sort_block_merge_config_selectorIiNS0_10empty_typeEEEZZNS1_27merge_sort_block_merge_implIS3_PiPS5_jNS1_19radix_merge_compareILb1ELb1EiNS0_19identity_decomposerEEEEE10hipError_tT0_T1_T2_jT3_P12ihipStream_tbPNSt15iterator_traitsISE_E10value_typeEPNSK_ISF_E10value_typeEPSG_NS1_7vsmem_tEENKUlT_SE_SF_SG_E_clIS8_S8_S9_S9_EESD_ST_SE_SF_SG_EUlST_E0_NS1_11comp_targetILNS1_3genE8ELNS1_11target_archE1030ELNS1_3gpuE2ELNS1_3repE0EEENS1_38merge_mergepath_config_static_selectorELNS0_4arch9wavefront6targetE0EEEvSF_.has_recursion, 0
	.set _ZN7rocprim17ROCPRIM_400000_NS6detail17trampoline_kernelINS0_14default_configENS1_38merge_sort_block_merge_config_selectorIiNS0_10empty_typeEEEZZNS1_27merge_sort_block_merge_implIS3_PiPS5_jNS1_19radix_merge_compareILb1ELb1EiNS0_19identity_decomposerEEEEE10hipError_tT0_T1_T2_jT3_P12ihipStream_tbPNSt15iterator_traitsISE_E10value_typeEPNSK_ISF_E10value_typeEPSG_NS1_7vsmem_tEENKUlT_SE_SF_SG_E_clIS8_S8_S9_S9_EESD_ST_SE_SF_SG_EUlST_E0_NS1_11comp_targetILNS1_3genE8ELNS1_11target_archE1030ELNS1_3gpuE2ELNS1_3repE0EEENS1_38merge_mergepath_config_static_selectorELNS0_4arch9wavefront6targetE0EEEvSF_.has_indirect_call, 0
	.section	.AMDGPU.csdata,"",@progbits
; Kernel info:
; codeLenInByte = 0
; TotalNumSgprs: 0
; NumVgprs: 0
; ScratchSize: 0
; MemoryBound: 0
; FloatMode: 240
; IeeeMode: 1
; LDSByteSize: 0 bytes/workgroup (compile time only)
; SGPRBlocks: 0
; VGPRBlocks: 0
; NumSGPRsForWavesPerEU: 1
; NumVGPRsForWavesPerEU: 1
; NamedBarCnt: 0
; Occupancy: 16
; WaveLimiterHint : 0
; COMPUTE_PGM_RSRC2:SCRATCH_EN: 0
; COMPUTE_PGM_RSRC2:USER_SGPR: 2
; COMPUTE_PGM_RSRC2:TRAP_HANDLER: 0
; COMPUTE_PGM_RSRC2:TGID_X_EN: 1
; COMPUTE_PGM_RSRC2:TGID_Y_EN: 0
; COMPUTE_PGM_RSRC2:TGID_Z_EN: 0
; COMPUTE_PGM_RSRC2:TIDIG_COMP_CNT: 0
	.section	.text._ZN7rocprim17ROCPRIM_400000_NS6detail17trampoline_kernelINS0_14default_configENS1_38merge_sort_block_merge_config_selectorIiNS0_10empty_typeEEEZZNS1_27merge_sort_block_merge_implIS3_PiPS5_jNS1_19radix_merge_compareILb1ELb1EiNS0_19identity_decomposerEEEEE10hipError_tT0_T1_T2_jT3_P12ihipStream_tbPNSt15iterator_traitsISE_E10value_typeEPNSK_ISF_E10value_typeEPSG_NS1_7vsmem_tEENKUlT_SE_SF_SG_E_clIS8_S8_S9_S9_EESD_ST_SE_SF_SG_EUlST_E1_NS1_11comp_targetILNS1_3genE0ELNS1_11target_archE4294967295ELNS1_3gpuE0ELNS1_3repE0EEENS1_36merge_oddeven_config_static_selectorELNS0_4arch9wavefront6targetE0EEEvSF_,"axG",@progbits,_ZN7rocprim17ROCPRIM_400000_NS6detail17trampoline_kernelINS0_14default_configENS1_38merge_sort_block_merge_config_selectorIiNS0_10empty_typeEEEZZNS1_27merge_sort_block_merge_implIS3_PiPS5_jNS1_19radix_merge_compareILb1ELb1EiNS0_19identity_decomposerEEEEE10hipError_tT0_T1_T2_jT3_P12ihipStream_tbPNSt15iterator_traitsISE_E10value_typeEPNSK_ISF_E10value_typeEPSG_NS1_7vsmem_tEENKUlT_SE_SF_SG_E_clIS8_S8_S9_S9_EESD_ST_SE_SF_SG_EUlST_E1_NS1_11comp_targetILNS1_3genE0ELNS1_11target_archE4294967295ELNS1_3gpuE0ELNS1_3repE0EEENS1_36merge_oddeven_config_static_selectorELNS0_4arch9wavefront6targetE0EEEvSF_,comdat
	.protected	_ZN7rocprim17ROCPRIM_400000_NS6detail17trampoline_kernelINS0_14default_configENS1_38merge_sort_block_merge_config_selectorIiNS0_10empty_typeEEEZZNS1_27merge_sort_block_merge_implIS3_PiPS5_jNS1_19radix_merge_compareILb1ELb1EiNS0_19identity_decomposerEEEEE10hipError_tT0_T1_T2_jT3_P12ihipStream_tbPNSt15iterator_traitsISE_E10value_typeEPNSK_ISF_E10value_typeEPSG_NS1_7vsmem_tEENKUlT_SE_SF_SG_E_clIS8_S8_S9_S9_EESD_ST_SE_SF_SG_EUlST_E1_NS1_11comp_targetILNS1_3genE0ELNS1_11target_archE4294967295ELNS1_3gpuE0ELNS1_3repE0EEENS1_36merge_oddeven_config_static_selectorELNS0_4arch9wavefront6targetE0EEEvSF_ ; -- Begin function _ZN7rocprim17ROCPRIM_400000_NS6detail17trampoline_kernelINS0_14default_configENS1_38merge_sort_block_merge_config_selectorIiNS0_10empty_typeEEEZZNS1_27merge_sort_block_merge_implIS3_PiPS5_jNS1_19radix_merge_compareILb1ELb1EiNS0_19identity_decomposerEEEEE10hipError_tT0_T1_T2_jT3_P12ihipStream_tbPNSt15iterator_traitsISE_E10value_typeEPNSK_ISF_E10value_typeEPSG_NS1_7vsmem_tEENKUlT_SE_SF_SG_E_clIS8_S8_S9_S9_EESD_ST_SE_SF_SG_EUlST_E1_NS1_11comp_targetILNS1_3genE0ELNS1_11target_archE4294967295ELNS1_3gpuE0ELNS1_3repE0EEENS1_36merge_oddeven_config_static_selectorELNS0_4arch9wavefront6targetE0EEEvSF_
	.globl	_ZN7rocprim17ROCPRIM_400000_NS6detail17trampoline_kernelINS0_14default_configENS1_38merge_sort_block_merge_config_selectorIiNS0_10empty_typeEEEZZNS1_27merge_sort_block_merge_implIS3_PiPS5_jNS1_19radix_merge_compareILb1ELb1EiNS0_19identity_decomposerEEEEE10hipError_tT0_T1_T2_jT3_P12ihipStream_tbPNSt15iterator_traitsISE_E10value_typeEPNSK_ISF_E10value_typeEPSG_NS1_7vsmem_tEENKUlT_SE_SF_SG_E_clIS8_S8_S9_S9_EESD_ST_SE_SF_SG_EUlST_E1_NS1_11comp_targetILNS1_3genE0ELNS1_11target_archE4294967295ELNS1_3gpuE0ELNS1_3repE0EEENS1_36merge_oddeven_config_static_selectorELNS0_4arch9wavefront6targetE0EEEvSF_
	.p2align	8
	.type	_ZN7rocprim17ROCPRIM_400000_NS6detail17trampoline_kernelINS0_14default_configENS1_38merge_sort_block_merge_config_selectorIiNS0_10empty_typeEEEZZNS1_27merge_sort_block_merge_implIS3_PiPS5_jNS1_19radix_merge_compareILb1ELb1EiNS0_19identity_decomposerEEEEE10hipError_tT0_T1_T2_jT3_P12ihipStream_tbPNSt15iterator_traitsISE_E10value_typeEPNSK_ISF_E10value_typeEPSG_NS1_7vsmem_tEENKUlT_SE_SF_SG_E_clIS8_S8_S9_S9_EESD_ST_SE_SF_SG_EUlST_E1_NS1_11comp_targetILNS1_3genE0ELNS1_11target_archE4294967295ELNS1_3gpuE0ELNS1_3repE0EEENS1_36merge_oddeven_config_static_selectorELNS0_4arch9wavefront6targetE0EEEvSF_,@function
_ZN7rocprim17ROCPRIM_400000_NS6detail17trampoline_kernelINS0_14default_configENS1_38merge_sort_block_merge_config_selectorIiNS0_10empty_typeEEEZZNS1_27merge_sort_block_merge_implIS3_PiPS5_jNS1_19radix_merge_compareILb1ELb1EiNS0_19identity_decomposerEEEEE10hipError_tT0_T1_T2_jT3_P12ihipStream_tbPNSt15iterator_traitsISE_E10value_typeEPNSK_ISF_E10value_typeEPSG_NS1_7vsmem_tEENKUlT_SE_SF_SG_E_clIS8_S8_S9_S9_EESD_ST_SE_SF_SG_EUlST_E1_NS1_11comp_targetILNS1_3genE0ELNS1_11target_archE4294967295ELNS1_3gpuE0ELNS1_3repE0EEENS1_36merge_oddeven_config_static_selectorELNS0_4arch9wavefront6targetE0EEEvSF_: ; @_ZN7rocprim17ROCPRIM_400000_NS6detail17trampoline_kernelINS0_14default_configENS1_38merge_sort_block_merge_config_selectorIiNS0_10empty_typeEEEZZNS1_27merge_sort_block_merge_implIS3_PiPS5_jNS1_19radix_merge_compareILb1ELb1EiNS0_19identity_decomposerEEEEE10hipError_tT0_T1_T2_jT3_P12ihipStream_tbPNSt15iterator_traitsISE_E10value_typeEPNSK_ISF_E10value_typeEPSG_NS1_7vsmem_tEENKUlT_SE_SF_SG_E_clIS8_S8_S9_S9_EESD_ST_SE_SF_SG_EUlST_E1_NS1_11comp_targetILNS1_3genE0ELNS1_11target_archE4294967295ELNS1_3gpuE0ELNS1_3repE0EEENS1_36merge_oddeven_config_static_selectorELNS0_4arch9wavefront6targetE0EEEvSF_
; %bb.0:
	s_load_b32 s11, s[0:1], 0x20
	s_bfe_u32 s2, ttmp6, 0x4000c
	s_and_b32 s3, ttmp6, 15
	s_add_co_i32 s2, s2, 1
	s_getreg_b32 s4, hwreg(HW_REG_IB_STS2, 6, 4)
	s_mul_i32 s2, ttmp9, s2
	s_mov_b32 s9, 0
	s_add_co_i32 s3, s3, s2
	s_cmp_eq_u32 s4, 0
	s_cselect_b32 s2, ttmp9, s3
	s_wait_kmcnt 0x0
	s_lshr_b32 s3, s11, 8
	s_delay_alu instid0(SALU_CYCLE_1) | instskip(SKIP_4) | instid1(SALU_CYCLE_1)
	s_cmp_lg_u32 s2, s3
	s_cselect_b32 s15, -1, 0
	s_cmp_eq_u32 s2, s3
	s_cselect_b32 s12, -1, 0
	s_lshl_b32 s8, s2, 8
	s_sub_co_i32 s3, s11, s8
	s_delay_alu instid0(SALU_CYCLE_1) | instskip(SKIP_1) | instid1(SALU_CYCLE_1)
	v_cmp_gt_u32_e64 s3, s3, v0
	s_or_b32 s4, s15, s3
	s_and_saveexec_b32 s5, s4
	s_cbranch_execz .LBB815_20
; %bb.1:
	s_clause 0x1
	s_load_b128 s[4:7], s[0:1], 0x0
	s_load_b32 s13, s[0:1], 0x24
	s_lshl_b64 s[16:17], s[8:9], 2
	v_add_nc_u32_e32 v3, s8, v0
	s_wait_kmcnt 0x0
	s_add_nc_u64 s[16:17], s[4:5], s[16:17]
	s_lshr_b32 s10, s13, 8
	global_load_b32 v1, v0, s[16:17] scale_offset
	s_sub_co_i32 s14, 0, s10
	s_wait_xcnt 0x0
	s_sub_co_i32 s16, 0, s13
	s_and_b32 s2, s2, s14
	s_delay_alu instid0(SALU_CYCLE_1) | instskip(SKIP_3) | instid1(SALU_CYCLE_1)
	s_and_b32 s10, s2, s10
	s_lshl_b32 s14, s2, 8
	s_cmp_eq_u32 s10, 0
	s_cselect_b32 s2, -1, 0
	s_and_b32 s10, s2, exec_lo
	s_cselect_b32 s10, s13, s16
	s_delay_alu instid0(SALU_CYCLE_1) | instskip(NEXT) | instid1(SALU_CYCLE_1)
	s_add_co_i32 s10, s10, s14
	s_cmp_gt_u32 s11, s10
	s_cbranch_scc1 .LBB815_3
; %bb.2:
	v_cmp_gt_u32_e32 vcc_lo, s11, v3
	s_or_b32 s9, vcc_lo, s15
	s_delay_alu instid0(SALU_CYCLE_1)
	s_and_b32 s9, s9, exec_lo
	s_cbranch_execz .LBB815_4
	s_branch .LBB815_18
.LBB815_3:
.LBB815_4:
	s_load_b32 s0, s[0:1], 0x28
	s_wait_xcnt 0x0
	s_min_u32 s1, s10, s11
	s_and_b32 vcc_lo, exec_lo, s12
	s_add_co_i32 s8, s14, s1
	s_add_co_i32 s13, s1, s13
	v_subrev_nc_u32_e32 v0, s8, v3
	s_min_u32 s8, s14, s1
	s_delay_alu instid0(VALU_DEP_1) | instid1(SALU_CYCLE_1)
	v_add_nc_u32_e32 v0, s8, v0
	s_min_u32 s8, s13, s11
	s_wait_loadcnt 0x0
	s_wait_kmcnt 0x0
	v_and_b32_e32 v2, s0, v1
	s_cbranch_vccz .LBB815_12
; %bb.5:
                                        ; implicit-def: $vgpr3
	s_and_saveexec_b32 s11, s3
	s_cbranch_execz .LBB815_11
; %bb.6:
	v_mov_b32_e32 v3, s1
	s_cmp_ge_u32 s10, s8
	s_cbranch_scc1 .LBB815_10
; %bb.7:
	v_dual_mov_b32 v4, s8 :: v_dual_mov_b32 v3, s1
	s_mov_b32 s3, 0
.LBB815_8:                              ; =>This Inner Loop Header: Depth=1
	s_delay_alu instid0(VALU_DEP_1) | instskip(NEXT) | instid1(VALU_DEP_1)
	v_add_nc_u32_e32 v5, v3, v4
	v_lshrrev_b32_e32 v5, 1, v5
	global_load_b32 v6, v5, s[4:5] scale_offset
	s_wait_loadcnt 0x0
	v_and_b32_e32 v6, s0, v6
	s_delay_alu instid0(VALU_DEP_1) | instskip(SKIP_3) | instid1(VALU_DEP_1)
	v_cmp_gt_i32_e32 vcc_lo, v6, v2
	v_cndmask_b32_e64 v7, 0, 1, vcc_lo
	v_cmp_le_i32_e32 vcc_lo, v2, v6
	v_cndmask_b32_e64 v6, 0, 1, vcc_lo
	v_dual_cndmask_b32 v6, v6, v7, s2 :: v_dual_add_nc_u32 v7, 1, v5
	s_delay_alu instid0(VALU_DEP_1) | instskip(NEXT) | instid1(VALU_DEP_1)
	v_and_b32_e32 v6, 1, v6
	v_cmp_eq_u32_e32 vcc_lo, 1, v6
	s_delay_alu instid0(VALU_DEP_3) | instskip(NEXT) | instid1(VALU_DEP_1)
	v_dual_cndmask_b32 v4, v5, v4 :: v_dual_cndmask_b32 v3, v3, v7
	v_cmp_ge_u32_e32 vcc_lo, v3, v4
	s_or_b32 s3, vcc_lo, s3
	s_delay_alu instid0(SALU_CYCLE_1)
	s_and_not1_b32 exec_lo, exec_lo, s3
	s_cbranch_execnz .LBB815_8
; %bb.9:
	s_or_b32 exec_lo, exec_lo, s3
.LBB815_10:
	s_delay_alu instid0(VALU_DEP_1)
	v_add_nc_u32_e32 v3, v3, v0
	s_or_b32 s9, s9, exec_lo
.LBB815_11:
	s_or_b32 exec_lo, exec_lo, s11
	s_branch .LBB815_18
.LBB815_12:
                                        ; implicit-def: $vgpr3
	s_cbranch_execz .LBB815_18
; %bb.13:
	v_mov_b32_e32 v3, s1
	s_cmp_ge_u32 s10, s8
	s_cbranch_scc1 .LBB815_17
; %bb.14:
	v_dual_mov_b32 v4, s8 :: v_dual_mov_b32 v3, s1
	s_mov_b32 s1, 0
.LBB815_15:                             ; =>This Inner Loop Header: Depth=1
	s_delay_alu instid0(VALU_DEP_1) | instskip(NEXT) | instid1(VALU_DEP_1)
	v_add_nc_u32_e32 v5, v3, v4
	v_lshrrev_b32_e32 v5, 1, v5
	global_load_b32 v6, v5, s[4:5] scale_offset
	s_wait_loadcnt 0x0
	v_and_b32_e32 v6, s0, v6
	s_delay_alu instid0(VALU_DEP_1) | instskip(SKIP_3) | instid1(VALU_DEP_1)
	v_cmp_gt_i32_e32 vcc_lo, v6, v2
	v_cndmask_b32_e64 v7, 0, 1, vcc_lo
	v_cmp_le_i32_e32 vcc_lo, v2, v6
	v_cndmask_b32_e64 v6, 0, 1, vcc_lo
	v_dual_cndmask_b32 v6, v6, v7, s2 :: v_dual_add_nc_u32 v7, 1, v5
	s_delay_alu instid0(VALU_DEP_1) | instskip(NEXT) | instid1(VALU_DEP_1)
	v_and_b32_e32 v6, 1, v6
	v_cmp_eq_u32_e32 vcc_lo, 1, v6
	s_delay_alu instid0(VALU_DEP_3) | instskip(NEXT) | instid1(VALU_DEP_1)
	v_dual_cndmask_b32 v4, v5, v4 :: v_dual_cndmask_b32 v3, v3, v7
	v_cmp_ge_u32_e32 vcc_lo, v3, v4
	s_or_b32 s1, vcc_lo, s1
	s_delay_alu instid0(SALU_CYCLE_1)
	s_and_not1_b32 exec_lo, exec_lo, s1
	s_cbranch_execnz .LBB815_15
; %bb.16:
	s_or_b32 exec_lo, exec_lo, s1
.LBB815_17:
	s_delay_alu instid0(VALU_DEP_1)
	v_add_nc_u32_e32 v3, v3, v0
	s_mov_b32 s9, -1
.LBB815_18:
	s_delay_alu instid0(SALU_CYCLE_1)
	s_and_b32 exec_lo, exec_lo, s9
	s_cbranch_execz .LBB815_20
; %bb.19:
	s_wait_loadcnt 0x0
	global_store_b32 v3, v1, s[6:7] scale_offset
.LBB815_20:
	s_endpgm
	.section	.rodata,"a",@progbits
	.p2align	6, 0x0
	.amdhsa_kernel _ZN7rocprim17ROCPRIM_400000_NS6detail17trampoline_kernelINS0_14default_configENS1_38merge_sort_block_merge_config_selectorIiNS0_10empty_typeEEEZZNS1_27merge_sort_block_merge_implIS3_PiPS5_jNS1_19radix_merge_compareILb1ELb1EiNS0_19identity_decomposerEEEEE10hipError_tT0_T1_T2_jT3_P12ihipStream_tbPNSt15iterator_traitsISE_E10value_typeEPNSK_ISF_E10value_typeEPSG_NS1_7vsmem_tEENKUlT_SE_SF_SG_E_clIS8_S8_S9_S9_EESD_ST_SE_SF_SG_EUlST_E1_NS1_11comp_targetILNS1_3genE0ELNS1_11target_archE4294967295ELNS1_3gpuE0ELNS1_3repE0EEENS1_36merge_oddeven_config_static_selectorELNS0_4arch9wavefront6targetE0EEEvSF_
		.amdhsa_group_segment_fixed_size 0
		.amdhsa_private_segment_fixed_size 0
		.amdhsa_kernarg_size 48
		.amdhsa_user_sgpr_count 2
		.amdhsa_user_sgpr_dispatch_ptr 0
		.amdhsa_user_sgpr_queue_ptr 0
		.amdhsa_user_sgpr_kernarg_segment_ptr 1
		.amdhsa_user_sgpr_dispatch_id 0
		.amdhsa_user_sgpr_kernarg_preload_length 0
		.amdhsa_user_sgpr_kernarg_preload_offset 0
		.amdhsa_user_sgpr_private_segment_size 0
		.amdhsa_wavefront_size32 1
		.amdhsa_uses_dynamic_stack 0
		.amdhsa_enable_private_segment 0
		.amdhsa_system_sgpr_workgroup_id_x 1
		.amdhsa_system_sgpr_workgroup_id_y 0
		.amdhsa_system_sgpr_workgroup_id_z 0
		.amdhsa_system_sgpr_workgroup_info 0
		.amdhsa_system_vgpr_workitem_id 0
		.amdhsa_next_free_vgpr 8
		.amdhsa_next_free_sgpr 18
		.amdhsa_named_barrier_count 0
		.amdhsa_reserve_vcc 1
		.amdhsa_float_round_mode_32 0
		.amdhsa_float_round_mode_16_64 0
		.amdhsa_float_denorm_mode_32 3
		.amdhsa_float_denorm_mode_16_64 3
		.amdhsa_fp16_overflow 0
		.amdhsa_memory_ordered 1
		.amdhsa_forward_progress 1
		.amdhsa_inst_pref_size 6
		.amdhsa_round_robin_scheduling 0
		.amdhsa_exception_fp_ieee_invalid_op 0
		.amdhsa_exception_fp_denorm_src 0
		.amdhsa_exception_fp_ieee_div_zero 0
		.amdhsa_exception_fp_ieee_overflow 0
		.amdhsa_exception_fp_ieee_underflow 0
		.amdhsa_exception_fp_ieee_inexact 0
		.amdhsa_exception_int_div_zero 0
	.end_amdhsa_kernel
	.section	.text._ZN7rocprim17ROCPRIM_400000_NS6detail17trampoline_kernelINS0_14default_configENS1_38merge_sort_block_merge_config_selectorIiNS0_10empty_typeEEEZZNS1_27merge_sort_block_merge_implIS3_PiPS5_jNS1_19radix_merge_compareILb1ELb1EiNS0_19identity_decomposerEEEEE10hipError_tT0_T1_T2_jT3_P12ihipStream_tbPNSt15iterator_traitsISE_E10value_typeEPNSK_ISF_E10value_typeEPSG_NS1_7vsmem_tEENKUlT_SE_SF_SG_E_clIS8_S8_S9_S9_EESD_ST_SE_SF_SG_EUlST_E1_NS1_11comp_targetILNS1_3genE0ELNS1_11target_archE4294967295ELNS1_3gpuE0ELNS1_3repE0EEENS1_36merge_oddeven_config_static_selectorELNS0_4arch9wavefront6targetE0EEEvSF_,"axG",@progbits,_ZN7rocprim17ROCPRIM_400000_NS6detail17trampoline_kernelINS0_14default_configENS1_38merge_sort_block_merge_config_selectorIiNS0_10empty_typeEEEZZNS1_27merge_sort_block_merge_implIS3_PiPS5_jNS1_19radix_merge_compareILb1ELb1EiNS0_19identity_decomposerEEEEE10hipError_tT0_T1_T2_jT3_P12ihipStream_tbPNSt15iterator_traitsISE_E10value_typeEPNSK_ISF_E10value_typeEPSG_NS1_7vsmem_tEENKUlT_SE_SF_SG_E_clIS8_S8_S9_S9_EESD_ST_SE_SF_SG_EUlST_E1_NS1_11comp_targetILNS1_3genE0ELNS1_11target_archE4294967295ELNS1_3gpuE0ELNS1_3repE0EEENS1_36merge_oddeven_config_static_selectorELNS0_4arch9wavefront6targetE0EEEvSF_,comdat
.Lfunc_end815:
	.size	_ZN7rocprim17ROCPRIM_400000_NS6detail17trampoline_kernelINS0_14default_configENS1_38merge_sort_block_merge_config_selectorIiNS0_10empty_typeEEEZZNS1_27merge_sort_block_merge_implIS3_PiPS5_jNS1_19radix_merge_compareILb1ELb1EiNS0_19identity_decomposerEEEEE10hipError_tT0_T1_T2_jT3_P12ihipStream_tbPNSt15iterator_traitsISE_E10value_typeEPNSK_ISF_E10value_typeEPSG_NS1_7vsmem_tEENKUlT_SE_SF_SG_E_clIS8_S8_S9_S9_EESD_ST_SE_SF_SG_EUlST_E1_NS1_11comp_targetILNS1_3genE0ELNS1_11target_archE4294967295ELNS1_3gpuE0ELNS1_3repE0EEENS1_36merge_oddeven_config_static_selectorELNS0_4arch9wavefront6targetE0EEEvSF_, .Lfunc_end815-_ZN7rocprim17ROCPRIM_400000_NS6detail17trampoline_kernelINS0_14default_configENS1_38merge_sort_block_merge_config_selectorIiNS0_10empty_typeEEEZZNS1_27merge_sort_block_merge_implIS3_PiPS5_jNS1_19radix_merge_compareILb1ELb1EiNS0_19identity_decomposerEEEEE10hipError_tT0_T1_T2_jT3_P12ihipStream_tbPNSt15iterator_traitsISE_E10value_typeEPNSK_ISF_E10value_typeEPSG_NS1_7vsmem_tEENKUlT_SE_SF_SG_E_clIS8_S8_S9_S9_EESD_ST_SE_SF_SG_EUlST_E1_NS1_11comp_targetILNS1_3genE0ELNS1_11target_archE4294967295ELNS1_3gpuE0ELNS1_3repE0EEENS1_36merge_oddeven_config_static_selectorELNS0_4arch9wavefront6targetE0EEEvSF_
                                        ; -- End function
	.set _ZN7rocprim17ROCPRIM_400000_NS6detail17trampoline_kernelINS0_14default_configENS1_38merge_sort_block_merge_config_selectorIiNS0_10empty_typeEEEZZNS1_27merge_sort_block_merge_implIS3_PiPS5_jNS1_19radix_merge_compareILb1ELb1EiNS0_19identity_decomposerEEEEE10hipError_tT0_T1_T2_jT3_P12ihipStream_tbPNSt15iterator_traitsISE_E10value_typeEPNSK_ISF_E10value_typeEPSG_NS1_7vsmem_tEENKUlT_SE_SF_SG_E_clIS8_S8_S9_S9_EESD_ST_SE_SF_SG_EUlST_E1_NS1_11comp_targetILNS1_3genE0ELNS1_11target_archE4294967295ELNS1_3gpuE0ELNS1_3repE0EEENS1_36merge_oddeven_config_static_selectorELNS0_4arch9wavefront6targetE0EEEvSF_.num_vgpr, 8
	.set _ZN7rocprim17ROCPRIM_400000_NS6detail17trampoline_kernelINS0_14default_configENS1_38merge_sort_block_merge_config_selectorIiNS0_10empty_typeEEEZZNS1_27merge_sort_block_merge_implIS3_PiPS5_jNS1_19radix_merge_compareILb1ELb1EiNS0_19identity_decomposerEEEEE10hipError_tT0_T1_T2_jT3_P12ihipStream_tbPNSt15iterator_traitsISE_E10value_typeEPNSK_ISF_E10value_typeEPSG_NS1_7vsmem_tEENKUlT_SE_SF_SG_E_clIS8_S8_S9_S9_EESD_ST_SE_SF_SG_EUlST_E1_NS1_11comp_targetILNS1_3genE0ELNS1_11target_archE4294967295ELNS1_3gpuE0ELNS1_3repE0EEENS1_36merge_oddeven_config_static_selectorELNS0_4arch9wavefront6targetE0EEEvSF_.num_agpr, 0
	.set _ZN7rocprim17ROCPRIM_400000_NS6detail17trampoline_kernelINS0_14default_configENS1_38merge_sort_block_merge_config_selectorIiNS0_10empty_typeEEEZZNS1_27merge_sort_block_merge_implIS3_PiPS5_jNS1_19radix_merge_compareILb1ELb1EiNS0_19identity_decomposerEEEEE10hipError_tT0_T1_T2_jT3_P12ihipStream_tbPNSt15iterator_traitsISE_E10value_typeEPNSK_ISF_E10value_typeEPSG_NS1_7vsmem_tEENKUlT_SE_SF_SG_E_clIS8_S8_S9_S9_EESD_ST_SE_SF_SG_EUlST_E1_NS1_11comp_targetILNS1_3genE0ELNS1_11target_archE4294967295ELNS1_3gpuE0ELNS1_3repE0EEENS1_36merge_oddeven_config_static_selectorELNS0_4arch9wavefront6targetE0EEEvSF_.numbered_sgpr, 18
	.set _ZN7rocprim17ROCPRIM_400000_NS6detail17trampoline_kernelINS0_14default_configENS1_38merge_sort_block_merge_config_selectorIiNS0_10empty_typeEEEZZNS1_27merge_sort_block_merge_implIS3_PiPS5_jNS1_19radix_merge_compareILb1ELb1EiNS0_19identity_decomposerEEEEE10hipError_tT0_T1_T2_jT3_P12ihipStream_tbPNSt15iterator_traitsISE_E10value_typeEPNSK_ISF_E10value_typeEPSG_NS1_7vsmem_tEENKUlT_SE_SF_SG_E_clIS8_S8_S9_S9_EESD_ST_SE_SF_SG_EUlST_E1_NS1_11comp_targetILNS1_3genE0ELNS1_11target_archE4294967295ELNS1_3gpuE0ELNS1_3repE0EEENS1_36merge_oddeven_config_static_selectorELNS0_4arch9wavefront6targetE0EEEvSF_.num_named_barrier, 0
	.set _ZN7rocprim17ROCPRIM_400000_NS6detail17trampoline_kernelINS0_14default_configENS1_38merge_sort_block_merge_config_selectorIiNS0_10empty_typeEEEZZNS1_27merge_sort_block_merge_implIS3_PiPS5_jNS1_19radix_merge_compareILb1ELb1EiNS0_19identity_decomposerEEEEE10hipError_tT0_T1_T2_jT3_P12ihipStream_tbPNSt15iterator_traitsISE_E10value_typeEPNSK_ISF_E10value_typeEPSG_NS1_7vsmem_tEENKUlT_SE_SF_SG_E_clIS8_S8_S9_S9_EESD_ST_SE_SF_SG_EUlST_E1_NS1_11comp_targetILNS1_3genE0ELNS1_11target_archE4294967295ELNS1_3gpuE0ELNS1_3repE0EEENS1_36merge_oddeven_config_static_selectorELNS0_4arch9wavefront6targetE0EEEvSF_.private_seg_size, 0
	.set _ZN7rocprim17ROCPRIM_400000_NS6detail17trampoline_kernelINS0_14default_configENS1_38merge_sort_block_merge_config_selectorIiNS0_10empty_typeEEEZZNS1_27merge_sort_block_merge_implIS3_PiPS5_jNS1_19radix_merge_compareILb1ELb1EiNS0_19identity_decomposerEEEEE10hipError_tT0_T1_T2_jT3_P12ihipStream_tbPNSt15iterator_traitsISE_E10value_typeEPNSK_ISF_E10value_typeEPSG_NS1_7vsmem_tEENKUlT_SE_SF_SG_E_clIS8_S8_S9_S9_EESD_ST_SE_SF_SG_EUlST_E1_NS1_11comp_targetILNS1_3genE0ELNS1_11target_archE4294967295ELNS1_3gpuE0ELNS1_3repE0EEENS1_36merge_oddeven_config_static_selectorELNS0_4arch9wavefront6targetE0EEEvSF_.uses_vcc, 1
	.set _ZN7rocprim17ROCPRIM_400000_NS6detail17trampoline_kernelINS0_14default_configENS1_38merge_sort_block_merge_config_selectorIiNS0_10empty_typeEEEZZNS1_27merge_sort_block_merge_implIS3_PiPS5_jNS1_19radix_merge_compareILb1ELb1EiNS0_19identity_decomposerEEEEE10hipError_tT0_T1_T2_jT3_P12ihipStream_tbPNSt15iterator_traitsISE_E10value_typeEPNSK_ISF_E10value_typeEPSG_NS1_7vsmem_tEENKUlT_SE_SF_SG_E_clIS8_S8_S9_S9_EESD_ST_SE_SF_SG_EUlST_E1_NS1_11comp_targetILNS1_3genE0ELNS1_11target_archE4294967295ELNS1_3gpuE0ELNS1_3repE0EEENS1_36merge_oddeven_config_static_selectorELNS0_4arch9wavefront6targetE0EEEvSF_.uses_flat_scratch, 0
	.set _ZN7rocprim17ROCPRIM_400000_NS6detail17trampoline_kernelINS0_14default_configENS1_38merge_sort_block_merge_config_selectorIiNS0_10empty_typeEEEZZNS1_27merge_sort_block_merge_implIS3_PiPS5_jNS1_19radix_merge_compareILb1ELb1EiNS0_19identity_decomposerEEEEE10hipError_tT0_T1_T2_jT3_P12ihipStream_tbPNSt15iterator_traitsISE_E10value_typeEPNSK_ISF_E10value_typeEPSG_NS1_7vsmem_tEENKUlT_SE_SF_SG_E_clIS8_S8_S9_S9_EESD_ST_SE_SF_SG_EUlST_E1_NS1_11comp_targetILNS1_3genE0ELNS1_11target_archE4294967295ELNS1_3gpuE0ELNS1_3repE0EEENS1_36merge_oddeven_config_static_selectorELNS0_4arch9wavefront6targetE0EEEvSF_.has_dyn_sized_stack, 0
	.set _ZN7rocprim17ROCPRIM_400000_NS6detail17trampoline_kernelINS0_14default_configENS1_38merge_sort_block_merge_config_selectorIiNS0_10empty_typeEEEZZNS1_27merge_sort_block_merge_implIS3_PiPS5_jNS1_19radix_merge_compareILb1ELb1EiNS0_19identity_decomposerEEEEE10hipError_tT0_T1_T2_jT3_P12ihipStream_tbPNSt15iterator_traitsISE_E10value_typeEPNSK_ISF_E10value_typeEPSG_NS1_7vsmem_tEENKUlT_SE_SF_SG_E_clIS8_S8_S9_S9_EESD_ST_SE_SF_SG_EUlST_E1_NS1_11comp_targetILNS1_3genE0ELNS1_11target_archE4294967295ELNS1_3gpuE0ELNS1_3repE0EEENS1_36merge_oddeven_config_static_selectorELNS0_4arch9wavefront6targetE0EEEvSF_.has_recursion, 0
	.set _ZN7rocprim17ROCPRIM_400000_NS6detail17trampoline_kernelINS0_14default_configENS1_38merge_sort_block_merge_config_selectorIiNS0_10empty_typeEEEZZNS1_27merge_sort_block_merge_implIS3_PiPS5_jNS1_19radix_merge_compareILb1ELb1EiNS0_19identity_decomposerEEEEE10hipError_tT0_T1_T2_jT3_P12ihipStream_tbPNSt15iterator_traitsISE_E10value_typeEPNSK_ISF_E10value_typeEPSG_NS1_7vsmem_tEENKUlT_SE_SF_SG_E_clIS8_S8_S9_S9_EESD_ST_SE_SF_SG_EUlST_E1_NS1_11comp_targetILNS1_3genE0ELNS1_11target_archE4294967295ELNS1_3gpuE0ELNS1_3repE0EEENS1_36merge_oddeven_config_static_selectorELNS0_4arch9wavefront6targetE0EEEvSF_.has_indirect_call, 0
	.section	.AMDGPU.csdata,"",@progbits
; Kernel info:
; codeLenInByte = 672
; TotalNumSgprs: 20
; NumVgprs: 8
; ScratchSize: 0
; MemoryBound: 0
; FloatMode: 240
; IeeeMode: 1
; LDSByteSize: 0 bytes/workgroup (compile time only)
; SGPRBlocks: 0
; VGPRBlocks: 0
; NumSGPRsForWavesPerEU: 20
; NumVGPRsForWavesPerEU: 8
; NamedBarCnt: 0
; Occupancy: 16
; WaveLimiterHint : 0
; COMPUTE_PGM_RSRC2:SCRATCH_EN: 0
; COMPUTE_PGM_RSRC2:USER_SGPR: 2
; COMPUTE_PGM_RSRC2:TRAP_HANDLER: 0
; COMPUTE_PGM_RSRC2:TGID_X_EN: 1
; COMPUTE_PGM_RSRC2:TGID_Y_EN: 0
; COMPUTE_PGM_RSRC2:TGID_Z_EN: 0
; COMPUTE_PGM_RSRC2:TIDIG_COMP_CNT: 0
	.section	.text._ZN7rocprim17ROCPRIM_400000_NS6detail17trampoline_kernelINS0_14default_configENS1_38merge_sort_block_merge_config_selectorIiNS0_10empty_typeEEEZZNS1_27merge_sort_block_merge_implIS3_PiPS5_jNS1_19radix_merge_compareILb1ELb1EiNS0_19identity_decomposerEEEEE10hipError_tT0_T1_T2_jT3_P12ihipStream_tbPNSt15iterator_traitsISE_E10value_typeEPNSK_ISF_E10value_typeEPSG_NS1_7vsmem_tEENKUlT_SE_SF_SG_E_clIS8_S8_S9_S9_EESD_ST_SE_SF_SG_EUlST_E1_NS1_11comp_targetILNS1_3genE10ELNS1_11target_archE1201ELNS1_3gpuE5ELNS1_3repE0EEENS1_36merge_oddeven_config_static_selectorELNS0_4arch9wavefront6targetE0EEEvSF_,"axG",@progbits,_ZN7rocprim17ROCPRIM_400000_NS6detail17trampoline_kernelINS0_14default_configENS1_38merge_sort_block_merge_config_selectorIiNS0_10empty_typeEEEZZNS1_27merge_sort_block_merge_implIS3_PiPS5_jNS1_19radix_merge_compareILb1ELb1EiNS0_19identity_decomposerEEEEE10hipError_tT0_T1_T2_jT3_P12ihipStream_tbPNSt15iterator_traitsISE_E10value_typeEPNSK_ISF_E10value_typeEPSG_NS1_7vsmem_tEENKUlT_SE_SF_SG_E_clIS8_S8_S9_S9_EESD_ST_SE_SF_SG_EUlST_E1_NS1_11comp_targetILNS1_3genE10ELNS1_11target_archE1201ELNS1_3gpuE5ELNS1_3repE0EEENS1_36merge_oddeven_config_static_selectorELNS0_4arch9wavefront6targetE0EEEvSF_,comdat
	.protected	_ZN7rocprim17ROCPRIM_400000_NS6detail17trampoline_kernelINS0_14default_configENS1_38merge_sort_block_merge_config_selectorIiNS0_10empty_typeEEEZZNS1_27merge_sort_block_merge_implIS3_PiPS5_jNS1_19radix_merge_compareILb1ELb1EiNS0_19identity_decomposerEEEEE10hipError_tT0_T1_T2_jT3_P12ihipStream_tbPNSt15iterator_traitsISE_E10value_typeEPNSK_ISF_E10value_typeEPSG_NS1_7vsmem_tEENKUlT_SE_SF_SG_E_clIS8_S8_S9_S9_EESD_ST_SE_SF_SG_EUlST_E1_NS1_11comp_targetILNS1_3genE10ELNS1_11target_archE1201ELNS1_3gpuE5ELNS1_3repE0EEENS1_36merge_oddeven_config_static_selectorELNS0_4arch9wavefront6targetE0EEEvSF_ ; -- Begin function _ZN7rocprim17ROCPRIM_400000_NS6detail17trampoline_kernelINS0_14default_configENS1_38merge_sort_block_merge_config_selectorIiNS0_10empty_typeEEEZZNS1_27merge_sort_block_merge_implIS3_PiPS5_jNS1_19radix_merge_compareILb1ELb1EiNS0_19identity_decomposerEEEEE10hipError_tT0_T1_T2_jT3_P12ihipStream_tbPNSt15iterator_traitsISE_E10value_typeEPNSK_ISF_E10value_typeEPSG_NS1_7vsmem_tEENKUlT_SE_SF_SG_E_clIS8_S8_S9_S9_EESD_ST_SE_SF_SG_EUlST_E1_NS1_11comp_targetILNS1_3genE10ELNS1_11target_archE1201ELNS1_3gpuE5ELNS1_3repE0EEENS1_36merge_oddeven_config_static_selectorELNS0_4arch9wavefront6targetE0EEEvSF_
	.globl	_ZN7rocprim17ROCPRIM_400000_NS6detail17trampoline_kernelINS0_14default_configENS1_38merge_sort_block_merge_config_selectorIiNS0_10empty_typeEEEZZNS1_27merge_sort_block_merge_implIS3_PiPS5_jNS1_19radix_merge_compareILb1ELb1EiNS0_19identity_decomposerEEEEE10hipError_tT0_T1_T2_jT3_P12ihipStream_tbPNSt15iterator_traitsISE_E10value_typeEPNSK_ISF_E10value_typeEPSG_NS1_7vsmem_tEENKUlT_SE_SF_SG_E_clIS8_S8_S9_S9_EESD_ST_SE_SF_SG_EUlST_E1_NS1_11comp_targetILNS1_3genE10ELNS1_11target_archE1201ELNS1_3gpuE5ELNS1_3repE0EEENS1_36merge_oddeven_config_static_selectorELNS0_4arch9wavefront6targetE0EEEvSF_
	.p2align	8
	.type	_ZN7rocprim17ROCPRIM_400000_NS6detail17trampoline_kernelINS0_14default_configENS1_38merge_sort_block_merge_config_selectorIiNS0_10empty_typeEEEZZNS1_27merge_sort_block_merge_implIS3_PiPS5_jNS1_19radix_merge_compareILb1ELb1EiNS0_19identity_decomposerEEEEE10hipError_tT0_T1_T2_jT3_P12ihipStream_tbPNSt15iterator_traitsISE_E10value_typeEPNSK_ISF_E10value_typeEPSG_NS1_7vsmem_tEENKUlT_SE_SF_SG_E_clIS8_S8_S9_S9_EESD_ST_SE_SF_SG_EUlST_E1_NS1_11comp_targetILNS1_3genE10ELNS1_11target_archE1201ELNS1_3gpuE5ELNS1_3repE0EEENS1_36merge_oddeven_config_static_selectorELNS0_4arch9wavefront6targetE0EEEvSF_,@function
_ZN7rocprim17ROCPRIM_400000_NS6detail17trampoline_kernelINS0_14default_configENS1_38merge_sort_block_merge_config_selectorIiNS0_10empty_typeEEEZZNS1_27merge_sort_block_merge_implIS3_PiPS5_jNS1_19radix_merge_compareILb1ELb1EiNS0_19identity_decomposerEEEEE10hipError_tT0_T1_T2_jT3_P12ihipStream_tbPNSt15iterator_traitsISE_E10value_typeEPNSK_ISF_E10value_typeEPSG_NS1_7vsmem_tEENKUlT_SE_SF_SG_E_clIS8_S8_S9_S9_EESD_ST_SE_SF_SG_EUlST_E1_NS1_11comp_targetILNS1_3genE10ELNS1_11target_archE1201ELNS1_3gpuE5ELNS1_3repE0EEENS1_36merge_oddeven_config_static_selectorELNS0_4arch9wavefront6targetE0EEEvSF_: ; @_ZN7rocprim17ROCPRIM_400000_NS6detail17trampoline_kernelINS0_14default_configENS1_38merge_sort_block_merge_config_selectorIiNS0_10empty_typeEEEZZNS1_27merge_sort_block_merge_implIS3_PiPS5_jNS1_19radix_merge_compareILb1ELb1EiNS0_19identity_decomposerEEEEE10hipError_tT0_T1_T2_jT3_P12ihipStream_tbPNSt15iterator_traitsISE_E10value_typeEPNSK_ISF_E10value_typeEPSG_NS1_7vsmem_tEENKUlT_SE_SF_SG_E_clIS8_S8_S9_S9_EESD_ST_SE_SF_SG_EUlST_E1_NS1_11comp_targetILNS1_3genE10ELNS1_11target_archE1201ELNS1_3gpuE5ELNS1_3repE0EEENS1_36merge_oddeven_config_static_selectorELNS0_4arch9wavefront6targetE0EEEvSF_
; %bb.0:
	.section	.rodata,"a",@progbits
	.p2align	6, 0x0
	.amdhsa_kernel _ZN7rocprim17ROCPRIM_400000_NS6detail17trampoline_kernelINS0_14default_configENS1_38merge_sort_block_merge_config_selectorIiNS0_10empty_typeEEEZZNS1_27merge_sort_block_merge_implIS3_PiPS5_jNS1_19radix_merge_compareILb1ELb1EiNS0_19identity_decomposerEEEEE10hipError_tT0_T1_T2_jT3_P12ihipStream_tbPNSt15iterator_traitsISE_E10value_typeEPNSK_ISF_E10value_typeEPSG_NS1_7vsmem_tEENKUlT_SE_SF_SG_E_clIS8_S8_S9_S9_EESD_ST_SE_SF_SG_EUlST_E1_NS1_11comp_targetILNS1_3genE10ELNS1_11target_archE1201ELNS1_3gpuE5ELNS1_3repE0EEENS1_36merge_oddeven_config_static_selectorELNS0_4arch9wavefront6targetE0EEEvSF_
		.amdhsa_group_segment_fixed_size 0
		.amdhsa_private_segment_fixed_size 0
		.amdhsa_kernarg_size 48
		.amdhsa_user_sgpr_count 2
		.amdhsa_user_sgpr_dispatch_ptr 0
		.amdhsa_user_sgpr_queue_ptr 0
		.amdhsa_user_sgpr_kernarg_segment_ptr 1
		.amdhsa_user_sgpr_dispatch_id 0
		.amdhsa_user_sgpr_kernarg_preload_length 0
		.amdhsa_user_sgpr_kernarg_preload_offset 0
		.amdhsa_user_sgpr_private_segment_size 0
		.amdhsa_wavefront_size32 1
		.amdhsa_uses_dynamic_stack 0
		.amdhsa_enable_private_segment 0
		.amdhsa_system_sgpr_workgroup_id_x 1
		.amdhsa_system_sgpr_workgroup_id_y 0
		.amdhsa_system_sgpr_workgroup_id_z 0
		.amdhsa_system_sgpr_workgroup_info 0
		.amdhsa_system_vgpr_workitem_id 0
		.amdhsa_next_free_vgpr 1
		.amdhsa_next_free_sgpr 1
		.amdhsa_named_barrier_count 0
		.amdhsa_reserve_vcc 0
		.amdhsa_float_round_mode_32 0
		.amdhsa_float_round_mode_16_64 0
		.amdhsa_float_denorm_mode_32 3
		.amdhsa_float_denorm_mode_16_64 3
		.amdhsa_fp16_overflow 0
		.amdhsa_memory_ordered 1
		.amdhsa_forward_progress 1
		.amdhsa_inst_pref_size 0
		.amdhsa_round_robin_scheduling 0
		.amdhsa_exception_fp_ieee_invalid_op 0
		.amdhsa_exception_fp_denorm_src 0
		.amdhsa_exception_fp_ieee_div_zero 0
		.amdhsa_exception_fp_ieee_overflow 0
		.amdhsa_exception_fp_ieee_underflow 0
		.amdhsa_exception_fp_ieee_inexact 0
		.amdhsa_exception_int_div_zero 0
	.end_amdhsa_kernel
	.section	.text._ZN7rocprim17ROCPRIM_400000_NS6detail17trampoline_kernelINS0_14default_configENS1_38merge_sort_block_merge_config_selectorIiNS0_10empty_typeEEEZZNS1_27merge_sort_block_merge_implIS3_PiPS5_jNS1_19radix_merge_compareILb1ELb1EiNS0_19identity_decomposerEEEEE10hipError_tT0_T1_T2_jT3_P12ihipStream_tbPNSt15iterator_traitsISE_E10value_typeEPNSK_ISF_E10value_typeEPSG_NS1_7vsmem_tEENKUlT_SE_SF_SG_E_clIS8_S8_S9_S9_EESD_ST_SE_SF_SG_EUlST_E1_NS1_11comp_targetILNS1_3genE10ELNS1_11target_archE1201ELNS1_3gpuE5ELNS1_3repE0EEENS1_36merge_oddeven_config_static_selectorELNS0_4arch9wavefront6targetE0EEEvSF_,"axG",@progbits,_ZN7rocprim17ROCPRIM_400000_NS6detail17trampoline_kernelINS0_14default_configENS1_38merge_sort_block_merge_config_selectorIiNS0_10empty_typeEEEZZNS1_27merge_sort_block_merge_implIS3_PiPS5_jNS1_19radix_merge_compareILb1ELb1EiNS0_19identity_decomposerEEEEE10hipError_tT0_T1_T2_jT3_P12ihipStream_tbPNSt15iterator_traitsISE_E10value_typeEPNSK_ISF_E10value_typeEPSG_NS1_7vsmem_tEENKUlT_SE_SF_SG_E_clIS8_S8_S9_S9_EESD_ST_SE_SF_SG_EUlST_E1_NS1_11comp_targetILNS1_3genE10ELNS1_11target_archE1201ELNS1_3gpuE5ELNS1_3repE0EEENS1_36merge_oddeven_config_static_selectorELNS0_4arch9wavefront6targetE0EEEvSF_,comdat
.Lfunc_end816:
	.size	_ZN7rocprim17ROCPRIM_400000_NS6detail17trampoline_kernelINS0_14default_configENS1_38merge_sort_block_merge_config_selectorIiNS0_10empty_typeEEEZZNS1_27merge_sort_block_merge_implIS3_PiPS5_jNS1_19radix_merge_compareILb1ELb1EiNS0_19identity_decomposerEEEEE10hipError_tT0_T1_T2_jT3_P12ihipStream_tbPNSt15iterator_traitsISE_E10value_typeEPNSK_ISF_E10value_typeEPSG_NS1_7vsmem_tEENKUlT_SE_SF_SG_E_clIS8_S8_S9_S9_EESD_ST_SE_SF_SG_EUlST_E1_NS1_11comp_targetILNS1_3genE10ELNS1_11target_archE1201ELNS1_3gpuE5ELNS1_3repE0EEENS1_36merge_oddeven_config_static_selectorELNS0_4arch9wavefront6targetE0EEEvSF_, .Lfunc_end816-_ZN7rocprim17ROCPRIM_400000_NS6detail17trampoline_kernelINS0_14default_configENS1_38merge_sort_block_merge_config_selectorIiNS0_10empty_typeEEEZZNS1_27merge_sort_block_merge_implIS3_PiPS5_jNS1_19radix_merge_compareILb1ELb1EiNS0_19identity_decomposerEEEEE10hipError_tT0_T1_T2_jT3_P12ihipStream_tbPNSt15iterator_traitsISE_E10value_typeEPNSK_ISF_E10value_typeEPSG_NS1_7vsmem_tEENKUlT_SE_SF_SG_E_clIS8_S8_S9_S9_EESD_ST_SE_SF_SG_EUlST_E1_NS1_11comp_targetILNS1_3genE10ELNS1_11target_archE1201ELNS1_3gpuE5ELNS1_3repE0EEENS1_36merge_oddeven_config_static_selectorELNS0_4arch9wavefront6targetE0EEEvSF_
                                        ; -- End function
	.set _ZN7rocprim17ROCPRIM_400000_NS6detail17trampoline_kernelINS0_14default_configENS1_38merge_sort_block_merge_config_selectorIiNS0_10empty_typeEEEZZNS1_27merge_sort_block_merge_implIS3_PiPS5_jNS1_19radix_merge_compareILb1ELb1EiNS0_19identity_decomposerEEEEE10hipError_tT0_T1_T2_jT3_P12ihipStream_tbPNSt15iterator_traitsISE_E10value_typeEPNSK_ISF_E10value_typeEPSG_NS1_7vsmem_tEENKUlT_SE_SF_SG_E_clIS8_S8_S9_S9_EESD_ST_SE_SF_SG_EUlST_E1_NS1_11comp_targetILNS1_3genE10ELNS1_11target_archE1201ELNS1_3gpuE5ELNS1_3repE0EEENS1_36merge_oddeven_config_static_selectorELNS0_4arch9wavefront6targetE0EEEvSF_.num_vgpr, 0
	.set _ZN7rocprim17ROCPRIM_400000_NS6detail17trampoline_kernelINS0_14default_configENS1_38merge_sort_block_merge_config_selectorIiNS0_10empty_typeEEEZZNS1_27merge_sort_block_merge_implIS3_PiPS5_jNS1_19radix_merge_compareILb1ELb1EiNS0_19identity_decomposerEEEEE10hipError_tT0_T1_T2_jT3_P12ihipStream_tbPNSt15iterator_traitsISE_E10value_typeEPNSK_ISF_E10value_typeEPSG_NS1_7vsmem_tEENKUlT_SE_SF_SG_E_clIS8_S8_S9_S9_EESD_ST_SE_SF_SG_EUlST_E1_NS1_11comp_targetILNS1_3genE10ELNS1_11target_archE1201ELNS1_3gpuE5ELNS1_3repE0EEENS1_36merge_oddeven_config_static_selectorELNS0_4arch9wavefront6targetE0EEEvSF_.num_agpr, 0
	.set _ZN7rocprim17ROCPRIM_400000_NS6detail17trampoline_kernelINS0_14default_configENS1_38merge_sort_block_merge_config_selectorIiNS0_10empty_typeEEEZZNS1_27merge_sort_block_merge_implIS3_PiPS5_jNS1_19radix_merge_compareILb1ELb1EiNS0_19identity_decomposerEEEEE10hipError_tT0_T1_T2_jT3_P12ihipStream_tbPNSt15iterator_traitsISE_E10value_typeEPNSK_ISF_E10value_typeEPSG_NS1_7vsmem_tEENKUlT_SE_SF_SG_E_clIS8_S8_S9_S9_EESD_ST_SE_SF_SG_EUlST_E1_NS1_11comp_targetILNS1_3genE10ELNS1_11target_archE1201ELNS1_3gpuE5ELNS1_3repE0EEENS1_36merge_oddeven_config_static_selectorELNS0_4arch9wavefront6targetE0EEEvSF_.numbered_sgpr, 0
	.set _ZN7rocprim17ROCPRIM_400000_NS6detail17trampoline_kernelINS0_14default_configENS1_38merge_sort_block_merge_config_selectorIiNS0_10empty_typeEEEZZNS1_27merge_sort_block_merge_implIS3_PiPS5_jNS1_19radix_merge_compareILb1ELb1EiNS0_19identity_decomposerEEEEE10hipError_tT0_T1_T2_jT3_P12ihipStream_tbPNSt15iterator_traitsISE_E10value_typeEPNSK_ISF_E10value_typeEPSG_NS1_7vsmem_tEENKUlT_SE_SF_SG_E_clIS8_S8_S9_S9_EESD_ST_SE_SF_SG_EUlST_E1_NS1_11comp_targetILNS1_3genE10ELNS1_11target_archE1201ELNS1_3gpuE5ELNS1_3repE0EEENS1_36merge_oddeven_config_static_selectorELNS0_4arch9wavefront6targetE0EEEvSF_.num_named_barrier, 0
	.set _ZN7rocprim17ROCPRIM_400000_NS6detail17trampoline_kernelINS0_14default_configENS1_38merge_sort_block_merge_config_selectorIiNS0_10empty_typeEEEZZNS1_27merge_sort_block_merge_implIS3_PiPS5_jNS1_19radix_merge_compareILb1ELb1EiNS0_19identity_decomposerEEEEE10hipError_tT0_T1_T2_jT3_P12ihipStream_tbPNSt15iterator_traitsISE_E10value_typeEPNSK_ISF_E10value_typeEPSG_NS1_7vsmem_tEENKUlT_SE_SF_SG_E_clIS8_S8_S9_S9_EESD_ST_SE_SF_SG_EUlST_E1_NS1_11comp_targetILNS1_3genE10ELNS1_11target_archE1201ELNS1_3gpuE5ELNS1_3repE0EEENS1_36merge_oddeven_config_static_selectorELNS0_4arch9wavefront6targetE0EEEvSF_.private_seg_size, 0
	.set _ZN7rocprim17ROCPRIM_400000_NS6detail17trampoline_kernelINS0_14default_configENS1_38merge_sort_block_merge_config_selectorIiNS0_10empty_typeEEEZZNS1_27merge_sort_block_merge_implIS3_PiPS5_jNS1_19radix_merge_compareILb1ELb1EiNS0_19identity_decomposerEEEEE10hipError_tT0_T1_T2_jT3_P12ihipStream_tbPNSt15iterator_traitsISE_E10value_typeEPNSK_ISF_E10value_typeEPSG_NS1_7vsmem_tEENKUlT_SE_SF_SG_E_clIS8_S8_S9_S9_EESD_ST_SE_SF_SG_EUlST_E1_NS1_11comp_targetILNS1_3genE10ELNS1_11target_archE1201ELNS1_3gpuE5ELNS1_3repE0EEENS1_36merge_oddeven_config_static_selectorELNS0_4arch9wavefront6targetE0EEEvSF_.uses_vcc, 0
	.set _ZN7rocprim17ROCPRIM_400000_NS6detail17trampoline_kernelINS0_14default_configENS1_38merge_sort_block_merge_config_selectorIiNS0_10empty_typeEEEZZNS1_27merge_sort_block_merge_implIS3_PiPS5_jNS1_19radix_merge_compareILb1ELb1EiNS0_19identity_decomposerEEEEE10hipError_tT0_T1_T2_jT3_P12ihipStream_tbPNSt15iterator_traitsISE_E10value_typeEPNSK_ISF_E10value_typeEPSG_NS1_7vsmem_tEENKUlT_SE_SF_SG_E_clIS8_S8_S9_S9_EESD_ST_SE_SF_SG_EUlST_E1_NS1_11comp_targetILNS1_3genE10ELNS1_11target_archE1201ELNS1_3gpuE5ELNS1_3repE0EEENS1_36merge_oddeven_config_static_selectorELNS0_4arch9wavefront6targetE0EEEvSF_.uses_flat_scratch, 0
	.set _ZN7rocprim17ROCPRIM_400000_NS6detail17trampoline_kernelINS0_14default_configENS1_38merge_sort_block_merge_config_selectorIiNS0_10empty_typeEEEZZNS1_27merge_sort_block_merge_implIS3_PiPS5_jNS1_19radix_merge_compareILb1ELb1EiNS0_19identity_decomposerEEEEE10hipError_tT0_T1_T2_jT3_P12ihipStream_tbPNSt15iterator_traitsISE_E10value_typeEPNSK_ISF_E10value_typeEPSG_NS1_7vsmem_tEENKUlT_SE_SF_SG_E_clIS8_S8_S9_S9_EESD_ST_SE_SF_SG_EUlST_E1_NS1_11comp_targetILNS1_3genE10ELNS1_11target_archE1201ELNS1_3gpuE5ELNS1_3repE0EEENS1_36merge_oddeven_config_static_selectorELNS0_4arch9wavefront6targetE0EEEvSF_.has_dyn_sized_stack, 0
	.set _ZN7rocprim17ROCPRIM_400000_NS6detail17trampoline_kernelINS0_14default_configENS1_38merge_sort_block_merge_config_selectorIiNS0_10empty_typeEEEZZNS1_27merge_sort_block_merge_implIS3_PiPS5_jNS1_19radix_merge_compareILb1ELb1EiNS0_19identity_decomposerEEEEE10hipError_tT0_T1_T2_jT3_P12ihipStream_tbPNSt15iterator_traitsISE_E10value_typeEPNSK_ISF_E10value_typeEPSG_NS1_7vsmem_tEENKUlT_SE_SF_SG_E_clIS8_S8_S9_S9_EESD_ST_SE_SF_SG_EUlST_E1_NS1_11comp_targetILNS1_3genE10ELNS1_11target_archE1201ELNS1_3gpuE5ELNS1_3repE0EEENS1_36merge_oddeven_config_static_selectorELNS0_4arch9wavefront6targetE0EEEvSF_.has_recursion, 0
	.set _ZN7rocprim17ROCPRIM_400000_NS6detail17trampoline_kernelINS0_14default_configENS1_38merge_sort_block_merge_config_selectorIiNS0_10empty_typeEEEZZNS1_27merge_sort_block_merge_implIS3_PiPS5_jNS1_19radix_merge_compareILb1ELb1EiNS0_19identity_decomposerEEEEE10hipError_tT0_T1_T2_jT3_P12ihipStream_tbPNSt15iterator_traitsISE_E10value_typeEPNSK_ISF_E10value_typeEPSG_NS1_7vsmem_tEENKUlT_SE_SF_SG_E_clIS8_S8_S9_S9_EESD_ST_SE_SF_SG_EUlST_E1_NS1_11comp_targetILNS1_3genE10ELNS1_11target_archE1201ELNS1_3gpuE5ELNS1_3repE0EEENS1_36merge_oddeven_config_static_selectorELNS0_4arch9wavefront6targetE0EEEvSF_.has_indirect_call, 0
	.section	.AMDGPU.csdata,"",@progbits
; Kernel info:
; codeLenInByte = 0
; TotalNumSgprs: 0
; NumVgprs: 0
; ScratchSize: 0
; MemoryBound: 0
; FloatMode: 240
; IeeeMode: 1
; LDSByteSize: 0 bytes/workgroup (compile time only)
; SGPRBlocks: 0
; VGPRBlocks: 0
; NumSGPRsForWavesPerEU: 1
; NumVGPRsForWavesPerEU: 1
; NamedBarCnt: 0
; Occupancy: 16
; WaveLimiterHint : 0
; COMPUTE_PGM_RSRC2:SCRATCH_EN: 0
; COMPUTE_PGM_RSRC2:USER_SGPR: 2
; COMPUTE_PGM_RSRC2:TRAP_HANDLER: 0
; COMPUTE_PGM_RSRC2:TGID_X_EN: 1
; COMPUTE_PGM_RSRC2:TGID_Y_EN: 0
; COMPUTE_PGM_RSRC2:TGID_Z_EN: 0
; COMPUTE_PGM_RSRC2:TIDIG_COMP_CNT: 0
	.section	.text._ZN7rocprim17ROCPRIM_400000_NS6detail17trampoline_kernelINS0_14default_configENS1_38merge_sort_block_merge_config_selectorIiNS0_10empty_typeEEEZZNS1_27merge_sort_block_merge_implIS3_PiPS5_jNS1_19radix_merge_compareILb1ELb1EiNS0_19identity_decomposerEEEEE10hipError_tT0_T1_T2_jT3_P12ihipStream_tbPNSt15iterator_traitsISE_E10value_typeEPNSK_ISF_E10value_typeEPSG_NS1_7vsmem_tEENKUlT_SE_SF_SG_E_clIS8_S8_S9_S9_EESD_ST_SE_SF_SG_EUlST_E1_NS1_11comp_targetILNS1_3genE5ELNS1_11target_archE942ELNS1_3gpuE9ELNS1_3repE0EEENS1_36merge_oddeven_config_static_selectorELNS0_4arch9wavefront6targetE0EEEvSF_,"axG",@progbits,_ZN7rocprim17ROCPRIM_400000_NS6detail17trampoline_kernelINS0_14default_configENS1_38merge_sort_block_merge_config_selectorIiNS0_10empty_typeEEEZZNS1_27merge_sort_block_merge_implIS3_PiPS5_jNS1_19radix_merge_compareILb1ELb1EiNS0_19identity_decomposerEEEEE10hipError_tT0_T1_T2_jT3_P12ihipStream_tbPNSt15iterator_traitsISE_E10value_typeEPNSK_ISF_E10value_typeEPSG_NS1_7vsmem_tEENKUlT_SE_SF_SG_E_clIS8_S8_S9_S9_EESD_ST_SE_SF_SG_EUlST_E1_NS1_11comp_targetILNS1_3genE5ELNS1_11target_archE942ELNS1_3gpuE9ELNS1_3repE0EEENS1_36merge_oddeven_config_static_selectorELNS0_4arch9wavefront6targetE0EEEvSF_,comdat
	.protected	_ZN7rocprim17ROCPRIM_400000_NS6detail17trampoline_kernelINS0_14default_configENS1_38merge_sort_block_merge_config_selectorIiNS0_10empty_typeEEEZZNS1_27merge_sort_block_merge_implIS3_PiPS5_jNS1_19radix_merge_compareILb1ELb1EiNS0_19identity_decomposerEEEEE10hipError_tT0_T1_T2_jT3_P12ihipStream_tbPNSt15iterator_traitsISE_E10value_typeEPNSK_ISF_E10value_typeEPSG_NS1_7vsmem_tEENKUlT_SE_SF_SG_E_clIS8_S8_S9_S9_EESD_ST_SE_SF_SG_EUlST_E1_NS1_11comp_targetILNS1_3genE5ELNS1_11target_archE942ELNS1_3gpuE9ELNS1_3repE0EEENS1_36merge_oddeven_config_static_selectorELNS0_4arch9wavefront6targetE0EEEvSF_ ; -- Begin function _ZN7rocprim17ROCPRIM_400000_NS6detail17trampoline_kernelINS0_14default_configENS1_38merge_sort_block_merge_config_selectorIiNS0_10empty_typeEEEZZNS1_27merge_sort_block_merge_implIS3_PiPS5_jNS1_19radix_merge_compareILb1ELb1EiNS0_19identity_decomposerEEEEE10hipError_tT0_T1_T2_jT3_P12ihipStream_tbPNSt15iterator_traitsISE_E10value_typeEPNSK_ISF_E10value_typeEPSG_NS1_7vsmem_tEENKUlT_SE_SF_SG_E_clIS8_S8_S9_S9_EESD_ST_SE_SF_SG_EUlST_E1_NS1_11comp_targetILNS1_3genE5ELNS1_11target_archE942ELNS1_3gpuE9ELNS1_3repE0EEENS1_36merge_oddeven_config_static_selectorELNS0_4arch9wavefront6targetE0EEEvSF_
	.globl	_ZN7rocprim17ROCPRIM_400000_NS6detail17trampoline_kernelINS0_14default_configENS1_38merge_sort_block_merge_config_selectorIiNS0_10empty_typeEEEZZNS1_27merge_sort_block_merge_implIS3_PiPS5_jNS1_19radix_merge_compareILb1ELb1EiNS0_19identity_decomposerEEEEE10hipError_tT0_T1_T2_jT3_P12ihipStream_tbPNSt15iterator_traitsISE_E10value_typeEPNSK_ISF_E10value_typeEPSG_NS1_7vsmem_tEENKUlT_SE_SF_SG_E_clIS8_S8_S9_S9_EESD_ST_SE_SF_SG_EUlST_E1_NS1_11comp_targetILNS1_3genE5ELNS1_11target_archE942ELNS1_3gpuE9ELNS1_3repE0EEENS1_36merge_oddeven_config_static_selectorELNS0_4arch9wavefront6targetE0EEEvSF_
	.p2align	8
	.type	_ZN7rocprim17ROCPRIM_400000_NS6detail17trampoline_kernelINS0_14default_configENS1_38merge_sort_block_merge_config_selectorIiNS0_10empty_typeEEEZZNS1_27merge_sort_block_merge_implIS3_PiPS5_jNS1_19radix_merge_compareILb1ELb1EiNS0_19identity_decomposerEEEEE10hipError_tT0_T1_T2_jT3_P12ihipStream_tbPNSt15iterator_traitsISE_E10value_typeEPNSK_ISF_E10value_typeEPSG_NS1_7vsmem_tEENKUlT_SE_SF_SG_E_clIS8_S8_S9_S9_EESD_ST_SE_SF_SG_EUlST_E1_NS1_11comp_targetILNS1_3genE5ELNS1_11target_archE942ELNS1_3gpuE9ELNS1_3repE0EEENS1_36merge_oddeven_config_static_selectorELNS0_4arch9wavefront6targetE0EEEvSF_,@function
_ZN7rocprim17ROCPRIM_400000_NS6detail17trampoline_kernelINS0_14default_configENS1_38merge_sort_block_merge_config_selectorIiNS0_10empty_typeEEEZZNS1_27merge_sort_block_merge_implIS3_PiPS5_jNS1_19radix_merge_compareILb1ELb1EiNS0_19identity_decomposerEEEEE10hipError_tT0_T1_T2_jT3_P12ihipStream_tbPNSt15iterator_traitsISE_E10value_typeEPNSK_ISF_E10value_typeEPSG_NS1_7vsmem_tEENKUlT_SE_SF_SG_E_clIS8_S8_S9_S9_EESD_ST_SE_SF_SG_EUlST_E1_NS1_11comp_targetILNS1_3genE5ELNS1_11target_archE942ELNS1_3gpuE9ELNS1_3repE0EEENS1_36merge_oddeven_config_static_selectorELNS0_4arch9wavefront6targetE0EEEvSF_: ; @_ZN7rocprim17ROCPRIM_400000_NS6detail17trampoline_kernelINS0_14default_configENS1_38merge_sort_block_merge_config_selectorIiNS0_10empty_typeEEEZZNS1_27merge_sort_block_merge_implIS3_PiPS5_jNS1_19radix_merge_compareILb1ELb1EiNS0_19identity_decomposerEEEEE10hipError_tT0_T1_T2_jT3_P12ihipStream_tbPNSt15iterator_traitsISE_E10value_typeEPNSK_ISF_E10value_typeEPSG_NS1_7vsmem_tEENKUlT_SE_SF_SG_E_clIS8_S8_S9_S9_EESD_ST_SE_SF_SG_EUlST_E1_NS1_11comp_targetILNS1_3genE5ELNS1_11target_archE942ELNS1_3gpuE9ELNS1_3repE0EEENS1_36merge_oddeven_config_static_selectorELNS0_4arch9wavefront6targetE0EEEvSF_
; %bb.0:
	.section	.rodata,"a",@progbits
	.p2align	6, 0x0
	.amdhsa_kernel _ZN7rocprim17ROCPRIM_400000_NS6detail17trampoline_kernelINS0_14default_configENS1_38merge_sort_block_merge_config_selectorIiNS0_10empty_typeEEEZZNS1_27merge_sort_block_merge_implIS3_PiPS5_jNS1_19radix_merge_compareILb1ELb1EiNS0_19identity_decomposerEEEEE10hipError_tT0_T1_T2_jT3_P12ihipStream_tbPNSt15iterator_traitsISE_E10value_typeEPNSK_ISF_E10value_typeEPSG_NS1_7vsmem_tEENKUlT_SE_SF_SG_E_clIS8_S8_S9_S9_EESD_ST_SE_SF_SG_EUlST_E1_NS1_11comp_targetILNS1_3genE5ELNS1_11target_archE942ELNS1_3gpuE9ELNS1_3repE0EEENS1_36merge_oddeven_config_static_selectorELNS0_4arch9wavefront6targetE0EEEvSF_
		.amdhsa_group_segment_fixed_size 0
		.amdhsa_private_segment_fixed_size 0
		.amdhsa_kernarg_size 48
		.amdhsa_user_sgpr_count 2
		.amdhsa_user_sgpr_dispatch_ptr 0
		.amdhsa_user_sgpr_queue_ptr 0
		.amdhsa_user_sgpr_kernarg_segment_ptr 1
		.amdhsa_user_sgpr_dispatch_id 0
		.amdhsa_user_sgpr_kernarg_preload_length 0
		.amdhsa_user_sgpr_kernarg_preload_offset 0
		.amdhsa_user_sgpr_private_segment_size 0
		.amdhsa_wavefront_size32 1
		.amdhsa_uses_dynamic_stack 0
		.amdhsa_enable_private_segment 0
		.amdhsa_system_sgpr_workgroup_id_x 1
		.amdhsa_system_sgpr_workgroup_id_y 0
		.amdhsa_system_sgpr_workgroup_id_z 0
		.amdhsa_system_sgpr_workgroup_info 0
		.amdhsa_system_vgpr_workitem_id 0
		.amdhsa_next_free_vgpr 1
		.amdhsa_next_free_sgpr 1
		.amdhsa_named_barrier_count 0
		.amdhsa_reserve_vcc 0
		.amdhsa_float_round_mode_32 0
		.amdhsa_float_round_mode_16_64 0
		.amdhsa_float_denorm_mode_32 3
		.amdhsa_float_denorm_mode_16_64 3
		.amdhsa_fp16_overflow 0
		.amdhsa_memory_ordered 1
		.amdhsa_forward_progress 1
		.amdhsa_inst_pref_size 0
		.amdhsa_round_robin_scheduling 0
		.amdhsa_exception_fp_ieee_invalid_op 0
		.amdhsa_exception_fp_denorm_src 0
		.amdhsa_exception_fp_ieee_div_zero 0
		.amdhsa_exception_fp_ieee_overflow 0
		.amdhsa_exception_fp_ieee_underflow 0
		.amdhsa_exception_fp_ieee_inexact 0
		.amdhsa_exception_int_div_zero 0
	.end_amdhsa_kernel
	.section	.text._ZN7rocprim17ROCPRIM_400000_NS6detail17trampoline_kernelINS0_14default_configENS1_38merge_sort_block_merge_config_selectorIiNS0_10empty_typeEEEZZNS1_27merge_sort_block_merge_implIS3_PiPS5_jNS1_19radix_merge_compareILb1ELb1EiNS0_19identity_decomposerEEEEE10hipError_tT0_T1_T2_jT3_P12ihipStream_tbPNSt15iterator_traitsISE_E10value_typeEPNSK_ISF_E10value_typeEPSG_NS1_7vsmem_tEENKUlT_SE_SF_SG_E_clIS8_S8_S9_S9_EESD_ST_SE_SF_SG_EUlST_E1_NS1_11comp_targetILNS1_3genE5ELNS1_11target_archE942ELNS1_3gpuE9ELNS1_3repE0EEENS1_36merge_oddeven_config_static_selectorELNS0_4arch9wavefront6targetE0EEEvSF_,"axG",@progbits,_ZN7rocprim17ROCPRIM_400000_NS6detail17trampoline_kernelINS0_14default_configENS1_38merge_sort_block_merge_config_selectorIiNS0_10empty_typeEEEZZNS1_27merge_sort_block_merge_implIS3_PiPS5_jNS1_19radix_merge_compareILb1ELb1EiNS0_19identity_decomposerEEEEE10hipError_tT0_T1_T2_jT3_P12ihipStream_tbPNSt15iterator_traitsISE_E10value_typeEPNSK_ISF_E10value_typeEPSG_NS1_7vsmem_tEENKUlT_SE_SF_SG_E_clIS8_S8_S9_S9_EESD_ST_SE_SF_SG_EUlST_E1_NS1_11comp_targetILNS1_3genE5ELNS1_11target_archE942ELNS1_3gpuE9ELNS1_3repE0EEENS1_36merge_oddeven_config_static_selectorELNS0_4arch9wavefront6targetE0EEEvSF_,comdat
.Lfunc_end817:
	.size	_ZN7rocprim17ROCPRIM_400000_NS6detail17trampoline_kernelINS0_14default_configENS1_38merge_sort_block_merge_config_selectorIiNS0_10empty_typeEEEZZNS1_27merge_sort_block_merge_implIS3_PiPS5_jNS1_19radix_merge_compareILb1ELb1EiNS0_19identity_decomposerEEEEE10hipError_tT0_T1_T2_jT3_P12ihipStream_tbPNSt15iterator_traitsISE_E10value_typeEPNSK_ISF_E10value_typeEPSG_NS1_7vsmem_tEENKUlT_SE_SF_SG_E_clIS8_S8_S9_S9_EESD_ST_SE_SF_SG_EUlST_E1_NS1_11comp_targetILNS1_3genE5ELNS1_11target_archE942ELNS1_3gpuE9ELNS1_3repE0EEENS1_36merge_oddeven_config_static_selectorELNS0_4arch9wavefront6targetE0EEEvSF_, .Lfunc_end817-_ZN7rocprim17ROCPRIM_400000_NS6detail17trampoline_kernelINS0_14default_configENS1_38merge_sort_block_merge_config_selectorIiNS0_10empty_typeEEEZZNS1_27merge_sort_block_merge_implIS3_PiPS5_jNS1_19radix_merge_compareILb1ELb1EiNS0_19identity_decomposerEEEEE10hipError_tT0_T1_T2_jT3_P12ihipStream_tbPNSt15iterator_traitsISE_E10value_typeEPNSK_ISF_E10value_typeEPSG_NS1_7vsmem_tEENKUlT_SE_SF_SG_E_clIS8_S8_S9_S9_EESD_ST_SE_SF_SG_EUlST_E1_NS1_11comp_targetILNS1_3genE5ELNS1_11target_archE942ELNS1_3gpuE9ELNS1_3repE0EEENS1_36merge_oddeven_config_static_selectorELNS0_4arch9wavefront6targetE0EEEvSF_
                                        ; -- End function
	.set _ZN7rocprim17ROCPRIM_400000_NS6detail17trampoline_kernelINS0_14default_configENS1_38merge_sort_block_merge_config_selectorIiNS0_10empty_typeEEEZZNS1_27merge_sort_block_merge_implIS3_PiPS5_jNS1_19radix_merge_compareILb1ELb1EiNS0_19identity_decomposerEEEEE10hipError_tT0_T1_T2_jT3_P12ihipStream_tbPNSt15iterator_traitsISE_E10value_typeEPNSK_ISF_E10value_typeEPSG_NS1_7vsmem_tEENKUlT_SE_SF_SG_E_clIS8_S8_S9_S9_EESD_ST_SE_SF_SG_EUlST_E1_NS1_11comp_targetILNS1_3genE5ELNS1_11target_archE942ELNS1_3gpuE9ELNS1_3repE0EEENS1_36merge_oddeven_config_static_selectorELNS0_4arch9wavefront6targetE0EEEvSF_.num_vgpr, 0
	.set _ZN7rocprim17ROCPRIM_400000_NS6detail17trampoline_kernelINS0_14default_configENS1_38merge_sort_block_merge_config_selectorIiNS0_10empty_typeEEEZZNS1_27merge_sort_block_merge_implIS3_PiPS5_jNS1_19radix_merge_compareILb1ELb1EiNS0_19identity_decomposerEEEEE10hipError_tT0_T1_T2_jT3_P12ihipStream_tbPNSt15iterator_traitsISE_E10value_typeEPNSK_ISF_E10value_typeEPSG_NS1_7vsmem_tEENKUlT_SE_SF_SG_E_clIS8_S8_S9_S9_EESD_ST_SE_SF_SG_EUlST_E1_NS1_11comp_targetILNS1_3genE5ELNS1_11target_archE942ELNS1_3gpuE9ELNS1_3repE0EEENS1_36merge_oddeven_config_static_selectorELNS0_4arch9wavefront6targetE0EEEvSF_.num_agpr, 0
	.set _ZN7rocprim17ROCPRIM_400000_NS6detail17trampoline_kernelINS0_14default_configENS1_38merge_sort_block_merge_config_selectorIiNS0_10empty_typeEEEZZNS1_27merge_sort_block_merge_implIS3_PiPS5_jNS1_19radix_merge_compareILb1ELb1EiNS0_19identity_decomposerEEEEE10hipError_tT0_T1_T2_jT3_P12ihipStream_tbPNSt15iterator_traitsISE_E10value_typeEPNSK_ISF_E10value_typeEPSG_NS1_7vsmem_tEENKUlT_SE_SF_SG_E_clIS8_S8_S9_S9_EESD_ST_SE_SF_SG_EUlST_E1_NS1_11comp_targetILNS1_3genE5ELNS1_11target_archE942ELNS1_3gpuE9ELNS1_3repE0EEENS1_36merge_oddeven_config_static_selectorELNS0_4arch9wavefront6targetE0EEEvSF_.numbered_sgpr, 0
	.set _ZN7rocprim17ROCPRIM_400000_NS6detail17trampoline_kernelINS0_14default_configENS1_38merge_sort_block_merge_config_selectorIiNS0_10empty_typeEEEZZNS1_27merge_sort_block_merge_implIS3_PiPS5_jNS1_19radix_merge_compareILb1ELb1EiNS0_19identity_decomposerEEEEE10hipError_tT0_T1_T2_jT3_P12ihipStream_tbPNSt15iterator_traitsISE_E10value_typeEPNSK_ISF_E10value_typeEPSG_NS1_7vsmem_tEENKUlT_SE_SF_SG_E_clIS8_S8_S9_S9_EESD_ST_SE_SF_SG_EUlST_E1_NS1_11comp_targetILNS1_3genE5ELNS1_11target_archE942ELNS1_3gpuE9ELNS1_3repE0EEENS1_36merge_oddeven_config_static_selectorELNS0_4arch9wavefront6targetE0EEEvSF_.num_named_barrier, 0
	.set _ZN7rocprim17ROCPRIM_400000_NS6detail17trampoline_kernelINS0_14default_configENS1_38merge_sort_block_merge_config_selectorIiNS0_10empty_typeEEEZZNS1_27merge_sort_block_merge_implIS3_PiPS5_jNS1_19radix_merge_compareILb1ELb1EiNS0_19identity_decomposerEEEEE10hipError_tT0_T1_T2_jT3_P12ihipStream_tbPNSt15iterator_traitsISE_E10value_typeEPNSK_ISF_E10value_typeEPSG_NS1_7vsmem_tEENKUlT_SE_SF_SG_E_clIS8_S8_S9_S9_EESD_ST_SE_SF_SG_EUlST_E1_NS1_11comp_targetILNS1_3genE5ELNS1_11target_archE942ELNS1_3gpuE9ELNS1_3repE0EEENS1_36merge_oddeven_config_static_selectorELNS0_4arch9wavefront6targetE0EEEvSF_.private_seg_size, 0
	.set _ZN7rocprim17ROCPRIM_400000_NS6detail17trampoline_kernelINS0_14default_configENS1_38merge_sort_block_merge_config_selectorIiNS0_10empty_typeEEEZZNS1_27merge_sort_block_merge_implIS3_PiPS5_jNS1_19radix_merge_compareILb1ELb1EiNS0_19identity_decomposerEEEEE10hipError_tT0_T1_T2_jT3_P12ihipStream_tbPNSt15iterator_traitsISE_E10value_typeEPNSK_ISF_E10value_typeEPSG_NS1_7vsmem_tEENKUlT_SE_SF_SG_E_clIS8_S8_S9_S9_EESD_ST_SE_SF_SG_EUlST_E1_NS1_11comp_targetILNS1_3genE5ELNS1_11target_archE942ELNS1_3gpuE9ELNS1_3repE0EEENS1_36merge_oddeven_config_static_selectorELNS0_4arch9wavefront6targetE0EEEvSF_.uses_vcc, 0
	.set _ZN7rocprim17ROCPRIM_400000_NS6detail17trampoline_kernelINS0_14default_configENS1_38merge_sort_block_merge_config_selectorIiNS0_10empty_typeEEEZZNS1_27merge_sort_block_merge_implIS3_PiPS5_jNS1_19radix_merge_compareILb1ELb1EiNS0_19identity_decomposerEEEEE10hipError_tT0_T1_T2_jT3_P12ihipStream_tbPNSt15iterator_traitsISE_E10value_typeEPNSK_ISF_E10value_typeEPSG_NS1_7vsmem_tEENKUlT_SE_SF_SG_E_clIS8_S8_S9_S9_EESD_ST_SE_SF_SG_EUlST_E1_NS1_11comp_targetILNS1_3genE5ELNS1_11target_archE942ELNS1_3gpuE9ELNS1_3repE0EEENS1_36merge_oddeven_config_static_selectorELNS0_4arch9wavefront6targetE0EEEvSF_.uses_flat_scratch, 0
	.set _ZN7rocprim17ROCPRIM_400000_NS6detail17trampoline_kernelINS0_14default_configENS1_38merge_sort_block_merge_config_selectorIiNS0_10empty_typeEEEZZNS1_27merge_sort_block_merge_implIS3_PiPS5_jNS1_19radix_merge_compareILb1ELb1EiNS0_19identity_decomposerEEEEE10hipError_tT0_T1_T2_jT3_P12ihipStream_tbPNSt15iterator_traitsISE_E10value_typeEPNSK_ISF_E10value_typeEPSG_NS1_7vsmem_tEENKUlT_SE_SF_SG_E_clIS8_S8_S9_S9_EESD_ST_SE_SF_SG_EUlST_E1_NS1_11comp_targetILNS1_3genE5ELNS1_11target_archE942ELNS1_3gpuE9ELNS1_3repE0EEENS1_36merge_oddeven_config_static_selectorELNS0_4arch9wavefront6targetE0EEEvSF_.has_dyn_sized_stack, 0
	.set _ZN7rocprim17ROCPRIM_400000_NS6detail17trampoline_kernelINS0_14default_configENS1_38merge_sort_block_merge_config_selectorIiNS0_10empty_typeEEEZZNS1_27merge_sort_block_merge_implIS3_PiPS5_jNS1_19radix_merge_compareILb1ELb1EiNS0_19identity_decomposerEEEEE10hipError_tT0_T1_T2_jT3_P12ihipStream_tbPNSt15iterator_traitsISE_E10value_typeEPNSK_ISF_E10value_typeEPSG_NS1_7vsmem_tEENKUlT_SE_SF_SG_E_clIS8_S8_S9_S9_EESD_ST_SE_SF_SG_EUlST_E1_NS1_11comp_targetILNS1_3genE5ELNS1_11target_archE942ELNS1_3gpuE9ELNS1_3repE0EEENS1_36merge_oddeven_config_static_selectorELNS0_4arch9wavefront6targetE0EEEvSF_.has_recursion, 0
	.set _ZN7rocprim17ROCPRIM_400000_NS6detail17trampoline_kernelINS0_14default_configENS1_38merge_sort_block_merge_config_selectorIiNS0_10empty_typeEEEZZNS1_27merge_sort_block_merge_implIS3_PiPS5_jNS1_19radix_merge_compareILb1ELb1EiNS0_19identity_decomposerEEEEE10hipError_tT0_T1_T2_jT3_P12ihipStream_tbPNSt15iterator_traitsISE_E10value_typeEPNSK_ISF_E10value_typeEPSG_NS1_7vsmem_tEENKUlT_SE_SF_SG_E_clIS8_S8_S9_S9_EESD_ST_SE_SF_SG_EUlST_E1_NS1_11comp_targetILNS1_3genE5ELNS1_11target_archE942ELNS1_3gpuE9ELNS1_3repE0EEENS1_36merge_oddeven_config_static_selectorELNS0_4arch9wavefront6targetE0EEEvSF_.has_indirect_call, 0
	.section	.AMDGPU.csdata,"",@progbits
; Kernel info:
; codeLenInByte = 0
; TotalNumSgprs: 0
; NumVgprs: 0
; ScratchSize: 0
; MemoryBound: 0
; FloatMode: 240
; IeeeMode: 1
; LDSByteSize: 0 bytes/workgroup (compile time only)
; SGPRBlocks: 0
; VGPRBlocks: 0
; NumSGPRsForWavesPerEU: 1
; NumVGPRsForWavesPerEU: 1
; NamedBarCnt: 0
; Occupancy: 16
; WaveLimiterHint : 0
; COMPUTE_PGM_RSRC2:SCRATCH_EN: 0
; COMPUTE_PGM_RSRC2:USER_SGPR: 2
; COMPUTE_PGM_RSRC2:TRAP_HANDLER: 0
; COMPUTE_PGM_RSRC2:TGID_X_EN: 1
; COMPUTE_PGM_RSRC2:TGID_Y_EN: 0
; COMPUTE_PGM_RSRC2:TGID_Z_EN: 0
; COMPUTE_PGM_RSRC2:TIDIG_COMP_CNT: 0
	.section	.text._ZN7rocprim17ROCPRIM_400000_NS6detail17trampoline_kernelINS0_14default_configENS1_38merge_sort_block_merge_config_selectorIiNS0_10empty_typeEEEZZNS1_27merge_sort_block_merge_implIS3_PiPS5_jNS1_19radix_merge_compareILb1ELb1EiNS0_19identity_decomposerEEEEE10hipError_tT0_T1_T2_jT3_P12ihipStream_tbPNSt15iterator_traitsISE_E10value_typeEPNSK_ISF_E10value_typeEPSG_NS1_7vsmem_tEENKUlT_SE_SF_SG_E_clIS8_S8_S9_S9_EESD_ST_SE_SF_SG_EUlST_E1_NS1_11comp_targetILNS1_3genE4ELNS1_11target_archE910ELNS1_3gpuE8ELNS1_3repE0EEENS1_36merge_oddeven_config_static_selectorELNS0_4arch9wavefront6targetE0EEEvSF_,"axG",@progbits,_ZN7rocprim17ROCPRIM_400000_NS6detail17trampoline_kernelINS0_14default_configENS1_38merge_sort_block_merge_config_selectorIiNS0_10empty_typeEEEZZNS1_27merge_sort_block_merge_implIS3_PiPS5_jNS1_19radix_merge_compareILb1ELb1EiNS0_19identity_decomposerEEEEE10hipError_tT0_T1_T2_jT3_P12ihipStream_tbPNSt15iterator_traitsISE_E10value_typeEPNSK_ISF_E10value_typeEPSG_NS1_7vsmem_tEENKUlT_SE_SF_SG_E_clIS8_S8_S9_S9_EESD_ST_SE_SF_SG_EUlST_E1_NS1_11comp_targetILNS1_3genE4ELNS1_11target_archE910ELNS1_3gpuE8ELNS1_3repE0EEENS1_36merge_oddeven_config_static_selectorELNS0_4arch9wavefront6targetE0EEEvSF_,comdat
	.protected	_ZN7rocprim17ROCPRIM_400000_NS6detail17trampoline_kernelINS0_14default_configENS1_38merge_sort_block_merge_config_selectorIiNS0_10empty_typeEEEZZNS1_27merge_sort_block_merge_implIS3_PiPS5_jNS1_19radix_merge_compareILb1ELb1EiNS0_19identity_decomposerEEEEE10hipError_tT0_T1_T2_jT3_P12ihipStream_tbPNSt15iterator_traitsISE_E10value_typeEPNSK_ISF_E10value_typeEPSG_NS1_7vsmem_tEENKUlT_SE_SF_SG_E_clIS8_S8_S9_S9_EESD_ST_SE_SF_SG_EUlST_E1_NS1_11comp_targetILNS1_3genE4ELNS1_11target_archE910ELNS1_3gpuE8ELNS1_3repE0EEENS1_36merge_oddeven_config_static_selectorELNS0_4arch9wavefront6targetE0EEEvSF_ ; -- Begin function _ZN7rocprim17ROCPRIM_400000_NS6detail17trampoline_kernelINS0_14default_configENS1_38merge_sort_block_merge_config_selectorIiNS0_10empty_typeEEEZZNS1_27merge_sort_block_merge_implIS3_PiPS5_jNS1_19radix_merge_compareILb1ELb1EiNS0_19identity_decomposerEEEEE10hipError_tT0_T1_T2_jT3_P12ihipStream_tbPNSt15iterator_traitsISE_E10value_typeEPNSK_ISF_E10value_typeEPSG_NS1_7vsmem_tEENKUlT_SE_SF_SG_E_clIS8_S8_S9_S9_EESD_ST_SE_SF_SG_EUlST_E1_NS1_11comp_targetILNS1_3genE4ELNS1_11target_archE910ELNS1_3gpuE8ELNS1_3repE0EEENS1_36merge_oddeven_config_static_selectorELNS0_4arch9wavefront6targetE0EEEvSF_
	.globl	_ZN7rocprim17ROCPRIM_400000_NS6detail17trampoline_kernelINS0_14default_configENS1_38merge_sort_block_merge_config_selectorIiNS0_10empty_typeEEEZZNS1_27merge_sort_block_merge_implIS3_PiPS5_jNS1_19radix_merge_compareILb1ELb1EiNS0_19identity_decomposerEEEEE10hipError_tT0_T1_T2_jT3_P12ihipStream_tbPNSt15iterator_traitsISE_E10value_typeEPNSK_ISF_E10value_typeEPSG_NS1_7vsmem_tEENKUlT_SE_SF_SG_E_clIS8_S8_S9_S9_EESD_ST_SE_SF_SG_EUlST_E1_NS1_11comp_targetILNS1_3genE4ELNS1_11target_archE910ELNS1_3gpuE8ELNS1_3repE0EEENS1_36merge_oddeven_config_static_selectorELNS0_4arch9wavefront6targetE0EEEvSF_
	.p2align	8
	.type	_ZN7rocprim17ROCPRIM_400000_NS6detail17trampoline_kernelINS0_14default_configENS1_38merge_sort_block_merge_config_selectorIiNS0_10empty_typeEEEZZNS1_27merge_sort_block_merge_implIS3_PiPS5_jNS1_19radix_merge_compareILb1ELb1EiNS0_19identity_decomposerEEEEE10hipError_tT0_T1_T2_jT3_P12ihipStream_tbPNSt15iterator_traitsISE_E10value_typeEPNSK_ISF_E10value_typeEPSG_NS1_7vsmem_tEENKUlT_SE_SF_SG_E_clIS8_S8_S9_S9_EESD_ST_SE_SF_SG_EUlST_E1_NS1_11comp_targetILNS1_3genE4ELNS1_11target_archE910ELNS1_3gpuE8ELNS1_3repE0EEENS1_36merge_oddeven_config_static_selectorELNS0_4arch9wavefront6targetE0EEEvSF_,@function
_ZN7rocprim17ROCPRIM_400000_NS6detail17trampoline_kernelINS0_14default_configENS1_38merge_sort_block_merge_config_selectorIiNS0_10empty_typeEEEZZNS1_27merge_sort_block_merge_implIS3_PiPS5_jNS1_19radix_merge_compareILb1ELb1EiNS0_19identity_decomposerEEEEE10hipError_tT0_T1_T2_jT3_P12ihipStream_tbPNSt15iterator_traitsISE_E10value_typeEPNSK_ISF_E10value_typeEPSG_NS1_7vsmem_tEENKUlT_SE_SF_SG_E_clIS8_S8_S9_S9_EESD_ST_SE_SF_SG_EUlST_E1_NS1_11comp_targetILNS1_3genE4ELNS1_11target_archE910ELNS1_3gpuE8ELNS1_3repE0EEENS1_36merge_oddeven_config_static_selectorELNS0_4arch9wavefront6targetE0EEEvSF_: ; @_ZN7rocprim17ROCPRIM_400000_NS6detail17trampoline_kernelINS0_14default_configENS1_38merge_sort_block_merge_config_selectorIiNS0_10empty_typeEEEZZNS1_27merge_sort_block_merge_implIS3_PiPS5_jNS1_19radix_merge_compareILb1ELb1EiNS0_19identity_decomposerEEEEE10hipError_tT0_T1_T2_jT3_P12ihipStream_tbPNSt15iterator_traitsISE_E10value_typeEPNSK_ISF_E10value_typeEPSG_NS1_7vsmem_tEENKUlT_SE_SF_SG_E_clIS8_S8_S9_S9_EESD_ST_SE_SF_SG_EUlST_E1_NS1_11comp_targetILNS1_3genE4ELNS1_11target_archE910ELNS1_3gpuE8ELNS1_3repE0EEENS1_36merge_oddeven_config_static_selectorELNS0_4arch9wavefront6targetE0EEEvSF_
; %bb.0:
	.section	.rodata,"a",@progbits
	.p2align	6, 0x0
	.amdhsa_kernel _ZN7rocprim17ROCPRIM_400000_NS6detail17trampoline_kernelINS0_14default_configENS1_38merge_sort_block_merge_config_selectorIiNS0_10empty_typeEEEZZNS1_27merge_sort_block_merge_implIS3_PiPS5_jNS1_19radix_merge_compareILb1ELb1EiNS0_19identity_decomposerEEEEE10hipError_tT0_T1_T2_jT3_P12ihipStream_tbPNSt15iterator_traitsISE_E10value_typeEPNSK_ISF_E10value_typeEPSG_NS1_7vsmem_tEENKUlT_SE_SF_SG_E_clIS8_S8_S9_S9_EESD_ST_SE_SF_SG_EUlST_E1_NS1_11comp_targetILNS1_3genE4ELNS1_11target_archE910ELNS1_3gpuE8ELNS1_3repE0EEENS1_36merge_oddeven_config_static_selectorELNS0_4arch9wavefront6targetE0EEEvSF_
		.amdhsa_group_segment_fixed_size 0
		.amdhsa_private_segment_fixed_size 0
		.amdhsa_kernarg_size 48
		.amdhsa_user_sgpr_count 2
		.amdhsa_user_sgpr_dispatch_ptr 0
		.amdhsa_user_sgpr_queue_ptr 0
		.amdhsa_user_sgpr_kernarg_segment_ptr 1
		.amdhsa_user_sgpr_dispatch_id 0
		.amdhsa_user_sgpr_kernarg_preload_length 0
		.amdhsa_user_sgpr_kernarg_preload_offset 0
		.amdhsa_user_sgpr_private_segment_size 0
		.amdhsa_wavefront_size32 1
		.amdhsa_uses_dynamic_stack 0
		.amdhsa_enable_private_segment 0
		.amdhsa_system_sgpr_workgroup_id_x 1
		.amdhsa_system_sgpr_workgroup_id_y 0
		.amdhsa_system_sgpr_workgroup_id_z 0
		.amdhsa_system_sgpr_workgroup_info 0
		.amdhsa_system_vgpr_workitem_id 0
		.amdhsa_next_free_vgpr 1
		.amdhsa_next_free_sgpr 1
		.amdhsa_named_barrier_count 0
		.amdhsa_reserve_vcc 0
		.amdhsa_float_round_mode_32 0
		.amdhsa_float_round_mode_16_64 0
		.amdhsa_float_denorm_mode_32 3
		.amdhsa_float_denorm_mode_16_64 3
		.amdhsa_fp16_overflow 0
		.amdhsa_memory_ordered 1
		.amdhsa_forward_progress 1
		.amdhsa_inst_pref_size 0
		.amdhsa_round_robin_scheduling 0
		.amdhsa_exception_fp_ieee_invalid_op 0
		.amdhsa_exception_fp_denorm_src 0
		.amdhsa_exception_fp_ieee_div_zero 0
		.amdhsa_exception_fp_ieee_overflow 0
		.amdhsa_exception_fp_ieee_underflow 0
		.amdhsa_exception_fp_ieee_inexact 0
		.amdhsa_exception_int_div_zero 0
	.end_amdhsa_kernel
	.section	.text._ZN7rocprim17ROCPRIM_400000_NS6detail17trampoline_kernelINS0_14default_configENS1_38merge_sort_block_merge_config_selectorIiNS0_10empty_typeEEEZZNS1_27merge_sort_block_merge_implIS3_PiPS5_jNS1_19radix_merge_compareILb1ELb1EiNS0_19identity_decomposerEEEEE10hipError_tT0_T1_T2_jT3_P12ihipStream_tbPNSt15iterator_traitsISE_E10value_typeEPNSK_ISF_E10value_typeEPSG_NS1_7vsmem_tEENKUlT_SE_SF_SG_E_clIS8_S8_S9_S9_EESD_ST_SE_SF_SG_EUlST_E1_NS1_11comp_targetILNS1_3genE4ELNS1_11target_archE910ELNS1_3gpuE8ELNS1_3repE0EEENS1_36merge_oddeven_config_static_selectorELNS0_4arch9wavefront6targetE0EEEvSF_,"axG",@progbits,_ZN7rocprim17ROCPRIM_400000_NS6detail17trampoline_kernelINS0_14default_configENS1_38merge_sort_block_merge_config_selectorIiNS0_10empty_typeEEEZZNS1_27merge_sort_block_merge_implIS3_PiPS5_jNS1_19radix_merge_compareILb1ELb1EiNS0_19identity_decomposerEEEEE10hipError_tT0_T1_T2_jT3_P12ihipStream_tbPNSt15iterator_traitsISE_E10value_typeEPNSK_ISF_E10value_typeEPSG_NS1_7vsmem_tEENKUlT_SE_SF_SG_E_clIS8_S8_S9_S9_EESD_ST_SE_SF_SG_EUlST_E1_NS1_11comp_targetILNS1_3genE4ELNS1_11target_archE910ELNS1_3gpuE8ELNS1_3repE0EEENS1_36merge_oddeven_config_static_selectorELNS0_4arch9wavefront6targetE0EEEvSF_,comdat
.Lfunc_end818:
	.size	_ZN7rocprim17ROCPRIM_400000_NS6detail17trampoline_kernelINS0_14default_configENS1_38merge_sort_block_merge_config_selectorIiNS0_10empty_typeEEEZZNS1_27merge_sort_block_merge_implIS3_PiPS5_jNS1_19radix_merge_compareILb1ELb1EiNS0_19identity_decomposerEEEEE10hipError_tT0_T1_T2_jT3_P12ihipStream_tbPNSt15iterator_traitsISE_E10value_typeEPNSK_ISF_E10value_typeEPSG_NS1_7vsmem_tEENKUlT_SE_SF_SG_E_clIS8_S8_S9_S9_EESD_ST_SE_SF_SG_EUlST_E1_NS1_11comp_targetILNS1_3genE4ELNS1_11target_archE910ELNS1_3gpuE8ELNS1_3repE0EEENS1_36merge_oddeven_config_static_selectorELNS0_4arch9wavefront6targetE0EEEvSF_, .Lfunc_end818-_ZN7rocprim17ROCPRIM_400000_NS6detail17trampoline_kernelINS0_14default_configENS1_38merge_sort_block_merge_config_selectorIiNS0_10empty_typeEEEZZNS1_27merge_sort_block_merge_implIS3_PiPS5_jNS1_19radix_merge_compareILb1ELb1EiNS0_19identity_decomposerEEEEE10hipError_tT0_T1_T2_jT3_P12ihipStream_tbPNSt15iterator_traitsISE_E10value_typeEPNSK_ISF_E10value_typeEPSG_NS1_7vsmem_tEENKUlT_SE_SF_SG_E_clIS8_S8_S9_S9_EESD_ST_SE_SF_SG_EUlST_E1_NS1_11comp_targetILNS1_3genE4ELNS1_11target_archE910ELNS1_3gpuE8ELNS1_3repE0EEENS1_36merge_oddeven_config_static_selectorELNS0_4arch9wavefront6targetE0EEEvSF_
                                        ; -- End function
	.set _ZN7rocprim17ROCPRIM_400000_NS6detail17trampoline_kernelINS0_14default_configENS1_38merge_sort_block_merge_config_selectorIiNS0_10empty_typeEEEZZNS1_27merge_sort_block_merge_implIS3_PiPS5_jNS1_19radix_merge_compareILb1ELb1EiNS0_19identity_decomposerEEEEE10hipError_tT0_T1_T2_jT3_P12ihipStream_tbPNSt15iterator_traitsISE_E10value_typeEPNSK_ISF_E10value_typeEPSG_NS1_7vsmem_tEENKUlT_SE_SF_SG_E_clIS8_S8_S9_S9_EESD_ST_SE_SF_SG_EUlST_E1_NS1_11comp_targetILNS1_3genE4ELNS1_11target_archE910ELNS1_3gpuE8ELNS1_3repE0EEENS1_36merge_oddeven_config_static_selectorELNS0_4arch9wavefront6targetE0EEEvSF_.num_vgpr, 0
	.set _ZN7rocprim17ROCPRIM_400000_NS6detail17trampoline_kernelINS0_14default_configENS1_38merge_sort_block_merge_config_selectorIiNS0_10empty_typeEEEZZNS1_27merge_sort_block_merge_implIS3_PiPS5_jNS1_19radix_merge_compareILb1ELb1EiNS0_19identity_decomposerEEEEE10hipError_tT0_T1_T2_jT3_P12ihipStream_tbPNSt15iterator_traitsISE_E10value_typeEPNSK_ISF_E10value_typeEPSG_NS1_7vsmem_tEENKUlT_SE_SF_SG_E_clIS8_S8_S9_S9_EESD_ST_SE_SF_SG_EUlST_E1_NS1_11comp_targetILNS1_3genE4ELNS1_11target_archE910ELNS1_3gpuE8ELNS1_3repE0EEENS1_36merge_oddeven_config_static_selectorELNS0_4arch9wavefront6targetE0EEEvSF_.num_agpr, 0
	.set _ZN7rocprim17ROCPRIM_400000_NS6detail17trampoline_kernelINS0_14default_configENS1_38merge_sort_block_merge_config_selectorIiNS0_10empty_typeEEEZZNS1_27merge_sort_block_merge_implIS3_PiPS5_jNS1_19radix_merge_compareILb1ELb1EiNS0_19identity_decomposerEEEEE10hipError_tT0_T1_T2_jT3_P12ihipStream_tbPNSt15iterator_traitsISE_E10value_typeEPNSK_ISF_E10value_typeEPSG_NS1_7vsmem_tEENKUlT_SE_SF_SG_E_clIS8_S8_S9_S9_EESD_ST_SE_SF_SG_EUlST_E1_NS1_11comp_targetILNS1_3genE4ELNS1_11target_archE910ELNS1_3gpuE8ELNS1_3repE0EEENS1_36merge_oddeven_config_static_selectorELNS0_4arch9wavefront6targetE0EEEvSF_.numbered_sgpr, 0
	.set _ZN7rocprim17ROCPRIM_400000_NS6detail17trampoline_kernelINS0_14default_configENS1_38merge_sort_block_merge_config_selectorIiNS0_10empty_typeEEEZZNS1_27merge_sort_block_merge_implIS3_PiPS5_jNS1_19radix_merge_compareILb1ELb1EiNS0_19identity_decomposerEEEEE10hipError_tT0_T1_T2_jT3_P12ihipStream_tbPNSt15iterator_traitsISE_E10value_typeEPNSK_ISF_E10value_typeEPSG_NS1_7vsmem_tEENKUlT_SE_SF_SG_E_clIS8_S8_S9_S9_EESD_ST_SE_SF_SG_EUlST_E1_NS1_11comp_targetILNS1_3genE4ELNS1_11target_archE910ELNS1_3gpuE8ELNS1_3repE0EEENS1_36merge_oddeven_config_static_selectorELNS0_4arch9wavefront6targetE0EEEvSF_.num_named_barrier, 0
	.set _ZN7rocprim17ROCPRIM_400000_NS6detail17trampoline_kernelINS0_14default_configENS1_38merge_sort_block_merge_config_selectorIiNS0_10empty_typeEEEZZNS1_27merge_sort_block_merge_implIS3_PiPS5_jNS1_19radix_merge_compareILb1ELb1EiNS0_19identity_decomposerEEEEE10hipError_tT0_T1_T2_jT3_P12ihipStream_tbPNSt15iterator_traitsISE_E10value_typeEPNSK_ISF_E10value_typeEPSG_NS1_7vsmem_tEENKUlT_SE_SF_SG_E_clIS8_S8_S9_S9_EESD_ST_SE_SF_SG_EUlST_E1_NS1_11comp_targetILNS1_3genE4ELNS1_11target_archE910ELNS1_3gpuE8ELNS1_3repE0EEENS1_36merge_oddeven_config_static_selectorELNS0_4arch9wavefront6targetE0EEEvSF_.private_seg_size, 0
	.set _ZN7rocprim17ROCPRIM_400000_NS6detail17trampoline_kernelINS0_14default_configENS1_38merge_sort_block_merge_config_selectorIiNS0_10empty_typeEEEZZNS1_27merge_sort_block_merge_implIS3_PiPS5_jNS1_19radix_merge_compareILb1ELb1EiNS0_19identity_decomposerEEEEE10hipError_tT0_T1_T2_jT3_P12ihipStream_tbPNSt15iterator_traitsISE_E10value_typeEPNSK_ISF_E10value_typeEPSG_NS1_7vsmem_tEENKUlT_SE_SF_SG_E_clIS8_S8_S9_S9_EESD_ST_SE_SF_SG_EUlST_E1_NS1_11comp_targetILNS1_3genE4ELNS1_11target_archE910ELNS1_3gpuE8ELNS1_3repE0EEENS1_36merge_oddeven_config_static_selectorELNS0_4arch9wavefront6targetE0EEEvSF_.uses_vcc, 0
	.set _ZN7rocprim17ROCPRIM_400000_NS6detail17trampoline_kernelINS0_14default_configENS1_38merge_sort_block_merge_config_selectorIiNS0_10empty_typeEEEZZNS1_27merge_sort_block_merge_implIS3_PiPS5_jNS1_19radix_merge_compareILb1ELb1EiNS0_19identity_decomposerEEEEE10hipError_tT0_T1_T2_jT3_P12ihipStream_tbPNSt15iterator_traitsISE_E10value_typeEPNSK_ISF_E10value_typeEPSG_NS1_7vsmem_tEENKUlT_SE_SF_SG_E_clIS8_S8_S9_S9_EESD_ST_SE_SF_SG_EUlST_E1_NS1_11comp_targetILNS1_3genE4ELNS1_11target_archE910ELNS1_3gpuE8ELNS1_3repE0EEENS1_36merge_oddeven_config_static_selectorELNS0_4arch9wavefront6targetE0EEEvSF_.uses_flat_scratch, 0
	.set _ZN7rocprim17ROCPRIM_400000_NS6detail17trampoline_kernelINS0_14default_configENS1_38merge_sort_block_merge_config_selectorIiNS0_10empty_typeEEEZZNS1_27merge_sort_block_merge_implIS3_PiPS5_jNS1_19radix_merge_compareILb1ELb1EiNS0_19identity_decomposerEEEEE10hipError_tT0_T1_T2_jT3_P12ihipStream_tbPNSt15iterator_traitsISE_E10value_typeEPNSK_ISF_E10value_typeEPSG_NS1_7vsmem_tEENKUlT_SE_SF_SG_E_clIS8_S8_S9_S9_EESD_ST_SE_SF_SG_EUlST_E1_NS1_11comp_targetILNS1_3genE4ELNS1_11target_archE910ELNS1_3gpuE8ELNS1_3repE0EEENS1_36merge_oddeven_config_static_selectorELNS0_4arch9wavefront6targetE0EEEvSF_.has_dyn_sized_stack, 0
	.set _ZN7rocprim17ROCPRIM_400000_NS6detail17trampoline_kernelINS0_14default_configENS1_38merge_sort_block_merge_config_selectorIiNS0_10empty_typeEEEZZNS1_27merge_sort_block_merge_implIS3_PiPS5_jNS1_19radix_merge_compareILb1ELb1EiNS0_19identity_decomposerEEEEE10hipError_tT0_T1_T2_jT3_P12ihipStream_tbPNSt15iterator_traitsISE_E10value_typeEPNSK_ISF_E10value_typeEPSG_NS1_7vsmem_tEENKUlT_SE_SF_SG_E_clIS8_S8_S9_S9_EESD_ST_SE_SF_SG_EUlST_E1_NS1_11comp_targetILNS1_3genE4ELNS1_11target_archE910ELNS1_3gpuE8ELNS1_3repE0EEENS1_36merge_oddeven_config_static_selectorELNS0_4arch9wavefront6targetE0EEEvSF_.has_recursion, 0
	.set _ZN7rocprim17ROCPRIM_400000_NS6detail17trampoline_kernelINS0_14default_configENS1_38merge_sort_block_merge_config_selectorIiNS0_10empty_typeEEEZZNS1_27merge_sort_block_merge_implIS3_PiPS5_jNS1_19radix_merge_compareILb1ELb1EiNS0_19identity_decomposerEEEEE10hipError_tT0_T1_T2_jT3_P12ihipStream_tbPNSt15iterator_traitsISE_E10value_typeEPNSK_ISF_E10value_typeEPSG_NS1_7vsmem_tEENKUlT_SE_SF_SG_E_clIS8_S8_S9_S9_EESD_ST_SE_SF_SG_EUlST_E1_NS1_11comp_targetILNS1_3genE4ELNS1_11target_archE910ELNS1_3gpuE8ELNS1_3repE0EEENS1_36merge_oddeven_config_static_selectorELNS0_4arch9wavefront6targetE0EEEvSF_.has_indirect_call, 0
	.section	.AMDGPU.csdata,"",@progbits
; Kernel info:
; codeLenInByte = 0
; TotalNumSgprs: 0
; NumVgprs: 0
; ScratchSize: 0
; MemoryBound: 0
; FloatMode: 240
; IeeeMode: 1
; LDSByteSize: 0 bytes/workgroup (compile time only)
; SGPRBlocks: 0
; VGPRBlocks: 0
; NumSGPRsForWavesPerEU: 1
; NumVGPRsForWavesPerEU: 1
; NamedBarCnt: 0
; Occupancy: 16
; WaveLimiterHint : 0
; COMPUTE_PGM_RSRC2:SCRATCH_EN: 0
; COMPUTE_PGM_RSRC2:USER_SGPR: 2
; COMPUTE_PGM_RSRC2:TRAP_HANDLER: 0
; COMPUTE_PGM_RSRC2:TGID_X_EN: 1
; COMPUTE_PGM_RSRC2:TGID_Y_EN: 0
; COMPUTE_PGM_RSRC2:TGID_Z_EN: 0
; COMPUTE_PGM_RSRC2:TIDIG_COMP_CNT: 0
	.section	.text._ZN7rocprim17ROCPRIM_400000_NS6detail17trampoline_kernelINS0_14default_configENS1_38merge_sort_block_merge_config_selectorIiNS0_10empty_typeEEEZZNS1_27merge_sort_block_merge_implIS3_PiPS5_jNS1_19radix_merge_compareILb1ELb1EiNS0_19identity_decomposerEEEEE10hipError_tT0_T1_T2_jT3_P12ihipStream_tbPNSt15iterator_traitsISE_E10value_typeEPNSK_ISF_E10value_typeEPSG_NS1_7vsmem_tEENKUlT_SE_SF_SG_E_clIS8_S8_S9_S9_EESD_ST_SE_SF_SG_EUlST_E1_NS1_11comp_targetILNS1_3genE3ELNS1_11target_archE908ELNS1_3gpuE7ELNS1_3repE0EEENS1_36merge_oddeven_config_static_selectorELNS0_4arch9wavefront6targetE0EEEvSF_,"axG",@progbits,_ZN7rocprim17ROCPRIM_400000_NS6detail17trampoline_kernelINS0_14default_configENS1_38merge_sort_block_merge_config_selectorIiNS0_10empty_typeEEEZZNS1_27merge_sort_block_merge_implIS3_PiPS5_jNS1_19radix_merge_compareILb1ELb1EiNS0_19identity_decomposerEEEEE10hipError_tT0_T1_T2_jT3_P12ihipStream_tbPNSt15iterator_traitsISE_E10value_typeEPNSK_ISF_E10value_typeEPSG_NS1_7vsmem_tEENKUlT_SE_SF_SG_E_clIS8_S8_S9_S9_EESD_ST_SE_SF_SG_EUlST_E1_NS1_11comp_targetILNS1_3genE3ELNS1_11target_archE908ELNS1_3gpuE7ELNS1_3repE0EEENS1_36merge_oddeven_config_static_selectorELNS0_4arch9wavefront6targetE0EEEvSF_,comdat
	.protected	_ZN7rocprim17ROCPRIM_400000_NS6detail17trampoline_kernelINS0_14default_configENS1_38merge_sort_block_merge_config_selectorIiNS0_10empty_typeEEEZZNS1_27merge_sort_block_merge_implIS3_PiPS5_jNS1_19radix_merge_compareILb1ELb1EiNS0_19identity_decomposerEEEEE10hipError_tT0_T1_T2_jT3_P12ihipStream_tbPNSt15iterator_traitsISE_E10value_typeEPNSK_ISF_E10value_typeEPSG_NS1_7vsmem_tEENKUlT_SE_SF_SG_E_clIS8_S8_S9_S9_EESD_ST_SE_SF_SG_EUlST_E1_NS1_11comp_targetILNS1_3genE3ELNS1_11target_archE908ELNS1_3gpuE7ELNS1_3repE0EEENS1_36merge_oddeven_config_static_selectorELNS0_4arch9wavefront6targetE0EEEvSF_ ; -- Begin function _ZN7rocprim17ROCPRIM_400000_NS6detail17trampoline_kernelINS0_14default_configENS1_38merge_sort_block_merge_config_selectorIiNS0_10empty_typeEEEZZNS1_27merge_sort_block_merge_implIS3_PiPS5_jNS1_19radix_merge_compareILb1ELb1EiNS0_19identity_decomposerEEEEE10hipError_tT0_T1_T2_jT3_P12ihipStream_tbPNSt15iterator_traitsISE_E10value_typeEPNSK_ISF_E10value_typeEPSG_NS1_7vsmem_tEENKUlT_SE_SF_SG_E_clIS8_S8_S9_S9_EESD_ST_SE_SF_SG_EUlST_E1_NS1_11comp_targetILNS1_3genE3ELNS1_11target_archE908ELNS1_3gpuE7ELNS1_3repE0EEENS1_36merge_oddeven_config_static_selectorELNS0_4arch9wavefront6targetE0EEEvSF_
	.globl	_ZN7rocprim17ROCPRIM_400000_NS6detail17trampoline_kernelINS0_14default_configENS1_38merge_sort_block_merge_config_selectorIiNS0_10empty_typeEEEZZNS1_27merge_sort_block_merge_implIS3_PiPS5_jNS1_19radix_merge_compareILb1ELb1EiNS0_19identity_decomposerEEEEE10hipError_tT0_T1_T2_jT3_P12ihipStream_tbPNSt15iterator_traitsISE_E10value_typeEPNSK_ISF_E10value_typeEPSG_NS1_7vsmem_tEENKUlT_SE_SF_SG_E_clIS8_S8_S9_S9_EESD_ST_SE_SF_SG_EUlST_E1_NS1_11comp_targetILNS1_3genE3ELNS1_11target_archE908ELNS1_3gpuE7ELNS1_3repE0EEENS1_36merge_oddeven_config_static_selectorELNS0_4arch9wavefront6targetE0EEEvSF_
	.p2align	8
	.type	_ZN7rocprim17ROCPRIM_400000_NS6detail17trampoline_kernelINS0_14default_configENS1_38merge_sort_block_merge_config_selectorIiNS0_10empty_typeEEEZZNS1_27merge_sort_block_merge_implIS3_PiPS5_jNS1_19radix_merge_compareILb1ELb1EiNS0_19identity_decomposerEEEEE10hipError_tT0_T1_T2_jT3_P12ihipStream_tbPNSt15iterator_traitsISE_E10value_typeEPNSK_ISF_E10value_typeEPSG_NS1_7vsmem_tEENKUlT_SE_SF_SG_E_clIS8_S8_S9_S9_EESD_ST_SE_SF_SG_EUlST_E1_NS1_11comp_targetILNS1_3genE3ELNS1_11target_archE908ELNS1_3gpuE7ELNS1_3repE0EEENS1_36merge_oddeven_config_static_selectorELNS0_4arch9wavefront6targetE0EEEvSF_,@function
_ZN7rocprim17ROCPRIM_400000_NS6detail17trampoline_kernelINS0_14default_configENS1_38merge_sort_block_merge_config_selectorIiNS0_10empty_typeEEEZZNS1_27merge_sort_block_merge_implIS3_PiPS5_jNS1_19radix_merge_compareILb1ELb1EiNS0_19identity_decomposerEEEEE10hipError_tT0_T1_T2_jT3_P12ihipStream_tbPNSt15iterator_traitsISE_E10value_typeEPNSK_ISF_E10value_typeEPSG_NS1_7vsmem_tEENKUlT_SE_SF_SG_E_clIS8_S8_S9_S9_EESD_ST_SE_SF_SG_EUlST_E1_NS1_11comp_targetILNS1_3genE3ELNS1_11target_archE908ELNS1_3gpuE7ELNS1_3repE0EEENS1_36merge_oddeven_config_static_selectorELNS0_4arch9wavefront6targetE0EEEvSF_: ; @_ZN7rocprim17ROCPRIM_400000_NS6detail17trampoline_kernelINS0_14default_configENS1_38merge_sort_block_merge_config_selectorIiNS0_10empty_typeEEEZZNS1_27merge_sort_block_merge_implIS3_PiPS5_jNS1_19radix_merge_compareILb1ELb1EiNS0_19identity_decomposerEEEEE10hipError_tT0_T1_T2_jT3_P12ihipStream_tbPNSt15iterator_traitsISE_E10value_typeEPNSK_ISF_E10value_typeEPSG_NS1_7vsmem_tEENKUlT_SE_SF_SG_E_clIS8_S8_S9_S9_EESD_ST_SE_SF_SG_EUlST_E1_NS1_11comp_targetILNS1_3genE3ELNS1_11target_archE908ELNS1_3gpuE7ELNS1_3repE0EEENS1_36merge_oddeven_config_static_selectorELNS0_4arch9wavefront6targetE0EEEvSF_
; %bb.0:
	.section	.rodata,"a",@progbits
	.p2align	6, 0x0
	.amdhsa_kernel _ZN7rocprim17ROCPRIM_400000_NS6detail17trampoline_kernelINS0_14default_configENS1_38merge_sort_block_merge_config_selectorIiNS0_10empty_typeEEEZZNS1_27merge_sort_block_merge_implIS3_PiPS5_jNS1_19radix_merge_compareILb1ELb1EiNS0_19identity_decomposerEEEEE10hipError_tT0_T1_T2_jT3_P12ihipStream_tbPNSt15iterator_traitsISE_E10value_typeEPNSK_ISF_E10value_typeEPSG_NS1_7vsmem_tEENKUlT_SE_SF_SG_E_clIS8_S8_S9_S9_EESD_ST_SE_SF_SG_EUlST_E1_NS1_11comp_targetILNS1_3genE3ELNS1_11target_archE908ELNS1_3gpuE7ELNS1_3repE0EEENS1_36merge_oddeven_config_static_selectorELNS0_4arch9wavefront6targetE0EEEvSF_
		.amdhsa_group_segment_fixed_size 0
		.amdhsa_private_segment_fixed_size 0
		.amdhsa_kernarg_size 48
		.amdhsa_user_sgpr_count 2
		.amdhsa_user_sgpr_dispatch_ptr 0
		.amdhsa_user_sgpr_queue_ptr 0
		.amdhsa_user_sgpr_kernarg_segment_ptr 1
		.amdhsa_user_sgpr_dispatch_id 0
		.amdhsa_user_sgpr_kernarg_preload_length 0
		.amdhsa_user_sgpr_kernarg_preload_offset 0
		.amdhsa_user_sgpr_private_segment_size 0
		.amdhsa_wavefront_size32 1
		.amdhsa_uses_dynamic_stack 0
		.amdhsa_enable_private_segment 0
		.amdhsa_system_sgpr_workgroup_id_x 1
		.amdhsa_system_sgpr_workgroup_id_y 0
		.amdhsa_system_sgpr_workgroup_id_z 0
		.amdhsa_system_sgpr_workgroup_info 0
		.amdhsa_system_vgpr_workitem_id 0
		.amdhsa_next_free_vgpr 1
		.amdhsa_next_free_sgpr 1
		.amdhsa_named_barrier_count 0
		.amdhsa_reserve_vcc 0
		.amdhsa_float_round_mode_32 0
		.amdhsa_float_round_mode_16_64 0
		.amdhsa_float_denorm_mode_32 3
		.amdhsa_float_denorm_mode_16_64 3
		.amdhsa_fp16_overflow 0
		.amdhsa_memory_ordered 1
		.amdhsa_forward_progress 1
		.amdhsa_inst_pref_size 0
		.amdhsa_round_robin_scheduling 0
		.amdhsa_exception_fp_ieee_invalid_op 0
		.amdhsa_exception_fp_denorm_src 0
		.amdhsa_exception_fp_ieee_div_zero 0
		.amdhsa_exception_fp_ieee_overflow 0
		.amdhsa_exception_fp_ieee_underflow 0
		.amdhsa_exception_fp_ieee_inexact 0
		.amdhsa_exception_int_div_zero 0
	.end_amdhsa_kernel
	.section	.text._ZN7rocprim17ROCPRIM_400000_NS6detail17trampoline_kernelINS0_14default_configENS1_38merge_sort_block_merge_config_selectorIiNS0_10empty_typeEEEZZNS1_27merge_sort_block_merge_implIS3_PiPS5_jNS1_19radix_merge_compareILb1ELb1EiNS0_19identity_decomposerEEEEE10hipError_tT0_T1_T2_jT3_P12ihipStream_tbPNSt15iterator_traitsISE_E10value_typeEPNSK_ISF_E10value_typeEPSG_NS1_7vsmem_tEENKUlT_SE_SF_SG_E_clIS8_S8_S9_S9_EESD_ST_SE_SF_SG_EUlST_E1_NS1_11comp_targetILNS1_3genE3ELNS1_11target_archE908ELNS1_3gpuE7ELNS1_3repE0EEENS1_36merge_oddeven_config_static_selectorELNS0_4arch9wavefront6targetE0EEEvSF_,"axG",@progbits,_ZN7rocprim17ROCPRIM_400000_NS6detail17trampoline_kernelINS0_14default_configENS1_38merge_sort_block_merge_config_selectorIiNS0_10empty_typeEEEZZNS1_27merge_sort_block_merge_implIS3_PiPS5_jNS1_19radix_merge_compareILb1ELb1EiNS0_19identity_decomposerEEEEE10hipError_tT0_T1_T2_jT3_P12ihipStream_tbPNSt15iterator_traitsISE_E10value_typeEPNSK_ISF_E10value_typeEPSG_NS1_7vsmem_tEENKUlT_SE_SF_SG_E_clIS8_S8_S9_S9_EESD_ST_SE_SF_SG_EUlST_E1_NS1_11comp_targetILNS1_3genE3ELNS1_11target_archE908ELNS1_3gpuE7ELNS1_3repE0EEENS1_36merge_oddeven_config_static_selectorELNS0_4arch9wavefront6targetE0EEEvSF_,comdat
.Lfunc_end819:
	.size	_ZN7rocprim17ROCPRIM_400000_NS6detail17trampoline_kernelINS0_14default_configENS1_38merge_sort_block_merge_config_selectorIiNS0_10empty_typeEEEZZNS1_27merge_sort_block_merge_implIS3_PiPS5_jNS1_19radix_merge_compareILb1ELb1EiNS0_19identity_decomposerEEEEE10hipError_tT0_T1_T2_jT3_P12ihipStream_tbPNSt15iterator_traitsISE_E10value_typeEPNSK_ISF_E10value_typeEPSG_NS1_7vsmem_tEENKUlT_SE_SF_SG_E_clIS8_S8_S9_S9_EESD_ST_SE_SF_SG_EUlST_E1_NS1_11comp_targetILNS1_3genE3ELNS1_11target_archE908ELNS1_3gpuE7ELNS1_3repE0EEENS1_36merge_oddeven_config_static_selectorELNS0_4arch9wavefront6targetE0EEEvSF_, .Lfunc_end819-_ZN7rocprim17ROCPRIM_400000_NS6detail17trampoline_kernelINS0_14default_configENS1_38merge_sort_block_merge_config_selectorIiNS0_10empty_typeEEEZZNS1_27merge_sort_block_merge_implIS3_PiPS5_jNS1_19radix_merge_compareILb1ELb1EiNS0_19identity_decomposerEEEEE10hipError_tT0_T1_T2_jT3_P12ihipStream_tbPNSt15iterator_traitsISE_E10value_typeEPNSK_ISF_E10value_typeEPSG_NS1_7vsmem_tEENKUlT_SE_SF_SG_E_clIS8_S8_S9_S9_EESD_ST_SE_SF_SG_EUlST_E1_NS1_11comp_targetILNS1_3genE3ELNS1_11target_archE908ELNS1_3gpuE7ELNS1_3repE0EEENS1_36merge_oddeven_config_static_selectorELNS0_4arch9wavefront6targetE0EEEvSF_
                                        ; -- End function
	.set _ZN7rocprim17ROCPRIM_400000_NS6detail17trampoline_kernelINS0_14default_configENS1_38merge_sort_block_merge_config_selectorIiNS0_10empty_typeEEEZZNS1_27merge_sort_block_merge_implIS3_PiPS5_jNS1_19radix_merge_compareILb1ELb1EiNS0_19identity_decomposerEEEEE10hipError_tT0_T1_T2_jT3_P12ihipStream_tbPNSt15iterator_traitsISE_E10value_typeEPNSK_ISF_E10value_typeEPSG_NS1_7vsmem_tEENKUlT_SE_SF_SG_E_clIS8_S8_S9_S9_EESD_ST_SE_SF_SG_EUlST_E1_NS1_11comp_targetILNS1_3genE3ELNS1_11target_archE908ELNS1_3gpuE7ELNS1_3repE0EEENS1_36merge_oddeven_config_static_selectorELNS0_4arch9wavefront6targetE0EEEvSF_.num_vgpr, 0
	.set _ZN7rocprim17ROCPRIM_400000_NS6detail17trampoline_kernelINS0_14default_configENS1_38merge_sort_block_merge_config_selectorIiNS0_10empty_typeEEEZZNS1_27merge_sort_block_merge_implIS3_PiPS5_jNS1_19radix_merge_compareILb1ELb1EiNS0_19identity_decomposerEEEEE10hipError_tT0_T1_T2_jT3_P12ihipStream_tbPNSt15iterator_traitsISE_E10value_typeEPNSK_ISF_E10value_typeEPSG_NS1_7vsmem_tEENKUlT_SE_SF_SG_E_clIS8_S8_S9_S9_EESD_ST_SE_SF_SG_EUlST_E1_NS1_11comp_targetILNS1_3genE3ELNS1_11target_archE908ELNS1_3gpuE7ELNS1_3repE0EEENS1_36merge_oddeven_config_static_selectorELNS0_4arch9wavefront6targetE0EEEvSF_.num_agpr, 0
	.set _ZN7rocprim17ROCPRIM_400000_NS6detail17trampoline_kernelINS0_14default_configENS1_38merge_sort_block_merge_config_selectorIiNS0_10empty_typeEEEZZNS1_27merge_sort_block_merge_implIS3_PiPS5_jNS1_19radix_merge_compareILb1ELb1EiNS0_19identity_decomposerEEEEE10hipError_tT0_T1_T2_jT3_P12ihipStream_tbPNSt15iterator_traitsISE_E10value_typeEPNSK_ISF_E10value_typeEPSG_NS1_7vsmem_tEENKUlT_SE_SF_SG_E_clIS8_S8_S9_S9_EESD_ST_SE_SF_SG_EUlST_E1_NS1_11comp_targetILNS1_3genE3ELNS1_11target_archE908ELNS1_3gpuE7ELNS1_3repE0EEENS1_36merge_oddeven_config_static_selectorELNS0_4arch9wavefront6targetE0EEEvSF_.numbered_sgpr, 0
	.set _ZN7rocprim17ROCPRIM_400000_NS6detail17trampoline_kernelINS0_14default_configENS1_38merge_sort_block_merge_config_selectorIiNS0_10empty_typeEEEZZNS1_27merge_sort_block_merge_implIS3_PiPS5_jNS1_19radix_merge_compareILb1ELb1EiNS0_19identity_decomposerEEEEE10hipError_tT0_T1_T2_jT3_P12ihipStream_tbPNSt15iterator_traitsISE_E10value_typeEPNSK_ISF_E10value_typeEPSG_NS1_7vsmem_tEENKUlT_SE_SF_SG_E_clIS8_S8_S9_S9_EESD_ST_SE_SF_SG_EUlST_E1_NS1_11comp_targetILNS1_3genE3ELNS1_11target_archE908ELNS1_3gpuE7ELNS1_3repE0EEENS1_36merge_oddeven_config_static_selectorELNS0_4arch9wavefront6targetE0EEEvSF_.num_named_barrier, 0
	.set _ZN7rocprim17ROCPRIM_400000_NS6detail17trampoline_kernelINS0_14default_configENS1_38merge_sort_block_merge_config_selectorIiNS0_10empty_typeEEEZZNS1_27merge_sort_block_merge_implIS3_PiPS5_jNS1_19radix_merge_compareILb1ELb1EiNS0_19identity_decomposerEEEEE10hipError_tT0_T1_T2_jT3_P12ihipStream_tbPNSt15iterator_traitsISE_E10value_typeEPNSK_ISF_E10value_typeEPSG_NS1_7vsmem_tEENKUlT_SE_SF_SG_E_clIS8_S8_S9_S9_EESD_ST_SE_SF_SG_EUlST_E1_NS1_11comp_targetILNS1_3genE3ELNS1_11target_archE908ELNS1_3gpuE7ELNS1_3repE0EEENS1_36merge_oddeven_config_static_selectorELNS0_4arch9wavefront6targetE0EEEvSF_.private_seg_size, 0
	.set _ZN7rocprim17ROCPRIM_400000_NS6detail17trampoline_kernelINS0_14default_configENS1_38merge_sort_block_merge_config_selectorIiNS0_10empty_typeEEEZZNS1_27merge_sort_block_merge_implIS3_PiPS5_jNS1_19radix_merge_compareILb1ELb1EiNS0_19identity_decomposerEEEEE10hipError_tT0_T1_T2_jT3_P12ihipStream_tbPNSt15iterator_traitsISE_E10value_typeEPNSK_ISF_E10value_typeEPSG_NS1_7vsmem_tEENKUlT_SE_SF_SG_E_clIS8_S8_S9_S9_EESD_ST_SE_SF_SG_EUlST_E1_NS1_11comp_targetILNS1_3genE3ELNS1_11target_archE908ELNS1_3gpuE7ELNS1_3repE0EEENS1_36merge_oddeven_config_static_selectorELNS0_4arch9wavefront6targetE0EEEvSF_.uses_vcc, 0
	.set _ZN7rocprim17ROCPRIM_400000_NS6detail17trampoline_kernelINS0_14default_configENS1_38merge_sort_block_merge_config_selectorIiNS0_10empty_typeEEEZZNS1_27merge_sort_block_merge_implIS3_PiPS5_jNS1_19radix_merge_compareILb1ELb1EiNS0_19identity_decomposerEEEEE10hipError_tT0_T1_T2_jT3_P12ihipStream_tbPNSt15iterator_traitsISE_E10value_typeEPNSK_ISF_E10value_typeEPSG_NS1_7vsmem_tEENKUlT_SE_SF_SG_E_clIS8_S8_S9_S9_EESD_ST_SE_SF_SG_EUlST_E1_NS1_11comp_targetILNS1_3genE3ELNS1_11target_archE908ELNS1_3gpuE7ELNS1_3repE0EEENS1_36merge_oddeven_config_static_selectorELNS0_4arch9wavefront6targetE0EEEvSF_.uses_flat_scratch, 0
	.set _ZN7rocprim17ROCPRIM_400000_NS6detail17trampoline_kernelINS0_14default_configENS1_38merge_sort_block_merge_config_selectorIiNS0_10empty_typeEEEZZNS1_27merge_sort_block_merge_implIS3_PiPS5_jNS1_19radix_merge_compareILb1ELb1EiNS0_19identity_decomposerEEEEE10hipError_tT0_T1_T2_jT3_P12ihipStream_tbPNSt15iterator_traitsISE_E10value_typeEPNSK_ISF_E10value_typeEPSG_NS1_7vsmem_tEENKUlT_SE_SF_SG_E_clIS8_S8_S9_S9_EESD_ST_SE_SF_SG_EUlST_E1_NS1_11comp_targetILNS1_3genE3ELNS1_11target_archE908ELNS1_3gpuE7ELNS1_3repE0EEENS1_36merge_oddeven_config_static_selectorELNS0_4arch9wavefront6targetE0EEEvSF_.has_dyn_sized_stack, 0
	.set _ZN7rocprim17ROCPRIM_400000_NS6detail17trampoline_kernelINS0_14default_configENS1_38merge_sort_block_merge_config_selectorIiNS0_10empty_typeEEEZZNS1_27merge_sort_block_merge_implIS3_PiPS5_jNS1_19radix_merge_compareILb1ELb1EiNS0_19identity_decomposerEEEEE10hipError_tT0_T1_T2_jT3_P12ihipStream_tbPNSt15iterator_traitsISE_E10value_typeEPNSK_ISF_E10value_typeEPSG_NS1_7vsmem_tEENKUlT_SE_SF_SG_E_clIS8_S8_S9_S9_EESD_ST_SE_SF_SG_EUlST_E1_NS1_11comp_targetILNS1_3genE3ELNS1_11target_archE908ELNS1_3gpuE7ELNS1_3repE0EEENS1_36merge_oddeven_config_static_selectorELNS0_4arch9wavefront6targetE0EEEvSF_.has_recursion, 0
	.set _ZN7rocprim17ROCPRIM_400000_NS6detail17trampoline_kernelINS0_14default_configENS1_38merge_sort_block_merge_config_selectorIiNS0_10empty_typeEEEZZNS1_27merge_sort_block_merge_implIS3_PiPS5_jNS1_19radix_merge_compareILb1ELb1EiNS0_19identity_decomposerEEEEE10hipError_tT0_T1_T2_jT3_P12ihipStream_tbPNSt15iterator_traitsISE_E10value_typeEPNSK_ISF_E10value_typeEPSG_NS1_7vsmem_tEENKUlT_SE_SF_SG_E_clIS8_S8_S9_S9_EESD_ST_SE_SF_SG_EUlST_E1_NS1_11comp_targetILNS1_3genE3ELNS1_11target_archE908ELNS1_3gpuE7ELNS1_3repE0EEENS1_36merge_oddeven_config_static_selectorELNS0_4arch9wavefront6targetE0EEEvSF_.has_indirect_call, 0
	.section	.AMDGPU.csdata,"",@progbits
; Kernel info:
; codeLenInByte = 0
; TotalNumSgprs: 0
; NumVgprs: 0
; ScratchSize: 0
; MemoryBound: 0
; FloatMode: 240
; IeeeMode: 1
; LDSByteSize: 0 bytes/workgroup (compile time only)
; SGPRBlocks: 0
; VGPRBlocks: 0
; NumSGPRsForWavesPerEU: 1
; NumVGPRsForWavesPerEU: 1
; NamedBarCnt: 0
; Occupancy: 16
; WaveLimiterHint : 0
; COMPUTE_PGM_RSRC2:SCRATCH_EN: 0
; COMPUTE_PGM_RSRC2:USER_SGPR: 2
; COMPUTE_PGM_RSRC2:TRAP_HANDLER: 0
; COMPUTE_PGM_RSRC2:TGID_X_EN: 1
; COMPUTE_PGM_RSRC2:TGID_Y_EN: 0
; COMPUTE_PGM_RSRC2:TGID_Z_EN: 0
; COMPUTE_PGM_RSRC2:TIDIG_COMP_CNT: 0
	.section	.text._ZN7rocprim17ROCPRIM_400000_NS6detail17trampoline_kernelINS0_14default_configENS1_38merge_sort_block_merge_config_selectorIiNS0_10empty_typeEEEZZNS1_27merge_sort_block_merge_implIS3_PiPS5_jNS1_19radix_merge_compareILb1ELb1EiNS0_19identity_decomposerEEEEE10hipError_tT0_T1_T2_jT3_P12ihipStream_tbPNSt15iterator_traitsISE_E10value_typeEPNSK_ISF_E10value_typeEPSG_NS1_7vsmem_tEENKUlT_SE_SF_SG_E_clIS8_S8_S9_S9_EESD_ST_SE_SF_SG_EUlST_E1_NS1_11comp_targetILNS1_3genE2ELNS1_11target_archE906ELNS1_3gpuE6ELNS1_3repE0EEENS1_36merge_oddeven_config_static_selectorELNS0_4arch9wavefront6targetE0EEEvSF_,"axG",@progbits,_ZN7rocprim17ROCPRIM_400000_NS6detail17trampoline_kernelINS0_14default_configENS1_38merge_sort_block_merge_config_selectorIiNS0_10empty_typeEEEZZNS1_27merge_sort_block_merge_implIS3_PiPS5_jNS1_19radix_merge_compareILb1ELb1EiNS0_19identity_decomposerEEEEE10hipError_tT0_T1_T2_jT3_P12ihipStream_tbPNSt15iterator_traitsISE_E10value_typeEPNSK_ISF_E10value_typeEPSG_NS1_7vsmem_tEENKUlT_SE_SF_SG_E_clIS8_S8_S9_S9_EESD_ST_SE_SF_SG_EUlST_E1_NS1_11comp_targetILNS1_3genE2ELNS1_11target_archE906ELNS1_3gpuE6ELNS1_3repE0EEENS1_36merge_oddeven_config_static_selectorELNS0_4arch9wavefront6targetE0EEEvSF_,comdat
	.protected	_ZN7rocprim17ROCPRIM_400000_NS6detail17trampoline_kernelINS0_14default_configENS1_38merge_sort_block_merge_config_selectorIiNS0_10empty_typeEEEZZNS1_27merge_sort_block_merge_implIS3_PiPS5_jNS1_19radix_merge_compareILb1ELb1EiNS0_19identity_decomposerEEEEE10hipError_tT0_T1_T2_jT3_P12ihipStream_tbPNSt15iterator_traitsISE_E10value_typeEPNSK_ISF_E10value_typeEPSG_NS1_7vsmem_tEENKUlT_SE_SF_SG_E_clIS8_S8_S9_S9_EESD_ST_SE_SF_SG_EUlST_E1_NS1_11comp_targetILNS1_3genE2ELNS1_11target_archE906ELNS1_3gpuE6ELNS1_3repE0EEENS1_36merge_oddeven_config_static_selectorELNS0_4arch9wavefront6targetE0EEEvSF_ ; -- Begin function _ZN7rocprim17ROCPRIM_400000_NS6detail17trampoline_kernelINS0_14default_configENS1_38merge_sort_block_merge_config_selectorIiNS0_10empty_typeEEEZZNS1_27merge_sort_block_merge_implIS3_PiPS5_jNS1_19radix_merge_compareILb1ELb1EiNS0_19identity_decomposerEEEEE10hipError_tT0_T1_T2_jT3_P12ihipStream_tbPNSt15iterator_traitsISE_E10value_typeEPNSK_ISF_E10value_typeEPSG_NS1_7vsmem_tEENKUlT_SE_SF_SG_E_clIS8_S8_S9_S9_EESD_ST_SE_SF_SG_EUlST_E1_NS1_11comp_targetILNS1_3genE2ELNS1_11target_archE906ELNS1_3gpuE6ELNS1_3repE0EEENS1_36merge_oddeven_config_static_selectorELNS0_4arch9wavefront6targetE0EEEvSF_
	.globl	_ZN7rocprim17ROCPRIM_400000_NS6detail17trampoline_kernelINS0_14default_configENS1_38merge_sort_block_merge_config_selectorIiNS0_10empty_typeEEEZZNS1_27merge_sort_block_merge_implIS3_PiPS5_jNS1_19radix_merge_compareILb1ELb1EiNS0_19identity_decomposerEEEEE10hipError_tT0_T1_T2_jT3_P12ihipStream_tbPNSt15iterator_traitsISE_E10value_typeEPNSK_ISF_E10value_typeEPSG_NS1_7vsmem_tEENKUlT_SE_SF_SG_E_clIS8_S8_S9_S9_EESD_ST_SE_SF_SG_EUlST_E1_NS1_11comp_targetILNS1_3genE2ELNS1_11target_archE906ELNS1_3gpuE6ELNS1_3repE0EEENS1_36merge_oddeven_config_static_selectorELNS0_4arch9wavefront6targetE0EEEvSF_
	.p2align	8
	.type	_ZN7rocprim17ROCPRIM_400000_NS6detail17trampoline_kernelINS0_14default_configENS1_38merge_sort_block_merge_config_selectorIiNS0_10empty_typeEEEZZNS1_27merge_sort_block_merge_implIS3_PiPS5_jNS1_19radix_merge_compareILb1ELb1EiNS0_19identity_decomposerEEEEE10hipError_tT0_T1_T2_jT3_P12ihipStream_tbPNSt15iterator_traitsISE_E10value_typeEPNSK_ISF_E10value_typeEPSG_NS1_7vsmem_tEENKUlT_SE_SF_SG_E_clIS8_S8_S9_S9_EESD_ST_SE_SF_SG_EUlST_E1_NS1_11comp_targetILNS1_3genE2ELNS1_11target_archE906ELNS1_3gpuE6ELNS1_3repE0EEENS1_36merge_oddeven_config_static_selectorELNS0_4arch9wavefront6targetE0EEEvSF_,@function
_ZN7rocprim17ROCPRIM_400000_NS6detail17trampoline_kernelINS0_14default_configENS1_38merge_sort_block_merge_config_selectorIiNS0_10empty_typeEEEZZNS1_27merge_sort_block_merge_implIS3_PiPS5_jNS1_19radix_merge_compareILb1ELb1EiNS0_19identity_decomposerEEEEE10hipError_tT0_T1_T2_jT3_P12ihipStream_tbPNSt15iterator_traitsISE_E10value_typeEPNSK_ISF_E10value_typeEPSG_NS1_7vsmem_tEENKUlT_SE_SF_SG_E_clIS8_S8_S9_S9_EESD_ST_SE_SF_SG_EUlST_E1_NS1_11comp_targetILNS1_3genE2ELNS1_11target_archE906ELNS1_3gpuE6ELNS1_3repE0EEENS1_36merge_oddeven_config_static_selectorELNS0_4arch9wavefront6targetE0EEEvSF_: ; @_ZN7rocprim17ROCPRIM_400000_NS6detail17trampoline_kernelINS0_14default_configENS1_38merge_sort_block_merge_config_selectorIiNS0_10empty_typeEEEZZNS1_27merge_sort_block_merge_implIS3_PiPS5_jNS1_19radix_merge_compareILb1ELb1EiNS0_19identity_decomposerEEEEE10hipError_tT0_T1_T2_jT3_P12ihipStream_tbPNSt15iterator_traitsISE_E10value_typeEPNSK_ISF_E10value_typeEPSG_NS1_7vsmem_tEENKUlT_SE_SF_SG_E_clIS8_S8_S9_S9_EESD_ST_SE_SF_SG_EUlST_E1_NS1_11comp_targetILNS1_3genE2ELNS1_11target_archE906ELNS1_3gpuE6ELNS1_3repE0EEENS1_36merge_oddeven_config_static_selectorELNS0_4arch9wavefront6targetE0EEEvSF_
; %bb.0:
	.section	.rodata,"a",@progbits
	.p2align	6, 0x0
	.amdhsa_kernel _ZN7rocprim17ROCPRIM_400000_NS6detail17trampoline_kernelINS0_14default_configENS1_38merge_sort_block_merge_config_selectorIiNS0_10empty_typeEEEZZNS1_27merge_sort_block_merge_implIS3_PiPS5_jNS1_19radix_merge_compareILb1ELb1EiNS0_19identity_decomposerEEEEE10hipError_tT0_T1_T2_jT3_P12ihipStream_tbPNSt15iterator_traitsISE_E10value_typeEPNSK_ISF_E10value_typeEPSG_NS1_7vsmem_tEENKUlT_SE_SF_SG_E_clIS8_S8_S9_S9_EESD_ST_SE_SF_SG_EUlST_E1_NS1_11comp_targetILNS1_3genE2ELNS1_11target_archE906ELNS1_3gpuE6ELNS1_3repE0EEENS1_36merge_oddeven_config_static_selectorELNS0_4arch9wavefront6targetE0EEEvSF_
		.amdhsa_group_segment_fixed_size 0
		.amdhsa_private_segment_fixed_size 0
		.amdhsa_kernarg_size 48
		.amdhsa_user_sgpr_count 2
		.amdhsa_user_sgpr_dispatch_ptr 0
		.amdhsa_user_sgpr_queue_ptr 0
		.amdhsa_user_sgpr_kernarg_segment_ptr 1
		.amdhsa_user_sgpr_dispatch_id 0
		.amdhsa_user_sgpr_kernarg_preload_length 0
		.amdhsa_user_sgpr_kernarg_preload_offset 0
		.amdhsa_user_sgpr_private_segment_size 0
		.amdhsa_wavefront_size32 1
		.amdhsa_uses_dynamic_stack 0
		.amdhsa_enable_private_segment 0
		.amdhsa_system_sgpr_workgroup_id_x 1
		.amdhsa_system_sgpr_workgroup_id_y 0
		.amdhsa_system_sgpr_workgroup_id_z 0
		.amdhsa_system_sgpr_workgroup_info 0
		.amdhsa_system_vgpr_workitem_id 0
		.amdhsa_next_free_vgpr 1
		.amdhsa_next_free_sgpr 1
		.amdhsa_named_barrier_count 0
		.amdhsa_reserve_vcc 0
		.amdhsa_float_round_mode_32 0
		.amdhsa_float_round_mode_16_64 0
		.amdhsa_float_denorm_mode_32 3
		.amdhsa_float_denorm_mode_16_64 3
		.amdhsa_fp16_overflow 0
		.amdhsa_memory_ordered 1
		.amdhsa_forward_progress 1
		.amdhsa_inst_pref_size 0
		.amdhsa_round_robin_scheduling 0
		.amdhsa_exception_fp_ieee_invalid_op 0
		.amdhsa_exception_fp_denorm_src 0
		.amdhsa_exception_fp_ieee_div_zero 0
		.amdhsa_exception_fp_ieee_overflow 0
		.amdhsa_exception_fp_ieee_underflow 0
		.amdhsa_exception_fp_ieee_inexact 0
		.amdhsa_exception_int_div_zero 0
	.end_amdhsa_kernel
	.section	.text._ZN7rocprim17ROCPRIM_400000_NS6detail17trampoline_kernelINS0_14default_configENS1_38merge_sort_block_merge_config_selectorIiNS0_10empty_typeEEEZZNS1_27merge_sort_block_merge_implIS3_PiPS5_jNS1_19radix_merge_compareILb1ELb1EiNS0_19identity_decomposerEEEEE10hipError_tT0_T1_T2_jT3_P12ihipStream_tbPNSt15iterator_traitsISE_E10value_typeEPNSK_ISF_E10value_typeEPSG_NS1_7vsmem_tEENKUlT_SE_SF_SG_E_clIS8_S8_S9_S9_EESD_ST_SE_SF_SG_EUlST_E1_NS1_11comp_targetILNS1_3genE2ELNS1_11target_archE906ELNS1_3gpuE6ELNS1_3repE0EEENS1_36merge_oddeven_config_static_selectorELNS0_4arch9wavefront6targetE0EEEvSF_,"axG",@progbits,_ZN7rocprim17ROCPRIM_400000_NS6detail17trampoline_kernelINS0_14default_configENS1_38merge_sort_block_merge_config_selectorIiNS0_10empty_typeEEEZZNS1_27merge_sort_block_merge_implIS3_PiPS5_jNS1_19radix_merge_compareILb1ELb1EiNS0_19identity_decomposerEEEEE10hipError_tT0_T1_T2_jT3_P12ihipStream_tbPNSt15iterator_traitsISE_E10value_typeEPNSK_ISF_E10value_typeEPSG_NS1_7vsmem_tEENKUlT_SE_SF_SG_E_clIS8_S8_S9_S9_EESD_ST_SE_SF_SG_EUlST_E1_NS1_11comp_targetILNS1_3genE2ELNS1_11target_archE906ELNS1_3gpuE6ELNS1_3repE0EEENS1_36merge_oddeven_config_static_selectorELNS0_4arch9wavefront6targetE0EEEvSF_,comdat
.Lfunc_end820:
	.size	_ZN7rocprim17ROCPRIM_400000_NS6detail17trampoline_kernelINS0_14default_configENS1_38merge_sort_block_merge_config_selectorIiNS0_10empty_typeEEEZZNS1_27merge_sort_block_merge_implIS3_PiPS5_jNS1_19radix_merge_compareILb1ELb1EiNS0_19identity_decomposerEEEEE10hipError_tT0_T1_T2_jT3_P12ihipStream_tbPNSt15iterator_traitsISE_E10value_typeEPNSK_ISF_E10value_typeEPSG_NS1_7vsmem_tEENKUlT_SE_SF_SG_E_clIS8_S8_S9_S9_EESD_ST_SE_SF_SG_EUlST_E1_NS1_11comp_targetILNS1_3genE2ELNS1_11target_archE906ELNS1_3gpuE6ELNS1_3repE0EEENS1_36merge_oddeven_config_static_selectorELNS0_4arch9wavefront6targetE0EEEvSF_, .Lfunc_end820-_ZN7rocprim17ROCPRIM_400000_NS6detail17trampoline_kernelINS0_14default_configENS1_38merge_sort_block_merge_config_selectorIiNS0_10empty_typeEEEZZNS1_27merge_sort_block_merge_implIS3_PiPS5_jNS1_19radix_merge_compareILb1ELb1EiNS0_19identity_decomposerEEEEE10hipError_tT0_T1_T2_jT3_P12ihipStream_tbPNSt15iterator_traitsISE_E10value_typeEPNSK_ISF_E10value_typeEPSG_NS1_7vsmem_tEENKUlT_SE_SF_SG_E_clIS8_S8_S9_S9_EESD_ST_SE_SF_SG_EUlST_E1_NS1_11comp_targetILNS1_3genE2ELNS1_11target_archE906ELNS1_3gpuE6ELNS1_3repE0EEENS1_36merge_oddeven_config_static_selectorELNS0_4arch9wavefront6targetE0EEEvSF_
                                        ; -- End function
	.set _ZN7rocprim17ROCPRIM_400000_NS6detail17trampoline_kernelINS0_14default_configENS1_38merge_sort_block_merge_config_selectorIiNS0_10empty_typeEEEZZNS1_27merge_sort_block_merge_implIS3_PiPS5_jNS1_19radix_merge_compareILb1ELb1EiNS0_19identity_decomposerEEEEE10hipError_tT0_T1_T2_jT3_P12ihipStream_tbPNSt15iterator_traitsISE_E10value_typeEPNSK_ISF_E10value_typeEPSG_NS1_7vsmem_tEENKUlT_SE_SF_SG_E_clIS8_S8_S9_S9_EESD_ST_SE_SF_SG_EUlST_E1_NS1_11comp_targetILNS1_3genE2ELNS1_11target_archE906ELNS1_3gpuE6ELNS1_3repE0EEENS1_36merge_oddeven_config_static_selectorELNS0_4arch9wavefront6targetE0EEEvSF_.num_vgpr, 0
	.set _ZN7rocprim17ROCPRIM_400000_NS6detail17trampoline_kernelINS0_14default_configENS1_38merge_sort_block_merge_config_selectorIiNS0_10empty_typeEEEZZNS1_27merge_sort_block_merge_implIS3_PiPS5_jNS1_19radix_merge_compareILb1ELb1EiNS0_19identity_decomposerEEEEE10hipError_tT0_T1_T2_jT3_P12ihipStream_tbPNSt15iterator_traitsISE_E10value_typeEPNSK_ISF_E10value_typeEPSG_NS1_7vsmem_tEENKUlT_SE_SF_SG_E_clIS8_S8_S9_S9_EESD_ST_SE_SF_SG_EUlST_E1_NS1_11comp_targetILNS1_3genE2ELNS1_11target_archE906ELNS1_3gpuE6ELNS1_3repE0EEENS1_36merge_oddeven_config_static_selectorELNS0_4arch9wavefront6targetE0EEEvSF_.num_agpr, 0
	.set _ZN7rocprim17ROCPRIM_400000_NS6detail17trampoline_kernelINS0_14default_configENS1_38merge_sort_block_merge_config_selectorIiNS0_10empty_typeEEEZZNS1_27merge_sort_block_merge_implIS3_PiPS5_jNS1_19radix_merge_compareILb1ELb1EiNS0_19identity_decomposerEEEEE10hipError_tT0_T1_T2_jT3_P12ihipStream_tbPNSt15iterator_traitsISE_E10value_typeEPNSK_ISF_E10value_typeEPSG_NS1_7vsmem_tEENKUlT_SE_SF_SG_E_clIS8_S8_S9_S9_EESD_ST_SE_SF_SG_EUlST_E1_NS1_11comp_targetILNS1_3genE2ELNS1_11target_archE906ELNS1_3gpuE6ELNS1_3repE0EEENS1_36merge_oddeven_config_static_selectorELNS0_4arch9wavefront6targetE0EEEvSF_.numbered_sgpr, 0
	.set _ZN7rocprim17ROCPRIM_400000_NS6detail17trampoline_kernelINS0_14default_configENS1_38merge_sort_block_merge_config_selectorIiNS0_10empty_typeEEEZZNS1_27merge_sort_block_merge_implIS3_PiPS5_jNS1_19radix_merge_compareILb1ELb1EiNS0_19identity_decomposerEEEEE10hipError_tT0_T1_T2_jT3_P12ihipStream_tbPNSt15iterator_traitsISE_E10value_typeEPNSK_ISF_E10value_typeEPSG_NS1_7vsmem_tEENKUlT_SE_SF_SG_E_clIS8_S8_S9_S9_EESD_ST_SE_SF_SG_EUlST_E1_NS1_11comp_targetILNS1_3genE2ELNS1_11target_archE906ELNS1_3gpuE6ELNS1_3repE0EEENS1_36merge_oddeven_config_static_selectorELNS0_4arch9wavefront6targetE0EEEvSF_.num_named_barrier, 0
	.set _ZN7rocprim17ROCPRIM_400000_NS6detail17trampoline_kernelINS0_14default_configENS1_38merge_sort_block_merge_config_selectorIiNS0_10empty_typeEEEZZNS1_27merge_sort_block_merge_implIS3_PiPS5_jNS1_19radix_merge_compareILb1ELb1EiNS0_19identity_decomposerEEEEE10hipError_tT0_T1_T2_jT3_P12ihipStream_tbPNSt15iterator_traitsISE_E10value_typeEPNSK_ISF_E10value_typeEPSG_NS1_7vsmem_tEENKUlT_SE_SF_SG_E_clIS8_S8_S9_S9_EESD_ST_SE_SF_SG_EUlST_E1_NS1_11comp_targetILNS1_3genE2ELNS1_11target_archE906ELNS1_3gpuE6ELNS1_3repE0EEENS1_36merge_oddeven_config_static_selectorELNS0_4arch9wavefront6targetE0EEEvSF_.private_seg_size, 0
	.set _ZN7rocprim17ROCPRIM_400000_NS6detail17trampoline_kernelINS0_14default_configENS1_38merge_sort_block_merge_config_selectorIiNS0_10empty_typeEEEZZNS1_27merge_sort_block_merge_implIS3_PiPS5_jNS1_19radix_merge_compareILb1ELb1EiNS0_19identity_decomposerEEEEE10hipError_tT0_T1_T2_jT3_P12ihipStream_tbPNSt15iterator_traitsISE_E10value_typeEPNSK_ISF_E10value_typeEPSG_NS1_7vsmem_tEENKUlT_SE_SF_SG_E_clIS8_S8_S9_S9_EESD_ST_SE_SF_SG_EUlST_E1_NS1_11comp_targetILNS1_3genE2ELNS1_11target_archE906ELNS1_3gpuE6ELNS1_3repE0EEENS1_36merge_oddeven_config_static_selectorELNS0_4arch9wavefront6targetE0EEEvSF_.uses_vcc, 0
	.set _ZN7rocprim17ROCPRIM_400000_NS6detail17trampoline_kernelINS0_14default_configENS1_38merge_sort_block_merge_config_selectorIiNS0_10empty_typeEEEZZNS1_27merge_sort_block_merge_implIS3_PiPS5_jNS1_19radix_merge_compareILb1ELb1EiNS0_19identity_decomposerEEEEE10hipError_tT0_T1_T2_jT3_P12ihipStream_tbPNSt15iterator_traitsISE_E10value_typeEPNSK_ISF_E10value_typeEPSG_NS1_7vsmem_tEENKUlT_SE_SF_SG_E_clIS8_S8_S9_S9_EESD_ST_SE_SF_SG_EUlST_E1_NS1_11comp_targetILNS1_3genE2ELNS1_11target_archE906ELNS1_3gpuE6ELNS1_3repE0EEENS1_36merge_oddeven_config_static_selectorELNS0_4arch9wavefront6targetE0EEEvSF_.uses_flat_scratch, 0
	.set _ZN7rocprim17ROCPRIM_400000_NS6detail17trampoline_kernelINS0_14default_configENS1_38merge_sort_block_merge_config_selectorIiNS0_10empty_typeEEEZZNS1_27merge_sort_block_merge_implIS3_PiPS5_jNS1_19radix_merge_compareILb1ELb1EiNS0_19identity_decomposerEEEEE10hipError_tT0_T1_T2_jT3_P12ihipStream_tbPNSt15iterator_traitsISE_E10value_typeEPNSK_ISF_E10value_typeEPSG_NS1_7vsmem_tEENKUlT_SE_SF_SG_E_clIS8_S8_S9_S9_EESD_ST_SE_SF_SG_EUlST_E1_NS1_11comp_targetILNS1_3genE2ELNS1_11target_archE906ELNS1_3gpuE6ELNS1_3repE0EEENS1_36merge_oddeven_config_static_selectorELNS0_4arch9wavefront6targetE0EEEvSF_.has_dyn_sized_stack, 0
	.set _ZN7rocprim17ROCPRIM_400000_NS6detail17trampoline_kernelINS0_14default_configENS1_38merge_sort_block_merge_config_selectorIiNS0_10empty_typeEEEZZNS1_27merge_sort_block_merge_implIS3_PiPS5_jNS1_19radix_merge_compareILb1ELb1EiNS0_19identity_decomposerEEEEE10hipError_tT0_T1_T2_jT3_P12ihipStream_tbPNSt15iterator_traitsISE_E10value_typeEPNSK_ISF_E10value_typeEPSG_NS1_7vsmem_tEENKUlT_SE_SF_SG_E_clIS8_S8_S9_S9_EESD_ST_SE_SF_SG_EUlST_E1_NS1_11comp_targetILNS1_3genE2ELNS1_11target_archE906ELNS1_3gpuE6ELNS1_3repE0EEENS1_36merge_oddeven_config_static_selectorELNS0_4arch9wavefront6targetE0EEEvSF_.has_recursion, 0
	.set _ZN7rocprim17ROCPRIM_400000_NS6detail17trampoline_kernelINS0_14default_configENS1_38merge_sort_block_merge_config_selectorIiNS0_10empty_typeEEEZZNS1_27merge_sort_block_merge_implIS3_PiPS5_jNS1_19radix_merge_compareILb1ELb1EiNS0_19identity_decomposerEEEEE10hipError_tT0_T1_T2_jT3_P12ihipStream_tbPNSt15iterator_traitsISE_E10value_typeEPNSK_ISF_E10value_typeEPSG_NS1_7vsmem_tEENKUlT_SE_SF_SG_E_clIS8_S8_S9_S9_EESD_ST_SE_SF_SG_EUlST_E1_NS1_11comp_targetILNS1_3genE2ELNS1_11target_archE906ELNS1_3gpuE6ELNS1_3repE0EEENS1_36merge_oddeven_config_static_selectorELNS0_4arch9wavefront6targetE0EEEvSF_.has_indirect_call, 0
	.section	.AMDGPU.csdata,"",@progbits
; Kernel info:
; codeLenInByte = 0
; TotalNumSgprs: 0
; NumVgprs: 0
; ScratchSize: 0
; MemoryBound: 0
; FloatMode: 240
; IeeeMode: 1
; LDSByteSize: 0 bytes/workgroup (compile time only)
; SGPRBlocks: 0
; VGPRBlocks: 0
; NumSGPRsForWavesPerEU: 1
; NumVGPRsForWavesPerEU: 1
; NamedBarCnt: 0
; Occupancy: 16
; WaveLimiterHint : 0
; COMPUTE_PGM_RSRC2:SCRATCH_EN: 0
; COMPUTE_PGM_RSRC2:USER_SGPR: 2
; COMPUTE_PGM_RSRC2:TRAP_HANDLER: 0
; COMPUTE_PGM_RSRC2:TGID_X_EN: 1
; COMPUTE_PGM_RSRC2:TGID_Y_EN: 0
; COMPUTE_PGM_RSRC2:TGID_Z_EN: 0
; COMPUTE_PGM_RSRC2:TIDIG_COMP_CNT: 0
	.section	.text._ZN7rocprim17ROCPRIM_400000_NS6detail17trampoline_kernelINS0_14default_configENS1_38merge_sort_block_merge_config_selectorIiNS0_10empty_typeEEEZZNS1_27merge_sort_block_merge_implIS3_PiPS5_jNS1_19radix_merge_compareILb1ELb1EiNS0_19identity_decomposerEEEEE10hipError_tT0_T1_T2_jT3_P12ihipStream_tbPNSt15iterator_traitsISE_E10value_typeEPNSK_ISF_E10value_typeEPSG_NS1_7vsmem_tEENKUlT_SE_SF_SG_E_clIS8_S8_S9_S9_EESD_ST_SE_SF_SG_EUlST_E1_NS1_11comp_targetILNS1_3genE9ELNS1_11target_archE1100ELNS1_3gpuE3ELNS1_3repE0EEENS1_36merge_oddeven_config_static_selectorELNS0_4arch9wavefront6targetE0EEEvSF_,"axG",@progbits,_ZN7rocprim17ROCPRIM_400000_NS6detail17trampoline_kernelINS0_14default_configENS1_38merge_sort_block_merge_config_selectorIiNS0_10empty_typeEEEZZNS1_27merge_sort_block_merge_implIS3_PiPS5_jNS1_19radix_merge_compareILb1ELb1EiNS0_19identity_decomposerEEEEE10hipError_tT0_T1_T2_jT3_P12ihipStream_tbPNSt15iterator_traitsISE_E10value_typeEPNSK_ISF_E10value_typeEPSG_NS1_7vsmem_tEENKUlT_SE_SF_SG_E_clIS8_S8_S9_S9_EESD_ST_SE_SF_SG_EUlST_E1_NS1_11comp_targetILNS1_3genE9ELNS1_11target_archE1100ELNS1_3gpuE3ELNS1_3repE0EEENS1_36merge_oddeven_config_static_selectorELNS0_4arch9wavefront6targetE0EEEvSF_,comdat
	.protected	_ZN7rocprim17ROCPRIM_400000_NS6detail17trampoline_kernelINS0_14default_configENS1_38merge_sort_block_merge_config_selectorIiNS0_10empty_typeEEEZZNS1_27merge_sort_block_merge_implIS3_PiPS5_jNS1_19radix_merge_compareILb1ELb1EiNS0_19identity_decomposerEEEEE10hipError_tT0_T1_T2_jT3_P12ihipStream_tbPNSt15iterator_traitsISE_E10value_typeEPNSK_ISF_E10value_typeEPSG_NS1_7vsmem_tEENKUlT_SE_SF_SG_E_clIS8_S8_S9_S9_EESD_ST_SE_SF_SG_EUlST_E1_NS1_11comp_targetILNS1_3genE9ELNS1_11target_archE1100ELNS1_3gpuE3ELNS1_3repE0EEENS1_36merge_oddeven_config_static_selectorELNS0_4arch9wavefront6targetE0EEEvSF_ ; -- Begin function _ZN7rocprim17ROCPRIM_400000_NS6detail17trampoline_kernelINS0_14default_configENS1_38merge_sort_block_merge_config_selectorIiNS0_10empty_typeEEEZZNS1_27merge_sort_block_merge_implIS3_PiPS5_jNS1_19radix_merge_compareILb1ELb1EiNS0_19identity_decomposerEEEEE10hipError_tT0_T1_T2_jT3_P12ihipStream_tbPNSt15iterator_traitsISE_E10value_typeEPNSK_ISF_E10value_typeEPSG_NS1_7vsmem_tEENKUlT_SE_SF_SG_E_clIS8_S8_S9_S9_EESD_ST_SE_SF_SG_EUlST_E1_NS1_11comp_targetILNS1_3genE9ELNS1_11target_archE1100ELNS1_3gpuE3ELNS1_3repE0EEENS1_36merge_oddeven_config_static_selectorELNS0_4arch9wavefront6targetE0EEEvSF_
	.globl	_ZN7rocprim17ROCPRIM_400000_NS6detail17trampoline_kernelINS0_14default_configENS1_38merge_sort_block_merge_config_selectorIiNS0_10empty_typeEEEZZNS1_27merge_sort_block_merge_implIS3_PiPS5_jNS1_19radix_merge_compareILb1ELb1EiNS0_19identity_decomposerEEEEE10hipError_tT0_T1_T2_jT3_P12ihipStream_tbPNSt15iterator_traitsISE_E10value_typeEPNSK_ISF_E10value_typeEPSG_NS1_7vsmem_tEENKUlT_SE_SF_SG_E_clIS8_S8_S9_S9_EESD_ST_SE_SF_SG_EUlST_E1_NS1_11comp_targetILNS1_3genE9ELNS1_11target_archE1100ELNS1_3gpuE3ELNS1_3repE0EEENS1_36merge_oddeven_config_static_selectorELNS0_4arch9wavefront6targetE0EEEvSF_
	.p2align	8
	.type	_ZN7rocprim17ROCPRIM_400000_NS6detail17trampoline_kernelINS0_14default_configENS1_38merge_sort_block_merge_config_selectorIiNS0_10empty_typeEEEZZNS1_27merge_sort_block_merge_implIS3_PiPS5_jNS1_19radix_merge_compareILb1ELb1EiNS0_19identity_decomposerEEEEE10hipError_tT0_T1_T2_jT3_P12ihipStream_tbPNSt15iterator_traitsISE_E10value_typeEPNSK_ISF_E10value_typeEPSG_NS1_7vsmem_tEENKUlT_SE_SF_SG_E_clIS8_S8_S9_S9_EESD_ST_SE_SF_SG_EUlST_E1_NS1_11comp_targetILNS1_3genE9ELNS1_11target_archE1100ELNS1_3gpuE3ELNS1_3repE0EEENS1_36merge_oddeven_config_static_selectorELNS0_4arch9wavefront6targetE0EEEvSF_,@function
_ZN7rocprim17ROCPRIM_400000_NS6detail17trampoline_kernelINS0_14default_configENS1_38merge_sort_block_merge_config_selectorIiNS0_10empty_typeEEEZZNS1_27merge_sort_block_merge_implIS3_PiPS5_jNS1_19radix_merge_compareILb1ELb1EiNS0_19identity_decomposerEEEEE10hipError_tT0_T1_T2_jT3_P12ihipStream_tbPNSt15iterator_traitsISE_E10value_typeEPNSK_ISF_E10value_typeEPSG_NS1_7vsmem_tEENKUlT_SE_SF_SG_E_clIS8_S8_S9_S9_EESD_ST_SE_SF_SG_EUlST_E1_NS1_11comp_targetILNS1_3genE9ELNS1_11target_archE1100ELNS1_3gpuE3ELNS1_3repE0EEENS1_36merge_oddeven_config_static_selectorELNS0_4arch9wavefront6targetE0EEEvSF_: ; @_ZN7rocprim17ROCPRIM_400000_NS6detail17trampoline_kernelINS0_14default_configENS1_38merge_sort_block_merge_config_selectorIiNS0_10empty_typeEEEZZNS1_27merge_sort_block_merge_implIS3_PiPS5_jNS1_19radix_merge_compareILb1ELb1EiNS0_19identity_decomposerEEEEE10hipError_tT0_T1_T2_jT3_P12ihipStream_tbPNSt15iterator_traitsISE_E10value_typeEPNSK_ISF_E10value_typeEPSG_NS1_7vsmem_tEENKUlT_SE_SF_SG_E_clIS8_S8_S9_S9_EESD_ST_SE_SF_SG_EUlST_E1_NS1_11comp_targetILNS1_3genE9ELNS1_11target_archE1100ELNS1_3gpuE3ELNS1_3repE0EEENS1_36merge_oddeven_config_static_selectorELNS0_4arch9wavefront6targetE0EEEvSF_
; %bb.0:
	.section	.rodata,"a",@progbits
	.p2align	6, 0x0
	.amdhsa_kernel _ZN7rocprim17ROCPRIM_400000_NS6detail17trampoline_kernelINS0_14default_configENS1_38merge_sort_block_merge_config_selectorIiNS0_10empty_typeEEEZZNS1_27merge_sort_block_merge_implIS3_PiPS5_jNS1_19radix_merge_compareILb1ELb1EiNS0_19identity_decomposerEEEEE10hipError_tT0_T1_T2_jT3_P12ihipStream_tbPNSt15iterator_traitsISE_E10value_typeEPNSK_ISF_E10value_typeEPSG_NS1_7vsmem_tEENKUlT_SE_SF_SG_E_clIS8_S8_S9_S9_EESD_ST_SE_SF_SG_EUlST_E1_NS1_11comp_targetILNS1_3genE9ELNS1_11target_archE1100ELNS1_3gpuE3ELNS1_3repE0EEENS1_36merge_oddeven_config_static_selectorELNS0_4arch9wavefront6targetE0EEEvSF_
		.amdhsa_group_segment_fixed_size 0
		.amdhsa_private_segment_fixed_size 0
		.amdhsa_kernarg_size 48
		.amdhsa_user_sgpr_count 2
		.amdhsa_user_sgpr_dispatch_ptr 0
		.amdhsa_user_sgpr_queue_ptr 0
		.amdhsa_user_sgpr_kernarg_segment_ptr 1
		.amdhsa_user_sgpr_dispatch_id 0
		.amdhsa_user_sgpr_kernarg_preload_length 0
		.amdhsa_user_sgpr_kernarg_preload_offset 0
		.amdhsa_user_sgpr_private_segment_size 0
		.amdhsa_wavefront_size32 1
		.amdhsa_uses_dynamic_stack 0
		.amdhsa_enable_private_segment 0
		.amdhsa_system_sgpr_workgroup_id_x 1
		.amdhsa_system_sgpr_workgroup_id_y 0
		.amdhsa_system_sgpr_workgroup_id_z 0
		.amdhsa_system_sgpr_workgroup_info 0
		.amdhsa_system_vgpr_workitem_id 0
		.amdhsa_next_free_vgpr 1
		.amdhsa_next_free_sgpr 1
		.amdhsa_named_barrier_count 0
		.amdhsa_reserve_vcc 0
		.amdhsa_float_round_mode_32 0
		.amdhsa_float_round_mode_16_64 0
		.amdhsa_float_denorm_mode_32 3
		.amdhsa_float_denorm_mode_16_64 3
		.amdhsa_fp16_overflow 0
		.amdhsa_memory_ordered 1
		.amdhsa_forward_progress 1
		.amdhsa_inst_pref_size 0
		.amdhsa_round_robin_scheduling 0
		.amdhsa_exception_fp_ieee_invalid_op 0
		.amdhsa_exception_fp_denorm_src 0
		.amdhsa_exception_fp_ieee_div_zero 0
		.amdhsa_exception_fp_ieee_overflow 0
		.amdhsa_exception_fp_ieee_underflow 0
		.amdhsa_exception_fp_ieee_inexact 0
		.amdhsa_exception_int_div_zero 0
	.end_amdhsa_kernel
	.section	.text._ZN7rocprim17ROCPRIM_400000_NS6detail17trampoline_kernelINS0_14default_configENS1_38merge_sort_block_merge_config_selectorIiNS0_10empty_typeEEEZZNS1_27merge_sort_block_merge_implIS3_PiPS5_jNS1_19radix_merge_compareILb1ELb1EiNS0_19identity_decomposerEEEEE10hipError_tT0_T1_T2_jT3_P12ihipStream_tbPNSt15iterator_traitsISE_E10value_typeEPNSK_ISF_E10value_typeEPSG_NS1_7vsmem_tEENKUlT_SE_SF_SG_E_clIS8_S8_S9_S9_EESD_ST_SE_SF_SG_EUlST_E1_NS1_11comp_targetILNS1_3genE9ELNS1_11target_archE1100ELNS1_3gpuE3ELNS1_3repE0EEENS1_36merge_oddeven_config_static_selectorELNS0_4arch9wavefront6targetE0EEEvSF_,"axG",@progbits,_ZN7rocprim17ROCPRIM_400000_NS6detail17trampoline_kernelINS0_14default_configENS1_38merge_sort_block_merge_config_selectorIiNS0_10empty_typeEEEZZNS1_27merge_sort_block_merge_implIS3_PiPS5_jNS1_19radix_merge_compareILb1ELb1EiNS0_19identity_decomposerEEEEE10hipError_tT0_T1_T2_jT3_P12ihipStream_tbPNSt15iterator_traitsISE_E10value_typeEPNSK_ISF_E10value_typeEPSG_NS1_7vsmem_tEENKUlT_SE_SF_SG_E_clIS8_S8_S9_S9_EESD_ST_SE_SF_SG_EUlST_E1_NS1_11comp_targetILNS1_3genE9ELNS1_11target_archE1100ELNS1_3gpuE3ELNS1_3repE0EEENS1_36merge_oddeven_config_static_selectorELNS0_4arch9wavefront6targetE0EEEvSF_,comdat
.Lfunc_end821:
	.size	_ZN7rocprim17ROCPRIM_400000_NS6detail17trampoline_kernelINS0_14default_configENS1_38merge_sort_block_merge_config_selectorIiNS0_10empty_typeEEEZZNS1_27merge_sort_block_merge_implIS3_PiPS5_jNS1_19radix_merge_compareILb1ELb1EiNS0_19identity_decomposerEEEEE10hipError_tT0_T1_T2_jT3_P12ihipStream_tbPNSt15iterator_traitsISE_E10value_typeEPNSK_ISF_E10value_typeEPSG_NS1_7vsmem_tEENKUlT_SE_SF_SG_E_clIS8_S8_S9_S9_EESD_ST_SE_SF_SG_EUlST_E1_NS1_11comp_targetILNS1_3genE9ELNS1_11target_archE1100ELNS1_3gpuE3ELNS1_3repE0EEENS1_36merge_oddeven_config_static_selectorELNS0_4arch9wavefront6targetE0EEEvSF_, .Lfunc_end821-_ZN7rocprim17ROCPRIM_400000_NS6detail17trampoline_kernelINS0_14default_configENS1_38merge_sort_block_merge_config_selectorIiNS0_10empty_typeEEEZZNS1_27merge_sort_block_merge_implIS3_PiPS5_jNS1_19radix_merge_compareILb1ELb1EiNS0_19identity_decomposerEEEEE10hipError_tT0_T1_T2_jT3_P12ihipStream_tbPNSt15iterator_traitsISE_E10value_typeEPNSK_ISF_E10value_typeEPSG_NS1_7vsmem_tEENKUlT_SE_SF_SG_E_clIS8_S8_S9_S9_EESD_ST_SE_SF_SG_EUlST_E1_NS1_11comp_targetILNS1_3genE9ELNS1_11target_archE1100ELNS1_3gpuE3ELNS1_3repE0EEENS1_36merge_oddeven_config_static_selectorELNS0_4arch9wavefront6targetE0EEEvSF_
                                        ; -- End function
	.set _ZN7rocprim17ROCPRIM_400000_NS6detail17trampoline_kernelINS0_14default_configENS1_38merge_sort_block_merge_config_selectorIiNS0_10empty_typeEEEZZNS1_27merge_sort_block_merge_implIS3_PiPS5_jNS1_19radix_merge_compareILb1ELb1EiNS0_19identity_decomposerEEEEE10hipError_tT0_T1_T2_jT3_P12ihipStream_tbPNSt15iterator_traitsISE_E10value_typeEPNSK_ISF_E10value_typeEPSG_NS1_7vsmem_tEENKUlT_SE_SF_SG_E_clIS8_S8_S9_S9_EESD_ST_SE_SF_SG_EUlST_E1_NS1_11comp_targetILNS1_3genE9ELNS1_11target_archE1100ELNS1_3gpuE3ELNS1_3repE0EEENS1_36merge_oddeven_config_static_selectorELNS0_4arch9wavefront6targetE0EEEvSF_.num_vgpr, 0
	.set _ZN7rocprim17ROCPRIM_400000_NS6detail17trampoline_kernelINS0_14default_configENS1_38merge_sort_block_merge_config_selectorIiNS0_10empty_typeEEEZZNS1_27merge_sort_block_merge_implIS3_PiPS5_jNS1_19radix_merge_compareILb1ELb1EiNS0_19identity_decomposerEEEEE10hipError_tT0_T1_T2_jT3_P12ihipStream_tbPNSt15iterator_traitsISE_E10value_typeEPNSK_ISF_E10value_typeEPSG_NS1_7vsmem_tEENKUlT_SE_SF_SG_E_clIS8_S8_S9_S9_EESD_ST_SE_SF_SG_EUlST_E1_NS1_11comp_targetILNS1_3genE9ELNS1_11target_archE1100ELNS1_3gpuE3ELNS1_3repE0EEENS1_36merge_oddeven_config_static_selectorELNS0_4arch9wavefront6targetE0EEEvSF_.num_agpr, 0
	.set _ZN7rocprim17ROCPRIM_400000_NS6detail17trampoline_kernelINS0_14default_configENS1_38merge_sort_block_merge_config_selectorIiNS0_10empty_typeEEEZZNS1_27merge_sort_block_merge_implIS3_PiPS5_jNS1_19radix_merge_compareILb1ELb1EiNS0_19identity_decomposerEEEEE10hipError_tT0_T1_T2_jT3_P12ihipStream_tbPNSt15iterator_traitsISE_E10value_typeEPNSK_ISF_E10value_typeEPSG_NS1_7vsmem_tEENKUlT_SE_SF_SG_E_clIS8_S8_S9_S9_EESD_ST_SE_SF_SG_EUlST_E1_NS1_11comp_targetILNS1_3genE9ELNS1_11target_archE1100ELNS1_3gpuE3ELNS1_3repE0EEENS1_36merge_oddeven_config_static_selectorELNS0_4arch9wavefront6targetE0EEEvSF_.numbered_sgpr, 0
	.set _ZN7rocprim17ROCPRIM_400000_NS6detail17trampoline_kernelINS0_14default_configENS1_38merge_sort_block_merge_config_selectorIiNS0_10empty_typeEEEZZNS1_27merge_sort_block_merge_implIS3_PiPS5_jNS1_19radix_merge_compareILb1ELb1EiNS0_19identity_decomposerEEEEE10hipError_tT0_T1_T2_jT3_P12ihipStream_tbPNSt15iterator_traitsISE_E10value_typeEPNSK_ISF_E10value_typeEPSG_NS1_7vsmem_tEENKUlT_SE_SF_SG_E_clIS8_S8_S9_S9_EESD_ST_SE_SF_SG_EUlST_E1_NS1_11comp_targetILNS1_3genE9ELNS1_11target_archE1100ELNS1_3gpuE3ELNS1_3repE0EEENS1_36merge_oddeven_config_static_selectorELNS0_4arch9wavefront6targetE0EEEvSF_.num_named_barrier, 0
	.set _ZN7rocprim17ROCPRIM_400000_NS6detail17trampoline_kernelINS0_14default_configENS1_38merge_sort_block_merge_config_selectorIiNS0_10empty_typeEEEZZNS1_27merge_sort_block_merge_implIS3_PiPS5_jNS1_19radix_merge_compareILb1ELb1EiNS0_19identity_decomposerEEEEE10hipError_tT0_T1_T2_jT3_P12ihipStream_tbPNSt15iterator_traitsISE_E10value_typeEPNSK_ISF_E10value_typeEPSG_NS1_7vsmem_tEENKUlT_SE_SF_SG_E_clIS8_S8_S9_S9_EESD_ST_SE_SF_SG_EUlST_E1_NS1_11comp_targetILNS1_3genE9ELNS1_11target_archE1100ELNS1_3gpuE3ELNS1_3repE0EEENS1_36merge_oddeven_config_static_selectorELNS0_4arch9wavefront6targetE0EEEvSF_.private_seg_size, 0
	.set _ZN7rocprim17ROCPRIM_400000_NS6detail17trampoline_kernelINS0_14default_configENS1_38merge_sort_block_merge_config_selectorIiNS0_10empty_typeEEEZZNS1_27merge_sort_block_merge_implIS3_PiPS5_jNS1_19radix_merge_compareILb1ELb1EiNS0_19identity_decomposerEEEEE10hipError_tT0_T1_T2_jT3_P12ihipStream_tbPNSt15iterator_traitsISE_E10value_typeEPNSK_ISF_E10value_typeEPSG_NS1_7vsmem_tEENKUlT_SE_SF_SG_E_clIS8_S8_S9_S9_EESD_ST_SE_SF_SG_EUlST_E1_NS1_11comp_targetILNS1_3genE9ELNS1_11target_archE1100ELNS1_3gpuE3ELNS1_3repE0EEENS1_36merge_oddeven_config_static_selectorELNS0_4arch9wavefront6targetE0EEEvSF_.uses_vcc, 0
	.set _ZN7rocprim17ROCPRIM_400000_NS6detail17trampoline_kernelINS0_14default_configENS1_38merge_sort_block_merge_config_selectorIiNS0_10empty_typeEEEZZNS1_27merge_sort_block_merge_implIS3_PiPS5_jNS1_19radix_merge_compareILb1ELb1EiNS0_19identity_decomposerEEEEE10hipError_tT0_T1_T2_jT3_P12ihipStream_tbPNSt15iterator_traitsISE_E10value_typeEPNSK_ISF_E10value_typeEPSG_NS1_7vsmem_tEENKUlT_SE_SF_SG_E_clIS8_S8_S9_S9_EESD_ST_SE_SF_SG_EUlST_E1_NS1_11comp_targetILNS1_3genE9ELNS1_11target_archE1100ELNS1_3gpuE3ELNS1_3repE0EEENS1_36merge_oddeven_config_static_selectorELNS0_4arch9wavefront6targetE0EEEvSF_.uses_flat_scratch, 0
	.set _ZN7rocprim17ROCPRIM_400000_NS6detail17trampoline_kernelINS0_14default_configENS1_38merge_sort_block_merge_config_selectorIiNS0_10empty_typeEEEZZNS1_27merge_sort_block_merge_implIS3_PiPS5_jNS1_19radix_merge_compareILb1ELb1EiNS0_19identity_decomposerEEEEE10hipError_tT0_T1_T2_jT3_P12ihipStream_tbPNSt15iterator_traitsISE_E10value_typeEPNSK_ISF_E10value_typeEPSG_NS1_7vsmem_tEENKUlT_SE_SF_SG_E_clIS8_S8_S9_S9_EESD_ST_SE_SF_SG_EUlST_E1_NS1_11comp_targetILNS1_3genE9ELNS1_11target_archE1100ELNS1_3gpuE3ELNS1_3repE0EEENS1_36merge_oddeven_config_static_selectorELNS0_4arch9wavefront6targetE0EEEvSF_.has_dyn_sized_stack, 0
	.set _ZN7rocprim17ROCPRIM_400000_NS6detail17trampoline_kernelINS0_14default_configENS1_38merge_sort_block_merge_config_selectorIiNS0_10empty_typeEEEZZNS1_27merge_sort_block_merge_implIS3_PiPS5_jNS1_19radix_merge_compareILb1ELb1EiNS0_19identity_decomposerEEEEE10hipError_tT0_T1_T2_jT3_P12ihipStream_tbPNSt15iterator_traitsISE_E10value_typeEPNSK_ISF_E10value_typeEPSG_NS1_7vsmem_tEENKUlT_SE_SF_SG_E_clIS8_S8_S9_S9_EESD_ST_SE_SF_SG_EUlST_E1_NS1_11comp_targetILNS1_3genE9ELNS1_11target_archE1100ELNS1_3gpuE3ELNS1_3repE0EEENS1_36merge_oddeven_config_static_selectorELNS0_4arch9wavefront6targetE0EEEvSF_.has_recursion, 0
	.set _ZN7rocprim17ROCPRIM_400000_NS6detail17trampoline_kernelINS0_14default_configENS1_38merge_sort_block_merge_config_selectorIiNS0_10empty_typeEEEZZNS1_27merge_sort_block_merge_implIS3_PiPS5_jNS1_19radix_merge_compareILb1ELb1EiNS0_19identity_decomposerEEEEE10hipError_tT0_T1_T2_jT3_P12ihipStream_tbPNSt15iterator_traitsISE_E10value_typeEPNSK_ISF_E10value_typeEPSG_NS1_7vsmem_tEENKUlT_SE_SF_SG_E_clIS8_S8_S9_S9_EESD_ST_SE_SF_SG_EUlST_E1_NS1_11comp_targetILNS1_3genE9ELNS1_11target_archE1100ELNS1_3gpuE3ELNS1_3repE0EEENS1_36merge_oddeven_config_static_selectorELNS0_4arch9wavefront6targetE0EEEvSF_.has_indirect_call, 0
	.section	.AMDGPU.csdata,"",@progbits
; Kernel info:
; codeLenInByte = 0
; TotalNumSgprs: 0
; NumVgprs: 0
; ScratchSize: 0
; MemoryBound: 0
; FloatMode: 240
; IeeeMode: 1
; LDSByteSize: 0 bytes/workgroup (compile time only)
; SGPRBlocks: 0
; VGPRBlocks: 0
; NumSGPRsForWavesPerEU: 1
; NumVGPRsForWavesPerEU: 1
; NamedBarCnt: 0
; Occupancy: 16
; WaveLimiterHint : 0
; COMPUTE_PGM_RSRC2:SCRATCH_EN: 0
; COMPUTE_PGM_RSRC2:USER_SGPR: 2
; COMPUTE_PGM_RSRC2:TRAP_HANDLER: 0
; COMPUTE_PGM_RSRC2:TGID_X_EN: 1
; COMPUTE_PGM_RSRC2:TGID_Y_EN: 0
; COMPUTE_PGM_RSRC2:TGID_Z_EN: 0
; COMPUTE_PGM_RSRC2:TIDIG_COMP_CNT: 0
	.section	.text._ZN7rocprim17ROCPRIM_400000_NS6detail17trampoline_kernelINS0_14default_configENS1_38merge_sort_block_merge_config_selectorIiNS0_10empty_typeEEEZZNS1_27merge_sort_block_merge_implIS3_PiPS5_jNS1_19radix_merge_compareILb1ELb1EiNS0_19identity_decomposerEEEEE10hipError_tT0_T1_T2_jT3_P12ihipStream_tbPNSt15iterator_traitsISE_E10value_typeEPNSK_ISF_E10value_typeEPSG_NS1_7vsmem_tEENKUlT_SE_SF_SG_E_clIS8_S8_S9_S9_EESD_ST_SE_SF_SG_EUlST_E1_NS1_11comp_targetILNS1_3genE8ELNS1_11target_archE1030ELNS1_3gpuE2ELNS1_3repE0EEENS1_36merge_oddeven_config_static_selectorELNS0_4arch9wavefront6targetE0EEEvSF_,"axG",@progbits,_ZN7rocprim17ROCPRIM_400000_NS6detail17trampoline_kernelINS0_14default_configENS1_38merge_sort_block_merge_config_selectorIiNS0_10empty_typeEEEZZNS1_27merge_sort_block_merge_implIS3_PiPS5_jNS1_19radix_merge_compareILb1ELb1EiNS0_19identity_decomposerEEEEE10hipError_tT0_T1_T2_jT3_P12ihipStream_tbPNSt15iterator_traitsISE_E10value_typeEPNSK_ISF_E10value_typeEPSG_NS1_7vsmem_tEENKUlT_SE_SF_SG_E_clIS8_S8_S9_S9_EESD_ST_SE_SF_SG_EUlST_E1_NS1_11comp_targetILNS1_3genE8ELNS1_11target_archE1030ELNS1_3gpuE2ELNS1_3repE0EEENS1_36merge_oddeven_config_static_selectorELNS0_4arch9wavefront6targetE0EEEvSF_,comdat
	.protected	_ZN7rocprim17ROCPRIM_400000_NS6detail17trampoline_kernelINS0_14default_configENS1_38merge_sort_block_merge_config_selectorIiNS0_10empty_typeEEEZZNS1_27merge_sort_block_merge_implIS3_PiPS5_jNS1_19radix_merge_compareILb1ELb1EiNS0_19identity_decomposerEEEEE10hipError_tT0_T1_T2_jT3_P12ihipStream_tbPNSt15iterator_traitsISE_E10value_typeEPNSK_ISF_E10value_typeEPSG_NS1_7vsmem_tEENKUlT_SE_SF_SG_E_clIS8_S8_S9_S9_EESD_ST_SE_SF_SG_EUlST_E1_NS1_11comp_targetILNS1_3genE8ELNS1_11target_archE1030ELNS1_3gpuE2ELNS1_3repE0EEENS1_36merge_oddeven_config_static_selectorELNS0_4arch9wavefront6targetE0EEEvSF_ ; -- Begin function _ZN7rocprim17ROCPRIM_400000_NS6detail17trampoline_kernelINS0_14default_configENS1_38merge_sort_block_merge_config_selectorIiNS0_10empty_typeEEEZZNS1_27merge_sort_block_merge_implIS3_PiPS5_jNS1_19radix_merge_compareILb1ELb1EiNS0_19identity_decomposerEEEEE10hipError_tT0_T1_T2_jT3_P12ihipStream_tbPNSt15iterator_traitsISE_E10value_typeEPNSK_ISF_E10value_typeEPSG_NS1_7vsmem_tEENKUlT_SE_SF_SG_E_clIS8_S8_S9_S9_EESD_ST_SE_SF_SG_EUlST_E1_NS1_11comp_targetILNS1_3genE8ELNS1_11target_archE1030ELNS1_3gpuE2ELNS1_3repE0EEENS1_36merge_oddeven_config_static_selectorELNS0_4arch9wavefront6targetE0EEEvSF_
	.globl	_ZN7rocprim17ROCPRIM_400000_NS6detail17trampoline_kernelINS0_14default_configENS1_38merge_sort_block_merge_config_selectorIiNS0_10empty_typeEEEZZNS1_27merge_sort_block_merge_implIS3_PiPS5_jNS1_19radix_merge_compareILb1ELb1EiNS0_19identity_decomposerEEEEE10hipError_tT0_T1_T2_jT3_P12ihipStream_tbPNSt15iterator_traitsISE_E10value_typeEPNSK_ISF_E10value_typeEPSG_NS1_7vsmem_tEENKUlT_SE_SF_SG_E_clIS8_S8_S9_S9_EESD_ST_SE_SF_SG_EUlST_E1_NS1_11comp_targetILNS1_3genE8ELNS1_11target_archE1030ELNS1_3gpuE2ELNS1_3repE0EEENS1_36merge_oddeven_config_static_selectorELNS0_4arch9wavefront6targetE0EEEvSF_
	.p2align	8
	.type	_ZN7rocprim17ROCPRIM_400000_NS6detail17trampoline_kernelINS0_14default_configENS1_38merge_sort_block_merge_config_selectorIiNS0_10empty_typeEEEZZNS1_27merge_sort_block_merge_implIS3_PiPS5_jNS1_19radix_merge_compareILb1ELb1EiNS0_19identity_decomposerEEEEE10hipError_tT0_T1_T2_jT3_P12ihipStream_tbPNSt15iterator_traitsISE_E10value_typeEPNSK_ISF_E10value_typeEPSG_NS1_7vsmem_tEENKUlT_SE_SF_SG_E_clIS8_S8_S9_S9_EESD_ST_SE_SF_SG_EUlST_E1_NS1_11comp_targetILNS1_3genE8ELNS1_11target_archE1030ELNS1_3gpuE2ELNS1_3repE0EEENS1_36merge_oddeven_config_static_selectorELNS0_4arch9wavefront6targetE0EEEvSF_,@function
_ZN7rocprim17ROCPRIM_400000_NS6detail17trampoline_kernelINS0_14default_configENS1_38merge_sort_block_merge_config_selectorIiNS0_10empty_typeEEEZZNS1_27merge_sort_block_merge_implIS3_PiPS5_jNS1_19radix_merge_compareILb1ELb1EiNS0_19identity_decomposerEEEEE10hipError_tT0_T1_T2_jT3_P12ihipStream_tbPNSt15iterator_traitsISE_E10value_typeEPNSK_ISF_E10value_typeEPSG_NS1_7vsmem_tEENKUlT_SE_SF_SG_E_clIS8_S8_S9_S9_EESD_ST_SE_SF_SG_EUlST_E1_NS1_11comp_targetILNS1_3genE8ELNS1_11target_archE1030ELNS1_3gpuE2ELNS1_3repE0EEENS1_36merge_oddeven_config_static_selectorELNS0_4arch9wavefront6targetE0EEEvSF_: ; @_ZN7rocprim17ROCPRIM_400000_NS6detail17trampoline_kernelINS0_14default_configENS1_38merge_sort_block_merge_config_selectorIiNS0_10empty_typeEEEZZNS1_27merge_sort_block_merge_implIS3_PiPS5_jNS1_19radix_merge_compareILb1ELb1EiNS0_19identity_decomposerEEEEE10hipError_tT0_T1_T2_jT3_P12ihipStream_tbPNSt15iterator_traitsISE_E10value_typeEPNSK_ISF_E10value_typeEPSG_NS1_7vsmem_tEENKUlT_SE_SF_SG_E_clIS8_S8_S9_S9_EESD_ST_SE_SF_SG_EUlST_E1_NS1_11comp_targetILNS1_3genE8ELNS1_11target_archE1030ELNS1_3gpuE2ELNS1_3repE0EEENS1_36merge_oddeven_config_static_selectorELNS0_4arch9wavefront6targetE0EEEvSF_
; %bb.0:
	.section	.rodata,"a",@progbits
	.p2align	6, 0x0
	.amdhsa_kernel _ZN7rocprim17ROCPRIM_400000_NS6detail17trampoline_kernelINS0_14default_configENS1_38merge_sort_block_merge_config_selectorIiNS0_10empty_typeEEEZZNS1_27merge_sort_block_merge_implIS3_PiPS5_jNS1_19radix_merge_compareILb1ELb1EiNS0_19identity_decomposerEEEEE10hipError_tT0_T1_T2_jT3_P12ihipStream_tbPNSt15iterator_traitsISE_E10value_typeEPNSK_ISF_E10value_typeEPSG_NS1_7vsmem_tEENKUlT_SE_SF_SG_E_clIS8_S8_S9_S9_EESD_ST_SE_SF_SG_EUlST_E1_NS1_11comp_targetILNS1_3genE8ELNS1_11target_archE1030ELNS1_3gpuE2ELNS1_3repE0EEENS1_36merge_oddeven_config_static_selectorELNS0_4arch9wavefront6targetE0EEEvSF_
		.amdhsa_group_segment_fixed_size 0
		.amdhsa_private_segment_fixed_size 0
		.amdhsa_kernarg_size 48
		.amdhsa_user_sgpr_count 2
		.amdhsa_user_sgpr_dispatch_ptr 0
		.amdhsa_user_sgpr_queue_ptr 0
		.amdhsa_user_sgpr_kernarg_segment_ptr 1
		.amdhsa_user_sgpr_dispatch_id 0
		.amdhsa_user_sgpr_kernarg_preload_length 0
		.amdhsa_user_sgpr_kernarg_preload_offset 0
		.amdhsa_user_sgpr_private_segment_size 0
		.amdhsa_wavefront_size32 1
		.amdhsa_uses_dynamic_stack 0
		.amdhsa_enable_private_segment 0
		.amdhsa_system_sgpr_workgroup_id_x 1
		.amdhsa_system_sgpr_workgroup_id_y 0
		.amdhsa_system_sgpr_workgroup_id_z 0
		.amdhsa_system_sgpr_workgroup_info 0
		.amdhsa_system_vgpr_workitem_id 0
		.amdhsa_next_free_vgpr 1
		.amdhsa_next_free_sgpr 1
		.amdhsa_named_barrier_count 0
		.amdhsa_reserve_vcc 0
		.amdhsa_float_round_mode_32 0
		.amdhsa_float_round_mode_16_64 0
		.amdhsa_float_denorm_mode_32 3
		.amdhsa_float_denorm_mode_16_64 3
		.amdhsa_fp16_overflow 0
		.amdhsa_memory_ordered 1
		.amdhsa_forward_progress 1
		.amdhsa_inst_pref_size 0
		.amdhsa_round_robin_scheduling 0
		.amdhsa_exception_fp_ieee_invalid_op 0
		.amdhsa_exception_fp_denorm_src 0
		.amdhsa_exception_fp_ieee_div_zero 0
		.amdhsa_exception_fp_ieee_overflow 0
		.amdhsa_exception_fp_ieee_underflow 0
		.amdhsa_exception_fp_ieee_inexact 0
		.amdhsa_exception_int_div_zero 0
	.end_amdhsa_kernel
	.section	.text._ZN7rocprim17ROCPRIM_400000_NS6detail17trampoline_kernelINS0_14default_configENS1_38merge_sort_block_merge_config_selectorIiNS0_10empty_typeEEEZZNS1_27merge_sort_block_merge_implIS3_PiPS5_jNS1_19radix_merge_compareILb1ELb1EiNS0_19identity_decomposerEEEEE10hipError_tT0_T1_T2_jT3_P12ihipStream_tbPNSt15iterator_traitsISE_E10value_typeEPNSK_ISF_E10value_typeEPSG_NS1_7vsmem_tEENKUlT_SE_SF_SG_E_clIS8_S8_S9_S9_EESD_ST_SE_SF_SG_EUlST_E1_NS1_11comp_targetILNS1_3genE8ELNS1_11target_archE1030ELNS1_3gpuE2ELNS1_3repE0EEENS1_36merge_oddeven_config_static_selectorELNS0_4arch9wavefront6targetE0EEEvSF_,"axG",@progbits,_ZN7rocprim17ROCPRIM_400000_NS6detail17trampoline_kernelINS0_14default_configENS1_38merge_sort_block_merge_config_selectorIiNS0_10empty_typeEEEZZNS1_27merge_sort_block_merge_implIS3_PiPS5_jNS1_19radix_merge_compareILb1ELb1EiNS0_19identity_decomposerEEEEE10hipError_tT0_T1_T2_jT3_P12ihipStream_tbPNSt15iterator_traitsISE_E10value_typeEPNSK_ISF_E10value_typeEPSG_NS1_7vsmem_tEENKUlT_SE_SF_SG_E_clIS8_S8_S9_S9_EESD_ST_SE_SF_SG_EUlST_E1_NS1_11comp_targetILNS1_3genE8ELNS1_11target_archE1030ELNS1_3gpuE2ELNS1_3repE0EEENS1_36merge_oddeven_config_static_selectorELNS0_4arch9wavefront6targetE0EEEvSF_,comdat
.Lfunc_end822:
	.size	_ZN7rocprim17ROCPRIM_400000_NS6detail17trampoline_kernelINS0_14default_configENS1_38merge_sort_block_merge_config_selectorIiNS0_10empty_typeEEEZZNS1_27merge_sort_block_merge_implIS3_PiPS5_jNS1_19radix_merge_compareILb1ELb1EiNS0_19identity_decomposerEEEEE10hipError_tT0_T1_T2_jT3_P12ihipStream_tbPNSt15iterator_traitsISE_E10value_typeEPNSK_ISF_E10value_typeEPSG_NS1_7vsmem_tEENKUlT_SE_SF_SG_E_clIS8_S8_S9_S9_EESD_ST_SE_SF_SG_EUlST_E1_NS1_11comp_targetILNS1_3genE8ELNS1_11target_archE1030ELNS1_3gpuE2ELNS1_3repE0EEENS1_36merge_oddeven_config_static_selectorELNS0_4arch9wavefront6targetE0EEEvSF_, .Lfunc_end822-_ZN7rocprim17ROCPRIM_400000_NS6detail17trampoline_kernelINS0_14default_configENS1_38merge_sort_block_merge_config_selectorIiNS0_10empty_typeEEEZZNS1_27merge_sort_block_merge_implIS3_PiPS5_jNS1_19radix_merge_compareILb1ELb1EiNS0_19identity_decomposerEEEEE10hipError_tT0_T1_T2_jT3_P12ihipStream_tbPNSt15iterator_traitsISE_E10value_typeEPNSK_ISF_E10value_typeEPSG_NS1_7vsmem_tEENKUlT_SE_SF_SG_E_clIS8_S8_S9_S9_EESD_ST_SE_SF_SG_EUlST_E1_NS1_11comp_targetILNS1_3genE8ELNS1_11target_archE1030ELNS1_3gpuE2ELNS1_3repE0EEENS1_36merge_oddeven_config_static_selectorELNS0_4arch9wavefront6targetE0EEEvSF_
                                        ; -- End function
	.set _ZN7rocprim17ROCPRIM_400000_NS6detail17trampoline_kernelINS0_14default_configENS1_38merge_sort_block_merge_config_selectorIiNS0_10empty_typeEEEZZNS1_27merge_sort_block_merge_implIS3_PiPS5_jNS1_19radix_merge_compareILb1ELb1EiNS0_19identity_decomposerEEEEE10hipError_tT0_T1_T2_jT3_P12ihipStream_tbPNSt15iterator_traitsISE_E10value_typeEPNSK_ISF_E10value_typeEPSG_NS1_7vsmem_tEENKUlT_SE_SF_SG_E_clIS8_S8_S9_S9_EESD_ST_SE_SF_SG_EUlST_E1_NS1_11comp_targetILNS1_3genE8ELNS1_11target_archE1030ELNS1_3gpuE2ELNS1_3repE0EEENS1_36merge_oddeven_config_static_selectorELNS0_4arch9wavefront6targetE0EEEvSF_.num_vgpr, 0
	.set _ZN7rocprim17ROCPRIM_400000_NS6detail17trampoline_kernelINS0_14default_configENS1_38merge_sort_block_merge_config_selectorIiNS0_10empty_typeEEEZZNS1_27merge_sort_block_merge_implIS3_PiPS5_jNS1_19radix_merge_compareILb1ELb1EiNS0_19identity_decomposerEEEEE10hipError_tT0_T1_T2_jT3_P12ihipStream_tbPNSt15iterator_traitsISE_E10value_typeEPNSK_ISF_E10value_typeEPSG_NS1_7vsmem_tEENKUlT_SE_SF_SG_E_clIS8_S8_S9_S9_EESD_ST_SE_SF_SG_EUlST_E1_NS1_11comp_targetILNS1_3genE8ELNS1_11target_archE1030ELNS1_3gpuE2ELNS1_3repE0EEENS1_36merge_oddeven_config_static_selectorELNS0_4arch9wavefront6targetE0EEEvSF_.num_agpr, 0
	.set _ZN7rocprim17ROCPRIM_400000_NS6detail17trampoline_kernelINS0_14default_configENS1_38merge_sort_block_merge_config_selectorIiNS0_10empty_typeEEEZZNS1_27merge_sort_block_merge_implIS3_PiPS5_jNS1_19radix_merge_compareILb1ELb1EiNS0_19identity_decomposerEEEEE10hipError_tT0_T1_T2_jT3_P12ihipStream_tbPNSt15iterator_traitsISE_E10value_typeEPNSK_ISF_E10value_typeEPSG_NS1_7vsmem_tEENKUlT_SE_SF_SG_E_clIS8_S8_S9_S9_EESD_ST_SE_SF_SG_EUlST_E1_NS1_11comp_targetILNS1_3genE8ELNS1_11target_archE1030ELNS1_3gpuE2ELNS1_3repE0EEENS1_36merge_oddeven_config_static_selectorELNS0_4arch9wavefront6targetE0EEEvSF_.numbered_sgpr, 0
	.set _ZN7rocprim17ROCPRIM_400000_NS6detail17trampoline_kernelINS0_14default_configENS1_38merge_sort_block_merge_config_selectorIiNS0_10empty_typeEEEZZNS1_27merge_sort_block_merge_implIS3_PiPS5_jNS1_19radix_merge_compareILb1ELb1EiNS0_19identity_decomposerEEEEE10hipError_tT0_T1_T2_jT3_P12ihipStream_tbPNSt15iterator_traitsISE_E10value_typeEPNSK_ISF_E10value_typeEPSG_NS1_7vsmem_tEENKUlT_SE_SF_SG_E_clIS8_S8_S9_S9_EESD_ST_SE_SF_SG_EUlST_E1_NS1_11comp_targetILNS1_3genE8ELNS1_11target_archE1030ELNS1_3gpuE2ELNS1_3repE0EEENS1_36merge_oddeven_config_static_selectorELNS0_4arch9wavefront6targetE0EEEvSF_.num_named_barrier, 0
	.set _ZN7rocprim17ROCPRIM_400000_NS6detail17trampoline_kernelINS0_14default_configENS1_38merge_sort_block_merge_config_selectorIiNS0_10empty_typeEEEZZNS1_27merge_sort_block_merge_implIS3_PiPS5_jNS1_19radix_merge_compareILb1ELb1EiNS0_19identity_decomposerEEEEE10hipError_tT0_T1_T2_jT3_P12ihipStream_tbPNSt15iterator_traitsISE_E10value_typeEPNSK_ISF_E10value_typeEPSG_NS1_7vsmem_tEENKUlT_SE_SF_SG_E_clIS8_S8_S9_S9_EESD_ST_SE_SF_SG_EUlST_E1_NS1_11comp_targetILNS1_3genE8ELNS1_11target_archE1030ELNS1_3gpuE2ELNS1_3repE0EEENS1_36merge_oddeven_config_static_selectorELNS0_4arch9wavefront6targetE0EEEvSF_.private_seg_size, 0
	.set _ZN7rocprim17ROCPRIM_400000_NS6detail17trampoline_kernelINS0_14default_configENS1_38merge_sort_block_merge_config_selectorIiNS0_10empty_typeEEEZZNS1_27merge_sort_block_merge_implIS3_PiPS5_jNS1_19radix_merge_compareILb1ELb1EiNS0_19identity_decomposerEEEEE10hipError_tT0_T1_T2_jT3_P12ihipStream_tbPNSt15iterator_traitsISE_E10value_typeEPNSK_ISF_E10value_typeEPSG_NS1_7vsmem_tEENKUlT_SE_SF_SG_E_clIS8_S8_S9_S9_EESD_ST_SE_SF_SG_EUlST_E1_NS1_11comp_targetILNS1_3genE8ELNS1_11target_archE1030ELNS1_3gpuE2ELNS1_3repE0EEENS1_36merge_oddeven_config_static_selectorELNS0_4arch9wavefront6targetE0EEEvSF_.uses_vcc, 0
	.set _ZN7rocprim17ROCPRIM_400000_NS6detail17trampoline_kernelINS0_14default_configENS1_38merge_sort_block_merge_config_selectorIiNS0_10empty_typeEEEZZNS1_27merge_sort_block_merge_implIS3_PiPS5_jNS1_19radix_merge_compareILb1ELb1EiNS0_19identity_decomposerEEEEE10hipError_tT0_T1_T2_jT3_P12ihipStream_tbPNSt15iterator_traitsISE_E10value_typeEPNSK_ISF_E10value_typeEPSG_NS1_7vsmem_tEENKUlT_SE_SF_SG_E_clIS8_S8_S9_S9_EESD_ST_SE_SF_SG_EUlST_E1_NS1_11comp_targetILNS1_3genE8ELNS1_11target_archE1030ELNS1_3gpuE2ELNS1_3repE0EEENS1_36merge_oddeven_config_static_selectorELNS0_4arch9wavefront6targetE0EEEvSF_.uses_flat_scratch, 0
	.set _ZN7rocprim17ROCPRIM_400000_NS6detail17trampoline_kernelINS0_14default_configENS1_38merge_sort_block_merge_config_selectorIiNS0_10empty_typeEEEZZNS1_27merge_sort_block_merge_implIS3_PiPS5_jNS1_19radix_merge_compareILb1ELb1EiNS0_19identity_decomposerEEEEE10hipError_tT0_T1_T2_jT3_P12ihipStream_tbPNSt15iterator_traitsISE_E10value_typeEPNSK_ISF_E10value_typeEPSG_NS1_7vsmem_tEENKUlT_SE_SF_SG_E_clIS8_S8_S9_S9_EESD_ST_SE_SF_SG_EUlST_E1_NS1_11comp_targetILNS1_3genE8ELNS1_11target_archE1030ELNS1_3gpuE2ELNS1_3repE0EEENS1_36merge_oddeven_config_static_selectorELNS0_4arch9wavefront6targetE0EEEvSF_.has_dyn_sized_stack, 0
	.set _ZN7rocprim17ROCPRIM_400000_NS6detail17trampoline_kernelINS0_14default_configENS1_38merge_sort_block_merge_config_selectorIiNS0_10empty_typeEEEZZNS1_27merge_sort_block_merge_implIS3_PiPS5_jNS1_19radix_merge_compareILb1ELb1EiNS0_19identity_decomposerEEEEE10hipError_tT0_T1_T2_jT3_P12ihipStream_tbPNSt15iterator_traitsISE_E10value_typeEPNSK_ISF_E10value_typeEPSG_NS1_7vsmem_tEENKUlT_SE_SF_SG_E_clIS8_S8_S9_S9_EESD_ST_SE_SF_SG_EUlST_E1_NS1_11comp_targetILNS1_3genE8ELNS1_11target_archE1030ELNS1_3gpuE2ELNS1_3repE0EEENS1_36merge_oddeven_config_static_selectorELNS0_4arch9wavefront6targetE0EEEvSF_.has_recursion, 0
	.set _ZN7rocprim17ROCPRIM_400000_NS6detail17trampoline_kernelINS0_14default_configENS1_38merge_sort_block_merge_config_selectorIiNS0_10empty_typeEEEZZNS1_27merge_sort_block_merge_implIS3_PiPS5_jNS1_19radix_merge_compareILb1ELb1EiNS0_19identity_decomposerEEEEE10hipError_tT0_T1_T2_jT3_P12ihipStream_tbPNSt15iterator_traitsISE_E10value_typeEPNSK_ISF_E10value_typeEPSG_NS1_7vsmem_tEENKUlT_SE_SF_SG_E_clIS8_S8_S9_S9_EESD_ST_SE_SF_SG_EUlST_E1_NS1_11comp_targetILNS1_3genE8ELNS1_11target_archE1030ELNS1_3gpuE2ELNS1_3repE0EEENS1_36merge_oddeven_config_static_selectorELNS0_4arch9wavefront6targetE0EEEvSF_.has_indirect_call, 0
	.section	.AMDGPU.csdata,"",@progbits
; Kernel info:
; codeLenInByte = 0
; TotalNumSgprs: 0
; NumVgprs: 0
; ScratchSize: 0
; MemoryBound: 0
; FloatMode: 240
; IeeeMode: 1
; LDSByteSize: 0 bytes/workgroup (compile time only)
; SGPRBlocks: 0
; VGPRBlocks: 0
; NumSGPRsForWavesPerEU: 1
; NumVGPRsForWavesPerEU: 1
; NamedBarCnt: 0
; Occupancy: 16
; WaveLimiterHint : 0
; COMPUTE_PGM_RSRC2:SCRATCH_EN: 0
; COMPUTE_PGM_RSRC2:USER_SGPR: 2
; COMPUTE_PGM_RSRC2:TRAP_HANDLER: 0
; COMPUTE_PGM_RSRC2:TGID_X_EN: 1
; COMPUTE_PGM_RSRC2:TGID_Y_EN: 0
; COMPUTE_PGM_RSRC2:TGID_Z_EN: 0
; COMPUTE_PGM_RSRC2:TIDIG_COMP_CNT: 0
	.section	.text._ZN7rocprim17ROCPRIM_400000_NS6detail17trampoline_kernelINS0_14default_configENS1_35radix_sort_onesweep_config_selectorIiNS0_10empty_typeEEEZNS1_34radix_sort_onesweep_global_offsetsIS3_Lb1EPKiPS5_mNS0_19identity_decomposerEEE10hipError_tT1_T2_PT3_SF_jT4_jjP12ihipStream_tbEUlT_E_NS1_11comp_targetILNS1_3genE0ELNS1_11target_archE4294967295ELNS1_3gpuE0ELNS1_3repE0EEENS1_52radix_sort_onesweep_histogram_config_static_selectorELNS0_4arch9wavefront6targetE0EEEvSD_,"axG",@progbits,_ZN7rocprim17ROCPRIM_400000_NS6detail17trampoline_kernelINS0_14default_configENS1_35radix_sort_onesweep_config_selectorIiNS0_10empty_typeEEEZNS1_34radix_sort_onesweep_global_offsetsIS3_Lb1EPKiPS5_mNS0_19identity_decomposerEEE10hipError_tT1_T2_PT3_SF_jT4_jjP12ihipStream_tbEUlT_E_NS1_11comp_targetILNS1_3genE0ELNS1_11target_archE4294967295ELNS1_3gpuE0ELNS1_3repE0EEENS1_52radix_sort_onesweep_histogram_config_static_selectorELNS0_4arch9wavefront6targetE0EEEvSD_,comdat
	.protected	_ZN7rocprim17ROCPRIM_400000_NS6detail17trampoline_kernelINS0_14default_configENS1_35radix_sort_onesweep_config_selectorIiNS0_10empty_typeEEEZNS1_34radix_sort_onesweep_global_offsetsIS3_Lb1EPKiPS5_mNS0_19identity_decomposerEEE10hipError_tT1_T2_PT3_SF_jT4_jjP12ihipStream_tbEUlT_E_NS1_11comp_targetILNS1_3genE0ELNS1_11target_archE4294967295ELNS1_3gpuE0ELNS1_3repE0EEENS1_52radix_sort_onesweep_histogram_config_static_selectorELNS0_4arch9wavefront6targetE0EEEvSD_ ; -- Begin function _ZN7rocprim17ROCPRIM_400000_NS6detail17trampoline_kernelINS0_14default_configENS1_35radix_sort_onesweep_config_selectorIiNS0_10empty_typeEEEZNS1_34radix_sort_onesweep_global_offsetsIS3_Lb1EPKiPS5_mNS0_19identity_decomposerEEE10hipError_tT1_T2_PT3_SF_jT4_jjP12ihipStream_tbEUlT_E_NS1_11comp_targetILNS1_3genE0ELNS1_11target_archE4294967295ELNS1_3gpuE0ELNS1_3repE0EEENS1_52radix_sort_onesweep_histogram_config_static_selectorELNS0_4arch9wavefront6targetE0EEEvSD_
	.globl	_ZN7rocprim17ROCPRIM_400000_NS6detail17trampoline_kernelINS0_14default_configENS1_35radix_sort_onesweep_config_selectorIiNS0_10empty_typeEEEZNS1_34radix_sort_onesweep_global_offsetsIS3_Lb1EPKiPS5_mNS0_19identity_decomposerEEE10hipError_tT1_T2_PT3_SF_jT4_jjP12ihipStream_tbEUlT_E_NS1_11comp_targetILNS1_3genE0ELNS1_11target_archE4294967295ELNS1_3gpuE0ELNS1_3repE0EEENS1_52radix_sort_onesweep_histogram_config_static_selectorELNS0_4arch9wavefront6targetE0EEEvSD_
	.p2align	8
	.type	_ZN7rocprim17ROCPRIM_400000_NS6detail17trampoline_kernelINS0_14default_configENS1_35radix_sort_onesweep_config_selectorIiNS0_10empty_typeEEEZNS1_34radix_sort_onesweep_global_offsetsIS3_Lb1EPKiPS5_mNS0_19identity_decomposerEEE10hipError_tT1_T2_PT3_SF_jT4_jjP12ihipStream_tbEUlT_E_NS1_11comp_targetILNS1_3genE0ELNS1_11target_archE4294967295ELNS1_3gpuE0ELNS1_3repE0EEENS1_52radix_sort_onesweep_histogram_config_static_selectorELNS0_4arch9wavefront6targetE0EEEvSD_,@function
_ZN7rocprim17ROCPRIM_400000_NS6detail17trampoline_kernelINS0_14default_configENS1_35radix_sort_onesweep_config_selectorIiNS0_10empty_typeEEEZNS1_34radix_sort_onesweep_global_offsetsIS3_Lb1EPKiPS5_mNS0_19identity_decomposerEEE10hipError_tT1_T2_PT3_SF_jT4_jjP12ihipStream_tbEUlT_E_NS1_11comp_targetILNS1_3genE0ELNS1_11target_archE4294967295ELNS1_3gpuE0ELNS1_3repE0EEENS1_52radix_sort_onesweep_histogram_config_static_selectorELNS0_4arch9wavefront6targetE0EEEvSD_: ; @_ZN7rocprim17ROCPRIM_400000_NS6detail17trampoline_kernelINS0_14default_configENS1_35radix_sort_onesweep_config_selectorIiNS0_10empty_typeEEEZNS1_34radix_sort_onesweep_global_offsetsIS3_Lb1EPKiPS5_mNS0_19identity_decomposerEEE10hipError_tT1_T2_PT3_SF_jT4_jjP12ihipStream_tbEUlT_E_NS1_11comp_targetILNS1_3genE0ELNS1_11target_archE4294967295ELNS1_3gpuE0ELNS1_3repE0EEENS1_52radix_sort_onesweep_histogram_config_static_selectorELNS0_4arch9wavefront6targetE0EEEvSD_
; %bb.0:
	s_clause 0x1
	s_load_b64 s[8:9], s[0:1], 0x18
	s_load_b128 s[4:7], s[0:1], 0x0
	s_bfe_u32 s10, ttmp6, 0x4000c
	s_load_b64 s[2:3], s[0:1], 0x24
	s_add_co_i32 s10, s10, 1
	s_and_b32 s11, ttmp6, 15
	s_mul_i32 s10, ttmp9, s10
	s_getreg_b32 s12, hwreg(HW_REG_IB_STS2, 6, 4)
	s_add_co_i32 s10, s11, s10
	s_cmp_eq_u32 s12, 0
	s_mov_b32 s11, 0
	s_cselect_b32 s10, ttmp9, s10
	s_wait_kmcnt 0x0
	v_cmp_le_u64_e64 s9, s[8:9], s[10:11]
	s_mul_u64 s[10:11], s[10:11], 0x6000
	s_delay_alu instid0(SALU_CYCLE_1)
	s_add_nc_u64 s[4:5], s[4:5], s[10:11]
	s_and_b32 vcc_lo, exec_lo, s9
	s_mov_b32 s9, -1
	s_cbranch_vccz .LBB823_243
; %bb.1:
	s_load_b32 s1, s[0:1], 0x10
	s_wait_xcnt 0x0
	s_mul_i32 s0, s8, 0xffffe800
                                        ; implicit-def: $vgpr25
	s_wait_kmcnt 0x0
	s_add_co_i32 s1, s1, s0
	s_mov_b32 s0, exec_lo
	v_cmpx_gt_u32_e64 s1, v0
	s_cbranch_execz .LBB823_3
; %bb.2:
	global_load_b32 v1, v0, s[4:5] scale_offset
	s_wait_loadcnt 0x0
	v_xor_b32_e32 v25, 0x7fffffff, v1
.LBB823_3:
	s_or_b32 exec_lo, exec_lo, s0
	v_or_b32_e32 v24, 0x200, v0
	s_mov_b32 s0, exec_lo
                                        ; implicit-def: $vgpr23
	s_delay_alu instid0(VALU_DEP_1)
	v_cmpx_gt_u32_e64 s1, v24
	s_cbranch_execz .LBB823_5
; %bb.4:
	global_load_b32 v1, v0, s[4:5] offset:2048 scale_offset
	s_wait_loadcnt 0x0
	v_xor_b32_e32 v23, 0x7fffffff, v1
.LBB823_5:
	s_or_b32 exec_lo, exec_lo, s0
	v_or_b32_e32 v22, 0x400, v0
	s_mov_b32 s0, exec_lo
                                        ; implicit-def: $vgpr21
	s_delay_alu instid0(VALU_DEP_1)
	v_cmpx_gt_u32_e64 s1, v22
	s_cbranch_execz .LBB823_7
; %bb.6:
	global_load_b32 v1, v0, s[4:5] offset:4096 scale_offset
	s_wait_loadcnt 0x0
	v_xor_b32_e32 v21, 0x7fffffff, v1
.LBB823_7:
	s_or_b32 exec_lo, exec_lo, s0
	v_or_b32_e32 v20, 0x600, v0
	s_mov_b32 s0, exec_lo
                                        ; implicit-def: $vgpr19
	s_delay_alu instid0(VALU_DEP_1)
	v_cmpx_gt_u32_e64 s1, v20
	s_cbranch_execz .LBB823_9
; %bb.8:
	global_load_b32 v1, v0, s[4:5] offset:6144 scale_offset
	s_wait_loadcnt 0x0
	v_xor_b32_e32 v19, 0x7fffffff, v1
.LBB823_9:
	s_or_b32 exec_lo, exec_lo, s0
	v_or_b32_e32 v18, 0x800, v0
	s_mov_b32 s0, exec_lo
                                        ; implicit-def: $vgpr17
	s_delay_alu instid0(VALU_DEP_1)
	v_cmpx_gt_u32_e64 s1, v18
	s_cbranch_execz .LBB823_11
; %bb.10:
	global_load_b32 v1, v0, s[4:5] offset:8192 scale_offset
	s_wait_loadcnt 0x0
	v_xor_b32_e32 v17, 0x7fffffff, v1
.LBB823_11:
	s_or_b32 exec_lo, exec_lo, s0
	v_or_b32_e32 v16, 0xa00, v0
	s_mov_b32 s0, exec_lo
                                        ; implicit-def: $vgpr15
	s_delay_alu instid0(VALU_DEP_1)
	v_cmpx_gt_u32_e64 s1, v16
	s_cbranch_execz .LBB823_13
; %bb.12:
	global_load_b32 v1, v0, s[4:5] offset:10240 scale_offset
	s_wait_loadcnt 0x0
	v_xor_b32_e32 v15, 0x7fffffff, v1
.LBB823_13:
	s_or_b32 exec_lo, exec_lo, s0
	v_or_b32_e32 v14, 0xc00, v0
	s_mov_b32 s0, exec_lo
                                        ; implicit-def: $vgpr13
	s_delay_alu instid0(VALU_DEP_1)
	v_cmpx_gt_u32_e64 s1, v14
	s_cbranch_execz .LBB823_15
; %bb.14:
	global_load_b32 v1, v0, s[4:5] offset:12288 scale_offset
	s_wait_loadcnt 0x0
	v_xor_b32_e32 v13, 0x7fffffff, v1
.LBB823_15:
	s_or_b32 exec_lo, exec_lo, s0
	v_or_b32_e32 v12, 0xe00, v0
	s_mov_b32 s0, exec_lo
                                        ; implicit-def: $vgpr11
	s_delay_alu instid0(VALU_DEP_1)
	v_cmpx_gt_u32_e64 s1, v12
	s_cbranch_execz .LBB823_17
; %bb.16:
	global_load_b32 v1, v0, s[4:5] offset:14336 scale_offset
	s_wait_loadcnt 0x0
	v_xor_b32_e32 v11, 0x7fffffff, v1
.LBB823_17:
	s_or_b32 exec_lo, exec_lo, s0
	v_or_b32_e32 v10, 0x1000, v0
	s_mov_b32 s0, exec_lo
                                        ; implicit-def: $vgpr9
	s_delay_alu instid0(VALU_DEP_1)
	v_cmpx_gt_u32_e64 s1, v10
	s_cbranch_execz .LBB823_19
; %bb.18:
	global_load_b32 v1, v0, s[4:5] offset:16384 scale_offset
	s_wait_loadcnt 0x0
	v_xor_b32_e32 v9, 0x7fffffff, v1
.LBB823_19:
	s_or_b32 exec_lo, exec_lo, s0
	v_or_b32_e32 v8, 0x1200, v0
	s_mov_b32 s0, exec_lo
                                        ; implicit-def: $vgpr7
	s_delay_alu instid0(VALU_DEP_1)
	v_cmpx_gt_u32_e64 s1, v8
	s_cbranch_execz .LBB823_21
; %bb.20:
	global_load_b32 v1, v0, s[4:5] offset:18432 scale_offset
	s_wait_loadcnt 0x0
	v_xor_b32_e32 v7, 0x7fffffff, v1
.LBB823_21:
	s_or_b32 exec_lo, exec_lo, s0
	v_or_b32_e32 v6, 0x1400, v0
	s_mov_b32 s0, exec_lo
                                        ; implicit-def: $vgpr5
	s_delay_alu instid0(VALU_DEP_1)
	v_cmpx_gt_u32_e64 s1, v6
	s_cbranch_execz .LBB823_23
; %bb.22:
	global_load_b32 v1, v0, s[4:5] offset:20480 scale_offset
	s_wait_loadcnt 0x0
	v_xor_b32_e32 v5, 0x7fffffff, v1
.LBB823_23:
	s_or_b32 exec_lo, exec_lo, s0
	v_or_b32_e32 v4, 0x1600, v0
	s_mov_b32 s0, exec_lo
                                        ; implicit-def: $vgpr2
	s_delay_alu instid0(VALU_DEP_1)
	v_cmpx_gt_u32_e64 s1, v4
	s_cbranch_execz .LBB823_25
; %bb.24:
	global_load_b32 v1, v0, s[4:5] offset:22528 scale_offset
	s_wait_loadcnt 0x0
	v_xor_b32_e32 v2, 0x7fffffff, v1
.LBB823_25:
	s_or_b32 exec_lo, exec_lo, s0
	v_dual_lshlrev_b32 v1, 2, v0 :: v_dual_mov_b32 v3, 0
	s_mov_b32 s0, -1
	ds_store_2addr_stride64_b32 v1, v3, v3 offset1:8
	ds_store_2addr_stride64_b32 v1, v3, v3 offset0:16 offset1:24
	s_and_saveexec_b32 s8, s0
; %bb.26:
	ds_store_b32 v1, v3 offset:8192
; %bb.27:
	s_or_b32 exec_lo, exec_lo, s8
	s_and_saveexec_b32 s8, s0
; %bb.28:
	v_mov_b32_e32 v3, 0
	ds_store_b32 v1, v3 offset:10240
; %bb.29:
	s_or_b32 exec_lo, exec_lo, s8
	v_cmp_gt_u32_e64 s0, 7, 6
	s_mov_b32 s8, exec_lo
	v_cmpx_gt_u32_e64 7, 5
; %bb.30:
	v_mov_b32_e32 v3, 0
	ds_store_b32 v1, v3 offset:12288
; %bb.31:
	s_or_b32 exec_lo, exec_lo, s8
	s_and_saveexec_b32 s8, s0
; %bb.32:
	v_mov_b32_e32 v3, 0
	ds_store_b32 v1, v3 offset:14336
; %bb.33:
	s_or_b32 exec_lo, exec_lo, s8
	s_cmp_le_u32 s3, s2
	v_cmp_le_u32_e32 vcc_lo, s1, v0
	s_cselect_b32 s8, -1, 0
	s_wait_dscnt 0x0
	s_and_b32 s0, s8, exec_lo
	s_cselect_b32 s9, 8, 10
	s_delay_alu instid0(SALU_CYCLE_1)
	v_dual_mov_b32 v26, s9 :: v_dual_bitop2_b32 v3, 3, v0 bitop3:0x40
	s_nor_b32 s10, s8, vcc_lo
	s_barrier_signal -1
	s_barrier_wait -1
	s_and_saveexec_b32 s0, s10
	s_cbranch_execz .LBB823_35
; %bb.34:
	v_dual_lshrrev_b32 v26, s2, v25 :: v_dual_lshlrev_b32 v27, 2, v3
	s_sub_co_i32 s10, s3, s2
	s_delay_alu instid0(SALU_CYCLE_1)
	s_min_u32 s10, s10, 8
	s_delay_alu instid0(VALU_DEP_1) | instid1(SALU_CYCLE_1)
	v_bfe_u32 v26, v26, 0, s10
	s_delay_alu instid0(VALU_DEP_1)
	v_lshl_or_b32 v26, v26, 4, v27
	v_mov_b32_e32 v27, 1
	ds_add_u32 v26, v27
	v_mov_b32_e32 v26, 0
.LBB823_35:
	s_or_b32 exec_lo, exec_lo, s0
	s_mov_b32 s11, -1
	s_mov_b32 s10, exec_lo
	s_delay_alu instid0(VALU_DEP_1)
	v_cmpx_gt_i32_e32 10, v26
; %bb.36:
	v_cmp_eq_u32_e64 s0, 0, v26
	s_or_not1_b32 s11, s0, exec_lo
; %bb.37:
	s_or_b32 exec_lo, exec_lo, s10
	s_and_saveexec_b32 s10, s11
	s_cbranch_execz .LBB823_50
; %bb.38:
	s_add_co_i32 s11, s2, 8
	s_delay_alu instid0(SALU_CYCLE_1) | instskip(SKIP_1) | instid1(SALU_CYCLE_1)
	s_cmp_le_u32 s3, s11
	s_cselect_b32 s0, -1, 0
	s_and_b32 s12, s0, exec_lo
	s_cselect_b32 s12, 8, 10
	s_delay_alu instid0(SALU_CYCLE_1) | instskip(SKIP_1) | instid1(SALU_CYCLE_1)
	v_mov_b32_e32 v26, s12
	s_nor_b32 s12, s0, vcc_lo
	s_and_saveexec_b32 s0, s12
	s_cbranch_execz .LBB823_40
; %bb.39:
	v_dual_lshrrev_b32 v26, s11, v25 :: v_dual_lshlrev_b32 v27, 2, v3
	s_sub_co_i32 s11, s3, s11
	s_delay_alu instid0(SALU_CYCLE_1)
	s_min_u32 s11, s11, 8
	s_delay_alu instid0(VALU_DEP_1) | instid1(SALU_CYCLE_1)
	v_bfe_u32 v26, v26, 0, s11
	s_delay_alu instid0(VALU_DEP_1)
	v_lshl_or_b32 v26, v26, 4, v27
	v_mov_b32_e32 v27, 1
	ds_add_u32 v26, v27 offset:4096
	v_mov_b32_e32 v26, 0
.LBB823_40:
	s_or_b32 exec_lo, exec_lo, s0
	s_mov_b32 s11, -1
	s_mov_b32 s12, exec_lo
	s_delay_alu instid0(VALU_DEP_1)
	v_cmpx_gt_i32_e32 10, v26
; %bb.41:
	v_cmp_eq_u32_e64 s0, 0, v26
	s_or_not1_b32 s11, s0, exec_lo
; %bb.42:
	s_or_b32 exec_lo, exec_lo, s12
	s_delay_alu instid0(SALU_CYCLE_1)
	s_and_b32 exec_lo, exec_lo, s11
	s_cbranch_execz .LBB823_50
; %bb.43:
	s_add_co_i32 s11, s2, 16
	s_delay_alu instid0(SALU_CYCLE_1) | instskip(SKIP_1) | instid1(SALU_CYCLE_1)
	s_cmp_le_u32 s3, s11
	s_cselect_b32 s0, -1, 0
	s_and_b32 s12, s0, exec_lo
	s_cselect_b32 s12, 8, 10
	s_delay_alu instid0(SALU_CYCLE_1) | instskip(SKIP_1) | instid1(SALU_CYCLE_1)
	v_mov_b32_e32 v26, s12
	s_nor_b32 s12, s0, vcc_lo
	s_and_saveexec_b32 s0, s12
	s_cbranch_execz .LBB823_45
; %bb.44:
	v_dual_lshrrev_b32 v26, s11, v25 :: v_dual_lshlrev_b32 v27, 2, v3
	s_sub_co_i32 s11, s3, s11
	s_delay_alu instid0(SALU_CYCLE_1)
	s_min_u32 s11, s11, 8
	s_delay_alu instid0(VALU_DEP_1) | instid1(SALU_CYCLE_1)
	v_bfe_u32 v26, v26, 0, s11
	s_delay_alu instid0(VALU_DEP_1)
	v_lshl_or_b32 v26, v26, 4, v27
	v_mov_b32_e32 v27, 1
	ds_add_u32 v26, v27 offset:8192
	v_mov_b32_e32 v26, 0
.LBB823_45:
	s_or_b32 exec_lo, exec_lo, s0
	s_mov_b32 s11, -1
	s_mov_b32 s12, exec_lo
	s_delay_alu instid0(VALU_DEP_1)
	v_cmpx_gt_i32_e32 10, v26
; %bb.46:
	v_cmp_eq_u32_e64 s0, 0, v26
	s_or_not1_b32 s11, s0, exec_lo
; %bb.47:
	s_or_b32 exec_lo, exec_lo, s12
	s_delay_alu instid0(SALU_CYCLE_1)
	s_and_b32 exec_lo, exec_lo, s11
	s_cbranch_execz .LBB823_50
; %bb.48:
	s_add_co_i32 s0, s2, 24
	s_delay_alu instid0(SALU_CYCLE_1) | instskip(SKIP_2) | instid1(SALU_CYCLE_1)
	s_cmp_gt_u32 s3, s0
	s_cselect_b32 s11, -1, 0
	s_xor_b32 s12, vcc_lo, -1
	s_and_b32 s11, s11, s12
	s_delay_alu instid0(SALU_CYCLE_1)
	s_and_b32 exec_lo, exec_lo, s11
	s_cbranch_execz .LBB823_50
; %bb.49:
	v_dual_lshrrev_b32 v25, s0, v25 :: v_dual_lshlrev_b32 v26, 2, v3
	s_sub_co_i32 s0, s3, s0
	s_delay_alu instid0(SALU_CYCLE_1)
	s_min_u32 s0, s0, 8
	s_delay_alu instid0(VALU_DEP_1) | instid1(SALU_CYCLE_1)
	v_bfe_u32 v25, v25, 0, s0
	s_delay_alu instid0(VALU_DEP_1)
	v_lshl_or_b32 v25, v25, 4, v26
	v_mov_b32_e32 v26, 1
	ds_add_u32 v25, v26 offset:12288
.LBB823_50:
	s_or_b32 exec_lo, exec_lo, s10
	v_cmp_le_u32_e32 vcc_lo, s1, v24
	v_mov_b32_e32 v24, s9
	s_nor_b32 s10, s8, vcc_lo
	s_delay_alu instid0(SALU_CYCLE_1)
	s_and_saveexec_b32 s0, s10
	s_cbranch_execz .LBB823_52
; %bb.51:
	v_lshrrev_b32_e32 v24, s2, v23
	s_sub_co_i32 s10, s3, s2
	v_lshlrev_b32_e32 v25, 2, v3
	s_min_u32 s10, s10, 8
	s_delay_alu instid0(VALU_DEP_2) | instid1(SALU_CYCLE_1)
	v_bfe_u32 v24, v24, 0, s10
	s_delay_alu instid0(VALU_DEP_1)
	v_lshl_or_b32 v24, v24, 4, v25
	v_mov_b32_e32 v25, 1
	ds_add_u32 v24, v25
	v_mov_b32_e32 v24, 0
.LBB823_52:
	s_or_b32 exec_lo, exec_lo, s0
	s_mov_b32 s11, -1
	s_mov_b32 s10, exec_lo
	s_delay_alu instid0(VALU_DEP_1)
	v_cmpx_gt_i32_e32 10, v24
; %bb.53:
	v_cmp_eq_u32_e64 s0, 0, v24
	s_or_not1_b32 s11, s0, exec_lo
; %bb.54:
	s_or_b32 exec_lo, exec_lo, s10
	s_and_saveexec_b32 s10, s11
	s_cbranch_execz .LBB823_67
; %bb.55:
	s_add_co_i32 s11, s2, 8
	s_delay_alu instid0(SALU_CYCLE_1) | instskip(SKIP_1) | instid1(SALU_CYCLE_1)
	s_cmp_le_u32 s3, s11
	s_cselect_b32 s0, -1, 0
	s_and_b32 s12, s0, exec_lo
	s_cselect_b32 s12, 8, 10
	s_delay_alu instid0(SALU_CYCLE_1) | instskip(SKIP_1) | instid1(SALU_CYCLE_1)
	v_mov_b32_e32 v24, s12
	s_nor_b32 s12, s0, vcc_lo
	s_and_saveexec_b32 s0, s12
	s_cbranch_execz .LBB823_57
; %bb.56:
	v_lshrrev_b32_e32 v24, s11, v23
	s_sub_co_i32 s11, s3, s11
	v_lshlrev_b32_e32 v25, 2, v3
	s_min_u32 s11, s11, 8
	s_delay_alu instid0(VALU_DEP_2) | instid1(SALU_CYCLE_1)
	v_bfe_u32 v24, v24, 0, s11
	s_delay_alu instid0(VALU_DEP_1)
	v_lshl_or_b32 v24, v24, 4, v25
	v_mov_b32_e32 v25, 1
	ds_add_u32 v24, v25 offset:4096
	v_mov_b32_e32 v24, 0
.LBB823_57:
	s_or_b32 exec_lo, exec_lo, s0
	s_mov_b32 s11, -1
	s_mov_b32 s12, exec_lo
	s_delay_alu instid0(VALU_DEP_1)
	v_cmpx_gt_i32_e32 10, v24
; %bb.58:
	v_cmp_eq_u32_e64 s0, 0, v24
	s_or_not1_b32 s11, s0, exec_lo
; %bb.59:
	s_or_b32 exec_lo, exec_lo, s12
	s_delay_alu instid0(SALU_CYCLE_1)
	s_and_b32 exec_lo, exec_lo, s11
	s_cbranch_execz .LBB823_67
; %bb.60:
	s_add_co_i32 s11, s2, 16
	s_delay_alu instid0(SALU_CYCLE_1) | instskip(SKIP_1) | instid1(SALU_CYCLE_1)
	s_cmp_le_u32 s3, s11
	s_cselect_b32 s0, -1, 0
	s_and_b32 s12, s0, exec_lo
	s_cselect_b32 s12, 8, 10
	s_delay_alu instid0(SALU_CYCLE_1) | instskip(SKIP_1) | instid1(SALU_CYCLE_1)
	v_mov_b32_e32 v24, s12
	s_nor_b32 s12, s0, vcc_lo
	s_and_saveexec_b32 s0, s12
	s_cbranch_execz .LBB823_62
; %bb.61:
	v_lshrrev_b32_e32 v24, s11, v23
	s_sub_co_i32 s11, s3, s11
	v_lshlrev_b32_e32 v25, 2, v3
	s_min_u32 s11, s11, 8
	s_delay_alu instid0(VALU_DEP_2) | instid1(SALU_CYCLE_1)
	v_bfe_u32 v24, v24, 0, s11
	s_delay_alu instid0(VALU_DEP_1)
	v_lshl_or_b32 v24, v24, 4, v25
	v_mov_b32_e32 v25, 1
	ds_add_u32 v24, v25 offset:8192
	v_mov_b32_e32 v24, 0
.LBB823_62:
	s_or_b32 exec_lo, exec_lo, s0
	s_mov_b32 s11, -1
	s_mov_b32 s12, exec_lo
	s_delay_alu instid0(VALU_DEP_1)
	v_cmpx_gt_i32_e32 10, v24
; %bb.63:
	v_cmp_eq_u32_e64 s0, 0, v24
	s_or_not1_b32 s11, s0, exec_lo
; %bb.64:
	s_or_b32 exec_lo, exec_lo, s12
	s_delay_alu instid0(SALU_CYCLE_1)
	s_and_b32 exec_lo, exec_lo, s11
	s_cbranch_execz .LBB823_67
; %bb.65:
	s_add_co_i32 s0, s2, 24
	s_delay_alu instid0(SALU_CYCLE_1) | instskip(SKIP_2) | instid1(SALU_CYCLE_1)
	s_cmp_gt_u32 s3, s0
	s_cselect_b32 s11, -1, 0
	s_xor_b32 s12, vcc_lo, -1
	s_and_b32 s11, s11, s12
	s_delay_alu instid0(SALU_CYCLE_1)
	s_and_b32 exec_lo, exec_lo, s11
	s_cbranch_execz .LBB823_67
; %bb.66:
	v_lshrrev_b32_e32 v23, s0, v23
	s_sub_co_i32 s0, s3, s0
	v_lshlrev_b32_e32 v24, 2, v3
	s_min_u32 s0, s0, 8
	s_delay_alu instid0(VALU_DEP_2) | instid1(SALU_CYCLE_1)
	v_bfe_u32 v23, v23, 0, s0
	s_delay_alu instid0(VALU_DEP_1)
	v_lshl_or_b32 v23, v23, 4, v24
	v_mov_b32_e32 v24, 1
	ds_add_u32 v23, v24 offset:12288
.LBB823_67:
	s_or_b32 exec_lo, exec_lo, s10
	v_cmp_le_u32_e32 vcc_lo, s1, v22
	v_mov_b32_e32 v22, s9
	s_nor_b32 s10, s8, vcc_lo
	s_delay_alu instid0(SALU_CYCLE_1)
	s_and_saveexec_b32 s0, s10
	s_cbranch_execz .LBB823_69
; %bb.68:
	v_dual_lshrrev_b32 v22, s2, v21 :: v_dual_lshlrev_b32 v23, 2, v3
	s_sub_co_i32 s10, s3, s2
	s_delay_alu instid0(SALU_CYCLE_1)
	s_min_u32 s10, s10, 8
	s_delay_alu instid0(VALU_DEP_1) | instid1(SALU_CYCLE_1)
	v_bfe_u32 v22, v22, 0, s10
	s_delay_alu instid0(VALU_DEP_1)
	v_lshl_or_b32 v22, v22, 4, v23
	v_mov_b32_e32 v23, 1
	ds_add_u32 v22, v23
	v_mov_b32_e32 v22, 0
.LBB823_69:
	s_or_b32 exec_lo, exec_lo, s0
	s_mov_b32 s11, -1
	s_mov_b32 s10, exec_lo
	s_delay_alu instid0(VALU_DEP_1)
	v_cmpx_gt_i32_e32 10, v22
; %bb.70:
	v_cmp_eq_u32_e64 s0, 0, v22
	s_or_not1_b32 s11, s0, exec_lo
; %bb.71:
	s_or_b32 exec_lo, exec_lo, s10
	s_and_saveexec_b32 s10, s11
	s_cbranch_execz .LBB823_84
; %bb.72:
	s_add_co_i32 s11, s2, 8
	s_delay_alu instid0(SALU_CYCLE_1) | instskip(SKIP_1) | instid1(SALU_CYCLE_1)
	s_cmp_le_u32 s3, s11
	s_cselect_b32 s0, -1, 0
	s_and_b32 s12, s0, exec_lo
	s_cselect_b32 s12, 8, 10
	s_delay_alu instid0(SALU_CYCLE_1) | instskip(SKIP_1) | instid1(SALU_CYCLE_1)
	v_mov_b32_e32 v22, s12
	s_nor_b32 s12, s0, vcc_lo
	s_and_saveexec_b32 s0, s12
	s_cbranch_execz .LBB823_74
; %bb.73:
	v_dual_lshrrev_b32 v22, s11, v21 :: v_dual_lshlrev_b32 v23, 2, v3
	s_sub_co_i32 s11, s3, s11
	s_delay_alu instid0(SALU_CYCLE_1)
	s_min_u32 s11, s11, 8
	s_delay_alu instid0(VALU_DEP_1) | instid1(SALU_CYCLE_1)
	v_bfe_u32 v22, v22, 0, s11
	s_delay_alu instid0(VALU_DEP_1)
	v_lshl_or_b32 v22, v22, 4, v23
	v_mov_b32_e32 v23, 1
	ds_add_u32 v22, v23 offset:4096
	v_mov_b32_e32 v22, 0
.LBB823_74:
	s_or_b32 exec_lo, exec_lo, s0
	s_mov_b32 s11, -1
	s_mov_b32 s12, exec_lo
	s_delay_alu instid0(VALU_DEP_1)
	v_cmpx_gt_i32_e32 10, v22
; %bb.75:
	v_cmp_eq_u32_e64 s0, 0, v22
	s_or_not1_b32 s11, s0, exec_lo
; %bb.76:
	s_or_b32 exec_lo, exec_lo, s12
	s_delay_alu instid0(SALU_CYCLE_1)
	s_and_b32 exec_lo, exec_lo, s11
	s_cbranch_execz .LBB823_84
; %bb.77:
	s_add_co_i32 s11, s2, 16
	s_delay_alu instid0(SALU_CYCLE_1) | instskip(SKIP_1) | instid1(SALU_CYCLE_1)
	s_cmp_le_u32 s3, s11
	s_cselect_b32 s0, -1, 0
	s_and_b32 s12, s0, exec_lo
	s_cselect_b32 s12, 8, 10
	s_delay_alu instid0(SALU_CYCLE_1) | instskip(SKIP_1) | instid1(SALU_CYCLE_1)
	v_mov_b32_e32 v22, s12
	s_nor_b32 s12, s0, vcc_lo
	s_and_saveexec_b32 s0, s12
	s_cbranch_execz .LBB823_79
; %bb.78:
	v_dual_lshrrev_b32 v22, s11, v21 :: v_dual_lshlrev_b32 v23, 2, v3
	s_sub_co_i32 s11, s3, s11
	s_delay_alu instid0(SALU_CYCLE_1)
	s_min_u32 s11, s11, 8
	s_delay_alu instid0(VALU_DEP_1) | instid1(SALU_CYCLE_1)
	v_bfe_u32 v22, v22, 0, s11
	s_delay_alu instid0(VALU_DEP_1)
	v_lshl_or_b32 v22, v22, 4, v23
	v_mov_b32_e32 v23, 1
	ds_add_u32 v22, v23 offset:8192
	v_mov_b32_e32 v22, 0
.LBB823_79:
	s_or_b32 exec_lo, exec_lo, s0
	s_mov_b32 s11, -1
	s_mov_b32 s12, exec_lo
	s_delay_alu instid0(VALU_DEP_1)
	v_cmpx_gt_i32_e32 10, v22
; %bb.80:
	v_cmp_eq_u32_e64 s0, 0, v22
	s_or_not1_b32 s11, s0, exec_lo
; %bb.81:
	s_or_b32 exec_lo, exec_lo, s12
	s_delay_alu instid0(SALU_CYCLE_1)
	s_and_b32 exec_lo, exec_lo, s11
	s_cbranch_execz .LBB823_84
; %bb.82:
	s_add_co_i32 s0, s2, 24
	s_delay_alu instid0(SALU_CYCLE_1) | instskip(SKIP_2) | instid1(SALU_CYCLE_1)
	s_cmp_gt_u32 s3, s0
	s_cselect_b32 s11, -1, 0
	s_xor_b32 s12, vcc_lo, -1
	s_and_b32 s11, s11, s12
	s_delay_alu instid0(SALU_CYCLE_1)
	s_and_b32 exec_lo, exec_lo, s11
	s_cbranch_execz .LBB823_84
; %bb.83:
	v_dual_lshrrev_b32 v21, s0, v21 :: v_dual_lshlrev_b32 v22, 2, v3
	s_sub_co_i32 s0, s3, s0
	s_delay_alu instid0(SALU_CYCLE_1)
	s_min_u32 s0, s0, 8
	s_delay_alu instid0(VALU_DEP_1) | instid1(SALU_CYCLE_1)
	v_bfe_u32 v21, v21, 0, s0
	s_delay_alu instid0(VALU_DEP_1)
	v_lshl_or_b32 v21, v21, 4, v22
	v_mov_b32_e32 v22, 1
	ds_add_u32 v21, v22 offset:12288
.LBB823_84:
	s_or_b32 exec_lo, exec_lo, s10
	v_cmp_le_u32_e32 vcc_lo, s1, v20
	v_mov_b32_e32 v20, s9
	s_nor_b32 s10, s8, vcc_lo
	s_delay_alu instid0(SALU_CYCLE_1)
	s_and_saveexec_b32 s0, s10
	s_cbranch_execz .LBB823_86
; %bb.85:
	v_lshrrev_b32_e32 v20, s2, v19
	s_sub_co_i32 s10, s3, s2
	v_lshlrev_b32_e32 v21, 2, v3
	s_min_u32 s10, s10, 8
	s_delay_alu instid0(VALU_DEP_2) | instid1(SALU_CYCLE_1)
	v_bfe_u32 v20, v20, 0, s10
	s_delay_alu instid0(VALU_DEP_1)
	v_lshl_or_b32 v20, v20, 4, v21
	v_mov_b32_e32 v21, 1
	ds_add_u32 v20, v21
	v_mov_b32_e32 v20, 0
.LBB823_86:
	s_or_b32 exec_lo, exec_lo, s0
	s_mov_b32 s11, -1
	s_mov_b32 s10, exec_lo
	s_delay_alu instid0(VALU_DEP_1)
	v_cmpx_gt_i32_e32 10, v20
; %bb.87:
	v_cmp_eq_u32_e64 s0, 0, v20
	s_or_not1_b32 s11, s0, exec_lo
; %bb.88:
	s_or_b32 exec_lo, exec_lo, s10
	s_and_saveexec_b32 s10, s11
	s_cbranch_execz .LBB823_101
; %bb.89:
	s_add_co_i32 s11, s2, 8
	s_delay_alu instid0(SALU_CYCLE_1) | instskip(SKIP_1) | instid1(SALU_CYCLE_1)
	s_cmp_le_u32 s3, s11
	s_cselect_b32 s0, -1, 0
	s_and_b32 s12, s0, exec_lo
	s_cselect_b32 s12, 8, 10
	s_delay_alu instid0(SALU_CYCLE_1) | instskip(SKIP_1) | instid1(SALU_CYCLE_1)
	v_mov_b32_e32 v20, s12
	s_nor_b32 s12, s0, vcc_lo
	s_and_saveexec_b32 s0, s12
	s_cbranch_execz .LBB823_91
; %bb.90:
	v_lshrrev_b32_e32 v20, s11, v19
	s_sub_co_i32 s11, s3, s11
	v_lshlrev_b32_e32 v21, 2, v3
	s_min_u32 s11, s11, 8
	s_delay_alu instid0(VALU_DEP_2) | instid1(SALU_CYCLE_1)
	v_bfe_u32 v20, v20, 0, s11
	s_delay_alu instid0(VALU_DEP_1)
	v_lshl_or_b32 v20, v20, 4, v21
	v_mov_b32_e32 v21, 1
	ds_add_u32 v20, v21 offset:4096
	v_mov_b32_e32 v20, 0
.LBB823_91:
	s_or_b32 exec_lo, exec_lo, s0
	s_mov_b32 s11, -1
	s_mov_b32 s12, exec_lo
	s_delay_alu instid0(VALU_DEP_1)
	v_cmpx_gt_i32_e32 10, v20
; %bb.92:
	v_cmp_eq_u32_e64 s0, 0, v20
	s_or_not1_b32 s11, s0, exec_lo
; %bb.93:
	s_or_b32 exec_lo, exec_lo, s12
	s_delay_alu instid0(SALU_CYCLE_1)
	s_and_b32 exec_lo, exec_lo, s11
	s_cbranch_execz .LBB823_101
; %bb.94:
	s_add_co_i32 s11, s2, 16
	s_delay_alu instid0(SALU_CYCLE_1) | instskip(SKIP_1) | instid1(SALU_CYCLE_1)
	s_cmp_le_u32 s3, s11
	s_cselect_b32 s0, -1, 0
	s_and_b32 s12, s0, exec_lo
	s_cselect_b32 s12, 8, 10
	s_delay_alu instid0(SALU_CYCLE_1) | instskip(SKIP_1) | instid1(SALU_CYCLE_1)
	v_mov_b32_e32 v20, s12
	s_nor_b32 s12, s0, vcc_lo
	s_and_saveexec_b32 s0, s12
	s_cbranch_execz .LBB823_96
; %bb.95:
	v_lshrrev_b32_e32 v20, s11, v19
	s_sub_co_i32 s11, s3, s11
	v_lshlrev_b32_e32 v21, 2, v3
	s_min_u32 s11, s11, 8
	s_delay_alu instid0(VALU_DEP_2) | instid1(SALU_CYCLE_1)
	v_bfe_u32 v20, v20, 0, s11
	s_delay_alu instid0(VALU_DEP_1)
	v_lshl_or_b32 v20, v20, 4, v21
	v_mov_b32_e32 v21, 1
	ds_add_u32 v20, v21 offset:8192
	v_mov_b32_e32 v20, 0
.LBB823_96:
	s_or_b32 exec_lo, exec_lo, s0
	s_mov_b32 s11, -1
	s_mov_b32 s12, exec_lo
	s_delay_alu instid0(VALU_DEP_1)
	v_cmpx_gt_i32_e32 10, v20
; %bb.97:
	v_cmp_eq_u32_e64 s0, 0, v20
	s_or_not1_b32 s11, s0, exec_lo
; %bb.98:
	s_or_b32 exec_lo, exec_lo, s12
	s_delay_alu instid0(SALU_CYCLE_1)
	s_and_b32 exec_lo, exec_lo, s11
	s_cbranch_execz .LBB823_101
; %bb.99:
	s_add_co_i32 s0, s2, 24
	s_delay_alu instid0(SALU_CYCLE_1) | instskip(SKIP_2) | instid1(SALU_CYCLE_1)
	s_cmp_gt_u32 s3, s0
	s_cselect_b32 s11, -1, 0
	s_xor_b32 s12, vcc_lo, -1
	s_and_b32 s11, s11, s12
	s_delay_alu instid0(SALU_CYCLE_1)
	s_and_b32 exec_lo, exec_lo, s11
	s_cbranch_execz .LBB823_101
; %bb.100:
	v_lshrrev_b32_e32 v19, s0, v19
	s_sub_co_i32 s0, s3, s0
	v_lshlrev_b32_e32 v20, 2, v3
	s_min_u32 s0, s0, 8
	s_delay_alu instid0(VALU_DEP_2) | instid1(SALU_CYCLE_1)
	v_bfe_u32 v19, v19, 0, s0
	s_delay_alu instid0(VALU_DEP_1)
	v_lshl_or_b32 v19, v19, 4, v20
	v_mov_b32_e32 v20, 1
	ds_add_u32 v19, v20 offset:12288
.LBB823_101:
	s_or_b32 exec_lo, exec_lo, s10
	v_cmp_le_u32_e32 vcc_lo, s1, v18
	v_mov_b32_e32 v18, s9
	s_nor_b32 s10, s8, vcc_lo
	s_delay_alu instid0(SALU_CYCLE_1)
	s_and_saveexec_b32 s0, s10
	s_cbranch_execz .LBB823_103
; %bb.102:
	v_dual_lshrrev_b32 v18, s2, v17 :: v_dual_lshlrev_b32 v19, 2, v3
	s_sub_co_i32 s10, s3, s2
	s_delay_alu instid0(SALU_CYCLE_1)
	s_min_u32 s10, s10, 8
	s_delay_alu instid0(VALU_DEP_1) | instid1(SALU_CYCLE_1)
	v_bfe_u32 v18, v18, 0, s10
	s_delay_alu instid0(VALU_DEP_1)
	v_lshl_or_b32 v18, v18, 4, v19
	v_mov_b32_e32 v19, 1
	ds_add_u32 v18, v19
	v_mov_b32_e32 v18, 0
.LBB823_103:
	s_or_b32 exec_lo, exec_lo, s0
	s_mov_b32 s11, -1
	s_mov_b32 s10, exec_lo
	s_delay_alu instid0(VALU_DEP_1)
	v_cmpx_gt_i32_e32 10, v18
; %bb.104:
	v_cmp_eq_u32_e64 s0, 0, v18
	s_or_not1_b32 s11, s0, exec_lo
; %bb.105:
	s_or_b32 exec_lo, exec_lo, s10
	s_and_saveexec_b32 s10, s11
	s_cbranch_execz .LBB823_118
; %bb.106:
	s_add_co_i32 s11, s2, 8
	s_delay_alu instid0(SALU_CYCLE_1) | instskip(SKIP_1) | instid1(SALU_CYCLE_1)
	s_cmp_le_u32 s3, s11
	s_cselect_b32 s0, -1, 0
	s_and_b32 s12, s0, exec_lo
	s_cselect_b32 s12, 8, 10
	s_delay_alu instid0(SALU_CYCLE_1) | instskip(SKIP_1) | instid1(SALU_CYCLE_1)
	v_mov_b32_e32 v18, s12
	s_nor_b32 s12, s0, vcc_lo
	s_and_saveexec_b32 s0, s12
	s_cbranch_execz .LBB823_108
; %bb.107:
	v_dual_lshrrev_b32 v18, s11, v17 :: v_dual_lshlrev_b32 v19, 2, v3
	s_sub_co_i32 s11, s3, s11
	s_delay_alu instid0(SALU_CYCLE_1)
	s_min_u32 s11, s11, 8
	s_delay_alu instid0(VALU_DEP_1) | instid1(SALU_CYCLE_1)
	v_bfe_u32 v18, v18, 0, s11
	s_delay_alu instid0(VALU_DEP_1)
	v_lshl_or_b32 v18, v18, 4, v19
	v_mov_b32_e32 v19, 1
	ds_add_u32 v18, v19 offset:4096
	v_mov_b32_e32 v18, 0
.LBB823_108:
	s_or_b32 exec_lo, exec_lo, s0
	s_mov_b32 s11, -1
	s_mov_b32 s12, exec_lo
	s_delay_alu instid0(VALU_DEP_1)
	v_cmpx_gt_i32_e32 10, v18
; %bb.109:
	v_cmp_eq_u32_e64 s0, 0, v18
	s_or_not1_b32 s11, s0, exec_lo
; %bb.110:
	s_or_b32 exec_lo, exec_lo, s12
	s_delay_alu instid0(SALU_CYCLE_1)
	s_and_b32 exec_lo, exec_lo, s11
	s_cbranch_execz .LBB823_118
; %bb.111:
	s_add_co_i32 s11, s2, 16
	s_delay_alu instid0(SALU_CYCLE_1) | instskip(SKIP_1) | instid1(SALU_CYCLE_1)
	s_cmp_le_u32 s3, s11
	s_cselect_b32 s0, -1, 0
	s_and_b32 s12, s0, exec_lo
	s_cselect_b32 s12, 8, 10
	s_delay_alu instid0(SALU_CYCLE_1) | instskip(SKIP_1) | instid1(SALU_CYCLE_1)
	v_mov_b32_e32 v18, s12
	s_nor_b32 s12, s0, vcc_lo
	s_and_saveexec_b32 s0, s12
	s_cbranch_execz .LBB823_113
; %bb.112:
	v_dual_lshrrev_b32 v18, s11, v17 :: v_dual_lshlrev_b32 v19, 2, v3
	s_sub_co_i32 s11, s3, s11
	s_delay_alu instid0(SALU_CYCLE_1)
	s_min_u32 s11, s11, 8
	s_delay_alu instid0(VALU_DEP_1) | instid1(SALU_CYCLE_1)
	v_bfe_u32 v18, v18, 0, s11
	s_delay_alu instid0(VALU_DEP_1)
	v_lshl_or_b32 v18, v18, 4, v19
	v_mov_b32_e32 v19, 1
	ds_add_u32 v18, v19 offset:8192
	v_mov_b32_e32 v18, 0
.LBB823_113:
	s_or_b32 exec_lo, exec_lo, s0
	s_mov_b32 s11, -1
	s_mov_b32 s12, exec_lo
	s_delay_alu instid0(VALU_DEP_1)
	v_cmpx_gt_i32_e32 10, v18
; %bb.114:
	v_cmp_eq_u32_e64 s0, 0, v18
	s_or_not1_b32 s11, s0, exec_lo
; %bb.115:
	s_or_b32 exec_lo, exec_lo, s12
	s_delay_alu instid0(SALU_CYCLE_1)
	s_and_b32 exec_lo, exec_lo, s11
	s_cbranch_execz .LBB823_118
; %bb.116:
	s_add_co_i32 s0, s2, 24
	s_delay_alu instid0(SALU_CYCLE_1) | instskip(SKIP_2) | instid1(SALU_CYCLE_1)
	s_cmp_gt_u32 s3, s0
	s_cselect_b32 s11, -1, 0
	s_xor_b32 s12, vcc_lo, -1
	s_and_b32 s11, s11, s12
	s_delay_alu instid0(SALU_CYCLE_1)
	s_and_b32 exec_lo, exec_lo, s11
	s_cbranch_execz .LBB823_118
; %bb.117:
	v_dual_lshrrev_b32 v17, s0, v17 :: v_dual_lshlrev_b32 v18, 2, v3
	s_sub_co_i32 s0, s3, s0
	s_delay_alu instid0(SALU_CYCLE_1)
	s_min_u32 s0, s0, 8
	s_delay_alu instid0(VALU_DEP_1) | instid1(SALU_CYCLE_1)
	v_bfe_u32 v17, v17, 0, s0
	s_delay_alu instid0(VALU_DEP_1)
	v_lshl_or_b32 v17, v17, 4, v18
	v_mov_b32_e32 v18, 1
	ds_add_u32 v17, v18 offset:12288
.LBB823_118:
	s_or_b32 exec_lo, exec_lo, s10
	v_cmp_le_u32_e32 vcc_lo, s1, v16
	v_mov_b32_e32 v16, s9
	s_nor_b32 s10, s8, vcc_lo
	s_delay_alu instid0(SALU_CYCLE_1)
	s_and_saveexec_b32 s0, s10
	s_cbranch_execz .LBB823_120
; %bb.119:
	v_lshrrev_b32_e32 v16, s2, v15
	s_sub_co_i32 s10, s3, s2
	v_lshlrev_b32_e32 v17, 2, v3
	s_min_u32 s10, s10, 8
	s_delay_alu instid0(VALU_DEP_2) | instid1(SALU_CYCLE_1)
	v_bfe_u32 v16, v16, 0, s10
	s_delay_alu instid0(VALU_DEP_1)
	v_lshl_or_b32 v16, v16, 4, v17
	v_mov_b32_e32 v17, 1
	ds_add_u32 v16, v17
	v_mov_b32_e32 v16, 0
.LBB823_120:
	s_or_b32 exec_lo, exec_lo, s0
	s_mov_b32 s11, -1
	s_mov_b32 s10, exec_lo
	s_delay_alu instid0(VALU_DEP_1)
	v_cmpx_gt_i32_e32 10, v16
; %bb.121:
	v_cmp_eq_u32_e64 s0, 0, v16
	s_or_not1_b32 s11, s0, exec_lo
; %bb.122:
	s_or_b32 exec_lo, exec_lo, s10
	s_and_saveexec_b32 s10, s11
	s_cbranch_execz .LBB823_135
; %bb.123:
	s_add_co_i32 s11, s2, 8
	s_delay_alu instid0(SALU_CYCLE_1) | instskip(SKIP_1) | instid1(SALU_CYCLE_1)
	s_cmp_le_u32 s3, s11
	s_cselect_b32 s0, -1, 0
	s_and_b32 s12, s0, exec_lo
	s_cselect_b32 s12, 8, 10
	s_delay_alu instid0(SALU_CYCLE_1) | instskip(SKIP_1) | instid1(SALU_CYCLE_1)
	v_mov_b32_e32 v16, s12
	s_nor_b32 s12, s0, vcc_lo
	s_and_saveexec_b32 s0, s12
	s_cbranch_execz .LBB823_125
; %bb.124:
	v_lshrrev_b32_e32 v16, s11, v15
	s_sub_co_i32 s11, s3, s11
	v_lshlrev_b32_e32 v17, 2, v3
	s_min_u32 s11, s11, 8
	s_delay_alu instid0(VALU_DEP_2) | instid1(SALU_CYCLE_1)
	v_bfe_u32 v16, v16, 0, s11
	s_delay_alu instid0(VALU_DEP_1)
	v_lshl_or_b32 v16, v16, 4, v17
	v_mov_b32_e32 v17, 1
	ds_add_u32 v16, v17 offset:4096
	v_mov_b32_e32 v16, 0
.LBB823_125:
	s_or_b32 exec_lo, exec_lo, s0
	s_mov_b32 s11, -1
	s_mov_b32 s12, exec_lo
	s_delay_alu instid0(VALU_DEP_1)
	v_cmpx_gt_i32_e32 10, v16
; %bb.126:
	v_cmp_eq_u32_e64 s0, 0, v16
	s_or_not1_b32 s11, s0, exec_lo
; %bb.127:
	s_or_b32 exec_lo, exec_lo, s12
	s_delay_alu instid0(SALU_CYCLE_1)
	s_and_b32 exec_lo, exec_lo, s11
	s_cbranch_execz .LBB823_135
; %bb.128:
	s_add_co_i32 s11, s2, 16
	s_delay_alu instid0(SALU_CYCLE_1) | instskip(SKIP_1) | instid1(SALU_CYCLE_1)
	s_cmp_le_u32 s3, s11
	s_cselect_b32 s0, -1, 0
	s_and_b32 s12, s0, exec_lo
	s_cselect_b32 s12, 8, 10
	s_delay_alu instid0(SALU_CYCLE_1) | instskip(SKIP_1) | instid1(SALU_CYCLE_1)
	v_mov_b32_e32 v16, s12
	s_nor_b32 s12, s0, vcc_lo
	s_and_saveexec_b32 s0, s12
	s_cbranch_execz .LBB823_130
; %bb.129:
	v_lshrrev_b32_e32 v16, s11, v15
	s_sub_co_i32 s11, s3, s11
	v_lshlrev_b32_e32 v17, 2, v3
	s_min_u32 s11, s11, 8
	s_delay_alu instid0(VALU_DEP_2) | instid1(SALU_CYCLE_1)
	v_bfe_u32 v16, v16, 0, s11
	s_delay_alu instid0(VALU_DEP_1)
	v_lshl_or_b32 v16, v16, 4, v17
	v_mov_b32_e32 v17, 1
	ds_add_u32 v16, v17 offset:8192
	v_mov_b32_e32 v16, 0
.LBB823_130:
	s_or_b32 exec_lo, exec_lo, s0
	s_mov_b32 s11, -1
	s_mov_b32 s12, exec_lo
	s_delay_alu instid0(VALU_DEP_1)
	v_cmpx_gt_i32_e32 10, v16
; %bb.131:
	v_cmp_eq_u32_e64 s0, 0, v16
	s_or_not1_b32 s11, s0, exec_lo
; %bb.132:
	s_or_b32 exec_lo, exec_lo, s12
	s_delay_alu instid0(SALU_CYCLE_1)
	s_and_b32 exec_lo, exec_lo, s11
	s_cbranch_execz .LBB823_135
; %bb.133:
	s_add_co_i32 s0, s2, 24
	s_delay_alu instid0(SALU_CYCLE_1) | instskip(SKIP_2) | instid1(SALU_CYCLE_1)
	s_cmp_gt_u32 s3, s0
	s_cselect_b32 s11, -1, 0
	s_xor_b32 s12, vcc_lo, -1
	s_and_b32 s11, s11, s12
	s_delay_alu instid0(SALU_CYCLE_1)
	s_and_b32 exec_lo, exec_lo, s11
	s_cbranch_execz .LBB823_135
; %bb.134:
	v_lshrrev_b32_e32 v15, s0, v15
	s_sub_co_i32 s0, s3, s0
	v_lshlrev_b32_e32 v16, 2, v3
	s_min_u32 s0, s0, 8
	s_delay_alu instid0(VALU_DEP_2) | instid1(SALU_CYCLE_1)
	v_bfe_u32 v15, v15, 0, s0
	s_delay_alu instid0(VALU_DEP_1)
	v_lshl_or_b32 v15, v15, 4, v16
	v_mov_b32_e32 v16, 1
	ds_add_u32 v15, v16 offset:12288
.LBB823_135:
	s_or_b32 exec_lo, exec_lo, s10
	v_cmp_le_u32_e32 vcc_lo, s1, v14
	v_mov_b32_e32 v14, s9
	s_nor_b32 s10, s8, vcc_lo
	s_delay_alu instid0(SALU_CYCLE_1)
	s_and_saveexec_b32 s0, s10
	s_cbranch_execz .LBB823_137
; %bb.136:
	v_dual_lshrrev_b32 v14, s2, v13 :: v_dual_lshlrev_b32 v15, 2, v3
	s_sub_co_i32 s10, s3, s2
	s_delay_alu instid0(SALU_CYCLE_1)
	s_min_u32 s10, s10, 8
	s_delay_alu instid0(VALU_DEP_1) | instid1(SALU_CYCLE_1)
	v_bfe_u32 v14, v14, 0, s10
	s_delay_alu instid0(VALU_DEP_1)
	v_lshl_or_b32 v14, v14, 4, v15
	v_mov_b32_e32 v15, 1
	ds_add_u32 v14, v15
	v_mov_b32_e32 v14, 0
.LBB823_137:
	s_or_b32 exec_lo, exec_lo, s0
	s_mov_b32 s11, -1
	s_mov_b32 s10, exec_lo
	s_delay_alu instid0(VALU_DEP_1)
	v_cmpx_gt_i32_e32 10, v14
; %bb.138:
	v_cmp_eq_u32_e64 s0, 0, v14
	s_or_not1_b32 s11, s0, exec_lo
; %bb.139:
	s_or_b32 exec_lo, exec_lo, s10
	s_and_saveexec_b32 s10, s11
	s_cbranch_execz .LBB823_152
; %bb.140:
	s_add_co_i32 s11, s2, 8
	s_delay_alu instid0(SALU_CYCLE_1) | instskip(SKIP_1) | instid1(SALU_CYCLE_1)
	s_cmp_le_u32 s3, s11
	s_cselect_b32 s0, -1, 0
	s_and_b32 s12, s0, exec_lo
	s_cselect_b32 s12, 8, 10
	s_delay_alu instid0(SALU_CYCLE_1) | instskip(SKIP_1) | instid1(SALU_CYCLE_1)
	v_mov_b32_e32 v14, s12
	s_nor_b32 s12, s0, vcc_lo
	s_and_saveexec_b32 s0, s12
	s_cbranch_execz .LBB823_142
; %bb.141:
	v_dual_lshrrev_b32 v14, s11, v13 :: v_dual_lshlrev_b32 v15, 2, v3
	s_sub_co_i32 s11, s3, s11
	s_delay_alu instid0(SALU_CYCLE_1)
	s_min_u32 s11, s11, 8
	s_delay_alu instid0(VALU_DEP_1) | instid1(SALU_CYCLE_1)
	v_bfe_u32 v14, v14, 0, s11
	s_delay_alu instid0(VALU_DEP_1)
	v_lshl_or_b32 v14, v14, 4, v15
	v_mov_b32_e32 v15, 1
	ds_add_u32 v14, v15 offset:4096
	v_mov_b32_e32 v14, 0
.LBB823_142:
	s_or_b32 exec_lo, exec_lo, s0
	s_mov_b32 s11, -1
	s_mov_b32 s12, exec_lo
	s_delay_alu instid0(VALU_DEP_1)
	v_cmpx_gt_i32_e32 10, v14
; %bb.143:
	v_cmp_eq_u32_e64 s0, 0, v14
	s_or_not1_b32 s11, s0, exec_lo
; %bb.144:
	s_or_b32 exec_lo, exec_lo, s12
	s_delay_alu instid0(SALU_CYCLE_1)
	s_and_b32 exec_lo, exec_lo, s11
	s_cbranch_execz .LBB823_152
; %bb.145:
	s_add_co_i32 s11, s2, 16
	s_delay_alu instid0(SALU_CYCLE_1) | instskip(SKIP_1) | instid1(SALU_CYCLE_1)
	s_cmp_le_u32 s3, s11
	s_cselect_b32 s0, -1, 0
	s_and_b32 s12, s0, exec_lo
	s_cselect_b32 s12, 8, 10
	s_delay_alu instid0(SALU_CYCLE_1) | instskip(SKIP_1) | instid1(SALU_CYCLE_1)
	v_mov_b32_e32 v14, s12
	s_nor_b32 s12, s0, vcc_lo
	s_and_saveexec_b32 s0, s12
	s_cbranch_execz .LBB823_147
; %bb.146:
	v_dual_lshrrev_b32 v14, s11, v13 :: v_dual_lshlrev_b32 v15, 2, v3
	s_sub_co_i32 s11, s3, s11
	s_delay_alu instid0(SALU_CYCLE_1)
	s_min_u32 s11, s11, 8
	s_delay_alu instid0(VALU_DEP_1) | instid1(SALU_CYCLE_1)
	v_bfe_u32 v14, v14, 0, s11
	s_delay_alu instid0(VALU_DEP_1)
	v_lshl_or_b32 v14, v14, 4, v15
	v_mov_b32_e32 v15, 1
	ds_add_u32 v14, v15 offset:8192
	v_mov_b32_e32 v14, 0
.LBB823_147:
	s_or_b32 exec_lo, exec_lo, s0
	s_mov_b32 s11, -1
	s_mov_b32 s12, exec_lo
	s_delay_alu instid0(VALU_DEP_1)
	v_cmpx_gt_i32_e32 10, v14
; %bb.148:
	v_cmp_eq_u32_e64 s0, 0, v14
	s_or_not1_b32 s11, s0, exec_lo
; %bb.149:
	s_or_b32 exec_lo, exec_lo, s12
	s_delay_alu instid0(SALU_CYCLE_1)
	s_and_b32 exec_lo, exec_lo, s11
	s_cbranch_execz .LBB823_152
; %bb.150:
	s_add_co_i32 s0, s2, 24
	s_delay_alu instid0(SALU_CYCLE_1) | instskip(SKIP_2) | instid1(SALU_CYCLE_1)
	s_cmp_gt_u32 s3, s0
	s_cselect_b32 s11, -1, 0
	s_xor_b32 s12, vcc_lo, -1
	s_and_b32 s11, s11, s12
	s_delay_alu instid0(SALU_CYCLE_1)
	s_and_b32 exec_lo, exec_lo, s11
	s_cbranch_execz .LBB823_152
; %bb.151:
	v_dual_lshrrev_b32 v13, s0, v13 :: v_dual_lshlrev_b32 v14, 2, v3
	s_sub_co_i32 s0, s3, s0
	s_delay_alu instid0(SALU_CYCLE_1)
	s_min_u32 s0, s0, 8
	s_delay_alu instid0(VALU_DEP_1) | instid1(SALU_CYCLE_1)
	v_bfe_u32 v13, v13, 0, s0
	s_delay_alu instid0(VALU_DEP_1)
	v_lshl_or_b32 v13, v13, 4, v14
	v_mov_b32_e32 v14, 1
	ds_add_u32 v13, v14 offset:12288
.LBB823_152:
	s_or_b32 exec_lo, exec_lo, s10
	v_cmp_le_u32_e32 vcc_lo, s1, v12
	v_mov_b32_e32 v12, s9
	s_nor_b32 s10, s8, vcc_lo
	s_delay_alu instid0(SALU_CYCLE_1)
	s_and_saveexec_b32 s0, s10
	s_cbranch_execz .LBB823_154
; %bb.153:
	v_lshrrev_b32_e32 v12, s2, v11
	s_sub_co_i32 s10, s3, s2
	v_lshlrev_b32_e32 v13, 2, v3
	s_min_u32 s10, s10, 8
	s_delay_alu instid0(VALU_DEP_2) | instid1(SALU_CYCLE_1)
	v_bfe_u32 v12, v12, 0, s10
	s_delay_alu instid0(VALU_DEP_1)
	v_lshl_or_b32 v12, v12, 4, v13
	v_mov_b32_e32 v13, 1
	ds_add_u32 v12, v13
	v_mov_b32_e32 v12, 0
.LBB823_154:
	s_or_b32 exec_lo, exec_lo, s0
	s_mov_b32 s11, -1
	s_mov_b32 s10, exec_lo
	s_delay_alu instid0(VALU_DEP_1)
	v_cmpx_gt_i32_e32 10, v12
; %bb.155:
	v_cmp_eq_u32_e64 s0, 0, v12
	s_or_not1_b32 s11, s0, exec_lo
; %bb.156:
	s_or_b32 exec_lo, exec_lo, s10
	s_and_saveexec_b32 s10, s11
	s_cbranch_execz .LBB823_169
; %bb.157:
	s_add_co_i32 s11, s2, 8
	s_delay_alu instid0(SALU_CYCLE_1) | instskip(SKIP_1) | instid1(SALU_CYCLE_1)
	s_cmp_le_u32 s3, s11
	s_cselect_b32 s0, -1, 0
	s_and_b32 s12, s0, exec_lo
	s_cselect_b32 s12, 8, 10
	s_delay_alu instid0(SALU_CYCLE_1) | instskip(SKIP_1) | instid1(SALU_CYCLE_1)
	v_mov_b32_e32 v12, s12
	s_nor_b32 s12, s0, vcc_lo
	s_and_saveexec_b32 s0, s12
	s_cbranch_execz .LBB823_159
; %bb.158:
	v_lshrrev_b32_e32 v12, s11, v11
	s_sub_co_i32 s11, s3, s11
	v_lshlrev_b32_e32 v13, 2, v3
	s_min_u32 s11, s11, 8
	s_delay_alu instid0(VALU_DEP_2) | instid1(SALU_CYCLE_1)
	v_bfe_u32 v12, v12, 0, s11
	s_delay_alu instid0(VALU_DEP_1)
	v_lshl_or_b32 v12, v12, 4, v13
	v_mov_b32_e32 v13, 1
	ds_add_u32 v12, v13 offset:4096
	v_mov_b32_e32 v12, 0
.LBB823_159:
	s_or_b32 exec_lo, exec_lo, s0
	s_mov_b32 s11, -1
	s_mov_b32 s12, exec_lo
	s_delay_alu instid0(VALU_DEP_1)
	v_cmpx_gt_i32_e32 10, v12
; %bb.160:
	v_cmp_eq_u32_e64 s0, 0, v12
	s_or_not1_b32 s11, s0, exec_lo
; %bb.161:
	s_or_b32 exec_lo, exec_lo, s12
	s_delay_alu instid0(SALU_CYCLE_1)
	s_and_b32 exec_lo, exec_lo, s11
	s_cbranch_execz .LBB823_169
; %bb.162:
	s_add_co_i32 s11, s2, 16
	s_delay_alu instid0(SALU_CYCLE_1) | instskip(SKIP_1) | instid1(SALU_CYCLE_1)
	s_cmp_le_u32 s3, s11
	s_cselect_b32 s0, -1, 0
	s_and_b32 s12, s0, exec_lo
	s_cselect_b32 s12, 8, 10
	s_delay_alu instid0(SALU_CYCLE_1) | instskip(SKIP_1) | instid1(SALU_CYCLE_1)
	v_mov_b32_e32 v12, s12
	s_nor_b32 s12, s0, vcc_lo
	s_and_saveexec_b32 s0, s12
	s_cbranch_execz .LBB823_164
; %bb.163:
	v_lshrrev_b32_e32 v12, s11, v11
	s_sub_co_i32 s11, s3, s11
	v_lshlrev_b32_e32 v13, 2, v3
	s_min_u32 s11, s11, 8
	s_delay_alu instid0(VALU_DEP_2) | instid1(SALU_CYCLE_1)
	v_bfe_u32 v12, v12, 0, s11
	s_delay_alu instid0(VALU_DEP_1)
	v_lshl_or_b32 v12, v12, 4, v13
	v_mov_b32_e32 v13, 1
	ds_add_u32 v12, v13 offset:8192
	v_mov_b32_e32 v12, 0
.LBB823_164:
	s_or_b32 exec_lo, exec_lo, s0
	s_mov_b32 s11, -1
	s_mov_b32 s12, exec_lo
	s_delay_alu instid0(VALU_DEP_1)
	v_cmpx_gt_i32_e32 10, v12
; %bb.165:
	v_cmp_eq_u32_e64 s0, 0, v12
	s_or_not1_b32 s11, s0, exec_lo
; %bb.166:
	s_or_b32 exec_lo, exec_lo, s12
	s_delay_alu instid0(SALU_CYCLE_1)
	s_and_b32 exec_lo, exec_lo, s11
	s_cbranch_execz .LBB823_169
; %bb.167:
	s_add_co_i32 s0, s2, 24
	s_delay_alu instid0(SALU_CYCLE_1) | instskip(SKIP_2) | instid1(SALU_CYCLE_1)
	s_cmp_gt_u32 s3, s0
	s_cselect_b32 s11, -1, 0
	s_xor_b32 s12, vcc_lo, -1
	s_and_b32 s11, s11, s12
	s_delay_alu instid0(SALU_CYCLE_1)
	s_and_b32 exec_lo, exec_lo, s11
	s_cbranch_execz .LBB823_169
; %bb.168:
	v_lshrrev_b32_e32 v11, s0, v11
	s_sub_co_i32 s0, s3, s0
	v_lshlrev_b32_e32 v12, 2, v3
	s_min_u32 s0, s0, 8
	s_delay_alu instid0(VALU_DEP_2) | instid1(SALU_CYCLE_1)
	v_bfe_u32 v11, v11, 0, s0
	s_delay_alu instid0(VALU_DEP_1)
	v_lshl_or_b32 v11, v11, 4, v12
	v_mov_b32_e32 v12, 1
	ds_add_u32 v11, v12 offset:12288
.LBB823_169:
	s_or_b32 exec_lo, exec_lo, s10
	v_cmp_le_u32_e32 vcc_lo, s1, v10
	v_mov_b32_e32 v10, s9
	s_nor_b32 s10, s8, vcc_lo
	s_delay_alu instid0(SALU_CYCLE_1)
	s_and_saveexec_b32 s0, s10
	s_cbranch_execz .LBB823_171
; %bb.170:
	v_dual_lshrrev_b32 v10, s2, v9 :: v_dual_lshlrev_b32 v11, 2, v3
	s_sub_co_i32 s10, s3, s2
	s_delay_alu instid0(SALU_CYCLE_1)
	s_min_u32 s10, s10, 8
	s_delay_alu instid0(VALU_DEP_1) | instid1(SALU_CYCLE_1)
	v_bfe_u32 v10, v10, 0, s10
	s_delay_alu instid0(VALU_DEP_1)
	v_lshl_or_b32 v10, v10, 4, v11
	v_mov_b32_e32 v11, 1
	ds_add_u32 v10, v11
	v_mov_b32_e32 v10, 0
.LBB823_171:
	s_or_b32 exec_lo, exec_lo, s0
	s_mov_b32 s11, -1
	s_mov_b32 s10, exec_lo
	s_delay_alu instid0(VALU_DEP_1)
	v_cmpx_gt_i32_e32 10, v10
; %bb.172:
	v_cmp_eq_u32_e64 s0, 0, v10
	s_or_not1_b32 s11, s0, exec_lo
; %bb.173:
	s_or_b32 exec_lo, exec_lo, s10
	s_and_saveexec_b32 s10, s11
	s_cbranch_execz .LBB823_186
; %bb.174:
	s_add_co_i32 s11, s2, 8
	s_delay_alu instid0(SALU_CYCLE_1) | instskip(SKIP_1) | instid1(SALU_CYCLE_1)
	s_cmp_le_u32 s3, s11
	s_cselect_b32 s0, -1, 0
	s_and_b32 s12, s0, exec_lo
	s_cselect_b32 s12, 8, 10
	s_delay_alu instid0(SALU_CYCLE_1) | instskip(SKIP_1) | instid1(SALU_CYCLE_1)
	v_mov_b32_e32 v10, s12
	s_nor_b32 s12, s0, vcc_lo
	s_and_saveexec_b32 s0, s12
	s_cbranch_execz .LBB823_176
; %bb.175:
	v_dual_lshrrev_b32 v10, s11, v9 :: v_dual_lshlrev_b32 v11, 2, v3
	s_sub_co_i32 s11, s3, s11
	s_delay_alu instid0(SALU_CYCLE_1)
	s_min_u32 s11, s11, 8
	s_delay_alu instid0(VALU_DEP_1) | instid1(SALU_CYCLE_1)
	v_bfe_u32 v10, v10, 0, s11
	s_delay_alu instid0(VALU_DEP_1)
	v_lshl_or_b32 v10, v10, 4, v11
	v_mov_b32_e32 v11, 1
	ds_add_u32 v10, v11 offset:4096
	v_mov_b32_e32 v10, 0
.LBB823_176:
	s_or_b32 exec_lo, exec_lo, s0
	s_mov_b32 s11, -1
	s_mov_b32 s12, exec_lo
	s_delay_alu instid0(VALU_DEP_1)
	v_cmpx_gt_i32_e32 10, v10
; %bb.177:
	v_cmp_eq_u32_e64 s0, 0, v10
	s_or_not1_b32 s11, s0, exec_lo
; %bb.178:
	s_or_b32 exec_lo, exec_lo, s12
	s_delay_alu instid0(SALU_CYCLE_1)
	s_and_b32 exec_lo, exec_lo, s11
	s_cbranch_execz .LBB823_186
; %bb.179:
	s_add_co_i32 s11, s2, 16
	s_delay_alu instid0(SALU_CYCLE_1) | instskip(SKIP_1) | instid1(SALU_CYCLE_1)
	s_cmp_le_u32 s3, s11
	s_cselect_b32 s0, -1, 0
	s_and_b32 s12, s0, exec_lo
	s_cselect_b32 s12, 8, 10
	s_delay_alu instid0(SALU_CYCLE_1) | instskip(SKIP_1) | instid1(SALU_CYCLE_1)
	v_mov_b32_e32 v10, s12
	s_nor_b32 s12, s0, vcc_lo
	s_and_saveexec_b32 s0, s12
	s_cbranch_execz .LBB823_181
; %bb.180:
	v_dual_lshrrev_b32 v10, s11, v9 :: v_dual_lshlrev_b32 v11, 2, v3
	s_sub_co_i32 s11, s3, s11
	s_delay_alu instid0(SALU_CYCLE_1)
	s_min_u32 s11, s11, 8
	s_delay_alu instid0(VALU_DEP_1) | instid1(SALU_CYCLE_1)
	v_bfe_u32 v10, v10, 0, s11
	s_delay_alu instid0(VALU_DEP_1)
	v_lshl_or_b32 v10, v10, 4, v11
	v_mov_b32_e32 v11, 1
	ds_add_u32 v10, v11 offset:8192
	v_mov_b32_e32 v10, 0
.LBB823_181:
	s_or_b32 exec_lo, exec_lo, s0
	s_mov_b32 s11, -1
	s_mov_b32 s12, exec_lo
	s_delay_alu instid0(VALU_DEP_1)
	v_cmpx_gt_i32_e32 10, v10
; %bb.182:
	v_cmp_eq_u32_e64 s0, 0, v10
	s_or_not1_b32 s11, s0, exec_lo
; %bb.183:
	s_or_b32 exec_lo, exec_lo, s12
	s_delay_alu instid0(SALU_CYCLE_1)
	s_and_b32 exec_lo, exec_lo, s11
	s_cbranch_execz .LBB823_186
; %bb.184:
	s_add_co_i32 s0, s2, 24
	s_delay_alu instid0(SALU_CYCLE_1) | instskip(SKIP_2) | instid1(SALU_CYCLE_1)
	s_cmp_gt_u32 s3, s0
	s_cselect_b32 s11, -1, 0
	s_xor_b32 s12, vcc_lo, -1
	s_and_b32 s11, s11, s12
	s_delay_alu instid0(SALU_CYCLE_1)
	s_and_b32 exec_lo, exec_lo, s11
	s_cbranch_execz .LBB823_186
; %bb.185:
	v_dual_lshrrev_b32 v9, s0, v9 :: v_dual_lshlrev_b32 v10, 2, v3
	s_sub_co_i32 s0, s3, s0
	s_delay_alu instid0(SALU_CYCLE_1)
	s_min_u32 s0, s0, 8
	s_delay_alu instid0(VALU_DEP_1) | instid1(SALU_CYCLE_1)
	v_bfe_u32 v9, v9, 0, s0
	s_delay_alu instid0(VALU_DEP_1)
	v_lshl_or_b32 v9, v9, 4, v10
	v_mov_b32_e32 v10, 1
	ds_add_u32 v9, v10 offset:12288
.LBB823_186:
	s_or_b32 exec_lo, exec_lo, s10
	v_cmp_le_u32_e32 vcc_lo, s1, v8
	v_mov_b32_e32 v8, s9
	s_nor_b32 s10, s8, vcc_lo
	s_delay_alu instid0(SALU_CYCLE_1)
	s_and_saveexec_b32 s0, s10
	s_cbranch_execz .LBB823_188
; %bb.187:
	v_lshrrev_b32_e32 v8, s2, v7
	s_sub_co_i32 s10, s3, s2
	v_lshlrev_b32_e32 v9, 2, v3
	s_min_u32 s10, s10, 8
	s_delay_alu instid0(VALU_DEP_2) | instid1(SALU_CYCLE_1)
	v_bfe_u32 v8, v8, 0, s10
	s_delay_alu instid0(VALU_DEP_1)
	v_lshl_or_b32 v8, v8, 4, v9
	v_mov_b32_e32 v9, 1
	ds_add_u32 v8, v9
	v_mov_b32_e32 v8, 0
.LBB823_188:
	s_or_b32 exec_lo, exec_lo, s0
	s_mov_b32 s11, -1
	s_mov_b32 s10, exec_lo
	s_delay_alu instid0(VALU_DEP_1)
	v_cmpx_gt_i32_e32 10, v8
; %bb.189:
	v_cmp_eq_u32_e64 s0, 0, v8
	s_or_not1_b32 s11, s0, exec_lo
; %bb.190:
	s_or_b32 exec_lo, exec_lo, s10
	s_and_saveexec_b32 s10, s11
	s_cbranch_execz .LBB823_203
; %bb.191:
	s_add_co_i32 s11, s2, 8
	s_delay_alu instid0(SALU_CYCLE_1) | instskip(SKIP_1) | instid1(SALU_CYCLE_1)
	s_cmp_le_u32 s3, s11
	s_cselect_b32 s0, -1, 0
	s_and_b32 s12, s0, exec_lo
	s_cselect_b32 s12, 8, 10
	s_delay_alu instid0(SALU_CYCLE_1) | instskip(SKIP_1) | instid1(SALU_CYCLE_1)
	v_mov_b32_e32 v8, s12
	s_nor_b32 s12, s0, vcc_lo
	s_and_saveexec_b32 s0, s12
	s_cbranch_execz .LBB823_193
; %bb.192:
	v_lshrrev_b32_e32 v8, s11, v7
	s_sub_co_i32 s11, s3, s11
	v_lshlrev_b32_e32 v9, 2, v3
	s_min_u32 s11, s11, 8
	s_delay_alu instid0(VALU_DEP_2) | instid1(SALU_CYCLE_1)
	v_bfe_u32 v8, v8, 0, s11
	s_delay_alu instid0(VALU_DEP_1)
	v_lshl_or_b32 v8, v8, 4, v9
	v_mov_b32_e32 v9, 1
	ds_add_u32 v8, v9 offset:4096
	v_mov_b32_e32 v8, 0
.LBB823_193:
	s_or_b32 exec_lo, exec_lo, s0
	s_mov_b32 s11, -1
	s_mov_b32 s12, exec_lo
	s_delay_alu instid0(VALU_DEP_1)
	v_cmpx_gt_i32_e32 10, v8
; %bb.194:
	v_cmp_eq_u32_e64 s0, 0, v8
	s_or_not1_b32 s11, s0, exec_lo
; %bb.195:
	s_or_b32 exec_lo, exec_lo, s12
	s_delay_alu instid0(SALU_CYCLE_1)
	s_and_b32 exec_lo, exec_lo, s11
	s_cbranch_execz .LBB823_203
; %bb.196:
	s_add_co_i32 s11, s2, 16
	s_delay_alu instid0(SALU_CYCLE_1) | instskip(SKIP_1) | instid1(SALU_CYCLE_1)
	s_cmp_le_u32 s3, s11
	s_cselect_b32 s0, -1, 0
	s_and_b32 s12, s0, exec_lo
	s_cselect_b32 s12, 8, 10
	s_delay_alu instid0(SALU_CYCLE_1) | instskip(SKIP_1) | instid1(SALU_CYCLE_1)
	v_mov_b32_e32 v8, s12
	s_nor_b32 s12, s0, vcc_lo
	s_and_saveexec_b32 s0, s12
	s_cbranch_execz .LBB823_198
; %bb.197:
	v_lshrrev_b32_e32 v8, s11, v7
	s_sub_co_i32 s11, s3, s11
	v_lshlrev_b32_e32 v9, 2, v3
	s_min_u32 s11, s11, 8
	s_delay_alu instid0(VALU_DEP_2) | instid1(SALU_CYCLE_1)
	v_bfe_u32 v8, v8, 0, s11
	s_delay_alu instid0(VALU_DEP_1)
	v_lshl_or_b32 v8, v8, 4, v9
	v_mov_b32_e32 v9, 1
	ds_add_u32 v8, v9 offset:8192
	v_mov_b32_e32 v8, 0
.LBB823_198:
	s_or_b32 exec_lo, exec_lo, s0
	s_mov_b32 s11, -1
	s_mov_b32 s12, exec_lo
	s_delay_alu instid0(VALU_DEP_1)
	v_cmpx_gt_i32_e32 10, v8
; %bb.199:
	v_cmp_eq_u32_e64 s0, 0, v8
	s_or_not1_b32 s11, s0, exec_lo
; %bb.200:
	s_or_b32 exec_lo, exec_lo, s12
	s_delay_alu instid0(SALU_CYCLE_1)
	s_and_b32 exec_lo, exec_lo, s11
	s_cbranch_execz .LBB823_203
; %bb.201:
	s_add_co_i32 s0, s2, 24
	s_delay_alu instid0(SALU_CYCLE_1) | instskip(SKIP_2) | instid1(SALU_CYCLE_1)
	s_cmp_gt_u32 s3, s0
	s_cselect_b32 s11, -1, 0
	s_xor_b32 s12, vcc_lo, -1
	s_and_b32 s11, s11, s12
	s_delay_alu instid0(SALU_CYCLE_1)
	s_and_b32 exec_lo, exec_lo, s11
	s_cbranch_execz .LBB823_203
; %bb.202:
	v_lshrrev_b32_e32 v7, s0, v7
	s_sub_co_i32 s0, s3, s0
	v_lshlrev_b32_e32 v8, 2, v3
	s_min_u32 s0, s0, 8
	s_delay_alu instid0(VALU_DEP_2) | instid1(SALU_CYCLE_1)
	v_bfe_u32 v7, v7, 0, s0
	s_delay_alu instid0(VALU_DEP_1)
	v_lshl_or_b32 v7, v7, 4, v8
	v_mov_b32_e32 v8, 1
	ds_add_u32 v7, v8 offset:12288
.LBB823_203:
	s_or_b32 exec_lo, exec_lo, s10
	v_cmp_le_u32_e32 vcc_lo, s1, v6
	v_mov_b32_e32 v6, s9
	s_nor_b32 s10, s8, vcc_lo
	s_delay_alu instid0(SALU_CYCLE_1)
	s_and_saveexec_b32 s0, s10
	s_cbranch_execz .LBB823_205
; %bb.204:
	v_dual_lshrrev_b32 v6, s2, v5 :: v_dual_lshlrev_b32 v7, 2, v3
	s_sub_co_i32 s10, s3, s2
	s_delay_alu instid0(SALU_CYCLE_1)
	s_min_u32 s10, s10, 8
	s_delay_alu instid0(VALU_DEP_1) | instid1(SALU_CYCLE_1)
	v_bfe_u32 v6, v6, 0, s10
	s_delay_alu instid0(VALU_DEP_1)
	v_lshl_or_b32 v6, v6, 4, v7
	v_mov_b32_e32 v7, 1
	ds_add_u32 v6, v7
	v_mov_b32_e32 v6, 0
.LBB823_205:
	s_or_b32 exec_lo, exec_lo, s0
	s_mov_b32 s11, -1
	s_mov_b32 s10, exec_lo
	s_delay_alu instid0(VALU_DEP_1)
	v_cmpx_gt_i32_e32 10, v6
; %bb.206:
	v_cmp_eq_u32_e64 s0, 0, v6
	s_or_not1_b32 s11, s0, exec_lo
; %bb.207:
	s_or_b32 exec_lo, exec_lo, s10
	s_and_saveexec_b32 s10, s11
	s_cbranch_execz .LBB823_220
; %bb.208:
	s_add_co_i32 s11, s2, 8
	s_delay_alu instid0(SALU_CYCLE_1) | instskip(SKIP_1) | instid1(SALU_CYCLE_1)
	s_cmp_le_u32 s3, s11
	s_cselect_b32 s0, -1, 0
	s_and_b32 s12, s0, exec_lo
	s_cselect_b32 s12, 8, 10
	s_delay_alu instid0(SALU_CYCLE_1) | instskip(SKIP_1) | instid1(SALU_CYCLE_1)
	v_mov_b32_e32 v6, s12
	s_nor_b32 s12, s0, vcc_lo
	s_and_saveexec_b32 s0, s12
	s_cbranch_execz .LBB823_210
; %bb.209:
	v_dual_lshrrev_b32 v6, s11, v5 :: v_dual_lshlrev_b32 v7, 2, v3
	s_sub_co_i32 s11, s3, s11
	s_delay_alu instid0(SALU_CYCLE_1)
	s_min_u32 s11, s11, 8
	s_delay_alu instid0(VALU_DEP_1) | instid1(SALU_CYCLE_1)
	v_bfe_u32 v6, v6, 0, s11
	s_delay_alu instid0(VALU_DEP_1)
	v_lshl_or_b32 v6, v6, 4, v7
	v_mov_b32_e32 v7, 1
	ds_add_u32 v6, v7 offset:4096
	v_mov_b32_e32 v6, 0
.LBB823_210:
	s_or_b32 exec_lo, exec_lo, s0
	s_mov_b32 s11, -1
	s_mov_b32 s12, exec_lo
	s_delay_alu instid0(VALU_DEP_1)
	v_cmpx_gt_i32_e32 10, v6
; %bb.211:
	v_cmp_eq_u32_e64 s0, 0, v6
	s_or_not1_b32 s11, s0, exec_lo
; %bb.212:
	s_or_b32 exec_lo, exec_lo, s12
	s_delay_alu instid0(SALU_CYCLE_1)
	s_and_b32 exec_lo, exec_lo, s11
	s_cbranch_execz .LBB823_220
; %bb.213:
	s_add_co_i32 s11, s2, 16
	s_delay_alu instid0(SALU_CYCLE_1) | instskip(SKIP_1) | instid1(SALU_CYCLE_1)
	s_cmp_le_u32 s3, s11
	s_cselect_b32 s0, -1, 0
	s_and_b32 s12, s0, exec_lo
	s_cselect_b32 s12, 8, 10
	s_delay_alu instid0(SALU_CYCLE_1) | instskip(SKIP_1) | instid1(SALU_CYCLE_1)
	v_mov_b32_e32 v6, s12
	s_nor_b32 s12, s0, vcc_lo
	s_and_saveexec_b32 s0, s12
	s_cbranch_execz .LBB823_215
; %bb.214:
	v_dual_lshrrev_b32 v6, s11, v5 :: v_dual_lshlrev_b32 v7, 2, v3
	s_sub_co_i32 s11, s3, s11
	s_delay_alu instid0(SALU_CYCLE_1)
	s_min_u32 s11, s11, 8
	s_delay_alu instid0(VALU_DEP_1) | instid1(SALU_CYCLE_1)
	v_bfe_u32 v6, v6, 0, s11
	s_delay_alu instid0(VALU_DEP_1)
	v_lshl_or_b32 v6, v6, 4, v7
	v_mov_b32_e32 v7, 1
	ds_add_u32 v6, v7 offset:8192
	v_mov_b32_e32 v6, 0
.LBB823_215:
	s_or_b32 exec_lo, exec_lo, s0
	s_mov_b32 s11, -1
	s_mov_b32 s12, exec_lo
	s_delay_alu instid0(VALU_DEP_1)
	v_cmpx_gt_i32_e32 10, v6
; %bb.216:
	v_cmp_eq_u32_e64 s0, 0, v6
	s_or_not1_b32 s11, s0, exec_lo
; %bb.217:
	s_or_b32 exec_lo, exec_lo, s12
	s_delay_alu instid0(SALU_CYCLE_1)
	s_and_b32 exec_lo, exec_lo, s11
	s_cbranch_execz .LBB823_220
; %bb.218:
	s_add_co_i32 s0, s2, 24
	s_delay_alu instid0(SALU_CYCLE_1) | instskip(SKIP_2) | instid1(SALU_CYCLE_1)
	s_cmp_gt_u32 s3, s0
	s_cselect_b32 s11, -1, 0
	s_xor_b32 s12, vcc_lo, -1
	s_and_b32 s11, s11, s12
	s_delay_alu instid0(SALU_CYCLE_1)
	s_and_b32 exec_lo, exec_lo, s11
	s_cbranch_execz .LBB823_220
; %bb.219:
	v_dual_lshrrev_b32 v5, s0, v5 :: v_dual_lshlrev_b32 v6, 2, v3
	s_sub_co_i32 s0, s3, s0
	s_delay_alu instid0(SALU_CYCLE_1)
	s_min_u32 s0, s0, 8
	s_delay_alu instid0(VALU_DEP_1) | instid1(SALU_CYCLE_1)
	v_bfe_u32 v5, v5, 0, s0
	s_delay_alu instid0(VALU_DEP_1)
	v_lshl_or_b32 v5, v5, 4, v6
	v_mov_b32_e32 v6, 1
	ds_add_u32 v5, v6 offset:12288
.LBB823_220:
	s_or_b32 exec_lo, exec_lo, s10
	v_cmp_le_u32_e32 vcc_lo, s1, v4
	v_mov_b32_e32 v4, s9
	s_nor_b32 s1, s8, vcc_lo
	s_delay_alu instid0(SALU_CYCLE_1)
	s_and_saveexec_b32 s0, s1
	s_cbranch_execz .LBB823_222
; %bb.221:
	v_dual_lshrrev_b32 v4, s2, v2 :: v_dual_lshlrev_b32 v5, 2, v3
	s_sub_co_i32 s1, s3, s2
	s_delay_alu instid0(SALU_CYCLE_1)
	s_min_u32 s1, s1, 8
	s_delay_alu instid0(VALU_DEP_1) | instid1(SALU_CYCLE_1)
	v_bfe_u32 v4, v4, 0, s1
	s_delay_alu instid0(VALU_DEP_1)
	v_lshl_or_b32 v4, v4, 4, v5
	v_mov_b32_e32 v5, 1
	ds_add_u32 v4, v5
	v_mov_b32_e32 v4, 0
.LBB823_222:
	s_or_b32 exec_lo, exec_lo, s0
	s_mov_b32 s8, -1
	s_mov_b32 s1, exec_lo
	s_delay_alu instid0(VALU_DEP_1)
	v_cmpx_gt_i32_e32 10, v4
; %bb.223:
	v_cmp_eq_u32_e64 s0, 0, v4
	s_or_not1_b32 s8, s0, exec_lo
; %bb.224:
	s_or_b32 exec_lo, exec_lo, s1
	s_and_saveexec_b32 s1, s8
	s_cbranch_execz .LBB823_237
; %bb.225:
	s_add_co_i32 s8, s2, 8
	s_delay_alu instid0(SALU_CYCLE_1) | instskip(SKIP_1) | instid1(SALU_CYCLE_1)
	s_cmp_le_u32 s3, s8
	s_cselect_b32 s0, -1, 0
	s_and_b32 s9, s0, exec_lo
	s_cselect_b32 s9, 8, 10
	s_delay_alu instid0(SALU_CYCLE_1) | instskip(SKIP_1) | instid1(SALU_CYCLE_1)
	v_mov_b32_e32 v4, s9
	s_nor_b32 s9, s0, vcc_lo
	s_and_saveexec_b32 s0, s9
	s_cbranch_execz .LBB823_227
; %bb.226:
	v_dual_lshrrev_b32 v4, s8, v2 :: v_dual_lshlrev_b32 v5, 2, v3
	s_sub_co_i32 s8, s3, s8
	s_delay_alu instid0(SALU_CYCLE_1)
	s_min_u32 s8, s8, 8
	s_delay_alu instid0(VALU_DEP_1) | instid1(SALU_CYCLE_1)
	v_bfe_u32 v4, v4, 0, s8
	s_delay_alu instid0(VALU_DEP_1)
	v_lshl_or_b32 v4, v4, 4, v5
	v_mov_b32_e32 v5, 1
	ds_add_u32 v4, v5 offset:4096
	v_mov_b32_e32 v4, 0
.LBB823_227:
	s_or_b32 exec_lo, exec_lo, s0
	s_mov_b32 s8, -1
	s_mov_b32 s9, exec_lo
	s_delay_alu instid0(VALU_DEP_1)
	v_cmpx_gt_i32_e32 10, v4
; %bb.228:
	v_cmp_eq_u32_e64 s0, 0, v4
	s_or_not1_b32 s8, s0, exec_lo
; %bb.229:
	s_or_b32 exec_lo, exec_lo, s9
	s_delay_alu instid0(SALU_CYCLE_1)
	s_and_b32 exec_lo, exec_lo, s8
	s_cbranch_execz .LBB823_237
; %bb.230:
	s_add_co_i32 s8, s2, 16
	s_delay_alu instid0(SALU_CYCLE_1) | instskip(SKIP_1) | instid1(SALU_CYCLE_1)
	s_cmp_le_u32 s3, s8
	s_cselect_b32 s0, -1, 0
	s_and_b32 s9, s0, exec_lo
	s_cselect_b32 s9, 8, 10
	s_delay_alu instid0(SALU_CYCLE_1) | instskip(SKIP_1) | instid1(SALU_CYCLE_1)
	v_mov_b32_e32 v4, s9
	s_nor_b32 s9, s0, vcc_lo
	s_and_saveexec_b32 s0, s9
	s_cbranch_execz .LBB823_232
; %bb.231:
	v_dual_lshrrev_b32 v4, s8, v2 :: v_dual_lshlrev_b32 v5, 2, v3
	s_sub_co_i32 s8, s3, s8
	s_delay_alu instid0(SALU_CYCLE_1)
	s_min_u32 s8, s8, 8
	s_delay_alu instid0(VALU_DEP_1) | instid1(SALU_CYCLE_1)
	v_bfe_u32 v4, v4, 0, s8
	s_delay_alu instid0(VALU_DEP_1)
	v_lshl_or_b32 v4, v4, 4, v5
	v_mov_b32_e32 v5, 1
	ds_add_u32 v4, v5 offset:8192
	v_mov_b32_e32 v4, 0
.LBB823_232:
	s_or_b32 exec_lo, exec_lo, s0
	s_mov_b32 s8, -1
	s_mov_b32 s9, exec_lo
	s_delay_alu instid0(VALU_DEP_1)
	v_cmpx_gt_i32_e32 10, v4
; %bb.233:
	v_cmp_eq_u32_e64 s0, 0, v4
	s_or_not1_b32 s8, s0, exec_lo
; %bb.234:
	s_or_b32 exec_lo, exec_lo, s9
	s_delay_alu instid0(SALU_CYCLE_1)
	s_and_b32 exec_lo, exec_lo, s8
	s_cbranch_execz .LBB823_237
; %bb.235:
	s_add_co_i32 s0, s2, 24
	s_delay_alu instid0(SALU_CYCLE_1) | instskip(SKIP_2) | instid1(SALU_CYCLE_1)
	s_cmp_gt_u32 s3, s0
	s_cselect_b32 s8, -1, 0
	s_xor_b32 s9, vcc_lo, -1
	s_and_b32 s8, s8, s9
	s_delay_alu instid0(SALU_CYCLE_1)
	s_and_b32 exec_lo, exec_lo, s8
	s_cbranch_execz .LBB823_237
; %bb.236:
	v_dual_lshrrev_b32 v2, s0, v2 :: v_dual_lshlrev_b32 v3, 2, v3
	s_sub_co_i32 s0, s3, s0
	s_delay_alu instid0(SALU_CYCLE_1)
	s_min_u32 s0, s0, 8
	s_delay_alu instid0(VALU_DEP_1) | instid1(SALU_CYCLE_1)
	v_bfe_u32 v2, v2, 0, s0
	s_delay_alu instid0(VALU_DEP_1)
	v_lshl_or_b32 v2, v2, 4, v3
	v_mov_b32_e32 v3, 1
	ds_add_u32 v2, v3 offset:12288
.LBB823_237:
	s_or_b32 exec_lo, exec_lo, s1
	s_cmp_gt_u32 s3, s2
	s_wait_dscnt 0x0
	s_barrier_signal -1
	s_barrier_wait -1
	s_cbranch_scc0 .LBB823_242
; %bb.238:
	v_mad_u32_u24 v1, v0, 12, v1
	v_dual_mov_b32 v3, 0 :: v_dual_mov_b32 v4, v0
	s_mov_b32 s0, s2
	v_cmp_gt_u32_e32 vcc_lo, 0x100, v0
	s_branch .LBB823_240
.LBB823_239:                            ;   in Loop: Header=BB823_240 Depth=1
	s_wait_xcnt 0x0
	s_or_b32 exec_lo, exec_lo, s1
	v_add_nc_u32_e32 v4, 0x100, v4
	v_add_nc_u32_e32 v1, 0x1000, v1
	s_add_co_i32 s0, s0, 8
	s_delay_alu instid0(SALU_CYCLE_1)
	s_cmp_lt_u32 s0, s3
	s_cbranch_scc0 .LBB823_242
.LBB823_240:                            ; =>This Inner Loop Header: Depth=1
	s_and_saveexec_b32 s1, vcc_lo
	s_cbranch_execz .LBB823_239
; %bb.241:                              ;   in Loop: Header=BB823_240 Depth=1
	ds_load_2addr_b32 v[6:7], v1 offset1:1
	ds_load_2addr_b32 v[8:9], v1 offset0:2 offset1:3
	s_wait_dscnt 0x1
	v_add_nc_u32_e32 v2, v7, v6
	s_wait_dscnt 0x0
	s_delay_alu instid0(VALU_DEP_1)
	v_add3_u32 v2, v2, v8, v9
	global_atomic_add_u64 v4, v[2:3], s[6:7] scale_offset scope:SCOPE_DEV
	s_branch .LBB823_239
.LBB823_242:
	s_mov_b32 s9, 0
.LBB823_243:
	s_delay_alu instid0(SALU_CYCLE_1)
	s_and_b32 vcc_lo, exec_lo, s9
	s_cbranch_vccz .LBB823_343
; %bb.244:
	s_clause 0xb
	global_load_b32 v10, v0, s[4:5] scale_offset
	global_load_b32 v11, v0, s[4:5] offset:2048 scale_offset
	global_load_b32 v12, v0, s[4:5] offset:4096 scale_offset
	global_load_b32 v13, v0, s[4:5] offset:6144 scale_offset
	global_load_b32 v14, v0, s[4:5] offset:8192 scale_offset
	global_load_b32 v7, v0, s[4:5] offset:10240 scale_offset
	global_load_b32 v8, v0, s[4:5] offset:12288 scale_offset
	global_load_b32 v9, v0, s[4:5] offset:14336 scale_offset
	global_load_b32 v6, v0, s[4:5] offset:16384 scale_offset
	global_load_b32 v5, v0, s[4:5] offset:18432 scale_offset
	global_load_b32 v1, v0, s[4:5] offset:20480 scale_offset
	global_load_b32 v4, v0, s[4:5] offset:22528 scale_offset
	s_cmp_eq_u32 s2, 0
	v_dual_mov_b32 v2, 0 :: v_dual_lshlrev_b32 v15, 2, v0
	s_cselect_b32 s0, -1, 0
	s_cmp_eq_u32 s3, 32
	s_wait_xcnt 0x0
	v_cmp_gt_u32_e64 s4, 7, 3
	s_cselect_b32 s1, -1, 0
	s_delay_alu instid0(SALU_CYCLE_1)
	s_and_b32 s0, s0, s1
	s_mov_b32 s1, -1
	s_and_b32 vcc_lo, exec_lo, s0
	v_cmp_gt_u32_e64 s0, 7, 4
	s_cbranch_vccnz .LBB823_332
; %bb.245:
	ds_store_2addr_stride64_b32 v15, v2, v2 offset1:8
	ds_store_2addr_stride64_b32 v15, v2, v2 offset0:16 offset1:24
	s_and_saveexec_b32 s1, s4
; %bb.246:
	v_mov_b32_e32 v2, 0
	ds_store_b32 v15, v2 offset:8192
; %bb.247:
	s_or_b32 exec_lo, exec_lo, s1
	s_and_saveexec_b32 s1, s0
; %bb.248:
	v_mov_b32_e32 v2, 0
	ds_store_b32 v15, v2 offset:10240
; %bb.249:
	s_or_b32 exec_lo, exec_lo, s1
	v_cmp_gt_u32_e64 s0, 7, 6
	s_mov_b32 s1, exec_lo
	v_cmpx_gt_u32_e64 7, 5
; %bb.250:
	v_mov_b32_e32 v2, 0
	ds_store_b32 v15, v2 offset:12288
; %bb.251:
	s_or_b32 exec_lo, exec_lo, s1
	s_and_saveexec_b32 s1, s0
; %bb.252:
	v_mov_b32_e32 v2, 0
	ds_store_b32 v15, v2 offset:14336
; %bb.253:
	s_or_b32 exec_lo, exec_lo, s1
	s_cmp_gt_u32 s3, s2
	s_wait_storecnt 0x0
	s_wait_loadcnt_dscnt 0x0
	s_cselect_b32 s0, -1, 0
	s_barrier_signal -1
	s_and_b32 vcc_lo, exec_lo, s0
	s_barrier_wait -1
	s_cbranch_vccz .LBB823_326
; %bb.254:
	v_xor_b32_e32 v17, 0x7fffffff, v10
	s_sub_co_i32 s1, s3, s2
	v_and_b32_e32 v2, 3, v0
	s_min_u32 s1, s1, 8
	s_mov_b32 s9, -1
	v_lshrrev_b32_e32 v16, s2, v17
	s_lshl_b32 s4, -1, s1
	v_dual_mov_b32 v18, 1 :: v_dual_lshlrev_b32 v3, 2, v2
	s_add_co_i32 s1, s2, 8
	s_delay_alu instid0(VALU_DEP_2) | instskip(SKIP_3) | instid1(VALU_DEP_1)
	v_bitop3_b32 v16, v16, s4, v16 bitop3:0x30
	s_not_b32 s4, s4
	s_cmp_le_u32 s3, s1
	s_cselect_b32 s5, -1, 0
	v_lshl_or_b32 v16, v16, 4, v3
	s_and_b32 vcc_lo, exec_lo, s5
	ds_add_u32 v16, v18
	v_xor_b32_e32 v16, 0x7fffffff, v11
	s_delay_alu instid0(VALU_DEP_1) | instskip(NEXT) | instid1(VALU_DEP_1)
	v_lshrrev_b32_e32 v18, s2, v16
	v_and_b32_e32 v18, s4, v18
	s_cbranch_vccz .LBB823_256
; %bb.255:
	s_delay_alu instid0(VALU_DEP_1)
	v_lshlrev_b32_e32 v19, 4, v18
	s_mov_b32 s8, -1
	s_cbranch_execz .LBB823_257
	s_branch .LBB823_264
.LBB823_256:
	s_mov_b32 s8, 0
                                        ; implicit-def: $vgpr19
	s_and_not1_b32 vcc_lo, exec_lo, s9
	s_cbranch_vccnz .LBB823_264
.LBB823_257:
	s_sub_co_i32 s9, s3, s1
	v_lshrrev_b32_e32 v19, s1, v17
	s_min_u32 s9, s9, 8
	s_delay_alu instid0(SALU_CYCLE_1) | instskip(SKIP_1) | instid1(VALU_DEP_1)
	s_lshl_b32 s10, -1, s9
	s_add_co_i32 s9, s2, 16
	v_bitop3_b32 v19, v19, s10, v19 bitop3:0x30
	s_not_b32 s11, s10
	s_cmp_gt_u32 s3, s9
	s_cselect_b32 s10, -1, 0
	s_delay_alu instid0(VALU_DEP_1)
	v_lshl_or_b32 v20, v19, 4, v3
	v_mov_b32_e32 v19, 1
	s_cmp_le_u32 s3, s9
	ds_add_u32 v20, v19 offset:4096
	s_cbranch_scc1 .LBB823_260
; %bb.258:
	v_lshrrev_b32_e32 v20, s9, v17
	s_sub_co_i32 s12, s3, s9
	s_delay_alu instid0(SALU_CYCLE_1)
	s_min_u32 s12, s12, 8
	s_delay_alu instid0(VALU_DEP_1) | instid1(SALU_CYCLE_1)
	v_bfe_u32 v20, v20, 0, s12
	s_add_co_i32 s12, s2, 24
	s_delay_alu instid0(SALU_CYCLE_1) | instskip(NEXT) | instid1(VALU_DEP_1)
	s_cmp_le_u32 s3, s12
	v_lshl_or_b32 v20, v20, 4, v3
	ds_add_u32 v20, v19 offset:8192
	s_cbranch_scc1 .LBB823_260
; %bb.259:
	v_dual_mov_b32 v20, 1 :: v_dual_lshrrev_b32 v17, s12, v17
	s_sub_co_i32 s12, s3, s12
	s_delay_alu instid0(SALU_CYCLE_1)
	s_min_u32 s12, s12, 8
	s_delay_alu instid0(VALU_DEP_1) | instid1(SALU_CYCLE_1)
	v_bfe_u32 v17, v17, 0, s12
	s_delay_alu instid0(VALU_DEP_1)
	v_lshl_or_b32 v17, v17, 4, v3
	ds_add_u32 v17, v20 offset:12288
.LBB823_260:
	v_lshrrev_b32_e32 v17, s1, v16
	v_lshl_or_b32 v18, v18, 4, v3
	s_and_not1_b32 vcc_lo, exec_lo, s10
	s_delay_alu instid0(VALU_DEP_2) | instskip(NEXT) | instid1(VALU_DEP_1)
	v_and_b32_e32 v17, s11, v17
	v_lshl_or_b32 v17, v17, 4, v3
	ds_add_u32 v18, v19
	ds_add_u32 v17, v19 offset:4096
	s_cbranch_vccnz .LBB823_263
; %bb.261:
	v_dual_mov_b32 v18, 1 :: v_dual_lshrrev_b32 v17, s9, v16
	s_sub_co_i32 s9, s3, s9
                                        ; implicit-def: $vgpr19
	s_delay_alu instid0(SALU_CYCLE_1)
	s_min_u32 s9, s9, 8
	s_delay_alu instid0(VALU_DEP_1) | instid1(SALU_CYCLE_1)
	v_bfe_u32 v17, v17, 0, s9
	s_add_co_i32 s9, s2, 24
	s_delay_alu instid0(SALU_CYCLE_1) | instskip(NEXT) | instid1(VALU_DEP_1)
	s_cmp_gt_u32 s3, s9
	v_lshl_or_b32 v17, v17, 4, v3
	ds_add_u32 v17, v18 offset:8192
	s_cbranch_scc0 .LBB823_264
; %bb.262:
	v_lshrrev_b32_e32 v16, s9, v16
	s_sub_co_i32 s8, s3, s9
	s_delay_alu instid0(SALU_CYCLE_1)
	s_min_u32 s8, s8, 8
	s_delay_alu instid0(VALU_DEP_1) | instid1(SALU_CYCLE_1)
	v_bfe_u32 v16, v16, 0, s8
	s_mov_b32 s8, -1
	s_delay_alu instid0(VALU_DEP_1)
	v_lshl_add_u32 v19, v16, 4, 0x3000
	s_branch .LBB823_264
.LBB823_263:
                                        ; implicit-def: $vgpr19
.LBB823_264:
	s_and_b32 vcc_lo, exec_lo, s8
	s_cbranch_vccz .LBB823_266
; %bb.265:
	s_delay_alu instid0(VALU_DEP_1)
	v_lshl_add_u32 v16, v2, 2, v19
	v_mov_b32_e32 v17, 1
	ds_add_u32 v16, v17
.LBB823_266:
	v_xor_b32_e32 v18, 0x7fffffff, v12
	s_and_b32 vcc_lo, exec_lo, s5
	s_delay_alu instid0(VALU_DEP_1) | instskip(NEXT) | instid1(VALU_DEP_1)
	v_dual_mov_b32 v17, 1 :: v_dual_lshrrev_b32 v16, s2, v18
	v_and_b32_e32 v16, s4, v16
	s_delay_alu instid0(VALU_DEP_1) | instskip(SKIP_2) | instid1(VALU_DEP_1)
	v_lshl_or_b32 v16, v16, 4, v3
	ds_add_u32 v16, v17
	v_xor_b32_e32 v16, 0x7fffffff, v13
	v_lshrrev_b32_e32 v17, s2, v16
	s_delay_alu instid0(VALU_DEP_1)
	v_and_b32_e32 v17, s4, v17
	s_cbranch_vccz .LBB823_268
; %bb.267:
	s_delay_alu instid0(VALU_DEP_1)
	v_lshlrev_b32_e32 v19, 4, v17
	s_mov_b32 s8, -1
	s_cbranch_execz .LBB823_269
	s_branch .LBB823_276
.LBB823_268:
	s_mov_b32 s8, 0
                                        ; implicit-def: $vgpr19
.LBB823_269:
	s_sub_co_i32 s9, s3, s1
	v_lshrrev_b32_e32 v19, s1, v18
	s_min_u32 s9, s9, 8
	s_delay_alu instid0(SALU_CYCLE_1) | instskip(SKIP_1) | instid1(VALU_DEP_1)
	s_lshl_b32 s10, -1, s9
	s_add_co_i32 s9, s2, 16
	v_bitop3_b32 v19, v19, s10, v19 bitop3:0x30
	s_not_b32 s11, s10
	s_cmp_gt_u32 s3, s9
	s_cselect_b32 s10, -1, 0
	s_delay_alu instid0(VALU_DEP_1)
	v_lshl_or_b32 v20, v19, 4, v3
	v_mov_b32_e32 v19, 1
	s_cmp_le_u32 s3, s9
	ds_add_u32 v20, v19 offset:4096
	s_cbranch_scc1 .LBB823_272
; %bb.270:
	v_lshrrev_b32_e32 v20, s9, v18
	s_sub_co_i32 s12, s3, s9
	s_delay_alu instid0(SALU_CYCLE_1)
	s_min_u32 s12, s12, 8
	s_delay_alu instid0(VALU_DEP_1) | instid1(SALU_CYCLE_1)
	v_bfe_u32 v20, v20, 0, s12
	s_add_co_i32 s12, s2, 24
	s_delay_alu instid0(SALU_CYCLE_1) | instskip(NEXT) | instid1(VALU_DEP_1)
	s_cmp_le_u32 s3, s12
	v_lshl_or_b32 v20, v20, 4, v3
	ds_add_u32 v20, v19 offset:8192
	s_cbranch_scc1 .LBB823_272
; %bb.271:
	v_dual_lshrrev_b32 v18, s12, v18 :: v_dual_mov_b32 v20, 1
	s_sub_co_i32 s12, s3, s12
	s_delay_alu instid0(SALU_CYCLE_1)
	s_min_u32 s12, s12, 8
	s_delay_alu instid0(VALU_DEP_1) | instid1(SALU_CYCLE_1)
	v_bfe_u32 v18, v18, 0, s12
	s_delay_alu instid0(VALU_DEP_1)
	v_lshl_or_b32 v18, v18, 4, v3
	ds_add_u32 v18, v20 offset:12288
.LBB823_272:
	v_lshrrev_b32_e32 v18, s1, v16
	v_lshl_or_b32 v17, v17, 4, v3
	s_and_not1_b32 vcc_lo, exec_lo, s10
	s_delay_alu instid0(VALU_DEP_2) | instskip(NEXT) | instid1(VALU_DEP_1)
	v_and_b32_e32 v18, s11, v18
	v_lshl_or_b32 v18, v18, 4, v3
	ds_add_u32 v17, v19
	ds_add_u32 v18, v19 offset:4096
	s_cbranch_vccnz .LBB823_275
; %bb.273:
	v_dual_mov_b32 v18, 1 :: v_dual_lshrrev_b32 v17, s9, v16
	s_sub_co_i32 s9, s3, s9
                                        ; implicit-def: $vgpr19
	s_delay_alu instid0(SALU_CYCLE_1)
	s_min_u32 s9, s9, 8
	s_delay_alu instid0(VALU_DEP_1) | instid1(SALU_CYCLE_1)
	v_bfe_u32 v17, v17, 0, s9
	s_add_co_i32 s9, s2, 24
	s_delay_alu instid0(SALU_CYCLE_1) | instskip(NEXT) | instid1(VALU_DEP_1)
	s_cmp_gt_u32 s3, s9
	v_lshl_or_b32 v17, v17, 4, v3
	ds_add_u32 v17, v18 offset:8192
	s_cbranch_scc0 .LBB823_276
; %bb.274:
	v_lshrrev_b32_e32 v16, s9, v16
	s_sub_co_i32 s8, s3, s9
	s_delay_alu instid0(SALU_CYCLE_1)
	s_min_u32 s8, s8, 8
	s_delay_alu instid0(VALU_DEP_1) | instid1(SALU_CYCLE_1)
	v_bfe_u32 v16, v16, 0, s8
	s_mov_b32 s8, -1
	s_delay_alu instid0(VALU_DEP_1)
	v_lshl_add_u32 v19, v16, 4, 0x3000
	s_branch .LBB823_276
.LBB823_275:
                                        ; implicit-def: $vgpr19
.LBB823_276:
	s_and_b32 vcc_lo, exec_lo, s8
	s_cbranch_vccz .LBB823_278
; %bb.277:
	s_delay_alu instid0(VALU_DEP_1)
	v_lshl_add_u32 v16, v2, 2, v19
	v_mov_b32_e32 v17, 1
	ds_add_u32 v16, v17
.LBB823_278:
	v_xor_b32_e32 v18, 0x7fffffff, v14
	s_and_b32 vcc_lo, exec_lo, s5
	s_delay_alu instid0(VALU_DEP_1) | instskip(NEXT) | instid1(VALU_DEP_1)
	v_dual_mov_b32 v17, 1 :: v_dual_lshrrev_b32 v16, s2, v18
	v_and_b32_e32 v16, s4, v16
	s_delay_alu instid0(VALU_DEP_1) | instskip(SKIP_2) | instid1(VALU_DEP_1)
	v_lshl_or_b32 v16, v16, 4, v3
	ds_add_u32 v16, v17
	v_xor_b32_e32 v16, 0x7fffffff, v7
	v_lshrrev_b32_e32 v17, s2, v16
	s_delay_alu instid0(VALU_DEP_1)
	v_and_b32_e32 v17, s4, v17
	s_cbranch_vccz .LBB823_280
; %bb.279:
	s_delay_alu instid0(VALU_DEP_1)
	v_lshlrev_b32_e32 v19, 4, v17
	s_mov_b32 s8, -1
	s_cbranch_execz .LBB823_281
	s_branch .LBB823_288
.LBB823_280:
	s_mov_b32 s8, 0
                                        ; implicit-def: $vgpr19
.LBB823_281:
	s_sub_co_i32 s9, s3, s1
	v_lshrrev_b32_e32 v19, s1, v18
	s_min_u32 s9, s9, 8
	s_delay_alu instid0(SALU_CYCLE_1) | instskip(SKIP_1) | instid1(VALU_DEP_1)
	s_lshl_b32 s10, -1, s9
	s_add_co_i32 s9, s2, 16
	v_bitop3_b32 v19, v19, s10, v19 bitop3:0x30
	s_not_b32 s11, s10
	s_cmp_gt_u32 s3, s9
	s_cselect_b32 s10, -1, 0
	s_delay_alu instid0(VALU_DEP_1)
	v_lshl_or_b32 v20, v19, 4, v3
	v_mov_b32_e32 v19, 1
	s_cmp_le_u32 s3, s9
	ds_add_u32 v20, v19 offset:4096
	s_cbranch_scc1 .LBB823_284
; %bb.282:
	v_lshrrev_b32_e32 v20, s9, v18
	s_sub_co_i32 s12, s3, s9
	s_delay_alu instid0(SALU_CYCLE_1)
	s_min_u32 s12, s12, 8
	s_delay_alu instid0(VALU_DEP_1) | instid1(SALU_CYCLE_1)
	v_bfe_u32 v20, v20, 0, s12
	s_add_co_i32 s12, s2, 24
	s_delay_alu instid0(SALU_CYCLE_1) | instskip(NEXT) | instid1(VALU_DEP_1)
	s_cmp_le_u32 s3, s12
	v_lshl_or_b32 v20, v20, 4, v3
	ds_add_u32 v20, v19 offset:8192
	s_cbranch_scc1 .LBB823_284
; %bb.283:
	v_dual_lshrrev_b32 v18, s12, v18 :: v_dual_mov_b32 v20, 1
	s_sub_co_i32 s12, s3, s12
	s_delay_alu instid0(SALU_CYCLE_1)
	s_min_u32 s12, s12, 8
	s_delay_alu instid0(VALU_DEP_1) | instid1(SALU_CYCLE_1)
	v_bfe_u32 v18, v18, 0, s12
	s_delay_alu instid0(VALU_DEP_1)
	v_lshl_or_b32 v18, v18, 4, v3
	ds_add_u32 v18, v20 offset:12288
.LBB823_284:
	v_lshrrev_b32_e32 v18, s1, v16
	v_lshl_or_b32 v17, v17, 4, v3
	s_and_not1_b32 vcc_lo, exec_lo, s10
	s_delay_alu instid0(VALU_DEP_2) | instskip(NEXT) | instid1(VALU_DEP_1)
	v_and_b32_e32 v18, s11, v18
	v_lshl_or_b32 v18, v18, 4, v3
	ds_add_u32 v17, v19
	ds_add_u32 v18, v19 offset:4096
	s_cbranch_vccnz .LBB823_287
; %bb.285:
	v_dual_mov_b32 v18, 1 :: v_dual_lshrrev_b32 v17, s9, v16
	s_sub_co_i32 s9, s3, s9
                                        ; implicit-def: $vgpr19
	s_delay_alu instid0(SALU_CYCLE_1)
	s_min_u32 s9, s9, 8
	s_delay_alu instid0(VALU_DEP_1) | instid1(SALU_CYCLE_1)
	v_bfe_u32 v17, v17, 0, s9
	s_add_co_i32 s9, s2, 24
	s_delay_alu instid0(SALU_CYCLE_1) | instskip(NEXT) | instid1(VALU_DEP_1)
	s_cmp_gt_u32 s3, s9
	v_lshl_or_b32 v17, v17, 4, v3
	ds_add_u32 v17, v18 offset:8192
	s_cbranch_scc0 .LBB823_288
; %bb.286:
	v_lshrrev_b32_e32 v16, s9, v16
	s_sub_co_i32 s8, s3, s9
	s_delay_alu instid0(SALU_CYCLE_1)
	s_min_u32 s8, s8, 8
	s_delay_alu instid0(VALU_DEP_1) | instid1(SALU_CYCLE_1)
	v_bfe_u32 v16, v16, 0, s8
	s_mov_b32 s8, -1
	s_delay_alu instid0(VALU_DEP_1)
	v_lshl_add_u32 v19, v16, 4, 0x3000
	s_branch .LBB823_288
.LBB823_287:
                                        ; implicit-def: $vgpr19
.LBB823_288:
	s_and_b32 vcc_lo, exec_lo, s8
	s_cbranch_vccz .LBB823_290
; %bb.289:
	s_delay_alu instid0(VALU_DEP_1)
	v_lshl_add_u32 v16, v2, 2, v19
	v_mov_b32_e32 v17, 1
	ds_add_u32 v16, v17
.LBB823_290:
	v_xor_b32_e32 v18, 0x7fffffff, v8
	s_and_b32 vcc_lo, exec_lo, s5
	s_delay_alu instid0(VALU_DEP_1) | instskip(NEXT) | instid1(VALU_DEP_1)
	v_dual_mov_b32 v17, 1 :: v_dual_lshrrev_b32 v16, s2, v18
	v_and_b32_e32 v16, s4, v16
	s_delay_alu instid0(VALU_DEP_1) | instskip(SKIP_2) | instid1(VALU_DEP_1)
	v_lshl_or_b32 v16, v16, 4, v3
	ds_add_u32 v16, v17
	v_xor_b32_e32 v16, 0x7fffffff, v9
	v_lshrrev_b32_e32 v17, s2, v16
	s_delay_alu instid0(VALU_DEP_1)
	v_and_b32_e32 v17, s4, v17
	s_cbranch_vccz .LBB823_292
; %bb.291:
	s_delay_alu instid0(VALU_DEP_1)
	v_lshlrev_b32_e32 v19, 4, v17
	s_mov_b32 s8, -1
	s_cbranch_execz .LBB823_293
	s_branch .LBB823_300
.LBB823_292:
	s_mov_b32 s8, 0
                                        ; implicit-def: $vgpr19
.LBB823_293:
	s_sub_co_i32 s9, s3, s1
	v_lshrrev_b32_e32 v19, s1, v18
	s_min_u32 s9, s9, 8
	s_delay_alu instid0(SALU_CYCLE_1) | instskip(SKIP_1) | instid1(VALU_DEP_1)
	s_lshl_b32 s10, -1, s9
	s_add_co_i32 s9, s2, 16
	v_bitop3_b32 v19, v19, s10, v19 bitop3:0x30
	s_not_b32 s11, s10
	s_cmp_gt_u32 s3, s9
	s_cselect_b32 s10, -1, 0
	s_delay_alu instid0(VALU_DEP_1)
	v_lshl_or_b32 v20, v19, 4, v3
	v_mov_b32_e32 v19, 1
	s_cmp_le_u32 s3, s9
	ds_add_u32 v20, v19 offset:4096
	s_cbranch_scc1 .LBB823_296
; %bb.294:
	v_lshrrev_b32_e32 v20, s9, v18
	s_sub_co_i32 s12, s3, s9
	s_delay_alu instid0(SALU_CYCLE_1)
	s_min_u32 s12, s12, 8
	s_delay_alu instid0(VALU_DEP_1) | instid1(SALU_CYCLE_1)
	v_bfe_u32 v20, v20, 0, s12
	s_add_co_i32 s12, s2, 24
	s_delay_alu instid0(SALU_CYCLE_1) | instskip(NEXT) | instid1(VALU_DEP_1)
	s_cmp_le_u32 s3, s12
	v_lshl_or_b32 v20, v20, 4, v3
	ds_add_u32 v20, v19 offset:8192
	s_cbranch_scc1 .LBB823_296
; %bb.295:
	v_dual_lshrrev_b32 v18, s12, v18 :: v_dual_mov_b32 v20, 1
	s_sub_co_i32 s12, s3, s12
	s_delay_alu instid0(SALU_CYCLE_1)
	s_min_u32 s12, s12, 8
	s_delay_alu instid0(VALU_DEP_1) | instid1(SALU_CYCLE_1)
	v_bfe_u32 v18, v18, 0, s12
	s_delay_alu instid0(VALU_DEP_1)
	v_lshl_or_b32 v18, v18, 4, v3
	ds_add_u32 v18, v20 offset:12288
.LBB823_296:
	v_lshrrev_b32_e32 v18, s1, v16
	v_lshl_or_b32 v17, v17, 4, v3
	s_and_not1_b32 vcc_lo, exec_lo, s10
	s_delay_alu instid0(VALU_DEP_2) | instskip(NEXT) | instid1(VALU_DEP_1)
	v_and_b32_e32 v18, s11, v18
	v_lshl_or_b32 v18, v18, 4, v3
	ds_add_u32 v17, v19
	ds_add_u32 v18, v19 offset:4096
	s_cbranch_vccnz .LBB823_299
; %bb.297:
	v_dual_mov_b32 v18, 1 :: v_dual_lshrrev_b32 v17, s9, v16
	s_sub_co_i32 s9, s3, s9
                                        ; implicit-def: $vgpr19
	s_delay_alu instid0(SALU_CYCLE_1)
	s_min_u32 s9, s9, 8
	s_delay_alu instid0(VALU_DEP_1) | instid1(SALU_CYCLE_1)
	v_bfe_u32 v17, v17, 0, s9
	s_add_co_i32 s9, s2, 24
	s_delay_alu instid0(SALU_CYCLE_1) | instskip(NEXT) | instid1(VALU_DEP_1)
	s_cmp_gt_u32 s3, s9
	v_lshl_or_b32 v17, v17, 4, v3
	ds_add_u32 v17, v18 offset:8192
	s_cbranch_scc0 .LBB823_300
; %bb.298:
	v_lshrrev_b32_e32 v16, s9, v16
	s_sub_co_i32 s8, s3, s9
	s_delay_alu instid0(SALU_CYCLE_1)
	s_min_u32 s8, s8, 8
	s_delay_alu instid0(VALU_DEP_1) | instid1(SALU_CYCLE_1)
	v_bfe_u32 v16, v16, 0, s8
	s_mov_b32 s8, -1
	s_delay_alu instid0(VALU_DEP_1)
	v_lshl_add_u32 v19, v16, 4, 0x3000
	s_branch .LBB823_300
.LBB823_299:
                                        ; implicit-def: $vgpr19
.LBB823_300:
	s_and_b32 vcc_lo, exec_lo, s8
	s_cbranch_vccz .LBB823_302
; %bb.301:
	s_delay_alu instid0(VALU_DEP_1)
	v_lshl_add_u32 v16, v2, 2, v19
	v_mov_b32_e32 v17, 1
	ds_add_u32 v16, v17
.LBB823_302:
	v_xor_b32_e32 v18, 0x7fffffff, v6
	s_and_b32 vcc_lo, exec_lo, s5
	s_delay_alu instid0(VALU_DEP_1) | instskip(NEXT) | instid1(VALU_DEP_1)
	v_dual_mov_b32 v17, 1 :: v_dual_lshrrev_b32 v16, s2, v18
	v_and_b32_e32 v16, s4, v16
	s_delay_alu instid0(VALU_DEP_1) | instskip(SKIP_2) | instid1(VALU_DEP_1)
	v_lshl_or_b32 v16, v16, 4, v3
	ds_add_u32 v16, v17
	v_xor_b32_e32 v16, 0x7fffffff, v5
	v_lshrrev_b32_e32 v17, s2, v16
	s_delay_alu instid0(VALU_DEP_1)
	v_and_b32_e32 v17, s4, v17
	s_cbranch_vccz .LBB823_304
; %bb.303:
	s_delay_alu instid0(VALU_DEP_1)
	v_lshlrev_b32_e32 v19, 4, v17
	s_mov_b32 s8, -1
	s_cbranch_execz .LBB823_305
	s_branch .LBB823_312
.LBB823_304:
	s_mov_b32 s8, 0
                                        ; implicit-def: $vgpr19
.LBB823_305:
	s_sub_co_i32 s9, s3, s1
	v_lshrrev_b32_e32 v19, s1, v18
	s_min_u32 s9, s9, 8
	s_delay_alu instid0(SALU_CYCLE_1) | instskip(SKIP_1) | instid1(VALU_DEP_1)
	s_lshl_b32 s10, -1, s9
	s_add_co_i32 s9, s2, 16
	v_bitop3_b32 v19, v19, s10, v19 bitop3:0x30
	s_not_b32 s11, s10
	s_cmp_gt_u32 s3, s9
	s_cselect_b32 s10, -1, 0
	s_delay_alu instid0(VALU_DEP_1)
	v_lshl_or_b32 v20, v19, 4, v3
	v_mov_b32_e32 v19, 1
	s_cmp_le_u32 s3, s9
	ds_add_u32 v20, v19 offset:4096
	s_cbranch_scc1 .LBB823_308
; %bb.306:
	v_lshrrev_b32_e32 v20, s9, v18
	s_sub_co_i32 s12, s3, s9
	s_delay_alu instid0(SALU_CYCLE_1)
	s_min_u32 s12, s12, 8
	s_delay_alu instid0(VALU_DEP_1) | instid1(SALU_CYCLE_1)
	v_bfe_u32 v20, v20, 0, s12
	s_add_co_i32 s12, s2, 24
	s_delay_alu instid0(SALU_CYCLE_1) | instskip(NEXT) | instid1(VALU_DEP_1)
	s_cmp_le_u32 s3, s12
	v_lshl_or_b32 v20, v20, 4, v3
	ds_add_u32 v20, v19 offset:8192
	s_cbranch_scc1 .LBB823_308
; %bb.307:
	v_dual_lshrrev_b32 v18, s12, v18 :: v_dual_mov_b32 v20, 1
	s_sub_co_i32 s12, s3, s12
	s_delay_alu instid0(SALU_CYCLE_1)
	s_min_u32 s12, s12, 8
	s_delay_alu instid0(VALU_DEP_1) | instid1(SALU_CYCLE_1)
	v_bfe_u32 v18, v18, 0, s12
	s_delay_alu instid0(VALU_DEP_1)
	v_lshl_or_b32 v18, v18, 4, v3
	ds_add_u32 v18, v20 offset:12288
.LBB823_308:
	v_lshrrev_b32_e32 v18, s1, v16
	v_lshl_or_b32 v17, v17, 4, v3
	s_and_not1_b32 vcc_lo, exec_lo, s10
	s_delay_alu instid0(VALU_DEP_2) | instskip(NEXT) | instid1(VALU_DEP_1)
	v_and_b32_e32 v18, s11, v18
	v_lshl_or_b32 v18, v18, 4, v3
	ds_add_u32 v17, v19
	ds_add_u32 v18, v19 offset:4096
	s_cbranch_vccnz .LBB823_311
; %bb.309:
	v_dual_mov_b32 v18, 1 :: v_dual_lshrrev_b32 v17, s9, v16
	s_sub_co_i32 s9, s3, s9
                                        ; implicit-def: $vgpr19
	s_delay_alu instid0(SALU_CYCLE_1)
	s_min_u32 s9, s9, 8
	s_delay_alu instid0(VALU_DEP_1) | instid1(SALU_CYCLE_1)
	v_bfe_u32 v17, v17, 0, s9
	s_add_co_i32 s9, s2, 24
	s_delay_alu instid0(SALU_CYCLE_1) | instskip(NEXT) | instid1(VALU_DEP_1)
	s_cmp_gt_u32 s3, s9
	v_lshl_or_b32 v17, v17, 4, v3
	ds_add_u32 v17, v18 offset:8192
	s_cbranch_scc0 .LBB823_312
; %bb.310:
	v_lshrrev_b32_e32 v16, s9, v16
	s_sub_co_i32 s8, s3, s9
	s_delay_alu instid0(SALU_CYCLE_1)
	s_min_u32 s8, s8, 8
	s_delay_alu instid0(VALU_DEP_1) | instid1(SALU_CYCLE_1)
	v_bfe_u32 v16, v16, 0, s8
	s_mov_b32 s8, -1
	s_delay_alu instid0(VALU_DEP_1)
	v_lshl_add_u32 v19, v16, 4, 0x3000
	s_branch .LBB823_312
.LBB823_311:
                                        ; implicit-def: $vgpr19
.LBB823_312:
	s_and_b32 vcc_lo, exec_lo, s8
	s_cbranch_vccz .LBB823_314
; %bb.313:
	s_delay_alu instid0(VALU_DEP_1)
	v_lshl_add_u32 v16, v2, 2, v19
	v_mov_b32_e32 v17, 1
	ds_add_u32 v16, v17
.LBB823_314:
	v_xor_b32_e32 v18, 0x7fffffff, v1
	s_and_b32 vcc_lo, exec_lo, s5
	s_delay_alu instid0(VALU_DEP_1) | instskip(NEXT) | instid1(VALU_DEP_1)
	v_dual_mov_b32 v17, 1 :: v_dual_lshrrev_b32 v16, s2, v18
	v_and_b32_e32 v16, s4, v16
	s_delay_alu instid0(VALU_DEP_1) | instskip(SKIP_2) | instid1(VALU_DEP_1)
	v_lshl_or_b32 v16, v16, 4, v3
	ds_add_u32 v16, v17
	v_xor_b32_e32 v16, 0x7fffffff, v4
	v_lshrrev_b32_e32 v17, s2, v16
	s_delay_alu instid0(VALU_DEP_1)
	v_and_b32_e32 v17, s4, v17
	s_cbranch_vccz .LBB823_316
; %bb.315:
	s_delay_alu instid0(VALU_DEP_1)
	v_lshlrev_b32_e32 v19, 4, v17
	s_mov_b32 s4, -1
	s_cbranch_execz .LBB823_317
	s_branch .LBB823_324
.LBB823_316:
	s_mov_b32 s4, 0
                                        ; implicit-def: $vgpr19
.LBB823_317:
	s_sub_co_i32 s5, s3, s1
	v_lshrrev_b32_e32 v19, s1, v18
	s_min_u32 s5, s5, 8
	s_delay_alu instid0(SALU_CYCLE_1) | instskip(SKIP_1) | instid1(VALU_DEP_1)
	s_lshl_b32 s8, -1, s5
	s_add_co_i32 s5, s2, 16
	v_bitop3_b32 v19, v19, s8, v19 bitop3:0x30
	s_not_b32 s9, s8
	s_cmp_gt_u32 s3, s5
	s_cselect_b32 s8, -1, 0
	s_delay_alu instid0(VALU_DEP_1)
	v_lshl_or_b32 v20, v19, 4, v3
	v_mov_b32_e32 v19, 1
	s_cmp_le_u32 s3, s5
	ds_add_u32 v20, v19 offset:4096
	s_cbranch_scc1 .LBB823_320
; %bb.318:
	v_lshrrev_b32_e32 v20, s5, v18
	s_sub_co_i32 s10, s3, s5
	s_delay_alu instid0(SALU_CYCLE_1)
	s_min_u32 s10, s10, 8
	s_delay_alu instid0(VALU_DEP_1) | instid1(SALU_CYCLE_1)
	v_bfe_u32 v20, v20, 0, s10
	s_add_co_i32 s10, s2, 24
	s_delay_alu instid0(SALU_CYCLE_1) | instskip(NEXT) | instid1(VALU_DEP_1)
	s_cmp_le_u32 s3, s10
	v_lshl_or_b32 v20, v20, 4, v3
	ds_add_u32 v20, v19 offset:8192
	s_cbranch_scc1 .LBB823_320
; %bb.319:
	v_dual_lshrrev_b32 v18, s10, v18 :: v_dual_mov_b32 v20, 1
	s_sub_co_i32 s10, s3, s10
	s_delay_alu instid0(SALU_CYCLE_1)
	s_min_u32 s10, s10, 8
	s_delay_alu instid0(VALU_DEP_1) | instid1(SALU_CYCLE_1)
	v_bfe_u32 v18, v18, 0, s10
	s_delay_alu instid0(VALU_DEP_1)
	v_lshl_or_b32 v18, v18, 4, v3
	ds_add_u32 v18, v20 offset:12288
.LBB823_320:
	v_lshrrev_b32_e32 v18, s1, v16
	v_lshl_or_b32 v17, v17, 4, v3
	s_and_not1_b32 vcc_lo, exec_lo, s8
	s_delay_alu instid0(VALU_DEP_2) | instskip(NEXT) | instid1(VALU_DEP_1)
	v_and_b32_e32 v18, s9, v18
	v_lshl_or_b32 v18, v18, 4, v3
	ds_add_u32 v17, v19
	ds_add_u32 v18, v19 offset:4096
	s_cbranch_vccnz .LBB823_323
; %bb.321:
	v_lshrrev_b32_e32 v17, s5, v16
	s_sub_co_i32 s1, s3, s5
                                        ; implicit-def: $vgpr19
	s_delay_alu instid0(SALU_CYCLE_1)
	s_min_u32 s1, s1, 8
	s_delay_alu instid0(VALU_DEP_1) | instid1(SALU_CYCLE_1)
	v_bfe_u32 v17, v17, 0, s1
	s_add_co_i32 s1, s2, 24
	s_delay_alu instid0(SALU_CYCLE_1) | instskip(NEXT) | instid1(VALU_DEP_1)
	s_cmp_gt_u32 s3, s1
	v_lshl_or_b32 v3, v17, 4, v3
	v_mov_b32_e32 v17, 1
	ds_add_u32 v3, v17 offset:8192
	s_cbranch_scc0 .LBB823_324
; %bb.322:
	v_lshrrev_b32_e32 v3, s1, v16
	s_sub_co_i32 s1, s3, s1
	s_mov_b32 s4, -1
	s_min_u32 s1, s1, 8
	s_delay_alu instid0(VALU_DEP_1) | instid1(SALU_CYCLE_1)
	v_bfe_u32 v3, v3, 0, s1
	s_delay_alu instid0(VALU_DEP_1)
	v_lshl_add_u32 v19, v3, 4, 0x3000
	s_branch .LBB823_324
.LBB823_323:
                                        ; implicit-def: $vgpr19
.LBB823_324:
	s_and_b32 vcc_lo, exec_lo, s4
	s_cbranch_vccz .LBB823_326
; %bb.325:
	s_delay_alu instid0(VALU_DEP_1)
	v_lshl_add_u32 v2, v2, 2, v19
	v_mov_b32_e32 v3, 1
	ds_add_u32 v2, v3
.LBB823_326:
	s_and_b32 vcc_lo, exec_lo, s0
	s_wait_dscnt 0x0
	s_barrier_signal -1
	s_barrier_wait -1
	s_cbranch_vccz .LBB823_331
; %bb.327:
	v_dual_mov_b32 v3, 0 :: v_dual_lshlrev_b32 v16, 4, v0
	v_mov_b32_e32 v17, v0
	v_cmp_gt_u32_e32 vcc_lo, 0x100, v0
	s_branch .LBB823_329
.LBB823_328:                            ;   in Loop: Header=BB823_329 Depth=1
	s_wait_xcnt 0x0
	s_or_b32 exec_lo, exec_lo, s0
	v_add_nc_u32_e32 v17, 0x100, v17
	v_add_nc_u32_e32 v16, 0x1000, v16
	s_add_co_i32 s2, s2, 8
	s_delay_alu instid0(SALU_CYCLE_1)
	s_cmp_ge_u32 s2, s3
	s_cbranch_scc1 .LBB823_331
.LBB823_329:                            ; =>This Inner Loop Header: Depth=1
	s_and_saveexec_b32 s0, vcc_lo
	s_cbranch_execz .LBB823_328
; %bb.330:                              ;   in Loop: Header=BB823_329 Depth=1
	ds_load_2addr_b32 v[18:19], v16 offset1:1
	ds_load_2addr_b32 v[20:21], v16 offset0:2 offset1:3
	s_wait_dscnt 0x1
	v_add_nc_u32_e32 v2, v19, v18
	s_wait_dscnt 0x0
	s_delay_alu instid0(VALU_DEP_1)
	v_add3_u32 v2, v2, v20, v21
	global_atomic_add_u64 v17, v[2:3], s[6:7] scale_offset scope:SCOPE_DEV
	s_branch .LBB823_328
.LBB823_331:
	s_mov_b32 s1, 0
.LBB823_332:
	s_delay_alu instid0(SALU_CYCLE_1)
	s_and_b32 vcc_lo, exec_lo, s1
	s_cbranch_vccz .LBB823_343
; %bb.333:
	v_mov_b32_e32 v2, 0
	v_cmp_gt_u32_e64 s0, 7, 4
	s_mov_b32 s1, exec_lo
	ds_store_2addr_stride64_b32 v15, v2, v2 offset1:8
	ds_store_2addr_stride64_b32 v15, v2, v2 offset0:16 offset1:24
	v_cmpx_gt_u32_e64 7, 3
; %bb.334:
	ds_store_b32 v15, v2 offset:8192
; %bb.335:
	s_or_b32 exec_lo, exec_lo, s1
	s_and_saveexec_b32 s1, s0
; %bb.336:
	v_mov_b32_e32 v2, 0
	ds_store_b32 v15, v2 offset:10240
; %bb.337:
	s_or_b32 exec_lo, exec_lo, s1
	v_cmp_gt_u32_e64 s0, 7, 6
	s_mov_b32 s1, exec_lo
	v_cmpx_gt_u32_e64 7, 5
; %bb.338:
	v_mov_b32_e32 v2, 0
	ds_store_b32 v15, v2 offset:12288
; %bb.339:
	s_or_b32 exec_lo, exec_lo, s1
	s_and_saveexec_b32 s1, s0
; %bb.340:
	v_mov_b32_e32 v2, 0
	ds_store_b32 v15, v2 offset:14336
; %bb.341:
	s_or_b32 exec_lo, exec_lo, s1
	s_wait_loadcnt 0xb
	v_xor_b32_e32 v2, 0x7fffffff, v10
	s_wait_loadcnt 0xa
	v_xor_b32_e32 v3, 0x7fffffff, v11
	;; [unrolled: 2-line block ×3, first 2 shown]
	v_and_b32_e32 v13, 3, v0
	v_xor_b32_e32 v10, 0x7fffffff, v12
	s_wait_loadcnt 0x7
	v_xor_b32_e32 v12, 0x7fffffff, v14
	v_dual_lshlrev_b32 v14, 4, v2 :: v_dual_lshrrev_b32 v15, 4, v2
	v_dual_lshlrev_b32 v13, 2, v13 :: v_dual_lshrrev_b32 v16, 12, v2
	v_dual_mov_b32 v17, 1 :: v_dual_lshrrev_b32 v2, 20, v2
	s_wait_storecnt 0x0
	s_wait_loadcnt_dscnt 0x0
	s_delay_alu instid0(VALU_DEP_2)
	v_and_or_b32 v14, 0xff0, v14, v13
	v_and_or_b32 v15, 0xff0, v15, v13
	;; [unrolled: 1-line block ×3, first 2 shown]
	s_barrier_signal -1
	s_barrier_wait -1
	ds_add_u32 v14, v17
	ds_add_u32 v15, v17 offset:4096
	ds_add_u32 v16, v17 offset:8192
	v_dual_lshlrev_b32 v14, 4, v3 :: v_dual_lshrrev_b32 v15, 4, v3
	v_dual_lshrrev_b32 v16, 12, v3 :: v_dual_lshrrev_b32 v3, 20, v3
	v_and_or_b32 v2, 0xff0, v2, v13
	s_delay_alu instid0(VALU_DEP_3) | instskip(NEXT) | instid1(VALU_DEP_4)
	v_and_or_b32 v14, 0xff0, v14, v13
	v_and_or_b32 v15, 0xff0, v15, v13
	s_delay_alu instid0(VALU_DEP_4)
	v_and_or_b32 v16, 0xff0, v16, v13
	v_and_or_b32 v3, 0xff0, v3, v13
	ds_add_u32 v2, v17 offset:12288
	ds_add_u32 v14, v17
	ds_add_u32 v15, v17 offset:4096
	ds_add_u32 v16, v17 offset:8192
	;; [unrolled: 1-line block ×3, first 2 shown]
	v_dual_lshlrev_b32 v2, 4, v10 :: v_dual_lshrrev_b32 v3, 4, v10
	v_dual_lshrrev_b32 v14, 12, v10 :: v_dual_lshrrev_b32 v10, 20, v10
	v_lshlrev_b32_e32 v15, 4, v11
	s_delay_alu instid0(VALU_DEP_3) | instskip(NEXT) | instid1(VALU_DEP_4)
	v_and_or_b32 v2, 0xff0, v2, v13
	v_and_or_b32 v3, 0xff0, v3, v13
	s_delay_alu instid0(VALU_DEP_4)
	v_and_or_b32 v14, 0xff0, v14, v13
	v_and_or_b32 v10, 0xff0, v10, v13
	v_and_or_b32 v15, 0xff0, v15, v13
	ds_add_u32 v2, v17
	ds_add_u32 v3, v17 offset:4096
	ds_add_u32 v14, v17 offset:8192
	;; [unrolled: 1-line block ×3, first 2 shown]
	ds_add_u32 v15, v17
	v_dual_lshrrev_b32 v2, 4, v11 :: v_dual_lshrrev_b32 v3, 12, v11
	v_dual_lshrrev_b32 v10, 20, v11 :: v_dual_lshlrev_b32 v11, 4, v12
	v_lshrrev_b32_e32 v14, 4, v12
	s_delay_alu instid0(VALU_DEP_3) | instskip(NEXT) | instid1(VALU_DEP_4)
	v_and_or_b32 v2, 0xff0, v2, v13
	v_and_or_b32 v3, 0xff0, v3, v13
	v_xor_b32_e32 v7, 0x7fffffff, v7
	v_and_or_b32 v10, 0xff0, v10, v13
	v_and_or_b32 v11, 0xff0, v11, v13
	;; [unrolled: 1-line block ×3, first 2 shown]
	ds_add_u32 v2, v17 offset:4096
	ds_add_u32 v3, v17 offset:8192
	;; [unrolled: 1-line block ×3, first 2 shown]
	ds_add_u32 v11, v17
	ds_add_u32 v14, v17 offset:4096
	v_dual_lshrrev_b32 v2, 12, v12 :: v_dual_lshrrev_b32 v3, 20, v12
	v_dual_lshlrev_b32 v10, 4, v7 :: v_dual_lshrrev_b32 v11, 4, v7
	v_lshrrev_b32_e32 v12, 12, v7
	s_delay_alu instid0(VALU_DEP_3)
	v_and_or_b32 v2, 0xff0, v2, v13
	v_xor_b32_e32 v8, 0x7fffffff, v8
	v_and_or_b32 v3, 0xff0, v3, v13
	v_and_or_b32 v10, 0xff0, v10, v13
	;; [unrolled: 1-line block ×4, first 2 shown]
	ds_add_u32 v2, v17 offset:8192
	ds_add_u32 v3, v17 offset:12288
	ds_add_u32 v10, v17
	ds_add_u32 v11, v17 offset:4096
	ds_add_u32 v12, v17 offset:8192
	v_dual_lshrrev_b32 v2, 20, v7 :: v_dual_lshlrev_b32 v3, 4, v8
	v_dual_lshrrev_b32 v7, 4, v8 :: v_dual_lshrrev_b32 v10, 12, v8
	v_xor_b32_e32 v9, 0x7fffffff, v9
	v_lshrrev_b32_e32 v8, 20, v8
	s_delay_alu instid0(VALU_DEP_4)
	v_and_or_b32 v2, 0xff0, v2, v13
	v_and_or_b32 v3, 0xff0, v3, v13
	v_and_or_b32 v7, 0xff0, v7, v13
	v_and_or_b32 v10, 0xff0, v10, v13
	v_xor_b32_e32 v6, 0x7fffffff, v6
	v_and_or_b32 v8, 0xff0, v8, v13
	ds_add_u32 v2, v17 offset:12288
	ds_add_u32 v3, v17
	ds_add_u32 v7, v17 offset:4096
	ds_add_u32 v10, v17 offset:8192
	;; [unrolled: 1-line block ×3, first 2 shown]
	v_dual_lshlrev_b32 v2, 4, v9 :: v_dual_lshrrev_b32 v3, 4, v9
	v_dual_lshrrev_b32 v7, 12, v9 :: v_dual_lshrrev_b32 v8, 20, v9
	v_lshlrev_b32_e32 v9, 4, v6
	s_delay_alu instid0(VALU_DEP_3) | instskip(NEXT) | instid1(VALU_DEP_4)
	v_and_or_b32 v2, 0xff0, v2, v13
	v_and_or_b32 v3, 0xff0, v3, v13
	s_delay_alu instid0(VALU_DEP_4)
	v_and_or_b32 v7, 0xff0, v7, v13
	v_xor_b32_e32 v5, 0x7fffffff, v5
	v_and_or_b32 v8, 0xff0, v8, v13
	v_and_or_b32 v9, 0xff0, v9, v13
	ds_add_u32 v2, v17
	ds_add_u32 v3, v17 offset:4096
	ds_add_u32 v7, v17 offset:8192
	;; [unrolled: 1-line block ×3, first 2 shown]
	ds_add_u32 v9, v17
	v_dual_lshrrev_b32 v2, 4, v6 :: v_dual_lshrrev_b32 v3, 12, v6
	v_dual_lshrrev_b32 v6, 20, v6 :: v_dual_lshlrev_b32 v7, 4, v5
	v_lshrrev_b32_e32 v8, 4, v5
	s_delay_alu instid0(VALU_DEP_3) | instskip(NEXT) | instid1(VALU_DEP_4)
	v_and_or_b32 v2, 0xff0, v2, v13
	v_and_or_b32 v3, 0xff0, v3, v13
	v_xor_b32_e32 v1, 0x7fffffff, v1
	v_and_or_b32 v6, 0xff0, v6, v13
	v_and_or_b32 v7, 0xff0, v7, v13
	;; [unrolled: 1-line block ×3, first 2 shown]
	ds_add_u32 v2, v17 offset:4096
	ds_add_u32 v3, v17 offset:8192
	;; [unrolled: 1-line block ×3, first 2 shown]
	ds_add_u32 v7, v17
	ds_add_u32 v8, v17 offset:4096
	v_lshrrev_b32_e32 v2, 12, v5
	v_xor_b32_e32 v4, 0x7fffffff, v4
	v_lshrrev_b32_e32 v3, 20, v5
	v_dual_lshlrev_b32 v5, 4, v1 :: v_dual_lshrrev_b32 v6, 4, v1
	v_dual_lshrrev_b32 v7, 12, v1 :: v_dual_lshrrev_b32 v1, 20, v1
	v_and_or_b32 v2, 0xff0, v2, v13
	s_delay_alu instid0(VALU_DEP_4) | instskip(NEXT) | instid1(VALU_DEP_4)
	v_and_or_b32 v3, 0xff0, v3, v13
	v_and_or_b32 v5, 0xff0, v5, v13
	;; [unrolled: 1-line block ×4, first 2 shown]
	ds_add_u32 v2, v17 offset:8192
	ds_add_u32 v3, v17 offset:12288
	ds_add_u32 v5, v17
	ds_add_u32 v6, v17 offset:4096
	ds_add_u32 v7, v17 offset:8192
	v_dual_lshlrev_b32 v2, 4, v4 :: v_dual_lshrrev_b32 v3, 4, v4
	v_dual_lshrrev_b32 v5, 12, v4 :: v_dual_lshrrev_b32 v4, 20, v4
	v_and_or_b32 v1, 0xff0, v1, v13
	s_delay_alu instid0(VALU_DEP_3) | instskip(NEXT) | instid1(VALU_DEP_4)
	v_and_or_b32 v2, 0xff0, v2, v13
	v_and_or_b32 v3, 0xff0, v3, v13
	s_delay_alu instid0(VALU_DEP_4)
	v_and_or_b32 v5, 0xff0, v5, v13
	v_and_or_b32 v4, 0xff0, v4, v13
	ds_add_u32 v1, v17 offset:12288
	ds_add_u32 v2, v17
	ds_add_u32 v3, v17 offset:4096
	ds_add_u32 v5, v17 offset:8192
	;; [unrolled: 1-line block ×3, first 2 shown]
	s_wait_dscnt 0x0
	s_barrier_signal -1
	s_barrier_wait -1
	s_mov_b32 s0, exec_lo
	v_cmpx_gt_u32_e32 0x100, v0
	s_cbranch_execz .LBB823_343
; %bb.342:
	v_lshlrev_b32_e32 v1, 4, v0
	ds_load_2addr_b32 v[2:3], v1 offset1:1
	ds_load_2addr_b32 v[4:5], v1 offset0:2 offset1:3
	s_wait_dscnt 0x1
	v_dual_mov_b32 v3, 0 :: v_dual_add_nc_u32 v2, v3, v2
	v_add_nc_u32_e32 v6, 0x1008, v1
	s_wait_dscnt 0x0
	s_delay_alu instid0(VALU_DEP_2)
	v_add3_u32 v2, v2, v4, v5
	v_add_nc_u32_e32 v4, 0x1000, v1
	global_atomic_add_u64 v0, v[2:3], s[6:7] scale_offset scope:SCOPE_DEV
	ds_load_2addr_b32 v[4:5], v4 offset1:1
	ds_load_2addr_b32 v[6:7], v6 offset1:1
	s_wait_dscnt 0x1
	s_wait_xcnt 0x0
	v_add_nc_u32_e32 v2, v5, v4
	v_or_b32_e32 v4, 0x2000, v1
	s_wait_dscnt 0x0
	s_delay_alu instid0(VALU_DEP_2)
	v_add3_u32 v2, v2, v6, v7
	v_or_b32_e32 v6, 0x2008, v1
	global_atomic_add_u64 v0, v[2:3], s[6:7] offset:2048 scale_offset scope:SCOPE_DEV
	ds_load_2addr_b32 v[4:5], v4 offset1:1
	ds_load_2addr_b32 v[6:7], v6 offset1:1
	s_wait_dscnt 0x1
	s_wait_xcnt 0x0
	v_add_nc_u32_e32 v2, v5, v4
	v_add_nc_u32_e32 v4, 0x3000, v1
	;; [unrolled: 1-line block ×3, first 2 shown]
	s_wait_dscnt 0x0
	s_delay_alu instid0(VALU_DEP_3)
	v_add3_u32 v2, v2, v6, v7
	global_atomic_add_u64 v0, v[2:3], s[6:7] offset:4096 scale_offset scope:SCOPE_DEV
	ds_load_2addr_b32 v[4:5], v4 offset1:1
	ds_load_2addr_b32 v[6:7], v1 offset1:1
	s_wait_dscnt 0x1
	v_add_nc_u32_e32 v1, v5, v4
	s_wait_dscnt 0x0
	s_wait_xcnt 0x0
	s_delay_alu instid0(VALU_DEP_1)
	v_add3_u32 v2, v1, v6, v7
	global_atomic_add_u64 v0, v[2:3], s[6:7] offset:6144 scale_offset scope:SCOPE_DEV
.LBB823_343:
	s_endpgm
	.section	.rodata,"a",@progbits
	.p2align	6, 0x0
	.amdhsa_kernel _ZN7rocprim17ROCPRIM_400000_NS6detail17trampoline_kernelINS0_14default_configENS1_35radix_sort_onesweep_config_selectorIiNS0_10empty_typeEEEZNS1_34radix_sort_onesweep_global_offsetsIS3_Lb1EPKiPS5_mNS0_19identity_decomposerEEE10hipError_tT1_T2_PT3_SF_jT4_jjP12ihipStream_tbEUlT_E_NS1_11comp_targetILNS1_3genE0ELNS1_11target_archE4294967295ELNS1_3gpuE0ELNS1_3repE0EEENS1_52radix_sort_onesweep_histogram_config_static_selectorELNS0_4arch9wavefront6targetE0EEEvSD_
		.amdhsa_group_segment_fixed_size 16384
		.amdhsa_private_segment_fixed_size 0
		.amdhsa_kernarg_size 48
		.amdhsa_user_sgpr_count 2
		.amdhsa_user_sgpr_dispatch_ptr 0
		.amdhsa_user_sgpr_queue_ptr 0
		.amdhsa_user_sgpr_kernarg_segment_ptr 1
		.amdhsa_user_sgpr_dispatch_id 0
		.amdhsa_user_sgpr_kernarg_preload_length 0
		.amdhsa_user_sgpr_kernarg_preload_offset 0
		.amdhsa_user_sgpr_private_segment_size 0
		.amdhsa_wavefront_size32 1
		.amdhsa_uses_dynamic_stack 0
		.amdhsa_enable_private_segment 0
		.amdhsa_system_sgpr_workgroup_id_x 1
		.amdhsa_system_sgpr_workgroup_id_y 0
		.amdhsa_system_sgpr_workgroup_id_z 0
		.amdhsa_system_sgpr_workgroup_info 0
		.amdhsa_system_vgpr_workitem_id 0
		.amdhsa_next_free_vgpr 28
		.amdhsa_next_free_sgpr 13
		.amdhsa_named_barrier_count 0
		.amdhsa_reserve_vcc 1
		.amdhsa_float_round_mode_32 0
		.amdhsa_float_round_mode_16_64 0
		.amdhsa_float_denorm_mode_32 3
		.amdhsa_float_denorm_mode_16_64 3
		.amdhsa_fp16_overflow 0
		.amdhsa_memory_ordered 1
		.amdhsa_forward_progress 1
		.amdhsa_inst_pref_size 101
		.amdhsa_round_robin_scheduling 0
		.amdhsa_exception_fp_ieee_invalid_op 0
		.amdhsa_exception_fp_denorm_src 0
		.amdhsa_exception_fp_ieee_div_zero 0
		.amdhsa_exception_fp_ieee_overflow 0
		.amdhsa_exception_fp_ieee_underflow 0
		.amdhsa_exception_fp_ieee_inexact 0
		.amdhsa_exception_int_div_zero 0
	.end_amdhsa_kernel
	.section	.text._ZN7rocprim17ROCPRIM_400000_NS6detail17trampoline_kernelINS0_14default_configENS1_35radix_sort_onesweep_config_selectorIiNS0_10empty_typeEEEZNS1_34radix_sort_onesweep_global_offsetsIS3_Lb1EPKiPS5_mNS0_19identity_decomposerEEE10hipError_tT1_T2_PT3_SF_jT4_jjP12ihipStream_tbEUlT_E_NS1_11comp_targetILNS1_3genE0ELNS1_11target_archE4294967295ELNS1_3gpuE0ELNS1_3repE0EEENS1_52radix_sort_onesweep_histogram_config_static_selectorELNS0_4arch9wavefront6targetE0EEEvSD_,"axG",@progbits,_ZN7rocprim17ROCPRIM_400000_NS6detail17trampoline_kernelINS0_14default_configENS1_35radix_sort_onesweep_config_selectorIiNS0_10empty_typeEEEZNS1_34radix_sort_onesweep_global_offsetsIS3_Lb1EPKiPS5_mNS0_19identity_decomposerEEE10hipError_tT1_T2_PT3_SF_jT4_jjP12ihipStream_tbEUlT_E_NS1_11comp_targetILNS1_3genE0ELNS1_11target_archE4294967295ELNS1_3gpuE0ELNS1_3repE0EEENS1_52radix_sort_onesweep_histogram_config_static_selectorELNS0_4arch9wavefront6targetE0EEEvSD_,comdat
.Lfunc_end823:
	.size	_ZN7rocprim17ROCPRIM_400000_NS6detail17trampoline_kernelINS0_14default_configENS1_35radix_sort_onesweep_config_selectorIiNS0_10empty_typeEEEZNS1_34radix_sort_onesweep_global_offsetsIS3_Lb1EPKiPS5_mNS0_19identity_decomposerEEE10hipError_tT1_T2_PT3_SF_jT4_jjP12ihipStream_tbEUlT_E_NS1_11comp_targetILNS1_3genE0ELNS1_11target_archE4294967295ELNS1_3gpuE0ELNS1_3repE0EEENS1_52radix_sort_onesweep_histogram_config_static_selectorELNS0_4arch9wavefront6targetE0EEEvSD_, .Lfunc_end823-_ZN7rocprim17ROCPRIM_400000_NS6detail17trampoline_kernelINS0_14default_configENS1_35radix_sort_onesweep_config_selectorIiNS0_10empty_typeEEEZNS1_34radix_sort_onesweep_global_offsetsIS3_Lb1EPKiPS5_mNS0_19identity_decomposerEEE10hipError_tT1_T2_PT3_SF_jT4_jjP12ihipStream_tbEUlT_E_NS1_11comp_targetILNS1_3genE0ELNS1_11target_archE4294967295ELNS1_3gpuE0ELNS1_3repE0EEENS1_52radix_sort_onesweep_histogram_config_static_selectorELNS0_4arch9wavefront6targetE0EEEvSD_
                                        ; -- End function
	.set _ZN7rocprim17ROCPRIM_400000_NS6detail17trampoline_kernelINS0_14default_configENS1_35radix_sort_onesweep_config_selectorIiNS0_10empty_typeEEEZNS1_34radix_sort_onesweep_global_offsetsIS3_Lb1EPKiPS5_mNS0_19identity_decomposerEEE10hipError_tT1_T2_PT3_SF_jT4_jjP12ihipStream_tbEUlT_E_NS1_11comp_targetILNS1_3genE0ELNS1_11target_archE4294967295ELNS1_3gpuE0ELNS1_3repE0EEENS1_52radix_sort_onesweep_histogram_config_static_selectorELNS0_4arch9wavefront6targetE0EEEvSD_.num_vgpr, 28
	.set _ZN7rocprim17ROCPRIM_400000_NS6detail17trampoline_kernelINS0_14default_configENS1_35radix_sort_onesweep_config_selectorIiNS0_10empty_typeEEEZNS1_34radix_sort_onesweep_global_offsetsIS3_Lb1EPKiPS5_mNS0_19identity_decomposerEEE10hipError_tT1_T2_PT3_SF_jT4_jjP12ihipStream_tbEUlT_E_NS1_11comp_targetILNS1_3genE0ELNS1_11target_archE4294967295ELNS1_3gpuE0ELNS1_3repE0EEENS1_52radix_sort_onesweep_histogram_config_static_selectorELNS0_4arch9wavefront6targetE0EEEvSD_.num_agpr, 0
	.set _ZN7rocprim17ROCPRIM_400000_NS6detail17trampoline_kernelINS0_14default_configENS1_35radix_sort_onesweep_config_selectorIiNS0_10empty_typeEEEZNS1_34radix_sort_onesweep_global_offsetsIS3_Lb1EPKiPS5_mNS0_19identity_decomposerEEE10hipError_tT1_T2_PT3_SF_jT4_jjP12ihipStream_tbEUlT_E_NS1_11comp_targetILNS1_3genE0ELNS1_11target_archE4294967295ELNS1_3gpuE0ELNS1_3repE0EEENS1_52radix_sort_onesweep_histogram_config_static_selectorELNS0_4arch9wavefront6targetE0EEEvSD_.numbered_sgpr, 13
	.set _ZN7rocprim17ROCPRIM_400000_NS6detail17trampoline_kernelINS0_14default_configENS1_35radix_sort_onesweep_config_selectorIiNS0_10empty_typeEEEZNS1_34radix_sort_onesweep_global_offsetsIS3_Lb1EPKiPS5_mNS0_19identity_decomposerEEE10hipError_tT1_T2_PT3_SF_jT4_jjP12ihipStream_tbEUlT_E_NS1_11comp_targetILNS1_3genE0ELNS1_11target_archE4294967295ELNS1_3gpuE0ELNS1_3repE0EEENS1_52radix_sort_onesweep_histogram_config_static_selectorELNS0_4arch9wavefront6targetE0EEEvSD_.num_named_barrier, 0
	.set _ZN7rocprim17ROCPRIM_400000_NS6detail17trampoline_kernelINS0_14default_configENS1_35radix_sort_onesweep_config_selectorIiNS0_10empty_typeEEEZNS1_34radix_sort_onesweep_global_offsetsIS3_Lb1EPKiPS5_mNS0_19identity_decomposerEEE10hipError_tT1_T2_PT3_SF_jT4_jjP12ihipStream_tbEUlT_E_NS1_11comp_targetILNS1_3genE0ELNS1_11target_archE4294967295ELNS1_3gpuE0ELNS1_3repE0EEENS1_52radix_sort_onesweep_histogram_config_static_selectorELNS0_4arch9wavefront6targetE0EEEvSD_.private_seg_size, 0
	.set _ZN7rocprim17ROCPRIM_400000_NS6detail17trampoline_kernelINS0_14default_configENS1_35radix_sort_onesweep_config_selectorIiNS0_10empty_typeEEEZNS1_34radix_sort_onesweep_global_offsetsIS3_Lb1EPKiPS5_mNS0_19identity_decomposerEEE10hipError_tT1_T2_PT3_SF_jT4_jjP12ihipStream_tbEUlT_E_NS1_11comp_targetILNS1_3genE0ELNS1_11target_archE4294967295ELNS1_3gpuE0ELNS1_3repE0EEENS1_52radix_sort_onesweep_histogram_config_static_selectorELNS0_4arch9wavefront6targetE0EEEvSD_.uses_vcc, 1
	.set _ZN7rocprim17ROCPRIM_400000_NS6detail17trampoline_kernelINS0_14default_configENS1_35radix_sort_onesweep_config_selectorIiNS0_10empty_typeEEEZNS1_34radix_sort_onesweep_global_offsetsIS3_Lb1EPKiPS5_mNS0_19identity_decomposerEEE10hipError_tT1_T2_PT3_SF_jT4_jjP12ihipStream_tbEUlT_E_NS1_11comp_targetILNS1_3genE0ELNS1_11target_archE4294967295ELNS1_3gpuE0ELNS1_3repE0EEENS1_52radix_sort_onesweep_histogram_config_static_selectorELNS0_4arch9wavefront6targetE0EEEvSD_.uses_flat_scratch, 0
	.set _ZN7rocprim17ROCPRIM_400000_NS6detail17trampoline_kernelINS0_14default_configENS1_35radix_sort_onesweep_config_selectorIiNS0_10empty_typeEEEZNS1_34radix_sort_onesweep_global_offsetsIS3_Lb1EPKiPS5_mNS0_19identity_decomposerEEE10hipError_tT1_T2_PT3_SF_jT4_jjP12ihipStream_tbEUlT_E_NS1_11comp_targetILNS1_3genE0ELNS1_11target_archE4294967295ELNS1_3gpuE0ELNS1_3repE0EEENS1_52radix_sort_onesweep_histogram_config_static_selectorELNS0_4arch9wavefront6targetE0EEEvSD_.has_dyn_sized_stack, 0
	.set _ZN7rocprim17ROCPRIM_400000_NS6detail17trampoline_kernelINS0_14default_configENS1_35radix_sort_onesweep_config_selectorIiNS0_10empty_typeEEEZNS1_34radix_sort_onesweep_global_offsetsIS3_Lb1EPKiPS5_mNS0_19identity_decomposerEEE10hipError_tT1_T2_PT3_SF_jT4_jjP12ihipStream_tbEUlT_E_NS1_11comp_targetILNS1_3genE0ELNS1_11target_archE4294967295ELNS1_3gpuE0ELNS1_3repE0EEENS1_52radix_sort_onesweep_histogram_config_static_selectorELNS0_4arch9wavefront6targetE0EEEvSD_.has_recursion, 0
	.set _ZN7rocprim17ROCPRIM_400000_NS6detail17trampoline_kernelINS0_14default_configENS1_35radix_sort_onesweep_config_selectorIiNS0_10empty_typeEEEZNS1_34radix_sort_onesweep_global_offsetsIS3_Lb1EPKiPS5_mNS0_19identity_decomposerEEE10hipError_tT1_T2_PT3_SF_jT4_jjP12ihipStream_tbEUlT_E_NS1_11comp_targetILNS1_3genE0ELNS1_11target_archE4294967295ELNS1_3gpuE0ELNS1_3repE0EEENS1_52radix_sort_onesweep_histogram_config_static_selectorELNS0_4arch9wavefront6targetE0EEEvSD_.has_indirect_call, 0
	.section	.AMDGPU.csdata,"",@progbits
; Kernel info:
; codeLenInByte = 12848
; TotalNumSgprs: 15
; NumVgprs: 28
; ScratchSize: 0
; MemoryBound: 0
; FloatMode: 240
; IeeeMode: 1
; LDSByteSize: 16384 bytes/workgroup (compile time only)
; SGPRBlocks: 0
; VGPRBlocks: 1
; NumSGPRsForWavesPerEU: 15
; NumVGPRsForWavesPerEU: 28
; NamedBarCnt: 0
; Occupancy: 16
; WaveLimiterHint : 1
; COMPUTE_PGM_RSRC2:SCRATCH_EN: 0
; COMPUTE_PGM_RSRC2:USER_SGPR: 2
; COMPUTE_PGM_RSRC2:TRAP_HANDLER: 0
; COMPUTE_PGM_RSRC2:TGID_X_EN: 1
; COMPUTE_PGM_RSRC2:TGID_Y_EN: 0
; COMPUTE_PGM_RSRC2:TGID_Z_EN: 0
; COMPUTE_PGM_RSRC2:TIDIG_COMP_CNT: 0
	.section	.text._ZN7rocprim17ROCPRIM_400000_NS6detail17trampoline_kernelINS0_14default_configENS1_35radix_sort_onesweep_config_selectorIiNS0_10empty_typeEEEZNS1_34radix_sort_onesweep_global_offsetsIS3_Lb1EPKiPS5_mNS0_19identity_decomposerEEE10hipError_tT1_T2_PT3_SF_jT4_jjP12ihipStream_tbEUlT_E_NS1_11comp_targetILNS1_3genE6ELNS1_11target_archE950ELNS1_3gpuE13ELNS1_3repE0EEENS1_52radix_sort_onesweep_histogram_config_static_selectorELNS0_4arch9wavefront6targetE0EEEvSD_,"axG",@progbits,_ZN7rocprim17ROCPRIM_400000_NS6detail17trampoline_kernelINS0_14default_configENS1_35radix_sort_onesweep_config_selectorIiNS0_10empty_typeEEEZNS1_34radix_sort_onesweep_global_offsetsIS3_Lb1EPKiPS5_mNS0_19identity_decomposerEEE10hipError_tT1_T2_PT3_SF_jT4_jjP12ihipStream_tbEUlT_E_NS1_11comp_targetILNS1_3genE6ELNS1_11target_archE950ELNS1_3gpuE13ELNS1_3repE0EEENS1_52radix_sort_onesweep_histogram_config_static_selectorELNS0_4arch9wavefront6targetE0EEEvSD_,comdat
	.protected	_ZN7rocprim17ROCPRIM_400000_NS6detail17trampoline_kernelINS0_14default_configENS1_35radix_sort_onesweep_config_selectorIiNS0_10empty_typeEEEZNS1_34radix_sort_onesweep_global_offsetsIS3_Lb1EPKiPS5_mNS0_19identity_decomposerEEE10hipError_tT1_T2_PT3_SF_jT4_jjP12ihipStream_tbEUlT_E_NS1_11comp_targetILNS1_3genE6ELNS1_11target_archE950ELNS1_3gpuE13ELNS1_3repE0EEENS1_52radix_sort_onesweep_histogram_config_static_selectorELNS0_4arch9wavefront6targetE0EEEvSD_ ; -- Begin function _ZN7rocprim17ROCPRIM_400000_NS6detail17trampoline_kernelINS0_14default_configENS1_35radix_sort_onesweep_config_selectorIiNS0_10empty_typeEEEZNS1_34radix_sort_onesweep_global_offsetsIS3_Lb1EPKiPS5_mNS0_19identity_decomposerEEE10hipError_tT1_T2_PT3_SF_jT4_jjP12ihipStream_tbEUlT_E_NS1_11comp_targetILNS1_3genE6ELNS1_11target_archE950ELNS1_3gpuE13ELNS1_3repE0EEENS1_52radix_sort_onesweep_histogram_config_static_selectorELNS0_4arch9wavefront6targetE0EEEvSD_
	.globl	_ZN7rocprim17ROCPRIM_400000_NS6detail17trampoline_kernelINS0_14default_configENS1_35radix_sort_onesweep_config_selectorIiNS0_10empty_typeEEEZNS1_34radix_sort_onesweep_global_offsetsIS3_Lb1EPKiPS5_mNS0_19identity_decomposerEEE10hipError_tT1_T2_PT3_SF_jT4_jjP12ihipStream_tbEUlT_E_NS1_11comp_targetILNS1_3genE6ELNS1_11target_archE950ELNS1_3gpuE13ELNS1_3repE0EEENS1_52radix_sort_onesweep_histogram_config_static_selectorELNS0_4arch9wavefront6targetE0EEEvSD_
	.p2align	8
	.type	_ZN7rocprim17ROCPRIM_400000_NS6detail17trampoline_kernelINS0_14default_configENS1_35radix_sort_onesweep_config_selectorIiNS0_10empty_typeEEEZNS1_34radix_sort_onesweep_global_offsetsIS3_Lb1EPKiPS5_mNS0_19identity_decomposerEEE10hipError_tT1_T2_PT3_SF_jT4_jjP12ihipStream_tbEUlT_E_NS1_11comp_targetILNS1_3genE6ELNS1_11target_archE950ELNS1_3gpuE13ELNS1_3repE0EEENS1_52radix_sort_onesweep_histogram_config_static_selectorELNS0_4arch9wavefront6targetE0EEEvSD_,@function
_ZN7rocprim17ROCPRIM_400000_NS6detail17trampoline_kernelINS0_14default_configENS1_35radix_sort_onesweep_config_selectorIiNS0_10empty_typeEEEZNS1_34radix_sort_onesweep_global_offsetsIS3_Lb1EPKiPS5_mNS0_19identity_decomposerEEE10hipError_tT1_T2_PT3_SF_jT4_jjP12ihipStream_tbEUlT_E_NS1_11comp_targetILNS1_3genE6ELNS1_11target_archE950ELNS1_3gpuE13ELNS1_3repE0EEENS1_52radix_sort_onesweep_histogram_config_static_selectorELNS0_4arch9wavefront6targetE0EEEvSD_: ; @_ZN7rocprim17ROCPRIM_400000_NS6detail17trampoline_kernelINS0_14default_configENS1_35radix_sort_onesweep_config_selectorIiNS0_10empty_typeEEEZNS1_34radix_sort_onesweep_global_offsetsIS3_Lb1EPKiPS5_mNS0_19identity_decomposerEEE10hipError_tT1_T2_PT3_SF_jT4_jjP12ihipStream_tbEUlT_E_NS1_11comp_targetILNS1_3genE6ELNS1_11target_archE950ELNS1_3gpuE13ELNS1_3repE0EEENS1_52radix_sort_onesweep_histogram_config_static_selectorELNS0_4arch9wavefront6targetE0EEEvSD_
; %bb.0:
	.section	.rodata,"a",@progbits
	.p2align	6, 0x0
	.amdhsa_kernel _ZN7rocprim17ROCPRIM_400000_NS6detail17trampoline_kernelINS0_14default_configENS1_35radix_sort_onesweep_config_selectorIiNS0_10empty_typeEEEZNS1_34radix_sort_onesweep_global_offsetsIS3_Lb1EPKiPS5_mNS0_19identity_decomposerEEE10hipError_tT1_T2_PT3_SF_jT4_jjP12ihipStream_tbEUlT_E_NS1_11comp_targetILNS1_3genE6ELNS1_11target_archE950ELNS1_3gpuE13ELNS1_3repE0EEENS1_52radix_sort_onesweep_histogram_config_static_selectorELNS0_4arch9wavefront6targetE0EEEvSD_
		.amdhsa_group_segment_fixed_size 0
		.amdhsa_private_segment_fixed_size 0
		.amdhsa_kernarg_size 48
		.amdhsa_user_sgpr_count 2
		.amdhsa_user_sgpr_dispatch_ptr 0
		.amdhsa_user_sgpr_queue_ptr 0
		.amdhsa_user_sgpr_kernarg_segment_ptr 1
		.amdhsa_user_sgpr_dispatch_id 0
		.amdhsa_user_sgpr_kernarg_preload_length 0
		.amdhsa_user_sgpr_kernarg_preload_offset 0
		.amdhsa_user_sgpr_private_segment_size 0
		.amdhsa_wavefront_size32 1
		.amdhsa_uses_dynamic_stack 0
		.amdhsa_enable_private_segment 0
		.amdhsa_system_sgpr_workgroup_id_x 1
		.amdhsa_system_sgpr_workgroup_id_y 0
		.amdhsa_system_sgpr_workgroup_id_z 0
		.amdhsa_system_sgpr_workgroup_info 0
		.amdhsa_system_vgpr_workitem_id 0
		.amdhsa_next_free_vgpr 1
		.amdhsa_next_free_sgpr 1
		.amdhsa_named_barrier_count 0
		.amdhsa_reserve_vcc 0
		.amdhsa_float_round_mode_32 0
		.amdhsa_float_round_mode_16_64 0
		.amdhsa_float_denorm_mode_32 3
		.amdhsa_float_denorm_mode_16_64 3
		.amdhsa_fp16_overflow 0
		.amdhsa_memory_ordered 1
		.amdhsa_forward_progress 1
		.amdhsa_inst_pref_size 0
		.amdhsa_round_robin_scheduling 0
		.amdhsa_exception_fp_ieee_invalid_op 0
		.amdhsa_exception_fp_denorm_src 0
		.amdhsa_exception_fp_ieee_div_zero 0
		.amdhsa_exception_fp_ieee_overflow 0
		.amdhsa_exception_fp_ieee_underflow 0
		.amdhsa_exception_fp_ieee_inexact 0
		.amdhsa_exception_int_div_zero 0
	.end_amdhsa_kernel
	.section	.text._ZN7rocprim17ROCPRIM_400000_NS6detail17trampoline_kernelINS0_14default_configENS1_35radix_sort_onesweep_config_selectorIiNS0_10empty_typeEEEZNS1_34radix_sort_onesweep_global_offsetsIS3_Lb1EPKiPS5_mNS0_19identity_decomposerEEE10hipError_tT1_T2_PT3_SF_jT4_jjP12ihipStream_tbEUlT_E_NS1_11comp_targetILNS1_3genE6ELNS1_11target_archE950ELNS1_3gpuE13ELNS1_3repE0EEENS1_52radix_sort_onesweep_histogram_config_static_selectorELNS0_4arch9wavefront6targetE0EEEvSD_,"axG",@progbits,_ZN7rocprim17ROCPRIM_400000_NS6detail17trampoline_kernelINS0_14default_configENS1_35radix_sort_onesweep_config_selectorIiNS0_10empty_typeEEEZNS1_34radix_sort_onesweep_global_offsetsIS3_Lb1EPKiPS5_mNS0_19identity_decomposerEEE10hipError_tT1_T2_PT3_SF_jT4_jjP12ihipStream_tbEUlT_E_NS1_11comp_targetILNS1_3genE6ELNS1_11target_archE950ELNS1_3gpuE13ELNS1_3repE0EEENS1_52radix_sort_onesweep_histogram_config_static_selectorELNS0_4arch9wavefront6targetE0EEEvSD_,comdat
.Lfunc_end824:
	.size	_ZN7rocprim17ROCPRIM_400000_NS6detail17trampoline_kernelINS0_14default_configENS1_35radix_sort_onesweep_config_selectorIiNS0_10empty_typeEEEZNS1_34radix_sort_onesweep_global_offsetsIS3_Lb1EPKiPS5_mNS0_19identity_decomposerEEE10hipError_tT1_T2_PT3_SF_jT4_jjP12ihipStream_tbEUlT_E_NS1_11comp_targetILNS1_3genE6ELNS1_11target_archE950ELNS1_3gpuE13ELNS1_3repE0EEENS1_52radix_sort_onesweep_histogram_config_static_selectorELNS0_4arch9wavefront6targetE0EEEvSD_, .Lfunc_end824-_ZN7rocprim17ROCPRIM_400000_NS6detail17trampoline_kernelINS0_14default_configENS1_35radix_sort_onesweep_config_selectorIiNS0_10empty_typeEEEZNS1_34radix_sort_onesweep_global_offsetsIS3_Lb1EPKiPS5_mNS0_19identity_decomposerEEE10hipError_tT1_T2_PT3_SF_jT4_jjP12ihipStream_tbEUlT_E_NS1_11comp_targetILNS1_3genE6ELNS1_11target_archE950ELNS1_3gpuE13ELNS1_3repE0EEENS1_52radix_sort_onesweep_histogram_config_static_selectorELNS0_4arch9wavefront6targetE0EEEvSD_
                                        ; -- End function
	.set _ZN7rocprim17ROCPRIM_400000_NS6detail17trampoline_kernelINS0_14default_configENS1_35radix_sort_onesweep_config_selectorIiNS0_10empty_typeEEEZNS1_34radix_sort_onesweep_global_offsetsIS3_Lb1EPKiPS5_mNS0_19identity_decomposerEEE10hipError_tT1_T2_PT3_SF_jT4_jjP12ihipStream_tbEUlT_E_NS1_11comp_targetILNS1_3genE6ELNS1_11target_archE950ELNS1_3gpuE13ELNS1_3repE0EEENS1_52radix_sort_onesweep_histogram_config_static_selectorELNS0_4arch9wavefront6targetE0EEEvSD_.num_vgpr, 0
	.set _ZN7rocprim17ROCPRIM_400000_NS6detail17trampoline_kernelINS0_14default_configENS1_35radix_sort_onesweep_config_selectorIiNS0_10empty_typeEEEZNS1_34radix_sort_onesweep_global_offsetsIS3_Lb1EPKiPS5_mNS0_19identity_decomposerEEE10hipError_tT1_T2_PT3_SF_jT4_jjP12ihipStream_tbEUlT_E_NS1_11comp_targetILNS1_3genE6ELNS1_11target_archE950ELNS1_3gpuE13ELNS1_3repE0EEENS1_52radix_sort_onesweep_histogram_config_static_selectorELNS0_4arch9wavefront6targetE0EEEvSD_.num_agpr, 0
	.set _ZN7rocprim17ROCPRIM_400000_NS6detail17trampoline_kernelINS0_14default_configENS1_35radix_sort_onesweep_config_selectorIiNS0_10empty_typeEEEZNS1_34radix_sort_onesweep_global_offsetsIS3_Lb1EPKiPS5_mNS0_19identity_decomposerEEE10hipError_tT1_T2_PT3_SF_jT4_jjP12ihipStream_tbEUlT_E_NS1_11comp_targetILNS1_3genE6ELNS1_11target_archE950ELNS1_3gpuE13ELNS1_3repE0EEENS1_52radix_sort_onesweep_histogram_config_static_selectorELNS0_4arch9wavefront6targetE0EEEvSD_.numbered_sgpr, 0
	.set _ZN7rocprim17ROCPRIM_400000_NS6detail17trampoline_kernelINS0_14default_configENS1_35radix_sort_onesweep_config_selectorIiNS0_10empty_typeEEEZNS1_34radix_sort_onesweep_global_offsetsIS3_Lb1EPKiPS5_mNS0_19identity_decomposerEEE10hipError_tT1_T2_PT3_SF_jT4_jjP12ihipStream_tbEUlT_E_NS1_11comp_targetILNS1_3genE6ELNS1_11target_archE950ELNS1_3gpuE13ELNS1_3repE0EEENS1_52radix_sort_onesweep_histogram_config_static_selectorELNS0_4arch9wavefront6targetE0EEEvSD_.num_named_barrier, 0
	.set _ZN7rocprim17ROCPRIM_400000_NS6detail17trampoline_kernelINS0_14default_configENS1_35radix_sort_onesweep_config_selectorIiNS0_10empty_typeEEEZNS1_34radix_sort_onesweep_global_offsetsIS3_Lb1EPKiPS5_mNS0_19identity_decomposerEEE10hipError_tT1_T2_PT3_SF_jT4_jjP12ihipStream_tbEUlT_E_NS1_11comp_targetILNS1_3genE6ELNS1_11target_archE950ELNS1_3gpuE13ELNS1_3repE0EEENS1_52radix_sort_onesweep_histogram_config_static_selectorELNS0_4arch9wavefront6targetE0EEEvSD_.private_seg_size, 0
	.set _ZN7rocprim17ROCPRIM_400000_NS6detail17trampoline_kernelINS0_14default_configENS1_35radix_sort_onesweep_config_selectorIiNS0_10empty_typeEEEZNS1_34radix_sort_onesweep_global_offsetsIS3_Lb1EPKiPS5_mNS0_19identity_decomposerEEE10hipError_tT1_T2_PT3_SF_jT4_jjP12ihipStream_tbEUlT_E_NS1_11comp_targetILNS1_3genE6ELNS1_11target_archE950ELNS1_3gpuE13ELNS1_3repE0EEENS1_52radix_sort_onesweep_histogram_config_static_selectorELNS0_4arch9wavefront6targetE0EEEvSD_.uses_vcc, 0
	.set _ZN7rocprim17ROCPRIM_400000_NS6detail17trampoline_kernelINS0_14default_configENS1_35radix_sort_onesweep_config_selectorIiNS0_10empty_typeEEEZNS1_34radix_sort_onesweep_global_offsetsIS3_Lb1EPKiPS5_mNS0_19identity_decomposerEEE10hipError_tT1_T2_PT3_SF_jT4_jjP12ihipStream_tbEUlT_E_NS1_11comp_targetILNS1_3genE6ELNS1_11target_archE950ELNS1_3gpuE13ELNS1_3repE0EEENS1_52radix_sort_onesweep_histogram_config_static_selectorELNS0_4arch9wavefront6targetE0EEEvSD_.uses_flat_scratch, 0
	.set _ZN7rocprim17ROCPRIM_400000_NS6detail17trampoline_kernelINS0_14default_configENS1_35radix_sort_onesweep_config_selectorIiNS0_10empty_typeEEEZNS1_34radix_sort_onesweep_global_offsetsIS3_Lb1EPKiPS5_mNS0_19identity_decomposerEEE10hipError_tT1_T2_PT3_SF_jT4_jjP12ihipStream_tbEUlT_E_NS1_11comp_targetILNS1_3genE6ELNS1_11target_archE950ELNS1_3gpuE13ELNS1_3repE0EEENS1_52radix_sort_onesweep_histogram_config_static_selectorELNS0_4arch9wavefront6targetE0EEEvSD_.has_dyn_sized_stack, 0
	.set _ZN7rocprim17ROCPRIM_400000_NS6detail17trampoline_kernelINS0_14default_configENS1_35radix_sort_onesweep_config_selectorIiNS0_10empty_typeEEEZNS1_34radix_sort_onesweep_global_offsetsIS3_Lb1EPKiPS5_mNS0_19identity_decomposerEEE10hipError_tT1_T2_PT3_SF_jT4_jjP12ihipStream_tbEUlT_E_NS1_11comp_targetILNS1_3genE6ELNS1_11target_archE950ELNS1_3gpuE13ELNS1_3repE0EEENS1_52radix_sort_onesweep_histogram_config_static_selectorELNS0_4arch9wavefront6targetE0EEEvSD_.has_recursion, 0
	.set _ZN7rocprim17ROCPRIM_400000_NS6detail17trampoline_kernelINS0_14default_configENS1_35radix_sort_onesweep_config_selectorIiNS0_10empty_typeEEEZNS1_34radix_sort_onesweep_global_offsetsIS3_Lb1EPKiPS5_mNS0_19identity_decomposerEEE10hipError_tT1_T2_PT3_SF_jT4_jjP12ihipStream_tbEUlT_E_NS1_11comp_targetILNS1_3genE6ELNS1_11target_archE950ELNS1_3gpuE13ELNS1_3repE0EEENS1_52radix_sort_onesweep_histogram_config_static_selectorELNS0_4arch9wavefront6targetE0EEEvSD_.has_indirect_call, 0
	.section	.AMDGPU.csdata,"",@progbits
; Kernel info:
; codeLenInByte = 0
; TotalNumSgprs: 0
; NumVgprs: 0
; ScratchSize: 0
; MemoryBound: 0
; FloatMode: 240
; IeeeMode: 1
; LDSByteSize: 0 bytes/workgroup (compile time only)
; SGPRBlocks: 0
; VGPRBlocks: 0
; NumSGPRsForWavesPerEU: 1
; NumVGPRsForWavesPerEU: 1
; NamedBarCnt: 0
; Occupancy: 16
; WaveLimiterHint : 0
; COMPUTE_PGM_RSRC2:SCRATCH_EN: 0
; COMPUTE_PGM_RSRC2:USER_SGPR: 2
; COMPUTE_PGM_RSRC2:TRAP_HANDLER: 0
; COMPUTE_PGM_RSRC2:TGID_X_EN: 1
; COMPUTE_PGM_RSRC2:TGID_Y_EN: 0
; COMPUTE_PGM_RSRC2:TGID_Z_EN: 0
; COMPUTE_PGM_RSRC2:TIDIG_COMP_CNT: 0
	.section	.text._ZN7rocprim17ROCPRIM_400000_NS6detail17trampoline_kernelINS0_14default_configENS1_35radix_sort_onesweep_config_selectorIiNS0_10empty_typeEEEZNS1_34radix_sort_onesweep_global_offsetsIS3_Lb1EPKiPS5_mNS0_19identity_decomposerEEE10hipError_tT1_T2_PT3_SF_jT4_jjP12ihipStream_tbEUlT_E_NS1_11comp_targetILNS1_3genE5ELNS1_11target_archE942ELNS1_3gpuE9ELNS1_3repE0EEENS1_52radix_sort_onesweep_histogram_config_static_selectorELNS0_4arch9wavefront6targetE0EEEvSD_,"axG",@progbits,_ZN7rocprim17ROCPRIM_400000_NS6detail17trampoline_kernelINS0_14default_configENS1_35radix_sort_onesweep_config_selectorIiNS0_10empty_typeEEEZNS1_34radix_sort_onesweep_global_offsetsIS3_Lb1EPKiPS5_mNS0_19identity_decomposerEEE10hipError_tT1_T2_PT3_SF_jT4_jjP12ihipStream_tbEUlT_E_NS1_11comp_targetILNS1_3genE5ELNS1_11target_archE942ELNS1_3gpuE9ELNS1_3repE0EEENS1_52radix_sort_onesweep_histogram_config_static_selectorELNS0_4arch9wavefront6targetE0EEEvSD_,comdat
	.protected	_ZN7rocprim17ROCPRIM_400000_NS6detail17trampoline_kernelINS0_14default_configENS1_35radix_sort_onesweep_config_selectorIiNS0_10empty_typeEEEZNS1_34radix_sort_onesweep_global_offsetsIS3_Lb1EPKiPS5_mNS0_19identity_decomposerEEE10hipError_tT1_T2_PT3_SF_jT4_jjP12ihipStream_tbEUlT_E_NS1_11comp_targetILNS1_3genE5ELNS1_11target_archE942ELNS1_3gpuE9ELNS1_3repE0EEENS1_52radix_sort_onesweep_histogram_config_static_selectorELNS0_4arch9wavefront6targetE0EEEvSD_ ; -- Begin function _ZN7rocprim17ROCPRIM_400000_NS6detail17trampoline_kernelINS0_14default_configENS1_35radix_sort_onesweep_config_selectorIiNS0_10empty_typeEEEZNS1_34radix_sort_onesweep_global_offsetsIS3_Lb1EPKiPS5_mNS0_19identity_decomposerEEE10hipError_tT1_T2_PT3_SF_jT4_jjP12ihipStream_tbEUlT_E_NS1_11comp_targetILNS1_3genE5ELNS1_11target_archE942ELNS1_3gpuE9ELNS1_3repE0EEENS1_52radix_sort_onesweep_histogram_config_static_selectorELNS0_4arch9wavefront6targetE0EEEvSD_
	.globl	_ZN7rocprim17ROCPRIM_400000_NS6detail17trampoline_kernelINS0_14default_configENS1_35radix_sort_onesweep_config_selectorIiNS0_10empty_typeEEEZNS1_34radix_sort_onesweep_global_offsetsIS3_Lb1EPKiPS5_mNS0_19identity_decomposerEEE10hipError_tT1_T2_PT3_SF_jT4_jjP12ihipStream_tbEUlT_E_NS1_11comp_targetILNS1_3genE5ELNS1_11target_archE942ELNS1_3gpuE9ELNS1_3repE0EEENS1_52radix_sort_onesweep_histogram_config_static_selectorELNS0_4arch9wavefront6targetE0EEEvSD_
	.p2align	8
	.type	_ZN7rocprim17ROCPRIM_400000_NS6detail17trampoline_kernelINS0_14default_configENS1_35radix_sort_onesweep_config_selectorIiNS0_10empty_typeEEEZNS1_34radix_sort_onesweep_global_offsetsIS3_Lb1EPKiPS5_mNS0_19identity_decomposerEEE10hipError_tT1_T2_PT3_SF_jT4_jjP12ihipStream_tbEUlT_E_NS1_11comp_targetILNS1_3genE5ELNS1_11target_archE942ELNS1_3gpuE9ELNS1_3repE0EEENS1_52radix_sort_onesweep_histogram_config_static_selectorELNS0_4arch9wavefront6targetE0EEEvSD_,@function
_ZN7rocprim17ROCPRIM_400000_NS6detail17trampoline_kernelINS0_14default_configENS1_35radix_sort_onesweep_config_selectorIiNS0_10empty_typeEEEZNS1_34radix_sort_onesweep_global_offsetsIS3_Lb1EPKiPS5_mNS0_19identity_decomposerEEE10hipError_tT1_T2_PT3_SF_jT4_jjP12ihipStream_tbEUlT_E_NS1_11comp_targetILNS1_3genE5ELNS1_11target_archE942ELNS1_3gpuE9ELNS1_3repE0EEENS1_52radix_sort_onesweep_histogram_config_static_selectorELNS0_4arch9wavefront6targetE0EEEvSD_: ; @_ZN7rocprim17ROCPRIM_400000_NS6detail17trampoline_kernelINS0_14default_configENS1_35radix_sort_onesweep_config_selectorIiNS0_10empty_typeEEEZNS1_34radix_sort_onesweep_global_offsetsIS3_Lb1EPKiPS5_mNS0_19identity_decomposerEEE10hipError_tT1_T2_PT3_SF_jT4_jjP12ihipStream_tbEUlT_E_NS1_11comp_targetILNS1_3genE5ELNS1_11target_archE942ELNS1_3gpuE9ELNS1_3repE0EEENS1_52radix_sort_onesweep_histogram_config_static_selectorELNS0_4arch9wavefront6targetE0EEEvSD_
; %bb.0:
	.section	.rodata,"a",@progbits
	.p2align	6, 0x0
	.amdhsa_kernel _ZN7rocprim17ROCPRIM_400000_NS6detail17trampoline_kernelINS0_14default_configENS1_35radix_sort_onesweep_config_selectorIiNS0_10empty_typeEEEZNS1_34radix_sort_onesweep_global_offsetsIS3_Lb1EPKiPS5_mNS0_19identity_decomposerEEE10hipError_tT1_T2_PT3_SF_jT4_jjP12ihipStream_tbEUlT_E_NS1_11comp_targetILNS1_3genE5ELNS1_11target_archE942ELNS1_3gpuE9ELNS1_3repE0EEENS1_52radix_sort_onesweep_histogram_config_static_selectorELNS0_4arch9wavefront6targetE0EEEvSD_
		.amdhsa_group_segment_fixed_size 0
		.amdhsa_private_segment_fixed_size 0
		.amdhsa_kernarg_size 48
		.amdhsa_user_sgpr_count 2
		.amdhsa_user_sgpr_dispatch_ptr 0
		.amdhsa_user_sgpr_queue_ptr 0
		.amdhsa_user_sgpr_kernarg_segment_ptr 1
		.amdhsa_user_sgpr_dispatch_id 0
		.amdhsa_user_sgpr_kernarg_preload_length 0
		.amdhsa_user_sgpr_kernarg_preload_offset 0
		.amdhsa_user_sgpr_private_segment_size 0
		.amdhsa_wavefront_size32 1
		.amdhsa_uses_dynamic_stack 0
		.amdhsa_enable_private_segment 0
		.amdhsa_system_sgpr_workgroup_id_x 1
		.amdhsa_system_sgpr_workgroup_id_y 0
		.amdhsa_system_sgpr_workgroup_id_z 0
		.amdhsa_system_sgpr_workgroup_info 0
		.amdhsa_system_vgpr_workitem_id 0
		.amdhsa_next_free_vgpr 1
		.amdhsa_next_free_sgpr 1
		.amdhsa_named_barrier_count 0
		.amdhsa_reserve_vcc 0
		.amdhsa_float_round_mode_32 0
		.amdhsa_float_round_mode_16_64 0
		.amdhsa_float_denorm_mode_32 3
		.amdhsa_float_denorm_mode_16_64 3
		.amdhsa_fp16_overflow 0
		.amdhsa_memory_ordered 1
		.amdhsa_forward_progress 1
		.amdhsa_inst_pref_size 0
		.amdhsa_round_robin_scheduling 0
		.amdhsa_exception_fp_ieee_invalid_op 0
		.amdhsa_exception_fp_denorm_src 0
		.amdhsa_exception_fp_ieee_div_zero 0
		.amdhsa_exception_fp_ieee_overflow 0
		.amdhsa_exception_fp_ieee_underflow 0
		.amdhsa_exception_fp_ieee_inexact 0
		.amdhsa_exception_int_div_zero 0
	.end_amdhsa_kernel
	.section	.text._ZN7rocprim17ROCPRIM_400000_NS6detail17trampoline_kernelINS0_14default_configENS1_35radix_sort_onesweep_config_selectorIiNS0_10empty_typeEEEZNS1_34radix_sort_onesweep_global_offsetsIS3_Lb1EPKiPS5_mNS0_19identity_decomposerEEE10hipError_tT1_T2_PT3_SF_jT4_jjP12ihipStream_tbEUlT_E_NS1_11comp_targetILNS1_3genE5ELNS1_11target_archE942ELNS1_3gpuE9ELNS1_3repE0EEENS1_52radix_sort_onesweep_histogram_config_static_selectorELNS0_4arch9wavefront6targetE0EEEvSD_,"axG",@progbits,_ZN7rocprim17ROCPRIM_400000_NS6detail17trampoline_kernelINS0_14default_configENS1_35radix_sort_onesweep_config_selectorIiNS0_10empty_typeEEEZNS1_34radix_sort_onesweep_global_offsetsIS3_Lb1EPKiPS5_mNS0_19identity_decomposerEEE10hipError_tT1_T2_PT3_SF_jT4_jjP12ihipStream_tbEUlT_E_NS1_11comp_targetILNS1_3genE5ELNS1_11target_archE942ELNS1_3gpuE9ELNS1_3repE0EEENS1_52radix_sort_onesweep_histogram_config_static_selectorELNS0_4arch9wavefront6targetE0EEEvSD_,comdat
.Lfunc_end825:
	.size	_ZN7rocprim17ROCPRIM_400000_NS6detail17trampoline_kernelINS0_14default_configENS1_35radix_sort_onesweep_config_selectorIiNS0_10empty_typeEEEZNS1_34radix_sort_onesweep_global_offsetsIS3_Lb1EPKiPS5_mNS0_19identity_decomposerEEE10hipError_tT1_T2_PT3_SF_jT4_jjP12ihipStream_tbEUlT_E_NS1_11comp_targetILNS1_3genE5ELNS1_11target_archE942ELNS1_3gpuE9ELNS1_3repE0EEENS1_52radix_sort_onesweep_histogram_config_static_selectorELNS0_4arch9wavefront6targetE0EEEvSD_, .Lfunc_end825-_ZN7rocprim17ROCPRIM_400000_NS6detail17trampoline_kernelINS0_14default_configENS1_35radix_sort_onesweep_config_selectorIiNS0_10empty_typeEEEZNS1_34radix_sort_onesweep_global_offsetsIS3_Lb1EPKiPS5_mNS0_19identity_decomposerEEE10hipError_tT1_T2_PT3_SF_jT4_jjP12ihipStream_tbEUlT_E_NS1_11comp_targetILNS1_3genE5ELNS1_11target_archE942ELNS1_3gpuE9ELNS1_3repE0EEENS1_52radix_sort_onesweep_histogram_config_static_selectorELNS0_4arch9wavefront6targetE0EEEvSD_
                                        ; -- End function
	.set _ZN7rocprim17ROCPRIM_400000_NS6detail17trampoline_kernelINS0_14default_configENS1_35radix_sort_onesweep_config_selectorIiNS0_10empty_typeEEEZNS1_34radix_sort_onesweep_global_offsetsIS3_Lb1EPKiPS5_mNS0_19identity_decomposerEEE10hipError_tT1_T2_PT3_SF_jT4_jjP12ihipStream_tbEUlT_E_NS1_11comp_targetILNS1_3genE5ELNS1_11target_archE942ELNS1_3gpuE9ELNS1_3repE0EEENS1_52radix_sort_onesweep_histogram_config_static_selectorELNS0_4arch9wavefront6targetE0EEEvSD_.num_vgpr, 0
	.set _ZN7rocprim17ROCPRIM_400000_NS6detail17trampoline_kernelINS0_14default_configENS1_35radix_sort_onesweep_config_selectorIiNS0_10empty_typeEEEZNS1_34radix_sort_onesweep_global_offsetsIS3_Lb1EPKiPS5_mNS0_19identity_decomposerEEE10hipError_tT1_T2_PT3_SF_jT4_jjP12ihipStream_tbEUlT_E_NS1_11comp_targetILNS1_3genE5ELNS1_11target_archE942ELNS1_3gpuE9ELNS1_3repE0EEENS1_52radix_sort_onesweep_histogram_config_static_selectorELNS0_4arch9wavefront6targetE0EEEvSD_.num_agpr, 0
	.set _ZN7rocprim17ROCPRIM_400000_NS6detail17trampoline_kernelINS0_14default_configENS1_35radix_sort_onesweep_config_selectorIiNS0_10empty_typeEEEZNS1_34radix_sort_onesweep_global_offsetsIS3_Lb1EPKiPS5_mNS0_19identity_decomposerEEE10hipError_tT1_T2_PT3_SF_jT4_jjP12ihipStream_tbEUlT_E_NS1_11comp_targetILNS1_3genE5ELNS1_11target_archE942ELNS1_3gpuE9ELNS1_3repE0EEENS1_52radix_sort_onesweep_histogram_config_static_selectorELNS0_4arch9wavefront6targetE0EEEvSD_.numbered_sgpr, 0
	.set _ZN7rocprim17ROCPRIM_400000_NS6detail17trampoline_kernelINS0_14default_configENS1_35radix_sort_onesweep_config_selectorIiNS0_10empty_typeEEEZNS1_34radix_sort_onesweep_global_offsetsIS3_Lb1EPKiPS5_mNS0_19identity_decomposerEEE10hipError_tT1_T2_PT3_SF_jT4_jjP12ihipStream_tbEUlT_E_NS1_11comp_targetILNS1_3genE5ELNS1_11target_archE942ELNS1_3gpuE9ELNS1_3repE0EEENS1_52radix_sort_onesweep_histogram_config_static_selectorELNS0_4arch9wavefront6targetE0EEEvSD_.num_named_barrier, 0
	.set _ZN7rocprim17ROCPRIM_400000_NS6detail17trampoline_kernelINS0_14default_configENS1_35radix_sort_onesweep_config_selectorIiNS0_10empty_typeEEEZNS1_34radix_sort_onesweep_global_offsetsIS3_Lb1EPKiPS5_mNS0_19identity_decomposerEEE10hipError_tT1_T2_PT3_SF_jT4_jjP12ihipStream_tbEUlT_E_NS1_11comp_targetILNS1_3genE5ELNS1_11target_archE942ELNS1_3gpuE9ELNS1_3repE0EEENS1_52radix_sort_onesweep_histogram_config_static_selectorELNS0_4arch9wavefront6targetE0EEEvSD_.private_seg_size, 0
	.set _ZN7rocprim17ROCPRIM_400000_NS6detail17trampoline_kernelINS0_14default_configENS1_35radix_sort_onesweep_config_selectorIiNS0_10empty_typeEEEZNS1_34radix_sort_onesweep_global_offsetsIS3_Lb1EPKiPS5_mNS0_19identity_decomposerEEE10hipError_tT1_T2_PT3_SF_jT4_jjP12ihipStream_tbEUlT_E_NS1_11comp_targetILNS1_3genE5ELNS1_11target_archE942ELNS1_3gpuE9ELNS1_3repE0EEENS1_52radix_sort_onesweep_histogram_config_static_selectorELNS0_4arch9wavefront6targetE0EEEvSD_.uses_vcc, 0
	.set _ZN7rocprim17ROCPRIM_400000_NS6detail17trampoline_kernelINS0_14default_configENS1_35radix_sort_onesweep_config_selectorIiNS0_10empty_typeEEEZNS1_34radix_sort_onesweep_global_offsetsIS3_Lb1EPKiPS5_mNS0_19identity_decomposerEEE10hipError_tT1_T2_PT3_SF_jT4_jjP12ihipStream_tbEUlT_E_NS1_11comp_targetILNS1_3genE5ELNS1_11target_archE942ELNS1_3gpuE9ELNS1_3repE0EEENS1_52radix_sort_onesweep_histogram_config_static_selectorELNS0_4arch9wavefront6targetE0EEEvSD_.uses_flat_scratch, 0
	.set _ZN7rocprim17ROCPRIM_400000_NS6detail17trampoline_kernelINS0_14default_configENS1_35radix_sort_onesweep_config_selectorIiNS0_10empty_typeEEEZNS1_34radix_sort_onesweep_global_offsetsIS3_Lb1EPKiPS5_mNS0_19identity_decomposerEEE10hipError_tT1_T2_PT3_SF_jT4_jjP12ihipStream_tbEUlT_E_NS1_11comp_targetILNS1_3genE5ELNS1_11target_archE942ELNS1_3gpuE9ELNS1_3repE0EEENS1_52radix_sort_onesweep_histogram_config_static_selectorELNS0_4arch9wavefront6targetE0EEEvSD_.has_dyn_sized_stack, 0
	.set _ZN7rocprim17ROCPRIM_400000_NS6detail17trampoline_kernelINS0_14default_configENS1_35radix_sort_onesweep_config_selectorIiNS0_10empty_typeEEEZNS1_34radix_sort_onesweep_global_offsetsIS3_Lb1EPKiPS5_mNS0_19identity_decomposerEEE10hipError_tT1_T2_PT3_SF_jT4_jjP12ihipStream_tbEUlT_E_NS1_11comp_targetILNS1_3genE5ELNS1_11target_archE942ELNS1_3gpuE9ELNS1_3repE0EEENS1_52radix_sort_onesweep_histogram_config_static_selectorELNS0_4arch9wavefront6targetE0EEEvSD_.has_recursion, 0
	.set _ZN7rocprim17ROCPRIM_400000_NS6detail17trampoline_kernelINS0_14default_configENS1_35radix_sort_onesweep_config_selectorIiNS0_10empty_typeEEEZNS1_34radix_sort_onesweep_global_offsetsIS3_Lb1EPKiPS5_mNS0_19identity_decomposerEEE10hipError_tT1_T2_PT3_SF_jT4_jjP12ihipStream_tbEUlT_E_NS1_11comp_targetILNS1_3genE5ELNS1_11target_archE942ELNS1_3gpuE9ELNS1_3repE0EEENS1_52radix_sort_onesweep_histogram_config_static_selectorELNS0_4arch9wavefront6targetE0EEEvSD_.has_indirect_call, 0
	.section	.AMDGPU.csdata,"",@progbits
; Kernel info:
; codeLenInByte = 0
; TotalNumSgprs: 0
; NumVgprs: 0
; ScratchSize: 0
; MemoryBound: 0
; FloatMode: 240
; IeeeMode: 1
; LDSByteSize: 0 bytes/workgroup (compile time only)
; SGPRBlocks: 0
; VGPRBlocks: 0
; NumSGPRsForWavesPerEU: 1
; NumVGPRsForWavesPerEU: 1
; NamedBarCnt: 0
; Occupancy: 16
; WaveLimiterHint : 0
; COMPUTE_PGM_RSRC2:SCRATCH_EN: 0
; COMPUTE_PGM_RSRC2:USER_SGPR: 2
; COMPUTE_PGM_RSRC2:TRAP_HANDLER: 0
; COMPUTE_PGM_RSRC2:TGID_X_EN: 1
; COMPUTE_PGM_RSRC2:TGID_Y_EN: 0
; COMPUTE_PGM_RSRC2:TGID_Z_EN: 0
; COMPUTE_PGM_RSRC2:TIDIG_COMP_CNT: 0
	.section	.text._ZN7rocprim17ROCPRIM_400000_NS6detail17trampoline_kernelINS0_14default_configENS1_35radix_sort_onesweep_config_selectorIiNS0_10empty_typeEEEZNS1_34radix_sort_onesweep_global_offsetsIS3_Lb1EPKiPS5_mNS0_19identity_decomposerEEE10hipError_tT1_T2_PT3_SF_jT4_jjP12ihipStream_tbEUlT_E_NS1_11comp_targetILNS1_3genE2ELNS1_11target_archE906ELNS1_3gpuE6ELNS1_3repE0EEENS1_52radix_sort_onesweep_histogram_config_static_selectorELNS0_4arch9wavefront6targetE0EEEvSD_,"axG",@progbits,_ZN7rocprim17ROCPRIM_400000_NS6detail17trampoline_kernelINS0_14default_configENS1_35radix_sort_onesweep_config_selectorIiNS0_10empty_typeEEEZNS1_34radix_sort_onesweep_global_offsetsIS3_Lb1EPKiPS5_mNS0_19identity_decomposerEEE10hipError_tT1_T2_PT3_SF_jT4_jjP12ihipStream_tbEUlT_E_NS1_11comp_targetILNS1_3genE2ELNS1_11target_archE906ELNS1_3gpuE6ELNS1_3repE0EEENS1_52radix_sort_onesweep_histogram_config_static_selectorELNS0_4arch9wavefront6targetE0EEEvSD_,comdat
	.protected	_ZN7rocprim17ROCPRIM_400000_NS6detail17trampoline_kernelINS0_14default_configENS1_35radix_sort_onesweep_config_selectorIiNS0_10empty_typeEEEZNS1_34radix_sort_onesweep_global_offsetsIS3_Lb1EPKiPS5_mNS0_19identity_decomposerEEE10hipError_tT1_T2_PT3_SF_jT4_jjP12ihipStream_tbEUlT_E_NS1_11comp_targetILNS1_3genE2ELNS1_11target_archE906ELNS1_3gpuE6ELNS1_3repE0EEENS1_52radix_sort_onesweep_histogram_config_static_selectorELNS0_4arch9wavefront6targetE0EEEvSD_ ; -- Begin function _ZN7rocprim17ROCPRIM_400000_NS6detail17trampoline_kernelINS0_14default_configENS1_35radix_sort_onesweep_config_selectorIiNS0_10empty_typeEEEZNS1_34radix_sort_onesweep_global_offsetsIS3_Lb1EPKiPS5_mNS0_19identity_decomposerEEE10hipError_tT1_T2_PT3_SF_jT4_jjP12ihipStream_tbEUlT_E_NS1_11comp_targetILNS1_3genE2ELNS1_11target_archE906ELNS1_3gpuE6ELNS1_3repE0EEENS1_52radix_sort_onesweep_histogram_config_static_selectorELNS0_4arch9wavefront6targetE0EEEvSD_
	.globl	_ZN7rocprim17ROCPRIM_400000_NS6detail17trampoline_kernelINS0_14default_configENS1_35radix_sort_onesweep_config_selectorIiNS0_10empty_typeEEEZNS1_34radix_sort_onesweep_global_offsetsIS3_Lb1EPKiPS5_mNS0_19identity_decomposerEEE10hipError_tT1_T2_PT3_SF_jT4_jjP12ihipStream_tbEUlT_E_NS1_11comp_targetILNS1_3genE2ELNS1_11target_archE906ELNS1_3gpuE6ELNS1_3repE0EEENS1_52radix_sort_onesweep_histogram_config_static_selectorELNS0_4arch9wavefront6targetE0EEEvSD_
	.p2align	8
	.type	_ZN7rocprim17ROCPRIM_400000_NS6detail17trampoline_kernelINS0_14default_configENS1_35radix_sort_onesweep_config_selectorIiNS0_10empty_typeEEEZNS1_34radix_sort_onesweep_global_offsetsIS3_Lb1EPKiPS5_mNS0_19identity_decomposerEEE10hipError_tT1_T2_PT3_SF_jT4_jjP12ihipStream_tbEUlT_E_NS1_11comp_targetILNS1_3genE2ELNS1_11target_archE906ELNS1_3gpuE6ELNS1_3repE0EEENS1_52radix_sort_onesweep_histogram_config_static_selectorELNS0_4arch9wavefront6targetE0EEEvSD_,@function
_ZN7rocprim17ROCPRIM_400000_NS6detail17trampoline_kernelINS0_14default_configENS1_35radix_sort_onesweep_config_selectorIiNS0_10empty_typeEEEZNS1_34radix_sort_onesweep_global_offsetsIS3_Lb1EPKiPS5_mNS0_19identity_decomposerEEE10hipError_tT1_T2_PT3_SF_jT4_jjP12ihipStream_tbEUlT_E_NS1_11comp_targetILNS1_3genE2ELNS1_11target_archE906ELNS1_3gpuE6ELNS1_3repE0EEENS1_52radix_sort_onesweep_histogram_config_static_selectorELNS0_4arch9wavefront6targetE0EEEvSD_: ; @_ZN7rocprim17ROCPRIM_400000_NS6detail17trampoline_kernelINS0_14default_configENS1_35radix_sort_onesweep_config_selectorIiNS0_10empty_typeEEEZNS1_34radix_sort_onesweep_global_offsetsIS3_Lb1EPKiPS5_mNS0_19identity_decomposerEEE10hipError_tT1_T2_PT3_SF_jT4_jjP12ihipStream_tbEUlT_E_NS1_11comp_targetILNS1_3genE2ELNS1_11target_archE906ELNS1_3gpuE6ELNS1_3repE0EEENS1_52radix_sort_onesweep_histogram_config_static_selectorELNS0_4arch9wavefront6targetE0EEEvSD_
; %bb.0:
	.section	.rodata,"a",@progbits
	.p2align	6, 0x0
	.amdhsa_kernel _ZN7rocprim17ROCPRIM_400000_NS6detail17trampoline_kernelINS0_14default_configENS1_35radix_sort_onesweep_config_selectorIiNS0_10empty_typeEEEZNS1_34radix_sort_onesweep_global_offsetsIS3_Lb1EPKiPS5_mNS0_19identity_decomposerEEE10hipError_tT1_T2_PT3_SF_jT4_jjP12ihipStream_tbEUlT_E_NS1_11comp_targetILNS1_3genE2ELNS1_11target_archE906ELNS1_3gpuE6ELNS1_3repE0EEENS1_52radix_sort_onesweep_histogram_config_static_selectorELNS0_4arch9wavefront6targetE0EEEvSD_
		.amdhsa_group_segment_fixed_size 0
		.amdhsa_private_segment_fixed_size 0
		.amdhsa_kernarg_size 48
		.amdhsa_user_sgpr_count 2
		.amdhsa_user_sgpr_dispatch_ptr 0
		.amdhsa_user_sgpr_queue_ptr 0
		.amdhsa_user_sgpr_kernarg_segment_ptr 1
		.amdhsa_user_sgpr_dispatch_id 0
		.amdhsa_user_sgpr_kernarg_preload_length 0
		.amdhsa_user_sgpr_kernarg_preload_offset 0
		.amdhsa_user_sgpr_private_segment_size 0
		.amdhsa_wavefront_size32 1
		.amdhsa_uses_dynamic_stack 0
		.amdhsa_enable_private_segment 0
		.amdhsa_system_sgpr_workgroup_id_x 1
		.amdhsa_system_sgpr_workgroup_id_y 0
		.amdhsa_system_sgpr_workgroup_id_z 0
		.amdhsa_system_sgpr_workgroup_info 0
		.amdhsa_system_vgpr_workitem_id 0
		.amdhsa_next_free_vgpr 1
		.amdhsa_next_free_sgpr 1
		.amdhsa_named_barrier_count 0
		.amdhsa_reserve_vcc 0
		.amdhsa_float_round_mode_32 0
		.amdhsa_float_round_mode_16_64 0
		.amdhsa_float_denorm_mode_32 3
		.amdhsa_float_denorm_mode_16_64 3
		.amdhsa_fp16_overflow 0
		.amdhsa_memory_ordered 1
		.amdhsa_forward_progress 1
		.amdhsa_inst_pref_size 0
		.amdhsa_round_robin_scheduling 0
		.amdhsa_exception_fp_ieee_invalid_op 0
		.amdhsa_exception_fp_denorm_src 0
		.amdhsa_exception_fp_ieee_div_zero 0
		.amdhsa_exception_fp_ieee_overflow 0
		.amdhsa_exception_fp_ieee_underflow 0
		.amdhsa_exception_fp_ieee_inexact 0
		.amdhsa_exception_int_div_zero 0
	.end_amdhsa_kernel
	.section	.text._ZN7rocprim17ROCPRIM_400000_NS6detail17trampoline_kernelINS0_14default_configENS1_35radix_sort_onesweep_config_selectorIiNS0_10empty_typeEEEZNS1_34radix_sort_onesweep_global_offsetsIS3_Lb1EPKiPS5_mNS0_19identity_decomposerEEE10hipError_tT1_T2_PT3_SF_jT4_jjP12ihipStream_tbEUlT_E_NS1_11comp_targetILNS1_3genE2ELNS1_11target_archE906ELNS1_3gpuE6ELNS1_3repE0EEENS1_52radix_sort_onesweep_histogram_config_static_selectorELNS0_4arch9wavefront6targetE0EEEvSD_,"axG",@progbits,_ZN7rocprim17ROCPRIM_400000_NS6detail17trampoline_kernelINS0_14default_configENS1_35radix_sort_onesweep_config_selectorIiNS0_10empty_typeEEEZNS1_34radix_sort_onesweep_global_offsetsIS3_Lb1EPKiPS5_mNS0_19identity_decomposerEEE10hipError_tT1_T2_PT3_SF_jT4_jjP12ihipStream_tbEUlT_E_NS1_11comp_targetILNS1_3genE2ELNS1_11target_archE906ELNS1_3gpuE6ELNS1_3repE0EEENS1_52radix_sort_onesweep_histogram_config_static_selectorELNS0_4arch9wavefront6targetE0EEEvSD_,comdat
.Lfunc_end826:
	.size	_ZN7rocprim17ROCPRIM_400000_NS6detail17trampoline_kernelINS0_14default_configENS1_35radix_sort_onesweep_config_selectorIiNS0_10empty_typeEEEZNS1_34radix_sort_onesweep_global_offsetsIS3_Lb1EPKiPS5_mNS0_19identity_decomposerEEE10hipError_tT1_T2_PT3_SF_jT4_jjP12ihipStream_tbEUlT_E_NS1_11comp_targetILNS1_3genE2ELNS1_11target_archE906ELNS1_3gpuE6ELNS1_3repE0EEENS1_52radix_sort_onesweep_histogram_config_static_selectorELNS0_4arch9wavefront6targetE0EEEvSD_, .Lfunc_end826-_ZN7rocprim17ROCPRIM_400000_NS6detail17trampoline_kernelINS0_14default_configENS1_35radix_sort_onesweep_config_selectorIiNS0_10empty_typeEEEZNS1_34radix_sort_onesweep_global_offsetsIS3_Lb1EPKiPS5_mNS0_19identity_decomposerEEE10hipError_tT1_T2_PT3_SF_jT4_jjP12ihipStream_tbEUlT_E_NS1_11comp_targetILNS1_3genE2ELNS1_11target_archE906ELNS1_3gpuE6ELNS1_3repE0EEENS1_52radix_sort_onesweep_histogram_config_static_selectorELNS0_4arch9wavefront6targetE0EEEvSD_
                                        ; -- End function
	.set _ZN7rocprim17ROCPRIM_400000_NS6detail17trampoline_kernelINS0_14default_configENS1_35radix_sort_onesweep_config_selectorIiNS0_10empty_typeEEEZNS1_34radix_sort_onesweep_global_offsetsIS3_Lb1EPKiPS5_mNS0_19identity_decomposerEEE10hipError_tT1_T2_PT3_SF_jT4_jjP12ihipStream_tbEUlT_E_NS1_11comp_targetILNS1_3genE2ELNS1_11target_archE906ELNS1_3gpuE6ELNS1_3repE0EEENS1_52radix_sort_onesweep_histogram_config_static_selectorELNS0_4arch9wavefront6targetE0EEEvSD_.num_vgpr, 0
	.set _ZN7rocprim17ROCPRIM_400000_NS6detail17trampoline_kernelINS0_14default_configENS1_35radix_sort_onesweep_config_selectorIiNS0_10empty_typeEEEZNS1_34radix_sort_onesweep_global_offsetsIS3_Lb1EPKiPS5_mNS0_19identity_decomposerEEE10hipError_tT1_T2_PT3_SF_jT4_jjP12ihipStream_tbEUlT_E_NS1_11comp_targetILNS1_3genE2ELNS1_11target_archE906ELNS1_3gpuE6ELNS1_3repE0EEENS1_52radix_sort_onesweep_histogram_config_static_selectorELNS0_4arch9wavefront6targetE0EEEvSD_.num_agpr, 0
	.set _ZN7rocprim17ROCPRIM_400000_NS6detail17trampoline_kernelINS0_14default_configENS1_35radix_sort_onesweep_config_selectorIiNS0_10empty_typeEEEZNS1_34radix_sort_onesweep_global_offsetsIS3_Lb1EPKiPS5_mNS0_19identity_decomposerEEE10hipError_tT1_T2_PT3_SF_jT4_jjP12ihipStream_tbEUlT_E_NS1_11comp_targetILNS1_3genE2ELNS1_11target_archE906ELNS1_3gpuE6ELNS1_3repE0EEENS1_52radix_sort_onesweep_histogram_config_static_selectorELNS0_4arch9wavefront6targetE0EEEvSD_.numbered_sgpr, 0
	.set _ZN7rocprim17ROCPRIM_400000_NS6detail17trampoline_kernelINS0_14default_configENS1_35radix_sort_onesweep_config_selectorIiNS0_10empty_typeEEEZNS1_34radix_sort_onesweep_global_offsetsIS3_Lb1EPKiPS5_mNS0_19identity_decomposerEEE10hipError_tT1_T2_PT3_SF_jT4_jjP12ihipStream_tbEUlT_E_NS1_11comp_targetILNS1_3genE2ELNS1_11target_archE906ELNS1_3gpuE6ELNS1_3repE0EEENS1_52radix_sort_onesweep_histogram_config_static_selectorELNS0_4arch9wavefront6targetE0EEEvSD_.num_named_barrier, 0
	.set _ZN7rocprim17ROCPRIM_400000_NS6detail17trampoline_kernelINS0_14default_configENS1_35radix_sort_onesweep_config_selectorIiNS0_10empty_typeEEEZNS1_34radix_sort_onesweep_global_offsetsIS3_Lb1EPKiPS5_mNS0_19identity_decomposerEEE10hipError_tT1_T2_PT3_SF_jT4_jjP12ihipStream_tbEUlT_E_NS1_11comp_targetILNS1_3genE2ELNS1_11target_archE906ELNS1_3gpuE6ELNS1_3repE0EEENS1_52radix_sort_onesweep_histogram_config_static_selectorELNS0_4arch9wavefront6targetE0EEEvSD_.private_seg_size, 0
	.set _ZN7rocprim17ROCPRIM_400000_NS6detail17trampoline_kernelINS0_14default_configENS1_35radix_sort_onesweep_config_selectorIiNS0_10empty_typeEEEZNS1_34radix_sort_onesweep_global_offsetsIS3_Lb1EPKiPS5_mNS0_19identity_decomposerEEE10hipError_tT1_T2_PT3_SF_jT4_jjP12ihipStream_tbEUlT_E_NS1_11comp_targetILNS1_3genE2ELNS1_11target_archE906ELNS1_3gpuE6ELNS1_3repE0EEENS1_52radix_sort_onesweep_histogram_config_static_selectorELNS0_4arch9wavefront6targetE0EEEvSD_.uses_vcc, 0
	.set _ZN7rocprim17ROCPRIM_400000_NS6detail17trampoline_kernelINS0_14default_configENS1_35radix_sort_onesweep_config_selectorIiNS0_10empty_typeEEEZNS1_34radix_sort_onesweep_global_offsetsIS3_Lb1EPKiPS5_mNS0_19identity_decomposerEEE10hipError_tT1_T2_PT3_SF_jT4_jjP12ihipStream_tbEUlT_E_NS1_11comp_targetILNS1_3genE2ELNS1_11target_archE906ELNS1_3gpuE6ELNS1_3repE0EEENS1_52radix_sort_onesweep_histogram_config_static_selectorELNS0_4arch9wavefront6targetE0EEEvSD_.uses_flat_scratch, 0
	.set _ZN7rocprim17ROCPRIM_400000_NS6detail17trampoline_kernelINS0_14default_configENS1_35radix_sort_onesweep_config_selectorIiNS0_10empty_typeEEEZNS1_34radix_sort_onesweep_global_offsetsIS3_Lb1EPKiPS5_mNS0_19identity_decomposerEEE10hipError_tT1_T2_PT3_SF_jT4_jjP12ihipStream_tbEUlT_E_NS1_11comp_targetILNS1_3genE2ELNS1_11target_archE906ELNS1_3gpuE6ELNS1_3repE0EEENS1_52radix_sort_onesweep_histogram_config_static_selectorELNS0_4arch9wavefront6targetE0EEEvSD_.has_dyn_sized_stack, 0
	.set _ZN7rocprim17ROCPRIM_400000_NS6detail17trampoline_kernelINS0_14default_configENS1_35radix_sort_onesweep_config_selectorIiNS0_10empty_typeEEEZNS1_34radix_sort_onesweep_global_offsetsIS3_Lb1EPKiPS5_mNS0_19identity_decomposerEEE10hipError_tT1_T2_PT3_SF_jT4_jjP12ihipStream_tbEUlT_E_NS1_11comp_targetILNS1_3genE2ELNS1_11target_archE906ELNS1_3gpuE6ELNS1_3repE0EEENS1_52radix_sort_onesweep_histogram_config_static_selectorELNS0_4arch9wavefront6targetE0EEEvSD_.has_recursion, 0
	.set _ZN7rocprim17ROCPRIM_400000_NS6detail17trampoline_kernelINS0_14default_configENS1_35radix_sort_onesweep_config_selectorIiNS0_10empty_typeEEEZNS1_34radix_sort_onesweep_global_offsetsIS3_Lb1EPKiPS5_mNS0_19identity_decomposerEEE10hipError_tT1_T2_PT3_SF_jT4_jjP12ihipStream_tbEUlT_E_NS1_11comp_targetILNS1_3genE2ELNS1_11target_archE906ELNS1_3gpuE6ELNS1_3repE0EEENS1_52radix_sort_onesweep_histogram_config_static_selectorELNS0_4arch9wavefront6targetE0EEEvSD_.has_indirect_call, 0
	.section	.AMDGPU.csdata,"",@progbits
; Kernel info:
; codeLenInByte = 0
; TotalNumSgprs: 0
; NumVgprs: 0
; ScratchSize: 0
; MemoryBound: 0
; FloatMode: 240
; IeeeMode: 1
; LDSByteSize: 0 bytes/workgroup (compile time only)
; SGPRBlocks: 0
; VGPRBlocks: 0
; NumSGPRsForWavesPerEU: 1
; NumVGPRsForWavesPerEU: 1
; NamedBarCnt: 0
; Occupancy: 16
; WaveLimiterHint : 0
; COMPUTE_PGM_RSRC2:SCRATCH_EN: 0
; COMPUTE_PGM_RSRC2:USER_SGPR: 2
; COMPUTE_PGM_RSRC2:TRAP_HANDLER: 0
; COMPUTE_PGM_RSRC2:TGID_X_EN: 1
; COMPUTE_PGM_RSRC2:TGID_Y_EN: 0
; COMPUTE_PGM_RSRC2:TGID_Z_EN: 0
; COMPUTE_PGM_RSRC2:TIDIG_COMP_CNT: 0
	.section	.text._ZN7rocprim17ROCPRIM_400000_NS6detail17trampoline_kernelINS0_14default_configENS1_35radix_sort_onesweep_config_selectorIiNS0_10empty_typeEEEZNS1_34radix_sort_onesweep_global_offsetsIS3_Lb1EPKiPS5_mNS0_19identity_decomposerEEE10hipError_tT1_T2_PT3_SF_jT4_jjP12ihipStream_tbEUlT_E_NS1_11comp_targetILNS1_3genE4ELNS1_11target_archE910ELNS1_3gpuE8ELNS1_3repE0EEENS1_52radix_sort_onesweep_histogram_config_static_selectorELNS0_4arch9wavefront6targetE0EEEvSD_,"axG",@progbits,_ZN7rocprim17ROCPRIM_400000_NS6detail17trampoline_kernelINS0_14default_configENS1_35radix_sort_onesweep_config_selectorIiNS0_10empty_typeEEEZNS1_34radix_sort_onesweep_global_offsetsIS3_Lb1EPKiPS5_mNS0_19identity_decomposerEEE10hipError_tT1_T2_PT3_SF_jT4_jjP12ihipStream_tbEUlT_E_NS1_11comp_targetILNS1_3genE4ELNS1_11target_archE910ELNS1_3gpuE8ELNS1_3repE0EEENS1_52radix_sort_onesweep_histogram_config_static_selectorELNS0_4arch9wavefront6targetE0EEEvSD_,comdat
	.protected	_ZN7rocprim17ROCPRIM_400000_NS6detail17trampoline_kernelINS0_14default_configENS1_35radix_sort_onesweep_config_selectorIiNS0_10empty_typeEEEZNS1_34radix_sort_onesweep_global_offsetsIS3_Lb1EPKiPS5_mNS0_19identity_decomposerEEE10hipError_tT1_T2_PT3_SF_jT4_jjP12ihipStream_tbEUlT_E_NS1_11comp_targetILNS1_3genE4ELNS1_11target_archE910ELNS1_3gpuE8ELNS1_3repE0EEENS1_52radix_sort_onesweep_histogram_config_static_selectorELNS0_4arch9wavefront6targetE0EEEvSD_ ; -- Begin function _ZN7rocprim17ROCPRIM_400000_NS6detail17trampoline_kernelINS0_14default_configENS1_35radix_sort_onesweep_config_selectorIiNS0_10empty_typeEEEZNS1_34radix_sort_onesweep_global_offsetsIS3_Lb1EPKiPS5_mNS0_19identity_decomposerEEE10hipError_tT1_T2_PT3_SF_jT4_jjP12ihipStream_tbEUlT_E_NS1_11comp_targetILNS1_3genE4ELNS1_11target_archE910ELNS1_3gpuE8ELNS1_3repE0EEENS1_52radix_sort_onesweep_histogram_config_static_selectorELNS0_4arch9wavefront6targetE0EEEvSD_
	.globl	_ZN7rocprim17ROCPRIM_400000_NS6detail17trampoline_kernelINS0_14default_configENS1_35radix_sort_onesweep_config_selectorIiNS0_10empty_typeEEEZNS1_34radix_sort_onesweep_global_offsetsIS3_Lb1EPKiPS5_mNS0_19identity_decomposerEEE10hipError_tT1_T2_PT3_SF_jT4_jjP12ihipStream_tbEUlT_E_NS1_11comp_targetILNS1_3genE4ELNS1_11target_archE910ELNS1_3gpuE8ELNS1_3repE0EEENS1_52radix_sort_onesweep_histogram_config_static_selectorELNS0_4arch9wavefront6targetE0EEEvSD_
	.p2align	8
	.type	_ZN7rocprim17ROCPRIM_400000_NS6detail17trampoline_kernelINS0_14default_configENS1_35radix_sort_onesweep_config_selectorIiNS0_10empty_typeEEEZNS1_34radix_sort_onesweep_global_offsetsIS3_Lb1EPKiPS5_mNS0_19identity_decomposerEEE10hipError_tT1_T2_PT3_SF_jT4_jjP12ihipStream_tbEUlT_E_NS1_11comp_targetILNS1_3genE4ELNS1_11target_archE910ELNS1_3gpuE8ELNS1_3repE0EEENS1_52radix_sort_onesweep_histogram_config_static_selectorELNS0_4arch9wavefront6targetE0EEEvSD_,@function
_ZN7rocprim17ROCPRIM_400000_NS6detail17trampoline_kernelINS0_14default_configENS1_35radix_sort_onesweep_config_selectorIiNS0_10empty_typeEEEZNS1_34radix_sort_onesweep_global_offsetsIS3_Lb1EPKiPS5_mNS0_19identity_decomposerEEE10hipError_tT1_T2_PT3_SF_jT4_jjP12ihipStream_tbEUlT_E_NS1_11comp_targetILNS1_3genE4ELNS1_11target_archE910ELNS1_3gpuE8ELNS1_3repE0EEENS1_52radix_sort_onesweep_histogram_config_static_selectorELNS0_4arch9wavefront6targetE0EEEvSD_: ; @_ZN7rocprim17ROCPRIM_400000_NS6detail17trampoline_kernelINS0_14default_configENS1_35radix_sort_onesweep_config_selectorIiNS0_10empty_typeEEEZNS1_34radix_sort_onesweep_global_offsetsIS3_Lb1EPKiPS5_mNS0_19identity_decomposerEEE10hipError_tT1_T2_PT3_SF_jT4_jjP12ihipStream_tbEUlT_E_NS1_11comp_targetILNS1_3genE4ELNS1_11target_archE910ELNS1_3gpuE8ELNS1_3repE0EEENS1_52radix_sort_onesweep_histogram_config_static_selectorELNS0_4arch9wavefront6targetE0EEEvSD_
; %bb.0:
	.section	.rodata,"a",@progbits
	.p2align	6, 0x0
	.amdhsa_kernel _ZN7rocprim17ROCPRIM_400000_NS6detail17trampoline_kernelINS0_14default_configENS1_35radix_sort_onesweep_config_selectorIiNS0_10empty_typeEEEZNS1_34radix_sort_onesweep_global_offsetsIS3_Lb1EPKiPS5_mNS0_19identity_decomposerEEE10hipError_tT1_T2_PT3_SF_jT4_jjP12ihipStream_tbEUlT_E_NS1_11comp_targetILNS1_3genE4ELNS1_11target_archE910ELNS1_3gpuE8ELNS1_3repE0EEENS1_52radix_sort_onesweep_histogram_config_static_selectorELNS0_4arch9wavefront6targetE0EEEvSD_
		.amdhsa_group_segment_fixed_size 0
		.amdhsa_private_segment_fixed_size 0
		.amdhsa_kernarg_size 48
		.amdhsa_user_sgpr_count 2
		.amdhsa_user_sgpr_dispatch_ptr 0
		.amdhsa_user_sgpr_queue_ptr 0
		.amdhsa_user_sgpr_kernarg_segment_ptr 1
		.amdhsa_user_sgpr_dispatch_id 0
		.amdhsa_user_sgpr_kernarg_preload_length 0
		.amdhsa_user_sgpr_kernarg_preload_offset 0
		.amdhsa_user_sgpr_private_segment_size 0
		.amdhsa_wavefront_size32 1
		.amdhsa_uses_dynamic_stack 0
		.amdhsa_enable_private_segment 0
		.amdhsa_system_sgpr_workgroup_id_x 1
		.amdhsa_system_sgpr_workgroup_id_y 0
		.amdhsa_system_sgpr_workgroup_id_z 0
		.amdhsa_system_sgpr_workgroup_info 0
		.amdhsa_system_vgpr_workitem_id 0
		.amdhsa_next_free_vgpr 1
		.amdhsa_next_free_sgpr 1
		.amdhsa_named_barrier_count 0
		.amdhsa_reserve_vcc 0
		.amdhsa_float_round_mode_32 0
		.amdhsa_float_round_mode_16_64 0
		.amdhsa_float_denorm_mode_32 3
		.amdhsa_float_denorm_mode_16_64 3
		.amdhsa_fp16_overflow 0
		.amdhsa_memory_ordered 1
		.amdhsa_forward_progress 1
		.amdhsa_inst_pref_size 0
		.amdhsa_round_robin_scheduling 0
		.amdhsa_exception_fp_ieee_invalid_op 0
		.amdhsa_exception_fp_denorm_src 0
		.amdhsa_exception_fp_ieee_div_zero 0
		.amdhsa_exception_fp_ieee_overflow 0
		.amdhsa_exception_fp_ieee_underflow 0
		.amdhsa_exception_fp_ieee_inexact 0
		.amdhsa_exception_int_div_zero 0
	.end_amdhsa_kernel
	.section	.text._ZN7rocprim17ROCPRIM_400000_NS6detail17trampoline_kernelINS0_14default_configENS1_35radix_sort_onesweep_config_selectorIiNS0_10empty_typeEEEZNS1_34radix_sort_onesweep_global_offsetsIS3_Lb1EPKiPS5_mNS0_19identity_decomposerEEE10hipError_tT1_T2_PT3_SF_jT4_jjP12ihipStream_tbEUlT_E_NS1_11comp_targetILNS1_3genE4ELNS1_11target_archE910ELNS1_3gpuE8ELNS1_3repE0EEENS1_52radix_sort_onesweep_histogram_config_static_selectorELNS0_4arch9wavefront6targetE0EEEvSD_,"axG",@progbits,_ZN7rocprim17ROCPRIM_400000_NS6detail17trampoline_kernelINS0_14default_configENS1_35radix_sort_onesweep_config_selectorIiNS0_10empty_typeEEEZNS1_34radix_sort_onesweep_global_offsetsIS3_Lb1EPKiPS5_mNS0_19identity_decomposerEEE10hipError_tT1_T2_PT3_SF_jT4_jjP12ihipStream_tbEUlT_E_NS1_11comp_targetILNS1_3genE4ELNS1_11target_archE910ELNS1_3gpuE8ELNS1_3repE0EEENS1_52radix_sort_onesweep_histogram_config_static_selectorELNS0_4arch9wavefront6targetE0EEEvSD_,comdat
.Lfunc_end827:
	.size	_ZN7rocprim17ROCPRIM_400000_NS6detail17trampoline_kernelINS0_14default_configENS1_35radix_sort_onesweep_config_selectorIiNS0_10empty_typeEEEZNS1_34radix_sort_onesweep_global_offsetsIS3_Lb1EPKiPS5_mNS0_19identity_decomposerEEE10hipError_tT1_T2_PT3_SF_jT4_jjP12ihipStream_tbEUlT_E_NS1_11comp_targetILNS1_3genE4ELNS1_11target_archE910ELNS1_3gpuE8ELNS1_3repE0EEENS1_52radix_sort_onesweep_histogram_config_static_selectorELNS0_4arch9wavefront6targetE0EEEvSD_, .Lfunc_end827-_ZN7rocprim17ROCPRIM_400000_NS6detail17trampoline_kernelINS0_14default_configENS1_35radix_sort_onesweep_config_selectorIiNS0_10empty_typeEEEZNS1_34radix_sort_onesweep_global_offsetsIS3_Lb1EPKiPS5_mNS0_19identity_decomposerEEE10hipError_tT1_T2_PT3_SF_jT4_jjP12ihipStream_tbEUlT_E_NS1_11comp_targetILNS1_3genE4ELNS1_11target_archE910ELNS1_3gpuE8ELNS1_3repE0EEENS1_52radix_sort_onesweep_histogram_config_static_selectorELNS0_4arch9wavefront6targetE0EEEvSD_
                                        ; -- End function
	.set _ZN7rocprim17ROCPRIM_400000_NS6detail17trampoline_kernelINS0_14default_configENS1_35radix_sort_onesweep_config_selectorIiNS0_10empty_typeEEEZNS1_34radix_sort_onesweep_global_offsetsIS3_Lb1EPKiPS5_mNS0_19identity_decomposerEEE10hipError_tT1_T2_PT3_SF_jT4_jjP12ihipStream_tbEUlT_E_NS1_11comp_targetILNS1_3genE4ELNS1_11target_archE910ELNS1_3gpuE8ELNS1_3repE0EEENS1_52radix_sort_onesweep_histogram_config_static_selectorELNS0_4arch9wavefront6targetE0EEEvSD_.num_vgpr, 0
	.set _ZN7rocprim17ROCPRIM_400000_NS6detail17trampoline_kernelINS0_14default_configENS1_35radix_sort_onesweep_config_selectorIiNS0_10empty_typeEEEZNS1_34radix_sort_onesweep_global_offsetsIS3_Lb1EPKiPS5_mNS0_19identity_decomposerEEE10hipError_tT1_T2_PT3_SF_jT4_jjP12ihipStream_tbEUlT_E_NS1_11comp_targetILNS1_3genE4ELNS1_11target_archE910ELNS1_3gpuE8ELNS1_3repE0EEENS1_52radix_sort_onesweep_histogram_config_static_selectorELNS0_4arch9wavefront6targetE0EEEvSD_.num_agpr, 0
	.set _ZN7rocprim17ROCPRIM_400000_NS6detail17trampoline_kernelINS0_14default_configENS1_35radix_sort_onesweep_config_selectorIiNS0_10empty_typeEEEZNS1_34radix_sort_onesweep_global_offsetsIS3_Lb1EPKiPS5_mNS0_19identity_decomposerEEE10hipError_tT1_T2_PT3_SF_jT4_jjP12ihipStream_tbEUlT_E_NS1_11comp_targetILNS1_3genE4ELNS1_11target_archE910ELNS1_3gpuE8ELNS1_3repE0EEENS1_52radix_sort_onesweep_histogram_config_static_selectorELNS0_4arch9wavefront6targetE0EEEvSD_.numbered_sgpr, 0
	.set _ZN7rocprim17ROCPRIM_400000_NS6detail17trampoline_kernelINS0_14default_configENS1_35radix_sort_onesweep_config_selectorIiNS0_10empty_typeEEEZNS1_34radix_sort_onesweep_global_offsetsIS3_Lb1EPKiPS5_mNS0_19identity_decomposerEEE10hipError_tT1_T2_PT3_SF_jT4_jjP12ihipStream_tbEUlT_E_NS1_11comp_targetILNS1_3genE4ELNS1_11target_archE910ELNS1_3gpuE8ELNS1_3repE0EEENS1_52radix_sort_onesweep_histogram_config_static_selectorELNS0_4arch9wavefront6targetE0EEEvSD_.num_named_barrier, 0
	.set _ZN7rocprim17ROCPRIM_400000_NS6detail17trampoline_kernelINS0_14default_configENS1_35radix_sort_onesweep_config_selectorIiNS0_10empty_typeEEEZNS1_34radix_sort_onesweep_global_offsetsIS3_Lb1EPKiPS5_mNS0_19identity_decomposerEEE10hipError_tT1_T2_PT3_SF_jT4_jjP12ihipStream_tbEUlT_E_NS1_11comp_targetILNS1_3genE4ELNS1_11target_archE910ELNS1_3gpuE8ELNS1_3repE0EEENS1_52radix_sort_onesweep_histogram_config_static_selectorELNS0_4arch9wavefront6targetE0EEEvSD_.private_seg_size, 0
	.set _ZN7rocprim17ROCPRIM_400000_NS6detail17trampoline_kernelINS0_14default_configENS1_35radix_sort_onesweep_config_selectorIiNS0_10empty_typeEEEZNS1_34radix_sort_onesweep_global_offsetsIS3_Lb1EPKiPS5_mNS0_19identity_decomposerEEE10hipError_tT1_T2_PT3_SF_jT4_jjP12ihipStream_tbEUlT_E_NS1_11comp_targetILNS1_3genE4ELNS1_11target_archE910ELNS1_3gpuE8ELNS1_3repE0EEENS1_52radix_sort_onesweep_histogram_config_static_selectorELNS0_4arch9wavefront6targetE0EEEvSD_.uses_vcc, 0
	.set _ZN7rocprim17ROCPRIM_400000_NS6detail17trampoline_kernelINS0_14default_configENS1_35radix_sort_onesweep_config_selectorIiNS0_10empty_typeEEEZNS1_34radix_sort_onesweep_global_offsetsIS3_Lb1EPKiPS5_mNS0_19identity_decomposerEEE10hipError_tT1_T2_PT3_SF_jT4_jjP12ihipStream_tbEUlT_E_NS1_11comp_targetILNS1_3genE4ELNS1_11target_archE910ELNS1_3gpuE8ELNS1_3repE0EEENS1_52radix_sort_onesweep_histogram_config_static_selectorELNS0_4arch9wavefront6targetE0EEEvSD_.uses_flat_scratch, 0
	.set _ZN7rocprim17ROCPRIM_400000_NS6detail17trampoline_kernelINS0_14default_configENS1_35radix_sort_onesweep_config_selectorIiNS0_10empty_typeEEEZNS1_34radix_sort_onesweep_global_offsetsIS3_Lb1EPKiPS5_mNS0_19identity_decomposerEEE10hipError_tT1_T2_PT3_SF_jT4_jjP12ihipStream_tbEUlT_E_NS1_11comp_targetILNS1_3genE4ELNS1_11target_archE910ELNS1_3gpuE8ELNS1_3repE0EEENS1_52radix_sort_onesweep_histogram_config_static_selectorELNS0_4arch9wavefront6targetE0EEEvSD_.has_dyn_sized_stack, 0
	.set _ZN7rocprim17ROCPRIM_400000_NS6detail17trampoline_kernelINS0_14default_configENS1_35radix_sort_onesweep_config_selectorIiNS0_10empty_typeEEEZNS1_34radix_sort_onesweep_global_offsetsIS3_Lb1EPKiPS5_mNS0_19identity_decomposerEEE10hipError_tT1_T2_PT3_SF_jT4_jjP12ihipStream_tbEUlT_E_NS1_11comp_targetILNS1_3genE4ELNS1_11target_archE910ELNS1_3gpuE8ELNS1_3repE0EEENS1_52radix_sort_onesweep_histogram_config_static_selectorELNS0_4arch9wavefront6targetE0EEEvSD_.has_recursion, 0
	.set _ZN7rocprim17ROCPRIM_400000_NS6detail17trampoline_kernelINS0_14default_configENS1_35radix_sort_onesweep_config_selectorIiNS0_10empty_typeEEEZNS1_34radix_sort_onesweep_global_offsetsIS3_Lb1EPKiPS5_mNS0_19identity_decomposerEEE10hipError_tT1_T2_PT3_SF_jT4_jjP12ihipStream_tbEUlT_E_NS1_11comp_targetILNS1_3genE4ELNS1_11target_archE910ELNS1_3gpuE8ELNS1_3repE0EEENS1_52radix_sort_onesweep_histogram_config_static_selectorELNS0_4arch9wavefront6targetE0EEEvSD_.has_indirect_call, 0
	.section	.AMDGPU.csdata,"",@progbits
; Kernel info:
; codeLenInByte = 0
; TotalNumSgprs: 0
; NumVgprs: 0
; ScratchSize: 0
; MemoryBound: 0
; FloatMode: 240
; IeeeMode: 1
; LDSByteSize: 0 bytes/workgroup (compile time only)
; SGPRBlocks: 0
; VGPRBlocks: 0
; NumSGPRsForWavesPerEU: 1
; NumVGPRsForWavesPerEU: 1
; NamedBarCnt: 0
; Occupancy: 16
; WaveLimiterHint : 0
; COMPUTE_PGM_RSRC2:SCRATCH_EN: 0
; COMPUTE_PGM_RSRC2:USER_SGPR: 2
; COMPUTE_PGM_RSRC2:TRAP_HANDLER: 0
; COMPUTE_PGM_RSRC2:TGID_X_EN: 1
; COMPUTE_PGM_RSRC2:TGID_Y_EN: 0
; COMPUTE_PGM_RSRC2:TGID_Z_EN: 0
; COMPUTE_PGM_RSRC2:TIDIG_COMP_CNT: 0
	.section	.text._ZN7rocprim17ROCPRIM_400000_NS6detail17trampoline_kernelINS0_14default_configENS1_35radix_sort_onesweep_config_selectorIiNS0_10empty_typeEEEZNS1_34radix_sort_onesweep_global_offsetsIS3_Lb1EPKiPS5_mNS0_19identity_decomposerEEE10hipError_tT1_T2_PT3_SF_jT4_jjP12ihipStream_tbEUlT_E_NS1_11comp_targetILNS1_3genE3ELNS1_11target_archE908ELNS1_3gpuE7ELNS1_3repE0EEENS1_52radix_sort_onesweep_histogram_config_static_selectorELNS0_4arch9wavefront6targetE0EEEvSD_,"axG",@progbits,_ZN7rocprim17ROCPRIM_400000_NS6detail17trampoline_kernelINS0_14default_configENS1_35radix_sort_onesweep_config_selectorIiNS0_10empty_typeEEEZNS1_34radix_sort_onesweep_global_offsetsIS3_Lb1EPKiPS5_mNS0_19identity_decomposerEEE10hipError_tT1_T2_PT3_SF_jT4_jjP12ihipStream_tbEUlT_E_NS1_11comp_targetILNS1_3genE3ELNS1_11target_archE908ELNS1_3gpuE7ELNS1_3repE0EEENS1_52radix_sort_onesweep_histogram_config_static_selectorELNS0_4arch9wavefront6targetE0EEEvSD_,comdat
	.protected	_ZN7rocprim17ROCPRIM_400000_NS6detail17trampoline_kernelINS0_14default_configENS1_35radix_sort_onesweep_config_selectorIiNS0_10empty_typeEEEZNS1_34radix_sort_onesweep_global_offsetsIS3_Lb1EPKiPS5_mNS0_19identity_decomposerEEE10hipError_tT1_T2_PT3_SF_jT4_jjP12ihipStream_tbEUlT_E_NS1_11comp_targetILNS1_3genE3ELNS1_11target_archE908ELNS1_3gpuE7ELNS1_3repE0EEENS1_52radix_sort_onesweep_histogram_config_static_selectorELNS0_4arch9wavefront6targetE0EEEvSD_ ; -- Begin function _ZN7rocprim17ROCPRIM_400000_NS6detail17trampoline_kernelINS0_14default_configENS1_35radix_sort_onesweep_config_selectorIiNS0_10empty_typeEEEZNS1_34radix_sort_onesweep_global_offsetsIS3_Lb1EPKiPS5_mNS0_19identity_decomposerEEE10hipError_tT1_T2_PT3_SF_jT4_jjP12ihipStream_tbEUlT_E_NS1_11comp_targetILNS1_3genE3ELNS1_11target_archE908ELNS1_3gpuE7ELNS1_3repE0EEENS1_52radix_sort_onesweep_histogram_config_static_selectorELNS0_4arch9wavefront6targetE0EEEvSD_
	.globl	_ZN7rocprim17ROCPRIM_400000_NS6detail17trampoline_kernelINS0_14default_configENS1_35radix_sort_onesweep_config_selectorIiNS0_10empty_typeEEEZNS1_34radix_sort_onesweep_global_offsetsIS3_Lb1EPKiPS5_mNS0_19identity_decomposerEEE10hipError_tT1_T2_PT3_SF_jT4_jjP12ihipStream_tbEUlT_E_NS1_11comp_targetILNS1_3genE3ELNS1_11target_archE908ELNS1_3gpuE7ELNS1_3repE0EEENS1_52radix_sort_onesweep_histogram_config_static_selectorELNS0_4arch9wavefront6targetE0EEEvSD_
	.p2align	8
	.type	_ZN7rocprim17ROCPRIM_400000_NS6detail17trampoline_kernelINS0_14default_configENS1_35radix_sort_onesweep_config_selectorIiNS0_10empty_typeEEEZNS1_34radix_sort_onesweep_global_offsetsIS3_Lb1EPKiPS5_mNS0_19identity_decomposerEEE10hipError_tT1_T2_PT3_SF_jT4_jjP12ihipStream_tbEUlT_E_NS1_11comp_targetILNS1_3genE3ELNS1_11target_archE908ELNS1_3gpuE7ELNS1_3repE0EEENS1_52radix_sort_onesweep_histogram_config_static_selectorELNS0_4arch9wavefront6targetE0EEEvSD_,@function
_ZN7rocprim17ROCPRIM_400000_NS6detail17trampoline_kernelINS0_14default_configENS1_35radix_sort_onesweep_config_selectorIiNS0_10empty_typeEEEZNS1_34radix_sort_onesweep_global_offsetsIS3_Lb1EPKiPS5_mNS0_19identity_decomposerEEE10hipError_tT1_T2_PT3_SF_jT4_jjP12ihipStream_tbEUlT_E_NS1_11comp_targetILNS1_3genE3ELNS1_11target_archE908ELNS1_3gpuE7ELNS1_3repE0EEENS1_52radix_sort_onesweep_histogram_config_static_selectorELNS0_4arch9wavefront6targetE0EEEvSD_: ; @_ZN7rocprim17ROCPRIM_400000_NS6detail17trampoline_kernelINS0_14default_configENS1_35radix_sort_onesweep_config_selectorIiNS0_10empty_typeEEEZNS1_34radix_sort_onesweep_global_offsetsIS3_Lb1EPKiPS5_mNS0_19identity_decomposerEEE10hipError_tT1_T2_PT3_SF_jT4_jjP12ihipStream_tbEUlT_E_NS1_11comp_targetILNS1_3genE3ELNS1_11target_archE908ELNS1_3gpuE7ELNS1_3repE0EEENS1_52radix_sort_onesweep_histogram_config_static_selectorELNS0_4arch9wavefront6targetE0EEEvSD_
; %bb.0:
	.section	.rodata,"a",@progbits
	.p2align	6, 0x0
	.amdhsa_kernel _ZN7rocprim17ROCPRIM_400000_NS6detail17trampoline_kernelINS0_14default_configENS1_35radix_sort_onesweep_config_selectorIiNS0_10empty_typeEEEZNS1_34radix_sort_onesweep_global_offsetsIS3_Lb1EPKiPS5_mNS0_19identity_decomposerEEE10hipError_tT1_T2_PT3_SF_jT4_jjP12ihipStream_tbEUlT_E_NS1_11comp_targetILNS1_3genE3ELNS1_11target_archE908ELNS1_3gpuE7ELNS1_3repE0EEENS1_52radix_sort_onesweep_histogram_config_static_selectorELNS0_4arch9wavefront6targetE0EEEvSD_
		.amdhsa_group_segment_fixed_size 0
		.amdhsa_private_segment_fixed_size 0
		.amdhsa_kernarg_size 48
		.amdhsa_user_sgpr_count 2
		.amdhsa_user_sgpr_dispatch_ptr 0
		.amdhsa_user_sgpr_queue_ptr 0
		.amdhsa_user_sgpr_kernarg_segment_ptr 1
		.amdhsa_user_sgpr_dispatch_id 0
		.amdhsa_user_sgpr_kernarg_preload_length 0
		.amdhsa_user_sgpr_kernarg_preload_offset 0
		.amdhsa_user_sgpr_private_segment_size 0
		.amdhsa_wavefront_size32 1
		.amdhsa_uses_dynamic_stack 0
		.amdhsa_enable_private_segment 0
		.amdhsa_system_sgpr_workgroup_id_x 1
		.amdhsa_system_sgpr_workgroup_id_y 0
		.amdhsa_system_sgpr_workgroup_id_z 0
		.amdhsa_system_sgpr_workgroup_info 0
		.amdhsa_system_vgpr_workitem_id 0
		.amdhsa_next_free_vgpr 1
		.amdhsa_next_free_sgpr 1
		.amdhsa_named_barrier_count 0
		.amdhsa_reserve_vcc 0
		.amdhsa_float_round_mode_32 0
		.amdhsa_float_round_mode_16_64 0
		.amdhsa_float_denorm_mode_32 3
		.amdhsa_float_denorm_mode_16_64 3
		.amdhsa_fp16_overflow 0
		.amdhsa_memory_ordered 1
		.amdhsa_forward_progress 1
		.amdhsa_inst_pref_size 0
		.amdhsa_round_robin_scheduling 0
		.amdhsa_exception_fp_ieee_invalid_op 0
		.amdhsa_exception_fp_denorm_src 0
		.amdhsa_exception_fp_ieee_div_zero 0
		.amdhsa_exception_fp_ieee_overflow 0
		.amdhsa_exception_fp_ieee_underflow 0
		.amdhsa_exception_fp_ieee_inexact 0
		.amdhsa_exception_int_div_zero 0
	.end_amdhsa_kernel
	.section	.text._ZN7rocprim17ROCPRIM_400000_NS6detail17trampoline_kernelINS0_14default_configENS1_35radix_sort_onesweep_config_selectorIiNS0_10empty_typeEEEZNS1_34radix_sort_onesweep_global_offsetsIS3_Lb1EPKiPS5_mNS0_19identity_decomposerEEE10hipError_tT1_T2_PT3_SF_jT4_jjP12ihipStream_tbEUlT_E_NS1_11comp_targetILNS1_3genE3ELNS1_11target_archE908ELNS1_3gpuE7ELNS1_3repE0EEENS1_52radix_sort_onesweep_histogram_config_static_selectorELNS0_4arch9wavefront6targetE0EEEvSD_,"axG",@progbits,_ZN7rocprim17ROCPRIM_400000_NS6detail17trampoline_kernelINS0_14default_configENS1_35radix_sort_onesweep_config_selectorIiNS0_10empty_typeEEEZNS1_34radix_sort_onesweep_global_offsetsIS3_Lb1EPKiPS5_mNS0_19identity_decomposerEEE10hipError_tT1_T2_PT3_SF_jT4_jjP12ihipStream_tbEUlT_E_NS1_11comp_targetILNS1_3genE3ELNS1_11target_archE908ELNS1_3gpuE7ELNS1_3repE0EEENS1_52radix_sort_onesweep_histogram_config_static_selectorELNS0_4arch9wavefront6targetE0EEEvSD_,comdat
.Lfunc_end828:
	.size	_ZN7rocprim17ROCPRIM_400000_NS6detail17trampoline_kernelINS0_14default_configENS1_35radix_sort_onesweep_config_selectorIiNS0_10empty_typeEEEZNS1_34radix_sort_onesweep_global_offsetsIS3_Lb1EPKiPS5_mNS0_19identity_decomposerEEE10hipError_tT1_T2_PT3_SF_jT4_jjP12ihipStream_tbEUlT_E_NS1_11comp_targetILNS1_3genE3ELNS1_11target_archE908ELNS1_3gpuE7ELNS1_3repE0EEENS1_52radix_sort_onesweep_histogram_config_static_selectorELNS0_4arch9wavefront6targetE0EEEvSD_, .Lfunc_end828-_ZN7rocprim17ROCPRIM_400000_NS6detail17trampoline_kernelINS0_14default_configENS1_35radix_sort_onesweep_config_selectorIiNS0_10empty_typeEEEZNS1_34radix_sort_onesweep_global_offsetsIS3_Lb1EPKiPS5_mNS0_19identity_decomposerEEE10hipError_tT1_T2_PT3_SF_jT4_jjP12ihipStream_tbEUlT_E_NS1_11comp_targetILNS1_3genE3ELNS1_11target_archE908ELNS1_3gpuE7ELNS1_3repE0EEENS1_52radix_sort_onesweep_histogram_config_static_selectorELNS0_4arch9wavefront6targetE0EEEvSD_
                                        ; -- End function
	.set _ZN7rocprim17ROCPRIM_400000_NS6detail17trampoline_kernelINS0_14default_configENS1_35radix_sort_onesweep_config_selectorIiNS0_10empty_typeEEEZNS1_34radix_sort_onesweep_global_offsetsIS3_Lb1EPKiPS5_mNS0_19identity_decomposerEEE10hipError_tT1_T2_PT3_SF_jT4_jjP12ihipStream_tbEUlT_E_NS1_11comp_targetILNS1_3genE3ELNS1_11target_archE908ELNS1_3gpuE7ELNS1_3repE0EEENS1_52radix_sort_onesweep_histogram_config_static_selectorELNS0_4arch9wavefront6targetE0EEEvSD_.num_vgpr, 0
	.set _ZN7rocprim17ROCPRIM_400000_NS6detail17trampoline_kernelINS0_14default_configENS1_35radix_sort_onesweep_config_selectorIiNS0_10empty_typeEEEZNS1_34radix_sort_onesweep_global_offsetsIS3_Lb1EPKiPS5_mNS0_19identity_decomposerEEE10hipError_tT1_T2_PT3_SF_jT4_jjP12ihipStream_tbEUlT_E_NS1_11comp_targetILNS1_3genE3ELNS1_11target_archE908ELNS1_3gpuE7ELNS1_3repE0EEENS1_52radix_sort_onesweep_histogram_config_static_selectorELNS0_4arch9wavefront6targetE0EEEvSD_.num_agpr, 0
	.set _ZN7rocprim17ROCPRIM_400000_NS6detail17trampoline_kernelINS0_14default_configENS1_35radix_sort_onesweep_config_selectorIiNS0_10empty_typeEEEZNS1_34radix_sort_onesweep_global_offsetsIS3_Lb1EPKiPS5_mNS0_19identity_decomposerEEE10hipError_tT1_T2_PT3_SF_jT4_jjP12ihipStream_tbEUlT_E_NS1_11comp_targetILNS1_3genE3ELNS1_11target_archE908ELNS1_3gpuE7ELNS1_3repE0EEENS1_52radix_sort_onesweep_histogram_config_static_selectorELNS0_4arch9wavefront6targetE0EEEvSD_.numbered_sgpr, 0
	.set _ZN7rocprim17ROCPRIM_400000_NS6detail17trampoline_kernelINS0_14default_configENS1_35radix_sort_onesweep_config_selectorIiNS0_10empty_typeEEEZNS1_34radix_sort_onesweep_global_offsetsIS3_Lb1EPKiPS5_mNS0_19identity_decomposerEEE10hipError_tT1_T2_PT3_SF_jT4_jjP12ihipStream_tbEUlT_E_NS1_11comp_targetILNS1_3genE3ELNS1_11target_archE908ELNS1_3gpuE7ELNS1_3repE0EEENS1_52radix_sort_onesweep_histogram_config_static_selectorELNS0_4arch9wavefront6targetE0EEEvSD_.num_named_barrier, 0
	.set _ZN7rocprim17ROCPRIM_400000_NS6detail17trampoline_kernelINS0_14default_configENS1_35radix_sort_onesweep_config_selectorIiNS0_10empty_typeEEEZNS1_34radix_sort_onesweep_global_offsetsIS3_Lb1EPKiPS5_mNS0_19identity_decomposerEEE10hipError_tT1_T2_PT3_SF_jT4_jjP12ihipStream_tbEUlT_E_NS1_11comp_targetILNS1_3genE3ELNS1_11target_archE908ELNS1_3gpuE7ELNS1_3repE0EEENS1_52radix_sort_onesweep_histogram_config_static_selectorELNS0_4arch9wavefront6targetE0EEEvSD_.private_seg_size, 0
	.set _ZN7rocprim17ROCPRIM_400000_NS6detail17trampoline_kernelINS0_14default_configENS1_35radix_sort_onesweep_config_selectorIiNS0_10empty_typeEEEZNS1_34radix_sort_onesweep_global_offsetsIS3_Lb1EPKiPS5_mNS0_19identity_decomposerEEE10hipError_tT1_T2_PT3_SF_jT4_jjP12ihipStream_tbEUlT_E_NS1_11comp_targetILNS1_3genE3ELNS1_11target_archE908ELNS1_3gpuE7ELNS1_3repE0EEENS1_52radix_sort_onesweep_histogram_config_static_selectorELNS0_4arch9wavefront6targetE0EEEvSD_.uses_vcc, 0
	.set _ZN7rocprim17ROCPRIM_400000_NS6detail17trampoline_kernelINS0_14default_configENS1_35radix_sort_onesweep_config_selectorIiNS0_10empty_typeEEEZNS1_34radix_sort_onesweep_global_offsetsIS3_Lb1EPKiPS5_mNS0_19identity_decomposerEEE10hipError_tT1_T2_PT3_SF_jT4_jjP12ihipStream_tbEUlT_E_NS1_11comp_targetILNS1_3genE3ELNS1_11target_archE908ELNS1_3gpuE7ELNS1_3repE0EEENS1_52radix_sort_onesweep_histogram_config_static_selectorELNS0_4arch9wavefront6targetE0EEEvSD_.uses_flat_scratch, 0
	.set _ZN7rocprim17ROCPRIM_400000_NS6detail17trampoline_kernelINS0_14default_configENS1_35radix_sort_onesweep_config_selectorIiNS0_10empty_typeEEEZNS1_34radix_sort_onesweep_global_offsetsIS3_Lb1EPKiPS5_mNS0_19identity_decomposerEEE10hipError_tT1_T2_PT3_SF_jT4_jjP12ihipStream_tbEUlT_E_NS1_11comp_targetILNS1_3genE3ELNS1_11target_archE908ELNS1_3gpuE7ELNS1_3repE0EEENS1_52radix_sort_onesweep_histogram_config_static_selectorELNS0_4arch9wavefront6targetE0EEEvSD_.has_dyn_sized_stack, 0
	.set _ZN7rocprim17ROCPRIM_400000_NS6detail17trampoline_kernelINS0_14default_configENS1_35radix_sort_onesweep_config_selectorIiNS0_10empty_typeEEEZNS1_34radix_sort_onesweep_global_offsetsIS3_Lb1EPKiPS5_mNS0_19identity_decomposerEEE10hipError_tT1_T2_PT3_SF_jT4_jjP12ihipStream_tbEUlT_E_NS1_11comp_targetILNS1_3genE3ELNS1_11target_archE908ELNS1_3gpuE7ELNS1_3repE0EEENS1_52radix_sort_onesweep_histogram_config_static_selectorELNS0_4arch9wavefront6targetE0EEEvSD_.has_recursion, 0
	.set _ZN7rocprim17ROCPRIM_400000_NS6detail17trampoline_kernelINS0_14default_configENS1_35radix_sort_onesweep_config_selectorIiNS0_10empty_typeEEEZNS1_34radix_sort_onesweep_global_offsetsIS3_Lb1EPKiPS5_mNS0_19identity_decomposerEEE10hipError_tT1_T2_PT3_SF_jT4_jjP12ihipStream_tbEUlT_E_NS1_11comp_targetILNS1_3genE3ELNS1_11target_archE908ELNS1_3gpuE7ELNS1_3repE0EEENS1_52radix_sort_onesweep_histogram_config_static_selectorELNS0_4arch9wavefront6targetE0EEEvSD_.has_indirect_call, 0
	.section	.AMDGPU.csdata,"",@progbits
; Kernel info:
; codeLenInByte = 0
; TotalNumSgprs: 0
; NumVgprs: 0
; ScratchSize: 0
; MemoryBound: 0
; FloatMode: 240
; IeeeMode: 1
; LDSByteSize: 0 bytes/workgroup (compile time only)
; SGPRBlocks: 0
; VGPRBlocks: 0
; NumSGPRsForWavesPerEU: 1
; NumVGPRsForWavesPerEU: 1
; NamedBarCnt: 0
; Occupancy: 16
; WaveLimiterHint : 0
; COMPUTE_PGM_RSRC2:SCRATCH_EN: 0
; COMPUTE_PGM_RSRC2:USER_SGPR: 2
; COMPUTE_PGM_RSRC2:TRAP_HANDLER: 0
; COMPUTE_PGM_RSRC2:TGID_X_EN: 1
; COMPUTE_PGM_RSRC2:TGID_Y_EN: 0
; COMPUTE_PGM_RSRC2:TGID_Z_EN: 0
; COMPUTE_PGM_RSRC2:TIDIG_COMP_CNT: 0
	.section	.text._ZN7rocprim17ROCPRIM_400000_NS6detail17trampoline_kernelINS0_14default_configENS1_35radix_sort_onesweep_config_selectorIiNS0_10empty_typeEEEZNS1_34radix_sort_onesweep_global_offsetsIS3_Lb1EPKiPS5_mNS0_19identity_decomposerEEE10hipError_tT1_T2_PT3_SF_jT4_jjP12ihipStream_tbEUlT_E_NS1_11comp_targetILNS1_3genE10ELNS1_11target_archE1201ELNS1_3gpuE5ELNS1_3repE0EEENS1_52radix_sort_onesweep_histogram_config_static_selectorELNS0_4arch9wavefront6targetE0EEEvSD_,"axG",@progbits,_ZN7rocprim17ROCPRIM_400000_NS6detail17trampoline_kernelINS0_14default_configENS1_35radix_sort_onesweep_config_selectorIiNS0_10empty_typeEEEZNS1_34radix_sort_onesweep_global_offsetsIS3_Lb1EPKiPS5_mNS0_19identity_decomposerEEE10hipError_tT1_T2_PT3_SF_jT4_jjP12ihipStream_tbEUlT_E_NS1_11comp_targetILNS1_3genE10ELNS1_11target_archE1201ELNS1_3gpuE5ELNS1_3repE0EEENS1_52radix_sort_onesweep_histogram_config_static_selectorELNS0_4arch9wavefront6targetE0EEEvSD_,comdat
	.protected	_ZN7rocprim17ROCPRIM_400000_NS6detail17trampoline_kernelINS0_14default_configENS1_35radix_sort_onesweep_config_selectorIiNS0_10empty_typeEEEZNS1_34radix_sort_onesweep_global_offsetsIS3_Lb1EPKiPS5_mNS0_19identity_decomposerEEE10hipError_tT1_T2_PT3_SF_jT4_jjP12ihipStream_tbEUlT_E_NS1_11comp_targetILNS1_3genE10ELNS1_11target_archE1201ELNS1_3gpuE5ELNS1_3repE0EEENS1_52radix_sort_onesweep_histogram_config_static_selectorELNS0_4arch9wavefront6targetE0EEEvSD_ ; -- Begin function _ZN7rocprim17ROCPRIM_400000_NS6detail17trampoline_kernelINS0_14default_configENS1_35radix_sort_onesweep_config_selectorIiNS0_10empty_typeEEEZNS1_34radix_sort_onesweep_global_offsetsIS3_Lb1EPKiPS5_mNS0_19identity_decomposerEEE10hipError_tT1_T2_PT3_SF_jT4_jjP12ihipStream_tbEUlT_E_NS1_11comp_targetILNS1_3genE10ELNS1_11target_archE1201ELNS1_3gpuE5ELNS1_3repE0EEENS1_52radix_sort_onesweep_histogram_config_static_selectorELNS0_4arch9wavefront6targetE0EEEvSD_
	.globl	_ZN7rocprim17ROCPRIM_400000_NS6detail17trampoline_kernelINS0_14default_configENS1_35radix_sort_onesweep_config_selectorIiNS0_10empty_typeEEEZNS1_34radix_sort_onesweep_global_offsetsIS3_Lb1EPKiPS5_mNS0_19identity_decomposerEEE10hipError_tT1_T2_PT3_SF_jT4_jjP12ihipStream_tbEUlT_E_NS1_11comp_targetILNS1_3genE10ELNS1_11target_archE1201ELNS1_3gpuE5ELNS1_3repE0EEENS1_52radix_sort_onesweep_histogram_config_static_selectorELNS0_4arch9wavefront6targetE0EEEvSD_
	.p2align	8
	.type	_ZN7rocprim17ROCPRIM_400000_NS6detail17trampoline_kernelINS0_14default_configENS1_35radix_sort_onesweep_config_selectorIiNS0_10empty_typeEEEZNS1_34radix_sort_onesweep_global_offsetsIS3_Lb1EPKiPS5_mNS0_19identity_decomposerEEE10hipError_tT1_T2_PT3_SF_jT4_jjP12ihipStream_tbEUlT_E_NS1_11comp_targetILNS1_3genE10ELNS1_11target_archE1201ELNS1_3gpuE5ELNS1_3repE0EEENS1_52radix_sort_onesweep_histogram_config_static_selectorELNS0_4arch9wavefront6targetE0EEEvSD_,@function
_ZN7rocprim17ROCPRIM_400000_NS6detail17trampoline_kernelINS0_14default_configENS1_35radix_sort_onesweep_config_selectorIiNS0_10empty_typeEEEZNS1_34radix_sort_onesweep_global_offsetsIS3_Lb1EPKiPS5_mNS0_19identity_decomposerEEE10hipError_tT1_T2_PT3_SF_jT4_jjP12ihipStream_tbEUlT_E_NS1_11comp_targetILNS1_3genE10ELNS1_11target_archE1201ELNS1_3gpuE5ELNS1_3repE0EEENS1_52radix_sort_onesweep_histogram_config_static_selectorELNS0_4arch9wavefront6targetE0EEEvSD_: ; @_ZN7rocprim17ROCPRIM_400000_NS6detail17trampoline_kernelINS0_14default_configENS1_35radix_sort_onesweep_config_selectorIiNS0_10empty_typeEEEZNS1_34radix_sort_onesweep_global_offsetsIS3_Lb1EPKiPS5_mNS0_19identity_decomposerEEE10hipError_tT1_T2_PT3_SF_jT4_jjP12ihipStream_tbEUlT_E_NS1_11comp_targetILNS1_3genE10ELNS1_11target_archE1201ELNS1_3gpuE5ELNS1_3repE0EEENS1_52radix_sort_onesweep_histogram_config_static_selectorELNS0_4arch9wavefront6targetE0EEEvSD_
; %bb.0:
	.section	.rodata,"a",@progbits
	.p2align	6, 0x0
	.amdhsa_kernel _ZN7rocprim17ROCPRIM_400000_NS6detail17trampoline_kernelINS0_14default_configENS1_35radix_sort_onesweep_config_selectorIiNS0_10empty_typeEEEZNS1_34radix_sort_onesweep_global_offsetsIS3_Lb1EPKiPS5_mNS0_19identity_decomposerEEE10hipError_tT1_T2_PT3_SF_jT4_jjP12ihipStream_tbEUlT_E_NS1_11comp_targetILNS1_3genE10ELNS1_11target_archE1201ELNS1_3gpuE5ELNS1_3repE0EEENS1_52radix_sort_onesweep_histogram_config_static_selectorELNS0_4arch9wavefront6targetE0EEEvSD_
		.amdhsa_group_segment_fixed_size 0
		.amdhsa_private_segment_fixed_size 0
		.amdhsa_kernarg_size 48
		.amdhsa_user_sgpr_count 2
		.amdhsa_user_sgpr_dispatch_ptr 0
		.amdhsa_user_sgpr_queue_ptr 0
		.amdhsa_user_sgpr_kernarg_segment_ptr 1
		.amdhsa_user_sgpr_dispatch_id 0
		.amdhsa_user_sgpr_kernarg_preload_length 0
		.amdhsa_user_sgpr_kernarg_preload_offset 0
		.amdhsa_user_sgpr_private_segment_size 0
		.amdhsa_wavefront_size32 1
		.amdhsa_uses_dynamic_stack 0
		.amdhsa_enable_private_segment 0
		.amdhsa_system_sgpr_workgroup_id_x 1
		.amdhsa_system_sgpr_workgroup_id_y 0
		.amdhsa_system_sgpr_workgroup_id_z 0
		.amdhsa_system_sgpr_workgroup_info 0
		.amdhsa_system_vgpr_workitem_id 0
		.amdhsa_next_free_vgpr 1
		.amdhsa_next_free_sgpr 1
		.amdhsa_named_barrier_count 0
		.amdhsa_reserve_vcc 0
		.amdhsa_float_round_mode_32 0
		.amdhsa_float_round_mode_16_64 0
		.amdhsa_float_denorm_mode_32 3
		.amdhsa_float_denorm_mode_16_64 3
		.amdhsa_fp16_overflow 0
		.amdhsa_memory_ordered 1
		.amdhsa_forward_progress 1
		.amdhsa_inst_pref_size 0
		.amdhsa_round_robin_scheduling 0
		.amdhsa_exception_fp_ieee_invalid_op 0
		.amdhsa_exception_fp_denorm_src 0
		.amdhsa_exception_fp_ieee_div_zero 0
		.amdhsa_exception_fp_ieee_overflow 0
		.amdhsa_exception_fp_ieee_underflow 0
		.amdhsa_exception_fp_ieee_inexact 0
		.amdhsa_exception_int_div_zero 0
	.end_amdhsa_kernel
	.section	.text._ZN7rocprim17ROCPRIM_400000_NS6detail17trampoline_kernelINS0_14default_configENS1_35radix_sort_onesweep_config_selectorIiNS0_10empty_typeEEEZNS1_34radix_sort_onesweep_global_offsetsIS3_Lb1EPKiPS5_mNS0_19identity_decomposerEEE10hipError_tT1_T2_PT3_SF_jT4_jjP12ihipStream_tbEUlT_E_NS1_11comp_targetILNS1_3genE10ELNS1_11target_archE1201ELNS1_3gpuE5ELNS1_3repE0EEENS1_52radix_sort_onesweep_histogram_config_static_selectorELNS0_4arch9wavefront6targetE0EEEvSD_,"axG",@progbits,_ZN7rocprim17ROCPRIM_400000_NS6detail17trampoline_kernelINS0_14default_configENS1_35radix_sort_onesweep_config_selectorIiNS0_10empty_typeEEEZNS1_34radix_sort_onesweep_global_offsetsIS3_Lb1EPKiPS5_mNS0_19identity_decomposerEEE10hipError_tT1_T2_PT3_SF_jT4_jjP12ihipStream_tbEUlT_E_NS1_11comp_targetILNS1_3genE10ELNS1_11target_archE1201ELNS1_3gpuE5ELNS1_3repE0EEENS1_52radix_sort_onesweep_histogram_config_static_selectorELNS0_4arch9wavefront6targetE0EEEvSD_,comdat
.Lfunc_end829:
	.size	_ZN7rocprim17ROCPRIM_400000_NS6detail17trampoline_kernelINS0_14default_configENS1_35radix_sort_onesweep_config_selectorIiNS0_10empty_typeEEEZNS1_34radix_sort_onesweep_global_offsetsIS3_Lb1EPKiPS5_mNS0_19identity_decomposerEEE10hipError_tT1_T2_PT3_SF_jT4_jjP12ihipStream_tbEUlT_E_NS1_11comp_targetILNS1_3genE10ELNS1_11target_archE1201ELNS1_3gpuE5ELNS1_3repE0EEENS1_52radix_sort_onesweep_histogram_config_static_selectorELNS0_4arch9wavefront6targetE0EEEvSD_, .Lfunc_end829-_ZN7rocprim17ROCPRIM_400000_NS6detail17trampoline_kernelINS0_14default_configENS1_35radix_sort_onesweep_config_selectorIiNS0_10empty_typeEEEZNS1_34radix_sort_onesweep_global_offsetsIS3_Lb1EPKiPS5_mNS0_19identity_decomposerEEE10hipError_tT1_T2_PT3_SF_jT4_jjP12ihipStream_tbEUlT_E_NS1_11comp_targetILNS1_3genE10ELNS1_11target_archE1201ELNS1_3gpuE5ELNS1_3repE0EEENS1_52radix_sort_onesweep_histogram_config_static_selectorELNS0_4arch9wavefront6targetE0EEEvSD_
                                        ; -- End function
	.set _ZN7rocprim17ROCPRIM_400000_NS6detail17trampoline_kernelINS0_14default_configENS1_35radix_sort_onesweep_config_selectorIiNS0_10empty_typeEEEZNS1_34radix_sort_onesweep_global_offsetsIS3_Lb1EPKiPS5_mNS0_19identity_decomposerEEE10hipError_tT1_T2_PT3_SF_jT4_jjP12ihipStream_tbEUlT_E_NS1_11comp_targetILNS1_3genE10ELNS1_11target_archE1201ELNS1_3gpuE5ELNS1_3repE0EEENS1_52radix_sort_onesweep_histogram_config_static_selectorELNS0_4arch9wavefront6targetE0EEEvSD_.num_vgpr, 0
	.set _ZN7rocprim17ROCPRIM_400000_NS6detail17trampoline_kernelINS0_14default_configENS1_35radix_sort_onesweep_config_selectorIiNS0_10empty_typeEEEZNS1_34radix_sort_onesweep_global_offsetsIS3_Lb1EPKiPS5_mNS0_19identity_decomposerEEE10hipError_tT1_T2_PT3_SF_jT4_jjP12ihipStream_tbEUlT_E_NS1_11comp_targetILNS1_3genE10ELNS1_11target_archE1201ELNS1_3gpuE5ELNS1_3repE0EEENS1_52radix_sort_onesweep_histogram_config_static_selectorELNS0_4arch9wavefront6targetE0EEEvSD_.num_agpr, 0
	.set _ZN7rocprim17ROCPRIM_400000_NS6detail17trampoline_kernelINS0_14default_configENS1_35radix_sort_onesweep_config_selectorIiNS0_10empty_typeEEEZNS1_34radix_sort_onesweep_global_offsetsIS3_Lb1EPKiPS5_mNS0_19identity_decomposerEEE10hipError_tT1_T2_PT3_SF_jT4_jjP12ihipStream_tbEUlT_E_NS1_11comp_targetILNS1_3genE10ELNS1_11target_archE1201ELNS1_3gpuE5ELNS1_3repE0EEENS1_52radix_sort_onesweep_histogram_config_static_selectorELNS0_4arch9wavefront6targetE0EEEvSD_.numbered_sgpr, 0
	.set _ZN7rocprim17ROCPRIM_400000_NS6detail17trampoline_kernelINS0_14default_configENS1_35radix_sort_onesweep_config_selectorIiNS0_10empty_typeEEEZNS1_34radix_sort_onesweep_global_offsetsIS3_Lb1EPKiPS5_mNS0_19identity_decomposerEEE10hipError_tT1_T2_PT3_SF_jT4_jjP12ihipStream_tbEUlT_E_NS1_11comp_targetILNS1_3genE10ELNS1_11target_archE1201ELNS1_3gpuE5ELNS1_3repE0EEENS1_52radix_sort_onesweep_histogram_config_static_selectorELNS0_4arch9wavefront6targetE0EEEvSD_.num_named_barrier, 0
	.set _ZN7rocprim17ROCPRIM_400000_NS6detail17trampoline_kernelINS0_14default_configENS1_35radix_sort_onesweep_config_selectorIiNS0_10empty_typeEEEZNS1_34radix_sort_onesweep_global_offsetsIS3_Lb1EPKiPS5_mNS0_19identity_decomposerEEE10hipError_tT1_T2_PT3_SF_jT4_jjP12ihipStream_tbEUlT_E_NS1_11comp_targetILNS1_3genE10ELNS1_11target_archE1201ELNS1_3gpuE5ELNS1_3repE0EEENS1_52radix_sort_onesweep_histogram_config_static_selectorELNS0_4arch9wavefront6targetE0EEEvSD_.private_seg_size, 0
	.set _ZN7rocprim17ROCPRIM_400000_NS6detail17trampoline_kernelINS0_14default_configENS1_35radix_sort_onesweep_config_selectorIiNS0_10empty_typeEEEZNS1_34radix_sort_onesweep_global_offsetsIS3_Lb1EPKiPS5_mNS0_19identity_decomposerEEE10hipError_tT1_T2_PT3_SF_jT4_jjP12ihipStream_tbEUlT_E_NS1_11comp_targetILNS1_3genE10ELNS1_11target_archE1201ELNS1_3gpuE5ELNS1_3repE0EEENS1_52radix_sort_onesweep_histogram_config_static_selectorELNS0_4arch9wavefront6targetE0EEEvSD_.uses_vcc, 0
	.set _ZN7rocprim17ROCPRIM_400000_NS6detail17trampoline_kernelINS0_14default_configENS1_35radix_sort_onesweep_config_selectorIiNS0_10empty_typeEEEZNS1_34radix_sort_onesweep_global_offsetsIS3_Lb1EPKiPS5_mNS0_19identity_decomposerEEE10hipError_tT1_T2_PT3_SF_jT4_jjP12ihipStream_tbEUlT_E_NS1_11comp_targetILNS1_3genE10ELNS1_11target_archE1201ELNS1_3gpuE5ELNS1_3repE0EEENS1_52radix_sort_onesweep_histogram_config_static_selectorELNS0_4arch9wavefront6targetE0EEEvSD_.uses_flat_scratch, 0
	.set _ZN7rocprim17ROCPRIM_400000_NS6detail17trampoline_kernelINS0_14default_configENS1_35radix_sort_onesweep_config_selectorIiNS0_10empty_typeEEEZNS1_34radix_sort_onesweep_global_offsetsIS3_Lb1EPKiPS5_mNS0_19identity_decomposerEEE10hipError_tT1_T2_PT3_SF_jT4_jjP12ihipStream_tbEUlT_E_NS1_11comp_targetILNS1_3genE10ELNS1_11target_archE1201ELNS1_3gpuE5ELNS1_3repE0EEENS1_52radix_sort_onesweep_histogram_config_static_selectorELNS0_4arch9wavefront6targetE0EEEvSD_.has_dyn_sized_stack, 0
	.set _ZN7rocprim17ROCPRIM_400000_NS6detail17trampoline_kernelINS0_14default_configENS1_35radix_sort_onesweep_config_selectorIiNS0_10empty_typeEEEZNS1_34radix_sort_onesweep_global_offsetsIS3_Lb1EPKiPS5_mNS0_19identity_decomposerEEE10hipError_tT1_T2_PT3_SF_jT4_jjP12ihipStream_tbEUlT_E_NS1_11comp_targetILNS1_3genE10ELNS1_11target_archE1201ELNS1_3gpuE5ELNS1_3repE0EEENS1_52radix_sort_onesweep_histogram_config_static_selectorELNS0_4arch9wavefront6targetE0EEEvSD_.has_recursion, 0
	.set _ZN7rocprim17ROCPRIM_400000_NS6detail17trampoline_kernelINS0_14default_configENS1_35radix_sort_onesweep_config_selectorIiNS0_10empty_typeEEEZNS1_34radix_sort_onesweep_global_offsetsIS3_Lb1EPKiPS5_mNS0_19identity_decomposerEEE10hipError_tT1_T2_PT3_SF_jT4_jjP12ihipStream_tbEUlT_E_NS1_11comp_targetILNS1_3genE10ELNS1_11target_archE1201ELNS1_3gpuE5ELNS1_3repE0EEENS1_52radix_sort_onesweep_histogram_config_static_selectorELNS0_4arch9wavefront6targetE0EEEvSD_.has_indirect_call, 0
	.section	.AMDGPU.csdata,"",@progbits
; Kernel info:
; codeLenInByte = 0
; TotalNumSgprs: 0
; NumVgprs: 0
; ScratchSize: 0
; MemoryBound: 0
; FloatMode: 240
; IeeeMode: 1
; LDSByteSize: 0 bytes/workgroup (compile time only)
; SGPRBlocks: 0
; VGPRBlocks: 0
; NumSGPRsForWavesPerEU: 1
; NumVGPRsForWavesPerEU: 1
; NamedBarCnt: 0
; Occupancy: 16
; WaveLimiterHint : 0
; COMPUTE_PGM_RSRC2:SCRATCH_EN: 0
; COMPUTE_PGM_RSRC2:USER_SGPR: 2
; COMPUTE_PGM_RSRC2:TRAP_HANDLER: 0
; COMPUTE_PGM_RSRC2:TGID_X_EN: 1
; COMPUTE_PGM_RSRC2:TGID_Y_EN: 0
; COMPUTE_PGM_RSRC2:TGID_Z_EN: 0
; COMPUTE_PGM_RSRC2:TIDIG_COMP_CNT: 0
	.section	.text._ZN7rocprim17ROCPRIM_400000_NS6detail17trampoline_kernelINS0_14default_configENS1_35radix_sort_onesweep_config_selectorIiNS0_10empty_typeEEEZNS1_34radix_sort_onesweep_global_offsetsIS3_Lb1EPKiPS5_mNS0_19identity_decomposerEEE10hipError_tT1_T2_PT3_SF_jT4_jjP12ihipStream_tbEUlT_E_NS1_11comp_targetILNS1_3genE9ELNS1_11target_archE1100ELNS1_3gpuE3ELNS1_3repE0EEENS1_52radix_sort_onesweep_histogram_config_static_selectorELNS0_4arch9wavefront6targetE0EEEvSD_,"axG",@progbits,_ZN7rocprim17ROCPRIM_400000_NS6detail17trampoline_kernelINS0_14default_configENS1_35radix_sort_onesweep_config_selectorIiNS0_10empty_typeEEEZNS1_34radix_sort_onesweep_global_offsetsIS3_Lb1EPKiPS5_mNS0_19identity_decomposerEEE10hipError_tT1_T2_PT3_SF_jT4_jjP12ihipStream_tbEUlT_E_NS1_11comp_targetILNS1_3genE9ELNS1_11target_archE1100ELNS1_3gpuE3ELNS1_3repE0EEENS1_52radix_sort_onesweep_histogram_config_static_selectorELNS0_4arch9wavefront6targetE0EEEvSD_,comdat
	.protected	_ZN7rocprim17ROCPRIM_400000_NS6detail17trampoline_kernelINS0_14default_configENS1_35radix_sort_onesweep_config_selectorIiNS0_10empty_typeEEEZNS1_34radix_sort_onesweep_global_offsetsIS3_Lb1EPKiPS5_mNS0_19identity_decomposerEEE10hipError_tT1_T2_PT3_SF_jT4_jjP12ihipStream_tbEUlT_E_NS1_11comp_targetILNS1_3genE9ELNS1_11target_archE1100ELNS1_3gpuE3ELNS1_3repE0EEENS1_52radix_sort_onesweep_histogram_config_static_selectorELNS0_4arch9wavefront6targetE0EEEvSD_ ; -- Begin function _ZN7rocprim17ROCPRIM_400000_NS6detail17trampoline_kernelINS0_14default_configENS1_35radix_sort_onesweep_config_selectorIiNS0_10empty_typeEEEZNS1_34radix_sort_onesweep_global_offsetsIS3_Lb1EPKiPS5_mNS0_19identity_decomposerEEE10hipError_tT1_T2_PT3_SF_jT4_jjP12ihipStream_tbEUlT_E_NS1_11comp_targetILNS1_3genE9ELNS1_11target_archE1100ELNS1_3gpuE3ELNS1_3repE0EEENS1_52radix_sort_onesweep_histogram_config_static_selectorELNS0_4arch9wavefront6targetE0EEEvSD_
	.globl	_ZN7rocprim17ROCPRIM_400000_NS6detail17trampoline_kernelINS0_14default_configENS1_35radix_sort_onesweep_config_selectorIiNS0_10empty_typeEEEZNS1_34radix_sort_onesweep_global_offsetsIS3_Lb1EPKiPS5_mNS0_19identity_decomposerEEE10hipError_tT1_T2_PT3_SF_jT4_jjP12ihipStream_tbEUlT_E_NS1_11comp_targetILNS1_3genE9ELNS1_11target_archE1100ELNS1_3gpuE3ELNS1_3repE0EEENS1_52radix_sort_onesweep_histogram_config_static_selectorELNS0_4arch9wavefront6targetE0EEEvSD_
	.p2align	8
	.type	_ZN7rocprim17ROCPRIM_400000_NS6detail17trampoline_kernelINS0_14default_configENS1_35radix_sort_onesweep_config_selectorIiNS0_10empty_typeEEEZNS1_34radix_sort_onesweep_global_offsetsIS3_Lb1EPKiPS5_mNS0_19identity_decomposerEEE10hipError_tT1_T2_PT3_SF_jT4_jjP12ihipStream_tbEUlT_E_NS1_11comp_targetILNS1_3genE9ELNS1_11target_archE1100ELNS1_3gpuE3ELNS1_3repE0EEENS1_52radix_sort_onesweep_histogram_config_static_selectorELNS0_4arch9wavefront6targetE0EEEvSD_,@function
_ZN7rocprim17ROCPRIM_400000_NS6detail17trampoline_kernelINS0_14default_configENS1_35radix_sort_onesweep_config_selectorIiNS0_10empty_typeEEEZNS1_34radix_sort_onesweep_global_offsetsIS3_Lb1EPKiPS5_mNS0_19identity_decomposerEEE10hipError_tT1_T2_PT3_SF_jT4_jjP12ihipStream_tbEUlT_E_NS1_11comp_targetILNS1_3genE9ELNS1_11target_archE1100ELNS1_3gpuE3ELNS1_3repE0EEENS1_52radix_sort_onesweep_histogram_config_static_selectorELNS0_4arch9wavefront6targetE0EEEvSD_: ; @_ZN7rocprim17ROCPRIM_400000_NS6detail17trampoline_kernelINS0_14default_configENS1_35radix_sort_onesweep_config_selectorIiNS0_10empty_typeEEEZNS1_34radix_sort_onesweep_global_offsetsIS3_Lb1EPKiPS5_mNS0_19identity_decomposerEEE10hipError_tT1_T2_PT3_SF_jT4_jjP12ihipStream_tbEUlT_E_NS1_11comp_targetILNS1_3genE9ELNS1_11target_archE1100ELNS1_3gpuE3ELNS1_3repE0EEENS1_52radix_sort_onesweep_histogram_config_static_selectorELNS0_4arch9wavefront6targetE0EEEvSD_
; %bb.0:
	.section	.rodata,"a",@progbits
	.p2align	6, 0x0
	.amdhsa_kernel _ZN7rocprim17ROCPRIM_400000_NS6detail17trampoline_kernelINS0_14default_configENS1_35radix_sort_onesweep_config_selectorIiNS0_10empty_typeEEEZNS1_34radix_sort_onesweep_global_offsetsIS3_Lb1EPKiPS5_mNS0_19identity_decomposerEEE10hipError_tT1_T2_PT3_SF_jT4_jjP12ihipStream_tbEUlT_E_NS1_11comp_targetILNS1_3genE9ELNS1_11target_archE1100ELNS1_3gpuE3ELNS1_3repE0EEENS1_52radix_sort_onesweep_histogram_config_static_selectorELNS0_4arch9wavefront6targetE0EEEvSD_
		.amdhsa_group_segment_fixed_size 0
		.amdhsa_private_segment_fixed_size 0
		.amdhsa_kernarg_size 48
		.amdhsa_user_sgpr_count 2
		.amdhsa_user_sgpr_dispatch_ptr 0
		.amdhsa_user_sgpr_queue_ptr 0
		.amdhsa_user_sgpr_kernarg_segment_ptr 1
		.amdhsa_user_sgpr_dispatch_id 0
		.amdhsa_user_sgpr_kernarg_preload_length 0
		.amdhsa_user_sgpr_kernarg_preload_offset 0
		.amdhsa_user_sgpr_private_segment_size 0
		.amdhsa_wavefront_size32 1
		.amdhsa_uses_dynamic_stack 0
		.amdhsa_enable_private_segment 0
		.amdhsa_system_sgpr_workgroup_id_x 1
		.amdhsa_system_sgpr_workgroup_id_y 0
		.amdhsa_system_sgpr_workgroup_id_z 0
		.amdhsa_system_sgpr_workgroup_info 0
		.amdhsa_system_vgpr_workitem_id 0
		.amdhsa_next_free_vgpr 1
		.amdhsa_next_free_sgpr 1
		.amdhsa_named_barrier_count 0
		.amdhsa_reserve_vcc 0
		.amdhsa_float_round_mode_32 0
		.amdhsa_float_round_mode_16_64 0
		.amdhsa_float_denorm_mode_32 3
		.amdhsa_float_denorm_mode_16_64 3
		.amdhsa_fp16_overflow 0
		.amdhsa_memory_ordered 1
		.amdhsa_forward_progress 1
		.amdhsa_inst_pref_size 0
		.amdhsa_round_robin_scheduling 0
		.amdhsa_exception_fp_ieee_invalid_op 0
		.amdhsa_exception_fp_denorm_src 0
		.amdhsa_exception_fp_ieee_div_zero 0
		.amdhsa_exception_fp_ieee_overflow 0
		.amdhsa_exception_fp_ieee_underflow 0
		.amdhsa_exception_fp_ieee_inexact 0
		.amdhsa_exception_int_div_zero 0
	.end_amdhsa_kernel
	.section	.text._ZN7rocprim17ROCPRIM_400000_NS6detail17trampoline_kernelINS0_14default_configENS1_35radix_sort_onesweep_config_selectorIiNS0_10empty_typeEEEZNS1_34radix_sort_onesweep_global_offsetsIS3_Lb1EPKiPS5_mNS0_19identity_decomposerEEE10hipError_tT1_T2_PT3_SF_jT4_jjP12ihipStream_tbEUlT_E_NS1_11comp_targetILNS1_3genE9ELNS1_11target_archE1100ELNS1_3gpuE3ELNS1_3repE0EEENS1_52radix_sort_onesweep_histogram_config_static_selectorELNS0_4arch9wavefront6targetE0EEEvSD_,"axG",@progbits,_ZN7rocprim17ROCPRIM_400000_NS6detail17trampoline_kernelINS0_14default_configENS1_35radix_sort_onesweep_config_selectorIiNS0_10empty_typeEEEZNS1_34radix_sort_onesweep_global_offsetsIS3_Lb1EPKiPS5_mNS0_19identity_decomposerEEE10hipError_tT1_T2_PT3_SF_jT4_jjP12ihipStream_tbEUlT_E_NS1_11comp_targetILNS1_3genE9ELNS1_11target_archE1100ELNS1_3gpuE3ELNS1_3repE0EEENS1_52radix_sort_onesweep_histogram_config_static_selectorELNS0_4arch9wavefront6targetE0EEEvSD_,comdat
.Lfunc_end830:
	.size	_ZN7rocprim17ROCPRIM_400000_NS6detail17trampoline_kernelINS0_14default_configENS1_35radix_sort_onesweep_config_selectorIiNS0_10empty_typeEEEZNS1_34radix_sort_onesweep_global_offsetsIS3_Lb1EPKiPS5_mNS0_19identity_decomposerEEE10hipError_tT1_T2_PT3_SF_jT4_jjP12ihipStream_tbEUlT_E_NS1_11comp_targetILNS1_3genE9ELNS1_11target_archE1100ELNS1_3gpuE3ELNS1_3repE0EEENS1_52radix_sort_onesweep_histogram_config_static_selectorELNS0_4arch9wavefront6targetE0EEEvSD_, .Lfunc_end830-_ZN7rocprim17ROCPRIM_400000_NS6detail17trampoline_kernelINS0_14default_configENS1_35radix_sort_onesweep_config_selectorIiNS0_10empty_typeEEEZNS1_34radix_sort_onesweep_global_offsetsIS3_Lb1EPKiPS5_mNS0_19identity_decomposerEEE10hipError_tT1_T2_PT3_SF_jT4_jjP12ihipStream_tbEUlT_E_NS1_11comp_targetILNS1_3genE9ELNS1_11target_archE1100ELNS1_3gpuE3ELNS1_3repE0EEENS1_52radix_sort_onesweep_histogram_config_static_selectorELNS0_4arch9wavefront6targetE0EEEvSD_
                                        ; -- End function
	.set _ZN7rocprim17ROCPRIM_400000_NS6detail17trampoline_kernelINS0_14default_configENS1_35radix_sort_onesweep_config_selectorIiNS0_10empty_typeEEEZNS1_34radix_sort_onesweep_global_offsetsIS3_Lb1EPKiPS5_mNS0_19identity_decomposerEEE10hipError_tT1_T2_PT3_SF_jT4_jjP12ihipStream_tbEUlT_E_NS1_11comp_targetILNS1_3genE9ELNS1_11target_archE1100ELNS1_3gpuE3ELNS1_3repE0EEENS1_52radix_sort_onesweep_histogram_config_static_selectorELNS0_4arch9wavefront6targetE0EEEvSD_.num_vgpr, 0
	.set _ZN7rocprim17ROCPRIM_400000_NS6detail17trampoline_kernelINS0_14default_configENS1_35radix_sort_onesweep_config_selectorIiNS0_10empty_typeEEEZNS1_34radix_sort_onesweep_global_offsetsIS3_Lb1EPKiPS5_mNS0_19identity_decomposerEEE10hipError_tT1_T2_PT3_SF_jT4_jjP12ihipStream_tbEUlT_E_NS1_11comp_targetILNS1_3genE9ELNS1_11target_archE1100ELNS1_3gpuE3ELNS1_3repE0EEENS1_52radix_sort_onesweep_histogram_config_static_selectorELNS0_4arch9wavefront6targetE0EEEvSD_.num_agpr, 0
	.set _ZN7rocprim17ROCPRIM_400000_NS6detail17trampoline_kernelINS0_14default_configENS1_35radix_sort_onesweep_config_selectorIiNS0_10empty_typeEEEZNS1_34radix_sort_onesweep_global_offsetsIS3_Lb1EPKiPS5_mNS0_19identity_decomposerEEE10hipError_tT1_T2_PT3_SF_jT4_jjP12ihipStream_tbEUlT_E_NS1_11comp_targetILNS1_3genE9ELNS1_11target_archE1100ELNS1_3gpuE3ELNS1_3repE0EEENS1_52radix_sort_onesweep_histogram_config_static_selectorELNS0_4arch9wavefront6targetE0EEEvSD_.numbered_sgpr, 0
	.set _ZN7rocprim17ROCPRIM_400000_NS6detail17trampoline_kernelINS0_14default_configENS1_35radix_sort_onesweep_config_selectorIiNS0_10empty_typeEEEZNS1_34radix_sort_onesweep_global_offsetsIS3_Lb1EPKiPS5_mNS0_19identity_decomposerEEE10hipError_tT1_T2_PT3_SF_jT4_jjP12ihipStream_tbEUlT_E_NS1_11comp_targetILNS1_3genE9ELNS1_11target_archE1100ELNS1_3gpuE3ELNS1_3repE0EEENS1_52radix_sort_onesweep_histogram_config_static_selectorELNS0_4arch9wavefront6targetE0EEEvSD_.num_named_barrier, 0
	.set _ZN7rocprim17ROCPRIM_400000_NS6detail17trampoline_kernelINS0_14default_configENS1_35radix_sort_onesweep_config_selectorIiNS0_10empty_typeEEEZNS1_34radix_sort_onesweep_global_offsetsIS3_Lb1EPKiPS5_mNS0_19identity_decomposerEEE10hipError_tT1_T2_PT3_SF_jT4_jjP12ihipStream_tbEUlT_E_NS1_11comp_targetILNS1_3genE9ELNS1_11target_archE1100ELNS1_3gpuE3ELNS1_3repE0EEENS1_52radix_sort_onesweep_histogram_config_static_selectorELNS0_4arch9wavefront6targetE0EEEvSD_.private_seg_size, 0
	.set _ZN7rocprim17ROCPRIM_400000_NS6detail17trampoline_kernelINS0_14default_configENS1_35radix_sort_onesweep_config_selectorIiNS0_10empty_typeEEEZNS1_34radix_sort_onesweep_global_offsetsIS3_Lb1EPKiPS5_mNS0_19identity_decomposerEEE10hipError_tT1_T2_PT3_SF_jT4_jjP12ihipStream_tbEUlT_E_NS1_11comp_targetILNS1_3genE9ELNS1_11target_archE1100ELNS1_3gpuE3ELNS1_3repE0EEENS1_52radix_sort_onesweep_histogram_config_static_selectorELNS0_4arch9wavefront6targetE0EEEvSD_.uses_vcc, 0
	.set _ZN7rocprim17ROCPRIM_400000_NS6detail17trampoline_kernelINS0_14default_configENS1_35radix_sort_onesweep_config_selectorIiNS0_10empty_typeEEEZNS1_34radix_sort_onesweep_global_offsetsIS3_Lb1EPKiPS5_mNS0_19identity_decomposerEEE10hipError_tT1_T2_PT3_SF_jT4_jjP12ihipStream_tbEUlT_E_NS1_11comp_targetILNS1_3genE9ELNS1_11target_archE1100ELNS1_3gpuE3ELNS1_3repE0EEENS1_52radix_sort_onesweep_histogram_config_static_selectorELNS0_4arch9wavefront6targetE0EEEvSD_.uses_flat_scratch, 0
	.set _ZN7rocprim17ROCPRIM_400000_NS6detail17trampoline_kernelINS0_14default_configENS1_35radix_sort_onesweep_config_selectorIiNS0_10empty_typeEEEZNS1_34radix_sort_onesweep_global_offsetsIS3_Lb1EPKiPS5_mNS0_19identity_decomposerEEE10hipError_tT1_T2_PT3_SF_jT4_jjP12ihipStream_tbEUlT_E_NS1_11comp_targetILNS1_3genE9ELNS1_11target_archE1100ELNS1_3gpuE3ELNS1_3repE0EEENS1_52radix_sort_onesweep_histogram_config_static_selectorELNS0_4arch9wavefront6targetE0EEEvSD_.has_dyn_sized_stack, 0
	.set _ZN7rocprim17ROCPRIM_400000_NS6detail17trampoline_kernelINS0_14default_configENS1_35radix_sort_onesweep_config_selectorIiNS0_10empty_typeEEEZNS1_34radix_sort_onesweep_global_offsetsIS3_Lb1EPKiPS5_mNS0_19identity_decomposerEEE10hipError_tT1_T2_PT3_SF_jT4_jjP12ihipStream_tbEUlT_E_NS1_11comp_targetILNS1_3genE9ELNS1_11target_archE1100ELNS1_3gpuE3ELNS1_3repE0EEENS1_52radix_sort_onesweep_histogram_config_static_selectorELNS0_4arch9wavefront6targetE0EEEvSD_.has_recursion, 0
	.set _ZN7rocprim17ROCPRIM_400000_NS6detail17trampoline_kernelINS0_14default_configENS1_35radix_sort_onesweep_config_selectorIiNS0_10empty_typeEEEZNS1_34radix_sort_onesweep_global_offsetsIS3_Lb1EPKiPS5_mNS0_19identity_decomposerEEE10hipError_tT1_T2_PT3_SF_jT4_jjP12ihipStream_tbEUlT_E_NS1_11comp_targetILNS1_3genE9ELNS1_11target_archE1100ELNS1_3gpuE3ELNS1_3repE0EEENS1_52radix_sort_onesweep_histogram_config_static_selectorELNS0_4arch9wavefront6targetE0EEEvSD_.has_indirect_call, 0
	.section	.AMDGPU.csdata,"",@progbits
; Kernel info:
; codeLenInByte = 0
; TotalNumSgprs: 0
; NumVgprs: 0
; ScratchSize: 0
; MemoryBound: 0
; FloatMode: 240
; IeeeMode: 1
; LDSByteSize: 0 bytes/workgroup (compile time only)
; SGPRBlocks: 0
; VGPRBlocks: 0
; NumSGPRsForWavesPerEU: 1
; NumVGPRsForWavesPerEU: 1
; NamedBarCnt: 0
; Occupancy: 16
; WaveLimiterHint : 0
; COMPUTE_PGM_RSRC2:SCRATCH_EN: 0
; COMPUTE_PGM_RSRC2:USER_SGPR: 2
; COMPUTE_PGM_RSRC2:TRAP_HANDLER: 0
; COMPUTE_PGM_RSRC2:TGID_X_EN: 1
; COMPUTE_PGM_RSRC2:TGID_Y_EN: 0
; COMPUTE_PGM_RSRC2:TGID_Z_EN: 0
; COMPUTE_PGM_RSRC2:TIDIG_COMP_CNT: 0
	.section	.text._ZN7rocprim17ROCPRIM_400000_NS6detail17trampoline_kernelINS0_14default_configENS1_35radix_sort_onesweep_config_selectorIiNS0_10empty_typeEEEZNS1_34radix_sort_onesweep_global_offsetsIS3_Lb1EPKiPS5_mNS0_19identity_decomposerEEE10hipError_tT1_T2_PT3_SF_jT4_jjP12ihipStream_tbEUlT_E_NS1_11comp_targetILNS1_3genE8ELNS1_11target_archE1030ELNS1_3gpuE2ELNS1_3repE0EEENS1_52radix_sort_onesweep_histogram_config_static_selectorELNS0_4arch9wavefront6targetE0EEEvSD_,"axG",@progbits,_ZN7rocprim17ROCPRIM_400000_NS6detail17trampoline_kernelINS0_14default_configENS1_35radix_sort_onesweep_config_selectorIiNS0_10empty_typeEEEZNS1_34radix_sort_onesweep_global_offsetsIS3_Lb1EPKiPS5_mNS0_19identity_decomposerEEE10hipError_tT1_T2_PT3_SF_jT4_jjP12ihipStream_tbEUlT_E_NS1_11comp_targetILNS1_3genE8ELNS1_11target_archE1030ELNS1_3gpuE2ELNS1_3repE0EEENS1_52radix_sort_onesweep_histogram_config_static_selectorELNS0_4arch9wavefront6targetE0EEEvSD_,comdat
	.protected	_ZN7rocprim17ROCPRIM_400000_NS6detail17trampoline_kernelINS0_14default_configENS1_35radix_sort_onesweep_config_selectorIiNS0_10empty_typeEEEZNS1_34radix_sort_onesweep_global_offsetsIS3_Lb1EPKiPS5_mNS0_19identity_decomposerEEE10hipError_tT1_T2_PT3_SF_jT4_jjP12ihipStream_tbEUlT_E_NS1_11comp_targetILNS1_3genE8ELNS1_11target_archE1030ELNS1_3gpuE2ELNS1_3repE0EEENS1_52radix_sort_onesweep_histogram_config_static_selectorELNS0_4arch9wavefront6targetE0EEEvSD_ ; -- Begin function _ZN7rocprim17ROCPRIM_400000_NS6detail17trampoline_kernelINS0_14default_configENS1_35radix_sort_onesweep_config_selectorIiNS0_10empty_typeEEEZNS1_34radix_sort_onesweep_global_offsetsIS3_Lb1EPKiPS5_mNS0_19identity_decomposerEEE10hipError_tT1_T2_PT3_SF_jT4_jjP12ihipStream_tbEUlT_E_NS1_11comp_targetILNS1_3genE8ELNS1_11target_archE1030ELNS1_3gpuE2ELNS1_3repE0EEENS1_52radix_sort_onesweep_histogram_config_static_selectorELNS0_4arch9wavefront6targetE0EEEvSD_
	.globl	_ZN7rocprim17ROCPRIM_400000_NS6detail17trampoline_kernelINS0_14default_configENS1_35radix_sort_onesweep_config_selectorIiNS0_10empty_typeEEEZNS1_34radix_sort_onesweep_global_offsetsIS3_Lb1EPKiPS5_mNS0_19identity_decomposerEEE10hipError_tT1_T2_PT3_SF_jT4_jjP12ihipStream_tbEUlT_E_NS1_11comp_targetILNS1_3genE8ELNS1_11target_archE1030ELNS1_3gpuE2ELNS1_3repE0EEENS1_52radix_sort_onesweep_histogram_config_static_selectorELNS0_4arch9wavefront6targetE0EEEvSD_
	.p2align	8
	.type	_ZN7rocprim17ROCPRIM_400000_NS6detail17trampoline_kernelINS0_14default_configENS1_35radix_sort_onesweep_config_selectorIiNS0_10empty_typeEEEZNS1_34radix_sort_onesweep_global_offsetsIS3_Lb1EPKiPS5_mNS0_19identity_decomposerEEE10hipError_tT1_T2_PT3_SF_jT4_jjP12ihipStream_tbEUlT_E_NS1_11comp_targetILNS1_3genE8ELNS1_11target_archE1030ELNS1_3gpuE2ELNS1_3repE0EEENS1_52radix_sort_onesweep_histogram_config_static_selectorELNS0_4arch9wavefront6targetE0EEEvSD_,@function
_ZN7rocprim17ROCPRIM_400000_NS6detail17trampoline_kernelINS0_14default_configENS1_35radix_sort_onesweep_config_selectorIiNS0_10empty_typeEEEZNS1_34radix_sort_onesweep_global_offsetsIS3_Lb1EPKiPS5_mNS0_19identity_decomposerEEE10hipError_tT1_T2_PT3_SF_jT4_jjP12ihipStream_tbEUlT_E_NS1_11comp_targetILNS1_3genE8ELNS1_11target_archE1030ELNS1_3gpuE2ELNS1_3repE0EEENS1_52radix_sort_onesweep_histogram_config_static_selectorELNS0_4arch9wavefront6targetE0EEEvSD_: ; @_ZN7rocprim17ROCPRIM_400000_NS6detail17trampoline_kernelINS0_14default_configENS1_35radix_sort_onesweep_config_selectorIiNS0_10empty_typeEEEZNS1_34radix_sort_onesweep_global_offsetsIS3_Lb1EPKiPS5_mNS0_19identity_decomposerEEE10hipError_tT1_T2_PT3_SF_jT4_jjP12ihipStream_tbEUlT_E_NS1_11comp_targetILNS1_3genE8ELNS1_11target_archE1030ELNS1_3gpuE2ELNS1_3repE0EEENS1_52radix_sort_onesweep_histogram_config_static_selectorELNS0_4arch9wavefront6targetE0EEEvSD_
; %bb.0:
	.section	.rodata,"a",@progbits
	.p2align	6, 0x0
	.amdhsa_kernel _ZN7rocprim17ROCPRIM_400000_NS6detail17trampoline_kernelINS0_14default_configENS1_35radix_sort_onesweep_config_selectorIiNS0_10empty_typeEEEZNS1_34radix_sort_onesweep_global_offsetsIS3_Lb1EPKiPS5_mNS0_19identity_decomposerEEE10hipError_tT1_T2_PT3_SF_jT4_jjP12ihipStream_tbEUlT_E_NS1_11comp_targetILNS1_3genE8ELNS1_11target_archE1030ELNS1_3gpuE2ELNS1_3repE0EEENS1_52radix_sort_onesweep_histogram_config_static_selectorELNS0_4arch9wavefront6targetE0EEEvSD_
		.amdhsa_group_segment_fixed_size 0
		.amdhsa_private_segment_fixed_size 0
		.amdhsa_kernarg_size 48
		.amdhsa_user_sgpr_count 2
		.amdhsa_user_sgpr_dispatch_ptr 0
		.amdhsa_user_sgpr_queue_ptr 0
		.amdhsa_user_sgpr_kernarg_segment_ptr 1
		.amdhsa_user_sgpr_dispatch_id 0
		.amdhsa_user_sgpr_kernarg_preload_length 0
		.amdhsa_user_sgpr_kernarg_preload_offset 0
		.amdhsa_user_sgpr_private_segment_size 0
		.amdhsa_wavefront_size32 1
		.amdhsa_uses_dynamic_stack 0
		.amdhsa_enable_private_segment 0
		.amdhsa_system_sgpr_workgroup_id_x 1
		.amdhsa_system_sgpr_workgroup_id_y 0
		.amdhsa_system_sgpr_workgroup_id_z 0
		.amdhsa_system_sgpr_workgroup_info 0
		.amdhsa_system_vgpr_workitem_id 0
		.amdhsa_next_free_vgpr 1
		.amdhsa_next_free_sgpr 1
		.amdhsa_named_barrier_count 0
		.amdhsa_reserve_vcc 0
		.amdhsa_float_round_mode_32 0
		.amdhsa_float_round_mode_16_64 0
		.amdhsa_float_denorm_mode_32 3
		.amdhsa_float_denorm_mode_16_64 3
		.amdhsa_fp16_overflow 0
		.amdhsa_memory_ordered 1
		.amdhsa_forward_progress 1
		.amdhsa_inst_pref_size 0
		.amdhsa_round_robin_scheduling 0
		.amdhsa_exception_fp_ieee_invalid_op 0
		.amdhsa_exception_fp_denorm_src 0
		.amdhsa_exception_fp_ieee_div_zero 0
		.amdhsa_exception_fp_ieee_overflow 0
		.amdhsa_exception_fp_ieee_underflow 0
		.amdhsa_exception_fp_ieee_inexact 0
		.amdhsa_exception_int_div_zero 0
	.end_amdhsa_kernel
	.section	.text._ZN7rocprim17ROCPRIM_400000_NS6detail17trampoline_kernelINS0_14default_configENS1_35radix_sort_onesweep_config_selectorIiNS0_10empty_typeEEEZNS1_34radix_sort_onesweep_global_offsetsIS3_Lb1EPKiPS5_mNS0_19identity_decomposerEEE10hipError_tT1_T2_PT3_SF_jT4_jjP12ihipStream_tbEUlT_E_NS1_11comp_targetILNS1_3genE8ELNS1_11target_archE1030ELNS1_3gpuE2ELNS1_3repE0EEENS1_52radix_sort_onesweep_histogram_config_static_selectorELNS0_4arch9wavefront6targetE0EEEvSD_,"axG",@progbits,_ZN7rocprim17ROCPRIM_400000_NS6detail17trampoline_kernelINS0_14default_configENS1_35radix_sort_onesweep_config_selectorIiNS0_10empty_typeEEEZNS1_34radix_sort_onesweep_global_offsetsIS3_Lb1EPKiPS5_mNS0_19identity_decomposerEEE10hipError_tT1_T2_PT3_SF_jT4_jjP12ihipStream_tbEUlT_E_NS1_11comp_targetILNS1_3genE8ELNS1_11target_archE1030ELNS1_3gpuE2ELNS1_3repE0EEENS1_52radix_sort_onesweep_histogram_config_static_selectorELNS0_4arch9wavefront6targetE0EEEvSD_,comdat
.Lfunc_end831:
	.size	_ZN7rocprim17ROCPRIM_400000_NS6detail17trampoline_kernelINS0_14default_configENS1_35radix_sort_onesweep_config_selectorIiNS0_10empty_typeEEEZNS1_34radix_sort_onesweep_global_offsetsIS3_Lb1EPKiPS5_mNS0_19identity_decomposerEEE10hipError_tT1_T2_PT3_SF_jT4_jjP12ihipStream_tbEUlT_E_NS1_11comp_targetILNS1_3genE8ELNS1_11target_archE1030ELNS1_3gpuE2ELNS1_3repE0EEENS1_52radix_sort_onesweep_histogram_config_static_selectorELNS0_4arch9wavefront6targetE0EEEvSD_, .Lfunc_end831-_ZN7rocprim17ROCPRIM_400000_NS6detail17trampoline_kernelINS0_14default_configENS1_35radix_sort_onesweep_config_selectorIiNS0_10empty_typeEEEZNS1_34radix_sort_onesweep_global_offsetsIS3_Lb1EPKiPS5_mNS0_19identity_decomposerEEE10hipError_tT1_T2_PT3_SF_jT4_jjP12ihipStream_tbEUlT_E_NS1_11comp_targetILNS1_3genE8ELNS1_11target_archE1030ELNS1_3gpuE2ELNS1_3repE0EEENS1_52radix_sort_onesweep_histogram_config_static_selectorELNS0_4arch9wavefront6targetE0EEEvSD_
                                        ; -- End function
	.set _ZN7rocprim17ROCPRIM_400000_NS6detail17trampoline_kernelINS0_14default_configENS1_35radix_sort_onesweep_config_selectorIiNS0_10empty_typeEEEZNS1_34radix_sort_onesweep_global_offsetsIS3_Lb1EPKiPS5_mNS0_19identity_decomposerEEE10hipError_tT1_T2_PT3_SF_jT4_jjP12ihipStream_tbEUlT_E_NS1_11comp_targetILNS1_3genE8ELNS1_11target_archE1030ELNS1_3gpuE2ELNS1_3repE0EEENS1_52radix_sort_onesweep_histogram_config_static_selectorELNS0_4arch9wavefront6targetE0EEEvSD_.num_vgpr, 0
	.set _ZN7rocprim17ROCPRIM_400000_NS6detail17trampoline_kernelINS0_14default_configENS1_35radix_sort_onesweep_config_selectorIiNS0_10empty_typeEEEZNS1_34radix_sort_onesweep_global_offsetsIS3_Lb1EPKiPS5_mNS0_19identity_decomposerEEE10hipError_tT1_T2_PT3_SF_jT4_jjP12ihipStream_tbEUlT_E_NS1_11comp_targetILNS1_3genE8ELNS1_11target_archE1030ELNS1_3gpuE2ELNS1_3repE0EEENS1_52radix_sort_onesweep_histogram_config_static_selectorELNS0_4arch9wavefront6targetE0EEEvSD_.num_agpr, 0
	.set _ZN7rocprim17ROCPRIM_400000_NS6detail17trampoline_kernelINS0_14default_configENS1_35radix_sort_onesweep_config_selectorIiNS0_10empty_typeEEEZNS1_34radix_sort_onesweep_global_offsetsIS3_Lb1EPKiPS5_mNS0_19identity_decomposerEEE10hipError_tT1_T2_PT3_SF_jT4_jjP12ihipStream_tbEUlT_E_NS1_11comp_targetILNS1_3genE8ELNS1_11target_archE1030ELNS1_3gpuE2ELNS1_3repE0EEENS1_52radix_sort_onesweep_histogram_config_static_selectorELNS0_4arch9wavefront6targetE0EEEvSD_.numbered_sgpr, 0
	.set _ZN7rocprim17ROCPRIM_400000_NS6detail17trampoline_kernelINS0_14default_configENS1_35radix_sort_onesweep_config_selectorIiNS0_10empty_typeEEEZNS1_34radix_sort_onesweep_global_offsetsIS3_Lb1EPKiPS5_mNS0_19identity_decomposerEEE10hipError_tT1_T2_PT3_SF_jT4_jjP12ihipStream_tbEUlT_E_NS1_11comp_targetILNS1_3genE8ELNS1_11target_archE1030ELNS1_3gpuE2ELNS1_3repE0EEENS1_52radix_sort_onesweep_histogram_config_static_selectorELNS0_4arch9wavefront6targetE0EEEvSD_.num_named_barrier, 0
	.set _ZN7rocprim17ROCPRIM_400000_NS6detail17trampoline_kernelINS0_14default_configENS1_35radix_sort_onesweep_config_selectorIiNS0_10empty_typeEEEZNS1_34radix_sort_onesweep_global_offsetsIS3_Lb1EPKiPS5_mNS0_19identity_decomposerEEE10hipError_tT1_T2_PT3_SF_jT4_jjP12ihipStream_tbEUlT_E_NS1_11comp_targetILNS1_3genE8ELNS1_11target_archE1030ELNS1_3gpuE2ELNS1_3repE0EEENS1_52radix_sort_onesweep_histogram_config_static_selectorELNS0_4arch9wavefront6targetE0EEEvSD_.private_seg_size, 0
	.set _ZN7rocprim17ROCPRIM_400000_NS6detail17trampoline_kernelINS0_14default_configENS1_35radix_sort_onesweep_config_selectorIiNS0_10empty_typeEEEZNS1_34radix_sort_onesweep_global_offsetsIS3_Lb1EPKiPS5_mNS0_19identity_decomposerEEE10hipError_tT1_T2_PT3_SF_jT4_jjP12ihipStream_tbEUlT_E_NS1_11comp_targetILNS1_3genE8ELNS1_11target_archE1030ELNS1_3gpuE2ELNS1_3repE0EEENS1_52radix_sort_onesweep_histogram_config_static_selectorELNS0_4arch9wavefront6targetE0EEEvSD_.uses_vcc, 0
	.set _ZN7rocprim17ROCPRIM_400000_NS6detail17trampoline_kernelINS0_14default_configENS1_35radix_sort_onesweep_config_selectorIiNS0_10empty_typeEEEZNS1_34radix_sort_onesweep_global_offsetsIS3_Lb1EPKiPS5_mNS0_19identity_decomposerEEE10hipError_tT1_T2_PT3_SF_jT4_jjP12ihipStream_tbEUlT_E_NS1_11comp_targetILNS1_3genE8ELNS1_11target_archE1030ELNS1_3gpuE2ELNS1_3repE0EEENS1_52radix_sort_onesweep_histogram_config_static_selectorELNS0_4arch9wavefront6targetE0EEEvSD_.uses_flat_scratch, 0
	.set _ZN7rocprim17ROCPRIM_400000_NS6detail17trampoline_kernelINS0_14default_configENS1_35radix_sort_onesweep_config_selectorIiNS0_10empty_typeEEEZNS1_34radix_sort_onesweep_global_offsetsIS3_Lb1EPKiPS5_mNS0_19identity_decomposerEEE10hipError_tT1_T2_PT3_SF_jT4_jjP12ihipStream_tbEUlT_E_NS1_11comp_targetILNS1_3genE8ELNS1_11target_archE1030ELNS1_3gpuE2ELNS1_3repE0EEENS1_52radix_sort_onesweep_histogram_config_static_selectorELNS0_4arch9wavefront6targetE0EEEvSD_.has_dyn_sized_stack, 0
	.set _ZN7rocprim17ROCPRIM_400000_NS6detail17trampoline_kernelINS0_14default_configENS1_35radix_sort_onesweep_config_selectorIiNS0_10empty_typeEEEZNS1_34radix_sort_onesweep_global_offsetsIS3_Lb1EPKiPS5_mNS0_19identity_decomposerEEE10hipError_tT1_T2_PT3_SF_jT4_jjP12ihipStream_tbEUlT_E_NS1_11comp_targetILNS1_3genE8ELNS1_11target_archE1030ELNS1_3gpuE2ELNS1_3repE0EEENS1_52radix_sort_onesweep_histogram_config_static_selectorELNS0_4arch9wavefront6targetE0EEEvSD_.has_recursion, 0
	.set _ZN7rocprim17ROCPRIM_400000_NS6detail17trampoline_kernelINS0_14default_configENS1_35radix_sort_onesweep_config_selectorIiNS0_10empty_typeEEEZNS1_34radix_sort_onesweep_global_offsetsIS3_Lb1EPKiPS5_mNS0_19identity_decomposerEEE10hipError_tT1_T2_PT3_SF_jT4_jjP12ihipStream_tbEUlT_E_NS1_11comp_targetILNS1_3genE8ELNS1_11target_archE1030ELNS1_3gpuE2ELNS1_3repE0EEENS1_52radix_sort_onesweep_histogram_config_static_selectorELNS0_4arch9wavefront6targetE0EEEvSD_.has_indirect_call, 0
	.section	.AMDGPU.csdata,"",@progbits
; Kernel info:
; codeLenInByte = 0
; TotalNumSgprs: 0
; NumVgprs: 0
; ScratchSize: 0
; MemoryBound: 0
; FloatMode: 240
; IeeeMode: 1
; LDSByteSize: 0 bytes/workgroup (compile time only)
; SGPRBlocks: 0
; VGPRBlocks: 0
; NumSGPRsForWavesPerEU: 1
; NumVGPRsForWavesPerEU: 1
; NamedBarCnt: 0
; Occupancy: 16
; WaveLimiterHint : 0
; COMPUTE_PGM_RSRC2:SCRATCH_EN: 0
; COMPUTE_PGM_RSRC2:USER_SGPR: 2
; COMPUTE_PGM_RSRC2:TRAP_HANDLER: 0
; COMPUTE_PGM_RSRC2:TGID_X_EN: 1
; COMPUTE_PGM_RSRC2:TGID_Y_EN: 0
; COMPUTE_PGM_RSRC2:TGID_Z_EN: 0
; COMPUTE_PGM_RSRC2:TIDIG_COMP_CNT: 0
	.section	.text._ZN7rocprim17ROCPRIM_400000_NS6detail17trampoline_kernelINS0_14default_configENS1_35radix_sort_onesweep_config_selectorIiNS0_10empty_typeEEEZNS1_34radix_sort_onesweep_global_offsetsIS3_Lb1EPKiPS5_mNS0_19identity_decomposerEEE10hipError_tT1_T2_PT3_SF_jT4_jjP12ihipStream_tbEUlT_E0_NS1_11comp_targetILNS1_3genE0ELNS1_11target_archE4294967295ELNS1_3gpuE0ELNS1_3repE0EEENS1_52radix_sort_onesweep_histogram_config_static_selectorELNS0_4arch9wavefront6targetE0EEEvSD_,"axG",@progbits,_ZN7rocprim17ROCPRIM_400000_NS6detail17trampoline_kernelINS0_14default_configENS1_35radix_sort_onesweep_config_selectorIiNS0_10empty_typeEEEZNS1_34radix_sort_onesweep_global_offsetsIS3_Lb1EPKiPS5_mNS0_19identity_decomposerEEE10hipError_tT1_T2_PT3_SF_jT4_jjP12ihipStream_tbEUlT_E0_NS1_11comp_targetILNS1_3genE0ELNS1_11target_archE4294967295ELNS1_3gpuE0ELNS1_3repE0EEENS1_52radix_sort_onesweep_histogram_config_static_selectorELNS0_4arch9wavefront6targetE0EEEvSD_,comdat
	.protected	_ZN7rocprim17ROCPRIM_400000_NS6detail17trampoline_kernelINS0_14default_configENS1_35radix_sort_onesweep_config_selectorIiNS0_10empty_typeEEEZNS1_34radix_sort_onesweep_global_offsetsIS3_Lb1EPKiPS5_mNS0_19identity_decomposerEEE10hipError_tT1_T2_PT3_SF_jT4_jjP12ihipStream_tbEUlT_E0_NS1_11comp_targetILNS1_3genE0ELNS1_11target_archE4294967295ELNS1_3gpuE0ELNS1_3repE0EEENS1_52radix_sort_onesweep_histogram_config_static_selectorELNS0_4arch9wavefront6targetE0EEEvSD_ ; -- Begin function _ZN7rocprim17ROCPRIM_400000_NS6detail17trampoline_kernelINS0_14default_configENS1_35radix_sort_onesweep_config_selectorIiNS0_10empty_typeEEEZNS1_34radix_sort_onesweep_global_offsetsIS3_Lb1EPKiPS5_mNS0_19identity_decomposerEEE10hipError_tT1_T2_PT3_SF_jT4_jjP12ihipStream_tbEUlT_E0_NS1_11comp_targetILNS1_3genE0ELNS1_11target_archE4294967295ELNS1_3gpuE0ELNS1_3repE0EEENS1_52radix_sort_onesweep_histogram_config_static_selectorELNS0_4arch9wavefront6targetE0EEEvSD_
	.globl	_ZN7rocprim17ROCPRIM_400000_NS6detail17trampoline_kernelINS0_14default_configENS1_35radix_sort_onesweep_config_selectorIiNS0_10empty_typeEEEZNS1_34radix_sort_onesweep_global_offsetsIS3_Lb1EPKiPS5_mNS0_19identity_decomposerEEE10hipError_tT1_T2_PT3_SF_jT4_jjP12ihipStream_tbEUlT_E0_NS1_11comp_targetILNS1_3genE0ELNS1_11target_archE4294967295ELNS1_3gpuE0ELNS1_3repE0EEENS1_52radix_sort_onesweep_histogram_config_static_selectorELNS0_4arch9wavefront6targetE0EEEvSD_
	.p2align	8
	.type	_ZN7rocprim17ROCPRIM_400000_NS6detail17trampoline_kernelINS0_14default_configENS1_35radix_sort_onesweep_config_selectorIiNS0_10empty_typeEEEZNS1_34radix_sort_onesweep_global_offsetsIS3_Lb1EPKiPS5_mNS0_19identity_decomposerEEE10hipError_tT1_T2_PT3_SF_jT4_jjP12ihipStream_tbEUlT_E0_NS1_11comp_targetILNS1_3genE0ELNS1_11target_archE4294967295ELNS1_3gpuE0ELNS1_3repE0EEENS1_52radix_sort_onesweep_histogram_config_static_selectorELNS0_4arch9wavefront6targetE0EEEvSD_,@function
_ZN7rocprim17ROCPRIM_400000_NS6detail17trampoline_kernelINS0_14default_configENS1_35radix_sort_onesweep_config_selectorIiNS0_10empty_typeEEEZNS1_34radix_sort_onesweep_global_offsetsIS3_Lb1EPKiPS5_mNS0_19identity_decomposerEEE10hipError_tT1_T2_PT3_SF_jT4_jjP12ihipStream_tbEUlT_E0_NS1_11comp_targetILNS1_3genE0ELNS1_11target_archE4294967295ELNS1_3gpuE0ELNS1_3repE0EEENS1_52radix_sort_onesweep_histogram_config_static_selectorELNS0_4arch9wavefront6targetE0EEEvSD_: ; @_ZN7rocprim17ROCPRIM_400000_NS6detail17trampoline_kernelINS0_14default_configENS1_35radix_sort_onesweep_config_selectorIiNS0_10empty_typeEEEZNS1_34radix_sort_onesweep_global_offsetsIS3_Lb1EPKiPS5_mNS0_19identity_decomposerEEE10hipError_tT1_T2_PT3_SF_jT4_jjP12ihipStream_tbEUlT_E0_NS1_11comp_targetILNS1_3genE0ELNS1_11target_archE4294967295ELNS1_3gpuE0ELNS1_3repE0EEENS1_52radix_sort_onesweep_histogram_config_static_selectorELNS0_4arch9wavefront6targetE0EEEvSD_
; %bb.0:
	s_load_b64 s[0:1], s[0:1], 0x0
	s_bfe_u32 s2, ttmp6, 0x4000c
	s_and_b32 s3, ttmp6, 15
	s_add_co_i32 s2, s2, 1
	s_getreg_b32 s4, hwreg(HW_REG_IB_STS2, 6, 4)
	s_mul_i32 s2, ttmp9, s2
	v_cmp_gt_u32_e32 vcc_lo, 0x100, v0
	s_add_co_i32 s3, s3, s2
	s_cmp_eq_u32 s4, 0
                                        ; implicit-def: $vgpr2_vgpr3
	s_cselect_b32 s2, ttmp9, s3
	s_mov_b32 s3, 0
	s_lshl_b32 s2, s2, 8
	s_delay_alu instid0(SALU_CYCLE_1)
	s_lshl_b64 s[2:3], s[2:3], 3
	s_wait_kmcnt 0x0
	s_add_nc_u64 s[6:7], s[0:1], s[2:3]
	s_and_saveexec_b32 s0, vcc_lo
	s_cbranch_execz .LBB832_2
; %bb.1:
	global_load_b64 v[2:3], v0, s[6:7] scale_offset
.LBB832_2:
	s_wait_xcnt 0x0
	s_or_b32 exec_lo, exec_lo, s0
	v_mbcnt_lo_u32_b32 v1, -1, 0
	s_wait_loadcnt 0x0
	v_mov_b32_dpp v6, v2 row_shr:1 row_mask:0xf bank_mask:0xf
	v_mov_b32_dpp v9, v3 row_shr:1 row_mask:0xf bank_mask:0xf
	s_delay_alu instid0(VALU_DEP_3) | instskip(NEXT) | instid1(VALU_DEP_1)
	v_dual_mov_b32 v4, v2 :: v_dual_bitop2_b32 v10, 15, v1 bitop3:0x40
	v_cmp_ne_u32_e64 s0, 0, v10
	s_and_saveexec_b32 s1, s0
; %bb.3:
	v_mov_b32_e32 v8, 0
	s_delay_alu instid0(VALU_DEP_1) | instskip(NEXT) | instid1(VALU_DEP_1)
	v_mov_b32_e32 v7, v8
	v_add_nc_u64_e32 v[4:5], v[2:3], v[6:7]
	s_delay_alu instid0(VALU_DEP_1)
	v_add_nc_u64_e32 v[2:3], v[8:9], v[4:5]
; %bb.4:
	s_or_b32 exec_lo, exec_lo, s1
	v_mov_b32_dpp v6, v4 row_shr:2 row_mask:0xf bank_mask:0xf
	s_delay_alu instid0(VALU_DEP_2)
	v_mov_b32_dpp v9, v3 row_shr:2 row_mask:0xf bank_mask:0xf
	v_cmp_lt_u32_e64 s1, 1, v10
	s_and_saveexec_b32 s2, s1
; %bb.5:
	v_mov_b32_e32 v8, 0
	s_delay_alu instid0(VALU_DEP_1) | instskip(NEXT) | instid1(VALU_DEP_1)
	v_mov_b32_e32 v7, v8
	v_add_nc_u64_e32 v[4:5], v[2:3], v[6:7]
	s_delay_alu instid0(VALU_DEP_1)
	v_add_nc_u64_e32 v[2:3], v[8:9], v[4:5]
; %bb.6:
	s_or_b32 exec_lo, exec_lo, s2
	v_mov_b32_dpp v6, v4 row_shr:4 row_mask:0xf bank_mask:0xf
	s_delay_alu instid0(VALU_DEP_2)
	v_mov_b32_dpp v9, v3 row_shr:4 row_mask:0xf bank_mask:0xf
	v_cmp_lt_u32_e64 s2, 3, v10
	;; [unrolled: 14-line block ×3, first 2 shown]
	s_and_saveexec_b32 s4, s3
; %bb.9:
	v_mov_b32_e32 v8, 0
	s_delay_alu instid0(VALU_DEP_1) | instskip(NEXT) | instid1(VALU_DEP_1)
	v_mov_b32_e32 v7, v8
	v_add_nc_u64_e32 v[4:5], v[2:3], v[6:7]
	s_delay_alu instid0(VALU_DEP_1)
	v_add_nc_u64_e32 v[2:3], v[8:9], v[4:5]
; %bb.10:
	s_or_b32 exec_lo, exec_lo, s4
	ds_swizzle_b32 v4, v4 offset:swizzle(BROADCAST,32,15)
	ds_swizzle_b32 v7, v3 offset:swizzle(BROADCAST,32,15)
	v_and_b32_e32 v5, 16, v1
	s_mov_b32 s5, exec_lo
	s_delay_alu instid0(VALU_DEP_1)
	v_cmpx_ne_u32_e32 0, v5
	s_cbranch_execz .LBB832_12
; %bb.11:
	v_mov_b32_e32 v6, 0
	s_delay_alu instid0(VALU_DEP_1) | instskip(SKIP_1) | instid1(VALU_DEP_1)
	v_mov_b32_e32 v5, v6
	s_wait_dscnt 0x1
	v_add_nc_u64_e32 v[2:3], v[2:3], v[4:5]
	s_wait_dscnt 0x0
	s_delay_alu instid0(VALU_DEP_1)
	v_add_nc_u64_e32 v[2:3], v[2:3], v[6:7]
.LBB832_12:
	s_or_b32 exec_lo, exec_lo, s5
	s_wait_dscnt 0x1
	v_dual_lshrrev_b32 v12, 5, v0 :: v_dual_bitop2_b32 v4, 31, v0 bitop3:0x54
	s_mov_b32 s5, exec_lo
	s_delay_alu instid0(VALU_DEP_1)
	v_cmpx_eq_u32_e64 v0, v4
; %bb.13:
	s_delay_alu instid0(VALU_DEP_2)
	v_lshlrev_b32_e32 v4, 3, v12
	ds_store_b64 v4, v[2:3]
; %bb.14:
	s_or_b32 exec_lo, exec_lo, s5
	s_delay_alu instid0(SALU_CYCLE_1)
	s_mov_b32 s5, exec_lo
	s_wait_dscnt 0x0
	s_barrier_signal -1
	s_barrier_wait -1
	v_cmpx_gt_u32_e32 16, v0
	s_cbranch_execz .LBB832_24
; %bb.15:
	v_lshlrev_b32_e32 v13, 3, v0
	ds_load_b64 v[4:5], v13
	s_wait_dscnt 0x0
	v_mov_b32_dpp v8, v4 row_shr:1 row_mask:0xf bank_mask:0xf
	v_mov_b32_dpp v11, v5 row_shr:1 row_mask:0xf bank_mask:0xf
	v_mov_b32_e32 v6, v4
	s_and_saveexec_b32 s4, s0
; %bb.16:
	v_mov_b32_e32 v10, 0
	s_delay_alu instid0(VALU_DEP_1) | instskip(NEXT) | instid1(VALU_DEP_1)
	v_mov_b32_e32 v9, v10
	v_add_nc_u64_e32 v[6:7], v[4:5], v[8:9]
	s_delay_alu instid0(VALU_DEP_1)
	v_add_nc_u64_e32 v[4:5], v[10:11], v[6:7]
; %bb.17:
	s_or_b32 exec_lo, exec_lo, s4
	v_mov_b32_dpp v8, v6 row_shr:2 row_mask:0xf bank_mask:0xf
	s_delay_alu instid0(VALU_DEP_2)
	v_mov_b32_dpp v11, v5 row_shr:2 row_mask:0xf bank_mask:0xf
	s_and_saveexec_b32 s0, s1
; %bb.18:
	v_mov_b32_e32 v10, 0
	s_delay_alu instid0(VALU_DEP_1) | instskip(NEXT) | instid1(VALU_DEP_1)
	v_mov_b32_e32 v9, v10
	v_add_nc_u64_e32 v[6:7], v[4:5], v[8:9]
	s_delay_alu instid0(VALU_DEP_1)
	v_add_nc_u64_e32 v[4:5], v[10:11], v[6:7]
; %bb.19:
	s_or_b32 exec_lo, exec_lo, s0
	v_mov_b32_dpp v8, v6 row_shr:4 row_mask:0xf bank_mask:0xf
	s_delay_alu instid0(VALU_DEP_2)
	v_mov_b32_dpp v11, v5 row_shr:4 row_mask:0xf bank_mask:0xf
	;; [unrolled: 13-line block ×3, first 2 shown]
	s_and_saveexec_b32 s0, s3
; %bb.22:
	v_mov_b32_e32 v8, 0
	s_delay_alu instid0(VALU_DEP_1) | instskip(NEXT) | instid1(VALU_DEP_1)
	v_mov_b32_e32 v7, v8
	v_add_nc_u64_e32 v[4:5], v[4:5], v[6:7]
	s_delay_alu instid0(VALU_DEP_1)
	v_add_nc_u64_e32 v[4:5], v[4:5], v[8:9]
; %bb.23:
	s_or_b32 exec_lo, exec_lo, s0
	ds_store_b64 v13, v[4:5]
.LBB832_24:
	s_or_b32 exec_lo, exec_lo, s5
	v_mov_b64_e32 v[4:5], 0
	s_mov_b32 s1, exec_lo
	s_wait_dscnt 0x0
	s_barrier_signal -1
	s_barrier_wait -1
	v_cmpx_lt_u32_e32 31, v0
; %bb.25:
	v_lshl_add_u32 v4, v12, 3, -8
	ds_load_b64 v[4:5], v4
; %bb.26:
	s_or_b32 exec_lo, exec_lo, s1
	v_add_nc_u32_e32 v6, -1, v1
	s_wait_dscnt 0x0
	v_add_nc_u64_e32 v[2:3], v[4:5], v[2:3]
	s_delay_alu instid0(VALU_DEP_2) | instskip(NEXT) | instid1(VALU_DEP_1)
	v_cmp_gt_i32_e64 s0, 0, v6
	v_cndmask_b32_e64 v6, v6, v1, s0
	s_delay_alu instid0(VALU_DEP_1)
	v_lshlrev_b32_e32 v6, 2, v6
	ds_bpermute_b32 v2, v6, v2
	ds_bpermute_b32 v3, v6, v3
	s_and_saveexec_b32 s0, vcc_lo
	s_cbranch_execz .LBB832_28
; %bb.27:
	v_cmp_eq_u32_e32 vcc_lo, 0, v1
	s_wait_dscnt 0x0
	v_dual_cndmask_b32 v3, v3, v5 :: v_dual_cndmask_b32 v2, v2, v4
	global_store_b64 v0, v[2:3], s[6:7] scale_offset
.LBB832_28:
	s_endpgm
	.section	.rodata,"a",@progbits
	.p2align	6, 0x0
	.amdhsa_kernel _ZN7rocprim17ROCPRIM_400000_NS6detail17trampoline_kernelINS0_14default_configENS1_35radix_sort_onesweep_config_selectorIiNS0_10empty_typeEEEZNS1_34radix_sort_onesweep_global_offsetsIS3_Lb1EPKiPS5_mNS0_19identity_decomposerEEE10hipError_tT1_T2_PT3_SF_jT4_jjP12ihipStream_tbEUlT_E0_NS1_11comp_targetILNS1_3genE0ELNS1_11target_archE4294967295ELNS1_3gpuE0ELNS1_3repE0EEENS1_52radix_sort_onesweep_histogram_config_static_selectorELNS0_4arch9wavefront6targetE0EEEvSD_
		.amdhsa_group_segment_fixed_size 128
		.amdhsa_private_segment_fixed_size 0
		.amdhsa_kernarg_size 8
		.amdhsa_user_sgpr_count 2
		.amdhsa_user_sgpr_dispatch_ptr 0
		.amdhsa_user_sgpr_queue_ptr 0
		.amdhsa_user_sgpr_kernarg_segment_ptr 1
		.amdhsa_user_sgpr_dispatch_id 0
		.amdhsa_user_sgpr_kernarg_preload_length 0
		.amdhsa_user_sgpr_kernarg_preload_offset 0
		.amdhsa_user_sgpr_private_segment_size 0
		.amdhsa_wavefront_size32 1
		.amdhsa_uses_dynamic_stack 0
		.amdhsa_enable_private_segment 0
		.amdhsa_system_sgpr_workgroup_id_x 1
		.amdhsa_system_sgpr_workgroup_id_y 0
		.amdhsa_system_sgpr_workgroup_id_z 0
		.amdhsa_system_sgpr_workgroup_info 0
		.amdhsa_system_vgpr_workitem_id 0
		.amdhsa_next_free_vgpr 14
		.amdhsa_next_free_sgpr 8
		.amdhsa_named_barrier_count 0
		.amdhsa_reserve_vcc 1
		.amdhsa_float_round_mode_32 0
		.amdhsa_float_round_mode_16_64 0
		.amdhsa_float_denorm_mode_32 3
		.amdhsa_float_denorm_mode_16_64 3
		.amdhsa_fp16_overflow 0
		.amdhsa_memory_ordered 1
		.amdhsa_forward_progress 1
		.amdhsa_inst_pref_size 7
		.amdhsa_round_robin_scheduling 0
		.amdhsa_exception_fp_ieee_invalid_op 0
		.amdhsa_exception_fp_denorm_src 0
		.amdhsa_exception_fp_ieee_div_zero 0
		.amdhsa_exception_fp_ieee_overflow 0
		.amdhsa_exception_fp_ieee_underflow 0
		.amdhsa_exception_fp_ieee_inexact 0
		.amdhsa_exception_int_div_zero 0
	.end_amdhsa_kernel
	.section	.text._ZN7rocprim17ROCPRIM_400000_NS6detail17trampoline_kernelINS0_14default_configENS1_35radix_sort_onesweep_config_selectorIiNS0_10empty_typeEEEZNS1_34radix_sort_onesweep_global_offsetsIS3_Lb1EPKiPS5_mNS0_19identity_decomposerEEE10hipError_tT1_T2_PT3_SF_jT4_jjP12ihipStream_tbEUlT_E0_NS1_11comp_targetILNS1_3genE0ELNS1_11target_archE4294967295ELNS1_3gpuE0ELNS1_3repE0EEENS1_52radix_sort_onesweep_histogram_config_static_selectorELNS0_4arch9wavefront6targetE0EEEvSD_,"axG",@progbits,_ZN7rocprim17ROCPRIM_400000_NS6detail17trampoline_kernelINS0_14default_configENS1_35radix_sort_onesweep_config_selectorIiNS0_10empty_typeEEEZNS1_34radix_sort_onesweep_global_offsetsIS3_Lb1EPKiPS5_mNS0_19identity_decomposerEEE10hipError_tT1_T2_PT3_SF_jT4_jjP12ihipStream_tbEUlT_E0_NS1_11comp_targetILNS1_3genE0ELNS1_11target_archE4294967295ELNS1_3gpuE0ELNS1_3repE0EEENS1_52radix_sort_onesweep_histogram_config_static_selectorELNS0_4arch9wavefront6targetE0EEEvSD_,comdat
.Lfunc_end832:
	.size	_ZN7rocprim17ROCPRIM_400000_NS6detail17trampoline_kernelINS0_14default_configENS1_35radix_sort_onesweep_config_selectorIiNS0_10empty_typeEEEZNS1_34radix_sort_onesweep_global_offsetsIS3_Lb1EPKiPS5_mNS0_19identity_decomposerEEE10hipError_tT1_T2_PT3_SF_jT4_jjP12ihipStream_tbEUlT_E0_NS1_11comp_targetILNS1_3genE0ELNS1_11target_archE4294967295ELNS1_3gpuE0ELNS1_3repE0EEENS1_52radix_sort_onesweep_histogram_config_static_selectorELNS0_4arch9wavefront6targetE0EEEvSD_, .Lfunc_end832-_ZN7rocprim17ROCPRIM_400000_NS6detail17trampoline_kernelINS0_14default_configENS1_35radix_sort_onesweep_config_selectorIiNS0_10empty_typeEEEZNS1_34radix_sort_onesweep_global_offsetsIS3_Lb1EPKiPS5_mNS0_19identity_decomposerEEE10hipError_tT1_T2_PT3_SF_jT4_jjP12ihipStream_tbEUlT_E0_NS1_11comp_targetILNS1_3genE0ELNS1_11target_archE4294967295ELNS1_3gpuE0ELNS1_3repE0EEENS1_52radix_sort_onesweep_histogram_config_static_selectorELNS0_4arch9wavefront6targetE0EEEvSD_
                                        ; -- End function
	.set _ZN7rocprim17ROCPRIM_400000_NS6detail17trampoline_kernelINS0_14default_configENS1_35radix_sort_onesweep_config_selectorIiNS0_10empty_typeEEEZNS1_34radix_sort_onesweep_global_offsetsIS3_Lb1EPKiPS5_mNS0_19identity_decomposerEEE10hipError_tT1_T2_PT3_SF_jT4_jjP12ihipStream_tbEUlT_E0_NS1_11comp_targetILNS1_3genE0ELNS1_11target_archE4294967295ELNS1_3gpuE0ELNS1_3repE0EEENS1_52radix_sort_onesweep_histogram_config_static_selectorELNS0_4arch9wavefront6targetE0EEEvSD_.num_vgpr, 14
	.set _ZN7rocprim17ROCPRIM_400000_NS6detail17trampoline_kernelINS0_14default_configENS1_35radix_sort_onesweep_config_selectorIiNS0_10empty_typeEEEZNS1_34radix_sort_onesweep_global_offsetsIS3_Lb1EPKiPS5_mNS0_19identity_decomposerEEE10hipError_tT1_T2_PT3_SF_jT4_jjP12ihipStream_tbEUlT_E0_NS1_11comp_targetILNS1_3genE0ELNS1_11target_archE4294967295ELNS1_3gpuE0ELNS1_3repE0EEENS1_52radix_sort_onesweep_histogram_config_static_selectorELNS0_4arch9wavefront6targetE0EEEvSD_.num_agpr, 0
	.set _ZN7rocprim17ROCPRIM_400000_NS6detail17trampoline_kernelINS0_14default_configENS1_35radix_sort_onesweep_config_selectorIiNS0_10empty_typeEEEZNS1_34radix_sort_onesweep_global_offsetsIS3_Lb1EPKiPS5_mNS0_19identity_decomposerEEE10hipError_tT1_T2_PT3_SF_jT4_jjP12ihipStream_tbEUlT_E0_NS1_11comp_targetILNS1_3genE0ELNS1_11target_archE4294967295ELNS1_3gpuE0ELNS1_3repE0EEENS1_52radix_sort_onesweep_histogram_config_static_selectorELNS0_4arch9wavefront6targetE0EEEvSD_.numbered_sgpr, 8
	.set _ZN7rocprim17ROCPRIM_400000_NS6detail17trampoline_kernelINS0_14default_configENS1_35radix_sort_onesweep_config_selectorIiNS0_10empty_typeEEEZNS1_34radix_sort_onesweep_global_offsetsIS3_Lb1EPKiPS5_mNS0_19identity_decomposerEEE10hipError_tT1_T2_PT3_SF_jT4_jjP12ihipStream_tbEUlT_E0_NS1_11comp_targetILNS1_3genE0ELNS1_11target_archE4294967295ELNS1_3gpuE0ELNS1_3repE0EEENS1_52radix_sort_onesweep_histogram_config_static_selectorELNS0_4arch9wavefront6targetE0EEEvSD_.num_named_barrier, 0
	.set _ZN7rocprim17ROCPRIM_400000_NS6detail17trampoline_kernelINS0_14default_configENS1_35radix_sort_onesweep_config_selectorIiNS0_10empty_typeEEEZNS1_34radix_sort_onesweep_global_offsetsIS3_Lb1EPKiPS5_mNS0_19identity_decomposerEEE10hipError_tT1_T2_PT3_SF_jT4_jjP12ihipStream_tbEUlT_E0_NS1_11comp_targetILNS1_3genE0ELNS1_11target_archE4294967295ELNS1_3gpuE0ELNS1_3repE0EEENS1_52radix_sort_onesweep_histogram_config_static_selectorELNS0_4arch9wavefront6targetE0EEEvSD_.private_seg_size, 0
	.set _ZN7rocprim17ROCPRIM_400000_NS6detail17trampoline_kernelINS0_14default_configENS1_35radix_sort_onesweep_config_selectorIiNS0_10empty_typeEEEZNS1_34radix_sort_onesweep_global_offsetsIS3_Lb1EPKiPS5_mNS0_19identity_decomposerEEE10hipError_tT1_T2_PT3_SF_jT4_jjP12ihipStream_tbEUlT_E0_NS1_11comp_targetILNS1_3genE0ELNS1_11target_archE4294967295ELNS1_3gpuE0ELNS1_3repE0EEENS1_52radix_sort_onesweep_histogram_config_static_selectorELNS0_4arch9wavefront6targetE0EEEvSD_.uses_vcc, 1
	.set _ZN7rocprim17ROCPRIM_400000_NS6detail17trampoline_kernelINS0_14default_configENS1_35radix_sort_onesweep_config_selectorIiNS0_10empty_typeEEEZNS1_34radix_sort_onesweep_global_offsetsIS3_Lb1EPKiPS5_mNS0_19identity_decomposerEEE10hipError_tT1_T2_PT3_SF_jT4_jjP12ihipStream_tbEUlT_E0_NS1_11comp_targetILNS1_3genE0ELNS1_11target_archE4294967295ELNS1_3gpuE0ELNS1_3repE0EEENS1_52radix_sort_onesweep_histogram_config_static_selectorELNS0_4arch9wavefront6targetE0EEEvSD_.uses_flat_scratch, 0
	.set _ZN7rocprim17ROCPRIM_400000_NS6detail17trampoline_kernelINS0_14default_configENS1_35radix_sort_onesweep_config_selectorIiNS0_10empty_typeEEEZNS1_34radix_sort_onesweep_global_offsetsIS3_Lb1EPKiPS5_mNS0_19identity_decomposerEEE10hipError_tT1_T2_PT3_SF_jT4_jjP12ihipStream_tbEUlT_E0_NS1_11comp_targetILNS1_3genE0ELNS1_11target_archE4294967295ELNS1_3gpuE0ELNS1_3repE0EEENS1_52radix_sort_onesweep_histogram_config_static_selectorELNS0_4arch9wavefront6targetE0EEEvSD_.has_dyn_sized_stack, 0
	.set _ZN7rocprim17ROCPRIM_400000_NS6detail17trampoline_kernelINS0_14default_configENS1_35radix_sort_onesweep_config_selectorIiNS0_10empty_typeEEEZNS1_34radix_sort_onesweep_global_offsetsIS3_Lb1EPKiPS5_mNS0_19identity_decomposerEEE10hipError_tT1_T2_PT3_SF_jT4_jjP12ihipStream_tbEUlT_E0_NS1_11comp_targetILNS1_3genE0ELNS1_11target_archE4294967295ELNS1_3gpuE0ELNS1_3repE0EEENS1_52radix_sort_onesweep_histogram_config_static_selectorELNS0_4arch9wavefront6targetE0EEEvSD_.has_recursion, 0
	.set _ZN7rocprim17ROCPRIM_400000_NS6detail17trampoline_kernelINS0_14default_configENS1_35radix_sort_onesweep_config_selectorIiNS0_10empty_typeEEEZNS1_34radix_sort_onesweep_global_offsetsIS3_Lb1EPKiPS5_mNS0_19identity_decomposerEEE10hipError_tT1_T2_PT3_SF_jT4_jjP12ihipStream_tbEUlT_E0_NS1_11comp_targetILNS1_3genE0ELNS1_11target_archE4294967295ELNS1_3gpuE0ELNS1_3repE0EEENS1_52radix_sort_onesweep_histogram_config_static_selectorELNS0_4arch9wavefront6targetE0EEEvSD_.has_indirect_call, 0
	.section	.AMDGPU.csdata,"",@progbits
; Kernel info:
; codeLenInByte = 896
; TotalNumSgprs: 10
; NumVgprs: 14
; ScratchSize: 0
; MemoryBound: 0
; FloatMode: 240
; IeeeMode: 1
; LDSByteSize: 128 bytes/workgroup (compile time only)
; SGPRBlocks: 0
; VGPRBlocks: 0
; NumSGPRsForWavesPerEU: 10
; NumVGPRsForWavesPerEU: 14
; NamedBarCnt: 0
; Occupancy: 16
; WaveLimiterHint : 0
; COMPUTE_PGM_RSRC2:SCRATCH_EN: 0
; COMPUTE_PGM_RSRC2:USER_SGPR: 2
; COMPUTE_PGM_RSRC2:TRAP_HANDLER: 0
; COMPUTE_PGM_RSRC2:TGID_X_EN: 1
; COMPUTE_PGM_RSRC2:TGID_Y_EN: 0
; COMPUTE_PGM_RSRC2:TGID_Z_EN: 0
; COMPUTE_PGM_RSRC2:TIDIG_COMP_CNT: 0
	.section	.text._ZN7rocprim17ROCPRIM_400000_NS6detail17trampoline_kernelINS0_14default_configENS1_35radix_sort_onesweep_config_selectorIiNS0_10empty_typeEEEZNS1_34radix_sort_onesweep_global_offsetsIS3_Lb1EPKiPS5_mNS0_19identity_decomposerEEE10hipError_tT1_T2_PT3_SF_jT4_jjP12ihipStream_tbEUlT_E0_NS1_11comp_targetILNS1_3genE6ELNS1_11target_archE950ELNS1_3gpuE13ELNS1_3repE0EEENS1_52radix_sort_onesweep_histogram_config_static_selectorELNS0_4arch9wavefront6targetE0EEEvSD_,"axG",@progbits,_ZN7rocprim17ROCPRIM_400000_NS6detail17trampoline_kernelINS0_14default_configENS1_35radix_sort_onesweep_config_selectorIiNS0_10empty_typeEEEZNS1_34radix_sort_onesweep_global_offsetsIS3_Lb1EPKiPS5_mNS0_19identity_decomposerEEE10hipError_tT1_T2_PT3_SF_jT4_jjP12ihipStream_tbEUlT_E0_NS1_11comp_targetILNS1_3genE6ELNS1_11target_archE950ELNS1_3gpuE13ELNS1_3repE0EEENS1_52radix_sort_onesweep_histogram_config_static_selectorELNS0_4arch9wavefront6targetE0EEEvSD_,comdat
	.protected	_ZN7rocprim17ROCPRIM_400000_NS6detail17trampoline_kernelINS0_14default_configENS1_35radix_sort_onesweep_config_selectorIiNS0_10empty_typeEEEZNS1_34radix_sort_onesweep_global_offsetsIS3_Lb1EPKiPS5_mNS0_19identity_decomposerEEE10hipError_tT1_T2_PT3_SF_jT4_jjP12ihipStream_tbEUlT_E0_NS1_11comp_targetILNS1_3genE6ELNS1_11target_archE950ELNS1_3gpuE13ELNS1_3repE0EEENS1_52radix_sort_onesweep_histogram_config_static_selectorELNS0_4arch9wavefront6targetE0EEEvSD_ ; -- Begin function _ZN7rocprim17ROCPRIM_400000_NS6detail17trampoline_kernelINS0_14default_configENS1_35radix_sort_onesweep_config_selectorIiNS0_10empty_typeEEEZNS1_34radix_sort_onesweep_global_offsetsIS3_Lb1EPKiPS5_mNS0_19identity_decomposerEEE10hipError_tT1_T2_PT3_SF_jT4_jjP12ihipStream_tbEUlT_E0_NS1_11comp_targetILNS1_3genE6ELNS1_11target_archE950ELNS1_3gpuE13ELNS1_3repE0EEENS1_52radix_sort_onesweep_histogram_config_static_selectorELNS0_4arch9wavefront6targetE0EEEvSD_
	.globl	_ZN7rocprim17ROCPRIM_400000_NS6detail17trampoline_kernelINS0_14default_configENS1_35radix_sort_onesweep_config_selectorIiNS0_10empty_typeEEEZNS1_34radix_sort_onesweep_global_offsetsIS3_Lb1EPKiPS5_mNS0_19identity_decomposerEEE10hipError_tT1_T2_PT3_SF_jT4_jjP12ihipStream_tbEUlT_E0_NS1_11comp_targetILNS1_3genE6ELNS1_11target_archE950ELNS1_3gpuE13ELNS1_3repE0EEENS1_52radix_sort_onesweep_histogram_config_static_selectorELNS0_4arch9wavefront6targetE0EEEvSD_
	.p2align	8
	.type	_ZN7rocprim17ROCPRIM_400000_NS6detail17trampoline_kernelINS0_14default_configENS1_35radix_sort_onesweep_config_selectorIiNS0_10empty_typeEEEZNS1_34radix_sort_onesweep_global_offsetsIS3_Lb1EPKiPS5_mNS0_19identity_decomposerEEE10hipError_tT1_T2_PT3_SF_jT4_jjP12ihipStream_tbEUlT_E0_NS1_11comp_targetILNS1_3genE6ELNS1_11target_archE950ELNS1_3gpuE13ELNS1_3repE0EEENS1_52radix_sort_onesweep_histogram_config_static_selectorELNS0_4arch9wavefront6targetE0EEEvSD_,@function
_ZN7rocprim17ROCPRIM_400000_NS6detail17trampoline_kernelINS0_14default_configENS1_35radix_sort_onesweep_config_selectorIiNS0_10empty_typeEEEZNS1_34radix_sort_onesweep_global_offsetsIS3_Lb1EPKiPS5_mNS0_19identity_decomposerEEE10hipError_tT1_T2_PT3_SF_jT4_jjP12ihipStream_tbEUlT_E0_NS1_11comp_targetILNS1_3genE6ELNS1_11target_archE950ELNS1_3gpuE13ELNS1_3repE0EEENS1_52radix_sort_onesweep_histogram_config_static_selectorELNS0_4arch9wavefront6targetE0EEEvSD_: ; @_ZN7rocprim17ROCPRIM_400000_NS6detail17trampoline_kernelINS0_14default_configENS1_35radix_sort_onesweep_config_selectorIiNS0_10empty_typeEEEZNS1_34radix_sort_onesweep_global_offsetsIS3_Lb1EPKiPS5_mNS0_19identity_decomposerEEE10hipError_tT1_T2_PT3_SF_jT4_jjP12ihipStream_tbEUlT_E0_NS1_11comp_targetILNS1_3genE6ELNS1_11target_archE950ELNS1_3gpuE13ELNS1_3repE0EEENS1_52radix_sort_onesweep_histogram_config_static_selectorELNS0_4arch9wavefront6targetE0EEEvSD_
; %bb.0:
	.section	.rodata,"a",@progbits
	.p2align	6, 0x0
	.amdhsa_kernel _ZN7rocprim17ROCPRIM_400000_NS6detail17trampoline_kernelINS0_14default_configENS1_35radix_sort_onesweep_config_selectorIiNS0_10empty_typeEEEZNS1_34radix_sort_onesweep_global_offsetsIS3_Lb1EPKiPS5_mNS0_19identity_decomposerEEE10hipError_tT1_T2_PT3_SF_jT4_jjP12ihipStream_tbEUlT_E0_NS1_11comp_targetILNS1_3genE6ELNS1_11target_archE950ELNS1_3gpuE13ELNS1_3repE0EEENS1_52radix_sort_onesweep_histogram_config_static_selectorELNS0_4arch9wavefront6targetE0EEEvSD_
		.amdhsa_group_segment_fixed_size 0
		.amdhsa_private_segment_fixed_size 0
		.amdhsa_kernarg_size 8
		.amdhsa_user_sgpr_count 2
		.amdhsa_user_sgpr_dispatch_ptr 0
		.amdhsa_user_sgpr_queue_ptr 0
		.amdhsa_user_sgpr_kernarg_segment_ptr 1
		.amdhsa_user_sgpr_dispatch_id 0
		.amdhsa_user_sgpr_kernarg_preload_length 0
		.amdhsa_user_sgpr_kernarg_preload_offset 0
		.amdhsa_user_sgpr_private_segment_size 0
		.amdhsa_wavefront_size32 1
		.amdhsa_uses_dynamic_stack 0
		.amdhsa_enable_private_segment 0
		.amdhsa_system_sgpr_workgroup_id_x 1
		.amdhsa_system_sgpr_workgroup_id_y 0
		.amdhsa_system_sgpr_workgroup_id_z 0
		.amdhsa_system_sgpr_workgroup_info 0
		.amdhsa_system_vgpr_workitem_id 0
		.amdhsa_next_free_vgpr 1
		.amdhsa_next_free_sgpr 1
		.amdhsa_named_barrier_count 0
		.amdhsa_reserve_vcc 0
		.amdhsa_float_round_mode_32 0
		.amdhsa_float_round_mode_16_64 0
		.amdhsa_float_denorm_mode_32 3
		.amdhsa_float_denorm_mode_16_64 3
		.amdhsa_fp16_overflow 0
		.amdhsa_memory_ordered 1
		.amdhsa_forward_progress 1
		.amdhsa_inst_pref_size 0
		.amdhsa_round_robin_scheduling 0
		.amdhsa_exception_fp_ieee_invalid_op 0
		.amdhsa_exception_fp_denorm_src 0
		.amdhsa_exception_fp_ieee_div_zero 0
		.amdhsa_exception_fp_ieee_overflow 0
		.amdhsa_exception_fp_ieee_underflow 0
		.amdhsa_exception_fp_ieee_inexact 0
		.amdhsa_exception_int_div_zero 0
	.end_amdhsa_kernel
	.section	.text._ZN7rocprim17ROCPRIM_400000_NS6detail17trampoline_kernelINS0_14default_configENS1_35radix_sort_onesweep_config_selectorIiNS0_10empty_typeEEEZNS1_34radix_sort_onesweep_global_offsetsIS3_Lb1EPKiPS5_mNS0_19identity_decomposerEEE10hipError_tT1_T2_PT3_SF_jT4_jjP12ihipStream_tbEUlT_E0_NS1_11comp_targetILNS1_3genE6ELNS1_11target_archE950ELNS1_3gpuE13ELNS1_3repE0EEENS1_52radix_sort_onesweep_histogram_config_static_selectorELNS0_4arch9wavefront6targetE0EEEvSD_,"axG",@progbits,_ZN7rocprim17ROCPRIM_400000_NS6detail17trampoline_kernelINS0_14default_configENS1_35radix_sort_onesweep_config_selectorIiNS0_10empty_typeEEEZNS1_34radix_sort_onesweep_global_offsetsIS3_Lb1EPKiPS5_mNS0_19identity_decomposerEEE10hipError_tT1_T2_PT3_SF_jT4_jjP12ihipStream_tbEUlT_E0_NS1_11comp_targetILNS1_3genE6ELNS1_11target_archE950ELNS1_3gpuE13ELNS1_3repE0EEENS1_52radix_sort_onesweep_histogram_config_static_selectorELNS0_4arch9wavefront6targetE0EEEvSD_,comdat
.Lfunc_end833:
	.size	_ZN7rocprim17ROCPRIM_400000_NS6detail17trampoline_kernelINS0_14default_configENS1_35radix_sort_onesweep_config_selectorIiNS0_10empty_typeEEEZNS1_34radix_sort_onesweep_global_offsetsIS3_Lb1EPKiPS5_mNS0_19identity_decomposerEEE10hipError_tT1_T2_PT3_SF_jT4_jjP12ihipStream_tbEUlT_E0_NS1_11comp_targetILNS1_3genE6ELNS1_11target_archE950ELNS1_3gpuE13ELNS1_3repE0EEENS1_52radix_sort_onesweep_histogram_config_static_selectorELNS0_4arch9wavefront6targetE0EEEvSD_, .Lfunc_end833-_ZN7rocprim17ROCPRIM_400000_NS6detail17trampoline_kernelINS0_14default_configENS1_35radix_sort_onesweep_config_selectorIiNS0_10empty_typeEEEZNS1_34radix_sort_onesweep_global_offsetsIS3_Lb1EPKiPS5_mNS0_19identity_decomposerEEE10hipError_tT1_T2_PT3_SF_jT4_jjP12ihipStream_tbEUlT_E0_NS1_11comp_targetILNS1_3genE6ELNS1_11target_archE950ELNS1_3gpuE13ELNS1_3repE0EEENS1_52radix_sort_onesweep_histogram_config_static_selectorELNS0_4arch9wavefront6targetE0EEEvSD_
                                        ; -- End function
	.set _ZN7rocprim17ROCPRIM_400000_NS6detail17trampoline_kernelINS0_14default_configENS1_35radix_sort_onesweep_config_selectorIiNS0_10empty_typeEEEZNS1_34radix_sort_onesweep_global_offsetsIS3_Lb1EPKiPS5_mNS0_19identity_decomposerEEE10hipError_tT1_T2_PT3_SF_jT4_jjP12ihipStream_tbEUlT_E0_NS1_11comp_targetILNS1_3genE6ELNS1_11target_archE950ELNS1_3gpuE13ELNS1_3repE0EEENS1_52radix_sort_onesweep_histogram_config_static_selectorELNS0_4arch9wavefront6targetE0EEEvSD_.num_vgpr, 0
	.set _ZN7rocprim17ROCPRIM_400000_NS6detail17trampoline_kernelINS0_14default_configENS1_35radix_sort_onesweep_config_selectorIiNS0_10empty_typeEEEZNS1_34radix_sort_onesweep_global_offsetsIS3_Lb1EPKiPS5_mNS0_19identity_decomposerEEE10hipError_tT1_T2_PT3_SF_jT4_jjP12ihipStream_tbEUlT_E0_NS1_11comp_targetILNS1_3genE6ELNS1_11target_archE950ELNS1_3gpuE13ELNS1_3repE0EEENS1_52radix_sort_onesweep_histogram_config_static_selectorELNS0_4arch9wavefront6targetE0EEEvSD_.num_agpr, 0
	.set _ZN7rocprim17ROCPRIM_400000_NS6detail17trampoline_kernelINS0_14default_configENS1_35radix_sort_onesweep_config_selectorIiNS0_10empty_typeEEEZNS1_34radix_sort_onesweep_global_offsetsIS3_Lb1EPKiPS5_mNS0_19identity_decomposerEEE10hipError_tT1_T2_PT3_SF_jT4_jjP12ihipStream_tbEUlT_E0_NS1_11comp_targetILNS1_3genE6ELNS1_11target_archE950ELNS1_3gpuE13ELNS1_3repE0EEENS1_52radix_sort_onesweep_histogram_config_static_selectorELNS0_4arch9wavefront6targetE0EEEvSD_.numbered_sgpr, 0
	.set _ZN7rocprim17ROCPRIM_400000_NS6detail17trampoline_kernelINS0_14default_configENS1_35radix_sort_onesweep_config_selectorIiNS0_10empty_typeEEEZNS1_34radix_sort_onesweep_global_offsetsIS3_Lb1EPKiPS5_mNS0_19identity_decomposerEEE10hipError_tT1_T2_PT3_SF_jT4_jjP12ihipStream_tbEUlT_E0_NS1_11comp_targetILNS1_3genE6ELNS1_11target_archE950ELNS1_3gpuE13ELNS1_3repE0EEENS1_52radix_sort_onesweep_histogram_config_static_selectorELNS0_4arch9wavefront6targetE0EEEvSD_.num_named_barrier, 0
	.set _ZN7rocprim17ROCPRIM_400000_NS6detail17trampoline_kernelINS0_14default_configENS1_35radix_sort_onesweep_config_selectorIiNS0_10empty_typeEEEZNS1_34radix_sort_onesweep_global_offsetsIS3_Lb1EPKiPS5_mNS0_19identity_decomposerEEE10hipError_tT1_T2_PT3_SF_jT4_jjP12ihipStream_tbEUlT_E0_NS1_11comp_targetILNS1_3genE6ELNS1_11target_archE950ELNS1_3gpuE13ELNS1_3repE0EEENS1_52radix_sort_onesweep_histogram_config_static_selectorELNS0_4arch9wavefront6targetE0EEEvSD_.private_seg_size, 0
	.set _ZN7rocprim17ROCPRIM_400000_NS6detail17trampoline_kernelINS0_14default_configENS1_35radix_sort_onesweep_config_selectorIiNS0_10empty_typeEEEZNS1_34radix_sort_onesweep_global_offsetsIS3_Lb1EPKiPS5_mNS0_19identity_decomposerEEE10hipError_tT1_T2_PT3_SF_jT4_jjP12ihipStream_tbEUlT_E0_NS1_11comp_targetILNS1_3genE6ELNS1_11target_archE950ELNS1_3gpuE13ELNS1_3repE0EEENS1_52radix_sort_onesweep_histogram_config_static_selectorELNS0_4arch9wavefront6targetE0EEEvSD_.uses_vcc, 0
	.set _ZN7rocprim17ROCPRIM_400000_NS6detail17trampoline_kernelINS0_14default_configENS1_35radix_sort_onesweep_config_selectorIiNS0_10empty_typeEEEZNS1_34radix_sort_onesweep_global_offsetsIS3_Lb1EPKiPS5_mNS0_19identity_decomposerEEE10hipError_tT1_T2_PT3_SF_jT4_jjP12ihipStream_tbEUlT_E0_NS1_11comp_targetILNS1_3genE6ELNS1_11target_archE950ELNS1_3gpuE13ELNS1_3repE0EEENS1_52radix_sort_onesweep_histogram_config_static_selectorELNS0_4arch9wavefront6targetE0EEEvSD_.uses_flat_scratch, 0
	.set _ZN7rocprim17ROCPRIM_400000_NS6detail17trampoline_kernelINS0_14default_configENS1_35radix_sort_onesweep_config_selectorIiNS0_10empty_typeEEEZNS1_34radix_sort_onesweep_global_offsetsIS3_Lb1EPKiPS5_mNS0_19identity_decomposerEEE10hipError_tT1_T2_PT3_SF_jT4_jjP12ihipStream_tbEUlT_E0_NS1_11comp_targetILNS1_3genE6ELNS1_11target_archE950ELNS1_3gpuE13ELNS1_3repE0EEENS1_52radix_sort_onesweep_histogram_config_static_selectorELNS0_4arch9wavefront6targetE0EEEvSD_.has_dyn_sized_stack, 0
	.set _ZN7rocprim17ROCPRIM_400000_NS6detail17trampoline_kernelINS0_14default_configENS1_35radix_sort_onesweep_config_selectorIiNS0_10empty_typeEEEZNS1_34radix_sort_onesweep_global_offsetsIS3_Lb1EPKiPS5_mNS0_19identity_decomposerEEE10hipError_tT1_T2_PT3_SF_jT4_jjP12ihipStream_tbEUlT_E0_NS1_11comp_targetILNS1_3genE6ELNS1_11target_archE950ELNS1_3gpuE13ELNS1_3repE0EEENS1_52radix_sort_onesweep_histogram_config_static_selectorELNS0_4arch9wavefront6targetE0EEEvSD_.has_recursion, 0
	.set _ZN7rocprim17ROCPRIM_400000_NS6detail17trampoline_kernelINS0_14default_configENS1_35radix_sort_onesweep_config_selectorIiNS0_10empty_typeEEEZNS1_34radix_sort_onesweep_global_offsetsIS3_Lb1EPKiPS5_mNS0_19identity_decomposerEEE10hipError_tT1_T2_PT3_SF_jT4_jjP12ihipStream_tbEUlT_E0_NS1_11comp_targetILNS1_3genE6ELNS1_11target_archE950ELNS1_3gpuE13ELNS1_3repE0EEENS1_52radix_sort_onesweep_histogram_config_static_selectorELNS0_4arch9wavefront6targetE0EEEvSD_.has_indirect_call, 0
	.section	.AMDGPU.csdata,"",@progbits
; Kernel info:
; codeLenInByte = 0
; TotalNumSgprs: 0
; NumVgprs: 0
; ScratchSize: 0
; MemoryBound: 0
; FloatMode: 240
; IeeeMode: 1
; LDSByteSize: 0 bytes/workgroup (compile time only)
; SGPRBlocks: 0
; VGPRBlocks: 0
; NumSGPRsForWavesPerEU: 1
; NumVGPRsForWavesPerEU: 1
; NamedBarCnt: 0
; Occupancy: 16
; WaveLimiterHint : 0
; COMPUTE_PGM_RSRC2:SCRATCH_EN: 0
; COMPUTE_PGM_RSRC2:USER_SGPR: 2
; COMPUTE_PGM_RSRC2:TRAP_HANDLER: 0
; COMPUTE_PGM_RSRC2:TGID_X_EN: 1
; COMPUTE_PGM_RSRC2:TGID_Y_EN: 0
; COMPUTE_PGM_RSRC2:TGID_Z_EN: 0
; COMPUTE_PGM_RSRC2:TIDIG_COMP_CNT: 0
	.section	.text._ZN7rocprim17ROCPRIM_400000_NS6detail17trampoline_kernelINS0_14default_configENS1_35radix_sort_onesweep_config_selectorIiNS0_10empty_typeEEEZNS1_34radix_sort_onesweep_global_offsetsIS3_Lb1EPKiPS5_mNS0_19identity_decomposerEEE10hipError_tT1_T2_PT3_SF_jT4_jjP12ihipStream_tbEUlT_E0_NS1_11comp_targetILNS1_3genE5ELNS1_11target_archE942ELNS1_3gpuE9ELNS1_3repE0EEENS1_52radix_sort_onesweep_histogram_config_static_selectorELNS0_4arch9wavefront6targetE0EEEvSD_,"axG",@progbits,_ZN7rocprim17ROCPRIM_400000_NS6detail17trampoline_kernelINS0_14default_configENS1_35radix_sort_onesweep_config_selectorIiNS0_10empty_typeEEEZNS1_34radix_sort_onesweep_global_offsetsIS3_Lb1EPKiPS5_mNS0_19identity_decomposerEEE10hipError_tT1_T2_PT3_SF_jT4_jjP12ihipStream_tbEUlT_E0_NS1_11comp_targetILNS1_3genE5ELNS1_11target_archE942ELNS1_3gpuE9ELNS1_3repE0EEENS1_52radix_sort_onesweep_histogram_config_static_selectorELNS0_4arch9wavefront6targetE0EEEvSD_,comdat
	.protected	_ZN7rocprim17ROCPRIM_400000_NS6detail17trampoline_kernelINS0_14default_configENS1_35radix_sort_onesweep_config_selectorIiNS0_10empty_typeEEEZNS1_34radix_sort_onesweep_global_offsetsIS3_Lb1EPKiPS5_mNS0_19identity_decomposerEEE10hipError_tT1_T2_PT3_SF_jT4_jjP12ihipStream_tbEUlT_E0_NS1_11comp_targetILNS1_3genE5ELNS1_11target_archE942ELNS1_3gpuE9ELNS1_3repE0EEENS1_52radix_sort_onesweep_histogram_config_static_selectorELNS0_4arch9wavefront6targetE0EEEvSD_ ; -- Begin function _ZN7rocprim17ROCPRIM_400000_NS6detail17trampoline_kernelINS0_14default_configENS1_35radix_sort_onesweep_config_selectorIiNS0_10empty_typeEEEZNS1_34radix_sort_onesweep_global_offsetsIS3_Lb1EPKiPS5_mNS0_19identity_decomposerEEE10hipError_tT1_T2_PT3_SF_jT4_jjP12ihipStream_tbEUlT_E0_NS1_11comp_targetILNS1_3genE5ELNS1_11target_archE942ELNS1_3gpuE9ELNS1_3repE0EEENS1_52radix_sort_onesweep_histogram_config_static_selectorELNS0_4arch9wavefront6targetE0EEEvSD_
	.globl	_ZN7rocprim17ROCPRIM_400000_NS6detail17trampoline_kernelINS0_14default_configENS1_35radix_sort_onesweep_config_selectorIiNS0_10empty_typeEEEZNS1_34radix_sort_onesweep_global_offsetsIS3_Lb1EPKiPS5_mNS0_19identity_decomposerEEE10hipError_tT1_T2_PT3_SF_jT4_jjP12ihipStream_tbEUlT_E0_NS1_11comp_targetILNS1_3genE5ELNS1_11target_archE942ELNS1_3gpuE9ELNS1_3repE0EEENS1_52radix_sort_onesweep_histogram_config_static_selectorELNS0_4arch9wavefront6targetE0EEEvSD_
	.p2align	8
	.type	_ZN7rocprim17ROCPRIM_400000_NS6detail17trampoline_kernelINS0_14default_configENS1_35radix_sort_onesweep_config_selectorIiNS0_10empty_typeEEEZNS1_34radix_sort_onesweep_global_offsetsIS3_Lb1EPKiPS5_mNS0_19identity_decomposerEEE10hipError_tT1_T2_PT3_SF_jT4_jjP12ihipStream_tbEUlT_E0_NS1_11comp_targetILNS1_3genE5ELNS1_11target_archE942ELNS1_3gpuE9ELNS1_3repE0EEENS1_52radix_sort_onesweep_histogram_config_static_selectorELNS0_4arch9wavefront6targetE0EEEvSD_,@function
_ZN7rocprim17ROCPRIM_400000_NS6detail17trampoline_kernelINS0_14default_configENS1_35radix_sort_onesweep_config_selectorIiNS0_10empty_typeEEEZNS1_34radix_sort_onesweep_global_offsetsIS3_Lb1EPKiPS5_mNS0_19identity_decomposerEEE10hipError_tT1_T2_PT3_SF_jT4_jjP12ihipStream_tbEUlT_E0_NS1_11comp_targetILNS1_3genE5ELNS1_11target_archE942ELNS1_3gpuE9ELNS1_3repE0EEENS1_52radix_sort_onesweep_histogram_config_static_selectorELNS0_4arch9wavefront6targetE0EEEvSD_: ; @_ZN7rocprim17ROCPRIM_400000_NS6detail17trampoline_kernelINS0_14default_configENS1_35radix_sort_onesweep_config_selectorIiNS0_10empty_typeEEEZNS1_34radix_sort_onesweep_global_offsetsIS3_Lb1EPKiPS5_mNS0_19identity_decomposerEEE10hipError_tT1_T2_PT3_SF_jT4_jjP12ihipStream_tbEUlT_E0_NS1_11comp_targetILNS1_3genE5ELNS1_11target_archE942ELNS1_3gpuE9ELNS1_3repE0EEENS1_52radix_sort_onesweep_histogram_config_static_selectorELNS0_4arch9wavefront6targetE0EEEvSD_
; %bb.0:
	.section	.rodata,"a",@progbits
	.p2align	6, 0x0
	.amdhsa_kernel _ZN7rocprim17ROCPRIM_400000_NS6detail17trampoline_kernelINS0_14default_configENS1_35radix_sort_onesweep_config_selectorIiNS0_10empty_typeEEEZNS1_34radix_sort_onesweep_global_offsetsIS3_Lb1EPKiPS5_mNS0_19identity_decomposerEEE10hipError_tT1_T2_PT3_SF_jT4_jjP12ihipStream_tbEUlT_E0_NS1_11comp_targetILNS1_3genE5ELNS1_11target_archE942ELNS1_3gpuE9ELNS1_3repE0EEENS1_52radix_sort_onesweep_histogram_config_static_selectorELNS0_4arch9wavefront6targetE0EEEvSD_
		.amdhsa_group_segment_fixed_size 0
		.amdhsa_private_segment_fixed_size 0
		.amdhsa_kernarg_size 8
		.amdhsa_user_sgpr_count 2
		.amdhsa_user_sgpr_dispatch_ptr 0
		.amdhsa_user_sgpr_queue_ptr 0
		.amdhsa_user_sgpr_kernarg_segment_ptr 1
		.amdhsa_user_sgpr_dispatch_id 0
		.amdhsa_user_sgpr_kernarg_preload_length 0
		.amdhsa_user_sgpr_kernarg_preload_offset 0
		.amdhsa_user_sgpr_private_segment_size 0
		.amdhsa_wavefront_size32 1
		.amdhsa_uses_dynamic_stack 0
		.amdhsa_enable_private_segment 0
		.amdhsa_system_sgpr_workgroup_id_x 1
		.amdhsa_system_sgpr_workgroup_id_y 0
		.amdhsa_system_sgpr_workgroup_id_z 0
		.amdhsa_system_sgpr_workgroup_info 0
		.amdhsa_system_vgpr_workitem_id 0
		.amdhsa_next_free_vgpr 1
		.amdhsa_next_free_sgpr 1
		.amdhsa_named_barrier_count 0
		.amdhsa_reserve_vcc 0
		.amdhsa_float_round_mode_32 0
		.amdhsa_float_round_mode_16_64 0
		.amdhsa_float_denorm_mode_32 3
		.amdhsa_float_denorm_mode_16_64 3
		.amdhsa_fp16_overflow 0
		.amdhsa_memory_ordered 1
		.amdhsa_forward_progress 1
		.amdhsa_inst_pref_size 0
		.amdhsa_round_robin_scheduling 0
		.amdhsa_exception_fp_ieee_invalid_op 0
		.amdhsa_exception_fp_denorm_src 0
		.amdhsa_exception_fp_ieee_div_zero 0
		.amdhsa_exception_fp_ieee_overflow 0
		.amdhsa_exception_fp_ieee_underflow 0
		.amdhsa_exception_fp_ieee_inexact 0
		.amdhsa_exception_int_div_zero 0
	.end_amdhsa_kernel
	.section	.text._ZN7rocprim17ROCPRIM_400000_NS6detail17trampoline_kernelINS0_14default_configENS1_35radix_sort_onesweep_config_selectorIiNS0_10empty_typeEEEZNS1_34radix_sort_onesweep_global_offsetsIS3_Lb1EPKiPS5_mNS0_19identity_decomposerEEE10hipError_tT1_T2_PT3_SF_jT4_jjP12ihipStream_tbEUlT_E0_NS1_11comp_targetILNS1_3genE5ELNS1_11target_archE942ELNS1_3gpuE9ELNS1_3repE0EEENS1_52radix_sort_onesweep_histogram_config_static_selectorELNS0_4arch9wavefront6targetE0EEEvSD_,"axG",@progbits,_ZN7rocprim17ROCPRIM_400000_NS6detail17trampoline_kernelINS0_14default_configENS1_35radix_sort_onesweep_config_selectorIiNS0_10empty_typeEEEZNS1_34radix_sort_onesweep_global_offsetsIS3_Lb1EPKiPS5_mNS0_19identity_decomposerEEE10hipError_tT1_T2_PT3_SF_jT4_jjP12ihipStream_tbEUlT_E0_NS1_11comp_targetILNS1_3genE5ELNS1_11target_archE942ELNS1_3gpuE9ELNS1_3repE0EEENS1_52radix_sort_onesweep_histogram_config_static_selectorELNS0_4arch9wavefront6targetE0EEEvSD_,comdat
.Lfunc_end834:
	.size	_ZN7rocprim17ROCPRIM_400000_NS6detail17trampoline_kernelINS0_14default_configENS1_35radix_sort_onesweep_config_selectorIiNS0_10empty_typeEEEZNS1_34radix_sort_onesweep_global_offsetsIS3_Lb1EPKiPS5_mNS0_19identity_decomposerEEE10hipError_tT1_T2_PT3_SF_jT4_jjP12ihipStream_tbEUlT_E0_NS1_11comp_targetILNS1_3genE5ELNS1_11target_archE942ELNS1_3gpuE9ELNS1_3repE0EEENS1_52radix_sort_onesweep_histogram_config_static_selectorELNS0_4arch9wavefront6targetE0EEEvSD_, .Lfunc_end834-_ZN7rocprim17ROCPRIM_400000_NS6detail17trampoline_kernelINS0_14default_configENS1_35radix_sort_onesweep_config_selectorIiNS0_10empty_typeEEEZNS1_34radix_sort_onesweep_global_offsetsIS3_Lb1EPKiPS5_mNS0_19identity_decomposerEEE10hipError_tT1_T2_PT3_SF_jT4_jjP12ihipStream_tbEUlT_E0_NS1_11comp_targetILNS1_3genE5ELNS1_11target_archE942ELNS1_3gpuE9ELNS1_3repE0EEENS1_52radix_sort_onesweep_histogram_config_static_selectorELNS0_4arch9wavefront6targetE0EEEvSD_
                                        ; -- End function
	.set _ZN7rocprim17ROCPRIM_400000_NS6detail17trampoline_kernelINS0_14default_configENS1_35radix_sort_onesweep_config_selectorIiNS0_10empty_typeEEEZNS1_34radix_sort_onesweep_global_offsetsIS3_Lb1EPKiPS5_mNS0_19identity_decomposerEEE10hipError_tT1_T2_PT3_SF_jT4_jjP12ihipStream_tbEUlT_E0_NS1_11comp_targetILNS1_3genE5ELNS1_11target_archE942ELNS1_3gpuE9ELNS1_3repE0EEENS1_52radix_sort_onesweep_histogram_config_static_selectorELNS0_4arch9wavefront6targetE0EEEvSD_.num_vgpr, 0
	.set _ZN7rocprim17ROCPRIM_400000_NS6detail17trampoline_kernelINS0_14default_configENS1_35radix_sort_onesweep_config_selectorIiNS0_10empty_typeEEEZNS1_34radix_sort_onesweep_global_offsetsIS3_Lb1EPKiPS5_mNS0_19identity_decomposerEEE10hipError_tT1_T2_PT3_SF_jT4_jjP12ihipStream_tbEUlT_E0_NS1_11comp_targetILNS1_3genE5ELNS1_11target_archE942ELNS1_3gpuE9ELNS1_3repE0EEENS1_52radix_sort_onesweep_histogram_config_static_selectorELNS0_4arch9wavefront6targetE0EEEvSD_.num_agpr, 0
	.set _ZN7rocprim17ROCPRIM_400000_NS6detail17trampoline_kernelINS0_14default_configENS1_35radix_sort_onesweep_config_selectorIiNS0_10empty_typeEEEZNS1_34radix_sort_onesweep_global_offsetsIS3_Lb1EPKiPS5_mNS0_19identity_decomposerEEE10hipError_tT1_T2_PT3_SF_jT4_jjP12ihipStream_tbEUlT_E0_NS1_11comp_targetILNS1_3genE5ELNS1_11target_archE942ELNS1_3gpuE9ELNS1_3repE0EEENS1_52radix_sort_onesweep_histogram_config_static_selectorELNS0_4arch9wavefront6targetE0EEEvSD_.numbered_sgpr, 0
	.set _ZN7rocprim17ROCPRIM_400000_NS6detail17trampoline_kernelINS0_14default_configENS1_35radix_sort_onesweep_config_selectorIiNS0_10empty_typeEEEZNS1_34radix_sort_onesweep_global_offsetsIS3_Lb1EPKiPS5_mNS0_19identity_decomposerEEE10hipError_tT1_T2_PT3_SF_jT4_jjP12ihipStream_tbEUlT_E0_NS1_11comp_targetILNS1_3genE5ELNS1_11target_archE942ELNS1_3gpuE9ELNS1_3repE0EEENS1_52radix_sort_onesweep_histogram_config_static_selectorELNS0_4arch9wavefront6targetE0EEEvSD_.num_named_barrier, 0
	.set _ZN7rocprim17ROCPRIM_400000_NS6detail17trampoline_kernelINS0_14default_configENS1_35radix_sort_onesweep_config_selectorIiNS0_10empty_typeEEEZNS1_34radix_sort_onesweep_global_offsetsIS3_Lb1EPKiPS5_mNS0_19identity_decomposerEEE10hipError_tT1_T2_PT3_SF_jT4_jjP12ihipStream_tbEUlT_E0_NS1_11comp_targetILNS1_3genE5ELNS1_11target_archE942ELNS1_3gpuE9ELNS1_3repE0EEENS1_52radix_sort_onesweep_histogram_config_static_selectorELNS0_4arch9wavefront6targetE0EEEvSD_.private_seg_size, 0
	.set _ZN7rocprim17ROCPRIM_400000_NS6detail17trampoline_kernelINS0_14default_configENS1_35radix_sort_onesweep_config_selectorIiNS0_10empty_typeEEEZNS1_34radix_sort_onesweep_global_offsetsIS3_Lb1EPKiPS5_mNS0_19identity_decomposerEEE10hipError_tT1_T2_PT3_SF_jT4_jjP12ihipStream_tbEUlT_E0_NS1_11comp_targetILNS1_3genE5ELNS1_11target_archE942ELNS1_3gpuE9ELNS1_3repE0EEENS1_52radix_sort_onesweep_histogram_config_static_selectorELNS0_4arch9wavefront6targetE0EEEvSD_.uses_vcc, 0
	.set _ZN7rocprim17ROCPRIM_400000_NS6detail17trampoline_kernelINS0_14default_configENS1_35radix_sort_onesweep_config_selectorIiNS0_10empty_typeEEEZNS1_34radix_sort_onesweep_global_offsetsIS3_Lb1EPKiPS5_mNS0_19identity_decomposerEEE10hipError_tT1_T2_PT3_SF_jT4_jjP12ihipStream_tbEUlT_E0_NS1_11comp_targetILNS1_3genE5ELNS1_11target_archE942ELNS1_3gpuE9ELNS1_3repE0EEENS1_52radix_sort_onesweep_histogram_config_static_selectorELNS0_4arch9wavefront6targetE0EEEvSD_.uses_flat_scratch, 0
	.set _ZN7rocprim17ROCPRIM_400000_NS6detail17trampoline_kernelINS0_14default_configENS1_35radix_sort_onesweep_config_selectorIiNS0_10empty_typeEEEZNS1_34radix_sort_onesweep_global_offsetsIS3_Lb1EPKiPS5_mNS0_19identity_decomposerEEE10hipError_tT1_T2_PT3_SF_jT4_jjP12ihipStream_tbEUlT_E0_NS1_11comp_targetILNS1_3genE5ELNS1_11target_archE942ELNS1_3gpuE9ELNS1_3repE0EEENS1_52radix_sort_onesweep_histogram_config_static_selectorELNS0_4arch9wavefront6targetE0EEEvSD_.has_dyn_sized_stack, 0
	.set _ZN7rocprim17ROCPRIM_400000_NS6detail17trampoline_kernelINS0_14default_configENS1_35radix_sort_onesweep_config_selectorIiNS0_10empty_typeEEEZNS1_34radix_sort_onesweep_global_offsetsIS3_Lb1EPKiPS5_mNS0_19identity_decomposerEEE10hipError_tT1_T2_PT3_SF_jT4_jjP12ihipStream_tbEUlT_E0_NS1_11comp_targetILNS1_3genE5ELNS1_11target_archE942ELNS1_3gpuE9ELNS1_3repE0EEENS1_52radix_sort_onesweep_histogram_config_static_selectorELNS0_4arch9wavefront6targetE0EEEvSD_.has_recursion, 0
	.set _ZN7rocprim17ROCPRIM_400000_NS6detail17trampoline_kernelINS0_14default_configENS1_35radix_sort_onesweep_config_selectorIiNS0_10empty_typeEEEZNS1_34radix_sort_onesweep_global_offsetsIS3_Lb1EPKiPS5_mNS0_19identity_decomposerEEE10hipError_tT1_T2_PT3_SF_jT4_jjP12ihipStream_tbEUlT_E0_NS1_11comp_targetILNS1_3genE5ELNS1_11target_archE942ELNS1_3gpuE9ELNS1_3repE0EEENS1_52radix_sort_onesweep_histogram_config_static_selectorELNS0_4arch9wavefront6targetE0EEEvSD_.has_indirect_call, 0
	.section	.AMDGPU.csdata,"",@progbits
; Kernel info:
; codeLenInByte = 0
; TotalNumSgprs: 0
; NumVgprs: 0
; ScratchSize: 0
; MemoryBound: 0
; FloatMode: 240
; IeeeMode: 1
; LDSByteSize: 0 bytes/workgroup (compile time only)
; SGPRBlocks: 0
; VGPRBlocks: 0
; NumSGPRsForWavesPerEU: 1
; NumVGPRsForWavesPerEU: 1
; NamedBarCnt: 0
; Occupancy: 16
; WaveLimiterHint : 0
; COMPUTE_PGM_RSRC2:SCRATCH_EN: 0
; COMPUTE_PGM_RSRC2:USER_SGPR: 2
; COMPUTE_PGM_RSRC2:TRAP_HANDLER: 0
; COMPUTE_PGM_RSRC2:TGID_X_EN: 1
; COMPUTE_PGM_RSRC2:TGID_Y_EN: 0
; COMPUTE_PGM_RSRC2:TGID_Z_EN: 0
; COMPUTE_PGM_RSRC2:TIDIG_COMP_CNT: 0
	.section	.text._ZN7rocprim17ROCPRIM_400000_NS6detail17trampoline_kernelINS0_14default_configENS1_35radix_sort_onesweep_config_selectorIiNS0_10empty_typeEEEZNS1_34radix_sort_onesweep_global_offsetsIS3_Lb1EPKiPS5_mNS0_19identity_decomposerEEE10hipError_tT1_T2_PT3_SF_jT4_jjP12ihipStream_tbEUlT_E0_NS1_11comp_targetILNS1_3genE2ELNS1_11target_archE906ELNS1_3gpuE6ELNS1_3repE0EEENS1_52radix_sort_onesweep_histogram_config_static_selectorELNS0_4arch9wavefront6targetE0EEEvSD_,"axG",@progbits,_ZN7rocprim17ROCPRIM_400000_NS6detail17trampoline_kernelINS0_14default_configENS1_35radix_sort_onesweep_config_selectorIiNS0_10empty_typeEEEZNS1_34radix_sort_onesweep_global_offsetsIS3_Lb1EPKiPS5_mNS0_19identity_decomposerEEE10hipError_tT1_T2_PT3_SF_jT4_jjP12ihipStream_tbEUlT_E0_NS1_11comp_targetILNS1_3genE2ELNS1_11target_archE906ELNS1_3gpuE6ELNS1_3repE0EEENS1_52radix_sort_onesweep_histogram_config_static_selectorELNS0_4arch9wavefront6targetE0EEEvSD_,comdat
	.protected	_ZN7rocprim17ROCPRIM_400000_NS6detail17trampoline_kernelINS0_14default_configENS1_35radix_sort_onesweep_config_selectorIiNS0_10empty_typeEEEZNS1_34radix_sort_onesweep_global_offsetsIS3_Lb1EPKiPS5_mNS0_19identity_decomposerEEE10hipError_tT1_T2_PT3_SF_jT4_jjP12ihipStream_tbEUlT_E0_NS1_11comp_targetILNS1_3genE2ELNS1_11target_archE906ELNS1_3gpuE6ELNS1_3repE0EEENS1_52radix_sort_onesweep_histogram_config_static_selectorELNS0_4arch9wavefront6targetE0EEEvSD_ ; -- Begin function _ZN7rocprim17ROCPRIM_400000_NS6detail17trampoline_kernelINS0_14default_configENS1_35radix_sort_onesweep_config_selectorIiNS0_10empty_typeEEEZNS1_34radix_sort_onesweep_global_offsetsIS3_Lb1EPKiPS5_mNS0_19identity_decomposerEEE10hipError_tT1_T2_PT3_SF_jT4_jjP12ihipStream_tbEUlT_E0_NS1_11comp_targetILNS1_3genE2ELNS1_11target_archE906ELNS1_3gpuE6ELNS1_3repE0EEENS1_52radix_sort_onesweep_histogram_config_static_selectorELNS0_4arch9wavefront6targetE0EEEvSD_
	.globl	_ZN7rocprim17ROCPRIM_400000_NS6detail17trampoline_kernelINS0_14default_configENS1_35radix_sort_onesweep_config_selectorIiNS0_10empty_typeEEEZNS1_34radix_sort_onesweep_global_offsetsIS3_Lb1EPKiPS5_mNS0_19identity_decomposerEEE10hipError_tT1_T2_PT3_SF_jT4_jjP12ihipStream_tbEUlT_E0_NS1_11comp_targetILNS1_3genE2ELNS1_11target_archE906ELNS1_3gpuE6ELNS1_3repE0EEENS1_52radix_sort_onesweep_histogram_config_static_selectorELNS0_4arch9wavefront6targetE0EEEvSD_
	.p2align	8
	.type	_ZN7rocprim17ROCPRIM_400000_NS6detail17trampoline_kernelINS0_14default_configENS1_35radix_sort_onesweep_config_selectorIiNS0_10empty_typeEEEZNS1_34radix_sort_onesweep_global_offsetsIS3_Lb1EPKiPS5_mNS0_19identity_decomposerEEE10hipError_tT1_T2_PT3_SF_jT4_jjP12ihipStream_tbEUlT_E0_NS1_11comp_targetILNS1_3genE2ELNS1_11target_archE906ELNS1_3gpuE6ELNS1_3repE0EEENS1_52radix_sort_onesweep_histogram_config_static_selectorELNS0_4arch9wavefront6targetE0EEEvSD_,@function
_ZN7rocprim17ROCPRIM_400000_NS6detail17trampoline_kernelINS0_14default_configENS1_35radix_sort_onesweep_config_selectorIiNS0_10empty_typeEEEZNS1_34radix_sort_onesweep_global_offsetsIS3_Lb1EPKiPS5_mNS0_19identity_decomposerEEE10hipError_tT1_T2_PT3_SF_jT4_jjP12ihipStream_tbEUlT_E0_NS1_11comp_targetILNS1_3genE2ELNS1_11target_archE906ELNS1_3gpuE6ELNS1_3repE0EEENS1_52radix_sort_onesweep_histogram_config_static_selectorELNS0_4arch9wavefront6targetE0EEEvSD_: ; @_ZN7rocprim17ROCPRIM_400000_NS6detail17trampoline_kernelINS0_14default_configENS1_35radix_sort_onesweep_config_selectorIiNS0_10empty_typeEEEZNS1_34radix_sort_onesweep_global_offsetsIS3_Lb1EPKiPS5_mNS0_19identity_decomposerEEE10hipError_tT1_T2_PT3_SF_jT4_jjP12ihipStream_tbEUlT_E0_NS1_11comp_targetILNS1_3genE2ELNS1_11target_archE906ELNS1_3gpuE6ELNS1_3repE0EEENS1_52radix_sort_onesweep_histogram_config_static_selectorELNS0_4arch9wavefront6targetE0EEEvSD_
; %bb.0:
	.section	.rodata,"a",@progbits
	.p2align	6, 0x0
	.amdhsa_kernel _ZN7rocprim17ROCPRIM_400000_NS6detail17trampoline_kernelINS0_14default_configENS1_35radix_sort_onesweep_config_selectorIiNS0_10empty_typeEEEZNS1_34radix_sort_onesweep_global_offsetsIS3_Lb1EPKiPS5_mNS0_19identity_decomposerEEE10hipError_tT1_T2_PT3_SF_jT4_jjP12ihipStream_tbEUlT_E0_NS1_11comp_targetILNS1_3genE2ELNS1_11target_archE906ELNS1_3gpuE6ELNS1_3repE0EEENS1_52radix_sort_onesweep_histogram_config_static_selectorELNS0_4arch9wavefront6targetE0EEEvSD_
		.amdhsa_group_segment_fixed_size 0
		.amdhsa_private_segment_fixed_size 0
		.amdhsa_kernarg_size 8
		.amdhsa_user_sgpr_count 2
		.amdhsa_user_sgpr_dispatch_ptr 0
		.amdhsa_user_sgpr_queue_ptr 0
		.amdhsa_user_sgpr_kernarg_segment_ptr 1
		.amdhsa_user_sgpr_dispatch_id 0
		.amdhsa_user_sgpr_kernarg_preload_length 0
		.amdhsa_user_sgpr_kernarg_preload_offset 0
		.amdhsa_user_sgpr_private_segment_size 0
		.amdhsa_wavefront_size32 1
		.amdhsa_uses_dynamic_stack 0
		.amdhsa_enable_private_segment 0
		.amdhsa_system_sgpr_workgroup_id_x 1
		.amdhsa_system_sgpr_workgroup_id_y 0
		.amdhsa_system_sgpr_workgroup_id_z 0
		.amdhsa_system_sgpr_workgroup_info 0
		.amdhsa_system_vgpr_workitem_id 0
		.amdhsa_next_free_vgpr 1
		.amdhsa_next_free_sgpr 1
		.amdhsa_named_barrier_count 0
		.amdhsa_reserve_vcc 0
		.amdhsa_float_round_mode_32 0
		.amdhsa_float_round_mode_16_64 0
		.amdhsa_float_denorm_mode_32 3
		.amdhsa_float_denorm_mode_16_64 3
		.amdhsa_fp16_overflow 0
		.amdhsa_memory_ordered 1
		.amdhsa_forward_progress 1
		.amdhsa_inst_pref_size 0
		.amdhsa_round_robin_scheduling 0
		.amdhsa_exception_fp_ieee_invalid_op 0
		.amdhsa_exception_fp_denorm_src 0
		.amdhsa_exception_fp_ieee_div_zero 0
		.amdhsa_exception_fp_ieee_overflow 0
		.amdhsa_exception_fp_ieee_underflow 0
		.amdhsa_exception_fp_ieee_inexact 0
		.amdhsa_exception_int_div_zero 0
	.end_amdhsa_kernel
	.section	.text._ZN7rocprim17ROCPRIM_400000_NS6detail17trampoline_kernelINS0_14default_configENS1_35radix_sort_onesweep_config_selectorIiNS0_10empty_typeEEEZNS1_34radix_sort_onesweep_global_offsetsIS3_Lb1EPKiPS5_mNS0_19identity_decomposerEEE10hipError_tT1_T2_PT3_SF_jT4_jjP12ihipStream_tbEUlT_E0_NS1_11comp_targetILNS1_3genE2ELNS1_11target_archE906ELNS1_3gpuE6ELNS1_3repE0EEENS1_52radix_sort_onesweep_histogram_config_static_selectorELNS0_4arch9wavefront6targetE0EEEvSD_,"axG",@progbits,_ZN7rocprim17ROCPRIM_400000_NS6detail17trampoline_kernelINS0_14default_configENS1_35radix_sort_onesweep_config_selectorIiNS0_10empty_typeEEEZNS1_34radix_sort_onesweep_global_offsetsIS3_Lb1EPKiPS5_mNS0_19identity_decomposerEEE10hipError_tT1_T2_PT3_SF_jT4_jjP12ihipStream_tbEUlT_E0_NS1_11comp_targetILNS1_3genE2ELNS1_11target_archE906ELNS1_3gpuE6ELNS1_3repE0EEENS1_52radix_sort_onesweep_histogram_config_static_selectorELNS0_4arch9wavefront6targetE0EEEvSD_,comdat
.Lfunc_end835:
	.size	_ZN7rocprim17ROCPRIM_400000_NS6detail17trampoline_kernelINS0_14default_configENS1_35radix_sort_onesweep_config_selectorIiNS0_10empty_typeEEEZNS1_34radix_sort_onesweep_global_offsetsIS3_Lb1EPKiPS5_mNS0_19identity_decomposerEEE10hipError_tT1_T2_PT3_SF_jT4_jjP12ihipStream_tbEUlT_E0_NS1_11comp_targetILNS1_3genE2ELNS1_11target_archE906ELNS1_3gpuE6ELNS1_3repE0EEENS1_52radix_sort_onesweep_histogram_config_static_selectorELNS0_4arch9wavefront6targetE0EEEvSD_, .Lfunc_end835-_ZN7rocprim17ROCPRIM_400000_NS6detail17trampoline_kernelINS0_14default_configENS1_35radix_sort_onesweep_config_selectorIiNS0_10empty_typeEEEZNS1_34radix_sort_onesweep_global_offsetsIS3_Lb1EPKiPS5_mNS0_19identity_decomposerEEE10hipError_tT1_T2_PT3_SF_jT4_jjP12ihipStream_tbEUlT_E0_NS1_11comp_targetILNS1_3genE2ELNS1_11target_archE906ELNS1_3gpuE6ELNS1_3repE0EEENS1_52radix_sort_onesweep_histogram_config_static_selectorELNS0_4arch9wavefront6targetE0EEEvSD_
                                        ; -- End function
	.set _ZN7rocprim17ROCPRIM_400000_NS6detail17trampoline_kernelINS0_14default_configENS1_35radix_sort_onesweep_config_selectorIiNS0_10empty_typeEEEZNS1_34radix_sort_onesweep_global_offsetsIS3_Lb1EPKiPS5_mNS0_19identity_decomposerEEE10hipError_tT1_T2_PT3_SF_jT4_jjP12ihipStream_tbEUlT_E0_NS1_11comp_targetILNS1_3genE2ELNS1_11target_archE906ELNS1_3gpuE6ELNS1_3repE0EEENS1_52radix_sort_onesweep_histogram_config_static_selectorELNS0_4arch9wavefront6targetE0EEEvSD_.num_vgpr, 0
	.set _ZN7rocprim17ROCPRIM_400000_NS6detail17trampoline_kernelINS0_14default_configENS1_35radix_sort_onesweep_config_selectorIiNS0_10empty_typeEEEZNS1_34radix_sort_onesweep_global_offsetsIS3_Lb1EPKiPS5_mNS0_19identity_decomposerEEE10hipError_tT1_T2_PT3_SF_jT4_jjP12ihipStream_tbEUlT_E0_NS1_11comp_targetILNS1_3genE2ELNS1_11target_archE906ELNS1_3gpuE6ELNS1_3repE0EEENS1_52radix_sort_onesweep_histogram_config_static_selectorELNS0_4arch9wavefront6targetE0EEEvSD_.num_agpr, 0
	.set _ZN7rocprim17ROCPRIM_400000_NS6detail17trampoline_kernelINS0_14default_configENS1_35radix_sort_onesweep_config_selectorIiNS0_10empty_typeEEEZNS1_34radix_sort_onesweep_global_offsetsIS3_Lb1EPKiPS5_mNS0_19identity_decomposerEEE10hipError_tT1_T2_PT3_SF_jT4_jjP12ihipStream_tbEUlT_E0_NS1_11comp_targetILNS1_3genE2ELNS1_11target_archE906ELNS1_3gpuE6ELNS1_3repE0EEENS1_52radix_sort_onesweep_histogram_config_static_selectorELNS0_4arch9wavefront6targetE0EEEvSD_.numbered_sgpr, 0
	.set _ZN7rocprim17ROCPRIM_400000_NS6detail17trampoline_kernelINS0_14default_configENS1_35radix_sort_onesweep_config_selectorIiNS0_10empty_typeEEEZNS1_34radix_sort_onesweep_global_offsetsIS3_Lb1EPKiPS5_mNS0_19identity_decomposerEEE10hipError_tT1_T2_PT3_SF_jT4_jjP12ihipStream_tbEUlT_E0_NS1_11comp_targetILNS1_3genE2ELNS1_11target_archE906ELNS1_3gpuE6ELNS1_3repE0EEENS1_52radix_sort_onesweep_histogram_config_static_selectorELNS0_4arch9wavefront6targetE0EEEvSD_.num_named_barrier, 0
	.set _ZN7rocprim17ROCPRIM_400000_NS6detail17trampoline_kernelINS0_14default_configENS1_35radix_sort_onesweep_config_selectorIiNS0_10empty_typeEEEZNS1_34radix_sort_onesweep_global_offsetsIS3_Lb1EPKiPS5_mNS0_19identity_decomposerEEE10hipError_tT1_T2_PT3_SF_jT4_jjP12ihipStream_tbEUlT_E0_NS1_11comp_targetILNS1_3genE2ELNS1_11target_archE906ELNS1_3gpuE6ELNS1_3repE0EEENS1_52radix_sort_onesweep_histogram_config_static_selectorELNS0_4arch9wavefront6targetE0EEEvSD_.private_seg_size, 0
	.set _ZN7rocprim17ROCPRIM_400000_NS6detail17trampoline_kernelINS0_14default_configENS1_35radix_sort_onesweep_config_selectorIiNS0_10empty_typeEEEZNS1_34radix_sort_onesweep_global_offsetsIS3_Lb1EPKiPS5_mNS0_19identity_decomposerEEE10hipError_tT1_T2_PT3_SF_jT4_jjP12ihipStream_tbEUlT_E0_NS1_11comp_targetILNS1_3genE2ELNS1_11target_archE906ELNS1_3gpuE6ELNS1_3repE0EEENS1_52radix_sort_onesweep_histogram_config_static_selectorELNS0_4arch9wavefront6targetE0EEEvSD_.uses_vcc, 0
	.set _ZN7rocprim17ROCPRIM_400000_NS6detail17trampoline_kernelINS0_14default_configENS1_35radix_sort_onesweep_config_selectorIiNS0_10empty_typeEEEZNS1_34radix_sort_onesweep_global_offsetsIS3_Lb1EPKiPS5_mNS0_19identity_decomposerEEE10hipError_tT1_T2_PT3_SF_jT4_jjP12ihipStream_tbEUlT_E0_NS1_11comp_targetILNS1_3genE2ELNS1_11target_archE906ELNS1_3gpuE6ELNS1_3repE0EEENS1_52radix_sort_onesweep_histogram_config_static_selectorELNS0_4arch9wavefront6targetE0EEEvSD_.uses_flat_scratch, 0
	.set _ZN7rocprim17ROCPRIM_400000_NS6detail17trampoline_kernelINS0_14default_configENS1_35radix_sort_onesweep_config_selectorIiNS0_10empty_typeEEEZNS1_34radix_sort_onesweep_global_offsetsIS3_Lb1EPKiPS5_mNS0_19identity_decomposerEEE10hipError_tT1_T2_PT3_SF_jT4_jjP12ihipStream_tbEUlT_E0_NS1_11comp_targetILNS1_3genE2ELNS1_11target_archE906ELNS1_3gpuE6ELNS1_3repE0EEENS1_52radix_sort_onesweep_histogram_config_static_selectorELNS0_4arch9wavefront6targetE0EEEvSD_.has_dyn_sized_stack, 0
	.set _ZN7rocprim17ROCPRIM_400000_NS6detail17trampoline_kernelINS0_14default_configENS1_35radix_sort_onesweep_config_selectorIiNS0_10empty_typeEEEZNS1_34radix_sort_onesweep_global_offsetsIS3_Lb1EPKiPS5_mNS0_19identity_decomposerEEE10hipError_tT1_T2_PT3_SF_jT4_jjP12ihipStream_tbEUlT_E0_NS1_11comp_targetILNS1_3genE2ELNS1_11target_archE906ELNS1_3gpuE6ELNS1_3repE0EEENS1_52radix_sort_onesweep_histogram_config_static_selectorELNS0_4arch9wavefront6targetE0EEEvSD_.has_recursion, 0
	.set _ZN7rocprim17ROCPRIM_400000_NS6detail17trampoline_kernelINS0_14default_configENS1_35radix_sort_onesweep_config_selectorIiNS0_10empty_typeEEEZNS1_34radix_sort_onesweep_global_offsetsIS3_Lb1EPKiPS5_mNS0_19identity_decomposerEEE10hipError_tT1_T2_PT3_SF_jT4_jjP12ihipStream_tbEUlT_E0_NS1_11comp_targetILNS1_3genE2ELNS1_11target_archE906ELNS1_3gpuE6ELNS1_3repE0EEENS1_52radix_sort_onesweep_histogram_config_static_selectorELNS0_4arch9wavefront6targetE0EEEvSD_.has_indirect_call, 0
	.section	.AMDGPU.csdata,"",@progbits
; Kernel info:
; codeLenInByte = 0
; TotalNumSgprs: 0
; NumVgprs: 0
; ScratchSize: 0
; MemoryBound: 0
; FloatMode: 240
; IeeeMode: 1
; LDSByteSize: 0 bytes/workgroup (compile time only)
; SGPRBlocks: 0
; VGPRBlocks: 0
; NumSGPRsForWavesPerEU: 1
; NumVGPRsForWavesPerEU: 1
; NamedBarCnt: 0
; Occupancy: 16
; WaveLimiterHint : 0
; COMPUTE_PGM_RSRC2:SCRATCH_EN: 0
; COMPUTE_PGM_RSRC2:USER_SGPR: 2
; COMPUTE_PGM_RSRC2:TRAP_HANDLER: 0
; COMPUTE_PGM_RSRC2:TGID_X_EN: 1
; COMPUTE_PGM_RSRC2:TGID_Y_EN: 0
; COMPUTE_PGM_RSRC2:TGID_Z_EN: 0
; COMPUTE_PGM_RSRC2:TIDIG_COMP_CNT: 0
	.section	.text._ZN7rocprim17ROCPRIM_400000_NS6detail17trampoline_kernelINS0_14default_configENS1_35radix_sort_onesweep_config_selectorIiNS0_10empty_typeEEEZNS1_34radix_sort_onesweep_global_offsetsIS3_Lb1EPKiPS5_mNS0_19identity_decomposerEEE10hipError_tT1_T2_PT3_SF_jT4_jjP12ihipStream_tbEUlT_E0_NS1_11comp_targetILNS1_3genE4ELNS1_11target_archE910ELNS1_3gpuE8ELNS1_3repE0EEENS1_52radix_sort_onesweep_histogram_config_static_selectorELNS0_4arch9wavefront6targetE0EEEvSD_,"axG",@progbits,_ZN7rocprim17ROCPRIM_400000_NS6detail17trampoline_kernelINS0_14default_configENS1_35radix_sort_onesweep_config_selectorIiNS0_10empty_typeEEEZNS1_34radix_sort_onesweep_global_offsetsIS3_Lb1EPKiPS5_mNS0_19identity_decomposerEEE10hipError_tT1_T2_PT3_SF_jT4_jjP12ihipStream_tbEUlT_E0_NS1_11comp_targetILNS1_3genE4ELNS1_11target_archE910ELNS1_3gpuE8ELNS1_3repE0EEENS1_52radix_sort_onesweep_histogram_config_static_selectorELNS0_4arch9wavefront6targetE0EEEvSD_,comdat
	.protected	_ZN7rocprim17ROCPRIM_400000_NS6detail17trampoline_kernelINS0_14default_configENS1_35radix_sort_onesweep_config_selectorIiNS0_10empty_typeEEEZNS1_34radix_sort_onesweep_global_offsetsIS3_Lb1EPKiPS5_mNS0_19identity_decomposerEEE10hipError_tT1_T2_PT3_SF_jT4_jjP12ihipStream_tbEUlT_E0_NS1_11comp_targetILNS1_3genE4ELNS1_11target_archE910ELNS1_3gpuE8ELNS1_3repE0EEENS1_52radix_sort_onesweep_histogram_config_static_selectorELNS0_4arch9wavefront6targetE0EEEvSD_ ; -- Begin function _ZN7rocprim17ROCPRIM_400000_NS6detail17trampoline_kernelINS0_14default_configENS1_35radix_sort_onesweep_config_selectorIiNS0_10empty_typeEEEZNS1_34radix_sort_onesweep_global_offsetsIS3_Lb1EPKiPS5_mNS0_19identity_decomposerEEE10hipError_tT1_T2_PT3_SF_jT4_jjP12ihipStream_tbEUlT_E0_NS1_11comp_targetILNS1_3genE4ELNS1_11target_archE910ELNS1_3gpuE8ELNS1_3repE0EEENS1_52radix_sort_onesweep_histogram_config_static_selectorELNS0_4arch9wavefront6targetE0EEEvSD_
	.globl	_ZN7rocprim17ROCPRIM_400000_NS6detail17trampoline_kernelINS0_14default_configENS1_35radix_sort_onesweep_config_selectorIiNS0_10empty_typeEEEZNS1_34radix_sort_onesweep_global_offsetsIS3_Lb1EPKiPS5_mNS0_19identity_decomposerEEE10hipError_tT1_T2_PT3_SF_jT4_jjP12ihipStream_tbEUlT_E0_NS1_11comp_targetILNS1_3genE4ELNS1_11target_archE910ELNS1_3gpuE8ELNS1_3repE0EEENS1_52radix_sort_onesweep_histogram_config_static_selectorELNS0_4arch9wavefront6targetE0EEEvSD_
	.p2align	8
	.type	_ZN7rocprim17ROCPRIM_400000_NS6detail17trampoline_kernelINS0_14default_configENS1_35radix_sort_onesweep_config_selectorIiNS0_10empty_typeEEEZNS1_34radix_sort_onesweep_global_offsetsIS3_Lb1EPKiPS5_mNS0_19identity_decomposerEEE10hipError_tT1_T2_PT3_SF_jT4_jjP12ihipStream_tbEUlT_E0_NS1_11comp_targetILNS1_3genE4ELNS1_11target_archE910ELNS1_3gpuE8ELNS1_3repE0EEENS1_52radix_sort_onesweep_histogram_config_static_selectorELNS0_4arch9wavefront6targetE0EEEvSD_,@function
_ZN7rocprim17ROCPRIM_400000_NS6detail17trampoline_kernelINS0_14default_configENS1_35radix_sort_onesweep_config_selectorIiNS0_10empty_typeEEEZNS1_34radix_sort_onesweep_global_offsetsIS3_Lb1EPKiPS5_mNS0_19identity_decomposerEEE10hipError_tT1_T2_PT3_SF_jT4_jjP12ihipStream_tbEUlT_E0_NS1_11comp_targetILNS1_3genE4ELNS1_11target_archE910ELNS1_3gpuE8ELNS1_3repE0EEENS1_52radix_sort_onesweep_histogram_config_static_selectorELNS0_4arch9wavefront6targetE0EEEvSD_: ; @_ZN7rocprim17ROCPRIM_400000_NS6detail17trampoline_kernelINS0_14default_configENS1_35radix_sort_onesweep_config_selectorIiNS0_10empty_typeEEEZNS1_34radix_sort_onesweep_global_offsetsIS3_Lb1EPKiPS5_mNS0_19identity_decomposerEEE10hipError_tT1_T2_PT3_SF_jT4_jjP12ihipStream_tbEUlT_E0_NS1_11comp_targetILNS1_3genE4ELNS1_11target_archE910ELNS1_3gpuE8ELNS1_3repE0EEENS1_52radix_sort_onesweep_histogram_config_static_selectorELNS0_4arch9wavefront6targetE0EEEvSD_
; %bb.0:
	.section	.rodata,"a",@progbits
	.p2align	6, 0x0
	.amdhsa_kernel _ZN7rocprim17ROCPRIM_400000_NS6detail17trampoline_kernelINS0_14default_configENS1_35radix_sort_onesweep_config_selectorIiNS0_10empty_typeEEEZNS1_34radix_sort_onesweep_global_offsetsIS3_Lb1EPKiPS5_mNS0_19identity_decomposerEEE10hipError_tT1_T2_PT3_SF_jT4_jjP12ihipStream_tbEUlT_E0_NS1_11comp_targetILNS1_3genE4ELNS1_11target_archE910ELNS1_3gpuE8ELNS1_3repE0EEENS1_52radix_sort_onesweep_histogram_config_static_selectorELNS0_4arch9wavefront6targetE0EEEvSD_
		.amdhsa_group_segment_fixed_size 0
		.amdhsa_private_segment_fixed_size 0
		.amdhsa_kernarg_size 8
		.amdhsa_user_sgpr_count 2
		.amdhsa_user_sgpr_dispatch_ptr 0
		.amdhsa_user_sgpr_queue_ptr 0
		.amdhsa_user_sgpr_kernarg_segment_ptr 1
		.amdhsa_user_sgpr_dispatch_id 0
		.amdhsa_user_sgpr_kernarg_preload_length 0
		.amdhsa_user_sgpr_kernarg_preload_offset 0
		.amdhsa_user_sgpr_private_segment_size 0
		.amdhsa_wavefront_size32 1
		.amdhsa_uses_dynamic_stack 0
		.amdhsa_enable_private_segment 0
		.amdhsa_system_sgpr_workgroup_id_x 1
		.amdhsa_system_sgpr_workgroup_id_y 0
		.amdhsa_system_sgpr_workgroup_id_z 0
		.amdhsa_system_sgpr_workgroup_info 0
		.amdhsa_system_vgpr_workitem_id 0
		.amdhsa_next_free_vgpr 1
		.amdhsa_next_free_sgpr 1
		.amdhsa_named_barrier_count 0
		.amdhsa_reserve_vcc 0
		.amdhsa_float_round_mode_32 0
		.amdhsa_float_round_mode_16_64 0
		.amdhsa_float_denorm_mode_32 3
		.amdhsa_float_denorm_mode_16_64 3
		.amdhsa_fp16_overflow 0
		.amdhsa_memory_ordered 1
		.amdhsa_forward_progress 1
		.amdhsa_inst_pref_size 0
		.amdhsa_round_robin_scheduling 0
		.amdhsa_exception_fp_ieee_invalid_op 0
		.amdhsa_exception_fp_denorm_src 0
		.amdhsa_exception_fp_ieee_div_zero 0
		.amdhsa_exception_fp_ieee_overflow 0
		.amdhsa_exception_fp_ieee_underflow 0
		.amdhsa_exception_fp_ieee_inexact 0
		.amdhsa_exception_int_div_zero 0
	.end_amdhsa_kernel
	.section	.text._ZN7rocprim17ROCPRIM_400000_NS6detail17trampoline_kernelINS0_14default_configENS1_35radix_sort_onesweep_config_selectorIiNS0_10empty_typeEEEZNS1_34radix_sort_onesweep_global_offsetsIS3_Lb1EPKiPS5_mNS0_19identity_decomposerEEE10hipError_tT1_T2_PT3_SF_jT4_jjP12ihipStream_tbEUlT_E0_NS1_11comp_targetILNS1_3genE4ELNS1_11target_archE910ELNS1_3gpuE8ELNS1_3repE0EEENS1_52radix_sort_onesweep_histogram_config_static_selectorELNS0_4arch9wavefront6targetE0EEEvSD_,"axG",@progbits,_ZN7rocprim17ROCPRIM_400000_NS6detail17trampoline_kernelINS0_14default_configENS1_35radix_sort_onesweep_config_selectorIiNS0_10empty_typeEEEZNS1_34radix_sort_onesweep_global_offsetsIS3_Lb1EPKiPS5_mNS0_19identity_decomposerEEE10hipError_tT1_T2_PT3_SF_jT4_jjP12ihipStream_tbEUlT_E0_NS1_11comp_targetILNS1_3genE4ELNS1_11target_archE910ELNS1_3gpuE8ELNS1_3repE0EEENS1_52radix_sort_onesweep_histogram_config_static_selectorELNS0_4arch9wavefront6targetE0EEEvSD_,comdat
.Lfunc_end836:
	.size	_ZN7rocprim17ROCPRIM_400000_NS6detail17trampoline_kernelINS0_14default_configENS1_35radix_sort_onesweep_config_selectorIiNS0_10empty_typeEEEZNS1_34radix_sort_onesweep_global_offsetsIS3_Lb1EPKiPS5_mNS0_19identity_decomposerEEE10hipError_tT1_T2_PT3_SF_jT4_jjP12ihipStream_tbEUlT_E0_NS1_11comp_targetILNS1_3genE4ELNS1_11target_archE910ELNS1_3gpuE8ELNS1_3repE0EEENS1_52radix_sort_onesweep_histogram_config_static_selectorELNS0_4arch9wavefront6targetE0EEEvSD_, .Lfunc_end836-_ZN7rocprim17ROCPRIM_400000_NS6detail17trampoline_kernelINS0_14default_configENS1_35radix_sort_onesweep_config_selectorIiNS0_10empty_typeEEEZNS1_34radix_sort_onesweep_global_offsetsIS3_Lb1EPKiPS5_mNS0_19identity_decomposerEEE10hipError_tT1_T2_PT3_SF_jT4_jjP12ihipStream_tbEUlT_E0_NS1_11comp_targetILNS1_3genE4ELNS1_11target_archE910ELNS1_3gpuE8ELNS1_3repE0EEENS1_52radix_sort_onesweep_histogram_config_static_selectorELNS0_4arch9wavefront6targetE0EEEvSD_
                                        ; -- End function
	.set _ZN7rocprim17ROCPRIM_400000_NS6detail17trampoline_kernelINS0_14default_configENS1_35radix_sort_onesweep_config_selectorIiNS0_10empty_typeEEEZNS1_34radix_sort_onesweep_global_offsetsIS3_Lb1EPKiPS5_mNS0_19identity_decomposerEEE10hipError_tT1_T2_PT3_SF_jT4_jjP12ihipStream_tbEUlT_E0_NS1_11comp_targetILNS1_3genE4ELNS1_11target_archE910ELNS1_3gpuE8ELNS1_3repE0EEENS1_52radix_sort_onesweep_histogram_config_static_selectorELNS0_4arch9wavefront6targetE0EEEvSD_.num_vgpr, 0
	.set _ZN7rocprim17ROCPRIM_400000_NS6detail17trampoline_kernelINS0_14default_configENS1_35radix_sort_onesweep_config_selectorIiNS0_10empty_typeEEEZNS1_34radix_sort_onesweep_global_offsetsIS3_Lb1EPKiPS5_mNS0_19identity_decomposerEEE10hipError_tT1_T2_PT3_SF_jT4_jjP12ihipStream_tbEUlT_E0_NS1_11comp_targetILNS1_3genE4ELNS1_11target_archE910ELNS1_3gpuE8ELNS1_3repE0EEENS1_52radix_sort_onesweep_histogram_config_static_selectorELNS0_4arch9wavefront6targetE0EEEvSD_.num_agpr, 0
	.set _ZN7rocprim17ROCPRIM_400000_NS6detail17trampoline_kernelINS0_14default_configENS1_35radix_sort_onesweep_config_selectorIiNS0_10empty_typeEEEZNS1_34radix_sort_onesweep_global_offsetsIS3_Lb1EPKiPS5_mNS0_19identity_decomposerEEE10hipError_tT1_T2_PT3_SF_jT4_jjP12ihipStream_tbEUlT_E0_NS1_11comp_targetILNS1_3genE4ELNS1_11target_archE910ELNS1_3gpuE8ELNS1_3repE0EEENS1_52radix_sort_onesweep_histogram_config_static_selectorELNS0_4arch9wavefront6targetE0EEEvSD_.numbered_sgpr, 0
	.set _ZN7rocprim17ROCPRIM_400000_NS6detail17trampoline_kernelINS0_14default_configENS1_35radix_sort_onesweep_config_selectorIiNS0_10empty_typeEEEZNS1_34radix_sort_onesweep_global_offsetsIS3_Lb1EPKiPS5_mNS0_19identity_decomposerEEE10hipError_tT1_T2_PT3_SF_jT4_jjP12ihipStream_tbEUlT_E0_NS1_11comp_targetILNS1_3genE4ELNS1_11target_archE910ELNS1_3gpuE8ELNS1_3repE0EEENS1_52radix_sort_onesweep_histogram_config_static_selectorELNS0_4arch9wavefront6targetE0EEEvSD_.num_named_barrier, 0
	.set _ZN7rocprim17ROCPRIM_400000_NS6detail17trampoline_kernelINS0_14default_configENS1_35radix_sort_onesweep_config_selectorIiNS0_10empty_typeEEEZNS1_34radix_sort_onesweep_global_offsetsIS3_Lb1EPKiPS5_mNS0_19identity_decomposerEEE10hipError_tT1_T2_PT3_SF_jT4_jjP12ihipStream_tbEUlT_E0_NS1_11comp_targetILNS1_3genE4ELNS1_11target_archE910ELNS1_3gpuE8ELNS1_3repE0EEENS1_52radix_sort_onesweep_histogram_config_static_selectorELNS0_4arch9wavefront6targetE0EEEvSD_.private_seg_size, 0
	.set _ZN7rocprim17ROCPRIM_400000_NS6detail17trampoline_kernelINS0_14default_configENS1_35radix_sort_onesweep_config_selectorIiNS0_10empty_typeEEEZNS1_34radix_sort_onesweep_global_offsetsIS3_Lb1EPKiPS5_mNS0_19identity_decomposerEEE10hipError_tT1_T2_PT3_SF_jT4_jjP12ihipStream_tbEUlT_E0_NS1_11comp_targetILNS1_3genE4ELNS1_11target_archE910ELNS1_3gpuE8ELNS1_3repE0EEENS1_52radix_sort_onesweep_histogram_config_static_selectorELNS0_4arch9wavefront6targetE0EEEvSD_.uses_vcc, 0
	.set _ZN7rocprim17ROCPRIM_400000_NS6detail17trampoline_kernelINS0_14default_configENS1_35radix_sort_onesweep_config_selectorIiNS0_10empty_typeEEEZNS1_34radix_sort_onesweep_global_offsetsIS3_Lb1EPKiPS5_mNS0_19identity_decomposerEEE10hipError_tT1_T2_PT3_SF_jT4_jjP12ihipStream_tbEUlT_E0_NS1_11comp_targetILNS1_3genE4ELNS1_11target_archE910ELNS1_3gpuE8ELNS1_3repE0EEENS1_52radix_sort_onesweep_histogram_config_static_selectorELNS0_4arch9wavefront6targetE0EEEvSD_.uses_flat_scratch, 0
	.set _ZN7rocprim17ROCPRIM_400000_NS6detail17trampoline_kernelINS0_14default_configENS1_35radix_sort_onesweep_config_selectorIiNS0_10empty_typeEEEZNS1_34radix_sort_onesweep_global_offsetsIS3_Lb1EPKiPS5_mNS0_19identity_decomposerEEE10hipError_tT1_T2_PT3_SF_jT4_jjP12ihipStream_tbEUlT_E0_NS1_11comp_targetILNS1_3genE4ELNS1_11target_archE910ELNS1_3gpuE8ELNS1_3repE0EEENS1_52radix_sort_onesweep_histogram_config_static_selectorELNS0_4arch9wavefront6targetE0EEEvSD_.has_dyn_sized_stack, 0
	.set _ZN7rocprim17ROCPRIM_400000_NS6detail17trampoline_kernelINS0_14default_configENS1_35radix_sort_onesweep_config_selectorIiNS0_10empty_typeEEEZNS1_34radix_sort_onesweep_global_offsetsIS3_Lb1EPKiPS5_mNS0_19identity_decomposerEEE10hipError_tT1_T2_PT3_SF_jT4_jjP12ihipStream_tbEUlT_E0_NS1_11comp_targetILNS1_3genE4ELNS1_11target_archE910ELNS1_3gpuE8ELNS1_3repE0EEENS1_52radix_sort_onesweep_histogram_config_static_selectorELNS0_4arch9wavefront6targetE0EEEvSD_.has_recursion, 0
	.set _ZN7rocprim17ROCPRIM_400000_NS6detail17trampoline_kernelINS0_14default_configENS1_35radix_sort_onesweep_config_selectorIiNS0_10empty_typeEEEZNS1_34radix_sort_onesweep_global_offsetsIS3_Lb1EPKiPS5_mNS0_19identity_decomposerEEE10hipError_tT1_T2_PT3_SF_jT4_jjP12ihipStream_tbEUlT_E0_NS1_11comp_targetILNS1_3genE4ELNS1_11target_archE910ELNS1_3gpuE8ELNS1_3repE0EEENS1_52radix_sort_onesweep_histogram_config_static_selectorELNS0_4arch9wavefront6targetE0EEEvSD_.has_indirect_call, 0
	.section	.AMDGPU.csdata,"",@progbits
; Kernel info:
; codeLenInByte = 0
; TotalNumSgprs: 0
; NumVgprs: 0
; ScratchSize: 0
; MemoryBound: 0
; FloatMode: 240
; IeeeMode: 1
; LDSByteSize: 0 bytes/workgroup (compile time only)
; SGPRBlocks: 0
; VGPRBlocks: 0
; NumSGPRsForWavesPerEU: 1
; NumVGPRsForWavesPerEU: 1
; NamedBarCnt: 0
; Occupancy: 16
; WaveLimiterHint : 0
; COMPUTE_PGM_RSRC2:SCRATCH_EN: 0
; COMPUTE_PGM_RSRC2:USER_SGPR: 2
; COMPUTE_PGM_RSRC2:TRAP_HANDLER: 0
; COMPUTE_PGM_RSRC2:TGID_X_EN: 1
; COMPUTE_PGM_RSRC2:TGID_Y_EN: 0
; COMPUTE_PGM_RSRC2:TGID_Z_EN: 0
; COMPUTE_PGM_RSRC2:TIDIG_COMP_CNT: 0
	.section	.text._ZN7rocprim17ROCPRIM_400000_NS6detail17trampoline_kernelINS0_14default_configENS1_35radix_sort_onesweep_config_selectorIiNS0_10empty_typeEEEZNS1_34radix_sort_onesweep_global_offsetsIS3_Lb1EPKiPS5_mNS0_19identity_decomposerEEE10hipError_tT1_T2_PT3_SF_jT4_jjP12ihipStream_tbEUlT_E0_NS1_11comp_targetILNS1_3genE3ELNS1_11target_archE908ELNS1_3gpuE7ELNS1_3repE0EEENS1_52radix_sort_onesweep_histogram_config_static_selectorELNS0_4arch9wavefront6targetE0EEEvSD_,"axG",@progbits,_ZN7rocprim17ROCPRIM_400000_NS6detail17trampoline_kernelINS0_14default_configENS1_35radix_sort_onesweep_config_selectorIiNS0_10empty_typeEEEZNS1_34radix_sort_onesweep_global_offsetsIS3_Lb1EPKiPS5_mNS0_19identity_decomposerEEE10hipError_tT1_T2_PT3_SF_jT4_jjP12ihipStream_tbEUlT_E0_NS1_11comp_targetILNS1_3genE3ELNS1_11target_archE908ELNS1_3gpuE7ELNS1_3repE0EEENS1_52radix_sort_onesweep_histogram_config_static_selectorELNS0_4arch9wavefront6targetE0EEEvSD_,comdat
	.protected	_ZN7rocprim17ROCPRIM_400000_NS6detail17trampoline_kernelINS0_14default_configENS1_35radix_sort_onesweep_config_selectorIiNS0_10empty_typeEEEZNS1_34radix_sort_onesweep_global_offsetsIS3_Lb1EPKiPS5_mNS0_19identity_decomposerEEE10hipError_tT1_T2_PT3_SF_jT4_jjP12ihipStream_tbEUlT_E0_NS1_11comp_targetILNS1_3genE3ELNS1_11target_archE908ELNS1_3gpuE7ELNS1_3repE0EEENS1_52radix_sort_onesweep_histogram_config_static_selectorELNS0_4arch9wavefront6targetE0EEEvSD_ ; -- Begin function _ZN7rocprim17ROCPRIM_400000_NS6detail17trampoline_kernelINS0_14default_configENS1_35radix_sort_onesweep_config_selectorIiNS0_10empty_typeEEEZNS1_34radix_sort_onesweep_global_offsetsIS3_Lb1EPKiPS5_mNS0_19identity_decomposerEEE10hipError_tT1_T2_PT3_SF_jT4_jjP12ihipStream_tbEUlT_E0_NS1_11comp_targetILNS1_3genE3ELNS1_11target_archE908ELNS1_3gpuE7ELNS1_3repE0EEENS1_52radix_sort_onesweep_histogram_config_static_selectorELNS0_4arch9wavefront6targetE0EEEvSD_
	.globl	_ZN7rocprim17ROCPRIM_400000_NS6detail17trampoline_kernelINS0_14default_configENS1_35radix_sort_onesweep_config_selectorIiNS0_10empty_typeEEEZNS1_34radix_sort_onesweep_global_offsetsIS3_Lb1EPKiPS5_mNS0_19identity_decomposerEEE10hipError_tT1_T2_PT3_SF_jT4_jjP12ihipStream_tbEUlT_E0_NS1_11comp_targetILNS1_3genE3ELNS1_11target_archE908ELNS1_3gpuE7ELNS1_3repE0EEENS1_52radix_sort_onesweep_histogram_config_static_selectorELNS0_4arch9wavefront6targetE0EEEvSD_
	.p2align	8
	.type	_ZN7rocprim17ROCPRIM_400000_NS6detail17trampoline_kernelINS0_14default_configENS1_35radix_sort_onesweep_config_selectorIiNS0_10empty_typeEEEZNS1_34radix_sort_onesweep_global_offsetsIS3_Lb1EPKiPS5_mNS0_19identity_decomposerEEE10hipError_tT1_T2_PT3_SF_jT4_jjP12ihipStream_tbEUlT_E0_NS1_11comp_targetILNS1_3genE3ELNS1_11target_archE908ELNS1_3gpuE7ELNS1_3repE0EEENS1_52radix_sort_onesweep_histogram_config_static_selectorELNS0_4arch9wavefront6targetE0EEEvSD_,@function
_ZN7rocprim17ROCPRIM_400000_NS6detail17trampoline_kernelINS0_14default_configENS1_35radix_sort_onesweep_config_selectorIiNS0_10empty_typeEEEZNS1_34radix_sort_onesweep_global_offsetsIS3_Lb1EPKiPS5_mNS0_19identity_decomposerEEE10hipError_tT1_T2_PT3_SF_jT4_jjP12ihipStream_tbEUlT_E0_NS1_11comp_targetILNS1_3genE3ELNS1_11target_archE908ELNS1_3gpuE7ELNS1_3repE0EEENS1_52radix_sort_onesweep_histogram_config_static_selectorELNS0_4arch9wavefront6targetE0EEEvSD_: ; @_ZN7rocprim17ROCPRIM_400000_NS6detail17trampoline_kernelINS0_14default_configENS1_35radix_sort_onesweep_config_selectorIiNS0_10empty_typeEEEZNS1_34radix_sort_onesweep_global_offsetsIS3_Lb1EPKiPS5_mNS0_19identity_decomposerEEE10hipError_tT1_T2_PT3_SF_jT4_jjP12ihipStream_tbEUlT_E0_NS1_11comp_targetILNS1_3genE3ELNS1_11target_archE908ELNS1_3gpuE7ELNS1_3repE0EEENS1_52radix_sort_onesweep_histogram_config_static_selectorELNS0_4arch9wavefront6targetE0EEEvSD_
; %bb.0:
	.section	.rodata,"a",@progbits
	.p2align	6, 0x0
	.amdhsa_kernel _ZN7rocprim17ROCPRIM_400000_NS6detail17trampoline_kernelINS0_14default_configENS1_35radix_sort_onesweep_config_selectorIiNS0_10empty_typeEEEZNS1_34radix_sort_onesweep_global_offsetsIS3_Lb1EPKiPS5_mNS0_19identity_decomposerEEE10hipError_tT1_T2_PT3_SF_jT4_jjP12ihipStream_tbEUlT_E0_NS1_11comp_targetILNS1_3genE3ELNS1_11target_archE908ELNS1_3gpuE7ELNS1_3repE0EEENS1_52radix_sort_onesweep_histogram_config_static_selectorELNS0_4arch9wavefront6targetE0EEEvSD_
		.amdhsa_group_segment_fixed_size 0
		.amdhsa_private_segment_fixed_size 0
		.amdhsa_kernarg_size 8
		.amdhsa_user_sgpr_count 2
		.amdhsa_user_sgpr_dispatch_ptr 0
		.amdhsa_user_sgpr_queue_ptr 0
		.amdhsa_user_sgpr_kernarg_segment_ptr 1
		.amdhsa_user_sgpr_dispatch_id 0
		.amdhsa_user_sgpr_kernarg_preload_length 0
		.amdhsa_user_sgpr_kernarg_preload_offset 0
		.amdhsa_user_sgpr_private_segment_size 0
		.amdhsa_wavefront_size32 1
		.amdhsa_uses_dynamic_stack 0
		.amdhsa_enable_private_segment 0
		.amdhsa_system_sgpr_workgroup_id_x 1
		.amdhsa_system_sgpr_workgroup_id_y 0
		.amdhsa_system_sgpr_workgroup_id_z 0
		.amdhsa_system_sgpr_workgroup_info 0
		.amdhsa_system_vgpr_workitem_id 0
		.amdhsa_next_free_vgpr 1
		.amdhsa_next_free_sgpr 1
		.amdhsa_named_barrier_count 0
		.amdhsa_reserve_vcc 0
		.amdhsa_float_round_mode_32 0
		.amdhsa_float_round_mode_16_64 0
		.amdhsa_float_denorm_mode_32 3
		.amdhsa_float_denorm_mode_16_64 3
		.amdhsa_fp16_overflow 0
		.amdhsa_memory_ordered 1
		.amdhsa_forward_progress 1
		.amdhsa_inst_pref_size 0
		.amdhsa_round_robin_scheduling 0
		.amdhsa_exception_fp_ieee_invalid_op 0
		.amdhsa_exception_fp_denorm_src 0
		.amdhsa_exception_fp_ieee_div_zero 0
		.amdhsa_exception_fp_ieee_overflow 0
		.amdhsa_exception_fp_ieee_underflow 0
		.amdhsa_exception_fp_ieee_inexact 0
		.amdhsa_exception_int_div_zero 0
	.end_amdhsa_kernel
	.section	.text._ZN7rocprim17ROCPRIM_400000_NS6detail17trampoline_kernelINS0_14default_configENS1_35radix_sort_onesweep_config_selectorIiNS0_10empty_typeEEEZNS1_34radix_sort_onesweep_global_offsetsIS3_Lb1EPKiPS5_mNS0_19identity_decomposerEEE10hipError_tT1_T2_PT3_SF_jT4_jjP12ihipStream_tbEUlT_E0_NS1_11comp_targetILNS1_3genE3ELNS1_11target_archE908ELNS1_3gpuE7ELNS1_3repE0EEENS1_52radix_sort_onesweep_histogram_config_static_selectorELNS0_4arch9wavefront6targetE0EEEvSD_,"axG",@progbits,_ZN7rocprim17ROCPRIM_400000_NS6detail17trampoline_kernelINS0_14default_configENS1_35radix_sort_onesweep_config_selectorIiNS0_10empty_typeEEEZNS1_34radix_sort_onesweep_global_offsetsIS3_Lb1EPKiPS5_mNS0_19identity_decomposerEEE10hipError_tT1_T2_PT3_SF_jT4_jjP12ihipStream_tbEUlT_E0_NS1_11comp_targetILNS1_3genE3ELNS1_11target_archE908ELNS1_3gpuE7ELNS1_3repE0EEENS1_52radix_sort_onesweep_histogram_config_static_selectorELNS0_4arch9wavefront6targetE0EEEvSD_,comdat
.Lfunc_end837:
	.size	_ZN7rocprim17ROCPRIM_400000_NS6detail17trampoline_kernelINS0_14default_configENS1_35radix_sort_onesweep_config_selectorIiNS0_10empty_typeEEEZNS1_34radix_sort_onesweep_global_offsetsIS3_Lb1EPKiPS5_mNS0_19identity_decomposerEEE10hipError_tT1_T2_PT3_SF_jT4_jjP12ihipStream_tbEUlT_E0_NS1_11comp_targetILNS1_3genE3ELNS1_11target_archE908ELNS1_3gpuE7ELNS1_3repE0EEENS1_52radix_sort_onesweep_histogram_config_static_selectorELNS0_4arch9wavefront6targetE0EEEvSD_, .Lfunc_end837-_ZN7rocprim17ROCPRIM_400000_NS6detail17trampoline_kernelINS0_14default_configENS1_35radix_sort_onesweep_config_selectorIiNS0_10empty_typeEEEZNS1_34radix_sort_onesweep_global_offsetsIS3_Lb1EPKiPS5_mNS0_19identity_decomposerEEE10hipError_tT1_T2_PT3_SF_jT4_jjP12ihipStream_tbEUlT_E0_NS1_11comp_targetILNS1_3genE3ELNS1_11target_archE908ELNS1_3gpuE7ELNS1_3repE0EEENS1_52radix_sort_onesweep_histogram_config_static_selectorELNS0_4arch9wavefront6targetE0EEEvSD_
                                        ; -- End function
	.set _ZN7rocprim17ROCPRIM_400000_NS6detail17trampoline_kernelINS0_14default_configENS1_35radix_sort_onesweep_config_selectorIiNS0_10empty_typeEEEZNS1_34radix_sort_onesweep_global_offsetsIS3_Lb1EPKiPS5_mNS0_19identity_decomposerEEE10hipError_tT1_T2_PT3_SF_jT4_jjP12ihipStream_tbEUlT_E0_NS1_11comp_targetILNS1_3genE3ELNS1_11target_archE908ELNS1_3gpuE7ELNS1_3repE0EEENS1_52radix_sort_onesweep_histogram_config_static_selectorELNS0_4arch9wavefront6targetE0EEEvSD_.num_vgpr, 0
	.set _ZN7rocprim17ROCPRIM_400000_NS6detail17trampoline_kernelINS0_14default_configENS1_35radix_sort_onesweep_config_selectorIiNS0_10empty_typeEEEZNS1_34radix_sort_onesweep_global_offsetsIS3_Lb1EPKiPS5_mNS0_19identity_decomposerEEE10hipError_tT1_T2_PT3_SF_jT4_jjP12ihipStream_tbEUlT_E0_NS1_11comp_targetILNS1_3genE3ELNS1_11target_archE908ELNS1_3gpuE7ELNS1_3repE0EEENS1_52radix_sort_onesweep_histogram_config_static_selectorELNS0_4arch9wavefront6targetE0EEEvSD_.num_agpr, 0
	.set _ZN7rocprim17ROCPRIM_400000_NS6detail17trampoline_kernelINS0_14default_configENS1_35radix_sort_onesweep_config_selectorIiNS0_10empty_typeEEEZNS1_34radix_sort_onesweep_global_offsetsIS3_Lb1EPKiPS5_mNS0_19identity_decomposerEEE10hipError_tT1_T2_PT3_SF_jT4_jjP12ihipStream_tbEUlT_E0_NS1_11comp_targetILNS1_3genE3ELNS1_11target_archE908ELNS1_3gpuE7ELNS1_3repE0EEENS1_52radix_sort_onesweep_histogram_config_static_selectorELNS0_4arch9wavefront6targetE0EEEvSD_.numbered_sgpr, 0
	.set _ZN7rocprim17ROCPRIM_400000_NS6detail17trampoline_kernelINS0_14default_configENS1_35radix_sort_onesweep_config_selectorIiNS0_10empty_typeEEEZNS1_34radix_sort_onesweep_global_offsetsIS3_Lb1EPKiPS5_mNS0_19identity_decomposerEEE10hipError_tT1_T2_PT3_SF_jT4_jjP12ihipStream_tbEUlT_E0_NS1_11comp_targetILNS1_3genE3ELNS1_11target_archE908ELNS1_3gpuE7ELNS1_3repE0EEENS1_52radix_sort_onesweep_histogram_config_static_selectorELNS0_4arch9wavefront6targetE0EEEvSD_.num_named_barrier, 0
	.set _ZN7rocprim17ROCPRIM_400000_NS6detail17trampoline_kernelINS0_14default_configENS1_35radix_sort_onesweep_config_selectorIiNS0_10empty_typeEEEZNS1_34radix_sort_onesweep_global_offsetsIS3_Lb1EPKiPS5_mNS0_19identity_decomposerEEE10hipError_tT1_T2_PT3_SF_jT4_jjP12ihipStream_tbEUlT_E0_NS1_11comp_targetILNS1_3genE3ELNS1_11target_archE908ELNS1_3gpuE7ELNS1_3repE0EEENS1_52radix_sort_onesweep_histogram_config_static_selectorELNS0_4arch9wavefront6targetE0EEEvSD_.private_seg_size, 0
	.set _ZN7rocprim17ROCPRIM_400000_NS6detail17trampoline_kernelINS0_14default_configENS1_35radix_sort_onesweep_config_selectorIiNS0_10empty_typeEEEZNS1_34radix_sort_onesweep_global_offsetsIS3_Lb1EPKiPS5_mNS0_19identity_decomposerEEE10hipError_tT1_T2_PT3_SF_jT4_jjP12ihipStream_tbEUlT_E0_NS1_11comp_targetILNS1_3genE3ELNS1_11target_archE908ELNS1_3gpuE7ELNS1_3repE0EEENS1_52radix_sort_onesweep_histogram_config_static_selectorELNS0_4arch9wavefront6targetE0EEEvSD_.uses_vcc, 0
	.set _ZN7rocprim17ROCPRIM_400000_NS6detail17trampoline_kernelINS0_14default_configENS1_35radix_sort_onesweep_config_selectorIiNS0_10empty_typeEEEZNS1_34radix_sort_onesweep_global_offsetsIS3_Lb1EPKiPS5_mNS0_19identity_decomposerEEE10hipError_tT1_T2_PT3_SF_jT4_jjP12ihipStream_tbEUlT_E0_NS1_11comp_targetILNS1_3genE3ELNS1_11target_archE908ELNS1_3gpuE7ELNS1_3repE0EEENS1_52radix_sort_onesweep_histogram_config_static_selectorELNS0_4arch9wavefront6targetE0EEEvSD_.uses_flat_scratch, 0
	.set _ZN7rocprim17ROCPRIM_400000_NS6detail17trampoline_kernelINS0_14default_configENS1_35radix_sort_onesweep_config_selectorIiNS0_10empty_typeEEEZNS1_34radix_sort_onesweep_global_offsetsIS3_Lb1EPKiPS5_mNS0_19identity_decomposerEEE10hipError_tT1_T2_PT3_SF_jT4_jjP12ihipStream_tbEUlT_E0_NS1_11comp_targetILNS1_3genE3ELNS1_11target_archE908ELNS1_3gpuE7ELNS1_3repE0EEENS1_52radix_sort_onesweep_histogram_config_static_selectorELNS0_4arch9wavefront6targetE0EEEvSD_.has_dyn_sized_stack, 0
	.set _ZN7rocprim17ROCPRIM_400000_NS6detail17trampoline_kernelINS0_14default_configENS1_35radix_sort_onesweep_config_selectorIiNS0_10empty_typeEEEZNS1_34radix_sort_onesweep_global_offsetsIS3_Lb1EPKiPS5_mNS0_19identity_decomposerEEE10hipError_tT1_T2_PT3_SF_jT4_jjP12ihipStream_tbEUlT_E0_NS1_11comp_targetILNS1_3genE3ELNS1_11target_archE908ELNS1_3gpuE7ELNS1_3repE0EEENS1_52radix_sort_onesweep_histogram_config_static_selectorELNS0_4arch9wavefront6targetE0EEEvSD_.has_recursion, 0
	.set _ZN7rocprim17ROCPRIM_400000_NS6detail17trampoline_kernelINS0_14default_configENS1_35radix_sort_onesweep_config_selectorIiNS0_10empty_typeEEEZNS1_34radix_sort_onesweep_global_offsetsIS3_Lb1EPKiPS5_mNS0_19identity_decomposerEEE10hipError_tT1_T2_PT3_SF_jT4_jjP12ihipStream_tbEUlT_E0_NS1_11comp_targetILNS1_3genE3ELNS1_11target_archE908ELNS1_3gpuE7ELNS1_3repE0EEENS1_52radix_sort_onesweep_histogram_config_static_selectorELNS0_4arch9wavefront6targetE0EEEvSD_.has_indirect_call, 0
	.section	.AMDGPU.csdata,"",@progbits
; Kernel info:
; codeLenInByte = 0
; TotalNumSgprs: 0
; NumVgprs: 0
; ScratchSize: 0
; MemoryBound: 0
; FloatMode: 240
; IeeeMode: 1
; LDSByteSize: 0 bytes/workgroup (compile time only)
; SGPRBlocks: 0
; VGPRBlocks: 0
; NumSGPRsForWavesPerEU: 1
; NumVGPRsForWavesPerEU: 1
; NamedBarCnt: 0
; Occupancy: 16
; WaveLimiterHint : 0
; COMPUTE_PGM_RSRC2:SCRATCH_EN: 0
; COMPUTE_PGM_RSRC2:USER_SGPR: 2
; COMPUTE_PGM_RSRC2:TRAP_HANDLER: 0
; COMPUTE_PGM_RSRC2:TGID_X_EN: 1
; COMPUTE_PGM_RSRC2:TGID_Y_EN: 0
; COMPUTE_PGM_RSRC2:TGID_Z_EN: 0
; COMPUTE_PGM_RSRC2:TIDIG_COMP_CNT: 0
	.section	.text._ZN7rocprim17ROCPRIM_400000_NS6detail17trampoline_kernelINS0_14default_configENS1_35radix_sort_onesweep_config_selectorIiNS0_10empty_typeEEEZNS1_34radix_sort_onesweep_global_offsetsIS3_Lb1EPKiPS5_mNS0_19identity_decomposerEEE10hipError_tT1_T2_PT3_SF_jT4_jjP12ihipStream_tbEUlT_E0_NS1_11comp_targetILNS1_3genE10ELNS1_11target_archE1201ELNS1_3gpuE5ELNS1_3repE0EEENS1_52radix_sort_onesweep_histogram_config_static_selectorELNS0_4arch9wavefront6targetE0EEEvSD_,"axG",@progbits,_ZN7rocprim17ROCPRIM_400000_NS6detail17trampoline_kernelINS0_14default_configENS1_35radix_sort_onesweep_config_selectorIiNS0_10empty_typeEEEZNS1_34radix_sort_onesweep_global_offsetsIS3_Lb1EPKiPS5_mNS0_19identity_decomposerEEE10hipError_tT1_T2_PT3_SF_jT4_jjP12ihipStream_tbEUlT_E0_NS1_11comp_targetILNS1_3genE10ELNS1_11target_archE1201ELNS1_3gpuE5ELNS1_3repE0EEENS1_52radix_sort_onesweep_histogram_config_static_selectorELNS0_4arch9wavefront6targetE0EEEvSD_,comdat
	.protected	_ZN7rocprim17ROCPRIM_400000_NS6detail17trampoline_kernelINS0_14default_configENS1_35radix_sort_onesweep_config_selectorIiNS0_10empty_typeEEEZNS1_34radix_sort_onesweep_global_offsetsIS3_Lb1EPKiPS5_mNS0_19identity_decomposerEEE10hipError_tT1_T2_PT3_SF_jT4_jjP12ihipStream_tbEUlT_E0_NS1_11comp_targetILNS1_3genE10ELNS1_11target_archE1201ELNS1_3gpuE5ELNS1_3repE0EEENS1_52radix_sort_onesweep_histogram_config_static_selectorELNS0_4arch9wavefront6targetE0EEEvSD_ ; -- Begin function _ZN7rocprim17ROCPRIM_400000_NS6detail17trampoline_kernelINS0_14default_configENS1_35radix_sort_onesweep_config_selectorIiNS0_10empty_typeEEEZNS1_34radix_sort_onesweep_global_offsetsIS3_Lb1EPKiPS5_mNS0_19identity_decomposerEEE10hipError_tT1_T2_PT3_SF_jT4_jjP12ihipStream_tbEUlT_E0_NS1_11comp_targetILNS1_3genE10ELNS1_11target_archE1201ELNS1_3gpuE5ELNS1_3repE0EEENS1_52radix_sort_onesweep_histogram_config_static_selectorELNS0_4arch9wavefront6targetE0EEEvSD_
	.globl	_ZN7rocprim17ROCPRIM_400000_NS6detail17trampoline_kernelINS0_14default_configENS1_35radix_sort_onesweep_config_selectorIiNS0_10empty_typeEEEZNS1_34radix_sort_onesweep_global_offsetsIS3_Lb1EPKiPS5_mNS0_19identity_decomposerEEE10hipError_tT1_T2_PT3_SF_jT4_jjP12ihipStream_tbEUlT_E0_NS1_11comp_targetILNS1_3genE10ELNS1_11target_archE1201ELNS1_3gpuE5ELNS1_3repE0EEENS1_52radix_sort_onesweep_histogram_config_static_selectorELNS0_4arch9wavefront6targetE0EEEvSD_
	.p2align	8
	.type	_ZN7rocprim17ROCPRIM_400000_NS6detail17trampoline_kernelINS0_14default_configENS1_35radix_sort_onesweep_config_selectorIiNS0_10empty_typeEEEZNS1_34radix_sort_onesweep_global_offsetsIS3_Lb1EPKiPS5_mNS0_19identity_decomposerEEE10hipError_tT1_T2_PT3_SF_jT4_jjP12ihipStream_tbEUlT_E0_NS1_11comp_targetILNS1_3genE10ELNS1_11target_archE1201ELNS1_3gpuE5ELNS1_3repE0EEENS1_52radix_sort_onesweep_histogram_config_static_selectorELNS0_4arch9wavefront6targetE0EEEvSD_,@function
_ZN7rocprim17ROCPRIM_400000_NS6detail17trampoline_kernelINS0_14default_configENS1_35radix_sort_onesweep_config_selectorIiNS0_10empty_typeEEEZNS1_34radix_sort_onesweep_global_offsetsIS3_Lb1EPKiPS5_mNS0_19identity_decomposerEEE10hipError_tT1_T2_PT3_SF_jT4_jjP12ihipStream_tbEUlT_E0_NS1_11comp_targetILNS1_3genE10ELNS1_11target_archE1201ELNS1_3gpuE5ELNS1_3repE0EEENS1_52radix_sort_onesweep_histogram_config_static_selectorELNS0_4arch9wavefront6targetE0EEEvSD_: ; @_ZN7rocprim17ROCPRIM_400000_NS6detail17trampoline_kernelINS0_14default_configENS1_35radix_sort_onesweep_config_selectorIiNS0_10empty_typeEEEZNS1_34radix_sort_onesweep_global_offsetsIS3_Lb1EPKiPS5_mNS0_19identity_decomposerEEE10hipError_tT1_T2_PT3_SF_jT4_jjP12ihipStream_tbEUlT_E0_NS1_11comp_targetILNS1_3genE10ELNS1_11target_archE1201ELNS1_3gpuE5ELNS1_3repE0EEENS1_52radix_sort_onesweep_histogram_config_static_selectorELNS0_4arch9wavefront6targetE0EEEvSD_
; %bb.0:
	.section	.rodata,"a",@progbits
	.p2align	6, 0x0
	.amdhsa_kernel _ZN7rocprim17ROCPRIM_400000_NS6detail17trampoline_kernelINS0_14default_configENS1_35radix_sort_onesweep_config_selectorIiNS0_10empty_typeEEEZNS1_34radix_sort_onesweep_global_offsetsIS3_Lb1EPKiPS5_mNS0_19identity_decomposerEEE10hipError_tT1_T2_PT3_SF_jT4_jjP12ihipStream_tbEUlT_E0_NS1_11comp_targetILNS1_3genE10ELNS1_11target_archE1201ELNS1_3gpuE5ELNS1_3repE0EEENS1_52radix_sort_onesweep_histogram_config_static_selectorELNS0_4arch9wavefront6targetE0EEEvSD_
		.amdhsa_group_segment_fixed_size 0
		.amdhsa_private_segment_fixed_size 0
		.amdhsa_kernarg_size 8
		.amdhsa_user_sgpr_count 2
		.amdhsa_user_sgpr_dispatch_ptr 0
		.amdhsa_user_sgpr_queue_ptr 0
		.amdhsa_user_sgpr_kernarg_segment_ptr 1
		.amdhsa_user_sgpr_dispatch_id 0
		.amdhsa_user_sgpr_kernarg_preload_length 0
		.amdhsa_user_sgpr_kernarg_preload_offset 0
		.amdhsa_user_sgpr_private_segment_size 0
		.amdhsa_wavefront_size32 1
		.amdhsa_uses_dynamic_stack 0
		.amdhsa_enable_private_segment 0
		.amdhsa_system_sgpr_workgroup_id_x 1
		.amdhsa_system_sgpr_workgroup_id_y 0
		.amdhsa_system_sgpr_workgroup_id_z 0
		.amdhsa_system_sgpr_workgroup_info 0
		.amdhsa_system_vgpr_workitem_id 0
		.amdhsa_next_free_vgpr 1
		.amdhsa_next_free_sgpr 1
		.amdhsa_named_barrier_count 0
		.amdhsa_reserve_vcc 0
		.amdhsa_float_round_mode_32 0
		.amdhsa_float_round_mode_16_64 0
		.amdhsa_float_denorm_mode_32 3
		.amdhsa_float_denorm_mode_16_64 3
		.amdhsa_fp16_overflow 0
		.amdhsa_memory_ordered 1
		.amdhsa_forward_progress 1
		.amdhsa_inst_pref_size 0
		.amdhsa_round_robin_scheduling 0
		.amdhsa_exception_fp_ieee_invalid_op 0
		.amdhsa_exception_fp_denorm_src 0
		.amdhsa_exception_fp_ieee_div_zero 0
		.amdhsa_exception_fp_ieee_overflow 0
		.amdhsa_exception_fp_ieee_underflow 0
		.amdhsa_exception_fp_ieee_inexact 0
		.amdhsa_exception_int_div_zero 0
	.end_amdhsa_kernel
	.section	.text._ZN7rocprim17ROCPRIM_400000_NS6detail17trampoline_kernelINS0_14default_configENS1_35radix_sort_onesweep_config_selectorIiNS0_10empty_typeEEEZNS1_34radix_sort_onesweep_global_offsetsIS3_Lb1EPKiPS5_mNS0_19identity_decomposerEEE10hipError_tT1_T2_PT3_SF_jT4_jjP12ihipStream_tbEUlT_E0_NS1_11comp_targetILNS1_3genE10ELNS1_11target_archE1201ELNS1_3gpuE5ELNS1_3repE0EEENS1_52radix_sort_onesweep_histogram_config_static_selectorELNS0_4arch9wavefront6targetE0EEEvSD_,"axG",@progbits,_ZN7rocprim17ROCPRIM_400000_NS6detail17trampoline_kernelINS0_14default_configENS1_35radix_sort_onesweep_config_selectorIiNS0_10empty_typeEEEZNS1_34radix_sort_onesweep_global_offsetsIS3_Lb1EPKiPS5_mNS0_19identity_decomposerEEE10hipError_tT1_T2_PT3_SF_jT4_jjP12ihipStream_tbEUlT_E0_NS1_11comp_targetILNS1_3genE10ELNS1_11target_archE1201ELNS1_3gpuE5ELNS1_3repE0EEENS1_52radix_sort_onesweep_histogram_config_static_selectorELNS0_4arch9wavefront6targetE0EEEvSD_,comdat
.Lfunc_end838:
	.size	_ZN7rocprim17ROCPRIM_400000_NS6detail17trampoline_kernelINS0_14default_configENS1_35radix_sort_onesweep_config_selectorIiNS0_10empty_typeEEEZNS1_34radix_sort_onesweep_global_offsetsIS3_Lb1EPKiPS5_mNS0_19identity_decomposerEEE10hipError_tT1_T2_PT3_SF_jT4_jjP12ihipStream_tbEUlT_E0_NS1_11comp_targetILNS1_3genE10ELNS1_11target_archE1201ELNS1_3gpuE5ELNS1_3repE0EEENS1_52radix_sort_onesweep_histogram_config_static_selectorELNS0_4arch9wavefront6targetE0EEEvSD_, .Lfunc_end838-_ZN7rocprim17ROCPRIM_400000_NS6detail17trampoline_kernelINS0_14default_configENS1_35radix_sort_onesweep_config_selectorIiNS0_10empty_typeEEEZNS1_34radix_sort_onesweep_global_offsetsIS3_Lb1EPKiPS5_mNS0_19identity_decomposerEEE10hipError_tT1_T2_PT3_SF_jT4_jjP12ihipStream_tbEUlT_E0_NS1_11comp_targetILNS1_3genE10ELNS1_11target_archE1201ELNS1_3gpuE5ELNS1_3repE0EEENS1_52radix_sort_onesweep_histogram_config_static_selectorELNS0_4arch9wavefront6targetE0EEEvSD_
                                        ; -- End function
	.set _ZN7rocprim17ROCPRIM_400000_NS6detail17trampoline_kernelINS0_14default_configENS1_35radix_sort_onesweep_config_selectorIiNS0_10empty_typeEEEZNS1_34radix_sort_onesweep_global_offsetsIS3_Lb1EPKiPS5_mNS0_19identity_decomposerEEE10hipError_tT1_T2_PT3_SF_jT4_jjP12ihipStream_tbEUlT_E0_NS1_11comp_targetILNS1_3genE10ELNS1_11target_archE1201ELNS1_3gpuE5ELNS1_3repE0EEENS1_52radix_sort_onesweep_histogram_config_static_selectorELNS0_4arch9wavefront6targetE0EEEvSD_.num_vgpr, 0
	.set _ZN7rocprim17ROCPRIM_400000_NS6detail17trampoline_kernelINS0_14default_configENS1_35radix_sort_onesweep_config_selectorIiNS0_10empty_typeEEEZNS1_34radix_sort_onesweep_global_offsetsIS3_Lb1EPKiPS5_mNS0_19identity_decomposerEEE10hipError_tT1_T2_PT3_SF_jT4_jjP12ihipStream_tbEUlT_E0_NS1_11comp_targetILNS1_3genE10ELNS1_11target_archE1201ELNS1_3gpuE5ELNS1_3repE0EEENS1_52radix_sort_onesweep_histogram_config_static_selectorELNS0_4arch9wavefront6targetE0EEEvSD_.num_agpr, 0
	.set _ZN7rocprim17ROCPRIM_400000_NS6detail17trampoline_kernelINS0_14default_configENS1_35radix_sort_onesweep_config_selectorIiNS0_10empty_typeEEEZNS1_34radix_sort_onesweep_global_offsetsIS3_Lb1EPKiPS5_mNS0_19identity_decomposerEEE10hipError_tT1_T2_PT3_SF_jT4_jjP12ihipStream_tbEUlT_E0_NS1_11comp_targetILNS1_3genE10ELNS1_11target_archE1201ELNS1_3gpuE5ELNS1_3repE0EEENS1_52radix_sort_onesweep_histogram_config_static_selectorELNS0_4arch9wavefront6targetE0EEEvSD_.numbered_sgpr, 0
	.set _ZN7rocprim17ROCPRIM_400000_NS6detail17trampoline_kernelINS0_14default_configENS1_35radix_sort_onesweep_config_selectorIiNS0_10empty_typeEEEZNS1_34radix_sort_onesweep_global_offsetsIS3_Lb1EPKiPS5_mNS0_19identity_decomposerEEE10hipError_tT1_T2_PT3_SF_jT4_jjP12ihipStream_tbEUlT_E0_NS1_11comp_targetILNS1_3genE10ELNS1_11target_archE1201ELNS1_3gpuE5ELNS1_3repE0EEENS1_52radix_sort_onesweep_histogram_config_static_selectorELNS0_4arch9wavefront6targetE0EEEvSD_.num_named_barrier, 0
	.set _ZN7rocprim17ROCPRIM_400000_NS6detail17trampoline_kernelINS0_14default_configENS1_35radix_sort_onesweep_config_selectorIiNS0_10empty_typeEEEZNS1_34radix_sort_onesweep_global_offsetsIS3_Lb1EPKiPS5_mNS0_19identity_decomposerEEE10hipError_tT1_T2_PT3_SF_jT4_jjP12ihipStream_tbEUlT_E0_NS1_11comp_targetILNS1_3genE10ELNS1_11target_archE1201ELNS1_3gpuE5ELNS1_3repE0EEENS1_52radix_sort_onesweep_histogram_config_static_selectorELNS0_4arch9wavefront6targetE0EEEvSD_.private_seg_size, 0
	.set _ZN7rocprim17ROCPRIM_400000_NS6detail17trampoline_kernelINS0_14default_configENS1_35radix_sort_onesweep_config_selectorIiNS0_10empty_typeEEEZNS1_34radix_sort_onesweep_global_offsetsIS3_Lb1EPKiPS5_mNS0_19identity_decomposerEEE10hipError_tT1_T2_PT3_SF_jT4_jjP12ihipStream_tbEUlT_E0_NS1_11comp_targetILNS1_3genE10ELNS1_11target_archE1201ELNS1_3gpuE5ELNS1_3repE0EEENS1_52radix_sort_onesweep_histogram_config_static_selectorELNS0_4arch9wavefront6targetE0EEEvSD_.uses_vcc, 0
	.set _ZN7rocprim17ROCPRIM_400000_NS6detail17trampoline_kernelINS0_14default_configENS1_35radix_sort_onesweep_config_selectorIiNS0_10empty_typeEEEZNS1_34radix_sort_onesweep_global_offsetsIS3_Lb1EPKiPS5_mNS0_19identity_decomposerEEE10hipError_tT1_T2_PT3_SF_jT4_jjP12ihipStream_tbEUlT_E0_NS1_11comp_targetILNS1_3genE10ELNS1_11target_archE1201ELNS1_3gpuE5ELNS1_3repE0EEENS1_52radix_sort_onesweep_histogram_config_static_selectorELNS0_4arch9wavefront6targetE0EEEvSD_.uses_flat_scratch, 0
	.set _ZN7rocprim17ROCPRIM_400000_NS6detail17trampoline_kernelINS0_14default_configENS1_35radix_sort_onesweep_config_selectorIiNS0_10empty_typeEEEZNS1_34radix_sort_onesweep_global_offsetsIS3_Lb1EPKiPS5_mNS0_19identity_decomposerEEE10hipError_tT1_T2_PT3_SF_jT4_jjP12ihipStream_tbEUlT_E0_NS1_11comp_targetILNS1_3genE10ELNS1_11target_archE1201ELNS1_3gpuE5ELNS1_3repE0EEENS1_52radix_sort_onesweep_histogram_config_static_selectorELNS0_4arch9wavefront6targetE0EEEvSD_.has_dyn_sized_stack, 0
	.set _ZN7rocprim17ROCPRIM_400000_NS6detail17trampoline_kernelINS0_14default_configENS1_35radix_sort_onesweep_config_selectorIiNS0_10empty_typeEEEZNS1_34radix_sort_onesweep_global_offsetsIS3_Lb1EPKiPS5_mNS0_19identity_decomposerEEE10hipError_tT1_T2_PT3_SF_jT4_jjP12ihipStream_tbEUlT_E0_NS1_11comp_targetILNS1_3genE10ELNS1_11target_archE1201ELNS1_3gpuE5ELNS1_3repE0EEENS1_52radix_sort_onesweep_histogram_config_static_selectorELNS0_4arch9wavefront6targetE0EEEvSD_.has_recursion, 0
	.set _ZN7rocprim17ROCPRIM_400000_NS6detail17trampoline_kernelINS0_14default_configENS1_35radix_sort_onesweep_config_selectorIiNS0_10empty_typeEEEZNS1_34radix_sort_onesweep_global_offsetsIS3_Lb1EPKiPS5_mNS0_19identity_decomposerEEE10hipError_tT1_T2_PT3_SF_jT4_jjP12ihipStream_tbEUlT_E0_NS1_11comp_targetILNS1_3genE10ELNS1_11target_archE1201ELNS1_3gpuE5ELNS1_3repE0EEENS1_52radix_sort_onesweep_histogram_config_static_selectorELNS0_4arch9wavefront6targetE0EEEvSD_.has_indirect_call, 0
	.section	.AMDGPU.csdata,"",@progbits
; Kernel info:
; codeLenInByte = 0
; TotalNumSgprs: 0
; NumVgprs: 0
; ScratchSize: 0
; MemoryBound: 0
; FloatMode: 240
; IeeeMode: 1
; LDSByteSize: 0 bytes/workgroup (compile time only)
; SGPRBlocks: 0
; VGPRBlocks: 0
; NumSGPRsForWavesPerEU: 1
; NumVGPRsForWavesPerEU: 1
; NamedBarCnt: 0
; Occupancy: 16
; WaveLimiterHint : 0
; COMPUTE_PGM_RSRC2:SCRATCH_EN: 0
; COMPUTE_PGM_RSRC2:USER_SGPR: 2
; COMPUTE_PGM_RSRC2:TRAP_HANDLER: 0
; COMPUTE_PGM_RSRC2:TGID_X_EN: 1
; COMPUTE_PGM_RSRC2:TGID_Y_EN: 0
; COMPUTE_PGM_RSRC2:TGID_Z_EN: 0
; COMPUTE_PGM_RSRC2:TIDIG_COMP_CNT: 0
	.section	.text._ZN7rocprim17ROCPRIM_400000_NS6detail17trampoline_kernelINS0_14default_configENS1_35radix_sort_onesweep_config_selectorIiNS0_10empty_typeEEEZNS1_34radix_sort_onesweep_global_offsetsIS3_Lb1EPKiPS5_mNS0_19identity_decomposerEEE10hipError_tT1_T2_PT3_SF_jT4_jjP12ihipStream_tbEUlT_E0_NS1_11comp_targetILNS1_3genE9ELNS1_11target_archE1100ELNS1_3gpuE3ELNS1_3repE0EEENS1_52radix_sort_onesweep_histogram_config_static_selectorELNS0_4arch9wavefront6targetE0EEEvSD_,"axG",@progbits,_ZN7rocprim17ROCPRIM_400000_NS6detail17trampoline_kernelINS0_14default_configENS1_35radix_sort_onesweep_config_selectorIiNS0_10empty_typeEEEZNS1_34radix_sort_onesweep_global_offsetsIS3_Lb1EPKiPS5_mNS0_19identity_decomposerEEE10hipError_tT1_T2_PT3_SF_jT4_jjP12ihipStream_tbEUlT_E0_NS1_11comp_targetILNS1_3genE9ELNS1_11target_archE1100ELNS1_3gpuE3ELNS1_3repE0EEENS1_52radix_sort_onesweep_histogram_config_static_selectorELNS0_4arch9wavefront6targetE0EEEvSD_,comdat
	.protected	_ZN7rocprim17ROCPRIM_400000_NS6detail17trampoline_kernelINS0_14default_configENS1_35radix_sort_onesweep_config_selectorIiNS0_10empty_typeEEEZNS1_34radix_sort_onesweep_global_offsetsIS3_Lb1EPKiPS5_mNS0_19identity_decomposerEEE10hipError_tT1_T2_PT3_SF_jT4_jjP12ihipStream_tbEUlT_E0_NS1_11comp_targetILNS1_3genE9ELNS1_11target_archE1100ELNS1_3gpuE3ELNS1_3repE0EEENS1_52radix_sort_onesweep_histogram_config_static_selectorELNS0_4arch9wavefront6targetE0EEEvSD_ ; -- Begin function _ZN7rocprim17ROCPRIM_400000_NS6detail17trampoline_kernelINS0_14default_configENS1_35radix_sort_onesweep_config_selectorIiNS0_10empty_typeEEEZNS1_34radix_sort_onesweep_global_offsetsIS3_Lb1EPKiPS5_mNS0_19identity_decomposerEEE10hipError_tT1_T2_PT3_SF_jT4_jjP12ihipStream_tbEUlT_E0_NS1_11comp_targetILNS1_3genE9ELNS1_11target_archE1100ELNS1_3gpuE3ELNS1_3repE0EEENS1_52radix_sort_onesweep_histogram_config_static_selectorELNS0_4arch9wavefront6targetE0EEEvSD_
	.globl	_ZN7rocprim17ROCPRIM_400000_NS6detail17trampoline_kernelINS0_14default_configENS1_35radix_sort_onesweep_config_selectorIiNS0_10empty_typeEEEZNS1_34radix_sort_onesweep_global_offsetsIS3_Lb1EPKiPS5_mNS0_19identity_decomposerEEE10hipError_tT1_T2_PT3_SF_jT4_jjP12ihipStream_tbEUlT_E0_NS1_11comp_targetILNS1_3genE9ELNS1_11target_archE1100ELNS1_3gpuE3ELNS1_3repE0EEENS1_52radix_sort_onesweep_histogram_config_static_selectorELNS0_4arch9wavefront6targetE0EEEvSD_
	.p2align	8
	.type	_ZN7rocprim17ROCPRIM_400000_NS6detail17trampoline_kernelINS0_14default_configENS1_35radix_sort_onesweep_config_selectorIiNS0_10empty_typeEEEZNS1_34radix_sort_onesweep_global_offsetsIS3_Lb1EPKiPS5_mNS0_19identity_decomposerEEE10hipError_tT1_T2_PT3_SF_jT4_jjP12ihipStream_tbEUlT_E0_NS1_11comp_targetILNS1_3genE9ELNS1_11target_archE1100ELNS1_3gpuE3ELNS1_3repE0EEENS1_52radix_sort_onesweep_histogram_config_static_selectorELNS0_4arch9wavefront6targetE0EEEvSD_,@function
_ZN7rocprim17ROCPRIM_400000_NS6detail17trampoline_kernelINS0_14default_configENS1_35radix_sort_onesweep_config_selectorIiNS0_10empty_typeEEEZNS1_34radix_sort_onesweep_global_offsetsIS3_Lb1EPKiPS5_mNS0_19identity_decomposerEEE10hipError_tT1_T2_PT3_SF_jT4_jjP12ihipStream_tbEUlT_E0_NS1_11comp_targetILNS1_3genE9ELNS1_11target_archE1100ELNS1_3gpuE3ELNS1_3repE0EEENS1_52radix_sort_onesweep_histogram_config_static_selectorELNS0_4arch9wavefront6targetE0EEEvSD_: ; @_ZN7rocprim17ROCPRIM_400000_NS6detail17trampoline_kernelINS0_14default_configENS1_35radix_sort_onesweep_config_selectorIiNS0_10empty_typeEEEZNS1_34radix_sort_onesweep_global_offsetsIS3_Lb1EPKiPS5_mNS0_19identity_decomposerEEE10hipError_tT1_T2_PT3_SF_jT4_jjP12ihipStream_tbEUlT_E0_NS1_11comp_targetILNS1_3genE9ELNS1_11target_archE1100ELNS1_3gpuE3ELNS1_3repE0EEENS1_52radix_sort_onesweep_histogram_config_static_selectorELNS0_4arch9wavefront6targetE0EEEvSD_
; %bb.0:
	.section	.rodata,"a",@progbits
	.p2align	6, 0x0
	.amdhsa_kernel _ZN7rocprim17ROCPRIM_400000_NS6detail17trampoline_kernelINS0_14default_configENS1_35radix_sort_onesweep_config_selectorIiNS0_10empty_typeEEEZNS1_34radix_sort_onesweep_global_offsetsIS3_Lb1EPKiPS5_mNS0_19identity_decomposerEEE10hipError_tT1_T2_PT3_SF_jT4_jjP12ihipStream_tbEUlT_E0_NS1_11comp_targetILNS1_3genE9ELNS1_11target_archE1100ELNS1_3gpuE3ELNS1_3repE0EEENS1_52radix_sort_onesweep_histogram_config_static_selectorELNS0_4arch9wavefront6targetE0EEEvSD_
		.amdhsa_group_segment_fixed_size 0
		.amdhsa_private_segment_fixed_size 0
		.amdhsa_kernarg_size 8
		.amdhsa_user_sgpr_count 2
		.amdhsa_user_sgpr_dispatch_ptr 0
		.amdhsa_user_sgpr_queue_ptr 0
		.amdhsa_user_sgpr_kernarg_segment_ptr 1
		.amdhsa_user_sgpr_dispatch_id 0
		.amdhsa_user_sgpr_kernarg_preload_length 0
		.amdhsa_user_sgpr_kernarg_preload_offset 0
		.amdhsa_user_sgpr_private_segment_size 0
		.amdhsa_wavefront_size32 1
		.amdhsa_uses_dynamic_stack 0
		.amdhsa_enable_private_segment 0
		.amdhsa_system_sgpr_workgroup_id_x 1
		.amdhsa_system_sgpr_workgroup_id_y 0
		.amdhsa_system_sgpr_workgroup_id_z 0
		.amdhsa_system_sgpr_workgroup_info 0
		.amdhsa_system_vgpr_workitem_id 0
		.amdhsa_next_free_vgpr 1
		.amdhsa_next_free_sgpr 1
		.amdhsa_named_barrier_count 0
		.amdhsa_reserve_vcc 0
		.amdhsa_float_round_mode_32 0
		.amdhsa_float_round_mode_16_64 0
		.amdhsa_float_denorm_mode_32 3
		.amdhsa_float_denorm_mode_16_64 3
		.amdhsa_fp16_overflow 0
		.amdhsa_memory_ordered 1
		.amdhsa_forward_progress 1
		.amdhsa_inst_pref_size 0
		.amdhsa_round_robin_scheduling 0
		.amdhsa_exception_fp_ieee_invalid_op 0
		.amdhsa_exception_fp_denorm_src 0
		.amdhsa_exception_fp_ieee_div_zero 0
		.amdhsa_exception_fp_ieee_overflow 0
		.amdhsa_exception_fp_ieee_underflow 0
		.amdhsa_exception_fp_ieee_inexact 0
		.amdhsa_exception_int_div_zero 0
	.end_amdhsa_kernel
	.section	.text._ZN7rocprim17ROCPRIM_400000_NS6detail17trampoline_kernelINS0_14default_configENS1_35radix_sort_onesweep_config_selectorIiNS0_10empty_typeEEEZNS1_34radix_sort_onesweep_global_offsetsIS3_Lb1EPKiPS5_mNS0_19identity_decomposerEEE10hipError_tT1_T2_PT3_SF_jT4_jjP12ihipStream_tbEUlT_E0_NS1_11comp_targetILNS1_3genE9ELNS1_11target_archE1100ELNS1_3gpuE3ELNS1_3repE0EEENS1_52radix_sort_onesweep_histogram_config_static_selectorELNS0_4arch9wavefront6targetE0EEEvSD_,"axG",@progbits,_ZN7rocprim17ROCPRIM_400000_NS6detail17trampoline_kernelINS0_14default_configENS1_35radix_sort_onesweep_config_selectorIiNS0_10empty_typeEEEZNS1_34radix_sort_onesweep_global_offsetsIS3_Lb1EPKiPS5_mNS0_19identity_decomposerEEE10hipError_tT1_T2_PT3_SF_jT4_jjP12ihipStream_tbEUlT_E0_NS1_11comp_targetILNS1_3genE9ELNS1_11target_archE1100ELNS1_3gpuE3ELNS1_3repE0EEENS1_52radix_sort_onesweep_histogram_config_static_selectorELNS0_4arch9wavefront6targetE0EEEvSD_,comdat
.Lfunc_end839:
	.size	_ZN7rocprim17ROCPRIM_400000_NS6detail17trampoline_kernelINS0_14default_configENS1_35radix_sort_onesweep_config_selectorIiNS0_10empty_typeEEEZNS1_34radix_sort_onesweep_global_offsetsIS3_Lb1EPKiPS5_mNS0_19identity_decomposerEEE10hipError_tT1_T2_PT3_SF_jT4_jjP12ihipStream_tbEUlT_E0_NS1_11comp_targetILNS1_3genE9ELNS1_11target_archE1100ELNS1_3gpuE3ELNS1_3repE0EEENS1_52radix_sort_onesweep_histogram_config_static_selectorELNS0_4arch9wavefront6targetE0EEEvSD_, .Lfunc_end839-_ZN7rocprim17ROCPRIM_400000_NS6detail17trampoline_kernelINS0_14default_configENS1_35radix_sort_onesweep_config_selectorIiNS0_10empty_typeEEEZNS1_34radix_sort_onesweep_global_offsetsIS3_Lb1EPKiPS5_mNS0_19identity_decomposerEEE10hipError_tT1_T2_PT3_SF_jT4_jjP12ihipStream_tbEUlT_E0_NS1_11comp_targetILNS1_3genE9ELNS1_11target_archE1100ELNS1_3gpuE3ELNS1_3repE0EEENS1_52radix_sort_onesweep_histogram_config_static_selectorELNS0_4arch9wavefront6targetE0EEEvSD_
                                        ; -- End function
	.set _ZN7rocprim17ROCPRIM_400000_NS6detail17trampoline_kernelINS0_14default_configENS1_35radix_sort_onesweep_config_selectorIiNS0_10empty_typeEEEZNS1_34radix_sort_onesweep_global_offsetsIS3_Lb1EPKiPS5_mNS0_19identity_decomposerEEE10hipError_tT1_T2_PT3_SF_jT4_jjP12ihipStream_tbEUlT_E0_NS1_11comp_targetILNS1_3genE9ELNS1_11target_archE1100ELNS1_3gpuE3ELNS1_3repE0EEENS1_52radix_sort_onesweep_histogram_config_static_selectorELNS0_4arch9wavefront6targetE0EEEvSD_.num_vgpr, 0
	.set _ZN7rocprim17ROCPRIM_400000_NS6detail17trampoline_kernelINS0_14default_configENS1_35radix_sort_onesweep_config_selectorIiNS0_10empty_typeEEEZNS1_34radix_sort_onesweep_global_offsetsIS3_Lb1EPKiPS5_mNS0_19identity_decomposerEEE10hipError_tT1_T2_PT3_SF_jT4_jjP12ihipStream_tbEUlT_E0_NS1_11comp_targetILNS1_3genE9ELNS1_11target_archE1100ELNS1_3gpuE3ELNS1_3repE0EEENS1_52radix_sort_onesweep_histogram_config_static_selectorELNS0_4arch9wavefront6targetE0EEEvSD_.num_agpr, 0
	.set _ZN7rocprim17ROCPRIM_400000_NS6detail17trampoline_kernelINS0_14default_configENS1_35radix_sort_onesweep_config_selectorIiNS0_10empty_typeEEEZNS1_34radix_sort_onesweep_global_offsetsIS3_Lb1EPKiPS5_mNS0_19identity_decomposerEEE10hipError_tT1_T2_PT3_SF_jT4_jjP12ihipStream_tbEUlT_E0_NS1_11comp_targetILNS1_3genE9ELNS1_11target_archE1100ELNS1_3gpuE3ELNS1_3repE0EEENS1_52radix_sort_onesweep_histogram_config_static_selectorELNS0_4arch9wavefront6targetE0EEEvSD_.numbered_sgpr, 0
	.set _ZN7rocprim17ROCPRIM_400000_NS6detail17trampoline_kernelINS0_14default_configENS1_35radix_sort_onesweep_config_selectorIiNS0_10empty_typeEEEZNS1_34radix_sort_onesweep_global_offsetsIS3_Lb1EPKiPS5_mNS0_19identity_decomposerEEE10hipError_tT1_T2_PT3_SF_jT4_jjP12ihipStream_tbEUlT_E0_NS1_11comp_targetILNS1_3genE9ELNS1_11target_archE1100ELNS1_3gpuE3ELNS1_3repE0EEENS1_52radix_sort_onesweep_histogram_config_static_selectorELNS0_4arch9wavefront6targetE0EEEvSD_.num_named_barrier, 0
	.set _ZN7rocprim17ROCPRIM_400000_NS6detail17trampoline_kernelINS0_14default_configENS1_35radix_sort_onesweep_config_selectorIiNS0_10empty_typeEEEZNS1_34radix_sort_onesweep_global_offsetsIS3_Lb1EPKiPS5_mNS0_19identity_decomposerEEE10hipError_tT1_T2_PT3_SF_jT4_jjP12ihipStream_tbEUlT_E0_NS1_11comp_targetILNS1_3genE9ELNS1_11target_archE1100ELNS1_3gpuE3ELNS1_3repE0EEENS1_52radix_sort_onesweep_histogram_config_static_selectorELNS0_4arch9wavefront6targetE0EEEvSD_.private_seg_size, 0
	.set _ZN7rocprim17ROCPRIM_400000_NS6detail17trampoline_kernelINS0_14default_configENS1_35radix_sort_onesweep_config_selectorIiNS0_10empty_typeEEEZNS1_34radix_sort_onesweep_global_offsetsIS3_Lb1EPKiPS5_mNS0_19identity_decomposerEEE10hipError_tT1_T2_PT3_SF_jT4_jjP12ihipStream_tbEUlT_E0_NS1_11comp_targetILNS1_3genE9ELNS1_11target_archE1100ELNS1_3gpuE3ELNS1_3repE0EEENS1_52radix_sort_onesweep_histogram_config_static_selectorELNS0_4arch9wavefront6targetE0EEEvSD_.uses_vcc, 0
	.set _ZN7rocprim17ROCPRIM_400000_NS6detail17trampoline_kernelINS0_14default_configENS1_35radix_sort_onesweep_config_selectorIiNS0_10empty_typeEEEZNS1_34radix_sort_onesweep_global_offsetsIS3_Lb1EPKiPS5_mNS0_19identity_decomposerEEE10hipError_tT1_T2_PT3_SF_jT4_jjP12ihipStream_tbEUlT_E0_NS1_11comp_targetILNS1_3genE9ELNS1_11target_archE1100ELNS1_3gpuE3ELNS1_3repE0EEENS1_52radix_sort_onesweep_histogram_config_static_selectorELNS0_4arch9wavefront6targetE0EEEvSD_.uses_flat_scratch, 0
	.set _ZN7rocprim17ROCPRIM_400000_NS6detail17trampoline_kernelINS0_14default_configENS1_35radix_sort_onesweep_config_selectorIiNS0_10empty_typeEEEZNS1_34radix_sort_onesweep_global_offsetsIS3_Lb1EPKiPS5_mNS0_19identity_decomposerEEE10hipError_tT1_T2_PT3_SF_jT4_jjP12ihipStream_tbEUlT_E0_NS1_11comp_targetILNS1_3genE9ELNS1_11target_archE1100ELNS1_3gpuE3ELNS1_3repE0EEENS1_52radix_sort_onesweep_histogram_config_static_selectorELNS0_4arch9wavefront6targetE0EEEvSD_.has_dyn_sized_stack, 0
	.set _ZN7rocprim17ROCPRIM_400000_NS6detail17trampoline_kernelINS0_14default_configENS1_35radix_sort_onesweep_config_selectorIiNS0_10empty_typeEEEZNS1_34radix_sort_onesweep_global_offsetsIS3_Lb1EPKiPS5_mNS0_19identity_decomposerEEE10hipError_tT1_T2_PT3_SF_jT4_jjP12ihipStream_tbEUlT_E0_NS1_11comp_targetILNS1_3genE9ELNS1_11target_archE1100ELNS1_3gpuE3ELNS1_3repE0EEENS1_52radix_sort_onesweep_histogram_config_static_selectorELNS0_4arch9wavefront6targetE0EEEvSD_.has_recursion, 0
	.set _ZN7rocprim17ROCPRIM_400000_NS6detail17trampoline_kernelINS0_14default_configENS1_35radix_sort_onesweep_config_selectorIiNS0_10empty_typeEEEZNS1_34radix_sort_onesweep_global_offsetsIS3_Lb1EPKiPS5_mNS0_19identity_decomposerEEE10hipError_tT1_T2_PT3_SF_jT4_jjP12ihipStream_tbEUlT_E0_NS1_11comp_targetILNS1_3genE9ELNS1_11target_archE1100ELNS1_3gpuE3ELNS1_3repE0EEENS1_52radix_sort_onesweep_histogram_config_static_selectorELNS0_4arch9wavefront6targetE0EEEvSD_.has_indirect_call, 0
	.section	.AMDGPU.csdata,"",@progbits
; Kernel info:
; codeLenInByte = 0
; TotalNumSgprs: 0
; NumVgprs: 0
; ScratchSize: 0
; MemoryBound: 0
; FloatMode: 240
; IeeeMode: 1
; LDSByteSize: 0 bytes/workgroup (compile time only)
; SGPRBlocks: 0
; VGPRBlocks: 0
; NumSGPRsForWavesPerEU: 1
; NumVGPRsForWavesPerEU: 1
; NamedBarCnt: 0
; Occupancy: 16
; WaveLimiterHint : 0
; COMPUTE_PGM_RSRC2:SCRATCH_EN: 0
; COMPUTE_PGM_RSRC2:USER_SGPR: 2
; COMPUTE_PGM_RSRC2:TRAP_HANDLER: 0
; COMPUTE_PGM_RSRC2:TGID_X_EN: 1
; COMPUTE_PGM_RSRC2:TGID_Y_EN: 0
; COMPUTE_PGM_RSRC2:TGID_Z_EN: 0
; COMPUTE_PGM_RSRC2:TIDIG_COMP_CNT: 0
	.section	.text._ZN7rocprim17ROCPRIM_400000_NS6detail17trampoline_kernelINS0_14default_configENS1_35radix_sort_onesweep_config_selectorIiNS0_10empty_typeEEEZNS1_34radix_sort_onesweep_global_offsetsIS3_Lb1EPKiPS5_mNS0_19identity_decomposerEEE10hipError_tT1_T2_PT3_SF_jT4_jjP12ihipStream_tbEUlT_E0_NS1_11comp_targetILNS1_3genE8ELNS1_11target_archE1030ELNS1_3gpuE2ELNS1_3repE0EEENS1_52radix_sort_onesweep_histogram_config_static_selectorELNS0_4arch9wavefront6targetE0EEEvSD_,"axG",@progbits,_ZN7rocprim17ROCPRIM_400000_NS6detail17trampoline_kernelINS0_14default_configENS1_35radix_sort_onesweep_config_selectorIiNS0_10empty_typeEEEZNS1_34radix_sort_onesweep_global_offsetsIS3_Lb1EPKiPS5_mNS0_19identity_decomposerEEE10hipError_tT1_T2_PT3_SF_jT4_jjP12ihipStream_tbEUlT_E0_NS1_11comp_targetILNS1_3genE8ELNS1_11target_archE1030ELNS1_3gpuE2ELNS1_3repE0EEENS1_52radix_sort_onesweep_histogram_config_static_selectorELNS0_4arch9wavefront6targetE0EEEvSD_,comdat
	.protected	_ZN7rocprim17ROCPRIM_400000_NS6detail17trampoline_kernelINS0_14default_configENS1_35radix_sort_onesweep_config_selectorIiNS0_10empty_typeEEEZNS1_34radix_sort_onesweep_global_offsetsIS3_Lb1EPKiPS5_mNS0_19identity_decomposerEEE10hipError_tT1_T2_PT3_SF_jT4_jjP12ihipStream_tbEUlT_E0_NS1_11comp_targetILNS1_3genE8ELNS1_11target_archE1030ELNS1_3gpuE2ELNS1_3repE0EEENS1_52radix_sort_onesweep_histogram_config_static_selectorELNS0_4arch9wavefront6targetE0EEEvSD_ ; -- Begin function _ZN7rocprim17ROCPRIM_400000_NS6detail17trampoline_kernelINS0_14default_configENS1_35radix_sort_onesweep_config_selectorIiNS0_10empty_typeEEEZNS1_34radix_sort_onesweep_global_offsetsIS3_Lb1EPKiPS5_mNS0_19identity_decomposerEEE10hipError_tT1_T2_PT3_SF_jT4_jjP12ihipStream_tbEUlT_E0_NS1_11comp_targetILNS1_3genE8ELNS1_11target_archE1030ELNS1_3gpuE2ELNS1_3repE0EEENS1_52radix_sort_onesweep_histogram_config_static_selectorELNS0_4arch9wavefront6targetE0EEEvSD_
	.globl	_ZN7rocprim17ROCPRIM_400000_NS6detail17trampoline_kernelINS0_14default_configENS1_35radix_sort_onesweep_config_selectorIiNS0_10empty_typeEEEZNS1_34radix_sort_onesweep_global_offsetsIS3_Lb1EPKiPS5_mNS0_19identity_decomposerEEE10hipError_tT1_T2_PT3_SF_jT4_jjP12ihipStream_tbEUlT_E0_NS1_11comp_targetILNS1_3genE8ELNS1_11target_archE1030ELNS1_3gpuE2ELNS1_3repE0EEENS1_52radix_sort_onesweep_histogram_config_static_selectorELNS0_4arch9wavefront6targetE0EEEvSD_
	.p2align	8
	.type	_ZN7rocprim17ROCPRIM_400000_NS6detail17trampoline_kernelINS0_14default_configENS1_35radix_sort_onesweep_config_selectorIiNS0_10empty_typeEEEZNS1_34radix_sort_onesweep_global_offsetsIS3_Lb1EPKiPS5_mNS0_19identity_decomposerEEE10hipError_tT1_T2_PT3_SF_jT4_jjP12ihipStream_tbEUlT_E0_NS1_11comp_targetILNS1_3genE8ELNS1_11target_archE1030ELNS1_3gpuE2ELNS1_3repE0EEENS1_52radix_sort_onesweep_histogram_config_static_selectorELNS0_4arch9wavefront6targetE0EEEvSD_,@function
_ZN7rocprim17ROCPRIM_400000_NS6detail17trampoline_kernelINS0_14default_configENS1_35radix_sort_onesweep_config_selectorIiNS0_10empty_typeEEEZNS1_34radix_sort_onesweep_global_offsetsIS3_Lb1EPKiPS5_mNS0_19identity_decomposerEEE10hipError_tT1_T2_PT3_SF_jT4_jjP12ihipStream_tbEUlT_E0_NS1_11comp_targetILNS1_3genE8ELNS1_11target_archE1030ELNS1_3gpuE2ELNS1_3repE0EEENS1_52radix_sort_onesweep_histogram_config_static_selectorELNS0_4arch9wavefront6targetE0EEEvSD_: ; @_ZN7rocprim17ROCPRIM_400000_NS6detail17trampoline_kernelINS0_14default_configENS1_35radix_sort_onesweep_config_selectorIiNS0_10empty_typeEEEZNS1_34radix_sort_onesweep_global_offsetsIS3_Lb1EPKiPS5_mNS0_19identity_decomposerEEE10hipError_tT1_T2_PT3_SF_jT4_jjP12ihipStream_tbEUlT_E0_NS1_11comp_targetILNS1_3genE8ELNS1_11target_archE1030ELNS1_3gpuE2ELNS1_3repE0EEENS1_52radix_sort_onesweep_histogram_config_static_selectorELNS0_4arch9wavefront6targetE0EEEvSD_
; %bb.0:
	.section	.rodata,"a",@progbits
	.p2align	6, 0x0
	.amdhsa_kernel _ZN7rocprim17ROCPRIM_400000_NS6detail17trampoline_kernelINS0_14default_configENS1_35radix_sort_onesweep_config_selectorIiNS0_10empty_typeEEEZNS1_34radix_sort_onesweep_global_offsetsIS3_Lb1EPKiPS5_mNS0_19identity_decomposerEEE10hipError_tT1_T2_PT3_SF_jT4_jjP12ihipStream_tbEUlT_E0_NS1_11comp_targetILNS1_3genE8ELNS1_11target_archE1030ELNS1_3gpuE2ELNS1_3repE0EEENS1_52radix_sort_onesweep_histogram_config_static_selectorELNS0_4arch9wavefront6targetE0EEEvSD_
		.amdhsa_group_segment_fixed_size 0
		.amdhsa_private_segment_fixed_size 0
		.amdhsa_kernarg_size 8
		.amdhsa_user_sgpr_count 2
		.amdhsa_user_sgpr_dispatch_ptr 0
		.amdhsa_user_sgpr_queue_ptr 0
		.amdhsa_user_sgpr_kernarg_segment_ptr 1
		.amdhsa_user_sgpr_dispatch_id 0
		.amdhsa_user_sgpr_kernarg_preload_length 0
		.amdhsa_user_sgpr_kernarg_preload_offset 0
		.amdhsa_user_sgpr_private_segment_size 0
		.amdhsa_wavefront_size32 1
		.amdhsa_uses_dynamic_stack 0
		.amdhsa_enable_private_segment 0
		.amdhsa_system_sgpr_workgroup_id_x 1
		.amdhsa_system_sgpr_workgroup_id_y 0
		.amdhsa_system_sgpr_workgroup_id_z 0
		.amdhsa_system_sgpr_workgroup_info 0
		.amdhsa_system_vgpr_workitem_id 0
		.amdhsa_next_free_vgpr 1
		.amdhsa_next_free_sgpr 1
		.amdhsa_named_barrier_count 0
		.amdhsa_reserve_vcc 0
		.amdhsa_float_round_mode_32 0
		.amdhsa_float_round_mode_16_64 0
		.amdhsa_float_denorm_mode_32 3
		.amdhsa_float_denorm_mode_16_64 3
		.amdhsa_fp16_overflow 0
		.amdhsa_memory_ordered 1
		.amdhsa_forward_progress 1
		.amdhsa_inst_pref_size 0
		.amdhsa_round_robin_scheduling 0
		.amdhsa_exception_fp_ieee_invalid_op 0
		.amdhsa_exception_fp_denorm_src 0
		.amdhsa_exception_fp_ieee_div_zero 0
		.amdhsa_exception_fp_ieee_overflow 0
		.amdhsa_exception_fp_ieee_underflow 0
		.amdhsa_exception_fp_ieee_inexact 0
		.amdhsa_exception_int_div_zero 0
	.end_amdhsa_kernel
	.section	.text._ZN7rocprim17ROCPRIM_400000_NS6detail17trampoline_kernelINS0_14default_configENS1_35radix_sort_onesweep_config_selectorIiNS0_10empty_typeEEEZNS1_34radix_sort_onesweep_global_offsetsIS3_Lb1EPKiPS5_mNS0_19identity_decomposerEEE10hipError_tT1_T2_PT3_SF_jT4_jjP12ihipStream_tbEUlT_E0_NS1_11comp_targetILNS1_3genE8ELNS1_11target_archE1030ELNS1_3gpuE2ELNS1_3repE0EEENS1_52radix_sort_onesweep_histogram_config_static_selectorELNS0_4arch9wavefront6targetE0EEEvSD_,"axG",@progbits,_ZN7rocprim17ROCPRIM_400000_NS6detail17trampoline_kernelINS0_14default_configENS1_35radix_sort_onesweep_config_selectorIiNS0_10empty_typeEEEZNS1_34radix_sort_onesweep_global_offsetsIS3_Lb1EPKiPS5_mNS0_19identity_decomposerEEE10hipError_tT1_T2_PT3_SF_jT4_jjP12ihipStream_tbEUlT_E0_NS1_11comp_targetILNS1_3genE8ELNS1_11target_archE1030ELNS1_3gpuE2ELNS1_3repE0EEENS1_52radix_sort_onesweep_histogram_config_static_selectorELNS0_4arch9wavefront6targetE0EEEvSD_,comdat
.Lfunc_end840:
	.size	_ZN7rocprim17ROCPRIM_400000_NS6detail17trampoline_kernelINS0_14default_configENS1_35radix_sort_onesweep_config_selectorIiNS0_10empty_typeEEEZNS1_34radix_sort_onesweep_global_offsetsIS3_Lb1EPKiPS5_mNS0_19identity_decomposerEEE10hipError_tT1_T2_PT3_SF_jT4_jjP12ihipStream_tbEUlT_E0_NS1_11comp_targetILNS1_3genE8ELNS1_11target_archE1030ELNS1_3gpuE2ELNS1_3repE0EEENS1_52radix_sort_onesweep_histogram_config_static_selectorELNS0_4arch9wavefront6targetE0EEEvSD_, .Lfunc_end840-_ZN7rocprim17ROCPRIM_400000_NS6detail17trampoline_kernelINS0_14default_configENS1_35radix_sort_onesweep_config_selectorIiNS0_10empty_typeEEEZNS1_34radix_sort_onesweep_global_offsetsIS3_Lb1EPKiPS5_mNS0_19identity_decomposerEEE10hipError_tT1_T2_PT3_SF_jT4_jjP12ihipStream_tbEUlT_E0_NS1_11comp_targetILNS1_3genE8ELNS1_11target_archE1030ELNS1_3gpuE2ELNS1_3repE0EEENS1_52radix_sort_onesweep_histogram_config_static_selectorELNS0_4arch9wavefront6targetE0EEEvSD_
                                        ; -- End function
	.set _ZN7rocprim17ROCPRIM_400000_NS6detail17trampoline_kernelINS0_14default_configENS1_35radix_sort_onesweep_config_selectorIiNS0_10empty_typeEEEZNS1_34radix_sort_onesweep_global_offsetsIS3_Lb1EPKiPS5_mNS0_19identity_decomposerEEE10hipError_tT1_T2_PT3_SF_jT4_jjP12ihipStream_tbEUlT_E0_NS1_11comp_targetILNS1_3genE8ELNS1_11target_archE1030ELNS1_3gpuE2ELNS1_3repE0EEENS1_52radix_sort_onesweep_histogram_config_static_selectorELNS0_4arch9wavefront6targetE0EEEvSD_.num_vgpr, 0
	.set _ZN7rocprim17ROCPRIM_400000_NS6detail17trampoline_kernelINS0_14default_configENS1_35radix_sort_onesweep_config_selectorIiNS0_10empty_typeEEEZNS1_34radix_sort_onesweep_global_offsetsIS3_Lb1EPKiPS5_mNS0_19identity_decomposerEEE10hipError_tT1_T2_PT3_SF_jT4_jjP12ihipStream_tbEUlT_E0_NS1_11comp_targetILNS1_3genE8ELNS1_11target_archE1030ELNS1_3gpuE2ELNS1_3repE0EEENS1_52radix_sort_onesweep_histogram_config_static_selectorELNS0_4arch9wavefront6targetE0EEEvSD_.num_agpr, 0
	.set _ZN7rocprim17ROCPRIM_400000_NS6detail17trampoline_kernelINS0_14default_configENS1_35radix_sort_onesweep_config_selectorIiNS0_10empty_typeEEEZNS1_34radix_sort_onesweep_global_offsetsIS3_Lb1EPKiPS5_mNS0_19identity_decomposerEEE10hipError_tT1_T2_PT3_SF_jT4_jjP12ihipStream_tbEUlT_E0_NS1_11comp_targetILNS1_3genE8ELNS1_11target_archE1030ELNS1_3gpuE2ELNS1_3repE0EEENS1_52radix_sort_onesweep_histogram_config_static_selectorELNS0_4arch9wavefront6targetE0EEEvSD_.numbered_sgpr, 0
	.set _ZN7rocprim17ROCPRIM_400000_NS6detail17trampoline_kernelINS0_14default_configENS1_35radix_sort_onesweep_config_selectorIiNS0_10empty_typeEEEZNS1_34radix_sort_onesweep_global_offsetsIS3_Lb1EPKiPS5_mNS0_19identity_decomposerEEE10hipError_tT1_T2_PT3_SF_jT4_jjP12ihipStream_tbEUlT_E0_NS1_11comp_targetILNS1_3genE8ELNS1_11target_archE1030ELNS1_3gpuE2ELNS1_3repE0EEENS1_52radix_sort_onesweep_histogram_config_static_selectorELNS0_4arch9wavefront6targetE0EEEvSD_.num_named_barrier, 0
	.set _ZN7rocprim17ROCPRIM_400000_NS6detail17trampoline_kernelINS0_14default_configENS1_35radix_sort_onesweep_config_selectorIiNS0_10empty_typeEEEZNS1_34radix_sort_onesweep_global_offsetsIS3_Lb1EPKiPS5_mNS0_19identity_decomposerEEE10hipError_tT1_T2_PT3_SF_jT4_jjP12ihipStream_tbEUlT_E0_NS1_11comp_targetILNS1_3genE8ELNS1_11target_archE1030ELNS1_3gpuE2ELNS1_3repE0EEENS1_52radix_sort_onesweep_histogram_config_static_selectorELNS0_4arch9wavefront6targetE0EEEvSD_.private_seg_size, 0
	.set _ZN7rocprim17ROCPRIM_400000_NS6detail17trampoline_kernelINS0_14default_configENS1_35radix_sort_onesweep_config_selectorIiNS0_10empty_typeEEEZNS1_34radix_sort_onesweep_global_offsetsIS3_Lb1EPKiPS5_mNS0_19identity_decomposerEEE10hipError_tT1_T2_PT3_SF_jT4_jjP12ihipStream_tbEUlT_E0_NS1_11comp_targetILNS1_3genE8ELNS1_11target_archE1030ELNS1_3gpuE2ELNS1_3repE0EEENS1_52radix_sort_onesweep_histogram_config_static_selectorELNS0_4arch9wavefront6targetE0EEEvSD_.uses_vcc, 0
	.set _ZN7rocprim17ROCPRIM_400000_NS6detail17trampoline_kernelINS0_14default_configENS1_35radix_sort_onesweep_config_selectorIiNS0_10empty_typeEEEZNS1_34radix_sort_onesweep_global_offsetsIS3_Lb1EPKiPS5_mNS0_19identity_decomposerEEE10hipError_tT1_T2_PT3_SF_jT4_jjP12ihipStream_tbEUlT_E0_NS1_11comp_targetILNS1_3genE8ELNS1_11target_archE1030ELNS1_3gpuE2ELNS1_3repE0EEENS1_52radix_sort_onesweep_histogram_config_static_selectorELNS0_4arch9wavefront6targetE0EEEvSD_.uses_flat_scratch, 0
	.set _ZN7rocprim17ROCPRIM_400000_NS6detail17trampoline_kernelINS0_14default_configENS1_35radix_sort_onesweep_config_selectorIiNS0_10empty_typeEEEZNS1_34radix_sort_onesweep_global_offsetsIS3_Lb1EPKiPS5_mNS0_19identity_decomposerEEE10hipError_tT1_T2_PT3_SF_jT4_jjP12ihipStream_tbEUlT_E0_NS1_11comp_targetILNS1_3genE8ELNS1_11target_archE1030ELNS1_3gpuE2ELNS1_3repE0EEENS1_52radix_sort_onesweep_histogram_config_static_selectorELNS0_4arch9wavefront6targetE0EEEvSD_.has_dyn_sized_stack, 0
	.set _ZN7rocprim17ROCPRIM_400000_NS6detail17trampoline_kernelINS0_14default_configENS1_35radix_sort_onesweep_config_selectorIiNS0_10empty_typeEEEZNS1_34radix_sort_onesweep_global_offsetsIS3_Lb1EPKiPS5_mNS0_19identity_decomposerEEE10hipError_tT1_T2_PT3_SF_jT4_jjP12ihipStream_tbEUlT_E0_NS1_11comp_targetILNS1_3genE8ELNS1_11target_archE1030ELNS1_3gpuE2ELNS1_3repE0EEENS1_52radix_sort_onesweep_histogram_config_static_selectorELNS0_4arch9wavefront6targetE0EEEvSD_.has_recursion, 0
	.set _ZN7rocprim17ROCPRIM_400000_NS6detail17trampoline_kernelINS0_14default_configENS1_35radix_sort_onesweep_config_selectorIiNS0_10empty_typeEEEZNS1_34radix_sort_onesweep_global_offsetsIS3_Lb1EPKiPS5_mNS0_19identity_decomposerEEE10hipError_tT1_T2_PT3_SF_jT4_jjP12ihipStream_tbEUlT_E0_NS1_11comp_targetILNS1_3genE8ELNS1_11target_archE1030ELNS1_3gpuE2ELNS1_3repE0EEENS1_52radix_sort_onesweep_histogram_config_static_selectorELNS0_4arch9wavefront6targetE0EEEvSD_.has_indirect_call, 0
	.section	.AMDGPU.csdata,"",@progbits
; Kernel info:
; codeLenInByte = 0
; TotalNumSgprs: 0
; NumVgprs: 0
; ScratchSize: 0
; MemoryBound: 0
; FloatMode: 240
; IeeeMode: 1
; LDSByteSize: 0 bytes/workgroup (compile time only)
; SGPRBlocks: 0
; VGPRBlocks: 0
; NumSGPRsForWavesPerEU: 1
; NumVGPRsForWavesPerEU: 1
; NamedBarCnt: 0
; Occupancy: 16
; WaveLimiterHint : 0
; COMPUTE_PGM_RSRC2:SCRATCH_EN: 0
; COMPUTE_PGM_RSRC2:USER_SGPR: 2
; COMPUTE_PGM_RSRC2:TRAP_HANDLER: 0
; COMPUTE_PGM_RSRC2:TGID_X_EN: 1
; COMPUTE_PGM_RSRC2:TGID_Y_EN: 0
; COMPUTE_PGM_RSRC2:TGID_Z_EN: 0
; COMPUTE_PGM_RSRC2:TIDIG_COMP_CNT: 0
	.section	.text._ZN7rocprim17ROCPRIM_400000_NS6detail17trampoline_kernelINS0_14default_configENS1_25transform_config_selectorIiLb1EEEZNS1_14transform_implILb1ES3_S5_PKiPiNS0_8identityIiEEEE10hipError_tT2_T3_mT4_P12ihipStream_tbEUlT_E_NS1_11comp_targetILNS1_3genE0ELNS1_11target_archE4294967295ELNS1_3gpuE0ELNS1_3repE0EEENS1_30default_config_static_selectorELNS0_4arch9wavefront6targetE0EEEvT1_,"axG",@progbits,_ZN7rocprim17ROCPRIM_400000_NS6detail17trampoline_kernelINS0_14default_configENS1_25transform_config_selectorIiLb1EEEZNS1_14transform_implILb1ES3_S5_PKiPiNS0_8identityIiEEEE10hipError_tT2_T3_mT4_P12ihipStream_tbEUlT_E_NS1_11comp_targetILNS1_3genE0ELNS1_11target_archE4294967295ELNS1_3gpuE0ELNS1_3repE0EEENS1_30default_config_static_selectorELNS0_4arch9wavefront6targetE0EEEvT1_,comdat
	.protected	_ZN7rocprim17ROCPRIM_400000_NS6detail17trampoline_kernelINS0_14default_configENS1_25transform_config_selectorIiLb1EEEZNS1_14transform_implILb1ES3_S5_PKiPiNS0_8identityIiEEEE10hipError_tT2_T3_mT4_P12ihipStream_tbEUlT_E_NS1_11comp_targetILNS1_3genE0ELNS1_11target_archE4294967295ELNS1_3gpuE0ELNS1_3repE0EEENS1_30default_config_static_selectorELNS0_4arch9wavefront6targetE0EEEvT1_ ; -- Begin function _ZN7rocprim17ROCPRIM_400000_NS6detail17trampoline_kernelINS0_14default_configENS1_25transform_config_selectorIiLb1EEEZNS1_14transform_implILb1ES3_S5_PKiPiNS0_8identityIiEEEE10hipError_tT2_T3_mT4_P12ihipStream_tbEUlT_E_NS1_11comp_targetILNS1_3genE0ELNS1_11target_archE4294967295ELNS1_3gpuE0ELNS1_3repE0EEENS1_30default_config_static_selectorELNS0_4arch9wavefront6targetE0EEEvT1_
	.globl	_ZN7rocprim17ROCPRIM_400000_NS6detail17trampoline_kernelINS0_14default_configENS1_25transform_config_selectorIiLb1EEEZNS1_14transform_implILb1ES3_S5_PKiPiNS0_8identityIiEEEE10hipError_tT2_T3_mT4_P12ihipStream_tbEUlT_E_NS1_11comp_targetILNS1_3genE0ELNS1_11target_archE4294967295ELNS1_3gpuE0ELNS1_3repE0EEENS1_30default_config_static_selectorELNS0_4arch9wavefront6targetE0EEEvT1_
	.p2align	8
	.type	_ZN7rocprim17ROCPRIM_400000_NS6detail17trampoline_kernelINS0_14default_configENS1_25transform_config_selectorIiLb1EEEZNS1_14transform_implILb1ES3_S5_PKiPiNS0_8identityIiEEEE10hipError_tT2_T3_mT4_P12ihipStream_tbEUlT_E_NS1_11comp_targetILNS1_3genE0ELNS1_11target_archE4294967295ELNS1_3gpuE0ELNS1_3repE0EEENS1_30default_config_static_selectorELNS0_4arch9wavefront6targetE0EEEvT1_,@function
_ZN7rocprim17ROCPRIM_400000_NS6detail17trampoline_kernelINS0_14default_configENS1_25transform_config_selectorIiLb1EEEZNS1_14transform_implILb1ES3_S5_PKiPiNS0_8identityIiEEEE10hipError_tT2_T3_mT4_P12ihipStream_tbEUlT_E_NS1_11comp_targetILNS1_3genE0ELNS1_11target_archE4294967295ELNS1_3gpuE0ELNS1_3repE0EEENS1_30default_config_static_selectorELNS0_4arch9wavefront6targetE0EEEvT1_: ; @_ZN7rocprim17ROCPRIM_400000_NS6detail17trampoline_kernelINS0_14default_configENS1_25transform_config_selectorIiLb1EEEZNS1_14transform_implILb1ES3_S5_PKiPiNS0_8identityIiEEEE10hipError_tT2_T3_mT4_P12ihipStream_tbEUlT_E_NS1_11comp_targetILNS1_3genE0ELNS1_11target_archE4294967295ELNS1_3gpuE0ELNS1_3repE0EEENS1_30default_config_static_selectorELNS0_4arch9wavefront6targetE0EEEvT1_
; %bb.0:
	s_clause 0x1
	s_load_b256 s[4:11], s[0:1], 0x0
	s_load_b32 s12, s[0:1], 0x28
	s_wait_xcnt 0x0
	s_bfe_u32 s0, ttmp6, 0x4000c
	s_and_b32 s2, ttmp6, 15
	s_add_co_i32 s0, s0, 1
	s_wait_kmcnt 0x0
	s_getreg_b32 s9, hwreg(HW_REG_IB_STS2, 6, 4)
	s_mul_i32 s0, ttmp9, s0
	s_mov_b32 s1, 0
	s_add_co_i32 s0, s2, s0
	s_lshl_b64 s[2:3], s[6:7], 2
	s_cmp_eq_u32 s9, 0
	s_add_nc_u64 s[6:7], s[4:5], s[2:3]
	s_cselect_b32 s13, ttmp9, s0
	s_add_co_i32 s12, s12, -1
	s_lshl_b32 s0, s13, 8
	s_add_nc_u64 s[2:3], s[10:11], s[2:3]
	s_lshl_b64 s[4:5], s[0:1], 2
	s_mov_b32 s9, -1
	s_cmp_lg_u32 s13, s12
	s_add_nc_u64 s[6:7], s[6:7], s[4:5]
	s_cbranch_scc0 .LBB841_2
; %bb.1:
	global_load_b64 v[2:3], v0, s[6:7] scale_offset
	s_add_nc_u64 s[10:11], s[2:3], s[4:5]
	s_mov_b32 s9, 0
	s_wait_loadcnt 0x0
	global_store_b64 v0, v[2:3], s[10:11] scale_offset
.LBB841_2:
	s_and_not1_b32 vcc_lo, exec_lo, s9
	s_cbranch_vccnz .LBB841_11
; %bb.3:
	s_sub_co_i32 s1, s8, s0
	s_wait_xcnt 0x0
	v_mov_b64_e32 v[2:3], 0
	v_cmp_gt_u32_e32 vcc_lo, s1, v0
	s_and_saveexec_b32 s0, vcc_lo
	s_cbranch_execz .LBB841_5
; %bb.4:
	global_load_b32 v2, v0, s[6:7] scale_offset
	v_mov_b32_e32 v3, 0
.LBB841_5:
	s_wait_xcnt 0x0
	s_or_b32 exec_lo, exec_lo, s0
	v_or_b32_e32 v1, 0x80, v0
	s_delay_alu instid0(VALU_DEP_1) | instskip(SKIP_2) | instid1(SALU_CYCLE_1)
	v_cmp_gt_u32_e64 s0, s1, v1
	v_cmp_le_u32_e64 s1, s1, v1
	s_and_saveexec_b32 s8, s1
	s_xor_b32 s1, exec_lo, s8
	s_delay_alu instid0(SALU_CYCLE_1)
	s_and_not1_saveexec_b32 s1, s1
	s_cbranch_execz .LBB841_7
; %bb.6:
	global_load_b32 v3, v0, s[6:7] offset:512 scale_offset
.LBB841_7:
	s_wait_xcnt 0x0
	s_or_b32 exec_lo, exec_lo, s1
	v_dual_mov_b32 v1, 0 :: v_dual_lshlrev_b32 v0, 2, v0
	s_add_nc_u64 s[2:3], s[2:3], s[4:5]
	s_wait_loadcnt 0x0
	v_cndmask_b32_e32 v2, 0, v2, vcc_lo
	s_delay_alu instid0(VALU_DEP_2)
	v_add_nc_u64_e32 v[0:1], s[2:3], v[0:1]
	s_and_saveexec_b32 s1, vcc_lo
	s_cbranch_execz .LBB841_9
; %bb.8:
	global_store_b32 v[0:1], v2, off
.LBB841_9:
	s_wait_xcnt 0x0
	s_or_b32 exec_lo, exec_lo, s1
	s_and_saveexec_b32 s1, s0
	s_cbranch_execz .LBB841_11
; %bb.10:
	v_cndmask_b32_e64 v2, 0, v3, s0
	global_store_b32 v[0:1], v2, off offset:512
.LBB841_11:
	s_endpgm
	.section	.rodata,"a",@progbits
	.p2align	6, 0x0
	.amdhsa_kernel _ZN7rocprim17ROCPRIM_400000_NS6detail17trampoline_kernelINS0_14default_configENS1_25transform_config_selectorIiLb1EEEZNS1_14transform_implILb1ES3_S5_PKiPiNS0_8identityIiEEEE10hipError_tT2_T3_mT4_P12ihipStream_tbEUlT_E_NS1_11comp_targetILNS1_3genE0ELNS1_11target_archE4294967295ELNS1_3gpuE0ELNS1_3repE0EEENS1_30default_config_static_selectorELNS0_4arch9wavefront6targetE0EEEvT1_
		.amdhsa_group_segment_fixed_size 0
		.amdhsa_private_segment_fixed_size 0
		.amdhsa_kernarg_size 296
		.amdhsa_user_sgpr_count 2
		.amdhsa_user_sgpr_dispatch_ptr 0
		.amdhsa_user_sgpr_queue_ptr 0
		.amdhsa_user_sgpr_kernarg_segment_ptr 1
		.amdhsa_user_sgpr_dispatch_id 0
		.amdhsa_user_sgpr_kernarg_preload_length 0
		.amdhsa_user_sgpr_kernarg_preload_offset 0
		.amdhsa_user_sgpr_private_segment_size 0
		.amdhsa_wavefront_size32 1
		.amdhsa_uses_dynamic_stack 0
		.amdhsa_enable_private_segment 0
		.amdhsa_system_sgpr_workgroup_id_x 1
		.amdhsa_system_sgpr_workgroup_id_y 0
		.amdhsa_system_sgpr_workgroup_id_z 0
		.amdhsa_system_sgpr_workgroup_info 0
		.amdhsa_system_vgpr_workitem_id 0
		.amdhsa_next_free_vgpr 4
		.amdhsa_next_free_sgpr 14
		.amdhsa_named_barrier_count 0
		.amdhsa_reserve_vcc 1
		.amdhsa_float_round_mode_32 0
		.amdhsa_float_round_mode_16_64 0
		.amdhsa_float_denorm_mode_32 3
		.amdhsa_float_denorm_mode_16_64 3
		.amdhsa_fp16_overflow 0
		.amdhsa_memory_ordered 1
		.amdhsa_forward_progress 1
		.amdhsa_inst_pref_size 3
		.amdhsa_round_robin_scheduling 0
		.amdhsa_exception_fp_ieee_invalid_op 0
		.amdhsa_exception_fp_denorm_src 0
		.amdhsa_exception_fp_ieee_div_zero 0
		.amdhsa_exception_fp_ieee_overflow 0
		.amdhsa_exception_fp_ieee_underflow 0
		.amdhsa_exception_fp_ieee_inexact 0
		.amdhsa_exception_int_div_zero 0
	.end_amdhsa_kernel
	.section	.text._ZN7rocprim17ROCPRIM_400000_NS6detail17trampoline_kernelINS0_14default_configENS1_25transform_config_selectorIiLb1EEEZNS1_14transform_implILb1ES3_S5_PKiPiNS0_8identityIiEEEE10hipError_tT2_T3_mT4_P12ihipStream_tbEUlT_E_NS1_11comp_targetILNS1_3genE0ELNS1_11target_archE4294967295ELNS1_3gpuE0ELNS1_3repE0EEENS1_30default_config_static_selectorELNS0_4arch9wavefront6targetE0EEEvT1_,"axG",@progbits,_ZN7rocprim17ROCPRIM_400000_NS6detail17trampoline_kernelINS0_14default_configENS1_25transform_config_selectorIiLb1EEEZNS1_14transform_implILb1ES3_S5_PKiPiNS0_8identityIiEEEE10hipError_tT2_T3_mT4_P12ihipStream_tbEUlT_E_NS1_11comp_targetILNS1_3genE0ELNS1_11target_archE4294967295ELNS1_3gpuE0ELNS1_3repE0EEENS1_30default_config_static_selectorELNS0_4arch9wavefront6targetE0EEEvT1_,comdat
.Lfunc_end841:
	.size	_ZN7rocprim17ROCPRIM_400000_NS6detail17trampoline_kernelINS0_14default_configENS1_25transform_config_selectorIiLb1EEEZNS1_14transform_implILb1ES3_S5_PKiPiNS0_8identityIiEEEE10hipError_tT2_T3_mT4_P12ihipStream_tbEUlT_E_NS1_11comp_targetILNS1_3genE0ELNS1_11target_archE4294967295ELNS1_3gpuE0ELNS1_3repE0EEENS1_30default_config_static_selectorELNS0_4arch9wavefront6targetE0EEEvT1_, .Lfunc_end841-_ZN7rocprim17ROCPRIM_400000_NS6detail17trampoline_kernelINS0_14default_configENS1_25transform_config_selectorIiLb1EEEZNS1_14transform_implILb1ES3_S5_PKiPiNS0_8identityIiEEEE10hipError_tT2_T3_mT4_P12ihipStream_tbEUlT_E_NS1_11comp_targetILNS1_3genE0ELNS1_11target_archE4294967295ELNS1_3gpuE0ELNS1_3repE0EEENS1_30default_config_static_selectorELNS0_4arch9wavefront6targetE0EEEvT1_
                                        ; -- End function
	.set _ZN7rocprim17ROCPRIM_400000_NS6detail17trampoline_kernelINS0_14default_configENS1_25transform_config_selectorIiLb1EEEZNS1_14transform_implILb1ES3_S5_PKiPiNS0_8identityIiEEEE10hipError_tT2_T3_mT4_P12ihipStream_tbEUlT_E_NS1_11comp_targetILNS1_3genE0ELNS1_11target_archE4294967295ELNS1_3gpuE0ELNS1_3repE0EEENS1_30default_config_static_selectorELNS0_4arch9wavefront6targetE0EEEvT1_.num_vgpr, 4
	.set _ZN7rocprim17ROCPRIM_400000_NS6detail17trampoline_kernelINS0_14default_configENS1_25transform_config_selectorIiLb1EEEZNS1_14transform_implILb1ES3_S5_PKiPiNS0_8identityIiEEEE10hipError_tT2_T3_mT4_P12ihipStream_tbEUlT_E_NS1_11comp_targetILNS1_3genE0ELNS1_11target_archE4294967295ELNS1_3gpuE0ELNS1_3repE0EEENS1_30default_config_static_selectorELNS0_4arch9wavefront6targetE0EEEvT1_.num_agpr, 0
	.set _ZN7rocprim17ROCPRIM_400000_NS6detail17trampoline_kernelINS0_14default_configENS1_25transform_config_selectorIiLb1EEEZNS1_14transform_implILb1ES3_S5_PKiPiNS0_8identityIiEEEE10hipError_tT2_T3_mT4_P12ihipStream_tbEUlT_E_NS1_11comp_targetILNS1_3genE0ELNS1_11target_archE4294967295ELNS1_3gpuE0ELNS1_3repE0EEENS1_30default_config_static_selectorELNS0_4arch9wavefront6targetE0EEEvT1_.numbered_sgpr, 14
	.set _ZN7rocprim17ROCPRIM_400000_NS6detail17trampoline_kernelINS0_14default_configENS1_25transform_config_selectorIiLb1EEEZNS1_14transform_implILb1ES3_S5_PKiPiNS0_8identityIiEEEE10hipError_tT2_T3_mT4_P12ihipStream_tbEUlT_E_NS1_11comp_targetILNS1_3genE0ELNS1_11target_archE4294967295ELNS1_3gpuE0ELNS1_3repE0EEENS1_30default_config_static_selectorELNS0_4arch9wavefront6targetE0EEEvT1_.num_named_barrier, 0
	.set _ZN7rocprim17ROCPRIM_400000_NS6detail17trampoline_kernelINS0_14default_configENS1_25transform_config_selectorIiLb1EEEZNS1_14transform_implILb1ES3_S5_PKiPiNS0_8identityIiEEEE10hipError_tT2_T3_mT4_P12ihipStream_tbEUlT_E_NS1_11comp_targetILNS1_3genE0ELNS1_11target_archE4294967295ELNS1_3gpuE0ELNS1_3repE0EEENS1_30default_config_static_selectorELNS0_4arch9wavefront6targetE0EEEvT1_.private_seg_size, 0
	.set _ZN7rocprim17ROCPRIM_400000_NS6detail17trampoline_kernelINS0_14default_configENS1_25transform_config_selectorIiLb1EEEZNS1_14transform_implILb1ES3_S5_PKiPiNS0_8identityIiEEEE10hipError_tT2_T3_mT4_P12ihipStream_tbEUlT_E_NS1_11comp_targetILNS1_3genE0ELNS1_11target_archE4294967295ELNS1_3gpuE0ELNS1_3repE0EEENS1_30default_config_static_selectorELNS0_4arch9wavefront6targetE0EEEvT1_.uses_vcc, 1
	.set _ZN7rocprim17ROCPRIM_400000_NS6detail17trampoline_kernelINS0_14default_configENS1_25transform_config_selectorIiLb1EEEZNS1_14transform_implILb1ES3_S5_PKiPiNS0_8identityIiEEEE10hipError_tT2_T3_mT4_P12ihipStream_tbEUlT_E_NS1_11comp_targetILNS1_3genE0ELNS1_11target_archE4294967295ELNS1_3gpuE0ELNS1_3repE0EEENS1_30default_config_static_selectorELNS0_4arch9wavefront6targetE0EEEvT1_.uses_flat_scratch, 0
	.set _ZN7rocprim17ROCPRIM_400000_NS6detail17trampoline_kernelINS0_14default_configENS1_25transform_config_selectorIiLb1EEEZNS1_14transform_implILb1ES3_S5_PKiPiNS0_8identityIiEEEE10hipError_tT2_T3_mT4_P12ihipStream_tbEUlT_E_NS1_11comp_targetILNS1_3genE0ELNS1_11target_archE4294967295ELNS1_3gpuE0ELNS1_3repE0EEENS1_30default_config_static_selectorELNS0_4arch9wavefront6targetE0EEEvT1_.has_dyn_sized_stack, 0
	.set _ZN7rocprim17ROCPRIM_400000_NS6detail17trampoline_kernelINS0_14default_configENS1_25transform_config_selectorIiLb1EEEZNS1_14transform_implILb1ES3_S5_PKiPiNS0_8identityIiEEEE10hipError_tT2_T3_mT4_P12ihipStream_tbEUlT_E_NS1_11comp_targetILNS1_3genE0ELNS1_11target_archE4294967295ELNS1_3gpuE0ELNS1_3repE0EEENS1_30default_config_static_selectorELNS0_4arch9wavefront6targetE0EEEvT1_.has_recursion, 0
	.set _ZN7rocprim17ROCPRIM_400000_NS6detail17trampoline_kernelINS0_14default_configENS1_25transform_config_selectorIiLb1EEEZNS1_14transform_implILb1ES3_S5_PKiPiNS0_8identityIiEEEE10hipError_tT2_T3_mT4_P12ihipStream_tbEUlT_E_NS1_11comp_targetILNS1_3genE0ELNS1_11target_archE4294967295ELNS1_3gpuE0ELNS1_3repE0EEENS1_30default_config_static_selectorELNS0_4arch9wavefront6targetE0EEEvT1_.has_indirect_call, 0
	.section	.AMDGPU.csdata,"",@progbits
; Kernel info:
; codeLenInByte = 356
; TotalNumSgprs: 16
; NumVgprs: 4
; ScratchSize: 0
; MemoryBound: 0
; FloatMode: 240
; IeeeMode: 1
; LDSByteSize: 0 bytes/workgroup (compile time only)
; SGPRBlocks: 0
; VGPRBlocks: 0
; NumSGPRsForWavesPerEU: 16
; NumVGPRsForWavesPerEU: 4
; NamedBarCnt: 0
; Occupancy: 16
; WaveLimiterHint : 0
; COMPUTE_PGM_RSRC2:SCRATCH_EN: 0
; COMPUTE_PGM_RSRC2:USER_SGPR: 2
; COMPUTE_PGM_RSRC2:TRAP_HANDLER: 0
; COMPUTE_PGM_RSRC2:TGID_X_EN: 1
; COMPUTE_PGM_RSRC2:TGID_Y_EN: 0
; COMPUTE_PGM_RSRC2:TGID_Z_EN: 0
; COMPUTE_PGM_RSRC2:TIDIG_COMP_CNT: 0
	.section	.text._ZN7rocprim17ROCPRIM_400000_NS6detail17trampoline_kernelINS0_14default_configENS1_25transform_config_selectorIiLb1EEEZNS1_14transform_implILb1ES3_S5_PKiPiNS0_8identityIiEEEE10hipError_tT2_T3_mT4_P12ihipStream_tbEUlT_E_NS1_11comp_targetILNS1_3genE10ELNS1_11target_archE1201ELNS1_3gpuE5ELNS1_3repE0EEENS1_30default_config_static_selectorELNS0_4arch9wavefront6targetE0EEEvT1_,"axG",@progbits,_ZN7rocprim17ROCPRIM_400000_NS6detail17trampoline_kernelINS0_14default_configENS1_25transform_config_selectorIiLb1EEEZNS1_14transform_implILb1ES3_S5_PKiPiNS0_8identityIiEEEE10hipError_tT2_T3_mT4_P12ihipStream_tbEUlT_E_NS1_11comp_targetILNS1_3genE10ELNS1_11target_archE1201ELNS1_3gpuE5ELNS1_3repE0EEENS1_30default_config_static_selectorELNS0_4arch9wavefront6targetE0EEEvT1_,comdat
	.protected	_ZN7rocprim17ROCPRIM_400000_NS6detail17trampoline_kernelINS0_14default_configENS1_25transform_config_selectorIiLb1EEEZNS1_14transform_implILb1ES3_S5_PKiPiNS0_8identityIiEEEE10hipError_tT2_T3_mT4_P12ihipStream_tbEUlT_E_NS1_11comp_targetILNS1_3genE10ELNS1_11target_archE1201ELNS1_3gpuE5ELNS1_3repE0EEENS1_30default_config_static_selectorELNS0_4arch9wavefront6targetE0EEEvT1_ ; -- Begin function _ZN7rocprim17ROCPRIM_400000_NS6detail17trampoline_kernelINS0_14default_configENS1_25transform_config_selectorIiLb1EEEZNS1_14transform_implILb1ES3_S5_PKiPiNS0_8identityIiEEEE10hipError_tT2_T3_mT4_P12ihipStream_tbEUlT_E_NS1_11comp_targetILNS1_3genE10ELNS1_11target_archE1201ELNS1_3gpuE5ELNS1_3repE0EEENS1_30default_config_static_selectorELNS0_4arch9wavefront6targetE0EEEvT1_
	.globl	_ZN7rocprim17ROCPRIM_400000_NS6detail17trampoline_kernelINS0_14default_configENS1_25transform_config_selectorIiLb1EEEZNS1_14transform_implILb1ES3_S5_PKiPiNS0_8identityIiEEEE10hipError_tT2_T3_mT4_P12ihipStream_tbEUlT_E_NS1_11comp_targetILNS1_3genE10ELNS1_11target_archE1201ELNS1_3gpuE5ELNS1_3repE0EEENS1_30default_config_static_selectorELNS0_4arch9wavefront6targetE0EEEvT1_
	.p2align	8
	.type	_ZN7rocprim17ROCPRIM_400000_NS6detail17trampoline_kernelINS0_14default_configENS1_25transform_config_selectorIiLb1EEEZNS1_14transform_implILb1ES3_S5_PKiPiNS0_8identityIiEEEE10hipError_tT2_T3_mT4_P12ihipStream_tbEUlT_E_NS1_11comp_targetILNS1_3genE10ELNS1_11target_archE1201ELNS1_3gpuE5ELNS1_3repE0EEENS1_30default_config_static_selectorELNS0_4arch9wavefront6targetE0EEEvT1_,@function
_ZN7rocprim17ROCPRIM_400000_NS6detail17trampoline_kernelINS0_14default_configENS1_25transform_config_selectorIiLb1EEEZNS1_14transform_implILb1ES3_S5_PKiPiNS0_8identityIiEEEE10hipError_tT2_T3_mT4_P12ihipStream_tbEUlT_E_NS1_11comp_targetILNS1_3genE10ELNS1_11target_archE1201ELNS1_3gpuE5ELNS1_3repE0EEENS1_30default_config_static_selectorELNS0_4arch9wavefront6targetE0EEEvT1_: ; @_ZN7rocprim17ROCPRIM_400000_NS6detail17trampoline_kernelINS0_14default_configENS1_25transform_config_selectorIiLb1EEEZNS1_14transform_implILb1ES3_S5_PKiPiNS0_8identityIiEEEE10hipError_tT2_T3_mT4_P12ihipStream_tbEUlT_E_NS1_11comp_targetILNS1_3genE10ELNS1_11target_archE1201ELNS1_3gpuE5ELNS1_3repE0EEENS1_30default_config_static_selectorELNS0_4arch9wavefront6targetE0EEEvT1_
; %bb.0:
	.section	.rodata,"a",@progbits
	.p2align	6, 0x0
	.amdhsa_kernel _ZN7rocprim17ROCPRIM_400000_NS6detail17trampoline_kernelINS0_14default_configENS1_25transform_config_selectorIiLb1EEEZNS1_14transform_implILb1ES3_S5_PKiPiNS0_8identityIiEEEE10hipError_tT2_T3_mT4_P12ihipStream_tbEUlT_E_NS1_11comp_targetILNS1_3genE10ELNS1_11target_archE1201ELNS1_3gpuE5ELNS1_3repE0EEENS1_30default_config_static_selectorELNS0_4arch9wavefront6targetE0EEEvT1_
		.amdhsa_group_segment_fixed_size 0
		.amdhsa_private_segment_fixed_size 0
		.amdhsa_kernarg_size 40
		.amdhsa_user_sgpr_count 2
		.amdhsa_user_sgpr_dispatch_ptr 0
		.amdhsa_user_sgpr_queue_ptr 0
		.amdhsa_user_sgpr_kernarg_segment_ptr 1
		.amdhsa_user_sgpr_dispatch_id 0
		.amdhsa_user_sgpr_kernarg_preload_length 0
		.amdhsa_user_sgpr_kernarg_preload_offset 0
		.amdhsa_user_sgpr_private_segment_size 0
		.amdhsa_wavefront_size32 1
		.amdhsa_uses_dynamic_stack 0
		.amdhsa_enable_private_segment 0
		.amdhsa_system_sgpr_workgroup_id_x 1
		.amdhsa_system_sgpr_workgroup_id_y 0
		.amdhsa_system_sgpr_workgroup_id_z 0
		.amdhsa_system_sgpr_workgroup_info 0
		.amdhsa_system_vgpr_workitem_id 0
		.amdhsa_next_free_vgpr 1
		.amdhsa_next_free_sgpr 1
		.amdhsa_named_barrier_count 0
		.amdhsa_reserve_vcc 0
		.amdhsa_float_round_mode_32 0
		.amdhsa_float_round_mode_16_64 0
		.amdhsa_float_denorm_mode_32 3
		.amdhsa_float_denorm_mode_16_64 3
		.amdhsa_fp16_overflow 0
		.amdhsa_memory_ordered 1
		.amdhsa_forward_progress 1
		.amdhsa_inst_pref_size 0
		.amdhsa_round_robin_scheduling 0
		.amdhsa_exception_fp_ieee_invalid_op 0
		.amdhsa_exception_fp_denorm_src 0
		.amdhsa_exception_fp_ieee_div_zero 0
		.amdhsa_exception_fp_ieee_overflow 0
		.amdhsa_exception_fp_ieee_underflow 0
		.amdhsa_exception_fp_ieee_inexact 0
		.amdhsa_exception_int_div_zero 0
	.end_amdhsa_kernel
	.section	.text._ZN7rocprim17ROCPRIM_400000_NS6detail17trampoline_kernelINS0_14default_configENS1_25transform_config_selectorIiLb1EEEZNS1_14transform_implILb1ES3_S5_PKiPiNS0_8identityIiEEEE10hipError_tT2_T3_mT4_P12ihipStream_tbEUlT_E_NS1_11comp_targetILNS1_3genE10ELNS1_11target_archE1201ELNS1_3gpuE5ELNS1_3repE0EEENS1_30default_config_static_selectorELNS0_4arch9wavefront6targetE0EEEvT1_,"axG",@progbits,_ZN7rocprim17ROCPRIM_400000_NS6detail17trampoline_kernelINS0_14default_configENS1_25transform_config_selectorIiLb1EEEZNS1_14transform_implILb1ES3_S5_PKiPiNS0_8identityIiEEEE10hipError_tT2_T3_mT4_P12ihipStream_tbEUlT_E_NS1_11comp_targetILNS1_3genE10ELNS1_11target_archE1201ELNS1_3gpuE5ELNS1_3repE0EEENS1_30default_config_static_selectorELNS0_4arch9wavefront6targetE0EEEvT1_,comdat
.Lfunc_end842:
	.size	_ZN7rocprim17ROCPRIM_400000_NS6detail17trampoline_kernelINS0_14default_configENS1_25transform_config_selectorIiLb1EEEZNS1_14transform_implILb1ES3_S5_PKiPiNS0_8identityIiEEEE10hipError_tT2_T3_mT4_P12ihipStream_tbEUlT_E_NS1_11comp_targetILNS1_3genE10ELNS1_11target_archE1201ELNS1_3gpuE5ELNS1_3repE0EEENS1_30default_config_static_selectorELNS0_4arch9wavefront6targetE0EEEvT1_, .Lfunc_end842-_ZN7rocprim17ROCPRIM_400000_NS6detail17trampoline_kernelINS0_14default_configENS1_25transform_config_selectorIiLb1EEEZNS1_14transform_implILb1ES3_S5_PKiPiNS0_8identityIiEEEE10hipError_tT2_T3_mT4_P12ihipStream_tbEUlT_E_NS1_11comp_targetILNS1_3genE10ELNS1_11target_archE1201ELNS1_3gpuE5ELNS1_3repE0EEENS1_30default_config_static_selectorELNS0_4arch9wavefront6targetE0EEEvT1_
                                        ; -- End function
	.set _ZN7rocprim17ROCPRIM_400000_NS6detail17trampoline_kernelINS0_14default_configENS1_25transform_config_selectorIiLb1EEEZNS1_14transform_implILb1ES3_S5_PKiPiNS0_8identityIiEEEE10hipError_tT2_T3_mT4_P12ihipStream_tbEUlT_E_NS1_11comp_targetILNS1_3genE10ELNS1_11target_archE1201ELNS1_3gpuE5ELNS1_3repE0EEENS1_30default_config_static_selectorELNS0_4arch9wavefront6targetE0EEEvT1_.num_vgpr, 0
	.set _ZN7rocprim17ROCPRIM_400000_NS6detail17trampoline_kernelINS0_14default_configENS1_25transform_config_selectorIiLb1EEEZNS1_14transform_implILb1ES3_S5_PKiPiNS0_8identityIiEEEE10hipError_tT2_T3_mT4_P12ihipStream_tbEUlT_E_NS1_11comp_targetILNS1_3genE10ELNS1_11target_archE1201ELNS1_3gpuE5ELNS1_3repE0EEENS1_30default_config_static_selectorELNS0_4arch9wavefront6targetE0EEEvT1_.num_agpr, 0
	.set _ZN7rocprim17ROCPRIM_400000_NS6detail17trampoline_kernelINS0_14default_configENS1_25transform_config_selectorIiLb1EEEZNS1_14transform_implILb1ES3_S5_PKiPiNS0_8identityIiEEEE10hipError_tT2_T3_mT4_P12ihipStream_tbEUlT_E_NS1_11comp_targetILNS1_3genE10ELNS1_11target_archE1201ELNS1_3gpuE5ELNS1_3repE0EEENS1_30default_config_static_selectorELNS0_4arch9wavefront6targetE0EEEvT1_.numbered_sgpr, 0
	.set _ZN7rocprim17ROCPRIM_400000_NS6detail17trampoline_kernelINS0_14default_configENS1_25transform_config_selectorIiLb1EEEZNS1_14transform_implILb1ES3_S5_PKiPiNS0_8identityIiEEEE10hipError_tT2_T3_mT4_P12ihipStream_tbEUlT_E_NS1_11comp_targetILNS1_3genE10ELNS1_11target_archE1201ELNS1_3gpuE5ELNS1_3repE0EEENS1_30default_config_static_selectorELNS0_4arch9wavefront6targetE0EEEvT1_.num_named_barrier, 0
	.set _ZN7rocprim17ROCPRIM_400000_NS6detail17trampoline_kernelINS0_14default_configENS1_25transform_config_selectorIiLb1EEEZNS1_14transform_implILb1ES3_S5_PKiPiNS0_8identityIiEEEE10hipError_tT2_T3_mT4_P12ihipStream_tbEUlT_E_NS1_11comp_targetILNS1_3genE10ELNS1_11target_archE1201ELNS1_3gpuE5ELNS1_3repE0EEENS1_30default_config_static_selectorELNS0_4arch9wavefront6targetE0EEEvT1_.private_seg_size, 0
	.set _ZN7rocprim17ROCPRIM_400000_NS6detail17trampoline_kernelINS0_14default_configENS1_25transform_config_selectorIiLb1EEEZNS1_14transform_implILb1ES3_S5_PKiPiNS0_8identityIiEEEE10hipError_tT2_T3_mT4_P12ihipStream_tbEUlT_E_NS1_11comp_targetILNS1_3genE10ELNS1_11target_archE1201ELNS1_3gpuE5ELNS1_3repE0EEENS1_30default_config_static_selectorELNS0_4arch9wavefront6targetE0EEEvT1_.uses_vcc, 0
	.set _ZN7rocprim17ROCPRIM_400000_NS6detail17trampoline_kernelINS0_14default_configENS1_25transform_config_selectorIiLb1EEEZNS1_14transform_implILb1ES3_S5_PKiPiNS0_8identityIiEEEE10hipError_tT2_T3_mT4_P12ihipStream_tbEUlT_E_NS1_11comp_targetILNS1_3genE10ELNS1_11target_archE1201ELNS1_3gpuE5ELNS1_3repE0EEENS1_30default_config_static_selectorELNS0_4arch9wavefront6targetE0EEEvT1_.uses_flat_scratch, 0
	.set _ZN7rocprim17ROCPRIM_400000_NS6detail17trampoline_kernelINS0_14default_configENS1_25transform_config_selectorIiLb1EEEZNS1_14transform_implILb1ES3_S5_PKiPiNS0_8identityIiEEEE10hipError_tT2_T3_mT4_P12ihipStream_tbEUlT_E_NS1_11comp_targetILNS1_3genE10ELNS1_11target_archE1201ELNS1_3gpuE5ELNS1_3repE0EEENS1_30default_config_static_selectorELNS0_4arch9wavefront6targetE0EEEvT1_.has_dyn_sized_stack, 0
	.set _ZN7rocprim17ROCPRIM_400000_NS6detail17trampoline_kernelINS0_14default_configENS1_25transform_config_selectorIiLb1EEEZNS1_14transform_implILb1ES3_S5_PKiPiNS0_8identityIiEEEE10hipError_tT2_T3_mT4_P12ihipStream_tbEUlT_E_NS1_11comp_targetILNS1_3genE10ELNS1_11target_archE1201ELNS1_3gpuE5ELNS1_3repE0EEENS1_30default_config_static_selectorELNS0_4arch9wavefront6targetE0EEEvT1_.has_recursion, 0
	.set _ZN7rocprim17ROCPRIM_400000_NS6detail17trampoline_kernelINS0_14default_configENS1_25transform_config_selectorIiLb1EEEZNS1_14transform_implILb1ES3_S5_PKiPiNS0_8identityIiEEEE10hipError_tT2_T3_mT4_P12ihipStream_tbEUlT_E_NS1_11comp_targetILNS1_3genE10ELNS1_11target_archE1201ELNS1_3gpuE5ELNS1_3repE0EEENS1_30default_config_static_selectorELNS0_4arch9wavefront6targetE0EEEvT1_.has_indirect_call, 0
	.section	.AMDGPU.csdata,"",@progbits
; Kernel info:
; codeLenInByte = 0
; TotalNumSgprs: 0
; NumVgprs: 0
; ScratchSize: 0
; MemoryBound: 0
; FloatMode: 240
; IeeeMode: 1
; LDSByteSize: 0 bytes/workgroup (compile time only)
; SGPRBlocks: 0
; VGPRBlocks: 0
; NumSGPRsForWavesPerEU: 1
; NumVGPRsForWavesPerEU: 1
; NamedBarCnt: 0
; Occupancy: 16
; WaveLimiterHint : 0
; COMPUTE_PGM_RSRC2:SCRATCH_EN: 0
; COMPUTE_PGM_RSRC2:USER_SGPR: 2
; COMPUTE_PGM_RSRC2:TRAP_HANDLER: 0
; COMPUTE_PGM_RSRC2:TGID_X_EN: 1
; COMPUTE_PGM_RSRC2:TGID_Y_EN: 0
; COMPUTE_PGM_RSRC2:TGID_Z_EN: 0
; COMPUTE_PGM_RSRC2:TIDIG_COMP_CNT: 0
	.section	.text._ZN7rocprim17ROCPRIM_400000_NS6detail17trampoline_kernelINS0_14default_configENS1_25transform_config_selectorIiLb1EEEZNS1_14transform_implILb1ES3_S5_PKiPiNS0_8identityIiEEEE10hipError_tT2_T3_mT4_P12ihipStream_tbEUlT_E_NS1_11comp_targetILNS1_3genE5ELNS1_11target_archE942ELNS1_3gpuE9ELNS1_3repE0EEENS1_30default_config_static_selectorELNS0_4arch9wavefront6targetE0EEEvT1_,"axG",@progbits,_ZN7rocprim17ROCPRIM_400000_NS6detail17trampoline_kernelINS0_14default_configENS1_25transform_config_selectorIiLb1EEEZNS1_14transform_implILb1ES3_S5_PKiPiNS0_8identityIiEEEE10hipError_tT2_T3_mT4_P12ihipStream_tbEUlT_E_NS1_11comp_targetILNS1_3genE5ELNS1_11target_archE942ELNS1_3gpuE9ELNS1_3repE0EEENS1_30default_config_static_selectorELNS0_4arch9wavefront6targetE0EEEvT1_,comdat
	.protected	_ZN7rocprim17ROCPRIM_400000_NS6detail17trampoline_kernelINS0_14default_configENS1_25transform_config_selectorIiLb1EEEZNS1_14transform_implILb1ES3_S5_PKiPiNS0_8identityIiEEEE10hipError_tT2_T3_mT4_P12ihipStream_tbEUlT_E_NS1_11comp_targetILNS1_3genE5ELNS1_11target_archE942ELNS1_3gpuE9ELNS1_3repE0EEENS1_30default_config_static_selectorELNS0_4arch9wavefront6targetE0EEEvT1_ ; -- Begin function _ZN7rocprim17ROCPRIM_400000_NS6detail17trampoline_kernelINS0_14default_configENS1_25transform_config_selectorIiLb1EEEZNS1_14transform_implILb1ES3_S5_PKiPiNS0_8identityIiEEEE10hipError_tT2_T3_mT4_P12ihipStream_tbEUlT_E_NS1_11comp_targetILNS1_3genE5ELNS1_11target_archE942ELNS1_3gpuE9ELNS1_3repE0EEENS1_30default_config_static_selectorELNS0_4arch9wavefront6targetE0EEEvT1_
	.globl	_ZN7rocprim17ROCPRIM_400000_NS6detail17trampoline_kernelINS0_14default_configENS1_25transform_config_selectorIiLb1EEEZNS1_14transform_implILb1ES3_S5_PKiPiNS0_8identityIiEEEE10hipError_tT2_T3_mT4_P12ihipStream_tbEUlT_E_NS1_11comp_targetILNS1_3genE5ELNS1_11target_archE942ELNS1_3gpuE9ELNS1_3repE0EEENS1_30default_config_static_selectorELNS0_4arch9wavefront6targetE0EEEvT1_
	.p2align	8
	.type	_ZN7rocprim17ROCPRIM_400000_NS6detail17trampoline_kernelINS0_14default_configENS1_25transform_config_selectorIiLb1EEEZNS1_14transform_implILb1ES3_S5_PKiPiNS0_8identityIiEEEE10hipError_tT2_T3_mT4_P12ihipStream_tbEUlT_E_NS1_11comp_targetILNS1_3genE5ELNS1_11target_archE942ELNS1_3gpuE9ELNS1_3repE0EEENS1_30default_config_static_selectorELNS0_4arch9wavefront6targetE0EEEvT1_,@function
_ZN7rocprim17ROCPRIM_400000_NS6detail17trampoline_kernelINS0_14default_configENS1_25transform_config_selectorIiLb1EEEZNS1_14transform_implILb1ES3_S5_PKiPiNS0_8identityIiEEEE10hipError_tT2_T3_mT4_P12ihipStream_tbEUlT_E_NS1_11comp_targetILNS1_3genE5ELNS1_11target_archE942ELNS1_3gpuE9ELNS1_3repE0EEENS1_30default_config_static_selectorELNS0_4arch9wavefront6targetE0EEEvT1_: ; @_ZN7rocprim17ROCPRIM_400000_NS6detail17trampoline_kernelINS0_14default_configENS1_25transform_config_selectorIiLb1EEEZNS1_14transform_implILb1ES3_S5_PKiPiNS0_8identityIiEEEE10hipError_tT2_T3_mT4_P12ihipStream_tbEUlT_E_NS1_11comp_targetILNS1_3genE5ELNS1_11target_archE942ELNS1_3gpuE9ELNS1_3repE0EEENS1_30default_config_static_selectorELNS0_4arch9wavefront6targetE0EEEvT1_
; %bb.0:
	.section	.rodata,"a",@progbits
	.p2align	6, 0x0
	.amdhsa_kernel _ZN7rocprim17ROCPRIM_400000_NS6detail17trampoline_kernelINS0_14default_configENS1_25transform_config_selectorIiLb1EEEZNS1_14transform_implILb1ES3_S5_PKiPiNS0_8identityIiEEEE10hipError_tT2_T3_mT4_P12ihipStream_tbEUlT_E_NS1_11comp_targetILNS1_3genE5ELNS1_11target_archE942ELNS1_3gpuE9ELNS1_3repE0EEENS1_30default_config_static_selectorELNS0_4arch9wavefront6targetE0EEEvT1_
		.amdhsa_group_segment_fixed_size 0
		.amdhsa_private_segment_fixed_size 0
		.amdhsa_kernarg_size 40
		.amdhsa_user_sgpr_count 2
		.amdhsa_user_sgpr_dispatch_ptr 0
		.amdhsa_user_sgpr_queue_ptr 0
		.amdhsa_user_sgpr_kernarg_segment_ptr 1
		.amdhsa_user_sgpr_dispatch_id 0
		.amdhsa_user_sgpr_kernarg_preload_length 0
		.amdhsa_user_sgpr_kernarg_preload_offset 0
		.amdhsa_user_sgpr_private_segment_size 0
		.amdhsa_wavefront_size32 1
		.amdhsa_uses_dynamic_stack 0
		.amdhsa_enable_private_segment 0
		.amdhsa_system_sgpr_workgroup_id_x 1
		.amdhsa_system_sgpr_workgroup_id_y 0
		.amdhsa_system_sgpr_workgroup_id_z 0
		.amdhsa_system_sgpr_workgroup_info 0
		.amdhsa_system_vgpr_workitem_id 0
		.amdhsa_next_free_vgpr 1
		.amdhsa_next_free_sgpr 1
		.amdhsa_named_barrier_count 0
		.amdhsa_reserve_vcc 0
		.amdhsa_float_round_mode_32 0
		.amdhsa_float_round_mode_16_64 0
		.amdhsa_float_denorm_mode_32 3
		.amdhsa_float_denorm_mode_16_64 3
		.amdhsa_fp16_overflow 0
		.amdhsa_memory_ordered 1
		.amdhsa_forward_progress 1
		.amdhsa_inst_pref_size 0
		.amdhsa_round_robin_scheduling 0
		.amdhsa_exception_fp_ieee_invalid_op 0
		.amdhsa_exception_fp_denorm_src 0
		.amdhsa_exception_fp_ieee_div_zero 0
		.amdhsa_exception_fp_ieee_overflow 0
		.amdhsa_exception_fp_ieee_underflow 0
		.amdhsa_exception_fp_ieee_inexact 0
		.amdhsa_exception_int_div_zero 0
	.end_amdhsa_kernel
	.section	.text._ZN7rocprim17ROCPRIM_400000_NS6detail17trampoline_kernelINS0_14default_configENS1_25transform_config_selectorIiLb1EEEZNS1_14transform_implILb1ES3_S5_PKiPiNS0_8identityIiEEEE10hipError_tT2_T3_mT4_P12ihipStream_tbEUlT_E_NS1_11comp_targetILNS1_3genE5ELNS1_11target_archE942ELNS1_3gpuE9ELNS1_3repE0EEENS1_30default_config_static_selectorELNS0_4arch9wavefront6targetE0EEEvT1_,"axG",@progbits,_ZN7rocprim17ROCPRIM_400000_NS6detail17trampoline_kernelINS0_14default_configENS1_25transform_config_selectorIiLb1EEEZNS1_14transform_implILb1ES3_S5_PKiPiNS0_8identityIiEEEE10hipError_tT2_T3_mT4_P12ihipStream_tbEUlT_E_NS1_11comp_targetILNS1_3genE5ELNS1_11target_archE942ELNS1_3gpuE9ELNS1_3repE0EEENS1_30default_config_static_selectorELNS0_4arch9wavefront6targetE0EEEvT1_,comdat
.Lfunc_end843:
	.size	_ZN7rocprim17ROCPRIM_400000_NS6detail17trampoline_kernelINS0_14default_configENS1_25transform_config_selectorIiLb1EEEZNS1_14transform_implILb1ES3_S5_PKiPiNS0_8identityIiEEEE10hipError_tT2_T3_mT4_P12ihipStream_tbEUlT_E_NS1_11comp_targetILNS1_3genE5ELNS1_11target_archE942ELNS1_3gpuE9ELNS1_3repE0EEENS1_30default_config_static_selectorELNS0_4arch9wavefront6targetE0EEEvT1_, .Lfunc_end843-_ZN7rocprim17ROCPRIM_400000_NS6detail17trampoline_kernelINS0_14default_configENS1_25transform_config_selectorIiLb1EEEZNS1_14transform_implILb1ES3_S5_PKiPiNS0_8identityIiEEEE10hipError_tT2_T3_mT4_P12ihipStream_tbEUlT_E_NS1_11comp_targetILNS1_3genE5ELNS1_11target_archE942ELNS1_3gpuE9ELNS1_3repE0EEENS1_30default_config_static_selectorELNS0_4arch9wavefront6targetE0EEEvT1_
                                        ; -- End function
	.set _ZN7rocprim17ROCPRIM_400000_NS6detail17trampoline_kernelINS0_14default_configENS1_25transform_config_selectorIiLb1EEEZNS1_14transform_implILb1ES3_S5_PKiPiNS0_8identityIiEEEE10hipError_tT2_T3_mT4_P12ihipStream_tbEUlT_E_NS1_11comp_targetILNS1_3genE5ELNS1_11target_archE942ELNS1_3gpuE9ELNS1_3repE0EEENS1_30default_config_static_selectorELNS0_4arch9wavefront6targetE0EEEvT1_.num_vgpr, 0
	.set _ZN7rocprim17ROCPRIM_400000_NS6detail17trampoline_kernelINS0_14default_configENS1_25transform_config_selectorIiLb1EEEZNS1_14transform_implILb1ES3_S5_PKiPiNS0_8identityIiEEEE10hipError_tT2_T3_mT4_P12ihipStream_tbEUlT_E_NS1_11comp_targetILNS1_3genE5ELNS1_11target_archE942ELNS1_3gpuE9ELNS1_3repE0EEENS1_30default_config_static_selectorELNS0_4arch9wavefront6targetE0EEEvT1_.num_agpr, 0
	.set _ZN7rocprim17ROCPRIM_400000_NS6detail17trampoline_kernelINS0_14default_configENS1_25transform_config_selectorIiLb1EEEZNS1_14transform_implILb1ES3_S5_PKiPiNS0_8identityIiEEEE10hipError_tT2_T3_mT4_P12ihipStream_tbEUlT_E_NS1_11comp_targetILNS1_3genE5ELNS1_11target_archE942ELNS1_3gpuE9ELNS1_3repE0EEENS1_30default_config_static_selectorELNS0_4arch9wavefront6targetE0EEEvT1_.numbered_sgpr, 0
	.set _ZN7rocprim17ROCPRIM_400000_NS6detail17trampoline_kernelINS0_14default_configENS1_25transform_config_selectorIiLb1EEEZNS1_14transform_implILb1ES3_S5_PKiPiNS0_8identityIiEEEE10hipError_tT2_T3_mT4_P12ihipStream_tbEUlT_E_NS1_11comp_targetILNS1_3genE5ELNS1_11target_archE942ELNS1_3gpuE9ELNS1_3repE0EEENS1_30default_config_static_selectorELNS0_4arch9wavefront6targetE0EEEvT1_.num_named_barrier, 0
	.set _ZN7rocprim17ROCPRIM_400000_NS6detail17trampoline_kernelINS0_14default_configENS1_25transform_config_selectorIiLb1EEEZNS1_14transform_implILb1ES3_S5_PKiPiNS0_8identityIiEEEE10hipError_tT2_T3_mT4_P12ihipStream_tbEUlT_E_NS1_11comp_targetILNS1_3genE5ELNS1_11target_archE942ELNS1_3gpuE9ELNS1_3repE0EEENS1_30default_config_static_selectorELNS0_4arch9wavefront6targetE0EEEvT1_.private_seg_size, 0
	.set _ZN7rocprim17ROCPRIM_400000_NS6detail17trampoline_kernelINS0_14default_configENS1_25transform_config_selectorIiLb1EEEZNS1_14transform_implILb1ES3_S5_PKiPiNS0_8identityIiEEEE10hipError_tT2_T3_mT4_P12ihipStream_tbEUlT_E_NS1_11comp_targetILNS1_3genE5ELNS1_11target_archE942ELNS1_3gpuE9ELNS1_3repE0EEENS1_30default_config_static_selectorELNS0_4arch9wavefront6targetE0EEEvT1_.uses_vcc, 0
	.set _ZN7rocprim17ROCPRIM_400000_NS6detail17trampoline_kernelINS0_14default_configENS1_25transform_config_selectorIiLb1EEEZNS1_14transform_implILb1ES3_S5_PKiPiNS0_8identityIiEEEE10hipError_tT2_T3_mT4_P12ihipStream_tbEUlT_E_NS1_11comp_targetILNS1_3genE5ELNS1_11target_archE942ELNS1_3gpuE9ELNS1_3repE0EEENS1_30default_config_static_selectorELNS0_4arch9wavefront6targetE0EEEvT1_.uses_flat_scratch, 0
	.set _ZN7rocprim17ROCPRIM_400000_NS6detail17trampoline_kernelINS0_14default_configENS1_25transform_config_selectorIiLb1EEEZNS1_14transform_implILb1ES3_S5_PKiPiNS0_8identityIiEEEE10hipError_tT2_T3_mT4_P12ihipStream_tbEUlT_E_NS1_11comp_targetILNS1_3genE5ELNS1_11target_archE942ELNS1_3gpuE9ELNS1_3repE0EEENS1_30default_config_static_selectorELNS0_4arch9wavefront6targetE0EEEvT1_.has_dyn_sized_stack, 0
	.set _ZN7rocprim17ROCPRIM_400000_NS6detail17trampoline_kernelINS0_14default_configENS1_25transform_config_selectorIiLb1EEEZNS1_14transform_implILb1ES3_S5_PKiPiNS0_8identityIiEEEE10hipError_tT2_T3_mT4_P12ihipStream_tbEUlT_E_NS1_11comp_targetILNS1_3genE5ELNS1_11target_archE942ELNS1_3gpuE9ELNS1_3repE0EEENS1_30default_config_static_selectorELNS0_4arch9wavefront6targetE0EEEvT1_.has_recursion, 0
	.set _ZN7rocprim17ROCPRIM_400000_NS6detail17trampoline_kernelINS0_14default_configENS1_25transform_config_selectorIiLb1EEEZNS1_14transform_implILb1ES3_S5_PKiPiNS0_8identityIiEEEE10hipError_tT2_T3_mT4_P12ihipStream_tbEUlT_E_NS1_11comp_targetILNS1_3genE5ELNS1_11target_archE942ELNS1_3gpuE9ELNS1_3repE0EEENS1_30default_config_static_selectorELNS0_4arch9wavefront6targetE0EEEvT1_.has_indirect_call, 0
	.section	.AMDGPU.csdata,"",@progbits
; Kernel info:
; codeLenInByte = 0
; TotalNumSgprs: 0
; NumVgprs: 0
; ScratchSize: 0
; MemoryBound: 0
; FloatMode: 240
; IeeeMode: 1
; LDSByteSize: 0 bytes/workgroup (compile time only)
; SGPRBlocks: 0
; VGPRBlocks: 0
; NumSGPRsForWavesPerEU: 1
; NumVGPRsForWavesPerEU: 1
; NamedBarCnt: 0
; Occupancy: 16
; WaveLimiterHint : 0
; COMPUTE_PGM_RSRC2:SCRATCH_EN: 0
; COMPUTE_PGM_RSRC2:USER_SGPR: 2
; COMPUTE_PGM_RSRC2:TRAP_HANDLER: 0
; COMPUTE_PGM_RSRC2:TGID_X_EN: 1
; COMPUTE_PGM_RSRC2:TGID_Y_EN: 0
; COMPUTE_PGM_RSRC2:TGID_Z_EN: 0
; COMPUTE_PGM_RSRC2:TIDIG_COMP_CNT: 0
	.section	.text._ZN7rocprim17ROCPRIM_400000_NS6detail17trampoline_kernelINS0_14default_configENS1_25transform_config_selectorIiLb1EEEZNS1_14transform_implILb1ES3_S5_PKiPiNS0_8identityIiEEEE10hipError_tT2_T3_mT4_P12ihipStream_tbEUlT_E_NS1_11comp_targetILNS1_3genE4ELNS1_11target_archE910ELNS1_3gpuE8ELNS1_3repE0EEENS1_30default_config_static_selectorELNS0_4arch9wavefront6targetE0EEEvT1_,"axG",@progbits,_ZN7rocprim17ROCPRIM_400000_NS6detail17trampoline_kernelINS0_14default_configENS1_25transform_config_selectorIiLb1EEEZNS1_14transform_implILb1ES3_S5_PKiPiNS0_8identityIiEEEE10hipError_tT2_T3_mT4_P12ihipStream_tbEUlT_E_NS1_11comp_targetILNS1_3genE4ELNS1_11target_archE910ELNS1_3gpuE8ELNS1_3repE0EEENS1_30default_config_static_selectorELNS0_4arch9wavefront6targetE0EEEvT1_,comdat
	.protected	_ZN7rocprim17ROCPRIM_400000_NS6detail17trampoline_kernelINS0_14default_configENS1_25transform_config_selectorIiLb1EEEZNS1_14transform_implILb1ES3_S5_PKiPiNS0_8identityIiEEEE10hipError_tT2_T3_mT4_P12ihipStream_tbEUlT_E_NS1_11comp_targetILNS1_3genE4ELNS1_11target_archE910ELNS1_3gpuE8ELNS1_3repE0EEENS1_30default_config_static_selectorELNS0_4arch9wavefront6targetE0EEEvT1_ ; -- Begin function _ZN7rocprim17ROCPRIM_400000_NS6detail17trampoline_kernelINS0_14default_configENS1_25transform_config_selectorIiLb1EEEZNS1_14transform_implILb1ES3_S5_PKiPiNS0_8identityIiEEEE10hipError_tT2_T3_mT4_P12ihipStream_tbEUlT_E_NS1_11comp_targetILNS1_3genE4ELNS1_11target_archE910ELNS1_3gpuE8ELNS1_3repE0EEENS1_30default_config_static_selectorELNS0_4arch9wavefront6targetE0EEEvT1_
	.globl	_ZN7rocprim17ROCPRIM_400000_NS6detail17trampoline_kernelINS0_14default_configENS1_25transform_config_selectorIiLb1EEEZNS1_14transform_implILb1ES3_S5_PKiPiNS0_8identityIiEEEE10hipError_tT2_T3_mT4_P12ihipStream_tbEUlT_E_NS1_11comp_targetILNS1_3genE4ELNS1_11target_archE910ELNS1_3gpuE8ELNS1_3repE0EEENS1_30default_config_static_selectorELNS0_4arch9wavefront6targetE0EEEvT1_
	.p2align	8
	.type	_ZN7rocprim17ROCPRIM_400000_NS6detail17trampoline_kernelINS0_14default_configENS1_25transform_config_selectorIiLb1EEEZNS1_14transform_implILb1ES3_S5_PKiPiNS0_8identityIiEEEE10hipError_tT2_T3_mT4_P12ihipStream_tbEUlT_E_NS1_11comp_targetILNS1_3genE4ELNS1_11target_archE910ELNS1_3gpuE8ELNS1_3repE0EEENS1_30default_config_static_selectorELNS0_4arch9wavefront6targetE0EEEvT1_,@function
_ZN7rocprim17ROCPRIM_400000_NS6detail17trampoline_kernelINS0_14default_configENS1_25transform_config_selectorIiLb1EEEZNS1_14transform_implILb1ES3_S5_PKiPiNS0_8identityIiEEEE10hipError_tT2_T3_mT4_P12ihipStream_tbEUlT_E_NS1_11comp_targetILNS1_3genE4ELNS1_11target_archE910ELNS1_3gpuE8ELNS1_3repE0EEENS1_30default_config_static_selectorELNS0_4arch9wavefront6targetE0EEEvT1_: ; @_ZN7rocprim17ROCPRIM_400000_NS6detail17trampoline_kernelINS0_14default_configENS1_25transform_config_selectorIiLb1EEEZNS1_14transform_implILb1ES3_S5_PKiPiNS0_8identityIiEEEE10hipError_tT2_T3_mT4_P12ihipStream_tbEUlT_E_NS1_11comp_targetILNS1_3genE4ELNS1_11target_archE910ELNS1_3gpuE8ELNS1_3repE0EEENS1_30default_config_static_selectorELNS0_4arch9wavefront6targetE0EEEvT1_
; %bb.0:
	.section	.rodata,"a",@progbits
	.p2align	6, 0x0
	.amdhsa_kernel _ZN7rocprim17ROCPRIM_400000_NS6detail17trampoline_kernelINS0_14default_configENS1_25transform_config_selectorIiLb1EEEZNS1_14transform_implILb1ES3_S5_PKiPiNS0_8identityIiEEEE10hipError_tT2_T3_mT4_P12ihipStream_tbEUlT_E_NS1_11comp_targetILNS1_3genE4ELNS1_11target_archE910ELNS1_3gpuE8ELNS1_3repE0EEENS1_30default_config_static_selectorELNS0_4arch9wavefront6targetE0EEEvT1_
		.amdhsa_group_segment_fixed_size 0
		.amdhsa_private_segment_fixed_size 0
		.amdhsa_kernarg_size 40
		.amdhsa_user_sgpr_count 2
		.amdhsa_user_sgpr_dispatch_ptr 0
		.amdhsa_user_sgpr_queue_ptr 0
		.amdhsa_user_sgpr_kernarg_segment_ptr 1
		.amdhsa_user_sgpr_dispatch_id 0
		.amdhsa_user_sgpr_kernarg_preload_length 0
		.amdhsa_user_sgpr_kernarg_preload_offset 0
		.amdhsa_user_sgpr_private_segment_size 0
		.amdhsa_wavefront_size32 1
		.amdhsa_uses_dynamic_stack 0
		.amdhsa_enable_private_segment 0
		.amdhsa_system_sgpr_workgroup_id_x 1
		.amdhsa_system_sgpr_workgroup_id_y 0
		.amdhsa_system_sgpr_workgroup_id_z 0
		.amdhsa_system_sgpr_workgroup_info 0
		.amdhsa_system_vgpr_workitem_id 0
		.amdhsa_next_free_vgpr 1
		.amdhsa_next_free_sgpr 1
		.amdhsa_named_barrier_count 0
		.amdhsa_reserve_vcc 0
		.amdhsa_float_round_mode_32 0
		.amdhsa_float_round_mode_16_64 0
		.amdhsa_float_denorm_mode_32 3
		.amdhsa_float_denorm_mode_16_64 3
		.amdhsa_fp16_overflow 0
		.amdhsa_memory_ordered 1
		.amdhsa_forward_progress 1
		.amdhsa_inst_pref_size 0
		.amdhsa_round_robin_scheduling 0
		.amdhsa_exception_fp_ieee_invalid_op 0
		.amdhsa_exception_fp_denorm_src 0
		.amdhsa_exception_fp_ieee_div_zero 0
		.amdhsa_exception_fp_ieee_overflow 0
		.amdhsa_exception_fp_ieee_underflow 0
		.amdhsa_exception_fp_ieee_inexact 0
		.amdhsa_exception_int_div_zero 0
	.end_amdhsa_kernel
	.section	.text._ZN7rocprim17ROCPRIM_400000_NS6detail17trampoline_kernelINS0_14default_configENS1_25transform_config_selectorIiLb1EEEZNS1_14transform_implILb1ES3_S5_PKiPiNS0_8identityIiEEEE10hipError_tT2_T3_mT4_P12ihipStream_tbEUlT_E_NS1_11comp_targetILNS1_3genE4ELNS1_11target_archE910ELNS1_3gpuE8ELNS1_3repE0EEENS1_30default_config_static_selectorELNS0_4arch9wavefront6targetE0EEEvT1_,"axG",@progbits,_ZN7rocprim17ROCPRIM_400000_NS6detail17trampoline_kernelINS0_14default_configENS1_25transform_config_selectorIiLb1EEEZNS1_14transform_implILb1ES3_S5_PKiPiNS0_8identityIiEEEE10hipError_tT2_T3_mT4_P12ihipStream_tbEUlT_E_NS1_11comp_targetILNS1_3genE4ELNS1_11target_archE910ELNS1_3gpuE8ELNS1_3repE0EEENS1_30default_config_static_selectorELNS0_4arch9wavefront6targetE0EEEvT1_,comdat
.Lfunc_end844:
	.size	_ZN7rocprim17ROCPRIM_400000_NS6detail17trampoline_kernelINS0_14default_configENS1_25transform_config_selectorIiLb1EEEZNS1_14transform_implILb1ES3_S5_PKiPiNS0_8identityIiEEEE10hipError_tT2_T3_mT4_P12ihipStream_tbEUlT_E_NS1_11comp_targetILNS1_3genE4ELNS1_11target_archE910ELNS1_3gpuE8ELNS1_3repE0EEENS1_30default_config_static_selectorELNS0_4arch9wavefront6targetE0EEEvT1_, .Lfunc_end844-_ZN7rocprim17ROCPRIM_400000_NS6detail17trampoline_kernelINS0_14default_configENS1_25transform_config_selectorIiLb1EEEZNS1_14transform_implILb1ES3_S5_PKiPiNS0_8identityIiEEEE10hipError_tT2_T3_mT4_P12ihipStream_tbEUlT_E_NS1_11comp_targetILNS1_3genE4ELNS1_11target_archE910ELNS1_3gpuE8ELNS1_3repE0EEENS1_30default_config_static_selectorELNS0_4arch9wavefront6targetE0EEEvT1_
                                        ; -- End function
	.set _ZN7rocprim17ROCPRIM_400000_NS6detail17trampoline_kernelINS0_14default_configENS1_25transform_config_selectorIiLb1EEEZNS1_14transform_implILb1ES3_S5_PKiPiNS0_8identityIiEEEE10hipError_tT2_T3_mT4_P12ihipStream_tbEUlT_E_NS1_11comp_targetILNS1_3genE4ELNS1_11target_archE910ELNS1_3gpuE8ELNS1_3repE0EEENS1_30default_config_static_selectorELNS0_4arch9wavefront6targetE0EEEvT1_.num_vgpr, 0
	.set _ZN7rocprim17ROCPRIM_400000_NS6detail17trampoline_kernelINS0_14default_configENS1_25transform_config_selectorIiLb1EEEZNS1_14transform_implILb1ES3_S5_PKiPiNS0_8identityIiEEEE10hipError_tT2_T3_mT4_P12ihipStream_tbEUlT_E_NS1_11comp_targetILNS1_3genE4ELNS1_11target_archE910ELNS1_3gpuE8ELNS1_3repE0EEENS1_30default_config_static_selectorELNS0_4arch9wavefront6targetE0EEEvT1_.num_agpr, 0
	.set _ZN7rocprim17ROCPRIM_400000_NS6detail17trampoline_kernelINS0_14default_configENS1_25transform_config_selectorIiLb1EEEZNS1_14transform_implILb1ES3_S5_PKiPiNS0_8identityIiEEEE10hipError_tT2_T3_mT4_P12ihipStream_tbEUlT_E_NS1_11comp_targetILNS1_3genE4ELNS1_11target_archE910ELNS1_3gpuE8ELNS1_3repE0EEENS1_30default_config_static_selectorELNS0_4arch9wavefront6targetE0EEEvT1_.numbered_sgpr, 0
	.set _ZN7rocprim17ROCPRIM_400000_NS6detail17trampoline_kernelINS0_14default_configENS1_25transform_config_selectorIiLb1EEEZNS1_14transform_implILb1ES3_S5_PKiPiNS0_8identityIiEEEE10hipError_tT2_T3_mT4_P12ihipStream_tbEUlT_E_NS1_11comp_targetILNS1_3genE4ELNS1_11target_archE910ELNS1_3gpuE8ELNS1_3repE0EEENS1_30default_config_static_selectorELNS0_4arch9wavefront6targetE0EEEvT1_.num_named_barrier, 0
	.set _ZN7rocprim17ROCPRIM_400000_NS6detail17trampoline_kernelINS0_14default_configENS1_25transform_config_selectorIiLb1EEEZNS1_14transform_implILb1ES3_S5_PKiPiNS0_8identityIiEEEE10hipError_tT2_T3_mT4_P12ihipStream_tbEUlT_E_NS1_11comp_targetILNS1_3genE4ELNS1_11target_archE910ELNS1_3gpuE8ELNS1_3repE0EEENS1_30default_config_static_selectorELNS0_4arch9wavefront6targetE0EEEvT1_.private_seg_size, 0
	.set _ZN7rocprim17ROCPRIM_400000_NS6detail17trampoline_kernelINS0_14default_configENS1_25transform_config_selectorIiLb1EEEZNS1_14transform_implILb1ES3_S5_PKiPiNS0_8identityIiEEEE10hipError_tT2_T3_mT4_P12ihipStream_tbEUlT_E_NS1_11comp_targetILNS1_3genE4ELNS1_11target_archE910ELNS1_3gpuE8ELNS1_3repE0EEENS1_30default_config_static_selectorELNS0_4arch9wavefront6targetE0EEEvT1_.uses_vcc, 0
	.set _ZN7rocprim17ROCPRIM_400000_NS6detail17trampoline_kernelINS0_14default_configENS1_25transform_config_selectorIiLb1EEEZNS1_14transform_implILb1ES3_S5_PKiPiNS0_8identityIiEEEE10hipError_tT2_T3_mT4_P12ihipStream_tbEUlT_E_NS1_11comp_targetILNS1_3genE4ELNS1_11target_archE910ELNS1_3gpuE8ELNS1_3repE0EEENS1_30default_config_static_selectorELNS0_4arch9wavefront6targetE0EEEvT1_.uses_flat_scratch, 0
	.set _ZN7rocprim17ROCPRIM_400000_NS6detail17trampoline_kernelINS0_14default_configENS1_25transform_config_selectorIiLb1EEEZNS1_14transform_implILb1ES3_S5_PKiPiNS0_8identityIiEEEE10hipError_tT2_T3_mT4_P12ihipStream_tbEUlT_E_NS1_11comp_targetILNS1_3genE4ELNS1_11target_archE910ELNS1_3gpuE8ELNS1_3repE0EEENS1_30default_config_static_selectorELNS0_4arch9wavefront6targetE0EEEvT1_.has_dyn_sized_stack, 0
	.set _ZN7rocprim17ROCPRIM_400000_NS6detail17trampoline_kernelINS0_14default_configENS1_25transform_config_selectorIiLb1EEEZNS1_14transform_implILb1ES3_S5_PKiPiNS0_8identityIiEEEE10hipError_tT2_T3_mT4_P12ihipStream_tbEUlT_E_NS1_11comp_targetILNS1_3genE4ELNS1_11target_archE910ELNS1_3gpuE8ELNS1_3repE0EEENS1_30default_config_static_selectorELNS0_4arch9wavefront6targetE0EEEvT1_.has_recursion, 0
	.set _ZN7rocprim17ROCPRIM_400000_NS6detail17trampoline_kernelINS0_14default_configENS1_25transform_config_selectorIiLb1EEEZNS1_14transform_implILb1ES3_S5_PKiPiNS0_8identityIiEEEE10hipError_tT2_T3_mT4_P12ihipStream_tbEUlT_E_NS1_11comp_targetILNS1_3genE4ELNS1_11target_archE910ELNS1_3gpuE8ELNS1_3repE0EEENS1_30default_config_static_selectorELNS0_4arch9wavefront6targetE0EEEvT1_.has_indirect_call, 0
	.section	.AMDGPU.csdata,"",@progbits
; Kernel info:
; codeLenInByte = 0
; TotalNumSgprs: 0
; NumVgprs: 0
; ScratchSize: 0
; MemoryBound: 0
; FloatMode: 240
; IeeeMode: 1
; LDSByteSize: 0 bytes/workgroup (compile time only)
; SGPRBlocks: 0
; VGPRBlocks: 0
; NumSGPRsForWavesPerEU: 1
; NumVGPRsForWavesPerEU: 1
; NamedBarCnt: 0
; Occupancy: 16
; WaveLimiterHint : 0
; COMPUTE_PGM_RSRC2:SCRATCH_EN: 0
; COMPUTE_PGM_RSRC2:USER_SGPR: 2
; COMPUTE_PGM_RSRC2:TRAP_HANDLER: 0
; COMPUTE_PGM_RSRC2:TGID_X_EN: 1
; COMPUTE_PGM_RSRC2:TGID_Y_EN: 0
; COMPUTE_PGM_RSRC2:TGID_Z_EN: 0
; COMPUTE_PGM_RSRC2:TIDIG_COMP_CNT: 0
	.section	.text._ZN7rocprim17ROCPRIM_400000_NS6detail17trampoline_kernelINS0_14default_configENS1_25transform_config_selectorIiLb1EEEZNS1_14transform_implILb1ES3_S5_PKiPiNS0_8identityIiEEEE10hipError_tT2_T3_mT4_P12ihipStream_tbEUlT_E_NS1_11comp_targetILNS1_3genE3ELNS1_11target_archE908ELNS1_3gpuE7ELNS1_3repE0EEENS1_30default_config_static_selectorELNS0_4arch9wavefront6targetE0EEEvT1_,"axG",@progbits,_ZN7rocprim17ROCPRIM_400000_NS6detail17trampoline_kernelINS0_14default_configENS1_25transform_config_selectorIiLb1EEEZNS1_14transform_implILb1ES3_S5_PKiPiNS0_8identityIiEEEE10hipError_tT2_T3_mT4_P12ihipStream_tbEUlT_E_NS1_11comp_targetILNS1_3genE3ELNS1_11target_archE908ELNS1_3gpuE7ELNS1_3repE0EEENS1_30default_config_static_selectorELNS0_4arch9wavefront6targetE0EEEvT1_,comdat
	.protected	_ZN7rocprim17ROCPRIM_400000_NS6detail17trampoline_kernelINS0_14default_configENS1_25transform_config_selectorIiLb1EEEZNS1_14transform_implILb1ES3_S5_PKiPiNS0_8identityIiEEEE10hipError_tT2_T3_mT4_P12ihipStream_tbEUlT_E_NS1_11comp_targetILNS1_3genE3ELNS1_11target_archE908ELNS1_3gpuE7ELNS1_3repE0EEENS1_30default_config_static_selectorELNS0_4arch9wavefront6targetE0EEEvT1_ ; -- Begin function _ZN7rocprim17ROCPRIM_400000_NS6detail17trampoline_kernelINS0_14default_configENS1_25transform_config_selectorIiLb1EEEZNS1_14transform_implILb1ES3_S5_PKiPiNS0_8identityIiEEEE10hipError_tT2_T3_mT4_P12ihipStream_tbEUlT_E_NS1_11comp_targetILNS1_3genE3ELNS1_11target_archE908ELNS1_3gpuE7ELNS1_3repE0EEENS1_30default_config_static_selectorELNS0_4arch9wavefront6targetE0EEEvT1_
	.globl	_ZN7rocprim17ROCPRIM_400000_NS6detail17trampoline_kernelINS0_14default_configENS1_25transform_config_selectorIiLb1EEEZNS1_14transform_implILb1ES3_S5_PKiPiNS0_8identityIiEEEE10hipError_tT2_T3_mT4_P12ihipStream_tbEUlT_E_NS1_11comp_targetILNS1_3genE3ELNS1_11target_archE908ELNS1_3gpuE7ELNS1_3repE0EEENS1_30default_config_static_selectorELNS0_4arch9wavefront6targetE0EEEvT1_
	.p2align	8
	.type	_ZN7rocprim17ROCPRIM_400000_NS6detail17trampoline_kernelINS0_14default_configENS1_25transform_config_selectorIiLb1EEEZNS1_14transform_implILb1ES3_S5_PKiPiNS0_8identityIiEEEE10hipError_tT2_T3_mT4_P12ihipStream_tbEUlT_E_NS1_11comp_targetILNS1_3genE3ELNS1_11target_archE908ELNS1_3gpuE7ELNS1_3repE0EEENS1_30default_config_static_selectorELNS0_4arch9wavefront6targetE0EEEvT1_,@function
_ZN7rocprim17ROCPRIM_400000_NS6detail17trampoline_kernelINS0_14default_configENS1_25transform_config_selectorIiLb1EEEZNS1_14transform_implILb1ES3_S5_PKiPiNS0_8identityIiEEEE10hipError_tT2_T3_mT4_P12ihipStream_tbEUlT_E_NS1_11comp_targetILNS1_3genE3ELNS1_11target_archE908ELNS1_3gpuE7ELNS1_3repE0EEENS1_30default_config_static_selectorELNS0_4arch9wavefront6targetE0EEEvT1_: ; @_ZN7rocprim17ROCPRIM_400000_NS6detail17trampoline_kernelINS0_14default_configENS1_25transform_config_selectorIiLb1EEEZNS1_14transform_implILb1ES3_S5_PKiPiNS0_8identityIiEEEE10hipError_tT2_T3_mT4_P12ihipStream_tbEUlT_E_NS1_11comp_targetILNS1_3genE3ELNS1_11target_archE908ELNS1_3gpuE7ELNS1_3repE0EEENS1_30default_config_static_selectorELNS0_4arch9wavefront6targetE0EEEvT1_
; %bb.0:
	.section	.rodata,"a",@progbits
	.p2align	6, 0x0
	.amdhsa_kernel _ZN7rocprim17ROCPRIM_400000_NS6detail17trampoline_kernelINS0_14default_configENS1_25transform_config_selectorIiLb1EEEZNS1_14transform_implILb1ES3_S5_PKiPiNS0_8identityIiEEEE10hipError_tT2_T3_mT4_P12ihipStream_tbEUlT_E_NS1_11comp_targetILNS1_3genE3ELNS1_11target_archE908ELNS1_3gpuE7ELNS1_3repE0EEENS1_30default_config_static_selectorELNS0_4arch9wavefront6targetE0EEEvT1_
		.amdhsa_group_segment_fixed_size 0
		.amdhsa_private_segment_fixed_size 0
		.amdhsa_kernarg_size 40
		.amdhsa_user_sgpr_count 2
		.amdhsa_user_sgpr_dispatch_ptr 0
		.amdhsa_user_sgpr_queue_ptr 0
		.amdhsa_user_sgpr_kernarg_segment_ptr 1
		.amdhsa_user_sgpr_dispatch_id 0
		.amdhsa_user_sgpr_kernarg_preload_length 0
		.amdhsa_user_sgpr_kernarg_preload_offset 0
		.amdhsa_user_sgpr_private_segment_size 0
		.amdhsa_wavefront_size32 1
		.amdhsa_uses_dynamic_stack 0
		.amdhsa_enable_private_segment 0
		.amdhsa_system_sgpr_workgroup_id_x 1
		.amdhsa_system_sgpr_workgroup_id_y 0
		.amdhsa_system_sgpr_workgroup_id_z 0
		.amdhsa_system_sgpr_workgroup_info 0
		.amdhsa_system_vgpr_workitem_id 0
		.amdhsa_next_free_vgpr 1
		.amdhsa_next_free_sgpr 1
		.amdhsa_named_barrier_count 0
		.amdhsa_reserve_vcc 0
		.amdhsa_float_round_mode_32 0
		.amdhsa_float_round_mode_16_64 0
		.amdhsa_float_denorm_mode_32 3
		.amdhsa_float_denorm_mode_16_64 3
		.amdhsa_fp16_overflow 0
		.amdhsa_memory_ordered 1
		.amdhsa_forward_progress 1
		.amdhsa_inst_pref_size 0
		.amdhsa_round_robin_scheduling 0
		.amdhsa_exception_fp_ieee_invalid_op 0
		.amdhsa_exception_fp_denorm_src 0
		.amdhsa_exception_fp_ieee_div_zero 0
		.amdhsa_exception_fp_ieee_overflow 0
		.amdhsa_exception_fp_ieee_underflow 0
		.amdhsa_exception_fp_ieee_inexact 0
		.amdhsa_exception_int_div_zero 0
	.end_amdhsa_kernel
	.section	.text._ZN7rocprim17ROCPRIM_400000_NS6detail17trampoline_kernelINS0_14default_configENS1_25transform_config_selectorIiLb1EEEZNS1_14transform_implILb1ES3_S5_PKiPiNS0_8identityIiEEEE10hipError_tT2_T3_mT4_P12ihipStream_tbEUlT_E_NS1_11comp_targetILNS1_3genE3ELNS1_11target_archE908ELNS1_3gpuE7ELNS1_3repE0EEENS1_30default_config_static_selectorELNS0_4arch9wavefront6targetE0EEEvT1_,"axG",@progbits,_ZN7rocprim17ROCPRIM_400000_NS6detail17trampoline_kernelINS0_14default_configENS1_25transform_config_selectorIiLb1EEEZNS1_14transform_implILb1ES3_S5_PKiPiNS0_8identityIiEEEE10hipError_tT2_T3_mT4_P12ihipStream_tbEUlT_E_NS1_11comp_targetILNS1_3genE3ELNS1_11target_archE908ELNS1_3gpuE7ELNS1_3repE0EEENS1_30default_config_static_selectorELNS0_4arch9wavefront6targetE0EEEvT1_,comdat
.Lfunc_end845:
	.size	_ZN7rocprim17ROCPRIM_400000_NS6detail17trampoline_kernelINS0_14default_configENS1_25transform_config_selectorIiLb1EEEZNS1_14transform_implILb1ES3_S5_PKiPiNS0_8identityIiEEEE10hipError_tT2_T3_mT4_P12ihipStream_tbEUlT_E_NS1_11comp_targetILNS1_3genE3ELNS1_11target_archE908ELNS1_3gpuE7ELNS1_3repE0EEENS1_30default_config_static_selectorELNS0_4arch9wavefront6targetE0EEEvT1_, .Lfunc_end845-_ZN7rocprim17ROCPRIM_400000_NS6detail17trampoline_kernelINS0_14default_configENS1_25transform_config_selectorIiLb1EEEZNS1_14transform_implILb1ES3_S5_PKiPiNS0_8identityIiEEEE10hipError_tT2_T3_mT4_P12ihipStream_tbEUlT_E_NS1_11comp_targetILNS1_3genE3ELNS1_11target_archE908ELNS1_3gpuE7ELNS1_3repE0EEENS1_30default_config_static_selectorELNS0_4arch9wavefront6targetE0EEEvT1_
                                        ; -- End function
	.set _ZN7rocprim17ROCPRIM_400000_NS6detail17trampoline_kernelINS0_14default_configENS1_25transform_config_selectorIiLb1EEEZNS1_14transform_implILb1ES3_S5_PKiPiNS0_8identityIiEEEE10hipError_tT2_T3_mT4_P12ihipStream_tbEUlT_E_NS1_11comp_targetILNS1_3genE3ELNS1_11target_archE908ELNS1_3gpuE7ELNS1_3repE0EEENS1_30default_config_static_selectorELNS0_4arch9wavefront6targetE0EEEvT1_.num_vgpr, 0
	.set _ZN7rocprim17ROCPRIM_400000_NS6detail17trampoline_kernelINS0_14default_configENS1_25transform_config_selectorIiLb1EEEZNS1_14transform_implILb1ES3_S5_PKiPiNS0_8identityIiEEEE10hipError_tT2_T3_mT4_P12ihipStream_tbEUlT_E_NS1_11comp_targetILNS1_3genE3ELNS1_11target_archE908ELNS1_3gpuE7ELNS1_3repE0EEENS1_30default_config_static_selectorELNS0_4arch9wavefront6targetE0EEEvT1_.num_agpr, 0
	.set _ZN7rocprim17ROCPRIM_400000_NS6detail17trampoline_kernelINS0_14default_configENS1_25transform_config_selectorIiLb1EEEZNS1_14transform_implILb1ES3_S5_PKiPiNS0_8identityIiEEEE10hipError_tT2_T3_mT4_P12ihipStream_tbEUlT_E_NS1_11comp_targetILNS1_3genE3ELNS1_11target_archE908ELNS1_3gpuE7ELNS1_3repE0EEENS1_30default_config_static_selectorELNS0_4arch9wavefront6targetE0EEEvT1_.numbered_sgpr, 0
	.set _ZN7rocprim17ROCPRIM_400000_NS6detail17trampoline_kernelINS0_14default_configENS1_25transform_config_selectorIiLb1EEEZNS1_14transform_implILb1ES3_S5_PKiPiNS0_8identityIiEEEE10hipError_tT2_T3_mT4_P12ihipStream_tbEUlT_E_NS1_11comp_targetILNS1_3genE3ELNS1_11target_archE908ELNS1_3gpuE7ELNS1_3repE0EEENS1_30default_config_static_selectorELNS0_4arch9wavefront6targetE0EEEvT1_.num_named_barrier, 0
	.set _ZN7rocprim17ROCPRIM_400000_NS6detail17trampoline_kernelINS0_14default_configENS1_25transform_config_selectorIiLb1EEEZNS1_14transform_implILb1ES3_S5_PKiPiNS0_8identityIiEEEE10hipError_tT2_T3_mT4_P12ihipStream_tbEUlT_E_NS1_11comp_targetILNS1_3genE3ELNS1_11target_archE908ELNS1_3gpuE7ELNS1_3repE0EEENS1_30default_config_static_selectorELNS0_4arch9wavefront6targetE0EEEvT1_.private_seg_size, 0
	.set _ZN7rocprim17ROCPRIM_400000_NS6detail17trampoline_kernelINS0_14default_configENS1_25transform_config_selectorIiLb1EEEZNS1_14transform_implILb1ES3_S5_PKiPiNS0_8identityIiEEEE10hipError_tT2_T3_mT4_P12ihipStream_tbEUlT_E_NS1_11comp_targetILNS1_3genE3ELNS1_11target_archE908ELNS1_3gpuE7ELNS1_3repE0EEENS1_30default_config_static_selectorELNS0_4arch9wavefront6targetE0EEEvT1_.uses_vcc, 0
	.set _ZN7rocprim17ROCPRIM_400000_NS6detail17trampoline_kernelINS0_14default_configENS1_25transform_config_selectorIiLb1EEEZNS1_14transform_implILb1ES3_S5_PKiPiNS0_8identityIiEEEE10hipError_tT2_T3_mT4_P12ihipStream_tbEUlT_E_NS1_11comp_targetILNS1_3genE3ELNS1_11target_archE908ELNS1_3gpuE7ELNS1_3repE0EEENS1_30default_config_static_selectorELNS0_4arch9wavefront6targetE0EEEvT1_.uses_flat_scratch, 0
	.set _ZN7rocprim17ROCPRIM_400000_NS6detail17trampoline_kernelINS0_14default_configENS1_25transform_config_selectorIiLb1EEEZNS1_14transform_implILb1ES3_S5_PKiPiNS0_8identityIiEEEE10hipError_tT2_T3_mT4_P12ihipStream_tbEUlT_E_NS1_11comp_targetILNS1_3genE3ELNS1_11target_archE908ELNS1_3gpuE7ELNS1_3repE0EEENS1_30default_config_static_selectorELNS0_4arch9wavefront6targetE0EEEvT1_.has_dyn_sized_stack, 0
	.set _ZN7rocprim17ROCPRIM_400000_NS6detail17trampoline_kernelINS0_14default_configENS1_25transform_config_selectorIiLb1EEEZNS1_14transform_implILb1ES3_S5_PKiPiNS0_8identityIiEEEE10hipError_tT2_T3_mT4_P12ihipStream_tbEUlT_E_NS1_11comp_targetILNS1_3genE3ELNS1_11target_archE908ELNS1_3gpuE7ELNS1_3repE0EEENS1_30default_config_static_selectorELNS0_4arch9wavefront6targetE0EEEvT1_.has_recursion, 0
	.set _ZN7rocprim17ROCPRIM_400000_NS6detail17trampoline_kernelINS0_14default_configENS1_25transform_config_selectorIiLb1EEEZNS1_14transform_implILb1ES3_S5_PKiPiNS0_8identityIiEEEE10hipError_tT2_T3_mT4_P12ihipStream_tbEUlT_E_NS1_11comp_targetILNS1_3genE3ELNS1_11target_archE908ELNS1_3gpuE7ELNS1_3repE0EEENS1_30default_config_static_selectorELNS0_4arch9wavefront6targetE0EEEvT1_.has_indirect_call, 0
	.section	.AMDGPU.csdata,"",@progbits
; Kernel info:
; codeLenInByte = 0
; TotalNumSgprs: 0
; NumVgprs: 0
; ScratchSize: 0
; MemoryBound: 0
; FloatMode: 240
; IeeeMode: 1
; LDSByteSize: 0 bytes/workgroup (compile time only)
; SGPRBlocks: 0
; VGPRBlocks: 0
; NumSGPRsForWavesPerEU: 1
; NumVGPRsForWavesPerEU: 1
; NamedBarCnt: 0
; Occupancy: 16
; WaveLimiterHint : 0
; COMPUTE_PGM_RSRC2:SCRATCH_EN: 0
; COMPUTE_PGM_RSRC2:USER_SGPR: 2
; COMPUTE_PGM_RSRC2:TRAP_HANDLER: 0
; COMPUTE_PGM_RSRC2:TGID_X_EN: 1
; COMPUTE_PGM_RSRC2:TGID_Y_EN: 0
; COMPUTE_PGM_RSRC2:TGID_Z_EN: 0
; COMPUTE_PGM_RSRC2:TIDIG_COMP_CNT: 0
	.section	.text._ZN7rocprim17ROCPRIM_400000_NS6detail17trampoline_kernelINS0_14default_configENS1_25transform_config_selectorIiLb1EEEZNS1_14transform_implILb1ES3_S5_PKiPiNS0_8identityIiEEEE10hipError_tT2_T3_mT4_P12ihipStream_tbEUlT_E_NS1_11comp_targetILNS1_3genE2ELNS1_11target_archE906ELNS1_3gpuE6ELNS1_3repE0EEENS1_30default_config_static_selectorELNS0_4arch9wavefront6targetE0EEEvT1_,"axG",@progbits,_ZN7rocprim17ROCPRIM_400000_NS6detail17trampoline_kernelINS0_14default_configENS1_25transform_config_selectorIiLb1EEEZNS1_14transform_implILb1ES3_S5_PKiPiNS0_8identityIiEEEE10hipError_tT2_T3_mT4_P12ihipStream_tbEUlT_E_NS1_11comp_targetILNS1_3genE2ELNS1_11target_archE906ELNS1_3gpuE6ELNS1_3repE0EEENS1_30default_config_static_selectorELNS0_4arch9wavefront6targetE0EEEvT1_,comdat
	.protected	_ZN7rocprim17ROCPRIM_400000_NS6detail17trampoline_kernelINS0_14default_configENS1_25transform_config_selectorIiLb1EEEZNS1_14transform_implILb1ES3_S5_PKiPiNS0_8identityIiEEEE10hipError_tT2_T3_mT4_P12ihipStream_tbEUlT_E_NS1_11comp_targetILNS1_3genE2ELNS1_11target_archE906ELNS1_3gpuE6ELNS1_3repE0EEENS1_30default_config_static_selectorELNS0_4arch9wavefront6targetE0EEEvT1_ ; -- Begin function _ZN7rocprim17ROCPRIM_400000_NS6detail17trampoline_kernelINS0_14default_configENS1_25transform_config_selectorIiLb1EEEZNS1_14transform_implILb1ES3_S5_PKiPiNS0_8identityIiEEEE10hipError_tT2_T3_mT4_P12ihipStream_tbEUlT_E_NS1_11comp_targetILNS1_3genE2ELNS1_11target_archE906ELNS1_3gpuE6ELNS1_3repE0EEENS1_30default_config_static_selectorELNS0_4arch9wavefront6targetE0EEEvT1_
	.globl	_ZN7rocprim17ROCPRIM_400000_NS6detail17trampoline_kernelINS0_14default_configENS1_25transform_config_selectorIiLb1EEEZNS1_14transform_implILb1ES3_S5_PKiPiNS0_8identityIiEEEE10hipError_tT2_T3_mT4_P12ihipStream_tbEUlT_E_NS1_11comp_targetILNS1_3genE2ELNS1_11target_archE906ELNS1_3gpuE6ELNS1_3repE0EEENS1_30default_config_static_selectorELNS0_4arch9wavefront6targetE0EEEvT1_
	.p2align	8
	.type	_ZN7rocprim17ROCPRIM_400000_NS6detail17trampoline_kernelINS0_14default_configENS1_25transform_config_selectorIiLb1EEEZNS1_14transform_implILb1ES3_S5_PKiPiNS0_8identityIiEEEE10hipError_tT2_T3_mT4_P12ihipStream_tbEUlT_E_NS1_11comp_targetILNS1_3genE2ELNS1_11target_archE906ELNS1_3gpuE6ELNS1_3repE0EEENS1_30default_config_static_selectorELNS0_4arch9wavefront6targetE0EEEvT1_,@function
_ZN7rocprim17ROCPRIM_400000_NS6detail17trampoline_kernelINS0_14default_configENS1_25transform_config_selectorIiLb1EEEZNS1_14transform_implILb1ES3_S5_PKiPiNS0_8identityIiEEEE10hipError_tT2_T3_mT4_P12ihipStream_tbEUlT_E_NS1_11comp_targetILNS1_3genE2ELNS1_11target_archE906ELNS1_3gpuE6ELNS1_3repE0EEENS1_30default_config_static_selectorELNS0_4arch9wavefront6targetE0EEEvT1_: ; @_ZN7rocprim17ROCPRIM_400000_NS6detail17trampoline_kernelINS0_14default_configENS1_25transform_config_selectorIiLb1EEEZNS1_14transform_implILb1ES3_S5_PKiPiNS0_8identityIiEEEE10hipError_tT2_T3_mT4_P12ihipStream_tbEUlT_E_NS1_11comp_targetILNS1_3genE2ELNS1_11target_archE906ELNS1_3gpuE6ELNS1_3repE0EEENS1_30default_config_static_selectorELNS0_4arch9wavefront6targetE0EEEvT1_
; %bb.0:
	.section	.rodata,"a",@progbits
	.p2align	6, 0x0
	.amdhsa_kernel _ZN7rocprim17ROCPRIM_400000_NS6detail17trampoline_kernelINS0_14default_configENS1_25transform_config_selectorIiLb1EEEZNS1_14transform_implILb1ES3_S5_PKiPiNS0_8identityIiEEEE10hipError_tT2_T3_mT4_P12ihipStream_tbEUlT_E_NS1_11comp_targetILNS1_3genE2ELNS1_11target_archE906ELNS1_3gpuE6ELNS1_3repE0EEENS1_30default_config_static_selectorELNS0_4arch9wavefront6targetE0EEEvT1_
		.amdhsa_group_segment_fixed_size 0
		.amdhsa_private_segment_fixed_size 0
		.amdhsa_kernarg_size 40
		.amdhsa_user_sgpr_count 2
		.amdhsa_user_sgpr_dispatch_ptr 0
		.amdhsa_user_sgpr_queue_ptr 0
		.amdhsa_user_sgpr_kernarg_segment_ptr 1
		.amdhsa_user_sgpr_dispatch_id 0
		.amdhsa_user_sgpr_kernarg_preload_length 0
		.amdhsa_user_sgpr_kernarg_preload_offset 0
		.amdhsa_user_sgpr_private_segment_size 0
		.amdhsa_wavefront_size32 1
		.amdhsa_uses_dynamic_stack 0
		.amdhsa_enable_private_segment 0
		.amdhsa_system_sgpr_workgroup_id_x 1
		.amdhsa_system_sgpr_workgroup_id_y 0
		.amdhsa_system_sgpr_workgroup_id_z 0
		.amdhsa_system_sgpr_workgroup_info 0
		.amdhsa_system_vgpr_workitem_id 0
		.amdhsa_next_free_vgpr 1
		.amdhsa_next_free_sgpr 1
		.amdhsa_named_barrier_count 0
		.amdhsa_reserve_vcc 0
		.amdhsa_float_round_mode_32 0
		.amdhsa_float_round_mode_16_64 0
		.amdhsa_float_denorm_mode_32 3
		.amdhsa_float_denorm_mode_16_64 3
		.amdhsa_fp16_overflow 0
		.amdhsa_memory_ordered 1
		.amdhsa_forward_progress 1
		.amdhsa_inst_pref_size 0
		.amdhsa_round_robin_scheduling 0
		.amdhsa_exception_fp_ieee_invalid_op 0
		.amdhsa_exception_fp_denorm_src 0
		.amdhsa_exception_fp_ieee_div_zero 0
		.amdhsa_exception_fp_ieee_overflow 0
		.amdhsa_exception_fp_ieee_underflow 0
		.amdhsa_exception_fp_ieee_inexact 0
		.amdhsa_exception_int_div_zero 0
	.end_amdhsa_kernel
	.section	.text._ZN7rocprim17ROCPRIM_400000_NS6detail17trampoline_kernelINS0_14default_configENS1_25transform_config_selectorIiLb1EEEZNS1_14transform_implILb1ES3_S5_PKiPiNS0_8identityIiEEEE10hipError_tT2_T3_mT4_P12ihipStream_tbEUlT_E_NS1_11comp_targetILNS1_3genE2ELNS1_11target_archE906ELNS1_3gpuE6ELNS1_3repE0EEENS1_30default_config_static_selectorELNS0_4arch9wavefront6targetE0EEEvT1_,"axG",@progbits,_ZN7rocprim17ROCPRIM_400000_NS6detail17trampoline_kernelINS0_14default_configENS1_25transform_config_selectorIiLb1EEEZNS1_14transform_implILb1ES3_S5_PKiPiNS0_8identityIiEEEE10hipError_tT2_T3_mT4_P12ihipStream_tbEUlT_E_NS1_11comp_targetILNS1_3genE2ELNS1_11target_archE906ELNS1_3gpuE6ELNS1_3repE0EEENS1_30default_config_static_selectorELNS0_4arch9wavefront6targetE0EEEvT1_,comdat
.Lfunc_end846:
	.size	_ZN7rocprim17ROCPRIM_400000_NS6detail17trampoline_kernelINS0_14default_configENS1_25transform_config_selectorIiLb1EEEZNS1_14transform_implILb1ES3_S5_PKiPiNS0_8identityIiEEEE10hipError_tT2_T3_mT4_P12ihipStream_tbEUlT_E_NS1_11comp_targetILNS1_3genE2ELNS1_11target_archE906ELNS1_3gpuE6ELNS1_3repE0EEENS1_30default_config_static_selectorELNS0_4arch9wavefront6targetE0EEEvT1_, .Lfunc_end846-_ZN7rocprim17ROCPRIM_400000_NS6detail17trampoline_kernelINS0_14default_configENS1_25transform_config_selectorIiLb1EEEZNS1_14transform_implILb1ES3_S5_PKiPiNS0_8identityIiEEEE10hipError_tT2_T3_mT4_P12ihipStream_tbEUlT_E_NS1_11comp_targetILNS1_3genE2ELNS1_11target_archE906ELNS1_3gpuE6ELNS1_3repE0EEENS1_30default_config_static_selectorELNS0_4arch9wavefront6targetE0EEEvT1_
                                        ; -- End function
	.set _ZN7rocprim17ROCPRIM_400000_NS6detail17trampoline_kernelINS0_14default_configENS1_25transform_config_selectorIiLb1EEEZNS1_14transform_implILb1ES3_S5_PKiPiNS0_8identityIiEEEE10hipError_tT2_T3_mT4_P12ihipStream_tbEUlT_E_NS1_11comp_targetILNS1_3genE2ELNS1_11target_archE906ELNS1_3gpuE6ELNS1_3repE0EEENS1_30default_config_static_selectorELNS0_4arch9wavefront6targetE0EEEvT1_.num_vgpr, 0
	.set _ZN7rocprim17ROCPRIM_400000_NS6detail17trampoline_kernelINS0_14default_configENS1_25transform_config_selectorIiLb1EEEZNS1_14transform_implILb1ES3_S5_PKiPiNS0_8identityIiEEEE10hipError_tT2_T3_mT4_P12ihipStream_tbEUlT_E_NS1_11comp_targetILNS1_3genE2ELNS1_11target_archE906ELNS1_3gpuE6ELNS1_3repE0EEENS1_30default_config_static_selectorELNS0_4arch9wavefront6targetE0EEEvT1_.num_agpr, 0
	.set _ZN7rocprim17ROCPRIM_400000_NS6detail17trampoline_kernelINS0_14default_configENS1_25transform_config_selectorIiLb1EEEZNS1_14transform_implILb1ES3_S5_PKiPiNS0_8identityIiEEEE10hipError_tT2_T3_mT4_P12ihipStream_tbEUlT_E_NS1_11comp_targetILNS1_3genE2ELNS1_11target_archE906ELNS1_3gpuE6ELNS1_3repE0EEENS1_30default_config_static_selectorELNS0_4arch9wavefront6targetE0EEEvT1_.numbered_sgpr, 0
	.set _ZN7rocprim17ROCPRIM_400000_NS6detail17trampoline_kernelINS0_14default_configENS1_25transform_config_selectorIiLb1EEEZNS1_14transform_implILb1ES3_S5_PKiPiNS0_8identityIiEEEE10hipError_tT2_T3_mT4_P12ihipStream_tbEUlT_E_NS1_11comp_targetILNS1_3genE2ELNS1_11target_archE906ELNS1_3gpuE6ELNS1_3repE0EEENS1_30default_config_static_selectorELNS0_4arch9wavefront6targetE0EEEvT1_.num_named_barrier, 0
	.set _ZN7rocprim17ROCPRIM_400000_NS6detail17trampoline_kernelINS0_14default_configENS1_25transform_config_selectorIiLb1EEEZNS1_14transform_implILb1ES3_S5_PKiPiNS0_8identityIiEEEE10hipError_tT2_T3_mT4_P12ihipStream_tbEUlT_E_NS1_11comp_targetILNS1_3genE2ELNS1_11target_archE906ELNS1_3gpuE6ELNS1_3repE0EEENS1_30default_config_static_selectorELNS0_4arch9wavefront6targetE0EEEvT1_.private_seg_size, 0
	.set _ZN7rocprim17ROCPRIM_400000_NS6detail17trampoline_kernelINS0_14default_configENS1_25transform_config_selectorIiLb1EEEZNS1_14transform_implILb1ES3_S5_PKiPiNS0_8identityIiEEEE10hipError_tT2_T3_mT4_P12ihipStream_tbEUlT_E_NS1_11comp_targetILNS1_3genE2ELNS1_11target_archE906ELNS1_3gpuE6ELNS1_3repE0EEENS1_30default_config_static_selectorELNS0_4arch9wavefront6targetE0EEEvT1_.uses_vcc, 0
	.set _ZN7rocprim17ROCPRIM_400000_NS6detail17trampoline_kernelINS0_14default_configENS1_25transform_config_selectorIiLb1EEEZNS1_14transform_implILb1ES3_S5_PKiPiNS0_8identityIiEEEE10hipError_tT2_T3_mT4_P12ihipStream_tbEUlT_E_NS1_11comp_targetILNS1_3genE2ELNS1_11target_archE906ELNS1_3gpuE6ELNS1_3repE0EEENS1_30default_config_static_selectorELNS0_4arch9wavefront6targetE0EEEvT1_.uses_flat_scratch, 0
	.set _ZN7rocprim17ROCPRIM_400000_NS6detail17trampoline_kernelINS0_14default_configENS1_25transform_config_selectorIiLb1EEEZNS1_14transform_implILb1ES3_S5_PKiPiNS0_8identityIiEEEE10hipError_tT2_T3_mT4_P12ihipStream_tbEUlT_E_NS1_11comp_targetILNS1_3genE2ELNS1_11target_archE906ELNS1_3gpuE6ELNS1_3repE0EEENS1_30default_config_static_selectorELNS0_4arch9wavefront6targetE0EEEvT1_.has_dyn_sized_stack, 0
	.set _ZN7rocprim17ROCPRIM_400000_NS6detail17trampoline_kernelINS0_14default_configENS1_25transform_config_selectorIiLb1EEEZNS1_14transform_implILb1ES3_S5_PKiPiNS0_8identityIiEEEE10hipError_tT2_T3_mT4_P12ihipStream_tbEUlT_E_NS1_11comp_targetILNS1_3genE2ELNS1_11target_archE906ELNS1_3gpuE6ELNS1_3repE0EEENS1_30default_config_static_selectorELNS0_4arch9wavefront6targetE0EEEvT1_.has_recursion, 0
	.set _ZN7rocprim17ROCPRIM_400000_NS6detail17trampoline_kernelINS0_14default_configENS1_25transform_config_selectorIiLb1EEEZNS1_14transform_implILb1ES3_S5_PKiPiNS0_8identityIiEEEE10hipError_tT2_T3_mT4_P12ihipStream_tbEUlT_E_NS1_11comp_targetILNS1_3genE2ELNS1_11target_archE906ELNS1_3gpuE6ELNS1_3repE0EEENS1_30default_config_static_selectorELNS0_4arch9wavefront6targetE0EEEvT1_.has_indirect_call, 0
	.section	.AMDGPU.csdata,"",@progbits
; Kernel info:
; codeLenInByte = 0
; TotalNumSgprs: 0
; NumVgprs: 0
; ScratchSize: 0
; MemoryBound: 0
; FloatMode: 240
; IeeeMode: 1
; LDSByteSize: 0 bytes/workgroup (compile time only)
; SGPRBlocks: 0
; VGPRBlocks: 0
; NumSGPRsForWavesPerEU: 1
; NumVGPRsForWavesPerEU: 1
; NamedBarCnt: 0
; Occupancy: 16
; WaveLimiterHint : 0
; COMPUTE_PGM_RSRC2:SCRATCH_EN: 0
; COMPUTE_PGM_RSRC2:USER_SGPR: 2
; COMPUTE_PGM_RSRC2:TRAP_HANDLER: 0
; COMPUTE_PGM_RSRC2:TGID_X_EN: 1
; COMPUTE_PGM_RSRC2:TGID_Y_EN: 0
; COMPUTE_PGM_RSRC2:TGID_Z_EN: 0
; COMPUTE_PGM_RSRC2:TIDIG_COMP_CNT: 0
	.section	.text._ZN7rocprim17ROCPRIM_400000_NS6detail17trampoline_kernelINS0_14default_configENS1_25transform_config_selectorIiLb1EEEZNS1_14transform_implILb1ES3_S5_PKiPiNS0_8identityIiEEEE10hipError_tT2_T3_mT4_P12ihipStream_tbEUlT_E_NS1_11comp_targetILNS1_3genE9ELNS1_11target_archE1100ELNS1_3gpuE3ELNS1_3repE0EEENS1_30default_config_static_selectorELNS0_4arch9wavefront6targetE0EEEvT1_,"axG",@progbits,_ZN7rocprim17ROCPRIM_400000_NS6detail17trampoline_kernelINS0_14default_configENS1_25transform_config_selectorIiLb1EEEZNS1_14transform_implILb1ES3_S5_PKiPiNS0_8identityIiEEEE10hipError_tT2_T3_mT4_P12ihipStream_tbEUlT_E_NS1_11comp_targetILNS1_3genE9ELNS1_11target_archE1100ELNS1_3gpuE3ELNS1_3repE0EEENS1_30default_config_static_selectorELNS0_4arch9wavefront6targetE0EEEvT1_,comdat
	.protected	_ZN7rocprim17ROCPRIM_400000_NS6detail17trampoline_kernelINS0_14default_configENS1_25transform_config_selectorIiLb1EEEZNS1_14transform_implILb1ES3_S5_PKiPiNS0_8identityIiEEEE10hipError_tT2_T3_mT4_P12ihipStream_tbEUlT_E_NS1_11comp_targetILNS1_3genE9ELNS1_11target_archE1100ELNS1_3gpuE3ELNS1_3repE0EEENS1_30default_config_static_selectorELNS0_4arch9wavefront6targetE0EEEvT1_ ; -- Begin function _ZN7rocprim17ROCPRIM_400000_NS6detail17trampoline_kernelINS0_14default_configENS1_25transform_config_selectorIiLb1EEEZNS1_14transform_implILb1ES3_S5_PKiPiNS0_8identityIiEEEE10hipError_tT2_T3_mT4_P12ihipStream_tbEUlT_E_NS1_11comp_targetILNS1_3genE9ELNS1_11target_archE1100ELNS1_3gpuE3ELNS1_3repE0EEENS1_30default_config_static_selectorELNS0_4arch9wavefront6targetE0EEEvT1_
	.globl	_ZN7rocprim17ROCPRIM_400000_NS6detail17trampoline_kernelINS0_14default_configENS1_25transform_config_selectorIiLb1EEEZNS1_14transform_implILb1ES3_S5_PKiPiNS0_8identityIiEEEE10hipError_tT2_T3_mT4_P12ihipStream_tbEUlT_E_NS1_11comp_targetILNS1_3genE9ELNS1_11target_archE1100ELNS1_3gpuE3ELNS1_3repE0EEENS1_30default_config_static_selectorELNS0_4arch9wavefront6targetE0EEEvT1_
	.p2align	8
	.type	_ZN7rocprim17ROCPRIM_400000_NS6detail17trampoline_kernelINS0_14default_configENS1_25transform_config_selectorIiLb1EEEZNS1_14transform_implILb1ES3_S5_PKiPiNS0_8identityIiEEEE10hipError_tT2_T3_mT4_P12ihipStream_tbEUlT_E_NS1_11comp_targetILNS1_3genE9ELNS1_11target_archE1100ELNS1_3gpuE3ELNS1_3repE0EEENS1_30default_config_static_selectorELNS0_4arch9wavefront6targetE0EEEvT1_,@function
_ZN7rocprim17ROCPRIM_400000_NS6detail17trampoline_kernelINS0_14default_configENS1_25transform_config_selectorIiLb1EEEZNS1_14transform_implILb1ES3_S5_PKiPiNS0_8identityIiEEEE10hipError_tT2_T3_mT4_P12ihipStream_tbEUlT_E_NS1_11comp_targetILNS1_3genE9ELNS1_11target_archE1100ELNS1_3gpuE3ELNS1_3repE0EEENS1_30default_config_static_selectorELNS0_4arch9wavefront6targetE0EEEvT1_: ; @_ZN7rocprim17ROCPRIM_400000_NS6detail17trampoline_kernelINS0_14default_configENS1_25transform_config_selectorIiLb1EEEZNS1_14transform_implILb1ES3_S5_PKiPiNS0_8identityIiEEEE10hipError_tT2_T3_mT4_P12ihipStream_tbEUlT_E_NS1_11comp_targetILNS1_3genE9ELNS1_11target_archE1100ELNS1_3gpuE3ELNS1_3repE0EEENS1_30default_config_static_selectorELNS0_4arch9wavefront6targetE0EEEvT1_
; %bb.0:
	.section	.rodata,"a",@progbits
	.p2align	6, 0x0
	.amdhsa_kernel _ZN7rocprim17ROCPRIM_400000_NS6detail17trampoline_kernelINS0_14default_configENS1_25transform_config_selectorIiLb1EEEZNS1_14transform_implILb1ES3_S5_PKiPiNS0_8identityIiEEEE10hipError_tT2_T3_mT4_P12ihipStream_tbEUlT_E_NS1_11comp_targetILNS1_3genE9ELNS1_11target_archE1100ELNS1_3gpuE3ELNS1_3repE0EEENS1_30default_config_static_selectorELNS0_4arch9wavefront6targetE0EEEvT1_
		.amdhsa_group_segment_fixed_size 0
		.amdhsa_private_segment_fixed_size 0
		.amdhsa_kernarg_size 40
		.amdhsa_user_sgpr_count 2
		.amdhsa_user_sgpr_dispatch_ptr 0
		.amdhsa_user_sgpr_queue_ptr 0
		.amdhsa_user_sgpr_kernarg_segment_ptr 1
		.amdhsa_user_sgpr_dispatch_id 0
		.amdhsa_user_sgpr_kernarg_preload_length 0
		.amdhsa_user_sgpr_kernarg_preload_offset 0
		.amdhsa_user_sgpr_private_segment_size 0
		.amdhsa_wavefront_size32 1
		.amdhsa_uses_dynamic_stack 0
		.amdhsa_enable_private_segment 0
		.amdhsa_system_sgpr_workgroup_id_x 1
		.amdhsa_system_sgpr_workgroup_id_y 0
		.amdhsa_system_sgpr_workgroup_id_z 0
		.amdhsa_system_sgpr_workgroup_info 0
		.amdhsa_system_vgpr_workitem_id 0
		.amdhsa_next_free_vgpr 1
		.amdhsa_next_free_sgpr 1
		.amdhsa_named_barrier_count 0
		.amdhsa_reserve_vcc 0
		.amdhsa_float_round_mode_32 0
		.amdhsa_float_round_mode_16_64 0
		.amdhsa_float_denorm_mode_32 3
		.amdhsa_float_denorm_mode_16_64 3
		.amdhsa_fp16_overflow 0
		.amdhsa_memory_ordered 1
		.amdhsa_forward_progress 1
		.amdhsa_inst_pref_size 0
		.amdhsa_round_robin_scheduling 0
		.amdhsa_exception_fp_ieee_invalid_op 0
		.amdhsa_exception_fp_denorm_src 0
		.amdhsa_exception_fp_ieee_div_zero 0
		.amdhsa_exception_fp_ieee_overflow 0
		.amdhsa_exception_fp_ieee_underflow 0
		.amdhsa_exception_fp_ieee_inexact 0
		.amdhsa_exception_int_div_zero 0
	.end_amdhsa_kernel
	.section	.text._ZN7rocprim17ROCPRIM_400000_NS6detail17trampoline_kernelINS0_14default_configENS1_25transform_config_selectorIiLb1EEEZNS1_14transform_implILb1ES3_S5_PKiPiNS0_8identityIiEEEE10hipError_tT2_T3_mT4_P12ihipStream_tbEUlT_E_NS1_11comp_targetILNS1_3genE9ELNS1_11target_archE1100ELNS1_3gpuE3ELNS1_3repE0EEENS1_30default_config_static_selectorELNS0_4arch9wavefront6targetE0EEEvT1_,"axG",@progbits,_ZN7rocprim17ROCPRIM_400000_NS6detail17trampoline_kernelINS0_14default_configENS1_25transform_config_selectorIiLb1EEEZNS1_14transform_implILb1ES3_S5_PKiPiNS0_8identityIiEEEE10hipError_tT2_T3_mT4_P12ihipStream_tbEUlT_E_NS1_11comp_targetILNS1_3genE9ELNS1_11target_archE1100ELNS1_3gpuE3ELNS1_3repE0EEENS1_30default_config_static_selectorELNS0_4arch9wavefront6targetE0EEEvT1_,comdat
.Lfunc_end847:
	.size	_ZN7rocprim17ROCPRIM_400000_NS6detail17trampoline_kernelINS0_14default_configENS1_25transform_config_selectorIiLb1EEEZNS1_14transform_implILb1ES3_S5_PKiPiNS0_8identityIiEEEE10hipError_tT2_T3_mT4_P12ihipStream_tbEUlT_E_NS1_11comp_targetILNS1_3genE9ELNS1_11target_archE1100ELNS1_3gpuE3ELNS1_3repE0EEENS1_30default_config_static_selectorELNS0_4arch9wavefront6targetE0EEEvT1_, .Lfunc_end847-_ZN7rocprim17ROCPRIM_400000_NS6detail17trampoline_kernelINS0_14default_configENS1_25transform_config_selectorIiLb1EEEZNS1_14transform_implILb1ES3_S5_PKiPiNS0_8identityIiEEEE10hipError_tT2_T3_mT4_P12ihipStream_tbEUlT_E_NS1_11comp_targetILNS1_3genE9ELNS1_11target_archE1100ELNS1_3gpuE3ELNS1_3repE0EEENS1_30default_config_static_selectorELNS0_4arch9wavefront6targetE0EEEvT1_
                                        ; -- End function
	.set _ZN7rocprim17ROCPRIM_400000_NS6detail17trampoline_kernelINS0_14default_configENS1_25transform_config_selectorIiLb1EEEZNS1_14transform_implILb1ES3_S5_PKiPiNS0_8identityIiEEEE10hipError_tT2_T3_mT4_P12ihipStream_tbEUlT_E_NS1_11comp_targetILNS1_3genE9ELNS1_11target_archE1100ELNS1_3gpuE3ELNS1_3repE0EEENS1_30default_config_static_selectorELNS0_4arch9wavefront6targetE0EEEvT1_.num_vgpr, 0
	.set _ZN7rocprim17ROCPRIM_400000_NS6detail17trampoline_kernelINS0_14default_configENS1_25transform_config_selectorIiLb1EEEZNS1_14transform_implILb1ES3_S5_PKiPiNS0_8identityIiEEEE10hipError_tT2_T3_mT4_P12ihipStream_tbEUlT_E_NS1_11comp_targetILNS1_3genE9ELNS1_11target_archE1100ELNS1_3gpuE3ELNS1_3repE0EEENS1_30default_config_static_selectorELNS0_4arch9wavefront6targetE0EEEvT1_.num_agpr, 0
	.set _ZN7rocprim17ROCPRIM_400000_NS6detail17trampoline_kernelINS0_14default_configENS1_25transform_config_selectorIiLb1EEEZNS1_14transform_implILb1ES3_S5_PKiPiNS0_8identityIiEEEE10hipError_tT2_T3_mT4_P12ihipStream_tbEUlT_E_NS1_11comp_targetILNS1_3genE9ELNS1_11target_archE1100ELNS1_3gpuE3ELNS1_3repE0EEENS1_30default_config_static_selectorELNS0_4arch9wavefront6targetE0EEEvT1_.numbered_sgpr, 0
	.set _ZN7rocprim17ROCPRIM_400000_NS6detail17trampoline_kernelINS0_14default_configENS1_25transform_config_selectorIiLb1EEEZNS1_14transform_implILb1ES3_S5_PKiPiNS0_8identityIiEEEE10hipError_tT2_T3_mT4_P12ihipStream_tbEUlT_E_NS1_11comp_targetILNS1_3genE9ELNS1_11target_archE1100ELNS1_3gpuE3ELNS1_3repE0EEENS1_30default_config_static_selectorELNS0_4arch9wavefront6targetE0EEEvT1_.num_named_barrier, 0
	.set _ZN7rocprim17ROCPRIM_400000_NS6detail17trampoline_kernelINS0_14default_configENS1_25transform_config_selectorIiLb1EEEZNS1_14transform_implILb1ES3_S5_PKiPiNS0_8identityIiEEEE10hipError_tT2_T3_mT4_P12ihipStream_tbEUlT_E_NS1_11comp_targetILNS1_3genE9ELNS1_11target_archE1100ELNS1_3gpuE3ELNS1_3repE0EEENS1_30default_config_static_selectorELNS0_4arch9wavefront6targetE0EEEvT1_.private_seg_size, 0
	.set _ZN7rocprim17ROCPRIM_400000_NS6detail17trampoline_kernelINS0_14default_configENS1_25transform_config_selectorIiLb1EEEZNS1_14transform_implILb1ES3_S5_PKiPiNS0_8identityIiEEEE10hipError_tT2_T3_mT4_P12ihipStream_tbEUlT_E_NS1_11comp_targetILNS1_3genE9ELNS1_11target_archE1100ELNS1_3gpuE3ELNS1_3repE0EEENS1_30default_config_static_selectorELNS0_4arch9wavefront6targetE0EEEvT1_.uses_vcc, 0
	.set _ZN7rocprim17ROCPRIM_400000_NS6detail17trampoline_kernelINS0_14default_configENS1_25transform_config_selectorIiLb1EEEZNS1_14transform_implILb1ES3_S5_PKiPiNS0_8identityIiEEEE10hipError_tT2_T3_mT4_P12ihipStream_tbEUlT_E_NS1_11comp_targetILNS1_3genE9ELNS1_11target_archE1100ELNS1_3gpuE3ELNS1_3repE0EEENS1_30default_config_static_selectorELNS0_4arch9wavefront6targetE0EEEvT1_.uses_flat_scratch, 0
	.set _ZN7rocprim17ROCPRIM_400000_NS6detail17trampoline_kernelINS0_14default_configENS1_25transform_config_selectorIiLb1EEEZNS1_14transform_implILb1ES3_S5_PKiPiNS0_8identityIiEEEE10hipError_tT2_T3_mT4_P12ihipStream_tbEUlT_E_NS1_11comp_targetILNS1_3genE9ELNS1_11target_archE1100ELNS1_3gpuE3ELNS1_3repE0EEENS1_30default_config_static_selectorELNS0_4arch9wavefront6targetE0EEEvT1_.has_dyn_sized_stack, 0
	.set _ZN7rocprim17ROCPRIM_400000_NS6detail17trampoline_kernelINS0_14default_configENS1_25transform_config_selectorIiLb1EEEZNS1_14transform_implILb1ES3_S5_PKiPiNS0_8identityIiEEEE10hipError_tT2_T3_mT4_P12ihipStream_tbEUlT_E_NS1_11comp_targetILNS1_3genE9ELNS1_11target_archE1100ELNS1_3gpuE3ELNS1_3repE0EEENS1_30default_config_static_selectorELNS0_4arch9wavefront6targetE0EEEvT1_.has_recursion, 0
	.set _ZN7rocprim17ROCPRIM_400000_NS6detail17trampoline_kernelINS0_14default_configENS1_25transform_config_selectorIiLb1EEEZNS1_14transform_implILb1ES3_S5_PKiPiNS0_8identityIiEEEE10hipError_tT2_T3_mT4_P12ihipStream_tbEUlT_E_NS1_11comp_targetILNS1_3genE9ELNS1_11target_archE1100ELNS1_3gpuE3ELNS1_3repE0EEENS1_30default_config_static_selectorELNS0_4arch9wavefront6targetE0EEEvT1_.has_indirect_call, 0
	.section	.AMDGPU.csdata,"",@progbits
; Kernel info:
; codeLenInByte = 0
; TotalNumSgprs: 0
; NumVgprs: 0
; ScratchSize: 0
; MemoryBound: 0
; FloatMode: 240
; IeeeMode: 1
; LDSByteSize: 0 bytes/workgroup (compile time only)
; SGPRBlocks: 0
; VGPRBlocks: 0
; NumSGPRsForWavesPerEU: 1
; NumVGPRsForWavesPerEU: 1
; NamedBarCnt: 0
; Occupancy: 16
; WaveLimiterHint : 0
; COMPUTE_PGM_RSRC2:SCRATCH_EN: 0
; COMPUTE_PGM_RSRC2:USER_SGPR: 2
; COMPUTE_PGM_RSRC2:TRAP_HANDLER: 0
; COMPUTE_PGM_RSRC2:TGID_X_EN: 1
; COMPUTE_PGM_RSRC2:TGID_Y_EN: 0
; COMPUTE_PGM_RSRC2:TGID_Z_EN: 0
; COMPUTE_PGM_RSRC2:TIDIG_COMP_CNT: 0
	.section	.text._ZN7rocprim17ROCPRIM_400000_NS6detail17trampoline_kernelINS0_14default_configENS1_25transform_config_selectorIiLb1EEEZNS1_14transform_implILb1ES3_S5_PKiPiNS0_8identityIiEEEE10hipError_tT2_T3_mT4_P12ihipStream_tbEUlT_E_NS1_11comp_targetILNS1_3genE8ELNS1_11target_archE1030ELNS1_3gpuE2ELNS1_3repE0EEENS1_30default_config_static_selectorELNS0_4arch9wavefront6targetE0EEEvT1_,"axG",@progbits,_ZN7rocprim17ROCPRIM_400000_NS6detail17trampoline_kernelINS0_14default_configENS1_25transform_config_selectorIiLb1EEEZNS1_14transform_implILb1ES3_S5_PKiPiNS0_8identityIiEEEE10hipError_tT2_T3_mT4_P12ihipStream_tbEUlT_E_NS1_11comp_targetILNS1_3genE8ELNS1_11target_archE1030ELNS1_3gpuE2ELNS1_3repE0EEENS1_30default_config_static_selectorELNS0_4arch9wavefront6targetE0EEEvT1_,comdat
	.protected	_ZN7rocprim17ROCPRIM_400000_NS6detail17trampoline_kernelINS0_14default_configENS1_25transform_config_selectorIiLb1EEEZNS1_14transform_implILb1ES3_S5_PKiPiNS0_8identityIiEEEE10hipError_tT2_T3_mT4_P12ihipStream_tbEUlT_E_NS1_11comp_targetILNS1_3genE8ELNS1_11target_archE1030ELNS1_3gpuE2ELNS1_3repE0EEENS1_30default_config_static_selectorELNS0_4arch9wavefront6targetE0EEEvT1_ ; -- Begin function _ZN7rocprim17ROCPRIM_400000_NS6detail17trampoline_kernelINS0_14default_configENS1_25transform_config_selectorIiLb1EEEZNS1_14transform_implILb1ES3_S5_PKiPiNS0_8identityIiEEEE10hipError_tT2_T3_mT4_P12ihipStream_tbEUlT_E_NS1_11comp_targetILNS1_3genE8ELNS1_11target_archE1030ELNS1_3gpuE2ELNS1_3repE0EEENS1_30default_config_static_selectorELNS0_4arch9wavefront6targetE0EEEvT1_
	.globl	_ZN7rocprim17ROCPRIM_400000_NS6detail17trampoline_kernelINS0_14default_configENS1_25transform_config_selectorIiLb1EEEZNS1_14transform_implILb1ES3_S5_PKiPiNS0_8identityIiEEEE10hipError_tT2_T3_mT4_P12ihipStream_tbEUlT_E_NS1_11comp_targetILNS1_3genE8ELNS1_11target_archE1030ELNS1_3gpuE2ELNS1_3repE0EEENS1_30default_config_static_selectorELNS0_4arch9wavefront6targetE0EEEvT1_
	.p2align	8
	.type	_ZN7rocprim17ROCPRIM_400000_NS6detail17trampoline_kernelINS0_14default_configENS1_25transform_config_selectorIiLb1EEEZNS1_14transform_implILb1ES3_S5_PKiPiNS0_8identityIiEEEE10hipError_tT2_T3_mT4_P12ihipStream_tbEUlT_E_NS1_11comp_targetILNS1_3genE8ELNS1_11target_archE1030ELNS1_3gpuE2ELNS1_3repE0EEENS1_30default_config_static_selectorELNS0_4arch9wavefront6targetE0EEEvT1_,@function
_ZN7rocprim17ROCPRIM_400000_NS6detail17trampoline_kernelINS0_14default_configENS1_25transform_config_selectorIiLb1EEEZNS1_14transform_implILb1ES3_S5_PKiPiNS0_8identityIiEEEE10hipError_tT2_T3_mT4_P12ihipStream_tbEUlT_E_NS1_11comp_targetILNS1_3genE8ELNS1_11target_archE1030ELNS1_3gpuE2ELNS1_3repE0EEENS1_30default_config_static_selectorELNS0_4arch9wavefront6targetE0EEEvT1_: ; @_ZN7rocprim17ROCPRIM_400000_NS6detail17trampoline_kernelINS0_14default_configENS1_25transform_config_selectorIiLb1EEEZNS1_14transform_implILb1ES3_S5_PKiPiNS0_8identityIiEEEE10hipError_tT2_T3_mT4_P12ihipStream_tbEUlT_E_NS1_11comp_targetILNS1_3genE8ELNS1_11target_archE1030ELNS1_3gpuE2ELNS1_3repE0EEENS1_30default_config_static_selectorELNS0_4arch9wavefront6targetE0EEEvT1_
; %bb.0:
	.section	.rodata,"a",@progbits
	.p2align	6, 0x0
	.amdhsa_kernel _ZN7rocprim17ROCPRIM_400000_NS6detail17trampoline_kernelINS0_14default_configENS1_25transform_config_selectorIiLb1EEEZNS1_14transform_implILb1ES3_S5_PKiPiNS0_8identityIiEEEE10hipError_tT2_T3_mT4_P12ihipStream_tbEUlT_E_NS1_11comp_targetILNS1_3genE8ELNS1_11target_archE1030ELNS1_3gpuE2ELNS1_3repE0EEENS1_30default_config_static_selectorELNS0_4arch9wavefront6targetE0EEEvT1_
		.amdhsa_group_segment_fixed_size 0
		.amdhsa_private_segment_fixed_size 0
		.amdhsa_kernarg_size 40
		.amdhsa_user_sgpr_count 2
		.amdhsa_user_sgpr_dispatch_ptr 0
		.amdhsa_user_sgpr_queue_ptr 0
		.amdhsa_user_sgpr_kernarg_segment_ptr 1
		.amdhsa_user_sgpr_dispatch_id 0
		.amdhsa_user_sgpr_kernarg_preload_length 0
		.amdhsa_user_sgpr_kernarg_preload_offset 0
		.amdhsa_user_sgpr_private_segment_size 0
		.amdhsa_wavefront_size32 1
		.amdhsa_uses_dynamic_stack 0
		.amdhsa_enable_private_segment 0
		.amdhsa_system_sgpr_workgroup_id_x 1
		.amdhsa_system_sgpr_workgroup_id_y 0
		.amdhsa_system_sgpr_workgroup_id_z 0
		.amdhsa_system_sgpr_workgroup_info 0
		.amdhsa_system_vgpr_workitem_id 0
		.amdhsa_next_free_vgpr 1
		.amdhsa_next_free_sgpr 1
		.amdhsa_named_barrier_count 0
		.amdhsa_reserve_vcc 0
		.amdhsa_float_round_mode_32 0
		.amdhsa_float_round_mode_16_64 0
		.amdhsa_float_denorm_mode_32 3
		.amdhsa_float_denorm_mode_16_64 3
		.amdhsa_fp16_overflow 0
		.amdhsa_memory_ordered 1
		.amdhsa_forward_progress 1
		.amdhsa_inst_pref_size 0
		.amdhsa_round_robin_scheduling 0
		.amdhsa_exception_fp_ieee_invalid_op 0
		.amdhsa_exception_fp_denorm_src 0
		.amdhsa_exception_fp_ieee_div_zero 0
		.amdhsa_exception_fp_ieee_overflow 0
		.amdhsa_exception_fp_ieee_underflow 0
		.amdhsa_exception_fp_ieee_inexact 0
		.amdhsa_exception_int_div_zero 0
	.end_amdhsa_kernel
	.section	.text._ZN7rocprim17ROCPRIM_400000_NS6detail17trampoline_kernelINS0_14default_configENS1_25transform_config_selectorIiLb1EEEZNS1_14transform_implILb1ES3_S5_PKiPiNS0_8identityIiEEEE10hipError_tT2_T3_mT4_P12ihipStream_tbEUlT_E_NS1_11comp_targetILNS1_3genE8ELNS1_11target_archE1030ELNS1_3gpuE2ELNS1_3repE0EEENS1_30default_config_static_selectorELNS0_4arch9wavefront6targetE0EEEvT1_,"axG",@progbits,_ZN7rocprim17ROCPRIM_400000_NS6detail17trampoline_kernelINS0_14default_configENS1_25transform_config_selectorIiLb1EEEZNS1_14transform_implILb1ES3_S5_PKiPiNS0_8identityIiEEEE10hipError_tT2_T3_mT4_P12ihipStream_tbEUlT_E_NS1_11comp_targetILNS1_3genE8ELNS1_11target_archE1030ELNS1_3gpuE2ELNS1_3repE0EEENS1_30default_config_static_selectorELNS0_4arch9wavefront6targetE0EEEvT1_,comdat
.Lfunc_end848:
	.size	_ZN7rocprim17ROCPRIM_400000_NS6detail17trampoline_kernelINS0_14default_configENS1_25transform_config_selectorIiLb1EEEZNS1_14transform_implILb1ES3_S5_PKiPiNS0_8identityIiEEEE10hipError_tT2_T3_mT4_P12ihipStream_tbEUlT_E_NS1_11comp_targetILNS1_3genE8ELNS1_11target_archE1030ELNS1_3gpuE2ELNS1_3repE0EEENS1_30default_config_static_selectorELNS0_4arch9wavefront6targetE0EEEvT1_, .Lfunc_end848-_ZN7rocprim17ROCPRIM_400000_NS6detail17trampoline_kernelINS0_14default_configENS1_25transform_config_selectorIiLb1EEEZNS1_14transform_implILb1ES3_S5_PKiPiNS0_8identityIiEEEE10hipError_tT2_T3_mT4_P12ihipStream_tbEUlT_E_NS1_11comp_targetILNS1_3genE8ELNS1_11target_archE1030ELNS1_3gpuE2ELNS1_3repE0EEENS1_30default_config_static_selectorELNS0_4arch9wavefront6targetE0EEEvT1_
                                        ; -- End function
	.set _ZN7rocprim17ROCPRIM_400000_NS6detail17trampoline_kernelINS0_14default_configENS1_25transform_config_selectorIiLb1EEEZNS1_14transform_implILb1ES3_S5_PKiPiNS0_8identityIiEEEE10hipError_tT2_T3_mT4_P12ihipStream_tbEUlT_E_NS1_11comp_targetILNS1_3genE8ELNS1_11target_archE1030ELNS1_3gpuE2ELNS1_3repE0EEENS1_30default_config_static_selectorELNS0_4arch9wavefront6targetE0EEEvT1_.num_vgpr, 0
	.set _ZN7rocprim17ROCPRIM_400000_NS6detail17trampoline_kernelINS0_14default_configENS1_25transform_config_selectorIiLb1EEEZNS1_14transform_implILb1ES3_S5_PKiPiNS0_8identityIiEEEE10hipError_tT2_T3_mT4_P12ihipStream_tbEUlT_E_NS1_11comp_targetILNS1_3genE8ELNS1_11target_archE1030ELNS1_3gpuE2ELNS1_3repE0EEENS1_30default_config_static_selectorELNS0_4arch9wavefront6targetE0EEEvT1_.num_agpr, 0
	.set _ZN7rocprim17ROCPRIM_400000_NS6detail17trampoline_kernelINS0_14default_configENS1_25transform_config_selectorIiLb1EEEZNS1_14transform_implILb1ES3_S5_PKiPiNS0_8identityIiEEEE10hipError_tT2_T3_mT4_P12ihipStream_tbEUlT_E_NS1_11comp_targetILNS1_3genE8ELNS1_11target_archE1030ELNS1_3gpuE2ELNS1_3repE0EEENS1_30default_config_static_selectorELNS0_4arch9wavefront6targetE0EEEvT1_.numbered_sgpr, 0
	.set _ZN7rocprim17ROCPRIM_400000_NS6detail17trampoline_kernelINS0_14default_configENS1_25transform_config_selectorIiLb1EEEZNS1_14transform_implILb1ES3_S5_PKiPiNS0_8identityIiEEEE10hipError_tT2_T3_mT4_P12ihipStream_tbEUlT_E_NS1_11comp_targetILNS1_3genE8ELNS1_11target_archE1030ELNS1_3gpuE2ELNS1_3repE0EEENS1_30default_config_static_selectorELNS0_4arch9wavefront6targetE0EEEvT1_.num_named_barrier, 0
	.set _ZN7rocprim17ROCPRIM_400000_NS6detail17trampoline_kernelINS0_14default_configENS1_25transform_config_selectorIiLb1EEEZNS1_14transform_implILb1ES3_S5_PKiPiNS0_8identityIiEEEE10hipError_tT2_T3_mT4_P12ihipStream_tbEUlT_E_NS1_11comp_targetILNS1_3genE8ELNS1_11target_archE1030ELNS1_3gpuE2ELNS1_3repE0EEENS1_30default_config_static_selectorELNS0_4arch9wavefront6targetE0EEEvT1_.private_seg_size, 0
	.set _ZN7rocprim17ROCPRIM_400000_NS6detail17trampoline_kernelINS0_14default_configENS1_25transform_config_selectorIiLb1EEEZNS1_14transform_implILb1ES3_S5_PKiPiNS0_8identityIiEEEE10hipError_tT2_T3_mT4_P12ihipStream_tbEUlT_E_NS1_11comp_targetILNS1_3genE8ELNS1_11target_archE1030ELNS1_3gpuE2ELNS1_3repE0EEENS1_30default_config_static_selectorELNS0_4arch9wavefront6targetE0EEEvT1_.uses_vcc, 0
	.set _ZN7rocprim17ROCPRIM_400000_NS6detail17trampoline_kernelINS0_14default_configENS1_25transform_config_selectorIiLb1EEEZNS1_14transform_implILb1ES3_S5_PKiPiNS0_8identityIiEEEE10hipError_tT2_T3_mT4_P12ihipStream_tbEUlT_E_NS1_11comp_targetILNS1_3genE8ELNS1_11target_archE1030ELNS1_3gpuE2ELNS1_3repE0EEENS1_30default_config_static_selectorELNS0_4arch9wavefront6targetE0EEEvT1_.uses_flat_scratch, 0
	.set _ZN7rocprim17ROCPRIM_400000_NS6detail17trampoline_kernelINS0_14default_configENS1_25transform_config_selectorIiLb1EEEZNS1_14transform_implILb1ES3_S5_PKiPiNS0_8identityIiEEEE10hipError_tT2_T3_mT4_P12ihipStream_tbEUlT_E_NS1_11comp_targetILNS1_3genE8ELNS1_11target_archE1030ELNS1_3gpuE2ELNS1_3repE0EEENS1_30default_config_static_selectorELNS0_4arch9wavefront6targetE0EEEvT1_.has_dyn_sized_stack, 0
	.set _ZN7rocprim17ROCPRIM_400000_NS6detail17trampoline_kernelINS0_14default_configENS1_25transform_config_selectorIiLb1EEEZNS1_14transform_implILb1ES3_S5_PKiPiNS0_8identityIiEEEE10hipError_tT2_T3_mT4_P12ihipStream_tbEUlT_E_NS1_11comp_targetILNS1_3genE8ELNS1_11target_archE1030ELNS1_3gpuE2ELNS1_3repE0EEENS1_30default_config_static_selectorELNS0_4arch9wavefront6targetE0EEEvT1_.has_recursion, 0
	.set _ZN7rocprim17ROCPRIM_400000_NS6detail17trampoline_kernelINS0_14default_configENS1_25transform_config_selectorIiLb1EEEZNS1_14transform_implILb1ES3_S5_PKiPiNS0_8identityIiEEEE10hipError_tT2_T3_mT4_P12ihipStream_tbEUlT_E_NS1_11comp_targetILNS1_3genE8ELNS1_11target_archE1030ELNS1_3gpuE2ELNS1_3repE0EEENS1_30default_config_static_selectorELNS0_4arch9wavefront6targetE0EEEvT1_.has_indirect_call, 0
	.section	.AMDGPU.csdata,"",@progbits
; Kernel info:
; codeLenInByte = 0
; TotalNumSgprs: 0
; NumVgprs: 0
; ScratchSize: 0
; MemoryBound: 0
; FloatMode: 240
; IeeeMode: 1
; LDSByteSize: 0 bytes/workgroup (compile time only)
; SGPRBlocks: 0
; VGPRBlocks: 0
; NumSGPRsForWavesPerEU: 1
; NumVGPRsForWavesPerEU: 1
; NamedBarCnt: 0
; Occupancy: 16
; WaveLimiterHint : 0
; COMPUTE_PGM_RSRC2:SCRATCH_EN: 0
; COMPUTE_PGM_RSRC2:USER_SGPR: 2
; COMPUTE_PGM_RSRC2:TRAP_HANDLER: 0
; COMPUTE_PGM_RSRC2:TGID_X_EN: 1
; COMPUTE_PGM_RSRC2:TGID_Y_EN: 0
; COMPUTE_PGM_RSRC2:TGID_Z_EN: 0
; COMPUTE_PGM_RSRC2:TIDIG_COMP_CNT: 0
	.section	.text._ZN7rocprim17ROCPRIM_400000_NS6detail17trampoline_kernelINS0_14default_configENS1_35radix_sort_onesweep_config_selectorIiNS0_10empty_typeEEEZZNS1_29radix_sort_onesweep_iterationIS3_Lb1EPKiPiPS5_SB_mNS0_19identity_decomposerENS1_16block_id_wrapperIjLb1EEEEE10hipError_tT1_PNSt15iterator_traitsISG_E10value_typeET2_T3_PNSH_ISM_E10value_typeET4_T5_PSR_SS_PNS1_23onesweep_lookback_stateEbbT6_jjT7_P12ihipStream_tbENKUlT_T0_SG_SL_E_clIS9_SA_SB_SB_EEDaSZ_S10_SG_SL_EUlSZ_E_NS1_11comp_targetILNS1_3genE0ELNS1_11target_archE4294967295ELNS1_3gpuE0ELNS1_3repE0EEENS1_47radix_sort_onesweep_sort_config_static_selectorELNS0_4arch9wavefront6targetE0EEEvSG_,"axG",@progbits,_ZN7rocprim17ROCPRIM_400000_NS6detail17trampoline_kernelINS0_14default_configENS1_35radix_sort_onesweep_config_selectorIiNS0_10empty_typeEEEZZNS1_29radix_sort_onesweep_iterationIS3_Lb1EPKiPiPS5_SB_mNS0_19identity_decomposerENS1_16block_id_wrapperIjLb1EEEEE10hipError_tT1_PNSt15iterator_traitsISG_E10value_typeET2_T3_PNSH_ISM_E10value_typeET4_T5_PSR_SS_PNS1_23onesweep_lookback_stateEbbT6_jjT7_P12ihipStream_tbENKUlT_T0_SG_SL_E_clIS9_SA_SB_SB_EEDaSZ_S10_SG_SL_EUlSZ_E_NS1_11comp_targetILNS1_3genE0ELNS1_11target_archE4294967295ELNS1_3gpuE0ELNS1_3repE0EEENS1_47radix_sort_onesweep_sort_config_static_selectorELNS0_4arch9wavefront6targetE0EEEvSG_,comdat
	.protected	_ZN7rocprim17ROCPRIM_400000_NS6detail17trampoline_kernelINS0_14default_configENS1_35radix_sort_onesweep_config_selectorIiNS0_10empty_typeEEEZZNS1_29radix_sort_onesweep_iterationIS3_Lb1EPKiPiPS5_SB_mNS0_19identity_decomposerENS1_16block_id_wrapperIjLb1EEEEE10hipError_tT1_PNSt15iterator_traitsISG_E10value_typeET2_T3_PNSH_ISM_E10value_typeET4_T5_PSR_SS_PNS1_23onesweep_lookback_stateEbbT6_jjT7_P12ihipStream_tbENKUlT_T0_SG_SL_E_clIS9_SA_SB_SB_EEDaSZ_S10_SG_SL_EUlSZ_E_NS1_11comp_targetILNS1_3genE0ELNS1_11target_archE4294967295ELNS1_3gpuE0ELNS1_3repE0EEENS1_47radix_sort_onesweep_sort_config_static_selectorELNS0_4arch9wavefront6targetE0EEEvSG_ ; -- Begin function _ZN7rocprim17ROCPRIM_400000_NS6detail17trampoline_kernelINS0_14default_configENS1_35radix_sort_onesweep_config_selectorIiNS0_10empty_typeEEEZZNS1_29radix_sort_onesweep_iterationIS3_Lb1EPKiPiPS5_SB_mNS0_19identity_decomposerENS1_16block_id_wrapperIjLb1EEEEE10hipError_tT1_PNSt15iterator_traitsISG_E10value_typeET2_T3_PNSH_ISM_E10value_typeET4_T5_PSR_SS_PNS1_23onesweep_lookback_stateEbbT6_jjT7_P12ihipStream_tbENKUlT_T0_SG_SL_E_clIS9_SA_SB_SB_EEDaSZ_S10_SG_SL_EUlSZ_E_NS1_11comp_targetILNS1_3genE0ELNS1_11target_archE4294967295ELNS1_3gpuE0ELNS1_3repE0EEENS1_47radix_sort_onesweep_sort_config_static_selectorELNS0_4arch9wavefront6targetE0EEEvSG_
	.globl	_ZN7rocprim17ROCPRIM_400000_NS6detail17trampoline_kernelINS0_14default_configENS1_35radix_sort_onesweep_config_selectorIiNS0_10empty_typeEEEZZNS1_29radix_sort_onesweep_iterationIS3_Lb1EPKiPiPS5_SB_mNS0_19identity_decomposerENS1_16block_id_wrapperIjLb1EEEEE10hipError_tT1_PNSt15iterator_traitsISG_E10value_typeET2_T3_PNSH_ISM_E10value_typeET4_T5_PSR_SS_PNS1_23onesweep_lookback_stateEbbT6_jjT7_P12ihipStream_tbENKUlT_T0_SG_SL_E_clIS9_SA_SB_SB_EEDaSZ_S10_SG_SL_EUlSZ_E_NS1_11comp_targetILNS1_3genE0ELNS1_11target_archE4294967295ELNS1_3gpuE0ELNS1_3repE0EEENS1_47radix_sort_onesweep_sort_config_static_selectorELNS0_4arch9wavefront6targetE0EEEvSG_
	.p2align	8
	.type	_ZN7rocprim17ROCPRIM_400000_NS6detail17trampoline_kernelINS0_14default_configENS1_35radix_sort_onesweep_config_selectorIiNS0_10empty_typeEEEZZNS1_29radix_sort_onesweep_iterationIS3_Lb1EPKiPiPS5_SB_mNS0_19identity_decomposerENS1_16block_id_wrapperIjLb1EEEEE10hipError_tT1_PNSt15iterator_traitsISG_E10value_typeET2_T3_PNSH_ISM_E10value_typeET4_T5_PSR_SS_PNS1_23onesweep_lookback_stateEbbT6_jjT7_P12ihipStream_tbENKUlT_T0_SG_SL_E_clIS9_SA_SB_SB_EEDaSZ_S10_SG_SL_EUlSZ_E_NS1_11comp_targetILNS1_3genE0ELNS1_11target_archE4294967295ELNS1_3gpuE0ELNS1_3repE0EEENS1_47radix_sort_onesweep_sort_config_static_selectorELNS0_4arch9wavefront6targetE0EEEvSG_,@function
_ZN7rocprim17ROCPRIM_400000_NS6detail17trampoline_kernelINS0_14default_configENS1_35radix_sort_onesweep_config_selectorIiNS0_10empty_typeEEEZZNS1_29radix_sort_onesweep_iterationIS3_Lb1EPKiPiPS5_SB_mNS0_19identity_decomposerENS1_16block_id_wrapperIjLb1EEEEE10hipError_tT1_PNSt15iterator_traitsISG_E10value_typeET2_T3_PNSH_ISM_E10value_typeET4_T5_PSR_SS_PNS1_23onesweep_lookback_stateEbbT6_jjT7_P12ihipStream_tbENKUlT_T0_SG_SL_E_clIS9_SA_SB_SB_EEDaSZ_S10_SG_SL_EUlSZ_E_NS1_11comp_targetILNS1_3genE0ELNS1_11target_archE4294967295ELNS1_3gpuE0ELNS1_3repE0EEENS1_47radix_sort_onesweep_sort_config_static_selectorELNS0_4arch9wavefront6targetE0EEEvSG_: ; @_ZN7rocprim17ROCPRIM_400000_NS6detail17trampoline_kernelINS0_14default_configENS1_35radix_sort_onesweep_config_selectorIiNS0_10empty_typeEEEZZNS1_29radix_sort_onesweep_iterationIS3_Lb1EPKiPiPS5_SB_mNS0_19identity_decomposerENS1_16block_id_wrapperIjLb1EEEEE10hipError_tT1_PNSt15iterator_traitsISG_E10value_typeET2_T3_PNSH_ISM_E10value_typeET4_T5_PSR_SS_PNS1_23onesweep_lookback_stateEbbT6_jjT7_P12ihipStream_tbENKUlT_T0_SG_SL_E_clIS9_SA_SB_SB_EEDaSZ_S10_SG_SL_EUlSZ_E_NS1_11comp_targetILNS1_3genE0ELNS1_11target_archE4294967295ELNS1_3gpuE0ELNS1_3repE0EEENS1_47radix_sort_onesweep_sort_config_static_selectorELNS0_4arch9wavefront6targetE0EEEvSG_
; %bb.0:
	s_clause 0x1
	s_load_b128 s[8:11], s[0:1], 0x28
	s_load_b64 s[20:21], s[0:1], 0x38
	v_and_b32_e32 v14, 0x3ff, v0
	s_delay_alu instid0(VALU_DEP_1)
	v_cmp_eq_u32_e64 s2, 0, v14
	s_and_saveexec_b32 s3, s2
	s_cbranch_execz .LBB849_4
; %bb.1:
	s_mov_b32 s5, exec_lo
	s_mov_b32 s4, exec_lo
	v_mbcnt_lo_u32_b32 v1, s5, 0
                                        ; implicit-def: $vgpr2
	s_delay_alu instid0(VALU_DEP_1)
	v_cmpx_eq_u32_e32 0, v1
	s_cbranch_execz .LBB849_3
; %bb.2:
	s_load_b64 s[6:7], s[0:1], 0x50
	s_bcnt1_i32_b32 s5, s5
	s_delay_alu instid0(SALU_CYCLE_1)
	v_dual_mov_b32 v2, 0 :: v_dual_mov_b32 v3, s5
	s_wait_xcnt 0x0
	s_wait_kmcnt 0x0
	global_atomic_add_u32 v2, v2, v3, s[6:7] th:TH_ATOMIC_RETURN scope:SCOPE_DEV
.LBB849_3:
	s_wait_xcnt 0x0
	s_or_b32 exec_lo, exec_lo, s4
	s_wait_loadcnt 0x0
	v_readfirstlane_b32 s4, v2
	s_delay_alu instid0(VALU_DEP_1)
	v_dual_mov_b32 v2, 0 :: v_dual_add_nc_u32 v1, s4, v1
	ds_store_b32 v2, v1 offset:18496
.LBB849_4:
	s_or_b32 exec_lo, exec_lo, s3
	v_mov_b32_e32 v3, 0
	s_clause 0x2
	s_load_b128 s[12:15], s[0:1], 0x0
	s_load_b32 s3, s[0:1], 0x20
	s_load_b96 s[16:18], s[0:1], 0x44
	s_wait_dscnt 0x0
	s_barrier_signal -1
	s_barrier_wait -1
	ds_load_b32 v1, v3 offset:18496
	v_mbcnt_lo_u32_b32 v15, -1, 0
	v_and_b32_e32 v16, 0x3e0, v14
	s_mov_b32 s4, -1
	s_add_nc_u64 s[24:25], s[0:1], 0x58
	s_getreg_b32 s7, hwreg(HW_REG_IB_STS2, 6, 4)
	s_wait_dscnt 0x0
	s_barrier_signal -1
	s_barrier_wait -1
	s_wait_kmcnt 0x0
	v_cmp_le_u32_e32 vcc_lo, s18, v1
	v_readfirstlane_b32 s19, v1
	s_mul_i32 s22, s19, 0x1800
	s_cbranch_vccz .LBB849_94
; %bb.5:
	s_mov_b32 s23, 0
	v_mul_u32_u24_e32 v1, 12, v16
	v_lshlrev_b32_e32 v2, 2, v15
	s_lshl_b64 s[4:5], s[22:23], 2
	v_mov_b32_e32 v17, -1
	s_add_nc_u64 s[4:5], s[12:13], s[4:5]
	v_or_b32_e32 v4, v15, v1
	v_add_nc_u64_e32 v[6:7], s[4:5], v[2:3]
	v_dual_mov_b32 v1, -1 :: v_dual_lshlrev_b32 v2, 2, v1
	s_mulk_i32 s18, 0xe800
	s_delay_alu instid0(SALU_CYCLE_1) | instskip(SKIP_1) | instid1(VALU_DEP_1)
	s_add_co_i32 s18, s18, s3
	s_mov_b32 s3, exec_lo
	v_add_nc_u64_e32 v[2:3], v[6:7], v[2:3]
	v_cmpx_gt_u32_e64 s18, v4
	s_cbranch_execz .LBB849_7
; %bb.6:
	global_load_b32 v5, v[2:3], off
	s_wait_loadcnt 0x0
	v_xor_b32_e32 v17, 0x7fffffff, v5
.LBB849_7:
	s_or_b32 exec_lo, exec_lo, s3
	v_or_b32_e32 v5, 32, v4
	s_mov_b32 s3, exec_lo
	s_delay_alu instid0(VALU_DEP_1)
	v_cmpx_gt_u32_e64 s18, v5
	s_cbranch_execz .LBB849_9
; %bb.8:
	global_load_b32 v1, v[2:3], off offset:128
	s_wait_loadcnt 0x0
	v_xor_b32_e32 v1, 0x7fffffff, v1
.LBB849_9:
	s_or_b32 exec_lo, exec_lo, s3
	v_dual_mov_b32 v18, -1 :: v_dual_bitop2_b32 v5, 64, v4 bitop3:0x54
	v_mov_b32_e32 v19, -1
	s_mov_b32 s3, exec_lo
	s_delay_alu instid0(VALU_DEP_2)
	v_cmpx_gt_u32_e64 s18, v5
	s_cbranch_execz .LBB849_11
; %bb.10:
	global_load_b32 v5, v[2:3], off offset:256
	s_wait_loadcnt 0x0
	v_xor_b32_e32 v19, 0x7fffffff, v5
.LBB849_11:
	s_or_b32 exec_lo, exec_lo, s3
	v_or_b32_e32 v5, 0x60, v4
	s_mov_b32 s3, exec_lo
	s_delay_alu instid0(VALU_DEP_1)
	v_cmpx_gt_u32_e64 s18, v5
	s_cbranch_execz .LBB849_13
; %bb.12:
	global_load_b32 v5, v[2:3], off offset:384
	s_wait_loadcnt 0x0
	v_xor_b32_e32 v18, 0x7fffffff, v5
.LBB849_13:
	s_or_b32 exec_lo, exec_lo, s3
	v_dual_mov_b32 v20, -1 :: v_dual_add_nc_u32 v5, 0x80, v4
	v_mov_b32_e32 v21, -1
	s_mov_b32 s3, exec_lo
	s_delay_alu instid0(VALU_DEP_2)
	v_cmpx_gt_u32_e64 s18, v5
	s_cbranch_execz .LBB849_15
; %bb.14:
	global_load_b32 v5, v[2:3], off offset:512
	s_wait_loadcnt 0x0
	v_xor_b32_e32 v21, 0x7fffffff, v5
.LBB849_15:
	s_or_b32 exec_lo, exec_lo, s3
	v_add_nc_u32_e32 v5, 0xa0, v4
	s_mov_b32 s3, exec_lo
	s_delay_alu instid0(VALU_DEP_1)
	v_cmpx_gt_u32_e64 s18, v5
	s_cbranch_execz .LBB849_17
; %bb.16:
	global_load_b32 v5, v[2:3], off offset:640
	s_wait_loadcnt 0x0
	v_xor_b32_e32 v20, 0x7fffffff, v5
.LBB849_17:
	s_or_b32 exec_lo, exec_lo, s3
	v_dual_mov_b32 v22, -1 :: v_dual_add_nc_u32 v5, 0xc0, v4
	v_mov_b32_e32 v23, -1
	s_mov_b32 s3, exec_lo
	s_delay_alu instid0(VALU_DEP_2)
	v_cmpx_gt_u32_e64 s18, v5
	s_cbranch_execz .LBB849_19
; %bb.18:
	global_load_b32 v5, v[2:3], off offset:768
	s_wait_loadcnt 0x0
	v_xor_b32_e32 v23, 0x7fffffff, v5
.LBB849_19:
	s_or_b32 exec_lo, exec_lo, s3
	v_add_nc_u32_e32 v5, 0xe0, v4
	;; [unrolled: 23-line block ×4, first 2 shown]
	s_mov_b32 s3, exec_lo
	s_delay_alu instid0(VALU_DEP_1)
	v_cmpx_gt_u32_e64 s18, v4
	s_cbranch_execz .LBB849_29
; %bb.28:
	global_load_b32 v2, v[2:3], off offset:1408
	s_wait_loadcnt 0x0
	v_xor_b32_e32 v26, 0x7fffffff, v2
.LBB849_29:
	s_or_b32 exec_lo, exec_lo, s3
	s_clause 0x1
	s_load_b32 s23, s[0:1], 0x58
	s_load_u16 s3, s[0:1], 0x66
	s_bfe_u32 s4, ttmp6, 0x4000c
	s_and_b32 s5, ttmp6, 15
	s_add_co_i32 s4, s4, 1
	v_bfe_u32 v2, v0, 10, 10
	s_mul_i32 s4, ttmp9, s4
	v_bfe_u32 v3, v0, 20, 10
	s_add_co_i32 s5, s5, s4
	s_cmp_eq_u32 s7, 0
	v_lshrrev_b32_e32 v4, s16, v17
	s_cselect_b32 s4, ttmp9, s5
	s_mov_b32 s5, 0
	s_wait_kmcnt 0x0
	s_cmp_lt_u32 s4, s23
	v_mad_u32_u24 v2, v3, s3, v2
	s_cselect_b32 s4, 12, 18
	s_lshl_b32 s26, -1, s17
	s_add_nc_u64 s[4:5], s[24:25], s[4:5]
	v_bitop3_b32 v3, v4, 1, s26 bitop3:0x40
	s_load_u16 s27, s[4:5], 0x0
	s_delay_alu instid0(VALU_DEP_1) | instskip(NEXT) | instid1(VALU_DEP_1)
	v_add_co_u32 v3, s3, v3, -1
	v_cndmask_b32_e64 v5, 0, 1, s3
	s_delay_alu instid0(VALU_DEP_1) | instskip(NEXT) | instid1(VALU_DEP_3)
	v_cmp_ne_u32_e32 vcc_lo, 0, v5
	v_xor_b32_e32 v3, vcc_lo, v3
	v_bitop3_b32 v4, v4, s26, v4 bitop3:0x30
	s_not_b32 s26, s26
	s_wait_kmcnt 0x0
	v_mad_u32 v2, v2, s27, v14
	s_delay_alu instid0(VALU_DEP_2) | instskip(SKIP_2) | instid1(VALU_DEP_3)
	v_dual_lshlrev_b32 v6, 30, v4 :: v_dual_lshlrev_b32 v7, 29, v4
	v_dual_lshlrev_b32 v8, 28, v4 :: v_dual_lshlrev_b32 v9, 27, v4
	;; [unrolled: 1-line block ×3, first 2 shown]
	v_not_b32_e32 v5, v6
	v_lshlrev_b32_e32 v12, 24, v4
	v_cmp_gt_i32_e64 s3, 0, v6
	v_cmp_gt_i32_e64 s4, 0, v7
	v_not_b32_e32 v6, v7
	v_not_b32_e32 v7, v8
	v_ashrrev_i32_e32 v5, 31, v5
	v_cmp_gt_i32_e64 s5, 0, v8
	v_cmp_gt_i32_e64 s6, 0, v9
	s_delay_alu instid0(VALU_DEP_4) | instskip(NEXT) | instid1(VALU_DEP_4)
	v_dual_ashrrev_i32 v6, 31, v6 :: v_dual_ashrrev_i32 v7, 31, v7
	v_xor_b32_e32 v5, s3, v5
	v_not_b32_e32 v8, v9
	v_not_b32_e32 v9, v10
	s_delay_alu instid0(VALU_DEP_4)
	v_xor_b32_e32 v6, s4, v6
	v_xor_b32_e32 v7, s5, v7
	v_bitop3_b32 v3, v3, v5, exec_lo bitop3:0x80
	v_cmp_gt_i32_e32 vcc_lo, 0, v10
	v_dual_ashrrev_i32 v5, 31, v8 :: v_dual_ashrrev_i32 v8, 31, v9
	v_not_b32_e32 v9, v11
	s_delay_alu instid0(VALU_DEP_4) | instskip(SKIP_1) | instid1(VALU_DEP_4)
	v_bitop3_b32 v3, v3, v7, v6 bitop3:0x80
	v_not_b32_e32 v6, v12
	v_dual_lshrrev_b32 v2, 5, v2 :: v_dual_bitop2_b32 v5, s6, v5 bitop3:0x14
	s_delay_alu instid0(VALU_DEP_4) | instskip(SKIP_3) | instid1(VALU_DEP_4)
	v_dual_ashrrev_i32 v8, 31, v9 :: v_dual_bitop2_b32 v7, vcc_lo, v8 bitop3:0x14
	v_cmp_gt_i32_e32 vcc_lo, 0, v11
	v_cmp_gt_i32_e64 s3, 0, v12
	v_ashrrev_i32_e32 v6, 31, v6
	v_bitop3_b32 v3, v3, v7, v5 bitop3:0x80
	v_dual_mov_b32 v7, 0 :: v_dual_bitop2_b32 v5, vcc_lo, v8 bitop3:0x14
	v_lshlrev_b32_e32 v2, 2, v2
	s_delay_alu instid0(VALU_DEP_4)
	v_xor_b32_e32 v6, s3, v6
	v_mul_u32_u24_e32 v10, 36, v14
	ds_store_2addr_b32 v10, v7, v7 offset0:16 offset1:17
	ds_store_2addr_b32 v10, v7, v7 offset0:18 offset1:19
	;; [unrolled: 1-line block ×4, first 2 shown]
	v_bitop3_b32 v3, v3, v6, v5 bitop3:0x80
	v_mad_u32 v11, 0x44, v4, v2
	ds_store_b32 v10, v7 offset:96
	s_wait_dscnt 0x0
	s_barrier_signal -1
	v_mbcnt_lo_u32_b32 v28, v3, 0
	v_cmp_ne_u32_e64 s3, 0, v3
	s_barrier_wait -1
	s_delay_alu instid0(VALU_DEP_2) | instskip(SKIP_1) | instid1(SALU_CYCLE_1)
	v_cmp_eq_u32_e32 vcc_lo, 0, v28
	; wave barrier
	s_and_b32 s4, s3, vcc_lo
	s_and_saveexec_b32 s3, s4
; %bb.30:
	v_bcnt_u32_b32 v3, v3, 0
	ds_store_b32 v11, v3 offset:64
; %bb.31:
	s_or_b32 exec_lo, exec_lo, s3
	v_lshrrev_b32_e32 v3, s16, v1
	; wave barrier
	s_delay_alu instid0(VALU_DEP_1) | instskip(NEXT) | instid1(VALU_DEP_1)
	v_and_b32_e32 v4, s26, v3
	v_lshlrev_b32_e32 v6, 30, v4
	v_bitop3_b32 v3, v3, 1, s26 bitop3:0x80
	s_delay_alu instid0(VALU_DEP_1) | instskip(NEXT) | instid1(VALU_DEP_1)
	v_add_co_u32 v3, s3, v3, -1
	v_cndmask_b32_e64 v5, 0, 1, s3
	s_delay_alu instid0(VALU_DEP_4) | instskip(NEXT) | instid1(VALU_DEP_2)
	v_cmp_gt_i32_e64 s3, 0, v6
	v_cmp_ne_u32_e32 vcc_lo, 0, v5
	v_not_b32_e32 v5, v6
	s_delay_alu instid0(VALU_DEP_1) | instskip(SKIP_3) | instid1(VALU_DEP_4)
	v_dual_ashrrev_i32 v5, 31, v5 :: v_dual_lshlrev_b32 v7, 29, v4
	v_dual_lshlrev_b32 v8, 28, v4 :: v_dual_lshlrev_b32 v9, 27, v4
	v_lshlrev_b32_e32 v13, 26, v4
	v_mad_u32 v12, 0x44, v4, v2
	v_cmp_gt_i32_e64 s4, 0, v7
	v_not_b32_e32 v6, v7
	v_not_b32_e32 v7, v8
	v_cmp_gt_i32_e64 s5, 0, v8
	v_xor_b32_e32 v3, vcc_lo, v3
	s_delay_alu instid0(VALU_DEP_4) | instskip(NEXT) | instid1(VALU_DEP_4)
	v_dual_ashrrev_i32 v6, 31, v6 :: v_dual_bitop2_b32 v5, s3, v5 bitop3:0x14
	v_dual_ashrrev_i32 v7, 31, v7 :: v_dual_lshlrev_b32 v29, 25, v4
	v_lshlrev_b32_e32 v4, 24, v4
	v_not_b32_e32 v8, v9
	v_not_b32_e32 v30, v13
	v_xor_b32_e32 v6, s4, v6
	v_xor_b32_e32 v7, s5, v7
	v_bitop3_b32 v3, v3, v5, exec_lo bitop3:0x80
	v_cmp_gt_i32_e32 vcc_lo, 0, v9
	v_ashrrev_i32_e32 v5, 31, v8
	v_cmp_gt_i32_e64 s3, 0, v13
	v_ashrrev_i32_e32 v8, 31, v30
	v_bitop3_b32 v3, v3, v7, v6 bitop3:0x80
	v_not_b32_e32 v6, v29
	v_not_b32_e32 v7, v4
	v_xor_b32_e32 v5, vcc_lo, v5
	v_xor_b32_e32 v8, s3, v8
	v_cmp_gt_i32_e32 vcc_lo, 0, v29
	v_ashrrev_i32_e32 v6, 31, v6
	v_cmp_gt_i32_e64 s3, 0, v4
	v_ashrrev_i32_e32 v4, 31, v7
	v_bitop3_b32 v3, v3, v8, v5 bitop3:0x80
	ds_load_b32 v29, v12 offset:64
	v_xor_b32_e32 v5, vcc_lo, v6
	v_xor_b32_e32 v4, s3, v4
	; wave barrier
	s_delay_alu instid0(VALU_DEP_1) | instskip(NEXT) | instid1(VALU_DEP_1)
	v_bitop3_b32 v3, v3, v4, v5 bitop3:0x80
	v_mbcnt_lo_u32_b32 v30, v3, 0
	v_cmp_ne_u32_e64 s3, 0, v3
	s_delay_alu instid0(VALU_DEP_2) | instskip(SKIP_1) | instid1(SALU_CYCLE_1)
	v_cmp_eq_u32_e32 vcc_lo, 0, v30
	s_and_b32 s4, s3, vcc_lo
	s_and_saveexec_b32 s3, s4
	s_cbranch_execz .LBB849_33
; %bb.32:
	s_wait_dscnt 0x0
	v_bcnt_u32_b32 v3, v3, v29
	ds_store_b32 v12, v3 offset:64
.LBB849_33:
	s_or_b32 exec_lo, exec_lo, s3
	v_lshrrev_b32_e32 v3, s16, v19
	; wave barrier
	s_delay_alu instid0(VALU_DEP_1) | instskip(NEXT) | instid1(VALU_DEP_1)
	v_and_b32_e32 v4, s26, v3
	v_lshlrev_b32_e32 v6, 30, v4
	v_bitop3_b32 v3, v3, 1, s26 bitop3:0x80
	s_delay_alu instid0(VALU_DEP_1) | instskip(NEXT) | instid1(VALU_DEP_1)
	v_add_co_u32 v3, s3, v3, -1
	v_cndmask_b32_e64 v5, 0, 1, s3
	s_delay_alu instid0(VALU_DEP_4) | instskip(NEXT) | instid1(VALU_DEP_2)
	v_cmp_gt_i32_e64 s3, 0, v6
	v_cmp_ne_u32_e32 vcc_lo, 0, v5
	v_not_b32_e32 v5, v6
	s_delay_alu instid0(VALU_DEP_1) | instskip(SKIP_3) | instid1(VALU_DEP_4)
	v_dual_ashrrev_i32 v5, 31, v5 :: v_dual_lshlrev_b32 v7, 29, v4
	v_dual_lshlrev_b32 v8, 28, v4 :: v_dual_lshlrev_b32 v9, 27, v4
	v_lshlrev_b32_e32 v31, 26, v4
	v_mad_u32 v13, 0x44, v4, v2
	v_cmp_gt_i32_e64 s4, 0, v7
	v_not_b32_e32 v6, v7
	v_not_b32_e32 v7, v8
	v_cmp_gt_i32_e64 s5, 0, v8
	v_xor_b32_e32 v3, vcc_lo, v3
	s_delay_alu instid0(VALU_DEP_4) | instskip(NEXT) | instid1(VALU_DEP_4)
	v_dual_ashrrev_i32 v6, 31, v6 :: v_dual_bitop2_b32 v5, s3, v5 bitop3:0x14
	v_dual_ashrrev_i32 v7, 31, v7 :: v_dual_lshlrev_b32 v32, 25, v4
	v_lshlrev_b32_e32 v4, 24, v4
	v_not_b32_e32 v8, v9
	v_not_b32_e32 v33, v31
	v_xor_b32_e32 v6, s4, v6
	v_xor_b32_e32 v7, s5, v7
	v_bitop3_b32 v3, v3, v5, exec_lo bitop3:0x80
	v_cmp_gt_i32_e32 vcc_lo, 0, v9
	v_ashrrev_i32_e32 v5, 31, v8
	v_cmp_gt_i32_e64 s3, 0, v31
	v_ashrrev_i32_e32 v8, 31, v33
	v_bitop3_b32 v3, v3, v7, v6 bitop3:0x80
	v_not_b32_e32 v6, v32
	v_not_b32_e32 v7, v4
	v_xor_b32_e32 v5, vcc_lo, v5
	v_xor_b32_e32 v8, s3, v8
	v_cmp_gt_i32_e32 vcc_lo, 0, v32
	v_ashrrev_i32_e32 v6, 31, v6
	v_cmp_gt_i32_e64 s3, 0, v4
	v_ashrrev_i32_e32 v4, 31, v7
	v_bitop3_b32 v3, v3, v8, v5 bitop3:0x80
	ds_load_b32 v31, v13 offset:64
	v_xor_b32_e32 v5, vcc_lo, v6
	v_xor_b32_e32 v4, s3, v4
	; wave barrier
	s_delay_alu instid0(VALU_DEP_1) | instskip(NEXT) | instid1(VALU_DEP_1)
	v_bitop3_b32 v3, v3, v4, v5 bitop3:0x80
	v_mbcnt_lo_u32_b32 v32, v3, 0
	v_cmp_ne_u32_e64 s3, 0, v3
	s_delay_alu instid0(VALU_DEP_2) | instskip(SKIP_1) | instid1(SALU_CYCLE_1)
	v_cmp_eq_u32_e32 vcc_lo, 0, v32
	s_and_b32 s4, s3, vcc_lo
	s_and_saveexec_b32 s3, s4
	s_cbranch_execz .LBB849_35
; %bb.34:
	s_wait_dscnt 0x0
	v_bcnt_u32_b32 v3, v3, v31
	ds_store_b32 v13, v3 offset:64
.LBB849_35:
	s_or_b32 exec_lo, exec_lo, s3
	v_lshrrev_b32_e32 v3, s16, v18
	; wave barrier
	s_delay_alu instid0(VALU_DEP_1) | instskip(NEXT) | instid1(VALU_DEP_1)
	v_and_b32_e32 v4, s26, v3
	v_lshlrev_b32_e32 v6, 30, v4
	v_bitop3_b32 v3, v3, 1, s26 bitop3:0x80
	s_delay_alu instid0(VALU_DEP_1) | instskip(NEXT) | instid1(VALU_DEP_1)
	v_add_co_u32 v3, s3, v3, -1
	v_cndmask_b32_e64 v5, 0, 1, s3
	s_delay_alu instid0(VALU_DEP_4) | instskip(NEXT) | instid1(VALU_DEP_2)
	v_cmp_gt_i32_e64 s3, 0, v6
	v_cmp_ne_u32_e32 vcc_lo, 0, v5
	v_not_b32_e32 v5, v6
	s_delay_alu instid0(VALU_DEP_1) | instskip(SKIP_3) | instid1(VALU_DEP_4)
	v_dual_ashrrev_i32 v5, 31, v5 :: v_dual_lshlrev_b32 v7, 29, v4
	v_dual_lshlrev_b32 v8, 28, v4 :: v_dual_lshlrev_b32 v9, 27, v4
	v_lshlrev_b32_e32 v33, 26, v4
	v_mad_u32 v37, 0x44, v4, v2
	v_cmp_gt_i32_e64 s4, 0, v7
	v_not_b32_e32 v6, v7
	v_not_b32_e32 v7, v8
	v_cmp_gt_i32_e64 s5, 0, v8
	v_xor_b32_e32 v3, vcc_lo, v3
	s_delay_alu instid0(VALU_DEP_4) | instskip(NEXT) | instid1(VALU_DEP_4)
	v_dual_ashrrev_i32 v6, 31, v6 :: v_dual_bitop2_b32 v5, s3, v5 bitop3:0x14
	v_dual_ashrrev_i32 v7, 31, v7 :: v_dual_lshlrev_b32 v34, 25, v4
	v_lshlrev_b32_e32 v4, 24, v4
	v_not_b32_e32 v8, v9
	v_not_b32_e32 v35, v33
	v_xor_b32_e32 v6, s4, v6
	v_xor_b32_e32 v7, s5, v7
	v_bitop3_b32 v3, v3, v5, exec_lo bitop3:0x80
	v_cmp_gt_i32_e32 vcc_lo, 0, v9
	v_ashrrev_i32_e32 v5, 31, v8
	v_cmp_gt_i32_e64 s3, 0, v33
	v_ashrrev_i32_e32 v8, 31, v35
	v_bitop3_b32 v3, v3, v7, v6 bitop3:0x80
	v_not_b32_e32 v6, v34
	v_not_b32_e32 v7, v4
	v_xor_b32_e32 v5, vcc_lo, v5
	v_xor_b32_e32 v8, s3, v8
	v_cmp_gt_i32_e32 vcc_lo, 0, v34
	v_ashrrev_i32_e32 v6, 31, v6
	v_cmp_gt_i32_e64 s3, 0, v4
	v_ashrrev_i32_e32 v4, 31, v7
	v_bitop3_b32 v3, v3, v8, v5 bitop3:0x80
	ds_load_b32 v33, v37 offset:64
	v_xor_b32_e32 v5, vcc_lo, v6
	v_xor_b32_e32 v4, s3, v4
	; wave barrier
	s_delay_alu instid0(VALU_DEP_1) | instskip(NEXT) | instid1(VALU_DEP_1)
	v_bitop3_b32 v3, v3, v4, v5 bitop3:0x80
	v_mbcnt_lo_u32_b32 v34, v3, 0
	v_cmp_ne_u32_e64 s3, 0, v3
	s_delay_alu instid0(VALU_DEP_2) | instskip(SKIP_1) | instid1(SALU_CYCLE_1)
	v_cmp_eq_u32_e32 vcc_lo, 0, v34
	s_and_b32 s4, s3, vcc_lo
	s_and_saveexec_b32 s3, s4
	s_cbranch_execz .LBB849_37
; %bb.36:
	s_wait_dscnt 0x0
	v_bcnt_u32_b32 v3, v3, v33
	ds_store_b32 v37, v3 offset:64
.LBB849_37:
	s_or_b32 exec_lo, exec_lo, s3
	v_lshrrev_b32_e32 v3, s16, v21
	; wave barrier
	s_delay_alu instid0(VALU_DEP_1) | instskip(NEXT) | instid1(VALU_DEP_1)
	v_and_b32_e32 v4, s26, v3
	v_lshlrev_b32_e32 v6, 30, v4
	v_bitop3_b32 v3, v3, 1, s26 bitop3:0x80
	s_delay_alu instid0(VALU_DEP_1) | instskip(NEXT) | instid1(VALU_DEP_1)
	v_add_co_u32 v3, s3, v3, -1
	v_cndmask_b32_e64 v5, 0, 1, s3
	s_delay_alu instid0(VALU_DEP_4) | instskip(NEXT) | instid1(VALU_DEP_2)
	v_cmp_gt_i32_e64 s3, 0, v6
	v_cmp_ne_u32_e32 vcc_lo, 0, v5
	v_not_b32_e32 v5, v6
	s_delay_alu instid0(VALU_DEP_1) | instskip(SKIP_3) | instid1(VALU_DEP_4)
	v_dual_ashrrev_i32 v5, 31, v5 :: v_dual_lshlrev_b32 v7, 29, v4
	v_dual_lshlrev_b32 v8, 28, v4 :: v_dual_lshlrev_b32 v9, 27, v4
	v_lshlrev_b32_e32 v35, 26, v4
	v_mad_u32 v40, 0x44, v4, v2
	v_cmp_gt_i32_e64 s4, 0, v7
	v_not_b32_e32 v6, v7
	v_not_b32_e32 v7, v8
	v_cmp_gt_i32_e64 s5, 0, v8
	v_xor_b32_e32 v3, vcc_lo, v3
	s_delay_alu instid0(VALU_DEP_4) | instskip(NEXT) | instid1(VALU_DEP_4)
	v_dual_ashrrev_i32 v6, 31, v6 :: v_dual_bitop2_b32 v5, s3, v5 bitop3:0x14
	v_dual_ashrrev_i32 v7, 31, v7 :: v_dual_lshlrev_b32 v36, 25, v4
	v_lshlrev_b32_e32 v4, 24, v4
	v_not_b32_e32 v8, v9
	v_not_b32_e32 v38, v35
	v_xor_b32_e32 v6, s4, v6
	v_xor_b32_e32 v7, s5, v7
	v_bitop3_b32 v3, v3, v5, exec_lo bitop3:0x80
	v_cmp_gt_i32_e32 vcc_lo, 0, v9
	v_ashrrev_i32_e32 v5, 31, v8
	v_cmp_gt_i32_e64 s3, 0, v35
	v_ashrrev_i32_e32 v8, 31, v38
	v_bitop3_b32 v3, v3, v7, v6 bitop3:0x80
	v_not_b32_e32 v6, v36
	v_not_b32_e32 v7, v4
	v_xor_b32_e32 v5, vcc_lo, v5
	v_xor_b32_e32 v8, s3, v8
	v_cmp_gt_i32_e32 vcc_lo, 0, v36
	v_ashrrev_i32_e32 v6, 31, v6
	v_cmp_gt_i32_e64 s3, 0, v4
	v_ashrrev_i32_e32 v4, 31, v7
	v_bitop3_b32 v3, v3, v8, v5 bitop3:0x80
	ds_load_b32 v35, v40 offset:64
	v_xor_b32_e32 v5, vcc_lo, v6
	v_xor_b32_e32 v4, s3, v4
	; wave barrier
	s_delay_alu instid0(VALU_DEP_1) | instskip(NEXT) | instid1(VALU_DEP_1)
	v_bitop3_b32 v3, v3, v4, v5 bitop3:0x80
	v_mbcnt_lo_u32_b32 v36, v3, 0
	v_cmp_ne_u32_e64 s3, 0, v3
	s_delay_alu instid0(VALU_DEP_2) | instskip(SKIP_1) | instid1(SALU_CYCLE_1)
	v_cmp_eq_u32_e32 vcc_lo, 0, v36
	s_and_b32 s4, s3, vcc_lo
	s_and_saveexec_b32 s3, s4
	s_cbranch_execz .LBB849_39
; %bb.38:
	s_wait_dscnt 0x0
	v_bcnt_u32_b32 v3, v3, v35
	ds_store_b32 v40, v3 offset:64
.LBB849_39:
	s_or_b32 exec_lo, exec_lo, s3
	v_lshrrev_b32_e32 v3, s16, v20
	; wave barrier
	s_delay_alu instid0(VALU_DEP_1) | instskip(SKIP_1) | instid1(VALU_DEP_2)
	v_and_b32_e32 v4, s26, v3
	v_bitop3_b32 v3, v3, 1, s26 bitop3:0x80
	v_dual_lshlrev_b32 v6, 30, v4 :: v_dual_lshlrev_b32 v7, 29, v4
	s_delay_alu instid0(VALU_DEP_2) | instskip(NEXT) | instid1(VALU_DEP_1)
	v_add_co_u32 v3, s3, v3, -1
	v_cndmask_b32_e64 v5, 0, 1, s3
	s_delay_alu instid0(VALU_DEP_3) | instskip(NEXT) | instid1(VALU_DEP_4)
	v_cmp_gt_i32_e64 s3, 0, v6
	v_cmp_gt_i32_e64 s4, 0, v7
	s_delay_alu instid0(VALU_DEP_3) | instskip(SKIP_2) | instid1(VALU_DEP_2)
	v_cmp_ne_u32_e32 vcc_lo, 0, v5
	v_not_b32_e32 v5, v6
	v_not_b32_e32 v6, v7
	v_dual_ashrrev_i32 v5, 31, v5 :: v_dual_bitop2_b32 v3, vcc_lo, v3 bitop3:0x14
	s_delay_alu instid0(VALU_DEP_2) | instskip(SKIP_3) | instid1(VALU_DEP_4)
	v_dual_ashrrev_i32 v6, 31, v6 :: v_dual_lshlrev_b32 v8, 28, v4
	v_lshlrev_b32_e32 v9, 27, v4
	v_mad_u32 v43, 0x44, v4, v2
	v_dual_lshlrev_b32 v38, 26, v4 :: v_dual_lshlrev_b32 v39, 25, v4
	v_not_b32_e32 v7, v8
	v_lshlrev_b32_e32 v4, 24, v4
	v_cmp_gt_i32_e64 s5, 0, v8
	v_xor_b32_e32 v5, s3, v5
	v_not_b32_e32 v8, v9
	v_ashrrev_i32_e32 v7, 31, v7
	v_not_b32_e32 v41, v38
	v_xor_b32_e32 v6, s4, v6
	v_bitop3_b32 v3, v3, v5, exec_lo bitop3:0x80
	v_cmp_gt_i32_e32 vcc_lo, 0, v9
	v_dual_ashrrev_i32 v5, 31, v8 :: v_dual_bitop2_b32 v7, s5, v7 bitop3:0x14
	v_cmp_gt_i32_e64 s3, 0, v38
	v_ashrrev_i32_e32 v8, 31, v41
	ds_load_b32 v38, v43 offset:64
	v_bitop3_b32 v3, v3, v7, v6 bitop3:0x80
	v_not_b32_e32 v6, v39
	v_not_b32_e32 v7, v4
	v_xor_b32_e32 v5, vcc_lo, v5
	v_xor_b32_e32 v8, s3, v8
	v_cmp_gt_i32_e32 vcc_lo, 0, v39
	v_ashrrev_i32_e32 v6, 31, v6
	v_cmp_gt_i32_e64 s3, 0, v4
	v_ashrrev_i32_e32 v4, 31, v7
	v_bitop3_b32 v3, v3, v8, v5 bitop3:0x80
	s_delay_alu instid0(VALU_DEP_4) | instskip(NEXT) | instid1(VALU_DEP_3)
	v_xor_b32_e32 v5, vcc_lo, v6
	; wave barrier
	v_xor_b32_e32 v4, s3, v4
	s_delay_alu instid0(VALU_DEP_1) | instskip(NEXT) | instid1(VALU_DEP_1)
	v_bitop3_b32 v3, v3, v4, v5 bitop3:0x80
	v_mbcnt_lo_u32_b32 v39, v3, 0
	v_cmp_ne_u32_e64 s3, 0, v3
	s_delay_alu instid0(VALU_DEP_2) | instskip(SKIP_1) | instid1(SALU_CYCLE_1)
	v_cmp_eq_u32_e32 vcc_lo, 0, v39
	s_and_b32 s4, s3, vcc_lo
	s_and_saveexec_b32 s3, s4
	s_cbranch_execz .LBB849_41
; %bb.40:
	s_wait_dscnt 0x0
	v_bcnt_u32_b32 v3, v3, v38
	ds_store_b32 v43, v3 offset:64
.LBB849_41:
	s_or_b32 exec_lo, exec_lo, s3
	v_lshrrev_b32_e32 v3, s16, v23
	; wave barrier
	s_delay_alu instid0(VALU_DEP_1) | instskip(NEXT) | instid1(VALU_DEP_1)
	v_and_b32_e32 v4, s26, v3
	v_lshlrev_b32_e32 v6, 30, v4
	v_bitop3_b32 v3, v3, 1, s26 bitop3:0x80
	s_delay_alu instid0(VALU_DEP_1) | instskip(NEXT) | instid1(VALU_DEP_1)
	v_add_co_u32 v3, s3, v3, -1
	v_cndmask_b32_e64 v5, 0, 1, s3
	s_delay_alu instid0(VALU_DEP_4) | instskip(NEXT) | instid1(VALU_DEP_2)
	v_cmp_gt_i32_e64 s3, 0, v6
	v_cmp_ne_u32_e32 vcc_lo, 0, v5
	v_not_b32_e32 v5, v6
	s_delay_alu instid0(VALU_DEP_1) | instskip(SKIP_3) | instid1(VALU_DEP_4)
	v_dual_ashrrev_i32 v5, 31, v5 :: v_dual_lshlrev_b32 v7, 29, v4
	v_dual_lshlrev_b32 v8, 28, v4 :: v_dual_lshlrev_b32 v9, 27, v4
	v_lshlrev_b32_e32 v41, 26, v4
	v_mad_u32 v46, 0x44, v4, v2
	v_cmp_gt_i32_e64 s4, 0, v7
	v_not_b32_e32 v6, v7
	v_not_b32_e32 v7, v8
	v_cmp_gt_i32_e64 s5, 0, v8
	v_xor_b32_e32 v3, vcc_lo, v3
	s_delay_alu instid0(VALU_DEP_4) | instskip(NEXT) | instid1(VALU_DEP_4)
	v_dual_ashrrev_i32 v6, 31, v6 :: v_dual_bitop2_b32 v5, s3, v5 bitop3:0x14
	v_dual_ashrrev_i32 v7, 31, v7 :: v_dual_lshlrev_b32 v42, 25, v4
	v_lshlrev_b32_e32 v4, 24, v4
	v_not_b32_e32 v8, v9
	v_not_b32_e32 v44, v41
	v_xor_b32_e32 v6, s4, v6
	v_xor_b32_e32 v7, s5, v7
	v_bitop3_b32 v3, v3, v5, exec_lo bitop3:0x80
	v_cmp_gt_i32_e32 vcc_lo, 0, v9
	v_ashrrev_i32_e32 v5, 31, v8
	v_cmp_gt_i32_e64 s3, 0, v41
	v_ashrrev_i32_e32 v8, 31, v44
	v_bitop3_b32 v3, v3, v7, v6 bitop3:0x80
	v_not_b32_e32 v6, v42
	v_not_b32_e32 v7, v4
	v_xor_b32_e32 v5, vcc_lo, v5
	v_xor_b32_e32 v8, s3, v8
	v_cmp_gt_i32_e32 vcc_lo, 0, v42
	v_ashrrev_i32_e32 v6, 31, v6
	v_cmp_gt_i32_e64 s3, 0, v4
	v_ashrrev_i32_e32 v4, 31, v7
	v_bitop3_b32 v3, v3, v8, v5 bitop3:0x80
	ds_load_b32 v41, v46 offset:64
	v_xor_b32_e32 v5, vcc_lo, v6
	v_xor_b32_e32 v4, s3, v4
	; wave barrier
	s_delay_alu instid0(VALU_DEP_1) | instskip(NEXT) | instid1(VALU_DEP_1)
	v_bitop3_b32 v3, v3, v4, v5 bitop3:0x80
	v_mbcnt_lo_u32_b32 v42, v3, 0
	v_cmp_ne_u32_e64 s3, 0, v3
	s_delay_alu instid0(VALU_DEP_2) | instskip(SKIP_1) | instid1(SALU_CYCLE_1)
	v_cmp_eq_u32_e32 vcc_lo, 0, v42
	s_and_b32 s4, s3, vcc_lo
	s_and_saveexec_b32 s3, s4
	s_cbranch_execz .LBB849_43
; %bb.42:
	s_wait_dscnt 0x0
	v_bcnt_u32_b32 v3, v3, v41
	ds_store_b32 v46, v3 offset:64
.LBB849_43:
	s_or_b32 exec_lo, exec_lo, s3
	v_lshrrev_b32_e32 v3, s16, v22
	; wave barrier
	s_delay_alu instid0(VALU_DEP_1) | instskip(NEXT) | instid1(VALU_DEP_1)
	v_and_b32_e32 v4, s26, v3
	v_lshlrev_b32_e32 v6, 30, v4
	v_bitop3_b32 v3, v3, 1, s26 bitop3:0x80
	s_delay_alu instid0(VALU_DEP_1) | instskip(NEXT) | instid1(VALU_DEP_1)
	v_add_co_u32 v3, s3, v3, -1
	v_cndmask_b32_e64 v5, 0, 1, s3
	s_delay_alu instid0(VALU_DEP_4) | instskip(NEXT) | instid1(VALU_DEP_2)
	v_cmp_gt_i32_e64 s3, 0, v6
	v_cmp_ne_u32_e32 vcc_lo, 0, v5
	v_not_b32_e32 v5, v6
	s_delay_alu instid0(VALU_DEP_1) | instskip(SKIP_3) | instid1(VALU_DEP_4)
	v_dual_ashrrev_i32 v5, 31, v5 :: v_dual_lshlrev_b32 v7, 29, v4
	v_dual_lshlrev_b32 v8, 28, v4 :: v_dual_lshlrev_b32 v9, 27, v4
	v_lshlrev_b32_e32 v44, 26, v4
	v_mad_u32 v49, 0x44, v4, v2
	v_cmp_gt_i32_e64 s4, 0, v7
	v_not_b32_e32 v6, v7
	v_not_b32_e32 v7, v8
	v_cmp_gt_i32_e64 s5, 0, v8
	v_xor_b32_e32 v3, vcc_lo, v3
	s_delay_alu instid0(VALU_DEP_4) | instskip(NEXT) | instid1(VALU_DEP_4)
	v_dual_ashrrev_i32 v6, 31, v6 :: v_dual_bitop2_b32 v5, s3, v5 bitop3:0x14
	v_dual_ashrrev_i32 v7, 31, v7 :: v_dual_lshlrev_b32 v45, 25, v4
	v_lshlrev_b32_e32 v4, 24, v4
	v_not_b32_e32 v8, v9
	v_not_b32_e32 v47, v44
	v_xor_b32_e32 v6, s4, v6
	v_xor_b32_e32 v7, s5, v7
	v_bitop3_b32 v3, v3, v5, exec_lo bitop3:0x80
	v_cmp_gt_i32_e32 vcc_lo, 0, v9
	v_ashrrev_i32_e32 v5, 31, v8
	v_cmp_gt_i32_e64 s3, 0, v44
	v_ashrrev_i32_e32 v8, 31, v47
	v_bitop3_b32 v3, v3, v7, v6 bitop3:0x80
	v_not_b32_e32 v6, v45
	v_not_b32_e32 v7, v4
	v_xor_b32_e32 v5, vcc_lo, v5
	v_xor_b32_e32 v8, s3, v8
	v_cmp_gt_i32_e32 vcc_lo, 0, v45
	v_ashrrev_i32_e32 v6, 31, v6
	v_cmp_gt_i32_e64 s3, 0, v4
	v_ashrrev_i32_e32 v4, 31, v7
	v_bitop3_b32 v3, v3, v8, v5 bitop3:0x80
	ds_load_b32 v44, v49 offset:64
	v_xor_b32_e32 v5, vcc_lo, v6
	v_xor_b32_e32 v4, s3, v4
	; wave barrier
	s_delay_alu instid0(VALU_DEP_1) | instskip(NEXT) | instid1(VALU_DEP_1)
	v_bitop3_b32 v3, v3, v4, v5 bitop3:0x80
	v_mbcnt_lo_u32_b32 v45, v3, 0
	v_cmp_ne_u32_e64 s3, 0, v3
	s_delay_alu instid0(VALU_DEP_2) | instskip(SKIP_1) | instid1(SALU_CYCLE_1)
	v_cmp_eq_u32_e32 vcc_lo, 0, v45
	s_and_b32 s4, s3, vcc_lo
	s_and_saveexec_b32 s3, s4
	s_cbranch_execz .LBB849_45
; %bb.44:
	s_wait_dscnt 0x0
	v_bcnt_u32_b32 v3, v3, v44
	ds_store_b32 v49, v3 offset:64
.LBB849_45:
	s_or_b32 exec_lo, exec_lo, s3
	v_lshrrev_b32_e32 v3, s16, v25
	; wave barrier
	s_delay_alu instid0(VALU_DEP_1) | instskip(NEXT) | instid1(VALU_DEP_1)
	v_and_b32_e32 v4, s26, v3
	v_lshlrev_b32_e32 v6, 30, v4
	v_bitop3_b32 v3, v3, 1, s26 bitop3:0x80
	s_delay_alu instid0(VALU_DEP_1) | instskip(NEXT) | instid1(VALU_DEP_1)
	v_add_co_u32 v3, s3, v3, -1
	v_cndmask_b32_e64 v5, 0, 1, s3
	s_delay_alu instid0(VALU_DEP_4) | instskip(NEXT) | instid1(VALU_DEP_2)
	v_cmp_gt_i32_e64 s3, 0, v6
	v_cmp_ne_u32_e32 vcc_lo, 0, v5
	v_not_b32_e32 v5, v6
	s_delay_alu instid0(VALU_DEP_1) | instskip(SKIP_3) | instid1(VALU_DEP_4)
	v_dual_ashrrev_i32 v5, 31, v5 :: v_dual_lshlrev_b32 v7, 29, v4
	v_dual_lshlrev_b32 v8, 28, v4 :: v_dual_lshlrev_b32 v9, 27, v4
	v_lshlrev_b32_e32 v47, 26, v4
	v_mad_u32 v52, 0x44, v4, v2
	v_cmp_gt_i32_e64 s4, 0, v7
	v_not_b32_e32 v6, v7
	v_not_b32_e32 v7, v8
	v_cmp_gt_i32_e64 s5, 0, v8
	v_xor_b32_e32 v3, vcc_lo, v3
	s_delay_alu instid0(VALU_DEP_4) | instskip(NEXT) | instid1(VALU_DEP_4)
	v_dual_ashrrev_i32 v6, 31, v6 :: v_dual_bitop2_b32 v5, s3, v5 bitop3:0x14
	v_dual_ashrrev_i32 v7, 31, v7 :: v_dual_lshlrev_b32 v48, 25, v4
	v_lshlrev_b32_e32 v4, 24, v4
	v_not_b32_e32 v8, v9
	v_not_b32_e32 v50, v47
	v_xor_b32_e32 v6, s4, v6
	v_xor_b32_e32 v7, s5, v7
	v_bitop3_b32 v3, v3, v5, exec_lo bitop3:0x80
	v_cmp_gt_i32_e32 vcc_lo, 0, v9
	v_ashrrev_i32_e32 v5, 31, v8
	v_cmp_gt_i32_e64 s3, 0, v47
	v_ashrrev_i32_e32 v8, 31, v50
	v_bitop3_b32 v3, v3, v7, v6 bitop3:0x80
	v_not_b32_e32 v6, v48
	v_not_b32_e32 v7, v4
	v_xor_b32_e32 v5, vcc_lo, v5
	v_xor_b32_e32 v8, s3, v8
	v_cmp_gt_i32_e32 vcc_lo, 0, v48
	v_ashrrev_i32_e32 v6, 31, v6
	v_cmp_gt_i32_e64 s3, 0, v4
	v_ashrrev_i32_e32 v4, 31, v7
	v_bitop3_b32 v3, v3, v8, v5 bitop3:0x80
	ds_load_b32 v47, v52 offset:64
	v_xor_b32_e32 v5, vcc_lo, v6
	v_xor_b32_e32 v4, s3, v4
	; wave barrier
	s_delay_alu instid0(VALU_DEP_1) | instskip(NEXT) | instid1(VALU_DEP_1)
	v_bitop3_b32 v3, v3, v4, v5 bitop3:0x80
	v_mbcnt_lo_u32_b32 v48, v3, 0
	v_cmp_ne_u32_e64 s3, 0, v3
	s_delay_alu instid0(VALU_DEP_2) | instskip(SKIP_1) | instid1(SALU_CYCLE_1)
	v_cmp_eq_u32_e32 vcc_lo, 0, v48
	s_and_b32 s4, s3, vcc_lo
	s_and_saveexec_b32 s3, s4
	s_cbranch_execz .LBB849_47
; %bb.46:
	s_wait_dscnt 0x0
	v_bcnt_u32_b32 v3, v3, v47
	ds_store_b32 v52, v3 offset:64
.LBB849_47:
	s_or_b32 exec_lo, exec_lo, s3
	v_lshrrev_b32_e32 v3, s16, v24
	; wave barrier
	s_delay_alu instid0(VALU_DEP_1) | instskip(SKIP_1) | instid1(VALU_DEP_2)
	v_and_b32_e32 v4, s26, v3
	v_bitop3_b32 v3, v3, 1, s26 bitop3:0x80
	v_dual_lshlrev_b32 v6, 30, v4 :: v_dual_lshlrev_b32 v7, 29, v4
	s_delay_alu instid0(VALU_DEP_2) | instskip(NEXT) | instid1(VALU_DEP_1)
	v_add_co_u32 v3, s3, v3, -1
	v_cndmask_b32_e64 v5, 0, 1, s3
	s_delay_alu instid0(VALU_DEP_3) | instskip(NEXT) | instid1(VALU_DEP_4)
	v_cmp_gt_i32_e64 s3, 0, v6
	v_cmp_gt_i32_e64 s4, 0, v7
	s_delay_alu instid0(VALU_DEP_3) | instskip(SKIP_2) | instid1(VALU_DEP_2)
	v_cmp_ne_u32_e32 vcc_lo, 0, v5
	v_not_b32_e32 v5, v6
	v_not_b32_e32 v6, v7
	v_dual_ashrrev_i32 v5, 31, v5 :: v_dual_bitop2_b32 v3, vcc_lo, v3 bitop3:0x14
	s_delay_alu instid0(VALU_DEP_2) | instskip(SKIP_3) | instid1(VALU_DEP_4)
	v_dual_ashrrev_i32 v6, 31, v6 :: v_dual_lshlrev_b32 v8, 28, v4
	v_lshlrev_b32_e32 v9, 27, v4
	v_mad_u32 v53, 0x44, v4, v2
	v_dual_lshlrev_b32 v50, 26, v4 :: v_dual_lshlrev_b32 v51, 25, v4
	v_not_b32_e32 v7, v8
	v_lshlrev_b32_e32 v4, 24, v4
	v_cmp_gt_i32_e64 s5, 0, v8
	v_xor_b32_e32 v5, s3, v5
	v_not_b32_e32 v8, v9
	v_ashrrev_i32_e32 v7, 31, v7
	v_not_b32_e32 v54, v50
	v_xor_b32_e32 v6, s4, v6
	v_bitop3_b32 v3, v3, v5, exec_lo bitop3:0x80
	v_cmp_gt_i32_e32 vcc_lo, 0, v9
	v_dual_ashrrev_i32 v5, 31, v8 :: v_dual_bitop2_b32 v7, s5, v7 bitop3:0x14
	v_cmp_gt_i32_e64 s3, 0, v50
	v_ashrrev_i32_e32 v8, 31, v54
	ds_load_b32 v50, v53 offset:64
	v_bitop3_b32 v3, v3, v7, v6 bitop3:0x80
	v_not_b32_e32 v6, v51
	v_not_b32_e32 v7, v4
	v_xor_b32_e32 v5, vcc_lo, v5
	v_xor_b32_e32 v8, s3, v8
	v_cmp_gt_i32_e32 vcc_lo, 0, v51
	v_ashrrev_i32_e32 v6, 31, v6
	v_cmp_gt_i32_e64 s3, 0, v4
	v_ashrrev_i32_e32 v4, 31, v7
	v_bitop3_b32 v3, v3, v8, v5 bitop3:0x80
	s_delay_alu instid0(VALU_DEP_4) | instskip(NEXT) | instid1(VALU_DEP_3)
	v_xor_b32_e32 v5, vcc_lo, v6
	; wave barrier
	v_xor_b32_e32 v4, s3, v4
	s_delay_alu instid0(VALU_DEP_1) | instskip(NEXT) | instid1(VALU_DEP_1)
	v_bitop3_b32 v3, v3, v4, v5 bitop3:0x80
	v_mbcnt_lo_u32_b32 v51, v3, 0
	v_cmp_ne_u32_e64 s3, 0, v3
	s_delay_alu instid0(VALU_DEP_2) | instskip(SKIP_1) | instid1(SALU_CYCLE_1)
	v_cmp_eq_u32_e32 vcc_lo, 0, v51
	s_and_b32 s4, s3, vcc_lo
	s_and_saveexec_b32 s3, s4
	s_cbranch_execz .LBB849_49
; %bb.48:
	s_wait_dscnt 0x0
	v_bcnt_u32_b32 v3, v3, v50
	ds_store_b32 v53, v3 offset:64
.LBB849_49:
	s_or_b32 exec_lo, exec_lo, s3
	v_lshrrev_b32_e32 v3, s16, v27
	; wave barrier
	s_delay_alu instid0(VALU_DEP_1) | instskip(NEXT) | instid1(VALU_DEP_1)
	v_and_b32_e32 v4, s26, v3
	v_lshlrev_b32_e32 v6, 30, v4
	v_bitop3_b32 v3, v3, 1, s26 bitop3:0x80
	s_delay_alu instid0(VALU_DEP_1) | instskip(NEXT) | instid1(VALU_DEP_1)
	v_add_co_u32 v3, s3, v3, -1
	v_cndmask_b32_e64 v5, 0, 1, s3
	s_delay_alu instid0(VALU_DEP_4) | instskip(NEXT) | instid1(VALU_DEP_2)
	v_cmp_gt_i32_e64 s3, 0, v6
	v_cmp_ne_u32_e32 vcc_lo, 0, v5
	v_not_b32_e32 v5, v6
	s_delay_alu instid0(VALU_DEP_1) | instskip(SKIP_3) | instid1(VALU_DEP_4)
	v_dual_ashrrev_i32 v5, 31, v5 :: v_dual_lshlrev_b32 v7, 29, v4
	v_dual_lshlrev_b32 v8, 28, v4 :: v_dual_lshlrev_b32 v9, 27, v4
	v_lshlrev_b32_e32 v54, 26, v4
	v_mad_u32 v56, 0x44, v4, v2
	v_cmp_gt_i32_e64 s4, 0, v7
	v_not_b32_e32 v6, v7
	v_not_b32_e32 v7, v8
	v_cmp_gt_i32_e64 s5, 0, v8
	v_xor_b32_e32 v3, vcc_lo, v3
	s_delay_alu instid0(VALU_DEP_4) | instskip(NEXT) | instid1(VALU_DEP_4)
	v_dual_ashrrev_i32 v6, 31, v6 :: v_dual_bitop2_b32 v5, s3, v5 bitop3:0x14
	v_dual_ashrrev_i32 v7, 31, v7 :: v_dual_lshlrev_b32 v55, 25, v4
	v_lshlrev_b32_e32 v4, 24, v4
	v_not_b32_e32 v8, v9
	v_not_b32_e32 v57, v54
	v_xor_b32_e32 v6, s4, v6
	v_xor_b32_e32 v7, s5, v7
	v_bitop3_b32 v3, v3, v5, exec_lo bitop3:0x80
	v_cmp_gt_i32_e32 vcc_lo, 0, v9
	v_ashrrev_i32_e32 v5, 31, v8
	v_cmp_gt_i32_e64 s3, 0, v54
	v_ashrrev_i32_e32 v8, 31, v57
	v_bitop3_b32 v3, v3, v7, v6 bitop3:0x80
	v_not_b32_e32 v6, v55
	v_not_b32_e32 v7, v4
	v_xor_b32_e32 v5, vcc_lo, v5
	v_xor_b32_e32 v8, s3, v8
	v_cmp_gt_i32_e32 vcc_lo, 0, v55
	v_ashrrev_i32_e32 v6, 31, v6
	v_cmp_gt_i32_e64 s3, 0, v4
	v_ashrrev_i32_e32 v4, 31, v7
	v_bitop3_b32 v3, v3, v8, v5 bitop3:0x80
	ds_load_b32 v54, v56 offset:64
	v_xor_b32_e32 v5, vcc_lo, v6
	v_xor_b32_e32 v4, s3, v4
	; wave barrier
	s_delay_alu instid0(VALU_DEP_1) | instskip(NEXT) | instid1(VALU_DEP_1)
	v_bitop3_b32 v3, v3, v4, v5 bitop3:0x80
	v_mbcnt_lo_u32_b32 v55, v3, 0
	v_cmp_ne_u32_e64 s3, 0, v3
	s_delay_alu instid0(VALU_DEP_2) | instskip(SKIP_1) | instid1(SALU_CYCLE_1)
	v_cmp_eq_u32_e32 vcc_lo, 0, v55
	s_and_b32 s4, s3, vcc_lo
	s_and_saveexec_b32 s3, s4
	s_cbranch_execz .LBB849_51
; %bb.50:
	s_wait_dscnt 0x0
	v_bcnt_u32_b32 v3, v3, v54
	ds_store_b32 v56, v3 offset:64
.LBB849_51:
	s_or_b32 exec_lo, exec_lo, s3
	v_lshrrev_b32_e32 v3, s16, v26
	; wave barrier
	s_delay_alu instid0(VALU_DEP_1) | instskip(NEXT) | instid1(VALU_DEP_1)
	v_and_b32_e32 v4, s26, v3
	v_lshlrev_b32_e32 v5, 30, v4
	v_bitop3_b32 v3, v3, 1, s26 bitop3:0x80
	v_mad_u32 v59, 0x44, v4, v2
	s_delay_alu instid0(VALU_DEP_2) | instskip(NEXT) | instid1(VALU_DEP_1)
	v_add_co_u32 v2, s3, v3, -1
	v_cndmask_b32_e64 v3, 0, 1, s3
	v_cmp_gt_i32_e64 s3, 0, v5
	s_delay_alu instid0(VALU_DEP_2) | instskip(SKIP_1) | instid1(VALU_DEP_1)
	v_cmp_ne_u32_e32 vcc_lo, 0, v3
	v_not_b32_e32 v3, v5
	v_dual_ashrrev_i32 v3, 31, v3 :: v_dual_lshlrev_b32 v6, 29, v4
	v_dual_lshlrev_b32 v7, 28, v4 :: v_dual_lshlrev_b32 v8, 27, v4
	v_dual_lshlrev_b32 v9, 26, v4 :: v_dual_lshlrev_b32 v57, 25, v4
	v_lshlrev_b32_e32 v4, 24, v4
	s_delay_alu instid0(VALU_DEP_4) | instskip(SKIP_4) | instid1(VALU_DEP_4)
	v_cmp_gt_i32_e64 s4, 0, v6
	v_not_b32_e32 v5, v6
	v_not_b32_e32 v6, v7
	v_cmp_gt_i32_e64 s5, 0, v7
	v_xor_b32_e32 v2, vcc_lo, v2
	v_dual_ashrrev_i32 v5, 31, v5 :: v_dual_bitop2_b32 v3, s3, v3 bitop3:0x14
	s_delay_alu instid0(VALU_DEP_4) | instskip(SKIP_2) | instid1(VALU_DEP_4)
	v_ashrrev_i32_e32 v6, 31, v6
	v_not_b32_e32 v7, v8
	v_not_b32_e32 v58, v9
	v_bitop3_b32 v2, v2, v3, exec_lo bitop3:0x80
	v_xor_b32_e32 v5, s4, v5
	v_xor_b32_e32 v6, s5, v6
	v_cmp_gt_i32_e32 vcc_lo, 0, v8
	v_ashrrev_i32_e32 v3, 31, v7
	v_cmp_gt_i32_e64 s3, 0, v9
	v_ashrrev_i32_e32 v7, 31, v58
	v_bitop3_b32 v2, v2, v6, v5 bitop3:0x80
	v_not_b32_e32 v5, v57
	v_not_b32_e32 v6, v4
	v_xor_b32_e32 v3, vcc_lo, v3
	v_xor_b32_e32 v7, s3, v7
	v_cmp_gt_i32_e32 vcc_lo, 0, v57
	v_ashrrev_i32_e32 v5, 31, v5
	v_cmp_gt_i32_e64 s3, 0, v4
	v_ashrrev_i32_e32 v4, 31, v6
	v_bitop3_b32 v2, v2, v7, v3 bitop3:0x80
	ds_load_b32 v57, v59 offset:64
	v_xor_b32_e32 v3, vcc_lo, v5
	v_xor_b32_e32 v4, s3, v4
	; wave barrier
	s_delay_alu instid0(VALU_DEP_1) | instskip(NEXT) | instid1(VALU_DEP_1)
	v_bitop3_b32 v2, v2, v4, v3 bitop3:0x80
	v_mbcnt_lo_u32_b32 v58, v2, 0
	v_cmp_ne_u32_e64 s3, 0, v2
	s_delay_alu instid0(VALU_DEP_2) | instskip(SKIP_1) | instid1(SALU_CYCLE_1)
	v_cmp_eq_u32_e32 vcc_lo, 0, v58
	s_and_b32 s4, s3, vcc_lo
	s_and_saveexec_b32 s3, s4
	s_cbranch_execz .LBB849_53
; %bb.52:
	s_wait_dscnt 0x0
	v_bcnt_u32_b32 v2, v2, v57
	ds_store_b32 v59, v2 offset:64
.LBB849_53:
	s_or_b32 exec_lo, exec_lo, s3
	; wave barrier
	s_wait_dscnt 0x0
	s_barrier_signal -1
	s_barrier_wait -1
	ds_load_2addr_b32 v[8:9], v10 offset0:16 offset1:17
	ds_load_2addr_b32 v[6:7], v10 offset0:18 offset1:19
	;; [unrolled: 1-line block ×4, first 2 shown]
	ds_load_b32 v60, v10 offset:96
	v_min_u32_e32 v63, 0x1e0, v16
	s_mov_b32 s27, exec_lo
	s_wait_dscnt 0x3
	v_add3_u32 v61, v9, v8, v6
	s_wait_dscnt 0x2
	s_delay_alu instid0(VALU_DEP_1) | instskip(SKIP_1) | instid1(VALU_DEP_1)
	v_add3_u32 v61, v61, v7, v4
	s_wait_dscnt 0x1
	v_add3_u32 v61, v61, v5, v2
	s_wait_dscnt 0x0
	s_delay_alu instid0(VALU_DEP_1) | instskip(SKIP_1) | instid1(VALU_DEP_2)
	v_add3_u32 v60, v61, v3, v60
	v_and_b32_e32 v61, 15, v15
	v_mov_b32_dpp v62, v60 row_shr:1 row_mask:0xf bank_mask:0xf
	s_delay_alu instid0(VALU_DEP_2) | instskip(NEXT) | instid1(VALU_DEP_2)
	v_cmp_eq_u32_e32 vcc_lo, 0, v61
	v_cndmask_b32_e64 v62, v62, 0, vcc_lo
	s_delay_alu instid0(VALU_DEP_1) | instskip(SKIP_3) | instid1(VALU_DEP_4)
	v_add_nc_u32_e32 v60, v62, v60
	v_cmp_lt_u32_e64 s3, 1, v61
	v_cmp_lt_u32_e64 s4, 3, v61
	;; [unrolled: 1-line block ×3, first 2 shown]
	v_mov_b32_dpp v62, v60 row_shr:2 row_mask:0xf bank_mask:0xf
	s_delay_alu instid0(VALU_DEP_1) | instskip(NEXT) | instid1(VALU_DEP_1)
	v_cndmask_b32_e64 v62, 0, v62, s3
	v_add_nc_u32_e32 v60, v60, v62
	s_delay_alu instid0(VALU_DEP_1) | instskip(NEXT) | instid1(VALU_DEP_1)
	v_mov_b32_dpp v62, v60 row_shr:4 row_mask:0xf bank_mask:0xf
	v_cndmask_b32_e64 v62, 0, v62, s4
	s_delay_alu instid0(VALU_DEP_1) | instskip(NEXT) | instid1(VALU_DEP_1)
	v_add_nc_u32_e32 v60, v60, v62
	v_mov_b32_dpp v62, v60 row_shr:8 row_mask:0xf bank_mask:0xf
	s_delay_alu instid0(VALU_DEP_1) | instskip(SKIP_1) | instid1(VALU_DEP_2)
	v_cndmask_b32_e64 v61, 0, v62, s5
	v_bfe_i32 v62, v15, 4, 1
	v_add_nc_u32_e32 v60, v60, v61
	ds_swizzle_b32 v61, v60 offset:swizzle(BROADCAST,32,15)
	s_wait_dscnt 0x0
	v_dual_lshrrev_b32 v61, 5, v14 :: v_dual_bitop2_b32 v62, v62, v61 bitop3:0x40
	s_delay_alu instid0(VALU_DEP_1) | instskip(NEXT) | instid1(VALU_DEP_1)
	v_dual_add_nc_u32 v60, v60, v62 :: v_dual_bitop2_b32 v63, 31, v63 bitop3:0x54
	v_cmpx_eq_u32_e64 v14, v63
; %bb.54:
	s_delay_alu instid0(VALU_DEP_3)
	v_lshlrev_b32_e32 v62, 2, v61
	ds_store_b32 v62, v60
; %bb.55:
	s_or_b32 exec_lo, exec_lo, s27
	s_delay_alu instid0(SALU_CYCLE_1)
	s_mov_b32 s27, exec_lo
	s_wait_dscnt 0x0
	s_barrier_signal -1
	s_barrier_wait -1
	v_cmpx_gt_u32_e32 16, v14
	s_cbranch_execz .LBB849_57
; %bb.56:
	v_lshlrev_b32_e32 v62, 2, v14
	ds_load_b32 v63, v62
	s_wait_dscnt 0x0
	v_mov_b32_dpp v64, v63 row_shr:1 row_mask:0xf bank_mask:0xf
	s_delay_alu instid0(VALU_DEP_1) | instskip(NEXT) | instid1(VALU_DEP_1)
	v_cndmask_b32_e64 v64, v64, 0, vcc_lo
	v_add_nc_u32_e32 v63, v64, v63
	s_delay_alu instid0(VALU_DEP_1) | instskip(NEXT) | instid1(VALU_DEP_1)
	v_mov_b32_dpp v64, v63 row_shr:2 row_mask:0xf bank_mask:0xf
	v_cndmask_b32_e64 v64, 0, v64, s3
	s_delay_alu instid0(VALU_DEP_1) | instskip(NEXT) | instid1(VALU_DEP_1)
	v_add_nc_u32_e32 v63, v63, v64
	v_mov_b32_dpp v64, v63 row_shr:4 row_mask:0xf bank_mask:0xf
	s_delay_alu instid0(VALU_DEP_1) | instskip(NEXT) | instid1(VALU_DEP_1)
	v_cndmask_b32_e64 v64, 0, v64, s4
	v_add_nc_u32_e32 v63, v63, v64
	s_delay_alu instid0(VALU_DEP_1) | instskip(NEXT) | instid1(VALU_DEP_1)
	v_mov_b32_dpp v64, v63 row_shr:8 row_mask:0xf bank_mask:0xf
	v_cndmask_b32_e64 v64, 0, v64, s5
	s_delay_alu instid0(VALU_DEP_1)
	v_add_nc_u32_e32 v63, v63, v64
	ds_store_b32 v62, v63
.LBB849_57:
	s_or_b32 exec_lo, exec_lo, s27
	v_mov_b32_e32 v62, 0
	s_mov_b32 s3, exec_lo
	s_wait_dscnt 0x0
	s_barrier_signal -1
	s_barrier_wait -1
	v_cmpx_lt_u32_e32 31, v14
; %bb.58:
	v_lshl_add_u32 v61, v61, 2, -4
	ds_load_b32 v62, v61
; %bb.59:
	s_or_b32 exec_lo, exec_lo, s3
	v_sub_co_u32 v61, vcc_lo, v15, 1
	s_wait_dscnt 0x0
	v_add_nc_u32_e32 v60, v62, v60
	s_delay_alu instid0(VALU_DEP_2) | instskip(NEXT) | instid1(VALU_DEP_1)
	v_cmp_gt_i32_e64 s3, 0, v61
	v_cndmask_b32_e64 v61, v61, v15, s3
	v_cmp_lt_u32_e64 s3, 0xff, v14
	s_delay_alu instid0(VALU_DEP_2) | instskip(SKIP_4) | instid1(VALU_DEP_2)
	v_lshlrev_b32_e32 v61, 2, v61
	ds_bpermute_b32 v60, v61, v60
	s_wait_dscnt 0x0
	v_cndmask_b32_e32 v60, v60, v62, vcc_lo
	v_cmp_gt_u32_e32 vcc_lo, 0x100, v14
	v_cndmask_b32_e64 v60, v60, 0, s2
	s_delay_alu instid0(VALU_DEP_1) | instskip(NEXT) | instid1(VALU_DEP_1)
	v_add_nc_u32_e32 v8, v60, v8
	v_add_nc_u32_e32 v9, v8, v9
	s_delay_alu instid0(VALU_DEP_1) | instskip(NEXT) | instid1(VALU_DEP_1)
	v_add_nc_u32_e32 v6, v9, v6
	v_add_nc_u32_e32 v7, v6, v7
	;; [unrolled: 3-line block ×4, first 2 shown]
	ds_store_2addr_b32 v10, v60, v8 offset0:16 offset1:17
	ds_store_2addr_b32 v10, v9, v6 offset0:18 offset1:19
	;; [unrolled: 1-line block ×4, first 2 shown]
	ds_store_b32 v10, v3 offset:96
	s_wait_dscnt 0x0
	s_barrier_signal -1
	s_barrier_wait -1
	ds_load_b32 v63, v11 offset:64
	ds_load_b32 v60, v12 offset:64
	;; [unrolled: 1-line block ×12, first 2 shown]
	v_mov_b64_e32 v[2:3], 0
                                        ; implicit-def: $vgpr4
	s_and_saveexec_b32 s5, vcc_lo
	s_cbranch_execz .LBB849_63
; %bb.60:
	v_mul_u32_u24_e32 v2, 0x44, v14
	v_dual_mov_b32 v3, 0x1800 :: v_dual_add_nc_u32 v4, 1, v14
	s_mov_b32 s6, exec_lo
	ds_load_b32 v2, v2 offset:64
	v_cmpx_ne_u32_e32 0x100, v4
; %bb.61:
	v_mul_u32_u24_e32 v3, 0x44, v4
	ds_load_b32 v3, v3 offset:64
; %bb.62:
	s_or_b32 exec_lo, exec_lo, s6
	s_wait_dscnt 0x0
	v_dual_mov_b32 v3, 0 :: v_dual_sub_nc_u32 v4, v3, v2
.LBB849_63:
	s_or_b32 exec_lo, exec_lo, s5
	v_dual_mov_b32 v7, 0 :: v_dual_lshlrev_b32 v5, 3, v14
	s_wait_dscnt 0x0
	s_barrier_signal -1
	s_barrier_wait -1
	s_and_saveexec_b32 s4, vcc_lo
	s_cbranch_execz .LBB849_73
; %bb.64:
	v_lshl_add_u32 v6, s19, 8, v14
	v_dual_mov_b32 v10, 0 :: v_dual_bitop2_b32 v11, 2.0, v4 bitop3:0x54
	s_mov_b32 s5, 0
	s_mov_b32 s6, s19
	s_delay_alu instid0(VALU_DEP_2)
	v_lshl_add_u64 v[8:9], v[6:7], 2, s[20:21]
	global_store_b32 v6, v11, s[20:21] scale_offset scope:SCOPE_DEV
                                        ; implicit-def: $sgpr27
	s_branch .LBB849_67
.LBB849_65:                             ;   in Loop: Header=BB849_67 Depth=1
	s_or_b32 exec_lo, exec_lo, s28
.LBB849_66:                             ;   in Loop: Header=BB849_67 Depth=1
	s_delay_alu instid0(SALU_CYCLE_1) | instskip(SKIP_2) | instid1(VALU_DEP_2)
	s_or_b32 exec_lo, exec_lo, s27
	v_and_b32_e32 v6, 0x3fffffff, v11
	v_cmp_gt_i32_e64 s27, -2.0, v11
	v_add_nc_u32_e32 v10, v6, v10
	s_and_b32 s28, exec_lo, s27
	s_delay_alu instid0(SALU_CYCLE_1) | instskip(NEXT) | instid1(SALU_CYCLE_1)
	s_or_b32 s5, s28, s5
	s_and_not1_b32 exec_lo, exec_lo, s5
	s_cbranch_execz .LBB849_72
.LBB849_67:                             ; =>This Loop Header: Depth=1
                                        ;     Child Loop BB849_70 Depth 2
	s_or_b32 s27, s27, exec_lo
	s_cmp_eq_u32 s6, 0
	s_cbranch_scc1 .LBB849_71
; %bb.68:                               ;   in Loop: Header=BB849_67 Depth=1
	s_add_co_i32 s6, s6, -1
	s_mov_b32 s27, exec_lo
	s_wait_xcnt 0x0
	v_lshl_or_b32 v6, s6, 8, v14
	global_load_b32 v11, v6, s[20:21] scale_offset scope:SCOPE_DEV
	s_wait_loadcnt 0x0
	v_cmpx_gt_u32_e32 2.0, v11
	s_cbranch_execz .LBB849_66
; %bb.69:                               ;   in Loop: Header=BB849_67 Depth=1
	v_lshl_add_u64 v[12:13], v[6:7], 2, s[20:21]
	s_mov_b32 s28, 0
.LBB849_70:                             ;   Parent Loop BB849_67 Depth=1
                                        ; =>  This Inner Loop Header: Depth=2
	global_load_b32 v11, v[12:13], off scope:SCOPE_DEV
	s_wait_loadcnt 0x0
	v_cmp_lt_u32_e32 vcc_lo, 0x3fffffff, v11
	s_or_b32 s28, vcc_lo, s28
	s_wait_xcnt 0x0
	s_and_not1_b32 exec_lo, exec_lo, s28
	s_cbranch_execnz .LBB849_70
	s_branch .LBB849_65
.LBB849_71:                             ;   in Loop: Header=BB849_67 Depth=1
                                        ; implicit-def: $sgpr6
	s_and_b32 s28, exec_lo, s27
	s_delay_alu instid0(SALU_CYCLE_1)
	s_or_b32 s5, s28, s5
	s_wait_xcnt 0x0
	s_and_not1_b32 exec_lo, exec_lo, s5
	s_cbranch_execnz .LBB849_67
.LBB849_72:
	s_or_b32 exec_lo, exec_lo, s5
	v_dual_mov_b32 v11, 0 :: v_dual_add_nc_u32 v6, v10, v4
	s_delay_alu instid0(VALU_DEP_1) | instskip(SKIP_4) | instid1(VALU_DEP_1)
	v_or_b32_e32 v6, 0x80000000, v6
	global_store_b32 v[8:9], v6, off scope:SCOPE_DEV
	global_load_b64 v[6:7], v14, s[8:9] scale_offset
	v_sub_nc_u64_e32 v[8:9], v[10:11], v[2:3]
	s_wait_loadcnt 0x0
	v_add_nc_u64_e32 v[6:7], v[8:9], v[6:7]
	ds_store_b64 v5, v[6:7]
.LBB849_73:
	s_wait_xcnt 0x0
	s_or_b32 exec_lo, exec_lo, s4
	v_dual_lshlrev_b32 v6, 2, v14 :: v_dual_add_nc_u32 v8, v63, v28
	v_mov_b32_e32 v7, 0
	v_add3_u32 v10, v55, v53, v54
	v_add3_u32 v9, v58, v56, v57
	s_delay_alu instid0(VALU_DEP_4)
	v_sub_nc_u32_e32 v53, 0, v6
	v_add3_u32 v11, v51, v52, v50
	v_add_nc_u64_e32 v[6:7], s[14:15], v[6:7]
	v_add3_u32 v12, v48, v49, v47
	v_add3_u32 v13, v45, v46, v44
	;; [unrolled: 1-line block ×6, first 2 shown]
	v_add_nc_u64_e32 v[6:7], 0x3800, v[6:7]
	v_add3_u32 v31, v32, v61, v31
	v_add3_u32 v29, v30, v60, v29
	v_add_nc_u32_e32 v30, 0xe00, v14
	v_add_nc_u32_e32 v32, v5, v53
	s_mov_b32 s4, 0
	s_mov_b32 s5, -1
	s_branch .LBB849_75
.LBB849_74:                             ;   in Loop: Header=BB849_75 Depth=1
	s_wait_xcnt 0x0
	s_or_b32 exec_lo, exec_lo, s6
	v_add_nc_u64_e32 v[6:7], 0x4000, v[6:7]
	v_add_nc_u32_e32 v30, 0x1000, v30
	s_xor_b32 s5, s5, -1
	s_addk_co_i32 s4, 0xf000
	s_and_b32 vcc_lo, exec_lo, s5
	s_mov_b32 s5, 0
	s_wait_storecnt 0x0
	s_barrier_signal -1
	s_barrier_wait -1
	s_cbranch_vccnz .LBB849_91
.LBB849_75:                             ; =>This Inner Loop Header: Depth=1
	v_add_min_u32_e64 v34, v8, s4, 0x1000
	v_add_min_u32_e64 v36, v29, s4, 0x1000
	;; [unrolled: 1-line block ×5, first 2 shown]
	s_delay_alu instid0(VALU_DEP_4) | instskip(NEXT) | instid1(VALU_DEP_4)
	v_dual_lshlrev_b32 v34, 2, v34 :: v_dual_lshlrev_b32 v36, 2, v36
	v_lshlrev_b32_e32 v38, 2, v38
	v_add_min_u32_e64 v41, v37, s4, 0x1000
	s_mov_b32 s6, exec_lo
	ds_store_b32 v34, v17 offset:2048
	ds_store_b32 v36, v1 offset:2048
	v_add_min_u32_e64 v34, v28, s4, 0x1000
	v_lshlrev_b32_e32 v36, 2, v39
	ds_store_b32 v38, v19 offset:2048
	v_dual_lshlrev_b32 v38, 2, v40 :: v_dual_lshlrev_b32 v39, 2, v41
	v_add_min_u32_e64 v40, v13, s4, 0x1000
	v_lshlrev_b32_e32 v34, 2, v34
	ds_store_b32 v36, v18 offset:2048
	ds_store_b32 v38, v21 offset:2048
	;; [unrolled: 1-line block ×4, first 2 shown]
	v_add_min_u32_e64 v36, v12, s4, 0x1000
	v_add_min_u32_e64 v38, v11, s4, 0x1000
	v_lshlrev_b32_e32 v34, 2, v40
	v_add_min_u32_e64 v39, v10, s4, 0x1000
	v_add_min_u32_e64 v40, v9, s4, 0x1000
	ds_store_b32 v34, v22 offset:2048
	v_dual_lshlrev_b32 v34, 2, v36 :: v_dual_lshlrev_b32 v36, 2, v38
	v_dual_lshlrev_b32 v38, 2, v39 :: v_dual_lshlrev_b32 v39, 2, v40
	v_add_nc_u32_e32 v40, 0xfffff200, v30
	ds_store_b32 v34, v25 offset:2048
	ds_store_b32 v36, v24 offset:2048
	;; [unrolled: 1-line block ×4, first 2 shown]
	s_wait_storecnt_dscnt 0x0
	s_barrier_signal -1
	s_barrier_wait -1
	v_cmpx_gt_u32_e64 s18, v40
	s_cbranch_execz .LBB849_77
; %bb.76:                               ;   in Loop: Header=BB849_75 Depth=1
	ds_load_b32 v34, v32 offset:2048
	s_wait_dscnt 0x0
	v_lshrrev_b32_e32 v36, s16, v34
	v_xor_b32_e32 v34, 0x7fffffff, v34
	s_delay_alu instid0(VALU_DEP_2) | instskip(NEXT) | instid1(VALU_DEP_1)
	v_and_b32_e32 v36, s26, v36
	v_lshlrev_b32_e32 v36, 3, v36
	ds_load_b64 v[38:39], v36
	s_wait_dscnt 0x0
	v_lshl_add_u64 v[38:39], v[38:39], 2, v[6:7]
	global_store_b32 v[38:39], v34, off offset:-14336
.LBB849_77:                             ;   in Loop: Header=BB849_75 Depth=1
	s_wait_xcnt 0x0
	s_or_b32 exec_lo, exec_lo, s6
	v_add_nc_u32_e32 v34, 0xfffff400, v30
	s_mov_b32 s6, exec_lo
	s_delay_alu instid0(VALU_DEP_1)
	v_cmpx_gt_u32_e64 s18, v34
	s_cbranch_execz .LBB849_79
; %bb.78:                               ;   in Loop: Header=BB849_75 Depth=1
	ds_load_b32 v34, v32 offset:4096
	s_wait_dscnt 0x0
	v_lshrrev_b32_e32 v36, s16, v34
	v_xor_b32_e32 v34, 0x7fffffff, v34
	s_delay_alu instid0(VALU_DEP_2) | instskip(NEXT) | instid1(VALU_DEP_1)
	v_and_b32_e32 v36, s26, v36
	v_lshlrev_b32_e32 v36, 3, v36
	ds_load_b64 v[38:39], v36
	s_wait_dscnt 0x0
	v_lshl_add_u64 v[38:39], v[38:39], 2, v[6:7]
	global_store_b32 v[38:39], v34, off offset:-12288
.LBB849_79:                             ;   in Loop: Header=BB849_75 Depth=1
	s_wait_xcnt 0x0
	s_or_b32 exec_lo, exec_lo, s6
	v_add_nc_u32_e32 v34, 0xfffff600, v30
	s_mov_b32 s6, exec_lo
	s_delay_alu instid0(VALU_DEP_1)
	;; [unrolled: 20-line block ×6, first 2 shown]
	v_cmpx_gt_u32_e64 s18, v34
	s_cbranch_execz .LBB849_89
; %bb.88:                               ;   in Loop: Header=BB849_75 Depth=1
	ds_load_b32 v34, v32 offset:14336
	s_wait_dscnt 0x0
	v_lshrrev_b32_e32 v36, s16, v34
	v_xor_b32_e32 v34, 0x7fffffff, v34
	s_delay_alu instid0(VALU_DEP_2) | instskip(NEXT) | instid1(VALU_DEP_1)
	v_and_b32_e32 v36, s26, v36
	v_lshlrev_b32_e32 v36, 3, v36
	ds_load_b64 v[38:39], v36
	s_wait_dscnt 0x0
	v_lshl_add_u64 v[38:39], v[38:39], 2, v[6:7]
	global_store_b32 v[38:39], v34, off offset:-2048
.LBB849_89:                             ;   in Loop: Header=BB849_75 Depth=1
	s_wait_xcnt 0x0
	s_or_b32 exec_lo, exec_lo, s6
	s_delay_alu instid0(SALU_CYCLE_1)
	s_mov_b32 s6, exec_lo
	v_cmpx_gt_u32_e64 s18, v30
	s_cbranch_execz .LBB849_74
; %bb.90:                               ;   in Loop: Header=BB849_75 Depth=1
	ds_load_b32 v34, v32 offset:16384
	s_wait_dscnt 0x0
	v_lshrrev_b32_e32 v36, s16, v34
	v_xor_b32_e32 v34, 0x7fffffff, v34
	s_delay_alu instid0(VALU_DEP_2) | instskip(NEXT) | instid1(VALU_DEP_1)
	v_and_b32_e32 v36, s26, v36
	v_lshlrev_b32_e32 v36, 3, v36
	ds_load_b64 v[38:39], v36
	s_wait_dscnt 0x0
	v_lshl_add_u64 v[38:39], v[38:39], 2, v[6:7]
	global_store_b32 v[38:39], v34, off
	s_branch .LBB849_74
.LBB849_91:
	s_add_co_i32 s23, s23, -1
	s_delay_alu instid0(SALU_CYCLE_1) | instskip(SKIP_2) | instid1(SALU_CYCLE_1)
	s_cmp_eq_u32 s19, s23
	s_cselect_b32 s4, -1, 0
	s_xor_b32 s3, s3, -1
	s_and_b32 s4, s3, s4
	s_delay_alu instid0(SALU_CYCLE_1)
	s_and_saveexec_b32 s3, s4
	s_cbranch_execz .LBB849_93
; %bb.92:
	ds_load_b64 v[6:7], v5
	v_mov_b32_e32 v5, 0
	s_delay_alu instid0(VALU_DEP_1) | instskip(SKIP_1) | instid1(VALU_DEP_1)
	v_add_nc_u64_e32 v[2:3], v[2:3], v[4:5]
	s_wait_dscnt 0x0
	v_add_nc_u64_e32 v[2:3], v[2:3], v[6:7]
	global_store_b64 v14, v[2:3], s[10:11] scale_offset
.LBB849_93:
	s_wait_xcnt 0x0
	s_or_b32 exec_lo, exec_lo, s3
	s_mov_b32 s4, 0
.LBB849_94:
	s_delay_alu instid0(SALU_CYCLE_1)
	s_and_b32 vcc_lo, exec_lo, s4
	s_cbranch_vccz .LBB849_153
; %bb.95:
	s_mov_b32 s23, 0
	v_dual_mov_b32 v11, 0 :: v_dual_lshlrev_b32 v10, 2, v15
	s_lshl_b64 s[4:5], s[22:23], 2
	v_mul_u32_u24_e32 v1, 12, v16
	s_add_nc_u64 s[4:5], s[12:13], s[4:5]
	s_bfe_u32 s3, ttmp6, 0x4000c
	v_add_nc_u64_e32 v[2:3], s[4:5], v[10:11]
	s_add_co_i32 s3, s3, 1
	v_lshlrev_b32_e32 v10, 2, v1
	s_and_b32 s4, ttmp6, 15
	s_mul_i32 s3, ttmp9, s3
	s_delay_alu instid0(SALU_CYCLE_1) | instskip(NEXT) | instid1(VALU_DEP_1)
	s_add_co_i32 s4, s4, s3
	v_add_nc_u64_e32 v[18:19], v[2:3], v[10:11]
	s_cmp_eq_u32 s7, 0
	s_clause 0xb
	global_load_b32 v5, v[18:19], off
	global_load_b32 v12, v[18:19], off offset:128
	global_load_b32 v13, v[18:19], off offset:256
	;; [unrolled: 1-line block ×11, first 2 shown]
	s_load_b32 s12, s[0:1], 0x58
	s_cselect_b32 s3, ttmp9, s4
	s_load_u16 s4, s[0:1], 0x66
	s_wait_kmcnt 0x0
	s_cmp_lt_u32 s3, s12
	s_cselect_b32 s22, 12, 18
	s_lshl_b32 s13, -1, s17
	s_add_nc_u64 s[0:1], s[24:25], s[22:23]
	s_load_u16 s0, s[0:1], 0x0
	s_wait_loadcnt 0xb
	v_xor_b32_e32 v17, 0x7fffffff, v5
	v_bfe_u32 v5, v0, 10, 10
	v_bfe_u32 v0, v0, 20, 10
	s_delay_alu instid0(VALU_DEP_3) | instskip(NEXT) | instid1(VALU_DEP_2)
	v_lshrrev_b32_e32 v10, s16, v17
	v_mad_u32_u24 v0, v0, s4, v5
	s_delay_alu instid0(VALU_DEP_2) | instskip(SKIP_1) | instid1(VALU_DEP_2)
	v_bitop3_b32 v19, v10, s13, v10 bitop3:0x30
	s_wait_kmcnt 0x0
	v_mad_u32 v0, v0, s0, v14
	s_delay_alu instid0(VALU_DEP_2) | instskip(SKIP_4) | instid1(VALU_DEP_4)
	v_lshlrev_b32_e32 v21, 29, v19
	v_bitop3_b32 v5, v10, 1, s13 bitop3:0x40
	v_dual_lshlrev_b32 v18, 30, v19 :: v_dual_lshlrev_b32 v22, 28, v19
	v_dual_lshlrev_b32 v23, 27, v19 :: v_dual_lshlrev_b32 v24, 26, v19
	v_lshlrev_b32_e32 v25, 25, v19
	v_add_co_u32 v5, s0, v5, -1
	s_delay_alu instid0(VALU_DEP_1)
	v_cndmask_b32_e64 v10, 0, 1, s0
	v_cmp_gt_i32_e64 s0, 0, v18
	v_cmp_gt_i32_e64 s1, 0, v21
	;; [unrolled: 1-line block ×4, first 2 shown]
	v_cmp_ne_u32_e32 vcc_lo, 0, v10
	v_not_b32_e32 v10, v18
	v_lshlrev_b32_e32 v26, 24, v19
	v_not_b32_e32 v18, v21
	v_not_b32_e32 v21, v22
	v_not_b32_e32 v22, v23
	v_ashrrev_i32_e32 v10, 31, v10
	v_not_b32_e32 v23, v24
	v_dual_ashrrev_i32 v18, 31, v18 :: v_dual_bitop2_b32 v5, vcc_lo, v5 bitop3:0x14
	s_delay_alu instid0(VALU_DEP_3)
	v_dual_ashrrev_i32 v21, 31, v21 :: v_dual_bitop2_b32 v10, s0, v10 bitop3:0x14
	v_cmp_gt_i32_e64 s5, 0, v24
	v_cmp_gt_i32_e64 s6, 0, v25
	v_not_b32_e32 v24, v25
	v_not_b32_e32 v25, v26
	v_dual_ashrrev_i32 v22, 31, v22 :: v_dual_ashrrev_i32 v23, 31, v23
	v_xor_b32_e32 v18, s1, v18
	v_dual_lshrrev_b32 v0, 5, v0 :: v_dual_bitop2_b32 v21, s3, v21 bitop3:0x14
	v_bitop3_b32 v5, v5, v10, exec_lo bitop3:0x80
	v_cmp_gt_i32_e64 s7, 0, v26
	v_dual_ashrrev_i32 v10, 31, v24 :: v_dual_ashrrev_i32 v24, 31, v25
	v_xor_b32_e32 v22, s4, v22
	v_dual_lshlrev_b32 v0, 2, v0 :: v_dual_bitop2_b32 v23, s5, v23 bitop3:0x14
	v_bitop3_b32 v5, v5, v21, v18 bitop3:0x80
	s_delay_alu instid0(VALU_DEP_4)
	v_xor_b32_e32 v18, s6, v10
	v_xor_b32_e32 v21, s7, v24
	v_mul_u32_u24_e32 v10, 36, v14
	ds_store_2addr_b32 v10, v11, v11 offset0:16 offset1:17
	ds_store_2addr_b32 v10, v11, v11 offset0:18 offset1:19
	;; [unrolled: 1-line block ×4, first 2 shown]
	v_bitop3_b32 v5, v5, v23, v22 bitop3:0x80
	ds_store_b32 v10, v11 offset:96
	v_mad_u32 v11, 0x44, v19, v0
	s_not_b32 s6, s13
	s_wait_storecnt 0x0
	s_wait_loadcnt_dscnt 0x0
	v_bitop3_b32 v18, v5, v21, v18 bitop3:0x80
	s_barrier_signal -1
	s_barrier_wait -1
	s_delay_alu instid0(VALU_DEP_1) | instskip(SKIP_1) | instid1(VALU_DEP_2)
	v_mbcnt_lo_u32_b32 v5, v18, 0
	v_cmp_ne_u32_e64 s0, 0, v18
	; wave barrier
	v_cmp_eq_u32_e32 vcc_lo, 0, v5
	s_and_b32 s1, s0, vcc_lo
	s_delay_alu instid0(SALU_CYCLE_1)
	s_and_saveexec_b32 s0, s1
; %bb.96:
	v_bcnt_u32_b32 v18, v18, 0
	ds_store_b32 v11, v18 offset:64
; %bb.97:
	s_or_b32 exec_lo, exec_lo, s0
	v_xor_b32_e32 v18, 0x7fffffff, v12
	; wave barrier
	s_delay_alu instid0(VALU_DEP_1) | instskip(NEXT) | instid1(VALU_DEP_1)
	v_lshrrev_b32_e32 v12, s16, v18
	v_and_b32_e32 v19, s6, v12
	s_delay_alu instid0(VALU_DEP_1) | instskip(SKIP_1) | instid1(VALU_DEP_1)
	v_lshlrev_b32_e32 v23, 30, v19
	v_bitop3_b32 v21, v12, 1, s6 bitop3:0x80
	v_add_co_u32 v21, s0, v21, -1
	s_delay_alu instid0(VALU_DEP_1) | instskip(NEXT) | instid1(VALU_DEP_4)
	v_cndmask_b32_e64 v22, 0, 1, s0
	v_cmp_gt_i32_e64 s0, 0, v23
	s_delay_alu instid0(VALU_DEP_2) | instskip(SKIP_1) | instid1(VALU_DEP_1)
	v_cmp_ne_u32_e32 vcc_lo, 0, v22
	v_not_b32_e32 v22, v23
	v_dual_ashrrev_i32 v22, 31, v22 :: v_dual_lshlrev_b32 v24, 29, v19
	v_dual_lshlrev_b32 v25, 28, v19 :: v_dual_lshlrev_b32 v26, 27, v19
	v_lshlrev_b32_e32 v27, 26, v19
	v_mad_u32 v12, 0x44, v19, v0
	s_delay_alu instid0(VALU_DEP_4)
	v_cmp_gt_i32_e64 s1, 0, v24
	v_not_b32_e32 v23, v24
	v_not_b32_e32 v24, v25
	v_dual_lshlrev_b32 v28, 25, v19 :: v_dual_lshlrev_b32 v19, 24, v19
	v_cmp_gt_i32_e64 s3, 0, v25
	v_cmp_gt_i32_e64 s4, 0, v26
	v_not_b32_e32 v25, v26
	v_not_b32_e32 v26, v27
	v_dual_ashrrev_i32 v23, 31, v23 :: v_dual_bitop2_b32 v21, vcc_lo, v21 bitop3:0x14
	v_dual_ashrrev_i32 v24, 31, v24 :: v_dual_bitop2_b32 v22, s0, v22 bitop3:0x14
	v_cmp_gt_i32_e64 s5, 0, v27
	s_delay_alu instid0(VALU_DEP_4) | instskip(SKIP_1) | instid1(VALU_DEP_4)
	v_dual_ashrrev_i32 v25, 31, v25 :: v_dual_ashrrev_i32 v26, 31, v26
	v_not_b32_e32 v27, v19
	v_xor_b32_e32 v24, s3, v24
	v_bitop3_b32 v21, v21, v22, exec_lo bitop3:0x80
	v_not_b32_e32 v22, v28
	v_xor_b32_e32 v23, s1, v23
	v_xor_b32_e32 v25, s4, v25
	;; [unrolled: 1-line block ×3, first 2 shown]
	v_cmp_gt_i32_e32 vcc_lo, 0, v28
	v_ashrrev_i32_e32 v22, 31, v22
	v_cmp_gt_i32_e64 s0, 0, v19
	v_ashrrev_i32_e32 v19, 31, v27
	v_bitop3_b32 v21, v21, v24, v23 bitop3:0x80
	s_delay_alu instid0(VALU_DEP_4) | instskip(NEXT) | instid1(VALU_DEP_3)
	v_xor_b32_e32 v22, vcc_lo, v22
	v_xor_b32_e32 v19, s0, v19
	s_delay_alu instid0(VALU_DEP_3) | instskip(SKIP_2) | instid1(VALU_DEP_1)
	v_bitop3_b32 v23, v21, v26, v25 bitop3:0x80
	ds_load_b32 v21, v12 offset:64
	; wave barrier
	v_bitop3_b32 v19, v23, v19, v22 bitop3:0x80
	v_mbcnt_lo_u32_b32 v22, v19, 0
	v_cmp_ne_u32_e64 s0, 0, v19
	s_delay_alu instid0(VALU_DEP_2) | instskip(SKIP_1) | instid1(SALU_CYCLE_1)
	v_cmp_eq_u32_e32 vcc_lo, 0, v22
	s_and_b32 s1, s0, vcc_lo
	s_and_saveexec_b32 s0, s1
	s_cbranch_execz .LBB849_99
; %bb.98:
	s_wait_dscnt 0x0
	v_bcnt_u32_b32 v19, v19, v21
	ds_store_b32 v12, v19 offset:64
.LBB849_99:
	s_or_b32 exec_lo, exec_lo, s0
	v_xor_b32_e32 v19, 0x7fffffff, v13
	; wave barrier
	s_delay_alu instid0(VALU_DEP_1) | instskip(NEXT) | instid1(VALU_DEP_1)
	v_lshrrev_b32_e32 v13, s16, v19
	v_bitop3_b32 v24, v13, 1, s6 bitop3:0x80
	v_and_b32_e32 v23, s6, v13
	s_delay_alu instid0(VALU_DEP_2) | instskip(NEXT) | instid1(VALU_DEP_1)
	v_add_co_u32 v24, s0, v24, -1
	v_cndmask_b32_e64 v25, 0, 1, s0
	s_delay_alu instid0(VALU_DEP_3) | instskip(NEXT) | instid1(VALU_DEP_2)
	v_dual_lshlrev_b32 v26, 30, v23 :: v_dual_lshlrev_b32 v27, 29, v23
	v_cmp_ne_u32_e32 vcc_lo, 0, v25
	s_delay_alu instid0(VALU_DEP_2) | instskip(SKIP_1) | instid1(VALU_DEP_4)
	v_cmp_gt_i32_e64 s0, 0, v26
	v_not_b32_e32 v25, v26
	v_not_b32_e32 v26, v27
	v_cmp_gt_i32_e64 s1, 0, v27
	s_delay_alu instid0(VALU_DEP_3) | instskip(NEXT) | instid1(VALU_DEP_3)
	v_dual_ashrrev_i32 v25, 31, v25 :: v_dual_bitop2_b32 v24, vcc_lo, v24 bitop3:0x14
	v_dual_ashrrev_i32 v26, 31, v26 :: v_dual_lshlrev_b32 v28, 28, v23
	v_dual_lshlrev_b32 v29, 27, v23 :: v_dual_lshlrev_b32 v30, 26, v23
	v_lshlrev_b32_e32 v31, 25, v23
	v_mad_u32 v13, 0x44, v23, v0
	s_delay_alu instid0(VALU_DEP_4)
	v_not_b32_e32 v27, v28
	v_lshlrev_b32_e32 v23, 24, v23
	v_cmp_gt_i32_e64 s3, 0, v28
	v_cmp_gt_i32_e64 s4, 0, v29
	v_not_b32_e32 v28, v29
	v_not_b32_e32 v29, v30
	v_dual_ashrrev_i32 v27, 31, v27 :: v_dual_bitop2_b32 v25, s0, v25 bitop3:0x14
	v_cmp_gt_i32_e64 s5, 0, v30
	s_delay_alu instid0(VALU_DEP_3) | instskip(SKIP_1) | instid1(VALU_DEP_4)
	v_dual_ashrrev_i32 v28, 31, v28 :: v_dual_ashrrev_i32 v29, 31, v29
	v_not_b32_e32 v30, v23
	v_xor_b32_e32 v27, s3, v27
	v_bitop3_b32 v24, v24, v25, exec_lo bitop3:0x80
	v_not_b32_e32 v25, v31
	v_xor_b32_e32 v26, s1, v26
	v_xor_b32_e32 v28, s4, v28
	;; [unrolled: 1-line block ×3, first 2 shown]
	v_cmp_gt_i32_e32 vcc_lo, 0, v31
	v_ashrrev_i32_e32 v25, 31, v25
	v_cmp_gt_i32_e64 s0, 0, v23
	v_ashrrev_i32_e32 v23, 31, v30
	v_bitop3_b32 v24, v24, v27, v26 bitop3:0x80
	s_delay_alu instid0(VALU_DEP_4) | instskip(NEXT) | instid1(VALU_DEP_3)
	v_xor_b32_e32 v25, vcc_lo, v25
	v_xor_b32_e32 v23, s0, v23
	s_delay_alu instid0(VALU_DEP_3) | instskip(SKIP_2) | instid1(VALU_DEP_1)
	v_bitop3_b32 v26, v24, v29, v28 bitop3:0x80
	ds_load_b32 v24, v13 offset:64
	; wave barrier
	v_bitop3_b32 v23, v26, v23, v25 bitop3:0x80
	v_mbcnt_lo_u32_b32 v25, v23, 0
	v_cmp_ne_u32_e64 s0, 0, v23
	s_delay_alu instid0(VALU_DEP_2) | instskip(SKIP_1) | instid1(SALU_CYCLE_1)
	v_cmp_eq_u32_e32 vcc_lo, 0, v25
	s_and_b32 s1, s0, vcc_lo
	s_and_saveexec_b32 s0, s1
	s_cbranch_execz .LBB849_101
; %bb.100:
	s_wait_dscnt 0x0
	v_bcnt_u32_b32 v23, v23, v24
	ds_store_b32 v13, v23 offset:64
.LBB849_101:
	s_or_b32 exec_lo, exec_lo, s0
	v_xor_b32_e32 v20, 0x7fffffff, v20
	; wave barrier
	s_delay_alu instid0(VALU_DEP_1) | instskip(NEXT) | instid1(VALU_DEP_1)
	v_lshrrev_b32_e32 v23, s16, v20
	v_and_b32_e32 v26, s6, v23
	s_delay_alu instid0(VALU_DEP_1) | instskip(SKIP_2) | instid1(VALU_DEP_2)
	v_lshlrev_b32_e32 v28, 30, v26
	v_bitop3_b32 v23, v23, 1, s6 bitop3:0x80
	v_lshlrev_b32_e32 v29, 29, v26
	v_add_co_u32 v23, s0, v23, -1
	s_delay_alu instid0(VALU_DEP_1) | instskip(SKIP_1) | instid1(VALU_DEP_2)
	v_cndmask_b32_e64 v27, 0, 1, s0
	v_cmp_gt_i32_e64 s0, 0, v28
	v_cmp_ne_u32_e32 vcc_lo, 0, v27
	v_not_b32_e32 v27, v28
	v_not_b32_e32 v28, v29
	s_delay_alu instid0(VALU_DEP_1)
	v_dual_ashrrev_i32 v28, 31, v28 :: v_dual_lshlrev_b32 v30, 28, v26
	v_mad_u32 v33, 0x44, v26, v0
	v_dual_lshlrev_b32 v31, 27, v26 :: v_dual_lshlrev_b32 v32, 26, v26
	v_dual_lshlrev_b32 v34, 25, v26 :: v_dual_lshlrev_b32 v26, 24, v26
	v_cmp_gt_i32_e64 s1, 0, v29
	v_not_b32_e32 v29, v30
	v_ashrrev_i32_e32 v27, 31, v27
	v_cmp_gt_i32_e64 s3, 0, v30
	v_cmp_gt_i32_e64 s4, 0, v31
	v_not_b32_e32 v30, v31
	v_cmp_gt_i32_e64 s5, 0, v32
	v_not_b32_e32 v31, v32
	v_dual_ashrrev_i32 v29, 31, v29 :: v_dual_bitop2_b32 v23, vcc_lo, v23 bitop3:0x14
	v_not_b32_e32 v32, v26
	v_dual_ashrrev_i32 v30, 31, v30 :: v_dual_bitop2_b32 v27, s0, v27 bitop3:0x14
	s_delay_alu instid0(VALU_DEP_4) | instskip(SKIP_1) | instid1(VALU_DEP_4)
	v_dual_ashrrev_i32 v31, 31, v31 :: v_dual_bitop2_b32 v28, s1, v28 bitop3:0x14
	v_cmp_gt_i32_e64 s0, 0, v26
	v_ashrrev_i32_e32 v26, 31, v32
	s_delay_alu instid0(VALU_DEP_4)
	v_bitop3_b32 v23, v23, v27, exec_lo bitop3:0x80
	v_not_b32_e32 v27, v34
	v_xor_b32_e32 v29, s3, v29
	v_xor_b32_e32 v30, s4, v30
	;; [unrolled: 1-line block ×3, first 2 shown]
	v_cmp_gt_i32_e32 vcc_lo, 0, v34
	v_ashrrev_i32_e32 v27, 31, v27
	v_bitop3_b32 v23, v23, v29, v28 bitop3:0x80
	v_xor_b32_e32 v26, s0, v26
	s_delay_alu instid0(VALU_DEP_3) | instskip(NEXT) | instid1(VALU_DEP_3)
	v_xor_b32_e32 v28, vcc_lo, v27
	v_bitop3_b32 v23, v23, v31, v30 bitop3:0x80
	ds_load_b32 v27, v33 offset:64
	; wave barrier
	v_bitop3_b32 v23, v23, v26, v28 bitop3:0x80
	s_delay_alu instid0(VALU_DEP_1) | instskip(SKIP_1) | instid1(VALU_DEP_2)
	v_mbcnt_lo_u32_b32 v28, v23, 0
	v_cmp_ne_u32_e64 s0, 0, v23
	v_cmp_eq_u32_e32 vcc_lo, 0, v28
	s_and_b32 s1, s0, vcc_lo
	s_delay_alu instid0(SALU_CYCLE_1)
	s_and_saveexec_b32 s0, s1
	s_cbranch_execz .LBB849_103
; %bb.102:
	s_wait_dscnt 0x0
	v_bcnt_u32_b32 v23, v23, v27
	ds_store_b32 v33, v23 offset:64
.LBB849_103:
	s_or_b32 exec_lo, exec_lo, s0
	v_xor_b32_e32 v23, 0x7fffffff, v9
	; wave barrier
	s_delay_alu instid0(VALU_DEP_1) | instskip(NEXT) | instid1(VALU_DEP_1)
	v_lshrrev_b32_e32 v9, s16, v23
	v_and_b32_e32 v26, s6, v9
	s_delay_alu instid0(VALU_DEP_1) | instskip(SKIP_2) | instid1(VALU_DEP_2)
	v_lshlrev_b32_e32 v30, 30, v26
	v_bitop3_b32 v9, v9, 1, s6 bitop3:0x80
	v_lshlrev_b32_e32 v31, 29, v26
	v_add_co_u32 v9, s0, v9, -1
	s_delay_alu instid0(VALU_DEP_1) | instskip(SKIP_1) | instid1(VALU_DEP_2)
	v_cndmask_b32_e64 v29, 0, 1, s0
	v_cmp_gt_i32_e64 s0, 0, v30
	v_cmp_ne_u32_e32 vcc_lo, 0, v29
	v_not_b32_e32 v29, v30
	v_not_b32_e32 v30, v31
	s_delay_alu instid0(VALU_DEP_1) | instskip(SKIP_4) | instid1(VALU_DEP_4)
	v_ashrrev_i32_e32 v30, 31, v30
	v_dual_lshlrev_b32 v32, 28, v26 :: v_dual_lshlrev_b32 v34, 27, v26
	v_lshlrev_b32_e32 v35, 26, v26
	v_cmp_gt_i32_e64 s1, 0, v31
	v_mad_u32 v37, 0x44, v26, v0
	v_not_b32_e32 v31, v32
	v_dual_ashrrev_i32 v29, 31, v29 :: v_dual_lshlrev_b32 v36, 25, v26
	v_lshlrev_b32_e32 v26, 24, v26
	v_cmp_gt_i32_e64 s3, 0, v32
	v_cmp_gt_i32_e64 s4, 0, v34
	v_not_b32_e32 v32, v34
	v_not_b32_e32 v34, v35
	v_dual_ashrrev_i32 v31, 31, v31 :: v_dual_bitop2_b32 v9, vcc_lo, v9 bitop3:0x14
	v_xor_b32_e32 v29, s0, v29
	v_cmp_gt_i32_e64 s5, 0, v35
	s_delay_alu instid0(VALU_DEP_4) | instskip(NEXT) | instid1(VALU_DEP_4)
	v_dual_ashrrev_i32 v32, 31, v32 :: v_dual_ashrrev_i32 v34, 31, v34
	v_xor_b32_e32 v31, s3, v31
	s_delay_alu instid0(VALU_DEP_4)
	v_bitop3_b32 v9, v9, v29, exec_lo bitop3:0x80
	v_not_b32_e32 v29, v36
	v_xor_b32_e32 v30, s1, v30
	v_not_b32_e32 v35, v26
	v_xor_b32_e32 v32, s4, v32
	v_xor_b32_e32 v34, s5, v34
	v_cmp_gt_i32_e32 vcc_lo, 0, v36
	v_ashrrev_i32_e32 v29, 31, v29
	v_bitop3_b32 v9, v9, v31, v30 bitop3:0x80
	v_cmp_gt_i32_e64 s0, 0, v26
	v_ashrrev_i32_e32 v26, 31, v35
	ds_load_b32 v30, v37 offset:64
	v_xor_b32_e32 v29, vcc_lo, v29
	v_bitop3_b32 v9, v9, v34, v32 bitop3:0x80
	v_xor_b32_e32 v26, s0, v26
	; wave barrier
	s_delay_alu instid0(VALU_DEP_1) | instskip(NEXT) | instid1(VALU_DEP_1)
	v_bitop3_b32 v9, v9, v26, v29 bitop3:0x80
	v_mbcnt_lo_u32_b32 v31, v9, 0
	v_cmp_ne_u32_e64 s0, 0, v9
	s_delay_alu instid0(VALU_DEP_2) | instskip(SKIP_1) | instid1(SALU_CYCLE_1)
	v_cmp_eq_u32_e32 vcc_lo, 0, v31
	s_and_b32 s1, s0, vcc_lo
	s_and_saveexec_b32 s0, s1
	s_cbranch_execz .LBB849_105
; %bb.104:
	s_wait_dscnt 0x0
	v_bcnt_u32_b32 v9, v9, v30
	ds_store_b32 v37, v9 offset:64
.LBB849_105:
	s_or_b32 exec_lo, exec_lo, s0
	v_xor_b32_e32 v26, 0x7fffffff, v8
	; wave barrier
	s_delay_alu instid0(VALU_DEP_1) | instskip(NEXT) | instid1(VALU_DEP_1)
	v_lshrrev_b32_e32 v8, s16, v26
	v_and_b32_e32 v9, s6, v8
	s_delay_alu instid0(VALU_DEP_1) | instskip(SKIP_1) | instid1(VALU_DEP_1)
	v_lshlrev_b32_e32 v32, 30, v9
	v_bitop3_b32 v8, v8, 1, s6 bitop3:0x80
	v_add_co_u32 v8, s0, v8, -1
	s_delay_alu instid0(VALU_DEP_1) | instskip(NEXT) | instid1(VALU_DEP_4)
	v_cndmask_b32_e64 v29, 0, 1, s0
	v_cmp_gt_i32_e64 s0, 0, v32
	s_delay_alu instid0(VALU_DEP_2) | instskip(SKIP_1) | instid1(VALU_DEP_1)
	v_cmp_ne_u32_e32 vcc_lo, 0, v29
	v_not_b32_e32 v29, v32
	v_ashrrev_i32_e32 v29, 31, v29
	v_dual_lshlrev_b32 v34, 29, v9 :: v_dual_lshlrev_b32 v35, 28, v9
	v_dual_lshlrev_b32 v36, 27, v9 :: v_dual_lshlrev_b32 v38, 26, v9
	v_mad_u32 v40, 0x44, v9, v0
	s_delay_alu instid0(VALU_DEP_3)
	v_cmp_gt_i32_e64 s1, 0, v34
	v_not_b32_e32 v32, v34
	v_not_b32_e32 v34, v35
	v_dual_lshlrev_b32 v39, 25, v9 :: v_dual_lshlrev_b32 v9, 24, v9
	v_cmp_gt_i32_e64 s3, 0, v35
	v_cmp_gt_i32_e64 s4, 0, v36
	v_not_b32_e32 v35, v36
	v_not_b32_e32 v36, v38
	v_dual_ashrrev_i32 v34, 31, v34 :: v_dual_bitop2_b32 v8, vcc_lo, v8 bitop3:0x14
	v_dual_ashrrev_i32 v32, 31, v32 :: v_dual_bitop2_b32 v29, s0, v29 bitop3:0x14
	v_cmp_gt_i32_e64 s5, 0, v38
	s_delay_alu instid0(VALU_DEP_4) | instskip(NEXT) | instid1(VALU_DEP_4)
	v_dual_ashrrev_i32 v35, 31, v35 :: v_dual_ashrrev_i32 v36, 31, v36
	v_xor_b32_e32 v34, s3, v34
	s_delay_alu instid0(VALU_DEP_4)
	v_bitop3_b32 v8, v8, v29, exec_lo bitop3:0x80
	v_not_b32_e32 v29, v39
	v_xor_b32_e32 v32, s1, v32
	v_not_b32_e32 v38, v9
	v_xor_b32_e32 v35, s4, v35
	v_xor_b32_e32 v36, s5, v36
	v_cmp_gt_i32_e32 vcc_lo, 0, v39
	v_ashrrev_i32_e32 v29, 31, v29
	v_bitop3_b32 v8, v8, v34, v32 bitop3:0x80
	v_cmp_gt_i32_e64 s0, 0, v9
	v_ashrrev_i32_e32 v9, 31, v38
	ds_load_b32 v34, v40 offset:64
	v_xor_b32_e32 v29, vcc_lo, v29
	v_bitop3_b32 v8, v8, v36, v35 bitop3:0x80
	v_xor_b32_e32 v9, s0, v9
	; wave barrier
	s_delay_alu instid0(VALU_DEP_1) | instskip(NEXT) | instid1(VALU_DEP_1)
	v_bitop3_b32 v8, v8, v9, v29 bitop3:0x80
	v_mbcnt_lo_u32_b32 v35, v8, 0
	v_cmp_ne_u32_e64 s0, 0, v8
	s_delay_alu instid0(VALU_DEP_2) | instskip(SKIP_1) | instid1(SALU_CYCLE_1)
	v_cmp_eq_u32_e32 vcc_lo, 0, v35
	s_and_b32 s1, s0, vcc_lo
	s_and_saveexec_b32 s0, s1
	s_cbranch_execz .LBB849_107
; %bb.106:
	s_wait_dscnt 0x0
	v_bcnt_u32_b32 v8, v8, v34
	ds_store_b32 v40, v8 offset:64
.LBB849_107:
	s_or_b32 exec_lo, exec_lo, s0
	v_xor_b32_e32 v29, 0x7fffffff, v7
	; wave barrier
	s_delay_alu instid0(VALU_DEP_1) | instskip(NEXT) | instid1(VALU_DEP_1)
	v_lshrrev_b32_e32 v7, s16, v29
	v_and_b32_e32 v8, s6, v7
	s_delay_alu instid0(VALU_DEP_1) | instskip(SKIP_1) | instid1(VALU_DEP_1)
	v_lshlrev_b32_e32 v32, 30, v8
	v_bitop3_b32 v7, v7, 1, s6 bitop3:0x80
	v_add_co_u32 v7, s0, v7, -1
	s_delay_alu instid0(VALU_DEP_1) | instskip(NEXT) | instid1(VALU_DEP_4)
	v_cndmask_b32_e64 v9, 0, 1, s0
	v_cmp_gt_i32_e64 s0, 0, v32
	s_delay_alu instid0(VALU_DEP_2) | instskip(SKIP_1) | instid1(VALU_DEP_1)
	v_cmp_ne_u32_e32 vcc_lo, 0, v9
	v_not_b32_e32 v9, v32
	v_dual_ashrrev_i32 v9, 31, v9 :: v_dual_lshlrev_b32 v36, 29, v8
	v_dual_lshlrev_b32 v38, 28, v8 :: v_dual_lshlrev_b32 v39, 27, v8
	v_lshlrev_b32_e32 v41, 26, v8
	v_mad_u32 v44, 0x44, v8, v0
	s_delay_alu instid0(VALU_DEP_4)
	v_cmp_gt_i32_e64 s1, 0, v36
	v_not_b32_e32 v32, v36
	v_not_b32_e32 v36, v38
	v_dual_lshlrev_b32 v42, 25, v8 :: v_dual_lshlrev_b32 v8, 24, v8
	v_cmp_gt_i32_e64 s3, 0, v38
	v_cmp_gt_i32_e64 s4, 0, v39
	v_not_b32_e32 v38, v39
	v_not_b32_e32 v39, v41
	v_dual_ashrrev_i32 v32, 31, v32 :: v_dual_bitop2_b32 v7, vcc_lo, v7 bitop3:0x14
	v_dual_ashrrev_i32 v36, 31, v36 :: v_dual_bitop2_b32 v9, s0, v9 bitop3:0x14
	v_cmp_gt_i32_e64 s5, 0, v41
	s_delay_alu instid0(VALU_DEP_4) | instskip(SKIP_1) | instid1(VALU_DEP_4)
	v_dual_ashrrev_i32 v38, 31, v38 :: v_dual_ashrrev_i32 v39, 31, v39
	v_not_b32_e32 v41, v8
	v_xor_b32_e32 v36, s3, v36
	v_bitop3_b32 v7, v7, v9, exec_lo bitop3:0x80
	v_not_b32_e32 v9, v42
	v_xor_b32_e32 v32, s1, v32
	v_xor_b32_e32 v38, s4, v38
	;; [unrolled: 1-line block ×3, first 2 shown]
	v_cmp_gt_i32_e32 vcc_lo, 0, v42
	v_ashrrev_i32_e32 v9, 31, v9
	v_cmp_gt_i32_e64 s0, 0, v8
	v_ashrrev_i32_e32 v8, 31, v41
	v_bitop3_b32 v7, v7, v36, v32 bitop3:0x80
	s_delay_alu instid0(VALU_DEP_4) | instskip(NEXT) | instid1(VALU_DEP_3)
	v_xor_b32_e32 v9, vcc_lo, v9
	v_xor_b32_e32 v8, s0, v8
	s_delay_alu instid0(VALU_DEP_3) | instskip(SKIP_2) | instid1(VALU_DEP_1)
	v_bitop3_b32 v7, v7, v39, v38 bitop3:0x80
	ds_load_b32 v38, v44 offset:64
	; wave barrier
	v_bitop3_b32 v7, v7, v8, v9 bitop3:0x80
	v_mbcnt_lo_u32_b32 v39, v7, 0
	v_cmp_ne_u32_e64 s0, 0, v7
	s_delay_alu instid0(VALU_DEP_2) | instskip(SKIP_1) | instid1(SALU_CYCLE_1)
	v_cmp_eq_u32_e32 vcc_lo, 0, v39
	s_and_b32 s1, s0, vcc_lo
	s_and_saveexec_b32 s0, s1
	s_cbranch_execz .LBB849_109
; %bb.108:
	s_wait_dscnt 0x0
	v_bcnt_u32_b32 v7, v7, v38
	ds_store_b32 v44, v7 offset:64
.LBB849_109:
	s_or_b32 exec_lo, exec_lo, s0
	v_xor_b32_e32 v32, 0x7fffffff, v6
	; wave barrier
	s_delay_alu instid0(VALU_DEP_1) | instskip(NEXT) | instid1(VALU_DEP_1)
	v_lshrrev_b32_e32 v6, s16, v32
	v_and_b32_e32 v7, s6, v6
	s_delay_alu instid0(VALU_DEP_1) | instskip(SKIP_1) | instid1(VALU_DEP_1)
	v_lshlrev_b32_e32 v9, 30, v7
	v_bitop3_b32 v6, v6, 1, s6 bitop3:0x80
	v_add_co_u32 v6, s0, v6, -1
	s_delay_alu instid0(VALU_DEP_1) | instskip(NEXT) | instid1(VALU_DEP_4)
	v_cndmask_b32_e64 v8, 0, 1, s0
	v_cmp_gt_i32_e64 s0, 0, v9
	s_delay_alu instid0(VALU_DEP_2) | instskip(SKIP_1) | instid1(VALU_DEP_1)
	v_cmp_ne_u32_e32 vcc_lo, 0, v8
	v_not_b32_e32 v8, v9
	v_dual_ashrrev_i32 v8, 31, v8 :: v_dual_lshlrev_b32 v36, 29, v7
	v_dual_lshlrev_b32 v41, 28, v7 :: v_dual_lshlrev_b32 v42, 27, v7
	v_lshlrev_b32_e32 v43, 26, v7
	v_mad_u32 v47, 0x44, v7, v0
	s_delay_alu instid0(VALU_DEP_4)
	v_cmp_gt_i32_e64 s1, 0, v36
	v_not_b32_e32 v9, v36
	v_not_b32_e32 v36, v41
	v_dual_lshlrev_b32 v45, 25, v7 :: v_dual_lshlrev_b32 v7, 24, v7
	v_cmp_gt_i32_e64 s3, 0, v41
	v_cmp_gt_i32_e64 s4, 0, v42
	v_not_b32_e32 v41, v42
	v_not_b32_e32 v42, v43
	v_dual_ashrrev_i32 v9, 31, v9 :: v_dual_bitop2_b32 v6, vcc_lo, v6 bitop3:0x14
	s_delay_alu instid0(VALU_DEP_3) | instskip(NEXT) | instid1(VALU_DEP_3)
	v_dual_ashrrev_i32 v36, 31, v36 :: v_dual_ashrrev_i32 v41, 31, v41
	v_dual_ashrrev_i32 v42, 31, v42 :: v_dual_bitop2_b32 v8, s0, v8 bitop3:0x14
	v_cmp_gt_i32_e64 s5, 0, v43
	v_not_b32_e32 v43, v7
	s_delay_alu instid0(VALU_DEP_4) | instskip(NEXT) | instid1(VALU_DEP_4)
	v_xor_b32_e32 v36, s3, v36
	v_bitop3_b32 v6, v6, v8, exec_lo bitop3:0x80
	v_not_b32_e32 v8, v45
	v_xor_b32_e32 v9, s1, v9
	v_xor_b32_e32 v41, s4, v41
	;; [unrolled: 1-line block ×3, first 2 shown]
	v_cmp_gt_i32_e32 vcc_lo, 0, v45
	v_ashrrev_i32_e32 v8, 31, v8
	v_cmp_gt_i32_e64 s0, 0, v7
	v_ashrrev_i32_e32 v7, 31, v43
	v_bitop3_b32 v6, v6, v36, v9 bitop3:0x80
	s_delay_alu instid0(VALU_DEP_4) | instskip(NEXT) | instid1(VALU_DEP_3)
	v_xor_b32_e32 v8, vcc_lo, v8
	v_xor_b32_e32 v7, s0, v7
	s_delay_alu instid0(VALU_DEP_3) | instskip(SKIP_2) | instid1(VALU_DEP_1)
	v_bitop3_b32 v6, v6, v42, v41 bitop3:0x80
	ds_load_b32 v42, v47 offset:64
	; wave barrier
	v_bitop3_b32 v6, v6, v7, v8 bitop3:0x80
	v_mbcnt_lo_u32_b32 v43, v6, 0
	v_cmp_ne_u32_e64 s0, 0, v6
	s_delay_alu instid0(VALU_DEP_2) | instskip(SKIP_1) | instid1(SALU_CYCLE_1)
	v_cmp_eq_u32_e32 vcc_lo, 0, v43
	s_and_b32 s1, s0, vcc_lo
	s_and_saveexec_b32 s0, s1
	s_cbranch_execz .LBB849_111
; %bb.110:
	s_wait_dscnt 0x0
	v_bcnt_u32_b32 v6, v6, v42
	ds_store_b32 v47, v6 offset:64
.LBB849_111:
	s_or_b32 exec_lo, exec_lo, s0
	v_xor_b32_e32 v36, 0x7fffffff, v4
	; wave barrier
	s_delay_alu instid0(VALU_DEP_1) | instskip(NEXT) | instid1(VALU_DEP_1)
	v_lshrrev_b32_e32 v4, s16, v36
	v_and_b32_e32 v6, s6, v4
	s_delay_alu instid0(VALU_DEP_1) | instskip(SKIP_1) | instid1(VALU_DEP_1)
	v_lshlrev_b32_e32 v8, 30, v6
	v_bitop3_b32 v4, v4, 1, s6 bitop3:0x80
	v_add_co_u32 v4, s0, v4, -1
	s_delay_alu instid0(VALU_DEP_1) | instskip(NEXT) | instid1(VALU_DEP_4)
	v_cndmask_b32_e64 v7, 0, 1, s0
	v_cmp_gt_i32_e64 s0, 0, v8
	s_delay_alu instid0(VALU_DEP_2) | instskip(SKIP_1) | instid1(VALU_DEP_1)
	v_cmp_ne_u32_e32 vcc_lo, 0, v7
	v_not_b32_e32 v7, v8
	v_dual_ashrrev_i32 v7, 31, v7 :: v_dual_lshlrev_b32 v9, 29, v6
	v_dual_lshlrev_b32 v41, 28, v6 :: v_dual_lshlrev_b32 v45, 27, v6
	v_lshlrev_b32_e32 v46, 26, v6
	v_mad_u32 v51, 0x44, v6, v0
	s_delay_alu instid0(VALU_DEP_4)
	v_cmp_gt_i32_e64 s1, 0, v9
	v_not_b32_e32 v8, v9
	v_not_b32_e32 v9, v41
	v_dual_lshlrev_b32 v48, 25, v6 :: v_dual_lshlrev_b32 v6, 24, v6
	v_cmp_gt_i32_e64 s3, 0, v41
	v_cmp_gt_i32_e64 s4, 0, v45
	v_not_b32_e32 v41, v45
	v_not_b32_e32 v45, v46
	v_dual_ashrrev_i32 v9, 31, v9 :: v_dual_bitop2_b32 v4, vcc_lo, v4 bitop3:0x14
	v_dual_ashrrev_i32 v8, 31, v8 :: v_dual_bitop2_b32 v7, s0, v7 bitop3:0x14
	v_cmp_gt_i32_e64 s5, 0, v46
	v_ashrrev_i32_e32 v41, 31, v41
	v_not_b32_e32 v46, v6
	s_delay_alu instid0(VALU_DEP_4)
	v_xor_b32_e32 v8, s1, v8
	v_xor_b32_e32 v9, s3, v9
	v_bitop3_b32 v4, v4, v7, exec_lo bitop3:0x80
	v_not_b32_e32 v7, v48
	v_ashrrev_i32_e32 v45, 31, v45
	v_xor_b32_e32 v41, s4, v41
	v_cmp_gt_i32_e32 vcc_lo, 0, v48
	v_cmp_gt_i32_e64 s0, 0, v6
	s_delay_alu instid0(VALU_DEP_4)
	v_dual_ashrrev_i32 v7, 31, v7 :: v_dual_bitop2_b32 v45, s5, v45 bitop3:0x14
	v_ashrrev_i32_e32 v6, 31, v46
	v_bitop3_b32 v4, v4, v9, v8 bitop3:0x80
	ds_load_b32 v46, v51 offset:64
	v_xor_b32_e32 v7, vcc_lo, v7
	v_xor_b32_e32 v6, s0, v6
	v_bitop3_b32 v4, v4, v45, v41 bitop3:0x80
	; wave barrier
	s_delay_alu instid0(VALU_DEP_1) | instskip(NEXT) | instid1(VALU_DEP_1)
	v_bitop3_b32 v4, v4, v6, v7 bitop3:0x80
	v_mbcnt_lo_u32_b32 v48, v4, 0
	v_cmp_ne_u32_e64 s0, 0, v4
	s_delay_alu instid0(VALU_DEP_2) | instskip(SKIP_1) | instid1(SALU_CYCLE_1)
	v_cmp_eq_u32_e32 vcc_lo, 0, v48
	s_and_b32 s1, s0, vcc_lo
	s_and_saveexec_b32 s0, s1
	s_cbranch_execz .LBB849_113
; %bb.112:
	s_wait_dscnt 0x0
	v_bcnt_u32_b32 v4, v4, v46
	ds_store_b32 v51, v4 offset:64
.LBB849_113:
	s_or_b32 exec_lo, exec_lo, s0
	v_xor_b32_e32 v41, 0x7fffffff, v3
	; wave barrier
	s_delay_alu instid0(VALU_DEP_1) | instskip(NEXT) | instid1(VALU_DEP_1)
	v_lshrrev_b32_e32 v3, s16, v41
	v_and_b32_e32 v4, s6, v3
	s_delay_alu instid0(VALU_DEP_1) | instskip(SKIP_1) | instid1(VALU_DEP_1)
	v_lshlrev_b32_e32 v7, 30, v4
	v_bitop3_b32 v3, v3, 1, s6 bitop3:0x80
	v_add_co_u32 v3, s0, v3, -1
	s_delay_alu instid0(VALU_DEP_1) | instskip(NEXT) | instid1(VALU_DEP_4)
	v_cndmask_b32_e64 v6, 0, 1, s0
	v_cmp_gt_i32_e64 s0, 0, v7
	s_delay_alu instid0(VALU_DEP_2) | instskip(SKIP_1) | instid1(VALU_DEP_1)
	v_cmp_ne_u32_e32 vcc_lo, 0, v6
	v_not_b32_e32 v6, v7
	v_dual_ashrrev_i32 v6, 31, v6 :: v_dual_lshlrev_b32 v8, 29, v4
	v_dual_lshlrev_b32 v9, 28, v4 :: v_dual_lshlrev_b32 v45, 27, v4
	v_lshlrev_b32_e32 v49, 26, v4
	v_mad_u32 v54, 0x44, v4, v0
	s_delay_alu instid0(VALU_DEP_4)
	v_cmp_gt_i32_e64 s1, 0, v8
	v_not_b32_e32 v7, v8
	v_not_b32_e32 v8, v9
	v_dual_lshlrev_b32 v50, 25, v4 :: v_dual_lshlrev_b32 v4, 24, v4
	v_cmp_gt_i32_e64 s3, 0, v9
	v_cmp_gt_i32_e64 s4, 0, v45
	v_not_b32_e32 v9, v45
	v_not_b32_e32 v45, v49
	v_dual_ashrrev_i32 v8, 31, v8 :: v_dual_bitop2_b32 v3, vcc_lo, v3 bitop3:0x14
	v_dual_ashrrev_i32 v7, 31, v7 :: v_dual_bitop2_b32 v6, s0, v6 bitop3:0x14
	v_cmp_gt_i32_e64 s5, 0, v49
	v_ashrrev_i32_e32 v9, 31, v9
	s_delay_alu instid0(VALU_DEP_4) | instskip(NEXT) | instid1(VALU_DEP_4)
	v_dual_ashrrev_i32 v45, 31, v45 :: v_dual_bitop2_b32 v8, s3, v8 bitop3:0x14
	v_xor_b32_e32 v7, s1, v7
	v_bitop3_b32 v3, v3, v6, exec_lo bitop3:0x80
	v_not_b32_e32 v6, v50
	v_not_b32_e32 v49, v4
	v_xor_b32_e32 v9, s4, v9
	v_xor_b32_e32 v45, s5, v45
	v_bitop3_b32 v3, v3, v8, v7 bitop3:0x80
	v_cmp_gt_i32_e32 vcc_lo, 0, v50
	v_ashrrev_i32_e32 v6, 31, v6
	v_cmp_gt_i32_e64 s0, 0, v4
	v_ashrrev_i32_e32 v4, 31, v49
	v_bitop3_b32 v3, v3, v45, v9 bitop3:0x80
	ds_load_b32 v50, v54 offset:64
	v_xor_b32_e32 v6, vcc_lo, v6
	v_xor_b32_e32 v4, s0, v4
	; wave barrier
	s_delay_alu instid0(VALU_DEP_1) | instskip(NEXT) | instid1(VALU_DEP_1)
	v_bitop3_b32 v3, v3, v4, v6 bitop3:0x80
	v_mbcnt_lo_u32_b32 v52, v3, 0
	v_cmp_ne_u32_e64 s0, 0, v3
	s_delay_alu instid0(VALU_DEP_2) | instskip(SKIP_1) | instid1(SALU_CYCLE_1)
	v_cmp_eq_u32_e32 vcc_lo, 0, v52
	s_and_b32 s1, s0, vcc_lo
	s_and_saveexec_b32 s0, s1
	s_cbranch_execz .LBB849_115
; %bb.114:
	s_wait_dscnt 0x0
	v_bcnt_u32_b32 v3, v3, v50
	ds_store_b32 v54, v3 offset:64
.LBB849_115:
	s_or_b32 exec_lo, exec_lo, s0
	v_xor_b32_e32 v45, 0x7fffffff, v2
	; wave barrier
	s_delay_alu instid0(VALU_DEP_1) | instskip(NEXT) | instid1(VALU_DEP_1)
	v_lshrrev_b32_e32 v2, s16, v45
	v_and_b32_e32 v3, s6, v2
	s_delay_alu instid0(VALU_DEP_1) | instskip(SKIP_1) | instid1(VALU_DEP_1)
	v_lshlrev_b32_e32 v6, 30, v3
	v_bitop3_b32 v2, v2, 1, s6 bitop3:0x80
	v_add_co_u32 v2, s0, v2, -1
	s_delay_alu instid0(VALU_DEP_1) | instskip(NEXT) | instid1(VALU_DEP_4)
	v_cndmask_b32_e64 v4, 0, 1, s0
	v_cmp_gt_i32_e64 s0, 0, v6
	s_delay_alu instid0(VALU_DEP_2) | instskip(SKIP_1) | instid1(VALU_DEP_1)
	v_cmp_ne_u32_e32 vcc_lo, 0, v4
	v_not_b32_e32 v4, v6
	v_dual_ashrrev_i32 v4, 31, v4 :: v_dual_lshlrev_b32 v7, 29, v3
	v_dual_lshlrev_b32 v8, 28, v3 :: v_dual_lshlrev_b32 v9, 27, v3
	v_lshlrev_b32_e32 v49, 26, v3
	v_mad_u32 v56, 0x44, v3, v0
	s_delay_alu instid0(VALU_DEP_4)
	v_cmp_gt_i32_e64 s1, 0, v7
	v_not_b32_e32 v6, v7
	v_not_b32_e32 v7, v8
	v_dual_lshlrev_b32 v53, 25, v3 :: v_dual_lshlrev_b32 v3, 24, v3
	v_cmp_gt_i32_e64 s3, 0, v8
	v_cmp_gt_i32_e64 s4, 0, v9
	v_not_b32_e32 v8, v9
	v_not_b32_e32 v9, v49
	v_dual_ashrrev_i32 v7, 31, v7 :: v_dual_bitop2_b32 v2, vcc_lo, v2 bitop3:0x14
	v_dual_ashrrev_i32 v6, 31, v6 :: v_dual_bitop2_b32 v4, s0, v4 bitop3:0x14
	v_cmp_gt_i32_e64 s5, 0, v49
	s_delay_alu instid0(VALU_DEP_4)
	v_dual_ashrrev_i32 v8, 31, v8 :: v_dual_ashrrev_i32 v9, 31, v9
	v_not_b32_e32 v49, v3
	v_xor_b32_e32 v7, s3, v7
	v_bitop3_b32 v2, v2, v4, exec_lo bitop3:0x80
	v_not_b32_e32 v4, v53
	v_xor_b32_e32 v6, s1, v6
	v_xor_b32_e32 v8, s4, v8
	;; [unrolled: 1-line block ×3, first 2 shown]
	v_cmp_gt_i32_e32 vcc_lo, 0, v53
	v_ashrrev_i32_e32 v4, 31, v4
	v_cmp_gt_i32_e64 s0, 0, v3
	v_ashrrev_i32_e32 v3, 31, v49
	v_bitop3_b32 v2, v2, v7, v6 bitop3:0x80
	ds_load_b32 v53, v56 offset:64
	v_xor_b32_e32 v4, vcc_lo, v4
	v_xor_b32_e32 v3, s0, v3
	v_bitop3_b32 v2, v2, v9, v8 bitop3:0x80
	; wave barrier
	s_delay_alu instid0(VALU_DEP_1) | instskip(NEXT) | instid1(VALU_DEP_1)
	v_bitop3_b32 v2, v2, v3, v4 bitop3:0x80
	v_mbcnt_lo_u32_b32 v55, v2, 0
	v_cmp_ne_u32_e64 s0, 0, v2
	s_delay_alu instid0(VALU_DEP_2) | instskip(SKIP_1) | instid1(SALU_CYCLE_1)
	v_cmp_eq_u32_e32 vcc_lo, 0, v55
	s_and_b32 s1, s0, vcc_lo
	s_and_saveexec_b32 s0, s1
	s_cbranch_execz .LBB849_117
; %bb.116:
	s_wait_dscnt 0x0
	v_bcnt_u32_b32 v2, v2, v53
	ds_store_b32 v56, v2 offset:64
.LBB849_117:
	s_or_b32 exec_lo, exec_lo, s0
	v_xor_b32_e32 v49, 0x7fffffff, v1
	; wave barrier
	s_delay_alu instid0(VALU_DEP_1) | instskip(NEXT) | instid1(VALU_DEP_1)
	v_lshrrev_b32_e32 v1, s16, v49
	v_and_b32_e32 v2, s6, v1
	s_delay_alu instid0(VALU_DEP_1) | instskip(SKIP_2) | instid1(VALU_DEP_2)
	v_lshlrev_b32_e32 v3, 30, v2
	v_bitop3_b32 v1, v1, 1, s6 bitop3:0x80
	v_mad_u32 v59, 0x44, v2, v0
	v_add_co_u32 v0, s0, v1, -1
	s_delay_alu instid0(VALU_DEP_1) | instskip(SKIP_4) | instid1(VALU_DEP_1)
	v_cndmask_b32_e64 v1, 0, 1, s0
	v_cmp_gt_i32_e64 s0, 0, v3
	ds_load_b32 v57, v59 offset:64
	v_cmp_ne_u32_e32 vcc_lo, 0, v1
	v_not_b32_e32 v1, v3
	; wave barrier
	v_dual_ashrrev_i32 v1, 31, v1 :: v_dual_lshlrev_b32 v4, 29, v2
	v_dual_lshlrev_b32 v6, 28, v2 :: v_dual_lshlrev_b32 v7, 27, v2
	v_dual_lshlrev_b32 v8, 26, v2 :: v_dual_lshlrev_b32 v9, 25, v2
	v_lshlrev_b32_e32 v2, 24, v2
	s_delay_alu instid0(VALU_DEP_4)
	v_cmp_gt_i32_e64 s1, 0, v4
	v_not_b32_e32 v3, v4
	v_not_b32_e32 v4, v6
	v_cmp_gt_i32_e64 s3, 0, v6
	v_cmp_gt_i32_e64 s4, 0, v7
	v_not_b32_e32 v6, v7
	v_not_b32_e32 v7, v8
	v_dual_ashrrev_i32 v3, 31, v3 :: v_dual_bitop2_b32 v0, vcc_lo, v0 bitop3:0x14
	v_dual_ashrrev_i32 v4, 31, v4 :: v_dual_bitop2_b32 v1, s0, v1 bitop3:0x14
	v_cmp_gt_i32_e64 s5, 0, v8
	s_delay_alu instid0(VALU_DEP_4) | instskip(NEXT) | instid1(VALU_DEP_3)
	v_dual_ashrrev_i32 v6, 31, v6 :: v_dual_ashrrev_i32 v7, 31, v7
	v_xor_b32_e32 v4, s3, v4
	s_delay_alu instid0(VALU_DEP_4)
	v_bitop3_b32 v0, v0, v1, exec_lo bitop3:0x80
	v_not_b32_e32 v1, v9
	v_xor_b32_e32 v3, s1, v3
	v_not_b32_e32 v8, v2
	v_xor_b32_e32 v6, s4, v6
	v_xor_b32_e32 v7, s5, v7
	v_cmp_gt_i32_e32 vcc_lo, 0, v9
	v_ashrrev_i32_e32 v1, 31, v1
	v_bitop3_b32 v0, v0, v4, v3 bitop3:0x80
	v_cmp_gt_i32_e64 s0, 0, v2
	s_delay_alu instid0(VALU_DEP_3) | instskip(NEXT) | instid1(VALU_DEP_3)
	v_dual_ashrrev_i32 v2, 31, v8 :: v_dual_bitop2_b32 v1, vcc_lo, v1 bitop3:0x14
	v_bitop3_b32 v0, v0, v7, v6 bitop3:0x80
	s_delay_alu instid0(VALU_DEP_2) | instskip(NEXT) | instid1(VALU_DEP_1)
	v_xor_b32_e32 v2, s0, v2
	v_bitop3_b32 v0, v0, v2, v1 bitop3:0x80
	s_delay_alu instid0(VALU_DEP_1) | instskip(SKIP_1) | instid1(VALU_DEP_2)
	v_mbcnt_lo_u32_b32 v58, v0, 0
	v_cmp_ne_u32_e64 s0, 0, v0
	v_cmp_eq_u32_e32 vcc_lo, 0, v58
	s_and_b32 s1, s0, vcc_lo
	s_delay_alu instid0(SALU_CYCLE_1)
	s_and_saveexec_b32 s0, s1
	s_cbranch_execz .LBB849_119
; %bb.118:
	s_wait_dscnt 0x0
	v_bcnt_u32_b32 v0, v0, v57
	ds_store_b32 v59, v0 offset:64
.LBB849_119:
	s_or_b32 exec_lo, exec_lo, s0
	; wave barrier
	s_wait_dscnt 0x0
	s_barrier_signal -1
	s_barrier_wait -1
	ds_load_2addr_b32 v[8:9], v10 offset0:16 offset1:17
	ds_load_2addr_b32 v[6:7], v10 offset0:18 offset1:19
	;; [unrolled: 1-line block ×4, first 2 shown]
	ds_load_b32 v4, v10 offset:96
	v_min_u32_e32 v16, 0x1e0, v16
	s_mov_b32 s5, exec_lo
	s_wait_dscnt 0x3
	v_add3_u32 v60, v9, v8, v6
	s_wait_dscnt 0x2
	s_delay_alu instid0(VALU_DEP_1) | instskip(SKIP_1) | instid1(VALU_DEP_1)
	v_add3_u32 v60, v60, v7, v2
	s_wait_dscnt 0x1
	v_add3_u32 v60, v60, v3, v0
	s_wait_dscnt 0x0
	s_delay_alu instid0(VALU_DEP_1) | instskip(SKIP_1) | instid1(VALU_DEP_2)
	v_add3_u32 v4, v60, v1, v4
	v_and_b32_e32 v60, 15, v15
	v_mov_b32_dpp v61, v4 row_shr:1 row_mask:0xf bank_mask:0xf
	s_delay_alu instid0(VALU_DEP_2) | instskip(NEXT) | instid1(VALU_DEP_2)
	v_cmp_eq_u32_e32 vcc_lo, 0, v60
	v_cndmask_b32_e64 v61, v61, 0, vcc_lo
	s_delay_alu instid0(VALU_DEP_1) | instskip(SKIP_3) | instid1(VALU_DEP_4)
	v_add_nc_u32_e32 v4, v61, v4
	v_cmp_lt_u32_e64 s0, 1, v60
	v_cmp_lt_u32_e64 s1, 3, v60
	;; [unrolled: 1-line block ×3, first 2 shown]
	v_mov_b32_dpp v61, v4 row_shr:2 row_mask:0xf bank_mask:0xf
	s_delay_alu instid0(VALU_DEP_1) | instskip(NEXT) | instid1(VALU_DEP_1)
	v_cndmask_b32_e64 v61, 0, v61, s0
	v_add_nc_u32_e32 v4, v4, v61
	s_delay_alu instid0(VALU_DEP_1) | instskip(NEXT) | instid1(VALU_DEP_1)
	v_mov_b32_dpp v61, v4 row_shr:4 row_mask:0xf bank_mask:0xf
	v_cndmask_b32_e64 v61, 0, v61, s1
	s_delay_alu instid0(VALU_DEP_1) | instskip(NEXT) | instid1(VALU_DEP_1)
	v_add_nc_u32_e32 v4, v4, v61
	v_mov_b32_dpp v61, v4 row_shr:8 row_mask:0xf bank_mask:0xf
	s_delay_alu instid0(VALU_DEP_1) | instskip(SKIP_1) | instid1(VALU_DEP_2)
	v_cndmask_b32_e64 v60, 0, v61, s3
	v_bfe_i32 v61, v15, 4, 1
	v_add_nc_u32_e32 v4, v4, v60
	ds_swizzle_b32 v60, v4 offset:swizzle(BROADCAST,32,15)
	s_wait_dscnt 0x0
	v_dual_lshrrev_b32 v60, 5, v14 :: v_dual_bitop2_b32 v61, v61, v60 bitop3:0x40
	s_delay_alu instid0(VALU_DEP_1) | instskip(NEXT) | instid1(VALU_DEP_1)
	v_dual_add_nc_u32 v16, v4, v61 :: v_dual_bitop2_b32 v62, 31, v16 bitop3:0x54
	v_cmpx_eq_u32_e64 v14, v62
; %bb.120:
	s_delay_alu instid0(VALU_DEP_3)
	v_lshlrev_b32_e32 v4, 2, v60
	ds_store_b32 v4, v16
; %bb.121:
	s_or_b32 exec_lo, exec_lo, s5
	v_lshlrev_b32_e32 v4, 2, v14
	s_mov_b32 s5, exec_lo
	s_wait_dscnt 0x0
	s_barrier_signal -1
	s_barrier_wait -1
	v_cmpx_gt_u32_e32 16, v14
	s_cbranch_execz .LBB849_123
; %bb.122:
	ds_load_b32 v61, v4
	s_wait_dscnt 0x0
	v_mov_b32_dpp v62, v61 row_shr:1 row_mask:0xf bank_mask:0xf
	s_delay_alu instid0(VALU_DEP_1) | instskip(NEXT) | instid1(VALU_DEP_1)
	v_cndmask_b32_e64 v62, v62, 0, vcc_lo
	v_add_nc_u32_e32 v61, v62, v61
	s_delay_alu instid0(VALU_DEP_1) | instskip(NEXT) | instid1(VALU_DEP_1)
	v_mov_b32_dpp v62, v61 row_shr:2 row_mask:0xf bank_mask:0xf
	v_cndmask_b32_e64 v62, 0, v62, s0
	s_delay_alu instid0(VALU_DEP_1) | instskip(NEXT) | instid1(VALU_DEP_1)
	v_add_nc_u32_e32 v61, v61, v62
	v_mov_b32_dpp v62, v61 row_shr:4 row_mask:0xf bank_mask:0xf
	s_delay_alu instid0(VALU_DEP_1) | instskip(NEXT) | instid1(VALU_DEP_1)
	v_cndmask_b32_e64 v62, 0, v62, s1
	v_add_nc_u32_e32 v61, v61, v62
	s_delay_alu instid0(VALU_DEP_1) | instskip(NEXT) | instid1(VALU_DEP_1)
	v_mov_b32_dpp v62, v61 row_shr:8 row_mask:0xf bank_mask:0xf
	v_cndmask_b32_e64 v62, 0, v62, s3
	s_delay_alu instid0(VALU_DEP_1)
	v_add_nc_u32_e32 v61, v61, v62
	ds_store_b32 v4, v61
.LBB849_123:
	s_or_b32 exec_lo, exec_lo, s5
	v_mov_b32_e32 v61, 0
	s_mov_b32 s0, exec_lo
	s_wait_dscnt 0x0
	s_barrier_signal -1
	s_barrier_wait -1
	v_cmpx_lt_u32_e32 31, v14
; %bb.124:
	v_lshl_add_u32 v60, v60, 2, -4
	ds_load_b32 v61, v60
; %bb.125:
	s_or_b32 exec_lo, exec_lo, s0
	v_sub_co_u32 v60, vcc_lo, v15, 1
	s_wait_dscnt 0x0
	v_add_nc_u32_e32 v16, v61, v16
	s_delay_alu instid0(VALU_DEP_2) | instskip(NEXT) | instid1(VALU_DEP_1)
	v_cmp_gt_i32_e64 s0, 0, v60
	v_cndmask_b32_e64 v15, v60, v15, s0
	v_cmp_lt_u32_e64 s0, 0xff, v14
	s_delay_alu instid0(VALU_DEP_2) | instskip(SKIP_4) | instid1(VALU_DEP_2)
	v_lshlrev_b32_e32 v15, 2, v15
	ds_bpermute_b32 v15, v15, v16
	s_wait_dscnt 0x0
	v_cndmask_b32_e32 v15, v15, v61, vcc_lo
	v_cmp_gt_u32_e32 vcc_lo, 0x100, v14
	v_cndmask_b32_e64 v15, v15, 0, s2
	s_delay_alu instid0(VALU_DEP_1) | instskip(NEXT) | instid1(VALU_DEP_1)
	v_add_nc_u32_e32 v8, v15, v8
	v_add_nc_u32_e32 v9, v8, v9
	s_delay_alu instid0(VALU_DEP_1) | instskip(NEXT) | instid1(VALU_DEP_1)
	v_add_nc_u32_e32 v6, v9, v6
	v_add_nc_u32_e32 v7, v6, v7
	;; [unrolled: 3-line block ×4, first 2 shown]
	ds_store_2addr_b32 v10, v15, v8 offset0:16 offset1:17
	ds_store_2addr_b32 v10, v9, v6 offset0:18 offset1:19
	ds_store_2addr_b32 v10, v7, v2 offset0:20 offset1:21
	ds_store_2addr_b32 v10, v3, v0 offset0:22 offset1:23
	ds_store_b32 v10, v1 offset:96
	s_wait_dscnt 0x0
	s_barrier_signal -1
	s_barrier_wait -1
	ds_load_b32 v62, v11 offset:64
	ds_load_b32 v60, v12 offset:64
	;; [unrolled: 1-line block ×12, first 2 shown]
	v_mov_b64_e32 v[0:1], 0
                                        ; implicit-def: $vgpr2
	s_and_saveexec_b32 s2, vcc_lo
	s_cbranch_execz .LBB849_129
; %bb.126:
	v_mul_u32_u24_e32 v0, 0x44, v14
	v_dual_mov_b32 v1, 0x1800 :: v_dual_add_nc_u32 v2, 1, v14
	s_mov_b32 s3, exec_lo
	ds_load_b32 v0, v0 offset:64
	v_cmpx_ne_u32_e32 0x100, v2
; %bb.127:
	v_mul_u32_u24_e32 v1, 0x44, v2
	ds_load_b32 v1, v1 offset:64
; %bb.128:
	s_or_b32 exec_lo, exec_lo, s3
	s_wait_dscnt 0x0
	v_dual_mov_b32 v1, 0 :: v_dual_sub_nc_u32 v2, v1, v0
.LBB849_129:
	s_or_b32 exec_lo, exec_lo, s2
	v_dual_mov_b32 v7, 0 :: v_dual_lshlrev_b32 v3, 3, v14
	s_wait_dscnt 0x0
	s_barrier_signal -1
	s_barrier_wait -1
	s_and_saveexec_b32 s1, vcc_lo
	s_cbranch_execz .LBB849_139
; %bb.130:
	v_lshl_add_u32 v6, s19, 8, v14
	v_dual_mov_b32 v10, 0 :: v_dual_bitop2_b32 v11, 2.0, v2 bitop3:0x54
	s_mov_b32 s2, 0
	s_mov_b32 s3, s19
	s_delay_alu instid0(VALU_DEP_2)
	v_lshl_add_u64 v[8:9], v[6:7], 2, s[20:21]
	global_store_b32 v6, v11, s[20:21] scale_offset scope:SCOPE_DEV
                                        ; implicit-def: $sgpr4
	s_branch .LBB849_133
.LBB849_131:                            ;   in Loop: Header=BB849_133 Depth=1
	s_or_b32 exec_lo, exec_lo, s5
.LBB849_132:                            ;   in Loop: Header=BB849_133 Depth=1
	s_delay_alu instid0(SALU_CYCLE_1) | instskip(SKIP_2) | instid1(VALU_DEP_2)
	s_or_b32 exec_lo, exec_lo, s4
	v_and_b32_e32 v6, 0x3fffffff, v11
	v_cmp_gt_i32_e64 s4, -2.0, v11
	v_add_nc_u32_e32 v10, v6, v10
	s_and_b32 s5, exec_lo, s4
	s_delay_alu instid0(SALU_CYCLE_1) | instskip(NEXT) | instid1(SALU_CYCLE_1)
	s_or_b32 s2, s5, s2
	s_and_not1_b32 exec_lo, exec_lo, s2
	s_cbranch_execz .LBB849_138
.LBB849_133:                            ; =>This Loop Header: Depth=1
                                        ;     Child Loop BB849_136 Depth 2
	s_or_b32 s4, s4, exec_lo
	s_cmp_eq_u32 s3, 0
	s_cbranch_scc1 .LBB849_137
; %bb.134:                              ;   in Loop: Header=BB849_133 Depth=1
	s_add_co_i32 s3, s3, -1
	s_mov_b32 s4, exec_lo
	s_wait_xcnt 0x0
	v_lshl_or_b32 v6, s3, 8, v14
	global_load_b32 v11, v6, s[20:21] scale_offset scope:SCOPE_DEV
	s_wait_loadcnt 0x0
	v_cmpx_gt_u32_e32 2.0, v11
	s_cbranch_execz .LBB849_132
; %bb.135:                              ;   in Loop: Header=BB849_133 Depth=1
	v_lshl_add_u64 v[12:13], v[6:7], 2, s[20:21]
	s_mov_b32 s5, 0
.LBB849_136:                            ;   Parent Loop BB849_133 Depth=1
                                        ; =>  This Inner Loop Header: Depth=2
	global_load_b32 v11, v[12:13], off scope:SCOPE_DEV
	s_wait_loadcnt 0x0
	v_cmp_lt_u32_e32 vcc_lo, 0x3fffffff, v11
	s_or_b32 s5, vcc_lo, s5
	s_wait_xcnt 0x0
	s_and_not1_b32 exec_lo, exec_lo, s5
	s_cbranch_execnz .LBB849_136
	s_branch .LBB849_131
.LBB849_137:                            ;   in Loop: Header=BB849_133 Depth=1
                                        ; implicit-def: $sgpr3
	s_and_b32 s5, exec_lo, s4
	s_delay_alu instid0(SALU_CYCLE_1)
	s_or_b32 s2, s5, s2
	s_wait_xcnt 0x0
	s_and_not1_b32 exec_lo, exec_lo, s2
	s_cbranch_execnz .LBB849_133
.LBB849_138:
	s_or_b32 exec_lo, exec_lo, s2
	v_dual_mov_b32 v11, 0 :: v_dual_add_nc_u32 v6, v10, v2
	s_delay_alu instid0(VALU_DEP_1) | instskip(SKIP_4) | instid1(VALU_DEP_1)
	v_or_b32_e32 v6, 0x80000000, v6
	global_store_b32 v[8:9], v6, off scope:SCOPE_DEV
	global_load_b64 v[6:7], v14, s[8:9] scale_offset
	v_sub_nc_u64_e32 v[8:9], v[10:11], v[0:1]
	s_wait_loadcnt 0x0
	v_add_nc_u64_e32 v[6:7], v[8:9], v[6:7]
	ds_store_b64 v3, v[6:7]
.LBB849_139:
	s_wait_xcnt 0x0
	s_or_b32 exec_lo, exec_lo, s1
	v_dual_add_nc_u32 v6, v62, v5 :: v_dual_sub_nc_u32 v56, 0, v4
	v_mov_b32_e32 v5, 0
	v_add3_u32 v21, v22, v60, v21
	v_add3_u32 v7, v58, v54, v57
	;; [unrolled: 1-line block ×3, first 2 shown]
	v_add_nc_u32_e32 v22, v3, v56
	v_add_nc_u64_e32 v[4:5], s[14:15], v[4:5]
	v_add3_u32 v9, v52, v47, v50
	v_add3_u32 v10, v48, v44, v46
	;; [unrolled: 1-line block ×6, first 2 shown]
	v_add_nc_u64_e32 v[4:5], 0x2000, v[4:5]
	v_add3_u32 v16, v28, v16, v27
	v_add3_u32 v24, v25, v61, v24
	v_mov_b32_e32 v25, v14
	s_mov_b32 s1, 0
	s_mov_b32 s2, -1
	s_branch .LBB849_141
.LBB849_140:                            ;   in Loop: Header=BB849_141 Depth=1
	s_wait_xcnt 0x0
	s_or_b32 exec_lo, exec_lo, s3
	v_add_nc_u64_e32 v[4:5], 0x4000, v[4:5]
	v_add_nc_u32_e32 v25, 0x1000, v25
	s_xor_b32 s2, s2, -1
	s_addk_co_i32 s1, 0xf000
	s_and_b32 vcc_lo, exec_lo, s2
	s_mov_b32 s2, 0
	s_wait_storecnt 0x0
	s_barrier_signal -1
	s_barrier_wait -1
	s_cbranch_vccnz .LBB849_151
.LBB849_141:                            ; =>This Inner Loop Header: Depth=1
	v_add_min_u32_e64 v27, v6, s1, 0x1000
	v_add_min_u32_e64 v28, v21, s1, 0x1000
	;; [unrolled: 1-line block ×5, first 2 shown]
	s_delay_alu instid0(VALU_DEP_4)
	v_dual_lshlrev_b32 v27, 2, v27 :: v_dual_lshlrev_b32 v28, 2, v28
	v_add_min_u32_e64 v34, v13, s1, 0x1000
	v_add_min_u32_e64 v35, v12, s1, 0x1000
	s_mov_b32 s3, exec_lo
	ds_store_b32 v27, v17 offset:2048
	ds_store_b32 v28, v18 offset:2048
	v_dual_lshlrev_b32 v27, 2, v30 :: v_dual_lshlrev_b32 v28, 2, v31
	v_dual_lshlrev_b32 v30, 2, v33 :: v_dual_lshlrev_b32 v31, 2, v34
	v_lshlrev_b32_e32 v33, 2, v35
	ds_store_b32 v27, v19 offset:2048
	ds_store_b32 v28, v20 offset:2048
	;; [unrolled: 1-line block ×5, first 2 shown]
	v_add_min_u32_e64 v27, v11, s1, 0x1000
	v_add_min_u32_e64 v28, v10, s1, 0x1000
	;; [unrolled: 1-line block ×5, first 2 shown]
	s_delay_alu instid0(VALU_DEP_4) | instskip(NEXT) | instid1(VALU_DEP_3)
	v_dual_lshlrev_b32 v27, 2, v27 :: v_dual_lshlrev_b32 v28, 2, v28
	v_dual_lshlrev_b32 v30, 2, v30 :: v_dual_lshlrev_b32 v31, 2, v31
	s_delay_alu instid0(VALU_DEP_3)
	v_lshlrev_b32_e32 v33, 2, v33
	ds_store_b32 v27, v32 offset:2048
	ds_store_b32 v28, v36 offset:2048
	;; [unrolled: 1-line block ×5, first 2 shown]
	s_wait_storecnt_dscnt 0x0
	s_barrier_signal -1
	s_barrier_wait -1
	ds_load_2addr_stride64_b32 v[30:31], v22 offset0:8 offset1:16
	s_wait_dscnt 0x0
	v_dual_lshrrev_b32 v27, s16, v31 :: v_dual_lshrrev_b32 v28, s16, v30
	s_delay_alu instid0(VALU_DEP_1) | instskip(NEXT) | instid1(VALU_DEP_1)
	v_and_b32_e32 v28, s6, v28
	v_dual_lshlrev_b32 v28, 3, v28 :: v_dual_bitop2_b32 v27, s6, v27 bitop3:0x40
	s_delay_alu instid0(VALU_DEP_1)
	v_lshlrev_b32_e32 v27, 3, v27
	ds_load_b64 v[34:35], v27
	ds_load_b32 v27, v22 offset:6144
	s_wait_dscnt 0x0
	v_lshrrev_b32_e32 v33, s16, v27
	v_xor_b32_e32 v27, 0x7fffffff, v27
	s_delay_alu instid0(VALU_DEP_2) | instskip(NEXT) | instid1(VALU_DEP_1)
	v_and_b32_e32 v33, s6, v33
	v_lshlrev_b32_e32 v33, 3, v33
	ds_load_b64 v[38:39], v28
	ds_load_b64 v[42:43], v33
	v_xor_b32_e32 v28, 0x7fffffff, v30
	v_xor_b32_e32 v33, 0x7fffffff, v31
	v_lshl_add_u64 v[30:31], v[34:35], 2, v[4:5]
	s_wait_dscnt 0x1
	v_lshl_add_u64 v[38:39], v[38:39], 2, v[4:5]
	s_wait_dscnt 0x0
	v_lshl_add_u64 v[34:35], v[42:43], 2, v[4:5]
	s_clause 0x2
	global_store_b32 v[38:39], v28, off offset:-8192
	global_store_b32 v[30:31], v33, off offset:-6144
	;; [unrolled: 1-line block ×3, first 2 shown]
	s_wait_xcnt 0x0
	v_cmpx_gt_u32_e32 0x1200, v25
	s_cbranch_execz .LBB849_143
; %bb.142:                              ;   in Loop: Header=BB849_141 Depth=1
	ds_load_b32 v27, v22 offset:8192
	s_wait_dscnt 0x0
	v_lshrrev_b32_e32 v28, s16, v27
	v_xor_b32_e32 v27, 0x7fffffff, v27
	s_delay_alu instid0(VALU_DEP_2) | instskip(NEXT) | instid1(VALU_DEP_1)
	v_and_b32_e32 v28, s6, v28
	v_lshlrev_b32_e32 v28, 3, v28
	ds_load_b64 v[30:31], v28
	s_wait_dscnt 0x0
	v_lshl_add_u64 v[30:31], v[30:31], 2, v[4:5]
	global_store_b32 v[30:31], v27, off offset:-2048
.LBB849_143:                            ;   in Loop: Header=BB849_141 Depth=1
	s_wait_xcnt 0x0
	s_or_b32 exec_lo, exec_lo, s3
	v_add_nc_u32_e32 v27, 0x800, v25
	s_mov_b32 s3, exec_lo
	s_delay_alu instid0(VALU_DEP_1)
	v_cmpx_gt_u32_e32 0x1800, v27
	s_cbranch_execz .LBB849_145
; %bb.144:                              ;   in Loop: Header=BB849_141 Depth=1
	ds_load_b32 v27, v22 offset:10240
	s_wait_dscnt 0x0
	v_lshrrev_b32_e32 v28, s16, v27
	v_xor_b32_e32 v27, 0x7fffffff, v27
	s_delay_alu instid0(VALU_DEP_2) | instskip(NEXT) | instid1(VALU_DEP_1)
	v_and_b32_e32 v28, s6, v28
	v_lshlrev_b32_e32 v28, 3, v28
	ds_load_b64 v[30:31], v28
	s_wait_dscnt 0x0
	v_lshl_add_u64 v[30:31], v[30:31], 2, v[4:5]
	global_store_b32 v[30:31], v27, off
.LBB849_145:                            ;   in Loop: Header=BB849_141 Depth=1
	s_wait_xcnt 0x0
	s_or_b32 exec_lo, exec_lo, s3
	s_delay_alu instid0(SALU_CYCLE_1)
	s_mov_b32 s3, exec_lo
	v_cmpx_gt_u32_e32 0xe00, v25
	s_cbranch_execz .LBB849_147
; %bb.146:                              ;   in Loop: Header=BB849_141 Depth=1
	ds_load_b32 v27, v22 offset:12288
	s_wait_dscnt 0x0
	v_lshrrev_b32_e32 v28, s16, v27
	v_xor_b32_e32 v27, 0x7fffffff, v27
	s_delay_alu instid0(VALU_DEP_2) | instskip(NEXT) | instid1(VALU_DEP_1)
	v_and_b32_e32 v28, s6, v28
	v_lshlrev_b32_e32 v28, 3, v28
	ds_load_b64 v[30:31], v28
	s_wait_dscnt 0x0
	v_lshl_add_u64 v[30:31], v[30:31], 2, v[4:5]
	global_store_b32 v[30:31], v27, off offset:2048
.LBB849_147:                            ;   in Loop: Header=BB849_141 Depth=1
	s_wait_xcnt 0x0
	s_or_b32 exec_lo, exec_lo, s3
	v_add_nc_u32_e32 v27, 0xc00, v25
	s_mov_b32 s3, exec_lo
	s_delay_alu instid0(VALU_DEP_1)
	v_cmpx_gt_u32_e32 0x1800, v27
	s_cbranch_execz .LBB849_149
; %bb.148:                              ;   in Loop: Header=BB849_141 Depth=1
	ds_load_b32 v27, v22 offset:14336
	s_wait_dscnt 0x0
	v_lshrrev_b32_e32 v28, s16, v27
	v_xor_b32_e32 v27, 0x7fffffff, v27
	s_delay_alu instid0(VALU_DEP_2) | instskip(NEXT) | instid1(VALU_DEP_1)
	v_and_b32_e32 v28, s6, v28
	v_lshlrev_b32_e32 v28, 3, v28
	ds_load_b64 v[30:31], v28
	s_wait_dscnt 0x0
	v_lshl_add_u64 v[30:31], v[30:31], 2, v[4:5]
	global_store_b32 v[30:31], v27, off offset:4096
.LBB849_149:                            ;   in Loop: Header=BB849_141 Depth=1
	s_wait_xcnt 0x0
	s_or_b32 exec_lo, exec_lo, s3
	s_delay_alu instid0(SALU_CYCLE_1)
	s_mov_b32 s3, exec_lo
	v_cmpx_gt_u32_e32 0xa00, v25
	s_cbranch_execz .LBB849_140
; %bb.150:                              ;   in Loop: Header=BB849_141 Depth=1
	ds_load_b32 v27, v22 offset:16384
	s_wait_dscnt 0x0
	v_lshrrev_b32_e32 v28, s16, v27
	v_xor_b32_e32 v27, 0x7fffffff, v27
	s_delay_alu instid0(VALU_DEP_2) | instskip(NEXT) | instid1(VALU_DEP_1)
	v_and_b32_e32 v28, s6, v28
	v_lshlrev_b32_e32 v28, 3, v28
	ds_load_b64 v[30:31], v28
	s_wait_dscnt 0x0
	v_lshl_add_u64 v[30:31], v[30:31], 2, v[4:5]
	global_store_b32 v[30:31], v27, off offset:6144
	s_branch .LBB849_140
.LBB849_151:
	s_add_co_i32 s12, s12, -1
	s_delay_alu instid0(SALU_CYCLE_1) | instskip(SKIP_2) | instid1(SALU_CYCLE_1)
	s_cmp_eq_u32 s19, s12
	s_cselect_b32 s1, -1, 0
	s_xor_b32 s0, s0, -1
	s_and_b32 s0, s0, s1
	s_delay_alu instid0(SALU_CYCLE_1)
	s_and_saveexec_b32 s1, s0
	s_cbranch_execz .LBB849_153
; %bb.152:
	ds_load_b64 v[4:5], v3
	v_mov_b32_e32 v3, 0
	s_delay_alu instid0(VALU_DEP_1) | instskip(SKIP_1) | instid1(VALU_DEP_1)
	v_add_nc_u64_e32 v[0:1], v[0:1], v[2:3]
	s_wait_dscnt 0x0
	v_add_nc_u64_e32 v[0:1], v[0:1], v[4:5]
	global_store_b64 v14, v[0:1], s[10:11] scale_offset
.LBB849_153:
	s_sendmsg sendmsg(MSG_DEALLOC_VGPRS)
	s_endpgm
	.section	.rodata,"a",@progbits
	.p2align	6, 0x0
	.amdhsa_kernel _ZN7rocprim17ROCPRIM_400000_NS6detail17trampoline_kernelINS0_14default_configENS1_35radix_sort_onesweep_config_selectorIiNS0_10empty_typeEEEZZNS1_29radix_sort_onesweep_iterationIS3_Lb1EPKiPiPS5_SB_mNS0_19identity_decomposerENS1_16block_id_wrapperIjLb1EEEEE10hipError_tT1_PNSt15iterator_traitsISG_E10value_typeET2_T3_PNSH_ISM_E10value_typeET4_T5_PSR_SS_PNS1_23onesweep_lookback_stateEbbT6_jjT7_P12ihipStream_tbENKUlT_T0_SG_SL_E_clIS9_SA_SB_SB_EEDaSZ_S10_SG_SL_EUlSZ_E_NS1_11comp_targetILNS1_3genE0ELNS1_11target_archE4294967295ELNS1_3gpuE0ELNS1_3repE0EEENS1_47radix_sort_onesweep_sort_config_static_selectorELNS0_4arch9wavefront6targetE0EEEvSG_
		.amdhsa_group_segment_fixed_size 18504
		.amdhsa_private_segment_fixed_size 0
		.amdhsa_kernarg_size 344
		.amdhsa_user_sgpr_count 2
		.amdhsa_user_sgpr_dispatch_ptr 0
		.amdhsa_user_sgpr_queue_ptr 0
		.amdhsa_user_sgpr_kernarg_segment_ptr 1
		.amdhsa_user_sgpr_dispatch_id 0
		.amdhsa_user_sgpr_kernarg_preload_length 0
		.amdhsa_user_sgpr_kernarg_preload_offset 0
		.amdhsa_user_sgpr_private_segment_size 0
		.amdhsa_wavefront_size32 1
		.amdhsa_uses_dynamic_stack 0
		.amdhsa_enable_private_segment 0
		.amdhsa_system_sgpr_workgroup_id_x 1
		.amdhsa_system_sgpr_workgroup_id_y 0
		.amdhsa_system_sgpr_workgroup_id_z 0
		.amdhsa_system_sgpr_workgroup_info 0
		.amdhsa_system_vgpr_workitem_id 2
		.amdhsa_next_free_vgpr 65
		.amdhsa_next_free_sgpr 29
		.amdhsa_named_barrier_count 0
		.amdhsa_reserve_vcc 1
		.amdhsa_float_round_mode_32 0
		.amdhsa_float_round_mode_16_64 0
		.amdhsa_float_denorm_mode_32 3
		.amdhsa_float_denorm_mode_16_64 3
		.amdhsa_fp16_overflow 0
		.amdhsa_memory_ordered 1
		.amdhsa_forward_progress 1
		.amdhsa_inst_pref_size 123
		.amdhsa_round_robin_scheduling 0
		.amdhsa_exception_fp_ieee_invalid_op 0
		.amdhsa_exception_fp_denorm_src 0
		.amdhsa_exception_fp_ieee_div_zero 0
		.amdhsa_exception_fp_ieee_overflow 0
		.amdhsa_exception_fp_ieee_underflow 0
		.amdhsa_exception_fp_ieee_inexact 0
		.amdhsa_exception_int_div_zero 0
	.end_amdhsa_kernel
	.section	.text._ZN7rocprim17ROCPRIM_400000_NS6detail17trampoline_kernelINS0_14default_configENS1_35radix_sort_onesweep_config_selectorIiNS0_10empty_typeEEEZZNS1_29radix_sort_onesweep_iterationIS3_Lb1EPKiPiPS5_SB_mNS0_19identity_decomposerENS1_16block_id_wrapperIjLb1EEEEE10hipError_tT1_PNSt15iterator_traitsISG_E10value_typeET2_T3_PNSH_ISM_E10value_typeET4_T5_PSR_SS_PNS1_23onesweep_lookback_stateEbbT6_jjT7_P12ihipStream_tbENKUlT_T0_SG_SL_E_clIS9_SA_SB_SB_EEDaSZ_S10_SG_SL_EUlSZ_E_NS1_11comp_targetILNS1_3genE0ELNS1_11target_archE4294967295ELNS1_3gpuE0ELNS1_3repE0EEENS1_47radix_sort_onesweep_sort_config_static_selectorELNS0_4arch9wavefront6targetE0EEEvSG_,"axG",@progbits,_ZN7rocprim17ROCPRIM_400000_NS6detail17trampoline_kernelINS0_14default_configENS1_35radix_sort_onesweep_config_selectorIiNS0_10empty_typeEEEZZNS1_29radix_sort_onesweep_iterationIS3_Lb1EPKiPiPS5_SB_mNS0_19identity_decomposerENS1_16block_id_wrapperIjLb1EEEEE10hipError_tT1_PNSt15iterator_traitsISG_E10value_typeET2_T3_PNSH_ISM_E10value_typeET4_T5_PSR_SS_PNS1_23onesweep_lookback_stateEbbT6_jjT7_P12ihipStream_tbENKUlT_T0_SG_SL_E_clIS9_SA_SB_SB_EEDaSZ_S10_SG_SL_EUlSZ_E_NS1_11comp_targetILNS1_3genE0ELNS1_11target_archE4294967295ELNS1_3gpuE0ELNS1_3repE0EEENS1_47radix_sort_onesweep_sort_config_static_selectorELNS0_4arch9wavefront6targetE0EEEvSG_,comdat
.Lfunc_end849:
	.size	_ZN7rocprim17ROCPRIM_400000_NS6detail17trampoline_kernelINS0_14default_configENS1_35radix_sort_onesweep_config_selectorIiNS0_10empty_typeEEEZZNS1_29radix_sort_onesweep_iterationIS3_Lb1EPKiPiPS5_SB_mNS0_19identity_decomposerENS1_16block_id_wrapperIjLb1EEEEE10hipError_tT1_PNSt15iterator_traitsISG_E10value_typeET2_T3_PNSH_ISM_E10value_typeET4_T5_PSR_SS_PNS1_23onesweep_lookback_stateEbbT6_jjT7_P12ihipStream_tbENKUlT_T0_SG_SL_E_clIS9_SA_SB_SB_EEDaSZ_S10_SG_SL_EUlSZ_E_NS1_11comp_targetILNS1_3genE0ELNS1_11target_archE4294967295ELNS1_3gpuE0ELNS1_3repE0EEENS1_47radix_sort_onesweep_sort_config_static_selectorELNS0_4arch9wavefront6targetE0EEEvSG_, .Lfunc_end849-_ZN7rocprim17ROCPRIM_400000_NS6detail17trampoline_kernelINS0_14default_configENS1_35radix_sort_onesweep_config_selectorIiNS0_10empty_typeEEEZZNS1_29radix_sort_onesweep_iterationIS3_Lb1EPKiPiPS5_SB_mNS0_19identity_decomposerENS1_16block_id_wrapperIjLb1EEEEE10hipError_tT1_PNSt15iterator_traitsISG_E10value_typeET2_T3_PNSH_ISM_E10value_typeET4_T5_PSR_SS_PNS1_23onesweep_lookback_stateEbbT6_jjT7_P12ihipStream_tbENKUlT_T0_SG_SL_E_clIS9_SA_SB_SB_EEDaSZ_S10_SG_SL_EUlSZ_E_NS1_11comp_targetILNS1_3genE0ELNS1_11target_archE4294967295ELNS1_3gpuE0ELNS1_3repE0EEENS1_47radix_sort_onesweep_sort_config_static_selectorELNS0_4arch9wavefront6targetE0EEEvSG_
                                        ; -- End function
	.set _ZN7rocprim17ROCPRIM_400000_NS6detail17trampoline_kernelINS0_14default_configENS1_35radix_sort_onesweep_config_selectorIiNS0_10empty_typeEEEZZNS1_29radix_sort_onesweep_iterationIS3_Lb1EPKiPiPS5_SB_mNS0_19identity_decomposerENS1_16block_id_wrapperIjLb1EEEEE10hipError_tT1_PNSt15iterator_traitsISG_E10value_typeET2_T3_PNSH_ISM_E10value_typeET4_T5_PSR_SS_PNS1_23onesweep_lookback_stateEbbT6_jjT7_P12ihipStream_tbENKUlT_T0_SG_SL_E_clIS9_SA_SB_SB_EEDaSZ_S10_SG_SL_EUlSZ_E_NS1_11comp_targetILNS1_3genE0ELNS1_11target_archE4294967295ELNS1_3gpuE0ELNS1_3repE0EEENS1_47radix_sort_onesweep_sort_config_static_selectorELNS0_4arch9wavefront6targetE0EEEvSG_.num_vgpr, 65
	.set _ZN7rocprim17ROCPRIM_400000_NS6detail17trampoline_kernelINS0_14default_configENS1_35radix_sort_onesweep_config_selectorIiNS0_10empty_typeEEEZZNS1_29radix_sort_onesweep_iterationIS3_Lb1EPKiPiPS5_SB_mNS0_19identity_decomposerENS1_16block_id_wrapperIjLb1EEEEE10hipError_tT1_PNSt15iterator_traitsISG_E10value_typeET2_T3_PNSH_ISM_E10value_typeET4_T5_PSR_SS_PNS1_23onesweep_lookback_stateEbbT6_jjT7_P12ihipStream_tbENKUlT_T0_SG_SL_E_clIS9_SA_SB_SB_EEDaSZ_S10_SG_SL_EUlSZ_E_NS1_11comp_targetILNS1_3genE0ELNS1_11target_archE4294967295ELNS1_3gpuE0ELNS1_3repE0EEENS1_47radix_sort_onesweep_sort_config_static_selectorELNS0_4arch9wavefront6targetE0EEEvSG_.num_agpr, 0
	.set _ZN7rocprim17ROCPRIM_400000_NS6detail17trampoline_kernelINS0_14default_configENS1_35radix_sort_onesweep_config_selectorIiNS0_10empty_typeEEEZZNS1_29radix_sort_onesweep_iterationIS3_Lb1EPKiPiPS5_SB_mNS0_19identity_decomposerENS1_16block_id_wrapperIjLb1EEEEE10hipError_tT1_PNSt15iterator_traitsISG_E10value_typeET2_T3_PNSH_ISM_E10value_typeET4_T5_PSR_SS_PNS1_23onesweep_lookback_stateEbbT6_jjT7_P12ihipStream_tbENKUlT_T0_SG_SL_E_clIS9_SA_SB_SB_EEDaSZ_S10_SG_SL_EUlSZ_E_NS1_11comp_targetILNS1_3genE0ELNS1_11target_archE4294967295ELNS1_3gpuE0ELNS1_3repE0EEENS1_47radix_sort_onesweep_sort_config_static_selectorELNS0_4arch9wavefront6targetE0EEEvSG_.numbered_sgpr, 29
	.set _ZN7rocprim17ROCPRIM_400000_NS6detail17trampoline_kernelINS0_14default_configENS1_35radix_sort_onesweep_config_selectorIiNS0_10empty_typeEEEZZNS1_29radix_sort_onesweep_iterationIS3_Lb1EPKiPiPS5_SB_mNS0_19identity_decomposerENS1_16block_id_wrapperIjLb1EEEEE10hipError_tT1_PNSt15iterator_traitsISG_E10value_typeET2_T3_PNSH_ISM_E10value_typeET4_T5_PSR_SS_PNS1_23onesweep_lookback_stateEbbT6_jjT7_P12ihipStream_tbENKUlT_T0_SG_SL_E_clIS9_SA_SB_SB_EEDaSZ_S10_SG_SL_EUlSZ_E_NS1_11comp_targetILNS1_3genE0ELNS1_11target_archE4294967295ELNS1_3gpuE0ELNS1_3repE0EEENS1_47radix_sort_onesweep_sort_config_static_selectorELNS0_4arch9wavefront6targetE0EEEvSG_.num_named_barrier, 0
	.set _ZN7rocprim17ROCPRIM_400000_NS6detail17trampoline_kernelINS0_14default_configENS1_35radix_sort_onesweep_config_selectorIiNS0_10empty_typeEEEZZNS1_29radix_sort_onesweep_iterationIS3_Lb1EPKiPiPS5_SB_mNS0_19identity_decomposerENS1_16block_id_wrapperIjLb1EEEEE10hipError_tT1_PNSt15iterator_traitsISG_E10value_typeET2_T3_PNSH_ISM_E10value_typeET4_T5_PSR_SS_PNS1_23onesweep_lookback_stateEbbT6_jjT7_P12ihipStream_tbENKUlT_T0_SG_SL_E_clIS9_SA_SB_SB_EEDaSZ_S10_SG_SL_EUlSZ_E_NS1_11comp_targetILNS1_3genE0ELNS1_11target_archE4294967295ELNS1_3gpuE0ELNS1_3repE0EEENS1_47radix_sort_onesweep_sort_config_static_selectorELNS0_4arch9wavefront6targetE0EEEvSG_.private_seg_size, 0
	.set _ZN7rocprim17ROCPRIM_400000_NS6detail17trampoline_kernelINS0_14default_configENS1_35radix_sort_onesweep_config_selectorIiNS0_10empty_typeEEEZZNS1_29radix_sort_onesweep_iterationIS3_Lb1EPKiPiPS5_SB_mNS0_19identity_decomposerENS1_16block_id_wrapperIjLb1EEEEE10hipError_tT1_PNSt15iterator_traitsISG_E10value_typeET2_T3_PNSH_ISM_E10value_typeET4_T5_PSR_SS_PNS1_23onesweep_lookback_stateEbbT6_jjT7_P12ihipStream_tbENKUlT_T0_SG_SL_E_clIS9_SA_SB_SB_EEDaSZ_S10_SG_SL_EUlSZ_E_NS1_11comp_targetILNS1_3genE0ELNS1_11target_archE4294967295ELNS1_3gpuE0ELNS1_3repE0EEENS1_47radix_sort_onesweep_sort_config_static_selectorELNS0_4arch9wavefront6targetE0EEEvSG_.uses_vcc, 1
	.set _ZN7rocprim17ROCPRIM_400000_NS6detail17trampoline_kernelINS0_14default_configENS1_35radix_sort_onesweep_config_selectorIiNS0_10empty_typeEEEZZNS1_29radix_sort_onesweep_iterationIS3_Lb1EPKiPiPS5_SB_mNS0_19identity_decomposerENS1_16block_id_wrapperIjLb1EEEEE10hipError_tT1_PNSt15iterator_traitsISG_E10value_typeET2_T3_PNSH_ISM_E10value_typeET4_T5_PSR_SS_PNS1_23onesweep_lookback_stateEbbT6_jjT7_P12ihipStream_tbENKUlT_T0_SG_SL_E_clIS9_SA_SB_SB_EEDaSZ_S10_SG_SL_EUlSZ_E_NS1_11comp_targetILNS1_3genE0ELNS1_11target_archE4294967295ELNS1_3gpuE0ELNS1_3repE0EEENS1_47radix_sort_onesweep_sort_config_static_selectorELNS0_4arch9wavefront6targetE0EEEvSG_.uses_flat_scratch, 0
	.set _ZN7rocprim17ROCPRIM_400000_NS6detail17trampoline_kernelINS0_14default_configENS1_35radix_sort_onesweep_config_selectorIiNS0_10empty_typeEEEZZNS1_29radix_sort_onesweep_iterationIS3_Lb1EPKiPiPS5_SB_mNS0_19identity_decomposerENS1_16block_id_wrapperIjLb1EEEEE10hipError_tT1_PNSt15iterator_traitsISG_E10value_typeET2_T3_PNSH_ISM_E10value_typeET4_T5_PSR_SS_PNS1_23onesweep_lookback_stateEbbT6_jjT7_P12ihipStream_tbENKUlT_T0_SG_SL_E_clIS9_SA_SB_SB_EEDaSZ_S10_SG_SL_EUlSZ_E_NS1_11comp_targetILNS1_3genE0ELNS1_11target_archE4294967295ELNS1_3gpuE0ELNS1_3repE0EEENS1_47radix_sort_onesweep_sort_config_static_selectorELNS0_4arch9wavefront6targetE0EEEvSG_.has_dyn_sized_stack, 0
	.set _ZN7rocprim17ROCPRIM_400000_NS6detail17trampoline_kernelINS0_14default_configENS1_35radix_sort_onesweep_config_selectorIiNS0_10empty_typeEEEZZNS1_29radix_sort_onesweep_iterationIS3_Lb1EPKiPiPS5_SB_mNS0_19identity_decomposerENS1_16block_id_wrapperIjLb1EEEEE10hipError_tT1_PNSt15iterator_traitsISG_E10value_typeET2_T3_PNSH_ISM_E10value_typeET4_T5_PSR_SS_PNS1_23onesweep_lookback_stateEbbT6_jjT7_P12ihipStream_tbENKUlT_T0_SG_SL_E_clIS9_SA_SB_SB_EEDaSZ_S10_SG_SL_EUlSZ_E_NS1_11comp_targetILNS1_3genE0ELNS1_11target_archE4294967295ELNS1_3gpuE0ELNS1_3repE0EEENS1_47radix_sort_onesweep_sort_config_static_selectorELNS0_4arch9wavefront6targetE0EEEvSG_.has_recursion, 0
	.set _ZN7rocprim17ROCPRIM_400000_NS6detail17trampoline_kernelINS0_14default_configENS1_35radix_sort_onesweep_config_selectorIiNS0_10empty_typeEEEZZNS1_29radix_sort_onesweep_iterationIS3_Lb1EPKiPiPS5_SB_mNS0_19identity_decomposerENS1_16block_id_wrapperIjLb1EEEEE10hipError_tT1_PNSt15iterator_traitsISG_E10value_typeET2_T3_PNSH_ISM_E10value_typeET4_T5_PSR_SS_PNS1_23onesweep_lookback_stateEbbT6_jjT7_P12ihipStream_tbENKUlT_T0_SG_SL_E_clIS9_SA_SB_SB_EEDaSZ_S10_SG_SL_EUlSZ_E_NS1_11comp_targetILNS1_3genE0ELNS1_11target_archE4294967295ELNS1_3gpuE0ELNS1_3repE0EEENS1_47radix_sort_onesweep_sort_config_static_selectorELNS0_4arch9wavefront6targetE0EEEvSG_.has_indirect_call, 0
	.section	.AMDGPU.csdata,"",@progbits
; Kernel info:
; codeLenInByte = 15660
; TotalNumSgprs: 31
; NumVgprs: 65
; ScratchSize: 0
; MemoryBound: 0
; FloatMode: 240
; IeeeMode: 1
; LDSByteSize: 18504 bytes/workgroup (compile time only)
; SGPRBlocks: 0
; VGPRBlocks: 4
; NumSGPRsForWavesPerEU: 31
; NumVGPRsForWavesPerEU: 65
; NamedBarCnt: 0
; Occupancy: 12
; WaveLimiterHint : 1
; COMPUTE_PGM_RSRC2:SCRATCH_EN: 0
; COMPUTE_PGM_RSRC2:USER_SGPR: 2
; COMPUTE_PGM_RSRC2:TRAP_HANDLER: 0
; COMPUTE_PGM_RSRC2:TGID_X_EN: 1
; COMPUTE_PGM_RSRC2:TGID_Y_EN: 0
; COMPUTE_PGM_RSRC2:TGID_Z_EN: 0
; COMPUTE_PGM_RSRC2:TIDIG_COMP_CNT: 2
	.section	.text._ZN7rocprim17ROCPRIM_400000_NS6detail17trampoline_kernelINS0_14default_configENS1_35radix_sort_onesweep_config_selectorIiNS0_10empty_typeEEEZZNS1_29radix_sort_onesweep_iterationIS3_Lb1EPKiPiPS5_SB_mNS0_19identity_decomposerENS1_16block_id_wrapperIjLb1EEEEE10hipError_tT1_PNSt15iterator_traitsISG_E10value_typeET2_T3_PNSH_ISM_E10value_typeET4_T5_PSR_SS_PNS1_23onesweep_lookback_stateEbbT6_jjT7_P12ihipStream_tbENKUlT_T0_SG_SL_E_clIS9_SA_SB_SB_EEDaSZ_S10_SG_SL_EUlSZ_E_NS1_11comp_targetILNS1_3genE6ELNS1_11target_archE950ELNS1_3gpuE13ELNS1_3repE0EEENS1_47radix_sort_onesweep_sort_config_static_selectorELNS0_4arch9wavefront6targetE0EEEvSG_,"axG",@progbits,_ZN7rocprim17ROCPRIM_400000_NS6detail17trampoline_kernelINS0_14default_configENS1_35radix_sort_onesweep_config_selectorIiNS0_10empty_typeEEEZZNS1_29radix_sort_onesweep_iterationIS3_Lb1EPKiPiPS5_SB_mNS0_19identity_decomposerENS1_16block_id_wrapperIjLb1EEEEE10hipError_tT1_PNSt15iterator_traitsISG_E10value_typeET2_T3_PNSH_ISM_E10value_typeET4_T5_PSR_SS_PNS1_23onesweep_lookback_stateEbbT6_jjT7_P12ihipStream_tbENKUlT_T0_SG_SL_E_clIS9_SA_SB_SB_EEDaSZ_S10_SG_SL_EUlSZ_E_NS1_11comp_targetILNS1_3genE6ELNS1_11target_archE950ELNS1_3gpuE13ELNS1_3repE0EEENS1_47radix_sort_onesweep_sort_config_static_selectorELNS0_4arch9wavefront6targetE0EEEvSG_,comdat
	.protected	_ZN7rocprim17ROCPRIM_400000_NS6detail17trampoline_kernelINS0_14default_configENS1_35radix_sort_onesweep_config_selectorIiNS0_10empty_typeEEEZZNS1_29radix_sort_onesweep_iterationIS3_Lb1EPKiPiPS5_SB_mNS0_19identity_decomposerENS1_16block_id_wrapperIjLb1EEEEE10hipError_tT1_PNSt15iterator_traitsISG_E10value_typeET2_T3_PNSH_ISM_E10value_typeET4_T5_PSR_SS_PNS1_23onesweep_lookback_stateEbbT6_jjT7_P12ihipStream_tbENKUlT_T0_SG_SL_E_clIS9_SA_SB_SB_EEDaSZ_S10_SG_SL_EUlSZ_E_NS1_11comp_targetILNS1_3genE6ELNS1_11target_archE950ELNS1_3gpuE13ELNS1_3repE0EEENS1_47radix_sort_onesweep_sort_config_static_selectorELNS0_4arch9wavefront6targetE0EEEvSG_ ; -- Begin function _ZN7rocprim17ROCPRIM_400000_NS6detail17trampoline_kernelINS0_14default_configENS1_35radix_sort_onesweep_config_selectorIiNS0_10empty_typeEEEZZNS1_29radix_sort_onesweep_iterationIS3_Lb1EPKiPiPS5_SB_mNS0_19identity_decomposerENS1_16block_id_wrapperIjLb1EEEEE10hipError_tT1_PNSt15iterator_traitsISG_E10value_typeET2_T3_PNSH_ISM_E10value_typeET4_T5_PSR_SS_PNS1_23onesweep_lookback_stateEbbT6_jjT7_P12ihipStream_tbENKUlT_T0_SG_SL_E_clIS9_SA_SB_SB_EEDaSZ_S10_SG_SL_EUlSZ_E_NS1_11comp_targetILNS1_3genE6ELNS1_11target_archE950ELNS1_3gpuE13ELNS1_3repE0EEENS1_47radix_sort_onesweep_sort_config_static_selectorELNS0_4arch9wavefront6targetE0EEEvSG_
	.globl	_ZN7rocprim17ROCPRIM_400000_NS6detail17trampoline_kernelINS0_14default_configENS1_35radix_sort_onesweep_config_selectorIiNS0_10empty_typeEEEZZNS1_29radix_sort_onesweep_iterationIS3_Lb1EPKiPiPS5_SB_mNS0_19identity_decomposerENS1_16block_id_wrapperIjLb1EEEEE10hipError_tT1_PNSt15iterator_traitsISG_E10value_typeET2_T3_PNSH_ISM_E10value_typeET4_T5_PSR_SS_PNS1_23onesweep_lookback_stateEbbT6_jjT7_P12ihipStream_tbENKUlT_T0_SG_SL_E_clIS9_SA_SB_SB_EEDaSZ_S10_SG_SL_EUlSZ_E_NS1_11comp_targetILNS1_3genE6ELNS1_11target_archE950ELNS1_3gpuE13ELNS1_3repE0EEENS1_47radix_sort_onesweep_sort_config_static_selectorELNS0_4arch9wavefront6targetE0EEEvSG_
	.p2align	8
	.type	_ZN7rocprim17ROCPRIM_400000_NS6detail17trampoline_kernelINS0_14default_configENS1_35radix_sort_onesweep_config_selectorIiNS0_10empty_typeEEEZZNS1_29radix_sort_onesweep_iterationIS3_Lb1EPKiPiPS5_SB_mNS0_19identity_decomposerENS1_16block_id_wrapperIjLb1EEEEE10hipError_tT1_PNSt15iterator_traitsISG_E10value_typeET2_T3_PNSH_ISM_E10value_typeET4_T5_PSR_SS_PNS1_23onesweep_lookback_stateEbbT6_jjT7_P12ihipStream_tbENKUlT_T0_SG_SL_E_clIS9_SA_SB_SB_EEDaSZ_S10_SG_SL_EUlSZ_E_NS1_11comp_targetILNS1_3genE6ELNS1_11target_archE950ELNS1_3gpuE13ELNS1_3repE0EEENS1_47radix_sort_onesweep_sort_config_static_selectorELNS0_4arch9wavefront6targetE0EEEvSG_,@function
_ZN7rocprim17ROCPRIM_400000_NS6detail17trampoline_kernelINS0_14default_configENS1_35radix_sort_onesweep_config_selectorIiNS0_10empty_typeEEEZZNS1_29radix_sort_onesweep_iterationIS3_Lb1EPKiPiPS5_SB_mNS0_19identity_decomposerENS1_16block_id_wrapperIjLb1EEEEE10hipError_tT1_PNSt15iterator_traitsISG_E10value_typeET2_T3_PNSH_ISM_E10value_typeET4_T5_PSR_SS_PNS1_23onesweep_lookback_stateEbbT6_jjT7_P12ihipStream_tbENKUlT_T0_SG_SL_E_clIS9_SA_SB_SB_EEDaSZ_S10_SG_SL_EUlSZ_E_NS1_11comp_targetILNS1_3genE6ELNS1_11target_archE950ELNS1_3gpuE13ELNS1_3repE0EEENS1_47radix_sort_onesweep_sort_config_static_selectorELNS0_4arch9wavefront6targetE0EEEvSG_: ; @_ZN7rocprim17ROCPRIM_400000_NS6detail17trampoline_kernelINS0_14default_configENS1_35radix_sort_onesweep_config_selectorIiNS0_10empty_typeEEEZZNS1_29radix_sort_onesweep_iterationIS3_Lb1EPKiPiPS5_SB_mNS0_19identity_decomposerENS1_16block_id_wrapperIjLb1EEEEE10hipError_tT1_PNSt15iterator_traitsISG_E10value_typeET2_T3_PNSH_ISM_E10value_typeET4_T5_PSR_SS_PNS1_23onesweep_lookback_stateEbbT6_jjT7_P12ihipStream_tbENKUlT_T0_SG_SL_E_clIS9_SA_SB_SB_EEDaSZ_S10_SG_SL_EUlSZ_E_NS1_11comp_targetILNS1_3genE6ELNS1_11target_archE950ELNS1_3gpuE13ELNS1_3repE0EEENS1_47radix_sort_onesweep_sort_config_static_selectorELNS0_4arch9wavefront6targetE0EEEvSG_
; %bb.0:
	.section	.rodata,"a",@progbits
	.p2align	6, 0x0
	.amdhsa_kernel _ZN7rocprim17ROCPRIM_400000_NS6detail17trampoline_kernelINS0_14default_configENS1_35radix_sort_onesweep_config_selectorIiNS0_10empty_typeEEEZZNS1_29radix_sort_onesweep_iterationIS3_Lb1EPKiPiPS5_SB_mNS0_19identity_decomposerENS1_16block_id_wrapperIjLb1EEEEE10hipError_tT1_PNSt15iterator_traitsISG_E10value_typeET2_T3_PNSH_ISM_E10value_typeET4_T5_PSR_SS_PNS1_23onesweep_lookback_stateEbbT6_jjT7_P12ihipStream_tbENKUlT_T0_SG_SL_E_clIS9_SA_SB_SB_EEDaSZ_S10_SG_SL_EUlSZ_E_NS1_11comp_targetILNS1_3genE6ELNS1_11target_archE950ELNS1_3gpuE13ELNS1_3repE0EEENS1_47radix_sort_onesweep_sort_config_static_selectorELNS0_4arch9wavefront6targetE0EEEvSG_
		.amdhsa_group_segment_fixed_size 0
		.amdhsa_private_segment_fixed_size 0
		.amdhsa_kernarg_size 88
		.amdhsa_user_sgpr_count 2
		.amdhsa_user_sgpr_dispatch_ptr 0
		.amdhsa_user_sgpr_queue_ptr 0
		.amdhsa_user_sgpr_kernarg_segment_ptr 1
		.amdhsa_user_sgpr_dispatch_id 0
		.amdhsa_user_sgpr_kernarg_preload_length 0
		.amdhsa_user_sgpr_kernarg_preload_offset 0
		.amdhsa_user_sgpr_private_segment_size 0
		.amdhsa_wavefront_size32 1
		.amdhsa_uses_dynamic_stack 0
		.amdhsa_enable_private_segment 0
		.amdhsa_system_sgpr_workgroup_id_x 1
		.amdhsa_system_sgpr_workgroup_id_y 0
		.amdhsa_system_sgpr_workgroup_id_z 0
		.amdhsa_system_sgpr_workgroup_info 0
		.amdhsa_system_vgpr_workitem_id 0
		.amdhsa_next_free_vgpr 1
		.amdhsa_next_free_sgpr 1
		.amdhsa_named_barrier_count 0
		.amdhsa_reserve_vcc 0
		.amdhsa_float_round_mode_32 0
		.amdhsa_float_round_mode_16_64 0
		.amdhsa_float_denorm_mode_32 3
		.amdhsa_float_denorm_mode_16_64 3
		.amdhsa_fp16_overflow 0
		.amdhsa_memory_ordered 1
		.amdhsa_forward_progress 1
		.amdhsa_inst_pref_size 0
		.amdhsa_round_robin_scheduling 0
		.amdhsa_exception_fp_ieee_invalid_op 0
		.amdhsa_exception_fp_denorm_src 0
		.amdhsa_exception_fp_ieee_div_zero 0
		.amdhsa_exception_fp_ieee_overflow 0
		.amdhsa_exception_fp_ieee_underflow 0
		.amdhsa_exception_fp_ieee_inexact 0
		.amdhsa_exception_int_div_zero 0
	.end_amdhsa_kernel
	.section	.text._ZN7rocprim17ROCPRIM_400000_NS6detail17trampoline_kernelINS0_14default_configENS1_35radix_sort_onesweep_config_selectorIiNS0_10empty_typeEEEZZNS1_29radix_sort_onesweep_iterationIS3_Lb1EPKiPiPS5_SB_mNS0_19identity_decomposerENS1_16block_id_wrapperIjLb1EEEEE10hipError_tT1_PNSt15iterator_traitsISG_E10value_typeET2_T3_PNSH_ISM_E10value_typeET4_T5_PSR_SS_PNS1_23onesweep_lookback_stateEbbT6_jjT7_P12ihipStream_tbENKUlT_T0_SG_SL_E_clIS9_SA_SB_SB_EEDaSZ_S10_SG_SL_EUlSZ_E_NS1_11comp_targetILNS1_3genE6ELNS1_11target_archE950ELNS1_3gpuE13ELNS1_3repE0EEENS1_47radix_sort_onesweep_sort_config_static_selectorELNS0_4arch9wavefront6targetE0EEEvSG_,"axG",@progbits,_ZN7rocprim17ROCPRIM_400000_NS6detail17trampoline_kernelINS0_14default_configENS1_35radix_sort_onesweep_config_selectorIiNS0_10empty_typeEEEZZNS1_29radix_sort_onesweep_iterationIS3_Lb1EPKiPiPS5_SB_mNS0_19identity_decomposerENS1_16block_id_wrapperIjLb1EEEEE10hipError_tT1_PNSt15iterator_traitsISG_E10value_typeET2_T3_PNSH_ISM_E10value_typeET4_T5_PSR_SS_PNS1_23onesweep_lookback_stateEbbT6_jjT7_P12ihipStream_tbENKUlT_T0_SG_SL_E_clIS9_SA_SB_SB_EEDaSZ_S10_SG_SL_EUlSZ_E_NS1_11comp_targetILNS1_3genE6ELNS1_11target_archE950ELNS1_3gpuE13ELNS1_3repE0EEENS1_47radix_sort_onesweep_sort_config_static_selectorELNS0_4arch9wavefront6targetE0EEEvSG_,comdat
.Lfunc_end850:
	.size	_ZN7rocprim17ROCPRIM_400000_NS6detail17trampoline_kernelINS0_14default_configENS1_35radix_sort_onesweep_config_selectorIiNS0_10empty_typeEEEZZNS1_29radix_sort_onesweep_iterationIS3_Lb1EPKiPiPS5_SB_mNS0_19identity_decomposerENS1_16block_id_wrapperIjLb1EEEEE10hipError_tT1_PNSt15iterator_traitsISG_E10value_typeET2_T3_PNSH_ISM_E10value_typeET4_T5_PSR_SS_PNS1_23onesweep_lookback_stateEbbT6_jjT7_P12ihipStream_tbENKUlT_T0_SG_SL_E_clIS9_SA_SB_SB_EEDaSZ_S10_SG_SL_EUlSZ_E_NS1_11comp_targetILNS1_3genE6ELNS1_11target_archE950ELNS1_3gpuE13ELNS1_3repE0EEENS1_47radix_sort_onesweep_sort_config_static_selectorELNS0_4arch9wavefront6targetE0EEEvSG_, .Lfunc_end850-_ZN7rocprim17ROCPRIM_400000_NS6detail17trampoline_kernelINS0_14default_configENS1_35radix_sort_onesweep_config_selectorIiNS0_10empty_typeEEEZZNS1_29radix_sort_onesweep_iterationIS3_Lb1EPKiPiPS5_SB_mNS0_19identity_decomposerENS1_16block_id_wrapperIjLb1EEEEE10hipError_tT1_PNSt15iterator_traitsISG_E10value_typeET2_T3_PNSH_ISM_E10value_typeET4_T5_PSR_SS_PNS1_23onesweep_lookback_stateEbbT6_jjT7_P12ihipStream_tbENKUlT_T0_SG_SL_E_clIS9_SA_SB_SB_EEDaSZ_S10_SG_SL_EUlSZ_E_NS1_11comp_targetILNS1_3genE6ELNS1_11target_archE950ELNS1_3gpuE13ELNS1_3repE0EEENS1_47radix_sort_onesweep_sort_config_static_selectorELNS0_4arch9wavefront6targetE0EEEvSG_
                                        ; -- End function
	.set _ZN7rocprim17ROCPRIM_400000_NS6detail17trampoline_kernelINS0_14default_configENS1_35radix_sort_onesweep_config_selectorIiNS0_10empty_typeEEEZZNS1_29radix_sort_onesweep_iterationIS3_Lb1EPKiPiPS5_SB_mNS0_19identity_decomposerENS1_16block_id_wrapperIjLb1EEEEE10hipError_tT1_PNSt15iterator_traitsISG_E10value_typeET2_T3_PNSH_ISM_E10value_typeET4_T5_PSR_SS_PNS1_23onesweep_lookback_stateEbbT6_jjT7_P12ihipStream_tbENKUlT_T0_SG_SL_E_clIS9_SA_SB_SB_EEDaSZ_S10_SG_SL_EUlSZ_E_NS1_11comp_targetILNS1_3genE6ELNS1_11target_archE950ELNS1_3gpuE13ELNS1_3repE0EEENS1_47radix_sort_onesweep_sort_config_static_selectorELNS0_4arch9wavefront6targetE0EEEvSG_.num_vgpr, 0
	.set _ZN7rocprim17ROCPRIM_400000_NS6detail17trampoline_kernelINS0_14default_configENS1_35radix_sort_onesweep_config_selectorIiNS0_10empty_typeEEEZZNS1_29radix_sort_onesweep_iterationIS3_Lb1EPKiPiPS5_SB_mNS0_19identity_decomposerENS1_16block_id_wrapperIjLb1EEEEE10hipError_tT1_PNSt15iterator_traitsISG_E10value_typeET2_T3_PNSH_ISM_E10value_typeET4_T5_PSR_SS_PNS1_23onesweep_lookback_stateEbbT6_jjT7_P12ihipStream_tbENKUlT_T0_SG_SL_E_clIS9_SA_SB_SB_EEDaSZ_S10_SG_SL_EUlSZ_E_NS1_11comp_targetILNS1_3genE6ELNS1_11target_archE950ELNS1_3gpuE13ELNS1_3repE0EEENS1_47radix_sort_onesweep_sort_config_static_selectorELNS0_4arch9wavefront6targetE0EEEvSG_.num_agpr, 0
	.set _ZN7rocprim17ROCPRIM_400000_NS6detail17trampoline_kernelINS0_14default_configENS1_35radix_sort_onesweep_config_selectorIiNS0_10empty_typeEEEZZNS1_29radix_sort_onesweep_iterationIS3_Lb1EPKiPiPS5_SB_mNS0_19identity_decomposerENS1_16block_id_wrapperIjLb1EEEEE10hipError_tT1_PNSt15iterator_traitsISG_E10value_typeET2_T3_PNSH_ISM_E10value_typeET4_T5_PSR_SS_PNS1_23onesweep_lookback_stateEbbT6_jjT7_P12ihipStream_tbENKUlT_T0_SG_SL_E_clIS9_SA_SB_SB_EEDaSZ_S10_SG_SL_EUlSZ_E_NS1_11comp_targetILNS1_3genE6ELNS1_11target_archE950ELNS1_3gpuE13ELNS1_3repE0EEENS1_47radix_sort_onesweep_sort_config_static_selectorELNS0_4arch9wavefront6targetE0EEEvSG_.numbered_sgpr, 0
	.set _ZN7rocprim17ROCPRIM_400000_NS6detail17trampoline_kernelINS0_14default_configENS1_35radix_sort_onesweep_config_selectorIiNS0_10empty_typeEEEZZNS1_29radix_sort_onesweep_iterationIS3_Lb1EPKiPiPS5_SB_mNS0_19identity_decomposerENS1_16block_id_wrapperIjLb1EEEEE10hipError_tT1_PNSt15iterator_traitsISG_E10value_typeET2_T3_PNSH_ISM_E10value_typeET4_T5_PSR_SS_PNS1_23onesweep_lookback_stateEbbT6_jjT7_P12ihipStream_tbENKUlT_T0_SG_SL_E_clIS9_SA_SB_SB_EEDaSZ_S10_SG_SL_EUlSZ_E_NS1_11comp_targetILNS1_3genE6ELNS1_11target_archE950ELNS1_3gpuE13ELNS1_3repE0EEENS1_47radix_sort_onesweep_sort_config_static_selectorELNS0_4arch9wavefront6targetE0EEEvSG_.num_named_barrier, 0
	.set _ZN7rocprim17ROCPRIM_400000_NS6detail17trampoline_kernelINS0_14default_configENS1_35radix_sort_onesweep_config_selectorIiNS0_10empty_typeEEEZZNS1_29radix_sort_onesweep_iterationIS3_Lb1EPKiPiPS5_SB_mNS0_19identity_decomposerENS1_16block_id_wrapperIjLb1EEEEE10hipError_tT1_PNSt15iterator_traitsISG_E10value_typeET2_T3_PNSH_ISM_E10value_typeET4_T5_PSR_SS_PNS1_23onesweep_lookback_stateEbbT6_jjT7_P12ihipStream_tbENKUlT_T0_SG_SL_E_clIS9_SA_SB_SB_EEDaSZ_S10_SG_SL_EUlSZ_E_NS1_11comp_targetILNS1_3genE6ELNS1_11target_archE950ELNS1_3gpuE13ELNS1_3repE0EEENS1_47radix_sort_onesweep_sort_config_static_selectorELNS0_4arch9wavefront6targetE0EEEvSG_.private_seg_size, 0
	.set _ZN7rocprim17ROCPRIM_400000_NS6detail17trampoline_kernelINS0_14default_configENS1_35radix_sort_onesweep_config_selectorIiNS0_10empty_typeEEEZZNS1_29radix_sort_onesweep_iterationIS3_Lb1EPKiPiPS5_SB_mNS0_19identity_decomposerENS1_16block_id_wrapperIjLb1EEEEE10hipError_tT1_PNSt15iterator_traitsISG_E10value_typeET2_T3_PNSH_ISM_E10value_typeET4_T5_PSR_SS_PNS1_23onesweep_lookback_stateEbbT6_jjT7_P12ihipStream_tbENKUlT_T0_SG_SL_E_clIS9_SA_SB_SB_EEDaSZ_S10_SG_SL_EUlSZ_E_NS1_11comp_targetILNS1_3genE6ELNS1_11target_archE950ELNS1_3gpuE13ELNS1_3repE0EEENS1_47radix_sort_onesweep_sort_config_static_selectorELNS0_4arch9wavefront6targetE0EEEvSG_.uses_vcc, 0
	.set _ZN7rocprim17ROCPRIM_400000_NS6detail17trampoline_kernelINS0_14default_configENS1_35radix_sort_onesweep_config_selectorIiNS0_10empty_typeEEEZZNS1_29radix_sort_onesweep_iterationIS3_Lb1EPKiPiPS5_SB_mNS0_19identity_decomposerENS1_16block_id_wrapperIjLb1EEEEE10hipError_tT1_PNSt15iterator_traitsISG_E10value_typeET2_T3_PNSH_ISM_E10value_typeET4_T5_PSR_SS_PNS1_23onesweep_lookback_stateEbbT6_jjT7_P12ihipStream_tbENKUlT_T0_SG_SL_E_clIS9_SA_SB_SB_EEDaSZ_S10_SG_SL_EUlSZ_E_NS1_11comp_targetILNS1_3genE6ELNS1_11target_archE950ELNS1_3gpuE13ELNS1_3repE0EEENS1_47radix_sort_onesweep_sort_config_static_selectorELNS0_4arch9wavefront6targetE0EEEvSG_.uses_flat_scratch, 0
	.set _ZN7rocprim17ROCPRIM_400000_NS6detail17trampoline_kernelINS0_14default_configENS1_35radix_sort_onesweep_config_selectorIiNS0_10empty_typeEEEZZNS1_29radix_sort_onesweep_iterationIS3_Lb1EPKiPiPS5_SB_mNS0_19identity_decomposerENS1_16block_id_wrapperIjLb1EEEEE10hipError_tT1_PNSt15iterator_traitsISG_E10value_typeET2_T3_PNSH_ISM_E10value_typeET4_T5_PSR_SS_PNS1_23onesweep_lookback_stateEbbT6_jjT7_P12ihipStream_tbENKUlT_T0_SG_SL_E_clIS9_SA_SB_SB_EEDaSZ_S10_SG_SL_EUlSZ_E_NS1_11comp_targetILNS1_3genE6ELNS1_11target_archE950ELNS1_3gpuE13ELNS1_3repE0EEENS1_47radix_sort_onesweep_sort_config_static_selectorELNS0_4arch9wavefront6targetE0EEEvSG_.has_dyn_sized_stack, 0
	.set _ZN7rocprim17ROCPRIM_400000_NS6detail17trampoline_kernelINS0_14default_configENS1_35radix_sort_onesweep_config_selectorIiNS0_10empty_typeEEEZZNS1_29radix_sort_onesweep_iterationIS3_Lb1EPKiPiPS5_SB_mNS0_19identity_decomposerENS1_16block_id_wrapperIjLb1EEEEE10hipError_tT1_PNSt15iterator_traitsISG_E10value_typeET2_T3_PNSH_ISM_E10value_typeET4_T5_PSR_SS_PNS1_23onesweep_lookback_stateEbbT6_jjT7_P12ihipStream_tbENKUlT_T0_SG_SL_E_clIS9_SA_SB_SB_EEDaSZ_S10_SG_SL_EUlSZ_E_NS1_11comp_targetILNS1_3genE6ELNS1_11target_archE950ELNS1_3gpuE13ELNS1_3repE0EEENS1_47radix_sort_onesweep_sort_config_static_selectorELNS0_4arch9wavefront6targetE0EEEvSG_.has_recursion, 0
	.set _ZN7rocprim17ROCPRIM_400000_NS6detail17trampoline_kernelINS0_14default_configENS1_35radix_sort_onesweep_config_selectorIiNS0_10empty_typeEEEZZNS1_29radix_sort_onesweep_iterationIS3_Lb1EPKiPiPS5_SB_mNS0_19identity_decomposerENS1_16block_id_wrapperIjLb1EEEEE10hipError_tT1_PNSt15iterator_traitsISG_E10value_typeET2_T3_PNSH_ISM_E10value_typeET4_T5_PSR_SS_PNS1_23onesweep_lookback_stateEbbT6_jjT7_P12ihipStream_tbENKUlT_T0_SG_SL_E_clIS9_SA_SB_SB_EEDaSZ_S10_SG_SL_EUlSZ_E_NS1_11comp_targetILNS1_3genE6ELNS1_11target_archE950ELNS1_3gpuE13ELNS1_3repE0EEENS1_47radix_sort_onesweep_sort_config_static_selectorELNS0_4arch9wavefront6targetE0EEEvSG_.has_indirect_call, 0
	.section	.AMDGPU.csdata,"",@progbits
; Kernel info:
; codeLenInByte = 0
; TotalNumSgprs: 0
; NumVgprs: 0
; ScratchSize: 0
; MemoryBound: 0
; FloatMode: 240
; IeeeMode: 1
; LDSByteSize: 0 bytes/workgroup (compile time only)
; SGPRBlocks: 0
; VGPRBlocks: 0
; NumSGPRsForWavesPerEU: 1
; NumVGPRsForWavesPerEU: 1
; NamedBarCnt: 0
; Occupancy: 16
; WaveLimiterHint : 0
; COMPUTE_PGM_RSRC2:SCRATCH_EN: 0
; COMPUTE_PGM_RSRC2:USER_SGPR: 2
; COMPUTE_PGM_RSRC2:TRAP_HANDLER: 0
; COMPUTE_PGM_RSRC2:TGID_X_EN: 1
; COMPUTE_PGM_RSRC2:TGID_Y_EN: 0
; COMPUTE_PGM_RSRC2:TGID_Z_EN: 0
; COMPUTE_PGM_RSRC2:TIDIG_COMP_CNT: 0
	.section	.text._ZN7rocprim17ROCPRIM_400000_NS6detail17trampoline_kernelINS0_14default_configENS1_35radix_sort_onesweep_config_selectorIiNS0_10empty_typeEEEZZNS1_29radix_sort_onesweep_iterationIS3_Lb1EPKiPiPS5_SB_mNS0_19identity_decomposerENS1_16block_id_wrapperIjLb1EEEEE10hipError_tT1_PNSt15iterator_traitsISG_E10value_typeET2_T3_PNSH_ISM_E10value_typeET4_T5_PSR_SS_PNS1_23onesweep_lookback_stateEbbT6_jjT7_P12ihipStream_tbENKUlT_T0_SG_SL_E_clIS9_SA_SB_SB_EEDaSZ_S10_SG_SL_EUlSZ_E_NS1_11comp_targetILNS1_3genE5ELNS1_11target_archE942ELNS1_3gpuE9ELNS1_3repE0EEENS1_47radix_sort_onesweep_sort_config_static_selectorELNS0_4arch9wavefront6targetE0EEEvSG_,"axG",@progbits,_ZN7rocprim17ROCPRIM_400000_NS6detail17trampoline_kernelINS0_14default_configENS1_35radix_sort_onesweep_config_selectorIiNS0_10empty_typeEEEZZNS1_29radix_sort_onesweep_iterationIS3_Lb1EPKiPiPS5_SB_mNS0_19identity_decomposerENS1_16block_id_wrapperIjLb1EEEEE10hipError_tT1_PNSt15iterator_traitsISG_E10value_typeET2_T3_PNSH_ISM_E10value_typeET4_T5_PSR_SS_PNS1_23onesweep_lookback_stateEbbT6_jjT7_P12ihipStream_tbENKUlT_T0_SG_SL_E_clIS9_SA_SB_SB_EEDaSZ_S10_SG_SL_EUlSZ_E_NS1_11comp_targetILNS1_3genE5ELNS1_11target_archE942ELNS1_3gpuE9ELNS1_3repE0EEENS1_47radix_sort_onesweep_sort_config_static_selectorELNS0_4arch9wavefront6targetE0EEEvSG_,comdat
	.protected	_ZN7rocprim17ROCPRIM_400000_NS6detail17trampoline_kernelINS0_14default_configENS1_35radix_sort_onesweep_config_selectorIiNS0_10empty_typeEEEZZNS1_29radix_sort_onesweep_iterationIS3_Lb1EPKiPiPS5_SB_mNS0_19identity_decomposerENS1_16block_id_wrapperIjLb1EEEEE10hipError_tT1_PNSt15iterator_traitsISG_E10value_typeET2_T3_PNSH_ISM_E10value_typeET4_T5_PSR_SS_PNS1_23onesweep_lookback_stateEbbT6_jjT7_P12ihipStream_tbENKUlT_T0_SG_SL_E_clIS9_SA_SB_SB_EEDaSZ_S10_SG_SL_EUlSZ_E_NS1_11comp_targetILNS1_3genE5ELNS1_11target_archE942ELNS1_3gpuE9ELNS1_3repE0EEENS1_47radix_sort_onesweep_sort_config_static_selectorELNS0_4arch9wavefront6targetE0EEEvSG_ ; -- Begin function _ZN7rocprim17ROCPRIM_400000_NS6detail17trampoline_kernelINS0_14default_configENS1_35radix_sort_onesweep_config_selectorIiNS0_10empty_typeEEEZZNS1_29radix_sort_onesweep_iterationIS3_Lb1EPKiPiPS5_SB_mNS0_19identity_decomposerENS1_16block_id_wrapperIjLb1EEEEE10hipError_tT1_PNSt15iterator_traitsISG_E10value_typeET2_T3_PNSH_ISM_E10value_typeET4_T5_PSR_SS_PNS1_23onesweep_lookback_stateEbbT6_jjT7_P12ihipStream_tbENKUlT_T0_SG_SL_E_clIS9_SA_SB_SB_EEDaSZ_S10_SG_SL_EUlSZ_E_NS1_11comp_targetILNS1_3genE5ELNS1_11target_archE942ELNS1_3gpuE9ELNS1_3repE0EEENS1_47radix_sort_onesweep_sort_config_static_selectorELNS0_4arch9wavefront6targetE0EEEvSG_
	.globl	_ZN7rocprim17ROCPRIM_400000_NS6detail17trampoline_kernelINS0_14default_configENS1_35radix_sort_onesweep_config_selectorIiNS0_10empty_typeEEEZZNS1_29radix_sort_onesweep_iterationIS3_Lb1EPKiPiPS5_SB_mNS0_19identity_decomposerENS1_16block_id_wrapperIjLb1EEEEE10hipError_tT1_PNSt15iterator_traitsISG_E10value_typeET2_T3_PNSH_ISM_E10value_typeET4_T5_PSR_SS_PNS1_23onesweep_lookback_stateEbbT6_jjT7_P12ihipStream_tbENKUlT_T0_SG_SL_E_clIS9_SA_SB_SB_EEDaSZ_S10_SG_SL_EUlSZ_E_NS1_11comp_targetILNS1_3genE5ELNS1_11target_archE942ELNS1_3gpuE9ELNS1_3repE0EEENS1_47radix_sort_onesweep_sort_config_static_selectorELNS0_4arch9wavefront6targetE0EEEvSG_
	.p2align	8
	.type	_ZN7rocprim17ROCPRIM_400000_NS6detail17trampoline_kernelINS0_14default_configENS1_35radix_sort_onesweep_config_selectorIiNS0_10empty_typeEEEZZNS1_29radix_sort_onesweep_iterationIS3_Lb1EPKiPiPS5_SB_mNS0_19identity_decomposerENS1_16block_id_wrapperIjLb1EEEEE10hipError_tT1_PNSt15iterator_traitsISG_E10value_typeET2_T3_PNSH_ISM_E10value_typeET4_T5_PSR_SS_PNS1_23onesweep_lookback_stateEbbT6_jjT7_P12ihipStream_tbENKUlT_T0_SG_SL_E_clIS9_SA_SB_SB_EEDaSZ_S10_SG_SL_EUlSZ_E_NS1_11comp_targetILNS1_3genE5ELNS1_11target_archE942ELNS1_3gpuE9ELNS1_3repE0EEENS1_47radix_sort_onesweep_sort_config_static_selectorELNS0_4arch9wavefront6targetE0EEEvSG_,@function
_ZN7rocprim17ROCPRIM_400000_NS6detail17trampoline_kernelINS0_14default_configENS1_35radix_sort_onesweep_config_selectorIiNS0_10empty_typeEEEZZNS1_29radix_sort_onesweep_iterationIS3_Lb1EPKiPiPS5_SB_mNS0_19identity_decomposerENS1_16block_id_wrapperIjLb1EEEEE10hipError_tT1_PNSt15iterator_traitsISG_E10value_typeET2_T3_PNSH_ISM_E10value_typeET4_T5_PSR_SS_PNS1_23onesweep_lookback_stateEbbT6_jjT7_P12ihipStream_tbENKUlT_T0_SG_SL_E_clIS9_SA_SB_SB_EEDaSZ_S10_SG_SL_EUlSZ_E_NS1_11comp_targetILNS1_3genE5ELNS1_11target_archE942ELNS1_3gpuE9ELNS1_3repE0EEENS1_47radix_sort_onesweep_sort_config_static_selectorELNS0_4arch9wavefront6targetE0EEEvSG_: ; @_ZN7rocprim17ROCPRIM_400000_NS6detail17trampoline_kernelINS0_14default_configENS1_35radix_sort_onesweep_config_selectorIiNS0_10empty_typeEEEZZNS1_29radix_sort_onesweep_iterationIS3_Lb1EPKiPiPS5_SB_mNS0_19identity_decomposerENS1_16block_id_wrapperIjLb1EEEEE10hipError_tT1_PNSt15iterator_traitsISG_E10value_typeET2_T3_PNSH_ISM_E10value_typeET4_T5_PSR_SS_PNS1_23onesweep_lookback_stateEbbT6_jjT7_P12ihipStream_tbENKUlT_T0_SG_SL_E_clIS9_SA_SB_SB_EEDaSZ_S10_SG_SL_EUlSZ_E_NS1_11comp_targetILNS1_3genE5ELNS1_11target_archE942ELNS1_3gpuE9ELNS1_3repE0EEENS1_47radix_sort_onesweep_sort_config_static_selectorELNS0_4arch9wavefront6targetE0EEEvSG_
; %bb.0:
	.section	.rodata,"a",@progbits
	.p2align	6, 0x0
	.amdhsa_kernel _ZN7rocprim17ROCPRIM_400000_NS6detail17trampoline_kernelINS0_14default_configENS1_35radix_sort_onesweep_config_selectorIiNS0_10empty_typeEEEZZNS1_29radix_sort_onesweep_iterationIS3_Lb1EPKiPiPS5_SB_mNS0_19identity_decomposerENS1_16block_id_wrapperIjLb1EEEEE10hipError_tT1_PNSt15iterator_traitsISG_E10value_typeET2_T3_PNSH_ISM_E10value_typeET4_T5_PSR_SS_PNS1_23onesweep_lookback_stateEbbT6_jjT7_P12ihipStream_tbENKUlT_T0_SG_SL_E_clIS9_SA_SB_SB_EEDaSZ_S10_SG_SL_EUlSZ_E_NS1_11comp_targetILNS1_3genE5ELNS1_11target_archE942ELNS1_3gpuE9ELNS1_3repE0EEENS1_47radix_sort_onesweep_sort_config_static_selectorELNS0_4arch9wavefront6targetE0EEEvSG_
		.amdhsa_group_segment_fixed_size 0
		.amdhsa_private_segment_fixed_size 0
		.amdhsa_kernarg_size 88
		.amdhsa_user_sgpr_count 2
		.amdhsa_user_sgpr_dispatch_ptr 0
		.amdhsa_user_sgpr_queue_ptr 0
		.amdhsa_user_sgpr_kernarg_segment_ptr 1
		.amdhsa_user_sgpr_dispatch_id 0
		.amdhsa_user_sgpr_kernarg_preload_length 0
		.amdhsa_user_sgpr_kernarg_preload_offset 0
		.amdhsa_user_sgpr_private_segment_size 0
		.amdhsa_wavefront_size32 1
		.amdhsa_uses_dynamic_stack 0
		.amdhsa_enable_private_segment 0
		.amdhsa_system_sgpr_workgroup_id_x 1
		.amdhsa_system_sgpr_workgroup_id_y 0
		.amdhsa_system_sgpr_workgroup_id_z 0
		.amdhsa_system_sgpr_workgroup_info 0
		.amdhsa_system_vgpr_workitem_id 0
		.amdhsa_next_free_vgpr 1
		.amdhsa_next_free_sgpr 1
		.amdhsa_named_barrier_count 0
		.amdhsa_reserve_vcc 0
		.amdhsa_float_round_mode_32 0
		.amdhsa_float_round_mode_16_64 0
		.amdhsa_float_denorm_mode_32 3
		.amdhsa_float_denorm_mode_16_64 3
		.amdhsa_fp16_overflow 0
		.amdhsa_memory_ordered 1
		.amdhsa_forward_progress 1
		.amdhsa_inst_pref_size 0
		.amdhsa_round_robin_scheduling 0
		.amdhsa_exception_fp_ieee_invalid_op 0
		.amdhsa_exception_fp_denorm_src 0
		.amdhsa_exception_fp_ieee_div_zero 0
		.amdhsa_exception_fp_ieee_overflow 0
		.amdhsa_exception_fp_ieee_underflow 0
		.amdhsa_exception_fp_ieee_inexact 0
		.amdhsa_exception_int_div_zero 0
	.end_amdhsa_kernel
	.section	.text._ZN7rocprim17ROCPRIM_400000_NS6detail17trampoline_kernelINS0_14default_configENS1_35radix_sort_onesweep_config_selectorIiNS0_10empty_typeEEEZZNS1_29radix_sort_onesweep_iterationIS3_Lb1EPKiPiPS5_SB_mNS0_19identity_decomposerENS1_16block_id_wrapperIjLb1EEEEE10hipError_tT1_PNSt15iterator_traitsISG_E10value_typeET2_T3_PNSH_ISM_E10value_typeET4_T5_PSR_SS_PNS1_23onesweep_lookback_stateEbbT6_jjT7_P12ihipStream_tbENKUlT_T0_SG_SL_E_clIS9_SA_SB_SB_EEDaSZ_S10_SG_SL_EUlSZ_E_NS1_11comp_targetILNS1_3genE5ELNS1_11target_archE942ELNS1_3gpuE9ELNS1_3repE0EEENS1_47radix_sort_onesweep_sort_config_static_selectorELNS0_4arch9wavefront6targetE0EEEvSG_,"axG",@progbits,_ZN7rocprim17ROCPRIM_400000_NS6detail17trampoline_kernelINS0_14default_configENS1_35radix_sort_onesweep_config_selectorIiNS0_10empty_typeEEEZZNS1_29radix_sort_onesweep_iterationIS3_Lb1EPKiPiPS5_SB_mNS0_19identity_decomposerENS1_16block_id_wrapperIjLb1EEEEE10hipError_tT1_PNSt15iterator_traitsISG_E10value_typeET2_T3_PNSH_ISM_E10value_typeET4_T5_PSR_SS_PNS1_23onesweep_lookback_stateEbbT6_jjT7_P12ihipStream_tbENKUlT_T0_SG_SL_E_clIS9_SA_SB_SB_EEDaSZ_S10_SG_SL_EUlSZ_E_NS1_11comp_targetILNS1_3genE5ELNS1_11target_archE942ELNS1_3gpuE9ELNS1_3repE0EEENS1_47radix_sort_onesweep_sort_config_static_selectorELNS0_4arch9wavefront6targetE0EEEvSG_,comdat
.Lfunc_end851:
	.size	_ZN7rocprim17ROCPRIM_400000_NS6detail17trampoline_kernelINS0_14default_configENS1_35radix_sort_onesweep_config_selectorIiNS0_10empty_typeEEEZZNS1_29radix_sort_onesweep_iterationIS3_Lb1EPKiPiPS5_SB_mNS0_19identity_decomposerENS1_16block_id_wrapperIjLb1EEEEE10hipError_tT1_PNSt15iterator_traitsISG_E10value_typeET2_T3_PNSH_ISM_E10value_typeET4_T5_PSR_SS_PNS1_23onesweep_lookback_stateEbbT6_jjT7_P12ihipStream_tbENKUlT_T0_SG_SL_E_clIS9_SA_SB_SB_EEDaSZ_S10_SG_SL_EUlSZ_E_NS1_11comp_targetILNS1_3genE5ELNS1_11target_archE942ELNS1_3gpuE9ELNS1_3repE0EEENS1_47radix_sort_onesweep_sort_config_static_selectorELNS0_4arch9wavefront6targetE0EEEvSG_, .Lfunc_end851-_ZN7rocprim17ROCPRIM_400000_NS6detail17trampoline_kernelINS0_14default_configENS1_35radix_sort_onesweep_config_selectorIiNS0_10empty_typeEEEZZNS1_29radix_sort_onesweep_iterationIS3_Lb1EPKiPiPS5_SB_mNS0_19identity_decomposerENS1_16block_id_wrapperIjLb1EEEEE10hipError_tT1_PNSt15iterator_traitsISG_E10value_typeET2_T3_PNSH_ISM_E10value_typeET4_T5_PSR_SS_PNS1_23onesweep_lookback_stateEbbT6_jjT7_P12ihipStream_tbENKUlT_T0_SG_SL_E_clIS9_SA_SB_SB_EEDaSZ_S10_SG_SL_EUlSZ_E_NS1_11comp_targetILNS1_3genE5ELNS1_11target_archE942ELNS1_3gpuE9ELNS1_3repE0EEENS1_47radix_sort_onesweep_sort_config_static_selectorELNS0_4arch9wavefront6targetE0EEEvSG_
                                        ; -- End function
	.set _ZN7rocprim17ROCPRIM_400000_NS6detail17trampoline_kernelINS0_14default_configENS1_35radix_sort_onesweep_config_selectorIiNS0_10empty_typeEEEZZNS1_29radix_sort_onesweep_iterationIS3_Lb1EPKiPiPS5_SB_mNS0_19identity_decomposerENS1_16block_id_wrapperIjLb1EEEEE10hipError_tT1_PNSt15iterator_traitsISG_E10value_typeET2_T3_PNSH_ISM_E10value_typeET4_T5_PSR_SS_PNS1_23onesweep_lookback_stateEbbT6_jjT7_P12ihipStream_tbENKUlT_T0_SG_SL_E_clIS9_SA_SB_SB_EEDaSZ_S10_SG_SL_EUlSZ_E_NS1_11comp_targetILNS1_3genE5ELNS1_11target_archE942ELNS1_3gpuE9ELNS1_3repE0EEENS1_47radix_sort_onesweep_sort_config_static_selectorELNS0_4arch9wavefront6targetE0EEEvSG_.num_vgpr, 0
	.set _ZN7rocprim17ROCPRIM_400000_NS6detail17trampoline_kernelINS0_14default_configENS1_35radix_sort_onesweep_config_selectorIiNS0_10empty_typeEEEZZNS1_29radix_sort_onesweep_iterationIS3_Lb1EPKiPiPS5_SB_mNS0_19identity_decomposerENS1_16block_id_wrapperIjLb1EEEEE10hipError_tT1_PNSt15iterator_traitsISG_E10value_typeET2_T3_PNSH_ISM_E10value_typeET4_T5_PSR_SS_PNS1_23onesweep_lookback_stateEbbT6_jjT7_P12ihipStream_tbENKUlT_T0_SG_SL_E_clIS9_SA_SB_SB_EEDaSZ_S10_SG_SL_EUlSZ_E_NS1_11comp_targetILNS1_3genE5ELNS1_11target_archE942ELNS1_3gpuE9ELNS1_3repE0EEENS1_47radix_sort_onesweep_sort_config_static_selectorELNS0_4arch9wavefront6targetE0EEEvSG_.num_agpr, 0
	.set _ZN7rocprim17ROCPRIM_400000_NS6detail17trampoline_kernelINS0_14default_configENS1_35radix_sort_onesweep_config_selectorIiNS0_10empty_typeEEEZZNS1_29radix_sort_onesweep_iterationIS3_Lb1EPKiPiPS5_SB_mNS0_19identity_decomposerENS1_16block_id_wrapperIjLb1EEEEE10hipError_tT1_PNSt15iterator_traitsISG_E10value_typeET2_T3_PNSH_ISM_E10value_typeET4_T5_PSR_SS_PNS1_23onesweep_lookback_stateEbbT6_jjT7_P12ihipStream_tbENKUlT_T0_SG_SL_E_clIS9_SA_SB_SB_EEDaSZ_S10_SG_SL_EUlSZ_E_NS1_11comp_targetILNS1_3genE5ELNS1_11target_archE942ELNS1_3gpuE9ELNS1_3repE0EEENS1_47radix_sort_onesweep_sort_config_static_selectorELNS0_4arch9wavefront6targetE0EEEvSG_.numbered_sgpr, 0
	.set _ZN7rocprim17ROCPRIM_400000_NS6detail17trampoline_kernelINS0_14default_configENS1_35radix_sort_onesweep_config_selectorIiNS0_10empty_typeEEEZZNS1_29radix_sort_onesweep_iterationIS3_Lb1EPKiPiPS5_SB_mNS0_19identity_decomposerENS1_16block_id_wrapperIjLb1EEEEE10hipError_tT1_PNSt15iterator_traitsISG_E10value_typeET2_T3_PNSH_ISM_E10value_typeET4_T5_PSR_SS_PNS1_23onesweep_lookback_stateEbbT6_jjT7_P12ihipStream_tbENKUlT_T0_SG_SL_E_clIS9_SA_SB_SB_EEDaSZ_S10_SG_SL_EUlSZ_E_NS1_11comp_targetILNS1_3genE5ELNS1_11target_archE942ELNS1_3gpuE9ELNS1_3repE0EEENS1_47radix_sort_onesweep_sort_config_static_selectorELNS0_4arch9wavefront6targetE0EEEvSG_.num_named_barrier, 0
	.set _ZN7rocprim17ROCPRIM_400000_NS6detail17trampoline_kernelINS0_14default_configENS1_35radix_sort_onesweep_config_selectorIiNS0_10empty_typeEEEZZNS1_29radix_sort_onesweep_iterationIS3_Lb1EPKiPiPS5_SB_mNS0_19identity_decomposerENS1_16block_id_wrapperIjLb1EEEEE10hipError_tT1_PNSt15iterator_traitsISG_E10value_typeET2_T3_PNSH_ISM_E10value_typeET4_T5_PSR_SS_PNS1_23onesweep_lookback_stateEbbT6_jjT7_P12ihipStream_tbENKUlT_T0_SG_SL_E_clIS9_SA_SB_SB_EEDaSZ_S10_SG_SL_EUlSZ_E_NS1_11comp_targetILNS1_3genE5ELNS1_11target_archE942ELNS1_3gpuE9ELNS1_3repE0EEENS1_47radix_sort_onesweep_sort_config_static_selectorELNS0_4arch9wavefront6targetE0EEEvSG_.private_seg_size, 0
	.set _ZN7rocprim17ROCPRIM_400000_NS6detail17trampoline_kernelINS0_14default_configENS1_35radix_sort_onesweep_config_selectorIiNS0_10empty_typeEEEZZNS1_29radix_sort_onesweep_iterationIS3_Lb1EPKiPiPS5_SB_mNS0_19identity_decomposerENS1_16block_id_wrapperIjLb1EEEEE10hipError_tT1_PNSt15iterator_traitsISG_E10value_typeET2_T3_PNSH_ISM_E10value_typeET4_T5_PSR_SS_PNS1_23onesweep_lookback_stateEbbT6_jjT7_P12ihipStream_tbENKUlT_T0_SG_SL_E_clIS9_SA_SB_SB_EEDaSZ_S10_SG_SL_EUlSZ_E_NS1_11comp_targetILNS1_3genE5ELNS1_11target_archE942ELNS1_3gpuE9ELNS1_3repE0EEENS1_47radix_sort_onesweep_sort_config_static_selectorELNS0_4arch9wavefront6targetE0EEEvSG_.uses_vcc, 0
	.set _ZN7rocprim17ROCPRIM_400000_NS6detail17trampoline_kernelINS0_14default_configENS1_35radix_sort_onesweep_config_selectorIiNS0_10empty_typeEEEZZNS1_29radix_sort_onesweep_iterationIS3_Lb1EPKiPiPS5_SB_mNS0_19identity_decomposerENS1_16block_id_wrapperIjLb1EEEEE10hipError_tT1_PNSt15iterator_traitsISG_E10value_typeET2_T3_PNSH_ISM_E10value_typeET4_T5_PSR_SS_PNS1_23onesweep_lookback_stateEbbT6_jjT7_P12ihipStream_tbENKUlT_T0_SG_SL_E_clIS9_SA_SB_SB_EEDaSZ_S10_SG_SL_EUlSZ_E_NS1_11comp_targetILNS1_3genE5ELNS1_11target_archE942ELNS1_3gpuE9ELNS1_3repE0EEENS1_47radix_sort_onesweep_sort_config_static_selectorELNS0_4arch9wavefront6targetE0EEEvSG_.uses_flat_scratch, 0
	.set _ZN7rocprim17ROCPRIM_400000_NS6detail17trampoline_kernelINS0_14default_configENS1_35radix_sort_onesweep_config_selectorIiNS0_10empty_typeEEEZZNS1_29radix_sort_onesweep_iterationIS3_Lb1EPKiPiPS5_SB_mNS0_19identity_decomposerENS1_16block_id_wrapperIjLb1EEEEE10hipError_tT1_PNSt15iterator_traitsISG_E10value_typeET2_T3_PNSH_ISM_E10value_typeET4_T5_PSR_SS_PNS1_23onesweep_lookback_stateEbbT6_jjT7_P12ihipStream_tbENKUlT_T0_SG_SL_E_clIS9_SA_SB_SB_EEDaSZ_S10_SG_SL_EUlSZ_E_NS1_11comp_targetILNS1_3genE5ELNS1_11target_archE942ELNS1_3gpuE9ELNS1_3repE0EEENS1_47radix_sort_onesweep_sort_config_static_selectorELNS0_4arch9wavefront6targetE0EEEvSG_.has_dyn_sized_stack, 0
	.set _ZN7rocprim17ROCPRIM_400000_NS6detail17trampoline_kernelINS0_14default_configENS1_35radix_sort_onesweep_config_selectorIiNS0_10empty_typeEEEZZNS1_29radix_sort_onesweep_iterationIS3_Lb1EPKiPiPS5_SB_mNS0_19identity_decomposerENS1_16block_id_wrapperIjLb1EEEEE10hipError_tT1_PNSt15iterator_traitsISG_E10value_typeET2_T3_PNSH_ISM_E10value_typeET4_T5_PSR_SS_PNS1_23onesweep_lookback_stateEbbT6_jjT7_P12ihipStream_tbENKUlT_T0_SG_SL_E_clIS9_SA_SB_SB_EEDaSZ_S10_SG_SL_EUlSZ_E_NS1_11comp_targetILNS1_3genE5ELNS1_11target_archE942ELNS1_3gpuE9ELNS1_3repE0EEENS1_47radix_sort_onesweep_sort_config_static_selectorELNS0_4arch9wavefront6targetE0EEEvSG_.has_recursion, 0
	.set _ZN7rocprim17ROCPRIM_400000_NS6detail17trampoline_kernelINS0_14default_configENS1_35radix_sort_onesweep_config_selectorIiNS0_10empty_typeEEEZZNS1_29radix_sort_onesweep_iterationIS3_Lb1EPKiPiPS5_SB_mNS0_19identity_decomposerENS1_16block_id_wrapperIjLb1EEEEE10hipError_tT1_PNSt15iterator_traitsISG_E10value_typeET2_T3_PNSH_ISM_E10value_typeET4_T5_PSR_SS_PNS1_23onesweep_lookback_stateEbbT6_jjT7_P12ihipStream_tbENKUlT_T0_SG_SL_E_clIS9_SA_SB_SB_EEDaSZ_S10_SG_SL_EUlSZ_E_NS1_11comp_targetILNS1_3genE5ELNS1_11target_archE942ELNS1_3gpuE9ELNS1_3repE0EEENS1_47radix_sort_onesweep_sort_config_static_selectorELNS0_4arch9wavefront6targetE0EEEvSG_.has_indirect_call, 0
	.section	.AMDGPU.csdata,"",@progbits
; Kernel info:
; codeLenInByte = 0
; TotalNumSgprs: 0
; NumVgprs: 0
; ScratchSize: 0
; MemoryBound: 0
; FloatMode: 240
; IeeeMode: 1
; LDSByteSize: 0 bytes/workgroup (compile time only)
; SGPRBlocks: 0
; VGPRBlocks: 0
; NumSGPRsForWavesPerEU: 1
; NumVGPRsForWavesPerEU: 1
; NamedBarCnt: 0
; Occupancy: 16
; WaveLimiterHint : 0
; COMPUTE_PGM_RSRC2:SCRATCH_EN: 0
; COMPUTE_PGM_RSRC2:USER_SGPR: 2
; COMPUTE_PGM_RSRC2:TRAP_HANDLER: 0
; COMPUTE_PGM_RSRC2:TGID_X_EN: 1
; COMPUTE_PGM_RSRC2:TGID_Y_EN: 0
; COMPUTE_PGM_RSRC2:TGID_Z_EN: 0
; COMPUTE_PGM_RSRC2:TIDIG_COMP_CNT: 0
	.section	.text._ZN7rocprim17ROCPRIM_400000_NS6detail17trampoline_kernelINS0_14default_configENS1_35radix_sort_onesweep_config_selectorIiNS0_10empty_typeEEEZZNS1_29radix_sort_onesweep_iterationIS3_Lb1EPKiPiPS5_SB_mNS0_19identity_decomposerENS1_16block_id_wrapperIjLb1EEEEE10hipError_tT1_PNSt15iterator_traitsISG_E10value_typeET2_T3_PNSH_ISM_E10value_typeET4_T5_PSR_SS_PNS1_23onesweep_lookback_stateEbbT6_jjT7_P12ihipStream_tbENKUlT_T0_SG_SL_E_clIS9_SA_SB_SB_EEDaSZ_S10_SG_SL_EUlSZ_E_NS1_11comp_targetILNS1_3genE2ELNS1_11target_archE906ELNS1_3gpuE6ELNS1_3repE0EEENS1_47radix_sort_onesweep_sort_config_static_selectorELNS0_4arch9wavefront6targetE0EEEvSG_,"axG",@progbits,_ZN7rocprim17ROCPRIM_400000_NS6detail17trampoline_kernelINS0_14default_configENS1_35radix_sort_onesweep_config_selectorIiNS0_10empty_typeEEEZZNS1_29radix_sort_onesweep_iterationIS3_Lb1EPKiPiPS5_SB_mNS0_19identity_decomposerENS1_16block_id_wrapperIjLb1EEEEE10hipError_tT1_PNSt15iterator_traitsISG_E10value_typeET2_T3_PNSH_ISM_E10value_typeET4_T5_PSR_SS_PNS1_23onesweep_lookback_stateEbbT6_jjT7_P12ihipStream_tbENKUlT_T0_SG_SL_E_clIS9_SA_SB_SB_EEDaSZ_S10_SG_SL_EUlSZ_E_NS1_11comp_targetILNS1_3genE2ELNS1_11target_archE906ELNS1_3gpuE6ELNS1_3repE0EEENS1_47radix_sort_onesweep_sort_config_static_selectorELNS0_4arch9wavefront6targetE0EEEvSG_,comdat
	.protected	_ZN7rocprim17ROCPRIM_400000_NS6detail17trampoline_kernelINS0_14default_configENS1_35radix_sort_onesweep_config_selectorIiNS0_10empty_typeEEEZZNS1_29radix_sort_onesweep_iterationIS3_Lb1EPKiPiPS5_SB_mNS0_19identity_decomposerENS1_16block_id_wrapperIjLb1EEEEE10hipError_tT1_PNSt15iterator_traitsISG_E10value_typeET2_T3_PNSH_ISM_E10value_typeET4_T5_PSR_SS_PNS1_23onesweep_lookback_stateEbbT6_jjT7_P12ihipStream_tbENKUlT_T0_SG_SL_E_clIS9_SA_SB_SB_EEDaSZ_S10_SG_SL_EUlSZ_E_NS1_11comp_targetILNS1_3genE2ELNS1_11target_archE906ELNS1_3gpuE6ELNS1_3repE0EEENS1_47radix_sort_onesweep_sort_config_static_selectorELNS0_4arch9wavefront6targetE0EEEvSG_ ; -- Begin function _ZN7rocprim17ROCPRIM_400000_NS6detail17trampoline_kernelINS0_14default_configENS1_35radix_sort_onesweep_config_selectorIiNS0_10empty_typeEEEZZNS1_29radix_sort_onesweep_iterationIS3_Lb1EPKiPiPS5_SB_mNS0_19identity_decomposerENS1_16block_id_wrapperIjLb1EEEEE10hipError_tT1_PNSt15iterator_traitsISG_E10value_typeET2_T3_PNSH_ISM_E10value_typeET4_T5_PSR_SS_PNS1_23onesweep_lookback_stateEbbT6_jjT7_P12ihipStream_tbENKUlT_T0_SG_SL_E_clIS9_SA_SB_SB_EEDaSZ_S10_SG_SL_EUlSZ_E_NS1_11comp_targetILNS1_3genE2ELNS1_11target_archE906ELNS1_3gpuE6ELNS1_3repE0EEENS1_47radix_sort_onesweep_sort_config_static_selectorELNS0_4arch9wavefront6targetE0EEEvSG_
	.globl	_ZN7rocprim17ROCPRIM_400000_NS6detail17trampoline_kernelINS0_14default_configENS1_35radix_sort_onesweep_config_selectorIiNS0_10empty_typeEEEZZNS1_29radix_sort_onesweep_iterationIS3_Lb1EPKiPiPS5_SB_mNS0_19identity_decomposerENS1_16block_id_wrapperIjLb1EEEEE10hipError_tT1_PNSt15iterator_traitsISG_E10value_typeET2_T3_PNSH_ISM_E10value_typeET4_T5_PSR_SS_PNS1_23onesweep_lookback_stateEbbT6_jjT7_P12ihipStream_tbENKUlT_T0_SG_SL_E_clIS9_SA_SB_SB_EEDaSZ_S10_SG_SL_EUlSZ_E_NS1_11comp_targetILNS1_3genE2ELNS1_11target_archE906ELNS1_3gpuE6ELNS1_3repE0EEENS1_47radix_sort_onesweep_sort_config_static_selectorELNS0_4arch9wavefront6targetE0EEEvSG_
	.p2align	8
	.type	_ZN7rocprim17ROCPRIM_400000_NS6detail17trampoline_kernelINS0_14default_configENS1_35radix_sort_onesweep_config_selectorIiNS0_10empty_typeEEEZZNS1_29radix_sort_onesweep_iterationIS3_Lb1EPKiPiPS5_SB_mNS0_19identity_decomposerENS1_16block_id_wrapperIjLb1EEEEE10hipError_tT1_PNSt15iterator_traitsISG_E10value_typeET2_T3_PNSH_ISM_E10value_typeET4_T5_PSR_SS_PNS1_23onesweep_lookback_stateEbbT6_jjT7_P12ihipStream_tbENKUlT_T0_SG_SL_E_clIS9_SA_SB_SB_EEDaSZ_S10_SG_SL_EUlSZ_E_NS1_11comp_targetILNS1_3genE2ELNS1_11target_archE906ELNS1_3gpuE6ELNS1_3repE0EEENS1_47radix_sort_onesweep_sort_config_static_selectorELNS0_4arch9wavefront6targetE0EEEvSG_,@function
_ZN7rocprim17ROCPRIM_400000_NS6detail17trampoline_kernelINS0_14default_configENS1_35radix_sort_onesweep_config_selectorIiNS0_10empty_typeEEEZZNS1_29radix_sort_onesweep_iterationIS3_Lb1EPKiPiPS5_SB_mNS0_19identity_decomposerENS1_16block_id_wrapperIjLb1EEEEE10hipError_tT1_PNSt15iterator_traitsISG_E10value_typeET2_T3_PNSH_ISM_E10value_typeET4_T5_PSR_SS_PNS1_23onesweep_lookback_stateEbbT6_jjT7_P12ihipStream_tbENKUlT_T0_SG_SL_E_clIS9_SA_SB_SB_EEDaSZ_S10_SG_SL_EUlSZ_E_NS1_11comp_targetILNS1_3genE2ELNS1_11target_archE906ELNS1_3gpuE6ELNS1_3repE0EEENS1_47radix_sort_onesweep_sort_config_static_selectorELNS0_4arch9wavefront6targetE0EEEvSG_: ; @_ZN7rocprim17ROCPRIM_400000_NS6detail17trampoline_kernelINS0_14default_configENS1_35radix_sort_onesweep_config_selectorIiNS0_10empty_typeEEEZZNS1_29radix_sort_onesweep_iterationIS3_Lb1EPKiPiPS5_SB_mNS0_19identity_decomposerENS1_16block_id_wrapperIjLb1EEEEE10hipError_tT1_PNSt15iterator_traitsISG_E10value_typeET2_T3_PNSH_ISM_E10value_typeET4_T5_PSR_SS_PNS1_23onesweep_lookback_stateEbbT6_jjT7_P12ihipStream_tbENKUlT_T0_SG_SL_E_clIS9_SA_SB_SB_EEDaSZ_S10_SG_SL_EUlSZ_E_NS1_11comp_targetILNS1_3genE2ELNS1_11target_archE906ELNS1_3gpuE6ELNS1_3repE0EEENS1_47radix_sort_onesweep_sort_config_static_selectorELNS0_4arch9wavefront6targetE0EEEvSG_
; %bb.0:
	.section	.rodata,"a",@progbits
	.p2align	6, 0x0
	.amdhsa_kernel _ZN7rocprim17ROCPRIM_400000_NS6detail17trampoline_kernelINS0_14default_configENS1_35radix_sort_onesweep_config_selectorIiNS0_10empty_typeEEEZZNS1_29radix_sort_onesweep_iterationIS3_Lb1EPKiPiPS5_SB_mNS0_19identity_decomposerENS1_16block_id_wrapperIjLb1EEEEE10hipError_tT1_PNSt15iterator_traitsISG_E10value_typeET2_T3_PNSH_ISM_E10value_typeET4_T5_PSR_SS_PNS1_23onesweep_lookback_stateEbbT6_jjT7_P12ihipStream_tbENKUlT_T0_SG_SL_E_clIS9_SA_SB_SB_EEDaSZ_S10_SG_SL_EUlSZ_E_NS1_11comp_targetILNS1_3genE2ELNS1_11target_archE906ELNS1_3gpuE6ELNS1_3repE0EEENS1_47radix_sort_onesweep_sort_config_static_selectorELNS0_4arch9wavefront6targetE0EEEvSG_
		.amdhsa_group_segment_fixed_size 0
		.amdhsa_private_segment_fixed_size 0
		.amdhsa_kernarg_size 88
		.amdhsa_user_sgpr_count 2
		.amdhsa_user_sgpr_dispatch_ptr 0
		.amdhsa_user_sgpr_queue_ptr 0
		.amdhsa_user_sgpr_kernarg_segment_ptr 1
		.amdhsa_user_sgpr_dispatch_id 0
		.amdhsa_user_sgpr_kernarg_preload_length 0
		.amdhsa_user_sgpr_kernarg_preload_offset 0
		.amdhsa_user_sgpr_private_segment_size 0
		.amdhsa_wavefront_size32 1
		.amdhsa_uses_dynamic_stack 0
		.amdhsa_enable_private_segment 0
		.amdhsa_system_sgpr_workgroup_id_x 1
		.amdhsa_system_sgpr_workgroup_id_y 0
		.amdhsa_system_sgpr_workgroup_id_z 0
		.amdhsa_system_sgpr_workgroup_info 0
		.amdhsa_system_vgpr_workitem_id 0
		.amdhsa_next_free_vgpr 1
		.amdhsa_next_free_sgpr 1
		.amdhsa_named_barrier_count 0
		.amdhsa_reserve_vcc 0
		.amdhsa_float_round_mode_32 0
		.amdhsa_float_round_mode_16_64 0
		.amdhsa_float_denorm_mode_32 3
		.amdhsa_float_denorm_mode_16_64 3
		.amdhsa_fp16_overflow 0
		.amdhsa_memory_ordered 1
		.amdhsa_forward_progress 1
		.amdhsa_inst_pref_size 0
		.amdhsa_round_robin_scheduling 0
		.amdhsa_exception_fp_ieee_invalid_op 0
		.amdhsa_exception_fp_denorm_src 0
		.amdhsa_exception_fp_ieee_div_zero 0
		.amdhsa_exception_fp_ieee_overflow 0
		.amdhsa_exception_fp_ieee_underflow 0
		.amdhsa_exception_fp_ieee_inexact 0
		.amdhsa_exception_int_div_zero 0
	.end_amdhsa_kernel
	.section	.text._ZN7rocprim17ROCPRIM_400000_NS6detail17trampoline_kernelINS0_14default_configENS1_35radix_sort_onesweep_config_selectorIiNS0_10empty_typeEEEZZNS1_29radix_sort_onesweep_iterationIS3_Lb1EPKiPiPS5_SB_mNS0_19identity_decomposerENS1_16block_id_wrapperIjLb1EEEEE10hipError_tT1_PNSt15iterator_traitsISG_E10value_typeET2_T3_PNSH_ISM_E10value_typeET4_T5_PSR_SS_PNS1_23onesweep_lookback_stateEbbT6_jjT7_P12ihipStream_tbENKUlT_T0_SG_SL_E_clIS9_SA_SB_SB_EEDaSZ_S10_SG_SL_EUlSZ_E_NS1_11comp_targetILNS1_3genE2ELNS1_11target_archE906ELNS1_3gpuE6ELNS1_3repE0EEENS1_47radix_sort_onesweep_sort_config_static_selectorELNS0_4arch9wavefront6targetE0EEEvSG_,"axG",@progbits,_ZN7rocprim17ROCPRIM_400000_NS6detail17trampoline_kernelINS0_14default_configENS1_35radix_sort_onesweep_config_selectorIiNS0_10empty_typeEEEZZNS1_29radix_sort_onesweep_iterationIS3_Lb1EPKiPiPS5_SB_mNS0_19identity_decomposerENS1_16block_id_wrapperIjLb1EEEEE10hipError_tT1_PNSt15iterator_traitsISG_E10value_typeET2_T3_PNSH_ISM_E10value_typeET4_T5_PSR_SS_PNS1_23onesweep_lookback_stateEbbT6_jjT7_P12ihipStream_tbENKUlT_T0_SG_SL_E_clIS9_SA_SB_SB_EEDaSZ_S10_SG_SL_EUlSZ_E_NS1_11comp_targetILNS1_3genE2ELNS1_11target_archE906ELNS1_3gpuE6ELNS1_3repE0EEENS1_47radix_sort_onesweep_sort_config_static_selectorELNS0_4arch9wavefront6targetE0EEEvSG_,comdat
.Lfunc_end852:
	.size	_ZN7rocprim17ROCPRIM_400000_NS6detail17trampoline_kernelINS0_14default_configENS1_35radix_sort_onesweep_config_selectorIiNS0_10empty_typeEEEZZNS1_29radix_sort_onesweep_iterationIS3_Lb1EPKiPiPS5_SB_mNS0_19identity_decomposerENS1_16block_id_wrapperIjLb1EEEEE10hipError_tT1_PNSt15iterator_traitsISG_E10value_typeET2_T3_PNSH_ISM_E10value_typeET4_T5_PSR_SS_PNS1_23onesweep_lookback_stateEbbT6_jjT7_P12ihipStream_tbENKUlT_T0_SG_SL_E_clIS9_SA_SB_SB_EEDaSZ_S10_SG_SL_EUlSZ_E_NS1_11comp_targetILNS1_3genE2ELNS1_11target_archE906ELNS1_3gpuE6ELNS1_3repE0EEENS1_47radix_sort_onesweep_sort_config_static_selectorELNS0_4arch9wavefront6targetE0EEEvSG_, .Lfunc_end852-_ZN7rocprim17ROCPRIM_400000_NS6detail17trampoline_kernelINS0_14default_configENS1_35radix_sort_onesweep_config_selectorIiNS0_10empty_typeEEEZZNS1_29radix_sort_onesweep_iterationIS3_Lb1EPKiPiPS5_SB_mNS0_19identity_decomposerENS1_16block_id_wrapperIjLb1EEEEE10hipError_tT1_PNSt15iterator_traitsISG_E10value_typeET2_T3_PNSH_ISM_E10value_typeET4_T5_PSR_SS_PNS1_23onesweep_lookback_stateEbbT6_jjT7_P12ihipStream_tbENKUlT_T0_SG_SL_E_clIS9_SA_SB_SB_EEDaSZ_S10_SG_SL_EUlSZ_E_NS1_11comp_targetILNS1_3genE2ELNS1_11target_archE906ELNS1_3gpuE6ELNS1_3repE0EEENS1_47radix_sort_onesweep_sort_config_static_selectorELNS0_4arch9wavefront6targetE0EEEvSG_
                                        ; -- End function
	.set _ZN7rocprim17ROCPRIM_400000_NS6detail17trampoline_kernelINS0_14default_configENS1_35radix_sort_onesweep_config_selectorIiNS0_10empty_typeEEEZZNS1_29radix_sort_onesweep_iterationIS3_Lb1EPKiPiPS5_SB_mNS0_19identity_decomposerENS1_16block_id_wrapperIjLb1EEEEE10hipError_tT1_PNSt15iterator_traitsISG_E10value_typeET2_T3_PNSH_ISM_E10value_typeET4_T5_PSR_SS_PNS1_23onesweep_lookback_stateEbbT6_jjT7_P12ihipStream_tbENKUlT_T0_SG_SL_E_clIS9_SA_SB_SB_EEDaSZ_S10_SG_SL_EUlSZ_E_NS1_11comp_targetILNS1_3genE2ELNS1_11target_archE906ELNS1_3gpuE6ELNS1_3repE0EEENS1_47radix_sort_onesweep_sort_config_static_selectorELNS0_4arch9wavefront6targetE0EEEvSG_.num_vgpr, 0
	.set _ZN7rocprim17ROCPRIM_400000_NS6detail17trampoline_kernelINS0_14default_configENS1_35radix_sort_onesweep_config_selectorIiNS0_10empty_typeEEEZZNS1_29radix_sort_onesweep_iterationIS3_Lb1EPKiPiPS5_SB_mNS0_19identity_decomposerENS1_16block_id_wrapperIjLb1EEEEE10hipError_tT1_PNSt15iterator_traitsISG_E10value_typeET2_T3_PNSH_ISM_E10value_typeET4_T5_PSR_SS_PNS1_23onesweep_lookback_stateEbbT6_jjT7_P12ihipStream_tbENKUlT_T0_SG_SL_E_clIS9_SA_SB_SB_EEDaSZ_S10_SG_SL_EUlSZ_E_NS1_11comp_targetILNS1_3genE2ELNS1_11target_archE906ELNS1_3gpuE6ELNS1_3repE0EEENS1_47radix_sort_onesweep_sort_config_static_selectorELNS0_4arch9wavefront6targetE0EEEvSG_.num_agpr, 0
	.set _ZN7rocprim17ROCPRIM_400000_NS6detail17trampoline_kernelINS0_14default_configENS1_35radix_sort_onesweep_config_selectorIiNS0_10empty_typeEEEZZNS1_29radix_sort_onesweep_iterationIS3_Lb1EPKiPiPS5_SB_mNS0_19identity_decomposerENS1_16block_id_wrapperIjLb1EEEEE10hipError_tT1_PNSt15iterator_traitsISG_E10value_typeET2_T3_PNSH_ISM_E10value_typeET4_T5_PSR_SS_PNS1_23onesweep_lookback_stateEbbT6_jjT7_P12ihipStream_tbENKUlT_T0_SG_SL_E_clIS9_SA_SB_SB_EEDaSZ_S10_SG_SL_EUlSZ_E_NS1_11comp_targetILNS1_3genE2ELNS1_11target_archE906ELNS1_3gpuE6ELNS1_3repE0EEENS1_47radix_sort_onesweep_sort_config_static_selectorELNS0_4arch9wavefront6targetE0EEEvSG_.numbered_sgpr, 0
	.set _ZN7rocprim17ROCPRIM_400000_NS6detail17trampoline_kernelINS0_14default_configENS1_35radix_sort_onesweep_config_selectorIiNS0_10empty_typeEEEZZNS1_29radix_sort_onesweep_iterationIS3_Lb1EPKiPiPS5_SB_mNS0_19identity_decomposerENS1_16block_id_wrapperIjLb1EEEEE10hipError_tT1_PNSt15iterator_traitsISG_E10value_typeET2_T3_PNSH_ISM_E10value_typeET4_T5_PSR_SS_PNS1_23onesweep_lookback_stateEbbT6_jjT7_P12ihipStream_tbENKUlT_T0_SG_SL_E_clIS9_SA_SB_SB_EEDaSZ_S10_SG_SL_EUlSZ_E_NS1_11comp_targetILNS1_3genE2ELNS1_11target_archE906ELNS1_3gpuE6ELNS1_3repE0EEENS1_47radix_sort_onesweep_sort_config_static_selectorELNS0_4arch9wavefront6targetE0EEEvSG_.num_named_barrier, 0
	.set _ZN7rocprim17ROCPRIM_400000_NS6detail17trampoline_kernelINS0_14default_configENS1_35radix_sort_onesweep_config_selectorIiNS0_10empty_typeEEEZZNS1_29radix_sort_onesweep_iterationIS3_Lb1EPKiPiPS5_SB_mNS0_19identity_decomposerENS1_16block_id_wrapperIjLb1EEEEE10hipError_tT1_PNSt15iterator_traitsISG_E10value_typeET2_T3_PNSH_ISM_E10value_typeET4_T5_PSR_SS_PNS1_23onesweep_lookback_stateEbbT6_jjT7_P12ihipStream_tbENKUlT_T0_SG_SL_E_clIS9_SA_SB_SB_EEDaSZ_S10_SG_SL_EUlSZ_E_NS1_11comp_targetILNS1_3genE2ELNS1_11target_archE906ELNS1_3gpuE6ELNS1_3repE0EEENS1_47radix_sort_onesweep_sort_config_static_selectorELNS0_4arch9wavefront6targetE0EEEvSG_.private_seg_size, 0
	.set _ZN7rocprim17ROCPRIM_400000_NS6detail17trampoline_kernelINS0_14default_configENS1_35radix_sort_onesweep_config_selectorIiNS0_10empty_typeEEEZZNS1_29radix_sort_onesweep_iterationIS3_Lb1EPKiPiPS5_SB_mNS0_19identity_decomposerENS1_16block_id_wrapperIjLb1EEEEE10hipError_tT1_PNSt15iterator_traitsISG_E10value_typeET2_T3_PNSH_ISM_E10value_typeET4_T5_PSR_SS_PNS1_23onesweep_lookback_stateEbbT6_jjT7_P12ihipStream_tbENKUlT_T0_SG_SL_E_clIS9_SA_SB_SB_EEDaSZ_S10_SG_SL_EUlSZ_E_NS1_11comp_targetILNS1_3genE2ELNS1_11target_archE906ELNS1_3gpuE6ELNS1_3repE0EEENS1_47radix_sort_onesweep_sort_config_static_selectorELNS0_4arch9wavefront6targetE0EEEvSG_.uses_vcc, 0
	.set _ZN7rocprim17ROCPRIM_400000_NS6detail17trampoline_kernelINS0_14default_configENS1_35radix_sort_onesweep_config_selectorIiNS0_10empty_typeEEEZZNS1_29radix_sort_onesweep_iterationIS3_Lb1EPKiPiPS5_SB_mNS0_19identity_decomposerENS1_16block_id_wrapperIjLb1EEEEE10hipError_tT1_PNSt15iterator_traitsISG_E10value_typeET2_T3_PNSH_ISM_E10value_typeET4_T5_PSR_SS_PNS1_23onesweep_lookback_stateEbbT6_jjT7_P12ihipStream_tbENKUlT_T0_SG_SL_E_clIS9_SA_SB_SB_EEDaSZ_S10_SG_SL_EUlSZ_E_NS1_11comp_targetILNS1_3genE2ELNS1_11target_archE906ELNS1_3gpuE6ELNS1_3repE0EEENS1_47radix_sort_onesweep_sort_config_static_selectorELNS0_4arch9wavefront6targetE0EEEvSG_.uses_flat_scratch, 0
	.set _ZN7rocprim17ROCPRIM_400000_NS6detail17trampoline_kernelINS0_14default_configENS1_35radix_sort_onesweep_config_selectorIiNS0_10empty_typeEEEZZNS1_29radix_sort_onesweep_iterationIS3_Lb1EPKiPiPS5_SB_mNS0_19identity_decomposerENS1_16block_id_wrapperIjLb1EEEEE10hipError_tT1_PNSt15iterator_traitsISG_E10value_typeET2_T3_PNSH_ISM_E10value_typeET4_T5_PSR_SS_PNS1_23onesweep_lookback_stateEbbT6_jjT7_P12ihipStream_tbENKUlT_T0_SG_SL_E_clIS9_SA_SB_SB_EEDaSZ_S10_SG_SL_EUlSZ_E_NS1_11comp_targetILNS1_3genE2ELNS1_11target_archE906ELNS1_3gpuE6ELNS1_3repE0EEENS1_47radix_sort_onesweep_sort_config_static_selectorELNS0_4arch9wavefront6targetE0EEEvSG_.has_dyn_sized_stack, 0
	.set _ZN7rocprim17ROCPRIM_400000_NS6detail17trampoline_kernelINS0_14default_configENS1_35radix_sort_onesweep_config_selectorIiNS0_10empty_typeEEEZZNS1_29radix_sort_onesweep_iterationIS3_Lb1EPKiPiPS5_SB_mNS0_19identity_decomposerENS1_16block_id_wrapperIjLb1EEEEE10hipError_tT1_PNSt15iterator_traitsISG_E10value_typeET2_T3_PNSH_ISM_E10value_typeET4_T5_PSR_SS_PNS1_23onesweep_lookback_stateEbbT6_jjT7_P12ihipStream_tbENKUlT_T0_SG_SL_E_clIS9_SA_SB_SB_EEDaSZ_S10_SG_SL_EUlSZ_E_NS1_11comp_targetILNS1_3genE2ELNS1_11target_archE906ELNS1_3gpuE6ELNS1_3repE0EEENS1_47radix_sort_onesweep_sort_config_static_selectorELNS0_4arch9wavefront6targetE0EEEvSG_.has_recursion, 0
	.set _ZN7rocprim17ROCPRIM_400000_NS6detail17trampoline_kernelINS0_14default_configENS1_35radix_sort_onesweep_config_selectorIiNS0_10empty_typeEEEZZNS1_29radix_sort_onesweep_iterationIS3_Lb1EPKiPiPS5_SB_mNS0_19identity_decomposerENS1_16block_id_wrapperIjLb1EEEEE10hipError_tT1_PNSt15iterator_traitsISG_E10value_typeET2_T3_PNSH_ISM_E10value_typeET4_T5_PSR_SS_PNS1_23onesweep_lookback_stateEbbT6_jjT7_P12ihipStream_tbENKUlT_T0_SG_SL_E_clIS9_SA_SB_SB_EEDaSZ_S10_SG_SL_EUlSZ_E_NS1_11comp_targetILNS1_3genE2ELNS1_11target_archE906ELNS1_3gpuE6ELNS1_3repE0EEENS1_47radix_sort_onesweep_sort_config_static_selectorELNS0_4arch9wavefront6targetE0EEEvSG_.has_indirect_call, 0
	.section	.AMDGPU.csdata,"",@progbits
; Kernel info:
; codeLenInByte = 0
; TotalNumSgprs: 0
; NumVgprs: 0
; ScratchSize: 0
; MemoryBound: 0
; FloatMode: 240
; IeeeMode: 1
; LDSByteSize: 0 bytes/workgroup (compile time only)
; SGPRBlocks: 0
; VGPRBlocks: 0
; NumSGPRsForWavesPerEU: 1
; NumVGPRsForWavesPerEU: 1
; NamedBarCnt: 0
; Occupancy: 16
; WaveLimiterHint : 0
; COMPUTE_PGM_RSRC2:SCRATCH_EN: 0
; COMPUTE_PGM_RSRC2:USER_SGPR: 2
; COMPUTE_PGM_RSRC2:TRAP_HANDLER: 0
; COMPUTE_PGM_RSRC2:TGID_X_EN: 1
; COMPUTE_PGM_RSRC2:TGID_Y_EN: 0
; COMPUTE_PGM_RSRC2:TGID_Z_EN: 0
; COMPUTE_PGM_RSRC2:TIDIG_COMP_CNT: 0
	.section	.text._ZN7rocprim17ROCPRIM_400000_NS6detail17trampoline_kernelINS0_14default_configENS1_35radix_sort_onesweep_config_selectorIiNS0_10empty_typeEEEZZNS1_29radix_sort_onesweep_iterationIS3_Lb1EPKiPiPS5_SB_mNS0_19identity_decomposerENS1_16block_id_wrapperIjLb1EEEEE10hipError_tT1_PNSt15iterator_traitsISG_E10value_typeET2_T3_PNSH_ISM_E10value_typeET4_T5_PSR_SS_PNS1_23onesweep_lookback_stateEbbT6_jjT7_P12ihipStream_tbENKUlT_T0_SG_SL_E_clIS9_SA_SB_SB_EEDaSZ_S10_SG_SL_EUlSZ_E_NS1_11comp_targetILNS1_3genE4ELNS1_11target_archE910ELNS1_3gpuE8ELNS1_3repE0EEENS1_47radix_sort_onesweep_sort_config_static_selectorELNS0_4arch9wavefront6targetE0EEEvSG_,"axG",@progbits,_ZN7rocprim17ROCPRIM_400000_NS6detail17trampoline_kernelINS0_14default_configENS1_35radix_sort_onesweep_config_selectorIiNS0_10empty_typeEEEZZNS1_29radix_sort_onesweep_iterationIS3_Lb1EPKiPiPS5_SB_mNS0_19identity_decomposerENS1_16block_id_wrapperIjLb1EEEEE10hipError_tT1_PNSt15iterator_traitsISG_E10value_typeET2_T3_PNSH_ISM_E10value_typeET4_T5_PSR_SS_PNS1_23onesweep_lookback_stateEbbT6_jjT7_P12ihipStream_tbENKUlT_T0_SG_SL_E_clIS9_SA_SB_SB_EEDaSZ_S10_SG_SL_EUlSZ_E_NS1_11comp_targetILNS1_3genE4ELNS1_11target_archE910ELNS1_3gpuE8ELNS1_3repE0EEENS1_47radix_sort_onesweep_sort_config_static_selectorELNS0_4arch9wavefront6targetE0EEEvSG_,comdat
	.protected	_ZN7rocprim17ROCPRIM_400000_NS6detail17trampoline_kernelINS0_14default_configENS1_35radix_sort_onesweep_config_selectorIiNS0_10empty_typeEEEZZNS1_29radix_sort_onesweep_iterationIS3_Lb1EPKiPiPS5_SB_mNS0_19identity_decomposerENS1_16block_id_wrapperIjLb1EEEEE10hipError_tT1_PNSt15iterator_traitsISG_E10value_typeET2_T3_PNSH_ISM_E10value_typeET4_T5_PSR_SS_PNS1_23onesweep_lookback_stateEbbT6_jjT7_P12ihipStream_tbENKUlT_T0_SG_SL_E_clIS9_SA_SB_SB_EEDaSZ_S10_SG_SL_EUlSZ_E_NS1_11comp_targetILNS1_3genE4ELNS1_11target_archE910ELNS1_3gpuE8ELNS1_3repE0EEENS1_47radix_sort_onesweep_sort_config_static_selectorELNS0_4arch9wavefront6targetE0EEEvSG_ ; -- Begin function _ZN7rocprim17ROCPRIM_400000_NS6detail17trampoline_kernelINS0_14default_configENS1_35radix_sort_onesweep_config_selectorIiNS0_10empty_typeEEEZZNS1_29radix_sort_onesweep_iterationIS3_Lb1EPKiPiPS5_SB_mNS0_19identity_decomposerENS1_16block_id_wrapperIjLb1EEEEE10hipError_tT1_PNSt15iterator_traitsISG_E10value_typeET2_T3_PNSH_ISM_E10value_typeET4_T5_PSR_SS_PNS1_23onesweep_lookback_stateEbbT6_jjT7_P12ihipStream_tbENKUlT_T0_SG_SL_E_clIS9_SA_SB_SB_EEDaSZ_S10_SG_SL_EUlSZ_E_NS1_11comp_targetILNS1_3genE4ELNS1_11target_archE910ELNS1_3gpuE8ELNS1_3repE0EEENS1_47radix_sort_onesweep_sort_config_static_selectorELNS0_4arch9wavefront6targetE0EEEvSG_
	.globl	_ZN7rocprim17ROCPRIM_400000_NS6detail17trampoline_kernelINS0_14default_configENS1_35radix_sort_onesweep_config_selectorIiNS0_10empty_typeEEEZZNS1_29radix_sort_onesweep_iterationIS3_Lb1EPKiPiPS5_SB_mNS0_19identity_decomposerENS1_16block_id_wrapperIjLb1EEEEE10hipError_tT1_PNSt15iterator_traitsISG_E10value_typeET2_T3_PNSH_ISM_E10value_typeET4_T5_PSR_SS_PNS1_23onesweep_lookback_stateEbbT6_jjT7_P12ihipStream_tbENKUlT_T0_SG_SL_E_clIS9_SA_SB_SB_EEDaSZ_S10_SG_SL_EUlSZ_E_NS1_11comp_targetILNS1_3genE4ELNS1_11target_archE910ELNS1_3gpuE8ELNS1_3repE0EEENS1_47radix_sort_onesweep_sort_config_static_selectorELNS0_4arch9wavefront6targetE0EEEvSG_
	.p2align	8
	.type	_ZN7rocprim17ROCPRIM_400000_NS6detail17trampoline_kernelINS0_14default_configENS1_35radix_sort_onesweep_config_selectorIiNS0_10empty_typeEEEZZNS1_29radix_sort_onesweep_iterationIS3_Lb1EPKiPiPS5_SB_mNS0_19identity_decomposerENS1_16block_id_wrapperIjLb1EEEEE10hipError_tT1_PNSt15iterator_traitsISG_E10value_typeET2_T3_PNSH_ISM_E10value_typeET4_T5_PSR_SS_PNS1_23onesweep_lookback_stateEbbT6_jjT7_P12ihipStream_tbENKUlT_T0_SG_SL_E_clIS9_SA_SB_SB_EEDaSZ_S10_SG_SL_EUlSZ_E_NS1_11comp_targetILNS1_3genE4ELNS1_11target_archE910ELNS1_3gpuE8ELNS1_3repE0EEENS1_47radix_sort_onesweep_sort_config_static_selectorELNS0_4arch9wavefront6targetE0EEEvSG_,@function
_ZN7rocprim17ROCPRIM_400000_NS6detail17trampoline_kernelINS0_14default_configENS1_35radix_sort_onesweep_config_selectorIiNS0_10empty_typeEEEZZNS1_29radix_sort_onesweep_iterationIS3_Lb1EPKiPiPS5_SB_mNS0_19identity_decomposerENS1_16block_id_wrapperIjLb1EEEEE10hipError_tT1_PNSt15iterator_traitsISG_E10value_typeET2_T3_PNSH_ISM_E10value_typeET4_T5_PSR_SS_PNS1_23onesweep_lookback_stateEbbT6_jjT7_P12ihipStream_tbENKUlT_T0_SG_SL_E_clIS9_SA_SB_SB_EEDaSZ_S10_SG_SL_EUlSZ_E_NS1_11comp_targetILNS1_3genE4ELNS1_11target_archE910ELNS1_3gpuE8ELNS1_3repE0EEENS1_47radix_sort_onesweep_sort_config_static_selectorELNS0_4arch9wavefront6targetE0EEEvSG_: ; @_ZN7rocprim17ROCPRIM_400000_NS6detail17trampoline_kernelINS0_14default_configENS1_35radix_sort_onesweep_config_selectorIiNS0_10empty_typeEEEZZNS1_29radix_sort_onesweep_iterationIS3_Lb1EPKiPiPS5_SB_mNS0_19identity_decomposerENS1_16block_id_wrapperIjLb1EEEEE10hipError_tT1_PNSt15iterator_traitsISG_E10value_typeET2_T3_PNSH_ISM_E10value_typeET4_T5_PSR_SS_PNS1_23onesweep_lookback_stateEbbT6_jjT7_P12ihipStream_tbENKUlT_T0_SG_SL_E_clIS9_SA_SB_SB_EEDaSZ_S10_SG_SL_EUlSZ_E_NS1_11comp_targetILNS1_3genE4ELNS1_11target_archE910ELNS1_3gpuE8ELNS1_3repE0EEENS1_47radix_sort_onesweep_sort_config_static_selectorELNS0_4arch9wavefront6targetE0EEEvSG_
; %bb.0:
	.section	.rodata,"a",@progbits
	.p2align	6, 0x0
	.amdhsa_kernel _ZN7rocprim17ROCPRIM_400000_NS6detail17trampoline_kernelINS0_14default_configENS1_35radix_sort_onesweep_config_selectorIiNS0_10empty_typeEEEZZNS1_29radix_sort_onesweep_iterationIS3_Lb1EPKiPiPS5_SB_mNS0_19identity_decomposerENS1_16block_id_wrapperIjLb1EEEEE10hipError_tT1_PNSt15iterator_traitsISG_E10value_typeET2_T3_PNSH_ISM_E10value_typeET4_T5_PSR_SS_PNS1_23onesweep_lookback_stateEbbT6_jjT7_P12ihipStream_tbENKUlT_T0_SG_SL_E_clIS9_SA_SB_SB_EEDaSZ_S10_SG_SL_EUlSZ_E_NS1_11comp_targetILNS1_3genE4ELNS1_11target_archE910ELNS1_3gpuE8ELNS1_3repE0EEENS1_47radix_sort_onesweep_sort_config_static_selectorELNS0_4arch9wavefront6targetE0EEEvSG_
		.amdhsa_group_segment_fixed_size 0
		.amdhsa_private_segment_fixed_size 0
		.amdhsa_kernarg_size 88
		.amdhsa_user_sgpr_count 2
		.amdhsa_user_sgpr_dispatch_ptr 0
		.amdhsa_user_sgpr_queue_ptr 0
		.amdhsa_user_sgpr_kernarg_segment_ptr 1
		.amdhsa_user_sgpr_dispatch_id 0
		.amdhsa_user_sgpr_kernarg_preload_length 0
		.amdhsa_user_sgpr_kernarg_preload_offset 0
		.amdhsa_user_sgpr_private_segment_size 0
		.amdhsa_wavefront_size32 1
		.amdhsa_uses_dynamic_stack 0
		.amdhsa_enable_private_segment 0
		.amdhsa_system_sgpr_workgroup_id_x 1
		.amdhsa_system_sgpr_workgroup_id_y 0
		.amdhsa_system_sgpr_workgroup_id_z 0
		.amdhsa_system_sgpr_workgroup_info 0
		.amdhsa_system_vgpr_workitem_id 0
		.amdhsa_next_free_vgpr 1
		.amdhsa_next_free_sgpr 1
		.amdhsa_named_barrier_count 0
		.amdhsa_reserve_vcc 0
		.amdhsa_float_round_mode_32 0
		.amdhsa_float_round_mode_16_64 0
		.amdhsa_float_denorm_mode_32 3
		.amdhsa_float_denorm_mode_16_64 3
		.amdhsa_fp16_overflow 0
		.amdhsa_memory_ordered 1
		.amdhsa_forward_progress 1
		.amdhsa_inst_pref_size 0
		.amdhsa_round_robin_scheduling 0
		.amdhsa_exception_fp_ieee_invalid_op 0
		.amdhsa_exception_fp_denorm_src 0
		.amdhsa_exception_fp_ieee_div_zero 0
		.amdhsa_exception_fp_ieee_overflow 0
		.amdhsa_exception_fp_ieee_underflow 0
		.amdhsa_exception_fp_ieee_inexact 0
		.amdhsa_exception_int_div_zero 0
	.end_amdhsa_kernel
	.section	.text._ZN7rocprim17ROCPRIM_400000_NS6detail17trampoline_kernelINS0_14default_configENS1_35radix_sort_onesweep_config_selectorIiNS0_10empty_typeEEEZZNS1_29radix_sort_onesweep_iterationIS3_Lb1EPKiPiPS5_SB_mNS0_19identity_decomposerENS1_16block_id_wrapperIjLb1EEEEE10hipError_tT1_PNSt15iterator_traitsISG_E10value_typeET2_T3_PNSH_ISM_E10value_typeET4_T5_PSR_SS_PNS1_23onesweep_lookback_stateEbbT6_jjT7_P12ihipStream_tbENKUlT_T0_SG_SL_E_clIS9_SA_SB_SB_EEDaSZ_S10_SG_SL_EUlSZ_E_NS1_11comp_targetILNS1_3genE4ELNS1_11target_archE910ELNS1_3gpuE8ELNS1_3repE0EEENS1_47radix_sort_onesweep_sort_config_static_selectorELNS0_4arch9wavefront6targetE0EEEvSG_,"axG",@progbits,_ZN7rocprim17ROCPRIM_400000_NS6detail17trampoline_kernelINS0_14default_configENS1_35radix_sort_onesweep_config_selectorIiNS0_10empty_typeEEEZZNS1_29radix_sort_onesweep_iterationIS3_Lb1EPKiPiPS5_SB_mNS0_19identity_decomposerENS1_16block_id_wrapperIjLb1EEEEE10hipError_tT1_PNSt15iterator_traitsISG_E10value_typeET2_T3_PNSH_ISM_E10value_typeET4_T5_PSR_SS_PNS1_23onesweep_lookback_stateEbbT6_jjT7_P12ihipStream_tbENKUlT_T0_SG_SL_E_clIS9_SA_SB_SB_EEDaSZ_S10_SG_SL_EUlSZ_E_NS1_11comp_targetILNS1_3genE4ELNS1_11target_archE910ELNS1_3gpuE8ELNS1_3repE0EEENS1_47radix_sort_onesweep_sort_config_static_selectorELNS0_4arch9wavefront6targetE0EEEvSG_,comdat
.Lfunc_end853:
	.size	_ZN7rocprim17ROCPRIM_400000_NS6detail17trampoline_kernelINS0_14default_configENS1_35radix_sort_onesweep_config_selectorIiNS0_10empty_typeEEEZZNS1_29radix_sort_onesweep_iterationIS3_Lb1EPKiPiPS5_SB_mNS0_19identity_decomposerENS1_16block_id_wrapperIjLb1EEEEE10hipError_tT1_PNSt15iterator_traitsISG_E10value_typeET2_T3_PNSH_ISM_E10value_typeET4_T5_PSR_SS_PNS1_23onesweep_lookback_stateEbbT6_jjT7_P12ihipStream_tbENKUlT_T0_SG_SL_E_clIS9_SA_SB_SB_EEDaSZ_S10_SG_SL_EUlSZ_E_NS1_11comp_targetILNS1_3genE4ELNS1_11target_archE910ELNS1_3gpuE8ELNS1_3repE0EEENS1_47radix_sort_onesweep_sort_config_static_selectorELNS0_4arch9wavefront6targetE0EEEvSG_, .Lfunc_end853-_ZN7rocprim17ROCPRIM_400000_NS6detail17trampoline_kernelINS0_14default_configENS1_35radix_sort_onesweep_config_selectorIiNS0_10empty_typeEEEZZNS1_29radix_sort_onesweep_iterationIS3_Lb1EPKiPiPS5_SB_mNS0_19identity_decomposerENS1_16block_id_wrapperIjLb1EEEEE10hipError_tT1_PNSt15iterator_traitsISG_E10value_typeET2_T3_PNSH_ISM_E10value_typeET4_T5_PSR_SS_PNS1_23onesweep_lookback_stateEbbT6_jjT7_P12ihipStream_tbENKUlT_T0_SG_SL_E_clIS9_SA_SB_SB_EEDaSZ_S10_SG_SL_EUlSZ_E_NS1_11comp_targetILNS1_3genE4ELNS1_11target_archE910ELNS1_3gpuE8ELNS1_3repE0EEENS1_47radix_sort_onesweep_sort_config_static_selectorELNS0_4arch9wavefront6targetE0EEEvSG_
                                        ; -- End function
	.set _ZN7rocprim17ROCPRIM_400000_NS6detail17trampoline_kernelINS0_14default_configENS1_35radix_sort_onesweep_config_selectorIiNS0_10empty_typeEEEZZNS1_29radix_sort_onesweep_iterationIS3_Lb1EPKiPiPS5_SB_mNS0_19identity_decomposerENS1_16block_id_wrapperIjLb1EEEEE10hipError_tT1_PNSt15iterator_traitsISG_E10value_typeET2_T3_PNSH_ISM_E10value_typeET4_T5_PSR_SS_PNS1_23onesweep_lookback_stateEbbT6_jjT7_P12ihipStream_tbENKUlT_T0_SG_SL_E_clIS9_SA_SB_SB_EEDaSZ_S10_SG_SL_EUlSZ_E_NS1_11comp_targetILNS1_3genE4ELNS1_11target_archE910ELNS1_3gpuE8ELNS1_3repE0EEENS1_47radix_sort_onesweep_sort_config_static_selectorELNS0_4arch9wavefront6targetE0EEEvSG_.num_vgpr, 0
	.set _ZN7rocprim17ROCPRIM_400000_NS6detail17trampoline_kernelINS0_14default_configENS1_35radix_sort_onesweep_config_selectorIiNS0_10empty_typeEEEZZNS1_29radix_sort_onesweep_iterationIS3_Lb1EPKiPiPS5_SB_mNS0_19identity_decomposerENS1_16block_id_wrapperIjLb1EEEEE10hipError_tT1_PNSt15iterator_traitsISG_E10value_typeET2_T3_PNSH_ISM_E10value_typeET4_T5_PSR_SS_PNS1_23onesweep_lookback_stateEbbT6_jjT7_P12ihipStream_tbENKUlT_T0_SG_SL_E_clIS9_SA_SB_SB_EEDaSZ_S10_SG_SL_EUlSZ_E_NS1_11comp_targetILNS1_3genE4ELNS1_11target_archE910ELNS1_3gpuE8ELNS1_3repE0EEENS1_47radix_sort_onesweep_sort_config_static_selectorELNS0_4arch9wavefront6targetE0EEEvSG_.num_agpr, 0
	.set _ZN7rocprim17ROCPRIM_400000_NS6detail17trampoline_kernelINS0_14default_configENS1_35radix_sort_onesweep_config_selectorIiNS0_10empty_typeEEEZZNS1_29radix_sort_onesweep_iterationIS3_Lb1EPKiPiPS5_SB_mNS0_19identity_decomposerENS1_16block_id_wrapperIjLb1EEEEE10hipError_tT1_PNSt15iterator_traitsISG_E10value_typeET2_T3_PNSH_ISM_E10value_typeET4_T5_PSR_SS_PNS1_23onesweep_lookback_stateEbbT6_jjT7_P12ihipStream_tbENKUlT_T0_SG_SL_E_clIS9_SA_SB_SB_EEDaSZ_S10_SG_SL_EUlSZ_E_NS1_11comp_targetILNS1_3genE4ELNS1_11target_archE910ELNS1_3gpuE8ELNS1_3repE0EEENS1_47radix_sort_onesweep_sort_config_static_selectorELNS0_4arch9wavefront6targetE0EEEvSG_.numbered_sgpr, 0
	.set _ZN7rocprim17ROCPRIM_400000_NS6detail17trampoline_kernelINS0_14default_configENS1_35radix_sort_onesweep_config_selectorIiNS0_10empty_typeEEEZZNS1_29radix_sort_onesweep_iterationIS3_Lb1EPKiPiPS5_SB_mNS0_19identity_decomposerENS1_16block_id_wrapperIjLb1EEEEE10hipError_tT1_PNSt15iterator_traitsISG_E10value_typeET2_T3_PNSH_ISM_E10value_typeET4_T5_PSR_SS_PNS1_23onesweep_lookback_stateEbbT6_jjT7_P12ihipStream_tbENKUlT_T0_SG_SL_E_clIS9_SA_SB_SB_EEDaSZ_S10_SG_SL_EUlSZ_E_NS1_11comp_targetILNS1_3genE4ELNS1_11target_archE910ELNS1_3gpuE8ELNS1_3repE0EEENS1_47radix_sort_onesweep_sort_config_static_selectorELNS0_4arch9wavefront6targetE0EEEvSG_.num_named_barrier, 0
	.set _ZN7rocprim17ROCPRIM_400000_NS6detail17trampoline_kernelINS0_14default_configENS1_35radix_sort_onesweep_config_selectorIiNS0_10empty_typeEEEZZNS1_29radix_sort_onesweep_iterationIS3_Lb1EPKiPiPS5_SB_mNS0_19identity_decomposerENS1_16block_id_wrapperIjLb1EEEEE10hipError_tT1_PNSt15iterator_traitsISG_E10value_typeET2_T3_PNSH_ISM_E10value_typeET4_T5_PSR_SS_PNS1_23onesweep_lookback_stateEbbT6_jjT7_P12ihipStream_tbENKUlT_T0_SG_SL_E_clIS9_SA_SB_SB_EEDaSZ_S10_SG_SL_EUlSZ_E_NS1_11comp_targetILNS1_3genE4ELNS1_11target_archE910ELNS1_3gpuE8ELNS1_3repE0EEENS1_47radix_sort_onesweep_sort_config_static_selectorELNS0_4arch9wavefront6targetE0EEEvSG_.private_seg_size, 0
	.set _ZN7rocprim17ROCPRIM_400000_NS6detail17trampoline_kernelINS0_14default_configENS1_35radix_sort_onesweep_config_selectorIiNS0_10empty_typeEEEZZNS1_29radix_sort_onesweep_iterationIS3_Lb1EPKiPiPS5_SB_mNS0_19identity_decomposerENS1_16block_id_wrapperIjLb1EEEEE10hipError_tT1_PNSt15iterator_traitsISG_E10value_typeET2_T3_PNSH_ISM_E10value_typeET4_T5_PSR_SS_PNS1_23onesweep_lookback_stateEbbT6_jjT7_P12ihipStream_tbENKUlT_T0_SG_SL_E_clIS9_SA_SB_SB_EEDaSZ_S10_SG_SL_EUlSZ_E_NS1_11comp_targetILNS1_3genE4ELNS1_11target_archE910ELNS1_3gpuE8ELNS1_3repE0EEENS1_47radix_sort_onesweep_sort_config_static_selectorELNS0_4arch9wavefront6targetE0EEEvSG_.uses_vcc, 0
	.set _ZN7rocprim17ROCPRIM_400000_NS6detail17trampoline_kernelINS0_14default_configENS1_35radix_sort_onesweep_config_selectorIiNS0_10empty_typeEEEZZNS1_29radix_sort_onesweep_iterationIS3_Lb1EPKiPiPS5_SB_mNS0_19identity_decomposerENS1_16block_id_wrapperIjLb1EEEEE10hipError_tT1_PNSt15iterator_traitsISG_E10value_typeET2_T3_PNSH_ISM_E10value_typeET4_T5_PSR_SS_PNS1_23onesweep_lookback_stateEbbT6_jjT7_P12ihipStream_tbENKUlT_T0_SG_SL_E_clIS9_SA_SB_SB_EEDaSZ_S10_SG_SL_EUlSZ_E_NS1_11comp_targetILNS1_3genE4ELNS1_11target_archE910ELNS1_3gpuE8ELNS1_3repE0EEENS1_47radix_sort_onesweep_sort_config_static_selectorELNS0_4arch9wavefront6targetE0EEEvSG_.uses_flat_scratch, 0
	.set _ZN7rocprim17ROCPRIM_400000_NS6detail17trampoline_kernelINS0_14default_configENS1_35radix_sort_onesweep_config_selectorIiNS0_10empty_typeEEEZZNS1_29radix_sort_onesweep_iterationIS3_Lb1EPKiPiPS5_SB_mNS0_19identity_decomposerENS1_16block_id_wrapperIjLb1EEEEE10hipError_tT1_PNSt15iterator_traitsISG_E10value_typeET2_T3_PNSH_ISM_E10value_typeET4_T5_PSR_SS_PNS1_23onesweep_lookback_stateEbbT6_jjT7_P12ihipStream_tbENKUlT_T0_SG_SL_E_clIS9_SA_SB_SB_EEDaSZ_S10_SG_SL_EUlSZ_E_NS1_11comp_targetILNS1_3genE4ELNS1_11target_archE910ELNS1_3gpuE8ELNS1_3repE0EEENS1_47radix_sort_onesweep_sort_config_static_selectorELNS0_4arch9wavefront6targetE0EEEvSG_.has_dyn_sized_stack, 0
	.set _ZN7rocprim17ROCPRIM_400000_NS6detail17trampoline_kernelINS0_14default_configENS1_35radix_sort_onesweep_config_selectorIiNS0_10empty_typeEEEZZNS1_29radix_sort_onesweep_iterationIS3_Lb1EPKiPiPS5_SB_mNS0_19identity_decomposerENS1_16block_id_wrapperIjLb1EEEEE10hipError_tT1_PNSt15iterator_traitsISG_E10value_typeET2_T3_PNSH_ISM_E10value_typeET4_T5_PSR_SS_PNS1_23onesweep_lookback_stateEbbT6_jjT7_P12ihipStream_tbENKUlT_T0_SG_SL_E_clIS9_SA_SB_SB_EEDaSZ_S10_SG_SL_EUlSZ_E_NS1_11comp_targetILNS1_3genE4ELNS1_11target_archE910ELNS1_3gpuE8ELNS1_3repE0EEENS1_47radix_sort_onesweep_sort_config_static_selectorELNS0_4arch9wavefront6targetE0EEEvSG_.has_recursion, 0
	.set _ZN7rocprim17ROCPRIM_400000_NS6detail17trampoline_kernelINS0_14default_configENS1_35radix_sort_onesweep_config_selectorIiNS0_10empty_typeEEEZZNS1_29radix_sort_onesweep_iterationIS3_Lb1EPKiPiPS5_SB_mNS0_19identity_decomposerENS1_16block_id_wrapperIjLb1EEEEE10hipError_tT1_PNSt15iterator_traitsISG_E10value_typeET2_T3_PNSH_ISM_E10value_typeET4_T5_PSR_SS_PNS1_23onesweep_lookback_stateEbbT6_jjT7_P12ihipStream_tbENKUlT_T0_SG_SL_E_clIS9_SA_SB_SB_EEDaSZ_S10_SG_SL_EUlSZ_E_NS1_11comp_targetILNS1_3genE4ELNS1_11target_archE910ELNS1_3gpuE8ELNS1_3repE0EEENS1_47radix_sort_onesweep_sort_config_static_selectorELNS0_4arch9wavefront6targetE0EEEvSG_.has_indirect_call, 0
	.section	.AMDGPU.csdata,"",@progbits
; Kernel info:
; codeLenInByte = 0
; TotalNumSgprs: 0
; NumVgprs: 0
; ScratchSize: 0
; MemoryBound: 0
; FloatMode: 240
; IeeeMode: 1
; LDSByteSize: 0 bytes/workgroup (compile time only)
; SGPRBlocks: 0
; VGPRBlocks: 0
; NumSGPRsForWavesPerEU: 1
; NumVGPRsForWavesPerEU: 1
; NamedBarCnt: 0
; Occupancy: 16
; WaveLimiterHint : 0
; COMPUTE_PGM_RSRC2:SCRATCH_EN: 0
; COMPUTE_PGM_RSRC2:USER_SGPR: 2
; COMPUTE_PGM_RSRC2:TRAP_HANDLER: 0
; COMPUTE_PGM_RSRC2:TGID_X_EN: 1
; COMPUTE_PGM_RSRC2:TGID_Y_EN: 0
; COMPUTE_PGM_RSRC2:TGID_Z_EN: 0
; COMPUTE_PGM_RSRC2:TIDIG_COMP_CNT: 0
	.section	.text._ZN7rocprim17ROCPRIM_400000_NS6detail17trampoline_kernelINS0_14default_configENS1_35radix_sort_onesweep_config_selectorIiNS0_10empty_typeEEEZZNS1_29radix_sort_onesweep_iterationIS3_Lb1EPKiPiPS5_SB_mNS0_19identity_decomposerENS1_16block_id_wrapperIjLb1EEEEE10hipError_tT1_PNSt15iterator_traitsISG_E10value_typeET2_T3_PNSH_ISM_E10value_typeET4_T5_PSR_SS_PNS1_23onesweep_lookback_stateEbbT6_jjT7_P12ihipStream_tbENKUlT_T0_SG_SL_E_clIS9_SA_SB_SB_EEDaSZ_S10_SG_SL_EUlSZ_E_NS1_11comp_targetILNS1_3genE3ELNS1_11target_archE908ELNS1_3gpuE7ELNS1_3repE0EEENS1_47radix_sort_onesweep_sort_config_static_selectorELNS0_4arch9wavefront6targetE0EEEvSG_,"axG",@progbits,_ZN7rocprim17ROCPRIM_400000_NS6detail17trampoline_kernelINS0_14default_configENS1_35radix_sort_onesweep_config_selectorIiNS0_10empty_typeEEEZZNS1_29radix_sort_onesweep_iterationIS3_Lb1EPKiPiPS5_SB_mNS0_19identity_decomposerENS1_16block_id_wrapperIjLb1EEEEE10hipError_tT1_PNSt15iterator_traitsISG_E10value_typeET2_T3_PNSH_ISM_E10value_typeET4_T5_PSR_SS_PNS1_23onesweep_lookback_stateEbbT6_jjT7_P12ihipStream_tbENKUlT_T0_SG_SL_E_clIS9_SA_SB_SB_EEDaSZ_S10_SG_SL_EUlSZ_E_NS1_11comp_targetILNS1_3genE3ELNS1_11target_archE908ELNS1_3gpuE7ELNS1_3repE0EEENS1_47radix_sort_onesweep_sort_config_static_selectorELNS0_4arch9wavefront6targetE0EEEvSG_,comdat
	.protected	_ZN7rocprim17ROCPRIM_400000_NS6detail17trampoline_kernelINS0_14default_configENS1_35radix_sort_onesweep_config_selectorIiNS0_10empty_typeEEEZZNS1_29radix_sort_onesweep_iterationIS3_Lb1EPKiPiPS5_SB_mNS0_19identity_decomposerENS1_16block_id_wrapperIjLb1EEEEE10hipError_tT1_PNSt15iterator_traitsISG_E10value_typeET2_T3_PNSH_ISM_E10value_typeET4_T5_PSR_SS_PNS1_23onesweep_lookback_stateEbbT6_jjT7_P12ihipStream_tbENKUlT_T0_SG_SL_E_clIS9_SA_SB_SB_EEDaSZ_S10_SG_SL_EUlSZ_E_NS1_11comp_targetILNS1_3genE3ELNS1_11target_archE908ELNS1_3gpuE7ELNS1_3repE0EEENS1_47radix_sort_onesweep_sort_config_static_selectorELNS0_4arch9wavefront6targetE0EEEvSG_ ; -- Begin function _ZN7rocprim17ROCPRIM_400000_NS6detail17trampoline_kernelINS0_14default_configENS1_35radix_sort_onesweep_config_selectorIiNS0_10empty_typeEEEZZNS1_29radix_sort_onesweep_iterationIS3_Lb1EPKiPiPS5_SB_mNS0_19identity_decomposerENS1_16block_id_wrapperIjLb1EEEEE10hipError_tT1_PNSt15iterator_traitsISG_E10value_typeET2_T3_PNSH_ISM_E10value_typeET4_T5_PSR_SS_PNS1_23onesweep_lookback_stateEbbT6_jjT7_P12ihipStream_tbENKUlT_T0_SG_SL_E_clIS9_SA_SB_SB_EEDaSZ_S10_SG_SL_EUlSZ_E_NS1_11comp_targetILNS1_3genE3ELNS1_11target_archE908ELNS1_3gpuE7ELNS1_3repE0EEENS1_47radix_sort_onesweep_sort_config_static_selectorELNS0_4arch9wavefront6targetE0EEEvSG_
	.globl	_ZN7rocprim17ROCPRIM_400000_NS6detail17trampoline_kernelINS0_14default_configENS1_35radix_sort_onesweep_config_selectorIiNS0_10empty_typeEEEZZNS1_29radix_sort_onesweep_iterationIS3_Lb1EPKiPiPS5_SB_mNS0_19identity_decomposerENS1_16block_id_wrapperIjLb1EEEEE10hipError_tT1_PNSt15iterator_traitsISG_E10value_typeET2_T3_PNSH_ISM_E10value_typeET4_T5_PSR_SS_PNS1_23onesweep_lookback_stateEbbT6_jjT7_P12ihipStream_tbENKUlT_T0_SG_SL_E_clIS9_SA_SB_SB_EEDaSZ_S10_SG_SL_EUlSZ_E_NS1_11comp_targetILNS1_3genE3ELNS1_11target_archE908ELNS1_3gpuE7ELNS1_3repE0EEENS1_47radix_sort_onesweep_sort_config_static_selectorELNS0_4arch9wavefront6targetE0EEEvSG_
	.p2align	8
	.type	_ZN7rocprim17ROCPRIM_400000_NS6detail17trampoline_kernelINS0_14default_configENS1_35radix_sort_onesweep_config_selectorIiNS0_10empty_typeEEEZZNS1_29radix_sort_onesweep_iterationIS3_Lb1EPKiPiPS5_SB_mNS0_19identity_decomposerENS1_16block_id_wrapperIjLb1EEEEE10hipError_tT1_PNSt15iterator_traitsISG_E10value_typeET2_T3_PNSH_ISM_E10value_typeET4_T5_PSR_SS_PNS1_23onesweep_lookback_stateEbbT6_jjT7_P12ihipStream_tbENKUlT_T0_SG_SL_E_clIS9_SA_SB_SB_EEDaSZ_S10_SG_SL_EUlSZ_E_NS1_11comp_targetILNS1_3genE3ELNS1_11target_archE908ELNS1_3gpuE7ELNS1_3repE0EEENS1_47radix_sort_onesweep_sort_config_static_selectorELNS0_4arch9wavefront6targetE0EEEvSG_,@function
_ZN7rocprim17ROCPRIM_400000_NS6detail17trampoline_kernelINS0_14default_configENS1_35radix_sort_onesweep_config_selectorIiNS0_10empty_typeEEEZZNS1_29radix_sort_onesweep_iterationIS3_Lb1EPKiPiPS5_SB_mNS0_19identity_decomposerENS1_16block_id_wrapperIjLb1EEEEE10hipError_tT1_PNSt15iterator_traitsISG_E10value_typeET2_T3_PNSH_ISM_E10value_typeET4_T5_PSR_SS_PNS1_23onesweep_lookback_stateEbbT6_jjT7_P12ihipStream_tbENKUlT_T0_SG_SL_E_clIS9_SA_SB_SB_EEDaSZ_S10_SG_SL_EUlSZ_E_NS1_11comp_targetILNS1_3genE3ELNS1_11target_archE908ELNS1_3gpuE7ELNS1_3repE0EEENS1_47radix_sort_onesweep_sort_config_static_selectorELNS0_4arch9wavefront6targetE0EEEvSG_: ; @_ZN7rocprim17ROCPRIM_400000_NS6detail17trampoline_kernelINS0_14default_configENS1_35radix_sort_onesweep_config_selectorIiNS0_10empty_typeEEEZZNS1_29radix_sort_onesweep_iterationIS3_Lb1EPKiPiPS5_SB_mNS0_19identity_decomposerENS1_16block_id_wrapperIjLb1EEEEE10hipError_tT1_PNSt15iterator_traitsISG_E10value_typeET2_T3_PNSH_ISM_E10value_typeET4_T5_PSR_SS_PNS1_23onesweep_lookback_stateEbbT6_jjT7_P12ihipStream_tbENKUlT_T0_SG_SL_E_clIS9_SA_SB_SB_EEDaSZ_S10_SG_SL_EUlSZ_E_NS1_11comp_targetILNS1_3genE3ELNS1_11target_archE908ELNS1_3gpuE7ELNS1_3repE0EEENS1_47radix_sort_onesweep_sort_config_static_selectorELNS0_4arch9wavefront6targetE0EEEvSG_
; %bb.0:
	.section	.rodata,"a",@progbits
	.p2align	6, 0x0
	.amdhsa_kernel _ZN7rocprim17ROCPRIM_400000_NS6detail17trampoline_kernelINS0_14default_configENS1_35radix_sort_onesweep_config_selectorIiNS0_10empty_typeEEEZZNS1_29radix_sort_onesweep_iterationIS3_Lb1EPKiPiPS5_SB_mNS0_19identity_decomposerENS1_16block_id_wrapperIjLb1EEEEE10hipError_tT1_PNSt15iterator_traitsISG_E10value_typeET2_T3_PNSH_ISM_E10value_typeET4_T5_PSR_SS_PNS1_23onesweep_lookback_stateEbbT6_jjT7_P12ihipStream_tbENKUlT_T0_SG_SL_E_clIS9_SA_SB_SB_EEDaSZ_S10_SG_SL_EUlSZ_E_NS1_11comp_targetILNS1_3genE3ELNS1_11target_archE908ELNS1_3gpuE7ELNS1_3repE0EEENS1_47radix_sort_onesweep_sort_config_static_selectorELNS0_4arch9wavefront6targetE0EEEvSG_
		.amdhsa_group_segment_fixed_size 0
		.amdhsa_private_segment_fixed_size 0
		.amdhsa_kernarg_size 88
		.amdhsa_user_sgpr_count 2
		.amdhsa_user_sgpr_dispatch_ptr 0
		.amdhsa_user_sgpr_queue_ptr 0
		.amdhsa_user_sgpr_kernarg_segment_ptr 1
		.amdhsa_user_sgpr_dispatch_id 0
		.amdhsa_user_sgpr_kernarg_preload_length 0
		.amdhsa_user_sgpr_kernarg_preload_offset 0
		.amdhsa_user_sgpr_private_segment_size 0
		.amdhsa_wavefront_size32 1
		.amdhsa_uses_dynamic_stack 0
		.amdhsa_enable_private_segment 0
		.amdhsa_system_sgpr_workgroup_id_x 1
		.amdhsa_system_sgpr_workgroup_id_y 0
		.amdhsa_system_sgpr_workgroup_id_z 0
		.amdhsa_system_sgpr_workgroup_info 0
		.amdhsa_system_vgpr_workitem_id 0
		.amdhsa_next_free_vgpr 1
		.amdhsa_next_free_sgpr 1
		.amdhsa_named_barrier_count 0
		.amdhsa_reserve_vcc 0
		.amdhsa_float_round_mode_32 0
		.amdhsa_float_round_mode_16_64 0
		.amdhsa_float_denorm_mode_32 3
		.amdhsa_float_denorm_mode_16_64 3
		.amdhsa_fp16_overflow 0
		.amdhsa_memory_ordered 1
		.amdhsa_forward_progress 1
		.amdhsa_inst_pref_size 0
		.amdhsa_round_robin_scheduling 0
		.amdhsa_exception_fp_ieee_invalid_op 0
		.amdhsa_exception_fp_denorm_src 0
		.amdhsa_exception_fp_ieee_div_zero 0
		.amdhsa_exception_fp_ieee_overflow 0
		.amdhsa_exception_fp_ieee_underflow 0
		.amdhsa_exception_fp_ieee_inexact 0
		.amdhsa_exception_int_div_zero 0
	.end_amdhsa_kernel
	.section	.text._ZN7rocprim17ROCPRIM_400000_NS6detail17trampoline_kernelINS0_14default_configENS1_35radix_sort_onesweep_config_selectorIiNS0_10empty_typeEEEZZNS1_29radix_sort_onesweep_iterationIS3_Lb1EPKiPiPS5_SB_mNS0_19identity_decomposerENS1_16block_id_wrapperIjLb1EEEEE10hipError_tT1_PNSt15iterator_traitsISG_E10value_typeET2_T3_PNSH_ISM_E10value_typeET4_T5_PSR_SS_PNS1_23onesweep_lookback_stateEbbT6_jjT7_P12ihipStream_tbENKUlT_T0_SG_SL_E_clIS9_SA_SB_SB_EEDaSZ_S10_SG_SL_EUlSZ_E_NS1_11comp_targetILNS1_3genE3ELNS1_11target_archE908ELNS1_3gpuE7ELNS1_3repE0EEENS1_47radix_sort_onesweep_sort_config_static_selectorELNS0_4arch9wavefront6targetE0EEEvSG_,"axG",@progbits,_ZN7rocprim17ROCPRIM_400000_NS6detail17trampoline_kernelINS0_14default_configENS1_35radix_sort_onesweep_config_selectorIiNS0_10empty_typeEEEZZNS1_29radix_sort_onesweep_iterationIS3_Lb1EPKiPiPS5_SB_mNS0_19identity_decomposerENS1_16block_id_wrapperIjLb1EEEEE10hipError_tT1_PNSt15iterator_traitsISG_E10value_typeET2_T3_PNSH_ISM_E10value_typeET4_T5_PSR_SS_PNS1_23onesweep_lookback_stateEbbT6_jjT7_P12ihipStream_tbENKUlT_T0_SG_SL_E_clIS9_SA_SB_SB_EEDaSZ_S10_SG_SL_EUlSZ_E_NS1_11comp_targetILNS1_3genE3ELNS1_11target_archE908ELNS1_3gpuE7ELNS1_3repE0EEENS1_47radix_sort_onesweep_sort_config_static_selectorELNS0_4arch9wavefront6targetE0EEEvSG_,comdat
.Lfunc_end854:
	.size	_ZN7rocprim17ROCPRIM_400000_NS6detail17trampoline_kernelINS0_14default_configENS1_35radix_sort_onesweep_config_selectorIiNS0_10empty_typeEEEZZNS1_29radix_sort_onesweep_iterationIS3_Lb1EPKiPiPS5_SB_mNS0_19identity_decomposerENS1_16block_id_wrapperIjLb1EEEEE10hipError_tT1_PNSt15iterator_traitsISG_E10value_typeET2_T3_PNSH_ISM_E10value_typeET4_T5_PSR_SS_PNS1_23onesweep_lookback_stateEbbT6_jjT7_P12ihipStream_tbENKUlT_T0_SG_SL_E_clIS9_SA_SB_SB_EEDaSZ_S10_SG_SL_EUlSZ_E_NS1_11comp_targetILNS1_3genE3ELNS1_11target_archE908ELNS1_3gpuE7ELNS1_3repE0EEENS1_47radix_sort_onesweep_sort_config_static_selectorELNS0_4arch9wavefront6targetE0EEEvSG_, .Lfunc_end854-_ZN7rocprim17ROCPRIM_400000_NS6detail17trampoline_kernelINS0_14default_configENS1_35radix_sort_onesweep_config_selectorIiNS0_10empty_typeEEEZZNS1_29radix_sort_onesweep_iterationIS3_Lb1EPKiPiPS5_SB_mNS0_19identity_decomposerENS1_16block_id_wrapperIjLb1EEEEE10hipError_tT1_PNSt15iterator_traitsISG_E10value_typeET2_T3_PNSH_ISM_E10value_typeET4_T5_PSR_SS_PNS1_23onesweep_lookback_stateEbbT6_jjT7_P12ihipStream_tbENKUlT_T0_SG_SL_E_clIS9_SA_SB_SB_EEDaSZ_S10_SG_SL_EUlSZ_E_NS1_11comp_targetILNS1_3genE3ELNS1_11target_archE908ELNS1_3gpuE7ELNS1_3repE0EEENS1_47radix_sort_onesweep_sort_config_static_selectorELNS0_4arch9wavefront6targetE0EEEvSG_
                                        ; -- End function
	.set _ZN7rocprim17ROCPRIM_400000_NS6detail17trampoline_kernelINS0_14default_configENS1_35radix_sort_onesweep_config_selectorIiNS0_10empty_typeEEEZZNS1_29radix_sort_onesweep_iterationIS3_Lb1EPKiPiPS5_SB_mNS0_19identity_decomposerENS1_16block_id_wrapperIjLb1EEEEE10hipError_tT1_PNSt15iterator_traitsISG_E10value_typeET2_T3_PNSH_ISM_E10value_typeET4_T5_PSR_SS_PNS1_23onesweep_lookback_stateEbbT6_jjT7_P12ihipStream_tbENKUlT_T0_SG_SL_E_clIS9_SA_SB_SB_EEDaSZ_S10_SG_SL_EUlSZ_E_NS1_11comp_targetILNS1_3genE3ELNS1_11target_archE908ELNS1_3gpuE7ELNS1_3repE0EEENS1_47radix_sort_onesweep_sort_config_static_selectorELNS0_4arch9wavefront6targetE0EEEvSG_.num_vgpr, 0
	.set _ZN7rocprim17ROCPRIM_400000_NS6detail17trampoline_kernelINS0_14default_configENS1_35radix_sort_onesweep_config_selectorIiNS0_10empty_typeEEEZZNS1_29radix_sort_onesweep_iterationIS3_Lb1EPKiPiPS5_SB_mNS0_19identity_decomposerENS1_16block_id_wrapperIjLb1EEEEE10hipError_tT1_PNSt15iterator_traitsISG_E10value_typeET2_T3_PNSH_ISM_E10value_typeET4_T5_PSR_SS_PNS1_23onesweep_lookback_stateEbbT6_jjT7_P12ihipStream_tbENKUlT_T0_SG_SL_E_clIS9_SA_SB_SB_EEDaSZ_S10_SG_SL_EUlSZ_E_NS1_11comp_targetILNS1_3genE3ELNS1_11target_archE908ELNS1_3gpuE7ELNS1_3repE0EEENS1_47radix_sort_onesweep_sort_config_static_selectorELNS0_4arch9wavefront6targetE0EEEvSG_.num_agpr, 0
	.set _ZN7rocprim17ROCPRIM_400000_NS6detail17trampoline_kernelINS0_14default_configENS1_35radix_sort_onesweep_config_selectorIiNS0_10empty_typeEEEZZNS1_29radix_sort_onesweep_iterationIS3_Lb1EPKiPiPS5_SB_mNS0_19identity_decomposerENS1_16block_id_wrapperIjLb1EEEEE10hipError_tT1_PNSt15iterator_traitsISG_E10value_typeET2_T3_PNSH_ISM_E10value_typeET4_T5_PSR_SS_PNS1_23onesweep_lookback_stateEbbT6_jjT7_P12ihipStream_tbENKUlT_T0_SG_SL_E_clIS9_SA_SB_SB_EEDaSZ_S10_SG_SL_EUlSZ_E_NS1_11comp_targetILNS1_3genE3ELNS1_11target_archE908ELNS1_3gpuE7ELNS1_3repE0EEENS1_47radix_sort_onesweep_sort_config_static_selectorELNS0_4arch9wavefront6targetE0EEEvSG_.numbered_sgpr, 0
	.set _ZN7rocprim17ROCPRIM_400000_NS6detail17trampoline_kernelINS0_14default_configENS1_35radix_sort_onesweep_config_selectorIiNS0_10empty_typeEEEZZNS1_29radix_sort_onesweep_iterationIS3_Lb1EPKiPiPS5_SB_mNS0_19identity_decomposerENS1_16block_id_wrapperIjLb1EEEEE10hipError_tT1_PNSt15iterator_traitsISG_E10value_typeET2_T3_PNSH_ISM_E10value_typeET4_T5_PSR_SS_PNS1_23onesweep_lookback_stateEbbT6_jjT7_P12ihipStream_tbENKUlT_T0_SG_SL_E_clIS9_SA_SB_SB_EEDaSZ_S10_SG_SL_EUlSZ_E_NS1_11comp_targetILNS1_3genE3ELNS1_11target_archE908ELNS1_3gpuE7ELNS1_3repE0EEENS1_47radix_sort_onesweep_sort_config_static_selectorELNS0_4arch9wavefront6targetE0EEEvSG_.num_named_barrier, 0
	.set _ZN7rocprim17ROCPRIM_400000_NS6detail17trampoline_kernelINS0_14default_configENS1_35radix_sort_onesweep_config_selectorIiNS0_10empty_typeEEEZZNS1_29radix_sort_onesweep_iterationIS3_Lb1EPKiPiPS5_SB_mNS0_19identity_decomposerENS1_16block_id_wrapperIjLb1EEEEE10hipError_tT1_PNSt15iterator_traitsISG_E10value_typeET2_T3_PNSH_ISM_E10value_typeET4_T5_PSR_SS_PNS1_23onesweep_lookback_stateEbbT6_jjT7_P12ihipStream_tbENKUlT_T0_SG_SL_E_clIS9_SA_SB_SB_EEDaSZ_S10_SG_SL_EUlSZ_E_NS1_11comp_targetILNS1_3genE3ELNS1_11target_archE908ELNS1_3gpuE7ELNS1_3repE0EEENS1_47radix_sort_onesweep_sort_config_static_selectorELNS0_4arch9wavefront6targetE0EEEvSG_.private_seg_size, 0
	.set _ZN7rocprim17ROCPRIM_400000_NS6detail17trampoline_kernelINS0_14default_configENS1_35radix_sort_onesweep_config_selectorIiNS0_10empty_typeEEEZZNS1_29radix_sort_onesweep_iterationIS3_Lb1EPKiPiPS5_SB_mNS0_19identity_decomposerENS1_16block_id_wrapperIjLb1EEEEE10hipError_tT1_PNSt15iterator_traitsISG_E10value_typeET2_T3_PNSH_ISM_E10value_typeET4_T5_PSR_SS_PNS1_23onesweep_lookback_stateEbbT6_jjT7_P12ihipStream_tbENKUlT_T0_SG_SL_E_clIS9_SA_SB_SB_EEDaSZ_S10_SG_SL_EUlSZ_E_NS1_11comp_targetILNS1_3genE3ELNS1_11target_archE908ELNS1_3gpuE7ELNS1_3repE0EEENS1_47radix_sort_onesweep_sort_config_static_selectorELNS0_4arch9wavefront6targetE0EEEvSG_.uses_vcc, 0
	.set _ZN7rocprim17ROCPRIM_400000_NS6detail17trampoline_kernelINS0_14default_configENS1_35radix_sort_onesweep_config_selectorIiNS0_10empty_typeEEEZZNS1_29radix_sort_onesweep_iterationIS3_Lb1EPKiPiPS5_SB_mNS0_19identity_decomposerENS1_16block_id_wrapperIjLb1EEEEE10hipError_tT1_PNSt15iterator_traitsISG_E10value_typeET2_T3_PNSH_ISM_E10value_typeET4_T5_PSR_SS_PNS1_23onesweep_lookback_stateEbbT6_jjT7_P12ihipStream_tbENKUlT_T0_SG_SL_E_clIS9_SA_SB_SB_EEDaSZ_S10_SG_SL_EUlSZ_E_NS1_11comp_targetILNS1_3genE3ELNS1_11target_archE908ELNS1_3gpuE7ELNS1_3repE0EEENS1_47radix_sort_onesweep_sort_config_static_selectorELNS0_4arch9wavefront6targetE0EEEvSG_.uses_flat_scratch, 0
	.set _ZN7rocprim17ROCPRIM_400000_NS6detail17trampoline_kernelINS0_14default_configENS1_35radix_sort_onesweep_config_selectorIiNS0_10empty_typeEEEZZNS1_29radix_sort_onesweep_iterationIS3_Lb1EPKiPiPS5_SB_mNS0_19identity_decomposerENS1_16block_id_wrapperIjLb1EEEEE10hipError_tT1_PNSt15iterator_traitsISG_E10value_typeET2_T3_PNSH_ISM_E10value_typeET4_T5_PSR_SS_PNS1_23onesweep_lookback_stateEbbT6_jjT7_P12ihipStream_tbENKUlT_T0_SG_SL_E_clIS9_SA_SB_SB_EEDaSZ_S10_SG_SL_EUlSZ_E_NS1_11comp_targetILNS1_3genE3ELNS1_11target_archE908ELNS1_3gpuE7ELNS1_3repE0EEENS1_47radix_sort_onesweep_sort_config_static_selectorELNS0_4arch9wavefront6targetE0EEEvSG_.has_dyn_sized_stack, 0
	.set _ZN7rocprim17ROCPRIM_400000_NS6detail17trampoline_kernelINS0_14default_configENS1_35radix_sort_onesweep_config_selectorIiNS0_10empty_typeEEEZZNS1_29radix_sort_onesweep_iterationIS3_Lb1EPKiPiPS5_SB_mNS0_19identity_decomposerENS1_16block_id_wrapperIjLb1EEEEE10hipError_tT1_PNSt15iterator_traitsISG_E10value_typeET2_T3_PNSH_ISM_E10value_typeET4_T5_PSR_SS_PNS1_23onesweep_lookback_stateEbbT6_jjT7_P12ihipStream_tbENKUlT_T0_SG_SL_E_clIS9_SA_SB_SB_EEDaSZ_S10_SG_SL_EUlSZ_E_NS1_11comp_targetILNS1_3genE3ELNS1_11target_archE908ELNS1_3gpuE7ELNS1_3repE0EEENS1_47radix_sort_onesweep_sort_config_static_selectorELNS0_4arch9wavefront6targetE0EEEvSG_.has_recursion, 0
	.set _ZN7rocprim17ROCPRIM_400000_NS6detail17trampoline_kernelINS0_14default_configENS1_35radix_sort_onesweep_config_selectorIiNS0_10empty_typeEEEZZNS1_29radix_sort_onesweep_iterationIS3_Lb1EPKiPiPS5_SB_mNS0_19identity_decomposerENS1_16block_id_wrapperIjLb1EEEEE10hipError_tT1_PNSt15iterator_traitsISG_E10value_typeET2_T3_PNSH_ISM_E10value_typeET4_T5_PSR_SS_PNS1_23onesweep_lookback_stateEbbT6_jjT7_P12ihipStream_tbENKUlT_T0_SG_SL_E_clIS9_SA_SB_SB_EEDaSZ_S10_SG_SL_EUlSZ_E_NS1_11comp_targetILNS1_3genE3ELNS1_11target_archE908ELNS1_3gpuE7ELNS1_3repE0EEENS1_47radix_sort_onesweep_sort_config_static_selectorELNS0_4arch9wavefront6targetE0EEEvSG_.has_indirect_call, 0
	.section	.AMDGPU.csdata,"",@progbits
; Kernel info:
; codeLenInByte = 0
; TotalNumSgprs: 0
; NumVgprs: 0
; ScratchSize: 0
; MemoryBound: 0
; FloatMode: 240
; IeeeMode: 1
; LDSByteSize: 0 bytes/workgroup (compile time only)
; SGPRBlocks: 0
; VGPRBlocks: 0
; NumSGPRsForWavesPerEU: 1
; NumVGPRsForWavesPerEU: 1
; NamedBarCnt: 0
; Occupancy: 16
; WaveLimiterHint : 0
; COMPUTE_PGM_RSRC2:SCRATCH_EN: 0
; COMPUTE_PGM_RSRC2:USER_SGPR: 2
; COMPUTE_PGM_RSRC2:TRAP_HANDLER: 0
; COMPUTE_PGM_RSRC2:TGID_X_EN: 1
; COMPUTE_PGM_RSRC2:TGID_Y_EN: 0
; COMPUTE_PGM_RSRC2:TGID_Z_EN: 0
; COMPUTE_PGM_RSRC2:TIDIG_COMP_CNT: 0
	.section	.text._ZN7rocprim17ROCPRIM_400000_NS6detail17trampoline_kernelINS0_14default_configENS1_35radix_sort_onesweep_config_selectorIiNS0_10empty_typeEEEZZNS1_29radix_sort_onesweep_iterationIS3_Lb1EPKiPiPS5_SB_mNS0_19identity_decomposerENS1_16block_id_wrapperIjLb1EEEEE10hipError_tT1_PNSt15iterator_traitsISG_E10value_typeET2_T3_PNSH_ISM_E10value_typeET4_T5_PSR_SS_PNS1_23onesweep_lookback_stateEbbT6_jjT7_P12ihipStream_tbENKUlT_T0_SG_SL_E_clIS9_SA_SB_SB_EEDaSZ_S10_SG_SL_EUlSZ_E_NS1_11comp_targetILNS1_3genE10ELNS1_11target_archE1201ELNS1_3gpuE5ELNS1_3repE0EEENS1_47radix_sort_onesweep_sort_config_static_selectorELNS0_4arch9wavefront6targetE0EEEvSG_,"axG",@progbits,_ZN7rocprim17ROCPRIM_400000_NS6detail17trampoline_kernelINS0_14default_configENS1_35radix_sort_onesweep_config_selectorIiNS0_10empty_typeEEEZZNS1_29radix_sort_onesweep_iterationIS3_Lb1EPKiPiPS5_SB_mNS0_19identity_decomposerENS1_16block_id_wrapperIjLb1EEEEE10hipError_tT1_PNSt15iterator_traitsISG_E10value_typeET2_T3_PNSH_ISM_E10value_typeET4_T5_PSR_SS_PNS1_23onesweep_lookback_stateEbbT6_jjT7_P12ihipStream_tbENKUlT_T0_SG_SL_E_clIS9_SA_SB_SB_EEDaSZ_S10_SG_SL_EUlSZ_E_NS1_11comp_targetILNS1_3genE10ELNS1_11target_archE1201ELNS1_3gpuE5ELNS1_3repE0EEENS1_47radix_sort_onesweep_sort_config_static_selectorELNS0_4arch9wavefront6targetE0EEEvSG_,comdat
	.protected	_ZN7rocprim17ROCPRIM_400000_NS6detail17trampoline_kernelINS0_14default_configENS1_35radix_sort_onesweep_config_selectorIiNS0_10empty_typeEEEZZNS1_29radix_sort_onesweep_iterationIS3_Lb1EPKiPiPS5_SB_mNS0_19identity_decomposerENS1_16block_id_wrapperIjLb1EEEEE10hipError_tT1_PNSt15iterator_traitsISG_E10value_typeET2_T3_PNSH_ISM_E10value_typeET4_T5_PSR_SS_PNS1_23onesweep_lookback_stateEbbT6_jjT7_P12ihipStream_tbENKUlT_T0_SG_SL_E_clIS9_SA_SB_SB_EEDaSZ_S10_SG_SL_EUlSZ_E_NS1_11comp_targetILNS1_3genE10ELNS1_11target_archE1201ELNS1_3gpuE5ELNS1_3repE0EEENS1_47radix_sort_onesweep_sort_config_static_selectorELNS0_4arch9wavefront6targetE0EEEvSG_ ; -- Begin function _ZN7rocprim17ROCPRIM_400000_NS6detail17trampoline_kernelINS0_14default_configENS1_35radix_sort_onesweep_config_selectorIiNS0_10empty_typeEEEZZNS1_29radix_sort_onesweep_iterationIS3_Lb1EPKiPiPS5_SB_mNS0_19identity_decomposerENS1_16block_id_wrapperIjLb1EEEEE10hipError_tT1_PNSt15iterator_traitsISG_E10value_typeET2_T3_PNSH_ISM_E10value_typeET4_T5_PSR_SS_PNS1_23onesweep_lookback_stateEbbT6_jjT7_P12ihipStream_tbENKUlT_T0_SG_SL_E_clIS9_SA_SB_SB_EEDaSZ_S10_SG_SL_EUlSZ_E_NS1_11comp_targetILNS1_3genE10ELNS1_11target_archE1201ELNS1_3gpuE5ELNS1_3repE0EEENS1_47radix_sort_onesweep_sort_config_static_selectorELNS0_4arch9wavefront6targetE0EEEvSG_
	.globl	_ZN7rocprim17ROCPRIM_400000_NS6detail17trampoline_kernelINS0_14default_configENS1_35radix_sort_onesweep_config_selectorIiNS0_10empty_typeEEEZZNS1_29radix_sort_onesweep_iterationIS3_Lb1EPKiPiPS5_SB_mNS0_19identity_decomposerENS1_16block_id_wrapperIjLb1EEEEE10hipError_tT1_PNSt15iterator_traitsISG_E10value_typeET2_T3_PNSH_ISM_E10value_typeET4_T5_PSR_SS_PNS1_23onesweep_lookback_stateEbbT6_jjT7_P12ihipStream_tbENKUlT_T0_SG_SL_E_clIS9_SA_SB_SB_EEDaSZ_S10_SG_SL_EUlSZ_E_NS1_11comp_targetILNS1_3genE10ELNS1_11target_archE1201ELNS1_3gpuE5ELNS1_3repE0EEENS1_47radix_sort_onesweep_sort_config_static_selectorELNS0_4arch9wavefront6targetE0EEEvSG_
	.p2align	8
	.type	_ZN7rocprim17ROCPRIM_400000_NS6detail17trampoline_kernelINS0_14default_configENS1_35radix_sort_onesweep_config_selectorIiNS0_10empty_typeEEEZZNS1_29radix_sort_onesweep_iterationIS3_Lb1EPKiPiPS5_SB_mNS0_19identity_decomposerENS1_16block_id_wrapperIjLb1EEEEE10hipError_tT1_PNSt15iterator_traitsISG_E10value_typeET2_T3_PNSH_ISM_E10value_typeET4_T5_PSR_SS_PNS1_23onesweep_lookback_stateEbbT6_jjT7_P12ihipStream_tbENKUlT_T0_SG_SL_E_clIS9_SA_SB_SB_EEDaSZ_S10_SG_SL_EUlSZ_E_NS1_11comp_targetILNS1_3genE10ELNS1_11target_archE1201ELNS1_3gpuE5ELNS1_3repE0EEENS1_47radix_sort_onesweep_sort_config_static_selectorELNS0_4arch9wavefront6targetE0EEEvSG_,@function
_ZN7rocprim17ROCPRIM_400000_NS6detail17trampoline_kernelINS0_14default_configENS1_35radix_sort_onesweep_config_selectorIiNS0_10empty_typeEEEZZNS1_29radix_sort_onesweep_iterationIS3_Lb1EPKiPiPS5_SB_mNS0_19identity_decomposerENS1_16block_id_wrapperIjLb1EEEEE10hipError_tT1_PNSt15iterator_traitsISG_E10value_typeET2_T3_PNSH_ISM_E10value_typeET4_T5_PSR_SS_PNS1_23onesweep_lookback_stateEbbT6_jjT7_P12ihipStream_tbENKUlT_T0_SG_SL_E_clIS9_SA_SB_SB_EEDaSZ_S10_SG_SL_EUlSZ_E_NS1_11comp_targetILNS1_3genE10ELNS1_11target_archE1201ELNS1_3gpuE5ELNS1_3repE0EEENS1_47radix_sort_onesweep_sort_config_static_selectorELNS0_4arch9wavefront6targetE0EEEvSG_: ; @_ZN7rocprim17ROCPRIM_400000_NS6detail17trampoline_kernelINS0_14default_configENS1_35radix_sort_onesweep_config_selectorIiNS0_10empty_typeEEEZZNS1_29radix_sort_onesweep_iterationIS3_Lb1EPKiPiPS5_SB_mNS0_19identity_decomposerENS1_16block_id_wrapperIjLb1EEEEE10hipError_tT1_PNSt15iterator_traitsISG_E10value_typeET2_T3_PNSH_ISM_E10value_typeET4_T5_PSR_SS_PNS1_23onesweep_lookback_stateEbbT6_jjT7_P12ihipStream_tbENKUlT_T0_SG_SL_E_clIS9_SA_SB_SB_EEDaSZ_S10_SG_SL_EUlSZ_E_NS1_11comp_targetILNS1_3genE10ELNS1_11target_archE1201ELNS1_3gpuE5ELNS1_3repE0EEENS1_47radix_sort_onesweep_sort_config_static_selectorELNS0_4arch9wavefront6targetE0EEEvSG_
; %bb.0:
	.section	.rodata,"a",@progbits
	.p2align	6, 0x0
	.amdhsa_kernel _ZN7rocprim17ROCPRIM_400000_NS6detail17trampoline_kernelINS0_14default_configENS1_35radix_sort_onesweep_config_selectorIiNS0_10empty_typeEEEZZNS1_29radix_sort_onesweep_iterationIS3_Lb1EPKiPiPS5_SB_mNS0_19identity_decomposerENS1_16block_id_wrapperIjLb1EEEEE10hipError_tT1_PNSt15iterator_traitsISG_E10value_typeET2_T3_PNSH_ISM_E10value_typeET4_T5_PSR_SS_PNS1_23onesweep_lookback_stateEbbT6_jjT7_P12ihipStream_tbENKUlT_T0_SG_SL_E_clIS9_SA_SB_SB_EEDaSZ_S10_SG_SL_EUlSZ_E_NS1_11comp_targetILNS1_3genE10ELNS1_11target_archE1201ELNS1_3gpuE5ELNS1_3repE0EEENS1_47radix_sort_onesweep_sort_config_static_selectorELNS0_4arch9wavefront6targetE0EEEvSG_
		.amdhsa_group_segment_fixed_size 0
		.amdhsa_private_segment_fixed_size 0
		.amdhsa_kernarg_size 88
		.amdhsa_user_sgpr_count 2
		.amdhsa_user_sgpr_dispatch_ptr 0
		.amdhsa_user_sgpr_queue_ptr 0
		.amdhsa_user_sgpr_kernarg_segment_ptr 1
		.amdhsa_user_sgpr_dispatch_id 0
		.amdhsa_user_sgpr_kernarg_preload_length 0
		.amdhsa_user_sgpr_kernarg_preload_offset 0
		.amdhsa_user_sgpr_private_segment_size 0
		.amdhsa_wavefront_size32 1
		.amdhsa_uses_dynamic_stack 0
		.amdhsa_enable_private_segment 0
		.amdhsa_system_sgpr_workgroup_id_x 1
		.amdhsa_system_sgpr_workgroup_id_y 0
		.amdhsa_system_sgpr_workgroup_id_z 0
		.amdhsa_system_sgpr_workgroup_info 0
		.amdhsa_system_vgpr_workitem_id 0
		.amdhsa_next_free_vgpr 1
		.amdhsa_next_free_sgpr 1
		.amdhsa_named_barrier_count 0
		.amdhsa_reserve_vcc 0
		.amdhsa_float_round_mode_32 0
		.amdhsa_float_round_mode_16_64 0
		.amdhsa_float_denorm_mode_32 3
		.amdhsa_float_denorm_mode_16_64 3
		.amdhsa_fp16_overflow 0
		.amdhsa_memory_ordered 1
		.amdhsa_forward_progress 1
		.amdhsa_inst_pref_size 0
		.amdhsa_round_robin_scheduling 0
		.amdhsa_exception_fp_ieee_invalid_op 0
		.amdhsa_exception_fp_denorm_src 0
		.amdhsa_exception_fp_ieee_div_zero 0
		.amdhsa_exception_fp_ieee_overflow 0
		.amdhsa_exception_fp_ieee_underflow 0
		.amdhsa_exception_fp_ieee_inexact 0
		.amdhsa_exception_int_div_zero 0
	.end_amdhsa_kernel
	.section	.text._ZN7rocprim17ROCPRIM_400000_NS6detail17trampoline_kernelINS0_14default_configENS1_35radix_sort_onesweep_config_selectorIiNS0_10empty_typeEEEZZNS1_29radix_sort_onesweep_iterationIS3_Lb1EPKiPiPS5_SB_mNS0_19identity_decomposerENS1_16block_id_wrapperIjLb1EEEEE10hipError_tT1_PNSt15iterator_traitsISG_E10value_typeET2_T3_PNSH_ISM_E10value_typeET4_T5_PSR_SS_PNS1_23onesweep_lookback_stateEbbT6_jjT7_P12ihipStream_tbENKUlT_T0_SG_SL_E_clIS9_SA_SB_SB_EEDaSZ_S10_SG_SL_EUlSZ_E_NS1_11comp_targetILNS1_3genE10ELNS1_11target_archE1201ELNS1_3gpuE5ELNS1_3repE0EEENS1_47radix_sort_onesweep_sort_config_static_selectorELNS0_4arch9wavefront6targetE0EEEvSG_,"axG",@progbits,_ZN7rocprim17ROCPRIM_400000_NS6detail17trampoline_kernelINS0_14default_configENS1_35radix_sort_onesweep_config_selectorIiNS0_10empty_typeEEEZZNS1_29radix_sort_onesweep_iterationIS3_Lb1EPKiPiPS5_SB_mNS0_19identity_decomposerENS1_16block_id_wrapperIjLb1EEEEE10hipError_tT1_PNSt15iterator_traitsISG_E10value_typeET2_T3_PNSH_ISM_E10value_typeET4_T5_PSR_SS_PNS1_23onesweep_lookback_stateEbbT6_jjT7_P12ihipStream_tbENKUlT_T0_SG_SL_E_clIS9_SA_SB_SB_EEDaSZ_S10_SG_SL_EUlSZ_E_NS1_11comp_targetILNS1_3genE10ELNS1_11target_archE1201ELNS1_3gpuE5ELNS1_3repE0EEENS1_47radix_sort_onesweep_sort_config_static_selectorELNS0_4arch9wavefront6targetE0EEEvSG_,comdat
.Lfunc_end855:
	.size	_ZN7rocprim17ROCPRIM_400000_NS6detail17trampoline_kernelINS0_14default_configENS1_35radix_sort_onesweep_config_selectorIiNS0_10empty_typeEEEZZNS1_29radix_sort_onesweep_iterationIS3_Lb1EPKiPiPS5_SB_mNS0_19identity_decomposerENS1_16block_id_wrapperIjLb1EEEEE10hipError_tT1_PNSt15iterator_traitsISG_E10value_typeET2_T3_PNSH_ISM_E10value_typeET4_T5_PSR_SS_PNS1_23onesweep_lookback_stateEbbT6_jjT7_P12ihipStream_tbENKUlT_T0_SG_SL_E_clIS9_SA_SB_SB_EEDaSZ_S10_SG_SL_EUlSZ_E_NS1_11comp_targetILNS1_3genE10ELNS1_11target_archE1201ELNS1_3gpuE5ELNS1_3repE0EEENS1_47radix_sort_onesweep_sort_config_static_selectorELNS0_4arch9wavefront6targetE0EEEvSG_, .Lfunc_end855-_ZN7rocprim17ROCPRIM_400000_NS6detail17trampoline_kernelINS0_14default_configENS1_35radix_sort_onesweep_config_selectorIiNS0_10empty_typeEEEZZNS1_29radix_sort_onesweep_iterationIS3_Lb1EPKiPiPS5_SB_mNS0_19identity_decomposerENS1_16block_id_wrapperIjLb1EEEEE10hipError_tT1_PNSt15iterator_traitsISG_E10value_typeET2_T3_PNSH_ISM_E10value_typeET4_T5_PSR_SS_PNS1_23onesweep_lookback_stateEbbT6_jjT7_P12ihipStream_tbENKUlT_T0_SG_SL_E_clIS9_SA_SB_SB_EEDaSZ_S10_SG_SL_EUlSZ_E_NS1_11comp_targetILNS1_3genE10ELNS1_11target_archE1201ELNS1_3gpuE5ELNS1_3repE0EEENS1_47radix_sort_onesweep_sort_config_static_selectorELNS0_4arch9wavefront6targetE0EEEvSG_
                                        ; -- End function
	.set _ZN7rocprim17ROCPRIM_400000_NS6detail17trampoline_kernelINS0_14default_configENS1_35radix_sort_onesweep_config_selectorIiNS0_10empty_typeEEEZZNS1_29radix_sort_onesweep_iterationIS3_Lb1EPKiPiPS5_SB_mNS0_19identity_decomposerENS1_16block_id_wrapperIjLb1EEEEE10hipError_tT1_PNSt15iterator_traitsISG_E10value_typeET2_T3_PNSH_ISM_E10value_typeET4_T5_PSR_SS_PNS1_23onesweep_lookback_stateEbbT6_jjT7_P12ihipStream_tbENKUlT_T0_SG_SL_E_clIS9_SA_SB_SB_EEDaSZ_S10_SG_SL_EUlSZ_E_NS1_11comp_targetILNS1_3genE10ELNS1_11target_archE1201ELNS1_3gpuE5ELNS1_3repE0EEENS1_47radix_sort_onesweep_sort_config_static_selectorELNS0_4arch9wavefront6targetE0EEEvSG_.num_vgpr, 0
	.set _ZN7rocprim17ROCPRIM_400000_NS6detail17trampoline_kernelINS0_14default_configENS1_35radix_sort_onesweep_config_selectorIiNS0_10empty_typeEEEZZNS1_29radix_sort_onesweep_iterationIS3_Lb1EPKiPiPS5_SB_mNS0_19identity_decomposerENS1_16block_id_wrapperIjLb1EEEEE10hipError_tT1_PNSt15iterator_traitsISG_E10value_typeET2_T3_PNSH_ISM_E10value_typeET4_T5_PSR_SS_PNS1_23onesweep_lookback_stateEbbT6_jjT7_P12ihipStream_tbENKUlT_T0_SG_SL_E_clIS9_SA_SB_SB_EEDaSZ_S10_SG_SL_EUlSZ_E_NS1_11comp_targetILNS1_3genE10ELNS1_11target_archE1201ELNS1_3gpuE5ELNS1_3repE0EEENS1_47radix_sort_onesweep_sort_config_static_selectorELNS0_4arch9wavefront6targetE0EEEvSG_.num_agpr, 0
	.set _ZN7rocprim17ROCPRIM_400000_NS6detail17trampoline_kernelINS0_14default_configENS1_35radix_sort_onesweep_config_selectorIiNS0_10empty_typeEEEZZNS1_29radix_sort_onesweep_iterationIS3_Lb1EPKiPiPS5_SB_mNS0_19identity_decomposerENS1_16block_id_wrapperIjLb1EEEEE10hipError_tT1_PNSt15iterator_traitsISG_E10value_typeET2_T3_PNSH_ISM_E10value_typeET4_T5_PSR_SS_PNS1_23onesweep_lookback_stateEbbT6_jjT7_P12ihipStream_tbENKUlT_T0_SG_SL_E_clIS9_SA_SB_SB_EEDaSZ_S10_SG_SL_EUlSZ_E_NS1_11comp_targetILNS1_3genE10ELNS1_11target_archE1201ELNS1_3gpuE5ELNS1_3repE0EEENS1_47radix_sort_onesweep_sort_config_static_selectorELNS0_4arch9wavefront6targetE0EEEvSG_.numbered_sgpr, 0
	.set _ZN7rocprim17ROCPRIM_400000_NS6detail17trampoline_kernelINS0_14default_configENS1_35radix_sort_onesweep_config_selectorIiNS0_10empty_typeEEEZZNS1_29radix_sort_onesweep_iterationIS3_Lb1EPKiPiPS5_SB_mNS0_19identity_decomposerENS1_16block_id_wrapperIjLb1EEEEE10hipError_tT1_PNSt15iterator_traitsISG_E10value_typeET2_T3_PNSH_ISM_E10value_typeET4_T5_PSR_SS_PNS1_23onesweep_lookback_stateEbbT6_jjT7_P12ihipStream_tbENKUlT_T0_SG_SL_E_clIS9_SA_SB_SB_EEDaSZ_S10_SG_SL_EUlSZ_E_NS1_11comp_targetILNS1_3genE10ELNS1_11target_archE1201ELNS1_3gpuE5ELNS1_3repE0EEENS1_47radix_sort_onesweep_sort_config_static_selectorELNS0_4arch9wavefront6targetE0EEEvSG_.num_named_barrier, 0
	.set _ZN7rocprim17ROCPRIM_400000_NS6detail17trampoline_kernelINS0_14default_configENS1_35radix_sort_onesweep_config_selectorIiNS0_10empty_typeEEEZZNS1_29radix_sort_onesweep_iterationIS3_Lb1EPKiPiPS5_SB_mNS0_19identity_decomposerENS1_16block_id_wrapperIjLb1EEEEE10hipError_tT1_PNSt15iterator_traitsISG_E10value_typeET2_T3_PNSH_ISM_E10value_typeET4_T5_PSR_SS_PNS1_23onesweep_lookback_stateEbbT6_jjT7_P12ihipStream_tbENKUlT_T0_SG_SL_E_clIS9_SA_SB_SB_EEDaSZ_S10_SG_SL_EUlSZ_E_NS1_11comp_targetILNS1_3genE10ELNS1_11target_archE1201ELNS1_3gpuE5ELNS1_3repE0EEENS1_47radix_sort_onesweep_sort_config_static_selectorELNS0_4arch9wavefront6targetE0EEEvSG_.private_seg_size, 0
	.set _ZN7rocprim17ROCPRIM_400000_NS6detail17trampoline_kernelINS0_14default_configENS1_35radix_sort_onesweep_config_selectorIiNS0_10empty_typeEEEZZNS1_29radix_sort_onesweep_iterationIS3_Lb1EPKiPiPS5_SB_mNS0_19identity_decomposerENS1_16block_id_wrapperIjLb1EEEEE10hipError_tT1_PNSt15iterator_traitsISG_E10value_typeET2_T3_PNSH_ISM_E10value_typeET4_T5_PSR_SS_PNS1_23onesweep_lookback_stateEbbT6_jjT7_P12ihipStream_tbENKUlT_T0_SG_SL_E_clIS9_SA_SB_SB_EEDaSZ_S10_SG_SL_EUlSZ_E_NS1_11comp_targetILNS1_3genE10ELNS1_11target_archE1201ELNS1_3gpuE5ELNS1_3repE0EEENS1_47radix_sort_onesweep_sort_config_static_selectorELNS0_4arch9wavefront6targetE0EEEvSG_.uses_vcc, 0
	.set _ZN7rocprim17ROCPRIM_400000_NS6detail17trampoline_kernelINS0_14default_configENS1_35radix_sort_onesweep_config_selectorIiNS0_10empty_typeEEEZZNS1_29radix_sort_onesweep_iterationIS3_Lb1EPKiPiPS5_SB_mNS0_19identity_decomposerENS1_16block_id_wrapperIjLb1EEEEE10hipError_tT1_PNSt15iterator_traitsISG_E10value_typeET2_T3_PNSH_ISM_E10value_typeET4_T5_PSR_SS_PNS1_23onesweep_lookback_stateEbbT6_jjT7_P12ihipStream_tbENKUlT_T0_SG_SL_E_clIS9_SA_SB_SB_EEDaSZ_S10_SG_SL_EUlSZ_E_NS1_11comp_targetILNS1_3genE10ELNS1_11target_archE1201ELNS1_3gpuE5ELNS1_3repE0EEENS1_47radix_sort_onesweep_sort_config_static_selectorELNS0_4arch9wavefront6targetE0EEEvSG_.uses_flat_scratch, 0
	.set _ZN7rocprim17ROCPRIM_400000_NS6detail17trampoline_kernelINS0_14default_configENS1_35radix_sort_onesweep_config_selectorIiNS0_10empty_typeEEEZZNS1_29radix_sort_onesweep_iterationIS3_Lb1EPKiPiPS5_SB_mNS0_19identity_decomposerENS1_16block_id_wrapperIjLb1EEEEE10hipError_tT1_PNSt15iterator_traitsISG_E10value_typeET2_T3_PNSH_ISM_E10value_typeET4_T5_PSR_SS_PNS1_23onesweep_lookback_stateEbbT6_jjT7_P12ihipStream_tbENKUlT_T0_SG_SL_E_clIS9_SA_SB_SB_EEDaSZ_S10_SG_SL_EUlSZ_E_NS1_11comp_targetILNS1_3genE10ELNS1_11target_archE1201ELNS1_3gpuE5ELNS1_3repE0EEENS1_47radix_sort_onesweep_sort_config_static_selectorELNS0_4arch9wavefront6targetE0EEEvSG_.has_dyn_sized_stack, 0
	.set _ZN7rocprim17ROCPRIM_400000_NS6detail17trampoline_kernelINS0_14default_configENS1_35radix_sort_onesweep_config_selectorIiNS0_10empty_typeEEEZZNS1_29radix_sort_onesweep_iterationIS3_Lb1EPKiPiPS5_SB_mNS0_19identity_decomposerENS1_16block_id_wrapperIjLb1EEEEE10hipError_tT1_PNSt15iterator_traitsISG_E10value_typeET2_T3_PNSH_ISM_E10value_typeET4_T5_PSR_SS_PNS1_23onesweep_lookback_stateEbbT6_jjT7_P12ihipStream_tbENKUlT_T0_SG_SL_E_clIS9_SA_SB_SB_EEDaSZ_S10_SG_SL_EUlSZ_E_NS1_11comp_targetILNS1_3genE10ELNS1_11target_archE1201ELNS1_3gpuE5ELNS1_3repE0EEENS1_47radix_sort_onesweep_sort_config_static_selectorELNS0_4arch9wavefront6targetE0EEEvSG_.has_recursion, 0
	.set _ZN7rocprim17ROCPRIM_400000_NS6detail17trampoline_kernelINS0_14default_configENS1_35radix_sort_onesweep_config_selectorIiNS0_10empty_typeEEEZZNS1_29radix_sort_onesweep_iterationIS3_Lb1EPKiPiPS5_SB_mNS0_19identity_decomposerENS1_16block_id_wrapperIjLb1EEEEE10hipError_tT1_PNSt15iterator_traitsISG_E10value_typeET2_T3_PNSH_ISM_E10value_typeET4_T5_PSR_SS_PNS1_23onesweep_lookback_stateEbbT6_jjT7_P12ihipStream_tbENKUlT_T0_SG_SL_E_clIS9_SA_SB_SB_EEDaSZ_S10_SG_SL_EUlSZ_E_NS1_11comp_targetILNS1_3genE10ELNS1_11target_archE1201ELNS1_3gpuE5ELNS1_3repE0EEENS1_47radix_sort_onesweep_sort_config_static_selectorELNS0_4arch9wavefront6targetE0EEEvSG_.has_indirect_call, 0
	.section	.AMDGPU.csdata,"",@progbits
; Kernel info:
; codeLenInByte = 0
; TotalNumSgprs: 0
; NumVgprs: 0
; ScratchSize: 0
; MemoryBound: 0
; FloatMode: 240
; IeeeMode: 1
; LDSByteSize: 0 bytes/workgroup (compile time only)
; SGPRBlocks: 0
; VGPRBlocks: 0
; NumSGPRsForWavesPerEU: 1
; NumVGPRsForWavesPerEU: 1
; NamedBarCnt: 0
; Occupancy: 16
; WaveLimiterHint : 0
; COMPUTE_PGM_RSRC2:SCRATCH_EN: 0
; COMPUTE_PGM_RSRC2:USER_SGPR: 2
; COMPUTE_PGM_RSRC2:TRAP_HANDLER: 0
; COMPUTE_PGM_RSRC2:TGID_X_EN: 1
; COMPUTE_PGM_RSRC2:TGID_Y_EN: 0
; COMPUTE_PGM_RSRC2:TGID_Z_EN: 0
; COMPUTE_PGM_RSRC2:TIDIG_COMP_CNT: 0
	.section	.text._ZN7rocprim17ROCPRIM_400000_NS6detail17trampoline_kernelINS0_14default_configENS1_35radix_sort_onesweep_config_selectorIiNS0_10empty_typeEEEZZNS1_29radix_sort_onesweep_iterationIS3_Lb1EPKiPiPS5_SB_mNS0_19identity_decomposerENS1_16block_id_wrapperIjLb1EEEEE10hipError_tT1_PNSt15iterator_traitsISG_E10value_typeET2_T3_PNSH_ISM_E10value_typeET4_T5_PSR_SS_PNS1_23onesweep_lookback_stateEbbT6_jjT7_P12ihipStream_tbENKUlT_T0_SG_SL_E_clIS9_SA_SB_SB_EEDaSZ_S10_SG_SL_EUlSZ_E_NS1_11comp_targetILNS1_3genE9ELNS1_11target_archE1100ELNS1_3gpuE3ELNS1_3repE0EEENS1_47radix_sort_onesweep_sort_config_static_selectorELNS0_4arch9wavefront6targetE0EEEvSG_,"axG",@progbits,_ZN7rocprim17ROCPRIM_400000_NS6detail17trampoline_kernelINS0_14default_configENS1_35radix_sort_onesweep_config_selectorIiNS0_10empty_typeEEEZZNS1_29radix_sort_onesweep_iterationIS3_Lb1EPKiPiPS5_SB_mNS0_19identity_decomposerENS1_16block_id_wrapperIjLb1EEEEE10hipError_tT1_PNSt15iterator_traitsISG_E10value_typeET2_T3_PNSH_ISM_E10value_typeET4_T5_PSR_SS_PNS1_23onesweep_lookback_stateEbbT6_jjT7_P12ihipStream_tbENKUlT_T0_SG_SL_E_clIS9_SA_SB_SB_EEDaSZ_S10_SG_SL_EUlSZ_E_NS1_11comp_targetILNS1_3genE9ELNS1_11target_archE1100ELNS1_3gpuE3ELNS1_3repE0EEENS1_47radix_sort_onesweep_sort_config_static_selectorELNS0_4arch9wavefront6targetE0EEEvSG_,comdat
	.protected	_ZN7rocprim17ROCPRIM_400000_NS6detail17trampoline_kernelINS0_14default_configENS1_35radix_sort_onesweep_config_selectorIiNS0_10empty_typeEEEZZNS1_29radix_sort_onesweep_iterationIS3_Lb1EPKiPiPS5_SB_mNS0_19identity_decomposerENS1_16block_id_wrapperIjLb1EEEEE10hipError_tT1_PNSt15iterator_traitsISG_E10value_typeET2_T3_PNSH_ISM_E10value_typeET4_T5_PSR_SS_PNS1_23onesweep_lookback_stateEbbT6_jjT7_P12ihipStream_tbENKUlT_T0_SG_SL_E_clIS9_SA_SB_SB_EEDaSZ_S10_SG_SL_EUlSZ_E_NS1_11comp_targetILNS1_3genE9ELNS1_11target_archE1100ELNS1_3gpuE3ELNS1_3repE0EEENS1_47radix_sort_onesweep_sort_config_static_selectorELNS0_4arch9wavefront6targetE0EEEvSG_ ; -- Begin function _ZN7rocprim17ROCPRIM_400000_NS6detail17trampoline_kernelINS0_14default_configENS1_35radix_sort_onesweep_config_selectorIiNS0_10empty_typeEEEZZNS1_29radix_sort_onesweep_iterationIS3_Lb1EPKiPiPS5_SB_mNS0_19identity_decomposerENS1_16block_id_wrapperIjLb1EEEEE10hipError_tT1_PNSt15iterator_traitsISG_E10value_typeET2_T3_PNSH_ISM_E10value_typeET4_T5_PSR_SS_PNS1_23onesweep_lookback_stateEbbT6_jjT7_P12ihipStream_tbENKUlT_T0_SG_SL_E_clIS9_SA_SB_SB_EEDaSZ_S10_SG_SL_EUlSZ_E_NS1_11comp_targetILNS1_3genE9ELNS1_11target_archE1100ELNS1_3gpuE3ELNS1_3repE0EEENS1_47radix_sort_onesweep_sort_config_static_selectorELNS0_4arch9wavefront6targetE0EEEvSG_
	.globl	_ZN7rocprim17ROCPRIM_400000_NS6detail17trampoline_kernelINS0_14default_configENS1_35radix_sort_onesweep_config_selectorIiNS0_10empty_typeEEEZZNS1_29radix_sort_onesweep_iterationIS3_Lb1EPKiPiPS5_SB_mNS0_19identity_decomposerENS1_16block_id_wrapperIjLb1EEEEE10hipError_tT1_PNSt15iterator_traitsISG_E10value_typeET2_T3_PNSH_ISM_E10value_typeET4_T5_PSR_SS_PNS1_23onesweep_lookback_stateEbbT6_jjT7_P12ihipStream_tbENKUlT_T0_SG_SL_E_clIS9_SA_SB_SB_EEDaSZ_S10_SG_SL_EUlSZ_E_NS1_11comp_targetILNS1_3genE9ELNS1_11target_archE1100ELNS1_3gpuE3ELNS1_3repE0EEENS1_47radix_sort_onesweep_sort_config_static_selectorELNS0_4arch9wavefront6targetE0EEEvSG_
	.p2align	8
	.type	_ZN7rocprim17ROCPRIM_400000_NS6detail17trampoline_kernelINS0_14default_configENS1_35radix_sort_onesweep_config_selectorIiNS0_10empty_typeEEEZZNS1_29radix_sort_onesweep_iterationIS3_Lb1EPKiPiPS5_SB_mNS0_19identity_decomposerENS1_16block_id_wrapperIjLb1EEEEE10hipError_tT1_PNSt15iterator_traitsISG_E10value_typeET2_T3_PNSH_ISM_E10value_typeET4_T5_PSR_SS_PNS1_23onesweep_lookback_stateEbbT6_jjT7_P12ihipStream_tbENKUlT_T0_SG_SL_E_clIS9_SA_SB_SB_EEDaSZ_S10_SG_SL_EUlSZ_E_NS1_11comp_targetILNS1_3genE9ELNS1_11target_archE1100ELNS1_3gpuE3ELNS1_3repE0EEENS1_47radix_sort_onesweep_sort_config_static_selectorELNS0_4arch9wavefront6targetE0EEEvSG_,@function
_ZN7rocprim17ROCPRIM_400000_NS6detail17trampoline_kernelINS0_14default_configENS1_35radix_sort_onesweep_config_selectorIiNS0_10empty_typeEEEZZNS1_29radix_sort_onesweep_iterationIS3_Lb1EPKiPiPS5_SB_mNS0_19identity_decomposerENS1_16block_id_wrapperIjLb1EEEEE10hipError_tT1_PNSt15iterator_traitsISG_E10value_typeET2_T3_PNSH_ISM_E10value_typeET4_T5_PSR_SS_PNS1_23onesweep_lookback_stateEbbT6_jjT7_P12ihipStream_tbENKUlT_T0_SG_SL_E_clIS9_SA_SB_SB_EEDaSZ_S10_SG_SL_EUlSZ_E_NS1_11comp_targetILNS1_3genE9ELNS1_11target_archE1100ELNS1_3gpuE3ELNS1_3repE0EEENS1_47radix_sort_onesweep_sort_config_static_selectorELNS0_4arch9wavefront6targetE0EEEvSG_: ; @_ZN7rocprim17ROCPRIM_400000_NS6detail17trampoline_kernelINS0_14default_configENS1_35radix_sort_onesweep_config_selectorIiNS0_10empty_typeEEEZZNS1_29radix_sort_onesweep_iterationIS3_Lb1EPKiPiPS5_SB_mNS0_19identity_decomposerENS1_16block_id_wrapperIjLb1EEEEE10hipError_tT1_PNSt15iterator_traitsISG_E10value_typeET2_T3_PNSH_ISM_E10value_typeET4_T5_PSR_SS_PNS1_23onesweep_lookback_stateEbbT6_jjT7_P12ihipStream_tbENKUlT_T0_SG_SL_E_clIS9_SA_SB_SB_EEDaSZ_S10_SG_SL_EUlSZ_E_NS1_11comp_targetILNS1_3genE9ELNS1_11target_archE1100ELNS1_3gpuE3ELNS1_3repE0EEENS1_47radix_sort_onesweep_sort_config_static_selectorELNS0_4arch9wavefront6targetE0EEEvSG_
; %bb.0:
	.section	.rodata,"a",@progbits
	.p2align	6, 0x0
	.amdhsa_kernel _ZN7rocprim17ROCPRIM_400000_NS6detail17trampoline_kernelINS0_14default_configENS1_35radix_sort_onesweep_config_selectorIiNS0_10empty_typeEEEZZNS1_29radix_sort_onesweep_iterationIS3_Lb1EPKiPiPS5_SB_mNS0_19identity_decomposerENS1_16block_id_wrapperIjLb1EEEEE10hipError_tT1_PNSt15iterator_traitsISG_E10value_typeET2_T3_PNSH_ISM_E10value_typeET4_T5_PSR_SS_PNS1_23onesweep_lookback_stateEbbT6_jjT7_P12ihipStream_tbENKUlT_T0_SG_SL_E_clIS9_SA_SB_SB_EEDaSZ_S10_SG_SL_EUlSZ_E_NS1_11comp_targetILNS1_3genE9ELNS1_11target_archE1100ELNS1_3gpuE3ELNS1_3repE0EEENS1_47radix_sort_onesweep_sort_config_static_selectorELNS0_4arch9wavefront6targetE0EEEvSG_
		.amdhsa_group_segment_fixed_size 0
		.amdhsa_private_segment_fixed_size 0
		.amdhsa_kernarg_size 88
		.amdhsa_user_sgpr_count 2
		.amdhsa_user_sgpr_dispatch_ptr 0
		.amdhsa_user_sgpr_queue_ptr 0
		.amdhsa_user_sgpr_kernarg_segment_ptr 1
		.amdhsa_user_sgpr_dispatch_id 0
		.amdhsa_user_sgpr_kernarg_preload_length 0
		.amdhsa_user_sgpr_kernarg_preload_offset 0
		.amdhsa_user_sgpr_private_segment_size 0
		.amdhsa_wavefront_size32 1
		.amdhsa_uses_dynamic_stack 0
		.amdhsa_enable_private_segment 0
		.amdhsa_system_sgpr_workgroup_id_x 1
		.amdhsa_system_sgpr_workgroup_id_y 0
		.amdhsa_system_sgpr_workgroup_id_z 0
		.amdhsa_system_sgpr_workgroup_info 0
		.amdhsa_system_vgpr_workitem_id 0
		.amdhsa_next_free_vgpr 1
		.amdhsa_next_free_sgpr 1
		.amdhsa_named_barrier_count 0
		.amdhsa_reserve_vcc 0
		.amdhsa_float_round_mode_32 0
		.amdhsa_float_round_mode_16_64 0
		.amdhsa_float_denorm_mode_32 3
		.amdhsa_float_denorm_mode_16_64 3
		.amdhsa_fp16_overflow 0
		.amdhsa_memory_ordered 1
		.amdhsa_forward_progress 1
		.amdhsa_inst_pref_size 0
		.amdhsa_round_robin_scheduling 0
		.amdhsa_exception_fp_ieee_invalid_op 0
		.amdhsa_exception_fp_denorm_src 0
		.amdhsa_exception_fp_ieee_div_zero 0
		.amdhsa_exception_fp_ieee_overflow 0
		.amdhsa_exception_fp_ieee_underflow 0
		.amdhsa_exception_fp_ieee_inexact 0
		.amdhsa_exception_int_div_zero 0
	.end_amdhsa_kernel
	.section	.text._ZN7rocprim17ROCPRIM_400000_NS6detail17trampoline_kernelINS0_14default_configENS1_35radix_sort_onesweep_config_selectorIiNS0_10empty_typeEEEZZNS1_29radix_sort_onesweep_iterationIS3_Lb1EPKiPiPS5_SB_mNS0_19identity_decomposerENS1_16block_id_wrapperIjLb1EEEEE10hipError_tT1_PNSt15iterator_traitsISG_E10value_typeET2_T3_PNSH_ISM_E10value_typeET4_T5_PSR_SS_PNS1_23onesweep_lookback_stateEbbT6_jjT7_P12ihipStream_tbENKUlT_T0_SG_SL_E_clIS9_SA_SB_SB_EEDaSZ_S10_SG_SL_EUlSZ_E_NS1_11comp_targetILNS1_3genE9ELNS1_11target_archE1100ELNS1_3gpuE3ELNS1_3repE0EEENS1_47radix_sort_onesweep_sort_config_static_selectorELNS0_4arch9wavefront6targetE0EEEvSG_,"axG",@progbits,_ZN7rocprim17ROCPRIM_400000_NS6detail17trampoline_kernelINS0_14default_configENS1_35radix_sort_onesweep_config_selectorIiNS0_10empty_typeEEEZZNS1_29radix_sort_onesweep_iterationIS3_Lb1EPKiPiPS5_SB_mNS0_19identity_decomposerENS1_16block_id_wrapperIjLb1EEEEE10hipError_tT1_PNSt15iterator_traitsISG_E10value_typeET2_T3_PNSH_ISM_E10value_typeET4_T5_PSR_SS_PNS1_23onesweep_lookback_stateEbbT6_jjT7_P12ihipStream_tbENKUlT_T0_SG_SL_E_clIS9_SA_SB_SB_EEDaSZ_S10_SG_SL_EUlSZ_E_NS1_11comp_targetILNS1_3genE9ELNS1_11target_archE1100ELNS1_3gpuE3ELNS1_3repE0EEENS1_47radix_sort_onesweep_sort_config_static_selectorELNS0_4arch9wavefront6targetE0EEEvSG_,comdat
.Lfunc_end856:
	.size	_ZN7rocprim17ROCPRIM_400000_NS6detail17trampoline_kernelINS0_14default_configENS1_35radix_sort_onesweep_config_selectorIiNS0_10empty_typeEEEZZNS1_29radix_sort_onesweep_iterationIS3_Lb1EPKiPiPS5_SB_mNS0_19identity_decomposerENS1_16block_id_wrapperIjLb1EEEEE10hipError_tT1_PNSt15iterator_traitsISG_E10value_typeET2_T3_PNSH_ISM_E10value_typeET4_T5_PSR_SS_PNS1_23onesweep_lookback_stateEbbT6_jjT7_P12ihipStream_tbENKUlT_T0_SG_SL_E_clIS9_SA_SB_SB_EEDaSZ_S10_SG_SL_EUlSZ_E_NS1_11comp_targetILNS1_3genE9ELNS1_11target_archE1100ELNS1_3gpuE3ELNS1_3repE0EEENS1_47radix_sort_onesweep_sort_config_static_selectorELNS0_4arch9wavefront6targetE0EEEvSG_, .Lfunc_end856-_ZN7rocprim17ROCPRIM_400000_NS6detail17trampoline_kernelINS0_14default_configENS1_35radix_sort_onesweep_config_selectorIiNS0_10empty_typeEEEZZNS1_29radix_sort_onesweep_iterationIS3_Lb1EPKiPiPS5_SB_mNS0_19identity_decomposerENS1_16block_id_wrapperIjLb1EEEEE10hipError_tT1_PNSt15iterator_traitsISG_E10value_typeET2_T3_PNSH_ISM_E10value_typeET4_T5_PSR_SS_PNS1_23onesweep_lookback_stateEbbT6_jjT7_P12ihipStream_tbENKUlT_T0_SG_SL_E_clIS9_SA_SB_SB_EEDaSZ_S10_SG_SL_EUlSZ_E_NS1_11comp_targetILNS1_3genE9ELNS1_11target_archE1100ELNS1_3gpuE3ELNS1_3repE0EEENS1_47radix_sort_onesweep_sort_config_static_selectorELNS0_4arch9wavefront6targetE0EEEvSG_
                                        ; -- End function
	.set _ZN7rocprim17ROCPRIM_400000_NS6detail17trampoline_kernelINS0_14default_configENS1_35radix_sort_onesweep_config_selectorIiNS0_10empty_typeEEEZZNS1_29radix_sort_onesweep_iterationIS3_Lb1EPKiPiPS5_SB_mNS0_19identity_decomposerENS1_16block_id_wrapperIjLb1EEEEE10hipError_tT1_PNSt15iterator_traitsISG_E10value_typeET2_T3_PNSH_ISM_E10value_typeET4_T5_PSR_SS_PNS1_23onesweep_lookback_stateEbbT6_jjT7_P12ihipStream_tbENKUlT_T0_SG_SL_E_clIS9_SA_SB_SB_EEDaSZ_S10_SG_SL_EUlSZ_E_NS1_11comp_targetILNS1_3genE9ELNS1_11target_archE1100ELNS1_3gpuE3ELNS1_3repE0EEENS1_47radix_sort_onesweep_sort_config_static_selectorELNS0_4arch9wavefront6targetE0EEEvSG_.num_vgpr, 0
	.set _ZN7rocprim17ROCPRIM_400000_NS6detail17trampoline_kernelINS0_14default_configENS1_35radix_sort_onesweep_config_selectorIiNS0_10empty_typeEEEZZNS1_29radix_sort_onesweep_iterationIS3_Lb1EPKiPiPS5_SB_mNS0_19identity_decomposerENS1_16block_id_wrapperIjLb1EEEEE10hipError_tT1_PNSt15iterator_traitsISG_E10value_typeET2_T3_PNSH_ISM_E10value_typeET4_T5_PSR_SS_PNS1_23onesweep_lookback_stateEbbT6_jjT7_P12ihipStream_tbENKUlT_T0_SG_SL_E_clIS9_SA_SB_SB_EEDaSZ_S10_SG_SL_EUlSZ_E_NS1_11comp_targetILNS1_3genE9ELNS1_11target_archE1100ELNS1_3gpuE3ELNS1_3repE0EEENS1_47radix_sort_onesweep_sort_config_static_selectorELNS0_4arch9wavefront6targetE0EEEvSG_.num_agpr, 0
	.set _ZN7rocprim17ROCPRIM_400000_NS6detail17trampoline_kernelINS0_14default_configENS1_35radix_sort_onesweep_config_selectorIiNS0_10empty_typeEEEZZNS1_29radix_sort_onesweep_iterationIS3_Lb1EPKiPiPS5_SB_mNS0_19identity_decomposerENS1_16block_id_wrapperIjLb1EEEEE10hipError_tT1_PNSt15iterator_traitsISG_E10value_typeET2_T3_PNSH_ISM_E10value_typeET4_T5_PSR_SS_PNS1_23onesweep_lookback_stateEbbT6_jjT7_P12ihipStream_tbENKUlT_T0_SG_SL_E_clIS9_SA_SB_SB_EEDaSZ_S10_SG_SL_EUlSZ_E_NS1_11comp_targetILNS1_3genE9ELNS1_11target_archE1100ELNS1_3gpuE3ELNS1_3repE0EEENS1_47radix_sort_onesweep_sort_config_static_selectorELNS0_4arch9wavefront6targetE0EEEvSG_.numbered_sgpr, 0
	.set _ZN7rocprim17ROCPRIM_400000_NS6detail17trampoline_kernelINS0_14default_configENS1_35radix_sort_onesweep_config_selectorIiNS0_10empty_typeEEEZZNS1_29radix_sort_onesweep_iterationIS3_Lb1EPKiPiPS5_SB_mNS0_19identity_decomposerENS1_16block_id_wrapperIjLb1EEEEE10hipError_tT1_PNSt15iterator_traitsISG_E10value_typeET2_T3_PNSH_ISM_E10value_typeET4_T5_PSR_SS_PNS1_23onesweep_lookback_stateEbbT6_jjT7_P12ihipStream_tbENKUlT_T0_SG_SL_E_clIS9_SA_SB_SB_EEDaSZ_S10_SG_SL_EUlSZ_E_NS1_11comp_targetILNS1_3genE9ELNS1_11target_archE1100ELNS1_3gpuE3ELNS1_3repE0EEENS1_47radix_sort_onesweep_sort_config_static_selectorELNS0_4arch9wavefront6targetE0EEEvSG_.num_named_barrier, 0
	.set _ZN7rocprim17ROCPRIM_400000_NS6detail17trampoline_kernelINS0_14default_configENS1_35radix_sort_onesweep_config_selectorIiNS0_10empty_typeEEEZZNS1_29radix_sort_onesweep_iterationIS3_Lb1EPKiPiPS5_SB_mNS0_19identity_decomposerENS1_16block_id_wrapperIjLb1EEEEE10hipError_tT1_PNSt15iterator_traitsISG_E10value_typeET2_T3_PNSH_ISM_E10value_typeET4_T5_PSR_SS_PNS1_23onesweep_lookback_stateEbbT6_jjT7_P12ihipStream_tbENKUlT_T0_SG_SL_E_clIS9_SA_SB_SB_EEDaSZ_S10_SG_SL_EUlSZ_E_NS1_11comp_targetILNS1_3genE9ELNS1_11target_archE1100ELNS1_3gpuE3ELNS1_3repE0EEENS1_47radix_sort_onesweep_sort_config_static_selectorELNS0_4arch9wavefront6targetE0EEEvSG_.private_seg_size, 0
	.set _ZN7rocprim17ROCPRIM_400000_NS6detail17trampoline_kernelINS0_14default_configENS1_35radix_sort_onesweep_config_selectorIiNS0_10empty_typeEEEZZNS1_29radix_sort_onesweep_iterationIS3_Lb1EPKiPiPS5_SB_mNS0_19identity_decomposerENS1_16block_id_wrapperIjLb1EEEEE10hipError_tT1_PNSt15iterator_traitsISG_E10value_typeET2_T3_PNSH_ISM_E10value_typeET4_T5_PSR_SS_PNS1_23onesweep_lookback_stateEbbT6_jjT7_P12ihipStream_tbENKUlT_T0_SG_SL_E_clIS9_SA_SB_SB_EEDaSZ_S10_SG_SL_EUlSZ_E_NS1_11comp_targetILNS1_3genE9ELNS1_11target_archE1100ELNS1_3gpuE3ELNS1_3repE0EEENS1_47radix_sort_onesweep_sort_config_static_selectorELNS0_4arch9wavefront6targetE0EEEvSG_.uses_vcc, 0
	.set _ZN7rocprim17ROCPRIM_400000_NS6detail17trampoline_kernelINS0_14default_configENS1_35radix_sort_onesweep_config_selectorIiNS0_10empty_typeEEEZZNS1_29radix_sort_onesweep_iterationIS3_Lb1EPKiPiPS5_SB_mNS0_19identity_decomposerENS1_16block_id_wrapperIjLb1EEEEE10hipError_tT1_PNSt15iterator_traitsISG_E10value_typeET2_T3_PNSH_ISM_E10value_typeET4_T5_PSR_SS_PNS1_23onesweep_lookback_stateEbbT6_jjT7_P12ihipStream_tbENKUlT_T0_SG_SL_E_clIS9_SA_SB_SB_EEDaSZ_S10_SG_SL_EUlSZ_E_NS1_11comp_targetILNS1_3genE9ELNS1_11target_archE1100ELNS1_3gpuE3ELNS1_3repE0EEENS1_47radix_sort_onesweep_sort_config_static_selectorELNS0_4arch9wavefront6targetE0EEEvSG_.uses_flat_scratch, 0
	.set _ZN7rocprim17ROCPRIM_400000_NS6detail17trampoline_kernelINS0_14default_configENS1_35radix_sort_onesweep_config_selectorIiNS0_10empty_typeEEEZZNS1_29radix_sort_onesweep_iterationIS3_Lb1EPKiPiPS5_SB_mNS0_19identity_decomposerENS1_16block_id_wrapperIjLb1EEEEE10hipError_tT1_PNSt15iterator_traitsISG_E10value_typeET2_T3_PNSH_ISM_E10value_typeET4_T5_PSR_SS_PNS1_23onesweep_lookback_stateEbbT6_jjT7_P12ihipStream_tbENKUlT_T0_SG_SL_E_clIS9_SA_SB_SB_EEDaSZ_S10_SG_SL_EUlSZ_E_NS1_11comp_targetILNS1_3genE9ELNS1_11target_archE1100ELNS1_3gpuE3ELNS1_3repE0EEENS1_47radix_sort_onesweep_sort_config_static_selectorELNS0_4arch9wavefront6targetE0EEEvSG_.has_dyn_sized_stack, 0
	.set _ZN7rocprim17ROCPRIM_400000_NS6detail17trampoline_kernelINS0_14default_configENS1_35radix_sort_onesweep_config_selectorIiNS0_10empty_typeEEEZZNS1_29radix_sort_onesweep_iterationIS3_Lb1EPKiPiPS5_SB_mNS0_19identity_decomposerENS1_16block_id_wrapperIjLb1EEEEE10hipError_tT1_PNSt15iterator_traitsISG_E10value_typeET2_T3_PNSH_ISM_E10value_typeET4_T5_PSR_SS_PNS1_23onesweep_lookback_stateEbbT6_jjT7_P12ihipStream_tbENKUlT_T0_SG_SL_E_clIS9_SA_SB_SB_EEDaSZ_S10_SG_SL_EUlSZ_E_NS1_11comp_targetILNS1_3genE9ELNS1_11target_archE1100ELNS1_3gpuE3ELNS1_3repE0EEENS1_47radix_sort_onesweep_sort_config_static_selectorELNS0_4arch9wavefront6targetE0EEEvSG_.has_recursion, 0
	.set _ZN7rocprim17ROCPRIM_400000_NS6detail17trampoline_kernelINS0_14default_configENS1_35radix_sort_onesweep_config_selectorIiNS0_10empty_typeEEEZZNS1_29radix_sort_onesweep_iterationIS3_Lb1EPKiPiPS5_SB_mNS0_19identity_decomposerENS1_16block_id_wrapperIjLb1EEEEE10hipError_tT1_PNSt15iterator_traitsISG_E10value_typeET2_T3_PNSH_ISM_E10value_typeET4_T5_PSR_SS_PNS1_23onesweep_lookback_stateEbbT6_jjT7_P12ihipStream_tbENKUlT_T0_SG_SL_E_clIS9_SA_SB_SB_EEDaSZ_S10_SG_SL_EUlSZ_E_NS1_11comp_targetILNS1_3genE9ELNS1_11target_archE1100ELNS1_3gpuE3ELNS1_3repE0EEENS1_47radix_sort_onesweep_sort_config_static_selectorELNS0_4arch9wavefront6targetE0EEEvSG_.has_indirect_call, 0
	.section	.AMDGPU.csdata,"",@progbits
; Kernel info:
; codeLenInByte = 0
; TotalNumSgprs: 0
; NumVgprs: 0
; ScratchSize: 0
; MemoryBound: 0
; FloatMode: 240
; IeeeMode: 1
; LDSByteSize: 0 bytes/workgroup (compile time only)
; SGPRBlocks: 0
; VGPRBlocks: 0
; NumSGPRsForWavesPerEU: 1
; NumVGPRsForWavesPerEU: 1
; NamedBarCnt: 0
; Occupancy: 16
; WaveLimiterHint : 0
; COMPUTE_PGM_RSRC2:SCRATCH_EN: 0
; COMPUTE_PGM_RSRC2:USER_SGPR: 2
; COMPUTE_PGM_RSRC2:TRAP_HANDLER: 0
; COMPUTE_PGM_RSRC2:TGID_X_EN: 1
; COMPUTE_PGM_RSRC2:TGID_Y_EN: 0
; COMPUTE_PGM_RSRC2:TGID_Z_EN: 0
; COMPUTE_PGM_RSRC2:TIDIG_COMP_CNT: 0
	.section	.text._ZN7rocprim17ROCPRIM_400000_NS6detail17trampoline_kernelINS0_14default_configENS1_35radix_sort_onesweep_config_selectorIiNS0_10empty_typeEEEZZNS1_29radix_sort_onesweep_iterationIS3_Lb1EPKiPiPS5_SB_mNS0_19identity_decomposerENS1_16block_id_wrapperIjLb1EEEEE10hipError_tT1_PNSt15iterator_traitsISG_E10value_typeET2_T3_PNSH_ISM_E10value_typeET4_T5_PSR_SS_PNS1_23onesweep_lookback_stateEbbT6_jjT7_P12ihipStream_tbENKUlT_T0_SG_SL_E_clIS9_SA_SB_SB_EEDaSZ_S10_SG_SL_EUlSZ_E_NS1_11comp_targetILNS1_3genE8ELNS1_11target_archE1030ELNS1_3gpuE2ELNS1_3repE0EEENS1_47radix_sort_onesweep_sort_config_static_selectorELNS0_4arch9wavefront6targetE0EEEvSG_,"axG",@progbits,_ZN7rocprim17ROCPRIM_400000_NS6detail17trampoline_kernelINS0_14default_configENS1_35radix_sort_onesweep_config_selectorIiNS0_10empty_typeEEEZZNS1_29radix_sort_onesweep_iterationIS3_Lb1EPKiPiPS5_SB_mNS0_19identity_decomposerENS1_16block_id_wrapperIjLb1EEEEE10hipError_tT1_PNSt15iterator_traitsISG_E10value_typeET2_T3_PNSH_ISM_E10value_typeET4_T5_PSR_SS_PNS1_23onesweep_lookback_stateEbbT6_jjT7_P12ihipStream_tbENKUlT_T0_SG_SL_E_clIS9_SA_SB_SB_EEDaSZ_S10_SG_SL_EUlSZ_E_NS1_11comp_targetILNS1_3genE8ELNS1_11target_archE1030ELNS1_3gpuE2ELNS1_3repE0EEENS1_47radix_sort_onesweep_sort_config_static_selectorELNS0_4arch9wavefront6targetE0EEEvSG_,comdat
	.protected	_ZN7rocprim17ROCPRIM_400000_NS6detail17trampoline_kernelINS0_14default_configENS1_35radix_sort_onesweep_config_selectorIiNS0_10empty_typeEEEZZNS1_29radix_sort_onesweep_iterationIS3_Lb1EPKiPiPS5_SB_mNS0_19identity_decomposerENS1_16block_id_wrapperIjLb1EEEEE10hipError_tT1_PNSt15iterator_traitsISG_E10value_typeET2_T3_PNSH_ISM_E10value_typeET4_T5_PSR_SS_PNS1_23onesweep_lookback_stateEbbT6_jjT7_P12ihipStream_tbENKUlT_T0_SG_SL_E_clIS9_SA_SB_SB_EEDaSZ_S10_SG_SL_EUlSZ_E_NS1_11comp_targetILNS1_3genE8ELNS1_11target_archE1030ELNS1_3gpuE2ELNS1_3repE0EEENS1_47radix_sort_onesweep_sort_config_static_selectorELNS0_4arch9wavefront6targetE0EEEvSG_ ; -- Begin function _ZN7rocprim17ROCPRIM_400000_NS6detail17trampoline_kernelINS0_14default_configENS1_35radix_sort_onesweep_config_selectorIiNS0_10empty_typeEEEZZNS1_29radix_sort_onesweep_iterationIS3_Lb1EPKiPiPS5_SB_mNS0_19identity_decomposerENS1_16block_id_wrapperIjLb1EEEEE10hipError_tT1_PNSt15iterator_traitsISG_E10value_typeET2_T3_PNSH_ISM_E10value_typeET4_T5_PSR_SS_PNS1_23onesweep_lookback_stateEbbT6_jjT7_P12ihipStream_tbENKUlT_T0_SG_SL_E_clIS9_SA_SB_SB_EEDaSZ_S10_SG_SL_EUlSZ_E_NS1_11comp_targetILNS1_3genE8ELNS1_11target_archE1030ELNS1_3gpuE2ELNS1_3repE0EEENS1_47radix_sort_onesweep_sort_config_static_selectorELNS0_4arch9wavefront6targetE0EEEvSG_
	.globl	_ZN7rocprim17ROCPRIM_400000_NS6detail17trampoline_kernelINS0_14default_configENS1_35radix_sort_onesweep_config_selectorIiNS0_10empty_typeEEEZZNS1_29radix_sort_onesweep_iterationIS3_Lb1EPKiPiPS5_SB_mNS0_19identity_decomposerENS1_16block_id_wrapperIjLb1EEEEE10hipError_tT1_PNSt15iterator_traitsISG_E10value_typeET2_T3_PNSH_ISM_E10value_typeET4_T5_PSR_SS_PNS1_23onesweep_lookback_stateEbbT6_jjT7_P12ihipStream_tbENKUlT_T0_SG_SL_E_clIS9_SA_SB_SB_EEDaSZ_S10_SG_SL_EUlSZ_E_NS1_11comp_targetILNS1_3genE8ELNS1_11target_archE1030ELNS1_3gpuE2ELNS1_3repE0EEENS1_47radix_sort_onesweep_sort_config_static_selectorELNS0_4arch9wavefront6targetE0EEEvSG_
	.p2align	8
	.type	_ZN7rocprim17ROCPRIM_400000_NS6detail17trampoline_kernelINS0_14default_configENS1_35radix_sort_onesweep_config_selectorIiNS0_10empty_typeEEEZZNS1_29radix_sort_onesweep_iterationIS3_Lb1EPKiPiPS5_SB_mNS0_19identity_decomposerENS1_16block_id_wrapperIjLb1EEEEE10hipError_tT1_PNSt15iterator_traitsISG_E10value_typeET2_T3_PNSH_ISM_E10value_typeET4_T5_PSR_SS_PNS1_23onesweep_lookback_stateEbbT6_jjT7_P12ihipStream_tbENKUlT_T0_SG_SL_E_clIS9_SA_SB_SB_EEDaSZ_S10_SG_SL_EUlSZ_E_NS1_11comp_targetILNS1_3genE8ELNS1_11target_archE1030ELNS1_3gpuE2ELNS1_3repE0EEENS1_47radix_sort_onesweep_sort_config_static_selectorELNS0_4arch9wavefront6targetE0EEEvSG_,@function
_ZN7rocprim17ROCPRIM_400000_NS6detail17trampoline_kernelINS0_14default_configENS1_35radix_sort_onesweep_config_selectorIiNS0_10empty_typeEEEZZNS1_29radix_sort_onesweep_iterationIS3_Lb1EPKiPiPS5_SB_mNS0_19identity_decomposerENS1_16block_id_wrapperIjLb1EEEEE10hipError_tT1_PNSt15iterator_traitsISG_E10value_typeET2_T3_PNSH_ISM_E10value_typeET4_T5_PSR_SS_PNS1_23onesweep_lookback_stateEbbT6_jjT7_P12ihipStream_tbENKUlT_T0_SG_SL_E_clIS9_SA_SB_SB_EEDaSZ_S10_SG_SL_EUlSZ_E_NS1_11comp_targetILNS1_3genE8ELNS1_11target_archE1030ELNS1_3gpuE2ELNS1_3repE0EEENS1_47radix_sort_onesweep_sort_config_static_selectorELNS0_4arch9wavefront6targetE0EEEvSG_: ; @_ZN7rocprim17ROCPRIM_400000_NS6detail17trampoline_kernelINS0_14default_configENS1_35radix_sort_onesweep_config_selectorIiNS0_10empty_typeEEEZZNS1_29radix_sort_onesweep_iterationIS3_Lb1EPKiPiPS5_SB_mNS0_19identity_decomposerENS1_16block_id_wrapperIjLb1EEEEE10hipError_tT1_PNSt15iterator_traitsISG_E10value_typeET2_T3_PNSH_ISM_E10value_typeET4_T5_PSR_SS_PNS1_23onesweep_lookback_stateEbbT6_jjT7_P12ihipStream_tbENKUlT_T0_SG_SL_E_clIS9_SA_SB_SB_EEDaSZ_S10_SG_SL_EUlSZ_E_NS1_11comp_targetILNS1_3genE8ELNS1_11target_archE1030ELNS1_3gpuE2ELNS1_3repE0EEENS1_47radix_sort_onesweep_sort_config_static_selectorELNS0_4arch9wavefront6targetE0EEEvSG_
; %bb.0:
	.section	.rodata,"a",@progbits
	.p2align	6, 0x0
	.amdhsa_kernel _ZN7rocprim17ROCPRIM_400000_NS6detail17trampoline_kernelINS0_14default_configENS1_35radix_sort_onesweep_config_selectorIiNS0_10empty_typeEEEZZNS1_29radix_sort_onesweep_iterationIS3_Lb1EPKiPiPS5_SB_mNS0_19identity_decomposerENS1_16block_id_wrapperIjLb1EEEEE10hipError_tT1_PNSt15iterator_traitsISG_E10value_typeET2_T3_PNSH_ISM_E10value_typeET4_T5_PSR_SS_PNS1_23onesweep_lookback_stateEbbT6_jjT7_P12ihipStream_tbENKUlT_T0_SG_SL_E_clIS9_SA_SB_SB_EEDaSZ_S10_SG_SL_EUlSZ_E_NS1_11comp_targetILNS1_3genE8ELNS1_11target_archE1030ELNS1_3gpuE2ELNS1_3repE0EEENS1_47radix_sort_onesweep_sort_config_static_selectorELNS0_4arch9wavefront6targetE0EEEvSG_
		.amdhsa_group_segment_fixed_size 0
		.amdhsa_private_segment_fixed_size 0
		.amdhsa_kernarg_size 88
		.amdhsa_user_sgpr_count 2
		.amdhsa_user_sgpr_dispatch_ptr 0
		.amdhsa_user_sgpr_queue_ptr 0
		.amdhsa_user_sgpr_kernarg_segment_ptr 1
		.amdhsa_user_sgpr_dispatch_id 0
		.amdhsa_user_sgpr_kernarg_preload_length 0
		.amdhsa_user_sgpr_kernarg_preload_offset 0
		.amdhsa_user_sgpr_private_segment_size 0
		.amdhsa_wavefront_size32 1
		.amdhsa_uses_dynamic_stack 0
		.amdhsa_enable_private_segment 0
		.amdhsa_system_sgpr_workgroup_id_x 1
		.amdhsa_system_sgpr_workgroup_id_y 0
		.amdhsa_system_sgpr_workgroup_id_z 0
		.amdhsa_system_sgpr_workgroup_info 0
		.amdhsa_system_vgpr_workitem_id 0
		.amdhsa_next_free_vgpr 1
		.amdhsa_next_free_sgpr 1
		.amdhsa_named_barrier_count 0
		.amdhsa_reserve_vcc 0
		.amdhsa_float_round_mode_32 0
		.amdhsa_float_round_mode_16_64 0
		.amdhsa_float_denorm_mode_32 3
		.amdhsa_float_denorm_mode_16_64 3
		.amdhsa_fp16_overflow 0
		.amdhsa_memory_ordered 1
		.amdhsa_forward_progress 1
		.amdhsa_inst_pref_size 0
		.amdhsa_round_robin_scheduling 0
		.amdhsa_exception_fp_ieee_invalid_op 0
		.amdhsa_exception_fp_denorm_src 0
		.amdhsa_exception_fp_ieee_div_zero 0
		.amdhsa_exception_fp_ieee_overflow 0
		.amdhsa_exception_fp_ieee_underflow 0
		.amdhsa_exception_fp_ieee_inexact 0
		.amdhsa_exception_int_div_zero 0
	.end_amdhsa_kernel
	.section	.text._ZN7rocprim17ROCPRIM_400000_NS6detail17trampoline_kernelINS0_14default_configENS1_35radix_sort_onesweep_config_selectorIiNS0_10empty_typeEEEZZNS1_29radix_sort_onesweep_iterationIS3_Lb1EPKiPiPS5_SB_mNS0_19identity_decomposerENS1_16block_id_wrapperIjLb1EEEEE10hipError_tT1_PNSt15iterator_traitsISG_E10value_typeET2_T3_PNSH_ISM_E10value_typeET4_T5_PSR_SS_PNS1_23onesweep_lookback_stateEbbT6_jjT7_P12ihipStream_tbENKUlT_T0_SG_SL_E_clIS9_SA_SB_SB_EEDaSZ_S10_SG_SL_EUlSZ_E_NS1_11comp_targetILNS1_3genE8ELNS1_11target_archE1030ELNS1_3gpuE2ELNS1_3repE0EEENS1_47radix_sort_onesweep_sort_config_static_selectorELNS0_4arch9wavefront6targetE0EEEvSG_,"axG",@progbits,_ZN7rocprim17ROCPRIM_400000_NS6detail17trampoline_kernelINS0_14default_configENS1_35radix_sort_onesweep_config_selectorIiNS0_10empty_typeEEEZZNS1_29radix_sort_onesweep_iterationIS3_Lb1EPKiPiPS5_SB_mNS0_19identity_decomposerENS1_16block_id_wrapperIjLb1EEEEE10hipError_tT1_PNSt15iterator_traitsISG_E10value_typeET2_T3_PNSH_ISM_E10value_typeET4_T5_PSR_SS_PNS1_23onesweep_lookback_stateEbbT6_jjT7_P12ihipStream_tbENKUlT_T0_SG_SL_E_clIS9_SA_SB_SB_EEDaSZ_S10_SG_SL_EUlSZ_E_NS1_11comp_targetILNS1_3genE8ELNS1_11target_archE1030ELNS1_3gpuE2ELNS1_3repE0EEENS1_47radix_sort_onesweep_sort_config_static_selectorELNS0_4arch9wavefront6targetE0EEEvSG_,comdat
.Lfunc_end857:
	.size	_ZN7rocprim17ROCPRIM_400000_NS6detail17trampoline_kernelINS0_14default_configENS1_35radix_sort_onesweep_config_selectorIiNS0_10empty_typeEEEZZNS1_29radix_sort_onesweep_iterationIS3_Lb1EPKiPiPS5_SB_mNS0_19identity_decomposerENS1_16block_id_wrapperIjLb1EEEEE10hipError_tT1_PNSt15iterator_traitsISG_E10value_typeET2_T3_PNSH_ISM_E10value_typeET4_T5_PSR_SS_PNS1_23onesweep_lookback_stateEbbT6_jjT7_P12ihipStream_tbENKUlT_T0_SG_SL_E_clIS9_SA_SB_SB_EEDaSZ_S10_SG_SL_EUlSZ_E_NS1_11comp_targetILNS1_3genE8ELNS1_11target_archE1030ELNS1_3gpuE2ELNS1_3repE0EEENS1_47radix_sort_onesweep_sort_config_static_selectorELNS0_4arch9wavefront6targetE0EEEvSG_, .Lfunc_end857-_ZN7rocprim17ROCPRIM_400000_NS6detail17trampoline_kernelINS0_14default_configENS1_35radix_sort_onesweep_config_selectorIiNS0_10empty_typeEEEZZNS1_29radix_sort_onesweep_iterationIS3_Lb1EPKiPiPS5_SB_mNS0_19identity_decomposerENS1_16block_id_wrapperIjLb1EEEEE10hipError_tT1_PNSt15iterator_traitsISG_E10value_typeET2_T3_PNSH_ISM_E10value_typeET4_T5_PSR_SS_PNS1_23onesweep_lookback_stateEbbT6_jjT7_P12ihipStream_tbENKUlT_T0_SG_SL_E_clIS9_SA_SB_SB_EEDaSZ_S10_SG_SL_EUlSZ_E_NS1_11comp_targetILNS1_3genE8ELNS1_11target_archE1030ELNS1_3gpuE2ELNS1_3repE0EEENS1_47radix_sort_onesweep_sort_config_static_selectorELNS0_4arch9wavefront6targetE0EEEvSG_
                                        ; -- End function
	.set _ZN7rocprim17ROCPRIM_400000_NS6detail17trampoline_kernelINS0_14default_configENS1_35radix_sort_onesweep_config_selectorIiNS0_10empty_typeEEEZZNS1_29radix_sort_onesweep_iterationIS3_Lb1EPKiPiPS5_SB_mNS0_19identity_decomposerENS1_16block_id_wrapperIjLb1EEEEE10hipError_tT1_PNSt15iterator_traitsISG_E10value_typeET2_T3_PNSH_ISM_E10value_typeET4_T5_PSR_SS_PNS1_23onesweep_lookback_stateEbbT6_jjT7_P12ihipStream_tbENKUlT_T0_SG_SL_E_clIS9_SA_SB_SB_EEDaSZ_S10_SG_SL_EUlSZ_E_NS1_11comp_targetILNS1_3genE8ELNS1_11target_archE1030ELNS1_3gpuE2ELNS1_3repE0EEENS1_47radix_sort_onesweep_sort_config_static_selectorELNS0_4arch9wavefront6targetE0EEEvSG_.num_vgpr, 0
	.set _ZN7rocprim17ROCPRIM_400000_NS6detail17trampoline_kernelINS0_14default_configENS1_35radix_sort_onesweep_config_selectorIiNS0_10empty_typeEEEZZNS1_29radix_sort_onesweep_iterationIS3_Lb1EPKiPiPS5_SB_mNS0_19identity_decomposerENS1_16block_id_wrapperIjLb1EEEEE10hipError_tT1_PNSt15iterator_traitsISG_E10value_typeET2_T3_PNSH_ISM_E10value_typeET4_T5_PSR_SS_PNS1_23onesweep_lookback_stateEbbT6_jjT7_P12ihipStream_tbENKUlT_T0_SG_SL_E_clIS9_SA_SB_SB_EEDaSZ_S10_SG_SL_EUlSZ_E_NS1_11comp_targetILNS1_3genE8ELNS1_11target_archE1030ELNS1_3gpuE2ELNS1_3repE0EEENS1_47radix_sort_onesweep_sort_config_static_selectorELNS0_4arch9wavefront6targetE0EEEvSG_.num_agpr, 0
	.set _ZN7rocprim17ROCPRIM_400000_NS6detail17trampoline_kernelINS0_14default_configENS1_35radix_sort_onesweep_config_selectorIiNS0_10empty_typeEEEZZNS1_29radix_sort_onesweep_iterationIS3_Lb1EPKiPiPS5_SB_mNS0_19identity_decomposerENS1_16block_id_wrapperIjLb1EEEEE10hipError_tT1_PNSt15iterator_traitsISG_E10value_typeET2_T3_PNSH_ISM_E10value_typeET4_T5_PSR_SS_PNS1_23onesweep_lookback_stateEbbT6_jjT7_P12ihipStream_tbENKUlT_T0_SG_SL_E_clIS9_SA_SB_SB_EEDaSZ_S10_SG_SL_EUlSZ_E_NS1_11comp_targetILNS1_3genE8ELNS1_11target_archE1030ELNS1_3gpuE2ELNS1_3repE0EEENS1_47radix_sort_onesweep_sort_config_static_selectorELNS0_4arch9wavefront6targetE0EEEvSG_.numbered_sgpr, 0
	.set _ZN7rocprim17ROCPRIM_400000_NS6detail17trampoline_kernelINS0_14default_configENS1_35radix_sort_onesweep_config_selectorIiNS0_10empty_typeEEEZZNS1_29radix_sort_onesweep_iterationIS3_Lb1EPKiPiPS5_SB_mNS0_19identity_decomposerENS1_16block_id_wrapperIjLb1EEEEE10hipError_tT1_PNSt15iterator_traitsISG_E10value_typeET2_T3_PNSH_ISM_E10value_typeET4_T5_PSR_SS_PNS1_23onesweep_lookback_stateEbbT6_jjT7_P12ihipStream_tbENKUlT_T0_SG_SL_E_clIS9_SA_SB_SB_EEDaSZ_S10_SG_SL_EUlSZ_E_NS1_11comp_targetILNS1_3genE8ELNS1_11target_archE1030ELNS1_3gpuE2ELNS1_3repE0EEENS1_47radix_sort_onesweep_sort_config_static_selectorELNS0_4arch9wavefront6targetE0EEEvSG_.num_named_barrier, 0
	.set _ZN7rocprim17ROCPRIM_400000_NS6detail17trampoline_kernelINS0_14default_configENS1_35radix_sort_onesweep_config_selectorIiNS0_10empty_typeEEEZZNS1_29radix_sort_onesweep_iterationIS3_Lb1EPKiPiPS5_SB_mNS0_19identity_decomposerENS1_16block_id_wrapperIjLb1EEEEE10hipError_tT1_PNSt15iterator_traitsISG_E10value_typeET2_T3_PNSH_ISM_E10value_typeET4_T5_PSR_SS_PNS1_23onesweep_lookback_stateEbbT6_jjT7_P12ihipStream_tbENKUlT_T0_SG_SL_E_clIS9_SA_SB_SB_EEDaSZ_S10_SG_SL_EUlSZ_E_NS1_11comp_targetILNS1_3genE8ELNS1_11target_archE1030ELNS1_3gpuE2ELNS1_3repE0EEENS1_47radix_sort_onesweep_sort_config_static_selectorELNS0_4arch9wavefront6targetE0EEEvSG_.private_seg_size, 0
	.set _ZN7rocprim17ROCPRIM_400000_NS6detail17trampoline_kernelINS0_14default_configENS1_35radix_sort_onesweep_config_selectorIiNS0_10empty_typeEEEZZNS1_29radix_sort_onesweep_iterationIS3_Lb1EPKiPiPS5_SB_mNS0_19identity_decomposerENS1_16block_id_wrapperIjLb1EEEEE10hipError_tT1_PNSt15iterator_traitsISG_E10value_typeET2_T3_PNSH_ISM_E10value_typeET4_T5_PSR_SS_PNS1_23onesweep_lookback_stateEbbT6_jjT7_P12ihipStream_tbENKUlT_T0_SG_SL_E_clIS9_SA_SB_SB_EEDaSZ_S10_SG_SL_EUlSZ_E_NS1_11comp_targetILNS1_3genE8ELNS1_11target_archE1030ELNS1_3gpuE2ELNS1_3repE0EEENS1_47radix_sort_onesweep_sort_config_static_selectorELNS0_4arch9wavefront6targetE0EEEvSG_.uses_vcc, 0
	.set _ZN7rocprim17ROCPRIM_400000_NS6detail17trampoline_kernelINS0_14default_configENS1_35radix_sort_onesweep_config_selectorIiNS0_10empty_typeEEEZZNS1_29radix_sort_onesweep_iterationIS3_Lb1EPKiPiPS5_SB_mNS0_19identity_decomposerENS1_16block_id_wrapperIjLb1EEEEE10hipError_tT1_PNSt15iterator_traitsISG_E10value_typeET2_T3_PNSH_ISM_E10value_typeET4_T5_PSR_SS_PNS1_23onesweep_lookback_stateEbbT6_jjT7_P12ihipStream_tbENKUlT_T0_SG_SL_E_clIS9_SA_SB_SB_EEDaSZ_S10_SG_SL_EUlSZ_E_NS1_11comp_targetILNS1_3genE8ELNS1_11target_archE1030ELNS1_3gpuE2ELNS1_3repE0EEENS1_47radix_sort_onesweep_sort_config_static_selectorELNS0_4arch9wavefront6targetE0EEEvSG_.uses_flat_scratch, 0
	.set _ZN7rocprim17ROCPRIM_400000_NS6detail17trampoline_kernelINS0_14default_configENS1_35radix_sort_onesweep_config_selectorIiNS0_10empty_typeEEEZZNS1_29radix_sort_onesweep_iterationIS3_Lb1EPKiPiPS5_SB_mNS0_19identity_decomposerENS1_16block_id_wrapperIjLb1EEEEE10hipError_tT1_PNSt15iterator_traitsISG_E10value_typeET2_T3_PNSH_ISM_E10value_typeET4_T5_PSR_SS_PNS1_23onesweep_lookback_stateEbbT6_jjT7_P12ihipStream_tbENKUlT_T0_SG_SL_E_clIS9_SA_SB_SB_EEDaSZ_S10_SG_SL_EUlSZ_E_NS1_11comp_targetILNS1_3genE8ELNS1_11target_archE1030ELNS1_3gpuE2ELNS1_3repE0EEENS1_47radix_sort_onesweep_sort_config_static_selectorELNS0_4arch9wavefront6targetE0EEEvSG_.has_dyn_sized_stack, 0
	.set _ZN7rocprim17ROCPRIM_400000_NS6detail17trampoline_kernelINS0_14default_configENS1_35radix_sort_onesweep_config_selectorIiNS0_10empty_typeEEEZZNS1_29radix_sort_onesweep_iterationIS3_Lb1EPKiPiPS5_SB_mNS0_19identity_decomposerENS1_16block_id_wrapperIjLb1EEEEE10hipError_tT1_PNSt15iterator_traitsISG_E10value_typeET2_T3_PNSH_ISM_E10value_typeET4_T5_PSR_SS_PNS1_23onesweep_lookback_stateEbbT6_jjT7_P12ihipStream_tbENKUlT_T0_SG_SL_E_clIS9_SA_SB_SB_EEDaSZ_S10_SG_SL_EUlSZ_E_NS1_11comp_targetILNS1_3genE8ELNS1_11target_archE1030ELNS1_3gpuE2ELNS1_3repE0EEENS1_47radix_sort_onesweep_sort_config_static_selectorELNS0_4arch9wavefront6targetE0EEEvSG_.has_recursion, 0
	.set _ZN7rocprim17ROCPRIM_400000_NS6detail17trampoline_kernelINS0_14default_configENS1_35radix_sort_onesweep_config_selectorIiNS0_10empty_typeEEEZZNS1_29radix_sort_onesweep_iterationIS3_Lb1EPKiPiPS5_SB_mNS0_19identity_decomposerENS1_16block_id_wrapperIjLb1EEEEE10hipError_tT1_PNSt15iterator_traitsISG_E10value_typeET2_T3_PNSH_ISM_E10value_typeET4_T5_PSR_SS_PNS1_23onesweep_lookback_stateEbbT6_jjT7_P12ihipStream_tbENKUlT_T0_SG_SL_E_clIS9_SA_SB_SB_EEDaSZ_S10_SG_SL_EUlSZ_E_NS1_11comp_targetILNS1_3genE8ELNS1_11target_archE1030ELNS1_3gpuE2ELNS1_3repE0EEENS1_47radix_sort_onesweep_sort_config_static_selectorELNS0_4arch9wavefront6targetE0EEEvSG_.has_indirect_call, 0
	.section	.AMDGPU.csdata,"",@progbits
; Kernel info:
; codeLenInByte = 0
; TotalNumSgprs: 0
; NumVgprs: 0
; ScratchSize: 0
; MemoryBound: 0
; FloatMode: 240
; IeeeMode: 1
; LDSByteSize: 0 bytes/workgroup (compile time only)
; SGPRBlocks: 0
; VGPRBlocks: 0
; NumSGPRsForWavesPerEU: 1
; NumVGPRsForWavesPerEU: 1
; NamedBarCnt: 0
; Occupancy: 16
; WaveLimiterHint : 0
; COMPUTE_PGM_RSRC2:SCRATCH_EN: 0
; COMPUTE_PGM_RSRC2:USER_SGPR: 2
; COMPUTE_PGM_RSRC2:TRAP_HANDLER: 0
; COMPUTE_PGM_RSRC2:TGID_X_EN: 1
; COMPUTE_PGM_RSRC2:TGID_Y_EN: 0
; COMPUTE_PGM_RSRC2:TGID_Z_EN: 0
; COMPUTE_PGM_RSRC2:TIDIG_COMP_CNT: 0
	.section	.text._ZN7rocprim17ROCPRIM_400000_NS6detail17trampoline_kernelINS0_14default_configENS1_35radix_sort_onesweep_config_selectorIiNS0_10empty_typeEEEZZNS1_29radix_sort_onesweep_iterationIS3_Lb1EPKiPiPS5_SB_mNS0_19identity_decomposerENS1_16block_id_wrapperIjLb1EEEEE10hipError_tT1_PNSt15iterator_traitsISG_E10value_typeET2_T3_PNSH_ISM_E10value_typeET4_T5_PSR_SS_PNS1_23onesweep_lookback_stateEbbT6_jjT7_P12ihipStream_tbENKUlT_T0_SG_SL_E_clISA_SA_SB_SB_EEDaSZ_S10_SG_SL_EUlSZ_E_NS1_11comp_targetILNS1_3genE0ELNS1_11target_archE4294967295ELNS1_3gpuE0ELNS1_3repE0EEENS1_47radix_sort_onesweep_sort_config_static_selectorELNS0_4arch9wavefront6targetE0EEEvSG_,"axG",@progbits,_ZN7rocprim17ROCPRIM_400000_NS6detail17trampoline_kernelINS0_14default_configENS1_35radix_sort_onesweep_config_selectorIiNS0_10empty_typeEEEZZNS1_29radix_sort_onesweep_iterationIS3_Lb1EPKiPiPS5_SB_mNS0_19identity_decomposerENS1_16block_id_wrapperIjLb1EEEEE10hipError_tT1_PNSt15iterator_traitsISG_E10value_typeET2_T3_PNSH_ISM_E10value_typeET4_T5_PSR_SS_PNS1_23onesweep_lookback_stateEbbT6_jjT7_P12ihipStream_tbENKUlT_T0_SG_SL_E_clISA_SA_SB_SB_EEDaSZ_S10_SG_SL_EUlSZ_E_NS1_11comp_targetILNS1_3genE0ELNS1_11target_archE4294967295ELNS1_3gpuE0ELNS1_3repE0EEENS1_47radix_sort_onesweep_sort_config_static_selectorELNS0_4arch9wavefront6targetE0EEEvSG_,comdat
	.protected	_ZN7rocprim17ROCPRIM_400000_NS6detail17trampoline_kernelINS0_14default_configENS1_35radix_sort_onesweep_config_selectorIiNS0_10empty_typeEEEZZNS1_29radix_sort_onesweep_iterationIS3_Lb1EPKiPiPS5_SB_mNS0_19identity_decomposerENS1_16block_id_wrapperIjLb1EEEEE10hipError_tT1_PNSt15iterator_traitsISG_E10value_typeET2_T3_PNSH_ISM_E10value_typeET4_T5_PSR_SS_PNS1_23onesweep_lookback_stateEbbT6_jjT7_P12ihipStream_tbENKUlT_T0_SG_SL_E_clISA_SA_SB_SB_EEDaSZ_S10_SG_SL_EUlSZ_E_NS1_11comp_targetILNS1_3genE0ELNS1_11target_archE4294967295ELNS1_3gpuE0ELNS1_3repE0EEENS1_47radix_sort_onesweep_sort_config_static_selectorELNS0_4arch9wavefront6targetE0EEEvSG_ ; -- Begin function _ZN7rocprim17ROCPRIM_400000_NS6detail17trampoline_kernelINS0_14default_configENS1_35radix_sort_onesweep_config_selectorIiNS0_10empty_typeEEEZZNS1_29radix_sort_onesweep_iterationIS3_Lb1EPKiPiPS5_SB_mNS0_19identity_decomposerENS1_16block_id_wrapperIjLb1EEEEE10hipError_tT1_PNSt15iterator_traitsISG_E10value_typeET2_T3_PNSH_ISM_E10value_typeET4_T5_PSR_SS_PNS1_23onesweep_lookback_stateEbbT6_jjT7_P12ihipStream_tbENKUlT_T0_SG_SL_E_clISA_SA_SB_SB_EEDaSZ_S10_SG_SL_EUlSZ_E_NS1_11comp_targetILNS1_3genE0ELNS1_11target_archE4294967295ELNS1_3gpuE0ELNS1_3repE0EEENS1_47radix_sort_onesweep_sort_config_static_selectorELNS0_4arch9wavefront6targetE0EEEvSG_
	.globl	_ZN7rocprim17ROCPRIM_400000_NS6detail17trampoline_kernelINS0_14default_configENS1_35radix_sort_onesweep_config_selectorIiNS0_10empty_typeEEEZZNS1_29radix_sort_onesweep_iterationIS3_Lb1EPKiPiPS5_SB_mNS0_19identity_decomposerENS1_16block_id_wrapperIjLb1EEEEE10hipError_tT1_PNSt15iterator_traitsISG_E10value_typeET2_T3_PNSH_ISM_E10value_typeET4_T5_PSR_SS_PNS1_23onesweep_lookback_stateEbbT6_jjT7_P12ihipStream_tbENKUlT_T0_SG_SL_E_clISA_SA_SB_SB_EEDaSZ_S10_SG_SL_EUlSZ_E_NS1_11comp_targetILNS1_3genE0ELNS1_11target_archE4294967295ELNS1_3gpuE0ELNS1_3repE0EEENS1_47radix_sort_onesweep_sort_config_static_selectorELNS0_4arch9wavefront6targetE0EEEvSG_
	.p2align	8
	.type	_ZN7rocprim17ROCPRIM_400000_NS6detail17trampoline_kernelINS0_14default_configENS1_35radix_sort_onesweep_config_selectorIiNS0_10empty_typeEEEZZNS1_29radix_sort_onesweep_iterationIS3_Lb1EPKiPiPS5_SB_mNS0_19identity_decomposerENS1_16block_id_wrapperIjLb1EEEEE10hipError_tT1_PNSt15iterator_traitsISG_E10value_typeET2_T3_PNSH_ISM_E10value_typeET4_T5_PSR_SS_PNS1_23onesweep_lookback_stateEbbT6_jjT7_P12ihipStream_tbENKUlT_T0_SG_SL_E_clISA_SA_SB_SB_EEDaSZ_S10_SG_SL_EUlSZ_E_NS1_11comp_targetILNS1_3genE0ELNS1_11target_archE4294967295ELNS1_3gpuE0ELNS1_3repE0EEENS1_47radix_sort_onesweep_sort_config_static_selectorELNS0_4arch9wavefront6targetE0EEEvSG_,@function
_ZN7rocprim17ROCPRIM_400000_NS6detail17trampoline_kernelINS0_14default_configENS1_35radix_sort_onesweep_config_selectorIiNS0_10empty_typeEEEZZNS1_29radix_sort_onesweep_iterationIS3_Lb1EPKiPiPS5_SB_mNS0_19identity_decomposerENS1_16block_id_wrapperIjLb1EEEEE10hipError_tT1_PNSt15iterator_traitsISG_E10value_typeET2_T3_PNSH_ISM_E10value_typeET4_T5_PSR_SS_PNS1_23onesweep_lookback_stateEbbT6_jjT7_P12ihipStream_tbENKUlT_T0_SG_SL_E_clISA_SA_SB_SB_EEDaSZ_S10_SG_SL_EUlSZ_E_NS1_11comp_targetILNS1_3genE0ELNS1_11target_archE4294967295ELNS1_3gpuE0ELNS1_3repE0EEENS1_47radix_sort_onesweep_sort_config_static_selectorELNS0_4arch9wavefront6targetE0EEEvSG_: ; @_ZN7rocprim17ROCPRIM_400000_NS6detail17trampoline_kernelINS0_14default_configENS1_35radix_sort_onesweep_config_selectorIiNS0_10empty_typeEEEZZNS1_29radix_sort_onesweep_iterationIS3_Lb1EPKiPiPS5_SB_mNS0_19identity_decomposerENS1_16block_id_wrapperIjLb1EEEEE10hipError_tT1_PNSt15iterator_traitsISG_E10value_typeET2_T3_PNSH_ISM_E10value_typeET4_T5_PSR_SS_PNS1_23onesweep_lookback_stateEbbT6_jjT7_P12ihipStream_tbENKUlT_T0_SG_SL_E_clISA_SA_SB_SB_EEDaSZ_S10_SG_SL_EUlSZ_E_NS1_11comp_targetILNS1_3genE0ELNS1_11target_archE4294967295ELNS1_3gpuE0ELNS1_3repE0EEENS1_47radix_sort_onesweep_sort_config_static_selectorELNS0_4arch9wavefront6targetE0EEEvSG_
; %bb.0:
	s_clause 0x1
	s_load_b128 s[8:11], s[0:1], 0x28
	s_load_b64 s[20:21], s[0:1], 0x38
	v_and_b32_e32 v14, 0x3ff, v0
	s_delay_alu instid0(VALU_DEP_1)
	v_cmp_eq_u32_e64 s2, 0, v14
	s_and_saveexec_b32 s3, s2
	s_cbranch_execz .LBB858_4
; %bb.1:
	s_mov_b32 s5, exec_lo
	s_mov_b32 s4, exec_lo
	v_mbcnt_lo_u32_b32 v1, s5, 0
                                        ; implicit-def: $vgpr2
	s_delay_alu instid0(VALU_DEP_1)
	v_cmpx_eq_u32_e32 0, v1
	s_cbranch_execz .LBB858_3
; %bb.2:
	s_load_b64 s[6:7], s[0:1], 0x50
	s_bcnt1_i32_b32 s5, s5
	s_delay_alu instid0(SALU_CYCLE_1)
	v_dual_mov_b32 v2, 0 :: v_dual_mov_b32 v3, s5
	s_wait_xcnt 0x0
	s_wait_kmcnt 0x0
	global_atomic_add_u32 v2, v2, v3, s[6:7] th:TH_ATOMIC_RETURN scope:SCOPE_DEV
.LBB858_3:
	s_wait_xcnt 0x0
	s_or_b32 exec_lo, exec_lo, s4
	s_wait_loadcnt 0x0
	v_readfirstlane_b32 s4, v2
	s_delay_alu instid0(VALU_DEP_1)
	v_dual_mov_b32 v2, 0 :: v_dual_add_nc_u32 v1, s4, v1
	ds_store_b32 v2, v1 offset:18496
.LBB858_4:
	s_or_b32 exec_lo, exec_lo, s3
	v_mov_b32_e32 v3, 0
	s_clause 0x2
	s_load_b128 s[12:15], s[0:1], 0x0
	s_load_b32 s3, s[0:1], 0x20
	s_load_b96 s[16:18], s[0:1], 0x44
	s_wait_dscnt 0x0
	s_barrier_signal -1
	s_barrier_wait -1
	ds_load_b32 v1, v3 offset:18496
	v_mbcnt_lo_u32_b32 v15, -1, 0
	v_and_b32_e32 v16, 0x3e0, v14
	s_mov_b32 s4, -1
	s_add_nc_u64 s[24:25], s[0:1], 0x58
	s_getreg_b32 s7, hwreg(HW_REG_IB_STS2, 6, 4)
	s_wait_dscnt 0x0
	s_barrier_signal -1
	s_barrier_wait -1
	s_wait_kmcnt 0x0
	v_cmp_le_u32_e32 vcc_lo, s18, v1
	v_readfirstlane_b32 s19, v1
	s_mul_i32 s22, s19, 0x1800
	s_cbranch_vccz .LBB858_94
; %bb.5:
	s_mov_b32 s23, 0
	v_mul_u32_u24_e32 v1, 12, v16
	v_lshlrev_b32_e32 v2, 2, v15
	s_lshl_b64 s[4:5], s[22:23], 2
	v_mov_b32_e32 v17, -1
	s_add_nc_u64 s[4:5], s[12:13], s[4:5]
	v_or_b32_e32 v4, v15, v1
	v_add_nc_u64_e32 v[6:7], s[4:5], v[2:3]
	v_dual_mov_b32 v1, -1 :: v_dual_lshlrev_b32 v2, 2, v1
	s_mulk_i32 s18, 0xe800
	s_delay_alu instid0(SALU_CYCLE_1) | instskip(SKIP_1) | instid1(VALU_DEP_1)
	s_add_co_i32 s18, s18, s3
	s_mov_b32 s3, exec_lo
	v_add_nc_u64_e32 v[2:3], v[6:7], v[2:3]
	v_cmpx_gt_u32_e64 s18, v4
	s_cbranch_execz .LBB858_7
; %bb.6:
	global_load_b32 v5, v[2:3], off
	s_wait_loadcnt 0x0
	v_xor_b32_e32 v17, 0x7fffffff, v5
.LBB858_7:
	s_or_b32 exec_lo, exec_lo, s3
	v_or_b32_e32 v5, 32, v4
	s_mov_b32 s3, exec_lo
	s_delay_alu instid0(VALU_DEP_1)
	v_cmpx_gt_u32_e64 s18, v5
	s_cbranch_execz .LBB858_9
; %bb.8:
	global_load_b32 v1, v[2:3], off offset:128
	s_wait_loadcnt 0x0
	v_xor_b32_e32 v1, 0x7fffffff, v1
.LBB858_9:
	s_or_b32 exec_lo, exec_lo, s3
	v_dual_mov_b32 v18, -1 :: v_dual_bitop2_b32 v5, 64, v4 bitop3:0x54
	v_mov_b32_e32 v19, -1
	s_mov_b32 s3, exec_lo
	s_delay_alu instid0(VALU_DEP_2)
	v_cmpx_gt_u32_e64 s18, v5
	s_cbranch_execz .LBB858_11
; %bb.10:
	global_load_b32 v5, v[2:3], off offset:256
	s_wait_loadcnt 0x0
	v_xor_b32_e32 v19, 0x7fffffff, v5
.LBB858_11:
	s_or_b32 exec_lo, exec_lo, s3
	v_or_b32_e32 v5, 0x60, v4
	s_mov_b32 s3, exec_lo
	s_delay_alu instid0(VALU_DEP_1)
	v_cmpx_gt_u32_e64 s18, v5
	s_cbranch_execz .LBB858_13
; %bb.12:
	global_load_b32 v5, v[2:3], off offset:384
	s_wait_loadcnt 0x0
	v_xor_b32_e32 v18, 0x7fffffff, v5
.LBB858_13:
	s_or_b32 exec_lo, exec_lo, s3
	v_dual_mov_b32 v20, -1 :: v_dual_add_nc_u32 v5, 0x80, v4
	v_mov_b32_e32 v21, -1
	s_mov_b32 s3, exec_lo
	s_delay_alu instid0(VALU_DEP_2)
	v_cmpx_gt_u32_e64 s18, v5
	s_cbranch_execz .LBB858_15
; %bb.14:
	global_load_b32 v5, v[2:3], off offset:512
	s_wait_loadcnt 0x0
	v_xor_b32_e32 v21, 0x7fffffff, v5
.LBB858_15:
	s_or_b32 exec_lo, exec_lo, s3
	v_add_nc_u32_e32 v5, 0xa0, v4
	s_mov_b32 s3, exec_lo
	s_delay_alu instid0(VALU_DEP_1)
	v_cmpx_gt_u32_e64 s18, v5
	s_cbranch_execz .LBB858_17
; %bb.16:
	global_load_b32 v5, v[2:3], off offset:640
	s_wait_loadcnt 0x0
	v_xor_b32_e32 v20, 0x7fffffff, v5
.LBB858_17:
	s_or_b32 exec_lo, exec_lo, s3
	v_dual_mov_b32 v22, -1 :: v_dual_add_nc_u32 v5, 0xc0, v4
	v_mov_b32_e32 v23, -1
	s_mov_b32 s3, exec_lo
	s_delay_alu instid0(VALU_DEP_2)
	v_cmpx_gt_u32_e64 s18, v5
	s_cbranch_execz .LBB858_19
; %bb.18:
	global_load_b32 v5, v[2:3], off offset:768
	s_wait_loadcnt 0x0
	v_xor_b32_e32 v23, 0x7fffffff, v5
.LBB858_19:
	s_or_b32 exec_lo, exec_lo, s3
	v_add_nc_u32_e32 v5, 0xe0, v4
	;; [unrolled: 23-line block ×4, first 2 shown]
	s_mov_b32 s3, exec_lo
	s_delay_alu instid0(VALU_DEP_1)
	v_cmpx_gt_u32_e64 s18, v4
	s_cbranch_execz .LBB858_29
; %bb.28:
	global_load_b32 v2, v[2:3], off offset:1408
	s_wait_loadcnt 0x0
	v_xor_b32_e32 v26, 0x7fffffff, v2
.LBB858_29:
	s_or_b32 exec_lo, exec_lo, s3
	s_clause 0x1
	s_load_b32 s23, s[0:1], 0x58
	s_load_u16 s3, s[0:1], 0x66
	s_bfe_u32 s4, ttmp6, 0x4000c
	s_and_b32 s5, ttmp6, 15
	s_add_co_i32 s4, s4, 1
	v_bfe_u32 v2, v0, 10, 10
	s_mul_i32 s4, ttmp9, s4
	v_bfe_u32 v3, v0, 20, 10
	s_add_co_i32 s5, s5, s4
	s_cmp_eq_u32 s7, 0
	v_lshrrev_b32_e32 v4, s16, v17
	s_cselect_b32 s4, ttmp9, s5
	s_mov_b32 s5, 0
	s_wait_kmcnt 0x0
	s_cmp_lt_u32 s4, s23
	v_mad_u32_u24 v2, v3, s3, v2
	s_cselect_b32 s4, 12, 18
	s_lshl_b32 s26, -1, s17
	s_add_nc_u64 s[4:5], s[24:25], s[4:5]
	v_bitop3_b32 v3, v4, 1, s26 bitop3:0x40
	s_load_u16 s27, s[4:5], 0x0
	s_delay_alu instid0(VALU_DEP_1) | instskip(NEXT) | instid1(VALU_DEP_1)
	v_add_co_u32 v3, s3, v3, -1
	v_cndmask_b32_e64 v5, 0, 1, s3
	s_delay_alu instid0(VALU_DEP_1) | instskip(NEXT) | instid1(VALU_DEP_3)
	v_cmp_ne_u32_e32 vcc_lo, 0, v5
	v_xor_b32_e32 v3, vcc_lo, v3
	v_bitop3_b32 v4, v4, s26, v4 bitop3:0x30
	s_not_b32 s26, s26
	s_wait_kmcnt 0x0
	v_mad_u32 v2, v2, s27, v14
	s_delay_alu instid0(VALU_DEP_2) | instskip(SKIP_2) | instid1(VALU_DEP_3)
	v_dual_lshlrev_b32 v6, 30, v4 :: v_dual_lshlrev_b32 v7, 29, v4
	v_dual_lshlrev_b32 v8, 28, v4 :: v_dual_lshlrev_b32 v9, 27, v4
	;; [unrolled: 1-line block ×3, first 2 shown]
	v_not_b32_e32 v5, v6
	v_lshlrev_b32_e32 v12, 24, v4
	v_cmp_gt_i32_e64 s3, 0, v6
	v_cmp_gt_i32_e64 s4, 0, v7
	v_not_b32_e32 v6, v7
	v_not_b32_e32 v7, v8
	v_ashrrev_i32_e32 v5, 31, v5
	v_cmp_gt_i32_e64 s5, 0, v8
	v_cmp_gt_i32_e64 s6, 0, v9
	s_delay_alu instid0(VALU_DEP_4) | instskip(NEXT) | instid1(VALU_DEP_4)
	v_dual_ashrrev_i32 v6, 31, v6 :: v_dual_ashrrev_i32 v7, 31, v7
	v_xor_b32_e32 v5, s3, v5
	v_not_b32_e32 v8, v9
	v_not_b32_e32 v9, v10
	s_delay_alu instid0(VALU_DEP_4)
	v_xor_b32_e32 v6, s4, v6
	v_xor_b32_e32 v7, s5, v7
	v_bitop3_b32 v3, v3, v5, exec_lo bitop3:0x80
	v_cmp_gt_i32_e32 vcc_lo, 0, v10
	v_dual_ashrrev_i32 v5, 31, v8 :: v_dual_ashrrev_i32 v8, 31, v9
	v_not_b32_e32 v9, v11
	s_delay_alu instid0(VALU_DEP_4) | instskip(SKIP_1) | instid1(VALU_DEP_4)
	v_bitop3_b32 v3, v3, v7, v6 bitop3:0x80
	v_not_b32_e32 v6, v12
	v_dual_lshrrev_b32 v2, 5, v2 :: v_dual_bitop2_b32 v5, s6, v5 bitop3:0x14
	s_delay_alu instid0(VALU_DEP_4) | instskip(SKIP_3) | instid1(VALU_DEP_4)
	v_dual_ashrrev_i32 v8, 31, v9 :: v_dual_bitop2_b32 v7, vcc_lo, v8 bitop3:0x14
	v_cmp_gt_i32_e32 vcc_lo, 0, v11
	v_cmp_gt_i32_e64 s3, 0, v12
	v_ashrrev_i32_e32 v6, 31, v6
	v_bitop3_b32 v3, v3, v7, v5 bitop3:0x80
	v_dual_mov_b32 v7, 0 :: v_dual_bitop2_b32 v5, vcc_lo, v8 bitop3:0x14
	v_lshlrev_b32_e32 v2, 2, v2
	s_delay_alu instid0(VALU_DEP_4)
	v_xor_b32_e32 v6, s3, v6
	v_mul_u32_u24_e32 v10, 36, v14
	ds_store_2addr_b32 v10, v7, v7 offset0:16 offset1:17
	ds_store_2addr_b32 v10, v7, v7 offset0:18 offset1:19
	;; [unrolled: 1-line block ×4, first 2 shown]
	v_bitop3_b32 v3, v3, v6, v5 bitop3:0x80
	v_mad_u32 v11, 0x44, v4, v2
	ds_store_b32 v10, v7 offset:96
	s_wait_dscnt 0x0
	s_barrier_signal -1
	v_mbcnt_lo_u32_b32 v28, v3, 0
	v_cmp_ne_u32_e64 s3, 0, v3
	s_barrier_wait -1
	s_delay_alu instid0(VALU_DEP_2) | instskip(SKIP_1) | instid1(SALU_CYCLE_1)
	v_cmp_eq_u32_e32 vcc_lo, 0, v28
	; wave barrier
	s_and_b32 s4, s3, vcc_lo
	s_and_saveexec_b32 s3, s4
; %bb.30:
	v_bcnt_u32_b32 v3, v3, 0
	ds_store_b32 v11, v3 offset:64
; %bb.31:
	s_or_b32 exec_lo, exec_lo, s3
	v_lshrrev_b32_e32 v3, s16, v1
	; wave barrier
	s_delay_alu instid0(VALU_DEP_1) | instskip(NEXT) | instid1(VALU_DEP_1)
	v_and_b32_e32 v4, s26, v3
	v_lshlrev_b32_e32 v6, 30, v4
	v_bitop3_b32 v3, v3, 1, s26 bitop3:0x80
	s_delay_alu instid0(VALU_DEP_1) | instskip(NEXT) | instid1(VALU_DEP_1)
	v_add_co_u32 v3, s3, v3, -1
	v_cndmask_b32_e64 v5, 0, 1, s3
	s_delay_alu instid0(VALU_DEP_4) | instskip(NEXT) | instid1(VALU_DEP_2)
	v_cmp_gt_i32_e64 s3, 0, v6
	v_cmp_ne_u32_e32 vcc_lo, 0, v5
	v_not_b32_e32 v5, v6
	s_delay_alu instid0(VALU_DEP_1) | instskip(SKIP_3) | instid1(VALU_DEP_4)
	v_dual_ashrrev_i32 v5, 31, v5 :: v_dual_lshlrev_b32 v7, 29, v4
	v_dual_lshlrev_b32 v8, 28, v4 :: v_dual_lshlrev_b32 v9, 27, v4
	v_lshlrev_b32_e32 v13, 26, v4
	v_mad_u32 v12, 0x44, v4, v2
	v_cmp_gt_i32_e64 s4, 0, v7
	v_not_b32_e32 v6, v7
	v_not_b32_e32 v7, v8
	v_cmp_gt_i32_e64 s5, 0, v8
	v_xor_b32_e32 v3, vcc_lo, v3
	s_delay_alu instid0(VALU_DEP_4) | instskip(NEXT) | instid1(VALU_DEP_4)
	v_dual_ashrrev_i32 v6, 31, v6 :: v_dual_bitop2_b32 v5, s3, v5 bitop3:0x14
	v_dual_ashrrev_i32 v7, 31, v7 :: v_dual_lshlrev_b32 v29, 25, v4
	v_lshlrev_b32_e32 v4, 24, v4
	v_not_b32_e32 v8, v9
	v_not_b32_e32 v30, v13
	v_xor_b32_e32 v6, s4, v6
	v_xor_b32_e32 v7, s5, v7
	v_bitop3_b32 v3, v3, v5, exec_lo bitop3:0x80
	v_cmp_gt_i32_e32 vcc_lo, 0, v9
	v_ashrrev_i32_e32 v5, 31, v8
	v_cmp_gt_i32_e64 s3, 0, v13
	v_ashrrev_i32_e32 v8, 31, v30
	v_bitop3_b32 v3, v3, v7, v6 bitop3:0x80
	v_not_b32_e32 v6, v29
	v_not_b32_e32 v7, v4
	v_xor_b32_e32 v5, vcc_lo, v5
	v_xor_b32_e32 v8, s3, v8
	v_cmp_gt_i32_e32 vcc_lo, 0, v29
	v_ashrrev_i32_e32 v6, 31, v6
	v_cmp_gt_i32_e64 s3, 0, v4
	v_ashrrev_i32_e32 v4, 31, v7
	v_bitop3_b32 v3, v3, v8, v5 bitop3:0x80
	ds_load_b32 v29, v12 offset:64
	v_xor_b32_e32 v5, vcc_lo, v6
	v_xor_b32_e32 v4, s3, v4
	; wave barrier
	s_delay_alu instid0(VALU_DEP_1) | instskip(NEXT) | instid1(VALU_DEP_1)
	v_bitop3_b32 v3, v3, v4, v5 bitop3:0x80
	v_mbcnt_lo_u32_b32 v30, v3, 0
	v_cmp_ne_u32_e64 s3, 0, v3
	s_delay_alu instid0(VALU_DEP_2) | instskip(SKIP_1) | instid1(SALU_CYCLE_1)
	v_cmp_eq_u32_e32 vcc_lo, 0, v30
	s_and_b32 s4, s3, vcc_lo
	s_and_saveexec_b32 s3, s4
	s_cbranch_execz .LBB858_33
; %bb.32:
	s_wait_dscnt 0x0
	v_bcnt_u32_b32 v3, v3, v29
	ds_store_b32 v12, v3 offset:64
.LBB858_33:
	s_or_b32 exec_lo, exec_lo, s3
	v_lshrrev_b32_e32 v3, s16, v19
	; wave barrier
	s_delay_alu instid0(VALU_DEP_1) | instskip(NEXT) | instid1(VALU_DEP_1)
	v_and_b32_e32 v4, s26, v3
	v_lshlrev_b32_e32 v6, 30, v4
	v_bitop3_b32 v3, v3, 1, s26 bitop3:0x80
	s_delay_alu instid0(VALU_DEP_1) | instskip(NEXT) | instid1(VALU_DEP_1)
	v_add_co_u32 v3, s3, v3, -1
	v_cndmask_b32_e64 v5, 0, 1, s3
	s_delay_alu instid0(VALU_DEP_4) | instskip(NEXT) | instid1(VALU_DEP_2)
	v_cmp_gt_i32_e64 s3, 0, v6
	v_cmp_ne_u32_e32 vcc_lo, 0, v5
	v_not_b32_e32 v5, v6
	s_delay_alu instid0(VALU_DEP_1) | instskip(SKIP_3) | instid1(VALU_DEP_4)
	v_dual_ashrrev_i32 v5, 31, v5 :: v_dual_lshlrev_b32 v7, 29, v4
	v_dual_lshlrev_b32 v8, 28, v4 :: v_dual_lshlrev_b32 v9, 27, v4
	v_lshlrev_b32_e32 v31, 26, v4
	v_mad_u32 v13, 0x44, v4, v2
	v_cmp_gt_i32_e64 s4, 0, v7
	v_not_b32_e32 v6, v7
	v_not_b32_e32 v7, v8
	v_cmp_gt_i32_e64 s5, 0, v8
	v_xor_b32_e32 v3, vcc_lo, v3
	s_delay_alu instid0(VALU_DEP_4) | instskip(NEXT) | instid1(VALU_DEP_4)
	v_dual_ashrrev_i32 v6, 31, v6 :: v_dual_bitop2_b32 v5, s3, v5 bitop3:0x14
	v_dual_ashrrev_i32 v7, 31, v7 :: v_dual_lshlrev_b32 v32, 25, v4
	v_lshlrev_b32_e32 v4, 24, v4
	v_not_b32_e32 v8, v9
	v_not_b32_e32 v33, v31
	v_xor_b32_e32 v6, s4, v6
	v_xor_b32_e32 v7, s5, v7
	v_bitop3_b32 v3, v3, v5, exec_lo bitop3:0x80
	v_cmp_gt_i32_e32 vcc_lo, 0, v9
	v_ashrrev_i32_e32 v5, 31, v8
	v_cmp_gt_i32_e64 s3, 0, v31
	v_ashrrev_i32_e32 v8, 31, v33
	v_bitop3_b32 v3, v3, v7, v6 bitop3:0x80
	v_not_b32_e32 v6, v32
	v_not_b32_e32 v7, v4
	v_xor_b32_e32 v5, vcc_lo, v5
	v_xor_b32_e32 v8, s3, v8
	v_cmp_gt_i32_e32 vcc_lo, 0, v32
	v_ashrrev_i32_e32 v6, 31, v6
	v_cmp_gt_i32_e64 s3, 0, v4
	v_ashrrev_i32_e32 v4, 31, v7
	v_bitop3_b32 v3, v3, v8, v5 bitop3:0x80
	ds_load_b32 v31, v13 offset:64
	v_xor_b32_e32 v5, vcc_lo, v6
	v_xor_b32_e32 v4, s3, v4
	; wave barrier
	s_delay_alu instid0(VALU_DEP_1) | instskip(NEXT) | instid1(VALU_DEP_1)
	v_bitop3_b32 v3, v3, v4, v5 bitop3:0x80
	v_mbcnt_lo_u32_b32 v32, v3, 0
	v_cmp_ne_u32_e64 s3, 0, v3
	s_delay_alu instid0(VALU_DEP_2) | instskip(SKIP_1) | instid1(SALU_CYCLE_1)
	v_cmp_eq_u32_e32 vcc_lo, 0, v32
	s_and_b32 s4, s3, vcc_lo
	s_and_saveexec_b32 s3, s4
	s_cbranch_execz .LBB858_35
; %bb.34:
	s_wait_dscnt 0x0
	v_bcnt_u32_b32 v3, v3, v31
	ds_store_b32 v13, v3 offset:64
.LBB858_35:
	s_or_b32 exec_lo, exec_lo, s3
	v_lshrrev_b32_e32 v3, s16, v18
	; wave barrier
	s_delay_alu instid0(VALU_DEP_1) | instskip(NEXT) | instid1(VALU_DEP_1)
	v_and_b32_e32 v4, s26, v3
	v_lshlrev_b32_e32 v6, 30, v4
	v_bitop3_b32 v3, v3, 1, s26 bitop3:0x80
	s_delay_alu instid0(VALU_DEP_1) | instskip(NEXT) | instid1(VALU_DEP_1)
	v_add_co_u32 v3, s3, v3, -1
	v_cndmask_b32_e64 v5, 0, 1, s3
	s_delay_alu instid0(VALU_DEP_4) | instskip(NEXT) | instid1(VALU_DEP_2)
	v_cmp_gt_i32_e64 s3, 0, v6
	v_cmp_ne_u32_e32 vcc_lo, 0, v5
	v_not_b32_e32 v5, v6
	s_delay_alu instid0(VALU_DEP_1) | instskip(SKIP_3) | instid1(VALU_DEP_4)
	v_dual_ashrrev_i32 v5, 31, v5 :: v_dual_lshlrev_b32 v7, 29, v4
	v_dual_lshlrev_b32 v8, 28, v4 :: v_dual_lshlrev_b32 v9, 27, v4
	v_lshlrev_b32_e32 v33, 26, v4
	v_mad_u32 v37, 0x44, v4, v2
	v_cmp_gt_i32_e64 s4, 0, v7
	v_not_b32_e32 v6, v7
	v_not_b32_e32 v7, v8
	v_cmp_gt_i32_e64 s5, 0, v8
	v_xor_b32_e32 v3, vcc_lo, v3
	s_delay_alu instid0(VALU_DEP_4) | instskip(NEXT) | instid1(VALU_DEP_4)
	v_dual_ashrrev_i32 v6, 31, v6 :: v_dual_bitop2_b32 v5, s3, v5 bitop3:0x14
	v_dual_ashrrev_i32 v7, 31, v7 :: v_dual_lshlrev_b32 v34, 25, v4
	v_lshlrev_b32_e32 v4, 24, v4
	v_not_b32_e32 v8, v9
	v_not_b32_e32 v35, v33
	v_xor_b32_e32 v6, s4, v6
	v_xor_b32_e32 v7, s5, v7
	v_bitop3_b32 v3, v3, v5, exec_lo bitop3:0x80
	v_cmp_gt_i32_e32 vcc_lo, 0, v9
	v_ashrrev_i32_e32 v5, 31, v8
	v_cmp_gt_i32_e64 s3, 0, v33
	v_ashrrev_i32_e32 v8, 31, v35
	v_bitop3_b32 v3, v3, v7, v6 bitop3:0x80
	v_not_b32_e32 v6, v34
	v_not_b32_e32 v7, v4
	v_xor_b32_e32 v5, vcc_lo, v5
	v_xor_b32_e32 v8, s3, v8
	v_cmp_gt_i32_e32 vcc_lo, 0, v34
	v_ashrrev_i32_e32 v6, 31, v6
	v_cmp_gt_i32_e64 s3, 0, v4
	v_ashrrev_i32_e32 v4, 31, v7
	v_bitop3_b32 v3, v3, v8, v5 bitop3:0x80
	ds_load_b32 v33, v37 offset:64
	v_xor_b32_e32 v5, vcc_lo, v6
	v_xor_b32_e32 v4, s3, v4
	; wave barrier
	s_delay_alu instid0(VALU_DEP_1) | instskip(NEXT) | instid1(VALU_DEP_1)
	v_bitop3_b32 v3, v3, v4, v5 bitop3:0x80
	v_mbcnt_lo_u32_b32 v34, v3, 0
	v_cmp_ne_u32_e64 s3, 0, v3
	s_delay_alu instid0(VALU_DEP_2) | instskip(SKIP_1) | instid1(SALU_CYCLE_1)
	v_cmp_eq_u32_e32 vcc_lo, 0, v34
	s_and_b32 s4, s3, vcc_lo
	s_and_saveexec_b32 s3, s4
	s_cbranch_execz .LBB858_37
; %bb.36:
	s_wait_dscnt 0x0
	v_bcnt_u32_b32 v3, v3, v33
	ds_store_b32 v37, v3 offset:64
.LBB858_37:
	s_or_b32 exec_lo, exec_lo, s3
	v_lshrrev_b32_e32 v3, s16, v21
	; wave barrier
	s_delay_alu instid0(VALU_DEP_1) | instskip(NEXT) | instid1(VALU_DEP_1)
	v_and_b32_e32 v4, s26, v3
	v_lshlrev_b32_e32 v6, 30, v4
	v_bitop3_b32 v3, v3, 1, s26 bitop3:0x80
	s_delay_alu instid0(VALU_DEP_1) | instskip(NEXT) | instid1(VALU_DEP_1)
	v_add_co_u32 v3, s3, v3, -1
	v_cndmask_b32_e64 v5, 0, 1, s3
	s_delay_alu instid0(VALU_DEP_4) | instskip(NEXT) | instid1(VALU_DEP_2)
	v_cmp_gt_i32_e64 s3, 0, v6
	v_cmp_ne_u32_e32 vcc_lo, 0, v5
	v_not_b32_e32 v5, v6
	s_delay_alu instid0(VALU_DEP_1) | instskip(SKIP_3) | instid1(VALU_DEP_4)
	v_dual_ashrrev_i32 v5, 31, v5 :: v_dual_lshlrev_b32 v7, 29, v4
	v_dual_lshlrev_b32 v8, 28, v4 :: v_dual_lshlrev_b32 v9, 27, v4
	v_lshlrev_b32_e32 v35, 26, v4
	v_mad_u32 v40, 0x44, v4, v2
	v_cmp_gt_i32_e64 s4, 0, v7
	v_not_b32_e32 v6, v7
	v_not_b32_e32 v7, v8
	v_cmp_gt_i32_e64 s5, 0, v8
	v_xor_b32_e32 v3, vcc_lo, v3
	s_delay_alu instid0(VALU_DEP_4) | instskip(NEXT) | instid1(VALU_DEP_4)
	v_dual_ashrrev_i32 v6, 31, v6 :: v_dual_bitop2_b32 v5, s3, v5 bitop3:0x14
	v_dual_ashrrev_i32 v7, 31, v7 :: v_dual_lshlrev_b32 v36, 25, v4
	v_lshlrev_b32_e32 v4, 24, v4
	v_not_b32_e32 v8, v9
	v_not_b32_e32 v38, v35
	v_xor_b32_e32 v6, s4, v6
	v_xor_b32_e32 v7, s5, v7
	v_bitop3_b32 v3, v3, v5, exec_lo bitop3:0x80
	v_cmp_gt_i32_e32 vcc_lo, 0, v9
	v_ashrrev_i32_e32 v5, 31, v8
	v_cmp_gt_i32_e64 s3, 0, v35
	v_ashrrev_i32_e32 v8, 31, v38
	v_bitop3_b32 v3, v3, v7, v6 bitop3:0x80
	v_not_b32_e32 v6, v36
	v_not_b32_e32 v7, v4
	v_xor_b32_e32 v5, vcc_lo, v5
	v_xor_b32_e32 v8, s3, v8
	v_cmp_gt_i32_e32 vcc_lo, 0, v36
	v_ashrrev_i32_e32 v6, 31, v6
	v_cmp_gt_i32_e64 s3, 0, v4
	v_ashrrev_i32_e32 v4, 31, v7
	v_bitop3_b32 v3, v3, v8, v5 bitop3:0x80
	ds_load_b32 v35, v40 offset:64
	v_xor_b32_e32 v5, vcc_lo, v6
	v_xor_b32_e32 v4, s3, v4
	; wave barrier
	s_delay_alu instid0(VALU_DEP_1) | instskip(NEXT) | instid1(VALU_DEP_1)
	v_bitop3_b32 v3, v3, v4, v5 bitop3:0x80
	v_mbcnt_lo_u32_b32 v36, v3, 0
	v_cmp_ne_u32_e64 s3, 0, v3
	s_delay_alu instid0(VALU_DEP_2) | instskip(SKIP_1) | instid1(SALU_CYCLE_1)
	v_cmp_eq_u32_e32 vcc_lo, 0, v36
	s_and_b32 s4, s3, vcc_lo
	s_and_saveexec_b32 s3, s4
	s_cbranch_execz .LBB858_39
; %bb.38:
	s_wait_dscnt 0x0
	v_bcnt_u32_b32 v3, v3, v35
	ds_store_b32 v40, v3 offset:64
.LBB858_39:
	s_or_b32 exec_lo, exec_lo, s3
	v_lshrrev_b32_e32 v3, s16, v20
	; wave barrier
	s_delay_alu instid0(VALU_DEP_1) | instskip(SKIP_1) | instid1(VALU_DEP_2)
	v_and_b32_e32 v4, s26, v3
	v_bitop3_b32 v3, v3, 1, s26 bitop3:0x80
	v_dual_lshlrev_b32 v6, 30, v4 :: v_dual_lshlrev_b32 v7, 29, v4
	s_delay_alu instid0(VALU_DEP_2) | instskip(NEXT) | instid1(VALU_DEP_1)
	v_add_co_u32 v3, s3, v3, -1
	v_cndmask_b32_e64 v5, 0, 1, s3
	s_delay_alu instid0(VALU_DEP_3) | instskip(NEXT) | instid1(VALU_DEP_4)
	v_cmp_gt_i32_e64 s3, 0, v6
	v_cmp_gt_i32_e64 s4, 0, v7
	s_delay_alu instid0(VALU_DEP_3) | instskip(SKIP_2) | instid1(VALU_DEP_2)
	v_cmp_ne_u32_e32 vcc_lo, 0, v5
	v_not_b32_e32 v5, v6
	v_not_b32_e32 v6, v7
	v_dual_ashrrev_i32 v5, 31, v5 :: v_dual_bitop2_b32 v3, vcc_lo, v3 bitop3:0x14
	s_delay_alu instid0(VALU_DEP_2) | instskip(SKIP_3) | instid1(VALU_DEP_4)
	v_dual_ashrrev_i32 v6, 31, v6 :: v_dual_lshlrev_b32 v8, 28, v4
	v_lshlrev_b32_e32 v9, 27, v4
	v_mad_u32 v43, 0x44, v4, v2
	v_dual_lshlrev_b32 v38, 26, v4 :: v_dual_lshlrev_b32 v39, 25, v4
	v_not_b32_e32 v7, v8
	v_lshlrev_b32_e32 v4, 24, v4
	v_cmp_gt_i32_e64 s5, 0, v8
	v_xor_b32_e32 v5, s3, v5
	v_not_b32_e32 v8, v9
	v_ashrrev_i32_e32 v7, 31, v7
	v_not_b32_e32 v41, v38
	v_xor_b32_e32 v6, s4, v6
	v_bitop3_b32 v3, v3, v5, exec_lo bitop3:0x80
	v_cmp_gt_i32_e32 vcc_lo, 0, v9
	v_dual_ashrrev_i32 v5, 31, v8 :: v_dual_bitop2_b32 v7, s5, v7 bitop3:0x14
	v_cmp_gt_i32_e64 s3, 0, v38
	v_ashrrev_i32_e32 v8, 31, v41
	ds_load_b32 v38, v43 offset:64
	v_bitop3_b32 v3, v3, v7, v6 bitop3:0x80
	v_not_b32_e32 v6, v39
	v_not_b32_e32 v7, v4
	v_xor_b32_e32 v5, vcc_lo, v5
	v_xor_b32_e32 v8, s3, v8
	v_cmp_gt_i32_e32 vcc_lo, 0, v39
	v_ashrrev_i32_e32 v6, 31, v6
	v_cmp_gt_i32_e64 s3, 0, v4
	v_ashrrev_i32_e32 v4, 31, v7
	v_bitop3_b32 v3, v3, v8, v5 bitop3:0x80
	s_delay_alu instid0(VALU_DEP_4) | instskip(NEXT) | instid1(VALU_DEP_3)
	v_xor_b32_e32 v5, vcc_lo, v6
	; wave barrier
	v_xor_b32_e32 v4, s3, v4
	s_delay_alu instid0(VALU_DEP_1) | instskip(NEXT) | instid1(VALU_DEP_1)
	v_bitop3_b32 v3, v3, v4, v5 bitop3:0x80
	v_mbcnt_lo_u32_b32 v39, v3, 0
	v_cmp_ne_u32_e64 s3, 0, v3
	s_delay_alu instid0(VALU_DEP_2) | instskip(SKIP_1) | instid1(SALU_CYCLE_1)
	v_cmp_eq_u32_e32 vcc_lo, 0, v39
	s_and_b32 s4, s3, vcc_lo
	s_and_saveexec_b32 s3, s4
	s_cbranch_execz .LBB858_41
; %bb.40:
	s_wait_dscnt 0x0
	v_bcnt_u32_b32 v3, v3, v38
	ds_store_b32 v43, v3 offset:64
.LBB858_41:
	s_or_b32 exec_lo, exec_lo, s3
	v_lshrrev_b32_e32 v3, s16, v23
	; wave barrier
	s_delay_alu instid0(VALU_DEP_1) | instskip(NEXT) | instid1(VALU_DEP_1)
	v_and_b32_e32 v4, s26, v3
	v_lshlrev_b32_e32 v6, 30, v4
	v_bitop3_b32 v3, v3, 1, s26 bitop3:0x80
	s_delay_alu instid0(VALU_DEP_1) | instskip(NEXT) | instid1(VALU_DEP_1)
	v_add_co_u32 v3, s3, v3, -1
	v_cndmask_b32_e64 v5, 0, 1, s3
	s_delay_alu instid0(VALU_DEP_4) | instskip(NEXT) | instid1(VALU_DEP_2)
	v_cmp_gt_i32_e64 s3, 0, v6
	v_cmp_ne_u32_e32 vcc_lo, 0, v5
	v_not_b32_e32 v5, v6
	s_delay_alu instid0(VALU_DEP_1) | instskip(SKIP_3) | instid1(VALU_DEP_4)
	v_dual_ashrrev_i32 v5, 31, v5 :: v_dual_lshlrev_b32 v7, 29, v4
	v_dual_lshlrev_b32 v8, 28, v4 :: v_dual_lshlrev_b32 v9, 27, v4
	v_lshlrev_b32_e32 v41, 26, v4
	v_mad_u32 v46, 0x44, v4, v2
	v_cmp_gt_i32_e64 s4, 0, v7
	v_not_b32_e32 v6, v7
	v_not_b32_e32 v7, v8
	v_cmp_gt_i32_e64 s5, 0, v8
	v_xor_b32_e32 v3, vcc_lo, v3
	s_delay_alu instid0(VALU_DEP_4) | instskip(NEXT) | instid1(VALU_DEP_4)
	v_dual_ashrrev_i32 v6, 31, v6 :: v_dual_bitop2_b32 v5, s3, v5 bitop3:0x14
	v_dual_ashrrev_i32 v7, 31, v7 :: v_dual_lshlrev_b32 v42, 25, v4
	v_lshlrev_b32_e32 v4, 24, v4
	v_not_b32_e32 v8, v9
	v_not_b32_e32 v44, v41
	v_xor_b32_e32 v6, s4, v6
	v_xor_b32_e32 v7, s5, v7
	v_bitop3_b32 v3, v3, v5, exec_lo bitop3:0x80
	v_cmp_gt_i32_e32 vcc_lo, 0, v9
	v_ashrrev_i32_e32 v5, 31, v8
	v_cmp_gt_i32_e64 s3, 0, v41
	v_ashrrev_i32_e32 v8, 31, v44
	v_bitop3_b32 v3, v3, v7, v6 bitop3:0x80
	v_not_b32_e32 v6, v42
	v_not_b32_e32 v7, v4
	v_xor_b32_e32 v5, vcc_lo, v5
	v_xor_b32_e32 v8, s3, v8
	v_cmp_gt_i32_e32 vcc_lo, 0, v42
	v_ashrrev_i32_e32 v6, 31, v6
	v_cmp_gt_i32_e64 s3, 0, v4
	v_ashrrev_i32_e32 v4, 31, v7
	v_bitop3_b32 v3, v3, v8, v5 bitop3:0x80
	ds_load_b32 v41, v46 offset:64
	v_xor_b32_e32 v5, vcc_lo, v6
	v_xor_b32_e32 v4, s3, v4
	; wave barrier
	s_delay_alu instid0(VALU_DEP_1) | instskip(NEXT) | instid1(VALU_DEP_1)
	v_bitop3_b32 v3, v3, v4, v5 bitop3:0x80
	v_mbcnt_lo_u32_b32 v42, v3, 0
	v_cmp_ne_u32_e64 s3, 0, v3
	s_delay_alu instid0(VALU_DEP_2) | instskip(SKIP_1) | instid1(SALU_CYCLE_1)
	v_cmp_eq_u32_e32 vcc_lo, 0, v42
	s_and_b32 s4, s3, vcc_lo
	s_and_saveexec_b32 s3, s4
	s_cbranch_execz .LBB858_43
; %bb.42:
	s_wait_dscnt 0x0
	v_bcnt_u32_b32 v3, v3, v41
	ds_store_b32 v46, v3 offset:64
.LBB858_43:
	s_or_b32 exec_lo, exec_lo, s3
	v_lshrrev_b32_e32 v3, s16, v22
	; wave barrier
	s_delay_alu instid0(VALU_DEP_1) | instskip(NEXT) | instid1(VALU_DEP_1)
	v_and_b32_e32 v4, s26, v3
	v_lshlrev_b32_e32 v6, 30, v4
	v_bitop3_b32 v3, v3, 1, s26 bitop3:0x80
	s_delay_alu instid0(VALU_DEP_1) | instskip(NEXT) | instid1(VALU_DEP_1)
	v_add_co_u32 v3, s3, v3, -1
	v_cndmask_b32_e64 v5, 0, 1, s3
	s_delay_alu instid0(VALU_DEP_4) | instskip(NEXT) | instid1(VALU_DEP_2)
	v_cmp_gt_i32_e64 s3, 0, v6
	v_cmp_ne_u32_e32 vcc_lo, 0, v5
	v_not_b32_e32 v5, v6
	s_delay_alu instid0(VALU_DEP_1) | instskip(SKIP_3) | instid1(VALU_DEP_4)
	v_dual_ashrrev_i32 v5, 31, v5 :: v_dual_lshlrev_b32 v7, 29, v4
	v_dual_lshlrev_b32 v8, 28, v4 :: v_dual_lshlrev_b32 v9, 27, v4
	v_lshlrev_b32_e32 v44, 26, v4
	v_mad_u32 v49, 0x44, v4, v2
	v_cmp_gt_i32_e64 s4, 0, v7
	v_not_b32_e32 v6, v7
	v_not_b32_e32 v7, v8
	v_cmp_gt_i32_e64 s5, 0, v8
	v_xor_b32_e32 v3, vcc_lo, v3
	s_delay_alu instid0(VALU_DEP_4) | instskip(NEXT) | instid1(VALU_DEP_4)
	v_dual_ashrrev_i32 v6, 31, v6 :: v_dual_bitop2_b32 v5, s3, v5 bitop3:0x14
	v_dual_ashrrev_i32 v7, 31, v7 :: v_dual_lshlrev_b32 v45, 25, v4
	v_lshlrev_b32_e32 v4, 24, v4
	v_not_b32_e32 v8, v9
	v_not_b32_e32 v47, v44
	v_xor_b32_e32 v6, s4, v6
	v_xor_b32_e32 v7, s5, v7
	v_bitop3_b32 v3, v3, v5, exec_lo bitop3:0x80
	v_cmp_gt_i32_e32 vcc_lo, 0, v9
	v_ashrrev_i32_e32 v5, 31, v8
	v_cmp_gt_i32_e64 s3, 0, v44
	v_ashrrev_i32_e32 v8, 31, v47
	v_bitop3_b32 v3, v3, v7, v6 bitop3:0x80
	v_not_b32_e32 v6, v45
	v_not_b32_e32 v7, v4
	v_xor_b32_e32 v5, vcc_lo, v5
	v_xor_b32_e32 v8, s3, v8
	v_cmp_gt_i32_e32 vcc_lo, 0, v45
	v_ashrrev_i32_e32 v6, 31, v6
	v_cmp_gt_i32_e64 s3, 0, v4
	v_ashrrev_i32_e32 v4, 31, v7
	v_bitop3_b32 v3, v3, v8, v5 bitop3:0x80
	ds_load_b32 v44, v49 offset:64
	v_xor_b32_e32 v5, vcc_lo, v6
	v_xor_b32_e32 v4, s3, v4
	; wave barrier
	s_delay_alu instid0(VALU_DEP_1) | instskip(NEXT) | instid1(VALU_DEP_1)
	v_bitop3_b32 v3, v3, v4, v5 bitop3:0x80
	v_mbcnt_lo_u32_b32 v45, v3, 0
	v_cmp_ne_u32_e64 s3, 0, v3
	s_delay_alu instid0(VALU_DEP_2) | instskip(SKIP_1) | instid1(SALU_CYCLE_1)
	v_cmp_eq_u32_e32 vcc_lo, 0, v45
	s_and_b32 s4, s3, vcc_lo
	s_and_saveexec_b32 s3, s4
	s_cbranch_execz .LBB858_45
; %bb.44:
	s_wait_dscnt 0x0
	v_bcnt_u32_b32 v3, v3, v44
	ds_store_b32 v49, v3 offset:64
.LBB858_45:
	s_or_b32 exec_lo, exec_lo, s3
	v_lshrrev_b32_e32 v3, s16, v25
	; wave barrier
	s_delay_alu instid0(VALU_DEP_1) | instskip(NEXT) | instid1(VALU_DEP_1)
	v_and_b32_e32 v4, s26, v3
	v_lshlrev_b32_e32 v6, 30, v4
	v_bitop3_b32 v3, v3, 1, s26 bitop3:0x80
	s_delay_alu instid0(VALU_DEP_1) | instskip(NEXT) | instid1(VALU_DEP_1)
	v_add_co_u32 v3, s3, v3, -1
	v_cndmask_b32_e64 v5, 0, 1, s3
	s_delay_alu instid0(VALU_DEP_4) | instskip(NEXT) | instid1(VALU_DEP_2)
	v_cmp_gt_i32_e64 s3, 0, v6
	v_cmp_ne_u32_e32 vcc_lo, 0, v5
	v_not_b32_e32 v5, v6
	s_delay_alu instid0(VALU_DEP_1) | instskip(SKIP_3) | instid1(VALU_DEP_4)
	v_dual_ashrrev_i32 v5, 31, v5 :: v_dual_lshlrev_b32 v7, 29, v4
	v_dual_lshlrev_b32 v8, 28, v4 :: v_dual_lshlrev_b32 v9, 27, v4
	v_lshlrev_b32_e32 v47, 26, v4
	v_mad_u32 v52, 0x44, v4, v2
	v_cmp_gt_i32_e64 s4, 0, v7
	v_not_b32_e32 v6, v7
	v_not_b32_e32 v7, v8
	v_cmp_gt_i32_e64 s5, 0, v8
	v_xor_b32_e32 v3, vcc_lo, v3
	s_delay_alu instid0(VALU_DEP_4) | instskip(NEXT) | instid1(VALU_DEP_4)
	v_dual_ashrrev_i32 v6, 31, v6 :: v_dual_bitop2_b32 v5, s3, v5 bitop3:0x14
	v_dual_ashrrev_i32 v7, 31, v7 :: v_dual_lshlrev_b32 v48, 25, v4
	v_lshlrev_b32_e32 v4, 24, v4
	v_not_b32_e32 v8, v9
	v_not_b32_e32 v50, v47
	v_xor_b32_e32 v6, s4, v6
	v_xor_b32_e32 v7, s5, v7
	v_bitop3_b32 v3, v3, v5, exec_lo bitop3:0x80
	v_cmp_gt_i32_e32 vcc_lo, 0, v9
	v_ashrrev_i32_e32 v5, 31, v8
	v_cmp_gt_i32_e64 s3, 0, v47
	v_ashrrev_i32_e32 v8, 31, v50
	v_bitop3_b32 v3, v3, v7, v6 bitop3:0x80
	v_not_b32_e32 v6, v48
	v_not_b32_e32 v7, v4
	v_xor_b32_e32 v5, vcc_lo, v5
	v_xor_b32_e32 v8, s3, v8
	v_cmp_gt_i32_e32 vcc_lo, 0, v48
	v_ashrrev_i32_e32 v6, 31, v6
	v_cmp_gt_i32_e64 s3, 0, v4
	v_ashrrev_i32_e32 v4, 31, v7
	v_bitop3_b32 v3, v3, v8, v5 bitop3:0x80
	ds_load_b32 v47, v52 offset:64
	v_xor_b32_e32 v5, vcc_lo, v6
	v_xor_b32_e32 v4, s3, v4
	; wave barrier
	s_delay_alu instid0(VALU_DEP_1) | instskip(NEXT) | instid1(VALU_DEP_1)
	v_bitop3_b32 v3, v3, v4, v5 bitop3:0x80
	v_mbcnt_lo_u32_b32 v48, v3, 0
	v_cmp_ne_u32_e64 s3, 0, v3
	s_delay_alu instid0(VALU_DEP_2) | instskip(SKIP_1) | instid1(SALU_CYCLE_1)
	v_cmp_eq_u32_e32 vcc_lo, 0, v48
	s_and_b32 s4, s3, vcc_lo
	s_and_saveexec_b32 s3, s4
	s_cbranch_execz .LBB858_47
; %bb.46:
	s_wait_dscnt 0x0
	v_bcnt_u32_b32 v3, v3, v47
	ds_store_b32 v52, v3 offset:64
.LBB858_47:
	s_or_b32 exec_lo, exec_lo, s3
	v_lshrrev_b32_e32 v3, s16, v24
	; wave barrier
	s_delay_alu instid0(VALU_DEP_1) | instskip(SKIP_1) | instid1(VALU_DEP_2)
	v_and_b32_e32 v4, s26, v3
	v_bitop3_b32 v3, v3, 1, s26 bitop3:0x80
	v_dual_lshlrev_b32 v6, 30, v4 :: v_dual_lshlrev_b32 v7, 29, v4
	s_delay_alu instid0(VALU_DEP_2) | instskip(NEXT) | instid1(VALU_DEP_1)
	v_add_co_u32 v3, s3, v3, -1
	v_cndmask_b32_e64 v5, 0, 1, s3
	s_delay_alu instid0(VALU_DEP_3) | instskip(NEXT) | instid1(VALU_DEP_4)
	v_cmp_gt_i32_e64 s3, 0, v6
	v_cmp_gt_i32_e64 s4, 0, v7
	s_delay_alu instid0(VALU_DEP_3) | instskip(SKIP_2) | instid1(VALU_DEP_2)
	v_cmp_ne_u32_e32 vcc_lo, 0, v5
	v_not_b32_e32 v5, v6
	v_not_b32_e32 v6, v7
	v_dual_ashrrev_i32 v5, 31, v5 :: v_dual_bitop2_b32 v3, vcc_lo, v3 bitop3:0x14
	s_delay_alu instid0(VALU_DEP_2) | instskip(SKIP_3) | instid1(VALU_DEP_4)
	v_dual_ashrrev_i32 v6, 31, v6 :: v_dual_lshlrev_b32 v8, 28, v4
	v_lshlrev_b32_e32 v9, 27, v4
	v_mad_u32 v53, 0x44, v4, v2
	v_dual_lshlrev_b32 v50, 26, v4 :: v_dual_lshlrev_b32 v51, 25, v4
	v_not_b32_e32 v7, v8
	v_lshlrev_b32_e32 v4, 24, v4
	v_cmp_gt_i32_e64 s5, 0, v8
	v_xor_b32_e32 v5, s3, v5
	v_not_b32_e32 v8, v9
	v_ashrrev_i32_e32 v7, 31, v7
	v_not_b32_e32 v54, v50
	v_xor_b32_e32 v6, s4, v6
	v_bitop3_b32 v3, v3, v5, exec_lo bitop3:0x80
	v_cmp_gt_i32_e32 vcc_lo, 0, v9
	v_dual_ashrrev_i32 v5, 31, v8 :: v_dual_bitop2_b32 v7, s5, v7 bitop3:0x14
	v_cmp_gt_i32_e64 s3, 0, v50
	v_ashrrev_i32_e32 v8, 31, v54
	ds_load_b32 v50, v53 offset:64
	v_bitop3_b32 v3, v3, v7, v6 bitop3:0x80
	v_not_b32_e32 v6, v51
	v_not_b32_e32 v7, v4
	v_xor_b32_e32 v5, vcc_lo, v5
	v_xor_b32_e32 v8, s3, v8
	v_cmp_gt_i32_e32 vcc_lo, 0, v51
	v_ashrrev_i32_e32 v6, 31, v6
	v_cmp_gt_i32_e64 s3, 0, v4
	v_ashrrev_i32_e32 v4, 31, v7
	v_bitop3_b32 v3, v3, v8, v5 bitop3:0x80
	s_delay_alu instid0(VALU_DEP_4) | instskip(NEXT) | instid1(VALU_DEP_3)
	v_xor_b32_e32 v5, vcc_lo, v6
	; wave barrier
	v_xor_b32_e32 v4, s3, v4
	s_delay_alu instid0(VALU_DEP_1) | instskip(NEXT) | instid1(VALU_DEP_1)
	v_bitop3_b32 v3, v3, v4, v5 bitop3:0x80
	v_mbcnt_lo_u32_b32 v51, v3, 0
	v_cmp_ne_u32_e64 s3, 0, v3
	s_delay_alu instid0(VALU_DEP_2) | instskip(SKIP_1) | instid1(SALU_CYCLE_1)
	v_cmp_eq_u32_e32 vcc_lo, 0, v51
	s_and_b32 s4, s3, vcc_lo
	s_and_saveexec_b32 s3, s4
	s_cbranch_execz .LBB858_49
; %bb.48:
	s_wait_dscnt 0x0
	v_bcnt_u32_b32 v3, v3, v50
	ds_store_b32 v53, v3 offset:64
.LBB858_49:
	s_or_b32 exec_lo, exec_lo, s3
	v_lshrrev_b32_e32 v3, s16, v27
	; wave barrier
	s_delay_alu instid0(VALU_DEP_1) | instskip(NEXT) | instid1(VALU_DEP_1)
	v_and_b32_e32 v4, s26, v3
	v_lshlrev_b32_e32 v6, 30, v4
	v_bitop3_b32 v3, v3, 1, s26 bitop3:0x80
	s_delay_alu instid0(VALU_DEP_1) | instskip(NEXT) | instid1(VALU_DEP_1)
	v_add_co_u32 v3, s3, v3, -1
	v_cndmask_b32_e64 v5, 0, 1, s3
	s_delay_alu instid0(VALU_DEP_4) | instskip(NEXT) | instid1(VALU_DEP_2)
	v_cmp_gt_i32_e64 s3, 0, v6
	v_cmp_ne_u32_e32 vcc_lo, 0, v5
	v_not_b32_e32 v5, v6
	s_delay_alu instid0(VALU_DEP_1) | instskip(SKIP_3) | instid1(VALU_DEP_4)
	v_dual_ashrrev_i32 v5, 31, v5 :: v_dual_lshlrev_b32 v7, 29, v4
	v_dual_lshlrev_b32 v8, 28, v4 :: v_dual_lshlrev_b32 v9, 27, v4
	v_lshlrev_b32_e32 v54, 26, v4
	v_mad_u32 v56, 0x44, v4, v2
	v_cmp_gt_i32_e64 s4, 0, v7
	v_not_b32_e32 v6, v7
	v_not_b32_e32 v7, v8
	v_cmp_gt_i32_e64 s5, 0, v8
	v_xor_b32_e32 v3, vcc_lo, v3
	s_delay_alu instid0(VALU_DEP_4) | instskip(NEXT) | instid1(VALU_DEP_4)
	v_dual_ashrrev_i32 v6, 31, v6 :: v_dual_bitop2_b32 v5, s3, v5 bitop3:0x14
	v_dual_ashrrev_i32 v7, 31, v7 :: v_dual_lshlrev_b32 v55, 25, v4
	v_lshlrev_b32_e32 v4, 24, v4
	v_not_b32_e32 v8, v9
	v_not_b32_e32 v57, v54
	v_xor_b32_e32 v6, s4, v6
	v_xor_b32_e32 v7, s5, v7
	v_bitop3_b32 v3, v3, v5, exec_lo bitop3:0x80
	v_cmp_gt_i32_e32 vcc_lo, 0, v9
	v_ashrrev_i32_e32 v5, 31, v8
	v_cmp_gt_i32_e64 s3, 0, v54
	v_ashrrev_i32_e32 v8, 31, v57
	v_bitop3_b32 v3, v3, v7, v6 bitop3:0x80
	v_not_b32_e32 v6, v55
	v_not_b32_e32 v7, v4
	v_xor_b32_e32 v5, vcc_lo, v5
	v_xor_b32_e32 v8, s3, v8
	v_cmp_gt_i32_e32 vcc_lo, 0, v55
	v_ashrrev_i32_e32 v6, 31, v6
	v_cmp_gt_i32_e64 s3, 0, v4
	v_ashrrev_i32_e32 v4, 31, v7
	v_bitop3_b32 v3, v3, v8, v5 bitop3:0x80
	ds_load_b32 v54, v56 offset:64
	v_xor_b32_e32 v5, vcc_lo, v6
	v_xor_b32_e32 v4, s3, v4
	; wave barrier
	s_delay_alu instid0(VALU_DEP_1) | instskip(NEXT) | instid1(VALU_DEP_1)
	v_bitop3_b32 v3, v3, v4, v5 bitop3:0x80
	v_mbcnt_lo_u32_b32 v55, v3, 0
	v_cmp_ne_u32_e64 s3, 0, v3
	s_delay_alu instid0(VALU_DEP_2) | instskip(SKIP_1) | instid1(SALU_CYCLE_1)
	v_cmp_eq_u32_e32 vcc_lo, 0, v55
	s_and_b32 s4, s3, vcc_lo
	s_and_saveexec_b32 s3, s4
	s_cbranch_execz .LBB858_51
; %bb.50:
	s_wait_dscnt 0x0
	v_bcnt_u32_b32 v3, v3, v54
	ds_store_b32 v56, v3 offset:64
.LBB858_51:
	s_or_b32 exec_lo, exec_lo, s3
	v_lshrrev_b32_e32 v3, s16, v26
	; wave barrier
	s_delay_alu instid0(VALU_DEP_1) | instskip(NEXT) | instid1(VALU_DEP_1)
	v_and_b32_e32 v4, s26, v3
	v_lshlrev_b32_e32 v5, 30, v4
	v_bitop3_b32 v3, v3, 1, s26 bitop3:0x80
	v_mad_u32 v59, 0x44, v4, v2
	s_delay_alu instid0(VALU_DEP_2) | instskip(NEXT) | instid1(VALU_DEP_1)
	v_add_co_u32 v2, s3, v3, -1
	v_cndmask_b32_e64 v3, 0, 1, s3
	v_cmp_gt_i32_e64 s3, 0, v5
	s_delay_alu instid0(VALU_DEP_2) | instskip(SKIP_1) | instid1(VALU_DEP_1)
	v_cmp_ne_u32_e32 vcc_lo, 0, v3
	v_not_b32_e32 v3, v5
	v_dual_ashrrev_i32 v3, 31, v3 :: v_dual_lshlrev_b32 v6, 29, v4
	v_dual_lshlrev_b32 v7, 28, v4 :: v_dual_lshlrev_b32 v8, 27, v4
	v_dual_lshlrev_b32 v9, 26, v4 :: v_dual_lshlrev_b32 v57, 25, v4
	v_lshlrev_b32_e32 v4, 24, v4
	s_delay_alu instid0(VALU_DEP_4) | instskip(SKIP_4) | instid1(VALU_DEP_4)
	v_cmp_gt_i32_e64 s4, 0, v6
	v_not_b32_e32 v5, v6
	v_not_b32_e32 v6, v7
	v_cmp_gt_i32_e64 s5, 0, v7
	v_xor_b32_e32 v2, vcc_lo, v2
	v_dual_ashrrev_i32 v5, 31, v5 :: v_dual_bitop2_b32 v3, s3, v3 bitop3:0x14
	s_delay_alu instid0(VALU_DEP_4) | instskip(SKIP_2) | instid1(VALU_DEP_4)
	v_ashrrev_i32_e32 v6, 31, v6
	v_not_b32_e32 v7, v8
	v_not_b32_e32 v58, v9
	v_bitop3_b32 v2, v2, v3, exec_lo bitop3:0x80
	v_xor_b32_e32 v5, s4, v5
	v_xor_b32_e32 v6, s5, v6
	v_cmp_gt_i32_e32 vcc_lo, 0, v8
	v_ashrrev_i32_e32 v3, 31, v7
	v_cmp_gt_i32_e64 s3, 0, v9
	v_ashrrev_i32_e32 v7, 31, v58
	v_bitop3_b32 v2, v2, v6, v5 bitop3:0x80
	v_not_b32_e32 v5, v57
	v_not_b32_e32 v6, v4
	v_xor_b32_e32 v3, vcc_lo, v3
	v_xor_b32_e32 v7, s3, v7
	v_cmp_gt_i32_e32 vcc_lo, 0, v57
	v_ashrrev_i32_e32 v5, 31, v5
	v_cmp_gt_i32_e64 s3, 0, v4
	v_ashrrev_i32_e32 v4, 31, v6
	v_bitop3_b32 v2, v2, v7, v3 bitop3:0x80
	ds_load_b32 v57, v59 offset:64
	v_xor_b32_e32 v3, vcc_lo, v5
	v_xor_b32_e32 v4, s3, v4
	; wave barrier
	s_delay_alu instid0(VALU_DEP_1) | instskip(NEXT) | instid1(VALU_DEP_1)
	v_bitop3_b32 v2, v2, v4, v3 bitop3:0x80
	v_mbcnt_lo_u32_b32 v58, v2, 0
	v_cmp_ne_u32_e64 s3, 0, v2
	s_delay_alu instid0(VALU_DEP_2) | instskip(SKIP_1) | instid1(SALU_CYCLE_1)
	v_cmp_eq_u32_e32 vcc_lo, 0, v58
	s_and_b32 s4, s3, vcc_lo
	s_and_saveexec_b32 s3, s4
	s_cbranch_execz .LBB858_53
; %bb.52:
	s_wait_dscnt 0x0
	v_bcnt_u32_b32 v2, v2, v57
	ds_store_b32 v59, v2 offset:64
.LBB858_53:
	s_or_b32 exec_lo, exec_lo, s3
	; wave barrier
	s_wait_dscnt 0x0
	s_barrier_signal -1
	s_barrier_wait -1
	ds_load_2addr_b32 v[8:9], v10 offset0:16 offset1:17
	ds_load_2addr_b32 v[6:7], v10 offset0:18 offset1:19
	;; [unrolled: 1-line block ×4, first 2 shown]
	ds_load_b32 v60, v10 offset:96
	v_min_u32_e32 v63, 0x1e0, v16
	s_mov_b32 s27, exec_lo
	s_wait_dscnt 0x3
	v_add3_u32 v61, v9, v8, v6
	s_wait_dscnt 0x2
	s_delay_alu instid0(VALU_DEP_1) | instskip(SKIP_1) | instid1(VALU_DEP_1)
	v_add3_u32 v61, v61, v7, v4
	s_wait_dscnt 0x1
	v_add3_u32 v61, v61, v5, v2
	s_wait_dscnt 0x0
	s_delay_alu instid0(VALU_DEP_1) | instskip(SKIP_1) | instid1(VALU_DEP_2)
	v_add3_u32 v60, v61, v3, v60
	v_and_b32_e32 v61, 15, v15
	v_mov_b32_dpp v62, v60 row_shr:1 row_mask:0xf bank_mask:0xf
	s_delay_alu instid0(VALU_DEP_2) | instskip(NEXT) | instid1(VALU_DEP_2)
	v_cmp_eq_u32_e32 vcc_lo, 0, v61
	v_cndmask_b32_e64 v62, v62, 0, vcc_lo
	s_delay_alu instid0(VALU_DEP_1) | instskip(SKIP_3) | instid1(VALU_DEP_4)
	v_add_nc_u32_e32 v60, v62, v60
	v_cmp_lt_u32_e64 s3, 1, v61
	v_cmp_lt_u32_e64 s4, 3, v61
	;; [unrolled: 1-line block ×3, first 2 shown]
	v_mov_b32_dpp v62, v60 row_shr:2 row_mask:0xf bank_mask:0xf
	s_delay_alu instid0(VALU_DEP_1) | instskip(NEXT) | instid1(VALU_DEP_1)
	v_cndmask_b32_e64 v62, 0, v62, s3
	v_add_nc_u32_e32 v60, v60, v62
	s_delay_alu instid0(VALU_DEP_1) | instskip(NEXT) | instid1(VALU_DEP_1)
	v_mov_b32_dpp v62, v60 row_shr:4 row_mask:0xf bank_mask:0xf
	v_cndmask_b32_e64 v62, 0, v62, s4
	s_delay_alu instid0(VALU_DEP_1) | instskip(NEXT) | instid1(VALU_DEP_1)
	v_add_nc_u32_e32 v60, v60, v62
	v_mov_b32_dpp v62, v60 row_shr:8 row_mask:0xf bank_mask:0xf
	s_delay_alu instid0(VALU_DEP_1) | instskip(SKIP_1) | instid1(VALU_DEP_2)
	v_cndmask_b32_e64 v61, 0, v62, s5
	v_bfe_i32 v62, v15, 4, 1
	v_add_nc_u32_e32 v60, v60, v61
	ds_swizzle_b32 v61, v60 offset:swizzle(BROADCAST,32,15)
	s_wait_dscnt 0x0
	v_dual_lshrrev_b32 v61, 5, v14 :: v_dual_bitop2_b32 v62, v62, v61 bitop3:0x40
	s_delay_alu instid0(VALU_DEP_1) | instskip(NEXT) | instid1(VALU_DEP_1)
	v_dual_add_nc_u32 v60, v60, v62 :: v_dual_bitop2_b32 v63, 31, v63 bitop3:0x54
	v_cmpx_eq_u32_e64 v14, v63
; %bb.54:
	s_delay_alu instid0(VALU_DEP_3)
	v_lshlrev_b32_e32 v62, 2, v61
	ds_store_b32 v62, v60
; %bb.55:
	s_or_b32 exec_lo, exec_lo, s27
	s_delay_alu instid0(SALU_CYCLE_1)
	s_mov_b32 s27, exec_lo
	s_wait_dscnt 0x0
	s_barrier_signal -1
	s_barrier_wait -1
	v_cmpx_gt_u32_e32 16, v14
	s_cbranch_execz .LBB858_57
; %bb.56:
	v_lshlrev_b32_e32 v62, 2, v14
	ds_load_b32 v63, v62
	s_wait_dscnt 0x0
	v_mov_b32_dpp v64, v63 row_shr:1 row_mask:0xf bank_mask:0xf
	s_delay_alu instid0(VALU_DEP_1) | instskip(NEXT) | instid1(VALU_DEP_1)
	v_cndmask_b32_e64 v64, v64, 0, vcc_lo
	v_add_nc_u32_e32 v63, v64, v63
	s_delay_alu instid0(VALU_DEP_1) | instskip(NEXT) | instid1(VALU_DEP_1)
	v_mov_b32_dpp v64, v63 row_shr:2 row_mask:0xf bank_mask:0xf
	v_cndmask_b32_e64 v64, 0, v64, s3
	s_delay_alu instid0(VALU_DEP_1) | instskip(NEXT) | instid1(VALU_DEP_1)
	v_add_nc_u32_e32 v63, v63, v64
	v_mov_b32_dpp v64, v63 row_shr:4 row_mask:0xf bank_mask:0xf
	s_delay_alu instid0(VALU_DEP_1) | instskip(NEXT) | instid1(VALU_DEP_1)
	v_cndmask_b32_e64 v64, 0, v64, s4
	v_add_nc_u32_e32 v63, v63, v64
	s_delay_alu instid0(VALU_DEP_1) | instskip(NEXT) | instid1(VALU_DEP_1)
	v_mov_b32_dpp v64, v63 row_shr:8 row_mask:0xf bank_mask:0xf
	v_cndmask_b32_e64 v64, 0, v64, s5
	s_delay_alu instid0(VALU_DEP_1)
	v_add_nc_u32_e32 v63, v63, v64
	ds_store_b32 v62, v63
.LBB858_57:
	s_or_b32 exec_lo, exec_lo, s27
	v_mov_b32_e32 v62, 0
	s_mov_b32 s3, exec_lo
	s_wait_dscnt 0x0
	s_barrier_signal -1
	s_barrier_wait -1
	v_cmpx_lt_u32_e32 31, v14
; %bb.58:
	v_lshl_add_u32 v61, v61, 2, -4
	ds_load_b32 v62, v61
; %bb.59:
	s_or_b32 exec_lo, exec_lo, s3
	v_sub_co_u32 v61, vcc_lo, v15, 1
	s_wait_dscnt 0x0
	v_add_nc_u32_e32 v60, v62, v60
	s_delay_alu instid0(VALU_DEP_2) | instskip(NEXT) | instid1(VALU_DEP_1)
	v_cmp_gt_i32_e64 s3, 0, v61
	v_cndmask_b32_e64 v61, v61, v15, s3
	v_cmp_lt_u32_e64 s3, 0xff, v14
	s_delay_alu instid0(VALU_DEP_2) | instskip(SKIP_4) | instid1(VALU_DEP_2)
	v_lshlrev_b32_e32 v61, 2, v61
	ds_bpermute_b32 v60, v61, v60
	s_wait_dscnt 0x0
	v_cndmask_b32_e32 v60, v60, v62, vcc_lo
	v_cmp_gt_u32_e32 vcc_lo, 0x100, v14
	v_cndmask_b32_e64 v60, v60, 0, s2
	s_delay_alu instid0(VALU_DEP_1) | instskip(NEXT) | instid1(VALU_DEP_1)
	v_add_nc_u32_e32 v8, v60, v8
	v_add_nc_u32_e32 v9, v8, v9
	s_delay_alu instid0(VALU_DEP_1) | instskip(NEXT) | instid1(VALU_DEP_1)
	v_add_nc_u32_e32 v6, v9, v6
	v_add_nc_u32_e32 v7, v6, v7
	s_delay_alu instid0(VALU_DEP_1) | instskip(NEXT) | instid1(VALU_DEP_1)
	v_add_nc_u32_e32 v4, v7, v4
	v_add_nc_u32_e32 v5, v4, v5
	s_delay_alu instid0(VALU_DEP_1) | instskip(NEXT) | instid1(VALU_DEP_1)
	v_add_nc_u32_e32 v2, v5, v2
	v_add_nc_u32_e32 v3, v2, v3
	ds_store_2addr_b32 v10, v60, v8 offset0:16 offset1:17
	ds_store_2addr_b32 v10, v9, v6 offset0:18 offset1:19
	;; [unrolled: 1-line block ×4, first 2 shown]
	ds_store_b32 v10, v3 offset:96
	s_wait_dscnt 0x0
	s_barrier_signal -1
	s_barrier_wait -1
	ds_load_b32 v63, v11 offset:64
	ds_load_b32 v60, v12 offset:64
	;; [unrolled: 1-line block ×12, first 2 shown]
	v_mov_b64_e32 v[2:3], 0
                                        ; implicit-def: $vgpr4
	s_and_saveexec_b32 s5, vcc_lo
	s_cbranch_execz .LBB858_63
; %bb.60:
	v_mul_u32_u24_e32 v2, 0x44, v14
	v_dual_mov_b32 v3, 0x1800 :: v_dual_add_nc_u32 v4, 1, v14
	s_mov_b32 s6, exec_lo
	ds_load_b32 v2, v2 offset:64
	v_cmpx_ne_u32_e32 0x100, v4
; %bb.61:
	v_mul_u32_u24_e32 v3, 0x44, v4
	ds_load_b32 v3, v3 offset:64
; %bb.62:
	s_or_b32 exec_lo, exec_lo, s6
	s_wait_dscnt 0x0
	v_dual_mov_b32 v3, 0 :: v_dual_sub_nc_u32 v4, v3, v2
.LBB858_63:
	s_or_b32 exec_lo, exec_lo, s5
	v_dual_mov_b32 v7, 0 :: v_dual_lshlrev_b32 v5, 3, v14
	s_wait_dscnt 0x0
	s_barrier_signal -1
	s_barrier_wait -1
	s_and_saveexec_b32 s4, vcc_lo
	s_cbranch_execz .LBB858_73
; %bb.64:
	v_lshl_add_u32 v6, s19, 8, v14
	v_dual_mov_b32 v10, 0 :: v_dual_bitop2_b32 v11, 2.0, v4 bitop3:0x54
	s_mov_b32 s5, 0
	s_mov_b32 s6, s19
	s_delay_alu instid0(VALU_DEP_2)
	v_lshl_add_u64 v[8:9], v[6:7], 2, s[20:21]
	global_store_b32 v6, v11, s[20:21] scale_offset scope:SCOPE_DEV
                                        ; implicit-def: $sgpr27
	s_branch .LBB858_67
.LBB858_65:                             ;   in Loop: Header=BB858_67 Depth=1
	s_or_b32 exec_lo, exec_lo, s28
.LBB858_66:                             ;   in Loop: Header=BB858_67 Depth=1
	s_delay_alu instid0(SALU_CYCLE_1) | instskip(SKIP_2) | instid1(VALU_DEP_2)
	s_or_b32 exec_lo, exec_lo, s27
	v_and_b32_e32 v6, 0x3fffffff, v11
	v_cmp_gt_i32_e64 s27, -2.0, v11
	v_add_nc_u32_e32 v10, v6, v10
	s_and_b32 s28, exec_lo, s27
	s_delay_alu instid0(SALU_CYCLE_1) | instskip(NEXT) | instid1(SALU_CYCLE_1)
	s_or_b32 s5, s28, s5
	s_and_not1_b32 exec_lo, exec_lo, s5
	s_cbranch_execz .LBB858_72
.LBB858_67:                             ; =>This Loop Header: Depth=1
                                        ;     Child Loop BB858_70 Depth 2
	s_or_b32 s27, s27, exec_lo
	s_cmp_eq_u32 s6, 0
	s_cbranch_scc1 .LBB858_71
; %bb.68:                               ;   in Loop: Header=BB858_67 Depth=1
	s_add_co_i32 s6, s6, -1
	s_mov_b32 s27, exec_lo
	s_wait_xcnt 0x0
	v_lshl_or_b32 v6, s6, 8, v14
	global_load_b32 v11, v6, s[20:21] scale_offset scope:SCOPE_DEV
	s_wait_loadcnt 0x0
	v_cmpx_gt_u32_e32 2.0, v11
	s_cbranch_execz .LBB858_66
; %bb.69:                               ;   in Loop: Header=BB858_67 Depth=1
	v_lshl_add_u64 v[12:13], v[6:7], 2, s[20:21]
	s_mov_b32 s28, 0
.LBB858_70:                             ;   Parent Loop BB858_67 Depth=1
                                        ; =>  This Inner Loop Header: Depth=2
	global_load_b32 v11, v[12:13], off scope:SCOPE_DEV
	s_wait_loadcnt 0x0
	v_cmp_lt_u32_e32 vcc_lo, 0x3fffffff, v11
	s_or_b32 s28, vcc_lo, s28
	s_wait_xcnt 0x0
	s_and_not1_b32 exec_lo, exec_lo, s28
	s_cbranch_execnz .LBB858_70
	s_branch .LBB858_65
.LBB858_71:                             ;   in Loop: Header=BB858_67 Depth=1
                                        ; implicit-def: $sgpr6
	s_and_b32 s28, exec_lo, s27
	s_delay_alu instid0(SALU_CYCLE_1)
	s_or_b32 s5, s28, s5
	s_wait_xcnt 0x0
	s_and_not1_b32 exec_lo, exec_lo, s5
	s_cbranch_execnz .LBB858_67
.LBB858_72:
	s_or_b32 exec_lo, exec_lo, s5
	v_dual_mov_b32 v11, 0 :: v_dual_add_nc_u32 v6, v10, v4
	s_delay_alu instid0(VALU_DEP_1) | instskip(SKIP_4) | instid1(VALU_DEP_1)
	v_or_b32_e32 v6, 0x80000000, v6
	global_store_b32 v[8:9], v6, off scope:SCOPE_DEV
	global_load_b64 v[6:7], v14, s[8:9] scale_offset
	v_sub_nc_u64_e32 v[8:9], v[10:11], v[2:3]
	s_wait_loadcnt 0x0
	v_add_nc_u64_e32 v[6:7], v[8:9], v[6:7]
	ds_store_b64 v5, v[6:7]
.LBB858_73:
	s_wait_xcnt 0x0
	s_or_b32 exec_lo, exec_lo, s4
	v_dual_lshlrev_b32 v6, 2, v14 :: v_dual_add_nc_u32 v8, v63, v28
	v_mov_b32_e32 v7, 0
	v_add3_u32 v10, v55, v53, v54
	v_add3_u32 v9, v58, v56, v57
	s_delay_alu instid0(VALU_DEP_4)
	v_sub_nc_u32_e32 v53, 0, v6
	v_add3_u32 v11, v51, v52, v50
	v_add_nc_u64_e32 v[6:7], s[14:15], v[6:7]
	v_add3_u32 v12, v48, v49, v47
	v_add3_u32 v13, v45, v46, v44
	;; [unrolled: 1-line block ×6, first 2 shown]
	v_add_nc_u64_e32 v[6:7], 0x3800, v[6:7]
	v_add3_u32 v31, v32, v61, v31
	v_add3_u32 v29, v30, v60, v29
	v_add_nc_u32_e32 v30, 0xe00, v14
	v_add_nc_u32_e32 v32, v5, v53
	s_mov_b32 s4, 0
	s_mov_b32 s5, -1
	s_branch .LBB858_75
.LBB858_74:                             ;   in Loop: Header=BB858_75 Depth=1
	s_wait_xcnt 0x0
	s_or_b32 exec_lo, exec_lo, s6
	v_add_nc_u64_e32 v[6:7], 0x4000, v[6:7]
	v_add_nc_u32_e32 v30, 0x1000, v30
	s_xor_b32 s5, s5, -1
	s_addk_co_i32 s4, 0xf000
	s_and_b32 vcc_lo, exec_lo, s5
	s_mov_b32 s5, 0
	s_wait_storecnt 0x0
	s_barrier_signal -1
	s_barrier_wait -1
	s_cbranch_vccnz .LBB858_91
.LBB858_75:                             ; =>This Inner Loop Header: Depth=1
	v_add_min_u32_e64 v34, v8, s4, 0x1000
	v_add_min_u32_e64 v36, v29, s4, 0x1000
	;; [unrolled: 1-line block ×5, first 2 shown]
	s_delay_alu instid0(VALU_DEP_4) | instskip(NEXT) | instid1(VALU_DEP_4)
	v_dual_lshlrev_b32 v34, 2, v34 :: v_dual_lshlrev_b32 v36, 2, v36
	v_lshlrev_b32_e32 v38, 2, v38
	v_add_min_u32_e64 v41, v37, s4, 0x1000
	s_mov_b32 s6, exec_lo
	ds_store_b32 v34, v17 offset:2048
	ds_store_b32 v36, v1 offset:2048
	v_add_min_u32_e64 v34, v28, s4, 0x1000
	v_lshlrev_b32_e32 v36, 2, v39
	ds_store_b32 v38, v19 offset:2048
	v_dual_lshlrev_b32 v38, 2, v40 :: v_dual_lshlrev_b32 v39, 2, v41
	v_add_min_u32_e64 v40, v13, s4, 0x1000
	v_lshlrev_b32_e32 v34, 2, v34
	ds_store_b32 v36, v18 offset:2048
	ds_store_b32 v38, v21 offset:2048
	;; [unrolled: 1-line block ×4, first 2 shown]
	v_add_min_u32_e64 v36, v12, s4, 0x1000
	v_add_min_u32_e64 v38, v11, s4, 0x1000
	v_lshlrev_b32_e32 v34, 2, v40
	v_add_min_u32_e64 v39, v10, s4, 0x1000
	v_add_min_u32_e64 v40, v9, s4, 0x1000
	ds_store_b32 v34, v22 offset:2048
	v_dual_lshlrev_b32 v34, 2, v36 :: v_dual_lshlrev_b32 v36, 2, v38
	v_dual_lshlrev_b32 v38, 2, v39 :: v_dual_lshlrev_b32 v39, 2, v40
	v_add_nc_u32_e32 v40, 0xfffff200, v30
	ds_store_b32 v34, v25 offset:2048
	ds_store_b32 v36, v24 offset:2048
	;; [unrolled: 1-line block ×4, first 2 shown]
	s_wait_storecnt_dscnt 0x0
	s_barrier_signal -1
	s_barrier_wait -1
	v_cmpx_gt_u32_e64 s18, v40
	s_cbranch_execz .LBB858_77
; %bb.76:                               ;   in Loop: Header=BB858_75 Depth=1
	ds_load_b32 v34, v32 offset:2048
	s_wait_dscnt 0x0
	v_lshrrev_b32_e32 v36, s16, v34
	v_xor_b32_e32 v34, 0x7fffffff, v34
	s_delay_alu instid0(VALU_DEP_2) | instskip(NEXT) | instid1(VALU_DEP_1)
	v_and_b32_e32 v36, s26, v36
	v_lshlrev_b32_e32 v36, 3, v36
	ds_load_b64 v[38:39], v36
	s_wait_dscnt 0x0
	v_lshl_add_u64 v[38:39], v[38:39], 2, v[6:7]
	global_store_b32 v[38:39], v34, off offset:-14336
.LBB858_77:                             ;   in Loop: Header=BB858_75 Depth=1
	s_wait_xcnt 0x0
	s_or_b32 exec_lo, exec_lo, s6
	v_add_nc_u32_e32 v34, 0xfffff400, v30
	s_mov_b32 s6, exec_lo
	s_delay_alu instid0(VALU_DEP_1)
	v_cmpx_gt_u32_e64 s18, v34
	s_cbranch_execz .LBB858_79
; %bb.78:                               ;   in Loop: Header=BB858_75 Depth=1
	ds_load_b32 v34, v32 offset:4096
	s_wait_dscnt 0x0
	v_lshrrev_b32_e32 v36, s16, v34
	v_xor_b32_e32 v34, 0x7fffffff, v34
	s_delay_alu instid0(VALU_DEP_2) | instskip(NEXT) | instid1(VALU_DEP_1)
	v_and_b32_e32 v36, s26, v36
	v_lshlrev_b32_e32 v36, 3, v36
	ds_load_b64 v[38:39], v36
	s_wait_dscnt 0x0
	v_lshl_add_u64 v[38:39], v[38:39], 2, v[6:7]
	global_store_b32 v[38:39], v34, off offset:-12288
.LBB858_79:                             ;   in Loop: Header=BB858_75 Depth=1
	s_wait_xcnt 0x0
	s_or_b32 exec_lo, exec_lo, s6
	v_add_nc_u32_e32 v34, 0xfffff600, v30
	s_mov_b32 s6, exec_lo
	s_delay_alu instid0(VALU_DEP_1)
	;; [unrolled: 20-line block ×6, first 2 shown]
	v_cmpx_gt_u32_e64 s18, v34
	s_cbranch_execz .LBB858_89
; %bb.88:                               ;   in Loop: Header=BB858_75 Depth=1
	ds_load_b32 v34, v32 offset:14336
	s_wait_dscnt 0x0
	v_lshrrev_b32_e32 v36, s16, v34
	v_xor_b32_e32 v34, 0x7fffffff, v34
	s_delay_alu instid0(VALU_DEP_2) | instskip(NEXT) | instid1(VALU_DEP_1)
	v_and_b32_e32 v36, s26, v36
	v_lshlrev_b32_e32 v36, 3, v36
	ds_load_b64 v[38:39], v36
	s_wait_dscnt 0x0
	v_lshl_add_u64 v[38:39], v[38:39], 2, v[6:7]
	global_store_b32 v[38:39], v34, off offset:-2048
.LBB858_89:                             ;   in Loop: Header=BB858_75 Depth=1
	s_wait_xcnt 0x0
	s_or_b32 exec_lo, exec_lo, s6
	s_delay_alu instid0(SALU_CYCLE_1)
	s_mov_b32 s6, exec_lo
	v_cmpx_gt_u32_e64 s18, v30
	s_cbranch_execz .LBB858_74
; %bb.90:                               ;   in Loop: Header=BB858_75 Depth=1
	ds_load_b32 v34, v32 offset:16384
	s_wait_dscnt 0x0
	v_lshrrev_b32_e32 v36, s16, v34
	v_xor_b32_e32 v34, 0x7fffffff, v34
	s_delay_alu instid0(VALU_DEP_2) | instskip(NEXT) | instid1(VALU_DEP_1)
	v_and_b32_e32 v36, s26, v36
	v_lshlrev_b32_e32 v36, 3, v36
	ds_load_b64 v[38:39], v36
	s_wait_dscnt 0x0
	v_lshl_add_u64 v[38:39], v[38:39], 2, v[6:7]
	global_store_b32 v[38:39], v34, off
	s_branch .LBB858_74
.LBB858_91:
	s_add_co_i32 s23, s23, -1
	s_delay_alu instid0(SALU_CYCLE_1) | instskip(SKIP_2) | instid1(SALU_CYCLE_1)
	s_cmp_eq_u32 s19, s23
	s_cselect_b32 s4, -1, 0
	s_xor_b32 s3, s3, -1
	s_and_b32 s4, s3, s4
	s_delay_alu instid0(SALU_CYCLE_1)
	s_and_saveexec_b32 s3, s4
	s_cbranch_execz .LBB858_93
; %bb.92:
	ds_load_b64 v[6:7], v5
	v_mov_b32_e32 v5, 0
	s_delay_alu instid0(VALU_DEP_1) | instskip(SKIP_1) | instid1(VALU_DEP_1)
	v_add_nc_u64_e32 v[2:3], v[2:3], v[4:5]
	s_wait_dscnt 0x0
	v_add_nc_u64_e32 v[2:3], v[2:3], v[6:7]
	global_store_b64 v14, v[2:3], s[10:11] scale_offset
.LBB858_93:
	s_wait_xcnt 0x0
	s_or_b32 exec_lo, exec_lo, s3
	s_mov_b32 s4, 0
.LBB858_94:
	s_delay_alu instid0(SALU_CYCLE_1)
	s_and_b32 vcc_lo, exec_lo, s4
	s_cbranch_vccz .LBB858_153
; %bb.95:
	s_mov_b32 s23, 0
	v_dual_mov_b32 v11, 0 :: v_dual_lshlrev_b32 v10, 2, v15
	s_lshl_b64 s[4:5], s[22:23], 2
	v_mul_u32_u24_e32 v1, 12, v16
	s_add_nc_u64 s[4:5], s[12:13], s[4:5]
	s_bfe_u32 s3, ttmp6, 0x4000c
	v_add_nc_u64_e32 v[2:3], s[4:5], v[10:11]
	s_add_co_i32 s3, s3, 1
	v_lshlrev_b32_e32 v10, 2, v1
	s_and_b32 s4, ttmp6, 15
	s_mul_i32 s3, ttmp9, s3
	s_delay_alu instid0(SALU_CYCLE_1) | instskip(NEXT) | instid1(VALU_DEP_1)
	s_add_co_i32 s4, s4, s3
	v_add_nc_u64_e32 v[18:19], v[2:3], v[10:11]
	s_cmp_eq_u32 s7, 0
	s_clause 0xb
	global_load_b32 v5, v[18:19], off
	global_load_b32 v12, v[18:19], off offset:128
	global_load_b32 v13, v[18:19], off offset:256
	;; [unrolled: 1-line block ×11, first 2 shown]
	s_load_b32 s12, s[0:1], 0x58
	s_cselect_b32 s3, ttmp9, s4
	s_load_u16 s4, s[0:1], 0x66
	s_wait_kmcnt 0x0
	s_cmp_lt_u32 s3, s12
	s_cselect_b32 s22, 12, 18
	s_lshl_b32 s13, -1, s17
	s_add_nc_u64 s[0:1], s[24:25], s[22:23]
	s_load_u16 s0, s[0:1], 0x0
	s_wait_loadcnt 0xb
	v_xor_b32_e32 v17, 0x7fffffff, v5
	v_bfe_u32 v5, v0, 10, 10
	v_bfe_u32 v0, v0, 20, 10
	s_delay_alu instid0(VALU_DEP_3) | instskip(NEXT) | instid1(VALU_DEP_2)
	v_lshrrev_b32_e32 v10, s16, v17
	v_mad_u32_u24 v0, v0, s4, v5
	s_delay_alu instid0(VALU_DEP_2) | instskip(SKIP_1) | instid1(VALU_DEP_2)
	v_bitop3_b32 v19, v10, s13, v10 bitop3:0x30
	s_wait_kmcnt 0x0
	v_mad_u32 v0, v0, s0, v14
	s_delay_alu instid0(VALU_DEP_2) | instskip(SKIP_4) | instid1(VALU_DEP_4)
	v_lshlrev_b32_e32 v21, 29, v19
	v_bitop3_b32 v5, v10, 1, s13 bitop3:0x40
	v_dual_lshlrev_b32 v18, 30, v19 :: v_dual_lshlrev_b32 v22, 28, v19
	v_dual_lshlrev_b32 v23, 27, v19 :: v_dual_lshlrev_b32 v24, 26, v19
	v_lshlrev_b32_e32 v25, 25, v19
	v_add_co_u32 v5, s0, v5, -1
	s_delay_alu instid0(VALU_DEP_1)
	v_cndmask_b32_e64 v10, 0, 1, s0
	v_cmp_gt_i32_e64 s0, 0, v18
	v_cmp_gt_i32_e64 s1, 0, v21
	;; [unrolled: 1-line block ×4, first 2 shown]
	v_cmp_ne_u32_e32 vcc_lo, 0, v10
	v_not_b32_e32 v10, v18
	v_lshlrev_b32_e32 v26, 24, v19
	v_not_b32_e32 v18, v21
	v_not_b32_e32 v21, v22
	;; [unrolled: 1-line block ×3, first 2 shown]
	v_ashrrev_i32_e32 v10, 31, v10
	v_not_b32_e32 v23, v24
	v_dual_ashrrev_i32 v18, 31, v18 :: v_dual_bitop2_b32 v5, vcc_lo, v5 bitop3:0x14
	s_delay_alu instid0(VALU_DEP_3)
	v_dual_ashrrev_i32 v21, 31, v21 :: v_dual_bitop2_b32 v10, s0, v10 bitop3:0x14
	v_cmp_gt_i32_e64 s5, 0, v24
	v_cmp_gt_i32_e64 s6, 0, v25
	v_not_b32_e32 v24, v25
	v_not_b32_e32 v25, v26
	v_dual_ashrrev_i32 v22, 31, v22 :: v_dual_ashrrev_i32 v23, 31, v23
	v_xor_b32_e32 v18, s1, v18
	v_dual_lshrrev_b32 v0, 5, v0 :: v_dual_bitop2_b32 v21, s3, v21 bitop3:0x14
	v_bitop3_b32 v5, v5, v10, exec_lo bitop3:0x80
	v_cmp_gt_i32_e64 s7, 0, v26
	v_dual_ashrrev_i32 v10, 31, v24 :: v_dual_ashrrev_i32 v24, 31, v25
	v_xor_b32_e32 v22, s4, v22
	v_dual_lshlrev_b32 v0, 2, v0 :: v_dual_bitop2_b32 v23, s5, v23 bitop3:0x14
	v_bitop3_b32 v5, v5, v21, v18 bitop3:0x80
	s_delay_alu instid0(VALU_DEP_4)
	v_xor_b32_e32 v18, s6, v10
	v_xor_b32_e32 v21, s7, v24
	v_mul_u32_u24_e32 v10, 36, v14
	ds_store_2addr_b32 v10, v11, v11 offset0:16 offset1:17
	ds_store_2addr_b32 v10, v11, v11 offset0:18 offset1:19
	;; [unrolled: 1-line block ×4, first 2 shown]
	v_bitop3_b32 v5, v5, v23, v22 bitop3:0x80
	ds_store_b32 v10, v11 offset:96
	v_mad_u32 v11, 0x44, v19, v0
	s_not_b32 s6, s13
	s_wait_storecnt 0x0
	s_wait_loadcnt_dscnt 0x0
	v_bitop3_b32 v18, v5, v21, v18 bitop3:0x80
	s_barrier_signal -1
	s_barrier_wait -1
	s_delay_alu instid0(VALU_DEP_1) | instskip(SKIP_1) | instid1(VALU_DEP_2)
	v_mbcnt_lo_u32_b32 v5, v18, 0
	v_cmp_ne_u32_e64 s0, 0, v18
	; wave barrier
	v_cmp_eq_u32_e32 vcc_lo, 0, v5
	s_and_b32 s1, s0, vcc_lo
	s_delay_alu instid0(SALU_CYCLE_1)
	s_and_saveexec_b32 s0, s1
; %bb.96:
	v_bcnt_u32_b32 v18, v18, 0
	ds_store_b32 v11, v18 offset:64
; %bb.97:
	s_or_b32 exec_lo, exec_lo, s0
	v_xor_b32_e32 v18, 0x7fffffff, v12
	; wave barrier
	s_delay_alu instid0(VALU_DEP_1) | instskip(NEXT) | instid1(VALU_DEP_1)
	v_lshrrev_b32_e32 v12, s16, v18
	v_and_b32_e32 v19, s6, v12
	s_delay_alu instid0(VALU_DEP_1) | instskip(SKIP_1) | instid1(VALU_DEP_1)
	v_lshlrev_b32_e32 v23, 30, v19
	v_bitop3_b32 v21, v12, 1, s6 bitop3:0x80
	v_add_co_u32 v21, s0, v21, -1
	s_delay_alu instid0(VALU_DEP_1) | instskip(NEXT) | instid1(VALU_DEP_4)
	v_cndmask_b32_e64 v22, 0, 1, s0
	v_cmp_gt_i32_e64 s0, 0, v23
	s_delay_alu instid0(VALU_DEP_2) | instskip(SKIP_1) | instid1(VALU_DEP_1)
	v_cmp_ne_u32_e32 vcc_lo, 0, v22
	v_not_b32_e32 v22, v23
	v_dual_ashrrev_i32 v22, 31, v22 :: v_dual_lshlrev_b32 v24, 29, v19
	v_dual_lshlrev_b32 v25, 28, v19 :: v_dual_lshlrev_b32 v26, 27, v19
	v_lshlrev_b32_e32 v27, 26, v19
	v_mad_u32 v12, 0x44, v19, v0
	s_delay_alu instid0(VALU_DEP_4)
	v_cmp_gt_i32_e64 s1, 0, v24
	v_not_b32_e32 v23, v24
	v_not_b32_e32 v24, v25
	v_dual_lshlrev_b32 v28, 25, v19 :: v_dual_lshlrev_b32 v19, 24, v19
	v_cmp_gt_i32_e64 s3, 0, v25
	v_cmp_gt_i32_e64 s4, 0, v26
	v_not_b32_e32 v25, v26
	v_not_b32_e32 v26, v27
	v_dual_ashrrev_i32 v23, 31, v23 :: v_dual_bitop2_b32 v21, vcc_lo, v21 bitop3:0x14
	v_dual_ashrrev_i32 v24, 31, v24 :: v_dual_bitop2_b32 v22, s0, v22 bitop3:0x14
	v_cmp_gt_i32_e64 s5, 0, v27
	s_delay_alu instid0(VALU_DEP_4) | instskip(SKIP_1) | instid1(VALU_DEP_4)
	v_dual_ashrrev_i32 v25, 31, v25 :: v_dual_ashrrev_i32 v26, 31, v26
	v_not_b32_e32 v27, v19
	v_xor_b32_e32 v24, s3, v24
	v_bitop3_b32 v21, v21, v22, exec_lo bitop3:0x80
	v_not_b32_e32 v22, v28
	v_xor_b32_e32 v23, s1, v23
	v_xor_b32_e32 v25, s4, v25
	;; [unrolled: 1-line block ×3, first 2 shown]
	v_cmp_gt_i32_e32 vcc_lo, 0, v28
	v_ashrrev_i32_e32 v22, 31, v22
	v_cmp_gt_i32_e64 s0, 0, v19
	v_ashrrev_i32_e32 v19, 31, v27
	v_bitop3_b32 v21, v21, v24, v23 bitop3:0x80
	s_delay_alu instid0(VALU_DEP_4) | instskip(NEXT) | instid1(VALU_DEP_3)
	v_xor_b32_e32 v22, vcc_lo, v22
	v_xor_b32_e32 v19, s0, v19
	s_delay_alu instid0(VALU_DEP_3) | instskip(SKIP_2) | instid1(VALU_DEP_1)
	v_bitop3_b32 v23, v21, v26, v25 bitop3:0x80
	ds_load_b32 v21, v12 offset:64
	; wave barrier
	v_bitop3_b32 v19, v23, v19, v22 bitop3:0x80
	v_mbcnt_lo_u32_b32 v22, v19, 0
	v_cmp_ne_u32_e64 s0, 0, v19
	s_delay_alu instid0(VALU_DEP_2) | instskip(SKIP_1) | instid1(SALU_CYCLE_1)
	v_cmp_eq_u32_e32 vcc_lo, 0, v22
	s_and_b32 s1, s0, vcc_lo
	s_and_saveexec_b32 s0, s1
	s_cbranch_execz .LBB858_99
; %bb.98:
	s_wait_dscnt 0x0
	v_bcnt_u32_b32 v19, v19, v21
	ds_store_b32 v12, v19 offset:64
.LBB858_99:
	s_or_b32 exec_lo, exec_lo, s0
	v_xor_b32_e32 v19, 0x7fffffff, v13
	; wave barrier
	s_delay_alu instid0(VALU_DEP_1) | instskip(NEXT) | instid1(VALU_DEP_1)
	v_lshrrev_b32_e32 v13, s16, v19
	v_bitop3_b32 v24, v13, 1, s6 bitop3:0x80
	v_and_b32_e32 v23, s6, v13
	s_delay_alu instid0(VALU_DEP_2) | instskip(NEXT) | instid1(VALU_DEP_1)
	v_add_co_u32 v24, s0, v24, -1
	v_cndmask_b32_e64 v25, 0, 1, s0
	s_delay_alu instid0(VALU_DEP_3) | instskip(NEXT) | instid1(VALU_DEP_2)
	v_dual_lshlrev_b32 v26, 30, v23 :: v_dual_lshlrev_b32 v27, 29, v23
	v_cmp_ne_u32_e32 vcc_lo, 0, v25
	s_delay_alu instid0(VALU_DEP_2) | instskip(SKIP_1) | instid1(VALU_DEP_4)
	v_cmp_gt_i32_e64 s0, 0, v26
	v_not_b32_e32 v25, v26
	v_not_b32_e32 v26, v27
	v_cmp_gt_i32_e64 s1, 0, v27
	s_delay_alu instid0(VALU_DEP_3) | instskip(NEXT) | instid1(VALU_DEP_3)
	v_dual_ashrrev_i32 v25, 31, v25 :: v_dual_bitop2_b32 v24, vcc_lo, v24 bitop3:0x14
	v_dual_ashrrev_i32 v26, 31, v26 :: v_dual_lshlrev_b32 v28, 28, v23
	v_dual_lshlrev_b32 v29, 27, v23 :: v_dual_lshlrev_b32 v30, 26, v23
	v_lshlrev_b32_e32 v31, 25, v23
	v_mad_u32 v13, 0x44, v23, v0
	s_delay_alu instid0(VALU_DEP_4)
	v_not_b32_e32 v27, v28
	v_lshlrev_b32_e32 v23, 24, v23
	v_cmp_gt_i32_e64 s3, 0, v28
	v_cmp_gt_i32_e64 s4, 0, v29
	v_not_b32_e32 v28, v29
	v_not_b32_e32 v29, v30
	v_dual_ashrrev_i32 v27, 31, v27 :: v_dual_bitop2_b32 v25, s0, v25 bitop3:0x14
	v_cmp_gt_i32_e64 s5, 0, v30
	s_delay_alu instid0(VALU_DEP_3) | instskip(SKIP_1) | instid1(VALU_DEP_4)
	v_dual_ashrrev_i32 v28, 31, v28 :: v_dual_ashrrev_i32 v29, 31, v29
	v_not_b32_e32 v30, v23
	v_xor_b32_e32 v27, s3, v27
	v_bitop3_b32 v24, v24, v25, exec_lo bitop3:0x80
	v_not_b32_e32 v25, v31
	v_xor_b32_e32 v26, s1, v26
	v_xor_b32_e32 v28, s4, v28
	;; [unrolled: 1-line block ×3, first 2 shown]
	v_cmp_gt_i32_e32 vcc_lo, 0, v31
	v_ashrrev_i32_e32 v25, 31, v25
	v_cmp_gt_i32_e64 s0, 0, v23
	v_ashrrev_i32_e32 v23, 31, v30
	v_bitop3_b32 v24, v24, v27, v26 bitop3:0x80
	s_delay_alu instid0(VALU_DEP_4) | instskip(NEXT) | instid1(VALU_DEP_3)
	v_xor_b32_e32 v25, vcc_lo, v25
	v_xor_b32_e32 v23, s0, v23
	s_delay_alu instid0(VALU_DEP_3) | instskip(SKIP_2) | instid1(VALU_DEP_1)
	v_bitop3_b32 v26, v24, v29, v28 bitop3:0x80
	ds_load_b32 v24, v13 offset:64
	; wave barrier
	v_bitop3_b32 v23, v26, v23, v25 bitop3:0x80
	v_mbcnt_lo_u32_b32 v25, v23, 0
	v_cmp_ne_u32_e64 s0, 0, v23
	s_delay_alu instid0(VALU_DEP_2) | instskip(SKIP_1) | instid1(SALU_CYCLE_1)
	v_cmp_eq_u32_e32 vcc_lo, 0, v25
	s_and_b32 s1, s0, vcc_lo
	s_and_saveexec_b32 s0, s1
	s_cbranch_execz .LBB858_101
; %bb.100:
	s_wait_dscnt 0x0
	v_bcnt_u32_b32 v23, v23, v24
	ds_store_b32 v13, v23 offset:64
.LBB858_101:
	s_or_b32 exec_lo, exec_lo, s0
	v_xor_b32_e32 v20, 0x7fffffff, v20
	; wave barrier
	s_delay_alu instid0(VALU_DEP_1) | instskip(NEXT) | instid1(VALU_DEP_1)
	v_lshrrev_b32_e32 v23, s16, v20
	v_and_b32_e32 v26, s6, v23
	s_delay_alu instid0(VALU_DEP_1) | instskip(SKIP_2) | instid1(VALU_DEP_2)
	v_lshlrev_b32_e32 v28, 30, v26
	v_bitop3_b32 v23, v23, 1, s6 bitop3:0x80
	v_lshlrev_b32_e32 v29, 29, v26
	v_add_co_u32 v23, s0, v23, -1
	s_delay_alu instid0(VALU_DEP_1) | instskip(SKIP_1) | instid1(VALU_DEP_2)
	v_cndmask_b32_e64 v27, 0, 1, s0
	v_cmp_gt_i32_e64 s0, 0, v28
	v_cmp_ne_u32_e32 vcc_lo, 0, v27
	v_not_b32_e32 v27, v28
	v_not_b32_e32 v28, v29
	s_delay_alu instid0(VALU_DEP_1)
	v_dual_ashrrev_i32 v28, 31, v28 :: v_dual_lshlrev_b32 v30, 28, v26
	v_mad_u32 v33, 0x44, v26, v0
	v_dual_lshlrev_b32 v31, 27, v26 :: v_dual_lshlrev_b32 v32, 26, v26
	v_dual_lshlrev_b32 v34, 25, v26 :: v_dual_lshlrev_b32 v26, 24, v26
	v_cmp_gt_i32_e64 s1, 0, v29
	v_not_b32_e32 v29, v30
	v_ashrrev_i32_e32 v27, 31, v27
	v_cmp_gt_i32_e64 s3, 0, v30
	v_cmp_gt_i32_e64 s4, 0, v31
	v_not_b32_e32 v30, v31
	v_cmp_gt_i32_e64 s5, 0, v32
	v_not_b32_e32 v31, v32
	v_dual_ashrrev_i32 v29, 31, v29 :: v_dual_bitop2_b32 v23, vcc_lo, v23 bitop3:0x14
	v_not_b32_e32 v32, v26
	v_dual_ashrrev_i32 v30, 31, v30 :: v_dual_bitop2_b32 v27, s0, v27 bitop3:0x14
	s_delay_alu instid0(VALU_DEP_4) | instskip(SKIP_1) | instid1(VALU_DEP_4)
	v_dual_ashrrev_i32 v31, 31, v31 :: v_dual_bitop2_b32 v28, s1, v28 bitop3:0x14
	v_cmp_gt_i32_e64 s0, 0, v26
	v_ashrrev_i32_e32 v26, 31, v32
	s_delay_alu instid0(VALU_DEP_4)
	v_bitop3_b32 v23, v23, v27, exec_lo bitop3:0x80
	v_not_b32_e32 v27, v34
	v_xor_b32_e32 v29, s3, v29
	v_xor_b32_e32 v30, s4, v30
	;; [unrolled: 1-line block ×3, first 2 shown]
	v_cmp_gt_i32_e32 vcc_lo, 0, v34
	v_ashrrev_i32_e32 v27, 31, v27
	v_bitop3_b32 v23, v23, v29, v28 bitop3:0x80
	v_xor_b32_e32 v26, s0, v26
	s_delay_alu instid0(VALU_DEP_3) | instskip(NEXT) | instid1(VALU_DEP_3)
	v_xor_b32_e32 v28, vcc_lo, v27
	v_bitop3_b32 v23, v23, v31, v30 bitop3:0x80
	ds_load_b32 v27, v33 offset:64
	; wave barrier
	v_bitop3_b32 v23, v23, v26, v28 bitop3:0x80
	s_delay_alu instid0(VALU_DEP_1) | instskip(SKIP_1) | instid1(VALU_DEP_2)
	v_mbcnt_lo_u32_b32 v28, v23, 0
	v_cmp_ne_u32_e64 s0, 0, v23
	v_cmp_eq_u32_e32 vcc_lo, 0, v28
	s_and_b32 s1, s0, vcc_lo
	s_delay_alu instid0(SALU_CYCLE_1)
	s_and_saveexec_b32 s0, s1
	s_cbranch_execz .LBB858_103
; %bb.102:
	s_wait_dscnt 0x0
	v_bcnt_u32_b32 v23, v23, v27
	ds_store_b32 v33, v23 offset:64
.LBB858_103:
	s_or_b32 exec_lo, exec_lo, s0
	v_xor_b32_e32 v23, 0x7fffffff, v9
	; wave barrier
	s_delay_alu instid0(VALU_DEP_1) | instskip(NEXT) | instid1(VALU_DEP_1)
	v_lshrrev_b32_e32 v9, s16, v23
	v_and_b32_e32 v26, s6, v9
	s_delay_alu instid0(VALU_DEP_1) | instskip(SKIP_2) | instid1(VALU_DEP_2)
	v_lshlrev_b32_e32 v30, 30, v26
	v_bitop3_b32 v9, v9, 1, s6 bitop3:0x80
	v_lshlrev_b32_e32 v31, 29, v26
	v_add_co_u32 v9, s0, v9, -1
	s_delay_alu instid0(VALU_DEP_1) | instskip(SKIP_1) | instid1(VALU_DEP_2)
	v_cndmask_b32_e64 v29, 0, 1, s0
	v_cmp_gt_i32_e64 s0, 0, v30
	v_cmp_ne_u32_e32 vcc_lo, 0, v29
	v_not_b32_e32 v29, v30
	v_not_b32_e32 v30, v31
	s_delay_alu instid0(VALU_DEP_1) | instskip(SKIP_4) | instid1(VALU_DEP_4)
	v_ashrrev_i32_e32 v30, 31, v30
	v_dual_lshlrev_b32 v32, 28, v26 :: v_dual_lshlrev_b32 v34, 27, v26
	v_lshlrev_b32_e32 v35, 26, v26
	v_cmp_gt_i32_e64 s1, 0, v31
	v_mad_u32 v37, 0x44, v26, v0
	v_not_b32_e32 v31, v32
	v_dual_ashrrev_i32 v29, 31, v29 :: v_dual_lshlrev_b32 v36, 25, v26
	v_lshlrev_b32_e32 v26, 24, v26
	v_cmp_gt_i32_e64 s3, 0, v32
	v_cmp_gt_i32_e64 s4, 0, v34
	v_not_b32_e32 v32, v34
	v_not_b32_e32 v34, v35
	v_dual_ashrrev_i32 v31, 31, v31 :: v_dual_bitop2_b32 v9, vcc_lo, v9 bitop3:0x14
	v_xor_b32_e32 v29, s0, v29
	v_cmp_gt_i32_e64 s5, 0, v35
	s_delay_alu instid0(VALU_DEP_4) | instskip(NEXT) | instid1(VALU_DEP_4)
	v_dual_ashrrev_i32 v32, 31, v32 :: v_dual_ashrrev_i32 v34, 31, v34
	v_xor_b32_e32 v31, s3, v31
	s_delay_alu instid0(VALU_DEP_4)
	v_bitop3_b32 v9, v9, v29, exec_lo bitop3:0x80
	v_not_b32_e32 v29, v36
	v_xor_b32_e32 v30, s1, v30
	v_not_b32_e32 v35, v26
	v_xor_b32_e32 v32, s4, v32
	v_xor_b32_e32 v34, s5, v34
	v_cmp_gt_i32_e32 vcc_lo, 0, v36
	v_ashrrev_i32_e32 v29, 31, v29
	v_bitop3_b32 v9, v9, v31, v30 bitop3:0x80
	v_cmp_gt_i32_e64 s0, 0, v26
	v_ashrrev_i32_e32 v26, 31, v35
	ds_load_b32 v30, v37 offset:64
	v_xor_b32_e32 v29, vcc_lo, v29
	v_bitop3_b32 v9, v9, v34, v32 bitop3:0x80
	v_xor_b32_e32 v26, s0, v26
	; wave barrier
	s_delay_alu instid0(VALU_DEP_1) | instskip(NEXT) | instid1(VALU_DEP_1)
	v_bitop3_b32 v9, v9, v26, v29 bitop3:0x80
	v_mbcnt_lo_u32_b32 v31, v9, 0
	v_cmp_ne_u32_e64 s0, 0, v9
	s_delay_alu instid0(VALU_DEP_2) | instskip(SKIP_1) | instid1(SALU_CYCLE_1)
	v_cmp_eq_u32_e32 vcc_lo, 0, v31
	s_and_b32 s1, s0, vcc_lo
	s_and_saveexec_b32 s0, s1
	s_cbranch_execz .LBB858_105
; %bb.104:
	s_wait_dscnt 0x0
	v_bcnt_u32_b32 v9, v9, v30
	ds_store_b32 v37, v9 offset:64
.LBB858_105:
	s_or_b32 exec_lo, exec_lo, s0
	v_xor_b32_e32 v26, 0x7fffffff, v8
	; wave barrier
	s_delay_alu instid0(VALU_DEP_1) | instskip(NEXT) | instid1(VALU_DEP_1)
	v_lshrrev_b32_e32 v8, s16, v26
	v_and_b32_e32 v9, s6, v8
	s_delay_alu instid0(VALU_DEP_1) | instskip(SKIP_1) | instid1(VALU_DEP_1)
	v_lshlrev_b32_e32 v32, 30, v9
	v_bitop3_b32 v8, v8, 1, s6 bitop3:0x80
	v_add_co_u32 v8, s0, v8, -1
	s_delay_alu instid0(VALU_DEP_1) | instskip(NEXT) | instid1(VALU_DEP_4)
	v_cndmask_b32_e64 v29, 0, 1, s0
	v_cmp_gt_i32_e64 s0, 0, v32
	s_delay_alu instid0(VALU_DEP_2) | instskip(SKIP_1) | instid1(VALU_DEP_1)
	v_cmp_ne_u32_e32 vcc_lo, 0, v29
	v_not_b32_e32 v29, v32
	v_ashrrev_i32_e32 v29, 31, v29
	v_dual_lshlrev_b32 v34, 29, v9 :: v_dual_lshlrev_b32 v35, 28, v9
	v_dual_lshlrev_b32 v36, 27, v9 :: v_dual_lshlrev_b32 v38, 26, v9
	v_mad_u32 v40, 0x44, v9, v0
	s_delay_alu instid0(VALU_DEP_3)
	v_cmp_gt_i32_e64 s1, 0, v34
	v_not_b32_e32 v32, v34
	v_not_b32_e32 v34, v35
	v_dual_lshlrev_b32 v39, 25, v9 :: v_dual_lshlrev_b32 v9, 24, v9
	v_cmp_gt_i32_e64 s3, 0, v35
	v_cmp_gt_i32_e64 s4, 0, v36
	v_not_b32_e32 v35, v36
	v_not_b32_e32 v36, v38
	v_dual_ashrrev_i32 v34, 31, v34 :: v_dual_bitop2_b32 v8, vcc_lo, v8 bitop3:0x14
	v_dual_ashrrev_i32 v32, 31, v32 :: v_dual_bitop2_b32 v29, s0, v29 bitop3:0x14
	v_cmp_gt_i32_e64 s5, 0, v38
	s_delay_alu instid0(VALU_DEP_4) | instskip(NEXT) | instid1(VALU_DEP_4)
	v_dual_ashrrev_i32 v35, 31, v35 :: v_dual_ashrrev_i32 v36, 31, v36
	v_xor_b32_e32 v34, s3, v34
	s_delay_alu instid0(VALU_DEP_4)
	v_bitop3_b32 v8, v8, v29, exec_lo bitop3:0x80
	v_not_b32_e32 v29, v39
	v_xor_b32_e32 v32, s1, v32
	v_not_b32_e32 v38, v9
	v_xor_b32_e32 v35, s4, v35
	v_xor_b32_e32 v36, s5, v36
	v_cmp_gt_i32_e32 vcc_lo, 0, v39
	v_ashrrev_i32_e32 v29, 31, v29
	v_bitop3_b32 v8, v8, v34, v32 bitop3:0x80
	v_cmp_gt_i32_e64 s0, 0, v9
	v_ashrrev_i32_e32 v9, 31, v38
	ds_load_b32 v34, v40 offset:64
	v_xor_b32_e32 v29, vcc_lo, v29
	v_bitop3_b32 v8, v8, v36, v35 bitop3:0x80
	v_xor_b32_e32 v9, s0, v9
	; wave barrier
	s_delay_alu instid0(VALU_DEP_1) | instskip(NEXT) | instid1(VALU_DEP_1)
	v_bitop3_b32 v8, v8, v9, v29 bitop3:0x80
	v_mbcnt_lo_u32_b32 v35, v8, 0
	v_cmp_ne_u32_e64 s0, 0, v8
	s_delay_alu instid0(VALU_DEP_2) | instskip(SKIP_1) | instid1(SALU_CYCLE_1)
	v_cmp_eq_u32_e32 vcc_lo, 0, v35
	s_and_b32 s1, s0, vcc_lo
	s_and_saveexec_b32 s0, s1
	s_cbranch_execz .LBB858_107
; %bb.106:
	s_wait_dscnt 0x0
	v_bcnt_u32_b32 v8, v8, v34
	ds_store_b32 v40, v8 offset:64
.LBB858_107:
	s_or_b32 exec_lo, exec_lo, s0
	v_xor_b32_e32 v29, 0x7fffffff, v7
	; wave barrier
	s_delay_alu instid0(VALU_DEP_1) | instskip(NEXT) | instid1(VALU_DEP_1)
	v_lshrrev_b32_e32 v7, s16, v29
	v_and_b32_e32 v8, s6, v7
	s_delay_alu instid0(VALU_DEP_1) | instskip(SKIP_1) | instid1(VALU_DEP_1)
	v_lshlrev_b32_e32 v32, 30, v8
	v_bitop3_b32 v7, v7, 1, s6 bitop3:0x80
	v_add_co_u32 v7, s0, v7, -1
	s_delay_alu instid0(VALU_DEP_1) | instskip(NEXT) | instid1(VALU_DEP_4)
	v_cndmask_b32_e64 v9, 0, 1, s0
	v_cmp_gt_i32_e64 s0, 0, v32
	s_delay_alu instid0(VALU_DEP_2) | instskip(SKIP_1) | instid1(VALU_DEP_1)
	v_cmp_ne_u32_e32 vcc_lo, 0, v9
	v_not_b32_e32 v9, v32
	v_dual_ashrrev_i32 v9, 31, v9 :: v_dual_lshlrev_b32 v36, 29, v8
	v_dual_lshlrev_b32 v38, 28, v8 :: v_dual_lshlrev_b32 v39, 27, v8
	v_lshlrev_b32_e32 v41, 26, v8
	v_mad_u32 v44, 0x44, v8, v0
	s_delay_alu instid0(VALU_DEP_4)
	v_cmp_gt_i32_e64 s1, 0, v36
	v_not_b32_e32 v32, v36
	v_not_b32_e32 v36, v38
	v_dual_lshlrev_b32 v42, 25, v8 :: v_dual_lshlrev_b32 v8, 24, v8
	v_cmp_gt_i32_e64 s3, 0, v38
	v_cmp_gt_i32_e64 s4, 0, v39
	v_not_b32_e32 v38, v39
	v_not_b32_e32 v39, v41
	v_dual_ashrrev_i32 v32, 31, v32 :: v_dual_bitop2_b32 v7, vcc_lo, v7 bitop3:0x14
	v_dual_ashrrev_i32 v36, 31, v36 :: v_dual_bitop2_b32 v9, s0, v9 bitop3:0x14
	v_cmp_gt_i32_e64 s5, 0, v41
	s_delay_alu instid0(VALU_DEP_4) | instskip(SKIP_1) | instid1(VALU_DEP_4)
	v_dual_ashrrev_i32 v38, 31, v38 :: v_dual_ashrrev_i32 v39, 31, v39
	v_not_b32_e32 v41, v8
	v_xor_b32_e32 v36, s3, v36
	v_bitop3_b32 v7, v7, v9, exec_lo bitop3:0x80
	v_not_b32_e32 v9, v42
	v_xor_b32_e32 v32, s1, v32
	v_xor_b32_e32 v38, s4, v38
	v_xor_b32_e32 v39, s5, v39
	v_cmp_gt_i32_e32 vcc_lo, 0, v42
	v_ashrrev_i32_e32 v9, 31, v9
	v_cmp_gt_i32_e64 s0, 0, v8
	v_ashrrev_i32_e32 v8, 31, v41
	v_bitop3_b32 v7, v7, v36, v32 bitop3:0x80
	s_delay_alu instid0(VALU_DEP_4) | instskip(NEXT) | instid1(VALU_DEP_3)
	v_xor_b32_e32 v9, vcc_lo, v9
	v_xor_b32_e32 v8, s0, v8
	s_delay_alu instid0(VALU_DEP_3) | instskip(SKIP_2) | instid1(VALU_DEP_1)
	v_bitop3_b32 v7, v7, v39, v38 bitop3:0x80
	ds_load_b32 v38, v44 offset:64
	; wave barrier
	v_bitop3_b32 v7, v7, v8, v9 bitop3:0x80
	v_mbcnt_lo_u32_b32 v39, v7, 0
	v_cmp_ne_u32_e64 s0, 0, v7
	s_delay_alu instid0(VALU_DEP_2) | instskip(SKIP_1) | instid1(SALU_CYCLE_1)
	v_cmp_eq_u32_e32 vcc_lo, 0, v39
	s_and_b32 s1, s0, vcc_lo
	s_and_saveexec_b32 s0, s1
	s_cbranch_execz .LBB858_109
; %bb.108:
	s_wait_dscnt 0x0
	v_bcnt_u32_b32 v7, v7, v38
	ds_store_b32 v44, v7 offset:64
.LBB858_109:
	s_or_b32 exec_lo, exec_lo, s0
	v_xor_b32_e32 v32, 0x7fffffff, v6
	; wave barrier
	s_delay_alu instid0(VALU_DEP_1) | instskip(NEXT) | instid1(VALU_DEP_1)
	v_lshrrev_b32_e32 v6, s16, v32
	v_and_b32_e32 v7, s6, v6
	s_delay_alu instid0(VALU_DEP_1) | instskip(SKIP_1) | instid1(VALU_DEP_1)
	v_lshlrev_b32_e32 v9, 30, v7
	v_bitop3_b32 v6, v6, 1, s6 bitop3:0x80
	v_add_co_u32 v6, s0, v6, -1
	s_delay_alu instid0(VALU_DEP_1) | instskip(NEXT) | instid1(VALU_DEP_4)
	v_cndmask_b32_e64 v8, 0, 1, s0
	v_cmp_gt_i32_e64 s0, 0, v9
	s_delay_alu instid0(VALU_DEP_2) | instskip(SKIP_1) | instid1(VALU_DEP_1)
	v_cmp_ne_u32_e32 vcc_lo, 0, v8
	v_not_b32_e32 v8, v9
	v_dual_ashrrev_i32 v8, 31, v8 :: v_dual_lshlrev_b32 v36, 29, v7
	v_dual_lshlrev_b32 v41, 28, v7 :: v_dual_lshlrev_b32 v42, 27, v7
	v_lshlrev_b32_e32 v43, 26, v7
	v_mad_u32 v47, 0x44, v7, v0
	s_delay_alu instid0(VALU_DEP_4)
	v_cmp_gt_i32_e64 s1, 0, v36
	v_not_b32_e32 v9, v36
	v_not_b32_e32 v36, v41
	v_dual_lshlrev_b32 v45, 25, v7 :: v_dual_lshlrev_b32 v7, 24, v7
	v_cmp_gt_i32_e64 s3, 0, v41
	v_cmp_gt_i32_e64 s4, 0, v42
	v_not_b32_e32 v41, v42
	v_not_b32_e32 v42, v43
	v_dual_ashrrev_i32 v9, 31, v9 :: v_dual_bitop2_b32 v6, vcc_lo, v6 bitop3:0x14
	s_delay_alu instid0(VALU_DEP_3) | instskip(NEXT) | instid1(VALU_DEP_3)
	v_dual_ashrrev_i32 v36, 31, v36 :: v_dual_ashrrev_i32 v41, 31, v41
	v_dual_ashrrev_i32 v42, 31, v42 :: v_dual_bitop2_b32 v8, s0, v8 bitop3:0x14
	v_cmp_gt_i32_e64 s5, 0, v43
	v_not_b32_e32 v43, v7
	s_delay_alu instid0(VALU_DEP_4) | instskip(NEXT) | instid1(VALU_DEP_4)
	v_xor_b32_e32 v36, s3, v36
	v_bitop3_b32 v6, v6, v8, exec_lo bitop3:0x80
	v_not_b32_e32 v8, v45
	v_xor_b32_e32 v9, s1, v9
	v_xor_b32_e32 v41, s4, v41
	;; [unrolled: 1-line block ×3, first 2 shown]
	v_cmp_gt_i32_e32 vcc_lo, 0, v45
	v_ashrrev_i32_e32 v8, 31, v8
	v_cmp_gt_i32_e64 s0, 0, v7
	v_ashrrev_i32_e32 v7, 31, v43
	v_bitop3_b32 v6, v6, v36, v9 bitop3:0x80
	s_delay_alu instid0(VALU_DEP_4) | instskip(NEXT) | instid1(VALU_DEP_3)
	v_xor_b32_e32 v8, vcc_lo, v8
	v_xor_b32_e32 v7, s0, v7
	s_delay_alu instid0(VALU_DEP_3) | instskip(SKIP_2) | instid1(VALU_DEP_1)
	v_bitop3_b32 v6, v6, v42, v41 bitop3:0x80
	ds_load_b32 v42, v47 offset:64
	; wave barrier
	v_bitop3_b32 v6, v6, v7, v8 bitop3:0x80
	v_mbcnt_lo_u32_b32 v43, v6, 0
	v_cmp_ne_u32_e64 s0, 0, v6
	s_delay_alu instid0(VALU_DEP_2) | instskip(SKIP_1) | instid1(SALU_CYCLE_1)
	v_cmp_eq_u32_e32 vcc_lo, 0, v43
	s_and_b32 s1, s0, vcc_lo
	s_and_saveexec_b32 s0, s1
	s_cbranch_execz .LBB858_111
; %bb.110:
	s_wait_dscnt 0x0
	v_bcnt_u32_b32 v6, v6, v42
	ds_store_b32 v47, v6 offset:64
.LBB858_111:
	s_or_b32 exec_lo, exec_lo, s0
	v_xor_b32_e32 v36, 0x7fffffff, v4
	; wave barrier
	s_delay_alu instid0(VALU_DEP_1) | instskip(NEXT) | instid1(VALU_DEP_1)
	v_lshrrev_b32_e32 v4, s16, v36
	v_and_b32_e32 v6, s6, v4
	s_delay_alu instid0(VALU_DEP_1) | instskip(SKIP_1) | instid1(VALU_DEP_1)
	v_lshlrev_b32_e32 v8, 30, v6
	v_bitop3_b32 v4, v4, 1, s6 bitop3:0x80
	v_add_co_u32 v4, s0, v4, -1
	s_delay_alu instid0(VALU_DEP_1) | instskip(NEXT) | instid1(VALU_DEP_4)
	v_cndmask_b32_e64 v7, 0, 1, s0
	v_cmp_gt_i32_e64 s0, 0, v8
	s_delay_alu instid0(VALU_DEP_2) | instskip(SKIP_1) | instid1(VALU_DEP_1)
	v_cmp_ne_u32_e32 vcc_lo, 0, v7
	v_not_b32_e32 v7, v8
	v_dual_ashrrev_i32 v7, 31, v7 :: v_dual_lshlrev_b32 v9, 29, v6
	v_dual_lshlrev_b32 v41, 28, v6 :: v_dual_lshlrev_b32 v45, 27, v6
	v_lshlrev_b32_e32 v46, 26, v6
	v_mad_u32 v51, 0x44, v6, v0
	s_delay_alu instid0(VALU_DEP_4)
	v_cmp_gt_i32_e64 s1, 0, v9
	v_not_b32_e32 v8, v9
	v_not_b32_e32 v9, v41
	v_dual_lshlrev_b32 v48, 25, v6 :: v_dual_lshlrev_b32 v6, 24, v6
	v_cmp_gt_i32_e64 s3, 0, v41
	v_cmp_gt_i32_e64 s4, 0, v45
	v_not_b32_e32 v41, v45
	v_not_b32_e32 v45, v46
	v_dual_ashrrev_i32 v9, 31, v9 :: v_dual_bitop2_b32 v4, vcc_lo, v4 bitop3:0x14
	v_dual_ashrrev_i32 v8, 31, v8 :: v_dual_bitop2_b32 v7, s0, v7 bitop3:0x14
	v_cmp_gt_i32_e64 s5, 0, v46
	v_ashrrev_i32_e32 v41, 31, v41
	v_not_b32_e32 v46, v6
	s_delay_alu instid0(VALU_DEP_4)
	v_xor_b32_e32 v8, s1, v8
	v_xor_b32_e32 v9, s3, v9
	v_bitop3_b32 v4, v4, v7, exec_lo bitop3:0x80
	v_not_b32_e32 v7, v48
	v_ashrrev_i32_e32 v45, 31, v45
	v_xor_b32_e32 v41, s4, v41
	v_cmp_gt_i32_e32 vcc_lo, 0, v48
	v_cmp_gt_i32_e64 s0, 0, v6
	s_delay_alu instid0(VALU_DEP_4)
	v_dual_ashrrev_i32 v7, 31, v7 :: v_dual_bitop2_b32 v45, s5, v45 bitop3:0x14
	v_ashrrev_i32_e32 v6, 31, v46
	v_bitop3_b32 v4, v4, v9, v8 bitop3:0x80
	ds_load_b32 v46, v51 offset:64
	v_xor_b32_e32 v7, vcc_lo, v7
	v_xor_b32_e32 v6, s0, v6
	v_bitop3_b32 v4, v4, v45, v41 bitop3:0x80
	; wave barrier
	s_delay_alu instid0(VALU_DEP_1) | instskip(NEXT) | instid1(VALU_DEP_1)
	v_bitop3_b32 v4, v4, v6, v7 bitop3:0x80
	v_mbcnt_lo_u32_b32 v48, v4, 0
	v_cmp_ne_u32_e64 s0, 0, v4
	s_delay_alu instid0(VALU_DEP_2) | instskip(SKIP_1) | instid1(SALU_CYCLE_1)
	v_cmp_eq_u32_e32 vcc_lo, 0, v48
	s_and_b32 s1, s0, vcc_lo
	s_and_saveexec_b32 s0, s1
	s_cbranch_execz .LBB858_113
; %bb.112:
	s_wait_dscnt 0x0
	v_bcnt_u32_b32 v4, v4, v46
	ds_store_b32 v51, v4 offset:64
.LBB858_113:
	s_or_b32 exec_lo, exec_lo, s0
	v_xor_b32_e32 v41, 0x7fffffff, v3
	; wave barrier
	s_delay_alu instid0(VALU_DEP_1) | instskip(NEXT) | instid1(VALU_DEP_1)
	v_lshrrev_b32_e32 v3, s16, v41
	v_and_b32_e32 v4, s6, v3
	s_delay_alu instid0(VALU_DEP_1) | instskip(SKIP_1) | instid1(VALU_DEP_1)
	v_lshlrev_b32_e32 v7, 30, v4
	v_bitop3_b32 v3, v3, 1, s6 bitop3:0x80
	v_add_co_u32 v3, s0, v3, -1
	s_delay_alu instid0(VALU_DEP_1) | instskip(NEXT) | instid1(VALU_DEP_4)
	v_cndmask_b32_e64 v6, 0, 1, s0
	v_cmp_gt_i32_e64 s0, 0, v7
	s_delay_alu instid0(VALU_DEP_2) | instskip(SKIP_1) | instid1(VALU_DEP_1)
	v_cmp_ne_u32_e32 vcc_lo, 0, v6
	v_not_b32_e32 v6, v7
	v_dual_ashrrev_i32 v6, 31, v6 :: v_dual_lshlrev_b32 v8, 29, v4
	v_dual_lshlrev_b32 v9, 28, v4 :: v_dual_lshlrev_b32 v45, 27, v4
	v_lshlrev_b32_e32 v49, 26, v4
	v_mad_u32 v54, 0x44, v4, v0
	s_delay_alu instid0(VALU_DEP_4)
	v_cmp_gt_i32_e64 s1, 0, v8
	v_not_b32_e32 v7, v8
	v_not_b32_e32 v8, v9
	v_dual_lshlrev_b32 v50, 25, v4 :: v_dual_lshlrev_b32 v4, 24, v4
	v_cmp_gt_i32_e64 s3, 0, v9
	v_cmp_gt_i32_e64 s4, 0, v45
	v_not_b32_e32 v9, v45
	v_not_b32_e32 v45, v49
	v_dual_ashrrev_i32 v8, 31, v8 :: v_dual_bitop2_b32 v3, vcc_lo, v3 bitop3:0x14
	v_dual_ashrrev_i32 v7, 31, v7 :: v_dual_bitop2_b32 v6, s0, v6 bitop3:0x14
	v_cmp_gt_i32_e64 s5, 0, v49
	v_ashrrev_i32_e32 v9, 31, v9
	s_delay_alu instid0(VALU_DEP_4) | instskip(NEXT) | instid1(VALU_DEP_4)
	v_dual_ashrrev_i32 v45, 31, v45 :: v_dual_bitop2_b32 v8, s3, v8 bitop3:0x14
	v_xor_b32_e32 v7, s1, v7
	v_bitop3_b32 v3, v3, v6, exec_lo bitop3:0x80
	v_not_b32_e32 v6, v50
	v_not_b32_e32 v49, v4
	v_xor_b32_e32 v9, s4, v9
	v_xor_b32_e32 v45, s5, v45
	v_bitop3_b32 v3, v3, v8, v7 bitop3:0x80
	v_cmp_gt_i32_e32 vcc_lo, 0, v50
	v_ashrrev_i32_e32 v6, 31, v6
	v_cmp_gt_i32_e64 s0, 0, v4
	v_ashrrev_i32_e32 v4, 31, v49
	v_bitop3_b32 v3, v3, v45, v9 bitop3:0x80
	ds_load_b32 v50, v54 offset:64
	v_xor_b32_e32 v6, vcc_lo, v6
	v_xor_b32_e32 v4, s0, v4
	; wave barrier
	s_delay_alu instid0(VALU_DEP_1) | instskip(NEXT) | instid1(VALU_DEP_1)
	v_bitop3_b32 v3, v3, v4, v6 bitop3:0x80
	v_mbcnt_lo_u32_b32 v52, v3, 0
	v_cmp_ne_u32_e64 s0, 0, v3
	s_delay_alu instid0(VALU_DEP_2) | instskip(SKIP_1) | instid1(SALU_CYCLE_1)
	v_cmp_eq_u32_e32 vcc_lo, 0, v52
	s_and_b32 s1, s0, vcc_lo
	s_and_saveexec_b32 s0, s1
	s_cbranch_execz .LBB858_115
; %bb.114:
	s_wait_dscnt 0x0
	v_bcnt_u32_b32 v3, v3, v50
	ds_store_b32 v54, v3 offset:64
.LBB858_115:
	s_or_b32 exec_lo, exec_lo, s0
	v_xor_b32_e32 v45, 0x7fffffff, v2
	; wave barrier
	s_delay_alu instid0(VALU_DEP_1) | instskip(NEXT) | instid1(VALU_DEP_1)
	v_lshrrev_b32_e32 v2, s16, v45
	v_and_b32_e32 v3, s6, v2
	s_delay_alu instid0(VALU_DEP_1) | instskip(SKIP_1) | instid1(VALU_DEP_1)
	v_lshlrev_b32_e32 v6, 30, v3
	v_bitop3_b32 v2, v2, 1, s6 bitop3:0x80
	v_add_co_u32 v2, s0, v2, -1
	s_delay_alu instid0(VALU_DEP_1) | instskip(NEXT) | instid1(VALU_DEP_4)
	v_cndmask_b32_e64 v4, 0, 1, s0
	v_cmp_gt_i32_e64 s0, 0, v6
	s_delay_alu instid0(VALU_DEP_2) | instskip(SKIP_1) | instid1(VALU_DEP_1)
	v_cmp_ne_u32_e32 vcc_lo, 0, v4
	v_not_b32_e32 v4, v6
	v_dual_ashrrev_i32 v4, 31, v4 :: v_dual_lshlrev_b32 v7, 29, v3
	v_dual_lshlrev_b32 v8, 28, v3 :: v_dual_lshlrev_b32 v9, 27, v3
	v_lshlrev_b32_e32 v49, 26, v3
	v_mad_u32 v56, 0x44, v3, v0
	s_delay_alu instid0(VALU_DEP_4)
	v_cmp_gt_i32_e64 s1, 0, v7
	v_not_b32_e32 v6, v7
	v_not_b32_e32 v7, v8
	v_dual_lshlrev_b32 v53, 25, v3 :: v_dual_lshlrev_b32 v3, 24, v3
	v_cmp_gt_i32_e64 s3, 0, v8
	v_cmp_gt_i32_e64 s4, 0, v9
	v_not_b32_e32 v8, v9
	v_not_b32_e32 v9, v49
	v_dual_ashrrev_i32 v7, 31, v7 :: v_dual_bitop2_b32 v2, vcc_lo, v2 bitop3:0x14
	v_dual_ashrrev_i32 v6, 31, v6 :: v_dual_bitop2_b32 v4, s0, v4 bitop3:0x14
	v_cmp_gt_i32_e64 s5, 0, v49
	s_delay_alu instid0(VALU_DEP_4)
	v_dual_ashrrev_i32 v8, 31, v8 :: v_dual_ashrrev_i32 v9, 31, v9
	v_not_b32_e32 v49, v3
	v_xor_b32_e32 v7, s3, v7
	v_bitop3_b32 v2, v2, v4, exec_lo bitop3:0x80
	v_not_b32_e32 v4, v53
	v_xor_b32_e32 v6, s1, v6
	v_xor_b32_e32 v8, s4, v8
	;; [unrolled: 1-line block ×3, first 2 shown]
	v_cmp_gt_i32_e32 vcc_lo, 0, v53
	v_ashrrev_i32_e32 v4, 31, v4
	v_cmp_gt_i32_e64 s0, 0, v3
	v_ashrrev_i32_e32 v3, 31, v49
	v_bitop3_b32 v2, v2, v7, v6 bitop3:0x80
	ds_load_b32 v53, v56 offset:64
	v_xor_b32_e32 v4, vcc_lo, v4
	v_xor_b32_e32 v3, s0, v3
	v_bitop3_b32 v2, v2, v9, v8 bitop3:0x80
	; wave barrier
	s_delay_alu instid0(VALU_DEP_1) | instskip(NEXT) | instid1(VALU_DEP_1)
	v_bitop3_b32 v2, v2, v3, v4 bitop3:0x80
	v_mbcnt_lo_u32_b32 v55, v2, 0
	v_cmp_ne_u32_e64 s0, 0, v2
	s_delay_alu instid0(VALU_DEP_2) | instskip(SKIP_1) | instid1(SALU_CYCLE_1)
	v_cmp_eq_u32_e32 vcc_lo, 0, v55
	s_and_b32 s1, s0, vcc_lo
	s_and_saveexec_b32 s0, s1
	s_cbranch_execz .LBB858_117
; %bb.116:
	s_wait_dscnt 0x0
	v_bcnt_u32_b32 v2, v2, v53
	ds_store_b32 v56, v2 offset:64
.LBB858_117:
	s_or_b32 exec_lo, exec_lo, s0
	v_xor_b32_e32 v49, 0x7fffffff, v1
	; wave barrier
	s_delay_alu instid0(VALU_DEP_1) | instskip(NEXT) | instid1(VALU_DEP_1)
	v_lshrrev_b32_e32 v1, s16, v49
	v_and_b32_e32 v2, s6, v1
	s_delay_alu instid0(VALU_DEP_1) | instskip(SKIP_2) | instid1(VALU_DEP_2)
	v_lshlrev_b32_e32 v3, 30, v2
	v_bitop3_b32 v1, v1, 1, s6 bitop3:0x80
	v_mad_u32 v59, 0x44, v2, v0
	v_add_co_u32 v0, s0, v1, -1
	s_delay_alu instid0(VALU_DEP_1) | instskip(SKIP_4) | instid1(VALU_DEP_1)
	v_cndmask_b32_e64 v1, 0, 1, s0
	v_cmp_gt_i32_e64 s0, 0, v3
	ds_load_b32 v57, v59 offset:64
	v_cmp_ne_u32_e32 vcc_lo, 0, v1
	v_not_b32_e32 v1, v3
	; wave barrier
	v_dual_ashrrev_i32 v1, 31, v1 :: v_dual_lshlrev_b32 v4, 29, v2
	v_dual_lshlrev_b32 v6, 28, v2 :: v_dual_lshlrev_b32 v7, 27, v2
	v_dual_lshlrev_b32 v8, 26, v2 :: v_dual_lshlrev_b32 v9, 25, v2
	v_lshlrev_b32_e32 v2, 24, v2
	s_delay_alu instid0(VALU_DEP_4)
	v_cmp_gt_i32_e64 s1, 0, v4
	v_not_b32_e32 v3, v4
	v_not_b32_e32 v4, v6
	v_cmp_gt_i32_e64 s3, 0, v6
	v_cmp_gt_i32_e64 s4, 0, v7
	v_not_b32_e32 v6, v7
	v_not_b32_e32 v7, v8
	v_dual_ashrrev_i32 v3, 31, v3 :: v_dual_bitop2_b32 v0, vcc_lo, v0 bitop3:0x14
	v_dual_ashrrev_i32 v4, 31, v4 :: v_dual_bitop2_b32 v1, s0, v1 bitop3:0x14
	v_cmp_gt_i32_e64 s5, 0, v8
	s_delay_alu instid0(VALU_DEP_4) | instskip(NEXT) | instid1(VALU_DEP_3)
	v_dual_ashrrev_i32 v6, 31, v6 :: v_dual_ashrrev_i32 v7, 31, v7
	v_xor_b32_e32 v4, s3, v4
	s_delay_alu instid0(VALU_DEP_4)
	v_bitop3_b32 v0, v0, v1, exec_lo bitop3:0x80
	v_not_b32_e32 v1, v9
	v_xor_b32_e32 v3, s1, v3
	v_not_b32_e32 v8, v2
	v_xor_b32_e32 v6, s4, v6
	v_xor_b32_e32 v7, s5, v7
	v_cmp_gt_i32_e32 vcc_lo, 0, v9
	v_ashrrev_i32_e32 v1, 31, v1
	v_bitop3_b32 v0, v0, v4, v3 bitop3:0x80
	v_cmp_gt_i32_e64 s0, 0, v2
	s_delay_alu instid0(VALU_DEP_3) | instskip(NEXT) | instid1(VALU_DEP_3)
	v_dual_ashrrev_i32 v2, 31, v8 :: v_dual_bitop2_b32 v1, vcc_lo, v1 bitop3:0x14
	v_bitop3_b32 v0, v0, v7, v6 bitop3:0x80
	s_delay_alu instid0(VALU_DEP_2) | instskip(NEXT) | instid1(VALU_DEP_1)
	v_xor_b32_e32 v2, s0, v2
	v_bitop3_b32 v0, v0, v2, v1 bitop3:0x80
	s_delay_alu instid0(VALU_DEP_1) | instskip(SKIP_1) | instid1(VALU_DEP_2)
	v_mbcnt_lo_u32_b32 v58, v0, 0
	v_cmp_ne_u32_e64 s0, 0, v0
	v_cmp_eq_u32_e32 vcc_lo, 0, v58
	s_and_b32 s1, s0, vcc_lo
	s_delay_alu instid0(SALU_CYCLE_1)
	s_and_saveexec_b32 s0, s1
	s_cbranch_execz .LBB858_119
; %bb.118:
	s_wait_dscnt 0x0
	v_bcnt_u32_b32 v0, v0, v57
	ds_store_b32 v59, v0 offset:64
.LBB858_119:
	s_or_b32 exec_lo, exec_lo, s0
	; wave barrier
	s_wait_dscnt 0x0
	s_barrier_signal -1
	s_barrier_wait -1
	ds_load_2addr_b32 v[8:9], v10 offset0:16 offset1:17
	ds_load_2addr_b32 v[6:7], v10 offset0:18 offset1:19
	;; [unrolled: 1-line block ×4, first 2 shown]
	ds_load_b32 v4, v10 offset:96
	v_min_u32_e32 v16, 0x1e0, v16
	s_mov_b32 s5, exec_lo
	s_wait_dscnt 0x3
	v_add3_u32 v60, v9, v8, v6
	s_wait_dscnt 0x2
	s_delay_alu instid0(VALU_DEP_1) | instskip(SKIP_1) | instid1(VALU_DEP_1)
	v_add3_u32 v60, v60, v7, v2
	s_wait_dscnt 0x1
	v_add3_u32 v60, v60, v3, v0
	s_wait_dscnt 0x0
	s_delay_alu instid0(VALU_DEP_1) | instskip(SKIP_1) | instid1(VALU_DEP_2)
	v_add3_u32 v4, v60, v1, v4
	v_and_b32_e32 v60, 15, v15
	v_mov_b32_dpp v61, v4 row_shr:1 row_mask:0xf bank_mask:0xf
	s_delay_alu instid0(VALU_DEP_2) | instskip(NEXT) | instid1(VALU_DEP_2)
	v_cmp_eq_u32_e32 vcc_lo, 0, v60
	v_cndmask_b32_e64 v61, v61, 0, vcc_lo
	s_delay_alu instid0(VALU_DEP_1) | instskip(SKIP_3) | instid1(VALU_DEP_4)
	v_add_nc_u32_e32 v4, v61, v4
	v_cmp_lt_u32_e64 s0, 1, v60
	v_cmp_lt_u32_e64 s1, 3, v60
	;; [unrolled: 1-line block ×3, first 2 shown]
	v_mov_b32_dpp v61, v4 row_shr:2 row_mask:0xf bank_mask:0xf
	s_delay_alu instid0(VALU_DEP_1) | instskip(NEXT) | instid1(VALU_DEP_1)
	v_cndmask_b32_e64 v61, 0, v61, s0
	v_add_nc_u32_e32 v4, v4, v61
	s_delay_alu instid0(VALU_DEP_1) | instskip(NEXT) | instid1(VALU_DEP_1)
	v_mov_b32_dpp v61, v4 row_shr:4 row_mask:0xf bank_mask:0xf
	v_cndmask_b32_e64 v61, 0, v61, s1
	s_delay_alu instid0(VALU_DEP_1) | instskip(NEXT) | instid1(VALU_DEP_1)
	v_add_nc_u32_e32 v4, v4, v61
	v_mov_b32_dpp v61, v4 row_shr:8 row_mask:0xf bank_mask:0xf
	s_delay_alu instid0(VALU_DEP_1) | instskip(SKIP_1) | instid1(VALU_DEP_2)
	v_cndmask_b32_e64 v60, 0, v61, s3
	v_bfe_i32 v61, v15, 4, 1
	v_add_nc_u32_e32 v4, v4, v60
	ds_swizzle_b32 v60, v4 offset:swizzle(BROADCAST,32,15)
	s_wait_dscnt 0x0
	v_dual_lshrrev_b32 v60, 5, v14 :: v_dual_bitop2_b32 v61, v61, v60 bitop3:0x40
	s_delay_alu instid0(VALU_DEP_1) | instskip(NEXT) | instid1(VALU_DEP_1)
	v_dual_add_nc_u32 v16, v4, v61 :: v_dual_bitop2_b32 v62, 31, v16 bitop3:0x54
	v_cmpx_eq_u32_e64 v14, v62
; %bb.120:
	s_delay_alu instid0(VALU_DEP_3)
	v_lshlrev_b32_e32 v4, 2, v60
	ds_store_b32 v4, v16
; %bb.121:
	s_or_b32 exec_lo, exec_lo, s5
	v_lshlrev_b32_e32 v4, 2, v14
	s_mov_b32 s5, exec_lo
	s_wait_dscnt 0x0
	s_barrier_signal -1
	s_barrier_wait -1
	v_cmpx_gt_u32_e32 16, v14
	s_cbranch_execz .LBB858_123
; %bb.122:
	ds_load_b32 v61, v4
	s_wait_dscnt 0x0
	v_mov_b32_dpp v62, v61 row_shr:1 row_mask:0xf bank_mask:0xf
	s_delay_alu instid0(VALU_DEP_1) | instskip(NEXT) | instid1(VALU_DEP_1)
	v_cndmask_b32_e64 v62, v62, 0, vcc_lo
	v_add_nc_u32_e32 v61, v62, v61
	s_delay_alu instid0(VALU_DEP_1) | instskip(NEXT) | instid1(VALU_DEP_1)
	v_mov_b32_dpp v62, v61 row_shr:2 row_mask:0xf bank_mask:0xf
	v_cndmask_b32_e64 v62, 0, v62, s0
	s_delay_alu instid0(VALU_DEP_1) | instskip(NEXT) | instid1(VALU_DEP_1)
	v_add_nc_u32_e32 v61, v61, v62
	v_mov_b32_dpp v62, v61 row_shr:4 row_mask:0xf bank_mask:0xf
	s_delay_alu instid0(VALU_DEP_1) | instskip(NEXT) | instid1(VALU_DEP_1)
	v_cndmask_b32_e64 v62, 0, v62, s1
	v_add_nc_u32_e32 v61, v61, v62
	s_delay_alu instid0(VALU_DEP_1) | instskip(NEXT) | instid1(VALU_DEP_1)
	v_mov_b32_dpp v62, v61 row_shr:8 row_mask:0xf bank_mask:0xf
	v_cndmask_b32_e64 v62, 0, v62, s3
	s_delay_alu instid0(VALU_DEP_1)
	v_add_nc_u32_e32 v61, v61, v62
	ds_store_b32 v4, v61
.LBB858_123:
	s_or_b32 exec_lo, exec_lo, s5
	v_mov_b32_e32 v61, 0
	s_mov_b32 s0, exec_lo
	s_wait_dscnt 0x0
	s_barrier_signal -1
	s_barrier_wait -1
	v_cmpx_lt_u32_e32 31, v14
; %bb.124:
	v_lshl_add_u32 v60, v60, 2, -4
	ds_load_b32 v61, v60
; %bb.125:
	s_or_b32 exec_lo, exec_lo, s0
	v_sub_co_u32 v60, vcc_lo, v15, 1
	s_wait_dscnt 0x0
	v_add_nc_u32_e32 v16, v61, v16
	s_delay_alu instid0(VALU_DEP_2) | instskip(NEXT) | instid1(VALU_DEP_1)
	v_cmp_gt_i32_e64 s0, 0, v60
	v_cndmask_b32_e64 v15, v60, v15, s0
	v_cmp_lt_u32_e64 s0, 0xff, v14
	s_delay_alu instid0(VALU_DEP_2) | instskip(SKIP_4) | instid1(VALU_DEP_2)
	v_lshlrev_b32_e32 v15, 2, v15
	ds_bpermute_b32 v15, v15, v16
	s_wait_dscnt 0x0
	v_cndmask_b32_e32 v15, v15, v61, vcc_lo
	v_cmp_gt_u32_e32 vcc_lo, 0x100, v14
	v_cndmask_b32_e64 v15, v15, 0, s2
	s_delay_alu instid0(VALU_DEP_1) | instskip(NEXT) | instid1(VALU_DEP_1)
	v_add_nc_u32_e32 v8, v15, v8
	v_add_nc_u32_e32 v9, v8, v9
	s_delay_alu instid0(VALU_DEP_1) | instskip(NEXT) | instid1(VALU_DEP_1)
	v_add_nc_u32_e32 v6, v9, v6
	v_add_nc_u32_e32 v7, v6, v7
	;; [unrolled: 3-line block ×4, first 2 shown]
	ds_store_2addr_b32 v10, v15, v8 offset0:16 offset1:17
	ds_store_2addr_b32 v10, v9, v6 offset0:18 offset1:19
	;; [unrolled: 1-line block ×4, first 2 shown]
	ds_store_b32 v10, v1 offset:96
	s_wait_dscnt 0x0
	s_barrier_signal -1
	s_barrier_wait -1
	ds_load_b32 v62, v11 offset:64
	ds_load_b32 v60, v12 offset:64
	;; [unrolled: 1-line block ×12, first 2 shown]
	v_mov_b64_e32 v[0:1], 0
                                        ; implicit-def: $vgpr2
	s_and_saveexec_b32 s2, vcc_lo
	s_cbranch_execz .LBB858_129
; %bb.126:
	v_mul_u32_u24_e32 v0, 0x44, v14
	v_dual_mov_b32 v1, 0x1800 :: v_dual_add_nc_u32 v2, 1, v14
	s_mov_b32 s3, exec_lo
	ds_load_b32 v0, v0 offset:64
	v_cmpx_ne_u32_e32 0x100, v2
; %bb.127:
	v_mul_u32_u24_e32 v1, 0x44, v2
	ds_load_b32 v1, v1 offset:64
; %bb.128:
	s_or_b32 exec_lo, exec_lo, s3
	s_wait_dscnt 0x0
	v_dual_mov_b32 v1, 0 :: v_dual_sub_nc_u32 v2, v1, v0
.LBB858_129:
	s_or_b32 exec_lo, exec_lo, s2
	v_dual_mov_b32 v7, 0 :: v_dual_lshlrev_b32 v3, 3, v14
	s_wait_dscnt 0x0
	s_barrier_signal -1
	s_barrier_wait -1
	s_and_saveexec_b32 s1, vcc_lo
	s_cbranch_execz .LBB858_139
; %bb.130:
	v_lshl_add_u32 v6, s19, 8, v14
	v_dual_mov_b32 v10, 0 :: v_dual_bitop2_b32 v11, 2.0, v2 bitop3:0x54
	s_mov_b32 s2, 0
	s_mov_b32 s3, s19
	s_delay_alu instid0(VALU_DEP_2)
	v_lshl_add_u64 v[8:9], v[6:7], 2, s[20:21]
	global_store_b32 v6, v11, s[20:21] scale_offset scope:SCOPE_DEV
                                        ; implicit-def: $sgpr4
	s_branch .LBB858_133
.LBB858_131:                            ;   in Loop: Header=BB858_133 Depth=1
	s_or_b32 exec_lo, exec_lo, s5
.LBB858_132:                            ;   in Loop: Header=BB858_133 Depth=1
	s_delay_alu instid0(SALU_CYCLE_1) | instskip(SKIP_2) | instid1(VALU_DEP_2)
	s_or_b32 exec_lo, exec_lo, s4
	v_and_b32_e32 v6, 0x3fffffff, v11
	v_cmp_gt_i32_e64 s4, -2.0, v11
	v_add_nc_u32_e32 v10, v6, v10
	s_and_b32 s5, exec_lo, s4
	s_delay_alu instid0(SALU_CYCLE_1) | instskip(NEXT) | instid1(SALU_CYCLE_1)
	s_or_b32 s2, s5, s2
	s_and_not1_b32 exec_lo, exec_lo, s2
	s_cbranch_execz .LBB858_138
.LBB858_133:                            ; =>This Loop Header: Depth=1
                                        ;     Child Loop BB858_136 Depth 2
	s_or_b32 s4, s4, exec_lo
	s_cmp_eq_u32 s3, 0
	s_cbranch_scc1 .LBB858_137
; %bb.134:                              ;   in Loop: Header=BB858_133 Depth=1
	s_add_co_i32 s3, s3, -1
	s_mov_b32 s4, exec_lo
	s_wait_xcnt 0x0
	v_lshl_or_b32 v6, s3, 8, v14
	global_load_b32 v11, v6, s[20:21] scale_offset scope:SCOPE_DEV
	s_wait_loadcnt 0x0
	v_cmpx_gt_u32_e32 2.0, v11
	s_cbranch_execz .LBB858_132
; %bb.135:                              ;   in Loop: Header=BB858_133 Depth=1
	v_lshl_add_u64 v[12:13], v[6:7], 2, s[20:21]
	s_mov_b32 s5, 0
.LBB858_136:                            ;   Parent Loop BB858_133 Depth=1
                                        ; =>  This Inner Loop Header: Depth=2
	global_load_b32 v11, v[12:13], off scope:SCOPE_DEV
	s_wait_loadcnt 0x0
	v_cmp_lt_u32_e32 vcc_lo, 0x3fffffff, v11
	s_or_b32 s5, vcc_lo, s5
	s_wait_xcnt 0x0
	s_and_not1_b32 exec_lo, exec_lo, s5
	s_cbranch_execnz .LBB858_136
	s_branch .LBB858_131
.LBB858_137:                            ;   in Loop: Header=BB858_133 Depth=1
                                        ; implicit-def: $sgpr3
	s_and_b32 s5, exec_lo, s4
	s_delay_alu instid0(SALU_CYCLE_1)
	s_or_b32 s2, s5, s2
	s_wait_xcnt 0x0
	s_and_not1_b32 exec_lo, exec_lo, s2
	s_cbranch_execnz .LBB858_133
.LBB858_138:
	s_or_b32 exec_lo, exec_lo, s2
	v_dual_mov_b32 v11, 0 :: v_dual_add_nc_u32 v6, v10, v2
	s_delay_alu instid0(VALU_DEP_1) | instskip(SKIP_4) | instid1(VALU_DEP_1)
	v_or_b32_e32 v6, 0x80000000, v6
	global_store_b32 v[8:9], v6, off scope:SCOPE_DEV
	global_load_b64 v[6:7], v14, s[8:9] scale_offset
	v_sub_nc_u64_e32 v[8:9], v[10:11], v[0:1]
	s_wait_loadcnt 0x0
	v_add_nc_u64_e32 v[6:7], v[8:9], v[6:7]
	ds_store_b64 v3, v[6:7]
.LBB858_139:
	s_wait_xcnt 0x0
	s_or_b32 exec_lo, exec_lo, s1
	v_dual_add_nc_u32 v6, v62, v5 :: v_dual_sub_nc_u32 v56, 0, v4
	v_mov_b32_e32 v5, 0
	v_add3_u32 v21, v22, v60, v21
	v_add3_u32 v7, v58, v54, v57
	;; [unrolled: 1-line block ×3, first 2 shown]
	v_add_nc_u32_e32 v22, v3, v56
	v_add_nc_u64_e32 v[4:5], s[14:15], v[4:5]
	v_add3_u32 v9, v52, v47, v50
	v_add3_u32 v10, v48, v44, v46
	;; [unrolled: 1-line block ×6, first 2 shown]
	v_add_nc_u64_e32 v[4:5], 0x2000, v[4:5]
	v_add3_u32 v16, v28, v16, v27
	v_add3_u32 v24, v25, v61, v24
	v_mov_b32_e32 v25, v14
	s_mov_b32 s1, 0
	s_mov_b32 s2, -1
	s_branch .LBB858_141
.LBB858_140:                            ;   in Loop: Header=BB858_141 Depth=1
	s_wait_xcnt 0x0
	s_or_b32 exec_lo, exec_lo, s3
	v_add_nc_u64_e32 v[4:5], 0x4000, v[4:5]
	v_add_nc_u32_e32 v25, 0x1000, v25
	s_xor_b32 s2, s2, -1
	s_addk_co_i32 s1, 0xf000
	s_and_b32 vcc_lo, exec_lo, s2
	s_mov_b32 s2, 0
	s_wait_storecnt 0x0
	s_barrier_signal -1
	s_barrier_wait -1
	s_cbranch_vccnz .LBB858_151
.LBB858_141:                            ; =>This Inner Loop Header: Depth=1
	v_add_min_u32_e64 v27, v6, s1, 0x1000
	v_add_min_u32_e64 v28, v21, s1, 0x1000
	;; [unrolled: 1-line block ×5, first 2 shown]
	s_delay_alu instid0(VALU_DEP_4)
	v_dual_lshlrev_b32 v27, 2, v27 :: v_dual_lshlrev_b32 v28, 2, v28
	v_add_min_u32_e64 v34, v13, s1, 0x1000
	v_add_min_u32_e64 v35, v12, s1, 0x1000
	s_mov_b32 s3, exec_lo
	ds_store_b32 v27, v17 offset:2048
	ds_store_b32 v28, v18 offset:2048
	v_dual_lshlrev_b32 v27, 2, v30 :: v_dual_lshlrev_b32 v28, 2, v31
	v_dual_lshlrev_b32 v30, 2, v33 :: v_dual_lshlrev_b32 v31, 2, v34
	v_lshlrev_b32_e32 v33, 2, v35
	ds_store_b32 v27, v19 offset:2048
	ds_store_b32 v28, v20 offset:2048
	;; [unrolled: 1-line block ×5, first 2 shown]
	v_add_min_u32_e64 v27, v11, s1, 0x1000
	v_add_min_u32_e64 v28, v10, s1, 0x1000
	v_add_min_u32_e64 v30, v9, s1, 0x1000
	v_add_min_u32_e64 v31, v8, s1, 0x1000
	v_add_min_u32_e64 v33, v7, s1, 0x1000
	s_delay_alu instid0(VALU_DEP_4) | instskip(NEXT) | instid1(VALU_DEP_3)
	v_dual_lshlrev_b32 v27, 2, v27 :: v_dual_lshlrev_b32 v28, 2, v28
	v_dual_lshlrev_b32 v30, 2, v30 :: v_dual_lshlrev_b32 v31, 2, v31
	s_delay_alu instid0(VALU_DEP_3)
	v_lshlrev_b32_e32 v33, 2, v33
	ds_store_b32 v27, v32 offset:2048
	ds_store_b32 v28, v36 offset:2048
	;; [unrolled: 1-line block ×5, first 2 shown]
	s_wait_storecnt_dscnt 0x0
	s_barrier_signal -1
	s_barrier_wait -1
	ds_load_2addr_stride64_b32 v[30:31], v22 offset0:8 offset1:16
	s_wait_dscnt 0x0
	v_dual_lshrrev_b32 v27, s16, v31 :: v_dual_lshrrev_b32 v28, s16, v30
	s_delay_alu instid0(VALU_DEP_1) | instskip(NEXT) | instid1(VALU_DEP_1)
	v_and_b32_e32 v28, s6, v28
	v_dual_lshlrev_b32 v28, 3, v28 :: v_dual_bitop2_b32 v27, s6, v27 bitop3:0x40
	s_delay_alu instid0(VALU_DEP_1)
	v_lshlrev_b32_e32 v27, 3, v27
	ds_load_b64 v[34:35], v27
	ds_load_b32 v27, v22 offset:6144
	s_wait_dscnt 0x0
	v_lshrrev_b32_e32 v33, s16, v27
	v_xor_b32_e32 v27, 0x7fffffff, v27
	s_delay_alu instid0(VALU_DEP_2) | instskip(NEXT) | instid1(VALU_DEP_1)
	v_and_b32_e32 v33, s6, v33
	v_lshlrev_b32_e32 v33, 3, v33
	ds_load_b64 v[38:39], v28
	ds_load_b64 v[42:43], v33
	v_xor_b32_e32 v28, 0x7fffffff, v30
	v_xor_b32_e32 v33, 0x7fffffff, v31
	v_lshl_add_u64 v[30:31], v[34:35], 2, v[4:5]
	s_wait_dscnt 0x1
	v_lshl_add_u64 v[38:39], v[38:39], 2, v[4:5]
	s_wait_dscnt 0x0
	v_lshl_add_u64 v[34:35], v[42:43], 2, v[4:5]
	s_clause 0x2
	global_store_b32 v[38:39], v28, off offset:-8192
	global_store_b32 v[30:31], v33, off offset:-6144
	;; [unrolled: 1-line block ×3, first 2 shown]
	s_wait_xcnt 0x0
	v_cmpx_gt_u32_e32 0x1200, v25
	s_cbranch_execz .LBB858_143
; %bb.142:                              ;   in Loop: Header=BB858_141 Depth=1
	ds_load_b32 v27, v22 offset:8192
	s_wait_dscnt 0x0
	v_lshrrev_b32_e32 v28, s16, v27
	v_xor_b32_e32 v27, 0x7fffffff, v27
	s_delay_alu instid0(VALU_DEP_2) | instskip(NEXT) | instid1(VALU_DEP_1)
	v_and_b32_e32 v28, s6, v28
	v_lshlrev_b32_e32 v28, 3, v28
	ds_load_b64 v[30:31], v28
	s_wait_dscnt 0x0
	v_lshl_add_u64 v[30:31], v[30:31], 2, v[4:5]
	global_store_b32 v[30:31], v27, off offset:-2048
.LBB858_143:                            ;   in Loop: Header=BB858_141 Depth=1
	s_wait_xcnt 0x0
	s_or_b32 exec_lo, exec_lo, s3
	v_add_nc_u32_e32 v27, 0x800, v25
	s_mov_b32 s3, exec_lo
	s_delay_alu instid0(VALU_DEP_1)
	v_cmpx_gt_u32_e32 0x1800, v27
	s_cbranch_execz .LBB858_145
; %bb.144:                              ;   in Loop: Header=BB858_141 Depth=1
	ds_load_b32 v27, v22 offset:10240
	s_wait_dscnt 0x0
	v_lshrrev_b32_e32 v28, s16, v27
	v_xor_b32_e32 v27, 0x7fffffff, v27
	s_delay_alu instid0(VALU_DEP_2) | instskip(NEXT) | instid1(VALU_DEP_1)
	v_and_b32_e32 v28, s6, v28
	v_lshlrev_b32_e32 v28, 3, v28
	ds_load_b64 v[30:31], v28
	s_wait_dscnt 0x0
	v_lshl_add_u64 v[30:31], v[30:31], 2, v[4:5]
	global_store_b32 v[30:31], v27, off
.LBB858_145:                            ;   in Loop: Header=BB858_141 Depth=1
	s_wait_xcnt 0x0
	s_or_b32 exec_lo, exec_lo, s3
	s_delay_alu instid0(SALU_CYCLE_1)
	s_mov_b32 s3, exec_lo
	v_cmpx_gt_u32_e32 0xe00, v25
	s_cbranch_execz .LBB858_147
; %bb.146:                              ;   in Loop: Header=BB858_141 Depth=1
	ds_load_b32 v27, v22 offset:12288
	s_wait_dscnt 0x0
	v_lshrrev_b32_e32 v28, s16, v27
	v_xor_b32_e32 v27, 0x7fffffff, v27
	s_delay_alu instid0(VALU_DEP_2) | instskip(NEXT) | instid1(VALU_DEP_1)
	v_and_b32_e32 v28, s6, v28
	v_lshlrev_b32_e32 v28, 3, v28
	ds_load_b64 v[30:31], v28
	s_wait_dscnt 0x0
	v_lshl_add_u64 v[30:31], v[30:31], 2, v[4:5]
	global_store_b32 v[30:31], v27, off offset:2048
.LBB858_147:                            ;   in Loop: Header=BB858_141 Depth=1
	s_wait_xcnt 0x0
	s_or_b32 exec_lo, exec_lo, s3
	v_add_nc_u32_e32 v27, 0xc00, v25
	s_mov_b32 s3, exec_lo
	s_delay_alu instid0(VALU_DEP_1)
	v_cmpx_gt_u32_e32 0x1800, v27
	s_cbranch_execz .LBB858_149
; %bb.148:                              ;   in Loop: Header=BB858_141 Depth=1
	ds_load_b32 v27, v22 offset:14336
	s_wait_dscnt 0x0
	v_lshrrev_b32_e32 v28, s16, v27
	v_xor_b32_e32 v27, 0x7fffffff, v27
	s_delay_alu instid0(VALU_DEP_2) | instskip(NEXT) | instid1(VALU_DEP_1)
	v_and_b32_e32 v28, s6, v28
	v_lshlrev_b32_e32 v28, 3, v28
	ds_load_b64 v[30:31], v28
	s_wait_dscnt 0x0
	v_lshl_add_u64 v[30:31], v[30:31], 2, v[4:5]
	global_store_b32 v[30:31], v27, off offset:4096
.LBB858_149:                            ;   in Loop: Header=BB858_141 Depth=1
	s_wait_xcnt 0x0
	s_or_b32 exec_lo, exec_lo, s3
	s_delay_alu instid0(SALU_CYCLE_1)
	s_mov_b32 s3, exec_lo
	v_cmpx_gt_u32_e32 0xa00, v25
	s_cbranch_execz .LBB858_140
; %bb.150:                              ;   in Loop: Header=BB858_141 Depth=1
	ds_load_b32 v27, v22 offset:16384
	s_wait_dscnt 0x0
	v_lshrrev_b32_e32 v28, s16, v27
	v_xor_b32_e32 v27, 0x7fffffff, v27
	s_delay_alu instid0(VALU_DEP_2) | instskip(NEXT) | instid1(VALU_DEP_1)
	v_and_b32_e32 v28, s6, v28
	v_lshlrev_b32_e32 v28, 3, v28
	ds_load_b64 v[30:31], v28
	s_wait_dscnt 0x0
	v_lshl_add_u64 v[30:31], v[30:31], 2, v[4:5]
	global_store_b32 v[30:31], v27, off offset:6144
	s_branch .LBB858_140
.LBB858_151:
	s_add_co_i32 s12, s12, -1
	s_delay_alu instid0(SALU_CYCLE_1) | instskip(SKIP_2) | instid1(SALU_CYCLE_1)
	s_cmp_eq_u32 s19, s12
	s_cselect_b32 s1, -1, 0
	s_xor_b32 s0, s0, -1
	s_and_b32 s0, s0, s1
	s_delay_alu instid0(SALU_CYCLE_1)
	s_and_saveexec_b32 s1, s0
	s_cbranch_execz .LBB858_153
; %bb.152:
	ds_load_b64 v[4:5], v3
	v_mov_b32_e32 v3, 0
	s_delay_alu instid0(VALU_DEP_1) | instskip(SKIP_1) | instid1(VALU_DEP_1)
	v_add_nc_u64_e32 v[0:1], v[0:1], v[2:3]
	s_wait_dscnt 0x0
	v_add_nc_u64_e32 v[0:1], v[0:1], v[4:5]
	global_store_b64 v14, v[0:1], s[10:11] scale_offset
.LBB858_153:
	s_sendmsg sendmsg(MSG_DEALLOC_VGPRS)
	s_endpgm
	.section	.rodata,"a",@progbits
	.p2align	6, 0x0
	.amdhsa_kernel _ZN7rocprim17ROCPRIM_400000_NS6detail17trampoline_kernelINS0_14default_configENS1_35radix_sort_onesweep_config_selectorIiNS0_10empty_typeEEEZZNS1_29radix_sort_onesweep_iterationIS3_Lb1EPKiPiPS5_SB_mNS0_19identity_decomposerENS1_16block_id_wrapperIjLb1EEEEE10hipError_tT1_PNSt15iterator_traitsISG_E10value_typeET2_T3_PNSH_ISM_E10value_typeET4_T5_PSR_SS_PNS1_23onesweep_lookback_stateEbbT6_jjT7_P12ihipStream_tbENKUlT_T0_SG_SL_E_clISA_SA_SB_SB_EEDaSZ_S10_SG_SL_EUlSZ_E_NS1_11comp_targetILNS1_3genE0ELNS1_11target_archE4294967295ELNS1_3gpuE0ELNS1_3repE0EEENS1_47radix_sort_onesweep_sort_config_static_selectorELNS0_4arch9wavefront6targetE0EEEvSG_
		.amdhsa_group_segment_fixed_size 18504
		.amdhsa_private_segment_fixed_size 0
		.amdhsa_kernarg_size 344
		.amdhsa_user_sgpr_count 2
		.amdhsa_user_sgpr_dispatch_ptr 0
		.amdhsa_user_sgpr_queue_ptr 0
		.amdhsa_user_sgpr_kernarg_segment_ptr 1
		.amdhsa_user_sgpr_dispatch_id 0
		.amdhsa_user_sgpr_kernarg_preload_length 0
		.amdhsa_user_sgpr_kernarg_preload_offset 0
		.amdhsa_user_sgpr_private_segment_size 0
		.amdhsa_wavefront_size32 1
		.amdhsa_uses_dynamic_stack 0
		.amdhsa_enable_private_segment 0
		.amdhsa_system_sgpr_workgroup_id_x 1
		.amdhsa_system_sgpr_workgroup_id_y 0
		.amdhsa_system_sgpr_workgroup_id_z 0
		.amdhsa_system_sgpr_workgroup_info 0
		.amdhsa_system_vgpr_workitem_id 2
		.amdhsa_next_free_vgpr 65
		.amdhsa_next_free_sgpr 29
		.amdhsa_named_barrier_count 0
		.amdhsa_reserve_vcc 1
		.amdhsa_float_round_mode_32 0
		.amdhsa_float_round_mode_16_64 0
		.amdhsa_float_denorm_mode_32 3
		.amdhsa_float_denorm_mode_16_64 3
		.amdhsa_fp16_overflow 0
		.amdhsa_memory_ordered 1
		.amdhsa_forward_progress 1
		.amdhsa_inst_pref_size 123
		.amdhsa_round_robin_scheduling 0
		.amdhsa_exception_fp_ieee_invalid_op 0
		.amdhsa_exception_fp_denorm_src 0
		.amdhsa_exception_fp_ieee_div_zero 0
		.amdhsa_exception_fp_ieee_overflow 0
		.amdhsa_exception_fp_ieee_underflow 0
		.amdhsa_exception_fp_ieee_inexact 0
		.amdhsa_exception_int_div_zero 0
	.end_amdhsa_kernel
	.section	.text._ZN7rocprim17ROCPRIM_400000_NS6detail17trampoline_kernelINS0_14default_configENS1_35radix_sort_onesweep_config_selectorIiNS0_10empty_typeEEEZZNS1_29radix_sort_onesweep_iterationIS3_Lb1EPKiPiPS5_SB_mNS0_19identity_decomposerENS1_16block_id_wrapperIjLb1EEEEE10hipError_tT1_PNSt15iterator_traitsISG_E10value_typeET2_T3_PNSH_ISM_E10value_typeET4_T5_PSR_SS_PNS1_23onesweep_lookback_stateEbbT6_jjT7_P12ihipStream_tbENKUlT_T0_SG_SL_E_clISA_SA_SB_SB_EEDaSZ_S10_SG_SL_EUlSZ_E_NS1_11comp_targetILNS1_3genE0ELNS1_11target_archE4294967295ELNS1_3gpuE0ELNS1_3repE0EEENS1_47radix_sort_onesweep_sort_config_static_selectorELNS0_4arch9wavefront6targetE0EEEvSG_,"axG",@progbits,_ZN7rocprim17ROCPRIM_400000_NS6detail17trampoline_kernelINS0_14default_configENS1_35radix_sort_onesweep_config_selectorIiNS0_10empty_typeEEEZZNS1_29radix_sort_onesweep_iterationIS3_Lb1EPKiPiPS5_SB_mNS0_19identity_decomposerENS1_16block_id_wrapperIjLb1EEEEE10hipError_tT1_PNSt15iterator_traitsISG_E10value_typeET2_T3_PNSH_ISM_E10value_typeET4_T5_PSR_SS_PNS1_23onesweep_lookback_stateEbbT6_jjT7_P12ihipStream_tbENKUlT_T0_SG_SL_E_clISA_SA_SB_SB_EEDaSZ_S10_SG_SL_EUlSZ_E_NS1_11comp_targetILNS1_3genE0ELNS1_11target_archE4294967295ELNS1_3gpuE0ELNS1_3repE0EEENS1_47radix_sort_onesweep_sort_config_static_selectorELNS0_4arch9wavefront6targetE0EEEvSG_,comdat
.Lfunc_end858:
	.size	_ZN7rocprim17ROCPRIM_400000_NS6detail17trampoline_kernelINS0_14default_configENS1_35radix_sort_onesweep_config_selectorIiNS0_10empty_typeEEEZZNS1_29radix_sort_onesweep_iterationIS3_Lb1EPKiPiPS5_SB_mNS0_19identity_decomposerENS1_16block_id_wrapperIjLb1EEEEE10hipError_tT1_PNSt15iterator_traitsISG_E10value_typeET2_T3_PNSH_ISM_E10value_typeET4_T5_PSR_SS_PNS1_23onesweep_lookback_stateEbbT6_jjT7_P12ihipStream_tbENKUlT_T0_SG_SL_E_clISA_SA_SB_SB_EEDaSZ_S10_SG_SL_EUlSZ_E_NS1_11comp_targetILNS1_3genE0ELNS1_11target_archE4294967295ELNS1_3gpuE0ELNS1_3repE0EEENS1_47radix_sort_onesweep_sort_config_static_selectorELNS0_4arch9wavefront6targetE0EEEvSG_, .Lfunc_end858-_ZN7rocprim17ROCPRIM_400000_NS6detail17trampoline_kernelINS0_14default_configENS1_35radix_sort_onesweep_config_selectorIiNS0_10empty_typeEEEZZNS1_29radix_sort_onesweep_iterationIS3_Lb1EPKiPiPS5_SB_mNS0_19identity_decomposerENS1_16block_id_wrapperIjLb1EEEEE10hipError_tT1_PNSt15iterator_traitsISG_E10value_typeET2_T3_PNSH_ISM_E10value_typeET4_T5_PSR_SS_PNS1_23onesweep_lookback_stateEbbT6_jjT7_P12ihipStream_tbENKUlT_T0_SG_SL_E_clISA_SA_SB_SB_EEDaSZ_S10_SG_SL_EUlSZ_E_NS1_11comp_targetILNS1_3genE0ELNS1_11target_archE4294967295ELNS1_3gpuE0ELNS1_3repE0EEENS1_47radix_sort_onesweep_sort_config_static_selectorELNS0_4arch9wavefront6targetE0EEEvSG_
                                        ; -- End function
	.set _ZN7rocprim17ROCPRIM_400000_NS6detail17trampoline_kernelINS0_14default_configENS1_35radix_sort_onesweep_config_selectorIiNS0_10empty_typeEEEZZNS1_29radix_sort_onesweep_iterationIS3_Lb1EPKiPiPS5_SB_mNS0_19identity_decomposerENS1_16block_id_wrapperIjLb1EEEEE10hipError_tT1_PNSt15iterator_traitsISG_E10value_typeET2_T3_PNSH_ISM_E10value_typeET4_T5_PSR_SS_PNS1_23onesweep_lookback_stateEbbT6_jjT7_P12ihipStream_tbENKUlT_T0_SG_SL_E_clISA_SA_SB_SB_EEDaSZ_S10_SG_SL_EUlSZ_E_NS1_11comp_targetILNS1_3genE0ELNS1_11target_archE4294967295ELNS1_3gpuE0ELNS1_3repE0EEENS1_47radix_sort_onesweep_sort_config_static_selectorELNS0_4arch9wavefront6targetE0EEEvSG_.num_vgpr, 65
	.set _ZN7rocprim17ROCPRIM_400000_NS6detail17trampoline_kernelINS0_14default_configENS1_35radix_sort_onesweep_config_selectorIiNS0_10empty_typeEEEZZNS1_29radix_sort_onesweep_iterationIS3_Lb1EPKiPiPS5_SB_mNS0_19identity_decomposerENS1_16block_id_wrapperIjLb1EEEEE10hipError_tT1_PNSt15iterator_traitsISG_E10value_typeET2_T3_PNSH_ISM_E10value_typeET4_T5_PSR_SS_PNS1_23onesweep_lookback_stateEbbT6_jjT7_P12ihipStream_tbENKUlT_T0_SG_SL_E_clISA_SA_SB_SB_EEDaSZ_S10_SG_SL_EUlSZ_E_NS1_11comp_targetILNS1_3genE0ELNS1_11target_archE4294967295ELNS1_3gpuE0ELNS1_3repE0EEENS1_47radix_sort_onesweep_sort_config_static_selectorELNS0_4arch9wavefront6targetE0EEEvSG_.num_agpr, 0
	.set _ZN7rocprim17ROCPRIM_400000_NS6detail17trampoline_kernelINS0_14default_configENS1_35radix_sort_onesweep_config_selectorIiNS0_10empty_typeEEEZZNS1_29radix_sort_onesweep_iterationIS3_Lb1EPKiPiPS5_SB_mNS0_19identity_decomposerENS1_16block_id_wrapperIjLb1EEEEE10hipError_tT1_PNSt15iterator_traitsISG_E10value_typeET2_T3_PNSH_ISM_E10value_typeET4_T5_PSR_SS_PNS1_23onesweep_lookback_stateEbbT6_jjT7_P12ihipStream_tbENKUlT_T0_SG_SL_E_clISA_SA_SB_SB_EEDaSZ_S10_SG_SL_EUlSZ_E_NS1_11comp_targetILNS1_3genE0ELNS1_11target_archE4294967295ELNS1_3gpuE0ELNS1_3repE0EEENS1_47radix_sort_onesweep_sort_config_static_selectorELNS0_4arch9wavefront6targetE0EEEvSG_.numbered_sgpr, 29
	.set _ZN7rocprim17ROCPRIM_400000_NS6detail17trampoline_kernelINS0_14default_configENS1_35radix_sort_onesweep_config_selectorIiNS0_10empty_typeEEEZZNS1_29radix_sort_onesweep_iterationIS3_Lb1EPKiPiPS5_SB_mNS0_19identity_decomposerENS1_16block_id_wrapperIjLb1EEEEE10hipError_tT1_PNSt15iterator_traitsISG_E10value_typeET2_T3_PNSH_ISM_E10value_typeET4_T5_PSR_SS_PNS1_23onesweep_lookback_stateEbbT6_jjT7_P12ihipStream_tbENKUlT_T0_SG_SL_E_clISA_SA_SB_SB_EEDaSZ_S10_SG_SL_EUlSZ_E_NS1_11comp_targetILNS1_3genE0ELNS1_11target_archE4294967295ELNS1_3gpuE0ELNS1_3repE0EEENS1_47radix_sort_onesweep_sort_config_static_selectorELNS0_4arch9wavefront6targetE0EEEvSG_.num_named_barrier, 0
	.set _ZN7rocprim17ROCPRIM_400000_NS6detail17trampoline_kernelINS0_14default_configENS1_35radix_sort_onesweep_config_selectorIiNS0_10empty_typeEEEZZNS1_29radix_sort_onesweep_iterationIS3_Lb1EPKiPiPS5_SB_mNS0_19identity_decomposerENS1_16block_id_wrapperIjLb1EEEEE10hipError_tT1_PNSt15iterator_traitsISG_E10value_typeET2_T3_PNSH_ISM_E10value_typeET4_T5_PSR_SS_PNS1_23onesweep_lookback_stateEbbT6_jjT7_P12ihipStream_tbENKUlT_T0_SG_SL_E_clISA_SA_SB_SB_EEDaSZ_S10_SG_SL_EUlSZ_E_NS1_11comp_targetILNS1_3genE0ELNS1_11target_archE4294967295ELNS1_3gpuE0ELNS1_3repE0EEENS1_47radix_sort_onesweep_sort_config_static_selectorELNS0_4arch9wavefront6targetE0EEEvSG_.private_seg_size, 0
	.set _ZN7rocprim17ROCPRIM_400000_NS6detail17trampoline_kernelINS0_14default_configENS1_35radix_sort_onesweep_config_selectorIiNS0_10empty_typeEEEZZNS1_29radix_sort_onesweep_iterationIS3_Lb1EPKiPiPS5_SB_mNS0_19identity_decomposerENS1_16block_id_wrapperIjLb1EEEEE10hipError_tT1_PNSt15iterator_traitsISG_E10value_typeET2_T3_PNSH_ISM_E10value_typeET4_T5_PSR_SS_PNS1_23onesweep_lookback_stateEbbT6_jjT7_P12ihipStream_tbENKUlT_T0_SG_SL_E_clISA_SA_SB_SB_EEDaSZ_S10_SG_SL_EUlSZ_E_NS1_11comp_targetILNS1_3genE0ELNS1_11target_archE4294967295ELNS1_3gpuE0ELNS1_3repE0EEENS1_47radix_sort_onesweep_sort_config_static_selectorELNS0_4arch9wavefront6targetE0EEEvSG_.uses_vcc, 1
	.set _ZN7rocprim17ROCPRIM_400000_NS6detail17trampoline_kernelINS0_14default_configENS1_35radix_sort_onesweep_config_selectorIiNS0_10empty_typeEEEZZNS1_29radix_sort_onesweep_iterationIS3_Lb1EPKiPiPS5_SB_mNS0_19identity_decomposerENS1_16block_id_wrapperIjLb1EEEEE10hipError_tT1_PNSt15iterator_traitsISG_E10value_typeET2_T3_PNSH_ISM_E10value_typeET4_T5_PSR_SS_PNS1_23onesweep_lookback_stateEbbT6_jjT7_P12ihipStream_tbENKUlT_T0_SG_SL_E_clISA_SA_SB_SB_EEDaSZ_S10_SG_SL_EUlSZ_E_NS1_11comp_targetILNS1_3genE0ELNS1_11target_archE4294967295ELNS1_3gpuE0ELNS1_3repE0EEENS1_47radix_sort_onesweep_sort_config_static_selectorELNS0_4arch9wavefront6targetE0EEEvSG_.uses_flat_scratch, 0
	.set _ZN7rocprim17ROCPRIM_400000_NS6detail17trampoline_kernelINS0_14default_configENS1_35radix_sort_onesweep_config_selectorIiNS0_10empty_typeEEEZZNS1_29radix_sort_onesweep_iterationIS3_Lb1EPKiPiPS5_SB_mNS0_19identity_decomposerENS1_16block_id_wrapperIjLb1EEEEE10hipError_tT1_PNSt15iterator_traitsISG_E10value_typeET2_T3_PNSH_ISM_E10value_typeET4_T5_PSR_SS_PNS1_23onesweep_lookback_stateEbbT6_jjT7_P12ihipStream_tbENKUlT_T0_SG_SL_E_clISA_SA_SB_SB_EEDaSZ_S10_SG_SL_EUlSZ_E_NS1_11comp_targetILNS1_3genE0ELNS1_11target_archE4294967295ELNS1_3gpuE0ELNS1_3repE0EEENS1_47radix_sort_onesweep_sort_config_static_selectorELNS0_4arch9wavefront6targetE0EEEvSG_.has_dyn_sized_stack, 0
	.set _ZN7rocprim17ROCPRIM_400000_NS6detail17trampoline_kernelINS0_14default_configENS1_35radix_sort_onesweep_config_selectorIiNS0_10empty_typeEEEZZNS1_29radix_sort_onesweep_iterationIS3_Lb1EPKiPiPS5_SB_mNS0_19identity_decomposerENS1_16block_id_wrapperIjLb1EEEEE10hipError_tT1_PNSt15iterator_traitsISG_E10value_typeET2_T3_PNSH_ISM_E10value_typeET4_T5_PSR_SS_PNS1_23onesweep_lookback_stateEbbT6_jjT7_P12ihipStream_tbENKUlT_T0_SG_SL_E_clISA_SA_SB_SB_EEDaSZ_S10_SG_SL_EUlSZ_E_NS1_11comp_targetILNS1_3genE0ELNS1_11target_archE4294967295ELNS1_3gpuE0ELNS1_3repE0EEENS1_47radix_sort_onesweep_sort_config_static_selectorELNS0_4arch9wavefront6targetE0EEEvSG_.has_recursion, 0
	.set _ZN7rocprim17ROCPRIM_400000_NS6detail17trampoline_kernelINS0_14default_configENS1_35radix_sort_onesweep_config_selectorIiNS0_10empty_typeEEEZZNS1_29radix_sort_onesweep_iterationIS3_Lb1EPKiPiPS5_SB_mNS0_19identity_decomposerENS1_16block_id_wrapperIjLb1EEEEE10hipError_tT1_PNSt15iterator_traitsISG_E10value_typeET2_T3_PNSH_ISM_E10value_typeET4_T5_PSR_SS_PNS1_23onesweep_lookback_stateEbbT6_jjT7_P12ihipStream_tbENKUlT_T0_SG_SL_E_clISA_SA_SB_SB_EEDaSZ_S10_SG_SL_EUlSZ_E_NS1_11comp_targetILNS1_3genE0ELNS1_11target_archE4294967295ELNS1_3gpuE0ELNS1_3repE0EEENS1_47radix_sort_onesweep_sort_config_static_selectorELNS0_4arch9wavefront6targetE0EEEvSG_.has_indirect_call, 0
	.section	.AMDGPU.csdata,"",@progbits
; Kernel info:
; codeLenInByte = 15660
; TotalNumSgprs: 31
; NumVgprs: 65
; ScratchSize: 0
; MemoryBound: 0
; FloatMode: 240
; IeeeMode: 1
; LDSByteSize: 18504 bytes/workgroup (compile time only)
; SGPRBlocks: 0
; VGPRBlocks: 4
; NumSGPRsForWavesPerEU: 31
; NumVGPRsForWavesPerEU: 65
; NamedBarCnt: 0
; Occupancy: 12
; WaveLimiterHint : 1
; COMPUTE_PGM_RSRC2:SCRATCH_EN: 0
; COMPUTE_PGM_RSRC2:USER_SGPR: 2
; COMPUTE_PGM_RSRC2:TRAP_HANDLER: 0
; COMPUTE_PGM_RSRC2:TGID_X_EN: 1
; COMPUTE_PGM_RSRC2:TGID_Y_EN: 0
; COMPUTE_PGM_RSRC2:TGID_Z_EN: 0
; COMPUTE_PGM_RSRC2:TIDIG_COMP_CNT: 2
	.section	.text._ZN7rocprim17ROCPRIM_400000_NS6detail17trampoline_kernelINS0_14default_configENS1_35radix_sort_onesweep_config_selectorIiNS0_10empty_typeEEEZZNS1_29radix_sort_onesweep_iterationIS3_Lb1EPKiPiPS5_SB_mNS0_19identity_decomposerENS1_16block_id_wrapperIjLb1EEEEE10hipError_tT1_PNSt15iterator_traitsISG_E10value_typeET2_T3_PNSH_ISM_E10value_typeET4_T5_PSR_SS_PNS1_23onesweep_lookback_stateEbbT6_jjT7_P12ihipStream_tbENKUlT_T0_SG_SL_E_clISA_SA_SB_SB_EEDaSZ_S10_SG_SL_EUlSZ_E_NS1_11comp_targetILNS1_3genE6ELNS1_11target_archE950ELNS1_3gpuE13ELNS1_3repE0EEENS1_47radix_sort_onesweep_sort_config_static_selectorELNS0_4arch9wavefront6targetE0EEEvSG_,"axG",@progbits,_ZN7rocprim17ROCPRIM_400000_NS6detail17trampoline_kernelINS0_14default_configENS1_35radix_sort_onesweep_config_selectorIiNS0_10empty_typeEEEZZNS1_29radix_sort_onesweep_iterationIS3_Lb1EPKiPiPS5_SB_mNS0_19identity_decomposerENS1_16block_id_wrapperIjLb1EEEEE10hipError_tT1_PNSt15iterator_traitsISG_E10value_typeET2_T3_PNSH_ISM_E10value_typeET4_T5_PSR_SS_PNS1_23onesweep_lookback_stateEbbT6_jjT7_P12ihipStream_tbENKUlT_T0_SG_SL_E_clISA_SA_SB_SB_EEDaSZ_S10_SG_SL_EUlSZ_E_NS1_11comp_targetILNS1_3genE6ELNS1_11target_archE950ELNS1_3gpuE13ELNS1_3repE0EEENS1_47radix_sort_onesweep_sort_config_static_selectorELNS0_4arch9wavefront6targetE0EEEvSG_,comdat
	.protected	_ZN7rocprim17ROCPRIM_400000_NS6detail17trampoline_kernelINS0_14default_configENS1_35radix_sort_onesweep_config_selectorIiNS0_10empty_typeEEEZZNS1_29radix_sort_onesweep_iterationIS3_Lb1EPKiPiPS5_SB_mNS0_19identity_decomposerENS1_16block_id_wrapperIjLb1EEEEE10hipError_tT1_PNSt15iterator_traitsISG_E10value_typeET2_T3_PNSH_ISM_E10value_typeET4_T5_PSR_SS_PNS1_23onesweep_lookback_stateEbbT6_jjT7_P12ihipStream_tbENKUlT_T0_SG_SL_E_clISA_SA_SB_SB_EEDaSZ_S10_SG_SL_EUlSZ_E_NS1_11comp_targetILNS1_3genE6ELNS1_11target_archE950ELNS1_3gpuE13ELNS1_3repE0EEENS1_47radix_sort_onesweep_sort_config_static_selectorELNS0_4arch9wavefront6targetE0EEEvSG_ ; -- Begin function _ZN7rocprim17ROCPRIM_400000_NS6detail17trampoline_kernelINS0_14default_configENS1_35radix_sort_onesweep_config_selectorIiNS0_10empty_typeEEEZZNS1_29radix_sort_onesweep_iterationIS3_Lb1EPKiPiPS5_SB_mNS0_19identity_decomposerENS1_16block_id_wrapperIjLb1EEEEE10hipError_tT1_PNSt15iterator_traitsISG_E10value_typeET2_T3_PNSH_ISM_E10value_typeET4_T5_PSR_SS_PNS1_23onesweep_lookback_stateEbbT6_jjT7_P12ihipStream_tbENKUlT_T0_SG_SL_E_clISA_SA_SB_SB_EEDaSZ_S10_SG_SL_EUlSZ_E_NS1_11comp_targetILNS1_3genE6ELNS1_11target_archE950ELNS1_3gpuE13ELNS1_3repE0EEENS1_47radix_sort_onesweep_sort_config_static_selectorELNS0_4arch9wavefront6targetE0EEEvSG_
	.globl	_ZN7rocprim17ROCPRIM_400000_NS6detail17trampoline_kernelINS0_14default_configENS1_35radix_sort_onesweep_config_selectorIiNS0_10empty_typeEEEZZNS1_29radix_sort_onesweep_iterationIS3_Lb1EPKiPiPS5_SB_mNS0_19identity_decomposerENS1_16block_id_wrapperIjLb1EEEEE10hipError_tT1_PNSt15iterator_traitsISG_E10value_typeET2_T3_PNSH_ISM_E10value_typeET4_T5_PSR_SS_PNS1_23onesweep_lookback_stateEbbT6_jjT7_P12ihipStream_tbENKUlT_T0_SG_SL_E_clISA_SA_SB_SB_EEDaSZ_S10_SG_SL_EUlSZ_E_NS1_11comp_targetILNS1_3genE6ELNS1_11target_archE950ELNS1_3gpuE13ELNS1_3repE0EEENS1_47radix_sort_onesweep_sort_config_static_selectorELNS0_4arch9wavefront6targetE0EEEvSG_
	.p2align	8
	.type	_ZN7rocprim17ROCPRIM_400000_NS6detail17trampoline_kernelINS0_14default_configENS1_35radix_sort_onesweep_config_selectorIiNS0_10empty_typeEEEZZNS1_29radix_sort_onesweep_iterationIS3_Lb1EPKiPiPS5_SB_mNS0_19identity_decomposerENS1_16block_id_wrapperIjLb1EEEEE10hipError_tT1_PNSt15iterator_traitsISG_E10value_typeET2_T3_PNSH_ISM_E10value_typeET4_T5_PSR_SS_PNS1_23onesweep_lookback_stateEbbT6_jjT7_P12ihipStream_tbENKUlT_T0_SG_SL_E_clISA_SA_SB_SB_EEDaSZ_S10_SG_SL_EUlSZ_E_NS1_11comp_targetILNS1_3genE6ELNS1_11target_archE950ELNS1_3gpuE13ELNS1_3repE0EEENS1_47radix_sort_onesweep_sort_config_static_selectorELNS0_4arch9wavefront6targetE0EEEvSG_,@function
_ZN7rocprim17ROCPRIM_400000_NS6detail17trampoline_kernelINS0_14default_configENS1_35radix_sort_onesweep_config_selectorIiNS0_10empty_typeEEEZZNS1_29radix_sort_onesweep_iterationIS3_Lb1EPKiPiPS5_SB_mNS0_19identity_decomposerENS1_16block_id_wrapperIjLb1EEEEE10hipError_tT1_PNSt15iterator_traitsISG_E10value_typeET2_T3_PNSH_ISM_E10value_typeET4_T5_PSR_SS_PNS1_23onesweep_lookback_stateEbbT6_jjT7_P12ihipStream_tbENKUlT_T0_SG_SL_E_clISA_SA_SB_SB_EEDaSZ_S10_SG_SL_EUlSZ_E_NS1_11comp_targetILNS1_3genE6ELNS1_11target_archE950ELNS1_3gpuE13ELNS1_3repE0EEENS1_47radix_sort_onesweep_sort_config_static_selectorELNS0_4arch9wavefront6targetE0EEEvSG_: ; @_ZN7rocprim17ROCPRIM_400000_NS6detail17trampoline_kernelINS0_14default_configENS1_35radix_sort_onesweep_config_selectorIiNS0_10empty_typeEEEZZNS1_29radix_sort_onesweep_iterationIS3_Lb1EPKiPiPS5_SB_mNS0_19identity_decomposerENS1_16block_id_wrapperIjLb1EEEEE10hipError_tT1_PNSt15iterator_traitsISG_E10value_typeET2_T3_PNSH_ISM_E10value_typeET4_T5_PSR_SS_PNS1_23onesweep_lookback_stateEbbT6_jjT7_P12ihipStream_tbENKUlT_T0_SG_SL_E_clISA_SA_SB_SB_EEDaSZ_S10_SG_SL_EUlSZ_E_NS1_11comp_targetILNS1_3genE6ELNS1_11target_archE950ELNS1_3gpuE13ELNS1_3repE0EEENS1_47radix_sort_onesweep_sort_config_static_selectorELNS0_4arch9wavefront6targetE0EEEvSG_
; %bb.0:
	.section	.rodata,"a",@progbits
	.p2align	6, 0x0
	.amdhsa_kernel _ZN7rocprim17ROCPRIM_400000_NS6detail17trampoline_kernelINS0_14default_configENS1_35radix_sort_onesweep_config_selectorIiNS0_10empty_typeEEEZZNS1_29radix_sort_onesweep_iterationIS3_Lb1EPKiPiPS5_SB_mNS0_19identity_decomposerENS1_16block_id_wrapperIjLb1EEEEE10hipError_tT1_PNSt15iterator_traitsISG_E10value_typeET2_T3_PNSH_ISM_E10value_typeET4_T5_PSR_SS_PNS1_23onesweep_lookback_stateEbbT6_jjT7_P12ihipStream_tbENKUlT_T0_SG_SL_E_clISA_SA_SB_SB_EEDaSZ_S10_SG_SL_EUlSZ_E_NS1_11comp_targetILNS1_3genE6ELNS1_11target_archE950ELNS1_3gpuE13ELNS1_3repE0EEENS1_47radix_sort_onesweep_sort_config_static_selectorELNS0_4arch9wavefront6targetE0EEEvSG_
		.amdhsa_group_segment_fixed_size 0
		.amdhsa_private_segment_fixed_size 0
		.amdhsa_kernarg_size 88
		.amdhsa_user_sgpr_count 2
		.amdhsa_user_sgpr_dispatch_ptr 0
		.amdhsa_user_sgpr_queue_ptr 0
		.amdhsa_user_sgpr_kernarg_segment_ptr 1
		.amdhsa_user_sgpr_dispatch_id 0
		.amdhsa_user_sgpr_kernarg_preload_length 0
		.amdhsa_user_sgpr_kernarg_preload_offset 0
		.amdhsa_user_sgpr_private_segment_size 0
		.amdhsa_wavefront_size32 1
		.amdhsa_uses_dynamic_stack 0
		.amdhsa_enable_private_segment 0
		.amdhsa_system_sgpr_workgroup_id_x 1
		.amdhsa_system_sgpr_workgroup_id_y 0
		.amdhsa_system_sgpr_workgroup_id_z 0
		.amdhsa_system_sgpr_workgroup_info 0
		.amdhsa_system_vgpr_workitem_id 0
		.amdhsa_next_free_vgpr 1
		.amdhsa_next_free_sgpr 1
		.amdhsa_named_barrier_count 0
		.amdhsa_reserve_vcc 0
		.amdhsa_float_round_mode_32 0
		.amdhsa_float_round_mode_16_64 0
		.amdhsa_float_denorm_mode_32 3
		.amdhsa_float_denorm_mode_16_64 3
		.amdhsa_fp16_overflow 0
		.amdhsa_memory_ordered 1
		.amdhsa_forward_progress 1
		.amdhsa_inst_pref_size 0
		.amdhsa_round_robin_scheduling 0
		.amdhsa_exception_fp_ieee_invalid_op 0
		.amdhsa_exception_fp_denorm_src 0
		.amdhsa_exception_fp_ieee_div_zero 0
		.amdhsa_exception_fp_ieee_overflow 0
		.amdhsa_exception_fp_ieee_underflow 0
		.amdhsa_exception_fp_ieee_inexact 0
		.amdhsa_exception_int_div_zero 0
	.end_amdhsa_kernel
	.section	.text._ZN7rocprim17ROCPRIM_400000_NS6detail17trampoline_kernelINS0_14default_configENS1_35radix_sort_onesweep_config_selectorIiNS0_10empty_typeEEEZZNS1_29radix_sort_onesweep_iterationIS3_Lb1EPKiPiPS5_SB_mNS0_19identity_decomposerENS1_16block_id_wrapperIjLb1EEEEE10hipError_tT1_PNSt15iterator_traitsISG_E10value_typeET2_T3_PNSH_ISM_E10value_typeET4_T5_PSR_SS_PNS1_23onesweep_lookback_stateEbbT6_jjT7_P12ihipStream_tbENKUlT_T0_SG_SL_E_clISA_SA_SB_SB_EEDaSZ_S10_SG_SL_EUlSZ_E_NS1_11comp_targetILNS1_3genE6ELNS1_11target_archE950ELNS1_3gpuE13ELNS1_3repE0EEENS1_47radix_sort_onesweep_sort_config_static_selectorELNS0_4arch9wavefront6targetE0EEEvSG_,"axG",@progbits,_ZN7rocprim17ROCPRIM_400000_NS6detail17trampoline_kernelINS0_14default_configENS1_35radix_sort_onesweep_config_selectorIiNS0_10empty_typeEEEZZNS1_29radix_sort_onesweep_iterationIS3_Lb1EPKiPiPS5_SB_mNS0_19identity_decomposerENS1_16block_id_wrapperIjLb1EEEEE10hipError_tT1_PNSt15iterator_traitsISG_E10value_typeET2_T3_PNSH_ISM_E10value_typeET4_T5_PSR_SS_PNS1_23onesweep_lookback_stateEbbT6_jjT7_P12ihipStream_tbENKUlT_T0_SG_SL_E_clISA_SA_SB_SB_EEDaSZ_S10_SG_SL_EUlSZ_E_NS1_11comp_targetILNS1_3genE6ELNS1_11target_archE950ELNS1_3gpuE13ELNS1_3repE0EEENS1_47radix_sort_onesweep_sort_config_static_selectorELNS0_4arch9wavefront6targetE0EEEvSG_,comdat
.Lfunc_end859:
	.size	_ZN7rocprim17ROCPRIM_400000_NS6detail17trampoline_kernelINS0_14default_configENS1_35radix_sort_onesweep_config_selectorIiNS0_10empty_typeEEEZZNS1_29radix_sort_onesweep_iterationIS3_Lb1EPKiPiPS5_SB_mNS0_19identity_decomposerENS1_16block_id_wrapperIjLb1EEEEE10hipError_tT1_PNSt15iterator_traitsISG_E10value_typeET2_T3_PNSH_ISM_E10value_typeET4_T5_PSR_SS_PNS1_23onesweep_lookback_stateEbbT6_jjT7_P12ihipStream_tbENKUlT_T0_SG_SL_E_clISA_SA_SB_SB_EEDaSZ_S10_SG_SL_EUlSZ_E_NS1_11comp_targetILNS1_3genE6ELNS1_11target_archE950ELNS1_3gpuE13ELNS1_3repE0EEENS1_47radix_sort_onesweep_sort_config_static_selectorELNS0_4arch9wavefront6targetE0EEEvSG_, .Lfunc_end859-_ZN7rocprim17ROCPRIM_400000_NS6detail17trampoline_kernelINS0_14default_configENS1_35radix_sort_onesweep_config_selectorIiNS0_10empty_typeEEEZZNS1_29radix_sort_onesweep_iterationIS3_Lb1EPKiPiPS5_SB_mNS0_19identity_decomposerENS1_16block_id_wrapperIjLb1EEEEE10hipError_tT1_PNSt15iterator_traitsISG_E10value_typeET2_T3_PNSH_ISM_E10value_typeET4_T5_PSR_SS_PNS1_23onesweep_lookback_stateEbbT6_jjT7_P12ihipStream_tbENKUlT_T0_SG_SL_E_clISA_SA_SB_SB_EEDaSZ_S10_SG_SL_EUlSZ_E_NS1_11comp_targetILNS1_3genE6ELNS1_11target_archE950ELNS1_3gpuE13ELNS1_3repE0EEENS1_47radix_sort_onesweep_sort_config_static_selectorELNS0_4arch9wavefront6targetE0EEEvSG_
                                        ; -- End function
	.set _ZN7rocprim17ROCPRIM_400000_NS6detail17trampoline_kernelINS0_14default_configENS1_35radix_sort_onesweep_config_selectorIiNS0_10empty_typeEEEZZNS1_29radix_sort_onesweep_iterationIS3_Lb1EPKiPiPS5_SB_mNS0_19identity_decomposerENS1_16block_id_wrapperIjLb1EEEEE10hipError_tT1_PNSt15iterator_traitsISG_E10value_typeET2_T3_PNSH_ISM_E10value_typeET4_T5_PSR_SS_PNS1_23onesweep_lookback_stateEbbT6_jjT7_P12ihipStream_tbENKUlT_T0_SG_SL_E_clISA_SA_SB_SB_EEDaSZ_S10_SG_SL_EUlSZ_E_NS1_11comp_targetILNS1_3genE6ELNS1_11target_archE950ELNS1_3gpuE13ELNS1_3repE0EEENS1_47radix_sort_onesweep_sort_config_static_selectorELNS0_4arch9wavefront6targetE0EEEvSG_.num_vgpr, 0
	.set _ZN7rocprim17ROCPRIM_400000_NS6detail17trampoline_kernelINS0_14default_configENS1_35radix_sort_onesweep_config_selectorIiNS0_10empty_typeEEEZZNS1_29radix_sort_onesweep_iterationIS3_Lb1EPKiPiPS5_SB_mNS0_19identity_decomposerENS1_16block_id_wrapperIjLb1EEEEE10hipError_tT1_PNSt15iterator_traitsISG_E10value_typeET2_T3_PNSH_ISM_E10value_typeET4_T5_PSR_SS_PNS1_23onesweep_lookback_stateEbbT6_jjT7_P12ihipStream_tbENKUlT_T0_SG_SL_E_clISA_SA_SB_SB_EEDaSZ_S10_SG_SL_EUlSZ_E_NS1_11comp_targetILNS1_3genE6ELNS1_11target_archE950ELNS1_3gpuE13ELNS1_3repE0EEENS1_47radix_sort_onesweep_sort_config_static_selectorELNS0_4arch9wavefront6targetE0EEEvSG_.num_agpr, 0
	.set _ZN7rocprim17ROCPRIM_400000_NS6detail17trampoline_kernelINS0_14default_configENS1_35radix_sort_onesweep_config_selectorIiNS0_10empty_typeEEEZZNS1_29radix_sort_onesweep_iterationIS3_Lb1EPKiPiPS5_SB_mNS0_19identity_decomposerENS1_16block_id_wrapperIjLb1EEEEE10hipError_tT1_PNSt15iterator_traitsISG_E10value_typeET2_T3_PNSH_ISM_E10value_typeET4_T5_PSR_SS_PNS1_23onesweep_lookback_stateEbbT6_jjT7_P12ihipStream_tbENKUlT_T0_SG_SL_E_clISA_SA_SB_SB_EEDaSZ_S10_SG_SL_EUlSZ_E_NS1_11comp_targetILNS1_3genE6ELNS1_11target_archE950ELNS1_3gpuE13ELNS1_3repE0EEENS1_47radix_sort_onesweep_sort_config_static_selectorELNS0_4arch9wavefront6targetE0EEEvSG_.numbered_sgpr, 0
	.set _ZN7rocprim17ROCPRIM_400000_NS6detail17trampoline_kernelINS0_14default_configENS1_35radix_sort_onesweep_config_selectorIiNS0_10empty_typeEEEZZNS1_29radix_sort_onesweep_iterationIS3_Lb1EPKiPiPS5_SB_mNS0_19identity_decomposerENS1_16block_id_wrapperIjLb1EEEEE10hipError_tT1_PNSt15iterator_traitsISG_E10value_typeET2_T3_PNSH_ISM_E10value_typeET4_T5_PSR_SS_PNS1_23onesweep_lookback_stateEbbT6_jjT7_P12ihipStream_tbENKUlT_T0_SG_SL_E_clISA_SA_SB_SB_EEDaSZ_S10_SG_SL_EUlSZ_E_NS1_11comp_targetILNS1_3genE6ELNS1_11target_archE950ELNS1_3gpuE13ELNS1_3repE0EEENS1_47radix_sort_onesweep_sort_config_static_selectorELNS0_4arch9wavefront6targetE0EEEvSG_.num_named_barrier, 0
	.set _ZN7rocprim17ROCPRIM_400000_NS6detail17trampoline_kernelINS0_14default_configENS1_35radix_sort_onesweep_config_selectorIiNS0_10empty_typeEEEZZNS1_29radix_sort_onesweep_iterationIS3_Lb1EPKiPiPS5_SB_mNS0_19identity_decomposerENS1_16block_id_wrapperIjLb1EEEEE10hipError_tT1_PNSt15iterator_traitsISG_E10value_typeET2_T3_PNSH_ISM_E10value_typeET4_T5_PSR_SS_PNS1_23onesweep_lookback_stateEbbT6_jjT7_P12ihipStream_tbENKUlT_T0_SG_SL_E_clISA_SA_SB_SB_EEDaSZ_S10_SG_SL_EUlSZ_E_NS1_11comp_targetILNS1_3genE6ELNS1_11target_archE950ELNS1_3gpuE13ELNS1_3repE0EEENS1_47radix_sort_onesweep_sort_config_static_selectorELNS0_4arch9wavefront6targetE0EEEvSG_.private_seg_size, 0
	.set _ZN7rocprim17ROCPRIM_400000_NS6detail17trampoline_kernelINS0_14default_configENS1_35radix_sort_onesweep_config_selectorIiNS0_10empty_typeEEEZZNS1_29radix_sort_onesweep_iterationIS3_Lb1EPKiPiPS5_SB_mNS0_19identity_decomposerENS1_16block_id_wrapperIjLb1EEEEE10hipError_tT1_PNSt15iterator_traitsISG_E10value_typeET2_T3_PNSH_ISM_E10value_typeET4_T5_PSR_SS_PNS1_23onesweep_lookback_stateEbbT6_jjT7_P12ihipStream_tbENKUlT_T0_SG_SL_E_clISA_SA_SB_SB_EEDaSZ_S10_SG_SL_EUlSZ_E_NS1_11comp_targetILNS1_3genE6ELNS1_11target_archE950ELNS1_3gpuE13ELNS1_3repE0EEENS1_47radix_sort_onesweep_sort_config_static_selectorELNS0_4arch9wavefront6targetE0EEEvSG_.uses_vcc, 0
	.set _ZN7rocprim17ROCPRIM_400000_NS6detail17trampoline_kernelINS0_14default_configENS1_35radix_sort_onesweep_config_selectorIiNS0_10empty_typeEEEZZNS1_29radix_sort_onesweep_iterationIS3_Lb1EPKiPiPS5_SB_mNS0_19identity_decomposerENS1_16block_id_wrapperIjLb1EEEEE10hipError_tT1_PNSt15iterator_traitsISG_E10value_typeET2_T3_PNSH_ISM_E10value_typeET4_T5_PSR_SS_PNS1_23onesweep_lookback_stateEbbT6_jjT7_P12ihipStream_tbENKUlT_T0_SG_SL_E_clISA_SA_SB_SB_EEDaSZ_S10_SG_SL_EUlSZ_E_NS1_11comp_targetILNS1_3genE6ELNS1_11target_archE950ELNS1_3gpuE13ELNS1_3repE0EEENS1_47radix_sort_onesweep_sort_config_static_selectorELNS0_4arch9wavefront6targetE0EEEvSG_.uses_flat_scratch, 0
	.set _ZN7rocprim17ROCPRIM_400000_NS6detail17trampoline_kernelINS0_14default_configENS1_35radix_sort_onesweep_config_selectorIiNS0_10empty_typeEEEZZNS1_29radix_sort_onesweep_iterationIS3_Lb1EPKiPiPS5_SB_mNS0_19identity_decomposerENS1_16block_id_wrapperIjLb1EEEEE10hipError_tT1_PNSt15iterator_traitsISG_E10value_typeET2_T3_PNSH_ISM_E10value_typeET4_T5_PSR_SS_PNS1_23onesweep_lookback_stateEbbT6_jjT7_P12ihipStream_tbENKUlT_T0_SG_SL_E_clISA_SA_SB_SB_EEDaSZ_S10_SG_SL_EUlSZ_E_NS1_11comp_targetILNS1_3genE6ELNS1_11target_archE950ELNS1_3gpuE13ELNS1_3repE0EEENS1_47radix_sort_onesweep_sort_config_static_selectorELNS0_4arch9wavefront6targetE0EEEvSG_.has_dyn_sized_stack, 0
	.set _ZN7rocprim17ROCPRIM_400000_NS6detail17trampoline_kernelINS0_14default_configENS1_35radix_sort_onesweep_config_selectorIiNS0_10empty_typeEEEZZNS1_29radix_sort_onesweep_iterationIS3_Lb1EPKiPiPS5_SB_mNS0_19identity_decomposerENS1_16block_id_wrapperIjLb1EEEEE10hipError_tT1_PNSt15iterator_traitsISG_E10value_typeET2_T3_PNSH_ISM_E10value_typeET4_T5_PSR_SS_PNS1_23onesweep_lookback_stateEbbT6_jjT7_P12ihipStream_tbENKUlT_T0_SG_SL_E_clISA_SA_SB_SB_EEDaSZ_S10_SG_SL_EUlSZ_E_NS1_11comp_targetILNS1_3genE6ELNS1_11target_archE950ELNS1_3gpuE13ELNS1_3repE0EEENS1_47radix_sort_onesweep_sort_config_static_selectorELNS0_4arch9wavefront6targetE0EEEvSG_.has_recursion, 0
	.set _ZN7rocprim17ROCPRIM_400000_NS6detail17trampoline_kernelINS0_14default_configENS1_35radix_sort_onesweep_config_selectorIiNS0_10empty_typeEEEZZNS1_29radix_sort_onesweep_iterationIS3_Lb1EPKiPiPS5_SB_mNS0_19identity_decomposerENS1_16block_id_wrapperIjLb1EEEEE10hipError_tT1_PNSt15iterator_traitsISG_E10value_typeET2_T3_PNSH_ISM_E10value_typeET4_T5_PSR_SS_PNS1_23onesweep_lookback_stateEbbT6_jjT7_P12ihipStream_tbENKUlT_T0_SG_SL_E_clISA_SA_SB_SB_EEDaSZ_S10_SG_SL_EUlSZ_E_NS1_11comp_targetILNS1_3genE6ELNS1_11target_archE950ELNS1_3gpuE13ELNS1_3repE0EEENS1_47radix_sort_onesweep_sort_config_static_selectorELNS0_4arch9wavefront6targetE0EEEvSG_.has_indirect_call, 0
	.section	.AMDGPU.csdata,"",@progbits
; Kernel info:
; codeLenInByte = 0
; TotalNumSgprs: 0
; NumVgprs: 0
; ScratchSize: 0
; MemoryBound: 0
; FloatMode: 240
; IeeeMode: 1
; LDSByteSize: 0 bytes/workgroup (compile time only)
; SGPRBlocks: 0
; VGPRBlocks: 0
; NumSGPRsForWavesPerEU: 1
; NumVGPRsForWavesPerEU: 1
; NamedBarCnt: 0
; Occupancy: 16
; WaveLimiterHint : 0
; COMPUTE_PGM_RSRC2:SCRATCH_EN: 0
; COMPUTE_PGM_RSRC2:USER_SGPR: 2
; COMPUTE_PGM_RSRC2:TRAP_HANDLER: 0
; COMPUTE_PGM_RSRC2:TGID_X_EN: 1
; COMPUTE_PGM_RSRC2:TGID_Y_EN: 0
; COMPUTE_PGM_RSRC2:TGID_Z_EN: 0
; COMPUTE_PGM_RSRC2:TIDIG_COMP_CNT: 0
	.section	.text._ZN7rocprim17ROCPRIM_400000_NS6detail17trampoline_kernelINS0_14default_configENS1_35radix_sort_onesweep_config_selectorIiNS0_10empty_typeEEEZZNS1_29radix_sort_onesweep_iterationIS3_Lb1EPKiPiPS5_SB_mNS0_19identity_decomposerENS1_16block_id_wrapperIjLb1EEEEE10hipError_tT1_PNSt15iterator_traitsISG_E10value_typeET2_T3_PNSH_ISM_E10value_typeET4_T5_PSR_SS_PNS1_23onesweep_lookback_stateEbbT6_jjT7_P12ihipStream_tbENKUlT_T0_SG_SL_E_clISA_SA_SB_SB_EEDaSZ_S10_SG_SL_EUlSZ_E_NS1_11comp_targetILNS1_3genE5ELNS1_11target_archE942ELNS1_3gpuE9ELNS1_3repE0EEENS1_47radix_sort_onesweep_sort_config_static_selectorELNS0_4arch9wavefront6targetE0EEEvSG_,"axG",@progbits,_ZN7rocprim17ROCPRIM_400000_NS6detail17trampoline_kernelINS0_14default_configENS1_35radix_sort_onesweep_config_selectorIiNS0_10empty_typeEEEZZNS1_29radix_sort_onesweep_iterationIS3_Lb1EPKiPiPS5_SB_mNS0_19identity_decomposerENS1_16block_id_wrapperIjLb1EEEEE10hipError_tT1_PNSt15iterator_traitsISG_E10value_typeET2_T3_PNSH_ISM_E10value_typeET4_T5_PSR_SS_PNS1_23onesweep_lookback_stateEbbT6_jjT7_P12ihipStream_tbENKUlT_T0_SG_SL_E_clISA_SA_SB_SB_EEDaSZ_S10_SG_SL_EUlSZ_E_NS1_11comp_targetILNS1_3genE5ELNS1_11target_archE942ELNS1_3gpuE9ELNS1_3repE0EEENS1_47radix_sort_onesweep_sort_config_static_selectorELNS0_4arch9wavefront6targetE0EEEvSG_,comdat
	.protected	_ZN7rocprim17ROCPRIM_400000_NS6detail17trampoline_kernelINS0_14default_configENS1_35radix_sort_onesweep_config_selectorIiNS0_10empty_typeEEEZZNS1_29radix_sort_onesweep_iterationIS3_Lb1EPKiPiPS5_SB_mNS0_19identity_decomposerENS1_16block_id_wrapperIjLb1EEEEE10hipError_tT1_PNSt15iterator_traitsISG_E10value_typeET2_T3_PNSH_ISM_E10value_typeET4_T5_PSR_SS_PNS1_23onesweep_lookback_stateEbbT6_jjT7_P12ihipStream_tbENKUlT_T0_SG_SL_E_clISA_SA_SB_SB_EEDaSZ_S10_SG_SL_EUlSZ_E_NS1_11comp_targetILNS1_3genE5ELNS1_11target_archE942ELNS1_3gpuE9ELNS1_3repE0EEENS1_47radix_sort_onesweep_sort_config_static_selectorELNS0_4arch9wavefront6targetE0EEEvSG_ ; -- Begin function _ZN7rocprim17ROCPRIM_400000_NS6detail17trampoline_kernelINS0_14default_configENS1_35radix_sort_onesweep_config_selectorIiNS0_10empty_typeEEEZZNS1_29radix_sort_onesweep_iterationIS3_Lb1EPKiPiPS5_SB_mNS0_19identity_decomposerENS1_16block_id_wrapperIjLb1EEEEE10hipError_tT1_PNSt15iterator_traitsISG_E10value_typeET2_T3_PNSH_ISM_E10value_typeET4_T5_PSR_SS_PNS1_23onesweep_lookback_stateEbbT6_jjT7_P12ihipStream_tbENKUlT_T0_SG_SL_E_clISA_SA_SB_SB_EEDaSZ_S10_SG_SL_EUlSZ_E_NS1_11comp_targetILNS1_3genE5ELNS1_11target_archE942ELNS1_3gpuE9ELNS1_3repE0EEENS1_47radix_sort_onesweep_sort_config_static_selectorELNS0_4arch9wavefront6targetE0EEEvSG_
	.globl	_ZN7rocprim17ROCPRIM_400000_NS6detail17trampoline_kernelINS0_14default_configENS1_35radix_sort_onesweep_config_selectorIiNS0_10empty_typeEEEZZNS1_29radix_sort_onesweep_iterationIS3_Lb1EPKiPiPS5_SB_mNS0_19identity_decomposerENS1_16block_id_wrapperIjLb1EEEEE10hipError_tT1_PNSt15iterator_traitsISG_E10value_typeET2_T3_PNSH_ISM_E10value_typeET4_T5_PSR_SS_PNS1_23onesweep_lookback_stateEbbT6_jjT7_P12ihipStream_tbENKUlT_T0_SG_SL_E_clISA_SA_SB_SB_EEDaSZ_S10_SG_SL_EUlSZ_E_NS1_11comp_targetILNS1_3genE5ELNS1_11target_archE942ELNS1_3gpuE9ELNS1_3repE0EEENS1_47radix_sort_onesweep_sort_config_static_selectorELNS0_4arch9wavefront6targetE0EEEvSG_
	.p2align	8
	.type	_ZN7rocprim17ROCPRIM_400000_NS6detail17trampoline_kernelINS0_14default_configENS1_35radix_sort_onesweep_config_selectorIiNS0_10empty_typeEEEZZNS1_29radix_sort_onesweep_iterationIS3_Lb1EPKiPiPS5_SB_mNS0_19identity_decomposerENS1_16block_id_wrapperIjLb1EEEEE10hipError_tT1_PNSt15iterator_traitsISG_E10value_typeET2_T3_PNSH_ISM_E10value_typeET4_T5_PSR_SS_PNS1_23onesweep_lookback_stateEbbT6_jjT7_P12ihipStream_tbENKUlT_T0_SG_SL_E_clISA_SA_SB_SB_EEDaSZ_S10_SG_SL_EUlSZ_E_NS1_11comp_targetILNS1_3genE5ELNS1_11target_archE942ELNS1_3gpuE9ELNS1_3repE0EEENS1_47radix_sort_onesweep_sort_config_static_selectorELNS0_4arch9wavefront6targetE0EEEvSG_,@function
_ZN7rocprim17ROCPRIM_400000_NS6detail17trampoline_kernelINS0_14default_configENS1_35radix_sort_onesweep_config_selectorIiNS0_10empty_typeEEEZZNS1_29radix_sort_onesweep_iterationIS3_Lb1EPKiPiPS5_SB_mNS0_19identity_decomposerENS1_16block_id_wrapperIjLb1EEEEE10hipError_tT1_PNSt15iterator_traitsISG_E10value_typeET2_T3_PNSH_ISM_E10value_typeET4_T5_PSR_SS_PNS1_23onesweep_lookback_stateEbbT6_jjT7_P12ihipStream_tbENKUlT_T0_SG_SL_E_clISA_SA_SB_SB_EEDaSZ_S10_SG_SL_EUlSZ_E_NS1_11comp_targetILNS1_3genE5ELNS1_11target_archE942ELNS1_3gpuE9ELNS1_3repE0EEENS1_47radix_sort_onesweep_sort_config_static_selectorELNS0_4arch9wavefront6targetE0EEEvSG_: ; @_ZN7rocprim17ROCPRIM_400000_NS6detail17trampoline_kernelINS0_14default_configENS1_35radix_sort_onesweep_config_selectorIiNS0_10empty_typeEEEZZNS1_29radix_sort_onesweep_iterationIS3_Lb1EPKiPiPS5_SB_mNS0_19identity_decomposerENS1_16block_id_wrapperIjLb1EEEEE10hipError_tT1_PNSt15iterator_traitsISG_E10value_typeET2_T3_PNSH_ISM_E10value_typeET4_T5_PSR_SS_PNS1_23onesweep_lookback_stateEbbT6_jjT7_P12ihipStream_tbENKUlT_T0_SG_SL_E_clISA_SA_SB_SB_EEDaSZ_S10_SG_SL_EUlSZ_E_NS1_11comp_targetILNS1_3genE5ELNS1_11target_archE942ELNS1_3gpuE9ELNS1_3repE0EEENS1_47radix_sort_onesweep_sort_config_static_selectorELNS0_4arch9wavefront6targetE0EEEvSG_
; %bb.0:
	.section	.rodata,"a",@progbits
	.p2align	6, 0x0
	.amdhsa_kernel _ZN7rocprim17ROCPRIM_400000_NS6detail17trampoline_kernelINS0_14default_configENS1_35radix_sort_onesweep_config_selectorIiNS0_10empty_typeEEEZZNS1_29radix_sort_onesweep_iterationIS3_Lb1EPKiPiPS5_SB_mNS0_19identity_decomposerENS1_16block_id_wrapperIjLb1EEEEE10hipError_tT1_PNSt15iterator_traitsISG_E10value_typeET2_T3_PNSH_ISM_E10value_typeET4_T5_PSR_SS_PNS1_23onesweep_lookback_stateEbbT6_jjT7_P12ihipStream_tbENKUlT_T0_SG_SL_E_clISA_SA_SB_SB_EEDaSZ_S10_SG_SL_EUlSZ_E_NS1_11comp_targetILNS1_3genE5ELNS1_11target_archE942ELNS1_3gpuE9ELNS1_3repE0EEENS1_47radix_sort_onesweep_sort_config_static_selectorELNS0_4arch9wavefront6targetE0EEEvSG_
		.amdhsa_group_segment_fixed_size 0
		.amdhsa_private_segment_fixed_size 0
		.amdhsa_kernarg_size 88
		.amdhsa_user_sgpr_count 2
		.amdhsa_user_sgpr_dispatch_ptr 0
		.amdhsa_user_sgpr_queue_ptr 0
		.amdhsa_user_sgpr_kernarg_segment_ptr 1
		.amdhsa_user_sgpr_dispatch_id 0
		.amdhsa_user_sgpr_kernarg_preload_length 0
		.amdhsa_user_sgpr_kernarg_preload_offset 0
		.amdhsa_user_sgpr_private_segment_size 0
		.amdhsa_wavefront_size32 1
		.amdhsa_uses_dynamic_stack 0
		.amdhsa_enable_private_segment 0
		.amdhsa_system_sgpr_workgroup_id_x 1
		.amdhsa_system_sgpr_workgroup_id_y 0
		.amdhsa_system_sgpr_workgroup_id_z 0
		.amdhsa_system_sgpr_workgroup_info 0
		.amdhsa_system_vgpr_workitem_id 0
		.amdhsa_next_free_vgpr 1
		.amdhsa_next_free_sgpr 1
		.amdhsa_named_barrier_count 0
		.amdhsa_reserve_vcc 0
		.amdhsa_float_round_mode_32 0
		.amdhsa_float_round_mode_16_64 0
		.amdhsa_float_denorm_mode_32 3
		.amdhsa_float_denorm_mode_16_64 3
		.amdhsa_fp16_overflow 0
		.amdhsa_memory_ordered 1
		.amdhsa_forward_progress 1
		.amdhsa_inst_pref_size 0
		.amdhsa_round_robin_scheduling 0
		.amdhsa_exception_fp_ieee_invalid_op 0
		.amdhsa_exception_fp_denorm_src 0
		.amdhsa_exception_fp_ieee_div_zero 0
		.amdhsa_exception_fp_ieee_overflow 0
		.amdhsa_exception_fp_ieee_underflow 0
		.amdhsa_exception_fp_ieee_inexact 0
		.amdhsa_exception_int_div_zero 0
	.end_amdhsa_kernel
	.section	.text._ZN7rocprim17ROCPRIM_400000_NS6detail17trampoline_kernelINS0_14default_configENS1_35radix_sort_onesweep_config_selectorIiNS0_10empty_typeEEEZZNS1_29radix_sort_onesweep_iterationIS3_Lb1EPKiPiPS5_SB_mNS0_19identity_decomposerENS1_16block_id_wrapperIjLb1EEEEE10hipError_tT1_PNSt15iterator_traitsISG_E10value_typeET2_T3_PNSH_ISM_E10value_typeET4_T5_PSR_SS_PNS1_23onesweep_lookback_stateEbbT6_jjT7_P12ihipStream_tbENKUlT_T0_SG_SL_E_clISA_SA_SB_SB_EEDaSZ_S10_SG_SL_EUlSZ_E_NS1_11comp_targetILNS1_3genE5ELNS1_11target_archE942ELNS1_3gpuE9ELNS1_3repE0EEENS1_47radix_sort_onesweep_sort_config_static_selectorELNS0_4arch9wavefront6targetE0EEEvSG_,"axG",@progbits,_ZN7rocprim17ROCPRIM_400000_NS6detail17trampoline_kernelINS0_14default_configENS1_35radix_sort_onesweep_config_selectorIiNS0_10empty_typeEEEZZNS1_29radix_sort_onesweep_iterationIS3_Lb1EPKiPiPS5_SB_mNS0_19identity_decomposerENS1_16block_id_wrapperIjLb1EEEEE10hipError_tT1_PNSt15iterator_traitsISG_E10value_typeET2_T3_PNSH_ISM_E10value_typeET4_T5_PSR_SS_PNS1_23onesweep_lookback_stateEbbT6_jjT7_P12ihipStream_tbENKUlT_T0_SG_SL_E_clISA_SA_SB_SB_EEDaSZ_S10_SG_SL_EUlSZ_E_NS1_11comp_targetILNS1_3genE5ELNS1_11target_archE942ELNS1_3gpuE9ELNS1_3repE0EEENS1_47radix_sort_onesweep_sort_config_static_selectorELNS0_4arch9wavefront6targetE0EEEvSG_,comdat
.Lfunc_end860:
	.size	_ZN7rocprim17ROCPRIM_400000_NS6detail17trampoline_kernelINS0_14default_configENS1_35radix_sort_onesweep_config_selectorIiNS0_10empty_typeEEEZZNS1_29radix_sort_onesweep_iterationIS3_Lb1EPKiPiPS5_SB_mNS0_19identity_decomposerENS1_16block_id_wrapperIjLb1EEEEE10hipError_tT1_PNSt15iterator_traitsISG_E10value_typeET2_T3_PNSH_ISM_E10value_typeET4_T5_PSR_SS_PNS1_23onesweep_lookback_stateEbbT6_jjT7_P12ihipStream_tbENKUlT_T0_SG_SL_E_clISA_SA_SB_SB_EEDaSZ_S10_SG_SL_EUlSZ_E_NS1_11comp_targetILNS1_3genE5ELNS1_11target_archE942ELNS1_3gpuE9ELNS1_3repE0EEENS1_47radix_sort_onesweep_sort_config_static_selectorELNS0_4arch9wavefront6targetE0EEEvSG_, .Lfunc_end860-_ZN7rocprim17ROCPRIM_400000_NS6detail17trampoline_kernelINS0_14default_configENS1_35radix_sort_onesweep_config_selectorIiNS0_10empty_typeEEEZZNS1_29radix_sort_onesweep_iterationIS3_Lb1EPKiPiPS5_SB_mNS0_19identity_decomposerENS1_16block_id_wrapperIjLb1EEEEE10hipError_tT1_PNSt15iterator_traitsISG_E10value_typeET2_T3_PNSH_ISM_E10value_typeET4_T5_PSR_SS_PNS1_23onesweep_lookback_stateEbbT6_jjT7_P12ihipStream_tbENKUlT_T0_SG_SL_E_clISA_SA_SB_SB_EEDaSZ_S10_SG_SL_EUlSZ_E_NS1_11comp_targetILNS1_3genE5ELNS1_11target_archE942ELNS1_3gpuE9ELNS1_3repE0EEENS1_47radix_sort_onesweep_sort_config_static_selectorELNS0_4arch9wavefront6targetE0EEEvSG_
                                        ; -- End function
	.set _ZN7rocprim17ROCPRIM_400000_NS6detail17trampoline_kernelINS0_14default_configENS1_35radix_sort_onesweep_config_selectorIiNS0_10empty_typeEEEZZNS1_29radix_sort_onesweep_iterationIS3_Lb1EPKiPiPS5_SB_mNS0_19identity_decomposerENS1_16block_id_wrapperIjLb1EEEEE10hipError_tT1_PNSt15iterator_traitsISG_E10value_typeET2_T3_PNSH_ISM_E10value_typeET4_T5_PSR_SS_PNS1_23onesweep_lookback_stateEbbT6_jjT7_P12ihipStream_tbENKUlT_T0_SG_SL_E_clISA_SA_SB_SB_EEDaSZ_S10_SG_SL_EUlSZ_E_NS1_11comp_targetILNS1_3genE5ELNS1_11target_archE942ELNS1_3gpuE9ELNS1_3repE0EEENS1_47radix_sort_onesweep_sort_config_static_selectorELNS0_4arch9wavefront6targetE0EEEvSG_.num_vgpr, 0
	.set _ZN7rocprim17ROCPRIM_400000_NS6detail17trampoline_kernelINS0_14default_configENS1_35radix_sort_onesweep_config_selectorIiNS0_10empty_typeEEEZZNS1_29radix_sort_onesweep_iterationIS3_Lb1EPKiPiPS5_SB_mNS0_19identity_decomposerENS1_16block_id_wrapperIjLb1EEEEE10hipError_tT1_PNSt15iterator_traitsISG_E10value_typeET2_T3_PNSH_ISM_E10value_typeET4_T5_PSR_SS_PNS1_23onesweep_lookback_stateEbbT6_jjT7_P12ihipStream_tbENKUlT_T0_SG_SL_E_clISA_SA_SB_SB_EEDaSZ_S10_SG_SL_EUlSZ_E_NS1_11comp_targetILNS1_3genE5ELNS1_11target_archE942ELNS1_3gpuE9ELNS1_3repE0EEENS1_47radix_sort_onesweep_sort_config_static_selectorELNS0_4arch9wavefront6targetE0EEEvSG_.num_agpr, 0
	.set _ZN7rocprim17ROCPRIM_400000_NS6detail17trampoline_kernelINS0_14default_configENS1_35radix_sort_onesweep_config_selectorIiNS0_10empty_typeEEEZZNS1_29radix_sort_onesweep_iterationIS3_Lb1EPKiPiPS5_SB_mNS0_19identity_decomposerENS1_16block_id_wrapperIjLb1EEEEE10hipError_tT1_PNSt15iterator_traitsISG_E10value_typeET2_T3_PNSH_ISM_E10value_typeET4_T5_PSR_SS_PNS1_23onesweep_lookback_stateEbbT6_jjT7_P12ihipStream_tbENKUlT_T0_SG_SL_E_clISA_SA_SB_SB_EEDaSZ_S10_SG_SL_EUlSZ_E_NS1_11comp_targetILNS1_3genE5ELNS1_11target_archE942ELNS1_3gpuE9ELNS1_3repE0EEENS1_47radix_sort_onesweep_sort_config_static_selectorELNS0_4arch9wavefront6targetE0EEEvSG_.numbered_sgpr, 0
	.set _ZN7rocprim17ROCPRIM_400000_NS6detail17trampoline_kernelINS0_14default_configENS1_35radix_sort_onesweep_config_selectorIiNS0_10empty_typeEEEZZNS1_29radix_sort_onesweep_iterationIS3_Lb1EPKiPiPS5_SB_mNS0_19identity_decomposerENS1_16block_id_wrapperIjLb1EEEEE10hipError_tT1_PNSt15iterator_traitsISG_E10value_typeET2_T3_PNSH_ISM_E10value_typeET4_T5_PSR_SS_PNS1_23onesweep_lookback_stateEbbT6_jjT7_P12ihipStream_tbENKUlT_T0_SG_SL_E_clISA_SA_SB_SB_EEDaSZ_S10_SG_SL_EUlSZ_E_NS1_11comp_targetILNS1_3genE5ELNS1_11target_archE942ELNS1_3gpuE9ELNS1_3repE0EEENS1_47radix_sort_onesweep_sort_config_static_selectorELNS0_4arch9wavefront6targetE0EEEvSG_.num_named_barrier, 0
	.set _ZN7rocprim17ROCPRIM_400000_NS6detail17trampoline_kernelINS0_14default_configENS1_35radix_sort_onesweep_config_selectorIiNS0_10empty_typeEEEZZNS1_29radix_sort_onesweep_iterationIS3_Lb1EPKiPiPS5_SB_mNS0_19identity_decomposerENS1_16block_id_wrapperIjLb1EEEEE10hipError_tT1_PNSt15iterator_traitsISG_E10value_typeET2_T3_PNSH_ISM_E10value_typeET4_T5_PSR_SS_PNS1_23onesweep_lookback_stateEbbT6_jjT7_P12ihipStream_tbENKUlT_T0_SG_SL_E_clISA_SA_SB_SB_EEDaSZ_S10_SG_SL_EUlSZ_E_NS1_11comp_targetILNS1_3genE5ELNS1_11target_archE942ELNS1_3gpuE9ELNS1_3repE0EEENS1_47radix_sort_onesweep_sort_config_static_selectorELNS0_4arch9wavefront6targetE0EEEvSG_.private_seg_size, 0
	.set _ZN7rocprim17ROCPRIM_400000_NS6detail17trampoline_kernelINS0_14default_configENS1_35radix_sort_onesweep_config_selectorIiNS0_10empty_typeEEEZZNS1_29radix_sort_onesweep_iterationIS3_Lb1EPKiPiPS5_SB_mNS0_19identity_decomposerENS1_16block_id_wrapperIjLb1EEEEE10hipError_tT1_PNSt15iterator_traitsISG_E10value_typeET2_T3_PNSH_ISM_E10value_typeET4_T5_PSR_SS_PNS1_23onesweep_lookback_stateEbbT6_jjT7_P12ihipStream_tbENKUlT_T0_SG_SL_E_clISA_SA_SB_SB_EEDaSZ_S10_SG_SL_EUlSZ_E_NS1_11comp_targetILNS1_3genE5ELNS1_11target_archE942ELNS1_3gpuE9ELNS1_3repE0EEENS1_47radix_sort_onesweep_sort_config_static_selectorELNS0_4arch9wavefront6targetE0EEEvSG_.uses_vcc, 0
	.set _ZN7rocprim17ROCPRIM_400000_NS6detail17trampoline_kernelINS0_14default_configENS1_35radix_sort_onesweep_config_selectorIiNS0_10empty_typeEEEZZNS1_29radix_sort_onesweep_iterationIS3_Lb1EPKiPiPS5_SB_mNS0_19identity_decomposerENS1_16block_id_wrapperIjLb1EEEEE10hipError_tT1_PNSt15iterator_traitsISG_E10value_typeET2_T3_PNSH_ISM_E10value_typeET4_T5_PSR_SS_PNS1_23onesweep_lookback_stateEbbT6_jjT7_P12ihipStream_tbENKUlT_T0_SG_SL_E_clISA_SA_SB_SB_EEDaSZ_S10_SG_SL_EUlSZ_E_NS1_11comp_targetILNS1_3genE5ELNS1_11target_archE942ELNS1_3gpuE9ELNS1_3repE0EEENS1_47radix_sort_onesweep_sort_config_static_selectorELNS0_4arch9wavefront6targetE0EEEvSG_.uses_flat_scratch, 0
	.set _ZN7rocprim17ROCPRIM_400000_NS6detail17trampoline_kernelINS0_14default_configENS1_35radix_sort_onesweep_config_selectorIiNS0_10empty_typeEEEZZNS1_29radix_sort_onesweep_iterationIS3_Lb1EPKiPiPS5_SB_mNS0_19identity_decomposerENS1_16block_id_wrapperIjLb1EEEEE10hipError_tT1_PNSt15iterator_traitsISG_E10value_typeET2_T3_PNSH_ISM_E10value_typeET4_T5_PSR_SS_PNS1_23onesweep_lookback_stateEbbT6_jjT7_P12ihipStream_tbENKUlT_T0_SG_SL_E_clISA_SA_SB_SB_EEDaSZ_S10_SG_SL_EUlSZ_E_NS1_11comp_targetILNS1_3genE5ELNS1_11target_archE942ELNS1_3gpuE9ELNS1_3repE0EEENS1_47radix_sort_onesweep_sort_config_static_selectorELNS0_4arch9wavefront6targetE0EEEvSG_.has_dyn_sized_stack, 0
	.set _ZN7rocprim17ROCPRIM_400000_NS6detail17trampoline_kernelINS0_14default_configENS1_35radix_sort_onesweep_config_selectorIiNS0_10empty_typeEEEZZNS1_29radix_sort_onesweep_iterationIS3_Lb1EPKiPiPS5_SB_mNS0_19identity_decomposerENS1_16block_id_wrapperIjLb1EEEEE10hipError_tT1_PNSt15iterator_traitsISG_E10value_typeET2_T3_PNSH_ISM_E10value_typeET4_T5_PSR_SS_PNS1_23onesweep_lookback_stateEbbT6_jjT7_P12ihipStream_tbENKUlT_T0_SG_SL_E_clISA_SA_SB_SB_EEDaSZ_S10_SG_SL_EUlSZ_E_NS1_11comp_targetILNS1_3genE5ELNS1_11target_archE942ELNS1_3gpuE9ELNS1_3repE0EEENS1_47radix_sort_onesweep_sort_config_static_selectorELNS0_4arch9wavefront6targetE0EEEvSG_.has_recursion, 0
	.set _ZN7rocprim17ROCPRIM_400000_NS6detail17trampoline_kernelINS0_14default_configENS1_35radix_sort_onesweep_config_selectorIiNS0_10empty_typeEEEZZNS1_29radix_sort_onesweep_iterationIS3_Lb1EPKiPiPS5_SB_mNS0_19identity_decomposerENS1_16block_id_wrapperIjLb1EEEEE10hipError_tT1_PNSt15iterator_traitsISG_E10value_typeET2_T3_PNSH_ISM_E10value_typeET4_T5_PSR_SS_PNS1_23onesweep_lookback_stateEbbT6_jjT7_P12ihipStream_tbENKUlT_T0_SG_SL_E_clISA_SA_SB_SB_EEDaSZ_S10_SG_SL_EUlSZ_E_NS1_11comp_targetILNS1_3genE5ELNS1_11target_archE942ELNS1_3gpuE9ELNS1_3repE0EEENS1_47radix_sort_onesweep_sort_config_static_selectorELNS0_4arch9wavefront6targetE0EEEvSG_.has_indirect_call, 0
	.section	.AMDGPU.csdata,"",@progbits
; Kernel info:
; codeLenInByte = 0
; TotalNumSgprs: 0
; NumVgprs: 0
; ScratchSize: 0
; MemoryBound: 0
; FloatMode: 240
; IeeeMode: 1
; LDSByteSize: 0 bytes/workgroup (compile time only)
; SGPRBlocks: 0
; VGPRBlocks: 0
; NumSGPRsForWavesPerEU: 1
; NumVGPRsForWavesPerEU: 1
; NamedBarCnt: 0
; Occupancy: 16
; WaveLimiterHint : 0
; COMPUTE_PGM_RSRC2:SCRATCH_EN: 0
; COMPUTE_PGM_RSRC2:USER_SGPR: 2
; COMPUTE_PGM_RSRC2:TRAP_HANDLER: 0
; COMPUTE_PGM_RSRC2:TGID_X_EN: 1
; COMPUTE_PGM_RSRC2:TGID_Y_EN: 0
; COMPUTE_PGM_RSRC2:TGID_Z_EN: 0
; COMPUTE_PGM_RSRC2:TIDIG_COMP_CNT: 0
	.section	.text._ZN7rocprim17ROCPRIM_400000_NS6detail17trampoline_kernelINS0_14default_configENS1_35radix_sort_onesweep_config_selectorIiNS0_10empty_typeEEEZZNS1_29radix_sort_onesweep_iterationIS3_Lb1EPKiPiPS5_SB_mNS0_19identity_decomposerENS1_16block_id_wrapperIjLb1EEEEE10hipError_tT1_PNSt15iterator_traitsISG_E10value_typeET2_T3_PNSH_ISM_E10value_typeET4_T5_PSR_SS_PNS1_23onesweep_lookback_stateEbbT6_jjT7_P12ihipStream_tbENKUlT_T0_SG_SL_E_clISA_SA_SB_SB_EEDaSZ_S10_SG_SL_EUlSZ_E_NS1_11comp_targetILNS1_3genE2ELNS1_11target_archE906ELNS1_3gpuE6ELNS1_3repE0EEENS1_47radix_sort_onesweep_sort_config_static_selectorELNS0_4arch9wavefront6targetE0EEEvSG_,"axG",@progbits,_ZN7rocprim17ROCPRIM_400000_NS6detail17trampoline_kernelINS0_14default_configENS1_35radix_sort_onesweep_config_selectorIiNS0_10empty_typeEEEZZNS1_29radix_sort_onesweep_iterationIS3_Lb1EPKiPiPS5_SB_mNS0_19identity_decomposerENS1_16block_id_wrapperIjLb1EEEEE10hipError_tT1_PNSt15iterator_traitsISG_E10value_typeET2_T3_PNSH_ISM_E10value_typeET4_T5_PSR_SS_PNS1_23onesweep_lookback_stateEbbT6_jjT7_P12ihipStream_tbENKUlT_T0_SG_SL_E_clISA_SA_SB_SB_EEDaSZ_S10_SG_SL_EUlSZ_E_NS1_11comp_targetILNS1_3genE2ELNS1_11target_archE906ELNS1_3gpuE6ELNS1_3repE0EEENS1_47radix_sort_onesweep_sort_config_static_selectorELNS0_4arch9wavefront6targetE0EEEvSG_,comdat
	.protected	_ZN7rocprim17ROCPRIM_400000_NS6detail17trampoline_kernelINS0_14default_configENS1_35radix_sort_onesweep_config_selectorIiNS0_10empty_typeEEEZZNS1_29radix_sort_onesweep_iterationIS3_Lb1EPKiPiPS5_SB_mNS0_19identity_decomposerENS1_16block_id_wrapperIjLb1EEEEE10hipError_tT1_PNSt15iterator_traitsISG_E10value_typeET2_T3_PNSH_ISM_E10value_typeET4_T5_PSR_SS_PNS1_23onesweep_lookback_stateEbbT6_jjT7_P12ihipStream_tbENKUlT_T0_SG_SL_E_clISA_SA_SB_SB_EEDaSZ_S10_SG_SL_EUlSZ_E_NS1_11comp_targetILNS1_3genE2ELNS1_11target_archE906ELNS1_3gpuE6ELNS1_3repE0EEENS1_47radix_sort_onesweep_sort_config_static_selectorELNS0_4arch9wavefront6targetE0EEEvSG_ ; -- Begin function _ZN7rocprim17ROCPRIM_400000_NS6detail17trampoline_kernelINS0_14default_configENS1_35radix_sort_onesweep_config_selectorIiNS0_10empty_typeEEEZZNS1_29radix_sort_onesweep_iterationIS3_Lb1EPKiPiPS5_SB_mNS0_19identity_decomposerENS1_16block_id_wrapperIjLb1EEEEE10hipError_tT1_PNSt15iterator_traitsISG_E10value_typeET2_T3_PNSH_ISM_E10value_typeET4_T5_PSR_SS_PNS1_23onesweep_lookback_stateEbbT6_jjT7_P12ihipStream_tbENKUlT_T0_SG_SL_E_clISA_SA_SB_SB_EEDaSZ_S10_SG_SL_EUlSZ_E_NS1_11comp_targetILNS1_3genE2ELNS1_11target_archE906ELNS1_3gpuE6ELNS1_3repE0EEENS1_47radix_sort_onesweep_sort_config_static_selectorELNS0_4arch9wavefront6targetE0EEEvSG_
	.globl	_ZN7rocprim17ROCPRIM_400000_NS6detail17trampoline_kernelINS0_14default_configENS1_35radix_sort_onesweep_config_selectorIiNS0_10empty_typeEEEZZNS1_29radix_sort_onesweep_iterationIS3_Lb1EPKiPiPS5_SB_mNS0_19identity_decomposerENS1_16block_id_wrapperIjLb1EEEEE10hipError_tT1_PNSt15iterator_traitsISG_E10value_typeET2_T3_PNSH_ISM_E10value_typeET4_T5_PSR_SS_PNS1_23onesweep_lookback_stateEbbT6_jjT7_P12ihipStream_tbENKUlT_T0_SG_SL_E_clISA_SA_SB_SB_EEDaSZ_S10_SG_SL_EUlSZ_E_NS1_11comp_targetILNS1_3genE2ELNS1_11target_archE906ELNS1_3gpuE6ELNS1_3repE0EEENS1_47radix_sort_onesweep_sort_config_static_selectorELNS0_4arch9wavefront6targetE0EEEvSG_
	.p2align	8
	.type	_ZN7rocprim17ROCPRIM_400000_NS6detail17trampoline_kernelINS0_14default_configENS1_35radix_sort_onesweep_config_selectorIiNS0_10empty_typeEEEZZNS1_29radix_sort_onesweep_iterationIS3_Lb1EPKiPiPS5_SB_mNS0_19identity_decomposerENS1_16block_id_wrapperIjLb1EEEEE10hipError_tT1_PNSt15iterator_traitsISG_E10value_typeET2_T3_PNSH_ISM_E10value_typeET4_T5_PSR_SS_PNS1_23onesweep_lookback_stateEbbT6_jjT7_P12ihipStream_tbENKUlT_T0_SG_SL_E_clISA_SA_SB_SB_EEDaSZ_S10_SG_SL_EUlSZ_E_NS1_11comp_targetILNS1_3genE2ELNS1_11target_archE906ELNS1_3gpuE6ELNS1_3repE0EEENS1_47radix_sort_onesweep_sort_config_static_selectorELNS0_4arch9wavefront6targetE0EEEvSG_,@function
_ZN7rocprim17ROCPRIM_400000_NS6detail17trampoline_kernelINS0_14default_configENS1_35radix_sort_onesweep_config_selectorIiNS0_10empty_typeEEEZZNS1_29radix_sort_onesweep_iterationIS3_Lb1EPKiPiPS5_SB_mNS0_19identity_decomposerENS1_16block_id_wrapperIjLb1EEEEE10hipError_tT1_PNSt15iterator_traitsISG_E10value_typeET2_T3_PNSH_ISM_E10value_typeET4_T5_PSR_SS_PNS1_23onesweep_lookback_stateEbbT6_jjT7_P12ihipStream_tbENKUlT_T0_SG_SL_E_clISA_SA_SB_SB_EEDaSZ_S10_SG_SL_EUlSZ_E_NS1_11comp_targetILNS1_3genE2ELNS1_11target_archE906ELNS1_3gpuE6ELNS1_3repE0EEENS1_47radix_sort_onesweep_sort_config_static_selectorELNS0_4arch9wavefront6targetE0EEEvSG_: ; @_ZN7rocprim17ROCPRIM_400000_NS6detail17trampoline_kernelINS0_14default_configENS1_35radix_sort_onesweep_config_selectorIiNS0_10empty_typeEEEZZNS1_29radix_sort_onesweep_iterationIS3_Lb1EPKiPiPS5_SB_mNS0_19identity_decomposerENS1_16block_id_wrapperIjLb1EEEEE10hipError_tT1_PNSt15iterator_traitsISG_E10value_typeET2_T3_PNSH_ISM_E10value_typeET4_T5_PSR_SS_PNS1_23onesweep_lookback_stateEbbT6_jjT7_P12ihipStream_tbENKUlT_T0_SG_SL_E_clISA_SA_SB_SB_EEDaSZ_S10_SG_SL_EUlSZ_E_NS1_11comp_targetILNS1_3genE2ELNS1_11target_archE906ELNS1_3gpuE6ELNS1_3repE0EEENS1_47radix_sort_onesweep_sort_config_static_selectorELNS0_4arch9wavefront6targetE0EEEvSG_
; %bb.0:
	.section	.rodata,"a",@progbits
	.p2align	6, 0x0
	.amdhsa_kernel _ZN7rocprim17ROCPRIM_400000_NS6detail17trampoline_kernelINS0_14default_configENS1_35radix_sort_onesweep_config_selectorIiNS0_10empty_typeEEEZZNS1_29radix_sort_onesweep_iterationIS3_Lb1EPKiPiPS5_SB_mNS0_19identity_decomposerENS1_16block_id_wrapperIjLb1EEEEE10hipError_tT1_PNSt15iterator_traitsISG_E10value_typeET2_T3_PNSH_ISM_E10value_typeET4_T5_PSR_SS_PNS1_23onesweep_lookback_stateEbbT6_jjT7_P12ihipStream_tbENKUlT_T0_SG_SL_E_clISA_SA_SB_SB_EEDaSZ_S10_SG_SL_EUlSZ_E_NS1_11comp_targetILNS1_3genE2ELNS1_11target_archE906ELNS1_3gpuE6ELNS1_3repE0EEENS1_47radix_sort_onesweep_sort_config_static_selectorELNS0_4arch9wavefront6targetE0EEEvSG_
		.amdhsa_group_segment_fixed_size 0
		.amdhsa_private_segment_fixed_size 0
		.amdhsa_kernarg_size 88
		.amdhsa_user_sgpr_count 2
		.amdhsa_user_sgpr_dispatch_ptr 0
		.amdhsa_user_sgpr_queue_ptr 0
		.amdhsa_user_sgpr_kernarg_segment_ptr 1
		.amdhsa_user_sgpr_dispatch_id 0
		.amdhsa_user_sgpr_kernarg_preload_length 0
		.amdhsa_user_sgpr_kernarg_preload_offset 0
		.amdhsa_user_sgpr_private_segment_size 0
		.amdhsa_wavefront_size32 1
		.amdhsa_uses_dynamic_stack 0
		.amdhsa_enable_private_segment 0
		.amdhsa_system_sgpr_workgroup_id_x 1
		.amdhsa_system_sgpr_workgroup_id_y 0
		.amdhsa_system_sgpr_workgroup_id_z 0
		.amdhsa_system_sgpr_workgroup_info 0
		.amdhsa_system_vgpr_workitem_id 0
		.amdhsa_next_free_vgpr 1
		.amdhsa_next_free_sgpr 1
		.amdhsa_named_barrier_count 0
		.amdhsa_reserve_vcc 0
		.amdhsa_float_round_mode_32 0
		.amdhsa_float_round_mode_16_64 0
		.amdhsa_float_denorm_mode_32 3
		.amdhsa_float_denorm_mode_16_64 3
		.amdhsa_fp16_overflow 0
		.amdhsa_memory_ordered 1
		.amdhsa_forward_progress 1
		.amdhsa_inst_pref_size 0
		.amdhsa_round_robin_scheduling 0
		.amdhsa_exception_fp_ieee_invalid_op 0
		.amdhsa_exception_fp_denorm_src 0
		.amdhsa_exception_fp_ieee_div_zero 0
		.amdhsa_exception_fp_ieee_overflow 0
		.amdhsa_exception_fp_ieee_underflow 0
		.amdhsa_exception_fp_ieee_inexact 0
		.amdhsa_exception_int_div_zero 0
	.end_amdhsa_kernel
	.section	.text._ZN7rocprim17ROCPRIM_400000_NS6detail17trampoline_kernelINS0_14default_configENS1_35radix_sort_onesweep_config_selectorIiNS0_10empty_typeEEEZZNS1_29radix_sort_onesweep_iterationIS3_Lb1EPKiPiPS5_SB_mNS0_19identity_decomposerENS1_16block_id_wrapperIjLb1EEEEE10hipError_tT1_PNSt15iterator_traitsISG_E10value_typeET2_T3_PNSH_ISM_E10value_typeET4_T5_PSR_SS_PNS1_23onesweep_lookback_stateEbbT6_jjT7_P12ihipStream_tbENKUlT_T0_SG_SL_E_clISA_SA_SB_SB_EEDaSZ_S10_SG_SL_EUlSZ_E_NS1_11comp_targetILNS1_3genE2ELNS1_11target_archE906ELNS1_3gpuE6ELNS1_3repE0EEENS1_47radix_sort_onesweep_sort_config_static_selectorELNS0_4arch9wavefront6targetE0EEEvSG_,"axG",@progbits,_ZN7rocprim17ROCPRIM_400000_NS6detail17trampoline_kernelINS0_14default_configENS1_35radix_sort_onesweep_config_selectorIiNS0_10empty_typeEEEZZNS1_29radix_sort_onesweep_iterationIS3_Lb1EPKiPiPS5_SB_mNS0_19identity_decomposerENS1_16block_id_wrapperIjLb1EEEEE10hipError_tT1_PNSt15iterator_traitsISG_E10value_typeET2_T3_PNSH_ISM_E10value_typeET4_T5_PSR_SS_PNS1_23onesweep_lookback_stateEbbT6_jjT7_P12ihipStream_tbENKUlT_T0_SG_SL_E_clISA_SA_SB_SB_EEDaSZ_S10_SG_SL_EUlSZ_E_NS1_11comp_targetILNS1_3genE2ELNS1_11target_archE906ELNS1_3gpuE6ELNS1_3repE0EEENS1_47radix_sort_onesweep_sort_config_static_selectorELNS0_4arch9wavefront6targetE0EEEvSG_,comdat
.Lfunc_end861:
	.size	_ZN7rocprim17ROCPRIM_400000_NS6detail17trampoline_kernelINS0_14default_configENS1_35radix_sort_onesweep_config_selectorIiNS0_10empty_typeEEEZZNS1_29radix_sort_onesweep_iterationIS3_Lb1EPKiPiPS5_SB_mNS0_19identity_decomposerENS1_16block_id_wrapperIjLb1EEEEE10hipError_tT1_PNSt15iterator_traitsISG_E10value_typeET2_T3_PNSH_ISM_E10value_typeET4_T5_PSR_SS_PNS1_23onesweep_lookback_stateEbbT6_jjT7_P12ihipStream_tbENKUlT_T0_SG_SL_E_clISA_SA_SB_SB_EEDaSZ_S10_SG_SL_EUlSZ_E_NS1_11comp_targetILNS1_3genE2ELNS1_11target_archE906ELNS1_3gpuE6ELNS1_3repE0EEENS1_47radix_sort_onesweep_sort_config_static_selectorELNS0_4arch9wavefront6targetE0EEEvSG_, .Lfunc_end861-_ZN7rocprim17ROCPRIM_400000_NS6detail17trampoline_kernelINS0_14default_configENS1_35radix_sort_onesweep_config_selectorIiNS0_10empty_typeEEEZZNS1_29radix_sort_onesweep_iterationIS3_Lb1EPKiPiPS5_SB_mNS0_19identity_decomposerENS1_16block_id_wrapperIjLb1EEEEE10hipError_tT1_PNSt15iterator_traitsISG_E10value_typeET2_T3_PNSH_ISM_E10value_typeET4_T5_PSR_SS_PNS1_23onesweep_lookback_stateEbbT6_jjT7_P12ihipStream_tbENKUlT_T0_SG_SL_E_clISA_SA_SB_SB_EEDaSZ_S10_SG_SL_EUlSZ_E_NS1_11comp_targetILNS1_3genE2ELNS1_11target_archE906ELNS1_3gpuE6ELNS1_3repE0EEENS1_47radix_sort_onesweep_sort_config_static_selectorELNS0_4arch9wavefront6targetE0EEEvSG_
                                        ; -- End function
	.set _ZN7rocprim17ROCPRIM_400000_NS6detail17trampoline_kernelINS0_14default_configENS1_35radix_sort_onesweep_config_selectorIiNS0_10empty_typeEEEZZNS1_29radix_sort_onesweep_iterationIS3_Lb1EPKiPiPS5_SB_mNS0_19identity_decomposerENS1_16block_id_wrapperIjLb1EEEEE10hipError_tT1_PNSt15iterator_traitsISG_E10value_typeET2_T3_PNSH_ISM_E10value_typeET4_T5_PSR_SS_PNS1_23onesweep_lookback_stateEbbT6_jjT7_P12ihipStream_tbENKUlT_T0_SG_SL_E_clISA_SA_SB_SB_EEDaSZ_S10_SG_SL_EUlSZ_E_NS1_11comp_targetILNS1_3genE2ELNS1_11target_archE906ELNS1_3gpuE6ELNS1_3repE0EEENS1_47radix_sort_onesweep_sort_config_static_selectorELNS0_4arch9wavefront6targetE0EEEvSG_.num_vgpr, 0
	.set _ZN7rocprim17ROCPRIM_400000_NS6detail17trampoline_kernelINS0_14default_configENS1_35radix_sort_onesweep_config_selectorIiNS0_10empty_typeEEEZZNS1_29radix_sort_onesweep_iterationIS3_Lb1EPKiPiPS5_SB_mNS0_19identity_decomposerENS1_16block_id_wrapperIjLb1EEEEE10hipError_tT1_PNSt15iterator_traitsISG_E10value_typeET2_T3_PNSH_ISM_E10value_typeET4_T5_PSR_SS_PNS1_23onesweep_lookback_stateEbbT6_jjT7_P12ihipStream_tbENKUlT_T0_SG_SL_E_clISA_SA_SB_SB_EEDaSZ_S10_SG_SL_EUlSZ_E_NS1_11comp_targetILNS1_3genE2ELNS1_11target_archE906ELNS1_3gpuE6ELNS1_3repE0EEENS1_47radix_sort_onesweep_sort_config_static_selectorELNS0_4arch9wavefront6targetE0EEEvSG_.num_agpr, 0
	.set _ZN7rocprim17ROCPRIM_400000_NS6detail17trampoline_kernelINS0_14default_configENS1_35radix_sort_onesweep_config_selectorIiNS0_10empty_typeEEEZZNS1_29radix_sort_onesweep_iterationIS3_Lb1EPKiPiPS5_SB_mNS0_19identity_decomposerENS1_16block_id_wrapperIjLb1EEEEE10hipError_tT1_PNSt15iterator_traitsISG_E10value_typeET2_T3_PNSH_ISM_E10value_typeET4_T5_PSR_SS_PNS1_23onesweep_lookback_stateEbbT6_jjT7_P12ihipStream_tbENKUlT_T0_SG_SL_E_clISA_SA_SB_SB_EEDaSZ_S10_SG_SL_EUlSZ_E_NS1_11comp_targetILNS1_3genE2ELNS1_11target_archE906ELNS1_3gpuE6ELNS1_3repE0EEENS1_47radix_sort_onesweep_sort_config_static_selectorELNS0_4arch9wavefront6targetE0EEEvSG_.numbered_sgpr, 0
	.set _ZN7rocprim17ROCPRIM_400000_NS6detail17trampoline_kernelINS0_14default_configENS1_35radix_sort_onesweep_config_selectorIiNS0_10empty_typeEEEZZNS1_29radix_sort_onesweep_iterationIS3_Lb1EPKiPiPS5_SB_mNS0_19identity_decomposerENS1_16block_id_wrapperIjLb1EEEEE10hipError_tT1_PNSt15iterator_traitsISG_E10value_typeET2_T3_PNSH_ISM_E10value_typeET4_T5_PSR_SS_PNS1_23onesweep_lookback_stateEbbT6_jjT7_P12ihipStream_tbENKUlT_T0_SG_SL_E_clISA_SA_SB_SB_EEDaSZ_S10_SG_SL_EUlSZ_E_NS1_11comp_targetILNS1_3genE2ELNS1_11target_archE906ELNS1_3gpuE6ELNS1_3repE0EEENS1_47radix_sort_onesweep_sort_config_static_selectorELNS0_4arch9wavefront6targetE0EEEvSG_.num_named_barrier, 0
	.set _ZN7rocprim17ROCPRIM_400000_NS6detail17trampoline_kernelINS0_14default_configENS1_35radix_sort_onesweep_config_selectorIiNS0_10empty_typeEEEZZNS1_29radix_sort_onesweep_iterationIS3_Lb1EPKiPiPS5_SB_mNS0_19identity_decomposerENS1_16block_id_wrapperIjLb1EEEEE10hipError_tT1_PNSt15iterator_traitsISG_E10value_typeET2_T3_PNSH_ISM_E10value_typeET4_T5_PSR_SS_PNS1_23onesweep_lookback_stateEbbT6_jjT7_P12ihipStream_tbENKUlT_T0_SG_SL_E_clISA_SA_SB_SB_EEDaSZ_S10_SG_SL_EUlSZ_E_NS1_11comp_targetILNS1_3genE2ELNS1_11target_archE906ELNS1_3gpuE6ELNS1_3repE0EEENS1_47radix_sort_onesweep_sort_config_static_selectorELNS0_4arch9wavefront6targetE0EEEvSG_.private_seg_size, 0
	.set _ZN7rocprim17ROCPRIM_400000_NS6detail17trampoline_kernelINS0_14default_configENS1_35radix_sort_onesweep_config_selectorIiNS0_10empty_typeEEEZZNS1_29radix_sort_onesweep_iterationIS3_Lb1EPKiPiPS5_SB_mNS0_19identity_decomposerENS1_16block_id_wrapperIjLb1EEEEE10hipError_tT1_PNSt15iterator_traitsISG_E10value_typeET2_T3_PNSH_ISM_E10value_typeET4_T5_PSR_SS_PNS1_23onesweep_lookback_stateEbbT6_jjT7_P12ihipStream_tbENKUlT_T0_SG_SL_E_clISA_SA_SB_SB_EEDaSZ_S10_SG_SL_EUlSZ_E_NS1_11comp_targetILNS1_3genE2ELNS1_11target_archE906ELNS1_3gpuE6ELNS1_3repE0EEENS1_47radix_sort_onesweep_sort_config_static_selectorELNS0_4arch9wavefront6targetE0EEEvSG_.uses_vcc, 0
	.set _ZN7rocprim17ROCPRIM_400000_NS6detail17trampoline_kernelINS0_14default_configENS1_35radix_sort_onesweep_config_selectorIiNS0_10empty_typeEEEZZNS1_29radix_sort_onesweep_iterationIS3_Lb1EPKiPiPS5_SB_mNS0_19identity_decomposerENS1_16block_id_wrapperIjLb1EEEEE10hipError_tT1_PNSt15iterator_traitsISG_E10value_typeET2_T3_PNSH_ISM_E10value_typeET4_T5_PSR_SS_PNS1_23onesweep_lookback_stateEbbT6_jjT7_P12ihipStream_tbENKUlT_T0_SG_SL_E_clISA_SA_SB_SB_EEDaSZ_S10_SG_SL_EUlSZ_E_NS1_11comp_targetILNS1_3genE2ELNS1_11target_archE906ELNS1_3gpuE6ELNS1_3repE0EEENS1_47radix_sort_onesweep_sort_config_static_selectorELNS0_4arch9wavefront6targetE0EEEvSG_.uses_flat_scratch, 0
	.set _ZN7rocprim17ROCPRIM_400000_NS6detail17trampoline_kernelINS0_14default_configENS1_35radix_sort_onesweep_config_selectorIiNS0_10empty_typeEEEZZNS1_29radix_sort_onesweep_iterationIS3_Lb1EPKiPiPS5_SB_mNS0_19identity_decomposerENS1_16block_id_wrapperIjLb1EEEEE10hipError_tT1_PNSt15iterator_traitsISG_E10value_typeET2_T3_PNSH_ISM_E10value_typeET4_T5_PSR_SS_PNS1_23onesweep_lookback_stateEbbT6_jjT7_P12ihipStream_tbENKUlT_T0_SG_SL_E_clISA_SA_SB_SB_EEDaSZ_S10_SG_SL_EUlSZ_E_NS1_11comp_targetILNS1_3genE2ELNS1_11target_archE906ELNS1_3gpuE6ELNS1_3repE0EEENS1_47radix_sort_onesweep_sort_config_static_selectorELNS0_4arch9wavefront6targetE0EEEvSG_.has_dyn_sized_stack, 0
	.set _ZN7rocprim17ROCPRIM_400000_NS6detail17trampoline_kernelINS0_14default_configENS1_35radix_sort_onesweep_config_selectorIiNS0_10empty_typeEEEZZNS1_29radix_sort_onesweep_iterationIS3_Lb1EPKiPiPS5_SB_mNS0_19identity_decomposerENS1_16block_id_wrapperIjLb1EEEEE10hipError_tT1_PNSt15iterator_traitsISG_E10value_typeET2_T3_PNSH_ISM_E10value_typeET4_T5_PSR_SS_PNS1_23onesweep_lookback_stateEbbT6_jjT7_P12ihipStream_tbENKUlT_T0_SG_SL_E_clISA_SA_SB_SB_EEDaSZ_S10_SG_SL_EUlSZ_E_NS1_11comp_targetILNS1_3genE2ELNS1_11target_archE906ELNS1_3gpuE6ELNS1_3repE0EEENS1_47radix_sort_onesweep_sort_config_static_selectorELNS0_4arch9wavefront6targetE0EEEvSG_.has_recursion, 0
	.set _ZN7rocprim17ROCPRIM_400000_NS6detail17trampoline_kernelINS0_14default_configENS1_35radix_sort_onesweep_config_selectorIiNS0_10empty_typeEEEZZNS1_29radix_sort_onesweep_iterationIS3_Lb1EPKiPiPS5_SB_mNS0_19identity_decomposerENS1_16block_id_wrapperIjLb1EEEEE10hipError_tT1_PNSt15iterator_traitsISG_E10value_typeET2_T3_PNSH_ISM_E10value_typeET4_T5_PSR_SS_PNS1_23onesweep_lookback_stateEbbT6_jjT7_P12ihipStream_tbENKUlT_T0_SG_SL_E_clISA_SA_SB_SB_EEDaSZ_S10_SG_SL_EUlSZ_E_NS1_11comp_targetILNS1_3genE2ELNS1_11target_archE906ELNS1_3gpuE6ELNS1_3repE0EEENS1_47radix_sort_onesweep_sort_config_static_selectorELNS0_4arch9wavefront6targetE0EEEvSG_.has_indirect_call, 0
	.section	.AMDGPU.csdata,"",@progbits
; Kernel info:
; codeLenInByte = 0
; TotalNumSgprs: 0
; NumVgprs: 0
; ScratchSize: 0
; MemoryBound: 0
; FloatMode: 240
; IeeeMode: 1
; LDSByteSize: 0 bytes/workgroup (compile time only)
; SGPRBlocks: 0
; VGPRBlocks: 0
; NumSGPRsForWavesPerEU: 1
; NumVGPRsForWavesPerEU: 1
; NamedBarCnt: 0
; Occupancy: 16
; WaveLimiterHint : 0
; COMPUTE_PGM_RSRC2:SCRATCH_EN: 0
; COMPUTE_PGM_RSRC2:USER_SGPR: 2
; COMPUTE_PGM_RSRC2:TRAP_HANDLER: 0
; COMPUTE_PGM_RSRC2:TGID_X_EN: 1
; COMPUTE_PGM_RSRC2:TGID_Y_EN: 0
; COMPUTE_PGM_RSRC2:TGID_Z_EN: 0
; COMPUTE_PGM_RSRC2:TIDIG_COMP_CNT: 0
	.section	.text._ZN7rocprim17ROCPRIM_400000_NS6detail17trampoline_kernelINS0_14default_configENS1_35radix_sort_onesweep_config_selectorIiNS0_10empty_typeEEEZZNS1_29radix_sort_onesweep_iterationIS3_Lb1EPKiPiPS5_SB_mNS0_19identity_decomposerENS1_16block_id_wrapperIjLb1EEEEE10hipError_tT1_PNSt15iterator_traitsISG_E10value_typeET2_T3_PNSH_ISM_E10value_typeET4_T5_PSR_SS_PNS1_23onesweep_lookback_stateEbbT6_jjT7_P12ihipStream_tbENKUlT_T0_SG_SL_E_clISA_SA_SB_SB_EEDaSZ_S10_SG_SL_EUlSZ_E_NS1_11comp_targetILNS1_3genE4ELNS1_11target_archE910ELNS1_3gpuE8ELNS1_3repE0EEENS1_47radix_sort_onesweep_sort_config_static_selectorELNS0_4arch9wavefront6targetE0EEEvSG_,"axG",@progbits,_ZN7rocprim17ROCPRIM_400000_NS6detail17trampoline_kernelINS0_14default_configENS1_35radix_sort_onesweep_config_selectorIiNS0_10empty_typeEEEZZNS1_29radix_sort_onesweep_iterationIS3_Lb1EPKiPiPS5_SB_mNS0_19identity_decomposerENS1_16block_id_wrapperIjLb1EEEEE10hipError_tT1_PNSt15iterator_traitsISG_E10value_typeET2_T3_PNSH_ISM_E10value_typeET4_T5_PSR_SS_PNS1_23onesweep_lookback_stateEbbT6_jjT7_P12ihipStream_tbENKUlT_T0_SG_SL_E_clISA_SA_SB_SB_EEDaSZ_S10_SG_SL_EUlSZ_E_NS1_11comp_targetILNS1_3genE4ELNS1_11target_archE910ELNS1_3gpuE8ELNS1_3repE0EEENS1_47radix_sort_onesweep_sort_config_static_selectorELNS0_4arch9wavefront6targetE0EEEvSG_,comdat
	.protected	_ZN7rocprim17ROCPRIM_400000_NS6detail17trampoline_kernelINS0_14default_configENS1_35radix_sort_onesweep_config_selectorIiNS0_10empty_typeEEEZZNS1_29radix_sort_onesweep_iterationIS3_Lb1EPKiPiPS5_SB_mNS0_19identity_decomposerENS1_16block_id_wrapperIjLb1EEEEE10hipError_tT1_PNSt15iterator_traitsISG_E10value_typeET2_T3_PNSH_ISM_E10value_typeET4_T5_PSR_SS_PNS1_23onesweep_lookback_stateEbbT6_jjT7_P12ihipStream_tbENKUlT_T0_SG_SL_E_clISA_SA_SB_SB_EEDaSZ_S10_SG_SL_EUlSZ_E_NS1_11comp_targetILNS1_3genE4ELNS1_11target_archE910ELNS1_3gpuE8ELNS1_3repE0EEENS1_47radix_sort_onesweep_sort_config_static_selectorELNS0_4arch9wavefront6targetE0EEEvSG_ ; -- Begin function _ZN7rocprim17ROCPRIM_400000_NS6detail17trampoline_kernelINS0_14default_configENS1_35radix_sort_onesweep_config_selectorIiNS0_10empty_typeEEEZZNS1_29radix_sort_onesweep_iterationIS3_Lb1EPKiPiPS5_SB_mNS0_19identity_decomposerENS1_16block_id_wrapperIjLb1EEEEE10hipError_tT1_PNSt15iterator_traitsISG_E10value_typeET2_T3_PNSH_ISM_E10value_typeET4_T5_PSR_SS_PNS1_23onesweep_lookback_stateEbbT6_jjT7_P12ihipStream_tbENKUlT_T0_SG_SL_E_clISA_SA_SB_SB_EEDaSZ_S10_SG_SL_EUlSZ_E_NS1_11comp_targetILNS1_3genE4ELNS1_11target_archE910ELNS1_3gpuE8ELNS1_3repE0EEENS1_47radix_sort_onesweep_sort_config_static_selectorELNS0_4arch9wavefront6targetE0EEEvSG_
	.globl	_ZN7rocprim17ROCPRIM_400000_NS6detail17trampoline_kernelINS0_14default_configENS1_35radix_sort_onesweep_config_selectorIiNS0_10empty_typeEEEZZNS1_29radix_sort_onesweep_iterationIS3_Lb1EPKiPiPS5_SB_mNS0_19identity_decomposerENS1_16block_id_wrapperIjLb1EEEEE10hipError_tT1_PNSt15iterator_traitsISG_E10value_typeET2_T3_PNSH_ISM_E10value_typeET4_T5_PSR_SS_PNS1_23onesweep_lookback_stateEbbT6_jjT7_P12ihipStream_tbENKUlT_T0_SG_SL_E_clISA_SA_SB_SB_EEDaSZ_S10_SG_SL_EUlSZ_E_NS1_11comp_targetILNS1_3genE4ELNS1_11target_archE910ELNS1_3gpuE8ELNS1_3repE0EEENS1_47radix_sort_onesweep_sort_config_static_selectorELNS0_4arch9wavefront6targetE0EEEvSG_
	.p2align	8
	.type	_ZN7rocprim17ROCPRIM_400000_NS6detail17trampoline_kernelINS0_14default_configENS1_35radix_sort_onesweep_config_selectorIiNS0_10empty_typeEEEZZNS1_29radix_sort_onesweep_iterationIS3_Lb1EPKiPiPS5_SB_mNS0_19identity_decomposerENS1_16block_id_wrapperIjLb1EEEEE10hipError_tT1_PNSt15iterator_traitsISG_E10value_typeET2_T3_PNSH_ISM_E10value_typeET4_T5_PSR_SS_PNS1_23onesweep_lookback_stateEbbT6_jjT7_P12ihipStream_tbENKUlT_T0_SG_SL_E_clISA_SA_SB_SB_EEDaSZ_S10_SG_SL_EUlSZ_E_NS1_11comp_targetILNS1_3genE4ELNS1_11target_archE910ELNS1_3gpuE8ELNS1_3repE0EEENS1_47radix_sort_onesweep_sort_config_static_selectorELNS0_4arch9wavefront6targetE0EEEvSG_,@function
_ZN7rocprim17ROCPRIM_400000_NS6detail17trampoline_kernelINS0_14default_configENS1_35radix_sort_onesweep_config_selectorIiNS0_10empty_typeEEEZZNS1_29radix_sort_onesweep_iterationIS3_Lb1EPKiPiPS5_SB_mNS0_19identity_decomposerENS1_16block_id_wrapperIjLb1EEEEE10hipError_tT1_PNSt15iterator_traitsISG_E10value_typeET2_T3_PNSH_ISM_E10value_typeET4_T5_PSR_SS_PNS1_23onesweep_lookback_stateEbbT6_jjT7_P12ihipStream_tbENKUlT_T0_SG_SL_E_clISA_SA_SB_SB_EEDaSZ_S10_SG_SL_EUlSZ_E_NS1_11comp_targetILNS1_3genE4ELNS1_11target_archE910ELNS1_3gpuE8ELNS1_3repE0EEENS1_47radix_sort_onesweep_sort_config_static_selectorELNS0_4arch9wavefront6targetE0EEEvSG_: ; @_ZN7rocprim17ROCPRIM_400000_NS6detail17trampoline_kernelINS0_14default_configENS1_35radix_sort_onesweep_config_selectorIiNS0_10empty_typeEEEZZNS1_29radix_sort_onesweep_iterationIS3_Lb1EPKiPiPS5_SB_mNS0_19identity_decomposerENS1_16block_id_wrapperIjLb1EEEEE10hipError_tT1_PNSt15iterator_traitsISG_E10value_typeET2_T3_PNSH_ISM_E10value_typeET4_T5_PSR_SS_PNS1_23onesweep_lookback_stateEbbT6_jjT7_P12ihipStream_tbENKUlT_T0_SG_SL_E_clISA_SA_SB_SB_EEDaSZ_S10_SG_SL_EUlSZ_E_NS1_11comp_targetILNS1_3genE4ELNS1_11target_archE910ELNS1_3gpuE8ELNS1_3repE0EEENS1_47radix_sort_onesweep_sort_config_static_selectorELNS0_4arch9wavefront6targetE0EEEvSG_
; %bb.0:
	.section	.rodata,"a",@progbits
	.p2align	6, 0x0
	.amdhsa_kernel _ZN7rocprim17ROCPRIM_400000_NS6detail17trampoline_kernelINS0_14default_configENS1_35radix_sort_onesweep_config_selectorIiNS0_10empty_typeEEEZZNS1_29radix_sort_onesweep_iterationIS3_Lb1EPKiPiPS5_SB_mNS0_19identity_decomposerENS1_16block_id_wrapperIjLb1EEEEE10hipError_tT1_PNSt15iterator_traitsISG_E10value_typeET2_T3_PNSH_ISM_E10value_typeET4_T5_PSR_SS_PNS1_23onesweep_lookback_stateEbbT6_jjT7_P12ihipStream_tbENKUlT_T0_SG_SL_E_clISA_SA_SB_SB_EEDaSZ_S10_SG_SL_EUlSZ_E_NS1_11comp_targetILNS1_3genE4ELNS1_11target_archE910ELNS1_3gpuE8ELNS1_3repE0EEENS1_47radix_sort_onesweep_sort_config_static_selectorELNS0_4arch9wavefront6targetE0EEEvSG_
		.amdhsa_group_segment_fixed_size 0
		.amdhsa_private_segment_fixed_size 0
		.amdhsa_kernarg_size 88
		.amdhsa_user_sgpr_count 2
		.amdhsa_user_sgpr_dispatch_ptr 0
		.amdhsa_user_sgpr_queue_ptr 0
		.amdhsa_user_sgpr_kernarg_segment_ptr 1
		.amdhsa_user_sgpr_dispatch_id 0
		.amdhsa_user_sgpr_kernarg_preload_length 0
		.amdhsa_user_sgpr_kernarg_preload_offset 0
		.amdhsa_user_sgpr_private_segment_size 0
		.amdhsa_wavefront_size32 1
		.amdhsa_uses_dynamic_stack 0
		.amdhsa_enable_private_segment 0
		.amdhsa_system_sgpr_workgroup_id_x 1
		.amdhsa_system_sgpr_workgroup_id_y 0
		.amdhsa_system_sgpr_workgroup_id_z 0
		.amdhsa_system_sgpr_workgroup_info 0
		.amdhsa_system_vgpr_workitem_id 0
		.amdhsa_next_free_vgpr 1
		.amdhsa_next_free_sgpr 1
		.amdhsa_named_barrier_count 0
		.amdhsa_reserve_vcc 0
		.amdhsa_float_round_mode_32 0
		.amdhsa_float_round_mode_16_64 0
		.amdhsa_float_denorm_mode_32 3
		.amdhsa_float_denorm_mode_16_64 3
		.amdhsa_fp16_overflow 0
		.amdhsa_memory_ordered 1
		.amdhsa_forward_progress 1
		.amdhsa_inst_pref_size 0
		.amdhsa_round_robin_scheduling 0
		.amdhsa_exception_fp_ieee_invalid_op 0
		.amdhsa_exception_fp_denorm_src 0
		.amdhsa_exception_fp_ieee_div_zero 0
		.amdhsa_exception_fp_ieee_overflow 0
		.amdhsa_exception_fp_ieee_underflow 0
		.amdhsa_exception_fp_ieee_inexact 0
		.amdhsa_exception_int_div_zero 0
	.end_amdhsa_kernel
	.section	.text._ZN7rocprim17ROCPRIM_400000_NS6detail17trampoline_kernelINS0_14default_configENS1_35radix_sort_onesweep_config_selectorIiNS0_10empty_typeEEEZZNS1_29radix_sort_onesweep_iterationIS3_Lb1EPKiPiPS5_SB_mNS0_19identity_decomposerENS1_16block_id_wrapperIjLb1EEEEE10hipError_tT1_PNSt15iterator_traitsISG_E10value_typeET2_T3_PNSH_ISM_E10value_typeET4_T5_PSR_SS_PNS1_23onesweep_lookback_stateEbbT6_jjT7_P12ihipStream_tbENKUlT_T0_SG_SL_E_clISA_SA_SB_SB_EEDaSZ_S10_SG_SL_EUlSZ_E_NS1_11comp_targetILNS1_3genE4ELNS1_11target_archE910ELNS1_3gpuE8ELNS1_3repE0EEENS1_47radix_sort_onesweep_sort_config_static_selectorELNS0_4arch9wavefront6targetE0EEEvSG_,"axG",@progbits,_ZN7rocprim17ROCPRIM_400000_NS6detail17trampoline_kernelINS0_14default_configENS1_35radix_sort_onesweep_config_selectorIiNS0_10empty_typeEEEZZNS1_29radix_sort_onesweep_iterationIS3_Lb1EPKiPiPS5_SB_mNS0_19identity_decomposerENS1_16block_id_wrapperIjLb1EEEEE10hipError_tT1_PNSt15iterator_traitsISG_E10value_typeET2_T3_PNSH_ISM_E10value_typeET4_T5_PSR_SS_PNS1_23onesweep_lookback_stateEbbT6_jjT7_P12ihipStream_tbENKUlT_T0_SG_SL_E_clISA_SA_SB_SB_EEDaSZ_S10_SG_SL_EUlSZ_E_NS1_11comp_targetILNS1_3genE4ELNS1_11target_archE910ELNS1_3gpuE8ELNS1_3repE0EEENS1_47radix_sort_onesweep_sort_config_static_selectorELNS0_4arch9wavefront6targetE0EEEvSG_,comdat
.Lfunc_end862:
	.size	_ZN7rocprim17ROCPRIM_400000_NS6detail17trampoline_kernelINS0_14default_configENS1_35radix_sort_onesweep_config_selectorIiNS0_10empty_typeEEEZZNS1_29radix_sort_onesweep_iterationIS3_Lb1EPKiPiPS5_SB_mNS0_19identity_decomposerENS1_16block_id_wrapperIjLb1EEEEE10hipError_tT1_PNSt15iterator_traitsISG_E10value_typeET2_T3_PNSH_ISM_E10value_typeET4_T5_PSR_SS_PNS1_23onesweep_lookback_stateEbbT6_jjT7_P12ihipStream_tbENKUlT_T0_SG_SL_E_clISA_SA_SB_SB_EEDaSZ_S10_SG_SL_EUlSZ_E_NS1_11comp_targetILNS1_3genE4ELNS1_11target_archE910ELNS1_3gpuE8ELNS1_3repE0EEENS1_47radix_sort_onesweep_sort_config_static_selectorELNS0_4arch9wavefront6targetE0EEEvSG_, .Lfunc_end862-_ZN7rocprim17ROCPRIM_400000_NS6detail17trampoline_kernelINS0_14default_configENS1_35radix_sort_onesweep_config_selectorIiNS0_10empty_typeEEEZZNS1_29radix_sort_onesweep_iterationIS3_Lb1EPKiPiPS5_SB_mNS0_19identity_decomposerENS1_16block_id_wrapperIjLb1EEEEE10hipError_tT1_PNSt15iterator_traitsISG_E10value_typeET2_T3_PNSH_ISM_E10value_typeET4_T5_PSR_SS_PNS1_23onesweep_lookback_stateEbbT6_jjT7_P12ihipStream_tbENKUlT_T0_SG_SL_E_clISA_SA_SB_SB_EEDaSZ_S10_SG_SL_EUlSZ_E_NS1_11comp_targetILNS1_3genE4ELNS1_11target_archE910ELNS1_3gpuE8ELNS1_3repE0EEENS1_47radix_sort_onesweep_sort_config_static_selectorELNS0_4arch9wavefront6targetE0EEEvSG_
                                        ; -- End function
	.set _ZN7rocprim17ROCPRIM_400000_NS6detail17trampoline_kernelINS0_14default_configENS1_35radix_sort_onesweep_config_selectorIiNS0_10empty_typeEEEZZNS1_29radix_sort_onesweep_iterationIS3_Lb1EPKiPiPS5_SB_mNS0_19identity_decomposerENS1_16block_id_wrapperIjLb1EEEEE10hipError_tT1_PNSt15iterator_traitsISG_E10value_typeET2_T3_PNSH_ISM_E10value_typeET4_T5_PSR_SS_PNS1_23onesweep_lookback_stateEbbT6_jjT7_P12ihipStream_tbENKUlT_T0_SG_SL_E_clISA_SA_SB_SB_EEDaSZ_S10_SG_SL_EUlSZ_E_NS1_11comp_targetILNS1_3genE4ELNS1_11target_archE910ELNS1_3gpuE8ELNS1_3repE0EEENS1_47radix_sort_onesweep_sort_config_static_selectorELNS0_4arch9wavefront6targetE0EEEvSG_.num_vgpr, 0
	.set _ZN7rocprim17ROCPRIM_400000_NS6detail17trampoline_kernelINS0_14default_configENS1_35radix_sort_onesweep_config_selectorIiNS0_10empty_typeEEEZZNS1_29radix_sort_onesweep_iterationIS3_Lb1EPKiPiPS5_SB_mNS0_19identity_decomposerENS1_16block_id_wrapperIjLb1EEEEE10hipError_tT1_PNSt15iterator_traitsISG_E10value_typeET2_T3_PNSH_ISM_E10value_typeET4_T5_PSR_SS_PNS1_23onesweep_lookback_stateEbbT6_jjT7_P12ihipStream_tbENKUlT_T0_SG_SL_E_clISA_SA_SB_SB_EEDaSZ_S10_SG_SL_EUlSZ_E_NS1_11comp_targetILNS1_3genE4ELNS1_11target_archE910ELNS1_3gpuE8ELNS1_3repE0EEENS1_47radix_sort_onesweep_sort_config_static_selectorELNS0_4arch9wavefront6targetE0EEEvSG_.num_agpr, 0
	.set _ZN7rocprim17ROCPRIM_400000_NS6detail17trampoline_kernelINS0_14default_configENS1_35radix_sort_onesweep_config_selectorIiNS0_10empty_typeEEEZZNS1_29radix_sort_onesweep_iterationIS3_Lb1EPKiPiPS5_SB_mNS0_19identity_decomposerENS1_16block_id_wrapperIjLb1EEEEE10hipError_tT1_PNSt15iterator_traitsISG_E10value_typeET2_T3_PNSH_ISM_E10value_typeET4_T5_PSR_SS_PNS1_23onesweep_lookback_stateEbbT6_jjT7_P12ihipStream_tbENKUlT_T0_SG_SL_E_clISA_SA_SB_SB_EEDaSZ_S10_SG_SL_EUlSZ_E_NS1_11comp_targetILNS1_3genE4ELNS1_11target_archE910ELNS1_3gpuE8ELNS1_3repE0EEENS1_47radix_sort_onesweep_sort_config_static_selectorELNS0_4arch9wavefront6targetE0EEEvSG_.numbered_sgpr, 0
	.set _ZN7rocprim17ROCPRIM_400000_NS6detail17trampoline_kernelINS0_14default_configENS1_35radix_sort_onesweep_config_selectorIiNS0_10empty_typeEEEZZNS1_29radix_sort_onesweep_iterationIS3_Lb1EPKiPiPS5_SB_mNS0_19identity_decomposerENS1_16block_id_wrapperIjLb1EEEEE10hipError_tT1_PNSt15iterator_traitsISG_E10value_typeET2_T3_PNSH_ISM_E10value_typeET4_T5_PSR_SS_PNS1_23onesweep_lookback_stateEbbT6_jjT7_P12ihipStream_tbENKUlT_T0_SG_SL_E_clISA_SA_SB_SB_EEDaSZ_S10_SG_SL_EUlSZ_E_NS1_11comp_targetILNS1_3genE4ELNS1_11target_archE910ELNS1_3gpuE8ELNS1_3repE0EEENS1_47radix_sort_onesweep_sort_config_static_selectorELNS0_4arch9wavefront6targetE0EEEvSG_.num_named_barrier, 0
	.set _ZN7rocprim17ROCPRIM_400000_NS6detail17trampoline_kernelINS0_14default_configENS1_35radix_sort_onesweep_config_selectorIiNS0_10empty_typeEEEZZNS1_29radix_sort_onesweep_iterationIS3_Lb1EPKiPiPS5_SB_mNS0_19identity_decomposerENS1_16block_id_wrapperIjLb1EEEEE10hipError_tT1_PNSt15iterator_traitsISG_E10value_typeET2_T3_PNSH_ISM_E10value_typeET4_T5_PSR_SS_PNS1_23onesweep_lookback_stateEbbT6_jjT7_P12ihipStream_tbENKUlT_T0_SG_SL_E_clISA_SA_SB_SB_EEDaSZ_S10_SG_SL_EUlSZ_E_NS1_11comp_targetILNS1_3genE4ELNS1_11target_archE910ELNS1_3gpuE8ELNS1_3repE0EEENS1_47radix_sort_onesweep_sort_config_static_selectorELNS0_4arch9wavefront6targetE0EEEvSG_.private_seg_size, 0
	.set _ZN7rocprim17ROCPRIM_400000_NS6detail17trampoline_kernelINS0_14default_configENS1_35radix_sort_onesweep_config_selectorIiNS0_10empty_typeEEEZZNS1_29radix_sort_onesweep_iterationIS3_Lb1EPKiPiPS5_SB_mNS0_19identity_decomposerENS1_16block_id_wrapperIjLb1EEEEE10hipError_tT1_PNSt15iterator_traitsISG_E10value_typeET2_T3_PNSH_ISM_E10value_typeET4_T5_PSR_SS_PNS1_23onesweep_lookback_stateEbbT6_jjT7_P12ihipStream_tbENKUlT_T0_SG_SL_E_clISA_SA_SB_SB_EEDaSZ_S10_SG_SL_EUlSZ_E_NS1_11comp_targetILNS1_3genE4ELNS1_11target_archE910ELNS1_3gpuE8ELNS1_3repE0EEENS1_47radix_sort_onesweep_sort_config_static_selectorELNS0_4arch9wavefront6targetE0EEEvSG_.uses_vcc, 0
	.set _ZN7rocprim17ROCPRIM_400000_NS6detail17trampoline_kernelINS0_14default_configENS1_35radix_sort_onesweep_config_selectorIiNS0_10empty_typeEEEZZNS1_29radix_sort_onesweep_iterationIS3_Lb1EPKiPiPS5_SB_mNS0_19identity_decomposerENS1_16block_id_wrapperIjLb1EEEEE10hipError_tT1_PNSt15iterator_traitsISG_E10value_typeET2_T3_PNSH_ISM_E10value_typeET4_T5_PSR_SS_PNS1_23onesweep_lookback_stateEbbT6_jjT7_P12ihipStream_tbENKUlT_T0_SG_SL_E_clISA_SA_SB_SB_EEDaSZ_S10_SG_SL_EUlSZ_E_NS1_11comp_targetILNS1_3genE4ELNS1_11target_archE910ELNS1_3gpuE8ELNS1_3repE0EEENS1_47radix_sort_onesweep_sort_config_static_selectorELNS0_4arch9wavefront6targetE0EEEvSG_.uses_flat_scratch, 0
	.set _ZN7rocprim17ROCPRIM_400000_NS6detail17trampoline_kernelINS0_14default_configENS1_35radix_sort_onesweep_config_selectorIiNS0_10empty_typeEEEZZNS1_29radix_sort_onesweep_iterationIS3_Lb1EPKiPiPS5_SB_mNS0_19identity_decomposerENS1_16block_id_wrapperIjLb1EEEEE10hipError_tT1_PNSt15iterator_traitsISG_E10value_typeET2_T3_PNSH_ISM_E10value_typeET4_T5_PSR_SS_PNS1_23onesweep_lookback_stateEbbT6_jjT7_P12ihipStream_tbENKUlT_T0_SG_SL_E_clISA_SA_SB_SB_EEDaSZ_S10_SG_SL_EUlSZ_E_NS1_11comp_targetILNS1_3genE4ELNS1_11target_archE910ELNS1_3gpuE8ELNS1_3repE0EEENS1_47radix_sort_onesweep_sort_config_static_selectorELNS0_4arch9wavefront6targetE0EEEvSG_.has_dyn_sized_stack, 0
	.set _ZN7rocprim17ROCPRIM_400000_NS6detail17trampoline_kernelINS0_14default_configENS1_35radix_sort_onesweep_config_selectorIiNS0_10empty_typeEEEZZNS1_29radix_sort_onesweep_iterationIS3_Lb1EPKiPiPS5_SB_mNS0_19identity_decomposerENS1_16block_id_wrapperIjLb1EEEEE10hipError_tT1_PNSt15iterator_traitsISG_E10value_typeET2_T3_PNSH_ISM_E10value_typeET4_T5_PSR_SS_PNS1_23onesweep_lookback_stateEbbT6_jjT7_P12ihipStream_tbENKUlT_T0_SG_SL_E_clISA_SA_SB_SB_EEDaSZ_S10_SG_SL_EUlSZ_E_NS1_11comp_targetILNS1_3genE4ELNS1_11target_archE910ELNS1_3gpuE8ELNS1_3repE0EEENS1_47radix_sort_onesweep_sort_config_static_selectorELNS0_4arch9wavefront6targetE0EEEvSG_.has_recursion, 0
	.set _ZN7rocprim17ROCPRIM_400000_NS6detail17trampoline_kernelINS0_14default_configENS1_35radix_sort_onesweep_config_selectorIiNS0_10empty_typeEEEZZNS1_29radix_sort_onesweep_iterationIS3_Lb1EPKiPiPS5_SB_mNS0_19identity_decomposerENS1_16block_id_wrapperIjLb1EEEEE10hipError_tT1_PNSt15iterator_traitsISG_E10value_typeET2_T3_PNSH_ISM_E10value_typeET4_T5_PSR_SS_PNS1_23onesweep_lookback_stateEbbT6_jjT7_P12ihipStream_tbENKUlT_T0_SG_SL_E_clISA_SA_SB_SB_EEDaSZ_S10_SG_SL_EUlSZ_E_NS1_11comp_targetILNS1_3genE4ELNS1_11target_archE910ELNS1_3gpuE8ELNS1_3repE0EEENS1_47radix_sort_onesweep_sort_config_static_selectorELNS0_4arch9wavefront6targetE0EEEvSG_.has_indirect_call, 0
	.section	.AMDGPU.csdata,"",@progbits
; Kernel info:
; codeLenInByte = 0
; TotalNumSgprs: 0
; NumVgprs: 0
; ScratchSize: 0
; MemoryBound: 0
; FloatMode: 240
; IeeeMode: 1
; LDSByteSize: 0 bytes/workgroup (compile time only)
; SGPRBlocks: 0
; VGPRBlocks: 0
; NumSGPRsForWavesPerEU: 1
; NumVGPRsForWavesPerEU: 1
; NamedBarCnt: 0
; Occupancy: 16
; WaveLimiterHint : 0
; COMPUTE_PGM_RSRC2:SCRATCH_EN: 0
; COMPUTE_PGM_RSRC2:USER_SGPR: 2
; COMPUTE_PGM_RSRC2:TRAP_HANDLER: 0
; COMPUTE_PGM_RSRC2:TGID_X_EN: 1
; COMPUTE_PGM_RSRC2:TGID_Y_EN: 0
; COMPUTE_PGM_RSRC2:TGID_Z_EN: 0
; COMPUTE_PGM_RSRC2:TIDIG_COMP_CNT: 0
	.section	.text._ZN7rocprim17ROCPRIM_400000_NS6detail17trampoline_kernelINS0_14default_configENS1_35radix_sort_onesweep_config_selectorIiNS0_10empty_typeEEEZZNS1_29radix_sort_onesweep_iterationIS3_Lb1EPKiPiPS5_SB_mNS0_19identity_decomposerENS1_16block_id_wrapperIjLb1EEEEE10hipError_tT1_PNSt15iterator_traitsISG_E10value_typeET2_T3_PNSH_ISM_E10value_typeET4_T5_PSR_SS_PNS1_23onesweep_lookback_stateEbbT6_jjT7_P12ihipStream_tbENKUlT_T0_SG_SL_E_clISA_SA_SB_SB_EEDaSZ_S10_SG_SL_EUlSZ_E_NS1_11comp_targetILNS1_3genE3ELNS1_11target_archE908ELNS1_3gpuE7ELNS1_3repE0EEENS1_47radix_sort_onesweep_sort_config_static_selectorELNS0_4arch9wavefront6targetE0EEEvSG_,"axG",@progbits,_ZN7rocprim17ROCPRIM_400000_NS6detail17trampoline_kernelINS0_14default_configENS1_35radix_sort_onesweep_config_selectorIiNS0_10empty_typeEEEZZNS1_29radix_sort_onesweep_iterationIS3_Lb1EPKiPiPS5_SB_mNS0_19identity_decomposerENS1_16block_id_wrapperIjLb1EEEEE10hipError_tT1_PNSt15iterator_traitsISG_E10value_typeET2_T3_PNSH_ISM_E10value_typeET4_T5_PSR_SS_PNS1_23onesweep_lookback_stateEbbT6_jjT7_P12ihipStream_tbENKUlT_T0_SG_SL_E_clISA_SA_SB_SB_EEDaSZ_S10_SG_SL_EUlSZ_E_NS1_11comp_targetILNS1_3genE3ELNS1_11target_archE908ELNS1_3gpuE7ELNS1_3repE0EEENS1_47radix_sort_onesweep_sort_config_static_selectorELNS0_4arch9wavefront6targetE0EEEvSG_,comdat
	.protected	_ZN7rocprim17ROCPRIM_400000_NS6detail17trampoline_kernelINS0_14default_configENS1_35radix_sort_onesweep_config_selectorIiNS0_10empty_typeEEEZZNS1_29radix_sort_onesweep_iterationIS3_Lb1EPKiPiPS5_SB_mNS0_19identity_decomposerENS1_16block_id_wrapperIjLb1EEEEE10hipError_tT1_PNSt15iterator_traitsISG_E10value_typeET2_T3_PNSH_ISM_E10value_typeET4_T5_PSR_SS_PNS1_23onesweep_lookback_stateEbbT6_jjT7_P12ihipStream_tbENKUlT_T0_SG_SL_E_clISA_SA_SB_SB_EEDaSZ_S10_SG_SL_EUlSZ_E_NS1_11comp_targetILNS1_3genE3ELNS1_11target_archE908ELNS1_3gpuE7ELNS1_3repE0EEENS1_47radix_sort_onesweep_sort_config_static_selectorELNS0_4arch9wavefront6targetE0EEEvSG_ ; -- Begin function _ZN7rocprim17ROCPRIM_400000_NS6detail17trampoline_kernelINS0_14default_configENS1_35radix_sort_onesweep_config_selectorIiNS0_10empty_typeEEEZZNS1_29radix_sort_onesweep_iterationIS3_Lb1EPKiPiPS5_SB_mNS0_19identity_decomposerENS1_16block_id_wrapperIjLb1EEEEE10hipError_tT1_PNSt15iterator_traitsISG_E10value_typeET2_T3_PNSH_ISM_E10value_typeET4_T5_PSR_SS_PNS1_23onesweep_lookback_stateEbbT6_jjT7_P12ihipStream_tbENKUlT_T0_SG_SL_E_clISA_SA_SB_SB_EEDaSZ_S10_SG_SL_EUlSZ_E_NS1_11comp_targetILNS1_3genE3ELNS1_11target_archE908ELNS1_3gpuE7ELNS1_3repE0EEENS1_47radix_sort_onesweep_sort_config_static_selectorELNS0_4arch9wavefront6targetE0EEEvSG_
	.globl	_ZN7rocprim17ROCPRIM_400000_NS6detail17trampoline_kernelINS0_14default_configENS1_35radix_sort_onesweep_config_selectorIiNS0_10empty_typeEEEZZNS1_29radix_sort_onesweep_iterationIS3_Lb1EPKiPiPS5_SB_mNS0_19identity_decomposerENS1_16block_id_wrapperIjLb1EEEEE10hipError_tT1_PNSt15iterator_traitsISG_E10value_typeET2_T3_PNSH_ISM_E10value_typeET4_T5_PSR_SS_PNS1_23onesweep_lookback_stateEbbT6_jjT7_P12ihipStream_tbENKUlT_T0_SG_SL_E_clISA_SA_SB_SB_EEDaSZ_S10_SG_SL_EUlSZ_E_NS1_11comp_targetILNS1_3genE3ELNS1_11target_archE908ELNS1_3gpuE7ELNS1_3repE0EEENS1_47radix_sort_onesweep_sort_config_static_selectorELNS0_4arch9wavefront6targetE0EEEvSG_
	.p2align	8
	.type	_ZN7rocprim17ROCPRIM_400000_NS6detail17trampoline_kernelINS0_14default_configENS1_35radix_sort_onesweep_config_selectorIiNS0_10empty_typeEEEZZNS1_29radix_sort_onesweep_iterationIS3_Lb1EPKiPiPS5_SB_mNS0_19identity_decomposerENS1_16block_id_wrapperIjLb1EEEEE10hipError_tT1_PNSt15iterator_traitsISG_E10value_typeET2_T3_PNSH_ISM_E10value_typeET4_T5_PSR_SS_PNS1_23onesweep_lookback_stateEbbT6_jjT7_P12ihipStream_tbENKUlT_T0_SG_SL_E_clISA_SA_SB_SB_EEDaSZ_S10_SG_SL_EUlSZ_E_NS1_11comp_targetILNS1_3genE3ELNS1_11target_archE908ELNS1_3gpuE7ELNS1_3repE0EEENS1_47radix_sort_onesweep_sort_config_static_selectorELNS0_4arch9wavefront6targetE0EEEvSG_,@function
_ZN7rocprim17ROCPRIM_400000_NS6detail17trampoline_kernelINS0_14default_configENS1_35radix_sort_onesweep_config_selectorIiNS0_10empty_typeEEEZZNS1_29radix_sort_onesweep_iterationIS3_Lb1EPKiPiPS5_SB_mNS0_19identity_decomposerENS1_16block_id_wrapperIjLb1EEEEE10hipError_tT1_PNSt15iterator_traitsISG_E10value_typeET2_T3_PNSH_ISM_E10value_typeET4_T5_PSR_SS_PNS1_23onesweep_lookback_stateEbbT6_jjT7_P12ihipStream_tbENKUlT_T0_SG_SL_E_clISA_SA_SB_SB_EEDaSZ_S10_SG_SL_EUlSZ_E_NS1_11comp_targetILNS1_3genE3ELNS1_11target_archE908ELNS1_3gpuE7ELNS1_3repE0EEENS1_47radix_sort_onesweep_sort_config_static_selectorELNS0_4arch9wavefront6targetE0EEEvSG_: ; @_ZN7rocprim17ROCPRIM_400000_NS6detail17trampoline_kernelINS0_14default_configENS1_35radix_sort_onesweep_config_selectorIiNS0_10empty_typeEEEZZNS1_29radix_sort_onesweep_iterationIS3_Lb1EPKiPiPS5_SB_mNS0_19identity_decomposerENS1_16block_id_wrapperIjLb1EEEEE10hipError_tT1_PNSt15iterator_traitsISG_E10value_typeET2_T3_PNSH_ISM_E10value_typeET4_T5_PSR_SS_PNS1_23onesweep_lookback_stateEbbT6_jjT7_P12ihipStream_tbENKUlT_T0_SG_SL_E_clISA_SA_SB_SB_EEDaSZ_S10_SG_SL_EUlSZ_E_NS1_11comp_targetILNS1_3genE3ELNS1_11target_archE908ELNS1_3gpuE7ELNS1_3repE0EEENS1_47radix_sort_onesweep_sort_config_static_selectorELNS0_4arch9wavefront6targetE0EEEvSG_
; %bb.0:
	.section	.rodata,"a",@progbits
	.p2align	6, 0x0
	.amdhsa_kernel _ZN7rocprim17ROCPRIM_400000_NS6detail17trampoline_kernelINS0_14default_configENS1_35radix_sort_onesweep_config_selectorIiNS0_10empty_typeEEEZZNS1_29radix_sort_onesweep_iterationIS3_Lb1EPKiPiPS5_SB_mNS0_19identity_decomposerENS1_16block_id_wrapperIjLb1EEEEE10hipError_tT1_PNSt15iterator_traitsISG_E10value_typeET2_T3_PNSH_ISM_E10value_typeET4_T5_PSR_SS_PNS1_23onesweep_lookback_stateEbbT6_jjT7_P12ihipStream_tbENKUlT_T0_SG_SL_E_clISA_SA_SB_SB_EEDaSZ_S10_SG_SL_EUlSZ_E_NS1_11comp_targetILNS1_3genE3ELNS1_11target_archE908ELNS1_3gpuE7ELNS1_3repE0EEENS1_47radix_sort_onesweep_sort_config_static_selectorELNS0_4arch9wavefront6targetE0EEEvSG_
		.amdhsa_group_segment_fixed_size 0
		.amdhsa_private_segment_fixed_size 0
		.amdhsa_kernarg_size 88
		.amdhsa_user_sgpr_count 2
		.amdhsa_user_sgpr_dispatch_ptr 0
		.amdhsa_user_sgpr_queue_ptr 0
		.amdhsa_user_sgpr_kernarg_segment_ptr 1
		.amdhsa_user_sgpr_dispatch_id 0
		.amdhsa_user_sgpr_kernarg_preload_length 0
		.amdhsa_user_sgpr_kernarg_preload_offset 0
		.amdhsa_user_sgpr_private_segment_size 0
		.amdhsa_wavefront_size32 1
		.amdhsa_uses_dynamic_stack 0
		.amdhsa_enable_private_segment 0
		.amdhsa_system_sgpr_workgroup_id_x 1
		.amdhsa_system_sgpr_workgroup_id_y 0
		.amdhsa_system_sgpr_workgroup_id_z 0
		.amdhsa_system_sgpr_workgroup_info 0
		.amdhsa_system_vgpr_workitem_id 0
		.amdhsa_next_free_vgpr 1
		.amdhsa_next_free_sgpr 1
		.amdhsa_named_barrier_count 0
		.amdhsa_reserve_vcc 0
		.amdhsa_float_round_mode_32 0
		.amdhsa_float_round_mode_16_64 0
		.amdhsa_float_denorm_mode_32 3
		.amdhsa_float_denorm_mode_16_64 3
		.amdhsa_fp16_overflow 0
		.amdhsa_memory_ordered 1
		.amdhsa_forward_progress 1
		.amdhsa_inst_pref_size 0
		.amdhsa_round_robin_scheduling 0
		.amdhsa_exception_fp_ieee_invalid_op 0
		.amdhsa_exception_fp_denorm_src 0
		.amdhsa_exception_fp_ieee_div_zero 0
		.amdhsa_exception_fp_ieee_overflow 0
		.amdhsa_exception_fp_ieee_underflow 0
		.amdhsa_exception_fp_ieee_inexact 0
		.amdhsa_exception_int_div_zero 0
	.end_amdhsa_kernel
	.section	.text._ZN7rocprim17ROCPRIM_400000_NS6detail17trampoline_kernelINS0_14default_configENS1_35radix_sort_onesweep_config_selectorIiNS0_10empty_typeEEEZZNS1_29radix_sort_onesweep_iterationIS3_Lb1EPKiPiPS5_SB_mNS0_19identity_decomposerENS1_16block_id_wrapperIjLb1EEEEE10hipError_tT1_PNSt15iterator_traitsISG_E10value_typeET2_T3_PNSH_ISM_E10value_typeET4_T5_PSR_SS_PNS1_23onesweep_lookback_stateEbbT6_jjT7_P12ihipStream_tbENKUlT_T0_SG_SL_E_clISA_SA_SB_SB_EEDaSZ_S10_SG_SL_EUlSZ_E_NS1_11comp_targetILNS1_3genE3ELNS1_11target_archE908ELNS1_3gpuE7ELNS1_3repE0EEENS1_47radix_sort_onesweep_sort_config_static_selectorELNS0_4arch9wavefront6targetE0EEEvSG_,"axG",@progbits,_ZN7rocprim17ROCPRIM_400000_NS6detail17trampoline_kernelINS0_14default_configENS1_35radix_sort_onesweep_config_selectorIiNS0_10empty_typeEEEZZNS1_29radix_sort_onesweep_iterationIS3_Lb1EPKiPiPS5_SB_mNS0_19identity_decomposerENS1_16block_id_wrapperIjLb1EEEEE10hipError_tT1_PNSt15iterator_traitsISG_E10value_typeET2_T3_PNSH_ISM_E10value_typeET4_T5_PSR_SS_PNS1_23onesweep_lookback_stateEbbT6_jjT7_P12ihipStream_tbENKUlT_T0_SG_SL_E_clISA_SA_SB_SB_EEDaSZ_S10_SG_SL_EUlSZ_E_NS1_11comp_targetILNS1_3genE3ELNS1_11target_archE908ELNS1_3gpuE7ELNS1_3repE0EEENS1_47radix_sort_onesweep_sort_config_static_selectorELNS0_4arch9wavefront6targetE0EEEvSG_,comdat
.Lfunc_end863:
	.size	_ZN7rocprim17ROCPRIM_400000_NS6detail17trampoline_kernelINS0_14default_configENS1_35radix_sort_onesweep_config_selectorIiNS0_10empty_typeEEEZZNS1_29radix_sort_onesweep_iterationIS3_Lb1EPKiPiPS5_SB_mNS0_19identity_decomposerENS1_16block_id_wrapperIjLb1EEEEE10hipError_tT1_PNSt15iterator_traitsISG_E10value_typeET2_T3_PNSH_ISM_E10value_typeET4_T5_PSR_SS_PNS1_23onesweep_lookback_stateEbbT6_jjT7_P12ihipStream_tbENKUlT_T0_SG_SL_E_clISA_SA_SB_SB_EEDaSZ_S10_SG_SL_EUlSZ_E_NS1_11comp_targetILNS1_3genE3ELNS1_11target_archE908ELNS1_3gpuE7ELNS1_3repE0EEENS1_47radix_sort_onesweep_sort_config_static_selectorELNS0_4arch9wavefront6targetE0EEEvSG_, .Lfunc_end863-_ZN7rocprim17ROCPRIM_400000_NS6detail17trampoline_kernelINS0_14default_configENS1_35radix_sort_onesweep_config_selectorIiNS0_10empty_typeEEEZZNS1_29radix_sort_onesweep_iterationIS3_Lb1EPKiPiPS5_SB_mNS0_19identity_decomposerENS1_16block_id_wrapperIjLb1EEEEE10hipError_tT1_PNSt15iterator_traitsISG_E10value_typeET2_T3_PNSH_ISM_E10value_typeET4_T5_PSR_SS_PNS1_23onesweep_lookback_stateEbbT6_jjT7_P12ihipStream_tbENKUlT_T0_SG_SL_E_clISA_SA_SB_SB_EEDaSZ_S10_SG_SL_EUlSZ_E_NS1_11comp_targetILNS1_3genE3ELNS1_11target_archE908ELNS1_3gpuE7ELNS1_3repE0EEENS1_47radix_sort_onesweep_sort_config_static_selectorELNS0_4arch9wavefront6targetE0EEEvSG_
                                        ; -- End function
	.set _ZN7rocprim17ROCPRIM_400000_NS6detail17trampoline_kernelINS0_14default_configENS1_35radix_sort_onesweep_config_selectorIiNS0_10empty_typeEEEZZNS1_29radix_sort_onesweep_iterationIS3_Lb1EPKiPiPS5_SB_mNS0_19identity_decomposerENS1_16block_id_wrapperIjLb1EEEEE10hipError_tT1_PNSt15iterator_traitsISG_E10value_typeET2_T3_PNSH_ISM_E10value_typeET4_T5_PSR_SS_PNS1_23onesweep_lookback_stateEbbT6_jjT7_P12ihipStream_tbENKUlT_T0_SG_SL_E_clISA_SA_SB_SB_EEDaSZ_S10_SG_SL_EUlSZ_E_NS1_11comp_targetILNS1_3genE3ELNS1_11target_archE908ELNS1_3gpuE7ELNS1_3repE0EEENS1_47radix_sort_onesweep_sort_config_static_selectorELNS0_4arch9wavefront6targetE0EEEvSG_.num_vgpr, 0
	.set _ZN7rocprim17ROCPRIM_400000_NS6detail17trampoline_kernelINS0_14default_configENS1_35radix_sort_onesweep_config_selectorIiNS0_10empty_typeEEEZZNS1_29radix_sort_onesweep_iterationIS3_Lb1EPKiPiPS5_SB_mNS0_19identity_decomposerENS1_16block_id_wrapperIjLb1EEEEE10hipError_tT1_PNSt15iterator_traitsISG_E10value_typeET2_T3_PNSH_ISM_E10value_typeET4_T5_PSR_SS_PNS1_23onesweep_lookback_stateEbbT6_jjT7_P12ihipStream_tbENKUlT_T0_SG_SL_E_clISA_SA_SB_SB_EEDaSZ_S10_SG_SL_EUlSZ_E_NS1_11comp_targetILNS1_3genE3ELNS1_11target_archE908ELNS1_3gpuE7ELNS1_3repE0EEENS1_47radix_sort_onesweep_sort_config_static_selectorELNS0_4arch9wavefront6targetE0EEEvSG_.num_agpr, 0
	.set _ZN7rocprim17ROCPRIM_400000_NS6detail17trampoline_kernelINS0_14default_configENS1_35radix_sort_onesweep_config_selectorIiNS0_10empty_typeEEEZZNS1_29radix_sort_onesweep_iterationIS3_Lb1EPKiPiPS5_SB_mNS0_19identity_decomposerENS1_16block_id_wrapperIjLb1EEEEE10hipError_tT1_PNSt15iterator_traitsISG_E10value_typeET2_T3_PNSH_ISM_E10value_typeET4_T5_PSR_SS_PNS1_23onesweep_lookback_stateEbbT6_jjT7_P12ihipStream_tbENKUlT_T0_SG_SL_E_clISA_SA_SB_SB_EEDaSZ_S10_SG_SL_EUlSZ_E_NS1_11comp_targetILNS1_3genE3ELNS1_11target_archE908ELNS1_3gpuE7ELNS1_3repE0EEENS1_47radix_sort_onesweep_sort_config_static_selectorELNS0_4arch9wavefront6targetE0EEEvSG_.numbered_sgpr, 0
	.set _ZN7rocprim17ROCPRIM_400000_NS6detail17trampoline_kernelINS0_14default_configENS1_35radix_sort_onesweep_config_selectorIiNS0_10empty_typeEEEZZNS1_29radix_sort_onesweep_iterationIS3_Lb1EPKiPiPS5_SB_mNS0_19identity_decomposerENS1_16block_id_wrapperIjLb1EEEEE10hipError_tT1_PNSt15iterator_traitsISG_E10value_typeET2_T3_PNSH_ISM_E10value_typeET4_T5_PSR_SS_PNS1_23onesweep_lookback_stateEbbT6_jjT7_P12ihipStream_tbENKUlT_T0_SG_SL_E_clISA_SA_SB_SB_EEDaSZ_S10_SG_SL_EUlSZ_E_NS1_11comp_targetILNS1_3genE3ELNS1_11target_archE908ELNS1_3gpuE7ELNS1_3repE0EEENS1_47radix_sort_onesweep_sort_config_static_selectorELNS0_4arch9wavefront6targetE0EEEvSG_.num_named_barrier, 0
	.set _ZN7rocprim17ROCPRIM_400000_NS6detail17trampoline_kernelINS0_14default_configENS1_35radix_sort_onesweep_config_selectorIiNS0_10empty_typeEEEZZNS1_29radix_sort_onesweep_iterationIS3_Lb1EPKiPiPS5_SB_mNS0_19identity_decomposerENS1_16block_id_wrapperIjLb1EEEEE10hipError_tT1_PNSt15iterator_traitsISG_E10value_typeET2_T3_PNSH_ISM_E10value_typeET4_T5_PSR_SS_PNS1_23onesweep_lookback_stateEbbT6_jjT7_P12ihipStream_tbENKUlT_T0_SG_SL_E_clISA_SA_SB_SB_EEDaSZ_S10_SG_SL_EUlSZ_E_NS1_11comp_targetILNS1_3genE3ELNS1_11target_archE908ELNS1_3gpuE7ELNS1_3repE0EEENS1_47radix_sort_onesweep_sort_config_static_selectorELNS0_4arch9wavefront6targetE0EEEvSG_.private_seg_size, 0
	.set _ZN7rocprim17ROCPRIM_400000_NS6detail17trampoline_kernelINS0_14default_configENS1_35radix_sort_onesweep_config_selectorIiNS0_10empty_typeEEEZZNS1_29radix_sort_onesweep_iterationIS3_Lb1EPKiPiPS5_SB_mNS0_19identity_decomposerENS1_16block_id_wrapperIjLb1EEEEE10hipError_tT1_PNSt15iterator_traitsISG_E10value_typeET2_T3_PNSH_ISM_E10value_typeET4_T5_PSR_SS_PNS1_23onesweep_lookback_stateEbbT6_jjT7_P12ihipStream_tbENKUlT_T0_SG_SL_E_clISA_SA_SB_SB_EEDaSZ_S10_SG_SL_EUlSZ_E_NS1_11comp_targetILNS1_3genE3ELNS1_11target_archE908ELNS1_3gpuE7ELNS1_3repE0EEENS1_47radix_sort_onesweep_sort_config_static_selectorELNS0_4arch9wavefront6targetE0EEEvSG_.uses_vcc, 0
	.set _ZN7rocprim17ROCPRIM_400000_NS6detail17trampoline_kernelINS0_14default_configENS1_35radix_sort_onesweep_config_selectorIiNS0_10empty_typeEEEZZNS1_29radix_sort_onesweep_iterationIS3_Lb1EPKiPiPS5_SB_mNS0_19identity_decomposerENS1_16block_id_wrapperIjLb1EEEEE10hipError_tT1_PNSt15iterator_traitsISG_E10value_typeET2_T3_PNSH_ISM_E10value_typeET4_T5_PSR_SS_PNS1_23onesweep_lookback_stateEbbT6_jjT7_P12ihipStream_tbENKUlT_T0_SG_SL_E_clISA_SA_SB_SB_EEDaSZ_S10_SG_SL_EUlSZ_E_NS1_11comp_targetILNS1_3genE3ELNS1_11target_archE908ELNS1_3gpuE7ELNS1_3repE0EEENS1_47radix_sort_onesweep_sort_config_static_selectorELNS0_4arch9wavefront6targetE0EEEvSG_.uses_flat_scratch, 0
	.set _ZN7rocprim17ROCPRIM_400000_NS6detail17trampoline_kernelINS0_14default_configENS1_35radix_sort_onesweep_config_selectorIiNS0_10empty_typeEEEZZNS1_29radix_sort_onesweep_iterationIS3_Lb1EPKiPiPS5_SB_mNS0_19identity_decomposerENS1_16block_id_wrapperIjLb1EEEEE10hipError_tT1_PNSt15iterator_traitsISG_E10value_typeET2_T3_PNSH_ISM_E10value_typeET4_T5_PSR_SS_PNS1_23onesweep_lookback_stateEbbT6_jjT7_P12ihipStream_tbENKUlT_T0_SG_SL_E_clISA_SA_SB_SB_EEDaSZ_S10_SG_SL_EUlSZ_E_NS1_11comp_targetILNS1_3genE3ELNS1_11target_archE908ELNS1_3gpuE7ELNS1_3repE0EEENS1_47radix_sort_onesweep_sort_config_static_selectorELNS0_4arch9wavefront6targetE0EEEvSG_.has_dyn_sized_stack, 0
	.set _ZN7rocprim17ROCPRIM_400000_NS6detail17trampoline_kernelINS0_14default_configENS1_35radix_sort_onesweep_config_selectorIiNS0_10empty_typeEEEZZNS1_29radix_sort_onesweep_iterationIS3_Lb1EPKiPiPS5_SB_mNS0_19identity_decomposerENS1_16block_id_wrapperIjLb1EEEEE10hipError_tT1_PNSt15iterator_traitsISG_E10value_typeET2_T3_PNSH_ISM_E10value_typeET4_T5_PSR_SS_PNS1_23onesweep_lookback_stateEbbT6_jjT7_P12ihipStream_tbENKUlT_T0_SG_SL_E_clISA_SA_SB_SB_EEDaSZ_S10_SG_SL_EUlSZ_E_NS1_11comp_targetILNS1_3genE3ELNS1_11target_archE908ELNS1_3gpuE7ELNS1_3repE0EEENS1_47radix_sort_onesweep_sort_config_static_selectorELNS0_4arch9wavefront6targetE0EEEvSG_.has_recursion, 0
	.set _ZN7rocprim17ROCPRIM_400000_NS6detail17trampoline_kernelINS0_14default_configENS1_35radix_sort_onesweep_config_selectorIiNS0_10empty_typeEEEZZNS1_29radix_sort_onesweep_iterationIS3_Lb1EPKiPiPS5_SB_mNS0_19identity_decomposerENS1_16block_id_wrapperIjLb1EEEEE10hipError_tT1_PNSt15iterator_traitsISG_E10value_typeET2_T3_PNSH_ISM_E10value_typeET4_T5_PSR_SS_PNS1_23onesweep_lookback_stateEbbT6_jjT7_P12ihipStream_tbENKUlT_T0_SG_SL_E_clISA_SA_SB_SB_EEDaSZ_S10_SG_SL_EUlSZ_E_NS1_11comp_targetILNS1_3genE3ELNS1_11target_archE908ELNS1_3gpuE7ELNS1_3repE0EEENS1_47radix_sort_onesweep_sort_config_static_selectorELNS0_4arch9wavefront6targetE0EEEvSG_.has_indirect_call, 0
	.section	.AMDGPU.csdata,"",@progbits
; Kernel info:
; codeLenInByte = 0
; TotalNumSgprs: 0
; NumVgprs: 0
; ScratchSize: 0
; MemoryBound: 0
; FloatMode: 240
; IeeeMode: 1
; LDSByteSize: 0 bytes/workgroup (compile time only)
; SGPRBlocks: 0
; VGPRBlocks: 0
; NumSGPRsForWavesPerEU: 1
; NumVGPRsForWavesPerEU: 1
; NamedBarCnt: 0
; Occupancy: 16
; WaveLimiterHint : 0
; COMPUTE_PGM_RSRC2:SCRATCH_EN: 0
; COMPUTE_PGM_RSRC2:USER_SGPR: 2
; COMPUTE_PGM_RSRC2:TRAP_HANDLER: 0
; COMPUTE_PGM_RSRC2:TGID_X_EN: 1
; COMPUTE_PGM_RSRC2:TGID_Y_EN: 0
; COMPUTE_PGM_RSRC2:TGID_Z_EN: 0
; COMPUTE_PGM_RSRC2:TIDIG_COMP_CNT: 0
	.section	.text._ZN7rocprim17ROCPRIM_400000_NS6detail17trampoline_kernelINS0_14default_configENS1_35radix_sort_onesweep_config_selectorIiNS0_10empty_typeEEEZZNS1_29radix_sort_onesweep_iterationIS3_Lb1EPKiPiPS5_SB_mNS0_19identity_decomposerENS1_16block_id_wrapperIjLb1EEEEE10hipError_tT1_PNSt15iterator_traitsISG_E10value_typeET2_T3_PNSH_ISM_E10value_typeET4_T5_PSR_SS_PNS1_23onesweep_lookback_stateEbbT6_jjT7_P12ihipStream_tbENKUlT_T0_SG_SL_E_clISA_SA_SB_SB_EEDaSZ_S10_SG_SL_EUlSZ_E_NS1_11comp_targetILNS1_3genE10ELNS1_11target_archE1201ELNS1_3gpuE5ELNS1_3repE0EEENS1_47radix_sort_onesweep_sort_config_static_selectorELNS0_4arch9wavefront6targetE0EEEvSG_,"axG",@progbits,_ZN7rocprim17ROCPRIM_400000_NS6detail17trampoline_kernelINS0_14default_configENS1_35radix_sort_onesweep_config_selectorIiNS0_10empty_typeEEEZZNS1_29radix_sort_onesweep_iterationIS3_Lb1EPKiPiPS5_SB_mNS0_19identity_decomposerENS1_16block_id_wrapperIjLb1EEEEE10hipError_tT1_PNSt15iterator_traitsISG_E10value_typeET2_T3_PNSH_ISM_E10value_typeET4_T5_PSR_SS_PNS1_23onesweep_lookback_stateEbbT6_jjT7_P12ihipStream_tbENKUlT_T0_SG_SL_E_clISA_SA_SB_SB_EEDaSZ_S10_SG_SL_EUlSZ_E_NS1_11comp_targetILNS1_3genE10ELNS1_11target_archE1201ELNS1_3gpuE5ELNS1_3repE0EEENS1_47radix_sort_onesweep_sort_config_static_selectorELNS0_4arch9wavefront6targetE0EEEvSG_,comdat
	.protected	_ZN7rocprim17ROCPRIM_400000_NS6detail17trampoline_kernelINS0_14default_configENS1_35radix_sort_onesweep_config_selectorIiNS0_10empty_typeEEEZZNS1_29radix_sort_onesweep_iterationIS3_Lb1EPKiPiPS5_SB_mNS0_19identity_decomposerENS1_16block_id_wrapperIjLb1EEEEE10hipError_tT1_PNSt15iterator_traitsISG_E10value_typeET2_T3_PNSH_ISM_E10value_typeET4_T5_PSR_SS_PNS1_23onesweep_lookback_stateEbbT6_jjT7_P12ihipStream_tbENKUlT_T0_SG_SL_E_clISA_SA_SB_SB_EEDaSZ_S10_SG_SL_EUlSZ_E_NS1_11comp_targetILNS1_3genE10ELNS1_11target_archE1201ELNS1_3gpuE5ELNS1_3repE0EEENS1_47radix_sort_onesweep_sort_config_static_selectorELNS0_4arch9wavefront6targetE0EEEvSG_ ; -- Begin function _ZN7rocprim17ROCPRIM_400000_NS6detail17trampoline_kernelINS0_14default_configENS1_35radix_sort_onesweep_config_selectorIiNS0_10empty_typeEEEZZNS1_29radix_sort_onesweep_iterationIS3_Lb1EPKiPiPS5_SB_mNS0_19identity_decomposerENS1_16block_id_wrapperIjLb1EEEEE10hipError_tT1_PNSt15iterator_traitsISG_E10value_typeET2_T3_PNSH_ISM_E10value_typeET4_T5_PSR_SS_PNS1_23onesweep_lookback_stateEbbT6_jjT7_P12ihipStream_tbENKUlT_T0_SG_SL_E_clISA_SA_SB_SB_EEDaSZ_S10_SG_SL_EUlSZ_E_NS1_11comp_targetILNS1_3genE10ELNS1_11target_archE1201ELNS1_3gpuE5ELNS1_3repE0EEENS1_47radix_sort_onesweep_sort_config_static_selectorELNS0_4arch9wavefront6targetE0EEEvSG_
	.globl	_ZN7rocprim17ROCPRIM_400000_NS6detail17trampoline_kernelINS0_14default_configENS1_35radix_sort_onesweep_config_selectorIiNS0_10empty_typeEEEZZNS1_29radix_sort_onesweep_iterationIS3_Lb1EPKiPiPS5_SB_mNS0_19identity_decomposerENS1_16block_id_wrapperIjLb1EEEEE10hipError_tT1_PNSt15iterator_traitsISG_E10value_typeET2_T3_PNSH_ISM_E10value_typeET4_T5_PSR_SS_PNS1_23onesweep_lookback_stateEbbT6_jjT7_P12ihipStream_tbENKUlT_T0_SG_SL_E_clISA_SA_SB_SB_EEDaSZ_S10_SG_SL_EUlSZ_E_NS1_11comp_targetILNS1_3genE10ELNS1_11target_archE1201ELNS1_3gpuE5ELNS1_3repE0EEENS1_47radix_sort_onesweep_sort_config_static_selectorELNS0_4arch9wavefront6targetE0EEEvSG_
	.p2align	8
	.type	_ZN7rocprim17ROCPRIM_400000_NS6detail17trampoline_kernelINS0_14default_configENS1_35radix_sort_onesweep_config_selectorIiNS0_10empty_typeEEEZZNS1_29radix_sort_onesweep_iterationIS3_Lb1EPKiPiPS5_SB_mNS0_19identity_decomposerENS1_16block_id_wrapperIjLb1EEEEE10hipError_tT1_PNSt15iterator_traitsISG_E10value_typeET2_T3_PNSH_ISM_E10value_typeET4_T5_PSR_SS_PNS1_23onesweep_lookback_stateEbbT6_jjT7_P12ihipStream_tbENKUlT_T0_SG_SL_E_clISA_SA_SB_SB_EEDaSZ_S10_SG_SL_EUlSZ_E_NS1_11comp_targetILNS1_3genE10ELNS1_11target_archE1201ELNS1_3gpuE5ELNS1_3repE0EEENS1_47radix_sort_onesweep_sort_config_static_selectorELNS0_4arch9wavefront6targetE0EEEvSG_,@function
_ZN7rocprim17ROCPRIM_400000_NS6detail17trampoline_kernelINS0_14default_configENS1_35radix_sort_onesweep_config_selectorIiNS0_10empty_typeEEEZZNS1_29radix_sort_onesweep_iterationIS3_Lb1EPKiPiPS5_SB_mNS0_19identity_decomposerENS1_16block_id_wrapperIjLb1EEEEE10hipError_tT1_PNSt15iterator_traitsISG_E10value_typeET2_T3_PNSH_ISM_E10value_typeET4_T5_PSR_SS_PNS1_23onesweep_lookback_stateEbbT6_jjT7_P12ihipStream_tbENKUlT_T0_SG_SL_E_clISA_SA_SB_SB_EEDaSZ_S10_SG_SL_EUlSZ_E_NS1_11comp_targetILNS1_3genE10ELNS1_11target_archE1201ELNS1_3gpuE5ELNS1_3repE0EEENS1_47radix_sort_onesweep_sort_config_static_selectorELNS0_4arch9wavefront6targetE0EEEvSG_: ; @_ZN7rocprim17ROCPRIM_400000_NS6detail17trampoline_kernelINS0_14default_configENS1_35radix_sort_onesweep_config_selectorIiNS0_10empty_typeEEEZZNS1_29radix_sort_onesweep_iterationIS3_Lb1EPKiPiPS5_SB_mNS0_19identity_decomposerENS1_16block_id_wrapperIjLb1EEEEE10hipError_tT1_PNSt15iterator_traitsISG_E10value_typeET2_T3_PNSH_ISM_E10value_typeET4_T5_PSR_SS_PNS1_23onesweep_lookback_stateEbbT6_jjT7_P12ihipStream_tbENKUlT_T0_SG_SL_E_clISA_SA_SB_SB_EEDaSZ_S10_SG_SL_EUlSZ_E_NS1_11comp_targetILNS1_3genE10ELNS1_11target_archE1201ELNS1_3gpuE5ELNS1_3repE0EEENS1_47radix_sort_onesweep_sort_config_static_selectorELNS0_4arch9wavefront6targetE0EEEvSG_
; %bb.0:
	.section	.rodata,"a",@progbits
	.p2align	6, 0x0
	.amdhsa_kernel _ZN7rocprim17ROCPRIM_400000_NS6detail17trampoline_kernelINS0_14default_configENS1_35radix_sort_onesweep_config_selectorIiNS0_10empty_typeEEEZZNS1_29radix_sort_onesweep_iterationIS3_Lb1EPKiPiPS5_SB_mNS0_19identity_decomposerENS1_16block_id_wrapperIjLb1EEEEE10hipError_tT1_PNSt15iterator_traitsISG_E10value_typeET2_T3_PNSH_ISM_E10value_typeET4_T5_PSR_SS_PNS1_23onesweep_lookback_stateEbbT6_jjT7_P12ihipStream_tbENKUlT_T0_SG_SL_E_clISA_SA_SB_SB_EEDaSZ_S10_SG_SL_EUlSZ_E_NS1_11comp_targetILNS1_3genE10ELNS1_11target_archE1201ELNS1_3gpuE5ELNS1_3repE0EEENS1_47radix_sort_onesweep_sort_config_static_selectorELNS0_4arch9wavefront6targetE0EEEvSG_
		.amdhsa_group_segment_fixed_size 0
		.amdhsa_private_segment_fixed_size 0
		.amdhsa_kernarg_size 88
		.amdhsa_user_sgpr_count 2
		.amdhsa_user_sgpr_dispatch_ptr 0
		.amdhsa_user_sgpr_queue_ptr 0
		.amdhsa_user_sgpr_kernarg_segment_ptr 1
		.amdhsa_user_sgpr_dispatch_id 0
		.amdhsa_user_sgpr_kernarg_preload_length 0
		.amdhsa_user_sgpr_kernarg_preload_offset 0
		.amdhsa_user_sgpr_private_segment_size 0
		.amdhsa_wavefront_size32 1
		.amdhsa_uses_dynamic_stack 0
		.amdhsa_enable_private_segment 0
		.amdhsa_system_sgpr_workgroup_id_x 1
		.amdhsa_system_sgpr_workgroup_id_y 0
		.amdhsa_system_sgpr_workgroup_id_z 0
		.amdhsa_system_sgpr_workgroup_info 0
		.amdhsa_system_vgpr_workitem_id 0
		.amdhsa_next_free_vgpr 1
		.amdhsa_next_free_sgpr 1
		.amdhsa_named_barrier_count 0
		.amdhsa_reserve_vcc 0
		.amdhsa_float_round_mode_32 0
		.amdhsa_float_round_mode_16_64 0
		.amdhsa_float_denorm_mode_32 3
		.amdhsa_float_denorm_mode_16_64 3
		.amdhsa_fp16_overflow 0
		.amdhsa_memory_ordered 1
		.amdhsa_forward_progress 1
		.amdhsa_inst_pref_size 0
		.amdhsa_round_robin_scheduling 0
		.amdhsa_exception_fp_ieee_invalid_op 0
		.amdhsa_exception_fp_denorm_src 0
		.amdhsa_exception_fp_ieee_div_zero 0
		.amdhsa_exception_fp_ieee_overflow 0
		.amdhsa_exception_fp_ieee_underflow 0
		.amdhsa_exception_fp_ieee_inexact 0
		.amdhsa_exception_int_div_zero 0
	.end_amdhsa_kernel
	.section	.text._ZN7rocprim17ROCPRIM_400000_NS6detail17trampoline_kernelINS0_14default_configENS1_35radix_sort_onesweep_config_selectorIiNS0_10empty_typeEEEZZNS1_29radix_sort_onesweep_iterationIS3_Lb1EPKiPiPS5_SB_mNS0_19identity_decomposerENS1_16block_id_wrapperIjLb1EEEEE10hipError_tT1_PNSt15iterator_traitsISG_E10value_typeET2_T3_PNSH_ISM_E10value_typeET4_T5_PSR_SS_PNS1_23onesweep_lookback_stateEbbT6_jjT7_P12ihipStream_tbENKUlT_T0_SG_SL_E_clISA_SA_SB_SB_EEDaSZ_S10_SG_SL_EUlSZ_E_NS1_11comp_targetILNS1_3genE10ELNS1_11target_archE1201ELNS1_3gpuE5ELNS1_3repE0EEENS1_47radix_sort_onesweep_sort_config_static_selectorELNS0_4arch9wavefront6targetE0EEEvSG_,"axG",@progbits,_ZN7rocprim17ROCPRIM_400000_NS6detail17trampoline_kernelINS0_14default_configENS1_35radix_sort_onesweep_config_selectorIiNS0_10empty_typeEEEZZNS1_29radix_sort_onesweep_iterationIS3_Lb1EPKiPiPS5_SB_mNS0_19identity_decomposerENS1_16block_id_wrapperIjLb1EEEEE10hipError_tT1_PNSt15iterator_traitsISG_E10value_typeET2_T3_PNSH_ISM_E10value_typeET4_T5_PSR_SS_PNS1_23onesweep_lookback_stateEbbT6_jjT7_P12ihipStream_tbENKUlT_T0_SG_SL_E_clISA_SA_SB_SB_EEDaSZ_S10_SG_SL_EUlSZ_E_NS1_11comp_targetILNS1_3genE10ELNS1_11target_archE1201ELNS1_3gpuE5ELNS1_3repE0EEENS1_47radix_sort_onesweep_sort_config_static_selectorELNS0_4arch9wavefront6targetE0EEEvSG_,comdat
.Lfunc_end864:
	.size	_ZN7rocprim17ROCPRIM_400000_NS6detail17trampoline_kernelINS0_14default_configENS1_35radix_sort_onesweep_config_selectorIiNS0_10empty_typeEEEZZNS1_29radix_sort_onesweep_iterationIS3_Lb1EPKiPiPS5_SB_mNS0_19identity_decomposerENS1_16block_id_wrapperIjLb1EEEEE10hipError_tT1_PNSt15iterator_traitsISG_E10value_typeET2_T3_PNSH_ISM_E10value_typeET4_T5_PSR_SS_PNS1_23onesweep_lookback_stateEbbT6_jjT7_P12ihipStream_tbENKUlT_T0_SG_SL_E_clISA_SA_SB_SB_EEDaSZ_S10_SG_SL_EUlSZ_E_NS1_11comp_targetILNS1_3genE10ELNS1_11target_archE1201ELNS1_3gpuE5ELNS1_3repE0EEENS1_47radix_sort_onesweep_sort_config_static_selectorELNS0_4arch9wavefront6targetE0EEEvSG_, .Lfunc_end864-_ZN7rocprim17ROCPRIM_400000_NS6detail17trampoline_kernelINS0_14default_configENS1_35radix_sort_onesweep_config_selectorIiNS0_10empty_typeEEEZZNS1_29radix_sort_onesweep_iterationIS3_Lb1EPKiPiPS5_SB_mNS0_19identity_decomposerENS1_16block_id_wrapperIjLb1EEEEE10hipError_tT1_PNSt15iterator_traitsISG_E10value_typeET2_T3_PNSH_ISM_E10value_typeET4_T5_PSR_SS_PNS1_23onesweep_lookback_stateEbbT6_jjT7_P12ihipStream_tbENKUlT_T0_SG_SL_E_clISA_SA_SB_SB_EEDaSZ_S10_SG_SL_EUlSZ_E_NS1_11comp_targetILNS1_3genE10ELNS1_11target_archE1201ELNS1_3gpuE5ELNS1_3repE0EEENS1_47radix_sort_onesweep_sort_config_static_selectorELNS0_4arch9wavefront6targetE0EEEvSG_
                                        ; -- End function
	.set _ZN7rocprim17ROCPRIM_400000_NS6detail17trampoline_kernelINS0_14default_configENS1_35radix_sort_onesweep_config_selectorIiNS0_10empty_typeEEEZZNS1_29radix_sort_onesweep_iterationIS3_Lb1EPKiPiPS5_SB_mNS0_19identity_decomposerENS1_16block_id_wrapperIjLb1EEEEE10hipError_tT1_PNSt15iterator_traitsISG_E10value_typeET2_T3_PNSH_ISM_E10value_typeET4_T5_PSR_SS_PNS1_23onesweep_lookback_stateEbbT6_jjT7_P12ihipStream_tbENKUlT_T0_SG_SL_E_clISA_SA_SB_SB_EEDaSZ_S10_SG_SL_EUlSZ_E_NS1_11comp_targetILNS1_3genE10ELNS1_11target_archE1201ELNS1_3gpuE5ELNS1_3repE0EEENS1_47radix_sort_onesweep_sort_config_static_selectorELNS0_4arch9wavefront6targetE0EEEvSG_.num_vgpr, 0
	.set _ZN7rocprim17ROCPRIM_400000_NS6detail17trampoline_kernelINS0_14default_configENS1_35radix_sort_onesweep_config_selectorIiNS0_10empty_typeEEEZZNS1_29radix_sort_onesweep_iterationIS3_Lb1EPKiPiPS5_SB_mNS0_19identity_decomposerENS1_16block_id_wrapperIjLb1EEEEE10hipError_tT1_PNSt15iterator_traitsISG_E10value_typeET2_T3_PNSH_ISM_E10value_typeET4_T5_PSR_SS_PNS1_23onesweep_lookback_stateEbbT6_jjT7_P12ihipStream_tbENKUlT_T0_SG_SL_E_clISA_SA_SB_SB_EEDaSZ_S10_SG_SL_EUlSZ_E_NS1_11comp_targetILNS1_3genE10ELNS1_11target_archE1201ELNS1_3gpuE5ELNS1_3repE0EEENS1_47radix_sort_onesweep_sort_config_static_selectorELNS0_4arch9wavefront6targetE0EEEvSG_.num_agpr, 0
	.set _ZN7rocprim17ROCPRIM_400000_NS6detail17trampoline_kernelINS0_14default_configENS1_35radix_sort_onesweep_config_selectorIiNS0_10empty_typeEEEZZNS1_29radix_sort_onesweep_iterationIS3_Lb1EPKiPiPS5_SB_mNS0_19identity_decomposerENS1_16block_id_wrapperIjLb1EEEEE10hipError_tT1_PNSt15iterator_traitsISG_E10value_typeET2_T3_PNSH_ISM_E10value_typeET4_T5_PSR_SS_PNS1_23onesweep_lookback_stateEbbT6_jjT7_P12ihipStream_tbENKUlT_T0_SG_SL_E_clISA_SA_SB_SB_EEDaSZ_S10_SG_SL_EUlSZ_E_NS1_11comp_targetILNS1_3genE10ELNS1_11target_archE1201ELNS1_3gpuE5ELNS1_3repE0EEENS1_47radix_sort_onesweep_sort_config_static_selectorELNS0_4arch9wavefront6targetE0EEEvSG_.numbered_sgpr, 0
	.set _ZN7rocprim17ROCPRIM_400000_NS6detail17trampoline_kernelINS0_14default_configENS1_35radix_sort_onesweep_config_selectorIiNS0_10empty_typeEEEZZNS1_29radix_sort_onesweep_iterationIS3_Lb1EPKiPiPS5_SB_mNS0_19identity_decomposerENS1_16block_id_wrapperIjLb1EEEEE10hipError_tT1_PNSt15iterator_traitsISG_E10value_typeET2_T3_PNSH_ISM_E10value_typeET4_T5_PSR_SS_PNS1_23onesweep_lookback_stateEbbT6_jjT7_P12ihipStream_tbENKUlT_T0_SG_SL_E_clISA_SA_SB_SB_EEDaSZ_S10_SG_SL_EUlSZ_E_NS1_11comp_targetILNS1_3genE10ELNS1_11target_archE1201ELNS1_3gpuE5ELNS1_3repE0EEENS1_47radix_sort_onesweep_sort_config_static_selectorELNS0_4arch9wavefront6targetE0EEEvSG_.num_named_barrier, 0
	.set _ZN7rocprim17ROCPRIM_400000_NS6detail17trampoline_kernelINS0_14default_configENS1_35radix_sort_onesweep_config_selectorIiNS0_10empty_typeEEEZZNS1_29radix_sort_onesweep_iterationIS3_Lb1EPKiPiPS5_SB_mNS0_19identity_decomposerENS1_16block_id_wrapperIjLb1EEEEE10hipError_tT1_PNSt15iterator_traitsISG_E10value_typeET2_T3_PNSH_ISM_E10value_typeET4_T5_PSR_SS_PNS1_23onesweep_lookback_stateEbbT6_jjT7_P12ihipStream_tbENKUlT_T0_SG_SL_E_clISA_SA_SB_SB_EEDaSZ_S10_SG_SL_EUlSZ_E_NS1_11comp_targetILNS1_3genE10ELNS1_11target_archE1201ELNS1_3gpuE5ELNS1_3repE0EEENS1_47radix_sort_onesweep_sort_config_static_selectorELNS0_4arch9wavefront6targetE0EEEvSG_.private_seg_size, 0
	.set _ZN7rocprim17ROCPRIM_400000_NS6detail17trampoline_kernelINS0_14default_configENS1_35radix_sort_onesweep_config_selectorIiNS0_10empty_typeEEEZZNS1_29radix_sort_onesweep_iterationIS3_Lb1EPKiPiPS5_SB_mNS0_19identity_decomposerENS1_16block_id_wrapperIjLb1EEEEE10hipError_tT1_PNSt15iterator_traitsISG_E10value_typeET2_T3_PNSH_ISM_E10value_typeET4_T5_PSR_SS_PNS1_23onesweep_lookback_stateEbbT6_jjT7_P12ihipStream_tbENKUlT_T0_SG_SL_E_clISA_SA_SB_SB_EEDaSZ_S10_SG_SL_EUlSZ_E_NS1_11comp_targetILNS1_3genE10ELNS1_11target_archE1201ELNS1_3gpuE5ELNS1_3repE0EEENS1_47radix_sort_onesweep_sort_config_static_selectorELNS0_4arch9wavefront6targetE0EEEvSG_.uses_vcc, 0
	.set _ZN7rocprim17ROCPRIM_400000_NS6detail17trampoline_kernelINS0_14default_configENS1_35radix_sort_onesweep_config_selectorIiNS0_10empty_typeEEEZZNS1_29radix_sort_onesweep_iterationIS3_Lb1EPKiPiPS5_SB_mNS0_19identity_decomposerENS1_16block_id_wrapperIjLb1EEEEE10hipError_tT1_PNSt15iterator_traitsISG_E10value_typeET2_T3_PNSH_ISM_E10value_typeET4_T5_PSR_SS_PNS1_23onesweep_lookback_stateEbbT6_jjT7_P12ihipStream_tbENKUlT_T0_SG_SL_E_clISA_SA_SB_SB_EEDaSZ_S10_SG_SL_EUlSZ_E_NS1_11comp_targetILNS1_3genE10ELNS1_11target_archE1201ELNS1_3gpuE5ELNS1_3repE0EEENS1_47radix_sort_onesweep_sort_config_static_selectorELNS0_4arch9wavefront6targetE0EEEvSG_.uses_flat_scratch, 0
	.set _ZN7rocprim17ROCPRIM_400000_NS6detail17trampoline_kernelINS0_14default_configENS1_35radix_sort_onesweep_config_selectorIiNS0_10empty_typeEEEZZNS1_29radix_sort_onesweep_iterationIS3_Lb1EPKiPiPS5_SB_mNS0_19identity_decomposerENS1_16block_id_wrapperIjLb1EEEEE10hipError_tT1_PNSt15iterator_traitsISG_E10value_typeET2_T3_PNSH_ISM_E10value_typeET4_T5_PSR_SS_PNS1_23onesweep_lookback_stateEbbT6_jjT7_P12ihipStream_tbENKUlT_T0_SG_SL_E_clISA_SA_SB_SB_EEDaSZ_S10_SG_SL_EUlSZ_E_NS1_11comp_targetILNS1_3genE10ELNS1_11target_archE1201ELNS1_3gpuE5ELNS1_3repE0EEENS1_47radix_sort_onesweep_sort_config_static_selectorELNS0_4arch9wavefront6targetE0EEEvSG_.has_dyn_sized_stack, 0
	.set _ZN7rocprim17ROCPRIM_400000_NS6detail17trampoline_kernelINS0_14default_configENS1_35radix_sort_onesweep_config_selectorIiNS0_10empty_typeEEEZZNS1_29radix_sort_onesweep_iterationIS3_Lb1EPKiPiPS5_SB_mNS0_19identity_decomposerENS1_16block_id_wrapperIjLb1EEEEE10hipError_tT1_PNSt15iterator_traitsISG_E10value_typeET2_T3_PNSH_ISM_E10value_typeET4_T5_PSR_SS_PNS1_23onesweep_lookback_stateEbbT6_jjT7_P12ihipStream_tbENKUlT_T0_SG_SL_E_clISA_SA_SB_SB_EEDaSZ_S10_SG_SL_EUlSZ_E_NS1_11comp_targetILNS1_3genE10ELNS1_11target_archE1201ELNS1_3gpuE5ELNS1_3repE0EEENS1_47radix_sort_onesweep_sort_config_static_selectorELNS0_4arch9wavefront6targetE0EEEvSG_.has_recursion, 0
	.set _ZN7rocprim17ROCPRIM_400000_NS6detail17trampoline_kernelINS0_14default_configENS1_35radix_sort_onesweep_config_selectorIiNS0_10empty_typeEEEZZNS1_29radix_sort_onesweep_iterationIS3_Lb1EPKiPiPS5_SB_mNS0_19identity_decomposerENS1_16block_id_wrapperIjLb1EEEEE10hipError_tT1_PNSt15iterator_traitsISG_E10value_typeET2_T3_PNSH_ISM_E10value_typeET4_T5_PSR_SS_PNS1_23onesweep_lookback_stateEbbT6_jjT7_P12ihipStream_tbENKUlT_T0_SG_SL_E_clISA_SA_SB_SB_EEDaSZ_S10_SG_SL_EUlSZ_E_NS1_11comp_targetILNS1_3genE10ELNS1_11target_archE1201ELNS1_3gpuE5ELNS1_3repE0EEENS1_47radix_sort_onesweep_sort_config_static_selectorELNS0_4arch9wavefront6targetE0EEEvSG_.has_indirect_call, 0
	.section	.AMDGPU.csdata,"",@progbits
; Kernel info:
; codeLenInByte = 0
; TotalNumSgprs: 0
; NumVgprs: 0
; ScratchSize: 0
; MemoryBound: 0
; FloatMode: 240
; IeeeMode: 1
; LDSByteSize: 0 bytes/workgroup (compile time only)
; SGPRBlocks: 0
; VGPRBlocks: 0
; NumSGPRsForWavesPerEU: 1
; NumVGPRsForWavesPerEU: 1
; NamedBarCnt: 0
; Occupancy: 16
; WaveLimiterHint : 0
; COMPUTE_PGM_RSRC2:SCRATCH_EN: 0
; COMPUTE_PGM_RSRC2:USER_SGPR: 2
; COMPUTE_PGM_RSRC2:TRAP_HANDLER: 0
; COMPUTE_PGM_RSRC2:TGID_X_EN: 1
; COMPUTE_PGM_RSRC2:TGID_Y_EN: 0
; COMPUTE_PGM_RSRC2:TGID_Z_EN: 0
; COMPUTE_PGM_RSRC2:TIDIG_COMP_CNT: 0
	.section	.text._ZN7rocprim17ROCPRIM_400000_NS6detail17trampoline_kernelINS0_14default_configENS1_35radix_sort_onesweep_config_selectorIiNS0_10empty_typeEEEZZNS1_29radix_sort_onesweep_iterationIS3_Lb1EPKiPiPS5_SB_mNS0_19identity_decomposerENS1_16block_id_wrapperIjLb1EEEEE10hipError_tT1_PNSt15iterator_traitsISG_E10value_typeET2_T3_PNSH_ISM_E10value_typeET4_T5_PSR_SS_PNS1_23onesweep_lookback_stateEbbT6_jjT7_P12ihipStream_tbENKUlT_T0_SG_SL_E_clISA_SA_SB_SB_EEDaSZ_S10_SG_SL_EUlSZ_E_NS1_11comp_targetILNS1_3genE9ELNS1_11target_archE1100ELNS1_3gpuE3ELNS1_3repE0EEENS1_47radix_sort_onesweep_sort_config_static_selectorELNS0_4arch9wavefront6targetE0EEEvSG_,"axG",@progbits,_ZN7rocprim17ROCPRIM_400000_NS6detail17trampoline_kernelINS0_14default_configENS1_35radix_sort_onesweep_config_selectorIiNS0_10empty_typeEEEZZNS1_29radix_sort_onesweep_iterationIS3_Lb1EPKiPiPS5_SB_mNS0_19identity_decomposerENS1_16block_id_wrapperIjLb1EEEEE10hipError_tT1_PNSt15iterator_traitsISG_E10value_typeET2_T3_PNSH_ISM_E10value_typeET4_T5_PSR_SS_PNS1_23onesweep_lookback_stateEbbT6_jjT7_P12ihipStream_tbENKUlT_T0_SG_SL_E_clISA_SA_SB_SB_EEDaSZ_S10_SG_SL_EUlSZ_E_NS1_11comp_targetILNS1_3genE9ELNS1_11target_archE1100ELNS1_3gpuE3ELNS1_3repE0EEENS1_47radix_sort_onesweep_sort_config_static_selectorELNS0_4arch9wavefront6targetE0EEEvSG_,comdat
	.protected	_ZN7rocprim17ROCPRIM_400000_NS6detail17trampoline_kernelINS0_14default_configENS1_35radix_sort_onesweep_config_selectorIiNS0_10empty_typeEEEZZNS1_29radix_sort_onesweep_iterationIS3_Lb1EPKiPiPS5_SB_mNS0_19identity_decomposerENS1_16block_id_wrapperIjLb1EEEEE10hipError_tT1_PNSt15iterator_traitsISG_E10value_typeET2_T3_PNSH_ISM_E10value_typeET4_T5_PSR_SS_PNS1_23onesweep_lookback_stateEbbT6_jjT7_P12ihipStream_tbENKUlT_T0_SG_SL_E_clISA_SA_SB_SB_EEDaSZ_S10_SG_SL_EUlSZ_E_NS1_11comp_targetILNS1_3genE9ELNS1_11target_archE1100ELNS1_3gpuE3ELNS1_3repE0EEENS1_47radix_sort_onesweep_sort_config_static_selectorELNS0_4arch9wavefront6targetE0EEEvSG_ ; -- Begin function _ZN7rocprim17ROCPRIM_400000_NS6detail17trampoline_kernelINS0_14default_configENS1_35radix_sort_onesweep_config_selectorIiNS0_10empty_typeEEEZZNS1_29radix_sort_onesweep_iterationIS3_Lb1EPKiPiPS5_SB_mNS0_19identity_decomposerENS1_16block_id_wrapperIjLb1EEEEE10hipError_tT1_PNSt15iterator_traitsISG_E10value_typeET2_T3_PNSH_ISM_E10value_typeET4_T5_PSR_SS_PNS1_23onesweep_lookback_stateEbbT6_jjT7_P12ihipStream_tbENKUlT_T0_SG_SL_E_clISA_SA_SB_SB_EEDaSZ_S10_SG_SL_EUlSZ_E_NS1_11comp_targetILNS1_3genE9ELNS1_11target_archE1100ELNS1_3gpuE3ELNS1_3repE0EEENS1_47radix_sort_onesweep_sort_config_static_selectorELNS0_4arch9wavefront6targetE0EEEvSG_
	.globl	_ZN7rocprim17ROCPRIM_400000_NS6detail17trampoline_kernelINS0_14default_configENS1_35radix_sort_onesweep_config_selectorIiNS0_10empty_typeEEEZZNS1_29radix_sort_onesweep_iterationIS3_Lb1EPKiPiPS5_SB_mNS0_19identity_decomposerENS1_16block_id_wrapperIjLb1EEEEE10hipError_tT1_PNSt15iterator_traitsISG_E10value_typeET2_T3_PNSH_ISM_E10value_typeET4_T5_PSR_SS_PNS1_23onesweep_lookback_stateEbbT6_jjT7_P12ihipStream_tbENKUlT_T0_SG_SL_E_clISA_SA_SB_SB_EEDaSZ_S10_SG_SL_EUlSZ_E_NS1_11comp_targetILNS1_3genE9ELNS1_11target_archE1100ELNS1_3gpuE3ELNS1_3repE0EEENS1_47radix_sort_onesweep_sort_config_static_selectorELNS0_4arch9wavefront6targetE0EEEvSG_
	.p2align	8
	.type	_ZN7rocprim17ROCPRIM_400000_NS6detail17trampoline_kernelINS0_14default_configENS1_35radix_sort_onesweep_config_selectorIiNS0_10empty_typeEEEZZNS1_29radix_sort_onesweep_iterationIS3_Lb1EPKiPiPS5_SB_mNS0_19identity_decomposerENS1_16block_id_wrapperIjLb1EEEEE10hipError_tT1_PNSt15iterator_traitsISG_E10value_typeET2_T3_PNSH_ISM_E10value_typeET4_T5_PSR_SS_PNS1_23onesweep_lookback_stateEbbT6_jjT7_P12ihipStream_tbENKUlT_T0_SG_SL_E_clISA_SA_SB_SB_EEDaSZ_S10_SG_SL_EUlSZ_E_NS1_11comp_targetILNS1_3genE9ELNS1_11target_archE1100ELNS1_3gpuE3ELNS1_3repE0EEENS1_47radix_sort_onesweep_sort_config_static_selectorELNS0_4arch9wavefront6targetE0EEEvSG_,@function
_ZN7rocprim17ROCPRIM_400000_NS6detail17trampoline_kernelINS0_14default_configENS1_35radix_sort_onesweep_config_selectorIiNS0_10empty_typeEEEZZNS1_29radix_sort_onesweep_iterationIS3_Lb1EPKiPiPS5_SB_mNS0_19identity_decomposerENS1_16block_id_wrapperIjLb1EEEEE10hipError_tT1_PNSt15iterator_traitsISG_E10value_typeET2_T3_PNSH_ISM_E10value_typeET4_T5_PSR_SS_PNS1_23onesweep_lookback_stateEbbT6_jjT7_P12ihipStream_tbENKUlT_T0_SG_SL_E_clISA_SA_SB_SB_EEDaSZ_S10_SG_SL_EUlSZ_E_NS1_11comp_targetILNS1_3genE9ELNS1_11target_archE1100ELNS1_3gpuE3ELNS1_3repE0EEENS1_47radix_sort_onesweep_sort_config_static_selectorELNS0_4arch9wavefront6targetE0EEEvSG_: ; @_ZN7rocprim17ROCPRIM_400000_NS6detail17trampoline_kernelINS0_14default_configENS1_35radix_sort_onesweep_config_selectorIiNS0_10empty_typeEEEZZNS1_29radix_sort_onesweep_iterationIS3_Lb1EPKiPiPS5_SB_mNS0_19identity_decomposerENS1_16block_id_wrapperIjLb1EEEEE10hipError_tT1_PNSt15iterator_traitsISG_E10value_typeET2_T3_PNSH_ISM_E10value_typeET4_T5_PSR_SS_PNS1_23onesweep_lookback_stateEbbT6_jjT7_P12ihipStream_tbENKUlT_T0_SG_SL_E_clISA_SA_SB_SB_EEDaSZ_S10_SG_SL_EUlSZ_E_NS1_11comp_targetILNS1_3genE9ELNS1_11target_archE1100ELNS1_3gpuE3ELNS1_3repE0EEENS1_47radix_sort_onesweep_sort_config_static_selectorELNS0_4arch9wavefront6targetE0EEEvSG_
; %bb.0:
	.section	.rodata,"a",@progbits
	.p2align	6, 0x0
	.amdhsa_kernel _ZN7rocprim17ROCPRIM_400000_NS6detail17trampoline_kernelINS0_14default_configENS1_35radix_sort_onesweep_config_selectorIiNS0_10empty_typeEEEZZNS1_29radix_sort_onesweep_iterationIS3_Lb1EPKiPiPS5_SB_mNS0_19identity_decomposerENS1_16block_id_wrapperIjLb1EEEEE10hipError_tT1_PNSt15iterator_traitsISG_E10value_typeET2_T3_PNSH_ISM_E10value_typeET4_T5_PSR_SS_PNS1_23onesweep_lookback_stateEbbT6_jjT7_P12ihipStream_tbENKUlT_T0_SG_SL_E_clISA_SA_SB_SB_EEDaSZ_S10_SG_SL_EUlSZ_E_NS1_11comp_targetILNS1_3genE9ELNS1_11target_archE1100ELNS1_3gpuE3ELNS1_3repE0EEENS1_47radix_sort_onesweep_sort_config_static_selectorELNS0_4arch9wavefront6targetE0EEEvSG_
		.amdhsa_group_segment_fixed_size 0
		.amdhsa_private_segment_fixed_size 0
		.amdhsa_kernarg_size 88
		.amdhsa_user_sgpr_count 2
		.amdhsa_user_sgpr_dispatch_ptr 0
		.amdhsa_user_sgpr_queue_ptr 0
		.amdhsa_user_sgpr_kernarg_segment_ptr 1
		.amdhsa_user_sgpr_dispatch_id 0
		.amdhsa_user_sgpr_kernarg_preload_length 0
		.amdhsa_user_sgpr_kernarg_preload_offset 0
		.amdhsa_user_sgpr_private_segment_size 0
		.amdhsa_wavefront_size32 1
		.amdhsa_uses_dynamic_stack 0
		.amdhsa_enable_private_segment 0
		.amdhsa_system_sgpr_workgroup_id_x 1
		.amdhsa_system_sgpr_workgroup_id_y 0
		.amdhsa_system_sgpr_workgroup_id_z 0
		.amdhsa_system_sgpr_workgroup_info 0
		.amdhsa_system_vgpr_workitem_id 0
		.amdhsa_next_free_vgpr 1
		.amdhsa_next_free_sgpr 1
		.amdhsa_named_barrier_count 0
		.amdhsa_reserve_vcc 0
		.amdhsa_float_round_mode_32 0
		.amdhsa_float_round_mode_16_64 0
		.amdhsa_float_denorm_mode_32 3
		.amdhsa_float_denorm_mode_16_64 3
		.amdhsa_fp16_overflow 0
		.amdhsa_memory_ordered 1
		.amdhsa_forward_progress 1
		.amdhsa_inst_pref_size 0
		.amdhsa_round_robin_scheduling 0
		.amdhsa_exception_fp_ieee_invalid_op 0
		.amdhsa_exception_fp_denorm_src 0
		.amdhsa_exception_fp_ieee_div_zero 0
		.amdhsa_exception_fp_ieee_overflow 0
		.amdhsa_exception_fp_ieee_underflow 0
		.amdhsa_exception_fp_ieee_inexact 0
		.amdhsa_exception_int_div_zero 0
	.end_amdhsa_kernel
	.section	.text._ZN7rocprim17ROCPRIM_400000_NS6detail17trampoline_kernelINS0_14default_configENS1_35radix_sort_onesweep_config_selectorIiNS0_10empty_typeEEEZZNS1_29radix_sort_onesweep_iterationIS3_Lb1EPKiPiPS5_SB_mNS0_19identity_decomposerENS1_16block_id_wrapperIjLb1EEEEE10hipError_tT1_PNSt15iterator_traitsISG_E10value_typeET2_T3_PNSH_ISM_E10value_typeET4_T5_PSR_SS_PNS1_23onesweep_lookback_stateEbbT6_jjT7_P12ihipStream_tbENKUlT_T0_SG_SL_E_clISA_SA_SB_SB_EEDaSZ_S10_SG_SL_EUlSZ_E_NS1_11comp_targetILNS1_3genE9ELNS1_11target_archE1100ELNS1_3gpuE3ELNS1_3repE0EEENS1_47radix_sort_onesweep_sort_config_static_selectorELNS0_4arch9wavefront6targetE0EEEvSG_,"axG",@progbits,_ZN7rocprim17ROCPRIM_400000_NS6detail17trampoline_kernelINS0_14default_configENS1_35radix_sort_onesweep_config_selectorIiNS0_10empty_typeEEEZZNS1_29radix_sort_onesweep_iterationIS3_Lb1EPKiPiPS5_SB_mNS0_19identity_decomposerENS1_16block_id_wrapperIjLb1EEEEE10hipError_tT1_PNSt15iterator_traitsISG_E10value_typeET2_T3_PNSH_ISM_E10value_typeET4_T5_PSR_SS_PNS1_23onesweep_lookback_stateEbbT6_jjT7_P12ihipStream_tbENKUlT_T0_SG_SL_E_clISA_SA_SB_SB_EEDaSZ_S10_SG_SL_EUlSZ_E_NS1_11comp_targetILNS1_3genE9ELNS1_11target_archE1100ELNS1_3gpuE3ELNS1_3repE0EEENS1_47radix_sort_onesweep_sort_config_static_selectorELNS0_4arch9wavefront6targetE0EEEvSG_,comdat
.Lfunc_end865:
	.size	_ZN7rocprim17ROCPRIM_400000_NS6detail17trampoline_kernelINS0_14default_configENS1_35radix_sort_onesweep_config_selectorIiNS0_10empty_typeEEEZZNS1_29radix_sort_onesweep_iterationIS3_Lb1EPKiPiPS5_SB_mNS0_19identity_decomposerENS1_16block_id_wrapperIjLb1EEEEE10hipError_tT1_PNSt15iterator_traitsISG_E10value_typeET2_T3_PNSH_ISM_E10value_typeET4_T5_PSR_SS_PNS1_23onesweep_lookback_stateEbbT6_jjT7_P12ihipStream_tbENKUlT_T0_SG_SL_E_clISA_SA_SB_SB_EEDaSZ_S10_SG_SL_EUlSZ_E_NS1_11comp_targetILNS1_3genE9ELNS1_11target_archE1100ELNS1_3gpuE3ELNS1_3repE0EEENS1_47radix_sort_onesweep_sort_config_static_selectorELNS0_4arch9wavefront6targetE0EEEvSG_, .Lfunc_end865-_ZN7rocprim17ROCPRIM_400000_NS6detail17trampoline_kernelINS0_14default_configENS1_35radix_sort_onesweep_config_selectorIiNS0_10empty_typeEEEZZNS1_29radix_sort_onesweep_iterationIS3_Lb1EPKiPiPS5_SB_mNS0_19identity_decomposerENS1_16block_id_wrapperIjLb1EEEEE10hipError_tT1_PNSt15iterator_traitsISG_E10value_typeET2_T3_PNSH_ISM_E10value_typeET4_T5_PSR_SS_PNS1_23onesweep_lookback_stateEbbT6_jjT7_P12ihipStream_tbENKUlT_T0_SG_SL_E_clISA_SA_SB_SB_EEDaSZ_S10_SG_SL_EUlSZ_E_NS1_11comp_targetILNS1_3genE9ELNS1_11target_archE1100ELNS1_3gpuE3ELNS1_3repE0EEENS1_47radix_sort_onesweep_sort_config_static_selectorELNS0_4arch9wavefront6targetE0EEEvSG_
                                        ; -- End function
	.set _ZN7rocprim17ROCPRIM_400000_NS6detail17trampoline_kernelINS0_14default_configENS1_35radix_sort_onesweep_config_selectorIiNS0_10empty_typeEEEZZNS1_29radix_sort_onesweep_iterationIS3_Lb1EPKiPiPS5_SB_mNS0_19identity_decomposerENS1_16block_id_wrapperIjLb1EEEEE10hipError_tT1_PNSt15iterator_traitsISG_E10value_typeET2_T3_PNSH_ISM_E10value_typeET4_T5_PSR_SS_PNS1_23onesweep_lookback_stateEbbT6_jjT7_P12ihipStream_tbENKUlT_T0_SG_SL_E_clISA_SA_SB_SB_EEDaSZ_S10_SG_SL_EUlSZ_E_NS1_11comp_targetILNS1_3genE9ELNS1_11target_archE1100ELNS1_3gpuE3ELNS1_3repE0EEENS1_47radix_sort_onesweep_sort_config_static_selectorELNS0_4arch9wavefront6targetE0EEEvSG_.num_vgpr, 0
	.set _ZN7rocprim17ROCPRIM_400000_NS6detail17trampoline_kernelINS0_14default_configENS1_35radix_sort_onesweep_config_selectorIiNS0_10empty_typeEEEZZNS1_29radix_sort_onesweep_iterationIS3_Lb1EPKiPiPS5_SB_mNS0_19identity_decomposerENS1_16block_id_wrapperIjLb1EEEEE10hipError_tT1_PNSt15iterator_traitsISG_E10value_typeET2_T3_PNSH_ISM_E10value_typeET4_T5_PSR_SS_PNS1_23onesweep_lookback_stateEbbT6_jjT7_P12ihipStream_tbENKUlT_T0_SG_SL_E_clISA_SA_SB_SB_EEDaSZ_S10_SG_SL_EUlSZ_E_NS1_11comp_targetILNS1_3genE9ELNS1_11target_archE1100ELNS1_3gpuE3ELNS1_3repE0EEENS1_47radix_sort_onesweep_sort_config_static_selectorELNS0_4arch9wavefront6targetE0EEEvSG_.num_agpr, 0
	.set _ZN7rocprim17ROCPRIM_400000_NS6detail17trampoline_kernelINS0_14default_configENS1_35radix_sort_onesweep_config_selectorIiNS0_10empty_typeEEEZZNS1_29radix_sort_onesweep_iterationIS3_Lb1EPKiPiPS5_SB_mNS0_19identity_decomposerENS1_16block_id_wrapperIjLb1EEEEE10hipError_tT1_PNSt15iterator_traitsISG_E10value_typeET2_T3_PNSH_ISM_E10value_typeET4_T5_PSR_SS_PNS1_23onesweep_lookback_stateEbbT6_jjT7_P12ihipStream_tbENKUlT_T0_SG_SL_E_clISA_SA_SB_SB_EEDaSZ_S10_SG_SL_EUlSZ_E_NS1_11comp_targetILNS1_3genE9ELNS1_11target_archE1100ELNS1_3gpuE3ELNS1_3repE0EEENS1_47radix_sort_onesweep_sort_config_static_selectorELNS0_4arch9wavefront6targetE0EEEvSG_.numbered_sgpr, 0
	.set _ZN7rocprim17ROCPRIM_400000_NS6detail17trampoline_kernelINS0_14default_configENS1_35radix_sort_onesweep_config_selectorIiNS0_10empty_typeEEEZZNS1_29radix_sort_onesweep_iterationIS3_Lb1EPKiPiPS5_SB_mNS0_19identity_decomposerENS1_16block_id_wrapperIjLb1EEEEE10hipError_tT1_PNSt15iterator_traitsISG_E10value_typeET2_T3_PNSH_ISM_E10value_typeET4_T5_PSR_SS_PNS1_23onesweep_lookback_stateEbbT6_jjT7_P12ihipStream_tbENKUlT_T0_SG_SL_E_clISA_SA_SB_SB_EEDaSZ_S10_SG_SL_EUlSZ_E_NS1_11comp_targetILNS1_3genE9ELNS1_11target_archE1100ELNS1_3gpuE3ELNS1_3repE0EEENS1_47radix_sort_onesweep_sort_config_static_selectorELNS0_4arch9wavefront6targetE0EEEvSG_.num_named_barrier, 0
	.set _ZN7rocprim17ROCPRIM_400000_NS6detail17trampoline_kernelINS0_14default_configENS1_35radix_sort_onesweep_config_selectorIiNS0_10empty_typeEEEZZNS1_29radix_sort_onesweep_iterationIS3_Lb1EPKiPiPS5_SB_mNS0_19identity_decomposerENS1_16block_id_wrapperIjLb1EEEEE10hipError_tT1_PNSt15iterator_traitsISG_E10value_typeET2_T3_PNSH_ISM_E10value_typeET4_T5_PSR_SS_PNS1_23onesweep_lookback_stateEbbT6_jjT7_P12ihipStream_tbENKUlT_T0_SG_SL_E_clISA_SA_SB_SB_EEDaSZ_S10_SG_SL_EUlSZ_E_NS1_11comp_targetILNS1_3genE9ELNS1_11target_archE1100ELNS1_3gpuE3ELNS1_3repE0EEENS1_47radix_sort_onesweep_sort_config_static_selectorELNS0_4arch9wavefront6targetE0EEEvSG_.private_seg_size, 0
	.set _ZN7rocprim17ROCPRIM_400000_NS6detail17trampoline_kernelINS0_14default_configENS1_35radix_sort_onesweep_config_selectorIiNS0_10empty_typeEEEZZNS1_29radix_sort_onesweep_iterationIS3_Lb1EPKiPiPS5_SB_mNS0_19identity_decomposerENS1_16block_id_wrapperIjLb1EEEEE10hipError_tT1_PNSt15iterator_traitsISG_E10value_typeET2_T3_PNSH_ISM_E10value_typeET4_T5_PSR_SS_PNS1_23onesweep_lookback_stateEbbT6_jjT7_P12ihipStream_tbENKUlT_T0_SG_SL_E_clISA_SA_SB_SB_EEDaSZ_S10_SG_SL_EUlSZ_E_NS1_11comp_targetILNS1_3genE9ELNS1_11target_archE1100ELNS1_3gpuE3ELNS1_3repE0EEENS1_47radix_sort_onesweep_sort_config_static_selectorELNS0_4arch9wavefront6targetE0EEEvSG_.uses_vcc, 0
	.set _ZN7rocprim17ROCPRIM_400000_NS6detail17trampoline_kernelINS0_14default_configENS1_35radix_sort_onesweep_config_selectorIiNS0_10empty_typeEEEZZNS1_29radix_sort_onesweep_iterationIS3_Lb1EPKiPiPS5_SB_mNS0_19identity_decomposerENS1_16block_id_wrapperIjLb1EEEEE10hipError_tT1_PNSt15iterator_traitsISG_E10value_typeET2_T3_PNSH_ISM_E10value_typeET4_T5_PSR_SS_PNS1_23onesweep_lookback_stateEbbT6_jjT7_P12ihipStream_tbENKUlT_T0_SG_SL_E_clISA_SA_SB_SB_EEDaSZ_S10_SG_SL_EUlSZ_E_NS1_11comp_targetILNS1_3genE9ELNS1_11target_archE1100ELNS1_3gpuE3ELNS1_3repE0EEENS1_47radix_sort_onesweep_sort_config_static_selectorELNS0_4arch9wavefront6targetE0EEEvSG_.uses_flat_scratch, 0
	.set _ZN7rocprim17ROCPRIM_400000_NS6detail17trampoline_kernelINS0_14default_configENS1_35radix_sort_onesweep_config_selectorIiNS0_10empty_typeEEEZZNS1_29radix_sort_onesweep_iterationIS3_Lb1EPKiPiPS5_SB_mNS0_19identity_decomposerENS1_16block_id_wrapperIjLb1EEEEE10hipError_tT1_PNSt15iterator_traitsISG_E10value_typeET2_T3_PNSH_ISM_E10value_typeET4_T5_PSR_SS_PNS1_23onesweep_lookback_stateEbbT6_jjT7_P12ihipStream_tbENKUlT_T0_SG_SL_E_clISA_SA_SB_SB_EEDaSZ_S10_SG_SL_EUlSZ_E_NS1_11comp_targetILNS1_3genE9ELNS1_11target_archE1100ELNS1_3gpuE3ELNS1_3repE0EEENS1_47radix_sort_onesweep_sort_config_static_selectorELNS0_4arch9wavefront6targetE0EEEvSG_.has_dyn_sized_stack, 0
	.set _ZN7rocprim17ROCPRIM_400000_NS6detail17trampoline_kernelINS0_14default_configENS1_35radix_sort_onesweep_config_selectorIiNS0_10empty_typeEEEZZNS1_29radix_sort_onesweep_iterationIS3_Lb1EPKiPiPS5_SB_mNS0_19identity_decomposerENS1_16block_id_wrapperIjLb1EEEEE10hipError_tT1_PNSt15iterator_traitsISG_E10value_typeET2_T3_PNSH_ISM_E10value_typeET4_T5_PSR_SS_PNS1_23onesweep_lookback_stateEbbT6_jjT7_P12ihipStream_tbENKUlT_T0_SG_SL_E_clISA_SA_SB_SB_EEDaSZ_S10_SG_SL_EUlSZ_E_NS1_11comp_targetILNS1_3genE9ELNS1_11target_archE1100ELNS1_3gpuE3ELNS1_3repE0EEENS1_47radix_sort_onesweep_sort_config_static_selectorELNS0_4arch9wavefront6targetE0EEEvSG_.has_recursion, 0
	.set _ZN7rocprim17ROCPRIM_400000_NS6detail17trampoline_kernelINS0_14default_configENS1_35radix_sort_onesweep_config_selectorIiNS0_10empty_typeEEEZZNS1_29radix_sort_onesweep_iterationIS3_Lb1EPKiPiPS5_SB_mNS0_19identity_decomposerENS1_16block_id_wrapperIjLb1EEEEE10hipError_tT1_PNSt15iterator_traitsISG_E10value_typeET2_T3_PNSH_ISM_E10value_typeET4_T5_PSR_SS_PNS1_23onesweep_lookback_stateEbbT6_jjT7_P12ihipStream_tbENKUlT_T0_SG_SL_E_clISA_SA_SB_SB_EEDaSZ_S10_SG_SL_EUlSZ_E_NS1_11comp_targetILNS1_3genE9ELNS1_11target_archE1100ELNS1_3gpuE3ELNS1_3repE0EEENS1_47radix_sort_onesweep_sort_config_static_selectorELNS0_4arch9wavefront6targetE0EEEvSG_.has_indirect_call, 0
	.section	.AMDGPU.csdata,"",@progbits
; Kernel info:
; codeLenInByte = 0
; TotalNumSgprs: 0
; NumVgprs: 0
; ScratchSize: 0
; MemoryBound: 0
; FloatMode: 240
; IeeeMode: 1
; LDSByteSize: 0 bytes/workgroup (compile time only)
; SGPRBlocks: 0
; VGPRBlocks: 0
; NumSGPRsForWavesPerEU: 1
; NumVGPRsForWavesPerEU: 1
; NamedBarCnt: 0
; Occupancy: 16
; WaveLimiterHint : 0
; COMPUTE_PGM_RSRC2:SCRATCH_EN: 0
; COMPUTE_PGM_RSRC2:USER_SGPR: 2
; COMPUTE_PGM_RSRC2:TRAP_HANDLER: 0
; COMPUTE_PGM_RSRC2:TGID_X_EN: 1
; COMPUTE_PGM_RSRC2:TGID_Y_EN: 0
; COMPUTE_PGM_RSRC2:TGID_Z_EN: 0
; COMPUTE_PGM_RSRC2:TIDIG_COMP_CNT: 0
	.section	.text._ZN7rocprim17ROCPRIM_400000_NS6detail17trampoline_kernelINS0_14default_configENS1_35radix_sort_onesweep_config_selectorIiNS0_10empty_typeEEEZZNS1_29radix_sort_onesweep_iterationIS3_Lb1EPKiPiPS5_SB_mNS0_19identity_decomposerENS1_16block_id_wrapperIjLb1EEEEE10hipError_tT1_PNSt15iterator_traitsISG_E10value_typeET2_T3_PNSH_ISM_E10value_typeET4_T5_PSR_SS_PNS1_23onesweep_lookback_stateEbbT6_jjT7_P12ihipStream_tbENKUlT_T0_SG_SL_E_clISA_SA_SB_SB_EEDaSZ_S10_SG_SL_EUlSZ_E_NS1_11comp_targetILNS1_3genE8ELNS1_11target_archE1030ELNS1_3gpuE2ELNS1_3repE0EEENS1_47radix_sort_onesweep_sort_config_static_selectorELNS0_4arch9wavefront6targetE0EEEvSG_,"axG",@progbits,_ZN7rocprim17ROCPRIM_400000_NS6detail17trampoline_kernelINS0_14default_configENS1_35radix_sort_onesweep_config_selectorIiNS0_10empty_typeEEEZZNS1_29radix_sort_onesweep_iterationIS3_Lb1EPKiPiPS5_SB_mNS0_19identity_decomposerENS1_16block_id_wrapperIjLb1EEEEE10hipError_tT1_PNSt15iterator_traitsISG_E10value_typeET2_T3_PNSH_ISM_E10value_typeET4_T5_PSR_SS_PNS1_23onesweep_lookback_stateEbbT6_jjT7_P12ihipStream_tbENKUlT_T0_SG_SL_E_clISA_SA_SB_SB_EEDaSZ_S10_SG_SL_EUlSZ_E_NS1_11comp_targetILNS1_3genE8ELNS1_11target_archE1030ELNS1_3gpuE2ELNS1_3repE0EEENS1_47radix_sort_onesweep_sort_config_static_selectorELNS0_4arch9wavefront6targetE0EEEvSG_,comdat
	.protected	_ZN7rocprim17ROCPRIM_400000_NS6detail17trampoline_kernelINS0_14default_configENS1_35radix_sort_onesweep_config_selectorIiNS0_10empty_typeEEEZZNS1_29radix_sort_onesweep_iterationIS3_Lb1EPKiPiPS5_SB_mNS0_19identity_decomposerENS1_16block_id_wrapperIjLb1EEEEE10hipError_tT1_PNSt15iterator_traitsISG_E10value_typeET2_T3_PNSH_ISM_E10value_typeET4_T5_PSR_SS_PNS1_23onesweep_lookback_stateEbbT6_jjT7_P12ihipStream_tbENKUlT_T0_SG_SL_E_clISA_SA_SB_SB_EEDaSZ_S10_SG_SL_EUlSZ_E_NS1_11comp_targetILNS1_3genE8ELNS1_11target_archE1030ELNS1_3gpuE2ELNS1_3repE0EEENS1_47radix_sort_onesweep_sort_config_static_selectorELNS0_4arch9wavefront6targetE0EEEvSG_ ; -- Begin function _ZN7rocprim17ROCPRIM_400000_NS6detail17trampoline_kernelINS0_14default_configENS1_35radix_sort_onesweep_config_selectorIiNS0_10empty_typeEEEZZNS1_29radix_sort_onesweep_iterationIS3_Lb1EPKiPiPS5_SB_mNS0_19identity_decomposerENS1_16block_id_wrapperIjLb1EEEEE10hipError_tT1_PNSt15iterator_traitsISG_E10value_typeET2_T3_PNSH_ISM_E10value_typeET4_T5_PSR_SS_PNS1_23onesweep_lookback_stateEbbT6_jjT7_P12ihipStream_tbENKUlT_T0_SG_SL_E_clISA_SA_SB_SB_EEDaSZ_S10_SG_SL_EUlSZ_E_NS1_11comp_targetILNS1_3genE8ELNS1_11target_archE1030ELNS1_3gpuE2ELNS1_3repE0EEENS1_47radix_sort_onesweep_sort_config_static_selectorELNS0_4arch9wavefront6targetE0EEEvSG_
	.globl	_ZN7rocprim17ROCPRIM_400000_NS6detail17trampoline_kernelINS0_14default_configENS1_35radix_sort_onesweep_config_selectorIiNS0_10empty_typeEEEZZNS1_29radix_sort_onesweep_iterationIS3_Lb1EPKiPiPS5_SB_mNS0_19identity_decomposerENS1_16block_id_wrapperIjLb1EEEEE10hipError_tT1_PNSt15iterator_traitsISG_E10value_typeET2_T3_PNSH_ISM_E10value_typeET4_T5_PSR_SS_PNS1_23onesweep_lookback_stateEbbT6_jjT7_P12ihipStream_tbENKUlT_T0_SG_SL_E_clISA_SA_SB_SB_EEDaSZ_S10_SG_SL_EUlSZ_E_NS1_11comp_targetILNS1_3genE8ELNS1_11target_archE1030ELNS1_3gpuE2ELNS1_3repE0EEENS1_47radix_sort_onesweep_sort_config_static_selectorELNS0_4arch9wavefront6targetE0EEEvSG_
	.p2align	8
	.type	_ZN7rocprim17ROCPRIM_400000_NS6detail17trampoline_kernelINS0_14default_configENS1_35radix_sort_onesweep_config_selectorIiNS0_10empty_typeEEEZZNS1_29radix_sort_onesweep_iterationIS3_Lb1EPKiPiPS5_SB_mNS0_19identity_decomposerENS1_16block_id_wrapperIjLb1EEEEE10hipError_tT1_PNSt15iterator_traitsISG_E10value_typeET2_T3_PNSH_ISM_E10value_typeET4_T5_PSR_SS_PNS1_23onesweep_lookback_stateEbbT6_jjT7_P12ihipStream_tbENKUlT_T0_SG_SL_E_clISA_SA_SB_SB_EEDaSZ_S10_SG_SL_EUlSZ_E_NS1_11comp_targetILNS1_3genE8ELNS1_11target_archE1030ELNS1_3gpuE2ELNS1_3repE0EEENS1_47radix_sort_onesweep_sort_config_static_selectorELNS0_4arch9wavefront6targetE0EEEvSG_,@function
_ZN7rocprim17ROCPRIM_400000_NS6detail17trampoline_kernelINS0_14default_configENS1_35radix_sort_onesweep_config_selectorIiNS0_10empty_typeEEEZZNS1_29radix_sort_onesweep_iterationIS3_Lb1EPKiPiPS5_SB_mNS0_19identity_decomposerENS1_16block_id_wrapperIjLb1EEEEE10hipError_tT1_PNSt15iterator_traitsISG_E10value_typeET2_T3_PNSH_ISM_E10value_typeET4_T5_PSR_SS_PNS1_23onesweep_lookback_stateEbbT6_jjT7_P12ihipStream_tbENKUlT_T0_SG_SL_E_clISA_SA_SB_SB_EEDaSZ_S10_SG_SL_EUlSZ_E_NS1_11comp_targetILNS1_3genE8ELNS1_11target_archE1030ELNS1_3gpuE2ELNS1_3repE0EEENS1_47radix_sort_onesweep_sort_config_static_selectorELNS0_4arch9wavefront6targetE0EEEvSG_: ; @_ZN7rocprim17ROCPRIM_400000_NS6detail17trampoline_kernelINS0_14default_configENS1_35radix_sort_onesweep_config_selectorIiNS0_10empty_typeEEEZZNS1_29radix_sort_onesweep_iterationIS3_Lb1EPKiPiPS5_SB_mNS0_19identity_decomposerENS1_16block_id_wrapperIjLb1EEEEE10hipError_tT1_PNSt15iterator_traitsISG_E10value_typeET2_T3_PNSH_ISM_E10value_typeET4_T5_PSR_SS_PNS1_23onesweep_lookback_stateEbbT6_jjT7_P12ihipStream_tbENKUlT_T0_SG_SL_E_clISA_SA_SB_SB_EEDaSZ_S10_SG_SL_EUlSZ_E_NS1_11comp_targetILNS1_3genE8ELNS1_11target_archE1030ELNS1_3gpuE2ELNS1_3repE0EEENS1_47radix_sort_onesweep_sort_config_static_selectorELNS0_4arch9wavefront6targetE0EEEvSG_
; %bb.0:
	.section	.rodata,"a",@progbits
	.p2align	6, 0x0
	.amdhsa_kernel _ZN7rocprim17ROCPRIM_400000_NS6detail17trampoline_kernelINS0_14default_configENS1_35radix_sort_onesweep_config_selectorIiNS0_10empty_typeEEEZZNS1_29radix_sort_onesweep_iterationIS3_Lb1EPKiPiPS5_SB_mNS0_19identity_decomposerENS1_16block_id_wrapperIjLb1EEEEE10hipError_tT1_PNSt15iterator_traitsISG_E10value_typeET2_T3_PNSH_ISM_E10value_typeET4_T5_PSR_SS_PNS1_23onesweep_lookback_stateEbbT6_jjT7_P12ihipStream_tbENKUlT_T0_SG_SL_E_clISA_SA_SB_SB_EEDaSZ_S10_SG_SL_EUlSZ_E_NS1_11comp_targetILNS1_3genE8ELNS1_11target_archE1030ELNS1_3gpuE2ELNS1_3repE0EEENS1_47radix_sort_onesweep_sort_config_static_selectorELNS0_4arch9wavefront6targetE0EEEvSG_
		.amdhsa_group_segment_fixed_size 0
		.amdhsa_private_segment_fixed_size 0
		.amdhsa_kernarg_size 88
		.amdhsa_user_sgpr_count 2
		.amdhsa_user_sgpr_dispatch_ptr 0
		.amdhsa_user_sgpr_queue_ptr 0
		.amdhsa_user_sgpr_kernarg_segment_ptr 1
		.amdhsa_user_sgpr_dispatch_id 0
		.amdhsa_user_sgpr_kernarg_preload_length 0
		.amdhsa_user_sgpr_kernarg_preload_offset 0
		.amdhsa_user_sgpr_private_segment_size 0
		.amdhsa_wavefront_size32 1
		.amdhsa_uses_dynamic_stack 0
		.amdhsa_enable_private_segment 0
		.amdhsa_system_sgpr_workgroup_id_x 1
		.amdhsa_system_sgpr_workgroup_id_y 0
		.amdhsa_system_sgpr_workgroup_id_z 0
		.amdhsa_system_sgpr_workgroup_info 0
		.amdhsa_system_vgpr_workitem_id 0
		.amdhsa_next_free_vgpr 1
		.amdhsa_next_free_sgpr 1
		.amdhsa_named_barrier_count 0
		.amdhsa_reserve_vcc 0
		.amdhsa_float_round_mode_32 0
		.amdhsa_float_round_mode_16_64 0
		.amdhsa_float_denorm_mode_32 3
		.amdhsa_float_denorm_mode_16_64 3
		.amdhsa_fp16_overflow 0
		.amdhsa_memory_ordered 1
		.amdhsa_forward_progress 1
		.amdhsa_inst_pref_size 0
		.amdhsa_round_robin_scheduling 0
		.amdhsa_exception_fp_ieee_invalid_op 0
		.amdhsa_exception_fp_denorm_src 0
		.amdhsa_exception_fp_ieee_div_zero 0
		.amdhsa_exception_fp_ieee_overflow 0
		.amdhsa_exception_fp_ieee_underflow 0
		.amdhsa_exception_fp_ieee_inexact 0
		.amdhsa_exception_int_div_zero 0
	.end_amdhsa_kernel
	.section	.text._ZN7rocprim17ROCPRIM_400000_NS6detail17trampoline_kernelINS0_14default_configENS1_35radix_sort_onesweep_config_selectorIiNS0_10empty_typeEEEZZNS1_29radix_sort_onesweep_iterationIS3_Lb1EPKiPiPS5_SB_mNS0_19identity_decomposerENS1_16block_id_wrapperIjLb1EEEEE10hipError_tT1_PNSt15iterator_traitsISG_E10value_typeET2_T3_PNSH_ISM_E10value_typeET4_T5_PSR_SS_PNS1_23onesweep_lookback_stateEbbT6_jjT7_P12ihipStream_tbENKUlT_T0_SG_SL_E_clISA_SA_SB_SB_EEDaSZ_S10_SG_SL_EUlSZ_E_NS1_11comp_targetILNS1_3genE8ELNS1_11target_archE1030ELNS1_3gpuE2ELNS1_3repE0EEENS1_47radix_sort_onesweep_sort_config_static_selectorELNS0_4arch9wavefront6targetE0EEEvSG_,"axG",@progbits,_ZN7rocprim17ROCPRIM_400000_NS6detail17trampoline_kernelINS0_14default_configENS1_35radix_sort_onesweep_config_selectorIiNS0_10empty_typeEEEZZNS1_29radix_sort_onesweep_iterationIS3_Lb1EPKiPiPS5_SB_mNS0_19identity_decomposerENS1_16block_id_wrapperIjLb1EEEEE10hipError_tT1_PNSt15iterator_traitsISG_E10value_typeET2_T3_PNSH_ISM_E10value_typeET4_T5_PSR_SS_PNS1_23onesweep_lookback_stateEbbT6_jjT7_P12ihipStream_tbENKUlT_T0_SG_SL_E_clISA_SA_SB_SB_EEDaSZ_S10_SG_SL_EUlSZ_E_NS1_11comp_targetILNS1_3genE8ELNS1_11target_archE1030ELNS1_3gpuE2ELNS1_3repE0EEENS1_47radix_sort_onesweep_sort_config_static_selectorELNS0_4arch9wavefront6targetE0EEEvSG_,comdat
.Lfunc_end866:
	.size	_ZN7rocprim17ROCPRIM_400000_NS6detail17trampoline_kernelINS0_14default_configENS1_35radix_sort_onesweep_config_selectorIiNS0_10empty_typeEEEZZNS1_29radix_sort_onesweep_iterationIS3_Lb1EPKiPiPS5_SB_mNS0_19identity_decomposerENS1_16block_id_wrapperIjLb1EEEEE10hipError_tT1_PNSt15iterator_traitsISG_E10value_typeET2_T3_PNSH_ISM_E10value_typeET4_T5_PSR_SS_PNS1_23onesweep_lookback_stateEbbT6_jjT7_P12ihipStream_tbENKUlT_T0_SG_SL_E_clISA_SA_SB_SB_EEDaSZ_S10_SG_SL_EUlSZ_E_NS1_11comp_targetILNS1_3genE8ELNS1_11target_archE1030ELNS1_3gpuE2ELNS1_3repE0EEENS1_47radix_sort_onesweep_sort_config_static_selectorELNS0_4arch9wavefront6targetE0EEEvSG_, .Lfunc_end866-_ZN7rocprim17ROCPRIM_400000_NS6detail17trampoline_kernelINS0_14default_configENS1_35radix_sort_onesweep_config_selectorIiNS0_10empty_typeEEEZZNS1_29radix_sort_onesweep_iterationIS3_Lb1EPKiPiPS5_SB_mNS0_19identity_decomposerENS1_16block_id_wrapperIjLb1EEEEE10hipError_tT1_PNSt15iterator_traitsISG_E10value_typeET2_T3_PNSH_ISM_E10value_typeET4_T5_PSR_SS_PNS1_23onesweep_lookback_stateEbbT6_jjT7_P12ihipStream_tbENKUlT_T0_SG_SL_E_clISA_SA_SB_SB_EEDaSZ_S10_SG_SL_EUlSZ_E_NS1_11comp_targetILNS1_3genE8ELNS1_11target_archE1030ELNS1_3gpuE2ELNS1_3repE0EEENS1_47radix_sort_onesweep_sort_config_static_selectorELNS0_4arch9wavefront6targetE0EEEvSG_
                                        ; -- End function
	.set _ZN7rocprim17ROCPRIM_400000_NS6detail17trampoline_kernelINS0_14default_configENS1_35radix_sort_onesweep_config_selectorIiNS0_10empty_typeEEEZZNS1_29radix_sort_onesweep_iterationIS3_Lb1EPKiPiPS5_SB_mNS0_19identity_decomposerENS1_16block_id_wrapperIjLb1EEEEE10hipError_tT1_PNSt15iterator_traitsISG_E10value_typeET2_T3_PNSH_ISM_E10value_typeET4_T5_PSR_SS_PNS1_23onesweep_lookback_stateEbbT6_jjT7_P12ihipStream_tbENKUlT_T0_SG_SL_E_clISA_SA_SB_SB_EEDaSZ_S10_SG_SL_EUlSZ_E_NS1_11comp_targetILNS1_3genE8ELNS1_11target_archE1030ELNS1_3gpuE2ELNS1_3repE0EEENS1_47radix_sort_onesweep_sort_config_static_selectorELNS0_4arch9wavefront6targetE0EEEvSG_.num_vgpr, 0
	.set _ZN7rocprim17ROCPRIM_400000_NS6detail17trampoline_kernelINS0_14default_configENS1_35radix_sort_onesweep_config_selectorIiNS0_10empty_typeEEEZZNS1_29radix_sort_onesweep_iterationIS3_Lb1EPKiPiPS5_SB_mNS0_19identity_decomposerENS1_16block_id_wrapperIjLb1EEEEE10hipError_tT1_PNSt15iterator_traitsISG_E10value_typeET2_T3_PNSH_ISM_E10value_typeET4_T5_PSR_SS_PNS1_23onesweep_lookback_stateEbbT6_jjT7_P12ihipStream_tbENKUlT_T0_SG_SL_E_clISA_SA_SB_SB_EEDaSZ_S10_SG_SL_EUlSZ_E_NS1_11comp_targetILNS1_3genE8ELNS1_11target_archE1030ELNS1_3gpuE2ELNS1_3repE0EEENS1_47radix_sort_onesweep_sort_config_static_selectorELNS0_4arch9wavefront6targetE0EEEvSG_.num_agpr, 0
	.set _ZN7rocprim17ROCPRIM_400000_NS6detail17trampoline_kernelINS0_14default_configENS1_35radix_sort_onesweep_config_selectorIiNS0_10empty_typeEEEZZNS1_29radix_sort_onesweep_iterationIS3_Lb1EPKiPiPS5_SB_mNS0_19identity_decomposerENS1_16block_id_wrapperIjLb1EEEEE10hipError_tT1_PNSt15iterator_traitsISG_E10value_typeET2_T3_PNSH_ISM_E10value_typeET4_T5_PSR_SS_PNS1_23onesweep_lookback_stateEbbT6_jjT7_P12ihipStream_tbENKUlT_T0_SG_SL_E_clISA_SA_SB_SB_EEDaSZ_S10_SG_SL_EUlSZ_E_NS1_11comp_targetILNS1_3genE8ELNS1_11target_archE1030ELNS1_3gpuE2ELNS1_3repE0EEENS1_47radix_sort_onesweep_sort_config_static_selectorELNS0_4arch9wavefront6targetE0EEEvSG_.numbered_sgpr, 0
	.set _ZN7rocprim17ROCPRIM_400000_NS6detail17trampoline_kernelINS0_14default_configENS1_35radix_sort_onesweep_config_selectorIiNS0_10empty_typeEEEZZNS1_29radix_sort_onesweep_iterationIS3_Lb1EPKiPiPS5_SB_mNS0_19identity_decomposerENS1_16block_id_wrapperIjLb1EEEEE10hipError_tT1_PNSt15iterator_traitsISG_E10value_typeET2_T3_PNSH_ISM_E10value_typeET4_T5_PSR_SS_PNS1_23onesweep_lookback_stateEbbT6_jjT7_P12ihipStream_tbENKUlT_T0_SG_SL_E_clISA_SA_SB_SB_EEDaSZ_S10_SG_SL_EUlSZ_E_NS1_11comp_targetILNS1_3genE8ELNS1_11target_archE1030ELNS1_3gpuE2ELNS1_3repE0EEENS1_47radix_sort_onesweep_sort_config_static_selectorELNS0_4arch9wavefront6targetE0EEEvSG_.num_named_barrier, 0
	.set _ZN7rocprim17ROCPRIM_400000_NS6detail17trampoline_kernelINS0_14default_configENS1_35radix_sort_onesweep_config_selectorIiNS0_10empty_typeEEEZZNS1_29radix_sort_onesweep_iterationIS3_Lb1EPKiPiPS5_SB_mNS0_19identity_decomposerENS1_16block_id_wrapperIjLb1EEEEE10hipError_tT1_PNSt15iterator_traitsISG_E10value_typeET2_T3_PNSH_ISM_E10value_typeET4_T5_PSR_SS_PNS1_23onesweep_lookback_stateEbbT6_jjT7_P12ihipStream_tbENKUlT_T0_SG_SL_E_clISA_SA_SB_SB_EEDaSZ_S10_SG_SL_EUlSZ_E_NS1_11comp_targetILNS1_3genE8ELNS1_11target_archE1030ELNS1_3gpuE2ELNS1_3repE0EEENS1_47radix_sort_onesweep_sort_config_static_selectorELNS0_4arch9wavefront6targetE0EEEvSG_.private_seg_size, 0
	.set _ZN7rocprim17ROCPRIM_400000_NS6detail17trampoline_kernelINS0_14default_configENS1_35radix_sort_onesweep_config_selectorIiNS0_10empty_typeEEEZZNS1_29radix_sort_onesweep_iterationIS3_Lb1EPKiPiPS5_SB_mNS0_19identity_decomposerENS1_16block_id_wrapperIjLb1EEEEE10hipError_tT1_PNSt15iterator_traitsISG_E10value_typeET2_T3_PNSH_ISM_E10value_typeET4_T5_PSR_SS_PNS1_23onesweep_lookback_stateEbbT6_jjT7_P12ihipStream_tbENKUlT_T0_SG_SL_E_clISA_SA_SB_SB_EEDaSZ_S10_SG_SL_EUlSZ_E_NS1_11comp_targetILNS1_3genE8ELNS1_11target_archE1030ELNS1_3gpuE2ELNS1_3repE0EEENS1_47radix_sort_onesweep_sort_config_static_selectorELNS0_4arch9wavefront6targetE0EEEvSG_.uses_vcc, 0
	.set _ZN7rocprim17ROCPRIM_400000_NS6detail17trampoline_kernelINS0_14default_configENS1_35radix_sort_onesweep_config_selectorIiNS0_10empty_typeEEEZZNS1_29radix_sort_onesweep_iterationIS3_Lb1EPKiPiPS5_SB_mNS0_19identity_decomposerENS1_16block_id_wrapperIjLb1EEEEE10hipError_tT1_PNSt15iterator_traitsISG_E10value_typeET2_T3_PNSH_ISM_E10value_typeET4_T5_PSR_SS_PNS1_23onesweep_lookback_stateEbbT6_jjT7_P12ihipStream_tbENKUlT_T0_SG_SL_E_clISA_SA_SB_SB_EEDaSZ_S10_SG_SL_EUlSZ_E_NS1_11comp_targetILNS1_3genE8ELNS1_11target_archE1030ELNS1_3gpuE2ELNS1_3repE0EEENS1_47radix_sort_onesweep_sort_config_static_selectorELNS0_4arch9wavefront6targetE0EEEvSG_.uses_flat_scratch, 0
	.set _ZN7rocprim17ROCPRIM_400000_NS6detail17trampoline_kernelINS0_14default_configENS1_35radix_sort_onesweep_config_selectorIiNS0_10empty_typeEEEZZNS1_29radix_sort_onesweep_iterationIS3_Lb1EPKiPiPS5_SB_mNS0_19identity_decomposerENS1_16block_id_wrapperIjLb1EEEEE10hipError_tT1_PNSt15iterator_traitsISG_E10value_typeET2_T3_PNSH_ISM_E10value_typeET4_T5_PSR_SS_PNS1_23onesweep_lookback_stateEbbT6_jjT7_P12ihipStream_tbENKUlT_T0_SG_SL_E_clISA_SA_SB_SB_EEDaSZ_S10_SG_SL_EUlSZ_E_NS1_11comp_targetILNS1_3genE8ELNS1_11target_archE1030ELNS1_3gpuE2ELNS1_3repE0EEENS1_47radix_sort_onesweep_sort_config_static_selectorELNS0_4arch9wavefront6targetE0EEEvSG_.has_dyn_sized_stack, 0
	.set _ZN7rocprim17ROCPRIM_400000_NS6detail17trampoline_kernelINS0_14default_configENS1_35radix_sort_onesweep_config_selectorIiNS0_10empty_typeEEEZZNS1_29radix_sort_onesweep_iterationIS3_Lb1EPKiPiPS5_SB_mNS0_19identity_decomposerENS1_16block_id_wrapperIjLb1EEEEE10hipError_tT1_PNSt15iterator_traitsISG_E10value_typeET2_T3_PNSH_ISM_E10value_typeET4_T5_PSR_SS_PNS1_23onesweep_lookback_stateEbbT6_jjT7_P12ihipStream_tbENKUlT_T0_SG_SL_E_clISA_SA_SB_SB_EEDaSZ_S10_SG_SL_EUlSZ_E_NS1_11comp_targetILNS1_3genE8ELNS1_11target_archE1030ELNS1_3gpuE2ELNS1_3repE0EEENS1_47radix_sort_onesweep_sort_config_static_selectorELNS0_4arch9wavefront6targetE0EEEvSG_.has_recursion, 0
	.set _ZN7rocprim17ROCPRIM_400000_NS6detail17trampoline_kernelINS0_14default_configENS1_35radix_sort_onesweep_config_selectorIiNS0_10empty_typeEEEZZNS1_29radix_sort_onesweep_iterationIS3_Lb1EPKiPiPS5_SB_mNS0_19identity_decomposerENS1_16block_id_wrapperIjLb1EEEEE10hipError_tT1_PNSt15iterator_traitsISG_E10value_typeET2_T3_PNSH_ISM_E10value_typeET4_T5_PSR_SS_PNS1_23onesweep_lookback_stateEbbT6_jjT7_P12ihipStream_tbENKUlT_T0_SG_SL_E_clISA_SA_SB_SB_EEDaSZ_S10_SG_SL_EUlSZ_E_NS1_11comp_targetILNS1_3genE8ELNS1_11target_archE1030ELNS1_3gpuE2ELNS1_3repE0EEENS1_47radix_sort_onesweep_sort_config_static_selectorELNS0_4arch9wavefront6targetE0EEEvSG_.has_indirect_call, 0
	.section	.AMDGPU.csdata,"",@progbits
; Kernel info:
; codeLenInByte = 0
; TotalNumSgprs: 0
; NumVgprs: 0
; ScratchSize: 0
; MemoryBound: 0
; FloatMode: 240
; IeeeMode: 1
; LDSByteSize: 0 bytes/workgroup (compile time only)
; SGPRBlocks: 0
; VGPRBlocks: 0
; NumSGPRsForWavesPerEU: 1
; NumVGPRsForWavesPerEU: 1
; NamedBarCnt: 0
; Occupancy: 16
; WaveLimiterHint : 0
; COMPUTE_PGM_RSRC2:SCRATCH_EN: 0
; COMPUTE_PGM_RSRC2:USER_SGPR: 2
; COMPUTE_PGM_RSRC2:TRAP_HANDLER: 0
; COMPUTE_PGM_RSRC2:TGID_X_EN: 1
; COMPUTE_PGM_RSRC2:TGID_Y_EN: 0
; COMPUTE_PGM_RSRC2:TGID_Z_EN: 0
; COMPUTE_PGM_RSRC2:TIDIG_COMP_CNT: 0
	.section	.text._ZN7rocprim17ROCPRIM_400000_NS6detail17trampoline_kernelINS0_14default_configENS1_35radix_sort_onesweep_config_selectorIiNS0_10empty_typeEEEZZNS1_29radix_sort_onesweep_iterationIS3_Lb1EPKiPiPS5_SB_mNS0_19identity_decomposerENS1_16block_id_wrapperIjLb0EEEEE10hipError_tT1_PNSt15iterator_traitsISG_E10value_typeET2_T3_PNSH_ISM_E10value_typeET4_T5_PSR_SS_PNS1_23onesweep_lookback_stateEbbT6_jjT7_P12ihipStream_tbENKUlT_T0_SG_SL_E_clIS9_SA_SB_SB_EEDaSZ_S10_SG_SL_EUlSZ_E_NS1_11comp_targetILNS1_3genE0ELNS1_11target_archE4294967295ELNS1_3gpuE0ELNS1_3repE0EEENS1_47radix_sort_onesweep_sort_config_static_selectorELNS0_4arch9wavefront6targetE0EEEvSG_,"axG",@progbits,_ZN7rocprim17ROCPRIM_400000_NS6detail17trampoline_kernelINS0_14default_configENS1_35radix_sort_onesweep_config_selectorIiNS0_10empty_typeEEEZZNS1_29radix_sort_onesweep_iterationIS3_Lb1EPKiPiPS5_SB_mNS0_19identity_decomposerENS1_16block_id_wrapperIjLb0EEEEE10hipError_tT1_PNSt15iterator_traitsISG_E10value_typeET2_T3_PNSH_ISM_E10value_typeET4_T5_PSR_SS_PNS1_23onesweep_lookback_stateEbbT6_jjT7_P12ihipStream_tbENKUlT_T0_SG_SL_E_clIS9_SA_SB_SB_EEDaSZ_S10_SG_SL_EUlSZ_E_NS1_11comp_targetILNS1_3genE0ELNS1_11target_archE4294967295ELNS1_3gpuE0ELNS1_3repE0EEENS1_47radix_sort_onesweep_sort_config_static_selectorELNS0_4arch9wavefront6targetE0EEEvSG_,comdat
	.protected	_ZN7rocprim17ROCPRIM_400000_NS6detail17trampoline_kernelINS0_14default_configENS1_35radix_sort_onesweep_config_selectorIiNS0_10empty_typeEEEZZNS1_29radix_sort_onesweep_iterationIS3_Lb1EPKiPiPS5_SB_mNS0_19identity_decomposerENS1_16block_id_wrapperIjLb0EEEEE10hipError_tT1_PNSt15iterator_traitsISG_E10value_typeET2_T3_PNSH_ISM_E10value_typeET4_T5_PSR_SS_PNS1_23onesweep_lookback_stateEbbT6_jjT7_P12ihipStream_tbENKUlT_T0_SG_SL_E_clIS9_SA_SB_SB_EEDaSZ_S10_SG_SL_EUlSZ_E_NS1_11comp_targetILNS1_3genE0ELNS1_11target_archE4294967295ELNS1_3gpuE0ELNS1_3repE0EEENS1_47radix_sort_onesweep_sort_config_static_selectorELNS0_4arch9wavefront6targetE0EEEvSG_ ; -- Begin function _ZN7rocprim17ROCPRIM_400000_NS6detail17trampoline_kernelINS0_14default_configENS1_35radix_sort_onesweep_config_selectorIiNS0_10empty_typeEEEZZNS1_29radix_sort_onesweep_iterationIS3_Lb1EPKiPiPS5_SB_mNS0_19identity_decomposerENS1_16block_id_wrapperIjLb0EEEEE10hipError_tT1_PNSt15iterator_traitsISG_E10value_typeET2_T3_PNSH_ISM_E10value_typeET4_T5_PSR_SS_PNS1_23onesweep_lookback_stateEbbT6_jjT7_P12ihipStream_tbENKUlT_T0_SG_SL_E_clIS9_SA_SB_SB_EEDaSZ_S10_SG_SL_EUlSZ_E_NS1_11comp_targetILNS1_3genE0ELNS1_11target_archE4294967295ELNS1_3gpuE0ELNS1_3repE0EEENS1_47radix_sort_onesweep_sort_config_static_selectorELNS0_4arch9wavefront6targetE0EEEvSG_
	.globl	_ZN7rocprim17ROCPRIM_400000_NS6detail17trampoline_kernelINS0_14default_configENS1_35radix_sort_onesweep_config_selectorIiNS0_10empty_typeEEEZZNS1_29radix_sort_onesweep_iterationIS3_Lb1EPKiPiPS5_SB_mNS0_19identity_decomposerENS1_16block_id_wrapperIjLb0EEEEE10hipError_tT1_PNSt15iterator_traitsISG_E10value_typeET2_T3_PNSH_ISM_E10value_typeET4_T5_PSR_SS_PNS1_23onesweep_lookback_stateEbbT6_jjT7_P12ihipStream_tbENKUlT_T0_SG_SL_E_clIS9_SA_SB_SB_EEDaSZ_S10_SG_SL_EUlSZ_E_NS1_11comp_targetILNS1_3genE0ELNS1_11target_archE4294967295ELNS1_3gpuE0ELNS1_3repE0EEENS1_47radix_sort_onesweep_sort_config_static_selectorELNS0_4arch9wavefront6targetE0EEEvSG_
	.p2align	8
	.type	_ZN7rocprim17ROCPRIM_400000_NS6detail17trampoline_kernelINS0_14default_configENS1_35radix_sort_onesweep_config_selectorIiNS0_10empty_typeEEEZZNS1_29radix_sort_onesweep_iterationIS3_Lb1EPKiPiPS5_SB_mNS0_19identity_decomposerENS1_16block_id_wrapperIjLb0EEEEE10hipError_tT1_PNSt15iterator_traitsISG_E10value_typeET2_T3_PNSH_ISM_E10value_typeET4_T5_PSR_SS_PNS1_23onesweep_lookback_stateEbbT6_jjT7_P12ihipStream_tbENKUlT_T0_SG_SL_E_clIS9_SA_SB_SB_EEDaSZ_S10_SG_SL_EUlSZ_E_NS1_11comp_targetILNS1_3genE0ELNS1_11target_archE4294967295ELNS1_3gpuE0ELNS1_3repE0EEENS1_47radix_sort_onesweep_sort_config_static_selectorELNS0_4arch9wavefront6targetE0EEEvSG_,@function
_ZN7rocprim17ROCPRIM_400000_NS6detail17trampoline_kernelINS0_14default_configENS1_35radix_sort_onesweep_config_selectorIiNS0_10empty_typeEEEZZNS1_29radix_sort_onesweep_iterationIS3_Lb1EPKiPiPS5_SB_mNS0_19identity_decomposerENS1_16block_id_wrapperIjLb0EEEEE10hipError_tT1_PNSt15iterator_traitsISG_E10value_typeET2_T3_PNSH_ISM_E10value_typeET4_T5_PSR_SS_PNS1_23onesweep_lookback_stateEbbT6_jjT7_P12ihipStream_tbENKUlT_T0_SG_SL_E_clIS9_SA_SB_SB_EEDaSZ_S10_SG_SL_EUlSZ_E_NS1_11comp_targetILNS1_3genE0ELNS1_11target_archE4294967295ELNS1_3gpuE0ELNS1_3repE0EEENS1_47radix_sort_onesweep_sort_config_static_selectorELNS0_4arch9wavefront6targetE0EEEvSG_: ; @_ZN7rocprim17ROCPRIM_400000_NS6detail17trampoline_kernelINS0_14default_configENS1_35radix_sort_onesweep_config_selectorIiNS0_10empty_typeEEEZZNS1_29radix_sort_onesweep_iterationIS3_Lb1EPKiPiPS5_SB_mNS0_19identity_decomposerENS1_16block_id_wrapperIjLb0EEEEE10hipError_tT1_PNSt15iterator_traitsISG_E10value_typeET2_T3_PNSH_ISM_E10value_typeET4_T5_PSR_SS_PNS1_23onesweep_lookback_stateEbbT6_jjT7_P12ihipStream_tbENKUlT_T0_SG_SL_E_clIS9_SA_SB_SB_EEDaSZ_S10_SG_SL_EUlSZ_E_NS1_11comp_targetILNS1_3genE0ELNS1_11target_archE4294967295ELNS1_3gpuE0ELNS1_3repE0EEENS1_47radix_sort_onesweep_sort_config_static_selectorELNS0_4arch9wavefront6targetE0EEEvSG_
; %bb.0:
	s_clause 0x3
	s_load_b96 s[20:22], s[0:1], 0x44
	s_load_b64 s[10:11], s[0:1], 0x38
	s_load_b128 s[16:19], s[0:1], 0x0
	s_load_b128 s[12:15], s[0:1], 0x28
	s_bfe_u32 s2, ttmp6, 0x4000c
	s_and_b32 s3, ttmp6, 15
	s_add_co_i32 s2, s2, 1
	s_getreg_b32 s4, hwreg(HW_REG_IB_STS2, 6, 4)
	s_mul_i32 s5, ttmp9, s2
	v_mbcnt_lo_u32_b32 v16, -1, 0
	s_add_co_i32 s3, s3, s5
	s_cmp_eq_u32 s4, 0
	v_and_b32_e32 v17, 0x1e0, v0
	s_cselect_b32 s9, ttmp9, s3
	s_mov_b32 s25, 0
	s_mov_b32 s2, -1
	s_mul_i32 s24, s9, 0x1800
	s_add_nc_u64 s[26:27], s[0:1], 0x58
	s_wait_kmcnt 0x0
	s_cmp_ge_u32 s9, s22
	s_cbranch_scc0 .LBB867_90
; %bb.1:
	s_load_b32 s4, s[0:1], 0x20
	v_dual_mov_b32 v3, 0 :: v_dual_lshlrev_b32 v2, 2, v16
	s_lshl_b64 s[2:3], s[24:25], 2
	v_mul_u32_u24_e32 v1, 12, v17
	s_add_nc_u64 s[2:3], s[16:17], s[2:3]
	v_mov_b32_e32 v18, -1
	v_add_nc_u64_e32 v[6:7], s[2:3], v[2:3]
	s_mul_i32 s2, s22, 0xffffe800
	v_dual_lshlrev_b32 v2, 2, v1 :: v_dual_bitop2_b32 v4, v16, v1 bitop3:0x54
	v_mov_b32_e32 v1, -1
	s_delay_alu instid0(VALU_DEP_2)
	v_add_nc_u64_e32 v[2:3], v[6:7], v[2:3]
	s_wait_kmcnt 0x0
	s_add_co_i32 s22, s4, s2
	s_mov_b32 s2, exec_lo
	v_cmpx_gt_u32_e64 s22, v4
	s_cbranch_execz .LBB867_3
; %bb.2:
	global_load_b32 v5, v[2:3], off
	s_wait_loadcnt 0x0
	v_xor_b32_e32 v18, 0x7fffffff, v5
.LBB867_3:
	s_or_b32 exec_lo, exec_lo, s2
	v_or_b32_e32 v5, 32, v4
	s_mov_b32 s2, exec_lo
	s_delay_alu instid0(VALU_DEP_1)
	v_cmpx_gt_u32_e64 s22, v5
	s_cbranch_execz .LBB867_5
; %bb.4:
	global_load_b32 v1, v[2:3], off offset:128
	s_wait_loadcnt 0x0
	v_xor_b32_e32 v1, 0x7fffffff, v1
.LBB867_5:
	s_or_b32 exec_lo, exec_lo, s2
	v_dual_mov_b32 v19, -1 :: v_dual_bitop2_b32 v5, 64, v4 bitop3:0x54
	v_mov_b32_e32 v20, -1
	s_mov_b32 s2, exec_lo
	s_delay_alu instid0(VALU_DEP_2)
	v_cmpx_gt_u32_e64 s22, v5
	s_cbranch_execz .LBB867_7
; %bb.6:
	global_load_b32 v5, v[2:3], off offset:256
	s_wait_loadcnt 0x0
	v_xor_b32_e32 v20, 0x7fffffff, v5
.LBB867_7:
	s_or_b32 exec_lo, exec_lo, s2
	v_or_b32_e32 v5, 0x60, v4
	s_mov_b32 s2, exec_lo
	s_delay_alu instid0(VALU_DEP_1)
	v_cmpx_gt_u32_e64 s22, v5
	s_cbranch_execz .LBB867_9
; %bb.8:
	global_load_b32 v5, v[2:3], off offset:384
	s_wait_loadcnt 0x0
	v_xor_b32_e32 v19, 0x7fffffff, v5
.LBB867_9:
	s_or_b32 exec_lo, exec_lo, s2
	v_dual_mov_b32 v22, -1 :: v_dual_add_nc_u32 v5, 0x80, v4
	v_mov_b32_e32 v21, -1
	s_mov_b32 s2, exec_lo
	s_delay_alu instid0(VALU_DEP_2)
	v_cmpx_gt_u32_e64 s22, v5
	s_cbranch_execz .LBB867_11
; %bb.10:
	global_load_b32 v5, v[2:3], off offset:512
	s_wait_loadcnt 0x0
	v_xor_b32_e32 v22, 0x7fffffff, v5
.LBB867_11:
	s_or_b32 exec_lo, exec_lo, s2
	v_add_nc_u32_e32 v5, 0xa0, v4
	s_mov_b32 s2, exec_lo
	s_delay_alu instid0(VALU_DEP_1)
	v_cmpx_gt_u32_e64 s22, v5
	s_cbranch_execz .LBB867_13
; %bb.12:
	global_load_b32 v5, v[2:3], off offset:640
	s_wait_loadcnt 0x0
	v_xor_b32_e32 v21, 0x7fffffff, v5
.LBB867_13:
	s_or_b32 exec_lo, exec_lo, s2
	v_dual_mov_b32 v24, -1 :: v_dual_add_nc_u32 v5, 0xc0, v4
	v_mov_b32_e32 v23, -1
	s_mov_b32 s2, exec_lo
	s_delay_alu instid0(VALU_DEP_2)
	v_cmpx_gt_u32_e64 s22, v5
	s_cbranch_execz .LBB867_15
; %bb.14:
	global_load_b32 v5, v[2:3], off offset:768
	s_wait_loadcnt 0x0
	v_xor_b32_e32 v24, 0x7fffffff, v5
.LBB867_15:
	s_or_b32 exec_lo, exec_lo, s2
	v_add_nc_u32_e32 v5, 0xe0, v4
	s_mov_b32 s2, exec_lo
	s_delay_alu instid0(VALU_DEP_1)
	v_cmpx_gt_u32_e64 s22, v5
	s_cbranch_execz .LBB867_17
; %bb.16:
	global_load_b32 v5, v[2:3], off offset:896
	s_wait_loadcnt 0x0
	v_xor_b32_e32 v23, 0x7fffffff, v5
.LBB867_17:
	s_or_b32 exec_lo, exec_lo, s2
	v_dual_mov_b32 v26, -1 :: v_dual_add_nc_u32 v5, 0x100, v4
	v_mov_b32_e32 v25, -1
	s_mov_b32 s2, exec_lo
	s_delay_alu instid0(VALU_DEP_2)
	v_cmpx_gt_u32_e64 s22, v5
	s_cbranch_execz .LBB867_19
; %bb.18:
	global_load_b32 v5, v[2:3], off offset:1024
	s_wait_loadcnt 0x0
	v_xor_b32_e32 v26, 0x7fffffff, v5
.LBB867_19:
	s_or_b32 exec_lo, exec_lo, s2
	v_add_nc_u32_e32 v5, 0x120, v4
	s_mov_b32 s2, exec_lo
	s_delay_alu instid0(VALU_DEP_1)
	v_cmpx_gt_u32_e64 s22, v5
	s_cbranch_execz .LBB867_21
; %bb.20:
	global_load_b32 v5, v[2:3], off offset:1152
	s_wait_loadcnt 0x0
	v_xor_b32_e32 v25, 0x7fffffff, v5
.LBB867_21:
	s_or_b32 exec_lo, exec_lo, s2
	v_dual_mov_b32 v28, -1 :: v_dual_add_nc_u32 v5, 0x140, v4
	v_mov_b32_e32 v29, -1
	s_mov_b32 s2, exec_lo
	s_delay_alu instid0(VALU_DEP_2)
	v_cmpx_gt_u32_e64 s22, v5
	s_cbranch_execz .LBB867_23
; %bb.22:
	global_load_b32 v5, v[2:3], off offset:1280
	s_wait_loadcnt 0x0
	v_xor_b32_e32 v29, 0x7fffffff, v5
.LBB867_23:
	s_or_b32 exec_lo, exec_lo, s2
	v_add_nc_u32_e32 v4, 0x160, v4
	v_and_b32_e32 v27, 0x3ff, v0
	s_mov_b32 s2, exec_lo
	s_delay_alu instid0(VALU_DEP_2)
	v_cmpx_gt_u32_e64 s22, v4
	s_cbranch_execz .LBB867_25
; %bb.24:
	global_load_b32 v2, v[2:3], off offset:1408
	s_wait_loadcnt 0x0
	v_xor_b32_e32 v28, 0x7fffffff, v2
.LBB867_25:
	s_or_b32 exec_lo, exec_lo, s2
	s_clause 0x1
	s_load_b32 s23, s[0:1], 0x58
	s_load_u16 s4, s[0:1], 0x66
	v_bfe_u32 v2, v0, 10, 10
	v_bfe_u32 v3, v0, 20, 10
	v_lshrrev_b32_e32 v4, s20, v18
	s_mov_b32 s3, 0
	s_wait_kmcnt 0x0
	s_cmp_lt_u32 s9, s23
	v_mad_u32_u24 v2, v3, s4, v2
	s_cselect_b32 s2, 12, 18
	s_lshl_b32 s25, -1, s21
	s_add_nc_u64 s[2:3], s[26:27], s[2:3]
	v_bitop3_b32 v3, v4, 1, s25 bitop3:0x40
	v_bitop3_b32 v4, v4, s25, v4 bitop3:0x30
	s_load_u16 s28, s[2:3], 0x0
	s_wait_xcnt 0x0
	s_delay_alu instid0(VALU_DEP_2) | instskip(NEXT) | instid1(VALU_DEP_1)
	v_add_co_u32 v3, s2, v3, -1
	v_cndmask_b32_e64 v5, 0, 1, s2
	v_dual_lshlrev_b32 v6, 30, v4 :: v_dual_lshlrev_b32 v7, 29, v4
	v_dual_lshlrev_b32 v8, 28, v4 :: v_dual_lshlrev_b32 v9, 27, v4
	s_delay_alu instid0(VALU_DEP_3) | instskip(NEXT) | instid1(VALU_DEP_3)
	v_cmp_ne_u32_e32 vcc_lo, 0, v5
	v_not_b32_e32 v5, v6
	v_dual_lshlrev_b32 v10, 26, v4 :: v_dual_lshlrev_b32 v11, 25, v4
	v_cmp_gt_i32_e64 s2, 0, v6
	v_cmp_gt_i32_e64 s3, 0, v7
	v_not_b32_e32 v6, v7
	v_cmp_gt_i32_e64 s4, 0, v8
	v_not_b32_e32 v7, v8
	v_not_b32_e32 v8, v9
	v_dual_ashrrev_i32 v5, 31, v5 :: v_dual_lshlrev_b32 v12, 24, v4
	v_xor_b32_e32 v3, vcc_lo, v3
	v_cmp_gt_i32_e64 s5, 0, v9
	v_not_b32_e32 v9, v10
	v_dual_ashrrev_i32 v6, 31, v6 :: v_dual_ashrrev_i32 v7, 31, v7
	v_dual_ashrrev_i32 v8, 31, v8 :: v_dual_bitop2_b32 v5, s2, v5 bitop3:0x14
	v_cmp_gt_i32_e64 s6, 0, v10
	v_cmp_gt_i32_e64 s7, 0, v11
	v_not_b32_e32 v10, v11
	v_not_b32_e32 v11, v12
	v_dual_ashrrev_i32 v9, 31, v9 :: v_dual_bitop2_b32 v6, s3, v6 bitop3:0x14
	s_wait_kmcnt 0x0
	v_mad_u32 v2, v2, s28, v27
	v_xor_b32_e32 v7, s4, v7
	v_bitop3_b32 v3, v3, v5, exec_lo bitop3:0x80
	v_cmp_gt_i32_e64 s8, 0, v12
	v_dual_ashrrev_i32 v5, 31, v10 :: v_dual_ashrrev_i32 v10, 31, v11
	v_xor_b32_e32 v8, s5, v8
	v_xor_b32_e32 v9, s6, v9
	v_bitop3_b32 v3, v3, v7, v6 bitop3:0x80
	s_delay_alu instid0(VALU_DEP_4) | instskip(SKIP_2) | instid1(VALU_DEP_4)
	v_dual_mov_b32 v6, 0 :: v_dual_bitop2_b32 v5, s7, v5 bitop3:0x14
	v_lshrrev_b32_e32 v2, 5, v2
	v_xor_b32_e32 v7, s8, v10
	v_bitop3_b32 v3, v3, v9, v8 bitop3:0x80
	v_mul_u32_u24_e32 v12, 36, v27
	s_not_b32 s6, s25
	v_lshlrev_b32_e32 v2, 2, v2
	ds_store_2addr_b32 v12, v6, v6 offset0:16 offset1:17
	ds_store_2addr_b32 v12, v6, v6 offset0:18 offset1:19
	ds_store_2addr_b32 v12, v6, v6 offset0:20 offset1:21
	ds_store_2addr_b32 v12, v6, v6 offset0:22 offset1:23
	v_bitop3_b32 v3, v3, v7, v5 bitop3:0x80
	v_mad_u32 v13, 0x44, v4, v2
	ds_store_b32 v12, v6 offset:96
	s_wait_dscnt 0x0
	s_barrier_signal -1
	v_mbcnt_lo_u32_b32 v7, v3, 0
	v_cmp_ne_u32_e64 s2, 0, v3
	s_barrier_wait -1
	s_delay_alu instid0(VALU_DEP_2) | instskip(SKIP_1) | instid1(SALU_CYCLE_1)
	v_cmp_eq_u32_e32 vcc_lo, 0, v7
	; wave barrier
	s_and_b32 s3, s2, vcc_lo
	s_and_saveexec_b32 s2, s3
; %bb.26:
	v_bcnt_u32_b32 v3, v3, 0
	ds_store_b32 v13, v3 offset:64
; %bb.27:
	s_or_b32 exec_lo, exec_lo, s2
	v_lshrrev_b32_e32 v3, s20, v1
	; wave barrier
	s_delay_alu instid0(VALU_DEP_1) | instskip(NEXT) | instid1(VALU_DEP_1)
	v_and_b32_e32 v4, s6, v3
	v_lshlrev_b32_e32 v6, 30, v4
	v_bitop3_b32 v3, v3, 1, s6 bitop3:0x80
	s_delay_alu instid0(VALU_DEP_1) | instskip(NEXT) | instid1(VALU_DEP_1)
	v_add_co_u32 v3, s2, v3, -1
	v_cndmask_b32_e64 v5, 0, 1, s2
	s_delay_alu instid0(VALU_DEP_4) | instskip(NEXT) | instid1(VALU_DEP_2)
	v_cmp_gt_i32_e64 s2, 0, v6
	v_cmp_ne_u32_e32 vcc_lo, 0, v5
	v_not_b32_e32 v5, v6
	s_delay_alu instid0(VALU_DEP_1) | instskip(SKIP_3) | instid1(VALU_DEP_4)
	v_dual_ashrrev_i32 v5, 31, v5 :: v_dual_lshlrev_b32 v8, 29, v4
	v_dual_lshlrev_b32 v9, 28, v4 :: v_dual_lshlrev_b32 v10, 27, v4
	v_lshlrev_b32_e32 v11, 26, v4
	v_mad_u32 v14, 0x44, v4, v2
	v_cmp_gt_i32_e64 s3, 0, v8
	v_not_b32_e32 v6, v8
	v_not_b32_e32 v8, v9
	v_cmp_gt_i32_e64 s4, 0, v9
	v_xor_b32_e32 v3, vcc_lo, v3
	s_delay_alu instid0(VALU_DEP_4) | instskip(NEXT) | instid1(VALU_DEP_4)
	v_dual_ashrrev_i32 v6, 31, v6 :: v_dual_bitop2_b32 v5, s2, v5 bitop3:0x14
	v_ashrrev_i32_e32 v8, 31, v8
	v_dual_lshlrev_b32 v15, 25, v4 :: v_dual_lshlrev_b32 v4, 24, v4
	v_not_b32_e32 v9, v10
	v_not_b32_e32 v30, v11
	v_xor_b32_e32 v6, s3, v6
	v_xor_b32_e32 v8, s4, v8
	v_bitop3_b32 v3, v3, v5, exec_lo bitop3:0x80
	v_cmp_gt_i32_e32 vcc_lo, 0, v10
	v_ashrrev_i32_e32 v5, 31, v9
	v_cmp_gt_i32_e64 s2, 0, v11
	v_ashrrev_i32_e32 v9, 31, v30
	v_bitop3_b32 v3, v3, v8, v6 bitop3:0x80
	v_not_b32_e32 v6, v15
	v_not_b32_e32 v8, v4
	v_xor_b32_e32 v5, vcc_lo, v5
	v_xor_b32_e32 v9, s2, v9
	v_cmp_gt_i32_e32 vcc_lo, 0, v15
	v_ashrrev_i32_e32 v6, 31, v6
	v_cmp_gt_i32_e64 s2, 0, v4
	v_ashrrev_i32_e32 v4, 31, v8
	v_bitop3_b32 v3, v3, v9, v5 bitop3:0x80
	ds_load_b32 v30, v14 offset:64
	v_xor_b32_e32 v5, vcc_lo, v6
	v_xor_b32_e32 v4, s2, v4
	; wave barrier
	s_delay_alu instid0(VALU_DEP_1) | instskip(NEXT) | instid1(VALU_DEP_1)
	v_bitop3_b32 v3, v3, v4, v5 bitop3:0x80
	v_mbcnt_lo_u32_b32 v31, v3, 0
	v_cmp_ne_u32_e64 s2, 0, v3
	s_delay_alu instid0(VALU_DEP_2) | instskip(SKIP_1) | instid1(SALU_CYCLE_1)
	v_cmp_eq_u32_e32 vcc_lo, 0, v31
	s_and_b32 s3, s2, vcc_lo
	s_and_saveexec_b32 s2, s3
	s_cbranch_execz .LBB867_29
; %bb.28:
	s_wait_dscnt 0x0
	v_bcnt_u32_b32 v3, v3, v30
	ds_store_b32 v14, v3 offset:64
.LBB867_29:
	s_or_b32 exec_lo, exec_lo, s2
	v_lshrrev_b32_e32 v3, s20, v20
	; wave barrier
	s_delay_alu instid0(VALU_DEP_1) | instskip(SKIP_1) | instid1(VALU_DEP_2)
	v_and_b32_e32 v4, s6, v3
	v_bitop3_b32 v3, v3, 1, s6 bitop3:0x80
	v_dual_lshlrev_b32 v6, 30, v4 :: v_dual_lshlrev_b32 v8, 29, v4
	s_delay_alu instid0(VALU_DEP_2) | instskip(NEXT) | instid1(VALU_DEP_1)
	v_add_co_u32 v3, s2, v3, -1
	v_cndmask_b32_e64 v5, 0, 1, s2
	s_delay_alu instid0(VALU_DEP_3) | instskip(NEXT) | instid1(VALU_DEP_4)
	v_cmp_gt_i32_e64 s2, 0, v6
	v_cmp_gt_i32_e64 s3, 0, v8
	s_delay_alu instid0(VALU_DEP_3) | instskip(SKIP_2) | instid1(VALU_DEP_2)
	v_cmp_ne_u32_e32 vcc_lo, 0, v5
	v_not_b32_e32 v5, v6
	v_not_b32_e32 v6, v8
	v_dual_ashrrev_i32 v5, 31, v5 :: v_dual_bitop2_b32 v3, vcc_lo, v3 bitop3:0x14
	s_delay_alu instid0(VALU_DEP_2) | instskip(SKIP_3) | instid1(VALU_DEP_4)
	v_dual_ashrrev_i32 v6, 31, v6 :: v_dual_lshlrev_b32 v9, 28, v4
	v_lshlrev_b32_e32 v10, 27, v4
	v_mad_u32 v15, 0x44, v4, v2
	v_dual_lshlrev_b32 v11, 26, v4 :: v_dual_lshlrev_b32 v32, 25, v4
	v_not_b32_e32 v8, v9
	v_lshlrev_b32_e32 v4, 24, v4
	v_cmp_gt_i32_e64 s4, 0, v9
	v_xor_b32_e32 v5, s2, v5
	v_not_b32_e32 v9, v10
	v_ashrrev_i32_e32 v8, 31, v8
	v_not_b32_e32 v33, v11
	v_xor_b32_e32 v6, s3, v6
	v_bitop3_b32 v3, v3, v5, exec_lo bitop3:0x80
	v_cmp_gt_i32_e32 vcc_lo, 0, v10
	v_dual_ashrrev_i32 v5, 31, v9 :: v_dual_bitop2_b32 v8, s4, v8 bitop3:0x14
	v_cmp_gt_i32_e64 s2, 0, v11
	v_ashrrev_i32_e32 v9, 31, v33
	s_delay_alu instid0(VALU_DEP_3)
	v_bitop3_b32 v3, v3, v8, v6 bitop3:0x80
	v_not_b32_e32 v6, v32
	v_not_b32_e32 v8, v4
	v_xor_b32_e32 v5, vcc_lo, v5
	v_xor_b32_e32 v9, s2, v9
	v_cmp_gt_i32_e32 vcc_lo, 0, v32
	v_ashrrev_i32_e32 v6, 31, v6
	v_cmp_gt_i32_e64 s2, 0, v4
	v_ashrrev_i32_e32 v4, 31, v8
	v_bitop3_b32 v3, v3, v9, v5 bitop3:0x80
	ds_load_b32 v32, v15 offset:64
	v_xor_b32_e32 v5, vcc_lo, v6
	v_xor_b32_e32 v4, s2, v4
	; wave barrier
	s_delay_alu instid0(VALU_DEP_1) | instskip(NEXT) | instid1(VALU_DEP_1)
	v_bitop3_b32 v3, v3, v4, v5 bitop3:0x80
	v_mbcnt_lo_u32_b32 v33, v3, 0
	v_cmp_ne_u32_e64 s2, 0, v3
	s_delay_alu instid0(VALU_DEP_2) | instskip(SKIP_1) | instid1(SALU_CYCLE_1)
	v_cmp_eq_u32_e32 vcc_lo, 0, v33
	s_and_b32 s3, s2, vcc_lo
	s_and_saveexec_b32 s2, s3
	s_cbranch_execz .LBB867_31
; %bb.30:
	s_wait_dscnt 0x0
	v_bcnt_u32_b32 v3, v3, v32
	ds_store_b32 v15, v3 offset:64
.LBB867_31:
	s_or_b32 exec_lo, exec_lo, s2
	v_lshrrev_b32_e32 v3, s20, v19
	; wave barrier
	s_delay_alu instid0(VALU_DEP_1) | instskip(NEXT) | instid1(VALU_DEP_1)
	v_and_b32_e32 v4, s6, v3
	v_lshlrev_b32_e32 v6, 30, v4
	v_bitop3_b32 v3, v3, 1, s6 bitop3:0x80
	s_delay_alu instid0(VALU_DEP_1) | instskip(NEXT) | instid1(VALU_DEP_1)
	v_add_co_u32 v3, s2, v3, -1
	v_cndmask_b32_e64 v5, 0, 1, s2
	s_delay_alu instid0(VALU_DEP_4) | instskip(NEXT) | instid1(VALU_DEP_2)
	v_cmp_gt_i32_e64 s2, 0, v6
	v_cmp_ne_u32_e32 vcc_lo, 0, v5
	v_not_b32_e32 v5, v6
	s_delay_alu instid0(VALU_DEP_1) | instskip(SKIP_3) | instid1(VALU_DEP_4)
	v_dual_ashrrev_i32 v5, 31, v5 :: v_dual_lshlrev_b32 v8, 29, v4
	v_dual_lshlrev_b32 v9, 28, v4 :: v_dual_lshlrev_b32 v10, 27, v4
	v_lshlrev_b32_e32 v11, 26, v4
	v_mad_u32 v38, 0x44, v4, v2
	v_cmp_gt_i32_e64 s3, 0, v8
	v_not_b32_e32 v6, v8
	v_not_b32_e32 v8, v9
	v_cmp_gt_i32_e64 s4, 0, v9
	v_xor_b32_e32 v3, vcc_lo, v3
	s_delay_alu instid0(VALU_DEP_4) | instskip(NEXT) | instid1(VALU_DEP_4)
	v_dual_ashrrev_i32 v6, 31, v6 :: v_dual_bitop2_b32 v5, s2, v5 bitop3:0x14
	v_ashrrev_i32_e32 v8, 31, v8
	v_dual_lshlrev_b32 v34, 25, v4 :: v_dual_lshlrev_b32 v4, 24, v4
	v_not_b32_e32 v9, v10
	v_not_b32_e32 v35, v11
	v_xor_b32_e32 v6, s3, v6
	v_xor_b32_e32 v8, s4, v8
	v_bitop3_b32 v3, v3, v5, exec_lo bitop3:0x80
	v_cmp_gt_i32_e32 vcc_lo, 0, v10
	v_ashrrev_i32_e32 v5, 31, v9
	v_cmp_gt_i32_e64 s2, 0, v11
	v_ashrrev_i32_e32 v9, 31, v35
	v_bitop3_b32 v3, v3, v8, v6 bitop3:0x80
	v_not_b32_e32 v6, v34
	v_not_b32_e32 v8, v4
	v_xor_b32_e32 v5, vcc_lo, v5
	v_xor_b32_e32 v9, s2, v9
	v_cmp_gt_i32_e32 vcc_lo, 0, v34
	v_ashrrev_i32_e32 v6, 31, v6
	v_cmp_gt_i32_e64 s2, 0, v4
	v_ashrrev_i32_e32 v4, 31, v8
	v_bitop3_b32 v3, v3, v9, v5 bitop3:0x80
	ds_load_b32 v34, v38 offset:64
	v_xor_b32_e32 v5, vcc_lo, v6
	v_xor_b32_e32 v4, s2, v4
	; wave barrier
	s_delay_alu instid0(VALU_DEP_1) | instskip(NEXT) | instid1(VALU_DEP_1)
	v_bitop3_b32 v3, v3, v4, v5 bitop3:0x80
	v_mbcnt_lo_u32_b32 v35, v3, 0
	v_cmp_ne_u32_e64 s2, 0, v3
	s_delay_alu instid0(VALU_DEP_2) | instskip(SKIP_1) | instid1(SALU_CYCLE_1)
	v_cmp_eq_u32_e32 vcc_lo, 0, v35
	s_and_b32 s3, s2, vcc_lo
	s_and_saveexec_b32 s2, s3
	s_cbranch_execz .LBB867_33
; %bb.32:
	s_wait_dscnt 0x0
	v_bcnt_u32_b32 v3, v3, v34
	ds_store_b32 v38, v3 offset:64
.LBB867_33:
	s_or_b32 exec_lo, exec_lo, s2
	v_lshrrev_b32_e32 v3, s20, v22
	; wave barrier
	s_delay_alu instid0(VALU_DEP_1) | instskip(NEXT) | instid1(VALU_DEP_1)
	v_and_b32_e32 v4, s6, v3
	v_lshlrev_b32_e32 v6, 30, v4
	v_bitop3_b32 v3, v3, 1, s6 bitop3:0x80
	s_delay_alu instid0(VALU_DEP_1) | instskip(NEXT) | instid1(VALU_DEP_1)
	v_add_co_u32 v3, s2, v3, -1
	v_cndmask_b32_e64 v5, 0, 1, s2
	s_delay_alu instid0(VALU_DEP_4) | instskip(NEXT) | instid1(VALU_DEP_2)
	v_cmp_gt_i32_e64 s2, 0, v6
	v_cmp_ne_u32_e32 vcc_lo, 0, v5
	v_not_b32_e32 v5, v6
	s_delay_alu instid0(VALU_DEP_1) | instskip(SKIP_3) | instid1(VALU_DEP_4)
	v_dual_ashrrev_i32 v5, 31, v5 :: v_dual_lshlrev_b32 v8, 29, v4
	v_dual_lshlrev_b32 v9, 28, v4 :: v_dual_lshlrev_b32 v10, 27, v4
	v_lshlrev_b32_e32 v11, 26, v4
	v_mad_u32 v41, 0x44, v4, v2
	v_cmp_gt_i32_e64 s3, 0, v8
	v_not_b32_e32 v6, v8
	v_not_b32_e32 v8, v9
	v_cmp_gt_i32_e64 s4, 0, v9
	v_xor_b32_e32 v3, vcc_lo, v3
	s_delay_alu instid0(VALU_DEP_4) | instskip(NEXT) | instid1(VALU_DEP_4)
	v_dual_ashrrev_i32 v6, 31, v6 :: v_dual_bitop2_b32 v5, s2, v5 bitop3:0x14
	v_ashrrev_i32_e32 v8, 31, v8
	v_dual_lshlrev_b32 v36, 25, v4 :: v_dual_lshlrev_b32 v4, 24, v4
	v_not_b32_e32 v9, v10
	v_not_b32_e32 v37, v11
	v_xor_b32_e32 v6, s3, v6
	v_xor_b32_e32 v8, s4, v8
	v_bitop3_b32 v3, v3, v5, exec_lo bitop3:0x80
	v_cmp_gt_i32_e32 vcc_lo, 0, v10
	v_ashrrev_i32_e32 v5, 31, v9
	v_cmp_gt_i32_e64 s2, 0, v11
	v_ashrrev_i32_e32 v9, 31, v37
	v_bitop3_b32 v3, v3, v8, v6 bitop3:0x80
	v_not_b32_e32 v6, v36
	v_not_b32_e32 v8, v4
	v_xor_b32_e32 v5, vcc_lo, v5
	v_xor_b32_e32 v9, s2, v9
	v_cmp_gt_i32_e32 vcc_lo, 0, v36
	v_ashrrev_i32_e32 v6, 31, v6
	v_cmp_gt_i32_e64 s2, 0, v4
	v_ashrrev_i32_e32 v4, 31, v8
	v_bitop3_b32 v3, v3, v9, v5 bitop3:0x80
	ds_load_b32 v36, v41 offset:64
	v_xor_b32_e32 v5, vcc_lo, v6
	v_xor_b32_e32 v4, s2, v4
	; wave barrier
	s_delay_alu instid0(VALU_DEP_1) | instskip(NEXT) | instid1(VALU_DEP_1)
	v_bitop3_b32 v3, v3, v4, v5 bitop3:0x80
	v_mbcnt_lo_u32_b32 v37, v3, 0
	v_cmp_ne_u32_e64 s2, 0, v3
	s_delay_alu instid0(VALU_DEP_2) | instskip(SKIP_1) | instid1(SALU_CYCLE_1)
	v_cmp_eq_u32_e32 vcc_lo, 0, v37
	s_and_b32 s3, s2, vcc_lo
	s_and_saveexec_b32 s2, s3
	s_cbranch_execz .LBB867_35
; %bb.34:
	s_wait_dscnt 0x0
	v_bcnt_u32_b32 v3, v3, v36
	ds_store_b32 v41, v3 offset:64
.LBB867_35:
	s_or_b32 exec_lo, exec_lo, s2
	v_lshrrev_b32_e32 v3, s20, v21
	; wave barrier
	s_delay_alu instid0(VALU_DEP_1) | instskip(NEXT) | instid1(VALU_DEP_1)
	v_and_b32_e32 v4, s6, v3
	v_lshlrev_b32_e32 v6, 30, v4
	v_bitop3_b32 v3, v3, 1, s6 bitop3:0x80
	s_delay_alu instid0(VALU_DEP_1) | instskip(NEXT) | instid1(VALU_DEP_1)
	v_add_co_u32 v3, s2, v3, -1
	v_cndmask_b32_e64 v5, 0, 1, s2
	s_delay_alu instid0(VALU_DEP_4) | instskip(NEXT) | instid1(VALU_DEP_2)
	v_cmp_gt_i32_e64 s2, 0, v6
	v_cmp_ne_u32_e32 vcc_lo, 0, v5
	v_not_b32_e32 v5, v6
	s_delay_alu instid0(VALU_DEP_1) | instskip(SKIP_3) | instid1(VALU_DEP_4)
	v_dual_ashrrev_i32 v5, 31, v5 :: v_dual_lshlrev_b32 v8, 29, v4
	v_dual_lshlrev_b32 v9, 28, v4 :: v_dual_lshlrev_b32 v10, 27, v4
	v_lshlrev_b32_e32 v11, 26, v4
	v_mad_u32 v44, 0x44, v4, v2
	v_cmp_gt_i32_e64 s3, 0, v8
	v_not_b32_e32 v6, v8
	v_not_b32_e32 v8, v9
	v_cmp_gt_i32_e64 s4, 0, v9
	v_xor_b32_e32 v3, vcc_lo, v3
	s_delay_alu instid0(VALU_DEP_4) | instskip(NEXT) | instid1(VALU_DEP_4)
	v_dual_ashrrev_i32 v6, 31, v6 :: v_dual_bitop2_b32 v5, s2, v5 bitop3:0x14
	v_ashrrev_i32_e32 v8, 31, v8
	v_dual_lshlrev_b32 v39, 25, v4 :: v_dual_lshlrev_b32 v4, 24, v4
	v_not_b32_e32 v9, v10
	v_not_b32_e32 v40, v11
	v_xor_b32_e32 v6, s3, v6
	v_xor_b32_e32 v8, s4, v8
	v_bitop3_b32 v3, v3, v5, exec_lo bitop3:0x80
	v_cmp_gt_i32_e32 vcc_lo, 0, v10
	v_ashrrev_i32_e32 v5, 31, v9
	v_cmp_gt_i32_e64 s2, 0, v11
	v_ashrrev_i32_e32 v9, 31, v40
	v_bitop3_b32 v3, v3, v8, v6 bitop3:0x80
	v_not_b32_e32 v6, v39
	v_not_b32_e32 v8, v4
	v_xor_b32_e32 v5, vcc_lo, v5
	v_xor_b32_e32 v9, s2, v9
	v_cmp_gt_i32_e32 vcc_lo, 0, v39
	v_ashrrev_i32_e32 v6, 31, v6
	v_cmp_gt_i32_e64 s2, 0, v4
	v_ashrrev_i32_e32 v4, 31, v8
	v_bitop3_b32 v3, v3, v9, v5 bitop3:0x80
	ds_load_b32 v39, v44 offset:64
	v_xor_b32_e32 v5, vcc_lo, v6
	v_xor_b32_e32 v4, s2, v4
	; wave barrier
	s_delay_alu instid0(VALU_DEP_1) | instskip(NEXT) | instid1(VALU_DEP_1)
	v_bitop3_b32 v3, v3, v4, v5 bitop3:0x80
	v_mbcnt_lo_u32_b32 v40, v3, 0
	v_cmp_ne_u32_e64 s2, 0, v3
	s_delay_alu instid0(VALU_DEP_2) | instskip(SKIP_1) | instid1(SALU_CYCLE_1)
	v_cmp_eq_u32_e32 vcc_lo, 0, v40
	s_and_b32 s3, s2, vcc_lo
	s_and_saveexec_b32 s2, s3
	s_cbranch_execz .LBB867_37
; %bb.36:
	s_wait_dscnt 0x0
	v_bcnt_u32_b32 v3, v3, v39
	ds_store_b32 v44, v3 offset:64
.LBB867_37:
	s_or_b32 exec_lo, exec_lo, s2
	v_lshrrev_b32_e32 v3, s20, v24
	; wave barrier
	s_delay_alu instid0(VALU_DEP_1) | instskip(SKIP_1) | instid1(VALU_DEP_2)
	v_and_b32_e32 v4, s6, v3
	v_bitop3_b32 v3, v3, 1, s6 bitop3:0x80
	v_dual_lshlrev_b32 v6, 30, v4 :: v_dual_lshlrev_b32 v8, 29, v4
	s_delay_alu instid0(VALU_DEP_2) | instskip(NEXT) | instid1(VALU_DEP_1)
	v_add_co_u32 v3, s2, v3, -1
	v_cndmask_b32_e64 v5, 0, 1, s2
	s_delay_alu instid0(VALU_DEP_3) | instskip(NEXT) | instid1(VALU_DEP_4)
	v_cmp_gt_i32_e64 s2, 0, v6
	v_cmp_gt_i32_e64 s3, 0, v8
	s_delay_alu instid0(VALU_DEP_3) | instskip(SKIP_2) | instid1(VALU_DEP_2)
	v_cmp_ne_u32_e32 vcc_lo, 0, v5
	v_not_b32_e32 v5, v6
	v_not_b32_e32 v6, v8
	v_dual_ashrrev_i32 v5, 31, v5 :: v_dual_bitop2_b32 v3, vcc_lo, v3 bitop3:0x14
	s_delay_alu instid0(VALU_DEP_2) | instskip(SKIP_3) | instid1(VALU_DEP_4)
	v_dual_ashrrev_i32 v6, 31, v6 :: v_dual_lshlrev_b32 v9, 28, v4
	v_lshlrev_b32_e32 v10, 27, v4
	v_mad_u32 v47, 0x44, v4, v2
	v_dual_lshlrev_b32 v11, 26, v4 :: v_dual_lshlrev_b32 v42, 25, v4
	v_not_b32_e32 v8, v9
	v_lshlrev_b32_e32 v4, 24, v4
	v_cmp_gt_i32_e64 s4, 0, v9
	v_xor_b32_e32 v5, s2, v5
	v_not_b32_e32 v9, v10
	v_ashrrev_i32_e32 v8, 31, v8
	v_not_b32_e32 v43, v11
	v_xor_b32_e32 v6, s3, v6
	v_bitop3_b32 v3, v3, v5, exec_lo bitop3:0x80
	v_cmp_gt_i32_e32 vcc_lo, 0, v10
	v_dual_ashrrev_i32 v5, 31, v9 :: v_dual_bitop2_b32 v8, s4, v8 bitop3:0x14
	v_cmp_gt_i32_e64 s2, 0, v11
	v_ashrrev_i32_e32 v9, 31, v43
	s_delay_alu instid0(VALU_DEP_3)
	v_bitop3_b32 v3, v3, v8, v6 bitop3:0x80
	v_not_b32_e32 v6, v42
	v_not_b32_e32 v8, v4
	v_xor_b32_e32 v5, vcc_lo, v5
	v_xor_b32_e32 v9, s2, v9
	v_cmp_gt_i32_e32 vcc_lo, 0, v42
	v_ashrrev_i32_e32 v6, 31, v6
	v_cmp_gt_i32_e64 s2, 0, v4
	v_ashrrev_i32_e32 v4, 31, v8
	v_bitop3_b32 v3, v3, v9, v5 bitop3:0x80
	ds_load_b32 v42, v47 offset:64
	v_xor_b32_e32 v5, vcc_lo, v6
	v_xor_b32_e32 v4, s2, v4
	; wave barrier
	s_delay_alu instid0(VALU_DEP_1) | instskip(NEXT) | instid1(VALU_DEP_1)
	v_bitop3_b32 v3, v3, v4, v5 bitop3:0x80
	v_mbcnt_lo_u32_b32 v43, v3, 0
	v_cmp_ne_u32_e64 s2, 0, v3
	s_delay_alu instid0(VALU_DEP_2) | instskip(SKIP_1) | instid1(SALU_CYCLE_1)
	v_cmp_eq_u32_e32 vcc_lo, 0, v43
	s_and_b32 s3, s2, vcc_lo
	s_and_saveexec_b32 s2, s3
	s_cbranch_execz .LBB867_39
; %bb.38:
	s_wait_dscnt 0x0
	v_bcnt_u32_b32 v3, v3, v42
	ds_store_b32 v47, v3 offset:64
.LBB867_39:
	s_or_b32 exec_lo, exec_lo, s2
	v_lshrrev_b32_e32 v3, s20, v23
	; wave barrier
	s_delay_alu instid0(VALU_DEP_1) | instskip(NEXT) | instid1(VALU_DEP_1)
	v_and_b32_e32 v4, s6, v3
	v_lshlrev_b32_e32 v6, 30, v4
	v_bitop3_b32 v3, v3, 1, s6 bitop3:0x80
	s_delay_alu instid0(VALU_DEP_1) | instskip(NEXT) | instid1(VALU_DEP_1)
	v_add_co_u32 v3, s2, v3, -1
	v_cndmask_b32_e64 v5, 0, 1, s2
	s_delay_alu instid0(VALU_DEP_4) | instskip(NEXT) | instid1(VALU_DEP_2)
	v_cmp_gt_i32_e64 s2, 0, v6
	v_cmp_ne_u32_e32 vcc_lo, 0, v5
	v_not_b32_e32 v5, v6
	s_delay_alu instid0(VALU_DEP_1) | instskip(SKIP_3) | instid1(VALU_DEP_4)
	v_dual_ashrrev_i32 v5, 31, v5 :: v_dual_lshlrev_b32 v8, 29, v4
	v_dual_lshlrev_b32 v9, 28, v4 :: v_dual_lshlrev_b32 v10, 27, v4
	v_lshlrev_b32_e32 v11, 26, v4
	v_mad_u32 v50, 0x44, v4, v2
	v_cmp_gt_i32_e64 s3, 0, v8
	v_not_b32_e32 v6, v8
	v_not_b32_e32 v8, v9
	v_cmp_gt_i32_e64 s4, 0, v9
	v_xor_b32_e32 v3, vcc_lo, v3
	s_delay_alu instid0(VALU_DEP_4) | instskip(NEXT) | instid1(VALU_DEP_4)
	v_dual_ashrrev_i32 v6, 31, v6 :: v_dual_bitop2_b32 v5, s2, v5 bitop3:0x14
	v_ashrrev_i32_e32 v8, 31, v8
	v_dual_lshlrev_b32 v45, 25, v4 :: v_dual_lshlrev_b32 v4, 24, v4
	v_not_b32_e32 v9, v10
	v_not_b32_e32 v46, v11
	v_xor_b32_e32 v6, s3, v6
	v_xor_b32_e32 v8, s4, v8
	v_bitop3_b32 v3, v3, v5, exec_lo bitop3:0x80
	v_cmp_gt_i32_e32 vcc_lo, 0, v10
	v_ashrrev_i32_e32 v5, 31, v9
	v_cmp_gt_i32_e64 s2, 0, v11
	v_ashrrev_i32_e32 v9, 31, v46
	v_bitop3_b32 v3, v3, v8, v6 bitop3:0x80
	v_not_b32_e32 v6, v45
	v_not_b32_e32 v8, v4
	v_xor_b32_e32 v5, vcc_lo, v5
	v_xor_b32_e32 v9, s2, v9
	v_cmp_gt_i32_e32 vcc_lo, 0, v45
	v_ashrrev_i32_e32 v6, 31, v6
	v_cmp_gt_i32_e64 s2, 0, v4
	v_ashrrev_i32_e32 v4, 31, v8
	v_bitop3_b32 v3, v3, v9, v5 bitop3:0x80
	ds_load_b32 v45, v50 offset:64
	v_xor_b32_e32 v5, vcc_lo, v6
	v_xor_b32_e32 v4, s2, v4
	; wave barrier
	s_delay_alu instid0(VALU_DEP_1) | instskip(NEXT) | instid1(VALU_DEP_1)
	v_bitop3_b32 v3, v3, v4, v5 bitop3:0x80
	v_mbcnt_lo_u32_b32 v46, v3, 0
	v_cmp_ne_u32_e64 s2, 0, v3
	s_delay_alu instid0(VALU_DEP_2) | instskip(SKIP_1) | instid1(SALU_CYCLE_1)
	v_cmp_eq_u32_e32 vcc_lo, 0, v46
	s_and_b32 s3, s2, vcc_lo
	s_and_saveexec_b32 s2, s3
	s_cbranch_execz .LBB867_41
; %bb.40:
	s_wait_dscnt 0x0
	v_bcnt_u32_b32 v3, v3, v45
	ds_store_b32 v50, v3 offset:64
.LBB867_41:
	s_or_b32 exec_lo, exec_lo, s2
	v_lshrrev_b32_e32 v3, s20, v26
	; wave barrier
	s_delay_alu instid0(VALU_DEP_1) | instskip(NEXT) | instid1(VALU_DEP_1)
	v_and_b32_e32 v4, s6, v3
	v_lshlrev_b32_e32 v6, 30, v4
	v_bitop3_b32 v3, v3, 1, s6 bitop3:0x80
	s_delay_alu instid0(VALU_DEP_1) | instskip(NEXT) | instid1(VALU_DEP_1)
	v_add_co_u32 v3, s2, v3, -1
	v_cndmask_b32_e64 v5, 0, 1, s2
	s_delay_alu instid0(VALU_DEP_4) | instskip(NEXT) | instid1(VALU_DEP_2)
	v_cmp_gt_i32_e64 s2, 0, v6
	v_cmp_ne_u32_e32 vcc_lo, 0, v5
	v_not_b32_e32 v5, v6
	s_delay_alu instid0(VALU_DEP_1) | instskip(SKIP_3) | instid1(VALU_DEP_4)
	v_dual_ashrrev_i32 v5, 31, v5 :: v_dual_lshlrev_b32 v8, 29, v4
	v_dual_lshlrev_b32 v9, 28, v4 :: v_dual_lshlrev_b32 v10, 27, v4
	v_lshlrev_b32_e32 v11, 26, v4
	v_mad_u32 v52, 0x44, v4, v2
	v_cmp_gt_i32_e64 s3, 0, v8
	v_not_b32_e32 v6, v8
	v_not_b32_e32 v8, v9
	v_cmp_gt_i32_e64 s4, 0, v9
	v_xor_b32_e32 v3, vcc_lo, v3
	s_delay_alu instid0(VALU_DEP_4) | instskip(NEXT) | instid1(VALU_DEP_4)
	v_dual_ashrrev_i32 v6, 31, v6 :: v_dual_bitop2_b32 v5, s2, v5 bitop3:0x14
	v_ashrrev_i32_e32 v8, 31, v8
	v_dual_lshlrev_b32 v48, 25, v4 :: v_dual_lshlrev_b32 v4, 24, v4
	v_not_b32_e32 v9, v10
	v_not_b32_e32 v49, v11
	v_xor_b32_e32 v6, s3, v6
	v_xor_b32_e32 v8, s4, v8
	v_bitop3_b32 v3, v3, v5, exec_lo bitop3:0x80
	v_cmp_gt_i32_e32 vcc_lo, 0, v10
	v_ashrrev_i32_e32 v5, 31, v9
	v_cmp_gt_i32_e64 s2, 0, v11
	v_ashrrev_i32_e32 v9, 31, v49
	v_bitop3_b32 v3, v3, v8, v6 bitop3:0x80
	v_not_b32_e32 v6, v48
	v_not_b32_e32 v8, v4
	v_xor_b32_e32 v5, vcc_lo, v5
	v_xor_b32_e32 v9, s2, v9
	v_cmp_gt_i32_e32 vcc_lo, 0, v48
	v_ashrrev_i32_e32 v6, 31, v6
	v_cmp_gt_i32_e64 s2, 0, v4
	v_ashrrev_i32_e32 v4, 31, v8
	v_bitop3_b32 v3, v3, v9, v5 bitop3:0x80
	ds_load_b32 v48, v52 offset:64
	v_xor_b32_e32 v5, vcc_lo, v6
	v_xor_b32_e32 v4, s2, v4
	; wave barrier
	s_delay_alu instid0(VALU_DEP_1) | instskip(NEXT) | instid1(VALU_DEP_1)
	v_bitop3_b32 v3, v3, v4, v5 bitop3:0x80
	v_mbcnt_lo_u32_b32 v49, v3, 0
	v_cmp_ne_u32_e64 s2, 0, v3
	s_delay_alu instid0(VALU_DEP_2) | instskip(SKIP_1) | instid1(SALU_CYCLE_1)
	v_cmp_eq_u32_e32 vcc_lo, 0, v49
	s_and_b32 s3, s2, vcc_lo
	s_and_saveexec_b32 s2, s3
	s_cbranch_execz .LBB867_43
; %bb.42:
	s_wait_dscnt 0x0
	v_bcnt_u32_b32 v3, v3, v48
	ds_store_b32 v52, v3 offset:64
.LBB867_43:
	s_or_b32 exec_lo, exec_lo, s2
	v_lshrrev_b32_e32 v3, s20, v25
	; wave barrier
	s_delay_alu instid0(VALU_DEP_1) | instskip(NEXT) | instid1(VALU_DEP_1)
	v_and_b32_e32 v4, s6, v3
	v_lshlrev_b32_e32 v6, 30, v4
	v_bitop3_b32 v3, v3, 1, s6 bitop3:0x80
	s_delay_alu instid0(VALU_DEP_1) | instskip(NEXT) | instid1(VALU_DEP_1)
	v_add_co_u32 v3, s2, v3, -1
	v_cndmask_b32_e64 v5, 0, 1, s2
	s_delay_alu instid0(VALU_DEP_4) | instskip(NEXT) | instid1(VALU_DEP_2)
	v_cmp_gt_i32_e64 s2, 0, v6
	v_cmp_ne_u32_e32 vcc_lo, 0, v5
	v_not_b32_e32 v5, v6
	s_delay_alu instid0(VALU_DEP_1) | instskip(SKIP_3) | instid1(VALU_DEP_4)
	v_dual_ashrrev_i32 v5, 31, v5 :: v_dual_lshlrev_b32 v8, 29, v4
	v_dual_lshlrev_b32 v9, 28, v4 :: v_dual_lshlrev_b32 v10, 27, v4
	v_lshlrev_b32_e32 v11, 26, v4
	v_mad_u32 v55, 0x44, v4, v2
	v_cmp_gt_i32_e64 s3, 0, v8
	v_not_b32_e32 v6, v8
	v_not_b32_e32 v8, v9
	v_cmp_gt_i32_e64 s4, 0, v9
	v_xor_b32_e32 v3, vcc_lo, v3
	s_delay_alu instid0(VALU_DEP_4) | instskip(NEXT) | instid1(VALU_DEP_4)
	v_dual_ashrrev_i32 v6, 31, v6 :: v_dual_bitop2_b32 v5, s2, v5 bitop3:0x14
	v_ashrrev_i32_e32 v8, 31, v8
	v_dual_lshlrev_b32 v51, 25, v4 :: v_dual_lshlrev_b32 v4, 24, v4
	v_not_b32_e32 v9, v10
	v_not_b32_e32 v53, v11
	v_xor_b32_e32 v6, s3, v6
	v_xor_b32_e32 v8, s4, v8
	v_bitop3_b32 v3, v3, v5, exec_lo bitop3:0x80
	v_cmp_gt_i32_e32 vcc_lo, 0, v10
	v_ashrrev_i32_e32 v5, 31, v9
	v_cmp_gt_i32_e64 s2, 0, v11
	v_ashrrev_i32_e32 v9, 31, v53
	v_bitop3_b32 v3, v3, v8, v6 bitop3:0x80
	v_not_b32_e32 v6, v51
	v_not_b32_e32 v8, v4
	v_xor_b32_e32 v5, vcc_lo, v5
	v_xor_b32_e32 v9, s2, v9
	v_cmp_gt_i32_e32 vcc_lo, 0, v51
	v_ashrrev_i32_e32 v6, 31, v6
	v_cmp_gt_i32_e64 s2, 0, v4
	v_ashrrev_i32_e32 v4, 31, v8
	v_bitop3_b32 v3, v3, v9, v5 bitop3:0x80
	ds_load_b32 v51, v55 offset:64
	v_xor_b32_e32 v5, vcc_lo, v6
	v_xor_b32_e32 v4, s2, v4
	; wave barrier
	s_delay_alu instid0(VALU_DEP_1) | instskip(NEXT) | instid1(VALU_DEP_1)
	v_bitop3_b32 v3, v3, v4, v5 bitop3:0x80
	v_mbcnt_lo_u32_b32 v53, v3, 0
	v_cmp_ne_u32_e64 s2, 0, v3
	s_delay_alu instid0(VALU_DEP_2) | instskip(SKIP_1) | instid1(SALU_CYCLE_1)
	v_cmp_eq_u32_e32 vcc_lo, 0, v53
	s_and_b32 s3, s2, vcc_lo
	s_and_saveexec_b32 s2, s3
	s_cbranch_execz .LBB867_45
; %bb.44:
	s_wait_dscnt 0x0
	v_bcnt_u32_b32 v3, v3, v51
	ds_store_b32 v55, v3 offset:64
.LBB867_45:
	s_or_b32 exec_lo, exec_lo, s2
	v_lshrrev_b32_e32 v3, s20, v29
	; wave barrier
	s_delay_alu instid0(VALU_DEP_1) | instskip(NEXT) | instid1(VALU_DEP_1)
	v_and_b32_e32 v4, s6, v3
	v_lshlrev_b32_e32 v6, 30, v4
	v_bitop3_b32 v3, v3, 1, s6 bitop3:0x80
	s_delay_alu instid0(VALU_DEP_1) | instskip(NEXT) | instid1(VALU_DEP_1)
	v_add_co_u32 v3, s2, v3, -1
	v_cndmask_b32_e64 v5, 0, 1, s2
	s_delay_alu instid0(VALU_DEP_4) | instskip(NEXT) | instid1(VALU_DEP_2)
	v_cmp_gt_i32_e64 s2, 0, v6
	v_cmp_ne_u32_e32 vcc_lo, 0, v5
	v_not_b32_e32 v5, v6
	s_delay_alu instid0(VALU_DEP_1) | instskip(SKIP_3) | instid1(VALU_DEP_4)
	v_dual_ashrrev_i32 v5, 31, v5 :: v_dual_lshlrev_b32 v8, 29, v4
	v_dual_lshlrev_b32 v9, 28, v4 :: v_dual_lshlrev_b32 v10, 27, v4
	v_lshlrev_b32_e32 v11, 26, v4
	v_mad_u32 v57, 0x44, v4, v2
	v_cmp_gt_i32_e64 s3, 0, v8
	v_not_b32_e32 v6, v8
	v_not_b32_e32 v8, v9
	v_cmp_gt_i32_e64 s4, 0, v9
	v_xor_b32_e32 v3, vcc_lo, v3
	s_delay_alu instid0(VALU_DEP_4) | instskip(NEXT) | instid1(VALU_DEP_4)
	v_dual_ashrrev_i32 v6, 31, v6 :: v_dual_bitop2_b32 v5, s2, v5 bitop3:0x14
	v_ashrrev_i32_e32 v8, 31, v8
	v_dual_lshlrev_b32 v54, 25, v4 :: v_dual_lshlrev_b32 v4, 24, v4
	v_not_b32_e32 v9, v10
	v_not_b32_e32 v56, v11
	v_xor_b32_e32 v6, s3, v6
	v_xor_b32_e32 v8, s4, v8
	v_bitop3_b32 v3, v3, v5, exec_lo bitop3:0x80
	v_cmp_gt_i32_e32 vcc_lo, 0, v10
	v_ashrrev_i32_e32 v5, 31, v9
	v_cmp_gt_i32_e64 s2, 0, v11
	v_ashrrev_i32_e32 v9, 31, v56
	v_bitop3_b32 v3, v3, v8, v6 bitop3:0x80
	v_not_b32_e32 v6, v54
	v_not_b32_e32 v8, v4
	v_xor_b32_e32 v5, vcc_lo, v5
	v_xor_b32_e32 v9, s2, v9
	v_cmp_gt_i32_e32 vcc_lo, 0, v54
	v_ashrrev_i32_e32 v6, 31, v6
	v_cmp_gt_i32_e64 s2, 0, v4
	v_ashrrev_i32_e32 v4, 31, v8
	v_bitop3_b32 v3, v3, v9, v5 bitop3:0x80
	ds_load_b32 v54, v57 offset:64
	v_xor_b32_e32 v5, vcc_lo, v6
	v_xor_b32_e32 v4, s2, v4
	; wave barrier
	s_delay_alu instid0(VALU_DEP_1) | instskip(NEXT) | instid1(VALU_DEP_1)
	v_bitop3_b32 v3, v3, v4, v5 bitop3:0x80
	v_mbcnt_lo_u32_b32 v56, v3, 0
	v_cmp_ne_u32_e64 s2, 0, v3
	s_delay_alu instid0(VALU_DEP_2) | instskip(SKIP_1) | instid1(SALU_CYCLE_1)
	v_cmp_eq_u32_e32 vcc_lo, 0, v56
	s_and_b32 s3, s2, vcc_lo
	s_and_saveexec_b32 s2, s3
	s_cbranch_execz .LBB867_47
; %bb.46:
	s_wait_dscnt 0x0
	v_bcnt_u32_b32 v3, v3, v54
	ds_store_b32 v57, v3 offset:64
.LBB867_47:
	s_or_b32 exec_lo, exec_lo, s2
	v_lshrrev_b32_e32 v3, s20, v28
	; wave barrier
	s_delay_alu instid0(VALU_DEP_1) | instskip(SKIP_1) | instid1(VALU_DEP_2)
	v_and_b32_e32 v4, s6, v3
	v_bitop3_b32 v3, v3, 1, s6 bitop3:0x80
	v_mad_u32 v60, 0x44, v4, v2
	s_delay_alu instid0(VALU_DEP_2) | instskip(NEXT) | instid1(VALU_DEP_1)
	v_add_co_u32 v2, s2, v3, -1
	v_cndmask_b32_e64 v3, 0, 1, s2
	v_lshlrev_b32_e32 v5, 30, v4
	s_delay_alu instid0(VALU_DEP_2) | instskip(NEXT) | instid1(VALU_DEP_2)
	v_cmp_ne_u32_e32 vcc_lo, 0, v3
	v_not_b32_e32 v3, v5
	s_delay_alu instid0(VALU_DEP_1) | instskip(SKIP_4) | instid1(VALU_DEP_4)
	v_dual_ashrrev_i32 v3, 31, v3 :: v_dual_bitop2_b32 v2, vcc_lo, v2 bitop3:0x14
	v_dual_lshlrev_b32 v6, 29, v4 :: v_dual_lshlrev_b32 v8, 28, v4
	v_lshlrev_b32_e32 v9, 27, v4
	v_cmp_gt_i32_e64 s2, 0, v5
	v_dual_lshlrev_b32 v10, 26, v4 :: v_dual_lshlrev_b32 v11, 25, v4
	v_cmp_gt_i32_e64 s3, 0, v6
	v_not_b32_e32 v5, v6
	v_not_b32_e32 v6, v8
	v_lshlrev_b32_e32 v4, 24, v4
	v_cmp_gt_i32_e64 s4, 0, v8
	s_delay_alu instid0(VALU_DEP_4) | instskip(NEXT) | instid1(VALU_DEP_4)
	v_dual_ashrrev_i32 v5, 31, v5 :: v_dual_bitop2_b32 v3, s2, v3 bitop3:0x14
	v_ashrrev_i32_e32 v6, 31, v6
	v_not_b32_e32 v8, v9
	v_not_b32_e32 v58, v10
	s_delay_alu instid0(VALU_DEP_4)
	v_bitop3_b32 v2, v2, v3, exec_lo bitop3:0x80
	v_xor_b32_e32 v5, s3, v5
	v_xor_b32_e32 v6, s4, v6
	v_cmp_gt_i32_e32 vcc_lo, 0, v9
	v_ashrrev_i32_e32 v3, 31, v8
	v_cmp_gt_i32_e64 s2, 0, v10
	v_ashrrev_i32_e32 v8, 31, v58
	v_bitop3_b32 v2, v2, v6, v5 bitop3:0x80
	v_not_b32_e32 v5, v11
	v_not_b32_e32 v6, v4
	v_xor_b32_e32 v3, vcc_lo, v3
	v_xor_b32_e32 v8, s2, v8
	v_cmp_gt_i32_e32 vcc_lo, 0, v11
	v_ashrrev_i32_e32 v5, 31, v5
	v_cmp_gt_i32_e64 s2, 0, v4
	v_ashrrev_i32_e32 v4, 31, v6
	v_bitop3_b32 v2, v2, v8, v3 bitop3:0x80
	ds_load_b32 v58, v60 offset:64
	v_xor_b32_e32 v3, vcc_lo, v5
	v_xor_b32_e32 v4, s2, v4
	; wave barrier
	s_delay_alu instid0(VALU_DEP_1) | instskip(NEXT) | instid1(VALU_DEP_1)
	v_bitop3_b32 v2, v2, v4, v3 bitop3:0x80
	v_mbcnt_lo_u32_b32 v59, v2, 0
	v_cmp_ne_u32_e64 s2, 0, v2
	s_delay_alu instid0(VALU_DEP_2) | instskip(SKIP_1) | instid1(SALU_CYCLE_1)
	v_cmp_eq_u32_e32 vcc_lo, 0, v59
	s_and_b32 s3, s2, vcc_lo
	s_and_saveexec_b32 s2, s3
	s_cbranch_execz .LBB867_49
; %bb.48:
	s_wait_dscnt 0x0
	v_bcnt_u32_b32 v2, v2, v58
	ds_store_b32 v60, v2 offset:64
.LBB867_49:
	s_or_b32 exec_lo, exec_lo, s2
	; wave barrier
	s_wait_dscnt 0x0
	s_barrier_signal -1
	s_barrier_wait -1
	ds_load_2addr_b32 v[10:11], v12 offset0:16 offset1:17
	ds_load_2addr_b32 v[8:9], v12 offset0:18 offset1:19
	;; [unrolled: 1-line block ×4, first 2 shown]
	ds_load_b32 v6, v12 offset:96
	v_min_u32_e32 v63, 0x1e0, v17
	s_mov_b32 s7, exec_lo
	s_wait_dscnt 0x3
	v_add3_u32 v61, v11, v10, v8
	s_wait_dscnt 0x2
	s_delay_alu instid0(VALU_DEP_1) | instskip(SKIP_1) | instid1(VALU_DEP_1)
	v_add3_u32 v61, v61, v9, v4
	s_wait_dscnt 0x1
	v_add3_u32 v61, v61, v5, v2
	s_wait_dscnt 0x0
	s_delay_alu instid0(VALU_DEP_1) | instskip(SKIP_1) | instid1(VALU_DEP_2)
	v_add3_u32 v6, v61, v3, v6
	v_and_b32_e32 v61, 15, v16
	v_mov_b32_dpp v62, v6 row_shr:1 row_mask:0xf bank_mask:0xf
	s_delay_alu instid0(VALU_DEP_2) | instskip(NEXT) | instid1(VALU_DEP_2)
	v_cmp_eq_u32_e32 vcc_lo, 0, v61
	v_cndmask_b32_e64 v62, v62, 0, vcc_lo
	s_delay_alu instid0(VALU_DEP_1) | instskip(SKIP_3) | instid1(VALU_DEP_4)
	v_add_nc_u32_e32 v6, v62, v6
	v_cmp_lt_u32_e64 s2, 1, v61
	v_cmp_lt_u32_e64 s3, 3, v61
	;; [unrolled: 1-line block ×3, first 2 shown]
	v_mov_b32_dpp v62, v6 row_shr:2 row_mask:0xf bank_mask:0xf
	s_delay_alu instid0(VALU_DEP_1) | instskip(NEXT) | instid1(VALU_DEP_1)
	v_cndmask_b32_e64 v62, 0, v62, s2
	v_add_nc_u32_e32 v6, v6, v62
	s_delay_alu instid0(VALU_DEP_1) | instskip(NEXT) | instid1(VALU_DEP_1)
	v_mov_b32_dpp v62, v6 row_shr:4 row_mask:0xf bank_mask:0xf
	v_cndmask_b32_e64 v62, 0, v62, s3
	s_delay_alu instid0(VALU_DEP_1) | instskip(NEXT) | instid1(VALU_DEP_1)
	v_add_nc_u32_e32 v6, v6, v62
	v_mov_b32_dpp v62, v6 row_shr:8 row_mask:0xf bank_mask:0xf
	s_delay_alu instid0(VALU_DEP_1) | instskip(SKIP_1) | instid1(VALU_DEP_2)
	v_cndmask_b32_e64 v61, 0, v62, s4
	v_bfe_i32 v62, v16, 4, 1
	v_add_nc_u32_e32 v6, v6, v61
	ds_swizzle_b32 v61, v6 offset:swizzle(BROADCAST,32,15)
	s_wait_dscnt 0x0
	v_dual_lshrrev_b32 v62, 5, v27 :: v_dual_bitop2_b32 v61, v62, v61 bitop3:0x40
	s_delay_alu instid0(VALU_DEP_1) | instskip(NEXT) | instid1(VALU_DEP_1)
	v_dual_add_nc_u32 v61, v6, v61 :: v_dual_bitop2_b32 v63, 31, v63 bitop3:0x54
	v_cmpx_eq_u32_e64 v27, v63
; %bb.50:
	s_delay_alu instid0(VALU_DEP_3)
	v_lshlrev_b32_e32 v6, 2, v62
	ds_store_b32 v6, v61
; %bb.51:
	s_or_b32 exec_lo, exec_lo, s7
	v_lshlrev_b32_e32 v6, 2, v27
	s_mov_b32 s7, exec_lo
	s_wait_dscnt 0x0
	s_barrier_signal -1
	s_barrier_wait -1
	v_cmpx_gt_u32_e32 16, v27
	s_cbranch_execz .LBB867_53
; %bb.52:
	ds_load_b32 v63, v6
	s_wait_dscnt 0x0
	v_mov_b32_dpp v64, v63 row_shr:1 row_mask:0xf bank_mask:0xf
	s_delay_alu instid0(VALU_DEP_1) | instskip(NEXT) | instid1(VALU_DEP_1)
	v_cndmask_b32_e64 v64, v64, 0, vcc_lo
	v_add_nc_u32_e32 v63, v64, v63
	s_delay_alu instid0(VALU_DEP_1) | instskip(NEXT) | instid1(VALU_DEP_1)
	v_mov_b32_dpp v64, v63 row_shr:2 row_mask:0xf bank_mask:0xf
	v_cndmask_b32_e64 v64, 0, v64, s2
	s_delay_alu instid0(VALU_DEP_1) | instskip(NEXT) | instid1(VALU_DEP_1)
	v_add_nc_u32_e32 v63, v63, v64
	v_mov_b32_dpp v64, v63 row_shr:4 row_mask:0xf bank_mask:0xf
	s_delay_alu instid0(VALU_DEP_1) | instskip(NEXT) | instid1(VALU_DEP_1)
	v_cndmask_b32_e64 v64, 0, v64, s3
	v_add_nc_u32_e32 v63, v63, v64
	s_delay_alu instid0(VALU_DEP_1) | instskip(NEXT) | instid1(VALU_DEP_1)
	v_mov_b32_dpp v64, v63 row_shr:8 row_mask:0xf bank_mask:0xf
	v_cndmask_b32_e64 v64, 0, v64, s4
	s_delay_alu instid0(VALU_DEP_1)
	v_add_nc_u32_e32 v63, v63, v64
	ds_store_b32 v6, v63
.LBB867_53:
	s_or_b32 exec_lo, exec_lo, s7
	v_mov_b32_e32 v63, 0
	s_mov_b32 s2, exec_lo
	s_wait_dscnt 0x0
	s_barrier_signal -1
	s_barrier_wait -1
	v_cmpx_lt_u32_e32 31, v27
; %bb.54:
	v_lshl_add_u32 v62, v62, 2, -4
	ds_load_b32 v63, v62
; %bb.55:
	s_or_b32 exec_lo, exec_lo, s2
	v_sub_co_u32 v62, vcc_lo, v16, 1
	s_wait_dscnt 0x0
	v_add_nc_u32_e32 v61, v63, v61
	s_delay_alu instid0(VALU_DEP_2) | instskip(NEXT) | instid1(VALU_DEP_1)
	v_cmp_gt_i32_e64 s2, 0, v62
	v_cndmask_b32_e64 v62, v62, v16, s2
	v_cmp_lt_u32_e64 s2, 0xff, v27
	s_delay_alu instid0(VALU_DEP_2) | instskip(SKIP_4) | instid1(VALU_DEP_2)
	v_lshlrev_b32_e32 v62, 2, v62
	ds_bpermute_b32 v61, v62, v61
	s_wait_dscnt 0x0
	v_cndmask_b32_e32 v61, v61, v63, vcc_lo
	v_cmp_ne_u32_e32 vcc_lo, 0, v27
	v_cndmask_b32_e32 v61, 0, v61, vcc_lo
	v_cmp_gt_u32_e32 vcc_lo, 0x100, v27
	s_delay_alu instid0(VALU_DEP_2) | instskip(NEXT) | instid1(VALU_DEP_1)
	v_add_nc_u32_e32 v10, v61, v10
	v_add_nc_u32_e32 v11, v10, v11
	s_delay_alu instid0(VALU_DEP_1) | instskip(NEXT) | instid1(VALU_DEP_1)
	v_add_nc_u32_e32 v8, v11, v8
	v_add_nc_u32_e32 v9, v8, v9
	s_delay_alu instid0(VALU_DEP_1) | instskip(NEXT) | instid1(VALU_DEP_1)
	;; [unrolled: 3-line block ×3, first 2 shown]
	v_add_nc_u32_e32 v2, v5, v2
	v_add_nc_u32_e32 v3, v2, v3
	ds_store_2addr_b32 v12, v61, v10 offset0:16 offset1:17
	ds_store_2addr_b32 v12, v11, v8 offset0:18 offset1:19
	;; [unrolled: 1-line block ×4, first 2 shown]
	ds_store_b32 v12, v3 offset:96
	s_wait_dscnt 0x0
	s_barrier_signal -1
	s_barrier_wait -1
	ds_load_b32 v63, v13 offset:64
	ds_load_b32 v61, v14 offset:64
	;; [unrolled: 1-line block ×12, first 2 shown]
	v_mov_b64_e32 v[2:3], 0
                                        ; implicit-def: $vgpr4
	s_and_saveexec_b32 s4, vcc_lo
	s_cbranch_execz .LBB867_59
; %bb.56:
	v_mul_u32_u24_e32 v2, 0x44, v27
	v_dual_mov_b32 v3, 0x1800 :: v_dual_add_nc_u32 v4, 1, v27
	s_mov_b32 s5, exec_lo
	ds_load_b32 v2, v2 offset:64
	v_cmpx_ne_u32_e32 0x100, v4
; %bb.57:
	v_mul_u32_u24_e32 v3, 0x44, v4
	ds_load_b32 v3, v3 offset:64
; %bb.58:
	s_or_b32 exec_lo, exec_lo, s5
	s_wait_dscnt 0x0
	v_dual_mov_b32 v3, 0 :: v_dual_sub_nc_u32 v4, v3, v2
.LBB867_59:
	s_or_b32 exec_lo, exec_lo, s4
	v_dual_mov_b32 v9, 0 :: v_dual_lshlrev_b32 v5, 3, v27
	s_wait_dscnt 0x0
	s_barrier_signal -1
	s_barrier_wait -1
	s_and_saveexec_b32 s3, vcc_lo
	s_cbranch_execz .LBB867_69
; %bb.60:
	v_lshl_add_u32 v8, s9, 8, v27
	v_dual_mov_b32 v12, 0 :: v_dual_bitop2_b32 v13, 2.0, v4 bitop3:0x54
	s_mov_b32 s4, 0
	s_mov_b32 s5, s9
	s_delay_alu instid0(VALU_DEP_2)
	v_lshl_add_u64 v[10:11], v[8:9], 2, s[10:11]
	global_store_b32 v8, v13, s[10:11] scale_offset scope:SCOPE_DEV
                                        ; implicit-def: $sgpr7
	s_branch .LBB867_63
.LBB867_61:                             ;   in Loop: Header=BB867_63 Depth=1
	s_or_b32 exec_lo, exec_lo, s8
.LBB867_62:                             ;   in Loop: Header=BB867_63 Depth=1
	s_delay_alu instid0(SALU_CYCLE_1) | instskip(SKIP_2) | instid1(VALU_DEP_2)
	s_or_b32 exec_lo, exec_lo, s7
	v_and_b32_e32 v8, 0x3fffffff, v13
	v_cmp_gt_i32_e64 s7, -2.0, v13
	v_add_nc_u32_e32 v12, v8, v12
	s_and_b32 s8, exec_lo, s7
	s_delay_alu instid0(SALU_CYCLE_1) | instskip(NEXT) | instid1(SALU_CYCLE_1)
	s_or_b32 s4, s8, s4
	s_and_not1_b32 exec_lo, exec_lo, s4
	s_cbranch_execz .LBB867_68
.LBB867_63:                             ; =>This Loop Header: Depth=1
                                        ;     Child Loop BB867_66 Depth 2
	s_or_b32 s7, s7, exec_lo
	s_cmp_eq_u32 s5, 0
	s_cbranch_scc1 .LBB867_67
; %bb.64:                               ;   in Loop: Header=BB867_63 Depth=1
	s_add_co_i32 s5, s5, -1
	s_mov_b32 s7, exec_lo
	s_wait_xcnt 0x0
	v_lshl_or_b32 v8, s5, 8, v27
	global_load_b32 v13, v8, s[10:11] scale_offset scope:SCOPE_DEV
	s_wait_loadcnt 0x0
	v_cmpx_gt_u32_e32 2.0, v13
	s_cbranch_execz .LBB867_62
; %bb.65:                               ;   in Loop: Header=BB867_63 Depth=1
	v_lshl_add_u64 v[14:15], v[8:9], 2, s[10:11]
	s_mov_b32 s8, 0
.LBB867_66:                             ;   Parent Loop BB867_63 Depth=1
                                        ; =>  This Inner Loop Header: Depth=2
	global_load_b32 v13, v[14:15], off scope:SCOPE_DEV
	s_wait_loadcnt 0x0
	v_cmp_lt_u32_e32 vcc_lo, 0x3fffffff, v13
	s_or_b32 s8, vcc_lo, s8
	s_wait_xcnt 0x0
	s_and_not1_b32 exec_lo, exec_lo, s8
	s_cbranch_execnz .LBB867_66
	s_branch .LBB867_61
.LBB867_67:                             ;   in Loop: Header=BB867_63 Depth=1
                                        ; implicit-def: $sgpr5
	s_and_b32 s8, exec_lo, s7
	s_delay_alu instid0(SALU_CYCLE_1)
	s_or_b32 s4, s8, s4
	s_wait_xcnt 0x0
	s_and_not1_b32 exec_lo, exec_lo, s4
	s_cbranch_execnz .LBB867_63
.LBB867_68:
	s_or_b32 exec_lo, exec_lo, s4
	v_dual_mov_b32 v13, 0 :: v_dual_add_nc_u32 v8, v12, v4
	s_delay_alu instid0(VALU_DEP_1) | instskip(SKIP_4) | instid1(VALU_DEP_1)
	v_or_b32_e32 v8, 0x80000000, v8
	global_store_b32 v[10:11], v8, off scope:SCOPE_DEV
	global_load_b64 v[8:9], v27, s[12:13] scale_offset
	v_sub_nc_u64_e32 v[10:11], v[12:13], v[2:3]
	s_wait_loadcnt 0x0
	v_add_nc_u64_e32 v[8:9], v[10:11], v[8:9]
	ds_store_b64 v5, v[8:9]
.LBB867_69:
	s_wait_xcnt 0x0
	s_or_b32 exec_lo, exec_lo, s3
	v_dual_add_nc_u32 v8, v63, v7 :: v_dual_sub_nc_u32 v63, 0, v6
	v_mov_b32_e32 v7, 0
	v_add3_u32 v32, v33, v62, v32
	v_add3_u32 v9, v59, v60, v58
	;; [unrolled: 1-line block ×3, first 2 shown]
	v_add_nc_u32_e32 v33, v5, v63
	v_add_nc_u64_e32 v[6:7], s[18:19], v[6:7]
	v_add3_u32 v11, v53, v55, v51
	v_add3_u32 v12, v49, v52, v48
	;; [unrolled: 1-line block ×6, first 2 shown]
	v_add_nc_u64_e32 v[6:7], 0x3800, v[6:7]
	v_add3_u32 v34, v35, v38, v34
	v_add3_u32 v30, v31, v61, v30
	v_add_nc_u32_e32 v31, 0xe00, v27
	s_mov_b32 s3, 0
	s_mov_b32 s4, -1
	s_branch .LBB867_71
.LBB867_70:                             ;   in Loop: Header=BB867_71 Depth=1
	s_wait_xcnt 0x0
	s_or_b32 exec_lo, exec_lo, s5
	v_add_nc_u64_e32 v[6:7], 0x4000, v[6:7]
	v_add_nc_u32_e32 v31, 0x1000, v31
	s_xor_b32 s4, s4, -1
	s_addk_co_i32 s3, 0xf000
	s_and_b32 vcc_lo, exec_lo, s4
	s_mov_b32 s4, 0
	s_wait_storecnt 0x0
	s_barrier_signal -1
	s_barrier_wait -1
	s_cbranch_vccnz .LBB867_87
.LBB867_71:                             ; =>This Inner Loop Header: Depth=1
	v_add_min_u32_e64 v35, v8, s3, 0x1000
	v_add_min_u32_e64 v37, v30, s3, 0x1000
	;; [unrolled: 1-line block ×5, first 2 shown]
	s_delay_alu instid0(VALU_DEP_4) | instskip(NEXT) | instid1(VALU_DEP_4)
	v_dual_lshlrev_b32 v35, 2, v35 :: v_dual_lshlrev_b32 v37, 2, v37
	v_lshlrev_b32_e32 v38, 2, v38
	v_add_min_u32_e64 v41, v15, s3, 0x1000
	s_mov_b32 s5, exec_lo
	ds_store_b32 v35, v18 offset:2048
	ds_store_b32 v37, v1 offset:2048
	v_add_min_u32_e64 v35, v14, s3, 0x1000
	v_lshlrev_b32_e32 v37, 2, v39
	ds_store_b32 v38, v20 offset:2048
	v_dual_lshlrev_b32 v38, 2, v40 :: v_dual_lshlrev_b32 v39, 2, v41
	v_add_min_u32_e64 v40, v13, s3, 0x1000
	v_lshlrev_b32_e32 v35, 2, v35
	ds_store_b32 v37, v19 offset:2048
	ds_store_b32 v38, v22 offset:2048
	;; [unrolled: 1-line block ×4, first 2 shown]
	v_add_min_u32_e64 v37, v12, s3, 0x1000
	v_add_min_u32_e64 v38, v11, s3, 0x1000
	;; [unrolled: 1-line block ×3, first 2 shown]
	v_lshlrev_b32_e32 v35, 2, v40
	v_add_min_u32_e64 v40, v9, s3, 0x1000
	ds_store_b32 v35, v23 offset:2048
	v_dual_lshlrev_b32 v35, 2, v37 :: v_dual_lshlrev_b32 v37, 2, v38
	v_dual_lshlrev_b32 v38, 2, v39 :: v_dual_lshlrev_b32 v39, 2, v40
	v_add_nc_u32_e32 v40, 0xfffff200, v31
	ds_store_b32 v35, v26 offset:2048
	ds_store_b32 v37, v25 offset:2048
	;; [unrolled: 1-line block ×4, first 2 shown]
	s_wait_storecnt_dscnt 0x0
	s_barrier_signal -1
	s_barrier_wait -1
	v_cmpx_gt_u32_e64 s22, v40
	s_cbranch_execz .LBB867_73
; %bb.72:                               ;   in Loop: Header=BB867_71 Depth=1
	ds_load_b32 v35, v33 offset:2048
	s_wait_dscnt 0x0
	v_lshrrev_b32_e32 v37, s20, v35
	v_xor_b32_e32 v35, 0x7fffffff, v35
	s_delay_alu instid0(VALU_DEP_2) | instskip(NEXT) | instid1(VALU_DEP_1)
	v_and_b32_e32 v37, s6, v37
	v_lshlrev_b32_e32 v37, 3, v37
	ds_load_b64 v[38:39], v37
	s_wait_dscnt 0x0
	v_lshl_add_u64 v[38:39], v[38:39], 2, v[6:7]
	global_store_b32 v[38:39], v35, off offset:-14336
.LBB867_73:                             ;   in Loop: Header=BB867_71 Depth=1
	s_wait_xcnt 0x0
	s_or_b32 exec_lo, exec_lo, s5
	v_add_nc_u32_e32 v35, 0xfffff400, v31
	s_mov_b32 s5, exec_lo
	s_delay_alu instid0(VALU_DEP_1)
	v_cmpx_gt_u32_e64 s22, v35
	s_cbranch_execz .LBB867_75
; %bb.74:                               ;   in Loop: Header=BB867_71 Depth=1
	ds_load_b32 v35, v33 offset:4096
	s_wait_dscnt 0x0
	v_lshrrev_b32_e32 v37, s20, v35
	v_xor_b32_e32 v35, 0x7fffffff, v35
	s_delay_alu instid0(VALU_DEP_2) | instskip(NEXT) | instid1(VALU_DEP_1)
	v_and_b32_e32 v37, s6, v37
	v_lshlrev_b32_e32 v37, 3, v37
	ds_load_b64 v[38:39], v37
	s_wait_dscnt 0x0
	v_lshl_add_u64 v[38:39], v[38:39], 2, v[6:7]
	global_store_b32 v[38:39], v35, off offset:-12288
.LBB867_75:                             ;   in Loop: Header=BB867_71 Depth=1
	s_wait_xcnt 0x0
	s_or_b32 exec_lo, exec_lo, s5
	v_add_nc_u32_e32 v35, 0xfffff600, v31
	s_mov_b32 s5, exec_lo
	s_delay_alu instid0(VALU_DEP_1)
	v_cmpx_gt_u32_e64 s22, v35
	s_cbranch_execz .LBB867_77
; %bb.76:                               ;   in Loop: Header=BB867_71 Depth=1
	ds_load_b32 v35, v33 offset:6144
	s_wait_dscnt 0x0
	v_lshrrev_b32_e32 v37, s20, v35
	v_xor_b32_e32 v35, 0x7fffffff, v35
	s_delay_alu instid0(VALU_DEP_2) | instskip(NEXT) | instid1(VALU_DEP_1)
	v_and_b32_e32 v37, s6, v37
	v_lshlrev_b32_e32 v37, 3, v37
	ds_load_b64 v[38:39], v37
	s_wait_dscnt 0x0
	v_lshl_add_u64 v[38:39], v[38:39], 2, v[6:7]
	global_store_b32 v[38:39], v35, off offset:-10240
.LBB867_77:                             ;   in Loop: Header=BB867_71 Depth=1
	s_wait_xcnt 0x0
	s_or_b32 exec_lo, exec_lo, s5
	v_add_nc_u32_e32 v35, 0xfffff800, v31
	s_mov_b32 s5, exec_lo
	s_delay_alu instid0(VALU_DEP_1)
	v_cmpx_gt_u32_e64 s22, v35
	s_cbranch_execz .LBB867_79
; %bb.78:                               ;   in Loop: Header=BB867_71 Depth=1
	ds_load_b32 v35, v33 offset:8192
	s_wait_dscnt 0x0
	v_lshrrev_b32_e32 v37, s20, v35
	v_xor_b32_e32 v35, 0x7fffffff, v35
	s_delay_alu instid0(VALU_DEP_2) | instskip(NEXT) | instid1(VALU_DEP_1)
	v_and_b32_e32 v37, s6, v37
	v_lshlrev_b32_e32 v37, 3, v37
	ds_load_b64 v[38:39], v37
	s_wait_dscnt 0x0
	v_lshl_add_u64 v[38:39], v[38:39], 2, v[6:7]
	global_store_b32 v[38:39], v35, off offset:-8192
.LBB867_79:                             ;   in Loop: Header=BB867_71 Depth=1
	s_wait_xcnt 0x0
	s_or_b32 exec_lo, exec_lo, s5
	v_add_nc_u32_e32 v35, 0xfffffa00, v31
	s_mov_b32 s5, exec_lo
	s_delay_alu instid0(VALU_DEP_1)
	v_cmpx_gt_u32_e64 s22, v35
	s_cbranch_execz .LBB867_81
; %bb.80:                               ;   in Loop: Header=BB867_71 Depth=1
	ds_load_b32 v35, v33 offset:10240
	s_wait_dscnt 0x0
	v_lshrrev_b32_e32 v37, s20, v35
	v_xor_b32_e32 v35, 0x7fffffff, v35
	s_delay_alu instid0(VALU_DEP_2) | instskip(NEXT) | instid1(VALU_DEP_1)
	v_and_b32_e32 v37, s6, v37
	v_lshlrev_b32_e32 v37, 3, v37
	ds_load_b64 v[38:39], v37
	s_wait_dscnt 0x0
	v_lshl_add_u64 v[38:39], v[38:39], 2, v[6:7]
	global_store_b32 v[38:39], v35, off offset:-6144
.LBB867_81:                             ;   in Loop: Header=BB867_71 Depth=1
	s_wait_xcnt 0x0
	s_or_b32 exec_lo, exec_lo, s5
	v_add_nc_u32_e32 v35, 0xfffffc00, v31
	s_mov_b32 s5, exec_lo
	s_delay_alu instid0(VALU_DEP_1)
	v_cmpx_gt_u32_e64 s22, v35
	s_cbranch_execz .LBB867_83
; %bb.82:                               ;   in Loop: Header=BB867_71 Depth=1
	ds_load_b32 v35, v33 offset:12288
	s_wait_dscnt 0x0
	v_lshrrev_b32_e32 v37, s20, v35
	v_xor_b32_e32 v35, 0x7fffffff, v35
	s_delay_alu instid0(VALU_DEP_2) | instskip(NEXT) | instid1(VALU_DEP_1)
	v_and_b32_e32 v37, s6, v37
	v_lshlrev_b32_e32 v37, 3, v37
	ds_load_b64 v[38:39], v37
	s_wait_dscnt 0x0
	v_lshl_add_u64 v[38:39], v[38:39], 2, v[6:7]
	global_store_b32 v[38:39], v35, off offset:-4096
.LBB867_83:                             ;   in Loop: Header=BB867_71 Depth=1
	s_wait_xcnt 0x0
	s_or_b32 exec_lo, exec_lo, s5
	v_add_nc_u32_e32 v35, 0xfffffe00, v31
	s_mov_b32 s5, exec_lo
	s_delay_alu instid0(VALU_DEP_1)
	v_cmpx_gt_u32_e64 s22, v35
	s_cbranch_execz .LBB867_85
; %bb.84:                               ;   in Loop: Header=BB867_71 Depth=1
	ds_load_b32 v35, v33 offset:14336
	s_wait_dscnt 0x0
	v_lshrrev_b32_e32 v37, s20, v35
	v_xor_b32_e32 v35, 0x7fffffff, v35
	s_delay_alu instid0(VALU_DEP_2) | instskip(NEXT) | instid1(VALU_DEP_1)
	v_and_b32_e32 v37, s6, v37
	v_lshlrev_b32_e32 v37, 3, v37
	ds_load_b64 v[38:39], v37
	s_wait_dscnt 0x0
	v_lshl_add_u64 v[38:39], v[38:39], 2, v[6:7]
	global_store_b32 v[38:39], v35, off offset:-2048
.LBB867_85:                             ;   in Loop: Header=BB867_71 Depth=1
	s_wait_xcnt 0x0
	s_or_b32 exec_lo, exec_lo, s5
	s_delay_alu instid0(SALU_CYCLE_1)
	s_mov_b32 s5, exec_lo
	v_cmpx_gt_u32_e64 s22, v31
	s_cbranch_execz .LBB867_70
; %bb.86:                               ;   in Loop: Header=BB867_71 Depth=1
	ds_load_b32 v35, v33 offset:16384
	s_wait_dscnt 0x0
	v_lshrrev_b32_e32 v37, s20, v35
	v_xor_b32_e32 v35, 0x7fffffff, v35
	s_delay_alu instid0(VALU_DEP_2) | instskip(NEXT) | instid1(VALU_DEP_1)
	v_and_b32_e32 v37, s6, v37
	v_lshlrev_b32_e32 v37, 3, v37
	ds_load_b64 v[38:39], v37
	s_wait_dscnt 0x0
	v_lshl_add_u64 v[38:39], v[38:39], 2, v[6:7]
	global_store_b32 v[38:39], v35, off
	s_branch .LBB867_70
.LBB867_87:
	s_add_co_i32 s23, s23, -1
	s_delay_alu instid0(SALU_CYCLE_1) | instskip(SKIP_2) | instid1(SALU_CYCLE_1)
	s_cmp_eq_u32 s9, s23
	s_cselect_b32 s3, -1, 0
	s_xor_b32 s2, s2, -1
	s_and_b32 s3, s2, s3
	s_delay_alu instid0(SALU_CYCLE_1)
	s_and_saveexec_b32 s2, s3
	s_cbranch_execz .LBB867_89
; %bb.88:
	ds_load_b64 v[6:7], v5
	v_mov_b32_e32 v5, 0
	s_delay_alu instid0(VALU_DEP_1) | instskip(SKIP_1) | instid1(VALU_DEP_1)
	v_add_nc_u64_e32 v[2:3], v[2:3], v[4:5]
	s_wait_dscnt 0x0
	v_add_nc_u64_e32 v[2:3], v[2:3], v[6:7]
	global_store_b64 v27, v[2:3], s[14:15] scale_offset
.LBB867_89:
	s_wait_xcnt 0x0
	s_or_b32 exec_lo, exec_lo, s2
	s_mov_b32 s2, 0
.LBB867_90:
	s_delay_alu instid0(SALU_CYCLE_1)
	s_and_b32 vcc_lo, exec_lo, s2
	s_cbranch_vccz .LBB867_149
; %bb.91:
	s_mov_b32 s25, 0
	v_dual_mov_b32 v11, 0 :: v_dual_lshlrev_b32 v10, 2, v16
	s_lshl_b64 s[2:3], s[24:25], 2
	v_mul_u32_u24_e32 v1, 12, v17
	s_add_nc_u64 s[2:3], s[16:17], s[2:3]
	s_delay_alu instid0(VALU_DEP_2) | instid1(SALU_CYCLE_1)
	v_add_nc_u64_e32 v[2:3], s[2:3], v[10:11]
	s_delay_alu instid0(VALU_DEP_2) | instskip(NEXT) | instid1(VALU_DEP_1)
	v_lshlrev_b32_e32 v10, 2, v1
	v_add_nc_u64_e32 v[14:15], v[2:3], v[10:11]
	v_bfe_u32 v10, v0, 20, 10
	s_clause 0xb
	global_load_b32 v5, v[14:15], off
	global_load_b32 v12, v[14:15], off offset:128
	global_load_b32 v13, v[14:15], off offset:256
	;; [unrolled: 1-line block ×11, first 2 shown]
	s_clause 0x1
	s_load_b32 s7, s[0:1], 0x58
	s_load_u16 s2, s[0:1], 0x66
	v_and_b32_e32 v14, 0x3ff, v0
	s_wait_kmcnt 0x0
	s_cmp_lt_u32 s9, s7
	s_cselect_b32 s24, 12, 18
	s_lshl_b32 s8, -1, s21
	s_add_nc_u64 s[0:1], s[26:27], s[24:25]
	s_load_u16 s0, s[0:1], 0x0
	s_wait_loadcnt 0xb
	v_xor_b32_e32 v15, 0x7fffffff, v5
	v_bfe_u32 v5, v0, 10, 10
	s_delay_alu instid0(VALU_DEP_2) | instskip(NEXT) | instid1(VALU_DEP_2)
	v_lshrrev_b32_e32 v18, s20, v15
	v_mad_u32_u24 v0, v10, s2, v5
	s_delay_alu instid0(VALU_DEP_2) | instskip(SKIP_2) | instid1(VALU_DEP_3)
	v_bitop3_b32 v5, v18, 1, s8 bitop3:0x40
	v_bitop3_b32 v19, v18, s8, v18 bitop3:0x30
	s_wait_kmcnt 0x0
	v_mad_u32 v0, v0, s0, v14
	s_delay_alu instid0(VALU_DEP_3) | instskip(NEXT) | instid1(VALU_DEP_1)
	v_add_co_u32 v5, s0, v5, -1
	v_cndmask_b32_e64 v10, 0, 1, s0
	v_dual_lshlrev_b32 v18, 30, v19 :: v_dual_lshlrev_b32 v21, 29, v19
	v_dual_lshlrev_b32 v22, 28, v19 :: v_dual_lshlrev_b32 v23, 27, v19
	s_delay_alu instid0(VALU_DEP_3) | instskip(NEXT) | instid1(VALU_DEP_3)
	v_cmp_ne_u32_e32 vcc_lo, 0, v10
	v_not_b32_e32 v10, v18
	v_dual_lshlrev_b32 v24, 26, v19 :: v_dual_lshlrev_b32 v25, 25, v19
	v_lshlrev_b32_e32 v26, 24, v19
	v_cmp_gt_i32_e64 s0, 0, v18
	v_cmp_gt_i32_e64 s1, 0, v21
	v_not_b32_e32 v18, v21
	v_not_b32_e32 v21, v22
	v_ashrrev_i32_e32 v10, 31, v10
	v_cmp_gt_i32_e64 s2, 0, v22
	v_cmp_gt_i32_e64 s3, 0, v23
	v_not_b32_e32 v22, v23
	v_not_b32_e32 v23, v24
	v_dual_ashrrev_i32 v18, 31, v18 :: v_dual_bitop2_b32 v5, vcc_lo, v5 bitop3:0x14
	v_dual_ashrrev_i32 v21, 31, v21 :: v_dual_bitop2_b32 v10, s0, v10 bitop3:0x14
	v_cmp_gt_i32_e64 s4, 0, v24
	v_cmp_gt_i32_e64 s5, 0, v25
	v_not_b32_e32 v24, v25
	v_not_b32_e32 v25, v26
	v_dual_ashrrev_i32 v22, 31, v22 :: v_dual_ashrrev_i32 v23, 31, v23
	v_xor_b32_e32 v18, s1, v18
	v_dual_lshrrev_b32 v0, 5, v0 :: v_dual_bitop2_b32 v21, s2, v21 bitop3:0x14
	v_bitop3_b32 v5, v5, v10, exec_lo bitop3:0x80
	v_cmp_gt_i32_e64 s6, 0, v26
	v_dual_ashrrev_i32 v10, 31, v24 :: v_dual_ashrrev_i32 v24, 31, v25
	v_xor_b32_e32 v22, s3, v22
	v_dual_lshlrev_b32 v0, 2, v0 :: v_dual_bitop2_b32 v23, s4, v23 bitop3:0x14
	v_bitop3_b32 v5, v5, v21, v18 bitop3:0x80
	s_delay_alu instid0(VALU_DEP_4)
	v_xor_b32_e32 v18, s5, v10
	v_xor_b32_e32 v21, s6, v24
	v_mul_u32_u24_e32 v10, 36, v14
	ds_store_2addr_b32 v10, v11, v11 offset0:16 offset1:17
	ds_store_2addr_b32 v10, v11, v11 offset0:18 offset1:19
	;; [unrolled: 1-line block ×4, first 2 shown]
	v_bitop3_b32 v5, v5, v23, v22 bitop3:0x80
	ds_store_b32 v10, v11 offset:96
	v_mad_u32 v11, 0x44, v19, v0
	s_not_b32 s5, s8
	s_wait_storecnt 0x0
	s_wait_loadcnt_dscnt 0x0
	v_bitop3_b32 v18, v5, v21, v18 bitop3:0x80
	s_barrier_signal -1
	s_barrier_wait -1
	s_delay_alu instid0(VALU_DEP_1) | instskip(SKIP_1) | instid1(VALU_DEP_2)
	v_mbcnt_lo_u32_b32 v5, v18, 0
	v_cmp_ne_u32_e64 s0, 0, v18
	; wave barrier
	v_cmp_eq_u32_e32 vcc_lo, 0, v5
	s_and_b32 s1, s0, vcc_lo
	s_delay_alu instid0(SALU_CYCLE_1)
	s_and_saveexec_b32 s0, s1
; %bb.92:
	v_bcnt_u32_b32 v18, v18, 0
	ds_store_b32 v11, v18 offset:64
; %bb.93:
	s_or_b32 exec_lo, exec_lo, s0
	v_xor_b32_e32 v18, 0x7fffffff, v12
	; wave barrier
	s_delay_alu instid0(VALU_DEP_1) | instskip(NEXT) | instid1(VALU_DEP_1)
	v_lshrrev_b32_e32 v12, s20, v18
	v_and_b32_e32 v19, s5, v12
	s_delay_alu instid0(VALU_DEP_1) | instskip(SKIP_1) | instid1(VALU_DEP_1)
	v_lshlrev_b32_e32 v23, 30, v19
	v_bitop3_b32 v21, v12, 1, s5 bitop3:0x80
	v_add_co_u32 v21, s0, v21, -1
	s_delay_alu instid0(VALU_DEP_1) | instskip(NEXT) | instid1(VALU_DEP_4)
	v_cndmask_b32_e64 v22, 0, 1, s0
	v_cmp_gt_i32_e64 s0, 0, v23
	s_delay_alu instid0(VALU_DEP_2) | instskip(SKIP_1) | instid1(VALU_DEP_1)
	v_cmp_ne_u32_e32 vcc_lo, 0, v22
	v_not_b32_e32 v22, v23
	v_dual_ashrrev_i32 v22, 31, v22 :: v_dual_lshlrev_b32 v24, 29, v19
	v_dual_lshlrev_b32 v25, 28, v19 :: v_dual_lshlrev_b32 v26, 27, v19
	v_lshlrev_b32_e32 v27, 26, v19
	v_mad_u32 v12, 0x44, v19, v0
	s_delay_alu instid0(VALU_DEP_4)
	v_cmp_gt_i32_e64 s1, 0, v24
	v_not_b32_e32 v23, v24
	v_not_b32_e32 v24, v25
	v_dual_lshlrev_b32 v28, 25, v19 :: v_dual_lshlrev_b32 v19, 24, v19
	v_cmp_gt_i32_e64 s2, 0, v25
	v_cmp_gt_i32_e64 s3, 0, v26
	v_not_b32_e32 v25, v26
	v_not_b32_e32 v26, v27
	v_dual_ashrrev_i32 v23, 31, v23 :: v_dual_bitop2_b32 v21, vcc_lo, v21 bitop3:0x14
	v_dual_ashrrev_i32 v24, 31, v24 :: v_dual_bitop2_b32 v22, s0, v22 bitop3:0x14
	v_cmp_gt_i32_e64 s4, 0, v27
	s_delay_alu instid0(VALU_DEP_4) | instskip(SKIP_1) | instid1(VALU_DEP_4)
	v_dual_ashrrev_i32 v25, 31, v25 :: v_dual_ashrrev_i32 v26, 31, v26
	v_not_b32_e32 v27, v19
	v_xor_b32_e32 v24, s2, v24
	v_bitop3_b32 v21, v21, v22, exec_lo bitop3:0x80
	v_not_b32_e32 v22, v28
	v_xor_b32_e32 v23, s1, v23
	v_xor_b32_e32 v25, s3, v25
	;; [unrolled: 1-line block ×3, first 2 shown]
	v_cmp_gt_i32_e32 vcc_lo, 0, v28
	v_ashrrev_i32_e32 v22, 31, v22
	v_cmp_gt_i32_e64 s0, 0, v19
	v_ashrrev_i32_e32 v19, 31, v27
	v_bitop3_b32 v21, v21, v24, v23 bitop3:0x80
	s_delay_alu instid0(VALU_DEP_4) | instskip(NEXT) | instid1(VALU_DEP_3)
	v_xor_b32_e32 v22, vcc_lo, v22
	v_xor_b32_e32 v19, s0, v19
	s_delay_alu instid0(VALU_DEP_3) | instskip(SKIP_2) | instid1(VALU_DEP_1)
	v_bitop3_b32 v23, v21, v26, v25 bitop3:0x80
	ds_load_b32 v21, v12 offset:64
	; wave barrier
	v_bitop3_b32 v19, v23, v19, v22 bitop3:0x80
	v_mbcnt_lo_u32_b32 v22, v19, 0
	v_cmp_ne_u32_e64 s0, 0, v19
	s_delay_alu instid0(VALU_DEP_2) | instskip(SKIP_1) | instid1(SALU_CYCLE_1)
	v_cmp_eq_u32_e32 vcc_lo, 0, v22
	s_and_b32 s1, s0, vcc_lo
	s_and_saveexec_b32 s0, s1
	s_cbranch_execz .LBB867_95
; %bb.94:
	s_wait_dscnt 0x0
	v_bcnt_u32_b32 v19, v19, v21
	ds_store_b32 v12, v19 offset:64
.LBB867_95:
	s_or_b32 exec_lo, exec_lo, s0
	v_xor_b32_e32 v19, 0x7fffffff, v13
	; wave barrier
	s_delay_alu instid0(VALU_DEP_1) | instskip(NEXT) | instid1(VALU_DEP_1)
	v_lshrrev_b32_e32 v13, s20, v19
	v_bitop3_b32 v24, v13, 1, s5 bitop3:0x80
	v_and_b32_e32 v23, s5, v13
	s_delay_alu instid0(VALU_DEP_2) | instskip(NEXT) | instid1(VALU_DEP_1)
	v_add_co_u32 v24, s0, v24, -1
	v_cndmask_b32_e64 v25, 0, 1, s0
	s_delay_alu instid0(VALU_DEP_3) | instskip(NEXT) | instid1(VALU_DEP_2)
	v_dual_lshlrev_b32 v26, 30, v23 :: v_dual_lshlrev_b32 v27, 29, v23
	v_cmp_ne_u32_e32 vcc_lo, 0, v25
	s_delay_alu instid0(VALU_DEP_2) | instskip(SKIP_1) | instid1(VALU_DEP_4)
	v_cmp_gt_i32_e64 s0, 0, v26
	v_not_b32_e32 v25, v26
	v_not_b32_e32 v26, v27
	v_cmp_gt_i32_e64 s1, 0, v27
	s_delay_alu instid0(VALU_DEP_3) | instskip(NEXT) | instid1(VALU_DEP_3)
	v_dual_ashrrev_i32 v25, 31, v25 :: v_dual_bitop2_b32 v24, vcc_lo, v24 bitop3:0x14
	v_dual_ashrrev_i32 v26, 31, v26 :: v_dual_lshlrev_b32 v28, 28, v23
	v_dual_lshlrev_b32 v29, 27, v23 :: v_dual_lshlrev_b32 v30, 26, v23
	v_lshlrev_b32_e32 v31, 25, v23
	v_mad_u32 v13, 0x44, v23, v0
	s_delay_alu instid0(VALU_DEP_4)
	v_not_b32_e32 v27, v28
	v_lshlrev_b32_e32 v23, 24, v23
	v_cmp_gt_i32_e64 s2, 0, v28
	v_cmp_gt_i32_e64 s3, 0, v29
	v_not_b32_e32 v28, v29
	v_not_b32_e32 v29, v30
	v_dual_ashrrev_i32 v27, 31, v27 :: v_dual_bitop2_b32 v25, s0, v25 bitop3:0x14
	v_cmp_gt_i32_e64 s4, 0, v30
	s_delay_alu instid0(VALU_DEP_3) | instskip(SKIP_1) | instid1(VALU_DEP_4)
	v_dual_ashrrev_i32 v28, 31, v28 :: v_dual_ashrrev_i32 v29, 31, v29
	v_not_b32_e32 v30, v23
	v_xor_b32_e32 v27, s2, v27
	v_bitop3_b32 v24, v24, v25, exec_lo bitop3:0x80
	v_not_b32_e32 v25, v31
	v_xor_b32_e32 v26, s1, v26
	v_xor_b32_e32 v28, s3, v28
	;; [unrolled: 1-line block ×3, first 2 shown]
	v_cmp_gt_i32_e32 vcc_lo, 0, v31
	v_ashrrev_i32_e32 v25, 31, v25
	v_cmp_gt_i32_e64 s0, 0, v23
	v_ashrrev_i32_e32 v23, 31, v30
	v_bitop3_b32 v24, v24, v27, v26 bitop3:0x80
	s_delay_alu instid0(VALU_DEP_4) | instskip(NEXT) | instid1(VALU_DEP_3)
	v_xor_b32_e32 v25, vcc_lo, v25
	v_xor_b32_e32 v23, s0, v23
	s_delay_alu instid0(VALU_DEP_3) | instskip(SKIP_2) | instid1(VALU_DEP_1)
	v_bitop3_b32 v26, v24, v29, v28 bitop3:0x80
	ds_load_b32 v24, v13 offset:64
	; wave barrier
	v_bitop3_b32 v23, v26, v23, v25 bitop3:0x80
	v_mbcnt_lo_u32_b32 v25, v23, 0
	v_cmp_ne_u32_e64 s0, 0, v23
	s_delay_alu instid0(VALU_DEP_2) | instskip(SKIP_1) | instid1(SALU_CYCLE_1)
	v_cmp_eq_u32_e32 vcc_lo, 0, v25
	s_and_b32 s1, s0, vcc_lo
	s_and_saveexec_b32 s0, s1
	s_cbranch_execz .LBB867_97
; %bb.96:
	s_wait_dscnt 0x0
	v_bcnt_u32_b32 v23, v23, v24
	ds_store_b32 v13, v23 offset:64
.LBB867_97:
	s_or_b32 exec_lo, exec_lo, s0
	v_xor_b32_e32 v20, 0x7fffffff, v20
	; wave barrier
	s_delay_alu instid0(VALU_DEP_1) | instskip(NEXT) | instid1(VALU_DEP_1)
	v_lshrrev_b32_e32 v23, s20, v20
	v_and_b32_e32 v26, s5, v23
	s_delay_alu instid0(VALU_DEP_1) | instskip(SKIP_2) | instid1(VALU_DEP_2)
	v_lshlrev_b32_e32 v28, 30, v26
	v_bitop3_b32 v23, v23, 1, s5 bitop3:0x80
	v_lshlrev_b32_e32 v29, 29, v26
	v_add_co_u32 v23, s0, v23, -1
	s_delay_alu instid0(VALU_DEP_1) | instskip(SKIP_1) | instid1(VALU_DEP_2)
	v_cndmask_b32_e64 v27, 0, 1, s0
	v_cmp_gt_i32_e64 s0, 0, v28
	v_cmp_ne_u32_e32 vcc_lo, 0, v27
	v_not_b32_e32 v27, v28
	v_not_b32_e32 v28, v29
	s_delay_alu instid0(VALU_DEP_1)
	v_dual_ashrrev_i32 v28, 31, v28 :: v_dual_lshlrev_b32 v30, 28, v26
	v_mad_u32 v33, 0x44, v26, v0
	v_dual_lshlrev_b32 v31, 27, v26 :: v_dual_lshlrev_b32 v32, 26, v26
	v_dual_lshlrev_b32 v34, 25, v26 :: v_dual_lshlrev_b32 v26, 24, v26
	v_cmp_gt_i32_e64 s1, 0, v29
	v_not_b32_e32 v29, v30
	v_ashrrev_i32_e32 v27, 31, v27
	v_cmp_gt_i32_e64 s2, 0, v30
	v_cmp_gt_i32_e64 s3, 0, v31
	v_not_b32_e32 v30, v31
	v_cmp_gt_i32_e64 s4, 0, v32
	v_not_b32_e32 v31, v32
	v_dual_ashrrev_i32 v29, 31, v29 :: v_dual_bitop2_b32 v23, vcc_lo, v23 bitop3:0x14
	v_not_b32_e32 v32, v26
	v_dual_ashrrev_i32 v30, 31, v30 :: v_dual_bitop2_b32 v27, s0, v27 bitop3:0x14
	s_delay_alu instid0(VALU_DEP_4) | instskip(SKIP_1) | instid1(VALU_DEP_4)
	v_dual_ashrrev_i32 v31, 31, v31 :: v_dual_bitop2_b32 v28, s1, v28 bitop3:0x14
	v_cmp_gt_i32_e64 s0, 0, v26
	v_ashrrev_i32_e32 v26, 31, v32
	s_delay_alu instid0(VALU_DEP_4)
	v_bitop3_b32 v23, v23, v27, exec_lo bitop3:0x80
	v_not_b32_e32 v27, v34
	v_xor_b32_e32 v29, s2, v29
	v_xor_b32_e32 v30, s3, v30
	;; [unrolled: 1-line block ×3, first 2 shown]
	v_cmp_gt_i32_e32 vcc_lo, 0, v34
	v_ashrrev_i32_e32 v27, 31, v27
	v_bitop3_b32 v23, v23, v29, v28 bitop3:0x80
	v_xor_b32_e32 v26, s0, v26
	s_delay_alu instid0(VALU_DEP_3) | instskip(NEXT) | instid1(VALU_DEP_3)
	v_xor_b32_e32 v28, vcc_lo, v27
	v_bitop3_b32 v23, v23, v31, v30 bitop3:0x80
	ds_load_b32 v27, v33 offset:64
	; wave barrier
	v_bitop3_b32 v23, v23, v26, v28 bitop3:0x80
	s_delay_alu instid0(VALU_DEP_1) | instskip(SKIP_1) | instid1(VALU_DEP_2)
	v_mbcnt_lo_u32_b32 v28, v23, 0
	v_cmp_ne_u32_e64 s0, 0, v23
	v_cmp_eq_u32_e32 vcc_lo, 0, v28
	s_and_b32 s1, s0, vcc_lo
	s_delay_alu instid0(SALU_CYCLE_1)
	s_and_saveexec_b32 s0, s1
	s_cbranch_execz .LBB867_99
; %bb.98:
	s_wait_dscnt 0x0
	v_bcnt_u32_b32 v23, v23, v27
	ds_store_b32 v33, v23 offset:64
.LBB867_99:
	s_or_b32 exec_lo, exec_lo, s0
	v_xor_b32_e32 v23, 0x7fffffff, v9
	; wave barrier
	s_delay_alu instid0(VALU_DEP_1) | instskip(NEXT) | instid1(VALU_DEP_1)
	v_lshrrev_b32_e32 v9, s20, v23
	v_and_b32_e32 v26, s5, v9
	s_delay_alu instid0(VALU_DEP_1) | instskip(SKIP_2) | instid1(VALU_DEP_2)
	v_lshlrev_b32_e32 v30, 30, v26
	v_bitop3_b32 v9, v9, 1, s5 bitop3:0x80
	v_lshlrev_b32_e32 v31, 29, v26
	v_add_co_u32 v9, s0, v9, -1
	s_delay_alu instid0(VALU_DEP_1) | instskip(SKIP_1) | instid1(VALU_DEP_2)
	v_cndmask_b32_e64 v29, 0, 1, s0
	v_cmp_gt_i32_e64 s0, 0, v30
	v_cmp_ne_u32_e32 vcc_lo, 0, v29
	v_not_b32_e32 v29, v30
	v_not_b32_e32 v30, v31
	s_delay_alu instid0(VALU_DEP_1) | instskip(SKIP_4) | instid1(VALU_DEP_4)
	v_ashrrev_i32_e32 v30, 31, v30
	v_dual_lshlrev_b32 v32, 28, v26 :: v_dual_lshlrev_b32 v34, 27, v26
	v_lshlrev_b32_e32 v35, 26, v26
	v_cmp_gt_i32_e64 s1, 0, v31
	v_mad_u32 v37, 0x44, v26, v0
	v_not_b32_e32 v31, v32
	v_dual_ashrrev_i32 v29, 31, v29 :: v_dual_lshlrev_b32 v36, 25, v26
	v_lshlrev_b32_e32 v26, 24, v26
	v_cmp_gt_i32_e64 s2, 0, v32
	v_cmp_gt_i32_e64 s3, 0, v34
	v_not_b32_e32 v32, v34
	v_not_b32_e32 v34, v35
	v_dual_ashrrev_i32 v31, 31, v31 :: v_dual_bitop2_b32 v9, vcc_lo, v9 bitop3:0x14
	v_xor_b32_e32 v29, s0, v29
	v_cmp_gt_i32_e64 s4, 0, v35
	s_delay_alu instid0(VALU_DEP_4) | instskip(NEXT) | instid1(VALU_DEP_4)
	v_dual_ashrrev_i32 v32, 31, v32 :: v_dual_ashrrev_i32 v34, 31, v34
	v_xor_b32_e32 v31, s2, v31
	s_delay_alu instid0(VALU_DEP_4)
	v_bitop3_b32 v9, v9, v29, exec_lo bitop3:0x80
	v_not_b32_e32 v29, v36
	v_xor_b32_e32 v30, s1, v30
	v_not_b32_e32 v35, v26
	v_xor_b32_e32 v32, s3, v32
	v_xor_b32_e32 v34, s4, v34
	v_cmp_gt_i32_e32 vcc_lo, 0, v36
	v_ashrrev_i32_e32 v29, 31, v29
	v_bitop3_b32 v9, v9, v31, v30 bitop3:0x80
	v_cmp_gt_i32_e64 s0, 0, v26
	v_ashrrev_i32_e32 v26, 31, v35
	ds_load_b32 v30, v37 offset:64
	v_xor_b32_e32 v29, vcc_lo, v29
	v_bitop3_b32 v9, v9, v34, v32 bitop3:0x80
	v_xor_b32_e32 v26, s0, v26
	; wave barrier
	s_delay_alu instid0(VALU_DEP_1) | instskip(NEXT) | instid1(VALU_DEP_1)
	v_bitop3_b32 v9, v9, v26, v29 bitop3:0x80
	v_mbcnt_lo_u32_b32 v31, v9, 0
	v_cmp_ne_u32_e64 s0, 0, v9
	s_delay_alu instid0(VALU_DEP_2) | instskip(SKIP_1) | instid1(SALU_CYCLE_1)
	v_cmp_eq_u32_e32 vcc_lo, 0, v31
	s_and_b32 s1, s0, vcc_lo
	s_and_saveexec_b32 s0, s1
	s_cbranch_execz .LBB867_101
; %bb.100:
	s_wait_dscnt 0x0
	v_bcnt_u32_b32 v9, v9, v30
	ds_store_b32 v37, v9 offset:64
.LBB867_101:
	s_or_b32 exec_lo, exec_lo, s0
	v_xor_b32_e32 v26, 0x7fffffff, v8
	; wave barrier
	s_delay_alu instid0(VALU_DEP_1) | instskip(NEXT) | instid1(VALU_DEP_1)
	v_lshrrev_b32_e32 v8, s20, v26
	v_and_b32_e32 v9, s5, v8
	s_delay_alu instid0(VALU_DEP_1) | instskip(SKIP_1) | instid1(VALU_DEP_1)
	v_lshlrev_b32_e32 v32, 30, v9
	v_bitop3_b32 v8, v8, 1, s5 bitop3:0x80
	v_add_co_u32 v8, s0, v8, -1
	s_delay_alu instid0(VALU_DEP_1) | instskip(NEXT) | instid1(VALU_DEP_4)
	v_cndmask_b32_e64 v29, 0, 1, s0
	v_cmp_gt_i32_e64 s0, 0, v32
	s_delay_alu instid0(VALU_DEP_2) | instskip(SKIP_1) | instid1(VALU_DEP_1)
	v_cmp_ne_u32_e32 vcc_lo, 0, v29
	v_not_b32_e32 v29, v32
	v_ashrrev_i32_e32 v29, 31, v29
	v_dual_lshlrev_b32 v34, 29, v9 :: v_dual_lshlrev_b32 v35, 28, v9
	v_dual_lshlrev_b32 v36, 27, v9 :: v_dual_lshlrev_b32 v38, 26, v9
	v_mad_u32 v40, 0x44, v9, v0
	s_delay_alu instid0(VALU_DEP_3)
	v_cmp_gt_i32_e64 s1, 0, v34
	v_not_b32_e32 v32, v34
	v_not_b32_e32 v34, v35
	v_dual_lshlrev_b32 v39, 25, v9 :: v_dual_lshlrev_b32 v9, 24, v9
	v_cmp_gt_i32_e64 s2, 0, v35
	v_cmp_gt_i32_e64 s3, 0, v36
	v_not_b32_e32 v35, v36
	v_not_b32_e32 v36, v38
	v_dual_ashrrev_i32 v34, 31, v34 :: v_dual_bitop2_b32 v8, vcc_lo, v8 bitop3:0x14
	v_dual_ashrrev_i32 v32, 31, v32 :: v_dual_bitop2_b32 v29, s0, v29 bitop3:0x14
	v_cmp_gt_i32_e64 s4, 0, v38
	s_delay_alu instid0(VALU_DEP_4) | instskip(NEXT) | instid1(VALU_DEP_4)
	v_dual_ashrrev_i32 v35, 31, v35 :: v_dual_ashrrev_i32 v36, 31, v36
	v_xor_b32_e32 v34, s2, v34
	s_delay_alu instid0(VALU_DEP_4)
	v_bitop3_b32 v8, v8, v29, exec_lo bitop3:0x80
	v_not_b32_e32 v29, v39
	v_xor_b32_e32 v32, s1, v32
	v_not_b32_e32 v38, v9
	v_xor_b32_e32 v35, s3, v35
	v_xor_b32_e32 v36, s4, v36
	v_cmp_gt_i32_e32 vcc_lo, 0, v39
	v_ashrrev_i32_e32 v29, 31, v29
	v_bitop3_b32 v8, v8, v34, v32 bitop3:0x80
	v_cmp_gt_i32_e64 s0, 0, v9
	v_ashrrev_i32_e32 v9, 31, v38
	ds_load_b32 v34, v40 offset:64
	v_xor_b32_e32 v29, vcc_lo, v29
	v_bitop3_b32 v8, v8, v36, v35 bitop3:0x80
	v_xor_b32_e32 v9, s0, v9
	; wave barrier
	s_delay_alu instid0(VALU_DEP_1) | instskip(NEXT) | instid1(VALU_DEP_1)
	v_bitop3_b32 v8, v8, v9, v29 bitop3:0x80
	v_mbcnt_lo_u32_b32 v35, v8, 0
	v_cmp_ne_u32_e64 s0, 0, v8
	s_delay_alu instid0(VALU_DEP_2) | instskip(SKIP_1) | instid1(SALU_CYCLE_1)
	v_cmp_eq_u32_e32 vcc_lo, 0, v35
	s_and_b32 s1, s0, vcc_lo
	s_and_saveexec_b32 s0, s1
	s_cbranch_execz .LBB867_103
; %bb.102:
	s_wait_dscnt 0x0
	v_bcnt_u32_b32 v8, v8, v34
	ds_store_b32 v40, v8 offset:64
.LBB867_103:
	s_or_b32 exec_lo, exec_lo, s0
	v_xor_b32_e32 v29, 0x7fffffff, v7
	; wave barrier
	s_delay_alu instid0(VALU_DEP_1) | instskip(NEXT) | instid1(VALU_DEP_1)
	v_lshrrev_b32_e32 v7, s20, v29
	v_and_b32_e32 v8, s5, v7
	s_delay_alu instid0(VALU_DEP_1) | instskip(SKIP_1) | instid1(VALU_DEP_1)
	v_lshlrev_b32_e32 v32, 30, v8
	v_bitop3_b32 v7, v7, 1, s5 bitop3:0x80
	v_add_co_u32 v7, s0, v7, -1
	s_delay_alu instid0(VALU_DEP_1) | instskip(NEXT) | instid1(VALU_DEP_4)
	v_cndmask_b32_e64 v9, 0, 1, s0
	v_cmp_gt_i32_e64 s0, 0, v32
	s_delay_alu instid0(VALU_DEP_2) | instskip(SKIP_1) | instid1(VALU_DEP_1)
	v_cmp_ne_u32_e32 vcc_lo, 0, v9
	v_not_b32_e32 v9, v32
	v_dual_ashrrev_i32 v9, 31, v9 :: v_dual_lshlrev_b32 v36, 29, v8
	v_dual_lshlrev_b32 v38, 28, v8 :: v_dual_lshlrev_b32 v39, 27, v8
	v_lshlrev_b32_e32 v41, 26, v8
	v_mad_u32 v44, 0x44, v8, v0
	s_delay_alu instid0(VALU_DEP_4)
	v_cmp_gt_i32_e64 s1, 0, v36
	v_not_b32_e32 v32, v36
	v_not_b32_e32 v36, v38
	v_dual_lshlrev_b32 v42, 25, v8 :: v_dual_lshlrev_b32 v8, 24, v8
	v_cmp_gt_i32_e64 s2, 0, v38
	v_cmp_gt_i32_e64 s3, 0, v39
	v_not_b32_e32 v38, v39
	v_not_b32_e32 v39, v41
	v_dual_ashrrev_i32 v32, 31, v32 :: v_dual_bitop2_b32 v7, vcc_lo, v7 bitop3:0x14
	v_dual_ashrrev_i32 v36, 31, v36 :: v_dual_bitop2_b32 v9, s0, v9 bitop3:0x14
	v_cmp_gt_i32_e64 s4, 0, v41
	s_delay_alu instid0(VALU_DEP_4) | instskip(SKIP_1) | instid1(VALU_DEP_4)
	v_dual_ashrrev_i32 v38, 31, v38 :: v_dual_ashrrev_i32 v39, 31, v39
	v_not_b32_e32 v41, v8
	v_xor_b32_e32 v36, s2, v36
	v_bitop3_b32 v7, v7, v9, exec_lo bitop3:0x80
	v_not_b32_e32 v9, v42
	v_xor_b32_e32 v32, s1, v32
	v_xor_b32_e32 v38, s3, v38
	;; [unrolled: 1-line block ×3, first 2 shown]
	v_cmp_gt_i32_e32 vcc_lo, 0, v42
	v_ashrrev_i32_e32 v9, 31, v9
	v_cmp_gt_i32_e64 s0, 0, v8
	v_ashrrev_i32_e32 v8, 31, v41
	v_bitop3_b32 v7, v7, v36, v32 bitop3:0x80
	s_delay_alu instid0(VALU_DEP_4) | instskip(NEXT) | instid1(VALU_DEP_3)
	v_xor_b32_e32 v9, vcc_lo, v9
	v_xor_b32_e32 v8, s0, v8
	s_delay_alu instid0(VALU_DEP_3) | instskip(SKIP_2) | instid1(VALU_DEP_1)
	v_bitop3_b32 v7, v7, v39, v38 bitop3:0x80
	ds_load_b32 v38, v44 offset:64
	; wave barrier
	v_bitop3_b32 v7, v7, v8, v9 bitop3:0x80
	v_mbcnt_lo_u32_b32 v39, v7, 0
	v_cmp_ne_u32_e64 s0, 0, v7
	s_delay_alu instid0(VALU_DEP_2) | instskip(SKIP_1) | instid1(SALU_CYCLE_1)
	v_cmp_eq_u32_e32 vcc_lo, 0, v39
	s_and_b32 s1, s0, vcc_lo
	s_and_saveexec_b32 s0, s1
	s_cbranch_execz .LBB867_105
; %bb.104:
	s_wait_dscnt 0x0
	v_bcnt_u32_b32 v7, v7, v38
	ds_store_b32 v44, v7 offset:64
.LBB867_105:
	s_or_b32 exec_lo, exec_lo, s0
	v_xor_b32_e32 v32, 0x7fffffff, v6
	; wave barrier
	s_delay_alu instid0(VALU_DEP_1) | instskip(NEXT) | instid1(VALU_DEP_1)
	v_lshrrev_b32_e32 v6, s20, v32
	v_and_b32_e32 v7, s5, v6
	s_delay_alu instid0(VALU_DEP_1) | instskip(SKIP_1) | instid1(VALU_DEP_1)
	v_lshlrev_b32_e32 v9, 30, v7
	v_bitop3_b32 v6, v6, 1, s5 bitop3:0x80
	v_add_co_u32 v6, s0, v6, -1
	s_delay_alu instid0(VALU_DEP_1) | instskip(NEXT) | instid1(VALU_DEP_4)
	v_cndmask_b32_e64 v8, 0, 1, s0
	v_cmp_gt_i32_e64 s0, 0, v9
	s_delay_alu instid0(VALU_DEP_2) | instskip(SKIP_1) | instid1(VALU_DEP_1)
	v_cmp_ne_u32_e32 vcc_lo, 0, v8
	v_not_b32_e32 v8, v9
	v_dual_ashrrev_i32 v8, 31, v8 :: v_dual_lshlrev_b32 v36, 29, v7
	v_dual_lshlrev_b32 v41, 28, v7 :: v_dual_lshlrev_b32 v42, 27, v7
	v_lshlrev_b32_e32 v43, 26, v7
	v_mad_u32 v47, 0x44, v7, v0
	s_delay_alu instid0(VALU_DEP_4)
	v_cmp_gt_i32_e64 s1, 0, v36
	v_not_b32_e32 v9, v36
	v_not_b32_e32 v36, v41
	v_dual_lshlrev_b32 v45, 25, v7 :: v_dual_lshlrev_b32 v7, 24, v7
	v_cmp_gt_i32_e64 s2, 0, v41
	v_cmp_gt_i32_e64 s3, 0, v42
	v_not_b32_e32 v41, v42
	v_not_b32_e32 v42, v43
	v_dual_ashrrev_i32 v9, 31, v9 :: v_dual_bitop2_b32 v6, vcc_lo, v6 bitop3:0x14
	s_delay_alu instid0(VALU_DEP_3) | instskip(NEXT) | instid1(VALU_DEP_3)
	v_dual_ashrrev_i32 v36, 31, v36 :: v_dual_ashrrev_i32 v41, 31, v41
	v_dual_ashrrev_i32 v42, 31, v42 :: v_dual_bitop2_b32 v8, s0, v8 bitop3:0x14
	v_cmp_gt_i32_e64 s4, 0, v43
	v_not_b32_e32 v43, v7
	s_delay_alu instid0(VALU_DEP_4) | instskip(NEXT) | instid1(VALU_DEP_4)
	v_xor_b32_e32 v36, s2, v36
	v_bitop3_b32 v6, v6, v8, exec_lo bitop3:0x80
	v_not_b32_e32 v8, v45
	v_xor_b32_e32 v9, s1, v9
	v_xor_b32_e32 v41, s3, v41
	;; [unrolled: 1-line block ×3, first 2 shown]
	v_cmp_gt_i32_e32 vcc_lo, 0, v45
	v_ashrrev_i32_e32 v8, 31, v8
	v_cmp_gt_i32_e64 s0, 0, v7
	v_ashrrev_i32_e32 v7, 31, v43
	v_bitop3_b32 v6, v6, v36, v9 bitop3:0x80
	s_delay_alu instid0(VALU_DEP_4) | instskip(NEXT) | instid1(VALU_DEP_3)
	v_xor_b32_e32 v8, vcc_lo, v8
	v_xor_b32_e32 v7, s0, v7
	s_delay_alu instid0(VALU_DEP_3) | instskip(SKIP_2) | instid1(VALU_DEP_1)
	v_bitop3_b32 v6, v6, v42, v41 bitop3:0x80
	ds_load_b32 v42, v47 offset:64
	; wave barrier
	v_bitop3_b32 v6, v6, v7, v8 bitop3:0x80
	v_mbcnt_lo_u32_b32 v43, v6, 0
	v_cmp_ne_u32_e64 s0, 0, v6
	s_delay_alu instid0(VALU_DEP_2) | instskip(SKIP_1) | instid1(SALU_CYCLE_1)
	v_cmp_eq_u32_e32 vcc_lo, 0, v43
	s_and_b32 s1, s0, vcc_lo
	s_and_saveexec_b32 s0, s1
	s_cbranch_execz .LBB867_107
; %bb.106:
	s_wait_dscnt 0x0
	v_bcnt_u32_b32 v6, v6, v42
	ds_store_b32 v47, v6 offset:64
.LBB867_107:
	s_or_b32 exec_lo, exec_lo, s0
	v_xor_b32_e32 v36, 0x7fffffff, v4
	; wave barrier
	s_delay_alu instid0(VALU_DEP_1) | instskip(NEXT) | instid1(VALU_DEP_1)
	v_lshrrev_b32_e32 v4, s20, v36
	v_and_b32_e32 v6, s5, v4
	s_delay_alu instid0(VALU_DEP_1) | instskip(SKIP_1) | instid1(VALU_DEP_1)
	v_lshlrev_b32_e32 v8, 30, v6
	v_bitop3_b32 v4, v4, 1, s5 bitop3:0x80
	v_add_co_u32 v4, s0, v4, -1
	s_delay_alu instid0(VALU_DEP_1) | instskip(NEXT) | instid1(VALU_DEP_4)
	v_cndmask_b32_e64 v7, 0, 1, s0
	v_cmp_gt_i32_e64 s0, 0, v8
	s_delay_alu instid0(VALU_DEP_2) | instskip(SKIP_1) | instid1(VALU_DEP_1)
	v_cmp_ne_u32_e32 vcc_lo, 0, v7
	v_not_b32_e32 v7, v8
	v_dual_ashrrev_i32 v7, 31, v7 :: v_dual_lshlrev_b32 v9, 29, v6
	v_dual_lshlrev_b32 v41, 28, v6 :: v_dual_lshlrev_b32 v45, 27, v6
	v_lshlrev_b32_e32 v46, 26, v6
	v_mad_u32 v51, 0x44, v6, v0
	s_delay_alu instid0(VALU_DEP_4)
	v_cmp_gt_i32_e64 s1, 0, v9
	v_not_b32_e32 v8, v9
	v_not_b32_e32 v9, v41
	v_dual_lshlrev_b32 v48, 25, v6 :: v_dual_lshlrev_b32 v6, 24, v6
	v_cmp_gt_i32_e64 s2, 0, v41
	v_cmp_gt_i32_e64 s3, 0, v45
	v_not_b32_e32 v41, v45
	v_not_b32_e32 v45, v46
	v_dual_ashrrev_i32 v9, 31, v9 :: v_dual_bitop2_b32 v4, vcc_lo, v4 bitop3:0x14
	v_dual_ashrrev_i32 v8, 31, v8 :: v_dual_bitop2_b32 v7, s0, v7 bitop3:0x14
	v_cmp_gt_i32_e64 s4, 0, v46
	v_ashrrev_i32_e32 v41, 31, v41
	v_not_b32_e32 v46, v6
	s_delay_alu instid0(VALU_DEP_4)
	v_xor_b32_e32 v8, s1, v8
	v_xor_b32_e32 v9, s2, v9
	v_bitop3_b32 v4, v4, v7, exec_lo bitop3:0x80
	v_not_b32_e32 v7, v48
	v_ashrrev_i32_e32 v45, 31, v45
	v_xor_b32_e32 v41, s3, v41
	v_cmp_gt_i32_e32 vcc_lo, 0, v48
	v_cmp_gt_i32_e64 s0, 0, v6
	s_delay_alu instid0(VALU_DEP_4)
	v_dual_ashrrev_i32 v7, 31, v7 :: v_dual_bitop2_b32 v45, s4, v45 bitop3:0x14
	v_ashrrev_i32_e32 v6, 31, v46
	v_bitop3_b32 v4, v4, v9, v8 bitop3:0x80
	ds_load_b32 v46, v51 offset:64
	v_xor_b32_e32 v7, vcc_lo, v7
	v_xor_b32_e32 v6, s0, v6
	v_bitop3_b32 v4, v4, v45, v41 bitop3:0x80
	; wave barrier
	s_delay_alu instid0(VALU_DEP_1) | instskip(NEXT) | instid1(VALU_DEP_1)
	v_bitop3_b32 v4, v4, v6, v7 bitop3:0x80
	v_mbcnt_lo_u32_b32 v48, v4, 0
	v_cmp_ne_u32_e64 s0, 0, v4
	s_delay_alu instid0(VALU_DEP_2) | instskip(SKIP_1) | instid1(SALU_CYCLE_1)
	v_cmp_eq_u32_e32 vcc_lo, 0, v48
	s_and_b32 s1, s0, vcc_lo
	s_and_saveexec_b32 s0, s1
	s_cbranch_execz .LBB867_109
; %bb.108:
	s_wait_dscnt 0x0
	v_bcnt_u32_b32 v4, v4, v46
	ds_store_b32 v51, v4 offset:64
.LBB867_109:
	s_or_b32 exec_lo, exec_lo, s0
	v_xor_b32_e32 v41, 0x7fffffff, v3
	; wave barrier
	s_delay_alu instid0(VALU_DEP_1) | instskip(NEXT) | instid1(VALU_DEP_1)
	v_lshrrev_b32_e32 v3, s20, v41
	v_and_b32_e32 v4, s5, v3
	s_delay_alu instid0(VALU_DEP_1) | instskip(SKIP_1) | instid1(VALU_DEP_1)
	v_lshlrev_b32_e32 v7, 30, v4
	v_bitop3_b32 v3, v3, 1, s5 bitop3:0x80
	v_add_co_u32 v3, s0, v3, -1
	s_delay_alu instid0(VALU_DEP_1) | instskip(NEXT) | instid1(VALU_DEP_4)
	v_cndmask_b32_e64 v6, 0, 1, s0
	v_cmp_gt_i32_e64 s0, 0, v7
	s_delay_alu instid0(VALU_DEP_2) | instskip(SKIP_1) | instid1(VALU_DEP_1)
	v_cmp_ne_u32_e32 vcc_lo, 0, v6
	v_not_b32_e32 v6, v7
	v_dual_ashrrev_i32 v6, 31, v6 :: v_dual_lshlrev_b32 v8, 29, v4
	v_dual_lshlrev_b32 v9, 28, v4 :: v_dual_lshlrev_b32 v45, 27, v4
	v_lshlrev_b32_e32 v49, 26, v4
	v_mad_u32 v54, 0x44, v4, v0
	s_delay_alu instid0(VALU_DEP_4)
	v_cmp_gt_i32_e64 s1, 0, v8
	v_not_b32_e32 v7, v8
	v_not_b32_e32 v8, v9
	v_dual_lshlrev_b32 v50, 25, v4 :: v_dual_lshlrev_b32 v4, 24, v4
	v_cmp_gt_i32_e64 s2, 0, v9
	v_cmp_gt_i32_e64 s3, 0, v45
	v_not_b32_e32 v9, v45
	v_not_b32_e32 v45, v49
	v_dual_ashrrev_i32 v8, 31, v8 :: v_dual_bitop2_b32 v3, vcc_lo, v3 bitop3:0x14
	v_dual_ashrrev_i32 v7, 31, v7 :: v_dual_bitop2_b32 v6, s0, v6 bitop3:0x14
	v_cmp_gt_i32_e64 s4, 0, v49
	v_ashrrev_i32_e32 v9, 31, v9
	s_delay_alu instid0(VALU_DEP_4) | instskip(NEXT) | instid1(VALU_DEP_4)
	v_dual_ashrrev_i32 v45, 31, v45 :: v_dual_bitop2_b32 v8, s2, v8 bitop3:0x14
	v_xor_b32_e32 v7, s1, v7
	v_bitop3_b32 v3, v3, v6, exec_lo bitop3:0x80
	v_not_b32_e32 v6, v50
	v_not_b32_e32 v49, v4
	v_xor_b32_e32 v9, s3, v9
	v_xor_b32_e32 v45, s4, v45
	v_bitop3_b32 v3, v3, v8, v7 bitop3:0x80
	v_cmp_gt_i32_e32 vcc_lo, 0, v50
	v_ashrrev_i32_e32 v6, 31, v6
	v_cmp_gt_i32_e64 s0, 0, v4
	v_ashrrev_i32_e32 v4, 31, v49
	v_bitop3_b32 v3, v3, v45, v9 bitop3:0x80
	ds_load_b32 v50, v54 offset:64
	v_xor_b32_e32 v6, vcc_lo, v6
	v_xor_b32_e32 v4, s0, v4
	; wave barrier
	s_delay_alu instid0(VALU_DEP_1) | instskip(NEXT) | instid1(VALU_DEP_1)
	v_bitop3_b32 v3, v3, v4, v6 bitop3:0x80
	v_mbcnt_lo_u32_b32 v52, v3, 0
	v_cmp_ne_u32_e64 s0, 0, v3
	s_delay_alu instid0(VALU_DEP_2) | instskip(SKIP_1) | instid1(SALU_CYCLE_1)
	v_cmp_eq_u32_e32 vcc_lo, 0, v52
	s_and_b32 s1, s0, vcc_lo
	s_and_saveexec_b32 s0, s1
	s_cbranch_execz .LBB867_111
; %bb.110:
	s_wait_dscnt 0x0
	v_bcnt_u32_b32 v3, v3, v50
	ds_store_b32 v54, v3 offset:64
.LBB867_111:
	s_or_b32 exec_lo, exec_lo, s0
	v_xor_b32_e32 v45, 0x7fffffff, v2
	; wave barrier
	s_delay_alu instid0(VALU_DEP_1) | instskip(NEXT) | instid1(VALU_DEP_1)
	v_lshrrev_b32_e32 v2, s20, v45
	v_and_b32_e32 v3, s5, v2
	s_delay_alu instid0(VALU_DEP_1) | instskip(SKIP_1) | instid1(VALU_DEP_1)
	v_lshlrev_b32_e32 v6, 30, v3
	v_bitop3_b32 v2, v2, 1, s5 bitop3:0x80
	v_add_co_u32 v2, s0, v2, -1
	s_delay_alu instid0(VALU_DEP_1) | instskip(NEXT) | instid1(VALU_DEP_4)
	v_cndmask_b32_e64 v4, 0, 1, s0
	v_cmp_gt_i32_e64 s0, 0, v6
	s_delay_alu instid0(VALU_DEP_2) | instskip(SKIP_1) | instid1(VALU_DEP_1)
	v_cmp_ne_u32_e32 vcc_lo, 0, v4
	v_not_b32_e32 v4, v6
	v_dual_ashrrev_i32 v4, 31, v4 :: v_dual_lshlrev_b32 v7, 29, v3
	v_dual_lshlrev_b32 v8, 28, v3 :: v_dual_lshlrev_b32 v9, 27, v3
	v_lshlrev_b32_e32 v49, 26, v3
	v_mad_u32 v56, 0x44, v3, v0
	s_delay_alu instid0(VALU_DEP_4)
	v_cmp_gt_i32_e64 s1, 0, v7
	v_not_b32_e32 v6, v7
	v_not_b32_e32 v7, v8
	v_dual_lshlrev_b32 v53, 25, v3 :: v_dual_lshlrev_b32 v3, 24, v3
	v_cmp_gt_i32_e64 s2, 0, v8
	v_cmp_gt_i32_e64 s3, 0, v9
	v_not_b32_e32 v8, v9
	v_not_b32_e32 v9, v49
	v_dual_ashrrev_i32 v7, 31, v7 :: v_dual_bitop2_b32 v2, vcc_lo, v2 bitop3:0x14
	v_dual_ashrrev_i32 v6, 31, v6 :: v_dual_bitop2_b32 v4, s0, v4 bitop3:0x14
	v_cmp_gt_i32_e64 s4, 0, v49
	s_delay_alu instid0(VALU_DEP_4)
	v_dual_ashrrev_i32 v8, 31, v8 :: v_dual_ashrrev_i32 v9, 31, v9
	v_not_b32_e32 v49, v3
	v_xor_b32_e32 v7, s2, v7
	v_bitop3_b32 v2, v2, v4, exec_lo bitop3:0x80
	v_not_b32_e32 v4, v53
	v_xor_b32_e32 v6, s1, v6
	v_xor_b32_e32 v8, s3, v8
	;; [unrolled: 1-line block ×3, first 2 shown]
	v_cmp_gt_i32_e32 vcc_lo, 0, v53
	v_ashrrev_i32_e32 v4, 31, v4
	v_cmp_gt_i32_e64 s0, 0, v3
	v_ashrrev_i32_e32 v3, 31, v49
	v_bitop3_b32 v2, v2, v7, v6 bitop3:0x80
	ds_load_b32 v53, v56 offset:64
	v_xor_b32_e32 v4, vcc_lo, v4
	v_xor_b32_e32 v3, s0, v3
	v_bitop3_b32 v2, v2, v9, v8 bitop3:0x80
	; wave barrier
	s_delay_alu instid0(VALU_DEP_1) | instskip(NEXT) | instid1(VALU_DEP_1)
	v_bitop3_b32 v2, v2, v3, v4 bitop3:0x80
	v_mbcnt_lo_u32_b32 v55, v2, 0
	v_cmp_ne_u32_e64 s0, 0, v2
	s_delay_alu instid0(VALU_DEP_2) | instskip(SKIP_1) | instid1(SALU_CYCLE_1)
	v_cmp_eq_u32_e32 vcc_lo, 0, v55
	s_and_b32 s1, s0, vcc_lo
	s_and_saveexec_b32 s0, s1
	s_cbranch_execz .LBB867_113
; %bb.112:
	s_wait_dscnt 0x0
	v_bcnt_u32_b32 v2, v2, v53
	ds_store_b32 v56, v2 offset:64
.LBB867_113:
	s_or_b32 exec_lo, exec_lo, s0
	v_xor_b32_e32 v49, 0x7fffffff, v1
	; wave barrier
	s_delay_alu instid0(VALU_DEP_1) | instskip(NEXT) | instid1(VALU_DEP_1)
	v_lshrrev_b32_e32 v1, s20, v49
	v_and_b32_e32 v2, s5, v1
	s_delay_alu instid0(VALU_DEP_1) | instskip(SKIP_2) | instid1(VALU_DEP_2)
	v_lshlrev_b32_e32 v3, 30, v2
	v_bitop3_b32 v1, v1, 1, s5 bitop3:0x80
	v_mad_u32 v59, 0x44, v2, v0
	v_add_co_u32 v0, s0, v1, -1
	s_delay_alu instid0(VALU_DEP_1) | instskip(SKIP_4) | instid1(VALU_DEP_1)
	v_cndmask_b32_e64 v1, 0, 1, s0
	v_cmp_gt_i32_e64 s0, 0, v3
	ds_load_b32 v57, v59 offset:64
	v_cmp_ne_u32_e32 vcc_lo, 0, v1
	v_not_b32_e32 v1, v3
	; wave barrier
	v_dual_ashrrev_i32 v1, 31, v1 :: v_dual_lshlrev_b32 v4, 29, v2
	v_dual_lshlrev_b32 v6, 28, v2 :: v_dual_lshlrev_b32 v7, 27, v2
	v_dual_lshlrev_b32 v8, 26, v2 :: v_dual_lshlrev_b32 v9, 25, v2
	v_lshlrev_b32_e32 v2, 24, v2
	s_delay_alu instid0(VALU_DEP_4)
	v_cmp_gt_i32_e64 s1, 0, v4
	v_not_b32_e32 v3, v4
	v_not_b32_e32 v4, v6
	v_cmp_gt_i32_e64 s2, 0, v6
	v_cmp_gt_i32_e64 s3, 0, v7
	v_not_b32_e32 v6, v7
	v_not_b32_e32 v7, v8
	v_dual_ashrrev_i32 v3, 31, v3 :: v_dual_bitop2_b32 v0, vcc_lo, v0 bitop3:0x14
	v_dual_ashrrev_i32 v4, 31, v4 :: v_dual_bitop2_b32 v1, s0, v1 bitop3:0x14
	v_cmp_gt_i32_e64 s4, 0, v8
	s_delay_alu instid0(VALU_DEP_4) | instskip(NEXT) | instid1(VALU_DEP_3)
	v_dual_ashrrev_i32 v6, 31, v6 :: v_dual_ashrrev_i32 v7, 31, v7
	v_xor_b32_e32 v4, s2, v4
	s_delay_alu instid0(VALU_DEP_4)
	v_bitop3_b32 v0, v0, v1, exec_lo bitop3:0x80
	v_not_b32_e32 v1, v9
	v_xor_b32_e32 v3, s1, v3
	v_not_b32_e32 v8, v2
	v_xor_b32_e32 v6, s3, v6
	v_xor_b32_e32 v7, s4, v7
	v_cmp_gt_i32_e32 vcc_lo, 0, v9
	v_ashrrev_i32_e32 v1, 31, v1
	v_bitop3_b32 v0, v0, v4, v3 bitop3:0x80
	v_cmp_gt_i32_e64 s0, 0, v2
	s_delay_alu instid0(VALU_DEP_3) | instskip(NEXT) | instid1(VALU_DEP_3)
	v_dual_ashrrev_i32 v2, 31, v8 :: v_dual_bitop2_b32 v1, vcc_lo, v1 bitop3:0x14
	v_bitop3_b32 v0, v0, v7, v6 bitop3:0x80
	s_delay_alu instid0(VALU_DEP_2) | instskip(NEXT) | instid1(VALU_DEP_1)
	v_xor_b32_e32 v2, s0, v2
	v_bitop3_b32 v0, v0, v2, v1 bitop3:0x80
	s_delay_alu instid0(VALU_DEP_1) | instskip(SKIP_1) | instid1(VALU_DEP_2)
	v_mbcnt_lo_u32_b32 v58, v0, 0
	v_cmp_ne_u32_e64 s0, 0, v0
	v_cmp_eq_u32_e32 vcc_lo, 0, v58
	s_and_b32 s1, s0, vcc_lo
	s_delay_alu instid0(SALU_CYCLE_1)
	s_and_saveexec_b32 s0, s1
	s_cbranch_execz .LBB867_115
; %bb.114:
	s_wait_dscnt 0x0
	v_bcnt_u32_b32 v0, v0, v57
	ds_store_b32 v59, v0 offset:64
.LBB867_115:
	s_or_b32 exec_lo, exec_lo, s0
	; wave barrier
	s_wait_dscnt 0x0
	s_barrier_signal -1
	s_barrier_wait -1
	ds_load_2addr_b32 v[8:9], v10 offset0:16 offset1:17
	ds_load_2addr_b32 v[6:7], v10 offset0:18 offset1:19
	;; [unrolled: 1-line block ×4, first 2 shown]
	ds_load_b32 v4, v10 offset:96
	v_min_u32_e32 v17, 0x1e0, v17
	s_mov_b32 s4, exec_lo
	s_delay_alu instid0(VALU_DEP_1) | instskip(SKIP_3) | instid1(VALU_DEP_1)
	v_or_b32_e32 v62, 31, v17
	s_wait_dscnt 0x3
	v_add3_u32 v60, v9, v8, v6
	s_wait_dscnt 0x2
	v_add3_u32 v60, v60, v7, v2
	s_wait_dscnt 0x1
	s_delay_alu instid0(VALU_DEP_1) | instskip(SKIP_1) | instid1(VALU_DEP_1)
	v_add3_u32 v60, v60, v3, v0
	s_wait_dscnt 0x0
	v_add3_u32 v4, v60, v1, v4
	v_and_b32_e32 v60, 15, v16
	s_delay_alu instid0(VALU_DEP_2) | instskip(NEXT) | instid1(VALU_DEP_2)
	v_mov_b32_dpp v61, v4 row_shr:1 row_mask:0xf bank_mask:0xf
	v_cmp_eq_u32_e32 vcc_lo, 0, v60
	v_cmp_lt_u32_e64 s0, 1, v60
	s_delay_alu instid0(VALU_DEP_3) | instskip(NEXT) | instid1(VALU_DEP_1)
	v_cndmask_b32_e64 v61, v61, 0, vcc_lo
	v_add_nc_u32_e32 v4, v61, v4
	s_delay_alu instid0(VALU_DEP_1) | instskip(NEXT) | instid1(VALU_DEP_1)
	v_mov_b32_dpp v61, v4 row_shr:2 row_mask:0xf bank_mask:0xf
	v_cndmask_b32_e64 v61, 0, v61, s0
	v_cmp_lt_u32_e64 s2, 7, v60
	v_cmp_lt_u32_e64 s1, 3, v60
	s_delay_alu instid0(VALU_DEP_3) | instskip(NEXT) | instid1(VALU_DEP_1)
	v_add_nc_u32_e32 v4, v4, v61
	v_mov_b32_dpp v61, v4 row_shr:4 row_mask:0xf bank_mask:0xf
	s_delay_alu instid0(VALU_DEP_1) | instskip(NEXT) | instid1(VALU_DEP_1)
	v_cndmask_b32_e64 v61, 0, v61, s1
	v_add_nc_u32_e32 v4, v4, v61
	s_delay_alu instid0(VALU_DEP_1) | instskip(NEXT) | instid1(VALU_DEP_1)
	v_mov_b32_dpp v61, v4 row_shr:8 row_mask:0xf bank_mask:0xf
	v_cndmask_b32_e64 v60, 0, v61, s2
	v_bfe_i32 v61, v16, 4, 1
	s_delay_alu instid0(VALU_DEP_2) | instskip(SKIP_3) | instid1(VALU_DEP_1)
	v_add_nc_u32_e32 v4, v4, v60
	ds_swizzle_b32 v60, v4 offset:swizzle(BROADCAST,32,15)
	s_wait_dscnt 0x0
	v_dual_lshrrev_b32 v60, 5, v14 :: v_dual_bitop2_b32 v61, v61, v60 bitop3:0x40
	v_add_nc_u32_e32 v17, v4, v61
	v_cmpx_eq_u32_e64 v14, v62
; %bb.116:
	s_delay_alu instid0(VALU_DEP_3)
	v_lshlrev_b32_e32 v4, 2, v60
	ds_store_b32 v4, v17
; %bb.117:
	s_or_b32 exec_lo, exec_lo, s4
	v_lshlrev_b32_e32 v4, 2, v14
	s_mov_b32 s4, exec_lo
	s_wait_dscnt 0x0
	s_barrier_signal -1
	s_barrier_wait -1
	v_cmpx_gt_u32_e32 16, v14
	s_cbranch_execz .LBB867_119
; %bb.118:
	ds_load_b32 v61, v4
	s_wait_dscnt 0x0
	v_mov_b32_dpp v62, v61 row_shr:1 row_mask:0xf bank_mask:0xf
	s_delay_alu instid0(VALU_DEP_1) | instskip(NEXT) | instid1(VALU_DEP_1)
	v_cndmask_b32_e64 v62, v62, 0, vcc_lo
	v_add_nc_u32_e32 v61, v62, v61
	s_delay_alu instid0(VALU_DEP_1) | instskip(NEXT) | instid1(VALU_DEP_1)
	v_mov_b32_dpp v62, v61 row_shr:2 row_mask:0xf bank_mask:0xf
	v_cndmask_b32_e64 v62, 0, v62, s0
	s_delay_alu instid0(VALU_DEP_1) | instskip(NEXT) | instid1(VALU_DEP_1)
	v_add_nc_u32_e32 v61, v61, v62
	v_mov_b32_dpp v62, v61 row_shr:4 row_mask:0xf bank_mask:0xf
	s_delay_alu instid0(VALU_DEP_1) | instskip(NEXT) | instid1(VALU_DEP_1)
	v_cndmask_b32_e64 v62, 0, v62, s1
	v_add_nc_u32_e32 v61, v61, v62
	s_delay_alu instid0(VALU_DEP_1) | instskip(NEXT) | instid1(VALU_DEP_1)
	v_mov_b32_dpp v62, v61 row_shr:8 row_mask:0xf bank_mask:0xf
	v_cndmask_b32_e64 v62, 0, v62, s2
	s_delay_alu instid0(VALU_DEP_1)
	v_add_nc_u32_e32 v61, v61, v62
	ds_store_b32 v4, v61
.LBB867_119:
	s_or_b32 exec_lo, exec_lo, s4
	v_mov_b32_e32 v61, 0
	s_mov_b32 s0, exec_lo
	s_wait_dscnt 0x0
	s_barrier_signal -1
	s_barrier_wait -1
	v_cmpx_lt_u32_e32 31, v14
; %bb.120:
	v_lshl_add_u32 v60, v60, 2, -4
	ds_load_b32 v61, v60
; %bb.121:
	s_or_b32 exec_lo, exec_lo, s0
	v_sub_co_u32 v60, vcc_lo, v16, 1
	s_wait_dscnt 0x0
	v_add_nc_u32_e32 v17, v61, v17
	s_delay_alu instid0(VALU_DEP_2) | instskip(NEXT) | instid1(VALU_DEP_1)
	v_cmp_gt_i32_e64 s0, 0, v60
	v_cndmask_b32_e64 v16, v60, v16, s0
	v_cmp_lt_u32_e64 s0, 0xff, v14
	s_delay_alu instid0(VALU_DEP_2) | instskip(SKIP_4) | instid1(VALU_DEP_2)
	v_lshlrev_b32_e32 v16, 2, v16
	ds_bpermute_b32 v16, v16, v17
	s_wait_dscnt 0x0
	v_cndmask_b32_e32 v16, v16, v61, vcc_lo
	v_cmp_ne_u32_e32 vcc_lo, 0, v14
	v_cndmask_b32_e32 v16, 0, v16, vcc_lo
	v_cmp_gt_u32_e32 vcc_lo, 0x100, v14
	s_delay_alu instid0(VALU_DEP_2) | instskip(NEXT) | instid1(VALU_DEP_1)
	v_add_nc_u32_e32 v8, v16, v8
	v_add_nc_u32_e32 v9, v8, v9
	s_delay_alu instid0(VALU_DEP_1) | instskip(NEXT) | instid1(VALU_DEP_1)
	v_add_nc_u32_e32 v6, v9, v6
	v_add_nc_u32_e32 v7, v6, v7
	s_delay_alu instid0(VALU_DEP_1) | instskip(NEXT) | instid1(VALU_DEP_1)
	;; [unrolled: 3-line block ×3, first 2 shown]
	v_add_nc_u32_e32 v0, v3, v0
	v_add_nc_u32_e32 v1, v0, v1
	ds_store_2addr_b32 v10, v16, v8 offset0:16 offset1:17
	ds_store_2addr_b32 v10, v9, v6 offset0:18 offset1:19
	ds_store_2addr_b32 v10, v7, v2 offset0:20 offset1:21
	ds_store_2addr_b32 v10, v3, v0 offset0:22 offset1:23
	ds_store_b32 v10, v1 offset:96
	s_wait_dscnt 0x0
	s_barrier_signal -1
	s_barrier_wait -1
	ds_load_b32 v62, v11 offset:64
	ds_load_b32 v60, v12 offset:64
	;; [unrolled: 1-line block ×12, first 2 shown]
	v_mov_b64_e32 v[0:1], 0
                                        ; implicit-def: $vgpr2
	s_and_saveexec_b32 s2, vcc_lo
	s_cbranch_execz .LBB867_125
; %bb.122:
	v_mul_u32_u24_e32 v0, 0x44, v14
	v_dual_mov_b32 v1, 0x1800 :: v_dual_add_nc_u32 v2, 1, v14
	s_mov_b32 s3, exec_lo
	ds_load_b32 v0, v0 offset:64
	v_cmpx_ne_u32_e32 0x100, v2
; %bb.123:
	v_mul_u32_u24_e32 v1, 0x44, v2
	ds_load_b32 v1, v1 offset:64
; %bb.124:
	s_or_b32 exec_lo, exec_lo, s3
	s_wait_dscnt 0x0
	v_dual_mov_b32 v1, 0 :: v_dual_sub_nc_u32 v2, v1, v0
.LBB867_125:
	s_or_b32 exec_lo, exec_lo, s2
	v_dual_mov_b32 v7, 0 :: v_dual_lshlrev_b32 v3, 3, v14
	s_wait_dscnt 0x0
	s_barrier_signal -1
	s_barrier_wait -1
	s_and_saveexec_b32 s1, vcc_lo
	s_cbranch_execz .LBB867_135
; %bb.126:
	v_lshl_add_u32 v6, s9, 8, v14
	v_dual_mov_b32 v10, 0 :: v_dual_bitop2_b32 v11, 2.0, v2 bitop3:0x54
	s_mov_b32 s2, 0
	s_mov_b32 s3, s9
	s_delay_alu instid0(VALU_DEP_2)
	v_lshl_add_u64 v[8:9], v[6:7], 2, s[10:11]
	global_store_b32 v6, v11, s[10:11] scale_offset scope:SCOPE_DEV
                                        ; implicit-def: $sgpr4
	s_branch .LBB867_129
.LBB867_127:                            ;   in Loop: Header=BB867_129 Depth=1
	s_or_b32 exec_lo, exec_lo, s6
.LBB867_128:                            ;   in Loop: Header=BB867_129 Depth=1
	s_delay_alu instid0(SALU_CYCLE_1) | instskip(SKIP_2) | instid1(VALU_DEP_2)
	s_or_b32 exec_lo, exec_lo, s4
	v_and_b32_e32 v6, 0x3fffffff, v11
	v_cmp_gt_i32_e64 s4, -2.0, v11
	v_add_nc_u32_e32 v10, v6, v10
	s_and_b32 s6, exec_lo, s4
	s_delay_alu instid0(SALU_CYCLE_1) | instskip(NEXT) | instid1(SALU_CYCLE_1)
	s_or_b32 s2, s6, s2
	s_and_not1_b32 exec_lo, exec_lo, s2
	s_cbranch_execz .LBB867_134
.LBB867_129:                            ; =>This Loop Header: Depth=1
                                        ;     Child Loop BB867_132 Depth 2
	s_or_b32 s4, s4, exec_lo
	s_cmp_eq_u32 s3, 0
	s_cbranch_scc1 .LBB867_133
; %bb.130:                              ;   in Loop: Header=BB867_129 Depth=1
	s_add_co_i32 s3, s3, -1
	s_mov_b32 s4, exec_lo
	s_wait_xcnt 0x0
	v_lshl_or_b32 v6, s3, 8, v14
	global_load_b32 v11, v6, s[10:11] scale_offset scope:SCOPE_DEV
	s_wait_loadcnt 0x0
	v_cmpx_gt_u32_e32 2.0, v11
	s_cbranch_execz .LBB867_128
; %bb.131:                              ;   in Loop: Header=BB867_129 Depth=1
	v_lshl_add_u64 v[12:13], v[6:7], 2, s[10:11]
	s_mov_b32 s6, 0
.LBB867_132:                            ;   Parent Loop BB867_129 Depth=1
                                        ; =>  This Inner Loop Header: Depth=2
	global_load_b32 v11, v[12:13], off scope:SCOPE_DEV
	s_wait_loadcnt 0x0
	v_cmp_lt_u32_e32 vcc_lo, 0x3fffffff, v11
	s_or_b32 s6, vcc_lo, s6
	s_wait_xcnt 0x0
	s_and_not1_b32 exec_lo, exec_lo, s6
	s_cbranch_execnz .LBB867_132
	s_branch .LBB867_127
.LBB867_133:                            ;   in Loop: Header=BB867_129 Depth=1
                                        ; implicit-def: $sgpr3
	s_and_b32 s6, exec_lo, s4
	s_delay_alu instid0(SALU_CYCLE_1)
	s_or_b32 s2, s6, s2
	s_wait_xcnt 0x0
	s_and_not1_b32 exec_lo, exec_lo, s2
	s_cbranch_execnz .LBB867_129
.LBB867_134:
	s_or_b32 exec_lo, exec_lo, s2
	v_dual_mov_b32 v11, 0 :: v_dual_add_nc_u32 v6, v10, v2
	s_delay_alu instid0(VALU_DEP_1) | instskip(SKIP_4) | instid1(VALU_DEP_1)
	v_or_b32_e32 v6, 0x80000000, v6
	global_store_b32 v[8:9], v6, off scope:SCOPE_DEV
	global_load_b64 v[6:7], v14, s[12:13] scale_offset
	v_sub_nc_u64_e32 v[8:9], v[10:11], v[0:1]
	s_wait_loadcnt 0x0
	v_add_nc_u64_e32 v[6:7], v[8:9], v[6:7]
	ds_store_b64 v3, v[6:7]
.LBB867_135:
	s_wait_xcnt 0x0
	s_or_b32 exec_lo, exec_lo, s1
	v_dual_add_nc_u32 v6, v62, v5 :: v_dual_sub_nc_u32 v56, 0, v4
	v_mov_b32_e32 v5, 0
	v_add3_u32 v21, v22, v60, v21
	v_add3_u32 v7, v58, v54, v57
	;; [unrolled: 1-line block ×3, first 2 shown]
	v_add_nc_u32_e32 v22, v3, v56
	v_add_nc_u64_e32 v[4:5], s[18:19], v[4:5]
	v_add3_u32 v9, v52, v47, v50
	v_add3_u32 v10, v48, v44, v46
	;; [unrolled: 1-line block ×6, first 2 shown]
	v_add_nc_u64_e32 v[4:5], 0x2000, v[4:5]
	v_add3_u32 v17, v28, v17, v27
	v_add3_u32 v24, v25, v61, v24
	v_mov_b32_e32 v25, v14
	s_mov_b32 s1, 0
	s_mov_b32 s2, -1
	s_branch .LBB867_137
.LBB867_136:                            ;   in Loop: Header=BB867_137 Depth=1
	s_wait_xcnt 0x0
	s_or_b32 exec_lo, exec_lo, s3
	v_add_nc_u64_e32 v[4:5], 0x4000, v[4:5]
	v_add_nc_u32_e32 v25, 0x1000, v25
	s_xor_b32 s2, s2, -1
	s_addk_co_i32 s1, 0xf000
	s_and_b32 vcc_lo, exec_lo, s2
	s_mov_b32 s2, 0
	s_wait_storecnt 0x0
	s_barrier_signal -1
	s_barrier_wait -1
	s_cbranch_vccnz .LBB867_147
.LBB867_137:                            ; =>This Inner Loop Header: Depth=1
	v_add_min_u32_e64 v27, v6, s1, 0x1000
	v_add_min_u32_e64 v28, v21, s1, 0x1000
	v_add_min_u32_e64 v30, v24, s1, 0x1000
	v_add_min_u32_e64 v31, v17, s1, 0x1000
	v_add_min_u32_e64 v33, v16, s1, 0x1000
	s_delay_alu instid0(VALU_DEP_4)
	v_dual_lshlrev_b32 v27, 2, v27 :: v_dual_lshlrev_b32 v28, 2, v28
	v_add_min_u32_e64 v34, v13, s1, 0x1000
	v_add_min_u32_e64 v35, v12, s1, 0x1000
	s_mov_b32 s3, exec_lo
	ds_store_b32 v27, v15 offset:2048
	ds_store_b32 v28, v18 offset:2048
	v_dual_lshlrev_b32 v27, 2, v30 :: v_dual_lshlrev_b32 v28, 2, v31
	v_dual_lshlrev_b32 v30, 2, v33 :: v_dual_lshlrev_b32 v31, 2, v34
	v_lshlrev_b32_e32 v33, 2, v35
	ds_store_b32 v27, v19 offset:2048
	ds_store_b32 v28, v20 offset:2048
	;; [unrolled: 1-line block ×5, first 2 shown]
	v_add_min_u32_e64 v27, v11, s1, 0x1000
	v_add_min_u32_e64 v28, v10, s1, 0x1000
	;; [unrolled: 1-line block ×5, first 2 shown]
	s_delay_alu instid0(VALU_DEP_4) | instskip(NEXT) | instid1(VALU_DEP_3)
	v_dual_lshlrev_b32 v27, 2, v27 :: v_dual_lshlrev_b32 v28, 2, v28
	v_dual_lshlrev_b32 v30, 2, v30 :: v_dual_lshlrev_b32 v31, 2, v31
	s_delay_alu instid0(VALU_DEP_3)
	v_lshlrev_b32_e32 v33, 2, v33
	ds_store_b32 v27, v32 offset:2048
	ds_store_b32 v28, v36 offset:2048
	;; [unrolled: 1-line block ×5, first 2 shown]
	s_wait_storecnt_dscnt 0x0
	s_barrier_signal -1
	s_barrier_wait -1
	ds_load_2addr_stride64_b32 v[30:31], v22 offset0:8 offset1:16
	s_wait_dscnt 0x0
	v_dual_lshrrev_b32 v27, s20, v31 :: v_dual_lshrrev_b32 v28, s20, v30
	s_delay_alu instid0(VALU_DEP_1) | instskip(NEXT) | instid1(VALU_DEP_1)
	v_and_b32_e32 v28, s5, v28
	v_dual_lshlrev_b32 v28, 3, v28 :: v_dual_bitop2_b32 v27, s5, v27 bitop3:0x40
	s_delay_alu instid0(VALU_DEP_1)
	v_lshlrev_b32_e32 v27, 3, v27
	ds_load_b64 v[34:35], v27
	ds_load_b32 v27, v22 offset:6144
	s_wait_dscnt 0x0
	v_lshrrev_b32_e32 v33, s20, v27
	v_xor_b32_e32 v27, 0x7fffffff, v27
	s_delay_alu instid0(VALU_DEP_2) | instskip(NEXT) | instid1(VALU_DEP_1)
	v_and_b32_e32 v33, s5, v33
	v_lshlrev_b32_e32 v33, 3, v33
	ds_load_b64 v[38:39], v28
	ds_load_b64 v[42:43], v33
	v_xor_b32_e32 v28, 0x7fffffff, v30
	v_xor_b32_e32 v33, 0x7fffffff, v31
	v_lshl_add_u64 v[30:31], v[34:35], 2, v[4:5]
	s_wait_dscnt 0x1
	v_lshl_add_u64 v[38:39], v[38:39], 2, v[4:5]
	s_wait_dscnt 0x0
	v_lshl_add_u64 v[34:35], v[42:43], 2, v[4:5]
	s_clause 0x2
	global_store_b32 v[38:39], v28, off offset:-8192
	global_store_b32 v[30:31], v33, off offset:-6144
	;; [unrolled: 1-line block ×3, first 2 shown]
	s_wait_xcnt 0x0
	v_cmpx_gt_u32_e32 0x1200, v25
	s_cbranch_execz .LBB867_139
; %bb.138:                              ;   in Loop: Header=BB867_137 Depth=1
	ds_load_b32 v27, v22 offset:8192
	s_wait_dscnt 0x0
	v_lshrrev_b32_e32 v28, s20, v27
	v_xor_b32_e32 v27, 0x7fffffff, v27
	s_delay_alu instid0(VALU_DEP_2) | instskip(NEXT) | instid1(VALU_DEP_1)
	v_and_b32_e32 v28, s5, v28
	v_lshlrev_b32_e32 v28, 3, v28
	ds_load_b64 v[30:31], v28
	s_wait_dscnt 0x0
	v_lshl_add_u64 v[30:31], v[30:31], 2, v[4:5]
	global_store_b32 v[30:31], v27, off offset:-2048
.LBB867_139:                            ;   in Loop: Header=BB867_137 Depth=1
	s_wait_xcnt 0x0
	s_or_b32 exec_lo, exec_lo, s3
	v_add_nc_u32_e32 v27, 0x800, v25
	s_mov_b32 s3, exec_lo
	s_delay_alu instid0(VALU_DEP_1)
	v_cmpx_gt_u32_e32 0x1800, v27
	s_cbranch_execz .LBB867_141
; %bb.140:                              ;   in Loop: Header=BB867_137 Depth=1
	ds_load_b32 v27, v22 offset:10240
	s_wait_dscnt 0x0
	v_lshrrev_b32_e32 v28, s20, v27
	v_xor_b32_e32 v27, 0x7fffffff, v27
	s_delay_alu instid0(VALU_DEP_2) | instskip(NEXT) | instid1(VALU_DEP_1)
	v_and_b32_e32 v28, s5, v28
	v_lshlrev_b32_e32 v28, 3, v28
	ds_load_b64 v[30:31], v28
	s_wait_dscnt 0x0
	v_lshl_add_u64 v[30:31], v[30:31], 2, v[4:5]
	global_store_b32 v[30:31], v27, off
.LBB867_141:                            ;   in Loop: Header=BB867_137 Depth=1
	s_wait_xcnt 0x0
	s_or_b32 exec_lo, exec_lo, s3
	s_delay_alu instid0(SALU_CYCLE_1)
	s_mov_b32 s3, exec_lo
	v_cmpx_gt_u32_e32 0xe00, v25
	s_cbranch_execz .LBB867_143
; %bb.142:                              ;   in Loop: Header=BB867_137 Depth=1
	ds_load_b32 v27, v22 offset:12288
	s_wait_dscnt 0x0
	v_lshrrev_b32_e32 v28, s20, v27
	v_xor_b32_e32 v27, 0x7fffffff, v27
	s_delay_alu instid0(VALU_DEP_2) | instskip(NEXT) | instid1(VALU_DEP_1)
	v_and_b32_e32 v28, s5, v28
	v_lshlrev_b32_e32 v28, 3, v28
	ds_load_b64 v[30:31], v28
	s_wait_dscnt 0x0
	v_lshl_add_u64 v[30:31], v[30:31], 2, v[4:5]
	global_store_b32 v[30:31], v27, off offset:2048
.LBB867_143:                            ;   in Loop: Header=BB867_137 Depth=1
	s_wait_xcnt 0x0
	s_or_b32 exec_lo, exec_lo, s3
	v_add_nc_u32_e32 v27, 0xc00, v25
	s_mov_b32 s3, exec_lo
	s_delay_alu instid0(VALU_DEP_1)
	v_cmpx_gt_u32_e32 0x1800, v27
	s_cbranch_execz .LBB867_145
; %bb.144:                              ;   in Loop: Header=BB867_137 Depth=1
	ds_load_b32 v27, v22 offset:14336
	s_wait_dscnt 0x0
	v_lshrrev_b32_e32 v28, s20, v27
	v_xor_b32_e32 v27, 0x7fffffff, v27
	s_delay_alu instid0(VALU_DEP_2) | instskip(NEXT) | instid1(VALU_DEP_1)
	v_and_b32_e32 v28, s5, v28
	v_lshlrev_b32_e32 v28, 3, v28
	ds_load_b64 v[30:31], v28
	s_wait_dscnt 0x0
	v_lshl_add_u64 v[30:31], v[30:31], 2, v[4:5]
	global_store_b32 v[30:31], v27, off offset:4096
.LBB867_145:                            ;   in Loop: Header=BB867_137 Depth=1
	s_wait_xcnt 0x0
	s_or_b32 exec_lo, exec_lo, s3
	s_delay_alu instid0(SALU_CYCLE_1)
	s_mov_b32 s3, exec_lo
	v_cmpx_gt_u32_e32 0xa00, v25
	s_cbranch_execz .LBB867_136
; %bb.146:                              ;   in Loop: Header=BB867_137 Depth=1
	ds_load_b32 v27, v22 offset:16384
	s_wait_dscnt 0x0
	v_lshrrev_b32_e32 v28, s20, v27
	v_xor_b32_e32 v27, 0x7fffffff, v27
	s_delay_alu instid0(VALU_DEP_2) | instskip(NEXT) | instid1(VALU_DEP_1)
	v_and_b32_e32 v28, s5, v28
	v_lshlrev_b32_e32 v28, 3, v28
	ds_load_b64 v[30:31], v28
	s_wait_dscnt 0x0
	v_lshl_add_u64 v[30:31], v[30:31], 2, v[4:5]
	global_store_b32 v[30:31], v27, off offset:6144
	s_branch .LBB867_136
.LBB867_147:
	s_add_co_i32 s7, s7, -1
	s_delay_alu instid0(SALU_CYCLE_1) | instskip(SKIP_2) | instid1(SALU_CYCLE_1)
	s_cmp_eq_u32 s9, s7
	s_cselect_b32 s1, -1, 0
	s_xor_b32 s0, s0, -1
	s_and_b32 s0, s0, s1
	s_delay_alu instid0(SALU_CYCLE_1)
	s_and_saveexec_b32 s1, s0
	s_cbranch_execz .LBB867_149
; %bb.148:
	ds_load_b64 v[4:5], v3
	v_mov_b32_e32 v3, 0
	s_delay_alu instid0(VALU_DEP_1) | instskip(SKIP_1) | instid1(VALU_DEP_1)
	v_add_nc_u64_e32 v[0:1], v[0:1], v[2:3]
	s_wait_dscnt 0x0
	v_add_nc_u64_e32 v[0:1], v[0:1], v[4:5]
	global_store_b64 v14, v[0:1], s[14:15] scale_offset
.LBB867_149:
	s_sendmsg sendmsg(MSG_DEALLOC_VGPRS)
	s_endpgm
	.section	.rodata,"a",@progbits
	.p2align	6, 0x0
	.amdhsa_kernel _ZN7rocprim17ROCPRIM_400000_NS6detail17trampoline_kernelINS0_14default_configENS1_35radix_sort_onesweep_config_selectorIiNS0_10empty_typeEEEZZNS1_29radix_sort_onesweep_iterationIS3_Lb1EPKiPiPS5_SB_mNS0_19identity_decomposerENS1_16block_id_wrapperIjLb0EEEEE10hipError_tT1_PNSt15iterator_traitsISG_E10value_typeET2_T3_PNSH_ISM_E10value_typeET4_T5_PSR_SS_PNS1_23onesweep_lookback_stateEbbT6_jjT7_P12ihipStream_tbENKUlT_T0_SG_SL_E_clIS9_SA_SB_SB_EEDaSZ_S10_SG_SL_EUlSZ_E_NS1_11comp_targetILNS1_3genE0ELNS1_11target_archE4294967295ELNS1_3gpuE0ELNS1_3repE0EEENS1_47radix_sort_onesweep_sort_config_static_selectorELNS0_4arch9wavefront6targetE0EEEvSG_
		.amdhsa_group_segment_fixed_size 18504
		.amdhsa_private_segment_fixed_size 0
		.amdhsa_kernarg_size 344
		.amdhsa_user_sgpr_count 2
		.amdhsa_user_sgpr_dispatch_ptr 0
		.amdhsa_user_sgpr_queue_ptr 0
		.amdhsa_user_sgpr_kernarg_segment_ptr 1
		.amdhsa_user_sgpr_dispatch_id 0
		.amdhsa_user_sgpr_kernarg_preload_length 0
		.amdhsa_user_sgpr_kernarg_preload_offset 0
		.amdhsa_user_sgpr_private_segment_size 0
		.amdhsa_wavefront_size32 1
		.amdhsa_uses_dynamic_stack 0
		.amdhsa_enable_private_segment 0
		.amdhsa_system_sgpr_workgroup_id_x 1
		.amdhsa_system_sgpr_workgroup_id_y 0
		.amdhsa_system_sgpr_workgroup_id_z 0
		.amdhsa_system_sgpr_workgroup_info 0
		.amdhsa_system_vgpr_workitem_id 2
		.amdhsa_next_free_vgpr 65
		.amdhsa_next_free_sgpr 29
		.amdhsa_named_barrier_count 0
		.amdhsa_reserve_vcc 1
		.amdhsa_float_round_mode_32 0
		.amdhsa_float_round_mode_16_64 0
		.amdhsa_float_denorm_mode_32 3
		.amdhsa_float_denorm_mode_16_64 3
		.amdhsa_fp16_overflow 0
		.amdhsa_memory_ordered 1
		.amdhsa_forward_progress 1
		.amdhsa_inst_pref_size 121
		.amdhsa_round_robin_scheduling 0
		.amdhsa_exception_fp_ieee_invalid_op 0
		.amdhsa_exception_fp_denorm_src 0
		.amdhsa_exception_fp_ieee_div_zero 0
		.amdhsa_exception_fp_ieee_overflow 0
		.amdhsa_exception_fp_ieee_underflow 0
		.amdhsa_exception_fp_ieee_inexact 0
		.amdhsa_exception_int_div_zero 0
	.end_amdhsa_kernel
	.section	.text._ZN7rocprim17ROCPRIM_400000_NS6detail17trampoline_kernelINS0_14default_configENS1_35radix_sort_onesweep_config_selectorIiNS0_10empty_typeEEEZZNS1_29radix_sort_onesweep_iterationIS3_Lb1EPKiPiPS5_SB_mNS0_19identity_decomposerENS1_16block_id_wrapperIjLb0EEEEE10hipError_tT1_PNSt15iterator_traitsISG_E10value_typeET2_T3_PNSH_ISM_E10value_typeET4_T5_PSR_SS_PNS1_23onesweep_lookback_stateEbbT6_jjT7_P12ihipStream_tbENKUlT_T0_SG_SL_E_clIS9_SA_SB_SB_EEDaSZ_S10_SG_SL_EUlSZ_E_NS1_11comp_targetILNS1_3genE0ELNS1_11target_archE4294967295ELNS1_3gpuE0ELNS1_3repE0EEENS1_47radix_sort_onesweep_sort_config_static_selectorELNS0_4arch9wavefront6targetE0EEEvSG_,"axG",@progbits,_ZN7rocprim17ROCPRIM_400000_NS6detail17trampoline_kernelINS0_14default_configENS1_35radix_sort_onesweep_config_selectorIiNS0_10empty_typeEEEZZNS1_29radix_sort_onesweep_iterationIS3_Lb1EPKiPiPS5_SB_mNS0_19identity_decomposerENS1_16block_id_wrapperIjLb0EEEEE10hipError_tT1_PNSt15iterator_traitsISG_E10value_typeET2_T3_PNSH_ISM_E10value_typeET4_T5_PSR_SS_PNS1_23onesweep_lookback_stateEbbT6_jjT7_P12ihipStream_tbENKUlT_T0_SG_SL_E_clIS9_SA_SB_SB_EEDaSZ_S10_SG_SL_EUlSZ_E_NS1_11comp_targetILNS1_3genE0ELNS1_11target_archE4294967295ELNS1_3gpuE0ELNS1_3repE0EEENS1_47radix_sort_onesweep_sort_config_static_selectorELNS0_4arch9wavefront6targetE0EEEvSG_,comdat
.Lfunc_end867:
	.size	_ZN7rocprim17ROCPRIM_400000_NS6detail17trampoline_kernelINS0_14default_configENS1_35radix_sort_onesweep_config_selectorIiNS0_10empty_typeEEEZZNS1_29radix_sort_onesweep_iterationIS3_Lb1EPKiPiPS5_SB_mNS0_19identity_decomposerENS1_16block_id_wrapperIjLb0EEEEE10hipError_tT1_PNSt15iterator_traitsISG_E10value_typeET2_T3_PNSH_ISM_E10value_typeET4_T5_PSR_SS_PNS1_23onesweep_lookback_stateEbbT6_jjT7_P12ihipStream_tbENKUlT_T0_SG_SL_E_clIS9_SA_SB_SB_EEDaSZ_S10_SG_SL_EUlSZ_E_NS1_11comp_targetILNS1_3genE0ELNS1_11target_archE4294967295ELNS1_3gpuE0ELNS1_3repE0EEENS1_47radix_sort_onesweep_sort_config_static_selectorELNS0_4arch9wavefront6targetE0EEEvSG_, .Lfunc_end867-_ZN7rocprim17ROCPRIM_400000_NS6detail17trampoline_kernelINS0_14default_configENS1_35radix_sort_onesweep_config_selectorIiNS0_10empty_typeEEEZZNS1_29radix_sort_onesweep_iterationIS3_Lb1EPKiPiPS5_SB_mNS0_19identity_decomposerENS1_16block_id_wrapperIjLb0EEEEE10hipError_tT1_PNSt15iterator_traitsISG_E10value_typeET2_T3_PNSH_ISM_E10value_typeET4_T5_PSR_SS_PNS1_23onesweep_lookback_stateEbbT6_jjT7_P12ihipStream_tbENKUlT_T0_SG_SL_E_clIS9_SA_SB_SB_EEDaSZ_S10_SG_SL_EUlSZ_E_NS1_11comp_targetILNS1_3genE0ELNS1_11target_archE4294967295ELNS1_3gpuE0ELNS1_3repE0EEENS1_47radix_sort_onesweep_sort_config_static_selectorELNS0_4arch9wavefront6targetE0EEEvSG_
                                        ; -- End function
	.set _ZN7rocprim17ROCPRIM_400000_NS6detail17trampoline_kernelINS0_14default_configENS1_35radix_sort_onesweep_config_selectorIiNS0_10empty_typeEEEZZNS1_29radix_sort_onesweep_iterationIS3_Lb1EPKiPiPS5_SB_mNS0_19identity_decomposerENS1_16block_id_wrapperIjLb0EEEEE10hipError_tT1_PNSt15iterator_traitsISG_E10value_typeET2_T3_PNSH_ISM_E10value_typeET4_T5_PSR_SS_PNS1_23onesweep_lookback_stateEbbT6_jjT7_P12ihipStream_tbENKUlT_T0_SG_SL_E_clIS9_SA_SB_SB_EEDaSZ_S10_SG_SL_EUlSZ_E_NS1_11comp_targetILNS1_3genE0ELNS1_11target_archE4294967295ELNS1_3gpuE0ELNS1_3repE0EEENS1_47radix_sort_onesweep_sort_config_static_selectorELNS0_4arch9wavefront6targetE0EEEvSG_.num_vgpr, 65
	.set _ZN7rocprim17ROCPRIM_400000_NS6detail17trampoline_kernelINS0_14default_configENS1_35radix_sort_onesweep_config_selectorIiNS0_10empty_typeEEEZZNS1_29radix_sort_onesweep_iterationIS3_Lb1EPKiPiPS5_SB_mNS0_19identity_decomposerENS1_16block_id_wrapperIjLb0EEEEE10hipError_tT1_PNSt15iterator_traitsISG_E10value_typeET2_T3_PNSH_ISM_E10value_typeET4_T5_PSR_SS_PNS1_23onesweep_lookback_stateEbbT6_jjT7_P12ihipStream_tbENKUlT_T0_SG_SL_E_clIS9_SA_SB_SB_EEDaSZ_S10_SG_SL_EUlSZ_E_NS1_11comp_targetILNS1_3genE0ELNS1_11target_archE4294967295ELNS1_3gpuE0ELNS1_3repE0EEENS1_47radix_sort_onesweep_sort_config_static_selectorELNS0_4arch9wavefront6targetE0EEEvSG_.num_agpr, 0
	.set _ZN7rocprim17ROCPRIM_400000_NS6detail17trampoline_kernelINS0_14default_configENS1_35radix_sort_onesweep_config_selectorIiNS0_10empty_typeEEEZZNS1_29radix_sort_onesweep_iterationIS3_Lb1EPKiPiPS5_SB_mNS0_19identity_decomposerENS1_16block_id_wrapperIjLb0EEEEE10hipError_tT1_PNSt15iterator_traitsISG_E10value_typeET2_T3_PNSH_ISM_E10value_typeET4_T5_PSR_SS_PNS1_23onesweep_lookback_stateEbbT6_jjT7_P12ihipStream_tbENKUlT_T0_SG_SL_E_clIS9_SA_SB_SB_EEDaSZ_S10_SG_SL_EUlSZ_E_NS1_11comp_targetILNS1_3genE0ELNS1_11target_archE4294967295ELNS1_3gpuE0ELNS1_3repE0EEENS1_47radix_sort_onesweep_sort_config_static_selectorELNS0_4arch9wavefront6targetE0EEEvSG_.numbered_sgpr, 29
	.set _ZN7rocprim17ROCPRIM_400000_NS6detail17trampoline_kernelINS0_14default_configENS1_35radix_sort_onesweep_config_selectorIiNS0_10empty_typeEEEZZNS1_29radix_sort_onesweep_iterationIS3_Lb1EPKiPiPS5_SB_mNS0_19identity_decomposerENS1_16block_id_wrapperIjLb0EEEEE10hipError_tT1_PNSt15iterator_traitsISG_E10value_typeET2_T3_PNSH_ISM_E10value_typeET4_T5_PSR_SS_PNS1_23onesweep_lookback_stateEbbT6_jjT7_P12ihipStream_tbENKUlT_T0_SG_SL_E_clIS9_SA_SB_SB_EEDaSZ_S10_SG_SL_EUlSZ_E_NS1_11comp_targetILNS1_3genE0ELNS1_11target_archE4294967295ELNS1_3gpuE0ELNS1_3repE0EEENS1_47radix_sort_onesweep_sort_config_static_selectorELNS0_4arch9wavefront6targetE0EEEvSG_.num_named_barrier, 0
	.set _ZN7rocprim17ROCPRIM_400000_NS6detail17trampoline_kernelINS0_14default_configENS1_35radix_sort_onesweep_config_selectorIiNS0_10empty_typeEEEZZNS1_29radix_sort_onesweep_iterationIS3_Lb1EPKiPiPS5_SB_mNS0_19identity_decomposerENS1_16block_id_wrapperIjLb0EEEEE10hipError_tT1_PNSt15iterator_traitsISG_E10value_typeET2_T3_PNSH_ISM_E10value_typeET4_T5_PSR_SS_PNS1_23onesweep_lookback_stateEbbT6_jjT7_P12ihipStream_tbENKUlT_T0_SG_SL_E_clIS9_SA_SB_SB_EEDaSZ_S10_SG_SL_EUlSZ_E_NS1_11comp_targetILNS1_3genE0ELNS1_11target_archE4294967295ELNS1_3gpuE0ELNS1_3repE0EEENS1_47radix_sort_onesweep_sort_config_static_selectorELNS0_4arch9wavefront6targetE0EEEvSG_.private_seg_size, 0
	.set _ZN7rocprim17ROCPRIM_400000_NS6detail17trampoline_kernelINS0_14default_configENS1_35radix_sort_onesweep_config_selectorIiNS0_10empty_typeEEEZZNS1_29radix_sort_onesweep_iterationIS3_Lb1EPKiPiPS5_SB_mNS0_19identity_decomposerENS1_16block_id_wrapperIjLb0EEEEE10hipError_tT1_PNSt15iterator_traitsISG_E10value_typeET2_T3_PNSH_ISM_E10value_typeET4_T5_PSR_SS_PNS1_23onesweep_lookback_stateEbbT6_jjT7_P12ihipStream_tbENKUlT_T0_SG_SL_E_clIS9_SA_SB_SB_EEDaSZ_S10_SG_SL_EUlSZ_E_NS1_11comp_targetILNS1_3genE0ELNS1_11target_archE4294967295ELNS1_3gpuE0ELNS1_3repE0EEENS1_47radix_sort_onesweep_sort_config_static_selectorELNS0_4arch9wavefront6targetE0EEEvSG_.uses_vcc, 1
	.set _ZN7rocprim17ROCPRIM_400000_NS6detail17trampoline_kernelINS0_14default_configENS1_35radix_sort_onesweep_config_selectorIiNS0_10empty_typeEEEZZNS1_29radix_sort_onesweep_iterationIS3_Lb1EPKiPiPS5_SB_mNS0_19identity_decomposerENS1_16block_id_wrapperIjLb0EEEEE10hipError_tT1_PNSt15iterator_traitsISG_E10value_typeET2_T3_PNSH_ISM_E10value_typeET4_T5_PSR_SS_PNS1_23onesweep_lookback_stateEbbT6_jjT7_P12ihipStream_tbENKUlT_T0_SG_SL_E_clIS9_SA_SB_SB_EEDaSZ_S10_SG_SL_EUlSZ_E_NS1_11comp_targetILNS1_3genE0ELNS1_11target_archE4294967295ELNS1_3gpuE0ELNS1_3repE0EEENS1_47radix_sort_onesweep_sort_config_static_selectorELNS0_4arch9wavefront6targetE0EEEvSG_.uses_flat_scratch, 0
	.set _ZN7rocprim17ROCPRIM_400000_NS6detail17trampoline_kernelINS0_14default_configENS1_35radix_sort_onesweep_config_selectorIiNS0_10empty_typeEEEZZNS1_29radix_sort_onesweep_iterationIS3_Lb1EPKiPiPS5_SB_mNS0_19identity_decomposerENS1_16block_id_wrapperIjLb0EEEEE10hipError_tT1_PNSt15iterator_traitsISG_E10value_typeET2_T3_PNSH_ISM_E10value_typeET4_T5_PSR_SS_PNS1_23onesweep_lookback_stateEbbT6_jjT7_P12ihipStream_tbENKUlT_T0_SG_SL_E_clIS9_SA_SB_SB_EEDaSZ_S10_SG_SL_EUlSZ_E_NS1_11comp_targetILNS1_3genE0ELNS1_11target_archE4294967295ELNS1_3gpuE0ELNS1_3repE0EEENS1_47radix_sort_onesweep_sort_config_static_selectorELNS0_4arch9wavefront6targetE0EEEvSG_.has_dyn_sized_stack, 0
	.set _ZN7rocprim17ROCPRIM_400000_NS6detail17trampoline_kernelINS0_14default_configENS1_35radix_sort_onesweep_config_selectorIiNS0_10empty_typeEEEZZNS1_29radix_sort_onesweep_iterationIS3_Lb1EPKiPiPS5_SB_mNS0_19identity_decomposerENS1_16block_id_wrapperIjLb0EEEEE10hipError_tT1_PNSt15iterator_traitsISG_E10value_typeET2_T3_PNSH_ISM_E10value_typeET4_T5_PSR_SS_PNS1_23onesweep_lookback_stateEbbT6_jjT7_P12ihipStream_tbENKUlT_T0_SG_SL_E_clIS9_SA_SB_SB_EEDaSZ_S10_SG_SL_EUlSZ_E_NS1_11comp_targetILNS1_3genE0ELNS1_11target_archE4294967295ELNS1_3gpuE0ELNS1_3repE0EEENS1_47radix_sort_onesweep_sort_config_static_selectorELNS0_4arch9wavefront6targetE0EEEvSG_.has_recursion, 0
	.set _ZN7rocprim17ROCPRIM_400000_NS6detail17trampoline_kernelINS0_14default_configENS1_35radix_sort_onesweep_config_selectorIiNS0_10empty_typeEEEZZNS1_29radix_sort_onesweep_iterationIS3_Lb1EPKiPiPS5_SB_mNS0_19identity_decomposerENS1_16block_id_wrapperIjLb0EEEEE10hipError_tT1_PNSt15iterator_traitsISG_E10value_typeET2_T3_PNSH_ISM_E10value_typeET4_T5_PSR_SS_PNS1_23onesweep_lookback_stateEbbT6_jjT7_P12ihipStream_tbENKUlT_T0_SG_SL_E_clIS9_SA_SB_SB_EEDaSZ_S10_SG_SL_EUlSZ_E_NS1_11comp_targetILNS1_3genE0ELNS1_11target_archE4294967295ELNS1_3gpuE0ELNS1_3repE0EEENS1_47radix_sort_onesweep_sort_config_static_selectorELNS0_4arch9wavefront6targetE0EEEvSG_.has_indirect_call, 0
	.section	.AMDGPU.csdata,"",@progbits
; Kernel info:
; codeLenInByte = 15468
; TotalNumSgprs: 31
; NumVgprs: 65
; ScratchSize: 0
; MemoryBound: 0
; FloatMode: 240
; IeeeMode: 1
; LDSByteSize: 18504 bytes/workgroup (compile time only)
; SGPRBlocks: 0
; VGPRBlocks: 4
; NumSGPRsForWavesPerEU: 31
; NumVGPRsForWavesPerEU: 65
; NamedBarCnt: 0
; Occupancy: 12
; WaveLimiterHint : 1
; COMPUTE_PGM_RSRC2:SCRATCH_EN: 0
; COMPUTE_PGM_RSRC2:USER_SGPR: 2
; COMPUTE_PGM_RSRC2:TRAP_HANDLER: 0
; COMPUTE_PGM_RSRC2:TGID_X_EN: 1
; COMPUTE_PGM_RSRC2:TGID_Y_EN: 0
; COMPUTE_PGM_RSRC2:TGID_Z_EN: 0
; COMPUTE_PGM_RSRC2:TIDIG_COMP_CNT: 2
	.section	.text._ZN7rocprim17ROCPRIM_400000_NS6detail17trampoline_kernelINS0_14default_configENS1_35radix_sort_onesweep_config_selectorIiNS0_10empty_typeEEEZZNS1_29radix_sort_onesweep_iterationIS3_Lb1EPKiPiPS5_SB_mNS0_19identity_decomposerENS1_16block_id_wrapperIjLb0EEEEE10hipError_tT1_PNSt15iterator_traitsISG_E10value_typeET2_T3_PNSH_ISM_E10value_typeET4_T5_PSR_SS_PNS1_23onesweep_lookback_stateEbbT6_jjT7_P12ihipStream_tbENKUlT_T0_SG_SL_E_clIS9_SA_SB_SB_EEDaSZ_S10_SG_SL_EUlSZ_E_NS1_11comp_targetILNS1_3genE6ELNS1_11target_archE950ELNS1_3gpuE13ELNS1_3repE0EEENS1_47radix_sort_onesweep_sort_config_static_selectorELNS0_4arch9wavefront6targetE0EEEvSG_,"axG",@progbits,_ZN7rocprim17ROCPRIM_400000_NS6detail17trampoline_kernelINS0_14default_configENS1_35radix_sort_onesweep_config_selectorIiNS0_10empty_typeEEEZZNS1_29radix_sort_onesweep_iterationIS3_Lb1EPKiPiPS5_SB_mNS0_19identity_decomposerENS1_16block_id_wrapperIjLb0EEEEE10hipError_tT1_PNSt15iterator_traitsISG_E10value_typeET2_T3_PNSH_ISM_E10value_typeET4_T5_PSR_SS_PNS1_23onesweep_lookback_stateEbbT6_jjT7_P12ihipStream_tbENKUlT_T0_SG_SL_E_clIS9_SA_SB_SB_EEDaSZ_S10_SG_SL_EUlSZ_E_NS1_11comp_targetILNS1_3genE6ELNS1_11target_archE950ELNS1_3gpuE13ELNS1_3repE0EEENS1_47radix_sort_onesweep_sort_config_static_selectorELNS0_4arch9wavefront6targetE0EEEvSG_,comdat
	.protected	_ZN7rocprim17ROCPRIM_400000_NS6detail17trampoline_kernelINS0_14default_configENS1_35radix_sort_onesweep_config_selectorIiNS0_10empty_typeEEEZZNS1_29radix_sort_onesweep_iterationIS3_Lb1EPKiPiPS5_SB_mNS0_19identity_decomposerENS1_16block_id_wrapperIjLb0EEEEE10hipError_tT1_PNSt15iterator_traitsISG_E10value_typeET2_T3_PNSH_ISM_E10value_typeET4_T5_PSR_SS_PNS1_23onesweep_lookback_stateEbbT6_jjT7_P12ihipStream_tbENKUlT_T0_SG_SL_E_clIS9_SA_SB_SB_EEDaSZ_S10_SG_SL_EUlSZ_E_NS1_11comp_targetILNS1_3genE6ELNS1_11target_archE950ELNS1_3gpuE13ELNS1_3repE0EEENS1_47radix_sort_onesweep_sort_config_static_selectorELNS0_4arch9wavefront6targetE0EEEvSG_ ; -- Begin function _ZN7rocprim17ROCPRIM_400000_NS6detail17trampoline_kernelINS0_14default_configENS1_35radix_sort_onesweep_config_selectorIiNS0_10empty_typeEEEZZNS1_29radix_sort_onesweep_iterationIS3_Lb1EPKiPiPS5_SB_mNS0_19identity_decomposerENS1_16block_id_wrapperIjLb0EEEEE10hipError_tT1_PNSt15iterator_traitsISG_E10value_typeET2_T3_PNSH_ISM_E10value_typeET4_T5_PSR_SS_PNS1_23onesweep_lookback_stateEbbT6_jjT7_P12ihipStream_tbENKUlT_T0_SG_SL_E_clIS9_SA_SB_SB_EEDaSZ_S10_SG_SL_EUlSZ_E_NS1_11comp_targetILNS1_3genE6ELNS1_11target_archE950ELNS1_3gpuE13ELNS1_3repE0EEENS1_47radix_sort_onesweep_sort_config_static_selectorELNS0_4arch9wavefront6targetE0EEEvSG_
	.globl	_ZN7rocprim17ROCPRIM_400000_NS6detail17trampoline_kernelINS0_14default_configENS1_35radix_sort_onesweep_config_selectorIiNS0_10empty_typeEEEZZNS1_29radix_sort_onesweep_iterationIS3_Lb1EPKiPiPS5_SB_mNS0_19identity_decomposerENS1_16block_id_wrapperIjLb0EEEEE10hipError_tT1_PNSt15iterator_traitsISG_E10value_typeET2_T3_PNSH_ISM_E10value_typeET4_T5_PSR_SS_PNS1_23onesweep_lookback_stateEbbT6_jjT7_P12ihipStream_tbENKUlT_T0_SG_SL_E_clIS9_SA_SB_SB_EEDaSZ_S10_SG_SL_EUlSZ_E_NS1_11comp_targetILNS1_3genE6ELNS1_11target_archE950ELNS1_3gpuE13ELNS1_3repE0EEENS1_47radix_sort_onesweep_sort_config_static_selectorELNS0_4arch9wavefront6targetE0EEEvSG_
	.p2align	8
	.type	_ZN7rocprim17ROCPRIM_400000_NS6detail17trampoline_kernelINS0_14default_configENS1_35radix_sort_onesweep_config_selectorIiNS0_10empty_typeEEEZZNS1_29radix_sort_onesweep_iterationIS3_Lb1EPKiPiPS5_SB_mNS0_19identity_decomposerENS1_16block_id_wrapperIjLb0EEEEE10hipError_tT1_PNSt15iterator_traitsISG_E10value_typeET2_T3_PNSH_ISM_E10value_typeET4_T5_PSR_SS_PNS1_23onesweep_lookback_stateEbbT6_jjT7_P12ihipStream_tbENKUlT_T0_SG_SL_E_clIS9_SA_SB_SB_EEDaSZ_S10_SG_SL_EUlSZ_E_NS1_11comp_targetILNS1_3genE6ELNS1_11target_archE950ELNS1_3gpuE13ELNS1_3repE0EEENS1_47radix_sort_onesweep_sort_config_static_selectorELNS0_4arch9wavefront6targetE0EEEvSG_,@function
_ZN7rocprim17ROCPRIM_400000_NS6detail17trampoline_kernelINS0_14default_configENS1_35radix_sort_onesweep_config_selectorIiNS0_10empty_typeEEEZZNS1_29radix_sort_onesweep_iterationIS3_Lb1EPKiPiPS5_SB_mNS0_19identity_decomposerENS1_16block_id_wrapperIjLb0EEEEE10hipError_tT1_PNSt15iterator_traitsISG_E10value_typeET2_T3_PNSH_ISM_E10value_typeET4_T5_PSR_SS_PNS1_23onesweep_lookback_stateEbbT6_jjT7_P12ihipStream_tbENKUlT_T0_SG_SL_E_clIS9_SA_SB_SB_EEDaSZ_S10_SG_SL_EUlSZ_E_NS1_11comp_targetILNS1_3genE6ELNS1_11target_archE950ELNS1_3gpuE13ELNS1_3repE0EEENS1_47radix_sort_onesweep_sort_config_static_selectorELNS0_4arch9wavefront6targetE0EEEvSG_: ; @_ZN7rocprim17ROCPRIM_400000_NS6detail17trampoline_kernelINS0_14default_configENS1_35radix_sort_onesweep_config_selectorIiNS0_10empty_typeEEEZZNS1_29radix_sort_onesweep_iterationIS3_Lb1EPKiPiPS5_SB_mNS0_19identity_decomposerENS1_16block_id_wrapperIjLb0EEEEE10hipError_tT1_PNSt15iterator_traitsISG_E10value_typeET2_T3_PNSH_ISM_E10value_typeET4_T5_PSR_SS_PNS1_23onesweep_lookback_stateEbbT6_jjT7_P12ihipStream_tbENKUlT_T0_SG_SL_E_clIS9_SA_SB_SB_EEDaSZ_S10_SG_SL_EUlSZ_E_NS1_11comp_targetILNS1_3genE6ELNS1_11target_archE950ELNS1_3gpuE13ELNS1_3repE0EEENS1_47radix_sort_onesweep_sort_config_static_selectorELNS0_4arch9wavefront6targetE0EEEvSG_
; %bb.0:
	.section	.rodata,"a",@progbits
	.p2align	6, 0x0
	.amdhsa_kernel _ZN7rocprim17ROCPRIM_400000_NS6detail17trampoline_kernelINS0_14default_configENS1_35radix_sort_onesweep_config_selectorIiNS0_10empty_typeEEEZZNS1_29radix_sort_onesweep_iterationIS3_Lb1EPKiPiPS5_SB_mNS0_19identity_decomposerENS1_16block_id_wrapperIjLb0EEEEE10hipError_tT1_PNSt15iterator_traitsISG_E10value_typeET2_T3_PNSH_ISM_E10value_typeET4_T5_PSR_SS_PNS1_23onesweep_lookback_stateEbbT6_jjT7_P12ihipStream_tbENKUlT_T0_SG_SL_E_clIS9_SA_SB_SB_EEDaSZ_S10_SG_SL_EUlSZ_E_NS1_11comp_targetILNS1_3genE6ELNS1_11target_archE950ELNS1_3gpuE13ELNS1_3repE0EEENS1_47radix_sort_onesweep_sort_config_static_selectorELNS0_4arch9wavefront6targetE0EEEvSG_
		.amdhsa_group_segment_fixed_size 0
		.amdhsa_private_segment_fixed_size 0
		.amdhsa_kernarg_size 88
		.amdhsa_user_sgpr_count 2
		.amdhsa_user_sgpr_dispatch_ptr 0
		.amdhsa_user_sgpr_queue_ptr 0
		.amdhsa_user_sgpr_kernarg_segment_ptr 1
		.amdhsa_user_sgpr_dispatch_id 0
		.amdhsa_user_sgpr_kernarg_preload_length 0
		.amdhsa_user_sgpr_kernarg_preload_offset 0
		.amdhsa_user_sgpr_private_segment_size 0
		.amdhsa_wavefront_size32 1
		.amdhsa_uses_dynamic_stack 0
		.amdhsa_enable_private_segment 0
		.amdhsa_system_sgpr_workgroup_id_x 1
		.amdhsa_system_sgpr_workgroup_id_y 0
		.amdhsa_system_sgpr_workgroup_id_z 0
		.amdhsa_system_sgpr_workgroup_info 0
		.amdhsa_system_vgpr_workitem_id 0
		.amdhsa_next_free_vgpr 1
		.amdhsa_next_free_sgpr 1
		.amdhsa_named_barrier_count 0
		.amdhsa_reserve_vcc 0
		.amdhsa_float_round_mode_32 0
		.amdhsa_float_round_mode_16_64 0
		.amdhsa_float_denorm_mode_32 3
		.amdhsa_float_denorm_mode_16_64 3
		.amdhsa_fp16_overflow 0
		.amdhsa_memory_ordered 1
		.amdhsa_forward_progress 1
		.amdhsa_inst_pref_size 0
		.amdhsa_round_robin_scheduling 0
		.amdhsa_exception_fp_ieee_invalid_op 0
		.amdhsa_exception_fp_denorm_src 0
		.amdhsa_exception_fp_ieee_div_zero 0
		.amdhsa_exception_fp_ieee_overflow 0
		.amdhsa_exception_fp_ieee_underflow 0
		.amdhsa_exception_fp_ieee_inexact 0
		.amdhsa_exception_int_div_zero 0
	.end_amdhsa_kernel
	.section	.text._ZN7rocprim17ROCPRIM_400000_NS6detail17trampoline_kernelINS0_14default_configENS1_35radix_sort_onesweep_config_selectorIiNS0_10empty_typeEEEZZNS1_29radix_sort_onesweep_iterationIS3_Lb1EPKiPiPS5_SB_mNS0_19identity_decomposerENS1_16block_id_wrapperIjLb0EEEEE10hipError_tT1_PNSt15iterator_traitsISG_E10value_typeET2_T3_PNSH_ISM_E10value_typeET4_T5_PSR_SS_PNS1_23onesweep_lookback_stateEbbT6_jjT7_P12ihipStream_tbENKUlT_T0_SG_SL_E_clIS9_SA_SB_SB_EEDaSZ_S10_SG_SL_EUlSZ_E_NS1_11comp_targetILNS1_3genE6ELNS1_11target_archE950ELNS1_3gpuE13ELNS1_3repE0EEENS1_47radix_sort_onesweep_sort_config_static_selectorELNS0_4arch9wavefront6targetE0EEEvSG_,"axG",@progbits,_ZN7rocprim17ROCPRIM_400000_NS6detail17trampoline_kernelINS0_14default_configENS1_35radix_sort_onesweep_config_selectorIiNS0_10empty_typeEEEZZNS1_29radix_sort_onesweep_iterationIS3_Lb1EPKiPiPS5_SB_mNS0_19identity_decomposerENS1_16block_id_wrapperIjLb0EEEEE10hipError_tT1_PNSt15iterator_traitsISG_E10value_typeET2_T3_PNSH_ISM_E10value_typeET4_T5_PSR_SS_PNS1_23onesweep_lookback_stateEbbT6_jjT7_P12ihipStream_tbENKUlT_T0_SG_SL_E_clIS9_SA_SB_SB_EEDaSZ_S10_SG_SL_EUlSZ_E_NS1_11comp_targetILNS1_3genE6ELNS1_11target_archE950ELNS1_3gpuE13ELNS1_3repE0EEENS1_47radix_sort_onesweep_sort_config_static_selectorELNS0_4arch9wavefront6targetE0EEEvSG_,comdat
.Lfunc_end868:
	.size	_ZN7rocprim17ROCPRIM_400000_NS6detail17trampoline_kernelINS0_14default_configENS1_35radix_sort_onesweep_config_selectorIiNS0_10empty_typeEEEZZNS1_29radix_sort_onesweep_iterationIS3_Lb1EPKiPiPS5_SB_mNS0_19identity_decomposerENS1_16block_id_wrapperIjLb0EEEEE10hipError_tT1_PNSt15iterator_traitsISG_E10value_typeET2_T3_PNSH_ISM_E10value_typeET4_T5_PSR_SS_PNS1_23onesweep_lookback_stateEbbT6_jjT7_P12ihipStream_tbENKUlT_T0_SG_SL_E_clIS9_SA_SB_SB_EEDaSZ_S10_SG_SL_EUlSZ_E_NS1_11comp_targetILNS1_3genE6ELNS1_11target_archE950ELNS1_3gpuE13ELNS1_3repE0EEENS1_47radix_sort_onesweep_sort_config_static_selectorELNS0_4arch9wavefront6targetE0EEEvSG_, .Lfunc_end868-_ZN7rocprim17ROCPRIM_400000_NS6detail17trampoline_kernelINS0_14default_configENS1_35radix_sort_onesweep_config_selectorIiNS0_10empty_typeEEEZZNS1_29radix_sort_onesweep_iterationIS3_Lb1EPKiPiPS5_SB_mNS0_19identity_decomposerENS1_16block_id_wrapperIjLb0EEEEE10hipError_tT1_PNSt15iterator_traitsISG_E10value_typeET2_T3_PNSH_ISM_E10value_typeET4_T5_PSR_SS_PNS1_23onesweep_lookback_stateEbbT6_jjT7_P12ihipStream_tbENKUlT_T0_SG_SL_E_clIS9_SA_SB_SB_EEDaSZ_S10_SG_SL_EUlSZ_E_NS1_11comp_targetILNS1_3genE6ELNS1_11target_archE950ELNS1_3gpuE13ELNS1_3repE0EEENS1_47radix_sort_onesweep_sort_config_static_selectorELNS0_4arch9wavefront6targetE0EEEvSG_
                                        ; -- End function
	.set _ZN7rocprim17ROCPRIM_400000_NS6detail17trampoline_kernelINS0_14default_configENS1_35radix_sort_onesweep_config_selectorIiNS0_10empty_typeEEEZZNS1_29radix_sort_onesweep_iterationIS3_Lb1EPKiPiPS5_SB_mNS0_19identity_decomposerENS1_16block_id_wrapperIjLb0EEEEE10hipError_tT1_PNSt15iterator_traitsISG_E10value_typeET2_T3_PNSH_ISM_E10value_typeET4_T5_PSR_SS_PNS1_23onesweep_lookback_stateEbbT6_jjT7_P12ihipStream_tbENKUlT_T0_SG_SL_E_clIS9_SA_SB_SB_EEDaSZ_S10_SG_SL_EUlSZ_E_NS1_11comp_targetILNS1_3genE6ELNS1_11target_archE950ELNS1_3gpuE13ELNS1_3repE0EEENS1_47radix_sort_onesweep_sort_config_static_selectorELNS0_4arch9wavefront6targetE0EEEvSG_.num_vgpr, 0
	.set _ZN7rocprim17ROCPRIM_400000_NS6detail17trampoline_kernelINS0_14default_configENS1_35radix_sort_onesweep_config_selectorIiNS0_10empty_typeEEEZZNS1_29radix_sort_onesweep_iterationIS3_Lb1EPKiPiPS5_SB_mNS0_19identity_decomposerENS1_16block_id_wrapperIjLb0EEEEE10hipError_tT1_PNSt15iterator_traitsISG_E10value_typeET2_T3_PNSH_ISM_E10value_typeET4_T5_PSR_SS_PNS1_23onesweep_lookback_stateEbbT6_jjT7_P12ihipStream_tbENKUlT_T0_SG_SL_E_clIS9_SA_SB_SB_EEDaSZ_S10_SG_SL_EUlSZ_E_NS1_11comp_targetILNS1_3genE6ELNS1_11target_archE950ELNS1_3gpuE13ELNS1_3repE0EEENS1_47radix_sort_onesweep_sort_config_static_selectorELNS0_4arch9wavefront6targetE0EEEvSG_.num_agpr, 0
	.set _ZN7rocprim17ROCPRIM_400000_NS6detail17trampoline_kernelINS0_14default_configENS1_35radix_sort_onesweep_config_selectorIiNS0_10empty_typeEEEZZNS1_29radix_sort_onesweep_iterationIS3_Lb1EPKiPiPS5_SB_mNS0_19identity_decomposerENS1_16block_id_wrapperIjLb0EEEEE10hipError_tT1_PNSt15iterator_traitsISG_E10value_typeET2_T3_PNSH_ISM_E10value_typeET4_T5_PSR_SS_PNS1_23onesweep_lookback_stateEbbT6_jjT7_P12ihipStream_tbENKUlT_T0_SG_SL_E_clIS9_SA_SB_SB_EEDaSZ_S10_SG_SL_EUlSZ_E_NS1_11comp_targetILNS1_3genE6ELNS1_11target_archE950ELNS1_3gpuE13ELNS1_3repE0EEENS1_47radix_sort_onesweep_sort_config_static_selectorELNS0_4arch9wavefront6targetE0EEEvSG_.numbered_sgpr, 0
	.set _ZN7rocprim17ROCPRIM_400000_NS6detail17trampoline_kernelINS0_14default_configENS1_35radix_sort_onesweep_config_selectorIiNS0_10empty_typeEEEZZNS1_29radix_sort_onesweep_iterationIS3_Lb1EPKiPiPS5_SB_mNS0_19identity_decomposerENS1_16block_id_wrapperIjLb0EEEEE10hipError_tT1_PNSt15iterator_traitsISG_E10value_typeET2_T3_PNSH_ISM_E10value_typeET4_T5_PSR_SS_PNS1_23onesweep_lookback_stateEbbT6_jjT7_P12ihipStream_tbENKUlT_T0_SG_SL_E_clIS9_SA_SB_SB_EEDaSZ_S10_SG_SL_EUlSZ_E_NS1_11comp_targetILNS1_3genE6ELNS1_11target_archE950ELNS1_3gpuE13ELNS1_3repE0EEENS1_47radix_sort_onesweep_sort_config_static_selectorELNS0_4arch9wavefront6targetE0EEEvSG_.num_named_barrier, 0
	.set _ZN7rocprim17ROCPRIM_400000_NS6detail17trampoline_kernelINS0_14default_configENS1_35radix_sort_onesweep_config_selectorIiNS0_10empty_typeEEEZZNS1_29radix_sort_onesweep_iterationIS3_Lb1EPKiPiPS5_SB_mNS0_19identity_decomposerENS1_16block_id_wrapperIjLb0EEEEE10hipError_tT1_PNSt15iterator_traitsISG_E10value_typeET2_T3_PNSH_ISM_E10value_typeET4_T5_PSR_SS_PNS1_23onesweep_lookback_stateEbbT6_jjT7_P12ihipStream_tbENKUlT_T0_SG_SL_E_clIS9_SA_SB_SB_EEDaSZ_S10_SG_SL_EUlSZ_E_NS1_11comp_targetILNS1_3genE6ELNS1_11target_archE950ELNS1_3gpuE13ELNS1_3repE0EEENS1_47radix_sort_onesweep_sort_config_static_selectorELNS0_4arch9wavefront6targetE0EEEvSG_.private_seg_size, 0
	.set _ZN7rocprim17ROCPRIM_400000_NS6detail17trampoline_kernelINS0_14default_configENS1_35radix_sort_onesweep_config_selectorIiNS0_10empty_typeEEEZZNS1_29radix_sort_onesweep_iterationIS3_Lb1EPKiPiPS5_SB_mNS0_19identity_decomposerENS1_16block_id_wrapperIjLb0EEEEE10hipError_tT1_PNSt15iterator_traitsISG_E10value_typeET2_T3_PNSH_ISM_E10value_typeET4_T5_PSR_SS_PNS1_23onesweep_lookback_stateEbbT6_jjT7_P12ihipStream_tbENKUlT_T0_SG_SL_E_clIS9_SA_SB_SB_EEDaSZ_S10_SG_SL_EUlSZ_E_NS1_11comp_targetILNS1_3genE6ELNS1_11target_archE950ELNS1_3gpuE13ELNS1_3repE0EEENS1_47radix_sort_onesweep_sort_config_static_selectorELNS0_4arch9wavefront6targetE0EEEvSG_.uses_vcc, 0
	.set _ZN7rocprim17ROCPRIM_400000_NS6detail17trampoline_kernelINS0_14default_configENS1_35radix_sort_onesweep_config_selectorIiNS0_10empty_typeEEEZZNS1_29radix_sort_onesweep_iterationIS3_Lb1EPKiPiPS5_SB_mNS0_19identity_decomposerENS1_16block_id_wrapperIjLb0EEEEE10hipError_tT1_PNSt15iterator_traitsISG_E10value_typeET2_T3_PNSH_ISM_E10value_typeET4_T5_PSR_SS_PNS1_23onesweep_lookback_stateEbbT6_jjT7_P12ihipStream_tbENKUlT_T0_SG_SL_E_clIS9_SA_SB_SB_EEDaSZ_S10_SG_SL_EUlSZ_E_NS1_11comp_targetILNS1_3genE6ELNS1_11target_archE950ELNS1_3gpuE13ELNS1_3repE0EEENS1_47radix_sort_onesweep_sort_config_static_selectorELNS0_4arch9wavefront6targetE0EEEvSG_.uses_flat_scratch, 0
	.set _ZN7rocprim17ROCPRIM_400000_NS6detail17trampoline_kernelINS0_14default_configENS1_35radix_sort_onesweep_config_selectorIiNS0_10empty_typeEEEZZNS1_29radix_sort_onesweep_iterationIS3_Lb1EPKiPiPS5_SB_mNS0_19identity_decomposerENS1_16block_id_wrapperIjLb0EEEEE10hipError_tT1_PNSt15iterator_traitsISG_E10value_typeET2_T3_PNSH_ISM_E10value_typeET4_T5_PSR_SS_PNS1_23onesweep_lookback_stateEbbT6_jjT7_P12ihipStream_tbENKUlT_T0_SG_SL_E_clIS9_SA_SB_SB_EEDaSZ_S10_SG_SL_EUlSZ_E_NS1_11comp_targetILNS1_3genE6ELNS1_11target_archE950ELNS1_3gpuE13ELNS1_3repE0EEENS1_47radix_sort_onesweep_sort_config_static_selectorELNS0_4arch9wavefront6targetE0EEEvSG_.has_dyn_sized_stack, 0
	.set _ZN7rocprim17ROCPRIM_400000_NS6detail17trampoline_kernelINS0_14default_configENS1_35radix_sort_onesweep_config_selectorIiNS0_10empty_typeEEEZZNS1_29radix_sort_onesweep_iterationIS3_Lb1EPKiPiPS5_SB_mNS0_19identity_decomposerENS1_16block_id_wrapperIjLb0EEEEE10hipError_tT1_PNSt15iterator_traitsISG_E10value_typeET2_T3_PNSH_ISM_E10value_typeET4_T5_PSR_SS_PNS1_23onesweep_lookback_stateEbbT6_jjT7_P12ihipStream_tbENKUlT_T0_SG_SL_E_clIS9_SA_SB_SB_EEDaSZ_S10_SG_SL_EUlSZ_E_NS1_11comp_targetILNS1_3genE6ELNS1_11target_archE950ELNS1_3gpuE13ELNS1_3repE0EEENS1_47radix_sort_onesweep_sort_config_static_selectorELNS0_4arch9wavefront6targetE0EEEvSG_.has_recursion, 0
	.set _ZN7rocprim17ROCPRIM_400000_NS6detail17trampoline_kernelINS0_14default_configENS1_35radix_sort_onesweep_config_selectorIiNS0_10empty_typeEEEZZNS1_29radix_sort_onesweep_iterationIS3_Lb1EPKiPiPS5_SB_mNS0_19identity_decomposerENS1_16block_id_wrapperIjLb0EEEEE10hipError_tT1_PNSt15iterator_traitsISG_E10value_typeET2_T3_PNSH_ISM_E10value_typeET4_T5_PSR_SS_PNS1_23onesweep_lookback_stateEbbT6_jjT7_P12ihipStream_tbENKUlT_T0_SG_SL_E_clIS9_SA_SB_SB_EEDaSZ_S10_SG_SL_EUlSZ_E_NS1_11comp_targetILNS1_3genE6ELNS1_11target_archE950ELNS1_3gpuE13ELNS1_3repE0EEENS1_47radix_sort_onesweep_sort_config_static_selectorELNS0_4arch9wavefront6targetE0EEEvSG_.has_indirect_call, 0
	.section	.AMDGPU.csdata,"",@progbits
; Kernel info:
; codeLenInByte = 0
; TotalNumSgprs: 0
; NumVgprs: 0
; ScratchSize: 0
; MemoryBound: 0
; FloatMode: 240
; IeeeMode: 1
; LDSByteSize: 0 bytes/workgroup (compile time only)
; SGPRBlocks: 0
; VGPRBlocks: 0
; NumSGPRsForWavesPerEU: 1
; NumVGPRsForWavesPerEU: 1
; NamedBarCnt: 0
; Occupancy: 16
; WaveLimiterHint : 0
; COMPUTE_PGM_RSRC2:SCRATCH_EN: 0
; COMPUTE_PGM_RSRC2:USER_SGPR: 2
; COMPUTE_PGM_RSRC2:TRAP_HANDLER: 0
; COMPUTE_PGM_RSRC2:TGID_X_EN: 1
; COMPUTE_PGM_RSRC2:TGID_Y_EN: 0
; COMPUTE_PGM_RSRC2:TGID_Z_EN: 0
; COMPUTE_PGM_RSRC2:TIDIG_COMP_CNT: 0
	.section	.text._ZN7rocprim17ROCPRIM_400000_NS6detail17trampoline_kernelINS0_14default_configENS1_35radix_sort_onesweep_config_selectorIiNS0_10empty_typeEEEZZNS1_29radix_sort_onesweep_iterationIS3_Lb1EPKiPiPS5_SB_mNS0_19identity_decomposerENS1_16block_id_wrapperIjLb0EEEEE10hipError_tT1_PNSt15iterator_traitsISG_E10value_typeET2_T3_PNSH_ISM_E10value_typeET4_T5_PSR_SS_PNS1_23onesweep_lookback_stateEbbT6_jjT7_P12ihipStream_tbENKUlT_T0_SG_SL_E_clIS9_SA_SB_SB_EEDaSZ_S10_SG_SL_EUlSZ_E_NS1_11comp_targetILNS1_3genE5ELNS1_11target_archE942ELNS1_3gpuE9ELNS1_3repE0EEENS1_47radix_sort_onesweep_sort_config_static_selectorELNS0_4arch9wavefront6targetE0EEEvSG_,"axG",@progbits,_ZN7rocprim17ROCPRIM_400000_NS6detail17trampoline_kernelINS0_14default_configENS1_35radix_sort_onesweep_config_selectorIiNS0_10empty_typeEEEZZNS1_29radix_sort_onesweep_iterationIS3_Lb1EPKiPiPS5_SB_mNS0_19identity_decomposerENS1_16block_id_wrapperIjLb0EEEEE10hipError_tT1_PNSt15iterator_traitsISG_E10value_typeET2_T3_PNSH_ISM_E10value_typeET4_T5_PSR_SS_PNS1_23onesweep_lookback_stateEbbT6_jjT7_P12ihipStream_tbENKUlT_T0_SG_SL_E_clIS9_SA_SB_SB_EEDaSZ_S10_SG_SL_EUlSZ_E_NS1_11comp_targetILNS1_3genE5ELNS1_11target_archE942ELNS1_3gpuE9ELNS1_3repE0EEENS1_47radix_sort_onesweep_sort_config_static_selectorELNS0_4arch9wavefront6targetE0EEEvSG_,comdat
	.protected	_ZN7rocprim17ROCPRIM_400000_NS6detail17trampoline_kernelINS0_14default_configENS1_35radix_sort_onesweep_config_selectorIiNS0_10empty_typeEEEZZNS1_29radix_sort_onesweep_iterationIS3_Lb1EPKiPiPS5_SB_mNS0_19identity_decomposerENS1_16block_id_wrapperIjLb0EEEEE10hipError_tT1_PNSt15iterator_traitsISG_E10value_typeET2_T3_PNSH_ISM_E10value_typeET4_T5_PSR_SS_PNS1_23onesweep_lookback_stateEbbT6_jjT7_P12ihipStream_tbENKUlT_T0_SG_SL_E_clIS9_SA_SB_SB_EEDaSZ_S10_SG_SL_EUlSZ_E_NS1_11comp_targetILNS1_3genE5ELNS1_11target_archE942ELNS1_3gpuE9ELNS1_3repE0EEENS1_47radix_sort_onesweep_sort_config_static_selectorELNS0_4arch9wavefront6targetE0EEEvSG_ ; -- Begin function _ZN7rocprim17ROCPRIM_400000_NS6detail17trampoline_kernelINS0_14default_configENS1_35radix_sort_onesweep_config_selectorIiNS0_10empty_typeEEEZZNS1_29radix_sort_onesweep_iterationIS3_Lb1EPKiPiPS5_SB_mNS0_19identity_decomposerENS1_16block_id_wrapperIjLb0EEEEE10hipError_tT1_PNSt15iterator_traitsISG_E10value_typeET2_T3_PNSH_ISM_E10value_typeET4_T5_PSR_SS_PNS1_23onesweep_lookback_stateEbbT6_jjT7_P12ihipStream_tbENKUlT_T0_SG_SL_E_clIS9_SA_SB_SB_EEDaSZ_S10_SG_SL_EUlSZ_E_NS1_11comp_targetILNS1_3genE5ELNS1_11target_archE942ELNS1_3gpuE9ELNS1_3repE0EEENS1_47radix_sort_onesweep_sort_config_static_selectorELNS0_4arch9wavefront6targetE0EEEvSG_
	.globl	_ZN7rocprim17ROCPRIM_400000_NS6detail17trampoline_kernelINS0_14default_configENS1_35radix_sort_onesweep_config_selectorIiNS0_10empty_typeEEEZZNS1_29radix_sort_onesweep_iterationIS3_Lb1EPKiPiPS5_SB_mNS0_19identity_decomposerENS1_16block_id_wrapperIjLb0EEEEE10hipError_tT1_PNSt15iterator_traitsISG_E10value_typeET2_T3_PNSH_ISM_E10value_typeET4_T5_PSR_SS_PNS1_23onesweep_lookback_stateEbbT6_jjT7_P12ihipStream_tbENKUlT_T0_SG_SL_E_clIS9_SA_SB_SB_EEDaSZ_S10_SG_SL_EUlSZ_E_NS1_11comp_targetILNS1_3genE5ELNS1_11target_archE942ELNS1_3gpuE9ELNS1_3repE0EEENS1_47radix_sort_onesweep_sort_config_static_selectorELNS0_4arch9wavefront6targetE0EEEvSG_
	.p2align	8
	.type	_ZN7rocprim17ROCPRIM_400000_NS6detail17trampoline_kernelINS0_14default_configENS1_35radix_sort_onesweep_config_selectorIiNS0_10empty_typeEEEZZNS1_29radix_sort_onesweep_iterationIS3_Lb1EPKiPiPS5_SB_mNS0_19identity_decomposerENS1_16block_id_wrapperIjLb0EEEEE10hipError_tT1_PNSt15iterator_traitsISG_E10value_typeET2_T3_PNSH_ISM_E10value_typeET4_T5_PSR_SS_PNS1_23onesweep_lookback_stateEbbT6_jjT7_P12ihipStream_tbENKUlT_T0_SG_SL_E_clIS9_SA_SB_SB_EEDaSZ_S10_SG_SL_EUlSZ_E_NS1_11comp_targetILNS1_3genE5ELNS1_11target_archE942ELNS1_3gpuE9ELNS1_3repE0EEENS1_47radix_sort_onesweep_sort_config_static_selectorELNS0_4arch9wavefront6targetE0EEEvSG_,@function
_ZN7rocprim17ROCPRIM_400000_NS6detail17trampoline_kernelINS0_14default_configENS1_35radix_sort_onesweep_config_selectorIiNS0_10empty_typeEEEZZNS1_29radix_sort_onesweep_iterationIS3_Lb1EPKiPiPS5_SB_mNS0_19identity_decomposerENS1_16block_id_wrapperIjLb0EEEEE10hipError_tT1_PNSt15iterator_traitsISG_E10value_typeET2_T3_PNSH_ISM_E10value_typeET4_T5_PSR_SS_PNS1_23onesweep_lookback_stateEbbT6_jjT7_P12ihipStream_tbENKUlT_T0_SG_SL_E_clIS9_SA_SB_SB_EEDaSZ_S10_SG_SL_EUlSZ_E_NS1_11comp_targetILNS1_3genE5ELNS1_11target_archE942ELNS1_3gpuE9ELNS1_3repE0EEENS1_47radix_sort_onesweep_sort_config_static_selectorELNS0_4arch9wavefront6targetE0EEEvSG_: ; @_ZN7rocprim17ROCPRIM_400000_NS6detail17trampoline_kernelINS0_14default_configENS1_35radix_sort_onesweep_config_selectorIiNS0_10empty_typeEEEZZNS1_29radix_sort_onesweep_iterationIS3_Lb1EPKiPiPS5_SB_mNS0_19identity_decomposerENS1_16block_id_wrapperIjLb0EEEEE10hipError_tT1_PNSt15iterator_traitsISG_E10value_typeET2_T3_PNSH_ISM_E10value_typeET4_T5_PSR_SS_PNS1_23onesweep_lookback_stateEbbT6_jjT7_P12ihipStream_tbENKUlT_T0_SG_SL_E_clIS9_SA_SB_SB_EEDaSZ_S10_SG_SL_EUlSZ_E_NS1_11comp_targetILNS1_3genE5ELNS1_11target_archE942ELNS1_3gpuE9ELNS1_3repE0EEENS1_47radix_sort_onesweep_sort_config_static_selectorELNS0_4arch9wavefront6targetE0EEEvSG_
; %bb.0:
	.section	.rodata,"a",@progbits
	.p2align	6, 0x0
	.amdhsa_kernel _ZN7rocprim17ROCPRIM_400000_NS6detail17trampoline_kernelINS0_14default_configENS1_35radix_sort_onesweep_config_selectorIiNS0_10empty_typeEEEZZNS1_29radix_sort_onesweep_iterationIS3_Lb1EPKiPiPS5_SB_mNS0_19identity_decomposerENS1_16block_id_wrapperIjLb0EEEEE10hipError_tT1_PNSt15iterator_traitsISG_E10value_typeET2_T3_PNSH_ISM_E10value_typeET4_T5_PSR_SS_PNS1_23onesweep_lookback_stateEbbT6_jjT7_P12ihipStream_tbENKUlT_T0_SG_SL_E_clIS9_SA_SB_SB_EEDaSZ_S10_SG_SL_EUlSZ_E_NS1_11comp_targetILNS1_3genE5ELNS1_11target_archE942ELNS1_3gpuE9ELNS1_3repE0EEENS1_47radix_sort_onesweep_sort_config_static_selectorELNS0_4arch9wavefront6targetE0EEEvSG_
		.amdhsa_group_segment_fixed_size 0
		.amdhsa_private_segment_fixed_size 0
		.amdhsa_kernarg_size 88
		.amdhsa_user_sgpr_count 2
		.amdhsa_user_sgpr_dispatch_ptr 0
		.amdhsa_user_sgpr_queue_ptr 0
		.amdhsa_user_sgpr_kernarg_segment_ptr 1
		.amdhsa_user_sgpr_dispatch_id 0
		.amdhsa_user_sgpr_kernarg_preload_length 0
		.amdhsa_user_sgpr_kernarg_preload_offset 0
		.amdhsa_user_sgpr_private_segment_size 0
		.amdhsa_wavefront_size32 1
		.amdhsa_uses_dynamic_stack 0
		.amdhsa_enable_private_segment 0
		.amdhsa_system_sgpr_workgroup_id_x 1
		.amdhsa_system_sgpr_workgroup_id_y 0
		.amdhsa_system_sgpr_workgroup_id_z 0
		.amdhsa_system_sgpr_workgroup_info 0
		.amdhsa_system_vgpr_workitem_id 0
		.amdhsa_next_free_vgpr 1
		.amdhsa_next_free_sgpr 1
		.amdhsa_named_barrier_count 0
		.amdhsa_reserve_vcc 0
		.amdhsa_float_round_mode_32 0
		.amdhsa_float_round_mode_16_64 0
		.amdhsa_float_denorm_mode_32 3
		.amdhsa_float_denorm_mode_16_64 3
		.amdhsa_fp16_overflow 0
		.amdhsa_memory_ordered 1
		.amdhsa_forward_progress 1
		.amdhsa_inst_pref_size 0
		.amdhsa_round_robin_scheduling 0
		.amdhsa_exception_fp_ieee_invalid_op 0
		.amdhsa_exception_fp_denorm_src 0
		.amdhsa_exception_fp_ieee_div_zero 0
		.amdhsa_exception_fp_ieee_overflow 0
		.amdhsa_exception_fp_ieee_underflow 0
		.amdhsa_exception_fp_ieee_inexact 0
		.amdhsa_exception_int_div_zero 0
	.end_amdhsa_kernel
	.section	.text._ZN7rocprim17ROCPRIM_400000_NS6detail17trampoline_kernelINS0_14default_configENS1_35radix_sort_onesweep_config_selectorIiNS0_10empty_typeEEEZZNS1_29radix_sort_onesweep_iterationIS3_Lb1EPKiPiPS5_SB_mNS0_19identity_decomposerENS1_16block_id_wrapperIjLb0EEEEE10hipError_tT1_PNSt15iterator_traitsISG_E10value_typeET2_T3_PNSH_ISM_E10value_typeET4_T5_PSR_SS_PNS1_23onesweep_lookback_stateEbbT6_jjT7_P12ihipStream_tbENKUlT_T0_SG_SL_E_clIS9_SA_SB_SB_EEDaSZ_S10_SG_SL_EUlSZ_E_NS1_11comp_targetILNS1_3genE5ELNS1_11target_archE942ELNS1_3gpuE9ELNS1_3repE0EEENS1_47radix_sort_onesweep_sort_config_static_selectorELNS0_4arch9wavefront6targetE0EEEvSG_,"axG",@progbits,_ZN7rocprim17ROCPRIM_400000_NS6detail17trampoline_kernelINS0_14default_configENS1_35radix_sort_onesweep_config_selectorIiNS0_10empty_typeEEEZZNS1_29radix_sort_onesweep_iterationIS3_Lb1EPKiPiPS5_SB_mNS0_19identity_decomposerENS1_16block_id_wrapperIjLb0EEEEE10hipError_tT1_PNSt15iterator_traitsISG_E10value_typeET2_T3_PNSH_ISM_E10value_typeET4_T5_PSR_SS_PNS1_23onesweep_lookback_stateEbbT6_jjT7_P12ihipStream_tbENKUlT_T0_SG_SL_E_clIS9_SA_SB_SB_EEDaSZ_S10_SG_SL_EUlSZ_E_NS1_11comp_targetILNS1_3genE5ELNS1_11target_archE942ELNS1_3gpuE9ELNS1_3repE0EEENS1_47radix_sort_onesweep_sort_config_static_selectorELNS0_4arch9wavefront6targetE0EEEvSG_,comdat
.Lfunc_end869:
	.size	_ZN7rocprim17ROCPRIM_400000_NS6detail17trampoline_kernelINS0_14default_configENS1_35radix_sort_onesweep_config_selectorIiNS0_10empty_typeEEEZZNS1_29radix_sort_onesweep_iterationIS3_Lb1EPKiPiPS5_SB_mNS0_19identity_decomposerENS1_16block_id_wrapperIjLb0EEEEE10hipError_tT1_PNSt15iterator_traitsISG_E10value_typeET2_T3_PNSH_ISM_E10value_typeET4_T5_PSR_SS_PNS1_23onesweep_lookback_stateEbbT6_jjT7_P12ihipStream_tbENKUlT_T0_SG_SL_E_clIS9_SA_SB_SB_EEDaSZ_S10_SG_SL_EUlSZ_E_NS1_11comp_targetILNS1_3genE5ELNS1_11target_archE942ELNS1_3gpuE9ELNS1_3repE0EEENS1_47radix_sort_onesweep_sort_config_static_selectorELNS0_4arch9wavefront6targetE0EEEvSG_, .Lfunc_end869-_ZN7rocprim17ROCPRIM_400000_NS6detail17trampoline_kernelINS0_14default_configENS1_35radix_sort_onesweep_config_selectorIiNS0_10empty_typeEEEZZNS1_29radix_sort_onesweep_iterationIS3_Lb1EPKiPiPS5_SB_mNS0_19identity_decomposerENS1_16block_id_wrapperIjLb0EEEEE10hipError_tT1_PNSt15iterator_traitsISG_E10value_typeET2_T3_PNSH_ISM_E10value_typeET4_T5_PSR_SS_PNS1_23onesweep_lookback_stateEbbT6_jjT7_P12ihipStream_tbENKUlT_T0_SG_SL_E_clIS9_SA_SB_SB_EEDaSZ_S10_SG_SL_EUlSZ_E_NS1_11comp_targetILNS1_3genE5ELNS1_11target_archE942ELNS1_3gpuE9ELNS1_3repE0EEENS1_47radix_sort_onesweep_sort_config_static_selectorELNS0_4arch9wavefront6targetE0EEEvSG_
                                        ; -- End function
	.set _ZN7rocprim17ROCPRIM_400000_NS6detail17trampoline_kernelINS0_14default_configENS1_35radix_sort_onesweep_config_selectorIiNS0_10empty_typeEEEZZNS1_29radix_sort_onesweep_iterationIS3_Lb1EPKiPiPS5_SB_mNS0_19identity_decomposerENS1_16block_id_wrapperIjLb0EEEEE10hipError_tT1_PNSt15iterator_traitsISG_E10value_typeET2_T3_PNSH_ISM_E10value_typeET4_T5_PSR_SS_PNS1_23onesweep_lookback_stateEbbT6_jjT7_P12ihipStream_tbENKUlT_T0_SG_SL_E_clIS9_SA_SB_SB_EEDaSZ_S10_SG_SL_EUlSZ_E_NS1_11comp_targetILNS1_3genE5ELNS1_11target_archE942ELNS1_3gpuE9ELNS1_3repE0EEENS1_47radix_sort_onesweep_sort_config_static_selectorELNS0_4arch9wavefront6targetE0EEEvSG_.num_vgpr, 0
	.set _ZN7rocprim17ROCPRIM_400000_NS6detail17trampoline_kernelINS0_14default_configENS1_35radix_sort_onesweep_config_selectorIiNS0_10empty_typeEEEZZNS1_29radix_sort_onesweep_iterationIS3_Lb1EPKiPiPS5_SB_mNS0_19identity_decomposerENS1_16block_id_wrapperIjLb0EEEEE10hipError_tT1_PNSt15iterator_traitsISG_E10value_typeET2_T3_PNSH_ISM_E10value_typeET4_T5_PSR_SS_PNS1_23onesweep_lookback_stateEbbT6_jjT7_P12ihipStream_tbENKUlT_T0_SG_SL_E_clIS9_SA_SB_SB_EEDaSZ_S10_SG_SL_EUlSZ_E_NS1_11comp_targetILNS1_3genE5ELNS1_11target_archE942ELNS1_3gpuE9ELNS1_3repE0EEENS1_47radix_sort_onesweep_sort_config_static_selectorELNS0_4arch9wavefront6targetE0EEEvSG_.num_agpr, 0
	.set _ZN7rocprim17ROCPRIM_400000_NS6detail17trampoline_kernelINS0_14default_configENS1_35radix_sort_onesweep_config_selectorIiNS0_10empty_typeEEEZZNS1_29radix_sort_onesweep_iterationIS3_Lb1EPKiPiPS5_SB_mNS0_19identity_decomposerENS1_16block_id_wrapperIjLb0EEEEE10hipError_tT1_PNSt15iterator_traitsISG_E10value_typeET2_T3_PNSH_ISM_E10value_typeET4_T5_PSR_SS_PNS1_23onesweep_lookback_stateEbbT6_jjT7_P12ihipStream_tbENKUlT_T0_SG_SL_E_clIS9_SA_SB_SB_EEDaSZ_S10_SG_SL_EUlSZ_E_NS1_11comp_targetILNS1_3genE5ELNS1_11target_archE942ELNS1_3gpuE9ELNS1_3repE0EEENS1_47radix_sort_onesweep_sort_config_static_selectorELNS0_4arch9wavefront6targetE0EEEvSG_.numbered_sgpr, 0
	.set _ZN7rocprim17ROCPRIM_400000_NS6detail17trampoline_kernelINS0_14default_configENS1_35radix_sort_onesweep_config_selectorIiNS0_10empty_typeEEEZZNS1_29radix_sort_onesweep_iterationIS3_Lb1EPKiPiPS5_SB_mNS0_19identity_decomposerENS1_16block_id_wrapperIjLb0EEEEE10hipError_tT1_PNSt15iterator_traitsISG_E10value_typeET2_T3_PNSH_ISM_E10value_typeET4_T5_PSR_SS_PNS1_23onesweep_lookback_stateEbbT6_jjT7_P12ihipStream_tbENKUlT_T0_SG_SL_E_clIS9_SA_SB_SB_EEDaSZ_S10_SG_SL_EUlSZ_E_NS1_11comp_targetILNS1_3genE5ELNS1_11target_archE942ELNS1_3gpuE9ELNS1_3repE0EEENS1_47radix_sort_onesweep_sort_config_static_selectorELNS0_4arch9wavefront6targetE0EEEvSG_.num_named_barrier, 0
	.set _ZN7rocprim17ROCPRIM_400000_NS6detail17trampoline_kernelINS0_14default_configENS1_35radix_sort_onesweep_config_selectorIiNS0_10empty_typeEEEZZNS1_29radix_sort_onesweep_iterationIS3_Lb1EPKiPiPS5_SB_mNS0_19identity_decomposerENS1_16block_id_wrapperIjLb0EEEEE10hipError_tT1_PNSt15iterator_traitsISG_E10value_typeET2_T3_PNSH_ISM_E10value_typeET4_T5_PSR_SS_PNS1_23onesweep_lookback_stateEbbT6_jjT7_P12ihipStream_tbENKUlT_T0_SG_SL_E_clIS9_SA_SB_SB_EEDaSZ_S10_SG_SL_EUlSZ_E_NS1_11comp_targetILNS1_3genE5ELNS1_11target_archE942ELNS1_3gpuE9ELNS1_3repE0EEENS1_47radix_sort_onesweep_sort_config_static_selectorELNS0_4arch9wavefront6targetE0EEEvSG_.private_seg_size, 0
	.set _ZN7rocprim17ROCPRIM_400000_NS6detail17trampoline_kernelINS0_14default_configENS1_35radix_sort_onesweep_config_selectorIiNS0_10empty_typeEEEZZNS1_29radix_sort_onesweep_iterationIS3_Lb1EPKiPiPS5_SB_mNS0_19identity_decomposerENS1_16block_id_wrapperIjLb0EEEEE10hipError_tT1_PNSt15iterator_traitsISG_E10value_typeET2_T3_PNSH_ISM_E10value_typeET4_T5_PSR_SS_PNS1_23onesweep_lookback_stateEbbT6_jjT7_P12ihipStream_tbENKUlT_T0_SG_SL_E_clIS9_SA_SB_SB_EEDaSZ_S10_SG_SL_EUlSZ_E_NS1_11comp_targetILNS1_3genE5ELNS1_11target_archE942ELNS1_3gpuE9ELNS1_3repE0EEENS1_47radix_sort_onesweep_sort_config_static_selectorELNS0_4arch9wavefront6targetE0EEEvSG_.uses_vcc, 0
	.set _ZN7rocprim17ROCPRIM_400000_NS6detail17trampoline_kernelINS0_14default_configENS1_35radix_sort_onesweep_config_selectorIiNS0_10empty_typeEEEZZNS1_29radix_sort_onesweep_iterationIS3_Lb1EPKiPiPS5_SB_mNS0_19identity_decomposerENS1_16block_id_wrapperIjLb0EEEEE10hipError_tT1_PNSt15iterator_traitsISG_E10value_typeET2_T3_PNSH_ISM_E10value_typeET4_T5_PSR_SS_PNS1_23onesweep_lookback_stateEbbT6_jjT7_P12ihipStream_tbENKUlT_T0_SG_SL_E_clIS9_SA_SB_SB_EEDaSZ_S10_SG_SL_EUlSZ_E_NS1_11comp_targetILNS1_3genE5ELNS1_11target_archE942ELNS1_3gpuE9ELNS1_3repE0EEENS1_47radix_sort_onesweep_sort_config_static_selectorELNS0_4arch9wavefront6targetE0EEEvSG_.uses_flat_scratch, 0
	.set _ZN7rocprim17ROCPRIM_400000_NS6detail17trampoline_kernelINS0_14default_configENS1_35radix_sort_onesweep_config_selectorIiNS0_10empty_typeEEEZZNS1_29radix_sort_onesweep_iterationIS3_Lb1EPKiPiPS5_SB_mNS0_19identity_decomposerENS1_16block_id_wrapperIjLb0EEEEE10hipError_tT1_PNSt15iterator_traitsISG_E10value_typeET2_T3_PNSH_ISM_E10value_typeET4_T5_PSR_SS_PNS1_23onesweep_lookback_stateEbbT6_jjT7_P12ihipStream_tbENKUlT_T0_SG_SL_E_clIS9_SA_SB_SB_EEDaSZ_S10_SG_SL_EUlSZ_E_NS1_11comp_targetILNS1_3genE5ELNS1_11target_archE942ELNS1_3gpuE9ELNS1_3repE0EEENS1_47radix_sort_onesweep_sort_config_static_selectorELNS0_4arch9wavefront6targetE0EEEvSG_.has_dyn_sized_stack, 0
	.set _ZN7rocprim17ROCPRIM_400000_NS6detail17trampoline_kernelINS0_14default_configENS1_35radix_sort_onesweep_config_selectorIiNS0_10empty_typeEEEZZNS1_29radix_sort_onesweep_iterationIS3_Lb1EPKiPiPS5_SB_mNS0_19identity_decomposerENS1_16block_id_wrapperIjLb0EEEEE10hipError_tT1_PNSt15iterator_traitsISG_E10value_typeET2_T3_PNSH_ISM_E10value_typeET4_T5_PSR_SS_PNS1_23onesweep_lookback_stateEbbT6_jjT7_P12ihipStream_tbENKUlT_T0_SG_SL_E_clIS9_SA_SB_SB_EEDaSZ_S10_SG_SL_EUlSZ_E_NS1_11comp_targetILNS1_3genE5ELNS1_11target_archE942ELNS1_3gpuE9ELNS1_3repE0EEENS1_47radix_sort_onesweep_sort_config_static_selectorELNS0_4arch9wavefront6targetE0EEEvSG_.has_recursion, 0
	.set _ZN7rocprim17ROCPRIM_400000_NS6detail17trampoline_kernelINS0_14default_configENS1_35radix_sort_onesweep_config_selectorIiNS0_10empty_typeEEEZZNS1_29radix_sort_onesweep_iterationIS3_Lb1EPKiPiPS5_SB_mNS0_19identity_decomposerENS1_16block_id_wrapperIjLb0EEEEE10hipError_tT1_PNSt15iterator_traitsISG_E10value_typeET2_T3_PNSH_ISM_E10value_typeET4_T5_PSR_SS_PNS1_23onesweep_lookback_stateEbbT6_jjT7_P12ihipStream_tbENKUlT_T0_SG_SL_E_clIS9_SA_SB_SB_EEDaSZ_S10_SG_SL_EUlSZ_E_NS1_11comp_targetILNS1_3genE5ELNS1_11target_archE942ELNS1_3gpuE9ELNS1_3repE0EEENS1_47radix_sort_onesweep_sort_config_static_selectorELNS0_4arch9wavefront6targetE0EEEvSG_.has_indirect_call, 0
	.section	.AMDGPU.csdata,"",@progbits
; Kernel info:
; codeLenInByte = 0
; TotalNumSgprs: 0
; NumVgprs: 0
; ScratchSize: 0
; MemoryBound: 0
; FloatMode: 240
; IeeeMode: 1
; LDSByteSize: 0 bytes/workgroup (compile time only)
; SGPRBlocks: 0
; VGPRBlocks: 0
; NumSGPRsForWavesPerEU: 1
; NumVGPRsForWavesPerEU: 1
; NamedBarCnt: 0
; Occupancy: 16
; WaveLimiterHint : 0
; COMPUTE_PGM_RSRC2:SCRATCH_EN: 0
; COMPUTE_PGM_RSRC2:USER_SGPR: 2
; COMPUTE_PGM_RSRC2:TRAP_HANDLER: 0
; COMPUTE_PGM_RSRC2:TGID_X_EN: 1
; COMPUTE_PGM_RSRC2:TGID_Y_EN: 0
; COMPUTE_PGM_RSRC2:TGID_Z_EN: 0
; COMPUTE_PGM_RSRC2:TIDIG_COMP_CNT: 0
	.section	.text._ZN7rocprim17ROCPRIM_400000_NS6detail17trampoline_kernelINS0_14default_configENS1_35radix_sort_onesweep_config_selectorIiNS0_10empty_typeEEEZZNS1_29radix_sort_onesweep_iterationIS3_Lb1EPKiPiPS5_SB_mNS0_19identity_decomposerENS1_16block_id_wrapperIjLb0EEEEE10hipError_tT1_PNSt15iterator_traitsISG_E10value_typeET2_T3_PNSH_ISM_E10value_typeET4_T5_PSR_SS_PNS1_23onesweep_lookback_stateEbbT6_jjT7_P12ihipStream_tbENKUlT_T0_SG_SL_E_clIS9_SA_SB_SB_EEDaSZ_S10_SG_SL_EUlSZ_E_NS1_11comp_targetILNS1_3genE2ELNS1_11target_archE906ELNS1_3gpuE6ELNS1_3repE0EEENS1_47radix_sort_onesweep_sort_config_static_selectorELNS0_4arch9wavefront6targetE0EEEvSG_,"axG",@progbits,_ZN7rocprim17ROCPRIM_400000_NS6detail17trampoline_kernelINS0_14default_configENS1_35radix_sort_onesweep_config_selectorIiNS0_10empty_typeEEEZZNS1_29radix_sort_onesweep_iterationIS3_Lb1EPKiPiPS5_SB_mNS0_19identity_decomposerENS1_16block_id_wrapperIjLb0EEEEE10hipError_tT1_PNSt15iterator_traitsISG_E10value_typeET2_T3_PNSH_ISM_E10value_typeET4_T5_PSR_SS_PNS1_23onesweep_lookback_stateEbbT6_jjT7_P12ihipStream_tbENKUlT_T0_SG_SL_E_clIS9_SA_SB_SB_EEDaSZ_S10_SG_SL_EUlSZ_E_NS1_11comp_targetILNS1_3genE2ELNS1_11target_archE906ELNS1_3gpuE6ELNS1_3repE0EEENS1_47radix_sort_onesweep_sort_config_static_selectorELNS0_4arch9wavefront6targetE0EEEvSG_,comdat
	.protected	_ZN7rocprim17ROCPRIM_400000_NS6detail17trampoline_kernelINS0_14default_configENS1_35radix_sort_onesweep_config_selectorIiNS0_10empty_typeEEEZZNS1_29radix_sort_onesweep_iterationIS3_Lb1EPKiPiPS5_SB_mNS0_19identity_decomposerENS1_16block_id_wrapperIjLb0EEEEE10hipError_tT1_PNSt15iterator_traitsISG_E10value_typeET2_T3_PNSH_ISM_E10value_typeET4_T5_PSR_SS_PNS1_23onesweep_lookback_stateEbbT6_jjT7_P12ihipStream_tbENKUlT_T0_SG_SL_E_clIS9_SA_SB_SB_EEDaSZ_S10_SG_SL_EUlSZ_E_NS1_11comp_targetILNS1_3genE2ELNS1_11target_archE906ELNS1_3gpuE6ELNS1_3repE0EEENS1_47radix_sort_onesweep_sort_config_static_selectorELNS0_4arch9wavefront6targetE0EEEvSG_ ; -- Begin function _ZN7rocprim17ROCPRIM_400000_NS6detail17trampoline_kernelINS0_14default_configENS1_35radix_sort_onesweep_config_selectorIiNS0_10empty_typeEEEZZNS1_29radix_sort_onesweep_iterationIS3_Lb1EPKiPiPS5_SB_mNS0_19identity_decomposerENS1_16block_id_wrapperIjLb0EEEEE10hipError_tT1_PNSt15iterator_traitsISG_E10value_typeET2_T3_PNSH_ISM_E10value_typeET4_T5_PSR_SS_PNS1_23onesweep_lookback_stateEbbT6_jjT7_P12ihipStream_tbENKUlT_T0_SG_SL_E_clIS9_SA_SB_SB_EEDaSZ_S10_SG_SL_EUlSZ_E_NS1_11comp_targetILNS1_3genE2ELNS1_11target_archE906ELNS1_3gpuE6ELNS1_3repE0EEENS1_47radix_sort_onesweep_sort_config_static_selectorELNS0_4arch9wavefront6targetE0EEEvSG_
	.globl	_ZN7rocprim17ROCPRIM_400000_NS6detail17trampoline_kernelINS0_14default_configENS1_35radix_sort_onesweep_config_selectorIiNS0_10empty_typeEEEZZNS1_29radix_sort_onesweep_iterationIS3_Lb1EPKiPiPS5_SB_mNS0_19identity_decomposerENS1_16block_id_wrapperIjLb0EEEEE10hipError_tT1_PNSt15iterator_traitsISG_E10value_typeET2_T3_PNSH_ISM_E10value_typeET4_T5_PSR_SS_PNS1_23onesweep_lookback_stateEbbT6_jjT7_P12ihipStream_tbENKUlT_T0_SG_SL_E_clIS9_SA_SB_SB_EEDaSZ_S10_SG_SL_EUlSZ_E_NS1_11comp_targetILNS1_3genE2ELNS1_11target_archE906ELNS1_3gpuE6ELNS1_3repE0EEENS1_47radix_sort_onesweep_sort_config_static_selectorELNS0_4arch9wavefront6targetE0EEEvSG_
	.p2align	8
	.type	_ZN7rocprim17ROCPRIM_400000_NS6detail17trampoline_kernelINS0_14default_configENS1_35radix_sort_onesweep_config_selectorIiNS0_10empty_typeEEEZZNS1_29radix_sort_onesweep_iterationIS3_Lb1EPKiPiPS5_SB_mNS0_19identity_decomposerENS1_16block_id_wrapperIjLb0EEEEE10hipError_tT1_PNSt15iterator_traitsISG_E10value_typeET2_T3_PNSH_ISM_E10value_typeET4_T5_PSR_SS_PNS1_23onesweep_lookback_stateEbbT6_jjT7_P12ihipStream_tbENKUlT_T0_SG_SL_E_clIS9_SA_SB_SB_EEDaSZ_S10_SG_SL_EUlSZ_E_NS1_11comp_targetILNS1_3genE2ELNS1_11target_archE906ELNS1_3gpuE6ELNS1_3repE0EEENS1_47radix_sort_onesweep_sort_config_static_selectorELNS0_4arch9wavefront6targetE0EEEvSG_,@function
_ZN7rocprim17ROCPRIM_400000_NS6detail17trampoline_kernelINS0_14default_configENS1_35radix_sort_onesweep_config_selectorIiNS0_10empty_typeEEEZZNS1_29radix_sort_onesweep_iterationIS3_Lb1EPKiPiPS5_SB_mNS0_19identity_decomposerENS1_16block_id_wrapperIjLb0EEEEE10hipError_tT1_PNSt15iterator_traitsISG_E10value_typeET2_T3_PNSH_ISM_E10value_typeET4_T5_PSR_SS_PNS1_23onesweep_lookback_stateEbbT6_jjT7_P12ihipStream_tbENKUlT_T0_SG_SL_E_clIS9_SA_SB_SB_EEDaSZ_S10_SG_SL_EUlSZ_E_NS1_11comp_targetILNS1_3genE2ELNS1_11target_archE906ELNS1_3gpuE6ELNS1_3repE0EEENS1_47radix_sort_onesweep_sort_config_static_selectorELNS0_4arch9wavefront6targetE0EEEvSG_: ; @_ZN7rocprim17ROCPRIM_400000_NS6detail17trampoline_kernelINS0_14default_configENS1_35radix_sort_onesweep_config_selectorIiNS0_10empty_typeEEEZZNS1_29radix_sort_onesweep_iterationIS3_Lb1EPKiPiPS5_SB_mNS0_19identity_decomposerENS1_16block_id_wrapperIjLb0EEEEE10hipError_tT1_PNSt15iterator_traitsISG_E10value_typeET2_T3_PNSH_ISM_E10value_typeET4_T5_PSR_SS_PNS1_23onesweep_lookback_stateEbbT6_jjT7_P12ihipStream_tbENKUlT_T0_SG_SL_E_clIS9_SA_SB_SB_EEDaSZ_S10_SG_SL_EUlSZ_E_NS1_11comp_targetILNS1_3genE2ELNS1_11target_archE906ELNS1_3gpuE6ELNS1_3repE0EEENS1_47radix_sort_onesweep_sort_config_static_selectorELNS0_4arch9wavefront6targetE0EEEvSG_
; %bb.0:
	.section	.rodata,"a",@progbits
	.p2align	6, 0x0
	.amdhsa_kernel _ZN7rocprim17ROCPRIM_400000_NS6detail17trampoline_kernelINS0_14default_configENS1_35radix_sort_onesweep_config_selectorIiNS0_10empty_typeEEEZZNS1_29radix_sort_onesweep_iterationIS3_Lb1EPKiPiPS5_SB_mNS0_19identity_decomposerENS1_16block_id_wrapperIjLb0EEEEE10hipError_tT1_PNSt15iterator_traitsISG_E10value_typeET2_T3_PNSH_ISM_E10value_typeET4_T5_PSR_SS_PNS1_23onesweep_lookback_stateEbbT6_jjT7_P12ihipStream_tbENKUlT_T0_SG_SL_E_clIS9_SA_SB_SB_EEDaSZ_S10_SG_SL_EUlSZ_E_NS1_11comp_targetILNS1_3genE2ELNS1_11target_archE906ELNS1_3gpuE6ELNS1_3repE0EEENS1_47radix_sort_onesweep_sort_config_static_selectorELNS0_4arch9wavefront6targetE0EEEvSG_
		.amdhsa_group_segment_fixed_size 0
		.amdhsa_private_segment_fixed_size 0
		.amdhsa_kernarg_size 88
		.amdhsa_user_sgpr_count 2
		.amdhsa_user_sgpr_dispatch_ptr 0
		.amdhsa_user_sgpr_queue_ptr 0
		.amdhsa_user_sgpr_kernarg_segment_ptr 1
		.amdhsa_user_sgpr_dispatch_id 0
		.amdhsa_user_sgpr_kernarg_preload_length 0
		.amdhsa_user_sgpr_kernarg_preload_offset 0
		.amdhsa_user_sgpr_private_segment_size 0
		.amdhsa_wavefront_size32 1
		.amdhsa_uses_dynamic_stack 0
		.amdhsa_enable_private_segment 0
		.amdhsa_system_sgpr_workgroup_id_x 1
		.amdhsa_system_sgpr_workgroup_id_y 0
		.amdhsa_system_sgpr_workgroup_id_z 0
		.amdhsa_system_sgpr_workgroup_info 0
		.amdhsa_system_vgpr_workitem_id 0
		.amdhsa_next_free_vgpr 1
		.amdhsa_next_free_sgpr 1
		.amdhsa_named_barrier_count 0
		.amdhsa_reserve_vcc 0
		.amdhsa_float_round_mode_32 0
		.amdhsa_float_round_mode_16_64 0
		.amdhsa_float_denorm_mode_32 3
		.amdhsa_float_denorm_mode_16_64 3
		.amdhsa_fp16_overflow 0
		.amdhsa_memory_ordered 1
		.amdhsa_forward_progress 1
		.amdhsa_inst_pref_size 0
		.amdhsa_round_robin_scheduling 0
		.amdhsa_exception_fp_ieee_invalid_op 0
		.amdhsa_exception_fp_denorm_src 0
		.amdhsa_exception_fp_ieee_div_zero 0
		.amdhsa_exception_fp_ieee_overflow 0
		.amdhsa_exception_fp_ieee_underflow 0
		.amdhsa_exception_fp_ieee_inexact 0
		.amdhsa_exception_int_div_zero 0
	.end_amdhsa_kernel
	.section	.text._ZN7rocprim17ROCPRIM_400000_NS6detail17trampoline_kernelINS0_14default_configENS1_35radix_sort_onesweep_config_selectorIiNS0_10empty_typeEEEZZNS1_29radix_sort_onesweep_iterationIS3_Lb1EPKiPiPS5_SB_mNS0_19identity_decomposerENS1_16block_id_wrapperIjLb0EEEEE10hipError_tT1_PNSt15iterator_traitsISG_E10value_typeET2_T3_PNSH_ISM_E10value_typeET4_T5_PSR_SS_PNS1_23onesweep_lookback_stateEbbT6_jjT7_P12ihipStream_tbENKUlT_T0_SG_SL_E_clIS9_SA_SB_SB_EEDaSZ_S10_SG_SL_EUlSZ_E_NS1_11comp_targetILNS1_3genE2ELNS1_11target_archE906ELNS1_3gpuE6ELNS1_3repE0EEENS1_47radix_sort_onesweep_sort_config_static_selectorELNS0_4arch9wavefront6targetE0EEEvSG_,"axG",@progbits,_ZN7rocprim17ROCPRIM_400000_NS6detail17trampoline_kernelINS0_14default_configENS1_35radix_sort_onesweep_config_selectorIiNS0_10empty_typeEEEZZNS1_29radix_sort_onesweep_iterationIS3_Lb1EPKiPiPS5_SB_mNS0_19identity_decomposerENS1_16block_id_wrapperIjLb0EEEEE10hipError_tT1_PNSt15iterator_traitsISG_E10value_typeET2_T3_PNSH_ISM_E10value_typeET4_T5_PSR_SS_PNS1_23onesweep_lookback_stateEbbT6_jjT7_P12ihipStream_tbENKUlT_T0_SG_SL_E_clIS9_SA_SB_SB_EEDaSZ_S10_SG_SL_EUlSZ_E_NS1_11comp_targetILNS1_3genE2ELNS1_11target_archE906ELNS1_3gpuE6ELNS1_3repE0EEENS1_47radix_sort_onesweep_sort_config_static_selectorELNS0_4arch9wavefront6targetE0EEEvSG_,comdat
.Lfunc_end870:
	.size	_ZN7rocprim17ROCPRIM_400000_NS6detail17trampoline_kernelINS0_14default_configENS1_35radix_sort_onesweep_config_selectorIiNS0_10empty_typeEEEZZNS1_29radix_sort_onesweep_iterationIS3_Lb1EPKiPiPS5_SB_mNS0_19identity_decomposerENS1_16block_id_wrapperIjLb0EEEEE10hipError_tT1_PNSt15iterator_traitsISG_E10value_typeET2_T3_PNSH_ISM_E10value_typeET4_T5_PSR_SS_PNS1_23onesweep_lookback_stateEbbT6_jjT7_P12ihipStream_tbENKUlT_T0_SG_SL_E_clIS9_SA_SB_SB_EEDaSZ_S10_SG_SL_EUlSZ_E_NS1_11comp_targetILNS1_3genE2ELNS1_11target_archE906ELNS1_3gpuE6ELNS1_3repE0EEENS1_47radix_sort_onesweep_sort_config_static_selectorELNS0_4arch9wavefront6targetE0EEEvSG_, .Lfunc_end870-_ZN7rocprim17ROCPRIM_400000_NS6detail17trampoline_kernelINS0_14default_configENS1_35radix_sort_onesweep_config_selectorIiNS0_10empty_typeEEEZZNS1_29radix_sort_onesweep_iterationIS3_Lb1EPKiPiPS5_SB_mNS0_19identity_decomposerENS1_16block_id_wrapperIjLb0EEEEE10hipError_tT1_PNSt15iterator_traitsISG_E10value_typeET2_T3_PNSH_ISM_E10value_typeET4_T5_PSR_SS_PNS1_23onesweep_lookback_stateEbbT6_jjT7_P12ihipStream_tbENKUlT_T0_SG_SL_E_clIS9_SA_SB_SB_EEDaSZ_S10_SG_SL_EUlSZ_E_NS1_11comp_targetILNS1_3genE2ELNS1_11target_archE906ELNS1_3gpuE6ELNS1_3repE0EEENS1_47radix_sort_onesweep_sort_config_static_selectorELNS0_4arch9wavefront6targetE0EEEvSG_
                                        ; -- End function
	.set _ZN7rocprim17ROCPRIM_400000_NS6detail17trampoline_kernelINS0_14default_configENS1_35radix_sort_onesweep_config_selectorIiNS0_10empty_typeEEEZZNS1_29radix_sort_onesweep_iterationIS3_Lb1EPKiPiPS5_SB_mNS0_19identity_decomposerENS1_16block_id_wrapperIjLb0EEEEE10hipError_tT1_PNSt15iterator_traitsISG_E10value_typeET2_T3_PNSH_ISM_E10value_typeET4_T5_PSR_SS_PNS1_23onesweep_lookback_stateEbbT6_jjT7_P12ihipStream_tbENKUlT_T0_SG_SL_E_clIS9_SA_SB_SB_EEDaSZ_S10_SG_SL_EUlSZ_E_NS1_11comp_targetILNS1_3genE2ELNS1_11target_archE906ELNS1_3gpuE6ELNS1_3repE0EEENS1_47radix_sort_onesweep_sort_config_static_selectorELNS0_4arch9wavefront6targetE0EEEvSG_.num_vgpr, 0
	.set _ZN7rocprim17ROCPRIM_400000_NS6detail17trampoline_kernelINS0_14default_configENS1_35radix_sort_onesweep_config_selectorIiNS0_10empty_typeEEEZZNS1_29radix_sort_onesweep_iterationIS3_Lb1EPKiPiPS5_SB_mNS0_19identity_decomposerENS1_16block_id_wrapperIjLb0EEEEE10hipError_tT1_PNSt15iterator_traitsISG_E10value_typeET2_T3_PNSH_ISM_E10value_typeET4_T5_PSR_SS_PNS1_23onesweep_lookback_stateEbbT6_jjT7_P12ihipStream_tbENKUlT_T0_SG_SL_E_clIS9_SA_SB_SB_EEDaSZ_S10_SG_SL_EUlSZ_E_NS1_11comp_targetILNS1_3genE2ELNS1_11target_archE906ELNS1_3gpuE6ELNS1_3repE0EEENS1_47radix_sort_onesweep_sort_config_static_selectorELNS0_4arch9wavefront6targetE0EEEvSG_.num_agpr, 0
	.set _ZN7rocprim17ROCPRIM_400000_NS6detail17trampoline_kernelINS0_14default_configENS1_35radix_sort_onesweep_config_selectorIiNS0_10empty_typeEEEZZNS1_29radix_sort_onesweep_iterationIS3_Lb1EPKiPiPS5_SB_mNS0_19identity_decomposerENS1_16block_id_wrapperIjLb0EEEEE10hipError_tT1_PNSt15iterator_traitsISG_E10value_typeET2_T3_PNSH_ISM_E10value_typeET4_T5_PSR_SS_PNS1_23onesweep_lookback_stateEbbT6_jjT7_P12ihipStream_tbENKUlT_T0_SG_SL_E_clIS9_SA_SB_SB_EEDaSZ_S10_SG_SL_EUlSZ_E_NS1_11comp_targetILNS1_3genE2ELNS1_11target_archE906ELNS1_3gpuE6ELNS1_3repE0EEENS1_47radix_sort_onesweep_sort_config_static_selectorELNS0_4arch9wavefront6targetE0EEEvSG_.numbered_sgpr, 0
	.set _ZN7rocprim17ROCPRIM_400000_NS6detail17trampoline_kernelINS0_14default_configENS1_35radix_sort_onesweep_config_selectorIiNS0_10empty_typeEEEZZNS1_29radix_sort_onesweep_iterationIS3_Lb1EPKiPiPS5_SB_mNS0_19identity_decomposerENS1_16block_id_wrapperIjLb0EEEEE10hipError_tT1_PNSt15iterator_traitsISG_E10value_typeET2_T3_PNSH_ISM_E10value_typeET4_T5_PSR_SS_PNS1_23onesweep_lookback_stateEbbT6_jjT7_P12ihipStream_tbENKUlT_T0_SG_SL_E_clIS9_SA_SB_SB_EEDaSZ_S10_SG_SL_EUlSZ_E_NS1_11comp_targetILNS1_3genE2ELNS1_11target_archE906ELNS1_3gpuE6ELNS1_3repE0EEENS1_47radix_sort_onesweep_sort_config_static_selectorELNS0_4arch9wavefront6targetE0EEEvSG_.num_named_barrier, 0
	.set _ZN7rocprim17ROCPRIM_400000_NS6detail17trampoline_kernelINS0_14default_configENS1_35radix_sort_onesweep_config_selectorIiNS0_10empty_typeEEEZZNS1_29radix_sort_onesweep_iterationIS3_Lb1EPKiPiPS5_SB_mNS0_19identity_decomposerENS1_16block_id_wrapperIjLb0EEEEE10hipError_tT1_PNSt15iterator_traitsISG_E10value_typeET2_T3_PNSH_ISM_E10value_typeET4_T5_PSR_SS_PNS1_23onesweep_lookback_stateEbbT6_jjT7_P12ihipStream_tbENKUlT_T0_SG_SL_E_clIS9_SA_SB_SB_EEDaSZ_S10_SG_SL_EUlSZ_E_NS1_11comp_targetILNS1_3genE2ELNS1_11target_archE906ELNS1_3gpuE6ELNS1_3repE0EEENS1_47radix_sort_onesweep_sort_config_static_selectorELNS0_4arch9wavefront6targetE0EEEvSG_.private_seg_size, 0
	.set _ZN7rocprim17ROCPRIM_400000_NS6detail17trampoline_kernelINS0_14default_configENS1_35radix_sort_onesweep_config_selectorIiNS0_10empty_typeEEEZZNS1_29radix_sort_onesweep_iterationIS3_Lb1EPKiPiPS5_SB_mNS0_19identity_decomposerENS1_16block_id_wrapperIjLb0EEEEE10hipError_tT1_PNSt15iterator_traitsISG_E10value_typeET2_T3_PNSH_ISM_E10value_typeET4_T5_PSR_SS_PNS1_23onesweep_lookback_stateEbbT6_jjT7_P12ihipStream_tbENKUlT_T0_SG_SL_E_clIS9_SA_SB_SB_EEDaSZ_S10_SG_SL_EUlSZ_E_NS1_11comp_targetILNS1_3genE2ELNS1_11target_archE906ELNS1_3gpuE6ELNS1_3repE0EEENS1_47radix_sort_onesweep_sort_config_static_selectorELNS0_4arch9wavefront6targetE0EEEvSG_.uses_vcc, 0
	.set _ZN7rocprim17ROCPRIM_400000_NS6detail17trampoline_kernelINS0_14default_configENS1_35radix_sort_onesweep_config_selectorIiNS0_10empty_typeEEEZZNS1_29radix_sort_onesweep_iterationIS3_Lb1EPKiPiPS5_SB_mNS0_19identity_decomposerENS1_16block_id_wrapperIjLb0EEEEE10hipError_tT1_PNSt15iterator_traitsISG_E10value_typeET2_T3_PNSH_ISM_E10value_typeET4_T5_PSR_SS_PNS1_23onesweep_lookback_stateEbbT6_jjT7_P12ihipStream_tbENKUlT_T0_SG_SL_E_clIS9_SA_SB_SB_EEDaSZ_S10_SG_SL_EUlSZ_E_NS1_11comp_targetILNS1_3genE2ELNS1_11target_archE906ELNS1_3gpuE6ELNS1_3repE0EEENS1_47radix_sort_onesweep_sort_config_static_selectorELNS0_4arch9wavefront6targetE0EEEvSG_.uses_flat_scratch, 0
	.set _ZN7rocprim17ROCPRIM_400000_NS6detail17trampoline_kernelINS0_14default_configENS1_35radix_sort_onesweep_config_selectorIiNS0_10empty_typeEEEZZNS1_29radix_sort_onesweep_iterationIS3_Lb1EPKiPiPS5_SB_mNS0_19identity_decomposerENS1_16block_id_wrapperIjLb0EEEEE10hipError_tT1_PNSt15iterator_traitsISG_E10value_typeET2_T3_PNSH_ISM_E10value_typeET4_T5_PSR_SS_PNS1_23onesweep_lookback_stateEbbT6_jjT7_P12ihipStream_tbENKUlT_T0_SG_SL_E_clIS9_SA_SB_SB_EEDaSZ_S10_SG_SL_EUlSZ_E_NS1_11comp_targetILNS1_3genE2ELNS1_11target_archE906ELNS1_3gpuE6ELNS1_3repE0EEENS1_47radix_sort_onesweep_sort_config_static_selectorELNS0_4arch9wavefront6targetE0EEEvSG_.has_dyn_sized_stack, 0
	.set _ZN7rocprim17ROCPRIM_400000_NS6detail17trampoline_kernelINS0_14default_configENS1_35radix_sort_onesweep_config_selectorIiNS0_10empty_typeEEEZZNS1_29radix_sort_onesweep_iterationIS3_Lb1EPKiPiPS5_SB_mNS0_19identity_decomposerENS1_16block_id_wrapperIjLb0EEEEE10hipError_tT1_PNSt15iterator_traitsISG_E10value_typeET2_T3_PNSH_ISM_E10value_typeET4_T5_PSR_SS_PNS1_23onesweep_lookback_stateEbbT6_jjT7_P12ihipStream_tbENKUlT_T0_SG_SL_E_clIS9_SA_SB_SB_EEDaSZ_S10_SG_SL_EUlSZ_E_NS1_11comp_targetILNS1_3genE2ELNS1_11target_archE906ELNS1_3gpuE6ELNS1_3repE0EEENS1_47radix_sort_onesweep_sort_config_static_selectorELNS0_4arch9wavefront6targetE0EEEvSG_.has_recursion, 0
	.set _ZN7rocprim17ROCPRIM_400000_NS6detail17trampoline_kernelINS0_14default_configENS1_35radix_sort_onesweep_config_selectorIiNS0_10empty_typeEEEZZNS1_29radix_sort_onesweep_iterationIS3_Lb1EPKiPiPS5_SB_mNS0_19identity_decomposerENS1_16block_id_wrapperIjLb0EEEEE10hipError_tT1_PNSt15iterator_traitsISG_E10value_typeET2_T3_PNSH_ISM_E10value_typeET4_T5_PSR_SS_PNS1_23onesweep_lookback_stateEbbT6_jjT7_P12ihipStream_tbENKUlT_T0_SG_SL_E_clIS9_SA_SB_SB_EEDaSZ_S10_SG_SL_EUlSZ_E_NS1_11comp_targetILNS1_3genE2ELNS1_11target_archE906ELNS1_3gpuE6ELNS1_3repE0EEENS1_47radix_sort_onesweep_sort_config_static_selectorELNS0_4arch9wavefront6targetE0EEEvSG_.has_indirect_call, 0
	.section	.AMDGPU.csdata,"",@progbits
; Kernel info:
; codeLenInByte = 0
; TotalNumSgprs: 0
; NumVgprs: 0
; ScratchSize: 0
; MemoryBound: 0
; FloatMode: 240
; IeeeMode: 1
; LDSByteSize: 0 bytes/workgroup (compile time only)
; SGPRBlocks: 0
; VGPRBlocks: 0
; NumSGPRsForWavesPerEU: 1
; NumVGPRsForWavesPerEU: 1
; NamedBarCnt: 0
; Occupancy: 16
; WaveLimiterHint : 0
; COMPUTE_PGM_RSRC2:SCRATCH_EN: 0
; COMPUTE_PGM_RSRC2:USER_SGPR: 2
; COMPUTE_PGM_RSRC2:TRAP_HANDLER: 0
; COMPUTE_PGM_RSRC2:TGID_X_EN: 1
; COMPUTE_PGM_RSRC2:TGID_Y_EN: 0
; COMPUTE_PGM_RSRC2:TGID_Z_EN: 0
; COMPUTE_PGM_RSRC2:TIDIG_COMP_CNT: 0
	.section	.text._ZN7rocprim17ROCPRIM_400000_NS6detail17trampoline_kernelINS0_14default_configENS1_35radix_sort_onesweep_config_selectorIiNS0_10empty_typeEEEZZNS1_29radix_sort_onesweep_iterationIS3_Lb1EPKiPiPS5_SB_mNS0_19identity_decomposerENS1_16block_id_wrapperIjLb0EEEEE10hipError_tT1_PNSt15iterator_traitsISG_E10value_typeET2_T3_PNSH_ISM_E10value_typeET4_T5_PSR_SS_PNS1_23onesweep_lookback_stateEbbT6_jjT7_P12ihipStream_tbENKUlT_T0_SG_SL_E_clIS9_SA_SB_SB_EEDaSZ_S10_SG_SL_EUlSZ_E_NS1_11comp_targetILNS1_3genE4ELNS1_11target_archE910ELNS1_3gpuE8ELNS1_3repE0EEENS1_47radix_sort_onesweep_sort_config_static_selectorELNS0_4arch9wavefront6targetE0EEEvSG_,"axG",@progbits,_ZN7rocprim17ROCPRIM_400000_NS6detail17trampoline_kernelINS0_14default_configENS1_35radix_sort_onesweep_config_selectorIiNS0_10empty_typeEEEZZNS1_29radix_sort_onesweep_iterationIS3_Lb1EPKiPiPS5_SB_mNS0_19identity_decomposerENS1_16block_id_wrapperIjLb0EEEEE10hipError_tT1_PNSt15iterator_traitsISG_E10value_typeET2_T3_PNSH_ISM_E10value_typeET4_T5_PSR_SS_PNS1_23onesweep_lookback_stateEbbT6_jjT7_P12ihipStream_tbENKUlT_T0_SG_SL_E_clIS9_SA_SB_SB_EEDaSZ_S10_SG_SL_EUlSZ_E_NS1_11comp_targetILNS1_3genE4ELNS1_11target_archE910ELNS1_3gpuE8ELNS1_3repE0EEENS1_47radix_sort_onesweep_sort_config_static_selectorELNS0_4arch9wavefront6targetE0EEEvSG_,comdat
	.protected	_ZN7rocprim17ROCPRIM_400000_NS6detail17trampoline_kernelINS0_14default_configENS1_35radix_sort_onesweep_config_selectorIiNS0_10empty_typeEEEZZNS1_29radix_sort_onesweep_iterationIS3_Lb1EPKiPiPS5_SB_mNS0_19identity_decomposerENS1_16block_id_wrapperIjLb0EEEEE10hipError_tT1_PNSt15iterator_traitsISG_E10value_typeET2_T3_PNSH_ISM_E10value_typeET4_T5_PSR_SS_PNS1_23onesweep_lookback_stateEbbT6_jjT7_P12ihipStream_tbENKUlT_T0_SG_SL_E_clIS9_SA_SB_SB_EEDaSZ_S10_SG_SL_EUlSZ_E_NS1_11comp_targetILNS1_3genE4ELNS1_11target_archE910ELNS1_3gpuE8ELNS1_3repE0EEENS1_47radix_sort_onesweep_sort_config_static_selectorELNS0_4arch9wavefront6targetE0EEEvSG_ ; -- Begin function _ZN7rocprim17ROCPRIM_400000_NS6detail17trampoline_kernelINS0_14default_configENS1_35radix_sort_onesweep_config_selectorIiNS0_10empty_typeEEEZZNS1_29radix_sort_onesweep_iterationIS3_Lb1EPKiPiPS5_SB_mNS0_19identity_decomposerENS1_16block_id_wrapperIjLb0EEEEE10hipError_tT1_PNSt15iterator_traitsISG_E10value_typeET2_T3_PNSH_ISM_E10value_typeET4_T5_PSR_SS_PNS1_23onesweep_lookback_stateEbbT6_jjT7_P12ihipStream_tbENKUlT_T0_SG_SL_E_clIS9_SA_SB_SB_EEDaSZ_S10_SG_SL_EUlSZ_E_NS1_11comp_targetILNS1_3genE4ELNS1_11target_archE910ELNS1_3gpuE8ELNS1_3repE0EEENS1_47radix_sort_onesweep_sort_config_static_selectorELNS0_4arch9wavefront6targetE0EEEvSG_
	.globl	_ZN7rocprim17ROCPRIM_400000_NS6detail17trampoline_kernelINS0_14default_configENS1_35radix_sort_onesweep_config_selectorIiNS0_10empty_typeEEEZZNS1_29radix_sort_onesweep_iterationIS3_Lb1EPKiPiPS5_SB_mNS0_19identity_decomposerENS1_16block_id_wrapperIjLb0EEEEE10hipError_tT1_PNSt15iterator_traitsISG_E10value_typeET2_T3_PNSH_ISM_E10value_typeET4_T5_PSR_SS_PNS1_23onesweep_lookback_stateEbbT6_jjT7_P12ihipStream_tbENKUlT_T0_SG_SL_E_clIS9_SA_SB_SB_EEDaSZ_S10_SG_SL_EUlSZ_E_NS1_11comp_targetILNS1_3genE4ELNS1_11target_archE910ELNS1_3gpuE8ELNS1_3repE0EEENS1_47radix_sort_onesweep_sort_config_static_selectorELNS0_4arch9wavefront6targetE0EEEvSG_
	.p2align	8
	.type	_ZN7rocprim17ROCPRIM_400000_NS6detail17trampoline_kernelINS0_14default_configENS1_35radix_sort_onesweep_config_selectorIiNS0_10empty_typeEEEZZNS1_29radix_sort_onesweep_iterationIS3_Lb1EPKiPiPS5_SB_mNS0_19identity_decomposerENS1_16block_id_wrapperIjLb0EEEEE10hipError_tT1_PNSt15iterator_traitsISG_E10value_typeET2_T3_PNSH_ISM_E10value_typeET4_T5_PSR_SS_PNS1_23onesweep_lookback_stateEbbT6_jjT7_P12ihipStream_tbENKUlT_T0_SG_SL_E_clIS9_SA_SB_SB_EEDaSZ_S10_SG_SL_EUlSZ_E_NS1_11comp_targetILNS1_3genE4ELNS1_11target_archE910ELNS1_3gpuE8ELNS1_3repE0EEENS1_47radix_sort_onesweep_sort_config_static_selectorELNS0_4arch9wavefront6targetE0EEEvSG_,@function
_ZN7rocprim17ROCPRIM_400000_NS6detail17trampoline_kernelINS0_14default_configENS1_35radix_sort_onesweep_config_selectorIiNS0_10empty_typeEEEZZNS1_29radix_sort_onesweep_iterationIS3_Lb1EPKiPiPS5_SB_mNS0_19identity_decomposerENS1_16block_id_wrapperIjLb0EEEEE10hipError_tT1_PNSt15iterator_traitsISG_E10value_typeET2_T3_PNSH_ISM_E10value_typeET4_T5_PSR_SS_PNS1_23onesweep_lookback_stateEbbT6_jjT7_P12ihipStream_tbENKUlT_T0_SG_SL_E_clIS9_SA_SB_SB_EEDaSZ_S10_SG_SL_EUlSZ_E_NS1_11comp_targetILNS1_3genE4ELNS1_11target_archE910ELNS1_3gpuE8ELNS1_3repE0EEENS1_47radix_sort_onesweep_sort_config_static_selectorELNS0_4arch9wavefront6targetE0EEEvSG_: ; @_ZN7rocprim17ROCPRIM_400000_NS6detail17trampoline_kernelINS0_14default_configENS1_35radix_sort_onesweep_config_selectorIiNS0_10empty_typeEEEZZNS1_29radix_sort_onesweep_iterationIS3_Lb1EPKiPiPS5_SB_mNS0_19identity_decomposerENS1_16block_id_wrapperIjLb0EEEEE10hipError_tT1_PNSt15iterator_traitsISG_E10value_typeET2_T3_PNSH_ISM_E10value_typeET4_T5_PSR_SS_PNS1_23onesweep_lookback_stateEbbT6_jjT7_P12ihipStream_tbENKUlT_T0_SG_SL_E_clIS9_SA_SB_SB_EEDaSZ_S10_SG_SL_EUlSZ_E_NS1_11comp_targetILNS1_3genE4ELNS1_11target_archE910ELNS1_3gpuE8ELNS1_3repE0EEENS1_47radix_sort_onesweep_sort_config_static_selectorELNS0_4arch9wavefront6targetE0EEEvSG_
; %bb.0:
	.section	.rodata,"a",@progbits
	.p2align	6, 0x0
	.amdhsa_kernel _ZN7rocprim17ROCPRIM_400000_NS6detail17trampoline_kernelINS0_14default_configENS1_35radix_sort_onesweep_config_selectorIiNS0_10empty_typeEEEZZNS1_29radix_sort_onesweep_iterationIS3_Lb1EPKiPiPS5_SB_mNS0_19identity_decomposerENS1_16block_id_wrapperIjLb0EEEEE10hipError_tT1_PNSt15iterator_traitsISG_E10value_typeET2_T3_PNSH_ISM_E10value_typeET4_T5_PSR_SS_PNS1_23onesweep_lookback_stateEbbT6_jjT7_P12ihipStream_tbENKUlT_T0_SG_SL_E_clIS9_SA_SB_SB_EEDaSZ_S10_SG_SL_EUlSZ_E_NS1_11comp_targetILNS1_3genE4ELNS1_11target_archE910ELNS1_3gpuE8ELNS1_3repE0EEENS1_47radix_sort_onesweep_sort_config_static_selectorELNS0_4arch9wavefront6targetE0EEEvSG_
		.amdhsa_group_segment_fixed_size 0
		.amdhsa_private_segment_fixed_size 0
		.amdhsa_kernarg_size 88
		.amdhsa_user_sgpr_count 2
		.amdhsa_user_sgpr_dispatch_ptr 0
		.amdhsa_user_sgpr_queue_ptr 0
		.amdhsa_user_sgpr_kernarg_segment_ptr 1
		.amdhsa_user_sgpr_dispatch_id 0
		.amdhsa_user_sgpr_kernarg_preload_length 0
		.amdhsa_user_sgpr_kernarg_preload_offset 0
		.amdhsa_user_sgpr_private_segment_size 0
		.amdhsa_wavefront_size32 1
		.amdhsa_uses_dynamic_stack 0
		.amdhsa_enable_private_segment 0
		.amdhsa_system_sgpr_workgroup_id_x 1
		.amdhsa_system_sgpr_workgroup_id_y 0
		.amdhsa_system_sgpr_workgroup_id_z 0
		.amdhsa_system_sgpr_workgroup_info 0
		.amdhsa_system_vgpr_workitem_id 0
		.amdhsa_next_free_vgpr 1
		.amdhsa_next_free_sgpr 1
		.amdhsa_named_barrier_count 0
		.amdhsa_reserve_vcc 0
		.amdhsa_float_round_mode_32 0
		.amdhsa_float_round_mode_16_64 0
		.amdhsa_float_denorm_mode_32 3
		.amdhsa_float_denorm_mode_16_64 3
		.amdhsa_fp16_overflow 0
		.amdhsa_memory_ordered 1
		.amdhsa_forward_progress 1
		.amdhsa_inst_pref_size 0
		.amdhsa_round_robin_scheduling 0
		.amdhsa_exception_fp_ieee_invalid_op 0
		.amdhsa_exception_fp_denorm_src 0
		.amdhsa_exception_fp_ieee_div_zero 0
		.amdhsa_exception_fp_ieee_overflow 0
		.amdhsa_exception_fp_ieee_underflow 0
		.amdhsa_exception_fp_ieee_inexact 0
		.amdhsa_exception_int_div_zero 0
	.end_amdhsa_kernel
	.section	.text._ZN7rocprim17ROCPRIM_400000_NS6detail17trampoline_kernelINS0_14default_configENS1_35radix_sort_onesweep_config_selectorIiNS0_10empty_typeEEEZZNS1_29radix_sort_onesweep_iterationIS3_Lb1EPKiPiPS5_SB_mNS0_19identity_decomposerENS1_16block_id_wrapperIjLb0EEEEE10hipError_tT1_PNSt15iterator_traitsISG_E10value_typeET2_T3_PNSH_ISM_E10value_typeET4_T5_PSR_SS_PNS1_23onesweep_lookback_stateEbbT6_jjT7_P12ihipStream_tbENKUlT_T0_SG_SL_E_clIS9_SA_SB_SB_EEDaSZ_S10_SG_SL_EUlSZ_E_NS1_11comp_targetILNS1_3genE4ELNS1_11target_archE910ELNS1_3gpuE8ELNS1_3repE0EEENS1_47radix_sort_onesweep_sort_config_static_selectorELNS0_4arch9wavefront6targetE0EEEvSG_,"axG",@progbits,_ZN7rocprim17ROCPRIM_400000_NS6detail17trampoline_kernelINS0_14default_configENS1_35radix_sort_onesweep_config_selectorIiNS0_10empty_typeEEEZZNS1_29radix_sort_onesweep_iterationIS3_Lb1EPKiPiPS5_SB_mNS0_19identity_decomposerENS1_16block_id_wrapperIjLb0EEEEE10hipError_tT1_PNSt15iterator_traitsISG_E10value_typeET2_T3_PNSH_ISM_E10value_typeET4_T5_PSR_SS_PNS1_23onesweep_lookback_stateEbbT6_jjT7_P12ihipStream_tbENKUlT_T0_SG_SL_E_clIS9_SA_SB_SB_EEDaSZ_S10_SG_SL_EUlSZ_E_NS1_11comp_targetILNS1_3genE4ELNS1_11target_archE910ELNS1_3gpuE8ELNS1_3repE0EEENS1_47radix_sort_onesweep_sort_config_static_selectorELNS0_4arch9wavefront6targetE0EEEvSG_,comdat
.Lfunc_end871:
	.size	_ZN7rocprim17ROCPRIM_400000_NS6detail17trampoline_kernelINS0_14default_configENS1_35radix_sort_onesweep_config_selectorIiNS0_10empty_typeEEEZZNS1_29radix_sort_onesweep_iterationIS3_Lb1EPKiPiPS5_SB_mNS0_19identity_decomposerENS1_16block_id_wrapperIjLb0EEEEE10hipError_tT1_PNSt15iterator_traitsISG_E10value_typeET2_T3_PNSH_ISM_E10value_typeET4_T5_PSR_SS_PNS1_23onesweep_lookback_stateEbbT6_jjT7_P12ihipStream_tbENKUlT_T0_SG_SL_E_clIS9_SA_SB_SB_EEDaSZ_S10_SG_SL_EUlSZ_E_NS1_11comp_targetILNS1_3genE4ELNS1_11target_archE910ELNS1_3gpuE8ELNS1_3repE0EEENS1_47radix_sort_onesweep_sort_config_static_selectorELNS0_4arch9wavefront6targetE0EEEvSG_, .Lfunc_end871-_ZN7rocprim17ROCPRIM_400000_NS6detail17trampoline_kernelINS0_14default_configENS1_35radix_sort_onesweep_config_selectorIiNS0_10empty_typeEEEZZNS1_29radix_sort_onesweep_iterationIS3_Lb1EPKiPiPS5_SB_mNS0_19identity_decomposerENS1_16block_id_wrapperIjLb0EEEEE10hipError_tT1_PNSt15iterator_traitsISG_E10value_typeET2_T3_PNSH_ISM_E10value_typeET4_T5_PSR_SS_PNS1_23onesweep_lookback_stateEbbT6_jjT7_P12ihipStream_tbENKUlT_T0_SG_SL_E_clIS9_SA_SB_SB_EEDaSZ_S10_SG_SL_EUlSZ_E_NS1_11comp_targetILNS1_3genE4ELNS1_11target_archE910ELNS1_3gpuE8ELNS1_3repE0EEENS1_47radix_sort_onesweep_sort_config_static_selectorELNS0_4arch9wavefront6targetE0EEEvSG_
                                        ; -- End function
	.set _ZN7rocprim17ROCPRIM_400000_NS6detail17trampoline_kernelINS0_14default_configENS1_35radix_sort_onesweep_config_selectorIiNS0_10empty_typeEEEZZNS1_29radix_sort_onesweep_iterationIS3_Lb1EPKiPiPS5_SB_mNS0_19identity_decomposerENS1_16block_id_wrapperIjLb0EEEEE10hipError_tT1_PNSt15iterator_traitsISG_E10value_typeET2_T3_PNSH_ISM_E10value_typeET4_T5_PSR_SS_PNS1_23onesweep_lookback_stateEbbT6_jjT7_P12ihipStream_tbENKUlT_T0_SG_SL_E_clIS9_SA_SB_SB_EEDaSZ_S10_SG_SL_EUlSZ_E_NS1_11comp_targetILNS1_3genE4ELNS1_11target_archE910ELNS1_3gpuE8ELNS1_3repE0EEENS1_47radix_sort_onesweep_sort_config_static_selectorELNS0_4arch9wavefront6targetE0EEEvSG_.num_vgpr, 0
	.set _ZN7rocprim17ROCPRIM_400000_NS6detail17trampoline_kernelINS0_14default_configENS1_35radix_sort_onesweep_config_selectorIiNS0_10empty_typeEEEZZNS1_29radix_sort_onesweep_iterationIS3_Lb1EPKiPiPS5_SB_mNS0_19identity_decomposerENS1_16block_id_wrapperIjLb0EEEEE10hipError_tT1_PNSt15iterator_traitsISG_E10value_typeET2_T3_PNSH_ISM_E10value_typeET4_T5_PSR_SS_PNS1_23onesweep_lookback_stateEbbT6_jjT7_P12ihipStream_tbENKUlT_T0_SG_SL_E_clIS9_SA_SB_SB_EEDaSZ_S10_SG_SL_EUlSZ_E_NS1_11comp_targetILNS1_3genE4ELNS1_11target_archE910ELNS1_3gpuE8ELNS1_3repE0EEENS1_47radix_sort_onesweep_sort_config_static_selectorELNS0_4arch9wavefront6targetE0EEEvSG_.num_agpr, 0
	.set _ZN7rocprim17ROCPRIM_400000_NS6detail17trampoline_kernelINS0_14default_configENS1_35radix_sort_onesweep_config_selectorIiNS0_10empty_typeEEEZZNS1_29radix_sort_onesweep_iterationIS3_Lb1EPKiPiPS5_SB_mNS0_19identity_decomposerENS1_16block_id_wrapperIjLb0EEEEE10hipError_tT1_PNSt15iterator_traitsISG_E10value_typeET2_T3_PNSH_ISM_E10value_typeET4_T5_PSR_SS_PNS1_23onesweep_lookback_stateEbbT6_jjT7_P12ihipStream_tbENKUlT_T0_SG_SL_E_clIS9_SA_SB_SB_EEDaSZ_S10_SG_SL_EUlSZ_E_NS1_11comp_targetILNS1_3genE4ELNS1_11target_archE910ELNS1_3gpuE8ELNS1_3repE0EEENS1_47radix_sort_onesweep_sort_config_static_selectorELNS0_4arch9wavefront6targetE0EEEvSG_.numbered_sgpr, 0
	.set _ZN7rocprim17ROCPRIM_400000_NS6detail17trampoline_kernelINS0_14default_configENS1_35radix_sort_onesweep_config_selectorIiNS0_10empty_typeEEEZZNS1_29radix_sort_onesweep_iterationIS3_Lb1EPKiPiPS5_SB_mNS0_19identity_decomposerENS1_16block_id_wrapperIjLb0EEEEE10hipError_tT1_PNSt15iterator_traitsISG_E10value_typeET2_T3_PNSH_ISM_E10value_typeET4_T5_PSR_SS_PNS1_23onesweep_lookback_stateEbbT6_jjT7_P12ihipStream_tbENKUlT_T0_SG_SL_E_clIS9_SA_SB_SB_EEDaSZ_S10_SG_SL_EUlSZ_E_NS1_11comp_targetILNS1_3genE4ELNS1_11target_archE910ELNS1_3gpuE8ELNS1_3repE0EEENS1_47radix_sort_onesweep_sort_config_static_selectorELNS0_4arch9wavefront6targetE0EEEvSG_.num_named_barrier, 0
	.set _ZN7rocprim17ROCPRIM_400000_NS6detail17trampoline_kernelINS0_14default_configENS1_35radix_sort_onesweep_config_selectorIiNS0_10empty_typeEEEZZNS1_29radix_sort_onesweep_iterationIS3_Lb1EPKiPiPS5_SB_mNS0_19identity_decomposerENS1_16block_id_wrapperIjLb0EEEEE10hipError_tT1_PNSt15iterator_traitsISG_E10value_typeET2_T3_PNSH_ISM_E10value_typeET4_T5_PSR_SS_PNS1_23onesweep_lookback_stateEbbT6_jjT7_P12ihipStream_tbENKUlT_T0_SG_SL_E_clIS9_SA_SB_SB_EEDaSZ_S10_SG_SL_EUlSZ_E_NS1_11comp_targetILNS1_3genE4ELNS1_11target_archE910ELNS1_3gpuE8ELNS1_3repE0EEENS1_47radix_sort_onesweep_sort_config_static_selectorELNS0_4arch9wavefront6targetE0EEEvSG_.private_seg_size, 0
	.set _ZN7rocprim17ROCPRIM_400000_NS6detail17trampoline_kernelINS0_14default_configENS1_35radix_sort_onesweep_config_selectorIiNS0_10empty_typeEEEZZNS1_29radix_sort_onesweep_iterationIS3_Lb1EPKiPiPS5_SB_mNS0_19identity_decomposerENS1_16block_id_wrapperIjLb0EEEEE10hipError_tT1_PNSt15iterator_traitsISG_E10value_typeET2_T3_PNSH_ISM_E10value_typeET4_T5_PSR_SS_PNS1_23onesweep_lookback_stateEbbT6_jjT7_P12ihipStream_tbENKUlT_T0_SG_SL_E_clIS9_SA_SB_SB_EEDaSZ_S10_SG_SL_EUlSZ_E_NS1_11comp_targetILNS1_3genE4ELNS1_11target_archE910ELNS1_3gpuE8ELNS1_3repE0EEENS1_47radix_sort_onesweep_sort_config_static_selectorELNS0_4arch9wavefront6targetE0EEEvSG_.uses_vcc, 0
	.set _ZN7rocprim17ROCPRIM_400000_NS6detail17trampoline_kernelINS0_14default_configENS1_35radix_sort_onesweep_config_selectorIiNS0_10empty_typeEEEZZNS1_29radix_sort_onesweep_iterationIS3_Lb1EPKiPiPS5_SB_mNS0_19identity_decomposerENS1_16block_id_wrapperIjLb0EEEEE10hipError_tT1_PNSt15iterator_traitsISG_E10value_typeET2_T3_PNSH_ISM_E10value_typeET4_T5_PSR_SS_PNS1_23onesweep_lookback_stateEbbT6_jjT7_P12ihipStream_tbENKUlT_T0_SG_SL_E_clIS9_SA_SB_SB_EEDaSZ_S10_SG_SL_EUlSZ_E_NS1_11comp_targetILNS1_3genE4ELNS1_11target_archE910ELNS1_3gpuE8ELNS1_3repE0EEENS1_47radix_sort_onesweep_sort_config_static_selectorELNS0_4arch9wavefront6targetE0EEEvSG_.uses_flat_scratch, 0
	.set _ZN7rocprim17ROCPRIM_400000_NS6detail17trampoline_kernelINS0_14default_configENS1_35radix_sort_onesweep_config_selectorIiNS0_10empty_typeEEEZZNS1_29radix_sort_onesweep_iterationIS3_Lb1EPKiPiPS5_SB_mNS0_19identity_decomposerENS1_16block_id_wrapperIjLb0EEEEE10hipError_tT1_PNSt15iterator_traitsISG_E10value_typeET2_T3_PNSH_ISM_E10value_typeET4_T5_PSR_SS_PNS1_23onesweep_lookback_stateEbbT6_jjT7_P12ihipStream_tbENKUlT_T0_SG_SL_E_clIS9_SA_SB_SB_EEDaSZ_S10_SG_SL_EUlSZ_E_NS1_11comp_targetILNS1_3genE4ELNS1_11target_archE910ELNS1_3gpuE8ELNS1_3repE0EEENS1_47radix_sort_onesweep_sort_config_static_selectorELNS0_4arch9wavefront6targetE0EEEvSG_.has_dyn_sized_stack, 0
	.set _ZN7rocprim17ROCPRIM_400000_NS6detail17trampoline_kernelINS0_14default_configENS1_35radix_sort_onesweep_config_selectorIiNS0_10empty_typeEEEZZNS1_29radix_sort_onesweep_iterationIS3_Lb1EPKiPiPS5_SB_mNS0_19identity_decomposerENS1_16block_id_wrapperIjLb0EEEEE10hipError_tT1_PNSt15iterator_traitsISG_E10value_typeET2_T3_PNSH_ISM_E10value_typeET4_T5_PSR_SS_PNS1_23onesweep_lookback_stateEbbT6_jjT7_P12ihipStream_tbENKUlT_T0_SG_SL_E_clIS9_SA_SB_SB_EEDaSZ_S10_SG_SL_EUlSZ_E_NS1_11comp_targetILNS1_3genE4ELNS1_11target_archE910ELNS1_3gpuE8ELNS1_3repE0EEENS1_47radix_sort_onesweep_sort_config_static_selectorELNS0_4arch9wavefront6targetE0EEEvSG_.has_recursion, 0
	.set _ZN7rocprim17ROCPRIM_400000_NS6detail17trampoline_kernelINS0_14default_configENS1_35radix_sort_onesweep_config_selectorIiNS0_10empty_typeEEEZZNS1_29radix_sort_onesweep_iterationIS3_Lb1EPKiPiPS5_SB_mNS0_19identity_decomposerENS1_16block_id_wrapperIjLb0EEEEE10hipError_tT1_PNSt15iterator_traitsISG_E10value_typeET2_T3_PNSH_ISM_E10value_typeET4_T5_PSR_SS_PNS1_23onesweep_lookback_stateEbbT6_jjT7_P12ihipStream_tbENKUlT_T0_SG_SL_E_clIS9_SA_SB_SB_EEDaSZ_S10_SG_SL_EUlSZ_E_NS1_11comp_targetILNS1_3genE4ELNS1_11target_archE910ELNS1_3gpuE8ELNS1_3repE0EEENS1_47radix_sort_onesweep_sort_config_static_selectorELNS0_4arch9wavefront6targetE0EEEvSG_.has_indirect_call, 0
	.section	.AMDGPU.csdata,"",@progbits
; Kernel info:
; codeLenInByte = 0
; TotalNumSgprs: 0
; NumVgprs: 0
; ScratchSize: 0
; MemoryBound: 0
; FloatMode: 240
; IeeeMode: 1
; LDSByteSize: 0 bytes/workgroup (compile time only)
; SGPRBlocks: 0
; VGPRBlocks: 0
; NumSGPRsForWavesPerEU: 1
; NumVGPRsForWavesPerEU: 1
; NamedBarCnt: 0
; Occupancy: 16
; WaveLimiterHint : 0
; COMPUTE_PGM_RSRC2:SCRATCH_EN: 0
; COMPUTE_PGM_RSRC2:USER_SGPR: 2
; COMPUTE_PGM_RSRC2:TRAP_HANDLER: 0
; COMPUTE_PGM_RSRC2:TGID_X_EN: 1
; COMPUTE_PGM_RSRC2:TGID_Y_EN: 0
; COMPUTE_PGM_RSRC2:TGID_Z_EN: 0
; COMPUTE_PGM_RSRC2:TIDIG_COMP_CNT: 0
	.section	.text._ZN7rocprim17ROCPRIM_400000_NS6detail17trampoline_kernelINS0_14default_configENS1_35radix_sort_onesweep_config_selectorIiNS0_10empty_typeEEEZZNS1_29radix_sort_onesweep_iterationIS3_Lb1EPKiPiPS5_SB_mNS0_19identity_decomposerENS1_16block_id_wrapperIjLb0EEEEE10hipError_tT1_PNSt15iterator_traitsISG_E10value_typeET2_T3_PNSH_ISM_E10value_typeET4_T5_PSR_SS_PNS1_23onesweep_lookback_stateEbbT6_jjT7_P12ihipStream_tbENKUlT_T0_SG_SL_E_clIS9_SA_SB_SB_EEDaSZ_S10_SG_SL_EUlSZ_E_NS1_11comp_targetILNS1_3genE3ELNS1_11target_archE908ELNS1_3gpuE7ELNS1_3repE0EEENS1_47radix_sort_onesweep_sort_config_static_selectorELNS0_4arch9wavefront6targetE0EEEvSG_,"axG",@progbits,_ZN7rocprim17ROCPRIM_400000_NS6detail17trampoline_kernelINS0_14default_configENS1_35radix_sort_onesweep_config_selectorIiNS0_10empty_typeEEEZZNS1_29radix_sort_onesweep_iterationIS3_Lb1EPKiPiPS5_SB_mNS0_19identity_decomposerENS1_16block_id_wrapperIjLb0EEEEE10hipError_tT1_PNSt15iterator_traitsISG_E10value_typeET2_T3_PNSH_ISM_E10value_typeET4_T5_PSR_SS_PNS1_23onesweep_lookback_stateEbbT6_jjT7_P12ihipStream_tbENKUlT_T0_SG_SL_E_clIS9_SA_SB_SB_EEDaSZ_S10_SG_SL_EUlSZ_E_NS1_11comp_targetILNS1_3genE3ELNS1_11target_archE908ELNS1_3gpuE7ELNS1_3repE0EEENS1_47radix_sort_onesweep_sort_config_static_selectorELNS0_4arch9wavefront6targetE0EEEvSG_,comdat
	.protected	_ZN7rocprim17ROCPRIM_400000_NS6detail17trampoline_kernelINS0_14default_configENS1_35radix_sort_onesweep_config_selectorIiNS0_10empty_typeEEEZZNS1_29radix_sort_onesweep_iterationIS3_Lb1EPKiPiPS5_SB_mNS0_19identity_decomposerENS1_16block_id_wrapperIjLb0EEEEE10hipError_tT1_PNSt15iterator_traitsISG_E10value_typeET2_T3_PNSH_ISM_E10value_typeET4_T5_PSR_SS_PNS1_23onesweep_lookback_stateEbbT6_jjT7_P12ihipStream_tbENKUlT_T0_SG_SL_E_clIS9_SA_SB_SB_EEDaSZ_S10_SG_SL_EUlSZ_E_NS1_11comp_targetILNS1_3genE3ELNS1_11target_archE908ELNS1_3gpuE7ELNS1_3repE0EEENS1_47radix_sort_onesweep_sort_config_static_selectorELNS0_4arch9wavefront6targetE0EEEvSG_ ; -- Begin function _ZN7rocprim17ROCPRIM_400000_NS6detail17trampoline_kernelINS0_14default_configENS1_35radix_sort_onesweep_config_selectorIiNS0_10empty_typeEEEZZNS1_29radix_sort_onesweep_iterationIS3_Lb1EPKiPiPS5_SB_mNS0_19identity_decomposerENS1_16block_id_wrapperIjLb0EEEEE10hipError_tT1_PNSt15iterator_traitsISG_E10value_typeET2_T3_PNSH_ISM_E10value_typeET4_T5_PSR_SS_PNS1_23onesweep_lookback_stateEbbT6_jjT7_P12ihipStream_tbENKUlT_T0_SG_SL_E_clIS9_SA_SB_SB_EEDaSZ_S10_SG_SL_EUlSZ_E_NS1_11comp_targetILNS1_3genE3ELNS1_11target_archE908ELNS1_3gpuE7ELNS1_3repE0EEENS1_47radix_sort_onesweep_sort_config_static_selectorELNS0_4arch9wavefront6targetE0EEEvSG_
	.globl	_ZN7rocprim17ROCPRIM_400000_NS6detail17trampoline_kernelINS0_14default_configENS1_35radix_sort_onesweep_config_selectorIiNS0_10empty_typeEEEZZNS1_29radix_sort_onesweep_iterationIS3_Lb1EPKiPiPS5_SB_mNS0_19identity_decomposerENS1_16block_id_wrapperIjLb0EEEEE10hipError_tT1_PNSt15iterator_traitsISG_E10value_typeET2_T3_PNSH_ISM_E10value_typeET4_T5_PSR_SS_PNS1_23onesweep_lookback_stateEbbT6_jjT7_P12ihipStream_tbENKUlT_T0_SG_SL_E_clIS9_SA_SB_SB_EEDaSZ_S10_SG_SL_EUlSZ_E_NS1_11comp_targetILNS1_3genE3ELNS1_11target_archE908ELNS1_3gpuE7ELNS1_3repE0EEENS1_47radix_sort_onesweep_sort_config_static_selectorELNS0_4arch9wavefront6targetE0EEEvSG_
	.p2align	8
	.type	_ZN7rocprim17ROCPRIM_400000_NS6detail17trampoline_kernelINS0_14default_configENS1_35radix_sort_onesweep_config_selectorIiNS0_10empty_typeEEEZZNS1_29radix_sort_onesweep_iterationIS3_Lb1EPKiPiPS5_SB_mNS0_19identity_decomposerENS1_16block_id_wrapperIjLb0EEEEE10hipError_tT1_PNSt15iterator_traitsISG_E10value_typeET2_T3_PNSH_ISM_E10value_typeET4_T5_PSR_SS_PNS1_23onesweep_lookback_stateEbbT6_jjT7_P12ihipStream_tbENKUlT_T0_SG_SL_E_clIS9_SA_SB_SB_EEDaSZ_S10_SG_SL_EUlSZ_E_NS1_11comp_targetILNS1_3genE3ELNS1_11target_archE908ELNS1_3gpuE7ELNS1_3repE0EEENS1_47radix_sort_onesweep_sort_config_static_selectorELNS0_4arch9wavefront6targetE0EEEvSG_,@function
_ZN7rocprim17ROCPRIM_400000_NS6detail17trampoline_kernelINS0_14default_configENS1_35radix_sort_onesweep_config_selectorIiNS0_10empty_typeEEEZZNS1_29radix_sort_onesweep_iterationIS3_Lb1EPKiPiPS5_SB_mNS0_19identity_decomposerENS1_16block_id_wrapperIjLb0EEEEE10hipError_tT1_PNSt15iterator_traitsISG_E10value_typeET2_T3_PNSH_ISM_E10value_typeET4_T5_PSR_SS_PNS1_23onesweep_lookback_stateEbbT6_jjT7_P12ihipStream_tbENKUlT_T0_SG_SL_E_clIS9_SA_SB_SB_EEDaSZ_S10_SG_SL_EUlSZ_E_NS1_11comp_targetILNS1_3genE3ELNS1_11target_archE908ELNS1_3gpuE7ELNS1_3repE0EEENS1_47radix_sort_onesweep_sort_config_static_selectorELNS0_4arch9wavefront6targetE0EEEvSG_: ; @_ZN7rocprim17ROCPRIM_400000_NS6detail17trampoline_kernelINS0_14default_configENS1_35radix_sort_onesweep_config_selectorIiNS0_10empty_typeEEEZZNS1_29radix_sort_onesweep_iterationIS3_Lb1EPKiPiPS5_SB_mNS0_19identity_decomposerENS1_16block_id_wrapperIjLb0EEEEE10hipError_tT1_PNSt15iterator_traitsISG_E10value_typeET2_T3_PNSH_ISM_E10value_typeET4_T5_PSR_SS_PNS1_23onesweep_lookback_stateEbbT6_jjT7_P12ihipStream_tbENKUlT_T0_SG_SL_E_clIS9_SA_SB_SB_EEDaSZ_S10_SG_SL_EUlSZ_E_NS1_11comp_targetILNS1_3genE3ELNS1_11target_archE908ELNS1_3gpuE7ELNS1_3repE0EEENS1_47radix_sort_onesweep_sort_config_static_selectorELNS0_4arch9wavefront6targetE0EEEvSG_
; %bb.0:
	.section	.rodata,"a",@progbits
	.p2align	6, 0x0
	.amdhsa_kernel _ZN7rocprim17ROCPRIM_400000_NS6detail17trampoline_kernelINS0_14default_configENS1_35radix_sort_onesweep_config_selectorIiNS0_10empty_typeEEEZZNS1_29radix_sort_onesweep_iterationIS3_Lb1EPKiPiPS5_SB_mNS0_19identity_decomposerENS1_16block_id_wrapperIjLb0EEEEE10hipError_tT1_PNSt15iterator_traitsISG_E10value_typeET2_T3_PNSH_ISM_E10value_typeET4_T5_PSR_SS_PNS1_23onesweep_lookback_stateEbbT6_jjT7_P12ihipStream_tbENKUlT_T0_SG_SL_E_clIS9_SA_SB_SB_EEDaSZ_S10_SG_SL_EUlSZ_E_NS1_11comp_targetILNS1_3genE3ELNS1_11target_archE908ELNS1_3gpuE7ELNS1_3repE0EEENS1_47radix_sort_onesweep_sort_config_static_selectorELNS0_4arch9wavefront6targetE0EEEvSG_
		.amdhsa_group_segment_fixed_size 0
		.amdhsa_private_segment_fixed_size 0
		.amdhsa_kernarg_size 88
		.amdhsa_user_sgpr_count 2
		.amdhsa_user_sgpr_dispatch_ptr 0
		.amdhsa_user_sgpr_queue_ptr 0
		.amdhsa_user_sgpr_kernarg_segment_ptr 1
		.amdhsa_user_sgpr_dispatch_id 0
		.amdhsa_user_sgpr_kernarg_preload_length 0
		.amdhsa_user_sgpr_kernarg_preload_offset 0
		.amdhsa_user_sgpr_private_segment_size 0
		.amdhsa_wavefront_size32 1
		.amdhsa_uses_dynamic_stack 0
		.amdhsa_enable_private_segment 0
		.amdhsa_system_sgpr_workgroup_id_x 1
		.amdhsa_system_sgpr_workgroup_id_y 0
		.amdhsa_system_sgpr_workgroup_id_z 0
		.amdhsa_system_sgpr_workgroup_info 0
		.amdhsa_system_vgpr_workitem_id 0
		.amdhsa_next_free_vgpr 1
		.amdhsa_next_free_sgpr 1
		.amdhsa_named_barrier_count 0
		.amdhsa_reserve_vcc 0
		.amdhsa_float_round_mode_32 0
		.amdhsa_float_round_mode_16_64 0
		.amdhsa_float_denorm_mode_32 3
		.amdhsa_float_denorm_mode_16_64 3
		.amdhsa_fp16_overflow 0
		.amdhsa_memory_ordered 1
		.amdhsa_forward_progress 1
		.amdhsa_inst_pref_size 0
		.amdhsa_round_robin_scheduling 0
		.amdhsa_exception_fp_ieee_invalid_op 0
		.amdhsa_exception_fp_denorm_src 0
		.amdhsa_exception_fp_ieee_div_zero 0
		.amdhsa_exception_fp_ieee_overflow 0
		.amdhsa_exception_fp_ieee_underflow 0
		.amdhsa_exception_fp_ieee_inexact 0
		.amdhsa_exception_int_div_zero 0
	.end_amdhsa_kernel
	.section	.text._ZN7rocprim17ROCPRIM_400000_NS6detail17trampoline_kernelINS0_14default_configENS1_35radix_sort_onesweep_config_selectorIiNS0_10empty_typeEEEZZNS1_29radix_sort_onesweep_iterationIS3_Lb1EPKiPiPS5_SB_mNS0_19identity_decomposerENS1_16block_id_wrapperIjLb0EEEEE10hipError_tT1_PNSt15iterator_traitsISG_E10value_typeET2_T3_PNSH_ISM_E10value_typeET4_T5_PSR_SS_PNS1_23onesweep_lookback_stateEbbT6_jjT7_P12ihipStream_tbENKUlT_T0_SG_SL_E_clIS9_SA_SB_SB_EEDaSZ_S10_SG_SL_EUlSZ_E_NS1_11comp_targetILNS1_3genE3ELNS1_11target_archE908ELNS1_3gpuE7ELNS1_3repE0EEENS1_47radix_sort_onesweep_sort_config_static_selectorELNS0_4arch9wavefront6targetE0EEEvSG_,"axG",@progbits,_ZN7rocprim17ROCPRIM_400000_NS6detail17trampoline_kernelINS0_14default_configENS1_35radix_sort_onesweep_config_selectorIiNS0_10empty_typeEEEZZNS1_29radix_sort_onesweep_iterationIS3_Lb1EPKiPiPS5_SB_mNS0_19identity_decomposerENS1_16block_id_wrapperIjLb0EEEEE10hipError_tT1_PNSt15iterator_traitsISG_E10value_typeET2_T3_PNSH_ISM_E10value_typeET4_T5_PSR_SS_PNS1_23onesweep_lookback_stateEbbT6_jjT7_P12ihipStream_tbENKUlT_T0_SG_SL_E_clIS9_SA_SB_SB_EEDaSZ_S10_SG_SL_EUlSZ_E_NS1_11comp_targetILNS1_3genE3ELNS1_11target_archE908ELNS1_3gpuE7ELNS1_3repE0EEENS1_47radix_sort_onesweep_sort_config_static_selectorELNS0_4arch9wavefront6targetE0EEEvSG_,comdat
.Lfunc_end872:
	.size	_ZN7rocprim17ROCPRIM_400000_NS6detail17trampoline_kernelINS0_14default_configENS1_35radix_sort_onesweep_config_selectorIiNS0_10empty_typeEEEZZNS1_29radix_sort_onesweep_iterationIS3_Lb1EPKiPiPS5_SB_mNS0_19identity_decomposerENS1_16block_id_wrapperIjLb0EEEEE10hipError_tT1_PNSt15iterator_traitsISG_E10value_typeET2_T3_PNSH_ISM_E10value_typeET4_T5_PSR_SS_PNS1_23onesweep_lookback_stateEbbT6_jjT7_P12ihipStream_tbENKUlT_T0_SG_SL_E_clIS9_SA_SB_SB_EEDaSZ_S10_SG_SL_EUlSZ_E_NS1_11comp_targetILNS1_3genE3ELNS1_11target_archE908ELNS1_3gpuE7ELNS1_3repE0EEENS1_47radix_sort_onesweep_sort_config_static_selectorELNS0_4arch9wavefront6targetE0EEEvSG_, .Lfunc_end872-_ZN7rocprim17ROCPRIM_400000_NS6detail17trampoline_kernelINS0_14default_configENS1_35radix_sort_onesweep_config_selectorIiNS0_10empty_typeEEEZZNS1_29radix_sort_onesweep_iterationIS3_Lb1EPKiPiPS5_SB_mNS0_19identity_decomposerENS1_16block_id_wrapperIjLb0EEEEE10hipError_tT1_PNSt15iterator_traitsISG_E10value_typeET2_T3_PNSH_ISM_E10value_typeET4_T5_PSR_SS_PNS1_23onesweep_lookback_stateEbbT6_jjT7_P12ihipStream_tbENKUlT_T0_SG_SL_E_clIS9_SA_SB_SB_EEDaSZ_S10_SG_SL_EUlSZ_E_NS1_11comp_targetILNS1_3genE3ELNS1_11target_archE908ELNS1_3gpuE7ELNS1_3repE0EEENS1_47radix_sort_onesweep_sort_config_static_selectorELNS0_4arch9wavefront6targetE0EEEvSG_
                                        ; -- End function
	.set _ZN7rocprim17ROCPRIM_400000_NS6detail17trampoline_kernelINS0_14default_configENS1_35radix_sort_onesweep_config_selectorIiNS0_10empty_typeEEEZZNS1_29radix_sort_onesweep_iterationIS3_Lb1EPKiPiPS5_SB_mNS0_19identity_decomposerENS1_16block_id_wrapperIjLb0EEEEE10hipError_tT1_PNSt15iterator_traitsISG_E10value_typeET2_T3_PNSH_ISM_E10value_typeET4_T5_PSR_SS_PNS1_23onesweep_lookback_stateEbbT6_jjT7_P12ihipStream_tbENKUlT_T0_SG_SL_E_clIS9_SA_SB_SB_EEDaSZ_S10_SG_SL_EUlSZ_E_NS1_11comp_targetILNS1_3genE3ELNS1_11target_archE908ELNS1_3gpuE7ELNS1_3repE0EEENS1_47radix_sort_onesweep_sort_config_static_selectorELNS0_4arch9wavefront6targetE0EEEvSG_.num_vgpr, 0
	.set _ZN7rocprim17ROCPRIM_400000_NS6detail17trampoline_kernelINS0_14default_configENS1_35radix_sort_onesweep_config_selectorIiNS0_10empty_typeEEEZZNS1_29radix_sort_onesweep_iterationIS3_Lb1EPKiPiPS5_SB_mNS0_19identity_decomposerENS1_16block_id_wrapperIjLb0EEEEE10hipError_tT1_PNSt15iterator_traitsISG_E10value_typeET2_T3_PNSH_ISM_E10value_typeET4_T5_PSR_SS_PNS1_23onesweep_lookback_stateEbbT6_jjT7_P12ihipStream_tbENKUlT_T0_SG_SL_E_clIS9_SA_SB_SB_EEDaSZ_S10_SG_SL_EUlSZ_E_NS1_11comp_targetILNS1_3genE3ELNS1_11target_archE908ELNS1_3gpuE7ELNS1_3repE0EEENS1_47radix_sort_onesweep_sort_config_static_selectorELNS0_4arch9wavefront6targetE0EEEvSG_.num_agpr, 0
	.set _ZN7rocprim17ROCPRIM_400000_NS6detail17trampoline_kernelINS0_14default_configENS1_35radix_sort_onesweep_config_selectorIiNS0_10empty_typeEEEZZNS1_29radix_sort_onesweep_iterationIS3_Lb1EPKiPiPS5_SB_mNS0_19identity_decomposerENS1_16block_id_wrapperIjLb0EEEEE10hipError_tT1_PNSt15iterator_traitsISG_E10value_typeET2_T3_PNSH_ISM_E10value_typeET4_T5_PSR_SS_PNS1_23onesweep_lookback_stateEbbT6_jjT7_P12ihipStream_tbENKUlT_T0_SG_SL_E_clIS9_SA_SB_SB_EEDaSZ_S10_SG_SL_EUlSZ_E_NS1_11comp_targetILNS1_3genE3ELNS1_11target_archE908ELNS1_3gpuE7ELNS1_3repE0EEENS1_47radix_sort_onesweep_sort_config_static_selectorELNS0_4arch9wavefront6targetE0EEEvSG_.numbered_sgpr, 0
	.set _ZN7rocprim17ROCPRIM_400000_NS6detail17trampoline_kernelINS0_14default_configENS1_35radix_sort_onesweep_config_selectorIiNS0_10empty_typeEEEZZNS1_29radix_sort_onesweep_iterationIS3_Lb1EPKiPiPS5_SB_mNS0_19identity_decomposerENS1_16block_id_wrapperIjLb0EEEEE10hipError_tT1_PNSt15iterator_traitsISG_E10value_typeET2_T3_PNSH_ISM_E10value_typeET4_T5_PSR_SS_PNS1_23onesweep_lookback_stateEbbT6_jjT7_P12ihipStream_tbENKUlT_T0_SG_SL_E_clIS9_SA_SB_SB_EEDaSZ_S10_SG_SL_EUlSZ_E_NS1_11comp_targetILNS1_3genE3ELNS1_11target_archE908ELNS1_3gpuE7ELNS1_3repE0EEENS1_47radix_sort_onesweep_sort_config_static_selectorELNS0_4arch9wavefront6targetE0EEEvSG_.num_named_barrier, 0
	.set _ZN7rocprim17ROCPRIM_400000_NS6detail17trampoline_kernelINS0_14default_configENS1_35radix_sort_onesweep_config_selectorIiNS0_10empty_typeEEEZZNS1_29radix_sort_onesweep_iterationIS3_Lb1EPKiPiPS5_SB_mNS0_19identity_decomposerENS1_16block_id_wrapperIjLb0EEEEE10hipError_tT1_PNSt15iterator_traitsISG_E10value_typeET2_T3_PNSH_ISM_E10value_typeET4_T5_PSR_SS_PNS1_23onesweep_lookback_stateEbbT6_jjT7_P12ihipStream_tbENKUlT_T0_SG_SL_E_clIS9_SA_SB_SB_EEDaSZ_S10_SG_SL_EUlSZ_E_NS1_11comp_targetILNS1_3genE3ELNS1_11target_archE908ELNS1_3gpuE7ELNS1_3repE0EEENS1_47radix_sort_onesweep_sort_config_static_selectorELNS0_4arch9wavefront6targetE0EEEvSG_.private_seg_size, 0
	.set _ZN7rocprim17ROCPRIM_400000_NS6detail17trampoline_kernelINS0_14default_configENS1_35radix_sort_onesweep_config_selectorIiNS0_10empty_typeEEEZZNS1_29radix_sort_onesweep_iterationIS3_Lb1EPKiPiPS5_SB_mNS0_19identity_decomposerENS1_16block_id_wrapperIjLb0EEEEE10hipError_tT1_PNSt15iterator_traitsISG_E10value_typeET2_T3_PNSH_ISM_E10value_typeET4_T5_PSR_SS_PNS1_23onesweep_lookback_stateEbbT6_jjT7_P12ihipStream_tbENKUlT_T0_SG_SL_E_clIS9_SA_SB_SB_EEDaSZ_S10_SG_SL_EUlSZ_E_NS1_11comp_targetILNS1_3genE3ELNS1_11target_archE908ELNS1_3gpuE7ELNS1_3repE0EEENS1_47radix_sort_onesweep_sort_config_static_selectorELNS0_4arch9wavefront6targetE0EEEvSG_.uses_vcc, 0
	.set _ZN7rocprim17ROCPRIM_400000_NS6detail17trampoline_kernelINS0_14default_configENS1_35radix_sort_onesweep_config_selectorIiNS0_10empty_typeEEEZZNS1_29radix_sort_onesweep_iterationIS3_Lb1EPKiPiPS5_SB_mNS0_19identity_decomposerENS1_16block_id_wrapperIjLb0EEEEE10hipError_tT1_PNSt15iterator_traitsISG_E10value_typeET2_T3_PNSH_ISM_E10value_typeET4_T5_PSR_SS_PNS1_23onesweep_lookback_stateEbbT6_jjT7_P12ihipStream_tbENKUlT_T0_SG_SL_E_clIS9_SA_SB_SB_EEDaSZ_S10_SG_SL_EUlSZ_E_NS1_11comp_targetILNS1_3genE3ELNS1_11target_archE908ELNS1_3gpuE7ELNS1_3repE0EEENS1_47radix_sort_onesweep_sort_config_static_selectorELNS0_4arch9wavefront6targetE0EEEvSG_.uses_flat_scratch, 0
	.set _ZN7rocprim17ROCPRIM_400000_NS6detail17trampoline_kernelINS0_14default_configENS1_35radix_sort_onesweep_config_selectorIiNS0_10empty_typeEEEZZNS1_29radix_sort_onesweep_iterationIS3_Lb1EPKiPiPS5_SB_mNS0_19identity_decomposerENS1_16block_id_wrapperIjLb0EEEEE10hipError_tT1_PNSt15iterator_traitsISG_E10value_typeET2_T3_PNSH_ISM_E10value_typeET4_T5_PSR_SS_PNS1_23onesweep_lookback_stateEbbT6_jjT7_P12ihipStream_tbENKUlT_T0_SG_SL_E_clIS9_SA_SB_SB_EEDaSZ_S10_SG_SL_EUlSZ_E_NS1_11comp_targetILNS1_3genE3ELNS1_11target_archE908ELNS1_3gpuE7ELNS1_3repE0EEENS1_47radix_sort_onesweep_sort_config_static_selectorELNS0_4arch9wavefront6targetE0EEEvSG_.has_dyn_sized_stack, 0
	.set _ZN7rocprim17ROCPRIM_400000_NS6detail17trampoline_kernelINS0_14default_configENS1_35radix_sort_onesweep_config_selectorIiNS0_10empty_typeEEEZZNS1_29radix_sort_onesweep_iterationIS3_Lb1EPKiPiPS5_SB_mNS0_19identity_decomposerENS1_16block_id_wrapperIjLb0EEEEE10hipError_tT1_PNSt15iterator_traitsISG_E10value_typeET2_T3_PNSH_ISM_E10value_typeET4_T5_PSR_SS_PNS1_23onesweep_lookback_stateEbbT6_jjT7_P12ihipStream_tbENKUlT_T0_SG_SL_E_clIS9_SA_SB_SB_EEDaSZ_S10_SG_SL_EUlSZ_E_NS1_11comp_targetILNS1_3genE3ELNS1_11target_archE908ELNS1_3gpuE7ELNS1_3repE0EEENS1_47radix_sort_onesweep_sort_config_static_selectorELNS0_4arch9wavefront6targetE0EEEvSG_.has_recursion, 0
	.set _ZN7rocprim17ROCPRIM_400000_NS6detail17trampoline_kernelINS0_14default_configENS1_35radix_sort_onesweep_config_selectorIiNS0_10empty_typeEEEZZNS1_29radix_sort_onesweep_iterationIS3_Lb1EPKiPiPS5_SB_mNS0_19identity_decomposerENS1_16block_id_wrapperIjLb0EEEEE10hipError_tT1_PNSt15iterator_traitsISG_E10value_typeET2_T3_PNSH_ISM_E10value_typeET4_T5_PSR_SS_PNS1_23onesweep_lookback_stateEbbT6_jjT7_P12ihipStream_tbENKUlT_T0_SG_SL_E_clIS9_SA_SB_SB_EEDaSZ_S10_SG_SL_EUlSZ_E_NS1_11comp_targetILNS1_3genE3ELNS1_11target_archE908ELNS1_3gpuE7ELNS1_3repE0EEENS1_47radix_sort_onesweep_sort_config_static_selectorELNS0_4arch9wavefront6targetE0EEEvSG_.has_indirect_call, 0
	.section	.AMDGPU.csdata,"",@progbits
; Kernel info:
; codeLenInByte = 0
; TotalNumSgprs: 0
; NumVgprs: 0
; ScratchSize: 0
; MemoryBound: 0
; FloatMode: 240
; IeeeMode: 1
; LDSByteSize: 0 bytes/workgroup (compile time only)
; SGPRBlocks: 0
; VGPRBlocks: 0
; NumSGPRsForWavesPerEU: 1
; NumVGPRsForWavesPerEU: 1
; NamedBarCnt: 0
; Occupancy: 16
; WaveLimiterHint : 0
; COMPUTE_PGM_RSRC2:SCRATCH_EN: 0
; COMPUTE_PGM_RSRC2:USER_SGPR: 2
; COMPUTE_PGM_RSRC2:TRAP_HANDLER: 0
; COMPUTE_PGM_RSRC2:TGID_X_EN: 1
; COMPUTE_PGM_RSRC2:TGID_Y_EN: 0
; COMPUTE_PGM_RSRC2:TGID_Z_EN: 0
; COMPUTE_PGM_RSRC2:TIDIG_COMP_CNT: 0
	.section	.text._ZN7rocprim17ROCPRIM_400000_NS6detail17trampoline_kernelINS0_14default_configENS1_35radix_sort_onesweep_config_selectorIiNS0_10empty_typeEEEZZNS1_29radix_sort_onesweep_iterationIS3_Lb1EPKiPiPS5_SB_mNS0_19identity_decomposerENS1_16block_id_wrapperIjLb0EEEEE10hipError_tT1_PNSt15iterator_traitsISG_E10value_typeET2_T3_PNSH_ISM_E10value_typeET4_T5_PSR_SS_PNS1_23onesweep_lookback_stateEbbT6_jjT7_P12ihipStream_tbENKUlT_T0_SG_SL_E_clIS9_SA_SB_SB_EEDaSZ_S10_SG_SL_EUlSZ_E_NS1_11comp_targetILNS1_3genE10ELNS1_11target_archE1201ELNS1_3gpuE5ELNS1_3repE0EEENS1_47radix_sort_onesweep_sort_config_static_selectorELNS0_4arch9wavefront6targetE0EEEvSG_,"axG",@progbits,_ZN7rocprim17ROCPRIM_400000_NS6detail17trampoline_kernelINS0_14default_configENS1_35radix_sort_onesweep_config_selectorIiNS0_10empty_typeEEEZZNS1_29radix_sort_onesweep_iterationIS3_Lb1EPKiPiPS5_SB_mNS0_19identity_decomposerENS1_16block_id_wrapperIjLb0EEEEE10hipError_tT1_PNSt15iterator_traitsISG_E10value_typeET2_T3_PNSH_ISM_E10value_typeET4_T5_PSR_SS_PNS1_23onesweep_lookback_stateEbbT6_jjT7_P12ihipStream_tbENKUlT_T0_SG_SL_E_clIS9_SA_SB_SB_EEDaSZ_S10_SG_SL_EUlSZ_E_NS1_11comp_targetILNS1_3genE10ELNS1_11target_archE1201ELNS1_3gpuE5ELNS1_3repE0EEENS1_47radix_sort_onesweep_sort_config_static_selectorELNS0_4arch9wavefront6targetE0EEEvSG_,comdat
	.protected	_ZN7rocprim17ROCPRIM_400000_NS6detail17trampoline_kernelINS0_14default_configENS1_35radix_sort_onesweep_config_selectorIiNS0_10empty_typeEEEZZNS1_29radix_sort_onesweep_iterationIS3_Lb1EPKiPiPS5_SB_mNS0_19identity_decomposerENS1_16block_id_wrapperIjLb0EEEEE10hipError_tT1_PNSt15iterator_traitsISG_E10value_typeET2_T3_PNSH_ISM_E10value_typeET4_T5_PSR_SS_PNS1_23onesweep_lookback_stateEbbT6_jjT7_P12ihipStream_tbENKUlT_T0_SG_SL_E_clIS9_SA_SB_SB_EEDaSZ_S10_SG_SL_EUlSZ_E_NS1_11comp_targetILNS1_3genE10ELNS1_11target_archE1201ELNS1_3gpuE5ELNS1_3repE0EEENS1_47radix_sort_onesweep_sort_config_static_selectorELNS0_4arch9wavefront6targetE0EEEvSG_ ; -- Begin function _ZN7rocprim17ROCPRIM_400000_NS6detail17trampoline_kernelINS0_14default_configENS1_35radix_sort_onesweep_config_selectorIiNS0_10empty_typeEEEZZNS1_29radix_sort_onesweep_iterationIS3_Lb1EPKiPiPS5_SB_mNS0_19identity_decomposerENS1_16block_id_wrapperIjLb0EEEEE10hipError_tT1_PNSt15iterator_traitsISG_E10value_typeET2_T3_PNSH_ISM_E10value_typeET4_T5_PSR_SS_PNS1_23onesweep_lookback_stateEbbT6_jjT7_P12ihipStream_tbENKUlT_T0_SG_SL_E_clIS9_SA_SB_SB_EEDaSZ_S10_SG_SL_EUlSZ_E_NS1_11comp_targetILNS1_3genE10ELNS1_11target_archE1201ELNS1_3gpuE5ELNS1_3repE0EEENS1_47radix_sort_onesweep_sort_config_static_selectorELNS0_4arch9wavefront6targetE0EEEvSG_
	.globl	_ZN7rocprim17ROCPRIM_400000_NS6detail17trampoline_kernelINS0_14default_configENS1_35radix_sort_onesweep_config_selectorIiNS0_10empty_typeEEEZZNS1_29radix_sort_onesweep_iterationIS3_Lb1EPKiPiPS5_SB_mNS0_19identity_decomposerENS1_16block_id_wrapperIjLb0EEEEE10hipError_tT1_PNSt15iterator_traitsISG_E10value_typeET2_T3_PNSH_ISM_E10value_typeET4_T5_PSR_SS_PNS1_23onesweep_lookback_stateEbbT6_jjT7_P12ihipStream_tbENKUlT_T0_SG_SL_E_clIS9_SA_SB_SB_EEDaSZ_S10_SG_SL_EUlSZ_E_NS1_11comp_targetILNS1_3genE10ELNS1_11target_archE1201ELNS1_3gpuE5ELNS1_3repE0EEENS1_47radix_sort_onesweep_sort_config_static_selectorELNS0_4arch9wavefront6targetE0EEEvSG_
	.p2align	8
	.type	_ZN7rocprim17ROCPRIM_400000_NS6detail17trampoline_kernelINS0_14default_configENS1_35radix_sort_onesweep_config_selectorIiNS0_10empty_typeEEEZZNS1_29radix_sort_onesweep_iterationIS3_Lb1EPKiPiPS5_SB_mNS0_19identity_decomposerENS1_16block_id_wrapperIjLb0EEEEE10hipError_tT1_PNSt15iterator_traitsISG_E10value_typeET2_T3_PNSH_ISM_E10value_typeET4_T5_PSR_SS_PNS1_23onesweep_lookback_stateEbbT6_jjT7_P12ihipStream_tbENKUlT_T0_SG_SL_E_clIS9_SA_SB_SB_EEDaSZ_S10_SG_SL_EUlSZ_E_NS1_11comp_targetILNS1_3genE10ELNS1_11target_archE1201ELNS1_3gpuE5ELNS1_3repE0EEENS1_47radix_sort_onesweep_sort_config_static_selectorELNS0_4arch9wavefront6targetE0EEEvSG_,@function
_ZN7rocprim17ROCPRIM_400000_NS6detail17trampoline_kernelINS0_14default_configENS1_35radix_sort_onesweep_config_selectorIiNS0_10empty_typeEEEZZNS1_29radix_sort_onesweep_iterationIS3_Lb1EPKiPiPS5_SB_mNS0_19identity_decomposerENS1_16block_id_wrapperIjLb0EEEEE10hipError_tT1_PNSt15iterator_traitsISG_E10value_typeET2_T3_PNSH_ISM_E10value_typeET4_T5_PSR_SS_PNS1_23onesweep_lookback_stateEbbT6_jjT7_P12ihipStream_tbENKUlT_T0_SG_SL_E_clIS9_SA_SB_SB_EEDaSZ_S10_SG_SL_EUlSZ_E_NS1_11comp_targetILNS1_3genE10ELNS1_11target_archE1201ELNS1_3gpuE5ELNS1_3repE0EEENS1_47radix_sort_onesweep_sort_config_static_selectorELNS0_4arch9wavefront6targetE0EEEvSG_: ; @_ZN7rocprim17ROCPRIM_400000_NS6detail17trampoline_kernelINS0_14default_configENS1_35radix_sort_onesweep_config_selectorIiNS0_10empty_typeEEEZZNS1_29radix_sort_onesweep_iterationIS3_Lb1EPKiPiPS5_SB_mNS0_19identity_decomposerENS1_16block_id_wrapperIjLb0EEEEE10hipError_tT1_PNSt15iterator_traitsISG_E10value_typeET2_T3_PNSH_ISM_E10value_typeET4_T5_PSR_SS_PNS1_23onesweep_lookback_stateEbbT6_jjT7_P12ihipStream_tbENKUlT_T0_SG_SL_E_clIS9_SA_SB_SB_EEDaSZ_S10_SG_SL_EUlSZ_E_NS1_11comp_targetILNS1_3genE10ELNS1_11target_archE1201ELNS1_3gpuE5ELNS1_3repE0EEENS1_47radix_sort_onesweep_sort_config_static_selectorELNS0_4arch9wavefront6targetE0EEEvSG_
; %bb.0:
	.section	.rodata,"a",@progbits
	.p2align	6, 0x0
	.amdhsa_kernel _ZN7rocprim17ROCPRIM_400000_NS6detail17trampoline_kernelINS0_14default_configENS1_35radix_sort_onesweep_config_selectorIiNS0_10empty_typeEEEZZNS1_29radix_sort_onesweep_iterationIS3_Lb1EPKiPiPS5_SB_mNS0_19identity_decomposerENS1_16block_id_wrapperIjLb0EEEEE10hipError_tT1_PNSt15iterator_traitsISG_E10value_typeET2_T3_PNSH_ISM_E10value_typeET4_T5_PSR_SS_PNS1_23onesweep_lookback_stateEbbT6_jjT7_P12ihipStream_tbENKUlT_T0_SG_SL_E_clIS9_SA_SB_SB_EEDaSZ_S10_SG_SL_EUlSZ_E_NS1_11comp_targetILNS1_3genE10ELNS1_11target_archE1201ELNS1_3gpuE5ELNS1_3repE0EEENS1_47radix_sort_onesweep_sort_config_static_selectorELNS0_4arch9wavefront6targetE0EEEvSG_
		.amdhsa_group_segment_fixed_size 0
		.amdhsa_private_segment_fixed_size 0
		.amdhsa_kernarg_size 88
		.amdhsa_user_sgpr_count 2
		.amdhsa_user_sgpr_dispatch_ptr 0
		.amdhsa_user_sgpr_queue_ptr 0
		.amdhsa_user_sgpr_kernarg_segment_ptr 1
		.amdhsa_user_sgpr_dispatch_id 0
		.amdhsa_user_sgpr_kernarg_preload_length 0
		.amdhsa_user_sgpr_kernarg_preload_offset 0
		.amdhsa_user_sgpr_private_segment_size 0
		.amdhsa_wavefront_size32 1
		.amdhsa_uses_dynamic_stack 0
		.amdhsa_enable_private_segment 0
		.amdhsa_system_sgpr_workgroup_id_x 1
		.amdhsa_system_sgpr_workgroup_id_y 0
		.amdhsa_system_sgpr_workgroup_id_z 0
		.amdhsa_system_sgpr_workgroup_info 0
		.amdhsa_system_vgpr_workitem_id 0
		.amdhsa_next_free_vgpr 1
		.amdhsa_next_free_sgpr 1
		.amdhsa_named_barrier_count 0
		.amdhsa_reserve_vcc 0
		.amdhsa_float_round_mode_32 0
		.amdhsa_float_round_mode_16_64 0
		.amdhsa_float_denorm_mode_32 3
		.amdhsa_float_denorm_mode_16_64 3
		.amdhsa_fp16_overflow 0
		.amdhsa_memory_ordered 1
		.amdhsa_forward_progress 1
		.amdhsa_inst_pref_size 0
		.amdhsa_round_robin_scheduling 0
		.amdhsa_exception_fp_ieee_invalid_op 0
		.amdhsa_exception_fp_denorm_src 0
		.amdhsa_exception_fp_ieee_div_zero 0
		.amdhsa_exception_fp_ieee_overflow 0
		.amdhsa_exception_fp_ieee_underflow 0
		.amdhsa_exception_fp_ieee_inexact 0
		.amdhsa_exception_int_div_zero 0
	.end_amdhsa_kernel
	.section	.text._ZN7rocprim17ROCPRIM_400000_NS6detail17trampoline_kernelINS0_14default_configENS1_35radix_sort_onesweep_config_selectorIiNS0_10empty_typeEEEZZNS1_29radix_sort_onesweep_iterationIS3_Lb1EPKiPiPS5_SB_mNS0_19identity_decomposerENS1_16block_id_wrapperIjLb0EEEEE10hipError_tT1_PNSt15iterator_traitsISG_E10value_typeET2_T3_PNSH_ISM_E10value_typeET4_T5_PSR_SS_PNS1_23onesweep_lookback_stateEbbT6_jjT7_P12ihipStream_tbENKUlT_T0_SG_SL_E_clIS9_SA_SB_SB_EEDaSZ_S10_SG_SL_EUlSZ_E_NS1_11comp_targetILNS1_3genE10ELNS1_11target_archE1201ELNS1_3gpuE5ELNS1_3repE0EEENS1_47radix_sort_onesweep_sort_config_static_selectorELNS0_4arch9wavefront6targetE0EEEvSG_,"axG",@progbits,_ZN7rocprim17ROCPRIM_400000_NS6detail17trampoline_kernelINS0_14default_configENS1_35radix_sort_onesweep_config_selectorIiNS0_10empty_typeEEEZZNS1_29radix_sort_onesweep_iterationIS3_Lb1EPKiPiPS5_SB_mNS0_19identity_decomposerENS1_16block_id_wrapperIjLb0EEEEE10hipError_tT1_PNSt15iterator_traitsISG_E10value_typeET2_T3_PNSH_ISM_E10value_typeET4_T5_PSR_SS_PNS1_23onesweep_lookback_stateEbbT6_jjT7_P12ihipStream_tbENKUlT_T0_SG_SL_E_clIS9_SA_SB_SB_EEDaSZ_S10_SG_SL_EUlSZ_E_NS1_11comp_targetILNS1_3genE10ELNS1_11target_archE1201ELNS1_3gpuE5ELNS1_3repE0EEENS1_47radix_sort_onesweep_sort_config_static_selectorELNS0_4arch9wavefront6targetE0EEEvSG_,comdat
.Lfunc_end873:
	.size	_ZN7rocprim17ROCPRIM_400000_NS6detail17trampoline_kernelINS0_14default_configENS1_35radix_sort_onesweep_config_selectorIiNS0_10empty_typeEEEZZNS1_29radix_sort_onesweep_iterationIS3_Lb1EPKiPiPS5_SB_mNS0_19identity_decomposerENS1_16block_id_wrapperIjLb0EEEEE10hipError_tT1_PNSt15iterator_traitsISG_E10value_typeET2_T3_PNSH_ISM_E10value_typeET4_T5_PSR_SS_PNS1_23onesweep_lookback_stateEbbT6_jjT7_P12ihipStream_tbENKUlT_T0_SG_SL_E_clIS9_SA_SB_SB_EEDaSZ_S10_SG_SL_EUlSZ_E_NS1_11comp_targetILNS1_3genE10ELNS1_11target_archE1201ELNS1_3gpuE5ELNS1_3repE0EEENS1_47radix_sort_onesweep_sort_config_static_selectorELNS0_4arch9wavefront6targetE0EEEvSG_, .Lfunc_end873-_ZN7rocprim17ROCPRIM_400000_NS6detail17trampoline_kernelINS0_14default_configENS1_35radix_sort_onesweep_config_selectorIiNS0_10empty_typeEEEZZNS1_29radix_sort_onesweep_iterationIS3_Lb1EPKiPiPS5_SB_mNS0_19identity_decomposerENS1_16block_id_wrapperIjLb0EEEEE10hipError_tT1_PNSt15iterator_traitsISG_E10value_typeET2_T3_PNSH_ISM_E10value_typeET4_T5_PSR_SS_PNS1_23onesweep_lookback_stateEbbT6_jjT7_P12ihipStream_tbENKUlT_T0_SG_SL_E_clIS9_SA_SB_SB_EEDaSZ_S10_SG_SL_EUlSZ_E_NS1_11comp_targetILNS1_3genE10ELNS1_11target_archE1201ELNS1_3gpuE5ELNS1_3repE0EEENS1_47radix_sort_onesweep_sort_config_static_selectorELNS0_4arch9wavefront6targetE0EEEvSG_
                                        ; -- End function
	.set _ZN7rocprim17ROCPRIM_400000_NS6detail17trampoline_kernelINS0_14default_configENS1_35radix_sort_onesweep_config_selectorIiNS0_10empty_typeEEEZZNS1_29radix_sort_onesweep_iterationIS3_Lb1EPKiPiPS5_SB_mNS0_19identity_decomposerENS1_16block_id_wrapperIjLb0EEEEE10hipError_tT1_PNSt15iterator_traitsISG_E10value_typeET2_T3_PNSH_ISM_E10value_typeET4_T5_PSR_SS_PNS1_23onesweep_lookback_stateEbbT6_jjT7_P12ihipStream_tbENKUlT_T0_SG_SL_E_clIS9_SA_SB_SB_EEDaSZ_S10_SG_SL_EUlSZ_E_NS1_11comp_targetILNS1_3genE10ELNS1_11target_archE1201ELNS1_3gpuE5ELNS1_3repE0EEENS1_47radix_sort_onesweep_sort_config_static_selectorELNS0_4arch9wavefront6targetE0EEEvSG_.num_vgpr, 0
	.set _ZN7rocprim17ROCPRIM_400000_NS6detail17trampoline_kernelINS0_14default_configENS1_35radix_sort_onesweep_config_selectorIiNS0_10empty_typeEEEZZNS1_29radix_sort_onesweep_iterationIS3_Lb1EPKiPiPS5_SB_mNS0_19identity_decomposerENS1_16block_id_wrapperIjLb0EEEEE10hipError_tT1_PNSt15iterator_traitsISG_E10value_typeET2_T3_PNSH_ISM_E10value_typeET4_T5_PSR_SS_PNS1_23onesweep_lookback_stateEbbT6_jjT7_P12ihipStream_tbENKUlT_T0_SG_SL_E_clIS9_SA_SB_SB_EEDaSZ_S10_SG_SL_EUlSZ_E_NS1_11comp_targetILNS1_3genE10ELNS1_11target_archE1201ELNS1_3gpuE5ELNS1_3repE0EEENS1_47radix_sort_onesweep_sort_config_static_selectorELNS0_4arch9wavefront6targetE0EEEvSG_.num_agpr, 0
	.set _ZN7rocprim17ROCPRIM_400000_NS6detail17trampoline_kernelINS0_14default_configENS1_35radix_sort_onesweep_config_selectorIiNS0_10empty_typeEEEZZNS1_29radix_sort_onesweep_iterationIS3_Lb1EPKiPiPS5_SB_mNS0_19identity_decomposerENS1_16block_id_wrapperIjLb0EEEEE10hipError_tT1_PNSt15iterator_traitsISG_E10value_typeET2_T3_PNSH_ISM_E10value_typeET4_T5_PSR_SS_PNS1_23onesweep_lookback_stateEbbT6_jjT7_P12ihipStream_tbENKUlT_T0_SG_SL_E_clIS9_SA_SB_SB_EEDaSZ_S10_SG_SL_EUlSZ_E_NS1_11comp_targetILNS1_3genE10ELNS1_11target_archE1201ELNS1_3gpuE5ELNS1_3repE0EEENS1_47radix_sort_onesweep_sort_config_static_selectorELNS0_4arch9wavefront6targetE0EEEvSG_.numbered_sgpr, 0
	.set _ZN7rocprim17ROCPRIM_400000_NS6detail17trampoline_kernelINS0_14default_configENS1_35radix_sort_onesweep_config_selectorIiNS0_10empty_typeEEEZZNS1_29radix_sort_onesweep_iterationIS3_Lb1EPKiPiPS5_SB_mNS0_19identity_decomposerENS1_16block_id_wrapperIjLb0EEEEE10hipError_tT1_PNSt15iterator_traitsISG_E10value_typeET2_T3_PNSH_ISM_E10value_typeET4_T5_PSR_SS_PNS1_23onesweep_lookback_stateEbbT6_jjT7_P12ihipStream_tbENKUlT_T0_SG_SL_E_clIS9_SA_SB_SB_EEDaSZ_S10_SG_SL_EUlSZ_E_NS1_11comp_targetILNS1_3genE10ELNS1_11target_archE1201ELNS1_3gpuE5ELNS1_3repE0EEENS1_47radix_sort_onesweep_sort_config_static_selectorELNS0_4arch9wavefront6targetE0EEEvSG_.num_named_barrier, 0
	.set _ZN7rocprim17ROCPRIM_400000_NS6detail17trampoline_kernelINS0_14default_configENS1_35radix_sort_onesweep_config_selectorIiNS0_10empty_typeEEEZZNS1_29radix_sort_onesweep_iterationIS3_Lb1EPKiPiPS5_SB_mNS0_19identity_decomposerENS1_16block_id_wrapperIjLb0EEEEE10hipError_tT1_PNSt15iterator_traitsISG_E10value_typeET2_T3_PNSH_ISM_E10value_typeET4_T5_PSR_SS_PNS1_23onesweep_lookback_stateEbbT6_jjT7_P12ihipStream_tbENKUlT_T0_SG_SL_E_clIS9_SA_SB_SB_EEDaSZ_S10_SG_SL_EUlSZ_E_NS1_11comp_targetILNS1_3genE10ELNS1_11target_archE1201ELNS1_3gpuE5ELNS1_3repE0EEENS1_47radix_sort_onesweep_sort_config_static_selectorELNS0_4arch9wavefront6targetE0EEEvSG_.private_seg_size, 0
	.set _ZN7rocprim17ROCPRIM_400000_NS6detail17trampoline_kernelINS0_14default_configENS1_35radix_sort_onesweep_config_selectorIiNS0_10empty_typeEEEZZNS1_29radix_sort_onesweep_iterationIS3_Lb1EPKiPiPS5_SB_mNS0_19identity_decomposerENS1_16block_id_wrapperIjLb0EEEEE10hipError_tT1_PNSt15iterator_traitsISG_E10value_typeET2_T3_PNSH_ISM_E10value_typeET4_T5_PSR_SS_PNS1_23onesweep_lookback_stateEbbT6_jjT7_P12ihipStream_tbENKUlT_T0_SG_SL_E_clIS9_SA_SB_SB_EEDaSZ_S10_SG_SL_EUlSZ_E_NS1_11comp_targetILNS1_3genE10ELNS1_11target_archE1201ELNS1_3gpuE5ELNS1_3repE0EEENS1_47radix_sort_onesweep_sort_config_static_selectorELNS0_4arch9wavefront6targetE0EEEvSG_.uses_vcc, 0
	.set _ZN7rocprim17ROCPRIM_400000_NS6detail17trampoline_kernelINS0_14default_configENS1_35radix_sort_onesweep_config_selectorIiNS0_10empty_typeEEEZZNS1_29radix_sort_onesweep_iterationIS3_Lb1EPKiPiPS5_SB_mNS0_19identity_decomposerENS1_16block_id_wrapperIjLb0EEEEE10hipError_tT1_PNSt15iterator_traitsISG_E10value_typeET2_T3_PNSH_ISM_E10value_typeET4_T5_PSR_SS_PNS1_23onesweep_lookback_stateEbbT6_jjT7_P12ihipStream_tbENKUlT_T0_SG_SL_E_clIS9_SA_SB_SB_EEDaSZ_S10_SG_SL_EUlSZ_E_NS1_11comp_targetILNS1_3genE10ELNS1_11target_archE1201ELNS1_3gpuE5ELNS1_3repE0EEENS1_47radix_sort_onesweep_sort_config_static_selectorELNS0_4arch9wavefront6targetE0EEEvSG_.uses_flat_scratch, 0
	.set _ZN7rocprim17ROCPRIM_400000_NS6detail17trampoline_kernelINS0_14default_configENS1_35radix_sort_onesweep_config_selectorIiNS0_10empty_typeEEEZZNS1_29radix_sort_onesweep_iterationIS3_Lb1EPKiPiPS5_SB_mNS0_19identity_decomposerENS1_16block_id_wrapperIjLb0EEEEE10hipError_tT1_PNSt15iterator_traitsISG_E10value_typeET2_T3_PNSH_ISM_E10value_typeET4_T5_PSR_SS_PNS1_23onesweep_lookback_stateEbbT6_jjT7_P12ihipStream_tbENKUlT_T0_SG_SL_E_clIS9_SA_SB_SB_EEDaSZ_S10_SG_SL_EUlSZ_E_NS1_11comp_targetILNS1_3genE10ELNS1_11target_archE1201ELNS1_3gpuE5ELNS1_3repE0EEENS1_47radix_sort_onesweep_sort_config_static_selectorELNS0_4arch9wavefront6targetE0EEEvSG_.has_dyn_sized_stack, 0
	.set _ZN7rocprim17ROCPRIM_400000_NS6detail17trampoline_kernelINS0_14default_configENS1_35radix_sort_onesweep_config_selectorIiNS0_10empty_typeEEEZZNS1_29radix_sort_onesweep_iterationIS3_Lb1EPKiPiPS5_SB_mNS0_19identity_decomposerENS1_16block_id_wrapperIjLb0EEEEE10hipError_tT1_PNSt15iterator_traitsISG_E10value_typeET2_T3_PNSH_ISM_E10value_typeET4_T5_PSR_SS_PNS1_23onesweep_lookback_stateEbbT6_jjT7_P12ihipStream_tbENKUlT_T0_SG_SL_E_clIS9_SA_SB_SB_EEDaSZ_S10_SG_SL_EUlSZ_E_NS1_11comp_targetILNS1_3genE10ELNS1_11target_archE1201ELNS1_3gpuE5ELNS1_3repE0EEENS1_47radix_sort_onesweep_sort_config_static_selectorELNS0_4arch9wavefront6targetE0EEEvSG_.has_recursion, 0
	.set _ZN7rocprim17ROCPRIM_400000_NS6detail17trampoline_kernelINS0_14default_configENS1_35radix_sort_onesweep_config_selectorIiNS0_10empty_typeEEEZZNS1_29radix_sort_onesweep_iterationIS3_Lb1EPKiPiPS5_SB_mNS0_19identity_decomposerENS1_16block_id_wrapperIjLb0EEEEE10hipError_tT1_PNSt15iterator_traitsISG_E10value_typeET2_T3_PNSH_ISM_E10value_typeET4_T5_PSR_SS_PNS1_23onesweep_lookback_stateEbbT6_jjT7_P12ihipStream_tbENKUlT_T0_SG_SL_E_clIS9_SA_SB_SB_EEDaSZ_S10_SG_SL_EUlSZ_E_NS1_11comp_targetILNS1_3genE10ELNS1_11target_archE1201ELNS1_3gpuE5ELNS1_3repE0EEENS1_47radix_sort_onesweep_sort_config_static_selectorELNS0_4arch9wavefront6targetE0EEEvSG_.has_indirect_call, 0
	.section	.AMDGPU.csdata,"",@progbits
; Kernel info:
; codeLenInByte = 0
; TotalNumSgprs: 0
; NumVgprs: 0
; ScratchSize: 0
; MemoryBound: 0
; FloatMode: 240
; IeeeMode: 1
; LDSByteSize: 0 bytes/workgroup (compile time only)
; SGPRBlocks: 0
; VGPRBlocks: 0
; NumSGPRsForWavesPerEU: 1
; NumVGPRsForWavesPerEU: 1
; NamedBarCnt: 0
; Occupancy: 16
; WaveLimiterHint : 0
; COMPUTE_PGM_RSRC2:SCRATCH_EN: 0
; COMPUTE_PGM_RSRC2:USER_SGPR: 2
; COMPUTE_PGM_RSRC2:TRAP_HANDLER: 0
; COMPUTE_PGM_RSRC2:TGID_X_EN: 1
; COMPUTE_PGM_RSRC2:TGID_Y_EN: 0
; COMPUTE_PGM_RSRC2:TGID_Z_EN: 0
; COMPUTE_PGM_RSRC2:TIDIG_COMP_CNT: 0
	.section	.text._ZN7rocprim17ROCPRIM_400000_NS6detail17trampoline_kernelINS0_14default_configENS1_35radix_sort_onesweep_config_selectorIiNS0_10empty_typeEEEZZNS1_29radix_sort_onesweep_iterationIS3_Lb1EPKiPiPS5_SB_mNS0_19identity_decomposerENS1_16block_id_wrapperIjLb0EEEEE10hipError_tT1_PNSt15iterator_traitsISG_E10value_typeET2_T3_PNSH_ISM_E10value_typeET4_T5_PSR_SS_PNS1_23onesweep_lookback_stateEbbT6_jjT7_P12ihipStream_tbENKUlT_T0_SG_SL_E_clIS9_SA_SB_SB_EEDaSZ_S10_SG_SL_EUlSZ_E_NS1_11comp_targetILNS1_3genE9ELNS1_11target_archE1100ELNS1_3gpuE3ELNS1_3repE0EEENS1_47radix_sort_onesweep_sort_config_static_selectorELNS0_4arch9wavefront6targetE0EEEvSG_,"axG",@progbits,_ZN7rocprim17ROCPRIM_400000_NS6detail17trampoline_kernelINS0_14default_configENS1_35radix_sort_onesweep_config_selectorIiNS0_10empty_typeEEEZZNS1_29radix_sort_onesweep_iterationIS3_Lb1EPKiPiPS5_SB_mNS0_19identity_decomposerENS1_16block_id_wrapperIjLb0EEEEE10hipError_tT1_PNSt15iterator_traitsISG_E10value_typeET2_T3_PNSH_ISM_E10value_typeET4_T5_PSR_SS_PNS1_23onesweep_lookback_stateEbbT6_jjT7_P12ihipStream_tbENKUlT_T0_SG_SL_E_clIS9_SA_SB_SB_EEDaSZ_S10_SG_SL_EUlSZ_E_NS1_11comp_targetILNS1_3genE9ELNS1_11target_archE1100ELNS1_3gpuE3ELNS1_3repE0EEENS1_47radix_sort_onesweep_sort_config_static_selectorELNS0_4arch9wavefront6targetE0EEEvSG_,comdat
	.protected	_ZN7rocprim17ROCPRIM_400000_NS6detail17trampoline_kernelINS0_14default_configENS1_35radix_sort_onesweep_config_selectorIiNS0_10empty_typeEEEZZNS1_29radix_sort_onesweep_iterationIS3_Lb1EPKiPiPS5_SB_mNS0_19identity_decomposerENS1_16block_id_wrapperIjLb0EEEEE10hipError_tT1_PNSt15iterator_traitsISG_E10value_typeET2_T3_PNSH_ISM_E10value_typeET4_T5_PSR_SS_PNS1_23onesweep_lookback_stateEbbT6_jjT7_P12ihipStream_tbENKUlT_T0_SG_SL_E_clIS9_SA_SB_SB_EEDaSZ_S10_SG_SL_EUlSZ_E_NS1_11comp_targetILNS1_3genE9ELNS1_11target_archE1100ELNS1_3gpuE3ELNS1_3repE0EEENS1_47radix_sort_onesweep_sort_config_static_selectorELNS0_4arch9wavefront6targetE0EEEvSG_ ; -- Begin function _ZN7rocprim17ROCPRIM_400000_NS6detail17trampoline_kernelINS0_14default_configENS1_35radix_sort_onesweep_config_selectorIiNS0_10empty_typeEEEZZNS1_29radix_sort_onesweep_iterationIS3_Lb1EPKiPiPS5_SB_mNS0_19identity_decomposerENS1_16block_id_wrapperIjLb0EEEEE10hipError_tT1_PNSt15iterator_traitsISG_E10value_typeET2_T3_PNSH_ISM_E10value_typeET4_T5_PSR_SS_PNS1_23onesweep_lookback_stateEbbT6_jjT7_P12ihipStream_tbENKUlT_T0_SG_SL_E_clIS9_SA_SB_SB_EEDaSZ_S10_SG_SL_EUlSZ_E_NS1_11comp_targetILNS1_3genE9ELNS1_11target_archE1100ELNS1_3gpuE3ELNS1_3repE0EEENS1_47radix_sort_onesweep_sort_config_static_selectorELNS0_4arch9wavefront6targetE0EEEvSG_
	.globl	_ZN7rocprim17ROCPRIM_400000_NS6detail17trampoline_kernelINS0_14default_configENS1_35radix_sort_onesweep_config_selectorIiNS0_10empty_typeEEEZZNS1_29radix_sort_onesweep_iterationIS3_Lb1EPKiPiPS5_SB_mNS0_19identity_decomposerENS1_16block_id_wrapperIjLb0EEEEE10hipError_tT1_PNSt15iterator_traitsISG_E10value_typeET2_T3_PNSH_ISM_E10value_typeET4_T5_PSR_SS_PNS1_23onesweep_lookback_stateEbbT6_jjT7_P12ihipStream_tbENKUlT_T0_SG_SL_E_clIS9_SA_SB_SB_EEDaSZ_S10_SG_SL_EUlSZ_E_NS1_11comp_targetILNS1_3genE9ELNS1_11target_archE1100ELNS1_3gpuE3ELNS1_3repE0EEENS1_47radix_sort_onesweep_sort_config_static_selectorELNS0_4arch9wavefront6targetE0EEEvSG_
	.p2align	8
	.type	_ZN7rocprim17ROCPRIM_400000_NS6detail17trampoline_kernelINS0_14default_configENS1_35radix_sort_onesweep_config_selectorIiNS0_10empty_typeEEEZZNS1_29radix_sort_onesweep_iterationIS3_Lb1EPKiPiPS5_SB_mNS0_19identity_decomposerENS1_16block_id_wrapperIjLb0EEEEE10hipError_tT1_PNSt15iterator_traitsISG_E10value_typeET2_T3_PNSH_ISM_E10value_typeET4_T5_PSR_SS_PNS1_23onesweep_lookback_stateEbbT6_jjT7_P12ihipStream_tbENKUlT_T0_SG_SL_E_clIS9_SA_SB_SB_EEDaSZ_S10_SG_SL_EUlSZ_E_NS1_11comp_targetILNS1_3genE9ELNS1_11target_archE1100ELNS1_3gpuE3ELNS1_3repE0EEENS1_47radix_sort_onesweep_sort_config_static_selectorELNS0_4arch9wavefront6targetE0EEEvSG_,@function
_ZN7rocprim17ROCPRIM_400000_NS6detail17trampoline_kernelINS0_14default_configENS1_35radix_sort_onesweep_config_selectorIiNS0_10empty_typeEEEZZNS1_29radix_sort_onesweep_iterationIS3_Lb1EPKiPiPS5_SB_mNS0_19identity_decomposerENS1_16block_id_wrapperIjLb0EEEEE10hipError_tT1_PNSt15iterator_traitsISG_E10value_typeET2_T3_PNSH_ISM_E10value_typeET4_T5_PSR_SS_PNS1_23onesweep_lookback_stateEbbT6_jjT7_P12ihipStream_tbENKUlT_T0_SG_SL_E_clIS9_SA_SB_SB_EEDaSZ_S10_SG_SL_EUlSZ_E_NS1_11comp_targetILNS1_3genE9ELNS1_11target_archE1100ELNS1_3gpuE3ELNS1_3repE0EEENS1_47radix_sort_onesweep_sort_config_static_selectorELNS0_4arch9wavefront6targetE0EEEvSG_: ; @_ZN7rocprim17ROCPRIM_400000_NS6detail17trampoline_kernelINS0_14default_configENS1_35radix_sort_onesweep_config_selectorIiNS0_10empty_typeEEEZZNS1_29radix_sort_onesweep_iterationIS3_Lb1EPKiPiPS5_SB_mNS0_19identity_decomposerENS1_16block_id_wrapperIjLb0EEEEE10hipError_tT1_PNSt15iterator_traitsISG_E10value_typeET2_T3_PNSH_ISM_E10value_typeET4_T5_PSR_SS_PNS1_23onesweep_lookback_stateEbbT6_jjT7_P12ihipStream_tbENKUlT_T0_SG_SL_E_clIS9_SA_SB_SB_EEDaSZ_S10_SG_SL_EUlSZ_E_NS1_11comp_targetILNS1_3genE9ELNS1_11target_archE1100ELNS1_3gpuE3ELNS1_3repE0EEENS1_47radix_sort_onesweep_sort_config_static_selectorELNS0_4arch9wavefront6targetE0EEEvSG_
; %bb.0:
	.section	.rodata,"a",@progbits
	.p2align	6, 0x0
	.amdhsa_kernel _ZN7rocprim17ROCPRIM_400000_NS6detail17trampoline_kernelINS0_14default_configENS1_35radix_sort_onesweep_config_selectorIiNS0_10empty_typeEEEZZNS1_29radix_sort_onesweep_iterationIS3_Lb1EPKiPiPS5_SB_mNS0_19identity_decomposerENS1_16block_id_wrapperIjLb0EEEEE10hipError_tT1_PNSt15iterator_traitsISG_E10value_typeET2_T3_PNSH_ISM_E10value_typeET4_T5_PSR_SS_PNS1_23onesweep_lookback_stateEbbT6_jjT7_P12ihipStream_tbENKUlT_T0_SG_SL_E_clIS9_SA_SB_SB_EEDaSZ_S10_SG_SL_EUlSZ_E_NS1_11comp_targetILNS1_3genE9ELNS1_11target_archE1100ELNS1_3gpuE3ELNS1_3repE0EEENS1_47radix_sort_onesweep_sort_config_static_selectorELNS0_4arch9wavefront6targetE0EEEvSG_
		.amdhsa_group_segment_fixed_size 0
		.amdhsa_private_segment_fixed_size 0
		.amdhsa_kernarg_size 88
		.amdhsa_user_sgpr_count 2
		.amdhsa_user_sgpr_dispatch_ptr 0
		.amdhsa_user_sgpr_queue_ptr 0
		.amdhsa_user_sgpr_kernarg_segment_ptr 1
		.amdhsa_user_sgpr_dispatch_id 0
		.amdhsa_user_sgpr_kernarg_preload_length 0
		.amdhsa_user_sgpr_kernarg_preload_offset 0
		.amdhsa_user_sgpr_private_segment_size 0
		.amdhsa_wavefront_size32 1
		.amdhsa_uses_dynamic_stack 0
		.amdhsa_enable_private_segment 0
		.amdhsa_system_sgpr_workgroup_id_x 1
		.amdhsa_system_sgpr_workgroup_id_y 0
		.amdhsa_system_sgpr_workgroup_id_z 0
		.amdhsa_system_sgpr_workgroup_info 0
		.amdhsa_system_vgpr_workitem_id 0
		.amdhsa_next_free_vgpr 1
		.amdhsa_next_free_sgpr 1
		.amdhsa_named_barrier_count 0
		.amdhsa_reserve_vcc 0
		.amdhsa_float_round_mode_32 0
		.amdhsa_float_round_mode_16_64 0
		.amdhsa_float_denorm_mode_32 3
		.amdhsa_float_denorm_mode_16_64 3
		.amdhsa_fp16_overflow 0
		.amdhsa_memory_ordered 1
		.amdhsa_forward_progress 1
		.amdhsa_inst_pref_size 0
		.amdhsa_round_robin_scheduling 0
		.amdhsa_exception_fp_ieee_invalid_op 0
		.amdhsa_exception_fp_denorm_src 0
		.amdhsa_exception_fp_ieee_div_zero 0
		.amdhsa_exception_fp_ieee_overflow 0
		.amdhsa_exception_fp_ieee_underflow 0
		.amdhsa_exception_fp_ieee_inexact 0
		.amdhsa_exception_int_div_zero 0
	.end_amdhsa_kernel
	.section	.text._ZN7rocprim17ROCPRIM_400000_NS6detail17trampoline_kernelINS0_14default_configENS1_35radix_sort_onesweep_config_selectorIiNS0_10empty_typeEEEZZNS1_29radix_sort_onesweep_iterationIS3_Lb1EPKiPiPS5_SB_mNS0_19identity_decomposerENS1_16block_id_wrapperIjLb0EEEEE10hipError_tT1_PNSt15iterator_traitsISG_E10value_typeET2_T3_PNSH_ISM_E10value_typeET4_T5_PSR_SS_PNS1_23onesweep_lookback_stateEbbT6_jjT7_P12ihipStream_tbENKUlT_T0_SG_SL_E_clIS9_SA_SB_SB_EEDaSZ_S10_SG_SL_EUlSZ_E_NS1_11comp_targetILNS1_3genE9ELNS1_11target_archE1100ELNS1_3gpuE3ELNS1_3repE0EEENS1_47radix_sort_onesweep_sort_config_static_selectorELNS0_4arch9wavefront6targetE0EEEvSG_,"axG",@progbits,_ZN7rocprim17ROCPRIM_400000_NS6detail17trampoline_kernelINS0_14default_configENS1_35radix_sort_onesweep_config_selectorIiNS0_10empty_typeEEEZZNS1_29radix_sort_onesweep_iterationIS3_Lb1EPKiPiPS5_SB_mNS0_19identity_decomposerENS1_16block_id_wrapperIjLb0EEEEE10hipError_tT1_PNSt15iterator_traitsISG_E10value_typeET2_T3_PNSH_ISM_E10value_typeET4_T5_PSR_SS_PNS1_23onesweep_lookback_stateEbbT6_jjT7_P12ihipStream_tbENKUlT_T0_SG_SL_E_clIS9_SA_SB_SB_EEDaSZ_S10_SG_SL_EUlSZ_E_NS1_11comp_targetILNS1_3genE9ELNS1_11target_archE1100ELNS1_3gpuE3ELNS1_3repE0EEENS1_47radix_sort_onesweep_sort_config_static_selectorELNS0_4arch9wavefront6targetE0EEEvSG_,comdat
.Lfunc_end874:
	.size	_ZN7rocprim17ROCPRIM_400000_NS6detail17trampoline_kernelINS0_14default_configENS1_35radix_sort_onesweep_config_selectorIiNS0_10empty_typeEEEZZNS1_29radix_sort_onesweep_iterationIS3_Lb1EPKiPiPS5_SB_mNS0_19identity_decomposerENS1_16block_id_wrapperIjLb0EEEEE10hipError_tT1_PNSt15iterator_traitsISG_E10value_typeET2_T3_PNSH_ISM_E10value_typeET4_T5_PSR_SS_PNS1_23onesweep_lookback_stateEbbT6_jjT7_P12ihipStream_tbENKUlT_T0_SG_SL_E_clIS9_SA_SB_SB_EEDaSZ_S10_SG_SL_EUlSZ_E_NS1_11comp_targetILNS1_3genE9ELNS1_11target_archE1100ELNS1_3gpuE3ELNS1_3repE0EEENS1_47radix_sort_onesweep_sort_config_static_selectorELNS0_4arch9wavefront6targetE0EEEvSG_, .Lfunc_end874-_ZN7rocprim17ROCPRIM_400000_NS6detail17trampoline_kernelINS0_14default_configENS1_35radix_sort_onesweep_config_selectorIiNS0_10empty_typeEEEZZNS1_29radix_sort_onesweep_iterationIS3_Lb1EPKiPiPS5_SB_mNS0_19identity_decomposerENS1_16block_id_wrapperIjLb0EEEEE10hipError_tT1_PNSt15iterator_traitsISG_E10value_typeET2_T3_PNSH_ISM_E10value_typeET4_T5_PSR_SS_PNS1_23onesweep_lookback_stateEbbT6_jjT7_P12ihipStream_tbENKUlT_T0_SG_SL_E_clIS9_SA_SB_SB_EEDaSZ_S10_SG_SL_EUlSZ_E_NS1_11comp_targetILNS1_3genE9ELNS1_11target_archE1100ELNS1_3gpuE3ELNS1_3repE0EEENS1_47radix_sort_onesweep_sort_config_static_selectorELNS0_4arch9wavefront6targetE0EEEvSG_
                                        ; -- End function
	.set _ZN7rocprim17ROCPRIM_400000_NS6detail17trampoline_kernelINS0_14default_configENS1_35radix_sort_onesweep_config_selectorIiNS0_10empty_typeEEEZZNS1_29radix_sort_onesweep_iterationIS3_Lb1EPKiPiPS5_SB_mNS0_19identity_decomposerENS1_16block_id_wrapperIjLb0EEEEE10hipError_tT1_PNSt15iterator_traitsISG_E10value_typeET2_T3_PNSH_ISM_E10value_typeET4_T5_PSR_SS_PNS1_23onesweep_lookback_stateEbbT6_jjT7_P12ihipStream_tbENKUlT_T0_SG_SL_E_clIS9_SA_SB_SB_EEDaSZ_S10_SG_SL_EUlSZ_E_NS1_11comp_targetILNS1_3genE9ELNS1_11target_archE1100ELNS1_3gpuE3ELNS1_3repE0EEENS1_47radix_sort_onesweep_sort_config_static_selectorELNS0_4arch9wavefront6targetE0EEEvSG_.num_vgpr, 0
	.set _ZN7rocprim17ROCPRIM_400000_NS6detail17trampoline_kernelINS0_14default_configENS1_35radix_sort_onesweep_config_selectorIiNS0_10empty_typeEEEZZNS1_29radix_sort_onesweep_iterationIS3_Lb1EPKiPiPS5_SB_mNS0_19identity_decomposerENS1_16block_id_wrapperIjLb0EEEEE10hipError_tT1_PNSt15iterator_traitsISG_E10value_typeET2_T3_PNSH_ISM_E10value_typeET4_T5_PSR_SS_PNS1_23onesweep_lookback_stateEbbT6_jjT7_P12ihipStream_tbENKUlT_T0_SG_SL_E_clIS9_SA_SB_SB_EEDaSZ_S10_SG_SL_EUlSZ_E_NS1_11comp_targetILNS1_3genE9ELNS1_11target_archE1100ELNS1_3gpuE3ELNS1_3repE0EEENS1_47radix_sort_onesweep_sort_config_static_selectorELNS0_4arch9wavefront6targetE0EEEvSG_.num_agpr, 0
	.set _ZN7rocprim17ROCPRIM_400000_NS6detail17trampoline_kernelINS0_14default_configENS1_35radix_sort_onesweep_config_selectorIiNS0_10empty_typeEEEZZNS1_29radix_sort_onesweep_iterationIS3_Lb1EPKiPiPS5_SB_mNS0_19identity_decomposerENS1_16block_id_wrapperIjLb0EEEEE10hipError_tT1_PNSt15iterator_traitsISG_E10value_typeET2_T3_PNSH_ISM_E10value_typeET4_T5_PSR_SS_PNS1_23onesweep_lookback_stateEbbT6_jjT7_P12ihipStream_tbENKUlT_T0_SG_SL_E_clIS9_SA_SB_SB_EEDaSZ_S10_SG_SL_EUlSZ_E_NS1_11comp_targetILNS1_3genE9ELNS1_11target_archE1100ELNS1_3gpuE3ELNS1_3repE0EEENS1_47radix_sort_onesweep_sort_config_static_selectorELNS0_4arch9wavefront6targetE0EEEvSG_.numbered_sgpr, 0
	.set _ZN7rocprim17ROCPRIM_400000_NS6detail17trampoline_kernelINS0_14default_configENS1_35radix_sort_onesweep_config_selectorIiNS0_10empty_typeEEEZZNS1_29radix_sort_onesweep_iterationIS3_Lb1EPKiPiPS5_SB_mNS0_19identity_decomposerENS1_16block_id_wrapperIjLb0EEEEE10hipError_tT1_PNSt15iterator_traitsISG_E10value_typeET2_T3_PNSH_ISM_E10value_typeET4_T5_PSR_SS_PNS1_23onesweep_lookback_stateEbbT6_jjT7_P12ihipStream_tbENKUlT_T0_SG_SL_E_clIS9_SA_SB_SB_EEDaSZ_S10_SG_SL_EUlSZ_E_NS1_11comp_targetILNS1_3genE9ELNS1_11target_archE1100ELNS1_3gpuE3ELNS1_3repE0EEENS1_47radix_sort_onesweep_sort_config_static_selectorELNS0_4arch9wavefront6targetE0EEEvSG_.num_named_barrier, 0
	.set _ZN7rocprim17ROCPRIM_400000_NS6detail17trampoline_kernelINS0_14default_configENS1_35radix_sort_onesweep_config_selectorIiNS0_10empty_typeEEEZZNS1_29radix_sort_onesweep_iterationIS3_Lb1EPKiPiPS5_SB_mNS0_19identity_decomposerENS1_16block_id_wrapperIjLb0EEEEE10hipError_tT1_PNSt15iterator_traitsISG_E10value_typeET2_T3_PNSH_ISM_E10value_typeET4_T5_PSR_SS_PNS1_23onesweep_lookback_stateEbbT6_jjT7_P12ihipStream_tbENKUlT_T0_SG_SL_E_clIS9_SA_SB_SB_EEDaSZ_S10_SG_SL_EUlSZ_E_NS1_11comp_targetILNS1_3genE9ELNS1_11target_archE1100ELNS1_3gpuE3ELNS1_3repE0EEENS1_47radix_sort_onesweep_sort_config_static_selectorELNS0_4arch9wavefront6targetE0EEEvSG_.private_seg_size, 0
	.set _ZN7rocprim17ROCPRIM_400000_NS6detail17trampoline_kernelINS0_14default_configENS1_35radix_sort_onesweep_config_selectorIiNS0_10empty_typeEEEZZNS1_29radix_sort_onesweep_iterationIS3_Lb1EPKiPiPS5_SB_mNS0_19identity_decomposerENS1_16block_id_wrapperIjLb0EEEEE10hipError_tT1_PNSt15iterator_traitsISG_E10value_typeET2_T3_PNSH_ISM_E10value_typeET4_T5_PSR_SS_PNS1_23onesweep_lookback_stateEbbT6_jjT7_P12ihipStream_tbENKUlT_T0_SG_SL_E_clIS9_SA_SB_SB_EEDaSZ_S10_SG_SL_EUlSZ_E_NS1_11comp_targetILNS1_3genE9ELNS1_11target_archE1100ELNS1_3gpuE3ELNS1_3repE0EEENS1_47radix_sort_onesweep_sort_config_static_selectorELNS0_4arch9wavefront6targetE0EEEvSG_.uses_vcc, 0
	.set _ZN7rocprim17ROCPRIM_400000_NS6detail17trampoline_kernelINS0_14default_configENS1_35radix_sort_onesweep_config_selectorIiNS0_10empty_typeEEEZZNS1_29radix_sort_onesweep_iterationIS3_Lb1EPKiPiPS5_SB_mNS0_19identity_decomposerENS1_16block_id_wrapperIjLb0EEEEE10hipError_tT1_PNSt15iterator_traitsISG_E10value_typeET2_T3_PNSH_ISM_E10value_typeET4_T5_PSR_SS_PNS1_23onesweep_lookback_stateEbbT6_jjT7_P12ihipStream_tbENKUlT_T0_SG_SL_E_clIS9_SA_SB_SB_EEDaSZ_S10_SG_SL_EUlSZ_E_NS1_11comp_targetILNS1_3genE9ELNS1_11target_archE1100ELNS1_3gpuE3ELNS1_3repE0EEENS1_47radix_sort_onesweep_sort_config_static_selectorELNS0_4arch9wavefront6targetE0EEEvSG_.uses_flat_scratch, 0
	.set _ZN7rocprim17ROCPRIM_400000_NS6detail17trampoline_kernelINS0_14default_configENS1_35radix_sort_onesweep_config_selectorIiNS0_10empty_typeEEEZZNS1_29radix_sort_onesweep_iterationIS3_Lb1EPKiPiPS5_SB_mNS0_19identity_decomposerENS1_16block_id_wrapperIjLb0EEEEE10hipError_tT1_PNSt15iterator_traitsISG_E10value_typeET2_T3_PNSH_ISM_E10value_typeET4_T5_PSR_SS_PNS1_23onesweep_lookback_stateEbbT6_jjT7_P12ihipStream_tbENKUlT_T0_SG_SL_E_clIS9_SA_SB_SB_EEDaSZ_S10_SG_SL_EUlSZ_E_NS1_11comp_targetILNS1_3genE9ELNS1_11target_archE1100ELNS1_3gpuE3ELNS1_3repE0EEENS1_47radix_sort_onesweep_sort_config_static_selectorELNS0_4arch9wavefront6targetE0EEEvSG_.has_dyn_sized_stack, 0
	.set _ZN7rocprim17ROCPRIM_400000_NS6detail17trampoline_kernelINS0_14default_configENS1_35radix_sort_onesweep_config_selectorIiNS0_10empty_typeEEEZZNS1_29radix_sort_onesweep_iterationIS3_Lb1EPKiPiPS5_SB_mNS0_19identity_decomposerENS1_16block_id_wrapperIjLb0EEEEE10hipError_tT1_PNSt15iterator_traitsISG_E10value_typeET2_T3_PNSH_ISM_E10value_typeET4_T5_PSR_SS_PNS1_23onesweep_lookback_stateEbbT6_jjT7_P12ihipStream_tbENKUlT_T0_SG_SL_E_clIS9_SA_SB_SB_EEDaSZ_S10_SG_SL_EUlSZ_E_NS1_11comp_targetILNS1_3genE9ELNS1_11target_archE1100ELNS1_3gpuE3ELNS1_3repE0EEENS1_47radix_sort_onesweep_sort_config_static_selectorELNS0_4arch9wavefront6targetE0EEEvSG_.has_recursion, 0
	.set _ZN7rocprim17ROCPRIM_400000_NS6detail17trampoline_kernelINS0_14default_configENS1_35radix_sort_onesweep_config_selectorIiNS0_10empty_typeEEEZZNS1_29radix_sort_onesweep_iterationIS3_Lb1EPKiPiPS5_SB_mNS0_19identity_decomposerENS1_16block_id_wrapperIjLb0EEEEE10hipError_tT1_PNSt15iterator_traitsISG_E10value_typeET2_T3_PNSH_ISM_E10value_typeET4_T5_PSR_SS_PNS1_23onesweep_lookback_stateEbbT6_jjT7_P12ihipStream_tbENKUlT_T0_SG_SL_E_clIS9_SA_SB_SB_EEDaSZ_S10_SG_SL_EUlSZ_E_NS1_11comp_targetILNS1_3genE9ELNS1_11target_archE1100ELNS1_3gpuE3ELNS1_3repE0EEENS1_47radix_sort_onesweep_sort_config_static_selectorELNS0_4arch9wavefront6targetE0EEEvSG_.has_indirect_call, 0
	.section	.AMDGPU.csdata,"",@progbits
; Kernel info:
; codeLenInByte = 0
; TotalNumSgprs: 0
; NumVgprs: 0
; ScratchSize: 0
; MemoryBound: 0
; FloatMode: 240
; IeeeMode: 1
; LDSByteSize: 0 bytes/workgroup (compile time only)
; SGPRBlocks: 0
; VGPRBlocks: 0
; NumSGPRsForWavesPerEU: 1
; NumVGPRsForWavesPerEU: 1
; NamedBarCnt: 0
; Occupancy: 16
; WaveLimiterHint : 0
; COMPUTE_PGM_RSRC2:SCRATCH_EN: 0
; COMPUTE_PGM_RSRC2:USER_SGPR: 2
; COMPUTE_PGM_RSRC2:TRAP_HANDLER: 0
; COMPUTE_PGM_RSRC2:TGID_X_EN: 1
; COMPUTE_PGM_RSRC2:TGID_Y_EN: 0
; COMPUTE_PGM_RSRC2:TGID_Z_EN: 0
; COMPUTE_PGM_RSRC2:TIDIG_COMP_CNT: 0
	.section	.text._ZN7rocprim17ROCPRIM_400000_NS6detail17trampoline_kernelINS0_14default_configENS1_35radix_sort_onesweep_config_selectorIiNS0_10empty_typeEEEZZNS1_29radix_sort_onesweep_iterationIS3_Lb1EPKiPiPS5_SB_mNS0_19identity_decomposerENS1_16block_id_wrapperIjLb0EEEEE10hipError_tT1_PNSt15iterator_traitsISG_E10value_typeET2_T3_PNSH_ISM_E10value_typeET4_T5_PSR_SS_PNS1_23onesweep_lookback_stateEbbT6_jjT7_P12ihipStream_tbENKUlT_T0_SG_SL_E_clIS9_SA_SB_SB_EEDaSZ_S10_SG_SL_EUlSZ_E_NS1_11comp_targetILNS1_3genE8ELNS1_11target_archE1030ELNS1_3gpuE2ELNS1_3repE0EEENS1_47radix_sort_onesweep_sort_config_static_selectorELNS0_4arch9wavefront6targetE0EEEvSG_,"axG",@progbits,_ZN7rocprim17ROCPRIM_400000_NS6detail17trampoline_kernelINS0_14default_configENS1_35radix_sort_onesweep_config_selectorIiNS0_10empty_typeEEEZZNS1_29radix_sort_onesweep_iterationIS3_Lb1EPKiPiPS5_SB_mNS0_19identity_decomposerENS1_16block_id_wrapperIjLb0EEEEE10hipError_tT1_PNSt15iterator_traitsISG_E10value_typeET2_T3_PNSH_ISM_E10value_typeET4_T5_PSR_SS_PNS1_23onesweep_lookback_stateEbbT6_jjT7_P12ihipStream_tbENKUlT_T0_SG_SL_E_clIS9_SA_SB_SB_EEDaSZ_S10_SG_SL_EUlSZ_E_NS1_11comp_targetILNS1_3genE8ELNS1_11target_archE1030ELNS1_3gpuE2ELNS1_3repE0EEENS1_47radix_sort_onesweep_sort_config_static_selectorELNS0_4arch9wavefront6targetE0EEEvSG_,comdat
	.protected	_ZN7rocprim17ROCPRIM_400000_NS6detail17trampoline_kernelINS0_14default_configENS1_35radix_sort_onesweep_config_selectorIiNS0_10empty_typeEEEZZNS1_29radix_sort_onesweep_iterationIS3_Lb1EPKiPiPS5_SB_mNS0_19identity_decomposerENS1_16block_id_wrapperIjLb0EEEEE10hipError_tT1_PNSt15iterator_traitsISG_E10value_typeET2_T3_PNSH_ISM_E10value_typeET4_T5_PSR_SS_PNS1_23onesweep_lookback_stateEbbT6_jjT7_P12ihipStream_tbENKUlT_T0_SG_SL_E_clIS9_SA_SB_SB_EEDaSZ_S10_SG_SL_EUlSZ_E_NS1_11comp_targetILNS1_3genE8ELNS1_11target_archE1030ELNS1_3gpuE2ELNS1_3repE0EEENS1_47radix_sort_onesweep_sort_config_static_selectorELNS0_4arch9wavefront6targetE0EEEvSG_ ; -- Begin function _ZN7rocprim17ROCPRIM_400000_NS6detail17trampoline_kernelINS0_14default_configENS1_35radix_sort_onesweep_config_selectorIiNS0_10empty_typeEEEZZNS1_29radix_sort_onesweep_iterationIS3_Lb1EPKiPiPS5_SB_mNS0_19identity_decomposerENS1_16block_id_wrapperIjLb0EEEEE10hipError_tT1_PNSt15iterator_traitsISG_E10value_typeET2_T3_PNSH_ISM_E10value_typeET4_T5_PSR_SS_PNS1_23onesweep_lookback_stateEbbT6_jjT7_P12ihipStream_tbENKUlT_T0_SG_SL_E_clIS9_SA_SB_SB_EEDaSZ_S10_SG_SL_EUlSZ_E_NS1_11comp_targetILNS1_3genE8ELNS1_11target_archE1030ELNS1_3gpuE2ELNS1_3repE0EEENS1_47radix_sort_onesweep_sort_config_static_selectorELNS0_4arch9wavefront6targetE0EEEvSG_
	.globl	_ZN7rocprim17ROCPRIM_400000_NS6detail17trampoline_kernelINS0_14default_configENS1_35radix_sort_onesweep_config_selectorIiNS0_10empty_typeEEEZZNS1_29radix_sort_onesweep_iterationIS3_Lb1EPKiPiPS5_SB_mNS0_19identity_decomposerENS1_16block_id_wrapperIjLb0EEEEE10hipError_tT1_PNSt15iterator_traitsISG_E10value_typeET2_T3_PNSH_ISM_E10value_typeET4_T5_PSR_SS_PNS1_23onesweep_lookback_stateEbbT6_jjT7_P12ihipStream_tbENKUlT_T0_SG_SL_E_clIS9_SA_SB_SB_EEDaSZ_S10_SG_SL_EUlSZ_E_NS1_11comp_targetILNS1_3genE8ELNS1_11target_archE1030ELNS1_3gpuE2ELNS1_3repE0EEENS1_47radix_sort_onesweep_sort_config_static_selectorELNS0_4arch9wavefront6targetE0EEEvSG_
	.p2align	8
	.type	_ZN7rocprim17ROCPRIM_400000_NS6detail17trampoline_kernelINS0_14default_configENS1_35radix_sort_onesweep_config_selectorIiNS0_10empty_typeEEEZZNS1_29radix_sort_onesweep_iterationIS3_Lb1EPKiPiPS5_SB_mNS0_19identity_decomposerENS1_16block_id_wrapperIjLb0EEEEE10hipError_tT1_PNSt15iterator_traitsISG_E10value_typeET2_T3_PNSH_ISM_E10value_typeET4_T5_PSR_SS_PNS1_23onesweep_lookback_stateEbbT6_jjT7_P12ihipStream_tbENKUlT_T0_SG_SL_E_clIS9_SA_SB_SB_EEDaSZ_S10_SG_SL_EUlSZ_E_NS1_11comp_targetILNS1_3genE8ELNS1_11target_archE1030ELNS1_3gpuE2ELNS1_3repE0EEENS1_47radix_sort_onesweep_sort_config_static_selectorELNS0_4arch9wavefront6targetE0EEEvSG_,@function
_ZN7rocprim17ROCPRIM_400000_NS6detail17trampoline_kernelINS0_14default_configENS1_35radix_sort_onesweep_config_selectorIiNS0_10empty_typeEEEZZNS1_29radix_sort_onesweep_iterationIS3_Lb1EPKiPiPS5_SB_mNS0_19identity_decomposerENS1_16block_id_wrapperIjLb0EEEEE10hipError_tT1_PNSt15iterator_traitsISG_E10value_typeET2_T3_PNSH_ISM_E10value_typeET4_T5_PSR_SS_PNS1_23onesweep_lookback_stateEbbT6_jjT7_P12ihipStream_tbENKUlT_T0_SG_SL_E_clIS9_SA_SB_SB_EEDaSZ_S10_SG_SL_EUlSZ_E_NS1_11comp_targetILNS1_3genE8ELNS1_11target_archE1030ELNS1_3gpuE2ELNS1_3repE0EEENS1_47radix_sort_onesweep_sort_config_static_selectorELNS0_4arch9wavefront6targetE0EEEvSG_: ; @_ZN7rocprim17ROCPRIM_400000_NS6detail17trampoline_kernelINS0_14default_configENS1_35radix_sort_onesweep_config_selectorIiNS0_10empty_typeEEEZZNS1_29radix_sort_onesweep_iterationIS3_Lb1EPKiPiPS5_SB_mNS0_19identity_decomposerENS1_16block_id_wrapperIjLb0EEEEE10hipError_tT1_PNSt15iterator_traitsISG_E10value_typeET2_T3_PNSH_ISM_E10value_typeET4_T5_PSR_SS_PNS1_23onesweep_lookback_stateEbbT6_jjT7_P12ihipStream_tbENKUlT_T0_SG_SL_E_clIS9_SA_SB_SB_EEDaSZ_S10_SG_SL_EUlSZ_E_NS1_11comp_targetILNS1_3genE8ELNS1_11target_archE1030ELNS1_3gpuE2ELNS1_3repE0EEENS1_47radix_sort_onesweep_sort_config_static_selectorELNS0_4arch9wavefront6targetE0EEEvSG_
; %bb.0:
	.section	.rodata,"a",@progbits
	.p2align	6, 0x0
	.amdhsa_kernel _ZN7rocprim17ROCPRIM_400000_NS6detail17trampoline_kernelINS0_14default_configENS1_35radix_sort_onesweep_config_selectorIiNS0_10empty_typeEEEZZNS1_29radix_sort_onesweep_iterationIS3_Lb1EPKiPiPS5_SB_mNS0_19identity_decomposerENS1_16block_id_wrapperIjLb0EEEEE10hipError_tT1_PNSt15iterator_traitsISG_E10value_typeET2_T3_PNSH_ISM_E10value_typeET4_T5_PSR_SS_PNS1_23onesweep_lookback_stateEbbT6_jjT7_P12ihipStream_tbENKUlT_T0_SG_SL_E_clIS9_SA_SB_SB_EEDaSZ_S10_SG_SL_EUlSZ_E_NS1_11comp_targetILNS1_3genE8ELNS1_11target_archE1030ELNS1_3gpuE2ELNS1_3repE0EEENS1_47radix_sort_onesweep_sort_config_static_selectorELNS0_4arch9wavefront6targetE0EEEvSG_
		.amdhsa_group_segment_fixed_size 0
		.amdhsa_private_segment_fixed_size 0
		.amdhsa_kernarg_size 88
		.amdhsa_user_sgpr_count 2
		.amdhsa_user_sgpr_dispatch_ptr 0
		.amdhsa_user_sgpr_queue_ptr 0
		.amdhsa_user_sgpr_kernarg_segment_ptr 1
		.amdhsa_user_sgpr_dispatch_id 0
		.amdhsa_user_sgpr_kernarg_preload_length 0
		.amdhsa_user_sgpr_kernarg_preload_offset 0
		.amdhsa_user_sgpr_private_segment_size 0
		.amdhsa_wavefront_size32 1
		.amdhsa_uses_dynamic_stack 0
		.amdhsa_enable_private_segment 0
		.amdhsa_system_sgpr_workgroup_id_x 1
		.amdhsa_system_sgpr_workgroup_id_y 0
		.amdhsa_system_sgpr_workgroup_id_z 0
		.amdhsa_system_sgpr_workgroup_info 0
		.amdhsa_system_vgpr_workitem_id 0
		.amdhsa_next_free_vgpr 1
		.amdhsa_next_free_sgpr 1
		.amdhsa_named_barrier_count 0
		.amdhsa_reserve_vcc 0
		.amdhsa_float_round_mode_32 0
		.amdhsa_float_round_mode_16_64 0
		.amdhsa_float_denorm_mode_32 3
		.amdhsa_float_denorm_mode_16_64 3
		.amdhsa_fp16_overflow 0
		.amdhsa_memory_ordered 1
		.amdhsa_forward_progress 1
		.amdhsa_inst_pref_size 0
		.amdhsa_round_robin_scheduling 0
		.amdhsa_exception_fp_ieee_invalid_op 0
		.amdhsa_exception_fp_denorm_src 0
		.amdhsa_exception_fp_ieee_div_zero 0
		.amdhsa_exception_fp_ieee_overflow 0
		.amdhsa_exception_fp_ieee_underflow 0
		.amdhsa_exception_fp_ieee_inexact 0
		.amdhsa_exception_int_div_zero 0
	.end_amdhsa_kernel
	.section	.text._ZN7rocprim17ROCPRIM_400000_NS6detail17trampoline_kernelINS0_14default_configENS1_35radix_sort_onesweep_config_selectorIiNS0_10empty_typeEEEZZNS1_29radix_sort_onesweep_iterationIS3_Lb1EPKiPiPS5_SB_mNS0_19identity_decomposerENS1_16block_id_wrapperIjLb0EEEEE10hipError_tT1_PNSt15iterator_traitsISG_E10value_typeET2_T3_PNSH_ISM_E10value_typeET4_T5_PSR_SS_PNS1_23onesweep_lookback_stateEbbT6_jjT7_P12ihipStream_tbENKUlT_T0_SG_SL_E_clIS9_SA_SB_SB_EEDaSZ_S10_SG_SL_EUlSZ_E_NS1_11comp_targetILNS1_3genE8ELNS1_11target_archE1030ELNS1_3gpuE2ELNS1_3repE0EEENS1_47radix_sort_onesweep_sort_config_static_selectorELNS0_4arch9wavefront6targetE0EEEvSG_,"axG",@progbits,_ZN7rocprim17ROCPRIM_400000_NS6detail17trampoline_kernelINS0_14default_configENS1_35radix_sort_onesweep_config_selectorIiNS0_10empty_typeEEEZZNS1_29radix_sort_onesweep_iterationIS3_Lb1EPKiPiPS5_SB_mNS0_19identity_decomposerENS1_16block_id_wrapperIjLb0EEEEE10hipError_tT1_PNSt15iterator_traitsISG_E10value_typeET2_T3_PNSH_ISM_E10value_typeET4_T5_PSR_SS_PNS1_23onesweep_lookback_stateEbbT6_jjT7_P12ihipStream_tbENKUlT_T0_SG_SL_E_clIS9_SA_SB_SB_EEDaSZ_S10_SG_SL_EUlSZ_E_NS1_11comp_targetILNS1_3genE8ELNS1_11target_archE1030ELNS1_3gpuE2ELNS1_3repE0EEENS1_47radix_sort_onesweep_sort_config_static_selectorELNS0_4arch9wavefront6targetE0EEEvSG_,comdat
.Lfunc_end875:
	.size	_ZN7rocprim17ROCPRIM_400000_NS6detail17trampoline_kernelINS0_14default_configENS1_35radix_sort_onesweep_config_selectorIiNS0_10empty_typeEEEZZNS1_29radix_sort_onesweep_iterationIS3_Lb1EPKiPiPS5_SB_mNS0_19identity_decomposerENS1_16block_id_wrapperIjLb0EEEEE10hipError_tT1_PNSt15iterator_traitsISG_E10value_typeET2_T3_PNSH_ISM_E10value_typeET4_T5_PSR_SS_PNS1_23onesweep_lookback_stateEbbT6_jjT7_P12ihipStream_tbENKUlT_T0_SG_SL_E_clIS9_SA_SB_SB_EEDaSZ_S10_SG_SL_EUlSZ_E_NS1_11comp_targetILNS1_3genE8ELNS1_11target_archE1030ELNS1_3gpuE2ELNS1_3repE0EEENS1_47radix_sort_onesweep_sort_config_static_selectorELNS0_4arch9wavefront6targetE0EEEvSG_, .Lfunc_end875-_ZN7rocprim17ROCPRIM_400000_NS6detail17trampoline_kernelINS0_14default_configENS1_35radix_sort_onesweep_config_selectorIiNS0_10empty_typeEEEZZNS1_29radix_sort_onesweep_iterationIS3_Lb1EPKiPiPS5_SB_mNS0_19identity_decomposerENS1_16block_id_wrapperIjLb0EEEEE10hipError_tT1_PNSt15iterator_traitsISG_E10value_typeET2_T3_PNSH_ISM_E10value_typeET4_T5_PSR_SS_PNS1_23onesweep_lookback_stateEbbT6_jjT7_P12ihipStream_tbENKUlT_T0_SG_SL_E_clIS9_SA_SB_SB_EEDaSZ_S10_SG_SL_EUlSZ_E_NS1_11comp_targetILNS1_3genE8ELNS1_11target_archE1030ELNS1_3gpuE2ELNS1_3repE0EEENS1_47radix_sort_onesweep_sort_config_static_selectorELNS0_4arch9wavefront6targetE0EEEvSG_
                                        ; -- End function
	.set _ZN7rocprim17ROCPRIM_400000_NS6detail17trampoline_kernelINS0_14default_configENS1_35radix_sort_onesweep_config_selectorIiNS0_10empty_typeEEEZZNS1_29radix_sort_onesweep_iterationIS3_Lb1EPKiPiPS5_SB_mNS0_19identity_decomposerENS1_16block_id_wrapperIjLb0EEEEE10hipError_tT1_PNSt15iterator_traitsISG_E10value_typeET2_T3_PNSH_ISM_E10value_typeET4_T5_PSR_SS_PNS1_23onesweep_lookback_stateEbbT6_jjT7_P12ihipStream_tbENKUlT_T0_SG_SL_E_clIS9_SA_SB_SB_EEDaSZ_S10_SG_SL_EUlSZ_E_NS1_11comp_targetILNS1_3genE8ELNS1_11target_archE1030ELNS1_3gpuE2ELNS1_3repE0EEENS1_47radix_sort_onesweep_sort_config_static_selectorELNS0_4arch9wavefront6targetE0EEEvSG_.num_vgpr, 0
	.set _ZN7rocprim17ROCPRIM_400000_NS6detail17trampoline_kernelINS0_14default_configENS1_35radix_sort_onesweep_config_selectorIiNS0_10empty_typeEEEZZNS1_29radix_sort_onesweep_iterationIS3_Lb1EPKiPiPS5_SB_mNS0_19identity_decomposerENS1_16block_id_wrapperIjLb0EEEEE10hipError_tT1_PNSt15iterator_traitsISG_E10value_typeET2_T3_PNSH_ISM_E10value_typeET4_T5_PSR_SS_PNS1_23onesweep_lookback_stateEbbT6_jjT7_P12ihipStream_tbENKUlT_T0_SG_SL_E_clIS9_SA_SB_SB_EEDaSZ_S10_SG_SL_EUlSZ_E_NS1_11comp_targetILNS1_3genE8ELNS1_11target_archE1030ELNS1_3gpuE2ELNS1_3repE0EEENS1_47radix_sort_onesweep_sort_config_static_selectorELNS0_4arch9wavefront6targetE0EEEvSG_.num_agpr, 0
	.set _ZN7rocprim17ROCPRIM_400000_NS6detail17trampoline_kernelINS0_14default_configENS1_35radix_sort_onesweep_config_selectorIiNS0_10empty_typeEEEZZNS1_29radix_sort_onesweep_iterationIS3_Lb1EPKiPiPS5_SB_mNS0_19identity_decomposerENS1_16block_id_wrapperIjLb0EEEEE10hipError_tT1_PNSt15iterator_traitsISG_E10value_typeET2_T3_PNSH_ISM_E10value_typeET4_T5_PSR_SS_PNS1_23onesweep_lookback_stateEbbT6_jjT7_P12ihipStream_tbENKUlT_T0_SG_SL_E_clIS9_SA_SB_SB_EEDaSZ_S10_SG_SL_EUlSZ_E_NS1_11comp_targetILNS1_3genE8ELNS1_11target_archE1030ELNS1_3gpuE2ELNS1_3repE0EEENS1_47radix_sort_onesweep_sort_config_static_selectorELNS0_4arch9wavefront6targetE0EEEvSG_.numbered_sgpr, 0
	.set _ZN7rocprim17ROCPRIM_400000_NS6detail17trampoline_kernelINS0_14default_configENS1_35radix_sort_onesweep_config_selectorIiNS0_10empty_typeEEEZZNS1_29radix_sort_onesweep_iterationIS3_Lb1EPKiPiPS5_SB_mNS0_19identity_decomposerENS1_16block_id_wrapperIjLb0EEEEE10hipError_tT1_PNSt15iterator_traitsISG_E10value_typeET2_T3_PNSH_ISM_E10value_typeET4_T5_PSR_SS_PNS1_23onesweep_lookback_stateEbbT6_jjT7_P12ihipStream_tbENKUlT_T0_SG_SL_E_clIS9_SA_SB_SB_EEDaSZ_S10_SG_SL_EUlSZ_E_NS1_11comp_targetILNS1_3genE8ELNS1_11target_archE1030ELNS1_3gpuE2ELNS1_3repE0EEENS1_47radix_sort_onesweep_sort_config_static_selectorELNS0_4arch9wavefront6targetE0EEEvSG_.num_named_barrier, 0
	.set _ZN7rocprim17ROCPRIM_400000_NS6detail17trampoline_kernelINS0_14default_configENS1_35radix_sort_onesweep_config_selectorIiNS0_10empty_typeEEEZZNS1_29radix_sort_onesweep_iterationIS3_Lb1EPKiPiPS5_SB_mNS0_19identity_decomposerENS1_16block_id_wrapperIjLb0EEEEE10hipError_tT1_PNSt15iterator_traitsISG_E10value_typeET2_T3_PNSH_ISM_E10value_typeET4_T5_PSR_SS_PNS1_23onesweep_lookback_stateEbbT6_jjT7_P12ihipStream_tbENKUlT_T0_SG_SL_E_clIS9_SA_SB_SB_EEDaSZ_S10_SG_SL_EUlSZ_E_NS1_11comp_targetILNS1_3genE8ELNS1_11target_archE1030ELNS1_3gpuE2ELNS1_3repE0EEENS1_47radix_sort_onesweep_sort_config_static_selectorELNS0_4arch9wavefront6targetE0EEEvSG_.private_seg_size, 0
	.set _ZN7rocprim17ROCPRIM_400000_NS6detail17trampoline_kernelINS0_14default_configENS1_35radix_sort_onesweep_config_selectorIiNS0_10empty_typeEEEZZNS1_29radix_sort_onesweep_iterationIS3_Lb1EPKiPiPS5_SB_mNS0_19identity_decomposerENS1_16block_id_wrapperIjLb0EEEEE10hipError_tT1_PNSt15iterator_traitsISG_E10value_typeET2_T3_PNSH_ISM_E10value_typeET4_T5_PSR_SS_PNS1_23onesweep_lookback_stateEbbT6_jjT7_P12ihipStream_tbENKUlT_T0_SG_SL_E_clIS9_SA_SB_SB_EEDaSZ_S10_SG_SL_EUlSZ_E_NS1_11comp_targetILNS1_3genE8ELNS1_11target_archE1030ELNS1_3gpuE2ELNS1_3repE0EEENS1_47radix_sort_onesweep_sort_config_static_selectorELNS0_4arch9wavefront6targetE0EEEvSG_.uses_vcc, 0
	.set _ZN7rocprim17ROCPRIM_400000_NS6detail17trampoline_kernelINS0_14default_configENS1_35radix_sort_onesweep_config_selectorIiNS0_10empty_typeEEEZZNS1_29radix_sort_onesweep_iterationIS3_Lb1EPKiPiPS5_SB_mNS0_19identity_decomposerENS1_16block_id_wrapperIjLb0EEEEE10hipError_tT1_PNSt15iterator_traitsISG_E10value_typeET2_T3_PNSH_ISM_E10value_typeET4_T5_PSR_SS_PNS1_23onesweep_lookback_stateEbbT6_jjT7_P12ihipStream_tbENKUlT_T0_SG_SL_E_clIS9_SA_SB_SB_EEDaSZ_S10_SG_SL_EUlSZ_E_NS1_11comp_targetILNS1_3genE8ELNS1_11target_archE1030ELNS1_3gpuE2ELNS1_3repE0EEENS1_47radix_sort_onesweep_sort_config_static_selectorELNS0_4arch9wavefront6targetE0EEEvSG_.uses_flat_scratch, 0
	.set _ZN7rocprim17ROCPRIM_400000_NS6detail17trampoline_kernelINS0_14default_configENS1_35radix_sort_onesweep_config_selectorIiNS0_10empty_typeEEEZZNS1_29radix_sort_onesweep_iterationIS3_Lb1EPKiPiPS5_SB_mNS0_19identity_decomposerENS1_16block_id_wrapperIjLb0EEEEE10hipError_tT1_PNSt15iterator_traitsISG_E10value_typeET2_T3_PNSH_ISM_E10value_typeET4_T5_PSR_SS_PNS1_23onesweep_lookback_stateEbbT6_jjT7_P12ihipStream_tbENKUlT_T0_SG_SL_E_clIS9_SA_SB_SB_EEDaSZ_S10_SG_SL_EUlSZ_E_NS1_11comp_targetILNS1_3genE8ELNS1_11target_archE1030ELNS1_3gpuE2ELNS1_3repE0EEENS1_47radix_sort_onesweep_sort_config_static_selectorELNS0_4arch9wavefront6targetE0EEEvSG_.has_dyn_sized_stack, 0
	.set _ZN7rocprim17ROCPRIM_400000_NS6detail17trampoline_kernelINS0_14default_configENS1_35radix_sort_onesweep_config_selectorIiNS0_10empty_typeEEEZZNS1_29radix_sort_onesweep_iterationIS3_Lb1EPKiPiPS5_SB_mNS0_19identity_decomposerENS1_16block_id_wrapperIjLb0EEEEE10hipError_tT1_PNSt15iterator_traitsISG_E10value_typeET2_T3_PNSH_ISM_E10value_typeET4_T5_PSR_SS_PNS1_23onesweep_lookback_stateEbbT6_jjT7_P12ihipStream_tbENKUlT_T0_SG_SL_E_clIS9_SA_SB_SB_EEDaSZ_S10_SG_SL_EUlSZ_E_NS1_11comp_targetILNS1_3genE8ELNS1_11target_archE1030ELNS1_3gpuE2ELNS1_3repE0EEENS1_47radix_sort_onesweep_sort_config_static_selectorELNS0_4arch9wavefront6targetE0EEEvSG_.has_recursion, 0
	.set _ZN7rocprim17ROCPRIM_400000_NS6detail17trampoline_kernelINS0_14default_configENS1_35radix_sort_onesweep_config_selectorIiNS0_10empty_typeEEEZZNS1_29radix_sort_onesweep_iterationIS3_Lb1EPKiPiPS5_SB_mNS0_19identity_decomposerENS1_16block_id_wrapperIjLb0EEEEE10hipError_tT1_PNSt15iterator_traitsISG_E10value_typeET2_T3_PNSH_ISM_E10value_typeET4_T5_PSR_SS_PNS1_23onesweep_lookback_stateEbbT6_jjT7_P12ihipStream_tbENKUlT_T0_SG_SL_E_clIS9_SA_SB_SB_EEDaSZ_S10_SG_SL_EUlSZ_E_NS1_11comp_targetILNS1_3genE8ELNS1_11target_archE1030ELNS1_3gpuE2ELNS1_3repE0EEENS1_47radix_sort_onesweep_sort_config_static_selectorELNS0_4arch9wavefront6targetE0EEEvSG_.has_indirect_call, 0
	.section	.AMDGPU.csdata,"",@progbits
; Kernel info:
; codeLenInByte = 0
; TotalNumSgprs: 0
; NumVgprs: 0
; ScratchSize: 0
; MemoryBound: 0
; FloatMode: 240
; IeeeMode: 1
; LDSByteSize: 0 bytes/workgroup (compile time only)
; SGPRBlocks: 0
; VGPRBlocks: 0
; NumSGPRsForWavesPerEU: 1
; NumVGPRsForWavesPerEU: 1
; NamedBarCnt: 0
; Occupancy: 16
; WaveLimiterHint : 0
; COMPUTE_PGM_RSRC2:SCRATCH_EN: 0
; COMPUTE_PGM_RSRC2:USER_SGPR: 2
; COMPUTE_PGM_RSRC2:TRAP_HANDLER: 0
; COMPUTE_PGM_RSRC2:TGID_X_EN: 1
; COMPUTE_PGM_RSRC2:TGID_Y_EN: 0
; COMPUTE_PGM_RSRC2:TGID_Z_EN: 0
; COMPUTE_PGM_RSRC2:TIDIG_COMP_CNT: 0
	.section	.text._ZN7rocprim17ROCPRIM_400000_NS6detail17trampoline_kernelINS0_14default_configENS1_35radix_sort_onesweep_config_selectorIiNS0_10empty_typeEEEZZNS1_29radix_sort_onesweep_iterationIS3_Lb1EPKiPiPS5_SB_mNS0_19identity_decomposerENS1_16block_id_wrapperIjLb0EEEEE10hipError_tT1_PNSt15iterator_traitsISG_E10value_typeET2_T3_PNSH_ISM_E10value_typeET4_T5_PSR_SS_PNS1_23onesweep_lookback_stateEbbT6_jjT7_P12ihipStream_tbENKUlT_T0_SG_SL_E_clISA_SA_SB_SB_EEDaSZ_S10_SG_SL_EUlSZ_E_NS1_11comp_targetILNS1_3genE0ELNS1_11target_archE4294967295ELNS1_3gpuE0ELNS1_3repE0EEENS1_47radix_sort_onesweep_sort_config_static_selectorELNS0_4arch9wavefront6targetE0EEEvSG_,"axG",@progbits,_ZN7rocprim17ROCPRIM_400000_NS6detail17trampoline_kernelINS0_14default_configENS1_35radix_sort_onesweep_config_selectorIiNS0_10empty_typeEEEZZNS1_29radix_sort_onesweep_iterationIS3_Lb1EPKiPiPS5_SB_mNS0_19identity_decomposerENS1_16block_id_wrapperIjLb0EEEEE10hipError_tT1_PNSt15iterator_traitsISG_E10value_typeET2_T3_PNSH_ISM_E10value_typeET4_T5_PSR_SS_PNS1_23onesweep_lookback_stateEbbT6_jjT7_P12ihipStream_tbENKUlT_T0_SG_SL_E_clISA_SA_SB_SB_EEDaSZ_S10_SG_SL_EUlSZ_E_NS1_11comp_targetILNS1_3genE0ELNS1_11target_archE4294967295ELNS1_3gpuE0ELNS1_3repE0EEENS1_47radix_sort_onesweep_sort_config_static_selectorELNS0_4arch9wavefront6targetE0EEEvSG_,comdat
	.protected	_ZN7rocprim17ROCPRIM_400000_NS6detail17trampoline_kernelINS0_14default_configENS1_35radix_sort_onesweep_config_selectorIiNS0_10empty_typeEEEZZNS1_29radix_sort_onesweep_iterationIS3_Lb1EPKiPiPS5_SB_mNS0_19identity_decomposerENS1_16block_id_wrapperIjLb0EEEEE10hipError_tT1_PNSt15iterator_traitsISG_E10value_typeET2_T3_PNSH_ISM_E10value_typeET4_T5_PSR_SS_PNS1_23onesweep_lookback_stateEbbT6_jjT7_P12ihipStream_tbENKUlT_T0_SG_SL_E_clISA_SA_SB_SB_EEDaSZ_S10_SG_SL_EUlSZ_E_NS1_11comp_targetILNS1_3genE0ELNS1_11target_archE4294967295ELNS1_3gpuE0ELNS1_3repE0EEENS1_47radix_sort_onesweep_sort_config_static_selectorELNS0_4arch9wavefront6targetE0EEEvSG_ ; -- Begin function _ZN7rocprim17ROCPRIM_400000_NS6detail17trampoline_kernelINS0_14default_configENS1_35radix_sort_onesweep_config_selectorIiNS0_10empty_typeEEEZZNS1_29radix_sort_onesweep_iterationIS3_Lb1EPKiPiPS5_SB_mNS0_19identity_decomposerENS1_16block_id_wrapperIjLb0EEEEE10hipError_tT1_PNSt15iterator_traitsISG_E10value_typeET2_T3_PNSH_ISM_E10value_typeET4_T5_PSR_SS_PNS1_23onesweep_lookback_stateEbbT6_jjT7_P12ihipStream_tbENKUlT_T0_SG_SL_E_clISA_SA_SB_SB_EEDaSZ_S10_SG_SL_EUlSZ_E_NS1_11comp_targetILNS1_3genE0ELNS1_11target_archE4294967295ELNS1_3gpuE0ELNS1_3repE0EEENS1_47radix_sort_onesweep_sort_config_static_selectorELNS0_4arch9wavefront6targetE0EEEvSG_
	.globl	_ZN7rocprim17ROCPRIM_400000_NS6detail17trampoline_kernelINS0_14default_configENS1_35radix_sort_onesweep_config_selectorIiNS0_10empty_typeEEEZZNS1_29radix_sort_onesweep_iterationIS3_Lb1EPKiPiPS5_SB_mNS0_19identity_decomposerENS1_16block_id_wrapperIjLb0EEEEE10hipError_tT1_PNSt15iterator_traitsISG_E10value_typeET2_T3_PNSH_ISM_E10value_typeET4_T5_PSR_SS_PNS1_23onesweep_lookback_stateEbbT6_jjT7_P12ihipStream_tbENKUlT_T0_SG_SL_E_clISA_SA_SB_SB_EEDaSZ_S10_SG_SL_EUlSZ_E_NS1_11comp_targetILNS1_3genE0ELNS1_11target_archE4294967295ELNS1_3gpuE0ELNS1_3repE0EEENS1_47radix_sort_onesweep_sort_config_static_selectorELNS0_4arch9wavefront6targetE0EEEvSG_
	.p2align	8
	.type	_ZN7rocprim17ROCPRIM_400000_NS6detail17trampoline_kernelINS0_14default_configENS1_35radix_sort_onesweep_config_selectorIiNS0_10empty_typeEEEZZNS1_29radix_sort_onesweep_iterationIS3_Lb1EPKiPiPS5_SB_mNS0_19identity_decomposerENS1_16block_id_wrapperIjLb0EEEEE10hipError_tT1_PNSt15iterator_traitsISG_E10value_typeET2_T3_PNSH_ISM_E10value_typeET4_T5_PSR_SS_PNS1_23onesweep_lookback_stateEbbT6_jjT7_P12ihipStream_tbENKUlT_T0_SG_SL_E_clISA_SA_SB_SB_EEDaSZ_S10_SG_SL_EUlSZ_E_NS1_11comp_targetILNS1_3genE0ELNS1_11target_archE4294967295ELNS1_3gpuE0ELNS1_3repE0EEENS1_47radix_sort_onesweep_sort_config_static_selectorELNS0_4arch9wavefront6targetE0EEEvSG_,@function
_ZN7rocprim17ROCPRIM_400000_NS6detail17trampoline_kernelINS0_14default_configENS1_35radix_sort_onesweep_config_selectorIiNS0_10empty_typeEEEZZNS1_29radix_sort_onesweep_iterationIS3_Lb1EPKiPiPS5_SB_mNS0_19identity_decomposerENS1_16block_id_wrapperIjLb0EEEEE10hipError_tT1_PNSt15iterator_traitsISG_E10value_typeET2_T3_PNSH_ISM_E10value_typeET4_T5_PSR_SS_PNS1_23onesweep_lookback_stateEbbT6_jjT7_P12ihipStream_tbENKUlT_T0_SG_SL_E_clISA_SA_SB_SB_EEDaSZ_S10_SG_SL_EUlSZ_E_NS1_11comp_targetILNS1_3genE0ELNS1_11target_archE4294967295ELNS1_3gpuE0ELNS1_3repE0EEENS1_47radix_sort_onesweep_sort_config_static_selectorELNS0_4arch9wavefront6targetE0EEEvSG_: ; @_ZN7rocprim17ROCPRIM_400000_NS6detail17trampoline_kernelINS0_14default_configENS1_35radix_sort_onesweep_config_selectorIiNS0_10empty_typeEEEZZNS1_29radix_sort_onesweep_iterationIS3_Lb1EPKiPiPS5_SB_mNS0_19identity_decomposerENS1_16block_id_wrapperIjLb0EEEEE10hipError_tT1_PNSt15iterator_traitsISG_E10value_typeET2_T3_PNSH_ISM_E10value_typeET4_T5_PSR_SS_PNS1_23onesweep_lookback_stateEbbT6_jjT7_P12ihipStream_tbENKUlT_T0_SG_SL_E_clISA_SA_SB_SB_EEDaSZ_S10_SG_SL_EUlSZ_E_NS1_11comp_targetILNS1_3genE0ELNS1_11target_archE4294967295ELNS1_3gpuE0ELNS1_3repE0EEENS1_47radix_sort_onesweep_sort_config_static_selectorELNS0_4arch9wavefront6targetE0EEEvSG_
; %bb.0:
	s_clause 0x3
	s_load_b96 s[20:22], s[0:1], 0x44
	s_load_b64 s[10:11], s[0:1], 0x38
	s_load_b128 s[16:19], s[0:1], 0x0
	s_load_b128 s[12:15], s[0:1], 0x28
	s_bfe_u32 s2, ttmp6, 0x4000c
	s_and_b32 s3, ttmp6, 15
	s_add_co_i32 s2, s2, 1
	s_getreg_b32 s4, hwreg(HW_REG_IB_STS2, 6, 4)
	s_mul_i32 s5, ttmp9, s2
	v_mbcnt_lo_u32_b32 v16, -1, 0
	s_add_co_i32 s3, s3, s5
	s_cmp_eq_u32 s4, 0
	v_and_b32_e32 v17, 0x1e0, v0
	s_cselect_b32 s9, ttmp9, s3
	s_mov_b32 s25, 0
	s_mov_b32 s2, -1
	s_mul_i32 s24, s9, 0x1800
	s_add_nc_u64 s[26:27], s[0:1], 0x58
	s_wait_kmcnt 0x0
	s_cmp_ge_u32 s9, s22
	s_cbranch_scc0 .LBB876_90
; %bb.1:
	s_load_b32 s4, s[0:1], 0x20
	v_dual_mov_b32 v3, 0 :: v_dual_lshlrev_b32 v2, 2, v16
	s_lshl_b64 s[2:3], s[24:25], 2
	v_mul_u32_u24_e32 v1, 12, v17
	s_add_nc_u64 s[2:3], s[16:17], s[2:3]
	v_mov_b32_e32 v18, -1
	v_add_nc_u64_e32 v[6:7], s[2:3], v[2:3]
	s_mul_i32 s2, s22, 0xffffe800
	v_dual_lshlrev_b32 v2, 2, v1 :: v_dual_bitop2_b32 v4, v16, v1 bitop3:0x54
	v_mov_b32_e32 v1, -1
	s_delay_alu instid0(VALU_DEP_2)
	v_add_nc_u64_e32 v[2:3], v[6:7], v[2:3]
	s_wait_kmcnt 0x0
	s_add_co_i32 s22, s4, s2
	s_mov_b32 s2, exec_lo
	v_cmpx_gt_u32_e64 s22, v4
	s_cbranch_execz .LBB876_3
; %bb.2:
	global_load_b32 v5, v[2:3], off
	s_wait_loadcnt 0x0
	v_xor_b32_e32 v18, 0x7fffffff, v5
.LBB876_3:
	s_or_b32 exec_lo, exec_lo, s2
	v_or_b32_e32 v5, 32, v4
	s_mov_b32 s2, exec_lo
	s_delay_alu instid0(VALU_DEP_1)
	v_cmpx_gt_u32_e64 s22, v5
	s_cbranch_execz .LBB876_5
; %bb.4:
	global_load_b32 v1, v[2:3], off offset:128
	s_wait_loadcnt 0x0
	v_xor_b32_e32 v1, 0x7fffffff, v1
.LBB876_5:
	s_or_b32 exec_lo, exec_lo, s2
	v_dual_mov_b32 v19, -1 :: v_dual_bitop2_b32 v5, 64, v4 bitop3:0x54
	v_mov_b32_e32 v20, -1
	s_mov_b32 s2, exec_lo
	s_delay_alu instid0(VALU_DEP_2)
	v_cmpx_gt_u32_e64 s22, v5
	s_cbranch_execz .LBB876_7
; %bb.6:
	global_load_b32 v5, v[2:3], off offset:256
	s_wait_loadcnt 0x0
	v_xor_b32_e32 v20, 0x7fffffff, v5
.LBB876_7:
	s_or_b32 exec_lo, exec_lo, s2
	v_or_b32_e32 v5, 0x60, v4
	s_mov_b32 s2, exec_lo
	s_delay_alu instid0(VALU_DEP_1)
	v_cmpx_gt_u32_e64 s22, v5
	s_cbranch_execz .LBB876_9
; %bb.8:
	global_load_b32 v5, v[2:3], off offset:384
	s_wait_loadcnt 0x0
	v_xor_b32_e32 v19, 0x7fffffff, v5
.LBB876_9:
	s_or_b32 exec_lo, exec_lo, s2
	v_dual_mov_b32 v22, -1 :: v_dual_add_nc_u32 v5, 0x80, v4
	v_mov_b32_e32 v21, -1
	s_mov_b32 s2, exec_lo
	s_delay_alu instid0(VALU_DEP_2)
	v_cmpx_gt_u32_e64 s22, v5
	s_cbranch_execz .LBB876_11
; %bb.10:
	global_load_b32 v5, v[2:3], off offset:512
	s_wait_loadcnt 0x0
	v_xor_b32_e32 v22, 0x7fffffff, v5
.LBB876_11:
	s_or_b32 exec_lo, exec_lo, s2
	v_add_nc_u32_e32 v5, 0xa0, v4
	s_mov_b32 s2, exec_lo
	s_delay_alu instid0(VALU_DEP_1)
	v_cmpx_gt_u32_e64 s22, v5
	s_cbranch_execz .LBB876_13
; %bb.12:
	global_load_b32 v5, v[2:3], off offset:640
	s_wait_loadcnt 0x0
	v_xor_b32_e32 v21, 0x7fffffff, v5
.LBB876_13:
	s_or_b32 exec_lo, exec_lo, s2
	v_dual_mov_b32 v24, -1 :: v_dual_add_nc_u32 v5, 0xc0, v4
	v_mov_b32_e32 v23, -1
	s_mov_b32 s2, exec_lo
	s_delay_alu instid0(VALU_DEP_2)
	v_cmpx_gt_u32_e64 s22, v5
	s_cbranch_execz .LBB876_15
; %bb.14:
	global_load_b32 v5, v[2:3], off offset:768
	s_wait_loadcnt 0x0
	v_xor_b32_e32 v24, 0x7fffffff, v5
.LBB876_15:
	s_or_b32 exec_lo, exec_lo, s2
	v_add_nc_u32_e32 v5, 0xe0, v4
	;; [unrolled: 23-line block ×4, first 2 shown]
	v_and_b32_e32 v27, 0x3ff, v0
	s_mov_b32 s2, exec_lo
	s_delay_alu instid0(VALU_DEP_2)
	v_cmpx_gt_u32_e64 s22, v4
	s_cbranch_execz .LBB876_25
; %bb.24:
	global_load_b32 v2, v[2:3], off offset:1408
	s_wait_loadcnt 0x0
	v_xor_b32_e32 v28, 0x7fffffff, v2
.LBB876_25:
	s_or_b32 exec_lo, exec_lo, s2
	s_clause 0x1
	s_load_b32 s23, s[0:1], 0x58
	s_load_u16 s4, s[0:1], 0x66
	v_bfe_u32 v2, v0, 10, 10
	v_bfe_u32 v3, v0, 20, 10
	v_lshrrev_b32_e32 v4, s20, v18
	s_mov_b32 s3, 0
	s_wait_kmcnt 0x0
	s_cmp_lt_u32 s9, s23
	v_mad_u32_u24 v2, v3, s4, v2
	s_cselect_b32 s2, 12, 18
	s_lshl_b32 s25, -1, s21
	s_add_nc_u64 s[2:3], s[26:27], s[2:3]
	v_bitop3_b32 v3, v4, 1, s25 bitop3:0x40
	v_bitop3_b32 v4, v4, s25, v4 bitop3:0x30
	s_load_u16 s28, s[2:3], 0x0
	s_wait_xcnt 0x0
	s_delay_alu instid0(VALU_DEP_2) | instskip(NEXT) | instid1(VALU_DEP_1)
	v_add_co_u32 v3, s2, v3, -1
	v_cndmask_b32_e64 v5, 0, 1, s2
	v_dual_lshlrev_b32 v6, 30, v4 :: v_dual_lshlrev_b32 v7, 29, v4
	v_dual_lshlrev_b32 v8, 28, v4 :: v_dual_lshlrev_b32 v9, 27, v4
	s_delay_alu instid0(VALU_DEP_3) | instskip(NEXT) | instid1(VALU_DEP_3)
	v_cmp_ne_u32_e32 vcc_lo, 0, v5
	v_not_b32_e32 v5, v6
	v_dual_lshlrev_b32 v10, 26, v4 :: v_dual_lshlrev_b32 v11, 25, v4
	v_cmp_gt_i32_e64 s2, 0, v6
	v_cmp_gt_i32_e64 s3, 0, v7
	v_not_b32_e32 v6, v7
	v_cmp_gt_i32_e64 s4, 0, v8
	v_not_b32_e32 v7, v8
	v_not_b32_e32 v8, v9
	v_dual_ashrrev_i32 v5, 31, v5 :: v_dual_lshlrev_b32 v12, 24, v4
	v_xor_b32_e32 v3, vcc_lo, v3
	v_cmp_gt_i32_e64 s5, 0, v9
	v_not_b32_e32 v9, v10
	v_dual_ashrrev_i32 v6, 31, v6 :: v_dual_ashrrev_i32 v7, 31, v7
	v_dual_ashrrev_i32 v8, 31, v8 :: v_dual_bitop2_b32 v5, s2, v5 bitop3:0x14
	v_cmp_gt_i32_e64 s6, 0, v10
	v_cmp_gt_i32_e64 s7, 0, v11
	v_not_b32_e32 v10, v11
	v_not_b32_e32 v11, v12
	v_dual_ashrrev_i32 v9, 31, v9 :: v_dual_bitop2_b32 v6, s3, v6 bitop3:0x14
	s_wait_kmcnt 0x0
	v_mad_u32 v2, v2, s28, v27
	v_xor_b32_e32 v7, s4, v7
	v_bitop3_b32 v3, v3, v5, exec_lo bitop3:0x80
	v_cmp_gt_i32_e64 s8, 0, v12
	v_dual_ashrrev_i32 v5, 31, v10 :: v_dual_ashrrev_i32 v10, 31, v11
	v_xor_b32_e32 v8, s5, v8
	v_xor_b32_e32 v9, s6, v9
	v_bitop3_b32 v3, v3, v7, v6 bitop3:0x80
	s_delay_alu instid0(VALU_DEP_4) | instskip(SKIP_2) | instid1(VALU_DEP_4)
	v_dual_mov_b32 v6, 0 :: v_dual_bitop2_b32 v5, s7, v5 bitop3:0x14
	v_lshrrev_b32_e32 v2, 5, v2
	v_xor_b32_e32 v7, s8, v10
	v_bitop3_b32 v3, v3, v9, v8 bitop3:0x80
	v_mul_u32_u24_e32 v12, 36, v27
	s_not_b32 s6, s25
	v_lshlrev_b32_e32 v2, 2, v2
	ds_store_2addr_b32 v12, v6, v6 offset0:16 offset1:17
	ds_store_2addr_b32 v12, v6, v6 offset0:18 offset1:19
	;; [unrolled: 1-line block ×4, first 2 shown]
	v_bitop3_b32 v3, v3, v7, v5 bitop3:0x80
	v_mad_u32 v13, 0x44, v4, v2
	ds_store_b32 v12, v6 offset:96
	s_wait_dscnt 0x0
	s_barrier_signal -1
	v_mbcnt_lo_u32_b32 v7, v3, 0
	v_cmp_ne_u32_e64 s2, 0, v3
	s_barrier_wait -1
	s_delay_alu instid0(VALU_DEP_2) | instskip(SKIP_1) | instid1(SALU_CYCLE_1)
	v_cmp_eq_u32_e32 vcc_lo, 0, v7
	; wave barrier
	s_and_b32 s3, s2, vcc_lo
	s_and_saveexec_b32 s2, s3
; %bb.26:
	v_bcnt_u32_b32 v3, v3, 0
	ds_store_b32 v13, v3 offset:64
; %bb.27:
	s_or_b32 exec_lo, exec_lo, s2
	v_lshrrev_b32_e32 v3, s20, v1
	; wave barrier
	s_delay_alu instid0(VALU_DEP_1) | instskip(NEXT) | instid1(VALU_DEP_1)
	v_and_b32_e32 v4, s6, v3
	v_lshlrev_b32_e32 v6, 30, v4
	v_bitop3_b32 v3, v3, 1, s6 bitop3:0x80
	s_delay_alu instid0(VALU_DEP_1) | instskip(NEXT) | instid1(VALU_DEP_1)
	v_add_co_u32 v3, s2, v3, -1
	v_cndmask_b32_e64 v5, 0, 1, s2
	s_delay_alu instid0(VALU_DEP_4) | instskip(NEXT) | instid1(VALU_DEP_2)
	v_cmp_gt_i32_e64 s2, 0, v6
	v_cmp_ne_u32_e32 vcc_lo, 0, v5
	v_not_b32_e32 v5, v6
	s_delay_alu instid0(VALU_DEP_1) | instskip(SKIP_3) | instid1(VALU_DEP_4)
	v_dual_ashrrev_i32 v5, 31, v5 :: v_dual_lshlrev_b32 v8, 29, v4
	v_dual_lshlrev_b32 v9, 28, v4 :: v_dual_lshlrev_b32 v10, 27, v4
	v_lshlrev_b32_e32 v11, 26, v4
	v_mad_u32 v14, 0x44, v4, v2
	v_cmp_gt_i32_e64 s3, 0, v8
	v_not_b32_e32 v6, v8
	v_not_b32_e32 v8, v9
	v_cmp_gt_i32_e64 s4, 0, v9
	v_xor_b32_e32 v3, vcc_lo, v3
	s_delay_alu instid0(VALU_DEP_4) | instskip(NEXT) | instid1(VALU_DEP_4)
	v_dual_ashrrev_i32 v6, 31, v6 :: v_dual_bitop2_b32 v5, s2, v5 bitop3:0x14
	v_ashrrev_i32_e32 v8, 31, v8
	v_dual_lshlrev_b32 v15, 25, v4 :: v_dual_lshlrev_b32 v4, 24, v4
	v_not_b32_e32 v9, v10
	v_not_b32_e32 v30, v11
	v_xor_b32_e32 v6, s3, v6
	v_xor_b32_e32 v8, s4, v8
	v_bitop3_b32 v3, v3, v5, exec_lo bitop3:0x80
	v_cmp_gt_i32_e32 vcc_lo, 0, v10
	v_ashrrev_i32_e32 v5, 31, v9
	v_cmp_gt_i32_e64 s2, 0, v11
	v_ashrrev_i32_e32 v9, 31, v30
	v_bitop3_b32 v3, v3, v8, v6 bitop3:0x80
	v_not_b32_e32 v6, v15
	v_not_b32_e32 v8, v4
	v_xor_b32_e32 v5, vcc_lo, v5
	v_xor_b32_e32 v9, s2, v9
	v_cmp_gt_i32_e32 vcc_lo, 0, v15
	v_ashrrev_i32_e32 v6, 31, v6
	v_cmp_gt_i32_e64 s2, 0, v4
	v_ashrrev_i32_e32 v4, 31, v8
	v_bitop3_b32 v3, v3, v9, v5 bitop3:0x80
	ds_load_b32 v30, v14 offset:64
	v_xor_b32_e32 v5, vcc_lo, v6
	v_xor_b32_e32 v4, s2, v4
	; wave barrier
	s_delay_alu instid0(VALU_DEP_1) | instskip(NEXT) | instid1(VALU_DEP_1)
	v_bitop3_b32 v3, v3, v4, v5 bitop3:0x80
	v_mbcnt_lo_u32_b32 v31, v3, 0
	v_cmp_ne_u32_e64 s2, 0, v3
	s_delay_alu instid0(VALU_DEP_2) | instskip(SKIP_1) | instid1(SALU_CYCLE_1)
	v_cmp_eq_u32_e32 vcc_lo, 0, v31
	s_and_b32 s3, s2, vcc_lo
	s_and_saveexec_b32 s2, s3
	s_cbranch_execz .LBB876_29
; %bb.28:
	s_wait_dscnt 0x0
	v_bcnt_u32_b32 v3, v3, v30
	ds_store_b32 v14, v3 offset:64
.LBB876_29:
	s_or_b32 exec_lo, exec_lo, s2
	v_lshrrev_b32_e32 v3, s20, v20
	; wave barrier
	s_delay_alu instid0(VALU_DEP_1) | instskip(SKIP_1) | instid1(VALU_DEP_2)
	v_and_b32_e32 v4, s6, v3
	v_bitop3_b32 v3, v3, 1, s6 bitop3:0x80
	v_dual_lshlrev_b32 v6, 30, v4 :: v_dual_lshlrev_b32 v8, 29, v4
	s_delay_alu instid0(VALU_DEP_2) | instskip(NEXT) | instid1(VALU_DEP_1)
	v_add_co_u32 v3, s2, v3, -1
	v_cndmask_b32_e64 v5, 0, 1, s2
	s_delay_alu instid0(VALU_DEP_3) | instskip(NEXT) | instid1(VALU_DEP_4)
	v_cmp_gt_i32_e64 s2, 0, v6
	v_cmp_gt_i32_e64 s3, 0, v8
	s_delay_alu instid0(VALU_DEP_3) | instskip(SKIP_2) | instid1(VALU_DEP_2)
	v_cmp_ne_u32_e32 vcc_lo, 0, v5
	v_not_b32_e32 v5, v6
	v_not_b32_e32 v6, v8
	v_dual_ashrrev_i32 v5, 31, v5 :: v_dual_bitop2_b32 v3, vcc_lo, v3 bitop3:0x14
	s_delay_alu instid0(VALU_DEP_2) | instskip(SKIP_3) | instid1(VALU_DEP_4)
	v_dual_ashrrev_i32 v6, 31, v6 :: v_dual_lshlrev_b32 v9, 28, v4
	v_lshlrev_b32_e32 v10, 27, v4
	v_mad_u32 v15, 0x44, v4, v2
	v_dual_lshlrev_b32 v11, 26, v4 :: v_dual_lshlrev_b32 v32, 25, v4
	v_not_b32_e32 v8, v9
	v_lshlrev_b32_e32 v4, 24, v4
	v_cmp_gt_i32_e64 s4, 0, v9
	v_xor_b32_e32 v5, s2, v5
	v_not_b32_e32 v9, v10
	v_ashrrev_i32_e32 v8, 31, v8
	v_not_b32_e32 v33, v11
	v_xor_b32_e32 v6, s3, v6
	v_bitop3_b32 v3, v3, v5, exec_lo bitop3:0x80
	v_cmp_gt_i32_e32 vcc_lo, 0, v10
	v_dual_ashrrev_i32 v5, 31, v9 :: v_dual_bitop2_b32 v8, s4, v8 bitop3:0x14
	v_cmp_gt_i32_e64 s2, 0, v11
	v_ashrrev_i32_e32 v9, 31, v33
	s_delay_alu instid0(VALU_DEP_3)
	v_bitop3_b32 v3, v3, v8, v6 bitop3:0x80
	v_not_b32_e32 v6, v32
	v_not_b32_e32 v8, v4
	v_xor_b32_e32 v5, vcc_lo, v5
	v_xor_b32_e32 v9, s2, v9
	v_cmp_gt_i32_e32 vcc_lo, 0, v32
	v_ashrrev_i32_e32 v6, 31, v6
	v_cmp_gt_i32_e64 s2, 0, v4
	v_ashrrev_i32_e32 v4, 31, v8
	v_bitop3_b32 v3, v3, v9, v5 bitop3:0x80
	ds_load_b32 v32, v15 offset:64
	v_xor_b32_e32 v5, vcc_lo, v6
	v_xor_b32_e32 v4, s2, v4
	; wave barrier
	s_delay_alu instid0(VALU_DEP_1) | instskip(NEXT) | instid1(VALU_DEP_1)
	v_bitop3_b32 v3, v3, v4, v5 bitop3:0x80
	v_mbcnt_lo_u32_b32 v33, v3, 0
	v_cmp_ne_u32_e64 s2, 0, v3
	s_delay_alu instid0(VALU_DEP_2) | instskip(SKIP_1) | instid1(SALU_CYCLE_1)
	v_cmp_eq_u32_e32 vcc_lo, 0, v33
	s_and_b32 s3, s2, vcc_lo
	s_and_saveexec_b32 s2, s3
	s_cbranch_execz .LBB876_31
; %bb.30:
	s_wait_dscnt 0x0
	v_bcnt_u32_b32 v3, v3, v32
	ds_store_b32 v15, v3 offset:64
.LBB876_31:
	s_or_b32 exec_lo, exec_lo, s2
	v_lshrrev_b32_e32 v3, s20, v19
	; wave barrier
	s_delay_alu instid0(VALU_DEP_1) | instskip(NEXT) | instid1(VALU_DEP_1)
	v_and_b32_e32 v4, s6, v3
	v_lshlrev_b32_e32 v6, 30, v4
	v_bitop3_b32 v3, v3, 1, s6 bitop3:0x80
	s_delay_alu instid0(VALU_DEP_1) | instskip(NEXT) | instid1(VALU_DEP_1)
	v_add_co_u32 v3, s2, v3, -1
	v_cndmask_b32_e64 v5, 0, 1, s2
	s_delay_alu instid0(VALU_DEP_4) | instskip(NEXT) | instid1(VALU_DEP_2)
	v_cmp_gt_i32_e64 s2, 0, v6
	v_cmp_ne_u32_e32 vcc_lo, 0, v5
	v_not_b32_e32 v5, v6
	s_delay_alu instid0(VALU_DEP_1) | instskip(SKIP_3) | instid1(VALU_DEP_4)
	v_dual_ashrrev_i32 v5, 31, v5 :: v_dual_lshlrev_b32 v8, 29, v4
	v_dual_lshlrev_b32 v9, 28, v4 :: v_dual_lshlrev_b32 v10, 27, v4
	v_lshlrev_b32_e32 v11, 26, v4
	v_mad_u32 v38, 0x44, v4, v2
	v_cmp_gt_i32_e64 s3, 0, v8
	v_not_b32_e32 v6, v8
	v_not_b32_e32 v8, v9
	v_cmp_gt_i32_e64 s4, 0, v9
	v_xor_b32_e32 v3, vcc_lo, v3
	s_delay_alu instid0(VALU_DEP_4) | instskip(NEXT) | instid1(VALU_DEP_4)
	v_dual_ashrrev_i32 v6, 31, v6 :: v_dual_bitop2_b32 v5, s2, v5 bitop3:0x14
	v_ashrrev_i32_e32 v8, 31, v8
	v_dual_lshlrev_b32 v34, 25, v4 :: v_dual_lshlrev_b32 v4, 24, v4
	v_not_b32_e32 v9, v10
	v_not_b32_e32 v35, v11
	v_xor_b32_e32 v6, s3, v6
	v_xor_b32_e32 v8, s4, v8
	v_bitop3_b32 v3, v3, v5, exec_lo bitop3:0x80
	v_cmp_gt_i32_e32 vcc_lo, 0, v10
	v_ashrrev_i32_e32 v5, 31, v9
	v_cmp_gt_i32_e64 s2, 0, v11
	v_ashrrev_i32_e32 v9, 31, v35
	v_bitop3_b32 v3, v3, v8, v6 bitop3:0x80
	v_not_b32_e32 v6, v34
	v_not_b32_e32 v8, v4
	v_xor_b32_e32 v5, vcc_lo, v5
	v_xor_b32_e32 v9, s2, v9
	v_cmp_gt_i32_e32 vcc_lo, 0, v34
	v_ashrrev_i32_e32 v6, 31, v6
	v_cmp_gt_i32_e64 s2, 0, v4
	v_ashrrev_i32_e32 v4, 31, v8
	v_bitop3_b32 v3, v3, v9, v5 bitop3:0x80
	ds_load_b32 v34, v38 offset:64
	v_xor_b32_e32 v5, vcc_lo, v6
	v_xor_b32_e32 v4, s2, v4
	; wave barrier
	s_delay_alu instid0(VALU_DEP_1) | instskip(NEXT) | instid1(VALU_DEP_1)
	v_bitop3_b32 v3, v3, v4, v5 bitop3:0x80
	v_mbcnt_lo_u32_b32 v35, v3, 0
	v_cmp_ne_u32_e64 s2, 0, v3
	s_delay_alu instid0(VALU_DEP_2) | instskip(SKIP_1) | instid1(SALU_CYCLE_1)
	v_cmp_eq_u32_e32 vcc_lo, 0, v35
	s_and_b32 s3, s2, vcc_lo
	s_and_saveexec_b32 s2, s3
	s_cbranch_execz .LBB876_33
; %bb.32:
	s_wait_dscnt 0x0
	v_bcnt_u32_b32 v3, v3, v34
	ds_store_b32 v38, v3 offset:64
.LBB876_33:
	s_or_b32 exec_lo, exec_lo, s2
	v_lshrrev_b32_e32 v3, s20, v22
	; wave barrier
	s_delay_alu instid0(VALU_DEP_1) | instskip(NEXT) | instid1(VALU_DEP_1)
	v_and_b32_e32 v4, s6, v3
	v_lshlrev_b32_e32 v6, 30, v4
	v_bitop3_b32 v3, v3, 1, s6 bitop3:0x80
	s_delay_alu instid0(VALU_DEP_1) | instskip(NEXT) | instid1(VALU_DEP_1)
	v_add_co_u32 v3, s2, v3, -1
	v_cndmask_b32_e64 v5, 0, 1, s2
	s_delay_alu instid0(VALU_DEP_4) | instskip(NEXT) | instid1(VALU_DEP_2)
	v_cmp_gt_i32_e64 s2, 0, v6
	v_cmp_ne_u32_e32 vcc_lo, 0, v5
	v_not_b32_e32 v5, v6
	s_delay_alu instid0(VALU_DEP_1) | instskip(SKIP_3) | instid1(VALU_DEP_4)
	v_dual_ashrrev_i32 v5, 31, v5 :: v_dual_lshlrev_b32 v8, 29, v4
	v_dual_lshlrev_b32 v9, 28, v4 :: v_dual_lshlrev_b32 v10, 27, v4
	v_lshlrev_b32_e32 v11, 26, v4
	v_mad_u32 v41, 0x44, v4, v2
	v_cmp_gt_i32_e64 s3, 0, v8
	v_not_b32_e32 v6, v8
	v_not_b32_e32 v8, v9
	v_cmp_gt_i32_e64 s4, 0, v9
	v_xor_b32_e32 v3, vcc_lo, v3
	s_delay_alu instid0(VALU_DEP_4) | instskip(NEXT) | instid1(VALU_DEP_4)
	v_dual_ashrrev_i32 v6, 31, v6 :: v_dual_bitop2_b32 v5, s2, v5 bitop3:0x14
	v_ashrrev_i32_e32 v8, 31, v8
	v_dual_lshlrev_b32 v36, 25, v4 :: v_dual_lshlrev_b32 v4, 24, v4
	v_not_b32_e32 v9, v10
	v_not_b32_e32 v37, v11
	v_xor_b32_e32 v6, s3, v6
	v_xor_b32_e32 v8, s4, v8
	v_bitop3_b32 v3, v3, v5, exec_lo bitop3:0x80
	v_cmp_gt_i32_e32 vcc_lo, 0, v10
	v_ashrrev_i32_e32 v5, 31, v9
	v_cmp_gt_i32_e64 s2, 0, v11
	v_ashrrev_i32_e32 v9, 31, v37
	v_bitop3_b32 v3, v3, v8, v6 bitop3:0x80
	v_not_b32_e32 v6, v36
	v_not_b32_e32 v8, v4
	v_xor_b32_e32 v5, vcc_lo, v5
	v_xor_b32_e32 v9, s2, v9
	v_cmp_gt_i32_e32 vcc_lo, 0, v36
	v_ashrrev_i32_e32 v6, 31, v6
	v_cmp_gt_i32_e64 s2, 0, v4
	v_ashrrev_i32_e32 v4, 31, v8
	v_bitop3_b32 v3, v3, v9, v5 bitop3:0x80
	ds_load_b32 v36, v41 offset:64
	v_xor_b32_e32 v5, vcc_lo, v6
	v_xor_b32_e32 v4, s2, v4
	; wave barrier
	s_delay_alu instid0(VALU_DEP_1) | instskip(NEXT) | instid1(VALU_DEP_1)
	v_bitop3_b32 v3, v3, v4, v5 bitop3:0x80
	v_mbcnt_lo_u32_b32 v37, v3, 0
	v_cmp_ne_u32_e64 s2, 0, v3
	s_delay_alu instid0(VALU_DEP_2) | instskip(SKIP_1) | instid1(SALU_CYCLE_1)
	v_cmp_eq_u32_e32 vcc_lo, 0, v37
	s_and_b32 s3, s2, vcc_lo
	s_and_saveexec_b32 s2, s3
	s_cbranch_execz .LBB876_35
; %bb.34:
	s_wait_dscnt 0x0
	v_bcnt_u32_b32 v3, v3, v36
	ds_store_b32 v41, v3 offset:64
.LBB876_35:
	s_or_b32 exec_lo, exec_lo, s2
	v_lshrrev_b32_e32 v3, s20, v21
	; wave barrier
	s_delay_alu instid0(VALU_DEP_1) | instskip(NEXT) | instid1(VALU_DEP_1)
	v_and_b32_e32 v4, s6, v3
	v_lshlrev_b32_e32 v6, 30, v4
	v_bitop3_b32 v3, v3, 1, s6 bitop3:0x80
	s_delay_alu instid0(VALU_DEP_1) | instskip(NEXT) | instid1(VALU_DEP_1)
	v_add_co_u32 v3, s2, v3, -1
	v_cndmask_b32_e64 v5, 0, 1, s2
	s_delay_alu instid0(VALU_DEP_4) | instskip(NEXT) | instid1(VALU_DEP_2)
	v_cmp_gt_i32_e64 s2, 0, v6
	v_cmp_ne_u32_e32 vcc_lo, 0, v5
	v_not_b32_e32 v5, v6
	s_delay_alu instid0(VALU_DEP_1) | instskip(SKIP_3) | instid1(VALU_DEP_4)
	v_dual_ashrrev_i32 v5, 31, v5 :: v_dual_lshlrev_b32 v8, 29, v4
	v_dual_lshlrev_b32 v9, 28, v4 :: v_dual_lshlrev_b32 v10, 27, v4
	v_lshlrev_b32_e32 v11, 26, v4
	v_mad_u32 v44, 0x44, v4, v2
	v_cmp_gt_i32_e64 s3, 0, v8
	v_not_b32_e32 v6, v8
	v_not_b32_e32 v8, v9
	v_cmp_gt_i32_e64 s4, 0, v9
	v_xor_b32_e32 v3, vcc_lo, v3
	s_delay_alu instid0(VALU_DEP_4) | instskip(NEXT) | instid1(VALU_DEP_4)
	v_dual_ashrrev_i32 v6, 31, v6 :: v_dual_bitop2_b32 v5, s2, v5 bitop3:0x14
	v_ashrrev_i32_e32 v8, 31, v8
	v_dual_lshlrev_b32 v39, 25, v4 :: v_dual_lshlrev_b32 v4, 24, v4
	v_not_b32_e32 v9, v10
	v_not_b32_e32 v40, v11
	v_xor_b32_e32 v6, s3, v6
	v_xor_b32_e32 v8, s4, v8
	v_bitop3_b32 v3, v3, v5, exec_lo bitop3:0x80
	v_cmp_gt_i32_e32 vcc_lo, 0, v10
	v_ashrrev_i32_e32 v5, 31, v9
	v_cmp_gt_i32_e64 s2, 0, v11
	v_ashrrev_i32_e32 v9, 31, v40
	v_bitop3_b32 v3, v3, v8, v6 bitop3:0x80
	v_not_b32_e32 v6, v39
	v_not_b32_e32 v8, v4
	v_xor_b32_e32 v5, vcc_lo, v5
	v_xor_b32_e32 v9, s2, v9
	v_cmp_gt_i32_e32 vcc_lo, 0, v39
	v_ashrrev_i32_e32 v6, 31, v6
	v_cmp_gt_i32_e64 s2, 0, v4
	v_ashrrev_i32_e32 v4, 31, v8
	v_bitop3_b32 v3, v3, v9, v5 bitop3:0x80
	ds_load_b32 v39, v44 offset:64
	v_xor_b32_e32 v5, vcc_lo, v6
	v_xor_b32_e32 v4, s2, v4
	; wave barrier
	s_delay_alu instid0(VALU_DEP_1) | instskip(NEXT) | instid1(VALU_DEP_1)
	v_bitop3_b32 v3, v3, v4, v5 bitop3:0x80
	v_mbcnt_lo_u32_b32 v40, v3, 0
	v_cmp_ne_u32_e64 s2, 0, v3
	s_delay_alu instid0(VALU_DEP_2) | instskip(SKIP_1) | instid1(SALU_CYCLE_1)
	v_cmp_eq_u32_e32 vcc_lo, 0, v40
	s_and_b32 s3, s2, vcc_lo
	s_and_saveexec_b32 s2, s3
	s_cbranch_execz .LBB876_37
; %bb.36:
	s_wait_dscnt 0x0
	v_bcnt_u32_b32 v3, v3, v39
	ds_store_b32 v44, v3 offset:64
.LBB876_37:
	s_or_b32 exec_lo, exec_lo, s2
	v_lshrrev_b32_e32 v3, s20, v24
	; wave barrier
	s_delay_alu instid0(VALU_DEP_1) | instskip(SKIP_1) | instid1(VALU_DEP_2)
	v_and_b32_e32 v4, s6, v3
	v_bitop3_b32 v3, v3, 1, s6 bitop3:0x80
	v_dual_lshlrev_b32 v6, 30, v4 :: v_dual_lshlrev_b32 v8, 29, v4
	s_delay_alu instid0(VALU_DEP_2) | instskip(NEXT) | instid1(VALU_DEP_1)
	v_add_co_u32 v3, s2, v3, -1
	v_cndmask_b32_e64 v5, 0, 1, s2
	s_delay_alu instid0(VALU_DEP_3) | instskip(NEXT) | instid1(VALU_DEP_4)
	v_cmp_gt_i32_e64 s2, 0, v6
	v_cmp_gt_i32_e64 s3, 0, v8
	s_delay_alu instid0(VALU_DEP_3) | instskip(SKIP_2) | instid1(VALU_DEP_2)
	v_cmp_ne_u32_e32 vcc_lo, 0, v5
	v_not_b32_e32 v5, v6
	v_not_b32_e32 v6, v8
	v_dual_ashrrev_i32 v5, 31, v5 :: v_dual_bitop2_b32 v3, vcc_lo, v3 bitop3:0x14
	s_delay_alu instid0(VALU_DEP_2) | instskip(SKIP_3) | instid1(VALU_DEP_4)
	v_dual_ashrrev_i32 v6, 31, v6 :: v_dual_lshlrev_b32 v9, 28, v4
	v_lshlrev_b32_e32 v10, 27, v4
	v_mad_u32 v47, 0x44, v4, v2
	v_dual_lshlrev_b32 v11, 26, v4 :: v_dual_lshlrev_b32 v42, 25, v4
	v_not_b32_e32 v8, v9
	v_lshlrev_b32_e32 v4, 24, v4
	v_cmp_gt_i32_e64 s4, 0, v9
	v_xor_b32_e32 v5, s2, v5
	v_not_b32_e32 v9, v10
	v_ashrrev_i32_e32 v8, 31, v8
	v_not_b32_e32 v43, v11
	v_xor_b32_e32 v6, s3, v6
	v_bitop3_b32 v3, v3, v5, exec_lo bitop3:0x80
	v_cmp_gt_i32_e32 vcc_lo, 0, v10
	v_dual_ashrrev_i32 v5, 31, v9 :: v_dual_bitop2_b32 v8, s4, v8 bitop3:0x14
	v_cmp_gt_i32_e64 s2, 0, v11
	v_ashrrev_i32_e32 v9, 31, v43
	s_delay_alu instid0(VALU_DEP_3)
	v_bitop3_b32 v3, v3, v8, v6 bitop3:0x80
	v_not_b32_e32 v6, v42
	v_not_b32_e32 v8, v4
	v_xor_b32_e32 v5, vcc_lo, v5
	v_xor_b32_e32 v9, s2, v9
	v_cmp_gt_i32_e32 vcc_lo, 0, v42
	v_ashrrev_i32_e32 v6, 31, v6
	v_cmp_gt_i32_e64 s2, 0, v4
	v_ashrrev_i32_e32 v4, 31, v8
	v_bitop3_b32 v3, v3, v9, v5 bitop3:0x80
	ds_load_b32 v42, v47 offset:64
	v_xor_b32_e32 v5, vcc_lo, v6
	v_xor_b32_e32 v4, s2, v4
	; wave barrier
	s_delay_alu instid0(VALU_DEP_1) | instskip(NEXT) | instid1(VALU_DEP_1)
	v_bitop3_b32 v3, v3, v4, v5 bitop3:0x80
	v_mbcnt_lo_u32_b32 v43, v3, 0
	v_cmp_ne_u32_e64 s2, 0, v3
	s_delay_alu instid0(VALU_DEP_2) | instskip(SKIP_1) | instid1(SALU_CYCLE_1)
	v_cmp_eq_u32_e32 vcc_lo, 0, v43
	s_and_b32 s3, s2, vcc_lo
	s_and_saveexec_b32 s2, s3
	s_cbranch_execz .LBB876_39
; %bb.38:
	s_wait_dscnt 0x0
	v_bcnt_u32_b32 v3, v3, v42
	ds_store_b32 v47, v3 offset:64
.LBB876_39:
	s_or_b32 exec_lo, exec_lo, s2
	v_lshrrev_b32_e32 v3, s20, v23
	; wave barrier
	s_delay_alu instid0(VALU_DEP_1) | instskip(NEXT) | instid1(VALU_DEP_1)
	v_and_b32_e32 v4, s6, v3
	v_lshlrev_b32_e32 v6, 30, v4
	v_bitop3_b32 v3, v3, 1, s6 bitop3:0x80
	s_delay_alu instid0(VALU_DEP_1) | instskip(NEXT) | instid1(VALU_DEP_1)
	v_add_co_u32 v3, s2, v3, -1
	v_cndmask_b32_e64 v5, 0, 1, s2
	s_delay_alu instid0(VALU_DEP_4) | instskip(NEXT) | instid1(VALU_DEP_2)
	v_cmp_gt_i32_e64 s2, 0, v6
	v_cmp_ne_u32_e32 vcc_lo, 0, v5
	v_not_b32_e32 v5, v6
	s_delay_alu instid0(VALU_DEP_1) | instskip(SKIP_3) | instid1(VALU_DEP_4)
	v_dual_ashrrev_i32 v5, 31, v5 :: v_dual_lshlrev_b32 v8, 29, v4
	v_dual_lshlrev_b32 v9, 28, v4 :: v_dual_lshlrev_b32 v10, 27, v4
	v_lshlrev_b32_e32 v11, 26, v4
	v_mad_u32 v50, 0x44, v4, v2
	v_cmp_gt_i32_e64 s3, 0, v8
	v_not_b32_e32 v6, v8
	v_not_b32_e32 v8, v9
	v_cmp_gt_i32_e64 s4, 0, v9
	v_xor_b32_e32 v3, vcc_lo, v3
	s_delay_alu instid0(VALU_DEP_4) | instskip(NEXT) | instid1(VALU_DEP_4)
	v_dual_ashrrev_i32 v6, 31, v6 :: v_dual_bitop2_b32 v5, s2, v5 bitop3:0x14
	v_ashrrev_i32_e32 v8, 31, v8
	v_dual_lshlrev_b32 v45, 25, v4 :: v_dual_lshlrev_b32 v4, 24, v4
	v_not_b32_e32 v9, v10
	v_not_b32_e32 v46, v11
	v_xor_b32_e32 v6, s3, v6
	v_xor_b32_e32 v8, s4, v8
	v_bitop3_b32 v3, v3, v5, exec_lo bitop3:0x80
	v_cmp_gt_i32_e32 vcc_lo, 0, v10
	v_ashrrev_i32_e32 v5, 31, v9
	v_cmp_gt_i32_e64 s2, 0, v11
	v_ashrrev_i32_e32 v9, 31, v46
	v_bitop3_b32 v3, v3, v8, v6 bitop3:0x80
	v_not_b32_e32 v6, v45
	v_not_b32_e32 v8, v4
	v_xor_b32_e32 v5, vcc_lo, v5
	v_xor_b32_e32 v9, s2, v9
	v_cmp_gt_i32_e32 vcc_lo, 0, v45
	v_ashrrev_i32_e32 v6, 31, v6
	v_cmp_gt_i32_e64 s2, 0, v4
	v_ashrrev_i32_e32 v4, 31, v8
	v_bitop3_b32 v3, v3, v9, v5 bitop3:0x80
	ds_load_b32 v45, v50 offset:64
	v_xor_b32_e32 v5, vcc_lo, v6
	v_xor_b32_e32 v4, s2, v4
	; wave barrier
	s_delay_alu instid0(VALU_DEP_1) | instskip(NEXT) | instid1(VALU_DEP_1)
	v_bitop3_b32 v3, v3, v4, v5 bitop3:0x80
	v_mbcnt_lo_u32_b32 v46, v3, 0
	v_cmp_ne_u32_e64 s2, 0, v3
	s_delay_alu instid0(VALU_DEP_2) | instskip(SKIP_1) | instid1(SALU_CYCLE_1)
	v_cmp_eq_u32_e32 vcc_lo, 0, v46
	s_and_b32 s3, s2, vcc_lo
	s_and_saveexec_b32 s2, s3
	s_cbranch_execz .LBB876_41
; %bb.40:
	s_wait_dscnt 0x0
	v_bcnt_u32_b32 v3, v3, v45
	ds_store_b32 v50, v3 offset:64
.LBB876_41:
	s_or_b32 exec_lo, exec_lo, s2
	v_lshrrev_b32_e32 v3, s20, v26
	; wave barrier
	s_delay_alu instid0(VALU_DEP_1) | instskip(NEXT) | instid1(VALU_DEP_1)
	v_and_b32_e32 v4, s6, v3
	v_lshlrev_b32_e32 v6, 30, v4
	v_bitop3_b32 v3, v3, 1, s6 bitop3:0x80
	s_delay_alu instid0(VALU_DEP_1) | instskip(NEXT) | instid1(VALU_DEP_1)
	v_add_co_u32 v3, s2, v3, -1
	v_cndmask_b32_e64 v5, 0, 1, s2
	s_delay_alu instid0(VALU_DEP_4) | instskip(NEXT) | instid1(VALU_DEP_2)
	v_cmp_gt_i32_e64 s2, 0, v6
	v_cmp_ne_u32_e32 vcc_lo, 0, v5
	v_not_b32_e32 v5, v6
	s_delay_alu instid0(VALU_DEP_1) | instskip(SKIP_3) | instid1(VALU_DEP_4)
	v_dual_ashrrev_i32 v5, 31, v5 :: v_dual_lshlrev_b32 v8, 29, v4
	v_dual_lshlrev_b32 v9, 28, v4 :: v_dual_lshlrev_b32 v10, 27, v4
	v_lshlrev_b32_e32 v11, 26, v4
	v_mad_u32 v52, 0x44, v4, v2
	v_cmp_gt_i32_e64 s3, 0, v8
	v_not_b32_e32 v6, v8
	v_not_b32_e32 v8, v9
	v_cmp_gt_i32_e64 s4, 0, v9
	v_xor_b32_e32 v3, vcc_lo, v3
	s_delay_alu instid0(VALU_DEP_4) | instskip(NEXT) | instid1(VALU_DEP_4)
	v_dual_ashrrev_i32 v6, 31, v6 :: v_dual_bitop2_b32 v5, s2, v5 bitop3:0x14
	v_ashrrev_i32_e32 v8, 31, v8
	v_dual_lshlrev_b32 v48, 25, v4 :: v_dual_lshlrev_b32 v4, 24, v4
	v_not_b32_e32 v9, v10
	v_not_b32_e32 v49, v11
	v_xor_b32_e32 v6, s3, v6
	v_xor_b32_e32 v8, s4, v8
	v_bitop3_b32 v3, v3, v5, exec_lo bitop3:0x80
	v_cmp_gt_i32_e32 vcc_lo, 0, v10
	v_ashrrev_i32_e32 v5, 31, v9
	v_cmp_gt_i32_e64 s2, 0, v11
	v_ashrrev_i32_e32 v9, 31, v49
	v_bitop3_b32 v3, v3, v8, v6 bitop3:0x80
	v_not_b32_e32 v6, v48
	v_not_b32_e32 v8, v4
	v_xor_b32_e32 v5, vcc_lo, v5
	v_xor_b32_e32 v9, s2, v9
	v_cmp_gt_i32_e32 vcc_lo, 0, v48
	v_ashrrev_i32_e32 v6, 31, v6
	v_cmp_gt_i32_e64 s2, 0, v4
	v_ashrrev_i32_e32 v4, 31, v8
	v_bitop3_b32 v3, v3, v9, v5 bitop3:0x80
	ds_load_b32 v48, v52 offset:64
	v_xor_b32_e32 v5, vcc_lo, v6
	v_xor_b32_e32 v4, s2, v4
	; wave barrier
	s_delay_alu instid0(VALU_DEP_1) | instskip(NEXT) | instid1(VALU_DEP_1)
	v_bitop3_b32 v3, v3, v4, v5 bitop3:0x80
	v_mbcnt_lo_u32_b32 v49, v3, 0
	v_cmp_ne_u32_e64 s2, 0, v3
	s_delay_alu instid0(VALU_DEP_2) | instskip(SKIP_1) | instid1(SALU_CYCLE_1)
	v_cmp_eq_u32_e32 vcc_lo, 0, v49
	s_and_b32 s3, s2, vcc_lo
	s_and_saveexec_b32 s2, s3
	s_cbranch_execz .LBB876_43
; %bb.42:
	s_wait_dscnt 0x0
	v_bcnt_u32_b32 v3, v3, v48
	ds_store_b32 v52, v3 offset:64
.LBB876_43:
	s_or_b32 exec_lo, exec_lo, s2
	v_lshrrev_b32_e32 v3, s20, v25
	; wave barrier
	s_delay_alu instid0(VALU_DEP_1) | instskip(NEXT) | instid1(VALU_DEP_1)
	v_and_b32_e32 v4, s6, v3
	v_lshlrev_b32_e32 v6, 30, v4
	v_bitop3_b32 v3, v3, 1, s6 bitop3:0x80
	s_delay_alu instid0(VALU_DEP_1) | instskip(NEXT) | instid1(VALU_DEP_1)
	v_add_co_u32 v3, s2, v3, -1
	v_cndmask_b32_e64 v5, 0, 1, s2
	s_delay_alu instid0(VALU_DEP_4) | instskip(NEXT) | instid1(VALU_DEP_2)
	v_cmp_gt_i32_e64 s2, 0, v6
	v_cmp_ne_u32_e32 vcc_lo, 0, v5
	v_not_b32_e32 v5, v6
	s_delay_alu instid0(VALU_DEP_1) | instskip(SKIP_3) | instid1(VALU_DEP_4)
	v_dual_ashrrev_i32 v5, 31, v5 :: v_dual_lshlrev_b32 v8, 29, v4
	v_dual_lshlrev_b32 v9, 28, v4 :: v_dual_lshlrev_b32 v10, 27, v4
	v_lshlrev_b32_e32 v11, 26, v4
	v_mad_u32 v55, 0x44, v4, v2
	v_cmp_gt_i32_e64 s3, 0, v8
	v_not_b32_e32 v6, v8
	v_not_b32_e32 v8, v9
	v_cmp_gt_i32_e64 s4, 0, v9
	v_xor_b32_e32 v3, vcc_lo, v3
	s_delay_alu instid0(VALU_DEP_4) | instskip(NEXT) | instid1(VALU_DEP_4)
	v_dual_ashrrev_i32 v6, 31, v6 :: v_dual_bitop2_b32 v5, s2, v5 bitop3:0x14
	v_ashrrev_i32_e32 v8, 31, v8
	v_dual_lshlrev_b32 v51, 25, v4 :: v_dual_lshlrev_b32 v4, 24, v4
	v_not_b32_e32 v9, v10
	v_not_b32_e32 v53, v11
	v_xor_b32_e32 v6, s3, v6
	v_xor_b32_e32 v8, s4, v8
	v_bitop3_b32 v3, v3, v5, exec_lo bitop3:0x80
	v_cmp_gt_i32_e32 vcc_lo, 0, v10
	v_ashrrev_i32_e32 v5, 31, v9
	v_cmp_gt_i32_e64 s2, 0, v11
	v_ashrrev_i32_e32 v9, 31, v53
	v_bitop3_b32 v3, v3, v8, v6 bitop3:0x80
	v_not_b32_e32 v6, v51
	v_not_b32_e32 v8, v4
	v_xor_b32_e32 v5, vcc_lo, v5
	v_xor_b32_e32 v9, s2, v9
	v_cmp_gt_i32_e32 vcc_lo, 0, v51
	v_ashrrev_i32_e32 v6, 31, v6
	v_cmp_gt_i32_e64 s2, 0, v4
	v_ashrrev_i32_e32 v4, 31, v8
	v_bitop3_b32 v3, v3, v9, v5 bitop3:0x80
	ds_load_b32 v51, v55 offset:64
	v_xor_b32_e32 v5, vcc_lo, v6
	v_xor_b32_e32 v4, s2, v4
	; wave barrier
	s_delay_alu instid0(VALU_DEP_1) | instskip(NEXT) | instid1(VALU_DEP_1)
	v_bitop3_b32 v3, v3, v4, v5 bitop3:0x80
	v_mbcnt_lo_u32_b32 v53, v3, 0
	v_cmp_ne_u32_e64 s2, 0, v3
	s_delay_alu instid0(VALU_DEP_2) | instskip(SKIP_1) | instid1(SALU_CYCLE_1)
	v_cmp_eq_u32_e32 vcc_lo, 0, v53
	s_and_b32 s3, s2, vcc_lo
	s_and_saveexec_b32 s2, s3
	s_cbranch_execz .LBB876_45
; %bb.44:
	s_wait_dscnt 0x0
	v_bcnt_u32_b32 v3, v3, v51
	ds_store_b32 v55, v3 offset:64
.LBB876_45:
	s_or_b32 exec_lo, exec_lo, s2
	v_lshrrev_b32_e32 v3, s20, v29
	; wave barrier
	s_delay_alu instid0(VALU_DEP_1) | instskip(NEXT) | instid1(VALU_DEP_1)
	v_and_b32_e32 v4, s6, v3
	v_lshlrev_b32_e32 v6, 30, v4
	v_bitop3_b32 v3, v3, 1, s6 bitop3:0x80
	s_delay_alu instid0(VALU_DEP_1) | instskip(NEXT) | instid1(VALU_DEP_1)
	v_add_co_u32 v3, s2, v3, -1
	v_cndmask_b32_e64 v5, 0, 1, s2
	s_delay_alu instid0(VALU_DEP_4) | instskip(NEXT) | instid1(VALU_DEP_2)
	v_cmp_gt_i32_e64 s2, 0, v6
	v_cmp_ne_u32_e32 vcc_lo, 0, v5
	v_not_b32_e32 v5, v6
	s_delay_alu instid0(VALU_DEP_1) | instskip(SKIP_3) | instid1(VALU_DEP_4)
	v_dual_ashrrev_i32 v5, 31, v5 :: v_dual_lshlrev_b32 v8, 29, v4
	v_dual_lshlrev_b32 v9, 28, v4 :: v_dual_lshlrev_b32 v10, 27, v4
	v_lshlrev_b32_e32 v11, 26, v4
	v_mad_u32 v57, 0x44, v4, v2
	v_cmp_gt_i32_e64 s3, 0, v8
	v_not_b32_e32 v6, v8
	v_not_b32_e32 v8, v9
	v_cmp_gt_i32_e64 s4, 0, v9
	v_xor_b32_e32 v3, vcc_lo, v3
	s_delay_alu instid0(VALU_DEP_4) | instskip(NEXT) | instid1(VALU_DEP_4)
	v_dual_ashrrev_i32 v6, 31, v6 :: v_dual_bitop2_b32 v5, s2, v5 bitop3:0x14
	v_ashrrev_i32_e32 v8, 31, v8
	v_dual_lshlrev_b32 v54, 25, v4 :: v_dual_lshlrev_b32 v4, 24, v4
	v_not_b32_e32 v9, v10
	v_not_b32_e32 v56, v11
	v_xor_b32_e32 v6, s3, v6
	v_xor_b32_e32 v8, s4, v8
	v_bitop3_b32 v3, v3, v5, exec_lo bitop3:0x80
	v_cmp_gt_i32_e32 vcc_lo, 0, v10
	v_ashrrev_i32_e32 v5, 31, v9
	v_cmp_gt_i32_e64 s2, 0, v11
	v_ashrrev_i32_e32 v9, 31, v56
	v_bitop3_b32 v3, v3, v8, v6 bitop3:0x80
	v_not_b32_e32 v6, v54
	v_not_b32_e32 v8, v4
	v_xor_b32_e32 v5, vcc_lo, v5
	v_xor_b32_e32 v9, s2, v9
	v_cmp_gt_i32_e32 vcc_lo, 0, v54
	v_ashrrev_i32_e32 v6, 31, v6
	v_cmp_gt_i32_e64 s2, 0, v4
	v_ashrrev_i32_e32 v4, 31, v8
	v_bitop3_b32 v3, v3, v9, v5 bitop3:0x80
	ds_load_b32 v54, v57 offset:64
	v_xor_b32_e32 v5, vcc_lo, v6
	v_xor_b32_e32 v4, s2, v4
	; wave barrier
	s_delay_alu instid0(VALU_DEP_1) | instskip(NEXT) | instid1(VALU_DEP_1)
	v_bitop3_b32 v3, v3, v4, v5 bitop3:0x80
	v_mbcnt_lo_u32_b32 v56, v3, 0
	v_cmp_ne_u32_e64 s2, 0, v3
	s_delay_alu instid0(VALU_DEP_2) | instskip(SKIP_1) | instid1(SALU_CYCLE_1)
	v_cmp_eq_u32_e32 vcc_lo, 0, v56
	s_and_b32 s3, s2, vcc_lo
	s_and_saveexec_b32 s2, s3
	s_cbranch_execz .LBB876_47
; %bb.46:
	s_wait_dscnt 0x0
	v_bcnt_u32_b32 v3, v3, v54
	ds_store_b32 v57, v3 offset:64
.LBB876_47:
	s_or_b32 exec_lo, exec_lo, s2
	v_lshrrev_b32_e32 v3, s20, v28
	; wave barrier
	s_delay_alu instid0(VALU_DEP_1) | instskip(SKIP_1) | instid1(VALU_DEP_2)
	v_and_b32_e32 v4, s6, v3
	v_bitop3_b32 v3, v3, 1, s6 bitop3:0x80
	v_mad_u32 v60, 0x44, v4, v2
	s_delay_alu instid0(VALU_DEP_2) | instskip(NEXT) | instid1(VALU_DEP_1)
	v_add_co_u32 v2, s2, v3, -1
	v_cndmask_b32_e64 v3, 0, 1, s2
	v_lshlrev_b32_e32 v5, 30, v4
	s_delay_alu instid0(VALU_DEP_2) | instskip(NEXT) | instid1(VALU_DEP_2)
	v_cmp_ne_u32_e32 vcc_lo, 0, v3
	v_not_b32_e32 v3, v5
	s_delay_alu instid0(VALU_DEP_1) | instskip(SKIP_4) | instid1(VALU_DEP_4)
	v_dual_ashrrev_i32 v3, 31, v3 :: v_dual_bitop2_b32 v2, vcc_lo, v2 bitop3:0x14
	v_dual_lshlrev_b32 v6, 29, v4 :: v_dual_lshlrev_b32 v8, 28, v4
	v_lshlrev_b32_e32 v9, 27, v4
	v_cmp_gt_i32_e64 s2, 0, v5
	v_dual_lshlrev_b32 v10, 26, v4 :: v_dual_lshlrev_b32 v11, 25, v4
	v_cmp_gt_i32_e64 s3, 0, v6
	v_not_b32_e32 v5, v6
	v_not_b32_e32 v6, v8
	v_lshlrev_b32_e32 v4, 24, v4
	v_cmp_gt_i32_e64 s4, 0, v8
	s_delay_alu instid0(VALU_DEP_4) | instskip(NEXT) | instid1(VALU_DEP_4)
	v_dual_ashrrev_i32 v5, 31, v5 :: v_dual_bitop2_b32 v3, s2, v3 bitop3:0x14
	v_ashrrev_i32_e32 v6, 31, v6
	v_not_b32_e32 v8, v9
	v_not_b32_e32 v58, v10
	s_delay_alu instid0(VALU_DEP_4)
	v_bitop3_b32 v2, v2, v3, exec_lo bitop3:0x80
	v_xor_b32_e32 v5, s3, v5
	v_xor_b32_e32 v6, s4, v6
	v_cmp_gt_i32_e32 vcc_lo, 0, v9
	v_ashrrev_i32_e32 v3, 31, v8
	v_cmp_gt_i32_e64 s2, 0, v10
	v_ashrrev_i32_e32 v8, 31, v58
	v_bitop3_b32 v2, v2, v6, v5 bitop3:0x80
	v_not_b32_e32 v5, v11
	v_not_b32_e32 v6, v4
	v_xor_b32_e32 v3, vcc_lo, v3
	v_xor_b32_e32 v8, s2, v8
	v_cmp_gt_i32_e32 vcc_lo, 0, v11
	v_ashrrev_i32_e32 v5, 31, v5
	v_cmp_gt_i32_e64 s2, 0, v4
	v_ashrrev_i32_e32 v4, 31, v6
	v_bitop3_b32 v2, v2, v8, v3 bitop3:0x80
	ds_load_b32 v58, v60 offset:64
	v_xor_b32_e32 v3, vcc_lo, v5
	v_xor_b32_e32 v4, s2, v4
	; wave barrier
	s_delay_alu instid0(VALU_DEP_1) | instskip(NEXT) | instid1(VALU_DEP_1)
	v_bitop3_b32 v2, v2, v4, v3 bitop3:0x80
	v_mbcnt_lo_u32_b32 v59, v2, 0
	v_cmp_ne_u32_e64 s2, 0, v2
	s_delay_alu instid0(VALU_DEP_2) | instskip(SKIP_1) | instid1(SALU_CYCLE_1)
	v_cmp_eq_u32_e32 vcc_lo, 0, v59
	s_and_b32 s3, s2, vcc_lo
	s_and_saveexec_b32 s2, s3
	s_cbranch_execz .LBB876_49
; %bb.48:
	s_wait_dscnt 0x0
	v_bcnt_u32_b32 v2, v2, v58
	ds_store_b32 v60, v2 offset:64
.LBB876_49:
	s_or_b32 exec_lo, exec_lo, s2
	; wave barrier
	s_wait_dscnt 0x0
	s_barrier_signal -1
	s_barrier_wait -1
	ds_load_2addr_b32 v[10:11], v12 offset0:16 offset1:17
	ds_load_2addr_b32 v[8:9], v12 offset0:18 offset1:19
	;; [unrolled: 1-line block ×4, first 2 shown]
	ds_load_b32 v6, v12 offset:96
	v_min_u32_e32 v63, 0x1e0, v17
	s_mov_b32 s7, exec_lo
	s_wait_dscnt 0x3
	v_add3_u32 v61, v11, v10, v8
	s_wait_dscnt 0x2
	s_delay_alu instid0(VALU_DEP_1) | instskip(SKIP_1) | instid1(VALU_DEP_1)
	v_add3_u32 v61, v61, v9, v4
	s_wait_dscnt 0x1
	v_add3_u32 v61, v61, v5, v2
	s_wait_dscnt 0x0
	s_delay_alu instid0(VALU_DEP_1) | instskip(SKIP_1) | instid1(VALU_DEP_2)
	v_add3_u32 v6, v61, v3, v6
	v_and_b32_e32 v61, 15, v16
	v_mov_b32_dpp v62, v6 row_shr:1 row_mask:0xf bank_mask:0xf
	s_delay_alu instid0(VALU_DEP_2) | instskip(NEXT) | instid1(VALU_DEP_2)
	v_cmp_eq_u32_e32 vcc_lo, 0, v61
	v_cndmask_b32_e64 v62, v62, 0, vcc_lo
	s_delay_alu instid0(VALU_DEP_1) | instskip(SKIP_3) | instid1(VALU_DEP_4)
	v_add_nc_u32_e32 v6, v62, v6
	v_cmp_lt_u32_e64 s2, 1, v61
	v_cmp_lt_u32_e64 s3, 3, v61
	;; [unrolled: 1-line block ×3, first 2 shown]
	v_mov_b32_dpp v62, v6 row_shr:2 row_mask:0xf bank_mask:0xf
	s_delay_alu instid0(VALU_DEP_1) | instskip(NEXT) | instid1(VALU_DEP_1)
	v_cndmask_b32_e64 v62, 0, v62, s2
	v_add_nc_u32_e32 v6, v6, v62
	s_delay_alu instid0(VALU_DEP_1) | instskip(NEXT) | instid1(VALU_DEP_1)
	v_mov_b32_dpp v62, v6 row_shr:4 row_mask:0xf bank_mask:0xf
	v_cndmask_b32_e64 v62, 0, v62, s3
	s_delay_alu instid0(VALU_DEP_1) | instskip(NEXT) | instid1(VALU_DEP_1)
	v_add_nc_u32_e32 v6, v6, v62
	v_mov_b32_dpp v62, v6 row_shr:8 row_mask:0xf bank_mask:0xf
	s_delay_alu instid0(VALU_DEP_1) | instskip(SKIP_1) | instid1(VALU_DEP_2)
	v_cndmask_b32_e64 v61, 0, v62, s4
	v_bfe_i32 v62, v16, 4, 1
	v_add_nc_u32_e32 v6, v6, v61
	ds_swizzle_b32 v61, v6 offset:swizzle(BROADCAST,32,15)
	s_wait_dscnt 0x0
	v_dual_lshrrev_b32 v62, 5, v27 :: v_dual_bitop2_b32 v61, v62, v61 bitop3:0x40
	s_delay_alu instid0(VALU_DEP_1) | instskip(NEXT) | instid1(VALU_DEP_1)
	v_dual_add_nc_u32 v61, v6, v61 :: v_dual_bitop2_b32 v63, 31, v63 bitop3:0x54
	v_cmpx_eq_u32_e64 v27, v63
; %bb.50:
	s_delay_alu instid0(VALU_DEP_3)
	v_lshlrev_b32_e32 v6, 2, v62
	ds_store_b32 v6, v61
; %bb.51:
	s_or_b32 exec_lo, exec_lo, s7
	v_lshlrev_b32_e32 v6, 2, v27
	s_mov_b32 s7, exec_lo
	s_wait_dscnt 0x0
	s_barrier_signal -1
	s_barrier_wait -1
	v_cmpx_gt_u32_e32 16, v27
	s_cbranch_execz .LBB876_53
; %bb.52:
	ds_load_b32 v63, v6
	s_wait_dscnt 0x0
	v_mov_b32_dpp v64, v63 row_shr:1 row_mask:0xf bank_mask:0xf
	s_delay_alu instid0(VALU_DEP_1) | instskip(NEXT) | instid1(VALU_DEP_1)
	v_cndmask_b32_e64 v64, v64, 0, vcc_lo
	v_add_nc_u32_e32 v63, v64, v63
	s_delay_alu instid0(VALU_DEP_1) | instskip(NEXT) | instid1(VALU_DEP_1)
	v_mov_b32_dpp v64, v63 row_shr:2 row_mask:0xf bank_mask:0xf
	v_cndmask_b32_e64 v64, 0, v64, s2
	s_delay_alu instid0(VALU_DEP_1) | instskip(NEXT) | instid1(VALU_DEP_1)
	v_add_nc_u32_e32 v63, v63, v64
	v_mov_b32_dpp v64, v63 row_shr:4 row_mask:0xf bank_mask:0xf
	s_delay_alu instid0(VALU_DEP_1) | instskip(NEXT) | instid1(VALU_DEP_1)
	v_cndmask_b32_e64 v64, 0, v64, s3
	v_add_nc_u32_e32 v63, v63, v64
	s_delay_alu instid0(VALU_DEP_1) | instskip(NEXT) | instid1(VALU_DEP_1)
	v_mov_b32_dpp v64, v63 row_shr:8 row_mask:0xf bank_mask:0xf
	v_cndmask_b32_e64 v64, 0, v64, s4
	s_delay_alu instid0(VALU_DEP_1)
	v_add_nc_u32_e32 v63, v63, v64
	ds_store_b32 v6, v63
.LBB876_53:
	s_or_b32 exec_lo, exec_lo, s7
	v_mov_b32_e32 v63, 0
	s_mov_b32 s2, exec_lo
	s_wait_dscnt 0x0
	s_barrier_signal -1
	s_barrier_wait -1
	v_cmpx_lt_u32_e32 31, v27
; %bb.54:
	v_lshl_add_u32 v62, v62, 2, -4
	ds_load_b32 v63, v62
; %bb.55:
	s_or_b32 exec_lo, exec_lo, s2
	v_sub_co_u32 v62, vcc_lo, v16, 1
	s_wait_dscnt 0x0
	v_add_nc_u32_e32 v61, v63, v61
	s_delay_alu instid0(VALU_DEP_2) | instskip(NEXT) | instid1(VALU_DEP_1)
	v_cmp_gt_i32_e64 s2, 0, v62
	v_cndmask_b32_e64 v62, v62, v16, s2
	v_cmp_lt_u32_e64 s2, 0xff, v27
	s_delay_alu instid0(VALU_DEP_2) | instskip(SKIP_4) | instid1(VALU_DEP_2)
	v_lshlrev_b32_e32 v62, 2, v62
	ds_bpermute_b32 v61, v62, v61
	s_wait_dscnt 0x0
	v_cndmask_b32_e32 v61, v61, v63, vcc_lo
	v_cmp_ne_u32_e32 vcc_lo, 0, v27
	v_cndmask_b32_e32 v61, 0, v61, vcc_lo
	v_cmp_gt_u32_e32 vcc_lo, 0x100, v27
	s_delay_alu instid0(VALU_DEP_2) | instskip(NEXT) | instid1(VALU_DEP_1)
	v_add_nc_u32_e32 v10, v61, v10
	v_add_nc_u32_e32 v11, v10, v11
	s_delay_alu instid0(VALU_DEP_1) | instskip(NEXT) | instid1(VALU_DEP_1)
	v_add_nc_u32_e32 v8, v11, v8
	v_add_nc_u32_e32 v9, v8, v9
	s_delay_alu instid0(VALU_DEP_1) | instskip(NEXT) | instid1(VALU_DEP_1)
	v_add_nc_u32_e32 v4, v9, v4
	v_add_nc_u32_e32 v5, v4, v5
	s_delay_alu instid0(VALU_DEP_1) | instskip(NEXT) | instid1(VALU_DEP_1)
	v_add_nc_u32_e32 v2, v5, v2
	v_add_nc_u32_e32 v3, v2, v3
	ds_store_2addr_b32 v12, v61, v10 offset0:16 offset1:17
	ds_store_2addr_b32 v12, v11, v8 offset0:18 offset1:19
	;; [unrolled: 1-line block ×4, first 2 shown]
	ds_store_b32 v12, v3 offset:96
	s_wait_dscnt 0x0
	s_barrier_signal -1
	s_barrier_wait -1
	ds_load_b32 v63, v13 offset:64
	ds_load_b32 v61, v14 offset:64
	;; [unrolled: 1-line block ×12, first 2 shown]
	v_mov_b64_e32 v[2:3], 0
                                        ; implicit-def: $vgpr4
	s_and_saveexec_b32 s4, vcc_lo
	s_cbranch_execz .LBB876_59
; %bb.56:
	v_mul_u32_u24_e32 v2, 0x44, v27
	v_dual_mov_b32 v3, 0x1800 :: v_dual_add_nc_u32 v4, 1, v27
	s_mov_b32 s5, exec_lo
	ds_load_b32 v2, v2 offset:64
	v_cmpx_ne_u32_e32 0x100, v4
; %bb.57:
	v_mul_u32_u24_e32 v3, 0x44, v4
	ds_load_b32 v3, v3 offset:64
; %bb.58:
	s_or_b32 exec_lo, exec_lo, s5
	s_wait_dscnt 0x0
	v_dual_mov_b32 v3, 0 :: v_dual_sub_nc_u32 v4, v3, v2
.LBB876_59:
	s_or_b32 exec_lo, exec_lo, s4
	v_dual_mov_b32 v9, 0 :: v_dual_lshlrev_b32 v5, 3, v27
	s_wait_dscnt 0x0
	s_barrier_signal -1
	s_barrier_wait -1
	s_and_saveexec_b32 s3, vcc_lo
	s_cbranch_execz .LBB876_69
; %bb.60:
	v_lshl_add_u32 v8, s9, 8, v27
	v_dual_mov_b32 v12, 0 :: v_dual_bitop2_b32 v13, 2.0, v4 bitop3:0x54
	s_mov_b32 s4, 0
	s_mov_b32 s5, s9
	s_delay_alu instid0(VALU_DEP_2)
	v_lshl_add_u64 v[10:11], v[8:9], 2, s[10:11]
	global_store_b32 v8, v13, s[10:11] scale_offset scope:SCOPE_DEV
                                        ; implicit-def: $sgpr7
	s_branch .LBB876_63
.LBB876_61:                             ;   in Loop: Header=BB876_63 Depth=1
	s_or_b32 exec_lo, exec_lo, s8
.LBB876_62:                             ;   in Loop: Header=BB876_63 Depth=1
	s_delay_alu instid0(SALU_CYCLE_1) | instskip(SKIP_2) | instid1(VALU_DEP_2)
	s_or_b32 exec_lo, exec_lo, s7
	v_and_b32_e32 v8, 0x3fffffff, v13
	v_cmp_gt_i32_e64 s7, -2.0, v13
	v_add_nc_u32_e32 v12, v8, v12
	s_and_b32 s8, exec_lo, s7
	s_delay_alu instid0(SALU_CYCLE_1) | instskip(NEXT) | instid1(SALU_CYCLE_1)
	s_or_b32 s4, s8, s4
	s_and_not1_b32 exec_lo, exec_lo, s4
	s_cbranch_execz .LBB876_68
.LBB876_63:                             ; =>This Loop Header: Depth=1
                                        ;     Child Loop BB876_66 Depth 2
	s_or_b32 s7, s7, exec_lo
	s_cmp_eq_u32 s5, 0
	s_cbranch_scc1 .LBB876_67
; %bb.64:                               ;   in Loop: Header=BB876_63 Depth=1
	s_add_co_i32 s5, s5, -1
	s_mov_b32 s7, exec_lo
	s_wait_xcnt 0x0
	v_lshl_or_b32 v8, s5, 8, v27
	global_load_b32 v13, v8, s[10:11] scale_offset scope:SCOPE_DEV
	s_wait_loadcnt 0x0
	v_cmpx_gt_u32_e32 2.0, v13
	s_cbranch_execz .LBB876_62
; %bb.65:                               ;   in Loop: Header=BB876_63 Depth=1
	v_lshl_add_u64 v[14:15], v[8:9], 2, s[10:11]
	s_mov_b32 s8, 0
.LBB876_66:                             ;   Parent Loop BB876_63 Depth=1
                                        ; =>  This Inner Loop Header: Depth=2
	global_load_b32 v13, v[14:15], off scope:SCOPE_DEV
	s_wait_loadcnt 0x0
	v_cmp_lt_u32_e32 vcc_lo, 0x3fffffff, v13
	s_or_b32 s8, vcc_lo, s8
	s_wait_xcnt 0x0
	s_and_not1_b32 exec_lo, exec_lo, s8
	s_cbranch_execnz .LBB876_66
	s_branch .LBB876_61
.LBB876_67:                             ;   in Loop: Header=BB876_63 Depth=1
                                        ; implicit-def: $sgpr5
	s_and_b32 s8, exec_lo, s7
	s_delay_alu instid0(SALU_CYCLE_1)
	s_or_b32 s4, s8, s4
	s_wait_xcnt 0x0
	s_and_not1_b32 exec_lo, exec_lo, s4
	s_cbranch_execnz .LBB876_63
.LBB876_68:
	s_or_b32 exec_lo, exec_lo, s4
	v_dual_mov_b32 v13, 0 :: v_dual_add_nc_u32 v8, v12, v4
	s_delay_alu instid0(VALU_DEP_1) | instskip(SKIP_4) | instid1(VALU_DEP_1)
	v_or_b32_e32 v8, 0x80000000, v8
	global_store_b32 v[10:11], v8, off scope:SCOPE_DEV
	global_load_b64 v[8:9], v27, s[12:13] scale_offset
	v_sub_nc_u64_e32 v[10:11], v[12:13], v[2:3]
	s_wait_loadcnt 0x0
	v_add_nc_u64_e32 v[8:9], v[10:11], v[8:9]
	ds_store_b64 v5, v[8:9]
.LBB876_69:
	s_wait_xcnt 0x0
	s_or_b32 exec_lo, exec_lo, s3
	v_dual_add_nc_u32 v8, v63, v7 :: v_dual_sub_nc_u32 v63, 0, v6
	v_mov_b32_e32 v7, 0
	v_add3_u32 v32, v33, v62, v32
	v_add3_u32 v9, v59, v60, v58
	;; [unrolled: 1-line block ×3, first 2 shown]
	v_add_nc_u32_e32 v33, v5, v63
	v_add_nc_u64_e32 v[6:7], s[18:19], v[6:7]
	v_add3_u32 v11, v53, v55, v51
	v_add3_u32 v12, v49, v52, v48
	v_add3_u32 v13, v46, v50, v45
	v_add3_u32 v14, v43, v47, v42
	v_add3_u32 v15, v40, v44, v39
	v_add3_u32 v36, v37, v41, v36
	v_add_nc_u64_e32 v[6:7], 0x3800, v[6:7]
	v_add3_u32 v34, v35, v38, v34
	v_add3_u32 v30, v31, v61, v30
	v_add_nc_u32_e32 v31, 0xe00, v27
	s_mov_b32 s3, 0
	s_mov_b32 s4, -1
	s_branch .LBB876_71
.LBB876_70:                             ;   in Loop: Header=BB876_71 Depth=1
	s_wait_xcnt 0x0
	s_or_b32 exec_lo, exec_lo, s5
	v_add_nc_u64_e32 v[6:7], 0x4000, v[6:7]
	v_add_nc_u32_e32 v31, 0x1000, v31
	s_xor_b32 s4, s4, -1
	s_addk_co_i32 s3, 0xf000
	s_and_b32 vcc_lo, exec_lo, s4
	s_mov_b32 s4, 0
	s_wait_storecnt 0x0
	s_barrier_signal -1
	s_barrier_wait -1
	s_cbranch_vccnz .LBB876_87
.LBB876_71:                             ; =>This Inner Loop Header: Depth=1
	v_add_min_u32_e64 v35, v8, s3, 0x1000
	v_add_min_u32_e64 v37, v30, s3, 0x1000
	;; [unrolled: 1-line block ×5, first 2 shown]
	s_delay_alu instid0(VALU_DEP_4) | instskip(NEXT) | instid1(VALU_DEP_4)
	v_dual_lshlrev_b32 v35, 2, v35 :: v_dual_lshlrev_b32 v37, 2, v37
	v_lshlrev_b32_e32 v38, 2, v38
	v_add_min_u32_e64 v41, v15, s3, 0x1000
	s_mov_b32 s5, exec_lo
	ds_store_b32 v35, v18 offset:2048
	ds_store_b32 v37, v1 offset:2048
	v_add_min_u32_e64 v35, v14, s3, 0x1000
	v_lshlrev_b32_e32 v37, 2, v39
	ds_store_b32 v38, v20 offset:2048
	v_dual_lshlrev_b32 v38, 2, v40 :: v_dual_lshlrev_b32 v39, 2, v41
	v_add_min_u32_e64 v40, v13, s3, 0x1000
	v_lshlrev_b32_e32 v35, 2, v35
	ds_store_b32 v37, v19 offset:2048
	ds_store_b32 v38, v22 offset:2048
	;; [unrolled: 1-line block ×4, first 2 shown]
	v_add_min_u32_e64 v37, v12, s3, 0x1000
	v_add_min_u32_e64 v38, v11, s3, 0x1000
	;; [unrolled: 1-line block ×3, first 2 shown]
	v_lshlrev_b32_e32 v35, 2, v40
	v_add_min_u32_e64 v40, v9, s3, 0x1000
	ds_store_b32 v35, v23 offset:2048
	v_dual_lshlrev_b32 v35, 2, v37 :: v_dual_lshlrev_b32 v37, 2, v38
	v_dual_lshlrev_b32 v38, 2, v39 :: v_dual_lshlrev_b32 v39, 2, v40
	v_add_nc_u32_e32 v40, 0xfffff200, v31
	ds_store_b32 v35, v26 offset:2048
	ds_store_b32 v37, v25 offset:2048
	;; [unrolled: 1-line block ×4, first 2 shown]
	s_wait_storecnt_dscnt 0x0
	s_barrier_signal -1
	s_barrier_wait -1
	v_cmpx_gt_u32_e64 s22, v40
	s_cbranch_execz .LBB876_73
; %bb.72:                               ;   in Loop: Header=BB876_71 Depth=1
	ds_load_b32 v35, v33 offset:2048
	s_wait_dscnt 0x0
	v_lshrrev_b32_e32 v37, s20, v35
	v_xor_b32_e32 v35, 0x7fffffff, v35
	s_delay_alu instid0(VALU_DEP_2) | instskip(NEXT) | instid1(VALU_DEP_1)
	v_and_b32_e32 v37, s6, v37
	v_lshlrev_b32_e32 v37, 3, v37
	ds_load_b64 v[38:39], v37
	s_wait_dscnt 0x0
	v_lshl_add_u64 v[38:39], v[38:39], 2, v[6:7]
	global_store_b32 v[38:39], v35, off offset:-14336
.LBB876_73:                             ;   in Loop: Header=BB876_71 Depth=1
	s_wait_xcnt 0x0
	s_or_b32 exec_lo, exec_lo, s5
	v_add_nc_u32_e32 v35, 0xfffff400, v31
	s_mov_b32 s5, exec_lo
	s_delay_alu instid0(VALU_DEP_1)
	v_cmpx_gt_u32_e64 s22, v35
	s_cbranch_execz .LBB876_75
; %bb.74:                               ;   in Loop: Header=BB876_71 Depth=1
	ds_load_b32 v35, v33 offset:4096
	s_wait_dscnt 0x0
	v_lshrrev_b32_e32 v37, s20, v35
	v_xor_b32_e32 v35, 0x7fffffff, v35
	s_delay_alu instid0(VALU_DEP_2) | instskip(NEXT) | instid1(VALU_DEP_1)
	v_and_b32_e32 v37, s6, v37
	v_lshlrev_b32_e32 v37, 3, v37
	ds_load_b64 v[38:39], v37
	s_wait_dscnt 0x0
	v_lshl_add_u64 v[38:39], v[38:39], 2, v[6:7]
	global_store_b32 v[38:39], v35, off offset:-12288
.LBB876_75:                             ;   in Loop: Header=BB876_71 Depth=1
	s_wait_xcnt 0x0
	s_or_b32 exec_lo, exec_lo, s5
	v_add_nc_u32_e32 v35, 0xfffff600, v31
	s_mov_b32 s5, exec_lo
	s_delay_alu instid0(VALU_DEP_1)
	;; [unrolled: 20-line block ×6, first 2 shown]
	v_cmpx_gt_u32_e64 s22, v35
	s_cbranch_execz .LBB876_85
; %bb.84:                               ;   in Loop: Header=BB876_71 Depth=1
	ds_load_b32 v35, v33 offset:14336
	s_wait_dscnt 0x0
	v_lshrrev_b32_e32 v37, s20, v35
	v_xor_b32_e32 v35, 0x7fffffff, v35
	s_delay_alu instid0(VALU_DEP_2) | instskip(NEXT) | instid1(VALU_DEP_1)
	v_and_b32_e32 v37, s6, v37
	v_lshlrev_b32_e32 v37, 3, v37
	ds_load_b64 v[38:39], v37
	s_wait_dscnt 0x0
	v_lshl_add_u64 v[38:39], v[38:39], 2, v[6:7]
	global_store_b32 v[38:39], v35, off offset:-2048
.LBB876_85:                             ;   in Loop: Header=BB876_71 Depth=1
	s_wait_xcnt 0x0
	s_or_b32 exec_lo, exec_lo, s5
	s_delay_alu instid0(SALU_CYCLE_1)
	s_mov_b32 s5, exec_lo
	v_cmpx_gt_u32_e64 s22, v31
	s_cbranch_execz .LBB876_70
; %bb.86:                               ;   in Loop: Header=BB876_71 Depth=1
	ds_load_b32 v35, v33 offset:16384
	s_wait_dscnt 0x0
	v_lshrrev_b32_e32 v37, s20, v35
	v_xor_b32_e32 v35, 0x7fffffff, v35
	s_delay_alu instid0(VALU_DEP_2) | instskip(NEXT) | instid1(VALU_DEP_1)
	v_and_b32_e32 v37, s6, v37
	v_lshlrev_b32_e32 v37, 3, v37
	ds_load_b64 v[38:39], v37
	s_wait_dscnt 0x0
	v_lshl_add_u64 v[38:39], v[38:39], 2, v[6:7]
	global_store_b32 v[38:39], v35, off
	s_branch .LBB876_70
.LBB876_87:
	s_add_co_i32 s23, s23, -1
	s_delay_alu instid0(SALU_CYCLE_1) | instskip(SKIP_2) | instid1(SALU_CYCLE_1)
	s_cmp_eq_u32 s9, s23
	s_cselect_b32 s3, -1, 0
	s_xor_b32 s2, s2, -1
	s_and_b32 s3, s2, s3
	s_delay_alu instid0(SALU_CYCLE_1)
	s_and_saveexec_b32 s2, s3
	s_cbranch_execz .LBB876_89
; %bb.88:
	ds_load_b64 v[6:7], v5
	v_mov_b32_e32 v5, 0
	s_delay_alu instid0(VALU_DEP_1) | instskip(SKIP_1) | instid1(VALU_DEP_1)
	v_add_nc_u64_e32 v[2:3], v[2:3], v[4:5]
	s_wait_dscnt 0x0
	v_add_nc_u64_e32 v[2:3], v[2:3], v[6:7]
	global_store_b64 v27, v[2:3], s[14:15] scale_offset
.LBB876_89:
	s_wait_xcnt 0x0
	s_or_b32 exec_lo, exec_lo, s2
	s_mov_b32 s2, 0
.LBB876_90:
	s_delay_alu instid0(SALU_CYCLE_1)
	s_and_b32 vcc_lo, exec_lo, s2
	s_cbranch_vccz .LBB876_149
; %bb.91:
	s_mov_b32 s25, 0
	v_dual_mov_b32 v11, 0 :: v_dual_lshlrev_b32 v10, 2, v16
	s_lshl_b64 s[2:3], s[24:25], 2
	v_mul_u32_u24_e32 v1, 12, v17
	s_add_nc_u64 s[2:3], s[16:17], s[2:3]
	s_delay_alu instid0(VALU_DEP_2) | instid1(SALU_CYCLE_1)
	v_add_nc_u64_e32 v[2:3], s[2:3], v[10:11]
	s_delay_alu instid0(VALU_DEP_2) | instskip(NEXT) | instid1(VALU_DEP_1)
	v_lshlrev_b32_e32 v10, 2, v1
	v_add_nc_u64_e32 v[14:15], v[2:3], v[10:11]
	v_bfe_u32 v10, v0, 20, 10
	s_clause 0xb
	global_load_b32 v5, v[14:15], off
	global_load_b32 v12, v[14:15], off offset:128
	global_load_b32 v13, v[14:15], off offset:256
	;; [unrolled: 1-line block ×11, first 2 shown]
	s_clause 0x1
	s_load_b32 s7, s[0:1], 0x58
	s_load_u16 s2, s[0:1], 0x66
	v_and_b32_e32 v14, 0x3ff, v0
	s_wait_kmcnt 0x0
	s_cmp_lt_u32 s9, s7
	s_cselect_b32 s24, 12, 18
	s_lshl_b32 s8, -1, s21
	s_add_nc_u64 s[0:1], s[26:27], s[24:25]
	s_load_u16 s0, s[0:1], 0x0
	s_wait_loadcnt 0xb
	v_xor_b32_e32 v15, 0x7fffffff, v5
	v_bfe_u32 v5, v0, 10, 10
	s_delay_alu instid0(VALU_DEP_2) | instskip(NEXT) | instid1(VALU_DEP_2)
	v_lshrrev_b32_e32 v18, s20, v15
	v_mad_u32_u24 v0, v10, s2, v5
	s_delay_alu instid0(VALU_DEP_2) | instskip(SKIP_2) | instid1(VALU_DEP_3)
	v_bitop3_b32 v5, v18, 1, s8 bitop3:0x40
	v_bitop3_b32 v19, v18, s8, v18 bitop3:0x30
	s_wait_kmcnt 0x0
	v_mad_u32 v0, v0, s0, v14
	s_delay_alu instid0(VALU_DEP_3) | instskip(NEXT) | instid1(VALU_DEP_1)
	v_add_co_u32 v5, s0, v5, -1
	v_cndmask_b32_e64 v10, 0, 1, s0
	v_dual_lshlrev_b32 v18, 30, v19 :: v_dual_lshlrev_b32 v21, 29, v19
	v_dual_lshlrev_b32 v22, 28, v19 :: v_dual_lshlrev_b32 v23, 27, v19
	s_delay_alu instid0(VALU_DEP_3) | instskip(NEXT) | instid1(VALU_DEP_3)
	v_cmp_ne_u32_e32 vcc_lo, 0, v10
	v_not_b32_e32 v10, v18
	v_dual_lshlrev_b32 v24, 26, v19 :: v_dual_lshlrev_b32 v25, 25, v19
	v_lshlrev_b32_e32 v26, 24, v19
	v_cmp_gt_i32_e64 s0, 0, v18
	v_cmp_gt_i32_e64 s1, 0, v21
	v_not_b32_e32 v18, v21
	v_not_b32_e32 v21, v22
	v_ashrrev_i32_e32 v10, 31, v10
	v_cmp_gt_i32_e64 s2, 0, v22
	v_cmp_gt_i32_e64 s3, 0, v23
	v_not_b32_e32 v22, v23
	v_not_b32_e32 v23, v24
	v_dual_ashrrev_i32 v18, 31, v18 :: v_dual_bitop2_b32 v5, vcc_lo, v5 bitop3:0x14
	v_dual_ashrrev_i32 v21, 31, v21 :: v_dual_bitop2_b32 v10, s0, v10 bitop3:0x14
	v_cmp_gt_i32_e64 s4, 0, v24
	v_cmp_gt_i32_e64 s5, 0, v25
	v_not_b32_e32 v24, v25
	v_not_b32_e32 v25, v26
	v_dual_ashrrev_i32 v22, 31, v22 :: v_dual_ashrrev_i32 v23, 31, v23
	v_xor_b32_e32 v18, s1, v18
	v_dual_lshrrev_b32 v0, 5, v0 :: v_dual_bitop2_b32 v21, s2, v21 bitop3:0x14
	v_bitop3_b32 v5, v5, v10, exec_lo bitop3:0x80
	v_cmp_gt_i32_e64 s6, 0, v26
	v_dual_ashrrev_i32 v10, 31, v24 :: v_dual_ashrrev_i32 v24, 31, v25
	v_xor_b32_e32 v22, s3, v22
	v_dual_lshlrev_b32 v0, 2, v0 :: v_dual_bitop2_b32 v23, s4, v23 bitop3:0x14
	v_bitop3_b32 v5, v5, v21, v18 bitop3:0x80
	s_delay_alu instid0(VALU_DEP_4)
	v_xor_b32_e32 v18, s5, v10
	v_xor_b32_e32 v21, s6, v24
	v_mul_u32_u24_e32 v10, 36, v14
	ds_store_2addr_b32 v10, v11, v11 offset0:16 offset1:17
	ds_store_2addr_b32 v10, v11, v11 offset0:18 offset1:19
	;; [unrolled: 1-line block ×4, first 2 shown]
	v_bitop3_b32 v5, v5, v23, v22 bitop3:0x80
	ds_store_b32 v10, v11 offset:96
	v_mad_u32 v11, 0x44, v19, v0
	s_not_b32 s5, s8
	s_wait_storecnt 0x0
	s_wait_loadcnt_dscnt 0x0
	v_bitop3_b32 v18, v5, v21, v18 bitop3:0x80
	s_barrier_signal -1
	s_barrier_wait -1
	s_delay_alu instid0(VALU_DEP_1) | instskip(SKIP_1) | instid1(VALU_DEP_2)
	v_mbcnt_lo_u32_b32 v5, v18, 0
	v_cmp_ne_u32_e64 s0, 0, v18
	; wave barrier
	v_cmp_eq_u32_e32 vcc_lo, 0, v5
	s_and_b32 s1, s0, vcc_lo
	s_delay_alu instid0(SALU_CYCLE_1)
	s_and_saveexec_b32 s0, s1
; %bb.92:
	v_bcnt_u32_b32 v18, v18, 0
	ds_store_b32 v11, v18 offset:64
; %bb.93:
	s_or_b32 exec_lo, exec_lo, s0
	v_xor_b32_e32 v18, 0x7fffffff, v12
	; wave barrier
	s_delay_alu instid0(VALU_DEP_1) | instskip(NEXT) | instid1(VALU_DEP_1)
	v_lshrrev_b32_e32 v12, s20, v18
	v_and_b32_e32 v19, s5, v12
	s_delay_alu instid0(VALU_DEP_1) | instskip(SKIP_1) | instid1(VALU_DEP_1)
	v_lshlrev_b32_e32 v23, 30, v19
	v_bitop3_b32 v21, v12, 1, s5 bitop3:0x80
	v_add_co_u32 v21, s0, v21, -1
	s_delay_alu instid0(VALU_DEP_1) | instskip(NEXT) | instid1(VALU_DEP_4)
	v_cndmask_b32_e64 v22, 0, 1, s0
	v_cmp_gt_i32_e64 s0, 0, v23
	s_delay_alu instid0(VALU_DEP_2) | instskip(SKIP_1) | instid1(VALU_DEP_1)
	v_cmp_ne_u32_e32 vcc_lo, 0, v22
	v_not_b32_e32 v22, v23
	v_dual_ashrrev_i32 v22, 31, v22 :: v_dual_lshlrev_b32 v24, 29, v19
	v_dual_lshlrev_b32 v25, 28, v19 :: v_dual_lshlrev_b32 v26, 27, v19
	v_lshlrev_b32_e32 v27, 26, v19
	v_mad_u32 v12, 0x44, v19, v0
	s_delay_alu instid0(VALU_DEP_4)
	v_cmp_gt_i32_e64 s1, 0, v24
	v_not_b32_e32 v23, v24
	v_not_b32_e32 v24, v25
	v_dual_lshlrev_b32 v28, 25, v19 :: v_dual_lshlrev_b32 v19, 24, v19
	v_cmp_gt_i32_e64 s2, 0, v25
	v_cmp_gt_i32_e64 s3, 0, v26
	v_not_b32_e32 v25, v26
	v_not_b32_e32 v26, v27
	v_dual_ashrrev_i32 v23, 31, v23 :: v_dual_bitop2_b32 v21, vcc_lo, v21 bitop3:0x14
	v_dual_ashrrev_i32 v24, 31, v24 :: v_dual_bitop2_b32 v22, s0, v22 bitop3:0x14
	v_cmp_gt_i32_e64 s4, 0, v27
	s_delay_alu instid0(VALU_DEP_4) | instskip(SKIP_1) | instid1(VALU_DEP_4)
	v_dual_ashrrev_i32 v25, 31, v25 :: v_dual_ashrrev_i32 v26, 31, v26
	v_not_b32_e32 v27, v19
	v_xor_b32_e32 v24, s2, v24
	v_bitop3_b32 v21, v21, v22, exec_lo bitop3:0x80
	v_not_b32_e32 v22, v28
	v_xor_b32_e32 v23, s1, v23
	v_xor_b32_e32 v25, s3, v25
	;; [unrolled: 1-line block ×3, first 2 shown]
	v_cmp_gt_i32_e32 vcc_lo, 0, v28
	v_ashrrev_i32_e32 v22, 31, v22
	v_cmp_gt_i32_e64 s0, 0, v19
	v_ashrrev_i32_e32 v19, 31, v27
	v_bitop3_b32 v21, v21, v24, v23 bitop3:0x80
	s_delay_alu instid0(VALU_DEP_4) | instskip(NEXT) | instid1(VALU_DEP_3)
	v_xor_b32_e32 v22, vcc_lo, v22
	v_xor_b32_e32 v19, s0, v19
	s_delay_alu instid0(VALU_DEP_3) | instskip(SKIP_2) | instid1(VALU_DEP_1)
	v_bitop3_b32 v23, v21, v26, v25 bitop3:0x80
	ds_load_b32 v21, v12 offset:64
	; wave barrier
	v_bitop3_b32 v19, v23, v19, v22 bitop3:0x80
	v_mbcnt_lo_u32_b32 v22, v19, 0
	v_cmp_ne_u32_e64 s0, 0, v19
	s_delay_alu instid0(VALU_DEP_2) | instskip(SKIP_1) | instid1(SALU_CYCLE_1)
	v_cmp_eq_u32_e32 vcc_lo, 0, v22
	s_and_b32 s1, s0, vcc_lo
	s_and_saveexec_b32 s0, s1
	s_cbranch_execz .LBB876_95
; %bb.94:
	s_wait_dscnt 0x0
	v_bcnt_u32_b32 v19, v19, v21
	ds_store_b32 v12, v19 offset:64
.LBB876_95:
	s_or_b32 exec_lo, exec_lo, s0
	v_xor_b32_e32 v19, 0x7fffffff, v13
	; wave barrier
	s_delay_alu instid0(VALU_DEP_1) | instskip(NEXT) | instid1(VALU_DEP_1)
	v_lshrrev_b32_e32 v13, s20, v19
	v_bitop3_b32 v24, v13, 1, s5 bitop3:0x80
	v_and_b32_e32 v23, s5, v13
	s_delay_alu instid0(VALU_DEP_2) | instskip(NEXT) | instid1(VALU_DEP_1)
	v_add_co_u32 v24, s0, v24, -1
	v_cndmask_b32_e64 v25, 0, 1, s0
	s_delay_alu instid0(VALU_DEP_3) | instskip(NEXT) | instid1(VALU_DEP_2)
	v_dual_lshlrev_b32 v26, 30, v23 :: v_dual_lshlrev_b32 v27, 29, v23
	v_cmp_ne_u32_e32 vcc_lo, 0, v25
	s_delay_alu instid0(VALU_DEP_2) | instskip(SKIP_1) | instid1(VALU_DEP_4)
	v_cmp_gt_i32_e64 s0, 0, v26
	v_not_b32_e32 v25, v26
	v_not_b32_e32 v26, v27
	v_cmp_gt_i32_e64 s1, 0, v27
	s_delay_alu instid0(VALU_DEP_3) | instskip(NEXT) | instid1(VALU_DEP_3)
	v_dual_ashrrev_i32 v25, 31, v25 :: v_dual_bitop2_b32 v24, vcc_lo, v24 bitop3:0x14
	v_dual_ashrrev_i32 v26, 31, v26 :: v_dual_lshlrev_b32 v28, 28, v23
	v_dual_lshlrev_b32 v29, 27, v23 :: v_dual_lshlrev_b32 v30, 26, v23
	v_lshlrev_b32_e32 v31, 25, v23
	v_mad_u32 v13, 0x44, v23, v0
	s_delay_alu instid0(VALU_DEP_4)
	v_not_b32_e32 v27, v28
	v_lshlrev_b32_e32 v23, 24, v23
	v_cmp_gt_i32_e64 s2, 0, v28
	v_cmp_gt_i32_e64 s3, 0, v29
	v_not_b32_e32 v28, v29
	v_not_b32_e32 v29, v30
	v_dual_ashrrev_i32 v27, 31, v27 :: v_dual_bitop2_b32 v25, s0, v25 bitop3:0x14
	v_cmp_gt_i32_e64 s4, 0, v30
	s_delay_alu instid0(VALU_DEP_3) | instskip(SKIP_1) | instid1(VALU_DEP_4)
	v_dual_ashrrev_i32 v28, 31, v28 :: v_dual_ashrrev_i32 v29, 31, v29
	v_not_b32_e32 v30, v23
	v_xor_b32_e32 v27, s2, v27
	v_bitop3_b32 v24, v24, v25, exec_lo bitop3:0x80
	v_not_b32_e32 v25, v31
	v_xor_b32_e32 v26, s1, v26
	v_xor_b32_e32 v28, s3, v28
	;; [unrolled: 1-line block ×3, first 2 shown]
	v_cmp_gt_i32_e32 vcc_lo, 0, v31
	v_ashrrev_i32_e32 v25, 31, v25
	v_cmp_gt_i32_e64 s0, 0, v23
	v_ashrrev_i32_e32 v23, 31, v30
	v_bitop3_b32 v24, v24, v27, v26 bitop3:0x80
	s_delay_alu instid0(VALU_DEP_4) | instskip(NEXT) | instid1(VALU_DEP_3)
	v_xor_b32_e32 v25, vcc_lo, v25
	v_xor_b32_e32 v23, s0, v23
	s_delay_alu instid0(VALU_DEP_3) | instskip(SKIP_2) | instid1(VALU_DEP_1)
	v_bitop3_b32 v26, v24, v29, v28 bitop3:0x80
	ds_load_b32 v24, v13 offset:64
	; wave barrier
	v_bitop3_b32 v23, v26, v23, v25 bitop3:0x80
	v_mbcnt_lo_u32_b32 v25, v23, 0
	v_cmp_ne_u32_e64 s0, 0, v23
	s_delay_alu instid0(VALU_DEP_2) | instskip(SKIP_1) | instid1(SALU_CYCLE_1)
	v_cmp_eq_u32_e32 vcc_lo, 0, v25
	s_and_b32 s1, s0, vcc_lo
	s_and_saveexec_b32 s0, s1
	s_cbranch_execz .LBB876_97
; %bb.96:
	s_wait_dscnt 0x0
	v_bcnt_u32_b32 v23, v23, v24
	ds_store_b32 v13, v23 offset:64
.LBB876_97:
	s_or_b32 exec_lo, exec_lo, s0
	v_xor_b32_e32 v20, 0x7fffffff, v20
	; wave barrier
	s_delay_alu instid0(VALU_DEP_1) | instskip(NEXT) | instid1(VALU_DEP_1)
	v_lshrrev_b32_e32 v23, s20, v20
	v_and_b32_e32 v26, s5, v23
	s_delay_alu instid0(VALU_DEP_1) | instskip(SKIP_2) | instid1(VALU_DEP_2)
	v_lshlrev_b32_e32 v28, 30, v26
	v_bitop3_b32 v23, v23, 1, s5 bitop3:0x80
	v_lshlrev_b32_e32 v29, 29, v26
	v_add_co_u32 v23, s0, v23, -1
	s_delay_alu instid0(VALU_DEP_1) | instskip(SKIP_1) | instid1(VALU_DEP_2)
	v_cndmask_b32_e64 v27, 0, 1, s0
	v_cmp_gt_i32_e64 s0, 0, v28
	v_cmp_ne_u32_e32 vcc_lo, 0, v27
	v_not_b32_e32 v27, v28
	v_not_b32_e32 v28, v29
	s_delay_alu instid0(VALU_DEP_1)
	v_dual_ashrrev_i32 v28, 31, v28 :: v_dual_lshlrev_b32 v30, 28, v26
	v_mad_u32 v33, 0x44, v26, v0
	v_dual_lshlrev_b32 v31, 27, v26 :: v_dual_lshlrev_b32 v32, 26, v26
	v_dual_lshlrev_b32 v34, 25, v26 :: v_dual_lshlrev_b32 v26, 24, v26
	v_cmp_gt_i32_e64 s1, 0, v29
	v_not_b32_e32 v29, v30
	v_ashrrev_i32_e32 v27, 31, v27
	v_cmp_gt_i32_e64 s2, 0, v30
	v_cmp_gt_i32_e64 s3, 0, v31
	v_not_b32_e32 v30, v31
	v_cmp_gt_i32_e64 s4, 0, v32
	v_not_b32_e32 v31, v32
	v_dual_ashrrev_i32 v29, 31, v29 :: v_dual_bitop2_b32 v23, vcc_lo, v23 bitop3:0x14
	v_not_b32_e32 v32, v26
	v_dual_ashrrev_i32 v30, 31, v30 :: v_dual_bitop2_b32 v27, s0, v27 bitop3:0x14
	s_delay_alu instid0(VALU_DEP_4) | instskip(SKIP_1) | instid1(VALU_DEP_4)
	v_dual_ashrrev_i32 v31, 31, v31 :: v_dual_bitop2_b32 v28, s1, v28 bitop3:0x14
	v_cmp_gt_i32_e64 s0, 0, v26
	v_ashrrev_i32_e32 v26, 31, v32
	s_delay_alu instid0(VALU_DEP_4)
	v_bitop3_b32 v23, v23, v27, exec_lo bitop3:0x80
	v_not_b32_e32 v27, v34
	v_xor_b32_e32 v29, s2, v29
	v_xor_b32_e32 v30, s3, v30
	;; [unrolled: 1-line block ×3, first 2 shown]
	v_cmp_gt_i32_e32 vcc_lo, 0, v34
	v_ashrrev_i32_e32 v27, 31, v27
	v_bitop3_b32 v23, v23, v29, v28 bitop3:0x80
	v_xor_b32_e32 v26, s0, v26
	s_delay_alu instid0(VALU_DEP_3) | instskip(NEXT) | instid1(VALU_DEP_3)
	v_xor_b32_e32 v28, vcc_lo, v27
	v_bitop3_b32 v23, v23, v31, v30 bitop3:0x80
	ds_load_b32 v27, v33 offset:64
	; wave barrier
	v_bitop3_b32 v23, v23, v26, v28 bitop3:0x80
	s_delay_alu instid0(VALU_DEP_1) | instskip(SKIP_1) | instid1(VALU_DEP_2)
	v_mbcnt_lo_u32_b32 v28, v23, 0
	v_cmp_ne_u32_e64 s0, 0, v23
	v_cmp_eq_u32_e32 vcc_lo, 0, v28
	s_and_b32 s1, s0, vcc_lo
	s_delay_alu instid0(SALU_CYCLE_1)
	s_and_saveexec_b32 s0, s1
	s_cbranch_execz .LBB876_99
; %bb.98:
	s_wait_dscnt 0x0
	v_bcnt_u32_b32 v23, v23, v27
	ds_store_b32 v33, v23 offset:64
.LBB876_99:
	s_or_b32 exec_lo, exec_lo, s0
	v_xor_b32_e32 v23, 0x7fffffff, v9
	; wave barrier
	s_delay_alu instid0(VALU_DEP_1) | instskip(NEXT) | instid1(VALU_DEP_1)
	v_lshrrev_b32_e32 v9, s20, v23
	v_and_b32_e32 v26, s5, v9
	s_delay_alu instid0(VALU_DEP_1) | instskip(SKIP_2) | instid1(VALU_DEP_2)
	v_lshlrev_b32_e32 v30, 30, v26
	v_bitop3_b32 v9, v9, 1, s5 bitop3:0x80
	v_lshlrev_b32_e32 v31, 29, v26
	v_add_co_u32 v9, s0, v9, -1
	s_delay_alu instid0(VALU_DEP_1) | instskip(SKIP_1) | instid1(VALU_DEP_2)
	v_cndmask_b32_e64 v29, 0, 1, s0
	v_cmp_gt_i32_e64 s0, 0, v30
	v_cmp_ne_u32_e32 vcc_lo, 0, v29
	v_not_b32_e32 v29, v30
	v_not_b32_e32 v30, v31
	s_delay_alu instid0(VALU_DEP_1) | instskip(SKIP_4) | instid1(VALU_DEP_4)
	v_ashrrev_i32_e32 v30, 31, v30
	v_dual_lshlrev_b32 v32, 28, v26 :: v_dual_lshlrev_b32 v34, 27, v26
	v_lshlrev_b32_e32 v35, 26, v26
	v_cmp_gt_i32_e64 s1, 0, v31
	v_mad_u32 v37, 0x44, v26, v0
	v_not_b32_e32 v31, v32
	v_dual_ashrrev_i32 v29, 31, v29 :: v_dual_lshlrev_b32 v36, 25, v26
	v_lshlrev_b32_e32 v26, 24, v26
	v_cmp_gt_i32_e64 s2, 0, v32
	v_cmp_gt_i32_e64 s3, 0, v34
	v_not_b32_e32 v32, v34
	v_not_b32_e32 v34, v35
	v_dual_ashrrev_i32 v31, 31, v31 :: v_dual_bitop2_b32 v9, vcc_lo, v9 bitop3:0x14
	v_xor_b32_e32 v29, s0, v29
	v_cmp_gt_i32_e64 s4, 0, v35
	s_delay_alu instid0(VALU_DEP_4) | instskip(NEXT) | instid1(VALU_DEP_4)
	v_dual_ashrrev_i32 v32, 31, v32 :: v_dual_ashrrev_i32 v34, 31, v34
	v_xor_b32_e32 v31, s2, v31
	s_delay_alu instid0(VALU_DEP_4)
	v_bitop3_b32 v9, v9, v29, exec_lo bitop3:0x80
	v_not_b32_e32 v29, v36
	v_xor_b32_e32 v30, s1, v30
	v_not_b32_e32 v35, v26
	v_xor_b32_e32 v32, s3, v32
	v_xor_b32_e32 v34, s4, v34
	v_cmp_gt_i32_e32 vcc_lo, 0, v36
	v_ashrrev_i32_e32 v29, 31, v29
	v_bitop3_b32 v9, v9, v31, v30 bitop3:0x80
	v_cmp_gt_i32_e64 s0, 0, v26
	v_ashrrev_i32_e32 v26, 31, v35
	ds_load_b32 v30, v37 offset:64
	v_xor_b32_e32 v29, vcc_lo, v29
	v_bitop3_b32 v9, v9, v34, v32 bitop3:0x80
	v_xor_b32_e32 v26, s0, v26
	; wave barrier
	s_delay_alu instid0(VALU_DEP_1) | instskip(NEXT) | instid1(VALU_DEP_1)
	v_bitop3_b32 v9, v9, v26, v29 bitop3:0x80
	v_mbcnt_lo_u32_b32 v31, v9, 0
	v_cmp_ne_u32_e64 s0, 0, v9
	s_delay_alu instid0(VALU_DEP_2) | instskip(SKIP_1) | instid1(SALU_CYCLE_1)
	v_cmp_eq_u32_e32 vcc_lo, 0, v31
	s_and_b32 s1, s0, vcc_lo
	s_and_saveexec_b32 s0, s1
	s_cbranch_execz .LBB876_101
; %bb.100:
	s_wait_dscnt 0x0
	v_bcnt_u32_b32 v9, v9, v30
	ds_store_b32 v37, v9 offset:64
.LBB876_101:
	s_or_b32 exec_lo, exec_lo, s0
	v_xor_b32_e32 v26, 0x7fffffff, v8
	; wave barrier
	s_delay_alu instid0(VALU_DEP_1) | instskip(NEXT) | instid1(VALU_DEP_1)
	v_lshrrev_b32_e32 v8, s20, v26
	v_and_b32_e32 v9, s5, v8
	s_delay_alu instid0(VALU_DEP_1) | instskip(SKIP_1) | instid1(VALU_DEP_1)
	v_lshlrev_b32_e32 v32, 30, v9
	v_bitop3_b32 v8, v8, 1, s5 bitop3:0x80
	v_add_co_u32 v8, s0, v8, -1
	s_delay_alu instid0(VALU_DEP_1) | instskip(NEXT) | instid1(VALU_DEP_4)
	v_cndmask_b32_e64 v29, 0, 1, s0
	v_cmp_gt_i32_e64 s0, 0, v32
	s_delay_alu instid0(VALU_DEP_2) | instskip(SKIP_1) | instid1(VALU_DEP_1)
	v_cmp_ne_u32_e32 vcc_lo, 0, v29
	v_not_b32_e32 v29, v32
	v_ashrrev_i32_e32 v29, 31, v29
	v_dual_lshlrev_b32 v34, 29, v9 :: v_dual_lshlrev_b32 v35, 28, v9
	v_dual_lshlrev_b32 v36, 27, v9 :: v_dual_lshlrev_b32 v38, 26, v9
	v_mad_u32 v40, 0x44, v9, v0
	s_delay_alu instid0(VALU_DEP_3)
	v_cmp_gt_i32_e64 s1, 0, v34
	v_not_b32_e32 v32, v34
	v_not_b32_e32 v34, v35
	v_dual_lshlrev_b32 v39, 25, v9 :: v_dual_lshlrev_b32 v9, 24, v9
	v_cmp_gt_i32_e64 s2, 0, v35
	v_cmp_gt_i32_e64 s3, 0, v36
	v_not_b32_e32 v35, v36
	v_not_b32_e32 v36, v38
	v_dual_ashrrev_i32 v34, 31, v34 :: v_dual_bitop2_b32 v8, vcc_lo, v8 bitop3:0x14
	v_dual_ashrrev_i32 v32, 31, v32 :: v_dual_bitop2_b32 v29, s0, v29 bitop3:0x14
	v_cmp_gt_i32_e64 s4, 0, v38
	s_delay_alu instid0(VALU_DEP_4) | instskip(NEXT) | instid1(VALU_DEP_4)
	v_dual_ashrrev_i32 v35, 31, v35 :: v_dual_ashrrev_i32 v36, 31, v36
	v_xor_b32_e32 v34, s2, v34
	s_delay_alu instid0(VALU_DEP_4)
	v_bitop3_b32 v8, v8, v29, exec_lo bitop3:0x80
	v_not_b32_e32 v29, v39
	v_xor_b32_e32 v32, s1, v32
	v_not_b32_e32 v38, v9
	v_xor_b32_e32 v35, s3, v35
	v_xor_b32_e32 v36, s4, v36
	v_cmp_gt_i32_e32 vcc_lo, 0, v39
	v_ashrrev_i32_e32 v29, 31, v29
	v_bitop3_b32 v8, v8, v34, v32 bitop3:0x80
	v_cmp_gt_i32_e64 s0, 0, v9
	v_ashrrev_i32_e32 v9, 31, v38
	ds_load_b32 v34, v40 offset:64
	v_xor_b32_e32 v29, vcc_lo, v29
	v_bitop3_b32 v8, v8, v36, v35 bitop3:0x80
	v_xor_b32_e32 v9, s0, v9
	; wave barrier
	s_delay_alu instid0(VALU_DEP_1) | instskip(NEXT) | instid1(VALU_DEP_1)
	v_bitop3_b32 v8, v8, v9, v29 bitop3:0x80
	v_mbcnt_lo_u32_b32 v35, v8, 0
	v_cmp_ne_u32_e64 s0, 0, v8
	s_delay_alu instid0(VALU_DEP_2) | instskip(SKIP_1) | instid1(SALU_CYCLE_1)
	v_cmp_eq_u32_e32 vcc_lo, 0, v35
	s_and_b32 s1, s0, vcc_lo
	s_and_saveexec_b32 s0, s1
	s_cbranch_execz .LBB876_103
; %bb.102:
	s_wait_dscnt 0x0
	v_bcnt_u32_b32 v8, v8, v34
	ds_store_b32 v40, v8 offset:64
.LBB876_103:
	s_or_b32 exec_lo, exec_lo, s0
	v_xor_b32_e32 v29, 0x7fffffff, v7
	; wave barrier
	s_delay_alu instid0(VALU_DEP_1) | instskip(NEXT) | instid1(VALU_DEP_1)
	v_lshrrev_b32_e32 v7, s20, v29
	v_and_b32_e32 v8, s5, v7
	s_delay_alu instid0(VALU_DEP_1) | instskip(SKIP_1) | instid1(VALU_DEP_1)
	v_lshlrev_b32_e32 v32, 30, v8
	v_bitop3_b32 v7, v7, 1, s5 bitop3:0x80
	v_add_co_u32 v7, s0, v7, -1
	s_delay_alu instid0(VALU_DEP_1) | instskip(NEXT) | instid1(VALU_DEP_4)
	v_cndmask_b32_e64 v9, 0, 1, s0
	v_cmp_gt_i32_e64 s0, 0, v32
	s_delay_alu instid0(VALU_DEP_2) | instskip(SKIP_1) | instid1(VALU_DEP_1)
	v_cmp_ne_u32_e32 vcc_lo, 0, v9
	v_not_b32_e32 v9, v32
	v_dual_ashrrev_i32 v9, 31, v9 :: v_dual_lshlrev_b32 v36, 29, v8
	v_dual_lshlrev_b32 v38, 28, v8 :: v_dual_lshlrev_b32 v39, 27, v8
	v_lshlrev_b32_e32 v41, 26, v8
	v_mad_u32 v44, 0x44, v8, v0
	s_delay_alu instid0(VALU_DEP_4)
	v_cmp_gt_i32_e64 s1, 0, v36
	v_not_b32_e32 v32, v36
	v_not_b32_e32 v36, v38
	v_dual_lshlrev_b32 v42, 25, v8 :: v_dual_lshlrev_b32 v8, 24, v8
	v_cmp_gt_i32_e64 s2, 0, v38
	v_cmp_gt_i32_e64 s3, 0, v39
	v_not_b32_e32 v38, v39
	v_not_b32_e32 v39, v41
	v_dual_ashrrev_i32 v32, 31, v32 :: v_dual_bitop2_b32 v7, vcc_lo, v7 bitop3:0x14
	v_dual_ashrrev_i32 v36, 31, v36 :: v_dual_bitop2_b32 v9, s0, v9 bitop3:0x14
	v_cmp_gt_i32_e64 s4, 0, v41
	s_delay_alu instid0(VALU_DEP_4) | instskip(SKIP_1) | instid1(VALU_DEP_4)
	v_dual_ashrrev_i32 v38, 31, v38 :: v_dual_ashrrev_i32 v39, 31, v39
	v_not_b32_e32 v41, v8
	v_xor_b32_e32 v36, s2, v36
	v_bitop3_b32 v7, v7, v9, exec_lo bitop3:0x80
	v_not_b32_e32 v9, v42
	v_xor_b32_e32 v32, s1, v32
	v_xor_b32_e32 v38, s3, v38
	;; [unrolled: 1-line block ×3, first 2 shown]
	v_cmp_gt_i32_e32 vcc_lo, 0, v42
	v_ashrrev_i32_e32 v9, 31, v9
	v_cmp_gt_i32_e64 s0, 0, v8
	v_ashrrev_i32_e32 v8, 31, v41
	v_bitop3_b32 v7, v7, v36, v32 bitop3:0x80
	s_delay_alu instid0(VALU_DEP_4) | instskip(NEXT) | instid1(VALU_DEP_3)
	v_xor_b32_e32 v9, vcc_lo, v9
	v_xor_b32_e32 v8, s0, v8
	s_delay_alu instid0(VALU_DEP_3) | instskip(SKIP_2) | instid1(VALU_DEP_1)
	v_bitop3_b32 v7, v7, v39, v38 bitop3:0x80
	ds_load_b32 v38, v44 offset:64
	; wave barrier
	v_bitop3_b32 v7, v7, v8, v9 bitop3:0x80
	v_mbcnt_lo_u32_b32 v39, v7, 0
	v_cmp_ne_u32_e64 s0, 0, v7
	s_delay_alu instid0(VALU_DEP_2) | instskip(SKIP_1) | instid1(SALU_CYCLE_1)
	v_cmp_eq_u32_e32 vcc_lo, 0, v39
	s_and_b32 s1, s0, vcc_lo
	s_and_saveexec_b32 s0, s1
	s_cbranch_execz .LBB876_105
; %bb.104:
	s_wait_dscnt 0x0
	v_bcnt_u32_b32 v7, v7, v38
	ds_store_b32 v44, v7 offset:64
.LBB876_105:
	s_or_b32 exec_lo, exec_lo, s0
	v_xor_b32_e32 v32, 0x7fffffff, v6
	; wave barrier
	s_delay_alu instid0(VALU_DEP_1) | instskip(NEXT) | instid1(VALU_DEP_1)
	v_lshrrev_b32_e32 v6, s20, v32
	v_and_b32_e32 v7, s5, v6
	s_delay_alu instid0(VALU_DEP_1) | instskip(SKIP_1) | instid1(VALU_DEP_1)
	v_lshlrev_b32_e32 v9, 30, v7
	v_bitop3_b32 v6, v6, 1, s5 bitop3:0x80
	v_add_co_u32 v6, s0, v6, -1
	s_delay_alu instid0(VALU_DEP_1) | instskip(NEXT) | instid1(VALU_DEP_4)
	v_cndmask_b32_e64 v8, 0, 1, s0
	v_cmp_gt_i32_e64 s0, 0, v9
	s_delay_alu instid0(VALU_DEP_2) | instskip(SKIP_1) | instid1(VALU_DEP_1)
	v_cmp_ne_u32_e32 vcc_lo, 0, v8
	v_not_b32_e32 v8, v9
	v_dual_ashrrev_i32 v8, 31, v8 :: v_dual_lshlrev_b32 v36, 29, v7
	v_dual_lshlrev_b32 v41, 28, v7 :: v_dual_lshlrev_b32 v42, 27, v7
	v_lshlrev_b32_e32 v43, 26, v7
	v_mad_u32 v47, 0x44, v7, v0
	s_delay_alu instid0(VALU_DEP_4)
	v_cmp_gt_i32_e64 s1, 0, v36
	v_not_b32_e32 v9, v36
	v_not_b32_e32 v36, v41
	v_dual_lshlrev_b32 v45, 25, v7 :: v_dual_lshlrev_b32 v7, 24, v7
	v_cmp_gt_i32_e64 s2, 0, v41
	v_cmp_gt_i32_e64 s3, 0, v42
	v_not_b32_e32 v41, v42
	v_not_b32_e32 v42, v43
	v_dual_ashrrev_i32 v9, 31, v9 :: v_dual_bitop2_b32 v6, vcc_lo, v6 bitop3:0x14
	s_delay_alu instid0(VALU_DEP_3) | instskip(NEXT) | instid1(VALU_DEP_3)
	v_dual_ashrrev_i32 v36, 31, v36 :: v_dual_ashrrev_i32 v41, 31, v41
	v_dual_ashrrev_i32 v42, 31, v42 :: v_dual_bitop2_b32 v8, s0, v8 bitop3:0x14
	v_cmp_gt_i32_e64 s4, 0, v43
	v_not_b32_e32 v43, v7
	s_delay_alu instid0(VALU_DEP_4) | instskip(NEXT) | instid1(VALU_DEP_4)
	v_xor_b32_e32 v36, s2, v36
	v_bitop3_b32 v6, v6, v8, exec_lo bitop3:0x80
	v_not_b32_e32 v8, v45
	v_xor_b32_e32 v9, s1, v9
	v_xor_b32_e32 v41, s3, v41
	;; [unrolled: 1-line block ×3, first 2 shown]
	v_cmp_gt_i32_e32 vcc_lo, 0, v45
	v_ashrrev_i32_e32 v8, 31, v8
	v_cmp_gt_i32_e64 s0, 0, v7
	v_ashrrev_i32_e32 v7, 31, v43
	v_bitop3_b32 v6, v6, v36, v9 bitop3:0x80
	s_delay_alu instid0(VALU_DEP_4) | instskip(NEXT) | instid1(VALU_DEP_3)
	v_xor_b32_e32 v8, vcc_lo, v8
	v_xor_b32_e32 v7, s0, v7
	s_delay_alu instid0(VALU_DEP_3) | instskip(SKIP_2) | instid1(VALU_DEP_1)
	v_bitop3_b32 v6, v6, v42, v41 bitop3:0x80
	ds_load_b32 v42, v47 offset:64
	; wave barrier
	v_bitop3_b32 v6, v6, v7, v8 bitop3:0x80
	v_mbcnt_lo_u32_b32 v43, v6, 0
	v_cmp_ne_u32_e64 s0, 0, v6
	s_delay_alu instid0(VALU_DEP_2) | instskip(SKIP_1) | instid1(SALU_CYCLE_1)
	v_cmp_eq_u32_e32 vcc_lo, 0, v43
	s_and_b32 s1, s0, vcc_lo
	s_and_saveexec_b32 s0, s1
	s_cbranch_execz .LBB876_107
; %bb.106:
	s_wait_dscnt 0x0
	v_bcnt_u32_b32 v6, v6, v42
	ds_store_b32 v47, v6 offset:64
.LBB876_107:
	s_or_b32 exec_lo, exec_lo, s0
	v_xor_b32_e32 v36, 0x7fffffff, v4
	; wave barrier
	s_delay_alu instid0(VALU_DEP_1) | instskip(NEXT) | instid1(VALU_DEP_1)
	v_lshrrev_b32_e32 v4, s20, v36
	v_and_b32_e32 v6, s5, v4
	s_delay_alu instid0(VALU_DEP_1) | instskip(SKIP_1) | instid1(VALU_DEP_1)
	v_lshlrev_b32_e32 v8, 30, v6
	v_bitop3_b32 v4, v4, 1, s5 bitop3:0x80
	v_add_co_u32 v4, s0, v4, -1
	s_delay_alu instid0(VALU_DEP_1) | instskip(NEXT) | instid1(VALU_DEP_4)
	v_cndmask_b32_e64 v7, 0, 1, s0
	v_cmp_gt_i32_e64 s0, 0, v8
	s_delay_alu instid0(VALU_DEP_2) | instskip(SKIP_1) | instid1(VALU_DEP_1)
	v_cmp_ne_u32_e32 vcc_lo, 0, v7
	v_not_b32_e32 v7, v8
	v_dual_ashrrev_i32 v7, 31, v7 :: v_dual_lshlrev_b32 v9, 29, v6
	v_dual_lshlrev_b32 v41, 28, v6 :: v_dual_lshlrev_b32 v45, 27, v6
	v_lshlrev_b32_e32 v46, 26, v6
	v_mad_u32 v51, 0x44, v6, v0
	s_delay_alu instid0(VALU_DEP_4)
	v_cmp_gt_i32_e64 s1, 0, v9
	v_not_b32_e32 v8, v9
	v_not_b32_e32 v9, v41
	v_dual_lshlrev_b32 v48, 25, v6 :: v_dual_lshlrev_b32 v6, 24, v6
	v_cmp_gt_i32_e64 s2, 0, v41
	v_cmp_gt_i32_e64 s3, 0, v45
	v_not_b32_e32 v41, v45
	v_not_b32_e32 v45, v46
	v_dual_ashrrev_i32 v9, 31, v9 :: v_dual_bitop2_b32 v4, vcc_lo, v4 bitop3:0x14
	v_dual_ashrrev_i32 v8, 31, v8 :: v_dual_bitop2_b32 v7, s0, v7 bitop3:0x14
	v_cmp_gt_i32_e64 s4, 0, v46
	v_ashrrev_i32_e32 v41, 31, v41
	v_not_b32_e32 v46, v6
	s_delay_alu instid0(VALU_DEP_4)
	v_xor_b32_e32 v8, s1, v8
	v_xor_b32_e32 v9, s2, v9
	v_bitop3_b32 v4, v4, v7, exec_lo bitop3:0x80
	v_not_b32_e32 v7, v48
	v_ashrrev_i32_e32 v45, 31, v45
	v_xor_b32_e32 v41, s3, v41
	v_cmp_gt_i32_e32 vcc_lo, 0, v48
	v_cmp_gt_i32_e64 s0, 0, v6
	s_delay_alu instid0(VALU_DEP_4)
	v_dual_ashrrev_i32 v7, 31, v7 :: v_dual_bitop2_b32 v45, s4, v45 bitop3:0x14
	v_ashrrev_i32_e32 v6, 31, v46
	v_bitop3_b32 v4, v4, v9, v8 bitop3:0x80
	ds_load_b32 v46, v51 offset:64
	v_xor_b32_e32 v7, vcc_lo, v7
	v_xor_b32_e32 v6, s0, v6
	v_bitop3_b32 v4, v4, v45, v41 bitop3:0x80
	; wave barrier
	s_delay_alu instid0(VALU_DEP_1) | instskip(NEXT) | instid1(VALU_DEP_1)
	v_bitop3_b32 v4, v4, v6, v7 bitop3:0x80
	v_mbcnt_lo_u32_b32 v48, v4, 0
	v_cmp_ne_u32_e64 s0, 0, v4
	s_delay_alu instid0(VALU_DEP_2) | instskip(SKIP_1) | instid1(SALU_CYCLE_1)
	v_cmp_eq_u32_e32 vcc_lo, 0, v48
	s_and_b32 s1, s0, vcc_lo
	s_and_saveexec_b32 s0, s1
	s_cbranch_execz .LBB876_109
; %bb.108:
	s_wait_dscnt 0x0
	v_bcnt_u32_b32 v4, v4, v46
	ds_store_b32 v51, v4 offset:64
.LBB876_109:
	s_or_b32 exec_lo, exec_lo, s0
	v_xor_b32_e32 v41, 0x7fffffff, v3
	; wave barrier
	s_delay_alu instid0(VALU_DEP_1) | instskip(NEXT) | instid1(VALU_DEP_1)
	v_lshrrev_b32_e32 v3, s20, v41
	v_and_b32_e32 v4, s5, v3
	s_delay_alu instid0(VALU_DEP_1) | instskip(SKIP_1) | instid1(VALU_DEP_1)
	v_lshlrev_b32_e32 v7, 30, v4
	v_bitop3_b32 v3, v3, 1, s5 bitop3:0x80
	v_add_co_u32 v3, s0, v3, -1
	s_delay_alu instid0(VALU_DEP_1) | instskip(NEXT) | instid1(VALU_DEP_4)
	v_cndmask_b32_e64 v6, 0, 1, s0
	v_cmp_gt_i32_e64 s0, 0, v7
	s_delay_alu instid0(VALU_DEP_2) | instskip(SKIP_1) | instid1(VALU_DEP_1)
	v_cmp_ne_u32_e32 vcc_lo, 0, v6
	v_not_b32_e32 v6, v7
	v_dual_ashrrev_i32 v6, 31, v6 :: v_dual_lshlrev_b32 v8, 29, v4
	v_dual_lshlrev_b32 v9, 28, v4 :: v_dual_lshlrev_b32 v45, 27, v4
	v_lshlrev_b32_e32 v49, 26, v4
	v_mad_u32 v54, 0x44, v4, v0
	s_delay_alu instid0(VALU_DEP_4)
	v_cmp_gt_i32_e64 s1, 0, v8
	v_not_b32_e32 v7, v8
	v_not_b32_e32 v8, v9
	v_dual_lshlrev_b32 v50, 25, v4 :: v_dual_lshlrev_b32 v4, 24, v4
	v_cmp_gt_i32_e64 s2, 0, v9
	v_cmp_gt_i32_e64 s3, 0, v45
	v_not_b32_e32 v9, v45
	v_not_b32_e32 v45, v49
	v_dual_ashrrev_i32 v8, 31, v8 :: v_dual_bitop2_b32 v3, vcc_lo, v3 bitop3:0x14
	v_dual_ashrrev_i32 v7, 31, v7 :: v_dual_bitop2_b32 v6, s0, v6 bitop3:0x14
	v_cmp_gt_i32_e64 s4, 0, v49
	v_ashrrev_i32_e32 v9, 31, v9
	s_delay_alu instid0(VALU_DEP_4) | instskip(NEXT) | instid1(VALU_DEP_4)
	v_dual_ashrrev_i32 v45, 31, v45 :: v_dual_bitop2_b32 v8, s2, v8 bitop3:0x14
	v_xor_b32_e32 v7, s1, v7
	v_bitop3_b32 v3, v3, v6, exec_lo bitop3:0x80
	v_not_b32_e32 v6, v50
	v_not_b32_e32 v49, v4
	v_xor_b32_e32 v9, s3, v9
	v_xor_b32_e32 v45, s4, v45
	v_bitop3_b32 v3, v3, v8, v7 bitop3:0x80
	v_cmp_gt_i32_e32 vcc_lo, 0, v50
	v_ashrrev_i32_e32 v6, 31, v6
	v_cmp_gt_i32_e64 s0, 0, v4
	v_ashrrev_i32_e32 v4, 31, v49
	v_bitop3_b32 v3, v3, v45, v9 bitop3:0x80
	ds_load_b32 v50, v54 offset:64
	v_xor_b32_e32 v6, vcc_lo, v6
	v_xor_b32_e32 v4, s0, v4
	; wave barrier
	s_delay_alu instid0(VALU_DEP_1) | instskip(NEXT) | instid1(VALU_DEP_1)
	v_bitop3_b32 v3, v3, v4, v6 bitop3:0x80
	v_mbcnt_lo_u32_b32 v52, v3, 0
	v_cmp_ne_u32_e64 s0, 0, v3
	s_delay_alu instid0(VALU_DEP_2) | instskip(SKIP_1) | instid1(SALU_CYCLE_1)
	v_cmp_eq_u32_e32 vcc_lo, 0, v52
	s_and_b32 s1, s0, vcc_lo
	s_and_saveexec_b32 s0, s1
	s_cbranch_execz .LBB876_111
; %bb.110:
	s_wait_dscnt 0x0
	v_bcnt_u32_b32 v3, v3, v50
	ds_store_b32 v54, v3 offset:64
.LBB876_111:
	s_or_b32 exec_lo, exec_lo, s0
	v_xor_b32_e32 v45, 0x7fffffff, v2
	; wave barrier
	s_delay_alu instid0(VALU_DEP_1) | instskip(NEXT) | instid1(VALU_DEP_1)
	v_lshrrev_b32_e32 v2, s20, v45
	v_and_b32_e32 v3, s5, v2
	s_delay_alu instid0(VALU_DEP_1) | instskip(SKIP_1) | instid1(VALU_DEP_1)
	v_lshlrev_b32_e32 v6, 30, v3
	v_bitop3_b32 v2, v2, 1, s5 bitop3:0x80
	v_add_co_u32 v2, s0, v2, -1
	s_delay_alu instid0(VALU_DEP_1) | instskip(NEXT) | instid1(VALU_DEP_4)
	v_cndmask_b32_e64 v4, 0, 1, s0
	v_cmp_gt_i32_e64 s0, 0, v6
	s_delay_alu instid0(VALU_DEP_2) | instskip(SKIP_1) | instid1(VALU_DEP_1)
	v_cmp_ne_u32_e32 vcc_lo, 0, v4
	v_not_b32_e32 v4, v6
	v_dual_ashrrev_i32 v4, 31, v4 :: v_dual_lshlrev_b32 v7, 29, v3
	v_dual_lshlrev_b32 v8, 28, v3 :: v_dual_lshlrev_b32 v9, 27, v3
	v_lshlrev_b32_e32 v49, 26, v3
	v_mad_u32 v56, 0x44, v3, v0
	s_delay_alu instid0(VALU_DEP_4)
	v_cmp_gt_i32_e64 s1, 0, v7
	v_not_b32_e32 v6, v7
	v_not_b32_e32 v7, v8
	v_dual_lshlrev_b32 v53, 25, v3 :: v_dual_lshlrev_b32 v3, 24, v3
	v_cmp_gt_i32_e64 s2, 0, v8
	v_cmp_gt_i32_e64 s3, 0, v9
	v_not_b32_e32 v8, v9
	v_not_b32_e32 v9, v49
	v_dual_ashrrev_i32 v7, 31, v7 :: v_dual_bitop2_b32 v2, vcc_lo, v2 bitop3:0x14
	v_dual_ashrrev_i32 v6, 31, v6 :: v_dual_bitop2_b32 v4, s0, v4 bitop3:0x14
	v_cmp_gt_i32_e64 s4, 0, v49
	s_delay_alu instid0(VALU_DEP_4)
	v_dual_ashrrev_i32 v8, 31, v8 :: v_dual_ashrrev_i32 v9, 31, v9
	v_not_b32_e32 v49, v3
	v_xor_b32_e32 v7, s2, v7
	v_bitop3_b32 v2, v2, v4, exec_lo bitop3:0x80
	v_not_b32_e32 v4, v53
	v_xor_b32_e32 v6, s1, v6
	v_xor_b32_e32 v8, s3, v8
	v_xor_b32_e32 v9, s4, v9
	v_cmp_gt_i32_e32 vcc_lo, 0, v53
	v_ashrrev_i32_e32 v4, 31, v4
	v_cmp_gt_i32_e64 s0, 0, v3
	v_ashrrev_i32_e32 v3, 31, v49
	v_bitop3_b32 v2, v2, v7, v6 bitop3:0x80
	ds_load_b32 v53, v56 offset:64
	v_xor_b32_e32 v4, vcc_lo, v4
	v_xor_b32_e32 v3, s0, v3
	v_bitop3_b32 v2, v2, v9, v8 bitop3:0x80
	; wave barrier
	s_delay_alu instid0(VALU_DEP_1) | instskip(NEXT) | instid1(VALU_DEP_1)
	v_bitop3_b32 v2, v2, v3, v4 bitop3:0x80
	v_mbcnt_lo_u32_b32 v55, v2, 0
	v_cmp_ne_u32_e64 s0, 0, v2
	s_delay_alu instid0(VALU_DEP_2) | instskip(SKIP_1) | instid1(SALU_CYCLE_1)
	v_cmp_eq_u32_e32 vcc_lo, 0, v55
	s_and_b32 s1, s0, vcc_lo
	s_and_saveexec_b32 s0, s1
	s_cbranch_execz .LBB876_113
; %bb.112:
	s_wait_dscnt 0x0
	v_bcnt_u32_b32 v2, v2, v53
	ds_store_b32 v56, v2 offset:64
.LBB876_113:
	s_or_b32 exec_lo, exec_lo, s0
	v_xor_b32_e32 v49, 0x7fffffff, v1
	; wave barrier
	s_delay_alu instid0(VALU_DEP_1) | instskip(NEXT) | instid1(VALU_DEP_1)
	v_lshrrev_b32_e32 v1, s20, v49
	v_and_b32_e32 v2, s5, v1
	s_delay_alu instid0(VALU_DEP_1) | instskip(SKIP_2) | instid1(VALU_DEP_2)
	v_lshlrev_b32_e32 v3, 30, v2
	v_bitop3_b32 v1, v1, 1, s5 bitop3:0x80
	v_mad_u32 v59, 0x44, v2, v0
	v_add_co_u32 v0, s0, v1, -1
	s_delay_alu instid0(VALU_DEP_1) | instskip(SKIP_4) | instid1(VALU_DEP_1)
	v_cndmask_b32_e64 v1, 0, 1, s0
	v_cmp_gt_i32_e64 s0, 0, v3
	ds_load_b32 v57, v59 offset:64
	v_cmp_ne_u32_e32 vcc_lo, 0, v1
	v_not_b32_e32 v1, v3
	; wave barrier
	v_dual_ashrrev_i32 v1, 31, v1 :: v_dual_lshlrev_b32 v4, 29, v2
	v_dual_lshlrev_b32 v6, 28, v2 :: v_dual_lshlrev_b32 v7, 27, v2
	v_dual_lshlrev_b32 v8, 26, v2 :: v_dual_lshlrev_b32 v9, 25, v2
	v_lshlrev_b32_e32 v2, 24, v2
	s_delay_alu instid0(VALU_DEP_4)
	v_cmp_gt_i32_e64 s1, 0, v4
	v_not_b32_e32 v3, v4
	v_not_b32_e32 v4, v6
	v_cmp_gt_i32_e64 s2, 0, v6
	v_cmp_gt_i32_e64 s3, 0, v7
	v_not_b32_e32 v6, v7
	v_not_b32_e32 v7, v8
	v_dual_ashrrev_i32 v3, 31, v3 :: v_dual_bitop2_b32 v0, vcc_lo, v0 bitop3:0x14
	v_dual_ashrrev_i32 v4, 31, v4 :: v_dual_bitop2_b32 v1, s0, v1 bitop3:0x14
	v_cmp_gt_i32_e64 s4, 0, v8
	s_delay_alu instid0(VALU_DEP_4) | instskip(NEXT) | instid1(VALU_DEP_3)
	v_dual_ashrrev_i32 v6, 31, v6 :: v_dual_ashrrev_i32 v7, 31, v7
	v_xor_b32_e32 v4, s2, v4
	s_delay_alu instid0(VALU_DEP_4)
	v_bitop3_b32 v0, v0, v1, exec_lo bitop3:0x80
	v_not_b32_e32 v1, v9
	v_xor_b32_e32 v3, s1, v3
	v_not_b32_e32 v8, v2
	v_xor_b32_e32 v6, s3, v6
	v_xor_b32_e32 v7, s4, v7
	v_cmp_gt_i32_e32 vcc_lo, 0, v9
	v_ashrrev_i32_e32 v1, 31, v1
	v_bitop3_b32 v0, v0, v4, v3 bitop3:0x80
	v_cmp_gt_i32_e64 s0, 0, v2
	s_delay_alu instid0(VALU_DEP_3) | instskip(NEXT) | instid1(VALU_DEP_3)
	v_dual_ashrrev_i32 v2, 31, v8 :: v_dual_bitop2_b32 v1, vcc_lo, v1 bitop3:0x14
	v_bitop3_b32 v0, v0, v7, v6 bitop3:0x80
	s_delay_alu instid0(VALU_DEP_2) | instskip(NEXT) | instid1(VALU_DEP_1)
	v_xor_b32_e32 v2, s0, v2
	v_bitop3_b32 v0, v0, v2, v1 bitop3:0x80
	s_delay_alu instid0(VALU_DEP_1) | instskip(SKIP_1) | instid1(VALU_DEP_2)
	v_mbcnt_lo_u32_b32 v58, v0, 0
	v_cmp_ne_u32_e64 s0, 0, v0
	v_cmp_eq_u32_e32 vcc_lo, 0, v58
	s_and_b32 s1, s0, vcc_lo
	s_delay_alu instid0(SALU_CYCLE_1)
	s_and_saveexec_b32 s0, s1
	s_cbranch_execz .LBB876_115
; %bb.114:
	s_wait_dscnt 0x0
	v_bcnt_u32_b32 v0, v0, v57
	ds_store_b32 v59, v0 offset:64
.LBB876_115:
	s_or_b32 exec_lo, exec_lo, s0
	; wave barrier
	s_wait_dscnt 0x0
	s_barrier_signal -1
	s_barrier_wait -1
	ds_load_2addr_b32 v[8:9], v10 offset0:16 offset1:17
	ds_load_2addr_b32 v[6:7], v10 offset0:18 offset1:19
	;; [unrolled: 1-line block ×4, first 2 shown]
	ds_load_b32 v4, v10 offset:96
	v_min_u32_e32 v17, 0x1e0, v17
	s_mov_b32 s4, exec_lo
	s_delay_alu instid0(VALU_DEP_1) | instskip(SKIP_3) | instid1(VALU_DEP_1)
	v_or_b32_e32 v62, 31, v17
	s_wait_dscnt 0x3
	v_add3_u32 v60, v9, v8, v6
	s_wait_dscnt 0x2
	v_add3_u32 v60, v60, v7, v2
	s_wait_dscnt 0x1
	s_delay_alu instid0(VALU_DEP_1) | instskip(SKIP_1) | instid1(VALU_DEP_1)
	v_add3_u32 v60, v60, v3, v0
	s_wait_dscnt 0x0
	v_add3_u32 v4, v60, v1, v4
	v_and_b32_e32 v60, 15, v16
	s_delay_alu instid0(VALU_DEP_2) | instskip(NEXT) | instid1(VALU_DEP_2)
	v_mov_b32_dpp v61, v4 row_shr:1 row_mask:0xf bank_mask:0xf
	v_cmp_eq_u32_e32 vcc_lo, 0, v60
	v_cmp_lt_u32_e64 s0, 1, v60
	s_delay_alu instid0(VALU_DEP_3) | instskip(NEXT) | instid1(VALU_DEP_1)
	v_cndmask_b32_e64 v61, v61, 0, vcc_lo
	v_add_nc_u32_e32 v4, v61, v4
	s_delay_alu instid0(VALU_DEP_1) | instskip(NEXT) | instid1(VALU_DEP_1)
	v_mov_b32_dpp v61, v4 row_shr:2 row_mask:0xf bank_mask:0xf
	v_cndmask_b32_e64 v61, 0, v61, s0
	v_cmp_lt_u32_e64 s2, 7, v60
	v_cmp_lt_u32_e64 s1, 3, v60
	s_delay_alu instid0(VALU_DEP_3) | instskip(NEXT) | instid1(VALU_DEP_1)
	v_add_nc_u32_e32 v4, v4, v61
	v_mov_b32_dpp v61, v4 row_shr:4 row_mask:0xf bank_mask:0xf
	s_delay_alu instid0(VALU_DEP_1) | instskip(NEXT) | instid1(VALU_DEP_1)
	v_cndmask_b32_e64 v61, 0, v61, s1
	v_add_nc_u32_e32 v4, v4, v61
	s_delay_alu instid0(VALU_DEP_1) | instskip(NEXT) | instid1(VALU_DEP_1)
	v_mov_b32_dpp v61, v4 row_shr:8 row_mask:0xf bank_mask:0xf
	v_cndmask_b32_e64 v60, 0, v61, s2
	v_bfe_i32 v61, v16, 4, 1
	s_delay_alu instid0(VALU_DEP_2) | instskip(SKIP_3) | instid1(VALU_DEP_1)
	v_add_nc_u32_e32 v4, v4, v60
	ds_swizzle_b32 v60, v4 offset:swizzle(BROADCAST,32,15)
	s_wait_dscnt 0x0
	v_dual_lshrrev_b32 v60, 5, v14 :: v_dual_bitop2_b32 v61, v61, v60 bitop3:0x40
	v_add_nc_u32_e32 v17, v4, v61
	v_cmpx_eq_u32_e64 v14, v62
; %bb.116:
	s_delay_alu instid0(VALU_DEP_3)
	v_lshlrev_b32_e32 v4, 2, v60
	ds_store_b32 v4, v17
; %bb.117:
	s_or_b32 exec_lo, exec_lo, s4
	v_lshlrev_b32_e32 v4, 2, v14
	s_mov_b32 s4, exec_lo
	s_wait_dscnt 0x0
	s_barrier_signal -1
	s_barrier_wait -1
	v_cmpx_gt_u32_e32 16, v14
	s_cbranch_execz .LBB876_119
; %bb.118:
	ds_load_b32 v61, v4
	s_wait_dscnt 0x0
	v_mov_b32_dpp v62, v61 row_shr:1 row_mask:0xf bank_mask:0xf
	s_delay_alu instid0(VALU_DEP_1) | instskip(NEXT) | instid1(VALU_DEP_1)
	v_cndmask_b32_e64 v62, v62, 0, vcc_lo
	v_add_nc_u32_e32 v61, v62, v61
	s_delay_alu instid0(VALU_DEP_1) | instskip(NEXT) | instid1(VALU_DEP_1)
	v_mov_b32_dpp v62, v61 row_shr:2 row_mask:0xf bank_mask:0xf
	v_cndmask_b32_e64 v62, 0, v62, s0
	s_delay_alu instid0(VALU_DEP_1) | instskip(NEXT) | instid1(VALU_DEP_1)
	v_add_nc_u32_e32 v61, v61, v62
	v_mov_b32_dpp v62, v61 row_shr:4 row_mask:0xf bank_mask:0xf
	s_delay_alu instid0(VALU_DEP_1) | instskip(NEXT) | instid1(VALU_DEP_1)
	v_cndmask_b32_e64 v62, 0, v62, s1
	v_add_nc_u32_e32 v61, v61, v62
	s_delay_alu instid0(VALU_DEP_1) | instskip(NEXT) | instid1(VALU_DEP_1)
	v_mov_b32_dpp v62, v61 row_shr:8 row_mask:0xf bank_mask:0xf
	v_cndmask_b32_e64 v62, 0, v62, s2
	s_delay_alu instid0(VALU_DEP_1)
	v_add_nc_u32_e32 v61, v61, v62
	ds_store_b32 v4, v61
.LBB876_119:
	s_or_b32 exec_lo, exec_lo, s4
	v_mov_b32_e32 v61, 0
	s_mov_b32 s0, exec_lo
	s_wait_dscnt 0x0
	s_barrier_signal -1
	s_barrier_wait -1
	v_cmpx_lt_u32_e32 31, v14
; %bb.120:
	v_lshl_add_u32 v60, v60, 2, -4
	ds_load_b32 v61, v60
; %bb.121:
	s_or_b32 exec_lo, exec_lo, s0
	v_sub_co_u32 v60, vcc_lo, v16, 1
	s_wait_dscnt 0x0
	v_add_nc_u32_e32 v17, v61, v17
	s_delay_alu instid0(VALU_DEP_2) | instskip(NEXT) | instid1(VALU_DEP_1)
	v_cmp_gt_i32_e64 s0, 0, v60
	v_cndmask_b32_e64 v16, v60, v16, s0
	v_cmp_lt_u32_e64 s0, 0xff, v14
	s_delay_alu instid0(VALU_DEP_2) | instskip(SKIP_4) | instid1(VALU_DEP_2)
	v_lshlrev_b32_e32 v16, 2, v16
	ds_bpermute_b32 v16, v16, v17
	s_wait_dscnt 0x0
	v_cndmask_b32_e32 v16, v16, v61, vcc_lo
	v_cmp_ne_u32_e32 vcc_lo, 0, v14
	v_cndmask_b32_e32 v16, 0, v16, vcc_lo
	v_cmp_gt_u32_e32 vcc_lo, 0x100, v14
	s_delay_alu instid0(VALU_DEP_2) | instskip(NEXT) | instid1(VALU_DEP_1)
	v_add_nc_u32_e32 v8, v16, v8
	v_add_nc_u32_e32 v9, v8, v9
	s_delay_alu instid0(VALU_DEP_1) | instskip(NEXT) | instid1(VALU_DEP_1)
	v_add_nc_u32_e32 v6, v9, v6
	v_add_nc_u32_e32 v7, v6, v7
	s_delay_alu instid0(VALU_DEP_1) | instskip(NEXT) | instid1(VALU_DEP_1)
	;; [unrolled: 3-line block ×3, first 2 shown]
	v_add_nc_u32_e32 v0, v3, v0
	v_add_nc_u32_e32 v1, v0, v1
	ds_store_2addr_b32 v10, v16, v8 offset0:16 offset1:17
	ds_store_2addr_b32 v10, v9, v6 offset0:18 offset1:19
	;; [unrolled: 1-line block ×4, first 2 shown]
	ds_store_b32 v10, v1 offset:96
	s_wait_dscnt 0x0
	s_barrier_signal -1
	s_barrier_wait -1
	ds_load_b32 v62, v11 offset:64
	ds_load_b32 v60, v12 offset:64
	;; [unrolled: 1-line block ×12, first 2 shown]
	v_mov_b64_e32 v[0:1], 0
                                        ; implicit-def: $vgpr2
	s_and_saveexec_b32 s2, vcc_lo
	s_cbranch_execz .LBB876_125
; %bb.122:
	v_mul_u32_u24_e32 v0, 0x44, v14
	v_dual_mov_b32 v1, 0x1800 :: v_dual_add_nc_u32 v2, 1, v14
	s_mov_b32 s3, exec_lo
	ds_load_b32 v0, v0 offset:64
	v_cmpx_ne_u32_e32 0x100, v2
; %bb.123:
	v_mul_u32_u24_e32 v1, 0x44, v2
	ds_load_b32 v1, v1 offset:64
; %bb.124:
	s_or_b32 exec_lo, exec_lo, s3
	s_wait_dscnt 0x0
	v_dual_mov_b32 v1, 0 :: v_dual_sub_nc_u32 v2, v1, v0
.LBB876_125:
	s_or_b32 exec_lo, exec_lo, s2
	v_dual_mov_b32 v7, 0 :: v_dual_lshlrev_b32 v3, 3, v14
	s_wait_dscnt 0x0
	s_barrier_signal -1
	s_barrier_wait -1
	s_and_saveexec_b32 s1, vcc_lo
	s_cbranch_execz .LBB876_135
; %bb.126:
	v_lshl_add_u32 v6, s9, 8, v14
	v_dual_mov_b32 v10, 0 :: v_dual_bitop2_b32 v11, 2.0, v2 bitop3:0x54
	s_mov_b32 s2, 0
	s_mov_b32 s3, s9
	s_delay_alu instid0(VALU_DEP_2)
	v_lshl_add_u64 v[8:9], v[6:7], 2, s[10:11]
	global_store_b32 v6, v11, s[10:11] scale_offset scope:SCOPE_DEV
                                        ; implicit-def: $sgpr4
	s_branch .LBB876_129
.LBB876_127:                            ;   in Loop: Header=BB876_129 Depth=1
	s_or_b32 exec_lo, exec_lo, s6
.LBB876_128:                            ;   in Loop: Header=BB876_129 Depth=1
	s_delay_alu instid0(SALU_CYCLE_1) | instskip(SKIP_2) | instid1(VALU_DEP_2)
	s_or_b32 exec_lo, exec_lo, s4
	v_and_b32_e32 v6, 0x3fffffff, v11
	v_cmp_gt_i32_e64 s4, -2.0, v11
	v_add_nc_u32_e32 v10, v6, v10
	s_and_b32 s6, exec_lo, s4
	s_delay_alu instid0(SALU_CYCLE_1) | instskip(NEXT) | instid1(SALU_CYCLE_1)
	s_or_b32 s2, s6, s2
	s_and_not1_b32 exec_lo, exec_lo, s2
	s_cbranch_execz .LBB876_134
.LBB876_129:                            ; =>This Loop Header: Depth=1
                                        ;     Child Loop BB876_132 Depth 2
	s_or_b32 s4, s4, exec_lo
	s_cmp_eq_u32 s3, 0
	s_cbranch_scc1 .LBB876_133
; %bb.130:                              ;   in Loop: Header=BB876_129 Depth=1
	s_add_co_i32 s3, s3, -1
	s_mov_b32 s4, exec_lo
	s_wait_xcnt 0x0
	v_lshl_or_b32 v6, s3, 8, v14
	global_load_b32 v11, v6, s[10:11] scale_offset scope:SCOPE_DEV
	s_wait_loadcnt 0x0
	v_cmpx_gt_u32_e32 2.0, v11
	s_cbranch_execz .LBB876_128
; %bb.131:                              ;   in Loop: Header=BB876_129 Depth=1
	v_lshl_add_u64 v[12:13], v[6:7], 2, s[10:11]
	s_mov_b32 s6, 0
.LBB876_132:                            ;   Parent Loop BB876_129 Depth=1
                                        ; =>  This Inner Loop Header: Depth=2
	global_load_b32 v11, v[12:13], off scope:SCOPE_DEV
	s_wait_loadcnt 0x0
	v_cmp_lt_u32_e32 vcc_lo, 0x3fffffff, v11
	s_or_b32 s6, vcc_lo, s6
	s_wait_xcnt 0x0
	s_and_not1_b32 exec_lo, exec_lo, s6
	s_cbranch_execnz .LBB876_132
	s_branch .LBB876_127
.LBB876_133:                            ;   in Loop: Header=BB876_129 Depth=1
                                        ; implicit-def: $sgpr3
	s_and_b32 s6, exec_lo, s4
	s_delay_alu instid0(SALU_CYCLE_1)
	s_or_b32 s2, s6, s2
	s_wait_xcnt 0x0
	s_and_not1_b32 exec_lo, exec_lo, s2
	s_cbranch_execnz .LBB876_129
.LBB876_134:
	s_or_b32 exec_lo, exec_lo, s2
	v_dual_mov_b32 v11, 0 :: v_dual_add_nc_u32 v6, v10, v2
	s_delay_alu instid0(VALU_DEP_1) | instskip(SKIP_4) | instid1(VALU_DEP_1)
	v_or_b32_e32 v6, 0x80000000, v6
	global_store_b32 v[8:9], v6, off scope:SCOPE_DEV
	global_load_b64 v[6:7], v14, s[12:13] scale_offset
	v_sub_nc_u64_e32 v[8:9], v[10:11], v[0:1]
	s_wait_loadcnt 0x0
	v_add_nc_u64_e32 v[6:7], v[8:9], v[6:7]
	ds_store_b64 v3, v[6:7]
.LBB876_135:
	s_wait_xcnt 0x0
	s_or_b32 exec_lo, exec_lo, s1
	v_dual_add_nc_u32 v6, v62, v5 :: v_dual_sub_nc_u32 v56, 0, v4
	v_mov_b32_e32 v5, 0
	v_add3_u32 v21, v22, v60, v21
	v_add3_u32 v7, v58, v54, v57
	;; [unrolled: 1-line block ×3, first 2 shown]
	v_add_nc_u32_e32 v22, v3, v56
	v_add_nc_u64_e32 v[4:5], s[18:19], v[4:5]
	v_add3_u32 v9, v52, v47, v50
	v_add3_u32 v10, v48, v44, v46
	;; [unrolled: 1-line block ×6, first 2 shown]
	v_add_nc_u64_e32 v[4:5], 0x2000, v[4:5]
	v_add3_u32 v17, v28, v17, v27
	v_add3_u32 v24, v25, v61, v24
	v_mov_b32_e32 v25, v14
	s_mov_b32 s1, 0
	s_mov_b32 s2, -1
	s_branch .LBB876_137
.LBB876_136:                            ;   in Loop: Header=BB876_137 Depth=1
	s_wait_xcnt 0x0
	s_or_b32 exec_lo, exec_lo, s3
	v_add_nc_u64_e32 v[4:5], 0x4000, v[4:5]
	v_add_nc_u32_e32 v25, 0x1000, v25
	s_xor_b32 s2, s2, -1
	s_addk_co_i32 s1, 0xf000
	s_and_b32 vcc_lo, exec_lo, s2
	s_mov_b32 s2, 0
	s_wait_storecnt 0x0
	s_barrier_signal -1
	s_barrier_wait -1
	s_cbranch_vccnz .LBB876_147
.LBB876_137:                            ; =>This Inner Loop Header: Depth=1
	v_add_min_u32_e64 v27, v6, s1, 0x1000
	v_add_min_u32_e64 v28, v21, s1, 0x1000
	;; [unrolled: 1-line block ×5, first 2 shown]
	s_delay_alu instid0(VALU_DEP_4)
	v_dual_lshlrev_b32 v27, 2, v27 :: v_dual_lshlrev_b32 v28, 2, v28
	v_add_min_u32_e64 v34, v13, s1, 0x1000
	v_add_min_u32_e64 v35, v12, s1, 0x1000
	s_mov_b32 s3, exec_lo
	ds_store_b32 v27, v15 offset:2048
	ds_store_b32 v28, v18 offset:2048
	v_dual_lshlrev_b32 v27, 2, v30 :: v_dual_lshlrev_b32 v28, 2, v31
	v_dual_lshlrev_b32 v30, 2, v33 :: v_dual_lshlrev_b32 v31, 2, v34
	v_lshlrev_b32_e32 v33, 2, v35
	ds_store_b32 v27, v19 offset:2048
	ds_store_b32 v28, v20 offset:2048
	;; [unrolled: 1-line block ×5, first 2 shown]
	v_add_min_u32_e64 v27, v11, s1, 0x1000
	v_add_min_u32_e64 v28, v10, s1, 0x1000
	;; [unrolled: 1-line block ×5, first 2 shown]
	s_delay_alu instid0(VALU_DEP_4) | instskip(NEXT) | instid1(VALU_DEP_3)
	v_dual_lshlrev_b32 v27, 2, v27 :: v_dual_lshlrev_b32 v28, 2, v28
	v_dual_lshlrev_b32 v30, 2, v30 :: v_dual_lshlrev_b32 v31, 2, v31
	s_delay_alu instid0(VALU_DEP_3)
	v_lshlrev_b32_e32 v33, 2, v33
	ds_store_b32 v27, v32 offset:2048
	ds_store_b32 v28, v36 offset:2048
	;; [unrolled: 1-line block ×5, first 2 shown]
	s_wait_storecnt_dscnt 0x0
	s_barrier_signal -1
	s_barrier_wait -1
	ds_load_2addr_stride64_b32 v[30:31], v22 offset0:8 offset1:16
	s_wait_dscnt 0x0
	v_dual_lshrrev_b32 v27, s20, v31 :: v_dual_lshrrev_b32 v28, s20, v30
	s_delay_alu instid0(VALU_DEP_1) | instskip(NEXT) | instid1(VALU_DEP_1)
	v_and_b32_e32 v28, s5, v28
	v_dual_lshlrev_b32 v28, 3, v28 :: v_dual_bitop2_b32 v27, s5, v27 bitop3:0x40
	s_delay_alu instid0(VALU_DEP_1)
	v_lshlrev_b32_e32 v27, 3, v27
	ds_load_b64 v[34:35], v27
	ds_load_b32 v27, v22 offset:6144
	s_wait_dscnt 0x0
	v_lshrrev_b32_e32 v33, s20, v27
	v_xor_b32_e32 v27, 0x7fffffff, v27
	s_delay_alu instid0(VALU_DEP_2) | instskip(NEXT) | instid1(VALU_DEP_1)
	v_and_b32_e32 v33, s5, v33
	v_lshlrev_b32_e32 v33, 3, v33
	ds_load_b64 v[38:39], v28
	ds_load_b64 v[42:43], v33
	v_xor_b32_e32 v28, 0x7fffffff, v30
	v_xor_b32_e32 v33, 0x7fffffff, v31
	v_lshl_add_u64 v[30:31], v[34:35], 2, v[4:5]
	s_wait_dscnt 0x1
	v_lshl_add_u64 v[38:39], v[38:39], 2, v[4:5]
	s_wait_dscnt 0x0
	v_lshl_add_u64 v[34:35], v[42:43], 2, v[4:5]
	s_clause 0x2
	global_store_b32 v[38:39], v28, off offset:-8192
	global_store_b32 v[30:31], v33, off offset:-6144
	;; [unrolled: 1-line block ×3, first 2 shown]
	s_wait_xcnt 0x0
	v_cmpx_gt_u32_e32 0x1200, v25
	s_cbranch_execz .LBB876_139
; %bb.138:                              ;   in Loop: Header=BB876_137 Depth=1
	ds_load_b32 v27, v22 offset:8192
	s_wait_dscnt 0x0
	v_lshrrev_b32_e32 v28, s20, v27
	v_xor_b32_e32 v27, 0x7fffffff, v27
	s_delay_alu instid0(VALU_DEP_2) | instskip(NEXT) | instid1(VALU_DEP_1)
	v_and_b32_e32 v28, s5, v28
	v_lshlrev_b32_e32 v28, 3, v28
	ds_load_b64 v[30:31], v28
	s_wait_dscnt 0x0
	v_lshl_add_u64 v[30:31], v[30:31], 2, v[4:5]
	global_store_b32 v[30:31], v27, off offset:-2048
.LBB876_139:                            ;   in Loop: Header=BB876_137 Depth=1
	s_wait_xcnt 0x0
	s_or_b32 exec_lo, exec_lo, s3
	v_add_nc_u32_e32 v27, 0x800, v25
	s_mov_b32 s3, exec_lo
	s_delay_alu instid0(VALU_DEP_1)
	v_cmpx_gt_u32_e32 0x1800, v27
	s_cbranch_execz .LBB876_141
; %bb.140:                              ;   in Loop: Header=BB876_137 Depth=1
	ds_load_b32 v27, v22 offset:10240
	s_wait_dscnt 0x0
	v_lshrrev_b32_e32 v28, s20, v27
	v_xor_b32_e32 v27, 0x7fffffff, v27
	s_delay_alu instid0(VALU_DEP_2) | instskip(NEXT) | instid1(VALU_DEP_1)
	v_and_b32_e32 v28, s5, v28
	v_lshlrev_b32_e32 v28, 3, v28
	ds_load_b64 v[30:31], v28
	s_wait_dscnt 0x0
	v_lshl_add_u64 v[30:31], v[30:31], 2, v[4:5]
	global_store_b32 v[30:31], v27, off
.LBB876_141:                            ;   in Loop: Header=BB876_137 Depth=1
	s_wait_xcnt 0x0
	s_or_b32 exec_lo, exec_lo, s3
	s_delay_alu instid0(SALU_CYCLE_1)
	s_mov_b32 s3, exec_lo
	v_cmpx_gt_u32_e32 0xe00, v25
	s_cbranch_execz .LBB876_143
; %bb.142:                              ;   in Loop: Header=BB876_137 Depth=1
	ds_load_b32 v27, v22 offset:12288
	s_wait_dscnt 0x0
	v_lshrrev_b32_e32 v28, s20, v27
	v_xor_b32_e32 v27, 0x7fffffff, v27
	s_delay_alu instid0(VALU_DEP_2) | instskip(NEXT) | instid1(VALU_DEP_1)
	v_and_b32_e32 v28, s5, v28
	v_lshlrev_b32_e32 v28, 3, v28
	ds_load_b64 v[30:31], v28
	s_wait_dscnt 0x0
	v_lshl_add_u64 v[30:31], v[30:31], 2, v[4:5]
	global_store_b32 v[30:31], v27, off offset:2048
.LBB876_143:                            ;   in Loop: Header=BB876_137 Depth=1
	s_wait_xcnt 0x0
	s_or_b32 exec_lo, exec_lo, s3
	v_add_nc_u32_e32 v27, 0xc00, v25
	s_mov_b32 s3, exec_lo
	s_delay_alu instid0(VALU_DEP_1)
	v_cmpx_gt_u32_e32 0x1800, v27
	s_cbranch_execz .LBB876_145
; %bb.144:                              ;   in Loop: Header=BB876_137 Depth=1
	ds_load_b32 v27, v22 offset:14336
	s_wait_dscnt 0x0
	v_lshrrev_b32_e32 v28, s20, v27
	v_xor_b32_e32 v27, 0x7fffffff, v27
	s_delay_alu instid0(VALU_DEP_2) | instskip(NEXT) | instid1(VALU_DEP_1)
	v_and_b32_e32 v28, s5, v28
	v_lshlrev_b32_e32 v28, 3, v28
	ds_load_b64 v[30:31], v28
	s_wait_dscnt 0x0
	v_lshl_add_u64 v[30:31], v[30:31], 2, v[4:5]
	global_store_b32 v[30:31], v27, off offset:4096
.LBB876_145:                            ;   in Loop: Header=BB876_137 Depth=1
	s_wait_xcnt 0x0
	s_or_b32 exec_lo, exec_lo, s3
	s_delay_alu instid0(SALU_CYCLE_1)
	s_mov_b32 s3, exec_lo
	v_cmpx_gt_u32_e32 0xa00, v25
	s_cbranch_execz .LBB876_136
; %bb.146:                              ;   in Loop: Header=BB876_137 Depth=1
	ds_load_b32 v27, v22 offset:16384
	s_wait_dscnt 0x0
	v_lshrrev_b32_e32 v28, s20, v27
	v_xor_b32_e32 v27, 0x7fffffff, v27
	s_delay_alu instid0(VALU_DEP_2) | instskip(NEXT) | instid1(VALU_DEP_1)
	v_and_b32_e32 v28, s5, v28
	v_lshlrev_b32_e32 v28, 3, v28
	ds_load_b64 v[30:31], v28
	s_wait_dscnt 0x0
	v_lshl_add_u64 v[30:31], v[30:31], 2, v[4:5]
	global_store_b32 v[30:31], v27, off offset:6144
	s_branch .LBB876_136
.LBB876_147:
	s_add_co_i32 s7, s7, -1
	s_delay_alu instid0(SALU_CYCLE_1) | instskip(SKIP_2) | instid1(SALU_CYCLE_1)
	s_cmp_eq_u32 s9, s7
	s_cselect_b32 s1, -1, 0
	s_xor_b32 s0, s0, -1
	s_and_b32 s0, s0, s1
	s_delay_alu instid0(SALU_CYCLE_1)
	s_and_saveexec_b32 s1, s0
	s_cbranch_execz .LBB876_149
; %bb.148:
	ds_load_b64 v[4:5], v3
	v_mov_b32_e32 v3, 0
	s_delay_alu instid0(VALU_DEP_1) | instskip(SKIP_1) | instid1(VALU_DEP_1)
	v_add_nc_u64_e32 v[0:1], v[0:1], v[2:3]
	s_wait_dscnt 0x0
	v_add_nc_u64_e32 v[0:1], v[0:1], v[4:5]
	global_store_b64 v14, v[0:1], s[14:15] scale_offset
.LBB876_149:
	s_sendmsg sendmsg(MSG_DEALLOC_VGPRS)
	s_endpgm
	.section	.rodata,"a",@progbits
	.p2align	6, 0x0
	.amdhsa_kernel _ZN7rocprim17ROCPRIM_400000_NS6detail17trampoline_kernelINS0_14default_configENS1_35radix_sort_onesweep_config_selectorIiNS0_10empty_typeEEEZZNS1_29radix_sort_onesweep_iterationIS3_Lb1EPKiPiPS5_SB_mNS0_19identity_decomposerENS1_16block_id_wrapperIjLb0EEEEE10hipError_tT1_PNSt15iterator_traitsISG_E10value_typeET2_T3_PNSH_ISM_E10value_typeET4_T5_PSR_SS_PNS1_23onesweep_lookback_stateEbbT6_jjT7_P12ihipStream_tbENKUlT_T0_SG_SL_E_clISA_SA_SB_SB_EEDaSZ_S10_SG_SL_EUlSZ_E_NS1_11comp_targetILNS1_3genE0ELNS1_11target_archE4294967295ELNS1_3gpuE0ELNS1_3repE0EEENS1_47radix_sort_onesweep_sort_config_static_selectorELNS0_4arch9wavefront6targetE0EEEvSG_
		.amdhsa_group_segment_fixed_size 18504
		.amdhsa_private_segment_fixed_size 0
		.amdhsa_kernarg_size 344
		.amdhsa_user_sgpr_count 2
		.amdhsa_user_sgpr_dispatch_ptr 0
		.amdhsa_user_sgpr_queue_ptr 0
		.amdhsa_user_sgpr_kernarg_segment_ptr 1
		.amdhsa_user_sgpr_dispatch_id 0
		.amdhsa_user_sgpr_kernarg_preload_length 0
		.amdhsa_user_sgpr_kernarg_preload_offset 0
		.amdhsa_user_sgpr_private_segment_size 0
		.amdhsa_wavefront_size32 1
		.amdhsa_uses_dynamic_stack 0
		.amdhsa_enable_private_segment 0
		.amdhsa_system_sgpr_workgroup_id_x 1
		.amdhsa_system_sgpr_workgroup_id_y 0
		.amdhsa_system_sgpr_workgroup_id_z 0
		.amdhsa_system_sgpr_workgroup_info 0
		.amdhsa_system_vgpr_workitem_id 2
		.amdhsa_next_free_vgpr 65
		.amdhsa_next_free_sgpr 29
		.amdhsa_named_barrier_count 0
		.amdhsa_reserve_vcc 1
		.amdhsa_float_round_mode_32 0
		.amdhsa_float_round_mode_16_64 0
		.amdhsa_float_denorm_mode_32 3
		.amdhsa_float_denorm_mode_16_64 3
		.amdhsa_fp16_overflow 0
		.amdhsa_memory_ordered 1
		.amdhsa_forward_progress 1
		.amdhsa_inst_pref_size 121
		.amdhsa_round_robin_scheduling 0
		.amdhsa_exception_fp_ieee_invalid_op 0
		.amdhsa_exception_fp_denorm_src 0
		.amdhsa_exception_fp_ieee_div_zero 0
		.amdhsa_exception_fp_ieee_overflow 0
		.amdhsa_exception_fp_ieee_underflow 0
		.amdhsa_exception_fp_ieee_inexact 0
		.amdhsa_exception_int_div_zero 0
	.end_amdhsa_kernel
	.section	.text._ZN7rocprim17ROCPRIM_400000_NS6detail17trampoline_kernelINS0_14default_configENS1_35radix_sort_onesweep_config_selectorIiNS0_10empty_typeEEEZZNS1_29radix_sort_onesweep_iterationIS3_Lb1EPKiPiPS5_SB_mNS0_19identity_decomposerENS1_16block_id_wrapperIjLb0EEEEE10hipError_tT1_PNSt15iterator_traitsISG_E10value_typeET2_T3_PNSH_ISM_E10value_typeET4_T5_PSR_SS_PNS1_23onesweep_lookback_stateEbbT6_jjT7_P12ihipStream_tbENKUlT_T0_SG_SL_E_clISA_SA_SB_SB_EEDaSZ_S10_SG_SL_EUlSZ_E_NS1_11comp_targetILNS1_3genE0ELNS1_11target_archE4294967295ELNS1_3gpuE0ELNS1_3repE0EEENS1_47radix_sort_onesweep_sort_config_static_selectorELNS0_4arch9wavefront6targetE0EEEvSG_,"axG",@progbits,_ZN7rocprim17ROCPRIM_400000_NS6detail17trampoline_kernelINS0_14default_configENS1_35radix_sort_onesweep_config_selectorIiNS0_10empty_typeEEEZZNS1_29radix_sort_onesweep_iterationIS3_Lb1EPKiPiPS5_SB_mNS0_19identity_decomposerENS1_16block_id_wrapperIjLb0EEEEE10hipError_tT1_PNSt15iterator_traitsISG_E10value_typeET2_T3_PNSH_ISM_E10value_typeET4_T5_PSR_SS_PNS1_23onesweep_lookback_stateEbbT6_jjT7_P12ihipStream_tbENKUlT_T0_SG_SL_E_clISA_SA_SB_SB_EEDaSZ_S10_SG_SL_EUlSZ_E_NS1_11comp_targetILNS1_3genE0ELNS1_11target_archE4294967295ELNS1_3gpuE0ELNS1_3repE0EEENS1_47radix_sort_onesweep_sort_config_static_selectorELNS0_4arch9wavefront6targetE0EEEvSG_,comdat
.Lfunc_end876:
	.size	_ZN7rocprim17ROCPRIM_400000_NS6detail17trampoline_kernelINS0_14default_configENS1_35radix_sort_onesweep_config_selectorIiNS0_10empty_typeEEEZZNS1_29radix_sort_onesweep_iterationIS3_Lb1EPKiPiPS5_SB_mNS0_19identity_decomposerENS1_16block_id_wrapperIjLb0EEEEE10hipError_tT1_PNSt15iterator_traitsISG_E10value_typeET2_T3_PNSH_ISM_E10value_typeET4_T5_PSR_SS_PNS1_23onesweep_lookback_stateEbbT6_jjT7_P12ihipStream_tbENKUlT_T0_SG_SL_E_clISA_SA_SB_SB_EEDaSZ_S10_SG_SL_EUlSZ_E_NS1_11comp_targetILNS1_3genE0ELNS1_11target_archE4294967295ELNS1_3gpuE0ELNS1_3repE0EEENS1_47radix_sort_onesweep_sort_config_static_selectorELNS0_4arch9wavefront6targetE0EEEvSG_, .Lfunc_end876-_ZN7rocprim17ROCPRIM_400000_NS6detail17trampoline_kernelINS0_14default_configENS1_35radix_sort_onesweep_config_selectorIiNS0_10empty_typeEEEZZNS1_29radix_sort_onesweep_iterationIS3_Lb1EPKiPiPS5_SB_mNS0_19identity_decomposerENS1_16block_id_wrapperIjLb0EEEEE10hipError_tT1_PNSt15iterator_traitsISG_E10value_typeET2_T3_PNSH_ISM_E10value_typeET4_T5_PSR_SS_PNS1_23onesweep_lookback_stateEbbT6_jjT7_P12ihipStream_tbENKUlT_T0_SG_SL_E_clISA_SA_SB_SB_EEDaSZ_S10_SG_SL_EUlSZ_E_NS1_11comp_targetILNS1_3genE0ELNS1_11target_archE4294967295ELNS1_3gpuE0ELNS1_3repE0EEENS1_47radix_sort_onesweep_sort_config_static_selectorELNS0_4arch9wavefront6targetE0EEEvSG_
                                        ; -- End function
	.set _ZN7rocprim17ROCPRIM_400000_NS6detail17trampoline_kernelINS0_14default_configENS1_35radix_sort_onesweep_config_selectorIiNS0_10empty_typeEEEZZNS1_29radix_sort_onesweep_iterationIS3_Lb1EPKiPiPS5_SB_mNS0_19identity_decomposerENS1_16block_id_wrapperIjLb0EEEEE10hipError_tT1_PNSt15iterator_traitsISG_E10value_typeET2_T3_PNSH_ISM_E10value_typeET4_T5_PSR_SS_PNS1_23onesweep_lookback_stateEbbT6_jjT7_P12ihipStream_tbENKUlT_T0_SG_SL_E_clISA_SA_SB_SB_EEDaSZ_S10_SG_SL_EUlSZ_E_NS1_11comp_targetILNS1_3genE0ELNS1_11target_archE4294967295ELNS1_3gpuE0ELNS1_3repE0EEENS1_47radix_sort_onesweep_sort_config_static_selectorELNS0_4arch9wavefront6targetE0EEEvSG_.num_vgpr, 65
	.set _ZN7rocprim17ROCPRIM_400000_NS6detail17trampoline_kernelINS0_14default_configENS1_35radix_sort_onesweep_config_selectorIiNS0_10empty_typeEEEZZNS1_29radix_sort_onesweep_iterationIS3_Lb1EPKiPiPS5_SB_mNS0_19identity_decomposerENS1_16block_id_wrapperIjLb0EEEEE10hipError_tT1_PNSt15iterator_traitsISG_E10value_typeET2_T3_PNSH_ISM_E10value_typeET4_T5_PSR_SS_PNS1_23onesweep_lookback_stateEbbT6_jjT7_P12ihipStream_tbENKUlT_T0_SG_SL_E_clISA_SA_SB_SB_EEDaSZ_S10_SG_SL_EUlSZ_E_NS1_11comp_targetILNS1_3genE0ELNS1_11target_archE4294967295ELNS1_3gpuE0ELNS1_3repE0EEENS1_47radix_sort_onesweep_sort_config_static_selectorELNS0_4arch9wavefront6targetE0EEEvSG_.num_agpr, 0
	.set _ZN7rocprim17ROCPRIM_400000_NS6detail17trampoline_kernelINS0_14default_configENS1_35radix_sort_onesweep_config_selectorIiNS0_10empty_typeEEEZZNS1_29radix_sort_onesweep_iterationIS3_Lb1EPKiPiPS5_SB_mNS0_19identity_decomposerENS1_16block_id_wrapperIjLb0EEEEE10hipError_tT1_PNSt15iterator_traitsISG_E10value_typeET2_T3_PNSH_ISM_E10value_typeET4_T5_PSR_SS_PNS1_23onesweep_lookback_stateEbbT6_jjT7_P12ihipStream_tbENKUlT_T0_SG_SL_E_clISA_SA_SB_SB_EEDaSZ_S10_SG_SL_EUlSZ_E_NS1_11comp_targetILNS1_3genE0ELNS1_11target_archE4294967295ELNS1_3gpuE0ELNS1_3repE0EEENS1_47radix_sort_onesweep_sort_config_static_selectorELNS0_4arch9wavefront6targetE0EEEvSG_.numbered_sgpr, 29
	.set _ZN7rocprim17ROCPRIM_400000_NS6detail17trampoline_kernelINS0_14default_configENS1_35radix_sort_onesweep_config_selectorIiNS0_10empty_typeEEEZZNS1_29radix_sort_onesweep_iterationIS3_Lb1EPKiPiPS5_SB_mNS0_19identity_decomposerENS1_16block_id_wrapperIjLb0EEEEE10hipError_tT1_PNSt15iterator_traitsISG_E10value_typeET2_T3_PNSH_ISM_E10value_typeET4_T5_PSR_SS_PNS1_23onesweep_lookback_stateEbbT6_jjT7_P12ihipStream_tbENKUlT_T0_SG_SL_E_clISA_SA_SB_SB_EEDaSZ_S10_SG_SL_EUlSZ_E_NS1_11comp_targetILNS1_3genE0ELNS1_11target_archE4294967295ELNS1_3gpuE0ELNS1_3repE0EEENS1_47radix_sort_onesweep_sort_config_static_selectorELNS0_4arch9wavefront6targetE0EEEvSG_.num_named_barrier, 0
	.set _ZN7rocprim17ROCPRIM_400000_NS6detail17trampoline_kernelINS0_14default_configENS1_35radix_sort_onesweep_config_selectorIiNS0_10empty_typeEEEZZNS1_29radix_sort_onesweep_iterationIS3_Lb1EPKiPiPS5_SB_mNS0_19identity_decomposerENS1_16block_id_wrapperIjLb0EEEEE10hipError_tT1_PNSt15iterator_traitsISG_E10value_typeET2_T3_PNSH_ISM_E10value_typeET4_T5_PSR_SS_PNS1_23onesweep_lookback_stateEbbT6_jjT7_P12ihipStream_tbENKUlT_T0_SG_SL_E_clISA_SA_SB_SB_EEDaSZ_S10_SG_SL_EUlSZ_E_NS1_11comp_targetILNS1_3genE0ELNS1_11target_archE4294967295ELNS1_3gpuE0ELNS1_3repE0EEENS1_47radix_sort_onesweep_sort_config_static_selectorELNS0_4arch9wavefront6targetE0EEEvSG_.private_seg_size, 0
	.set _ZN7rocprim17ROCPRIM_400000_NS6detail17trampoline_kernelINS0_14default_configENS1_35radix_sort_onesweep_config_selectorIiNS0_10empty_typeEEEZZNS1_29radix_sort_onesweep_iterationIS3_Lb1EPKiPiPS5_SB_mNS0_19identity_decomposerENS1_16block_id_wrapperIjLb0EEEEE10hipError_tT1_PNSt15iterator_traitsISG_E10value_typeET2_T3_PNSH_ISM_E10value_typeET4_T5_PSR_SS_PNS1_23onesweep_lookback_stateEbbT6_jjT7_P12ihipStream_tbENKUlT_T0_SG_SL_E_clISA_SA_SB_SB_EEDaSZ_S10_SG_SL_EUlSZ_E_NS1_11comp_targetILNS1_3genE0ELNS1_11target_archE4294967295ELNS1_3gpuE0ELNS1_3repE0EEENS1_47radix_sort_onesweep_sort_config_static_selectorELNS0_4arch9wavefront6targetE0EEEvSG_.uses_vcc, 1
	.set _ZN7rocprim17ROCPRIM_400000_NS6detail17trampoline_kernelINS0_14default_configENS1_35radix_sort_onesweep_config_selectorIiNS0_10empty_typeEEEZZNS1_29radix_sort_onesweep_iterationIS3_Lb1EPKiPiPS5_SB_mNS0_19identity_decomposerENS1_16block_id_wrapperIjLb0EEEEE10hipError_tT1_PNSt15iterator_traitsISG_E10value_typeET2_T3_PNSH_ISM_E10value_typeET4_T5_PSR_SS_PNS1_23onesweep_lookback_stateEbbT6_jjT7_P12ihipStream_tbENKUlT_T0_SG_SL_E_clISA_SA_SB_SB_EEDaSZ_S10_SG_SL_EUlSZ_E_NS1_11comp_targetILNS1_3genE0ELNS1_11target_archE4294967295ELNS1_3gpuE0ELNS1_3repE0EEENS1_47radix_sort_onesweep_sort_config_static_selectorELNS0_4arch9wavefront6targetE0EEEvSG_.uses_flat_scratch, 0
	.set _ZN7rocprim17ROCPRIM_400000_NS6detail17trampoline_kernelINS0_14default_configENS1_35radix_sort_onesweep_config_selectorIiNS0_10empty_typeEEEZZNS1_29radix_sort_onesweep_iterationIS3_Lb1EPKiPiPS5_SB_mNS0_19identity_decomposerENS1_16block_id_wrapperIjLb0EEEEE10hipError_tT1_PNSt15iterator_traitsISG_E10value_typeET2_T3_PNSH_ISM_E10value_typeET4_T5_PSR_SS_PNS1_23onesweep_lookback_stateEbbT6_jjT7_P12ihipStream_tbENKUlT_T0_SG_SL_E_clISA_SA_SB_SB_EEDaSZ_S10_SG_SL_EUlSZ_E_NS1_11comp_targetILNS1_3genE0ELNS1_11target_archE4294967295ELNS1_3gpuE0ELNS1_3repE0EEENS1_47radix_sort_onesweep_sort_config_static_selectorELNS0_4arch9wavefront6targetE0EEEvSG_.has_dyn_sized_stack, 0
	.set _ZN7rocprim17ROCPRIM_400000_NS6detail17trampoline_kernelINS0_14default_configENS1_35radix_sort_onesweep_config_selectorIiNS0_10empty_typeEEEZZNS1_29radix_sort_onesweep_iterationIS3_Lb1EPKiPiPS5_SB_mNS0_19identity_decomposerENS1_16block_id_wrapperIjLb0EEEEE10hipError_tT1_PNSt15iterator_traitsISG_E10value_typeET2_T3_PNSH_ISM_E10value_typeET4_T5_PSR_SS_PNS1_23onesweep_lookback_stateEbbT6_jjT7_P12ihipStream_tbENKUlT_T0_SG_SL_E_clISA_SA_SB_SB_EEDaSZ_S10_SG_SL_EUlSZ_E_NS1_11comp_targetILNS1_3genE0ELNS1_11target_archE4294967295ELNS1_3gpuE0ELNS1_3repE0EEENS1_47radix_sort_onesweep_sort_config_static_selectorELNS0_4arch9wavefront6targetE0EEEvSG_.has_recursion, 0
	.set _ZN7rocprim17ROCPRIM_400000_NS6detail17trampoline_kernelINS0_14default_configENS1_35radix_sort_onesweep_config_selectorIiNS0_10empty_typeEEEZZNS1_29radix_sort_onesweep_iterationIS3_Lb1EPKiPiPS5_SB_mNS0_19identity_decomposerENS1_16block_id_wrapperIjLb0EEEEE10hipError_tT1_PNSt15iterator_traitsISG_E10value_typeET2_T3_PNSH_ISM_E10value_typeET4_T5_PSR_SS_PNS1_23onesweep_lookback_stateEbbT6_jjT7_P12ihipStream_tbENKUlT_T0_SG_SL_E_clISA_SA_SB_SB_EEDaSZ_S10_SG_SL_EUlSZ_E_NS1_11comp_targetILNS1_3genE0ELNS1_11target_archE4294967295ELNS1_3gpuE0ELNS1_3repE0EEENS1_47radix_sort_onesweep_sort_config_static_selectorELNS0_4arch9wavefront6targetE0EEEvSG_.has_indirect_call, 0
	.section	.AMDGPU.csdata,"",@progbits
; Kernel info:
; codeLenInByte = 15468
; TotalNumSgprs: 31
; NumVgprs: 65
; ScratchSize: 0
; MemoryBound: 0
; FloatMode: 240
; IeeeMode: 1
; LDSByteSize: 18504 bytes/workgroup (compile time only)
; SGPRBlocks: 0
; VGPRBlocks: 4
; NumSGPRsForWavesPerEU: 31
; NumVGPRsForWavesPerEU: 65
; NamedBarCnt: 0
; Occupancy: 12
; WaveLimiterHint : 1
; COMPUTE_PGM_RSRC2:SCRATCH_EN: 0
; COMPUTE_PGM_RSRC2:USER_SGPR: 2
; COMPUTE_PGM_RSRC2:TRAP_HANDLER: 0
; COMPUTE_PGM_RSRC2:TGID_X_EN: 1
; COMPUTE_PGM_RSRC2:TGID_Y_EN: 0
; COMPUTE_PGM_RSRC2:TGID_Z_EN: 0
; COMPUTE_PGM_RSRC2:TIDIG_COMP_CNT: 2
	.section	.text._ZN7rocprim17ROCPRIM_400000_NS6detail17trampoline_kernelINS0_14default_configENS1_35radix_sort_onesweep_config_selectorIiNS0_10empty_typeEEEZZNS1_29radix_sort_onesweep_iterationIS3_Lb1EPKiPiPS5_SB_mNS0_19identity_decomposerENS1_16block_id_wrapperIjLb0EEEEE10hipError_tT1_PNSt15iterator_traitsISG_E10value_typeET2_T3_PNSH_ISM_E10value_typeET4_T5_PSR_SS_PNS1_23onesweep_lookback_stateEbbT6_jjT7_P12ihipStream_tbENKUlT_T0_SG_SL_E_clISA_SA_SB_SB_EEDaSZ_S10_SG_SL_EUlSZ_E_NS1_11comp_targetILNS1_3genE6ELNS1_11target_archE950ELNS1_3gpuE13ELNS1_3repE0EEENS1_47radix_sort_onesweep_sort_config_static_selectorELNS0_4arch9wavefront6targetE0EEEvSG_,"axG",@progbits,_ZN7rocprim17ROCPRIM_400000_NS6detail17trampoline_kernelINS0_14default_configENS1_35radix_sort_onesweep_config_selectorIiNS0_10empty_typeEEEZZNS1_29radix_sort_onesweep_iterationIS3_Lb1EPKiPiPS5_SB_mNS0_19identity_decomposerENS1_16block_id_wrapperIjLb0EEEEE10hipError_tT1_PNSt15iterator_traitsISG_E10value_typeET2_T3_PNSH_ISM_E10value_typeET4_T5_PSR_SS_PNS1_23onesweep_lookback_stateEbbT6_jjT7_P12ihipStream_tbENKUlT_T0_SG_SL_E_clISA_SA_SB_SB_EEDaSZ_S10_SG_SL_EUlSZ_E_NS1_11comp_targetILNS1_3genE6ELNS1_11target_archE950ELNS1_3gpuE13ELNS1_3repE0EEENS1_47radix_sort_onesweep_sort_config_static_selectorELNS0_4arch9wavefront6targetE0EEEvSG_,comdat
	.protected	_ZN7rocprim17ROCPRIM_400000_NS6detail17trampoline_kernelINS0_14default_configENS1_35radix_sort_onesweep_config_selectorIiNS0_10empty_typeEEEZZNS1_29radix_sort_onesweep_iterationIS3_Lb1EPKiPiPS5_SB_mNS0_19identity_decomposerENS1_16block_id_wrapperIjLb0EEEEE10hipError_tT1_PNSt15iterator_traitsISG_E10value_typeET2_T3_PNSH_ISM_E10value_typeET4_T5_PSR_SS_PNS1_23onesweep_lookback_stateEbbT6_jjT7_P12ihipStream_tbENKUlT_T0_SG_SL_E_clISA_SA_SB_SB_EEDaSZ_S10_SG_SL_EUlSZ_E_NS1_11comp_targetILNS1_3genE6ELNS1_11target_archE950ELNS1_3gpuE13ELNS1_3repE0EEENS1_47radix_sort_onesweep_sort_config_static_selectorELNS0_4arch9wavefront6targetE0EEEvSG_ ; -- Begin function _ZN7rocprim17ROCPRIM_400000_NS6detail17trampoline_kernelINS0_14default_configENS1_35radix_sort_onesweep_config_selectorIiNS0_10empty_typeEEEZZNS1_29radix_sort_onesweep_iterationIS3_Lb1EPKiPiPS5_SB_mNS0_19identity_decomposerENS1_16block_id_wrapperIjLb0EEEEE10hipError_tT1_PNSt15iterator_traitsISG_E10value_typeET2_T3_PNSH_ISM_E10value_typeET4_T5_PSR_SS_PNS1_23onesweep_lookback_stateEbbT6_jjT7_P12ihipStream_tbENKUlT_T0_SG_SL_E_clISA_SA_SB_SB_EEDaSZ_S10_SG_SL_EUlSZ_E_NS1_11comp_targetILNS1_3genE6ELNS1_11target_archE950ELNS1_3gpuE13ELNS1_3repE0EEENS1_47radix_sort_onesweep_sort_config_static_selectorELNS0_4arch9wavefront6targetE0EEEvSG_
	.globl	_ZN7rocprim17ROCPRIM_400000_NS6detail17trampoline_kernelINS0_14default_configENS1_35radix_sort_onesweep_config_selectorIiNS0_10empty_typeEEEZZNS1_29radix_sort_onesweep_iterationIS3_Lb1EPKiPiPS5_SB_mNS0_19identity_decomposerENS1_16block_id_wrapperIjLb0EEEEE10hipError_tT1_PNSt15iterator_traitsISG_E10value_typeET2_T3_PNSH_ISM_E10value_typeET4_T5_PSR_SS_PNS1_23onesweep_lookback_stateEbbT6_jjT7_P12ihipStream_tbENKUlT_T0_SG_SL_E_clISA_SA_SB_SB_EEDaSZ_S10_SG_SL_EUlSZ_E_NS1_11comp_targetILNS1_3genE6ELNS1_11target_archE950ELNS1_3gpuE13ELNS1_3repE0EEENS1_47radix_sort_onesweep_sort_config_static_selectorELNS0_4arch9wavefront6targetE0EEEvSG_
	.p2align	8
	.type	_ZN7rocprim17ROCPRIM_400000_NS6detail17trampoline_kernelINS0_14default_configENS1_35radix_sort_onesweep_config_selectorIiNS0_10empty_typeEEEZZNS1_29radix_sort_onesweep_iterationIS3_Lb1EPKiPiPS5_SB_mNS0_19identity_decomposerENS1_16block_id_wrapperIjLb0EEEEE10hipError_tT1_PNSt15iterator_traitsISG_E10value_typeET2_T3_PNSH_ISM_E10value_typeET4_T5_PSR_SS_PNS1_23onesweep_lookback_stateEbbT6_jjT7_P12ihipStream_tbENKUlT_T0_SG_SL_E_clISA_SA_SB_SB_EEDaSZ_S10_SG_SL_EUlSZ_E_NS1_11comp_targetILNS1_3genE6ELNS1_11target_archE950ELNS1_3gpuE13ELNS1_3repE0EEENS1_47radix_sort_onesweep_sort_config_static_selectorELNS0_4arch9wavefront6targetE0EEEvSG_,@function
_ZN7rocprim17ROCPRIM_400000_NS6detail17trampoline_kernelINS0_14default_configENS1_35radix_sort_onesweep_config_selectorIiNS0_10empty_typeEEEZZNS1_29radix_sort_onesweep_iterationIS3_Lb1EPKiPiPS5_SB_mNS0_19identity_decomposerENS1_16block_id_wrapperIjLb0EEEEE10hipError_tT1_PNSt15iterator_traitsISG_E10value_typeET2_T3_PNSH_ISM_E10value_typeET4_T5_PSR_SS_PNS1_23onesweep_lookback_stateEbbT6_jjT7_P12ihipStream_tbENKUlT_T0_SG_SL_E_clISA_SA_SB_SB_EEDaSZ_S10_SG_SL_EUlSZ_E_NS1_11comp_targetILNS1_3genE6ELNS1_11target_archE950ELNS1_3gpuE13ELNS1_3repE0EEENS1_47radix_sort_onesweep_sort_config_static_selectorELNS0_4arch9wavefront6targetE0EEEvSG_: ; @_ZN7rocprim17ROCPRIM_400000_NS6detail17trampoline_kernelINS0_14default_configENS1_35radix_sort_onesweep_config_selectorIiNS0_10empty_typeEEEZZNS1_29radix_sort_onesweep_iterationIS3_Lb1EPKiPiPS5_SB_mNS0_19identity_decomposerENS1_16block_id_wrapperIjLb0EEEEE10hipError_tT1_PNSt15iterator_traitsISG_E10value_typeET2_T3_PNSH_ISM_E10value_typeET4_T5_PSR_SS_PNS1_23onesweep_lookback_stateEbbT6_jjT7_P12ihipStream_tbENKUlT_T0_SG_SL_E_clISA_SA_SB_SB_EEDaSZ_S10_SG_SL_EUlSZ_E_NS1_11comp_targetILNS1_3genE6ELNS1_11target_archE950ELNS1_3gpuE13ELNS1_3repE0EEENS1_47radix_sort_onesweep_sort_config_static_selectorELNS0_4arch9wavefront6targetE0EEEvSG_
; %bb.0:
	.section	.rodata,"a",@progbits
	.p2align	6, 0x0
	.amdhsa_kernel _ZN7rocprim17ROCPRIM_400000_NS6detail17trampoline_kernelINS0_14default_configENS1_35radix_sort_onesweep_config_selectorIiNS0_10empty_typeEEEZZNS1_29radix_sort_onesweep_iterationIS3_Lb1EPKiPiPS5_SB_mNS0_19identity_decomposerENS1_16block_id_wrapperIjLb0EEEEE10hipError_tT1_PNSt15iterator_traitsISG_E10value_typeET2_T3_PNSH_ISM_E10value_typeET4_T5_PSR_SS_PNS1_23onesweep_lookback_stateEbbT6_jjT7_P12ihipStream_tbENKUlT_T0_SG_SL_E_clISA_SA_SB_SB_EEDaSZ_S10_SG_SL_EUlSZ_E_NS1_11comp_targetILNS1_3genE6ELNS1_11target_archE950ELNS1_3gpuE13ELNS1_3repE0EEENS1_47radix_sort_onesweep_sort_config_static_selectorELNS0_4arch9wavefront6targetE0EEEvSG_
		.amdhsa_group_segment_fixed_size 0
		.amdhsa_private_segment_fixed_size 0
		.amdhsa_kernarg_size 88
		.amdhsa_user_sgpr_count 2
		.amdhsa_user_sgpr_dispatch_ptr 0
		.amdhsa_user_sgpr_queue_ptr 0
		.amdhsa_user_sgpr_kernarg_segment_ptr 1
		.amdhsa_user_sgpr_dispatch_id 0
		.amdhsa_user_sgpr_kernarg_preload_length 0
		.amdhsa_user_sgpr_kernarg_preload_offset 0
		.amdhsa_user_sgpr_private_segment_size 0
		.amdhsa_wavefront_size32 1
		.amdhsa_uses_dynamic_stack 0
		.amdhsa_enable_private_segment 0
		.amdhsa_system_sgpr_workgroup_id_x 1
		.amdhsa_system_sgpr_workgroup_id_y 0
		.amdhsa_system_sgpr_workgroup_id_z 0
		.amdhsa_system_sgpr_workgroup_info 0
		.amdhsa_system_vgpr_workitem_id 0
		.amdhsa_next_free_vgpr 1
		.amdhsa_next_free_sgpr 1
		.amdhsa_named_barrier_count 0
		.amdhsa_reserve_vcc 0
		.amdhsa_float_round_mode_32 0
		.amdhsa_float_round_mode_16_64 0
		.amdhsa_float_denorm_mode_32 3
		.amdhsa_float_denorm_mode_16_64 3
		.amdhsa_fp16_overflow 0
		.amdhsa_memory_ordered 1
		.amdhsa_forward_progress 1
		.amdhsa_inst_pref_size 0
		.amdhsa_round_robin_scheduling 0
		.amdhsa_exception_fp_ieee_invalid_op 0
		.amdhsa_exception_fp_denorm_src 0
		.amdhsa_exception_fp_ieee_div_zero 0
		.amdhsa_exception_fp_ieee_overflow 0
		.amdhsa_exception_fp_ieee_underflow 0
		.amdhsa_exception_fp_ieee_inexact 0
		.amdhsa_exception_int_div_zero 0
	.end_amdhsa_kernel
	.section	.text._ZN7rocprim17ROCPRIM_400000_NS6detail17trampoline_kernelINS0_14default_configENS1_35radix_sort_onesweep_config_selectorIiNS0_10empty_typeEEEZZNS1_29radix_sort_onesweep_iterationIS3_Lb1EPKiPiPS5_SB_mNS0_19identity_decomposerENS1_16block_id_wrapperIjLb0EEEEE10hipError_tT1_PNSt15iterator_traitsISG_E10value_typeET2_T3_PNSH_ISM_E10value_typeET4_T5_PSR_SS_PNS1_23onesweep_lookback_stateEbbT6_jjT7_P12ihipStream_tbENKUlT_T0_SG_SL_E_clISA_SA_SB_SB_EEDaSZ_S10_SG_SL_EUlSZ_E_NS1_11comp_targetILNS1_3genE6ELNS1_11target_archE950ELNS1_3gpuE13ELNS1_3repE0EEENS1_47radix_sort_onesweep_sort_config_static_selectorELNS0_4arch9wavefront6targetE0EEEvSG_,"axG",@progbits,_ZN7rocprim17ROCPRIM_400000_NS6detail17trampoline_kernelINS0_14default_configENS1_35radix_sort_onesweep_config_selectorIiNS0_10empty_typeEEEZZNS1_29radix_sort_onesweep_iterationIS3_Lb1EPKiPiPS5_SB_mNS0_19identity_decomposerENS1_16block_id_wrapperIjLb0EEEEE10hipError_tT1_PNSt15iterator_traitsISG_E10value_typeET2_T3_PNSH_ISM_E10value_typeET4_T5_PSR_SS_PNS1_23onesweep_lookback_stateEbbT6_jjT7_P12ihipStream_tbENKUlT_T0_SG_SL_E_clISA_SA_SB_SB_EEDaSZ_S10_SG_SL_EUlSZ_E_NS1_11comp_targetILNS1_3genE6ELNS1_11target_archE950ELNS1_3gpuE13ELNS1_3repE0EEENS1_47radix_sort_onesweep_sort_config_static_selectorELNS0_4arch9wavefront6targetE0EEEvSG_,comdat
.Lfunc_end877:
	.size	_ZN7rocprim17ROCPRIM_400000_NS6detail17trampoline_kernelINS0_14default_configENS1_35radix_sort_onesweep_config_selectorIiNS0_10empty_typeEEEZZNS1_29radix_sort_onesweep_iterationIS3_Lb1EPKiPiPS5_SB_mNS0_19identity_decomposerENS1_16block_id_wrapperIjLb0EEEEE10hipError_tT1_PNSt15iterator_traitsISG_E10value_typeET2_T3_PNSH_ISM_E10value_typeET4_T5_PSR_SS_PNS1_23onesweep_lookback_stateEbbT6_jjT7_P12ihipStream_tbENKUlT_T0_SG_SL_E_clISA_SA_SB_SB_EEDaSZ_S10_SG_SL_EUlSZ_E_NS1_11comp_targetILNS1_3genE6ELNS1_11target_archE950ELNS1_3gpuE13ELNS1_3repE0EEENS1_47radix_sort_onesweep_sort_config_static_selectorELNS0_4arch9wavefront6targetE0EEEvSG_, .Lfunc_end877-_ZN7rocprim17ROCPRIM_400000_NS6detail17trampoline_kernelINS0_14default_configENS1_35radix_sort_onesweep_config_selectorIiNS0_10empty_typeEEEZZNS1_29radix_sort_onesweep_iterationIS3_Lb1EPKiPiPS5_SB_mNS0_19identity_decomposerENS1_16block_id_wrapperIjLb0EEEEE10hipError_tT1_PNSt15iterator_traitsISG_E10value_typeET2_T3_PNSH_ISM_E10value_typeET4_T5_PSR_SS_PNS1_23onesweep_lookback_stateEbbT6_jjT7_P12ihipStream_tbENKUlT_T0_SG_SL_E_clISA_SA_SB_SB_EEDaSZ_S10_SG_SL_EUlSZ_E_NS1_11comp_targetILNS1_3genE6ELNS1_11target_archE950ELNS1_3gpuE13ELNS1_3repE0EEENS1_47radix_sort_onesweep_sort_config_static_selectorELNS0_4arch9wavefront6targetE0EEEvSG_
                                        ; -- End function
	.set _ZN7rocprim17ROCPRIM_400000_NS6detail17trampoline_kernelINS0_14default_configENS1_35radix_sort_onesweep_config_selectorIiNS0_10empty_typeEEEZZNS1_29radix_sort_onesweep_iterationIS3_Lb1EPKiPiPS5_SB_mNS0_19identity_decomposerENS1_16block_id_wrapperIjLb0EEEEE10hipError_tT1_PNSt15iterator_traitsISG_E10value_typeET2_T3_PNSH_ISM_E10value_typeET4_T5_PSR_SS_PNS1_23onesweep_lookback_stateEbbT6_jjT7_P12ihipStream_tbENKUlT_T0_SG_SL_E_clISA_SA_SB_SB_EEDaSZ_S10_SG_SL_EUlSZ_E_NS1_11comp_targetILNS1_3genE6ELNS1_11target_archE950ELNS1_3gpuE13ELNS1_3repE0EEENS1_47radix_sort_onesweep_sort_config_static_selectorELNS0_4arch9wavefront6targetE0EEEvSG_.num_vgpr, 0
	.set _ZN7rocprim17ROCPRIM_400000_NS6detail17trampoline_kernelINS0_14default_configENS1_35radix_sort_onesweep_config_selectorIiNS0_10empty_typeEEEZZNS1_29radix_sort_onesweep_iterationIS3_Lb1EPKiPiPS5_SB_mNS0_19identity_decomposerENS1_16block_id_wrapperIjLb0EEEEE10hipError_tT1_PNSt15iterator_traitsISG_E10value_typeET2_T3_PNSH_ISM_E10value_typeET4_T5_PSR_SS_PNS1_23onesweep_lookback_stateEbbT6_jjT7_P12ihipStream_tbENKUlT_T0_SG_SL_E_clISA_SA_SB_SB_EEDaSZ_S10_SG_SL_EUlSZ_E_NS1_11comp_targetILNS1_3genE6ELNS1_11target_archE950ELNS1_3gpuE13ELNS1_3repE0EEENS1_47radix_sort_onesweep_sort_config_static_selectorELNS0_4arch9wavefront6targetE0EEEvSG_.num_agpr, 0
	.set _ZN7rocprim17ROCPRIM_400000_NS6detail17trampoline_kernelINS0_14default_configENS1_35radix_sort_onesweep_config_selectorIiNS0_10empty_typeEEEZZNS1_29radix_sort_onesweep_iterationIS3_Lb1EPKiPiPS5_SB_mNS0_19identity_decomposerENS1_16block_id_wrapperIjLb0EEEEE10hipError_tT1_PNSt15iterator_traitsISG_E10value_typeET2_T3_PNSH_ISM_E10value_typeET4_T5_PSR_SS_PNS1_23onesweep_lookback_stateEbbT6_jjT7_P12ihipStream_tbENKUlT_T0_SG_SL_E_clISA_SA_SB_SB_EEDaSZ_S10_SG_SL_EUlSZ_E_NS1_11comp_targetILNS1_3genE6ELNS1_11target_archE950ELNS1_3gpuE13ELNS1_3repE0EEENS1_47radix_sort_onesweep_sort_config_static_selectorELNS0_4arch9wavefront6targetE0EEEvSG_.numbered_sgpr, 0
	.set _ZN7rocprim17ROCPRIM_400000_NS6detail17trampoline_kernelINS0_14default_configENS1_35radix_sort_onesweep_config_selectorIiNS0_10empty_typeEEEZZNS1_29radix_sort_onesweep_iterationIS3_Lb1EPKiPiPS5_SB_mNS0_19identity_decomposerENS1_16block_id_wrapperIjLb0EEEEE10hipError_tT1_PNSt15iterator_traitsISG_E10value_typeET2_T3_PNSH_ISM_E10value_typeET4_T5_PSR_SS_PNS1_23onesweep_lookback_stateEbbT6_jjT7_P12ihipStream_tbENKUlT_T0_SG_SL_E_clISA_SA_SB_SB_EEDaSZ_S10_SG_SL_EUlSZ_E_NS1_11comp_targetILNS1_3genE6ELNS1_11target_archE950ELNS1_3gpuE13ELNS1_3repE0EEENS1_47radix_sort_onesweep_sort_config_static_selectorELNS0_4arch9wavefront6targetE0EEEvSG_.num_named_barrier, 0
	.set _ZN7rocprim17ROCPRIM_400000_NS6detail17trampoline_kernelINS0_14default_configENS1_35radix_sort_onesweep_config_selectorIiNS0_10empty_typeEEEZZNS1_29radix_sort_onesweep_iterationIS3_Lb1EPKiPiPS5_SB_mNS0_19identity_decomposerENS1_16block_id_wrapperIjLb0EEEEE10hipError_tT1_PNSt15iterator_traitsISG_E10value_typeET2_T3_PNSH_ISM_E10value_typeET4_T5_PSR_SS_PNS1_23onesweep_lookback_stateEbbT6_jjT7_P12ihipStream_tbENKUlT_T0_SG_SL_E_clISA_SA_SB_SB_EEDaSZ_S10_SG_SL_EUlSZ_E_NS1_11comp_targetILNS1_3genE6ELNS1_11target_archE950ELNS1_3gpuE13ELNS1_3repE0EEENS1_47radix_sort_onesweep_sort_config_static_selectorELNS0_4arch9wavefront6targetE0EEEvSG_.private_seg_size, 0
	.set _ZN7rocprim17ROCPRIM_400000_NS6detail17trampoline_kernelINS0_14default_configENS1_35radix_sort_onesweep_config_selectorIiNS0_10empty_typeEEEZZNS1_29radix_sort_onesweep_iterationIS3_Lb1EPKiPiPS5_SB_mNS0_19identity_decomposerENS1_16block_id_wrapperIjLb0EEEEE10hipError_tT1_PNSt15iterator_traitsISG_E10value_typeET2_T3_PNSH_ISM_E10value_typeET4_T5_PSR_SS_PNS1_23onesweep_lookback_stateEbbT6_jjT7_P12ihipStream_tbENKUlT_T0_SG_SL_E_clISA_SA_SB_SB_EEDaSZ_S10_SG_SL_EUlSZ_E_NS1_11comp_targetILNS1_3genE6ELNS1_11target_archE950ELNS1_3gpuE13ELNS1_3repE0EEENS1_47radix_sort_onesweep_sort_config_static_selectorELNS0_4arch9wavefront6targetE0EEEvSG_.uses_vcc, 0
	.set _ZN7rocprim17ROCPRIM_400000_NS6detail17trampoline_kernelINS0_14default_configENS1_35radix_sort_onesweep_config_selectorIiNS0_10empty_typeEEEZZNS1_29radix_sort_onesweep_iterationIS3_Lb1EPKiPiPS5_SB_mNS0_19identity_decomposerENS1_16block_id_wrapperIjLb0EEEEE10hipError_tT1_PNSt15iterator_traitsISG_E10value_typeET2_T3_PNSH_ISM_E10value_typeET4_T5_PSR_SS_PNS1_23onesweep_lookback_stateEbbT6_jjT7_P12ihipStream_tbENKUlT_T0_SG_SL_E_clISA_SA_SB_SB_EEDaSZ_S10_SG_SL_EUlSZ_E_NS1_11comp_targetILNS1_3genE6ELNS1_11target_archE950ELNS1_3gpuE13ELNS1_3repE0EEENS1_47radix_sort_onesweep_sort_config_static_selectorELNS0_4arch9wavefront6targetE0EEEvSG_.uses_flat_scratch, 0
	.set _ZN7rocprim17ROCPRIM_400000_NS6detail17trampoline_kernelINS0_14default_configENS1_35radix_sort_onesweep_config_selectorIiNS0_10empty_typeEEEZZNS1_29radix_sort_onesweep_iterationIS3_Lb1EPKiPiPS5_SB_mNS0_19identity_decomposerENS1_16block_id_wrapperIjLb0EEEEE10hipError_tT1_PNSt15iterator_traitsISG_E10value_typeET2_T3_PNSH_ISM_E10value_typeET4_T5_PSR_SS_PNS1_23onesweep_lookback_stateEbbT6_jjT7_P12ihipStream_tbENKUlT_T0_SG_SL_E_clISA_SA_SB_SB_EEDaSZ_S10_SG_SL_EUlSZ_E_NS1_11comp_targetILNS1_3genE6ELNS1_11target_archE950ELNS1_3gpuE13ELNS1_3repE0EEENS1_47radix_sort_onesweep_sort_config_static_selectorELNS0_4arch9wavefront6targetE0EEEvSG_.has_dyn_sized_stack, 0
	.set _ZN7rocprim17ROCPRIM_400000_NS6detail17trampoline_kernelINS0_14default_configENS1_35radix_sort_onesweep_config_selectorIiNS0_10empty_typeEEEZZNS1_29radix_sort_onesweep_iterationIS3_Lb1EPKiPiPS5_SB_mNS0_19identity_decomposerENS1_16block_id_wrapperIjLb0EEEEE10hipError_tT1_PNSt15iterator_traitsISG_E10value_typeET2_T3_PNSH_ISM_E10value_typeET4_T5_PSR_SS_PNS1_23onesweep_lookback_stateEbbT6_jjT7_P12ihipStream_tbENKUlT_T0_SG_SL_E_clISA_SA_SB_SB_EEDaSZ_S10_SG_SL_EUlSZ_E_NS1_11comp_targetILNS1_3genE6ELNS1_11target_archE950ELNS1_3gpuE13ELNS1_3repE0EEENS1_47radix_sort_onesweep_sort_config_static_selectorELNS0_4arch9wavefront6targetE0EEEvSG_.has_recursion, 0
	.set _ZN7rocprim17ROCPRIM_400000_NS6detail17trampoline_kernelINS0_14default_configENS1_35radix_sort_onesweep_config_selectorIiNS0_10empty_typeEEEZZNS1_29radix_sort_onesweep_iterationIS3_Lb1EPKiPiPS5_SB_mNS0_19identity_decomposerENS1_16block_id_wrapperIjLb0EEEEE10hipError_tT1_PNSt15iterator_traitsISG_E10value_typeET2_T3_PNSH_ISM_E10value_typeET4_T5_PSR_SS_PNS1_23onesweep_lookback_stateEbbT6_jjT7_P12ihipStream_tbENKUlT_T0_SG_SL_E_clISA_SA_SB_SB_EEDaSZ_S10_SG_SL_EUlSZ_E_NS1_11comp_targetILNS1_3genE6ELNS1_11target_archE950ELNS1_3gpuE13ELNS1_3repE0EEENS1_47radix_sort_onesweep_sort_config_static_selectorELNS0_4arch9wavefront6targetE0EEEvSG_.has_indirect_call, 0
	.section	.AMDGPU.csdata,"",@progbits
; Kernel info:
; codeLenInByte = 0
; TotalNumSgprs: 0
; NumVgprs: 0
; ScratchSize: 0
; MemoryBound: 0
; FloatMode: 240
; IeeeMode: 1
; LDSByteSize: 0 bytes/workgroup (compile time only)
; SGPRBlocks: 0
; VGPRBlocks: 0
; NumSGPRsForWavesPerEU: 1
; NumVGPRsForWavesPerEU: 1
; NamedBarCnt: 0
; Occupancy: 16
; WaveLimiterHint : 0
; COMPUTE_PGM_RSRC2:SCRATCH_EN: 0
; COMPUTE_PGM_RSRC2:USER_SGPR: 2
; COMPUTE_PGM_RSRC2:TRAP_HANDLER: 0
; COMPUTE_PGM_RSRC2:TGID_X_EN: 1
; COMPUTE_PGM_RSRC2:TGID_Y_EN: 0
; COMPUTE_PGM_RSRC2:TGID_Z_EN: 0
; COMPUTE_PGM_RSRC2:TIDIG_COMP_CNT: 0
	.section	.text._ZN7rocprim17ROCPRIM_400000_NS6detail17trampoline_kernelINS0_14default_configENS1_35radix_sort_onesweep_config_selectorIiNS0_10empty_typeEEEZZNS1_29radix_sort_onesweep_iterationIS3_Lb1EPKiPiPS5_SB_mNS0_19identity_decomposerENS1_16block_id_wrapperIjLb0EEEEE10hipError_tT1_PNSt15iterator_traitsISG_E10value_typeET2_T3_PNSH_ISM_E10value_typeET4_T5_PSR_SS_PNS1_23onesweep_lookback_stateEbbT6_jjT7_P12ihipStream_tbENKUlT_T0_SG_SL_E_clISA_SA_SB_SB_EEDaSZ_S10_SG_SL_EUlSZ_E_NS1_11comp_targetILNS1_3genE5ELNS1_11target_archE942ELNS1_3gpuE9ELNS1_3repE0EEENS1_47radix_sort_onesweep_sort_config_static_selectorELNS0_4arch9wavefront6targetE0EEEvSG_,"axG",@progbits,_ZN7rocprim17ROCPRIM_400000_NS6detail17trampoline_kernelINS0_14default_configENS1_35radix_sort_onesweep_config_selectorIiNS0_10empty_typeEEEZZNS1_29radix_sort_onesweep_iterationIS3_Lb1EPKiPiPS5_SB_mNS0_19identity_decomposerENS1_16block_id_wrapperIjLb0EEEEE10hipError_tT1_PNSt15iterator_traitsISG_E10value_typeET2_T3_PNSH_ISM_E10value_typeET4_T5_PSR_SS_PNS1_23onesweep_lookback_stateEbbT6_jjT7_P12ihipStream_tbENKUlT_T0_SG_SL_E_clISA_SA_SB_SB_EEDaSZ_S10_SG_SL_EUlSZ_E_NS1_11comp_targetILNS1_3genE5ELNS1_11target_archE942ELNS1_3gpuE9ELNS1_3repE0EEENS1_47radix_sort_onesweep_sort_config_static_selectorELNS0_4arch9wavefront6targetE0EEEvSG_,comdat
	.protected	_ZN7rocprim17ROCPRIM_400000_NS6detail17trampoline_kernelINS0_14default_configENS1_35radix_sort_onesweep_config_selectorIiNS0_10empty_typeEEEZZNS1_29radix_sort_onesweep_iterationIS3_Lb1EPKiPiPS5_SB_mNS0_19identity_decomposerENS1_16block_id_wrapperIjLb0EEEEE10hipError_tT1_PNSt15iterator_traitsISG_E10value_typeET2_T3_PNSH_ISM_E10value_typeET4_T5_PSR_SS_PNS1_23onesweep_lookback_stateEbbT6_jjT7_P12ihipStream_tbENKUlT_T0_SG_SL_E_clISA_SA_SB_SB_EEDaSZ_S10_SG_SL_EUlSZ_E_NS1_11comp_targetILNS1_3genE5ELNS1_11target_archE942ELNS1_3gpuE9ELNS1_3repE0EEENS1_47radix_sort_onesweep_sort_config_static_selectorELNS0_4arch9wavefront6targetE0EEEvSG_ ; -- Begin function _ZN7rocprim17ROCPRIM_400000_NS6detail17trampoline_kernelINS0_14default_configENS1_35radix_sort_onesweep_config_selectorIiNS0_10empty_typeEEEZZNS1_29radix_sort_onesweep_iterationIS3_Lb1EPKiPiPS5_SB_mNS0_19identity_decomposerENS1_16block_id_wrapperIjLb0EEEEE10hipError_tT1_PNSt15iterator_traitsISG_E10value_typeET2_T3_PNSH_ISM_E10value_typeET4_T5_PSR_SS_PNS1_23onesweep_lookback_stateEbbT6_jjT7_P12ihipStream_tbENKUlT_T0_SG_SL_E_clISA_SA_SB_SB_EEDaSZ_S10_SG_SL_EUlSZ_E_NS1_11comp_targetILNS1_3genE5ELNS1_11target_archE942ELNS1_3gpuE9ELNS1_3repE0EEENS1_47radix_sort_onesweep_sort_config_static_selectorELNS0_4arch9wavefront6targetE0EEEvSG_
	.globl	_ZN7rocprim17ROCPRIM_400000_NS6detail17trampoline_kernelINS0_14default_configENS1_35radix_sort_onesweep_config_selectorIiNS0_10empty_typeEEEZZNS1_29radix_sort_onesweep_iterationIS3_Lb1EPKiPiPS5_SB_mNS0_19identity_decomposerENS1_16block_id_wrapperIjLb0EEEEE10hipError_tT1_PNSt15iterator_traitsISG_E10value_typeET2_T3_PNSH_ISM_E10value_typeET4_T5_PSR_SS_PNS1_23onesweep_lookback_stateEbbT6_jjT7_P12ihipStream_tbENKUlT_T0_SG_SL_E_clISA_SA_SB_SB_EEDaSZ_S10_SG_SL_EUlSZ_E_NS1_11comp_targetILNS1_3genE5ELNS1_11target_archE942ELNS1_3gpuE9ELNS1_3repE0EEENS1_47radix_sort_onesweep_sort_config_static_selectorELNS0_4arch9wavefront6targetE0EEEvSG_
	.p2align	8
	.type	_ZN7rocprim17ROCPRIM_400000_NS6detail17trampoline_kernelINS0_14default_configENS1_35radix_sort_onesweep_config_selectorIiNS0_10empty_typeEEEZZNS1_29radix_sort_onesweep_iterationIS3_Lb1EPKiPiPS5_SB_mNS0_19identity_decomposerENS1_16block_id_wrapperIjLb0EEEEE10hipError_tT1_PNSt15iterator_traitsISG_E10value_typeET2_T3_PNSH_ISM_E10value_typeET4_T5_PSR_SS_PNS1_23onesweep_lookback_stateEbbT6_jjT7_P12ihipStream_tbENKUlT_T0_SG_SL_E_clISA_SA_SB_SB_EEDaSZ_S10_SG_SL_EUlSZ_E_NS1_11comp_targetILNS1_3genE5ELNS1_11target_archE942ELNS1_3gpuE9ELNS1_3repE0EEENS1_47radix_sort_onesweep_sort_config_static_selectorELNS0_4arch9wavefront6targetE0EEEvSG_,@function
_ZN7rocprim17ROCPRIM_400000_NS6detail17trampoline_kernelINS0_14default_configENS1_35radix_sort_onesweep_config_selectorIiNS0_10empty_typeEEEZZNS1_29radix_sort_onesweep_iterationIS3_Lb1EPKiPiPS5_SB_mNS0_19identity_decomposerENS1_16block_id_wrapperIjLb0EEEEE10hipError_tT1_PNSt15iterator_traitsISG_E10value_typeET2_T3_PNSH_ISM_E10value_typeET4_T5_PSR_SS_PNS1_23onesweep_lookback_stateEbbT6_jjT7_P12ihipStream_tbENKUlT_T0_SG_SL_E_clISA_SA_SB_SB_EEDaSZ_S10_SG_SL_EUlSZ_E_NS1_11comp_targetILNS1_3genE5ELNS1_11target_archE942ELNS1_3gpuE9ELNS1_3repE0EEENS1_47radix_sort_onesweep_sort_config_static_selectorELNS0_4arch9wavefront6targetE0EEEvSG_: ; @_ZN7rocprim17ROCPRIM_400000_NS6detail17trampoline_kernelINS0_14default_configENS1_35radix_sort_onesweep_config_selectorIiNS0_10empty_typeEEEZZNS1_29radix_sort_onesweep_iterationIS3_Lb1EPKiPiPS5_SB_mNS0_19identity_decomposerENS1_16block_id_wrapperIjLb0EEEEE10hipError_tT1_PNSt15iterator_traitsISG_E10value_typeET2_T3_PNSH_ISM_E10value_typeET4_T5_PSR_SS_PNS1_23onesweep_lookback_stateEbbT6_jjT7_P12ihipStream_tbENKUlT_T0_SG_SL_E_clISA_SA_SB_SB_EEDaSZ_S10_SG_SL_EUlSZ_E_NS1_11comp_targetILNS1_3genE5ELNS1_11target_archE942ELNS1_3gpuE9ELNS1_3repE0EEENS1_47radix_sort_onesweep_sort_config_static_selectorELNS0_4arch9wavefront6targetE0EEEvSG_
; %bb.0:
	.section	.rodata,"a",@progbits
	.p2align	6, 0x0
	.amdhsa_kernel _ZN7rocprim17ROCPRIM_400000_NS6detail17trampoline_kernelINS0_14default_configENS1_35radix_sort_onesweep_config_selectorIiNS0_10empty_typeEEEZZNS1_29radix_sort_onesweep_iterationIS3_Lb1EPKiPiPS5_SB_mNS0_19identity_decomposerENS1_16block_id_wrapperIjLb0EEEEE10hipError_tT1_PNSt15iterator_traitsISG_E10value_typeET2_T3_PNSH_ISM_E10value_typeET4_T5_PSR_SS_PNS1_23onesweep_lookback_stateEbbT6_jjT7_P12ihipStream_tbENKUlT_T0_SG_SL_E_clISA_SA_SB_SB_EEDaSZ_S10_SG_SL_EUlSZ_E_NS1_11comp_targetILNS1_3genE5ELNS1_11target_archE942ELNS1_3gpuE9ELNS1_3repE0EEENS1_47radix_sort_onesweep_sort_config_static_selectorELNS0_4arch9wavefront6targetE0EEEvSG_
		.amdhsa_group_segment_fixed_size 0
		.amdhsa_private_segment_fixed_size 0
		.amdhsa_kernarg_size 88
		.amdhsa_user_sgpr_count 2
		.amdhsa_user_sgpr_dispatch_ptr 0
		.amdhsa_user_sgpr_queue_ptr 0
		.amdhsa_user_sgpr_kernarg_segment_ptr 1
		.amdhsa_user_sgpr_dispatch_id 0
		.amdhsa_user_sgpr_kernarg_preload_length 0
		.amdhsa_user_sgpr_kernarg_preload_offset 0
		.amdhsa_user_sgpr_private_segment_size 0
		.amdhsa_wavefront_size32 1
		.amdhsa_uses_dynamic_stack 0
		.amdhsa_enable_private_segment 0
		.amdhsa_system_sgpr_workgroup_id_x 1
		.amdhsa_system_sgpr_workgroup_id_y 0
		.amdhsa_system_sgpr_workgroup_id_z 0
		.amdhsa_system_sgpr_workgroup_info 0
		.amdhsa_system_vgpr_workitem_id 0
		.amdhsa_next_free_vgpr 1
		.amdhsa_next_free_sgpr 1
		.amdhsa_named_barrier_count 0
		.amdhsa_reserve_vcc 0
		.amdhsa_float_round_mode_32 0
		.amdhsa_float_round_mode_16_64 0
		.amdhsa_float_denorm_mode_32 3
		.amdhsa_float_denorm_mode_16_64 3
		.amdhsa_fp16_overflow 0
		.amdhsa_memory_ordered 1
		.amdhsa_forward_progress 1
		.amdhsa_inst_pref_size 0
		.amdhsa_round_robin_scheduling 0
		.amdhsa_exception_fp_ieee_invalid_op 0
		.amdhsa_exception_fp_denorm_src 0
		.amdhsa_exception_fp_ieee_div_zero 0
		.amdhsa_exception_fp_ieee_overflow 0
		.amdhsa_exception_fp_ieee_underflow 0
		.amdhsa_exception_fp_ieee_inexact 0
		.amdhsa_exception_int_div_zero 0
	.end_amdhsa_kernel
	.section	.text._ZN7rocprim17ROCPRIM_400000_NS6detail17trampoline_kernelINS0_14default_configENS1_35radix_sort_onesweep_config_selectorIiNS0_10empty_typeEEEZZNS1_29radix_sort_onesweep_iterationIS3_Lb1EPKiPiPS5_SB_mNS0_19identity_decomposerENS1_16block_id_wrapperIjLb0EEEEE10hipError_tT1_PNSt15iterator_traitsISG_E10value_typeET2_T3_PNSH_ISM_E10value_typeET4_T5_PSR_SS_PNS1_23onesweep_lookback_stateEbbT6_jjT7_P12ihipStream_tbENKUlT_T0_SG_SL_E_clISA_SA_SB_SB_EEDaSZ_S10_SG_SL_EUlSZ_E_NS1_11comp_targetILNS1_3genE5ELNS1_11target_archE942ELNS1_3gpuE9ELNS1_3repE0EEENS1_47radix_sort_onesweep_sort_config_static_selectorELNS0_4arch9wavefront6targetE0EEEvSG_,"axG",@progbits,_ZN7rocprim17ROCPRIM_400000_NS6detail17trampoline_kernelINS0_14default_configENS1_35radix_sort_onesweep_config_selectorIiNS0_10empty_typeEEEZZNS1_29radix_sort_onesweep_iterationIS3_Lb1EPKiPiPS5_SB_mNS0_19identity_decomposerENS1_16block_id_wrapperIjLb0EEEEE10hipError_tT1_PNSt15iterator_traitsISG_E10value_typeET2_T3_PNSH_ISM_E10value_typeET4_T5_PSR_SS_PNS1_23onesweep_lookback_stateEbbT6_jjT7_P12ihipStream_tbENKUlT_T0_SG_SL_E_clISA_SA_SB_SB_EEDaSZ_S10_SG_SL_EUlSZ_E_NS1_11comp_targetILNS1_3genE5ELNS1_11target_archE942ELNS1_3gpuE9ELNS1_3repE0EEENS1_47radix_sort_onesweep_sort_config_static_selectorELNS0_4arch9wavefront6targetE0EEEvSG_,comdat
.Lfunc_end878:
	.size	_ZN7rocprim17ROCPRIM_400000_NS6detail17trampoline_kernelINS0_14default_configENS1_35radix_sort_onesweep_config_selectorIiNS0_10empty_typeEEEZZNS1_29radix_sort_onesweep_iterationIS3_Lb1EPKiPiPS5_SB_mNS0_19identity_decomposerENS1_16block_id_wrapperIjLb0EEEEE10hipError_tT1_PNSt15iterator_traitsISG_E10value_typeET2_T3_PNSH_ISM_E10value_typeET4_T5_PSR_SS_PNS1_23onesweep_lookback_stateEbbT6_jjT7_P12ihipStream_tbENKUlT_T0_SG_SL_E_clISA_SA_SB_SB_EEDaSZ_S10_SG_SL_EUlSZ_E_NS1_11comp_targetILNS1_3genE5ELNS1_11target_archE942ELNS1_3gpuE9ELNS1_3repE0EEENS1_47radix_sort_onesweep_sort_config_static_selectorELNS0_4arch9wavefront6targetE0EEEvSG_, .Lfunc_end878-_ZN7rocprim17ROCPRIM_400000_NS6detail17trampoline_kernelINS0_14default_configENS1_35radix_sort_onesweep_config_selectorIiNS0_10empty_typeEEEZZNS1_29radix_sort_onesweep_iterationIS3_Lb1EPKiPiPS5_SB_mNS0_19identity_decomposerENS1_16block_id_wrapperIjLb0EEEEE10hipError_tT1_PNSt15iterator_traitsISG_E10value_typeET2_T3_PNSH_ISM_E10value_typeET4_T5_PSR_SS_PNS1_23onesweep_lookback_stateEbbT6_jjT7_P12ihipStream_tbENKUlT_T0_SG_SL_E_clISA_SA_SB_SB_EEDaSZ_S10_SG_SL_EUlSZ_E_NS1_11comp_targetILNS1_3genE5ELNS1_11target_archE942ELNS1_3gpuE9ELNS1_3repE0EEENS1_47radix_sort_onesweep_sort_config_static_selectorELNS0_4arch9wavefront6targetE0EEEvSG_
                                        ; -- End function
	.set _ZN7rocprim17ROCPRIM_400000_NS6detail17trampoline_kernelINS0_14default_configENS1_35radix_sort_onesweep_config_selectorIiNS0_10empty_typeEEEZZNS1_29radix_sort_onesweep_iterationIS3_Lb1EPKiPiPS5_SB_mNS0_19identity_decomposerENS1_16block_id_wrapperIjLb0EEEEE10hipError_tT1_PNSt15iterator_traitsISG_E10value_typeET2_T3_PNSH_ISM_E10value_typeET4_T5_PSR_SS_PNS1_23onesweep_lookback_stateEbbT6_jjT7_P12ihipStream_tbENKUlT_T0_SG_SL_E_clISA_SA_SB_SB_EEDaSZ_S10_SG_SL_EUlSZ_E_NS1_11comp_targetILNS1_3genE5ELNS1_11target_archE942ELNS1_3gpuE9ELNS1_3repE0EEENS1_47radix_sort_onesweep_sort_config_static_selectorELNS0_4arch9wavefront6targetE0EEEvSG_.num_vgpr, 0
	.set _ZN7rocprim17ROCPRIM_400000_NS6detail17trampoline_kernelINS0_14default_configENS1_35radix_sort_onesweep_config_selectorIiNS0_10empty_typeEEEZZNS1_29radix_sort_onesweep_iterationIS3_Lb1EPKiPiPS5_SB_mNS0_19identity_decomposerENS1_16block_id_wrapperIjLb0EEEEE10hipError_tT1_PNSt15iterator_traitsISG_E10value_typeET2_T3_PNSH_ISM_E10value_typeET4_T5_PSR_SS_PNS1_23onesweep_lookback_stateEbbT6_jjT7_P12ihipStream_tbENKUlT_T0_SG_SL_E_clISA_SA_SB_SB_EEDaSZ_S10_SG_SL_EUlSZ_E_NS1_11comp_targetILNS1_3genE5ELNS1_11target_archE942ELNS1_3gpuE9ELNS1_3repE0EEENS1_47radix_sort_onesweep_sort_config_static_selectorELNS0_4arch9wavefront6targetE0EEEvSG_.num_agpr, 0
	.set _ZN7rocprim17ROCPRIM_400000_NS6detail17trampoline_kernelINS0_14default_configENS1_35radix_sort_onesweep_config_selectorIiNS0_10empty_typeEEEZZNS1_29radix_sort_onesweep_iterationIS3_Lb1EPKiPiPS5_SB_mNS0_19identity_decomposerENS1_16block_id_wrapperIjLb0EEEEE10hipError_tT1_PNSt15iterator_traitsISG_E10value_typeET2_T3_PNSH_ISM_E10value_typeET4_T5_PSR_SS_PNS1_23onesweep_lookback_stateEbbT6_jjT7_P12ihipStream_tbENKUlT_T0_SG_SL_E_clISA_SA_SB_SB_EEDaSZ_S10_SG_SL_EUlSZ_E_NS1_11comp_targetILNS1_3genE5ELNS1_11target_archE942ELNS1_3gpuE9ELNS1_3repE0EEENS1_47radix_sort_onesweep_sort_config_static_selectorELNS0_4arch9wavefront6targetE0EEEvSG_.numbered_sgpr, 0
	.set _ZN7rocprim17ROCPRIM_400000_NS6detail17trampoline_kernelINS0_14default_configENS1_35radix_sort_onesweep_config_selectorIiNS0_10empty_typeEEEZZNS1_29radix_sort_onesweep_iterationIS3_Lb1EPKiPiPS5_SB_mNS0_19identity_decomposerENS1_16block_id_wrapperIjLb0EEEEE10hipError_tT1_PNSt15iterator_traitsISG_E10value_typeET2_T3_PNSH_ISM_E10value_typeET4_T5_PSR_SS_PNS1_23onesweep_lookback_stateEbbT6_jjT7_P12ihipStream_tbENKUlT_T0_SG_SL_E_clISA_SA_SB_SB_EEDaSZ_S10_SG_SL_EUlSZ_E_NS1_11comp_targetILNS1_3genE5ELNS1_11target_archE942ELNS1_3gpuE9ELNS1_3repE0EEENS1_47radix_sort_onesweep_sort_config_static_selectorELNS0_4arch9wavefront6targetE0EEEvSG_.num_named_barrier, 0
	.set _ZN7rocprim17ROCPRIM_400000_NS6detail17trampoline_kernelINS0_14default_configENS1_35radix_sort_onesweep_config_selectorIiNS0_10empty_typeEEEZZNS1_29radix_sort_onesweep_iterationIS3_Lb1EPKiPiPS5_SB_mNS0_19identity_decomposerENS1_16block_id_wrapperIjLb0EEEEE10hipError_tT1_PNSt15iterator_traitsISG_E10value_typeET2_T3_PNSH_ISM_E10value_typeET4_T5_PSR_SS_PNS1_23onesweep_lookback_stateEbbT6_jjT7_P12ihipStream_tbENKUlT_T0_SG_SL_E_clISA_SA_SB_SB_EEDaSZ_S10_SG_SL_EUlSZ_E_NS1_11comp_targetILNS1_3genE5ELNS1_11target_archE942ELNS1_3gpuE9ELNS1_3repE0EEENS1_47radix_sort_onesweep_sort_config_static_selectorELNS0_4arch9wavefront6targetE0EEEvSG_.private_seg_size, 0
	.set _ZN7rocprim17ROCPRIM_400000_NS6detail17trampoline_kernelINS0_14default_configENS1_35radix_sort_onesweep_config_selectorIiNS0_10empty_typeEEEZZNS1_29radix_sort_onesweep_iterationIS3_Lb1EPKiPiPS5_SB_mNS0_19identity_decomposerENS1_16block_id_wrapperIjLb0EEEEE10hipError_tT1_PNSt15iterator_traitsISG_E10value_typeET2_T3_PNSH_ISM_E10value_typeET4_T5_PSR_SS_PNS1_23onesweep_lookback_stateEbbT6_jjT7_P12ihipStream_tbENKUlT_T0_SG_SL_E_clISA_SA_SB_SB_EEDaSZ_S10_SG_SL_EUlSZ_E_NS1_11comp_targetILNS1_3genE5ELNS1_11target_archE942ELNS1_3gpuE9ELNS1_3repE0EEENS1_47radix_sort_onesweep_sort_config_static_selectorELNS0_4arch9wavefront6targetE0EEEvSG_.uses_vcc, 0
	.set _ZN7rocprim17ROCPRIM_400000_NS6detail17trampoline_kernelINS0_14default_configENS1_35radix_sort_onesweep_config_selectorIiNS0_10empty_typeEEEZZNS1_29radix_sort_onesweep_iterationIS3_Lb1EPKiPiPS5_SB_mNS0_19identity_decomposerENS1_16block_id_wrapperIjLb0EEEEE10hipError_tT1_PNSt15iterator_traitsISG_E10value_typeET2_T3_PNSH_ISM_E10value_typeET4_T5_PSR_SS_PNS1_23onesweep_lookback_stateEbbT6_jjT7_P12ihipStream_tbENKUlT_T0_SG_SL_E_clISA_SA_SB_SB_EEDaSZ_S10_SG_SL_EUlSZ_E_NS1_11comp_targetILNS1_3genE5ELNS1_11target_archE942ELNS1_3gpuE9ELNS1_3repE0EEENS1_47radix_sort_onesweep_sort_config_static_selectorELNS0_4arch9wavefront6targetE0EEEvSG_.uses_flat_scratch, 0
	.set _ZN7rocprim17ROCPRIM_400000_NS6detail17trampoline_kernelINS0_14default_configENS1_35radix_sort_onesweep_config_selectorIiNS0_10empty_typeEEEZZNS1_29radix_sort_onesweep_iterationIS3_Lb1EPKiPiPS5_SB_mNS0_19identity_decomposerENS1_16block_id_wrapperIjLb0EEEEE10hipError_tT1_PNSt15iterator_traitsISG_E10value_typeET2_T3_PNSH_ISM_E10value_typeET4_T5_PSR_SS_PNS1_23onesweep_lookback_stateEbbT6_jjT7_P12ihipStream_tbENKUlT_T0_SG_SL_E_clISA_SA_SB_SB_EEDaSZ_S10_SG_SL_EUlSZ_E_NS1_11comp_targetILNS1_3genE5ELNS1_11target_archE942ELNS1_3gpuE9ELNS1_3repE0EEENS1_47radix_sort_onesweep_sort_config_static_selectorELNS0_4arch9wavefront6targetE0EEEvSG_.has_dyn_sized_stack, 0
	.set _ZN7rocprim17ROCPRIM_400000_NS6detail17trampoline_kernelINS0_14default_configENS1_35radix_sort_onesweep_config_selectorIiNS0_10empty_typeEEEZZNS1_29radix_sort_onesweep_iterationIS3_Lb1EPKiPiPS5_SB_mNS0_19identity_decomposerENS1_16block_id_wrapperIjLb0EEEEE10hipError_tT1_PNSt15iterator_traitsISG_E10value_typeET2_T3_PNSH_ISM_E10value_typeET4_T5_PSR_SS_PNS1_23onesweep_lookback_stateEbbT6_jjT7_P12ihipStream_tbENKUlT_T0_SG_SL_E_clISA_SA_SB_SB_EEDaSZ_S10_SG_SL_EUlSZ_E_NS1_11comp_targetILNS1_3genE5ELNS1_11target_archE942ELNS1_3gpuE9ELNS1_3repE0EEENS1_47radix_sort_onesweep_sort_config_static_selectorELNS0_4arch9wavefront6targetE0EEEvSG_.has_recursion, 0
	.set _ZN7rocprim17ROCPRIM_400000_NS6detail17trampoline_kernelINS0_14default_configENS1_35radix_sort_onesweep_config_selectorIiNS0_10empty_typeEEEZZNS1_29radix_sort_onesweep_iterationIS3_Lb1EPKiPiPS5_SB_mNS0_19identity_decomposerENS1_16block_id_wrapperIjLb0EEEEE10hipError_tT1_PNSt15iterator_traitsISG_E10value_typeET2_T3_PNSH_ISM_E10value_typeET4_T5_PSR_SS_PNS1_23onesweep_lookback_stateEbbT6_jjT7_P12ihipStream_tbENKUlT_T0_SG_SL_E_clISA_SA_SB_SB_EEDaSZ_S10_SG_SL_EUlSZ_E_NS1_11comp_targetILNS1_3genE5ELNS1_11target_archE942ELNS1_3gpuE9ELNS1_3repE0EEENS1_47radix_sort_onesweep_sort_config_static_selectorELNS0_4arch9wavefront6targetE0EEEvSG_.has_indirect_call, 0
	.section	.AMDGPU.csdata,"",@progbits
; Kernel info:
; codeLenInByte = 0
; TotalNumSgprs: 0
; NumVgprs: 0
; ScratchSize: 0
; MemoryBound: 0
; FloatMode: 240
; IeeeMode: 1
; LDSByteSize: 0 bytes/workgroup (compile time only)
; SGPRBlocks: 0
; VGPRBlocks: 0
; NumSGPRsForWavesPerEU: 1
; NumVGPRsForWavesPerEU: 1
; NamedBarCnt: 0
; Occupancy: 16
; WaveLimiterHint : 0
; COMPUTE_PGM_RSRC2:SCRATCH_EN: 0
; COMPUTE_PGM_RSRC2:USER_SGPR: 2
; COMPUTE_PGM_RSRC2:TRAP_HANDLER: 0
; COMPUTE_PGM_RSRC2:TGID_X_EN: 1
; COMPUTE_PGM_RSRC2:TGID_Y_EN: 0
; COMPUTE_PGM_RSRC2:TGID_Z_EN: 0
; COMPUTE_PGM_RSRC2:TIDIG_COMP_CNT: 0
	.section	.text._ZN7rocprim17ROCPRIM_400000_NS6detail17trampoline_kernelINS0_14default_configENS1_35radix_sort_onesweep_config_selectorIiNS0_10empty_typeEEEZZNS1_29radix_sort_onesweep_iterationIS3_Lb1EPKiPiPS5_SB_mNS0_19identity_decomposerENS1_16block_id_wrapperIjLb0EEEEE10hipError_tT1_PNSt15iterator_traitsISG_E10value_typeET2_T3_PNSH_ISM_E10value_typeET4_T5_PSR_SS_PNS1_23onesweep_lookback_stateEbbT6_jjT7_P12ihipStream_tbENKUlT_T0_SG_SL_E_clISA_SA_SB_SB_EEDaSZ_S10_SG_SL_EUlSZ_E_NS1_11comp_targetILNS1_3genE2ELNS1_11target_archE906ELNS1_3gpuE6ELNS1_3repE0EEENS1_47radix_sort_onesweep_sort_config_static_selectorELNS0_4arch9wavefront6targetE0EEEvSG_,"axG",@progbits,_ZN7rocprim17ROCPRIM_400000_NS6detail17trampoline_kernelINS0_14default_configENS1_35radix_sort_onesweep_config_selectorIiNS0_10empty_typeEEEZZNS1_29radix_sort_onesweep_iterationIS3_Lb1EPKiPiPS5_SB_mNS0_19identity_decomposerENS1_16block_id_wrapperIjLb0EEEEE10hipError_tT1_PNSt15iterator_traitsISG_E10value_typeET2_T3_PNSH_ISM_E10value_typeET4_T5_PSR_SS_PNS1_23onesweep_lookback_stateEbbT6_jjT7_P12ihipStream_tbENKUlT_T0_SG_SL_E_clISA_SA_SB_SB_EEDaSZ_S10_SG_SL_EUlSZ_E_NS1_11comp_targetILNS1_3genE2ELNS1_11target_archE906ELNS1_3gpuE6ELNS1_3repE0EEENS1_47radix_sort_onesweep_sort_config_static_selectorELNS0_4arch9wavefront6targetE0EEEvSG_,comdat
	.protected	_ZN7rocprim17ROCPRIM_400000_NS6detail17trampoline_kernelINS0_14default_configENS1_35radix_sort_onesweep_config_selectorIiNS0_10empty_typeEEEZZNS1_29radix_sort_onesweep_iterationIS3_Lb1EPKiPiPS5_SB_mNS0_19identity_decomposerENS1_16block_id_wrapperIjLb0EEEEE10hipError_tT1_PNSt15iterator_traitsISG_E10value_typeET2_T3_PNSH_ISM_E10value_typeET4_T5_PSR_SS_PNS1_23onesweep_lookback_stateEbbT6_jjT7_P12ihipStream_tbENKUlT_T0_SG_SL_E_clISA_SA_SB_SB_EEDaSZ_S10_SG_SL_EUlSZ_E_NS1_11comp_targetILNS1_3genE2ELNS1_11target_archE906ELNS1_3gpuE6ELNS1_3repE0EEENS1_47radix_sort_onesweep_sort_config_static_selectorELNS0_4arch9wavefront6targetE0EEEvSG_ ; -- Begin function _ZN7rocprim17ROCPRIM_400000_NS6detail17trampoline_kernelINS0_14default_configENS1_35radix_sort_onesweep_config_selectorIiNS0_10empty_typeEEEZZNS1_29radix_sort_onesweep_iterationIS3_Lb1EPKiPiPS5_SB_mNS0_19identity_decomposerENS1_16block_id_wrapperIjLb0EEEEE10hipError_tT1_PNSt15iterator_traitsISG_E10value_typeET2_T3_PNSH_ISM_E10value_typeET4_T5_PSR_SS_PNS1_23onesweep_lookback_stateEbbT6_jjT7_P12ihipStream_tbENKUlT_T0_SG_SL_E_clISA_SA_SB_SB_EEDaSZ_S10_SG_SL_EUlSZ_E_NS1_11comp_targetILNS1_3genE2ELNS1_11target_archE906ELNS1_3gpuE6ELNS1_3repE0EEENS1_47radix_sort_onesweep_sort_config_static_selectorELNS0_4arch9wavefront6targetE0EEEvSG_
	.globl	_ZN7rocprim17ROCPRIM_400000_NS6detail17trampoline_kernelINS0_14default_configENS1_35radix_sort_onesweep_config_selectorIiNS0_10empty_typeEEEZZNS1_29radix_sort_onesweep_iterationIS3_Lb1EPKiPiPS5_SB_mNS0_19identity_decomposerENS1_16block_id_wrapperIjLb0EEEEE10hipError_tT1_PNSt15iterator_traitsISG_E10value_typeET2_T3_PNSH_ISM_E10value_typeET4_T5_PSR_SS_PNS1_23onesweep_lookback_stateEbbT6_jjT7_P12ihipStream_tbENKUlT_T0_SG_SL_E_clISA_SA_SB_SB_EEDaSZ_S10_SG_SL_EUlSZ_E_NS1_11comp_targetILNS1_3genE2ELNS1_11target_archE906ELNS1_3gpuE6ELNS1_3repE0EEENS1_47radix_sort_onesweep_sort_config_static_selectorELNS0_4arch9wavefront6targetE0EEEvSG_
	.p2align	8
	.type	_ZN7rocprim17ROCPRIM_400000_NS6detail17trampoline_kernelINS0_14default_configENS1_35radix_sort_onesweep_config_selectorIiNS0_10empty_typeEEEZZNS1_29radix_sort_onesweep_iterationIS3_Lb1EPKiPiPS5_SB_mNS0_19identity_decomposerENS1_16block_id_wrapperIjLb0EEEEE10hipError_tT1_PNSt15iterator_traitsISG_E10value_typeET2_T3_PNSH_ISM_E10value_typeET4_T5_PSR_SS_PNS1_23onesweep_lookback_stateEbbT6_jjT7_P12ihipStream_tbENKUlT_T0_SG_SL_E_clISA_SA_SB_SB_EEDaSZ_S10_SG_SL_EUlSZ_E_NS1_11comp_targetILNS1_3genE2ELNS1_11target_archE906ELNS1_3gpuE6ELNS1_3repE0EEENS1_47radix_sort_onesweep_sort_config_static_selectorELNS0_4arch9wavefront6targetE0EEEvSG_,@function
_ZN7rocprim17ROCPRIM_400000_NS6detail17trampoline_kernelINS0_14default_configENS1_35radix_sort_onesweep_config_selectorIiNS0_10empty_typeEEEZZNS1_29radix_sort_onesweep_iterationIS3_Lb1EPKiPiPS5_SB_mNS0_19identity_decomposerENS1_16block_id_wrapperIjLb0EEEEE10hipError_tT1_PNSt15iterator_traitsISG_E10value_typeET2_T3_PNSH_ISM_E10value_typeET4_T5_PSR_SS_PNS1_23onesweep_lookback_stateEbbT6_jjT7_P12ihipStream_tbENKUlT_T0_SG_SL_E_clISA_SA_SB_SB_EEDaSZ_S10_SG_SL_EUlSZ_E_NS1_11comp_targetILNS1_3genE2ELNS1_11target_archE906ELNS1_3gpuE6ELNS1_3repE0EEENS1_47radix_sort_onesweep_sort_config_static_selectorELNS0_4arch9wavefront6targetE0EEEvSG_: ; @_ZN7rocprim17ROCPRIM_400000_NS6detail17trampoline_kernelINS0_14default_configENS1_35radix_sort_onesweep_config_selectorIiNS0_10empty_typeEEEZZNS1_29radix_sort_onesweep_iterationIS3_Lb1EPKiPiPS5_SB_mNS0_19identity_decomposerENS1_16block_id_wrapperIjLb0EEEEE10hipError_tT1_PNSt15iterator_traitsISG_E10value_typeET2_T3_PNSH_ISM_E10value_typeET4_T5_PSR_SS_PNS1_23onesweep_lookback_stateEbbT6_jjT7_P12ihipStream_tbENKUlT_T0_SG_SL_E_clISA_SA_SB_SB_EEDaSZ_S10_SG_SL_EUlSZ_E_NS1_11comp_targetILNS1_3genE2ELNS1_11target_archE906ELNS1_3gpuE6ELNS1_3repE0EEENS1_47radix_sort_onesweep_sort_config_static_selectorELNS0_4arch9wavefront6targetE0EEEvSG_
; %bb.0:
	.section	.rodata,"a",@progbits
	.p2align	6, 0x0
	.amdhsa_kernel _ZN7rocprim17ROCPRIM_400000_NS6detail17trampoline_kernelINS0_14default_configENS1_35radix_sort_onesweep_config_selectorIiNS0_10empty_typeEEEZZNS1_29radix_sort_onesweep_iterationIS3_Lb1EPKiPiPS5_SB_mNS0_19identity_decomposerENS1_16block_id_wrapperIjLb0EEEEE10hipError_tT1_PNSt15iterator_traitsISG_E10value_typeET2_T3_PNSH_ISM_E10value_typeET4_T5_PSR_SS_PNS1_23onesweep_lookback_stateEbbT6_jjT7_P12ihipStream_tbENKUlT_T0_SG_SL_E_clISA_SA_SB_SB_EEDaSZ_S10_SG_SL_EUlSZ_E_NS1_11comp_targetILNS1_3genE2ELNS1_11target_archE906ELNS1_3gpuE6ELNS1_3repE0EEENS1_47radix_sort_onesweep_sort_config_static_selectorELNS0_4arch9wavefront6targetE0EEEvSG_
		.amdhsa_group_segment_fixed_size 0
		.amdhsa_private_segment_fixed_size 0
		.amdhsa_kernarg_size 88
		.amdhsa_user_sgpr_count 2
		.amdhsa_user_sgpr_dispatch_ptr 0
		.amdhsa_user_sgpr_queue_ptr 0
		.amdhsa_user_sgpr_kernarg_segment_ptr 1
		.amdhsa_user_sgpr_dispatch_id 0
		.amdhsa_user_sgpr_kernarg_preload_length 0
		.amdhsa_user_sgpr_kernarg_preload_offset 0
		.amdhsa_user_sgpr_private_segment_size 0
		.amdhsa_wavefront_size32 1
		.amdhsa_uses_dynamic_stack 0
		.amdhsa_enable_private_segment 0
		.amdhsa_system_sgpr_workgroup_id_x 1
		.amdhsa_system_sgpr_workgroup_id_y 0
		.amdhsa_system_sgpr_workgroup_id_z 0
		.amdhsa_system_sgpr_workgroup_info 0
		.amdhsa_system_vgpr_workitem_id 0
		.amdhsa_next_free_vgpr 1
		.amdhsa_next_free_sgpr 1
		.amdhsa_named_barrier_count 0
		.amdhsa_reserve_vcc 0
		.amdhsa_float_round_mode_32 0
		.amdhsa_float_round_mode_16_64 0
		.amdhsa_float_denorm_mode_32 3
		.amdhsa_float_denorm_mode_16_64 3
		.amdhsa_fp16_overflow 0
		.amdhsa_memory_ordered 1
		.amdhsa_forward_progress 1
		.amdhsa_inst_pref_size 0
		.amdhsa_round_robin_scheduling 0
		.amdhsa_exception_fp_ieee_invalid_op 0
		.amdhsa_exception_fp_denorm_src 0
		.amdhsa_exception_fp_ieee_div_zero 0
		.amdhsa_exception_fp_ieee_overflow 0
		.amdhsa_exception_fp_ieee_underflow 0
		.amdhsa_exception_fp_ieee_inexact 0
		.amdhsa_exception_int_div_zero 0
	.end_amdhsa_kernel
	.section	.text._ZN7rocprim17ROCPRIM_400000_NS6detail17trampoline_kernelINS0_14default_configENS1_35radix_sort_onesweep_config_selectorIiNS0_10empty_typeEEEZZNS1_29radix_sort_onesweep_iterationIS3_Lb1EPKiPiPS5_SB_mNS0_19identity_decomposerENS1_16block_id_wrapperIjLb0EEEEE10hipError_tT1_PNSt15iterator_traitsISG_E10value_typeET2_T3_PNSH_ISM_E10value_typeET4_T5_PSR_SS_PNS1_23onesweep_lookback_stateEbbT6_jjT7_P12ihipStream_tbENKUlT_T0_SG_SL_E_clISA_SA_SB_SB_EEDaSZ_S10_SG_SL_EUlSZ_E_NS1_11comp_targetILNS1_3genE2ELNS1_11target_archE906ELNS1_3gpuE6ELNS1_3repE0EEENS1_47radix_sort_onesweep_sort_config_static_selectorELNS0_4arch9wavefront6targetE0EEEvSG_,"axG",@progbits,_ZN7rocprim17ROCPRIM_400000_NS6detail17trampoline_kernelINS0_14default_configENS1_35radix_sort_onesweep_config_selectorIiNS0_10empty_typeEEEZZNS1_29radix_sort_onesweep_iterationIS3_Lb1EPKiPiPS5_SB_mNS0_19identity_decomposerENS1_16block_id_wrapperIjLb0EEEEE10hipError_tT1_PNSt15iterator_traitsISG_E10value_typeET2_T3_PNSH_ISM_E10value_typeET4_T5_PSR_SS_PNS1_23onesweep_lookback_stateEbbT6_jjT7_P12ihipStream_tbENKUlT_T0_SG_SL_E_clISA_SA_SB_SB_EEDaSZ_S10_SG_SL_EUlSZ_E_NS1_11comp_targetILNS1_3genE2ELNS1_11target_archE906ELNS1_3gpuE6ELNS1_3repE0EEENS1_47radix_sort_onesweep_sort_config_static_selectorELNS0_4arch9wavefront6targetE0EEEvSG_,comdat
.Lfunc_end879:
	.size	_ZN7rocprim17ROCPRIM_400000_NS6detail17trampoline_kernelINS0_14default_configENS1_35radix_sort_onesweep_config_selectorIiNS0_10empty_typeEEEZZNS1_29radix_sort_onesweep_iterationIS3_Lb1EPKiPiPS5_SB_mNS0_19identity_decomposerENS1_16block_id_wrapperIjLb0EEEEE10hipError_tT1_PNSt15iterator_traitsISG_E10value_typeET2_T3_PNSH_ISM_E10value_typeET4_T5_PSR_SS_PNS1_23onesweep_lookback_stateEbbT6_jjT7_P12ihipStream_tbENKUlT_T0_SG_SL_E_clISA_SA_SB_SB_EEDaSZ_S10_SG_SL_EUlSZ_E_NS1_11comp_targetILNS1_3genE2ELNS1_11target_archE906ELNS1_3gpuE6ELNS1_3repE0EEENS1_47radix_sort_onesweep_sort_config_static_selectorELNS0_4arch9wavefront6targetE0EEEvSG_, .Lfunc_end879-_ZN7rocprim17ROCPRIM_400000_NS6detail17trampoline_kernelINS0_14default_configENS1_35radix_sort_onesweep_config_selectorIiNS0_10empty_typeEEEZZNS1_29radix_sort_onesweep_iterationIS3_Lb1EPKiPiPS5_SB_mNS0_19identity_decomposerENS1_16block_id_wrapperIjLb0EEEEE10hipError_tT1_PNSt15iterator_traitsISG_E10value_typeET2_T3_PNSH_ISM_E10value_typeET4_T5_PSR_SS_PNS1_23onesweep_lookback_stateEbbT6_jjT7_P12ihipStream_tbENKUlT_T0_SG_SL_E_clISA_SA_SB_SB_EEDaSZ_S10_SG_SL_EUlSZ_E_NS1_11comp_targetILNS1_3genE2ELNS1_11target_archE906ELNS1_3gpuE6ELNS1_3repE0EEENS1_47radix_sort_onesweep_sort_config_static_selectorELNS0_4arch9wavefront6targetE0EEEvSG_
                                        ; -- End function
	.set _ZN7rocprim17ROCPRIM_400000_NS6detail17trampoline_kernelINS0_14default_configENS1_35radix_sort_onesweep_config_selectorIiNS0_10empty_typeEEEZZNS1_29radix_sort_onesweep_iterationIS3_Lb1EPKiPiPS5_SB_mNS0_19identity_decomposerENS1_16block_id_wrapperIjLb0EEEEE10hipError_tT1_PNSt15iterator_traitsISG_E10value_typeET2_T3_PNSH_ISM_E10value_typeET4_T5_PSR_SS_PNS1_23onesweep_lookback_stateEbbT6_jjT7_P12ihipStream_tbENKUlT_T0_SG_SL_E_clISA_SA_SB_SB_EEDaSZ_S10_SG_SL_EUlSZ_E_NS1_11comp_targetILNS1_3genE2ELNS1_11target_archE906ELNS1_3gpuE6ELNS1_3repE0EEENS1_47radix_sort_onesweep_sort_config_static_selectorELNS0_4arch9wavefront6targetE0EEEvSG_.num_vgpr, 0
	.set _ZN7rocprim17ROCPRIM_400000_NS6detail17trampoline_kernelINS0_14default_configENS1_35radix_sort_onesweep_config_selectorIiNS0_10empty_typeEEEZZNS1_29radix_sort_onesweep_iterationIS3_Lb1EPKiPiPS5_SB_mNS0_19identity_decomposerENS1_16block_id_wrapperIjLb0EEEEE10hipError_tT1_PNSt15iterator_traitsISG_E10value_typeET2_T3_PNSH_ISM_E10value_typeET4_T5_PSR_SS_PNS1_23onesweep_lookback_stateEbbT6_jjT7_P12ihipStream_tbENKUlT_T0_SG_SL_E_clISA_SA_SB_SB_EEDaSZ_S10_SG_SL_EUlSZ_E_NS1_11comp_targetILNS1_3genE2ELNS1_11target_archE906ELNS1_3gpuE6ELNS1_3repE0EEENS1_47radix_sort_onesweep_sort_config_static_selectorELNS0_4arch9wavefront6targetE0EEEvSG_.num_agpr, 0
	.set _ZN7rocprim17ROCPRIM_400000_NS6detail17trampoline_kernelINS0_14default_configENS1_35radix_sort_onesweep_config_selectorIiNS0_10empty_typeEEEZZNS1_29radix_sort_onesweep_iterationIS3_Lb1EPKiPiPS5_SB_mNS0_19identity_decomposerENS1_16block_id_wrapperIjLb0EEEEE10hipError_tT1_PNSt15iterator_traitsISG_E10value_typeET2_T3_PNSH_ISM_E10value_typeET4_T5_PSR_SS_PNS1_23onesweep_lookback_stateEbbT6_jjT7_P12ihipStream_tbENKUlT_T0_SG_SL_E_clISA_SA_SB_SB_EEDaSZ_S10_SG_SL_EUlSZ_E_NS1_11comp_targetILNS1_3genE2ELNS1_11target_archE906ELNS1_3gpuE6ELNS1_3repE0EEENS1_47radix_sort_onesweep_sort_config_static_selectorELNS0_4arch9wavefront6targetE0EEEvSG_.numbered_sgpr, 0
	.set _ZN7rocprim17ROCPRIM_400000_NS6detail17trampoline_kernelINS0_14default_configENS1_35radix_sort_onesweep_config_selectorIiNS0_10empty_typeEEEZZNS1_29radix_sort_onesweep_iterationIS3_Lb1EPKiPiPS5_SB_mNS0_19identity_decomposerENS1_16block_id_wrapperIjLb0EEEEE10hipError_tT1_PNSt15iterator_traitsISG_E10value_typeET2_T3_PNSH_ISM_E10value_typeET4_T5_PSR_SS_PNS1_23onesweep_lookback_stateEbbT6_jjT7_P12ihipStream_tbENKUlT_T0_SG_SL_E_clISA_SA_SB_SB_EEDaSZ_S10_SG_SL_EUlSZ_E_NS1_11comp_targetILNS1_3genE2ELNS1_11target_archE906ELNS1_3gpuE6ELNS1_3repE0EEENS1_47radix_sort_onesweep_sort_config_static_selectorELNS0_4arch9wavefront6targetE0EEEvSG_.num_named_barrier, 0
	.set _ZN7rocprim17ROCPRIM_400000_NS6detail17trampoline_kernelINS0_14default_configENS1_35radix_sort_onesweep_config_selectorIiNS0_10empty_typeEEEZZNS1_29radix_sort_onesweep_iterationIS3_Lb1EPKiPiPS5_SB_mNS0_19identity_decomposerENS1_16block_id_wrapperIjLb0EEEEE10hipError_tT1_PNSt15iterator_traitsISG_E10value_typeET2_T3_PNSH_ISM_E10value_typeET4_T5_PSR_SS_PNS1_23onesweep_lookback_stateEbbT6_jjT7_P12ihipStream_tbENKUlT_T0_SG_SL_E_clISA_SA_SB_SB_EEDaSZ_S10_SG_SL_EUlSZ_E_NS1_11comp_targetILNS1_3genE2ELNS1_11target_archE906ELNS1_3gpuE6ELNS1_3repE0EEENS1_47radix_sort_onesweep_sort_config_static_selectorELNS0_4arch9wavefront6targetE0EEEvSG_.private_seg_size, 0
	.set _ZN7rocprim17ROCPRIM_400000_NS6detail17trampoline_kernelINS0_14default_configENS1_35radix_sort_onesweep_config_selectorIiNS0_10empty_typeEEEZZNS1_29radix_sort_onesweep_iterationIS3_Lb1EPKiPiPS5_SB_mNS0_19identity_decomposerENS1_16block_id_wrapperIjLb0EEEEE10hipError_tT1_PNSt15iterator_traitsISG_E10value_typeET2_T3_PNSH_ISM_E10value_typeET4_T5_PSR_SS_PNS1_23onesweep_lookback_stateEbbT6_jjT7_P12ihipStream_tbENKUlT_T0_SG_SL_E_clISA_SA_SB_SB_EEDaSZ_S10_SG_SL_EUlSZ_E_NS1_11comp_targetILNS1_3genE2ELNS1_11target_archE906ELNS1_3gpuE6ELNS1_3repE0EEENS1_47radix_sort_onesweep_sort_config_static_selectorELNS0_4arch9wavefront6targetE0EEEvSG_.uses_vcc, 0
	.set _ZN7rocprim17ROCPRIM_400000_NS6detail17trampoline_kernelINS0_14default_configENS1_35radix_sort_onesweep_config_selectorIiNS0_10empty_typeEEEZZNS1_29radix_sort_onesweep_iterationIS3_Lb1EPKiPiPS5_SB_mNS0_19identity_decomposerENS1_16block_id_wrapperIjLb0EEEEE10hipError_tT1_PNSt15iterator_traitsISG_E10value_typeET2_T3_PNSH_ISM_E10value_typeET4_T5_PSR_SS_PNS1_23onesweep_lookback_stateEbbT6_jjT7_P12ihipStream_tbENKUlT_T0_SG_SL_E_clISA_SA_SB_SB_EEDaSZ_S10_SG_SL_EUlSZ_E_NS1_11comp_targetILNS1_3genE2ELNS1_11target_archE906ELNS1_3gpuE6ELNS1_3repE0EEENS1_47radix_sort_onesweep_sort_config_static_selectorELNS0_4arch9wavefront6targetE0EEEvSG_.uses_flat_scratch, 0
	.set _ZN7rocprim17ROCPRIM_400000_NS6detail17trampoline_kernelINS0_14default_configENS1_35radix_sort_onesweep_config_selectorIiNS0_10empty_typeEEEZZNS1_29radix_sort_onesweep_iterationIS3_Lb1EPKiPiPS5_SB_mNS0_19identity_decomposerENS1_16block_id_wrapperIjLb0EEEEE10hipError_tT1_PNSt15iterator_traitsISG_E10value_typeET2_T3_PNSH_ISM_E10value_typeET4_T5_PSR_SS_PNS1_23onesweep_lookback_stateEbbT6_jjT7_P12ihipStream_tbENKUlT_T0_SG_SL_E_clISA_SA_SB_SB_EEDaSZ_S10_SG_SL_EUlSZ_E_NS1_11comp_targetILNS1_3genE2ELNS1_11target_archE906ELNS1_3gpuE6ELNS1_3repE0EEENS1_47radix_sort_onesweep_sort_config_static_selectorELNS0_4arch9wavefront6targetE0EEEvSG_.has_dyn_sized_stack, 0
	.set _ZN7rocprim17ROCPRIM_400000_NS6detail17trampoline_kernelINS0_14default_configENS1_35radix_sort_onesweep_config_selectorIiNS0_10empty_typeEEEZZNS1_29radix_sort_onesweep_iterationIS3_Lb1EPKiPiPS5_SB_mNS0_19identity_decomposerENS1_16block_id_wrapperIjLb0EEEEE10hipError_tT1_PNSt15iterator_traitsISG_E10value_typeET2_T3_PNSH_ISM_E10value_typeET4_T5_PSR_SS_PNS1_23onesweep_lookback_stateEbbT6_jjT7_P12ihipStream_tbENKUlT_T0_SG_SL_E_clISA_SA_SB_SB_EEDaSZ_S10_SG_SL_EUlSZ_E_NS1_11comp_targetILNS1_3genE2ELNS1_11target_archE906ELNS1_3gpuE6ELNS1_3repE0EEENS1_47radix_sort_onesweep_sort_config_static_selectorELNS0_4arch9wavefront6targetE0EEEvSG_.has_recursion, 0
	.set _ZN7rocprim17ROCPRIM_400000_NS6detail17trampoline_kernelINS0_14default_configENS1_35radix_sort_onesweep_config_selectorIiNS0_10empty_typeEEEZZNS1_29radix_sort_onesweep_iterationIS3_Lb1EPKiPiPS5_SB_mNS0_19identity_decomposerENS1_16block_id_wrapperIjLb0EEEEE10hipError_tT1_PNSt15iterator_traitsISG_E10value_typeET2_T3_PNSH_ISM_E10value_typeET4_T5_PSR_SS_PNS1_23onesweep_lookback_stateEbbT6_jjT7_P12ihipStream_tbENKUlT_T0_SG_SL_E_clISA_SA_SB_SB_EEDaSZ_S10_SG_SL_EUlSZ_E_NS1_11comp_targetILNS1_3genE2ELNS1_11target_archE906ELNS1_3gpuE6ELNS1_3repE0EEENS1_47radix_sort_onesweep_sort_config_static_selectorELNS0_4arch9wavefront6targetE0EEEvSG_.has_indirect_call, 0
	.section	.AMDGPU.csdata,"",@progbits
; Kernel info:
; codeLenInByte = 0
; TotalNumSgprs: 0
; NumVgprs: 0
; ScratchSize: 0
; MemoryBound: 0
; FloatMode: 240
; IeeeMode: 1
; LDSByteSize: 0 bytes/workgroup (compile time only)
; SGPRBlocks: 0
; VGPRBlocks: 0
; NumSGPRsForWavesPerEU: 1
; NumVGPRsForWavesPerEU: 1
; NamedBarCnt: 0
; Occupancy: 16
; WaveLimiterHint : 0
; COMPUTE_PGM_RSRC2:SCRATCH_EN: 0
; COMPUTE_PGM_RSRC2:USER_SGPR: 2
; COMPUTE_PGM_RSRC2:TRAP_HANDLER: 0
; COMPUTE_PGM_RSRC2:TGID_X_EN: 1
; COMPUTE_PGM_RSRC2:TGID_Y_EN: 0
; COMPUTE_PGM_RSRC2:TGID_Z_EN: 0
; COMPUTE_PGM_RSRC2:TIDIG_COMP_CNT: 0
	.section	.text._ZN7rocprim17ROCPRIM_400000_NS6detail17trampoline_kernelINS0_14default_configENS1_35radix_sort_onesweep_config_selectorIiNS0_10empty_typeEEEZZNS1_29radix_sort_onesweep_iterationIS3_Lb1EPKiPiPS5_SB_mNS0_19identity_decomposerENS1_16block_id_wrapperIjLb0EEEEE10hipError_tT1_PNSt15iterator_traitsISG_E10value_typeET2_T3_PNSH_ISM_E10value_typeET4_T5_PSR_SS_PNS1_23onesweep_lookback_stateEbbT6_jjT7_P12ihipStream_tbENKUlT_T0_SG_SL_E_clISA_SA_SB_SB_EEDaSZ_S10_SG_SL_EUlSZ_E_NS1_11comp_targetILNS1_3genE4ELNS1_11target_archE910ELNS1_3gpuE8ELNS1_3repE0EEENS1_47radix_sort_onesweep_sort_config_static_selectorELNS0_4arch9wavefront6targetE0EEEvSG_,"axG",@progbits,_ZN7rocprim17ROCPRIM_400000_NS6detail17trampoline_kernelINS0_14default_configENS1_35radix_sort_onesweep_config_selectorIiNS0_10empty_typeEEEZZNS1_29radix_sort_onesweep_iterationIS3_Lb1EPKiPiPS5_SB_mNS0_19identity_decomposerENS1_16block_id_wrapperIjLb0EEEEE10hipError_tT1_PNSt15iterator_traitsISG_E10value_typeET2_T3_PNSH_ISM_E10value_typeET4_T5_PSR_SS_PNS1_23onesweep_lookback_stateEbbT6_jjT7_P12ihipStream_tbENKUlT_T0_SG_SL_E_clISA_SA_SB_SB_EEDaSZ_S10_SG_SL_EUlSZ_E_NS1_11comp_targetILNS1_3genE4ELNS1_11target_archE910ELNS1_3gpuE8ELNS1_3repE0EEENS1_47radix_sort_onesweep_sort_config_static_selectorELNS0_4arch9wavefront6targetE0EEEvSG_,comdat
	.protected	_ZN7rocprim17ROCPRIM_400000_NS6detail17trampoline_kernelINS0_14default_configENS1_35radix_sort_onesweep_config_selectorIiNS0_10empty_typeEEEZZNS1_29radix_sort_onesweep_iterationIS3_Lb1EPKiPiPS5_SB_mNS0_19identity_decomposerENS1_16block_id_wrapperIjLb0EEEEE10hipError_tT1_PNSt15iterator_traitsISG_E10value_typeET2_T3_PNSH_ISM_E10value_typeET4_T5_PSR_SS_PNS1_23onesweep_lookback_stateEbbT6_jjT7_P12ihipStream_tbENKUlT_T0_SG_SL_E_clISA_SA_SB_SB_EEDaSZ_S10_SG_SL_EUlSZ_E_NS1_11comp_targetILNS1_3genE4ELNS1_11target_archE910ELNS1_3gpuE8ELNS1_3repE0EEENS1_47radix_sort_onesweep_sort_config_static_selectorELNS0_4arch9wavefront6targetE0EEEvSG_ ; -- Begin function _ZN7rocprim17ROCPRIM_400000_NS6detail17trampoline_kernelINS0_14default_configENS1_35radix_sort_onesweep_config_selectorIiNS0_10empty_typeEEEZZNS1_29radix_sort_onesweep_iterationIS3_Lb1EPKiPiPS5_SB_mNS0_19identity_decomposerENS1_16block_id_wrapperIjLb0EEEEE10hipError_tT1_PNSt15iterator_traitsISG_E10value_typeET2_T3_PNSH_ISM_E10value_typeET4_T5_PSR_SS_PNS1_23onesweep_lookback_stateEbbT6_jjT7_P12ihipStream_tbENKUlT_T0_SG_SL_E_clISA_SA_SB_SB_EEDaSZ_S10_SG_SL_EUlSZ_E_NS1_11comp_targetILNS1_3genE4ELNS1_11target_archE910ELNS1_3gpuE8ELNS1_3repE0EEENS1_47radix_sort_onesweep_sort_config_static_selectorELNS0_4arch9wavefront6targetE0EEEvSG_
	.globl	_ZN7rocprim17ROCPRIM_400000_NS6detail17trampoline_kernelINS0_14default_configENS1_35radix_sort_onesweep_config_selectorIiNS0_10empty_typeEEEZZNS1_29radix_sort_onesweep_iterationIS3_Lb1EPKiPiPS5_SB_mNS0_19identity_decomposerENS1_16block_id_wrapperIjLb0EEEEE10hipError_tT1_PNSt15iterator_traitsISG_E10value_typeET2_T3_PNSH_ISM_E10value_typeET4_T5_PSR_SS_PNS1_23onesweep_lookback_stateEbbT6_jjT7_P12ihipStream_tbENKUlT_T0_SG_SL_E_clISA_SA_SB_SB_EEDaSZ_S10_SG_SL_EUlSZ_E_NS1_11comp_targetILNS1_3genE4ELNS1_11target_archE910ELNS1_3gpuE8ELNS1_3repE0EEENS1_47radix_sort_onesweep_sort_config_static_selectorELNS0_4arch9wavefront6targetE0EEEvSG_
	.p2align	8
	.type	_ZN7rocprim17ROCPRIM_400000_NS6detail17trampoline_kernelINS0_14default_configENS1_35radix_sort_onesweep_config_selectorIiNS0_10empty_typeEEEZZNS1_29radix_sort_onesweep_iterationIS3_Lb1EPKiPiPS5_SB_mNS0_19identity_decomposerENS1_16block_id_wrapperIjLb0EEEEE10hipError_tT1_PNSt15iterator_traitsISG_E10value_typeET2_T3_PNSH_ISM_E10value_typeET4_T5_PSR_SS_PNS1_23onesweep_lookback_stateEbbT6_jjT7_P12ihipStream_tbENKUlT_T0_SG_SL_E_clISA_SA_SB_SB_EEDaSZ_S10_SG_SL_EUlSZ_E_NS1_11comp_targetILNS1_3genE4ELNS1_11target_archE910ELNS1_3gpuE8ELNS1_3repE0EEENS1_47radix_sort_onesweep_sort_config_static_selectorELNS0_4arch9wavefront6targetE0EEEvSG_,@function
_ZN7rocprim17ROCPRIM_400000_NS6detail17trampoline_kernelINS0_14default_configENS1_35radix_sort_onesweep_config_selectorIiNS0_10empty_typeEEEZZNS1_29radix_sort_onesweep_iterationIS3_Lb1EPKiPiPS5_SB_mNS0_19identity_decomposerENS1_16block_id_wrapperIjLb0EEEEE10hipError_tT1_PNSt15iterator_traitsISG_E10value_typeET2_T3_PNSH_ISM_E10value_typeET4_T5_PSR_SS_PNS1_23onesweep_lookback_stateEbbT6_jjT7_P12ihipStream_tbENKUlT_T0_SG_SL_E_clISA_SA_SB_SB_EEDaSZ_S10_SG_SL_EUlSZ_E_NS1_11comp_targetILNS1_3genE4ELNS1_11target_archE910ELNS1_3gpuE8ELNS1_3repE0EEENS1_47radix_sort_onesweep_sort_config_static_selectorELNS0_4arch9wavefront6targetE0EEEvSG_: ; @_ZN7rocprim17ROCPRIM_400000_NS6detail17trampoline_kernelINS0_14default_configENS1_35radix_sort_onesweep_config_selectorIiNS0_10empty_typeEEEZZNS1_29radix_sort_onesweep_iterationIS3_Lb1EPKiPiPS5_SB_mNS0_19identity_decomposerENS1_16block_id_wrapperIjLb0EEEEE10hipError_tT1_PNSt15iterator_traitsISG_E10value_typeET2_T3_PNSH_ISM_E10value_typeET4_T5_PSR_SS_PNS1_23onesweep_lookback_stateEbbT6_jjT7_P12ihipStream_tbENKUlT_T0_SG_SL_E_clISA_SA_SB_SB_EEDaSZ_S10_SG_SL_EUlSZ_E_NS1_11comp_targetILNS1_3genE4ELNS1_11target_archE910ELNS1_3gpuE8ELNS1_3repE0EEENS1_47radix_sort_onesweep_sort_config_static_selectorELNS0_4arch9wavefront6targetE0EEEvSG_
; %bb.0:
	.section	.rodata,"a",@progbits
	.p2align	6, 0x0
	.amdhsa_kernel _ZN7rocprim17ROCPRIM_400000_NS6detail17trampoline_kernelINS0_14default_configENS1_35radix_sort_onesweep_config_selectorIiNS0_10empty_typeEEEZZNS1_29radix_sort_onesweep_iterationIS3_Lb1EPKiPiPS5_SB_mNS0_19identity_decomposerENS1_16block_id_wrapperIjLb0EEEEE10hipError_tT1_PNSt15iterator_traitsISG_E10value_typeET2_T3_PNSH_ISM_E10value_typeET4_T5_PSR_SS_PNS1_23onesweep_lookback_stateEbbT6_jjT7_P12ihipStream_tbENKUlT_T0_SG_SL_E_clISA_SA_SB_SB_EEDaSZ_S10_SG_SL_EUlSZ_E_NS1_11comp_targetILNS1_3genE4ELNS1_11target_archE910ELNS1_3gpuE8ELNS1_3repE0EEENS1_47radix_sort_onesweep_sort_config_static_selectorELNS0_4arch9wavefront6targetE0EEEvSG_
		.amdhsa_group_segment_fixed_size 0
		.amdhsa_private_segment_fixed_size 0
		.amdhsa_kernarg_size 88
		.amdhsa_user_sgpr_count 2
		.amdhsa_user_sgpr_dispatch_ptr 0
		.amdhsa_user_sgpr_queue_ptr 0
		.amdhsa_user_sgpr_kernarg_segment_ptr 1
		.amdhsa_user_sgpr_dispatch_id 0
		.amdhsa_user_sgpr_kernarg_preload_length 0
		.amdhsa_user_sgpr_kernarg_preload_offset 0
		.amdhsa_user_sgpr_private_segment_size 0
		.amdhsa_wavefront_size32 1
		.amdhsa_uses_dynamic_stack 0
		.amdhsa_enable_private_segment 0
		.amdhsa_system_sgpr_workgroup_id_x 1
		.amdhsa_system_sgpr_workgroup_id_y 0
		.amdhsa_system_sgpr_workgroup_id_z 0
		.amdhsa_system_sgpr_workgroup_info 0
		.amdhsa_system_vgpr_workitem_id 0
		.amdhsa_next_free_vgpr 1
		.amdhsa_next_free_sgpr 1
		.amdhsa_named_barrier_count 0
		.amdhsa_reserve_vcc 0
		.amdhsa_float_round_mode_32 0
		.amdhsa_float_round_mode_16_64 0
		.amdhsa_float_denorm_mode_32 3
		.amdhsa_float_denorm_mode_16_64 3
		.amdhsa_fp16_overflow 0
		.amdhsa_memory_ordered 1
		.amdhsa_forward_progress 1
		.amdhsa_inst_pref_size 0
		.amdhsa_round_robin_scheduling 0
		.amdhsa_exception_fp_ieee_invalid_op 0
		.amdhsa_exception_fp_denorm_src 0
		.amdhsa_exception_fp_ieee_div_zero 0
		.amdhsa_exception_fp_ieee_overflow 0
		.amdhsa_exception_fp_ieee_underflow 0
		.amdhsa_exception_fp_ieee_inexact 0
		.amdhsa_exception_int_div_zero 0
	.end_amdhsa_kernel
	.section	.text._ZN7rocprim17ROCPRIM_400000_NS6detail17trampoline_kernelINS0_14default_configENS1_35radix_sort_onesweep_config_selectorIiNS0_10empty_typeEEEZZNS1_29radix_sort_onesweep_iterationIS3_Lb1EPKiPiPS5_SB_mNS0_19identity_decomposerENS1_16block_id_wrapperIjLb0EEEEE10hipError_tT1_PNSt15iterator_traitsISG_E10value_typeET2_T3_PNSH_ISM_E10value_typeET4_T5_PSR_SS_PNS1_23onesweep_lookback_stateEbbT6_jjT7_P12ihipStream_tbENKUlT_T0_SG_SL_E_clISA_SA_SB_SB_EEDaSZ_S10_SG_SL_EUlSZ_E_NS1_11comp_targetILNS1_3genE4ELNS1_11target_archE910ELNS1_3gpuE8ELNS1_3repE0EEENS1_47radix_sort_onesweep_sort_config_static_selectorELNS0_4arch9wavefront6targetE0EEEvSG_,"axG",@progbits,_ZN7rocprim17ROCPRIM_400000_NS6detail17trampoline_kernelINS0_14default_configENS1_35radix_sort_onesweep_config_selectorIiNS0_10empty_typeEEEZZNS1_29radix_sort_onesweep_iterationIS3_Lb1EPKiPiPS5_SB_mNS0_19identity_decomposerENS1_16block_id_wrapperIjLb0EEEEE10hipError_tT1_PNSt15iterator_traitsISG_E10value_typeET2_T3_PNSH_ISM_E10value_typeET4_T5_PSR_SS_PNS1_23onesweep_lookback_stateEbbT6_jjT7_P12ihipStream_tbENKUlT_T0_SG_SL_E_clISA_SA_SB_SB_EEDaSZ_S10_SG_SL_EUlSZ_E_NS1_11comp_targetILNS1_3genE4ELNS1_11target_archE910ELNS1_3gpuE8ELNS1_3repE0EEENS1_47radix_sort_onesweep_sort_config_static_selectorELNS0_4arch9wavefront6targetE0EEEvSG_,comdat
.Lfunc_end880:
	.size	_ZN7rocprim17ROCPRIM_400000_NS6detail17trampoline_kernelINS0_14default_configENS1_35radix_sort_onesweep_config_selectorIiNS0_10empty_typeEEEZZNS1_29radix_sort_onesweep_iterationIS3_Lb1EPKiPiPS5_SB_mNS0_19identity_decomposerENS1_16block_id_wrapperIjLb0EEEEE10hipError_tT1_PNSt15iterator_traitsISG_E10value_typeET2_T3_PNSH_ISM_E10value_typeET4_T5_PSR_SS_PNS1_23onesweep_lookback_stateEbbT6_jjT7_P12ihipStream_tbENKUlT_T0_SG_SL_E_clISA_SA_SB_SB_EEDaSZ_S10_SG_SL_EUlSZ_E_NS1_11comp_targetILNS1_3genE4ELNS1_11target_archE910ELNS1_3gpuE8ELNS1_3repE0EEENS1_47radix_sort_onesweep_sort_config_static_selectorELNS0_4arch9wavefront6targetE0EEEvSG_, .Lfunc_end880-_ZN7rocprim17ROCPRIM_400000_NS6detail17trampoline_kernelINS0_14default_configENS1_35radix_sort_onesweep_config_selectorIiNS0_10empty_typeEEEZZNS1_29radix_sort_onesweep_iterationIS3_Lb1EPKiPiPS5_SB_mNS0_19identity_decomposerENS1_16block_id_wrapperIjLb0EEEEE10hipError_tT1_PNSt15iterator_traitsISG_E10value_typeET2_T3_PNSH_ISM_E10value_typeET4_T5_PSR_SS_PNS1_23onesweep_lookback_stateEbbT6_jjT7_P12ihipStream_tbENKUlT_T0_SG_SL_E_clISA_SA_SB_SB_EEDaSZ_S10_SG_SL_EUlSZ_E_NS1_11comp_targetILNS1_3genE4ELNS1_11target_archE910ELNS1_3gpuE8ELNS1_3repE0EEENS1_47radix_sort_onesweep_sort_config_static_selectorELNS0_4arch9wavefront6targetE0EEEvSG_
                                        ; -- End function
	.set _ZN7rocprim17ROCPRIM_400000_NS6detail17trampoline_kernelINS0_14default_configENS1_35radix_sort_onesweep_config_selectorIiNS0_10empty_typeEEEZZNS1_29radix_sort_onesweep_iterationIS3_Lb1EPKiPiPS5_SB_mNS0_19identity_decomposerENS1_16block_id_wrapperIjLb0EEEEE10hipError_tT1_PNSt15iterator_traitsISG_E10value_typeET2_T3_PNSH_ISM_E10value_typeET4_T5_PSR_SS_PNS1_23onesweep_lookback_stateEbbT6_jjT7_P12ihipStream_tbENKUlT_T0_SG_SL_E_clISA_SA_SB_SB_EEDaSZ_S10_SG_SL_EUlSZ_E_NS1_11comp_targetILNS1_3genE4ELNS1_11target_archE910ELNS1_3gpuE8ELNS1_3repE0EEENS1_47radix_sort_onesweep_sort_config_static_selectorELNS0_4arch9wavefront6targetE0EEEvSG_.num_vgpr, 0
	.set _ZN7rocprim17ROCPRIM_400000_NS6detail17trampoline_kernelINS0_14default_configENS1_35radix_sort_onesweep_config_selectorIiNS0_10empty_typeEEEZZNS1_29radix_sort_onesweep_iterationIS3_Lb1EPKiPiPS5_SB_mNS0_19identity_decomposerENS1_16block_id_wrapperIjLb0EEEEE10hipError_tT1_PNSt15iterator_traitsISG_E10value_typeET2_T3_PNSH_ISM_E10value_typeET4_T5_PSR_SS_PNS1_23onesweep_lookback_stateEbbT6_jjT7_P12ihipStream_tbENKUlT_T0_SG_SL_E_clISA_SA_SB_SB_EEDaSZ_S10_SG_SL_EUlSZ_E_NS1_11comp_targetILNS1_3genE4ELNS1_11target_archE910ELNS1_3gpuE8ELNS1_3repE0EEENS1_47radix_sort_onesweep_sort_config_static_selectorELNS0_4arch9wavefront6targetE0EEEvSG_.num_agpr, 0
	.set _ZN7rocprim17ROCPRIM_400000_NS6detail17trampoline_kernelINS0_14default_configENS1_35radix_sort_onesweep_config_selectorIiNS0_10empty_typeEEEZZNS1_29radix_sort_onesweep_iterationIS3_Lb1EPKiPiPS5_SB_mNS0_19identity_decomposerENS1_16block_id_wrapperIjLb0EEEEE10hipError_tT1_PNSt15iterator_traitsISG_E10value_typeET2_T3_PNSH_ISM_E10value_typeET4_T5_PSR_SS_PNS1_23onesweep_lookback_stateEbbT6_jjT7_P12ihipStream_tbENKUlT_T0_SG_SL_E_clISA_SA_SB_SB_EEDaSZ_S10_SG_SL_EUlSZ_E_NS1_11comp_targetILNS1_3genE4ELNS1_11target_archE910ELNS1_3gpuE8ELNS1_3repE0EEENS1_47radix_sort_onesweep_sort_config_static_selectorELNS0_4arch9wavefront6targetE0EEEvSG_.numbered_sgpr, 0
	.set _ZN7rocprim17ROCPRIM_400000_NS6detail17trampoline_kernelINS0_14default_configENS1_35radix_sort_onesweep_config_selectorIiNS0_10empty_typeEEEZZNS1_29radix_sort_onesweep_iterationIS3_Lb1EPKiPiPS5_SB_mNS0_19identity_decomposerENS1_16block_id_wrapperIjLb0EEEEE10hipError_tT1_PNSt15iterator_traitsISG_E10value_typeET2_T3_PNSH_ISM_E10value_typeET4_T5_PSR_SS_PNS1_23onesweep_lookback_stateEbbT6_jjT7_P12ihipStream_tbENKUlT_T0_SG_SL_E_clISA_SA_SB_SB_EEDaSZ_S10_SG_SL_EUlSZ_E_NS1_11comp_targetILNS1_3genE4ELNS1_11target_archE910ELNS1_3gpuE8ELNS1_3repE0EEENS1_47radix_sort_onesweep_sort_config_static_selectorELNS0_4arch9wavefront6targetE0EEEvSG_.num_named_barrier, 0
	.set _ZN7rocprim17ROCPRIM_400000_NS6detail17trampoline_kernelINS0_14default_configENS1_35radix_sort_onesweep_config_selectorIiNS0_10empty_typeEEEZZNS1_29radix_sort_onesweep_iterationIS3_Lb1EPKiPiPS5_SB_mNS0_19identity_decomposerENS1_16block_id_wrapperIjLb0EEEEE10hipError_tT1_PNSt15iterator_traitsISG_E10value_typeET2_T3_PNSH_ISM_E10value_typeET4_T5_PSR_SS_PNS1_23onesweep_lookback_stateEbbT6_jjT7_P12ihipStream_tbENKUlT_T0_SG_SL_E_clISA_SA_SB_SB_EEDaSZ_S10_SG_SL_EUlSZ_E_NS1_11comp_targetILNS1_3genE4ELNS1_11target_archE910ELNS1_3gpuE8ELNS1_3repE0EEENS1_47radix_sort_onesweep_sort_config_static_selectorELNS0_4arch9wavefront6targetE0EEEvSG_.private_seg_size, 0
	.set _ZN7rocprim17ROCPRIM_400000_NS6detail17trampoline_kernelINS0_14default_configENS1_35radix_sort_onesweep_config_selectorIiNS0_10empty_typeEEEZZNS1_29radix_sort_onesweep_iterationIS3_Lb1EPKiPiPS5_SB_mNS0_19identity_decomposerENS1_16block_id_wrapperIjLb0EEEEE10hipError_tT1_PNSt15iterator_traitsISG_E10value_typeET2_T3_PNSH_ISM_E10value_typeET4_T5_PSR_SS_PNS1_23onesweep_lookback_stateEbbT6_jjT7_P12ihipStream_tbENKUlT_T0_SG_SL_E_clISA_SA_SB_SB_EEDaSZ_S10_SG_SL_EUlSZ_E_NS1_11comp_targetILNS1_3genE4ELNS1_11target_archE910ELNS1_3gpuE8ELNS1_3repE0EEENS1_47radix_sort_onesweep_sort_config_static_selectorELNS0_4arch9wavefront6targetE0EEEvSG_.uses_vcc, 0
	.set _ZN7rocprim17ROCPRIM_400000_NS6detail17trampoline_kernelINS0_14default_configENS1_35radix_sort_onesweep_config_selectorIiNS0_10empty_typeEEEZZNS1_29radix_sort_onesweep_iterationIS3_Lb1EPKiPiPS5_SB_mNS0_19identity_decomposerENS1_16block_id_wrapperIjLb0EEEEE10hipError_tT1_PNSt15iterator_traitsISG_E10value_typeET2_T3_PNSH_ISM_E10value_typeET4_T5_PSR_SS_PNS1_23onesweep_lookback_stateEbbT6_jjT7_P12ihipStream_tbENKUlT_T0_SG_SL_E_clISA_SA_SB_SB_EEDaSZ_S10_SG_SL_EUlSZ_E_NS1_11comp_targetILNS1_3genE4ELNS1_11target_archE910ELNS1_3gpuE8ELNS1_3repE0EEENS1_47radix_sort_onesweep_sort_config_static_selectorELNS0_4arch9wavefront6targetE0EEEvSG_.uses_flat_scratch, 0
	.set _ZN7rocprim17ROCPRIM_400000_NS6detail17trampoline_kernelINS0_14default_configENS1_35radix_sort_onesweep_config_selectorIiNS0_10empty_typeEEEZZNS1_29radix_sort_onesweep_iterationIS3_Lb1EPKiPiPS5_SB_mNS0_19identity_decomposerENS1_16block_id_wrapperIjLb0EEEEE10hipError_tT1_PNSt15iterator_traitsISG_E10value_typeET2_T3_PNSH_ISM_E10value_typeET4_T5_PSR_SS_PNS1_23onesweep_lookback_stateEbbT6_jjT7_P12ihipStream_tbENKUlT_T0_SG_SL_E_clISA_SA_SB_SB_EEDaSZ_S10_SG_SL_EUlSZ_E_NS1_11comp_targetILNS1_3genE4ELNS1_11target_archE910ELNS1_3gpuE8ELNS1_3repE0EEENS1_47radix_sort_onesweep_sort_config_static_selectorELNS0_4arch9wavefront6targetE0EEEvSG_.has_dyn_sized_stack, 0
	.set _ZN7rocprim17ROCPRIM_400000_NS6detail17trampoline_kernelINS0_14default_configENS1_35radix_sort_onesweep_config_selectorIiNS0_10empty_typeEEEZZNS1_29radix_sort_onesweep_iterationIS3_Lb1EPKiPiPS5_SB_mNS0_19identity_decomposerENS1_16block_id_wrapperIjLb0EEEEE10hipError_tT1_PNSt15iterator_traitsISG_E10value_typeET2_T3_PNSH_ISM_E10value_typeET4_T5_PSR_SS_PNS1_23onesweep_lookback_stateEbbT6_jjT7_P12ihipStream_tbENKUlT_T0_SG_SL_E_clISA_SA_SB_SB_EEDaSZ_S10_SG_SL_EUlSZ_E_NS1_11comp_targetILNS1_3genE4ELNS1_11target_archE910ELNS1_3gpuE8ELNS1_3repE0EEENS1_47radix_sort_onesweep_sort_config_static_selectorELNS0_4arch9wavefront6targetE0EEEvSG_.has_recursion, 0
	.set _ZN7rocprim17ROCPRIM_400000_NS6detail17trampoline_kernelINS0_14default_configENS1_35radix_sort_onesweep_config_selectorIiNS0_10empty_typeEEEZZNS1_29radix_sort_onesweep_iterationIS3_Lb1EPKiPiPS5_SB_mNS0_19identity_decomposerENS1_16block_id_wrapperIjLb0EEEEE10hipError_tT1_PNSt15iterator_traitsISG_E10value_typeET2_T3_PNSH_ISM_E10value_typeET4_T5_PSR_SS_PNS1_23onesweep_lookback_stateEbbT6_jjT7_P12ihipStream_tbENKUlT_T0_SG_SL_E_clISA_SA_SB_SB_EEDaSZ_S10_SG_SL_EUlSZ_E_NS1_11comp_targetILNS1_3genE4ELNS1_11target_archE910ELNS1_3gpuE8ELNS1_3repE0EEENS1_47radix_sort_onesweep_sort_config_static_selectorELNS0_4arch9wavefront6targetE0EEEvSG_.has_indirect_call, 0
	.section	.AMDGPU.csdata,"",@progbits
; Kernel info:
; codeLenInByte = 0
; TotalNumSgprs: 0
; NumVgprs: 0
; ScratchSize: 0
; MemoryBound: 0
; FloatMode: 240
; IeeeMode: 1
; LDSByteSize: 0 bytes/workgroup (compile time only)
; SGPRBlocks: 0
; VGPRBlocks: 0
; NumSGPRsForWavesPerEU: 1
; NumVGPRsForWavesPerEU: 1
; NamedBarCnt: 0
; Occupancy: 16
; WaveLimiterHint : 0
; COMPUTE_PGM_RSRC2:SCRATCH_EN: 0
; COMPUTE_PGM_RSRC2:USER_SGPR: 2
; COMPUTE_PGM_RSRC2:TRAP_HANDLER: 0
; COMPUTE_PGM_RSRC2:TGID_X_EN: 1
; COMPUTE_PGM_RSRC2:TGID_Y_EN: 0
; COMPUTE_PGM_RSRC2:TGID_Z_EN: 0
; COMPUTE_PGM_RSRC2:TIDIG_COMP_CNT: 0
	.section	.text._ZN7rocprim17ROCPRIM_400000_NS6detail17trampoline_kernelINS0_14default_configENS1_35radix_sort_onesweep_config_selectorIiNS0_10empty_typeEEEZZNS1_29radix_sort_onesweep_iterationIS3_Lb1EPKiPiPS5_SB_mNS0_19identity_decomposerENS1_16block_id_wrapperIjLb0EEEEE10hipError_tT1_PNSt15iterator_traitsISG_E10value_typeET2_T3_PNSH_ISM_E10value_typeET4_T5_PSR_SS_PNS1_23onesweep_lookback_stateEbbT6_jjT7_P12ihipStream_tbENKUlT_T0_SG_SL_E_clISA_SA_SB_SB_EEDaSZ_S10_SG_SL_EUlSZ_E_NS1_11comp_targetILNS1_3genE3ELNS1_11target_archE908ELNS1_3gpuE7ELNS1_3repE0EEENS1_47radix_sort_onesweep_sort_config_static_selectorELNS0_4arch9wavefront6targetE0EEEvSG_,"axG",@progbits,_ZN7rocprim17ROCPRIM_400000_NS6detail17trampoline_kernelINS0_14default_configENS1_35radix_sort_onesweep_config_selectorIiNS0_10empty_typeEEEZZNS1_29radix_sort_onesweep_iterationIS3_Lb1EPKiPiPS5_SB_mNS0_19identity_decomposerENS1_16block_id_wrapperIjLb0EEEEE10hipError_tT1_PNSt15iterator_traitsISG_E10value_typeET2_T3_PNSH_ISM_E10value_typeET4_T5_PSR_SS_PNS1_23onesweep_lookback_stateEbbT6_jjT7_P12ihipStream_tbENKUlT_T0_SG_SL_E_clISA_SA_SB_SB_EEDaSZ_S10_SG_SL_EUlSZ_E_NS1_11comp_targetILNS1_3genE3ELNS1_11target_archE908ELNS1_3gpuE7ELNS1_3repE0EEENS1_47radix_sort_onesweep_sort_config_static_selectorELNS0_4arch9wavefront6targetE0EEEvSG_,comdat
	.protected	_ZN7rocprim17ROCPRIM_400000_NS6detail17trampoline_kernelINS0_14default_configENS1_35radix_sort_onesweep_config_selectorIiNS0_10empty_typeEEEZZNS1_29radix_sort_onesweep_iterationIS3_Lb1EPKiPiPS5_SB_mNS0_19identity_decomposerENS1_16block_id_wrapperIjLb0EEEEE10hipError_tT1_PNSt15iterator_traitsISG_E10value_typeET2_T3_PNSH_ISM_E10value_typeET4_T5_PSR_SS_PNS1_23onesweep_lookback_stateEbbT6_jjT7_P12ihipStream_tbENKUlT_T0_SG_SL_E_clISA_SA_SB_SB_EEDaSZ_S10_SG_SL_EUlSZ_E_NS1_11comp_targetILNS1_3genE3ELNS1_11target_archE908ELNS1_3gpuE7ELNS1_3repE0EEENS1_47radix_sort_onesweep_sort_config_static_selectorELNS0_4arch9wavefront6targetE0EEEvSG_ ; -- Begin function _ZN7rocprim17ROCPRIM_400000_NS6detail17trampoline_kernelINS0_14default_configENS1_35radix_sort_onesweep_config_selectorIiNS0_10empty_typeEEEZZNS1_29radix_sort_onesweep_iterationIS3_Lb1EPKiPiPS5_SB_mNS0_19identity_decomposerENS1_16block_id_wrapperIjLb0EEEEE10hipError_tT1_PNSt15iterator_traitsISG_E10value_typeET2_T3_PNSH_ISM_E10value_typeET4_T5_PSR_SS_PNS1_23onesweep_lookback_stateEbbT6_jjT7_P12ihipStream_tbENKUlT_T0_SG_SL_E_clISA_SA_SB_SB_EEDaSZ_S10_SG_SL_EUlSZ_E_NS1_11comp_targetILNS1_3genE3ELNS1_11target_archE908ELNS1_3gpuE7ELNS1_3repE0EEENS1_47radix_sort_onesweep_sort_config_static_selectorELNS0_4arch9wavefront6targetE0EEEvSG_
	.globl	_ZN7rocprim17ROCPRIM_400000_NS6detail17trampoline_kernelINS0_14default_configENS1_35radix_sort_onesweep_config_selectorIiNS0_10empty_typeEEEZZNS1_29radix_sort_onesweep_iterationIS3_Lb1EPKiPiPS5_SB_mNS0_19identity_decomposerENS1_16block_id_wrapperIjLb0EEEEE10hipError_tT1_PNSt15iterator_traitsISG_E10value_typeET2_T3_PNSH_ISM_E10value_typeET4_T5_PSR_SS_PNS1_23onesweep_lookback_stateEbbT6_jjT7_P12ihipStream_tbENKUlT_T0_SG_SL_E_clISA_SA_SB_SB_EEDaSZ_S10_SG_SL_EUlSZ_E_NS1_11comp_targetILNS1_3genE3ELNS1_11target_archE908ELNS1_3gpuE7ELNS1_3repE0EEENS1_47radix_sort_onesweep_sort_config_static_selectorELNS0_4arch9wavefront6targetE0EEEvSG_
	.p2align	8
	.type	_ZN7rocprim17ROCPRIM_400000_NS6detail17trampoline_kernelINS0_14default_configENS1_35radix_sort_onesweep_config_selectorIiNS0_10empty_typeEEEZZNS1_29radix_sort_onesweep_iterationIS3_Lb1EPKiPiPS5_SB_mNS0_19identity_decomposerENS1_16block_id_wrapperIjLb0EEEEE10hipError_tT1_PNSt15iterator_traitsISG_E10value_typeET2_T3_PNSH_ISM_E10value_typeET4_T5_PSR_SS_PNS1_23onesweep_lookback_stateEbbT6_jjT7_P12ihipStream_tbENKUlT_T0_SG_SL_E_clISA_SA_SB_SB_EEDaSZ_S10_SG_SL_EUlSZ_E_NS1_11comp_targetILNS1_3genE3ELNS1_11target_archE908ELNS1_3gpuE7ELNS1_3repE0EEENS1_47radix_sort_onesweep_sort_config_static_selectorELNS0_4arch9wavefront6targetE0EEEvSG_,@function
_ZN7rocprim17ROCPRIM_400000_NS6detail17trampoline_kernelINS0_14default_configENS1_35radix_sort_onesweep_config_selectorIiNS0_10empty_typeEEEZZNS1_29radix_sort_onesweep_iterationIS3_Lb1EPKiPiPS5_SB_mNS0_19identity_decomposerENS1_16block_id_wrapperIjLb0EEEEE10hipError_tT1_PNSt15iterator_traitsISG_E10value_typeET2_T3_PNSH_ISM_E10value_typeET4_T5_PSR_SS_PNS1_23onesweep_lookback_stateEbbT6_jjT7_P12ihipStream_tbENKUlT_T0_SG_SL_E_clISA_SA_SB_SB_EEDaSZ_S10_SG_SL_EUlSZ_E_NS1_11comp_targetILNS1_3genE3ELNS1_11target_archE908ELNS1_3gpuE7ELNS1_3repE0EEENS1_47radix_sort_onesweep_sort_config_static_selectorELNS0_4arch9wavefront6targetE0EEEvSG_: ; @_ZN7rocprim17ROCPRIM_400000_NS6detail17trampoline_kernelINS0_14default_configENS1_35radix_sort_onesweep_config_selectorIiNS0_10empty_typeEEEZZNS1_29radix_sort_onesweep_iterationIS3_Lb1EPKiPiPS5_SB_mNS0_19identity_decomposerENS1_16block_id_wrapperIjLb0EEEEE10hipError_tT1_PNSt15iterator_traitsISG_E10value_typeET2_T3_PNSH_ISM_E10value_typeET4_T5_PSR_SS_PNS1_23onesweep_lookback_stateEbbT6_jjT7_P12ihipStream_tbENKUlT_T0_SG_SL_E_clISA_SA_SB_SB_EEDaSZ_S10_SG_SL_EUlSZ_E_NS1_11comp_targetILNS1_3genE3ELNS1_11target_archE908ELNS1_3gpuE7ELNS1_3repE0EEENS1_47radix_sort_onesweep_sort_config_static_selectorELNS0_4arch9wavefront6targetE0EEEvSG_
; %bb.0:
	.section	.rodata,"a",@progbits
	.p2align	6, 0x0
	.amdhsa_kernel _ZN7rocprim17ROCPRIM_400000_NS6detail17trampoline_kernelINS0_14default_configENS1_35radix_sort_onesweep_config_selectorIiNS0_10empty_typeEEEZZNS1_29radix_sort_onesweep_iterationIS3_Lb1EPKiPiPS5_SB_mNS0_19identity_decomposerENS1_16block_id_wrapperIjLb0EEEEE10hipError_tT1_PNSt15iterator_traitsISG_E10value_typeET2_T3_PNSH_ISM_E10value_typeET4_T5_PSR_SS_PNS1_23onesweep_lookback_stateEbbT6_jjT7_P12ihipStream_tbENKUlT_T0_SG_SL_E_clISA_SA_SB_SB_EEDaSZ_S10_SG_SL_EUlSZ_E_NS1_11comp_targetILNS1_3genE3ELNS1_11target_archE908ELNS1_3gpuE7ELNS1_3repE0EEENS1_47radix_sort_onesweep_sort_config_static_selectorELNS0_4arch9wavefront6targetE0EEEvSG_
		.amdhsa_group_segment_fixed_size 0
		.amdhsa_private_segment_fixed_size 0
		.amdhsa_kernarg_size 88
		.amdhsa_user_sgpr_count 2
		.amdhsa_user_sgpr_dispatch_ptr 0
		.amdhsa_user_sgpr_queue_ptr 0
		.amdhsa_user_sgpr_kernarg_segment_ptr 1
		.amdhsa_user_sgpr_dispatch_id 0
		.amdhsa_user_sgpr_kernarg_preload_length 0
		.amdhsa_user_sgpr_kernarg_preload_offset 0
		.amdhsa_user_sgpr_private_segment_size 0
		.amdhsa_wavefront_size32 1
		.amdhsa_uses_dynamic_stack 0
		.amdhsa_enable_private_segment 0
		.amdhsa_system_sgpr_workgroup_id_x 1
		.amdhsa_system_sgpr_workgroup_id_y 0
		.amdhsa_system_sgpr_workgroup_id_z 0
		.amdhsa_system_sgpr_workgroup_info 0
		.amdhsa_system_vgpr_workitem_id 0
		.amdhsa_next_free_vgpr 1
		.amdhsa_next_free_sgpr 1
		.amdhsa_named_barrier_count 0
		.amdhsa_reserve_vcc 0
		.amdhsa_float_round_mode_32 0
		.amdhsa_float_round_mode_16_64 0
		.amdhsa_float_denorm_mode_32 3
		.amdhsa_float_denorm_mode_16_64 3
		.amdhsa_fp16_overflow 0
		.amdhsa_memory_ordered 1
		.amdhsa_forward_progress 1
		.amdhsa_inst_pref_size 0
		.amdhsa_round_robin_scheduling 0
		.amdhsa_exception_fp_ieee_invalid_op 0
		.amdhsa_exception_fp_denorm_src 0
		.amdhsa_exception_fp_ieee_div_zero 0
		.amdhsa_exception_fp_ieee_overflow 0
		.amdhsa_exception_fp_ieee_underflow 0
		.amdhsa_exception_fp_ieee_inexact 0
		.amdhsa_exception_int_div_zero 0
	.end_amdhsa_kernel
	.section	.text._ZN7rocprim17ROCPRIM_400000_NS6detail17trampoline_kernelINS0_14default_configENS1_35radix_sort_onesweep_config_selectorIiNS0_10empty_typeEEEZZNS1_29radix_sort_onesweep_iterationIS3_Lb1EPKiPiPS5_SB_mNS0_19identity_decomposerENS1_16block_id_wrapperIjLb0EEEEE10hipError_tT1_PNSt15iterator_traitsISG_E10value_typeET2_T3_PNSH_ISM_E10value_typeET4_T5_PSR_SS_PNS1_23onesweep_lookback_stateEbbT6_jjT7_P12ihipStream_tbENKUlT_T0_SG_SL_E_clISA_SA_SB_SB_EEDaSZ_S10_SG_SL_EUlSZ_E_NS1_11comp_targetILNS1_3genE3ELNS1_11target_archE908ELNS1_3gpuE7ELNS1_3repE0EEENS1_47radix_sort_onesweep_sort_config_static_selectorELNS0_4arch9wavefront6targetE0EEEvSG_,"axG",@progbits,_ZN7rocprim17ROCPRIM_400000_NS6detail17trampoline_kernelINS0_14default_configENS1_35radix_sort_onesweep_config_selectorIiNS0_10empty_typeEEEZZNS1_29radix_sort_onesweep_iterationIS3_Lb1EPKiPiPS5_SB_mNS0_19identity_decomposerENS1_16block_id_wrapperIjLb0EEEEE10hipError_tT1_PNSt15iterator_traitsISG_E10value_typeET2_T3_PNSH_ISM_E10value_typeET4_T5_PSR_SS_PNS1_23onesweep_lookback_stateEbbT6_jjT7_P12ihipStream_tbENKUlT_T0_SG_SL_E_clISA_SA_SB_SB_EEDaSZ_S10_SG_SL_EUlSZ_E_NS1_11comp_targetILNS1_3genE3ELNS1_11target_archE908ELNS1_3gpuE7ELNS1_3repE0EEENS1_47radix_sort_onesweep_sort_config_static_selectorELNS0_4arch9wavefront6targetE0EEEvSG_,comdat
.Lfunc_end881:
	.size	_ZN7rocprim17ROCPRIM_400000_NS6detail17trampoline_kernelINS0_14default_configENS1_35radix_sort_onesweep_config_selectorIiNS0_10empty_typeEEEZZNS1_29radix_sort_onesweep_iterationIS3_Lb1EPKiPiPS5_SB_mNS0_19identity_decomposerENS1_16block_id_wrapperIjLb0EEEEE10hipError_tT1_PNSt15iterator_traitsISG_E10value_typeET2_T3_PNSH_ISM_E10value_typeET4_T5_PSR_SS_PNS1_23onesweep_lookback_stateEbbT6_jjT7_P12ihipStream_tbENKUlT_T0_SG_SL_E_clISA_SA_SB_SB_EEDaSZ_S10_SG_SL_EUlSZ_E_NS1_11comp_targetILNS1_3genE3ELNS1_11target_archE908ELNS1_3gpuE7ELNS1_3repE0EEENS1_47radix_sort_onesweep_sort_config_static_selectorELNS0_4arch9wavefront6targetE0EEEvSG_, .Lfunc_end881-_ZN7rocprim17ROCPRIM_400000_NS6detail17trampoline_kernelINS0_14default_configENS1_35radix_sort_onesweep_config_selectorIiNS0_10empty_typeEEEZZNS1_29radix_sort_onesweep_iterationIS3_Lb1EPKiPiPS5_SB_mNS0_19identity_decomposerENS1_16block_id_wrapperIjLb0EEEEE10hipError_tT1_PNSt15iterator_traitsISG_E10value_typeET2_T3_PNSH_ISM_E10value_typeET4_T5_PSR_SS_PNS1_23onesweep_lookback_stateEbbT6_jjT7_P12ihipStream_tbENKUlT_T0_SG_SL_E_clISA_SA_SB_SB_EEDaSZ_S10_SG_SL_EUlSZ_E_NS1_11comp_targetILNS1_3genE3ELNS1_11target_archE908ELNS1_3gpuE7ELNS1_3repE0EEENS1_47radix_sort_onesweep_sort_config_static_selectorELNS0_4arch9wavefront6targetE0EEEvSG_
                                        ; -- End function
	.set _ZN7rocprim17ROCPRIM_400000_NS6detail17trampoline_kernelINS0_14default_configENS1_35radix_sort_onesweep_config_selectorIiNS0_10empty_typeEEEZZNS1_29radix_sort_onesweep_iterationIS3_Lb1EPKiPiPS5_SB_mNS0_19identity_decomposerENS1_16block_id_wrapperIjLb0EEEEE10hipError_tT1_PNSt15iterator_traitsISG_E10value_typeET2_T3_PNSH_ISM_E10value_typeET4_T5_PSR_SS_PNS1_23onesweep_lookback_stateEbbT6_jjT7_P12ihipStream_tbENKUlT_T0_SG_SL_E_clISA_SA_SB_SB_EEDaSZ_S10_SG_SL_EUlSZ_E_NS1_11comp_targetILNS1_3genE3ELNS1_11target_archE908ELNS1_3gpuE7ELNS1_3repE0EEENS1_47radix_sort_onesweep_sort_config_static_selectorELNS0_4arch9wavefront6targetE0EEEvSG_.num_vgpr, 0
	.set _ZN7rocprim17ROCPRIM_400000_NS6detail17trampoline_kernelINS0_14default_configENS1_35radix_sort_onesweep_config_selectorIiNS0_10empty_typeEEEZZNS1_29radix_sort_onesweep_iterationIS3_Lb1EPKiPiPS5_SB_mNS0_19identity_decomposerENS1_16block_id_wrapperIjLb0EEEEE10hipError_tT1_PNSt15iterator_traitsISG_E10value_typeET2_T3_PNSH_ISM_E10value_typeET4_T5_PSR_SS_PNS1_23onesweep_lookback_stateEbbT6_jjT7_P12ihipStream_tbENKUlT_T0_SG_SL_E_clISA_SA_SB_SB_EEDaSZ_S10_SG_SL_EUlSZ_E_NS1_11comp_targetILNS1_3genE3ELNS1_11target_archE908ELNS1_3gpuE7ELNS1_3repE0EEENS1_47radix_sort_onesweep_sort_config_static_selectorELNS0_4arch9wavefront6targetE0EEEvSG_.num_agpr, 0
	.set _ZN7rocprim17ROCPRIM_400000_NS6detail17trampoline_kernelINS0_14default_configENS1_35radix_sort_onesweep_config_selectorIiNS0_10empty_typeEEEZZNS1_29radix_sort_onesweep_iterationIS3_Lb1EPKiPiPS5_SB_mNS0_19identity_decomposerENS1_16block_id_wrapperIjLb0EEEEE10hipError_tT1_PNSt15iterator_traitsISG_E10value_typeET2_T3_PNSH_ISM_E10value_typeET4_T5_PSR_SS_PNS1_23onesweep_lookback_stateEbbT6_jjT7_P12ihipStream_tbENKUlT_T0_SG_SL_E_clISA_SA_SB_SB_EEDaSZ_S10_SG_SL_EUlSZ_E_NS1_11comp_targetILNS1_3genE3ELNS1_11target_archE908ELNS1_3gpuE7ELNS1_3repE0EEENS1_47radix_sort_onesweep_sort_config_static_selectorELNS0_4arch9wavefront6targetE0EEEvSG_.numbered_sgpr, 0
	.set _ZN7rocprim17ROCPRIM_400000_NS6detail17trampoline_kernelINS0_14default_configENS1_35radix_sort_onesweep_config_selectorIiNS0_10empty_typeEEEZZNS1_29radix_sort_onesweep_iterationIS3_Lb1EPKiPiPS5_SB_mNS0_19identity_decomposerENS1_16block_id_wrapperIjLb0EEEEE10hipError_tT1_PNSt15iterator_traitsISG_E10value_typeET2_T3_PNSH_ISM_E10value_typeET4_T5_PSR_SS_PNS1_23onesweep_lookback_stateEbbT6_jjT7_P12ihipStream_tbENKUlT_T0_SG_SL_E_clISA_SA_SB_SB_EEDaSZ_S10_SG_SL_EUlSZ_E_NS1_11comp_targetILNS1_3genE3ELNS1_11target_archE908ELNS1_3gpuE7ELNS1_3repE0EEENS1_47radix_sort_onesweep_sort_config_static_selectorELNS0_4arch9wavefront6targetE0EEEvSG_.num_named_barrier, 0
	.set _ZN7rocprim17ROCPRIM_400000_NS6detail17trampoline_kernelINS0_14default_configENS1_35radix_sort_onesweep_config_selectorIiNS0_10empty_typeEEEZZNS1_29radix_sort_onesweep_iterationIS3_Lb1EPKiPiPS5_SB_mNS0_19identity_decomposerENS1_16block_id_wrapperIjLb0EEEEE10hipError_tT1_PNSt15iterator_traitsISG_E10value_typeET2_T3_PNSH_ISM_E10value_typeET4_T5_PSR_SS_PNS1_23onesweep_lookback_stateEbbT6_jjT7_P12ihipStream_tbENKUlT_T0_SG_SL_E_clISA_SA_SB_SB_EEDaSZ_S10_SG_SL_EUlSZ_E_NS1_11comp_targetILNS1_3genE3ELNS1_11target_archE908ELNS1_3gpuE7ELNS1_3repE0EEENS1_47radix_sort_onesweep_sort_config_static_selectorELNS0_4arch9wavefront6targetE0EEEvSG_.private_seg_size, 0
	.set _ZN7rocprim17ROCPRIM_400000_NS6detail17trampoline_kernelINS0_14default_configENS1_35radix_sort_onesweep_config_selectorIiNS0_10empty_typeEEEZZNS1_29radix_sort_onesweep_iterationIS3_Lb1EPKiPiPS5_SB_mNS0_19identity_decomposerENS1_16block_id_wrapperIjLb0EEEEE10hipError_tT1_PNSt15iterator_traitsISG_E10value_typeET2_T3_PNSH_ISM_E10value_typeET4_T5_PSR_SS_PNS1_23onesweep_lookback_stateEbbT6_jjT7_P12ihipStream_tbENKUlT_T0_SG_SL_E_clISA_SA_SB_SB_EEDaSZ_S10_SG_SL_EUlSZ_E_NS1_11comp_targetILNS1_3genE3ELNS1_11target_archE908ELNS1_3gpuE7ELNS1_3repE0EEENS1_47radix_sort_onesweep_sort_config_static_selectorELNS0_4arch9wavefront6targetE0EEEvSG_.uses_vcc, 0
	.set _ZN7rocprim17ROCPRIM_400000_NS6detail17trampoline_kernelINS0_14default_configENS1_35radix_sort_onesweep_config_selectorIiNS0_10empty_typeEEEZZNS1_29radix_sort_onesweep_iterationIS3_Lb1EPKiPiPS5_SB_mNS0_19identity_decomposerENS1_16block_id_wrapperIjLb0EEEEE10hipError_tT1_PNSt15iterator_traitsISG_E10value_typeET2_T3_PNSH_ISM_E10value_typeET4_T5_PSR_SS_PNS1_23onesweep_lookback_stateEbbT6_jjT7_P12ihipStream_tbENKUlT_T0_SG_SL_E_clISA_SA_SB_SB_EEDaSZ_S10_SG_SL_EUlSZ_E_NS1_11comp_targetILNS1_3genE3ELNS1_11target_archE908ELNS1_3gpuE7ELNS1_3repE0EEENS1_47radix_sort_onesweep_sort_config_static_selectorELNS0_4arch9wavefront6targetE0EEEvSG_.uses_flat_scratch, 0
	.set _ZN7rocprim17ROCPRIM_400000_NS6detail17trampoline_kernelINS0_14default_configENS1_35radix_sort_onesweep_config_selectorIiNS0_10empty_typeEEEZZNS1_29radix_sort_onesweep_iterationIS3_Lb1EPKiPiPS5_SB_mNS0_19identity_decomposerENS1_16block_id_wrapperIjLb0EEEEE10hipError_tT1_PNSt15iterator_traitsISG_E10value_typeET2_T3_PNSH_ISM_E10value_typeET4_T5_PSR_SS_PNS1_23onesweep_lookback_stateEbbT6_jjT7_P12ihipStream_tbENKUlT_T0_SG_SL_E_clISA_SA_SB_SB_EEDaSZ_S10_SG_SL_EUlSZ_E_NS1_11comp_targetILNS1_3genE3ELNS1_11target_archE908ELNS1_3gpuE7ELNS1_3repE0EEENS1_47radix_sort_onesweep_sort_config_static_selectorELNS0_4arch9wavefront6targetE0EEEvSG_.has_dyn_sized_stack, 0
	.set _ZN7rocprim17ROCPRIM_400000_NS6detail17trampoline_kernelINS0_14default_configENS1_35radix_sort_onesweep_config_selectorIiNS0_10empty_typeEEEZZNS1_29radix_sort_onesweep_iterationIS3_Lb1EPKiPiPS5_SB_mNS0_19identity_decomposerENS1_16block_id_wrapperIjLb0EEEEE10hipError_tT1_PNSt15iterator_traitsISG_E10value_typeET2_T3_PNSH_ISM_E10value_typeET4_T5_PSR_SS_PNS1_23onesweep_lookback_stateEbbT6_jjT7_P12ihipStream_tbENKUlT_T0_SG_SL_E_clISA_SA_SB_SB_EEDaSZ_S10_SG_SL_EUlSZ_E_NS1_11comp_targetILNS1_3genE3ELNS1_11target_archE908ELNS1_3gpuE7ELNS1_3repE0EEENS1_47radix_sort_onesweep_sort_config_static_selectorELNS0_4arch9wavefront6targetE0EEEvSG_.has_recursion, 0
	.set _ZN7rocprim17ROCPRIM_400000_NS6detail17trampoline_kernelINS0_14default_configENS1_35radix_sort_onesweep_config_selectorIiNS0_10empty_typeEEEZZNS1_29radix_sort_onesweep_iterationIS3_Lb1EPKiPiPS5_SB_mNS0_19identity_decomposerENS1_16block_id_wrapperIjLb0EEEEE10hipError_tT1_PNSt15iterator_traitsISG_E10value_typeET2_T3_PNSH_ISM_E10value_typeET4_T5_PSR_SS_PNS1_23onesweep_lookback_stateEbbT6_jjT7_P12ihipStream_tbENKUlT_T0_SG_SL_E_clISA_SA_SB_SB_EEDaSZ_S10_SG_SL_EUlSZ_E_NS1_11comp_targetILNS1_3genE3ELNS1_11target_archE908ELNS1_3gpuE7ELNS1_3repE0EEENS1_47radix_sort_onesweep_sort_config_static_selectorELNS0_4arch9wavefront6targetE0EEEvSG_.has_indirect_call, 0
	.section	.AMDGPU.csdata,"",@progbits
; Kernel info:
; codeLenInByte = 0
; TotalNumSgprs: 0
; NumVgprs: 0
; ScratchSize: 0
; MemoryBound: 0
; FloatMode: 240
; IeeeMode: 1
; LDSByteSize: 0 bytes/workgroup (compile time only)
; SGPRBlocks: 0
; VGPRBlocks: 0
; NumSGPRsForWavesPerEU: 1
; NumVGPRsForWavesPerEU: 1
; NamedBarCnt: 0
; Occupancy: 16
; WaveLimiterHint : 0
; COMPUTE_PGM_RSRC2:SCRATCH_EN: 0
; COMPUTE_PGM_RSRC2:USER_SGPR: 2
; COMPUTE_PGM_RSRC2:TRAP_HANDLER: 0
; COMPUTE_PGM_RSRC2:TGID_X_EN: 1
; COMPUTE_PGM_RSRC2:TGID_Y_EN: 0
; COMPUTE_PGM_RSRC2:TGID_Z_EN: 0
; COMPUTE_PGM_RSRC2:TIDIG_COMP_CNT: 0
	.section	.text._ZN7rocprim17ROCPRIM_400000_NS6detail17trampoline_kernelINS0_14default_configENS1_35radix_sort_onesweep_config_selectorIiNS0_10empty_typeEEEZZNS1_29radix_sort_onesweep_iterationIS3_Lb1EPKiPiPS5_SB_mNS0_19identity_decomposerENS1_16block_id_wrapperIjLb0EEEEE10hipError_tT1_PNSt15iterator_traitsISG_E10value_typeET2_T3_PNSH_ISM_E10value_typeET4_T5_PSR_SS_PNS1_23onesweep_lookback_stateEbbT6_jjT7_P12ihipStream_tbENKUlT_T0_SG_SL_E_clISA_SA_SB_SB_EEDaSZ_S10_SG_SL_EUlSZ_E_NS1_11comp_targetILNS1_3genE10ELNS1_11target_archE1201ELNS1_3gpuE5ELNS1_3repE0EEENS1_47radix_sort_onesweep_sort_config_static_selectorELNS0_4arch9wavefront6targetE0EEEvSG_,"axG",@progbits,_ZN7rocprim17ROCPRIM_400000_NS6detail17trampoline_kernelINS0_14default_configENS1_35radix_sort_onesweep_config_selectorIiNS0_10empty_typeEEEZZNS1_29radix_sort_onesweep_iterationIS3_Lb1EPKiPiPS5_SB_mNS0_19identity_decomposerENS1_16block_id_wrapperIjLb0EEEEE10hipError_tT1_PNSt15iterator_traitsISG_E10value_typeET2_T3_PNSH_ISM_E10value_typeET4_T5_PSR_SS_PNS1_23onesweep_lookback_stateEbbT6_jjT7_P12ihipStream_tbENKUlT_T0_SG_SL_E_clISA_SA_SB_SB_EEDaSZ_S10_SG_SL_EUlSZ_E_NS1_11comp_targetILNS1_3genE10ELNS1_11target_archE1201ELNS1_3gpuE5ELNS1_3repE0EEENS1_47radix_sort_onesweep_sort_config_static_selectorELNS0_4arch9wavefront6targetE0EEEvSG_,comdat
	.protected	_ZN7rocprim17ROCPRIM_400000_NS6detail17trampoline_kernelINS0_14default_configENS1_35radix_sort_onesweep_config_selectorIiNS0_10empty_typeEEEZZNS1_29radix_sort_onesweep_iterationIS3_Lb1EPKiPiPS5_SB_mNS0_19identity_decomposerENS1_16block_id_wrapperIjLb0EEEEE10hipError_tT1_PNSt15iterator_traitsISG_E10value_typeET2_T3_PNSH_ISM_E10value_typeET4_T5_PSR_SS_PNS1_23onesweep_lookback_stateEbbT6_jjT7_P12ihipStream_tbENKUlT_T0_SG_SL_E_clISA_SA_SB_SB_EEDaSZ_S10_SG_SL_EUlSZ_E_NS1_11comp_targetILNS1_3genE10ELNS1_11target_archE1201ELNS1_3gpuE5ELNS1_3repE0EEENS1_47radix_sort_onesweep_sort_config_static_selectorELNS0_4arch9wavefront6targetE0EEEvSG_ ; -- Begin function _ZN7rocprim17ROCPRIM_400000_NS6detail17trampoline_kernelINS0_14default_configENS1_35radix_sort_onesweep_config_selectorIiNS0_10empty_typeEEEZZNS1_29radix_sort_onesweep_iterationIS3_Lb1EPKiPiPS5_SB_mNS0_19identity_decomposerENS1_16block_id_wrapperIjLb0EEEEE10hipError_tT1_PNSt15iterator_traitsISG_E10value_typeET2_T3_PNSH_ISM_E10value_typeET4_T5_PSR_SS_PNS1_23onesweep_lookback_stateEbbT6_jjT7_P12ihipStream_tbENKUlT_T0_SG_SL_E_clISA_SA_SB_SB_EEDaSZ_S10_SG_SL_EUlSZ_E_NS1_11comp_targetILNS1_3genE10ELNS1_11target_archE1201ELNS1_3gpuE5ELNS1_3repE0EEENS1_47radix_sort_onesweep_sort_config_static_selectorELNS0_4arch9wavefront6targetE0EEEvSG_
	.globl	_ZN7rocprim17ROCPRIM_400000_NS6detail17trampoline_kernelINS0_14default_configENS1_35radix_sort_onesweep_config_selectorIiNS0_10empty_typeEEEZZNS1_29radix_sort_onesweep_iterationIS3_Lb1EPKiPiPS5_SB_mNS0_19identity_decomposerENS1_16block_id_wrapperIjLb0EEEEE10hipError_tT1_PNSt15iterator_traitsISG_E10value_typeET2_T3_PNSH_ISM_E10value_typeET4_T5_PSR_SS_PNS1_23onesweep_lookback_stateEbbT6_jjT7_P12ihipStream_tbENKUlT_T0_SG_SL_E_clISA_SA_SB_SB_EEDaSZ_S10_SG_SL_EUlSZ_E_NS1_11comp_targetILNS1_3genE10ELNS1_11target_archE1201ELNS1_3gpuE5ELNS1_3repE0EEENS1_47radix_sort_onesweep_sort_config_static_selectorELNS0_4arch9wavefront6targetE0EEEvSG_
	.p2align	8
	.type	_ZN7rocprim17ROCPRIM_400000_NS6detail17trampoline_kernelINS0_14default_configENS1_35radix_sort_onesweep_config_selectorIiNS0_10empty_typeEEEZZNS1_29radix_sort_onesweep_iterationIS3_Lb1EPKiPiPS5_SB_mNS0_19identity_decomposerENS1_16block_id_wrapperIjLb0EEEEE10hipError_tT1_PNSt15iterator_traitsISG_E10value_typeET2_T3_PNSH_ISM_E10value_typeET4_T5_PSR_SS_PNS1_23onesweep_lookback_stateEbbT6_jjT7_P12ihipStream_tbENKUlT_T0_SG_SL_E_clISA_SA_SB_SB_EEDaSZ_S10_SG_SL_EUlSZ_E_NS1_11comp_targetILNS1_3genE10ELNS1_11target_archE1201ELNS1_3gpuE5ELNS1_3repE0EEENS1_47radix_sort_onesweep_sort_config_static_selectorELNS0_4arch9wavefront6targetE0EEEvSG_,@function
_ZN7rocprim17ROCPRIM_400000_NS6detail17trampoline_kernelINS0_14default_configENS1_35radix_sort_onesweep_config_selectorIiNS0_10empty_typeEEEZZNS1_29radix_sort_onesweep_iterationIS3_Lb1EPKiPiPS5_SB_mNS0_19identity_decomposerENS1_16block_id_wrapperIjLb0EEEEE10hipError_tT1_PNSt15iterator_traitsISG_E10value_typeET2_T3_PNSH_ISM_E10value_typeET4_T5_PSR_SS_PNS1_23onesweep_lookback_stateEbbT6_jjT7_P12ihipStream_tbENKUlT_T0_SG_SL_E_clISA_SA_SB_SB_EEDaSZ_S10_SG_SL_EUlSZ_E_NS1_11comp_targetILNS1_3genE10ELNS1_11target_archE1201ELNS1_3gpuE5ELNS1_3repE0EEENS1_47radix_sort_onesweep_sort_config_static_selectorELNS0_4arch9wavefront6targetE0EEEvSG_: ; @_ZN7rocprim17ROCPRIM_400000_NS6detail17trampoline_kernelINS0_14default_configENS1_35radix_sort_onesweep_config_selectorIiNS0_10empty_typeEEEZZNS1_29radix_sort_onesweep_iterationIS3_Lb1EPKiPiPS5_SB_mNS0_19identity_decomposerENS1_16block_id_wrapperIjLb0EEEEE10hipError_tT1_PNSt15iterator_traitsISG_E10value_typeET2_T3_PNSH_ISM_E10value_typeET4_T5_PSR_SS_PNS1_23onesweep_lookback_stateEbbT6_jjT7_P12ihipStream_tbENKUlT_T0_SG_SL_E_clISA_SA_SB_SB_EEDaSZ_S10_SG_SL_EUlSZ_E_NS1_11comp_targetILNS1_3genE10ELNS1_11target_archE1201ELNS1_3gpuE5ELNS1_3repE0EEENS1_47radix_sort_onesweep_sort_config_static_selectorELNS0_4arch9wavefront6targetE0EEEvSG_
; %bb.0:
	.section	.rodata,"a",@progbits
	.p2align	6, 0x0
	.amdhsa_kernel _ZN7rocprim17ROCPRIM_400000_NS6detail17trampoline_kernelINS0_14default_configENS1_35radix_sort_onesweep_config_selectorIiNS0_10empty_typeEEEZZNS1_29radix_sort_onesweep_iterationIS3_Lb1EPKiPiPS5_SB_mNS0_19identity_decomposerENS1_16block_id_wrapperIjLb0EEEEE10hipError_tT1_PNSt15iterator_traitsISG_E10value_typeET2_T3_PNSH_ISM_E10value_typeET4_T5_PSR_SS_PNS1_23onesweep_lookback_stateEbbT6_jjT7_P12ihipStream_tbENKUlT_T0_SG_SL_E_clISA_SA_SB_SB_EEDaSZ_S10_SG_SL_EUlSZ_E_NS1_11comp_targetILNS1_3genE10ELNS1_11target_archE1201ELNS1_3gpuE5ELNS1_3repE0EEENS1_47radix_sort_onesweep_sort_config_static_selectorELNS0_4arch9wavefront6targetE0EEEvSG_
		.amdhsa_group_segment_fixed_size 0
		.amdhsa_private_segment_fixed_size 0
		.amdhsa_kernarg_size 88
		.amdhsa_user_sgpr_count 2
		.amdhsa_user_sgpr_dispatch_ptr 0
		.amdhsa_user_sgpr_queue_ptr 0
		.amdhsa_user_sgpr_kernarg_segment_ptr 1
		.amdhsa_user_sgpr_dispatch_id 0
		.amdhsa_user_sgpr_kernarg_preload_length 0
		.amdhsa_user_sgpr_kernarg_preload_offset 0
		.amdhsa_user_sgpr_private_segment_size 0
		.amdhsa_wavefront_size32 1
		.amdhsa_uses_dynamic_stack 0
		.amdhsa_enable_private_segment 0
		.amdhsa_system_sgpr_workgroup_id_x 1
		.amdhsa_system_sgpr_workgroup_id_y 0
		.amdhsa_system_sgpr_workgroup_id_z 0
		.amdhsa_system_sgpr_workgroup_info 0
		.amdhsa_system_vgpr_workitem_id 0
		.amdhsa_next_free_vgpr 1
		.amdhsa_next_free_sgpr 1
		.amdhsa_named_barrier_count 0
		.amdhsa_reserve_vcc 0
		.amdhsa_float_round_mode_32 0
		.amdhsa_float_round_mode_16_64 0
		.amdhsa_float_denorm_mode_32 3
		.amdhsa_float_denorm_mode_16_64 3
		.amdhsa_fp16_overflow 0
		.amdhsa_memory_ordered 1
		.amdhsa_forward_progress 1
		.amdhsa_inst_pref_size 0
		.amdhsa_round_robin_scheduling 0
		.amdhsa_exception_fp_ieee_invalid_op 0
		.amdhsa_exception_fp_denorm_src 0
		.amdhsa_exception_fp_ieee_div_zero 0
		.amdhsa_exception_fp_ieee_overflow 0
		.amdhsa_exception_fp_ieee_underflow 0
		.amdhsa_exception_fp_ieee_inexact 0
		.amdhsa_exception_int_div_zero 0
	.end_amdhsa_kernel
	.section	.text._ZN7rocprim17ROCPRIM_400000_NS6detail17trampoline_kernelINS0_14default_configENS1_35radix_sort_onesweep_config_selectorIiNS0_10empty_typeEEEZZNS1_29radix_sort_onesweep_iterationIS3_Lb1EPKiPiPS5_SB_mNS0_19identity_decomposerENS1_16block_id_wrapperIjLb0EEEEE10hipError_tT1_PNSt15iterator_traitsISG_E10value_typeET2_T3_PNSH_ISM_E10value_typeET4_T5_PSR_SS_PNS1_23onesweep_lookback_stateEbbT6_jjT7_P12ihipStream_tbENKUlT_T0_SG_SL_E_clISA_SA_SB_SB_EEDaSZ_S10_SG_SL_EUlSZ_E_NS1_11comp_targetILNS1_3genE10ELNS1_11target_archE1201ELNS1_3gpuE5ELNS1_3repE0EEENS1_47radix_sort_onesweep_sort_config_static_selectorELNS0_4arch9wavefront6targetE0EEEvSG_,"axG",@progbits,_ZN7rocprim17ROCPRIM_400000_NS6detail17trampoline_kernelINS0_14default_configENS1_35radix_sort_onesweep_config_selectorIiNS0_10empty_typeEEEZZNS1_29radix_sort_onesweep_iterationIS3_Lb1EPKiPiPS5_SB_mNS0_19identity_decomposerENS1_16block_id_wrapperIjLb0EEEEE10hipError_tT1_PNSt15iterator_traitsISG_E10value_typeET2_T3_PNSH_ISM_E10value_typeET4_T5_PSR_SS_PNS1_23onesweep_lookback_stateEbbT6_jjT7_P12ihipStream_tbENKUlT_T0_SG_SL_E_clISA_SA_SB_SB_EEDaSZ_S10_SG_SL_EUlSZ_E_NS1_11comp_targetILNS1_3genE10ELNS1_11target_archE1201ELNS1_3gpuE5ELNS1_3repE0EEENS1_47radix_sort_onesweep_sort_config_static_selectorELNS0_4arch9wavefront6targetE0EEEvSG_,comdat
.Lfunc_end882:
	.size	_ZN7rocprim17ROCPRIM_400000_NS6detail17trampoline_kernelINS0_14default_configENS1_35radix_sort_onesweep_config_selectorIiNS0_10empty_typeEEEZZNS1_29radix_sort_onesweep_iterationIS3_Lb1EPKiPiPS5_SB_mNS0_19identity_decomposerENS1_16block_id_wrapperIjLb0EEEEE10hipError_tT1_PNSt15iterator_traitsISG_E10value_typeET2_T3_PNSH_ISM_E10value_typeET4_T5_PSR_SS_PNS1_23onesweep_lookback_stateEbbT6_jjT7_P12ihipStream_tbENKUlT_T0_SG_SL_E_clISA_SA_SB_SB_EEDaSZ_S10_SG_SL_EUlSZ_E_NS1_11comp_targetILNS1_3genE10ELNS1_11target_archE1201ELNS1_3gpuE5ELNS1_3repE0EEENS1_47radix_sort_onesweep_sort_config_static_selectorELNS0_4arch9wavefront6targetE0EEEvSG_, .Lfunc_end882-_ZN7rocprim17ROCPRIM_400000_NS6detail17trampoline_kernelINS0_14default_configENS1_35radix_sort_onesweep_config_selectorIiNS0_10empty_typeEEEZZNS1_29radix_sort_onesweep_iterationIS3_Lb1EPKiPiPS5_SB_mNS0_19identity_decomposerENS1_16block_id_wrapperIjLb0EEEEE10hipError_tT1_PNSt15iterator_traitsISG_E10value_typeET2_T3_PNSH_ISM_E10value_typeET4_T5_PSR_SS_PNS1_23onesweep_lookback_stateEbbT6_jjT7_P12ihipStream_tbENKUlT_T0_SG_SL_E_clISA_SA_SB_SB_EEDaSZ_S10_SG_SL_EUlSZ_E_NS1_11comp_targetILNS1_3genE10ELNS1_11target_archE1201ELNS1_3gpuE5ELNS1_3repE0EEENS1_47radix_sort_onesweep_sort_config_static_selectorELNS0_4arch9wavefront6targetE0EEEvSG_
                                        ; -- End function
	.set _ZN7rocprim17ROCPRIM_400000_NS6detail17trampoline_kernelINS0_14default_configENS1_35radix_sort_onesweep_config_selectorIiNS0_10empty_typeEEEZZNS1_29radix_sort_onesweep_iterationIS3_Lb1EPKiPiPS5_SB_mNS0_19identity_decomposerENS1_16block_id_wrapperIjLb0EEEEE10hipError_tT1_PNSt15iterator_traitsISG_E10value_typeET2_T3_PNSH_ISM_E10value_typeET4_T5_PSR_SS_PNS1_23onesweep_lookback_stateEbbT6_jjT7_P12ihipStream_tbENKUlT_T0_SG_SL_E_clISA_SA_SB_SB_EEDaSZ_S10_SG_SL_EUlSZ_E_NS1_11comp_targetILNS1_3genE10ELNS1_11target_archE1201ELNS1_3gpuE5ELNS1_3repE0EEENS1_47radix_sort_onesweep_sort_config_static_selectorELNS0_4arch9wavefront6targetE0EEEvSG_.num_vgpr, 0
	.set _ZN7rocprim17ROCPRIM_400000_NS6detail17trampoline_kernelINS0_14default_configENS1_35radix_sort_onesweep_config_selectorIiNS0_10empty_typeEEEZZNS1_29radix_sort_onesweep_iterationIS3_Lb1EPKiPiPS5_SB_mNS0_19identity_decomposerENS1_16block_id_wrapperIjLb0EEEEE10hipError_tT1_PNSt15iterator_traitsISG_E10value_typeET2_T3_PNSH_ISM_E10value_typeET4_T5_PSR_SS_PNS1_23onesweep_lookback_stateEbbT6_jjT7_P12ihipStream_tbENKUlT_T0_SG_SL_E_clISA_SA_SB_SB_EEDaSZ_S10_SG_SL_EUlSZ_E_NS1_11comp_targetILNS1_3genE10ELNS1_11target_archE1201ELNS1_3gpuE5ELNS1_3repE0EEENS1_47radix_sort_onesweep_sort_config_static_selectorELNS0_4arch9wavefront6targetE0EEEvSG_.num_agpr, 0
	.set _ZN7rocprim17ROCPRIM_400000_NS6detail17trampoline_kernelINS0_14default_configENS1_35radix_sort_onesweep_config_selectorIiNS0_10empty_typeEEEZZNS1_29radix_sort_onesweep_iterationIS3_Lb1EPKiPiPS5_SB_mNS0_19identity_decomposerENS1_16block_id_wrapperIjLb0EEEEE10hipError_tT1_PNSt15iterator_traitsISG_E10value_typeET2_T3_PNSH_ISM_E10value_typeET4_T5_PSR_SS_PNS1_23onesweep_lookback_stateEbbT6_jjT7_P12ihipStream_tbENKUlT_T0_SG_SL_E_clISA_SA_SB_SB_EEDaSZ_S10_SG_SL_EUlSZ_E_NS1_11comp_targetILNS1_3genE10ELNS1_11target_archE1201ELNS1_3gpuE5ELNS1_3repE0EEENS1_47radix_sort_onesweep_sort_config_static_selectorELNS0_4arch9wavefront6targetE0EEEvSG_.numbered_sgpr, 0
	.set _ZN7rocprim17ROCPRIM_400000_NS6detail17trampoline_kernelINS0_14default_configENS1_35radix_sort_onesweep_config_selectorIiNS0_10empty_typeEEEZZNS1_29radix_sort_onesweep_iterationIS3_Lb1EPKiPiPS5_SB_mNS0_19identity_decomposerENS1_16block_id_wrapperIjLb0EEEEE10hipError_tT1_PNSt15iterator_traitsISG_E10value_typeET2_T3_PNSH_ISM_E10value_typeET4_T5_PSR_SS_PNS1_23onesweep_lookback_stateEbbT6_jjT7_P12ihipStream_tbENKUlT_T0_SG_SL_E_clISA_SA_SB_SB_EEDaSZ_S10_SG_SL_EUlSZ_E_NS1_11comp_targetILNS1_3genE10ELNS1_11target_archE1201ELNS1_3gpuE5ELNS1_3repE0EEENS1_47radix_sort_onesweep_sort_config_static_selectorELNS0_4arch9wavefront6targetE0EEEvSG_.num_named_barrier, 0
	.set _ZN7rocprim17ROCPRIM_400000_NS6detail17trampoline_kernelINS0_14default_configENS1_35radix_sort_onesweep_config_selectorIiNS0_10empty_typeEEEZZNS1_29radix_sort_onesweep_iterationIS3_Lb1EPKiPiPS5_SB_mNS0_19identity_decomposerENS1_16block_id_wrapperIjLb0EEEEE10hipError_tT1_PNSt15iterator_traitsISG_E10value_typeET2_T3_PNSH_ISM_E10value_typeET4_T5_PSR_SS_PNS1_23onesweep_lookback_stateEbbT6_jjT7_P12ihipStream_tbENKUlT_T0_SG_SL_E_clISA_SA_SB_SB_EEDaSZ_S10_SG_SL_EUlSZ_E_NS1_11comp_targetILNS1_3genE10ELNS1_11target_archE1201ELNS1_3gpuE5ELNS1_3repE0EEENS1_47radix_sort_onesweep_sort_config_static_selectorELNS0_4arch9wavefront6targetE0EEEvSG_.private_seg_size, 0
	.set _ZN7rocprim17ROCPRIM_400000_NS6detail17trampoline_kernelINS0_14default_configENS1_35radix_sort_onesweep_config_selectorIiNS0_10empty_typeEEEZZNS1_29radix_sort_onesweep_iterationIS3_Lb1EPKiPiPS5_SB_mNS0_19identity_decomposerENS1_16block_id_wrapperIjLb0EEEEE10hipError_tT1_PNSt15iterator_traitsISG_E10value_typeET2_T3_PNSH_ISM_E10value_typeET4_T5_PSR_SS_PNS1_23onesweep_lookback_stateEbbT6_jjT7_P12ihipStream_tbENKUlT_T0_SG_SL_E_clISA_SA_SB_SB_EEDaSZ_S10_SG_SL_EUlSZ_E_NS1_11comp_targetILNS1_3genE10ELNS1_11target_archE1201ELNS1_3gpuE5ELNS1_3repE0EEENS1_47radix_sort_onesweep_sort_config_static_selectorELNS0_4arch9wavefront6targetE0EEEvSG_.uses_vcc, 0
	.set _ZN7rocprim17ROCPRIM_400000_NS6detail17trampoline_kernelINS0_14default_configENS1_35radix_sort_onesweep_config_selectorIiNS0_10empty_typeEEEZZNS1_29radix_sort_onesweep_iterationIS3_Lb1EPKiPiPS5_SB_mNS0_19identity_decomposerENS1_16block_id_wrapperIjLb0EEEEE10hipError_tT1_PNSt15iterator_traitsISG_E10value_typeET2_T3_PNSH_ISM_E10value_typeET4_T5_PSR_SS_PNS1_23onesweep_lookback_stateEbbT6_jjT7_P12ihipStream_tbENKUlT_T0_SG_SL_E_clISA_SA_SB_SB_EEDaSZ_S10_SG_SL_EUlSZ_E_NS1_11comp_targetILNS1_3genE10ELNS1_11target_archE1201ELNS1_3gpuE5ELNS1_3repE0EEENS1_47radix_sort_onesweep_sort_config_static_selectorELNS0_4arch9wavefront6targetE0EEEvSG_.uses_flat_scratch, 0
	.set _ZN7rocprim17ROCPRIM_400000_NS6detail17trampoline_kernelINS0_14default_configENS1_35radix_sort_onesweep_config_selectorIiNS0_10empty_typeEEEZZNS1_29radix_sort_onesweep_iterationIS3_Lb1EPKiPiPS5_SB_mNS0_19identity_decomposerENS1_16block_id_wrapperIjLb0EEEEE10hipError_tT1_PNSt15iterator_traitsISG_E10value_typeET2_T3_PNSH_ISM_E10value_typeET4_T5_PSR_SS_PNS1_23onesweep_lookback_stateEbbT6_jjT7_P12ihipStream_tbENKUlT_T0_SG_SL_E_clISA_SA_SB_SB_EEDaSZ_S10_SG_SL_EUlSZ_E_NS1_11comp_targetILNS1_3genE10ELNS1_11target_archE1201ELNS1_3gpuE5ELNS1_3repE0EEENS1_47radix_sort_onesweep_sort_config_static_selectorELNS0_4arch9wavefront6targetE0EEEvSG_.has_dyn_sized_stack, 0
	.set _ZN7rocprim17ROCPRIM_400000_NS6detail17trampoline_kernelINS0_14default_configENS1_35radix_sort_onesweep_config_selectorIiNS0_10empty_typeEEEZZNS1_29radix_sort_onesweep_iterationIS3_Lb1EPKiPiPS5_SB_mNS0_19identity_decomposerENS1_16block_id_wrapperIjLb0EEEEE10hipError_tT1_PNSt15iterator_traitsISG_E10value_typeET2_T3_PNSH_ISM_E10value_typeET4_T5_PSR_SS_PNS1_23onesweep_lookback_stateEbbT6_jjT7_P12ihipStream_tbENKUlT_T0_SG_SL_E_clISA_SA_SB_SB_EEDaSZ_S10_SG_SL_EUlSZ_E_NS1_11comp_targetILNS1_3genE10ELNS1_11target_archE1201ELNS1_3gpuE5ELNS1_3repE0EEENS1_47radix_sort_onesweep_sort_config_static_selectorELNS0_4arch9wavefront6targetE0EEEvSG_.has_recursion, 0
	.set _ZN7rocprim17ROCPRIM_400000_NS6detail17trampoline_kernelINS0_14default_configENS1_35radix_sort_onesweep_config_selectorIiNS0_10empty_typeEEEZZNS1_29radix_sort_onesweep_iterationIS3_Lb1EPKiPiPS5_SB_mNS0_19identity_decomposerENS1_16block_id_wrapperIjLb0EEEEE10hipError_tT1_PNSt15iterator_traitsISG_E10value_typeET2_T3_PNSH_ISM_E10value_typeET4_T5_PSR_SS_PNS1_23onesweep_lookback_stateEbbT6_jjT7_P12ihipStream_tbENKUlT_T0_SG_SL_E_clISA_SA_SB_SB_EEDaSZ_S10_SG_SL_EUlSZ_E_NS1_11comp_targetILNS1_3genE10ELNS1_11target_archE1201ELNS1_3gpuE5ELNS1_3repE0EEENS1_47radix_sort_onesweep_sort_config_static_selectorELNS0_4arch9wavefront6targetE0EEEvSG_.has_indirect_call, 0
	.section	.AMDGPU.csdata,"",@progbits
; Kernel info:
; codeLenInByte = 0
; TotalNumSgprs: 0
; NumVgprs: 0
; ScratchSize: 0
; MemoryBound: 0
; FloatMode: 240
; IeeeMode: 1
; LDSByteSize: 0 bytes/workgroup (compile time only)
; SGPRBlocks: 0
; VGPRBlocks: 0
; NumSGPRsForWavesPerEU: 1
; NumVGPRsForWavesPerEU: 1
; NamedBarCnt: 0
; Occupancy: 16
; WaveLimiterHint : 0
; COMPUTE_PGM_RSRC2:SCRATCH_EN: 0
; COMPUTE_PGM_RSRC2:USER_SGPR: 2
; COMPUTE_PGM_RSRC2:TRAP_HANDLER: 0
; COMPUTE_PGM_RSRC2:TGID_X_EN: 1
; COMPUTE_PGM_RSRC2:TGID_Y_EN: 0
; COMPUTE_PGM_RSRC2:TGID_Z_EN: 0
; COMPUTE_PGM_RSRC2:TIDIG_COMP_CNT: 0
	.section	.text._ZN7rocprim17ROCPRIM_400000_NS6detail17trampoline_kernelINS0_14default_configENS1_35radix_sort_onesweep_config_selectorIiNS0_10empty_typeEEEZZNS1_29radix_sort_onesweep_iterationIS3_Lb1EPKiPiPS5_SB_mNS0_19identity_decomposerENS1_16block_id_wrapperIjLb0EEEEE10hipError_tT1_PNSt15iterator_traitsISG_E10value_typeET2_T3_PNSH_ISM_E10value_typeET4_T5_PSR_SS_PNS1_23onesweep_lookback_stateEbbT6_jjT7_P12ihipStream_tbENKUlT_T0_SG_SL_E_clISA_SA_SB_SB_EEDaSZ_S10_SG_SL_EUlSZ_E_NS1_11comp_targetILNS1_3genE9ELNS1_11target_archE1100ELNS1_3gpuE3ELNS1_3repE0EEENS1_47radix_sort_onesweep_sort_config_static_selectorELNS0_4arch9wavefront6targetE0EEEvSG_,"axG",@progbits,_ZN7rocprim17ROCPRIM_400000_NS6detail17trampoline_kernelINS0_14default_configENS1_35radix_sort_onesweep_config_selectorIiNS0_10empty_typeEEEZZNS1_29radix_sort_onesweep_iterationIS3_Lb1EPKiPiPS5_SB_mNS0_19identity_decomposerENS1_16block_id_wrapperIjLb0EEEEE10hipError_tT1_PNSt15iterator_traitsISG_E10value_typeET2_T3_PNSH_ISM_E10value_typeET4_T5_PSR_SS_PNS1_23onesweep_lookback_stateEbbT6_jjT7_P12ihipStream_tbENKUlT_T0_SG_SL_E_clISA_SA_SB_SB_EEDaSZ_S10_SG_SL_EUlSZ_E_NS1_11comp_targetILNS1_3genE9ELNS1_11target_archE1100ELNS1_3gpuE3ELNS1_3repE0EEENS1_47radix_sort_onesweep_sort_config_static_selectorELNS0_4arch9wavefront6targetE0EEEvSG_,comdat
	.protected	_ZN7rocprim17ROCPRIM_400000_NS6detail17trampoline_kernelINS0_14default_configENS1_35radix_sort_onesweep_config_selectorIiNS0_10empty_typeEEEZZNS1_29radix_sort_onesweep_iterationIS3_Lb1EPKiPiPS5_SB_mNS0_19identity_decomposerENS1_16block_id_wrapperIjLb0EEEEE10hipError_tT1_PNSt15iterator_traitsISG_E10value_typeET2_T3_PNSH_ISM_E10value_typeET4_T5_PSR_SS_PNS1_23onesweep_lookback_stateEbbT6_jjT7_P12ihipStream_tbENKUlT_T0_SG_SL_E_clISA_SA_SB_SB_EEDaSZ_S10_SG_SL_EUlSZ_E_NS1_11comp_targetILNS1_3genE9ELNS1_11target_archE1100ELNS1_3gpuE3ELNS1_3repE0EEENS1_47radix_sort_onesweep_sort_config_static_selectorELNS0_4arch9wavefront6targetE0EEEvSG_ ; -- Begin function _ZN7rocprim17ROCPRIM_400000_NS6detail17trampoline_kernelINS0_14default_configENS1_35radix_sort_onesweep_config_selectorIiNS0_10empty_typeEEEZZNS1_29radix_sort_onesweep_iterationIS3_Lb1EPKiPiPS5_SB_mNS0_19identity_decomposerENS1_16block_id_wrapperIjLb0EEEEE10hipError_tT1_PNSt15iterator_traitsISG_E10value_typeET2_T3_PNSH_ISM_E10value_typeET4_T5_PSR_SS_PNS1_23onesweep_lookback_stateEbbT6_jjT7_P12ihipStream_tbENKUlT_T0_SG_SL_E_clISA_SA_SB_SB_EEDaSZ_S10_SG_SL_EUlSZ_E_NS1_11comp_targetILNS1_3genE9ELNS1_11target_archE1100ELNS1_3gpuE3ELNS1_3repE0EEENS1_47radix_sort_onesweep_sort_config_static_selectorELNS0_4arch9wavefront6targetE0EEEvSG_
	.globl	_ZN7rocprim17ROCPRIM_400000_NS6detail17trampoline_kernelINS0_14default_configENS1_35radix_sort_onesweep_config_selectorIiNS0_10empty_typeEEEZZNS1_29radix_sort_onesweep_iterationIS3_Lb1EPKiPiPS5_SB_mNS0_19identity_decomposerENS1_16block_id_wrapperIjLb0EEEEE10hipError_tT1_PNSt15iterator_traitsISG_E10value_typeET2_T3_PNSH_ISM_E10value_typeET4_T5_PSR_SS_PNS1_23onesweep_lookback_stateEbbT6_jjT7_P12ihipStream_tbENKUlT_T0_SG_SL_E_clISA_SA_SB_SB_EEDaSZ_S10_SG_SL_EUlSZ_E_NS1_11comp_targetILNS1_3genE9ELNS1_11target_archE1100ELNS1_3gpuE3ELNS1_3repE0EEENS1_47radix_sort_onesweep_sort_config_static_selectorELNS0_4arch9wavefront6targetE0EEEvSG_
	.p2align	8
	.type	_ZN7rocprim17ROCPRIM_400000_NS6detail17trampoline_kernelINS0_14default_configENS1_35radix_sort_onesweep_config_selectorIiNS0_10empty_typeEEEZZNS1_29radix_sort_onesweep_iterationIS3_Lb1EPKiPiPS5_SB_mNS0_19identity_decomposerENS1_16block_id_wrapperIjLb0EEEEE10hipError_tT1_PNSt15iterator_traitsISG_E10value_typeET2_T3_PNSH_ISM_E10value_typeET4_T5_PSR_SS_PNS1_23onesweep_lookback_stateEbbT6_jjT7_P12ihipStream_tbENKUlT_T0_SG_SL_E_clISA_SA_SB_SB_EEDaSZ_S10_SG_SL_EUlSZ_E_NS1_11comp_targetILNS1_3genE9ELNS1_11target_archE1100ELNS1_3gpuE3ELNS1_3repE0EEENS1_47radix_sort_onesweep_sort_config_static_selectorELNS0_4arch9wavefront6targetE0EEEvSG_,@function
_ZN7rocprim17ROCPRIM_400000_NS6detail17trampoline_kernelINS0_14default_configENS1_35radix_sort_onesweep_config_selectorIiNS0_10empty_typeEEEZZNS1_29radix_sort_onesweep_iterationIS3_Lb1EPKiPiPS5_SB_mNS0_19identity_decomposerENS1_16block_id_wrapperIjLb0EEEEE10hipError_tT1_PNSt15iterator_traitsISG_E10value_typeET2_T3_PNSH_ISM_E10value_typeET4_T5_PSR_SS_PNS1_23onesweep_lookback_stateEbbT6_jjT7_P12ihipStream_tbENKUlT_T0_SG_SL_E_clISA_SA_SB_SB_EEDaSZ_S10_SG_SL_EUlSZ_E_NS1_11comp_targetILNS1_3genE9ELNS1_11target_archE1100ELNS1_3gpuE3ELNS1_3repE0EEENS1_47radix_sort_onesweep_sort_config_static_selectorELNS0_4arch9wavefront6targetE0EEEvSG_: ; @_ZN7rocprim17ROCPRIM_400000_NS6detail17trampoline_kernelINS0_14default_configENS1_35radix_sort_onesweep_config_selectorIiNS0_10empty_typeEEEZZNS1_29radix_sort_onesweep_iterationIS3_Lb1EPKiPiPS5_SB_mNS0_19identity_decomposerENS1_16block_id_wrapperIjLb0EEEEE10hipError_tT1_PNSt15iterator_traitsISG_E10value_typeET2_T3_PNSH_ISM_E10value_typeET4_T5_PSR_SS_PNS1_23onesweep_lookback_stateEbbT6_jjT7_P12ihipStream_tbENKUlT_T0_SG_SL_E_clISA_SA_SB_SB_EEDaSZ_S10_SG_SL_EUlSZ_E_NS1_11comp_targetILNS1_3genE9ELNS1_11target_archE1100ELNS1_3gpuE3ELNS1_3repE0EEENS1_47radix_sort_onesweep_sort_config_static_selectorELNS0_4arch9wavefront6targetE0EEEvSG_
; %bb.0:
	.section	.rodata,"a",@progbits
	.p2align	6, 0x0
	.amdhsa_kernel _ZN7rocprim17ROCPRIM_400000_NS6detail17trampoline_kernelINS0_14default_configENS1_35radix_sort_onesweep_config_selectorIiNS0_10empty_typeEEEZZNS1_29radix_sort_onesweep_iterationIS3_Lb1EPKiPiPS5_SB_mNS0_19identity_decomposerENS1_16block_id_wrapperIjLb0EEEEE10hipError_tT1_PNSt15iterator_traitsISG_E10value_typeET2_T3_PNSH_ISM_E10value_typeET4_T5_PSR_SS_PNS1_23onesweep_lookback_stateEbbT6_jjT7_P12ihipStream_tbENKUlT_T0_SG_SL_E_clISA_SA_SB_SB_EEDaSZ_S10_SG_SL_EUlSZ_E_NS1_11comp_targetILNS1_3genE9ELNS1_11target_archE1100ELNS1_3gpuE3ELNS1_3repE0EEENS1_47radix_sort_onesweep_sort_config_static_selectorELNS0_4arch9wavefront6targetE0EEEvSG_
		.amdhsa_group_segment_fixed_size 0
		.amdhsa_private_segment_fixed_size 0
		.amdhsa_kernarg_size 88
		.amdhsa_user_sgpr_count 2
		.amdhsa_user_sgpr_dispatch_ptr 0
		.amdhsa_user_sgpr_queue_ptr 0
		.amdhsa_user_sgpr_kernarg_segment_ptr 1
		.amdhsa_user_sgpr_dispatch_id 0
		.amdhsa_user_sgpr_kernarg_preload_length 0
		.amdhsa_user_sgpr_kernarg_preload_offset 0
		.amdhsa_user_sgpr_private_segment_size 0
		.amdhsa_wavefront_size32 1
		.amdhsa_uses_dynamic_stack 0
		.amdhsa_enable_private_segment 0
		.amdhsa_system_sgpr_workgroup_id_x 1
		.amdhsa_system_sgpr_workgroup_id_y 0
		.amdhsa_system_sgpr_workgroup_id_z 0
		.amdhsa_system_sgpr_workgroup_info 0
		.amdhsa_system_vgpr_workitem_id 0
		.amdhsa_next_free_vgpr 1
		.amdhsa_next_free_sgpr 1
		.amdhsa_named_barrier_count 0
		.amdhsa_reserve_vcc 0
		.amdhsa_float_round_mode_32 0
		.amdhsa_float_round_mode_16_64 0
		.amdhsa_float_denorm_mode_32 3
		.amdhsa_float_denorm_mode_16_64 3
		.amdhsa_fp16_overflow 0
		.amdhsa_memory_ordered 1
		.amdhsa_forward_progress 1
		.amdhsa_inst_pref_size 0
		.amdhsa_round_robin_scheduling 0
		.amdhsa_exception_fp_ieee_invalid_op 0
		.amdhsa_exception_fp_denorm_src 0
		.amdhsa_exception_fp_ieee_div_zero 0
		.amdhsa_exception_fp_ieee_overflow 0
		.amdhsa_exception_fp_ieee_underflow 0
		.amdhsa_exception_fp_ieee_inexact 0
		.amdhsa_exception_int_div_zero 0
	.end_amdhsa_kernel
	.section	.text._ZN7rocprim17ROCPRIM_400000_NS6detail17trampoline_kernelINS0_14default_configENS1_35radix_sort_onesweep_config_selectorIiNS0_10empty_typeEEEZZNS1_29radix_sort_onesweep_iterationIS3_Lb1EPKiPiPS5_SB_mNS0_19identity_decomposerENS1_16block_id_wrapperIjLb0EEEEE10hipError_tT1_PNSt15iterator_traitsISG_E10value_typeET2_T3_PNSH_ISM_E10value_typeET4_T5_PSR_SS_PNS1_23onesweep_lookback_stateEbbT6_jjT7_P12ihipStream_tbENKUlT_T0_SG_SL_E_clISA_SA_SB_SB_EEDaSZ_S10_SG_SL_EUlSZ_E_NS1_11comp_targetILNS1_3genE9ELNS1_11target_archE1100ELNS1_3gpuE3ELNS1_3repE0EEENS1_47radix_sort_onesweep_sort_config_static_selectorELNS0_4arch9wavefront6targetE0EEEvSG_,"axG",@progbits,_ZN7rocprim17ROCPRIM_400000_NS6detail17trampoline_kernelINS0_14default_configENS1_35radix_sort_onesweep_config_selectorIiNS0_10empty_typeEEEZZNS1_29radix_sort_onesweep_iterationIS3_Lb1EPKiPiPS5_SB_mNS0_19identity_decomposerENS1_16block_id_wrapperIjLb0EEEEE10hipError_tT1_PNSt15iterator_traitsISG_E10value_typeET2_T3_PNSH_ISM_E10value_typeET4_T5_PSR_SS_PNS1_23onesweep_lookback_stateEbbT6_jjT7_P12ihipStream_tbENKUlT_T0_SG_SL_E_clISA_SA_SB_SB_EEDaSZ_S10_SG_SL_EUlSZ_E_NS1_11comp_targetILNS1_3genE9ELNS1_11target_archE1100ELNS1_3gpuE3ELNS1_3repE0EEENS1_47radix_sort_onesweep_sort_config_static_selectorELNS0_4arch9wavefront6targetE0EEEvSG_,comdat
.Lfunc_end883:
	.size	_ZN7rocprim17ROCPRIM_400000_NS6detail17trampoline_kernelINS0_14default_configENS1_35radix_sort_onesweep_config_selectorIiNS0_10empty_typeEEEZZNS1_29radix_sort_onesweep_iterationIS3_Lb1EPKiPiPS5_SB_mNS0_19identity_decomposerENS1_16block_id_wrapperIjLb0EEEEE10hipError_tT1_PNSt15iterator_traitsISG_E10value_typeET2_T3_PNSH_ISM_E10value_typeET4_T5_PSR_SS_PNS1_23onesweep_lookback_stateEbbT6_jjT7_P12ihipStream_tbENKUlT_T0_SG_SL_E_clISA_SA_SB_SB_EEDaSZ_S10_SG_SL_EUlSZ_E_NS1_11comp_targetILNS1_3genE9ELNS1_11target_archE1100ELNS1_3gpuE3ELNS1_3repE0EEENS1_47radix_sort_onesweep_sort_config_static_selectorELNS0_4arch9wavefront6targetE0EEEvSG_, .Lfunc_end883-_ZN7rocprim17ROCPRIM_400000_NS6detail17trampoline_kernelINS0_14default_configENS1_35radix_sort_onesweep_config_selectorIiNS0_10empty_typeEEEZZNS1_29radix_sort_onesweep_iterationIS3_Lb1EPKiPiPS5_SB_mNS0_19identity_decomposerENS1_16block_id_wrapperIjLb0EEEEE10hipError_tT1_PNSt15iterator_traitsISG_E10value_typeET2_T3_PNSH_ISM_E10value_typeET4_T5_PSR_SS_PNS1_23onesweep_lookback_stateEbbT6_jjT7_P12ihipStream_tbENKUlT_T0_SG_SL_E_clISA_SA_SB_SB_EEDaSZ_S10_SG_SL_EUlSZ_E_NS1_11comp_targetILNS1_3genE9ELNS1_11target_archE1100ELNS1_3gpuE3ELNS1_3repE0EEENS1_47radix_sort_onesweep_sort_config_static_selectorELNS0_4arch9wavefront6targetE0EEEvSG_
                                        ; -- End function
	.set _ZN7rocprim17ROCPRIM_400000_NS6detail17trampoline_kernelINS0_14default_configENS1_35radix_sort_onesweep_config_selectorIiNS0_10empty_typeEEEZZNS1_29radix_sort_onesweep_iterationIS3_Lb1EPKiPiPS5_SB_mNS0_19identity_decomposerENS1_16block_id_wrapperIjLb0EEEEE10hipError_tT1_PNSt15iterator_traitsISG_E10value_typeET2_T3_PNSH_ISM_E10value_typeET4_T5_PSR_SS_PNS1_23onesweep_lookback_stateEbbT6_jjT7_P12ihipStream_tbENKUlT_T0_SG_SL_E_clISA_SA_SB_SB_EEDaSZ_S10_SG_SL_EUlSZ_E_NS1_11comp_targetILNS1_3genE9ELNS1_11target_archE1100ELNS1_3gpuE3ELNS1_3repE0EEENS1_47radix_sort_onesweep_sort_config_static_selectorELNS0_4arch9wavefront6targetE0EEEvSG_.num_vgpr, 0
	.set _ZN7rocprim17ROCPRIM_400000_NS6detail17trampoline_kernelINS0_14default_configENS1_35radix_sort_onesweep_config_selectorIiNS0_10empty_typeEEEZZNS1_29radix_sort_onesweep_iterationIS3_Lb1EPKiPiPS5_SB_mNS0_19identity_decomposerENS1_16block_id_wrapperIjLb0EEEEE10hipError_tT1_PNSt15iterator_traitsISG_E10value_typeET2_T3_PNSH_ISM_E10value_typeET4_T5_PSR_SS_PNS1_23onesweep_lookback_stateEbbT6_jjT7_P12ihipStream_tbENKUlT_T0_SG_SL_E_clISA_SA_SB_SB_EEDaSZ_S10_SG_SL_EUlSZ_E_NS1_11comp_targetILNS1_3genE9ELNS1_11target_archE1100ELNS1_3gpuE3ELNS1_3repE0EEENS1_47radix_sort_onesweep_sort_config_static_selectorELNS0_4arch9wavefront6targetE0EEEvSG_.num_agpr, 0
	.set _ZN7rocprim17ROCPRIM_400000_NS6detail17trampoline_kernelINS0_14default_configENS1_35radix_sort_onesweep_config_selectorIiNS0_10empty_typeEEEZZNS1_29radix_sort_onesweep_iterationIS3_Lb1EPKiPiPS5_SB_mNS0_19identity_decomposerENS1_16block_id_wrapperIjLb0EEEEE10hipError_tT1_PNSt15iterator_traitsISG_E10value_typeET2_T3_PNSH_ISM_E10value_typeET4_T5_PSR_SS_PNS1_23onesweep_lookback_stateEbbT6_jjT7_P12ihipStream_tbENKUlT_T0_SG_SL_E_clISA_SA_SB_SB_EEDaSZ_S10_SG_SL_EUlSZ_E_NS1_11comp_targetILNS1_3genE9ELNS1_11target_archE1100ELNS1_3gpuE3ELNS1_3repE0EEENS1_47radix_sort_onesweep_sort_config_static_selectorELNS0_4arch9wavefront6targetE0EEEvSG_.numbered_sgpr, 0
	.set _ZN7rocprim17ROCPRIM_400000_NS6detail17trampoline_kernelINS0_14default_configENS1_35radix_sort_onesweep_config_selectorIiNS0_10empty_typeEEEZZNS1_29radix_sort_onesweep_iterationIS3_Lb1EPKiPiPS5_SB_mNS0_19identity_decomposerENS1_16block_id_wrapperIjLb0EEEEE10hipError_tT1_PNSt15iterator_traitsISG_E10value_typeET2_T3_PNSH_ISM_E10value_typeET4_T5_PSR_SS_PNS1_23onesweep_lookback_stateEbbT6_jjT7_P12ihipStream_tbENKUlT_T0_SG_SL_E_clISA_SA_SB_SB_EEDaSZ_S10_SG_SL_EUlSZ_E_NS1_11comp_targetILNS1_3genE9ELNS1_11target_archE1100ELNS1_3gpuE3ELNS1_3repE0EEENS1_47radix_sort_onesweep_sort_config_static_selectorELNS0_4arch9wavefront6targetE0EEEvSG_.num_named_barrier, 0
	.set _ZN7rocprim17ROCPRIM_400000_NS6detail17trampoline_kernelINS0_14default_configENS1_35radix_sort_onesweep_config_selectorIiNS0_10empty_typeEEEZZNS1_29radix_sort_onesweep_iterationIS3_Lb1EPKiPiPS5_SB_mNS0_19identity_decomposerENS1_16block_id_wrapperIjLb0EEEEE10hipError_tT1_PNSt15iterator_traitsISG_E10value_typeET2_T3_PNSH_ISM_E10value_typeET4_T5_PSR_SS_PNS1_23onesweep_lookback_stateEbbT6_jjT7_P12ihipStream_tbENKUlT_T0_SG_SL_E_clISA_SA_SB_SB_EEDaSZ_S10_SG_SL_EUlSZ_E_NS1_11comp_targetILNS1_3genE9ELNS1_11target_archE1100ELNS1_3gpuE3ELNS1_3repE0EEENS1_47radix_sort_onesweep_sort_config_static_selectorELNS0_4arch9wavefront6targetE0EEEvSG_.private_seg_size, 0
	.set _ZN7rocprim17ROCPRIM_400000_NS6detail17trampoline_kernelINS0_14default_configENS1_35radix_sort_onesweep_config_selectorIiNS0_10empty_typeEEEZZNS1_29radix_sort_onesweep_iterationIS3_Lb1EPKiPiPS5_SB_mNS0_19identity_decomposerENS1_16block_id_wrapperIjLb0EEEEE10hipError_tT1_PNSt15iterator_traitsISG_E10value_typeET2_T3_PNSH_ISM_E10value_typeET4_T5_PSR_SS_PNS1_23onesweep_lookback_stateEbbT6_jjT7_P12ihipStream_tbENKUlT_T0_SG_SL_E_clISA_SA_SB_SB_EEDaSZ_S10_SG_SL_EUlSZ_E_NS1_11comp_targetILNS1_3genE9ELNS1_11target_archE1100ELNS1_3gpuE3ELNS1_3repE0EEENS1_47radix_sort_onesweep_sort_config_static_selectorELNS0_4arch9wavefront6targetE0EEEvSG_.uses_vcc, 0
	.set _ZN7rocprim17ROCPRIM_400000_NS6detail17trampoline_kernelINS0_14default_configENS1_35radix_sort_onesweep_config_selectorIiNS0_10empty_typeEEEZZNS1_29radix_sort_onesweep_iterationIS3_Lb1EPKiPiPS5_SB_mNS0_19identity_decomposerENS1_16block_id_wrapperIjLb0EEEEE10hipError_tT1_PNSt15iterator_traitsISG_E10value_typeET2_T3_PNSH_ISM_E10value_typeET4_T5_PSR_SS_PNS1_23onesweep_lookback_stateEbbT6_jjT7_P12ihipStream_tbENKUlT_T0_SG_SL_E_clISA_SA_SB_SB_EEDaSZ_S10_SG_SL_EUlSZ_E_NS1_11comp_targetILNS1_3genE9ELNS1_11target_archE1100ELNS1_3gpuE3ELNS1_3repE0EEENS1_47radix_sort_onesweep_sort_config_static_selectorELNS0_4arch9wavefront6targetE0EEEvSG_.uses_flat_scratch, 0
	.set _ZN7rocprim17ROCPRIM_400000_NS6detail17trampoline_kernelINS0_14default_configENS1_35radix_sort_onesweep_config_selectorIiNS0_10empty_typeEEEZZNS1_29radix_sort_onesweep_iterationIS3_Lb1EPKiPiPS5_SB_mNS0_19identity_decomposerENS1_16block_id_wrapperIjLb0EEEEE10hipError_tT1_PNSt15iterator_traitsISG_E10value_typeET2_T3_PNSH_ISM_E10value_typeET4_T5_PSR_SS_PNS1_23onesweep_lookback_stateEbbT6_jjT7_P12ihipStream_tbENKUlT_T0_SG_SL_E_clISA_SA_SB_SB_EEDaSZ_S10_SG_SL_EUlSZ_E_NS1_11comp_targetILNS1_3genE9ELNS1_11target_archE1100ELNS1_3gpuE3ELNS1_3repE0EEENS1_47radix_sort_onesweep_sort_config_static_selectorELNS0_4arch9wavefront6targetE0EEEvSG_.has_dyn_sized_stack, 0
	.set _ZN7rocprim17ROCPRIM_400000_NS6detail17trampoline_kernelINS0_14default_configENS1_35radix_sort_onesweep_config_selectorIiNS0_10empty_typeEEEZZNS1_29radix_sort_onesweep_iterationIS3_Lb1EPKiPiPS5_SB_mNS0_19identity_decomposerENS1_16block_id_wrapperIjLb0EEEEE10hipError_tT1_PNSt15iterator_traitsISG_E10value_typeET2_T3_PNSH_ISM_E10value_typeET4_T5_PSR_SS_PNS1_23onesweep_lookback_stateEbbT6_jjT7_P12ihipStream_tbENKUlT_T0_SG_SL_E_clISA_SA_SB_SB_EEDaSZ_S10_SG_SL_EUlSZ_E_NS1_11comp_targetILNS1_3genE9ELNS1_11target_archE1100ELNS1_3gpuE3ELNS1_3repE0EEENS1_47radix_sort_onesweep_sort_config_static_selectorELNS0_4arch9wavefront6targetE0EEEvSG_.has_recursion, 0
	.set _ZN7rocprim17ROCPRIM_400000_NS6detail17trampoline_kernelINS0_14default_configENS1_35radix_sort_onesweep_config_selectorIiNS0_10empty_typeEEEZZNS1_29radix_sort_onesweep_iterationIS3_Lb1EPKiPiPS5_SB_mNS0_19identity_decomposerENS1_16block_id_wrapperIjLb0EEEEE10hipError_tT1_PNSt15iterator_traitsISG_E10value_typeET2_T3_PNSH_ISM_E10value_typeET4_T5_PSR_SS_PNS1_23onesweep_lookback_stateEbbT6_jjT7_P12ihipStream_tbENKUlT_T0_SG_SL_E_clISA_SA_SB_SB_EEDaSZ_S10_SG_SL_EUlSZ_E_NS1_11comp_targetILNS1_3genE9ELNS1_11target_archE1100ELNS1_3gpuE3ELNS1_3repE0EEENS1_47radix_sort_onesweep_sort_config_static_selectorELNS0_4arch9wavefront6targetE0EEEvSG_.has_indirect_call, 0
	.section	.AMDGPU.csdata,"",@progbits
; Kernel info:
; codeLenInByte = 0
; TotalNumSgprs: 0
; NumVgprs: 0
; ScratchSize: 0
; MemoryBound: 0
; FloatMode: 240
; IeeeMode: 1
; LDSByteSize: 0 bytes/workgroup (compile time only)
; SGPRBlocks: 0
; VGPRBlocks: 0
; NumSGPRsForWavesPerEU: 1
; NumVGPRsForWavesPerEU: 1
; NamedBarCnt: 0
; Occupancy: 16
; WaveLimiterHint : 0
; COMPUTE_PGM_RSRC2:SCRATCH_EN: 0
; COMPUTE_PGM_RSRC2:USER_SGPR: 2
; COMPUTE_PGM_RSRC2:TRAP_HANDLER: 0
; COMPUTE_PGM_RSRC2:TGID_X_EN: 1
; COMPUTE_PGM_RSRC2:TGID_Y_EN: 0
; COMPUTE_PGM_RSRC2:TGID_Z_EN: 0
; COMPUTE_PGM_RSRC2:TIDIG_COMP_CNT: 0
	.section	.text._ZN7rocprim17ROCPRIM_400000_NS6detail17trampoline_kernelINS0_14default_configENS1_35radix_sort_onesweep_config_selectorIiNS0_10empty_typeEEEZZNS1_29radix_sort_onesweep_iterationIS3_Lb1EPKiPiPS5_SB_mNS0_19identity_decomposerENS1_16block_id_wrapperIjLb0EEEEE10hipError_tT1_PNSt15iterator_traitsISG_E10value_typeET2_T3_PNSH_ISM_E10value_typeET4_T5_PSR_SS_PNS1_23onesweep_lookback_stateEbbT6_jjT7_P12ihipStream_tbENKUlT_T0_SG_SL_E_clISA_SA_SB_SB_EEDaSZ_S10_SG_SL_EUlSZ_E_NS1_11comp_targetILNS1_3genE8ELNS1_11target_archE1030ELNS1_3gpuE2ELNS1_3repE0EEENS1_47radix_sort_onesweep_sort_config_static_selectorELNS0_4arch9wavefront6targetE0EEEvSG_,"axG",@progbits,_ZN7rocprim17ROCPRIM_400000_NS6detail17trampoline_kernelINS0_14default_configENS1_35radix_sort_onesweep_config_selectorIiNS0_10empty_typeEEEZZNS1_29radix_sort_onesweep_iterationIS3_Lb1EPKiPiPS5_SB_mNS0_19identity_decomposerENS1_16block_id_wrapperIjLb0EEEEE10hipError_tT1_PNSt15iterator_traitsISG_E10value_typeET2_T3_PNSH_ISM_E10value_typeET4_T5_PSR_SS_PNS1_23onesweep_lookback_stateEbbT6_jjT7_P12ihipStream_tbENKUlT_T0_SG_SL_E_clISA_SA_SB_SB_EEDaSZ_S10_SG_SL_EUlSZ_E_NS1_11comp_targetILNS1_3genE8ELNS1_11target_archE1030ELNS1_3gpuE2ELNS1_3repE0EEENS1_47radix_sort_onesweep_sort_config_static_selectorELNS0_4arch9wavefront6targetE0EEEvSG_,comdat
	.protected	_ZN7rocprim17ROCPRIM_400000_NS6detail17trampoline_kernelINS0_14default_configENS1_35radix_sort_onesweep_config_selectorIiNS0_10empty_typeEEEZZNS1_29radix_sort_onesweep_iterationIS3_Lb1EPKiPiPS5_SB_mNS0_19identity_decomposerENS1_16block_id_wrapperIjLb0EEEEE10hipError_tT1_PNSt15iterator_traitsISG_E10value_typeET2_T3_PNSH_ISM_E10value_typeET4_T5_PSR_SS_PNS1_23onesweep_lookback_stateEbbT6_jjT7_P12ihipStream_tbENKUlT_T0_SG_SL_E_clISA_SA_SB_SB_EEDaSZ_S10_SG_SL_EUlSZ_E_NS1_11comp_targetILNS1_3genE8ELNS1_11target_archE1030ELNS1_3gpuE2ELNS1_3repE0EEENS1_47radix_sort_onesweep_sort_config_static_selectorELNS0_4arch9wavefront6targetE0EEEvSG_ ; -- Begin function _ZN7rocprim17ROCPRIM_400000_NS6detail17trampoline_kernelINS0_14default_configENS1_35radix_sort_onesweep_config_selectorIiNS0_10empty_typeEEEZZNS1_29radix_sort_onesweep_iterationIS3_Lb1EPKiPiPS5_SB_mNS0_19identity_decomposerENS1_16block_id_wrapperIjLb0EEEEE10hipError_tT1_PNSt15iterator_traitsISG_E10value_typeET2_T3_PNSH_ISM_E10value_typeET4_T5_PSR_SS_PNS1_23onesweep_lookback_stateEbbT6_jjT7_P12ihipStream_tbENKUlT_T0_SG_SL_E_clISA_SA_SB_SB_EEDaSZ_S10_SG_SL_EUlSZ_E_NS1_11comp_targetILNS1_3genE8ELNS1_11target_archE1030ELNS1_3gpuE2ELNS1_3repE0EEENS1_47radix_sort_onesweep_sort_config_static_selectorELNS0_4arch9wavefront6targetE0EEEvSG_
	.globl	_ZN7rocprim17ROCPRIM_400000_NS6detail17trampoline_kernelINS0_14default_configENS1_35radix_sort_onesweep_config_selectorIiNS0_10empty_typeEEEZZNS1_29radix_sort_onesweep_iterationIS3_Lb1EPKiPiPS5_SB_mNS0_19identity_decomposerENS1_16block_id_wrapperIjLb0EEEEE10hipError_tT1_PNSt15iterator_traitsISG_E10value_typeET2_T3_PNSH_ISM_E10value_typeET4_T5_PSR_SS_PNS1_23onesweep_lookback_stateEbbT6_jjT7_P12ihipStream_tbENKUlT_T0_SG_SL_E_clISA_SA_SB_SB_EEDaSZ_S10_SG_SL_EUlSZ_E_NS1_11comp_targetILNS1_3genE8ELNS1_11target_archE1030ELNS1_3gpuE2ELNS1_3repE0EEENS1_47radix_sort_onesweep_sort_config_static_selectorELNS0_4arch9wavefront6targetE0EEEvSG_
	.p2align	8
	.type	_ZN7rocprim17ROCPRIM_400000_NS6detail17trampoline_kernelINS0_14default_configENS1_35radix_sort_onesweep_config_selectorIiNS0_10empty_typeEEEZZNS1_29radix_sort_onesweep_iterationIS3_Lb1EPKiPiPS5_SB_mNS0_19identity_decomposerENS1_16block_id_wrapperIjLb0EEEEE10hipError_tT1_PNSt15iterator_traitsISG_E10value_typeET2_T3_PNSH_ISM_E10value_typeET4_T5_PSR_SS_PNS1_23onesweep_lookback_stateEbbT6_jjT7_P12ihipStream_tbENKUlT_T0_SG_SL_E_clISA_SA_SB_SB_EEDaSZ_S10_SG_SL_EUlSZ_E_NS1_11comp_targetILNS1_3genE8ELNS1_11target_archE1030ELNS1_3gpuE2ELNS1_3repE0EEENS1_47radix_sort_onesweep_sort_config_static_selectorELNS0_4arch9wavefront6targetE0EEEvSG_,@function
_ZN7rocprim17ROCPRIM_400000_NS6detail17trampoline_kernelINS0_14default_configENS1_35radix_sort_onesweep_config_selectorIiNS0_10empty_typeEEEZZNS1_29radix_sort_onesweep_iterationIS3_Lb1EPKiPiPS5_SB_mNS0_19identity_decomposerENS1_16block_id_wrapperIjLb0EEEEE10hipError_tT1_PNSt15iterator_traitsISG_E10value_typeET2_T3_PNSH_ISM_E10value_typeET4_T5_PSR_SS_PNS1_23onesweep_lookback_stateEbbT6_jjT7_P12ihipStream_tbENKUlT_T0_SG_SL_E_clISA_SA_SB_SB_EEDaSZ_S10_SG_SL_EUlSZ_E_NS1_11comp_targetILNS1_3genE8ELNS1_11target_archE1030ELNS1_3gpuE2ELNS1_3repE0EEENS1_47radix_sort_onesweep_sort_config_static_selectorELNS0_4arch9wavefront6targetE0EEEvSG_: ; @_ZN7rocprim17ROCPRIM_400000_NS6detail17trampoline_kernelINS0_14default_configENS1_35radix_sort_onesweep_config_selectorIiNS0_10empty_typeEEEZZNS1_29radix_sort_onesweep_iterationIS3_Lb1EPKiPiPS5_SB_mNS0_19identity_decomposerENS1_16block_id_wrapperIjLb0EEEEE10hipError_tT1_PNSt15iterator_traitsISG_E10value_typeET2_T3_PNSH_ISM_E10value_typeET4_T5_PSR_SS_PNS1_23onesweep_lookback_stateEbbT6_jjT7_P12ihipStream_tbENKUlT_T0_SG_SL_E_clISA_SA_SB_SB_EEDaSZ_S10_SG_SL_EUlSZ_E_NS1_11comp_targetILNS1_3genE8ELNS1_11target_archE1030ELNS1_3gpuE2ELNS1_3repE0EEENS1_47radix_sort_onesweep_sort_config_static_selectorELNS0_4arch9wavefront6targetE0EEEvSG_
; %bb.0:
	.section	.rodata,"a",@progbits
	.p2align	6, 0x0
	.amdhsa_kernel _ZN7rocprim17ROCPRIM_400000_NS6detail17trampoline_kernelINS0_14default_configENS1_35radix_sort_onesweep_config_selectorIiNS0_10empty_typeEEEZZNS1_29radix_sort_onesweep_iterationIS3_Lb1EPKiPiPS5_SB_mNS0_19identity_decomposerENS1_16block_id_wrapperIjLb0EEEEE10hipError_tT1_PNSt15iterator_traitsISG_E10value_typeET2_T3_PNSH_ISM_E10value_typeET4_T5_PSR_SS_PNS1_23onesweep_lookback_stateEbbT6_jjT7_P12ihipStream_tbENKUlT_T0_SG_SL_E_clISA_SA_SB_SB_EEDaSZ_S10_SG_SL_EUlSZ_E_NS1_11comp_targetILNS1_3genE8ELNS1_11target_archE1030ELNS1_3gpuE2ELNS1_3repE0EEENS1_47radix_sort_onesweep_sort_config_static_selectorELNS0_4arch9wavefront6targetE0EEEvSG_
		.amdhsa_group_segment_fixed_size 0
		.amdhsa_private_segment_fixed_size 0
		.amdhsa_kernarg_size 88
		.amdhsa_user_sgpr_count 2
		.amdhsa_user_sgpr_dispatch_ptr 0
		.amdhsa_user_sgpr_queue_ptr 0
		.amdhsa_user_sgpr_kernarg_segment_ptr 1
		.amdhsa_user_sgpr_dispatch_id 0
		.amdhsa_user_sgpr_kernarg_preload_length 0
		.amdhsa_user_sgpr_kernarg_preload_offset 0
		.amdhsa_user_sgpr_private_segment_size 0
		.amdhsa_wavefront_size32 1
		.amdhsa_uses_dynamic_stack 0
		.amdhsa_enable_private_segment 0
		.amdhsa_system_sgpr_workgroup_id_x 1
		.amdhsa_system_sgpr_workgroup_id_y 0
		.amdhsa_system_sgpr_workgroup_id_z 0
		.amdhsa_system_sgpr_workgroup_info 0
		.amdhsa_system_vgpr_workitem_id 0
		.amdhsa_next_free_vgpr 1
		.amdhsa_next_free_sgpr 1
		.amdhsa_named_barrier_count 0
		.amdhsa_reserve_vcc 0
		.amdhsa_float_round_mode_32 0
		.amdhsa_float_round_mode_16_64 0
		.amdhsa_float_denorm_mode_32 3
		.amdhsa_float_denorm_mode_16_64 3
		.amdhsa_fp16_overflow 0
		.amdhsa_memory_ordered 1
		.amdhsa_forward_progress 1
		.amdhsa_inst_pref_size 0
		.amdhsa_round_robin_scheduling 0
		.amdhsa_exception_fp_ieee_invalid_op 0
		.amdhsa_exception_fp_denorm_src 0
		.amdhsa_exception_fp_ieee_div_zero 0
		.amdhsa_exception_fp_ieee_overflow 0
		.amdhsa_exception_fp_ieee_underflow 0
		.amdhsa_exception_fp_ieee_inexact 0
		.amdhsa_exception_int_div_zero 0
	.end_amdhsa_kernel
	.section	.text._ZN7rocprim17ROCPRIM_400000_NS6detail17trampoline_kernelINS0_14default_configENS1_35radix_sort_onesweep_config_selectorIiNS0_10empty_typeEEEZZNS1_29radix_sort_onesweep_iterationIS3_Lb1EPKiPiPS5_SB_mNS0_19identity_decomposerENS1_16block_id_wrapperIjLb0EEEEE10hipError_tT1_PNSt15iterator_traitsISG_E10value_typeET2_T3_PNSH_ISM_E10value_typeET4_T5_PSR_SS_PNS1_23onesweep_lookback_stateEbbT6_jjT7_P12ihipStream_tbENKUlT_T0_SG_SL_E_clISA_SA_SB_SB_EEDaSZ_S10_SG_SL_EUlSZ_E_NS1_11comp_targetILNS1_3genE8ELNS1_11target_archE1030ELNS1_3gpuE2ELNS1_3repE0EEENS1_47radix_sort_onesweep_sort_config_static_selectorELNS0_4arch9wavefront6targetE0EEEvSG_,"axG",@progbits,_ZN7rocprim17ROCPRIM_400000_NS6detail17trampoline_kernelINS0_14default_configENS1_35radix_sort_onesweep_config_selectorIiNS0_10empty_typeEEEZZNS1_29radix_sort_onesweep_iterationIS3_Lb1EPKiPiPS5_SB_mNS0_19identity_decomposerENS1_16block_id_wrapperIjLb0EEEEE10hipError_tT1_PNSt15iterator_traitsISG_E10value_typeET2_T3_PNSH_ISM_E10value_typeET4_T5_PSR_SS_PNS1_23onesweep_lookback_stateEbbT6_jjT7_P12ihipStream_tbENKUlT_T0_SG_SL_E_clISA_SA_SB_SB_EEDaSZ_S10_SG_SL_EUlSZ_E_NS1_11comp_targetILNS1_3genE8ELNS1_11target_archE1030ELNS1_3gpuE2ELNS1_3repE0EEENS1_47radix_sort_onesweep_sort_config_static_selectorELNS0_4arch9wavefront6targetE0EEEvSG_,comdat
.Lfunc_end884:
	.size	_ZN7rocprim17ROCPRIM_400000_NS6detail17trampoline_kernelINS0_14default_configENS1_35radix_sort_onesweep_config_selectorIiNS0_10empty_typeEEEZZNS1_29radix_sort_onesweep_iterationIS3_Lb1EPKiPiPS5_SB_mNS0_19identity_decomposerENS1_16block_id_wrapperIjLb0EEEEE10hipError_tT1_PNSt15iterator_traitsISG_E10value_typeET2_T3_PNSH_ISM_E10value_typeET4_T5_PSR_SS_PNS1_23onesweep_lookback_stateEbbT6_jjT7_P12ihipStream_tbENKUlT_T0_SG_SL_E_clISA_SA_SB_SB_EEDaSZ_S10_SG_SL_EUlSZ_E_NS1_11comp_targetILNS1_3genE8ELNS1_11target_archE1030ELNS1_3gpuE2ELNS1_3repE0EEENS1_47radix_sort_onesweep_sort_config_static_selectorELNS0_4arch9wavefront6targetE0EEEvSG_, .Lfunc_end884-_ZN7rocprim17ROCPRIM_400000_NS6detail17trampoline_kernelINS0_14default_configENS1_35radix_sort_onesweep_config_selectorIiNS0_10empty_typeEEEZZNS1_29radix_sort_onesweep_iterationIS3_Lb1EPKiPiPS5_SB_mNS0_19identity_decomposerENS1_16block_id_wrapperIjLb0EEEEE10hipError_tT1_PNSt15iterator_traitsISG_E10value_typeET2_T3_PNSH_ISM_E10value_typeET4_T5_PSR_SS_PNS1_23onesweep_lookback_stateEbbT6_jjT7_P12ihipStream_tbENKUlT_T0_SG_SL_E_clISA_SA_SB_SB_EEDaSZ_S10_SG_SL_EUlSZ_E_NS1_11comp_targetILNS1_3genE8ELNS1_11target_archE1030ELNS1_3gpuE2ELNS1_3repE0EEENS1_47radix_sort_onesweep_sort_config_static_selectorELNS0_4arch9wavefront6targetE0EEEvSG_
                                        ; -- End function
	.set _ZN7rocprim17ROCPRIM_400000_NS6detail17trampoline_kernelINS0_14default_configENS1_35radix_sort_onesweep_config_selectorIiNS0_10empty_typeEEEZZNS1_29radix_sort_onesweep_iterationIS3_Lb1EPKiPiPS5_SB_mNS0_19identity_decomposerENS1_16block_id_wrapperIjLb0EEEEE10hipError_tT1_PNSt15iterator_traitsISG_E10value_typeET2_T3_PNSH_ISM_E10value_typeET4_T5_PSR_SS_PNS1_23onesweep_lookback_stateEbbT6_jjT7_P12ihipStream_tbENKUlT_T0_SG_SL_E_clISA_SA_SB_SB_EEDaSZ_S10_SG_SL_EUlSZ_E_NS1_11comp_targetILNS1_3genE8ELNS1_11target_archE1030ELNS1_3gpuE2ELNS1_3repE0EEENS1_47radix_sort_onesweep_sort_config_static_selectorELNS0_4arch9wavefront6targetE0EEEvSG_.num_vgpr, 0
	.set _ZN7rocprim17ROCPRIM_400000_NS6detail17trampoline_kernelINS0_14default_configENS1_35radix_sort_onesweep_config_selectorIiNS0_10empty_typeEEEZZNS1_29radix_sort_onesweep_iterationIS3_Lb1EPKiPiPS5_SB_mNS0_19identity_decomposerENS1_16block_id_wrapperIjLb0EEEEE10hipError_tT1_PNSt15iterator_traitsISG_E10value_typeET2_T3_PNSH_ISM_E10value_typeET4_T5_PSR_SS_PNS1_23onesweep_lookback_stateEbbT6_jjT7_P12ihipStream_tbENKUlT_T0_SG_SL_E_clISA_SA_SB_SB_EEDaSZ_S10_SG_SL_EUlSZ_E_NS1_11comp_targetILNS1_3genE8ELNS1_11target_archE1030ELNS1_3gpuE2ELNS1_3repE0EEENS1_47radix_sort_onesweep_sort_config_static_selectorELNS0_4arch9wavefront6targetE0EEEvSG_.num_agpr, 0
	.set _ZN7rocprim17ROCPRIM_400000_NS6detail17trampoline_kernelINS0_14default_configENS1_35radix_sort_onesweep_config_selectorIiNS0_10empty_typeEEEZZNS1_29radix_sort_onesweep_iterationIS3_Lb1EPKiPiPS5_SB_mNS0_19identity_decomposerENS1_16block_id_wrapperIjLb0EEEEE10hipError_tT1_PNSt15iterator_traitsISG_E10value_typeET2_T3_PNSH_ISM_E10value_typeET4_T5_PSR_SS_PNS1_23onesweep_lookback_stateEbbT6_jjT7_P12ihipStream_tbENKUlT_T0_SG_SL_E_clISA_SA_SB_SB_EEDaSZ_S10_SG_SL_EUlSZ_E_NS1_11comp_targetILNS1_3genE8ELNS1_11target_archE1030ELNS1_3gpuE2ELNS1_3repE0EEENS1_47radix_sort_onesweep_sort_config_static_selectorELNS0_4arch9wavefront6targetE0EEEvSG_.numbered_sgpr, 0
	.set _ZN7rocprim17ROCPRIM_400000_NS6detail17trampoline_kernelINS0_14default_configENS1_35radix_sort_onesweep_config_selectorIiNS0_10empty_typeEEEZZNS1_29radix_sort_onesweep_iterationIS3_Lb1EPKiPiPS5_SB_mNS0_19identity_decomposerENS1_16block_id_wrapperIjLb0EEEEE10hipError_tT1_PNSt15iterator_traitsISG_E10value_typeET2_T3_PNSH_ISM_E10value_typeET4_T5_PSR_SS_PNS1_23onesweep_lookback_stateEbbT6_jjT7_P12ihipStream_tbENKUlT_T0_SG_SL_E_clISA_SA_SB_SB_EEDaSZ_S10_SG_SL_EUlSZ_E_NS1_11comp_targetILNS1_3genE8ELNS1_11target_archE1030ELNS1_3gpuE2ELNS1_3repE0EEENS1_47radix_sort_onesweep_sort_config_static_selectorELNS0_4arch9wavefront6targetE0EEEvSG_.num_named_barrier, 0
	.set _ZN7rocprim17ROCPRIM_400000_NS6detail17trampoline_kernelINS0_14default_configENS1_35radix_sort_onesweep_config_selectorIiNS0_10empty_typeEEEZZNS1_29radix_sort_onesweep_iterationIS3_Lb1EPKiPiPS5_SB_mNS0_19identity_decomposerENS1_16block_id_wrapperIjLb0EEEEE10hipError_tT1_PNSt15iterator_traitsISG_E10value_typeET2_T3_PNSH_ISM_E10value_typeET4_T5_PSR_SS_PNS1_23onesweep_lookback_stateEbbT6_jjT7_P12ihipStream_tbENKUlT_T0_SG_SL_E_clISA_SA_SB_SB_EEDaSZ_S10_SG_SL_EUlSZ_E_NS1_11comp_targetILNS1_3genE8ELNS1_11target_archE1030ELNS1_3gpuE2ELNS1_3repE0EEENS1_47radix_sort_onesweep_sort_config_static_selectorELNS0_4arch9wavefront6targetE0EEEvSG_.private_seg_size, 0
	.set _ZN7rocprim17ROCPRIM_400000_NS6detail17trampoline_kernelINS0_14default_configENS1_35radix_sort_onesweep_config_selectorIiNS0_10empty_typeEEEZZNS1_29radix_sort_onesweep_iterationIS3_Lb1EPKiPiPS5_SB_mNS0_19identity_decomposerENS1_16block_id_wrapperIjLb0EEEEE10hipError_tT1_PNSt15iterator_traitsISG_E10value_typeET2_T3_PNSH_ISM_E10value_typeET4_T5_PSR_SS_PNS1_23onesweep_lookback_stateEbbT6_jjT7_P12ihipStream_tbENKUlT_T0_SG_SL_E_clISA_SA_SB_SB_EEDaSZ_S10_SG_SL_EUlSZ_E_NS1_11comp_targetILNS1_3genE8ELNS1_11target_archE1030ELNS1_3gpuE2ELNS1_3repE0EEENS1_47radix_sort_onesweep_sort_config_static_selectorELNS0_4arch9wavefront6targetE0EEEvSG_.uses_vcc, 0
	.set _ZN7rocprim17ROCPRIM_400000_NS6detail17trampoline_kernelINS0_14default_configENS1_35radix_sort_onesweep_config_selectorIiNS0_10empty_typeEEEZZNS1_29radix_sort_onesweep_iterationIS3_Lb1EPKiPiPS5_SB_mNS0_19identity_decomposerENS1_16block_id_wrapperIjLb0EEEEE10hipError_tT1_PNSt15iterator_traitsISG_E10value_typeET2_T3_PNSH_ISM_E10value_typeET4_T5_PSR_SS_PNS1_23onesweep_lookback_stateEbbT6_jjT7_P12ihipStream_tbENKUlT_T0_SG_SL_E_clISA_SA_SB_SB_EEDaSZ_S10_SG_SL_EUlSZ_E_NS1_11comp_targetILNS1_3genE8ELNS1_11target_archE1030ELNS1_3gpuE2ELNS1_3repE0EEENS1_47radix_sort_onesweep_sort_config_static_selectorELNS0_4arch9wavefront6targetE0EEEvSG_.uses_flat_scratch, 0
	.set _ZN7rocprim17ROCPRIM_400000_NS6detail17trampoline_kernelINS0_14default_configENS1_35radix_sort_onesweep_config_selectorIiNS0_10empty_typeEEEZZNS1_29radix_sort_onesweep_iterationIS3_Lb1EPKiPiPS5_SB_mNS0_19identity_decomposerENS1_16block_id_wrapperIjLb0EEEEE10hipError_tT1_PNSt15iterator_traitsISG_E10value_typeET2_T3_PNSH_ISM_E10value_typeET4_T5_PSR_SS_PNS1_23onesweep_lookback_stateEbbT6_jjT7_P12ihipStream_tbENKUlT_T0_SG_SL_E_clISA_SA_SB_SB_EEDaSZ_S10_SG_SL_EUlSZ_E_NS1_11comp_targetILNS1_3genE8ELNS1_11target_archE1030ELNS1_3gpuE2ELNS1_3repE0EEENS1_47radix_sort_onesweep_sort_config_static_selectorELNS0_4arch9wavefront6targetE0EEEvSG_.has_dyn_sized_stack, 0
	.set _ZN7rocprim17ROCPRIM_400000_NS6detail17trampoline_kernelINS0_14default_configENS1_35radix_sort_onesweep_config_selectorIiNS0_10empty_typeEEEZZNS1_29radix_sort_onesweep_iterationIS3_Lb1EPKiPiPS5_SB_mNS0_19identity_decomposerENS1_16block_id_wrapperIjLb0EEEEE10hipError_tT1_PNSt15iterator_traitsISG_E10value_typeET2_T3_PNSH_ISM_E10value_typeET4_T5_PSR_SS_PNS1_23onesweep_lookback_stateEbbT6_jjT7_P12ihipStream_tbENKUlT_T0_SG_SL_E_clISA_SA_SB_SB_EEDaSZ_S10_SG_SL_EUlSZ_E_NS1_11comp_targetILNS1_3genE8ELNS1_11target_archE1030ELNS1_3gpuE2ELNS1_3repE0EEENS1_47radix_sort_onesweep_sort_config_static_selectorELNS0_4arch9wavefront6targetE0EEEvSG_.has_recursion, 0
	.set _ZN7rocprim17ROCPRIM_400000_NS6detail17trampoline_kernelINS0_14default_configENS1_35radix_sort_onesweep_config_selectorIiNS0_10empty_typeEEEZZNS1_29radix_sort_onesweep_iterationIS3_Lb1EPKiPiPS5_SB_mNS0_19identity_decomposerENS1_16block_id_wrapperIjLb0EEEEE10hipError_tT1_PNSt15iterator_traitsISG_E10value_typeET2_T3_PNSH_ISM_E10value_typeET4_T5_PSR_SS_PNS1_23onesweep_lookback_stateEbbT6_jjT7_P12ihipStream_tbENKUlT_T0_SG_SL_E_clISA_SA_SB_SB_EEDaSZ_S10_SG_SL_EUlSZ_E_NS1_11comp_targetILNS1_3genE8ELNS1_11target_archE1030ELNS1_3gpuE2ELNS1_3repE0EEENS1_47radix_sort_onesweep_sort_config_static_selectorELNS0_4arch9wavefront6targetE0EEEvSG_.has_indirect_call, 0
	.section	.AMDGPU.csdata,"",@progbits
; Kernel info:
; codeLenInByte = 0
; TotalNumSgprs: 0
; NumVgprs: 0
; ScratchSize: 0
; MemoryBound: 0
; FloatMode: 240
; IeeeMode: 1
; LDSByteSize: 0 bytes/workgroup (compile time only)
; SGPRBlocks: 0
; VGPRBlocks: 0
; NumSGPRsForWavesPerEU: 1
; NumVGPRsForWavesPerEU: 1
; NamedBarCnt: 0
; Occupancy: 16
; WaveLimiterHint : 0
; COMPUTE_PGM_RSRC2:SCRATCH_EN: 0
; COMPUTE_PGM_RSRC2:USER_SGPR: 2
; COMPUTE_PGM_RSRC2:TRAP_HANDLER: 0
; COMPUTE_PGM_RSRC2:TGID_X_EN: 1
; COMPUTE_PGM_RSRC2:TGID_Y_EN: 0
; COMPUTE_PGM_RSRC2:TGID_Z_EN: 0
; COMPUTE_PGM_RSRC2:TIDIG_COMP_CNT: 0
	.section	.text._ZN7rocprim17ROCPRIM_400000_NS6detail17trampoline_kernelINS0_13kernel_configILj256ELj4ELj4294967295EEENS1_37radix_sort_block_sort_config_selectorIiNS0_10empty_typeEEEZNS1_21radix_sort_block_sortIS4_Lb0EPKiPiPS6_SC_NS0_19identity_decomposerEEE10hipError_tT1_T2_T3_T4_jRjT5_jjP12ihipStream_tbEUlT_E_NS1_11comp_targetILNS1_3genE0ELNS1_11target_archE4294967295ELNS1_3gpuE0ELNS1_3repE0EEENS1_44radix_sort_block_sort_config_static_selectorELNS0_4arch9wavefront6targetE0EEEvSF_,"axG",@progbits,_ZN7rocprim17ROCPRIM_400000_NS6detail17trampoline_kernelINS0_13kernel_configILj256ELj4ELj4294967295EEENS1_37radix_sort_block_sort_config_selectorIiNS0_10empty_typeEEEZNS1_21radix_sort_block_sortIS4_Lb0EPKiPiPS6_SC_NS0_19identity_decomposerEEE10hipError_tT1_T2_T3_T4_jRjT5_jjP12ihipStream_tbEUlT_E_NS1_11comp_targetILNS1_3genE0ELNS1_11target_archE4294967295ELNS1_3gpuE0ELNS1_3repE0EEENS1_44radix_sort_block_sort_config_static_selectorELNS0_4arch9wavefront6targetE0EEEvSF_,comdat
	.protected	_ZN7rocprim17ROCPRIM_400000_NS6detail17trampoline_kernelINS0_13kernel_configILj256ELj4ELj4294967295EEENS1_37radix_sort_block_sort_config_selectorIiNS0_10empty_typeEEEZNS1_21radix_sort_block_sortIS4_Lb0EPKiPiPS6_SC_NS0_19identity_decomposerEEE10hipError_tT1_T2_T3_T4_jRjT5_jjP12ihipStream_tbEUlT_E_NS1_11comp_targetILNS1_3genE0ELNS1_11target_archE4294967295ELNS1_3gpuE0ELNS1_3repE0EEENS1_44radix_sort_block_sort_config_static_selectorELNS0_4arch9wavefront6targetE0EEEvSF_ ; -- Begin function _ZN7rocprim17ROCPRIM_400000_NS6detail17trampoline_kernelINS0_13kernel_configILj256ELj4ELj4294967295EEENS1_37radix_sort_block_sort_config_selectorIiNS0_10empty_typeEEEZNS1_21radix_sort_block_sortIS4_Lb0EPKiPiPS6_SC_NS0_19identity_decomposerEEE10hipError_tT1_T2_T3_T4_jRjT5_jjP12ihipStream_tbEUlT_E_NS1_11comp_targetILNS1_3genE0ELNS1_11target_archE4294967295ELNS1_3gpuE0ELNS1_3repE0EEENS1_44radix_sort_block_sort_config_static_selectorELNS0_4arch9wavefront6targetE0EEEvSF_
	.globl	_ZN7rocprim17ROCPRIM_400000_NS6detail17trampoline_kernelINS0_13kernel_configILj256ELj4ELj4294967295EEENS1_37radix_sort_block_sort_config_selectorIiNS0_10empty_typeEEEZNS1_21radix_sort_block_sortIS4_Lb0EPKiPiPS6_SC_NS0_19identity_decomposerEEE10hipError_tT1_T2_T3_T4_jRjT5_jjP12ihipStream_tbEUlT_E_NS1_11comp_targetILNS1_3genE0ELNS1_11target_archE4294967295ELNS1_3gpuE0ELNS1_3repE0EEENS1_44radix_sort_block_sort_config_static_selectorELNS0_4arch9wavefront6targetE0EEEvSF_
	.p2align	8
	.type	_ZN7rocprim17ROCPRIM_400000_NS6detail17trampoline_kernelINS0_13kernel_configILj256ELj4ELj4294967295EEENS1_37radix_sort_block_sort_config_selectorIiNS0_10empty_typeEEEZNS1_21radix_sort_block_sortIS4_Lb0EPKiPiPS6_SC_NS0_19identity_decomposerEEE10hipError_tT1_T2_T3_T4_jRjT5_jjP12ihipStream_tbEUlT_E_NS1_11comp_targetILNS1_3genE0ELNS1_11target_archE4294967295ELNS1_3gpuE0ELNS1_3repE0EEENS1_44radix_sort_block_sort_config_static_selectorELNS0_4arch9wavefront6targetE0EEEvSF_,@function
_ZN7rocprim17ROCPRIM_400000_NS6detail17trampoline_kernelINS0_13kernel_configILj256ELj4ELj4294967295EEENS1_37radix_sort_block_sort_config_selectorIiNS0_10empty_typeEEEZNS1_21radix_sort_block_sortIS4_Lb0EPKiPiPS6_SC_NS0_19identity_decomposerEEE10hipError_tT1_T2_T3_T4_jRjT5_jjP12ihipStream_tbEUlT_E_NS1_11comp_targetILNS1_3genE0ELNS1_11target_archE4294967295ELNS1_3gpuE0ELNS1_3repE0EEENS1_44radix_sort_block_sort_config_static_selectorELNS0_4arch9wavefront6targetE0EEEvSF_: ; @_ZN7rocprim17ROCPRIM_400000_NS6detail17trampoline_kernelINS0_13kernel_configILj256ELj4ELj4294967295EEENS1_37radix_sort_block_sort_config_selectorIiNS0_10empty_typeEEEZNS1_21radix_sort_block_sortIS4_Lb0EPKiPiPS6_SC_NS0_19identity_decomposerEEE10hipError_tT1_T2_T3_T4_jRjT5_jjP12ihipStream_tbEUlT_E_NS1_11comp_targetILNS1_3genE0ELNS1_11target_archE4294967295ELNS1_3gpuE0ELNS1_3repE0EEENS1_44radix_sort_block_sort_config_static_selectorELNS0_4arch9wavefront6targetE0EEEvSF_
; %bb.0:
	s_clause 0x1
	s_load_b32 s4, s[0:1], 0x20
	s_load_b128 s[16:19], s[0:1], 0x0
	s_bfe_u32 s5, ttmp6, 0x4000c
	s_and_b32 s2, ttmp6, 15
	s_add_co_i32 s5, s5, 1
	s_getreg_b32 s6, hwreg(HW_REG_IB_STS2, 6, 4)
	s_mul_i32 s5, ttmp9, s5
	v_and_b32_e32 v14, 0x3ff, v0
	s_add_co_i32 s2, s2, s5
	s_cmp_eq_u32 s6, 0
	v_mbcnt_lo_u32_b32 v1, -1, 0
	s_cselect_b32 s5, ttmp9, s2
	v_dual_mov_b32 v7, 0 :: v_dual_lshlrev_b32 v8, 2, v14
	s_lshl_b32 s2, s5, 10
	s_mov_b32 s3, 0
	v_lshlrev_b32_e32 v6, 2, v1
	s_delay_alu instid0(VALU_DEP_2) | instskip(SKIP_2) | instid1(SALU_CYCLE_1)
	v_and_b32_e32 v9, 0x380, v8
	s_wait_kmcnt 0x0
	s_lshr_b32 s8, s4, 10
	s_cmp_lg_u32 s5, s8
	s_cselect_b32 s25, -1, 0
	s_lshl_b64 s[20:21], s[2:3], 2
	s_cmp_eq_u32 s5, s8
	s_add_nc_u64 s[6:7], s[16:17], s[20:21]
	s_mov_b32 s5, -1
	v_add_nc_u64_e32 v[2:3], s[6:7], v[6:7]
	v_lshlrev_b32_e32 v6, 2, v9
	s_delay_alu instid0(VALU_DEP_1)
	v_add_nc_u64_e32 v[10:11], v[2:3], v[6:7]
                                        ; implicit-def: $vgpr2_vgpr3_vgpr4_vgpr5
	s_cbranch_scc0 .LBB885_24
; %bb.1:
	s_load_b64 s[22:23], s[0:1], 0x28
	s_and_not1_b32 vcc_lo, exec_lo, s5
	s_sub_co_i32 s24, s4, s2
	s_cbranch_vccz .LBB885_25
.LBB885_2:
	s_and_saveexec_b32 s2, s3
	s_cbranch_execz .LBB885_4
.LBB885_3:
	global_load_b32 v5, v[10:11], off offset:384
.LBB885_4:
	s_wait_xcnt 0x0
	s_or_b32 exec_lo, exec_lo, s2
	s_load_b32 s6, s[0:1], 0x3c
	v_bfe_u32 v7, v0, 10, 10
	v_bfe_u32 v0, v0, 20, 10
	s_get_pc_i64 s[4:5]
	s_add_nc_u64 s[4:5], s[4:5], _ZN7rocprim17ROCPRIM_400000_NS16block_radix_sortIiLj256ELj4ENS0_10empty_typeELj1ELj1ELj0ELNS0_26block_radix_rank_algorithmE1ELNS0_18block_padding_hintE2ELNS0_4arch9wavefront6targetE0EE19radix_bits_per_passE@rel64+4
	v_sub_co_u32 v13, s2, v1, 1
	v_and_b32_e32 v12, 0x3e0, v14
	s_load_b32 s26, s[4:5], 0x0
	v_dual_lshlrev_b32 v9, 5, v14 :: v_dual_bitop2_b32 v10, 15, v1 bitop3:0x40
	s_delay_alu instid0(VALU_DEP_3)
	v_cmp_gt_i32_e32 vcc_lo, 0, v13
	v_dual_lshrrev_b32 v15, 3, v14 :: v_dual_bitop2_b32 v11, 16, v1 bitop3:0x40
	v_and_b32_e32 v17, 7, v1
	s_wait_xcnt 0x0
	v_cmp_eq_u32_e64 s4, 0, v10
	v_cmp_lt_u32_e64 s5, 1, v10
	s_mov_b32 s14, 0
	v_mul_i32_i24_e32 v16, 0xffffffe4, v14
	v_and_b32_e32 v15, 0x7c, v15
	s_mov_b32 s15, s14
	s_wait_kmcnt 0x0
	s_lshr_b32 s7, s6, 16
	s_and_b32 s6, s6, 0xffff
	v_mad_u32_u24 v0, v0, s7, v7
	v_min_u32_e32 v7, 0xe0, v12
	v_cmp_lt_u32_e64 s7, 7, v10
	s_mov_b32 s16, s14
	s_mov_b32 s17, s14
	v_mad_u32 v0, v0, s6, v14
	v_cmp_lt_u32_e64 s6, 3, v10
	v_dual_cndmask_b32 v10, v13, v1, vcc_lo :: v_dual_bitop2_b32 v7, 31, v7 bitop3:0x54
	v_cmp_eq_u32_e64 s8, 0, v11
	v_cmp_eq_u32_e64 s9, 0, v17
	v_cmp_lt_u32_e64 s10, 1, v17
	v_cmp_lt_u32_e64 s11, 3, v17
	v_dual_lshlrev_b32 v17, 2, v10 :: v_dual_add_nc_u32 v18, -4, v15
	v_mov_b64_e32 v[10:11], s[14:15]
	v_lshrrev_b32_e32 v0, 3, v0
	v_mov_b64_e32 v[12:13], s[16:17]
	s_wait_loadcnt 0x2
	v_xor_b32_e32 v2, 0x80000000, v2
	s_wait_loadcnt 0x0
	v_xor_b32_e32 v3, 0x80000000, v3
	v_xor_b32_e32 v4, 0x80000000, v4
	;; [unrolled: 1-line block ×3, first 2 shown]
	v_cmp_gt_u32_e64 s0, 8, v14
	v_cmp_lt_u32_e64 s1, 31, v14
	v_cmp_eq_u32_e64 s3, 0, v14
	v_cmp_eq_u32_e64 s12, v14, v7
	v_and_b32_e32 v19, 0x1ffffffc, v0
	v_lshl_add_u32 v20, v1, 2, v6
	v_add_nc_u32_e32 v16, v9, v16
	s_add_co_i32 s27, s23, s22
	s_branch .LBB885_6
.LBB885_5:                              ;   in Loop: Header=BB885_6 Depth=1
	s_and_not1_b32 vcc_lo, exec_lo, s14
	s_mov_b32 s23, s13
	s_cbranch_vccz .LBB885_22
.LBB885_6:                              ; =>This Inner Loop Header: Depth=1
	v_mov_b32_e32 v21, v2
	s_min_u32 s13, s26, s23
	ds_store_2addr_b64 v9, v[10:11], v[12:13] offset0:4 offset1:5
	ds_store_2addr_b64 v9, v[10:11], v[12:13] offset0:6 offset1:7
	s_lshl_b32 s28, -1, s13
	s_wait_dscnt 0x0
	v_lshrrev_b32_e32 v0, s22, v21
	s_barrier_signal -1
	s_barrier_wait -1
	s_delay_alu instid0(VALU_DEP_1) | instskip(NEXT) | instid1(VALU_DEP_1)
	v_bitop3_b32 v2, v0, s28, v0 bitop3:0x30
	; wave barrier
	v_lshlrev_b32_e32 v7, 29, v2
	v_bitop3_b32 v1, v0, 1, s28 bitop3:0x40
	v_dual_lshlrev_b32 v6, 30, v2 :: v_dual_lshlrev_b32 v22, 28, v2
	v_dual_lshlrev_b32 v23, 27, v2 :: v_dual_lshlrev_b32 v24, 26, v2
	v_lshlrev_b32_e32 v25, 25, v2
	s_delay_alu instid0(VALU_DEP_4) | instskip(NEXT) | instid1(VALU_DEP_1)
	v_add_co_u32 v0, s13, v1, -1
	v_cndmask_b32_e64 v1, 0, 1, s13
	v_cmp_gt_i32_e64 s13, 0, v6
	v_cmp_gt_i32_e64 s14, 0, v7
	;; [unrolled: 1-line block ×4, first 2 shown]
	v_cmp_ne_u32_e32 vcc_lo, 0, v1
	v_not_b32_e32 v1, v6
	v_lshlrev_b32_e32 v26, 24, v2
	v_not_b32_e32 v6, v7
	v_not_b32_e32 v7, v22
	;; [unrolled: 1-line block ×3, first 2 shown]
	v_dual_ashrrev_i32 v1, 31, v1 :: v_dual_bitop2_b32 v0, vcc_lo, v0 bitop3:0x14
	s_delay_alu instid0(VALU_DEP_3) | instskip(SKIP_1) | instid1(VALU_DEP_3)
	v_dual_ashrrev_i32 v6, 31, v6 :: v_dual_ashrrev_i32 v7, 31, v7
	v_not_b32_e32 v23, v24
	v_xor_b32_e32 v1, s13, v1
	v_cmp_gt_i32_e64 s17, 0, v24
	s_delay_alu instid0(VALU_DEP_4) | instskip(NEXT) | instid1(VALU_DEP_4)
	v_dual_ashrrev_i32 v22, 31, v22 :: v_dual_bitop2_b32 v7, s15, v7 bitop3:0x14
	v_dual_ashrrev_i32 v23, 31, v23 :: v_dual_bitop2_b32 v6, s14, v6 bitop3:0x14
	s_delay_alu instid0(VALU_DEP_4)
	v_bitop3_b32 v0, v0, v1, exec_lo bitop3:0x80
	v_not_b32_e32 v1, v25
	v_not_b32_e32 v24, v26
	v_xor_b32_e32 v22, s16, v22
	v_cmp_gt_i32_e32 vcc_lo, 0, v25
	v_bitop3_b32 v0, v0, v7, v6 bitop3:0x80
	v_ashrrev_i32_e32 v1, 31, v1
	v_cmp_gt_i32_e64 s13, 0, v26
	v_dual_ashrrev_i32 v6, 31, v24 :: v_dual_bitop2_b32 v7, s17, v23 bitop3:0x14
	s_delay_alu instid0(VALU_DEP_3) | instskip(NEXT) | instid1(VALU_DEP_2)
	v_dual_mov_b32 v23, v4 :: v_dual_bitop2_b32 v1, vcc_lo, v1 bitop3:0x14
	v_dual_mov_b32 v24, v3 :: v_dual_bitop2_b32 v6, s13, v6 bitop3:0x14
	s_delay_alu instid0(VALU_DEP_3) | instskip(SKIP_1) | instid1(VALU_DEP_2)
	v_bitop3_b32 v0, v0, v7, v22 bitop3:0x80
	v_mov_b32_e32 v22, v5
	v_bitop3_b32 v0, v0, v6, v1 bitop3:0x80
	v_lshlrev_b32_e32 v1, 5, v2
	s_delay_alu instid0(VALU_DEP_2) | instskip(SKIP_1) | instid1(VALU_DEP_3)
	v_mbcnt_lo_u32_b32 v25, v0, 0
	v_cmp_ne_u32_e64 s13, 0, v0
	v_add_nc_u32_e32 v26, v19, v1
	s_delay_alu instid0(VALU_DEP_3) | instskip(SKIP_1) | instid1(SALU_CYCLE_1)
	v_cmp_eq_u32_e32 vcc_lo, 0, v25
	s_and_b32 s14, s13, vcc_lo
	s_and_saveexec_b32 s13, s14
; %bb.7:                                ;   in Loop: Header=BB885_6 Depth=1
	v_bcnt_u32_b32 v0, v0, 0
	ds_store_b32 v26, v0 offset:32
; %bb.8:                                ;   in Loop: Header=BB885_6 Depth=1
	s_or_b32 exec_lo, exec_lo, s13
	v_lshrrev_b32_e32 v0, s22, v24
	s_not_b32 s17, s28
	; wave barrier
	s_delay_alu instid0(VALU_DEP_1) | instid1(SALU_CYCLE_1)
	v_and_b32_e32 v1, s17, v0
	s_delay_alu instid0(VALU_DEP_1) | instskip(SKIP_1) | instid1(VALU_DEP_2)
	v_lshlrev_b32_e32 v2, 5, v1
	v_bitop3_b32 v0, v0, 1, s17 bitop3:0x80
	v_dual_lshlrev_b32 v4, 30, v1 :: v_dual_add_nc_u32 v28, v19, v2
	s_delay_alu instid0(VALU_DEP_2) | instskip(NEXT) | instid1(VALU_DEP_1)
	v_add_co_u32 v0, s13, v0, -1
	v_cndmask_b32_e64 v3, 0, 1, s13
	s_delay_alu instid0(VALU_DEP_1) | instskip(NEXT) | instid1(VALU_DEP_4)
	v_cmp_ne_u32_e32 vcc_lo, 0, v3
	v_not_b32_e32 v3, v4
	s_delay_alu instid0(VALU_DEP_1) | instskip(SKIP_4) | instid1(VALU_DEP_4)
	v_dual_ashrrev_i32 v3, 31, v3 :: v_dual_bitop2_b32 v0, vcc_lo, v0 bitop3:0x14
	v_dual_lshlrev_b32 v5, 29, v1 :: v_dual_lshlrev_b32 v6, 28, v1
	v_lshlrev_b32_e32 v7, 27, v1
	v_cmp_gt_i32_e64 s13, 0, v4
	v_lshlrev_b32_e32 v27, 26, v1
	v_cmp_gt_i32_e64 s14, 0, v5
	v_not_b32_e32 v4, v5
	v_not_b32_e32 v5, v6
	v_cmp_gt_i32_e64 s15, 0, v6
	v_xor_b32_e32 v3, s13, v3
	v_not_b32_e32 v6, v7
	s_delay_alu instid0(VALU_DEP_4) | instskip(SKIP_3) | instid1(VALU_DEP_4)
	v_dual_ashrrev_i32 v4, 31, v4 :: v_dual_ashrrev_i32 v5, 31, v5
	v_cmp_gt_i32_e64 s16, 0, v7
	v_not_b32_e32 v7, v27
	v_bitop3_b32 v0, v0, v3, exec_lo bitop3:0x80
	v_dual_ashrrev_i32 v3, 31, v6 :: v_dual_bitop2_b32 v4, s14, v4 bitop3:0x14
	s_delay_alu instid0(VALU_DEP_3) | instskip(SKIP_1) | instid1(VALU_DEP_3)
	v_dual_ashrrev_i32 v7, 31, v7 :: v_dual_bitop2_b32 v5, s15, v5 bitop3:0x14
	v_dual_lshlrev_b32 v6, 25, v1 :: v_dual_lshlrev_b32 v1, 24, v1
	v_xor_b32_e32 v3, s16, v3
	v_cmp_gt_i32_e32 vcc_lo, 0, v27
	s_delay_alu instid0(VALU_DEP_4) | instskip(NEXT) | instid1(VALU_DEP_4)
	v_bitop3_b32 v0, v0, v5, v4 bitop3:0x80
	v_not_b32_e32 v4, v6
	v_not_b32_e32 v5, v1
	v_cmp_gt_i32_e64 s13, 0, v1
	v_xor_b32_e32 v7, vcc_lo, v7
	v_cmp_gt_i32_e32 vcc_lo, 0, v6
	s_delay_alu instid0(VALU_DEP_4) | instskip(SKIP_4) | instid1(VALU_DEP_1)
	v_dual_ashrrev_i32 v4, 31, v4 :: v_dual_ashrrev_i32 v1, 31, v5
	ds_load_b32 v27, v28 offset:32
	v_bitop3_b32 v0, v0, v7, v3 bitop3:0x80
	v_xor_b32_e32 v2, vcc_lo, v4
	v_xor_b32_e32 v1, s13, v1
	; wave barrier
	v_bitop3_b32 v0, v0, v1, v2 bitop3:0x80
	s_delay_alu instid0(VALU_DEP_1) | instskip(SKIP_1) | instid1(VALU_DEP_2)
	v_mbcnt_lo_u32_b32 v29, v0, 0
	v_cmp_ne_u32_e64 s13, 0, v0
	v_cmp_eq_u32_e32 vcc_lo, 0, v29
	s_and_b32 s14, s13, vcc_lo
	s_delay_alu instid0(SALU_CYCLE_1)
	s_and_saveexec_b32 s13, s14
	s_cbranch_execz .LBB885_10
; %bb.9:                                ;   in Loop: Header=BB885_6 Depth=1
	s_wait_dscnt 0x0
	v_bcnt_u32_b32 v0, v0, v27
	ds_store_b32 v28, v0 offset:32
.LBB885_10:                             ;   in Loop: Header=BB885_6 Depth=1
	s_or_b32 exec_lo, exec_lo, s13
	v_lshrrev_b32_e32 v0, s22, v23
	; wave barrier
	s_delay_alu instid0(VALU_DEP_1) | instskip(NEXT) | instid1(VALU_DEP_1)
	v_and_b32_e32 v1, s17, v0
	v_lshlrev_b32_e32 v2, 5, v1
	v_bitop3_b32 v0, v0, 1, s17 bitop3:0x80
	v_lshlrev_b32_e32 v4, 30, v1
	s_delay_alu instid0(VALU_DEP_2) | instskip(NEXT) | instid1(VALU_DEP_1)
	v_add_co_u32 v0, s13, v0, -1
	v_cndmask_b32_e64 v3, 0, 1, s13
	s_delay_alu instid0(VALU_DEP_1) | instskip(NEXT) | instid1(VALU_DEP_4)
	v_cmp_ne_u32_e32 vcc_lo, 0, v3
	v_not_b32_e32 v3, v4
	s_delay_alu instid0(VALU_DEP_1) | instskip(SKIP_4) | instid1(VALU_DEP_4)
	v_dual_ashrrev_i32 v3, 31, v3 :: v_dual_bitop2_b32 v0, vcc_lo, v0 bitop3:0x14
	v_dual_lshlrev_b32 v5, 29, v1 :: v_dual_lshlrev_b32 v6, 28, v1
	v_dual_lshlrev_b32 v7, 27, v1 :: v_dual_lshlrev_b32 v30, 26, v1
	v_lshlrev_b32_e32 v31, 25, v1
	v_cmp_gt_i32_e64 s13, 0, v4
	v_cmp_gt_i32_e64 s14, 0, v5
	v_not_b32_e32 v4, v5
	v_not_b32_e32 v5, v6
	v_lshlrev_b32_e32 v1, 24, v1
	v_cmp_gt_i32_e64 s15, 0, v6
	v_not_b32_e32 v32, v30
	s_delay_alu instid0(VALU_DEP_4) | instskip(SKIP_3) | instid1(VALU_DEP_4)
	v_dual_ashrrev_i32 v4, 31, v4 :: v_dual_ashrrev_i32 v5, 31, v5
	v_xor_b32_e32 v3, s13, v3
	v_not_b32_e32 v6, v7
	v_cmp_gt_i32_e32 vcc_lo, 0, v7
	v_xor_b32_e32 v4, s14, v4
	v_xor_b32_e32 v5, s15, v5
	v_bitop3_b32 v0, v0, v3, exec_lo bitop3:0x80
	v_ashrrev_i32_e32 v3, 31, v6
	v_cmp_gt_i32_e64 s13, 0, v30
	v_ashrrev_i32_e32 v6, 31, v32
	s_delay_alu instid0(VALU_DEP_4)
	v_bitop3_b32 v0, v0, v5, v4 bitop3:0x80
	v_not_b32_e32 v4, v31
	v_not_b32_e32 v5, v1
	v_xor_b32_e32 v3, vcc_lo, v3
	v_xor_b32_e32 v6, s13, v6
	v_cmp_gt_i32_e32 vcc_lo, 0, v31
	v_ashrrev_i32_e32 v4, 31, v4
	v_cmp_gt_i32_e64 s13, 0, v1
	v_dual_ashrrev_i32 v1, 31, v5 :: v_dual_add_nc_u32 v32, v19, v2
	v_bitop3_b32 v0, v0, v6, v3 bitop3:0x80
	s_delay_alu instid0(VALU_DEP_4) | instskip(NEXT) | instid1(VALU_DEP_3)
	v_xor_b32_e32 v2, vcc_lo, v4
	v_xor_b32_e32 v1, s13, v1
	ds_load_b32 v30, v32 offset:32
	; wave barrier
	v_bitop3_b32 v0, v0, v1, v2 bitop3:0x80
	s_delay_alu instid0(VALU_DEP_1) | instskip(SKIP_1) | instid1(VALU_DEP_2)
	v_mbcnt_lo_u32_b32 v31, v0, 0
	v_cmp_ne_u32_e64 s13, 0, v0
	v_cmp_eq_u32_e32 vcc_lo, 0, v31
	s_and_b32 s14, s13, vcc_lo
	s_delay_alu instid0(SALU_CYCLE_1)
	s_and_saveexec_b32 s13, s14
	s_cbranch_execz .LBB885_12
; %bb.11:                               ;   in Loop: Header=BB885_6 Depth=1
	s_wait_dscnt 0x0
	v_bcnt_u32_b32 v0, v0, v30
	ds_store_b32 v32, v0 offset:32
.LBB885_12:                             ;   in Loop: Header=BB885_6 Depth=1
	s_or_b32 exec_lo, exec_lo, s13
	v_lshrrev_b32_e32 v0, s22, v22
	; wave barrier
	s_delay_alu instid0(VALU_DEP_1) | instskip(NEXT) | instid1(VALU_DEP_1)
	v_and_b32_e32 v1, s17, v0
	v_lshlrev_b32_e32 v2, 5, v1
	v_bitop3_b32 v0, v0, 1, s17 bitop3:0x80
	v_lshlrev_b32_e32 v4, 30, v1
	s_delay_alu instid0(VALU_DEP_2) | instskip(NEXT) | instid1(VALU_DEP_1)
	v_add_co_u32 v0, s13, v0, -1
	v_cndmask_b32_e64 v3, 0, 1, s13
	s_delay_alu instid0(VALU_DEP_1) | instskip(NEXT) | instid1(VALU_DEP_4)
	v_cmp_ne_u32_e32 vcc_lo, 0, v3
	v_not_b32_e32 v3, v4
	s_delay_alu instid0(VALU_DEP_1) | instskip(SKIP_4) | instid1(VALU_DEP_4)
	v_dual_ashrrev_i32 v3, 31, v3 :: v_dual_bitop2_b32 v0, vcc_lo, v0 bitop3:0x14
	v_dual_lshlrev_b32 v5, 29, v1 :: v_dual_lshlrev_b32 v6, 28, v1
	v_lshlrev_b32_e32 v7, 27, v1
	v_cmp_gt_i32_e64 s13, 0, v4
	v_dual_lshlrev_b32 v33, 26, v1 :: v_dual_lshlrev_b32 v34, 25, v1
	v_cmp_gt_i32_e64 s14, 0, v5
	v_not_b32_e32 v4, v5
	v_not_b32_e32 v5, v6
	v_lshlrev_b32_e32 v1, 24, v1
	v_cmp_gt_i32_e64 s15, 0, v6
	s_delay_alu instid0(VALU_DEP_4) | instskip(NEXT) | instid1(VALU_DEP_4)
	v_dual_ashrrev_i32 v4, 31, v4 :: v_dual_bitop2_b32 v3, s13, v3 bitop3:0x14
	v_ashrrev_i32_e32 v5, 31, v5
	v_not_b32_e32 v6, v7
	v_not_b32_e32 v35, v33
	s_delay_alu instid0(VALU_DEP_4)
	v_bitop3_b32 v0, v0, v3, exec_lo bitop3:0x80
	v_xor_b32_e32 v4, s14, v4
	v_xor_b32_e32 v5, s15, v5
	v_cmp_gt_i32_e32 vcc_lo, 0, v7
	v_ashrrev_i32_e32 v3, 31, v6
	v_cmp_gt_i32_e64 s13, 0, v33
	v_ashrrev_i32_e32 v6, 31, v35
	v_bitop3_b32 v0, v0, v5, v4 bitop3:0x80
	v_not_b32_e32 v4, v34
	v_not_b32_e32 v5, v1
	v_xor_b32_e32 v3, vcc_lo, v3
	v_xor_b32_e32 v6, s13, v6
	v_cmp_gt_i32_e32 vcc_lo, 0, v34
	v_ashrrev_i32_e32 v4, 31, v4
	v_cmp_gt_i32_e64 s13, 0, v1
	v_dual_ashrrev_i32 v1, 31, v5 :: v_dual_add_nc_u32 v35, v19, v2
	v_bitop3_b32 v0, v0, v6, v3 bitop3:0x80
	s_delay_alu instid0(VALU_DEP_4) | instskip(NEXT) | instid1(VALU_DEP_3)
	v_xor_b32_e32 v2, vcc_lo, v4
	v_xor_b32_e32 v1, s13, v1
	ds_load_b32 v33, v35 offset:32
	; wave barrier
	v_bitop3_b32 v0, v0, v1, v2 bitop3:0x80
	s_delay_alu instid0(VALU_DEP_1) | instskip(SKIP_1) | instid1(VALU_DEP_2)
	v_mbcnt_lo_u32_b32 v34, v0, 0
	v_cmp_ne_u32_e64 s13, 0, v0
	v_cmp_eq_u32_e32 vcc_lo, 0, v34
	s_and_b32 s14, s13, vcc_lo
	s_delay_alu instid0(SALU_CYCLE_1)
	s_and_saveexec_b32 s13, s14
	s_cbranch_execz .LBB885_14
; %bb.13:                               ;   in Loop: Header=BB885_6 Depth=1
	s_wait_dscnt 0x0
	v_bcnt_u32_b32 v0, v0, v33
	ds_store_b32 v35, v0 offset:32
.LBB885_14:                             ;   in Loop: Header=BB885_6 Depth=1
	s_or_b32 exec_lo, exec_lo, s13
	; wave barrier
	s_wait_dscnt 0x0
	s_barrier_signal -1
	s_barrier_wait -1
	ds_load_2addr_b64 v[4:7], v9 offset0:4 offset1:5
	ds_load_2addr_b64 v[0:3], v9 offset0:6 offset1:7
	s_wait_dscnt 0x1
	v_add_nc_u32_e32 v36, v5, v4
	s_delay_alu instid0(VALU_DEP_1) | instskip(SKIP_1) | instid1(VALU_DEP_1)
	v_add3_u32 v36, v36, v6, v7
	s_wait_dscnt 0x0
	v_add3_u32 v36, v36, v0, v1
	s_delay_alu instid0(VALU_DEP_1) | instskip(NEXT) | instid1(VALU_DEP_1)
	v_add3_u32 v3, v36, v2, v3
	v_mov_b32_dpp v36, v3 row_shr:1 row_mask:0xf bank_mask:0xf
	s_delay_alu instid0(VALU_DEP_1) | instskip(NEXT) | instid1(VALU_DEP_1)
	v_cndmask_b32_e64 v36, v36, 0, s4
	v_add_nc_u32_e32 v3, v36, v3
	s_delay_alu instid0(VALU_DEP_1) | instskip(NEXT) | instid1(VALU_DEP_1)
	v_mov_b32_dpp v36, v3 row_shr:2 row_mask:0xf bank_mask:0xf
	v_cndmask_b32_e64 v36, 0, v36, s5
	s_delay_alu instid0(VALU_DEP_1) | instskip(NEXT) | instid1(VALU_DEP_1)
	v_add_nc_u32_e32 v3, v3, v36
	v_mov_b32_dpp v36, v3 row_shr:4 row_mask:0xf bank_mask:0xf
	s_delay_alu instid0(VALU_DEP_1) | instskip(NEXT) | instid1(VALU_DEP_1)
	v_cndmask_b32_e64 v36, 0, v36, s6
	v_add_nc_u32_e32 v3, v3, v36
	s_delay_alu instid0(VALU_DEP_1) | instskip(NEXT) | instid1(VALU_DEP_1)
	v_mov_b32_dpp v36, v3 row_shr:8 row_mask:0xf bank_mask:0xf
	v_cndmask_b32_e64 v36, 0, v36, s7
	s_delay_alu instid0(VALU_DEP_1) | instskip(SKIP_3) | instid1(VALU_DEP_1)
	v_add_nc_u32_e32 v3, v3, v36
	ds_swizzle_b32 v36, v3 offset:swizzle(BROADCAST,32,15)
	s_wait_dscnt 0x0
	v_cndmask_b32_e64 v36, v36, 0, s8
	v_add_nc_u32_e32 v3, v3, v36
	s_and_saveexec_b32 s13, s12
; %bb.15:                               ;   in Loop: Header=BB885_6 Depth=1
	ds_store_b32 v15, v3
; %bb.16:                               ;   in Loop: Header=BB885_6 Depth=1
	s_or_b32 exec_lo, exec_lo, s13
	s_wait_dscnt 0x0
	s_barrier_signal -1
	s_barrier_wait -1
	s_and_saveexec_b32 s13, s0
	s_cbranch_execz .LBB885_18
; %bb.17:                               ;   in Loop: Header=BB885_6 Depth=1
	ds_load_b32 v36, v16
	s_wait_dscnt 0x0
	v_mov_b32_dpp v37, v36 row_shr:1 row_mask:0xf bank_mask:0xf
	s_delay_alu instid0(VALU_DEP_1) | instskip(NEXT) | instid1(VALU_DEP_1)
	v_cndmask_b32_e64 v37, v37, 0, s9
	v_add_nc_u32_e32 v36, v37, v36
	s_delay_alu instid0(VALU_DEP_1) | instskip(NEXT) | instid1(VALU_DEP_1)
	v_mov_b32_dpp v37, v36 row_shr:2 row_mask:0xf bank_mask:0xf
	v_cndmask_b32_e64 v37, 0, v37, s10
	s_delay_alu instid0(VALU_DEP_1) | instskip(NEXT) | instid1(VALU_DEP_1)
	v_add_nc_u32_e32 v36, v36, v37
	v_mov_b32_dpp v37, v36 row_shr:4 row_mask:0xf bank_mask:0xf
	s_delay_alu instid0(VALU_DEP_1) | instskip(NEXT) | instid1(VALU_DEP_1)
	v_cndmask_b32_e64 v37, 0, v37, s11
	v_add_nc_u32_e32 v36, v36, v37
	ds_store_b32 v16, v36
.LBB885_18:                             ;   in Loop: Header=BB885_6 Depth=1
	s_or_b32 exec_lo, exec_lo, s13
	v_mov_b32_e32 v36, 0
	s_wait_dscnt 0x0
	s_barrier_signal -1
	s_barrier_wait -1
	s_and_saveexec_b32 s13, s1
; %bb.19:                               ;   in Loop: Header=BB885_6 Depth=1
	ds_load_b32 v36, v18
; %bb.20:                               ;   in Loop: Header=BB885_6 Depth=1
	s_or_b32 exec_lo, exec_lo, s13
	s_wait_dscnt 0x0
	v_add_nc_u32_e32 v3, v36, v3
	s_add_co_i32 s22, s22, 8
	s_mov_b32 s14, -1
	s_cmp_ge_u32 s22, s27
	ds_bpermute_b32 v3, v17, v3
	s_wait_dscnt 0x0
	v_cndmask_b32_e64 v3, v3, v36, s2
	s_delay_alu instid0(VALU_DEP_1) | instskip(NEXT) | instid1(VALU_DEP_1)
	v_cndmask_b32_e64 v36, v3, 0, s3
	v_add_nc_u32_e32 v37, v36, v4
	s_delay_alu instid0(VALU_DEP_1) | instskip(NEXT) | instid1(VALU_DEP_1)
	v_add_nc_u32_e32 v4, v37, v5
	v_add_nc_u32_e32 v5, v4, v6
	s_delay_alu instid0(VALU_DEP_1) | instskip(NEXT) | instid1(VALU_DEP_1)
	v_add_nc_u32_e32 v6, v5, v7
	v_add_nc_u32_e32 v7, v6, v0
	s_delay_alu instid0(VALU_DEP_1) | instskip(NEXT) | instid1(VALU_DEP_1)
	v_add_nc_u32_e32 v0, v7, v1
	v_add_nc_u32_e32 v1, v0, v2
	ds_store_2addr_b64 v9, v[36:37], v[4:5] offset0:4 offset1:5
	ds_store_2addr_b64 v9, v[6:7], v[0:1] offset0:6 offset1:7
	s_wait_dscnt 0x0
	s_barrier_signal -1
	s_barrier_wait -1
	ds_load_b32 v0, v28 offset:32
	ds_load_b32 v1, v32 offset:32
	;; [unrolled: 1-line block ×4, first 2 shown]
	v_lshlrev_b32_e32 v4, 2, v25
	v_dual_lshlrev_b32 v5, 2, v29 :: v_dual_lshlrev_b32 v6, 2, v27
	v_dual_lshlrev_b32 v7, 2, v31 :: v_dual_lshlrev_b32 v25, 2, v30
	;; [unrolled: 1-line block ×3, first 2 shown]
	s_wait_dscnt 0x0
	v_dual_lshlrev_b32 v28, 2, v0 :: v_dual_lshlrev_b32 v29, 2, v1
	v_lshlrev_b32_e32 v2, 2, v2
	v_lshl_add_u32 v0, v3, 2, v4
	s_delay_alu instid0(VALU_DEP_3) | instskip(NEXT) | instid1(VALU_DEP_4)
	v_add3_u32 v1, v5, v6, v28
	v_add3_u32 v6, v7, v25, v29
	s_delay_alu instid0(VALU_DEP_4) | instskip(NEXT) | instid1(VALU_DEP_4)
	v_add3_u32 v7, v26, v27, v2
	v_readfirstlane_b32 s13, v0
                                        ; implicit-def: $vgpr5
                                        ; implicit-def: $vgpr3
	s_cbranch_scc1 .LBB885_5
; %bb.21:                               ;   in Loop: Header=BB885_6 Depth=1
	s_barrier_signal -1
	s_barrier_wait -1
	ds_store_b32 v0, v21
	ds_store_b32 v1, v24
	;; [unrolled: 1-line block ×4, first 2 shown]
	s_wait_dscnt 0x0
	s_barrier_signal -1
	s_barrier_wait -1
	ds_load_2addr_b32 v[2:3], v20 offset1:32
	ds_load_2addr_b32 v[4:5], v20 offset0:64 offset1:96
	s_add_co_i32 s13, s23, -8
	s_mov_b32 s14, 0
	s_wait_dscnt 0x0
	s_barrier_signal -1
	s_barrier_wait -1
	s_branch .LBB885_5
.LBB885_22:
	s_barrier_signal -1
	s_barrier_wait -1
	ds_store_b32 v0, v21
	ds_store_b32 v1, v24
	;; [unrolled: 1-line block ×4, first 2 shown]
	s_wait_dscnt 0x0
	s_barrier_signal -1
	s_barrier_wait -1
	ds_load_2addr_stride64_b32 v[6:7], v16 offset1:4
	ds_load_2addr_stride64_b32 v[0:1], v16 offset0:8 offset1:12
	v_mov_b32_e32 v9, 0
	s_add_nc_u64 s[0:1], s[18:19], s[20:21]
	s_and_not1_b32 vcc_lo, exec_lo, s25
	s_delay_alu instid0(VALU_DEP_1)
	v_add_nc_u64_e32 v[2:3], s[0:1], v[8:9]
	s_wait_dscnt 0x1
	v_xor_b32_e32 v5, 0x80000000, v6
	v_xor_b32_e32 v4, 0x80000000, v7
	s_wait_dscnt 0x0
	v_xor_b32_e32 v0, 0x80000000, v0
	s_cbranch_vccnz .LBB885_32
; %bb.23:
	s_mov_b32 s0, -1
	s_clause 0x2
	global_store_b32 v[2:3], v5, off
	global_store_b32 v[2:3], v4, off offset:1024
	global_store_b32 v[2:3], v0, off offset:2048
	s_cbranch_execz .LBB885_33
	s_branch .LBB885_40
.LBB885_24:
	s_clause 0x2
	global_load_b32 v2, v[10:11], off
	global_load_b32 v3, v[10:11], off offset:128
	global_load_b32 v4, v[10:11], off offset:256
	s_mov_b32 s3, -1
	s_load_b64 s[22:23], s[0:1], 0x28
	s_sub_co_i32 s24, s4, s2
	s_cbranch_execnz .LBB885_2
.LBB885_25:
	s_wait_loadcnt 0x2
	v_bfrev_b32_e32 v2, -2
	v_or_b32_e32 v7, v1, v9
	s_mov_b32 s2, exec_lo
	s_wait_loadcnt 0x0
	s_delay_alu instid0(VALU_DEP_2)
	v_dual_mov_b32 v3, v2 :: v_dual_mov_b32 v4, v2
	v_mov_b32_e32 v5, v2
	v_cmpx_gt_u32_e64 s24, v7
	s_cbranch_execz .LBB885_27
; %bb.26:
	global_load_b32 v16, v[10:11], off
	v_dual_mov_b32 v17, v2 :: v_dual_mov_b32 v18, v2
	v_mov_b32_e32 v19, v2
	s_wait_loadcnt 0x0
	s_delay_alu instid0(VALU_DEP_2) | instskip(NEXT) | instid1(VALU_DEP_2)
	v_mov_b64_e32 v[2:3], v[16:17]
	v_mov_b64_e32 v[4:5], v[18:19]
.LBB885_27:
	s_or_b32 exec_lo, exec_lo, s2
	v_or_b32_e32 v9, 32, v7
	s_mov_b32 s2, exec_lo
	s_delay_alu instid0(VALU_DEP_1)
	v_cmpx_gt_u32_e64 s24, v9
	s_cbranch_execz .LBB885_29
; %bb.28:
	global_load_b32 v3, v[10:11], off offset:128
.LBB885_29:
	s_wait_xcnt 0x0
	s_or_b32 exec_lo, exec_lo, s2
	v_or_b32_e32 v9, 64, v7
	s_mov_b32 s2, exec_lo
	s_delay_alu instid0(VALU_DEP_1)
	v_cmpx_gt_u32_e64 s24, v9
	s_cbranch_execz .LBB885_31
; %bb.30:
	global_load_b32 v4, v[10:11], off offset:256
.LBB885_31:
	s_wait_xcnt 0x0
	s_or_b32 exec_lo, exec_lo, s2
	v_or_b32_e32 v7, 0x60, v7
	s_delay_alu instid0(VALU_DEP_1)
	v_cmp_gt_u32_e64 s3, s24, v7
	s_and_saveexec_b32 s2, s3
	s_cbranch_execnz .LBB885_3
	s_branch .LBB885_4
.LBB885_32:
	s_mov_b32 s0, 0
.LBB885_33:
	s_mov_b32 s0, exec_lo
	s_wait_xcnt 0x0
	v_cmpx_gt_u32_e64 s24, v14
	s_cbranch_execz .LBB885_35
; %bb.34:
	global_store_b32 v[2:3], v5, off
.LBB885_35:
	s_wait_xcnt 0x0
	s_or_b32 exec_lo, exec_lo, s0
	v_add_nc_u32_e32 v5, 0x100, v14
	s_mov_b32 s0, exec_lo
	s_delay_alu instid0(VALU_DEP_1)
	v_cmpx_gt_u32_e64 s24, v5
	s_cbranch_execz .LBB885_37
; %bb.36:
	global_store_b32 v[2:3], v4, off offset:1024
.LBB885_37:
	s_wait_xcnt 0x0
	s_or_b32 exec_lo, exec_lo, s0
	v_add_nc_u32_e32 v4, 0x200, v14
	s_mov_b32 s0, exec_lo
	s_delay_alu instid0(VALU_DEP_1)
	v_cmpx_gt_u32_e64 s24, v4
	s_cbranch_execz .LBB885_39
; %bb.38:
	global_store_b32 v[2:3], v0, off offset:2048
.LBB885_39:
	s_wait_xcnt 0x0
	s_or_b32 exec_lo, exec_lo, s0
	v_add_nc_u32_e32 v0, 0x300, v14
	s_delay_alu instid0(VALU_DEP_1)
	v_cmp_gt_u32_e64 s0, s24, v0
.LBB885_40:
	s_wait_xcnt 0x0
	s_delay_alu instid0(VALU_DEP_1)
	s_and_saveexec_b32 s1, s0
	s_cbranch_execnz .LBB885_42
; %bb.41:
	s_endpgm
.LBB885_42:
	v_xor_b32_e32 v0, 0x80000000, v1
	global_store_b32 v[2:3], v0, off offset:3072
	s_endpgm
	.section	.rodata,"a",@progbits
	.p2align	6, 0x0
	.amdhsa_kernel _ZN7rocprim17ROCPRIM_400000_NS6detail17trampoline_kernelINS0_13kernel_configILj256ELj4ELj4294967295EEENS1_37radix_sort_block_sort_config_selectorIiNS0_10empty_typeEEEZNS1_21radix_sort_block_sortIS4_Lb0EPKiPiPS6_SC_NS0_19identity_decomposerEEE10hipError_tT1_T2_T3_T4_jRjT5_jjP12ihipStream_tbEUlT_E_NS1_11comp_targetILNS1_3genE0ELNS1_11target_archE4294967295ELNS1_3gpuE0ELNS1_3repE0EEENS1_44radix_sort_block_sort_config_static_selectorELNS0_4arch9wavefront6targetE0EEEvSF_
		.amdhsa_group_segment_fixed_size 8224
		.amdhsa_private_segment_fixed_size 0
		.amdhsa_kernarg_size 304
		.amdhsa_user_sgpr_count 2
		.amdhsa_user_sgpr_dispatch_ptr 0
		.amdhsa_user_sgpr_queue_ptr 0
		.amdhsa_user_sgpr_kernarg_segment_ptr 1
		.amdhsa_user_sgpr_dispatch_id 0
		.amdhsa_user_sgpr_kernarg_preload_length 0
		.amdhsa_user_sgpr_kernarg_preload_offset 0
		.amdhsa_user_sgpr_private_segment_size 0
		.amdhsa_wavefront_size32 1
		.amdhsa_uses_dynamic_stack 0
		.amdhsa_enable_private_segment 0
		.amdhsa_system_sgpr_workgroup_id_x 1
		.amdhsa_system_sgpr_workgroup_id_y 0
		.amdhsa_system_sgpr_workgroup_id_z 0
		.amdhsa_system_sgpr_workgroup_info 0
		.amdhsa_system_vgpr_workitem_id 2
		.amdhsa_next_free_vgpr 38
		.amdhsa_next_free_sgpr 29
		.amdhsa_named_barrier_count 0
		.amdhsa_reserve_vcc 1
		.amdhsa_float_round_mode_32 0
		.amdhsa_float_round_mode_16_64 0
		.amdhsa_float_denorm_mode_32 3
		.amdhsa_float_denorm_mode_16_64 3
		.amdhsa_fp16_overflow 0
		.amdhsa_memory_ordered 1
		.amdhsa_forward_progress 1
		.amdhsa_inst_pref_size 28
		.amdhsa_round_robin_scheduling 0
		.amdhsa_exception_fp_ieee_invalid_op 0
		.amdhsa_exception_fp_denorm_src 0
		.amdhsa_exception_fp_ieee_div_zero 0
		.amdhsa_exception_fp_ieee_overflow 0
		.amdhsa_exception_fp_ieee_underflow 0
		.amdhsa_exception_fp_ieee_inexact 0
		.amdhsa_exception_int_div_zero 0
	.end_amdhsa_kernel
	.section	.text._ZN7rocprim17ROCPRIM_400000_NS6detail17trampoline_kernelINS0_13kernel_configILj256ELj4ELj4294967295EEENS1_37radix_sort_block_sort_config_selectorIiNS0_10empty_typeEEEZNS1_21radix_sort_block_sortIS4_Lb0EPKiPiPS6_SC_NS0_19identity_decomposerEEE10hipError_tT1_T2_T3_T4_jRjT5_jjP12ihipStream_tbEUlT_E_NS1_11comp_targetILNS1_3genE0ELNS1_11target_archE4294967295ELNS1_3gpuE0ELNS1_3repE0EEENS1_44radix_sort_block_sort_config_static_selectorELNS0_4arch9wavefront6targetE0EEEvSF_,"axG",@progbits,_ZN7rocprim17ROCPRIM_400000_NS6detail17trampoline_kernelINS0_13kernel_configILj256ELj4ELj4294967295EEENS1_37radix_sort_block_sort_config_selectorIiNS0_10empty_typeEEEZNS1_21radix_sort_block_sortIS4_Lb0EPKiPiPS6_SC_NS0_19identity_decomposerEEE10hipError_tT1_T2_T3_T4_jRjT5_jjP12ihipStream_tbEUlT_E_NS1_11comp_targetILNS1_3genE0ELNS1_11target_archE4294967295ELNS1_3gpuE0ELNS1_3repE0EEENS1_44radix_sort_block_sort_config_static_selectorELNS0_4arch9wavefront6targetE0EEEvSF_,comdat
.Lfunc_end885:
	.size	_ZN7rocprim17ROCPRIM_400000_NS6detail17trampoline_kernelINS0_13kernel_configILj256ELj4ELj4294967295EEENS1_37radix_sort_block_sort_config_selectorIiNS0_10empty_typeEEEZNS1_21radix_sort_block_sortIS4_Lb0EPKiPiPS6_SC_NS0_19identity_decomposerEEE10hipError_tT1_T2_T3_T4_jRjT5_jjP12ihipStream_tbEUlT_E_NS1_11comp_targetILNS1_3genE0ELNS1_11target_archE4294967295ELNS1_3gpuE0ELNS1_3repE0EEENS1_44radix_sort_block_sort_config_static_selectorELNS0_4arch9wavefront6targetE0EEEvSF_, .Lfunc_end885-_ZN7rocprim17ROCPRIM_400000_NS6detail17trampoline_kernelINS0_13kernel_configILj256ELj4ELj4294967295EEENS1_37radix_sort_block_sort_config_selectorIiNS0_10empty_typeEEEZNS1_21radix_sort_block_sortIS4_Lb0EPKiPiPS6_SC_NS0_19identity_decomposerEEE10hipError_tT1_T2_T3_T4_jRjT5_jjP12ihipStream_tbEUlT_E_NS1_11comp_targetILNS1_3genE0ELNS1_11target_archE4294967295ELNS1_3gpuE0ELNS1_3repE0EEENS1_44radix_sort_block_sort_config_static_selectorELNS0_4arch9wavefront6targetE0EEEvSF_
                                        ; -- End function
	.set _ZN7rocprim17ROCPRIM_400000_NS6detail17trampoline_kernelINS0_13kernel_configILj256ELj4ELj4294967295EEENS1_37radix_sort_block_sort_config_selectorIiNS0_10empty_typeEEEZNS1_21radix_sort_block_sortIS4_Lb0EPKiPiPS6_SC_NS0_19identity_decomposerEEE10hipError_tT1_T2_T3_T4_jRjT5_jjP12ihipStream_tbEUlT_E_NS1_11comp_targetILNS1_3genE0ELNS1_11target_archE4294967295ELNS1_3gpuE0ELNS1_3repE0EEENS1_44radix_sort_block_sort_config_static_selectorELNS0_4arch9wavefront6targetE0EEEvSF_.num_vgpr, 38
	.set _ZN7rocprim17ROCPRIM_400000_NS6detail17trampoline_kernelINS0_13kernel_configILj256ELj4ELj4294967295EEENS1_37radix_sort_block_sort_config_selectorIiNS0_10empty_typeEEEZNS1_21radix_sort_block_sortIS4_Lb0EPKiPiPS6_SC_NS0_19identity_decomposerEEE10hipError_tT1_T2_T3_T4_jRjT5_jjP12ihipStream_tbEUlT_E_NS1_11comp_targetILNS1_3genE0ELNS1_11target_archE4294967295ELNS1_3gpuE0ELNS1_3repE0EEENS1_44radix_sort_block_sort_config_static_selectorELNS0_4arch9wavefront6targetE0EEEvSF_.num_agpr, 0
	.set _ZN7rocprim17ROCPRIM_400000_NS6detail17trampoline_kernelINS0_13kernel_configILj256ELj4ELj4294967295EEENS1_37radix_sort_block_sort_config_selectorIiNS0_10empty_typeEEEZNS1_21radix_sort_block_sortIS4_Lb0EPKiPiPS6_SC_NS0_19identity_decomposerEEE10hipError_tT1_T2_T3_T4_jRjT5_jjP12ihipStream_tbEUlT_E_NS1_11comp_targetILNS1_3genE0ELNS1_11target_archE4294967295ELNS1_3gpuE0ELNS1_3repE0EEENS1_44radix_sort_block_sort_config_static_selectorELNS0_4arch9wavefront6targetE0EEEvSF_.numbered_sgpr, 29
	.set _ZN7rocprim17ROCPRIM_400000_NS6detail17trampoline_kernelINS0_13kernel_configILj256ELj4ELj4294967295EEENS1_37radix_sort_block_sort_config_selectorIiNS0_10empty_typeEEEZNS1_21radix_sort_block_sortIS4_Lb0EPKiPiPS6_SC_NS0_19identity_decomposerEEE10hipError_tT1_T2_T3_T4_jRjT5_jjP12ihipStream_tbEUlT_E_NS1_11comp_targetILNS1_3genE0ELNS1_11target_archE4294967295ELNS1_3gpuE0ELNS1_3repE0EEENS1_44radix_sort_block_sort_config_static_selectorELNS0_4arch9wavefront6targetE0EEEvSF_.num_named_barrier, 0
	.set _ZN7rocprim17ROCPRIM_400000_NS6detail17trampoline_kernelINS0_13kernel_configILj256ELj4ELj4294967295EEENS1_37radix_sort_block_sort_config_selectorIiNS0_10empty_typeEEEZNS1_21radix_sort_block_sortIS4_Lb0EPKiPiPS6_SC_NS0_19identity_decomposerEEE10hipError_tT1_T2_T3_T4_jRjT5_jjP12ihipStream_tbEUlT_E_NS1_11comp_targetILNS1_3genE0ELNS1_11target_archE4294967295ELNS1_3gpuE0ELNS1_3repE0EEENS1_44radix_sort_block_sort_config_static_selectorELNS0_4arch9wavefront6targetE0EEEvSF_.private_seg_size, 0
	.set _ZN7rocprim17ROCPRIM_400000_NS6detail17trampoline_kernelINS0_13kernel_configILj256ELj4ELj4294967295EEENS1_37radix_sort_block_sort_config_selectorIiNS0_10empty_typeEEEZNS1_21radix_sort_block_sortIS4_Lb0EPKiPiPS6_SC_NS0_19identity_decomposerEEE10hipError_tT1_T2_T3_T4_jRjT5_jjP12ihipStream_tbEUlT_E_NS1_11comp_targetILNS1_3genE0ELNS1_11target_archE4294967295ELNS1_3gpuE0ELNS1_3repE0EEENS1_44radix_sort_block_sort_config_static_selectorELNS0_4arch9wavefront6targetE0EEEvSF_.uses_vcc, 1
	.set _ZN7rocprim17ROCPRIM_400000_NS6detail17trampoline_kernelINS0_13kernel_configILj256ELj4ELj4294967295EEENS1_37radix_sort_block_sort_config_selectorIiNS0_10empty_typeEEEZNS1_21radix_sort_block_sortIS4_Lb0EPKiPiPS6_SC_NS0_19identity_decomposerEEE10hipError_tT1_T2_T3_T4_jRjT5_jjP12ihipStream_tbEUlT_E_NS1_11comp_targetILNS1_3genE0ELNS1_11target_archE4294967295ELNS1_3gpuE0ELNS1_3repE0EEENS1_44radix_sort_block_sort_config_static_selectorELNS0_4arch9wavefront6targetE0EEEvSF_.uses_flat_scratch, 0
	.set _ZN7rocprim17ROCPRIM_400000_NS6detail17trampoline_kernelINS0_13kernel_configILj256ELj4ELj4294967295EEENS1_37radix_sort_block_sort_config_selectorIiNS0_10empty_typeEEEZNS1_21radix_sort_block_sortIS4_Lb0EPKiPiPS6_SC_NS0_19identity_decomposerEEE10hipError_tT1_T2_T3_T4_jRjT5_jjP12ihipStream_tbEUlT_E_NS1_11comp_targetILNS1_3genE0ELNS1_11target_archE4294967295ELNS1_3gpuE0ELNS1_3repE0EEENS1_44radix_sort_block_sort_config_static_selectorELNS0_4arch9wavefront6targetE0EEEvSF_.has_dyn_sized_stack, 0
	.set _ZN7rocprim17ROCPRIM_400000_NS6detail17trampoline_kernelINS0_13kernel_configILj256ELj4ELj4294967295EEENS1_37radix_sort_block_sort_config_selectorIiNS0_10empty_typeEEEZNS1_21radix_sort_block_sortIS4_Lb0EPKiPiPS6_SC_NS0_19identity_decomposerEEE10hipError_tT1_T2_T3_T4_jRjT5_jjP12ihipStream_tbEUlT_E_NS1_11comp_targetILNS1_3genE0ELNS1_11target_archE4294967295ELNS1_3gpuE0ELNS1_3repE0EEENS1_44radix_sort_block_sort_config_static_selectorELNS0_4arch9wavefront6targetE0EEEvSF_.has_recursion, 0
	.set _ZN7rocprim17ROCPRIM_400000_NS6detail17trampoline_kernelINS0_13kernel_configILj256ELj4ELj4294967295EEENS1_37radix_sort_block_sort_config_selectorIiNS0_10empty_typeEEEZNS1_21radix_sort_block_sortIS4_Lb0EPKiPiPS6_SC_NS0_19identity_decomposerEEE10hipError_tT1_T2_T3_T4_jRjT5_jjP12ihipStream_tbEUlT_E_NS1_11comp_targetILNS1_3genE0ELNS1_11target_archE4294967295ELNS1_3gpuE0ELNS1_3repE0EEENS1_44radix_sort_block_sort_config_static_selectorELNS0_4arch9wavefront6targetE0EEEvSF_.has_indirect_call, 0
	.section	.AMDGPU.csdata,"",@progbits
; Kernel info:
; codeLenInByte = 3488
; TotalNumSgprs: 31
; NumVgprs: 38
; ScratchSize: 0
; MemoryBound: 0
; FloatMode: 240
; IeeeMode: 1
; LDSByteSize: 8224 bytes/workgroup (compile time only)
; SGPRBlocks: 0
; VGPRBlocks: 2
; NumSGPRsForWavesPerEU: 31
; NumVGPRsForWavesPerEU: 38
; NamedBarCnt: 0
; Occupancy: 16
; WaveLimiterHint : 1
; COMPUTE_PGM_RSRC2:SCRATCH_EN: 0
; COMPUTE_PGM_RSRC2:USER_SGPR: 2
; COMPUTE_PGM_RSRC2:TRAP_HANDLER: 0
; COMPUTE_PGM_RSRC2:TGID_X_EN: 1
; COMPUTE_PGM_RSRC2:TGID_Y_EN: 0
; COMPUTE_PGM_RSRC2:TGID_Z_EN: 0
; COMPUTE_PGM_RSRC2:TIDIG_COMP_CNT: 2
	.section	.text._ZN7rocprim17ROCPRIM_400000_NS6detail17trampoline_kernelINS0_13kernel_configILj256ELj4ELj4294967295EEENS1_37radix_sort_block_sort_config_selectorIiNS0_10empty_typeEEEZNS1_21radix_sort_block_sortIS4_Lb0EPKiPiPS6_SC_NS0_19identity_decomposerEEE10hipError_tT1_T2_T3_T4_jRjT5_jjP12ihipStream_tbEUlT_E_NS1_11comp_targetILNS1_3genE5ELNS1_11target_archE942ELNS1_3gpuE9ELNS1_3repE0EEENS1_44radix_sort_block_sort_config_static_selectorELNS0_4arch9wavefront6targetE0EEEvSF_,"axG",@progbits,_ZN7rocprim17ROCPRIM_400000_NS6detail17trampoline_kernelINS0_13kernel_configILj256ELj4ELj4294967295EEENS1_37radix_sort_block_sort_config_selectorIiNS0_10empty_typeEEEZNS1_21radix_sort_block_sortIS4_Lb0EPKiPiPS6_SC_NS0_19identity_decomposerEEE10hipError_tT1_T2_T3_T4_jRjT5_jjP12ihipStream_tbEUlT_E_NS1_11comp_targetILNS1_3genE5ELNS1_11target_archE942ELNS1_3gpuE9ELNS1_3repE0EEENS1_44radix_sort_block_sort_config_static_selectorELNS0_4arch9wavefront6targetE0EEEvSF_,comdat
	.protected	_ZN7rocprim17ROCPRIM_400000_NS6detail17trampoline_kernelINS0_13kernel_configILj256ELj4ELj4294967295EEENS1_37radix_sort_block_sort_config_selectorIiNS0_10empty_typeEEEZNS1_21radix_sort_block_sortIS4_Lb0EPKiPiPS6_SC_NS0_19identity_decomposerEEE10hipError_tT1_T2_T3_T4_jRjT5_jjP12ihipStream_tbEUlT_E_NS1_11comp_targetILNS1_3genE5ELNS1_11target_archE942ELNS1_3gpuE9ELNS1_3repE0EEENS1_44radix_sort_block_sort_config_static_selectorELNS0_4arch9wavefront6targetE0EEEvSF_ ; -- Begin function _ZN7rocprim17ROCPRIM_400000_NS6detail17trampoline_kernelINS0_13kernel_configILj256ELj4ELj4294967295EEENS1_37radix_sort_block_sort_config_selectorIiNS0_10empty_typeEEEZNS1_21radix_sort_block_sortIS4_Lb0EPKiPiPS6_SC_NS0_19identity_decomposerEEE10hipError_tT1_T2_T3_T4_jRjT5_jjP12ihipStream_tbEUlT_E_NS1_11comp_targetILNS1_3genE5ELNS1_11target_archE942ELNS1_3gpuE9ELNS1_3repE0EEENS1_44radix_sort_block_sort_config_static_selectorELNS0_4arch9wavefront6targetE0EEEvSF_
	.globl	_ZN7rocprim17ROCPRIM_400000_NS6detail17trampoline_kernelINS0_13kernel_configILj256ELj4ELj4294967295EEENS1_37radix_sort_block_sort_config_selectorIiNS0_10empty_typeEEEZNS1_21radix_sort_block_sortIS4_Lb0EPKiPiPS6_SC_NS0_19identity_decomposerEEE10hipError_tT1_T2_T3_T4_jRjT5_jjP12ihipStream_tbEUlT_E_NS1_11comp_targetILNS1_3genE5ELNS1_11target_archE942ELNS1_3gpuE9ELNS1_3repE0EEENS1_44radix_sort_block_sort_config_static_selectorELNS0_4arch9wavefront6targetE0EEEvSF_
	.p2align	8
	.type	_ZN7rocprim17ROCPRIM_400000_NS6detail17trampoline_kernelINS0_13kernel_configILj256ELj4ELj4294967295EEENS1_37radix_sort_block_sort_config_selectorIiNS0_10empty_typeEEEZNS1_21radix_sort_block_sortIS4_Lb0EPKiPiPS6_SC_NS0_19identity_decomposerEEE10hipError_tT1_T2_T3_T4_jRjT5_jjP12ihipStream_tbEUlT_E_NS1_11comp_targetILNS1_3genE5ELNS1_11target_archE942ELNS1_3gpuE9ELNS1_3repE0EEENS1_44radix_sort_block_sort_config_static_selectorELNS0_4arch9wavefront6targetE0EEEvSF_,@function
_ZN7rocprim17ROCPRIM_400000_NS6detail17trampoline_kernelINS0_13kernel_configILj256ELj4ELj4294967295EEENS1_37radix_sort_block_sort_config_selectorIiNS0_10empty_typeEEEZNS1_21radix_sort_block_sortIS4_Lb0EPKiPiPS6_SC_NS0_19identity_decomposerEEE10hipError_tT1_T2_T3_T4_jRjT5_jjP12ihipStream_tbEUlT_E_NS1_11comp_targetILNS1_3genE5ELNS1_11target_archE942ELNS1_3gpuE9ELNS1_3repE0EEENS1_44radix_sort_block_sort_config_static_selectorELNS0_4arch9wavefront6targetE0EEEvSF_: ; @_ZN7rocprim17ROCPRIM_400000_NS6detail17trampoline_kernelINS0_13kernel_configILj256ELj4ELj4294967295EEENS1_37radix_sort_block_sort_config_selectorIiNS0_10empty_typeEEEZNS1_21radix_sort_block_sortIS4_Lb0EPKiPiPS6_SC_NS0_19identity_decomposerEEE10hipError_tT1_T2_T3_T4_jRjT5_jjP12ihipStream_tbEUlT_E_NS1_11comp_targetILNS1_3genE5ELNS1_11target_archE942ELNS1_3gpuE9ELNS1_3repE0EEENS1_44radix_sort_block_sort_config_static_selectorELNS0_4arch9wavefront6targetE0EEEvSF_
; %bb.0:
	.section	.rodata,"a",@progbits
	.p2align	6, 0x0
	.amdhsa_kernel _ZN7rocprim17ROCPRIM_400000_NS6detail17trampoline_kernelINS0_13kernel_configILj256ELj4ELj4294967295EEENS1_37radix_sort_block_sort_config_selectorIiNS0_10empty_typeEEEZNS1_21radix_sort_block_sortIS4_Lb0EPKiPiPS6_SC_NS0_19identity_decomposerEEE10hipError_tT1_T2_T3_T4_jRjT5_jjP12ihipStream_tbEUlT_E_NS1_11comp_targetILNS1_3genE5ELNS1_11target_archE942ELNS1_3gpuE9ELNS1_3repE0EEENS1_44radix_sort_block_sort_config_static_selectorELNS0_4arch9wavefront6targetE0EEEvSF_
		.amdhsa_group_segment_fixed_size 0
		.amdhsa_private_segment_fixed_size 0
		.amdhsa_kernarg_size 48
		.amdhsa_user_sgpr_count 2
		.amdhsa_user_sgpr_dispatch_ptr 0
		.amdhsa_user_sgpr_queue_ptr 0
		.amdhsa_user_sgpr_kernarg_segment_ptr 1
		.amdhsa_user_sgpr_dispatch_id 0
		.amdhsa_user_sgpr_kernarg_preload_length 0
		.amdhsa_user_sgpr_kernarg_preload_offset 0
		.amdhsa_user_sgpr_private_segment_size 0
		.amdhsa_wavefront_size32 1
		.amdhsa_uses_dynamic_stack 0
		.amdhsa_enable_private_segment 0
		.amdhsa_system_sgpr_workgroup_id_x 1
		.amdhsa_system_sgpr_workgroup_id_y 0
		.amdhsa_system_sgpr_workgroup_id_z 0
		.amdhsa_system_sgpr_workgroup_info 0
		.amdhsa_system_vgpr_workitem_id 0
		.amdhsa_next_free_vgpr 1
		.amdhsa_next_free_sgpr 1
		.amdhsa_named_barrier_count 0
		.amdhsa_reserve_vcc 0
		.amdhsa_float_round_mode_32 0
		.amdhsa_float_round_mode_16_64 0
		.amdhsa_float_denorm_mode_32 3
		.amdhsa_float_denorm_mode_16_64 3
		.amdhsa_fp16_overflow 0
		.amdhsa_memory_ordered 1
		.amdhsa_forward_progress 1
		.amdhsa_inst_pref_size 0
		.amdhsa_round_robin_scheduling 0
		.amdhsa_exception_fp_ieee_invalid_op 0
		.amdhsa_exception_fp_denorm_src 0
		.amdhsa_exception_fp_ieee_div_zero 0
		.amdhsa_exception_fp_ieee_overflow 0
		.amdhsa_exception_fp_ieee_underflow 0
		.amdhsa_exception_fp_ieee_inexact 0
		.amdhsa_exception_int_div_zero 0
	.end_amdhsa_kernel
	.section	.text._ZN7rocprim17ROCPRIM_400000_NS6detail17trampoline_kernelINS0_13kernel_configILj256ELj4ELj4294967295EEENS1_37radix_sort_block_sort_config_selectorIiNS0_10empty_typeEEEZNS1_21radix_sort_block_sortIS4_Lb0EPKiPiPS6_SC_NS0_19identity_decomposerEEE10hipError_tT1_T2_T3_T4_jRjT5_jjP12ihipStream_tbEUlT_E_NS1_11comp_targetILNS1_3genE5ELNS1_11target_archE942ELNS1_3gpuE9ELNS1_3repE0EEENS1_44radix_sort_block_sort_config_static_selectorELNS0_4arch9wavefront6targetE0EEEvSF_,"axG",@progbits,_ZN7rocprim17ROCPRIM_400000_NS6detail17trampoline_kernelINS0_13kernel_configILj256ELj4ELj4294967295EEENS1_37radix_sort_block_sort_config_selectorIiNS0_10empty_typeEEEZNS1_21radix_sort_block_sortIS4_Lb0EPKiPiPS6_SC_NS0_19identity_decomposerEEE10hipError_tT1_T2_T3_T4_jRjT5_jjP12ihipStream_tbEUlT_E_NS1_11comp_targetILNS1_3genE5ELNS1_11target_archE942ELNS1_3gpuE9ELNS1_3repE0EEENS1_44radix_sort_block_sort_config_static_selectorELNS0_4arch9wavefront6targetE0EEEvSF_,comdat
.Lfunc_end886:
	.size	_ZN7rocprim17ROCPRIM_400000_NS6detail17trampoline_kernelINS0_13kernel_configILj256ELj4ELj4294967295EEENS1_37radix_sort_block_sort_config_selectorIiNS0_10empty_typeEEEZNS1_21radix_sort_block_sortIS4_Lb0EPKiPiPS6_SC_NS0_19identity_decomposerEEE10hipError_tT1_T2_T3_T4_jRjT5_jjP12ihipStream_tbEUlT_E_NS1_11comp_targetILNS1_3genE5ELNS1_11target_archE942ELNS1_3gpuE9ELNS1_3repE0EEENS1_44radix_sort_block_sort_config_static_selectorELNS0_4arch9wavefront6targetE0EEEvSF_, .Lfunc_end886-_ZN7rocprim17ROCPRIM_400000_NS6detail17trampoline_kernelINS0_13kernel_configILj256ELj4ELj4294967295EEENS1_37radix_sort_block_sort_config_selectorIiNS0_10empty_typeEEEZNS1_21radix_sort_block_sortIS4_Lb0EPKiPiPS6_SC_NS0_19identity_decomposerEEE10hipError_tT1_T2_T3_T4_jRjT5_jjP12ihipStream_tbEUlT_E_NS1_11comp_targetILNS1_3genE5ELNS1_11target_archE942ELNS1_3gpuE9ELNS1_3repE0EEENS1_44radix_sort_block_sort_config_static_selectorELNS0_4arch9wavefront6targetE0EEEvSF_
                                        ; -- End function
	.set _ZN7rocprim17ROCPRIM_400000_NS6detail17trampoline_kernelINS0_13kernel_configILj256ELj4ELj4294967295EEENS1_37radix_sort_block_sort_config_selectorIiNS0_10empty_typeEEEZNS1_21radix_sort_block_sortIS4_Lb0EPKiPiPS6_SC_NS0_19identity_decomposerEEE10hipError_tT1_T2_T3_T4_jRjT5_jjP12ihipStream_tbEUlT_E_NS1_11comp_targetILNS1_3genE5ELNS1_11target_archE942ELNS1_3gpuE9ELNS1_3repE0EEENS1_44radix_sort_block_sort_config_static_selectorELNS0_4arch9wavefront6targetE0EEEvSF_.num_vgpr, 0
	.set _ZN7rocprim17ROCPRIM_400000_NS6detail17trampoline_kernelINS0_13kernel_configILj256ELj4ELj4294967295EEENS1_37radix_sort_block_sort_config_selectorIiNS0_10empty_typeEEEZNS1_21radix_sort_block_sortIS4_Lb0EPKiPiPS6_SC_NS0_19identity_decomposerEEE10hipError_tT1_T2_T3_T4_jRjT5_jjP12ihipStream_tbEUlT_E_NS1_11comp_targetILNS1_3genE5ELNS1_11target_archE942ELNS1_3gpuE9ELNS1_3repE0EEENS1_44radix_sort_block_sort_config_static_selectorELNS0_4arch9wavefront6targetE0EEEvSF_.num_agpr, 0
	.set _ZN7rocprim17ROCPRIM_400000_NS6detail17trampoline_kernelINS0_13kernel_configILj256ELj4ELj4294967295EEENS1_37radix_sort_block_sort_config_selectorIiNS0_10empty_typeEEEZNS1_21radix_sort_block_sortIS4_Lb0EPKiPiPS6_SC_NS0_19identity_decomposerEEE10hipError_tT1_T2_T3_T4_jRjT5_jjP12ihipStream_tbEUlT_E_NS1_11comp_targetILNS1_3genE5ELNS1_11target_archE942ELNS1_3gpuE9ELNS1_3repE0EEENS1_44radix_sort_block_sort_config_static_selectorELNS0_4arch9wavefront6targetE0EEEvSF_.numbered_sgpr, 0
	.set _ZN7rocprim17ROCPRIM_400000_NS6detail17trampoline_kernelINS0_13kernel_configILj256ELj4ELj4294967295EEENS1_37radix_sort_block_sort_config_selectorIiNS0_10empty_typeEEEZNS1_21radix_sort_block_sortIS4_Lb0EPKiPiPS6_SC_NS0_19identity_decomposerEEE10hipError_tT1_T2_T3_T4_jRjT5_jjP12ihipStream_tbEUlT_E_NS1_11comp_targetILNS1_3genE5ELNS1_11target_archE942ELNS1_3gpuE9ELNS1_3repE0EEENS1_44radix_sort_block_sort_config_static_selectorELNS0_4arch9wavefront6targetE0EEEvSF_.num_named_barrier, 0
	.set _ZN7rocprim17ROCPRIM_400000_NS6detail17trampoline_kernelINS0_13kernel_configILj256ELj4ELj4294967295EEENS1_37radix_sort_block_sort_config_selectorIiNS0_10empty_typeEEEZNS1_21radix_sort_block_sortIS4_Lb0EPKiPiPS6_SC_NS0_19identity_decomposerEEE10hipError_tT1_T2_T3_T4_jRjT5_jjP12ihipStream_tbEUlT_E_NS1_11comp_targetILNS1_3genE5ELNS1_11target_archE942ELNS1_3gpuE9ELNS1_3repE0EEENS1_44radix_sort_block_sort_config_static_selectorELNS0_4arch9wavefront6targetE0EEEvSF_.private_seg_size, 0
	.set _ZN7rocprim17ROCPRIM_400000_NS6detail17trampoline_kernelINS0_13kernel_configILj256ELj4ELj4294967295EEENS1_37radix_sort_block_sort_config_selectorIiNS0_10empty_typeEEEZNS1_21radix_sort_block_sortIS4_Lb0EPKiPiPS6_SC_NS0_19identity_decomposerEEE10hipError_tT1_T2_T3_T4_jRjT5_jjP12ihipStream_tbEUlT_E_NS1_11comp_targetILNS1_3genE5ELNS1_11target_archE942ELNS1_3gpuE9ELNS1_3repE0EEENS1_44radix_sort_block_sort_config_static_selectorELNS0_4arch9wavefront6targetE0EEEvSF_.uses_vcc, 0
	.set _ZN7rocprim17ROCPRIM_400000_NS6detail17trampoline_kernelINS0_13kernel_configILj256ELj4ELj4294967295EEENS1_37radix_sort_block_sort_config_selectorIiNS0_10empty_typeEEEZNS1_21radix_sort_block_sortIS4_Lb0EPKiPiPS6_SC_NS0_19identity_decomposerEEE10hipError_tT1_T2_T3_T4_jRjT5_jjP12ihipStream_tbEUlT_E_NS1_11comp_targetILNS1_3genE5ELNS1_11target_archE942ELNS1_3gpuE9ELNS1_3repE0EEENS1_44radix_sort_block_sort_config_static_selectorELNS0_4arch9wavefront6targetE0EEEvSF_.uses_flat_scratch, 0
	.set _ZN7rocprim17ROCPRIM_400000_NS6detail17trampoline_kernelINS0_13kernel_configILj256ELj4ELj4294967295EEENS1_37radix_sort_block_sort_config_selectorIiNS0_10empty_typeEEEZNS1_21radix_sort_block_sortIS4_Lb0EPKiPiPS6_SC_NS0_19identity_decomposerEEE10hipError_tT1_T2_T3_T4_jRjT5_jjP12ihipStream_tbEUlT_E_NS1_11comp_targetILNS1_3genE5ELNS1_11target_archE942ELNS1_3gpuE9ELNS1_3repE0EEENS1_44radix_sort_block_sort_config_static_selectorELNS0_4arch9wavefront6targetE0EEEvSF_.has_dyn_sized_stack, 0
	.set _ZN7rocprim17ROCPRIM_400000_NS6detail17trampoline_kernelINS0_13kernel_configILj256ELj4ELj4294967295EEENS1_37radix_sort_block_sort_config_selectorIiNS0_10empty_typeEEEZNS1_21radix_sort_block_sortIS4_Lb0EPKiPiPS6_SC_NS0_19identity_decomposerEEE10hipError_tT1_T2_T3_T4_jRjT5_jjP12ihipStream_tbEUlT_E_NS1_11comp_targetILNS1_3genE5ELNS1_11target_archE942ELNS1_3gpuE9ELNS1_3repE0EEENS1_44radix_sort_block_sort_config_static_selectorELNS0_4arch9wavefront6targetE0EEEvSF_.has_recursion, 0
	.set _ZN7rocprim17ROCPRIM_400000_NS6detail17trampoline_kernelINS0_13kernel_configILj256ELj4ELj4294967295EEENS1_37radix_sort_block_sort_config_selectorIiNS0_10empty_typeEEEZNS1_21radix_sort_block_sortIS4_Lb0EPKiPiPS6_SC_NS0_19identity_decomposerEEE10hipError_tT1_T2_T3_T4_jRjT5_jjP12ihipStream_tbEUlT_E_NS1_11comp_targetILNS1_3genE5ELNS1_11target_archE942ELNS1_3gpuE9ELNS1_3repE0EEENS1_44radix_sort_block_sort_config_static_selectorELNS0_4arch9wavefront6targetE0EEEvSF_.has_indirect_call, 0
	.section	.AMDGPU.csdata,"",@progbits
; Kernel info:
; codeLenInByte = 0
; TotalNumSgprs: 0
; NumVgprs: 0
; ScratchSize: 0
; MemoryBound: 0
; FloatMode: 240
; IeeeMode: 1
; LDSByteSize: 0 bytes/workgroup (compile time only)
; SGPRBlocks: 0
; VGPRBlocks: 0
; NumSGPRsForWavesPerEU: 1
; NumVGPRsForWavesPerEU: 1
; NamedBarCnt: 0
; Occupancy: 16
; WaveLimiterHint : 0
; COMPUTE_PGM_RSRC2:SCRATCH_EN: 0
; COMPUTE_PGM_RSRC2:USER_SGPR: 2
; COMPUTE_PGM_RSRC2:TRAP_HANDLER: 0
; COMPUTE_PGM_RSRC2:TGID_X_EN: 1
; COMPUTE_PGM_RSRC2:TGID_Y_EN: 0
; COMPUTE_PGM_RSRC2:TGID_Z_EN: 0
; COMPUTE_PGM_RSRC2:TIDIG_COMP_CNT: 0
	.section	.text._ZN7rocprim17ROCPRIM_400000_NS6detail17trampoline_kernelINS0_13kernel_configILj256ELj4ELj4294967295EEENS1_37radix_sort_block_sort_config_selectorIiNS0_10empty_typeEEEZNS1_21radix_sort_block_sortIS4_Lb0EPKiPiPS6_SC_NS0_19identity_decomposerEEE10hipError_tT1_T2_T3_T4_jRjT5_jjP12ihipStream_tbEUlT_E_NS1_11comp_targetILNS1_3genE4ELNS1_11target_archE910ELNS1_3gpuE8ELNS1_3repE0EEENS1_44radix_sort_block_sort_config_static_selectorELNS0_4arch9wavefront6targetE0EEEvSF_,"axG",@progbits,_ZN7rocprim17ROCPRIM_400000_NS6detail17trampoline_kernelINS0_13kernel_configILj256ELj4ELj4294967295EEENS1_37radix_sort_block_sort_config_selectorIiNS0_10empty_typeEEEZNS1_21radix_sort_block_sortIS4_Lb0EPKiPiPS6_SC_NS0_19identity_decomposerEEE10hipError_tT1_T2_T3_T4_jRjT5_jjP12ihipStream_tbEUlT_E_NS1_11comp_targetILNS1_3genE4ELNS1_11target_archE910ELNS1_3gpuE8ELNS1_3repE0EEENS1_44radix_sort_block_sort_config_static_selectorELNS0_4arch9wavefront6targetE0EEEvSF_,comdat
	.protected	_ZN7rocprim17ROCPRIM_400000_NS6detail17trampoline_kernelINS0_13kernel_configILj256ELj4ELj4294967295EEENS1_37radix_sort_block_sort_config_selectorIiNS0_10empty_typeEEEZNS1_21radix_sort_block_sortIS4_Lb0EPKiPiPS6_SC_NS0_19identity_decomposerEEE10hipError_tT1_T2_T3_T4_jRjT5_jjP12ihipStream_tbEUlT_E_NS1_11comp_targetILNS1_3genE4ELNS1_11target_archE910ELNS1_3gpuE8ELNS1_3repE0EEENS1_44radix_sort_block_sort_config_static_selectorELNS0_4arch9wavefront6targetE0EEEvSF_ ; -- Begin function _ZN7rocprim17ROCPRIM_400000_NS6detail17trampoline_kernelINS0_13kernel_configILj256ELj4ELj4294967295EEENS1_37radix_sort_block_sort_config_selectorIiNS0_10empty_typeEEEZNS1_21radix_sort_block_sortIS4_Lb0EPKiPiPS6_SC_NS0_19identity_decomposerEEE10hipError_tT1_T2_T3_T4_jRjT5_jjP12ihipStream_tbEUlT_E_NS1_11comp_targetILNS1_3genE4ELNS1_11target_archE910ELNS1_3gpuE8ELNS1_3repE0EEENS1_44radix_sort_block_sort_config_static_selectorELNS0_4arch9wavefront6targetE0EEEvSF_
	.globl	_ZN7rocprim17ROCPRIM_400000_NS6detail17trampoline_kernelINS0_13kernel_configILj256ELj4ELj4294967295EEENS1_37radix_sort_block_sort_config_selectorIiNS0_10empty_typeEEEZNS1_21radix_sort_block_sortIS4_Lb0EPKiPiPS6_SC_NS0_19identity_decomposerEEE10hipError_tT1_T2_T3_T4_jRjT5_jjP12ihipStream_tbEUlT_E_NS1_11comp_targetILNS1_3genE4ELNS1_11target_archE910ELNS1_3gpuE8ELNS1_3repE0EEENS1_44radix_sort_block_sort_config_static_selectorELNS0_4arch9wavefront6targetE0EEEvSF_
	.p2align	8
	.type	_ZN7rocprim17ROCPRIM_400000_NS6detail17trampoline_kernelINS0_13kernel_configILj256ELj4ELj4294967295EEENS1_37radix_sort_block_sort_config_selectorIiNS0_10empty_typeEEEZNS1_21radix_sort_block_sortIS4_Lb0EPKiPiPS6_SC_NS0_19identity_decomposerEEE10hipError_tT1_T2_T3_T4_jRjT5_jjP12ihipStream_tbEUlT_E_NS1_11comp_targetILNS1_3genE4ELNS1_11target_archE910ELNS1_3gpuE8ELNS1_3repE0EEENS1_44radix_sort_block_sort_config_static_selectorELNS0_4arch9wavefront6targetE0EEEvSF_,@function
_ZN7rocprim17ROCPRIM_400000_NS6detail17trampoline_kernelINS0_13kernel_configILj256ELj4ELj4294967295EEENS1_37radix_sort_block_sort_config_selectorIiNS0_10empty_typeEEEZNS1_21radix_sort_block_sortIS4_Lb0EPKiPiPS6_SC_NS0_19identity_decomposerEEE10hipError_tT1_T2_T3_T4_jRjT5_jjP12ihipStream_tbEUlT_E_NS1_11comp_targetILNS1_3genE4ELNS1_11target_archE910ELNS1_3gpuE8ELNS1_3repE0EEENS1_44radix_sort_block_sort_config_static_selectorELNS0_4arch9wavefront6targetE0EEEvSF_: ; @_ZN7rocprim17ROCPRIM_400000_NS6detail17trampoline_kernelINS0_13kernel_configILj256ELj4ELj4294967295EEENS1_37radix_sort_block_sort_config_selectorIiNS0_10empty_typeEEEZNS1_21radix_sort_block_sortIS4_Lb0EPKiPiPS6_SC_NS0_19identity_decomposerEEE10hipError_tT1_T2_T3_T4_jRjT5_jjP12ihipStream_tbEUlT_E_NS1_11comp_targetILNS1_3genE4ELNS1_11target_archE910ELNS1_3gpuE8ELNS1_3repE0EEENS1_44radix_sort_block_sort_config_static_selectorELNS0_4arch9wavefront6targetE0EEEvSF_
; %bb.0:
	.section	.rodata,"a",@progbits
	.p2align	6, 0x0
	.amdhsa_kernel _ZN7rocprim17ROCPRIM_400000_NS6detail17trampoline_kernelINS0_13kernel_configILj256ELj4ELj4294967295EEENS1_37radix_sort_block_sort_config_selectorIiNS0_10empty_typeEEEZNS1_21radix_sort_block_sortIS4_Lb0EPKiPiPS6_SC_NS0_19identity_decomposerEEE10hipError_tT1_T2_T3_T4_jRjT5_jjP12ihipStream_tbEUlT_E_NS1_11comp_targetILNS1_3genE4ELNS1_11target_archE910ELNS1_3gpuE8ELNS1_3repE0EEENS1_44radix_sort_block_sort_config_static_selectorELNS0_4arch9wavefront6targetE0EEEvSF_
		.amdhsa_group_segment_fixed_size 0
		.amdhsa_private_segment_fixed_size 0
		.amdhsa_kernarg_size 48
		.amdhsa_user_sgpr_count 2
		.amdhsa_user_sgpr_dispatch_ptr 0
		.amdhsa_user_sgpr_queue_ptr 0
		.amdhsa_user_sgpr_kernarg_segment_ptr 1
		.amdhsa_user_sgpr_dispatch_id 0
		.amdhsa_user_sgpr_kernarg_preload_length 0
		.amdhsa_user_sgpr_kernarg_preload_offset 0
		.amdhsa_user_sgpr_private_segment_size 0
		.amdhsa_wavefront_size32 1
		.amdhsa_uses_dynamic_stack 0
		.amdhsa_enable_private_segment 0
		.amdhsa_system_sgpr_workgroup_id_x 1
		.amdhsa_system_sgpr_workgroup_id_y 0
		.amdhsa_system_sgpr_workgroup_id_z 0
		.amdhsa_system_sgpr_workgroup_info 0
		.amdhsa_system_vgpr_workitem_id 0
		.amdhsa_next_free_vgpr 1
		.amdhsa_next_free_sgpr 1
		.amdhsa_named_barrier_count 0
		.amdhsa_reserve_vcc 0
		.amdhsa_float_round_mode_32 0
		.amdhsa_float_round_mode_16_64 0
		.amdhsa_float_denorm_mode_32 3
		.amdhsa_float_denorm_mode_16_64 3
		.amdhsa_fp16_overflow 0
		.amdhsa_memory_ordered 1
		.amdhsa_forward_progress 1
		.amdhsa_inst_pref_size 0
		.amdhsa_round_robin_scheduling 0
		.amdhsa_exception_fp_ieee_invalid_op 0
		.amdhsa_exception_fp_denorm_src 0
		.amdhsa_exception_fp_ieee_div_zero 0
		.amdhsa_exception_fp_ieee_overflow 0
		.amdhsa_exception_fp_ieee_underflow 0
		.amdhsa_exception_fp_ieee_inexact 0
		.amdhsa_exception_int_div_zero 0
	.end_amdhsa_kernel
	.section	.text._ZN7rocprim17ROCPRIM_400000_NS6detail17trampoline_kernelINS0_13kernel_configILj256ELj4ELj4294967295EEENS1_37radix_sort_block_sort_config_selectorIiNS0_10empty_typeEEEZNS1_21radix_sort_block_sortIS4_Lb0EPKiPiPS6_SC_NS0_19identity_decomposerEEE10hipError_tT1_T2_T3_T4_jRjT5_jjP12ihipStream_tbEUlT_E_NS1_11comp_targetILNS1_3genE4ELNS1_11target_archE910ELNS1_3gpuE8ELNS1_3repE0EEENS1_44radix_sort_block_sort_config_static_selectorELNS0_4arch9wavefront6targetE0EEEvSF_,"axG",@progbits,_ZN7rocprim17ROCPRIM_400000_NS6detail17trampoline_kernelINS0_13kernel_configILj256ELj4ELj4294967295EEENS1_37radix_sort_block_sort_config_selectorIiNS0_10empty_typeEEEZNS1_21radix_sort_block_sortIS4_Lb0EPKiPiPS6_SC_NS0_19identity_decomposerEEE10hipError_tT1_T2_T3_T4_jRjT5_jjP12ihipStream_tbEUlT_E_NS1_11comp_targetILNS1_3genE4ELNS1_11target_archE910ELNS1_3gpuE8ELNS1_3repE0EEENS1_44radix_sort_block_sort_config_static_selectorELNS0_4arch9wavefront6targetE0EEEvSF_,comdat
.Lfunc_end887:
	.size	_ZN7rocprim17ROCPRIM_400000_NS6detail17trampoline_kernelINS0_13kernel_configILj256ELj4ELj4294967295EEENS1_37radix_sort_block_sort_config_selectorIiNS0_10empty_typeEEEZNS1_21radix_sort_block_sortIS4_Lb0EPKiPiPS6_SC_NS0_19identity_decomposerEEE10hipError_tT1_T2_T3_T4_jRjT5_jjP12ihipStream_tbEUlT_E_NS1_11comp_targetILNS1_3genE4ELNS1_11target_archE910ELNS1_3gpuE8ELNS1_3repE0EEENS1_44radix_sort_block_sort_config_static_selectorELNS0_4arch9wavefront6targetE0EEEvSF_, .Lfunc_end887-_ZN7rocprim17ROCPRIM_400000_NS6detail17trampoline_kernelINS0_13kernel_configILj256ELj4ELj4294967295EEENS1_37radix_sort_block_sort_config_selectorIiNS0_10empty_typeEEEZNS1_21radix_sort_block_sortIS4_Lb0EPKiPiPS6_SC_NS0_19identity_decomposerEEE10hipError_tT1_T2_T3_T4_jRjT5_jjP12ihipStream_tbEUlT_E_NS1_11comp_targetILNS1_3genE4ELNS1_11target_archE910ELNS1_3gpuE8ELNS1_3repE0EEENS1_44radix_sort_block_sort_config_static_selectorELNS0_4arch9wavefront6targetE0EEEvSF_
                                        ; -- End function
	.set _ZN7rocprim17ROCPRIM_400000_NS6detail17trampoline_kernelINS0_13kernel_configILj256ELj4ELj4294967295EEENS1_37radix_sort_block_sort_config_selectorIiNS0_10empty_typeEEEZNS1_21radix_sort_block_sortIS4_Lb0EPKiPiPS6_SC_NS0_19identity_decomposerEEE10hipError_tT1_T2_T3_T4_jRjT5_jjP12ihipStream_tbEUlT_E_NS1_11comp_targetILNS1_3genE4ELNS1_11target_archE910ELNS1_3gpuE8ELNS1_3repE0EEENS1_44radix_sort_block_sort_config_static_selectorELNS0_4arch9wavefront6targetE0EEEvSF_.num_vgpr, 0
	.set _ZN7rocprim17ROCPRIM_400000_NS6detail17trampoline_kernelINS0_13kernel_configILj256ELj4ELj4294967295EEENS1_37radix_sort_block_sort_config_selectorIiNS0_10empty_typeEEEZNS1_21radix_sort_block_sortIS4_Lb0EPKiPiPS6_SC_NS0_19identity_decomposerEEE10hipError_tT1_T2_T3_T4_jRjT5_jjP12ihipStream_tbEUlT_E_NS1_11comp_targetILNS1_3genE4ELNS1_11target_archE910ELNS1_3gpuE8ELNS1_3repE0EEENS1_44radix_sort_block_sort_config_static_selectorELNS0_4arch9wavefront6targetE0EEEvSF_.num_agpr, 0
	.set _ZN7rocprim17ROCPRIM_400000_NS6detail17trampoline_kernelINS0_13kernel_configILj256ELj4ELj4294967295EEENS1_37radix_sort_block_sort_config_selectorIiNS0_10empty_typeEEEZNS1_21radix_sort_block_sortIS4_Lb0EPKiPiPS6_SC_NS0_19identity_decomposerEEE10hipError_tT1_T2_T3_T4_jRjT5_jjP12ihipStream_tbEUlT_E_NS1_11comp_targetILNS1_3genE4ELNS1_11target_archE910ELNS1_3gpuE8ELNS1_3repE0EEENS1_44radix_sort_block_sort_config_static_selectorELNS0_4arch9wavefront6targetE0EEEvSF_.numbered_sgpr, 0
	.set _ZN7rocprim17ROCPRIM_400000_NS6detail17trampoline_kernelINS0_13kernel_configILj256ELj4ELj4294967295EEENS1_37radix_sort_block_sort_config_selectorIiNS0_10empty_typeEEEZNS1_21radix_sort_block_sortIS4_Lb0EPKiPiPS6_SC_NS0_19identity_decomposerEEE10hipError_tT1_T2_T3_T4_jRjT5_jjP12ihipStream_tbEUlT_E_NS1_11comp_targetILNS1_3genE4ELNS1_11target_archE910ELNS1_3gpuE8ELNS1_3repE0EEENS1_44radix_sort_block_sort_config_static_selectorELNS0_4arch9wavefront6targetE0EEEvSF_.num_named_barrier, 0
	.set _ZN7rocprim17ROCPRIM_400000_NS6detail17trampoline_kernelINS0_13kernel_configILj256ELj4ELj4294967295EEENS1_37radix_sort_block_sort_config_selectorIiNS0_10empty_typeEEEZNS1_21radix_sort_block_sortIS4_Lb0EPKiPiPS6_SC_NS0_19identity_decomposerEEE10hipError_tT1_T2_T3_T4_jRjT5_jjP12ihipStream_tbEUlT_E_NS1_11comp_targetILNS1_3genE4ELNS1_11target_archE910ELNS1_3gpuE8ELNS1_3repE0EEENS1_44radix_sort_block_sort_config_static_selectorELNS0_4arch9wavefront6targetE0EEEvSF_.private_seg_size, 0
	.set _ZN7rocprim17ROCPRIM_400000_NS6detail17trampoline_kernelINS0_13kernel_configILj256ELj4ELj4294967295EEENS1_37radix_sort_block_sort_config_selectorIiNS0_10empty_typeEEEZNS1_21radix_sort_block_sortIS4_Lb0EPKiPiPS6_SC_NS0_19identity_decomposerEEE10hipError_tT1_T2_T3_T4_jRjT5_jjP12ihipStream_tbEUlT_E_NS1_11comp_targetILNS1_3genE4ELNS1_11target_archE910ELNS1_3gpuE8ELNS1_3repE0EEENS1_44radix_sort_block_sort_config_static_selectorELNS0_4arch9wavefront6targetE0EEEvSF_.uses_vcc, 0
	.set _ZN7rocprim17ROCPRIM_400000_NS6detail17trampoline_kernelINS0_13kernel_configILj256ELj4ELj4294967295EEENS1_37radix_sort_block_sort_config_selectorIiNS0_10empty_typeEEEZNS1_21radix_sort_block_sortIS4_Lb0EPKiPiPS6_SC_NS0_19identity_decomposerEEE10hipError_tT1_T2_T3_T4_jRjT5_jjP12ihipStream_tbEUlT_E_NS1_11comp_targetILNS1_3genE4ELNS1_11target_archE910ELNS1_3gpuE8ELNS1_3repE0EEENS1_44radix_sort_block_sort_config_static_selectorELNS0_4arch9wavefront6targetE0EEEvSF_.uses_flat_scratch, 0
	.set _ZN7rocprim17ROCPRIM_400000_NS6detail17trampoline_kernelINS0_13kernel_configILj256ELj4ELj4294967295EEENS1_37radix_sort_block_sort_config_selectorIiNS0_10empty_typeEEEZNS1_21radix_sort_block_sortIS4_Lb0EPKiPiPS6_SC_NS0_19identity_decomposerEEE10hipError_tT1_T2_T3_T4_jRjT5_jjP12ihipStream_tbEUlT_E_NS1_11comp_targetILNS1_3genE4ELNS1_11target_archE910ELNS1_3gpuE8ELNS1_3repE0EEENS1_44radix_sort_block_sort_config_static_selectorELNS0_4arch9wavefront6targetE0EEEvSF_.has_dyn_sized_stack, 0
	.set _ZN7rocprim17ROCPRIM_400000_NS6detail17trampoline_kernelINS0_13kernel_configILj256ELj4ELj4294967295EEENS1_37radix_sort_block_sort_config_selectorIiNS0_10empty_typeEEEZNS1_21radix_sort_block_sortIS4_Lb0EPKiPiPS6_SC_NS0_19identity_decomposerEEE10hipError_tT1_T2_T3_T4_jRjT5_jjP12ihipStream_tbEUlT_E_NS1_11comp_targetILNS1_3genE4ELNS1_11target_archE910ELNS1_3gpuE8ELNS1_3repE0EEENS1_44radix_sort_block_sort_config_static_selectorELNS0_4arch9wavefront6targetE0EEEvSF_.has_recursion, 0
	.set _ZN7rocprim17ROCPRIM_400000_NS6detail17trampoline_kernelINS0_13kernel_configILj256ELj4ELj4294967295EEENS1_37radix_sort_block_sort_config_selectorIiNS0_10empty_typeEEEZNS1_21radix_sort_block_sortIS4_Lb0EPKiPiPS6_SC_NS0_19identity_decomposerEEE10hipError_tT1_T2_T3_T4_jRjT5_jjP12ihipStream_tbEUlT_E_NS1_11comp_targetILNS1_3genE4ELNS1_11target_archE910ELNS1_3gpuE8ELNS1_3repE0EEENS1_44radix_sort_block_sort_config_static_selectorELNS0_4arch9wavefront6targetE0EEEvSF_.has_indirect_call, 0
	.section	.AMDGPU.csdata,"",@progbits
; Kernel info:
; codeLenInByte = 0
; TotalNumSgprs: 0
; NumVgprs: 0
; ScratchSize: 0
; MemoryBound: 0
; FloatMode: 240
; IeeeMode: 1
; LDSByteSize: 0 bytes/workgroup (compile time only)
; SGPRBlocks: 0
; VGPRBlocks: 0
; NumSGPRsForWavesPerEU: 1
; NumVGPRsForWavesPerEU: 1
; NamedBarCnt: 0
; Occupancy: 16
; WaveLimiterHint : 0
; COMPUTE_PGM_RSRC2:SCRATCH_EN: 0
; COMPUTE_PGM_RSRC2:USER_SGPR: 2
; COMPUTE_PGM_RSRC2:TRAP_HANDLER: 0
; COMPUTE_PGM_RSRC2:TGID_X_EN: 1
; COMPUTE_PGM_RSRC2:TGID_Y_EN: 0
; COMPUTE_PGM_RSRC2:TGID_Z_EN: 0
; COMPUTE_PGM_RSRC2:TIDIG_COMP_CNT: 0
	.section	.text._ZN7rocprim17ROCPRIM_400000_NS6detail17trampoline_kernelINS0_13kernel_configILj256ELj4ELj4294967295EEENS1_37radix_sort_block_sort_config_selectorIiNS0_10empty_typeEEEZNS1_21radix_sort_block_sortIS4_Lb0EPKiPiPS6_SC_NS0_19identity_decomposerEEE10hipError_tT1_T2_T3_T4_jRjT5_jjP12ihipStream_tbEUlT_E_NS1_11comp_targetILNS1_3genE3ELNS1_11target_archE908ELNS1_3gpuE7ELNS1_3repE0EEENS1_44radix_sort_block_sort_config_static_selectorELNS0_4arch9wavefront6targetE0EEEvSF_,"axG",@progbits,_ZN7rocprim17ROCPRIM_400000_NS6detail17trampoline_kernelINS0_13kernel_configILj256ELj4ELj4294967295EEENS1_37radix_sort_block_sort_config_selectorIiNS0_10empty_typeEEEZNS1_21radix_sort_block_sortIS4_Lb0EPKiPiPS6_SC_NS0_19identity_decomposerEEE10hipError_tT1_T2_T3_T4_jRjT5_jjP12ihipStream_tbEUlT_E_NS1_11comp_targetILNS1_3genE3ELNS1_11target_archE908ELNS1_3gpuE7ELNS1_3repE0EEENS1_44radix_sort_block_sort_config_static_selectorELNS0_4arch9wavefront6targetE0EEEvSF_,comdat
	.protected	_ZN7rocprim17ROCPRIM_400000_NS6detail17trampoline_kernelINS0_13kernel_configILj256ELj4ELj4294967295EEENS1_37radix_sort_block_sort_config_selectorIiNS0_10empty_typeEEEZNS1_21radix_sort_block_sortIS4_Lb0EPKiPiPS6_SC_NS0_19identity_decomposerEEE10hipError_tT1_T2_T3_T4_jRjT5_jjP12ihipStream_tbEUlT_E_NS1_11comp_targetILNS1_3genE3ELNS1_11target_archE908ELNS1_3gpuE7ELNS1_3repE0EEENS1_44radix_sort_block_sort_config_static_selectorELNS0_4arch9wavefront6targetE0EEEvSF_ ; -- Begin function _ZN7rocprim17ROCPRIM_400000_NS6detail17trampoline_kernelINS0_13kernel_configILj256ELj4ELj4294967295EEENS1_37radix_sort_block_sort_config_selectorIiNS0_10empty_typeEEEZNS1_21radix_sort_block_sortIS4_Lb0EPKiPiPS6_SC_NS0_19identity_decomposerEEE10hipError_tT1_T2_T3_T4_jRjT5_jjP12ihipStream_tbEUlT_E_NS1_11comp_targetILNS1_3genE3ELNS1_11target_archE908ELNS1_3gpuE7ELNS1_3repE0EEENS1_44radix_sort_block_sort_config_static_selectorELNS0_4arch9wavefront6targetE0EEEvSF_
	.globl	_ZN7rocprim17ROCPRIM_400000_NS6detail17trampoline_kernelINS0_13kernel_configILj256ELj4ELj4294967295EEENS1_37radix_sort_block_sort_config_selectorIiNS0_10empty_typeEEEZNS1_21radix_sort_block_sortIS4_Lb0EPKiPiPS6_SC_NS0_19identity_decomposerEEE10hipError_tT1_T2_T3_T4_jRjT5_jjP12ihipStream_tbEUlT_E_NS1_11comp_targetILNS1_3genE3ELNS1_11target_archE908ELNS1_3gpuE7ELNS1_3repE0EEENS1_44radix_sort_block_sort_config_static_selectorELNS0_4arch9wavefront6targetE0EEEvSF_
	.p2align	8
	.type	_ZN7rocprim17ROCPRIM_400000_NS6detail17trampoline_kernelINS0_13kernel_configILj256ELj4ELj4294967295EEENS1_37radix_sort_block_sort_config_selectorIiNS0_10empty_typeEEEZNS1_21radix_sort_block_sortIS4_Lb0EPKiPiPS6_SC_NS0_19identity_decomposerEEE10hipError_tT1_T2_T3_T4_jRjT5_jjP12ihipStream_tbEUlT_E_NS1_11comp_targetILNS1_3genE3ELNS1_11target_archE908ELNS1_3gpuE7ELNS1_3repE0EEENS1_44radix_sort_block_sort_config_static_selectorELNS0_4arch9wavefront6targetE0EEEvSF_,@function
_ZN7rocprim17ROCPRIM_400000_NS6detail17trampoline_kernelINS0_13kernel_configILj256ELj4ELj4294967295EEENS1_37radix_sort_block_sort_config_selectorIiNS0_10empty_typeEEEZNS1_21radix_sort_block_sortIS4_Lb0EPKiPiPS6_SC_NS0_19identity_decomposerEEE10hipError_tT1_T2_T3_T4_jRjT5_jjP12ihipStream_tbEUlT_E_NS1_11comp_targetILNS1_3genE3ELNS1_11target_archE908ELNS1_3gpuE7ELNS1_3repE0EEENS1_44radix_sort_block_sort_config_static_selectorELNS0_4arch9wavefront6targetE0EEEvSF_: ; @_ZN7rocprim17ROCPRIM_400000_NS6detail17trampoline_kernelINS0_13kernel_configILj256ELj4ELj4294967295EEENS1_37radix_sort_block_sort_config_selectorIiNS0_10empty_typeEEEZNS1_21radix_sort_block_sortIS4_Lb0EPKiPiPS6_SC_NS0_19identity_decomposerEEE10hipError_tT1_T2_T3_T4_jRjT5_jjP12ihipStream_tbEUlT_E_NS1_11comp_targetILNS1_3genE3ELNS1_11target_archE908ELNS1_3gpuE7ELNS1_3repE0EEENS1_44radix_sort_block_sort_config_static_selectorELNS0_4arch9wavefront6targetE0EEEvSF_
; %bb.0:
	.section	.rodata,"a",@progbits
	.p2align	6, 0x0
	.amdhsa_kernel _ZN7rocprim17ROCPRIM_400000_NS6detail17trampoline_kernelINS0_13kernel_configILj256ELj4ELj4294967295EEENS1_37radix_sort_block_sort_config_selectorIiNS0_10empty_typeEEEZNS1_21radix_sort_block_sortIS4_Lb0EPKiPiPS6_SC_NS0_19identity_decomposerEEE10hipError_tT1_T2_T3_T4_jRjT5_jjP12ihipStream_tbEUlT_E_NS1_11comp_targetILNS1_3genE3ELNS1_11target_archE908ELNS1_3gpuE7ELNS1_3repE0EEENS1_44radix_sort_block_sort_config_static_selectorELNS0_4arch9wavefront6targetE0EEEvSF_
		.amdhsa_group_segment_fixed_size 0
		.amdhsa_private_segment_fixed_size 0
		.amdhsa_kernarg_size 48
		.amdhsa_user_sgpr_count 2
		.amdhsa_user_sgpr_dispatch_ptr 0
		.amdhsa_user_sgpr_queue_ptr 0
		.amdhsa_user_sgpr_kernarg_segment_ptr 1
		.amdhsa_user_sgpr_dispatch_id 0
		.amdhsa_user_sgpr_kernarg_preload_length 0
		.amdhsa_user_sgpr_kernarg_preload_offset 0
		.amdhsa_user_sgpr_private_segment_size 0
		.amdhsa_wavefront_size32 1
		.amdhsa_uses_dynamic_stack 0
		.amdhsa_enable_private_segment 0
		.amdhsa_system_sgpr_workgroup_id_x 1
		.amdhsa_system_sgpr_workgroup_id_y 0
		.amdhsa_system_sgpr_workgroup_id_z 0
		.amdhsa_system_sgpr_workgroup_info 0
		.amdhsa_system_vgpr_workitem_id 0
		.amdhsa_next_free_vgpr 1
		.amdhsa_next_free_sgpr 1
		.amdhsa_named_barrier_count 0
		.amdhsa_reserve_vcc 0
		.amdhsa_float_round_mode_32 0
		.amdhsa_float_round_mode_16_64 0
		.amdhsa_float_denorm_mode_32 3
		.amdhsa_float_denorm_mode_16_64 3
		.amdhsa_fp16_overflow 0
		.amdhsa_memory_ordered 1
		.amdhsa_forward_progress 1
		.amdhsa_inst_pref_size 0
		.amdhsa_round_robin_scheduling 0
		.amdhsa_exception_fp_ieee_invalid_op 0
		.amdhsa_exception_fp_denorm_src 0
		.amdhsa_exception_fp_ieee_div_zero 0
		.amdhsa_exception_fp_ieee_overflow 0
		.amdhsa_exception_fp_ieee_underflow 0
		.amdhsa_exception_fp_ieee_inexact 0
		.amdhsa_exception_int_div_zero 0
	.end_amdhsa_kernel
	.section	.text._ZN7rocprim17ROCPRIM_400000_NS6detail17trampoline_kernelINS0_13kernel_configILj256ELj4ELj4294967295EEENS1_37radix_sort_block_sort_config_selectorIiNS0_10empty_typeEEEZNS1_21radix_sort_block_sortIS4_Lb0EPKiPiPS6_SC_NS0_19identity_decomposerEEE10hipError_tT1_T2_T3_T4_jRjT5_jjP12ihipStream_tbEUlT_E_NS1_11comp_targetILNS1_3genE3ELNS1_11target_archE908ELNS1_3gpuE7ELNS1_3repE0EEENS1_44radix_sort_block_sort_config_static_selectorELNS0_4arch9wavefront6targetE0EEEvSF_,"axG",@progbits,_ZN7rocprim17ROCPRIM_400000_NS6detail17trampoline_kernelINS0_13kernel_configILj256ELj4ELj4294967295EEENS1_37radix_sort_block_sort_config_selectorIiNS0_10empty_typeEEEZNS1_21radix_sort_block_sortIS4_Lb0EPKiPiPS6_SC_NS0_19identity_decomposerEEE10hipError_tT1_T2_T3_T4_jRjT5_jjP12ihipStream_tbEUlT_E_NS1_11comp_targetILNS1_3genE3ELNS1_11target_archE908ELNS1_3gpuE7ELNS1_3repE0EEENS1_44radix_sort_block_sort_config_static_selectorELNS0_4arch9wavefront6targetE0EEEvSF_,comdat
.Lfunc_end888:
	.size	_ZN7rocprim17ROCPRIM_400000_NS6detail17trampoline_kernelINS0_13kernel_configILj256ELj4ELj4294967295EEENS1_37radix_sort_block_sort_config_selectorIiNS0_10empty_typeEEEZNS1_21radix_sort_block_sortIS4_Lb0EPKiPiPS6_SC_NS0_19identity_decomposerEEE10hipError_tT1_T2_T3_T4_jRjT5_jjP12ihipStream_tbEUlT_E_NS1_11comp_targetILNS1_3genE3ELNS1_11target_archE908ELNS1_3gpuE7ELNS1_3repE0EEENS1_44radix_sort_block_sort_config_static_selectorELNS0_4arch9wavefront6targetE0EEEvSF_, .Lfunc_end888-_ZN7rocprim17ROCPRIM_400000_NS6detail17trampoline_kernelINS0_13kernel_configILj256ELj4ELj4294967295EEENS1_37radix_sort_block_sort_config_selectorIiNS0_10empty_typeEEEZNS1_21radix_sort_block_sortIS4_Lb0EPKiPiPS6_SC_NS0_19identity_decomposerEEE10hipError_tT1_T2_T3_T4_jRjT5_jjP12ihipStream_tbEUlT_E_NS1_11comp_targetILNS1_3genE3ELNS1_11target_archE908ELNS1_3gpuE7ELNS1_3repE0EEENS1_44radix_sort_block_sort_config_static_selectorELNS0_4arch9wavefront6targetE0EEEvSF_
                                        ; -- End function
	.set _ZN7rocprim17ROCPRIM_400000_NS6detail17trampoline_kernelINS0_13kernel_configILj256ELj4ELj4294967295EEENS1_37radix_sort_block_sort_config_selectorIiNS0_10empty_typeEEEZNS1_21radix_sort_block_sortIS4_Lb0EPKiPiPS6_SC_NS0_19identity_decomposerEEE10hipError_tT1_T2_T3_T4_jRjT5_jjP12ihipStream_tbEUlT_E_NS1_11comp_targetILNS1_3genE3ELNS1_11target_archE908ELNS1_3gpuE7ELNS1_3repE0EEENS1_44radix_sort_block_sort_config_static_selectorELNS0_4arch9wavefront6targetE0EEEvSF_.num_vgpr, 0
	.set _ZN7rocprim17ROCPRIM_400000_NS6detail17trampoline_kernelINS0_13kernel_configILj256ELj4ELj4294967295EEENS1_37radix_sort_block_sort_config_selectorIiNS0_10empty_typeEEEZNS1_21radix_sort_block_sortIS4_Lb0EPKiPiPS6_SC_NS0_19identity_decomposerEEE10hipError_tT1_T2_T3_T4_jRjT5_jjP12ihipStream_tbEUlT_E_NS1_11comp_targetILNS1_3genE3ELNS1_11target_archE908ELNS1_3gpuE7ELNS1_3repE0EEENS1_44radix_sort_block_sort_config_static_selectorELNS0_4arch9wavefront6targetE0EEEvSF_.num_agpr, 0
	.set _ZN7rocprim17ROCPRIM_400000_NS6detail17trampoline_kernelINS0_13kernel_configILj256ELj4ELj4294967295EEENS1_37radix_sort_block_sort_config_selectorIiNS0_10empty_typeEEEZNS1_21radix_sort_block_sortIS4_Lb0EPKiPiPS6_SC_NS0_19identity_decomposerEEE10hipError_tT1_T2_T3_T4_jRjT5_jjP12ihipStream_tbEUlT_E_NS1_11comp_targetILNS1_3genE3ELNS1_11target_archE908ELNS1_3gpuE7ELNS1_3repE0EEENS1_44radix_sort_block_sort_config_static_selectorELNS0_4arch9wavefront6targetE0EEEvSF_.numbered_sgpr, 0
	.set _ZN7rocprim17ROCPRIM_400000_NS6detail17trampoline_kernelINS0_13kernel_configILj256ELj4ELj4294967295EEENS1_37radix_sort_block_sort_config_selectorIiNS0_10empty_typeEEEZNS1_21radix_sort_block_sortIS4_Lb0EPKiPiPS6_SC_NS0_19identity_decomposerEEE10hipError_tT1_T2_T3_T4_jRjT5_jjP12ihipStream_tbEUlT_E_NS1_11comp_targetILNS1_3genE3ELNS1_11target_archE908ELNS1_3gpuE7ELNS1_3repE0EEENS1_44radix_sort_block_sort_config_static_selectorELNS0_4arch9wavefront6targetE0EEEvSF_.num_named_barrier, 0
	.set _ZN7rocprim17ROCPRIM_400000_NS6detail17trampoline_kernelINS0_13kernel_configILj256ELj4ELj4294967295EEENS1_37radix_sort_block_sort_config_selectorIiNS0_10empty_typeEEEZNS1_21radix_sort_block_sortIS4_Lb0EPKiPiPS6_SC_NS0_19identity_decomposerEEE10hipError_tT1_T2_T3_T4_jRjT5_jjP12ihipStream_tbEUlT_E_NS1_11comp_targetILNS1_3genE3ELNS1_11target_archE908ELNS1_3gpuE7ELNS1_3repE0EEENS1_44radix_sort_block_sort_config_static_selectorELNS0_4arch9wavefront6targetE0EEEvSF_.private_seg_size, 0
	.set _ZN7rocprim17ROCPRIM_400000_NS6detail17trampoline_kernelINS0_13kernel_configILj256ELj4ELj4294967295EEENS1_37radix_sort_block_sort_config_selectorIiNS0_10empty_typeEEEZNS1_21radix_sort_block_sortIS4_Lb0EPKiPiPS6_SC_NS0_19identity_decomposerEEE10hipError_tT1_T2_T3_T4_jRjT5_jjP12ihipStream_tbEUlT_E_NS1_11comp_targetILNS1_3genE3ELNS1_11target_archE908ELNS1_3gpuE7ELNS1_3repE0EEENS1_44radix_sort_block_sort_config_static_selectorELNS0_4arch9wavefront6targetE0EEEvSF_.uses_vcc, 0
	.set _ZN7rocprim17ROCPRIM_400000_NS6detail17trampoline_kernelINS0_13kernel_configILj256ELj4ELj4294967295EEENS1_37radix_sort_block_sort_config_selectorIiNS0_10empty_typeEEEZNS1_21radix_sort_block_sortIS4_Lb0EPKiPiPS6_SC_NS0_19identity_decomposerEEE10hipError_tT1_T2_T3_T4_jRjT5_jjP12ihipStream_tbEUlT_E_NS1_11comp_targetILNS1_3genE3ELNS1_11target_archE908ELNS1_3gpuE7ELNS1_3repE0EEENS1_44radix_sort_block_sort_config_static_selectorELNS0_4arch9wavefront6targetE0EEEvSF_.uses_flat_scratch, 0
	.set _ZN7rocprim17ROCPRIM_400000_NS6detail17trampoline_kernelINS0_13kernel_configILj256ELj4ELj4294967295EEENS1_37radix_sort_block_sort_config_selectorIiNS0_10empty_typeEEEZNS1_21radix_sort_block_sortIS4_Lb0EPKiPiPS6_SC_NS0_19identity_decomposerEEE10hipError_tT1_T2_T3_T4_jRjT5_jjP12ihipStream_tbEUlT_E_NS1_11comp_targetILNS1_3genE3ELNS1_11target_archE908ELNS1_3gpuE7ELNS1_3repE0EEENS1_44radix_sort_block_sort_config_static_selectorELNS0_4arch9wavefront6targetE0EEEvSF_.has_dyn_sized_stack, 0
	.set _ZN7rocprim17ROCPRIM_400000_NS6detail17trampoline_kernelINS0_13kernel_configILj256ELj4ELj4294967295EEENS1_37radix_sort_block_sort_config_selectorIiNS0_10empty_typeEEEZNS1_21radix_sort_block_sortIS4_Lb0EPKiPiPS6_SC_NS0_19identity_decomposerEEE10hipError_tT1_T2_T3_T4_jRjT5_jjP12ihipStream_tbEUlT_E_NS1_11comp_targetILNS1_3genE3ELNS1_11target_archE908ELNS1_3gpuE7ELNS1_3repE0EEENS1_44radix_sort_block_sort_config_static_selectorELNS0_4arch9wavefront6targetE0EEEvSF_.has_recursion, 0
	.set _ZN7rocprim17ROCPRIM_400000_NS6detail17trampoline_kernelINS0_13kernel_configILj256ELj4ELj4294967295EEENS1_37radix_sort_block_sort_config_selectorIiNS0_10empty_typeEEEZNS1_21radix_sort_block_sortIS4_Lb0EPKiPiPS6_SC_NS0_19identity_decomposerEEE10hipError_tT1_T2_T3_T4_jRjT5_jjP12ihipStream_tbEUlT_E_NS1_11comp_targetILNS1_3genE3ELNS1_11target_archE908ELNS1_3gpuE7ELNS1_3repE0EEENS1_44radix_sort_block_sort_config_static_selectorELNS0_4arch9wavefront6targetE0EEEvSF_.has_indirect_call, 0
	.section	.AMDGPU.csdata,"",@progbits
; Kernel info:
; codeLenInByte = 0
; TotalNumSgprs: 0
; NumVgprs: 0
; ScratchSize: 0
; MemoryBound: 0
; FloatMode: 240
; IeeeMode: 1
; LDSByteSize: 0 bytes/workgroup (compile time only)
; SGPRBlocks: 0
; VGPRBlocks: 0
; NumSGPRsForWavesPerEU: 1
; NumVGPRsForWavesPerEU: 1
; NamedBarCnt: 0
; Occupancy: 16
; WaveLimiterHint : 0
; COMPUTE_PGM_RSRC2:SCRATCH_EN: 0
; COMPUTE_PGM_RSRC2:USER_SGPR: 2
; COMPUTE_PGM_RSRC2:TRAP_HANDLER: 0
; COMPUTE_PGM_RSRC2:TGID_X_EN: 1
; COMPUTE_PGM_RSRC2:TGID_Y_EN: 0
; COMPUTE_PGM_RSRC2:TGID_Z_EN: 0
; COMPUTE_PGM_RSRC2:TIDIG_COMP_CNT: 0
	.section	.text._ZN7rocprim17ROCPRIM_400000_NS6detail17trampoline_kernelINS0_13kernel_configILj256ELj4ELj4294967295EEENS1_37radix_sort_block_sort_config_selectorIiNS0_10empty_typeEEEZNS1_21radix_sort_block_sortIS4_Lb0EPKiPiPS6_SC_NS0_19identity_decomposerEEE10hipError_tT1_T2_T3_T4_jRjT5_jjP12ihipStream_tbEUlT_E_NS1_11comp_targetILNS1_3genE2ELNS1_11target_archE906ELNS1_3gpuE6ELNS1_3repE0EEENS1_44radix_sort_block_sort_config_static_selectorELNS0_4arch9wavefront6targetE0EEEvSF_,"axG",@progbits,_ZN7rocprim17ROCPRIM_400000_NS6detail17trampoline_kernelINS0_13kernel_configILj256ELj4ELj4294967295EEENS1_37radix_sort_block_sort_config_selectorIiNS0_10empty_typeEEEZNS1_21radix_sort_block_sortIS4_Lb0EPKiPiPS6_SC_NS0_19identity_decomposerEEE10hipError_tT1_T2_T3_T4_jRjT5_jjP12ihipStream_tbEUlT_E_NS1_11comp_targetILNS1_3genE2ELNS1_11target_archE906ELNS1_3gpuE6ELNS1_3repE0EEENS1_44radix_sort_block_sort_config_static_selectorELNS0_4arch9wavefront6targetE0EEEvSF_,comdat
	.protected	_ZN7rocprim17ROCPRIM_400000_NS6detail17trampoline_kernelINS0_13kernel_configILj256ELj4ELj4294967295EEENS1_37radix_sort_block_sort_config_selectorIiNS0_10empty_typeEEEZNS1_21radix_sort_block_sortIS4_Lb0EPKiPiPS6_SC_NS0_19identity_decomposerEEE10hipError_tT1_T2_T3_T4_jRjT5_jjP12ihipStream_tbEUlT_E_NS1_11comp_targetILNS1_3genE2ELNS1_11target_archE906ELNS1_3gpuE6ELNS1_3repE0EEENS1_44radix_sort_block_sort_config_static_selectorELNS0_4arch9wavefront6targetE0EEEvSF_ ; -- Begin function _ZN7rocprim17ROCPRIM_400000_NS6detail17trampoline_kernelINS0_13kernel_configILj256ELj4ELj4294967295EEENS1_37radix_sort_block_sort_config_selectorIiNS0_10empty_typeEEEZNS1_21radix_sort_block_sortIS4_Lb0EPKiPiPS6_SC_NS0_19identity_decomposerEEE10hipError_tT1_T2_T3_T4_jRjT5_jjP12ihipStream_tbEUlT_E_NS1_11comp_targetILNS1_3genE2ELNS1_11target_archE906ELNS1_3gpuE6ELNS1_3repE0EEENS1_44radix_sort_block_sort_config_static_selectorELNS0_4arch9wavefront6targetE0EEEvSF_
	.globl	_ZN7rocprim17ROCPRIM_400000_NS6detail17trampoline_kernelINS0_13kernel_configILj256ELj4ELj4294967295EEENS1_37radix_sort_block_sort_config_selectorIiNS0_10empty_typeEEEZNS1_21radix_sort_block_sortIS4_Lb0EPKiPiPS6_SC_NS0_19identity_decomposerEEE10hipError_tT1_T2_T3_T4_jRjT5_jjP12ihipStream_tbEUlT_E_NS1_11comp_targetILNS1_3genE2ELNS1_11target_archE906ELNS1_3gpuE6ELNS1_3repE0EEENS1_44radix_sort_block_sort_config_static_selectorELNS0_4arch9wavefront6targetE0EEEvSF_
	.p2align	8
	.type	_ZN7rocprim17ROCPRIM_400000_NS6detail17trampoline_kernelINS0_13kernel_configILj256ELj4ELj4294967295EEENS1_37radix_sort_block_sort_config_selectorIiNS0_10empty_typeEEEZNS1_21radix_sort_block_sortIS4_Lb0EPKiPiPS6_SC_NS0_19identity_decomposerEEE10hipError_tT1_T2_T3_T4_jRjT5_jjP12ihipStream_tbEUlT_E_NS1_11comp_targetILNS1_3genE2ELNS1_11target_archE906ELNS1_3gpuE6ELNS1_3repE0EEENS1_44radix_sort_block_sort_config_static_selectorELNS0_4arch9wavefront6targetE0EEEvSF_,@function
_ZN7rocprim17ROCPRIM_400000_NS6detail17trampoline_kernelINS0_13kernel_configILj256ELj4ELj4294967295EEENS1_37radix_sort_block_sort_config_selectorIiNS0_10empty_typeEEEZNS1_21radix_sort_block_sortIS4_Lb0EPKiPiPS6_SC_NS0_19identity_decomposerEEE10hipError_tT1_T2_T3_T4_jRjT5_jjP12ihipStream_tbEUlT_E_NS1_11comp_targetILNS1_3genE2ELNS1_11target_archE906ELNS1_3gpuE6ELNS1_3repE0EEENS1_44radix_sort_block_sort_config_static_selectorELNS0_4arch9wavefront6targetE0EEEvSF_: ; @_ZN7rocprim17ROCPRIM_400000_NS6detail17trampoline_kernelINS0_13kernel_configILj256ELj4ELj4294967295EEENS1_37radix_sort_block_sort_config_selectorIiNS0_10empty_typeEEEZNS1_21radix_sort_block_sortIS4_Lb0EPKiPiPS6_SC_NS0_19identity_decomposerEEE10hipError_tT1_T2_T3_T4_jRjT5_jjP12ihipStream_tbEUlT_E_NS1_11comp_targetILNS1_3genE2ELNS1_11target_archE906ELNS1_3gpuE6ELNS1_3repE0EEENS1_44radix_sort_block_sort_config_static_selectorELNS0_4arch9wavefront6targetE0EEEvSF_
; %bb.0:
	.section	.rodata,"a",@progbits
	.p2align	6, 0x0
	.amdhsa_kernel _ZN7rocprim17ROCPRIM_400000_NS6detail17trampoline_kernelINS0_13kernel_configILj256ELj4ELj4294967295EEENS1_37radix_sort_block_sort_config_selectorIiNS0_10empty_typeEEEZNS1_21radix_sort_block_sortIS4_Lb0EPKiPiPS6_SC_NS0_19identity_decomposerEEE10hipError_tT1_T2_T3_T4_jRjT5_jjP12ihipStream_tbEUlT_E_NS1_11comp_targetILNS1_3genE2ELNS1_11target_archE906ELNS1_3gpuE6ELNS1_3repE0EEENS1_44radix_sort_block_sort_config_static_selectorELNS0_4arch9wavefront6targetE0EEEvSF_
		.amdhsa_group_segment_fixed_size 0
		.amdhsa_private_segment_fixed_size 0
		.amdhsa_kernarg_size 48
		.amdhsa_user_sgpr_count 2
		.amdhsa_user_sgpr_dispatch_ptr 0
		.amdhsa_user_sgpr_queue_ptr 0
		.amdhsa_user_sgpr_kernarg_segment_ptr 1
		.amdhsa_user_sgpr_dispatch_id 0
		.amdhsa_user_sgpr_kernarg_preload_length 0
		.amdhsa_user_sgpr_kernarg_preload_offset 0
		.amdhsa_user_sgpr_private_segment_size 0
		.amdhsa_wavefront_size32 1
		.amdhsa_uses_dynamic_stack 0
		.amdhsa_enable_private_segment 0
		.amdhsa_system_sgpr_workgroup_id_x 1
		.amdhsa_system_sgpr_workgroup_id_y 0
		.amdhsa_system_sgpr_workgroup_id_z 0
		.amdhsa_system_sgpr_workgroup_info 0
		.amdhsa_system_vgpr_workitem_id 0
		.amdhsa_next_free_vgpr 1
		.amdhsa_next_free_sgpr 1
		.amdhsa_named_barrier_count 0
		.amdhsa_reserve_vcc 0
		.amdhsa_float_round_mode_32 0
		.amdhsa_float_round_mode_16_64 0
		.amdhsa_float_denorm_mode_32 3
		.amdhsa_float_denorm_mode_16_64 3
		.amdhsa_fp16_overflow 0
		.amdhsa_memory_ordered 1
		.amdhsa_forward_progress 1
		.amdhsa_inst_pref_size 0
		.amdhsa_round_robin_scheduling 0
		.amdhsa_exception_fp_ieee_invalid_op 0
		.amdhsa_exception_fp_denorm_src 0
		.amdhsa_exception_fp_ieee_div_zero 0
		.amdhsa_exception_fp_ieee_overflow 0
		.amdhsa_exception_fp_ieee_underflow 0
		.amdhsa_exception_fp_ieee_inexact 0
		.amdhsa_exception_int_div_zero 0
	.end_amdhsa_kernel
	.section	.text._ZN7rocprim17ROCPRIM_400000_NS6detail17trampoline_kernelINS0_13kernel_configILj256ELj4ELj4294967295EEENS1_37radix_sort_block_sort_config_selectorIiNS0_10empty_typeEEEZNS1_21radix_sort_block_sortIS4_Lb0EPKiPiPS6_SC_NS0_19identity_decomposerEEE10hipError_tT1_T2_T3_T4_jRjT5_jjP12ihipStream_tbEUlT_E_NS1_11comp_targetILNS1_3genE2ELNS1_11target_archE906ELNS1_3gpuE6ELNS1_3repE0EEENS1_44radix_sort_block_sort_config_static_selectorELNS0_4arch9wavefront6targetE0EEEvSF_,"axG",@progbits,_ZN7rocprim17ROCPRIM_400000_NS6detail17trampoline_kernelINS0_13kernel_configILj256ELj4ELj4294967295EEENS1_37radix_sort_block_sort_config_selectorIiNS0_10empty_typeEEEZNS1_21radix_sort_block_sortIS4_Lb0EPKiPiPS6_SC_NS0_19identity_decomposerEEE10hipError_tT1_T2_T3_T4_jRjT5_jjP12ihipStream_tbEUlT_E_NS1_11comp_targetILNS1_3genE2ELNS1_11target_archE906ELNS1_3gpuE6ELNS1_3repE0EEENS1_44radix_sort_block_sort_config_static_selectorELNS0_4arch9wavefront6targetE0EEEvSF_,comdat
.Lfunc_end889:
	.size	_ZN7rocprim17ROCPRIM_400000_NS6detail17trampoline_kernelINS0_13kernel_configILj256ELj4ELj4294967295EEENS1_37radix_sort_block_sort_config_selectorIiNS0_10empty_typeEEEZNS1_21radix_sort_block_sortIS4_Lb0EPKiPiPS6_SC_NS0_19identity_decomposerEEE10hipError_tT1_T2_T3_T4_jRjT5_jjP12ihipStream_tbEUlT_E_NS1_11comp_targetILNS1_3genE2ELNS1_11target_archE906ELNS1_3gpuE6ELNS1_3repE0EEENS1_44radix_sort_block_sort_config_static_selectorELNS0_4arch9wavefront6targetE0EEEvSF_, .Lfunc_end889-_ZN7rocprim17ROCPRIM_400000_NS6detail17trampoline_kernelINS0_13kernel_configILj256ELj4ELj4294967295EEENS1_37radix_sort_block_sort_config_selectorIiNS0_10empty_typeEEEZNS1_21radix_sort_block_sortIS4_Lb0EPKiPiPS6_SC_NS0_19identity_decomposerEEE10hipError_tT1_T2_T3_T4_jRjT5_jjP12ihipStream_tbEUlT_E_NS1_11comp_targetILNS1_3genE2ELNS1_11target_archE906ELNS1_3gpuE6ELNS1_3repE0EEENS1_44radix_sort_block_sort_config_static_selectorELNS0_4arch9wavefront6targetE0EEEvSF_
                                        ; -- End function
	.set _ZN7rocprim17ROCPRIM_400000_NS6detail17trampoline_kernelINS0_13kernel_configILj256ELj4ELj4294967295EEENS1_37radix_sort_block_sort_config_selectorIiNS0_10empty_typeEEEZNS1_21radix_sort_block_sortIS4_Lb0EPKiPiPS6_SC_NS0_19identity_decomposerEEE10hipError_tT1_T2_T3_T4_jRjT5_jjP12ihipStream_tbEUlT_E_NS1_11comp_targetILNS1_3genE2ELNS1_11target_archE906ELNS1_3gpuE6ELNS1_3repE0EEENS1_44radix_sort_block_sort_config_static_selectorELNS0_4arch9wavefront6targetE0EEEvSF_.num_vgpr, 0
	.set _ZN7rocprim17ROCPRIM_400000_NS6detail17trampoline_kernelINS0_13kernel_configILj256ELj4ELj4294967295EEENS1_37radix_sort_block_sort_config_selectorIiNS0_10empty_typeEEEZNS1_21radix_sort_block_sortIS4_Lb0EPKiPiPS6_SC_NS0_19identity_decomposerEEE10hipError_tT1_T2_T3_T4_jRjT5_jjP12ihipStream_tbEUlT_E_NS1_11comp_targetILNS1_3genE2ELNS1_11target_archE906ELNS1_3gpuE6ELNS1_3repE0EEENS1_44radix_sort_block_sort_config_static_selectorELNS0_4arch9wavefront6targetE0EEEvSF_.num_agpr, 0
	.set _ZN7rocprim17ROCPRIM_400000_NS6detail17trampoline_kernelINS0_13kernel_configILj256ELj4ELj4294967295EEENS1_37radix_sort_block_sort_config_selectorIiNS0_10empty_typeEEEZNS1_21radix_sort_block_sortIS4_Lb0EPKiPiPS6_SC_NS0_19identity_decomposerEEE10hipError_tT1_T2_T3_T4_jRjT5_jjP12ihipStream_tbEUlT_E_NS1_11comp_targetILNS1_3genE2ELNS1_11target_archE906ELNS1_3gpuE6ELNS1_3repE0EEENS1_44radix_sort_block_sort_config_static_selectorELNS0_4arch9wavefront6targetE0EEEvSF_.numbered_sgpr, 0
	.set _ZN7rocprim17ROCPRIM_400000_NS6detail17trampoline_kernelINS0_13kernel_configILj256ELj4ELj4294967295EEENS1_37radix_sort_block_sort_config_selectorIiNS0_10empty_typeEEEZNS1_21radix_sort_block_sortIS4_Lb0EPKiPiPS6_SC_NS0_19identity_decomposerEEE10hipError_tT1_T2_T3_T4_jRjT5_jjP12ihipStream_tbEUlT_E_NS1_11comp_targetILNS1_3genE2ELNS1_11target_archE906ELNS1_3gpuE6ELNS1_3repE0EEENS1_44radix_sort_block_sort_config_static_selectorELNS0_4arch9wavefront6targetE0EEEvSF_.num_named_barrier, 0
	.set _ZN7rocprim17ROCPRIM_400000_NS6detail17trampoline_kernelINS0_13kernel_configILj256ELj4ELj4294967295EEENS1_37radix_sort_block_sort_config_selectorIiNS0_10empty_typeEEEZNS1_21radix_sort_block_sortIS4_Lb0EPKiPiPS6_SC_NS0_19identity_decomposerEEE10hipError_tT1_T2_T3_T4_jRjT5_jjP12ihipStream_tbEUlT_E_NS1_11comp_targetILNS1_3genE2ELNS1_11target_archE906ELNS1_3gpuE6ELNS1_3repE0EEENS1_44radix_sort_block_sort_config_static_selectorELNS0_4arch9wavefront6targetE0EEEvSF_.private_seg_size, 0
	.set _ZN7rocprim17ROCPRIM_400000_NS6detail17trampoline_kernelINS0_13kernel_configILj256ELj4ELj4294967295EEENS1_37radix_sort_block_sort_config_selectorIiNS0_10empty_typeEEEZNS1_21radix_sort_block_sortIS4_Lb0EPKiPiPS6_SC_NS0_19identity_decomposerEEE10hipError_tT1_T2_T3_T4_jRjT5_jjP12ihipStream_tbEUlT_E_NS1_11comp_targetILNS1_3genE2ELNS1_11target_archE906ELNS1_3gpuE6ELNS1_3repE0EEENS1_44radix_sort_block_sort_config_static_selectorELNS0_4arch9wavefront6targetE0EEEvSF_.uses_vcc, 0
	.set _ZN7rocprim17ROCPRIM_400000_NS6detail17trampoline_kernelINS0_13kernel_configILj256ELj4ELj4294967295EEENS1_37radix_sort_block_sort_config_selectorIiNS0_10empty_typeEEEZNS1_21radix_sort_block_sortIS4_Lb0EPKiPiPS6_SC_NS0_19identity_decomposerEEE10hipError_tT1_T2_T3_T4_jRjT5_jjP12ihipStream_tbEUlT_E_NS1_11comp_targetILNS1_3genE2ELNS1_11target_archE906ELNS1_3gpuE6ELNS1_3repE0EEENS1_44radix_sort_block_sort_config_static_selectorELNS0_4arch9wavefront6targetE0EEEvSF_.uses_flat_scratch, 0
	.set _ZN7rocprim17ROCPRIM_400000_NS6detail17trampoline_kernelINS0_13kernel_configILj256ELj4ELj4294967295EEENS1_37radix_sort_block_sort_config_selectorIiNS0_10empty_typeEEEZNS1_21radix_sort_block_sortIS4_Lb0EPKiPiPS6_SC_NS0_19identity_decomposerEEE10hipError_tT1_T2_T3_T4_jRjT5_jjP12ihipStream_tbEUlT_E_NS1_11comp_targetILNS1_3genE2ELNS1_11target_archE906ELNS1_3gpuE6ELNS1_3repE0EEENS1_44radix_sort_block_sort_config_static_selectorELNS0_4arch9wavefront6targetE0EEEvSF_.has_dyn_sized_stack, 0
	.set _ZN7rocprim17ROCPRIM_400000_NS6detail17trampoline_kernelINS0_13kernel_configILj256ELj4ELj4294967295EEENS1_37radix_sort_block_sort_config_selectorIiNS0_10empty_typeEEEZNS1_21radix_sort_block_sortIS4_Lb0EPKiPiPS6_SC_NS0_19identity_decomposerEEE10hipError_tT1_T2_T3_T4_jRjT5_jjP12ihipStream_tbEUlT_E_NS1_11comp_targetILNS1_3genE2ELNS1_11target_archE906ELNS1_3gpuE6ELNS1_3repE0EEENS1_44radix_sort_block_sort_config_static_selectorELNS0_4arch9wavefront6targetE0EEEvSF_.has_recursion, 0
	.set _ZN7rocprim17ROCPRIM_400000_NS6detail17trampoline_kernelINS0_13kernel_configILj256ELj4ELj4294967295EEENS1_37radix_sort_block_sort_config_selectorIiNS0_10empty_typeEEEZNS1_21radix_sort_block_sortIS4_Lb0EPKiPiPS6_SC_NS0_19identity_decomposerEEE10hipError_tT1_T2_T3_T4_jRjT5_jjP12ihipStream_tbEUlT_E_NS1_11comp_targetILNS1_3genE2ELNS1_11target_archE906ELNS1_3gpuE6ELNS1_3repE0EEENS1_44radix_sort_block_sort_config_static_selectorELNS0_4arch9wavefront6targetE0EEEvSF_.has_indirect_call, 0
	.section	.AMDGPU.csdata,"",@progbits
; Kernel info:
; codeLenInByte = 0
; TotalNumSgprs: 0
; NumVgprs: 0
; ScratchSize: 0
; MemoryBound: 0
; FloatMode: 240
; IeeeMode: 1
; LDSByteSize: 0 bytes/workgroup (compile time only)
; SGPRBlocks: 0
; VGPRBlocks: 0
; NumSGPRsForWavesPerEU: 1
; NumVGPRsForWavesPerEU: 1
; NamedBarCnt: 0
; Occupancy: 16
; WaveLimiterHint : 0
; COMPUTE_PGM_RSRC2:SCRATCH_EN: 0
; COMPUTE_PGM_RSRC2:USER_SGPR: 2
; COMPUTE_PGM_RSRC2:TRAP_HANDLER: 0
; COMPUTE_PGM_RSRC2:TGID_X_EN: 1
; COMPUTE_PGM_RSRC2:TGID_Y_EN: 0
; COMPUTE_PGM_RSRC2:TGID_Z_EN: 0
; COMPUTE_PGM_RSRC2:TIDIG_COMP_CNT: 0
	.section	.text._ZN7rocprim17ROCPRIM_400000_NS6detail17trampoline_kernelINS0_13kernel_configILj256ELj4ELj4294967295EEENS1_37radix_sort_block_sort_config_selectorIiNS0_10empty_typeEEEZNS1_21radix_sort_block_sortIS4_Lb0EPKiPiPS6_SC_NS0_19identity_decomposerEEE10hipError_tT1_T2_T3_T4_jRjT5_jjP12ihipStream_tbEUlT_E_NS1_11comp_targetILNS1_3genE10ELNS1_11target_archE1201ELNS1_3gpuE5ELNS1_3repE0EEENS1_44radix_sort_block_sort_config_static_selectorELNS0_4arch9wavefront6targetE0EEEvSF_,"axG",@progbits,_ZN7rocprim17ROCPRIM_400000_NS6detail17trampoline_kernelINS0_13kernel_configILj256ELj4ELj4294967295EEENS1_37radix_sort_block_sort_config_selectorIiNS0_10empty_typeEEEZNS1_21radix_sort_block_sortIS4_Lb0EPKiPiPS6_SC_NS0_19identity_decomposerEEE10hipError_tT1_T2_T3_T4_jRjT5_jjP12ihipStream_tbEUlT_E_NS1_11comp_targetILNS1_3genE10ELNS1_11target_archE1201ELNS1_3gpuE5ELNS1_3repE0EEENS1_44radix_sort_block_sort_config_static_selectorELNS0_4arch9wavefront6targetE0EEEvSF_,comdat
	.protected	_ZN7rocprim17ROCPRIM_400000_NS6detail17trampoline_kernelINS0_13kernel_configILj256ELj4ELj4294967295EEENS1_37radix_sort_block_sort_config_selectorIiNS0_10empty_typeEEEZNS1_21radix_sort_block_sortIS4_Lb0EPKiPiPS6_SC_NS0_19identity_decomposerEEE10hipError_tT1_T2_T3_T4_jRjT5_jjP12ihipStream_tbEUlT_E_NS1_11comp_targetILNS1_3genE10ELNS1_11target_archE1201ELNS1_3gpuE5ELNS1_3repE0EEENS1_44radix_sort_block_sort_config_static_selectorELNS0_4arch9wavefront6targetE0EEEvSF_ ; -- Begin function _ZN7rocprim17ROCPRIM_400000_NS6detail17trampoline_kernelINS0_13kernel_configILj256ELj4ELj4294967295EEENS1_37radix_sort_block_sort_config_selectorIiNS0_10empty_typeEEEZNS1_21radix_sort_block_sortIS4_Lb0EPKiPiPS6_SC_NS0_19identity_decomposerEEE10hipError_tT1_T2_T3_T4_jRjT5_jjP12ihipStream_tbEUlT_E_NS1_11comp_targetILNS1_3genE10ELNS1_11target_archE1201ELNS1_3gpuE5ELNS1_3repE0EEENS1_44radix_sort_block_sort_config_static_selectorELNS0_4arch9wavefront6targetE0EEEvSF_
	.globl	_ZN7rocprim17ROCPRIM_400000_NS6detail17trampoline_kernelINS0_13kernel_configILj256ELj4ELj4294967295EEENS1_37radix_sort_block_sort_config_selectorIiNS0_10empty_typeEEEZNS1_21radix_sort_block_sortIS4_Lb0EPKiPiPS6_SC_NS0_19identity_decomposerEEE10hipError_tT1_T2_T3_T4_jRjT5_jjP12ihipStream_tbEUlT_E_NS1_11comp_targetILNS1_3genE10ELNS1_11target_archE1201ELNS1_3gpuE5ELNS1_3repE0EEENS1_44radix_sort_block_sort_config_static_selectorELNS0_4arch9wavefront6targetE0EEEvSF_
	.p2align	8
	.type	_ZN7rocprim17ROCPRIM_400000_NS6detail17trampoline_kernelINS0_13kernel_configILj256ELj4ELj4294967295EEENS1_37radix_sort_block_sort_config_selectorIiNS0_10empty_typeEEEZNS1_21radix_sort_block_sortIS4_Lb0EPKiPiPS6_SC_NS0_19identity_decomposerEEE10hipError_tT1_T2_T3_T4_jRjT5_jjP12ihipStream_tbEUlT_E_NS1_11comp_targetILNS1_3genE10ELNS1_11target_archE1201ELNS1_3gpuE5ELNS1_3repE0EEENS1_44radix_sort_block_sort_config_static_selectorELNS0_4arch9wavefront6targetE0EEEvSF_,@function
_ZN7rocprim17ROCPRIM_400000_NS6detail17trampoline_kernelINS0_13kernel_configILj256ELj4ELj4294967295EEENS1_37radix_sort_block_sort_config_selectorIiNS0_10empty_typeEEEZNS1_21radix_sort_block_sortIS4_Lb0EPKiPiPS6_SC_NS0_19identity_decomposerEEE10hipError_tT1_T2_T3_T4_jRjT5_jjP12ihipStream_tbEUlT_E_NS1_11comp_targetILNS1_3genE10ELNS1_11target_archE1201ELNS1_3gpuE5ELNS1_3repE0EEENS1_44radix_sort_block_sort_config_static_selectorELNS0_4arch9wavefront6targetE0EEEvSF_: ; @_ZN7rocprim17ROCPRIM_400000_NS6detail17trampoline_kernelINS0_13kernel_configILj256ELj4ELj4294967295EEENS1_37radix_sort_block_sort_config_selectorIiNS0_10empty_typeEEEZNS1_21radix_sort_block_sortIS4_Lb0EPKiPiPS6_SC_NS0_19identity_decomposerEEE10hipError_tT1_T2_T3_T4_jRjT5_jjP12ihipStream_tbEUlT_E_NS1_11comp_targetILNS1_3genE10ELNS1_11target_archE1201ELNS1_3gpuE5ELNS1_3repE0EEENS1_44radix_sort_block_sort_config_static_selectorELNS0_4arch9wavefront6targetE0EEEvSF_
; %bb.0:
	.section	.rodata,"a",@progbits
	.p2align	6, 0x0
	.amdhsa_kernel _ZN7rocprim17ROCPRIM_400000_NS6detail17trampoline_kernelINS0_13kernel_configILj256ELj4ELj4294967295EEENS1_37radix_sort_block_sort_config_selectorIiNS0_10empty_typeEEEZNS1_21radix_sort_block_sortIS4_Lb0EPKiPiPS6_SC_NS0_19identity_decomposerEEE10hipError_tT1_T2_T3_T4_jRjT5_jjP12ihipStream_tbEUlT_E_NS1_11comp_targetILNS1_3genE10ELNS1_11target_archE1201ELNS1_3gpuE5ELNS1_3repE0EEENS1_44radix_sort_block_sort_config_static_selectorELNS0_4arch9wavefront6targetE0EEEvSF_
		.amdhsa_group_segment_fixed_size 0
		.amdhsa_private_segment_fixed_size 0
		.amdhsa_kernarg_size 48
		.amdhsa_user_sgpr_count 2
		.amdhsa_user_sgpr_dispatch_ptr 0
		.amdhsa_user_sgpr_queue_ptr 0
		.amdhsa_user_sgpr_kernarg_segment_ptr 1
		.amdhsa_user_sgpr_dispatch_id 0
		.amdhsa_user_sgpr_kernarg_preload_length 0
		.amdhsa_user_sgpr_kernarg_preload_offset 0
		.amdhsa_user_sgpr_private_segment_size 0
		.amdhsa_wavefront_size32 1
		.amdhsa_uses_dynamic_stack 0
		.amdhsa_enable_private_segment 0
		.amdhsa_system_sgpr_workgroup_id_x 1
		.amdhsa_system_sgpr_workgroup_id_y 0
		.amdhsa_system_sgpr_workgroup_id_z 0
		.amdhsa_system_sgpr_workgroup_info 0
		.amdhsa_system_vgpr_workitem_id 0
		.amdhsa_next_free_vgpr 1
		.amdhsa_next_free_sgpr 1
		.amdhsa_named_barrier_count 0
		.amdhsa_reserve_vcc 0
		.amdhsa_float_round_mode_32 0
		.amdhsa_float_round_mode_16_64 0
		.amdhsa_float_denorm_mode_32 3
		.amdhsa_float_denorm_mode_16_64 3
		.amdhsa_fp16_overflow 0
		.amdhsa_memory_ordered 1
		.amdhsa_forward_progress 1
		.amdhsa_inst_pref_size 0
		.amdhsa_round_robin_scheduling 0
		.amdhsa_exception_fp_ieee_invalid_op 0
		.amdhsa_exception_fp_denorm_src 0
		.amdhsa_exception_fp_ieee_div_zero 0
		.amdhsa_exception_fp_ieee_overflow 0
		.amdhsa_exception_fp_ieee_underflow 0
		.amdhsa_exception_fp_ieee_inexact 0
		.amdhsa_exception_int_div_zero 0
	.end_amdhsa_kernel
	.section	.text._ZN7rocprim17ROCPRIM_400000_NS6detail17trampoline_kernelINS0_13kernel_configILj256ELj4ELj4294967295EEENS1_37radix_sort_block_sort_config_selectorIiNS0_10empty_typeEEEZNS1_21radix_sort_block_sortIS4_Lb0EPKiPiPS6_SC_NS0_19identity_decomposerEEE10hipError_tT1_T2_T3_T4_jRjT5_jjP12ihipStream_tbEUlT_E_NS1_11comp_targetILNS1_3genE10ELNS1_11target_archE1201ELNS1_3gpuE5ELNS1_3repE0EEENS1_44radix_sort_block_sort_config_static_selectorELNS0_4arch9wavefront6targetE0EEEvSF_,"axG",@progbits,_ZN7rocprim17ROCPRIM_400000_NS6detail17trampoline_kernelINS0_13kernel_configILj256ELj4ELj4294967295EEENS1_37radix_sort_block_sort_config_selectorIiNS0_10empty_typeEEEZNS1_21radix_sort_block_sortIS4_Lb0EPKiPiPS6_SC_NS0_19identity_decomposerEEE10hipError_tT1_T2_T3_T4_jRjT5_jjP12ihipStream_tbEUlT_E_NS1_11comp_targetILNS1_3genE10ELNS1_11target_archE1201ELNS1_3gpuE5ELNS1_3repE0EEENS1_44radix_sort_block_sort_config_static_selectorELNS0_4arch9wavefront6targetE0EEEvSF_,comdat
.Lfunc_end890:
	.size	_ZN7rocprim17ROCPRIM_400000_NS6detail17trampoline_kernelINS0_13kernel_configILj256ELj4ELj4294967295EEENS1_37radix_sort_block_sort_config_selectorIiNS0_10empty_typeEEEZNS1_21radix_sort_block_sortIS4_Lb0EPKiPiPS6_SC_NS0_19identity_decomposerEEE10hipError_tT1_T2_T3_T4_jRjT5_jjP12ihipStream_tbEUlT_E_NS1_11comp_targetILNS1_3genE10ELNS1_11target_archE1201ELNS1_3gpuE5ELNS1_3repE0EEENS1_44radix_sort_block_sort_config_static_selectorELNS0_4arch9wavefront6targetE0EEEvSF_, .Lfunc_end890-_ZN7rocprim17ROCPRIM_400000_NS6detail17trampoline_kernelINS0_13kernel_configILj256ELj4ELj4294967295EEENS1_37radix_sort_block_sort_config_selectorIiNS0_10empty_typeEEEZNS1_21radix_sort_block_sortIS4_Lb0EPKiPiPS6_SC_NS0_19identity_decomposerEEE10hipError_tT1_T2_T3_T4_jRjT5_jjP12ihipStream_tbEUlT_E_NS1_11comp_targetILNS1_3genE10ELNS1_11target_archE1201ELNS1_3gpuE5ELNS1_3repE0EEENS1_44radix_sort_block_sort_config_static_selectorELNS0_4arch9wavefront6targetE0EEEvSF_
                                        ; -- End function
	.set _ZN7rocprim17ROCPRIM_400000_NS6detail17trampoline_kernelINS0_13kernel_configILj256ELj4ELj4294967295EEENS1_37radix_sort_block_sort_config_selectorIiNS0_10empty_typeEEEZNS1_21radix_sort_block_sortIS4_Lb0EPKiPiPS6_SC_NS0_19identity_decomposerEEE10hipError_tT1_T2_T3_T4_jRjT5_jjP12ihipStream_tbEUlT_E_NS1_11comp_targetILNS1_3genE10ELNS1_11target_archE1201ELNS1_3gpuE5ELNS1_3repE0EEENS1_44radix_sort_block_sort_config_static_selectorELNS0_4arch9wavefront6targetE0EEEvSF_.num_vgpr, 0
	.set _ZN7rocprim17ROCPRIM_400000_NS6detail17trampoline_kernelINS0_13kernel_configILj256ELj4ELj4294967295EEENS1_37radix_sort_block_sort_config_selectorIiNS0_10empty_typeEEEZNS1_21radix_sort_block_sortIS4_Lb0EPKiPiPS6_SC_NS0_19identity_decomposerEEE10hipError_tT1_T2_T3_T4_jRjT5_jjP12ihipStream_tbEUlT_E_NS1_11comp_targetILNS1_3genE10ELNS1_11target_archE1201ELNS1_3gpuE5ELNS1_3repE0EEENS1_44radix_sort_block_sort_config_static_selectorELNS0_4arch9wavefront6targetE0EEEvSF_.num_agpr, 0
	.set _ZN7rocprim17ROCPRIM_400000_NS6detail17trampoline_kernelINS0_13kernel_configILj256ELj4ELj4294967295EEENS1_37radix_sort_block_sort_config_selectorIiNS0_10empty_typeEEEZNS1_21radix_sort_block_sortIS4_Lb0EPKiPiPS6_SC_NS0_19identity_decomposerEEE10hipError_tT1_T2_T3_T4_jRjT5_jjP12ihipStream_tbEUlT_E_NS1_11comp_targetILNS1_3genE10ELNS1_11target_archE1201ELNS1_3gpuE5ELNS1_3repE0EEENS1_44radix_sort_block_sort_config_static_selectorELNS0_4arch9wavefront6targetE0EEEvSF_.numbered_sgpr, 0
	.set _ZN7rocprim17ROCPRIM_400000_NS6detail17trampoline_kernelINS0_13kernel_configILj256ELj4ELj4294967295EEENS1_37radix_sort_block_sort_config_selectorIiNS0_10empty_typeEEEZNS1_21radix_sort_block_sortIS4_Lb0EPKiPiPS6_SC_NS0_19identity_decomposerEEE10hipError_tT1_T2_T3_T4_jRjT5_jjP12ihipStream_tbEUlT_E_NS1_11comp_targetILNS1_3genE10ELNS1_11target_archE1201ELNS1_3gpuE5ELNS1_3repE0EEENS1_44radix_sort_block_sort_config_static_selectorELNS0_4arch9wavefront6targetE0EEEvSF_.num_named_barrier, 0
	.set _ZN7rocprim17ROCPRIM_400000_NS6detail17trampoline_kernelINS0_13kernel_configILj256ELj4ELj4294967295EEENS1_37radix_sort_block_sort_config_selectorIiNS0_10empty_typeEEEZNS1_21radix_sort_block_sortIS4_Lb0EPKiPiPS6_SC_NS0_19identity_decomposerEEE10hipError_tT1_T2_T3_T4_jRjT5_jjP12ihipStream_tbEUlT_E_NS1_11comp_targetILNS1_3genE10ELNS1_11target_archE1201ELNS1_3gpuE5ELNS1_3repE0EEENS1_44radix_sort_block_sort_config_static_selectorELNS0_4arch9wavefront6targetE0EEEvSF_.private_seg_size, 0
	.set _ZN7rocprim17ROCPRIM_400000_NS6detail17trampoline_kernelINS0_13kernel_configILj256ELj4ELj4294967295EEENS1_37radix_sort_block_sort_config_selectorIiNS0_10empty_typeEEEZNS1_21radix_sort_block_sortIS4_Lb0EPKiPiPS6_SC_NS0_19identity_decomposerEEE10hipError_tT1_T2_T3_T4_jRjT5_jjP12ihipStream_tbEUlT_E_NS1_11comp_targetILNS1_3genE10ELNS1_11target_archE1201ELNS1_3gpuE5ELNS1_3repE0EEENS1_44radix_sort_block_sort_config_static_selectorELNS0_4arch9wavefront6targetE0EEEvSF_.uses_vcc, 0
	.set _ZN7rocprim17ROCPRIM_400000_NS6detail17trampoline_kernelINS0_13kernel_configILj256ELj4ELj4294967295EEENS1_37radix_sort_block_sort_config_selectorIiNS0_10empty_typeEEEZNS1_21radix_sort_block_sortIS4_Lb0EPKiPiPS6_SC_NS0_19identity_decomposerEEE10hipError_tT1_T2_T3_T4_jRjT5_jjP12ihipStream_tbEUlT_E_NS1_11comp_targetILNS1_3genE10ELNS1_11target_archE1201ELNS1_3gpuE5ELNS1_3repE0EEENS1_44radix_sort_block_sort_config_static_selectorELNS0_4arch9wavefront6targetE0EEEvSF_.uses_flat_scratch, 0
	.set _ZN7rocprim17ROCPRIM_400000_NS6detail17trampoline_kernelINS0_13kernel_configILj256ELj4ELj4294967295EEENS1_37radix_sort_block_sort_config_selectorIiNS0_10empty_typeEEEZNS1_21radix_sort_block_sortIS4_Lb0EPKiPiPS6_SC_NS0_19identity_decomposerEEE10hipError_tT1_T2_T3_T4_jRjT5_jjP12ihipStream_tbEUlT_E_NS1_11comp_targetILNS1_3genE10ELNS1_11target_archE1201ELNS1_3gpuE5ELNS1_3repE0EEENS1_44radix_sort_block_sort_config_static_selectorELNS0_4arch9wavefront6targetE0EEEvSF_.has_dyn_sized_stack, 0
	.set _ZN7rocprim17ROCPRIM_400000_NS6detail17trampoline_kernelINS0_13kernel_configILj256ELj4ELj4294967295EEENS1_37radix_sort_block_sort_config_selectorIiNS0_10empty_typeEEEZNS1_21radix_sort_block_sortIS4_Lb0EPKiPiPS6_SC_NS0_19identity_decomposerEEE10hipError_tT1_T2_T3_T4_jRjT5_jjP12ihipStream_tbEUlT_E_NS1_11comp_targetILNS1_3genE10ELNS1_11target_archE1201ELNS1_3gpuE5ELNS1_3repE0EEENS1_44radix_sort_block_sort_config_static_selectorELNS0_4arch9wavefront6targetE0EEEvSF_.has_recursion, 0
	.set _ZN7rocprim17ROCPRIM_400000_NS6detail17trampoline_kernelINS0_13kernel_configILj256ELj4ELj4294967295EEENS1_37radix_sort_block_sort_config_selectorIiNS0_10empty_typeEEEZNS1_21radix_sort_block_sortIS4_Lb0EPKiPiPS6_SC_NS0_19identity_decomposerEEE10hipError_tT1_T2_T3_T4_jRjT5_jjP12ihipStream_tbEUlT_E_NS1_11comp_targetILNS1_3genE10ELNS1_11target_archE1201ELNS1_3gpuE5ELNS1_3repE0EEENS1_44radix_sort_block_sort_config_static_selectorELNS0_4arch9wavefront6targetE0EEEvSF_.has_indirect_call, 0
	.section	.AMDGPU.csdata,"",@progbits
; Kernel info:
; codeLenInByte = 0
; TotalNumSgprs: 0
; NumVgprs: 0
; ScratchSize: 0
; MemoryBound: 0
; FloatMode: 240
; IeeeMode: 1
; LDSByteSize: 0 bytes/workgroup (compile time only)
; SGPRBlocks: 0
; VGPRBlocks: 0
; NumSGPRsForWavesPerEU: 1
; NumVGPRsForWavesPerEU: 1
; NamedBarCnt: 0
; Occupancy: 16
; WaveLimiterHint : 0
; COMPUTE_PGM_RSRC2:SCRATCH_EN: 0
; COMPUTE_PGM_RSRC2:USER_SGPR: 2
; COMPUTE_PGM_RSRC2:TRAP_HANDLER: 0
; COMPUTE_PGM_RSRC2:TGID_X_EN: 1
; COMPUTE_PGM_RSRC2:TGID_Y_EN: 0
; COMPUTE_PGM_RSRC2:TGID_Z_EN: 0
; COMPUTE_PGM_RSRC2:TIDIG_COMP_CNT: 0
	.section	.text._ZN7rocprim17ROCPRIM_400000_NS6detail17trampoline_kernelINS0_13kernel_configILj256ELj4ELj4294967295EEENS1_37radix_sort_block_sort_config_selectorIiNS0_10empty_typeEEEZNS1_21radix_sort_block_sortIS4_Lb0EPKiPiPS6_SC_NS0_19identity_decomposerEEE10hipError_tT1_T2_T3_T4_jRjT5_jjP12ihipStream_tbEUlT_E_NS1_11comp_targetILNS1_3genE10ELNS1_11target_archE1200ELNS1_3gpuE4ELNS1_3repE0EEENS1_44radix_sort_block_sort_config_static_selectorELNS0_4arch9wavefront6targetE0EEEvSF_,"axG",@progbits,_ZN7rocprim17ROCPRIM_400000_NS6detail17trampoline_kernelINS0_13kernel_configILj256ELj4ELj4294967295EEENS1_37radix_sort_block_sort_config_selectorIiNS0_10empty_typeEEEZNS1_21radix_sort_block_sortIS4_Lb0EPKiPiPS6_SC_NS0_19identity_decomposerEEE10hipError_tT1_T2_T3_T4_jRjT5_jjP12ihipStream_tbEUlT_E_NS1_11comp_targetILNS1_3genE10ELNS1_11target_archE1200ELNS1_3gpuE4ELNS1_3repE0EEENS1_44radix_sort_block_sort_config_static_selectorELNS0_4arch9wavefront6targetE0EEEvSF_,comdat
	.protected	_ZN7rocprim17ROCPRIM_400000_NS6detail17trampoline_kernelINS0_13kernel_configILj256ELj4ELj4294967295EEENS1_37radix_sort_block_sort_config_selectorIiNS0_10empty_typeEEEZNS1_21radix_sort_block_sortIS4_Lb0EPKiPiPS6_SC_NS0_19identity_decomposerEEE10hipError_tT1_T2_T3_T4_jRjT5_jjP12ihipStream_tbEUlT_E_NS1_11comp_targetILNS1_3genE10ELNS1_11target_archE1200ELNS1_3gpuE4ELNS1_3repE0EEENS1_44radix_sort_block_sort_config_static_selectorELNS0_4arch9wavefront6targetE0EEEvSF_ ; -- Begin function _ZN7rocprim17ROCPRIM_400000_NS6detail17trampoline_kernelINS0_13kernel_configILj256ELj4ELj4294967295EEENS1_37radix_sort_block_sort_config_selectorIiNS0_10empty_typeEEEZNS1_21radix_sort_block_sortIS4_Lb0EPKiPiPS6_SC_NS0_19identity_decomposerEEE10hipError_tT1_T2_T3_T4_jRjT5_jjP12ihipStream_tbEUlT_E_NS1_11comp_targetILNS1_3genE10ELNS1_11target_archE1200ELNS1_3gpuE4ELNS1_3repE0EEENS1_44radix_sort_block_sort_config_static_selectorELNS0_4arch9wavefront6targetE0EEEvSF_
	.globl	_ZN7rocprim17ROCPRIM_400000_NS6detail17trampoline_kernelINS0_13kernel_configILj256ELj4ELj4294967295EEENS1_37radix_sort_block_sort_config_selectorIiNS0_10empty_typeEEEZNS1_21radix_sort_block_sortIS4_Lb0EPKiPiPS6_SC_NS0_19identity_decomposerEEE10hipError_tT1_T2_T3_T4_jRjT5_jjP12ihipStream_tbEUlT_E_NS1_11comp_targetILNS1_3genE10ELNS1_11target_archE1200ELNS1_3gpuE4ELNS1_3repE0EEENS1_44radix_sort_block_sort_config_static_selectorELNS0_4arch9wavefront6targetE0EEEvSF_
	.p2align	8
	.type	_ZN7rocprim17ROCPRIM_400000_NS6detail17trampoline_kernelINS0_13kernel_configILj256ELj4ELj4294967295EEENS1_37radix_sort_block_sort_config_selectorIiNS0_10empty_typeEEEZNS1_21radix_sort_block_sortIS4_Lb0EPKiPiPS6_SC_NS0_19identity_decomposerEEE10hipError_tT1_T2_T3_T4_jRjT5_jjP12ihipStream_tbEUlT_E_NS1_11comp_targetILNS1_3genE10ELNS1_11target_archE1200ELNS1_3gpuE4ELNS1_3repE0EEENS1_44radix_sort_block_sort_config_static_selectorELNS0_4arch9wavefront6targetE0EEEvSF_,@function
_ZN7rocprim17ROCPRIM_400000_NS6detail17trampoline_kernelINS0_13kernel_configILj256ELj4ELj4294967295EEENS1_37radix_sort_block_sort_config_selectorIiNS0_10empty_typeEEEZNS1_21radix_sort_block_sortIS4_Lb0EPKiPiPS6_SC_NS0_19identity_decomposerEEE10hipError_tT1_T2_T3_T4_jRjT5_jjP12ihipStream_tbEUlT_E_NS1_11comp_targetILNS1_3genE10ELNS1_11target_archE1200ELNS1_3gpuE4ELNS1_3repE0EEENS1_44radix_sort_block_sort_config_static_selectorELNS0_4arch9wavefront6targetE0EEEvSF_: ; @_ZN7rocprim17ROCPRIM_400000_NS6detail17trampoline_kernelINS0_13kernel_configILj256ELj4ELj4294967295EEENS1_37radix_sort_block_sort_config_selectorIiNS0_10empty_typeEEEZNS1_21radix_sort_block_sortIS4_Lb0EPKiPiPS6_SC_NS0_19identity_decomposerEEE10hipError_tT1_T2_T3_T4_jRjT5_jjP12ihipStream_tbEUlT_E_NS1_11comp_targetILNS1_3genE10ELNS1_11target_archE1200ELNS1_3gpuE4ELNS1_3repE0EEENS1_44radix_sort_block_sort_config_static_selectorELNS0_4arch9wavefront6targetE0EEEvSF_
; %bb.0:
	.section	.rodata,"a",@progbits
	.p2align	6, 0x0
	.amdhsa_kernel _ZN7rocprim17ROCPRIM_400000_NS6detail17trampoline_kernelINS0_13kernel_configILj256ELj4ELj4294967295EEENS1_37radix_sort_block_sort_config_selectorIiNS0_10empty_typeEEEZNS1_21radix_sort_block_sortIS4_Lb0EPKiPiPS6_SC_NS0_19identity_decomposerEEE10hipError_tT1_T2_T3_T4_jRjT5_jjP12ihipStream_tbEUlT_E_NS1_11comp_targetILNS1_3genE10ELNS1_11target_archE1200ELNS1_3gpuE4ELNS1_3repE0EEENS1_44radix_sort_block_sort_config_static_selectorELNS0_4arch9wavefront6targetE0EEEvSF_
		.amdhsa_group_segment_fixed_size 0
		.amdhsa_private_segment_fixed_size 0
		.amdhsa_kernarg_size 48
		.amdhsa_user_sgpr_count 2
		.amdhsa_user_sgpr_dispatch_ptr 0
		.amdhsa_user_sgpr_queue_ptr 0
		.amdhsa_user_sgpr_kernarg_segment_ptr 1
		.amdhsa_user_sgpr_dispatch_id 0
		.amdhsa_user_sgpr_kernarg_preload_length 0
		.amdhsa_user_sgpr_kernarg_preload_offset 0
		.amdhsa_user_sgpr_private_segment_size 0
		.amdhsa_wavefront_size32 1
		.amdhsa_uses_dynamic_stack 0
		.amdhsa_enable_private_segment 0
		.amdhsa_system_sgpr_workgroup_id_x 1
		.amdhsa_system_sgpr_workgroup_id_y 0
		.amdhsa_system_sgpr_workgroup_id_z 0
		.amdhsa_system_sgpr_workgroup_info 0
		.amdhsa_system_vgpr_workitem_id 0
		.amdhsa_next_free_vgpr 1
		.amdhsa_next_free_sgpr 1
		.amdhsa_named_barrier_count 0
		.amdhsa_reserve_vcc 0
		.amdhsa_float_round_mode_32 0
		.amdhsa_float_round_mode_16_64 0
		.amdhsa_float_denorm_mode_32 3
		.amdhsa_float_denorm_mode_16_64 3
		.amdhsa_fp16_overflow 0
		.amdhsa_memory_ordered 1
		.amdhsa_forward_progress 1
		.amdhsa_inst_pref_size 0
		.amdhsa_round_robin_scheduling 0
		.amdhsa_exception_fp_ieee_invalid_op 0
		.amdhsa_exception_fp_denorm_src 0
		.amdhsa_exception_fp_ieee_div_zero 0
		.amdhsa_exception_fp_ieee_overflow 0
		.amdhsa_exception_fp_ieee_underflow 0
		.amdhsa_exception_fp_ieee_inexact 0
		.amdhsa_exception_int_div_zero 0
	.end_amdhsa_kernel
	.section	.text._ZN7rocprim17ROCPRIM_400000_NS6detail17trampoline_kernelINS0_13kernel_configILj256ELj4ELj4294967295EEENS1_37radix_sort_block_sort_config_selectorIiNS0_10empty_typeEEEZNS1_21radix_sort_block_sortIS4_Lb0EPKiPiPS6_SC_NS0_19identity_decomposerEEE10hipError_tT1_T2_T3_T4_jRjT5_jjP12ihipStream_tbEUlT_E_NS1_11comp_targetILNS1_3genE10ELNS1_11target_archE1200ELNS1_3gpuE4ELNS1_3repE0EEENS1_44radix_sort_block_sort_config_static_selectorELNS0_4arch9wavefront6targetE0EEEvSF_,"axG",@progbits,_ZN7rocprim17ROCPRIM_400000_NS6detail17trampoline_kernelINS0_13kernel_configILj256ELj4ELj4294967295EEENS1_37radix_sort_block_sort_config_selectorIiNS0_10empty_typeEEEZNS1_21radix_sort_block_sortIS4_Lb0EPKiPiPS6_SC_NS0_19identity_decomposerEEE10hipError_tT1_T2_T3_T4_jRjT5_jjP12ihipStream_tbEUlT_E_NS1_11comp_targetILNS1_3genE10ELNS1_11target_archE1200ELNS1_3gpuE4ELNS1_3repE0EEENS1_44radix_sort_block_sort_config_static_selectorELNS0_4arch9wavefront6targetE0EEEvSF_,comdat
.Lfunc_end891:
	.size	_ZN7rocprim17ROCPRIM_400000_NS6detail17trampoline_kernelINS0_13kernel_configILj256ELj4ELj4294967295EEENS1_37radix_sort_block_sort_config_selectorIiNS0_10empty_typeEEEZNS1_21radix_sort_block_sortIS4_Lb0EPKiPiPS6_SC_NS0_19identity_decomposerEEE10hipError_tT1_T2_T3_T4_jRjT5_jjP12ihipStream_tbEUlT_E_NS1_11comp_targetILNS1_3genE10ELNS1_11target_archE1200ELNS1_3gpuE4ELNS1_3repE0EEENS1_44radix_sort_block_sort_config_static_selectorELNS0_4arch9wavefront6targetE0EEEvSF_, .Lfunc_end891-_ZN7rocprim17ROCPRIM_400000_NS6detail17trampoline_kernelINS0_13kernel_configILj256ELj4ELj4294967295EEENS1_37radix_sort_block_sort_config_selectorIiNS0_10empty_typeEEEZNS1_21radix_sort_block_sortIS4_Lb0EPKiPiPS6_SC_NS0_19identity_decomposerEEE10hipError_tT1_T2_T3_T4_jRjT5_jjP12ihipStream_tbEUlT_E_NS1_11comp_targetILNS1_3genE10ELNS1_11target_archE1200ELNS1_3gpuE4ELNS1_3repE0EEENS1_44radix_sort_block_sort_config_static_selectorELNS0_4arch9wavefront6targetE0EEEvSF_
                                        ; -- End function
	.set _ZN7rocprim17ROCPRIM_400000_NS6detail17trampoline_kernelINS0_13kernel_configILj256ELj4ELj4294967295EEENS1_37radix_sort_block_sort_config_selectorIiNS0_10empty_typeEEEZNS1_21radix_sort_block_sortIS4_Lb0EPKiPiPS6_SC_NS0_19identity_decomposerEEE10hipError_tT1_T2_T3_T4_jRjT5_jjP12ihipStream_tbEUlT_E_NS1_11comp_targetILNS1_3genE10ELNS1_11target_archE1200ELNS1_3gpuE4ELNS1_3repE0EEENS1_44radix_sort_block_sort_config_static_selectorELNS0_4arch9wavefront6targetE0EEEvSF_.num_vgpr, 0
	.set _ZN7rocprim17ROCPRIM_400000_NS6detail17trampoline_kernelINS0_13kernel_configILj256ELj4ELj4294967295EEENS1_37radix_sort_block_sort_config_selectorIiNS0_10empty_typeEEEZNS1_21radix_sort_block_sortIS4_Lb0EPKiPiPS6_SC_NS0_19identity_decomposerEEE10hipError_tT1_T2_T3_T4_jRjT5_jjP12ihipStream_tbEUlT_E_NS1_11comp_targetILNS1_3genE10ELNS1_11target_archE1200ELNS1_3gpuE4ELNS1_3repE0EEENS1_44radix_sort_block_sort_config_static_selectorELNS0_4arch9wavefront6targetE0EEEvSF_.num_agpr, 0
	.set _ZN7rocprim17ROCPRIM_400000_NS6detail17trampoline_kernelINS0_13kernel_configILj256ELj4ELj4294967295EEENS1_37radix_sort_block_sort_config_selectorIiNS0_10empty_typeEEEZNS1_21radix_sort_block_sortIS4_Lb0EPKiPiPS6_SC_NS0_19identity_decomposerEEE10hipError_tT1_T2_T3_T4_jRjT5_jjP12ihipStream_tbEUlT_E_NS1_11comp_targetILNS1_3genE10ELNS1_11target_archE1200ELNS1_3gpuE4ELNS1_3repE0EEENS1_44radix_sort_block_sort_config_static_selectorELNS0_4arch9wavefront6targetE0EEEvSF_.numbered_sgpr, 0
	.set _ZN7rocprim17ROCPRIM_400000_NS6detail17trampoline_kernelINS0_13kernel_configILj256ELj4ELj4294967295EEENS1_37radix_sort_block_sort_config_selectorIiNS0_10empty_typeEEEZNS1_21radix_sort_block_sortIS4_Lb0EPKiPiPS6_SC_NS0_19identity_decomposerEEE10hipError_tT1_T2_T3_T4_jRjT5_jjP12ihipStream_tbEUlT_E_NS1_11comp_targetILNS1_3genE10ELNS1_11target_archE1200ELNS1_3gpuE4ELNS1_3repE0EEENS1_44radix_sort_block_sort_config_static_selectorELNS0_4arch9wavefront6targetE0EEEvSF_.num_named_barrier, 0
	.set _ZN7rocprim17ROCPRIM_400000_NS6detail17trampoline_kernelINS0_13kernel_configILj256ELj4ELj4294967295EEENS1_37radix_sort_block_sort_config_selectorIiNS0_10empty_typeEEEZNS1_21radix_sort_block_sortIS4_Lb0EPKiPiPS6_SC_NS0_19identity_decomposerEEE10hipError_tT1_T2_T3_T4_jRjT5_jjP12ihipStream_tbEUlT_E_NS1_11comp_targetILNS1_3genE10ELNS1_11target_archE1200ELNS1_3gpuE4ELNS1_3repE0EEENS1_44radix_sort_block_sort_config_static_selectorELNS0_4arch9wavefront6targetE0EEEvSF_.private_seg_size, 0
	.set _ZN7rocprim17ROCPRIM_400000_NS6detail17trampoline_kernelINS0_13kernel_configILj256ELj4ELj4294967295EEENS1_37radix_sort_block_sort_config_selectorIiNS0_10empty_typeEEEZNS1_21radix_sort_block_sortIS4_Lb0EPKiPiPS6_SC_NS0_19identity_decomposerEEE10hipError_tT1_T2_T3_T4_jRjT5_jjP12ihipStream_tbEUlT_E_NS1_11comp_targetILNS1_3genE10ELNS1_11target_archE1200ELNS1_3gpuE4ELNS1_3repE0EEENS1_44radix_sort_block_sort_config_static_selectorELNS0_4arch9wavefront6targetE0EEEvSF_.uses_vcc, 0
	.set _ZN7rocprim17ROCPRIM_400000_NS6detail17trampoline_kernelINS0_13kernel_configILj256ELj4ELj4294967295EEENS1_37radix_sort_block_sort_config_selectorIiNS0_10empty_typeEEEZNS1_21radix_sort_block_sortIS4_Lb0EPKiPiPS6_SC_NS0_19identity_decomposerEEE10hipError_tT1_T2_T3_T4_jRjT5_jjP12ihipStream_tbEUlT_E_NS1_11comp_targetILNS1_3genE10ELNS1_11target_archE1200ELNS1_3gpuE4ELNS1_3repE0EEENS1_44radix_sort_block_sort_config_static_selectorELNS0_4arch9wavefront6targetE0EEEvSF_.uses_flat_scratch, 0
	.set _ZN7rocprim17ROCPRIM_400000_NS6detail17trampoline_kernelINS0_13kernel_configILj256ELj4ELj4294967295EEENS1_37radix_sort_block_sort_config_selectorIiNS0_10empty_typeEEEZNS1_21radix_sort_block_sortIS4_Lb0EPKiPiPS6_SC_NS0_19identity_decomposerEEE10hipError_tT1_T2_T3_T4_jRjT5_jjP12ihipStream_tbEUlT_E_NS1_11comp_targetILNS1_3genE10ELNS1_11target_archE1200ELNS1_3gpuE4ELNS1_3repE0EEENS1_44radix_sort_block_sort_config_static_selectorELNS0_4arch9wavefront6targetE0EEEvSF_.has_dyn_sized_stack, 0
	.set _ZN7rocprim17ROCPRIM_400000_NS6detail17trampoline_kernelINS0_13kernel_configILj256ELj4ELj4294967295EEENS1_37radix_sort_block_sort_config_selectorIiNS0_10empty_typeEEEZNS1_21radix_sort_block_sortIS4_Lb0EPKiPiPS6_SC_NS0_19identity_decomposerEEE10hipError_tT1_T2_T3_T4_jRjT5_jjP12ihipStream_tbEUlT_E_NS1_11comp_targetILNS1_3genE10ELNS1_11target_archE1200ELNS1_3gpuE4ELNS1_3repE0EEENS1_44radix_sort_block_sort_config_static_selectorELNS0_4arch9wavefront6targetE0EEEvSF_.has_recursion, 0
	.set _ZN7rocprim17ROCPRIM_400000_NS6detail17trampoline_kernelINS0_13kernel_configILj256ELj4ELj4294967295EEENS1_37radix_sort_block_sort_config_selectorIiNS0_10empty_typeEEEZNS1_21radix_sort_block_sortIS4_Lb0EPKiPiPS6_SC_NS0_19identity_decomposerEEE10hipError_tT1_T2_T3_T4_jRjT5_jjP12ihipStream_tbEUlT_E_NS1_11comp_targetILNS1_3genE10ELNS1_11target_archE1200ELNS1_3gpuE4ELNS1_3repE0EEENS1_44radix_sort_block_sort_config_static_selectorELNS0_4arch9wavefront6targetE0EEEvSF_.has_indirect_call, 0
	.section	.AMDGPU.csdata,"",@progbits
; Kernel info:
; codeLenInByte = 0
; TotalNumSgprs: 0
; NumVgprs: 0
; ScratchSize: 0
; MemoryBound: 0
; FloatMode: 240
; IeeeMode: 1
; LDSByteSize: 0 bytes/workgroup (compile time only)
; SGPRBlocks: 0
; VGPRBlocks: 0
; NumSGPRsForWavesPerEU: 1
; NumVGPRsForWavesPerEU: 1
; NamedBarCnt: 0
; Occupancy: 16
; WaveLimiterHint : 0
; COMPUTE_PGM_RSRC2:SCRATCH_EN: 0
; COMPUTE_PGM_RSRC2:USER_SGPR: 2
; COMPUTE_PGM_RSRC2:TRAP_HANDLER: 0
; COMPUTE_PGM_RSRC2:TGID_X_EN: 1
; COMPUTE_PGM_RSRC2:TGID_Y_EN: 0
; COMPUTE_PGM_RSRC2:TGID_Z_EN: 0
; COMPUTE_PGM_RSRC2:TIDIG_COMP_CNT: 0
	.section	.text._ZN7rocprim17ROCPRIM_400000_NS6detail17trampoline_kernelINS0_13kernel_configILj256ELj4ELj4294967295EEENS1_37radix_sort_block_sort_config_selectorIiNS0_10empty_typeEEEZNS1_21radix_sort_block_sortIS4_Lb0EPKiPiPS6_SC_NS0_19identity_decomposerEEE10hipError_tT1_T2_T3_T4_jRjT5_jjP12ihipStream_tbEUlT_E_NS1_11comp_targetILNS1_3genE9ELNS1_11target_archE1100ELNS1_3gpuE3ELNS1_3repE0EEENS1_44radix_sort_block_sort_config_static_selectorELNS0_4arch9wavefront6targetE0EEEvSF_,"axG",@progbits,_ZN7rocprim17ROCPRIM_400000_NS6detail17trampoline_kernelINS0_13kernel_configILj256ELj4ELj4294967295EEENS1_37radix_sort_block_sort_config_selectorIiNS0_10empty_typeEEEZNS1_21radix_sort_block_sortIS4_Lb0EPKiPiPS6_SC_NS0_19identity_decomposerEEE10hipError_tT1_T2_T3_T4_jRjT5_jjP12ihipStream_tbEUlT_E_NS1_11comp_targetILNS1_3genE9ELNS1_11target_archE1100ELNS1_3gpuE3ELNS1_3repE0EEENS1_44radix_sort_block_sort_config_static_selectorELNS0_4arch9wavefront6targetE0EEEvSF_,comdat
	.protected	_ZN7rocprim17ROCPRIM_400000_NS6detail17trampoline_kernelINS0_13kernel_configILj256ELj4ELj4294967295EEENS1_37radix_sort_block_sort_config_selectorIiNS0_10empty_typeEEEZNS1_21radix_sort_block_sortIS4_Lb0EPKiPiPS6_SC_NS0_19identity_decomposerEEE10hipError_tT1_T2_T3_T4_jRjT5_jjP12ihipStream_tbEUlT_E_NS1_11comp_targetILNS1_3genE9ELNS1_11target_archE1100ELNS1_3gpuE3ELNS1_3repE0EEENS1_44radix_sort_block_sort_config_static_selectorELNS0_4arch9wavefront6targetE0EEEvSF_ ; -- Begin function _ZN7rocprim17ROCPRIM_400000_NS6detail17trampoline_kernelINS0_13kernel_configILj256ELj4ELj4294967295EEENS1_37radix_sort_block_sort_config_selectorIiNS0_10empty_typeEEEZNS1_21radix_sort_block_sortIS4_Lb0EPKiPiPS6_SC_NS0_19identity_decomposerEEE10hipError_tT1_T2_T3_T4_jRjT5_jjP12ihipStream_tbEUlT_E_NS1_11comp_targetILNS1_3genE9ELNS1_11target_archE1100ELNS1_3gpuE3ELNS1_3repE0EEENS1_44radix_sort_block_sort_config_static_selectorELNS0_4arch9wavefront6targetE0EEEvSF_
	.globl	_ZN7rocprim17ROCPRIM_400000_NS6detail17trampoline_kernelINS0_13kernel_configILj256ELj4ELj4294967295EEENS1_37radix_sort_block_sort_config_selectorIiNS0_10empty_typeEEEZNS1_21radix_sort_block_sortIS4_Lb0EPKiPiPS6_SC_NS0_19identity_decomposerEEE10hipError_tT1_T2_T3_T4_jRjT5_jjP12ihipStream_tbEUlT_E_NS1_11comp_targetILNS1_3genE9ELNS1_11target_archE1100ELNS1_3gpuE3ELNS1_3repE0EEENS1_44radix_sort_block_sort_config_static_selectorELNS0_4arch9wavefront6targetE0EEEvSF_
	.p2align	8
	.type	_ZN7rocprim17ROCPRIM_400000_NS6detail17trampoline_kernelINS0_13kernel_configILj256ELj4ELj4294967295EEENS1_37radix_sort_block_sort_config_selectorIiNS0_10empty_typeEEEZNS1_21radix_sort_block_sortIS4_Lb0EPKiPiPS6_SC_NS0_19identity_decomposerEEE10hipError_tT1_T2_T3_T4_jRjT5_jjP12ihipStream_tbEUlT_E_NS1_11comp_targetILNS1_3genE9ELNS1_11target_archE1100ELNS1_3gpuE3ELNS1_3repE0EEENS1_44radix_sort_block_sort_config_static_selectorELNS0_4arch9wavefront6targetE0EEEvSF_,@function
_ZN7rocprim17ROCPRIM_400000_NS6detail17trampoline_kernelINS0_13kernel_configILj256ELj4ELj4294967295EEENS1_37radix_sort_block_sort_config_selectorIiNS0_10empty_typeEEEZNS1_21radix_sort_block_sortIS4_Lb0EPKiPiPS6_SC_NS0_19identity_decomposerEEE10hipError_tT1_T2_T3_T4_jRjT5_jjP12ihipStream_tbEUlT_E_NS1_11comp_targetILNS1_3genE9ELNS1_11target_archE1100ELNS1_3gpuE3ELNS1_3repE0EEENS1_44radix_sort_block_sort_config_static_selectorELNS0_4arch9wavefront6targetE0EEEvSF_: ; @_ZN7rocprim17ROCPRIM_400000_NS6detail17trampoline_kernelINS0_13kernel_configILj256ELj4ELj4294967295EEENS1_37radix_sort_block_sort_config_selectorIiNS0_10empty_typeEEEZNS1_21radix_sort_block_sortIS4_Lb0EPKiPiPS6_SC_NS0_19identity_decomposerEEE10hipError_tT1_T2_T3_T4_jRjT5_jjP12ihipStream_tbEUlT_E_NS1_11comp_targetILNS1_3genE9ELNS1_11target_archE1100ELNS1_3gpuE3ELNS1_3repE0EEENS1_44radix_sort_block_sort_config_static_selectorELNS0_4arch9wavefront6targetE0EEEvSF_
; %bb.0:
	.section	.rodata,"a",@progbits
	.p2align	6, 0x0
	.amdhsa_kernel _ZN7rocprim17ROCPRIM_400000_NS6detail17trampoline_kernelINS0_13kernel_configILj256ELj4ELj4294967295EEENS1_37radix_sort_block_sort_config_selectorIiNS0_10empty_typeEEEZNS1_21radix_sort_block_sortIS4_Lb0EPKiPiPS6_SC_NS0_19identity_decomposerEEE10hipError_tT1_T2_T3_T4_jRjT5_jjP12ihipStream_tbEUlT_E_NS1_11comp_targetILNS1_3genE9ELNS1_11target_archE1100ELNS1_3gpuE3ELNS1_3repE0EEENS1_44radix_sort_block_sort_config_static_selectorELNS0_4arch9wavefront6targetE0EEEvSF_
		.amdhsa_group_segment_fixed_size 0
		.amdhsa_private_segment_fixed_size 0
		.amdhsa_kernarg_size 48
		.amdhsa_user_sgpr_count 2
		.amdhsa_user_sgpr_dispatch_ptr 0
		.amdhsa_user_sgpr_queue_ptr 0
		.amdhsa_user_sgpr_kernarg_segment_ptr 1
		.amdhsa_user_sgpr_dispatch_id 0
		.amdhsa_user_sgpr_kernarg_preload_length 0
		.amdhsa_user_sgpr_kernarg_preload_offset 0
		.amdhsa_user_sgpr_private_segment_size 0
		.amdhsa_wavefront_size32 1
		.amdhsa_uses_dynamic_stack 0
		.amdhsa_enable_private_segment 0
		.amdhsa_system_sgpr_workgroup_id_x 1
		.amdhsa_system_sgpr_workgroup_id_y 0
		.amdhsa_system_sgpr_workgroup_id_z 0
		.amdhsa_system_sgpr_workgroup_info 0
		.amdhsa_system_vgpr_workitem_id 0
		.amdhsa_next_free_vgpr 1
		.amdhsa_next_free_sgpr 1
		.amdhsa_named_barrier_count 0
		.amdhsa_reserve_vcc 0
		.amdhsa_float_round_mode_32 0
		.amdhsa_float_round_mode_16_64 0
		.amdhsa_float_denorm_mode_32 3
		.amdhsa_float_denorm_mode_16_64 3
		.amdhsa_fp16_overflow 0
		.amdhsa_memory_ordered 1
		.amdhsa_forward_progress 1
		.amdhsa_inst_pref_size 0
		.amdhsa_round_robin_scheduling 0
		.amdhsa_exception_fp_ieee_invalid_op 0
		.amdhsa_exception_fp_denorm_src 0
		.amdhsa_exception_fp_ieee_div_zero 0
		.amdhsa_exception_fp_ieee_overflow 0
		.amdhsa_exception_fp_ieee_underflow 0
		.amdhsa_exception_fp_ieee_inexact 0
		.amdhsa_exception_int_div_zero 0
	.end_amdhsa_kernel
	.section	.text._ZN7rocprim17ROCPRIM_400000_NS6detail17trampoline_kernelINS0_13kernel_configILj256ELj4ELj4294967295EEENS1_37radix_sort_block_sort_config_selectorIiNS0_10empty_typeEEEZNS1_21radix_sort_block_sortIS4_Lb0EPKiPiPS6_SC_NS0_19identity_decomposerEEE10hipError_tT1_T2_T3_T4_jRjT5_jjP12ihipStream_tbEUlT_E_NS1_11comp_targetILNS1_3genE9ELNS1_11target_archE1100ELNS1_3gpuE3ELNS1_3repE0EEENS1_44radix_sort_block_sort_config_static_selectorELNS0_4arch9wavefront6targetE0EEEvSF_,"axG",@progbits,_ZN7rocprim17ROCPRIM_400000_NS6detail17trampoline_kernelINS0_13kernel_configILj256ELj4ELj4294967295EEENS1_37radix_sort_block_sort_config_selectorIiNS0_10empty_typeEEEZNS1_21radix_sort_block_sortIS4_Lb0EPKiPiPS6_SC_NS0_19identity_decomposerEEE10hipError_tT1_T2_T3_T4_jRjT5_jjP12ihipStream_tbEUlT_E_NS1_11comp_targetILNS1_3genE9ELNS1_11target_archE1100ELNS1_3gpuE3ELNS1_3repE0EEENS1_44radix_sort_block_sort_config_static_selectorELNS0_4arch9wavefront6targetE0EEEvSF_,comdat
.Lfunc_end892:
	.size	_ZN7rocprim17ROCPRIM_400000_NS6detail17trampoline_kernelINS0_13kernel_configILj256ELj4ELj4294967295EEENS1_37radix_sort_block_sort_config_selectorIiNS0_10empty_typeEEEZNS1_21radix_sort_block_sortIS4_Lb0EPKiPiPS6_SC_NS0_19identity_decomposerEEE10hipError_tT1_T2_T3_T4_jRjT5_jjP12ihipStream_tbEUlT_E_NS1_11comp_targetILNS1_3genE9ELNS1_11target_archE1100ELNS1_3gpuE3ELNS1_3repE0EEENS1_44radix_sort_block_sort_config_static_selectorELNS0_4arch9wavefront6targetE0EEEvSF_, .Lfunc_end892-_ZN7rocprim17ROCPRIM_400000_NS6detail17trampoline_kernelINS0_13kernel_configILj256ELj4ELj4294967295EEENS1_37radix_sort_block_sort_config_selectorIiNS0_10empty_typeEEEZNS1_21radix_sort_block_sortIS4_Lb0EPKiPiPS6_SC_NS0_19identity_decomposerEEE10hipError_tT1_T2_T3_T4_jRjT5_jjP12ihipStream_tbEUlT_E_NS1_11comp_targetILNS1_3genE9ELNS1_11target_archE1100ELNS1_3gpuE3ELNS1_3repE0EEENS1_44radix_sort_block_sort_config_static_selectorELNS0_4arch9wavefront6targetE0EEEvSF_
                                        ; -- End function
	.set _ZN7rocprim17ROCPRIM_400000_NS6detail17trampoline_kernelINS0_13kernel_configILj256ELj4ELj4294967295EEENS1_37radix_sort_block_sort_config_selectorIiNS0_10empty_typeEEEZNS1_21radix_sort_block_sortIS4_Lb0EPKiPiPS6_SC_NS0_19identity_decomposerEEE10hipError_tT1_T2_T3_T4_jRjT5_jjP12ihipStream_tbEUlT_E_NS1_11comp_targetILNS1_3genE9ELNS1_11target_archE1100ELNS1_3gpuE3ELNS1_3repE0EEENS1_44radix_sort_block_sort_config_static_selectorELNS0_4arch9wavefront6targetE0EEEvSF_.num_vgpr, 0
	.set _ZN7rocprim17ROCPRIM_400000_NS6detail17trampoline_kernelINS0_13kernel_configILj256ELj4ELj4294967295EEENS1_37radix_sort_block_sort_config_selectorIiNS0_10empty_typeEEEZNS1_21radix_sort_block_sortIS4_Lb0EPKiPiPS6_SC_NS0_19identity_decomposerEEE10hipError_tT1_T2_T3_T4_jRjT5_jjP12ihipStream_tbEUlT_E_NS1_11comp_targetILNS1_3genE9ELNS1_11target_archE1100ELNS1_3gpuE3ELNS1_3repE0EEENS1_44radix_sort_block_sort_config_static_selectorELNS0_4arch9wavefront6targetE0EEEvSF_.num_agpr, 0
	.set _ZN7rocprim17ROCPRIM_400000_NS6detail17trampoline_kernelINS0_13kernel_configILj256ELj4ELj4294967295EEENS1_37radix_sort_block_sort_config_selectorIiNS0_10empty_typeEEEZNS1_21radix_sort_block_sortIS4_Lb0EPKiPiPS6_SC_NS0_19identity_decomposerEEE10hipError_tT1_T2_T3_T4_jRjT5_jjP12ihipStream_tbEUlT_E_NS1_11comp_targetILNS1_3genE9ELNS1_11target_archE1100ELNS1_3gpuE3ELNS1_3repE0EEENS1_44radix_sort_block_sort_config_static_selectorELNS0_4arch9wavefront6targetE0EEEvSF_.numbered_sgpr, 0
	.set _ZN7rocprim17ROCPRIM_400000_NS6detail17trampoline_kernelINS0_13kernel_configILj256ELj4ELj4294967295EEENS1_37radix_sort_block_sort_config_selectorIiNS0_10empty_typeEEEZNS1_21radix_sort_block_sortIS4_Lb0EPKiPiPS6_SC_NS0_19identity_decomposerEEE10hipError_tT1_T2_T3_T4_jRjT5_jjP12ihipStream_tbEUlT_E_NS1_11comp_targetILNS1_3genE9ELNS1_11target_archE1100ELNS1_3gpuE3ELNS1_3repE0EEENS1_44radix_sort_block_sort_config_static_selectorELNS0_4arch9wavefront6targetE0EEEvSF_.num_named_barrier, 0
	.set _ZN7rocprim17ROCPRIM_400000_NS6detail17trampoline_kernelINS0_13kernel_configILj256ELj4ELj4294967295EEENS1_37radix_sort_block_sort_config_selectorIiNS0_10empty_typeEEEZNS1_21radix_sort_block_sortIS4_Lb0EPKiPiPS6_SC_NS0_19identity_decomposerEEE10hipError_tT1_T2_T3_T4_jRjT5_jjP12ihipStream_tbEUlT_E_NS1_11comp_targetILNS1_3genE9ELNS1_11target_archE1100ELNS1_3gpuE3ELNS1_3repE0EEENS1_44radix_sort_block_sort_config_static_selectorELNS0_4arch9wavefront6targetE0EEEvSF_.private_seg_size, 0
	.set _ZN7rocprim17ROCPRIM_400000_NS6detail17trampoline_kernelINS0_13kernel_configILj256ELj4ELj4294967295EEENS1_37radix_sort_block_sort_config_selectorIiNS0_10empty_typeEEEZNS1_21radix_sort_block_sortIS4_Lb0EPKiPiPS6_SC_NS0_19identity_decomposerEEE10hipError_tT1_T2_T3_T4_jRjT5_jjP12ihipStream_tbEUlT_E_NS1_11comp_targetILNS1_3genE9ELNS1_11target_archE1100ELNS1_3gpuE3ELNS1_3repE0EEENS1_44radix_sort_block_sort_config_static_selectorELNS0_4arch9wavefront6targetE0EEEvSF_.uses_vcc, 0
	.set _ZN7rocprim17ROCPRIM_400000_NS6detail17trampoline_kernelINS0_13kernel_configILj256ELj4ELj4294967295EEENS1_37radix_sort_block_sort_config_selectorIiNS0_10empty_typeEEEZNS1_21radix_sort_block_sortIS4_Lb0EPKiPiPS6_SC_NS0_19identity_decomposerEEE10hipError_tT1_T2_T3_T4_jRjT5_jjP12ihipStream_tbEUlT_E_NS1_11comp_targetILNS1_3genE9ELNS1_11target_archE1100ELNS1_3gpuE3ELNS1_3repE0EEENS1_44radix_sort_block_sort_config_static_selectorELNS0_4arch9wavefront6targetE0EEEvSF_.uses_flat_scratch, 0
	.set _ZN7rocprim17ROCPRIM_400000_NS6detail17trampoline_kernelINS0_13kernel_configILj256ELj4ELj4294967295EEENS1_37radix_sort_block_sort_config_selectorIiNS0_10empty_typeEEEZNS1_21radix_sort_block_sortIS4_Lb0EPKiPiPS6_SC_NS0_19identity_decomposerEEE10hipError_tT1_T2_T3_T4_jRjT5_jjP12ihipStream_tbEUlT_E_NS1_11comp_targetILNS1_3genE9ELNS1_11target_archE1100ELNS1_3gpuE3ELNS1_3repE0EEENS1_44radix_sort_block_sort_config_static_selectorELNS0_4arch9wavefront6targetE0EEEvSF_.has_dyn_sized_stack, 0
	.set _ZN7rocprim17ROCPRIM_400000_NS6detail17trampoline_kernelINS0_13kernel_configILj256ELj4ELj4294967295EEENS1_37radix_sort_block_sort_config_selectorIiNS0_10empty_typeEEEZNS1_21radix_sort_block_sortIS4_Lb0EPKiPiPS6_SC_NS0_19identity_decomposerEEE10hipError_tT1_T2_T3_T4_jRjT5_jjP12ihipStream_tbEUlT_E_NS1_11comp_targetILNS1_3genE9ELNS1_11target_archE1100ELNS1_3gpuE3ELNS1_3repE0EEENS1_44radix_sort_block_sort_config_static_selectorELNS0_4arch9wavefront6targetE0EEEvSF_.has_recursion, 0
	.set _ZN7rocprim17ROCPRIM_400000_NS6detail17trampoline_kernelINS0_13kernel_configILj256ELj4ELj4294967295EEENS1_37radix_sort_block_sort_config_selectorIiNS0_10empty_typeEEEZNS1_21radix_sort_block_sortIS4_Lb0EPKiPiPS6_SC_NS0_19identity_decomposerEEE10hipError_tT1_T2_T3_T4_jRjT5_jjP12ihipStream_tbEUlT_E_NS1_11comp_targetILNS1_3genE9ELNS1_11target_archE1100ELNS1_3gpuE3ELNS1_3repE0EEENS1_44radix_sort_block_sort_config_static_selectorELNS0_4arch9wavefront6targetE0EEEvSF_.has_indirect_call, 0
	.section	.AMDGPU.csdata,"",@progbits
; Kernel info:
; codeLenInByte = 0
; TotalNumSgprs: 0
; NumVgprs: 0
; ScratchSize: 0
; MemoryBound: 0
; FloatMode: 240
; IeeeMode: 1
; LDSByteSize: 0 bytes/workgroup (compile time only)
; SGPRBlocks: 0
; VGPRBlocks: 0
; NumSGPRsForWavesPerEU: 1
; NumVGPRsForWavesPerEU: 1
; NamedBarCnt: 0
; Occupancy: 16
; WaveLimiterHint : 0
; COMPUTE_PGM_RSRC2:SCRATCH_EN: 0
; COMPUTE_PGM_RSRC2:USER_SGPR: 2
; COMPUTE_PGM_RSRC2:TRAP_HANDLER: 0
; COMPUTE_PGM_RSRC2:TGID_X_EN: 1
; COMPUTE_PGM_RSRC2:TGID_Y_EN: 0
; COMPUTE_PGM_RSRC2:TGID_Z_EN: 0
; COMPUTE_PGM_RSRC2:TIDIG_COMP_CNT: 0
	.section	.text._ZN7rocprim17ROCPRIM_400000_NS6detail17trampoline_kernelINS0_13kernel_configILj256ELj4ELj4294967295EEENS1_37radix_sort_block_sort_config_selectorIiNS0_10empty_typeEEEZNS1_21radix_sort_block_sortIS4_Lb0EPKiPiPS6_SC_NS0_19identity_decomposerEEE10hipError_tT1_T2_T3_T4_jRjT5_jjP12ihipStream_tbEUlT_E_NS1_11comp_targetILNS1_3genE8ELNS1_11target_archE1030ELNS1_3gpuE2ELNS1_3repE0EEENS1_44radix_sort_block_sort_config_static_selectorELNS0_4arch9wavefront6targetE0EEEvSF_,"axG",@progbits,_ZN7rocprim17ROCPRIM_400000_NS6detail17trampoline_kernelINS0_13kernel_configILj256ELj4ELj4294967295EEENS1_37radix_sort_block_sort_config_selectorIiNS0_10empty_typeEEEZNS1_21radix_sort_block_sortIS4_Lb0EPKiPiPS6_SC_NS0_19identity_decomposerEEE10hipError_tT1_T2_T3_T4_jRjT5_jjP12ihipStream_tbEUlT_E_NS1_11comp_targetILNS1_3genE8ELNS1_11target_archE1030ELNS1_3gpuE2ELNS1_3repE0EEENS1_44radix_sort_block_sort_config_static_selectorELNS0_4arch9wavefront6targetE0EEEvSF_,comdat
	.protected	_ZN7rocprim17ROCPRIM_400000_NS6detail17trampoline_kernelINS0_13kernel_configILj256ELj4ELj4294967295EEENS1_37radix_sort_block_sort_config_selectorIiNS0_10empty_typeEEEZNS1_21radix_sort_block_sortIS4_Lb0EPKiPiPS6_SC_NS0_19identity_decomposerEEE10hipError_tT1_T2_T3_T4_jRjT5_jjP12ihipStream_tbEUlT_E_NS1_11comp_targetILNS1_3genE8ELNS1_11target_archE1030ELNS1_3gpuE2ELNS1_3repE0EEENS1_44radix_sort_block_sort_config_static_selectorELNS0_4arch9wavefront6targetE0EEEvSF_ ; -- Begin function _ZN7rocprim17ROCPRIM_400000_NS6detail17trampoline_kernelINS0_13kernel_configILj256ELj4ELj4294967295EEENS1_37radix_sort_block_sort_config_selectorIiNS0_10empty_typeEEEZNS1_21radix_sort_block_sortIS4_Lb0EPKiPiPS6_SC_NS0_19identity_decomposerEEE10hipError_tT1_T2_T3_T4_jRjT5_jjP12ihipStream_tbEUlT_E_NS1_11comp_targetILNS1_3genE8ELNS1_11target_archE1030ELNS1_3gpuE2ELNS1_3repE0EEENS1_44radix_sort_block_sort_config_static_selectorELNS0_4arch9wavefront6targetE0EEEvSF_
	.globl	_ZN7rocprim17ROCPRIM_400000_NS6detail17trampoline_kernelINS0_13kernel_configILj256ELj4ELj4294967295EEENS1_37radix_sort_block_sort_config_selectorIiNS0_10empty_typeEEEZNS1_21radix_sort_block_sortIS4_Lb0EPKiPiPS6_SC_NS0_19identity_decomposerEEE10hipError_tT1_T2_T3_T4_jRjT5_jjP12ihipStream_tbEUlT_E_NS1_11comp_targetILNS1_3genE8ELNS1_11target_archE1030ELNS1_3gpuE2ELNS1_3repE0EEENS1_44radix_sort_block_sort_config_static_selectorELNS0_4arch9wavefront6targetE0EEEvSF_
	.p2align	8
	.type	_ZN7rocprim17ROCPRIM_400000_NS6detail17trampoline_kernelINS0_13kernel_configILj256ELj4ELj4294967295EEENS1_37radix_sort_block_sort_config_selectorIiNS0_10empty_typeEEEZNS1_21radix_sort_block_sortIS4_Lb0EPKiPiPS6_SC_NS0_19identity_decomposerEEE10hipError_tT1_T2_T3_T4_jRjT5_jjP12ihipStream_tbEUlT_E_NS1_11comp_targetILNS1_3genE8ELNS1_11target_archE1030ELNS1_3gpuE2ELNS1_3repE0EEENS1_44radix_sort_block_sort_config_static_selectorELNS0_4arch9wavefront6targetE0EEEvSF_,@function
_ZN7rocprim17ROCPRIM_400000_NS6detail17trampoline_kernelINS0_13kernel_configILj256ELj4ELj4294967295EEENS1_37radix_sort_block_sort_config_selectorIiNS0_10empty_typeEEEZNS1_21radix_sort_block_sortIS4_Lb0EPKiPiPS6_SC_NS0_19identity_decomposerEEE10hipError_tT1_T2_T3_T4_jRjT5_jjP12ihipStream_tbEUlT_E_NS1_11comp_targetILNS1_3genE8ELNS1_11target_archE1030ELNS1_3gpuE2ELNS1_3repE0EEENS1_44radix_sort_block_sort_config_static_selectorELNS0_4arch9wavefront6targetE0EEEvSF_: ; @_ZN7rocprim17ROCPRIM_400000_NS6detail17trampoline_kernelINS0_13kernel_configILj256ELj4ELj4294967295EEENS1_37radix_sort_block_sort_config_selectorIiNS0_10empty_typeEEEZNS1_21radix_sort_block_sortIS4_Lb0EPKiPiPS6_SC_NS0_19identity_decomposerEEE10hipError_tT1_T2_T3_T4_jRjT5_jjP12ihipStream_tbEUlT_E_NS1_11comp_targetILNS1_3genE8ELNS1_11target_archE1030ELNS1_3gpuE2ELNS1_3repE0EEENS1_44radix_sort_block_sort_config_static_selectorELNS0_4arch9wavefront6targetE0EEEvSF_
; %bb.0:
	.section	.rodata,"a",@progbits
	.p2align	6, 0x0
	.amdhsa_kernel _ZN7rocprim17ROCPRIM_400000_NS6detail17trampoline_kernelINS0_13kernel_configILj256ELj4ELj4294967295EEENS1_37radix_sort_block_sort_config_selectorIiNS0_10empty_typeEEEZNS1_21radix_sort_block_sortIS4_Lb0EPKiPiPS6_SC_NS0_19identity_decomposerEEE10hipError_tT1_T2_T3_T4_jRjT5_jjP12ihipStream_tbEUlT_E_NS1_11comp_targetILNS1_3genE8ELNS1_11target_archE1030ELNS1_3gpuE2ELNS1_3repE0EEENS1_44radix_sort_block_sort_config_static_selectorELNS0_4arch9wavefront6targetE0EEEvSF_
		.amdhsa_group_segment_fixed_size 0
		.amdhsa_private_segment_fixed_size 0
		.amdhsa_kernarg_size 48
		.amdhsa_user_sgpr_count 2
		.amdhsa_user_sgpr_dispatch_ptr 0
		.amdhsa_user_sgpr_queue_ptr 0
		.amdhsa_user_sgpr_kernarg_segment_ptr 1
		.amdhsa_user_sgpr_dispatch_id 0
		.amdhsa_user_sgpr_kernarg_preload_length 0
		.amdhsa_user_sgpr_kernarg_preload_offset 0
		.amdhsa_user_sgpr_private_segment_size 0
		.amdhsa_wavefront_size32 1
		.amdhsa_uses_dynamic_stack 0
		.amdhsa_enable_private_segment 0
		.amdhsa_system_sgpr_workgroup_id_x 1
		.amdhsa_system_sgpr_workgroup_id_y 0
		.amdhsa_system_sgpr_workgroup_id_z 0
		.amdhsa_system_sgpr_workgroup_info 0
		.amdhsa_system_vgpr_workitem_id 0
		.amdhsa_next_free_vgpr 1
		.amdhsa_next_free_sgpr 1
		.amdhsa_named_barrier_count 0
		.amdhsa_reserve_vcc 0
		.amdhsa_float_round_mode_32 0
		.amdhsa_float_round_mode_16_64 0
		.amdhsa_float_denorm_mode_32 3
		.amdhsa_float_denorm_mode_16_64 3
		.amdhsa_fp16_overflow 0
		.amdhsa_memory_ordered 1
		.amdhsa_forward_progress 1
		.amdhsa_inst_pref_size 0
		.amdhsa_round_robin_scheduling 0
		.amdhsa_exception_fp_ieee_invalid_op 0
		.amdhsa_exception_fp_denorm_src 0
		.amdhsa_exception_fp_ieee_div_zero 0
		.amdhsa_exception_fp_ieee_overflow 0
		.amdhsa_exception_fp_ieee_underflow 0
		.amdhsa_exception_fp_ieee_inexact 0
		.amdhsa_exception_int_div_zero 0
	.end_amdhsa_kernel
	.section	.text._ZN7rocprim17ROCPRIM_400000_NS6detail17trampoline_kernelINS0_13kernel_configILj256ELj4ELj4294967295EEENS1_37radix_sort_block_sort_config_selectorIiNS0_10empty_typeEEEZNS1_21radix_sort_block_sortIS4_Lb0EPKiPiPS6_SC_NS0_19identity_decomposerEEE10hipError_tT1_T2_T3_T4_jRjT5_jjP12ihipStream_tbEUlT_E_NS1_11comp_targetILNS1_3genE8ELNS1_11target_archE1030ELNS1_3gpuE2ELNS1_3repE0EEENS1_44radix_sort_block_sort_config_static_selectorELNS0_4arch9wavefront6targetE0EEEvSF_,"axG",@progbits,_ZN7rocprim17ROCPRIM_400000_NS6detail17trampoline_kernelINS0_13kernel_configILj256ELj4ELj4294967295EEENS1_37radix_sort_block_sort_config_selectorIiNS0_10empty_typeEEEZNS1_21radix_sort_block_sortIS4_Lb0EPKiPiPS6_SC_NS0_19identity_decomposerEEE10hipError_tT1_T2_T3_T4_jRjT5_jjP12ihipStream_tbEUlT_E_NS1_11comp_targetILNS1_3genE8ELNS1_11target_archE1030ELNS1_3gpuE2ELNS1_3repE0EEENS1_44radix_sort_block_sort_config_static_selectorELNS0_4arch9wavefront6targetE0EEEvSF_,comdat
.Lfunc_end893:
	.size	_ZN7rocprim17ROCPRIM_400000_NS6detail17trampoline_kernelINS0_13kernel_configILj256ELj4ELj4294967295EEENS1_37radix_sort_block_sort_config_selectorIiNS0_10empty_typeEEEZNS1_21radix_sort_block_sortIS4_Lb0EPKiPiPS6_SC_NS0_19identity_decomposerEEE10hipError_tT1_T2_T3_T4_jRjT5_jjP12ihipStream_tbEUlT_E_NS1_11comp_targetILNS1_3genE8ELNS1_11target_archE1030ELNS1_3gpuE2ELNS1_3repE0EEENS1_44radix_sort_block_sort_config_static_selectorELNS0_4arch9wavefront6targetE0EEEvSF_, .Lfunc_end893-_ZN7rocprim17ROCPRIM_400000_NS6detail17trampoline_kernelINS0_13kernel_configILj256ELj4ELj4294967295EEENS1_37radix_sort_block_sort_config_selectorIiNS0_10empty_typeEEEZNS1_21radix_sort_block_sortIS4_Lb0EPKiPiPS6_SC_NS0_19identity_decomposerEEE10hipError_tT1_T2_T3_T4_jRjT5_jjP12ihipStream_tbEUlT_E_NS1_11comp_targetILNS1_3genE8ELNS1_11target_archE1030ELNS1_3gpuE2ELNS1_3repE0EEENS1_44radix_sort_block_sort_config_static_selectorELNS0_4arch9wavefront6targetE0EEEvSF_
                                        ; -- End function
	.set _ZN7rocprim17ROCPRIM_400000_NS6detail17trampoline_kernelINS0_13kernel_configILj256ELj4ELj4294967295EEENS1_37radix_sort_block_sort_config_selectorIiNS0_10empty_typeEEEZNS1_21radix_sort_block_sortIS4_Lb0EPKiPiPS6_SC_NS0_19identity_decomposerEEE10hipError_tT1_T2_T3_T4_jRjT5_jjP12ihipStream_tbEUlT_E_NS1_11comp_targetILNS1_3genE8ELNS1_11target_archE1030ELNS1_3gpuE2ELNS1_3repE0EEENS1_44radix_sort_block_sort_config_static_selectorELNS0_4arch9wavefront6targetE0EEEvSF_.num_vgpr, 0
	.set _ZN7rocprim17ROCPRIM_400000_NS6detail17trampoline_kernelINS0_13kernel_configILj256ELj4ELj4294967295EEENS1_37radix_sort_block_sort_config_selectorIiNS0_10empty_typeEEEZNS1_21radix_sort_block_sortIS4_Lb0EPKiPiPS6_SC_NS0_19identity_decomposerEEE10hipError_tT1_T2_T3_T4_jRjT5_jjP12ihipStream_tbEUlT_E_NS1_11comp_targetILNS1_3genE8ELNS1_11target_archE1030ELNS1_3gpuE2ELNS1_3repE0EEENS1_44radix_sort_block_sort_config_static_selectorELNS0_4arch9wavefront6targetE0EEEvSF_.num_agpr, 0
	.set _ZN7rocprim17ROCPRIM_400000_NS6detail17trampoline_kernelINS0_13kernel_configILj256ELj4ELj4294967295EEENS1_37radix_sort_block_sort_config_selectorIiNS0_10empty_typeEEEZNS1_21radix_sort_block_sortIS4_Lb0EPKiPiPS6_SC_NS0_19identity_decomposerEEE10hipError_tT1_T2_T3_T4_jRjT5_jjP12ihipStream_tbEUlT_E_NS1_11comp_targetILNS1_3genE8ELNS1_11target_archE1030ELNS1_3gpuE2ELNS1_3repE0EEENS1_44radix_sort_block_sort_config_static_selectorELNS0_4arch9wavefront6targetE0EEEvSF_.numbered_sgpr, 0
	.set _ZN7rocprim17ROCPRIM_400000_NS6detail17trampoline_kernelINS0_13kernel_configILj256ELj4ELj4294967295EEENS1_37radix_sort_block_sort_config_selectorIiNS0_10empty_typeEEEZNS1_21radix_sort_block_sortIS4_Lb0EPKiPiPS6_SC_NS0_19identity_decomposerEEE10hipError_tT1_T2_T3_T4_jRjT5_jjP12ihipStream_tbEUlT_E_NS1_11comp_targetILNS1_3genE8ELNS1_11target_archE1030ELNS1_3gpuE2ELNS1_3repE0EEENS1_44radix_sort_block_sort_config_static_selectorELNS0_4arch9wavefront6targetE0EEEvSF_.num_named_barrier, 0
	.set _ZN7rocprim17ROCPRIM_400000_NS6detail17trampoline_kernelINS0_13kernel_configILj256ELj4ELj4294967295EEENS1_37radix_sort_block_sort_config_selectorIiNS0_10empty_typeEEEZNS1_21radix_sort_block_sortIS4_Lb0EPKiPiPS6_SC_NS0_19identity_decomposerEEE10hipError_tT1_T2_T3_T4_jRjT5_jjP12ihipStream_tbEUlT_E_NS1_11comp_targetILNS1_3genE8ELNS1_11target_archE1030ELNS1_3gpuE2ELNS1_3repE0EEENS1_44radix_sort_block_sort_config_static_selectorELNS0_4arch9wavefront6targetE0EEEvSF_.private_seg_size, 0
	.set _ZN7rocprim17ROCPRIM_400000_NS6detail17trampoline_kernelINS0_13kernel_configILj256ELj4ELj4294967295EEENS1_37radix_sort_block_sort_config_selectorIiNS0_10empty_typeEEEZNS1_21radix_sort_block_sortIS4_Lb0EPKiPiPS6_SC_NS0_19identity_decomposerEEE10hipError_tT1_T2_T3_T4_jRjT5_jjP12ihipStream_tbEUlT_E_NS1_11comp_targetILNS1_3genE8ELNS1_11target_archE1030ELNS1_3gpuE2ELNS1_3repE0EEENS1_44radix_sort_block_sort_config_static_selectorELNS0_4arch9wavefront6targetE0EEEvSF_.uses_vcc, 0
	.set _ZN7rocprim17ROCPRIM_400000_NS6detail17trampoline_kernelINS0_13kernel_configILj256ELj4ELj4294967295EEENS1_37radix_sort_block_sort_config_selectorIiNS0_10empty_typeEEEZNS1_21radix_sort_block_sortIS4_Lb0EPKiPiPS6_SC_NS0_19identity_decomposerEEE10hipError_tT1_T2_T3_T4_jRjT5_jjP12ihipStream_tbEUlT_E_NS1_11comp_targetILNS1_3genE8ELNS1_11target_archE1030ELNS1_3gpuE2ELNS1_3repE0EEENS1_44radix_sort_block_sort_config_static_selectorELNS0_4arch9wavefront6targetE0EEEvSF_.uses_flat_scratch, 0
	.set _ZN7rocprim17ROCPRIM_400000_NS6detail17trampoline_kernelINS0_13kernel_configILj256ELj4ELj4294967295EEENS1_37radix_sort_block_sort_config_selectorIiNS0_10empty_typeEEEZNS1_21radix_sort_block_sortIS4_Lb0EPKiPiPS6_SC_NS0_19identity_decomposerEEE10hipError_tT1_T2_T3_T4_jRjT5_jjP12ihipStream_tbEUlT_E_NS1_11comp_targetILNS1_3genE8ELNS1_11target_archE1030ELNS1_3gpuE2ELNS1_3repE0EEENS1_44radix_sort_block_sort_config_static_selectorELNS0_4arch9wavefront6targetE0EEEvSF_.has_dyn_sized_stack, 0
	.set _ZN7rocprim17ROCPRIM_400000_NS6detail17trampoline_kernelINS0_13kernel_configILj256ELj4ELj4294967295EEENS1_37radix_sort_block_sort_config_selectorIiNS0_10empty_typeEEEZNS1_21radix_sort_block_sortIS4_Lb0EPKiPiPS6_SC_NS0_19identity_decomposerEEE10hipError_tT1_T2_T3_T4_jRjT5_jjP12ihipStream_tbEUlT_E_NS1_11comp_targetILNS1_3genE8ELNS1_11target_archE1030ELNS1_3gpuE2ELNS1_3repE0EEENS1_44radix_sort_block_sort_config_static_selectorELNS0_4arch9wavefront6targetE0EEEvSF_.has_recursion, 0
	.set _ZN7rocprim17ROCPRIM_400000_NS6detail17trampoline_kernelINS0_13kernel_configILj256ELj4ELj4294967295EEENS1_37radix_sort_block_sort_config_selectorIiNS0_10empty_typeEEEZNS1_21radix_sort_block_sortIS4_Lb0EPKiPiPS6_SC_NS0_19identity_decomposerEEE10hipError_tT1_T2_T3_T4_jRjT5_jjP12ihipStream_tbEUlT_E_NS1_11comp_targetILNS1_3genE8ELNS1_11target_archE1030ELNS1_3gpuE2ELNS1_3repE0EEENS1_44radix_sort_block_sort_config_static_selectorELNS0_4arch9wavefront6targetE0EEEvSF_.has_indirect_call, 0
	.section	.AMDGPU.csdata,"",@progbits
; Kernel info:
; codeLenInByte = 0
; TotalNumSgprs: 0
; NumVgprs: 0
; ScratchSize: 0
; MemoryBound: 0
; FloatMode: 240
; IeeeMode: 1
; LDSByteSize: 0 bytes/workgroup (compile time only)
; SGPRBlocks: 0
; VGPRBlocks: 0
; NumSGPRsForWavesPerEU: 1
; NumVGPRsForWavesPerEU: 1
; NamedBarCnt: 0
; Occupancy: 16
; WaveLimiterHint : 0
; COMPUTE_PGM_RSRC2:SCRATCH_EN: 0
; COMPUTE_PGM_RSRC2:USER_SGPR: 2
; COMPUTE_PGM_RSRC2:TRAP_HANDLER: 0
; COMPUTE_PGM_RSRC2:TGID_X_EN: 1
; COMPUTE_PGM_RSRC2:TGID_Y_EN: 0
; COMPUTE_PGM_RSRC2:TGID_Z_EN: 0
; COMPUTE_PGM_RSRC2:TIDIG_COMP_CNT: 0
	.section	.text._ZN7rocprim17ROCPRIM_400000_NS6detail17trampoline_kernelINS0_14default_configENS1_38merge_sort_block_merge_config_selectorIiNS0_10empty_typeEEEZZNS1_27merge_sort_block_merge_implIS3_PiPS5_jNS1_19radix_merge_compareILb0ELb0EiNS0_19identity_decomposerEEEEE10hipError_tT0_T1_T2_jT3_P12ihipStream_tbPNSt15iterator_traitsISE_E10value_typeEPNSK_ISF_E10value_typeEPSG_NS1_7vsmem_tEENKUlT_SE_SF_SG_E_clIS8_S8_S9_S9_EESD_ST_SE_SF_SG_EUlST_E_NS1_11comp_targetILNS1_3genE0ELNS1_11target_archE4294967295ELNS1_3gpuE0ELNS1_3repE0EEENS1_48merge_mergepath_partition_config_static_selectorELNS0_4arch9wavefront6targetE0EEEvSF_,"axG",@progbits,_ZN7rocprim17ROCPRIM_400000_NS6detail17trampoline_kernelINS0_14default_configENS1_38merge_sort_block_merge_config_selectorIiNS0_10empty_typeEEEZZNS1_27merge_sort_block_merge_implIS3_PiPS5_jNS1_19radix_merge_compareILb0ELb0EiNS0_19identity_decomposerEEEEE10hipError_tT0_T1_T2_jT3_P12ihipStream_tbPNSt15iterator_traitsISE_E10value_typeEPNSK_ISF_E10value_typeEPSG_NS1_7vsmem_tEENKUlT_SE_SF_SG_E_clIS8_S8_S9_S9_EESD_ST_SE_SF_SG_EUlST_E_NS1_11comp_targetILNS1_3genE0ELNS1_11target_archE4294967295ELNS1_3gpuE0ELNS1_3repE0EEENS1_48merge_mergepath_partition_config_static_selectorELNS0_4arch9wavefront6targetE0EEEvSF_,comdat
	.protected	_ZN7rocprim17ROCPRIM_400000_NS6detail17trampoline_kernelINS0_14default_configENS1_38merge_sort_block_merge_config_selectorIiNS0_10empty_typeEEEZZNS1_27merge_sort_block_merge_implIS3_PiPS5_jNS1_19radix_merge_compareILb0ELb0EiNS0_19identity_decomposerEEEEE10hipError_tT0_T1_T2_jT3_P12ihipStream_tbPNSt15iterator_traitsISE_E10value_typeEPNSK_ISF_E10value_typeEPSG_NS1_7vsmem_tEENKUlT_SE_SF_SG_E_clIS8_S8_S9_S9_EESD_ST_SE_SF_SG_EUlST_E_NS1_11comp_targetILNS1_3genE0ELNS1_11target_archE4294967295ELNS1_3gpuE0ELNS1_3repE0EEENS1_48merge_mergepath_partition_config_static_selectorELNS0_4arch9wavefront6targetE0EEEvSF_ ; -- Begin function _ZN7rocprim17ROCPRIM_400000_NS6detail17trampoline_kernelINS0_14default_configENS1_38merge_sort_block_merge_config_selectorIiNS0_10empty_typeEEEZZNS1_27merge_sort_block_merge_implIS3_PiPS5_jNS1_19radix_merge_compareILb0ELb0EiNS0_19identity_decomposerEEEEE10hipError_tT0_T1_T2_jT3_P12ihipStream_tbPNSt15iterator_traitsISE_E10value_typeEPNSK_ISF_E10value_typeEPSG_NS1_7vsmem_tEENKUlT_SE_SF_SG_E_clIS8_S8_S9_S9_EESD_ST_SE_SF_SG_EUlST_E_NS1_11comp_targetILNS1_3genE0ELNS1_11target_archE4294967295ELNS1_3gpuE0ELNS1_3repE0EEENS1_48merge_mergepath_partition_config_static_selectorELNS0_4arch9wavefront6targetE0EEEvSF_
	.globl	_ZN7rocprim17ROCPRIM_400000_NS6detail17trampoline_kernelINS0_14default_configENS1_38merge_sort_block_merge_config_selectorIiNS0_10empty_typeEEEZZNS1_27merge_sort_block_merge_implIS3_PiPS5_jNS1_19radix_merge_compareILb0ELb0EiNS0_19identity_decomposerEEEEE10hipError_tT0_T1_T2_jT3_P12ihipStream_tbPNSt15iterator_traitsISE_E10value_typeEPNSK_ISF_E10value_typeEPSG_NS1_7vsmem_tEENKUlT_SE_SF_SG_E_clIS8_S8_S9_S9_EESD_ST_SE_SF_SG_EUlST_E_NS1_11comp_targetILNS1_3genE0ELNS1_11target_archE4294967295ELNS1_3gpuE0ELNS1_3repE0EEENS1_48merge_mergepath_partition_config_static_selectorELNS0_4arch9wavefront6targetE0EEEvSF_
	.p2align	8
	.type	_ZN7rocprim17ROCPRIM_400000_NS6detail17trampoline_kernelINS0_14default_configENS1_38merge_sort_block_merge_config_selectorIiNS0_10empty_typeEEEZZNS1_27merge_sort_block_merge_implIS3_PiPS5_jNS1_19radix_merge_compareILb0ELb0EiNS0_19identity_decomposerEEEEE10hipError_tT0_T1_T2_jT3_P12ihipStream_tbPNSt15iterator_traitsISE_E10value_typeEPNSK_ISF_E10value_typeEPSG_NS1_7vsmem_tEENKUlT_SE_SF_SG_E_clIS8_S8_S9_S9_EESD_ST_SE_SF_SG_EUlST_E_NS1_11comp_targetILNS1_3genE0ELNS1_11target_archE4294967295ELNS1_3gpuE0ELNS1_3repE0EEENS1_48merge_mergepath_partition_config_static_selectorELNS0_4arch9wavefront6targetE0EEEvSF_,@function
_ZN7rocprim17ROCPRIM_400000_NS6detail17trampoline_kernelINS0_14default_configENS1_38merge_sort_block_merge_config_selectorIiNS0_10empty_typeEEEZZNS1_27merge_sort_block_merge_implIS3_PiPS5_jNS1_19radix_merge_compareILb0ELb0EiNS0_19identity_decomposerEEEEE10hipError_tT0_T1_T2_jT3_P12ihipStream_tbPNSt15iterator_traitsISE_E10value_typeEPNSK_ISF_E10value_typeEPSG_NS1_7vsmem_tEENKUlT_SE_SF_SG_E_clIS8_S8_S9_S9_EESD_ST_SE_SF_SG_EUlST_E_NS1_11comp_targetILNS1_3genE0ELNS1_11target_archE4294967295ELNS1_3gpuE0ELNS1_3repE0EEENS1_48merge_mergepath_partition_config_static_selectorELNS0_4arch9wavefront6targetE0EEEvSF_: ; @_ZN7rocprim17ROCPRIM_400000_NS6detail17trampoline_kernelINS0_14default_configENS1_38merge_sort_block_merge_config_selectorIiNS0_10empty_typeEEEZZNS1_27merge_sort_block_merge_implIS3_PiPS5_jNS1_19radix_merge_compareILb0ELb0EiNS0_19identity_decomposerEEEEE10hipError_tT0_T1_T2_jT3_P12ihipStream_tbPNSt15iterator_traitsISE_E10value_typeEPNSK_ISF_E10value_typeEPSG_NS1_7vsmem_tEENKUlT_SE_SF_SG_E_clIS8_S8_S9_S9_EESD_ST_SE_SF_SG_EUlST_E_NS1_11comp_targetILNS1_3genE0ELNS1_11target_archE4294967295ELNS1_3gpuE0ELNS1_3repE0EEENS1_48merge_mergepath_partition_config_static_selectorELNS0_4arch9wavefront6targetE0EEEvSF_
; %bb.0:
	s_load_b32 s2, s[0:1], 0x0
	s_bfe_u32 s3, ttmp6, 0x4000c
	s_and_b32 s4, ttmp6, 15
	s_add_co_i32 s3, s3, 1
	s_getreg_b32 s5, hwreg(HW_REG_IB_STS2, 6, 4)
	s_mul_i32 s3, ttmp9, s3
	s_delay_alu instid0(SALU_CYCLE_1) | instskip(SKIP_2) | instid1(SALU_CYCLE_1)
	s_add_co_i32 s4, s4, s3
	s_cmp_eq_u32 s5, 0
	s_cselect_b32 s3, ttmp9, s4
	v_lshl_or_b32 v8, s3, 7, v0
	s_wait_kmcnt 0x0
	s_delay_alu instid0(VALU_DEP_1)
	v_cmp_gt_u32_e32 vcc_lo, s2, v8
	s_and_saveexec_b32 s2, vcc_lo
	s_cbranch_execz .LBB894_6
; %bb.1:
	s_load_b64 s[2:3], s[0:1], 0x4
	s_wait_kmcnt 0x0
	s_lshr_b32 s4, s2, 9
	s_delay_alu instid0(SALU_CYCLE_1) | instskip(NEXT) | instid1(SALU_CYCLE_1)
	s_and_b32 s4, s4, 0x7ffffe
	s_sub_co_i32 s5, 0, s4
	s_add_co_i32 s4, s4, -1
	s_delay_alu instid0(SALU_CYCLE_1) | instskip(SKIP_2) | instid1(VALU_DEP_1)
	v_and_b32_e32 v1, s4, v8
	v_and_b32_e32 v0, s5, v8
	s_mov_b32 s4, exec_lo
	v_dual_lshlrev_b32 v1, 10, v1 :: v_dual_lshlrev_b32 v0, 10, v0
	s_delay_alu instid0(VALU_DEP_1) | instskip(SKIP_1) | instid1(VALU_DEP_2)
	v_add_min_u32_e64 v2, v0, s2, s3
	v_min_u32_e32 v0, s3, v0
	v_add_min_u32_e64 v3, v2, s2, s3
	s_load_b64 s[2:3], s[0:1], 0x20
	s_delay_alu instid0(VALU_DEP_1) | instskip(NEXT) | instid1(VALU_DEP_1)
	v_dual_sub_nc_u32 v4, v3, v0 :: v_dual_sub_nc_u32 v3, v3, v2
	v_min_u32_e32 v10, v4, v1
	v_sub_nc_u32_e32 v1, v2, v0
	s_delay_alu instid0(VALU_DEP_2) | instskip(NEXT) | instid1(VALU_DEP_2)
	v_sub_nc_u32_e64 v9, v10, v3 clamp
	v_min_u32_e32 v11, v10, v1
	s_delay_alu instid0(VALU_DEP_1)
	v_cmpx_lt_u32_e64 v9, v11
	s_cbranch_execz .LBB894_5
; %bb.2:
	s_wait_xcnt 0x0
	s_load_b64 s[0:1], s[0:1], 0x10
	v_mov_b32_e32 v3, 0
	s_delay_alu instid0(VALU_DEP_1) | instskip(SKIP_1) | instid1(VALU_DEP_1)
	v_mov_b32_e32 v1, v3
	s_wait_kmcnt 0x0
	v_lshl_add_u64 v[4:5], v[0:1], 2, s[0:1]
	v_lshl_add_u64 v[6:7], v[2:3], 2, s[0:1]
	s_mov_b32 s0, 0
.LBB894_3:                              ; =>This Inner Loop Header: Depth=1
	v_add_nc_u32_e32 v1, v11, v9
	s_delay_alu instid0(VALU_DEP_1) | instskip(NEXT) | instid1(VALU_DEP_1)
	v_dual_mov_b32 v13, v3 :: v_dual_lshrrev_b32 v2, 1, v1
	v_xad_u32 v12, v2, -1, v10
	v_lshl_add_u64 v[14:15], v[2:3], 2, v[4:5]
	s_delay_alu instid0(VALU_DEP_2)
	v_lshl_add_u64 v[12:13], v[12:13], 2, v[6:7]
	s_clause 0x1
	global_load_b32 v1, v[14:15], off
	global_load_b32 v16, v[12:13], off
	s_wait_xcnt 0x0
	v_add_nc_u32_e32 v12, 1, v2
	s_wait_loadcnt 0x0
	v_cmp_gt_i32_e32 vcc_lo, v1, v16
	s_delay_alu instid0(VALU_DEP_2) | instskip(NEXT) | instid1(VALU_DEP_1)
	v_dual_cndmask_b32 v11, v11, v2, vcc_lo :: v_dual_cndmask_b32 v9, v12, v9, vcc_lo
	v_cmp_ge_u32_e32 vcc_lo, v9, v11
	s_or_b32 s0, vcc_lo, s0
	s_delay_alu instid0(SALU_CYCLE_1)
	s_and_not1_b32 exec_lo, exec_lo, s0
	s_cbranch_execnz .LBB894_3
; %bb.4:
	s_or_b32 exec_lo, exec_lo, s0
.LBB894_5:
	s_delay_alu instid0(SALU_CYCLE_1)
	s_or_b32 exec_lo, exec_lo, s4
	v_add_nc_u32_e32 v0, v9, v0
	s_wait_kmcnt 0x0
	global_store_b32 v8, v0, s[2:3] scale_offset
.LBB894_6:
	s_endpgm
	.section	.rodata,"a",@progbits
	.p2align	6, 0x0
	.amdhsa_kernel _ZN7rocprim17ROCPRIM_400000_NS6detail17trampoline_kernelINS0_14default_configENS1_38merge_sort_block_merge_config_selectorIiNS0_10empty_typeEEEZZNS1_27merge_sort_block_merge_implIS3_PiPS5_jNS1_19radix_merge_compareILb0ELb0EiNS0_19identity_decomposerEEEEE10hipError_tT0_T1_T2_jT3_P12ihipStream_tbPNSt15iterator_traitsISE_E10value_typeEPNSK_ISF_E10value_typeEPSG_NS1_7vsmem_tEENKUlT_SE_SF_SG_E_clIS8_S8_S9_S9_EESD_ST_SE_SF_SG_EUlST_E_NS1_11comp_targetILNS1_3genE0ELNS1_11target_archE4294967295ELNS1_3gpuE0ELNS1_3repE0EEENS1_48merge_mergepath_partition_config_static_selectorELNS0_4arch9wavefront6targetE0EEEvSF_
		.amdhsa_group_segment_fixed_size 0
		.amdhsa_private_segment_fixed_size 0
		.amdhsa_kernarg_size 40
		.amdhsa_user_sgpr_count 2
		.amdhsa_user_sgpr_dispatch_ptr 0
		.amdhsa_user_sgpr_queue_ptr 0
		.amdhsa_user_sgpr_kernarg_segment_ptr 1
		.amdhsa_user_sgpr_dispatch_id 0
		.amdhsa_user_sgpr_kernarg_preload_length 0
		.amdhsa_user_sgpr_kernarg_preload_offset 0
		.amdhsa_user_sgpr_private_segment_size 0
		.amdhsa_wavefront_size32 1
		.amdhsa_uses_dynamic_stack 0
		.amdhsa_enable_private_segment 0
		.amdhsa_system_sgpr_workgroup_id_x 1
		.amdhsa_system_sgpr_workgroup_id_y 0
		.amdhsa_system_sgpr_workgroup_id_z 0
		.amdhsa_system_sgpr_workgroup_info 0
		.amdhsa_system_vgpr_workitem_id 0
		.amdhsa_next_free_vgpr 17
		.amdhsa_next_free_sgpr 6
		.amdhsa_named_barrier_count 0
		.amdhsa_reserve_vcc 1
		.amdhsa_float_round_mode_32 0
		.amdhsa_float_round_mode_16_64 0
		.amdhsa_float_denorm_mode_32 3
		.amdhsa_float_denorm_mode_16_64 3
		.amdhsa_fp16_overflow 0
		.amdhsa_memory_ordered 1
		.amdhsa_forward_progress 1
		.amdhsa_inst_pref_size 4
		.amdhsa_round_robin_scheduling 0
		.amdhsa_exception_fp_ieee_invalid_op 0
		.amdhsa_exception_fp_denorm_src 0
		.amdhsa_exception_fp_ieee_div_zero 0
		.amdhsa_exception_fp_ieee_overflow 0
		.amdhsa_exception_fp_ieee_underflow 0
		.amdhsa_exception_fp_ieee_inexact 0
		.amdhsa_exception_int_div_zero 0
	.end_amdhsa_kernel
	.section	.text._ZN7rocprim17ROCPRIM_400000_NS6detail17trampoline_kernelINS0_14default_configENS1_38merge_sort_block_merge_config_selectorIiNS0_10empty_typeEEEZZNS1_27merge_sort_block_merge_implIS3_PiPS5_jNS1_19radix_merge_compareILb0ELb0EiNS0_19identity_decomposerEEEEE10hipError_tT0_T1_T2_jT3_P12ihipStream_tbPNSt15iterator_traitsISE_E10value_typeEPNSK_ISF_E10value_typeEPSG_NS1_7vsmem_tEENKUlT_SE_SF_SG_E_clIS8_S8_S9_S9_EESD_ST_SE_SF_SG_EUlST_E_NS1_11comp_targetILNS1_3genE0ELNS1_11target_archE4294967295ELNS1_3gpuE0ELNS1_3repE0EEENS1_48merge_mergepath_partition_config_static_selectorELNS0_4arch9wavefront6targetE0EEEvSF_,"axG",@progbits,_ZN7rocprim17ROCPRIM_400000_NS6detail17trampoline_kernelINS0_14default_configENS1_38merge_sort_block_merge_config_selectorIiNS0_10empty_typeEEEZZNS1_27merge_sort_block_merge_implIS3_PiPS5_jNS1_19radix_merge_compareILb0ELb0EiNS0_19identity_decomposerEEEEE10hipError_tT0_T1_T2_jT3_P12ihipStream_tbPNSt15iterator_traitsISE_E10value_typeEPNSK_ISF_E10value_typeEPSG_NS1_7vsmem_tEENKUlT_SE_SF_SG_E_clIS8_S8_S9_S9_EESD_ST_SE_SF_SG_EUlST_E_NS1_11comp_targetILNS1_3genE0ELNS1_11target_archE4294967295ELNS1_3gpuE0ELNS1_3repE0EEENS1_48merge_mergepath_partition_config_static_selectorELNS0_4arch9wavefront6targetE0EEEvSF_,comdat
.Lfunc_end894:
	.size	_ZN7rocprim17ROCPRIM_400000_NS6detail17trampoline_kernelINS0_14default_configENS1_38merge_sort_block_merge_config_selectorIiNS0_10empty_typeEEEZZNS1_27merge_sort_block_merge_implIS3_PiPS5_jNS1_19radix_merge_compareILb0ELb0EiNS0_19identity_decomposerEEEEE10hipError_tT0_T1_T2_jT3_P12ihipStream_tbPNSt15iterator_traitsISE_E10value_typeEPNSK_ISF_E10value_typeEPSG_NS1_7vsmem_tEENKUlT_SE_SF_SG_E_clIS8_S8_S9_S9_EESD_ST_SE_SF_SG_EUlST_E_NS1_11comp_targetILNS1_3genE0ELNS1_11target_archE4294967295ELNS1_3gpuE0ELNS1_3repE0EEENS1_48merge_mergepath_partition_config_static_selectorELNS0_4arch9wavefront6targetE0EEEvSF_, .Lfunc_end894-_ZN7rocprim17ROCPRIM_400000_NS6detail17trampoline_kernelINS0_14default_configENS1_38merge_sort_block_merge_config_selectorIiNS0_10empty_typeEEEZZNS1_27merge_sort_block_merge_implIS3_PiPS5_jNS1_19radix_merge_compareILb0ELb0EiNS0_19identity_decomposerEEEEE10hipError_tT0_T1_T2_jT3_P12ihipStream_tbPNSt15iterator_traitsISE_E10value_typeEPNSK_ISF_E10value_typeEPSG_NS1_7vsmem_tEENKUlT_SE_SF_SG_E_clIS8_S8_S9_S9_EESD_ST_SE_SF_SG_EUlST_E_NS1_11comp_targetILNS1_3genE0ELNS1_11target_archE4294967295ELNS1_3gpuE0ELNS1_3repE0EEENS1_48merge_mergepath_partition_config_static_selectorELNS0_4arch9wavefront6targetE0EEEvSF_
                                        ; -- End function
	.set _ZN7rocprim17ROCPRIM_400000_NS6detail17trampoline_kernelINS0_14default_configENS1_38merge_sort_block_merge_config_selectorIiNS0_10empty_typeEEEZZNS1_27merge_sort_block_merge_implIS3_PiPS5_jNS1_19radix_merge_compareILb0ELb0EiNS0_19identity_decomposerEEEEE10hipError_tT0_T1_T2_jT3_P12ihipStream_tbPNSt15iterator_traitsISE_E10value_typeEPNSK_ISF_E10value_typeEPSG_NS1_7vsmem_tEENKUlT_SE_SF_SG_E_clIS8_S8_S9_S9_EESD_ST_SE_SF_SG_EUlST_E_NS1_11comp_targetILNS1_3genE0ELNS1_11target_archE4294967295ELNS1_3gpuE0ELNS1_3repE0EEENS1_48merge_mergepath_partition_config_static_selectorELNS0_4arch9wavefront6targetE0EEEvSF_.num_vgpr, 17
	.set _ZN7rocprim17ROCPRIM_400000_NS6detail17trampoline_kernelINS0_14default_configENS1_38merge_sort_block_merge_config_selectorIiNS0_10empty_typeEEEZZNS1_27merge_sort_block_merge_implIS3_PiPS5_jNS1_19radix_merge_compareILb0ELb0EiNS0_19identity_decomposerEEEEE10hipError_tT0_T1_T2_jT3_P12ihipStream_tbPNSt15iterator_traitsISE_E10value_typeEPNSK_ISF_E10value_typeEPSG_NS1_7vsmem_tEENKUlT_SE_SF_SG_E_clIS8_S8_S9_S9_EESD_ST_SE_SF_SG_EUlST_E_NS1_11comp_targetILNS1_3genE0ELNS1_11target_archE4294967295ELNS1_3gpuE0ELNS1_3repE0EEENS1_48merge_mergepath_partition_config_static_selectorELNS0_4arch9wavefront6targetE0EEEvSF_.num_agpr, 0
	.set _ZN7rocprim17ROCPRIM_400000_NS6detail17trampoline_kernelINS0_14default_configENS1_38merge_sort_block_merge_config_selectorIiNS0_10empty_typeEEEZZNS1_27merge_sort_block_merge_implIS3_PiPS5_jNS1_19radix_merge_compareILb0ELb0EiNS0_19identity_decomposerEEEEE10hipError_tT0_T1_T2_jT3_P12ihipStream_tbPNSt15iterator_traitsISE_E10value_typeEPNSK_ISF_E10value_typeEPSG_NS1_7vsmem_tEENKUlT_SE_SF_SG_E_clIS8_S8_S9_S9_EESD_ST_SE_SF_SG_EUlST_E_NS1_11comp_targetILNS1_3genE0ELNS1_11target_archE4294967295ELNS1_3gpuE0ELNS1_3repE0EEENS1_48merge_mergepath_partition_config_static_selectorELNS0_4arch9wavefront6targetE0EEEvSF_.numbered_sgpr, 6
	.set _ZN7rocprim17ROCPRIM_400000_NS6detail17trampoline_kernelINS0_14default_configENS1_38merge_sort_block_merge_config_selectorIiNS0_10empty_typeEEEZZNS1_27merge_sort_block_merge_implIS3_PiPS5_jNS1_19radix_merge_compareILb0ELb0EiNS0_19identity_decomposerEEEEE10hipError_tT0_T1_T2_jT3_P12ihipStream_tbPNSt15iterator_traitsISE_E10value_typeEPNSK_ISF_E10value_typeEPSG_NS1_7vsmem_tEENKUlT_SE_SF_SG_E_clIS8_S8_S9_S9_EESD_ST_SE_SF_SG_EUlST_E_NS1_11comp_targetILNS1_3genE0ELNS1_11target_archE4294967295ELNS1_3gpuE0ELNS1_3repE0EEENS1_48merge_mergepath_partition_config_static_selectorELNS0_4arch9wavefront6targetE0EEEvSF_.num_named_barrier, 0
	.set _ZN7rocprim17ROCPRIM_400000_NS6detail17trampoline_kernelINS0_14default_configENS1_38merge_sort_block_merge_config_selectorIiNS0_10empty_typeEEEZZNS1_27merge_sort_block_merge_implIS3_PiPS5_jNS1_19radix_merge_compareILb0ELb0EiNS0_19identity_decomposerEEEEE10hipError_tT0_T1_T2_jT3_P12ihipStream_tbPNSt15iterator_traitsISE_E10value_typeEPNSK_ISF_E10value_typeEPSG_NS1_7vsmem_tEENKUlT_SE_SF_SG_E_clIS8_S8_S9_S9_EESD_ST_SE_SF_SG_EUlST_E_NS1_11comp_targetILNS1_3genE0ELNS1_11target_archE4294967295ELNS1_3gpuE0ELNS1_3repE0EEENS1_48merge_mergepath_partition_config_static_selectorELNS0_4arch9wavefront6targetE0EEEvSF_.private_seg_size, 0
	.set _ZN7rocprim17ROCPRIM_400000_NS6detail17trampoline_kernelINS0_14default_configENS1_38merge_sort_block_merge_config_selectorIiNS0_10empty_typeEEEZZNS1_27merge_sort_block_merge_implIS3_PiPS5_jNS1_19radix_merge_compareILb0ELb0EiNS0_19identity_decomposerEEEEE10hipError_tT0_T1_T2_jT3_P12ihipStream_tbPNSt15iterator_traitsISE_E10value_typeEPNSK_ISF_E10value_typeEPSG_NS1_7vsmem_tEENKUlT_SE_SF_SG_E_clIS8_S8_S9_S9_EESD_ST_SE_SF_SG_EUlST_E_NS1_11comp_targetILNS1_3genE0ELNS1_11target_archE4294967295ELNS1_3gpuE0ELNS1_3repE0EEENS1_48merge_mergepath_partition_config_static_selectorELNS0_4arch9wavefront6targetE0EEEvSF_.uses_vcc, 1
	.set _ZN7rocprim17ROCPRIM_400000_NS6detail17trampoline_kernelINS0_14default_configENS1_38merge_sort_block_merge_config_selectorIiNS0_10empty_typeEEEZZNS1_27merge_sort_block_merge_implIS3_PiPS5_jNS1_19radix_merge_compareILb0ELb0EiNS0_19identity_decomposerEEEEE10hipError_tT0_T1_T2_jT3_P12ihipStream_tbPNSt15iterator_traitsISE_E10value_typeEPNSK_ISF_E10value_typeEPSG_NS1_7vsmem_tEENKUlT_SE_SF_SG_E_clIS8_S8_S9_S9_EESD_ST_SE_SF_SG_EUlST_E_NS1_11comp_targetILNS1_3genE0ELNS1_11target_archE4294967295ELNS1_3gpuE0ELNS1_3repE0EEENS1_48merge_mergepath_partition_config_static_selectorELNS0_4arch9wavefront6targetE0EEEvSF_.uses_flat_scratch, 0
	.set _ZN7rocprim17ROCPRIM_400000_NS6detail17trampoline_kernelINS0_14default_configENS1_38merge_sort_block_merge_config_selectorIiNS0_10empty_typeEEEZZNS1_27merge_sort_block_merge_implIS3_PiPS5_jNS1_19radix_merge_compareILb0ELb0EiNS0_19identity_decomposerEEEEE10hipError_tT0_T1_T2_jT3_P12ihipStream_tbPNSt15iterator_traitsISE_E10value_typeEPNSK_ISF_E10value_typeEPSG_NS1_7vsmem_tEENKUlT_SE_SF_SG_E_clIS8_S8_S9_S9_EESD_ST_SE_SF_SG_EUlST_E_NS1_11comp_targetILNS1_3genE0ELNS1_11target_archE4294967295ELNS1_3gpuE0ELNS1_3repE0EEENS1_48merge_mergepath_partition_config_static_selectorELNS0_4arch9wavefront6targetE0EEEvSF_.has_dyn_sized_stack, 0
	.set _ZN7rocprim17ROCPRIM_400000_NS6detail17trampoline_kernelINS0_14default_configENS1_38merge_sort_block_merge_config_selectorIiNS0_10empty_typeEEEZZNS1_27merge_sort_block_merge_implIS3_PiPS5_jNS1_19radix_merge_compareILb0ELb0EiNS0_19identity_decomposerEEEEE10hipError_tT0_T1_T2_jT3_P12ihipStream_tbPNSt15iterator_traitsISE_E10value_typeEPNSK_ISF_E10value_typeEPSG_NS1_7vsmem_tEENKUlT_SE_SF_SG_E_clIS8_S8_S9_S9_EESD_ST_SE_SF_SG_EUlST_E_NS1_11comp_targetILNS1_3genE0ELNS1_11target_archE4294967295ELNS1_3gpuE0ELNS1_3repE0EEENS1_48merge_mergepath_partition_config_static_selectorELNS0_4arch9wavefront6targetE0EEEvSF_.has_recursion, 0
	.set _ZN7rocprim17ROCPRIM_400000_NS6detail17trampoline_kernelINS0_14default_configENS1_38merge_sort_block_merge_config_selectorIiNS0_10empty_typeEEEZZNS1_27merge_sort_block_merge_implIS3_PiPS5_jNS1_19radix_merge_compareILb0ELb0EiNS0_19identity_decomposerEEEEE10hipError_tT0_T1_T2_jT3_P12ihipStream_tbPNSt15iterator_traitsISE_E10value_typeEPNSK_ISF_E10value_typeEPSG_NS1_7vsmem_tEENKUlT_SE_SF_SG_E_clIS8_S8_S9_S9_EESD_ST_SE_SF_SG_EUlST_E_NS1_11comp_targetILNS1_3genE0ELNS1_11target_archE4294967295ELNS1_3gpuE0ELNS1_3repE0EEENS1_48merge_mergepath_partition_config_static_selectorELNS0_4arch9wavefront6targetE0EEEvSF_.has_indirect_call, 0
	.section	.AMDGPU.csdata,"",@progbits
; Kernel info:
; codeLenInByte = 436
; TotalNumSgprs: 8
; NumVgprs: 17
; ScratchSize: 0
; MemoryBound: 0
; FloatMode: 240
; IeeeMode: 1
; LDSByteSize: 0 bytes/workgroup (compile time only)
; SGPRBlocks: 0
; VGPRBlocks: 1
; NumSGPRsForWavesPerEU: 8
; NumVGPRsForWavesPerEU: 17
; NamedBarCnt: 0
; Occupancy: 16
; WaveLimiterHint : 0
; COMPUTE_PGM_RSRC2:SCRATCH_EN: 0
; COMPUTE_PGM_RSRC2:USER_SGPR: 2
; COMPUTE_PGM_RSRC2:TRAP_HANDLER: 0
; COMPUTE_PGM_RSRC2:TGID_X_EN: 1
; COMPUTE_PGM_RSRC2:TGID_Y_EN: 0
; COMPUTE_PGM_RSRC2:TGID_Z_EN: 0
; COMPUTE_PGM_RSRC2:TIDIG_COMP_CNT: 0
	.section	.text._ZN7rocprim17ROCPRIM_400000_NS6detail17trampoline_kernelINS0_14default_configENS1_38merge_sort_block_merge_config_selectorIiNS0_10empty_typeEEEZZNS1_27merge_sort_block_merge_implIS3_PiPS5_jNS1_19radix_merge_compareILb0ELb0EiNS0_19identity_decomposerEEEEE10hipError_tT0_T1_T2_jT3_P12ihipStream_tbPNSt15iterator_traitsISE_E10value_typeEPNSK_ISF_E10value_typeEPSG_NS1_7vsmem_tEENKUlT_SE_SF_SG_E_clIS8_S8_S9_S9_EESD_ST_SE_SF_SG_EUlST_E_NS1_11comp_targetILNS1_3genE10ELNS1_11target_archE1201ELNS1_3gpuE5ELNS1_3repE0EEENS1_48merge_mergepath_partition_config_static_selectorELNS0_4arch9wavefront6targetE0EEEvSF_,"axG",@progbits,_ZN7rocprim17ROCPRIM_400000_NS6detail17trampoline_kernelINS0_14default_configENS1_38merge_sort_block_merge_config_selectorIiNS0_10empty_typeEEEZZNS1_27merge_sort_block_merge_implIS3_PiPS5_jNS1_19radix_merge_compareILb0ELb0EiNS0_19identity_decomposerEEEEE10hipError_tT0_T1_T2_jT3_P12ihipStream_tbPNSt15iterator_traitsISE_E10value_typeEPNSK_ISF_E10value_typeEPSG_NS1_7vsmem_tEENKUlT_SE_SF_SG_E_clIS8_S8_S9_S9_EESD_ST_SE_SF_SG_EUlST_E_NS1_11comp_targetILNS1_3genE10ELNS1_11target_archE1201ELNS1_3gpuE5ELNS1_3repE0EEENS1_48merge_mergepath_partition_config_static_selectorELNS0_4arch9wavefront6targetE0EEEvSF_,comdat
	.protected	_ZN7rocprim17ROCPRIM_400000_NS6detail17trampoline_kernelINS0_14default_configENS1_38merge_sort_block_merge_config_selectorIiNS0_10empty_typeEEEZZNS1_27merge_sort_block_merge_implIS3_PiPS5_jNS1_19radix_merge_compareILb0ELb0EiNS0_19identity_decomposerEEEEE10hipError_tT0_T1_T2_jT3_P12ihipStream_tbPNSt15iterator_traitsISE_E10value_typeEPNSK_ISF_E10value_typeEPSG_NS1_7vsmem_tEENKUlT_SE_SF_SG_E_clIS8_S8_S9_S9_EESD_ST_SE_SF_SG_EUlST_E_NS1_11comp_targetILNS1_3genE10ELNS1_11target_archE1201ELNS1_3gpuE5ELNS1_3repE0EEENS1_48merge_mergepath_partition_config_static_selectorELNS0_4arch9wavefront6targetE0EEEvSF_ ; -- Begin function _ZN7rocprim17ROCPRIM_400000_NS6detail17trampoline_kernelINS0_14default_configENS1_38merge_sort_block_merge_config_selectorIiNS0_10empty_typeEEEZZNS1_27merge_sort_block_merge_implIS3_PiPS5_jNS1_19radix_merge_compareILb0ELb0EiNS0_19identity_decomposerEEEEE10hipError_tT0_T1_T2_jT3_P12ihipStream_tbPNSt15iterator_traitsISE_E10value_typeEPNSK_ISF_E10value_typeEPSG_NS1_7vsmem_tEENKUlT_SE_SF_SG_E_clIS8_S8_S9_S9_EESD_ST_SE_SF_SG_EUlST_E_NS1_11comp_targetILNS1_3genE10ELNS1_11target_archE1201ELNS1_3gpuE5ELNS1_3repE0EEENS1_48merge_mergepath_partition_config_static_selectorELNS0_4arch9wavefront6targetE0EEEvSF_
	.globl	_ZN7rocprim17ROCPRIM_400000_NS6detail17trampoline_kernelINS0_14default_configENS1_38merge_sort_block_merge_config_selectorIiNS0_10empty_typeEEEZZNS1_27merge_sort_block_merge_implIS3_PiPS5_jNS1_19radix_merge_compareILb0ELb0EiNS0_19identity_decomposerEEEEE10hipError_tT0_T1_T2_jT3_P12ihipStream_tbPNSt15iterator_traitsISE_E10value_typeEPNSK_ISF_E10value_typeEPSG_NS1_7vsmem_tEENKUlT_SE_SF_SG_E_clIS8_S8_S9_S9_EESD_ST_SE_SF_SG_EUlST_E_NS1_11comp_targetILNS1_3genE10ELNS1_11target_archE1201ELNS1_3gpuE5ELNS1_3repE0EEENS1_48merge_mergepath_partition_config_static_selectorELNS0_4arch9wavefront6targetE0EEEvSF_
	.p2align	8
	.type	_ZN7rocprim17ROCPRIM_400000_NS6detail17trampoline_kernelINS0_14default_configENS1_38merge_sort_block_merge_config_selectorIiNS0_10empty_typeEEEZZNS1_27merge_sort_block_merge_implIS3_PiPS5_jNS1_19radix_merge_compareILb0ELb0EiNS0_19identity_decomposerEEEEE10hipError_tT0_T1_T2_jT3_P12ihipStream_tbPNSt15iterator_traitsISE_E10value_typeEPNSK_ISF_E10value_typeEPSG_NS1_7vsmem_tEENKUlT_SE_SF_SG_E_clIS8_S8_S9_S9_EESD_ST_SE_SF_SG_EUlST_E_NS1_11comp_targetILNS1_3genE10ELNS1_11target_archE1201ELNS1_3gpuE5ELNS1_3repE0EEENS1_48merge_mergepath_partition_config_static_selectorELNS0_4arch9wavefront6targetE0EEEvSF_,@function
_ZN7rocprim17ROCPRIM_400000_NS6detail17trampoline_kernelINS0_14default_configENS1_38merge_sort_block_merge_config_selectorIiNS0_10empty_typeEEEZZNS1_27merge_sort_block_merge_implIS3_PiPS5_jNS1_19radix_merge_compareILb0ELb0EiNS0_19identity_decomposerEEEEE10hipError_tT0_T1_T2_jT3_P12ihipStream_tbPNSt15iterator_traitsISE_E10value_typeEPNSK_ISF_E10value_typeEPSG_NS1_7vsmem_tEENKUlT_SE_SF_SG_E_clIS8_S8_S9_S9_EESD_ST_SE_SF_SG_EUlST_E_NS1_11comp_targetILNS1_3genE10ELNS1_11target_archE1201ELNS1_3gpuE5ELNS1_3repE0EEENS1_48merge_mergepath_partition_config_static_selectorELNS0_4arch9wavefront6targetE0EEEvSF_: ; @_ZN7rocprim17ROCPRIM_400000_NS6detail17trampoline_kernelINS0_14default_configENS1_38merge_sort_block_merge_config_selectorIiNS0_10empty_typeEEEZZNS1_27merge_sort_block_merge_implIS3_PiPS5_jNS1_19radix_merge_compareILb0ELb0EiNS0_19identity_decomposerEEEEE10hipError_tT0_T1_T2_jT3_P12ihipStream_tbPNSt15iterator_traitsISE_E10value_typeEPNSK_ISF_E10value_typeEPSG_NS1_7vsmem_tEENKUlT_SE_SF_SG_E_clIS8_S8_S9_S9_EESD_ST_SE_SF_SG_EUlST_E_NS1_11comp_targetILNS1_3genE10ELNS1_11target_archE1201ELNS1_3gpuE5ELNS1_3repE0EEENS1_48merge_mergepath_partition_config_static_selectorELNS0_4arch9wavefront6targetE0EEEvSF_
; %bb.0:
	.section	.rodata,"a",@progbits
	.p2align	6, 0x0
	.amdhsa_kernel _ZN7rocprim17ROCPRIM_400000_NS6detail17trampoline_kernelINS0_14default_configENS1_38merge_sort_block_merge_config_selectorIiNS0_10empty_typeEEEZZNS1_27merge_sort_block_merge_implIS3_PiPS5_jNS1_19radix_merge_compareILb0ELb0EiNS0_19identity_decomposerEEEEE10hipError_tT0_T1_T2_jT3_P12ihipStream_tbPNSt15iterator_traitsISE_E10value_typeEPNSK_ISF_E10value_typeEPSG_NS1_7vsmem_tEENKUlT_SE_SF_SG_E_clIS8_S8_S9_S9_EESD_ST_SE_SF_SG_EUlST_E_NS1_11comp_targetILNS1_3genE10ELNS1_11target_archE1201ELNS1_3gpuE5ELNS1_3repE0EEENS1_48merge_mergepath_partition_config_static_selectorELNS0_4arch9wavefront6targetE0EEEvSF_
		.amdhsa_group_segment_fixed_size 0
		.amdhsa_private_segment_fixed_size 0
		.amdhsa_kernarg_size 40
		.amdhsa_user_sgpr_count 2
		.amdhsa_user_sgpr_dispatch_ptr 0
		.amdhsa_user_sgpr_queue_ptr 0
		.amdhsa_user_sgpr_kernarg_segment_ptr 1
		.amdhsa_user_sgpr_dispatch_id 0
		.amdhsa_user_sgpr_kernarg_preload_length 0
		.amdhsa_user_sgpr_kernarg_preload_offset 0
		.amdhsa_user_sgpr_private_segment_size 0
		.amdhsa_wavefront_size32 1
		.amdhsa_uses_dynamic_stack 0
		.amdhsa_enable_private_segment 0
		.amdhsa_system_sgpr_workgroup_id_x 1
		.amdhsa_system_sgpr_workgroup_id_y 0
		.amdhsa_system_sgpr_workgroup_id_z 0
		.amdhsa_system_sgpr_workgroup_info 0
		.amdhsa_system_vgpr_workitem_id 0
		.amdhsa_next_free_vgpr 1
		.amdhsa_next_free_sgpr 1
		.amdhsa_named_barrier_count 0
		.amdhsa_reserve_vcc 0
		.amdhsa_float_round_mode_32 0
		.amdhsa_float_round_mode_16_64 0
		.amdhsa_float_denorm_mode_32 3
		.amdhsa_float_denorm_mode_16_64 3
		.amdhsa_fp16_overflow 0
		.amdhsa_memory_ordered 1
		.amdhsa_forward_progress 1
		.amdhsa_inst_pref_size 0
		.amdhsa_round_robin_scheduling 0
		.amdhsa_exception_fp_ieee_invalid_op 0
		.amdhsa_exception_fp_denorm_src 0
		.amdhsa_exception_fp_ieee_div_zero 0
		.amdhsa_exception_fp_ieee_overflow 0
		.amdhsa_exception_fp_ieee_underflow 0
		.amdhsa_exception_fp_ieee_inexact 0
		.amdhsa_exception_int_div_zero 0
	.end_amdhsa_kernel
	.section	.text._ZN7rocprim17ROCPRIM_400000_NS6detail17trampoline_kernelINS0_14default_configENS1_38merge_sort_block_merge_config_selectorIiNS0_10empty_typeEEEZZNS1_27merge_sort_block_merge_implIS3_PiPS5_jNS1_19radix_merge_compareILb0ELb0EiNS0_19identity_decomposerEEEEE10hipError_tT0_T1_T2_jT3_P12ihipStream_tbPNSt15iterator_traitsISE_E10value_typeEPNSK_ISF_E10value_typeEPSG_NS1_7vsmem_tEENKUlT_SE_SF_SG_E_clIS8_S8_S9_S9_EESD_ST_SE_SF_SG_EUlST_E_NS1_11comp_targetILNS1_3genE10ELNS1_11target_archE1201ELNS1_3gpuE5ELNS1_3repE0EEENS1_48merge_mergepath_partition_config_static_selectorELNS0_4arch9wavefront6targetE0EEEvSF_,"axG",@progbits,_ZN7rocprim17ROCPRIM_400000_NS6detail17trampoline_kernelINS0_14default_configENS1_38merge_sort_block_merge_config_selectorIiNS0_10empty_typeEEEZZNS1_27merge_sort_block_merge_implIS3_PiPS5_jNS1_19radix_merge_compareILb0ELb0EiNS0_19identity_decomposerEEEEE10hipError_tT0_T1_T2_jT3_P12ihipStream_tbPNSt15iterator_traitsISE_E10value_typeEPNSK_ISF_E10value_typeEPSG_NS1_7vsmem_tEENKUlT_SE_SF_SG_E_clIS8_S8_S9_S9_EESD_ST_SE_SF_SG_EUlST_E_NS1_11comp_targetILNS1_3genE10ELNS1_11target_archE1201ELNS1_3gpuE5ELNS1_3repE0EEENS1_48merge_mergepath_partition_config_static_selectorELNS0_4arch9wavefront6targetE0EEEvSF_,comdat
.Lfunc_end895:
	.size	_ZN7rocprim17ROCPRIM_400000_NS6detail17trampoline_kernelINS0_14default_configENS1_38merge_sort_block_merge_config_selectorIiNS0_10empty_typeEEEZZNS1_27merge_sort_block_merge_implIS3_PiPS5_jNS1_19radix_merge_compareILb0ELb0EiNS0_19identity_decomposerEEEEE10hipError_tT0_T1_T2_jT3_P12ihipStream_tbPNSt15iterator_traitsISE_E10value_typeEPNSK_ISF_E10value_typeEPSG_NS1_7vsmem_tEENKUlT_SE_SF_SG_E_clIS8_S8_S9_S9_EESD_ST_SE_SF_SG_EUlST_E_NS1_11comp_targetILNS1_3genE10ELNS1_11target_archE1201ELNS1_3gpuE5ELNS1_3repE0EEENS1_48merge_mergepath_partition_config_static_selectorELNS0_4arch9wavefront6targetE0EEEvSF_, .Lfunc_end895-_ZN7rocprim17ROCPRIM_400000_NS6detail17trampoline_kernelINS0_14default_configENS1_38merge_sort_block_merge_config_selectorIiNS0_10empty_typeEEEZZNS1_27merge_sort_block_merge_implIS3_PiPS5_jNS1_19radix_merge_compareILb0ELb0EiNS0_19identity_decomposerEEEEE10hipError_tT0_T1_T2_jT3_P12ihipStream_tbPNSt15iterator_traitsISE_E10value_typeEPNSK_ISF_E10value_typeEPSG_NS1_7vsmem_tEENKUlT_SE_SF_SG_E_clIS8_S8_S9_S9_EESD_ST_SE_SF_SG_EUlST_E_NS1_11comp_targetILNS1_3genE10ELNS1_11target_archE1201ELNS1_3gpuE5ELNS1_3repE0EEENS1_48merge_mergepath_partition_config_static_selectorELNS0_4arch9wavefront6targetE0EEEvSF_
                                        ; -- End function
	.set _ZN7rocprim17ROCPRIM_400000_NS6detail17trampoline_kernelINS0_14default_configENS1_38merge_sort_block_merge_config_selectorIiNS0_10empty_typeEEEZZNS1_27merge_sort_block_merge_implIS3_PiPS5_jNS1_19radix_merge_compareILb0ELb0EiNS0_19identity_decomposerEEEEE10hipError_tT0_T1_T2_jT3_P12ihipStream_tbPNSt15iterator_traitsISE_E10value_typeEPNSK_ISF_E10value_typeEPSG_NS1_7vsmem_tEENKUlT_SE_SF_SG_E_clIS8_S8_S9_S9_EESD_ST_SE_SF_SG_EUlST_E_NS1_11comp_targetILNS1_3genE10ELNS1_11target_archE1201ELNS1_3gpuE5ELNS1_3repE0EEENS1_48merge_mergepath_partition_config_static_selectorELNS0_4arch9wavefront6targetE0EEEvSF_.num_vgpr, 0
	.set _ZN7rocprim17ROCPRIM_400000_NS6detail17trampoline_kernelINS0_14default_configENS1_38merge_sort_block_merge_config_selectorIiNS0_10empty_typeEEEZZNS1_27merge_sort_block_merge_implIS3_PiPS5_jNS1_19radix_merge_compareILb0ELb0EiNS0_19identity_decomposerEEEEE10hipError_tT0_T1_T2_jT3_P12ihipStream_tbPNSt15iterator_traitsISE_E10value_typeEPNSK_ISF_E10value_typeEPSG_NS1_7vsmem_tEENKUlT_SE_SF_SG_E_clIS8_S8_S9_S9_EESD_ST_SE_SF_SG_EUlST_E_NS1_11comp_targetILNS1_3genE10ELNS1_11target_archE1201ELNS1_3gpuE5ELNS1_3repE0EEENS1_48merge_mergepath_partition_config_static_selectorELNS0_4arch9wavefront6targetE0EEEvSF_.num_agpr, 0
	.set _ZN7rocprim17ROCPRIM_400000_NS6detail17trampoline_kernelINS0_14default_configENS1_38merge_sort_block_merge_config_selectorIiNS0_10empty_typeEEEZZNS1_27merge_sort_block_merge_implIS3_PiPS5_jNS1_19radix_merge_compareILb0ELb0EiNS0_19identity_decomposerEEEEE10hipError_tT0_T1_T2_jT3_P12ihipStream_tbPNSt15iterator_traitsISE_E10value_typeEPNSK_ISF_E10value_typeEPSG_NS1_7vsmem_tEENKUlT_SE_SF_SG_E_clIS8_S8_S9_S9_EESD_ST_SE_SF_SG_EUlST_E_NS1_11comp_targetILNS1_3genE10ELNS1_11target_archE1201ELNS1_3gpuE5ELNS1_3repE0EEENS1_48merge_mergepath_partition_config_static_selectorELNS0_4arch9wavefront6targetE0EEEvSF_.numbered_sgpr, 0
	.set _ZN7rocprim17ROCPRIM_400000_NS6detail17trampoline_kernelINS0_14default_configENS1_38merge_sort_block_merge_config_selectorIiNS0_10empty_typeEEEZZNS1_27merge_sort_block_merge_implIS3_PiPS5_jNS1_19radix_merge_compareILb0ELb0EiNS0_19identity_decomposerEEEEE10hipError_tT0_T1_T2_jT3_P12ihipStream_tbPNSt15iterator_traitsISE_E10value_typeEPNSK_ISF_E10value_typeEPSG_NS1_7vsmem_tEENKUlT_SE_SF_SG_E_clIS8_S8_S9_S9_EESD_ST_SE_SF_SG_EUlST_E_NS1_11comp_targetILNS1_3genE10ELNS1_11target_archE1201ELNS1_3gpuE5ELNS1_3repE0EEENS1_48merge_mergepath_partition_config_static_selectorELNS0_4arch9wavefront6targetE0EEEvSF_.num_named_barrier, 0
	.set _ZN7rocprim17ROCPRIM_400000_NS6detail17trampoline_kernelINS0_14default_configENS1_38merge_sort_block_merge_config_selectorIiNS0_10empty_typeEEEZZNS1_27merge_sort_block_merge_implIS3_PiPS5_jNS1_19radix_merge_compareILb0ELb0EiNS0_19identity_decomposerEEEEE10hipError_tT0_T1_T2_jT3_P12ihipStream_tbPNSt15iterator_traitsISE_E10value_typeEPNSK_ISF_E10value_typeEPSG_NS1_7vsmem_tEENKUlT_SE_SF_SG_E_clIS8_S8_S9_S9_EESD_ST_SE_SF_SG_EUlST_E_NS1_11comp_targetILNS1_3genE10ELNS1_11target_archE1201ELNS1_3gpuE5ELNS1_3repE0EEENS1_48merge_mergepath_partition_config_static_selectorELNS0_4arch9wavefront6targetE0EEEvSF_.private_seg_size, 0
	.set _ZN7rocprim17ROCPRIM_400000_NS6detail17trampoline_kernelINS0_14default_configENS1_38merge_sort_block_merge_config_selectorIiNS0_10empty_typeEEEZZNS1_27merge_sort_block_merge_implIS3_PiPS5_jNS1_19radix_merge_compareILb0ELb0EiNS0_19identity_decomposerEEEEE10hipError_tT0_T1_T2_jT3_P12ihipStream_tbPNSt15iterator_traitsISE_E10value_typeEPNSK_ISF_E10value_typeEPSG_NS1_7vsmem_tEENKUlT_SE_SF_SG_E_clIS8_S8_S9_S9_EESD_ST_SE_SF_SG_EUlST_E_NS1_11comp_targetILNS1_3genE10ELNS1_11target_archE1201ELNS1_3gpuE5ELNS1_3repE0EEENS1_48merge_mergepath_partition_config_static_selectorELNS0_4arch9wavefront6targetE0EEEvSF_.uses_vcc, 0
	.set _ZN7rocprim17ROCPRIM_400000_NS6detail17trampoline_kernelINS0_14default_configENS1_38merge_sort_block_merge_config_selectorIiNS0_10empty_typeEEEZZNS1_27merge_sort_block_merge_implIS3_PiPS5_jNS1_19radix_merge_compareILb0ELb0EiNS0_19identity_decomposerEEEEE10hipError_tT0_T1_T2_jT3_P12ihipStream_tbPNSt15iterator_traitsISE_E10value_typeEPNSK_ISF_E10value_typeEPSG_NS1_7vsmem_tEENKUlT_SE_SF_SG_E_clIS8_S8_S9_S9_EESD_ST_SE_SF_SG_EUlST_E_NS1_11comp_targetILNS1_3genE10ELNS1_11target_archE1201ELNS1_3gpuE5ELNS1_3repE0EEENS1_48merge_mergepath_partition_config_static_selectorELNS0_4arch9wavefront6targetE0EEEvSF_.uses_flat_scratch, 0
	.set _ZN7rocprim17ROCPRIM_400000_NS6detail17trampoline_kernelINS0_14default_configENS1_38merge_sort_block_merge_config_selectorIiNS0_10empty_typeEEEZZNS1_27merge_sort_block_merge_implIS3_PiPS5_jNS1_19radix_merge_compareILb0ELb0EiNS0_19identity_decomposerEEEEE10hipError_tT0_T1_T2_jT3_P12ihipStream_tbPNSt15iterator_traitsISE_E10value_typeEPNSK_ISF_E10value_typeEPSG_NS1_7vsmem_tEENKUlT_SE_SF_SG_E_clIS8_S8_S9_S9_EESD_ST_SE_SF_SG_EUlST_E_NS1_11comp_targetILNS1_3genE10ELNS1_11target_archE1201ELNS1_3gpuE5ELNS1_3repE0EEENS1_48merge_mergepath_partition_config_static_selectorELNS0_4arch9wavefront6targetE0EEEvSF_.has_dyn_sized_stack, 0
	.set _ZN7rocprim17ROCPRIM_400000_NS6detail17trampoline_kernelINS0_14default_configENS1_38merge_sort_block_merge_config_selectorIiNS0_10empty_typeEEEZZNS1_27merge_sort_block_merge_implIS3_PiPS5_jNS1_19radix_merge_compareILb0ELb0EiNS0_19identity_decomposerEEEEE10hipError_tT0_T1_T2_jT3_P12ihipStream_tbPNSt15iterator_traitsISE_E10value_typeEPNSK_ISF_E10value_typeEPSG_NS1_7vsmem_tEENKUlT_SE_SF_SG_E_clIS8_S8_S9_S9_EESD_ST_SE_SF_SG_EUlST_E_NS1_11comp_targetILNS1_3genE10ELNS1_11target_archE1201ELNS1_3gpuE5ELNS1_3repE0EEENS1_48merge_mergepath_partition_config_static_selectorELNS0_4arch9wavefront6targetE0EEEvSF_.has_recursion, 0
	.set _ZN7rocprim17ROCPRIM_400000_NS6detail17trampoline_kernelINS0_14default_configENS1_38merge_sort_block_merge_config_selectorIiNS0_10empty_typeEEEZZNS1_27merge_sort_block_merge_implIS3_PiPS5_jNS1_19radix_merge_compareILb0ELb0EiNS0_19identity_decomposerEEEEE10hipError_tT0_T1_T2_jT3_P12ihipStream_tbPNSt15iterator_traitsISE_E10value_typeEPNSK_ISF_E10value_typeEPSG_NS1_7vsmem_tEENKUlT_SE_SF_SG_E_clIS8_S8_S9_S9_EESD_ST_SE_SF_SG_EUlST_E_NS1_11comp_targetILNS1_3genE10ELNS1_11target_archE1201ELNS1_3gpuE5ELNS1_3repE0EEENS1_48merge_mergepath_partition_config_static_selectorELNS0_4arch9wavefront6targetE0EEEvSF_.has_indirect_call, 0
	.section	.AMDGPU.csdata,"",@progbits
; Kernel info:
; codeLenInByte = 0
; TotalNumSgprs: 0
; NumVgprs: 0
; ScratchSize: 0
; MemoryBound: 0
; FloatMode: 240
; IeeeMode: 1
; LDSByteSize: 0 bytes/workgroup (compile time only)
; SGPRBlocks: 0
; VGPRBlocks: 0
; NumSGPRsForWavesPerEU: 1
; NumVGPRsForWavesPerEU: 1
; NamedBarCnt: 0
; Occupancy: 16
; WaveLimiterHint : 0
; COMPUTE_PGM_RSRC2:SCRATCH_EN: 0
; COMPUTE_PGM_RSRC2:USER_SGPR: 2
; COMPUTE_PGM_RSRC2:TRAP_HANDLER: 0
; COMPUTE_PGM_RSRC2:TGID_X_EN: 1
; COMPUTE_PGM_RSRC2:TGID_Y_EN: 0
; COMPUTE_PGM_RSRC2:TGID_Z_EN: 0
; COMPUTE_PGM_RSRC2:TIDIG_COMP_CNT: 0
	.section	.text._ZN7rocprim17ROCPRIM_400000_NS6detail17trampoline_kernelINS0_14default_configENS1_38merge_sort_block_merge_config_selectorIiNS0_10empty_typeEEEZZNS1_27merge_sort_block_merge_implIS3_PiPS5_jNS1_19radix_merge_compareILb0ELb0EiNS0_19identity_decomposerEEEEE10hipError_tT0_T1_T2_jT3_P12ihipStream_tbPNSt15iterator_traitsISE_E10value_typeEPNSK_ISF_E10value_typeEPSG_NS1_7vsmem_tEENKUlT_SE_SF_SG_E_clIS8_S8_S9_S9_EESD_ST_SE_SF_SG_EUlST_E_NS1_11comp_targetILNS1_3genE5ELNS1_11target_archE942ELNS1_3gpuE9ELNS1_3repE0EEENS1_48merge_mergepath_partition_config_static_selectorELNS0_4arch9wavefront6targetE0EEEvSF_,"axG",@progbits,_ZN7rocprim17ROCPRIM_400000_NS6detail17trampoline_kernelINS0_14default_configENS1_38merge_sort_block_merge_config_selectorIiNS0_10empty_typeEEEZZNS1_27merge_sort_block_merge_implIS3_PiPS5_jNS1_19radix_merge_compareILb0ELb0EiNS0_19identity_decomposerEEEEE10hipError_tT0_T1_T2_jT3_P12ihipStream_tbPNSt15iterator_traitsISE_E10value_typeEPNSK_ISF_E10value_typeEPSG_NS1_7vsmem_tEENKUlT_SE_SF_SG_E_clIS8_S8_S9_S9_EESD_ST_SE_SF_SG_EUlST_E_NS1_11comp_targetILNS1_3genE5ELNS1_11target_archE942ELNS1_3gpuE9ELNS1_3repE0EEENS1_48merge_mergepath_partition_config_static_selectorELNS0_4arch9wavefront6targetE0EEEvSF_,comdat
	.protected	_ZN7rocprim17ROCPRIM_400000_NS6detail17trampoline_kernelINS0_14default_configENS1_38merge_sort_block_merge_config_selectorIiNS0_10empty_typeEEEZZNS1_27merge_sort_block_merge_implIS3_PiPS5_jNS1_19radix_merge_compareILb0ELb0EiNS0_19identity_decomposerEEEEE10hipError_tT0_T1_T2_jT3_P12ihipStream_tbPNSt15iterator_traitsISE_E10value_typeEPNSK_ISF_E10value_typeEPSG_NS1_7vsmem_tEENKUlT_SE_SF_SG_E_clIS8_S8_S9_S9_EESD_ST_SE_SF_SG_EUlST_E_NS1_11comp_targetILNS1_3genE5ELNS1_11target_archE942ELNS1_3gpuE9ELNS1_3repE0EEENS1_48merge_mergepath_partition_config_static_selectorELNS0_4arch9wavefront6targetE0EEEvSF_ ; -- Begin function _ZN7rocprim17ROCPRIM_400000_NS6detail17trampoline_kernelINS0_14default_configENS1_38merge_sort_block_merge_config_selectorIiNS0_10empty_typeEEEZZNS1_27merge_sort_block_merge_implIS3_PiPS5_jNS1_19radix_merge_compareILb0ELb0EiNS0_19identity_decomposerEEEEE10hipError_tT0_T1_T2_jT3_P12ihipStream_tbPNSt15iterator_traitsISE_E10value_typeEPNSK_ISF_E10value_typeEPSG_NS1_7vsmem_tEENKUlT_SE_SF_SG_E_clIS8_S8_S9_S9_EESD_ST_SE_SF_SG_EUlST_E_NS1_11comp_targetILNS1_3genE5ELNS1_11target_archE942ELNS1_3gpuE9ELNS1_3repE0EEENS1_48merge_mergepath_partition_config_static_selectorELNS0_4arch9wavefront6targetE0EEEvSF_
	.globl	_ZN7rocprim17ROCPRIM_400000_NS6detail17trampoline_kernelINS0_14default_configENS1_38merge_sort_block_merge_config_selectorIiNS0_10empty_typeEEEZZNS1_27merge_sort_block_merge_implIS3_PiPS5_jNS1_19radix_merge_compareILb0ELb0EiNS0_19identity_decomposerEEEEE10hipError_tT0_T1_T2_jT3_P12ihipStream_tbPNSt15iterator_traitsISE_E10value_typeEPNSK_ISF_E10value_typeEPSG_NS1_7vsmem_tEENKUlT_SE_SF_SG_E_clIS8_S8_S9_S9_EESD_ST_SE_SF_SG_EUlST_E_NS1_11comp_targetILNS1_3genE5ELNS1_11target_archE942ELNS1_3gpuE9ELNS1_3repE0EEENS1_48merge_mergepath_partition_config_static_selectorELNS0_4arch9wavefront6targetE0EEEvSF_
	.p2align	8
	.type	_ZN7rocprim17ROCPRIM_400000_NS6detail17trampoline_kernelINS0_14default_configENS1_38merge_sort_block_merge_config_selectorIiNS0_10empty_typeEEEZZNS1_27merge_sort_block_merge_implIS3_PiPS5_jNS1_19radix_merge_compareILb0ELb0EiNS0_19identity_decomposerEEEEE10hipError_tT0_T1_T2_jT3_P12ihipStream_tbPNSt15iterator_traitsISE_E10value_typeEPNSK_ISF_E10value_typeEPSG_NS1_7vsmem_tEENKUlT_SE_SF_SG_E_clIS8_S8_S9_S9_EESD_ST_SE_SF_SG_EUlST_E_NS1_11comp_targetILNS1_3genE5ELNS1_11target_archE942ELNS1_3gpuE9ELNS1_3repE0EEENS1_48merge_mergepath_partition_config_static_selectorELNS0_4arch9wavefront6targetE0EEEvSF_,@function
_ZN7rocprim17ROCPRIM_400000_NS6detail17trampoline_kernelINS0_14default_configENS1_38merge_sort_block_merge_config_selectorIiNS0_10empty_typeEEEZZNS1_27merge_sort_block_merge_implIS3_PiPS5_jNS1_19radix_merge_compareILb0ELb0EiNS0_19identity_decomposerEEEEE10hipError_tT0_T1_T2_jT3_P12ihipStream_tbPNSt15iterator_traitsISE_E10value_typeEPNSK_ISF_E10value_typeEPSG_NS1_7vsmem_tEENKUlT_SE_SF_SG_E_clIS8_S8_S9_S9_EESD_ST_SE_SF_SG_EUlST_E_NS1_11comp_targetILNS1_3genE5ELNS1_11target_archE942ELNS1_3gpuE9ELNS1_3repE0EEENS1_48merge_mergepath_partition_config_static_selectorELNS0_4arch9wavefront6targetE0EEEvSF_: ; @_ZN7rocprim17ROCPRIM_400000_NS6detail17trampoline_kernelINS0_14default_configENS1_38merge_sort_block_merge_config_selectorIiNS0_10empty_typeEEEZZNS1_27merge_sort_block_merge_implIS3_PiPS5_jNS1_19radix_merge_compareILb0ELb0EiNS0_19identity_decomposerEEEEE10hipError_tT0_T1_T2_jT3_P12ihipStream_tbPNSt15iterator_traitsISE_E10value_typeEPNSK_ISF_E10value_typeEPSG_NS1_7vsmem_tEENKUlT_SE_SF_SG_E_clIS8_S8_S9_S9_EESD_ST_SE_SF_SG_EUlST_E_NS1_11comp_targetILNS1_3genE5ELNS1_11target_archE942ELNS1_3gpuE9ELNS1_3repE0EEENS1_48merge_mergepath_partition_config_static_selectorELNS0_4arch9wavefront6targetE0EEEvSF_
; %bb.0:
	.section	.rodata,"a",@progbits
	.p2align	6, 0x0
	.amdhsa_kernel _ZN7rocprim17ROCPRIM_400000_NS6detail17trampoline_kernelINS0_14default_configENS1_38merge_sort_block_merge_config_selectorIiNS0_10empty_typeEEEZZNS1_27merge_sort_block_merge_implIS3_PiPS5_jNS1_19radix_merge_compareILb0ELb0EiNS0_19identity_decomposerEEEEE10hipError_tT0_T1_T2_jT3_P12ihipStream_tbPNSt15iterator_traitsISE_E10value_typeEPNSK_ISF_E10value_typeEPSG_NS1_7vsmem_tEENKUlT_SE_SF_SG_E_clIS8_S8_S9_S9_EESD_ST_SE_SF_SG_EUlST_E_NS1_11comp_targetILNS1_3genE5ELNS1_11target_archE942ELNS1_3gpuE9ELNS1_3repE0EEENS1_48merge_mergepath_partition_config_static_selectorELNS0_4arch9wavefront6targetE0EEEvSF_
		.amdhsa_group_segment_fixed_size 0
		.amdhsa_private_segment_fixed_size 0
		.amdhsa_kernarg_size 40
		.amdhsa_user_sgpr_count 2
		.amdhsa_user_sgpr_dispatch_ptr 0
		.amdhsa_user_sgpr_queue_ptr 0
		.amdhsa_user_sgpr_kernarg_segment_ptr 1
		.amdhsa_user_sgpr_dispatch_id 0
		.amdhsa_user_sgpr_kernarg_preload_length 0
		.amdhsa_user_sgpr_kernarg_preload_offset 0
		.amdhsa_user_sgpr_private_segment_size 0
		.amdhsa_wavefront_size32 1
		.amdhsa_uses_dynamic_stack 0
		.amdhsa_enable_private_segment 0
		.amdhsa_system_sgpr_workgroup_id_x 1
		.amdhsa_system_sgpr_workgroup_id_y 0
		.amdhsa_system_sgpr_workgroup_id_z 0
		.amdhsa_system_sgpr_workgroup_info 0
		.amdhsa_system_vgpr_workitem_id 0
		.amdhsa_next_free_vgpr 1
		.amdhsa_next_free_sgpr 1
		.amdhsa_named_barrier_count 0
		.amdhsa_reserve_vcc 0
		.amdhsa_float_round_mode_32 0
		.amdhsa_float_round_mode_16_64 0
		.amdhsa_float_denorm_mode_32 3
		.amdhsa_float_denorm_mode_16_64 3
		.amdhsa_fp16_overflow 0
		.amdhsa_memory_ordered 1
		.amdhsa_forward_progress 1
		.amdhsa_inst_pref_size 0
		.amdhsa_round_robin_scheduling 0
		.amdhsa_exception_fp_ieee_invalid_op 0
		.amdhsa_exception_fp_denorm_src 0
		.amdhsa_exception_fp_ieee_div_zero 0
		.amdhsa_exception_fp_ieee_overflow 0
		.amdhsa_exception_fp_ieee_underflow 0
		.amdhsa_exception_fp_ieee_inexact 0
		.amdhsa_exception_int_div_zero 0
	.end_amdhsa_kernel
	.section	.text._ZN7rocprim17ROCPRIM_400000_NS6detail17trampoline_kernelINS0_14default_configENS1_38merge_sort_block_merge_config_selectorIiNS0_10empty_typeEEEZZNS1_27merge_sort_block_merge_implIS3_PiPS5_jNS1_19radix_merge_compareILb0ELb0EiNS0_19identity_decomposerEEEEE10hipError_tT0_T1_T2_jT3_P12ihipStream_tbPNSt15iterator_traitsISE_E10value_typeEPNSK_ISF_E10value_typeEPSG_NS1_7vsmem_tEENKUlT_SE_SF_SG_E_clIS8_S8_S9_S9_EESD_ST_SE_SF_SG_EUlST_E_NS1_11comp_targetILNS1_3genE5ELNS1_11target_archE942ELNS1_3gpuE9ELNS1_3repE0EEENS1_48merge_mergepath_partition_config_static_selectorELNS0_4arch9wavefront6targetE0EEEvSF_,"axG",@progbits,_ZN7rocprim17ROCPRIM_400000_NS6detail17trampoline_kernelINS0_14default_configENS1_38merge_sort_block_merge_config_selectorIiNS0_10empty_typeEEEZZNS1_27merge_sort_block_merge_implIS3_PiPS5_jNS1_19radix_merge_compareILb0ELb0EiNS0_19identity_decomposerEEEEE10hipError_tT0_T1_T2_jT3_P12ihipStream_tbPNSt15iterator_traitsISE_E10value_typeEPNSK_ISF_E10value_typeEPSG_NS1_7vsmem_tEENKUlT_SE_SF_SG_E_clIS8_S8_S9_S9_EESD_ST_SE_SF_SG_EUlST_E_NS1_11comp_targetILNS1_3genE5ELNS1_11target_archE942ELNS1_3gpuE9ELNS1_3repE0EEENS1_48merge_mergepath_partition_config_static_selectorELNS0_4arch9wavefront6targetE0EEEvSF_,comdat
.Lfunc_end896:
	.size	_ZN7rocprim17ROCPRIM_400000_NS6detail17trampoline_kernelINS0_14default_configENS1_38merge_sort_block_merge_config_selectorIiNS0_10empty_typeEEEZZNS1_27merge_sort_block_merge_implIS3_PiPS5_jNS1_19radix_merge_compareILb0ELb0EiNS0_19identity_decomposerEEEEE10hipError_tT0_T1_T2_jT3_P12ihipStream_tbPNSt15iterator_traitsISE_E10value_typeEPNSK_ISF_E10value_typeEPSG_NS1_7vsmem_tEENKUlT_SE_SF_SG_E_clIS8_S8_S9_S9_EESD_ST_SE_SF_SG_EUlST_E_NS1_11comp_targetILNS1_3genE5ELNS1_11target_archE942ELNS1_3gpuE9ELNS1_3repE0EEENS1_48merge_mergepath_partition_config_static_selectorELNS0_4arch9wavefront6targetE0EEEvSF_, .Lfunc_end896-_ZN7rocprim17ROCPRIM_400000_NS6detail17trampoline_kernelINS0_14default_configENS1_38merge_sort_block_merge_config_selectorIiNS0_10empty_typeEEEZZNS1_27merge_sort_block_merge_implIS3_PiPS5_jNS1_19radix_merge_compareILb0ELb0EiNS0_19identity_decomposerEEEEE10hipError_tT0_T1_T2_jT3_P12ihipStream_tbPNSt15iterator_traitsISE_E10value_typeEPNSK_ISF_E10value_typeEPSG_NS1_7vsmem_tEENKUlT_SE_SF_SG_E_clIS8_S8_S9_S9_EESD_ST_SE_SF_SG_EUlST_E_NS1_11comp_targetILNS1_3genE5ELNS1_11target_archE942ELNS1_3gpuE9ELNS1_3repE0EEENS1_48merge_mergepath_partition_config_static_selectorELNS0_4arch9wavefront6targetE0EEEvSF_
                                        ; -- End function
	.set _ZN7rocprim17ROCPRIM_400000_NS6detail17trampoline_kernelINS0_14default_configENS1_38merge_sort_block_merge_config_selectorIiNS0_10empty_typeEEEZZNS1_27merge_sort_block_merge_implIS3_PiPS5_jNS1_19radix_merge_compareILb0ELb0EiNS0_19identity_decomposerEEEEE10hipError_tT0_T1_T2_jT3_P12ihipStream_tbPNSt15iterator_traitsISE_E10value_typeEPNSK_ISF_E10value_typeEPSG_NS1_7vsmem_tEENKUlT_SE_SF_SG_E_clIS8_S8_S9_S9_EESD_ST_SE_SF_SG_EUlST_E_NS1_11comp_targetILNS1_3genE5ELNS1_11target_archE942ELNS1_3gpuE9ELNS1_3repE0EEENS1_48merge_mergepath_partition_config_static_selectorELNS0_4arch9wavefront6targetE0EEEvSF_.num_vgpr, 0
	.set _ZN7rocprim17ROCPRIM_400000_NS6detail17trampoline_kernelINS0_14default_configENS1_38merge_sort_block_merge_config_selectorIiNS0_10empty_typeEEEZZNS1_27merge_sort_block_merge_implIS3_PiPS5_jNS1_19radix_merge_compareILb0ELb0EiNS0_19identity_decomposerEEEEE10hipError_tT0_T1_T2_jT3_P12ihipStream_tbPNSt15iterator_traitsISE_E10value_typeEPNSK_ISF_E10value_typeEPSG_NS1_7vsmem_tEENKUlT_SE_SF_SG_E_clIS8_S8_S9_S9_EESD_ST_SE_SF_SG_EUlST_E_NS1_11comp_targetILNS1_3genE5ELNS1_11target_archE942ELNS1_3gpuE9ELNS1_3repE0EEENS1_48merge_mergepath_partition_config_static_selectorELNS0_4arch9wavefront6targetE0EEEvSF_.num_agpr, 0
	.set _ZN7rocprim17ROCPRIM_400000_NS6detail17trampoline_kernelINS0_14default_configENS1_38merge_sort_block_merge_config_selectorIiNS0_10empty_typeEEEZZNS1_27merge_sort_block_merge_implIS3_PiPS5_jNS1_19radix_merge_compareILb0ELb0EiNS0_19identity_decomposerEEEEE10hipError_tT0_T1_T2_jT3_P12ihipStream_tbPNSt15iterator_traitsISE_E10value_typeEPNSK_ISF_E10value_typeEPSG_NS1_7vsmem_tEENKUlT_SE_SF_SG_E_clIS8_S8_S9_S9_EESD_ST_SE_SF_SG_EUlST_E_NS1_11comp_targetILNS1_3genE5ELNS1_11target_archE942ELNS1_3gpuE9ELNS1_3repE0EEENS1_48merge_mergepath_partition_config_static_selectorELNS0_4arch9wavefront6targetE0EEEvSF_.numbered_sgpr, 0
	.set _ZN7rocprim17ROCPRIM_400000_NS6detail17trampoline_kernelINS0_14default_configENS1_38merge_sort_block_merge_config_selectorIiNS0_10empty_typeEEEZZNS1_27merge_sort_block_merge_implIS3_PiPS5_jNS1_19radix_merge_compareILb0ELb0EiNS0_19identity_decomposerEEEEE10hipError_tT0_T1_T2_jT3_P12ihipStream_tbPNSt15iterator_traitsISE_E10value_typeEPNSK_ISF_E10value_typeEPSG_NS1_7vsmem_tEENKUlT_SE_SF_SG_E_clIS8_S8_S9_S9_EESD_ST_SE_SF_SG_EUlST_E_NS1_11comp_targetILNS1_3genE5ELNS1_11target_archE942ELNS1_3gpuE9ELNS1_3repE0EEENS1_48merge_mergepath_partition_config_static_selectorELNS0_4arch9wavefront6targetE0EEEvSF_.num_named_barrier, 0
	.set _ZN7rocprim17ROCPRIM_400000_NS6detail17trampoline_kernelINS0_14default_configENS1_38merge_sort_block_merge_config_selectorIiNS0_10empty_typeEEEZZNS1_27merge_sort_block_merge_implIS3_PiPS5_jNS1_19radix_merge_compareILb0ELb0EiNS0_19identity_decomposerEEEEE10hipError_tT0_T1_T2_jT3_P12ihipStream_tbPNSt15iterator_traitsISE_E10value_typeEPNSK_ISF_E10value_typeEPSG_NS1_7vsmem_tEENKUlT_SE_SF_SG_E_clIS8_S8_S9_S9_EESD_ST_SE_SF_SG_EUlST_E_NS1_11comp_targetILNS1_3genE5ELNS1_11target_archE942ELNS1_3gpuE9ELNS1_3repE0EEENS1_48merge_mergepath_partition_config_static_selectorELNS0_4arch9wavefront6targetE0EEEvSF_.private_seg_size, 0
	.set _ZN7rocprim17ROCPRIM_400000_NS6detail17trampoline_kernelINS0_14default_configENS1_38merge_sort_block_merge_config_selectorIiNS0_10empty_typeEEEZZNS1_27merge_sort_block_merge_implIS3_PiPS5_jNS1_19radix_merge_compareILb0ELb0EiNS0_19identity_decomposerEEEEE10hipError_tT0_T1_T2_jT3_P12ihipStream_tbPNSt15iterator_traitsISE_E10value_typeEPNSK_ISF_E10value_typeEPSG_NS1_7vsmem_tEENKUlT_SE_SF_SG_E_clIS8_S8_S9_S9_EESD_ST_SE_SF_SG_EUlST_E_NS1_11comp_targetILNS1_3genE5ELNS1_11target_archE942ELNS1_3gpuE9ELNS1_3repE0EEENS1_48merge_mergepath_partition_config_static_selectorELNS0_4arch9wavefront6targetE0EEEvSF_.uses_vcc, 0
	.set _ZN7rocprim17ROCPRIM_400000_NS6detail17trampoline_kernelINS0_14default_configENS1_38merge_sort_block_merge_config_selectorIiNS0_10empty_typeEEEZZNS1_27merge_sort_block_merge_implIS3_PiPS5_jNS1_19radix_merge_compareILb0ELb0EiNS0_19identity_decomposerEEEEE10hipError_tT0_T1_T2_jT3_P12ihipStream_tbPNSt15iterator_traitsISE_E10value_typeEPNSK_ISF_E10value_typeEPSG_NS1_7vsmem_tEENKUlT_SE_SF_SG_E_clIS8_S8_S9_S9_EESD_ST_SE_SF_SG_EUlST_E_NS1_11comp_targetILNS1_3genE5ELNS1_11target_archE942ELNS1_3gpuE9ELNS1_3repE0EEENS1_48merge_mergepath_partition_config_static_selectorELNS0_4arch9wavefront6targetE0EEEvSF_.uses_flat_scratch, 0
	.set _ZN7rocprim17ROCPRIM_400000_NS6detail17trampoline_kernelINS0_14default_configENS1_38merge_sort_block_merge_config_selectorIiNS0_10empty_typeEEEZZNS1_27merge_sort_block_merge_implIS3_PiPS5_jNS1_19radix_merge_compareILb0ELb0EiNS0_19identity_decomposerEEEEE10hipError_tT0_T1_T2_jT3_P12ihipStream_tbPNSt15iterator_traitsISE_E10value_typeEPNSK_ISF_E10value_typeEPSG_NS1_7vsmem_tEENKUlT_SE_SF_SG_E_clIS8_S8_S9_S9_EESD_ST_SE_SF_SG_EUlST_E_NS1_11comp_targetILNS1_3genE5ELNS1_11target_archE942ELNS1_3gpuE9ELNS1_3repE0EEENS1_48merge_mergepath_partition_config_static_selectorELNS0_4arch9wavefront6targetE0EEEvSF_.has_dyn_sized_stack, 0
	.set _ZN7rocprim17ROCPRIM_400000_NS6detail17trampoline_kernelINS0_14default_configENS1_38merge_sort_block_merge_config_selectorIiNS0_10empty_typeEEEZZNS1_27merge_sort_block_merge_implIS3_PiPS5_jNS1_19radix_merge_compareILb0ELb0EiNS0_19identity_decomposerEEEEE10hipError_tT0_T1_T2_jT3_P12ihipStream_tbPNSt15iterator_traitsISE_E10value_typeEPNSK_ISF_E10value_typeEPSG_NS1_7vsmem_tEENKUlT_SE_SF_SG_E_clIS8_S8_S9_S9_EESD_ST_SE_SF_SG_EUlST_E_NS1_11comp_targetILNS1_3genE5ELNS1_11target_archE942ELNS1_3gpuE9ELNS1_3repE0EEENS1_48merge_mergepath_partition_config_static_selectorELNS0_4arch9wavefront6targetE0EEEvSF_.has_recursion, 0
	.set _ZN7rocprim17ROCPRIM_400000_NS6detail17trampoline_kernelINS0_14default_configENS1_38merge_sort_block_merge_config_selectorIiNS0_10empty_typeEEEZZNS1_27merge_sort_block_merge_implIS3_PiPS5_jNS1_19radix_merge_compareILb0ELb0EiNS0_19identity_decomposerEEEEE10hipError_tT0_T1_T2_jT3_P12ihipStream_tbPNSt15iterator_traitsISE_E10value_typeEPNSK_ISF_E10value_typeEPSG_NS1_7vsmem_tEENKUlT_SE_SF_SG_E_clIS8_S8_S9_S9_EESD_ST_SE_SF_SG_EUlST_E_NS1_11comp_targetILNS1_3genE5ELNS1_11target_archE942ELNS1_3gpuE9ELNS1_3repE0EEENS1_48merge_mergepath_partition_config_static_selectorELNS0_4arch9wavefront6targetE0EEEvSF_.has_indirect_call, 0
	.section	.AMDGPU.csdata,"",@progbits
; Kernel info:
; codeLenInByte = 0
; TotalNumSgprs: 0
; NumVgprs: 0
; ScratchSize: 0
; MemoryBound: 0
; FloatMode: 240
; IeeeMode: 1
; LDSByteSize: 0 bytes/workgroup (compile time only)
; SGPRBlocks: 0
; VGPRBlocks: 0
; NumSGPRsForWavesPerEU: 1
; NumVGPRsForWavesPerEU: 1
; NamedBarCnt: 0
; Occupancy: 16
; WaveLimiterHint : 0
; COMPUTE_PGM_RSRC2:SCRATCH_EN: 0
; COMPUTE_PGM_RSRC2:USER_SGPR: 2
; COMPUTE_PGM_RSRC2:TRAP_HANDLER: 0
; COMPUTE_PGM_RSRC2:TGID_X_EN: 1
; COMPUTE_PGM_RSRC2:TGID_Y_EN: 0
; COMPUTE_PGM_RSRC2:TGID_Z_EN: 0
; COMPUTE_PGM_RSRC2:TIDIG_COMP_CNT: 0
	.section	.text._ZN7rocprim17ROCPRIM_400000_NS6detail17trampoline_kernelINS0_14default_configENS1_38merge_sort_block_merge_config_selectorIiNS0_10empty_typeEEEZZNS1_27merge_sort_block_merge_implIS3_PiPS5_jNS1_19radix_merge_compareILb0ELb0EiNS0_19identity_decomposerEEEEE10hipError_tT0_T1_T2_jT3_P12ihipStream_tbPNSt15iterator_traitsISE_E10value_typeEPNSK_ISF_E10value_typeEPSG_NS1_7vsmem_tEENKUlT_SE_SF_SG_E_clIS8_S8_S9_S9_EESD_ST_SE_SF_SG_EUlST_E_NS1_11comp_targetILNS1_3genE4ELNS1_11target_archE910ELNS1_3gpuE8ELNS1_3repE0EEENS1_48merge_mergepath_partition_config_static_selectorELNS0_4arch9wavefront6targetE0EEEvSF_,"axG",@progbits,_ZN7rocprim17ROCPRIM_400000_NS6detail17trampoline_kernelINS0_14default_configENS1_38merge_sort_block_merge_config_selectorIiNS0_10empty_typeEEEZZNS1_27merge_sort_block_merge_implIS3_PiPS5_jNS1_19radix_merge_compareILb0ELb0EiNS0_19identity_decomposerEEEEE10hipError_tT0_T1_T2_jT3_P12ihipStream_tbPNSt15iterator_traitsISE_E10value_typeEPNSK_ISF_E10value_typeEPSG_NS1_7vsmem_tEENKUlT_SE_SF_SG_E_clIS8_S8_S9_S9_EESD_ST_SE_SF_SG_EUlST_E_NS1_11comp_targetILNS1_3genE4ELNS1_11target_archE910ELNS1_3gpuE8ELNS1_3repE0EEENS1_48merge_mergepath_partition_config_static_selectorELNS0_4arch9wavefront6targetE0EEEvSF_,comdat
	.protected	_ZN7rocprim17ROCPRIM_400000_NS6detail17trampoline_kernelINS0_14default_configENS1_38merge_sort_block_merge_config_selectorIiNS0_10empty_typeEEEZZNS1_27merge_sort_block_merge_implIS3_PiPS5_jNS1_19radix_merge_compareILb0ELb0EiNS0_19identity_decomposerEEEEE10hipError_tT0_T1_T2_jT3_P12ihipStream_tbPNSt15iterator_traitsISE_E10value_typeEPNSK_ISF_E10value_typeEPSG_NS1_7vsmem_tEENKUlT_SE_SF_SG_E_clIS8_S8_S9_S9_EESD_ST_SE_SF_SG_EUlST_E_NS1_11comp_targetILNS1_3genE4ELNS1_11target_archE910ELNS1_3gpuE8ELNS1_3repE0EEENS1_48merge_mergepath_partition_config_static_selectorELNS0_4arch9wavefront6targetE0EEEvSF_ ; -- Begin function _ZN7rocprim17ROCPRIM_400000_NS6detail17trampoline_kernelINS0_14default_configENS1_38merge_sort_block_merge_config_selectorIiNS0_10empty_typeEEEZZNS1_27merge_sort_block_merge_implIS3_PiPS5_jNS1_19radix_merge_compareILb0ELb0EiNS0_19identity_decomposerEEEEE10hipError_tT0_T1_T2_jT3_P12ihipStream_tbPNSt15iterator_traitsISE_E10value_typeEPNSK_ISF_E10value_typeEPSG_NS1_7vsmem_tEENKUlT_SE_SF_SG_E_clIS8_S8_S9_S9_EESD_ST_SE_SF_SG_EUlST_E_NS1_11comp_targetILNS1_3genE4ELNS1_11target_archE910ELNS1_3gpuE8ELNS1_3repE0EEENS1_48merge_mergepath_partition_config_static_selectorELNS0_4arch9wavefront6targetE0EEEvSF_
	.globl	_ZN7rocprim17ROCPRIM_400000_NS6detail17trampoline_kernelINS0_14default_configENS1_38merge_sort_block_merge_config_selectorIiNS0_10empty_typeEEEZZNS1_27merge_sort_block_merge_implIS3_PiPS5_jNS1_19radix_merge_compareILb0ELb0EiNS0_19identity_decomposerEEEEE10hipError_tT0_T1_T2_jT3_P12ihipStream_tbPNSt15iterator_traitsISE_E10value_typeEPNSK_ISF_E10value_typeEPSG_NS1_7vsmem_tEENKUlT_SE_SF_SG_E_clIS8_S8_S9_S9_EESD_ST_SE_SF_SG_EUlST_E_NS1_11comp_targetILNS1_3genE4ELNS1_11target_archE910ELNS1_3gpuE8ELNS1_3repE0EEENS1_48merge_mergepath_partition_config_static_selectorELNS0_4arch9wavefront6targetE0EEEvSF_
	.p2align	8
	.type	_ZN7rocprim17ROCPRIM_400000_NS6detail17trampoline_kernelINS0_14default_configENS1_38merge_sort_block_merge_config_selectorIiNS0_10empty_typeEEEZZNS1_27merge_sort_block_merge_implIS3_PiPS5_jNS1_19radix_merge_compareILb0ELb0EiNS0_19identity_decomposerEEEEE10hipError_tT0_T1_T2_jT3_P12ihipStream_tbPNSt15iterator_traitsISE_E10value_typeEPNSK_ISF_E10value_typeEPSG_NS1_7vsmem_tEENKUlT_SE_SF_SG_E_clIS8_S8_S9_S9_EESD_ST_SE_SF_SG_EUlST_E_NS1_11comp_targetILNS1_3genE4ELNS1_11target_archE910ELNS1_3gpuE8ELNS1_3repE0EEENS1_48merge_mergepath_partition_config_static_selectorELNS0_4arch9wavefront6targetE0EEEvSF_,@function
_ZN7rocprim17ROCPRIM_400000_NS6detail17trampoline_kernelINS0_14default_configENS1_38merge_sort_block_merge_config_selectorIiNS0_10empty_typeEEEZZNS1_27merge_sort_block_merge_implIS3_PiPS5_jNS1_19radix_merge_compareILb0ELb0EiNS0_19identity_decomposerEEEEE10hipError_tT0_T1_T2_jT3_P12ihipStream_tbPNSt15iterator_traitsISE_E10value_typeEPNSK_ISF_E10value_typeEPSG_NS1_7vsmem_tEENKUlT_SE_SF_SG_E_clIS8_S8_S9_S9_EESD_ST_SE_SF_SG_EUlST_E_NS1_11comp_targetILNS1_3genE4ELNS1_11target_archE910ELNS1_3gpuE8ELNS1_3repE0EEENS1_48merge_mergepath_partition_config_static_selectorELNS0_4arch9wavefront6targetE0EEEvSF_: ; @_ZN7rocprim17ROCPRIM_400000_NS6detail17trampoline_kernelINS0_14default_configENS1_38merge_sort_block_merge_config_selectorIiNS0_10empty_typeEEEZZNS1_27merge_sort_block_merge_implIS3_PiPS5_jNS1_19radix_merge_compareILb0ELb0EiNS0_19identity_decomposerEEEEE10hipError_tT0_T1_T2_jT3_P12ihipStream_tbPNSt15iterator_traitsISE_E10value_typeEPNSK_ISF_E10value_typeEPSG_NS1_7vsmem_tEENKUlT_SE_SF_SG_E_clIS8_S8_S9_S9_EESD_ST_SE_SF_SG_EUlST_E_NS1_11comp_targetILNS1_3genE4ELNS1_11target_archE910ELNS1_3gpuE8ELNS1_3repE0EEENS1_48merge_mergepath_partition_config_static_selectorELNS0_4arch9wavefront6targetE0EEEvSF_
; %bb.0:
	.section	.rodata,"a",@progbits
	.p2align	6, 0x0
	.amdhsa_kernel _ZN7rocprim17ROCPRIM_400000_NS6detail17trampoline_kernelINS0_14default_configENS1_38merge_sort_block_merge_config_selectorIiNS0_10empty_typeEEEZZNS1_27merge_sort_block_merge_implIS3_PiPS5_jNS1_19radix_merge_compareILb0ELb0EiNS0_19identity_decomposerEEEEE10hipError_tT0_T1_T2_jT3_P12ihipStream_tbPNSt15iterator_traitsISE_E10value_typeEPNSK_ISF_E10value_typeEPSG_NS1_7vsmem_tEENKUlT_SE_SF_SG_E_clIS8_S8_S9_S9_EESD_ST_SE_SF_SG_EUlST_E_NS1_11comp_targetILNS1_3genE4ELNS1_11target_archE910ELNS1_3gpuE8ELNS1_3repE0EEENS1_48merge_mergepath_partition_config_static_selectorELNS0_4arch9wavefront6targetE0EEEvSF_
		.amdhsa_group_segment_fixed_size 0
		.amdhsa_private_segment_fixed_size 0
		.amdhsa_kernarg_size 40
		.amdhsa_user_sgpr_count 2
		.amdhsa_user_sgpr_dispatch_ptr 0
		.amdhsa_user_sgpr_queue_ptr 0
		.amdhsa_user_sgpr_kernarg_segment_ptr 1
		.amdhsa_user_sgpr_dispatch_id 0
		.amdhsa_user_sgpr_kernarg_preload_length 0
		.amdhsa_user_sgpr_kernarg_preload_offset 0
		.amdhsa_user_sgpr_private_segment_size 0
		.amdhsa_wavefront_size32 1
		.amdhsa_uses_dynamic_stack 0
		.amdhsa_enable_private_segment 0
		.amdhsa_system_sgpr_workgroup_id_x 1
		.amdhsa_system_sgpr_workgroup_id_y 0
		.amdhsa_system_sgpr_workgroup_id_z 0
		.amdhsa_system_sgpr_workgroup_info 0
		.amdhsa_system_vgpr_workitem_id 0
		.amdhsa_next_free_vgpr 1
		.amdhsa_next_free_sgpr 1
		.amdhsa_named_barrier_count 0
		.amdhsa_reserve_vcc 0
		.amdhsa_float_round_mode_32 0
		.amdhsa_float_round_mode_16_64 0
		.amdhsa_float_denorm_mode_32 3
		.amdhsa_float_denorm_mode_16_64 3
		.amdhsa_fp16_overflow 0
		.amdhsa_memory_ordered 1
		.amdhsa_forward_progress 1
		.amdhsa_inst_pref_size 0
		.amdhsa_round_robin_scheduling 0
		.amdhsa_exception_fp_ieee_invalid_op 0
		.amdhsa_exception_fp_denorm_src 0
		.amdhsa_exception_fp_ieee_div_zero 0
		.amdhsa_exception_fp_ieee_overflow 0
		.amdhsa_exception_fp_ieee_underflow 0
		.amdhsa_exception_fp_ieee_inexact 0
		.amdhsa_exception_int_div_zero 0
	.end_amdhsa_kernel
	.section	.text._ZN7rocprim17ROCPRIM_400000_NS6detail17trampoline_kernelINS0_14default_configENS1_38merge_sort_block_merge_config_selectorIiNS0_10empty_typeEEEZZNS1_27merge_sort_block_merge_implIS3_PiPS5_jNS1_19radix_merge_compareILb0ELb0EiNS0_19identity_decomposerEEEEE10hipError_tT0_T1_T2_jT3_P12ihipStream_tbPNSt15iterator_traitsISE_E10value_typeEPNSK_ISF_E10value_typeEPSG_NS1_7vsmem_tEENKUlT_SE_SF_SG_E_clIS8_S8_S9_S9_EESD_ST_SE_SF_SG_EUlST_E_NS1_11comp_targetILNS1_3genE4ELNS1_11target_archE910ELNS1_3gpuE8ELNS1_3repE0EEENS1_48merge_mergepath_partition_config_static_selectorELNS0_4arch9wavefront6targetE0EEEvSF_,"axG",@progbits,_ZN7rocprim17ROCPRIM_400000_NS6detail17trampoline_kernelINS0_14default_configENS1_38merge_sort_block_merge_config_selectorIiNS0_10empty_typeEEEZZNS1_27merge_sort_block_merge_implIS3_PiPS5_jNS1_19radix_merge_compareILb0ELb0EiNS0_19identity_decomposerEEEEE10hipError_tT0_T1_T2_jT3_P12ihipStream_tbPNSt15iterator_traitsISE_E10value_typeEPNSK_ISF_E10value_typeEPSG_NS1_7vsmem_tEENKUlT_SE_SF_SG_E_clIS8_S8_S9_S9_EESD_ST_SE_SF_SG_EUlST_E_NS1_11comp_targetILNS1_3genE4ELNS1_11target_archE910ELNS1_3gpuE8ELNS1_3repE0EEENS1_48merge_mergepath_partition_config_static_selectorELNS0_4arch9wavefront6targetE0EEEvSF_,comdat
.Lfunc_end897:
	.size	_ZN7rocprim17ROCPRIM_400000_NS6detail17trampoline_kernelINS0_14default_configENS1_38merge_sort_block_merge_config_selectorIiNS0_10empty_typeEEEZZNS1_27merge_sort_block_merge_implIS3_PiPS5_jNS1_19radix_merge_compareILb0ELb0EiNS0_19identity_decomposerEEEEE10hipError_tT0_T1_T2_jT3_P12ihipStream_tbPNSt15iterator_traitsISE_E10value_typeEPNSK_ISF_E10value_typeEPSG_NS1_7vsmem_tEENKUlT_SE_SF_SG_E_clIS8_S8_S9_S9_EESD_ST_SE_SF_SG_EUlST_E_NS1_11comp_targetILNS1_3genE4ELNS1_11target_archE910ELNS1_3gpuE8ELNS1_3repE0EEENS1_48merge_mergepath_partition_config_static_selectorELNS0_4arch9wavefront6targetE0EEEvSF_, .Lfunc_end897-_ZN7rocprim17ROCPRIM_400000_NS6detail17trampoline_kernelINS0_14default_configENS1_38merge_sort_block_merge_config_selectorIiNS0_10empty_typeEEEZZNS1_27merge_sort_block_merge_implIS3_PiPS5_jNS1_19radix_merge_compareILb0ELb0EiNS0_19identity_decomposerEEEEE10hipError_tT0_T1_T2_jT3_P12ihipStream_tbPNSt15iterator_traitsISE_E10value_typeEPNSK_ISF_E10value_typeEPSG_NS1_7vsmem_tEENKUlT_SE_SF_SG_E_clIS8_S8_S9_S9_EESD_ST_SE_SF_SG_EUlST_E_NS1_11comp_targetILNS1_3genE4ELNS1_11target_archE910ELNS1_3gpuE8ELNS1_3repE0EEENS1_48merge_mergepath_partition_config_static_selectorELNS0_4arch9wavefront6targetE0EEEvSF_
                                        ; -- End function
	.set _ZN7rocprim17ROCPRIM_400000_NS6detail17trampoline_kernelINS0_14default_configENS1_38merge_sort_block_merge_config_selectorIiNS0_10empty_typeEEEZZNS1_27merge_sort_block_merge_implIS3_PiPS5_jNS1_19radix_merge_compareILb0ELb0EiNS0_19identity_decomposerEEEEE10hipError_tT0_T1_T2_jT3_P12ihipStream_tbPNSt15iterator_traitsISE_E10value_typeEPNSK_ISF_E10value_typeEPSG_NS1_7vsmem_tEENKUlT_SE_SF_SG_E_clIS8_S8_S9_S9_EESD_ST_SE_SF_SG_EUlST_E_NS1_11comp_targetILNS1_3genE4ELNS1_11target_archE910ELNS1_3gpuE8ELNS1_3repE0EEENS1_48merge_mergepath_partition_config_static_selectorELNS0_4arch9wavefront6targetE0EEEvSF_.num_vgpr, 0
	.set _ZN7rocprim17ROCPRIM_400000_NS6detail17trampoline_kernelINS0_14default_configENS1_38merge_sort_block_merge_config_selectorIiNS0_10empty_typeEEEZZNS1_27merge_sort_block_merge_implIS3_PiPS5_jNS1_19radix_merge_compareILb0ELb0EiNS0_19identity_decomposerEEEEE10hipError_tT0_T1_T2_jT3_P12ihipStream_tbPNSt15iterator_traitsISE_E10value_typeEPNSK_ISF_E10value_typeEPSG_NS1_7vsmem_tEENKUlT_SE_SF_SG_E_clIS8_S8_S9_S9_EESD_ST_SE_SF_SG_EUlST_E_NS1_11comp_targetILNS1_3genE4ELNS1_11target_archE910ELNS1_3gpuE8ELNS1_3repE0EEENS1_48merge_mergepath_partition_config_static_selectorELNS0_4arch9wavefront6targetE0EEEvSF_.num_agpr, 0
	.set _ZN7rocprim17ROCPRIM_400000_NS6detail17trampoline_kernelINS0_14default_configENS1_38merge_sort_block_merge_config_selectorIiNS0_10empty_typeEEEZZNS1_27merge_sort_block_merge_implIS3_PiPS5_jNS1_19radix_merge_compareILb0ELb0EiNS0_19identity_decomposerEEEEE10hipError_tT0_T1_T2_jT3_P12ihipStream_tbPNSt15iterator_traitsISE_E10value_typeEPNSK_ISF_E10value_typeEPSG_NS1_7vsmem_tEENKUlT_SE_SF_SG_E_clIS8_S8_S9_S9_EESD_ST_SE_SF_SG_EUlST_E_NS1_11comp_targetILNS1_3genE4ELNS1_11target_archE910ELNS1_3gpuE8ELNS1_3repE0EEENS1_48merge_mergepath_partition_config_static_selectorELNS0_4arch9wavefront6targetE0EEEvSF_.numbered_sgpr, 0
	.set _ZN7rocprim17ROCPRIM_400000_NS6detail17trampoline_kernelINS0_14default_configENS1_38merge_sort_block_merge_config_selectorIiNS0_10empty_typeEEEZZNS1_27merge_sort_block_merge_implIS3_PiPS5_jNS1_19radix_merge_compareILb0ELb0EiNS0_19identity_decomposerEEEEE10hipError_tT0_T1_T2_jT3_P12ihipStream_tbPNSt15iterator_traitsISE_E10value_typeEPNSK_ISF_E10value_typeEPSG_NS1_7vsmem_tEENKUlT_SE_SF_SG_E_clIS8_S8_S9_S9_EESD_ST_SE_SF_SG_EUlST_E_NS1_11comp_targetILNS1_3genE4ELNS1_11target_archE910ELNS1_3gpuE8ELNS1_3repE0EEENS1_48merge_mergepath_partition_config_static_selectorELNS0_4arch9wavefront6targetE0EEEvSF_.num_named_barrier, 0
	.set _ZN7rocprim17ROCPRIM_400000_NS6detail17trampoline_kernelINS0_14default_configENS1_38merge_sort_block_merge_config_selectorIiNS0_10empty_typeEEEZZNS1_27merge_sort_block_merge_implIS3_PiPS5_jNS1_19radix_merge_compareILb0ELb0EiNS0_19identity_decomposerEEEEE10hipError_tT0_T1_T2_jT3_P12ihipStream_tbPNSt15iterator_traitsISE_E10value_typeEPNSK_ISF_E10value_typeEPSG_NS1_7vsmem_tEENKUlT_SE_SF_SG_E_clIS8_S8_S9_S9_EESD_ST_SE_SF_SG_EUlST_E_NS1_11comp_targetILNS1_3genE4ELNS1_11target_archE910ELNS1_3gpuE8ELNS1_3repE0EEENS1_48merge_mergepath_partition_config_static_selectorELNS0_4arch9wavefront6targetE0EEEvSF_.private_seg_size, 0
	.set _ZN7rocprim17ROCPRIM_400000_NS6detail17trampoline_kernelINS0_14default_configENS1_38merge_sort_block_merge_config_selectorIiNS0_10empty_typeEEEZZNS1_27merge_sort_block_merge_implIS3_PiPS5_jNS1_19radix_merge_compareILb0ELb0EiNS0_19identity_decomposerEEEEE10hipError_tT0_T1_T2_jT3_P12ihipStream_tbPNSt15iterator_traitsISE_E10value_typeEPNSK_ISF_E10value_typeEPSG_NS1_7vsmem_tEENKUlT_SE_SF_SG_E_clIS8_S8_S9_S9_EESD_ST_SE_SF_SG_EUlST_E_NS1_11comp_targetILNS1_3genE4ELNS1_11target_archE910ELNS1_3gpuE8ELNS1_3repE0EEENS1_48merge_mergepath_partition_config_static_selectorELNS0_4arch9wavefront6targetE0EEEvSF_.uses_vcc, 0
	.set _ZN7rocprim17ROCPRIM_400000_NS6detail17trampoline_kernelINS0_14default_configENS1_38merge_sort_block_merge_config_selectorIiNS0_10empty_typeEEEZZNS1_27merge_sort_block_merge_implIS3_PiPS5_jNS1_19radix_merge_compareILb0ELb0EiNS0_19identity_decomposerEEEEE10hipError_tT0_T1_T2_jT3_P12ihipStream_tbPNSt15iterator_traitsISE_E10value_typeEPNSK_ISF_E10value_typeEPSG_NS1_7vsmem_tEENKUlT_SE_SF_SG_E_clIS8_S8_S9_S9_EESD_ST_SE_SF_SG_EUlST_E_NS1_11comp_targetILNS1_3genE4ELNS1_11target_archE910ELNS1_3gpuE8ELNS1_3repE0EEENS1_48merge_mergepath_partition_config_static_selectorELNS0_4arch9wavefront6targetE0EEEvSF_.uses_flat_scratch, 0
	.set _ZN7rocprim17ROCPRIM_400000_NS6detail17trampoline_kernelINS0_14default_configENS1_38merge_sort_block_merge_config_selectorIiNS0_10empty_typeEEEZZNS1_27merge_sort_block_merge_implIS3_PiPS5_jNS1_19radix_merge_compareILb0ELb0EiNS0_19identity_decomposerEEEEE10hipError_tT0_T1_T2_jT3_P12ihipStream_tbPNSt15iterator_traitsISE_E10value_typeEPNSK_ISF_E10value_typeEPSG_NS1_7vsmem_tEENKUlT_SE_SF_SG_E_clIS8_S8_S9_S9_EESD_ST_SE_SF_SG_EUlST_E_NS1_11comp_targetILNS1_3genE4ELNS1_11target_archE910ELNS1_3gpuE8ELNS1_3repE0EEENS1_48merge_mergepath_partition_config_static_selectorELNS0_4arch9wavefront6targetE0EEEvSF_.has_dyn_sized_stack, 0
	.set _ZN7rocprim17ROCPRIM_400000_NS6detail17trampoline_kernelINS0_14default_configENS1_38merge_sort_block_merge_config_selectorIiNS0_10empty_typeEEEZZNS1_27merge_sort_block_merge_implIS3_PiPS5_jNS1_19radix_merge_compareILb0ELb0EiNS0_19identity_decomposerEEEEE10hipError_tT0_T1_T2_jT3_P12ihipStream_tbPNSt15iterator_traitsISE_E10value_typeEPNSK_ISF_E10value_typeEPSG_NS1_7vsmem_tEENKUlT_SE_SF_SG_E_clIS8_S8_S9_S9_EESD_ST_SE_SF_SG_EUlST_E_NS1_11comp_targetILNS1_3genE4ELNS1_11target_archE910ELNS1_3gpuE8ELNS1_3repE0EEENS1_48merge_mergepath_partition_config_static_selectorELNS0_4arch9wavefront6targetE0EEEvSF_.has_recursion, 0
	.set _ZN7rocprim17ROCPRIM_400000_NS6detail17trampoline_kernelINS0_14default_configENS1_38merge_sort_block_merge_config_selectorIiNS0_10empty_typeEEEZZNS1_27merge_sort_block_merge_implIS3_PiPS5_jNS1_19radix_merge_compareILb0ELb0EiNS0_19identity_decomposerEEEEE10hipError_tT0_T1_T2_jT3_P12ihipStream_tbPNSt15iterator_traitsISE_E10value_typeEPNSK_ISF_E10value_typeEPSG_NS1_7vsmem_tEENKUlT_SE_SF_SG_E_clIS8_S8_S9_S9_EESD_ST_SE_SF_SG_EUlST_E_NS1_11comp_targetILNS1_3genE4ELNS1_11target_archE910ELNS1_3gpuE8ELNS1_3repE0EEENS1_48merge_mergepath_partition_config_static_selectorELNS0_4arch9wavefront6targetE0EEEvSF_.has_indirect_call, 0
	.section	.AMDGPU.csdata,"",@progbits
; Kernel info:
; codeLenInByte = 0
; TotalNumSgprs: 0
; NumVgprs: 0
; ScratchSize: 0
; MemoryBound: 0
; FloatMode: 240
; IeeeMode: 1
; LDSByteSize: 0 bytes/workgroup (compile time only)
; SGPRBlocks: 0
; VGPRBlocks: 0
; NumSGPRsForWavesPerEU: 1
; NumVGPRsForWavesPerEU: 1
; NamedBarCnt: 0
; Occupancy: 16
; WaveLimiterHint : 0
; COMPUTE_PGM_RSRC2:SCRATCH_EN: 0
; COMPUTE_PGM_RSRC2:USER_SGPR: 2
; COMPUTE_PGM_RSRC2:TRAP_HANDLER: 0
; COMPUTE_PGM_RSRC2:TGID_X_EN: 1
; COMPUTE_PGM_RSRC2:TGID_Y_EN: 0
; COMPUTE_PGM_RSRC2:TGID_Z_EN: 0
; COMPUTE_PGM_RSRC2:TIDIG_COMP_CNT: 0
	.section	.text._ZN7rocprim17ROCPRIM_400000_NS6detail17trampoline_kernelINS0_14default_configENS1_38merge_sort_block_merge_config_selectorIiNS0_10empty_typeEEEZZNS1_27merge_sort_block_merge_implIS3_PiPS5_jNS1_19radix_merge_compareILb0ELb0EiNS0_19identity_decomposerEEEEE10hipError_tT0_T1_T2_jT3_P12ihipStream_tbPNSt15iterator_traitsISE_E10value_typeEPNSK_ISF_E10value_typeEPSG_NS1_7vsmem_tEENKUlT_SE_SF_SG_E_clIS8_S8_S9_S9_EESD_ST_SE_SF_SG_EUlST_E_NS1_11comp_targetILNS1_3genE3ELNS1_11target_archE908ELNS1_3gpuE7ELNS1_3repE0EEENS1_48merge_mergepath_partition_config_static_selectorELNS0_4arch9wavefront6targetE0EEEvSF_,"axG",@progbits,_ZN7rocprim17ROCPRIM_400000_NS6detail17trampoline_kernelINS0_14default_configENS1_38merge_sort_block_merge_config_selectorIiNS0_10empty_typeEEEZZNS1_27merge_sort_block_merge_implIS3_PiPS5_jNS1_19radix_merge_compareILb0ELb0EiNS0_19identity_decomposerEEEEE10hipError_tT0_T1_T2_jT3_P12ihipStream_tbPNSt15iterator_traitsISE_E10value_typeEPNSK_ISF_E10value_typeEPSG_NS1_7vsmem_tEENKUlT_SE_SF_SG_E_clIS8_S8_S9_S9_EESD_ST_SE_SF_SG_EUlST_E_NS1_11comp_targetILNS1_3genE3ELNS1_11target_archE908ELNS1_3gpuE7ELNS1_3repE0EEENS1_48merge_mergepath_partition_config_static_selectorELNS0_4arch9wavefront6targetE0EEEvSF_,comdat
	.protected	_ZN7rocprim17ROCPRIM_400000_NS6detail17trampoline_kernelINS0_14default_configENS1_38merge_sort_block_merge_config_selectorIiNS0_10empty_typeEEEZZNS1_27merge_sort_block_merge_implIS3_PiPS5_jNS1_19radix_merge_compareILb0ELb0EiNS0_19identity_decomposerEEEEE10hipError_tT0_T1_T2_jT3_P12ihipStream_tbPNSt15iterator_traitsISE_E10value_typeEPNSK_ISF_E10value_typeEPSG_NS1_7vsmem_tEENKUlT_SE_SF_SG_E_clIS8_S8_S9_S9_EESD_ST_SE_SF_SG_EUlST_E_NS1_11comp_targetILNS1_3genE3ELNS1_11target_archE908ELNS1_3gpuE7ELNS1_3repE0EEENS1_48merge_mergepath_partition_config_static_selectorELNS0_4arch9wavefront6targetE0EEEvSF_ ; -- Begin function _ZN7rocprim17ROCPRIM_400000_NS6detail17trampoline_kernelINS0_14default_configENS1_38merge_sort_block_merge_config_selectorIiNS0_10empty_typeEEEZZNS1_27merge_sort_block_merge_implIS3_PiPS5_jNS1_19radix_merge_compareILb0ELb0EiNS0_19identity_decomposerEEEEE10hipError_tT0_T1_T2_jT3_P12ihipStream_tbPNSt15iterator_traitsISE_E10value_typeEPNSK_ISF_E10value_typeEPSG_NS1_7vsmem_tEENKUlT_SE_SF_SG_E_clIS8_S8_S9_S9_EESD_ST_SE_SF_SG_EUlST_E_NS1_11comp_targetILNS1_3genE3ELNS1_11target_archE908ELNS1_3gpuE7ELNS1_3repE0EEENS1_48merge_mergepath_partition_config_static_selectorELNS0_4arch9wavefront6targetE0EEEvSF_
	.globl	_ZN7rocprim17ROCPRIM_400000_NS6detail17trampoline_kernelINS0_14default_configENS1_38merge_sort_block_merge_config_selectorIiNS0_10empty_typeEEEZZNS1_27merge_sort_block_merge_implIS3_PiPS5_jNS1_19radix_merge_compareILb0ELb0EiNS0_19identity_decomposerEEEEE10hipError_tT0_T1_T2_jT3_P12ihipStream_tbPNSt15iterator_traitsISE_E10value_typeEPNSK_ISF_E10value_typeEPSG_NS1_7vsmem_tEENKUlT_SE_SF_SG_E_clIS8_S8_S9_S9_EESD_ST_SE_SF_SG_EUlST_E_NS1_11comp_targetILNS1_3genE3ELNS1_11target_archE908ELNS1_3gpuE7ELNS1_3repE0EEENS1_48merge_mergepath_partition_config_static_selectorELNS0_4arch9wavefront6targetE0EEEvSF_
	.p2align	8
	.type	_ZN7rocprim17ROCPRIM_400000_NS6detail17trampoline_kernelINS0_14default_configENS1_38merge_sort_block_merge_config_selectorIiNS0_10empty_typeEEEZZNS1_27merge_sort_block_merge_implIS3_PiPS5_jNS1_19radix_merge_compareILb0ELb0EiNS0_19identity_decomposerEEEEE10hipError_tT0_T1_T2_jT3_P12ihipStream_tbPNSt15iterator_traitsISE_E10value_typeEPNSK_ISF_E10value_typeEPSG_NS1_7vsmem_tEENKUlT_SE_SF_SG_E_clIS8_S8_S9_S9_EESD_ST_SE_SF_SG_EUlST_E_NS1_11comp_targetILNS1_3genE3ELNS1_11target_archE908ELNS1_3gpuE7ELNS1_3repE0EEENS1_48merge_mergepath_partition_config_static_selectorELNS0_4arch9wavefront6targetE0EEEvSF_,@function
_ZN7rocprim17ROCPRIM_400000_NS6detail17trampoline_kernelINS0_14default_configENS1_38merge_sort_block_merge_config_selectorIiNS0_10empty_typeEEEZZNS1_27merge_sort_block_merge_implIS3_PiPS5_jNS1_19radix_merge_compareILb0ELb0EiNS0_19identity_decomposerEEEEE10hipError_tT0_T1_T2_jT3_P12ihipStream_tbPNSt15iterator_traitsISE_E10value_typeEPNSK_ISF_E10value_typeEPSG_NS1_7vsmem_tEENKUlT_SE_SF_SG_E_clIS8_S8_S9_S9_EESD_ST_SE_SF_SG_EUlST_E_NS1_11comp_targetILNS1_3genE3ELNS1_11target_archE908ELNS1_3gpuE7ELNS1_3repE0EEENS1_48merge_mergepath_partition_config_static_selectorELNS0_4arch9wavefront6targetE0EEEvSF_: ; @_ZN7rocprim17ROCPRIM_400000_NS6detail17trampoline_kernelINS0_14default_configENS1_38merge_sort_block_merge_config_selectorIiNS0_10empty_typeEEEZZNS1_27merge_sort_block_merge_implIS3_PiPS5_jNS1_19radix_merge_compareILb0ELb0EiNS0_19identity_decomposerEEEEE10hipError_tT0_T1_T2_jT3_P12ihipStream_tbPNSt15iterator_traitsISE_E10value_typeEPNSK_ISF_E10value_typeEPSG_NS1_7vsmem_tEENKUlT_SE_SF_SG_E_clIS8_S8_S9_S9_EESD_ST_SE_SF_SG_EUlST_E_NS1_11comp_targetILNS1_3genE3ELNS1_11target_archE908ELNS1_3gpuE7ELNS1_3repE0EEENS1_48merge_mergepath_partition_config_static_selectorELNS0_4arch9wavefront6targetE0EEEvSF_
; %bb.0:
	.section	.rodata,"a",@progbits
	.p2align	6, 0x0
	.amdhsa_kernel _ZN7rocprim17ROCPRIM_400000_NS6detail17trampoline_kernelINS0_14default_configENS1_38merge_sort_block_merge_config_selectorIiNS0_10empty_typeEEEZZNS1_27merge_sort_block_merge_implIS3_PiPS5_jNS1_19radix_merge_compareILb0ELb0EiNS0_19identity_decomposerEEEEE10hipError_tT0_T1_T2_jT3_P12ihipStream_tbPNSt15iterator_traitsISE_E10value_typeEPNSK_ISF_E10value_typeEPSG_NS1_7vsmem_tEENKUlT_SE_SF_SG_E_clIS8_S8_S9_S9_EESD_ST_SE_SF_SG_EUlST_E_NS1_11comp_targetILNS1_3genE3ELNS1_11target_archE908ELNS1_3gpuE7ELNS1_3repE0EEENS1_48merge_mergepath_partition_config_static_selectorELNS0_4arch9wavefront6targetE0EEEvSF_
		.amdhsa_group_segment_fixed_size 0
		.amdhsa_private_segment_fixed_size 0
		.amdhsa_kernarg_size 40
		.amdhsa_user_sgpr_count 2
		.amdhsa_user_sgpr_dispatch_ptr 0
		.amdhsa_user_sgpr_queue_ptr 0
		.amdhsa_user_sgpr_kernarg_segment_ptr 1
		.amdhsa_user_sgpr_dispatch_id 0
		.amdhsa_user_sgpr_kernarg_preload_length 0
		.amdhsa_user_sgpr_kernarg_preload_offset 0
		.amdhsa_user_sgpr_private_segment_size 0
		.amdhsa_wavefront_size32 1
		.amdhsa_uses_dynamic_stack 0
		.amdhsa_enable_private_segment 0
		.amdhsa_system_sgpr_workgroup_id_x 1
		.amdhsa_system_sgpr_workgroup_id_y 0
		.amdhsa_system_sgpr_workgroup_id_z 0
		.amdhsa_system_sgpr_workgroup_info 0
		.amdhsa_system_vgpr_workitem_id 0
		.amdhsa_next_free_vgpr 1
		.amdhsa_next_free_sgpr 1
		.amdhsa_named_barrier_count 0
		.amdhsa_reserve_vcc 0
		.amdhsa_float_round_mode_32 0
		.amdhsa_float_round_mode_16_64 0
		.amdhsa_float_denorm_mode_32 3
		.amdhsa_float_denorm_mode_16_64 3
		.amdhsa_fp16_overflow 0
		.amdhsa_memory_ordered 1
		.amdhsa_forward_progress 1
		.amdhsa_inst_pref_size 0
		.amdhsa_round_robin_scheduling 0
		.amdhsa_exception_fp_ieee_invalid_op 0
		.amdhsa_exception_fp_denorm_src 0
		.amdhsa_exception_fp_ieee_div_zero 0
		.amdhsa_exception_fp_ieee_overflow 0
		.amdhsa_exception_fp_ieee_underflow 0
		.amdhsa_exception_fp_ieee_inexact 0
		.amdhsa_exception_int_div_zero 0
	.end_amdhsa_kernel
	.section	.text._ZN7rocprim17ROCPRIM_400000_NS6detail17trampoline_kernelINS0_14default_configENS1_38merge_sort_block_merge_config_selectorIiNS0_10empty_typeEEEZZNS1_27merge_sort_block_merge_implIS3_PiPS5_jNS1_19radix_merge_compareILb0ELb0EiNS0_19identity_decomposerEEEEE10hipError_tT0_T1_T2_jT3_P12ihipStream_tbPNSt15iterator_traitsISE_E10value_typeEPNSK_ISF_E10value_typeEPSG_NS1_7vsmem_tEENKUlT_SE_SF_SG_E_clIS8_S8_S9_S9_EESD_ST_SE_SF_SG_EUlST_E_NS1_11comp_targetILNS1_3genE3ELNS1_11target_archE908ELNS1_3gpuE7ELNS1_3repE0EEENS1_48merge_mergepath_partition_config_static_selectorELNS0_4arch9wavefront6targetE0EEEvSF_,"axG",@progbits,_ZN7rocprim17ROCPRIM_400000_NS6detail17trampoline_kernelINS0_14default_configENS1_38merge_sort_block_merge_config_selectorIiNS0_10empty_typeEEEZZNS1_27merge_sort_block_merge_implIS3_PiPS5_jNS1_19radix_merge_compareILb0ELb0EiNS0_19identity_decomposerEEEEE10hipError_tT0_T1_T2_jT3_P12ihipStream_tbPNSt15iterator_traitsISE_E10value_typeEPNSK_ISF_E10value_typeEPSG_NS1_7vsmem_tEENKUlT_SE_SF_SG_E_clIS8_S8_S9_S9_EESD_ST_SE_SF_SG_EUlST_E_NS1_11comp_targetILNS1_3genE3ELNS1_11target_archE908ELNS1_3gpuE7ELNS1_3repE0EEENS1_48merge_mergepath_partition_config_static_selectorELNS0_4arch9wavefront6targetE0EEEvSF_,comdat
.Lfunc_end898:
	.size	_ZN7rocprim17ROCPRIM_400000_NS6detail17trampoline_kernelINS0_14default_configENS1_38merge_sort_block_merge_config_selectorIiNS0_10empty_typeEEEZZNS1_27merge_sort_block_merge_implIS3_PiPS5_jNS1_19radix_merge_compareILb0ELb0EiNS0_19identity_decomposerEEEEE10hipError_tT0_T1_T2_jT3_P12ihipStream_tbPNSt15iterator_traitsISE_E10value_typeEPNSK_ISF_E10value_typeEPSG_NS1_7vsmem_tEENKUlT_SE_SF_SG_E_clIS8_S8_S9_S9_EESD_ST_SE_SF_SG_EUlST_E_NS1_11comp_targetILNS1_3genE3ELNS1_11target_archE908ELNS1_3gpuE7ELNS1_3repE0EEENS1_48merge_mergepath_partition_config_static_selectorELNS0_4arch9wavefront6targetE0EEEvSF_, .Lfunc_end898-_ZN7rocprim17ROCPRIM_400000_NS6detail17trampoline_kernelINS0_14default_configENS1_38merge_sort_block_merge_config_selectorIiNS0_10empty_typeEEEZZNS1_27merge_sort_block_merge_implIS3_PiPS5_jNS1_19radix_merge_compareILb0ELb0EiNS0_19identity_decomposerEEEEE10hipError_tT0_T1_T2_jT3_P12ihipStream_tbPNSt15iterator_traitsISE_E10value_typeEPNSK_ISF_E10value_typeEPSG_NS1_7vsmem_tEENKUlT_SE_SF_SG_E_clIS8_S8_S9_S9_EESD_ST_SE_SF_SG_EUlST_E_NS1_11comp_targetILNS1_3genE3ELNS1_11target_archE908ELNS1_3gpuE7ELNS1_3repE0EEENS1_48merge_mergepath_partition_config_static_selectorELNS0_4arch9wavefront6targetE0EEEvSF_
                                        ; -- End function
	.set _ZN7rocprim17ROCPRIM_400000_NS6detail17trampoline_kernelINS0_14default_configENS1_38merge_sort_block_merge_config_selectorIiNS0_10empty_typeEEEZZNS1_27merge_sort_block_merge_implIS3_PiPS5_jNS1_19radix_merge_compareILb0ELb0EiNS0_19identity_decomposerEEEEE10hipError_tT0_T1_T2_jT3_P12ihipStream_tbPNSt15iterator_traitsISE_E10value_typeEPNSK_ISF_E10value_typeEPSG_NS1_7vsmem_tEENKUlT_SE_SF_SG_E_clIS8_S8_S9_S9_EESD_ST_SE_SF_SG_EUlST_E_NS1_11comp_targetILNS1_3genE3ELNS1_11target_archE908ELNS1_3gpuE7ELNS1_3repE0EEENS1_48merge_mergepath_partition_config_static_selectorELNS0_4arch9wavefront6targetE0EEEvSF_.num_vgpr, 0
	.set _ZN7rocprim17ROCPRIM_400000_NS6detail17trampoline_kernelINS0_14default_configENS1_38merge_sort_block_merge_config_selectorIiNS0_10empty_typeEEEZZNS1_27merge_sort_block_merge_implIS3_PiPS5_jNS1_19radix_merge_compareILb0ELb0EiNS0_19identity_decomposerEEEEE10hipError_tT0_T1_T2_jT3_P12ihipStream_tbPNSt15iterator_traitsISE_E10value_typeEPNSK_ISF_E10value_typeEPSG_NS1_7vsmem_tEENKUlT_SE_SF_SG_E_clIS8_S8_S9_S9_EESD_ST_SE_SF_SG_EUlST_E_NS1_11comp_targetILNS1_3genE3ELNS1_11target_archE908ELNS1_3gpuE7ELNS1_3repE0EEENS1_48merge_mergepath_partition_config_static_selectorELNS0_4arch9wavefront6targetE0EEEvSF_.num_agpr, 0
	.set _ZN7rocprim17ROCPRIM_400000_NS6detail17trampoline_kernelINS0_14default_configENS1_38merge_sort_block_merge_config_selectorIiNS0_10empty_typeEEEZZNS1_27merge_sort_block_merge_implIS3_PiPS5_jNS1_19radix_merge_compareILb0ELb0EiNS0_19identity_decomposerEEEEE10hipError_tT0_T1_T2_jT3_P12ihipStream_tbPNSt15iterator_traitsISE_E10value_typeEPNSK_ISF_E10value_typeEPSG_NS1_7vsmem_tEENKUlT_SE_SF_SG_E_clIS8_S8_S9_S9_EESD_ST_SE_SF_SG_EUlST_E_NS1_11comp_targetILNS1_3genE3ELNS1_11target_archE908ELNS1_3gpuE7ELNS1_3repE0EEENS1_48merge_mergepath_partition_config_static_selectorELNS0_4arch9wavefront6targetE0EEEvSF_.numbered_sgpr, 0
	.set _ZN7rocprim17ROCPRIM_400000_NS6detail17trampoline_kernelINS0_14default_configENS1_38merge_sort_block_merge_config_selectorIiNS0_10empty_typeEEEZZNS1_27merge_sort_block_merge_implIS3_PiPS5_jNS1_19radix_merge_compareILb0ELb0EiNS0_19identity_decomposerEEEEE10hipError_tT0_T1_T2_jT3_P12ihipStream_tbPNSt15iterator_traitsISE_E10value_typeEPNSK_ISF_E10value_typeEPSG_NS1_7vsmem_tEENKUlT_SE_SF_SG_E_clIS8_S8_S9_S9_EESD_ST_SE_SF_SG_EUlST_E_NS1_11comp_targetILNS1_3genE3ELNS1_11target_archE908ELNS1_3gpuE7ELNS1_3repE0EEENS1_48merge_mergepath_partition_config_static_selectorELNS0_4arch9wavefront6targetE0EEEvSF_.num_named_barrier, 0
	.set _ZN7rocprim17ROCPRIM_400000_NS6detail17trampoline_kernelINS0_14default_configENS1_38merge_sort_block_merge_config_selectorIiNS0_10empty_typeEEEZZNS1_27merge_sort_block_merge_implIS3_PiPS5_jNS1_19radix_merge_compareILb0ELb0EiNS0_19identity_decomposerEEEEE10hipError_tT0_T1_T2_jT3_P12ihipStream_tbPNSt15iterator_traitsISE_E10value_typeEPNSK_ISF_E10value_typeEPSG_NS1_7vsmem_tEENKUlT_SE_SF_SG_E_clIS8_S8_S9_S9_EESD_ST_SE_SF_SG_EUlST_E_NS1_11comp_targetILNS1_3genE3ELNS1_11target_archE908ELNS1_3gpuE7ELNS1_3repE0EEENS1_48merge_mergepath_partition_config_static_selectorELNS0_4arch9wavefront6targetE0EEEvSF_.private_seg_size, 0
	.set _ZN7rocprim17ROCPRIM_400000_NS6detail17trampoline_kernelINS0_14default_configENS1_38merge_sort_block_merge_config_selectorIiNS0_10empty_typeEEEZZNS1_27merge_sort_block_merge_implIS3_PiPS5_jNS1_19radix_merge_compareILb0ELb0EiNS0_19identity_decomposerEEEEE10hipError_tT0_T1_T2_jT3_P12ihipStream_tbPNSt15iterator_traitsISE_E10value_typeEPNSK_ISF_E10value_typeEPSG_NS1_7vsmem_tEENKUlT_SE_SF_SG_E_clIS8_S8_S9_S9_EESD_ST_SE_SF_SG_EUlST_E_NS1_11comp_targetILNS1_3genE3ELNS1_11target_archE908ELNS1_3gpuE7ELNS1_3repE0EEENS1_48merge_mergepath_partition_config_static_selectorELNS0_4arch9wavefront6targetE0EEEvSF_.uses_vcc, 0
	.set _ZN7rocprim17ROCPRIM_400000_NS6detail17trampoline_kernelINS0_14default_configENS1_38merge_sort_block_merge_config_selectorIiNS0_10empty_typeEEEZZNS1_27merge_sort_block_merge_implIS3_PiPS5_jNS1_19radix_merge_compareILb0ELb0EiNS0_19identity_decomposerEEEEE10hipError_tT0_T1_T2_jT3_P12ihipStream_tbPNSt15iterator_traitsISE_E10value_typeEPNSK_ISF_E10value_typeEPSG_NS1_7vsmem_tEENKUlT_SE_SF_SG_E_clIS8_S8_S9_S9_EESD_ST_SE_SF_SG_EUlST_E_NS1_11comp_targetILNS1_3genE3ELNS1_11target_archE908ELNS1_3gpuE7ELNS1_3repE0EEENS1_48merge_mergepath_partition_config_static_selectorELNS0_4arch9wavefront6targetE0EEEvSF_.uses_flat_scratch, 0
	.set _ZN7rocprim17ROCPRIM_400000_NS6detail17trampoline_kernelINS0_14default_configENS1_38merge_sort_block_merge_config_selectorIiNS0_10empty_typeEEEZZNS1_27merge_sort_block_merge_implIS3_PiPS5_jNS1_19radix_merge_compareILb0ELb0EiNS0_19identity_decomposerEEEEE10hipError_tT0_T1_T2_jT3_P12ihipStream_tbPNSt15iterator_traitsISE_E10value_typeEPNSK_ISF_E10value_typeEPSG_NS1_7vsmem_tEENKUlT_SE_SF_SG_E_clIS8_S8_S9_S9_EESD_ST_SE_SF_SG_EUlST_E_NS1_11comp_targetILNS1_3genE3ELNS1_11target_archE908ELNS1_3gpuE7ELNS1_3repE0EEENS1_48merge_mergepath_partition_config_static_selectorELNS0_4arch9wavefront6targetE0EEEvSF_.has_dyn_sized_stack, 0
	.set _ZN7rocprim17ROCPRIM_400000_NS6detail17trampoline_kernelINS0_14default_configENS1_38merge_sort_block_merge_config_selectorIiNS0_10empty_typeEEEZZNS1_27merge_sort_block_merge_implIS3_PiPS5_jNS1_19radix_merge_compareILb0ELb0EiNS0_19identity_decomposerEEEEE10hipError_tT0_T1_T2_jT3_P12ihipStream_tbPNSt15iterator_traitsISE_E10value_typeEPNSK_ISF_E10value_typeEPSG_NS1_7vsmem_tEENKUlT_SE_SF_SG_E_clIS8_S8_S9_S9_EESD_ST_SE_SF_SG_EUlST_E_NS1_11comp_targetILNS1_3genE3ELNS1_11target_archE908ELNS1_3gpuE7ELNS1_3repE0EEENS1_48merge_mergepath_partition_config_static_selectorELNS0_4arch9wavefront6targetE0EEEvSF_.has_recursion, 0
	.set _ZN7rocprim17ROCPRIM_400000_NS6detail17trampoline_kernelINS0_14default_configENS1_38merge_sort_block_merge_config_selectorIiNS0_10empty_typeEEEZZNS1_27merge_sort_block_merge_implIS3_PiPS5_jNS1_19radix_merge_compareILb0ELb0EiNS0_19identity_decomposerEEEEE10hipError_tT0_T1_T2_jT3_P12ihipStream_tbPNSt15iterator_traitsISE_E10value_typeEPNSK_ISF_E10value_typeEPSG_NS1_7vsmem_tEENKUlT_SE_SF_SG_E_clIS8_S8_S9_S9_EESD_ST_SE_SF_SG_EUlST_E_NS1_11comp_targetILNS1_3genE3ELNS1_11target_archE908ELNS1_3gpuE7ELNS1_3repE0EEENS1_48merge_mergepath_partition_config_static_selectorELNS0_4arch9wavefront6targetE0EEEvSF_.has_indirect_call, 0
	.section	.AMDGPU.csdata,"",@progbits
; Kernel info:
; codeLenInByte = 0
; TotalNumSgprs: 0
; NumVgprs: 0
; ScratchSize: 0
; MemoryBound: 0
; FloatMode: 240
; IeeeMode: 1
; LDSByteSize: 0 bytes/workgroup (compile time only)
; SGPRBlocks: 0
; VGPRBlocks: 0
; NumSGPRsForWavesPerEU: 1
; NumVGPRsForWavesPerEU: 1
; NamedBarCnt: 0
; Occupancy: 16
; WaveLimiterHint : 0
; COMPUTE_PGM_RSRC2:SCRATCH_EN: 0
; COMPUTE_PGM_RSRC2:USER_SGPR: 2
; COMPUTE_PGM_RSRC2:TRAP_HANDLER: 0
; COMPUTE_PGM_RSRC2:TGID_X_EN: 1
; COMPUTE_PGM_RSRC2:TGID_Y_EN: 0
; COMPUTE_PGM_RSRC2:TGID_Z_EN: 0
; COMPUTE_PGM_RSRC2:TIDIG_COMP_CNT: 0
	.section	.text._ZN7rocprim17ROCPRIM_400000_NS6detail17trampoline_kernelINS0_14default_configENS1_38merge_sort_block_merge_config_selectorIiNS0_10empty_typeEEEZZNS1_27merge_sort_block_merge_implIS3_PiPS5_jNS1_19radix_merge_compareILb0ELb0EiNS0_19identity_decomposerEEEEE10hipError_tT0_T1_T2_jT3_P12ihipStream_tbPNSt15iterator_traitsISE_E10value_typeEPNSK_ISF_E10value_typeEPSG_NS1_7vsmem_tEENKUlT_SE_SF_SG_E_clIS8_S8_S9_S9_EESD_ST_SE_SF_SG_EUlST_E_NS1_11comp_targetILNS1_3genE2ELNS1_11target_archE906ELNS1_3gpuE6ELNS1_3repE0EEENS1_48merge_mergepath_partition_config_static_selectorELNS0_4arch9wavefront6targetE0EEEvSF_,"axG",@progbits,_ZN7rocprim17ROCPRIM_400000_NS6detail17trampoline_kernelINS0_14default_configENS1_38merge_sort_block_merge_config_selectorIiNS0_10empty_typeEEEZZNS1_27merge_sort_block_merge_implIS3_PiPS5_jNS1_19radix_merge_compareILb0ELb0EiNS0_19identity_decomposerEEEEE10hipError_tT0_T1_T2_jT3_P12ihipStream_tbPNSt15iterator_traitsISE_E10value_typeEPNSK_ISF_E10value_typeEPSG_NS1_7vsmem_tEENKUlT_SE_SF_SG_E_clIS8_S8_S9_S9_EESD_ST_SE_SF_SG_EUlST_E_NS1_11comp_targetILNS1_3genE2ELNS1_11target_archE906ELNS1_3gpuE6ELNS1_3repE0EEENS1_48merge_mergepath_partition_config_static_selectorELNS0_4arch9wavefront6targetE0EEEvSF_,comdat
	.protected	_ZN7rocprim17ROCPRIM_400000_NS6detail17trampoline_kernelINS0_14default_configENS1_38merge_sort_block_merge_config_selectorIiNS0_10empty_typeEEEZZNS1_27merge_sort_block_merge_implIS3_PiPS5_jNS1_19radix_merge_compareILb0ELb0EiNS0_19identity_decomposerEEEEE10hipError_tT0_T1_T2_jT3_P12ihipStream_tbPNSt15iterator_traitsISE_E10value_typeEPNSK_ISF_E10value_typeEPSG_NS1_7vsmem_tEENKUlT_SE_SF_SG_E_clIS8_S8_S9_S9_EESD_ST_SE_SF_SG_EUlST_E_NS1_11comp_targetILNS1_3genE2ELNS1_11target_archE906ELNS1_3gpuE6ELNS1_3repE0EEENS1_48merge_mergepath_partition_config_static_selectorELNS0_4arch9wavefront6targetE0EEEvSF_ ; -- Begin function _ZN7rocprim17ROCPRIM_400000_NS6detail17trampoline_kernelINS0_14default_configENS1_38merge_sort_block_merge_config_selectorIiNS0_10empty_typeEEEZZNS1_27merge_sort_block_merge_implIS3_PiPS5_jNS1_19radix_merge_compareILb0ELb0EiNS0_19identity_decomposerEEEEE10hipError_tT0_T1_T2_jT3_P12ihipStream_tbPNSt15iterator_traitsISE_E10value_typeEPNSK_ISF_E10value_typeEPSG_NS1_7vsmem_tEENKUlT_SE_SF_SG_E_clIS8_S8_S9_S9_EESD_ST_SE_SF_SG_EUlST_E_NS1_11comp_targetILNS1_3genE2ELNS1_11target_archE906ELNS1_3gpuE6ELNS1_3repE0EEENS1_48merge_mergepath_partition_config_static_selectorELNS0_4arch9wavefront6targetE0EEEvSF_
	.globl	_ZN7rocprim17ROCPRIM_400000_NS6detail17trampoline_kernelINS0_14default_configENS1_38merge_sort_block_merge_config_selectorIiNS0_10empty_typeEEEZZNS1_27merge_sort_block_merge_implIS3_PiPS5_jNS1_19radix_merge_compareILb0ELb0EiNS0_19identity_decomposerEEEEE10hipError_tT0_T1_T2_jT3_P12ihipStream_tbPNSt15iterator_traitsISE_E10value_typeEPNSK_ISF_E10value_typeEPSG_NS1_7vsmem_tEENKUlT_SE_SF_SG_E_clIS8_S8_S9_S9_EESD_ST_SE_SF_SG_EUlST_E_NS1_11comp_targetILNS1_3genE2ELNS1_11target_archE906ELNS1_3gpuE6ELNS1_3repE0EEENS1_48merge_mergepath_partition_config_static_selectorELNS0_4arch9wavefront6targetE0EEEvSF_
	.p2align	8
	.type	_ZN7rocprim17ROCPRIM_400000_NS6detail17trampoline_kernelINS0_14default_configENS1_38merge_sort_block_merge_config_selectorIiNS0_10empty_typeEEEZZNS1_27merge_sort_block_merge_implIS3_PiPS5_jNS1_19radix_merge_compareILb0ELb0EiNS0_19identity_decomposerEEEEE10hipError_tT0_T1_T2_jT3_P12ihipStream_tbPNSt15iterator_traitsISE_E10value_typeEPNSK_ISF_E10value_typeEPSG_NS1_7vsmem_tEENKUlT_SE_SF_SG_E_clIS8_S8_S9_S9_EESD_ST_SE_SF_SG_EUlST_E_NS1_11comp_targetILNS1_3genE2ELNS1_11target_archE906ELNS1_3gpuE6ELNS1_3repE0EEENS1_48merge_mergepath_partition_config_static_selectorELNS0_4arch9wavefront6targetE0EEEvSF_,@function
_ZN7rocprim17ROCPRIM_400000_NS6detail17trampoline_kernelINS0_14default_configENS1_38merge_sort_block_merge_config_selectorIiNS0_10empty_typeEEEZZNS1_27merge_sort_block_merge_implIS3_PiPS5_jNS1_19radix_merge_compareILb0ELb0EiNS0_19identity_decomposerEEEEE10hipError_tT0_T1_T2_jT3_P12ihipStream_tbPNSt15iterator_traitsISE_E10value_typeEPNSK_ISF_E10value_typeEPSG_NS1_7vsmem_tEENKUlT_SE_SF_SG_E_clIS8_S8_S9_S9_EESD_ST_SE_SF_SG_EUlST_E_NS1_11comp_targetILNS1_3genE2ELNS1_11target_archE906ELNS1_3gpuE6ELNS1_3repE0EEENS1_48merge_mergepath_partition_config_static_selectorELNS0_4arch9wavefront6targetE0EEEvSF_: ; @_ZN7rocprim17ROCPRIM_400000_NS6detail17trampoline_kernelINS0_14default_configENS1_38merge_sort_block_merge_config_selectorIiNS0_10empty_typeEEEZZNS1_27merge_sort_block_merge_implIS3_PiPS5_jNS1_19radix_merge_compareILb0ELb0EiNS0_19identity_decomposerEEEEE10hipError_tT0_T1_T2_jT3_P12ihipStream_tbPNSt15iterator_traitsISE_E10value_typeEPNSK_ISF_E10value_typeEPSG_NS1_7vsmem_tEENKUlT_SE_SF_SG_E_clIS8_S8_S9_S9_EESD_ST_SE_SF_SG_EUlST_E_NS1_11comp_targetILNS1_3genE2ELNS1_11target_archE906ELNS1_3gpuE6ELNS1_3repE0EEENS1_48merge_mergepath_partition_config_static_selectorELNS0_4arch9wavefront6targetE0EEEvSF_
; %bb.0:
	.section	.rodata,"a",@progbits
	.p2align	6, 0x0
	.amdhsa_kernel _ZN7rocprim17ROCPRIM_400000_NS6detail17trampoline_kernelINS0_14default_configENS1_38merge_sort_block_merge_config_selectorIiNS0_10empty_typeEEEZZNS1_27merge_sort_block_merge_implIS3_PiPS5_jNS1_19radix_merge_compareILb0ELb0EiNS0_19identity_decomposerEEEEE10hipError_tT0_T1_T2_jT3_P12ihipStream_tbPNSt15iterator_traitsISE_E10value_typeEPNSK_ISF_E10value_typeEPSG_NS1_7vsmem_tEENKUlT_SE_SF_SG_E_clIS8_S8_S9_S9_EESD_ST_SE_SF_SG_EUlST_E_NS1_11comp_targetILNS1_3genE2ELNS1_11target_archE906ELNS1_3gpuE6ELNS1_3repE0EEENS1_48merge_mergepath_partition_config_static_selectorELNS0_4arch9wavefront6targetE0EEEvSF_
		.amdhsa_group_segment_fixed_size 0
		.amdhsa_private_segment_fixed_size 0
		.amdhsa_kernarg_size 40
		.amdhsa_user_sgpr_count 2
		.amdhsa_user_sgpr_dispatch_ptr 0
		.amdhsa_user_sgpr_queue_ptr 0
		.amdhsa_user_sgpr_kernarg_segment_ptr 1
		.amdhsa_user_sgpr_dispatch_id 0
		.amdhsa_user_sgpr_kernarg_preload_length 0
		.amdhsa_user_sgpr_kernarg_preload_offset 0
		.amdhsa_user_sgpr_private_segment_size 0
		.amdhsa_wavefront_size32 1
		.amdhsa_uses_dynamic_stack 0
		.amdhsa_enable_private_segment 0
		.amdhsa_system_sgpr_workgroup_id_x 1
		.amdhsa_system_sgpr_workgroup_id_y 0
		.amdhsa_system_sgpr_workgroup_id_z 0
		.amdhsa_system_sgpr_workgroup_info 0
		.amdhsa_system_vgpr_workitem_id 0
		.amdhsa_next_free_vgpr 1
		.amdhsa_next_free_sgpr 1
		.amdhsa_named_barrier_count 0
		.amdhsa_reserve_vcc 0
		.amdhsa_float_round_mode_32 0
		.amdhsa_float_round_mode_16_64 0
		.amdhsa_float_denorm_mode_32 3
		.amdhsa_float_denorm_mode_16_64 3
		.amdhsa_fp16_overflow 0
		.amdhsa_memory_ordered 1
		.amdhsa_forward_progress 1
		.amdhsa_inst_pref_size 0
		.amdhsa_round_robin_scheduling 0
		.amdhsa_exception_fp_ieee_invalid_op 0
		.amdhsa_exception_fp_denorm_src 0
		.amdhsa_exception_fp_ieee_div_zero 0
		.amdhsa_exception_fp_ieee_overflow 0
		.amdhsa_exception_fp_ieee_underflow 0
		.amdhsa_exception_fp_ieee_inexact 0
		.amdhsa_exception_int_div_zero 0
	.end_amdhsa_kernel
	.section	.text._ZN7rocprim17ROCPRIM_400000_NS6detail17trampoline_kernelINS0_14default_configENS1_38merge_sort_block_merge_config_selectorIiNS0_10empty_typeEEEZZNS1_27merge_sort_block_merge_implIS3_PiPS5_jNS1_19radix_merge_compareILb0ELb0EiNS0_19identity_decomposerEEEEE10hipError_tT0_T1_T2_jT3_P12ihipStream_tbPNSt15iterator_traitsISE_E10value_typeEPNSK_ISF_E10value_typeEPSG_NS1_7vsmem_tEENKUlT_SE_SF_SG_E_clIS8_S8_S9_S9_EESD_ST_SE_SF_SG_EUlST_E_NS1_11comp_targetILNS1_3genE2ELNS1_11target_archE906ELNS1_3gpuE6ELNS1_3repE0EEENS1_48merge_mergepath_partition_config_static_selectorELNS0_4arch9wavefront6targetE0EEEvSF_,"axG",@progbits,_ZN7rocprim17ROCPRIM_400000_NS6detail17trampoline_kernelINS0_14default_configENS1_38merge_sort_block_merge_config_selectorIiNS0_10empty_typeEEEZZNS1_27merge_sort_block_merge_implIS3_PiPS5_jNS1_19radix_merge_compareILb0ELb0EiNS0_19identity_decomposerEEEEE10hipError_tT0_T1_T2_jT3_P12ihipStream_tbPNSt15iterator_traitsISE_E10value_typeEPNSK_ISF_E10value_typeEPSG_NS1_7vsmem_tEENKUlT_SE_SF_SG_E_clIS8_S8_S9_S9_EESD_ST_SE_SF_SG_EUlST_E_NS1_11comp_targetILNS1_3genE2ELNS1_11target_archE906ELNS1_3gpuE6ELNS1_3repE0EEENS1_48merge_mergepath_partition_config_static_selectorELNS0_4arch9wavefront6targetE0EEEvSF_,comdat
.Lfunc_end899:
	.size	_ZN7rocprim17ROCPRIM_400000_NS6detail17trampoline_kernelINS0_14default_configENS1_38merge_sort_block_merge_config_selectorIiNS0_10empty_typeEEEZZNS1_27merge_sort_block_merge_implIS3_PiPS5_jNS1_19radix_merge_compareILb0ELb0EiNS0_19identity_decomposerEEEEE10hipError_tT0_T1_T2_jT3_P12ihipStream_tbPNSt15iterator_traitsISE_E10value_typeEPNSK_ISF_E10value_typeEPSG_NS1_7vsmem_tEENKUlT_SE_SF_SG_E_clIS8_S8_S9_S9_EESD_ST_SE_SF_SG_EUlST_E_NS1_11comp_targetILNS1_3genE2ELNS1_11target_archE906ELNS1_3gpuE6ELNS1_3repE0EEENS1_48merge_mergepath_partition_config_static_selectorELNS0_4arch9wavefront6targetE0EEEvSF_, .Lfunc_end899-_ZN7rocprim17ROCPRIM_400000_NS6detail17trampoline_kernelINS0_14default_configENS1_38merge_sort_block_merge_config_selectorIiNS0_10empty_typeEEEZZNS1_27merge_sort_block_merge_implIS3_PiPS5_jNS1_19radix_merge_compareILb0ELb0EiNS0_19identity_decomposerEEEEE10hipError_tT0_T1_T2_jT3_P12ihipStream_tbPNSt15iterator_traitsISE_E10value_typeEPNSK_ISF_E10value_typeEPSG_NS1_7vsmem_tEENKUlT_SE_SF_SG_E_clIS8_S8_S9_S9_EESD_ST_SE_SF_SG_EUlST_E_NS1_11comp_targetILNS1_3genE2ELNS1_11target_archE906ELNS1_3gpuE6ELNS1_3repE0EEENS1_48merge_mergepath_partition_config_static_selectorELNS0_4arch9wavefront6targetE0EEEvSF_
                                        ; -- End function
	.set _ZN7rocprim17ROCPRIM_400000_NS6detail17trampoline_kernelINS0_14default_configENS1_38merge_sort_block_merge_config_selectorIiNS0_10empty_typeEEEZZNS1_27merge_sort_block_merge_implIS3_PiPS5_jNS1_19radix_merge_compareILb0ELb0EiNS0_19identity_decomposerEEEEE10hipError_tT0_T1_T2_jT3_P12ihipStream_tbPNSt15iterator_traitsISE_E10value_typeEPNSK_ISF_E10value_typeEPSG_NS1_7vsmem_tEENKUlT_SE_SF_SG_E_clIS8_S8_S9_S9_EESD_ST_SE_SF_SG_EUlST_E_NS1_11comp_targetILNS1_3genE2ELNS1_11target_archE906ELNS1_3gpuE6ELNS1_3repE0EEENS1_48merge_mergepath_partition_config_static_selectorELNS0_4arch9wavefront6targetE0EEEvSF_.num_vgpr, 0
	.set _ZN7rocprim17ROCPRIM_400000_NS6detail17trampoline_kernelINS0_14default_configENS1_38merge_sort_block_merge_config_selectorIiNS0_10empty_typeEEEZZNS1_27merge_sort_block_merge_implIS3_PiPS5_jNS1_19radix_merge_compareILb0ELb0EiNS0_19identity_decomposerEEEEE10hipError_tT0_T1_T2_jT3_P12ihipStream_tbPNSt15iterator_traitsISE_E10value_typeEPNSK_ISF_E10value_typeEPSG_NS1_7vsmem_tEENKUlT_SE_SF_SG_E_clIS8_S8_S9_S9_EESD_ST_SE_SF_SG_EUlST_E_NS1_11comp_targetILNS1_3genE2ELNS1_11target_archE906ELNS1_3gpuE6ELNS1_3repE0EEENS1_48merge_mergepath_partition_config_static_selectorELNS0_4arch9wavefront6targetE0EEEvSF_.num_agpr, 0
	.set _ZN7rocprim17ROCPRIM_400000_NS6detail17trampoline_kernelINS0_14default_configENS1_38merge_sort_block_merge_config_selectorIiNS0_10empty_typeEEEZZNS1_27merge_sort_block_merge_implIS3_PiPS5_jNS1_19radix_merge_compareILb0ELb0EiNS0_19identity_decomposerEEEEE10hipError_tT0_T1_T2_jT3_P12ihipStream_tbPNSt15iterator_traitsISE_E10value_typeEPNSK_ISF_E10value_typeEPSG_NS1_7vsmem_tEENKUlT_SE_SF_SG_E_clIS8_S8_S9_S9_EESD_ST_SE_SF_SG_EUlST_E_NS1_11comp_targetILNS1_3genE2ELNS1_11target_archE906ELNS1_3gpuE6ELNS1_3repE0EEENS1_48merge_mergepath_partition_config_static_selectorELNS0_4arch9wavefront6targetE0EEEvSF_.numbered_sgpr, 0
	.set _ZN7rocprim17ROCPRIM_400000_NS6detail17trampoline_kernelINS0_14default_configENS1_38merge_sort_block_merge_config_selectorIiNS0_10empty_typeEEEZZNS1_27merge_sort_block_merge_implIS3_PiPS5_jNS1_19radix_merge_compareILb0ELb0EiNS0_19identity_decomposerEEEEE10hipError_tT0_T1_T2_jT3_P12ihipStream_tbPNSt15iterator_traitsISE_E10value_typeEPNSK_ISF_E10value_typeEPSG_NS1_7vsmem_tEENKUlT_SE_SF_SG_E_clIS8_S8_S9_S9_EESD_ST_SE_SF_SG_EUlST_E_NS1_11comp_targetILNS1_3genE2ELNS1_11target_archE906ELNS1_3gpuE6ELNS1_3repE0EEENS1_48merge_mergepath_partition_config_static_selectorELNS0_4arch9wavefront6targetE0EEEvSF_.num_named_barrier, 0
	.set _ZN7rocprim17ROCPRIM_400000_NS6detail17trampoline_kernelINS0_14default_configENS1_38merge_sort_block_merge_config_selectorIiNS0_10empty_typeEEEZZNS1_27merge_sort_block_merge_implIS3_PiPS5_jNS1_19radix_merge_compareILb0ELb0EiNS0_19identity_decomposerEEEEE10hipError_tT0_T1_T2_jT3_P12ihipStream_tbPNSt15iterator_traitsISE_E10value_typeEPNSK_ISF_E10value_typeEPSG_NS1_7vsmem_tEENKUlT_SE_SF_SG_E_clIS8_S8_S9_S9_EESD_ST_SE_SF_SG_EUlST_E_NS1_11comp_targetILNS1_3genE2ELNS1_11target_archE906ELNS1_3gpuE6ELNS1_3repE0EEENS1_48merge_mergepath_partition_config_static_selectorELNS0_4arch9wavefront6targetE0EEEvSF_.private_seg_size, 0
	.set _ZN7rocprim17ROCPRIM_400000_NS6detail17trampoline_kernelINS0_14default_configENS1_38merge_sort_block_merge_config_selectorIiNS0_10empty_typeEEEZZNS1_27merge_sort_block_merge_implIS3_PiPS5_jNS1_19radix_merge_compareILb0ELb0EiNS0_19identity_decomposerEEEEE10hipError_tT0_T1_T2_jT3_P12ihipStream_tbPNSt15iterator_traitsISE_E10value_typeEPNSK_ISF_E10value_typeEPSG_NS1_7vsmem_tEENKUlT_SE_SF_SG_E_clIS8_S8_S9_S9_EESD_ST_SE_SF_SG_EUlST_E_NS1_11comp_targetILNS1_3genE2ELNS1_11target_archE906ELNS1_3gpuE6ELNS1_3repE0EEENS1_48merge_mergepath_partition_config_static_selectorELNS0_4arch9wavefront6targetE0EEEvSF_.uses_vcc, 0
	.set _ZN7rocprim17ROCPRIM_400000_NS6detail17trampoline_kernelINS0_14default_configENS1_38merge_sort_block_merge_config_selectorIiNS0_10empty_typeEEEZZNS1_27merge_sort_block_merge_implIS3_PiPS5_jNS1_19radix_merge_compareILb0ELb0EiNS0_19identity_decomposerEEEEE10hipError_tT0_T1_T2_jT3_P12ihipStream_tbPNSt15iterator_traitsISE_E10value_typeEPNSK_ISF_E10value_typeEPSG_NS1_7vsmem_tEENKUlT_SE_SF_SG_E_clIS8_S8_S9_S9_EESD_ST_SE_SF_SG_EUlST_E_NS1_11comp_targetILNS1_3genE2ELNS1_11target_archE906ELNS1_3gpuE6ELNS1_3repE0EEENS1_48merge_mergepath_partition_config_static_selectorELNS0_4arch9wavefront6targetE0EEEvSF_.uses_flat_scratch, 0
	.set _ZN7rocprim17ROCPRIM_400000_NS6detail17trampoline_kernelINS0_14default_configENS1_38merge_sort_block_merge_config_selectorIiNS0_10empty_typeEEEZZNS1_27merge_sort_block_merge_implIS3_PiPS5_jNS1_19radix_merge_compareILb0ELb0EiNS0_19identity_decomposerEEEEE10hipError_tT0_T1_T2_jT3_P12ihipStream_tbPNSt15iterator_traitsISE_E10value_typeEPNSK_ISF_E10value_typeEPSG_NS1_7vsmem_tEENKUlT_SE_SF_SG_E_clIS8_S8_S9_S9_EESD_ST_SE_SF_SG_EUlST_E_NS1_11comp_targetILNS1_3genE2ELNS1_11target_archE906ELNS1_3gpuE6ELNS1_3repE0EEENS1_48merge_mergepath_partition_config_static_selectorELNS0_4arch9wavefront6targetE0EEEvSF_.has_dyn_sized_stack, 0
	.set _ZN7rocprim17ROCPRIM_400000_NS6detail17trampoline_kernelINS0_14default_configENS1_38merge_sort_block_merge_config_selectorIiNS0_10empty_typeEEEZZNS1_27merge_sort_block_merge_implIS3_PiPS5_jNS1_19radix_merge_compareILb0ELb0EiNS0_19identity_decomposerEEEEE10hipError_tT0_T1_T2_jT3_P12ihipStream_tbPNSt15iterator_traitsISE_E10value_typeEPNSK_ISF_E10value_typeEPSG_NS1_7vsmem_tEENKUlT_SE_SF_SG_E_clIS8_S8_S9_S9_EESD_ST_SE_SF_SG_EUlST_E_NS1_11comp_targetILNS1_3genE2ELNS1_11target_archE906ELNS1_3gpuE6ELNS1_3repE0EEENS1_48merge_mergepath_partition_config_static_selectorELNS0_4arch9wavefront6targetE0EEEvSF_.has_recursion, 0
	.set _ZN7rocprim17ROCPRIM_400000_NS6detail17trampoline_kernelINS0_14default_configENS1_38merge_sort_block_merge_config_selectorIiNS0_10empty_typeEEEZZNS1_27merge_sort_block_merge_implIS3_PiPS5_jNS1_19radix_merge_compareILb0ELb0EiNS0_19identity_decomposerEEEEE10hipError_tT0_T1_T2_jT3_P12ihipStream_tbPNSt15iterator_traitsISE_E10value_typeEPNSK_ISF_E10value_typeEPSG_NS1_7vsmem_tEENKUlT_SE_SF_SG_E_clIS8_S8_S9_S9_EESD_ST_SE_SF_SG_EUlST_E_NS1_11comp_targetILNS1_3genE2ELNS1_11target_archE906ELNS1_3gpuE6ELNS1_3repE0EEENS1_48merge_mergepath_partition_config_static_selectorELNS0_4arch9wavefront6targetE0EEEvSF_.has_indirect_call, 0
	.section	.AMDGPU.csdata,"",@progbits
; Kernel info:
; codeLenInByte = 0
; TotalNumSgprs: 0
; NumVgprs: 0
; ScratchSize: 0
; MemoryBound: 0
; FloatMode: 240
; IeeeMode: 1
; LDSByteSize: 0 bytes/workgroup (compile time only)
; SGPRBlocks: 0
; VGPRBlocks: 0
; NumSGPRsForWavesPerEU: 1
; NumVGPRsForWavesPerEU: 1
; NamedBarCnt: 0
; Occupancy: 16
; WaveLimiterHint : 0
; COMPUTE_PGM_RSRC2:SCRATCH_EN: 0
; COMPUTE_PGM_RSRC2:USER_SGPR: 2
; COMPUTE_PGM_RSRC2:TRAP_HANDLER: 0
; COMPUTE_PGM_RSRC2:TGID_X_EN: 1
; COMPUTE_PGM_RSRC2:TGID_Y_EN: 0
; COMPUTE_PGM_RSRC2:TGID_Z_EN: 0
; COMPUTE_PGM_RSRC2:TIDIG_COMP_CNT: 0
	.section	.text._ZN7rocprim17ROCPRIM_400000_NS6detail17trampoline_kernelINS0_14default_configENS1_38merge_sort_block_merge_config_selectorIiNS0_10empty_typeEEEZZNS1_27merge_sort_block_merge_implIS3_PiPS5_jNS1_19radix_merge_compareILb0ELb0EiNS0_19identity_decomposerEEEEE10hipError_tT0_T1_T2_jT3_P12ihipStream_tbPNSt15iterator_traitsISE_E10value_typeEPNSK_ISF_E10value_typeEPSG_NS1_7vsmem_tEENKUlT_SE_SF_SG_E_clIS8_S8_S9_S9_EESD_ST_SE_SF_SG_EUlST_E_NS1_11comp_targetILNS1_3genE9ELNS1_11target_archE1100ELNS1_3gpuE3ELNS1_3repE0EEENS1_48merge_mergepath_partition_config_static_selectorELNS0_4arch9wavefront6targetE0EEEvSF_,"axG",@progbits,_ZN7rocprim17ROCPRIM_400000_NS6detail17trampoline_kernelINS0_14default_configENS1_38merge_sort_block_merge_config_selectorIiNS0_10empty_typeEEEZZNS1_27merge_sort_block_merge_implIS3_PiPS5_jNS1_19radix_merge_compareILb0ELb0EiNS0_19identity_decomposerEEEEE10hipError_tT0_T1_T2_jT3_P12ihipStream_tbPNSt15iterator_traitsISE_E10value_typeEPNSK_ISF_E10value_typeEPSG_NS1_7vsmem_tEENKUlT_SE_SF_SG_E_clIS8_S8_S9_S9_EESD_ST_SE_SF_SG_EUlST_E_NS1_11comp_targetILNS1_3genE9ELNS1_11target_archE1100ELNS1_3gpuE3ELNS1_3repE0EEENS1_48merge_mergepath_partition_config_static_selectorELNS0_4arch9wavefront6targetE0EEEvSF_,comdat
	.protected	_ZN7rocprim17ROCPRIM_400000_NS6detail17trampoline_kernelINS0_14default_configENS1_38merge_sort_block_merge_config_selectorIiNS0_10empty_typeEEEZZNS1_27merge_sort_block_merge_implIS3_PiPS5_jNS1_19radix_merge_compareILb0ELb0EiNS0_19identity_decomposerEEEEE10hipError_tT0_T1_T2_jT3_P12ihipStream_tbPNSt15iterator_traitsISE_E10value_typeEPNSK_ISF_E10value_typeEPSG_NS1_7vsmem_tEENKUlT_SE_SF_SG_E_clIS8_S8_S9_S9_EESD_ST_SE_SF_SG_EUlST_E_NS1_11comp_targetILNS1_3genE9ELNS1_11target_archE1100ELNS1_3gpuE3ELNS1_3repE0EEENS1_48merge_mergepath_partition_config_static_selectorELNS0_4arch9wavefront6targetE0EEEvSF_ ; -- Begin function _ZN7rocprim17ROCPRIM_400000_NS6detail17trampoline_kernelINS0_14default_configENS1_38merge_sort_block_merge_config_selectorIiNS0_10empty_typeEEEZZNS1_27merge_sort_block_merge_implIS3_PiPS5_jNS1_19radix_merge_compareILb0ELb0EiNS0_19identity_decomposerEEEEE10hipError_tT0_T1_T2_jT3_P12ihipStream_tbPNSt15iterator_traitsISE_E10value_typeEPNSK_ISF_E10value_typeEPSG_NS1_7vsmem_tEENKUlT_SE_SF_SG_E_clIS8_S8_S9_S9_EESD_ST_SE_SF_SG_EUlST_E_NS1_11comp_targetILNS1_3genE9ELNS1_11target_archE1100ELNS1_3gpuE3ELNS1_3repE0EEENS1_48merge_mergepath_partition_config_static_selectorELNS0_4arch9wavefront6targetE0EEEvSF_
	.globl	_ZN7rocprim17ROCPRIM_400000_NS6detail17trampoline_kernelINS0_14default_configENS1_38merge_sort_block_merge_config_selectorIiNS0_10empty_typeEEEZZNS1_27merge_sort_block_merge_implIS3_PiPS5_jNS1_19radix_merge_compareILb0ELb0EiNS0_19identity_decomposerEEEEE10hipError_tT0_T1_T2_jT3_P12ihipStream_tbPNSt15iterator_traitsISE_E10value_typeEPNSK_ISF_E10value_typeEPSG_NS1_7vsmem_tEENKUlT_SE_SF_SG_E_clIS8_S8_S9_S9_EESD_ST_SE_SF_SG_EUlST_E_NS1_11comp_targetILNS1_3genE9ELNS1_11target_archE1100ELNS1_3gpuE3ELNS1_3repE0EEENS1_48merge_mergepath_partition_config_static_selectorELNS0_4arch9wavefront6targetE0EEEvSF_
	.p2align	8
	.type	_ZN7rocprim17ROCPRIM_400000_NS6detail17trampoline_kernelINS0_14default_configENS1_38merge_sort_block_merge_config_selectorIiNS0_10empty_typeEEEZZNS1_27merge_sort_block_merge_implIS3_PiPS5_jNS1_19radix_merge_compareILb0ELb0EiNS0_19identity_decomposerEEEEE10hipError_tT0_T1_T2_jT3_P12ihipStream_tbPNSt15iterator_traitsISE_E10value_typeEPNSK_ISF_E10value_typeEPSG_NS1_7vsmem_tEENKUlT_SE_SF_SG_E_clIS8_S8_S9_S9_EESD_ST_SE_SF_SG_EUlST_E_NS1_11comp_targetILNS1_3genE9ELNS1_11target_archE1100ELNS1_3gpuE3ELNS1_3repE0EEENS1_48merge_mergepath_partition_config_static_selectorELNS0_4arch9wavefront6targetE0EEEvSF_,@function
_ZN7rocprim17ROCPRIM_400000_NS6detail17trampoline_kernelINS0_14default_configENS1_38merge_sort_block_merge_config_selectorIiNS0_10empty_typeEEEZZNS1_27merge_sort_block_merge_implIS3_PiPS5_jNS1_19radix_merge_compareILb0ELb0EiNS0_19identity_decomposerEEEEE10hipError_tT0_T1_T2_jT3_P12ihipStream_tbPNSt15iterator_traitsISE_E10value_typeEPNSK_ISF_E10value_typeEPSG_NS1_7vsmem_tEENKUlT_SE_SF_SG_E_clIS8_S8_S9_S9_EESD_ST_SE_SF_SG_EUlST_E_NS1_11comp_targetILNS1_3genE9ELNS1_11target_archE1100ELNS1_3gpuE3ELNS1_3repE0EEENS1_48merge_mergepath_partition_config_static_selectorELNS0_4arch9wavefront6targetE0EEEvSF_: ; @_ZN7rocprim17ROCPRIM_400000_NS6detail17trampoline_kernelINS0_14default_configENS1_38merge_sort_block_merge_config_selectorIiNS0_10empty_typeEEEZZNS1_27merge_sort_block_merge_implIS3_PiPS5_jNS1_19radix_merge_compareILb0ELb0EiNS0_19identity_decomposerEEEEE10hipError_tT0_T1_T2_jT3_P12ihipStream_tbPNSt15iterator_traitsISE_E10value_typeEPNSK_ISF_E10value_typeEPSG_NS1_7vsmem_tEENKUlT_SE_SF_SG_E_clIS8_S8_S9_S9_EESD_ST_SE_SF_SG_EUlST_E_NS1_11comp_targetILNS1_3genE9ELNS1_11target_archE1100ELNS1_3gpuE3ELNS1_3repE0EEENS1_48merge_mergepath_partition_config_static_selectorELNS0_4arch9wavefront6targetE0EEEvSF_
; %bb.0:
	.section	.rodata,"a",@progbits
	.p2align	6, 0x0
	.amdhsa_kernel _ZN7rocprim17ROCPRIM_400000_NS6detail17trampoline_kernelINS0_14default_configENS1_38merge_sort_block_merge_config_selectorIiNS0_10empty_typeEEEZZNS1_27merge_sort_block_merge_implIS3_PiPS5_jNS1_19radix_merge_compareILb0ELb0EiNS0_19identity_decomposerEEEEE10hipError_tT0_T1_T2_jT3_P12ihipStream_tbPNSt15iterator_traitsISE_E10value_typeEPNSK_ISF_E10value_typeEPSG_NS1_7vsmem_tEENKUlT_SE_SF_SG_E_clIS8_S8_S9_S9_EESD_ST_SE_SF_SG_EUlST_E_NS1_11comp_targetILNS1_3genE9ELNS1_11target_archE1100ELNS1_3gpuE3ELNS1_3repE0EEENS1_48merge_mergepath_partition_config_static_selectorELNS0_4arch9wavefront6targetE0EEEvSF_
		.amdhsa_group_segment_fixed_size 0
		.amdhsa_private_segment_fixed_size 0
		.amdhsa_kernarg_size 40
		.amdhsa_user_sgpr_count 2
		.amdhsa_user_sgpr_dispatch_ptr 0
		.amdhsa_user_sgpr_queue_ptr 0
		.amdhsa_user_sgpr_kernarg_segment_ptr 1
		.amdhsa_user_sgpr_dispatch_id 0
		.amdhsa_user_sgpr_kernarg_preload_length 0
		.amdhsa_user_sgpr_kernarg_preload_offset 0
		.amdhsa_user_sgpr_private_segment_size 0
		.amdhsa_wavefront_size32 1
		.amdhsa_uses_dynamic_stack 0
		.amdhsa_enable_private_segment 0
		.amdhsa_system_sgpr_workgroup_id_x 1
		.amdhsa_system_sgpr_workgroup_id_y 0
		.amdhsa_system_sgpr_workgroup_id_z 0
		.amdhsa_system_sgpr_workgroup_info 0
		.amdhsa_system_vgpr_workitem_id 0
		.amdhsa_next_free_vgpr 1
		.amdhsa_next_free_sgpr 1
		.amdhsa_named_barrier_count 0
		.amdhsa_reserve_vcc 0
		.amdhsa_float_round_mode_32 0
		.amdhsa_float_round_mode_16_64 0
		.amdhsa_float_denorm_mode_32 3
		.amdhsa_float_denorm_mode_16_64 3
		.amdhsa_fp16_overflow 0
		.amdhsa_memory_ordered 1
		.amdhsa_forward_progress 1
		.amdhsa_inst_pref_size 0
		.amdhsa_round_robin_scheduling 0
		.amdhsa_exception_fp_ieee_invalid_op 0
		.amdhsa_exception_fp_denorm_src 0
		.amdhsa_exception_fp_ieee_div_zero 0
		.amdhsa_exception_fp_ieee_overflow 0
		.amdhsa_exception_fp_ieee_underflow 0
		.amdhsa_exception_fp_ieee_inexact 0
		.amdhsa_exception_int_div_zero 0
	.end_amdhsa_kernel
	.section	.text._ZN7rocprim17ROCPRIM_400000_NS6detail17trampoline_kernelINS0_14default_configENS1_38merge_sort_block_merge_config_selectorIiNS0_10empty_typeEEEZZNS1_27merge_sort_block_merge_implIS3_PiPS5_jNS1_19radix_merge_compareILb0ELb0EiNS0_19identity_decomposerEEEEE10hipError_tT0_T1_T2_jT3_P12ihipStream_tbPNSt15iterator_traitsISE_E10value_typeEPNSK_ISF_E10value_typeEPSG_NS1_7vsmem_tEENKUlT_SE_SF_SG_E_clIS8_S8_S9_S9_EESD_ST_SE_SF_SG_EUlST_E_NS1_11comp_targetILNS1_3genE9ELNS1_11target_archE1100ELNS1_3gpuE3ELNS1_3repE0EEENS1_48merge_mergepath_partition_config_static_selectorELNS0_4arch9wavefront6targetE0EEEvSF_,"axG",@progbits,_ZN7rocprim17ROCPRIM_400000_NS6detail17trampoline_kernelINS0_14default_configENS1_38merge_sort_block_merge_config_selectorIiNS0_10empty_typeEEEZZNS1_27merge_sort_block_merge_implIS3_PiPS5_jNS1_19radix_merge_compareILb0ELb0EiNS0_19identity_decomposerEEEEE10hipError_tT0_T1_T2_jT3_P12ihipStream_tbPNSt15iterator_traitsISE_E10value_typeEPNSK_ISF_E10value_typeEPSG_NS1_7vsmem_tEENKUlT_SE_SF_SG_E_clIS8_S8_S9_S9_EESD_ST_SE_SF_SG_EUlST_E_NS1_11comp_targetILNS1_3genE9ELNS1_11target_archE1100ELNS1_3gpuE3ELNS1_3repE0EEENS1_48merge_mergepath_partition_config_static_selectorELNS0_4arch9wavefront6targetE0EEEvSF_,comdat
.Lfunc_end900:
	.size	_ZN7rocprim17ROCPRIM_400000_NS6detail17trampoline_kernelINS0_14default_configENS1_38merge_sort_block_merge_config_selectorIiNS0_10empty_typeEEEZZNS1_27merge_sort_block_merge_implIS3_PiPS5_jNS1_19radix_merge_compareILb0ELb0EiNS0_19identity_decomposerEEEEE10hipError_tT0_T1_T2_jT3_P12ihipStream_tbPNSt15iterator_traitsISE_E10value_typeEPNSK_ISF_E10value_typeEPSG_NS1_7vsmem_tEENKUlT_SE_SF_SG_E_clIS8_S8_S9_S9_EESD_ST_SE_SF_SG_EUlST_E_NS1_11comp_targetILNS1_3genE9ELNS1_11target_archE1100ELNS1_3gpuE3ELNS1_3repE0EEENS1_48merge_mergepath_partition_config_static_selectorELNS0_4arch9wavefront6targetE0EEEvSF_, .Lfunc_end900-_ZN7rocprim17ROCPRIM_400000_NS6detail17trampoline_kernelINS0_14default_configENS1_38merge_sort_block_merge_config_selectorIiNS0_10empty_typeEEEZZNS1_27merge_sort_block_merge_implIS3_PiPS5_jNS1_19radix_merge_compareILb0ELb0EiNS0_19identity_decomposerEEEEE10hipError_tT0_T1_T2_jT3_P12ihipStream_tbPNSt15iterator_traitsISE_E10value_typeEPNSK_ISF_E10value_typeEPSG_NS1_7vsmem_tEENKUlT_SE_SF_SG_E_clIS8_S8_S9_S9_EESD_ST_SE_SF_SG_EUlST_E_NS1_11comp_targetILNS1_3genE9ELNS1_11target_archE1100ELNS1_3gpuE3ELNS1_3repE0EEENS1_48merge_mergepath_partition_config_static_selectorELNS0_4arch9wavefront6targetE0EEEvSF_
                                        ; -- End function
	.set _ZN7rocprim17ROCPRIM_400000_NS6detail17trampoline_kernelINS0_14default_configENS1_38merge_sort_block_merge_config_selectorIiNS0_10empty_typeEEEZZNS1_27merge_sort_block_merge_implIS3_PiPS5_jNS1_19radix_merge_compareILb0ELb0EiNS0_19identity_decomposerEEEEE10hipError_tT0_T1_T2_jT3_P12ihipStream_tbPNSt15iterator_traitsISE_E10value_typeEPNSK_ISF_E10value_typeEPSG_NS1_7vsmem_tEENKUlT_SE_SF_SG_E_clIS8_S8_S9_S9_EESD_ST_SE_SF_SG_EUlST_E_NS1_11comp_targetILNS1_3genE9ELNS1_11target_archE1100ELNS1_3gpuE3ELNS1_3repE0EEENS1_48merge_mergepath_partition_config_static_selectorELNS0_4arch9wavefront6targetE0EEEvSF_.num_vgpr, 0
	.set _ZN7rocprim17ROCPRIM_400000_NS6detail17trampoline_kernelINS0_14default_configENS1_38merge_sort_block_merge_config_selectorIiNS0_10empty_typeEEEZZNS1_27merge_sort_block_merge_implIS3_PiPS5_jNS1_19radix_merge_compareILb0ELb0EiNS0_19identity_decomposerEEEEE10hipError_tT0_T1_T2_jT3_P12ihipStream_tbPNSt15iterator_traitsISE_E10value_typeEPNSK_ISF_E10value_typeEPSG_NS1_7vsmem_tEENKUlT_SE_SF_SG_E_clIS8_S8_S9_S9_EESD_ST_SE_SF_SG_EUlST_E_NS1_11comp_targetILNS1_3genE9ELNS1_11target_archE1100ELNS1_3gpuE3ELNS1_3repE0EEENS1_48merge_mergepath_partition_config_static_selectorELNS0_4arch9wavefront6targetE0EEEvSF_.num_agpr, 0
	.set _ZN7rocprim17ROCPRIM_400000_NS6detail17trampoline_kernelINS0_14default_configENS1_38merge_sort_block_merge_config_selectorIiNS0_10empty_typeEEEZZNS1_27merge_sort_block_merge_implIS3_PiPS5_jNS1_19radix_merge_compareILb0ELb0EiNS0_19identity_decomposerEEEEE10hipError_tT0_T1_T2_jT3_P12ihipStream_tbPNSt15iterator_traitsISE_E10value_typeEPNSK_ISF_E10value_typeEPSG_NS1_7vsmem_tEENKUlT_SE_SF_SG_E_clIS8_S8_S9_S9_EESD_ST_SE_SF_SG_EUlST_E_NS1_11comp_targetILNS1_3genE9ELNS1_11target_archE1100ELNS1_3gpuE3ELNS1_3repE0EEENS1_48merge_mergepath_partition_config_static_selectorELNS0_4arch9wavefront6targetE0EEEvSF_.numbered_sgpr, 0
	.set _ZN7rocprim17ROCPRIM_400000_NS6detail17trampoline_kernelINS0_14default_configENS1_38merge_sort_block_merge_config_selectorIiNS0_10empty_typeEEEZZNS1_27merge_sort_block_merge_implIS3_PiPS5_jNS1_19radix_merge_compareILb0ELb0EiNS0_19identity_decomposerEEEEE10hipError_tT0_T1_T2_jT3_P12ihipStream_tbPNSt15iterator_traitsISE_E10value_typeEPNSK_ISF_E10value_typeEPSG_NS1_7vsmem_tEENKUlT_SE_SF_SG_E_clIS8_S8_S9_S9_EESD_ST_SE_SF_SG_EUlST_E_NS1_11comp_targetILNS1_3genE9ELNS1_11target_archE1100ELNS1_3gpuE3ELNS1_3repE0EEENS1_48merge_mergepath_partition_config_static_selectorELNS0_4arch9wavefront6targetE0EEEvSF_.num_named_barrier, 0
	.set _ZN7rocprim17ROCPRIM_400000_NS6detail17trampoline_kernelINS0_14default_configENS1_38merge_sort_block_merge_config_selectorIiNS0_10empty_typeEEEZZNS1_27merge_sort_block_merge_implIS3_PiPS5_jNS1_19radix_merge_compareILb0ELb0EiNS0_19identity_decomposerEEEEE10hipError_tT0_T1_T2_jT3_P12ihipStream_tbPNSt15iterator_traitsISE_E10value_typeEPNSK_ISF_E10value_typeEPSG_NS1_7vsmem_tEENKUlT_SE_SF_SG_E_clIS8_S8_S9_S9_EESD_ST_SE_SF_SG_EUlST_E_NS1_11comp_targetILNS1_3genE9ELNS1_11target_archE1100ELNS1_3gpuE3ELNS1_3repE0EEENS1_48merge_mergepath_partition_config_static_selectorELNS0_4arch9wavefront6targetE0EEEvSF_.private_seg_size, 0
	.set _ZN7rocprim17ROCPRIM_400000_NS6detail17trampoline_kernelINS0_14default_configENS1_38merge_sort_block_merge_config_selectorIiNS0_10empty_typeEEEZZNS1_27merge_sort_block_merge_implIS3_PiPS5_jNS1_19radix_merge_compareILb0ELb0EiNS0_19identity_decomposerEEEEE10hipError_tT0_T1_T2_jT3_P12ihipStream_tbPNSt15iterator_traitsISE_E10value_typeEPNSK_ISF_E10value_typeEPSG_NS1_7vsmem_tEENKUlT_SE_SF_SG_E_clIS8_S8_S9_S9_EESD_ST_SE_SF_SG_EUlST_E_NS1_11comp_targetILNS1_3genE9ELNS1_11target_archE1100ELNS1_3gpuE3ELNS1_3repE0EEENS1_48merge_mergepath_partition_config_static_selectorELNS0_4arch9wavefront6targetE0EEEvSF_.uses_vcc, 0
	.set _ZN7rocprim17ROCPRIM_400000_NS6detail17trampoline_kernelINS0_14default_configENS1_38merge_sort_block_merge_config_selectorIiNS0_10empty_typeEEEZZNS1_27merge_sort_block_merge_implIS3_PiPS5_jNS1_19radix_merge_compareILb0ELb0EiNS0_19identity_decomposerEEEEE10hipError_tT0_T1_T2_jT3_P12ihipStream_tbPNSt15iterator_traitsISE_E10value_typeEPNSK_ISF_E10value_typeEPSG_NS1_7vsmem_tEENKUlT_SE_SF_SG_E_clIS8_S8_S9_S9_EESD_ST_SE_SF_SG_EUlST_E_NS1_11comp_targetILNS1_3genE9ELNS1_11target_archE1100ELNS1_3gpuE3ELNS1_3repE0EEENS1_48merge_mergepath_partition_config_static_selectorELNS0_4arch9wavefront6targetE0EEEvSF_.uses_flat_scratch, 0
	.set _ZN7rocprim17ROCPRIM_400000_NS6detail17trampoline_kernelINS0_14default_configENS1_38merge_sort_block_merge_config_selectorIiNS0_10empty_typeEEEZZNS1_27merge_sort_block_merge_implIS3_PiPS5_jNS1_19radix_merge_compareILb0ELb0EiNS0_19identity_decomposerEEEEE10hipError_tT0_T1_T2_jT3_P12ihipStream_tbPNSt15iterator_traitsISE_E10value_typeEPNSK_ISF_E10value_typeEPSG_NS1_7vsmem_tEENKUlT_SE_SF_SG_E_clIS8_S8_S9_S9_EESD_ST_SE_SF_SG_EUlST_E_NS1_11comp_targetILNS1_3genE9ELNS1_11target_archE1100ELNS1_3gpuE3ELNS1_3repE0EEENS1_48merge_mergepath_partition_config_static_selectorELNS0_4arch9wavefront6targetE0EEEvSF_.has_dyn_sized_stack, 0
	.set _ZN7rocprim17ROCPRIM_400000_NS6detail17trampoline_kernelINS0_14default_configENS1_38merge_sort_block_merge_config_selectorIiNS0_10empty_typeEEEZZNS1_27merge_sort_block_merge_implIS3_PiPS5_jNS1_19radix_merge_compareILb0ELb0EiNS0_19identity_decomposerEEEEE10hipError_tT0_T1_T2_jT3_P12ihipStream_tbPNSt15iterator_traitsISE_E10value_typeEPNSK_ISF_E10value_typeEPSG_NS1_7vsmem_tEENKUlT_SE_SF_SG_E_clIS8_S8_S9_S9_EESD_ST_SE_SF_SG_EUlST_E_NS1_11comp_targetILNS1_3genE9ELNS1_11target_archE1100ELNS1_3gpuE3ELNS1_3repE0EEENS1_48merge_mergepath_partition_config_static_selectorELNS0_4arch9wavefront6targetE0EEEvSF_.has_recursion, 0
	.set _ZN7rocprim17ROCPRIM_400000_NS6detail17trampoline_kernelINS0_14default_configENS1_38merge_sort_block_merge_config_selectorIiNS0_10empty_typeEEEZZNS1_27merge_sort_block_merge_implIS3_PiPS5_jNS1_19radix_merge_compareILb0ELb0EiNS0_19identity_decomposerEEEEE10hipError_tT0_T1_T2_jT3_P12ihipStream_tbPNSt15iterator_traitsISE_E10value_typeEPNSK_ISF_E10value_typeEPSG_NS1_7vsmem_tEENKUlT_SE_SF_SG_E_clIS8_S8_S9_S9_EESD_ST_SE_SF_SG_EUlST_E_NS1_11comp_targetILNS1_3genE9ELNS1_11target_archE1100ELNS1_3gpuE3ELNS1_3repE0EEENS1_48merge_mergepath_partition_config_static_selectorELNS0_4arch9wavefront6targetE0EEEvSF_.has_indirect_call, 0
	.section	.AMDGPU.csdata,"",@progbits
; Kernel info:
; codeLenInByte = 0
; TotalNumSgprs: 0
; NumVgprs: 0
; ScratchSize: 0
; MemoryBound: 0
; FloatMode: 240
; IeeeMode: 1
; LDSByteSize: 0 bytes/workgroup (compile time only)
; SGPRBlocks: 0
; VGPRBlocks: 0
; NumSGPRsForWavesPerEU: 1
; NumVGPRsForWavesPerEU: 1
; NamedBarCnt: 0
; Occupancy: 16
; WaveLimiterHint : 0
; COMPUTE_PGM_RSRC2:SCRATCH_EN: 0
; COMPUTE_PGM_RSRC2:USER_SGPR: 2
; COMPUTE_PGM_RSRC2:TRAP_HANDLER: 0
; COMPUTE_PGM_RSRC2:TGID_X_EN: 1
; COMPUTE_PGM_RSRC2:TGID_Y_EN: 0
; COMPUTE_PGM_RSRC2:TGID_Z_EN: 0
; COMPUTE_PGM_RSRC2:TIDIG_COMP_CNT: 0
	.section	.text._ZN7rocprim17ROCPRIM_400000_NS6detail17trampoline_kernelINS0_14default_configENS1_38merge_sort_block_merge_config_selectorIiNS0_10empty_typeEEEZZNS1_27merge_sort_block_merge_implIS3_PiPS5_jNS1_19radix_merge_compareILb0ELb0EiNS0_19identity_decomposerEEEEE10hipError_tT0_T1_T2_jT3_P12ihipStream_tbPNSt15iterator_traitsISE_E10value_typeEPNSK_ISF_E10value_typeEPSG_NS1_7vsmem_tEENKUlT_SE_SF_SG_E_clIS8_S8_S9_S9_EESD_ST_SE_SF_SG_EUlST_E_NS1_11comp_targetILNS1_3genE8ELNS1_11target_archE1030ELNS1_3gpuE2ELNS1_3repE0EEENS1_48merge_mergepath_partition_config_static_selectorELNS0_4arch9wavefront6targetE0EEEvSF_,"axG",@progbits,_ZN7rocprim17ROCPRIM_400000_NS6detail17trampoline_kernelINS0_14default_configENS1_38merge_sort_block_merge_config_selectorIiNS0_10empty_typeEEEZZNS1_27merge_sort_block_merge_implIS3_PiPS5_jNS1_19radix_merge_compareILb0ELb0EiNS0_19identity_decomposerEEEEE10hipError_tT0_T1_T2_jT3_P12ihipStream_tbPNSt15iterator_traitsISE_E10value_typeEPNSK_ISF_E10value_typeEPSG_NS1_7vsmem_tEENKUlT_SE_SF_SG_E_clIS8_S8_S9_S9_EESD_ST_SE_SF_SG_EUlST_E_NS1_11comp_targetILNS1_3genE8ELNS1_11target_archE1030ELNS1_3gpuE2ELNS1_3repE0EEENS1_48merge_mergepath_partition_config_static_selectorELNS0_4arch9wavefront6targetE0EEEvSF_,comdat
	.protected	_ZN7rocprim17ROCPRIM_400000_NS6detail17trampoline_kernelINS0_14default_configENS1_38merge_sort_block_merge_config_selectorIiNS0_10empty_typeEEEZZNS1_27merge_sort_block_merge_implIS3_PiPS5_jNS1_19radix_merge_compareILb0ELb0EiNS0_19identity_decomposerEEEEE10hipError_tT0_T1_T2_jT3_P12ihipStream_tbPNSt15iterator_traitsISE_E10value_typeEPNSK_ISF_E10value_typeEPSG_NS1_7vsmem_tEENKUlT_SE_SF_SG_E_clIS8_S8_S9_S9_EESD_ST_SE_SF_SG_EUlST_E_NS1_11comp_targetILNS1_3genE8ELNS1_11target_archE1030ELNS1_3gpuE2ELNS1_3repE0EEENS1_48merge_mergepath_partition_config_static_selectorELNS0_4arch9wavefront6targetE0EEEvSF_ ; -- Begin function _ZN7rocprim17ROCPRIM_400000_NS6detail17trampoline_kernelINS0_14default_configENS1_38merge_sort_block_merge_config_selectorIiNS0_10empty_typeEEEZZNS1_27merge_sort_block_merge_implIS3_PiPS5_jNS1_19radix_merge_compareILb0ELb0EiNS0_19identity_decomposerEEEEE10hipError_tT0_T1_T2_jT3_P12ihipStream_tbPNSt15iterator_traitsISE_E10value_typeEPNSK_ISF_E10value_typeEPSG_NS1_7vsmem_tEENKUlT_SE_SF_SG_E_clIS8_S8_S9_S9_EESD_ST_SE_SF_SG_EUlST_E_NS1_11comp_targetILNS1_3genE8ELNS1_11target_archE1030ELNS1_3gpuE2ELNS1_3repE0EEENS1_48merge_mergepath_partition_config_static_selectorELNS0_4arch9wavefront6targetE0EEEvSF_
	.globl	_ZN7rocprim17ROCPRIM_400000_NS6detail17trampoline_kernelINS0_14default_configENS1_38merge_sort_block_merge_config_selectorIiNS0_10empty_typeEEEZZNS1_27merge_sort_block_merge_implIS3_PiPS5_jNS1_19radix_merge_compareILb0ELb0EiNS0_19identity_decomposerEEEEE10hipError_tT0_T1_T2_jT3_P12ihipStream_tbPNSt15iterator_traitsISE_E10value_typeEPNSK_ISF_E10value_typeEPSG_NS1_7vsmem_tEENKUlT_SE_SF_SG_E_clIS8_S8_S9_S9_EESD_ST_SE_SF_SG_EUlST_E_NS1_11comp_targetILNS1_3genE8ELNS1_11target_archE1030ELNS1_3gpuE2ELNS1_3repE0EEENS1_48merge_mergepath_partition_config_static_selectorELNS0_4arch9wavefront6targetE0EEEvSF_
	.p2align	8
	.type	_ZN7rocprim17ROCPRIM_400000_NS6detail17trampoline_kernelINS0_14default_configENS1_38merge_sort_block_merge_config_selectorIiNS0_10empty_typeEEEZZNS1_27merge_sort_block_merge_implIS3_PiPS5_jNS1_19radix_merge_compareILb0ELb0EiNS0_19identity_decomposerEEEEE10hipError_tT0_T1_T2_jT3_P12ihipStream_tbPNSt15iterator_traitsISE_E10value_typeEPNSK_ISF_E10value_typeEPSG_NS1_7vsmem_tEENKUlT_SE_SF_SG_E_clIS8_S8_S9_S9_EESD_ST_SE_SF_SG_EUlST_E_NS1_11comp_targetILNS1_3genE8ELNS1_11target_archE1030ELNS1_3gpuE2ELNS1_3repE0EEENS1_48merge_mergepath_partition_config_static_selectorELNS0_4arch9wavefront6targetE0EEEvSF_,@function
_ZN7rocprim17ROCPRIM_400000_NS6detail17trampoline_kernelINS0_14default_configENS1_38merge_sort_block_merge_config_selectorIiNS0_10empty_typeEEEZZNS1_27merge_sort_block_merge_implIS3_PiPS5_jNS1_19radix_merge_compareILb0ELb0EiNS0_19identity_decomposerEEEEE10hipError_tT0_T1_T2_jT3_P12ihipStream_tbPNSt15iterator_traitsISE_E10value_typeEPNSK_ISF_E10value_typeEPSG_NS1_7vsmem_tEENKUlT_SE_SF_SG_E_clIS8_S8_S9_S9_EESD_ST_SE_SF_SG_EUlST_E_NS1_11comp_targetILNS1_3genE8ELNS1_11target_archE1030ELNS1_3gpuE2ELNS1_3repE0EEENS1_48merge_mergepath_partition_config_static_selectorELNS0_4arch9wavefront6targetE0EEEvSF_: ; @_ZN7rocprim17ROCPRIM_400000_NS6detail17trampoline_kernelINS0_14default_configENS1_38merge_sort_block_merge_config_selectorIiNS0_10empty_typeEEEZZNS1_27merge_sort_block_merge_implIS3_PiPS5_jNS1_19radix_merge_compareILb0ELb0EiNS0_19identity_decomposerEEEEE10hipError_tT0_T1_T2_jT3_P12ihipStream_tbPNSt15iterator_traitsISE_E10value_typeEPNSK_ISF_E10value_typeEPSG_NS1_7vsmem_tEENKUlT_SE_SF_SG_E_clIS8_S8_S9_S9_EESD_ST_SE_SF_SG_EUlST_E_NS1_11comp_targetILNS1_3genE8ELNS1_11target_archE1030ELNS1_3gpuE2ELNS1_3repE0EEENS1_48merge_mergepath_partition_config_static_selectorELNS0_4arch9wavefront6targetE0EEEvSF_
; %bb.0:
	.section	.rodata,"a",@progbits
	.p2align	6, 0x0
	.amdhsa_kernel _ZN7rocprim17ROCPRIM_400000_NS6detail17trampoline_kernelINS0_14default_configENS1_38merge_sort_block_merge_config_selectorIiNS0_10empty_typeEEEZZNS1_27merge_sort_block_merge_implIS3_PiPS5_jNS1_19radix_merge_compareILb0ELb0EiNS0_19identity_decomposerEEEEE10hipError_tT0_T1_T2_jT3_P12ihipStream_tbPNSt15iterator_traitsISE_E10value_typeEPNSK_ISF_E10value_typeEPSG_NS1_7vsmem_tEENKUlT_SE_SF_SG_E_clIS8_S8_S9_S9_EESD_ST_SE_SF_SG_EUlST_E_NS1_11comp_targetILNS1_3genE8ELNS1_11target_archE1030ELNS1_3gpuE2ELNS1_3repE0EEENS1_48merge_mergepath_partition_config_static_selectorELNS0_4arch9wavefront6targetE0EEEvSF_
		.amdhsa_group_segment_fixed_size 0
		.amdhsa_private_segment_fixed_size 0
		.amdhsa_kernarg_size 40
		.amdhsa_user_sgpr_count 2
		.amdhsa_user_sgpr_dispatch_ptr 0
		.amdhsa_user_sgpr_queue_ptr 0
		.amdhsa_user_sgpr_kernarg_segment_ptr 1
		.amdhsa_user_sgpr_dispatch_id 0
		.amdhsa_user_sgpr_kernarg_preload_length 0
		.amdhsa_user_sgpr_kernarg_preload_offset 0
		.amdhsa_user_sgpr_private_segment_size 0
		.amdhsa_wavefront_size32 1
		.amdhsa_uses_dynamic_stack 0
		.amdhsa_enable_private_segment 0
		.amdhsa_system_sgpr_workgroup_id_x 1
		.amdhsa_system_sgpr_workgroup_id_y 0
		.amdhsa_system_sgpr_workgroup_id_z 0
		.amdhsa_system_sgpr_workgroup_info 0
		.amdhsa_system_vgpr_workitem_id 0
		.amdhsa_next_free_vgpr 1
		.amdhsa_next_free_sgpr 1
		.amdhsa_named_barrier_count 0
		.amdhsa_reserve_vcc 0
		.amdhsa_float_round_mode_32 0
		.amdhsa_float_round_mode_16_64 0
		.amdhsa_float_denorm_mode_32 3
		.amdhsa_float_denorm_mode_16_64 3
		.amdhsa_fp16_overflow 0
		.amdhsa_memory_ordered 1
		.amdhsa_forward_progress 1
		.amdhsa_inst_pref_size 0
		.amdhsa_round_robin_scheduling 0
		.amdhsa_exception_fp_ieee_invalid_op 0
		.amdhsa_exception_fp_denorm_src 0
		.amdhsa_exception_fp_ieee_div_zero 0
		.amdhsa_exception_fp_ieee_overflow 0
		.amdhsa_exception_fp_ieee_underflow 0
		.amdhsa_exception_fp_ieee_inexact 0
		.amdhsa_exception_int_div_zero 0
	.end_amdhsa_kernel
	.section	.text._ZN7rocprim17ROCPRIM_400000_NS6detail17trampoline_kernelINS0_14default_configENS1_38merge_sort_block_merge_config_selectorIiNS0_10empty_typeEEEZZNS1_27merge_sort_block_merge_implIS3_PiPS5_jNS1_19radix_merge_compareILb0ELb0EiNS0_19identity_decomposerEEEEE10hipError_tT0_T1_T2_jT3_P12ihipStream_tbPNSt15iterator_traitsISE_E10value_typeEPNSK_ISF_E10value_typeEPSG_NS1_7vsmem_tEENKUlT_SE_SF_SG_E_clIS8_S8_S9_S9_EESD_ST_SE_SF_SG_EUlST_E_NS1_11comp_targetILNS1_3genE8ELNS1_11target_archE1030ELNS1_3gpuE2ELNS1_3repE0EEENS1_48merge_mergepath_partition_config_static_selectorELNS0_4arch9wavefront6targetE0EEEvSF_,"axG",@progbits,_ZN7rocprim17ROCPRIM_400000_NS6detail17trampoline_kernelINS0_14default_configENS1_38merge_sort_block_merge_config_selectorIiNS0_10empty_typeEEEZZNS1_27merge_sort_block_merge_implIS3_PiPS5_jNS1_19radix_merge_compareILb0ELb0EiNS0_19identity_decomposerEEEEE10hipError_tT0_T1_T2_jT3_P12ihipStream_tbPNSt15iterator_traitsISE_E10value_typeEPNSK_ISF_E10value_typeEPSG_NS1_7vsmem_tEENKUlT_SE_SF_SG_E_clIS8_S8_S9_S9_EESD_ST_SE_SF_SG_EUlST_E_NS1_11comp_targetILNS1_3genE8ELNS1_11target_archE1030ELNS1_3gpuE2ELNS1_3repE0EEENS1_48merge_mergepath_partition_config_static_selectorELNS0_4arch9wavefront6targetE0EEEvSF_,comdat
.Lfunc_end901:
	.size	_ZN7rocprim17ROCPRIM_400000_NS6detail17trampoline_kernelINS0_14default_configENS1_38merge_sort_block_merge_config_selectorIiNS0_10empty_typeEEEZZNS1_27merge_sort_block_merge_implIS3_PiPS5_jNS1_19radix_merge_compareILb0ELb0EiNS0_19identity_decomposerEEEEE10hipError_tT0_T1_T2_jT3_P12ihipStream_tbPNSt15iterator_traitsISE_E10value_typeEPNSK_ISF_E10value_typeEPSG_NS1_7vsmem_tEENKUlT_SE_SF_SG_E_clIS8_S8_S9_S9_EESD_ST_SE_SF_SG_EUlST_E_NS1_11comp_targetILNS1_3genE8ELNS1_11target_archE1030ELNS1_3gpuE2ELNS1_3repE0EEENS1_48merge_mergepath_partition_config_static_selectorELNS0_4arch9wavefront6targetE0EEEvSF_, .Lfunc_end901-_ZN7rocprim17ROCPRIM_400000_NS6detail17trampoline_kernelINS0_14default_configENS1_38merge_sort_block_merge_config_selectorIiNS0_10empty_typeEEEZZNS1_27merge_sort_block_merge_implIS3_PiPS5_jNS1_19radix_merge_compareILb0ELb0EiNS0_19identity_decomposerEEEEE10hipError_tT0_T1_T2_jT3_P12ihipStream_tbPNSt15iterator_traitsISE_E10value_typeEPNSK_ISF_E10value_typeEPSG_NS1_7vsmem_tEENKUlT_SE_SF_SG_E_clIS8_S8_S9_S9_EESD_ST_SE_SF_SG_EUlST_E_NS1_11comp_targetILNS1_3genE8ELNS1_11target_archE1030ELNS1_3gpuE2ELNS1_3repE0EEENS1_48merge_mergepath_partition_config_static_selectorELNS0_4arch9wavefront6targetE0EEEvSF_
                                        ; -- End function
	.set _ZN7rocprim17ROCPRIM_400000_NS6detail17trampoline_kernelINS0_14default_configENS1_38merge_sort_block_merge_config_selectorIiNS0_10empty_typeEEEZZNS1_27merge_sort_block_merge_implIS3_PiPS5_jNS1_19radix_merge_compareILb0ELb0EiNS0_19identity_decomposerEEEEE10hipError_tT0_T1_T2_jT3_P12ihipStream_tbPNSt15iterator_traitsISE_E10value_typeEPNSK_ISF_E10value_typeEPSG_NS1_7vsmem_tEENKUlT_SE_SF_SG_E_clIS8_S8_S9_S9_EESD_ST_SE_SF_SG_EUlST_E_NS1_11comp_targetILNS1_3genE8ELNS1_11target_archE1030ELNS1_3gpuE2ELNS1_3repE0EEENS1_48merge_mergepath_partition_config_static_selectorELNS0_4arch9wavefront6targetE0EEEvSF_.num_vgpr, 0
	.set _ZN7rocprim17ROCPRIM_400000_NS6detail17trampoline_kernelINS0_14default_configENS1_38merge_sort_block_merge_config_selectorIiNS0_10empty_typeEEEZZNS1_27merge_sort_block_merge_implIS3_PiPS5_jNS1_19radix_merge_compareILb0ELb0EiNS0_19identity_decomposerEEEEE10hipError_tT0_T1_T2_jT3_P12ihipStream_tbPNSt15iterator_traitsISE_E10value_typeEPNSK_ISF_E10value_typeEPSG_NS1_7vsmem_tEENKUlT_SE_SF_SG_E_clIS8_S8_S9_S9_EESD_ST_SE_SF_SG_EUlST_E_NS1_11comp_targetILNS1_3genE8ELNS1_11target_archE1030ELNS1_3gpuE2ELNS1_3repE0EEENS1_48merge_mergepath_partition_config_static_selectorELNS0_4arch9wavefront6targetE0EEEvSF_.num_agpr, 0
	.set _ZN7rocprim17ROCPRIM_400000_NS6detail17trampoline_kernelINS0_14default_configENS1_38merge_sort_block_merge_config_selectorIiNS0_10empty_typeEEEZZNS1_27merge_sort_block_merge_implIS3_PiPS5_jNS1_19radix_merge_compareILb0ELb0EiNS0_19identity_decomposerEEEEE10hipError_tT0_T1_T2_jT3_P12ihipStream_tbPNSt15iterator_traitsISE_E10value_typeEPNSK_ISF_E10value_typeEPSG_NS1_7vsmem_tEENKUlT_SE_SF_SG_E_clIS8_S8_S9_S9_EESD_ST_SE_SF_SG_EUlST_E_NS1_11comp_targetILNS1_3genE8ELNS1_11target_archE1030ELNS1_3gpuE2ELNS1_3repE0EEENS1_48merge_mergepath_partition_config_static_selectorELNS0_4arch9wavefront6targetE0EEEvSF_.numbered_sgpr, 0
	.set _ZN7rocprim17ROCPRIM_400000_NS6detail17trampoline_kernelINS0_14default_configENS1_38merge_sort_block_merge_config_selectorIiNS0_10empty_typeEEEZZNS1_27merge_sort_block_merge_implIS3_PiPS5_jNS1_19radix_merge_compareILb0ELb0EiNS0_19identity_decomposerEEEEE10hipError_tT0_T1_T2_jT3_P12ihipStream_tbPNSt15iterator_traitsISE_E10value_typeEPNSK_ISF_E10value_typeEPSG_NS1_7vsmem_tEENKUlT_SE_SF_SG_E_clIS8_S8_S9_S9_EESD_ST_SE_SF_SG_EUlST_E_NS1_11comp_targetILNS1_3genE8ELNS1_11target_archE1030ELNS1_3gpuE2ELNS1_3repE0EEENS1_48merge_mergepath_partition_config_static_selectorELNS0_4arch9wavefront6targetE0EEEvSF_.num_named_barrier, 0
	.set _ZN7rocprim17ROCPRIM_400000_NS6detail17trampoline_kernelINS0_14default_configENS1_38merge_sort_block_merge_config_selectorIiNS0_10empty_typeEEEZZNS1_27merge_sort_block_merge_implIS3_PiPS5_jNS1_19radix_merge_compareILb0ELb0EiNS0_19identity_decomposerEEEEE10hipError_tT0_T1_T2_jT3_P12ihipStream_tbPNSt15iterator_traitsISE_E10value_typeEPNSK_ISF_E10value_typeEPSG_NS1_7vsmem_tEENKUlT_SE_SF_SG_E_clIS8_S8_S9_S9_EESD_ST_SE_SF_SG_EUlST_E_NS1_11comp_targetILNS1_3genE8ELNS1_11target_archE1030ELNS1_3gpuE2ELNS1_3repE0EEENS1_48merge_mergepath_partition_config_static_selectorELNS0_4arch9wavefront6targetE0EEEvSF_.private_seg_size, 0
	.set _ZN7rocprim17ROCPRIM_400000_NS6detail17trampoline_kernelINS0_14default_configENS1_38merge_sort_block_merge_config_selectorIiNS0_10empty_typeEEEZZNS1_27merge_sort_block_merge_implIS3_PiPS5_jNS1_19radix_merge_compareILb0ELb0EiNS0_19identity_decomposerEEEEE10hipError_tT0_T1_T2_jT3_P12ihipStream_tbPNSt15iterator_traitsISE_E10value_typeEPNSK_ISF_E10value_typeEPSG_NS1_7vsmem_tEENKUlT_SE_SF_SG_E_clIS8_S8_S9_S9_EESD_ST_SE_SF_SG_EUlST_E_NS1_11comp_targetILNS1_3genE8ELNS1_11target_archE1030ELNS1_3gpuE2ELNS1_3repE0EEENS1_48merge_mergepath_partition_config_static_selectorELNS0_4arch9wavefront6targetE0EEEvSF_.uses_vcc, 0
	.set _ZN7rocprim17ROCPRIM_400000_NS6detail17trampoline_kernelINS0_14default_configENS1_38merge_sort_block_merge_config_selectorIiNS0_10empty_typeEEEZZNS1_27merge_sort_block_merge_implIS3_PiPS5_jNS1_19radix_merge_compareILb0ELb0EiNS0_19identity_decomposerEEEEE10hipError_tT0_T1_T2_jT3_P12ihipStream_tbPNSt15iterator_traitsISE_E10value_typeEPNSK_ISF_E10value_typeEPSG_NS1_7vsmem_tEENKUlT_SE_SF_SG_E_clIS8_S8_S9_S9_EESD_ST_SE_SF_SG_EUlST_E_NS1_11comp_targetILNS1_3genE8ELNS1_11target_archE1030ELNS1_3gpuE2ELNS1_3repE0EEENS1_48merge_mergepath_partition_config_static_selectorELNS0_4arch9wavefront6targetE0EEEvSF_.uses_flat_scratch, 0
	.set _ZN7rocprim17ROCPRIM_400000_NS6detail17trampoline_kernelINS0_14default_configENS1_38merge_sort_block_merge_config_selectorIiNS0_10empty_typeEEEZZNS1_27merge_sort_block_merge_implIS3_PiPS5_jNS1_19radix_merge_compareILb0ELb0EiNS0_19identity_decomposerEEEEE10hipError_tT0_T1_T2_jT3_P12ihipStream_tbPNSt15iterator_traitsISE_E10value_typeEPNSK_ISF_E10value_typeEPSG_NS1_7vsmem_tEENKUlT_SE_SF_SG_E_clIS8_S8_S9_S9_EESD_ST_SE_SF_SG_EUlST_E_NS1_11comp_targetILNS1_3genE8ELNS1_11target_archE1030ELNS1_3gpuE2ELNS1_3repE0EEENS1_48merge_mergepath_partition_config_static_selectorELNS0_4arch9wavefront6targetE0EEEvSF_.has_dyn_sized_stack, 0
	.set _ZN7rocprim17ROCPRIM_400000_NS6detail17trampoline_kernelINS0_14default_configENS1_38merge_sort_block_merge_config_selectorIiNS0_10empty_typeEEEZZNS1_27merge_sort_block_merge_implIS3_PiPS5_jNS1_19radix_merge_compareILb0ELb0EiNS0_19identity_decomposerEEEEE10hipError_tT0_T1_T2_jT3_P12ihipStream_tbPNSt15iterator_traitsISE_E10value_typeEPNSK_ISF_E10value_typeEPSG_NS1_7vsmem_tEENKUlT_SE_SF_SG_E_clIS8_S8_S9_S9_EESD_ST_SE_SF_SG_EUlST_E_NS1_11comp_targetILNS1_3genE8ELNS1_11target_archE1030ELNS1_3gpuE2ELNS1_3repE0EEENS1_48merge_mergepath_partition_config_static_selectorELNS0_4arch9wavefront6targetE0EEEvSF_.has_recursion, 0
	.set _ZN7rocprim17ROCPRIM_400000_NS6detail17trampoline_kernelINS0_14default_configENS1_38merge_sort_block_merge_config_selectorIiNS0_10empty_typeEEEZZNS1_27merge_sort_block_merge_implIS3_PiPS5_jNS1_19radix_merge_compareILb0ELb0EiNS0_19identity_decomposerEEEEE10hipError_tT0_T1_T2_jT3_P12ihipStream_tbPNSt15iterator_traitsISE_E10value_typeEPNSK_ISF_E10value_typeEPSG_NS1_7vsmem_tEENKUlT_SE_SF_SG_E_clIS8_S8_S9_S9_EESD_ST_SE_SF_SG_EUlST_E_NS1_11comp_targetILNS1_3genE8ELNS1_11target_archE1030ELNS1_3gpuE2ELNS1_3repE0EEENS1_48merge_mergepath_partition_config_static_selectorELNS0_4arch9wavefront6targetE0EEEvSF_.has_indirect_call, 0
	.section	.AMDGPU.csdata,"",@progbits
; Kernel info:
; codeLenInByte = 0
; TotalNumSgprs: 0
; NumVgprs: 0
; ScratchSize: 0
; MemoryBound: 0
; FloatMode: 240
; IeeeMode: 1
; LDSByteSize: 0 bytes/workgroup (compile time only)
; SGPRBlocks: 0
; VGPRBlocks: 0
; NumSGPRsForWavesPerEU: 1
; NumVGPRsForWavesPerEU: 1
; NamedBarCnt: 0
; Occupancy: 16
; WaveLimiterHint : 0
; COMPUTE_PGM_RSRC2:SCRATCH_EN: 0
; COMPUTE_PGM_RSRC2:USER_SGPR: 2
; COMPUTE_PGM_RSRC2:TRAP_HANDLER: 0
; COMPUTE_PGM_RSRC2:TGID_X_EN: 1
; COMPUTE_PGM_RSRC2:TGID_Y_EN: 0
; COMPUTE_PGM_RSRC2:TGID_Z_EN: 0
; COMPUTE_PGM_RSRC2:TIDIG_COMP_CNT: 0
	.section	.text._ZN7rocprim17ROCPRIM_400000_NS6detail17trampoline_kernelINS0_14default_configENS1_38merge_sort_block_merge_config_selectorIiNS0_10empty_typeEEEZZNS1_27merge_sort_block_merge_implIS3_PiPS5_jNS1_19radix_merge_compareILb0ELb0EiNS0_19identity_decomposerEEEEE10hipError_tT0_T1_T2_jT3_P12ihipStream_tbPNSt15iterator_traitsISE_E10value_typeEPNSK_ISF_E10value_typeEPSG_NS1_7vsmem_tEENKUlT_SE_SF_SG_E_clIS8_S8_S9_S9_EESD_ST_SE_SF_SG_EUlST_E0_NS1_11comp_targetILNS1_3genE0ELNS1_11target_archE4294967295ELNS1_3gpuE0ELNS1_3repE0EEENS1_38merge_mergepath_config_static_selectorELNS0_4arch9wavefront6targetE0EEEvSF_,"axG",@progbits,_ZN7rocprim17ROCPRIM_400000_NS6detail17trampoline_kernelINS0_14default_configENS1_38merge_sort_block_merge_config_selectorIiNS0_10empty_typeEEEZZNS1_27merge_sort_block_merge_implIS3_PiPS5_jNS1_19radix_merge_compareILb0ELb0EiNS0_19identity_decomposerEEEEE10hipError_tT0_T1_T2_jT3_P12ihipStream_tbPNSt15iterator_traitsISE_E10value_typeEPNSK_ISF_E10value_typeEPSG_NS1_7vsmem_tEENKUlT_SE_SF_SG_E_clIS8_S8_S9_S9_EESD_ST_SE_SF_SG_EUlST_E0_NS1_11comp_targetILNS1_3genE0ELNS1_11target_archE4294967295ELNS1_3gpuE0ELNS1_3repE0EEENS1_38merge_mergepath_config_static_selectorELNS0_4arch9wavefront6targetE0EEEvSF_,comdat
	.protected	_ZN7rocprim17ROCPRIM_400000_NS6detail17trampoline_kernelINS0_14default_configENS1_38merge_sort_block_merge_config_selectorIiNS0_10empty_typeEEEZZNS1_27merge_sort_block_merge_implIS3_PiPS5_jNS1_19radix_merge_compareILb0ELb0EiNS0_19identity_decomposerEEEEE10hipError_tT0_T1_T2_jT3_P12ihipStream_tbPNSt15iterator_traitsISE_E10value_typeEPNSK_ISF_E10value_typeEPSG_NS1_7vsmem_tEENKUlT_SE_SF_SG_E_clIS8_S8_S9_S9_EESD_ST_SE_SF_SG_EUlST_E0_NS1_11comp_targetILNS1_3genE0ELNS1_11target_archE4294967295ELNS1_3gpuE0ELNS1_3repE0EEENS1_38merge_mergepath_config_static_selectorELNS0_4arch9wavefront6targetE0EEEvSF_ ; -- Begin function _ZN7rocprim17ROCPRIM_400000_NS6detail17trampoline_kernelINS0_14default_configENS1_38merge_sort_block_merge_config_selectorIiNS0_10empty_typeEEEZZNS1_27merge_sort_block_merge_implIS3_PiPS5_jNS1_19radix_merge_compareILb0ELb0EiNS0_19identity_decomposerEEEEE10hipError_tT0_T1_T2_jT3_P12ihipStream_tbPNSt15iterator_traitsISE_E10value_typeEPNSK_ISF_E10value_typeEPSG_NS1_7vsmem_tEENKUlT_SE_SF_SG_E_clIS8_S8_S9_S9_EESD_ST_SE_SF_SG_EUlST_E0_NS1_11comp_targetILNS1_3genE0ELNS1_11target_archE4294967295ELNS1_3gpuE0ELNS1_3repE0EEENS1_38merge_mergepath_config_static_selectorELNS0_4arch9wavefront6targetE0EEEvSF_
	.globl	_ZN7rocprim17ROCPRIM_400000_NS6detail17trampoline_kernelINS0_14default_configENS1_38merge_sort_block_merge_config_selectorIiNS0_10empty_typeEEEZZNS1_27merge_sort_block_merge_implIS3_PiPS5_jNS1_19radix_merge_compareILb0ELb0EiNS0_19identity_decomposerEEEEE10hipError_tT0_T1_T2_jT3_P12ihipStream_tbPNSt15iterator_traitsISE_E10value_typeEPNSK_ISF_E10value_typeEPSG_NS1_7vsmem_tEENKUlT_SE_SF_SG_E_clIS8_S8_S9_S9_EESD_ST_SE_SF_SG_EUlST_E0_NS1_11comp_targetILNS1_3genE0ELNS1_11target_archE4294967295ELNS1_3gpuE0ELNS1_3repE0EEENS1_38merge_mergepath_config_static_selectorELNS0_4arch9wavefront6targetE0EEEvSF_
	.p2align	8
	.type	_ZN7rocprim17ROCPRIM_400000_NS6detail17trampoline_kernelINS0_14default_configENS1_38merge_sort_block_merge_config_selectorIiNS0_10empty_typeEEEZZNS1_27merge_sort_block_merge_implIS3_PiPS5_jNS1_19radix_merge_compareILb0ELb0EiNS0_19identity_decomposerEEEEE10hipError_tT0_T1_T2_jT3_P12ihipStream_tbPNSt15iterator_traitsISE_E10value_typeEPNSK_ISF_E10value_typeEPSG_NS1_7vsmem_tEENKUlT_SE_SF_SG_E_clIS8_S8_S9_S9_EESD_ST_SE_SF_SG_EUlST_E0_NS1_11comp_targetILNS1_3genE0ELNS1_11target_archE4294967295ELNS1_3gpuE0ELNS1_3repE0EEENS1_38merge_mergepath_config_static_selectorELNS0_4arch9wavefront6targetE0EEEvSF_,@function
_ZN7rocprim17ROCPRIM_400000_NS6detail17trampoline_kernelINS0_14default_configENS1_38merge_sort_block_merge_config_selectorIiNS0_10empty_typeEEEZZNS1_27merge_sort_block_merge_implIS3_PiPS5_jNS1_19radix_merge_compareILb0ELb0EiNS0_19identity_decomposerEEEEE10hipError_tT0_T1_T2_jT3_P12ihipStream_tbPNSt15iterator_traitsISE_E10value_typeEPNSK_ISF_E10value_typeEPSG_NS1_7vsmem_tEENKUlT_SE_SF_SG_E_clIS8_S8_S9_S9_EESD_ST_SE_SF_SG_EUlST_E0_NS1_11comp_targetILNS1_3genE0ELNS1_11target_archE4294967295ELNS1_3gpuE0ELNS1_3repE0EEENS1_38merge_mergepath_config_static_selectorELNS0_4arch9wavefront6targetE0EEEvSF_: ; @_ZN7rocprim17ROCPRIM_400000_NS6detail17trampoline_kernelINS0_14default_configENS1_38merge_sort_block_merge_config_selectorIiNS0_10empty_typeEEEZZNS1_27merge_sort_block_merge_implIS3_PiPS5_jNS1_19radix_merge_compareILb0ELb0EiNS0_19identity_decomposerEEEEE10hipError_tT0_T1_T2_jT3_P12ihipStream_tbPNSt15iterator_traitsISE_E10value_typeEPNSK_ISF_E10value_typeEPSG_NS1_7vsmem_tEENKUlT_SE_SF_SG_E_clIS8_S8_S9_S9_EESD_ST_SE_SF_SG_EUlST_E0_NS1_11comp_targetILNS1_3genE0ELNS1_11target_archE4294967295ELNS1_3gpuE0ELNS1_3repE0EEENS1_38merge_mergepath_config_static_selectorELNS0_4arch9wavefront6targetE0EEEvSF_
; %bb.0:
	s_bfe_u32 s2, ttmp6, 0x40010
	s_and_b32 s4, ttmp7, 0xffff
	s_add_co_i32 s5, s2, 1
	s_clause 0x1
	s_load_b32 s6, s[0:1], 0x30
	s_load_b64 s[2:3], s[0:1], 0x40
	s_bfe_u32 s8, ttmp6, 0x4000c
	s_mul_i32 s5, s4, s5
	s_bfe_u32 s7, ttmp6, 0x40004
	s_add_co_i32 s8, s8, 1
	s_bfe_u32 s9, ttmp6, 0x40014
	s_add_co_i32 s7, s7, s5
	s_and_b32 s5, ttmp6, 15
	s_mul_i32 s8, ttmp9, s8
	s_lshr_b32 s10, ttmp7, 16
	s_add_co_i32 s9, s9, 1
	s_add_co_i32 s5, s5, s8
	s_mul_i32 s8, s10, s9
	s_bfe_u32 s9, ttmp6, 0x40008
	s_getreg_b32 s11, hwreg(HW_REG_IB_STS2, 6, 4)
	s_add_co_i32 s9, s9, s8
	s_cmp_eq_u32 s11, 0
	s_cselect_b32 s8, s10, s9
	s_cselect_b32 s4, s4, s7
	s_wait_kmcnt 0x0
	s_mul_i32 s8, s3, s8
	s_cselect_b32 s3, ttmp9, s5
	s_add_co_i32 s4, s8, s4
	s_mov_b32 s5, 0
	s_mul_i32 s4, s4, s2
	s_delay_alu instid0(SALU_CYCLE_1) | instskip(NEXT) | instid1(SALU_CYCLE_1)
	s_add_co_i32 s4, s4, s3
	s_cmp_ge_u32 s4, s6
	s_cbranch_scc1 .LBB902_43
; %bb.1:
	v_mov_b32_e32 v11, 0
	s_add_nc_u64 s[6:7], s[0:1], 64
	v_lshlrev_b32_e32 v10, 2, v0
	global_load_b32 v1, v11, s[6:7] offset:14
	s_clause 0x2
	s_load_b64 s[8:9], s[0:1], 0x28
	s_load_b64 s[10:11], s[0:1], 0x38
	;; [unrolled: 1-line block ×3, first 2 shown]
	s_wait_kmcnt 0x0
	s_lshr_b32 s22, s8, 10
	s_delay_alu instid0(SALU_CYCLE_1) | instskip(SKIP_2) | instid1(SALU_CYCLE_1)
	s_cmp_lg_u32 s4, s22
	s_cselect_b32 s14, -1, 0
	s_lshl_b64 s[12:13], s[4:5], 2
	s_add_nc_u64 s[10:11], s[10:11], s[12:13]
	s_load_b64 s[12:13], s[10:11], 0x0
	s_wait_xcnt 0x0
	s_lshr_b32 s10, s9, 9
	s_delay_alu instid0(SALU_CYCLE_1) | instskip(NEXT) | instid1(SALU_CYCLE_1)
	s_and_b32 s10, s10, 0x7ffffe
	s_sub_co_i32 s11, 0, s10
	s_lshl_b32 s10, s4, 10
	s_and_b32 s15, s4, s11
	s_or_b32 s11, s4, s11
	s_lshl_b32 s18, s15, 11
	s_lshl_b32 s15, s15, 10
	s_add_co_i32 s18, s18, s9
	s_sub_co_i32 s19, s10, s15
	s_sub_co_i32 s15, s18, s15
	s_add_co_i32 s18, s18, s19
	s_min_u32 s20, s8, s15
	s_add_co_i32 s15, s15, s9
	s_wait_kmcnt 0x0
	s_sub_co_i32 s9, s18, s12
	s_sub_co_i32 s19, s18, s13
	s_min_u32 s18, s8, s9
	s_add_co_i32 s9, s19, 0x400
	s_cmp_eq_u32 s11, -1
	s_mov_b32 s19, s5
	s_cselect_b32 s9, s15, s9
	s_cselect_b32 s11, s20, s13
	s_mov_b32 s13, s5
	s_min_u32 s15, s9, s8
	s_lshl_b64 s[20:21], s[18:19], 2
	s_sub_co_i32 s9, s11, s12
	s_lshl_b64 s[12:13], s[12:13], 2
	s_sub_co_i32 s15, s15, s18
	s_cmp_lt_u32 s3, s2
	s_mov_b32 s3, s5
	s_cselect_b32 s2, 12, 18
	s_add_nc_u64 s[12:13], s[16:17], s[12:13]
	s_add_nc_u64 s[2:3], s[6:7], s[2:3]
	s_cmp_eq_u32 s4, s22
	s_load_u16 s2, s[2:3], 0x0
	s_add_nc_u64 s[6:7], s[16:17], s[20:21]
	s_wait_loadcnt 0x0
	v_lshrrev_b32_e32 v2, 16, v1
	v_and_b32_e32 v1, 0xffff, v1
	s_delay_alu instid0(VALU_DEP_1) | instskip(SKIP_1) | instid1(VALU_DEP_1)
	v_mul_lo_u32 v1, v1, v2
	s_wait_kmcnt 0x0
	v_mul_lo_u32 v1, v1, s2
	s_mov_b32 s2, -1
	s_delay_alu instid0(VALU_DEP_1) | instskip(NEXT) | instid1(VALU_DEP_1)
	v_add_nc_u32_e32 v14, v1, v0
	v_add_nc_u32_e32 v12, v14, v1
	s_cbranch_scc1 .LBB902_3
; %bb.2:
	v_sub_co_u32 v4, vcc_lo, v0, s9
	v_dual_mov_b32 v5, v11 :: v_dual_mov_b32 v15, v11
	v_add_nc_u64_e32 v[2:3], s[12:13], v[10:11]
	v_sub_co_u32 v8, s2, v14, s9
	s_delay_alu instid0(VALU_DEP_3) | instskip(SKIP_3) | instid1(VALU_DEP_4)
	v_lshl_add_u64 v[4:5], v[4:5], 2, s[6:7]
	v_dual_mov_b32 v9, v11 :: v_dual_mov_b32 v13, v11
	v_lshl_add_u64 v[6:7], v[14:15], 2, s[12:13]
	v_dual_mov_b32 v17, v11 :: v_dual_add_nc_u32 v18, v12, v1
	v_dual_cndmask_b32 v3, v5, v3 :: v_dual_cndmask_b32 v2, v4, v2
	s_delay_alu instid0(VALU_DEP_4) | instskip(SKIP_3) | instid1(VALU_DEP_4)
	v_lshl_add_u64 v[4:5], v[8:9], 2, s[6:7]
	v_sub_co_u32 v16, vcc_lo, v12, s9
	v_mov_b32_e32 v19, v11
	v_lshl_add_u64 v[8:9], v[12:13], 2, s[12:13]
	v_dual_cndmask_b32 v5, v5, v7, s2 :: v_dual_cndmask_b32 v4, v4, v6, s2
	v_mov_b32_e32 v21, v11
	v_lshl_add_u64 v[6:7], v[16:17], 2, s[6:7]
	v_lshl_add_u64 v[16:17], v[18:19], 2, s[12:13]
	v_sub_co_u32 v20, s2, v18, s9
	v_dual_mov_b32 v23, v11 :: v_dual_add_nc_u32 v18, v18, v1
	global_load_b32 v2, v[2:3], off
	global_load_b32 v3, v[4:5], off
	s_wait_xcnt 0x0
	v_dual_cndmask_b32 v5, v7, v9 :: v_dual_cndmask_b32 v4, v6, v8
	v_lshl_add_u64 v[6:7], v[20:21], 2, s[6:7]
	v_lshl_add_u64 v[8:9], v[18:19], 2, s[12:13]
	v_sub_co_u32 v20, vcc_lo, v18, s9
	v_dual_mov_b32 v25, v11 :: v_dual_add_nc_u32 v18, v18, v1
	s_delay_alu instid0(VALU_DEP_4) | instskip(NEXT) | instid1(VALU_DEP_3)
	v_dual_cndmask_b32 v17, v7, v17, s2 :: v_dual_cndmask_b32 v16, v6, v16, s2
	v_lshl_add_u64 v[6:7], v[20:21], 2, s[6:7]
	s_delay_alu instid0(VALU_DEP_3) | instskip(SKIP_2) | instid1(VALU_DEP_4)
	v_lshl_add_u64 v[20:21], v[18:19], 2, s[12:13]
	v_add_nc_u32_e32 v22, v18, v1
	v_sub_co_u32 v18, s2, v18, s9
	v_dual_cndmask_b32 v31, v7, v9 :: v_dual_cndmask_b32 v30, v6, v8
	global_load_b32 v4, v[4:5], off
	v_lshl_add_u64 v[18:19], v[18:19], 2, s[6:7]
	s_add_co_i32 s11, s15, s9
	s_delay_alu instid0(VALU_DEP_1) | instskip(SKIP_3) | instid1(VALU_DEP_1)
	v_cndmask_b32_e64 v18, v18, v20, s2
	v_lshl_add_u64 v[26:27], v[22:23], 2, s[12:13]
	v_add_nc_u32_e32 v24, v22, v1
	v_sub_co_u32 v22, s3, v22, s9
	v_lshl_add_u64 v[22:23], v[22:23], 2, s[6:7]
	v_cndmask_b32_e64 v19, v19, v21, s2
	s_delay_alu instid0(VALU_DEP_2) | instskip(SKIP_3) | instid1(VALU_DEP_2)
	v_cndmask_b32_e64 v21, v23, v27, s3
	v_lshl_add_u64 v[28:29], v[24:25], 2, s[12:13]
	v_sub_co_u32 v24, s4, v24, s9
	v_cndmask_b32_e64 v20, v22, v26, s3
	v_lshl_add_u64 v[6:7], v[24:25], 2, s[6:7]
	s_delay_alu instid0(VALU_DEP_1)
	v_dual_cndmask_b32 v23, v7, v29, s4 :: v_dual_cndmask_b32 v22, v6, v28, s4
	global_load_b32 v5, v[16:17], off
	global_load_b32 v6, v[30:31], off
	;; [unrolled: 1-line block ×5, first 2 shown]
	s_cbranch_execz .LBB902_4
	s_branch .LBB902_19
.LBB902_3:
                                        ; implicit-def: $vgpr2_vgpr3_vgpr4_vgpr5_vgpr6_vgpr7_vgpr8_vgpr9
                                        ; implicit-def: $sgpr11
	s_and_not1_b32 vcc_lo, exec_lo, s2
	s_cbranch_vccnz .LBB902_19
.LBB902_4:
	s_wait_loadcnt 0x7
	v_mov_b32_e32 v2, 0
	s_add_co_i32 s11, s15, s9
	s_mov_b32 s2, exec_lo
	s_wait_loadcnt 0x5
	s_delay_alu instid0(VALU_DEP_1)
	v_dual_mov_b32 v3, v2 :: v_dual_mov_b32 v4, v2
	s_wait_loadcnt 0x3
	v_dual_mov_b32 v5, v2 :: v_dual_mov_b32 v6, v2
	s_wait_loadcnt 0x1
	;; [unrolled: 2-line block ×3, first 2 shown]
	v_mov_b32_e32 v9, v2
	v_cmpx_gt_u32_e64 s11, v0
	s_cbranch_execnz .LBB902_44
; %bb.5:
	s_or_b32 exec_lo, exec_lo, s2
	s_delay_alu instid0(SALU_CYCLE_1)
	s_mov_b32 s2, exec_lo
	v_cmpx_gt_u32_e64 s11, v14
	s_cbranch_execnz .LBB902_45
.LBB902_6:
	s_or_b32 exec_lo, exec_lo, s2
	s_delay_alu instid0(SALU_CYCLE_1)
	s_mov_b32 s2, exec_lo
	v_cmpx_gt_u32_e64 s11, v12
	s_cbranch_execz .LBB902_8
.LBB902_7:
	v_sub_co_u32 v16, vcc_lo, v12, s9
	v_mov_b32_e32 v13, 0
	s_delay_alu instid0(VALU_DEP_1) | instskip(SKIP_1) | instid1(VALU_DEP_1)
	v_lshl_add_u64 v[14:15], v[12:13], 2, s[12:13]
	v_mov_b32_e32 v17, v13
	v_lshl_add_u64 v[16:17], v[16:17], 2, s[6:7]
	s_delay_alu instid0(VALU_DEP_1)
	v_dual_cndmask_b32 v15, v17, v15 :: v_dual_cndmask_b32 v14, v16, v14
	global_load_b32 v4, v[14:15], off
.LBB902_8:
	s_wait_xcnt 0x0
	s_or_b32 exec_lo, exec_lo, s2
	v_add_nc_u32_e32 v12, v12, v1
	s_mov_b32 s2, exec_lo
	s_delay_alu instid0(VALU_DEP_1)
	v_cmpx_gt_u32_e64 s11, v12
	s_cbranch_execz .LBB902_10
; %bb.9:
	v_sub_co_u32 v16, vcc_lo, v12, s9
	v_mov_b32_e32 v13, 0
	s_delay_alu instid0(VALU_DEP_1) | instskip(SKIP_1) | instid1(VALU_DEP_1)
	v_lshl_add_u64 v[14:15], v[12:13], 2, s[12:13]
	v_mov_b32_e32 v17, v13
	v_lshl_add_u64 v[16:17], v[16:17], 2, s[6:7]
	s_delay_alu instid0(VALU_DEP_1)
	v_dual_cndmask_b32 v15, v17, v15 :: v_dual_cndmask_b32 v14, v16, v14
	global_load_b32 v5, v[14:15], off
.LBB902_10:
	s_wait_xcnt 0x0
	s_or_b32 exec_lo, exec_lo, s2
	v_add_nc_u32_e32 v12, v12, v1
	s_mov_b32 s2, exec_lo
	s_delay_alu instid0(VALU_DEP_1)
	v_cmpx_gt_u32_e64 s11, v12
	s_cbranch_execz .LBB902_12
; %bb.11:
	v_sub_co_u32 v16, vcc_lo, v12, s9
	v_mov_b32_e32 v13, 0
	s_delay_alu instid0(VALU_DEP_1) | instskip(SKIP_1) | instid1(VALU_DEP_1)
	v_lshl_add_u64 v[14:15], v[12:13], 2, s[12:13]
	v_mov_b32_e32 v17, v13
	v_lshl_add_u64 v[16:17], v[16:17], 2, s[6:7]
	s_delay_alu instid0(VALU_DEP_1)
	v_dual_cndmask_b32 v15, v17, v15 :: v_dual_cndmask_b32 v14, v16, v14
	global_load_b32 v6, v[14:15], off
.LBB902_12:
	;; [unrolled: 18-line block ×4, first 2 shown]
	s_wait_xcnt 0x0
	s_or_b32 exec_lo, exec_lo, s2
	v_add_nc_u32_e32 v12, v12, v1
	s_mov_b32 s2, exec_lo
	s_delay_alu instid0(VALU_DEP_1)
	v_cmpx_gt_u32_e64 s11, v12
	s_cbranch_execz .LBB902_18
; %bb.17:
	v_mov_b32_e32 v13, 0
	s_delay_alu instid0(VALU_DEP_1) | instskip(SKIP_1) | instid1(VALU_DEP_1)
	v_lshl_add_u64 v[14:15], v[12:13], 2, s[12:13]
	v_sub_co_u32 v12, vcc_lo, v12, s9
	v_lshl_add_u64 v[12:13], v[12:13], 2, s[6:7]
	s_delay_alu instid0(VALU_DEP_1)
	v_dual_cndmask_b32 v13, v13, v15 :: v_dual_cndmask_b32 v12, v12, v14
	global_load_b32 v9, v[12:13], off
.LBB902_18:
	s_wait_xcnt 0x0
	s_or_b32 exec_lo, exec_lo, s2
.LBB902_19:
	s_load_b64 s[12:13], s[0:1], 0x10
	v_lshlrev_b32_e32 v1, 3, v0
	s_wait_xcnt 0x0
	s_mov_b32 s0, exec_lo
	s_wait_loadcnt 0x0
	ds_store_2addr_stride64_b32 v10, v2, v3 offset1:2
	ds_store_2addr_stride64_b32 v10, v4, v5 offset0:4 offset1:6
	ds_store_2addr_stride64_b32 v10, v6, v7 offset0:8 offset1:10
	;; [unrolled: 1-line block ×3, first 2 shown]
	s_wait_dscnt 0x0
	s_barrier_signal -1
	v_min_u32_e32 v12, s11, v1
	s_barrier_wait -1
	s_delay_alu instid0(VALU_DEP_1) | instskip(SKIP_1) | instid1(VALU_DEP_1)
	v_sub_nc_u32_e64 v11, v12, s15 clamp
	v_min_u32_e32 v13, s9, v12
	v_cmpx_lt_u32_e64 v11, v13
	s_cbranch_execz .LBB902_23
; %bb.20:
	v_lshlrev_b32_e32 v14, 2, v12
	s_mov_b32 s1, 0
	s_delay_alu instid0(VALU_DEP_1)
	v_lshl_add_u32 v14, s9, 2, v14
.LBB902_21:                             ; =>This Inner Loop Header: Depth=1
	v_add_nc_u32_e32 v15, v13, v11
	s_delay_alu instid0(VALU_DEP_1) | instskip(NEXT) | instid1(VALU_DEP_1)
	v_lshrrev_b32_e32 v15, 1, v15
	v_not_b32_e32 v16, v15
	v_dual_lshlrev_b32 v17, 2, v15 :: v_dual_add_nc_u32 v18, 1, v15
	s_delay_alu instid0(VALU_DEP_2)
	v_lshl_add_u32 v16, v16, 2, v14
	ds_load_b32 v17, v17
	ds_load_b32 v16, v16
	s_wait_dscnt 0x0
	v_cmp_gt_i32_e32 vcc_lo, v17, v16
	v_cndmask_b32_e32 v13, v13, v15, vcc_lo
	v_cndmask_b32_e32 v11, v18, v11, vcc_lo
	s_delay_alu instid0(VALU_DEP_1) | instskip(SKIP_1) | instid1(SALU_CYCLE_1)
	v_cmp_ge_u32_e32 vcc_lo, v11, v13
	s_or_b32 s1, vcc_lo, s1
	s_and_not1_b32 exec_lo, exec_lo, s1
	s_cbranch_execnz .LBB902_21
; %bb.22:
	s_or_b32 exec_lo, exec_lo, s1
.LBB902_23:
	s_delay_alu instid0(SALU_CYCLE_1) | instskip(SKIP_2) | instid1(VALU_DEP_2)
	s_or_b32 exec_lo, exec_lo, s0
	v_sub_nc_u32_e32 v12, v12, v11
	v_cmp_ge_u32_e32 vcc_lo, s9, v11
	v_add_nc_u32_e32 v12, s9, v12
	s_delay_alu instid0(VALU_DEP_1) | instskip(SKIP_1) | instid1(SALU_CYCLE_1)
	v_cmp_ge_u32_e64 s0, s11, v12
	s_or_b32 s0, vcc_lo, s0
	s_and_saveexec_b32 s15, s0
	s_cbranch_execz .LBB902_29
; %bb.24:
	v_cmp_gt_u32_e32 vcc_lo, s9, v11
                                        ; implicit-def: $vgpr2
	s_and_saveexec_b32 s0, vcc_lo
; %bb.25:
	v_lshlrev_b32_e32 v2, 2, v11
	ds_load_b32 v2, v2
; %bb.26:
	s_or_b32 exec_lo, exec_lo, s0
	v_cmp_le_u32_e64 s0, s11, v12
	s_mov_b32 s2, exec_lo
                                        ; implicit-def: $vgpr3
	v_cmpx_gt_u32_e64 s11, v12
; %bb.27:
	v_lshlrev_b32_e32 v3, 2, v12
	ds_load_b32 v3, v3
; %bb.28:
	s_or_b32 exec_lo, exec_lo, s2
	s_wait_dscnt 0x0
	v_cmp_le_i32_e64 s1, v2, v3
	s_and_b32 s1, vcc_lo, s1
	s_delay_alu instid0(SALU_CYCLE_1) | instskip(SKIP_1) | instid1(VALU_DEP_1)
	s_or_b32 vcc_lo, s0, s1
	v_dual_mov_b32 v4, s9 :: v_dual_cndmask_b32 v5, v12, v11
	v_dual_cndmask_b32 v6, s11, v4 :: v_dual_add_nc_u32 v5, 1, v5
	s_delay_alu instid0(VALU_DEP_1) | instskip(SKIP_1) | instid1(VALU_DEP_2)
	v_add_min_u32_e64 v6, v6, -1, v5
	v_dual_cndmask_b32 v7, v11, v5, vcc_lo :: v_dual_cndmask_b32 v5, v5, v12, vcc_lo
	v_lshlrev_b32_e32 v6, 2, v6
	s_delay_alu instid0(VALU_DEP_2) | instskip(NEXT) | instid1(VALU_DEP_3)
	v_cmp_gt_u32_e64 s0, s9, v7
	v_cmp_le_u32_e64 s2, s11, v5
	ds_load_b32 v6, v6
	s_wait_dscnt 0x0
	v_cndmask_b32_e32 v8, v6, v3, vcc_lo
	v_cndmask_b32_e32 v6, v2, v6, vcc_lo
	;; [unrolled: 1-line block ×3, first 2 shown]
	s_delay_alu instid0(VALU_DEP_2) | instskip(SKIP_1) | instid1(SALU_CYCLE_1)
	v_cmp_le_i32_e64 s1, v6, v8
	s_and_b32 s0, s0, s1
	s_or_b32 s0, s2, s0
	s_delay_alu instid0(SALU_CYCLE_1) | instskip(SKIP_1) | instid1(VALU_DEP_2)
	v_cndmask_b32_e64 v9, v5, v7, s0
	v_cndmask_b32_e64 v11, s11, v4, s0
	v_dual_cndmask_b32 v3, v8, v6, s0 :: v_dual_add_nc_u32 v9, 1, v9
	s_delay_alu instid0(VALU_DEP_1) | instskip(SKIP_1) | instid1(VALU_DEP_2)
	v_add_min_u32_e64 v11, v11, -1, v9
	v_cndmask_b32_e64 v7, v7, v9, s0
	v_dual_cndmask_b32 v5, v9, v5, s0 :: v_dual_lshlrev_b32 v11, 2, v11
	s_delay_alu instid0(VALU_DEP_2) | instskip(NEXT) | instid1(VALU_DEP_2)
	v_cmp_gt_u32_e64 s1, s9, v7
	v_cmp_le_u32_e64 s3, s11, v5
	ds_load_b32 v11, v11
	s_wait_dscnt 0x0
	v_dual_cndmask_b32 v12, v11, v8, s0 :: v_dual_cndmask_b32 v11, v6, v11, s0
	s_delay_alu instid0(VALU_DEP_1) | instskip(SKIP_1) | instid1(SALU_CYCLE_1)
	v_cmp_le_i32_e64 s2, v11, v12
	s_and_b32 s1, s1, s2
	s_or_b32 s1, s3, s1
	s_delay_alu instid0(SALU_CYCLE_1) | instskip(NEXT) | instid1(VALU_DEP_1)
	v_cndmask_b32_e64 v9, v5, v7, s1
	v_dual_cndmask_b32 v13, s11, v4, s1 :: v_dual_add_nc_u32 v9, 1, v9
	s_delay_alu instid0(VALU_DEP_1) | instskip(NEXT) | instid1(VALU_DEP_1)
	v_add_min_u32_e64 v13, v13, -1, v9
	v_lshlrev_b32_e32 v13, 2, v13
	ds_load_b32 v13, v13
	s_wait_dscnt 0x0
	v_dual_cndmask_b32 v7, v7, v9, s1 :: v_dual_cndmask_b32 v14, v13, v12, s1
	v_cndmask_b32_e64 v5, v9, v5, s1
	v_cndmask_b32_e64 v13, v11, v13, s1
	s_delay_alu instid0(VALU_DEP_3) | instskip(NEXT) | instid1(VALU_DEP_3)
	v_cmp_gt_u32_e64 s2, s9, v7
	v_cmp_le_u32_e64 s4, s11, v5
	s_delay_alu instid0(VALU_DEP_3) | instskip(SKIP_1) | instid1(SALU_CYCLE_1)
	v_cmp_le_i32_e64 s3, v13, v14
	s_and_b32 s2, s2, s3
	s_or_b32 s2, s4, s2
	s_delay_alu instid0(SALU_CYCLE_1) | instskip(NEXT) | instid1(VALU_DEP_1)
	v_cndmask_b32_e64 v9, v5, v7, s2
	v_dual_cndmask_b32 v15, s11, v4, s2 :: v_dual_add_nc_u32 v9, 1, v9
	s_delay_alu instid0(VALU_DEP_1) | instskip(NEXT) | instid1(VALU_DEP_1)
	v_add_min_u32_e64 v15, v15, -1, v9
	v_lshlrev_b32_e32 v15, 2, v15
	ds_load_b32 v15, v15
	v_cndmask_b32_e64 v7, v7, v9, s2
	s_wait_dscnt 0x0
	v_dual_cndmask_b32 v16, v15, v14, s2 :: v_dual_cndmask_b32 v15, v13, v15, s2
	v_cndmask_b32_e64 v5, v9, v5, s2
	s_delay_alu instid0(VALU_DEP_3) | instskip(NEXT) | instid1(VALU_DEP_3)
	v_cmp_gt_u32_e64 s3, s9, v7
	v_cmp_le_i32_e64 s4, v15, v16
	s_delay_alu instid0(VALU_DEP_3) | instskip(SKIP_1) | instid1(SALU_CYCLE_1)
	v_cmp_le_u32_e64 s5, s11, v5
	s_and_b32 s3, s3, s4
	s_or_b32 s3, s5, s3
	s_delay_alu instid0(SALU_CYCLE_1) | instskip(NEXT) | instid1(VALU_DEP_1)
	v_cndmask_b32_e64 v9, v5, v7, s3
	v_dual_cndmask_b32 v17, s11, v4, s3 :: v_dual_add_nc_u32 v9, 1, v9
	s_delay_alu instid0(VALU_DEP_1) | instskip(NEXT) | instid1(VALU_DEP_1)
	v_add_min_u32_e64 v17, v17, -1, v9
	v_lshlrev_b32_e32 v17, 2, v17
	ds_load_b32 v17, v17
	s_wait_dscnt 0x0
	v_dual_cndmask_b32 v7, v7, v9, s3 :: v_dual_cndmask_b32 v18, v17, v16, s3
	v_cndmask_b32_e64 v5, v9, v5, s3
	v_cndmask_b32_e64 v17, v15, v17, s3
	s_delay_alu instid0(VALU_DEP_3) | instskip(NEXT) | instid1(VALU_DEP_3)
	v_cmp_gt_u32_e64 s4, s9, v7
	v_cmp_le_u32_e64 s6, s11, v5
	s_delay_alu instid0(VALU_DEP_3) | instskip(SKIP_1) | instid1(SALU_CYCLE_1)
	v_cmp_le_i32_e64 s5, v17, v18
	s_and_b32 s4, s4, s5
	s_or_b32 s4, s6, s4
	s_delay_alu instid0(SALU_CYCLE_1) | instskip(NEXT) | instid1(VALU_DEP_1)
	v_cndmask_b32_e64 v9, v5, v7, s4
	v_dual_cndmask_b32 v19, s11, v4, s4 :: v_dual_add_nc_u32 v9, 1, v9
	s_delay_alu instid0(VALU_DEP_1) | instskip(NEXT) | instid1(VALU_DEP_1)
	v_add_min_u32_e64 v19, v19, -1, v9
	v_lshlrev_b32_e32 v19, 2, v19
	ds_load_b32 v19, v19
	v_cndmask_b32_e64 v7, v7, v9, s4
	s_wait_dscnt 0x0
	v_dual_cndmask_b32 v20, v19, v18, s4 :: v_dual_cndmask_b32 v19, v17, v19, s4
	v_cndmask_b32_e64 v5, v9, v5, s4
	s_delay_alu instid0(VALU_DEP_3) | instskip(NEXT) | instid1(VALU_DEP_3)
	v_cmp_gt_u32_e64 s5, s9, v7
	v_cmp_le_i32_e64 s6, v19, v20
	s_delay_alu instid0(VALU_DEP_3) | instskip(SKIP_1) | instid1(SALU_CYCLE_1)
	v_cmp_le_u32_e64 s7, s11, v5
	s_and_b32 s5, s5, s6
	s_or_b32 s5, s7, s5
	s_delay_alu instid0(SALU_CYCLE_1) | instskip(SKIP_1) | instid1(VALU_DEP_2)
	v_cndmask_b32_e64 v9, v5, v7, s5
	v_cndmask_b32_e64 v4, s11, v4, s5
	v_dual_cndmask_b32 v8, v20, v19, s5 :: v_dual_add_nc_u32 v9, 1, v9
	s_delay_alu instid0(VALU_DEP_1) | instskip(NEXT) | instid1(VALU_DEP_1)
	v_add_min_u32_e64 v4, v4, -1, v9
	v_dual_lshlrev_b32 v4, 2, v4 :: v_dual_cndmask_b32 v6, v9, v5, s5
	v_cndmask_b32_e64 v5, v14, v13, s2
	ds_load_b32 v4, v4
	s_wait_dscnt 0x0
	v_dual_cndmask_b32 v7, v7, v9, s5 :: v_dual_cndmask_b32 v21, v4, v20, s5
	v_cndmask_b32_e64 v22, v19, v4, s5
	s_delay_alu instid0(VALU_DEP_2)
	v_cmp_gt_u32_e32 vcc_lo, s9, v7
	v_cndmask_b32_e64 v4, v12, v11, s1
	v_cmp_le_u32_e64 s1, s11, v6
	v_cndmask_b32_e64 v6, v16, v15, s3
	v_cmp_le_i32_e64 s0, v22, v21
	v_cndmask_b32_e64 v7, v18, v17, s4
	s_and_b32 s0, vcc_lo, s0
	s_delay_alu instid0(SALU_CYCLE_1)
	s_or_b32 vcc_lo, s1, s0
	v_cndmask_b32_e32 v9, v21, v22, vcc_lo
.LBB902_29:
	s_or_b32 exec_lo, exec_lo, s15
	v_or_b32_e32 v14, 0x80, v0
	v_or_b32_e32 v12, 0x100, v0
	v_and_b32_e32 v11, 0x7c, v0
	v_lshrrev_b32_e32 v13, 3, v0
	s_delay_alu instid0(VALU_DEP_3) | instskip(NEXT) | instid1(VALU_DEP_3)
	v_dual_lshrrev_b32 v15, 3, v14 :: v_dual_lshrrev_b32 v16, 3, v12
	v_lshl_add_u32 v1, v1, 2, v11
	s_delay_alu instid0(VALU_DEP_3)
	v_and_b32_e32 v11, 12, v13
	v_or_b32_e32 v13, 0x180, v0
	s_barrier_signal -1
	s_barrier_wait -1
	s_barrier_signal -1
	s_barrier_wait -1
	v_and_b32_e32 v15, 28, v15
	ds_store_2addr_b32 v1, v2, v3 offset1:1
	ds_store_2addr_b32 v1, v4, v5 offset0:2 offset1:3
	ds_store_2addr_b32 v1, v6, v7 offset0:4 offset1:5
	;; [unrolled: 1-line block ×3, first 2 shown]
	v_dual_add_nc_u32 v8, v11, v10 :: v_dual_bitop2_b32 v16, 44, v16 bitop3:0x40
	v_lshrrev_b32_e32 v1, 3, v13
	v_or_b32_e32 v6, 0x200, v0
	v_or_b32_e32 v5, 0x280, v0
	;; [unrolled: 1-line block ×3, first 2 shown]
	v_dual_add_nc_u32 v9, v15, v10 :: v_dual_add_nc_u32 v15, v16, v10
	s_delay_alu instid0(VALU_DEP_4) | instskip(SKIP_1) | instid1(VALU_DEP_4)
	v_dual_lshrrev_b32 v3, 3, v6 :: v_dual_bitop2_b32 v2, 60, v1 bitop3:0x40
	v_or_b32_e32 v1, 0x380, v0
	v_dual_lshrrev_b32 v7, 3, v5 :: v_dual_lshrrev_b32 v11, 3, v4
	s_delay_alu instid0(VALU_DEP_3) | instskip(SKIP_1) | instid1(VALU_DEP_3)
	v_add_nc_u32_e32 v16, v2, v10
	s_mov_b32 s11, 0
	v_lshrrev_b32_e32 v2, 3, v1
	v_and_b32_e32 v3, 0x4c, v3
	v_and_b32_e32 v19, 0x6c, v11
	v_mov_b32_e32 v11, 0
	s_lshl_b64 s[0:1], s[10:11], 2
	v_and_b32_e32 v7, 0x5c, v7
	v_and_b32_e32 v20, 0x7c, v2
	s_wait_kmcnt 0x0
	s_add_nc_u64 s[0:1], s[12:13], s[0:1]
	v_add_nc_u32_e32 v17, v3, v10
	v_add_nc_u64_e32 v[2:3], s[0:1], v[10:11]
	v_add_nc_u32_e32 v18, v7, v10
	v_dual_add_nc_u32 v19, v19, v10 :: v_dual_add_nc_u32 v10, v20, v10
	s_and_b32 vcc_lo, exec_lo, s14
	s_wait_dscnt 0x0
	s_cbranch_vccz .LBB902_31
; %bb.30:
	s_barrier_signal -1
	s_barrier_wait -1
	ds_load_b32 v11, v8
	ds_load_b32 v20, v9 offset:512
	ds_load_b32 v21, v15 offset:1024
	;; [unrolled: 1-line block ×7, first 2 shown]
	s_mov_b32 s11, -1
	s_wait_dscnt 0x7
	global_store_b32 v[2:3], v11, off
	s_wait_dscnt 0x6
	global_store_b32 v[2:3], v20, off offset:512
	s_wait_dscnt 0x5
	global_store_b32 v[2:3], v21, off offset:1024
	;; [unrolled: 2-line block ×6, first 2 shown]
	s_cbranch_execz .LBB902_32
	s_branch .LBB902_41
.LBB902_31:
                                        ; implicit-def: $vgpr7
.LBB902_32:
	s_barrier_signal -1
	s_barrier_wait -1
	s_wait_storecnt_dscnt 0x0
	s_wait_xcnt 0x4
	ds_load_b32 v21, v9 offset:512
	ds_load_b32 v20, v15 offset:1024
	;; [unrolled: 1-line block ×7, first 2 shown]
	s_sub_co_i32 s0, s8, s10
	s_mov_b32 s1, exec_lo
	s_wait_xcnt 0x0
	v_cmpx_gt_u32_e64 s0, v0
	s_cbranch_execnz .LBB902_46
; %bb.33:
	s_or_b32 exec_lo, exec_lo, s1
	s_delay_alu instid0(SALU_CYCLE_1)
	s_mov_b32 s1, exec_lo
	v_cmpx_gt_u32_e64 s0, v14
	s_cbranch_execnz .LBB902_47
.LBB902_34:
	s_or_b32 exec_lo, exec_lo, s1
	s_delay_alu instid0(SALU_CYCLE_1)
	s_mov_b32 s1, exec_lo
	v_cmpx_gt_u32_e64 s0, v12
	s_cbranch_execnz .LBB902_48
.LBB902_35:
	s_or_b32 exec_lo, exec_lo, s1
	s_delay_alu instid0(SALU_CYCLE_1)
	s_mov_b32 s1, exec_lo
	v_cmpx_gt_u32_e64 s0, v13
	s_cbranch_execnz .LBB902_49
.LBB902_36:
	s_or_b32 exec_lo, exec_lo, s1
	s_delay_alu instid0(SALU_CYCLE_1)
	s_mov_b32 s1, exec_lo
	v_cmpx_gt_u32_e64 s0, v6
	s_cbranch_execnz .LBB902_50
.LBB902_37:
	s_or_b32 exec_lo, exec_lo, s1
	s_delay_alu instid0(SALU_CYCLE_1)
	s_mov_b32 s1, exec_lo
	v_cmpx_gt_u32_e64 s0, v5
	s_cbranch_execnz .LBB902_51
.LBB902_38:
	s_or_b32 exec_lo, exec_lo, s1
	s_delay_alu instid0(SALU_CYCLE_1)
	s_mov_b32 s1, exec_lo
	v_cmpx_gt_u32_e64 s0, v4
	s_cbranch_execz .LBB902_40
.LBB902_39:
	s_wait_dscnt 0x1
	global_store_b32 v[2:3], v9, off offset:3072
.LBB902_40:
	s_wait_xcnt 0x0
	s_or_b32 exec_lo, exec_lo, s1
	v_cmp_gt_u32_e64 s11, s0, v1
.LBB902_41:
	s_wait_xcnt 0x0
	s_delay_alu instid0(VALU_DEP_1)
	s_and_saveexec_b32 s0, s11
	s_cbranch_execz .LBB902_43
; %bb.42:
	s_wait_dscnt 0x0
	global_store_b32 v[2:3], v7, off offset:3584
.LBB902_43:
	s_endpgm
.LBB902_44:
	v_dual_mov_b32 v11, v2 :: v_dual_mov_b32 v5, v2
	v_sub_co_u32 v4, vcc_lo, v0, s9
	v_dual_mov_b32 v17, v2 :: v_dual_mov_b32 v18, v2
	s_delay_alu instid0(VALU_DEP_3) | instskip(NEXT) | instid1(VALU_DEP_3)
	v_add_nc_u64_e32 v[6:7], s[12:13], v[10:11]
	v_lshl_add_u64 v[4:5], v[4:5], 2, s[6:7]
	v_dual_mov_b32 v19, v2 :: v_dual_mov_b32 v20, v2
	v_dual_mov_b32 v21, v2 :: v_dual_mov_b32 v22, v2
	s_delay_alu instid0(VALU_DEP_3) | instskip(NEXT) | instid1(VALU_DEP_4)
	v_dual_mov_b32 v23, v2 :: v_dual_cndmask_b32 v5, v5, v7, vcc_lo
	v_cndmask_b32_e32 v4, v4, v6, vcc_lo
	global_load_b32 v16, v[4:5], off
	s_wait_loadcnt 0x0
	v_mov_b64_e32 v[2:3], v[16:17]
	v_mov_b64_e32 v[4:5], v[18:19]
	;; [unrolled: 1-line block ×4, first 2 shown]
	s_or_b32 exec_lo, exec_lo, s2
	s_delay_alu instid0(SALU_CYCLE_1)
	s_mov_b32 s2, exec_lo
	v_cmpx_gt_u32_e64 s11, v14
	s_cbranch_execz .LBB902_6
.LBB902_45:
	v_mov_b32_e32 v15, 0
	s_delay_alu instid0(VALU_DEP_1) | instskip(SKIP_1) | instid1(VALU_DEP_1)
	v_lshl_add_u64 v[16:17], v[14:15], 2, s[12:13]
	v_sub_co_u32 v14, vcc_lo, v14, s9
	v_lshl_add_u64 v[14:15], v[14:15], 2, s[6:7]
	s_delay_alu instid0(VALU_DEP_1) | instskip(SKIP_3) | instid1(SALU_CYCLE_1)
	v_dual_cndmask_b32 v15, v15, v17 :: v_dual_cndmask_b32 v14, v14, v16
	global_load_b32 v3, v[14:15], off
	s_wait_xcnt 0x0
	s_or_b32 exec_lo, exec_lo, s2
	s_mov_b32 s2, exec_lo
	v_cmpx_gt_u32_e64 s11, v12
	s_cbranch_execnz .LBB902_7
	s_branch .LBB902_8
.LBB902_46:
	ds_load_b32 v0, v8
	s_wait_dscnt 0x0
	global_store_b32 v[2:3], v0, off
	s_wait_xcnt 0x0
	s_or_b32 exec_lo, exec_lo, s1
	s_delay_alu instid0(SALU_CYCLE_1)
	s_mov_b32 s1, exec_lo
	v_cmpx_gt_u32_e64 s0, v14
	s_cbranch_execz .LBB902_34
.LBB902_47:
	s_wait_dscnt 0x6
	global_store_b32 v[2:3], v21, off offset:512
	s_wait_xcnt 0x0
	s_or_b32 exec_lo, exec_lo, s1
	s_delay_alu instid0(SALU_CYCLE_1)
	s_mov_b32 s1, exec_lo
	v_cmpx_gt_u32_e64 s0, v12
	s_cbranch_execz .LBB902_35
.LBB902_48:
	s_wait_dscnt 0x5
	global_store_b32 v[2:3], v20, off offset:1024
	s_wait_xcnt 0x0
	s_or_b32 exec_lo, exec_lo, s1
	s_delay_alu instid0(SALU_CYCLE_1)
	s_mov_b32 s1, exec_lo
	v_cmpx_gt_u32_e64 s0, v13
	s_cbranch_execz .LBB902_36
.LBB902_49:
	s_wait_dscnt 0x4
	global_store_b32 v[2:3], v16, off offset:1536
	s_wait_xcnt 0x0
	s_or_b32 exec_lo, exec_lo, s1
	s_delay_alu instid0(SALU_CYCLE_1)
	s_mov_b32 s1, exec_lo
	v_cmpx_gt_u32_e64 s0, v6
	s_cbranch_execz .LBB902_37
.LBB902_50:
	s_wait_dscnt 0x3
	global_store_b32 v[2:3], v15, off offset:2048
	s_wait_xcnt 0x0
	s_or_b32 exec_lo, exec_lo, s1
	s_delay_alu instid0(SALU_CYCLE_1)
	s_mov_b32 s1, exec_lo
	v_cmpx_gt_u32_e64 s0, v5
	s_cbranch_execz .LBB902_38
.LBB902_51:
	s_wait_dscnt 0x2
	global_store_b32 v[2:3], v11, off offset:2560
	s_wait_xcnt 0x0
	s_or_b32 exec_lo, exec_lo, s1
	s_delay_alu instid0(SALU_CYCLE_1)
	s_mov_b32 s1, exec_lo
	v_cmpx_gt_u32_e64 s0, v4
	s_cbranch_execnz .LBB902_39
	s_branch .LBB902_40
	.section	.rodata,"a",@progbits
	.p2align	6, 0x0
	.amdhsa_kernel _ZN7rocprim17ROCPRIM_400000_NS6detail17trampoline_kernelINS0_14default_configENS1_38merge_sort_block_merge_config_selectorIiNS0_10empty_typeEEEZZNS1_27merge_sort_block_merge_implIS3_PiPS5_jNS1_19radix_merge_compareILb0ELb0EiNS0_19identity_decomposerEEEEE10hipError_tT0_T1_T2_jT3_P12ihipStream_tbPNSt15iterator_traitsISE_E10value_typeEPNSK_ISF_E10value_typeEPSG_NS1_7vsmem_tEENKUlT_SE_SF_SG_E_clIS8_S8_S9_S9_EESD_ST_SE_SF_SG_EUlST_E0_NS1_11comp_targetILNS1_3genE0ELNS1_11target_archE4294967295ELNS1_3gpuE0ELNS1_3repE0EEENS1_38merge_mergepath_config_static_selectorELNS0_4arch9wavefront6targetE0EEEvSF_
		.amdhsa_group_segment_fixed_size 4224
		.amdhsa_private_segment_fixed_size 0
		.amdhsa_kernarg_size 320
		.amdhsa_user_sgpr_count 2
		.amdhsa_user_sgpr_dispatch_ptr 0
		.amdhsa_user_sgpr_queue_ptr 0
		.amdhsa_user_sgpr_kernarg_segment_ptr 1
		.amdhsa_user_sgpr_dispatch_id 0
		.amdhsa_user_sgpr_kernarg_preload_length 0
		.amdhsa_user_sgpr_kernarg_preload_offset 0
		.amdhsa_user_sgpr_private_segment_size 0
		.amdhsa_wavefront_size32 1
		.amdhsa_uses_dynamic_stack 0
		.amdhsa_enable_private_segment 0
		.amdhsa_system_sgpr_workgroup_id_x 1
		.amdhsa_system_sgpr_workgroup_id_y 1
		.amdhsa_system_sgpr_workgroup_id_z 1
		.amdhsa_system_sgpr_workgroup_info 0
		.amdhsa_system_vgpr_workitem_id 0
		.amdhsa_next_free_vgpr 32
		.amdhsa_next_free_sgpr 23
		.amdhsa_named_barrier_count 0
		.amdhsa_reserve_vcc 1
		.amdhsa_float_round_mode_32 0
		.amdhsa_float_round_mode_16_64 0
		.amdhsa_float_denorm_mode_32 3
		.amdhsa_float_denorm_mode_16_64 3
		.amdhsa_fp16_overflow 0
		.amdhsa_memory_ordered 1
		.amdhsa_forward_progress 1
		.amdhsa_inst_pref_size 33
		.amdhsa_round_robin_scheduling 0
		.amdhsa_exception_fp_ieee_invalid_op 0
		.amdhsa_exception_fp_denorm_src 0
		.amdhsa_exception_fp_ieee_div_zero 0
		.amdhsa_exception_fp_ieee_overflow 0
		.amdhsa_exception_fp_ieee_underflow 0
		.amdhsa_exception_fp_ieee_inexact 0
		.amdhsa_exception_int_div_zero 0
	.end_amdhsa_kernel
	.section	.text._ZN7rocprim17ROCPRIM_400000_NS6detail17trampoline_kernelINS0_14default_configENS1_38merge_sort_block_merge_config_selectorIiNS0_10empty_typeEEEZZNS1_27merge_sort_block_merge_implIS3_PiPS5_jNS1_19radix_merge_compareILb0ELb0EiNS0_19identity_decomposerEEEEE10hipError_tT0_T1_T2_jT3_P12ihipStream_tbPNSt15iterator_traitsISE_E10value_typeEPNSK_ISF_E10value_typeEPSG_NS1_7vsmem_tEENKUlT_SE_SF_SG_E_clIS8_S8_S9_S9_EESD_ST_SE_SF_SG_EUlST_E0_NS1_11comp_targetILNS1_3genE0ELNS1_11target_archE4294967295ELNS1_3gpuE0ELNS1_3repE0EEENS1_38merge_mergepath_config_static_selectorELNS0_4arch9wavefront6targetE0EEEvSF_,"axG",@progbits,_ZN7rocprim17ROCPRIM_400000_NS6detail17trampoline_kernelINS0_14default_configENS1_38merge_sort_block_merge_config_selectorIiNS0_10empty_typeEEEZZNS1_27merge_sort_block_merge_implIS3_PiPS5_jNS1_19radix_merge_compareILb0ELb0EiNS0_19identity_decomposerEEEEE10hipError_tT0_T1_T2_jT3_P12ihipStream_tbPNSt15iterator_traitsISE_E10value_typeEPNSK_ISF_E10value_typeEPSG_NS1_7vsmem_tEENKUlT_SE_SF_SG_E_clIS8_S8_S9_S9_EESD_ST_SE_SF_SG_EUlST_E0_NS1_11comp_targetILNS1_3genE0ELNS1_11target_archE4294967295ELNS1_3gpuE0ELNS1_3repE0EEENS1_38merge_mergepath_config_static_selectorELNS0_4arch9wavefront6targetE0EEEvSF_,comdat
.Lfunc_end902:
	.size	_ZN7rocprim17ROCPRIM_400000_NS6detail17trampoline_kernelINS0_14default_configENS1_38merge_sort_block_merge_config_selectorIiNS0_10empty_typeEEEZZNS1_27merge_sort_block_merge_implIS3_PiPS5_jNS1_19radix_merge_compareILb0ELb0EiNS0_19identity_decomposerEEEEE10hipError_tT0_T1_T2_jT3_P12ihipStream_tbPNSt15iterator_traitsISE_E10value_typeEPNSK_ISF_E10value_typeEPSG_NS1_7vsmem_tEENKUlT_SE_SF_SG_E_clIS8_S8_S9_S9_EESD_ST_SE_SF_SG_EUlST_E0_NS1_11comp_targetILNS1_3genE0ELNS1_11target_archE4294967295ELNS1_3gpuE0ELNS1_3repE0EEENS1_38merge_mergepath_config_static_selectorELNS0_4arch9wavefront6targetE0EEEvSF_, .Lfunc_end902-_ZN7rocprim17ROCPRIM_400000_NS6detail17trampoline_kernelINS0_14default_configENS1_38merge_sort_block_merge_config_selectorIiNS0_10empty_typeEEEZZNS1_27merge_sort_block_merge_implIS3_PiPS5_jNS1_19radix_merge_compareILb0ELb0EiNS0_19identity_decomposerEEEEE10hipError_tT0_T1_T2_jT3_P12ihipStream_tbPNSt15iterator_traitsISE_E10value_typeEPNSK_ISF_E10value_typeEPSG_NS1_7vsmem_tEENKUlT_SE_SF_SG_E_clIS8_S8_S9_S9_EESD_ST_SE_SF_SG_EUlST_E0_NS1_11comp_targetILNS1_3genE0ELNS1_11target_archE4294967295ELNS1_3gpuE0ELNS1_3repE0EEENS1_38merge_mergepath_config_static_selectorELNS0_4arch9wavefront6targetE0EEEvSF_
                                        ; -- End function
	.set _ZN7rocprim17ROCPRIM_400000_NS6detail17trampoline_kernelINS0_14default_configENS1_38merge_sort_block_merge_config_selectorIiNS0_10empty_typeEEEZZNS1_27merge_sort_block_merge_implIS3_PiPS5_jNS1_19radix_merge_compareILb0ELb0EiNS0_19identity_decomposerEEEEE10hipError_tT0_T1_T2_jT3_P12ihipStream_tbPNSt15iterator_traitsISE_E10value_typeEPNSK_ISF_E10value_typeEPSG_NS1_7vsmem_tEENKUlT_SE_SF_SG_E_clIS8_S8_S9_S9_EESD_ST_SE_SF_SG_EUlST_E0_NS1_11comp_targetILNS1_3genE0ELNS1_11target_archE4294967295ELNS1_3gpuE0ELNS1_3repE0EEENS1_38merge_mergepath_config_static_selectorELNS0_4arch9wavefront6targetE0EEEvSF_.num_vgpr, 32
	.set _ZN7rocprim17ROCPRIM_400000_NS6detail17trampoline_kernelINS0_14default_configENS1_38merge_sort_block_merge_config_selectorIiNS0_10empty_typeEEEZZNS1_27merge_sort_block_merge_implIS3_PiPS5_jNS1_19radix_merge_compareILb0ELb0EiNS0_19identity_decomposerEEEEE10hipError_tT0_T1_T2_jT3_P12ihipStream_tbPNSt15iterator_traitsISE_E10value_typeEPNSK_ISF_E10value_typeEPSG_NS1_7vsmem_tEENKUlT_SE_SF_SG_E_clIS8_S8_S9_S9_EESD_ST_SE_SF_SG_EUlST_E0_NS1_11comp_targetILNS1_3genE0ELNS1_11target_archE4294967295ELNS1_3gpuE0ELNS1_3repE0EEENS1_38merge_mergepath_config_static_selectorELNS0_4arch9wavefront6targetE0EEEvSF_.num_agpr, 0
	.set _ZN7rocprim17ROCPRIM_400000_NS6detail17trampoline_kernelINS0_14default_configENS1_38merge_sort_block_merge_config_selectorIiNS0_10empty_typeEEEZZNS1_27merge_sort_block_merge_implIS3_PiPS5_jNS1_19radix_merge_compareILb0ELb0EiNS0_19identity_decomposerEEEEE10hipError_tT0_T1_T2_jT3_P12ihipStream_tbPNSt15iterator_traitsISE_E10value_typeEPNSK_ISF_E10value_typeEPSG_NS1_7vsmem_tEENKUlT_SE_SF_SG_E_clIS8_S8_S9_S9_EESD_ST_SE_SF_SG_EUlST_E0_NS1_11comp_targetILNS1_3genE0ELNS1_11target_archE4294967295ELNS1_3gpuE0ELNS1_3repE0EEENS1_38merge_mergepath_config_static_selectorELNS0_4arch9wavefront6targetE0EEEvSF_.numbered_sgpr, 23
	.set _ZN7rocprim17ROCPRIM_400000_NS6detail17trampoline_kernelINS0_14default_configENS1_38merge_sort_block_merge_config_selectorIiNS0_10empty_typeEEEZZNS1_27merge_sort_block_merge_implIS3_PiPS5_jNS1_19radix_merge_compareILb0ELb0EiNS0_19identity_decomposerEEEEE10hipError_tT0_T1_T2_jT3_P12ihipStream_tbPNSt15iterator_traitsISE_E10value_typeEPNSK_ISF_E10value_typeEPSG_NS1_7vsmem_tEENKUlT_SE_SF_SG_E_clIS8_S8_S9_S9_EESD_ST_SE_SF_SG_EUlST_E0_NS1_11comp_targetILNS1_3genE0ELNS1_11target_archE4294967295ELNS1_3gpuE0ELNS1_3repE0EEENS1_38merge_mergepath_config_static_selectorELNS0_4arch9wavefront6targetE0EEEvSF_.num_named_barrier, 0
	.set _ZN7rocprim17ROCPRIM_400000_NS6detail17trampoline_kernelINS0_14default_configENS1_38merge_sort_block_merge_config_selectorIiNS0_10empty_typeEEEZZNS1_27merge_sort_block_merge_implIS3_PiPS5_jNS1_19radix_merge_compareILb0ELb0EiNS0_19identity_decomposerEEEEE10hipError_tT0_T1_T2_jT3_P12ihipStream_tbPNSt15iterator_traitsISE_E10value_typeEPNSK_ISF_E10value_typeEPSG_NS1_7vsmem_tEENKUlT_SE_SF_SG_E_clIS8_S8_S9_S9_EESD_ST_SE_SF_SG_EUlST_E0_NS1_11comp_targetILNS1_3genE0ELNS1_11target_archE4294967295ELNS1_3gpuE0ELNS1_3repE0EEENS1_38merge_mergepath_config_static_selectorELNS0_4arch9wavefront6targetE0EEEvSF_.private_seg_size, 0
	.set _ZN7rocprim17ROCPRIM_400000_NS6detail17trampoline_kernelINS0_14default_configENS1_38merge_sort_block_merge_config_selectorIiNS0_10empty_typeEEEZZNS1_27merge_sort_block_merge_implIS3_PiPS5_jNS1_19radix_merge_compareILb0ELb0EiNS0_19identity_decomposerEEEEE10hipError_tT0_T1_T2_jT3_P12ihipStream_tbPNSt15iterator_traitsISE_E10value_typeEPNSK_ISF_E10value_typeEPSG_NS1_7vsmem_tEENKUlT_SE_SF_SG_E_clIS8_S8_S9_S9_EESD_ST_SE_SF_SG_EUlST_E0_NS1_11comp_targetILNS1_3genE0ELNS1_11target_archE4294967295ELNS1_3gpuE0ELNS1_3repE0EEENS1_38merge_mergepath_config_static_selectorELNS0_4arch9wavefront6targetE0EEEvSF_.uses_vcc, 1
	.set _ZN7rocprim17ROCPRIM_400000_NS6detail17trampoline_kernelINS0_14default_configENS1_38merge_sort_block_merge_config_selectorIiNS0_10empty_typeEEEZZNS1_27merge_sort_block_merge_implIS3_PiPS5_jNS1_19radix_merge_compareILb0ELb0EiNS0_19identity_decomposerEEEEE10hipError_tT0_T1_T2_jT3_P12ihipStream_tbPNSt15iterator_traitsISE_E10value_typeEPNSK_ISF_E10value_typeEPSG_NS1_7vsmem_tEENKUlT_SE_SF_SG_E_clIS8_S8_S9_S9_EESD_ST_SE_SF_SG_EUlST_E0_NS1_11comp_targetILNS1_3genE0ELNS1_11target_archE4294967295ELNS1_3gpuE0ELNS1_3repE0EEENS1_38merge_mergepath_config_static_selectorELNS0_4arch9wavefront6targetE0EEEvSF_.uses_flat_scratch, 0
	.set _ZN7rocprim17ROCPRIM_400000_NS6detail17trampoline_kernelINS0_14default_configENS1_38merge_sort_block_merge_config_selectorIiNS0_10empty_typeEEEZZNS1_27merge_sort_block_merge_implIS3_PiPS5_jNS1_19radix_merge_compareILb0ELb0EiNS0_19identity_decomposerEEEEE10hipError_tT0_T1_T2_jT3_P12ihipStream_tbPNSt15iterator_traitsISE_E10value_typeEPNSK_ISF_E10value_typeEPSG_NS1_7vsmem_tEENKUlT_SE_SF_SG_E_clIS8_S8_S9_S9_EESD_ST_SE_SF_SG_EUlST_E0_NS1_11comp_targetILNS1_3genE0ELNS1_11target_archE4294967295ELNS1_3gpuE0ELNS1_3repE0EEENS1_38merge_mergepath_config_static_selectorELNS0_4arch9wavefront6targetE0EEEvSF_.has_dyn_sized_stack, 0
	.set _ZN7rocprim17ROCPRIM_400000_NS6detail17trampoline_kernelINS0_14default_configENS1_38merge_sort_block_merge_config_selectorIiNS0_10empty_typeEEEZZNS1_27merge_sort_block_merge_implIS3_PiPS5_jNS1_19radix_merge_compareILb0ELb0EiNS0_19identity_decomposerEEEEE10hipError_tT0_T1_T2_jT3_P12ihipStream_tbPNSt15iterator_traitsISE_E10value_typeEPNSK_ISF_E10value_typeEPSG_NS1_7vsmem_tEENKUlT_SE_SF_SG_E_clIS8_S8_S9_S9_EESD_ST_SE_SF_SG_EUlST_E0_NS1_11comp_targetILNS1_3genE0ELNS1_11target_archE4294967295ELNS1_3gpuE0ELNS1_3repE0EEENS1_38merge_mergepath_config_static_selectorELNS0_4arch9wavefront6targetE0EEEvSF_.has_recursion, 0
	.set _ZN7rocprim17ROCPRIM_400000_NS6detail17trampoline_kernelINS0_14default_configENS1_38merge_sort_block_merge_config_selectorIiNS0_10empty_typeEEEZZNS1_27merge_sort_block_merge_implIS3_PiPS5_jNS1_19radix_merge_compareILb0ELb0EiNS0_19identity_decomposerEEEEE10hipError_tT0_T1_T2_jT3_P12ihipStream_tbPNSt15iterator_traitsISE_E10value_typeEPNSK_ISF_E10value_typeEPSG_NS1_7vsmem_tEENKUlT_SE_SF_SG_E_clIS8_S8_S9_S9_EESD_ST_SE_SF_SG_EUlST_E0_NS1_11comp_targetILNS1_3genE0ELNS1_11target_archE4294967295ELNS1_3gpuE0ELNS1_3repE0EEENS1_38merge_mergepath_config_static_selectorELNS0_4arch9wavefront6targetE0EEEvSF_.has_indirect_call, 0
	.section	.AMDGPU.csdata,"",@progbits
; Kernel info:
; codeLenInByte = 4156
; TotalNumSgprs: 25
; NumVgprs: 32
; ScratchSize: 0
; MemoryBound: 0
; FloatMode: 240
; IeeeMode: 1
; LDSByteSize: 4224 bytes/workgroup (compile time only)
; SGPRBlocks: 0
; VGPRBlocks: 1
; NumSGPRsForWavesPerEU: 25
; NumVGPRsForWavesPerEU: 32
; NamedBarCnt: 0
; Occupancy: 16
; WaveLimiterHint : 1
; COMPUTE_PGM_RSRC2:SCRATCH_EN: 0
; COMPUTE_PGM_RSRC2:USER_SGPR: 2
; COMPUTE_PGM_RSRC2:TRAP_HANDLER: 0
; COMPUTE_PGM_RSRC2:TGID_X_EN: 1
; COMPUTE_PGM_RSRC2:TGID_Y_EN: 1
; COMPUTE_PGM_RSRC2:TGID_Z_EN: 1
; COMPUTE_PGM_RSRC2:TIDIG_COMP_CNT: 0
	.section	.text._ZN7rocprim17ROCPRIM_400000_NS6detail17trampoline_kernelINS0_14default_configENS1_38merge_sort_block_merge_config_selectorIiNS0_10empty_typeEEEZZNS1_27merge_sort_block_merge_implIS3_PiPS5_jNS1_19radix_merge_compareILb0ELb0EiNS0_19identity_decomposerEEEEE10hipError_tT0_T1_T2_jT3_P12ihipStream_tbPNSt15iterator_traitsISE_E10value_typeEPNSK_ISF_E10value_typeEPSG_NS1_7vsmem_tEENKUlT_SE_SF_SG_E_clIS8_S8_S9_S9_EESD_ST_SE_SF_SG_EUlST_E0_NS1_11comp_targetILNS1_3genE10ELNS1_11target_archE1201ELNS1_3gpuE5ELNS1_3repE0EEENS1_38merge_mergepath_config_static_selectorELNS0_4arch9wavefront6targetE0EEEvSF_,"axG",@progbits,_ZN7rocprim17ROCPRIM_400000_NS6detail17trampoline_kernelINS0_14default_configENS1_38merge_sort_block_merge_config_selectorIiNS0_10empty_typeEEEZZNS1_27merge_sort_block_merge_implIS3_PiPS5_jNS1_19radix_merge_compareILb0ELb0EiNS0_19identity_decomposerEEEEE10hipError_tT0_T1_T2_jT3_P12ihipStream_tbPNSt15iterator_traitsISE_E10value_typeEPNSK_ISF_E10value_typeEPSG_NS1_7vsmem_tEENKUlT_SE_SF_SG_E_clIS8_S8_S9_S9_EESD_ST_SE_SF_SG_EUlST_E0_NS1_11comp_targetILNS1_3genE10ELNS1_11target_archE1201ELNS1_3gpuE5ELNS1_3repE0EEENS1_38merge_mergepath_config_static_selectorELNS0_4arch9wavefront6targetE0EEEvSF_,comdat
	.protected	_ZN7rocprim17ROCPRIM_400000_NS6detail17trampoline_kernelINS0_14default_configENS1_38merge_sort_block_merge_config_selectorIiNS0_10empty_typeEEEZZNS1_27merge_sort_block_merge_implIS3_PiPS5_jNS1_19radix_merge_compareILb0ELb0EiNS0_19identity_decomposerEEEEE10hipError_tT0_T1_T2_jT3_P12ihipStream_tbPNSt15iterator_traitsISE_E10value_typeEPNSK_ISF_E10value_typeEPSG_NS1_7vsmem_tEENKUlT_SE_SF_SG_E_clIS8_S8_S9_S9_EESD_ST_SE_SF_SG_EUlST_E0_NS1_11comp_targetILNS1_3genE10ELNS1_11target_archE1201ELNS1_3gpuE5ELNS1_3repE0EEENS1_38merge_mergepath_config_static_selectorELNS0_4arch9wavefront6targetE0EEEvSF_ ; -- Begin function _ZN7rocprim17ROCPRIM_400000_NS6detail17trampoline_kernelINS0_14default_configENS1_38merge_sort_block_merge_config_selectorIiNS0_10empty_typeEEEZZNS1_27merge_sort_block_merge_implIS3_PiPS5_jNS1_19radix_merge_compareILb0ELb0EiNS0_19identity_decomposerEEEEE10hipError_tT0_T1_T2_jT3_P12ihipStream_tbPNSt15iterator_traitsISE_E10value_typeEPNSK_ISF_E10value_typeEPSG_NS1_7vsmem_tEENKUlT_SE_SF_SG_E_clIS8_S8_S9_S9_EESD_ST_SE_SF_SG_EUlST_E0_NS1_11comp_targetILNS1_3genE10ELNS1_11target_archE1201ELNS1_3gpuE5ELNS1_3repE0EEENS1_38merge_mergepath_config_static_selectorELNS0_4arch9wavefront6targetE0EEEvSF_
	.globl	_ZN7rocprim17ROCPRIM_400000_NS6detail17trampoline_kernelINS0_14default_configENS1_38merge_sort_block_merge_config_selectorIiNS0_10empty_typeEEEZZNS1_27merge_sort_block_merge_implIS3_PiPS5_jNS1_19radix_merge_compareILb0ELb0EiNS0_19identity_decomposerEEEEE10hipError_tT0_T1_T2_jT3_P12ihipStream_tbPNSt15iterator_traitsISE_E10value_typeEPNSK_ISF_E10value_typeEPSG_NS1_7vsmem_tEENKUlT_SE_SF_SG_E_clIS8_S8_S9_S9_EESD_ST_SE_SF_SG_EUlST_E0_NS1_11comp_targetILNS1_3genE10ELNS1_11target_archE1201ELNS1_3gpuE5ELNS1_3repE0EEENS1_38merge_mergepath_config_static_selectorELNS0_4arch9wavefront6targetE0EEEvSF_
	.p2align	8
	.type	_ZN7rocprim17ROCPRIM_400000_NS6detail17trampoline_kernelINS0_14default_configENS1_38merge_sort_block_merge_config_selectorIiNS0_10empty_typeEEEZZNS1_27merge_sort_block_merge_implIS3_PiPS5_jNS1_19radix_merge_compareILb0ELb0EiNS0_19identity_decomposerEEEEE10hipError_tT0_T1_T2_jT3_P12ihipStream_tbPNSt15iterator_traitsISE_E10value_typeEPNSK_ISF_E10value_typeEPSG_NS1_7vsmem_tEENKUlT_SE_SF_SG_E_clIS8_S8_S9_S9_EESD_ST_SE_SF_SG_EUlST_E0_NS1_11comp_targetILNS1_3genE10ELNS1_11target_archE1201ELNS1_3gpuE5ELNS1_3repE0EEENS1_38merge_mergepath_config_static_selectorELNS0_4arch9wavefront6targetE0EEEvSF_,@function
_ZN7rocprim17ROCPRIM_400000_NS6detail17trampoline_kernelINS0_14default_configENS1_38merge_sort_block_merge_config_selectorIiNS0_10empty_typeEEEZZNS1_27merge_sort_block_merge_implIS3_PiPS5_jNS1_19radix_merge_compareILb0ELb0EiNS0_19identity_decomposerEEEEE10hipError_tT0_T1_T2_jT3_P12ihipStream_tbPNSt15iterator_traitsISE_E10value_typeEPNSK_ISF_E10value_typeEPSG_NS1_7vsmem_tEENKUlT_SE_SF_SG_E_clIS8_S8_S9_S9_EESD_ST_SE_SF_SG_EUlST_E0_NS1_11comp_targetILNS1_3genE10ELNS1_11target_archE1201ELNS1_3gpuE5ELNS1_3repE0EEENS1_38merge_mergepath_config_static_selectorELNS0_4arch9wavefront6targetE0EEEvSF_: ; @_ZN7rocprim17ROCPRIM_400000_NS6detail17trampoline_kernelINS0_14default_configENS1_38merge_sort_block_merge_config_selectorIiNS0_10empty_typeEEEZZNS1_27merge_sort_block_merge_implIS3_PiPS5_jNS1_19radix_merge_compareILb0ELb0EiNS0_19identity_decomposerEEEEE10hipError_tT0_T1_T2_jT3_P12ihipStream_tbPNSt15iterator_traitsISE_E10value_typeEPNSK_ISF_E10value_typeEPSG_NS1_7vsmem_tEENKUlT_SE_SF_SG_E_clIS8_S8_S9_S9_EESD_ST_SE_SF_SG_EUlST_E0_NS1_11comp_targetILNS1_3genE10ELNS1_11target_archE1201ELNS1_3gpuE5ELNS1_3repE0EEENS1_38merge_mergepath_config_static_selectorELNS0_4arch9wavefront6targetE0EEEvSF_
; %bb.0:
	.section	.rodata,"a",@progbits
	.p2align	6, 0x0
	.amdhsa_kernel _ZN7rocprim17ROCPRIM_400000_NS6detail17trampoline_kernelINS0_14default_configENS1_38merge_sort_block_merge_config_selectorIiNS0_10empty_typeEEEZZNS1_27merge_sort_block_merge_implIS3_PiPS5_jNS1_19radix_merge_compareILb0ELb0EiNS0_19identity_decomposerEEEEE10hipError_tT0_T1_T2_jT3_P12ihipStream_tbPNSt15iterator_traitsISE_E10value_typeEPNSK_ISF_E10value_typeEPSG_NS1_7vsmem_tEENKUlT_SE_SF_SG_E_clIS8_S8_S9_S9_EESD_ST_SE_SF_SG_EUlST_E0_NS1_11comp_targetILNS1_3genE10ELNS1_11target_archE1201ELNS1_3gpuE5ELNS1_3repE0EEENS1_38merge_mergepath_config_static_selectorELNS0_4arch9wavefront6targetE0EEEvSF_
		.amdhsa_group_segment_fixed_size 0
		.amdhsa_private_segment_fixed_size 0
		.amdhsa_kernarg_size 64
		.amdhsa_user_sgpr_count 2
		.amdhsa_user_sgpr_dispatch_ptr 0
		.amdhsa_user_sgpr_queue_ptr 0
		.amdhsa_user_sgpr_kernarg_segment_ptr 1
		.amdhsa_user_sgpr_dispatch_id 0
		.amdhsa_user_sgpr_kernarg_preload_length 0
		.amdhsa_user_sgpr_kernarg_preload_offset 0
		.amdhsa_user_sgpr_private_segment_size 0
		.amdhsa_wavefront_size32 1
		.amdhsa_uses_dynamic_stack 0
		.amdhsa_enable_private_segment 0
		.amdhsa_system_sgpr_workgroup_id_x 1
		.amdhsa_system_sgpr_workgroup_id_y 0
		.amdhsa_system_sgpr_workgroup_id_z 0
		.amdhsa_system_sgpr_workgroup_info 0
		.amdhsa_system_vgpr_workitem_id 0
		.amdhsa_next_free_vgpr 1
		.amdhsa_next_free_sgpr 1
		.amdhsa_named_barrier_count 0
		.amdhsa_reserve_vcc 0
		.amdhsa_float_round_mode_32 0
		.amdhsa_float_round_mode_16_64 0
		.amdhsa_float_denorm_mode_32 3
		.amdhsa_float_denorm_mode_16_64 3
		.amdhsa_fp16_overflow 0
		.amdhsa_memory_ordered 1
		.amdhsa_forward_progress 1
		.amdhsa_inst_pref_size 0
		.amdhsa_round_robin_scheduling 0
		.amdhsa_exception_fp_ieee_invalid_op 0
		.amdhsa_exception_fp_denorm_src 0
		.amdhsa_exception_fp_ieee_div_zero 0
		.amdhsa_exception_fp_ieee_overflow 0
		.amdhsa_exception_fp_ieee_underflow 0
		.amdhsa_exception_fp_ieee_inexact 0
		.amdhsa_exception_int_div_zero 0
	.end_amdhsa_kernel
	.section	.text._ZN7rocprim17ROCPRIM_400000_NS6detail17trampoline_kernelINS0_14default_configENS1_38merge_sort_block_merge_config_selectorIiNS0_10empty_typeEEEZZNS1_27merge_sort_block_merge_implIS3_PiPS5_jNS1_19radix_merge_compareILb0ELb0EiNS0_19identity_decomposerEEEEE10hipError_tT0_T1_T2_jT3_P12ihipStream_tbPNSt15iterator_traitsISE_E10value_typeEPNSK_ISF_E10value_typeEPSG_NS1_7vsmem_tEENKUlT_SE_SF_SG_E_clIS8_S8_S9_S9_EESD_ST_SE_SF_SG_EUlST_E0_NS1_11comp_targetILNS1_3genE10ELNS1_11target_archE1201ELNS1_3gpuE5ELNS1_3repE0EEENS1_38merge_mergepath_config_static_selectorELNS0_4arch9wavefront6targetE0EEEvSF_,"axG",@progbits,_ZN7rocprim17ROCPRIM_400000_NS6detail17trampoline_kernelINS0_14default_configENS1_38merge_sort_block_merge_config_selectorIiNS0_10empty_typeEEEZZNS1_27merge_sort_block_merge_implIS3_PiPS5_jNS1_19radix_merge_compareILb0ELb0EiNS0_19identity_decomposerEEEEE10hipError_tT0_T1_T2_jT3_P12ihipStream_tbPNSt15iterator_traitsISE_E10value_typeEPNSK_ISF_E10value_typeEPSG_NS1_7vsmem_tEENKUlT_SE_SF_SG_E_clIS8_S8_S9_S9_EESD_ST_SE_SF_SG_EUlST_E0_NS1_11comp_targetILNS1_3genE10ELNS1_11target_archE1201ELNS1_3gpuE5ELNS1_3repE0EEENS1_38merge_mergepath_config_static_selectorELNS0_4arch9wavefront6targetE0EEEvSF_,comdat
.Lfunc_end903:
	.size	_ZN7rocprim17ROCPRIM_400000_NS6detail17trampoline_kernelINS0_14default_configENS1_38merge_sort_block_merge_config_selectorIiNS0_10empty_typeEEEZZNS1_27merge_sort_block_merge_implIS3_PiPS5_jNS1_19radix_merge_compareILb0ELb0EiNS0_19identity_decomposerEEEEE10hipError_tT0_T1_T2_jT3_P12ihipStream_tbPNSt15iterator_traitsISE_E10value_typeEPNSK_ISF_E10value_typeEPSG_NS1_7vsmem_tEENKUlT_SE_SF_SG_E_clIS8_S8_S9_S9_EESD_ST_SE_SF_SG_EUlST_E0_NS1_11comp_targetILNS1_3genE10ELNS1_11target_archE1201ELNS1_3gpuE5ELNS1_3repE0EEENS1_38merge_mergepath_config_static_selectorELNS0_4arch9wavefront6targetE0EEEvSF_, .Lfunc_end903-_ZN7rocprim17ROCPRIM_400000_NS6detail17trampoline_kernelINS0_14default_configENS1_38merge_sort_block_merge_config_selectorIiNS0_10empty_typeEEEZZNS1_27merge_sort_block_merge_implIS3_PiPS5_jNS1_19radix_merge_compareILb0ELb0EiNS0_19identity_decomposerEEEEE10hipError_tT0_T1_T2_jT3_P12ihipStream_tbPNSt15iterator_traitsISE_E10value_typeEPNSK_ISF_E10value_typeEPSG_NS1_7vsmem_tEENKUlT_SE_SF_SG_E_clIS8_S8_S9_S9_EESD_ST_SE_SF_SG_EUlST_E0_NS1_11comp_targetILNS1_3genE10ELNS1_11target_archE1201ELNS1_3gpuE5ELNS1_3repE0EEENS1_38merge_mergepath_config_static_selectorELNS0_4arch9wavefront6targetE0EEEvSF_
                                        ; -- End function
	.set _ZN7rocprim17ROCPRIM_400000_NS6detail17trampoline_kernelINS0_14default_configENS1_38merge_sort_block_merge_config_selectorIiNS0_10empty_typeEEEZZNS1_27merge_sort_block_merge_implIS3_PiPS5_jNS1_19radix_merge_compareILb0ELb0EiNS0_19identity_decomposerEEEEE10hipError_tT0_T1_T2_jT3_P12ihipStream_tbPNSt15iterator_traitsISE_E10value_typeEPNSK_ISF_E10value_typeEPSG_NS1_7vsmem_tEENKUlT_SE_SF_SG_E_clIS8_S8_S9_S9_EESD_ST_SE_SF_SG_EUlST_E0_NS1_11comp_targetILNS1_3genE10ELNS1_11target_archE1201ELNS1_3gpuE5ELNS1_3repE0EEENS1_38merge_mergepath_config_static_selectorELNS0_4arch9wavefront6targetE0EEEvSF_.num_vgpr, 0
	.set _ZN7rocprim17ROCPRIM_400000_NS6detail17trampoline_kernelINS0_14default_configENS1_38merge_sort_block_merge_config_selectorIiNS0_10empty_typeEEEZZNS1_27merge_sort_block_merge_implIS3_PiPS5_jNS1_19radix_merge_compareILb0ELb0EiNS0_19identity_decomposerEEEEE10hipError_tT0_T1_T2_jT3_P12ihipStream_tbPNSt15iterator_traitsISE_E10value_typeEPNSK_ISF_E10value_typeEPSG_NS1_7vsmem_tEENKUlT_SE_SF_SG_E_clIS8_S8_S9_S9_EESD_ST_SE_SF_SG_EUlST_E0_NS1_11comp_targetILNS1_3genE10ELNS1_11target_archE1201ELNS1_3gpuE5ELNS1_3repE0EEENS1_38merge_mergepath_config_static_selectorELNS0_4arch9wavefront6targetE0EEEvSF_.num_agpr, 0
	.set _ZN7rocprim17ROCPRIM_400000_NS6detail17trampoline_kernelINS0_14default_configENS1_38merge_sort_block_merge_config_selectorIiNS0_10empty_typeEEEZZNS1_27merge_sort_block_merge_implIS3_PiPS5_jNS1_19radix_merge_compareILb0ELb0EiNS0_19identity_decomposerEEEEE10hipError_tT0_T1_T2_jT3_P12ihipStream_tbPNSt15iterator_traitsISE_E10value_typeEPNSK_ISF_E10value_typeEPSG_NS1_7vsmem_tEENKUlT_SE_SF_SG_E_clIS8_S8_S9_S9_EESD_ST_SE_SF_SG_EUlST_E0_NS1_11comp_targetILNS1_3genE10ELNS1_11target_archE1201ELNS1_3gpuE5ELNS1_3repE0EEENS1_38merge_mergepath_config_static_selectorELNS0_4arch9wavefront6targetE0EEEvSF_.numbered_sgpr, 0
	.set _ZN7rocprim17ROCPRIM_400000_NS6detail17trampoline_kernelINS0_14default_configENS1_38merge_sort_block_merge_config_selectorIiNS0_10empty_typeEEEZZNS1_27merge_sort_block_merge_implIS3_PiPS5_jNS1_19radix_merge_compareILb0ELb0EiNS0_19identity_decomposerEEEEE10hipError_tT0_T1_T2_jT3_P12ihipStream_tbPNSt15iterator_traitsISE_E10value_typeEPNSK_ISF_E10value_typeEPSG_NS1_7vsmem_tEENKUlT_SE_SF_SG_E_clIS8_S8_S9_S9_EESD_ST_SE_SF_SG_EUlST_E0_NS1_11comp_targetILNS1_3genE10ELNS1_11target_archE1201ELNS1_3gpuE5ELNS1_3repE0EEENS1_38merge_mergepath_config_static_selectorELNS0_4arch9wavefront6targetE0EEEvSF_.num_named_barrier, 0
	.set _ZN7rocprim17ROCPRIM_400000_NS6detail17trampoline_kernelINS0_14default_configENS1_38merge_sort_block_merge_config_selectorIiNS0_10empty_typeEEEZZNS1_27merge_sort_block_merge_implIS3_PiPS5_jNS1_19radix_merge_compareILb0ELb0EiNS0_19identity_decomposerEEEEE10hipError_tT0_T1_T2_jT3_P12ihipStream_tbPNSt15iterator_traitsISE_E10value_typeEPNSK_ISF_E10value_typeEPSG_NS1_7vsmem_tEENKUlT_SE_SF_SG_E_clIS8_S8_S9_S9_EESD_ST_SE_SF_SG_EUlST_E0_NS1_11comp_targetILNS1_3genE10ELNS1_11target_archE1201ELNS1_3gpuE5ELNS1_3repE0EEENS1_38merge_mergepath_config_static_selectorELNS0_4arch9wavefront6targetE0EEEvSF_.private_seg_size, 0
	.set _ZN7rocprim17ROCPRIM_400000_NS6detail17trampoline_kernelINS0_14default_configENS1_38merge_sort_block_merge_config_selectorIiNS0_10empty_typeEEEZZNS1_27merge_sort_block_merge_implIS3_PiPS5_jNS1_19radix_merge_compareILb0ELb0EiNS0_19identity_decomposerEEEEE10hipError_tT0_T1_T2_jT3_P12ihipStream_tbPNSt15iterator_traitsISE_E10value_typeEPNSK_ISF_E10value_typeEPSG_NS1_7vsmem_tEENKUlT_SE_SF_SG_E_clIS8_S8_S9_S9_EESD_ST_SE_SF_SG_EUlST_E0_NS1_11comp_targetILNS1_3genE10ELNS1_11target_archE1201ELNS1_3gpuE5ELNS1_3repE0EEENS1_38merge_mergepath_config_static_selectorELNS0_4arch9wavefront6targetE0EEEvSF_.uses_vcc, 0
	.set _ZN7rocprim17ROCPRIM_400000_NS6detail17trampoline_kernelINS0_14default_configENS1_38merge_sort_block_merge_config_selectorIiNS0_10empty_typeEEEZZNS1_27merge_sort_block_merge_implIS3_PiPS5_jNS1_19radix_merge_compareILb0ELb0EiNS0_19identity_decomposerEEEEE10hipError_tT0_T1_T2_jT3_P12ihipStream_tbPNSt15iterator_traitsISE_E10value_typeEPNSK_ISF_E10value_typeEPSG_NS1_7vsmem_tEENKUlT_SE_SF_SG_E_clIS8_S8_S9_S9_EESD_ST_SE_SF_SG_EUlST_E0_NS1_11comp_targetILNS1_3genE10ELNS1_11target_archE1201ELNS1_3gpuE5ELNS1_3repE0EEENS1_38merge_mergepath_config_static_selectorELNS0_4arch9wavefront6targetE0EEEvSF_.uses_flat_scratch, 0
	.set _ZN7rocprim17ROCPRIM_400000_NS6detail17trampoline_kernelINS0_14default_configENS1_38merge_sort_block_merge_config_selectorIiNS0_10empty_typeEEEZZNS1_27merge_sort_block_merge_implIS3_PiPS5_jNS1_19radix_merge_compareILb0ELb0EiNS0_19identity_decomposerEEEEE10hipError_tT0_T1_T2_jT3_P12ihipStream_tbPNSt15iterator_traitsISE_E10value_typeEPNSK_ISF_E10value_typeEPSG_NS1_7vsmem_tEENKUlT_SE_SF_SG_E_clIS8_S8_S9_S9_EESD_ST_SE_SF_SG_EUlST_E0_NS1_11comp_targetILNS1_3genE10ELNS1_11target_archE1201ELNS1_3gpuE5ELNS1_3repE0EEENS1_38merge_mergepath_config_static_selectorELNS0_4arch9wavefront6targetE0EEEvSF_.has_dyn_sized_stack, 0
	.set _ZN7rocprim17ROCPRIM_400000_NS6detail17trampoline_kernelINS0_14default_configENS1_38merge_sort_block_merge_config_selectorIiNS0_10empty_typeEEEZZNS1_27merge_sort_block_merge_implIS3_PiPS5_jNS1_19radix_merge_compareILb0ELb0EiNS0_19identity_decomposerEEEEE10hipError_tT0_T1_T2_jT3_P12ihipStream_tbPNSt15iterator_traitsISE_E10value_typeEPNSK_ISF_E10value_typeEPSG_NS1_7vsmem_tEENKUlT_SE_SF_SG_E_clIS8_S8_S9_S9_EESD_ST_SE_SF_SG_EUlST_E0_NS1_11comp_targetILNS1_3genE10ELNS1_11target_archE1201ELNS1_3gpuE5ELNS1_3repE0EEENS1_38merge_mergepath_config_static_selectorELNS0_4arch9wavefront6targetE0EEEvSF_.has_recursion, 0
	.set _ZN7rocprim17ROCPRIM_400000_NS6detail17trampoline_kernelINS0_14default_configENS1_38merge_sort_block_merge_config_selectorIiNS0_10empty_typeEEEZZNS1_27merge_sort_block_merge_implIS3_PiPS5_jNS1_19radix_merge_compareILb0ELb0EiNS0_19identity_decomposerEEEEE10hipError_tT0_T1_T2_jT3_P12ihipStream_tbPNSt15iterator_traitsISE_E10value_typeEPNSK_ISF_E10value_typeEPSG_NS1_7vsmem_tEENKUlT_SE_SF_SG_E_clIS8_S8_S9_S9_EESD_ST_SE_SF_SG_EUlST_E0_NS1_11comp_targetILNS1_3genE10ELNS1_11target_archE1201ELNS1_3gpuE5ELNS1_3repE0EEENS1_38merge_mergepath_config_static_selectorELNS0_4arch9wavefront6targetE0EEEvSF_.has_indirect_call, 0
	.section	.AMDGPU.csdata,"",@progbits
; Kernel info:
; codeLenInByte = 0
; TotalNumSgprs: 0
; NumVgprs: 0
; ScratchSize: 0
; MemoryBound: 0
; FloatMode: 240
; IeeeMode: 1
; LDSByteSize: 0 bytes/workgroup (compile time only)
; SGPRBlocks: 0
; VGPRBlocks: 0
; NumSGPRsForWavesPerEU: 1
; NumVGPRsForWavesPerEU: 1
; NamedBarCnt: 0
; Occupancy: 16
; WaveLimiterHint : 0
; COMPUTE_PGM_RSRC2:SCRATCH_EN: 0
; COMPUTE_PGM_RSRC2:USER_SGPR: 2
; COMPUTE_PGM_RSRC2:TRAP_HANDLER: 0
; COMPUTE_PGM_RSRC2:TGID_X_EN: 1
; COMPUTE_PGM_RSRC2:TGID_Y_EN: 0
; COMPUTE_PGM_RSRC2:TGID_Z_EN: 0
; COMPUTE_PGM_RSRC2:TIDIG_COMP_CNT: 0
	.section	.text._ZN7rocprim17ROCPRIM_400000_NS6detail17trampoline_kernelINS0_14default_configENS1_38merge_sort_block_merge_config_selectorIiNS0_10empty_typeEEEZZNS1_27merge_sort_block_merge_implIS3_PiPS5_jNS1_19radix_merge_compareILb0ELb0EiNS0_19identity_decomposerEEEEE10hipError_tT0_T1_T2_jT3_P12ihipStream_tbPNSt15iterator_traitsISE_E10value_typeEPNSK_ISF_E10value_typeEPSG_NS1_7vsmem_tEENKUlT_SE_SF_SG_E_clIS8_S8_S9_S9_EESD_ST_SE_SF_SG_EUlST_E0_NS1_11comp_targetILNS1_3genE5ELNS1_11target_archE942ELNS1_3gpuE9ELNS1_3repE0EEENS1_38merge_mergepath_config_static_selectorELNS0_4arch9wavefront6targetE0EEEvSF_,"axG",@progbits,_ZN7rocprim17ROCPRIM_400000_NS6detail17trampoline_kernelINS0_14default_configENS1_38merge_sort_block_merge_config_selectorIiNS0_10empty_typeEEEZZNS1_27merge_sort_block_merge_implIS3_PiPS5_jNS1_19radix_merge_compareILb0ELb0EiNS0_19identity_decomposerEEEEE10hipError_tT0_T1_T2_jT3_P12ihipStream_tbPNSt15iterator_traitsISE_E10value_typeEPNSK_ISF_E10value_typeEPSG_NS1_7vsmem_tEENKUlT_SE_SF_SG_E_clIS8_S8_S9_S9_EESD_ST_SE_SF_SG_EUlST_E0_NS1_11comp_targetILNS1_3genE5ELNS1_11target_archE942ELNS1_3gpuE9ELNS1_3repE0EEENS1_38merge_mergepath_config_static_selectorELNS0_4arch9wavefront6targetE0EEEvSF_,comdat
	.protected	_ZN7rocprim17ROCPRIM_400000_NS6detail17trampoline_kernelINS0_14default_configENS1_38merge_sort_block_merge_config_selectorIiNS0_10empty_typeEEEZZNS1_27merge_sort_block_merge_implIS3_PiPS5_jNS1_19radix_merge_compareILb0ELb0EiNS0_19identity_decomposerEEEEE10hipError_tT0_T1_T2_jT3_P12ihipStream_tbPNSt15iterator_traitsISE_E10value_typeEPNSK_ISF_E10value_typeEPSG_NS1_7vsmem_tEENKUlT_SE_SF_SG_E_clIS8_S8_S9_S9_EESD_ST_SE_SF_SG_EUlST_E0_NS1_11comp_targetILNS1_3genE5ELNS1_11target_archE942ELNS1_3gpuE9ELNS1_3repE0EEENS1_38merge_mergepath_config_static_selectorELNS0_4arch9wavefront6targetE0EEEvSF_ ; -- Begin function _ZN7rocprim17ROCPRIM_400000_NS6detail17trampoline_kernelINS0_14default_configENS1_38merge_sort_block_merge_config_selectorIiNS0_10empty_typeEEEZZNS1_27merge_sort_block_merge_implIS3_PiPS5_jNS1_19radix_merge_compareILb0ELb0EiNS0_19identity_decomposerEEEEE10hipError_tT0_T1_T2_jT3_P12ihipStream_tbPNSt15iterator_traitsISE_E10value_typeEPNSK_ISF_E10value_typeEPSG_NS1_7vsmem_tEENKUlT_SE_SF_SG_E_clIS8_S8_S9_S9_EESD_ST_SE_SF_SG_EUlST_E0_NS1_11comp_targetILNS1_3genE5ELNS1_11target_archE942ELNS1_3gpuE9ELNS1_3repE0EEENS1_38merge_mergepath_config_static_selectorELNS0_4arch9wavefront6targetE0EEEvSF_
	.globl	_ZN7rocprim17ROCPRIM_400000_NS6detail17trampoline_kernelINS0_14default_configENS1_38merge_sort_block_merge_config_selectorIiNS0_10empty_typeEEEZZNS1_27merge_sort_block_merge_implIS3_PiPS5_jNS1_19radix_merge_compareILb0ELb0EiNS0_19identity_decomposerEEEEE10hipError_tT0_T1_T2_jT3_P12ihipStream_tbPNSt15iterator_traitsISE_E10value_typeEPNSK_ISF_E10value_typeEPSG_NS1_7vsmem_tEENKUlT_SE_SF_SG_E_clIS8_S8_S9_S9_EESD_ST_SE_SF_SG_EUlST_E0_NS1_11comp_targetILNS1_3genE5ELNS1_11target_archE942ELNS1_3gpuE9ELNS1_3repE0EEENS1_38merge_mergepath_config_static_selectorELNS0_4arch9wavefront6targetE0EEEvSF_
	.p2align	8
	.type	_ZN7rocprim17ROCPRIM_400000_NS6detail17trampoline_kernelINS0_14default_configENS1_38merge_sort_block_merge_config_selectorIiNS0_10empty_typeEEEZZNS1_27merge_sort_block_merge_implIS3_PiPS5_jNS1_19radix_merge_compareILb0ELb0EiNS0_19identity_decomposerEEEEE10hipError_tT0_T1_T2_jT3_P12ihipStream_tbPNSt15iterator_traitsISE_E10value_typeEPNSK_ISF_E10value_typeEPSG_NS1_7vsmem_tEENKUlT_SE_SF_SG_E_clIS8_S8_S9_S9_EESD_ST_SE_SF_SG_EUlST_E0_NS1_11comp_targetILNS1_3genE5ELNS1_11target_archE942ELNS1_3gpuE9ELNS1_3repE0EEENS1_38merge_mergepath_config_static_selectorELNS0_4arch9wavefront6targetE0EEEvSF_,@function
_ZN7rocprim17ROCPRIM_400000_NS6detail17trampoline_kernelINS0_14default_configENS1_38merge_sort_block_merge_config_selectorIiNS0_10empty_typeEEEZZNS1_27merge_sort_block_merge_implIS3_PiPS5_jNS1_19radix_merge_compareILb0ELb0EiNS0_19identity_decomposerEEEEE10hipError_tT0_T1_T2_jT3_P12ihipStream_tbPNSt15iterator_traitsISE_E10value_typeEPNSK_ISF_E10value_typeEPSG_NS1_7vsmem_tEENKUlT_SE_SF_SG_E_clIS8_S8_S9_S9_EESD_ST_SE_SF_SG_EUlST_E0_NS1_11comp_targetILNS1_3genE5ELNS1_11target_archE942ELNS1_3gpuE9ELNS1_3repE0EEENS1_38merge_mergepath_config_static_selectorELNS0_4arch9wavefront6targetE0EEEvSF_: ; @_ZN7rocprim17ROCPRIM_400000_NS6detail17trampoline_kernelINS0_14default_configENS1_38merge_sort_block_merge_config_selectorIiNS0_10empty_typeEEEZZNS1_27merge_sort_block_merge_implIS3_PiPS5_jNS1_19radix_merge_compareILb0ELb0EiNS0_19identity_decomposerEEEEE10hipError_tT0_T1_T2_jT3_P12ihipStream_tbPNSt15iterator_traitsISE_E10value_typeEPNSK_ISF_E10value_typeEPSG_NS1_7vsmem_tEENKUlT_SE_SF_SG_E_clIS8_S8_S9_S9_EESD_ST_SE_SF_SG_EUlST_E0_NS1_11comp_targetILNS1_3genE5ELNS1_11target_archE942ELNS1_3gpuE9ELNS1_3repE0EEENS1_38merge_mergepath_config_static_selectorELNS0_4arch9wavefront6targetE0EEEvSF_
; %bb.0:
	.section	.rodata,"a",@progbits
	.p2align	6, 0x0
	.amdhsa_kernel _ZN7rocprim17ROCPRIM_400000_NS6detail17trampoline_kernelINS0_14default_configENS1_38merge_sort_block_merge_config_selectorIiNS0_10empty_typeEEEZZNS1_27merge_sort_block_merge_implIS3_PiPS5_jNS1_19radix_merge_compareILb0ELb0EiNS0_19identity_decomposerEEEEE10hipError_tT0_T1_T2_jT3_P12ihipStream_tbPNSt15iterator_traitsISE_E10value_typeEPNSK_ISF_E10value_typeEPSG_NS1_7vsmem_tEENKUlT_SE_SF_SG_E_clIS8_S8_S9_S9_EESD_ST_SE_SF_SG_EUlST_E0_NS1_11comp_targetILNS1_3genE5ELNS1_11target_archE942ELNS1_3gpuE9ELNS1_3repE0EEENS1_38merge_mergepath_config_static_selectorELNS0_4arch9wavefront6targetE0EEEvSF_
		.amdhsa_group_segment_fixed_size 0
		.amdhsa_private_segment_fixed_size 0
		.amdhsa_kernarg_size 64
		.amdhsa_user_sgpr_count 2
		.amdhsa_user_sgpr_dispatch_ptr 0
		.amdhsa_user_sgpr_queue_ptr 0
		.amdhsa_user_sgpr_kernarg_segment_ptr 1
		.amdhsa_user_sgpr_dispatch_id 0
		.amdhsa_user_sgpr_kernarg_preload_length 0
		.amdhsa_user_sgpr_kernarg_preload_offset 0
		.amdhsa_user_sgpr_private_segment_size 0
		.amdhsa_wavefront_size32 1
		.amdhsa_uses_dynamic_stack 0
		.amdhsa_enable_private_segment 0
		.amdhsa_system_sgpr_workgroup_id_x 1
		.amdhsa_system_sgpr_workgroup_id_y 0
		.amdhsa_system_sgpr_workgroup_id_z 0
		.amdhsa_system_sgpr_workgroup_info 0
		.amdhsa_system_vgpr_workitem_id 0
		.amdhsa_next_free_vgpr 1
		.amdhsa_next_free_sgpr 1
		.amdhsa_named_barrier_count 0
		.amdhsa_reserve_vcc 0
		.amdhsa_float_round_mode_32 0
		.amdhsa_float_round_mode_16_64 0
		.amdhsa_float_denorm_mode_32 3
		.amdhsa_float_denorm_mode_16_64 3
		.amdhsa_fp16_overflow 0
		.amdhsa_memory_ordered 1
		.amdhsa_forward_progress 1
		.amdhsa_inst_pref_size 0
		.amdhsa_round_robin_scheduling 0
		.amdhsa_exception_fp_ieee_invalid_op 0
		.amdhsa_exception_fp_denorm_src 0
		.amdhsa_exception_fp_ieee_div_zero 0
		.amdhsa_exception_fp_ieee_overflow 0
		.amdhsa_exception_fp_ieee_underflow 0
		.amdhsa_exception_fp_ieee_inexact 0
		.amdhsa_exception_int_div_zero 0
	.end_amdhsa_kernel
	.section	.text._ZN7rocprim17ROCPRIM_400000_NS6detail17trampoline_kernelINS0_14default_configENS1_38merge_sort_block_merge_config_selectorIiNS0_10empty_typeEEEZZNS1_27merge_sort_block_merge_implIS3_PiPS5_jNS1_19radix_merge_compareILb0ELb0EiNS0_19identity_decomposerEEEEE10hipError_tT0_T1_T2_jT3_P12ihipStream_tbPNSt15iterator_traitsISE_E10value_typeEPNSK_ISF_E10value_typeEPSG_NS1_7vsmem_tEENKUlT_SE_SF_SG_E_clIS8_S8_S9_S9_EESD_ST_SE_SF_SG_EUlST_E0_NS1_11comp_targetILNS1_3genE5ELNS1_11target_archE942ELNS1_3gpuE9ELNS1_3repE0EEENS1_38merge_mergepath_config_static_selectorELNS0_4arch9wavefront6targetE0EEEvSF_,"axG",@progbits,_ZN7rocprim17ROCPRIM_400000_NS6detail17trampoline_kernelINS0_14default_configENS1_38merge_sort_block_merge_config_selectorIiNS0_10empty_typeEEEZZNS1_27merge_sort_block_merge_implIS3_PiPS5_jNS1_19radix_merge_compareILb0ELb0EiNS0_19identity_decomposerEEEEE10hipError_tT0_T1_T2_jT3_P12ihipStream_tbPNSt15iterator_traitsISE_E10value_typeEPNSK_ISF_E10value_typeEPSG_NS1_7vsmem_tEENKUlT_SE_SF_SG_E_clIS8_S8_S9_S9_EESD_ST_SE_SF_SG_EUlST_E0_NS1_11comp_targetILNS1_3genE5ELNS1_11target_archE942ELNS1_3gpuE9ELNS1_3repE0EEENS1_38merge_mergepath_config_static_selectorELNS0_4arch9wavefront6targetE0EEEvSF_,comdat
.Lfunc_end904:
	.size	_ZN7rocprim17ROCPRIM_400000_NS6detail17trampoline_kernelINS0_14default_configENS1_38merge_sort_block_merge_config_selectorIiNS0_10empty_typeEEEZZNS1_27merge_sort_block_merge_implIS3_PiPS5_jNS1_19radix_merge_compareILb0ELb0EiNS0_19identity_decomposerEEEEE10hipError_tT0_T1_T2_jT3_P12ihipStream_tbPNSt15iterator_traitsISE_E10value_typeEPNSK_ISF_E10value_typeEPSG_NS1_7vsmem_tEENKUlT_SE_SF_SG_E_clIS8_S8_S9_S9_EESD_ST_SE_SF_SG_EUlST_E0_NS1_11comp_targetILNS1_3genE5ELNS1_11target_archE942ELNS1_3gpuE9ELNS1_3repE0EEENS1_38merge_mergepath_config_static_selectorELNS0_4arch9wavefront6targetE0EEEvSF_, .Lfunc_end904-_ZN7rocprim17ROCPRIM_400000_NS6detail17trampoline_kernelINS0_14default_configENS1_38merge_sort_block_merge_config_selectorIiNS0_10empty_typeEEEZZNS1_27merge_sort_block_merge_implIS3_PiPS5_jNS1_19radix_merge_compareILb0ELb0EiNS0_19identity_decomposerEEEEE10hipError_tT0_T1_T2_jT3_P12ihipStream_tbPNSt15iterator_traitsISE_E10value_typeEPNSK_ISF_E10value_typeEPSG_NS1_7vsmem_tEENKUlT_SE_SF_SG_E_clIS8_S8_S9_S9_EESD_ST_SE_SF_SG_EUlST_E0_NS1_11comp_targetILNS1_3genE5ELNS1_11target_archE942ELNS1_3gpuE9ELNS1_3repE0EEENS1_38merge_mergepath_config_static_selectorELNS0_4arch9wavefront6targetE0EEEvSF_
                                        ; -- End function
	.set _ZN7rocprim17ROCPRIM_400000_NS6detail17trampoline_kernelINS0_14default_configENS1_38merge_sort_block_merge_config_selectorIiNS0_10empty_typeEEEZZNS1_27merge_sort_block_merge_implIS3_PiPS5_jNS1_19radix_merge_compareILb0ELb0EiNS0_19identity_decomposerEEEEE10hipError_tT0_T1_T2_jT3_P12ihipStream_tbPNSt15iterator_traitsISE_E10value_typeEPNSK_ISF_E10value_typeEPSG_NS1_7vsmem_tEENKUlT_SE_SF_SG_E_clIS8_S8_S9_S9_EESD_ST_SE_SF_SG_EUlST_E0_NS1_11comp_targetILNS1_3genE5ELNS1_11target_archE942ELNS1_3gpuE9ELNS1_3repE0EEENS1_38merge_mergepath_config_static_selectorELNS0_4arch9wavefront6targetE0EEEvSF_.num_vgpr, 0
	.set _ZN7rocprim17ROCPRIM_400000_NS6detail17trampoline_kernelINS0_14default_configENS1_38merge_sort_block_merge_config_selectorIiNS0_10empty_typeEEEZZNS1_27merge_sort_block_merge_implIS3_PiPS5_jNS1_19radix_merge_compareILb0ELb0EiNS0_19identity_decomposerEEEEE10hipError_tT0_T1_T2_jT3_P12ihipStream_tbPNSt15iterator_traitsISE_E10value_typeEPNSK_ISF_E10value_typeEPSG_NS1_7vsmem_tEENKUlT_SE_SF_SG_E_clIS8_S8_S9_S9_EESD_ST_SE_SF_SG_EUlST_E0_NS1_11comp_targetILNS1_3genE5ELNS1_11target_archE942ELNS1_3gpuE9ELNS1_3repE0EEENS1_38merge_mergepath_config_static_selectorELNS0_4arch9wavefront6targetE0EEEvSF_.num_agpr, 0
	.set _ZN7rocprim17ROCPRIM_400000_NS6detail17trampoline_kernelINS0_14default_configENS1_38merge_sort_block_merge_config_selectorIiNS0_10empty_typeEEEZZNS1_27merge_sort_block_merge_implIS3_PiPS5_jNS1_19radix_merge_compareILb0ELb0EiNS0_19identity_decomposerEEEEE10hipError_tT0_T1_T2_jT3_P12ihipStream_tbPNSt15iterator_traitsISE_E10value_typeEPNSK_ISF_E10value_typeEPSG_NS1_7vsmem_tEENKUlT_SE_SF_SG_E_clIS8_S8_S9_S9_EESD_ST_SE_SF_SG_EUlST_E0_NS1_11comp_targetILNS1_3genE5ELNS1_11target_archE942ELNS1_3gpuE9ELNS1_3repE0EEENS1_38merge_mergepath_config_static_selectorELNS0_4arch9wavefront6targetE0EEEvSF_.numbered_sgpr, 0
	.set _ZN7rocprim17ROCPRIM_400000_NS6detail17trampoline_kernelINS0_14default_configENS1_38merge_sort_block_merge_config_selectorIiNS0_10empty_typeEEEZZNS1_27merge_sort_block_merge_implIS3_PiPS5_jNS1_19radix_merge_compareILb0ELb0EiNS0_19identity_decomposerEEEEE10hipError_tT0_T1_T2_jT3_P12ihipStream_tbPNSt15iterator_traitsISE_E10value_typeEPNSK_ISF_E10value_typeEPSG_NS1_7vsmem_tEENKUlT_SE_SF_SG_E_clIS8_S8_S9_S9_EESD_ST_SE_SF_SG_EUlST_E0_NS1_11comp_targetILNS1_3genE5ELNS1_11target_archE942ELNS1_3gpuE9ELNS1_3repE0EEENS1_38merge_mergepath_config_static_selectorELNS0_4arch9wavefront6targetE0EEEvSF_.num_named_barrier, 0
	.set _ZN7rocprim17ROCPRIM_400000_NS6detail17trampoline_kernelINS0_14default_configENS1_38merge_sort_block_merge_config_selectorIiNS0_10empty_typeEEEZZNS1_27merge_sort_block_merge_implIS3_PiPS5_jNS1_19radix_merge_compareILb0ELb0EiNS0_19identity_decomposerEEEEE10hipError_tT0_T1_T2_jT3_P12ihipStream_tbPNSt15iterator_traitsISE_E10value_typeEPNSK_ISF_E10value_typeEPSG_NS1_7vsmem_tEENKUlT_SE_SF_SG_E_clIS8_S8_S9_S9_EESD_ST_SE_SF_SG_EUlST_E0_NS1_11comp_targetILNS1_3genE5ELNS1_11target_archE942ELNS1_3gpuE9ELNS1_3repE0EEENS1_38merge_mergepath_config_static_selectorELNS0_4arch9wavefront6targetE0EEEvSF_.private_seg_size, 0
	.set _ZN7rocprim17ROCPRIM_400000_NS6detail17trampoline_kernelINS0_14default_configENS1_38merge_sort_block_merge_config_selectorIiNS0_10empty_typeEEEZZNS1_27merge_sort_block_merge_implIS3_PiPS5_jNS1_19radix_merge_compareILb0ELb0EiNS0_19identity_decomposerEEEEE10hipError_tT0_T1_T2_jT3_P12ihipStream_tbPNSt15iterator_traitsISE_E10value_typeEPNSK_ISF_E10value_typeEPSG_NS1_7vsmem_tEENKUlT_SE_SF_SG_E_clIS8_S8_S9_S9_EESD_ST_SE_SF_SG_EUlST_E0_NS1_11comp_targetILNS1_3genE5ELNS1_11target_archE942ELNS1_3gpuE9ELNS1_3repE0EEENS1_38merge_mergepath_config_static_selectorELNS0_4arch9wavefront6targetE0EEEvSF_.uses_vcc, 0
	.set _ZN7rocprim17ROCPRIM_400000_NS6detail17trampoline_kernelINS0_14default_configENS1_38merge_sort_block_merge_config_selectorIiNS0_10empty_typeEEEZZNS1_27merge_sort_block_merge_implIS3_PiPS5_jNS1_19radix_merge_compareILb0ELb0EiNS0_19identity_decomposerEEEEE10hipError_tT0_T1_T2_jT3_P12ihipStream_tbPNSt15iterator_traitsISE_E10value_typeEPNSK_ISF_E10value_typeEPSG_NS1_7vsmem_tEENKUlT_SE_SF_SG_E_clIS8_S8_S9_S9_EESD_ST_SE_SF_SG_EUlST_E0_NS1_11comp_targetILNS1_3genE5ELNS1_11target_archE942ELNS1_3gpuE9ELNS1_3repE0EEENS1_38merge_mergepath_config_static_selectorELNS0_4arch9wavefront6targetE0EEEvSF_.uses_flat_scratch, 0
	.set _ZN7rocprim17ROCPRIM_400000_NS6detail17trampoline_kernelINS0_14default_configENS1_38merge_sort_block_merge_config_selectorIiNS0_10empty_typeEEEZZNS1_27merge_sort_block_merge_implIS3_PiPS5_jNS1_19radix_merge_compareILb0ELb0EiNS0_19identity_decomposerEEEEE10hipError_tT0_T1_T2_jT3_P12ihipStream_tbPNSt15iterator_traitsISE_E10value_typeEPNSK_ISF_E10value_typeEPSG_NS1_7vsmem_tEENKUlT_SE_SF_SG_E_clIS8_S8_S9_S9_EESD_ST_SE_SF_SG_EUlST_E0_NS1_11comp_targetILNS1_3genE5ELNS1_11target_archE942ELNS1_3gpuE9ELNS1_3repE0EEENS1_38merge_mergepath_config_static_selectorELNS0_4arch9wavefront6targetE0EEEvSF_.has_dyn_sized_stack, 0
	.set _ZN7rocprim17ROCPRIM_400000_NS6detail17trampoline_kernelINS0_14default_configENS1_38merge_sort_block_merge_config_selectorIiNS0_10empty_typeEEEZZNS1_27merge_sort_block_merge_implIS3_PiPS5_jNS1_19radix_merge_compareILb0ELb0EiNS0_19identity_decomposerEEEEE10hipError_tT0_T1_T2_jT3_P12ihipStream_tbPNSt15iterator_traitsISE_E10value_typeEPNSK_ISF_E10value_typeEPSG_NS1_7vsmem_tEENKUlT_SE_SF_SG_E_clIS8_S8_S9_S9_EESD_ST_SE_SF_SG_EUlST_E0_NS1_11comp_targetILNS1_3genE5ELNS1_11target_archE942ELNS1_3gpuE9ELNS1_3repE0EEENS1_38merge_mergepath_config_static_selectorELNS0_4arch9wavefront6targetE0EEEvSF_.has_recursion, 0
	.set _ZN7rocprim17ROCPRIM_400000_NS6detail17trampoline_kernelINS0_14default_configENS1_38merge_sort_block_merge_config_selectorIiNS0_10empty_typeEEEZZNS1_27merge_sort_block_merge_implIS3_PiPS5_jNS1_19radix_merge_compareILb0ELb0EiNS0_19identity_decomposerEEEEE10hipError_tT0_T1_T2_jT3_P12ihipStream_tbPNSt15iterator_traitsISE_E10value_typeEPNSK_ISF_E10value_typeEPSG_NS1_7vsmem_tEENKUlT_SE_SF_SG_E_clIS8_S8_S9_S9_EESD_ST_SE_SF_SG_EUlST_E0_NS1_11comp_targetILNS1_3genE5ELNS1_11target_archE942ELNS1_3gpuE9ELNS1_3repE0EEENS1_38merge_mergepath_config_static_selectorELNS0_4arch9wavefront6targetE0EEEvSF_.has_indirect_call, 0
	.section	.AMDGPU.csdata,"",@progbits
; Kernel info:
; codeLenInByte = 0
; TotalNumSgprs: 0
; NumVgprs: 0
; ScratchSize: 0
; MemoryBound: 0
; FloatMode: 240
; IeeeMode: 1
; LDSByteSize: 0 bytes/workgroup (compile time only)
; SGPRBlocks: 0
; VGPRBlocks: 0
; NumSGPRsForWavesPerEU: 1
; NumVGPRsForWavesPerEU: 1
; NamedBarCnt: 0
; Occupancy: 16
; WaveLimiterHint : 0
; COMPUTE_PGM_RSRC2:SCRATCH_EN: 0
; COMPUTE_PGM_RSRC2:USER_SGPR: 2
; COMPUTE_PGM_RSRC2:TRAP_HANDLER: 0
; COMPUTE_PGM_RSRC2:TGID_X_EN: 1
; COMPUTE_PGM_RSRC2:TGID_Y_EN: 0
; COMPUTE_PGM_RSRC2:TGID_Z_EN: 0
; COMPUTE_PGM_RSRC2:TIDIG_COMP_CNT: 0
	.section	.text._ZN7rocprim17ROCPRIM_400000_NS6detail17trampoline_kernelINS0_14default_configENS1_38merge_sort_block_merge_config_selectorIiNS0_10empty_typeEEEZZNS1_27merge_sort_block_merge_implIS3_PiPS5_jNS1_19radix_merge_compareILb0ELb0EiNS0_19identity_decomposerEEEEE10hipError_tT0_T1_T2_jT3_P12ihipStream_tbPNSt15iterator_traitsISE_E10value_typeEPNSK_ISF_E10value_typeEPSG_NS1_7vsmem_tEENKUlT_SE_SF_SG_E_clIS8_S8_S9_S9_EESD_ST_SE_SF_SG_EUlST_E0_NS1_11comp_targetILNS1_3genE4ELNS1_11target_archE910ELNS1_3gpuE8ELNS1_3repE0EEENS1_38merge_mergepath_config_static_selectorELNS0_4arch9wavefront6targetE0EEEvSF_,"axG",@progbits,_ZN7rocprim17ROCPRIM_400000_NS6detail17trampoline_kernelINS0_14default_configENS1_38merge_sort_block_merge_config_selectorIiNS0_10empty_typeEEEZZNS1_27merge_sort_block_merge_implIS3_PiPS5_jNS1_19radix_merge_compareILb0ELb0EiNS0_19identity_decomposerEEEEE10hipError_tT0_T1_T2_jT3_P12ihipStream_tbPNSt15iterator_traitsISE_E10value_typeEPNSK_ISF_E10value_typeEPSG_NS1_7vsmem_tEENKUlT_SE_SF_SG_E_clIS8_S8_S9_S9_EESD_ST_SE_SF_SG_EUlST_E0_NS1_11comp_targetILNS1_3genE4ELNS1_11target_archE910ELNS1_3gpuE8ELNS1_3repE0EEENS1_38merge_mergepath_config_static_selectorELNS0_4arch9wavefront6targetE0EEEvSF_,comdat
	.protected	_ZN7rocprim17ROCPRIM_400000_NS6detail17trampoline_kernelINS0_14default_configENS1_38merge_sort_block_merge_config_selectorIiNS0_10empty_typeEEEZZNS1_27merge_sort_block_merge_implIS3_PiPS5_jNS1_19radix_merge_compareILb0ELb0EiNS0_19identity_decomposerEEEEE10hipError_tT0_T1_T2_jT3_P12ihipStream_tbPNSt15iterator_traitsISE_E10value_typeEPNSK_ISF_E10value_typeEPSG_NS1_7vsmem_tEENKUlT_SE_SF_SG_E_clIS8_S8_S9_S9_EESD_ST_SE_SF_SG_EUlST_E0_NS1_11comp_targetILNS1_3genE4ELNS1_11target_archE910ELNS1_3gpuE8ELNS1_3repE0EEENS1_38merge_mergepath_config_static_selectorELNS0_4arch9wavefront6targetE0EEEvSF_ ; -- Begin function _ZN7rocprim17ROCPRIM_400000_NS6detail17trampoline_kernelINS0_14default_configENS1_38merge_sort_block_merge_config_selectorIiNS0_10empty_typeEEEZZNS1_27merge_sort_block_merge_implIS3_PiPS5_jNS1_19radix_merge_compareILb0ELb0EiNS0_19identity_decomposerEEEEE10hipError_tT0_T1_T2_jT3_P12ihipStream_tbPNSt15iterator_traitsISE_E10value_typeEPNSK_ISF_E10value_typeEPSG_NS1_7vsmem_tEENKUlT_SE_SF_SG_E_clIS8_S8_S9_S9_EESD_ST_SE_SF_SG_EUlST_E0_NS1_11comp_targetILNS1_3genE4ELNS1_11target_archE910ELNS1_3gpuE8ELNS1_3repE0EEENS1_38merge_mergepath_config_static_selectorELNS0_4arch9wavefront6targetE0EEEvSF_
	.globl	_ZN7rocprim17ROCPRIM_400000_NS6detail17trampoline_kernelINS0_14default_configENS1_38merge_sort_block_merge_config_selectorIiNS0_10empty_typeEEEZZNS1_27merge_sort_block_merge_implIS3_PiPS5_jNS1_19radix_merge_compareILb0ELb0EiNS0_19identity_decomposerEEEEE10hipError_tT0_T1_T2_jT3_P12ihipStream_tbPNSt15iterator_traitsISE_E10value_typeEPNSK_ISF_E10value_typeEPSG_NS1_7vsmem_tEENKUlT_SE_SF_SG_E_clIS8_S8_S9_S9_EESD_ST_SE_SF_SG_EUlST_E0_NS1_11comp_targetILNS1_3genE4ELNS1_11target_archE910ELNS1_3gpuE8ELNS1_3repE0EEENS1_38merge_mergepath_config_static_selectorELNS0_4arch9wavefront6targetE0EEEvSF_
	.p2align	8
	.type	_ZN7rocprim17ROCPRIM_400000_NS6detail17trampoline_kernelINS0_14default_configENS1_38merge_sort_block_merge_config_selectorIiNS0_10empty_typeEEEZZNS1_27merge_sort_block_merge_implIS3_PiPS5_jNS1_19radix_merge_compareILb0ELb0EiNS0_19identity_decomposerEEEEE10hipError_tT0_T1_T2_jT3_P12ihipStream_tbPNSt15iterator_traitsISE_E10value_typeEPNSK_ISF_E10value_typeEPSG_NS1_7vsmem_tEENKUlT_SE_SF_SG_E_clIS8_S8_S9_S9_EESD_ST_SE_SF_SG_EUlST_E0_NS1_11comp_targetILNS1_3genE4ELNS1_11target_archE910ELNS1_3gpuE8ELNS1_3repE0EEENS1_38merge_mergepath_config_static_selectorELNS0_4arch9wavefront6targetE0EEEvSF_,@function
_ZN7rocprim17ROCPRIM_400000_NS6detail17trampoline_kernelINS0_14default_configENS1_38merge_sort_block_merge_config_selectorIiNS0_10empty_typeEEEZZNS1_27merge_sort_block_merge_implIS3_PiPS5_jNS1_19radix_merge_compareILb0ELb0EiNS0_19identity_decomposerEEEEE10hipError_tT0_T1_T2_jT3_P12ihipStream_tbPNSt15iterator_traitsISE_E10value_typeEPNSK_ISF_E10value_typeEPSG_NS1_7vsmem_tEENKUlT_SE_SF_SG_E_clIS8_S8_S9_S9_EESD_ST_SE_SF_SG_EUlST_E0_NS1_11comp_targetILNS1_3genE4ELNS1_11target_archE910ELNS1_3gpuE8ELNS1_3repE0EEENS1_38merge_mergepath_config_static_selectorELNS0_4arch9wavefront6targetE0EEEvSF_: ; @_ZN7rocprim17ROCPRIM_400000_NS6detail17trampoline_kernelINS0_14default_configENS1_38merge_sort_block_merge_config_selectorIiNS0_10empty_typeEEEZZNS1_27merge_sort_block_merge_implIS3_PiPS5_jNS1_19radix_merge_compareILb0ELb0EiNS0_19identity_decomposerEEEEE10hipError_tT0_T1_T2_jT3_P12ihipStream_tbPNSt15iterator_traitsISE_E10value_typeEPNSK_ISF_E10value_typeEPSG_NS1_7vsmem_tEENKUlT_SE_SF_SG_E_clIS8_S8_S9_S9_EESD_ST_SE_SF_SG_EUlST_E0_NS1_11comp_targetILNS1_3genE4ELNS1_11target_archE910ELNS1_3gpuE8ELNS1_3repE0EEENS1_38merge_mergepath_config_static_selectorELNS0_4arch9wavefront6targetE0EEEvSF_
; %bb.0:
	.section	.rodata,"a",@progbits
	.p2align	6, 0x0
	.amdhsa_kernel _ZN7rocprim17ROCPRIM_400000_NS6detail17trampoline_kernelINS0_14default_configENS1_38merge_sort_block_merge_config_selectorIiNS0_10empty_typeEEEZZNS1_27merge_sort_block_merge_implIS3_PiPS5_jNS1_19radix_merge_compareILb0ELb0EiNS0_19identity_decomposerEEEEE10hipError_tT0_T1_T2_jT3_P12ihipStream_tbPNSt15iterator_traitsISE_E10value_typeEPNSK_ISF_E10value_typeEPSG_NS1_7vsmem_tEENKUlT_SE_SF_SG_E_clIS8_S8_S9_S9_EESD_ST_SE_SF_SG_EUlST_E0_NS1_11comp_targetILNS1_3genE4ELNS1_11target_archE910ELNS1_3gpuE8ELNS1_3repE0EEENS1_38merge_mergepath_config_static_selectorELNS0_4arch9wavefront6targetE0EEEvSF_
		.amdhsa_group_segment_fixed_size 0
		.amdhsa_private_segment_fixed_size 0
		.amdhsa_kernarg_size 64
		.amdhsa_user_sgpr_count 2
		.amdhsa_user_sgpr_dispatch_ptr 0
		.amdhsa_user_sgpr_queue_ptr 0
		.amdhsa_user_sgpr_kernarg_segment_ptr 1
		.amdhsa_user_sgpr_dispatch_id 0
		.amdhsa_user_sgpr_kernarg_preload_length 0
		.amdhsa_user_sgpr_kernarg_preload_offset 0
		.amdhsa_user_sgpr_private_segment_size 0
		.amdhsa_wavefront_size32 1
		.amdhsa_uses_dynamic_stack 0
		.amdhsa_enable_private_segment 0
		.amdhsa_system_sgpr_workgroup_id_x 1
		.amdhsa_system_sgpr_workgroup_id_y 0
		.amdhsa_system_sgpr_workgroup_id_z 0
		.amdhsa_system_sgpr_workgroup_info 0
		.amdhsa_system_vgpr_workitem_id 0
		.amdhsa_next_free_vgpr 1
		.amdhsa_next_free_sgpr 1
		.amdhsa_named_barrier_count 0
		.amdhsa_reserve_vcc 0
		.amdhsa_float_round_mode_32 0
		.amdhsa_float_round_mode_16_64 0
		.amdhsa_float_denorm_mode_32 3
		.amdhsa_float_denorm_mode_16_64 3
		.amdhsa_fp16_overflow 0
		.amdhsa_memory_ordered 1
		.amdhsa_forward_progress 1
		.amdhsa_inst_pref_size 0
		.amdhsa_round_robin_scheduling 0
		.amdhsa_exception_fp_ieee_invalid_op 0
		.amdhsa_exception_fp_denorm_src 0
		.amdhsa_exception_fp_ieee_div_zero 0
		.amdhsa_exception_fp_ieee_overflow 0
		.amdhsa_exception_fp_ieee_underflow 0
		.amdhsa_exception_fp_ieee_inexact 0
		.amdhsa_exception_int_div_zero 0
	.end_amdhsa_kernel
	.section	.text._ZN7rocprim17ROCPRIM_400000_NS6detail17trampoline_kernelINS0_14default_configENS1_38merge_sort_block_merge_config_selectorIiNS0_10empty_typeEEEZZNS1_27merge_sort_block_merge_implIS3_PiPS5_jNS1_19radix_merge_compareILb0ELb0EiNS0_19identity_decomposerEEEEE10hipError_tT0_T1_T2_jT3_P12ihipStream_tbPNSt15iterator_traitsISE_E10value_typeEPNSK_ISF_E10value_typeEPSG_NS1_7vsmem_tEENKUlT_SE_SF_SG_E_clIS8_S8_S9_S9_EESD_ST_SE_SF_SG_EUlST_E0_NS1_11comp_targetILNS1_3genE4ELNS1_11target_archE910ELNS1_3gpuE8ELNS1_3repE0EEENS1_38merge_mergepath_config_static_selectorELNS0_4arch9wavefront6targetE0EEEvSF_,"axG",@progbits,_ZN7rocprim17ROCPRIM_400000_NS6detail17trampoline_kernelINS0_14default_configENS1_38merge_sort_block_merge_config_selectorIiNS0_10empty_typeEEEZZNS1_27merge_sort_block_merge_implIS3_PiPS5_jNS1_19radix_merge_compareILb0ELb0EiNS0_19identity_decomposerEEEEE10hipError_tT0_T1_T2_jT3_P12ihipStream_tbPNSt15iterator_traitsISE_E10value_typeEPNSK_ISF_E10value_typeEPSG_NS1_7vsmem_tEENKUlT_SE_SF_SG_E_clIS8_S8_S9_S9_EESD_ST_SE_SF_SG_EUlST_E0_NS1_11comp_targetILNS1_3genE4ELNS1_11target_archE910ELNS1_3gpuE8ELNS1_3repE0EEENS1_38merge_mergepath_config_static_selectorELNS0_4arch9wavefront6targetE0EEEvSF_,comdat
.Lfunc_end905:
	.size	_ZN7rocprim17ROCPRIM_400000_NS6detail17trampoline_kernelINS0_14default_configENS1_38merge_sort_block_merge_config_selectorIiNS0_10empty_typeEEEZZNS1_27merge_sort_block_merge_implIS3_PiPS5_jNS1_19radix_merge_compareILb0ELb0EiNS0_19identity_decomposerEEEEE10hipError_tT0_T1_T2_jT3_P12ihipStream_tbPNSt15iterator_traitsISE_E10value_typeEPNSK_ISF_E10value_typeEPSG_NS1_7vsmem_tEENKUlT_SE_SF_SG_E_clIS8_S8_S9_S9_EESD_ST_SE_SF_SG_EUlST_E0_NS1_11comp_targetILNS1_3genE4ELNS1_11target_archE910ELNS1_3gpuE8ELNS1_3repE0EEENS1_38merge_mergepath_config_static_selectorELNS0_4arch9wavefront6targetE0EEEvSF_, .Lfunc_end905-_ZN7rocprim17ROCPRIM_400000_NS6detail17trampoline_kernelINS0_14default_configENS1_38merge_sort_block_merge_config_selectorIiNS0_10empty_typeEEEZZNS1_27merge_sort_block_merge_implIS3_PiPS5_jNS1_19radix_merge_compareILb0ELb0EiNS0_19identity_decomposerEEEEE10hipError_tT0_T1_T2_jT3_P12ihipStream_tbPNSt15iterator_traitsISE_E10value_typeEPNSK_ISF_E10value_typeEPSG_NS1_7vsmem_tEENKUlT_SE_SF_SG_E_clIS8_S8_S9_S9_EESD_ST_SE_SF_SG_EUlST_E0_NS1_11comp_targetILNS1_3genE4ELNS1_11target_archE910ELNS1_3gpuE8ELNS1_3repE0EEENS1_38merge_mergepath_config_static_selectorELNS0_4arch9wavefront6targetE0EEEvSF_
                                        ; -- End function
	.set _ZN7rocprim17ROCPRIM_400000_NS6detail17trampoline_kernelINS0_14default_configENS1_38merge_sort_block_merge_config_selectorIiNS0_10empty_typeEEEZZNS1_27merge_sort_block_merge_implIS3_PiPS5_jNS1_19radix_merge_compareILb0ELb0EiNS0_19identity_decomposerEEEEE10hipError_tT0_T1_T2_jT3_P12ihipStream_tbPNSt15iterator_traitsISE_E10value_typeEPNSK_ISF_E10value_typeEPSG_NS1_7vsmem_tEENKUlT_SE_SF_SG_E_clIS8_S8_S9_S9_EESD_ST_SE_SF_SG_EUlST_E0_NS1_11comp_targetILNS1_3genE4ELNS1_11target_archE910ELNS1_3gpuE8ELNS1_3repE0EEENS1_38merge_mergepath_config_static_selectorELNS0_4arch9wavefront6targetE0EEEvSF_.num_vgpr, 0
	.set _ZN7rocprim17ROCPRIM_400000_NS6detail17trampoline_kernelINS0_14default_configENS1_38merge_sort_block_merge_config_selectorIiNS0_10empty_typeEEEZZNS1_27merge_sort_block_merge_implIS3_PiPS5_jNS1_19radix_merge_compareILb0ELb0EiNS0_19identity_decomposerEEEEE10hipError_tT0_T1_T2_jT3_P12ihipStream_tbPNSt15iterator_traitsISE_E10value_typeEPNSK_ISF_E10value_typeEPSG_NS1_7vsmem_tEENKUlT_SE_SF_SG_E_clIS8_S8_S9_S9_EESD_ST_SE_SF_SG_EUlST_E0_NS1_11comp_targetILNS1_3genE4ELNS1_11target_archE910ELNS1_3gpuE8ELNS1_3repE0EEENS1_38merge_mergepath_config_static_selectorELNS0_4arch9wavefront6targetE0EEEvSF_.num_agpr, 0
	.set _ZN7rocprim17ROCPRIM_400000_NS6detail17trampoline_kernelINS0_14default_configENS1_38merge_sort_block_merge_config_selectorIiNS0_10empty_typeEEEZZNS1_27merge_sort_block_merge_implIS3_PiPS5_jNS1_19radix_merge_compareILb0ELb0EiNS0_19identity_decomposerEEEEE10hipError_tT0_T1_T2_jT3_P12ihipStream_tbPNSt15iterator_traitsISE_E10value_typeEPNSK_ISF_E10value_typeEPSG_NS1_7vsmem_tEENKUlT_SE_SF_SG_E_clIS8_S8_S9_S9_EESD_ST_SE_SF_SG_EUlST_E0_NS1_11comp_targetILNS1_3genE4ELNS1_11target_archE910ELNS1_3gpuE8ELNS1_3repE0EEENS1_38merge_mergepath_config_static_selectorELNS0_4arch9wavefront6targetE0EEEvSF_.numbered_sgpr, 0
	.set _ZN7rocprim17ROCPRIM_400000_NS6detail17trampoline_kernelINS0_14default_configENS1_38merge_sort_block_merge_config_selectorIiNS0_10empty_typeEEEZZNS1_27merge_sort_block_merge_implIS3_PiPS5_jNS1_19radix_merge_compareILb0ELb0EiNS0_19identity_decomposerEEEEE10hipError_tT0_T1_T2_jT3_P12ihipStream_tbPNSt15iterator_traitsISE_E10value_typeEPNSK_ISF_E10value_typeEPSG_NS1_7vsmem_tEENKUlT_SE_SF_SG_E_clIS8_S8_S9_S9_EESD_ST_SE_SF_SG_EUlST_E0_NS1_11comp_targetILNS1_3genE4ELNS1_11target_archE910ELNS1_3gpuE8ELNS1_3repE0EEENS1_38merge_mergepath_config_static_selectorELNS0_4arch9wavefront6targetE0EEEvSF_.num_named_barrier, 0
	.set _ZN7rocprim17ROCPRIM_400000_NS6detail17trampoline_kernelINS0_14default_configENS1_38merge_sort_block_merge_config_selectorIiNS0_10empty_typeEEEZZNS1_27merge_sort_block_merge_implIS3_PiPS5_jNS1_19radix_merge_compareILb0ELb0EiNS0_19identity_decomposerEEEEE10hipError_tT0_T1_T2_jT3_P12ihipStream_tbPNSt15iterator_traitsISE_E10value_typeEPNSK_ISF_E10value_typeEPSG_NS1_7vsmem_tEENKUlT_SE_SF_SG_E_clIS8_S8_S9_S9_EESD_ST_SE_SF_SG_EUlST_E0_NS1_11comp_targetILNS1_3genE4ELNS1_11target_archE910ELNS1_3gpuE8ELNS1_3repE0EEENS1_38merge_mergepath_config_static_selectorELNS0_4arch9wavefront6targetE0EEEvSF_.private_seg_size, 0
	.set _ZN7rocprim17ROCPRIM_400000_NS6detail17trampoline_kernelINS0_14default_configENS1_38merge_sort_block_merge_config_selectorIiNS0_10empty_typeEEEZZNS1_27merge_sort_block_merge_implIS3_PiPS5_jNS1_19radix_merge_compareILb0ELb0EiNS0_19identity_decomposerEEEEE10hipError_tT0_T1_T2_jT3_P12ihipStream_tbPNSt15iterator_traitsISE_E10value_typeEPNSK_ISF_E10value_typeEPSG_NS1_7vsmem_tEENKUlT_SE_SF_SG_E_clIS8_S8_S9_S9_EESD_ST_SE_SF_SG_EUlST_E0_NS1_11comp_targetILNS1_3genE4ELNS1_11target_archE910ELNS1_3gpuE8ELNS1_3repE0EEENS1_38merge_mergepath_config_static_selectorELNS0_4arch9wavefront6targetE0EEEvSF_.uses_vcc, 0
	.set _ZN7rocprim17ROCPRIM_400000_NS6detail17trampoline_kernelINS0_14default_configENS1_38merge_sort_block_merge_config_selectorIiNS0_10empty_typeEEEZZNS1_27merge_sort_block_merge_implIS3_PiPS5_jNS1_19radix_merge_compareILb0ELb0EiNS0_19identity_decomposerEEEEE10hipError_tT0_T1_T2_jT3_P12ihipStream_tbPNSt15iterator_traitsISE_E10value_typeEPNSK_ISF_E10value_typeEPSG_NS1_7vsmem_tEENKUlT_SE_SF_SG_E_clIS8_S8_S9_S9_EESD_ST_SE_SF_SG_EUlST_E0_NS1_11comp_targetILNS1_3genE4ELNS1_11target_archE910ELNS1_3gpuE8ELNS1_3repE0EEENS1_38merge_mergepath_config_static_selectorELNS0_4arch9wavefront6targetE0EEEvSF_.uses_flat_scratch, 0
	.set _ZN7rocprim17ROCPRIM_400000_NS6detail17trampoline_kernelINS0_14default_configENS1_38merge_sort_block_merge_config_selectorIiNS0_10empty_typeEEEZZNS1_27merge_sort_block_merge_implIS3_PiPS5_jNS1_19radix_merge_compareILb0ELb0EiNS0_19identity_decomposerEEEEE10hipError_tT0_T1_T2_jT3_P12ihipStream_tbPNSt15iterator_traitsISE_E10value_typeEPNSK_ISF_E10value_typeEPSG_NS1_7vsmem_tEENKUlT_SE_SF_SG_E_clIS8_S8_S9_S9_EESD_ST_SE_SF_SG_EUlST_E0_NS1_11comp_targetILNS1_3genE4ELNS1_11target_archE910ELNS1_3gpuE8ELNS1_3repE0EEENS1_38merge_mergepath_config_static_selectorELNS0_4arch9wavefront6targetE0EEEvSF_.has_dyn_sized_stack, 0
	.set _ZN7rocprim17ROCPRIM_400000_NS6detail17trampoline_kernelINS0_14default_configENS1_38merge_sort_block_merge_config_selectorIiNS0_10empty_typeEEEZZNS1_27merge_sort_block_merge_implIS3_PiPS5_jNS1_19radix_merge_compareILb0ELb0EiNS0_19identity_decomposerEEEEE10hipError_tT0_T1_T2_jT3_P12ihipStream_tbPNSt15iterator_traitsISE_E10value_typeEPNSK_ISF_E10value_typeEPSG_NS1_7vsmem_tEENKUlT_SE_SF_SG_E_clIS8_S8_S9_S9_EESD_ST_SE_SF_SG_EUlST_E0_NS1_11comp_targetILNS1_3genE4ELNS1_11target_archE910ELNS1_3gpuE8ELNS1_3repE0EEENS1_38merge_mergepath_config_static_selectorELNS0_4arch9wavefront6targetE0EEEvSF_.has_recursion, 0
	.set _ZN7rocprim17ROCPRIM_400000_NS6detail17trampoline_kernelINS0_14default_configENS1_38merge_sort_block_merge_config_selectorIiNS0_10empty_typeEEEZZNS1_27merge_sort_block_merge_implIS3_PiPS5_jNS1_19radix_merge_compareILb0ELb0EiNS0_19identity_decomposerEEEEE10hipError_tT0_T1_T2_jT3_P12ihipStream_tbPNSt15iterator_traitsISE_E10value_typeEPNSK_ISF_E10value_typeEPSG_NS1_7vsmem_tEENKUlT_SE_SF_SG_E_clIS8_S8_S9_S9_EESD_ST_SE_SF_SG_EUlST_E0_NS1_11comp_targetILNS1_3genE4ELNS1_11target_archE910ELNS1_3gpuE8ELNS1_3repE0EEENS1_38merge_mergepath_config_static_selectorELNS0_4arch9wavefront6targetE0EEEvSF_.has_indirect_call, 0
	.section	.AMDGPU.csdata,"",@progbits
; Kernel info:
; codeLenInByte = 0
; TotalNumSgprs: 0
; NumVgprs: 0
; ScratchSize: 0
; MemoryBound: 0
; FloatMode: 240
; IeeeMode: 1
; LDSByteSize: 0 bytes/workgroup (compile time only)
; SGPRBlocks: 0
; VGPRBlocks: 0
; NumSGPRsForWavesPerEU: 1
; NumVGPRsForWavesPerEU: 1
; NamedBarCnt: 0
; Occupancy: 16
; WaveLimiterHint : 0
; COMPUTE_PGM_RSRC2:SCRATCH_EN: 0
; COMPUTE_PGM_RSRC2:USER_SGPR: 2
; COMPUTE_PGM_RSRC2:TRAP_HANDLER: 0
; COMPUTE_PGM_RSRC2:TGID_X_EN: 1
; COMPUTE_PGM_RSRC2:TGID_Y_EN: 0
; COMPUTE_PGM_RSRC2:TGID_Z_EN: 0
; COMPUTE_PGM_RSRC2:TIDIG_COMP_CNT: 0
	.section	.text._ZN7rocprim17ROCPRIM_400000_NS6detail17trampoline_kernelINS0_14default_configENS1_38merge_sort_block_merge_config_selectorIiNS0_10empty_typeEEEZZNS1_27merge_sort_block_merge_implIS3_PiPS5_jNS1_19radix_merge_compareILb0ELb0EiNS0_19identity_decomposerEEEEE10hipError_tT0_T1_T2_jT3_P12ihipStream_tbPNSt15iterator_traitsISE_E10value_typeEPNSK_ISF_E10value_typeEPSG_NS1_7vsmem_tEENKUlT_SE_SF_SG_E_clIS8_S8_S9_S9_EESD_ST_SE_SF_SG_EUlST_E0_NS1_11comp_targetILNS1_3genE3ELNS1_11target_archE908ELNS1_3gpuE7ELNS1_3repE0EEENS1_38merge_mergepath_config_static_selectorELNS0_4arch9wavefront6targetE0EEEvSF_,"axG",@progbits,_ZN7rocprim17ROCPRIM_400000_NS6detail17trampoline_kernelINS0_14default_configENS1_38merge_sort_block_merge_config_selectorIiNS0_10empty_typeEEEZZNS1_27merge_sort_block_merge_implIS3_PiPS5_jNS1_19radix_merge_compareILb0ELb0EiNS0_19identity_decomposerEEEEE10hipError_tT0_T1_T2_jT3_P12ihipStream_tbPNSt15iterator_traitsISE_E10value_typeEPNSK_ISF_E10value_typeEPSG_NS1_7vsmem_tEENKUlT_SE_SF_SG_E_clIS8_S8_S9_S9_EESD_ST_SE_SF_SG_EUlST_E0_NS1_11comp_targetILNS1_3genE3ELNS1_11target_archE908ELNS1_3gpuE7ELNS1_3repE0EEENS1_38merge_mergepath_config_static_selectorELNS0_4arch9wavefront6targetE0EEEvSF_,comdat
	.protected	_ZN7rocprim17ROCPRIM_400000_NS6detail17trampoline_kernelINS0_14default_configENS1_38merge_sort_block_merge_config_selectorIiNS0_10empty_typeEEEZZNS1_27merge_sort_block_merge_implIS3_PiPS5_jNS1_19radix_merge_compareILb0ELb0EiNS0_19identity_decomposerEEEEE10hipError_tT0_T1_T2_jT3_P12ihipStream_tbPNSt15iterator_traitsISE_E10value_typeEPNSK_ISF_E10value_typeEPSG_NS1_7vsmem_tEENKUlT_SE_SF_SG_E_clIS8_S8_S9_S9_EESD_ST_SE_SF_SG_EUlST_E0_NS1_11comp_targetILNS1_3genE3ELNS1_11target_archE908ELNS1_3gpuE7ELNS1_3repE0EEENS1_38merge_mergepath_config_static_selectorELNS0_4arch9wavefront6targetE0EEEvSF_ ; -- Begin function _ZN7rocprim17ROCPRIM_400000_NS6detail17trampoline_kernelINS0_14default_configENS1_38merge_sort_block_merge_config_selectorIiNS0_10empty_typeEEEZZNS1_27merge_sort_block_merge_implIS3_PiPS5_jNS1_19radix_merge_compareILb0ELb0EiNS0_19identity_decomposerEEEEE10hipError_tT0_T1_T2_jT3_P12ihipStream_tbPNSt15iterator_traitsISE_E10value_typeEPNSK_ISF_E10value_typeEPSG_NS1_7vsmem_tEENKUlT_SE_SF_SG_E_clIS8_S8_S9_S9_EESD_ST_SE_SF_SG_EUlST_E0_NS1_11comp_targetILNS1_3genE3ELNS1_11target_archE908ELNS1_3gpuE7ELNS1_3repE0EEENS1_38merge_mergepath_config_static_selectorELNS0_4arch9wavefront6targetE0EEEvSF_
	.globl	_ZN7rocprim17ROCPRIM_400000_NS6detail17trampoline_kernelINS0_14default_configENS1_38merge_sort_block_merge_config_selectorIiNS0_10empty_typeEEEZZNS1_27merge_sort_block_merge_implIS3_PiPS5_jNS1_19radix_merge_compareILb0ELb0EiNS0_19identity_decomposerEEEEE10hipError_tT0_T1_T2_jT3_P12ihipStream_tbPNSt15iterator_traitsISE_E10value_typeEPNSK_ISF_E10value_typeEPSG_NS1_7vsmem_tEENKUlT_SE_SF_SG_E_clIS8_S8_S9_S9_EESD_ST_SE_SF_SG_EUlST_E0_NS1_11comp_targetILNS1_3genE3ELNS1_11target_archE908ELNS1_3gpuE7ELNS1_3repE0EEENS1_38merge_mergepath_config_static_selectorELNS0_4arch9wavefront6targetE0EEEvSF_
	.p2align	8
	.type	_ZN7rocprim17ROCPRIM_400000_NS6detail17trampoline_kernelINS0_14default_configENS1_38merge_sort_block_merge_config_selectorIiNS0_10empty_typeEEEZZNS1_27merge_sort_block_merge_implIS3_PiPS5_jNS1_19radix_merge_compareILb0ELb0EiNS0_19identity_decomposerEEEEE10hipError_tT0_T1_T2_jT3_P12ihipStream_tbPNSt15iterator_traitsISE_E10value_typeEPNSK_ISF_E10value_typeEPSG_NS1_7vsmem_tEENKUlT_SE_SF_SG_E_clIS8_S8_S9_S9_EESD_ST_SE_SF_SG_EUlST_E0_NS1_11comp_targetILNS1_3genE3ELNS1_11target_archE908ELNS1_3gpuE7ELNS1_3repE0EEENS1_38merge_mergepath_config_static_selectorELNS0_4arch9wavefront6targetE0EEEvSF_,@function
_ZN7rocprim17ROCPRIM_400000_NS6detail17trampoline_kernelINS0_14default_configENS1_38merge_sort_block_merge_config_selectorIiNS0_10empty_typeEEEZZNS1_27merge_sort_block_merge_implIS3_PiPS5_jNS1_19radix_merge_compareILb0ELb0EiNS0_19identity_decomposerEEEEE10hipError_tT0_T1_T2_jT3_P12ihipStream_tbPNSt15iterator_traitsISE_E10value_typeEPNSK_ISF_E10value_typeEPSG_NS1_7vsmem_tEENKUlT_SE_SF_SG_E_clIS8_S8_S9_S9_EESD_ST_SE_SF_SG_EUlST_E0_NS1_11comp_targetILNS1_3genE3ELNS1_11target_archE908ELNS1_3gpuE7ELNS1_3repE0EEENS1_38merge_mergepath_config_static_selectorELNS0_4arch9wavefront6targetE0EEEvSF_: ; @_ZN7rocprim17ROCPRIM_400000_NS6detail17trampoline_kernelINS0_14default_configENS1_38merge_sort_block_merge_config_selectorIiNS0_10empty_typeEEEZZNS1_27merge_sort_block_merge_implIS3_PiPS5_jNS1_19radix_merge_compareILb0ELb0EiNS0_19identity_decomposerEEEEE10hipError_tT0_T1_T2_jT3_P12ihipStream_tbPNSt15iterator_traitsISE_E10value_typeEPNSK_ISF_E10value_typeEPSG_NS1_7vsmem_tEENKUlT_SE_SF_SG_E_clIS8_S8_S9_S9_EESD_ST_SE_SF_SG_EUlST_E0_NS1_11comp_targetILNS1_3genE3ELNS1_11target_archE908ELNS1_3gpuE7ELNS1_3repE0EEENS1_38merge_mergepath_config_static_selectorELNS0_4arch9wavefront6targetE0EEEvSF_
; %bb.0:
	.section	.rodata,"a",@progbits
	.p2align	6, 0x0
	.amdhsa_kernel _ZN7rocprim17ROCPRIM_400000_NS6detail17trampoline_kernelINS0_14default_configENS1_38merge_sort_block_merge_config_selectorIiNS0_10empty_typeEEEZZNS1_27merge_sort_block_merge_implIS3_PiPS5_jNS1_19radix_merge_compareILb0ELb0EiNS0_19identity_decomposerEEEEE10hipError_tT0_T1_T2_jT3_P12ihipStream_tbPNSt15iterator_traitsISE_E10value_typeEPNSK_ISF_E10value_typeEPSG_NS1_7vsmem_tEENKUlT_SE_SF_SG_E_clIS8_S8_S9_S9_EESD_ST_SE_SF_SG_EUlST_E0_NS1_11comp_targetILNS1_3genE3ELNS1_11target_archE908ELNS1_3gpuE7ELNS1_3repE0EEENS1_38merge_mergepath_config_static_selectorELNS0_4arch9wavefront6targetE0EEEvSF_
		.amdhsa_group_segment_fixed_size 0
		.amdhsa_private_segment_fixed_size 0
		.amdhsa_kernarg_size 64
		.amdhsa_user_sgpr_count 2
		.amdhsa_user_sgpr_dispatch_ptr 0
		.amdhsa_user_sgpr_queue_ptr 0
		.amdhsa_user_sgpr_kernarg_segment_ptr 1
		.amdhsa_user_sgpr_dispatch_id 0
		.amdhsa_user_sgpr_kernarg_preload_length 0
		.amdhsa_user_sgpr_kernarg_preload_offset 0
		.amdhsa_user_sgpr_private_segment_size 0
		.amdhsa_wavefront_size32 1
		.amdhsa_uses_dynamic_stack 0
		.amdhsa_enable_private_segment 0
		.amdhsa_system_sgpr_workgroup_id_x 1
		.amdhsa_system_sgpr_workgroup_id_y 0
		.amdhsa_system_sgpr_workgroup_id_z 0
		.amdhsa_system_sgpr_workgroup_info 0
		.amdhsa_system_vgpr_workitem_id 0
		.amdhsa_next_free_vgpr 1
		.amdhsa_next_free_sgpr 1
		.amdhsa_named_barrier_count 0
		.amdhsa_reserve_vcc 0
		.amdhsa_float_round_mode_32 0
		.amdhsa_float_round_mode_16_64 0
		.amdhsa_float_denorm_mode_32 3
		.amdhsa_float_denorm_mode_16_64 3
		.amdhsa_fp16_overflow 0
		.amdhsa_memory_ordered 1
		.amdhsa_forward_progress 1
		.amdhsa_inst_pref_size 0
		.amdhsa_round_robin_scheduling 0
		.amdhsa_exception_fp_ieee_invalid_op 0
		.amdhsa_exception_fp_denorm_src 0
		.amdhsa_exception_fp_ieee_div_zero 0
		.amdhsa_exception_fp_ieee_overflow 0
		.amdhsa_exception_fp_ieee_underflow 0
		.amdhsa_exception_fp_ieee_inexact 0
		.amdhsa_exception_int_div_zero 0
	.end_amdhsa_kernel
	.section	.text._ZN7rocprim17ROCPRIM_400000_NS6detail17trampoline_kernelINS0_14default_configENS1_38merge_sort_block_merge_config_selectorIiNS0_10empty_typeEEEZZNS1_27merge_sort_block_merge_implIS3_PiPS5_jNS1_19radix_merge_compareILb0ELb0EiNS0_19identity_decomposerEEEEE10hipError_tT0_T1_T2_jT3_P12ihipStream_tbPNSt15iterator_traitsISE_E10value_typeEPNSK_ISF_E10value_typeEPSG_NS1_7vsmem_tEENKUlT_SE_SF_SG_E_clIS8_S8_S9_S9_EESD_ST_SE_SF_SG_EUlST_E0_NS1_11comp_targetILNS1_3genE3ELNS1_11target_archE908ELNS1_3gpuE7ELNS1_3repE0EEENS1_38merge_mergepath_config_static_selectorELNS0_4arch9wavefront6targetE0EEEvSF_,"axG",@progbits,_ZN7rocprim17ROCPRIM_400000_NS6detail17trampoline_kernelINS0_14default_configENS1_38merge_sort_block_merge_config_selectorIiNS0_10empty_typeEEEZZNS1_27merge_sort_block_merge_implIS3_PiPS5_jNS1_19radix_merge_compareILb0ELb0EiNS0_19identity_decomposerEEEEE10hipError_tT0_T1_T2_jT3_P12ihipStream_tbPNSt15iterator_traitsISE_E10value_typeEPNSK_ISF_E10value_typeEPSG_NS1_7vsmem_tEENKUlT_SE_SF_SG_E_clIS8_S8_S9_S9_EESD_ST_SE_SF_SG_EUlST_E0_NS1_11comp_targetILNS1_3genE3ELNS1_11target_archE908ELNS1_3gpuE7ELNS1_3repE0EEENS1_38merge_mergepath_config_static_selectorELNS0_4arch9wavefront6targetE0EEEvSF_,comdat
.Lfunc_end906:
	.size	_ZN7rocprim17ROCPRIM_400000_NS6detail17trampoline_kernelINS0_14default_configENS1_38merge_sort_block_merge_config_selectorIiNS0_10empty_typeEEEZZNS1_27merge_sort_block_merge_implIS3_PiPS5_jNS1_19radix_merge_compareILb0ELb0EiNS0_19identity_decomposerEEEEE10hipError_tT0_T1_T2_jT3_P12ihipStream_tbPNSt15iterator_traitsISE_E10value_typeEPNSK_ISF_E10value_typeEPSG_NS1_7vsmem_tEENKUlT_SE_SF_SG_E_clIS8_S8_S9_S9_EESD_ST_SE_SF_SG_EUlST_E0_NS1_11comp_targetILNS1_3genE3ELNS1_11target_archE908ELNS1_3gpuE7ELNS1_3repE0EEENS1_38merge_mergepath_config_static_selectorELNS0_4arch9wavefront6targetE0EEEvSF_, .Lfunc_end906-_ZN7rocprim17ROCPRIM_400000_NS6detail17trampoline_kernelINS0_14default_configENS1_38merge_sort_block_merge_config_selectorIiNS0_10empty_typeEEEZZNS1_27merge_sort_block_merge_implIS3_PiPS5_jNS1_19radix_merge_compareILb0ELb0EiNS0_19identity_decomposerEEEEE10hipError_tT0_T1_T2_jT3_P12ihipStream_tbPNSt15iterator_traitsISE_E10value_typeEPNSK_ISF_E10value_typeEPSG_NS1_7vsmem_tEENKUlT_SE_SF_SG_E_clIS8_S8_S9_S9_EESD_ST_SE_SF_SG_EUlST_E0_NS1_11comp_targetILNS1_3genE3ELNS1_11target_archE908ELNS1_3gpuE7ELNS1_3repE0EEENS1_38merge_mergepath_config_static_selectorELNS0_4arch9wavefront6targetE0EEEvSF_
                                        ; -- End function
	.set _ZN7rocprim17ROCPRIM_400000_NS6detail17trampoline_kernelINS0_14default_configENS1_38merge_sort_block_merge_config_selectorIiNS0_10empty_typeEEEZZNS1_27merge_sort_block_merge_implIS3_PiPS5_jNS1_19radix_merge_compareILb0ELb0EiNS0_19identity_decomposerEEEEE10hipError_tT0_T1_T2_jT3_P12ihipStream_tbPNSt15iterator_traitsISE_E10value_typeEPNSK_ISF_E10value_typeEPSG_NS1_7vsmem_tEENKUlT_SE_SF_SG_E_clIS8_S8_S9_S9_EESD_ST_SE_SF_SG_EUlST_E0_NS1_11comp_targetILNS1_3genE3ELNS1_11target_archE908ELNS1_3gpuE7ELNS1_3repE0EEENS1_38merge_mergepath_config_static_selectorELNS0_4arch9wavefront6targetE0EEEvSF_.num_vgpr, 0
	.set _ZN7rocprim17ROCPRIM_400000_NS6detail17trampoline_kernelINS0_14default_configENS1_38merge_sort_block_merge_config_selectorIiNS0_10empty_typeEEEZZNS1_27merge_sort_block_merge_implIS3_PiPS5_jNS1_19radix_merge_compareILb0ELb0EiNS0_19identity_decomposerEEEEE10hipError_tT0_T1_T2_jT3_P12ihipStream_tbPNSt15iterator_traitsISE_E10value_typeEPNSK_ISF_E10value_typeEPSG_NS1_7vsmem_tEENKUlT_SE_SF_SG_E_clIS8_S8_S9_S9_EESD_ST_SE_SF_SG_EUlST_E0_NS1_11comp_targetILNS1_3genE3ELNS1_11target_archE908ELNS1_3gpuE7ELNS1_3repE0EEENS1_38merge_mergepath_config_static_selectorELNS0_4arch9wavefront6targetE0EEEvSF_.num_agpr, 0
	.set _ZN7rocprim17ROCPRIM_400000_NS6detail17trampoline_kernelINS0_14default_configENS1_38merge_sort_block_merge_config_selectorIiNS0_10empty_typeEEEZZNS1_27merge_sort_block_merge_implIS3_PiPS5_jNS1_19radix_merge_compareILb0ELb0EiNS0_19identity_decomposerEEEEE10hipError_tT0_T1_T2_jT3_P12ihipStream_tbPNSt15iterator_traitsISE_E10value_typeEPNSK_ISF_E10value_typeEPSG_NS1_7vsmem_tEENKUlT_SE_SF_SG_E_clIS8_S8_S9_S9_EESD_ST_SE_SF_SG_EUlST_E0_NS1_11comp_targetILNS1_3genE3ELNS1_11target_archE908ELNS1_3gpuE7ELNS1_3repE0EEENS1_38merge_mergepath_config_static_selectorELNS0_4arch9wavefront6targetE0EEEvSF_.numbered_sgpr, 0
	.set _ZN7rocprim17ROCPRIM_400000_NS6detail17trampoline_kernelINS0_14default_configENS1_38merge_sort_block_merge_config_selectorIiNS0_10empty_typeEEEZZNS1_27merge_sort_block_merge_implIS3_PiPS5_jNS1_19radix_merge_compareILb0ELb0EiNS0_19identity_decomposerEEEEE10hipError_tT0_T1_T2_jT3_P12ihipStream_tbPNSt15iterator_traitsISE_E10value_typeEPNSK_ISF_E10value_typeEPSG_NS1_7vsmem_tEENKUlT_SE_SF_SG_E_clIS8_S8_S9_S9_EESD_ST_SE_SF_SG_EUlST_E0_NS1_11comp_targetILNS1_3genE3ELNS1_11target_archE908ELNS1_3gpuE7ELNS1_3repE0EEENS1_38merge_mergepath_config_static_selectorELNS0_4arch9wavefront6targetE0EEEvSF_.num_named_barrier, 0
	.set _ZN7rocprim17ROCPRIM_400000_NS6detail17trampoline_kernelINS0_14default_configENS1_38merge_sort_block_merge_config_selectorIiNS0_10empty_typeEEEZZNS1_27merge_sort_block_merge_implIS3_PiPS5_jNS1_19radix_merge_compareILb0ELb0EiNS0_19identity_decomposerEEEEE10hipError_tT0_T1_T2_jT3_P12ihipStream_tbPNSt15iterator_traitsISE_E10value_typeEPNSK_ISF_E10value_typeEPSG_NS1_7vsmem_tEENKUlT_SE_SF_SG_E_clIS8_S8_S9_S9_EESD_ST_SE_SF_SG_EUlST_E0_NS1_11comp_targetILNS1_3genE3ELNS1_11target_archE908ELNS1_3gpuE7ELNS1_3repE0EEENS1_38merge_mergepath_config_static_selectorELNS0_4arch9wavefront6targetE0EEEvSF_.private_seg_size, 0
	.set _ZN7rocprim17ROCPRIM_400000_NS6detail17trampoline_kernelINS0_14default_configENS1_38merge_sort_block_merge_config_selectorIiNS0_10empty_typeEEEZZNS1_27merge_sort_block_merge_implIS3_PiPS5_jNS1_19radix_merge_compareILb0ELb0EiNS0_19identity_decomposerEEEEE10hipError_tT0_T1_T2_jT3_P12ihipStream_tbPNSt15iterator_traitsISE_E10value_typeEPNSK_ISF_E10value_typeEPSG_NS1_7vsmem_tEENKUlT_SE_SF_SG_E_clIS8_S8_S9_S9_EESD_ST_SE_SF_SG_EUlST_E0_NS1_11comp_targetILNS1_3genE3ELNS1_11target_archE908ELNS1_3gpuE7ELNS1_3repE0EEENS1_38merge_mergepath_config_static_selectorELNS0_4arch9wavefront6targetE0EEEvSF_.uses_vcc, 0
	.set _ZN7rocprim17ROCPRIM_400000_NS6detail17trampoline_kernelINS0_14default_configENS1_38merge_sort_block_merge_config_selectorIiNS0_10empty_typeEEEZZNS1_27merge_sort_block_merge_implIS3_PiPS5_jNS1_19radix_merge_compareILb0ELb0EiNS0_19identity_decomposerEEEEE10hipError_tT0_T1_T2_jT3_P12ihipStream_tbPNSt15iterator_traitsISE_E10value_typeEPNSK_ISF_E10value_typeEPSG_NS1_7vsmem_tEENKUlT_SE_SF_SG_E_clIS8_S8_S9_S9_EESD_ST_SE_SF_SG_EUlST_E0_NS1_11comp_targetILNS1_3genE3ELNS1_11target_archE908ELNS1_3gpuE7ELNS1_3repE0EEENS1_38merge_mergepath_config_static_selectorELNS0_4arch9wavefront6targetE0EEEvSF_.uses_flat_scratch, 0
	.set _ZN7rocprim17ROCPRIM_400000_NS6detail17trampoline_kernelINS0_14default_configENS1_38merge_sort_block_merge_config_selectorIiNS0_10empty_typeEEEZZNS1_27merge_sort_block_merge_implIS3_PiPS5_jNS1_19radix_merge_compareILb0ELb0EiNS0_19identity_decomposerEEEEE10hipError_tT0_T1_T2_jT3_P12ihipStream_tbPNSt15iterator_traitsISE_E10value_typeEPNSK_ISF_E10value_typeEPSG_NS1_7vsmem_tEENKUlT_SE_SF_SG_E_clIS8_S8_S9_S9_EESD_ST_SE_SF_SG_EUlST_E0_NS1_11comp_targetILNS1_3genE3ELNS1_11target_archE908ELNS1_3gpuE7ELNS1_3repE0EEENS1_38merge_mergepath_config_static_selectorELNS0_4arch9wavefront6targetE0EEEvSF_.has_dyn_sized_stack, 0
	.set _ZN7rocprim17ROCPRIM_400000_NS6detail17trampoline_kernelINS0_14default_configENS1_38merge_sort_block_merge_config_selectorIiNS0_10empty_typeEEEZZNS1_27merge_sort_block_merge_implIS3_PiPS5_jNS1_19radix_merge_compareILb0ELb0EiNS0_19identity_decomposerEEEEE10hipError_tT0_T1_T2_jT3_P12ihipStream_tbPNSt15iterator_traitsISE_E10value_typeEPNSK_ISF_E10value_typeEPSG_NS1_7vsmem_tEENKUlT_SE_SF_SG_E_clIS8_S8_S9_S9_EESD_ST_SE_SF_SG_EUlST_E0_NS1_11comp_targetILNS1_3genE3ELNS1_11target_archE908ELNS1_3gpuE7ELNS1_3repE0EEENS1_38merge_mergepath_config_static_selectorELNS0_4arch9wavefront6targetE0EEEvSF_.has_recursion, 0
	.set _ZN7rocprim17ROCPRIM_400000_NS6detail17trampoline_kernelINS0_14default_configENS1_38merge_sort_block_merge_config_selectorIiNS0_10empty_typeEEEZZNS1_27merge_sort_block_merge_implIS3_PiPS5_jNS1_19radix_merge_compareILb0ELb0EiNS0_19identity_decomposerEEEEE10hipError_tT0_T1_T2_jT3_P12ihipStream_tbPNSt15iterator_traitsISE_E10value_typeEPNSK_ISF_E10value_typeEPSG_NS1_7vsmem_tEENKUlT_SE_SF_SG_E_clIS8_S8_S9_S9_EESD_ST_SE_SF_SG_EUlST_E0_NS1_11comp_targetILNS1_3genE3ELNS1_11target_archE908ELNS1_3gpuE7ELNS1_3repE0EEENS1_38merge_mergepath_config_static_selectorELNS0_4arch9wavefront6targetE0EEEvSF_.has_indirect_call, 0
	.section	.AMDGPU.csdata,"",@progbits
; Kernel info:
; codeLenInByte = 0
; TotalNumSgprs: 0
; NumVgprs: 0
; ScratchSize: 0
; MemoryBound: 0
; FloatMode: 240
; IeeeMode: 1
; LDSByteSize: 0 bytes/workgroup (compile time only)
; SGPRBlocks: 0
; VGPRBlocks: 0
; NumSGPRsForWavesPerEU: 1
; NumVGPRsForWavesPerEU: 1
; NamedBarCnt: 0
; Occupancy: 16
; WaveLimiterHint : 0
; COMPUTE_PGM_RSRC2:SCRATCH_EN: 0
; COMPUTE_PGM_RSRC2:USER_SGPR: 2
; COMPUTE_PGM_RSRC2:TRAP_HANDLER: 0
; COMPUTE_PGM_RSRC2:TGID_X_EN: 1
; COMPUTE_PGM_RSRC2:TGID_Y_EN: 0
; COMPUTE_PGM_RSRC2:TGID_Z_EN: 0
; COMPUTE_PGM_RSRC2:TIDIG_COMP_CNT: 0
	.section	.text._ZN7rocprim17ROCPRIM_400000_NS6detail17trampoline_kernelINS0_14default_configENS1_38merge_sort_block_merge_config_selectorIiNS0_10empty_typeEEEZZNS1_27merge_sort_block_merge_implIS3_PiPS5_jNS1_19radix_merge_compareILb0ELb0EiNS0_19identity_decomposerEEEEE10hipError_tT0_T1_T2_jT3_P12ihipStream_tbPNSt15iterator_traitsISE_E10value_typeEPNSK_ISF_E10value_typeEPSG_NS1_7vsmem_tEENKUlT_SE_SF_SG_E_clIS8_S8_S9_S9_EESD_ST_SE_SF_SG_EUlST_E0_NS1_11comp_targetILNS1_3genE2ELNS1_11target_archE906ELNS1_3gpuE6ELNS1_3repE0EEENS1_38merge_mergepath_config_static_selectorELNS0_4arch9wavefront6targetE0EEEvSF_,"axG",@progbits,_ZN7rocprim17ROCPRIM_400000_NS6detail17trampoline_kernelINS0_14default_configENS1_38merge_sort_block_merge_config_selectorIiNS0_10empty_typeEEEZZNS1_27merge_sort_block_merge_implIS3_PiPS5_jNS1_19radix_merge_compareILb0ELb0EiNS0_19identity_decomposerEEEEE10hipError_tT0_T1_T2_jT3_P12ihipStream_tbPNSt15iterator_traitsISE_E10value_typeEPNSK_ISF_E10value_typeEPSG_NS1_7vsmem_tEENKUlT_SE_SF_SG_E_clIS8_S8_S9_S9_EESD_ST_SE_SF_SG_EUlST_E0_NS1_11comp_targetILNS1_3genE2ELNS1_11target_archE906ELNS1_3gpuE6ELNS1_3repE0EEENS1_38merge_mergepath_config_static_selectorELNS0_4arch9wavefront6targetE0EEEvSF_,comdat
	.protected	_ZN7rocprim17ROCPRIM_400000_NS6detail17trampoline_kernelINS0_14default_configENS1_38merge_sort_block_merge_config_selectorIiNS0_10empty_typeEEEZZNS1_27merge_sort_block_merge_implIS3_PiPS5_jNS1_19radix_merge_compareILb0ELb0EiNS0_19identity_decomposerEEEEE10hipError_tT0_T1_T2_jT3_P12ihipStream_tbPNSt15iterator_traitsISE_E10value_typeEPNSK_ISF_E10value_typeEPSG_NS1_7vsmem_tEENKUlT_SE_SF_SG_E_clIS8_S8_S9_S9_EESD_ST_SE_SF_SG_EUlST_E0_NS1_11comp_targetILNS1_3genE2ELNS1_11target_archE906ELNS1_3gpuE6ELNS1_3repE0EEENS1_38merge_mergepath_config_static_selectorELNS0_4arch9wavefront6targetE0EEEvSF_ ; -- Begin function _ZN7rocprim17ROCPRIM_400000_NS6detail17trampoline_kernelINS0_14default_configENS1_38merge_sort_block_merge_config_selectorIiNS0_10empty_typeEEEZZNS1_27merge_sort_block_merge_implIS3_PiPS5_jNS1_19radix_merge_compareILb0ELb0EiNS0_19identity_decomposerEEEEE10hipError_tT0_T1_T2_jT3_P12ihipStream_tbPNSt15iterator_traitsISE_E10value_typeEPNSK_ISF_E10value_typeEPSG_NS1_7vsmem_tEENKUlT_SE_SF_SG_E_clIS8_S8_S9_S9_EESD_ST_SE_SF_SG_EUlST_E0_NS1_11comp_targetILNS1_3genE2ELNS1_11target_archE906ELNS1_3gpuE6ELNS1_3repE0EEENS1_38merge_mergepath_config_static_selectorELNS0_4arch9wavefront6targetE0EEEvSF_
	.globl	_ZN7rocprim17ROCPRIM_400000_NS6detail17trampoline_kernelINS0_14default_configENS1_38merge_sort_block_merge_config_selectorIiNS0_10empty_typeEEEZZNS1_27merge_sort_block_merge_implIS3_PiPS5_jNS1_19radix_merge_compareILb0ELb0EiNS0_19identity_decomposerEEEEE10hipError_tT0_T1_T2_jT3_P12ihipStream_tbPNSt15iterator_traitsISE_E10value_typeEPNSK_ISF_E10value_typeEPSG_NS1_7vsmem_tEENKUlT_SE_SF_SG_E_clIS8_S8_S9_S9_EESD_ST_SE_SF_SG_EUlST_E0_NS1_11comp_targetILNS1_3genE2ELNS1_11target_archE906ELNS1_3gpuE6ELNS1_3repE0EEENS1_38merge_mergepath_config_static_selectorELNS0_4arch9wavefront6targetE0EEEvSF_
	.p2align	8
	.type	_ZN7rocprim17ROCPRIM_400000_NS6detail17trampoline_kernelINS0_14default_configENS1_38merge_sort_block_merge_config_selectorIiNS0_10empty_typeEEEZZNS1_27merge_sort_block_merge_implIS3_PiPS5_jNS1_19radix_merge_compareILb0ELb0EiNS0_19identity_decomposerEEEEE10hipError_tT0_T1_T2_jT3_P12ihipStream_tbPNSt15iterator_traitsISE_E10value_typeEPNSK_ISF_E10value_typeEPSG_NS1_7vsmem_tEENKUlT_SE_SF_SG_E_clIS8_S8_S9_S9_EESD_ST_SE_SF_SG_EUlST_E0_NS1_11comp_targetILNS1_3genE2ELNS1_11target_archE906ELNS1_3gpuE6ELNS1_3repE0EEENS1_38merge_mergepath_config_static_selectorELNS0_4arch9wavefront6targetE0EEEvSF_,@function
_ZN7rocprim17ROCPRIM_400000_NS6detail17trampoline_kernelINS0_14default_configENS1_38merge_sort_block_merge_config_selectorIiNS0_10empty_typeEEEZZNS1_27merge_sort_block_merge_implIS3_PiPS5_jNS1_19radix_merge_compareILb0ELb0EiNS0_19identity_decomposerEEEEE10hipError_tT0_T1_T2_jT3_P12ihipStream_tbPNSt15iterator_traitsISE_E10value_typeEPNSK_ISF_E10value_typeEPSG_NS1_7vsmem_tEENKUlT_SE_SF_SG_E_clIS8_S8_S9_S9_EESD_ST_SE_SF_SG_EUlST_E0_NS1_11comp_targetILNS1_3genE2ELNS1_11target_archE906ELNS1_3gpuE6ELNS1_3repE0EEENS1_38merge_mergepath_config_static_selectorELNS0_4arch9wavefront6targetE0EEEvSF_: ; @_ZN7rocprim17ROCPRIM_400000_NS6detail17trampoline_kernelINS0_14default_configENS1_38merge_sort_block_merge_config_selectorIiNS0_10empty_typeEEEZZNS1_27merge_sort_block_merge_implIS3_PiPS5_jNS1_19radix_merge_compareILb0ELb0EiNS0_19identity_decomposerEEEEE10hipError_tT0_T1_T2_jT3_P12ihipStream_tbPNSt15iterator_traitsISE_E10value_typeEPNSK_ISF_E10value_typeEPSG_NS1_7vsmem_tEENKUlT_SE_SF_SG_E_clIS8_S8_S9_S9_EESD_ST_SE_SF_SG_EUlST_E0_NS1_11comp_targetILNS1_3genE2ELNS1_11target_archE906ELNS1_3gpuE6ELNS1_3repE0EEENS1_38merge_mergepath_config_static_selectorELNS0_4arch9wavefront6targetE0EEEvSF_
; %bb.0:
	.section	.rodata,"a",@progbits
	.p2align	6, 0x0
	.amdhsa_kernel _ZN7rocprim17ROCPRIM_400000_NS6detail17trampoline_kernelINS0_14default_configENS1_38merge_sort_block_merge_config_selectorIiNS0_10empty_typeEEEZZNS1_27merge_sort_block_merge_implIS3_PiPS5_jNS1_19radix_merge_compareILb0ELb0EiNS0_19identity_decomposerEEEEE10hipError_tT0_T1_T2_jT3_P12ihipStream_tbPNSt15iterator_traitsISE_E10value_typeEPNSK_ISF_E10value_typeEPSG_NS1_7vsmem_tEENKUlT_SE_SF_SG_E_clIS8_S8_S9_S9_EESD_ST_SE_SF_SG_EUlST_E0_NS1_11comp_targetILNS1_3genE2ELNS1_11target_archE906ELNS1_3gpuE6ELNS1_3repE0EEENS1_38merge_mergepath_config_static_selectorELNS0_4arch9wavefront6targetE0EEEvSF_
		.amdhsa_group_segment_fixed_size 0
		.amdhsa_private_segment_fixed_size 0
		.amdhsa_kernarg_size 64
		.amdhsa_user_sgpr_count 2
		.amdhsa_user_sgpr_dispatch_ptr 0
		.amdhsa_user_sgpr_queue_ptr 0
		.amdhsa_user_sgpr_kernarg_segment_ptr 1
		.amdhsa_user_sgpr_dispatch_id 0
		.amdhsa_user_sgpr_kernarg_preload_length 0
		.amdhsa_user_sgpr_kernarg_preload_offset 0
		.amdhsa_user_sgpr_private_segment_size 0
		.amdhsa_wavefront_size32 1
		.amdhsa_uses_dynamic_stack 0
		.amdhsa_enable_private_segment 0
		.amdhsa_system_sgpr_workgroup_id_x 1
		.amdhsa_system_sgpr_workgroup_id_y 0
		.amdhsa_system_sgpr_workgroup_id_z 0
		.amdhsa_system_sgpr_workgroup_info 0
		.amdhsa_system_vgpr_workitem_id 0
		.amdhsa_next_free_vgpr 1
		.amdhsa_next_free_sgpr 1
		.amdhsa_named_barrier_count 0
		.amdhsa_reserve_vcc 0
		.amdhsa_float_round_mode_32 0
		.amdhsa_float_round_mode_16_64 0
		.amdhsa_float_denorm_mode_32 3
		.amdhsa_float_denorm_mode_16_64 3
		.amdhsa_fp16_overflow 0
		.amdhsa_memory_ordered 1
		.amdhsa_forward_progress 1
		.amdhsa_inst_pref_size 0
		.amdhsa_round_robin_scheduling 0
		.amdhsa_exception_fp_ieee_invalid_op 0
		.amdhsa_exception_fp_denorm_src 0
		.amdhsa_exception_fp_ieee_div_zero 0
		.amdhsa_exception_fp_ieee_overflow 0
		.amdhsa_exception_fp_ieee_underflow 0
		.amdhsa_exception_fp_ieee_inexact 0
		.amdhsa_exception_int_div_zero 0
	.end_amdhsa_kernel
	.section	.text._ZN7rocprim17ROCPRIM_400000_NS6detail17trampoline_kernelINS0_14default_configENS1_38merge_sort_block_merge_config_selectorIiNS0_10empty_typeEEEZZNS1_27merge_sort_block_merge_implIS3_PiPS5_jNS1_19radix_merge_compareILb0ELb0EiNS0_19identity_decomposerEEEEE10hipError_tT0_T1_T2_jT3_P12ihipStream_tbPNSt15iterator_traitsISE_E10value_typeEPNSK_ISF_E10value_typeEPSG_NS1_7vsmem_tEENKUlT_SE_SF_SG_E_clIS8_S8_S9_S9_EESD_ST_SE_SF_SG_EUlST_E0_NS1_11comp_targetILNS1_3genE2ELNS1_11target_archE906ELNS1_3gpuE6ELNS1_3repE0EEENS1_38merge_mergepath_config_static_selectorELNS0_4arch9wavefront6targetE0EEEvSF_,"axG",@progbits,_ZN7rocprim17ROCPRIM_400000_NS6detail17trampoline_kernelINS0_14default_configENS1_38merge_sort_block_merge_config_selectorIiNS0_10empty_typeEEEZZNS1_27merge_sort_block_merge_implIS3_PiPS5_jNS1_19radix_merge_compareILb0ELb0EiNS0_19identity_decomposerEEEEE10hipError_tT0_T1_T2_jT3_P12ihipStream_tbPNSt15iterator_traitsISE_E10value_typeEPNSK_ISF_E10value_typeEPSG_NS1_7vsmem_tEENKUlT_SE_SF_SG_E_clIS8_S8_S9_S9_EESD_ST_SE_SF_SG_EUlST_E0_NS1_11comp_targetILNS1_3genE2ELNS1_11target_archE906ELNS1_3gpuE6ELNS1_3repE0EEENS1_38merge_mergepath_config_static_selectorELNS0_4arch9wavefront6targetE0EEEvSF_,comdat
.Lfunc_end907:
	.size	_ZN7rocprim17ROCPRIM_400000_NS6detail17trampoline_kernelINS0_14default_configENS1_38merge_sort_block_merge_config_selectorIiNS0_10empty_typeEEEZZNS1_27merge_sort_block_merge_implIS3_PiPS5_jNS1_19radix_merge_compareILb0ELb0EiNS0_19identity_decomposerEEEEE10hipError_tT0_T1_T2_jT3_P12ihipStream_tbPNSt15iterator_traitsISE_E10value_typeEPNSK_ISF_E10value_typeEPSG_NS1_7vsmem_tEENKUlT_SE_SF_SG_E_clIS8_S8_S9_S9_EESD_ST_SE_SF_SG_EUlST_E0_NS1_11comp_targetILNS1_3genE2ELNS1_11target_archE906ELNS1_3gpuE6ELNS1_3repE0EEENS1_38merge_mergepath_config_static_selectorELNS0_4arch9wavefront6targetE0EEEvSF_, .Lfunc_end907-_ZN7rocprim17ROCPRIM_400000_NS6detail17trampoline_kernelINS0_14default_configENS1_38merge_sort_block_merge_config_selectorIiNS0_10empty_typeEEEZZNS1_27merge_sort_block_merge_implIS3_PiPS5_jNS1_19radix_merge_compareILb0ELb0EiNS0_19identity_decomposerEEEEE10hipError_tT0_T1_T2_jT3_P12ihipStream_tbPNSt15iterator_traitsISE_E10value_typeEPNSK_ISF_E10value_typeEPSG_NS1_7vsmem_tEENKUlT_SE_SF_SG_E_clIS8_S8_S9_S9_EESD_ST_SE_SF_SG_EUlST_E0_NS1_11comp_targetILNS1_3genE2ELNS1_11target_archE906ELNS1_3gpuE6ELNS1_3repE0EEENS1_38merge_mergepath_config_static_selectorELNS0_4arch9wavefront6targetE0EEEvSF_
                                        ; -- End function
	.set _ZN7rocprim17ROCPRIM_400000_NS6detail17trampoline_kernelINS0_14default_configENS1_38merge_sort_block_merge_config_selectorIiNS0_10empty_typeEEEZZNS1_27merge_sort_block_merge_implIS3_PiPS5_jNS1_19radix_merge_compareILb0ELb0EiNS0_19identity_decomposerEEEEE10hipError_tT0_T1_T2_jT3_P12ihipStream_tbPNSt15iterator_traitsISE_E10value_typeEPNSK_ISF_E10value_typeEPSG_NS1_7vsmem_tEENKUlT_SE_SF_SG_E_clIS8_S8_S9_S9_EESD_ST_SE_SF_SG_EUlST_E0_NS1_11comp_targetILNS1_3genE2ELNS1_11target_archE906ELNS1_3gpuE6ELNS1_3repE0EEENS1_38merge_mergepath_config_static_selectorELNS0_4arch9wavefront6targetE0EEEvSF_.num_vgpr, 0
	.set _ZN7rocprim17ROCPRIM_400000_NS6detail17trampoline_kernelINS0_14default_configENS1_38merge_sort_block_merge_config_selectorIiNS0_10empty_typeEEEZZNS1_27merge_sort_block_merge_implIS3_PiPS5_jNS1_19radix_merge_compareILb0ELb0EiNS0_19identity_decomposerEEEEE10hipError_tT0_T1_T2_jT3_P12ihipStream_tbPNSt15iterator_traitsISE_E10value_typeEPNSK_ISF_E10value_typeEPSG_NS1_7vsmem_tEENKUlT_SE_SF_SG_E_clIS8_S8_S9_S9_EESD_ST_SE_SF_SG_EUlST_E0_NS1_11comp_targetILNS1_3genE2ELNS1_11target_archE906ELNS1_3gpuE6ELNS1_3repE0EEENS1_38merge_mergepath_config_static_selectorELNS0_4arch9wavefront6targetE0EEEvSF_.num_agpr, 0
	.set _ZN7rocprim17ROCPRIM_400000_NS6detail17trampoline_kernelINS0_14default_configENS1_38merge_sort_block_merge_config_selectorIiNS0_10empty_typeEEEZZNS1_27merge_sort_block_merge_implIS3_PiPS5_jNS1_19radix_merge_compareILb0ELb0EiNS0_19identity_decomposerEEEEE10hipError_tT0_T1_T2_jT3_P12ihipStream_tbPNSt15iterator_traitsISE_E10value_typeEPNSK_ISF_E10value_typeEPSG_NS1_7vsmem_tEENKUlT_SE_SF_SG_E_clIS8_S8_S9_S9_EESD_ST_SE_SF_SG_EUlST_E0_NS1_11comp_targetILNS1_3genE2ELNS1_11target_archE906ELNS1_3gpuE6ELNS1_3repE0EEENS1_38merge_mergepath_config_static_selectorELNS0_4arch9wavefront6targetE0EEEvSF_.numbered_sgpr, 0
	.set _ZN7rocprim17ROCPRIM_400000_NS6detail17trampoline_kernelINS0_14default_configENS1_38merge_sort_block_merge_config_selectorIiNS0_10empty_typeEEEZZNS1_27merge_sort_block_merge_implIS3_PiPS5_jNS1_19radix_merge_compareILb0ELb0EiNS0_19identity_decomposerEEEEE10hipError_tT0_T1_T2_jT3_P12ihipStream_tbPNSt15iterator_traitsISE_E10value_typeEPNSK_ISF_E10value_typeEPSG_NS1_7vsmem_tEENKUlT_SE_SF_SG_E_clIS8_S8_S9_S9_EESD_ST_SE_SF_SG_EUlST_E0_NS1_11comp_targetILNS1_3genE2ELNS1_11target_archE906ELNS1_3gpuE6ELNS1_3repE0EEENS1_38merge_mergepath_config_static_selectorELNS0_4arch9wavefront6targetE0EEEvSF_.num_named_barrier, 0
	.set _ZN7rocprim17ROCPRIM_400000_NS6detail17trampoline_kernelINS0_14default_configENS1_38merge_sort_block_merge_config_selectorIiNS0_10empty_typeEEEZZNS1_27merge_sort_block_merge_implIS3_PiPS5_jNS1_19radix_merge_compareILb0ELb0EiNS0_19identity_decomposerEEEEE10hipError_tT0_T1_T2_jT3_P12ihipStream_tbPNSt15iterator_traitsISE_E10value_typeEPNSK_ISF_E10value_typeEPSG_NS1_7vsmem_tEENKUlT_SE_SF_SG_E_clIS8_S8_S9_S9_EESD_ST_SE_SF_SG_EUlST_E0_NS1_11comp_targetILNS1_3genE2ELNS1_11target_archE906ELNS1_3gpuE6ELNS1_3repE0EEENS1_38merge_mergepath_config_static_selectorELNS0_4arch9wavefront6targetE0EEEvSF_.private_seg_size, 0
	.set _ZN7rocprim17ROCPRIM_400000_NS6detail17trampoline_kernelINS0_14default_configENS1_38merge_sort_block_merge_config_selectorIiNS0_10empty_typeEEEZZNS1_27merge_sort_block_merge_implIS3_PiPS5_jNS1_19radix_merge_compareILb0ELb0EiNS0_19identity_decomposerEEEEE10hipError_tT0_T1_T2_jT3_P12ihipStream_tbPNSt15iterator_traitsISE_E10value_typeEPNSK_ISF_E10value_typeEPSG_NS1_7vsmem_tEENKUlT_SE_SF_SG_E_clIS8_S8_S9_S9_EESD_ST_SE_SF_SG_EUlST_E0_NS1_11comp_targetILNS1_3genE2ELNS1_11target_archE906ELNS1_3gpuE6ELNS1_3repE0EEENS1_38merge_mergepath_config_static_selectorELNS0_4arch9wavefront6targetE0EEEvSF_.uses_vcc, 0
	.set _ZN7rocprim17ROCPRIM_400000_NS6detail17trampoline_kernelINS0_14default_configENS1_38merge_sort_block_merge_config_selectorIiNS0_10empty_typeEEEZZNS1_27merge_sort_block_merge_implIS3_PiPS5_jNS1_19radix_merge_compareILb0ELb0EiNS0_19identity_decomposerEEEEE10hipError_tT0_T1_T2_jT3_P12ihipStream_tbPNSt15iterator_traitsISE_E10value_typeEPNSK_ISF_E10value_typeEPSG_NS1_7vsmem_tEENKUlT_SE_SF_SG_E_clIS8_S8_S9_S9_EESD_ST_SE_SF_SG_EUlST_E0_NS1_11comp_targetILNS1_3genE2ELNS1_11target_archE906ELNS1_3gpuE6ELNS1_3repE0EEENS1_38merge_mergepath_config_static_selectorELNS0_4arch9wavefront6targetE0EEEvSF_.uses_flat_scratch, 0
	.set _ZN7rocprim17ROCPRIM_400000_NS6detail17trampoline_kernelINS0_14default_configENS1_38merge_sort_block_merge_config_selectorIiNS0_10empty_typeEEEZZNS1_27merge_sort_block_merge_implIS3_PiPS5_jNS1_19radix_merge_compareILb0ELb0EiNS0_19identity_decomposerEEEEE10hipError_tT0_T1_T2_jT3_P12ihipStream_tbPNSt15iterator_traitsISE_E10value_typeEPNSK_ISF_E10value_typeEPSG_NS1_7vsmem_tEENKUlT_SE_SF_SG_E_clIS8_S8_S9_S9_EESD_ST_SE_SF_SG_EUlST_E0_NS1_11comp_targetILNS1_3genE2ELNS1_11target_archE906ELNS1_3gpuE6ELNS1_3repE0EEENS1_38merge_mergepath_config_static_selectorELNS0_4arch9wavefront6targetE0EEEvSF_.has_dyn_sized_stack, 0
	.set _ZN7rocprim17ROCPRIM_400000_NS6detail17trampoline_kernelINS0_14default_configENS1_38merge_sort_block_merge_config_selectorIiNS0_10empty_typeEEEZZNS1_27merge_sort_block_merge_implIS3_PiPS5_jNS1_19radix_merge_compareILb0ELb0EiNS0_19identity_decomposerEEEEE10hipError_tT0_T1_T2_jT3_P12ihipStream_tbPNSt15iterator_traitsISE_E10value_typeEPNSK_ISF_E10value_typeEPSG_NS1_7vsmem_tEENKUlT_SE_SF_SG_E_clIS8_S8_S9_S9_EESD_ST_SE_SF_SG_EUlST_E0_NS1_11comp_targetILNS1_3genE2ELNS1_11target_archE906ELNS1_3gpuE6ELNS1_3repE0EEENS1_38merge_mergepath_config_static_selectorELNS0_4arch9wavefront6targetE0EEEvSF_.has_recursion, 0
	.set _ZN7rocprim17ROCPRIM_400000_NS6detail17trampoline_kernelINS0_14default_configENS1_38merge_sort_block_merge_config_selectorIiNS0_10empty_typeEEEZZNS1_27merge_sort_block_merge_implIS3_PiPS5_jNS1_19radix_merge_compareILb0ELb0EiNS0_19identity_decomposerEEEEE10hipError_tT0_T1_T2_jT3_P12ihipStream_tbPNSt15iterator_traitsISE_E10value_typeEPNSK_ISF_E10value_typeEPSG_NS1_7vsmem_tEENKUlT_SE_SF_SG_E_clIS8_S8_S9_S9_EESD_ST_SE_SF_SG_EUlST_E0_NS1_11comp_targetILNS1_3genE2ELNS1_11target_archE906ELNS1_3gpuE6ELNS1_3repE0EEENS1_38merge_mergepath_config_static_selectorELNS0_4arch9wavefront6targetE0EEEvSF_.has_indirect_call, 0
	.section	.AMDGPU.csdata,"",@progbits
; Kernel info:
; codeLenInByte = 0
; TotalNumSgprs: 0
; NumVgprs: 0
; ScratchSize: 0
; MemoryBound: 0
; FloatMode: 240
; IeeeMode: 1
; LDSByteSize: 0 bytes/workgroup (compile time only)
; SGPRBlocks: 0
; VGPRBlocks: 0
; NumSGPRsForWavesPerEU: 1
; NumVGPRsForWavesPerEU: 1
; NamedBarCnt: 0
; Occupancy: 16
; WaveLimiterHint : 0
; COMPUTE_PGM_RSRC2:SCRATCH_EN: 0
; COMPUTE_PGM_RSRC2:USER_SGPR: 2
; COMPUTE_PGM_RSRC2:TRAP_HANDLER: 0
; COMPUTE_PGM_RSRC2:TGID_X_EN: 1
; COMPUTE_PGM_RSRC2:TGID_Y_EN: 0
; COMPUTE_PGM_RSRC2:TGID_Z_EN: 0
; COMPUTE_PGM_RSRC2:TIDIG_COMP_CNT: 0
	.section	.text._ZN7rocprim17ROCPRIM_400000_NS6detail17trampoline_kernelINS0_14default_configENS1_38merge_sort_block_merge_config_selectorIiNS0_10empty_typeEEEZZNS1_27merge_sort_block_merge_implIS3_PiPS5_jNS1_19radix_merge_compareILb0ELb0EiNS0_19identity_decomposerEEEEE10hipError_tT0_T1_T2_jT3_P12ihipStream_tbPNSt15iterator_traitsISE_E10value_typeEPNSK_ISF_E10value_typeEPSG_NS1_7vsmem_tEENKUlT_SE_SF_SG_E_clIS8_S8_S9_S9_EESD_ST_SE_SF_SG_EUlST_E0_NS1_11comp_targetILNS1_3genE9ELNS1_11target_archE1100ELNS1_3gpuE3ELNS1_3repE0EEENS1_38merge_mergepath_config_static_selectorELNS0_4arch9wavefront6targetE0EEEvSF_,"axG",@progbits,_ZN7rocprim17ROCPRIM_400000_NS6detail17trampoline_kernelINS0_14default_configENS1_38merge_sort_block_merge_config_selectorIiNS0_10empty_typeEEEZZNS1_27merge_sort_block_merge_implIS3_PiPS5_jNS1_19radix_merge_compareILb0ELb0EiNS0_19identity_decomposerEEEEE10hipError_tT0_T1_T2_jT3_P12ihipStream_tbPNSt15iterator_traitsISE_E10value_typeEPNSK_ISF_E10value_typeEPSG_NS1_7vsmem_tEENKUlT_SE_SF_SG_E_clIS8_S8_S9_S9_EESD_ST_SE_SF_SG_EUlST_E0_NS1_11comp_targetILNS1_3genE9ELNS1_11target_archE1100ELNS1_3gpuE3ELNS1_3repE0EEENS1_38merge_mergepath_config_static_selectorELNS0_4arch9wavefront6targetE0EEEvSF_,comdat
	.protected	_ZN7rocprim17ROCPRIM_400000_NS6detail17trampoline_kernelINS0_14default_configENS1_38merge_sort_block_merge_config_selectorIiNS0_10empty_typeEEEZZNS1_27merge_sort_block_merge_implIS3_PiPS5_jNS1_19radix_merge_compareILb0ELb0EiNS0_19identity_decomposerEEEEE10hipError_tT0_T1_T2_jT3_P12ihipStream_tbPNSt15iterator_traitsISE_E10value_typeEPNSK_ISF_E10value_typeEPSG_NS1_7vsmem_tEENKUlT_SE_SF_SG_E_clIS8_S8_S9_S9_EESD_ST_SE_SF_SG_EUlST_E0_NS1_11comp_targetILNS1_3genE9ELNS1_11target_archE1100ELNS1_3gpuE3ELNS1_3repE0EEENS1_38merge_mergepath_config_static_selectorELNS0_4arch9wavefront6targetE0EEEvSF_ ; -- Begin function _ZN7rocprim17ROCPRIM_400000_NS6detail17trampoline_kernelINS0_14default_configENS1_38merge_sort_block_merge_config_selectorIiNS0_10empty_typeEEEZZNS1_27merge_sort_block_merge_implIS3_PiPS5_jNS1_19radix_merge_compareILb0ELb0EiNS0_19identity_decomposerEEEEE10hipError_tT0_T1_T2_jT3_P12ihipStream_tbPNSt15iterator_traitsISE_E10value_typeEPNSK_ISF_E10value_typeEPSG_NS1_7vsmem_tEENKUlT_SE_SF_SG_E_clIS8_S8_S9_S9_EESD_ST_SE_SF_SG_EUlST_E0_NS1_11comp_targetILNS1_3genE9ELNS1_11target_archE1100ELNS1_3gpuE3ELNS1_3repE0EEENS1_38merge_mergepath_config_static_selectorELNS0_4arch9wavefront6targetE0EEEvSF_
	.globl	_ZN7rocprim17ROCPRIM_400000_NS6detail17trampoline_kernelINS0_14default_configENS1_38merge_sort_block_merge_config_selectorIiNS0_10empty_typeEEEZZNS1_27merge_sort_block_merge_implIS3_PiPS5_jNS1_19radix_merge_compareILb0ELb0EiNS0_19identity_decomposerEEEEE10hipError_tT0_T1_T2_jT3_P12ihipStream_tbPNSt15iterator_traitsISE_E10value_typeEPNSK_ISF_E10value_typeEPSG_NS1_7vsmem_tEENKUlT_SE_SF_SG_E_clIS8_S8_S9_S9_EESD_ST_SE_SF_SG_EUlST_E0_NS1_11comp_targetILNS1_3genE9ELNS1_11target_archE1100ELNS1_3gpuE3ELNS1_3repE0EEENS1_38merge_mergepath_config_static_selectorELNS0_4arch9wavefront6targetE0EEEvSF_
	.p2align	8
	.type	_ZN7rocprim17ROCPRIM_400000_NS6detail17trampoline_kernelINS0_14default_configENS1_38merge_sort_block_merge_config_selectorIiNS0_10empty_typeEEEZZNS1_27merge_sort_block_merge_implIS3_PiPS5_jNS1_19radix_merge_compareILb0ELb0EiNS0_19identity_decomposerEEEEE10hipError_tT0_T1_T2_jT3_P12ihipStream_tbPNSt15iterator_traitsISE_E10value_typeEPNSK_ISF_E10value_typeEPSG_NS1_7vsmem_tEENKUlT_SE_SF_SG_E_clIS8_S8_S9_S9_EESD_ST_SE_SF_SG_EUlST_E0_NS1_11comp_targetILNS1_3genE9ELNS1_11target_archE1100ELNS1_3gpuE3ELNS1_3repE0EEENS1_38merge_mergepath_config_static_selectorELNS0_4arch9wavefront6targetE0EEEvSF_,@function
_ZN7rocprim17ROCPRIM_400000_NS6detail17trampoline_kernelINS0_14default_configENS1_38merge_sort_block_merge_config_selectorIiNS0_10empty_typeEEEZZNS1_27merge_sort_block_merge_implIS3_PiPS5_jNS1_19radix_merge_compareILb0ELb0EiNS0_19identity_decomposerEEEEE10hipError_tT0_T1_T2_jT3_P12ihipStream_tbPNSt15iterator_traitsISE_E10value_typeEPNSK_ISF_E10value_typeEPSG_NS1_7vsmem_tEENKUlT_SE_SF_SG_E_clIS8_S8_S9_S9_EESD_ST_SE_SF_SG_EUlST_E0_NS1_11comp_targetILNS1_3genE9ELNS1_11target_archE1100ELNS1_3gpuE3ELNS1_3repE0EEENS1_38merge_mergepath_config_static_selectorELNS0_4arch9wavefront6targetE0EEEvSF_: ; @_ZN7rocprim17ROCPRIM_400000_NS6detail17trampoline_kernelINS0_14default_configENS1_38merge_sort_block_merge_config_selectorIiNS0_10empty_typeEEEZZNS1_27merge_sort_block_merge_implIS3_PiPS5_jNS1_19radix_merge_compareILb0ELb0EiNS0_19identity_decomposerEEEEE10hipError_tT0_T1_T2_jT3_P12ihipStream_tbPNSt15iterator_traitsISE_E10value_typeEPNSK_ISF_E10value_typeEPSG_NS1_7vsmem_tEENKUlT_SE_SF_SG_E_clIS8_S8_S9_S9_EESD_ST_SE_SF_SG_EUlST_E0_NS1_11comp_targetILNS1_3genE9ELNS1_11target_archE1100ELNS1_3gpuE3ELNS1_3repE0EEENS1_38merge_mergepath_config_static_selectorELNS0_4arch9wavefront6targetE0EEEvSF_
; %bb.0:
	.section	.rodata,"a",@progbits
	.p2align	6, 0x0
	.amdhsa_kernel _ZN7rocprim17ROCPRIM_400000_NS6detail17trampoline_kernelINS0_14default_configENS1_38merge_sort_block_merge_config_selectorIiNS0_10empty_typeEEEZZNS1_27merge_sort_block_merge_implIS3_PiPS5_jNS1_19radix_merge_compareILb0ELb0EiNS0_19identity_decomposerEEEEE10hipError_tT0_T1_T2_jT3_P12ihipStream_tbPNSt15iterator_traitsISE_E10value_typeEPNSK_ISF_E10value_typeEPSG_NS1_7vsmem_tEENKUlT_SE_SF_SG_E_clIS8_S8_S9_S9_EESD_ST_SE_SF_SG_EUlST_E0_NS1_11comp_targetILNS1_3genE9ELNS1_11target_archE1100ELNS1_3gpuE3ELNS1_3repE0EEENS1_38merge_mergepath_config_static_selectorELNS0_4arch9wavefront6targetE0EEEvSF_
		.amdhsa_group_segment_fixed_size 0
		.amdhsa_private_segment_fixed_size 0
		.amdhsa_kernarg_size 64
		.amdhsa_user_sgpr_count 2
		.amdhsa_user_sgpr_dispatch_ptr 0
		.amdhsa_user_sgpr_queue_ptr 0
		.amdhsa_user_sgpr_kernarg_segment_ptr 1
		.amdhsa_user_sgpr_dispatch_id 0
		.amdhsa_user_sgpr_kernarg_preload_length 0
		.amdhsa_user_sgpr_kernarg_preload_offset 0
		.amdhsa_user_sgpr_private_segment_size 0
		.amdhsa_wavefront_size32 1
		.amdhsa_uses_dynamic_stack 0
		.amdhsa_enable_private_segment 0
		.amdhsa_system_sgpr_workgroup_id_x 1
		.amdhsa_system_sgpr_workgroup_id_y 0
		.amdhsa_system_sgpr_workgroup_id_z 0
		.amdhsa_system_sgpr_workgroup_info 0
		.amdhsa_system_vgpr_workitem_id 0
		.amdhsa_next_free_vgpr 1
		.amdhsa_next_free_sgpr 1
		.amdhsa_named_barrier_count 0
		.amdhsa_reserve_vcc 0
		.amdhsa_float_round_mode_32 0
		.amdhsa_float_round_mode_16_64 0
		.amdhsa_float_denorm_mode_32 3
		.amdhsa_float_denorm_mode_16_64 3
		.amdhsa_fp16_overflow 0
		.amdhsa_memory_ordered 1
		.amdhsa_forward_progress 1
		.amdhsa_inst_pref_size 0
		.amdhsa_round_robin_scheduling 0
		.amdhsa_exception_fp_ieee_invalid_op 0
		.amdhsa_exception_fp_denorm_src 0
		.amdhsa_exception_fp_ieee_div_zero 0
		.amdhsa_exception_fp_ieee_overflow 0
		.amdhsa_exception_fp_ieee_underflow 0
		.amdhsa_exception_fp_ieee_inexact 0
		.amdhsa_exception_int_div_zero 0
	.end_amdhsa_kernel
	.section	.text._ZN7rocprim17ROCPRIM_400000_NS6detail17trampoline_kernelINS0_14default_configENS1_38merge_sort_block_merge_config_selectorIiNS0_10empty_typeEEEZZNS1_27merge_sort_block_merge_implIS3_PiPS5_jNS1_19radix_merge_compareILb0ELb0EiNS0_19identity_decomposerEEEEE10hipError_tT0_T1_T2_jT3_P12ihipStream_tbPNSt15iterator_traitsISE_E10value_typeEPNSK_ISF_E10value_typeEPSG_NS1_7vsmem_tEENKUlT_SE_SF_SG_E_clIS8_S8_S9_S9_EESD_ST_SE_SF_SG_EUlST_E0_NS1_11comp_targetILNS1_3genE9ELNS1_11target_archE1100ELNS1_3gpuE3ELNS1_3repE0EEENS1_38merge_mergepath_config_static_selectorELNS0_4arch9wavefront6targetE0EEEvSF_,"axG",@progbits,_ZN7rocprim17ROCPRIM_400000_NS6detail17trampoline_kernelINS0_14default_configENS1_38merge_sort_block_merge_config_selectorIiNS0_10empty_typeEEEZZNS1_27merge_sort_block_merge_implIS3_PiPS5_jNS1_19radix_merge_compareILb0ELb0EiNS0_19identity_decomposerEEEEE10hipError_tT0_T1_T2_jT3_P12ihipStream_tbPNSt15iterator_traitsISE_E10value_typeEPNSK_ISF_E10value_typeEPSG_NS1_7vsmem_tEENKUlT_SE_SF_SG_E_clIS8_S8_S9_S9_EESD_ST_SE_SF_SG_EUlST_E0_NS1_11comp_targetILNS1_3genE9ELNS1_11target_archE1100ELNS1_3gpuE3ELNS1_3repE0EEENS1_38merge_mergepath_config_static_selectorELNS0_4arch9wavefront6targetE0EEEvSF_,comdat
.Lfunc_end908:
	.size	_ZN7rocprim17ROCPRIM_400000_NS6detail17trampoline_kernelINS0_14default_configENS1_38merge_sort_block_merge_config_selectorIiNS0_10empty_typeEEEZZNS1_27merge_sort_block_merge_implIS3_PiPS5_jNS1_19radix_merge_compareILb0ELb0EiNS0_19identity_decomposerEEEEE10hipError_tT0_T1_T2_jT3_P12ihipStream_tbPNSt15iterator_traitsISE_E10value_typeEPNSK_ISF_E10value_typeEPSG_NS1_7vsmem_tEENKUlT_SE_SF_SG_E_clIS8_S8_S9_S9_EESD_ST_SE_SF_SG_EUlST_E0_NS1_11comp_targetILNS1_3genE9ELNS1_11target_archE1100ELNS1_3gpuE3ELNS1_3repE0EEENS1_38merge_mergepath_config_static_selectorELNS0_4arch9wavefront6targetE0EEEvSF_, .Lfunc_end908-_ZN7rocprim17ROCPRIM_400000_NS6detail17trampoline_kernelINS0_14default_configENS1_38merge_sort_block_merge_config_selectorIiNS0_10empty_typeEEEZZNS1_27merge_sort_block_merge_implIS3_PiPS5_jNS1_19radix_merge_compareILb0ELb0EiNS0_19identity_decomposerEEEEE10hipError_tT0_T1_T2_jT3_P12ihipStream_tbPNSt15iterator_traitsISE_E10value_typeEPNSK_ISF_E10value_typeEPSG_NS1_7vsmem_tEENKUlT_SE_SF_SG_E_clIS8_S8_S9_S9_EESD_ST_SE_SF_SG_EUlST_E0_NS1_11comp_targetILNS1_3genE9ELNS1_11target_archE1100ELNS1_3gpuE3ELNS1_3repE0EEENS1_38merge_mergepath_config_static_selectorELNS0_4arch9wavefront6targetE0EEEvSF_
                                        ; -- End function
	.set _ZN7rocprim17ROCPRIM_400000_NS6detail17trampoline_kernelINS0_14default_configENS1_38merge_sort_block_merge_config_selectorIiNS0_10empty_typeEEEZZNS1_27merge_sort_block_merge_implIS3_PiPS5_jNS1_19radix_merge_compareILb0ELb0EiNS0_19identity_decomposerEEEEE10hipError_tT0_T1_T2_jT3_P12ihipStream_tbPNSt15iterator_traitsISE_E10value_typeEPNSK_ISF_E10value_typeEPSG_NS1_7vsmem_tEENKUlT_SE_SF_SG_E_clIS8_S8_S9_S9_EESD_ST_SE_SF_SG_EUlST_E0_NS1_11comp_targetILNS1_3genE9ELNS1_11target_archE1100ELNS1_3gpuE3ELNS1_3repE0EEENS1_38merge_mergepath_config_static_selectorELNS0_4arch9wavefront6targetE0EEEvSF_.num_vgpr, 0
	.set _ZN7rocprim17ROCPRIM_400000_NS6detail17trampoline_kernelINS0_14default_configENS1_38merge_sort_block_merge_config_selectorIiNS0_10empty_typeEEEZZNS1_27merge_sort_block_merge_implIS3_PiPS5_jNS1_19radix_merge_compareILb0ELb0EiNS0_19identity_decomposerEEEEE10hipError_tT0_T1_T2_jT3_P12ihipStream_tbPNSt15iterator_traitsISE_E10value_typeEPNSK_ISF_E10value_typeEPSG_NS1_7vsmem_tEENKUlT_SE_SF_SG_E_clIS8_S8_S9_S9_EESD_ST_SE_SF_SG_EUlST_E0_NS1_11comp_targetILNS1_3genE9ELNS1_11target_archE1100ELNS1_3gpuE3ELNS1_3repE0EEENS1_38merge_mergepath_config_static_selectorELNS0_4arch9wavefront6targetE0EEEvSF_.num_agpr, 0
	.set _ZN7rocprim17ROCPRIM_400000_NS6detail17trampoline_kernelINS0_14default_configENS1_38merge_sort_block_merge_config_selectorIiNS0_10empty_typeEEEZZNS1_27merge_sort_block_merge_implIS3_PiPS5_jNS1_19radix_merge_compareILb0ELb0EiNS0_19identity_decomposerEEEEE10hipError_tT0_T1_T2_jT3_P12ihipStream_tbPNSt15iterator_traitsISE_E10value_typeEPNSK_ISF_E10value_typeEPSG_NS1_7vsmem_tEENKUlT_SE_SF_SG_E_clIS8_S8_S9_S9_EESD_ST_SE_SF_SG_EUlST_E0_NS1_11comp_targetILNS1_3genE9ELNS1_11target_archE1100ELNS1_3gpuE3ELNS1_3repE0EEENS1_38merge_mergepath_config_static_selectorELNS0_4arch9wavefront6targetE0EEEvSF_.numbered_sgpr, 0
	.set _ZN7rocprim17ROCPRIM_400000_NS6detail17trampoline_kernelINS0_14default_configENS1_38merge_sort_block_merge_config_selectorIiNS0_10empty_typeEEEZZNS1_27merge_sort_block_merge_implIS3_PiPS5_jNS1_19radix_merge_compareILb0ELb0EiNS0_19identity_decomposerEEEEE10hipError_tT0_T1_T2_jT3_P12ihipStream_tbPNSt15iterator_traitsISE_E10value_typeEPNSK_ISF_E10value_typeEPSG_NS1_7vsmem_tEENKUlT_SE_SF_SG_E_clIS8_S8_S9_S9_EESD_ST_SE_SF_SG_EUlST_E0_NS1_11comp_targetILNS1_3genE9ELNS1_11target_archE1100ELNS1_3gpuE3ELNS1_3repE0EEENS1_38merge_mergepath_config_static_selectorELNS0_4arch9wavefront6targetE0EEEvSF_.num_named_barrier, 0
	.set _ZN7rocprim17ROCPRIM_400000_NS6detail17trampoline_kernelINS0_14default_configENS1_38merge_sort_block_merge_config_selectorIiNS0_10empty_typeEEEZZNS1_27merge_sort_block_merge_implIS3_PiPS5_jNS1_19radix_merge_compareILb0ELb0EiNS0_19identity_decomposerEEEEE10hipError_tT0_T1_T2_jT3_P12ihipStream_tbPNSt15iterator_traitsISE_E10value_typeEPNSK_ISF_E10value_typeEPSG_NS1_7vsmem_tEENKUlT_SE_SF_SG_E_clIS8_S8_S9_S9_EESD_ST_SE_SF_SG_EUlST_E0_NS1_11comp_targetILNS1_3genE9ELNS1_11target_archE1100ELNS1_3gpuE3ELNS1_3repE0EEENS1_38merge_mergepath_config_static_selectorELNS0_4arch9wavefront6targetE0EEEvSF_.private_seg_size, 0
	.set _ZN7rocprim17ROCPRIM_400000_NS6detail17trampoline_kernelINS0_14default_configENS1_38merge_sort_block_merge_config_selectorIiNS0_10empty_typeEEEZZNS1_27merge_sort_block_merge_implIS3_PiPS5_jNS1_19radix_merge_compareILb0ELb0EiNS0_19identity_decomposerEEEEE10hipError_tT0_T1_T2_jT3_P12ihipStream_tbPNSt15iterator_traitsISE_E10value_typeEPNSK_ISF_E10value_typeEPSG_NS1_7vsmem_tEENKUlT_SE_SF_SG_E_clIS8_S8_S9_S9_EESD_ST_SE_SF_SG_EUlST_E0_NS1_11comp_targetILNS1_3genE9ELNS1_11target_archE1100ELNS1_3gpuE3ELNS1_3repE0EEENS1_38merge_mergepath_config_static_selectorELNS0_4arch9wavefront6targetE0EEEvSF_.uses_vcc, 0
	.set _ZN7rocprim17ROCPRIM_400000_NS6detail17trampoline_kernelINS0_14default_configENS1_38merge_sort_block_merge_config_selectorIiNS0_10empty_typeEEEZZNS1_27merge_sort_block_merge_implIS3_PiPS5_jNS1_19radix_merge_compareILb0ELb0EiNS0_19identity_decomposerEEEEE10hipError_tT0_T1_T2_jT3_P12ihipStream_tbPNSt15iterator_traitsISE_E10value_typeEPNSK_ISF_E10value_typeEPSG_NS1_7vsmem_tEENKUlT_SE_SF_SG_E_clIS8_S8_S9_S9_EESD_ST_SE_SF_SG_EUlST_E0_NS1_11comp_targetILNS1_3genE9ELNS1_11target_archE1100ELNS1_3gpuE3ELNS1_3repE0EEENS1_38merge_mergepath_config_static_selectorELNS0_4arch9wavefront6targetE0EEEvSF_.uses_flat_scratch, 0
	.set _ZN7rocprim17ROCPRIM_400000_NS6detail17trampoline_kernelINS0_14default_configENS1_38merge_sort_block_merge_config_selectorIiNS0_10empty_typeEEEZZNS1_27merge_sort_block_merge_implIS3_PiPS5_jNS1_19radix_merge_compareILb0ELb0EiNS0_19identity_decomposerEEEEE10hipError_tT0_T1_T2_jT3_P12ihipStream_tbPNSt15iterator_traitsISE_E10value_typeEPNSK_ISF_E10value_typeEPSG_NS1_7vsmem_tEENKUlT_SE_SF_SG_E_clIS8_S8_S9_S9_EESD_ST_SE_SF_SG_EUlST_E0_NS1_11comp_targetILNS1_3genE9ELNS1_11target_archE1100ELNS1_3gpuE3ELNS1_3repE0EEENS1_38merge_mergepath_config_static_selectorELNS0_4arch9wavefront6targetE0EEEvSF_.has_dyn_sized_stack, 0
	.set _ZN7rocprim17ROCPRIM_400000_NS6detail17trampoline_kernelINS0_14default_configENS1_38merge_sort_block_merge_config_selectorIiNS0_10empty_typeEEEZZNS1_27merge_sort_block_merge_implIS3_PiPS5_jNS1_19radix_merge_compareILb0ELb0EiNS0_19identity_decomposerEEEEE10hipError_tT0_T1_T2_jT3_P12ihipStream_tbPNSt15iterator_traitsISE_E10value_typeEPNSK_ISF_E10value_typeEPSG_NS1_7vsmem_tEENKUlT_SE_SF_SG_E_clIS8_S8_S9_S9_EESD_ST_SE_SF_SG_EUlST_E0_NS1_11comp_targetILNS1_3genE9ELNS1_11target_archE1100ELNS1_3gpuE3ELNS1_3repE0EEENS1_38merge_mergepath_config_static_selectorELNS0_4arch9wavefront6targetE0EEEvSF_.has_recursion, 0
	.set _ZN7rocprim17ROCPRIM_400000_NS6detail17trampoline_kernelINS0_14default_configENS1_38merge_sort_block_merge_config_selectorIiNS0_10empty_typeEEEZZNS1_27merge_sort_block_merge_implIS3_PiPS5_jNS1_19radix_merge_compareILb0ELb0EiNS0_19identity_decomposerEEEEE10hipError_tT0_T1_T2_jT3_P12ihipStream_tbPNSt15iterator_traitsISE_E10value_typeEPNSK_ISF_E10value_typeEPSG_NS1_7vsmem_tEENKUlT_SE_SF_SG_E_clIS8_S8_S9_S9_EESD_ST_SE_SF_SG_EUlST_E0_NS1_11comp_targetILNS1_3genE9ELNS1_11target_archE1100ELNS1_3gpuE3ELNS1_3repE0EEENS1_38merge_mergepath_config_static_selectorELNS0_4arch9wavefront6targetE0EEEvSF_.has_indirect_call, 0
	.section	.AMDGPU.csdata,"",@progbits
; Kernel info:
; codeLenInByte = 0
; TotalNumSgprs: 0
; NumVgprs: 0
; ScratchSize: 0
; MemoryBound: 0
; FloatMode: 240
; IeeeMode: 1
; LDSByteSize: 0 bytes/workgroup (compile time only)
; SGPRBlocks: 0
; VGPRBlocks: 0
; NumSGPRsForWavesPerEU: 1
; NumVGPRsForWavesPerEU: 1
; NamedBarCnt: 0
; Occupancy: 16
; WaveLimiterHint : 0
; COMPUTE_PGM_RSRC2:SCRATCH_EN: 0
; COMPUTE_PGM_RSRC2:USER_SGPR: 2
; COMPUTE_PGM_RSRC2:TRAP_HANDLER: 0
; COMPUTE_PGM_RSRC2:TGID_X_EN: 1
; COMPUTE_PGM_RSRC2:TGID_Y_EN: 0
; COMPUTE_PGM_RSRC2:TGID_Z_EN: 0
; COMPUTE_PGM_RSRC2:TIDIG_COMP_CNT: 0
	.section	.text._ZN7rocprim17ROCPRIM_400000_NS6detail17trampoline_kernelINS0_14default_configENS1_38merge_sort_block_merge_config_selectorIiNS0_10empty_typeEEEZZNS1_27merge_sort_block_merge_implIS3_PiPS5_jNS1_19radix_merge_compareILb0ELb0EiNS0_19identity_decomposerEEEEE10hipError_tT0_T1_T2_jT3_P12ihipStream_tbPNSt15iterator_traitsISE_E10value_typeEPNSK_ISF_E10value_typeEPSG_NS1_7vsmem_tEENKUlT_SE_SF_SG_E_clIS8_S8_S9_S9_EESD_ST_SE_SF_SG_EUlST_E0_NS1_11comp_targetILNS1_3genE8ELNS1_11target_archE1030ELNS1_3gpuE2ELNS1_3repE0EEENS1_38merge_mergepath_config_static_selectorELNS0_4arch9wavefront6targetE0EEEvSF_,"axG",@progbits,_ZN7rocprim17ROCPRIM_400000_NS6detail17trampoline_kernelINS0_14default_configENS1_38merge_sort_block_merge_config_selectorIiNS0_10empty_typeEEEZZNS1_27merge_sort_block_merge_implIS3_PiPS5_jNS1_19radix_merge_compareILb0ELb0EiNS0_19identity_decomposerEEEEE10hipError_tT0_T1_T2_jT3_P12ihipStream_tbPNSt15iterator_traitsISE_E10value_typeEPNSK_ISF_E10value_typeEPSG_NS1_7vsmem_tEENKUlT_SE_SF_SG_E_clIS8_S8_S9_S9_EESD_ST_SE_SF_SG_EUlST_E0_NS1_11comp_targetILNS1_3genE8ELNS1_11target_archE1030ELNS1_3gpuE2ELNS1_3repE0EEENS1_38merge_mergepath_config_static_selectorELNS0_4arch9wavefront6targetE0EEEvSF_,comdat
	.protected	_ZN7rocprim17ROCPRIM_400000_NS6detail17trampoline_kernelINS0_14default_configENS1_38merge_sort_block_merge_config_selectorIiNS0_10empty_typeEEEZZNS1_27merge_sort_block_merge_implIS3_PiPS5_jNS1_19radix_merge_compareILb0ELb0EiNS0_19identity_decomposerEEEEE10hipError_tT0_T1_T2_jT3_P12ihipStream_tbPNSt15iterator_traitsISE_E10value_typeEPNSK_ISF_E10value_typeEPSG_NS1_7vsmem_tEENKUlT_SE_SF_SG_E_clIS8_S8_S9_S9_EESD_ST_SE_SF_SG_EUlST_E0_NS1_11comp_targetILNS1_3genE8ELNS1_11target_archE1030ELNS1_3gpuE2ELNS1_3repE0EEENS1_38merge_mergepath_config_static_selectorELNS0_4arch9wavefront6targetE0EEEvSF_ ; -- Begin function _ZN7rocprim17ROCPRIM_400000_NS6detail17trampoline_kernelINS0_14default_configENS1_38merge_sort_block_merge_config_selectorIiNS0_10empty_typeEEEZZNS1_27merge_sort_block_merge_implIS3_PiPS5_jNS1_19radix_merge_compareILb0ELb0EiNS0_19identity_decomposerEEEEE10hipError_tT0_T1_T2_jT3_P12ihipStream_tbPNSt15iterator_traitsISE_E10value_typeEPNSK_ISF_E10value_typeEPSG_NS1_7vsmem_tEENKUlT_SE_SF_SG_E_clIS8_S8_S9_S9_EESD_ST_SE_SF_SG_EUlST_E0_NS1_11comp_targetILNS1_3genE8ELNS1_11target_archE1030ELNS1_3gpuE2ELNS1_3repE0EEENS1_38merge_mergepath_config_static_selectorELNS0_4arch9wavefront6targetE0EEEvSF_
	.globl	_ZN7rocprim17ROCPRIM_400000_NS6detail17trampoline_kernelINS0_14default_configENS1_38merge_sort_block_merge_config_selectorIiNS0_10empty_typeEEEZZNS1_27merge_sort_block_merge_implIS3_PiPS5_jNS1_19radix_merge_compareILb0ELb0EiNS0_19identity_decomposerEEEEE10hipError_tT0_T1_T2_jT3_P12ihipStream_tbPNSt15iterator_traitsISE_E10value_typeEPNSK_ISF_E10value_typeEPSG_NS1_7vsmem_tEENKUlT_SE_SF_SG_E_clIS8_S8_S9_S9_EESD_ST_SE_SF_SG_EUlST_E0_NS1_11comp_targetILNS1_3genE8ELNS1_11target_archE1030ELNS1_3gpuE2ELNS1_3repE0EEENS1_38merge_mergepath_config_static_selectorELNS0_4arch9wavefront6targetE0EEEvSF_
	.p2align	8
	.type	_ZN7rocprim17ROCPRIM_400000_NS6detail17trampoline_kernelINS0_14default_configENS1_38merge_sort_block_merge_config_selectorIiNS0_10empty_typeEEEZZNS1_27merge_sort_block_merge_implIS3_PiPS5_jNS1_19radix_merge_compareILb0ELb0EiNS0_19identity_decomposerEEEEE10hipError_tT0_T1_T2_jT3_P12ihipStream_tbPNSt15iterator_traitsISE_E10value_typeEPNSK_ISF_E10value_typeEPSG_NS1_7vsmem_tEENKUlT_SE_SF_SG_E_clIS8_S8_S9_S9_EESD_ST_SE_SF_SG_EUlST_E0_NS1_11comp_targetILNS1_3genE8ELNS1_11target_archE1030ELNS1_3gpuE2ELNS1_3repE0EEENS1_38merge_mergepath_config_static_selectorELNS0_4arch9wavefront6targetE0EEEvSF_,@function
_ZN7rocprim17ROCPRIM_400000_NS6detail17trampoline_kernelINS0_14default_configENS1_38merge_sort_block_merge_config_selectorIiNS0_10empty_typeEEEZZNS1_27merge_sort_block_merge_implIS3_PiPS5_jNS1_19radix_merge_compareILb0ELb0EiNS0_19identity_decomposerEEEEE10hipError_tT0_T1_T2_jT3_P12ihipStream_tbPNSt15iterator_traitsISE_E10value_typeEPNSK_ISF_E10value_typeEPSG_NS1_7vsmem_tEENKUlT_SE_SF_SG_E_clIS8_S8_S9_S9_EESD_ST_SE_SF_SG_EUlST_E0_NS1_11comp_targetILNS1_3genE8ELNS1_11target_archE1030ELNS1_3gpuE2ELNS1_3repE0EEENS1_38merge_mergepath_config_static_selectorELNS0_4arch9wavefront6targetE0EEEvSF_: ; @_ZN7rocprim17ROCPRIM_400000_NS6detail17trampoline_kernelINS0_14default_configENS1_38merge_sort_block_merge_config_selectorIiNS0_10empty_typeEEEZZNS1_27merge_sort_block_merge_implIS3_PiPS5_jNS1_19radix_merge_compareILb0ELb0EiNS0_19identity_decomposerEEEEE10hipError_tT0_T1_T2_jT3_P12ihipStream_tbPNSt15iterator_traitsISE_E10value_typeEPNSK_ISF_E10value_typeEPSG_NS1_7vsmem_tEENKUlT_SE_SF_SG_E_clIS8_S8_S9_S9_EESD_ST_SE_SF_SG_EUlST_E0_NS1_11comp_targetILNS1_3genE8ELNS1_11target_archE1030ELNS1_3gpuE2ELNS1_3repE0EEENS1_38merge_mergepath_config_static_selectorELNS0_4arch9wavefront6targetE0EEEvSF_
; %bb.0:
	.section	.rodata,"a",@progbits
	.p2align	6, 0x0
	.amdhsa_kernel _ZN7rocprim17ROCPRIM_400000_NS6detail17trampoline_kernelINS0_14default_configENS1_38merge_sort_block_merge_config_selectorIiNS0_10empty_typeEEEZZNS1_27merge_sort_block_merge_implIS3_PiPS5_jNS1_19radix_merge_compareILb0ELb0EiNS0_19identity_decomposerEEEEE10hipError_tT0_T1_T2_jT3_P12ihipStream_tbPNSt15iterator_traitsISE_E10value_typeEPNSK_ISF_E10value_typeEPSG_NS1_7vsmem_tEENKUlT_SE_SF_SG_E_clIS8_S8_S9_S9_EESD_ST_SE_SF_SG_EUlST_E0_NS1_11comp_targetILNS1_3genE8ELNS1_11target_archE1030ELNS1_3gpuE2ELNS1_3repE0EEENS1_38merge_mergepath_config_static_selectorELNS0_4arch9wavefront6targetE0EEEvSF_
		.amdhsa_group_segment_fixed_size 0
		.amdhsa_private_segment_fixed_size 0
		.amdhsa_kernarg_size 64
		.amdhsa_user_sgpr_count 2
		.amdhsa_user_sgpr_dispatch_ptr 0
		.amdhsa_user_sgpr_queue_ptr 0
		.amdhsa_user_sgpr_kernarg_segment_ptr 1
		.amdhsa_user_sgpr_dispatch_id 0
		.amdhsa_user_sgpr_kernarg_preload_length 0
		.amdhsa_user_sgpr_kernarg_preload_offset 0
		.amdhsa_user_sgpr_private_segment_size 0
		.amdhsa_wavefront_size32 1
		.amdhsa_uses_dynamic_stack 0
		.amdhsa_enable_private_segment 0
		.amdhsa_system_sgpr_workgroup_id_x 1
		.amdhsa_system_sgpr_workgroup_id_y 0
		.amdhsa_system_sgpr_workgroup_id_z 0
		.amdhsa_system_sgpr_workgroup_info 0
		.amdhsa_system_vgpr_workitem_id 0
		.amdhsa_next_free_vgpr 1
		.amdhsa_next_free_sgpr 1
		.amdhsa_named_barrier_count 0
		.amdhsa_reserve_vcc 0
		.amdhsa_float_round_mode_32 0
		.amdhsa_float_round_mode_16_64 0
		.amdhsa_float_denorm_mode_32 3
		.amdhsa_float_denorm_mode_16_64 3
		.amdhsa_fp16_overflow 0
		.amdhsa_memory_ordered 1
		.amdhsa_forward_progress 1
		.amdhsa_inst_pref_size 0
		.amdhsa_round_robin_scheduling 0
		.amdhsa_exception_fp_ieee_invalid_op 0
		.amdhsa_exception_fp_denorm_src 0
		.amdhsa_exception_fp_ieee_div_zero 0
		.amdhsa_exception_fp_ieee_overflow 0
		.amdhsa_exception_fp_ieee_underflow 0
		.amdhsa_exception_fp_ieee_inexact 0
		.amdhsa_exception_int_div_zero 0
	.end_amdhsa_kernel
	.section	.text._ZN7rocprim17ROCPRIM_400000_NS6detail17trampoline_kernelINS0_14default_configENS1_38merge_sort_block_merge_config_selectorIiNS0_10empty_typeEEEZZNS1_27merge_sort_block_merge_implIS3_PiPS5_jNS1_19radix_merge_compareILb0ELb0EiNS0_19identity_decomposerEEEEE10hipError_tT0_T1_T2_jT3_P12ihipStream_tbPNSt15iterator_traitsISE_E10value_typeEPNSK_ISF_E10value_typeEPSG_NS1_7vsmem_tEENKUlT_SE_SF_SG_E_clIS8_S8_S9_S9_EESD_ST_SE_SF_SG_EUlST_E0_NS1_11comp_targetILNS1_3genE8ELNS1_11target_archE1030ELNS1_3gpuE2ELNS1_3repE0EEENS1_38merge_mergepath_config_static_selectorELNS0_4arch9wavefront6targetE0EEEvSF_,"axG",@progbits,_ZN7rocprim17ROCPRIM_400000_NS6detail17trampoline_kernelINS0_14default_configENS1_38merge_sort_block_merge_config_selectorIiNS0_10empty_typeEEEZZNS1_27merge_sort_block_merge_implIS3_PiPS5_jNS1_19radix_merge_compareILb0ELb0EiNS0_19identity_decomposerEEEEE10hipError_tT0_T1_T2_jT3_P12ihipStream_tbPNSt15iterator_traitsISE_E10value_typeEPNSK_ISF_E10value_typeEPSG_NS1_7vsmem_tEENKUlT_SE_SF_SG_E_clIS8_S8_S9_S9_EESD_ST_SE_SF_SG_EUlST_E0_NS1_11comp_targetILNS1_3genE8ELNS1_11target_archE1030ELNS1_3gpuE2ELNS1_3repE0EEENS1_38merge_mergepath_config_static_selectorELNS0_4arch9wavefront6targetE0EEEvSF_,comdat
.Lfunc_end909:
	.size	_ZN7rocprim17ROCPRIM_400000_NS6detail17trampoline_kernelINS0_14default_configENS1_38merge_sort_block_merge_config_selectorIiNS0_10empty_typeEEEZZNS1_27merge_sort_block_merge_implIS3_PiPS5_jNS1_19radix_merge_compareILb0ELb0EiNS0_19identity_decomposerEEEEE10hipError_tT0_T1_T2_jT3_P12ihipStream_tbPNSt15iterator_traitsISE_E10value_typeEPNSK_ISF_E10value_typeEPSG_NS1_7vsmem_tEENKUlT_SE_SF_SG_E_clIS8_S8_S9_S9_EESD_ST_SE_SF_SG_EUlST_E0_NS1_11comp_targetILNS1_3genE8ELNS1_11target_archE1030ELNS1_3gpuE2ELNS1_3repE0EEENS1_38merge_mergepath_config_static_selectorELNS0_4arch9wavefront6targetE0EEEvSF_, .Lfunc_end909-_ZN7rocprim17ROCPRIM_400000_NS6detail17trampoline_kernelINS0_14default_configENS1_38merge_sort_block_merge_config_selectorIiNS0_10empty_typeEEEZZNS1_27merge_sort_block_merge_implIS3_PiPS5_jNS1_19radix_merge_compareILb0ELb0EiNS0_19identity_decomposerEEEEE10hipError_tT0_T1_T2_jT3_P12ihipStream_tbPNSt15iterator_traitsISE_E10value_typeEPNSK_ISF_E10value_typeEPSG_NS1_7vsmem_tEENKUlT_SE_SF_SG_E_clIS8_S8_S9_S9_EESD_ST_SE_SF_SG_EUlST_E0_NS1_11comp_targetILNS1_3genE8ELNS1_11target_archE1030ELNS1_3gpuE2ELNS1_3repE0EEENS1_38merge_mergepath_config_static_selectorELNS0_4arch9wavefront6targetE0EEEvSF_
                                        ; -- End function
	.set _ZN7rocprim17ROCPRIM_400000_NS6detail17trampoline_kernelINS0_14default_configENS1_38merge_sort_block_merge_config_selectorIiNS0_10empty_typeEEEZZNS1_27merge_sort_block_merge_implIS3_PiPS5_jNS1_19radix_merge_compareILb0ELb0EiNS0_19identity_decomposerEEEEE10hipError_tT0_T1_T2_jT3_P12ihipStream_tbPNSt15iterator_traitsISE_E10value_typeEPNSK_ISF_E10value_typeEPSG_NS1_7vsmem_tEENKUlT_SE_SF_SG_E_clIS8_S8_S9_S9_EESD_ST_SE_SF_SG_EUlST_E0_NS1_11comp_targetILNS1_3genE8ELNS1_11target_archE1030ELNS1_3gpuE2ELNS1_3repE0EEENS1_38merge_mergepath_config_static_selectorELNS0_4arch9wavefront6targetE0EEEvSF_.num_vgpr, 0
	.set _ZN7rocprim17ROCPRIM_400000_NS6detail17trampoline_kernelINS0_14default_configENS1_38merge_sort_block_merge_config_selectorIiNS0_10empty_typeEEEZZNS1_27merge_sort_block_merge_implIS3_PiPS5_jNS1_19radix_merge_compareILb0ELb0EiNS0_19identity_decomposerEEEEE10hipError_tT0_T1_T2_jT3_P12ihipStream_tbPNSt15iterator_traitsISE_E10value_typeEPNSK_ISF_E10value_typeEPSG_NS1_7vsmem_tEENKUlT_SE_SF_SG_E_clIS8_S8_S9_S9_EESD_ST_SE_SF_SG_EUlST_E0_NS1_11comp_targetILNS1_3genE8ELNS1_11target_archE1030ELNS1_3gpuE2ELNS1_3repE0EEENS1_38merge_mergepath_config_static_selectorELNS0_4arch9wavefront6targetE0EEEvSF_.num_agpr, 0
	.set _ZN7rocprim17ROCPRIM_400000_NS6detail17trampoline_kernelINS0_14default_configENS1_38merge_sort_block_merge_config_selectorIiNS0_10empty_typeEEEZZNS1_27merge_sort_block_merge_implIS3_PiPS5_jNS1_19radix_merge_compareILb0ELb0EiNS0_19identity_decomposerEEEEE10hipError_tT0_T1_T2_jT3_P12ihipStream_tbPNSt15iterator_traitsISE_E10value_typeEPNSK_ISF_E10value_typeEPSG_NS1_7vsmem_tEENKUlT_SE_SF_SG_E_clIS8_S8_S9_S9_EESD_ST_SE_SF_SG_EUlST_E0_NS1_11comp_targetILNS1_3genE8ELNS1_11target_archE1030ELNS1_3gpuE2ELNS1_3repE0EEENS1_38merge_mergepath_config_static_selectorELNS0_4arch9wavefront6targetE0EEEvSF_.numbered_sgpr, 0
	.set _ZN7rocprim17ROCPRIM_400000_NS6detail17trampoline_kernelINS0_14default_configENS1_38merge_sort_block_merge_config_selectorIiNS0_10empty_typeEEEZZNS1_27merge_sort_block_merge_implIS3_PiPS5_jNS1_19radix_merge_compareILb0ELb0EiNS0_19identity_decomposerEEEEE10hipError_tT0_T1_T2_jT3_P12ihipStream_tbPNSt15iterator_traitsISE_E10value_typeEPNSK_ISF_E10value_typeEPSG_NS1_7vsmem_tEENKUlT_SE_SF_SG_E_clIS8_S8_S9_S9_EESD_ST_SE_SF_SG_EUlST_E0_NS1_11comp_targetILNS1_3genE8ELNS1_11target_archE1030ELNS1_3gpuE2ELNS1_3repE0EEENS1_38merge_mergepath_config_static_selectorELNS0_4arch9wavefront6targetE0EEEvSF_.num_named_barrier, 0
	.set _ZN7rocprim17ROCPRIM_400000_NS6detail17trampoline_kernelINS0_14default_configENS1_38merge_sort_block_merge_config_selectorIiNS0_10empty_typeEEEZZNS1_27merge_sort_block_merge_implIS3_PiPS5_jNS1_19radix_merge_compareILb0ELb0EiNS0_19identity_decomposerEEEEE10hipError_tT0_T1_T2_jT3_P12ihipStream_tbPNSt15iterator_traitsISE_E10value_typeEPNSK_ISF_E10value_typeEPSG_NS1_7vsmem_tEENKUlT_SE_SF_SG_E_clIS8_S8_S9_S9_EESD_ST_SE_SF_SG_EUlST_E0_NS1_11comp_targetILNS1_3genE8ELNS1_11target_archE1030ELNS1_3gpuE2ELNS1_3repE0EEENS1_38merge_mergepath_config_static_selectorELNS0_4arch9wavefront6targetE0EEEvSF_.private_seg_size, 0
	.set _ZN7rocprim17ROCPRIM_400000_NS6detail17trampoline_kernelINS0_14default_configENS1_38merge_sort_block_merge_config_selectorIiNS0_10empty_typeEEEZZNS1_27merge_sort_block_merge_implIS3_PiPS5_jNS1_19radix_merge_compareILb0ELb0EiNS0_19identity_decomposerEEEEE10hipError_tT0_T1_T2_jT3_P12ihipStream_tbPNSt15iterator_traitsISE_E10value_typeEPNSK_ISF_E10value_typeEPSG_NS1_7vsmem_tEENKUlT_SE_SF_SG_E_clIS8_S8_S9_S9_EESD_ST_SE_SF_SG_EUlST_E0_NS1_11comp_targetILNS1_3genE8ELNS1_11target_archE1030ELNS1_3gpuE2ELNS1_3repE0EEENS1_38merge_mergepath_config_static_selectorELNS0_4arch9wavefront6targetE0EEEvSF_.uses_vcc, 0
	.set _ZN7rocprim17ROCPRIM_400000_NS6detail17trampoline_kernelINS0_14default_configENS1_38merge_sort_block_merge_config_selectorIiNS0_10empty_typeEEEZZNS1_27merge_sort_block_merge_implIS3_PiPS5_jNS1_19radix_merge_compareILb0ELb0EiNS0_19identity_decomposerEEEEE10hipError_tT0_T1_T2_jT3_P12ihipStream_tbPNSt15iterator_traitsISE_E10value_typeEPNSK_ISF_E10value_typeEPSG_NS1_7vsmem_tEENKUlT_SE_SF_SG_E_clIS8_S8_S9_S9_EESD_ST_SE_SF_SG_EUlST_E0_NS1_11comp_targetILNS1_3genE8ELNS1_11target_archE1030ELNS1_3gpuE2ELNS1_3repE0EEENS1_38merge_mergepath_config_static_selectorELNS0_4arch9wavefront6targetE0EEEvSF_.uses_flat_scratch, 0
	.set _ZN7rocprim17ROCPRIM_400000_NS6detail17trampoline_kernelINS0_14default_configENS1_38merge_sort_block_merge_config_selectorIiNS0_10empty_typeEEEZZNS1_27merge_sort_block_merge_implIS3_PiPS5_jNS1_19radix_merge_compareILb0ELb0EiNS0_19identity_decomposerEEEEE10hipError_tT0_T1_T2_jT3_P12ihipStream_tbPNSt15iterator_traitsISE_E10value_typeEPNSK_ISF_E10value_typeEPSG_NS1_7vsmem_tEENKUlT_SE_SF_SG_E_clIS8_S8_S9_S9_EESD_ST_SE_SF_SG_EUlST_E0_NS1_11comp_targetILNS1_3genE8ELNS1_11target_archE1030ELNS1_3gpuE2ELNS1_3repE0EEENS1_38merge_mergepath_config_static_selectorELNS0_4arch9wavefront6targetE0EEEvSF_.has_dyn_sized_stack, 0
	.set _ZN7rocprim17ROCPRIM_400000_NS6detail17trampoline_kernelINS0_14default_configENS1_38merge_sort_block_merge_config_selectorIiNS0_10empty_typeEEEZZNS1_27merge_sort_block_merge_implIS3_PiPS5_jNS1_19radix_merge_compareILb0ELb0EiNS0_19identity_decomposerEEEEE10hipError_tT0_T1_T2_jT3_P12ihipStream_tbPNSt15iterator_traitsISE_E10value_typeEPNSK_ISF_E10value_typeEPSG_NS1_7vsmem_tEENKUlT_SE_SF_SG_E_clIS8_S8_S9_S9_EESD_ST_SE_SF_SG_EUlST_E0_NS1_11comp_targetILNS1_3genE8ELNS1_11target_archE1030ELNS1_3gpuE2ELNS1_3repE0EEENS1_38merge_mergepath_config_static_selectorELNS0_4arch9wavefront6targetE0EEEvSF_.has_recursion, 0
	.set _ZN7rocprim17ROCPRIM_400000_NS6detail17trampoline_kernelINS0_14default_configENS1_38merge_sort_block_merge_config_selectorIiNS0_10empty_typeEEEZZNS1_27merge_sort_block_merge_implIS3_PiPS5_jNS1_19radix_merge_compareILb0ELb0EiNS0_19identity_decomposerEEEEE10hipError_tT0_T1_T2_jT3_P12ihipStream_tbPNSt15iterator_traitsISE_E10value_typeEPNSK_ISF_E10value_typeEPSG_NS1_7vsmem_tEENKUlT_SE_SF_SG_E_clIS8_S8_S9_S9_EESD_ST_SE_SF_SG_EUlST_E0_NS1_11comp_targetILNS1_3genE8ELNS1_11target_archE1030ELNS1_3gpuE2ELNS1_3repE0EEENS1_38merge_mergepath_config_static_selectorELNS0_4arch9wavefront6targetE0EEEvSF_.has_indirect_call, 0
	.section	.AMDGPU.csdata,"",@progbits
; Kernel info:
; codeLenInByte = 0
; TotalNumSgprs: 0
; NumVgprs: 0
; ScratchSize: 0
; MemoryBound: 0
; FloatMode: 240
; IeeeMode: 1
; LDSByteSize: 0 bytes/workgroup (compile time only)
; SGPRBlocks: 0
; VGPRBlocks: 0
; NumSGPRsForWavesPerEU: 1
; NumVGPRsForWavesPerEU: 1
; NamedBarCnt: 0
; Occupancy: 16
; WaveLimiterHint : 0
; COMPUTE_PGM_RSRC2:SCRATCH_EN: 0
; COMPUTE_PGM_RSRC2:USER_SGPR: 2
; COMPUTE_PGM_RSRC2:TRAP_HANDLER: 0
; COMPUTE_PGM_RSRC2:TGID_X_EN: 1
; COMPUTE_PGM_RSRC2:TGID_Y_EN: 0
; COMPUTE_PGM_RSRC2:TGID_Z_EN: 0
; COMPUTE_PGM_RSRC2:TIDIG_COMP_CNT: 0
	.section	.text._ZN7rocprim17ROCPRIM_400000_NS6detail17trampoline_kernelINS0_14default_configENS1_38merge_sort_block_merge_config_selectorIiNS0_10empty_typeEEEZZNS1_27merge_sort_block_merge_implIS3_PiPS5_jNS1_19radix_merge_compareILb0ELb0EiNS0_19identity_decomposerEEEEE10hipError_tT0_T1_T2_jT3_P12ihipStream_tbPNSt15iterator_traitsISE_E10value_typeEPNSK_ISF_E10value_typeEPSG_NS1_7vsmem_tEENKUlT_SE_SF_SG_E_clIS8_S8_S9_S9_EESD_ST_SE_SF_SG_EUlST_E1_NS1_11comp_targetILNS1_3genE0ELNS1_11target_archE4294967295ELNS1_3gpuE0ELNS1_3repE0EEENS1_36merge_oddeven_config_static_selectorELNS0_4arch9wavefront6targetE0EEEvSF_,"axG",@progbits,_ZN7rocprim17ROCPRIM_400000_NS6detail17trampoline_kernelINS0_14default_configENS1_38merge_sort_block_merge_config_selectorIiNS0_10empty_typeEEEZZNS1_27merge_sort_block_merge_implIS3_PiPS5_jNS1_19radix_merge_compareILb0ELb0EiNS0_19identity_decomposerEEEEE10hipError_tT0_T1_T2_jT3_P12ihipStream_tbPNSt15iterator_traitsISE_E10value_typeEPNSK_ISF_E10value_typeEPSG_NS1_7vsmem_tEENKUlT_SE_SF_SG_E_clIS8_S8_S9_S9_EESD_ST_SE_SF_SG_EUlST_E1_NS1_11comp_targetILNS1_3genE0ELNS1_11target_archE4294967295ELNS1_3gpuE0ELNS1_3repE0EEENS1_36merge_oddeven_config_static_selectorELNS0_4arch9wavefront6targetE0EEEvSF_,comdat
	.protected	_ZN7rocprim17ROCPRIM_400000_NS6detail17trampoline_kernelINS0_14default_configENS1_38merge_sort_block_merge_config_selectorIiNS0_10empty_typeEEEZZNS1_27merge_sort_block_merge_implIS3_PiPS5_jNS1_19radix_merge_compareILb0ELb0EiNS0_19identity_decomposerEEEEE10hipError_tT0_T1_T2_jT3_P12ihipStream_tbPNSt15iterator_traitsISE_E10value_typeEPNSK_ISF_E10value_typeEPSG_NS1_7vsmem_tEENKUlT_SE_SF_SG_E_clIS8_S8_S9_S9_EESD_ST_SE_SF_SG_EUlST_E1_NS1_11comp_targetILNS1_3genE0ELNS1_11target_archE4294967295ELNS1_3gpuE0ELNS1_3repE0EEENS1_36merge_oddeven_config_static_selectorELNS0_4arch9wavefront6targetE0EEEvSF_ ; -- Begin function _ZN7rocprim17ROCPRIM_400000_NS6detail17trampoline_kernelINS0_14default_configENS1_38merge_sort_block_merge_config_selectorIiNS0_10empty_typeEEEZZNS1_27merge_sort_block_merge_implIS3_PiPS5_jNS1_19radix_merge_compareILb0ELb0EiNS0_19identity_decomposerEEEEE10hipError_tT0_T1_T2_jT3_P12ihipStream_tbPNSt15iterator_traitsISE_E10value_typeEPNSK_ISF_E10value_typeEPSG_NS1_7vsmem_tEENKUlT_SE_SF_SG_E_clIS8_S8_S9_S9_EESD_ST_SE_SF_SG_EUlST_E1_NS1_11comp_targetILNS1_3genE0ELNS1_11target_archE4294967295ELNS1_3gpuE0ELNS1_3repE0EEENS1_36merge_oddeven_config_static_selectorELNS0_4arch9wavefront6targetE0EEEvSF_
	.globl	_ZN7rocprim17ROCPRIM_400000_NS6detail17trampoline_kernelINS0_14default_configENS1_38merge_sort_block_merge_config_selectorIiNS0_10empty_typeEEEZZNS1_27merge_sort_block_merge_implIS3_PiPS5_jNS1_19radix_merge_compareILb0ELb0EiNS0_19identity_decomposerEEEEE10hipError_tT0_T1_T2_jT3_P12ihipStream_tbPNSt15iterator_traitsISE_E10value_typeEPNSK_ISF_E10value_typeEPSG_NS1_7vsmem_tEENKUlT_SE_SF_SG_E_clIS8_S8_S9_S9_EESD_ST_SE_SF_SG_EUlST_E1_NS1_11comp_targetILNS1_3genE0ELNS1_11target_archE4294967295ELNS1_3gpuE0ELNS1_3repE0EEENS1_36merge_oddeven_config_static_selectorELNS0_4arch9wavefront6targetE0EEEvSF_
	.p2align	8
	.type	_ZN7rocprim17ROCPRIM_400000_NS6detail17trampoline_kernelINS0_14default_configENS1_38merge_sort_block_merge_config_selectorIiNS0_10empty_typeEEEZZNS1_27merge_sort_block_merge_implIS3_PiPS5_jNS1_19radix_merge_compareILb0ELb0EiNS0_19identity_decomposerEEEEE10hipError_tT0_T1_T2_jT3_P12ihipStream_tbPNSt15iterator_traitsISE_E10value_typeEPNSK_ISF_E10value_typeEPSG_NS1_7vsmem_tEENKUlT_SE_SF_SG_E_clIS8_S8_S9_S9_EESD_ST_SE_SF_SG_EUlST_E1_NS1_11comp_targetILNS1_3genE0ELNS1_11target_archE4294967295ELNS1_3gpuE0ELNS1_3repE0EEENS1_36merge_oddeven_config_static_selectorELNS0_4arch9wavefront6targetE0EEEvSF_,@function
_ZN7rocprim17ROCPRIM_400000_NS6detail17trampoline_kernelINS0_14default_configENS1_38merge_sort_block_merge_config_selectorIiNS0_10empty_typeEEEZZNS1_27merge_sort_block_merge_implIS3_PiPS5_jNS1_19radix_merge_compareILb0ELb0EiNS0_19identity_decomposerEEEEE10hipError_tT0_T1_T2_jT3_P12ihipStream_tbPNSt15iterator_traitsISE_E10value_typeEPNSK_ISF_E10value_typeEPSG_NS1_7vsmem_tEENKUlT_SE_SF_SG_E_clIS8_S8_S9_S9_EESD_ST_SE_SF_SG_EUlST_E1_NS1_11comp_targetILNS1_3genE0ELNS1_11target_archE4294967295ELNS1_3gpuE0ELNS1_3repE0EEENS1_36merge_oddeven_config_static_selectorELNS0_4arch9wavefront6targetE0EEEvSF_: ; @_ZN7rocprim17ROCPRIM_400000_NS6detail17trampoline_kernelINS0_14default_configENS1_38merge_sort_block_merge_config_selectorIiNS0_10empty_typeEEEZZNS1_27merge_sort_block_merge_implIS3_PiPS5_jNS1_19radix_merge_compareILb0ELb0EiNS0_19identity_decomposerEEEEE10hipError_tT0_T1_T2_jT3_P12ihipStream_tbPNSt15iterator_traitsISE_E10value_typeEPNSK_ISF_E10value_typeEPSG_NS1_7vsmem_tEENKUlT_SE_SF_SG_E_clIS8_S8_S9_S9_EESD_ST_SE_SF_SG_EUlST_E1_NS1_11comp_targetILNS1_3genE0ELNS1_11target_archE4294967295ELNS1_3gpuE0ELNS1_3repE0EEENS1_36merge_oddeven_config_static_selectorELNS0_4arch9wavefront6targetE0EEEvSF_
; %bb.0:
	s_load_b32 s10, s[0:1], 0x20
	s_bfe_u32 s2, ttmp6, 0x4000c
	s_and_b32 s3, ttmp6, 15
	s_add_co_i32 s2, s2, 1
	s_getreg_b32 s4, hwreg(HW_REG_IB_STS2, 6, 4)
	s_mul_i32 s2, ttmp9, s2
	s_mov_b32 s9, 0
	s_add_co_i32 s3, s3, s2
	s_cmp_eq_u32 s4, 0
	s_cselect_b32 s13, ttmp9, s3
	s_wait_kmcnt 0x0
	s_lshr_b32 s2, s10, 8
	s_delay_alu instid0(SALU_CYCLE_1) | instskip(SKIP_4) | instid1(SALU_CYCLE_1)
	s_cmp_lg_u32 s13, s2
	s_cselect_b32 s3, -1, 0
	s_cmp_eq_u32 s13, s2
	s_cselect_b32 s11, -1, 0
	s_lshl_b32 s8, s13, 8
	s_sub_co_i32 s2, s10, s8
	s_delay_alu instid0(SALU_CYCLE_1) | instskip(SKIP_1) | instid1(SALU_CYCLE_1)
	v_cmp_gt_u32_e64 s2, s2, v0
	s_or_b32 s4, s3, s2
	s_and_saveexec_b32 s5, s4
	s_cbranch_execz .LBB910_20
; %bb.1:
	s_clause 0x1
	s_load_b128 s[4:7], s[0:1], 0x0
	s_load_b32 s12, s[0:1], 0x24
	s_lshl_b64 s[14:15], s[8:9], 2
	v_add_nc_u32_e32 v2, s8, v0
	s_wait_kmcnt 0x0
	s_add_nc_u64 s[0:1], s[4:5], s[14:15]
	global_load_b32 v1, v0, s[0:1] scale_offset
	s_wait_xcnt 0x0
	s_lshr_b32 s0, s12, 8
	s_delay_alu instid0(SALU_CYCLE_1) | instskip(NEXT) | instid1(SALU_CYCLE_1)
	s_sub_co_i32 s1, 0, s0
	s_and_b32 s1, s13, s1
	s_delay_alu instid0(SALU_CYCLE_1) | instskip(SKIP_4) | instid1(SALU_CYCLE_1)
	s_and_b32 s0, s1, s0
	s_lshl_b32 s13, s1, 8
	s_sub_co_i32 s1, 0, s12
	s_cmp_eq_u32 s0, 0
	s_cselect_b32 s0, -1, 0
	s_and_b32 s14, s0, exec_lo
	s_cselect_b32 s1, s12, s1
	s_delay_alu instid0(SALU_CYCLE_1) | instskip(NEXT) | instid1(SALU_CYCLE_1)
	s_add_co_i32 s1, s1, s13
	s_cmp_gt_u32 s10, s1
	s_cbranch_scc1 .LBB910_3
; %bb.2:
	v_cmp_gt_u32_e32 vcc_lo, s10, v2
	s_or_b32 s8, vcc_lo, s3
	s_delay_alu instid0(SALU_CYCLE_1)
	s_and_b32 s9, s8, exec_lo
	s_cbranch_execz .LBB910_4
	s_branch .LBB910_18
.LBB910_3:
.LBB910_4:
	s_min_u32 s3, s1, s10
	s_and_b32 vcc_lo, exec_lo, s11
	s_add_co_i32 s8, s13, s3
	s_add_co_i32 s12, s3, s12
	v_subrev_nc_u32_e32 v0, s8, v2
	s_min_u32 s8, s13, s3
	s_delay_alu instid0(VALU_DEP_1) | instid1(SALU_CYCLE_1)
	v_add_nc_u32_e32 v0, s8, v0
	s_min_u32 s8, s12, s10
	s_cbranch_vccz .LBB910_12
; %bb.5:
                                        ; implicit-def: $vgpr2
	s_and_saveexec_b32 s10, s2
	s_cbranch_execz .LBB910_11
; %bb.6:
	v_mov_b32_e32 v2, s3
	s_cmp_ge_u32 s1, s8
	s_cbranch_scc1 .LBB910_10
; %bb.7:
	v_dual_mov_b32 v3, s8 :: v_dual_mov_b32 v2, s3
	s_mov_b32 s2, 0
.LBB910_8:                              ; =>This Inner Loop Header: Depth=1
	s_delay_alu instid0(VALU_DEP_1) | instskip(NEXT) | instid1(VALU_DEP_1)
	v_add_nc_u32_e32 v4, v2, v3
	v_lshrrev_b32_e32 v4, 1, v4
	global_load_b32 v5, v4, s[4:5] scale_offset
	s_wait_loadcnt 0x0
	v_cmp_gt_i32_e32 vcc_lo, v1, v5
	v_cndmask_b32_e64 v6, 0, 1, vcc_lo
	v_cmp_le_i32_e32 vcc_lo, v5, v1
	v_cndmask_b32_e64 v5, 0, 1, vcc_lo
	s_delay_alu instid0(VALU_DEP_1) | instskip(NEXT) | instid1(VALU_DEP_1)
	v_cndmask_b32_e64 v5, v5, v6, s0
	v_and_b32_e32 v5, 1, v5
	s_delay_alu instid0(VALU_DEP_1) | instskip(SKIP_1) | instid1(VALU_DEP_1)
	v_cmp_eq_u32_e32 vcc_lo, 1, v5
	v_dual_cndmask_b32 v3, v4, v3 :: v_dual_add_nc_u32 v6, 1, v4
	v_cndmask_b32_e32 v2, v2, v6, vcc_lo
	s_delay_alu instid0(VALU_DEP_1) | instskip(SKIP_1) | instid1(SALU_CYCLE_1)
	v_cmp_ge_u32_e32 vcc_lo, v2, v3
	s_or_b32 s2, vcc_lo, s2
	s_and_not1_b32 exec_lo, exec_lo, s2
	s_cbranch_execnz .LBB910_8
; %bb.9:
	s_or_b32 exec_lo, exec_lo, s2
.LBB910_10:
	s_delay_alu instid0(VALU_DEP_1)
	v_add_nc_u32_e32 v2, v2, v0
	s_or_b32 s9, s9, exec_lo
.LBB910_11:
	s_or_b32 exec_lo, exec_lo, s10
	s_branch .LBB910_18
.LBB910_12:
                                        ; implicit-def: $vgpr2
	s_cbranch_execz .LBB910_18
; %bb.13:
	v_mov_b32_e32 v2, s3
	s_cmp_ge_u32 s1, s8
	s_cbranch_scc1 .LBB910_17
; %bb.14:
	v_dual_mov_b32 v3, s8 :: v_dual_mov_b32 v2, s3
	s_mov_b32 s1, 0
.LBB910_15:                             ; =>This Inner Loop Header: Depth=1
	s_delay_alu instid0(VALU_DEP_1) | instskip(NEXT) | instid1(VALU_DEP_1)
	v_add_nc_u32_e32 v4, v2, v3
	v_lshrrev_b32_e32 v4, 1, v4
	global_load_b32 v5, v4, s[4:5] scale_offset
	s_wait_loadcnt 0x0
	v_cmp_gt_i32_e32 vcc_lo, v1, v5
	v_cndmask_b32_e64 v6, 0, 1, vcc_lo
	v_cmp_le_i32_e32 vcc_lo, v5, v1
	v_cndmask_b32_e64 v5, 0, 1, vcc_lo
	s_delay_alu instid0(VALU_DEP_1) | instskip(NEXT) | instid1(VALU_DEP_1)
	v_cndmask_b32_e64 v5, v5, v6, s0
	v_and_b32_e32 v5, 1, v5
	s_delay_alu instid0(VALU_DEP_1) | instskip(SKIP_1) | instid1(VALU_DEP_1)
	v_cmp_eq_u32_e32 vcc_lo, 1, v5
	v_dual_cndmask_b32 v3, v4, v3 :: v_dual_add_nc_u32 v6, 1, v4
	v_cndmask_b32_e32 v2, v2, v6, vcc_lo
	s_delay_alu instid0(VALU_DEP_1) | instskip(SKIP_1) | instid1(SALU_CYCLE_1)
	v_cmp_ge_u32_e32 vcc_lo, v2, v3
	s_or_b32 s1, vcc_lo, s1
	s_and_not1_b32 exec_lo, exec_lo, s1
	s_cbranch_execnz .LBB910_15
; %bb.16:
	s_or_b32 exec_lo, exec_lo, s1
.LBB910_17:
	s_delay_alu instid0(VALU_DEP_1)
	v_add_nc_u32_e32 v2, v2, v0
	s_mov_b32 s9, -1
.LBB910_18:
	s_delay_alu instid0(SALU_CYCLE_1)
	s_and_b32 exec_lo, exec_lo, s9
	s_cbranch_execz .LBB910_20
; %bb.19:
	s_wait_loadcnt 0x0
	global_store_b32 v2, v1, s[6:7] scale_offset
.LBB910_20:
	s_endpgm
	.section	.rodata,"a",@progbits
	.p2align	6, 0x0
	.amdhsa_kernel _ZN7rocprim17ROCPRIM_400000_NS6detail17trampoline_kernelINS0_14default_configENS1_38merge_sort_block_merge_config_selectorIiNS0_10empty_typeEEEZZNS1_27merge_sort_block_merge_implIS3_PiPS5_jNS1_19radix_merge_compareILb0ELb0EiNS0_19identity_decomposerEEEEE10hipError_tT0_T1_T2_jT3_P12ihipStream_tbPNSt15iterator_traitsISE_E10value_typeEPNSK_ISF_E10value_typeEPSG_NS1_7vsmem_tEENKUlT_SE_SF_SG_E_clIS8_S8_S9_S9_EESD_ST_SE_SF_SG_EUlST_E1_NS1_11comp_targetILNS1_3genE0ELNS1_11target_archE4294967295ELNS1_3gpuE0ELNS1_3repE0EEENS1_36merge_oddeven_config_static_selectorELNS0_4arch9wavefront6targetE0EEEvSF_
		.amdhsa_group_segment_fixed_size 0
		.amdhsa_private_segment_fixed_size 0
		.amdhsa_kernarg_size 48
		.amdhsa_user_sgpr_count 2
		.amdhsa_user_sgpr_dispatch_ptr 0
		.amdhsa_user_sgpr_queue_ptr 0
		.amdhsa_user_sgpr_kernarg_segment_ptr 1
		.amdhsa_user_sgpr_dispatch_id 0
		.amdhsa_user_sgpr_kernarg_preload_length 0
		.amdhsa_user_sgpr_kernarg_preload_offset 0
		.amdhsa_user_sgpr_private_segment_size 0
		.amdhsa_wavefront_size32 1
		.amdhsa_uses_dynamic_stack 0
		.amdhsa_enable_private_segment 0
		.amdhsa_system_sgpr_workgroup_id_x 1
		.amdhsa_system_sgpr_workgroup_id_y 0
		.amdhsa_system_sgpr_workgroup_id_z 0
		.amdhsa_system_sgpr_workgroup_info 0
		.amdhsa_system_vgpr_workitem_id 0
		.amdhsa_next_free_vgpr 7
		.amdhsa_next_free_sgpr 16
		.amdhsa_named_barrier_count 0
		.amdhsa_reserve_vcc 1
		.amdhsa_float_round_mode_32 0
		.amdhsa_float_round_mode_16_64 0
		.amdhsa_float_denorm_mode_32 3
		.amdhsa_float_denorm_mode_16_64 3
		.amdhsa_fp16_overflow 0
		.amdhsa_memory_ordered 1
		.amdhsa_forward_progress 1
		.amdhsa_inst_pref_size 5
		.amdhsa_round_robin_scheduling 0
		.amdhsa_exception_fp_ieee_invalid_op 0
		.amdhsa_exception_fp_denorm_src 0
		.amdhsa_exception_fp_ieee_div_zero 0
		.amdhsa_exception_fp_ieee_overflow 0
		.amdhsa_exception_fp_ieee_underflow 0
		.amdhsa_exception_fp_ieee_inexact 0
		.amdhsa_exception_int_div_zero 0
	.end_amdhsa_kernel
	.section	.text._ZN7rocprim17ROCPRIM_400000_NS6detail17trampoline_kernelINS0_14default_configENS1_38merge_sort_block_merge_config_selectorIiNS0_10empty_typeEEEZZNS1_27merge_sort_block_merge_implIS3_PiPS5_jNS1_19radix_merge_compareILb0ELb0EiNS0_19identity_decomposerEEEEE10hipError_tT0_T1_T2_jT3_P12ihipStream_tbPNSt15iterator_traitsISE_E10value_typeEPNSK_ISF_E10value_typeEPSG_NS1_7vsmem_tEENKUlT_SE_SF_SG_E_clIS8_S8_S9_S9_EESD_ST_SE_SF_SG_EUlST_E1_NS1_11comp_targetILNS1_3genE0ELNS1_11target_archE4294967295ELNS1_3gpuE0ELNS1_3repE0EEENS1_36merge_oddeven_config_static_selectorELNS0_4arch9wavefront6targetE0EEEvSF_,"axG",@progbits,_ZN7rocprim17ROCPRIM_400000_NS6detail17trampoline_kernelINS0_14default_configENS1_38merge_sort_block_merge_config_selectorIiNS0_10empty_typeEEEZZNS1_27merge_sort_block_merge_implIS3_PiPS5_jNS1_19radix_merge_compareILb0ELb0EiNS0_19identity_decomposerEEEEE10hipError_tT0_T1_T2_jT3_P12ihipStream_tbPNSt15iterator_traitsISE_E10value_typeEPNSK_ISF_E10value_typeEPSG_NS1_7vsmem_tEENKUlT_SE_SF_SG_E_clIS8_S8_S9_S9_EESD_ST_SE_SF_SG_EUlST_E1_NS1_11comp_targetILNS1_3genE0ELNS1_11target_archE4294967295ELNS1_3gpuE0ELNS1_3repE0EEENS1_36merge_oddeven_config_static_selectorELNS0_4arch9wavefront6targetE0EEEvSF_,comdat
.Lfunc_end910:
	.size	_ZN7rocprim17ROCPRIM_400000_NS6detail17trampoline_kernelINS0_14default_configENS1_38merge_sort_block_merge_config_selectorIiNS0_10empty_typeEEEZZNS1_27merge_sort_block_merge_implIS3_PiPS5_jNS1_19radix_merge_compareILb0ELb0EiNS0_19identity_decomposerEEEEE10hipError_tT0_T1_T2_jT3_P12ihipStream_tbPNSt15iterator_traitsISE_E10value_typeEPNSK_ISF_E10value_typeEPSG_NS1_7vsmem_tEENKUlT_SE_SF_SG_E_clIS8_S8_S9_S9_EESD_ST_SE_SF_SG_EUlST_E1_NS1_11comp_targetILNS1_3genE0ELNS1_11target_archE4294967295ELNS1_3gpuE0ELNS1_3repE0EEENS1_36merge_oddeven_config_static_selectorELNS0_4arch9wavefront6targetE0EEEvSF_, .Lfunc_end910-_ZN7rocprim17ROCPRIM_400000_NS6detail17trampoline_kernelINS0_14default_configENS1_38merge_sort_block_merge_config_selectorIiNS0_10empty_typeEEEZZNS1_27merge_sort_block_merge_implIS3_PiPS5_jNS1_19radix_merge_compareILb0ELb0EiNS0_19identity_decomposerEEEEE10hipError_tT0_T1_T2_jT3_P12ihipStream_tbPNSt15iterator_traitsISE_E10value_typeEPNSK_ISF_E10value_typeEPSG_NS1_7vsmem_tEENKUlT_SE_SF_SG_E_clIS8_S8_S9_S9_EESD_ST_SE_SF_SG_EUlST_E1_NS1_11comp_targetILNS1_3genE0ELNS1_11target_archE4294967295ELNS1_3gpuE0ELNS1_3repE0EEENS1_36merge_oddeven_config_static_selectorELNS0_4arch9wavefront6targetE0EEEvSF_
                                        ; -- End function
	.set _ZN7rocprim17ROCPRIM_400000_NS6detail17trampoline_kernelINS0_14default_configENS1_38merge_sort_block_merge_config_selectorIiNS0_10empty_typeEEEZZNS1_27merge_sort_block_merge_implIS3_PiPS5_jNS1_19radix_merge_compareILb0ELb0EiNS0_19identity_decomposerEEEEE10hipError_tT0_T1_T2_jT3_P12ihipStream_tbPNSt15iterator_traitsISE_E10value_typeEPNSK_ISF_E10value_typeEPSG_NS1_7vsmem_tEENKUlT_SE_SF_SG_E_clIS8_S8_S9_S9_EESD_ST_SE_SF_SG_EUlST_E1_NS1_11comp_targetILNS1_3genE0ELNS1_11target_archE4294967295ELNS1_3gpuE0ELNS1_3repE0EEENS1_36merge_oddeven_config_static_selectorELNS0_4arch9wavefront6targetE0EEEvSF_.num_vgpr, 7
	.set _ZN7rocprim17ROCPRIM_400000_NS6detail17trampoline_kernelINS0_14default_configENS1_38merge_sort_block_merge_config_selectorIiNS0_10empty_typeEEEZZNS1_27merge_sort_block_merge_implIS3_PiPS5_jNS1_19radix_merge_compareILb0ELb0EiNS0_19identity_decomposerEEEEE10hipError_tT0_T1_T2_jT3_P12ihipStream_tbPNSt15iterator_traitsISE_E10value_typeEPNSK_ISF_E10value_typeEPSG_NS1_7vsmem_tEENKUlT_SE_SF_SG_E_clIS8_S8_S9_S9_EESD_ST_SE_SF_SG_EUlST_E1_NS1_11comp_targetILNS1_3genE0ELNS1_11target_archE4294967295ELNS1_3gpuE0ELNS1_3repE0EEENS1_36merge_oddeven_config_static_selectorELNS0_4arch9wavefront6targetE0EEEvSF_.num_agpr, 0
	.set _ZN7rocprim17ROCPRIM_400000_NS6detail17trampoline_kernelINS0_14default_configENS1_38merge_sort_block_merge_config_selectorIiNS0_10empty_typeEEEZZNS1_27merge_sort_block_merge_implIS3_PiPS5_jNS1_19radix_merge_compareILb0ELb0EiNS0_19identity_decomposerEEEEE10hipError_tT0_T1_T2_jT3_P12ihipStream_tbPNSt15iterator_traitsISE_E10value_typeEPNSK_ISF_E10value_typeEPSG_NS1_7vsmem_tEENKUlT_SE_SF_SG_E_clIS8_S8_S9_S9_EESD_ST_SE_SF_SG_EUlST_E1_NS1_11comp_targetILNS1_3genE0ELNS1_11target_archE4294967295ELNS1_3gpuE0ELNS1_3repE0EEENS1_36merge_oddeven_config_static_selectorELNS0_4arch9wavefront6targetE0EEEvSF_.numbered_sgpr, 16
	.set _ZN7rocprim17ROCPRIM_400000_NS6detail17trampoline_kernelINS0_14default_configENS1_38merge_sort_block_merge_config_selectorIiNS0_10empty_typeEEEZZNS1_27merge_sort_block_merge_implIS3_PiPS5_jNS1_19radix_merge_compareILb0ELb0EiNS0_19identity_decomposerEEEEE10hipError_tT0_T1_T2_jT3_P12ihipStream_tbPNSt15iterator_traitsISE_E10value_typeEPNSK_ISF_E10value_typeEPSG_NS1_7vsmem_tEENKUlT_SE_SF_SG_E_clIS8_S8_S9_S9_EESD_ST_SE_SF_SG_EUlST_E1_NS1_11comp_targetILNS1_3genE0ELNS1_11target_archE4294967295ELNS1_3gpuE0ELNS1_3repE0EEENS1_36merge_oddeven_config_static_selectorELNS0_4arch9wavefront6targetE0EEEvSF_.num_named_barrier, 0
	.set _ZN7rocprim17ROCPRIM_400000_NS6detail17trampoline_kernelINS0_14default_configENS1_38merge_sort_block_merge_config_selectorIiNS0_10empty_typeEEEZZNS1_27merge_sort_block_merge_implIS3_PiPS5_jNS1_19radix_merge_compareILb0ELb0EiNS0_19identity_decomposerEEEEE10hipError_tT0_T1_T2_jT3_P12ihipStream_tbPNSt15iterator_traitsISE_E10value_typeEPNSK_ISF_E10value_typeEPSG_NS1_7vsmem_tEENKUlT_SE_SF_SG_E_clIS8_S8_S9_S9_EESD_ST_SE_SF_SG_EUlST_E1_NS1_11comp_targetILNS1_3genE0ELNS1_11target_archE4294967295ELNS1_3gpuE0ELNS1_3repE0EEENS1_36merge_oddeven_config_static_selectorELNS0_4arch9wavefront6targetE0EEEvSF_.private_seg_size, 0
	.set _ZN7rocprim17ROCPRIM_400000_NS6detail17trampoline_kernelINS0_14default_configENS1_38merge_sort_block_merge_config_selectorIiNS0_10empty_typeEEEZZNS1_27merge_sort_block_merge_implIS3_PiPS5_jNS1_19radix_merge_compareILb0ELb0EiNS0_19identity_decomposerEEEEE10hipError_tT0_T1_T2_jT3_P12ihipStream_tbPNSt15iterator_traitsISE_E10value_typeEPNSK_ISF_E10value_typeEPSG_NS1_7vsmem_tEENKUlT_SE_SF_SG_E_clIS8_S8_S9_S9_EESD_ST_SE_SF_SG_EUlST_E1_NS1_11comp_targetILNS1_3genE0ELNS1_11target_archE4294967295ELNS1_3gpuE0ELNS1_3repE0EEENS1_36merge_oddeven_config_static_selectorELNS0_4arch9wavefront6targetE0EEEvSF_.uses_vcc, 1
	.set _ZN7rocprim17ROCPRIM_400000_NS6detail17trampoline_kernelINS0_14default_configENS1_38merge_sort_block_merge_config_selectorIiNS0_10empty_typeEEEZZNS1_27merge_sort_block_merge_implIS3_PiPS5_jNS1_19radix_merge_compareILb0ELb0EiNS0_19identity_decomposerEEEEE10hipError_tT0_T1_T2_jT3_P12ihipStream_tbPNSt15iterator_traitsISE_E10value_typeEPNSK_ISF_E10value_typeEPSG_NS1_7vsmem_tEENKUlT_SE_SF_SG_E_clIS8_S8_S9_S9_EESD_ST_SE_SF_SG_EUlST_E1_NS1_11comp_targetILNS1_3genE0ELNS1_11target_archE4294967295ELNS1_3gpuE0ELNS1_3repE0EEENS1_36merge_oddeven_config_static_selectorELNS0_4arch9wavefront6targetE0EEEvSF_.uses_flat_scratch, 0
	.set _ZN7rocprim17ROCPRIM_400000_NS6detail17trampoline_kernelINS0_14default_configENS1_38merge_sort_block_merge_config_selectorIiNS0_10empty_typeEEEZZNS1_27merge_sort_block_merge_implIS3_PiPS5_jNS1_19radix_merge_compareILb0ELb0EiNS0_19identity_decomposerEEEEE10hipError_tT0_T1_T2_jT3_P12ihipStream_tbPNSt15iterator_traitsISE_E10value_typeEPNSK_ISF_E10value_typeEPSG_NS1_7vsmem_tEENKUlT_SE_SF_SG_E_clIS8_S8_S9_S9_EESD_ST_SE_SF_SG_EUlST_E1_NS1_11comp_targetILNS1_3genE0ELNS1_11target_archE4294967295ELNS1_3gpuE0ELNS1_3repE0EEENS1_36merge_oddeven_config_static_selectorELNS0_4arch9wavefront6targetE0EEEvSF_.has_dyn_sized_stack, 0
	.set _ZN7rocprim17ROCPRIM_400000_NS6detail17trampoline_kernelINS0_14default_configENS1_38merge_sort_block_merge_config_selectorIiNS0_10empty_typeEEEZZNS1_27merge_sort_block_merge_implIS3_PiPS5_jNS1_19radix_merge_compareILb0ELb0EiNS0_19identity_decomposerEEEEE10hipError_tT0_T1_T2_jT3_P12ihipStream_tbPNSt15iterator_traitsISE_E10value_typeEPNSK_ISF_E10value_typeEPSG_NS1_7vsmem_tEENKUlT_SE_SF_SG_E_clIS8_S8_S9_S9_EESD_ST_SE_SF_SG_EUlST_E1_NS1_11comp_targetILNS1_3genE0ELNS1_11target_archE4294967295ELNS1_3gpuE0ELNS1_3repE0EEENS1_36merge_oddeven_config_static_selectorELNS0_4arch9wavefront6targetE0EEEvSF_.has_recursion, 0
	.set _ZN7rocprim17ROCPRIM_400000_NS6detail17trampoline_kernelINS0_14default_configENS1_38merge_sort_block_merge_config_selectorIiNS0_10empty_typeEEEZZNS1_27merge_sort_block_merge_implIS3_PiPS5_jNS1_19radix_merge_compareILb0ELb0EiNS0_19identity_decomposerEEEEE10hipError_tT0_T1_T2_jT3_P12ihipStream_tbPNSt15iterator_traitsISE_E10value_typeEPNSK_ISF_E10value_typeEPSG_NS1_7vsmem_tEENKUlT_SE_SF_SG_E_clIS8_S8_S9_S9_EESD_ST_SE_SF_SG_EUlST_E1_NS1_11comp_targetILNS1_3genE0ELNS1_11target_archE4294967295ELNS1_3gpuE0ELNS1_3repE0EEENS1_36merge_oddeven_config_static_selectorELNS0_4arch9wavefront6targetE0EEEvSF_.has_indirect_call, 0
	.section	.AMDGPU.csdata,"",@progbits
; Kernel info:
; codeLenInByte = 636
; TotalNumSgprs: 18
; NumVgprs: 7
; ScratchSize: 0
; MemoryBound: 0
; FloatMode: 240
; IeeeMode: 1
; LDSByteSize: 0 bytes/workgroup (compile time only)
; SGPRBlocks: 0
; VGPRBlocks: 0
; NumSGPRsForWavesPerEU: 18
; NumVGPRsForWavesPerEU: 7
; NamedBarCnt: 0
; Occupancy: 16
; WaveLimiterHint : 0
; COMPUTE_PGM_RSRC2:SCRATCH_EN: 0
; COMPUTE_PGM_RSRC2:USER_SGPR: 2
; COMPUTE_PGM_RSRC2:TRAP_HANDLER: 0
; COMPUTE_PGM_RSRC2:TGID_X_EN: 1
; COMPUTE_PGM_RSRC2:TGID_Y_EN: 0
; COMPUTE_PGM_RSRC2:TGID_Z_EN: 0
; COMPUTE_PGM_RSRC2:TIDIG_COMP_CNT: 0
	.section	.text._ZN7rocprim17ROCPRIM_400000_NS6detail17trampoline_kernelINS0_14default_configENS1_38merge_sort_block_merge_config_selectorIiNS0_10empty_typeEEEZZNS1_27merge_sort_block_merge_implIS3_PiPS5_jNS1_19radix_merge_compareILb0ELb0EiNS0_19identity_decomposerEEEEE10hipError_tT0_T1_T2_jT3_P12ihipStream_tbPNSt15iterator_traitsISE_E10value_typeEPNSK_ISF_E10value_typeEPSG_NS1_7vsmem_tEENKUlT_SE_SF_SG_E_clIS8_S8_S9_S9_EESD_ST_SE_SF_SG_EUlST_E1_NS1_11comp_targetILNS1_3genE10ELNS1_11target_archE1201ELNS1_3gpuE5ELNS1_3repE0EEENS1_36merge_oddeven_config_static_selectorELNS0_4arch9wavefront6targetE0EEEvSF_,"axG",@progbits,_ZN7rocprim17ROCPRIM_400000_NS6detail17trampoline_kernelINS0_14default_configENS1_38merge_sort_block_merge_config_selectorIiNS0_10empty_typeEEEZZNS1_27merge_sort_block_merge_implIS3_PiPS5_jNS1_19radix_merge_compareILb0ELb0EiNS0_19identity_decomposerEEEEE10hipError_tT0_T1_T2_jT3_P12ihipStream_tbPNSt15iterator_traitsISE_E10value_typeEPNSK_ISF_E10value_typeEPSG_NS1_7vsmem_tEENKUlT_SE_SF_SG_E_clIS8_S8_S9_S9_EESD_ST_SE_SF_SG_EUlST_E1_NS1_11comp_targetILNS1_3genE10ELNS1_11target_archE1201ELNS1_3gpuE5ELNS1_3repE0EEENS1_36merge_oddeven_config_static_selectorELNS0_4arch9wavefront6targetE0EEEvSF_,comdat
	.protected	_ZN7rocprim17ROCPRIM_400000_NS6detail17trampoline_kernelINS0_14default_configENS1_38merge_sort_block_merge_config_selectorIiNS0_10empty_typeEEEZZNS1_27merge_sort_block_merge_implIS3_PiPS5_jNS1_19radix_merge_compareILb0ELb0EiNS0_19identity_decomposerEEEEE10hipError_tT0_T1_T2_jT3_P12ihipStream_tbPNSt15iterator_traitsISE_E10value_typeEPNSK_ISF_E10value_typeEPSG_NS1_7vsmem_tEENKUlT_SE_SF_SG_E_clIS8_S8_S9_S9_EESD_ST_SE_SF_SG_EUlST_E1_NS1_11comp_targetILNS1_3genE10ELNS1_11target_archE1201ELNS1_3gpuE5ELNS1_3repE0EEENS1_36merge_oddeven_config_static_selectorELNS0_4arch9wavefront6targetE0EEEvSF_ ; -- Begin function _ZN7rocprim17ROCPRIM_400000_NS6detail17trampoline_kernelINS0_14default_configENS1_38merge_sort_block_merge_config_selectorIiNS0_10empty_typeEEEZZNS1_27merge_sort_block_merge_implIS3_PiPS5_jNS1_19radix_merge_compareILb0ELb0EiNS0_19identity_decomposerEEEEE10hipError_tT0_T1_T2_jT3_P12ihipStream_tbPNSt15iterator_traitsISE_E10value_typeEPNSK_ISF_E10value_typeEPSG_NS1_7vsmem_tEENKUlT_SE_SF_SG_E_clIS8_S8_S9_S9_EESD_ST_SE_SF_SG_EUlST_E1_NS1_11comp_targetILNS1_3genE10ELNS1_11target_archE1201ELNS1_3gpuE5ELNS1_3repE0EEENS1_36merge_oddeven_config_static_selectorELNS0_4arch9wavefront6targetE0EEEvSF_
	.globl	_ZN7rocprim17ROCPRIM_400000_NS6detail17trampoline_kernelINS0_14default_configENS1_38merge_sort_block_merge_config_selectorIiNS0_10empty_typeEEEZZNS1_27merge_sort_block_merge_implIS3_PiPS5_jNS1_19radix_merge_compareILb0ELb0EiNS0_19identity_decomposerEEEEE10hipError_tT0_T1_T2_jT3_P12ihipStream_tbPNSt15iterator_traitsISE_E10value_typeEPNSK_ISF_E10value_typeEPSG_NS1_7vsmem_tEENKUlT_SE_SF_SG_E_clIS8_S8_S9_S9_EESD_ST_SE_SF_SG_EUlST_E1_NS1_11comp_targetILNS1_3genE10ELNS1_11target_archE1201ELNS1_3gpuE5ELNS1_3repE0EEENS1_36merge_oddeven_config_static_selectorELNS0_4arch9wavefront6targetE0EEEvSF_
	.p2align	8
	.type	_ZN7rocprim17ROCPRIM_400000_NS6detail17trampoline_kernelINS0_14default_configENS1_38merge_sort_block_merge_config_selectorIiNS0_10empty_typeEEEZZNS1_27merge_sort_block_merge_implIS3_PiPS5_jNS1_19radix_merge_compareILb0ELb0EiNS0_19identity_decomposerEEEEE10hipError_tT0_T1_T2_jT3_P12ihipStream_tbPNSt15iterator_traitsISE_E10value_typeEPNSK_ISF_E10value_typeEPSG_NS1_7vsmem_tEENKUlT_SE_SF_SG_E_clIS8_S8_S9_S9_EESD_ST_SE_SF_SG_EUlST_E1_NS1_11comp_targetILNS1_3genE10ELNS1_11target_archE1201ELNS1_3gpuE5ELNS1_3repE0EEENS1_36merge_oddeven_config_static_selectorELNS0_4arch9wavefront6targetE0EEEvSF_,@function
_ZN7rocprim17ROCPRIM_400000_NS6detail17trampoline_kernelINS0_14default_configENS1_38merge_sort_block_merge_config_selectorIiNS0_10empty_typeEEEZZNS1_27merge_sort_block_merge_implIS3_PiPS5_jNS1_19radix_merge_compareILb0ELb0EiNS0_19identity_decomposerEEEEE10hipError_tT0_T1_T2_jT3_P12ihipStream_tbPNSt15iterator_traitsISE_E10value_typeEPNSK_ISF_E10value_typeEPSG_NS1_7vsmem_tEENKUlT_SE_SF_SG_E_clIS8_S8_S9_S9_EESD_ST_SE_SF_SG_EUlST_E1_NS1_11comp_targetILNS1_3genE10ELNS1_11target_archE1201ELNS1_3gpuE5ELNS1_3repE0EEENS1_36merge_oddeven_config_static_selectorELNS0_4arch9wavefront6targetE0EEEvSF_: ; @_ZN7rocprim17ROCPRIM_400000_NS6detail17trampoline_kernelINS0_14default_configENS1_38merge_sort_block_merge_config_selectorIiNS0_10empty_typeEEEZZNS1_27merge_sort_block_merge_implIS3_PiPS5_jNS1_19radix_merge_compareILb0ELb0EiNS0_19identity_decomposerEEEEE10hipError_tT0_T1_T2_jT3_P12ihipStream_tbPNSt15iterator_traitsISE_E10value_typeEPNSK_ISF_E10value_typeEPSG_NS1_7vsmem_tEENKUlT_SE_SF_SG_E_clIS8_S8_S9_S9_EESD_ST_SE_SF_SG_EUlST_E1_NS1_11comp_targetILNS1_3genE10ELNS1_11target_archE1201ELNS1_3gpuE5ELNS1_3repE0EEENS1_36merge_oddeven_config_static_selectorELNS0_4arch9wavefront6targetE0EEEvSF_
; %bb.0:
	.section	.rodata,"a",@progbits
	.p2align	6, 0x0
	.amdhsa_kernel _ZN7rocprim17ROCPRIM_400000_NS6detail17trampoline_kernelINS0_14default_configENS1_38merge_sort_block_merge_config_selectorIiNS0_10empty_typeEEEZZNS1_27merge_sort_block_merge_implIS3_PiPS5_jNS1_19radix_merge_compareILb0ELb0EiNS0_19identity_decomposerEEEEE10hipError_tT0_T1_T2_jT3_P12ihipStream_tbPNSt15iterator_traitsISE_E10value_typeEPNSK_ISF_E10value_typeEPSG_NS1_7vsmem_tEENKUlT_SE_SF_SG_E_clIS8_S8_S9_S9_EESD_ST_SE_SF_SG_EUlST_E1_NS1_11comp_targetILNS1_3genE10ELNS1_11target_archE1201ELNS1_3gpuE5ELNS1_3repE0EEENS1_36merge_oddeven_config_static_selectorELNS0_4arch9wavefront6targetE0EEEvSF_
		.amdhsa_group_segment_fixed_size 0
		.amdhsa_private_segment_fixed_size 0
		.amdhsa_kernarg_size 48
		.amdhsa_user_sgpr_count 2
		.amdhsa_user_sgpr_dispatch_ptr 0
		.amdhsa_user_sgpr_queue_ptr 0
		.amdhsa_user_sgpr_kernarg_segment_ptr 1
		.amdhsa_user_sgpr_dispatch_id 0
		.amdhsa_user_sgpr_kernarg_preload_length 0
		.amdhsa_user_sgpr_kernarg_preload_offset 0
		.amdhsa_user_sgpr_private_segment_size 0
		.amdhsa_wavefront_size32 1
		.amdhsa_uses_dynamic_stack 0
		.amdhsa_enable_private_segment 0
		.amdhsa_system_sgpr_workgroup_id_x 1
		.amdhsa_system_sgpr_workgroup_id_y 0
		.amdhsa_system_sgpr_workgroup_id_z 0
		.amdhsa_system_sgpr_workgroup_info 0
		.amdhsa_system_vgpr_workitem_id 0
		.amdhsa_next_free_vgpr 1
		.amdhsa_next_free_sgpr 1
		.amdhsa_named_barrier_count 0
		.amdhsa_reserve_vcc 0
		.amdhsa_float_round_mode_32 0
		.amdhsa_float_round_mode_16_64 0
		.amdhsa_float_denorm_mode_32 3
		.amdhsa_float_denorm_mode_16_64 3
		.amdhsa_fp16_overflow 0
		.amdhsa_memory_ordered 1
		.amdhsa_forward_progress 1
		.amdhsa_inst_pref_size 0
		.amdhsa_round_robin_scheduling 0
		.amdhsa_exception_fp_ieee_invalid_op 0
		.amdhsa_exception_fp_denorm_src 0
		.amdhsa_exception_fp_ieee_div_zero 0
		.amdhsa_exception_fp_ieee_overflow 0
		.amdhsa_exception_fp_ieee_underflow 0
		.amdhsa_exception_fp_ieee_inexact 0
		.amdhsa_exception_int_div_zero 0
	.end_amdhsa_kernel
	.section	.text._ZN7rocprim17ROCPRIM_400000_NS6detail17trampoline_kernelINS0_14default_configENS1_38merge_sort_block_merge_config_selectorIiNS0_10empty_typeEEEZZNS1_27merge_sort_block_merge_implIS3_PiPS5_jNS1_19radix_merge_compareILb0ELb0EiNS0_19identity_decomposerEEEEE10hipError_tT0_T1_T2_jT3_P12ihipStream_tbPNSt15iterator_traitsISE_E10value_typeEPNSK_ISF_E10value_typeEPSG_NS1_7vsmem_tEENKUlT_SE_SF_SG_E_clIS8_S8_S9_S9_EESD_ST_SE_SF_SG_EUlST_E1_NS1_11comp_targetILNS1_3genE10ELNS1_11target_archE1201ELNS1_3gpuE5ELNS1_3repE0EEENS1_36merge_oddeven_config_static_selectorELNS0_4arch9wavefront6targetE0EEEvSF_,"axG",@progbits,_ZN7rocprim17ROCPRIM_400000_NS6detail17trampoline_kernelINS0_14default_configENS1_38merge_sort_block_merge_config_selectorIiNS0_10empty_typeEEEZZNS1_27merge_sort_block_merge_implIS3_PiPS5_jNS1_19radix_merge_compareILb0ELb0EiNS0_19identity_decomposerEEEEE10hipError_tT0_T1_T2_jT3_P12ihipStream_tbPNSt15iterator_traitsISE_E10value_typeEPNSK_ISF_E10value_typeEPSG_NS1_7vsmem_tEENKUlT_SE_SF_SG_E_clIS8_S8_S9_S9_EESD_ST_SE_SF_SG_EUlST_E1_NS1_11comp_targetILNS1_3genE10ELNS1_11target_archE1201ELNS1_3gpuE5ELNS1_3repE0EEENS1_36merge_oddeven_config_static_selectorELNS0_4arch9wavefront6targetE0EEEvSF_,comdat
.Lfunc_end911:
	.size	_ZN7rocprim17ROCPRIM_400000_NS6detail17trampoline_kernelINS0_14default_configENS1_38merge_sort_block_merge_config_selectorIiNS0_10empty_typeEEEZZNS1_27merge_sort_block_merge_implIS3_PiPS5_jNS1_19radix_merge_compareILb0ELb0EiNS0_19identity_decomposerEEEEE10hipError_tT0_T1_T2_jT3_P12ihipStream_tbPNSt15iterator_traitsISE_E10value_typeEPNSK_ISF_E10value_typeEPSG_NS1_7vsmem_tEENKUlT_SE_SF_SG_E_clIS8_S8_S9_S9_EESD_ST_SE_SF_SG_EUlST_E1_NS1_11comp_targetILNS1_3genE10ELNS1_11target_archE1201ELNS1_3gpuE5ELNS1_3repE0EEENS1_36merge_oddeven_config_static_selectorELNS0_4arch9wavefront6targetE0EEEvSF_, .Lfunc_end911-_ZN7rocprim17ROCPRIM_400000_NS6detail17trampoline_kernelINS0_14default_configENS1_38merge_sort_block_merge_config_selectorIiNS0_10empty_typeEEEZZNS1_27merge_sort_block_merge_implIS3_PiPS5_jNS1_19radix_merge_compareILb0ELb0EiNS0_19identity_decomposerEEEEE10hipError_tT0_T1_T2_jT3_P12ihipStream_tbPNSt15iterator_traitsISE_E10value_typeEPNSK_ISF_E10value_typeEPSG_NS1_7vsmem_tEENKUlT_SE_SF_SG_E_clIS8_S8_S9_S9_EESD_ST_SE_SF_SG_EUlST_E1_NS1_11comp_targetILNS1_3genE10ELNS1_11target_archE1201ELNS1_3gpuE5ELNS1_3repE0EEENS1_36merge_oddeven_config_static_selectorELNS0_4arch9wavefront6targetE0EEEvSF_
                                        ; -- End function
	.set _ZN7rocprim17ROCPRIM_400000_NS6detail17trampoline_kernelINS0_14default_configENS1_38merge_sort_block_merge_config_selectorIiNS0_10empty_typeEEEZZNS1_27merge_sort_block_merge_implIS3_PiPS5_jNS1_19radix_merge_compareILb0ELb0EiNS0_19identity_decomposerEEEEE10hipError_tT0_T1_T2_jT3_P12ihipStream_tbPNSt15iterator_traitsISE_E10value_typeEPNSK_ISF_E10value_typeEPSG_NS1_7vsmem_tEENKUlT_SE_SF_SG_E_clIS8_S8_S9_S9_EESD_ST_SE_SF_SG_EUlST_E1_NS1_11comp_targetILNS1_3genE10ELNS1_11target_archE1201ELNS1_3gpuE5ELNS1_3repE0EEENS1_36merge_oddeven_config_static_selectorELNS0_4arch9wavefront6targetE0EEEvSF_.num_vgpr, 0
	.set _ZN7rocprim17ROCPRIM_400000_NS6detail17trampoline_kernelINS0_14default_configENS1_38merge_sort_block_merge_config_selectorIiNS0_10empty_typeEEEZZNS1_27merge_sort_block_merge_implIS3_PiPS5_jNS1_19radix_merge_compareILb0ELb0EiNS0_19identity_decomposerEEEEE10hipError_tT0_T1_T2_jT3_P12ihipStream_tbPNSt15iterator_traitsISE_E10value_typeEPNSK_ISF_E10value_typeEPSG_NS1_7vsmem_tEENKUlT_SE_SF_SG_E_clIS8_S8_S9_S9_EESD_ST_SE_SF_SG_EUlST_E1_NS1_11comp_targetILNS1_3genE10ELNS1_11target_archE1201ELNS1_3gpuE5ELNS1_3repE0EEENS1_36merge_oddeven_config_static_selectorELNS0_4arch9wavefront6targetE0EEEvSF_.num_agpr, 0
	.set _ZN7rocprim17ROCPRIM_400000_NS6detail17trampoline_kernelINS0_14default_configENS1_38merge_sort_block_merge_config_selectorIiNS0_10empty_typeEEEZZNS1_27merge_sort_block_merge_implIS3_PiPS5_jNS1_19radix_merge_compareILb0ELb0EiNS0_19identity_decomposerEEEEE10hipError_tT0_T1_T2_jT3_P12ihipStream_tbPNSt15iterator_traitsISE_E10value_typeEPNSK_ISF_E10value_typeEPSG_NS1_7vsmem_tEENKUlT_SE_SF_SG_E_clIS8_S8_S9_S9_EESD_ST_SE_SF_SG_EUlST_E1_NS1_11comp_targetILNS1_3genE10ELNS1_11target_archE1201ELNS1_3gpuE5ELNS1_3repE0EEENS1_36merge_oddeven_config_static_selectorELNS0_4arch9wavefront6targetE0EEEvSF_.numbered_sgpr, 0
	.set _ZN7rocprim17ROCPRIM_400000_NS6detail17trampoline_kernelINS0_14default_configENS1_38merge_sort_block_merge_config_selectorIiNS0_10empty_typeEEEZZNS1_27merge_sort_block_merge_implIS3_PiPS5_jNS1_19radix_merge_compareILb0ELb0EiNS0_19identity_decomposerEEEEE10hipError_tT0_T1_T2_jT3_P12ihipStream_tbPNSt15iterator_traitsISE_E10value_typeEPNSK_ISF_E10value_typeEPSG_NS1_7vsmem_tEENKUlT_SE_SF_SG_E_clIS8_S8_S9_S9_EESD_ST_SE_SF_SG_EUlST_E1_NS1_11comp_targetILNS1_3genE10ELNS1_11target_archE1201ELNS1_3gpuE5ELNS1_3repE0EEENS1_36merge_oddeven_config_static_selectorELNS0_4arch9wavefront6targetE0EEEvSF_.num_named_barrier, 0
	.set _ZN7rocprim17ROCPRIM_400000_NS6detail17trampoline_kernelINS0_14default_configENS1_38merge_sort_block_merge_config_selectorIiNS0_10empty_typeEEEZZNS1_27merge_sort_block_merge_implIS3_PiPS5_jNS1_19radix_merge_compareILb0ELb0EiNS0_19identity_decomposerEEEEE10hipError_tT0_T1_T2_jT3_P12ihipStream_tbPNSt15iterator_traitsISE_E10value_typeEPNSK_ISF_E10value_typeEPSG_NS1_7vsmem_tEENKUlT_SE_SF_SG_E_clIS8_S8_S9_S9_EESD_ST_SE_SF_SG_EUlST_E1_NS1_11comp_targetILNS1_3genE10ELNS1_11target_archE1201ELNS1_3gpuE5ELNS1_3repE0EEENS1_36merge_oddeven_config_static_selectorELNS0_4arch9wavefront6targetE0EEEvSF_.private_seg_size, 0
	.set _ZN7rocprim17ROCPRIM_400000_NS6detail17trampoline_kernelINS0_14default_configENS1_38merge_sort_block_merge_config_selectorIiNS0_10empty_typeEEEZZNS1_27merge_sort_block_merge_implIS3_PiPS5_jNS1_19radix_merge_compareILb0ELb0EiNS0_19identity_decomposerEEEEE10hipError_tT0_T1_T2_jT3_P12ihipStream_tbPNSt15iterator_traitsISE_E10value_typeEPNSK_ISF_E10value_typeEPSG_NS1_7vsmem_tEENKUlT_SE_SF_SG_E_clIS8_S8_S9_S9_EESD_ST_SE_SF_SG_EUlST_E1_NS1_11comp_targetILNS1_3genE10ELNS1_11target_archE1201ELNS1_3gpuE5ELNS1_3repE0EEENS1_36merge_oddeven_config_static_selectorELNS0_4arch9wavefront6targetE0EEEvSF_.uses_vcc, 0
	.set _ZN7rocprim17ROCPRIM_400000_NS6detail17trampoline_kernelINS0_14default_configENS1_38merge_sort_block_merge_config_selectorIiNS0_10empty_typeEEEZZNS1_27merge_sort_block_merge_implIS3_PiPS5_jNS1_19radix_merge_compareILb0ELb0EiNS0_19identity_decomposerEEEEE10hipError_tT0_T1_T2_jT3_P12ihipStream_tbPNSt15iterator_traitsISE_E10value_typeEPNSK_ISF_E10value_typeEPSG_NS1_7vsmem_tEENKUlT_SE_SF_SG_E_clIS8_S8_S9_S9_EESD_ST_SE_SF_SG_EUlST_E1_NS1_11comp_targetILNS1_3genE10ELNS1_11target_archE1201ELNS1_3gpuE5ELNS1_3repE0EEENS1_36merge_oddeven_config_static_selectorELNS0_4arch9wavefront6targetE0EEEvSF_.uses_flat_scratch, 0
	.set _ZN7rocprim17ROCPRIM_400000_NS6detail17trampoline_kernelINS0_14default_configENS1_38merge_sort_block_merge_config_selectorIiNS0_10empty_typeEEEZZNS1_27merge_sort_block_merge_implIS3_PiPS5_jNS1_19radix_merge_compareILb0ELb0EiNS0_19identity_decomposerEEEEE10hipError_tT0_T1_T2_jT3_P12ihipStream_tbPNSt15iterator_traitsISE_E10value_typeEPNSK_ISF_E10value_typeEPSG_NS1_7vsmem_tEENKUlT_SE_SF_SG_E_clIS8_S8_S9_S9_EESD_ST_SE_SF_SG_EUlST_E1_NS1_11comp_targetILNS1_3genE10ELNS1_11target_archE1201ELNS1_3gpuE5ELNS1_3repE0EEENS1_36merge_oddeven_config_static_selectorELNS0_4arch9wavefront6targetE0EEEvSF_.has_dyn_sized_stack, 0
	.set _ZN7rocprim17ROCPRIM_400000_NS6detail17trampoline_kernelINS0_14default_configENS1_38merge_sort_block_merge_config_selectorIiNS0_10empty_typeEEEZZNS1_27merge_sort_block_merge_implIS3_PiPS5_jNS1_19radix_merge_compareILb0ELb0EiNS0_19identity_decomposerEEEEE10hipError_tT0_T1_T2_jT3_P12ihipStream_tbPNSt15iterator_traitsISE_E10value_typeEPNSK_ISF_E10value_typeEPSG_NS1_7vsmem_tEENKUlT_SE_SF_SG_E_clIS8_S8_S9_S9_EESD_ST_SE_SF_SG_EUlST_E1_NS1_11comp_targetILNS1_3genE10ELNS1_11target_archE1201ELNS1_3gpuE5ELNS1_3repE0EEENS1_36merge_oddeven_config_static_selectorELNS0_4arch9wavefront6targetE0EEEvSF_.has_recursion, 0
	.set _ZN7rocprim17ROCPRIM_400000_NS6detail17trampoline_kernelINS0_14default_configENS1_38merge_sort_block_merge_config_selectorIiNS0_10empty_typeEEEZZNS1_27merge_sort_block_merge_implIS3_PiPS5_jNS1_19radix_merge_compareILb0ELb0EiNS0_19identity_decomposerEEEEE10hipError_tT0_T1_T2_jT3_P12ihipStream_tbPNSt15iterator_traitsISE_E10value_typeEPNSK_ISF_E10value_typeEPSG_NS1_7vsmem_tEENKUlT_SE_SF_SG_E_clIS8_S8_S9_S9_EESD_ST_SE_SF_SG_EUlST_E1_NS1_11comp_targetILNS1_3genE10ELNS1_11target_archE1201ELNS1_3gpuE5ELNS1_3repE0EEENS1_36merge_oddeven_config_static_selectorELNS0_4arch9wavefront6targetE0EEEvSF_.has_indirect_call, 0
	.section	.AMDGPU.csdata,"",@progbits
; Kernel info:
; codeLenInByte = 0
; TotalNumSgprs: 0
; NumVgprs: 0
; ScratchSize: 0
; MemoryBound: 0
; FloatMode: 240
; IeeeMode: 1
; LDSByteSize: 0 bytes/workgroup (compile time only)
; SGPRBlocks: 0
; VGPRBlocks: 0
; NumSGPRsForWavesPerEU: 1
; NumVGPRsForWavesPerEU: 1
; NamedBarCnt: 0
; Occupancy: 16
; WaveLimiterHint : 0
; COMPUTE_PGM_RSRC2:SCRATCH_EN: 0
; COMPUTE_PGM_RSRC2:USER_SGPR: 2
; COMPUTE_PGM_RSRC2:TRAP_HANDLER: 0
; COMPUTE_PGM_RSRC2:TGID_X_EN: 1
; COMPUTE_PGM_RSRC2:TGID_Y_EN: 0
; COMPUTE_PGM_RSRC2:TGID_Z_EN: 0
; COMPUTE_PGM_RSRC2:TIDIG_COMP_CNT: 0
	.section	.text._ZN7rocprim17ROCPRIM_400000_NS6detail17trampoline_kernelINS0_14default_configENS1_38merge_sort_block_merge_config_selectorIiNS0_10empty_typeEEEZZNS1_27merge_sort_block_merge_implIS3_PiPS5_jNS1_19radix_merge_compareILb0ELb0EiNS0_19identity_decomposerEEEEE10hipError_tT0_T1_T2_jT3_P12ihipStream_tbPNSt15iterator_traitsISE_E10value_typeEPNSK_ISF_E10value_typeEPSG_NS1_7vsmem_tEENKUlT_SE_SF_SG_E_clIS8_S8_S9_S9_EESD_ST_SE_SF_SG_EUlST_E1_NS1_11comp_targetILNS1_3genE5ELNS1_11target_archE942ELNS1_3gpuE9ELNS1_3repE0EEENS1_36merge_oddeven_config_static_selectorELNS0_4arch9wavefront6targetE0EEEvSF_,"axG",@progbits,_ZN7rocprim17ROCPRIM_400000_NS6detail17trampoline_kernelINS0_14default_configENS1_38merge_sort_block_merge_config_selectorIiNS0_10empty_typeEEEZZNS1_27merge_sort_block_merge_implIS3_PiPS5_jNS1_19radix_merge_compareILb0ELb0EiNS0_19identity_decomposerEEEEE10hipError_tT0_T1_T2_jT3_P12ihipStream_tbPNSt15iterator_traitsISE_E10value_typeEPNSK_ISF_E10value_typeEPSG_NS1_7vsmem_tEENKUlT_SE_SF_SG_E_clIS8_S8_S9_S9_EESD_ST_SE_SF_SG_EUlST_E1_NS1_11comp_targetILNS1_3genE5ELNS1_11target_archE942ELNS1_3gpuE9ELNS1_3repE0EEENS1_36merge_oddeven_config_static_selectorELNS0_4arch9wavefront6targetE0EEEvSF_,comdat
	.protected	_ZN7rocprim17ROCPRIM_400000_NS6detail17trampoline_kernelINS0_14default_configENS1_38merge_sort_block_merge_config_selectorIiNS0_10empty_typeEEEZZNS1_27merge_sort_block_merge_implIS3_PiPS5_jNS1_19radix_merge_compareILb0ELb0EiNS0_19identity_decomposerEEEEE10hipError_tT0_T1_T2_jT3_P12ihipStream_tbPNSt15iterator_traitsISE_E10value_typeEPNSK_ISF_E10value_typeEPSG_NS1_7vsmem_tEENKUlT_SE_SF_SG_E_clIS8_S8_S9_S9_EESD_ST_SE_SF_SG_EUlST_E1_NS1_11comp_targetILNS1_3genE5ELNS1_11target_archE942ELNS1_3gpuE9ELNS1_3repE0EEENS1_36merge_oddeven_config_static_selectorELNS0_4arch9wavefront6targetE0EEEvSF_ ; -- Begin function _ZN7rocprim17ROCPRIM_400000_NS6detail17trampoline_kernelINS0_14default_configENS1_38merge_sort_block_merge_config_selectorIiNS0_10empty_typeEEEZZNS1_27merge_sort_block_merge_implIS3_PiPS5_jNS1_19radix_merge_compareILb0ELb0EiNS0_19identity_decomposerEEEEE10hipError_tT0_T1_T2_jT3_P12ihipStream_tbPNSt15iterator_traitsISE_E10value_typeEPNSK_ISF_E10value_typeEPSG_NS1_7vsmem_tEENKUlT_SE_SF_SG_E_clIS8_S8_S9_S9_EESD_ST_SE_SF_SG_EUlST_E1_NS1_11comp_targetILNS1_3genE5ELNS1_11target_archE942ELNS1_3gpuE9ELNS1_3repE0EEENS1_36merge_oddeven_config_static_selectorELNS0_4arch9wavefront6targetE0EEEvSF_
	.globl	_ZN7rocprim17ROCPRIM_400000_NS6detail17trampoline_kernelINS0_14default_configENS1_38merge_sort_block_merge_config_selectorIiNS0_10empty_typeEEEZZNS1_27merge_sort_block_merge_implIS3_PiPS5_jNS1_19radix_merge_compareILb0ELb0EiNS0_19identity_decomposerEEEEE10hipError_tT0_T1_T2_jT3_P12ihipStream_tbPNSt15iterator_traitsISE_E10value_typeEPNSK_ISF_E10value_typeEPSG_NS1_7vsmem_tEENKUlT_SE_SF_SG_E_clIS8_S8_S9_S9_EESD_ST_SE_SF_SG_EUlST_E1_NS1_11comp_targetILNS1_3genE5ELNS1_11target_archE942ELNS1_3gpuE9ELNS1_3repE0EEENS1_36merge_oddeven_config_static_selectorELNS0_4arch9wavefront6targetE0EEEvSF_
	.p2align	8
	.type	_ZN7rocprim17ROCPRIM_400000_NS6detail17trampoline_kernelINS0_14default_configENS1_38merge_sort_block_merge_config_selectorIiNS0_10empty_typeEEEZZNS1_27merge_sort_block_merge_implIS3_PiPS5_jNS1_19radix_merge_compareILb0ELb0EiNS0_19identity_decomposerEEEEE10hipError_tT0_T1_T2_jT3_P12ihipStream_tbPNSt15iterator_traitsISE_E10value_typeEPNSK_ISF_E10value_typeEPSG_NS1_7vsmem_tEENKUlT_SE_SF_SG_E_clIS8_S8_S9_S9_EESD_ST_SE_SF_SG_EUlST_E1_NS1_11comp_targetILNS1_3genE5ELNS1_11target_archE942ELNS1_3gpuE9ELNS1_3repE0EEENS1_36merge_oddeven_config_static_selectorELNS0_4arch9wavefront6targetE0EEEvSF_,@function
_ZN7rocprim17ROCPRIM_400000_NS6detail17trampoline_kernelINS0_14default_configENS1_38merge_sort_block_merge_config_selectorIiNS0_10empty_typeEEEZZNS1_27merge_sort_block_merge_implIS3_PiPS5_jNS1_19radix_merge_compareILb0ELb0EiNS0_19identity_decomposerEEEEE10hipError_tT0_T1_T2_jT3_P12ihipStream_tbPNSt15iterator_traitsISE_E10value_typeEPNSK_ISF_E10value_typeEPSG_NS1_7vsmem_tEENKUlT_SE_SF_SG_E_clIS8_S8_S9_S9_EESD_ST_SE_SF_SG_EUlST_E1_NS1_11comp_targetILNS1_3genE5ELNS1_11target_archE942ELNS1_3gpuE9ELNS1_3repE0EEENS1_36merge_oddeven_config_static_selectorELNS0_4arch9wavefront6targetE0EEEvSF_: ; @_ZN7rocprim17ROCPRIM_400000_NS6detail17trampoline_kernelINS0_14default_configENS1_38merge_sort_block_merge_config_selectorIiNS0_10empty_typeEEEZZNS1_27merge_sort_block_merge_implIS3_PiPS5_jNS1_19radix_merge_compareILb0ELb0EiNS0_19identity_decomposerEEEEE10hipError_tT0_T1_T2_jT3_P12ihipStream_tbPNSt15iterator_traitsISE_E10value_typeEPNSK_ISF_E10value_typeEPSG_NS1_7vsmem_tEENKUlT_SE_SF_SG_E_clIS8_S8_S9_S9_EESD_ST_SE_SF_SG_EUlST_E1_NS1_11comp_targetILNS1_3genE5ELNS1_11target_archE942ELNS1_3gpuE9ELNS1_3repE0EEENS1_36merge_oddeven_config_static_selectorELNS0_4arch9wavefront6targetE0EEEvSF_
; %bb.0:
	.section	.rodata,"a",@progbits
	.p2align	6, 0x0
	.amdhsa_kernel _ZN7rocprim17ROCPRIM_400000_NS6detail17trampoline_kernelINS0_14default_configENS1_38merge_sort_block_merge_config_selectorIiNS0_10empty_typeEEEZZNS1_27merge_sort_block_merge_implIS3_PiPS5_jNS1_19radix_merge_compareILb0ELb0EiNS0_19identity_decomposerEEEEE10hipError_tT0_T1_T2_jT3_P12ihipStream_tbPNSt15iterator_traitsISE_E10value_typeEPNSK_ISF_E10value_typeEPSG_NS1_7vsmem_tEENKUlT_SE_SF_SG_E_clIS8_S8_S9_S9_EESD_ST_SE_SF_SG_EUlST_E1_NS1_11comp_targetILNS1_3genE5ELNS1_11target_archE942ELNS1_3gpuE9ELNS1_3repE0EEENS1_36merge_oddeven_config_static_selectorELNS0_4arch9wavefront6targetE0EEEvSF_
		.amdhsa_group_segment_fixed_size 0
		.amdhsa_private_segment_fixed_size 0
		.amdhsa_kernarg_size 48
		.amdhsa_user_sgpr_count 2
		.amdhsa_user_sgpr_dispatch_ptr 0
		.amdhsa_user_sgpr_queue_ptr 0
		.amdhsa_user_sgpr_kernarg_segment_ptr 1
		.amdhsa_user_sgpr_dispatch_id 0
		.amdhsa_user_sgpr_kernarg_preload_length 0
		.amdhsa_user_sgpr_kernarg_preload_offset 0
		.amdhsa_user_sgpr_private_segment_size 0
		.amdhsa_wavefront_size32 1
		.amdhsa_uses_dynamic_stack 0
		.amdhsa_enable_private_segment 0
		.amdhsa_system_sgpr_workgroup_id_x 1
		.amdhsa_system_sgpr_workgroup_id_y 0
		.amdhsa_system_sgpr_workgroup_id_z 0
		.amdhsa_system_sgpr_workgroup_info 0
		.amdhsa_system_vgpr_workitem_id 0
		.amdhsa_next_free_vgpr 1
		.amdhsa_next_free_sgpr 1
		.amdhsa_named_barrier_count 0
		.amdhsa_reserve_vcc 0
		.amdhsa_float_round_mode_32 0
		.amdhsa_float_round_mode_16_64 0
		.amdhsa_float_denorm_mode_32 3
		.amdhsa_float_denorm_mode_16_64 3
		.amdhsa_fp16_overflow 0
		.amdhsa_memory_ordered 1
		.amdhsa_forward_progress 1
		.amdhsa_inst_pref_size 0
		.amdhsa_round_robin_scheduling 0
		.amdhsa_exception_fp_ieee_invalid_op 0
		.amdhsa_exception_fp_denorm_src 0
		.amdhsa_exception_fp_ieee_div_zero 0
		.amdhsa_exception_fp_ieee_overflow 0
		.amdhsa_exception_fp_ieee_underflow 0
		.amdhsa_exception_fp_ieee_inexact 0
		.amdhsa_exception_int_div_zero 0
	.end_amdhsa_kernel
	.section	.text._ZN7rocprim17ROCPRIM_400000_NS6detail17trampoline_kernelINS0_14default_configENS1_38merge_sort_block_merge_config_selectorIiNS0_10empty_typeEEEZZNS1_27merge_sort_block_merge_implIS3_PiPS5_jNS1_19radix_merge_compareILb0ELb0EiNS0_19identity_decomposerEEEEE10hipError_tT0_T1_T2_jT3_P12ihipStream_tbPNSt15iterator_traitsISE_E10value_typeEPNSK_ISF_E10value_typeEPSG_NS1_7vsmem_tEENKUlT_SE_SF_SG_E_clIS8_S8_S9_S9_EESD_ST_SE_SF_SG_EUlST_E1_NS1_11comp_targetILNS1_3genE5ELNS1_11target_archE942ELNS1_3gpuE9ELNS1_3repE0EEENS1_36merge_oddeven_config_static_selectorELNS0_4arch9wavefront6targetE0EEEvSF_,"axG",@progbits,_ZN7rocprim17ROCPRIM_400000_NS6detail17trampoline_kernelINS0_14default_configENS1_38merge_sort_block_merge_config_selectorIiNS0_10empty_typeEEEZZNS1_27merge_sort_block_merge_implIS3_PiPS5_jNS1_19radix_merge_compareILb0ELb0EiNS0_19identity_decomposerEEEEE10hipError_tT0_T1_T2_jT3_P12ihipStream_tbPNSt15iterator_traitsISE_E10value_typeEPNSK_ISF_E10value_typeEPSG_NS1_7vsmem_tEENKUlT_SE_SF_SG_E_clIS8_S8_S9_S9_EESD_ST_SE_SF_SG_EUlST_E1_NS1_11comp_targetILNS1_3genE5ELNS1_11target_archE942ELNS1_3gpuE9ELNS1_3repE0EEENS1_36merge_oddeven_config_static_selectorELNS0_4arch9wavefront6targetE0EEEvSF_,comdat
.Lfunc_end912:
	.size	_ZN7rocprim17ROCPRIM_400000_NS6detail17trampoline_kernelINS0_14default_configENS1_38merge_sort_block_merge_config_selectorIiNS0_10empty_typeEEEZZNS1_27merge_sort_block_merge_implIS3_PiPS5_jNS1_19radix_merge_compareILb0ELb0EiNS0_19identity_decomposerEEEEE10hipError_tT0_T1_T2_jT3_P12ihipStream_tbPNSt15iterator_traitsISE_E10value_typeEPNSK_ISF_E10value_typeEPSG_NS1_7vsmem_tEENKUlT_SE_SF_SG_E_clIS8_S8_S9_S9_EESD_ST_SE_SF_SG_EUlST_E1_NS1_11comp_targetILNS1_3genE5ELNS1_11target_archE942ELNS1_3gpuE9ELNS1_3repE0EEENS1_36merge_oddeven_config_static_selectorELNS0_4arch9wavefront6targetE0EEEvSF_, .Lfunc_end912-_ZN7rocprim17ROCPRIM_400000_NS6detail17trampoline_kernelINS0_14default_configENS1_38merge_sort_block_merge_config_selectorIiNS0_10empty_typeEEEZZNS1_27merge_sort_block_merge_implIS3_PiPS5_jNS1_19radix_merge_compareILb0ELb0EiNS0_19identity_decomposerEEEEE10hipError_tT0_T1_T2_jT3_P12ihipStream_tbPNSt15iterator_traitsISE_E10value_typeEPNSK_ISF_E10value_typeEPSG_NS1_7vsmem_tEENKUlT_SE_SF_SG_E_clIS8_S8_S9_S9_EESD_ST_SE_SF_SG_EUlST_E1_NS1_11comp_targetILNS1_3genE5ELNS1_11target_archE942ELNS1_3gpuE9ELNS1_3repE0EEENS1_36merge_oddeven_config_static_selectorELNS0_4arch9wavefront6targetE0EEEvSF_
                                        ; -- End function
	.set _ZN7rocprim17ROCPRIM_400000_NS6detail17trampoline_kernelINS0_14default_configENS1_38merge_sort_block_merge_config_selectorIiNS0_10empty_typeEEEZZNS1_27merge_sort_block_merge_implIS3_PiPS5_jNS1_19radix_merge_compareILb0ELb0EiNS0_19identity_decomposerEEEEE10hipError_tT0_T1_T2_jT3_P12ihipStream_tbPNSt15iterator_traitsISE_E10value_typeEPNSK_ISF_E10value_typeEPSG_NS1_7vsmem_tEENKUlT_SE_SF_SG_E_clIS8_S8_S9_S9_EESD_ST_SE_SF_SG_EUlST_E1_NS1_11comp_targetILNS1_3genE5ELNS1_11target_archE942ELNS1_3gpuE9ELNS1_3repE0EEENS1_36merge_oddeven_config_static_selectorELNS0_4arch9wavefront6targetE0EEEvSF_.num_vgpr, 0
	.set _ZN7rocprim17ROCPRIM_400000_NS6detail17trampoline_kernelINS0_14default_configENS1_38merge_sort_block_merge_config_selectorIiNS0_10empty_typeEEEZZNS1_27merge_sort_block_merge_implIS3_PiPS5_jNS1_19radix_merge_compareILb0ELb0EiNS0_19identity_decomposerEEEEE10hipError_tT0_T1_T2_jT3_P12ihipStream_tbPNSt15iterator_traitsISE_E10value_typeEPNSK_ISF_E10value_typeEPSG_NS1_7vsmem_tEENKUlT_SE_SF_SG_E_clIS8_S8_S9_S9_EESD_ST_SE_SF_SG_EUlST_E1_NS1_11comp_targetILNS1_3genE5ELNS1_11target_archE942ELNS1_3gpuE9ELNS1_3repE0EEENS1_36merge_oddeven_config_static_selectorELNS0_4arch9wavefront6targetE0EEEvSF_.num_agpr, 0
	.set _ZN7rocprim17ROCPRIM_400000_NS6detail17trampoline_kernelINS0_14default_configENS1_38merge_sort_block_merge_config_selectorIiNS0_10empty_typeEEEZZNS1_27merge_sort_block_merge_implIS3_PiPS5_jNS1_19radix_merge_compareILb0ELb0EiNS0_19identity_decomposerEEEEE10hipError_tT0_T1_T2_jT3_P12ihipStream_tbPNSt15iterator_traitsISE_E10value_typeEPNSK_ISF_E10value_typeEPSG_NS1_7vsmem_tEENKUlT_SE_SF_SG_E_clIS8_S8_S9_S9_EESD_ST_SE_SF_SG_EUlST_E1_NS1_11comp_targetILNS1_3genE5ELNS1_11target_archE942ELNS1_3gpuE9ELNS1_3repE0EEENS1_36merge_oddeven_config_static_selectorELNS0_4arch9wavefront6targetE0EEEvSF_.numbered_sgpr, 0
	.set _ZN7rocprim17ROCPRIM_400000_NS6detail17trampoline_kernelINS0_14default_configENS1_38merge_sort_block_merge_config_selectorIiNS0_10empty_typeEEEZZNS1_27merge_sort_block_merge_implIS3_PiPS5_jNS1_19radix_merge_compareILb0ELb0EiNS0_19identity_decomposerEEEEE10hipError_tT0_T1_T2_jT3_P12ihipStream_tbPNSt15iterator_traitsISE_E10value_typeEPNSK_ISF_E10value_typeEPSG_NS1_7vsmem_tEENKUlT_SE_SF_SG_E_clIS8_S8_S9_S9_EESD_ST_SE_SF_SG_EUlST_E1_NS1_11comp_targetILNS1_3genE5ELNS1_11target_archE942ELNS1_3gpuE9ELNS1_3repE0EEENS1_36merge_oddeven_config_static_selectorELNS0_4arch9wavefront6targetE0EEEvSF_.num_named_barrier, 0
	.set _ZN7rocprim17ROCPRIM_400000_NS6detail17trampoline_kernelINS0_14default_configENS1_38merge_sort_block_merge_config_selectorIiNS0_10empty_typeEEEZZNS1_27merge_sort_block_merge_implIS3_PiPS5_jNS1_19radix_merge_compareILb0ELb0EiNS0_19identity_decomposerEEEEE10hipError_tT0_T1_T2_jT3_P12ihipStream_tbPNSt15iterator_traitsISE_E10value_typeEPNSK_ISF_E10value_typeEPSG_NS1_7vsmem_tEENKUlT_SE_SF_SG_E_clIS8_S8_S9_S9_EESD_ST_SE_SF_SG_EUlST_E1_NS1_11comp_targetILNS1_3genE5ELNS1_11target_archE942ELNS1_3gpuE9ELNS1_3repE0EEENS1_36merge_oddeven_config_static_selectorELNS0_4arch9wavefront6targetE0EEEvSF_.private_seg_size, 0
	.set _ZN7rocprim17ROCPRIM_400000_NS6detail17trampoline_kernelINS0_14default_configENS1_38merge_sort_block_merge_config_selectorIiNS0_10empty_typeEEEZZNS1_27merge_sort_block_merge_implIS3_PiPS5_jNS1_19radix_merge_compareILb0ELb0EiNS0_19identity_decomposerEEEEE10hipError_tT0_T1_T2_jT3_P12ihipStream_tbPNSt15iterator_traitsISE_E10value_typeEPNSK_ISF_E10value_typeEPSG_NS1_7vsmem_tEENKUlT_SE_SF_SG_E_clIS8_S8_S9_S9_EESD_ST_SE_SF_SG_EUlST_E1_NS1_11comp_targetILNS1_3genE5ELNS1_11target_archE942ELNS1_3gpuE9ELNS1_3repE0EEENS1_36merge_oddeven_config_static_selectorELNS0_4arch9wavefront6targetE0EEEvSF_.uses_vcc, 0
	.set _ZN7rocprim17ROCPRIM_400000_NS6detail17trampoline_kernelINS0_14default_configENS1_38merge_sort_block_merge_config_selectorIiNS0_10empty_typeEEEZZNS1_27merge_sort_block_merge_implIS3_PiPS5_jNS1_19radix_merge_compareILb0ELb0EiNS0_19identity_decomposerEEEEE10hipError_tT0_T1_T2_jT3_P12ihipStream_tbPNSt15iterator_traitsISE_E10value_typeEPNSK_ISF_E10value_typeEPSG_NS1_7vsmem_tEENKUlT_SE_SF_SG_E_clIS8_S8_S9_S9_EESD_ST_SE_SF_SG_EUlST_E1_NS1_11comp_targetILNS1_3genE5ELNS1_11target_archE942ELNS1_3gpuE9ELNS1_3repE0EEENS1_36merge_oddeven_config_static_selectorELNS0_4arch9wavefront6targetE0EEEvSF_.uses_flat_scratch, 0
	.set _ZN7rocprim17ROCPRIM_400000_NS6detail17trampoline_kernelINS0_14default_configENS1_38merge_sort_block_merge_config_selectorIiNS0_10empty_typeEEEZZNS1_27merge_sort_block_merge_implIS3_PiPS5_jNS1_19radix_merge_compareILb0ELb0EiNS0_19identity_decomposerEEEEE10hipError_tT0_T1_T2_jT3_P12ihipStream_tbPNSt15iterator_traitsISE_E10value_typeEPNSK_ISF_E10value_typeEPSG_NS1_7vsmem_tEENKUlT_SE_SF_SG_E_clIS8_S8_S9_S9_EESD_ST_SE_SF_SG_EUlST_E1_NS1_11comp_targetILNS1_3genE5ELNS1_11target_archE942ELNS1_3gpuE9ELNS1_3repE0EEENS1_36merge_oddeven_config_static_selectorELNS0_4arch9wavefront6targetE0EEEvSF_.has_dyn_sized_stack, 0
	.set _ZN7rocprim17ROCPRIM_400000_NS6detail17trampoline_kernelINS0_14default_configENS1_38merge_sort_block_merge_config_selectorIiNS0_10empty_typeEEEZZNS1_27merge_sort_block_merge_implIS3_PiPS5_jNS1_19radix_merge_compareILb0ELb0EiNS0_19identity_decomposerEEEEE10hipError_tT0_T1_T2_jT3_P12ihipStream_tbPNSt15iterator_traitsISE_E10value_typeEPNSK_ISF_E10value_typeEPSG_NS1_7vsmem_tEENKUlT_SE_SF_SG_E_clIS8_S8_S9_S9_EESD_ST_SE_SF_SG_EUlST_E1_NS1_11comp_targetILNS1_3genE5ELNS1_11target_archE942ELNS1_3gpuE9ELNS1_3repE0EEENS1_36merge_oddeven_config_static_selectorELNS0_4arch9wavefront6targetE0EEEvSF_.has_recursion, 0
	.set _ZN7rocprim17ROCPRIM_400000_NS6detail17trampoline_kernelINS0_14default_configENS1_38merge_sort_block_merge_config_selectorIiNS0_10empty_typeEEEZZNS1_27merge_sort_block_merge_implIS3_PiPS5_jNS1_19radix_merge_compareILb0ELb0EiNS0_19identity_decomposerEEEEE10hipError_tT0_T1_T2_jT3_P12ihipStream_tbPNSt15iterator_traitsISE_E10value_typeEPNSK_ISF_E10value_typeEPSG_NS1_7vsmem_tEENKUlT_SE_SF_SG_E_clIS8_S8_S9_S9_EESD_ST_SE_SF_SG_EUlST_E1_NS1_11comp_targetILNS1_3genE5ELNS1_11target_archE942ELNS1_3gpuE9ELNS1_3repE0EEENS1_36merge_oddeven_config_static_selectorELNS0_4arch9wavefront6targetE0EEEvSF_.has_indirect_call, 0
	.section	.AMDGPU.csdata,"",@progbits
; Kernel info:
; codeLenInByte = 0
; TotalNumSgprs: 0
; NumVgprs: 0
; ScratchSize: 0
; MemoryBound: 0
; FloatMode: 240
; IeeeMode: 1
; LDSByteSize: 0 bytes/workgroup (compile time only)
; SGPRBlocks: 0
; VGPRBlocks: 0
; NumSGPRsForWavesPerEU: 1
; NumVGPRsForWavesPerEU: 1
; NamedBarCnt: 0
; Occupancy: 16
; WaveLimiterHint : 0
; COMPUTE_PGM_RSRC2:SCRATCH_EN: 0
; COMPUTE_PGM_RSRC2:USER_SGPR: 2
; COMPUTE_PGM_RSRC2:TRAP_HANDLER: 0
; COMPUTE_PGM_RSRC2:TGID_X_EN: 1
; COMPUTE_PGM_RSRC2:TGID_Y_EN: 0
; COMPUTE_PGM_RSRC2:TGID_Z_EN: 0
; COMPUTE_PGM_RSRC2:TIDIG_COMP_CNT: 0
	.section	.text._ZN7rocprim17ROCPRIM_400000_NS6detail17trampoline_kernelINS0_14default_configENS1_38merge_sort_block_merge_config_selectorIiNS0_10empty_typeEEEZZNS1_27merge_sort_block_merge_implIS3_PiPS5_jNS1_19radix_merge_compareILb0ELb0EiNS0_19identity_decomposerEEEEE10hipError_tT0_T1_T2_jT3_P12ihipStream_tbPNSt15iterator_traitsISE_E10value_typeEPNSK_ISF_E10value_typeEPSG_NS1_7vsmem_tEENKUlT_SE_SF_SG_E_clIS8_S8_S9_S9_EESD_ST_SE_SF_SG_EUlST_E1_NS1_11comp_targetILNS1_3genE4ELNS1_11target_archE910ELNS1_3gpuE8ELNS1_3repE0EEENS1_36merge_oddeven_config_static_selectorELNS0_4arch9wavefront6targetE0EEEvSF_,"axG",@progbits,_ZN7rocprim17ROCPRIM_400000_NS6detail17trampoline_kernelINS0_14default_configENS1_38merge_sort_block_merge_config_selectorIiNS0_10empty_typeEEEZZNS1_27merge_sort_block_merge_implIS3_PiPS5_jNS1_19radix_merge_compareILb0ELb0EiNS0_19identity_decomposerEEEEE10hipError_tT0_T1_T2_jT3_P12ihipStream_tbPNSt15iterator_traitsISE_E10value_typeEPNSK_ISF_E10value_typeEPSG_NS1_7vsmem_tEENKUlT_SE_SF_SG_E_clIS8_S8_S9_S9_EESD_ST_SE_SF_SG_EUlST_E1_NS1_11comp_targetILNS1_3genE4ELNS1_11target_archE910ELNS1_3gpuE8ELNS1_3repE0EEENS1_36merge_oddeven_config_static_selectorELNS0_4arch9wavefront6targetE0EEEvSF_,comdat
	.protected	_ZN7rocprim17ROCPRIM_400000_NS6detail17trampoline_kernelINS0_14default_configENS1_38merge_sort_block_merge_config_selectorIiNS0_10empty_typeEEEZZNS1_27merge_sort_block_merge_implIS3_PiPS5_jNS1_19radix_merge_compareILb0ELb0EiNS0_19identity_decomposerEEEEE10hipError_tT0_T1_T2_jT3_P12ihipStream_tbPNSt15iterator_traitsISE_E10value_typeEPNSK_ISF_E10value_typeEPSG_NS1_7vsmem_tEENKUlT_SE_SF_SG_E_clIS8_S8_S9_S9_EESD_ST_SE_SF_SG_EUlST_E1_NS1_11comp_targetILNS1_3genE4ELNS1_11target_archE910ELNS1_3gpuE8ELNS1_3repE0EEENS1_36merge_oddeven_config_static_selectorELNS0_4arch9wavefront6targetE0EEEvSF_ ; -- Begin function _ZN7rocprim17ROCPRIM_400000_NS6detail17trampoline_kernelINS0_14default_configENS1_38merge_sort_block_merge_config_selectorIiNS0_10empty_typeEEEZZNS1_27merge_sort_block_merge_implIS3_PiPS5_jNS1_19radix_merge_compareILb0ELb0EiNS0_19identity_decomposerEEEEE10hipError_tT0_T1_T2_jT3_P12ihipStream_tbPNSt15iterator_traitsISE_E10value_typeEPNSK_ISF_E10value_typeEPSG_NS1_7vsmem_tEENKUlT_SE_SF_SG_E_clIS8_S8_S9_S9_EESD_ST_SE_SF_SG_EUlST_E1_NS1_11comp_targetILNS1_3genE4ELNS1_11target_archE910ELNS1_3gpuE8ELNS1_3repE0EEENS1_36merge_oddeven_config_static_selectorELNS0_4arch9wavefront6targetE0EEEvSF_
	.globl	_ZN7rocprim17ROCPRIM_400000_NS6detail17trampoline_kernelINS0_14default_configENS1_38merge_sort_block_merge_config_selectorIiNS0_10empty_typeEEEZZNS1_27merge_sort_block_merge_implIS3_PiPS5_jNS1_19radix_merge_compareILb0ELb0EiNS0_19identity_decomposerEEEEE10hipError_tT0_T1_T2_jT3_P12ihipStream_tbPNSt15iterator_traitsISE_E10value_typeEPNSK_ISF_E10value_typeEPSG_NS1_7vsmem_tEENKUlT_SE_SF_SG_E_clIS8_S8_S9_S9_EESD_ST_SE_SF_SG_EUlST_E1_NS1_11comp_targetILNS1_3genE4ELNS1_11target_archE910ELNS1_3gpuE8ELNS1_3repE0EEENS1_36merge_oddeven_config_static_selectorELNS0_4arch9wavefront6targetE0EEEvSF_
	.p2align	8
	.type	_ZN7rocprim17ROCPRIM_400000_NS6detail17trampoline_kernelINS0_14default_configENS1_38merge_sort_block_merge_config_selectorIiNS0_10empty_typeEEEZZNS1_27merge_sort_block_merge_implIS3_PiPS5_jNS1_19radix_merge_compareILb0ELb0EiNS0_19identity_decomposerEEEEE10hipError_tT0_T1_T2_jT3_P12ihipStream_tbPNSt15iterator_traitsISE_E10value_typeEPNSK_ISF_E10value_typeEPSG_NS1_7vsmem_tEENKUlT_SE_SF_SG_E_clIS8_S8_S9_S9_EESD_ST_SE_SF_SG_EUlST_E1_NS1_11comp_targetILNS1_3genE4ELNS1_11target_archE910ELNS1_3gpuE8ELNS1_3repE0EEENS1_36merge_oddeven_config_static_selectorELNS0_4arch9wavefront6targetE0EEEvSF_,@function
_ZN7rocprim17ROCPRIM_400000_NS6detail17trampoline_kernelINS0_14default_configENS1_38merge_sort_block_merge_config_selectorIiNS0_10empty_typeEEEZZNS1_27merge_sort_block_merge_implIS3_PiPS5_jNS1_19radix_merge_compareILb0ELb0EiNS0_19identity_decomposerEEEEE10hipError_tT0_T1_T2_jT3_P12ihipStream_tbPNSt15iterator_traitsISE_E10value_typeEPNSK_ISF_E10value_typeEPSG_NS1_7vsmem_tEENKUlT_SE_SF_SG_E_clIS8_S8_S9_S9_EESD_ST_SE_SF_SG_EUlST_E1_NS1_11comp_targetILNS1_3genE4ELNS1_11target_archE910ELNS1_3gpuE8ELNS1_3repE0EEENS1_36merge_oddeven_config_static_selectorELNS0_4arch9wavefront6targetE0EEEvSF_: ; @_ZN7rocprim17ROCPRIM_400000_NS6detail17trampoline_kernelINS0_14default_configENS1_38merge_sort_block_merge_config_selectorIiNS0_10empty_typeEEEZZNS1_27merge_sort_block_merge_implIS3_PiPS5_jNS1_19radix_merge_compareILb0ELb0EiNS0_19identity_decomposerEEEEE10hipError_tT0_T1_T2_jT3_P12ihipStream_tbPNSt15iterator_traitsISE_E10value_typeEPNSK_ISF_E10value_typeEPSG_NS1_7vsmem_tEENKUlT_SE_SF_SG_E_clIS8_S8_S9_S9_EESD_ST_SE_SF_SG_EUlST_E1_NS1_11comp_targetILNS1_3genE4ELNS1_11target_archE910ELNS1_3gpuE8ELNS1_3repE0EEENS1_36merge_oddeven_config_static_selectorELNS0_4arch9wavefront6targetE0EEEvSF_
; %bb.0:
	.section	.rodata,"a",@progbits
	.p2align	6, 0x0
	.amdhsa_kernel _ZN7rocprim17ROCPRIM_400000_NS6detail17trampoline_kernelINS0_14default_configENS1_38merge_sort_block_merge_config_selectorIiNS0_10empty_typeEEEZZNS1_27merge_sort_block_merge_implIS3_PiPS5_jNS1_19radix_merge_compareILb0ELb0EiNS0_19identity_decomposerEEEEE10hipError_tT0_T1_T2_jT3_P12ihipStream_tbPNSt15iterator_traitsISE_E10value_typeEPNSK_ISF_E10value_typeEPSG_NS1_7vsmem_tEENKUlT_SE_SF_SG_E_clIS8_S8_S9_S9_EESD_ST_SE_SF_SG_EUlST_E1_NS1_11comp_targetILNS1_3genE4ELNS1_11target_archE910ELNS1_3gpuE8ELNS1_3repE0EEENS1_36merge_oddeven_config_static_selectorELNS0_4arch9wavefront6targetE0EEEvSF_
		.amdhsa_group_segment_fixed_size 0
		.amdhsa_private_segment_fixed_size 0
		.amdhsa_kernarg_size 48
		.amdhsa_user_sgpr_count 2
		.amdhsa_user_sgpr_dispatch_ptr 0
		.amdhsa_user_sgpr_queue_ptr 0
		.amdhsa_user_sgpr_kernarg_segment_ptr 1
		.amdhsa_user_sgpr_dispatch_id 0
		.amdhsa_user_sgpr_kernarg_preload_length 0
		.amdhsa_user_sgpr_kernarg_preload_offset 0
		.amdhsa_user_sgpr_private_segment_size 0
		.amdhsa_wavefront_size32 1
		.amdhsa_uses_dynamic_stack 0
		.amdhsa_enable_private_segment 0
		.amdhsa_system_sgpr_workgroup_id_x 1
		.amdhsa_system_sgpr_workgroup_id_y 0
		.amdhsa_system_sgpr_workgroup_id_z 0
		.amdhsa_system_sgpr_workgroup_info 0
		.amdhsa_system_vgpr_workitem_id 0
		.amdhsa_next_free_vgpr 1
		.amdhsa_next_free_sgpr 1
		.amdhsa_named_barrier_count 0
		.amdhsa_reserve_vcc 0
		.amdhsa_float_round_mode_32 0
		.amdhsa_float_round_mode_16_64 0
		.amdhsa_float_denorm_mode_32 3
		.amdhsa_float_denorm_mode_16_64 3
		.amdhsa_fp16_overflow 0
		.amdhsa_memory_ordered 1
		.amdhsa_forward_progress 1
		.amdhsa_inst_pref_size 0
		.amdhsa_round_robin_scheduling 0
		.amdhsa_exception_fp_ieee_invalid_op 0
		.amdhsa_exception_fp_denorm_src 0
		.amdhsa_exception_fp_ieee_div_zero 0
		.amdhsa_exception_fp_ieee_overflow 0
		.amdhsa_exception_fp_ieee_underflow 0
		.amdhsa_exception_fp_ieee_inexact 0
		.amdhsa_exception_int_div_zero 0
	.end_amdhsa_kernel
	.section	.text._ZN7rocprim17ROCPRIM_400000_NS6detail17trampoline_kernelINS0_14default_configENS1_38merge_sort_block_merge_config_selectorIiNS0_10empty_typeEEEZZNS1_27merge_sort_block_merge_implIS3_PiPS5_jNS1_19radix_merge_compareILb0ELb0EiNS0_19identity_decomposerEEEEE10hipError_tT0_T1_T2_jT3_P12ihipStream_tbPNSt15iterator_traitsISE_E10value_typeEPNSK_ISF_E10value_typeEPSG_NS1_7vsmem_tEENKUlT_SE_SF_SG_E_clIS8_S8_S9_S9_EESD_ST_SE_SF_SG_EUlST_E1_NS1_11comp_targetILNS1_3genE4ELNS1_11target_archE910ELNS1_3gpuE8ELNS1_3repE0EEENS1_36merge_oddeven_config_static_selectorELNS0_4arch9wavefront6targetE0EEEvSF_,"axG",@progbits,_ZN7rocprim17ROCPRIM_400000_NS6detail17trampoline_kernelINS0_14default_configENS1_38merge_sort_block_merge_config_selectorIiNS0_10empty_typeEEEZZNS1_27merge_sort_block_merge_implIS3_PiPS5_jNS1_19radix_merge_compareILb0ELb0EiNS0_19identity_decomposerEEEEE10hipError_tT0_T1_T2_jT3_P12ihipStream_tbPNSt15iterator_traitsISE_E10value_typeEPNSK_ISF_E10value_typeEPSG_NS1_7vsmem_tEENKUlT_SE_SF_SG_E_clIS8_S8_S9_S9_EESD_ST_SE_SF_SG_EUlST_E1_NS1_11comp_targetILNS1_3genE4ELNS1_11target_archE910ELNS1_3gpuE8ELNS1_3repE0EEENS1_36merge_oddeven_config_static_selectorELNS0_4arch9wavefront6targetE0EEEvSF_,comdat
.Lfunc_end913:
	.size	_ZN7rocprim17ROCPRIM_400000_NS6detail17trampoline_kernelINS0_14default_configENS1_38merge_sort_block_merge_config_selectorIiNS0_10empty_typeEEEZZNS1_27merge_sort_block_merge_implIS3_PiPS5_jNS1_19radix_merge_compareILb0ELb0EiNS0_19identity_decomposerEEEEE10hipError_tT0_T1_T2_jT3_P12ihipStream_tbPNSt15iterator_traitsISE_E10value_typeEPNSK_ISF_E10value_typeEPSG_NS1_7vsmem_tEENKUlT_SE_SF_SG_E_clIS8_S8_S9_S9_EESD_ST_SE_SF_SG_EUlST_E1_NS1_11comp_targetILNS1_3genE4ELNS1_11target_archE910ELNS1_3gpuE8ELNS1_3repE0EEENS1_36merge_oddeven_config_static_selectorELNS0_4arch9wavefront6targetE0EEEvSF_, .Lfunc_end913-_ZN7rocprim17ROCPRIM_400000_NS6detail17trampoline_kernelINS0_14default_configENS1_38merge_sort_block_merge_config_selectorIiNS0_10empty_typeEEEZZNS1_27merge_sort_block_merge_implIS3_PiPS5_jNS1_19radix_merge_compareILb0ELb0EiNS0_19identity_decomposerEEEEE10hipError_tT0_T1_T2_jT3_P12ihipStream_tbPNSt15iterator_traitsISE_E10value_typeEPNSK_ISF_E10value_typeEPSG_NS1_7vsmem_tEENKUlT_SE_SF_SG_E_clIS8_S8_S9_S9_EESD_ST_SE_SF_SG_EUlST_E1_NS1_11comp_targetILNS1_3genE4ELNS1_11target_archE910ELNS1_3gpuE8ELNS1_3repE0EEENS1_36merge_oddeven_config_static_selectorELNS0_4arch9wavefront6targetE0EEEvSF_
                                        ; -- End function
	.set _ZN7rocprim17ROCPRIM_400000_NS6detail17trampoline_kernelINS0_14default_configENS1_38merge_sort_block_merge_config_selectorIiNS0_10empty_typeEEEZZNS1_27merge_sort_block_merge_implIS3_PiPS5_jNS1_19radix_merge_compareILb0ELb0EiNS0_19identity_decomposerEEEEE10hipError_tT0_T1_T2_jT3_P12ihipStream_tbPNSt15iterator_traitsISE_E10value_typeEPNSK_ISF_E10value_typeEPSG_NS1_7vsmem_tEENKUlT_SE_SF_SG_E_clIS8_S8_S9_S9_EESD_ST_SE_SF_SG_EUlST_E1_NS1_11comp_targetILNS1_3genE4ELNS1_11target_archE910ELNS1_3gpuE8ELNS1_3repE0EEENS1_36merge_oddeven_config_static_selectorELNS0_4arch9wavefront6targetE0EEEvSF_.num_vgpr, 0
	.set _ZN7rocprim17ROCPRIM_400000_NS6detail17trampoline_kernelINS0_14default_configENS1_38merge_sort_block_merge_config_selectorIiNS0_10empty_typeEEEZZNS1_27merge_sort_block_merge_implIS3_PiPS5_jNS1_19radix_merge_compareILb0ELb0EiNS0_19identity_decomposerEEEEE10hipError_tT0_T1_T2_jT3_P12ihipStream_tbPNSt15iterator_traitsISE_E10value_typeEPNSK_ISF_E10value_typeEPSG_NS1_7vsmem_tEENKUlT_SE_SF_SG_E_clIS8_S8_S9_S9_EESD_ST_SE_SF_SG_EUlST_E1_NS1_11comp_targetILNS1_3genE4ELNS1_11target_archE910ELNS1_3gpuE8ELNS1_3repE0EEENS1_36merge_oddeven_config_static_selectorELNS0_4arch9wavefront6targetE0EEEvSF_.num_agpr, 0
	.set _ZN7rocprim17ROCPRIM_400000_NS6detail17trampoline_kernelINS0_14default_configENS1_38merge_sort_block_merge_config_selectorIiNS0_10empty_typeEEEZZNS1_27merge_sort_block_merge_implIS3_PiPS5_jNS1_19radix_merge_compareILb0ELb0EiNS0_19identity_decomposerEEEEE10hipError_tT0_T1_T2_jT3_P12ihipStream_tbPNSt15iterator_traitsISE_E10value_typeEPNSK_ISF_E10value_typeEPSG_NS1_7vsmem_tEENKUlT_SE_SF_SG_E_clIS8_S8_S9_S9_EESD_ST_SE_SF_SG_EUlST_E1_NS1_11comp_targetILNS1_3genE4ELNS1_11target_archE910ELNS1_3gpuE8ELNS1_3repE0EEENS1_36merge_oddeven_config_static_selectorELNS0_4arch9wavefront6targetE0EEEvSF_.numbered_sgpr, 0
	.set _ZN7rocprim17ROCPRIM_400000_NS6detail17trampoline_kernelINS0_14default_configENS1_38merge_sort_block_merge_config_selectorIiNS0_10empty_typeEEEZZNS1_27merge_sort_block_merge_implIS3_PiPS5_jNS1_19radix_merge_compareILb0ELb0EiNS0_19identity_decomposerEEEEE10hipError_tT0_T1_T2_jT3_P12ihipStream_tbPNSt15iterator_traitsISE_E10value_typeEPNSK_ISF_E10value_typeEPSG_NS1_7vsmem_tEENKUlT_SE_SF_SG_E_clIS8_S8_S9_S9_EESD_ST_SE_SF_SG_EUlST_E1_NS1_11comp_targetILNS1_3genE4ELNS1_11target_archE910ELNS1_3gpuE8ELNS1_3repE0EEENS1_36merge_oddeven_config_static_selectorELNS0_4arch9wavefront6targetE0EEEvSF_.num_named_barrier, 0
	.set _ZN7rocprim17ROCPRIM_400000_NS6detail17trampoline_kernelINS0_14default_configENS1_38merge_sort_block_merge_config_selectorIiNS0_10empty_typeEEEZZNS1_27merge_sort_block_merge_implIS3_PiPS5_jNS1_19radix_merge_compareILb0ELb0EiNS0_19identity_decomposerEEEEE10hipError_tT0_T1_T2_jT3_P12ihipStream_tbPNSt15iterator_traitsISE_E10value_typeEPNSK_ISF_E10value_typeEPSG_NS1_7vsmem_tEENKUlT_SE_SF_SG_E_clIS8_S8_S9_S9_EESD_ST_SE_SF_SG_EUlST_E1_NS1_11comp_targetILNS1_3genE4ELNS1_11target_archE910ELNS1_3gpuE8ELNS1_3repE0EEENS1_36merge_oddeven_config_static_selectorELNS0_4arch9wavefront6targetE0EEEvSF_.private_seg_size, 0
	.set _ZN7rocprim17ROCPRIM_400000_NS6detail17trampoline_kernelINS0_14default_configENS1_38merge_sort_block_merge_config_selectorIiNS0_10empty_typeEEEZZNS1_27merge_sort_block_merge_implIS3_PiPS5_jNS1_19radix_merge_compareILb0ELb0EiNS0_19identity_decomposerEEEEE10hipError_tT0_T1_T2_jT3_P12ihipStream_tbPNSt15iterator_traitsISE_E10value_typeEPNSK_ISF_E10value_typeEPSG_NS1_7vsmem_tEENKUlT_SE_SF_SG_E_clIS8_S8_S9_S9_EESD_ST_SE_SF_SG_EUlST_E1_NS1_11comp_targetILNS1_3genE4ELNS1_11target_archE910ELNS1_3gpuE8ELNS1_3repE0EEENS1_36merge_oddeven_config_static_selectorELNS0_4arch9wavefront6targetE0EEEvSF_.uses_vcc, 0
	.set _ZN7rocprim17ROCPRIM_400000_NS6detail17trampoline_kernelINS0_14default_configENS1_38merge_sort_block_merge_config_selectorIiNS0_10empty_typeEEEZZNS1_27merge_sort_block_merge_implIS3_PiPS5_jNS1_19radix_merge_compareILb0ELb0EiNS0_19identity_decomposerEEEEE10hipError_tT0_T1_T2_jT3_P12ihipStream_tbPNSt15iterator_traitsISE_E10value_typeEPNSK_ISF_E10value_typeEPSG_NS1_7vsmem_tEENKUlT_SE_SF_SG_E_clIS8_S8_S9_S9_EESD_ST_SE_SF_SG_EUlST_E1_NS1_11comp_targetILNS1_3genE4ELNS1_11target_archE910ELNS1_3gpuE8ELNS1_3repE0EEENS1_36merge_oddeven_config_static_selectorELNS0_4arch9wavefront6targetE0EEEvSF_.uses_flat_scratch, 0
	.set _ZN7rocprim17ROCPRIM_400000_NS6detail17trampoline_kernelINS0_14default_configENS1_38merge_sort_block_merge_config_selectorIiNS0_10empty_typeEEEZZNS1_27merge_sort_block_merge_implIS3_PiPS5_jNS1_19radix_merge_compareILb0ELb0EiNS0_19identity_decomposerEEEEE10hipError_tT0_T1_T2_jT3_P12ihipStream_tbPNSt15iterator_traitsISE_E10value_typeEPNSK_ISF_E10value_typeEPSG_NS1_7vsmem_tEENKUlT_SE_SF_SG_E_clIS8_S8_S9_S9_EESD_ST_SE_SF_SG_EUlST_E1_NS1_11comp_targetILNS1_3genE4ELNS1_11target_archE910ELNS1_3gpuE8ELNS1_3repE0EEENS1_36merge_oddeven_config_static_selectorELNS0_4arch9wavefront6targetE0EEEvSF_.has_dyn_sized_stack, 0
	.set _ZN7rocprim17ROCPRIM_400000_NS6detail17trampoline_kernelINS0_14default_configENS1_38merge_sort_block_merge_config_selectorIiNS0_10empty_typeEEEZZNS1_27merge_sort_block_merge_implIS3_PiPS5_jNS1_19radix_merge_compareILb0ELb0EiNS0_19identity_decomposerEEEEE10hipError_tT0_T1_T2_jT3_P12ihipStream_tbPNSt15iterator_traitsISE_E10value_typeEPNSK_ISF_E10value_typeEPSG_NS1_7vsmem_tEENKUlT_SE_SF_SG_E_clIS8_S8_S9_S9_EESD_ST_SE_SF_SG_EUlST_E1_NS1_11comp_targetILNS1_3genE4ELNS1_11target_archE910ELNS1_3gpuE8ELNS1_3repE0EEENS1_36merge_oddeven_config_static_selectorELNS0_4arch9wavefront6targetE0EEEvSF_.has_recursion, 0
	.set _ZN7rocprim17ROCPRIM_400000_NS6detail17trampoline_kernelINS0_14default_configENS1_38merge_sort_block_merge_config_selectorIiNS0_10empty_typeEEEZZNS1_27merge_sort_block_merge_implIS3_PiPS5_jNS1_19radix_merge_compareILb0ELb0EiNS0_19identity_decomposerEEEEE10hipError_tT0_T1_T2_jT3_P12ihipStream_tbPNSt15iterator_traitsISE_E10value_typeEPNSK_ISF_E10value_typeEPSG_NS1_7vsmem_tEENKUlT_SE_SF_SG_E_clIS8_S8_S9_S9_EESD_ST_SE_SF_SG_EUlST_E1_NS1_11comp_targetILNS1_3genE4ELNS1_11target_archE910ELNS1_3gpuE8ELNS1_3repE0EEENS1_36merge_oddeven_config_static_selectorELNS0_4arch9wavefront6targetE0EEEvSF_.has_indirect_call, 0
	.section	.AMDGPU.csdata,"",@progbits
; Kernel info:
; codeLenInByte = 0
; TotalNumSgprs: 0
; NumVgprs: 0
; ScratchSize: 0
; MemoryBound: 0
; FloatMode: 240
; IeeeMode: 1
; LDSByteSize: 0 bytes/workgroup (compile time only)
; SGPRBlocks: 0
; VGPRBlocks: 0
; NumSGPRsForWavesPerEU: 1
; NumVGPRsForWavesPerEU: 1
; NamedBarCnt: 0
; Occupancy: 16
; WaveLimiterHint : 0
; COMPUTE_PGM_RSRC2:SCRATCH_EN: 0
; COMPUTE_PGM_RSRC2:USER_SGPR: 2
; COMPUTE_PGM_RSRC2:TRAP_HANDLER: 0
; COMPUTE_PGM_RSRC2:TGID_X_EN: 1
; COMPUTE_PGM_RSRC2:TGID_Y_EN: 0
; COMPUTE_PGM_RSRC2:TGID_Z_EN: 0
; COMPUTE_PGM_RSRC2:TIDIG_COMP_CNT: 0
	.section	.text._ZN7rocprim17ROCPRIM_400000_NS6detail17trampoline_kernelINS0_14default_configENS1_38merge_sort_block_merge_config_selectorIiNS0_10empty_typeEEEZZNS1_27merge_sort_block_merge_implIS3_PiPS5_jNS1_19radix_merge_compareILb0ELb0EiNS0_19identity_decomposerEEEEE10hipError_tT0_T1_T2_jT3_P12ihipStream_tbPNSt15iterator_traitsISE_E10value_typeEPNSK_ISF_E10value_typeEPSG_NS1_7vsmem_tEENKUlT_SE_SF_SG_E_clIS8_S8_S9_S9_EESD_ST_SE_SF_SG_EUlST_E1_NS1_11comp_targetILNS1_3genE3ELNS1_11target_archE908ELNS1_3gpuE7ELNS1_3repE0EEENS1_36merge_oddeven_config_static_selectorELNS0_4arch9wavefront6targetE0EEEvSF_,"axG",@progbits,_ZN7rocprim17ROCPRIM_400000_NS6detail17trampoline_kernelINS0_14default_configENS1_38merge_sort_block_merge_config_selectorIiNS0_10empty_typeEEEZZNS1_27merge_sort_block_merge_implIS3_PiPS5_jNS1_19radix_merge_compareILb0ELb0EiNS0_19identity_decomposerEEEEE10hipError_tT0_T1_T2_jT3_P12ihipStream_tbPNSt15iterator_traitsISE_E10value_typeEPNSK_ISF_E10value_typeEPSG_NS1_7vsmem_tEENKUlT_SE_SF_SG_E_clIS8_S8_S9_S9_EESD_ST_SE_SF_SG_EUlST_E1_NS1_11comp_targetILNS1_3genE3ELNS1_11target_archE908ELNS1_3gpuE7ELNS1_3repE0EEENS1_36merge_oddeven_config_static_selectorELNS0_4arch9wavefront6targetE0EEEvSF_,comdat
	.protected	_ZN7rocprim17ROCPRIM_400000_NS6detail17trampoline_kernelINS0_14default_configENS1_38merge_sort_block_merge_config_selectorIiNS0_10empty_typeEEEZZNS1_27merge_sort_block_merge_implIS3_PiPS5_jNS1_19radix_merge_compareILb0ELb0EiNS0_19identity_decomposerEEEEE10hipError_tT0_T1_T2_jT3_P12ihipStream_tbPNSt15iterator_traitsISE_E10value_typeEPNSK_ISF_E10value_typeEPSG_NS1_7vsmem_tEENKUlT_SE_SF_SG_E_clIS8_S8_S9_S9_EESD_ST_SE_SF_SG_EUlST_E1_NS1_11comp_targetILNS1_3genE3ELNS1_11target_archE908ELNS1_3gpuE7ELNS1_3repE0EEENS1_36merge_oddeven_config_static_selectorELNS0_4arch9wavefront6targetE0EEEvSF_ ; -- Begin function _ZN7rocprim17ROCPRIM_400000_NS6detail17trampoline_kernelINS0_14default_configENS1_38merge_sort_block_merge_config_selectorIiNS0_10empty_typeEEEZZNS1_27merge_sort_block_merge_implIS3_PiPS5_jNS1_19radix_merge_compareILb0ELb0EiNS0_19identity_decomposerEEEEE10hipError_tT0_T1_T2_jT3_P12ihipStream_tbPNSt15iterator_traitsISE_E10value_typeEPNSK_ISF_E10value_typeEPSG_NS1_7vsmem_tEENKUlT_SE_SF_SG_E_clIS8_S8_S9_S9_EESD_ST_SE_SF_SG_EUlST_E1_NS1_11comp_targetILNS1_3genE3ELNS1_11target_archE908ELNS1_3gpuE7ELNS1_3repE0EEENS1_36merge_oddeven_config_static_selectorELNS0_4arch9wavefront6targetE0EEEvSF_
	.globl	_ZN7rocprim17ROCPRIM_400000_NS6detail17trampoline_kernelINS0_14default_configENS1_38merge_sort_block_merge_config_selectorIiNS0_10empty_typeEEEZZNS1_27merge_sort_block_merge_implIS3_PiPS5_jNS1_19radix_merge_compareILb0ELb0EiNS0_19identity_decomposerEEEEE10hipError_tT0_T1_T2_jT3_P12ihipStream_tbPNSt15iterator_traitsISE_E10value_typeEPNSK_ISF_E10value_typeEPSG_NS1_7vsmem_tEENKUlT_SE_SF_SG_E_clIS8_S8_S9_S9_EESD_ST_SE_SF_SG_EUlST_E1_NS1_11comp_targetILNS1_3genE3ELNS1_11target_archE908ELNS1_3gpuE7ELNS1_3repE0EEENS1_36merge_oddeven_config_static_selectorELNS0_4arch9wavefront6targetE0EEEvSF_
	.p2align	8
	.type	_ZN7rocprim17ROCPRIM_400000_NS6detail17trampoline_kernelINS0_14default_configENS1_38merge_sort_block_merge_config_selectorIiNS0_10empty_typeEEEZZNS1_27merge_sort_block_merge_implIS3_PiPS5_jNS1_19radix_merge_compareILb0ELb0EiNS0_19identity_decomposerEEEEE10hipError_tT0_T1_T2_jT3_P12ihipStream_tbPNSt15iterator_traitsISE_E10value_typeEPNSK_ISF_E10value_typeEPSG_NS1_7vsmem_tEENKUlT_SE_SF_SG_E_clIS8_S8_S9_S9_EESD_ST_SE_SF_SG_EUlST_E1_NS1_11comp_targetILNS1_3genE3ELNS1_11target_archE908ELNS1_3gpuE7ELNS1_3repE0EEENS1_36merge_oddeven_config_static_selectorELNS0_4arch9wavefront6targetE0EEEvSF_,@function
_ZN7rocprim17ROCPRIM_400000_NS6detail17trampoline_kernelINS0_14default_configENS1_38merge_sort_block_merge_config_selectorIiNS0_10empty_typeEEEZZNS1_27merge_sort_block_merge_implIS3_PiPS5_jNS1_19radix_merge_compareILb0ELb0EiNS0_19identity_decomposerEEEEE10hipError_tT0_T1_T2_jT3_P12ihipStream_tbPNSt15iterator_traitsISE_E10value_typeEPNSK_ISF_E10value_typeEPSG_NS1_7vsmem_tEENKUlT_SE_SF_SG_E_clIS8_S8_S9_S9_EESD_ST_SE_SF_SG_EUlST_E1_NS1_11comp_targetILNS1_3genE3ELNS1_11target_archE908ELNS1_3gpuE7ELNS1_3repE0EEENS1_36merge_oddeven_config_static_selectorELNS0_4arch9wavefront6targetE0EEEvSF_: ; @_ZN7rocprim17ROCPRIM_400000_NS6detail17trampoline_kernelINS0_14default_configENS1_38merge_sort_block_merge_config_selectorIiNS0_10empty_typeEEEZZNS1_27merge_sort_block_merge_implIS3_PiPS5_jNS1_19radix_merge_compareILb0ELb0EiNS0_19identity_decomposerEEEEE10hipError_tT0_T1_T2_jT3_P12ihipStream_tbPNSt15iterator_traitsISE_E10value_typeEPNSK_ISF_E10value_typeEPSG_NS1_7vsmem_tEENKUlT_SE_SF_SG_E_clIS8_S8_S9_S9_EESD_ST_SE_SF_SG_EUlST_E1_NS1_11comp_targetILNS1_3genE3ELNS1_11target_archE908ELNS1_3gpuE7ELNS1_3repE0EEENS1_36merge_oddeven_config_static_selectorELNS0_4arch9wavefront6targetE0EEEvSF_
; %bb.0:
	.section	.rodata,"a",@progbits
	.p2align	6, 0x0
	.amdhsa_kernel _ZN7rocprim17ROCPRIM_400000_NS6detail17trampoline_kernelINS0_14default_configENS1_38merge_sort_block_merge_config_selectorIiNS0_10empty_typeEEEZZNS1_27merge_sort_block_merge_implIS3_PiPS5_jNS1_19radix_merge_compareILb0ELb0EiNS0_19identity_decomposerEEEEE10hipError_tT0_T1_T2_jT3_P12ihipStream_tbPNSt15iterator_traitsISE_E10value_typeEPNSK_ISF_E10value_typeEPSG_NS1_7vsmem_tEENKUlT_SE_SF_SG_E_clIS8_S8_S9_S9_EESD_ST_SE_SF_SG_EUlST_E1_NS1_11comp_targetILNS1_3genE3ELNS1_11target_archE908ELNS1_3gpuE7ELNS1_3repE0EEENS1_36merge_oddeven_config_static_selectorELNS0_4arch9wavefront6targetE0EEEvSF_
		.amdhsa_group_segment_fixed_size 0
		.amdhsa_private_segment_fixed_size 0
		.amdhsa_kernarg_size 48
		.amdhsa_user_sgpr_count 2
		.amdhsa_user_sgpr_dispatch_ptr 0
		.amdhsa_user_sgpr_queue_ptr 0
		.amdhsa_user_sgpr_kernarg_segment_ptr 1
		.amdhsa_user_sgpr_dispatch_id 0
		.amdhsa_user_sgpr_kernarg_preload_length 0
		.amdhsa_user_sgpr_kernarg_preload_offset 0
		.amdhsa_user_sgpr_private_segment_size 0
		.amdhsa_wavefront_size32 1
		.amdhsa_uses_dynamic_stack 0
		.amdhsa_enable_private_segment 0
		.amdhsa_system_sgpr_workgroup_id_x 1
		.amdhsa_system_sgpr_workgroup_id_y 0
		.amdhsa_system_sgpr_workgroup_id_z 0
		.amdhsa_system_sgpr_workgroup_info 0
		.amdhsa_system_vgpr_workitem_id 0
		.amdhsa_next_free_vgpr 1
		.amdhsa_next_free_sgpr 1
		.amdhsa_named_barrier_count 0
		.amdhsa_reserve_vcc 0
		.amdhsa_float_round_mode_32 0
		.amdhsa_float_round_mode_16_64 0
		.amdhsa_float_denorm_mode_32 3
		.amdhsa_float_denorm_mode_16_64 3
		.amdhsa_fp16_overflow 0
		.amdhsa_memory_ordered 1
		.amdhsa_forward_progress 1
		.amdhsa_inst_pref_size 0
		.amdhsa_round_robin_scheduling 0
		.amdhsa_exception_fp_ieee_invalid_op 0
		.amdhsa_exception_fp_denorm_src 0
		.amdhsa_exception_fp_ieee_div_zero 0
		.amdhsa_exception_fp_ieee_overflow 0
		.amdhsa_exception_fp_ieee_underflow 0
		.amdhsa_exception_fp_ieee_inexact 0
		.amdhsa_exception_int_div_zero 0
	.end_amdhsa_kernel
	.section	.text._ZN7rocprim17ROCPRIM_400000_NS6detail17trampoline_kernelINS0_14default_configENS1_38merge_sort_block_merge_config_selectorIiNS0_10empty_typeEEEZZNS1_27merge_sort_block_merge_implIS3_PiPS5_jNS1_19radix_merge_compareILb0ELb0EiNS0_19identity_decomposerEEEEE10hipError_tT0_T1_T2_jT3_P12ihipStream_tbPNSt15iterator_traitsISE_E10value_typeEPNSK_ISF_E10value_typeEPSG_NS1_7vsmem_tEENKUlT_SE_SF_SG_E_clIS8_S8_S9_S9_EESD_ST_SE_SF_SG_EUlST_E1_NS1_11comp_targetILNS1_3genE3ELNS1_11target_archE908ELNS1_3gpuE7ELNS1_3repE0EEENS1_36merge_oddeven_config_static_selectorELNS0_4arch9wavefront6targetE0EEEvSF_,"axG",@progbits,_ZN7rocprim17ROCPRIM_400000_NS6detail17trampoline_kernelINS0_14default_configENS1_38merge_sort_block_merge_config_selectorIiNS0_10empty_typeEEEZZNS1_27merge_sort_block_merge_implIS3_PiPS5_jNS1_19radix_merge_compareILb0ELb0EiNS0_19identity_decomposerEEEEE10hipError_tT0_T1_T2_jT3_P12ihipStream_tbPNSt15iterator_traitsISE_E10value_typeEPNSK_ISF_E10value_typeEPSG_NS1_7vsmem_tEENKUlT_SE_SF_SG_E_clIS8_S8_S9_S9_EESD_ST_SE_SF_SG_EUlST_E1_NS1_11comp_targetILNS1_3genE3ELNS1_11target_archE908ELNS1_3gpuE7ELNS1_3repE0EEENS1_36merge_oddeven_config_static_selectorELNS0_4arch9wavefront6targetE0EEEvSF_,comdat
.Lfunc_end914:
	.size	_ZN7rocprim17ROCPRIM_400000_NS6detail17trampoline_kernelINS0_14default_configENS1_38merge_sort_block_merge_config_selectorIiNS0_10empty_typeEEEZZNS1_27merge_sort_block_merge_implIS3_PiPS5_jNS1_19radix_merge_compareILb0ELb0EiNS0_19identity_decomposerEEEEE10hipError_tT0_T1_T2_jT3_P12ihipStream_tbPNSt15iterator_traitsISE_E10value_typeEPNSK_ISF_E10value_typeEPSG_NS1_7vsmem_tEENKUlT_SE_SF_SG_E_clIS8_S8_S9_S9_EESD_ST_SE_SF_SG_EUlST_E1_NS1_11comp_targetILNS1_3genE3ELNS1_11target_archE908ELNS1_3gpuE7ELNS1_3repE0EEENS1_36merge_oddeven_config_static_selectorELNS0_4arch9wavefront6targetE0EEEvSF_, .Lfunc_end914-_ZN7rocprim17ROCPRIM_400000_NS6detail17trampoline_kernelINS0_14default_configENS1_38merge_sort_block_merge_config_selectorIiNS0_10empty_typeEEEZZNS1_27merge_sort_block_merge_implIS3_PiPS5_jNS1_19radix_merge_compareILb0ELb0EiNS0_19identity_decomposerEEEEE10hipError_tT0_T1_T2_jT3_P12ihipStream_tbPNSt15iterator_traitsISE_E10value_typeEPNSK_ISF_E10value_typeEPSG_NS1_7vsmem_tEENKUlT_SE_SF_SG_E_clIS8_S8_S9_S9_EESD_ST_SE_SF_SG_EUlST_E1_NS1_11comp_targetILNS1_3genE3ELNS1_11target_archE908ELNS1_3gpuE7ELNS1_3repE0EEENS1_36merge_oddeven_config_static_selectorELNS0_4arch9wavefront6targetE0EEEvSF_
                                        ; -- End function
	.set _ZN7rocprim17ROCPRIM_400000_NS6detail17trampoline_kernelINS0_14default_configENS1_38merge_sort_block_merge_config_selectorIiNS0_10empty_typeEEEZZNS1_27merge_sort_block_merge_implIS3_PiPS5_jNS1_19radix_merge_compareILb0ELb0EiNS0_19identity_decomposerEEEEE10hipError_tT0_T1_T2_jT3_P12ihipStream_tbPNSt15iterator_traitsISE_E10value_typeEPNSK_ISF_E10value_typeEPSG_NS1_7vsmem_tEENKUlT_SE_SF_SG_E_clIS8_S8_S9_S9_EESD_ST_SE_SF_SG_EUlST_E1_NS1_11comp_targetILNS1_3genE3ELNS1_11target_archE908ELNS1_3gpuE7ELNS1_3repE0EEENS1_36merge_oddeven_config_static_selectorELNS0_4arch9wavefront6targetE0EEEvSF_.num_vgpr, 0
	.set _ZN7rocprim17ROCPRIM_400000_NS6detail17trampoline_kernelINS0_14default_configENS1_38merge_sort_block_merge_config_selectorIiNS0_10empty_typeEEEZZNS1_27merge_sort_block_merge_implIS3_PiPS5_jNS1_19radix_merge_compareILb0ELb0EiNS0_19identity_decomposerEEEEE10hipError_tT0_T1_T2_jT3_P12ihipStream_tbPNSt15iterator_traitsISE_E10value_typeEPNSK_ISF_E10value_typeEPSG_NS1_7vsmem_tEENKUlT_SE_SF_SG_E_clIS8_S8_S9_S9_EESD_ST_SE_SF_SG_EUlST_E1_NS1_11comp_targetILNS1_3genE3ELNS1_11target_archE908ELNS1_3gpuE7ELNS1_3repE0EEENS1_36merge_oddeven_config_static_selectorELNS0_4arch9wavefront6targetE0EEEvSF_.num_agpr, 0
	.set _ZN7rocprim17ROCPRIM_400000_NS6detail17trampoline_kernelINS0_14default_configENS1_38merge_sort_block_merge_config_selectorIiNS0_10empty_typeEEEZZNS1_27merge_sort_block_merge_implIS3_PiPS5_jNS1_19radix_merge_compareILb0ELb0EiNS0_19identity_decomposerEEEEE10hipError_tT0_T1_T2_jT3_P12ihipStream_tbPNSt15iterator_traitsISE_E10value_typeEPNSK_ISF_E10value_typeEPSG_NS1_7vsmem_tEENKUlT_SE_SF_SG_E_clIS8_S8_S9_S9_EESD_ST_SE_SF_SG_EUlST_E1_NS1_11comp_targetILNS1_3genE3ELNS1_11target_archE908ELNS1_3gpuE7ELNS1_3repE0EEENS1_36merge_oddeven_config_static_selectorELNS0_4arch9wavefront6targetE0EEEvSF_.numbered_sgpr, 0
	.set _ZN7rocprim17ROCPRIM_400000_NS6detail17trampoline_kernelINS0_14default_configENS1_38merge_sort_block_merge_config_selectorIiNS0_10empty_typeEEEZZNS1_27merge_sort_block_merge_implIS3_PiPS5_jNS1_19radix_merge_compareILb0ELb0EiNS0_19identity_decomposerEEEEE10hipError_tT0_T1_T2_jT3_P12ihipStream_tbPNSt15iterator_traitsISE_E10value_typeEPNSK_ISF_E10value_typeEPSG_NS1_7vsmem_tEENKUlT_SE_SF_SG_E_clIS8_S8_S9_S9_EESD_ST_SE_SF_SG_EUlST_E1_NS1_11comp_targetILNS1_3genE3ELNS1_11target_archE908ELNS1_3gpuE7ELNS1_3repE0EEENS1_36merge_oddeven_config_static_selectorELNS0_4arch9wavefront6targetE0EEEvSF_.num_named_barrier, 0
	.set _ZN7rocprim17ROCPRIM_400000_NS6detail17trampoline_kernelINS0_14default_configENS1_38merge_sort_block_merge_config_selectorIiNS0_10empty_typeEEEZZNS1_27merge_sort_block_merge_implIS3_PiPS5_jNS1_19radix_merge_compareILb0ELb0EiNS0_19identity_decomposerEEEEE10hipError_tT0_T1_T2_jT3_P12ihipStream_tbPNSt15iterator_traitsISE_E10value_typeEPNSK_ISF_E10value_typeEPSG_NS1_7vsmem_tEENKUlT_SE_SF_SG_E_clIS8_S8_S9_S9_EESD_ST_SE_SF_SG_EUlST_E1_NS1_11comp_targetILNS1_3genE3ELNS1_11target_archE908ELNS1_3gpuE7ELNS1_3repE0EEENS1_36merge_oddeven_config_static_selectorELNS0_4arch9wavefront6targetE0EEEvSF_.private_seg_size, 0
	.set _ZN7rocprim17ROCPRIM_400000_NS6detail17trampoline_kernelINS0_14default_configENS1_38merge_sort_block_merge_config_selectorIiNS0_10empty_typeEEEZZNS1_27merge_sort_block_merge_implIS3_PiPS5_jNS1_19radix_merge_compareILb0ELb0EiNS0_19identity_decomposerEEEEE10hipError_tT0_T1_T2_jT3_P12ihipStream_tbPNSt15iterator_traitsISE_E10value_typeEPNSK_ISF_E10value_typeEPSG_NS1_7vsmem_tEENKUlT_SE_SF_SG_E_clIS8_S8_S9_S9_EESD_ST_SE_SF_SG_EUlST_E1_NS1_11comp_targetILNS1_3genE3ELNS1_11target_archE908ELNS1_3gpuE7ELNS1_3repE0EEENS1_36merge_oddeven_config_static_selectorELNS0_4arch9wavefront6targetE0EEEvSF_.uses_vcc, 0
	.set _ZN7rocprim17ROCPRIM_400000_NS6detail17trampoline_kernelINS0_14default_configENS1_38merge_sort_block_merge_config_selectorIiNS0_10empty_typeEEEZZNS1_27merge_sort_block_merge_implIS3_PiPS5_jNS1_19radix_merge_compareILb0ELb0EiNS0_19identity_decomposerEEEEE10hipError_tT0_T1_T2_jT3_P12ihipStream_tbPNSt15iterator_traitsISE_E10value_typeEPNSK_ISF_E10value_typeEPSG_NS1_7vsmem_tEENKUlT_SE_SF_SG_E_clIS8_S8_S9_S9_EESD_ST_SE_SF_SG_EUlST_E1_NS1_11comp_targetILNS1_3genE3ELNS1_11target_archE908ELNS1_3gpuE7ELNS1_3repE0EEENS1_36merge_oddeven_config_static_selectorELNS0_4arch9wavefront6targetE0EEEvSF_.uses_flat_scratch, 0
	.set _ZN7rocprim17ROCPRIM_400000_NS6detail17trampoline_kernelINS0_14default_configENS1_38merge_sort_block_merge_config_selectorIiNS0_10empty_typeEEEZZNS1_27merge_sort_block_merge_implIS3_PiPS5_jNS1_19radix_merge_compareILb0ELb0EiNS0_19identity_decomposerEEEEE10hipError_tT0_T1_T2_jT3_P12ihipStream_tbPNSt15iterator_traitsISE_E10value_typeEPNSK_ISF_E10value_typeEPSG_NS1_7vsmem_tEENKUlT_SE_SF_SG_E_clIS8_S8_S9_S9_EESD_ST_SE_SF_SG_EUlST_E1_NS1_11comp_targetILNS1_3genE3ELNS1_11target_archE908ELNS1_3gpuE7ELNS1_3repE0EEENS1_36merge_oddeven_config_static_selectorELNS0_4arch9wavefront6targetE0EEEvSF_.has_dyn_sized_stack, 0
	.set _ZN7rocprim17ROCPRIM_400000_NS6detail17trampoline_kernelINS0_14default_configENS1_38merge_sort_block_merge_config_selectorIiNS0_10empty_typeEEEZZNS1_27merge_sort_block_merge_implIS3_PiPS5_jNS1_19radix_merge_compareILb0ELb0EiNS0_19identity_decomposerEEEEE10hipError_tT0_T1_T2_jT3_P12ihipStream_tbPNSt15iterator_traitsISE_E10value_typeEPNSK_ISF_E10value_typeEPSG_NS1_7vsmem_tEENKUlT_SE_SF_SG_E_clIS8_S8_S9_S9_EESD_ST_SE_SF_SG_EUlST_E1_NS1_11comp_targetILNS1_3genE3ELNS1_11target_archE908ELNS1_3gpuE7ELNS1_3repE0EEENS1_36merge_oddeven_config_static_selectorELNS0_4arch9wavefront6targetE0EEEvSF_.has_recursion, 0
	.set _ZN7rocprim17ROCPRIM_400000_NS6detail17trampoline_kernelINS0_14default_configENS1_38merge_sort_block_merge_config_selectorIiNS0_10empty_typeEEEZZNS1_27merge_sort_block_merge_implIS3_PiPS5_jNS1_19radix_merge_compareILb0ELb0EiNS0_19identity_decomposerEEEEE10hipError_tT0_T1_T2_jT3_P12ihipStream_tbPNSt15iterator_traitsISE_E10value_typeEPNSK_ISF_E10value_typeEPSG_NS1_7vsmem_tEENKUlT_SE_SF_SG_E_clIS8_S8_S9_S9_EESD_ST_SE_SF_SG_EUlST_E1_NS1_11comp_targetILNS1_3genE3ELNS1_11target_archE908ELNS1_3gpuE7ELNS1_3repE0EEENS1_36merge_oddeven_config_static_selectorELNS0_4arch9wavefront6targetE0EEEvSF_.has_indirect_call, 0
	.section	.AMDGPU.csdata,"",@progbits
; Kernel info:
; codeLenInByte = 0
; TotalNumSgprs: 0
; NumVgprs: 0
; ScratchSize: 0
; MemoryBound: 0
; FloatMode: 240
; IeeeMode: 1
; LDSByteSize: 0 bytes/workgroup (compile time only)
; SGPRBlocks: 0
; VGPRBlocks: 0
; NumSGPRsForWavesPerEU: 1
; NumVGPRsForWavesPerEU: 1
; NamedBarCnt: 0
; Occupancy: 16
; WaveLimiterHint : 0
; COMPUTE_PGM_RSRC2:SCRATCH_EN: 0
; COMPUTE_PGM_RSRC2:USER_SGPR: 2
; COMPUTE_PGM_RSRC2:TRAP_HANDLER: 0
; COMPUTE_PGM_RSRC2:TGID_X_EN: 1
; COMPUTE_PGM_RSRC2:TGID_Y_EN: 0
; COMPUTE_PGM_RSRC2:TGID_Z_EN: 0
; COMPUTE_PGM_RSRC2:TIDIG_COMP_CNT: 0
	.section	.text._ZN7rocprim17ROCPRIM_400000_NS6detail17trampoline_kernelINS0_14default_configENS1_38merge_sort_block_merge_config_selectorIiNS0_10empty_typeEEEZZNS1_27merge_sort_block_merge_implIS3_PiPS5_jNS1_19radix_merge_compareILb0ELb0EiNS0_19identity_decomposerEEEEE10hipError_tT0_T1_T2_jT3_P12ihipStream_tbPNSt15iterator_traitsISE_E10value_typeEPNSK_ISF_E10value_typeEPSG_NS1_7vsmem_tEENKUlT_SE_SF_SG_E_clIS8_S8_S9_S9_EESD_ST_SE_SF_SG_EUlST_E1_NS1_11comp_targetILNS1_3genE2ELNS1_11target_archE906ELNS1_3gpuE6ELNS1_3repE0EEENS1_36merge_oddeven_config_static_selectorELNS0_4arch9wavefront6targetE0EEEvSF_,"axG",@progbits,_ZN7rocprim17ROCPRIM_400000_NS6detail17trampoline_kernelINS0_14default_configENS1_38merge_sort_block_merge_config_selectorIiNS0_10empty_typeEEEZZNS1_27merge_sort_block_merge_implIS3_PiPS5_jNS1_19radix_merge_compareILb0ELb0EiNS0_19identity_decomposerEEEEE10hipError_tT0_T1_T2_jT3_P12ihipStream_tbPNSt15iterator_traitsISE_E10value_typeEPNSK_ISF_E10value_typeEPSG_NS1_7vsmem_tEENKUlT_SE_SF_SG_E_clIS8_S8_S9_S9_EESD_ST_SE_SF_SG_EUlST_E1_NS1_11comp_targetILNS1_3genE2ELNS1_11target_archE906ELNS1_3gpuE6ELNS1_3repE0EEENS1_36merge_oddeven_config_static_selectorELNS0_4arch9wavefront6targetE0EEEvSF_,comdat
	.protected	_ZN7rocprim17ROCPRIM_400000_NS6detail17trampoline_kernelINS0_14default_configENS1_38merge_sort_block_merge_config_selectorIiNS0_10empty_typeEEEZZNS1_27merge_sort_block_merge_implIS3_PiPS5_jNS1_19radix_merge_compareILb0ELb0EiNS0_19identity_decomposerEEEEE10hipError_tT0_T1_T2_jT3_P12ihipStream_tbPNSt15iterator_traitsISE_E10value_typeEPNSK_ISF_E10value_typeEPSG_NS1_7vsmem_tEENKUlT_SE_SF_SG_E_clIS8_S8_S9_S9_EESD_ST_SE_SF_SG_EUlST_E1_NS1_11comp_targetILNS1_3genE2ELNS1_11target_archE906ELNS1_3gpuE6ELNS1_3repE0EEENS1_36merge_oddeven_config_static_selectorELNS0_4arch9wavefront6targetE0EEEvSF_ ; -- Begin function _ZN7rocprim17ROCPRIM_400000_NS6detail17trampoline_kernelINS0_14default_configENS1_38merge_sort_block_merge_config_selectorIiNS0_10empty_typeEEEZZNS1_27merge_sort_block_merge_implIS3_PiPS5_jNS1_19radix_merge_compareILb0ELb0EiNS0_19identity_decomposerEEEEE10hipError_tT0_T1_T2_jT3_P12ihipStream_tbPNSt15iterator_traitsISE_E10value_typeEPNSK_ISF_E10value_typeEPSG_NS1_7vsmem_tEENKUlT_SE_SF_SG_E_clIS8_S8_S9_S9_EESD_ST_SE_SF_SG_EUlST_E1_NS1_11comp_targetILNS1_3genE2ELNS1_11target_archE906ELNS1_3gpuE6ELNS1_3repE0EEENS1_36merge_oddeven_config_static_selectorELNS0_4arch9wavefront6targetE0EEEvSF_
	.globl	_ZN7rocprim17ROCPRIM_400000_NS6detail17trampoline_kernelINS0_14default_configENS1_38merge_sort_block_merge_config_selectorIiNS0_10empty_typeEEEZZNS1_27merge_sort_block_merge_implIS3_PiPS5_jNS1_19radix_merge_compareILb0ELb0EiNS0_19identity_decomposerEEEEE10hipError_tT0_T1_T2_jT3_P12ihipStream_tbPNSt15iterator_traitsISE_E10value_typeEPNSK_ISF_E10value_typeEPSG_NS1_7vsmem_tEENKUlT_SE_SF_SG_E_clIS8_S8_S9_S9_EESD_ST_SE_SF_SG_EUlST_E1_NS1_11comp_targetILNS1_3genE2ELNS1_11target_archE906ELNS1_3gpuE6ELNS1_3repE0EEENS1_36merge_oddeven_config_static_selectorELNS0_4arch9wavefront6targetE0EEEvSF_
	.p2align	8
	.type	_ZN7rocprim17ROCPRIM_400000_NS6detail17trampoline_kernelINS0_14default_configENS1_38merge_sort_block_merge_config_selectorIiNS0_10empty_typeEEEZZNS1_27merge_sort_block_merge_implIS3_PiPS5_jNS1_19radix_merge_compareILb0ELb0EiNS0_19identity_decomposerEEEEE10hipError_tT0_T1_T2_jT3_P12ihipStream_tbPNSt15iterator_traitsISE_E10value_typeEPNSK_ISF_E10value_typeEPSG_NS1_7vsmem_tEENKUlT_SE_SF_SG_E_clIS8_S8_S9_S9_EESD_ST_SE_SF_SG_EUlST_E1_NS1_11comp_targetILNS1_3genE2ELNS1_11target_archE906ELNS1_3gpuE6ELNS1_3repE0EEENS1_36merge_oddeven_config_static_selectorELNS0_4arch9wavefront6targetE0EEEvSF_,@function
_ZN7rocprim17ROCPRIM_400000_NS6detail17trampoline_kernelINS0_14default_configENS1_38merge_sort_block_merge_config_selectorIiNS0_10empty_typeEEEZZNS1_27merge_sort_block_merge_implIS3_PiPS5_jNS1_19radix_merge_compareILb0ELb0EiNS0_19identity_decomposerEEEEE10hipError_tT0_T1_T2_jT3_P12ihipStream_tbPNSt15iterator_traitsISE_E10value_typeEPNSK_ISF_E10value_typeEPSG_NS1_7vsmem_tEENKUlT_SE_SF_SG_E_clIS8_S8_S9_S9_EESD_ST_SE_SF_SG_EUlST_E1_NS1_11comp_targetILNS1_3genE2ELNS1_11target_archE906ELNS1_3gpuE6ELNS1_3repE0EEENS1_36merge_oddeven_config_static_selectorELNS0_4arch9wavefront6targetE0EEEvSF_: ; @_ZN7rocprim17ROCPRIM_400000_NS6detail17trampoline_kernelINS0_14default_configENS1_38merge_sort_block_merge_config_selectorIiNS0_10empty_typeEEEZZNS1_27merge_sort_block_merge_implIS3_PiPS5_jNS1_19radix_merge_compareILb0ELb0EiNS0_19identity_decomposerEEEEE10hipError_tT0_T1_T2_jT3_P12ihipStream_tbPNSt15iterator_traitsISE_E10value_typeEPNSK_ISF_E10value_typeEPSG_NS1_7vsmem_tEENKUlT_SE_SF_SG_E_clIS8_S8_S9_S9_EESD_ST_SE_SF_SG_EUlST_E1_NS1_11comp_targetILNS1_3genE2ELNS1_11target_archE906ELNS1_3gpuE6ELNS1_3repE0EEENS1_36merge_oddeven_config_static_selectorELNS0_4arch9wavefront6targetE0EEEvSF_
; %bb.0:
	.section	.rodata,"a",@progbits
	.p2align	6, 0x0
	.amdhsa_kernel _ZN7rocprim17ROCPRIM_400000_NS6detail17trampoline_kernelINS0_14default_configENS1_38merge_sort_block_merge_config_selectorIiNS0_10empty_typeEEEZZNS1_27merge_sort_block_merge_implIS3_PiPS5_jNS1_19radix_merge_compareILb0ELb0EiNS0_19identity_decomposerEEEEE10hipError_tT0_T1_T2_jT3_P12ihipStream_tbPNSt15iterator_traitsISE_E10value_typeEPNSK_ISF_E10value_typeEPSG_NS1_7vsmem_tEENKUlT_SE_SF_SG_E_clIS8_S8_S9_S9_EESD_ST_SE_SF_SG_EUlST_E1_NS1_11comp_targetILNS1_3genE2ELNS1_11target_archE906ELNS1_3gpuE6ELNS1_3repE0EEENS1_36merge_oddeven_config_static_selectorELNS0_4arch9wavefront6targetE0EEEvSF_
		.amdhsa_group_segment_fixed_size 0
		.amdhsa_private_segment_fixed_size 0
		.amdhsa_kernarg_size 48
		.amdhsa_user_sgpr_count 2
		.amdhsa_user_sgpr_dispatch_ptr 0
		.amdhsa_user_sgpr_queue_ptr 0
		.amdhsa_user_sgpr_kernarg_segment_ptr 1
		.amdhsa_user_sgpr_dispatch_id 0
		.amdhsa_user_sgpr_kernarg_preload_length 0
		.amdhsa_user_sgpr_kernarg_preload_offset 0
		.amdhsa_user_sgpr_private_segment_size 0
		.amdhsa_wavefront_size32 1
		.amdhsa_uses_dynamic_stack 0
		.amdhsa_enable_private_segment 0
		.amdhsa_system_sgpr_workgroup_id_x 1
		.amdhsa_system_sgpr_workgroup_id_y 0
		.amdhsa_system_sgpr_workgroup_id_z 0
		.amdhsa_system_sgpr_workgroup_info 0
		.amdhsa_system_vgpr_workitem_id 0
		.amdhsa_next_free_vgpr 1
		.amdhsa_next_free_sgpr 1
		.amdhsa_named_barrier_count 0
		.amdhsa_reserve_vcc 0
		.amdhsa_float_round_mode_32 0
		.amdhsa_float_round_mode_16_64 0
		.amdhsa_float_denorm_mode_32 3
		.amdhsa_float_denorm_mode_16_64 3
		.amdhsa_fp16_overflow 0
		.amdhsa_memory_ordered 1
		.amdhsa_forward_progress 1
		.amdhsa_inst_pref_size 0
		.amdhsa_round_robin_scheduling 0
		.amdhsa_exception_fp_ieee_invalid_op 0
		.amdhsa_exception_fp_denorm_src 0
		.amdhsa_exception_fp_ieee_div_zero 0
		.amdhsa_exception_fp_ieee_overflow 0
		.amdhsa_exception_fp_ieee_underflow 0
		.amdhsa_exception_fp_ieee_inexact 0
		.amdhsa_exception_int_div_zero 0
	.end_amdhsa_kernel
	.section	.text._ZN7rocprim17ROCPRIM_400000_NS6detail17trampoline_kernelINS0_14default_configENS1_38merge_sort_block_merge_config_selectorIiNS0_10empty_typeEEEZZNS1_27merge_sort_block_merge_implIS3_PiPS5_jNS1_19radix_merge_compareILb0ELb0EiNS0_19identity_decomposerEEEEE10hipError_tT0_T1_T2_jT3_P12ihipStream_tbPNSt15iterator_traitsISE_E10value_typeEPNSK_ISF_E10value_typeEPSG_NS1_7vsmem_tEENKUlT_SE_SF_SG_E_clIS8_S8_S9_S9_EESD_ST_SE_SF_SG_EUlST_E1_NS1_11comp_targetILNS1_3genE2ELNS1_11target_archE906ELNS1_3gpuE6ELNS1_3repE0EEENS1_36merge_oddeven_config_static_selectorELNS0_4arch9wavefront6targetE0EEEvSF_,"axG",@progbits,_ZN7rocprim17ROCPRIM_400000_NS6detail17trampoline_kernelINS0_14default_configENS1_38merge_sort_block_merge_config_selectorIiNS0_10empty_typeEEEZZNS1_27merge_sort_block_merge_implIS3_PiPS5_jNS1_19radix_merge_compareILb0ELb0EiNS0_19identity_decomposerEEEEE10hipError_tT0_T1_T2_jT3_P12ihipStream_tbPNSt15iterator_traitsISE_E10value_typeEPNSK_ISF_E10value_typeEPSG_NS1_7vsmem_tEENKUlT_SE_SF_SG_E_clIS8_S8_S9_S9_EESD_ST_SE_SF_SG_EUlST_E1_NS1_11comp_targetILNS1_3genE2ELNS1_11target_archE906ELNS1_3gpuE6ELNS1_3repE0EEENS1_36merge_oddeven_config_static_selectorELNS0_4arch9wavefront6targetE0EEEvSF_,comdat
.Lfunc_end915:
	.size	_ZN7rocprim17ROCPRIM_400000_NS6detail17trampoline_kernelINS0_14default_configENS1_38merge_sort_block_merge_config_selectorIiNS0_10empty_typeEEEZZNS1_27merge_sort_block_merge_implIS3_PiPS5_jNS1_19radix_merge_compareILb0ELb0EiNS0_19identity_decomposerEEEEE10hipError_tT0_T1_T2_jT3_P12ihipStream_tbPNSt15iterator_traitsISE_E10value_typeEPNSK_ISF_E10value_typeEPSG_NS1_7vsmem_tEENKUlT_SE_SF_SG_E_clIS8_S8_S9_S9_EESD_ST_SE_SF_SG_EUlST_E1_NS1_11comp_targetILNS1_3genE2ELNS1_11target_archE906ELNS1_3gpuE6ELNS1_3repE0EEENS1_36merge_oddeven_config_static_selectorELNS0_4arch9wavefront6targetE0EEEvSF_, .Lfunc_end915-_ZN7rocprim17ROCPRIM_400000_NS6detail17trampoline_kernelINS0_14default_configENS1_38merge_sort_block_merge_config_selectorIiNS0_10empty_typeEEEZZNS1_27merge_sort_block_merge_implIS3_PiPS5_jNS1_19radix_merge_compareILb0ELb0EiNS0_19identity_decomposerEEEEE10hipError_tT0_T1_T2_jT3_P12ihipStream_tbPNSt15iterator_traitsISE_E10value_typeEPNSK_ISF_E10value_typeEPSG_NS1_7vsmem_tEENKUlT_SE_SF_SG_E_clIS8_S8_S9_S9_EESD_ST_SE_SF_SG_EUlST_E1_NS1_11comp_targetILNS1_3genE2ELNS1_11target_archE906ELNS1_3gpuE6ELNS1_3repE0EEENS1_36merge_oddeven_config_static_selectorELNS0_4arch9wavefront6targetE0EEEvSF_
                                        ; -- End function
	.set _ZN7rocprim17ROCPRIM_400000_NS6detail17trampoline_kernelINS0_14default_configENS1_38merge_sort_block_merge_config_selectorIiNS0_10empty_typeEEEZZNS1_27merge_sort_block_merge_implIS3_PiPS5_jNS1_19radix_merge_compareILb0ELb0EiNS0_19identity_decomposerEEEEE10hipError_tT0_T1_T2_jT3_P12ihipStream_tbPNSt15iterator_traitsISE_E10value_typeEPNSK_ISF_E10value_typeEPSG_NS1_7vsmem_tEENKUlT_SE_SF_SG_E_clIS8_S8_S9_S9_EESD_ST_SE_SF_SG_EUlST_E1_NS1_11comp_targetILNS1_3genE2ELNS1_11target_archE906ELNS1_3gpuE6ELNS1_3repE0EEENS1_36merge_oddeven_config_static_selectorELNS0_4arch9wavefront6targetE0EEEvSF_.num_vgpr, 0
	.set _ZN7rocprim17ROCPRIM_400000_NS6detail17trampoline_kernelINS0_14default_configENS1_38merge_sort_block_merge_config_selectorIiNS0_10empty_typeEEEZZNS1_27merge_sort_block_merge_implIS3_PiPS5_jNS1_19radix_merge_compareILb0ELb0EiNS0_19identity_decomposerEEEEE10hipError_tT0_T1_T2_jT3_P12ihipStream_tbPNSt15iterator_traitsISE_E10value_typeEPNSK_ISF_E10value_typeEPSG_NS1_7vsmem_tEENKUlT_SE_SF_SG_E_clIS8_S8_S9_S9_EESD_ST_SE_SF_SG_EUlST_E1_NS1_11comp_targetILNS1_3genE2ELNS1_11target_archE906ELNS1_3gpuE6ELNS1_3repE0EEENS1_36merge_oddeven_config_static_selectorELNS0_4arch9wavefront6targetE0EEEvSF_.num_agpr, 0
	.set _ZN7rocprim17ROCPRIM_400000_NS6detail17trampoline_kernelINS0_14default_configENS1_38merge_sort_block_merge_config_selectorIiNS0_10empty_typeEEEZZNS1_27merge_sort_block_merge_implIS3_PiPS5_jNS1_19radix_merge_compareILb0ELb0EiNS0_19identity_decomposerEEEEE10hipError_tT0_T1_T2_jT3_P12ihipStream_tbPNSt15iterator_traitsISE_E10value_typeEPNSK_ISF_E10value_typeEPSG_NS1_7vsmem_tEENKUlT_SE_SF_SG_E_clIS8_S8_S9_S9_EESD_ST_SE_SF_SG_EUlST_E1_NS1_11comp_targetILNS1_3genE2ELNS1_11target_archE906ELNS1_3gpuE6ELNS1_3repE0EEENS1_36merge_oddeven_config_static_selectorELNS0_4arch9wavefront6targetE0EEEvSF_.numbered_sgpr, 0
	.set _ZN7rocprim17ROCPRIM_400000_NS6detail17trampoline_kernelINS0_14default_configENS1_38merge_sort_block_merge_config_selectorIiNS0_10empty_typeEEEZZNS1_27merge_sort_block_merge_implIS3_PiPS5_jNS1_19radix_merge_compareILb0ELb0EiNS0_19identity_decomposerEEEEE10hipError_tT0_T1_T2_jT3_P12ihipStream_tbPNSt15iterator_traitsISE_E10value_typeEPNSK_ISF_E10value_typeEPSG_NS1_7vsmem_tEENKUlT_SE_SF_SG_E_clIS8_S8_S9_S9_EESD_ST_SE_SF_SG_EUlST_E1_NS1_11comp_targetILNS1_3genE2ELNS1_11target_archE906ELNS1_3gpuE6ELNS1_3repE0EEENS1_36merge_oddeven_config_static_selectorELNS0_4arch9wavefront6targetE0EEEvSF_.num_named_barrier, 0
	.set _ZN7rocprim17ROCPRIM_400000_NS6detail17trampoline_kernelINS0_14default_configENS1_38merge_sort_block_merge_config_selectorIiNS0_10empty_typeEEEZZNS1_27merge_sort_block_merge_implIS3_PiPS5_jNS1_19radix_merge_compareILb0ELb0EiNS0_19identity_decomposerEEEEE10hipError_tT0_T1_T2_jT3_P12ihipStream_tbPNSt15iterator_traitsISE_E10value_typeEPNSK_ISF_E10value_typeEPSG_NS1_7vsmem_tEENKUlT_SE_SF_SG_E_clIS8_S8_S9_S9_EESD_ST_SE_SF_SG_EUlST_E1_NS1_11comp_targetILNS1_3genE2ELNS1_11target_archE906ELNS1_3gpuE6ELNS1_3repE0EEENS1_36merge_oddeven_config_static_selectorELNS0_4arch9wavefront6targetE0EEEvSF_.private_seg_size, 0
	.set _ZN7rocprim17ROCPRIM_400000_NS6detail17trampoline_kernelINS0_14default_configENS1_38merge_sort_block_merge_config_selectorIiNS0_10empty_typeEEEZZNS1_27merge_sort_block_merge_implIS3_PiPS5_jNS1_19radix_merge_compareILb0ELb0EiNS0_19identity_decomposerEEEEE10hipError_tT0_T1_T2_jT3_P12ihipStream_tbPNSt15iterator_traitsISE_E10value_typeEPNSK_ISF_E10value_typeEPSG_NS1_7vsmem_tEENKUlT_SE_SF_SG_E_clIS8_S8_S9_S9_EESD_ST_SE_SF_SG_EUlST_E1_NS1_11comp_targetILNS1_3genE2ELNS1_11target_archE906ELNS1_3gpuE6ELNS1_3repE0EEENS1_36merge_oddeven_config_static_selectorELNS0_4arch9wavefront6targetE0EEEvSF_.uses_vcc, 0
	.set _ZN7rocprim17ROCPRIM_400000_NS6detail17trampoline_kernelINS0_14default_configENS1_38merge_sort_block_merge_config_selectorIiNS0_10empty_typeEEEZZNS1_27merge_sort_block_merge_implIS3_PiPS5_jNS1_19radix_merge_compareILb0ELb0EiNS0_19identity_decomposerEEEEE10hipError_tT0_T1_T2_jT3_P12ihipStream_tbPNSt15iterator_traitsISE_E10value_typeEPNSK_ISF_E10value_typeEPSG_NS1_7vsmem_tEENKUlT_SE_SF_SG_E_clIS8_S8_S9_S9_EESD_ST_SE_SF_SG_EUlST_E1_NS1_11comp_targetILNS1_3genE2ELNS1_11target_archE906ELNS1_3gpuE6ELNS1_3repE0EEENS1_36merge_oddeven_config_static_selectorELNS0_4arch9wavefront6targetE0EEEvSF_.uses_flat_scratch, 0
	.set _ZN7rocprim17ROCPRIM_400000_NS6detail17trampoline_kernelINS0_14default_configENS1_38merge_sort_block_merge_config_selectorIiNS0_10empty_typeEEEZZNS1_27merge_sort_block_merge_implIS3_PiPS5_jNS1_19radix_merge_compareILb0ELb0EiNS0_19identity_decomposerEEEEE10hipError_tT0_T1_T2_jT3_P12ihipStream_tbPNSt15iterator_traitsISE_E10value_typeEPNSK_ISF_E10value_typeEPSG_NS1_7vsmem_tEENKUlT_SE_SF_SG_E_clIS8_S8_S9_S9_EESD_ST_SE_SF_SG_EUlST_E1_NS1_11comp_targetILNS1_3genE2ELNS1_11target_archE906ELNS1_3gpuE6ELNS1_3repE0EEENS1_36merge_oddeven_config_static_selectorELNS0_4arch9wavefront6targetE0EEEvSF_.has_dyn_sized_stack, 0
	.set _ZN7rocprim17ROCPRIM_400000_NS6detail17trampoline_kernelINS0_14default_configENS1_38merge_sort_block_merge_config_selectorIiNS0_10empty_typeEEEZZNS1_27merge_sort_block_merge_implIS3_PiPS5_jNS1_19radix_merge_compareILb0ELb0EiNS0_19identity_decomposerEEEEE10hipError_tT0_T1_T2_jT3_P12ihipStream_tbPNSt15iterator_traitsISE_E10value_typeEPNSK_ISF_E10value_typeEPSG_NS1_7vsmem_tEENKUlT_SE_SF_SG_E_clIS8_S8_S9_S9_EESD_ST_SE_SF_SG_EUlST_E1_NS1_11comp_targetILNS1_3genE2ELNS1_11target_archE906ELNS1_3gpuE6ELNS1_3repE0EEENS1_36merge_oddeven_config_static_selectorELNS0_4arch9wavefront6targetE0EEEvSF_.has_recursion, 0
	.set _ZN7rocprim17ROCPRIM_400000_NS6detail17trampoline_kernelINS0_14default_configENS1_38merge_sort_block_merge_config_selectorIiNS0_10empty_typeEEEZZNS1_27merge_sort_block_merge_implIS3_PiPS5_jNS1_19radix_merge_compareILb0ELb0EiNS0_19identity_decomposerEEEEE10hipError_tT0_T1_T2_jT3_P12ihipStream_tbPNSt15iterator_traitsISE_E10value_typeEPNSK_ISF_E10value_typeEPSG_NS1_7vsmem_tEENKUlT_SE_SF_SG_E_clIS8_S8_S9_S9_EESD_ST_SE_SF_SG_EUlST_E1_NS1_11comp_targetILNS1_3genE2ELNS1_11target_archE906ELNS1_3gpuE6ELNS1_3repE0EEENS1_36merge_oddeven_config_static_selectorELNS0_4arch9wavefront6targetE0EEEvSF_.has_indirect_call, 0
	.section	.AMDGPU.csdata,"",@progbits
; Kernel info:
; codeLenInByte = 0
; TotalNumSgprs: 0
; NumVgprs: 0
; ScratchSize: 0
; MemoryBound: 0
; FloatMode: 240
; IeeeMode: 1
; LDSByteSize: 0 bytes/workgroup (compile time only)
; SGPRBlocks: 0
; VGPRBlocks: 0
; NumSGPRsForWavesPerEU: 1
; NumVGPRsForWavesPerEU: 1
; NamedBarCnt: 0
; Occupancy: 16
; WaveLimiterHint : 0
; COMPUTE_PGM_RSRC2:SCRATCH_EN: 0
; COMPUTE_PGM_RSRC2:USER_SGPR: 2
; COMPUTE_PGM_RSRC2:TRAP_HANDLER: 0
; COMPUTE_PGM_RSRC2:TGID_X_EN: 1
; COMPUTE_PGM_RSRC2:TGID_Y_EN: 0
; COMPUTE_PGM_RSRC2:TGID_Z_EN: 0
; COMPUTE_PGM_RSRC2:TIDIG_COMP_CNT: 0
	.section	.text._ZN7rocprim17ROCPRIM_400000_NS6detail17trampoline_kernelINS0_14default_configENS1_38merge_sort_block_merge_config_selectorIiNS0_10empty_typeEEEZZNS1_27merge_sort_block_merge_implIS3_PiPS5_jNS1_19radix_merge_compareILb0ELb0EiNS0_19identity_decomposerEEEEE10hipError_tT0_T1_T2_jT3_P12ihipStream_tbPNSt15iterator_traitsISE_E10value_typeEPNSK_ISF_E10value_typeEPSG_NS1_7vsmem_tEENKUlT_SE_SF_SG_E_clIS8_S8_S9_S9_EESD_ST_SE_SF_SG_EUlST_E1_NS1_11comp_targetILNS1_3genE9ELNS1_11target_archE1100ELNS1_3gpuE3ELNS1_3repE0EEENS1_36merge_oddeven_config_static_selectorELNS0_4arch9wavefront6targetE0EEEvSF_,"axG",@progbits,_ZN7rocprim17ROCPRIM_400000_NS6detail17trampoline_kernelINS0_14default_configENS1_38merge_sort_block_merge_config_selectorIiNS0_10empty_typeEEEZZNS1_27merge_sort_block_merge_implIS3_PiPS5_jNS1_19radix_merge_compareILb0ELb0EiNS0_19identity_decomposerEEEEE10hipError_tT0_T1_T2_jT3_P12ihipStream_tbPNSt15iterator_traitsISE_E10value_typeEPNSK_ISF_E10value_typeEPSG_NS1_7vsmem_tEENKUlT_SE_SF_SG_E_clIS8_S8_S9_S9_EESD_ST_SE_SF_SG_EUlST_E1_NS1_11comp_targetILNS1_3genE9ELNS1_11target_archE1100ELNS1_3gpuE3ELNS1_3repE0EEENS1_36merge_oddeven_config_static_selectorELNS0_4arch9wavefront6targetE0EEEvSF_,comdat
	.protected	_ZN7rocprim17ROCPRIM_400000_NS6detail17trampoline_kernelINS0_14default_configENS1_38merge_sort_block_merge_config_selectorIiNS0_10empty_typeEEEZZNS1_27merge_sort_block_merge_implIS3_PiPS5_jNS1_19radix_merge_compareILb0ELb0EiNS0_19identity_decomposerEEEEE10hipError_tT0_T1_T2_jT3_P12ihipStream_tbPNSt15iterator_traitsISE_E10value_typeEPNSK_ISF_E10value_typeEPSG_NS1_7vsmem_tEENKUlT_SE_SF_SG_E_clIS8_S8_S9_S9_EESD_ST_SE_SF_SG_EUlST_E1_NS1_11comp_targetILNS1_3genE9ELNS1_11target_archE1100ELNS1_3gpuE3ELNS1_3repE0EEENS1_36merge_oddeven_config_static_selectorELNS0_4arch9wavefront6targetE0EEEvSF_ ; -- Begin function _ZN7rocprim17ROCPRIM_400000_NS6detail17trampoline_kernelINS0_14default_configENS1_38merge_sort_block_merge_config_selectorIiNS0_10empty_typeEEEZZNS1_27merge_sort_block_merge_implIS3_PiPS5_jNS1_19radix_merge_compareILb0ELb0EiNS0_19identity_decomposerEEEEE10hipError_tT0_T1_T2_jT3_P12ihipStream_tbPNSt15iterator_traitsISE_E10value_typeEPNSK_ISF_E10value_typeEPSG_NS1_7vsmem_tEENKUlT_SE_SF_SG_E_clIS8_S8_S9_S9_EESD_ST_SE_SF_SG_EUlST_E1_NS1_11comp_targetILNS1_3genE9ELNS1_11target_archE1100ELNS1_3gpuE3ELNS1_3repE0EEENS1_36merge_oddeven_config_static_selectorELNS0_4arch9wavefront6targetE0EEEvSF_
	.globl	_ZN7rocprim17ROCPRIM_400000_NS6detail17trampoline_kernelINS0_14default_configENS1_38merge_sort_block_merge_config_selectorIiNS0_10empty_typeEEEZZNS1_27merge_sort_block_merge_implIS3_PiPS5_jNS1_19radix_merge_compareILb0ELb0EiNS0_19identity_decomposerEEEEE10hipError_tT0_T1_T2_jT3_P12ihipStream_tbPNSt15iterator_traitsISE_E10value_typeEPNSK_ISF_E10value_typeEPSG_NS1_7vsmem_tEENKUlT_SE_SF_SG_E_clIS8_S8_S9_S9_EESD_ST_SE_SF_SG_EUlST_E1_NS1_11comp_targetILNS1_3genE9ELNS1_11target_archE1100ELNS1_3gpuE3ELNS1_3repE0EEENS1_36merge_oddeven_config_static_selectorELNS0_4arch9wavefront6targetE0EEEvSF_
	.p2align	8
	.type	_ZN7rocprim17ROCPRIM_400000_NS6detail17trampoline_kernelINS0_14default_configENS1_38merge_sort_block_merge_config_selectorIiNS0_10empty_typeEEEZZNS1_27merge_sort_block_merge_implIS3_PiPS5_jNS1_19radix_merge_compareILb0ELb0EiNS0_19identity_decomposerEEEEE10hipError_tT0_T1_T2_jT3_P12ihipStream_tbPNSt15iterator_traitsISE_E10value_typeEPNSK_ISF_E10value_typeEPSG_NS1_7vsmem_tEENKUlT_SE_SF_SG_E_clIS8_S8_S9_S9_EESD_ST_SE_SF_SG_EUlST_E1_NS1_11comp_targetILNS1_3genE9ELNS1_11target_archE1100ELNS1_3gpuE3ELNS1_3repE0EEENS1_36merge_oddeven_config_static_selectorELNS0_4arch9wavefront6targetE0EEEvSF_,@function
_ZN7rocprim17ROCPRIM_400000_NS6detail17trampoline_kernelINS0_14default_configENS1_38merge_sort_block_merge_config_selectorIiNS0_10empty_typeEEEZZNS1_27merge_sort_block_merge_implIS3_PiPS5_jNS1_19radix_merge_compareILb0ELb0EiNS0_19identity_decomposerEEEEE10hipError_tT0_T1_T2_jT3_P12ihipStream_tbPNSt15iterator_traitsISE_E10value_typeEPNSK_ISF_E10value_typeEPSG_NS1_7vsmem_tEENKUlT_SE_SF_SG_E_clIS8_S8_S9_S9_EESD_ST_SE_SF_SG_EUlST_E1_NS1_11comp_targetILNS1_3genE9ELNS1_11target_archE1100ELNS1_3gpuE3ELNS1_3repE0EEENS1_36merge_oddeven_config_static_selectorELNS0_4arch9wavefront6targetE0EEEvSF_: ; @_ZN7rocprim17ROCPRIM_400000_NS6detail17trampoline_kernelINS0_14default_configENS1_38merge_sort_block_merge_config_selectorIiNS0_10empty_typeEEEZZNS1_27merge_sort_block_merge_implIS3_PiPS5_jNS1_19radix_merge_compareILb0ELb0EiNS0_19identity_decomposerEEEEE10hipError_tT0_T1_T2_jT3_P12ihipStream_tbPNSt15iterator_traitsISE_E10value_typeEPNSK_ISF_E10value_typeEPSG_NS1_7vsmem_tEENKUlT_SE_SF_SG_E_clIS8_S8_S9_S9_EESD_ST_SE_SF_SG_EUlST_E1_NS1_11comp_targetILNS1_3genE9ELNS1_11target_archE1100ELNS1_3gpuE3ELNS1_3repE0EEENS1_36merge_oddeven_config_static_selectorELNS0_4arch9wavefront6targetE0EEEvSF_
; %bb.0:
	.section	.rodata,"a",@progbits
	.p2align	6, 0x0
	.amdhsa_kernel _ZN7rocprim17ROCPRIM_400000_NS6detail17trampoline_kernelINS0_14default_configENS1_38merge_sort_block_merge_config_selectorIiNS0_10empty_typeEEEZZNS1_27merge_sort_block_merge_implIS3_PiPS5_jNS1_19radix_merge_compareILb0ELb0EiNS0_19identity_decomposerEEEEE10hipError_tT0_T1_T2_jT3_P12ihipStream_tbPNSt15iterator_traitsISE_E10value_typeEPNSK_ISF_E10value_typeEPSG_NS1_7vsmem_tEENKUlT_SE_SF_SG_E_clIS8_S8_S9_S9_EESD_ST_SE_SF_SG_EUlST_E1_NS1_11comp_targetILNS1_3genE9ELNS1_11target_archE1100ELNS1_3gpuE3ELNS1_3repE0EEENS1_36merge_oddeven_config_static_selectorELNS0_4arch9wavefront6targetE0EEEvSF_
		.amdhsa_group_segment_fixed_size 0
		.amdhsa_private_segment_fixed_size 0
		.amdhsa_kernarg_size 48
		.amdhsa_user_sgpr_count 2
		.amdhsa_user_sgpr_dispatch_ptr 0
		.amdhsa_user_sgpr_queue_ptr 0
		.amdhsa_user_sgpr_kernarg_segment_ptr 1
		.amdhsa_user_sgpr_dispatch_id 0
		.amdhsa_user_sgpr_kernarg_preload_length 0
		.amdhsa_user_sgpr_kernarg_preload_offset 0
		.amdhsa_user_sgpr_private_segment_size 0
		.amdhsa_wavefront_size32 1
		.amdhsa_uses_dynamic_stack 0
		.amdhsa_enable_private_segment 0
		.amdhsa_system_sgpr_workgroup_id_x 1
		.amdhsa_system_sgpr_workgroup_id_y 0
		.amdhsa_system_sgpr_workgroup_id_z 0
		.amdhsa_system_sgpr_workgroup_info 0
		.amdhsa_system_vgpr_workitem_id 0
		.amdhsa_next_free_vgpr 1
		.amdhsa_next_free_sgpr 1
		.amdhsa_named_barrier_count 0
		.amdhsa_reserve_vcc 0
		.amdhsa_float_round_mode_32 0
		.amdhsa_float_round_mode_16_64 0
		.amdhsa_float_denorm_mode_32 3
		.amdhsa_float_denorm_mode_16_64 3
		.amdhsa_fp16_overflow 0
		.amdhsa_memory_ordered 1
		.amdhsa_forward_progress 1
		.amdhsa_inst_pref_size 0
		.amdhsa_round_robin_scheduling 0
		.amdhsa_exception_fp_ieee_invalid_op 0
		.amdhsa_exception_fp_denorm_src 0
		.amdhsa_exception_fp_ieee_div_zero 0
		.amdhsa_exception_fp_ieee_overflow 0
		.amdhsa_exception_fp_ieee_underflow 0
		.amdhsa_exception_fp_ieee_inexact 0
		.amdhsa_exception_int_div_zero 0
	.end_amdhsa_kernel
	.section	.text._ZN7rocprim17ROCPRIM_400000_NS6detail17trampoline_kernelINS0_14default_configENS1_38merge_sort_block_merge_config_selectorIiNS0_10empty_typeEEEZZNS1_27merge_sort_block_merge_implIS3_PiPS5_jNS1_19radix_merge_compareILb0ELb0EiNS0_19identity_decomposerEEEEE10hipError_tT0_T1_T2_jT3_P12ihipStream_tbPNSt15iterator_traitsISE_E10value_typeEPNSK_ISF_E10value_typeEPSG_NS1_7vsmem_tEENKUlT_SE_SF_SG_E_clIS8_S8_S9_S9_EESD_ST_SE_SF_SG_EUlST_E1_NS1_11comp_targetILNS1_3genE9ELNS1_11target_archE1100ELNS1_3gpuE3ELNS1_3repE0EEENS1_36merge_oddeven_config_static_selectorELNS0_4arch9wavefront6targetE0EEEvSF_,"axG",@progbits,_ZN7rocprim17ROCPRIM_400000_NS6detail17trampoline_kernelINS0_14default_configENS1_38merge_sort_block_merge_config_selectorIiNS0_10empty_typeEEEZZNS1_27merge_sort_block_merge_implIS3_PiPS5_jNS1_19radix_merge_compareILb0ELb0EiNS0_19identity_decomposerEEEEE10hipError_tT0_T1_T2_jT3_P12ihipStream_tbPNSt15iterator_traitsISE_E10value_typeEPNSK_ISF_E10value_typeEPSG_NS1_7vsmem_tEENKUlT_SE_SF_SG_E_clIS8_S8_S9_S9_EESD_ST_SE_SF_SG_EUlST_E1_NS1_11comp_targetILNS1_3genE9ELNS1_11target_archE1100ELNS1_3gpuE3ELNS1_3repE0EEENS1_36merge_oddeven_config_static_selectorELNS0_4arch9wavefront6targetE0EEEvSF_,comdat
.Lfunc_end916:
	.size	_ZN7rocprim17ROCPRIM_400000_NS6detail17trampoline_kernelINS0_14default_configENS1_38merge_sort_block_merge_config_selectorIiNS0_10empty_typeEEEZZNS1_27merge_sort_block_merge_implIS3_PiPS5_jNS1_19radix_merge_compareILb0ELb0EiNS0_19identity_decomposerEEEEE10hipError_tT0_T1_T2_jT3_P12ihipStream_tbPNSt15iterator_traitsISE_E10value_typeEPNSK_ISF_E10value_typeEPSG_NS1_7vsmem_tEENKUlT_SE_SF_SG_E_clIS8_S8_S9_S9_EESD_ST_SE_SF_SG_EUlST_E1_NS1_11comp_targetILNS1_3genE9ELNS1_11target_archE1100ELNS1_3gpuE3ELNS1_3repE0EEENS1_36merge_oddeven_config_static_selectorELNS0_4arch9wavefront6targetE0EEEvSF_, .Lfunc_end916-_ZN7rocprim17ROCPRIM_400000_NS6detail17trampoline_kernelINS0_14default_configENS1_38merge_sort_block_merge_config_selectorIiNS0_10empty_typeEEEZZNS1_27merge_sort_block_merge_implIS3_PiPS5_jNS1_19radix_merge_compareILb0ELb0EiNS0_19identity_decomposerEEEEE10hipError_tT0_T1_T2_jT3_P12ihipStream_tbPNSt15iterator_traitsISE_E10value_typeEPNSK_ISF_E10value_typeEPSG_NS1_7vsmem_tEENKUlT_SE_SF_SG_E_clIS8_S8_S9_S9_EESD_ST_SE_SF_SG_EUlST_E1_NS1_11comp_targetILNS1_3genE9ELNS1_11target_archE1100ELNS1_3gpuE3ELNS1_3repE0EEENS1_36merge_oddeven_config_static_selectorELNS0_4arch9wavefront6targetE0EEEvSF_
                                        ; -- End function
	.set _ZN7rocprim17ROCPRIM_400000_NS6detail17trampoline_kernelINS0_14default_configENS1_38merge_sort_block_merge_config_selectorIiNS0_10empty_typeEEEZZNS1_27merge_sort_block_merge_implIS3_PiPS5_jNS1_19radix_merge_compareILb0ELb0EiNS0_19identity_decomposerEEEEE10hipError_tT0_T1_T2_jT3_P12ihipStream_tbPNSt15iterator_traitsISE_E10value_typeEPNSK_ISF_E10value_typeEPSG_NS1_7vsmem_tEENKUlT_SE_SF_SG_E_clIS8_S8_S9_S9_EESD_ST_SE_SF_SG_EUlST_E1_NS1_11comp_targetILNS1_3genE9ELNS1_11target_archE1100ELNS1_3gpuE3ELNS1_3repE0EEENS1_36merge_oddeven_config_static_selectorELNS0_4arch9wavefront6targetE0EEEvSF_.num_vgpr, 0
	.set _ZN7rocprim17ROCPRIM_400000_NS6detail17trampoline_kernelINS0_14default_configENS1_38merge_sort_block_merge_config_selectorIiNS0_10empty_typeEEEZZNS1_27merge_sort_block_merge_implIS3_PiPS5_jNS1_19radix_merge_compareILb0ELb0EiNS0_19identity_decomposerEEEEE10hipError_tT0_T1_T2_jT3_P12ihipStream_tbPNSt15iterator_traitsISE_E10value_typeEPNSK_ISF_E10value_typeEPSG_NS1_7vsmem_tEENKUlT_SE_SF_SG_E_clIS8_S8_S9_S9_EESD_ST_SE_SF_SG_EUlST_E1_NS1_11comp_targetILNS1_3genE9ELNS1_11target_archE1100ELNS1_3gpuE3ELNS1_3repE0EEENS1_36merge_oddeven_config_static_selectorELNS0_4arch9wavefront6targetE0EEEvSF_.num_agpr, 0
	.set _ZN7rocprim17ROCPRIM_400000_NS6detail17trampoline_kernelINS0_14default_configENS1_38merge_sort_block_merge_config_selectorIiNS0_10empty_typeEEEZZNS1_27merge_sort_block_merge_implIS3_PiPS5_jNS1_19radix_merge_compareILb0ELb0EiNS0_19identity_decomposerEEEEE10hipError_tT0_T1_T2_jT3_P12ihipStream_tbPNSt15iterator_traitsISE_E10value_typeEPNSK_ISF_E10value_typeEPSG_NS1_7vsmem_tEENKUlT_SE_SF_SG_E_clIS8_S8_S9_S9_EESD_ST_SE_SF_SG_EUlST_E1_NS1_11comp_targetILNS1_3genE9ELNS1_11target_archE1100ELNS1_3gpuE3ELNS1_3repE0EEENS1_36merge_oddeven_config_static_selectorELNS0_4arch9wavefront6targetE0EEEvSF_.numbered_sgpr, 0
	.set _ZN7rocprim17ROCPRIM_400000_NS6detail17trampoline_kernelINS0_14default_configENS1_38merge_sort_block_merge_config_selectorIiNS0_10empty_typeEEEZZNS1_27merge_sort_block_merge_implIS3_PiPS5_jNS1_19radix_merge_compareILb0ELb0EiNS0_19identity_decomposerEEEEE10hipError_tT0_T1_T2_jT3_P12ihipStream_tbPNSt15iterator_traitsISE_E10value_typeEPNSK_ISF_E10value_typeEPSG_NS1_7vsmem_tEENKUlT_SE_SF_SG_E_clIS8_S8_S9_S9_EESD_ST_SE_SF_SG_EUlST_E1_NS1_11comp_targetILNS1_3genE9ELNS1_11target_archE1100ELNS1_3gpuE3ELNS1_3repE0EEENS1_36merge_oddeven_config_static_selectorELNS0_4arch9wavefront6targetE0EEEvSF_.num_named_barrier, 0
	.set _ZN7rocprim17ROCPRIM_400000_NS6detail17trampoline_kernelINS0_14default_configENS1_38merge_sort_block_merge_config_selectorIiNS0_10empty_typeEEEZZNS1_27merge_sort_block_merge_implIS3_PiPS5_jNS1_19radix_merge_compareILb0ELb0EiNS0_19identity_decomposerEEEEE10hipError_tT0_T1_T2_jT3_P12ihipStream_tbPNSt15iterator_traitsISE_E10value_typeEPNSK_ISF_E10value_typeEPSG_NS1_7vsmem_tEENKUlT_SE_SF_SG_E_clIS8_S8_S9_S9_EESD_ST_SE_SF_SG_EUlST_E1_NS1_11comp_targetILNS1_3genE9ELNS1_11target_archE1100ELNS1_3gpuE3ELNS1_3repE0EEENS1_36merge_oddeven_config_static_selectorELNS0_4arch9wavefront6targetE0EEEvSF_.private_seg_size, 0
	.set _ZN7rocprim17ROCPRIM_400000_NS6detail17trampoline_kernelINS0_14default_configENS1_38merge_sort_block_merge_config_selectorIiNS0_10empty_typeEEEZZNS1_27merge_sort_block_merge_implIS3_PiPS5_jNS1_19radix_merge_compareILb0ELb0EiNS0_19identity_decomposerEEEEE10hipError_tT0_T1_T2_jT3_P12ihipStream_tbPNSt15iterator_traitsISE_E10value_typeEPNSK_ISF_E10value_typeEPSG_NS1_7vsmem_tEENKUlT_SE_SF_SG_E_clIS8_S8_S9_S9_EESD_ST_SE_SF_SG_EUlST_E1_NS1_11comp_targetILNS1_3genE9ELNS1_11target_archE1100ELNS1_3gpuE3ELNS1_3repE0EEENS1_36merge_oddeven_config_static_selectorELNS0_4arch9wavefront6targetE0EEEvSF_.uses_vcc, 0
	.set _ZN7rocprim17ROCPRIM_400000_NS6detail17trampoline_kernelINS0_14default_configENS1_38merge_sort_block_merge_config_selectorIiNS0_10empty_typeEEEZZNS1_27merge_sort_block_merge_implIS3_PiPS5_jNS1_19radix_merge_compareILb0ELb0EiNS0_19identity_decomposerEEEEE10hipError_tT0_T1_T2_jT3_P12ihipStream_tbPNSt15iterator_traitsISE_E10value_typeEPNSK_ISF_E10value_typeEPSG_NS1_7vsmem_tEENKUlT_SE_SF_SG_E_clIS8_S8_S9_S9_EESD_ST_SE_SF_SG_EUlST_E1_NS1_11comp_targetILNS1_3genE9ELNS1_11target_archE1100ELNS1_3gpuE3ELNS1_3repE0EEENS1_36merge_oddeven_config_static_selectorELNS0_4arch9wavefront6targetE0EEEvSF_.uses_flat_scratch, 0
	.set _ZN7rocprim17ROCPRIM_400000_NS6detail17trampoline_kernelINS0_14default_configENS1_38merge_sort_block_merge_config_selectorIiNS0_10empty_typeEEEZZNS1_27merge_sort_block_merge_implIS3_PiPS5_jNS1_19radix_merge_compareILb0ELb0EiNS0_19identity_decomposerEEEEE10hipError_tT0_T1_T2_jT3_P12ihipStream_tbPNSt15iterator_traitsISE_E10value_typeEPNSK_ISF_E10value_typeEPSG_NS1_7vsmem_tEENKUlT_SE_SF_SG_E_clIS8_S8_S9_S9_EESD_ST_SE_SF_SG_EUlST_E1_NS1_11comp_targetILNS1_3genE9ELNS1_11target_archE1100ELNS1_3gpuE3ELNS1_3repE0EEENS1_36merge_oddeven_config_static_selectorELNS0_4arch9wavefront6targetE0EEEvSF_.has_dyn_sized_stack, 0
	.set _ZN7rocprim17ROCPRIM_400000_NS6detail17trampoline_kernelINS0_14default_configENS1_38merge_sort_block_merge_config_selectorIiNS0_10empty_typeEEEZZNS1_27merge_sort_block_merge_implIS3_PiPS5_jNS1_19radix_merge_compareILb0ELb0EiNS0_19identity_decomposerEEEEE10hipError_tT0_T1_T2_jT3_P12ihipStream_tbPNSt15iterator_traitsISE_E10value_typeEPNSK_ISF_E10value_typeEPSG_NS1_7vsmem_tEENKUlT_SE_SF_SG_E_clIS8_S8_S9_S9_EESD_ST_SE_SF_SG_EUlST_E1_NS1_11comp_targetILNS1_3genE9ELNS1_11target_archE1100ELNS1_3gpuE3ELNS1_3repE0EEENS1_36merge_oddeven_config_static_selectorELNS0_4arch9wavefront6targetE0EEEvSF_.has_recursion, 0
	.set _ZN7rocprim17ROCPRIM_400000_NS6detail17trampoline_kernelINS0_14default_configENS1_38merge_sort_block_merge_config_selectorIiNS0_10empty_typeEEEZZNS1_27merge_sort_block_merge_implIS3_PiPS5_jNS1_19radix_merge_compareILb0ELb0EiNS0_19identity_decomposerEEEEE10hipError_tT0_T1_T2_jT3_P12ihipStream_tbPNSt15iterator_traitsISE_E10value_typeEPNSK_ISF_E10value_typeEPSG_NS1_7vsmem_tEENKUlT_SE_SF_SG_E_clIS8_S8_S9_S9_EESD_ST_SE_SF_SG_EUlST_E1_NS1_11comp_targetILNS1_3genE9ELNS1_11target_archE1100ELNS1_3gpuE3ELNS1_3repE0EEENS1_36merge_oddeven_config_static_selectorELNS0_4arch9wavefront6targetE0EEEvSF_.has_indirect_call, 0
	.section	.AMDGPU.csdata,"",@progbits
; Kernel info:
; codeLenInByte = 0
; TotalNumSgprs: 0
; NumVgprs: 0
; ScratchSize: 0
; MemoryBound: 0
; FloatMode: 240
; IeeeMode: 1
; LDSByteSize: 0 bytes/workgroup (compile time only)
; SGPRBlocks: 0
; VGPRBlocks: 0
; NumSGPRsForWavesPerEU: 1
; NumVGPRsForWavesPerEU: 1
; NamedBarCnt: 0
; Occupancy: 16
; WaveLimiterHint : 0
; COMPUTE_PGM_RSRC2:SCRATCH_EN: 0
; COMPUTE_PGM_RSRC2:USER_SGPR: 2
; COMPUTE_PGM_RSRC2:TRAP_HANDLER: 0
; COMPUTE_PGM_RSRC2:TGID_X_EN: 1
; COMPUTE_PGM_RSRC2:TGID_Y_EN: 0
; COMPUTE_PGM_RSRC2:TGID_Z_EN: 0
; COMPUTE_PGM_RSRC2:TIDIG_COMP_CNT: 0
	.section	.text._ZN7rocprim17ROCPRIM_400000_NS6detail17trampoline_kernelINS0_14default_configENS1_38merge_sort_block_merge_config_selectorIiNS0_10empty_typeEEEZZNS1_27merge_sort_block_merge_implIS3_PiPS5_jNS1_19radix_merge_compareILb0ELb0EiNS0_19identity_decomposerEEEEE10hipError_tT0_T1_T2_jT3_P12ihipStream_tbPNSt15iterator_traitsISE_E10value_typeEPNSK_ISF_E10value_typeEPSG_NS1_7vsmem_tEENKUlT_SE_SF_SG_E_clIS8_S8_S9_S9_EESD_ST_SE_SF_SG_EUlST_E1_NS1_11comp_targetILNS1_3genE8ELNS1_11target_archE1030ELNS1_3gpuE2ELNS1_3repE0EEENS1_36merge_oddeven_config_static_selectorELNS0_4arch9wavefront6targetE0EEEvSF_,"axG",@progbits,_ZN7rocprim17ROCPRIM_400000_NS6detail17trampoline_kernelINS0_14default_configENS1_38merge_sort_block_merge_config_selectorIiNS0_10empty_typeEEEZZNS1_27merge_sort_block_merge_implIS3_PiPS5_jNS1_19radix_merge_compareILb0ELb0EiNS0_19identity_decomposerEEEEE10hipError_tT0_T1_T2_jT3_P12ihipStream_tbPNSt15iterator_traitsISE_E10value_typeEPNSK_ISF_E10value_typeEPSG_NS1_7vsmem_tEENKUlT_SE_SF_SG_E_clIS8_S8_S9_S9_EESD_ST_SE_SF_SG_EUlST_E1_NS1_11comp_targetILNS1_3genE8ELNS1_11target_archE1030ELNS1_3gpuE2ELNS1_3repE0EEENS1_36merge_oddeven_config_static_selectorELNS0_4arch9wavefront6targetE0EEEvSF_,comdat
	.protected	_ZN7rocprim17ROCPRIM_400000_NS6detail17trampoline_kernelINS0_14default_configENS1_38merge_sort_block_merge_config_selectorIiNS0_10empty_typeEEEZZNS1_27merge_sort_block_merge_implIS3_PiPS5_jNS1_19radix_merge_compareILb0ELb0EiNS0_19identity_decomposerEEEEE10hipError_tT0_T1_T2_jT3_P12ihipStream_tbPNSt15iterator_traitsISE_E10value_typeEPNSK_ISF_E10value_typeEPSG_NS1_7vsmem_tEENKUlT_SE_SF_SG_E_clIS8_S8_S9_S9_EESD_ST_SE_SF_SG_EUlST_E1_NS1_11comp_targetILNS1_3genE8ELNS1_11target_archE1030ELNS1_3gpuE2ELNS1_3repE0EEENS1_36merge_oddeven_config_static_selectorELNS0_4arch9wavefront6targetE0EEEvSF_ ; -- Begin function _ZN7rocprim17ROCPRIM_400000_NS6detail17trampoline_kernelINS0_14default_configENS1_38merge_sort_block_merge_config_selectorIiNS0_10empty_typeEEEZZNS1_27merge_sort_block_merge_implIS3_PiPS5_jNS1_19radix_merge_compareILb0ELb0EiNS0_19identity_decomposerEEEEE10hipError_tT0_T1_T2_jT3_P12ihipStream_tbPNSt15iterator_traitsISE_E10value_typeEPNSK_ISF_E10value_typeEPSG_NS1_7vsmem_tEENKUlT_SE_SF_SG_E_clIS8_S8_S9_S9_EESD_ST_SE_SF_SG_EUlST_E1_NS1_11comp_targetILNS1_3genE8ELNS1_11target_archE1030ELNS1_3gpuE2ELNS1_3repE0EEENS1_36merge_oddeven_config_static_selectorELNS0_4arch9wavefront6targetE0EEEvSF_
	.globl	_ZN7rocprim17ROCPRIM_400000_NS6detail17trampoline_kernelINS0_14default_configENS1_38merge_sort_block_merge_config_selectorIiNS0_10empty_typeEEEZZNS1_27merge_sort_block_merge_implIS3_PiPS5_jNS1_19radix_merge_compareILb0ELb0EiNS0_19identity_decomposerEEEEE10hipError_tT0_T1_T2_jT3_P12ihipStream_tbPNSt15iterator_traitsISE_E10value_typeEPNSK_ISF_E10value_typeEPSG_NS1_7vsmem_tEENKUlT_SE_SF_SG_E_clIS8_S8_S9_S9_EESD_ST_SE_SF_SG_EUlST_E1_NS1_11comp_targetILNS1_3genE8ELNS1_11target_archE1030ELNS1_3gpuE2ELNS1_3repE0EEENS1_36merge_oddeven_config_static_selectorELNS0_4arch9wavefront6targetE0EEEvSF_
	.p2align	8
	.type	_ZN7rocprim17ROCPRIM_400000_NS6detail17trampoline_kernelINS0_14default_configENS1_38merge_sort_block_merge_config_selectorIiNS0_10empty_typeEEEZZNS1_27merge_sort_block_merge_implIS3_PiPS5_jNS1_19radix_merge_compareILb0ELb0EiNS0_19identity_decomposerEEEEE10hipError_tT0_T1_T2_jT3_P12ihipStream_tbPNSt15iterator_traitsISE_E10value_typeEPNSK_ISF_E10value_typeEPSG_NS1_7vsmem_tEENKUlT_SE_SF_SG_E_clIS8_S8_S9_S9_EESD_ST_SE_SF_SG_EUlST_E1_NS1_11comp_targetILNS1_3genE8ELNS1_11target_archE1030ELNS1_3gpuE2ELNS1_3repE0EEENS1_36merge_oddeven_config_static_selectorELNS0_4arch9wavefront6targetE0EEEvSF_,@function
_ZN7rocprim17ROCPRIM_400000_NS6detail17trampoline_kernelINS0_14default_configENS1_38merge_sort_block_merge_config_selectorIiNS0_10empty_typeEEEZZNS1_27merge_sort_block_merge_implIS3_PiPS5_jNS1_19radix_merge_compareILb0ELb0EiNS0_19identity_decomposerEEEEE10hipError_tT0_T1_T2_jT3_P12ihipStream_tbPNSt15iterator_traitsISE_E10value_typeEPNSK_ISF_E10value_typeEPSG_NS1_7vsmem_tEENKUlT_SE_SF_SG_E_clIS8_S8_S9_S9_EESD_ST_SE_SF_SG_EUlST_E1_NS1_11comp_targetILNS1_3genE8ELNS1_11target_archE1030ELNS1_3gpuE2ELNS1_3repE0EEENS1_36merge_oddeven_config_static_selectorELNS0_4arch9wavefront6targetE0EEEvSF_: ; @_ZN7rocprim17ROCPRIM_400000_NS6detail17trampoline_kernelINS0_14default_configENS1_38merge_sort_block_merge_config_selectorIiNS0_10empty_typeEEEZZNS1_27merge_sort_block_merge_implIS3_PiPS5_jNS1_19radix_merge_compareILb0ELb0EiNS0_19identity_decomposerEEEEE10hipError_tT0_T1_T2_jT3_P12ihipStream_tbPNSt15iterator_traitsISE_E10value_typeEPNSK_ISF_E10value_typeEPSG_NS1_7vsmem_tEENKUlT_SE_SF_SG_E_clIS8_S8_S9_S9_EESD_ST_SE_SF_SG_EUlST_E1_NS1_11comp_targetILNS1_3genE8ELNS1_11target_archE1030ELNS1_3gpuE2ELNS1_3repE0EEENS1_36merge_oddeven_config_static_selectorELNS0_4arch9wavefront6targetE0EEEvSF_
; %bb.0:
	.section	.rodata,"a",@progbits
	.p2align	6, 0x0
	.amdhsa_kernel _ZN7rocprim17ROCPRIM_400000_NS6detail17trampoline_kernelINS0_14default_configENS1_38merge_sort_block_merge_config_selectorIiNS0_10empty_typeEEEZZNS1_27merge_sort_block_merge_implIS3_PiPS5_jNS1_19radix_merge_compareILb0ELb0EiNS0_19identity_decomposerEEEEE10hipError_tT0_T1_T2_jT3_P12ihipStream_tbPNSt15iterator_traitsISE_E10value_typeEPNSK_ISF_E10value_typeEPSG_NS1_7vsmem_tEENKUlT_SE_SF_SG_E_clIS8_S8_S9_S9_EESD_ST_SE_SF_SG_EUlST_E1_NS1_11comp_targetILNS1_3genE8ELNS1_11target_archE1030ELNS1_3gpuE2ELNS1_3repE0EEENS1_36merge_oddeven_config_static_selectorELNS0_4arch9wavefront6targetE0EEEvSF_
		.amdhsa_group_segment_fixed_size 0
		.amdhsa_private_segment_fixed_size 0
		.amdhsa_kernarg_size 48
		.amdhsa_user_sgpr_count 2
		.amdhsa_user_sgpr_dispatch_ptr 0
		.amdhsa_user_sgpr_queue_ptr 0
		.amdhsa_user_sgpr_kernarg_segment_ptr 1
		.amdhsa_user_sgpr_dispatch_id 0
		.amdhsa_user_sgpr_kernarg_preload_length 0
		.amdhsa_user_sgpr_kernarg_preload_offset 0
		.amdhsa_user_sgpr_private_segment_size 0
		.amdhsa_wavefront_size32 1
		.amdhsa_uses_dynamic_stack 0
		.amdhsa_enable_private_segment 0
		.amdhsa_system_sgpr_workgroup_id_x 1
		.amdhsa_system_sgpr_workgroup_id_y 0
		.amdhsa_system_sgpr_workgroup_id_z 0
		.amdhsa_system_sgpr_workgroup_info 0
		.amdhsa_system_vgpr_workitem_id 0
		.amdhsa_next_free_vgpr 1
		.amdhsa_next_free_sgpr 1
		.amdhsa_named_barrier_count 0
		.amdhsa_reserve_vcc 0
		.amdhsa_float_round_mode_32 0
		.amdhsa_float_round_mode_16_64 0
		.amdhsa_float_denorm_mode_32 3
		.amdhsa_float_denorm_mode_16_64 3
		.amdhsa_fp16_overflow 0
		.amdhsa_memory_ordered 1
		.amdhsa_forward_progress 1
		.amdhsa_inst_pref_size 0
		.amdhsa_round_robin_scheduling 0
		.amdhsa_exception_fp_ieee_invalid_op 0
		.amdhsa_exception_fp_denorm_src 0
		.amdhsa_exception_fp_ieee_div_zero 0
		.amdhsa_exception_fp_ieee_overflow 0
		.amdhsa_exception_fp_ieee_underflow 0
		.amdhsa_exception_fp_ieee_inexact 0
		.amdhsa_exception_int_div_zero 0
	.end_amdhsa_kernel
	.section	.text._ZN7rocprim17ROCPRIM_400000_NS6detail17trampoline_kernelINS0_14default_configENS1_38merge_sort_block_merge_config_selectorIiNS0_10empty_typeEEEZZNS1_27merge_sort_block_merge_implIS3_PiPS5_jNS1_19radix_merge_compareILb0ELb0EiNS0_19identity_decomposerEEEEE10hipError_tT0_T1_T2_jT3_P12ihipStream_tbPNSt15iterator_traitsISE_E10value_typeEPNSK_ISF_E10value_typeEPSG_NS1_7vsmem_tEENKUlT_SE_SF_SG_E_clIS8_S8_S9_S9_EESD_ST_SE_SF_SG_EUlST_E1_NS1_11comp_targetILNS1_3genE8ELNS1_11target_archE1030ELNS1_3gpuE2ELNS1_3repE0EEENS1_36merge_oddeven_config_static_selectorELNS0_4arch9wavefront6targetE0EEEvSF_,"axG",@progbits,_ZN7rocprim17ROCPRIM_400000_NS6detail17trampoline_kernelINS0_14default_configENS1_38merge_sort_block_merge_config_selectorIiNS0_10empty_typeEEEZZNS1_27merge_sort_block_merge_implIS3_PiPS5_jNS1_19radix_merge_compareILb0ELb0EiNS0_19identity_decomposerEEEEE10hipError_tT0_T1_T2_jT3_P12ihipStream_tbPNSt15iterator_traitsISE_E10value_typeEPNSK_ISF_E10value_typeEPSG_NS1_7vsmem_tEENKUlT_SE_SF_SG_E_clIS8_S8_S9_S9_EESD_ST_SE_SF_SG_EUlST_E1_NS1_11comp_targetILNS1_3genE8ELNS1_11target_archE1030ELNS1_3gpuE2ELNS1_3repE0EEENS1_36merge_oddeven_config_static_selectorELNS0_4arch9wavefront6targetE0EEEvSF_,comdat
.Lfunc_end917:
	.size	_ZN7rocprim17ROCPRIM_400000_NS6detail17trampoline_kernelINS0_14default_configENS1_38merge_sort_block_merge_config_selectorIiNS0_10empty_typeEEEZZNS1_27merge_sort_block_merge_implIS3_PiPS5_jNS1_19radix_merge_compareILb0ELb0EiNS0_19identity_decomposerEEEEE10hipError_tT0_T1_T2_jT3_P12ihipStream_tbPNSt15iterator_traitsISE_E10value_typeEPNSK_ISF_E10value_typeEPSG_NS1_7vsmem_tEENKUlT_SE_SF_SG_E_clIS8_S8_S9_S9_EESD_ST_SE_SF_SG_EUlST_E1_NS1_11comp_targetILNS1_3genE8ELNS1_11target_archE1030ELNS1_3gpuE2ELNS1_3repE0EEENS1_36merge_oddeven_config_static_selectorELNS0_4arch9wavefront6targetE0EEEvSF_, .Lfunc_end917-_ZN7rocprim17ROCPRIM_400000_NS6detail17trampoline_kernelINS0_14default_configENS1_38merge_sort_block_merge_config_selectorIiNS0_10empty_typeEEEZZNS1_27merge_sort_block_merge_implIS3_PiPS5_jNS1_19radix_merge_compareILb0ELb0EiNS0_19identity_decomposerEEEEE10hipError_tT0_T1_T2_jT3_P12ihipStream_tbPNSt15iterator_traitsISE_E10value_typeEPNSK_ISF_E10value_typeEPSG_NS1_7vsmem_tEENKUlT_SE_SF_SG_E_clIS8_S8_S9_S9_EESD_ST_SE_SF_SG_EUlST_E1_NS1_11comp_targetILNS1_3genE8ELNS1_11target_archE1030ELNS1_3gpuE2ELNS1_3repE0EEENS1_36merge_oddeven_config_static_selectorELNS0_4arch9wavefront6targetE0EEEvSF_
                                        ; -- End function
	.set _ZN7rocprim17ROCPRIM_400000_NS6detail17trampoline_kernelINS0_14default_configENS1_38merge_sort_block_merge_config_selectorIiNS0_10empty_typeEEEZZNS1_27merge_sort_block_merge_implIS3_PiPS5_jNS1_19radix_merge_compareILb0ELb0EiNS0_19identity_decomposerEEEEE10hipError_tT0_T1_T2_jT3_P12ihipStream_tbPNSt15iterator_traitsISE_E10value_typeEPNSK_ISF_E10value_typeEPSG_NS1_7vsmem_tEENKUlT_SE_SF_SG_E_clIS8_S8_S9_S9_EESD_ST_SE_SF_SG_EUlST_E1_NS1_11comp_targetILNS1_3genE8ELNS1_11target_archE1030ELNS1_3gpuE2ELNS1_3repE0EEENS1_36merge_oddeven_config_static_selectorELNS0_4arch9wavefront6targetE0EEEvSF_.num_vgpr, 0
	.set _ZN7rocprim17ROCPRIM_400000_NS6detail17trampoline_kernelINS0_14default_configENS1_38merge_sort_block_merge_config_selectorIiNS0_10empty_typeEEEZZNS1_27merge_sort_block_merge_implIS3_PiPS5_jNS1_19radix_merge_compareILb0ELb0EiNS0_19identity_decomposerEEEEE10hipError_tT0_T1_T2_jT3_P12ihipStream_tbPNSt15iterator_traitsISE_E10value_typeEPNSK_ISF_E10value_typeEPSG_NS1_7vsmem_tEENKUlT_SE_SF_SG_E_clIS8_S8_S9_S9_EESD_ST_SE_SF_SG_EUlST_E1_NS1_11comp_targetILNS1_3genE8ELNS1_11target_archE1030ELNS1_3gpuE2ELNS1_3repE0EEENS1_36merge_oddeven_config_static_selectorELNS0_4arch9wavefront6targetE0EEEvSF_.num_agpr, 0
	.set _ZN7rocprim17ROCPRIM_400000_NS6detail17trampoline_kernelINS0_14default_configENS1_38merge_sort_block_merge_config_selectorIiNS0_10empty_typeEEEZZNS1_27merge_sort_block_merge_implIS3_PiPS5_jNS1_19radix_merge_compareILb0ELb0EiNS0_19identity_decomposerEEEEE10hipError_tT0_T1_T2_jT3_P12ihipStream_tbPNSt15iterator_traitsISE_E10value_typeEPNSK_ISF_E10value_typeEPSG_NS1_7vsmem_tEENKUlT_SE_SF_SG_E_clIS8_S8_S9_S9_EESD_ST_SE_SF_SG_EUlST_E1_NS1_11comp_targetILNS1_3genE8ELNS1_11target_archE1030ELNS1_3gpuE2ELNS1_3repE0EEENS1_36merge_oddeven_config_static_selectorELNS0_4arch9wavefront6targetE0EEEvSF_.numbered_sgpr, 0
	.set _ZN7rocprim17ROCPRIM_400000_NS6detail17trampoline_kernelINS0_14default_configENS1_38merge_sort_block_merge_config_selectorIiNS0_10empty_typeEEEZZNS1_27merge_sort_block_merge_implIS3_PiPS5_jNS1_19radix_merge_compareILb0ELb0EiNS0_19identity_decomposerEEEEE10hipError_tT0_T1_T2_jT3_P12ihipStream_tbPNSt15iterator_traitsISE_E10value_typeEPNSK_ISF_E10value_typeEPSG_NS1_7vsmem_tEENKUlT_SE_SF_SG_E_clIS8_S8_S9_S9_EESD_ST_SE_SF_SG_EUlST_E1_NS1_11comp_targetILNS1_3genE8ELNS1_11target_archE1030ELNS1_3gpuE2ELNS1_3repE0EEENS1_36merge_oddeven_config_static_selectorELNS0_4arch9wavefront6targetE0EEEvSF_.num_named_barrier, 0
	.set _ZN7rocprim17ROCPRIM_400000_NS6detail17trampoline_kernelINS0_14default_configENS1_38merge_sort_block_merge_config_selectorIiNS0_10empty_typeEEEZZNS1_27merge_sort_block_merge_implIS3_PiPS5_jNS1_19radix_merge_compareILb0ELb0EiNS0_19identity_decomposerEEEEE10hipError_tT0_T1_T2_jT3_P12ihipStream_tbPNSt15iterator_traitsISE_E10value_typeEPNSK_ISF_E10value_typeEPSG_NS1_7vsmem_tEENKUlT_SE_SF_SG_E_clIS8_S8_S9_S9_EESD_ST_SE_SF_SG_EUlST_E1_NS1_11comp_targetILNS1_3genE8ELNS1_11target_archE1030ELNS1_3gpuE2ELNS1_3repE0EEENS1_36merge_oddeven_config_static_selectorELNS0_4arch9wavefront6targetE0EEEvSF_.private_seg_size, 0
	.set _ZN7rocprim17ROCPRIM_400000_NS6detail17trampoline_kernelINS0_14default_configENS1_38merge_sort_block_merge_config_selectorIiNS0_10empty_typeEEEZZNS1_27merge_sort_block_merge_implIS3_PiPS5_jNS1_19radix_merge_compareILb0ELb0EiNS0_19identity_decomposerEEEEE10hipError_tT0_T1_T2_jT3_P12ihipStream_tbPNSt15iterator_traitsISE_E10value_typeEPNSK_ISF_E10value_typeEPSG_NS1_7vsmem_tEENKUlT_SE_SF_SG_E_clIS8_S8_S9_S9_EESD_ST_SE_SF_SG_EUlST_E1_NS1_11comp_targetILNS1_3genE8ELNS1_11target_archE1030ELNS1_3gpuE2ELNS1_3repE0EEENS1_36merge_oddeven_config_static_selectorELNS0_4arch9wavefront6targetE0EEEvSF_.uses_vcc, 0
	.set _ZN7rocprim17ROCPRIM_400000_NS6detail17trampoline_kernelINS0_14default_configENS1_38merge_sort_block_merge_config_selectorIiNS0_10empty_typeEEEZZNS1_27merge_sort_block_merge_implIS3_PiPS5_jNS1_19radix_merge_compareILb0ELb0EiNS0_19identity_decomposerEEEEE10hipError_tT0_T1_T2_jT3_P12ihipStream_tbPNSt15iterator_traitsISE_E10value_typeEPNSK_ISF_E10value_typeEPSG_NS1_7vsmem_tEENKUlT_SE_SF_SG_E_clIS8_S8_S9_S9_EESD_ST_SE_SF_SG_EUlST_E1_NS1_11comp_targetILNS1_3genE8ELNS1_11target_archE1030ELNS1_3gpuE2ELNS1_3repE0EEENS1_36merge_oddeven_config_static_selectorELNS0_4arch9wavefront6targetE0EEEvSF_.uses_flat_scratch, 0
	.set _ZN7rocprim17ROCPRIM_400000_NS6detail17trampoline_kernelINS0_14default_configENS1_38merge_sort_block_merge_config_selectorIiNS0_10empty_typeEEEZZNS1_27merge_sort_block_merge_implIS3_PiPS5_jNS1_19radix_merge_compareILb0ELb0EiNS0_19identity_decomposerEEEEE10hipError_tT0_T1_T2_jT3_P12ihipStream_tbPNSt15iterator_traitsISE_E10value_typeEPNSK_ISF_E10value_typeEPSG_NS1_7vsmem_tEENKUlT_SE_SF_SG_E_clIS8_S8_S9_S9_EESD_ST_SE_SF_SG_EUlST_E1_NS1_11comp_targetILNS1_3genE8ELNS1_11target_archE1030ELNS1_3gpuE2ELNS1_3repE0EEENS1_36merge_oddeven_config_static_selectorELNS0_4arch9wavefront6targetE0EEEvSF_.has_dyn_sized_stack, 0
	.set _ZN7rocprim17ROCPRIM_400000_NS6detail17trampoline_kernelINS0_14default_configENS1_38merge_sort_block_merge_config_selectorIiNS0_10empty_typeEEEZZNS1_27merge_sort_block_merge_implIS3_PiPS5_jNS1_19radix_merge_compareILb0ELb0EiNS0_19identity_decomposerEEEEE10hipError_tT0_T1_T2_jT3_P12ihipStream_tbPNSt15iterator_traitsISE_E10value_typeEPNSK_ISF_E10value_typeEPSG_NS1_7vsmem_tEENKUlT_SE_SF_SG_E_clIS8_S8_S9_S9_EESD_ST_SE_SF_SG_EUlST_E1_NS1_11comp_targetILNS1_3genE8ELNS1_11target_archE1030ELNS1_3gpuE2ELNS1_3repE0EEENS1_36merge_oddeven_config_static_selectorELNS0_4arch9wavefront6targetE0EEEvSF_.has_recursion, 0
	.set _ZN7rocprim17ROCPRIM_400000_NS6detail17trampoline_kernelINS0_14default_configENS1_38merge_sort_block_merge_config_selectorIiNS0_10empty_typeEEEZZNS1_27merge_sort_block_merge_implIS3_PiPS5_jNS1_19radix_merge_compareILb0ELb0EiNS0_19identity_decomposerEEEEE10hipError_tT0_T1_T2_jT3_P12ihipStream_tbPNSt15iterator_traitsISE_E10value_typeEPNSK_ISF_E10value_typeEPSG_NS1_7vsmem_tEENKUlT_SE_SF_SG_E_clIS8_S8_S9_S9_EESD_ST_SE_SF_SG_EUlST_E1_NS1_11comp_targetILNS1_3genE8ELNS1_11target_archE1030ELNS1_3gpuE2ELNS1_3repE0EEENS1_36merge_oddeven_config_static_selectorELNS0_4arch9wavefront6targetE0EEEvSF_.has_indirect_call, 0
	.section	.AMDGPU.csdata,"",@progbits
; Kernel info:
; codeLenInByte = 0
; TotalNumSgprs: 0
; NumVgprs: 0
; ScratchSize: 0
; MemoryBound: 0
; FloatMode: 240
; IeeeMode: 1
; LDSByteSize: 0 bytes/workgroup (compile time only)
; SGPRBlocks: 0
; VGPRBlocks: 0
; NumSGPRsForWavesPerEU: 1
; NumVGPRsForWavesPerEU: 1
; NamedBarCnt: 0
; Occupancy: 16
; WaveLimiterHint : 0
; COMPUTE_PGM_RSRC2:SCRATCH_EN: 0
; COMPUTE_PGM_RSRC2:USER_SGPR: 2
; COMPUTE_PGM_RSRC2:TRAP_HANDLER: 0
; COMPUTE_PGM_RSRC2:TGID_X_EN: 1
; COMPUTE_PGM_RSRC2:TGID_Y_EN: 0
; COMPUTE_PGM_RSRC2:TGID_Z_EN: 0
; COMPUTE_PGM_RSRC2:TIDIG_COMP_CNT: 0
	.section	.text._ZN7rocprim17ROCPRIM_400000_NS6detail17trampoline_kernelINS0_14default_configENS1_38merge_sort_block_merge_config_selectorIiNS0_10empty_typeEEEZZNS1_27merge_sort_block_merge_implIS3_PiPS5_jNS1_19radix_merge_compareILb0ELb1EiNS0_19identity_decomposerEEEEE10hipError_tT0_T1_T2_jT3_P12ihipStream_tbPNSt15iterator_traitsISE_E10value_typeEPNSK_ISF_E10value_typeEPSG_NS1_7vsmem_tEENKUlT_SE_SF_SG_E_clIS8_S8_S9_S9_EESD_ST_SE_SF_SG_EUlST_E_NS1_11comp_targetILNS1_3genE0ELNS1_11target_archE4294967295ELNS1_3gpuE0ELNS1_3repE0EEENS1_48merge_mergepath_partition_config_static_selectorELNS0_4arch9wavefront6targetE0EEEvSF_,"axG",@progbits,_ZN7rocprim17ROCPRIM_400000_NS6detail17trampoline_kernelINS0_14default_configENS1_38merge_sort_block_merge_config_selectorIiNS0_10empty_typeEEEZZNS1_27merge_sort_block_merge_implIS3_PiPS5_jNS1_19radix_merge_compareILb0ELb1EiNS0_19identity_decomposerEEEEE10hipError_tT0_T1_T2_jT3_P12ihipStream_tbPNSt15iterator_traitsISE_E10value_typeEPNSK_ISF_E10value_typeEPSG_NS1_7vsmem_tEENKUlT_SE_SF_SG_E_clIS8_S8_S9_S9_EESD_ST_SE_SF_SG_EUlST_E_NS1_11comp_targetILNS1_3genE0ELNS1_11target_archE4294967295ELNS1_3gpuE0ELNS1_3repE0EEENS1_48merge_mergepath_partition_config_static_selectorELNS0_4arch9wavefront6targetE0EEEvSF_,comdat
	.protected	_ZN7rocprim17ROCPRIM_400000_NS6detail17trampoline_kernelINS0_14default_configENS1_38merge_sort_block_merge_config_selectorIiNS0_10empty_typeEEEZZNS1_27merge_sort_block_merge_implIS3_PiPS5_jNS1_19radix_merge_compareILb0ELb1EiNS0_19identity_decomposerEEEEE10hipError_tT0_T1_T2_jT3_P12ihipStream_tbPNSt15iterator_traitsISE_E10value_typeEPNSK_ISF_E10value_typeEPSG_NS1_7vsmem_tEENKUlT_SE_SF_SG_E_clIS8_S8_S9_S9_EESD_ST_SE_SF_SG_EUlST_E_NS1_11comp_targetILNS1_3genE0ELNS1_11target_archE4294967295ELNS1_3gpuE0ELNS1_3repE0EEENS1_48merge_mergepath_partition_config_static_selectorELNS0_4arch9wavefront6targetE0EEEvSF_ ; -- Begin function _ZN7rocprim17ROCPRIM_400000_NS6detail17trampoline_kernelINS0_14default_configENS1_38merge_sort_block_merge_config_selectorIiNS0_10empty_typeEEEZZNS1_27merge_sort_block_merge_implIS3_PiPS5_jNS1_19radix_merge_compareILb0ELb1EiNS0_19identity_decomposerEEEEE10hipError_tT0_T1_T2_jT3_P12ihipStream_tbPNSt15iterator_traitsISE_E10value_typeEPNSK_ISF_E10value_typeEPSG_NS1_7vsmem_tEENKUlT_SE_SF_SG_E_clIS8_S8_S9_S9_EESD_ST_SE_SF_SG_EUlST_E_NS1_11comp_targetILNS1_3genE0ELNS1_11target_archE4294967295ELNS1_3gpuE0ELNS1_3repE0EEENS1_48merge_mergepath_partition_config_static_selectorELNS0_4arch9wavefront6targetE0EEEvSF_
	.globl	_ZN7rocprim17ROCPRIM_400000_NS6detail17trampoline_kernelINS0_14default_configENS1_38merge_sort_block_merge_config_selectorIiNS0_10empty_typeEEEZZNS1_27merge_sort_block_merge_implIS3_PiPS5_jNS1_19radix_merge_compareILb0ELb1EiNS0_19identity_decomposerEEEEE10hipError_tT0_T1_T2_jT3_P12ihipStream_tbPNSt15iterator_traitsISE_E10value_typeEPNSK_ISF_E10value_typeEPSG_NS1_7vsmem_tEENKUlT_SE_SF_SG_E_clIS8_S8_S9_S9_EESD_ST_SE_SF_SG_EUlST_E_NS1_11comp_targetILNS1_3genE0ELNS1_11target_archE4294967295ELNS1_3gpuE0ELNS1_3repE0EEENS1_48merge_mergepath_partition_config_static_selectorELNS0_4arch9wavefront6targetE0EEEvSF_
	.p2align	8
	.type	_ZN7rocprim17ROCPRIM_400000_NS6detail17trampoline_kernelINS0_14default_configENS1_38merge_sort_block_merge_config_selectorIiNS0_10empty_typeEEEZZNS1_27merge_sort_block_merge_implIS3_PiPS5_jNS1_19radix_merge_compareILb0ELb1EiNS0_19identity_decomposerEEEEE10hipError_tT0_T1_T2_jT3_P12ihipStream_tbPNSt15iterator_traitsISE_E10value_typeEPNSK_ISF_E10value_typeEPSG_NS1_7vsmem_tEENKUlT_SE_SF_SG_E_clIS8_S8_S9_S9_EESD_ST_SE_SF_SG_EUlST_E_NS1_11comp_targetILNS1_3genE0ELNS1_11target_archE4294967295ELNS1_3gpuE0ELNS1_3repE0EEENS1_48merge_mergepath_partition_config_static_selectorELNS0_4arch9wavefront6targetE0EEEvSF_,@function
_ZN7rocprim17ROCPRIM_400000_NS6detail17trampoline_kernelINS0_14default_configENS1_38merge_sort_block_merge_config_selectorIiNS0_10empty_typeEEEZZNS1_27merge_sort_block_merge_implIS3_PiPS5_jNS1_19radix_merge_compareILb0ELb1EiNS0_19identity_decomposerEEEEE10hipError_tT0_T1_T2_jT3_P12ihipStream_tbPNSt15iterator_traitsISE_E10value_typeEPNSK_ISF_E10value_typeEPSG_NS1_7vsmem_tEENKUlT_SE_SF_SG_E_clIS8_S8_S9_S9_EESD_ST_SE_SF_SG_EUlST_E_NS1_11comp_targetILNS1_3genE0ELNS1_11target_archE4294967295ELNS1_3gpuE0ELNS1_3repE0EEENS1_48merge_mergepath_partition_config_static_selectorELNS0_4arch9wavefront6targetE0EEEvSF_: ; @_ZN7rocprim17ROCPRIM_400000_NS6detail17trampoline_kernelINS0_14default_configENS1_38merge_sort_block_merge_config_selectorIiNS0_10empty_typeEEEZZNS1_27merge_sort_block_merge_implIS3_PiPS5_jNS1_19radix_merge_compareILb0ELb1EiNS0_19identity_decomposerEEEEE10hipError_tT0_T1_T2_jT3_P12ihipStream_tbPNSt15iterator_traitsISE_E10value_typeEPNSK_ISF_E10value_typeEPSG_NS1_7vsmem_tEENKUlT_SE_SF_SG_E_clIS8_S8_S9_S9_EESD_ST_SE_SF_SG_EUlST_E_NS1_11comp_targetILNS1_3genE0ELNS1_11target_archE4294967295ELNS1_3gpuE0ELNS1_3repE0EEENS1_48merge_mergepath_partition_config_static_selectorELNS0_4arch9wavefront6targetE0EEEvSF_
; %bb.0:
	s_load_b32 s2, s[0:1], 0x0
	s_bfe_u32 s3, ttmp6, 0x4000c
	s_and_b32 s4, ttmp6, 15
	s_add_co_i32 s3, s3, 1
	s_getreg_b32 s5, hwreg(HW_REG_IB_STS2, 6, 4)
	s_mul_i32 s3, ttmp9, s3
	s_delay_alu instid0(SALU_CYCLE_1) | instskip(SKIP_2) | instid1(SALU_CYCLE_1)
	s_add_co_i32 s4, s4, s3
	s_cmp_eq_u32 s5, 0
	s_cselect_b32 s3, ttmp9, s4
	v_lshl_or_b32 v8, s3, 7, v0
	s_wait_kmcnt 0x0
	s_delay_alu instid0(VALU_DEP_1)
	v_cmp_gt_u32_e32 vcc_lo, s2, v8
	s_and_saveexec_b32 s2, vcc_lo
	s_cbranch_execz .LBB918_6
; %bb.1:
	s_load_b64 s[2:3], s[0:1], 0x4
	s_mov_b32 s7, exec_lo
	s_wait_kmcnt 0x0
	s_lshr_b32 s4, s2, 9
	s_delay_alu instid0(SALU_CYCLE_1) | instskip(NEXT) | instid1(SALU_CYCLE_1)
	s_and_b32 s4, s4, 0x7ffffe
	s_sub_co_i32 s5, 0, s4
	s_add_co_i32 s4, s4, -1
	s_delay_alu instid0(SALU_CYCLE_1) | instskip(NEXT) | instid1(VALU_DEP_1)
	v_and_b32_e32 v1, s4, v8
	v_dual_lshlrev_b32 v1, 10, v1 :: v_dual_bitop2_b32 v0, s5, v8 bitop3:0x40
	s_delay_alu instid0(VALU_DEP_1) | instskip(NEXT) | instid1(VALU_DEP_1)
	v_lshlrev_b32_e32 v0, 10, v0
	v_add_min_u32_e64 v2, v0, s2, s3
	v_min_u32_e32 v0, s3, v0
	s_delay_alu instid0(VALU_DEP_2) | instskip(SKIP_1) | instid1(VALU_DEP_1)
	v_add_min_u32_e64 v3, v2, s2, s3
	s_load_b64 s[2:3], s[0:1], 0x20
	v_dual_sub_nc_u32 v4, v3, v0 :: v_dual_sub_nc_u32 v3, v3, v2
	s_delay_alu instid0(VALU_DEP_1) | instskip(SKIP_1) | instid1(VALU_DEP_2)
	v_min_u32_e32 v10, v4, v1
	v_sub_nc_u32_e32 v1, v2, v0
	v_sub_nc_u32_e64 v9, v10, v3 clamp
	s_delay_alu instid0(VALU_DEP_2) | instskip(NEXT) | instid1(VALU_DEP_1)
	v_min_u32_e32 v11, v10, v1
	v_cmpx_lt_u32_e64 v9, v11
	s_cbranch_execz .LBB918_5
; %bb.2:
	s_load_b96 s[4:6], s[0:1], 0x10
	v_mov_b32_e32 v3, 0
	s_wait_xcnt 0x0
	s_mov_b32 s0, 0
	s_delay_alu instid0(VALU_DEP_1) | instskip(SKIP_1) | instid1(VALU_DEP_1)
	v_mov_b32_e32 v1, v3
	s_wait_kmcnt 0x0
	v_lshl_add_u64 v[4:5], v[0:1], 2, s[4:5]
	v_lshl_add_u64 v[6:7], v[2:3], 2, s[4:5]
.LBB918_3:                              ; =>This Inner Loop Header: Depth=1
	v_add_nc_u32_e32 v1, v11, v9
	s_delay_alu instid0(VALU_DEP_1) | instskip(NEXT) | instid1(VALU_DEP_1)
	v_dual_mov_b32 v13, v3 :: v_dual_lshrrev_b32 v2, 1, v1
	v_xad_u32 v12, v2, -1, v10
	v_lshl_add_u64 v[14:15], v[2:3], 2, v[4:5]
	s_delay_alu instid0(VALU_DEP_2)
	v_lshl_add_u64 v[12:13], v[12:13], 2, v[6:7]
	s_clause 0x1
	global_load_b32 v1, v[14:15], off
	global_load_b32 v16, v[12:13], off
	s_wait_loadcnt 0x1
	s_wait_xcnt 0x0
	v_dual_add_nc_u32 v13, 1, v2 :: v_dual_bitop2_b32 v1, s6, v1 bitop3:0x40
	s_wait_loadcnt 0x0
	v_and_b32_e32 v12, s6, v16
	s_delay_alu instid0(VALU_DEP_1) | instskip(NEXT) | instid1(VALU_DEP_3)
	v_cmp_gt_i32_e32 vcc_lo, v1, v12
	v_dual_cndmask_b32 v11, v11, v2, vcc_lo :: v_dual_cndmask_b32 v9, v13, v9, vcc_lo
	s_delay_alu instid0(VALU_DEP_1) | instskip(SKIP_1) | instid1(SALU_CYCLE_1)
	v_cmp_ge_u32_e32 vcc_lo, v9, v11
	s_or_b32 s0, vcc_lo, s0
	s_and_not1_b32 exec_lo, exec_lo, s0
	s_cbranch_execnz .LBB918_3
; %bb.4:
	s_or_b32 exec_lo, exec_lo, s0
.LBB918_5:
	s_delay_alu instid0(SALU_CYCLE_1)
	s_or_b32 exec_lo, exec_lo, s7
	v_add_nc_u32_e32 v0, v9, v0
	s_wait_kmcnt 0x0
	global_store_b32 v8, v0, s[2:3] scale_offset
.LBB918_6:
	s_endpgm
	.section	.rodata,"a",@progbits
	.p2align	6, 0x0
	.amdhsa_kernel _ZN7rocprim17ROCPRIM_400000_NS6detail17trampoline_kernelINS0_14default_configENS1_38merge_sort_block_merge_config_selectorIiNS0_10empty_typeEEEZZNS1_27merge_sort_block_merge_implIS3_PiPS5_jNS1_19radix_merge_compareILb0ELb1EiNS0_19identity_decomposerEEEEE10hipError_tT0_T1_T2_jT3_P12ihipStream_tbPNSt15iterator_traitsISE_E10value_typeEPNSK_ISF_E10value_typeEPSG_NS1_7vsmem_tEENKUlT_SE_SF_SG_E_clIS8_S8_S9_S9_EESD_ST_SE_SF_SG_EUlST_E_NS1_11comp_targetILNS1_3genE0ELNS1_11target_archE4294967295ELNS1_3gpuE0ELNS1_3repE0EEENS1_48merge_mergepath_partition_config_static_selectorELNS0_4arch9wavefront6targetE0EEEvSF_
		.amdhsa_group_segment_fixed_size 0
		.amdhsa_private_segment_fixed_size 0
		.amdhsa_kernarg_size 40
		.amdhsa_user_sgpr_count 2
		.amdhsa_user_sgpr_dispatch_ptr 0
		.amdhsa_user_sgpr_queue_ptr 0
		.amdhsa_user_sgpr_kernarg_segment_ptr 1
		.amdhsa_user_sgpr_dispatch_id 0
		.amdhsa_user_sgpr_kernarg_preload_length 0
		.amdhsa_user_sgpr_kernarg_preload_offset 0
		.amdhsa_user_sgpr_private_segment_size 0
		.amdhsa_wavefront_size32 1
		.amdhsa_uses_dynamic_stack 0
		.amdhsa_enable_private_segment 0
		.amdhsa_system_sgpr_workgroup_id_x 1
		.amdhsa_system_sgpr_workgroup_id_y 0
		.amdhsa_system_sgpr_workgroup_id_z 0
		.amdhsa_system_sgpr_workgroup_info 0
		.amdhsa_system_vgpr_workitem_id 0
		.amdhsa_next_free_vgpr 17
		.amdhsa_next_free_sgpr 8
		.amdhsa_named_barrier_count 0
		.amdhsa_reserve_vcc 1
		.amdhsa_float_round_mode_32 0
		.amdhsa_float_round_mode_16_64 0
		.amdhsa_float_denorm_mode_32 3
		.amdhsa_float_denorm_mode_16_64 3
		.amdhsa_fp16_overflow 0
		.amdhsa_memory_ordered 1
		.amdhsa_forward_progress 1
		.amdhsa_inst_pref_size 4
		.amdhsa_round_robin_scheduling 0
		.amdhsa_exception_fp_ieee_invalid_op 0
		.amdhsa_exception_fp_denorm_src 0
		.amdhsa_exception_fp_ieee_div_zero 0
		.amdhsa_exception_fp_ieee_overflow 0
		.amdhsa_exception_fp_ieee_underflow 0
		.amdhsa_exception_fp_ieee_inexact 0
		.amdhsa_exception_int_div_zero 0
	.end_amdhsa_kernel
	.section	.text._ZN7rocprim17ROCPRIM_400000_NS6detail17trampoline_kernelINS0_14default_configENS1_38merge_sort_block_merge_config_selectorIiNS0_10empty_typeEEEZZNS1_27merge_sort_block_merge_implIS3_PiPS5_jNS1_19radix_merge_compareILb0ELb1EiNS0_19identity_decomposerEEEEE10hipError_tT0_T1_T2_jT3_P12ihipStream_tbPNSt15iterator_traitsISE_E10value_typeEPNSK_ISF_E10value_typeEPSG_NS1_7vsmem_tEENKUlT_SE_SF_SG_E_clIS8_S8_S9_S9_EESD_ST_SE_SF_SG_EUlST_E_NS1_11comp_targetILNS1_3genE0ELNS1_11target_archE4294967295ELNS1_3gpuE0ELNS1_3repE0EEENS1_48merge_mergepath_partition_config_static_selectorELNS0_4arch9wavefront6targetE0EEEvSF_,"axG",@progbits,_ZN7rocprim17ROCPRIM_400000_NS6detail17trampoline_kernelINS0_14default_configENS1_38merge_sort_block_merge_config_selectorIiNS0_10empty_typeEEEZZNS1_27merge_sort_block_merge_implIS3_PiPS5_jNS1_19radix_merge_compareILb0ELb1EiNS0_19identity_decomposerEEEEE10hipError_tT0_T1_T2_jT3_P12ihipStream_tbPNSt15iterator_traitsISE_E10value_typeEPNSK_ISF_E10value_typeEPSG_NS1_7vsmem_tEENKUlT_SE_SF_SG_E_clIS8_S8_S9_S9_EESD_ST_SE_SF_SG_EUlST_E_NS1_11comp_targetILNS1_3genE0ELNS1_11target_archE4294967295ELNS1_3gpuE0ELNS1_3repE0EEENS1_48merge_mergepath_partition_config_static_selectorELNS0_4arch9wavefront6targetE0EEEvSF_,comdat
.Lfunc_end918:
	.size	_ZN7rocprim17ROCPRIM_400000_NS6detail17trampoline_kernelINS0_14default_configENS1_38merge_sort_block_merge_config_selectorIiNS0_10empty_typeEEEZZNS1_27merge_sort_block_merge_implIS3_PiPS5_jNS1_19radix_merge_compareILb0ELb1EiNS0_19identity_decomposerEEEEE10hipError_tT0_T1_T2_jT3_P12ihipStream_tbPNSt15iterator_traitsISE_E10value_typeEPNSK_ISF_E10value_typeEPSG_NS1_7vsmem_tEENKUlT_SE_SF_SG_E_clIS8_S8_S9_S9_EESD_ST_SE_SF_SG_EUlST_E_NS1_11comp_targetILNS1_3genE0ELNS1_11target_archE4294967295ELNS1_3gpuE0ELNS1_3repE0EEENS1_48merge_mergepath_partition_config_static_selectorELNS0_4arch9wavefront6targetE0EEEvSF_, .Lfunc_end918-_ZN7rocprim17ROCPRIM_400000_NS6detail17trampoline_kernelINS0_14default_configENS1_38merge_sort_block_merge_config_selectorIiNS0_10empty_typeEEEZZNS1_27merge_sort_block_merge_implIS3_PiPS5_jNS1_19radix_merge_compareILb0ELb1EiNS0_19identity_decomposerEEEEE10hipError_tT0_T1_T2_jT3_P12ihipStream_tbPNSt15iterator_traitsISE_E10value_typeEPNSK_ISF_E10value_typeEPSG_NS1_7vsmem_tEENKUlT_SE_SF_SG_E_clIS8_S8_S9_S9_EESD_ST_SE_SF_SG_EUlST_E_NS1_11comp_targetILNS1_3genE0ELNS1_11target_archE4294967295ELNS1_3gpuE0ELNS1_3repE0EEENS1_48merge_mergepath_partition_config_static_selectorELNS0_4arch9wavefront6targetE0EEEvSF_
                                        ; -- End function
	.set _ZN7rocprim17ROCPRIM_400000_NS6detail17trampoline_kernelINS0_14default_configENS1_38merge_sort_block_merge_config_selectorIiNS0_10empty_typeEEEZZNS1_27merge_sort_block_merge_implIS3_PiPS5_jNS1_19radix_merge_compareILb0ELb1EiNS0_19identity_decomposerEEEEE10hipError_tT0_T1_T2_jT3_P12ihipStream_tbPNSt15iterator_traitsISE_E10value_typeEPNSK_ISF_E10value_typeEPSG_NS1_7vsmem_tEENKUlT_SE_SF_SG_E_clIS8_S8_S9_S9_EESD_ST_SE_SF_SG_EUlST_E_NS1_11comp_targetILNS1_3genE0ELNS1_11target_archE4294967295ELNS1_3gpuE0ELNS1_3repE0EEENS1_48merge_mergepath_partition_config_static_selectorELNS0_4arch9wavefront6targetE0EEEvSF_.num_vgpr, 17
	.set _ZN7rocprim17ROCPRIM_400000_NS6detail17trampoline_kernelINS0_14default_configENS1_38merge_sort_block_merge_config_selectorIiNS0_10empty_typeEEEZZNS1_27merge_sort_block_merge_implIS3_PiPS5_jNS1_19radix_merge_compareILb0ELb1EiNS0_19identity_decomposerEEEEE10hipError_tT0_T1_T2_jT3_P12ihipStream_tbPNSt15iterator_traitsISE_E10value_typeEPNSK_ISF_E10value_typeEPSG_NS1_7vsmem_tEENKUlT_SE_SF_SG_E_clIS8_S8_S9_S9_EESD_ST_SE_SF_SG_EUlST_E_NS1_11comp_targetILNS1_3genE0ELNS1_11target_archE4294967295ELNS1_3gpuE0ELNS1_3repE0EEENS1_48merge_mergepath_partition_config_static_selectorELNS0_4arch9wavefront6targetE0EEEvSF_.num_agpr, 0
	.set _ZN7rocprim17ROCPRIM_400000_NS6detail17trampoline_kernelINS0_14default_configENS1_38merge_sort_block_merge_config_selectorIiNS0_10empty_typeEEEZZNS1_27merge_sort_block_merge_implIS3_PiPS5_jNS1_19radix_merge_compareILb0ELb1EiNS0_19identity_decomposerEEEEE10hipError_tT0_T1_T2_jT3_P12ihipStream_tbPNSt15iterator_traitsISE_E10value_typeEPNSK_ISF_E10value_typeEPSG_NS1_7vsmem_tEENKUlT_SE_SF_SG_E_clIS8_S8_S9_S9_EESD_ST_SE_SF_SG_EUlST_E_NS1_11comp_targetILNS1_3genE0ELNS1_11target_archE4294967295ELNS1_3gpuE0ELNS1_3repE0EEENS1_48merge_mergepath_partition_config_static_selectorELNS0_4arch9wavefront6targetE0EEEvSF_.numbered_sgpr, 8
	.set _ZN7rocprim17ROCPRIM_400000_NS6detail17trampoline_kernelINS0_14default_configENS1_38merge_sort_block_merge_config_selectorIiNS0_10empty_typeEEEZZNS1_27merge_sort_block_merge_implIS3_PiPS5_jNS1_19radix_merge_compareILb0ELb1EiNS0_19identity_decomposerEEEEE10hipError_tT0_T1_T2_jT3_P12ihipStream_tbPNSt15iterator_traitsISE_E10value_typeEPNSK_ISF_E10value_typeEPSG_NS1_7vsmem_tEENKUlT_SE_SF_SG_E_clIS8_S8_S9_S9_EESD_ST_SE_SF_SG_EUlST_E_NS1_11comp_targetILNS1_3genE0ELNS1_11target_archE4294967295ELNS1_3gpuE0ELNS1_3repE0EEENS1_48merge_mergepath_partition_config_static_selectorELNS0_4arch9wavefront6targetE0EEEvSF_.num_named_barrier, 0
	.set _ZN7rocprim17ROCPRIM_400000_NS6detail17trampoline_kernelINS0_14default_configENS1_38merge_sort_block_merge_config_selectorIiNS0_10empty_typeEEEZZNS1_27merge_sort_block_merge_implIS3_PiPS5_jNS1_19radix_merge_compareILb0ELb1EiNS0_19identity_decomposerEEEEE10hipError_tT0_T1_T2_jT3_P12ihipStream_tbPNSt15iterator_traitsISE_E10value_typeEPNSK_ISF_E10value_typeEPSG_NS1_7vsmem_tEENKUlT_SE_SF_SG_E_clIS8_S8_S9_S9_EESD_ST_SE_SF_SG_EUlST_E_NS1_11comp_targetILNS1_3genE0ELNS1_11target_archE4294967295ELNS1_3gpuE0ELNS1_3repE0EEENS1_48merge_mergepath_partition_config_static_selectorELNS0_4arch9wavefront6targetE0EEEvSF_.private_seg_size, 0
	.set _ZN7rocprim17ROCPRIM_400000_NS6detail17trampoline_kernelINS0_14default_configENS1_38merge_sort_block_merge_config_selectorIiNS0_10empty_typeEEEZZNS1_27merge_sort_block_merge_implIS3_PiPS5_jNS1_19radix_merge_compareILb0ELb1EiNS0_19identity_decomposerEEEEE10hipError_tT0_T1_T2_jT3_P12ihipStream_tbPNSt15iterator_traitsISE_E10value_typeEPNSK_ISF_E10value_typeEPSG_NS1_7vsmem_tEENKUlT_SE_SF_SG_E_clIS8_S8_S9_S9_EESD_ST_SE_SF_SG_EUlST_E_NS1_11comp_targetILNS1_3genE0ELNS1_11target_archE4294967295ELNS1_3gpuE0ELNS1_3repE0EEENS1_48merge_mergepath_partition_config_static_selectorELNS0_4arch9wavefront6targetE0EEEvSF_.uses_vcc, 1
	.set _ZN7rocprim17ROCPRIM_400000_NS6detail17trampoline_kernelINS0_14default_configENS1_38merge_sort_block_merge_config_selectorIiNS0_10empty_typeEEEZZNS1_27merge_sort_block_merge_implIS3_PiPS5_jNS1_19radix_merge_compareILb0ELb1EiNS0_19identity_decomposerEEEEE10hipError_tT0_T1_T2_jT3_P12ihipStream_tbPNSt15iterator_traitsISE_E10value_typeEPNSK_ISF_E10value_typeEPSG_NS1_7vsmem_tEENKUlT_SE_SF_SG_E_clIS8_S8_S9_S9_EESD_ST_SE_SF_SG_EUlST_E_NS1_11comp_targetILNS1_3genE0ELNS1_11target_archE4294967295ELNS1_3gpuE0ELNS1_3repE0EEENS1_48merge_mergepath_partition_config_static_selectorELNS0_4arch9wavefront6targetE0EEEvSF_.uses_flat_scratch, 0
	.set _ZN7rocprim17ROCPRIM_400000_NS6detail17trampoline_kernelINS0_14default_configENS1_38merge_sort_block_merge_config_selectorIiNS0_10empty_typeEEEZZNS1_27merge_sort_block_merge_implIS3_PiPS5_jNS1_19radix_merge_compareILb0ELb1EiNS0_19identity_decomposerEEEEE10hipError_tT0_T1_T2_jT3_P12ihipStream_tbPNSt15iterator_traitsISE_E10value_typeEPNSK_ISF_E10value_typeEPSG_NS1_7vsmem_tEENKUlT_SE_SF_SG_E_clIS8_S8_S9_S9_EESD_ST_SE_SF_SG_EUlST_E_NS1_11comp_targetILNS1_3genE0ELNS1_11target_archE4294967295ELNS1_3gpuE0ELNS1_3repE0EEENS1_48merge_mergepath_partition_config_static_selectorELNS0_4arch9wavefront6targetE0EEEvSF_.has_dyn_sized_stack, 0
	.set _ZN7rocprim17ROCPRIM_400000_NS6detail17trampoline_kernelINS0_14default_configENS1_38merge_sort_block_merge_config_selectorIiNS0_10empty_typeEEEZZNS1_27merge_sort_block_merge_implIS3_PiPS5_jNS1_19radix_merge_compareILb0ELb1EiNS0_19identity_decomposerEEEEE10hipError_tT0_T1_T2_jT3_P12ihipStream_tbPNSt15iterator_traitsISE_E10value_typeEPNSK_ISF_E10value_typeEPSG_NS1_7vsmem_tEENKUlT_SE_SF_SG_E_clIS8_S8_S9_S9_EESD_ST_SE_SF_SG_EUlST_E_NS1_11comp_targetILNS1_3genE0ELNS1_11target_archE4294967295ELNS1_3gpuE0ELNS1_3repE0EEENS1_48merge_mergepath_partition_config_static_selectorELNS0_4arch9wavefront6targetE0EEEvSF_.has_recursion, 0
	.set _ZN7rocprim17ROCPRIM_400000_NS6detail17trampoline_kernelINS0_14default_configENS1_38merge_sort_block_merge_config_selectorIiNS0_10empty_typeEEEZZNS1_27merge_sort_block_merge_implIS3_PiPS5_jNS1_19radix_merge_compareILb0ELb1EiNS0_19identity_decomposerEEEEE10hipError_tT0_T1_T2_jT3_P12ihipStream_tbPNSt15iterator_traitsISE_E10value_typeEPNSK_ISF_E10value_typeEPSG_NS1_7vsmem_tEENKUlT_SE_SF_SG_E_clIS8_S8_S9_S9_EESD_ST_SE_SF_SG_EUlST_E_NS1_11comp_targetILNS1_3genE0ELNS1_11target_archE4294967295ELNS1_3gpuE0ELNS1_3repE0EEENS1_48merge_mergepath_partition_config_static_selectorELNS0_4arch9wavefront6targetE0EEEvSF_.has_indirect_call, 0
	.section	.AMDGPU.csdata,"",@progbits
; Kernel info:
; codeLenInByte = 452
; TotalNumSgprs: 10
; NumVgprs: 17
; ScratchSize: 0
; MemoryBound: 0
; FloatMode: 240
; IeeeMode: 1
; LDSByteSize: 0 bytes/workgroup (compile time only)
; SGPRBlocks: 0
; VGPRBlocks: 1
; NumSGPRsForWavesPerEU: 10
; NumVGPRsForWavesPerEU: 17
; NamedBarCnt: 0
; Occupancy: 16
; WaveLimiterHint : 0
; COMPUTE_PGM_RSRC2:SCRATCH_EN: 0
; COMPUTE_PGM_RSRC2:USER_SGPR: 2
; COMPUTE_PGM_RSRC2:TRAP_HANDLER: 0
; COMPUTE_PGM_RSRC2:TGID_X_EN: 1
; COMPUTE_PGM_RSRC2:TGID_Y_EN: 0
; COMPUTE_PGM_RSRC2:TGID_Z_EN: 0
; COMPUTE_PGM_RSRC2:TIDIG_COMP_CNT: 0
	.section	.text._ZN7rocprim17ROCPRIM_400000_NS6detail17trampoline_kernelINS0_14default_configENS1_38merge_sort_block_merge_config_selectorIiNS0_10empty_typeEEEZZNS1_27merge_sort_block_merge_implIS3_PiPS5_jNS1_19radix_merge_compareILb0ELb1EiNS0_19identity_decomposerEEEEE10hipError_tT0_T1_T2_jT3_P12ihipStream_tbPNSt15iterator_traitsISE_E10value_typeEPNSK_ISF_E10value_typeEPSG_NS1_7vsmem_tEENKUlT_SE_SF_SG_E_clIS8_S8_S9_S9_EESD_ST_SE_SF_SG_EUlST_E_NS1_11comp_targetILNS1_3genE10ELNS1_11target_archE1201ELNS1_3gpuE5ELNS1_3repE0EEENS1_48merge_mergepath_partition_config_static_selectorELNS0_4arch9wavefront6targetE0EEEvSF_,"axG",@progbits,_ZN7rocprim17ROCPRIM_400000_NS6detail17trampoline_kernelINS0_14default_configENS1_38merge_sort_block_merge_config_selectorIiNS0_10empty_typeEEEZZNS1_27merge_sort_block_merge_implIS3_PiPS5_jNS1_19radix_merge_compareILb0ELb1EiNS0_19identity_decomposerEEEEE10hipError_tT0_T1_T2_jT3_P12ihipStream_tbPNSt15iterator_traitsISE_E10value_typeEPNSK_ISF_E10value_typeEPSG_NS1_7vsmem_tEENKUlT_SE_SF_SG_E_clIS8_S8_S9_S9_EESD_ST_SE_SF_SG_EUlST_E_NS1_11comp_targetILNS1_3genE10ELNS1_11target_archE1201ELNS1_3gpuE5ELNS1_3repE0EEENS1_48merge_mergepath_partition_config_static_selectorELNS0_4arch9wavefront6targetE0EEEvSF_,comdat
	.protected	_ZN7rocprim17ROCPRIM_400000_NS6detail17trampoline_kernelINS0_14default_configENS1_38merge_sort_block_merge_config_selectorIiNS0_10empty_typeEEEZZNS1_27merge_sort_block_merge_implIS3_PiPS5_jNS1_19radix_merge_compareILb0ELb1EiNS0_19identity_decomposerEEEEE10hipError_tT0_T1_T2_jT3_P12ihipStream_tbPNSt15iterator_traitsISE_E10value_typeEPNSK_ISF_E10value_typeEPSG_NS1_7vsmem_tEENKUlT_SE_SF_SG_E_clIS8_S8_S9_S9_EESD_ST_SE_SF_SG_EUlST_E_NS1_11comp_targetILNS1_3genE10ELNS1_11target_archE1201ELNS1_3gpuE5ELNS1_3repE0EEENS1_48merge_mergepath_partition_config_static_selectorELNS0_4arch9wavefront6targetE0EEEvSF_ ; -- Begin function _ZN7rocprim17ROCPRIM_400000_NS6detail17trampoline_kernelINS0_14default_configENS1_38merge_sort_block_merge_config_selectorIiNS0_10empty_typeEEEZZNS1_27merge_sort_block_merge_implIS3_PiPS5_jNS1_19radix_merge_compareILb0ELb1EiNS0_19identity_decomposerEEEEE10hipError_tT0_T1_T2_jT3_P12ihipStream_tbPNSt15iterator_traitsISE_E10value_typeEPNSK_ISF_E10value_typeEPSG_NS1_7vsmem_tEENKUlT_SE_SF_SG_E_clIS8_S8_S9_S9_EESD_ST_SE_SF_SG_EUlST_E_NS1_11comp_targetILNS1_3genE10ELNS1_11target_archE1201ELNS1_3gpuE5ELNS1_3repE0EEENS1_48merge_mergepath_partition_config_static_selectorELNS0_4arch9wavefront6targetE0EEEvSF_
	.globl	_ZN7rocprim17ROCPRIM_400000_NS6detail17trampoline_kernelINS0_14default_configENS1_38merge_sort_block_merge_config_selectorIiNS0_10empty_typeEEEZZNS1_27merge_sort_block_merge_implIS3_PiPS5_jNS1_19radix_merge_compareILb0ELb1EiNS0_19identity_decomposerEEEEE10hipError_tT0_T1_T2_jT3_P12ihipStream_tbPNSt15iterator_traitsISE_E10value_typeEPNSK_ISF_E10value_typeEPSG_NS1_7vsmem_tEENKUlT_SE_SF_SG_E_clIS8_S8_S9_S9_EESD_ST_SE_SF_SG_EUlST_E_NS1_11comp_targetILNS1_3genE10ELNS1_11target_archE1201ELNS1_3gpuE5ELNS1_3repE0EEENS1_48merge_mergepath_partition_config_static_selectorELNS0_4arch9wavefront6targetE0EEEvSF_
	.p2align	8
	.type	_ZN7rocprim17ROCPRIM_400000_NS6detail17trampoline_kernelINS0_14default_configENS1_38merge_sort_block_merge_config_selectorIiNS0_10empty_typeEEEZZNS1_27merge_sort_block_merge_implIS3_PiPS5_jNS1_19radix_merge_compareILb0ELb1EiNS0_19identity_decomposerEEEEE10hipError_tT0_T1_T2_jT3_P12ihipStream_tbPNSt15iterator_traitsISE_E10value_typeEPNSK_ISF_E10value_typeEPSG_NS1_7vsmem_tEENKUlT_SE_SF_SG_E_clIS8_S8_S9_S9_EESD_ST_SE_SF_SG_EUlST_E_NS1_11comp_targetILNS1_3genE10ELNS1_11target_archE1201ELNS1_3gpuE5ELNS1_3repE0EEENS1_48merge_mergepath_partition_config_static_selectorELNS0_4arch9wavefront6targetE0EEEvSF_,@function
_ZN7rocprim17ROCPRIM_400000_NS6detail17trampoline_kernelINS0_14default_configENS1_38merge_sort_block_merge_config_selectorIiNS0_10empty_typeEEEZZNS1_27merge_sort_block_merge_implIS3_PiPS5_jNS1_19radix_merge_compareILb0ELb1EiNS0_19identity_decomposerEEEEE10hipError_tT0_T1_T2_jT3_P12ihipStream_tbPNSt15iterator_traitsISE_E10value_typeEPNSK_ISF_E10value_typeEPSG_NS1_7vsmem_tEENKUlT_SE_SF_SG_E_clIS8_S8_S9_S9_EESD_ST_SE_SF_SG_EUlST_E_NS1_11comp_targetILNS1_3genE10ELNS1_11target_archE1201ELNS1_3gpuE5ELNS1_3repE0EEENS1_48merge_mergepath_partition_config_static_selectorELNS0_4arch9wavefront6targetE0EEEvSF_: ; @_ZN7rocprim17ROCPRIM_400000_NS6detail17trampoline_kernelINS0_14default_configENS1_38merge_sort_block_merge_config_selectorIiNS0_10empty_typeEEEZZNS1_27merge_sort_block_merge_implIS3_PiPS5_jNS1_19radix_merge_compareILb0ELb1EiNS0_19identity_decomposerEEEEE10hipError_tT0_T1_T2_jT3_P12ihipStream_tbPNSt15iterator_traitsISE_E10value_typeEPNSK_ISF_E10value_typeEPSG_NS1_7vsmem_tEENKUlT_SE_SF_SG_E_clIS8_S8_S9_S9_EESD_ST_SE_SF_SG_EUlST_E_NS1_11comp_targetILNS1_3genE10ELNS1_11target_archE1201ELNS1_3gpuE5ELNS1_3repE0EEENS1_48merge_mergepath_partition_config_static_selectorELNS0_4arch9wavefront6targetE0EEEvSF_
; %bb.0:
	.section	.rodata,"a",@progbits
	.p2align	6, 0x0
	.amdhsa_kernel _ZN7rocprim17ROCPRIM_400000_NS6detail17trampoline_kernelINS0_14default_configENS1_38merge_sort_block_merge_config_selectorIiNS0_10empty_typeEEEZZNS1_27merge_sort_block_merge_implIS3_PiPS5_jNS1_19radix_merge_compareILb0ELb1EiNS0_19identity_decomposerEEEEE10hipError_tT0_T1_T2_jT3_P12ihipStream_tbPNSt15iterator_traitsISE_E10value_typeEPNSK_ISF_E10value_typeEPSG_NS1_7vsmem_tEENKUlT_SE_SF_SG_E_clIS8_S8_S9_S9_EESD_ST_SE_SF_SG_EUlST_E_NS1_11comp_targetILNS1_3genE10ELNS1_11target_archE1201ELNS1_3gpuE5ELNS1_3repE0EEENS1_48merge_mergepath_partition_config_static_selectorELNS0_4arch9wavefront6targetE0EEEvSF_
		.amdhsa_group_segment_fixed_size 0
		.amdhsa_private_segment_fixed_size 0
		.amdhsa_kernarg_size 40
		.amdhsa_user_sgpr_count 2
		.amdhsa_user_sgpr_dispatch_ptr 0
		.amdhsa_user_sgpr_queue_ptr 0
		.amdhsa_user_sgpr_kernarg_segment_ptr 1
		.amdhsa_user_sgpr_dispatch_id 0
		.amdhsa_user_sgpr_kernarg_preload_length 0
		.amdhsa_user_sgpr_kernarg_preload_offset 0
		.amdhsa_user_sgpr_private_segment_size 0
		.amdhsa_wavefront_size32 1
		.amdhsa_uses_dynamic_stack 0
		.amdhsa_enable_private_segment 0
		.amdhsa_system_sgpr_workgroup_id_x 1
		.amdhsa_system_sgpr_workgroup_id_y 0
		.amdhsa_system_sgpr_workgroup_id_z 0
		.amdhsa_system_sgpr_workgroup_info 0
		.amdhsa_system_vgpr_workitem_id 0
		.amdhsa_next_free_vgpr 1
		.amdhsa_next_free_sgpr 1
		.amdhsa_named_barrier_count 0
		.amdhsa_reserve_vcc 0
		.amdhsa_float_round_mode_32 0
		.amdhsa_float_round_mode_16_64 0
		.amdhsa_float_denorm_mode_32 3
		.amdhsa_float_denorm_mode_16_64 3
		.amdhsa_fp16_overflow 0
		.amdhsa_memory_ordered 1
		.amdhsa_forward_progress 1
		.amdhsa_inst_pref_size 0
		.amdhsa_round_robin_scheduling 0
		.amdhsa_exception_fp_ieee_invalid_op 0
		.amdhsa_exception_fp_denorm_src 0
		.amdhsa_exception_fp_ieee_div_zero 0
		.amdhsa_exception_fp_ieee_overflow 0
		.amdhsa_exception_fp_ieee_underflow 0
		.amdhsa_exception_fp_ieee_inexact 0
		.amdhsa_exception_int_div_zero 0
	.end_amdhsa_kernel
	.section	.text._ZN7rocprim17ROCPRIM_400000_NS6detail17trampoline_kernelINS0_14default_configENS1_38merge_sort_block_merge_config_selectorIiNS0_10empty_typeEEEZZNS1_27merge_sort_block_merge_implIS3_PiPS5_jNS1_19radix_merge_compareILb0ELb1EiNS0_19identity_decomposerEEEEE10hipError_tT0_T1_T2_jT3_P12ihipStream_tbPNSt15iterator_traitsISE_E10value_typeEPNSK_ISF_E10value_typeEPSG_NS1_7vsmem_tEENKUlT_SE_SF_SG_E_clIS8_S8_S9_S9_EESD_ST_SE_SF_SG_EUlST_E_NS1_11comp_targetILNS1_3genE10ELNS1_11target_archE1201ELNS1_3gpuE5ELNS1_3repE0EEENS1_48merge_mergepath_partition_config_static_selectorELNS0_4arch9wavefront6targetE0EEEvSF_,"axG",@progbits,_ZN7rocprim17ROCPRIM_400000_NS6detail17trampoline_kernelINS0_14default_configENS1_38merge_sort_block_merge_config_selectorIiNS0_10empty_typeEEEZZNS1_27merge_sort_block_merge_implIS3_PiPS5_jNS1_19radix_merge_compareILb0ELb1EiNS0_19identity_decomposerEEEEE10hipError_tT0_T1_T2_jT3_P12ihipStream_tbPNSt15iterator_traitsISE_E10value_typeEPNSK_ISF_E10value_typeEPSG_NS1_7vsmem_tEENKUlT_SE_SF_SG_E_clIS8_S8_S9_S9_EESD_ST_SE_SF_SG_EUlST_E_NS1_11comp_targetILNS1_3genE10ELNS1_11target_archE1201ELNS1_3gpuE5ELNS1_3repE0EEENS1_48merge_mergepath_partition_config_static_selectorELNS0_4arch9wavefront6targetE0EEEvSF_,comdat
.Lfunc_end919:
	.size	_ZN7rocprim17ROCPRIM_400000_NS6detail17trampoline_kernelINS0_14default_configENS1_38merge_sort_block_merge_config_selectorIiNS0_10empty_typeEEEZZNS1_27merge_sort_block_merge_implIS3_PiPS5_jNS1_19radix_merge_compareILb0ELb1EiNS0_19identity_decomposerEEEEE10hipError_tT0_T1_T2_jT3_P12ihipStream_tbPNSt15iterator_traitsISE_E10value_typeEPNSK_ISF_E10value_typeEPSG_NS1_7vsmem_tEENKUlT_SE_SF_SG_E_clIS8_S8_S9_S9_EESD_ST_SE_SF_SG_EUlST_E_NS1_11comp_targetILNS1_3genE10ELNS1_11target_archE1201ELNS1_3gpuE5ELNS1_3repE0EEENS1_48merge_mergepath_partition_config_static_selectorELNS0_4arch9wavefront6targetE0EEEvSF_, .Lfunc_end919-_ZN7rocprim17ROCPRIM_400000_NS6detail17trampoline_kernelINS0_14default_configENS1_38merge_sort_block_merge_config_selectorIiNS0_10empty_typeEEEZZNS1_27merge_sort_block_merge_implIS3_PiPS5_jNS1_19radix_merge_compareILb0ELb1EiNS0_19identity_decomposerEEEEE10hipError_tT0_T1_T2_jT3_P12ihipStream_tbPNSt15iterator_traitsISE_E10value_typeEPNSK_ISF_E10value_typeEPSG_NS1_7vsmem_tEENKUlT_SE_SF_SG_E_clIS8_S8_S9_S9_EESD_ST_SE_SF_SG_EUlST_E_NS1_11comp_targetILNS1_3genE10ELNS1_11target_archE1201ELNS1_3gpuE5ELNS1_3repE0EEENS1_48merge_mergepath_partition_config_static_selectorELNS0_4arch9wavefront6targetE0EEEvSF_
                                        ; -- End function
	.set _ZN7rocprim17ROCPRIM_400000_NS6detail17trampoline_kernelINS0_14default_configENS1_38merge_sort_block_merge_config_selectorIiNS0_10empty_typeEEEZZNS1_27merge_sort_block_merge_implIS3_PiPS5_jNS1_19radix_merge_compareILb0ELb1EiNS0_19identity_decomposerEEEEE10hipError_tT0_T1_T2_jT3_P12ihipStream_tbPNSt15iterator_traitsISE_E10value_typeEPNSK_ISF_E10value_typeEPSG_NS1_7vsmem_tEENKUlT_SE_SF_SG_E_clIS8_S8_S9_S9_EESD_ST_SE_SF_SG_EUlST_E_NS1_11comp_targetILNS1_3genE10ELNS1_11target_archE1201ELNS1_3gpuE5ELNS1_3repE0EEENS1_48merge_mergepath_partition_config_static_selectorELNS0_4arch9wavefront6targetE0EEEvSF_.num_vgpr, 0
	.set _ZN7rocprim17ROCPRIM_400000_NS6detail17trampoline_kernelINS0_14default_configENS1_38merge_sort_block_merge_config_selectorIiNS0_10empty_typeEEEZZNS1_27merge_sort_block_merge_implIS3_PiPS5_jNS1_19radix_merge_compareILb0ELb1EiNS0_19identity_decomposerEEEEE10hipError_tT0_T1_T2_jT3_P12ihipStream_tbPNSt15iterator_traitsISE_E10value_typeEPNSK_ISF_E10value_typeEPSG_NS1_7vsmem_tEENKUlT_SE_SF_SG_E_clIS8_S8_S9_S9_EESD_ST_SE_SF_SG_EUlST_E_NS1_11comp_targetILNS1_3genE10ELNS1_11target_archE1201ELNS1_3gpuE5ELNS1_3repE0EEENS1_48merge_mergepath_partition_config_static_selectorELNS0_4arch9wavefront6targetE0EEEvSF_.num_agpr, 0
	.set _ZN7rocprim17ROCPRIM_400000_NS6detail17trampoline_kernelINS0_14default_configENS1_38merge_sort_block_merge_config_selectorIiNS0_10empty_typeEEEZZNS1_27merge_sort_block_merge_implIS3_PiPS5_jNS1_19radix_merge_compareILb0ELb1EiNS0_19identity_decomposerEEEEE10hipError_tT0_T1_T2_jT3_P12ihipStream_tbPNSt15iterator_traitsISE_E10value_typeEPNSK_ISF_E10value_typeEPSG_NS1_7vsmem_tEENKUlT_SE_SF_SG_E_clIS8_S8_S9_S9_EESD_ST_SE_SF_SG_EUlST_E_NS1_11comp_targetILNS1_3genE10ELNS1_11target_archE1201ELNS1_3gpuE5ELNS1_3repE0EEENS1_48merge_mergepath_partition_config_static_selectorELNS0_4arch9wavefront6targetE0EEEvSF_.numbered_sgpr, 0
	.set _ZN7rocprim17ROCPRIM_400000_NS6detail17trampoline_kernelINS0_14default_configENS1_38merge_sort_block_merge_config_selectorIiNS0_10empty_typeEEEZZNS1_27merge_sort_block_merge_implIS3_PiPS5_jNS1_19radix_merge_compareILb0ELb1EiNS0_19identity_decomposerEEEEE10hipError_tT0_T1_T2_jT3_P12ihipStream_tbPNSt15iterator_traitsISE_E10value_typeEPNSK_ISF_E10value_typeEPSG_NS1_7vsmem_tEENKUlT_SE_SF_SG_E_clIS8_S8_S9_S9_EESD_ST_SE_SF_SG_EUlST_E_NS1_11comp_targetILNS1_3genE10ELNS1_11target_archE1201ELNS1_3gpuE5ELNS1_3repE0EEENS1_48merge_mergepath_partition_config_static_selectorELNS0_4arch9wavefront6targetE0EEEvSF_.num_named_barrier, 0
	.set _ZN7rocprim17ROCPRIM_400000_NS6detail17trampoline_kernelINS0_14default_configENS1_38merge_sort_block_merge_config_selectorIiNS0_10empty_typeEEEZZNS1_27merge_sort_block_merge_implIS3_PiPS5_jNS1_19radix_merge_compareILb0ELb1EiNS0_19identity_decomposerEEEEE10hipError_tT0_T1_T2_jT3_P12ihipStream_tbPNSt15iterator_traitsISE_E10value_typeEPNSK_ISF_E10value_typeEPSG_NS1_7vsmem_tEENKUlT_SE_SF_SG_E_clIS8_S8_S9_S9_EESD_ST_SE_SF_SG_EUlST_E_NS1_11comp_targetILNS1_3genE10ELNS1_11target_archE1201ELNS1_3gpuE5ELNS1_3repE0EEENS1_48merge_mergepath_partition_config_static_selectorELNS0_4arch9wavefront6targetE0EEEvSF_.private_seg_size, 0
	.set _ZN7rocprim17ROCPRIM_400000_NS6detail17trampoline_kernelINS0_14default_configENS1_38merge_sort_block_merge_config_selectorIiNS0_10empty_typeEEEZZNS1_27merge_sort_block_merge_implIS3_PiPS5_jNS1_19radix_merge_compareILb0ELb1EiNS0_19identity_decomposerEEEEE10hipError_tT0_T1_T2_jT3_P12ihipStream_tbPNSt15iterator_traitsISE_E10value_typeEPNSK_ISF_E10value_typeEPSG_NS1_7vsmem_tEENKUlT_SE_SF_SG_E_clIS8_S8_S9_S9_EESD_ST_SE_SF_SG_EUlST_E_NS1_11comp_targetILNS1_3genE10ELNS1_11target_archE1201ELNS1_3gpuE5ELNS1_3repE0EEENS1_48merge_mergepath_partition_config_static_selectorELNS0_4arch9wavefront6targetE0EEEvSF_.uses_vcc, 0
	.set _ZN7rocprim17ROCPRIM_400000_NS6detail17trampoline_kernelINS0_14default_configENS1_38merge_sort_block_merge_config_selectorIiNS0_10empty_typeEEEZZNS1_27merge_sort_block_merge_implIS3_PiPS5_jNS1_19radix_merge_compareILb0ELb1EiNS0_19identity_decomposerEEEEE10hipError_tT0_T1_T2_jT3_P12ihipStream_tbPNSt15iterator_traitsISE_E10value_typeEPNSK_ISF_E10value_typeEPSG_NS1_7vsmem_tEENKUlT_SE_SF_SG_E_clIS8_S8_S9_S9_EESD_ST_SE_SF_SG_EUlST_E_NS1_11comp_targetILNS1_3genE10ELNS1_11target_archE1201ELNS1_3gpuE5ELNS1_3repE0EEENS1_48merge_mergepath_partition_config_static_selectorELNS0_4arch9wavefront6targetE0EEEvSF_.uses_flat_scratch, 0
	.set _ZN7rocprim17ROCPRIM_400000_NS6detail17trampoline_kernelINS0_14default_configENS1_38merge_sort_block_merge_config_selectorIiNS0_10empty_typeEEEZZNS1_27merge_sort_block_merge_implIS3_PiPS5_jNS1_19radix_merge_compareILb0ELb1EiNS0_19identity_decomposerEEEEE10hipError_tT0_T1_T2_jT3_P12ihipStream_tbPNSt15iterator_traitsISE_E10value_typeEPNSK_ISF_E10value_typeEPSG_NS1_7vsmem_tEENKUlT_SE_SF_SG_E_clIS8_S8_S9_S9_EESD_ST_SE_SF_SG_EUlST_E_NS1_11comp_targetILNS1_3genE10ELNS1_11target_archE1201ELNS1_3gpuE5ELNS1_3repE0EEENS1_48merge_mergepath_partition_config_static_selectorELNS0_4arch9wavefront6targetE0EEEvSF_.has_dyn_sized_stack, 0
	.set _ZN7rocprim17ROCPRIM_400000_NS6detail17trampoline_kernelINS0_14default_configENS1_38merge_sort_block_merge_config_selectorIiNS0_10empty_typeEEEZZNS1_27merge_sort_block_merge_implIS3_PiPS5_jNS1_19radix_merge_compareILb0ELb1EiNS0_19identity_decomposerEEEEE10hipError_tT0_T1_T2_jT3_P12ihipStream_tbPNSt15iterator_traitsISE_E10value_typeEPNSK_ISF_E10value_typeEPSG_NS1_7vsmem_tEENKUlT_SE_SF_SG_E_clIS8_S8_S9_S9_EESD_ST_SE_SF_SG_EUlST_E_NS1_11comp_targetILNS1_3genE10ELNS1_11target_archE1201ELNS1_3gpuE5ELNS1_3repE0EEENS1_48merge_mergepath_partition_config_static_selectorELNS0_4arch9wavefront6targetE0EEEvSF_.has_recursion, 0
	.set _ZN7rocprim17ROCPRIM_400000_NS6detail17trampoline_kernelINS0_14default_configENS1_38merge_sort_block_merge_config_selectorIiNS0_10empty_typeEEEZZNS1_27merge_sort_block_merge_implIS3_PiPS5_jNS1_19radix_merge_compareILb0ELb1EiNS0_19identity_decomposerEEEEE10hipError_tT0_T1_T2_jT3_P12ihipStream_tbPNSt15iterator_traitsISE_E10value_typeEPNSK_ISF_E10value_typeEPSG_NS1_7vsmem_tEENKUlT_SE_SF_SG_E_clIS8_S8_S9_S9_EESD_ST_SE_SF_SG_EUlST_E_NS1_11comp_targetILNS1_3genE10ELNS1_11target_archE1201ELNS1_3gpuE5ELNS1_3repE0EEENS1_48merge_mergepath_partition_config_static_selectorELNS0_4arch9wavefront6targetE0EEEvSF_.has_indirect_call, 0
	.section	.AMDGPU.csdata,"",@progbits
; Kernel info:
; codeLenInByte = 0
; TotalNumSgprs: 0
; NumVgprs: 0
; ScratchSize: 0
; MemoryBound: 0
; FloatMode: 240
; IeeeMode: 1
; LDSByteSize: 0 bytes/workgroup (compile time only)
; SGPRBlocks: 0
; VGPRBlocks: 0
; NumSGPRsForWavesPerEU: 1
; NumVGPRsForWavesPerEU: 1
; NamedBarCnt: 0
; Occupancy: 16
; WaveLimiterHint : 0
; COMPUTE_PGM_RSRC2:SCRATCH_EN: 0
; COMPUTE_PGM_RSRC2:USER_SGPR: 2
; COMPUTE_PGM_RSRC2:TRAP_HANDLER: 0
; COMPUTE_PGM_RSRC2:TGID_X_EN: 1
; COMPUTE_PGM_RSRC2:TGID_Y_EN: 0
; COMPUTE_PGM_RSRC2:TGID_Z_EN: 0
; COMPUTE_PGM_RSRC2:TIDIG_COMP_CNT: 0
	.section	.text._ZN7rocprim17ROCPRIM_400000_NS6detail17trampoline_kernelINS0_14default_configENS1_38merge_sort_block_merge_config_selectorIiNS0_10empty_typeEEEZZNS1_27merge_sort_block_merge_implIS3_PiPS5_jNS1_19radix_merge_compareILb0ELb1EiNS0_19identity_decomposerEEEEE10hipError_tT0_T1_T2_jT3_P12ihipStream_tbPNSt15iterator_traitsISE_E10value_typeEPNSK_ISF_E10value_typeEPSG_NS1_7vsmem_tEENKUlT_SE_SF_SG_E_clIS8_S8_S9_S9_EESD_ST_SE_SF_SG_EUlST_E_NS1_11comp_targetILNS1_3genE5ELNS1_11target_archE942ELNS1_3gpuE9ELNS1_3repE0EEENS1_48merge_mergepath_partition_config_static_selectorELNS0_4arch9wavefront6targetE0EEEvSF_,"axG",@progbits,_ZN7rocprim17ROCPRIM_400000_NS6detail17trampoline_kernelINS0_14default_configENS1_38merge_sort_block_merge_config_selectorIiNS0_10empty_typeEEEZZNS1_27merge_sort_block_merge_implIS3_PiPS5_jNS1_19radix_merge_compareILb0ELb1EiNS0_19identity_decomposerEEEEE10hipError_tT0_T1_T2_jT3_P12ihipStream_tbPNSt15iterator_traitsISE_E10value_typeEPNSK_ISF_E10value_typeEPSG_NS1_7vsmem_tEENKUlT_SE_SF_SG_E_clIS8_S8_S9_S9_EESD_ST_SE_SF_SG_EUlST_E_NS1_11comp_targetILNS1_3genE5ELNS1_11target_archE942ELNS1_3gpuE9ELNS1_3repE0EEENS1_48merge_mergepath_partition_config_static_selectorELNS0_4arch9wavefront6targetE0EEEvSF_,comdat
	.protected	_ZN7rocprim17ROCPRIM_400000_NS6detail17trampoline_kernelINS0_14default_configENS1_38merge_sort_block_merge_config_selectorIiNS0_10empty_typeEEEZZNS1_27merge_sort_block_merge_implIS3_PiPS5_jNS1_19radix_merge_compareILb0ELb1EiNS0_19identity_decomposerEEEEE10hipError_tT0_T1_T2_jT3_P12ihipStream_tbPNSt15iterator_traitsISE_E10value_typeEPNSK_ISF_E10value_typeEPSG_NS1_7vsmem_tEENKUlT_SE_SF_SG_E_clIS8_S8_S9_S9_EESD_ST_SE_SF_SG_EUlST_E_NS1_11comp_targetILNS1_3genE5ELNS1_11target_archE942ELNS1_3gpuE9ELNS1_3repE0EEENS1_48merge_mergepath_partition_config_static_selectorELNS0_4arch9wavefront6targetE0EEEvSF_ ; -- Begin function _ZN7rocprim17ROCPRIM_400000_NS6detail17trampoline_kernelINS0_14default_configENS1_38merge_sort_block_merge_config_selectorIiNS0_10empty_typeEEEZZNS1_27merge_sort_block_merge_implIS3_PiPS5_jNS1_19radix_merge_compareILb0ELb1EiNS0_19identity_decomposerEEEEE10hipError_tT0_T1_T2_jT3_P12ihipStream_tbPNSt15iterator_traitsISE_E10value_typeEPNSK_ISF_E10value_typeEPSG_NS1_7vsmem_tEENKUlT_SE_SF_SG_E_clIS8_S8_S9_S9_EESD_ST_SE_SF_SG_EUlST_E_NS1_11comp_targetILNS1_3genE5ELNS1_11target_archE942ELNS1_3gpuE9ELNS1_3repE0EEENS1_48merge_mergepath_partition_config_static_selectorELNS0_4arch9wavefront6targetE0EEEvSF_
	.globl	_ZN7rocprim17ROCPRIM_400000_NS6detail17trampoline_kernelINS0_14default_configENS1_38merge_sort_block_merge_config_selectorIiNS0_10empty_typeEEEZZNS1_27merge_sort_block_merge_implIS3_PiPS5_jNS1_19radix_merge_compareILb0ELb1EiNS0_19identity_decomposerEEEEE10hipError_tT0_T1_T2_jT3_P12ihipStream_tbPNSt15iterator_traitsISE_E10value_typeEPNSK_ISF_E10value_typeEPSG_NS1_7vsmem_tEENKUlT_SE_SF_SG_E_clIS8_S8_S9_S9_EESD_ST_SE_SF_SG_EUlST_E_NS1_11comp_targetILNS1_3genE5ELNS1_11target_archE942ELNS1_3gpuE9ELNS1_3repE0EEENS1_48merge_mergepath_partition_config_static_selectorELNS0_4arch9wavefront6targetE0EEEvSF_
	.p2align	8
	.type	_ZN7rocprim17ROCPRIM_400000_NS6detail17trampoline_kernelINS0_14default_configENS1_38merge_sort_block_merge_config_selectorIiNS0_10empty_typeEEEZZNS1_27merge_sort_block_merge_implIS3_PiPS5_jNS1_19radix_merge_compareILb0ELb1EiNS0_19identity_decomposerEEEEE10hipError_tT0_T1_T2_jT3_P12ihipStream_tbPNSt15iterator_traitsISE_E10value_typeEPNSK_ISF_E10value_typeEPSG_NS1_7vsmem_tEENKUlT_SE_SF_SG_E_clIS8_S8_S9_S9_EESD_ST_SE_SF_SG_EUlST_E_NS1_11comp_targetILNS1_3genE5ELNS1_11target_archE942ELNS1_3gpuE9ELNS1_3repE0EEENS1_48merge_mergepath_partition_config_static_selectorELNS0_4arch9wavefront6targetE0EEEvSF_,@function
_ZN7rocprim17ROCPRIM_400000_NS6detail17trampoline_kernelINS0_14default_configENS1_38merge_sort_block_merge_config_selectorIiNS0_10empty_typeEEEZZNS1_27merge_sort_block_merge_implIS3_PiPS5_jNS1_19radix_merge_compareILb0ELb1EiNS0_19identity_decomposerEEEEE10hipError_tT0_T1_T2_jT3_P12ihipStream_tbPNSt15iterator_traitsISE_E10value_typeEPNSK_ISF_E10value_typeEPSG_NS1_7vsmem_tEENKUlT_SE_SF_SG_E_clIS8_S8_S9_S9_EESD_ST_SE_SF_SG_EUlST_E_NS1_11comp_targetILNS1_3genE5ELNS1_11target_archE942ELNS1_3gpuE9ELNS1_3repE0EEENS1_48merge_mergepath_partition_config_static_selectorELNS0_4arch9wavefront6targetE0EEEvSF_: ; @_ZN7rocprim17ROCPRIM_400000_NS6detail17trampoline_kernelINS0_14default_configENS1_38merge_sort_block_merge_config_selectorIiNS0_10empty_typeEEEZZNS1_27merge_sort_block_merge_implIS3_PiPS5_jNS1_19radix_merge_compareILb0ELb1EiNS0_19identity_decomposerEEEEE10hipError_tT0_T1_T2_jT3_P12ihipStream_tbPNSt15iterator_traitsISE_E10value_typeEPNSK_ISF_E10value_typeEPSG_NS1_7vsmem_tEENKUlT_SE_SF_SG_E_clIS8_S8_S9_S9_EESD_ST_SE_SF_SG_EUlST_E_NS1_11comp_targetILNS1_3genE5ELNS1_11target_archE942ELNS1_3gpuE9ELNS1_3repE0EEENS1_48merge_mergepath_partition_config_static_selectorELNS0_4arch9wavefront6targetE0EEEvSF_
; %bb.0:
	.section	.rodata,"a",@progbits
	.p2align	6, 0x0
	.amdhsa_kernel _ZN7rocprim17ROCPRIM_400000_NS6detail17trampoline_kernelINS0_14default_configENS1_38merge_sort_block_merge_config_selectorIiNS0_10empty_typeEEEZZNS1_27merge_sort_block_merge_implIS3_PiPS5_jNS1_19radix_merge_compareILb0ELb1EiNS0_19identity_decomposerEEEEE10hipError_tT0_T1_T2_jT3_P12ihipStream_tbPNSt15iterator_traitsISE_E10value_typeEPNSK_ISF_E10value_typeEPSG_NS1_7vsmem_tEENKUlT_SE_SF_SG_E_clIS8_S8_S9_S9_EESD_ST_SE_SF_SG_EUlST_E_NS1_11comp_targetILNS1_3genE5ELNS1_11target_archE942ELNS1_3gpuE9ELNS1_3repE0EEENS1_48merge_mergepath_partition_config_static_selectorELNS0_4arch9wavefront6targetE0EEEvSF_
		.amdhsa_group_segment_fixed_size 0
		.amdhsa_private_segment_fixed_size 0
		.amdhsa_kernarg_size 40
		.amdhsa_user_sgpr_count 2
		.amdhsa_user_sgpr_dispatch_ptr 0
		.amdhsa_user_sgpr_queue_ptr 0
		.amdhsa_user_sgpr_kernarg_segment_ptr 1
		.amdhsa_user_sgpr_dispatch_id 0
		.amdhsa_user_sgpr_kernarg_preload_length 0
		.amdhsa_user_sgpr_kernarg_preload_offset 0
		.amdhsa_user_sgpr_private_segment_size 0
		.amdhsa_wavefront_size32 1
		.amdhsa_uses_dynamic_stack 0
		.amdhsa_enable_private_segment 0
		.amdhsa_system_sgpr_workgroup_id_x 1
		.amdhsa_system_sgpr_workgroup_id_y 0
		.amdhsa_system_sgpr_workgroup_id_z 0
		.amdhsa_system_sgpr_workgroup_info 0
		.amdhsa_system_vgpr_workitem_id 0
		.amdhsa_next_free_vgpr 1
		.amdhsa_next_free_sgpr 1
		.amdhsa_named_barrier_count 0
		.amdhsa_reserve_vcc 0
		.amdhsa_float_round_mode_32 0
		.amdhsa_float_round_mode_16_64 0
		.amdhsa_float_denorm_mode_32 3
		.amdhsa_float_denorm_mode_16_64 3
		.amdhsa_fp16_overflow 0
		.amdhsa_memory_ordered 1
		.amdhsa_forward_progress 1
		.amdhsa_inst_pref_size 0
		.amdhsa_round_robin_scheduling 0
		.amdhsa_exception_fp_ieee_invalid_op 0
		.amdhsa_exception_fp_denorm_src 0
		.amdhsa_exception_fp_ieee_div_zero 0
		.amdhsa_exception_fp_ieee_overflow 0
		.amdhsa_exception_fp_ieee_underflow 0
		.amdhsa_exception_fp_ieee_inexact 0
		.amdhsa_exception_int_div_zero 0
	.end_amdhsa_kernel
	.section	.text._ZN7rocprim17ROCPRIM_400000_NS6detail17trampoline_kernelINS0_14default_configENS1_38merge_sort_block_merge_config_selectorIiNS0_10empty_typeEEEZZNS1_27merge_sort_block_merge_implIS3_PiPS5_jNS1_19radix_merge_compareILb0ELb1EiNS0_19identity_decomposerEEEEE10hipError_tT0_T1_T2_jT3_P12ihipStream_tbPNSt15iterator_traitsISE_E10value_typeEPNSK_ISF_E10value_typeEPSG_NS1_7vsmem_tEENKUlT_SE_SF_SG_E_clIS8_S8_S9_S9_EESD_ST_SE_SF_SG_EUlST_E_NS1_11comp_targetILNS1_3genE5ELNS1_11target_archE942ELNS1_3gpuE9ELNS1_3repE0EEENS1_48merge_mergepath_partition_config_static_selectorELNS0_4arch9wavefront6targetE0EEEvSF_,"axG",@progbits,_ZN7rocprim17ROCPRIM_400000_NS6detail17trampoline_kernelINS0_14default_configENS1_38merge_sort_block_merge_config_selectorIiNS0_10empty_typeEEEZZNS1_27merge_sort_block_merge_implIS3_PiPS5_jNS1_19radix_merge_compareILb0ELb1EiNS0_19identity_decomposerEEEEE10hipError_tT0_T1_T2_jT3_P12ihipStream_tbPNSt15iterator_traitsISE_E10value_typeEPNSK_ISF_E10value_typeEPSG_NS1_7vsmem_tEENKUlT_SE_SF_SG_E_clIS8_S8_S9_S9_EESD_ST_SE_SF_SG_EUlST_E_NS1_11comp_targetILNS1_3genE5ELNS1_11target_archE942ELNS1_3gpuE9ELNS1_3repE0EEENS1_48merge_mergepath_partition_config_static_selectorELNS0_4arch9wavefront6targetE0EEEvSF_,comdat
.Lfunc_end920:
	.size	_ZN7rocprim17ROCPRIM_400000_NS6detail17trampoline_kernelINS0_14default_configENS1_38merge_sort_block_merge_config_selectorIiNS0_10empty_typeEEEZZNS1_27merge_sort_block_merge_implIS3_PiPS5_jNS1_19radix_merge_compareILb0ELb1EiNS0_19identity_decomposerEEEEE10hipError_tT0_T1_T2_jT3_P12ihipStream_tbPNSt15iterator_traitsISE_E10value_typeEPNSK_ISF_E10value_typeEPSG_NS1_7vsmem_tEENKUlT_SE_SF_SG_E_clIS8_S8_S9_S9_EESD_ST_SE_SF_SG_EUlST_E_NS1_11comp_targetILNS1_3genE5ELNS1_11target_archE942ELNS1_3gpuE9ELNS1_3repE0EEENS1_48merge_mergepath_partition_config_static_selectorELNS0_4arch9wavefront6targetE0EEEvSF_, .Lfunc_end920-_ZN7rocprim17ROCPRIM_400000_NS6detail17trampoline_kernelINS0_14default_configENS1_38merge_sort_block_merge_config_selectorIiNS0_10empty_typeEEEZZNS1_27merge_sort_block_merge_implIS3_PiPS5_jNS1_19radix_merge_compareILb0ELb1EiNS0_19identity_decomposerEEEEE10hipError_tT0_T1_T2_jT3_P12ihipStream_tbPNSt15iterator_traitsISE_E10value_typeEPNSK_ISF_E10value_typeEPSG_NS1_7vsmem_tEENKUlT_SE_SF_SG_E_clIS8_S8_S9_S9_EESD_ST_SE_SF_SG_EUlST_E_NS1_11comp_targetILNS1_3genE5ELNS1_11target_archE942ELNS1_3gpuE9ELNS1_3repE0EEENS1_48merge_mergepath_partition_config_static_selectorELNS0_4arch9wavefront6targetE0EEEvSF_
                                        ; -- End function
	.set _ZN7rocprim17ROCPRIM_400000_NS6detail17trampoline_kernelINS0_14default_configENS1_38merge_sort_block_merge_config_selectorIiNS0_10empty_typeEEEZZNS1_27merge_sort_block_merge_implIS3_PiPS5_jNS1_19radix_merge_compareILb0ELb1EiNS0_19identity_decomposerEEEEE10hipError_tT0_T1_T2_jT3_P12ihipStream_tbPNSt15iterator_traitsISE_E10value_typeEPNSK_ISF_E10value_typeEPSG_NS1_7vsmem_tEENKUlT_SE_SF_SG_E_clIS8_S8_S9_S9_EESD_ST_SE_SF_SG_EUlST_E_NS1_11comp_targetILNS1_3genE5ELNS1_11target_archE942ELNS1_3gpuE9ELNS1_3repE0EEENS1_48merge_mergepath_partition_config_static_selectorELNS0_4arch9wavefront6targetE0EEEvSF_.num_vgpr, 0
	.set _ZN7rocprim17ROCPRIM_400000_NS6detail17trampoline_kernelINS0_14default_configENS1_38merge_sort_block_merge_config_selectorIiNS0_10empty_typeEEEZZNS1_27merge_sort_block_merge_implIS3_PiPS5_jNS1_19radix_merge_compareILb0ELb1EiNS0_19identity_decomposerEEEEE10hipError_tT0_T1_T2_jT3_P12ihipStream_tbPNSt15iterator_traitsISE_E10value_typeEPNSK_ISF_E10value_typeEPSG_NS1_7vsmem_tEENKUlT_SE_SF_SG_E_clIS8_S8_S9_S9_EESD_ST_SE_SF_SG_EUlST_E_NS1_11comp_targetILNS1_3genE5ELNS1_11target_archE942ELNS1_3gpuE9ELNS1_3repE0EEENS1_48merge_mergepath_partition_config_static_selectorELNS0_4arch9wavefront6targetE0EEEvSF_.num_agpr, 0
	.set _ZN7rocprim17ROCPRIM_400000_NS6detail17trampoline_kernelINS0_14default_configENS1_38merge_sort_block_merge_config_selectorIiNS0_10empty_typeEEEZZNS1_27merge_sort_block_merge_implIS3_PiPS5_jNS1_19radix_merge_compareILb0ELb1EiNS0_19identity_decomposerEEEEE10hipError_tT0_T1_T2_jT3_P12ihipStream_tbPNSt15iterator_traitsISE_E10value_typeEPNSK_ISF_E10value_typeEPSG_NS1_7vsmem_tEENKUlT_SE_SF_SG_E_clIS8_S8_S9_S9_EESD_ST_SE_SF_SG_EUlST_E_NS1_11comp_targetILNS1_3genE5ELNS1_11target_archE942ELNS1_3gpuE9ELNS1_3repE0EEENS1_48merge_mergepath_partition_config_static_selectorELNS0_4arch9wavefront6targetE0EEEvSF_.numbered_sgpr, 0
	.set _ZN7rocprim17ROCPRIM_400000_NS6detail17trampoline_kernelINS0_14default_configENS1_38merge_sort_block_merge_config_selectorIiNS0_10empty_typeEEEZZNS1_27merge_sort_block_merge_implIS3_PiPS5_jNS1_19radix_merge_compareILb0ELb1EiNS0_19identity_decomposerEEEEE10hipError_tT0_T1_T2_jT3_P12ihipStream_tbPNSt15iterator_traitsISE_E10value_typeEPNSK_ISF_E10value_typeEPSG_NS1_7vsmem_tEENKUlT_SE_SF_SG_E_clIS8_S8_S9_S9_EESD_ST_SE_SF_SG_EUlST_E_NS1_11comp_targetILNS1_3genE5ELNS1_11target_archE942ELNS1_3gpuE9ELNS1_3repE0EEENS1_48merge_mergepath_partition_config_static_selectorELNS0_4arch9wavefront6targetE0EEEvSF_.num_named_barrier, 0
	.set _ZN7rocprim17ROCPRIM_400000_NS6detail17trampoline_kernelINS0_14default_configENS1_38merge_sort_block_merge_config_selectorIiNS0_10empty_typeEEEZZNS1_27merge_sort_block_merge_implIS3_PiPS5_jNS1_19radix_merge_compareILb0ELb1EiNS0_19identity_decomposerEEEEE10hipError_tT0_T1_T2_jT3_P12ihipStream_tbPNSt15iterator_traitsISE_E10value_typeEPNSK_ISF_E10value_typeEPSG_NS1_7vsmem_tEENKUlT_SE_SF_SG_E_clIS8_S8_S9_S9_EESD_ST_SE_SF_SG_EUlST_E_NS1_11comp_targetILNS1_3genE5ELNS1_11target_archE942ELNS1_3gpuE9ELNS1_3repE0EEENS1_48merge_mergepath_partition_config_static_selectorELNS0_4arch9wavefront6targetE0EEEvSF_.private_seg_size, 0
	.set _ZN7rocprim17ROCPRIM_400000_NS6detail17trampoline_kernelINS0_14default_configENS1_38merge_sort_block_merge_config_selectorIiNS0_10empty_typeEEEZZNS1_27merge_sort_block_merge_implIS3_PiPS5_jNS1_19radix_merge_compareILb0ELb1EiNS0_19identity_decomposerEEEEE10hipError_tT0_T1_T2_jT3_P12ihipStream_tbPNSt15iterator_traitsISE_E10value_typeEPNSK_ISF_E10value_typeEPSG_NS1_7vsmem_tEENKUlT_SE_SF_SG_E_clIS8_S8_S9_S9_EESD_ST_SE_SF_SG_EUlST_E_NS1_11comp_targetILNS1_3genE5ELNS1_11target_archE942ELNS1_3gpuE9ELNS1_3repE0EEENS1_48merge_mergepath_partition_config_static_selectorELNS0_4arch9wavefront6targetE0EEEvSF_.uses_vcc, 0
	.set _ZN7rocprim17ROCPRIM_400000_NS6detail17trampoline_kernelINS0_14default_configENS1_38merge_sort_block_merge_config_selectorIiNS0_10empty_typeEEEZZNS1_27merge_sort_block_merge_implIS3_PiPS5_jNS1_19radix_merge_compareILb0ELb1EiNS0_19identity_decomposerEEEEE10hipError_tT0_T1_T2_jT3_P12ihipStream_tbPNSt15iterator_traitsISE_E10value_typeEPNSK_ISF_E10value_typeEPSG_NS1_7vsmem_tEENKUlT_SE_SF_SG_E_clIS8_S8_S9_S9_EESD_ST_SE_SF_SG_EUlST_E_NS1_11comp_targetILNS1_3genE5ELNS1_11target_archE942ELNS1_3gpuE9ELNS1_3repE0EEENS1_48merge_mergepath_partition_config_static_selectorELNS0_4arch9wavefront6targetE0EEEvSF_.uses_flat_scratch, 0
	.set _ZN7rocprim17ROCPRIM_400000_NS6detail17trampoline_kernelINS0_14default_configENS1_38merge_sort_block_merge_config_selectorIiNS0_10empty_typeEEEZZNS1_27merge_sort_block_merge_implIS3_PiPS5_jNS1_19radix_merge_compareILb0ELb1EiNS0_19identity_decomposerEEEEE10hipError_tT0_T1_T2_jT3_P12ihipStream_tbPNSt15iterator_traitsISE_E10value_typeEPNSK_ISF_E10value_typeEPSG_NS1_7vsmem_tEENKUlT_SE_SF_SG_E_clIS8_S8_S9_S9_EESD_ST_SE_SF_SG_EUlST_E_NS1_11comp_targetILNS1_3genE5ELNS1_11target_archE942ELNS1_3gpuE9ELNS1_3repE0EEENS1_48merge_mergepath_partition_config_static_selectorELNS0_4arch9wavefront6targetE0EEEvSF_.has_dyn_sized_stack, 0
	.set _ZN7rocprim17ROCPRIM_400000_NS6detail17trampoline_kernelINS0_14default_configENS1_38merge_sort_block_merge_config_selectorIiNS0_10empty_typeEEEZZNS1_27merge_sort_block_merge_implIS3_PiPS5_jNS1_19radix_merge_compareILb0ELb1EiNS0_19identity_decomposerEEEEE10hipError_tT0_T1_T2_jT3_P12ihipStream_tbPNSt15iterator_traitsISE_E10value_typeEPNSK_ISF_E10value_typeEPSG_NS1_7vsmem_tEENKUlT_SE_SF_SG_E_clIS8_S8_S9_S9_EESD_ST_SE_SF_SG_EUlST_E_NS1_11comp_targetILNS1_3genE5ELNS1_11target_archE942ELNS1_3gpuE9ELNS1_3repE0EEENS1_48merge_mergepath_partition_config_static_selectorELNS0_4arch9wavefront6targetE0EEEvSF_.has_recursion, 0
	.set _ZN7rocprim17ROCPRIM_400000_NS6detail17trampoline_kernelINS0_14default_configENS1_38merge_sort_block_merge_config_selectorIiNS0_10empty_typeEEEZZNS1_27merge_sort_block_merge_implIS3_PiPS5_jNS1_19radix_merge_compareILb0ELb1EiNS0_19identity_decomposerEEEEE10hipError_tT0_T1_T2_jT3_P12ihipStream_tbPNSt15iterator_traitsISE_E10value_typeEPNSK_ISF_E10value_typeEPSG_NS1_7vsmem_tEENKUlT_SE_SF_SG_E_clIS8_S8_S9_S9_EESD_ST_SE_SF_SG_EUlST_E_NS1_11comp_targetILNS1_3genE5ELNS1_11target_archE942ELNS1_3gpuE9ELNS1_3repE0EEENS1_48merge_mergepath_partition_config_static_selectorELNS0_4arch9wavefront6targetE0EEEvSF_.has_indirect_call, 0
	.section	.AMDGPU.csdata,"",@progbits
; Kernel info:
; codeLenInByte = 0
; TotalNumSgprs: 0
; NumVgprs: 0
; ScratchSize: 0
; MemoryBound: 0
; FloatMode: 240
; IeeeMode: 1
; LDSByteSize: 0 bytes/workgroup (compile time only)
; SGPRBlocks: 0
; VGPRBlocks: 0
; NumSGPRsForWavesPerEU: 1
; NumVGPRsForWavesPerEU: 1
; NamedBarCnt: 0
; Occupancy: 16
; WaveLimiterHint : 0
; COMPUTE_PGM_RSRC2:SCRATCH_EN: 0
; COMPUTE_PGM_RSRC2:USER_SGPR: 2
; COMPUTE_PGM_RSRC2:TRAP_HANDLER: 0
; COMPUTE_PGM_RSRC2:TGID_X_EN: 1
; COMPUTE_PGM_RSRC2:TGID_Y_EN: 0
; COMPUTE_PGM_RSRC2:TGID_Z_EN: 0
; COMPUTE_PGM_RSRC2:TIDIG_COMP_CNT: 0
	.section	.text._ZN7rocprim17ROCPRIM_400000_NS6detail17trampoline_kernelINS0_14default_configENS1_38merge_sort_block_merge_config_selectorIiNS0_10empty_typeEEEZZNS1_27merge_sort_block_merge_implIS3_PiPS5_jNS1_19radix_merge_compareILb0ELb1EiNS0_19identity_decomposerEEEEE10hipError_tT0_T1_T2_jT3_P12ihipStream_tbPNSt15iterator_traitsISE_E10value_typeEPNSK_ISF_E10value_typeEPSG_NS1_7vsmem_tEENKUlT_SE_SF_SG_E_clIS8_S8_S9_S9_EESD_ST_SE_SF_SG_EUlST_E_NS1_11comp_targetILNS1_3genE4ELNS1_11target_archE910ELNS1_3gpuE8ELNS1_3repE0EEENS1_48merge_mergepath_partition_config_static_selectorELNS0_4arch9wavefront6targetE0EEEvSF_,"axG",@progbits,_ZN7rocprim17ROCPRIM_400000_NS6detail17trampoline_kernelINS0_14default_configENS1_38merge_sort_block_merge_config_selectorIiNS0_10empty_typeEEEZZNS1_27merge_sort_block_merge_implIS3_PiPS5_jNS1_19radix_merge_compareILb0ELb1EiNS0_19identity_decomposerEEEEE10hipError_tT0_T1_T2_jT3_P12ihipStream_tbPNSt15iterator_traitsISE_E10value_typeEPNSK_ISF_E10value_typeEPSG_NS1_7vsmem_tEENKUlT_SE_SF_SG_E_clIS8_S8_S9_S9_EESD_ST_SE_SF_SG_EUlST_E_NS1_11comp_targetILNS1_3genE4ELNS1_11target_archE910ELNS1_3gpuE8ELNS1_3repE0EEENS1_48merge_mergepath_partition_config_static_selectorELNS0_4arch9wavefront6targetE0EEEvSF_,comdat
	.protected	_ZN7rocprim17ROCPRIM_400000_NS6detail17trampoline_kernelINS0_14default_configENS1_38merge_sort_block_merge_config_selectorIiNS0_10empty_typeEEEZZNS1_27merge_sort_block_merge_implIS3_PiPS5_jNS1_19radix_merge_compareILb0ELb1EiNS0_19identity_decomposerEEEEE10hipError_tT0_T1_T2_jT3_P12ihipStream_tbPNSt15iterator_traitsISE_E10value_typeEPNSK_ISF_E10value_typeEPSG_NS1_7vsmem_tEENKUlT_SE_SF_SG_E_clIS8_S8_S9_S9_EESD_ST_SE_SF_SG_EUlST_E_NS1_11comp_targetILNS1_3genE4ELNS1_11target_archE910ELNS1_3gpuE8ELNS1_3repE0EEENS1_48merge_mergepath_partition_config_static_selectorELNS0_4arch9wavefront6targetE0EEEvSF_ ; -- Begin function _ZN7rocprim17ROCPRIM_400000_NS6detail17trampoline_kernelINS0_14default_configENS1_38merge_sort_block_merge_config_selectorIiNS0_10empty_typeEEEZZNS1_27merge_sort_block_merge_implIS3_PiPS5_jNS1_19radix_merge_compareILb0ELb1EiNS0_19identity_decomposerEEEEE10hipError_tT0_T1_T2_jT3_P12ihipStream_tbPNSt15iterator_traitsISE_E10value_typeEPNSK_ISF_E10value_typeEPSG_NS1_7vsmem_tEENKUlT_SE_SF_SG_E_clIS8_S8_S9_S9_EESD_ST_SE_SF_SG_EUlST_E_NS1_11comp_targetILNS1_3genE4ELNS1_11target_archE910ELNS1_3gpuE8ELNS1_3repE0EEENS1_48merge_mergepath_partition_config_static_selectorELNS0_4arch9wavefront6targetE0EEEvSF_
	.globl	_ZN7rocprim17ROCPRIM_400000_NS6detail17trampoline_kernelINS0_14default_configENS1_38merge_sort_block_merge_config_selectorIiNS0_10empty_typeEEEZZNS1_27merge_sort_block_merge_implIS3_PiPS5_jNS1_19radix_merge_compareILb0ELb1EiNS0_19identity_decomposerEEEEE10hipError_tT0_T1_T2_jT3_P12ihipStream_tbPNSt15iterator_traitsISE_E10value_typeEPNSK_ISF_E10value_typeEPSG_NS1_7vsmem_tEENKUlT_SE_SF_SG_E_clIS8_S8_S9_S9_EESD_ST_SE_SF_SG_EUlST_E_NS1_11comp_targetILNS1_3genE4ELNS1_11target_archE910ELNS1_3gpuE8ELNS1_3repE0EEENS1_48merge_mergepath_partition_config_static_selectorELNS0_4arch9wavefront6targetE0EEEvSF_
	.p2align	8
	.type	_ZN7rocprim17ROCPRIM_400000_NS6detail17trampoline_kernelINS0_14default_configENS1_38merge_sort_block_merge_config_selectorIiNS0_10empty_typeEEEZZNS1_27merge_sort_block_merge_implIS3_PiPS5_jNS1_19radix_merge_compareILb0ELb1EiNS0_19identity_decomposerEEEEE10hipError_tT0_T1_T2_jT3_P12ihipStream_tbPNSt15iterator_traitsISE_E10value_typeEPNSK_ISF_E10value_typeEPSG_NS1_7vsmem_tEENKUlT_SE_SF_SG_E_clIS8_S8_S9_S9_EESD_ST_SE_SF_SG_EUlST_E_NS1_11comp_targetILNS1_3genE4ELNS1_11target_archE910ELNS1_3gpuE8ELNS1_3repE0EEENS1_48merge_mergepath_partition_config_static_selectorELNS0_4arch9wavefront6targetE0EEEvSF_,@function
_ZN7rocprim17ROCPRIM_400000_NS6detail17trampoline_kernelINS0_14default_configENS1_38merge_sort_block_merge_config_selectorIiNS0_10empty_typeEEEZZNS1_27merge_sort_block_merge_implIS3_PiPS5_jNS1_19radix_merge_compareILb0ELb1EiNS0_19identity_decomposerEEEEE10hipError_tT0_T1_T2_jT3_P12ihipStream_tbPNSt15iterator_traitsISE_E10value_typeEPNSK_ISF_E10value_typeEPSG_NS1_7vsmem_tEENKUlT_SE_SF_SG_E_clIS8_S8_S9_S9_EESD_ST_SE_SF_SG_EUlST_E_NS1_11comp_targetILNS1_3genE4ELNS1_11target_archE910ELNS1_3gpuE8ELNS1_3repE0EEENS1_48merge_mergepath_partition_config_static_selectorELNS0_4arch9wavefront6targetE0EEEvSF_: ; @_ZN7rocprim17ROCPRIM_400000_NS6detail17trampoline_kernelINS0_14default_configENS1_38merge_sort_block_merge_config_selectorIiNS0_10empty_typeEEEZZNS1_27merge_sort_block_merge_implIS3_PiPS5_jNS1_19radix_merge_compareILb0ELb1EiNS0_19identity_decomposerEEEEE10hipError_tT0_T1_T2_jT3_P12ihipStream_tbPNSt15iterator_traitsISE_E10value_typeEPNSK_ISF_E10value_typeEPSG_NS1_7vsmem_tEENKUlT_SE_SF_SG_E_clIS8_S8_S9_S9_EESD_ST_SE_SF_SG_EUlST_E_NS1_11comp_targetILNS1_3genE4ELNS1_11target_archE910ELNS1_3gpuE8ELNS1_3repE0EEENS1_48merge_mergepath_partition_config_static_selectorELNS0_4arch9wavefront6targetE0EEEvSF_
; %bb.0:
	.section	.rodata,"a",@progbits
	.p2align	6, 0x0
	.amdhsa_kernel _ZN7rocprim17ROCPRIM_400000_NS6detail17trampoline_kernelINS0_14default_configENS1_38merge_sort_block_merge_config_selectorIiNS0_10empty_typeEEEZZNS1_27merge_sort_block_merge_implIS3_PiPS5_jNS1_19radix_merge_compareILb0ELb1EiNS0_19identity_decomposerEEEEE10hipError_tT0_T1_T2_jT3_P12ihipStream_tbPNSt15iterator_traitsISE_E10value_typeEPNSK_ISF_E10value_typeEPSG_NS1_7vsmem_tEENKUlT_SE_SF_SG_E_clIS8_S8_S9_S9_EESD_ST_SE_SF_SG_EUlST_E_NS1_11comp_targetILNS1_3genE4ELNS1_11target_archE910ELNS1_3gpuE8ELNS1_3repE0EEENS1_48merge_mergepath_partition_config_static_selectorELNS0_4arch9wavefront6targetE0EEEvSF_
		.amdhsa_group_segment_fixed_size 0
		.amdhsa_private_segment_fixed_size 0
		.amdhsa_kernarg_size 40
		.amdhsa_user_sgpr_count 2
		.amdhsa_user_sgpr_dispatch_ptr 0
		.amdhsa_user_sgpr_queue_ptr 0
		.amdhsa_user_sgpr_kernarg_segment_ptr 1
		.amdhsa_user_sgpr_dispatch_id 0
		.amdhsa_user_sgpr_kernarg_preload_length 0
		.amdhsa_user_sgpr_kernarg_preload_offset 0
		.amdhsa_user_sgpr_private_segment_size 0
		.amdhsa_wavefront_size32 1
		.amdhsa_uses_dynamic_stack 0
		.amdhsa_enable_private_segment 0
		.amdhsa_system_sgpr_workgroup_id_x 1
		.amdhsa_system_sgpr_workgroup_id_y 0
		.amdhsa_system_sgpr_workgroup_id_z 0
		.amdhsa_system_sgpr_workgroup_info 0
		.amdhsa_system_vgpr_workitem_id 0
		.amdhsa_next_free_vgpr 1
		.amdhsa_next_free_sgpr 1
		.amdhsa_named_barrier_count 0
		.amdhsa_reserve_vcc 0
		.amdhsa_float_round_mode_32 0
		.amdhsa_float_round_mode_16_64 0
		.amdhsa_float_denorm_mode_32 3
		.amdhsa_float_denorm_mode_16_64 3
		.amdhsa_fp16_overflow 0
		.amdhsa_memory_ordered 1
		.amdhsa_forward_progress 1
		.amdhsa_inst_pref_size 0
		.amdhsa_round_robin_scheduling 0
		.amdhsa_exception_fp_ieee_invalid_op 0
		.amdhsa_exception_fp_denorm_src 0
		.amdhsa_exception_fp_ieee_div_zero 0
		.amdhsa_exception_fp_ieee_overflow 0
		.amdhsa_exception_fp_ieee_underflow 0
		.amdhsa_exception_fp_ieee_inexact 0
		.amdhsa_exception_int_div_zero 0
	.end_amdhsa_kernel
	.section	.text._ZN7rocprim17ROCPRIM_400000_NS6detail17trampoline_kernelINS0_14default_configENS1_38merge_sort_block_merge_config_selectorIiNS0_10empty_typeEEEZZNS1_27merge_sort_block_merge_implIS3_PiPS5_jNS1_19radix_merge_compareILb0ELb1EiNS0_19identity_decomposerEEEEE10hipError_tT0_T1_T2_jT3_P12ihipStream_tbPNSt15iterator_traitsISE_E10value_typeEPNSK_ISF_E10value_typeEPSG_NS1_7vsmem_tEENKUlT_SE_SF_SG_E_clIS8_S8_S9_S9_EESD_ST_SE_SF_SG_EUlST_E_NS1_11comp_targetILNS1_3genE4ELNS1_11target_archE910ELNS1_3gpuE8ELNS1_3repE0EEENS1_48merge_mergepath_partition_config_static_selectorELNS0_4arch9wavefront6targetE0EEEvSF_,"axG",@progbits,_ZN7rocprim17ROCPRIM_400000_NS6detail17trampoline_kernelINS0_14default_configENS1_38merge_sort_block_merge_config_selectorIiNS0_10empty_typeEEEZZNS1_27merge_sort_block_merge_implIS3_PiPS5_jNS1_19radix_merge_compareILb0ELb1EiNS0_19identity_decomposerEEEEE10hipError_tT0_T1_T2_jT3_P12ihipStream_tbPNSt15iterator_traitsISE_E10value_typeEPNSK_ISF_E10value_typeEPSG_NS1_7vsmem_tEENKUlT_SE_SF_SG_E_clIS8_S8_S9_S9_EESD_ST_SE_SF_SG_EUlST_E_NS1_11comp_targetILNS1_3genE4ELNS1_11target_archE910ELNS1_3gpuE8ELNS1_3repE0EEENS1_48merge_mergepath_partition_config_static_selectorELNS0_4arch9wavefront6targetE0EEEvSF_,comdat
.Lfunc_end921:
	.size	_ZN7rocprim17ROCPRIM_400000_NS6detail17trampoline_kernelINS0_14default_configENS1_38merge_sort_block_merge_config_selectorIiNS0_10empty_typeEEEZZNS1_27merge_sort_block_merge_implIS3_PiPS5_jNS1_19radix_merge_compareILb0ELb1EiNS0_19identity_decomposerEEEEE10hipError_tT0_T1_T2_jT3_P12ihipStream_tbPNSt15iterator_traitsISE_E10value_typeEPNSK_ISF_E10value_typeEPSG_NS1_7vsmem_tEENKUlT_SE_SF_SG_E_clIS8_S8_S9_S9_EESD_ST_SE_SF_SG_EUlST_E_NS1_11comp_targetILNS1_3genE4ELNS1_11target_archE910ELNS1_3gpuE8ELNS1_3repE0EEENS1_48merge_mergepath_partition_config_static_selectorELNS0_4arch9wavefront6targetE0EEEvSF_, .Lfunc_end921-_ZN7rocprim17ROCPRIM_400000_NS6detail17trampoline_kernelINS0_14default_configENS1_38merge_sort_block_merge_config_selectorIiNS0_10empty_typeEEEZZNS1_27merge_sort_block_merge_implIS3_PiPS5_jNS1_19radix_merge_compareILb0ELb1EiNS0_19identity_decomposerEEEEE10hipError_tT0_T1_T2_jT3_P12ihipStream_tbPNSt15iterator_traitsISE_E10value_typeEPNSK_ISF_E10value_typeEPSG_NS1_7vsmem_tEENKUlT_SE_SF_SG_E_clIS8_S8_S9_S9_EESD_ST_SE_SF_SG_EUlST_E_NS1_11comp_targetILNS1_3genE4ELNS1_11target_archE910ELNS1_3gpuE8ELNS1_3repE0EEENS1_48merge_mergepath_partition_config_static_selectorELNS0_4arch9wavefront6targetE0EEEvSF_
                                        ; -- End function
	.set _ZN7rocprim17ROCPRIM_400000_NS6detail17trampoline_kernelINS0_14default_configENS1_38merge_sort_block_merge_config_selectorIiNS0_10empty_typeEEEZZNS1_27merge_sort_block_merge_implIS3_PiPS5_jNS1_19radix_merge_compareILb0ELb1EiNS0_19identity_decomposerEEEEE10hipError_tT0_T1_T2_jT3_P12ihipStream_tbPNSt15iterator_traitsISE_E10value_typeEPNSK_ISF_E10value_typeEPSG_NS1_7vsmem_tEENKUlT_SE_SF_SG_E_clIS8_S8_S9_S9_EESD_ST_SE_SF_SG_EUlST_E_NS1_11comp_targetILNS1_3genE4ELNS1_11target_archE910ELNS1_3gpuE8ELNS1_3repE0EEENS1_48merge_mergepath_partition_config_static_selectorELNS0_4arch9wavefront6targetE0EEEvSF_.num_vgpr, 0
	.set _ZN7rocprim17ROCPRIM_400000_NS6detail17trampoline_kernelINS0_14default_configENS1_38merge_sort_block_merge_config_selectorIiNS0_10empty_typeEEEZZNS1_27merge_sort_block_merge_implIS3_PiPS5_jNS1_19radix_merge_compareILb0ELb1EiNS0_19identity_decomposerEEEEE10hipError_tT0_T1_T2_jT3_P12ihipStream_tbPNSt15iterator_traitsISE_E10value_typeEPNSK_ISF_E10value_typeEPSG_NS1_7vsmem_tEENKUlT_SE_SF_SG_E_clIS8_S8_S9_S9_EESD_ST_SE_SF_SG_EUlST_E_NS1_11comp_targetILNS1_3genE4ELNS1_11target_archE910ELNS1_3gpuE8ELNS1_3repE0EEENS1_48merge_mergepath_partition_config_static_selectorELNS0_4arch9wavefront6targetE0EEEvSF_.num_agpr, 0
	.set _ZN7rocprim17ROCPRIM_400000_NS6detail17trampoline_kernelINS0_14default_configENS1_38merge_sort_block_merge_config_selectorIiNS0_10empty_typeEEEZZNS1_27merge_sort_block_merge_implIS3_PiPS5_jNS1_19radix_merge_compareILb0ELb1EiNS0_19identity_decomposerEEEEE10hipError_tT0_T1_T2_jT3_P12ihipStream_tbPNSt15iterator_traitsISE_E10value_typeEPNSK_ISF_E10value_typeEPSG_NS1_7vsmem_tEENKUlT_SE_SF_SG_E_clIS8_S8_S9_S9_EESD_ST_SE_SF_SG_EUlST_E_NS1_11comp_targetILNS1_3genE4ELNS1_11target_archE910ELNS1_3gpuE8ELNS1_3repE0EEENS1_48merge_mergepath_partition_config_static_selectorELNS0_4arch9wavefront6targetE0EEEvSF_.numbered_sgpr, 0
	.set _ZN7rocprim17ROCPRIM_400000_NS6detail17trampoline_kernelINS0_14default_configENS1_38merge_sort_block_merge_config_selectorIiNS0_10empty_typeEEEZZNS1_27merge_sort_block_merge_implIS3_PiPS5_jNS1_19radix_merge_compareILb0ELb1EiNS0_19identity_decomposerEEEEE10hipError_tT0_T1_T2_jT3_P12ihipStream_tbPNSt15iterator_traitsISE_E10value_typeEPNSK_ISF_E10value_typeEPSG_NS1_7vsmem_tEENKUlT_SE_SF_SG_E_clIS8_S8_S9_S9_EESD_ST_SE_SF_SG_EUlST_E_NS1_11comp_targetILNS1_3genE4ELNS1_11target_archE910ELNS1_3gpuE8ELNS1_3repE0EEENS1_48merge_mergepath_partition_config_static_selectorELNS0_4arch9wavefront6targetE0EEEvSF_.num_named_barrier, 0
	.set _ZN7rocprim17ROCPRIM_400000_NS6detail17trampoline_kernelINS0_14default_configENS1_38merge_sort_block_merge_config_selectorIiNS0_10empty_typeEEEZZNS1_27merge_sort_block_merge_implIS3_PiPS5_jNS1_19radix_merge_compareILb0ELb1EiNS0_19identity_decomposerEEEEE10hipError_tT0_T1_T2_jT3_P12ihipStream_tbPNSt15iterator_traitsISE_E10value_typeEPNSK_ISF_E10value_typeEPSG_NS1_7vsmem_tEENKUlT_SE_SF_SG_E_clIS8_S8_S9_S9_EESD_ST_SE_SF_SG_EUlST_E_NS1_11comp_targetILNS1_3genE4ELNS1_11target_archE910ELNS1_3gpuE8ELNS1_3repE0EEENS1_48merge_mergepath_partition_config_static_selectorELNS0_4arch9wavefront6targetE0EEEvSF_.private_seg_size, 0
	.set _ZN7rocprim17ROCPRIM_400000_NS6detail17trampoline_kernelINS0_14default_configENS1_38merge_sort_block_merge_config_selectorIiNS0_10empty_typeEEEZZNS1_27merge_sort_block_merge_implIS3_PiPS5_jNS1_19radix_merge_compareILb0ELb1EiNS0_19identity_decomposerEEEEE10hipError_tT0_T1_T2_jT3_P12ihipStream_tbPNSt15iterator_traitsISE_E10value_typeEPNSK_ISF_E10value_typeEPSG_NS1_7vsmem_tEENKUlT_SE_SF_SG_E_clIS8_S8_S9_S9_EESD_ST_SE_SF_SG_EUlST_E_NS1_11comp_targetILNS1_3genE4ELNS1_11target_archE910ELNS1_3gpuE8ELNS1_3repE0EEENS1_48merge_mergepath_partition_config_static_selectorELNS0_4arch9wavefront6targetE0EEEvSF_.uses_vcc, 0
	.set _ZN7rocprim17ROCPRIM_400000_NS6detail17trampoline_kernelINS0_14default_configENS1_38merge_sort_block_merge_config_selectorIiNS0_10empty_typeEEEZZNS1_27merge_sort_block_merge_implIS3_PiPS5_jNS1_19radix_merge_compareILb0ELb1EiNS0_19identity_decomposerEEEEE10hipError_tT0_T1_T2_jT3_P12ihipStream_tbPNSt15iterator_traitsISE_E10value_typeEPNSK_ISF_E10value_typeEPSG_NS1_7vsmem_tEENKUlT_SE_SF_SG_E_clIS8_S8_S9_S9_EESD_ST_SE_SF_SG_EUlST_E_NS1_11comp_targetILNS1_3genE4ELNS1_11target_archE910ELNS1_3gpuE8ELNS1_3repE0EEENS1_48merge_mergepath_partition_config_static_selectorELNS0_4arch9wavefront6targetE0EEEvSF_.uses_flat_scratch, 0
	.set _ZN7rocprim17ROCPRIM_400000_NS6detail17trampoline_kernelINS0_14default_configENS1_38merge_sort_block_merge_config_selectorIiNS0_10empty_typeEEEZZNS1_27merge_sort_block_merge_implIS3_PiPS5_jNS1_19radix_merge_compareILb0ELb1EiNS0_19identity_decomposerEEEEE10hipError_tT0_T1_T2_jT3_P12ihipStream_tbPNSt15iterator_traitsISE_E10value_typeEPNSK_ISF_E10value_typeEPSG_NS1_7vsmem_tEENKUlT_SE_SF_SG_E_clIS8_S8_S9_S9_EESD_ST_SE_SF_SG_EUlST_E_NS1_11comp_targetILNS1_3genE4ELNS1_11target_archE910ELNS1_3gpuE8ELNS1_3repE0EEENS1_48merge_mergepath_partition_config_static_selectorELNS0_4arch9wavefront6targetE0EEEvSF_.has_dyn_sized_stack, 0
	.set _ZN7rocprim17ROCPRIM_400000_NS6detail17trampoline_kernelINS0_14default_configENS1_38merge_sort_block_merge_config_selectorIiNS0_10empty_typeEEEZZNS1_27merge_sort_block_merge_implIS3_PiPS5_jNS1_19radix_merge_compareILb0ELb1EiNS0_19identity_decomposerEEEEE10hipError_tT0_T1_T2_jT3_P12ihipStream_tbPNSt15iterator_traitsISE_E10value_typeEPNSK_ISF_E10value_typeEPSG_NS1_7vsmem_tEENKUlT_SE_SF_SG_E_clIS8_S8_S9_S9_EESD_ST_SE_SF_SG_EUlST_E_NS1_11comp_targetILNS1_3genE4ELNS1_11target_archE910ELNS1_3gpuE8ELNS1_3repE0EEENS1_48merge_mergepath_partition_config_static_selectorELNS0_4arch9wavefront6targetE0EEEvSF_.has_recursion, 0
	.set _ZN7rocprim17ROCPRIM_400000_NS6detail17trampoline_kernelINS0_14default_configENS1_38merge_sort_block_merge_config_selectorIiNS0_10empty_typeEEEZZNS1_27merge_sort_block_merge_implIS3_PiPS5_jNS1_19radix_merge_compareILb0ELb1EiNS0_19identity_decomposerEEEEE10hipError_tT0_T1_T2_jT3_P12ihipStream_tbPNSt15iterator_traitsISE_E10value_typeEPNSK_ISF_E10value_typeEPSG_NS1_7vsmem_tEENKUlT_SE_SF_SG_E_clIS8_S8_S9_S9_EESD_ST_SE_SF_SG_EUlST_E_NS1_11comp_targetILNS1_3genE4ELNS1_11target_archE910ELNS1_3gpuE8ELNS1_3repE0EEENS1_48merge_mergepath_partition_config_static_selectorELNS0_4arch9wavefront6targetE0EEEvSF_.has_indirect_call, 0
	.section	.AMDGPU.csdata,"",@progbits
; Kernel info:
; codeLenInByte = 0
; TotalNumSgprs: 0
; NumVgprs: 0
; ScratchSize: 0
; MemoryBound: 0
; FloatMode: 240
; IeeeMode: 1
; LDSByteSize: 0 bytes/workgroup (compile time only)
; SGPRBlocks: 0
; VGPRBlocks: 0
; NumSGPRsForWavesPerEU: 1
; NumVGPRsForWavesPerEU: 1
; NamedBarCnt: 0
; Occupancy: 16
; WaveLimiterHint : 0
; COMPUTE_PGM_RSRC2:SCRATCH_EN: 0
; COMPUTE_PGM_RSRC2:USER_SGPR: 2
; COMPUTE_PGM_RSRC2:TRAP_HANDLER: 0
; COMPUTE_PGM_RSRC2:TGID_X_EN: 1
; COMPUTE_PGM_RSRC2:TGID_Y_EN: 0
; COMPUTE_PGM_RSRC2:TGID_Z_EN: 0
; COMPUTE_PGM_RSRC2:TIDIG_COMP_CNT: 0
	.section	.text._ZN7rocprim17ROCPRIM_400000_NS6detail17trampoline_kernelINS0_14default_configENS1_38merge_sort_block_merge_config_selectorIiNS0_10empty_typeEEEZZNS1_27merge_sort_block_merge_implIS3_PiPS5_jNS1_19radix_merge_compareILb0ELb1EiNS0_19identity_decomposerEEEEE10hipError_tT0_T1_T2_jT3_P12ihipStream_tbPNSt15iterator_traitsISE_E10value_typeEPNSK_ISF_E10value_typeEPSG_NS1_7vsmem_tEENKUlT_SE_SF_SG_E_clIS8_S8_S9_S9_EESD_ST_SE_SF_SG_EUlST_E_NS1_11comp_targetILNS1_3genE3ELNS1_11target_archE908ELNS1_3gpuE7ELNS1_3repE0EEENS1_48merge_mergepath_partition_config_static_selectorELNS0_4arch9wavefront6targetE0EEEvSF_,"axG",@progbits,_ZN7rocprim17ROCPRIM_400000_NS6detail17trampoline_kernelINS0_14default_configENS1_38merge_sort_block_merge_config_selectorIiNS0_10empty_typeEEEZZNS1_27merge_sort_block_merge_implIS3_PiPS5_jNS1_19radix_merge_compareILb0ELb1EiNS0_19identity_decomposerEEEEE10hipError_tT0_T1_T2_jT3_P12ihipStream_tbPNSt15iterator_traitsISE_E10value_typeEPNSK_ISF_E10value_typeEPSG_NS1_7vsmem_tEENKUlT_SE_SF_SG_E_clIS8_S8_S9_S9_EESD_ST_SE_SF_SG_EUlST_E_NS1_11comp_targetILNS1_3genE3ELNS1_11target_archE908ELNS1_3gpuE7ELNS1_3repE0EEENS1_48merge_mergepath_partition_config_static_selectorELNS0_4arch9wavefront6targetE0EEEvSF_,comdat
	.protected	_ZN7rocprim17ROCPRIM_400000_NS6detail17trampoline_kernelINS0_14default_configENS1_38merge_sort_block_merge_config_selectorIiNS0_10empty_typeEEEZZNS1_27merge_sort_block_merge_implIS3_PiPS5_jNS1_19radix_merge_compareILb0ELb1EiNS0_19identity_decomposerEEEEE10hipError_tT0_T1_T2_jT3_P12ihipStream_tbPNSt15iterator_traitsISE_E10value_typeEPNSK_ISF_E10value_typeEPSG_NS1_7vsmem_tEENKUlT_SE_SF_SG_E_clIS8_S8_S9_S9_EESD_ST_SE_SF_SG_EUlST_E_NS1_11comp_targetILNS1_3genE3ELNS1_11target_archE908ELNS1_3gpuE7ELNS1_3repE0EEENS1_48merge_mergepath_partition_config_static_selectorELNS0_4arch9wavefront6targetE0EEEvSF_ ; -- Begin function _ZN7rocprim17ROCPRIM_400000_NS6detail17trampoline_kernelINS0_14default_configENS1_38merge_sort_block_merge_config_selectorIiNS0_10empty_typeEEEZZNS1_27merge_sort_block_merge_implIS3_PiPS5_jNS1_19radix_merge_compareILb0ELb1EiNS0_19identity_decomposerEEEEE10hipError_tT0_T1_T2_jT3_P12ihipStream_tbPNSt15iterator_traitsISE_E10value_typeEPNSK_ISF_E10value_typeEPSG_NS1_7vsmem_tEENKUlT_SE_SF_SG_E_clIS8_S8_S9_S9_EESD_ST_SE_SF_SG_EUlST_E_NS1_11comp_targetILNS1_3genE3ELNS1_11target_archE908ELNS1_3gpuE7ELNS1_3repE0EEENS1_48merge_mergepath_partition_config_static_selectorELNS0_4arch9wavefront6targetE0EEEvSF_
	.globl	_ZN7rocprim17ROCPRIM_400000_NS6detail17trampoline_kernelINS0_14default_configENS1_38merge_sort_block_merge_config_selectorIiNS0_10empty_typeEEEZZNS1_27merge_sort_block_merge_implIS3_PiPS5_jNS1_19radix_merge_compareILb0ELb1EiNS0_19identity_decomposerEEEEE10hipError_tT0_T1_T2_jT3_P12ihipStream_tbPNSt15iterator_traitsISE_E10value_typeEPNSK_ISF_E10value_typeEPSG_NS1_7vsmem_tEENKUlT_SE_SF_SG_E_clIS8_S8_S9_S9_EESD_ST_SE_SF_SG_EUlST_E_NS1_11comp_targetILNS1_3genE3ELNS1_11target_archE908ELNS1_3gpuE7ELNS1_3repE0EEENS1_48merge_mergepath_partition_config_static_selectorELNS0_4arch9wavefront6targetE0EEEvSF_
	.p2align	8
	.type	_ZN7rocprim17ROCPRIM_400000_NS6detail17trampoline_kernelINS0_14default_configENS1_38merge_sort_block_merge_config_selectorIiNS0_10empty_typeEEEZZNS1_27merge_sort_block_merge_implIS3_PiPS5_jNS1_19radix_merge_compareILb0ELb1EiNS0_19identity_decomposerEEEEE10hipError_tT0_T1_T2_jT3_P12ihipStream_tbPNSt15iterator_traitsISE_E10value_typeEPNSK_ISF_E10value_typeEPSG_NS1_7vsmem_tEENKUlT_SE_SF_SG_E_clIS8_S8_S9_S9_EESD_ST_SE_SF_SG_EUlST_E_NS1_11comp_targetILNS1_3genE3ELNS1_11target_archE908ELNS1_3gpuE7ELNS1_3repE0EEENS1_48merge_mergepath_partition_config_static_selectorELNS0_4arch9wavefront6targetE0EEEvSF_,@function
_ZN7rocprim17ROCPRIM_400000_NS6detail17trampoline_kernelINS0_14default_configENS1_38merge_sort_block_merge_config_selectorIiNS0_10empty_typeEEEZZNS1_27merge_sort_block_merge_implIS3_PiPS5_jNS1_19radix_merge_compareILb0ELb1EiNS0_19identity_decomposerEEEEE10hipError_tT0_T1_T2_jT3_P12ihipStream_tbPNSt15iterator_traitsISE_E10value_typeEPNSK_ISF_E10value_typeEPSG_NS1_7vsmem_tEENKUlT_SE_SF_SG_E_clIS8_S8_S9_S9_EESD_ST_SE_SF_SG_EUlST_E_NS1_11comp_targetILNS1_3genE3ELNS1_11target_archE908ELNS1_3gpuE7ELNS1_3repE0EEENS1_48merge_mergepath_partition_config_static_selectorELNS0_4arch9wavefront6targetE0EEEvSF_: ; @_ZN7rocprim17ROCPRIM_400000_NS6detail17trampoline_kernelINS0_14default_configENS1_38merge_sort_block_merge_config_selectorIiNS0_10empty_typeEEEZZNS1_27merge_sort_block_merge_implIS3_PiPS5_jNS1_19radix_merge_compareILb0ELb1EiNS0_19identity_decomposerEEEEE10hipError_tT0_T1_T2_jT3_P12ihipStream_tbPNSt15iterator_traitsISE_E10value_typeEPNSK_ISF_E10value_typeEPSG_NS1_7vsmem_tEENKUlT_SE_SF_SG_E_clIS8_S8_S9_S9_EESD_ST_SE_SF_SG_EUlST_E_NS1_11comp_targetILNS1_3genE3ELNS1_11target_archE908ELNS1_3gpuE7ELNS1_3repE0EEENS1_48merge_mergepath_partition_config_static_selectorELNS0_4arch9wavefront6targetE0EEEvSF_
; %bb.0:
	.section	.rodata,"a",@progbits
	.p2align	6, 0x0
	.amdhsa_kernel _ZN7rocprim17ROCPRIM_400000_NS6detail17trampoline_kernelINS0_14default_configENS1_38merge_sort_block_merge_config_selectorIiNS0_10empty_typeEEEZZNS1_27merge_sort_block_merge_implIS3_PiPS5_jNS1_19radix_merge_compareILb0ELb1EiNS0_19identity_decomposerEEEEE10hipError_tT0_T1_T2_jT3_P12ihipStream_tbPNSt15iterator_traitsISE_E10value_typeEPNSK_ISF_E10value_typeEPSG_NS1_7vsmem_tEENKUlT_SE_SF_SG_E_clIS8_S8_S9_S9_EESD_ST_SE_SF_SG_EUlST_E_NS1_11comp_targetILNS1_3genE3ELNS1_11target_archE908ELNS1_3gpuE7ELNS1_3repE0EEENS1_48merge_mergepath_partition_config_static_selectorELNS0_4arch9wavefront6targetE0EEEvSF_
		.amdhsa_group_segment_fixed_size 0
		.amdhsa_private_segment_fixed_size 0
		.amdhsa_kernarg_size 40
		.amdhsa_user_sgpr_count 2
		.amdhsa_user_sgpr_dispatch_ptr 0
		.amdhsa_user_sgpr_queue_ptr 0
		.amdhsa_user_sgpr_kernarg_segment_ptr 1
		.amdhsa_user_sgpr_dispatch_id 0
		.amdhsa_user_sgpr_kernarg_preload_length 0
		.amdhsa_user_sgpr_kernarg_preload_offset 0
		.amdhsa_user_sgpr_private_segment_size 0
		.amdhsa_wavefront_size32 1
		.amdhsa_uses_dynamic_stack 0
		.amdhsa_enable_private_segment 0
		.amdhsa_system_sgpr_workgroup_id_x 1
		.amdhsa_system_sgpr_workgroup_id_y 0
		.amdhsa_system_sgpr_workgroup_id_z 0
		.amdhsa_system_sgpr_workgroup_info 0
		.amdhsa_system_vgpr_workitem_id 0
		.amdhsa_next_free_vgpr 1
		.amdhsa_next_free_sgpr 1
		.amdhsa_named_barrier_count 0
		.amdhsa_reserve_vcc 0
		.amdhsa_float_round_mode_32 0
		.amdhsa_float_round_mode_16_64 0
		.amdhsa_float_denorm_mode_32 3
		.amdhsa_float_denorm_mode_16_64 3
		.amdhsa_fp16_overflow 0
		.amdhsa_memory_ordered 1
		.amdhsa_forward_progress 1
		.amdhsa_inst_pref_size 0
		.amdhsa_round_robin_scheduling 0
		.amdhsa_exception_fp_ieee_invalid_op 0
		.amdhsa_exception_fp_denorm_src 0
		.amdhsa_exception_fp_ieee_div_zero 0
		.amdhsa_exception_fp_ieee_overflow 0
		.amdhsa_exception_fp_ieee_underflow 0
		.amdhsa_exception_fp_ieee_inexact 0
		.amdhsa_exception_int_div_zero 0
	.end_amdhsa_kernel
	.section	.text._ZN7rocprim17ROCPRIM_400000_NS6detail17trampoline_kernelINS0_14default_configENS1_38merge_sort_block_merge_config_selectorIiNS0_10empty_typeEEEZZNS1_27merge_sort_block_merge_implIS3_PiPS5_jNS1_19radix_merge_compareILb0ELb1EiNS0_19identity_decomposerEEEEE10hipError_tT0_T1_T2_jT3_P12ihipStream_tbPNSt15iterator_traitsISE_E10value_typeEPNSK_ISF_E10value_typeEPSG_NS1_7vsmem_tEENKUlT_SE_SF_SG_E_clIS8_S8_S9_S9_EESD_ST_SE_SF_SG_EUlST_E_NS1_11comp_targetILNS1_3genE3ELNS1_11target_archE908ELNS1_3gpuE7ELNS1_3repE0EEENS1_48merge_mergepath_partition_config_static_selectorELNS0_4arch9wavefront6targetE0EEEvSF_,"axG",@progbits,_ZN7rocprim17ROCPRIM_400000_NS6detail17trampoline_kernelINS0_14default_configENS1_38merge_sort_block_merge_config_selectorIiNS0_10empty_typeEEEZZNS1_27merge_sort_block_merge_implIS3_PiPS5_jNS1_19radix_merge_compareILb0ELb1EiNS0_19identity_decomposerEEEEE10hipError_tT0_T1_T2_jT3_P12ihipStream_tbPNSt15iterator_traitsISE_E10value_typeEPNSK_ISF_E10value_typeEPSG_NS1_7vsmem_tEENKUlT_SE_SF_SG_E_clIS8_S8_S9_S9_EESD_ST_SE_SF_SG_EUlST_E_NS1_11comp_targetILNS1_3genE3ELNS1_11target_archE908ELNS1_3gpuE7ELNS1_3repE0EEENS1_48merge_mergepath_partition_config_static_selectorELNS0_4arch9wavefront6targetE0EEEvSF_,comdat
.Lfunc_end922:
	.size	_ZN7rocprim17ROCPRIM_400000_NS6detail17trampoline_kernelINS0_14default_configENS1_38merge_sort_block_merge_config_selectorIiNS0_10empty_typeEEEZZNS1_27merge_sort_block_merge_implIS3_PiPS5_jNS1_19radix_merge_compareILb0ELb1EiNS0_19identity_decomposerEEEEE10hipError_tT0_T1_T2_jT3_P12ihipStream_tbPNSt15iterator_traitsISE_E10value_typeEPNSK_ISF_E10value_typeEPSG_NS1_7vsmem_tEENKUlT_SE_SF_SG_E_clIS8_S8_S9_S9_EESD_ST_SE_SF_SG_EUlST_E_NS1_11comp_targetILNS1_3genE3ELNS1_11target_archE908ELNS1_3gpuE7ELNS1_3repE0EEENS1_48merge_mergepath_partition_config_static_selectorELNS0_4arch9wavefront6targetE0EEEvSF_, .Lfunc_end922-_ZN7rocprim17ROCPRIM_400000_NS6detail17trampoline_kernelINS0_14default_configENS1_38merge_sort_block_merge_config_selectorIiNS0_10empty_typeEEEZZNS1_27merge_sort_block_merge_implIS3_PiPS5_jNS1_19radix_merge_compareILb0ELb1EiNS0_19identity_decomposerEEEEE10hipError_tT0_T1_T2_jT3_P12ihipStream_tbPNSt15iterator_traitsISE_E10value_typeEPNSK_ISF_E10value_typeEPSG_NS1_7vsmem_tEENKUlT_SE_SF_SG_E_clIS8_S8_S9_S9_EESD_ST_SE_SF_SG_EUlST_E_NS1_11comp_targetILNS1_3genE3ELNS1_11target_archE908ELNS1_3gpuE7ELNS1_3repE0EEENS1_48merge_mergepath_partition_config_static_selectorELNS0_4arch9wavefront6targetE0EEEvSF_
                                        ; -- End function
	.set _ZN7rocprim17ROCPRIM_400000_NS6detail17trampoline_kernelINS0_14default_configENS1_38merge_sort_block_merge_config_selectorIiNS0_10empty_typeEEEZZNS1_27merge_sort_block_merge_implIS3_PiPS5_jNS1_19radix_merge_compareILb0ELb1EiNS0_19identity_decomposerEEEEE10hipError_tT0_T1_T2_jT3_P12ihipStream_tbPNSt15iterator_traitsISE_E10value_typeEPNSK_ISF_E10value_typeEPSG_NS1_7vsmem_tEENKUlT_SE_SF_SG_E_clIS8_S8_S9_S9_EESD_ST_SE_SF_SG_EUlST_E_NS1_11comp_targetILNS1_3genE3ELNS1_11target_archE908ELNS1_3gpuE7ELNS1_3repE0EEENS1_48merge_mergepath_partition_config_static_selectorELNS0_4arch9wavefront6targetE0EEEvSF_.num_vgpr, 0
	.set _ZN7rocprim17ROCPRIM_400000_NS6detail17trampoline_kernelINS0_14default_configENS1_38merge_sort_block_merge_config_selectorIiNS0_10empty_typeEEEZZNS1_27merge_sort_block_merge_implIS3_PiPS5_jNS1_19radix_merge_compareILb0ELb1EiNS0_19identity_decomposerEEEEE10hipError_tT0_T1_T2_jT3_P12ihipStream_tbPNSt15iterator_traitsISE_E10value_typeEPNSK_ISF_E10value_typeEPSG_NS1_7vsmem_tEENKUlT_SE_SF_SG_E_clIS8_S8_S9_S9_EESD_ST_SE_SF_SG_EUlST_E_NS1_11comp_targetILNS1_3genE3ELNS1_11target_archE908ELNS1_3gpuE7ELNS1_3repE0EEENS1_48merge_mergepath_partition_config_static_selectorELNS0_4arch9wavefront6targetE0EEEvSF_.num_agpr, 0
	.set _ZN7rocprim17ROCPRIM_400000_NS6detail17trampoline_kernelINS0_14default_configENS1_38merge_sort_block_merge_config_selectorIiNS0_10empty_typeEEEZZNS1_27merge_sort_block_merge_implIS3_PiPS5_jNS1_19radix_merge_compareILb0ELb1EiNS0_19identity_decomposerEEEEE10hipError_tT0_T1_T2_jT3_P12ihipStream_tbPNSt15iterator_traitsISE_E10value_typeEPNSK_ISF_E10value_typeEPSG_NS1_7vsmem_tEENKUlT_SE_SF_SG_E_clIS8_S8_S9_S9_EESD_ST_SE_SF_SG_EUlST_E_NS1_11comp_targetILNS1_3genE3ELNS1_11target_archE908ELNS1_3gpuE7ELNS1_3repE0EEENS1_48merge_mergepath_partition_config_static_selectorELNS0_4arch9wavefront6targetE0EEEvSF_.numbered_sgpr, 0
	.set _ZN7rocprim17ROCPRIM_400000_NS6detail17trampoline_kernelINS0_14default_configENS1_38merge_sort_block_merge_config_selectorIiNS0_10empty_typeEEEZZNS1_27merge_sort_block_merge_implIS3_PiPS5_jNS1_19radix_merge_compareILb0ELb1EiNS0_19identity_decomposerEEEEE10hipError_tT0_T1_T2_jT3_P12ihipStream_tbPNSt15iterator_traitsISE_E10value_typeEPNSK_ISF_E10value_typeEPSG_NS1_7vsmem_tEENKUlT_SE_SF_SG_E_clIS8_S8_S9_S9_EESD_ST_SE_SF_SG_EUlST_E_NS1_11comp_targetILNS1_3genE3ELNS1_11target_archE908ELNS1_3gpuE7ELNS1_3repE0EEENS1_48merge_mergepath_partition_config_static_selectorELNS0_4arch9wavefront6targetE0EEEvSF_.num_named_barrier, 0
	.set _ZN7rocprim17ROCPRIM_400000_NS6detail17trampoline_kernelINS0_14default_configENS1_38merge_sort_block_merge_config_selectorIiNS0_10empty_typeEEEZZNS1_27merge_sort_block_merge_implIS3_PiPS5_jNS1_19radix_merge_compareILb0ELb1EiNS0_19identity_decomposerEEEEE10hipError_tT0_T1_T2_jT3_P12ihipStream_tbPNSt15iterator_traitsISE_E10value_typeEPNSK_ISF_E10value_typeEPSG_NS1_7vsmem_tEENKUlT_SE_SF_SG_E_clIS8_S8_S9_S9_EESD_ST_SE_SF_SG_EUlST_E_NS1_11comp_targetILNS1_3genE3ELNS1_11target_archE908ELNS1_3gpuE7ELNS1_3repE0EEENS1_48merge_mergepath_partition_config_static_selectorELNS0_4arch9wavefront6targetE0EEEvSF_.private_seg_size, 0
	.set _ZN7rocprim17ROCPRIM_400000_NS6detail17trampoline_kernelINS0_14default_configENS1_38merge_sort_block_merge_config_selectorIiNS0_10empty_typeEEEZZNS1_27merge_sort_block_merge_implIS3_PiPS5_jNS1_19radix_merge_compareILb0ELb1EiNS0_19identity_decomposerEEEEE10hipError_tT0_T1_T2_jT3_P12ihipStream_tbPNSt15iterator_traitsISE_E10value_typeEPNSK_ISF_E10value_typeEPSG_NS1_7vsmem_tEENKUlT_SE_SF_SG_E_clIS8_S8_S9_S9_EESD_ST_SE_SF_SG_EUlST_E_NS1_11comp_targetILNS1_3genE3ELNS1_11target_archE908ELNS1_3gpuE7ELNS1_3repE0EEENS1_48merge_mergepath_partition_config_static_selectorELNS0_4arch9wavefront6targetE0EEEvSF_.uses_vcc, 0
	.set _ZN7rocprim17ROCPRIM_400000_NS6detail17trampoline_kernelINS0_14default_configENS1_38merge_sort_block_merge_config_selectorIiNS0_10empty_typeEEEZZNS1_27merge_sort_block_merge_implIS3_PiPS5_jNS1_19radix_merge_compareILb0ELb1EiNS0_19identity_decomposerEEEEE10hipError_tT0_T1_T2_jT3_P12ihipStream_tbPNSt15iterator_traitsISE_E10value_typeEPNSK_ISF_E10value_typeEPSG_NS1_7vsmem_tEENKUlT_SE_SF_SG_E_clIS8_S8_S9_S9_EESD_ST_SE_SF_SG_EUlST_E_NS1_11comp_targetILNS1_3genE3ELNS1_11target_archE908ELNS1_3gpuE7ELNS1_3repE0EEENS1_48merge_mergepath_partition_config_static_selectorELNS0_4arch9wavefront6targetE0EEEvSF_.uses_flat_scratch, 0
	.set _ZN7rocprim17ROCPRIM_400000_NS6detail17trampoline_kernelINS0_14default_configENS1_38merge_sort_block_merge_config_selectorIiNS0_10empty_typeEEEZZNS1_27merge_sort_block_merge_implIS3_PiPS5_jNS1_19radix_merge_compareILb0ELb1EiNS0_19identity_decomposerEEEEE10hipError_tT0_T1_T2_jT3_P12ihipStream_tbPNSt15iterator_traitsISE_E10value_typeEPNSK_ISF_E10value_typeEPSG_NS1_7vsmem_tEENKUlT_SE_SF_SG_E_clIS8_S8_S9_S9_EESD_ST_SE_SF_SG_EUlST_E_NS1_11comp_targetILNS1_3genE3ELNS1_11target_archE908ELNS1_3gpuE7ELNS1_3repE0EEENS1_48merge_mergepath_partition_config_static_selectorELNS0_4arch9wavefront6targetE0EEEvSF_.has_dyn_sized_stack, 0
	.set _ZN7rocprim17ROCPRIM_400000_NS6detail17trampoline_kernelINS0_14default_configENS1_38merge_sort_block_merge_config_selectorIiNS0_10empty_typeEEEZZNS1_27merge_sort_block_merge_implIS3_PiPS5_jNS1_19radix_merge_compareILb0ELb1EiNS0_19identity_decomposerEEEEE10hipError_tT0_T1_T2_jT3_P12ihipStream_tbPNSt15iterator_traitsISE_E10value_typeEPNSK_ISF_E10value_typeEPSG_NS1_7vsmem_tEENKUlT_SE_SF_SG_E_clIS8_S8_S9_S9_EESD_ST_SE_SF_SG_EUlST_E_NS1_11comp_targetILNS1_3genE3ELNS1_11target_archE908ELNS1_3gpuE7ELNS1_3repE0EEENS1_48merge_mergepath_partition_config_static_selectorELNS0_4arch9wavefront6targetE0EEEvSF_.has_recursion, 0
	.set _ZN7rocprim17ROCPRIM_400000_NS6detail17trampoline_kernelINS0_14default_configENS1_38merge_sort_block_merge_config_selectorIiNS0_10empty_typeEEEZZNS1_27merge_sort_block_merge_implIS3_PiPS5_jNS1_19radix_merge_compareILb0ELb1EiNS0_19identity_decomposerEEEEE10hipError_tT0_T1_T2_jT3_P12ihipStream_tbPNSt15iterator_traitsISE_E10value_typeEPNSK_ISF_E10value_typeEPSG_NS1_7vsmem_tEENKUlT_SE_SF_SG_E_clIS8_S8_S9_S9_EESD_ST_SE_SF_SG_EUlST_E_NS1_11comp_targetILNS1_3genE3ELNS1_11target_archE908ELNS1_3gpuE7ELNS1_3repE0EEENS1_48merge_mergepath_partition_config_static_selectorELNS0_4arch9wavefront6targetE0EEEvSF_.has_indirect_call, 0
	.section	.AMDGPU.csdata,"",@progbits
; Kernel info:
; codeLenInByte = 0
; TotalNumSgprs: 0
; NumVgprs: 0
; ScratchSize: 0
; MemoryBound: 0
; FloatMode: 240
; IeeeMode: 1
; LDSByteSize: 0 bytes/workgroup (compile time only)
; SGPRBlocks: 0
; VGPRBlocks: 0
; NumSGPRsForWavesPerEU: 1
; NumVGPRsForWavesPerEU: 1
; NamedBarCnt: 0
; Occupancy: 16
; WaveLimiterHint : 0
; COMPUTE_PGM_RSRC2:SCRATCH_EN: 0
; COMPUTE_PGM_RSRC2:USER_SGPR: 2
; COMPUTE_PGM_RSRC2:TRAP_HANDLER: 0
; COMPUTE_PGM_RSRC2:TGID_X_EN: 1
; COMPUTE_PGM_RSRC2:TGID_Y_EN: 0
; COMPUTE_PGM_RSRC2:TGID_Z_EN: 0
; COMPUTE_PGM_RSRC2:TIDIG_COMP_CNT: 0
	.section	.text._ZN7rocprim17ROCPRIM_400000_NS6detail17trampoline_kernelINS0_14default_configENS1_38merge_sort_block_merge_config_selectorIiNS0_10empty_typeEEEZZNS1_27merge_sort_block_merge_implIS3_PiPS5_jNS1_19radix_merge_compareILb0ELb1EiNS0_19identity_decomposerEEEEE10hipError_tT0_T1_T2_jT3_P12ihipStream_tbPNSt15iterator_traitsISE_E10value_typeEPNSK_ISF_E10value_typeEPSG_NS1_7vsmem_tEENKUlT_SE_SF_SG_E_clIS8_S8_S9_S9_EESD_ST_SE_SF_SG_EUlST_E_NS1_11comp_targetILNS1_3genE2ELNS1_11target_archE906ELNS1_3gpuE6ELNS1_3repE0EEENS1_48merge_mergepath_partition_config_static_selectorELNS0_4arch9wavefront6targetE0EEEvSF_,"axG",@progbits,_ZN7rocprim17ROCPRIM_400000_NS6detail17trampoline_kernelINS0_14default_configENS1_38merge_sort_block_merge_config_selectorIiNS0_10empty_typeEEEZZNS1_27merge_sort_block_merge_implIS3_PiPS5_jNS1_19radix_merge_compareILb0ELb1EiNS0_19identity_decomposerEEEEE10hipError_tT0_T1_T2_jT3_P12ihipStream_tbPNSt15iterator_traitsISE_E10value_typeEPNSK_ISF_E10value_typeEPSG_NS1_7vsmem_tEENKUlT_SE_SF_SG_E_clIS8_S8_S9_S9_EESD_ST_SE_SF_SG_EUlST_E_NS1_11comp_targetILNS1_3genE2ELNS1_11target_archE906ELNS1_3gpuE6ELNS1_3repE0EEENS1_48merge_mergepath_partition_config_static_selectorELNS0_4arch9wavefront6targetE0EEEvSF_,comdat
	.protected	_ZN7rocprim17ROCPRIM_400000_NS6detail17trampoline_kernelINS0_14default_configENS1_38merge_sort_block_merge_config_selectorIiNS0_10empty_typeEEEZZNS1_27merge_sort_block_merge_implIS3_PiPS5_jNS1_19radix_merge_compareILb0ELb1EiNS0_19identity_decomposerEEEEE10hipError_tT0_T1_T2_jT3_P12ihipStream_tbPNSt15iterator_traitsISE_E10value_typeEPNSK_ISF_E10value_typeEPSG_NS1_7vsmem_tEENKUlT_SE_SF_SG_E_clIS8_S8_S9_S9_EESD_ST_SE_SF_SG_EUlST_E_NS1_11comp_targetILNS1_3genE2ELNS1_11target_archE906ELNS1_3gpuE6ELNS1_3repE0EEENS1_48merge_mergepath_partition_config_static_selectorELNS0_4arch9wavefront6targetE0EEEvSF_ ; -- Begin function _ZN7rocprim17ROCPRIM_400000_NS6detail17trampoline_kernelINS0_14default_configENS1_38merge_sort_block_merge_config_selectorIiNS0_10empty_typeEEEZZNS1_27merge_sort_block_merge_implIS3_PiPS5_jNS1_19radix_merge_compareILb0ELb1EiNS0_19identity_decomposerEEEEE10hipError_tT0_T1_T2_jT3_P12ihipStream_tbPNSt15iterator_traitsISE_E10value_typeEPNSK_ISF_E10value_typeEPSG_NS1_7vsmem_tEENKUlT_SE_SF_SG_E_clIS8_S8_S9_S9_EESD_ST_SE_SF_SG_EUlST_E_NS1_11comp_targetILNS1_3genE2ELNS1_11target_archE906ELNS1_3gpuE6ELNS1_3repE0EEENS1_48merge_mergepath_partition_config_static_selectorELNS0_4arch9wavefront6targetE0EEEvSF_
	.globl	_ZN7rocprim17ROCPRIM_400000_NS6detail17trampoline_kernelINS0_14default_configENS1_38merge_sort_block_merge_config_selectorIiNS0_10empty_typeEEEZZNS1_27merge_sort_block_merge_implIS3_PiPS5_jNS1_19radix_merge_compareILb0ELb1EiNS0_19identity_decomposerEEEEE10hipError_tT0_T1_T2_jT3_P12ihipStream_tbPNSt15iterator_traitsISE_E10value_typeEPNSK_ISF_E10value_typeEPSG_NS1_7vsmem_tEENKUlT_SE_SF_SG_E_clIS8_S8_S9_S9_EESD_ST_SE_SF_SG_EUlST_E_NS1_11comp_targetILNS1_3genE2ELNS1_11target_archE906ELNS1_3gpuE6ELNS1_3repE0EEENS1_48merge_mergepath_partition_config_static_selectorELNS0_4arch9wavefront6targetE0EEEvSF_
	.p2align	8
	.type	_ZN7rocprim17ROCPRIM_400000_NS6detail17trampoline_kernelINS0_14default_configENS1_38merge_sort_block_merge_config_selectorIiNS0_10empty_typeEEEZZNS1_27merge_sort_block_merge_implIS3_PiPS5_jNS1_19radix_merge_compareILb0ELb1EiNS0_19identity_decomposerEEEEE10hipError_tT0_T1_T2_jT3_P12ihipStream_tbPNSt15iterator_traitsISE_E10value_typeEPNSK_ISF_E10value_typeEPSG_NS1_7vsmem_tEENKUlT_SE_SF_SG_E_clIS8_S8_S9_S9_EESD_ST_SE_SF_SG_EUlST_E_NS1_11comp_targetILNS1_3genE2ELNS1_11target_archE906ELNS1_3gpuE6ELNS1_3repE0EEENS1_48merge_mergepath_partition_config_static_selectorELNS0_4arch9wavefront6targetE0EEEvSF_,@function
_ZN7rocprim17ROCPRIM_400000_NS6detail17trampoline_kernelINS0_14default_configENS1_38merge_sort_block_merge_config_selectorIiNS0_10empty_typeEEEZZNS1_27merge_sort_block_merge_implIS3_PiPS5_jNS1_19radix_merge_compareILb0ELb1EiNS0_19identity_decomposerEEEEE10hipError_tT0_T1_T2_jT3_P12ihipStream_tbPNSt15iterator_traitsISE_E10value_typeEPNSK_ISF_E10value_typeEPSG_NS1_7vsmem_tEENKUlT_SE_SF_SG_E_clIS8_S8_S9_S9_EESD_ST_SE_SF_SG_EUlST_E_NS1_11comp_targetILNS1_3genE2ELNS1_11target_archE906ELNS1_3gpuE6ELNS1_3repE0EEENS1_48merge_mergepath_partition_config_static_selectorELNS0_4arch9wavefront6targetE0EEEvSF_: ; @_ZN7rocprim17ROCPRIM_400000_NS6detail17trampoline_kernelINS0_14default_configENS1_38merge_sort_block_merge_config_selectorIiNS0_10empty_typeEEEZZNS1_27merge_sort_block_merge_implIS3_PiPS5_jNS1_19radix_merge_compareILb0ELb1EiNS0_19identity_decomposerEEEEE10hipError_tT0_T1_T2_jT3_P12ihipStream_tbPNSt15iterator_traitsISE_E10value_typeEPNSK_ISF_E10value_typeEPSG_NS1_7vsmem_tEENKUlT_SE_SF_SG_E_clIS8_S8_S9_S9_EESD_ST_SE_SF_SG_EUlST_E_NS1_11comp_targetILNS1_3genE2ELNS1_11target_archE906ELNS1_3gpuE6ELNS1_3repE0EEENS1_48merge_mergepath_partition_config_static_selectorELNS0_4arch9wavefront6targetE0EEEvSF_
; %bb.0:
	.section	.rodata,"a",@progbits
	.p2align	6, 0x0
	.amdhsa_kernel _ZN7rocprim17ROCPRIM_400000_NS6detail17trampoline_kernelINS0_14default_configENS1_38merge_sort_block_merge_config_selectorIiNS0_10empty_typeEEEZZNS1_27merge_sort_block_merge_implIS3_PiPS5_jNS1_19radix_merge_compareILb0ELb1EiNS0_19identity_decomposerEEEEE10hipError_tT0_T1_T2_jT3_P12ihipStream_tbPNSt15iterator_traitsISE_E10value_typeEPNSK_ISF_E10value_typeEPSG_NS1_7vsmem_tEENKUlT_SE_SF_SG_E_clIS8_S8_S9_S9_EESD_ST_SE_SF_SG_EUlST_E_NS1_11comp_targetILNS1_3genE2ELNS1_11target_archE906ELNS1_3gpuE6ELNS1_3repE0EEENS1_48merge_mergepath_partition_config_static_selectorELNS0_4arch9wavefront6targetE0EEEvSF_
		.amdhsa_group_segment_fixed_size 0
		.amdhsa_private_segment_fixed_size 0
		.amdhsa_kernarg_size 40
		.amdhsa_user_sgpr_count 2
		.amdhsa_user_sgpr_dispatch_ptr 0
		.amdhsa_user_sgpr_queue_ptr 0
		.amdhsa_user_sgpr_kernarg_segment_ptr 1
		.amdhsa_user_sgpr_dispatch_id 0
		.amdhsa_user_sgpr_kernarg_preload_length 0
		.amdhsa_user_sgpr_kernarg_preload_offset 0
		.amdhsa_user_sgpr_private_segment_size 0
		.amdhsa_wavefront_size32 1
		.amdhsa_uses_dynamic_stack 0
		.amdhsa_enable_private_segment 0
		.amdhsa_system_sgpr_workgroup_id_x 1
		.amdhsa_system_sgpr_workgroup_id_y 0
		.amdhsa_system_sgpr_workgroup_id_z 0
		.amdhsa_system_sgpr_workgroup_info 0
		.amdhsa_system_vgpr_workitem_id 0
		.amdhsa_next_free_vgpr 1
		.amdhsa_next_free_sgpr 1
		.amdhsa_named_barrier_count 0
		.amdhsa_reserve_vcc 0
		.amdhsa_float_round_mode_32 0
		.amdhsa_float_round_mode_16_64 0
		.amdhsa_float_denorm_mode_32 3
		.amdhsa_float_denorm_mode_16_64 3
		.amdhsa_fp16_overflow 0
		.amdhsa_memory_ordered 1
		.amdhsa_forward_progress 1
		.amdhsa_inst_pref_size 0
		.amdhsa_round_robin_scheduling 0
		.amdhsa_exception_fp_ieee_invalid_op 0
		.amdhsa_exception_fp_denorm_src 0
		.amdhsa_exception_fp_ieee_div_zero 0
		.amdhsa_exception_fp_ieee_overflow 0
		.amdhsa_exception_fp_ieee_underflow 0
		.amdhsa_exception_fp_ieee_inexact 0
		.amdhsa_exception_int_div_zero 0
	.end_amdhsa_kernel
	.section	.text._ZN7rocprim17ROCPRIM_400000_NS6detail17trampoline_kernelINS0_14default_configENS1_38merge_sort_block_merge_config_selectorIiNS0_10empty_typeEEEZZNS1_27merge_sort_block_merge_implIS3_PiPS5_jNS1_19radix_merge_compareILb0ELb1EiNS0_19identity_decomposerEEEEE10hipError_tT0_T1_T2_jT3_P12ihipStream_tbPNSt15iterator_traitsISE_E10value_typeEPNSK_ISF_E10value_typeEPSG_NS1_7vsmem_tEENKUlT_SE_SF_SG_E_clIS8_S8_S9_S9_EESD_ST_SE_SF_SG_EUlST_E_NS1_11comp_targetILNS1_3genE2ELNS1_11target_archE906ELNS1_3gpuE6ELNS1_3repE0EEENS1_48merge_mergepath_partition_config_static_selectorELNS0_4arch9wavefront6targetE0EEEvSF_,"axG",@progbits,_ZN7rocprim17ROCPRIM_400000_NS6detail17trampoline_kernelINS0_14default_configENS1_38merge_sort_block_merge_config_selectorIiNS0_10empty_typeEEEZZNS1_27merge_sort_block_merge_implIS3_PiPS5_jNS1_19radix_merge_compareILb0ELb1EiNS0_19identity_decomposerEEEEE10hipError_tT0_T1_T2_jT3_P12ihipStream_tbPNSt15iterator_traitsISE_E10value_typeEPNSK_ISF_E10value_typeEPSG_NS1_7vsmem_tEENKUlT_SE_SF_SG_E_clIS8_S8_S9_S9_EESD_ST_SE_SF_SG_EUlST_E_NS1_11comp_targetILNS1_3genE2ELNS1_11target_archE906ELNS1_3gpuE6ELNS1_3repE0EEENS1_48merge_mergepath_partition_config_static_selectorELNS0_4arch9wavefront6targetE0EEEvSF_,comdat
.Lfunc_end923:
	.size	_ZN7rocprim17ROCPRIM_400000_NS6detail17trampoline_kernelINS0_14default_configENS1_38merge_sort_block_merge_config_selectorIiNS0_10empty_typeEEEZZNS1_27merge_sort_block_merge_implIS3_PiPS5_jNS1_19radix_merge_compareILb0ELb1EiNS0_19identity_decomposerEEEEE10hipError_tT0_T1_T2_jT3_P12ihipStream_tbPNSt15iterator_traitsISE_E10value_typeEPNSK_ISF_E10value_typeEPSG_NS1_7vsmem_tEENKUlT_SE_SF_SG_E_clIS8_S8_S9_S9_EESD_ST_SE_SF_SG_EUlST_E_NS1_11comp_targetILNS1_3genE2ELNS1_11target_archE906ELNS1_3gpuE6ELNS1_3repE0EEENS1_48merge_mergepath_partition_config_static_selectorELNS0_4arch9wavefront6targetE0EEEvSF_, .Lfunc_end923-_ZN7rocprim17ROCPRIM_400000_NS6detail17trampoline_kernelINS0_14default_configENS1_38merge_sort_block_merge_config_selectorIiNS0_10empty_typeEEEZZNS1_27merge_sort_block_merge_implIS3_PiPS5_jNS1_19radix_merge_compareILb0ELb1EiNS0_19identity_decomposerEEEEE10hipError_tT0_T1_T2_jT3_P12ihipStream_tbPNSt15iterator_traitsISE_E10value_typeEPNSK_ISF_E10value_typeEPSG_NS1_7vsmem_tEENKUlT_SE_SF_SG_E_clIS8_S8_S9_S9_EESD_ST_SE_SF_SG_EUlST_E_NS1_11comp_targetILNS1_3genE2ELNS1_11target_archE906ELNS1_3gpuE6ELNS1_3repE0EEENS1_48merge_mergepath_partition_config_static_selectorELNS0_4arch9wavefront6targetE0EEEvSF_
                                        ; -- End function
	.set _ZN7rocprim17ROCPRIM_400000_NS6detail17trampoline_kernelINS0_14default_configENS1_38merge_sort_block_merge_config_selectorIiNS0_10empty_typeEEEZZNS1_27merge_sort_block_merge_implIS3_PiPS5_jNS1_19radix_merge_compareILb0ELb1EiNS0_19identity_decomposerEEEEE10hipError_tT0_T1_T2_jT3_P12ihipStream_tbPNSt15iterator_traitsISE_E10value_typeEPNSK_ISF_E10value_typeEPSG_NS1_7vsmem_tEENKUlT_SE_SF_SG_E_clIS8_S8_S9_S9_EESD_ST_SE_SF_SG_EUlST_E_NS1_11comp_targetILNS1_3genE2ELNS1_11target_archE906ELNS1_3gpuE6ELNS1_3repE0EEENS1_48merge_mergepath_partition_config_static_selectorELNS0_4arch9wavefront6targetE0EEEvSF_.num_vgpr, 0
	.set _ZN7rocprim17ROCPRIM_400000_NS6detail17trampoline_kernelINS0_14default_configENS1_38merge_sort_block_merge_config_selectorIiNS0_10empty_typeEEEZZNS1_27merge_sort_block_merge_implIS3_PiPS5_jNS1_19radix_merge_compareILb0ELb1EiNS0_19identity_decomposerEEEEE10hipError_tT0_T1_T2_jT3_P12ihipStream_tbPNSt15iterator_traitsISE_E10value_typeEPNSK_ISF_E10value_typeEPSG_NS1_7vsmem_tEENKUlT_SE_SF_SG_E_clIS8_S8_S9_S9_EESD_ST_SE_SF_SG_EUlST_E_NS1_11comp_targetILNS1_3genE2ELNS1_11target_archE906ELNS1_3gpuE6ELNS1_3repE0EEENS1_48merge_mergepath_partition_config_static_selectorELNS0_4arch9wavefront6targetE0EEEvSF_.num_agpr, 0
	.set _ZN7rocprim17ROCPRIM_400000_NS6detail17trampoline_kernelINS0_14default_configENS1_38merge_sort_block_merge_config_selectorIiNS0_10empty_typeEEEZZNS1_27merge_sort_block_merge_implIS3_PiPS5_jNS1_19radix_merge_compareILb0ELb1EiNS0_19identity_decomposerEEEEE10hipError_tT0_T1_T2_jT3_P12ihipStream_tbPNSt15iterator_traitsISE_E10value_typeEPNSK_ISF_E10value_typeEPSG_NS1_7vsmem_tEENKUlT_SE_SF_SG_E_clIS8_S8_S9_S9_EESD_ST_SE_SF_SG_EUlST_E_NS1_11comp_targetILNS1_3genE2ELNS1_11target_archE906ELNS1_3gpuE6ELNS1_3repE0EEENS1_48merge_mergepath_partition_config_static_selectorELNS0_4arch9wavefront6targetE0EEEvSF_.numbered_sgpr, 0
	.set _ZN7rocprim17ROCPRIM_400000_NS6detail17trampoline_kernelINS0_14default_configENS1_38merge_sort_block_merge_config_selectorIiNS0_10empty_typeEEEZZNS1_27merge_sort_block_merge_implIS3_PiPS5_jNS1_19radix_merge_compareILb0ELb1EiNS0_19identity_decomposerEEEEE10hipError_tT0_T1_T2_jT3_P12ihipStream_tbPNSt15iterator_traitsISE_E10value_typeEPNSK_ISF_E10value_typeEPSG_NS1_7vsmem_tEENKUlT_SE_SF_SG_E_clIS8_S8_S9_S9_EESD_ST_SE_SF_SG_EUlST_E_NS1_11comp_targetILNS1_3genE2ELNS1_11target_archE906ELNS1_3gpuE6ELNS1_3repE0EEENS1_48merge_mergepath_partition_config_static_selectorELNS0_4arch9wavefront6targetE0EEEvSF_.num_named_barrier, 0
	.set _ZN7rocprim17ROCPRIM_400000_NS6detail17trampoline_kernelINS0_14default_configENS1_38merge_sort_block_merge_config_selectorIiNS0_10empty_typeEEEZZNS1_27merge_sort_block_merge_implIS3_PiPS5_jNS1_19radix_merge_compareILb0ELb1EiNS0_19identity_decomposerEEEEE10hipError_tT0_T1_T2_jT3_P12ihipStream_tbPNSt15iterator_traitsISE_E10value_typeEPNSK_ISF_E10value_typeEPSG_NS1_7vsmem_tEENKUlT_SE_SF_SG_E_clIS8_S8_S9_S9_EESD_ST_SE_SF_SG_EUlST_E_NS1_11comp_targetILNS1_3genE2ELNS1_11target_archE906ELNS1_3gpuE6ELNS1_3repE0EEENS1_48merge_mergepath_partition_config_static_selectorELNS0_4arch9wavefront6targetE0EEEvSF_.private_seg_size, 0
	.set _ZN7rocprim17ROCPRIM_400000_NS6detail17trampoline_kernelINS0_14default_configENS1_38merge_sort_block_merge_config_selectorIiNS0_10empty_typeEEEZZNS1_27merge_sort_block_merge_implIS3_PiPS5_jNS1_19radix_merge_compareILb0ELb1EiNS0_19identity_decomposerEEEEE10hipError_tT0_T1_T2_jT3_P12ihipStream_tbPNSt15iterator_traitsISE_E10value_typeEPNSK_ISF_E10value_typeEPSG_NS1_7vsmem_tEENKUlT_SE_SF_SG_E_clIS8_S8_S9_S9_EESD_ST_SE_SF_SG_EUlST_E_NS1_11comp_targetILNS1_3genE2ELNS1_11target_archE906ELNS1_3gpuE6ELNS1_3repE0EEENS1_48merge_mergepath_partition_config_static_selectorELNS0_4arch9wavefront6targetE0EEEvSF_.uses_vcc, 0
	.set _ZN7rocprim17ROCPRIM_400000_NS6detail17trampoline_kernelINS0_14default_configENS1_38merge_sort_block_merge_config_selectorIiNS0_10empty_typeEEEZZNS1_27merge_sort_block_merge_implIS3_PiPS5_jNS1_19radix_merge_compareILb0ELb1EiNS0_19identity_decomposerEEEEE10hipError_tT0_T1_T2_jT3_P12ihipStream_tbPNSt15iterator_traitsISE_E10value_typeEPNSK_ISF_E10value_typeEPSG_NS1_7vsmem_tEENKUlT_SE_SF_SG_E_clIS8_S8_S9_S9_EESD_ST_SE_SF_SG_EUlST_E_NS1_11comp_targetILNS1_3genE2ELNS1_11target_archE906ELNS1_3gpuE6ELNS1_3repE0EEENS1_48merge_mergepath_partition_config_static_selectorELNS0_4arch9wavefront6targetE0EEEvSF_.uses_flat_scratch, 0
	.set _ZN7rocprim17ROCPRIM_400000_NS6detail17trampoline_kernelINS0_14default_configENS1_38merge_sort_block_merge_config_selectorIiNS0_10empty_typeEEEZZNS1_27merge_sort_block_merge_implIS3_PiPS5_jNS1_19radix_merge_compareILb0ELb1EiNS0_19identity_decomposerEEEEE10hipError_tT0_T1_T2_jT3_P12ihipStream_tbPNSt15iterator_traitsISE_E10value_typeEPNSK_ISF_E10value_typeEPSG_NS1_7vsmem_tEENKUlT_SE_SF_SG_E_clIS8_S8_S9_S9_EESD_ST_SE_SF_SG_EUlST_E_NS1_11comp_targetILNS1_3genE2ELNS1_11target_archE906ELNS1_3gpuE6ELNS1_3repE0EEENS1_48merge_mergepath_partition_config_static_selectorELNS0_4arch9wavefront6targetE0EEEvSF_.has_dyn_sized_stack, 0
	.set _ZN7rocprim17ROCPRIM_400000_NS6detail17trampoline_kernelINS0_14default_configENS1_38merge_sort_block_merge_config_selectorIiNS0_10empty_typeEEEZZNS1_27merge_sort_block_merge_implIS3_PiPS5_jNS1_19radix_merge_compareILb0ELb1EiNS0_19identity_decomposerEEEEE10hipError_tT0_T1_T2_jT3_P12ihipStream_tbPNSt15iterator_traitsISE_E10value_typeEPNSK_ISF_E10value_typeEPSG_NS1_7vsmem_tEENKUlT_SE_SF_SG_E_clIS8_S8_S9_S9_EESD_ST_SE_SF_SG_EUlST_E_NS1_11comp_targetILNS1_3genE2ELNS1_11target_archE906ELNS1_3gpuE6ELNS1_3repE0EEENS1_48merge_mergepath_partition_config_static_selectorELNS0_4arch9wavefront6targetE0EEEvSF_.has_recursion, 0
	.set _ZN7rocprim17ROCPRIM_400000_NS6detail17trampoline_kernelINS0_14default_configENS1_38merge_sort_block_merge_config_selectorIiNS0_10empty_typeEEEZZNS1_27merge_sort_block_merge_implIS3_PiPS5_jNS1_19radix_merge_compareILb0ELb1EiNS0_19identity_decomposerEEEEE10hipError_tT0_T1_T2_jT3_P12ihipStream_tbPNSt15iterator_traitsISE_E10value_typeEPNSK_ISF_E10value_typeEPSG_NS1_7vsmem_tEENKUlT_SE_SF_SG_E_clIS8_S8_S9_S9_EESD_ST_SE_SF_SG_EUlST_E_NS1_11comp_targetILNS1_3genE2ELNS1_11target_archE906ELNS1_3gpuE6ELNS1_3repE0EEENS1_48merge_mergepath_partition_config_static_selectorELNS0_4arch9wavefront6targetE0EEEvSF_.has_indirect_call, 0
	.section	.AMDGPU.csdata,"",@progbits
; Kernel info:
; codeLenInByte = 0
; TotalNumSgprs: 0
; NumVgprs: 0
; ScratchSize: 0
; MemoryBound: 0
; FloatMode: 240
; IeeeMode: 1
; LDSByteSize: 0 bytes/workgroup (compile time only)
; SGPRBlocks: 0
; VGPRBlocks: 0
; NumSGPRsForWavesPerEU: 1
; NumVGPRsForWavesPerEU: 1
; NamedBarCnt: 0
; Occupancy: 16
; WaveLimiterHint : 0
; COMPUTE_PGM_RSRC2:SCRATCH_EN: 0
; COMPUTE_PGM_RSRC2:USER_SGPR: 2
; COMPUTE_PGM_RSRC2:TRAP_HANDLER: 0
; COMPUTE_PGM_RSRC2:TGID_X_EN: 1
; COMPUTE_PGM_RSRC2:TGID_Y_EN: 0
; COMPUTE_PGM_RSRC2:TGID_Z_EN: 0
; COMPUTE_PGM_RSRC2:TIDIG_COMP_CNT: 0
	.section	.text._ZN7rocprim17ROCPRIM_400000_NS6detail17trampoline_kernelINS0_14default_configENS1_38merge_sort_block_merge_config_selectorIiNS0_10empty_typeEEEZZNS1_27merge_sort_block_merge_implIS3_PiPS5_jNS1_19radix_merge_compareILb0ELb1EiNS0_19identity_decomposerEEEEE10hipError_tT0_T1_T2_jT3_P12ihipStream_tbPNSt15iterator_traitsISE_E10value_typeEPNSK_ISF_E10value_typeEPSG_NS1_7vsmem_tEENKUlT_SE_SF_SG_E_clIS8_S8_S9_S9_EESD_ST_SE_SF_SG_EUlST_E_NS1_11comp_targetILNS1_3genE9ELNS1_11target_archE1100ELNS1_3gpuE3ELNS1_3repE0EEENS1_48merge_mergepath_partition_config_static_selectorELNS0_4arch9wavefront6targetE0EEEvSF_,"axG",@progbits,_ZN7rocprim17ROCPRIM_400000_NS6detail17trampoline_kernelINS0_14default_configENS1_38merge_sort_block_merge_config_selectorIiNS0_10empty_typeEEEZZNS1_27merge_sort_block_merge_implIS3_PiPS5_jNS1_19radix_merge_compareILb0ELb1EiNS0_19identity_decomposerEEEEE10hipError_tT0_T1_T2_jT3_P12ihipStream_tbPNSt15iterator_traitsISE_E10value_typeEPNSK_ISF_E10value_typeEPSG_NS1_7vsmem_tEENKUlT_SE_SF_SG_E_clIS8_S8_S9_S9_EESD_ST_SE_SF_SG_EUlST_E_NS1_11comp_targetILNS1_3genE9ELNS1_11target_archE1100ELNS1_3gpuE3ELNS1_3repE0EEENS1_48merge_mergepath_partition_config_static_selectorELNS0_4arch9wavefront6targetE0EEEvSF_,comdat
	.protected	_ZN7rocprim17ROCPRIM_400000_NS6detail17trampoline_kernelINS0_14default_configENS1_38merge_sort_block_merge_config_selectorIiNS0_10empty_typeEEEZZNS1_27merge_sort_block_merge_implIS3_PiPS5_jNS1_19radix_merge_compareILb0ELb1EiNS0_19identity_decomposerEEEEE10hipError_tT0_T1_T2_jT3_P12ihipStream_tbPNSt15iterator_traitsISE_E10value_typeEPNSK_ISF_E10value_typeEPSG_NS1_7vsmem_tEENKUlT_SE_SF_SG_E_clIS8_S8_S9_S9_EESD_ST_SE_SF_SG_EUlST_E_NS1_11comp_targetILNS1_3genE9ELNS1_11target_archE1100ELNS1_3gpuE3ELNS1_3repE0EEENS1_48merge_mergepath_partition_config_static_selectorELNS0_4arch9wavefront6targetE0EEEvSF_ ; -- Begin function _ZN7rocprim17ROCPRIM_400000_NS6detail17trampoline_kernelINS0_14default_configENS1_38merge_sort_block_merge_config_selectorIiNS0_10empty_typeEEEZZNS1_27merge_sort_block_merge_implIS3_PiPS5_jNS1_19radix_merge_compareILb0ELb1EiNS0_19identity_decomposerEEEEE10hipError_tT0_T1_T2_jT3_P12ihipStream_tbPNSt15iterator_traitsISE_E10value_typeEPNSK_ISF_E10value_typeEPSG_NS1_7vsmem_tEENKUlT_SE_SF_SG_E_clIS8_S8_S9_S9_EESD_ST_SE_SF_SG_EUlST_E_NS1_11comp_targetILNS1_3genE9ELNS1_11target_archE1100ELNS1_3gpuE3ELNS1_3repE0EEENS1_48merge_mergepath_partition_config_static_selectorELNS0_4arch9wavefront6targetE0EEEvSF_
	.globl	_ZN7rocprim17ROCPRIM_400000_NS6detail17trampoline_kernelINS0_14default_configENS1_38merge_sort_block_merge_config_selectorIiNS0_10empty_typeEEEZZNS1_27merge_sort_block_merge_implIS3_PiPS5_jNS1_19radix_merge_compareILb0ELb1EiNS0_19identity_decomposerEEEEE10hipError_tT0_T1_T2_jT3_P12ihipStream_tbPNSt15iterator_traitsISE_E10value_typeEPNSK_ISF_E10value_typeEPSG_NS1_7vsmem_tEENKUlT_SE_SF_SG_E_clIS8_S8_S9_S9_EESD_ST_SE_SF_SG_EUlST_E_NS1_11comp_targetILNS1_3genE9ELNS1_11target_archE1100ELNS1_3gpuE3ELNS1_3repE0EEENS1_48merge_mergepath_partition_config_static_selectorELNS0_4arch9wavefront6targetE0EEEvSF_
	.p2align	8
	.type	_ZN7rocprim17ROCPRIM_400000_NS6detail17trampoline_kernelINS0_14default_configENS1_38merge_sort_block_merge_config_selectorIiNS0_10empty_typeEEEZZNS1_27merge_sort_block_merge_implIS3_PiPS5_jNS1_19radix_merge_compareILb0ELb1EiNS0_19identity_decomposerEEEEE10hipError_tT0_T1_T2_jT3_P12ihipStream_tbPNSt15iterator_traitsISE_E10value_typeEPNSK_ISF_E10value_typeEPSG_NS1_7vsmem_tEENKUlT_SE_SF_SG_E_clIS8_S8_S9_S9_EESD_ST_SE_SF_SG_EUlST_E_NS1_11comp_targetILNS1_3genE9ELNS1_11target_archE1100ELNS1_3gpuE3ELNS1_3repE0EEENS1_48merge_mergepath_partition_config_static_selectorELNS0_4arch9wavefront6targetE0EEEvSF_,@function
_ZN7rocprim17ROCPRIM_400000_NS6detail17trampoline_kernelINS0_14default_configENS1_38merge_sort_block_merge_config_selectorIiNS0_10empty_typeEEEZZNS1_27merge_sort_block_merge_implIS3_PiPS5_jNS1_19radix_merge_compareILb0ELb1EiNS0_19identity_decomposerEEEEE10hipError_tT0_T1_T2_jT3_P12ihipStream_tbPNSt15iterator_traitsISE_E10value_typeEPNSK_ISF_E10value_typeEPSG_NS1_7vsmem_tEENKUlT_SE_SF_SG_E_clIS8_S8_S9_S9_EESD_ST_SE_SF_SG_EUlST_E_NS1_11comp_targetILNS1_3genE9ELNS1_11target_archE1100ELNS1_3gpuE3ELNS1_3repE0EEENS1_48merge_mergepath_partition_config_static_selectorELNS0_4arch9wavefront6targetE0EEEvSF_: ; @_ZN7rocprim17ROCPRIM_400000_NS6detail17trampoline_kernelINS0_14default_configENS1_38merge_sort_block_merge_config_selectorIiNS0_10empty_typeEEEZZNS1_27merge_sort_block_merge_implIS3_PiPS5_jNS1_19radix_merge_compareILb0ELb1EiNS0_19identity_decomposerEEEEE10hipError_tT0_T1_T2_jT3_P12ihipStream_tbPNSt15iterator_traitsISE_E10value_typeEPNSK_ISF_E10value_typeEPSG_NS1_7vsmem_tEENKUlT_SE_SF_SG_E_clIS8_S8_S9_S9_EESD_ST_SE_SF_SG_EUlST_E_NS1_11comp_targetILNS1_3genE9ELNS1_11target_archE1100ELNS1_3gpuE3ELNS1_3repE0EEENS1_48merge_mergepath_partition_config_static_selectorELNS0_4arch9wavefront6targetE0EEEvSF_
; %bb.0:
	.section	.rodata,"a",@progbits
	.p2align	6, 0x0
	.amdhsa_kernel _ZN7rocprim17ROCPRIM_400000_NS6detail17trampoline_kernelINS0_14default_configENS1_38merge_sort_block_merge_config_selectorIiNS0_10empty_typeEEEZZNS1_27merge_sort_block_merge_implIS3_PiPS5_jNS1_19radix_merge_compareILb0ELb1EiNS0_19identity_decomposerEEEEE10hipError_tT0_T1_T2_jT3_P12ihipStream_tbPNSt15iterator_traitsISE_E10value_typeEPNSK_ISF_E10value_typeEPSG_NS1_7vsmem_tEENKUlT_SE_SF_SG_E_clIS8_S8_S9_S9_EESD_ST_SE_SF_SG_EUlST_E_NS1_11comp_targetILNS1_3genE9ELNS1_11target_archE1100ELNS1_3gpuE3ELNS1_3repE0EEENS1_48merge_mergepath_partition_config_static_selectorELNS0_4arch9wavefront6targetE0EEEvSF_
		.amdhsa_group_segment_fixed_size 0
		.amdhsa_private_segment_fixed_size 0
		.amdhsa_kernarg_size 40
		.amdhsa_user_sgpr_count 2
		.amdhsa_user_sgpr_dispatch_ptr 0
		.amdhsa_user_sgpr_queue_ptr 0
		.amdhsa_user_sgpr_kernarg_segment_ptr 1
		.amdhsa_user_sgpr_dispatch_id 0
		.amdhsa_user_sgpr_kernarg_preload_length 0
		.amdhsa_user_sgpr_kernarg_preload_offset 0
		.amdhsa_user_sgpr_private_segment_size 0
		.amdhsa_wavefront_size32 1
		.amdhsa_uses_dynamic_stack 0
		.amdhsa_enable_private_segment 0
		.amdhsa_system_sgpr_workgroup_id_x 1
		.amdhsa_system_sgpr_workgroup_id_y 0
		.amdhsa_system_sgpr_workgroup_id_z 0
		.amdhsa_system_sgpr_workgroup_info 0
		.amdhsa_system_vgpr_workitem_id 0
		.amdhsa_next_free_vgpr 1
		.amdhsa_next_free_sgpr 1
		.amdhsa_named_barrier_count 0
		.amdhsa_reserve_vcc 0
		.amdhsa_float_round_mode_32 0
		.amdhsa_float_round_mode_16_64 0
		.amdhsa_float_denorm_mode_32 3
		.amdhsa_float_denorm_mode_16_64 3
		.amdhsa_fp16_overflow 0
		.amdhsa_memory_ordered 1
		.amdhsa_forward_progress 1
		.amdhsa_inst_pref_size 0
		.amdhsa_round_robin_scheduling 0
		.amdhsa_exception_fp_ieee_invalid_op 0
		.amdhsa_exception_fp_denorm_src 0
		.amdhsa_exception_fp_ieee_div_zero 0
		.amdhsa_exception_fp_ieee_overflow 0
		.amdhsa_exception_fp_ieee_underflow 0
		.amdhsa_exception_fp_ieee_inexact 0
		.amdhsa_exception_int_div_zero 0
	.end_amdhsa_kernel
	.section	.text._ZN7rocprim17ROCPRIM_400000_NS6detail17trampoline_kernelINS0_14default_configENS1_38merge_sort_block_merge_config_selectorIiNS0_10empty_typeEEEZZNS1_27merge_sort_block_merge_implIS3_PiPS5_jNS1_19radix_merge_compareILb0ELb1EiNS0_19identity_decomposerEEEEE10hipError_tT0_T1_T2_jT3_P12ihipStream_tbPNSt15iterator_traitsISE_E10value_typeEPNSK_ISF_E10value_typeEPSG_NS1_7vsmem_tEENKUlT_SE_SF_SG_E_clIS8_S8_S9_S9_EESD_ST_SE_SF_SG_EUlST_E_NS1_11comp_targetILNS1_3genE9ELNS1_11target_archE1100ELNS1_3gpuE3ELNS1_3repE0EEENS1_48merge_mergepath_partition_config_static_selectorELNS0_4arch9wavefront6targetE0EEEvSF_,"axG",@progbits,_ZN7rocprim17ROCPRIM_400000_NS6detail17trampoline_kernelINS0_14default_configENS1_38merge_sort_block_merge_config_selectorIiNS0_10empty_typeEEEZZNS1_27merge_sort_block_merge_implIS3_PiPS5_jNS1_19radix_merge_compareILb0ELb1EiNS0_19identity_decomposerEEEEE10hipError_tT0_T1_T2_jT3_P12ihipStream_tbPNSt15iterator_traitsISE_E10value_typeEPNSK_ISF_E10value_typeEPSG_NS1_7vsmem_tEENKUlT_SE_SF_SG_E_clIS8_S8_S9_S9_EESD_ST_SE_SF_SG_EUlST_E_NS1_11comp_targetILNS1_3genE9ELNS1_11target_archE1100ELNS1_3gpuE3ELNS1_3repE0EEENS1_48merge_mergepath_partition_config_static_selectorELNS0_4arch9wavefront6targetE0EEEvSF_,comdat
.Lfunc_end924:
	.size	_ZN7rocprim17ROCPRIM_400000_NS6detail17trampoline_kernelINS0_14default_configENS1_38merge_sort_block_merge_config_selectorIiNS0_10empty_typeEEEZZNS1_27merge_sort_block_merge_implIS3_PiPS5_jNS1_19radix_merge_compareILb0ELb1EiNS0_19identity_decomposerEEEEE10hipError_tT0_T1_T2_jT3_P12ihipStream_tbPNSt15iterator_traitsISE_E10value_typeEPNSK_ISF_E10value_typeEPSG_NS1_7vsmem_tEENKUlT_SE_SF_SG_E_clIS8_S8_S9_S9_EESD_ST_SE_SF_SG_EUlST_E_NS1_11comp_targetILNS1_3genE9ELNS1_11target_archE1100ELNS1_3gpuE3ELNS1_3repE0EEENS1_48merge_mergepath_partition_config_static_selectorELNS0_4arch9wavefront6targetE0EEEvSF_, .Lfunc_end924-_ZN7rocprim17ROCPRIM_400000_NS6detail17trampoline_kernelINS0_14default_configENS1_38merge_sort_block_merge_config_selectorIiNS0_10empty_typeEEEZZNS1_27merge_sort_block_merge_implIS3_PiPS5_jNS1_19radix_merge_compareILb0ELb1EiNS0_19identity_decomposerEEEEE10hipError_tT0_T1_T2_jT3_P12ihipStream_tbPNSt15iterator_traitsISE_E10value_typeEPNSK_ISF_E10value_typeEPSG_NS1_7vsmem_tEENKUlT_SE_SF_SG_E_clIS8_S8_S9_S9_EESD_ST_SE_SF_SG_EUlST_E_NS1_11comp_targetILNS1_3genE9ELNS1_11target_archE1100ELNS1_3gpuE3ELNS1_3repE0EEENS1_48merge_mergepath_partition_config_static_selectorELNS0_4arch9wavefront6targetE0EEEvSF_
                                        ; -- End function
	.set _ZN7rocprim17ROCPRIM_400000_NS6detail17trampoline_kernelINS0_14default_configENS1_38merge_sort_block_merge_config_selectorIiNS0_10empty_typeEEEZZNS1_27merge_sort_block_merge_implIS3_PiPS5_jNS1_19radix_merge_compareILb0ELb1EiNS0_19identity_decomposerEEEEE10hipError_tT0_T1_T2_jT3_P12ihipStream_tbPNSt15iterator_traitsISE_E10value_typeEPNSK_ISF_E10value_typeEPSG_NS1_7vsmem_tEENKUlT_SE_SF_SG_E_clIS8_S8_S9_S9_EESD_ST_SE_SF_SG_EUlST_E_NS1_11comp_targetILNS1_3genE9ELNS1_11target_archE1100ELNS1_3gpuE3ELNS1_3repE0EEENS1_48merge_mergepath_partition_config_static_selectorELNS0_4arch9wavefront6targetE0EEEvSF_.num_vgpr, 0
	.set _ZN7rocprim17ROCPRIM_400000_NS6detail17trampoline_kernelINS0_14default_configENS1_38merge_sort_block_merge_config_selectorIiNS0_10empty_typeEEEZZNS1_27merge_sort_block_merge_implIS3_PiPS5_jNS1_19radix_merge_compareILb0ELb1EiNS0_19identity_decomposerEEEEE10hipError_tT0_T1_T2_jT3_P12ihipStream_tbPNSt15iterator_traitsISE_E10value_typeEPNSK_ISF_E10value_typeEPSG_NS1_7vsmem_tEENKUlT_SE_SF_SG_E_clIS8_S8_S9_S9_EESD_ST_SE_SF_SG_EUlST_E_NS1_11comp_targetILNS1_3genE9ELNS1_11target_archE1100ELNS1_3gpuE3ELNS1_3repE0EEENS1_48merge_mergepath_partition_config_static_selectorELNS0_4arch9wavefront6targetE0EEEvSF_.num_agpr, 0
	.set _ZN7rocprim17ROCPRIM_400000_NS6detail17trampoline_kernelINS0_14default_configENS1_38merge_sort_block_merge_config_selectorIiNS0_10empty_typeEEEZZNS1_27merge_sort_block_merge_implIS3_PiPS5_jNS1_19radix_merge_compareILb0ELb1EiNS0_19identity_decomposerEEEEE10hipError_tT0_T1_T2_jT3_P12ihipStream_tbPNSt15iterator_traitsISE_E10value_typeEPNSK_ISF_E10value_typeEPSG_NS1_7vsmem_tEENKUlT_SE_SF_SG_E_clIS8_S8_S9_S9_EESD_ST_SE_SF_SG_EUlST_E_NS1_11comp_targetILNS1_3genE9ELNS1_11target_archE1100ELNS1_3gpuE3ELNS1_3repE0EEENS1_48merge_mergepath_partition_config_static_selectorELNS0_4arch9wavefront6targetE0EEEvSF_.numbered_sgpr, 0
	.set _ZN7rocprim17ROCPRIM_400000_NS6detail17trampoline_kernelINS0_14default_configENS1_38merge_sort_block_merge_config_selectorIiNS0_10empty_typeEEEZZNS1_27merge_sort_block_merge_implIS3_PiPS5_jNS1_19radix_merge_compareILb0ELb1EiNS0_19identity_decomposerEEEEE10hipError_tT0_T1_T2_jT3_P12ihipStream_tbPNSt15iterator_traitsISE_E10value_typeEPNSK_ISF_E10value_typeEPSG_NS1_7vsmem_tEENKUlT_SE_SF_SG_E_clIS8_S8_S9_S9_EESD_ST_SE_SF_SG_EUlST_E_NS1_11comp_targetILNS1_3genE9ELNS1_11target_archE1100ELNS1_3gpuE3ELNS1_3repE0EEENS1_48merge_mergepath_partition_config_static_selectorELNS0_4arch9wavefront6targetE0EEEvSF_.num_named_barrier, 0
	.set _ZN7rocprim17ROCPRIM_400000_NS6detail17trampoline_kernelINS0_14default_configENS1_38merge_sort_block_merge_config_selectorIiNS0_10empty_typeEEEZZNS1_27merge_sort_block_merge_implIS3_PiPS5_jNS1_19radix_merge_compareILb0ELb1EiNS0_19identity_decomposerEEEEE10hipError_tT0_T1_T2_jT3_P12ihipStream_tbPNSt15iterator_traitsISE_E10value_typeEPNSK_ISF_E10value_typeEPSG_NS1_7vsmem_tEENKUlT_SE_SF_SG_E_clIS8_S8_S9_S9_EESD_ST_SE_SF_SG_EUlST_E_NS1_11comp_targetILNS1_3genE9ELNS1_11target_archE1100ELNS1_3gpuE3ELNS1_3repE0EEENS1_48merge_mergepath_partition_config_static_selectorELNS0_4arch9wavefront6targetE0EEEvSF_.private_seg_size, 0
	.set _ZN7rocprim17ROCPRIM_400000_NS6detail17trampoline_kernelINS0_14default_configENS1_38merge_sort_block_merge_config_selectorIiNS0_10empty_typeEEEZZNS1_27merge_sort_block_merge_implIS3_PiPS5_jNS1_19radix_merge_compareILb0ELb1EiNS0_19identity_decomposerEEEEE10hipError_tT0_T1_T2_jT3_P12ihipStream_tbPNSt15iterator_traitsISE_E10value_typeEPNSK_ISF_E10value_typeEPSG_NS1_7vsmem_tEENKUlT_SE_SF_SG_E_clIS8_S8_S9_S9_EESD_ST_SE_SF_SG_EUlST_E_NS1_11comp_targetILNS1_3genE9ELNS1_11target_archE1100ELNS1_3gpuE3ELNS1_3repE0EEENS1_48merge_mergepath_partition_config_static_selectorELNS0_4arch9wavefront6targetE0EEEvSF_.uses_vcc, 0
	.set _ZN7rocprim17ROCPRIM_400000_NS6detail17trampoline_kernelINS0_14default_configENS1_38merge_sort_block_merge_config_selectorIiNS0_10empty_typeEEEZZNS1_27merge_sort_block_merge_implIS3_PiPS5_jNS1_19radix_merge_compareILb0ELb1EiNS0_19identity_decomposerEEEEE10hipError_tT0_T1_T2_jT3_P12ihipStream_tbPNSt15iterator_traitsISE_E10value_typeEPNSK_ISF_E10value_typeEPSG_NS1_7vsmem_tEENKUlT_SE_SF_SG_E_clIS8_S8_S9_S9_EESD_ST_SE_SF_SG_EUlST_E_NS1_11comp_targetILNS1_3genE9ELNS1_11target_archE1100ELNS1_3gpuE3ELNS1_3repE0EEENS1_48merge_mergepath_partition_config_static_selectorELNS0_4arch9wavefront6targetE0EEEvSF_.uses_flat_scratch, 0
	.set _ZN7rocprim17ROCPRIM_400000_NS6detail17trampoline_kernelINS0_14default_configENS1_38merge_sort_block_merge_config_selectorIiNS0_10empty_typeEEEZZNS1_27merge_sort_block_merge_implIS3_PiPS5_jNS1_19radix_merge_compareILb0ELb1EiNS0_19identity_decomposerEEEEE10hipError_tT0_T1_T2_jT3_P12ihipStream_tbPNSt15iterator_traitsISE_E10value_typeEPNSK_ISF_E10value_typeEPSG_NS1_7vsmem_tEENKUlT_SE_SF_SG_E_clIS8_S8_S9_S9_EESD_ST_SE_SF_SG_EUlST_E_NS1_11comp_targetILNS1_3genE9ELNS1_11target_archE1100ELNS1_3gpuE3ELNS1_3repE0EEENS1_48merge_mergepath_partition_config_static_selectorELNS0_4arch9wavefront6targetE0EEEvSF_.has_dyn_sized_stack, 0
	.set _ZN7rocprim17ROCPRIM_400000_NS6detail17trampoline_kernelINS0_14default_configENS1_38merge_sort_block_merge_config_selectorIiNS0_10empty_typeEEEZZNS1_27merge_sort_block_merge_implIS3_PiPS5_jNS1_19radix_merge_compareILb0ELb1EiNS0_19identity_decomposerEEEEE10hipError_tT0_T1_T2_jT3_P12ihipStream_tbPNSt15iterator_traitsISE_E10value_typeEPNSK_ISF_E10value_typeEPSG_NS1_7vsmem_tEENKUlT_SE_SF_SG_E_clIS8_S8_S9_S9_EESD_ST_SE_SF_SG_EUlST_E_NS1_11comp_targetILNS1_3genE9ELNS1_11target_archE1100ELNS1_3gpuE3ELNS1_3repE0EEENS1_48merge_mergepath_partition_config_static_selectorELNS0_4arch9wavefront6targetE0EEEvSF_.has_recursion, 0
	.set _ZN7rocprim17ROCPRIM_400000_NS6detail17trampoline_kernelINS0_14default_configENS1_38merge_sort_block_merge_config_selectorIiNS0_10empty_typeEEEZZNS1_27merge_sort_block_merge_implIS3_PiPS5_jNS1_19radix_merge_compareILb0ELb1EiNS0_19identity_decomposerEEEEE10hipError_tT0_T1_T2_jT3_P12ihipStream_tbPNSt15iterator_traitsISE_E10value_typeEPNSK_ISF_E10value_typeEPSG_NS1_7vsmem_tEENKUlT_SE_SF_SG_E_clIS8_S8_S9_S9_EESD_ST_SE_SF_SG_EUlST_E_NS1_11comp_targetILNS1_3genE9ELNS1_11target_archE1100ELNS1_3gpuE3ELNS1_3repE0EEENS1_48merge_mergepath_partition_config_static_selectorELNS0_4arch9wavefront6targetE0EEEvSF_.has_indirect_call, 0
	.section	.AMDGPU.csdata,"",@progbits
; Kernel info:
; codeLenInByte = 0
; TotalNumSgprs: 0
; NumVgprs: 0
; ScratchSize: 0
; MemoryBound: 0
; FloatMode: 240
; IeeeMode: 1
; LDSByteSize: 0 bytes/workgroup (compile time only)
; SGPRBlocks: 0
; VGPRBlocks: 0
; NumSGPRsForWavesPerEU: 1
; NumVGPRsForWavesPerEU: 1
; NamedBarCnt: 0
; Occupancy: 16
; WaveLimiterHint : 0
; COMPUTE_PGM_RSRC2:SCRATCH_EN: 0
; COMPUTE_PGM_RSRC2:USER_SGPR: 2
; COMPUTE_PGM_RSRC2:TRAP_HANDLER: 0
; COMPUTE_PGM_RSRC2:TGID_X_EN: 1
; COMPUTE_PGM_RSRC2:TGID_Y_EN: 0
; COMPUTE_PGM_RSRC2:TGID_Z_EN: 0
; COMPUTE_PGM_RSRC2:TIDIG_COMP_CNT: 0
	.section	.text._ZN7rocprim17ROCPRIM_400000_NS6detail17trampoline_kernelINS0_14default_configENS1_38merge_sort_block_merge_config_selectorIiNS0_10empty_typeEEEZZNS1_27merge_sort_block_merge_implIS3_PiPS5_jNS1_19radix_merge_compareILb0ELb1EiNS0_19identity_decomposerEEEEE10hipError_tT0_T1_T2_jT3_P12ihipStream_tbPNSt15iterator_traitsISE_E10value_typeEPNSK_ISF_E10value_typeEPSG_NS1_7vsmem_tEENKUlT_SE_SF_SG_E_clIS8_S8_S9_S9_EESD_ST_SE_SF_SG_EUlST_E_NS1_11comp_targetILNS1_3genE8ELNS1_11target_archE1030ELNS1_3gpuE2ELNS1_3repE0EEENS1_48merge_mergepath_partition_config_static_selectorELNS0_4arch9wavefront6targetE0EEEvSF_,"axG",@progbits,_ZN7rocprim17ROCPRIM_400000_NS6detail17trampoline_kernelINS0_14default_configENS1_38merge_sort_block_merge_config_selectorIiNS0_10empty_typeEEEZZNS1_27merge_sort_block_merge_implIS3_PiPS5_jNS1_19radix_merge_compareILb0ELb1EiNS0_19identity_decomposerEEEEE10hipError_tT0_T1_T2_jT3_P12ihipStream_tbPNSt15iterator_traitsISE_E10value_typeEPNSK_ISF_E10value_typeEPSG_NS1_7vsmem_tEENKUlT_SE_SF_SG_E_clIS8_S8_S9_S9_EESD_ST_SE_SF_SG_EUlST_E_NS1_11comp_targetILNS1_3genE8ELNS1_11target_archE1030ELNS1_3gpuE2ELNS1_3repE0EEENS1_48merge_mergepath_partition_config_static_selectorELNS0_4arch9wavefront6targetE0EEEvSF_,comdat
	.protected	_ZN7rocprim17ROCPRIM_400000_NS6detail17trampoline_kernelINS0_14default_configENS1_38merge_sort_block_merge_config_selectorIiNS0_10empty_typeEEEZZNS1_27merge_sort_block_merge_implIS3_PiPS5_jNS1_19radix_merge_compareILb0ELb1EiNS0_19identity_decomposerEEEEE10hipError_tT0_T1_T2_jT3_P12ihipStream_tbPNSt15iterator_traitsISE_E10value_typeEPNSK_ISF_E10value_typeEPSG_NS1_7vsmem_tEENKUlT_SE_SF_SG_E_clIS8_S8_S9_S9_EESD_ST_SE_SF_SG_EUlST_E_NS1_11comp_targetILNS1_3genE8ELNS1_11target_archE1030ELNS1_3gpuE2ELNS1_3repE0EEENS1_48merge_mergepath_partition_config_static_selectorELNS0_4arch9wavefront6targetE0EEEvSF_ ; -- Begin function _ZN7rocprim17ROCPRIM_400000_NS6detail17trampoline_kernelINS0_14default_configENS1_38merge_sort_block_merge_config_selectorIiNS0_10empty_typeEEEZZNS1_27merge_sort_block_merge_implIS3_PiPS5_jNS1_19radix_merge_compareILb0ELb1EiNS0_19identity_decomposerEEEEE10hipError_tT0_T1_T2_jT3_P12ihipStream_tbPNSt15iterator_traitsISE_E10value_typeEPNSK_ISF_E10value_typeEPSG_NS1_7vsmem_tEENKUlT_SE_SF_SG_E_clIS8_S8_S9_S9_EESD_ST_SE_SF_SG_EUlST_E_NS1_11comp_targetILNS1_3genE8ELNS1_11target_archE1030ELNS1_3gpuE2ELNS1_3repE0EEENS1_48merge_mergepath_partition_config_static_selectorELNS0_4arch9wavefront6targetE0EEEvSF_
	.globl	_ZN7rocprim17ROCPRIM_400000_NS6detail17trampoline_kernelINS0_14default_configENS1_38merge_sort_block_merge_config_selectorIiNS0_10empty_typeEEEZZNS1_27merge_sort_block_merge_implIS3_PiPS5_jNS1_19radix_merge_compareILb0ELb1EiNS0_19identity_decomposerEEEEE10hipError_tT0_T1_T2_jT3_P12ihipStream_tbPNSt15iterator_traitsISE_E10value_typeEPNSK_ISF_E10value_typeEPSG_NS1_7vsmem_tEENKUlT_SE_SF_SG_E_clIS8_S8_S9_S9_EESD_ST_SE_SF_SG_EUlST_E_NS1_11comp_targetILNS1_3genE8ELNS1_11target_archE1030ELNS1_3gpuE2ELNS1_3repE0EEENS1_48merge_mergepath_partition_config_static_selectorELNS0_4arch9wavefront6targetE0EEEvSF_
	.p2align	8
	.type	_ZN7rocprim17ROCPRIM_400000_NS6detail17trampoline_kernelINS0_14default_configENS1_38merge_sort_block_merge_config_selectorIiNS0_10empty_typeEEEZZNS1_27merge_sort_block_merge_implIS3_PiPS5_jNS1_19radix_merge_compareILb0ELb1EiNS0_19identity_decomposerEEEEE10hipError_tT0_T1_T2_jT3_P12ihipStream_tbPNSt15iterator_traitsISE_E10value_typeEPNSK_ISF_E10value_typeEPSG_NS1_7vsmem_tEENKUlT_SE_SF_SG_E_clIS8_S8_S9_S9_EESD_ST_SE_SF_SG_EUlST_E_NS1_11comp_targetILNS1_3genE8ELNS1_11target_archE1030ELNS1_3gpuE2ELNS1_3repE0EEENS1_48merge_mergepath_partition_config_static_selectorELNS0_4arch9wavefront6targetE0EEEvSF_,@function
_ZN7rocprim17ROCPRIM_400000_NS6detail17trampoline_kernelINS0_14default_configENS1_38merge_sort_block_merge_config_selectorIiNS0_10empty_typeEEEZZNS1_27merge_sort_block_merge_implIS3_PiPS5_jNS1_19radix_merge_compareILb0ELb1EiNS0_19identity_decomposerEEEEE10hipError_tT0_T1_T2_jT3_P12ihipStream_tbPNSt15iterator_traitsISE_E10value_typeEPNSK_ISF_E10value_typeEPSG_NS1_7vsmem_tEENKUlT_SE_SF_SG_E_clIS8_S8_S9_S9_EESD_ST_SE_SF_SG_EUlST_E_NS1_11comp_targetILNS1_3genE8ELNS1_11target_archE1030ELNS1_3gpuE2ELNS1_3repE0EEENS1_48merge_mergepath_partition_config_static_selectorELNS0_4arch9wavefront6targetE0EEEvSF_: ; @_ZN7rocprim17ROCPRIM_400000_NS6detail17trampoline_kernelINS0_14default_configENS1_38merge_sort_block_merge_config_selectorIiNS0_10empty_typeEEEZZNS1_27merge_sort_block_merge_implIS3_PiPS5_jNS1_19radix_merge_compareILb0ELb1EiNS0_19identity_decomposerEEEEE10hipError_tT0_T1_T2_jT3_P12ihipStream_tbPNSt15iterator_traitsISE_E10value_typeEPNSK_ISF_E10value_typeEPSG_NS1_7vsmem_tEENKUlT_SE_SF_SG_E_clIS8_S8_S9_S9_EESD_ST_SE_SF_SG_EUlST_E_NS1_11comp_targetILNS1_3genE8ELNS1_11target_archE1030ELNS1_3gpuE2ELNS1_3repE0EEENS1_48merge_mergepath_partition_config_static_selectorELNS0_4arch9wavefront6targetE0EEEvSF_
; %bb.0:
	.section	.rodata,"a",@progbits
	.p2align	6, 0x0
	.amdhsa_kernel _ZN7rocprim17ROCPRIM_400000_NS6detail17trampoline_kernelINS0_14default_configENS1_38merge_sort_block_merge_config_selectorIiNS0_10empty_typeEEEZZNS1_27merge_sort_block_merge_implIS3_PiPS5_jNS1_19radix_merge_compareILb0ELb1EiNS0_19identity_decomposerEEEEE10hipError_tT0_T1_T2_jT3_P12ihipStream_tbPNSt15iterator_traitsISE_E10value_typeEPNSK_ISF_E10value_typeEPSG_NS1_7vsmem_tEENKUlT_SE_SF_SG_E_clIS8_S8_S9_S9_EESD_ST_SE_SF_SG_EUlST_E_NS1_11comp_targetILNS1_3genE8ELNS1_11target_archE1030ELNS1_3gpuE2ELNS1_3repE0EEENS1_48merge_mergepath_partition_config_static_selectorELNS0_4arch9wavefront6targetE0EEEvSF_
		.amdhsa_group_segment_fixed_size 0
		.amdhsa_private_segment_fixed_size 0
		.amdhsa_kernarg_size 40
		.amdhsa_user_sgpr_count 2
		.amdhsa_user_sgpr_dispatch_ptr 0
		.amdhsa_user_sgpr_queue_ptr 0
		.amdhsa_user_sgpr_kernarg_segment_ptr 1
		.amdhsa_user_sgpr_dispatch_id 0
		.amdhsa_user_sgpr_kernarg_preload_length 0
		.amdhsa_user_sgpr_kernarg_preload_offset 0
		.amdhsa_user_sgpr_private_segment_size 0
		.amdhsa_wavefront_size32 1
		.amdhsa_uses_dynamic_stack 0
		.amdhsa_enable_private_segment 0
		.amdhsa_system_sgpr_workgroup_id_x 1
		.amdhsa_system_sgpr_workgroup_id_y 0
		.amdhsa_system_sgpr_workgroup_id_z 0
		.amdhsa_system_sgpr_workgroup_info 0
		.amdhsa_system_vgpr_workitem_id 0
		.amdhsa_next_free_vgpr 1
		.amdhsa_next_free_sgpr 1
		.amdhsa_named_barrier_count 0
		.amdhsa_reserve_vcc 0
		.amdhsa_float_round_mode_32 0
		.amdhsa_float_round_mode_16_64 0
		.amdhsa_float_denorm_mode_32 3
		.amdhsa_float_denorm_mode_16_64 3
		.amdhsa_fp16_overflow 0
		.amdhsa_memory_ordered 1
		.amdhsa_forward_progress 1
		.amdhsa_inst_pref_size 0
		.amdhsa_round_robin_scheduling 0
		.amdhsa_exception_fp_ieee_invalid_op 0
		.amdhsa_exception_fp_denorm_src 0
		.amdhsa_exception_fp_ieee_div_zero 0
		.amdhsa_exception_fp_ieee_overflow 0
		.amdhsa_exception_fp_ieee_underflow 0
		.amdhsa_exception_fp_ieee_inexact 0
		.amdhsa_exception_int_div_zero 0
	.end_amdhsa_kernel
	.section	.text._ZN7rocprim17ROCPRIM_400000_NS6detail17trampoline_kernelINS0_14default_configENS1_38merge_sort_block_merge_config_selectorIiNS0_10empty_typeEEEZZNS1_27merge_sort_block_merge_implIS3_PiPS5_jNS1_19radix_merge_compareILb0ELb1EiNS0_19identity_decomposerEEEEE10hipError_tT0_T1_T2_jT3_P12ihipStream_tbPNSt15iterator_traitsISE_E10value_typeEPNSK_ISF_E10value_typeEPSG_NS1_7vsmem_tEENKUlT_SE_SF_SG_E_clIS8_S8_S9_S9_EESD_ST_SE_SF_SG_EUlST_E_NS1_11comp_targetILNS1_3genE8ELNS1_11target_archE1030ELNS1_3gpuE2ELNS1_3repE0EEENS1_48merge_mergepath_partition_config_static_selectorELNS0_4arch9wavefront6targetE0EEEvSF_,"axG",@progbits,_ZN7rocprim17ROCPRIM_400000_NS6detail17trampoline_kernelINS0_14default_configENS1_38merge_sort_block_merge_config_selectorIiNS0_10empty_typeEEEZZNS1_27merge_sort_block_merge_implIS3_PiPS5_jNS1_19radix_merge_compareILb0ELb1EiNS0_19identity_decomposerEEEEE10hipError_tT0_T1_T2_jT3_P12ihipStream_tbPNSt15iterator_traitsISE_E10value_typeEPNSK_ISF_E10value_typeEPSG_NS1_7vsmem_tEENKUlT_SE_SF_SG_E_clIS8_S8_S9_S9_EESD_ST_SE_SF_SG_EUlST_E_NS1_11comp_targetILNS1_3genE8ELNS1_11target_archE1030ELNS1_3gpuE2ELNS1_3repE0EEENS1_48merge_mergepath_partition_config_static_selectorELNS0_4arch9wavefront6targetE0EEEvSF_,comdat
.Lfunc_end925:
	.size	_ZN7rocprim17ROCPRIM_400000_NS6detail17trampoline_kernelINS0_14default_configENS1_38merge_sort_block_merge_config_selectorIiNS0_10empty_typeEEEZZNS1_27merge_sort_block_merge_implIS3_PiPS5_jNS1_19radix_merge_compareILb0ELb1EiNS0_19identity_decomposerEEEEE10hipError_tT0_T1_T2_jT3_P12ihipStream_tbPNSt15iterator_traitsISE_E10value_typeEPNSK_ISF_E10value_typeEPSG_NS1_7vsmem_tEENKUlT_SE_SF_SG_E_clIS8_S8_S9_S9_EESD_ST_SE_SF_SG_EUlST_E_NS1_11comp_targetILNS1_3genE8ELNS1_11target_archE1030ELNS1_3gpuE2ELNS1_3repE0EEENS1_48merge_mergepath_partition_config_static_selectorELNS0_4arch9wavefront6targetE0EEEvSF_, .Lfunc_end925-_ZN7rocprim17ROCPRIM_400000_NS6detail17trampoline_kernelINS0_14default_configENS1_38merge_sort_block_merge_config_selectorIiNS0_10empty_typeEEEZZNS1_27merge_sort_block_merge_implIS3_PiPS5_jNS1_19radix_merge_compareILb0ELb1EiNS0_19identity_decomposerEEEEE10hipError_tT0_T1_T2_jT3_P12ihipStream_tbPNSt15iterator_traitsISE_E10value_typeEPNSK_ISF_E10value_typeEPSG_NS1_7vsmem_tEENKUlT_SE_SF_SG_E_clIS8_S8_S9_S9_EESD_ST_SE_SF_SG_EUlST_E_NS1_11comp_targetILNS1_3genE8ELNS1_11target_archE1030ELNS1_3gpuE2ELNS1_3repE0EEENS1_48merge_mergepath_partition_config_static_selectorELNS0_4arch9wavefront6targetE0EEEvSF_
                                        ; -- End function
	.set _ZN7rocprim17ROCPRIM_400000_NS6detail17trampoline_kernelINS0_14default_configENS1_38merge_sort_block_merge_config_selectorIiNS0_10empty_typeEEEZZNS1_27merge_sort_block_merge_implIS3_PiPS5_jNS1_19radix_merge_compareILb0ELb1EiNS0_19identity_decomposerEEEEE10hipError_tT0_T1_T2_jT3_P12ihipStream_tbPNSt15iterator_traitsISE_E10value_typeEPNSK_ISF_E10value_typeEPSG_NS1_7vsmem_tEENKUlT_SE_SF_SG_E_clIS8_S8_S9_S9_EESD_ST_SE_SF_SG_EUlST_E_NS1_11comp_targetILNS1_3genE8ELNS1_11target_archE1030ELNS1_3gpuE2ELNS1_3repE0EEENS1_48merge_mergepath_partition_config_static_selectorELNS0_4arch9wavefront6targetE0EEEvSF_.num_vgpr, 0
	.set _ZN7rocprim17ROCPRIM_400000_NS6detail17trampoline_kernelINS0_14default_configENS1_38merge_sort_block_merge_config_selectorIiNS0_10empty_typeEEEZZNS1_27merge_sort_block_merge_implIS3_PiPS5_jNS1_19radix_merge_compareILb0ELb1EiNS0_19identity_decomposerEEEEE10hipError_tT0_T1_T2_jT3_P12ihipStream_tbPNSt15iterator_traitsISE_E10value_typeEPNSK_ISF_E10value_typeEPSG_NS1_7vsmem_tEENKUlT_SE_SF_SG_E_clIS8_S8_S9_S9_EESD_ST_SE_SF_SG_EUlST_E_NS1_11comp_targetILNS1_3genE8ELNS1_11target_archE1030ELNS1_3gpuE2ELNS1_3repE0EEENS1_48merge_mergepath_partition_config_static_selectorELNS0_4arch9wavefront6targetE0EEEvSF_.num_agpr, 0
	.set _ZN7rocprim17ROCPRIM_400000_NS6detail17trampoline_kernelINS0_14default_configENS1_38merge_sort_block_merge_config_selectorIiNS0_10empty_typeEEEZZNS1_27merge_sort_block_merge_implIS3_PiPS5_jNS1_19radix_merge_compareILb0ELb1EiNS0_19identity_decomposerEEEEE10hipError_tT0_T1_T2_jT3_P12ihipStream_tbPNSt15iterator_traitsISE_E10value_typeEPNSK_ISF_E10value_typeEPSG_NS1_7vsmem_tEENKUlT_SE_SF_SG_E_clIS8_S8_S9_S9_EESD_ST_SE_SF_SG_EUlST_E_NS1_11comp_targetILNS1_3genE8ELNS1_11target_archE1030ELNS1_3gpuE2ELNS1_3repE0EEENS1_48merge_mergepath_partition_config_static_selectorELNS0_4arch9wavefront6targetE0EEEvSF_.numbered_sgpr, 0
	.set _ZN7rocprim17ROCPRIM_400000_NS6detail17trampoline_kernelINS0_14default_configENS1_38merge_sort_block_merge_config_selectorIiNS0_10empty_typeEEEZZNS1_27merge_sort_block_merge_implIS3_PiPS5_jNS1_19radix_merge_compareILb0ELb1EiNS0_19identity_decomposerEEEEE10hipError_tT0_T1_T2_jT3_P12ihipStream_tbPNSt15iterator_traitsISE_E10value_typeEPNSK_ISF_E10value_typeEPSG_NS1_7vsmem_tEENKUlT_SE_SF_SG_E_clIS8_S8_S9_S9_EESD_ST_SE_SF_SG_EUlST_E_NS1_11comp_targetILNS1_3genE8ELNS1_11target_archE1030ELNS1_3gpuE2ELNS1_3repE0EEENS1_48merge_mergepath_partition_config_static_selectorELNS0_4arch9wavefront6targetE0EEEvSF_.num_named_barrier, 0
	.set _ZN7rocprim17ROCPRIM_400000_NS6detail17trampoline_kernelINS0_14default_configENS1_38merge_sort_block_merge_config_selectorIiNS0_10empty_typeEEEZZNS1_27merge_sort_block_merge_implIS3_PiPS5_jNS1_19radix_merge_compareILb0ELb1EiNS0_19identity_decomposerEEEEE10hipError_tT0_T1_T2_jT3_P12ihipStream_tbPNSt15iterator_traitsISE_E10value_typeEPNSK_ISF_E10value_typeEPSG_NS1_7vsmem_tEENKUlT_SE_SF_SG_E_clIS8_S8_S9_S9_EESD_ST_SE_SF_SG_EUlST_E_NS1_11comp_targetILNS1_3genE8ELNS1_11target_archE1030ELNS1_3gpuE2ELNS1_3repE0EEENS1_48merge_mergepath_partition_config_static_selectorELNS0_4arch9wavefront6targetE0EEEvSF_.private_seg_size, 0
	.set _ZN7rocprim17ROCPRIM_400000_NS6detail17trampoline_kernelINS0_14default_configENS1_38merge_sort_block_merge_config_selectorIiNS0_10empty_typeEEEZZNS1_27merge_sort_block_merge_implIS3_PiPS5_jNS1_19radix_merge_compareILb0ELb1EiNS0_19identity_decomposerEEEEE10hipError_tT0_T1_T2_jT3_P12ihipStream_tbPNSt15iterator_traitsISE_E10value_typeEPNSK_ISF_E10value_typeEPSG_NS1_7vsmem_tEENKUlT_SE_SF_SG_E_clIS8_S8_S9_S9_EESD_ST_SE_SF_SG_EUlST_E_NS1_11comp_targetILNS1_3genE8ELNS1_11target_archE1030ELNS1_3gpuE2ELNS1_3repE0EEENS1_48merge_mergepath_partition_config_static_selectorELNS0_4arch9wavefront6targetE0EEEvSF_.uses_vcc, 0
	.set _ZN7rocprim17ROCPRIM_400000_NS6detail17trampoline_kernelINS0_14default_configENS1_38merge_sort_block_merge_config_selectorIiNS0_10empty_typeEEEZZNS1_27merge_sort_block_merge_implIS3_PiPS5_jNS1_19radix_merge_compareILb0ELb1EiNS0_19identity_decomposerEEEEE10hipError_tT0_T1_T2_jT3_P12ihipStream_tbPNSt15iterator_traitsISE_E10value_typeEPNSK_ISF_E10value_typeEPSG_NS1_7vsmem_tEENKUlT_SE_SF_SG_E_clIS8_S8_S9_S9_EESD_ST_SE_SF_SG_EUlST_E_NS1_11comp_targetILNS1_3genE8ELNS1_11target_archE1030ELNS1_3gpuE2ELNS1_3repE0EEENS1_48merge_mergepath_partition_config_static_selectorELNS0_4arch9wavefront6targetE0EEEvSF_.uses_flat_scratch, 0
	.set _ZN7rocprim17ROCPRIM_400000_NS6detail17trampoline_kernelINS0_14default_configENS1_38merge_sort_block_merge_config_selectorIiNS0_10empty_typeEEEZZNS1_27merge_sort_block_merge_implIS3_PiPS5_jNS1_19radix_merge_compareILb0ELb1EiNS0_19identity_decomposerEEEEE10hipError_tT0_T1_T2_jT3_P12ihipStream_tbPNSt15iterator_traitsISE_E10value_typeEPNSK_ISF_E10value_typeEPSG_NS1_7vsmem_tEENKUlT_SE_SF_SG_E_clIS8_S8_S9_S9_EESD_ST_SE_SF_SG_EUlST_E_NS1_11comp_targetILNS1_3genE8ELNS1_11target_archE1030ELNS1_3gpuE2ELNS1_3repE0EEENS1_48merge_mergepath_partition_config_static_selectorELNS0_4arch9wavefront6targetE0EEEvSF_.has_dyn_sized_stack, 0
	.set _ZN7rocprim17ROCPRIM_400000_NS6detail17trampoline_kernelINS0_14default_configENS1_38merge_sort_block_merge_config_selectorIiNS0_10empty_typeEEEZZNS1_27merge_sort_block_merge_implIS3_PiPS5_jNS1_19radix_merge_compareILb0ELb1EiNS0_19identity_decomposerEEEEE10hipError_tT0_T1_T2_jT3_P12ihipStream_tbPNSt15iterator_traitsISE_E10value_typeEPNSK_ISF_E10value_typeEPSG_NS1_7vsmem_tEENKUlT_SE_SF_SG_E_clIS8_S8_S9_S9_EESD_ST_SE_SF_SG_EUlST_E_NS1_11comp_targetILNS1_3genE8ELNS1_11target_archE1030ELNS1_3gpuE2ELNS1_3repE0EEENS1_48merge_mergepath_partition_config_static_selectorELNS0_4arch9wavefront6targetE0EEEvSF_.has_recursion, 0
	.set _ZN7rocprim17ROCPRIM_400000_NS6detail17trampoline_kernelINS0_14default_configENS1_38merge_sort_block_merge_config_selectorIiNS0_10empty_typeEEEZZNS1_27merge_sort_block_merge_implIS3_PiPS5_jNS1_19radix_merge_compareILb0ELb1EiNS0_19identity_decomposerEEEEE10hipError_tT0_T1_T2_jT3_P12ihipStream_tbPNSt15iterator_traitsISE_E10value_typeEPNSK_ISF_E10value_typeEPSG_NS1_7vsmem_tEENKUlT_SE_SF_SG_E_clIS8_S8_S9_S9_EESD_ST_SE_SF_SG_EUlST_E_NS1_11comp_targetILNS1_3genE8ELNS1_11target_archE1030ELNS1_3gpuE2ELNS1_3repE0EEENS1_48merge_mergepath_partition_config_static_selectorELNS0_4arch9wavefront6targetE0EEEvSF_.has_indirect_call, 0
	.section	.AMDGPU.csdata,"",@progbits
; Kernel info:
; codeLenInByte = 0
; TotalNumSgprs: 0
; NumVgprs: 0
; ScratchSize: 0
; MemoryBound: 0
; FloatMode: 240
; IeeeMode: 1
; LDSByteSize: 0 bytes/workgroup (compile time only)
; SGPRBlocks: 0
; VGPRBlocks: 0
; NumSGPRsForWavesPerEU: 1
; NumVGPRsForWavesPerEU: 1
; NamedBarCnt: 0
; Occupancy: 16
; WaveLimiterHint : 0
; COMPUTE_PGM_RSRC2:SCRATCH_EN: 0
; COMPUTE_PGM_RSRC2:USER_SGPR: 2
; COMPUTE_PGM_RSRC2:TRAP_HANDLER: 0
; COMPUTE_PGM_RSRC2:TGID_X_EN: 1
; COMPUTE_PGM_RSRC2:TGID_Y_EN: 0
; COMPUTE_PGM_RSRC2:TGID_Z_EN: 0
; COMPUTE_PGM_RSRC2:TIDIG_COMP_CNT: 0
	.section	.text._ZN7rocprim17ROCPRIM_400000_NS6detail17trampoline_kernelINS0_14default_configENS1_38merge_sort_block_merge_config_selectorIiNS0_10empty_typeEEEZZNS1_27merge_sort_block_merge_implIS3_PiPS5_jNS1_19radix_merge_compareILb0ELb1EiNS0_19identity_decomposerEEEEE10hipError_tT0_T1_T2_jT3_P12ihipStream_tbPNSt15iterator_traitsISE_E10value_typeEPNSK_ISF_E10value_typeEPSG_NS1_7vsmem_tEENKUlT_SE_SF_SG_E_clIS8_S8_S9_S9_EESD_ST_SE_SF_SG_EUlST_E0_NS1_11comp_targetILNS1_3genE0ELNS1_11target_archE4294967295ELNS1_3gpuE0ELNS1_3repE0EEENS1_38merge_mergepath_config_static_selectorELNS0_4arch9wavefront6targetE0EEEvSF_,"axG",@progbits,_ZN7rocprim17ROCPRIM_400000_NS6detail17trampoline_kernelINS0_14default_configENS1_38merge_sort_block_merge_config_selectorIiNS0_10empty_typeEEEZZNS1_27merge_sort_block_merge_implIS3_PiPS5_jNS1_19radix_merge_compareILb0ELb1EiNS0_19identity_decomposerEEEEE10hipError_tT0_T1_T2_jT3_P12ihipStream_tbPNSt15iterator_traitsISE_E10value_typeEPNSK_ISF_E10value_typeEPSG_NS1_7vsmem_tEENKUlT_SE_SF_SG_E_clIS8_S8_S9_S9_EESD_ST_SE_SF_SG_EUlST_E0_NS1_11comp_targetILNS1_3genE0ELNS1_11target_archE4294967295ELNS1_3gpuE0ELNS1_3repE0EEENS1_38merge_mergepath_config_static_selectorELNS0_4arch9wavefront6targetE0EEEvSF_,comdat
	.protected	_ZN7rocprim17ROCPRIM_400000_NS6detail17trampoline_kernelINS0_14default_configENS1_38merge_sort_block_merge_config_selectorIiNS0_10empty_typeEEEZZNS1_27merge_sort_block_merge_implIS3_PiPS5_jNS1_19radix_merge_compareILb0ELb1EiNS0_19identity_decomposerEEEEE10hipError_tT0_T1_T2_jT3_P12ihipStream_tbPNSt15iterator_traitsISE_E10value_typeEPNSK_ISF_E10value_typeEPSG_NS1_7vsmem_tEENKUlT_SE_SF_SG_E_clIS8_S8_S9_S9_EESD_ST_SE_SF_SG_EUlST_E0_NS1_11comp_targetILNS1_3genE0ELNS1_11target_archE4294967295ELNS1_3gpuE0ELNS1_3repE0EEENS1_38merge_mergepath_config_static_selectorELNS0_4arch9wavefront6targetE0EEEvSF_ ; -- Begin function _ZN7rocprim17ROCPRIM_400000_NS6detail17trampoline_kernelINS0_14default_configENS1_38merge_sort_block_merge_config_selectorIiNS0_10empty_typeEEEZZNS1_27merge_sort_block_merge_implIS3_PiPS5_jNS1_19radix_merge_compareILb0ELb1EiNS0_19identity_decomposerEEEEE10hipError_tT0_T1_T2_jT3_P12ihipStream_tbPNSt15iterator_traitsISE_E10value_typeEPNSK_ISF_E10value_typeEPSG_NS1_7vsmem_tEENKUlT_SE_SF_SG_E_clIS8_S8_S9_S9_EESD_ST_SE_SF_SG_EUlST_E0_NS1_11comp_targetILNS1_3genE0ELNS1_11target_archE4294967295ELNS1_3gpuE0ELNS1_3repE0EEENS1_38merge_mergepath_config_static_selectorELNS0_4arch9wavefront6targetE0EEEvSF_
	.globl	_ZN7rocprim17ROCPRIM_400000_NS6detail17trampoline_kernelINS0_14default_configENS1_38merge_sort_block_merge_config_selectorIiNS0_10empty_typeEEEZZNS1_27merge_sort_block_merge_implIS3_PiPS5_jNS1_19radix_merge_compareILb0ELb1EiNS0_19identity_decomposerEEEEE10hipError_tT0_T1_T2_jT3_P12ihipStream_tbPNSt15iterator_traitsISE_E10value_typeEPNSK_ISF_E10value_typeEPSG_NS1_7vsmem_tEENKUlT_SE_SF_SG_E_clIS8_S8_S9_S9_EESD_ST_SE_SF_SG_EUlST_E0_NS1_11comp_targetILNS1_3genE0ELNS1_11target_archE4294967295ELNS1_3gpuE0ELNS1_3repE0EEENS1_38merge_mergepath_config_static_selectorELNS0_4arch9wavefront6targetE0EEEvSF_
	.p2align	8
	.type	_ZN7rocprim17ROCPRIM_400000_NS6detail17trampoline_kernelINS0_14default_configENS1_38merge_sort_block_merge_config_selectorIiNS0_10empty_typeEEEZZNS1_27merge_sort_block_merge_implIS3_PiPS5_jNS1_19radix_merge_compareILb0ELb1EiNS0_19identity_decomposerEEEEE10hipError_tT0_T1_T2_jT3_P12ihipStream_tbPNSt15iterator_traitsISE_E10value_typeEPNSK_ISF_E10value_typeEPSG_NS1_7vsmem_tEENKUlT_SE_SF_SG_E_clIS8_S8_S9_S9_EESD_ST_SE_SF_SG_EUlST_E0_NS1_11comp_targetILNS1_3genE0ELNS1_11target_archE4294967295ELNS1_3gpuE0ELNS1_3repE0EEENS1_38merge_mergepath_config_static_selectorELNS0_4arch9wavefront6targetE0EEEvSF_,@function
_ZN7rocprim17ROCPRIM_400000_NS6detail17trampoline_kernelINS0_14default_configENS1_38merge_sort_block_merge_config_selectorIiNS0_10empty_typeEEEZZNS1_27merge_sort_block_merge_implIS3_PiPS5_jNS1_19radix_merge_compareILb0ELb1EiNS0_19identity_decomposerEEEEE10hipError_tT0_T1_T2_jT3_P12ihipStream_tbPNSt15iterator_traitsISE_E10value_typeEPNSK_ISF_E10value_typeEPSG_NS1_7vsmem_tEENKUlT_SE_SF_SG_E_clIS8_S8_S9_S9_EESD_ST_SE_SF_SG_EUlST_E0_NS1_11comp_targetILNS1_3genE0ELNS1_11target_archE4294967295ELNS1_3gpuE0ELNS1_3repE0EEENS1_38merge_mergepath_config_static_selectorELNS0_4arch9wavefront6targetE0EEEvSF_: ; @_ZN7rocprim17ROCPRIM_400000_NS6detail17trampoline_kernelINS0_14default_configENS1_38merge_sort_block_merge_config_selectorIiNS0_10empty_typeEEEZZNS1_27merge_sort_block_merge_implIS3_PiPS5_jNS1_19radix_merge_compareILb0ELb1EiNS0_19identity_decomposerEEEEE10hipError_tT0_T1_T2_jT3_P12ihipStream_tbPNSt15iterator_traitsISE_E10value_typeEPNSK_ISF_E10value_typeEPSG_NS1_7vsmem_tEENKUlT_SE_SF_SG_E_clIS8_S8_S9_S9_EESD_ST_SE_SF_SG_EUlST_E0_NS1_11comp_targetILNS1_3genE0ELNS1_11target_archE4294967295ELNS1_3gpuE0ELNS1_3repE0EEENS1_38merge_mergepath_config_static_selectorELNS0_4arch9wavefront6targetE0EEEvSF_
; %bb.0:
	s_bfe_u32 s2, ttmp6, 0x40010
	s_and_b32 s4, ttmp7, 0xffff
	s_add_co_i32 s5, s2, 1
	s_clause 0x1
	s_load_b64 s[10:11], s[0:1], 0x30
	s_load_b64 s[2:3], s[0:1], 0x40
	s_bfe_u32 s7, ttmp6, 0x4000c
	s_mul_i32 s5, s4, s5
	s_bfe_u32 s6, ttmp6, 0x40004
	s_add_co_i32 s7, s7, 1
	s_bfe_u32 s8, ttmp6, 0x40014
	s_add_co_i32 s6, s6, s5
	s_and_b32 s5, ttmp6, 15
	s_mul_i32 s7, ttmp9, s7
	s_lshr_b32 s9, ttmp7, 16
	s_add_co_i32 s8, s8, 1
	s_add_co_i32 s5, s5, s7
	s_mul_i32 s7, s9, s8
	s_bfe_u32 s8, ttmp6, 0x40008
	s_getreg_b32 s12, hwreg(HW_REG_IB_STS2, 6, 4)
	s_add_co_i32 s8, s8, s7
	s_cmp_eq_u32 s12, 0
	s_cselect_b32 s7, s9, s8
	s_cselect_b32 s4, s4, s6
	s_wait_kmcnt 0x0
	s_mul_i32 s7, s3, s7
	s_cselect_b32 s3, ttmp9, s5
	s_add_co_i32 s4, s7, s4
	s_mov_b32 s5, 0
	s_mul_i32 s4, s4, s2
	s_delay_alu instid0(SALU_CYCLE_1) | instskip(NEXT) | instid1(SALU_CYCLE_1)
	s_add_co_i32 s4, s4, s3
	s_cmp_ge_u32 s4, s10
	s_cbranch_scc1 .LBB926_43
; %bb.1:
	v_mov_b32_e32 v11, 0
	s_add_nc_u64 s[6:7], s[0:1], 64
	v_lshlrev_b32_e32 v10, 2, v0
	global_load_b32 v1, v11, s[6:7] offset:14
	s_clause 0x2
	s_load_b64 s[8:9], s[0:1], 0x28
	s_load_b64 s[12:13], s[0:1], 0x38
	s_load_b64 s[18:19], s[0:1], 0x8
	s_wait_kmcnt 0x0
	s_lshr_b32 s15, s8, 10
	s_delay_alu instid0(SALU_CYCLE_1)
	s_cmp_lg_u32 s4, s15
	s_cselect_b32 s14, -1, 0
	s_lshl_b64 s[16:17], s[4:5], 2
	s_lshr_b32 s10, s9, 9
	s_add_nc_u64 s[12:13], s[12:13], s[16:17]
	s_and_b32 s10, s10, 0x7ffffe
	s_load_b64 s[16:17], s[12:13], 0x0
	s_wait_xcnt 0x0
	s_sub_co_i32 s12, 0, s10
	s_lshl_b32 s10, s4, 10
	s_and_b32 s13, s4, s12
	s_or_b32 s20, s4, s12
	s_lshl_b32 s12, s13, 11
	s_lshl_b32 s13, s13, 10
	s_add_co_i32 s12, s12, s9
	s_sub_co_i32 s21, s10, s13
	s_sub_co_i32 s13, s12, s13
	s_add_co_i32 s12, s12, s21
	s_min_u32 s21, s8, s13
	s_add_co_i32 s9, s13, s9
	s_wait_kmcnt 0x0
	s_sub_co_i32 s13, s12, s16
	s_sub_co_i32 s22, s12, s17
	s_min_u32 s12, s8, s13
	s_addk_co_i32 s22, 0x400
	s_cmp_eq_u32 s20, -1
	s_mov_b32 s13, s5
	s_cselect_b32 s9, s9, s22
	s_cselect_b32 s22, s21, s17
	s_mov_b32 s17, s5
	s_lshl_b64 s[20:21], s[12:13], 2
	s_min_u32 s13, s9, s8
	s_sub_co_i32 s9, s22, s16
	s_lshl_b64 s[22:23], s[16:17], 2
	s_sub_co_i32 s16, s13, s12
	s_cmp_lt_u32 s3, s2
	s_mov_b32 s3, s5
	s_cselect_b32 s2, 12, 18
	s_add_nc_u64 s[12:13], s[18:19], s[22:23]
	s_add_nc_u64 s[2:3], s[6:7], s[2:3]
	s_cmp_eq_u32 s4, s15
	s_load_u16 s2, s[2:3], 0x0
	s_add_nc_u64 s[6:7], s[18:19], s[20:21]
	s_wait_loadcnt 0x0
	v_lshrrev_b32_e32 v2, 16, v1
	v_and_b32_e32 v1, 0xffff, v1
	s_delay_alu instid0(VALU_DEP_1) | instskip(SKIP_1) | instid1(VALU_DEP_1)
	v_mul_lo_u32 v1, v1, v2
	s_wait_kmcnt 0x0
	v_mul_lo_u32 v1, v1, s2
	s_mov_b32 s2, -1
	s_delay_alu instid0(VALU_DEP_1) | instskip(NEXT) | instid1(VALU_DEP_1)
	v_add_nc_u32_e32 v14, v1, v0
	v_add_nc_u32_e32 v12, v14, v1
	s_cbranch_scc1 .LBB926_3
; %bb.2:
	v_sub_co_u32 v4, vcc_lo, v0, s9
	v_dual_mov_b32 v5, v11 :: v_dual_mov_b32 v15, v11
	v_add_nc_u64_e32 v[2:3], s[12:13], v[10:11]
	v_sub_co_u32 v8, s2, v14, s9
	s_delay_alu instid0(VALU_DEP_3) | instskip(SKIP_3) | instid1(VALU_DEP_4)
	v_lshl_add_u64 v[4:5], v[4:5], 2, s[6:7]
	v_dual_mov_b32 v9, v11 :: v_dual_mov_b32 v13, v11
	v_lshl_add_u64 v[6:7], v[14:15], 2, s[12:13]
	v_dual_mov_b32 v17, v11 :: v_dual_add_nc_u32 v18, v12, v1
	v_dual_cndmask_b32 v3, v5, v3 :: v_dual_cndmask_b32 v2, v4, v2
	s_delay_alu instid0(VALU_DEP_4) | instskip(SKIP_3) | instid1(VALU_DEP_4)
	v_lshl_add_u64 v[4:5], v[8:9], 2, s[6:7]
	v_sub_co_u32 v16, vcc_lo, v12, s9
	v_mov_b32_e32 v19, v11
	v_lshl_add_u64 v[8:9], v[12:13], 2, s[12:13]
	v_dual_cndmask_b32 v5, v5, v7, s2 :: v_dual_cndmask_b32 v4, v4, v6, s2
	v_mov_b32_e32 v21, v11
	v_lshl_add_u64 v[6:7], v[16:17], 2, s[6:7]
	v_lshl_add_u64 v[16:17], v[18:19], 2, s[12:13]
	v_sub_co_u32 v20, s2, v18, s9
	v_dual_mov_b32 v23, v11 :: v_dual_add_nc_u32 v18, v18, v1
	global_load_b32 v2, v[2:3], off
	global_load_b32 v3, v[4:5], off
	s_wait_xcnt 0x0
	v_dual_cndmask_b32 v5, v7, v9 :: v_dual_cndmask_b32 v4, v6, v8
	v_lshl_add_u64 v[6:7], v[20:21], 2, s[6:7]
	v_lshl_add_u64 v[8:9], v[18:19], 2, s[12:13]
	v_sub_co_u32 v20, vcc_lo, v18, s9
	v_dual_mov_b32 v25, v11 :: v_dual_add_nc_u32 v18, v18, v1
	s_delay_alu instid0(VALU_DEP_4) | instskip(NEXT) | instid1(VALU_DEP_3)
	v_dual_cndmask_b32 v17, v7, v17, s2 :: v_dual_cndmask_b32 v16, v6, v16, s2
	v_lshl_add_u64 v[6:7], v[20:21], 2, s[6:7]
	s_delay_alu instid0(VALU_DEP_3) | instskip(SKIP_2) | instid1(VALU_DEP_4)
	v_lshl_add_u64 v[20:21], v[18:19], 2, s[12:13]
	v_add_nc_u32_e32 v22, v18, v1
	v_sub_co_u32 v18, s2, v18, s9
	v_dual_cndmask_b32 v31, v7, v9 :: v_dual_cndmask_b32 v30, v6, v8
	global_load_b32 v4, v[4:5], off
	v_lshl_add_u64 v[18:19], v[18:19], 2, s[6:7]
	s_add_co_i32 s15, s16, s9
	s_delay_alu instid0(VALU_DEP_1) | instskip(SKIP_3) | instid1(VALU_DEP_1)
	v_cndmask_b32_e64 v18, v18, v20, s2
	v_lshl_add_u64 v[26:27], v[22:23], 2, s[12:13]
	v_add_nc_u32_e32 v24, v22, v1
	v_sub_co_u32 v22, s3, v22, s9
	v_lshl_add_u64 v[22:23], v[22:23], 2, s[6:7]
	v_cndmask_b32_e64 v19, v19, v21, s2
	s_delay_alu instid0(VALU_DEP_2) | instskip(SKIP_3) | instid1(VALU_DEP_2)
	v_cndmask_b32_e64 v21, v23, v27, s3
	v_lshl_add_u64 v[28:29], v[24:25], 2, s[12:13]
	v_sub_co_u32 v24, s4, v24, s9
	v_cndmask_b32_e64 v20, v22, v26, s3
	v_lshl_add_u64 v[6:7], v[24:25], 2, s[6:7]
	s_delay_alu instid0(VALU_DEP_1)
	v_dual_cndmask_b32 v23, v7, v29, s4 :: v_dual_cndmask_b32 v22, v6, v28, s4
	global_load_b32 v5, v[16:17], off
	global_load_b32 v6, v[30:31], off
	;; [unrolled: 1-line block ×5, first 2 shown]
	s_cbranch_execz .LBB926_4
	s_branch .LBB926_19
.LBB926_3:
                                        ; implicit-def: $vgpr2_vgpr3_vgpr4_vgpr5_vgpr6_vgpr7_vgpr8_vgpr9
                                        ; implicit-def: $sgpr15
	s_and_not1_b32 vcc_lo, exec_lo, s2
	s_cbranch_vccnz .LBB926_19
.LBB926_4:
	s_wait_loadcnt 0x7
	v_mov_b32_e32 v2, 0
	s_add_co_i32 s15, s16, s9
	s_mov_b32 s2, exec_lo
	s_wait_loadcnt 0x5
	s_delay_alu instid0(VALU_DEP_1)
	v_dual_mov_b32 v3, v2 :: v_dual_mov_b32 v4, v2
	s_wait_loadcnt 0x3
	v_dual_mov_b32 v5, v2 :: v_dual_mov_b32 v6, v2
	s_wait_loadcnt 0x1
	;; [unrolled: 2-line block ×3, first 2 shown]
	v_mov_b32_e32 v9, v2
	v_cmpx_gt_u32_e64 s15, v0
	s_cbranch_execnz .LBB926_44
; %bb.5:
	s_or_b32 exec_lo, exec_lo, s2
	s_delay_alu instid0(SALU_CYCLE_1)
	s_mov_b32 s2, exec_lo
	v_cmpx_gt_u32_e64 s15, v14
	s_cbranch_execnz .LBB926_45
.LBB926_6:
	s_or_b32 exec_lo, exec_lo, s2
	s_delay_alu instid0(SALU_CYCLE_1)
	s_mov_b32 s2, exec_lo
	v_cmpx_gt_u32_e64 s15, v12
	s_cbranch_execz .LBB926_8
.LBB926_7:
	v_sub_co_u32 v16, vcc_lo, v12, s9
	v_mov_b32_e32 v13, 0
	s_delay_alu instid0(VALU_DEP_1) | instskip(SKIP_1) | instid1(VALU_DEP_1)
	v_lshl_add_u64 v[14:15], v[12:13], 2, s[12:13]
	v_mov_b32_e32 v17, v13
	v_lshl_add_u64 v[16:17], v[16:17], 2, s[6:7]
	s_delay_alu instid0(VALU_DEP_1)
	v_dual_cndmask_b32 v15, v17, v15 :: v_dual_cndmask_b32 v14, v16, v14
	global_load_b32 v4, v[14:15], off
.LBB926_8:
	s_wait_xcnt 0x0
	s_or_b32 exec_lo, exec_lo, s2
	v_add_nc_u32_e32 v12, v12, v1
	s_mov_b32 s2, exec_lo
	s_delay_alu instid0(VALU_DEP_1)
	v_cmpx_gt_u32_e64 s15, v12
	s_cbranch_execz .LBB926_10
; %bb.9:
	v_sub_co_u32 v16, vcc_lo, v12, s9
	v_mov_b32_e32 v13, 0
	s_delay_alu instid0(VALU_DEP_1) | instskip(SKIP_1) | instid1(VALU_DEP_1)
	v_lshl_add_u64 v[14:15], v[12:13], 2, s[12:13]
	v_mov_b32_e32 v17, v13
	v_lshl_add_u64 v[16:17], v[16:17], 2, s[6:7]
	s_delay_alu instid0(VALU_DEP_1)
	v_dual_cndmask_b32 v15, v17, v15 :: v_dual_cndmask_b32 v14, v16, v14
	global_load_b32 v5, v[14:15], off
.LBB926_10:
	s_wait_xcnt 0x0
	s_or_b32 exec_lo, exec_lo, s2
	v_add_nc_u32_e32 v12, v12, v1
	s_mov_b32 s2, exec_lo
	s_delay_alu instid0(VALU_DEP_1)
	v_cmpx_gt_u32_e64 s15, v12
	s_cbranch_execz .LBB926_12
; %bb.11:
	v_sub_co_u32 v16, vcc_lo, v12, s9
	v_mov_b32_e32 v13, 0
	s_delay_alu instid0(VALU_DEP_1) | instskip(SKIP_1) | instid1(VALU_DEP_1)
	v_lshl_add_u64 v[14:15], v[12:13], 2, s[12:13]
	v_mov_b32_e32 v17, v13
	v_lshl_add_u64 v[16:17], v[16:17], 2, s[6:7]
	s_delay_alu instid0(VALU_DEP_1)
	v_dual_cndmask_b32 v15, v17, v15 :: v_dual_cndmask_b32 v14, v16, v14
	global_load_b32 v6, v[14:15], off
.LBB926_12:
	;; [unrolled: 18-line block ×4, first 2 shown]
	s_wait_xcnt 0x0
	s_or_b32 exec_lo, exec_lo, s2
	v_add_nc_u32_e32 v12, v12, v1
	s_mov_b32 s2, exec_lo
	s_delay_alu instid0(VALU_DEP_1)
	v_cmpx_gt_u32_e64 s15, v12
	s_cbranch_execz .LBB926_18
; %bb.17:
	v_mov_b32_e32 v13, 0
	s_delay_alu instid0(VALU_DEP_1) | instskip(SKIP_1) | instid1(VALU_DEP_1)
	v_lshl_add_u64 v[14:15], v[12:13], 2, s[12:13]
	v_sub_co_u32 v12, vcc_lo, v12, s9
	v_lshl_add_u64 v[12:13], v[12:13], 2, s[6:7]
	s_delay_alu instid0(VALU_DEP_1)
	v_dual_cndmask_b32 v13, v13, v15 :: v_dual_cndmask_b32 v12, v12, v14
	global_load_b32 v9, v[12:13], off
.LBB926_18:
	s_wait_xcnt 0x0
	s_or_b32 exec_lo, exec_lo, s2
.LBB926_19:
	s_load_b64 s[12:13], s[0:1], 0x10
	v_lshlrev_b32_e32 v1, 3, v0
	s_wait_xcnt 0x0
	s_mov_b32 s0, exec_lo
	s_wait_loadcnt 0x0
	ds_store_2addr_stride64_b32 v10, v2, v3 offset1:2
	ds_store_2addr_stride64_b32 v10, v4, v5 offset0:4 offset1:6
	ds_store_2addr_stride64_b32 v10, v6, v7 offset0:8 offset1:10
	;; [unrolled: 1-line block ×3, first 2 shown]
	s_wait_dscnt 0x0
	s_barrier_signal -1
	v_min_u32_e32 v12, s15, v1
	s_barrier_wait -1
	s_delay_alu instid0(VALU_DEP_1) | instskip(SKIP_1) | instid1(VALU_DEP_1)
	v_sub_nc_u32_e64 v11, v12, s16 clamp
	v_min_u32_e32 v13, s9, v12
	v_cmpx_lt_u32_e64 v11, v13
	s_cbranch_execz .LBB926_23
; %bb.20:
	v_lshlrev_b32_e32 v14, 2, v12
	s_mov_b32 s1, 0
	s_delay_alu instid0(VALU_DEP_1)
	v_lshl_add_u32 v14, s9, 2, v14
.LBB926_21:                             ; =>This Inner Loop Header: Depth=1
	v_add_nc_u32_e32 v15, v13, v11
	s_delay_alu instid0(VALU_DEP_1) | instskip(NEXT) | instid1(VALU_DEP_1)
	v_lshrrev_b32_e32 v15, 1, v15
	v_not_b32_e32 v16, v15
	v_lshlrev_b32_e32 v17, 2, v15
	s_delay_alu instid0(VALU_DEP_2)
	v_lshl_add_u32 v16, v16, 2, v14
	ds_load_b32 v17, v17
	ds_load_b32 v16, v16
	s_wait_dscnt 0x1
	v_and_b32_e32 v17, s11, v17
	s_wait_dscnt 0x0
	v_dual_add_nc_u32 v18, 1, v15 :: v_dual_bitop2_b32 v16, s11, v16 bitop3:0x40
	s_delay_alu instid0(VALU_DEP_1) | instskip(SKIP_1) | instid1(VALU_DEP_3)
	v_cmp_gt_i32_e32 vcc_lo, v17, v16
	v_cndmask_b32_e32 v13, v13, v15, vcc_lo
	v_cndmask_b32_e32 v11, v18, v11, vcc_lo
	s_delay_alu instid0(VALU_DEP_1) | instskip(SKIP_1) | instid1(SALU_CYCLE_1)
	v_cmp_ge_u32_e32 vcc_lo, v11, v13
	s_or_b32 s1, vcc_lo, s1
	s_and_not1_b32 exec_lo, exec_lo, s1
	s_cbranch_execnz .LBB926_21
; %bb.22:
	s_or_b32 exec_lo, exec_lo, s1
.LBB926_23:
	s_delay_alu instid0(SALU_CYCLE_1) | instskip(SKIP_2) | instid1(VALU_DEP_2)
	s_or_b32 exec_lo, exec_lo, s0
	v_sub_nc_u32_e32 v12, v12, v11
	v_cmp_ge_u32_e32 vcc_lo, s9, v11
	v_add_nc_u32_e32 v12, s9, v12
	s_delay_alu instid0(VALU_DEP_1) | instskip(SKIP_1) | instid1(SALU_CYCLE_1)
	v_cmp_ge_u32_e64 s0, s15, v12
	s_or_b32 s0, vcc_lo, s0
	s_and_saveexec_b32 s16, s0
	s_cbranch_execz .LBB926_29
; %bb.24:
	v_cmp_gt_u32_e32 vcc_lo, s9, v11
                                        ; implicit-def: $vgpr2
	s_and_saveexec_b32 s0, vcc_lo
; %bb.25:
	v_lshlrev_b32_e32 v2, 2, v11
	ds_load_b32 v2, v2
; %bb.26:
	s_or_b32 exec_lo, exec_lo, s0
	v_cmp_le_u32_e64 s0, s15, v12
	s_mov_b32 s2, exec_lo
                                        ; implicit-def: $vgpr3
	v_cmpx_gt_u32_e64 s15, v12
; %bb.27:
	v_lshlrev_b32_e32 v3, 2, v12
	ds_load_b32 v3, v3
; %bb.28:
	s_or_b32 exec_lo, exec_lo, s2
	s_wait_dscnt 0x0
	v_and_b32_e32 v4, s11, v3
	v_and_b32_e32 v5, s11, v2
	s_delay_alu instid0(VALU_DEP_1) | instskip(SKIP_2) | instid1(SALU_CYCLE_1)
	v_cmp_le_i32_e64 s1, v5, v4
	v_mov_b32_e32 v4, s9
	s_and_b32 s1, vcc_lo, s1
	s_or_b32 vcc_lo, s0, s1
	v_cndmask_b32_e32 v5, v12, v11, vcc_lo
	s_delay_alu instid0(VALU_DEP_1) | instskip(NEXT) | instid1(VALU_DEP_1)
	v_dual_cndmask_b32 v6, s15, v4 :: v_dual_add_nc_u32 v5, 1, v5
	v_add_min_u32_e64 v6, v6, -1, v5
	v_dual_cndmask_b32 v8, v11, v5 :: v_dual_cndmask_b32 v5, v5, v12
	s_delay_alu instid0(VALU_DEP_2) | instskip(NEXT) | instid1(VALU_DEP_2)
	v_lshlrev_b32_e32 v6, 2, v6
	v_cmp_gt_u32_e64 s0, s9, v8
	s_delay_alu instid0(VALU_DEP_3) | instskip(SKIP_4) | instid1(VALU_DEP_2)
	v_cmp_le_u32_e64 s2, s15, v5
	ds_load_b32 v6, v6
	s_wait_dscnt 0x0
	v_cndmask_b32_e32 v7, v6, v3, vcc_lo
	v_cndmask_b32_e32 v6, v2, v6, vcc_lo
	v_dual_cndmask_b32 v2, v3, v2, vcc_lo :: v_dual_bitop2_b32 v9, s11, v7 bitop3:0x40
	s_delay_alu instid0(VALU_DEP_2) | instskip(NEXT) | instid1(VALU_DEP_1)
	v_and_b32_e32 v11, s11, v6
	v_cmp_le_i32_e64 s1, v11, v9
	s_and_b32 s0, s0, s1
	s_delay_alu instid0(SALU_CYCLE_1) | instskip(NEXT) | instid1(SALU_CYCLE_1)
	s_or_b32 s0, s2, s0
	v_cndmask_b32_e64 v9, v5, v8, s0
	s_delay_alu instid0(VALU_DEP_1) | instskip(NEXT) | instid1(VALU_DEP_1)
	v_dual_cndmask_b32 v11, s15, v4, s0 :: v_dual_add_nc_u32 v9, 1, v9
	v_add_min_u32_e64 v11, v11, -1, v9
	v_cndmask_b32_e64 v8, v8, v9, s0
	s_delay_alu instid0(VALU_DEP_2) | instskip(NEXT) | instid1(VALU_DEP_2)
	v_dual_cndmask_b32 v5, v9, v5, s0 :: v_dual_lshlrev_b32 v11, 2, v11
	v_cmp_gt_u32_e64 s1, s9, v8
	s_delay_alu instid0(VALU_DEP_2) | instskip(SKIP_3) | instid1(VALU_DEP_1)
	v_cmp_le_u32_e64 s3, s15, v5
	ds_load_b32 v11, v11
	s_wait_dscnt 0x0
	v_cndmask_b32_e64 v12, v11, v7, s0
	v_dual_cndmask_b32 v11, v6, v11, s0 :: v_dual_bitop2_b32 v13, s11, v12 bitop3:0x40
	s_delay_alu instid0(VALU_DEP_1) | instskip(NEXT) | instid1(VALU_DEP_1)
	v_and_b32_e32 v14, s11, v11
	v_cmp_le_i32_e64 s2, v14, v13
	s_and_b32 s1, s1, s2
	s_delay_alu instid0(SALU_CYCLE_1) | instskip(NEXT) | instid1(SALU_CYCLE_1)
	s_or_b32 s1, s3, s1
	v_cndmask_b32_e64 v9, v5, v8, s1
	s_delay_alu instid0(VALU_DEP_1) | instskip(NEXT) | instid1(VALU_DEP_1)
	v_dual_cndmask_b32 v13, s15, v4, s1 :: v_dual_add_nc_u32 v9, 1, v9
	v_add_min_u32_e64 v13, v13, -1, v9
	v_cndmask_b32_e64 v5, v9, v5, s1
	s_delay_alu instid0(VALU_DEP_2) | instskip(NEXT) | instid1(VALU_DEP_2)
	v_lshlrev_b32_e32 v13, 2, v13
	v_cmp_le_u32_e64 s4, s15, v5
	ds_load_b32 v13, v13
	s_wait_dscnt 0x0
	v_dual_cndmask_b32 v14, v13, v12, s1 :: v_dual_cndmask_b32 v13, v11, v13, s1
	s_delay_alu instid0(VALU_DEP_1) | instskip(NEXT) | instid1(VALU_DEP_2)
	v_dual_cndmask_b32 v8, v8, v9, s1 :: v_dual_bitop2_b32 v15, s11, v14 bitop3:0x40
	v_and_b32_e32 v16, s11, v13
	s_delay_alu instid0(VALU_DEP_2) | instskip(NEXT) | instid1(VALU_DEP_2)
	v_cmp_gt_u32_e64 s2, s9, v8
	v_cmp_le_i32_e64 s3, v16, v15
	s_and_b32 s2, s2, s3
	s_delay_alu instid0(SALU_CYCLE_1) | instskip(NEXT) | instid1(SALU_CYCLE_1)
	s_or_b32 s2, s4, s2
	v_cndmask_b32_e64 v9, v5, v8, s2
	s_delay_alu instid0(VALU_DEP_1) | instskip(NEXT) | instid1(VALU_DEP_1)
	v_dual_cndmask_b32 v15, s15, v4, s2 :: v_dual_add_nc_u32 v9, 1, v9
	v_add_min_u32_e64 v15, v15, -1, v9
	s_delay_alu instid0(VALU_DEP_1) | instskip(SKIP_4) | instid1(VALU_DEP_1)
	v_dual_lshlrev_b32 v15, 2, v15 :: v_dual_cndmask_b32 v5, v9, v5, s2
	ds_load_b32 v15, v15
	v_cmp_le_u32_e64 s5, s15, v5
	s_wait_dscnt 0x0
	v_dual_cndmask_b32 v16, v15, v14, s2 :: v_dual_cndmask_b32 v15, v13, v15, s2
	v_dual_cndmask_b32 v8, v8, v9, s2 :: v_dual_bitop2_b32 v17, s11, v16 bitop3:0x40
	s_delay_alu instid0(VALU_DEP_2) | instskip(NEXT) | instid1(VALU_DEP_2)
	v_and_b32_e32 v18, s11, v15
	v_cmp_gt_u32_e64 s3, s9, v8
	s_delay_alu instid0(VALU_DEP_2) | instskip(SKIP_1) | instid1(SALU_CYCLE_1)
	v_cmp_le_i32_e64 s4, v18, v17
	s_and_b32 s3, s3, s4
	s_or_b32 s3, s5, s3
	s_delay_alu instid0(SALU_CYCLE_1) | instskip(NEXT) | instid1(VALU_DEP_1)
	v_cndmask_b32_e64 v9, v5, v8, s3
	v_dual_cndmask_b32 v17, s15, v4, s3 :: v_dual_add_nc_u32 v9, 1, v9
	s_delay_alu instid0(VALU_DEP_1) | instskip(SKIP_1) | instid1(VALU_DEP_2)
	v_add_min_u32_e64 v17, v17, -1, v9
	v_cndmask_b32_e64 v5, v9, v5, s3
	v_lshlrev_b32_e32 v17, 2, v17
	s_delay_alu instid0(VALU_DEP_2) | instskip(SKIP_3) | instid1(VALU_DEP_1)
	v_cmp_le_u32_e64 s6, s15, v5
	ds_load_b32 v17, v17
	s_wait_dscnt 0x0
	v_dual_cndmask_b32 v18, v17, v16, s3 :: v_dual_cndmask_b32 v17, v15, v17, s3
	v_dual_cndmask_b32 v8, v8, v9, s3 :: v_dual_bitop2_b32 v19, s11, v18 bitop3:0x40
	s_delay_alu instid0(VALU_DEP_2) | instskip(NEXT) | instid1(VALU_DEP_2)
	v_and_b32_e32 v20, s11, v17
	v_cmp_gt_u32_e64 s4, s9, v8
	s_delay_alu instid0(VALU_DEP_2) | instskip(SKIP_1) | instid1(SALU_CYCLE_1)
	v_cmp_le_i32_e64 s5, v20, v19
	s_and_b32 s4, s4, s5
	s_or_b32 s4, s6, s4
	s_delay_alu instid0(SALU_CYCLE_1) | instskip(NEXT) | instid1(VALU_DEP_1)
	v_cndmask_b32_e64 v9, v5, v8, s4
	v_dual_cndmask_b32 v19, s15, v4, s4 :: v_dual_add_nc_u32 v9, 1, v9
	s_delay_alu instid0(VALU_DEP_1) | instskip(NEXT) | instid1(VALU_DEP_1)
	v_add_min_u32_e64 v19, v19, -1, v9
	v_dual_lshlrev_b32 v19, 2, v19 :: v_dual_cndmask_b32 v5, v9, v5, s4
	ds_load_b32 v19, v19
	v_cmp_le_u32_e64 s7, s15, v5
	s_wait_dscnt 0x0
	v_dual_cndmask_b32 v20, v19, v18, s4 :: v_dual_cndmask_b32 v19, v17, v19, s4
	s_delay_alu instid0(VALU_DEP_1) | instskip(NEXT) | instid1(VALU_DEP_2)
	v_dual_cndmask_b32 v8, v8, v9, s4 :: v_dual_bitop2_b32 v21, s11, v20 bitop3:0x40
	v_and_b32_e32 v22, s11, v19
	s_delay_alu instid0(VALU_DEP_2) | instskip(NEXT) | instid1(VALU_DEP_2)
	v_cmp_gt_u32_e64 s5, s9, v8
	v_cmp_le_i32_e64 s6, v22, v21
	s_and_b32 s5, s5, s6
	s_delay_alu instid0(SALU_CYCLE_1) | instskip(NEXT) | instid1(SALU_CYCLE_1)
	s_or_b32 s5, s7, s5
	v_cndmask_b32_e64 v9, v5, v8, s5
	s_delay_alu instid0(VALU_DEP_1) | instskip(SKIP_1) | instid1(VALU_DEP_2)
	v_dual_cndmask_b32 v4, s15, v4, s5 :: v_dual_add_nc_u32 v9, 1, v9
	v_dual_cndmask_b32 v3, v7, v6, s0 :: v_dual_cndmask_b32 v7, v18, v17, s4
	v_add_min_u32_e64 v4, v4, -1, v9
	v_cndmask_b32_e64 v8, v8, v9, s5
	v_cndmask_b32_e64 v6, v9, v5, s5
	s_delay_alu instid0(VALU_DEP_3) | instskip(NEXT) | instid1(VALU_DEP_3)
	v_dual_cndmask_b32 v5, v14, v13, s2 :: v_dual_lshlrev_b32 v4, 2, v4
	v_cmp_gt_u32_e32 vcc_lo, s9, v8
	ds_load_b32 v4, v4
	s_wait_dscnt 0x0
	v_cndmask_b32_e64 v22, v19, v4, s5
	v_cndmask_b32_e64 v21, v4, v20, s5
	;; [unrolled: 1-line block ×3, first 2 shown]
	v_cmp_le_u32_e64 s1, s15, v6
	s_delay_alu instid0(VALU_DEP_4) | instskip(NEXT) | instid1(VALU_DEP_4)
	v_dual_cndmask_b32 v6, v16, v15, s3 :: v_dual_bitop2_b32 v24, s11, v22 bitop3:0x40
	v_and_b32_e32 v23, s11, v21
	s_delay_alu instid0(VALU_DEP_1) | instskip(SKIP_1) | instid1(SALU_CYCLE_1)
	v_cmp_le_i32_e64 s0, v24, v23
	s_and_b32 s0, vcc_lo, s0
	s_or_b32 vcc_lo, s1, s0
	s_delay_alu instid0(SALU_CYCLE_1)
	v_dual_cndmask_b32 v8, v20, v19, s5 :: v_dual_cndmask_b32 v9, v21, v22, vcc_lo
.LBB926_29:
	s_or_b32 exec_lo, exec_lo, s16
	v_or_b32_e32 v14, 0x80, v0
	v_or_b32_e32 v12, 0x100, v0
	v_and_b32_e32 v11, 0x7c, v0
	v_lshrrev_b32_e32 v13, 3, v0
	s_delay_alu instid0(VALU_DEP_3) | instskip(NEXT) | instid1(VALU_DEP_3)
	v_dual_lshrrev_b32 v15, 3, v14 :: v_dual_lshrrev_b32 v16, 3, v12
	v_lshl_add_u32 v1, v1, 2, v11
	s_delay_alu instid0(VALU_DEP_3)
	v_and_b32_e32 v11, 12, v13
	v_or_b32_e32 v13, 0x180, v0
	s_barrier_signal -1
	s_barrier_wait -1
	s_barrier_signal -1
	s_barrier_wait -1
	v_and_b32_e32 v15, 28, v15
	ds_store_2addr_b32 v1, v2, v3 offset1:1
	ds_store_2addr_b32 v1, v4, v5 offset0:2 offset1:3
	ds_store_2addr_b32 v1, v6, v7 offset0:4 offset1:5
	;; [unrolled: 1-line block ×3, first 2 shown]
	v_dual_add_nc_u32 v8, v11, v10 :: v_dual_bitop2_b32 v16, 44, v16 bitop3:0x40
	v_lshrrev_b32_e32 v1, 3, v13
	v_or_b32_e32 v6, 0x200, v0
	v_or_b32_e32 v5, 0x280, v0
	;; [unrolled: 1-line block ×3, first 2 shown]
	v_dual_add_nc_u32 v9, v15, v10 :: v_dual_add_nc_u32 v15, v16, v10
	s_delay_alu instid0(VALU_DEP_4) | instskip(SKIP_1) | instid1(VALU_DEP_4)
	v_dual_lshrrev_b32 v3, 3, v6 :: v_dual_bitop2_b32 v2, 60, v1 bitop3:0x40
	v_or_b32_e32 v1, 0x380, v0
	v_dual_lshrrev_b32 v7, 3, v5 :: v_dual_lshrrev_b32 v11, 3, v4
	s_delay_alu instid0(VALU_DEP_3) | instskip(SKIP_1) | instid1(VALU_DEP_3)
	v_add_nc_u32_e32 v16, v2, v10
	s_mov_b32 s11, 0
	v_lshrrev_b32_e32 v2, 3, v1
	v_and_b32_e32 v3, 0x4c, v3
	v_and_b32_e32 v19, 0x6c, v11
	v_mov_b32_e32 v11, 0
	s_lshl_b64 s[0:1], s[10:11], 2
	v_and_b32_e32 v7, 0x5c, v7
	v_and_b32_e32 v20, 0x7c, v2
	s_wait_kmcnt 0x0
	s_add_nc_u64 s[0:1], s[12:13], s[0:1]
	v_add_nc_u32_e32 v17, v3, v10
	v_add_nc_u64_e32 v[2:3], s[0:1], v[10:11]
	v_add_nc_u32_e32 v18, v7, v10
	v_dual_add_nc_u32 v19, v19, v10 :: v_dual_add_nc_u32 v10, v20, v10
	s_and_b32 vcc_lo, exec_lo, s14
	s_wait_dscnt 0x0
	s_cbranch_vccz .LBB926_31
; %bb.30:
	s_barrier_signal -1
	s_barrier_wait -1
	ds_load_b32 v11, v8
	ds_load_b32 v20, v9 offset:512
	ds_load_b32 v21, v15 offset:1024
	;; [unrolled: 1-line block ×7, first 2 shown]
	s_mov_b32 s11, -1
	s_wait_dscnt 0x7
	global_store_b32 v[2:3], v11, off
	s_wait_dscnt 0x6
	global_store_b32 v[2:3], v20, off offset:512
	s_wait_dscnt 0x5
	global_store_b32 v[2:3], v21, off offset:1024
	;; [unrolled: 2-line block ×6, first 2 shown]
	s_cbranch_execz .LBB926_32
	s_branch .LBB926_41
.LBB926_31:
                                        ; implicit-def: $vgpr7
.LBB926_32:
	s_barrier_signal -1
	s_barrier_wait -1
	s_wait_storecnt_dscnt 0x0
	s_wait_xcnt 0x4
	ds_load_b32 v21, v9 offset:512
	ds_load_b32 v20, v15 offset:1024
	;; [unrolled: 1-line block ×7, first 2 shown]
	s_sub_co_i32 s0, s8, s10
	s_mov_b32 s1, exec_lo
	s_wait_xcnt 0x0
	v_cmpx_gt_u32_e64 s0, v0
	s_cbranch_execnz .LBB926_46
; %bb.33:
	s_or_b32 exec_lo, exec_lo, s1
	s_delay_alu instid0(SALU_CYCLE_1)
	s_mov_b32 s1, exec_lo
	v_cmpx_gt_u32_e64 s0, v14
	s_cbranch_execnz .LBB926_47
.LBB926_34:
	s_or_b32 exec_lo, exec_lo, s1
	s_delay_alu instid0(SALU_CYCLE_1)
	s_mov_b32 s1, exec_lo
	v_cmpx_gt_u32_e64 s0, v12
	s_cbranch_execnz .LBB926_48
.LBB926_35:
	s_or_b32 exec_lo, exec_lo, s1
	s_delay_alu instid0(SALU_CYCLE_1)
	s_mov_b32 s1, exec_lo
	v_cmpx_gt_u32_e64 s0, v13
	s_cbranch_execnz .LBB926_49
.LBB926_36:
	s_or_b32 exec_lo, exec_lo, s1
	s_delay_alu instid0(SALU_CYCLE_1)
	s_mov_b32 s1, exec_lo
	v_cmpx_gt_u32_e64 s0, v6
	s_cbranch_execnz .LBB926_50
.LBB926_37:
	s_or_b32 exec_lo, exec_lo, s1
	s_delay_alu instid0(SALU_CYCLE_1)
	s_mov_b32 s1, exec_lo
	v_cmpx_gt_u32_e64 s0, v5
	s_cbranch_execnz .LBB926_51
.LBB926_38:
	s_or_b32 exec_lo, exec_lo, s1
	s_delay_alu instid0(SALU_CYCLE_1)
	s_mov_b32 s1, exec_lo
	v_cmpx_gt_u32_e64 s0, v4
	s_cbranch_execz .LBB926_40
.LBB926_39:
	s_wait_dscnt 0x1
	global_store_b32 v[2:3], v9, off offset:3072
.LBB926_40:
	s_wait_xcnt 0x0
	s_or_b32 exec_lo, exec_lo, s1
	v_cmp_gt_u32_e64 s11, s0, v1
.LBB926_41:
	s_wait_xcnt 0x0
	s_delay_alu instid0(VALU_DEP_1)
	s_and_saveexec_b32 s0, s11
	s_cbranch_execz .LBB926_43
; %bb.42:
	s_wait_dscnt 0x0
	global_store_b32 v[2:3], v7, off offset:3584
.LBB926_43:
	s_endpgm
.LBB926_44:
	v_dual_mov_b32 v11, v2 :: v_dual_mov_b32 v5, v2
	v_sub_co_u32 v4, vcc_lo, v0, s9
	v_dual_mov_b32 v17, v2 :: v_dual_mov_b32 v18, v2
	s_delay_alu instid0(VALU_DEP_3) | instskip(NEXT) | instid1(VALU_DEP_3)
	v_add_nc_u64_e32 v[6:7], s[12:13], v[10:11]
	v_lshl_add_u64 v[4:5], v[4:5], 2, s[6:7]
	v_dual_mov_b32 v19, v2 :: v_dual_mov_b32 v20, v2
	v_dual_mov_b32 v21, v2 :: v_dual_mov_b32 v22, v2
	s_delay_alu instid0(VALU_DEP_3) | instskip(NEXT) | instid1(VALU_DEP_4)
	v_dual_mov_b32 v23, v2 :: v_dual_cndmask_b32 v5, v5, v7, vcc_lo
	v_cndmask_b32_e32 v4, v4, v6, vcc_lo
	global_load_b32 v16, v[4:5], off
	s_wait_loadcnt 0x0
	v_mov_b64_e32 v[2:3], v[16:17]
	v_mov_b64_e32 v[4:5], v[18:19]
	;; [unrolled: 1-line block ×4, first 2 shown]
	s_or_b32 exec_lo, exec_lo, s2
	s_delay_alu instid0(SALU_CYCLE_1)
	s_mov_b32 s2, exec_lo
	v_cmpx_gt_u32_e64 s15, v14
	s_cbranch_execz .LBB926_6
.LBB926_45:
	v_mov_b32_e32 v15, 0
	s_delay_alu instid0(VALU_DEP_1) | instskip(SKIP_1) | instid1(VALU_DEP_1)
	v_lshl_add_u64 v[16:17], v[14:15], 2, s[12:13]
	v_sub_co_u32 v14, vcc_lo, v14, s9
	v_lshl_add_u64 v[14:15], v[14:15], 2, s[6:7]
	s_delay_alu instid0(VALU_DEP_1) | instskip(SKIP_3) | instid1(SALU_CYCLE_1)
	v_dual_cndmask_b32 v15, v15, v17 :: v_dual_cndmask_b32 v14, v14, v16
	global_load_b32 v3, v[14:15], off
	s_wait_xcnt 0x0
	s_or_b32 exec_lo, exec_lo, s2
	s_mov_b32 s2, exec_lo
	v_cmpx_gt_u32_e64 s15, v12
	s_cbranch_execnz .LBB926_7
	s_branch .LBB926_8
.LBB926_46:
	ds_load_b32 v0, v8
	s_wait_dscnt 0x0
	global_store_b32 v[2:3], v0, off
	s_wait_xcnt 0x0
	s_or_b32 exec_lo, exec_lo, s1
	s_delay_alu instid0(SALU_CYCLE_1)
	s_mov_b32 s1, exec_lo
	v_cmpx_gt_u32_e64 s0, v14
	s_cbranch_execz .LBB926_34
.LBB926_47:
	s_wait_dscnt 0x6
	global_store_b32 v[2:3], v21, off offset:512
	s_wait_xcnt 0x0
	s_or_b32 exec_lo, exec_lo, s1
	s_delay_alu instid0(SALU_CYCLE_1)
	s_mov_b32 s1, exec_lo
	v_cmpx_gt_u32_e64 s0, v12
	s_cbranch_execz .LBB926_35
.LBB926_48:
	s_wait_dscnt 0x5
	global_store_b32 v[2:3], v20, off offset:1024
	s_wait_xcnt 0x0
	s_or_b32 exec_lo, exec_lo, s1
	s_delay_alu instid0(SALU_CYCLE_1)
	s_mov_b32 s1, exec_lo
	v_cmpx_gt_u32_e64 s0, v13
	s_cbranch_execz .LBB926_36
.LBB926_49:
	s_wait_dscnt 0x4
	global_store_b32 v[2:3], v16, off offset:1536
	s_wait_xcnt 0x0
	s_or_b32 exec_lo, exec_lo, s1
	s_delay_alu instid0(SALU_CYCLE_1)
	s_mov_b32 s1, exec_lo
	v_cmpx_gt_u32_e64 s0, v6
	s_cbranch_execz .LBB926_37
.LBB926_50:
	s_wait_dscnt 0x3
	global_store_b32 v[2:3], v15, off offset:2048
	s_wait_xcnt 0x0
	s_or_b32 exec_lo, exec_lo, s1
	s_delay_alu instid0(SALU_CYCLE_1)
	s_mov_b32 s1, exec_lo
	v_cmpx_gt_u32_e64 s0, v5
	s_cbranch_execz .LBB926_38
.LBB926_51:
	s_wait_dscnt 0x2
	global_store_b32 v[2:3], v11, off offset:2560
	s_wait_xcnt 0x0
	s_or_b32 exec_lo, exec_lo, s1
	s_delay_alu instid0(SALU_CYCLE_1)
	s_mov_b32 s1, exec_lo
	v_cmpx_gt_u32_e64 s0, v4
	s_cbranch_execnz .LBB926_39
	s_branch .LBB926_40
	.section	.rodata,"a",@progbits
	.p2align	6, 0x0
	.amdhsa_kernel _ZN7rocprim17ROCPRIM_400000_NS6detail17trampoline_kernelINS0_14default_configENS1_38merge_sort_block_merge_config_selectorIiNS0_10empty_typeEEEZZNS1_27merge_sort_block_merge_implIS3_PiPS5_jNS1_19radix_merge_compareILb0ELb1EiNS0_19identity_decomposerEEEEE10hipError_tT0_T1_T2_jT3_P12ihipStream_tbPNSt15iterator_traitsISE_E10value_typeEPNSK_ISF_E10value_typeEPSG_NS1_7vsmem_tEENKUlT_SE_SF_SG_E_clIS8_S8_S9_S9_EESD_ST_SE_SF_SG_EUlST_E0_NS1_11comp_targetILNS1_3genE0ELNS1_11target_archE4294967295ELNS1_3gpuE0ELNS1_3repE0EEENS1_38merge_mergepath_config_static_selectorELNS0_4arch9wavefront6targetE0EEEvSF_
		.amdhsa_group_segment_fixed_size 4224
		.amdhsa_private_segment_fixed_size 0
		.amdhsa_kernarg_size 320
		.amdhsa_user_sgpr_count 2
		.amdhsa_user_sgpr_dispatch_ptr 0
		.amdhsa_user_sgpr_queue_ptr 0
		.amdhsa_user_sgpr_kernarg_segment_ptr 1
		.amdhsa_user_sgpr_dispatch_id 0
		.amdhsa_user_sgpr_kernarg_preload_length 0
		.amdhsa_user_sgpr_kernarg_preload_offset 0
		.amdhsa_user_sgpr_private_segment_size 0
		.amdhsa_wavefront_size32 1
		.amdhsa_uses_dynamic_stack 0
		.amdhsa_enable_private_segment 0
		.amdhsa_system_sgpr_workgroup_id_x 1
		.amdhsa_system_sgpr_workgroup_id_y 1
		.amdhsa_system_sgpr_workgroup_id_z 1
		.amdhsa_system_sgpr_workgroup_info 0
		.amdhsa_system_vgpr_workitem_id 0
		.amdhsa_next_free_vgpr 32
		.amdhsa_next_free_sgpr 24
		.amdhsa_named_barrier_count 0
		.amdhsa_reserve_vcc 1
		.amdhsa_float_round_mode_32 0
		.amdhsa_float_round_mode_16_64 0
		.amdhsa_float_denorm_mode_32 3
		.amdhsa_float_denorm_mode_16_64 3
		.amdhsa_fp16_overflow 0
		.amdhsa_memory_ordered 1
		.amdhsa_forward_progress 1
		.amdhsa_inst_pref_size 34
		.amdhsa_round_robin_scheduling 0
		.amdhsa_exception_fp_ieee_invalid_op 0
		.amdhsa_exception_fp_denorm_src 0
		.amdhsa_exception_fp_ieee_div_zero 0
		.amdhsa_exception_fp_ieee_overflow 0
		.amdhsa_exception_fp_ieee_underflow 0
		.amdhsa_exception_fp_ieee_inexact 0
		.amdhsa_exception_int_div_zero 0
	.end_amdhsa_kernel
	.section	.text._ZN7rocprim17ROCPRIM_400000_NS6detail17trampoline_kernelINS0_14default_configENS1_38merge_sort_block_merge_config_selectorIiNS0_10empty_typeEEEZZNS1_27merge_sort_block_merge_implIS3_PiPS5_jNS1_19radix_merge_compareILb0ELb1EiNS0_19identity_decomposerEEEEE10hipError_tT0_T1_T2_jT3_P12ihipStream_tbPNSt15iterator_traitsISE_E10value_typeEPNSK_ISF_E10value_typeEPSG_NS1_7vsmem_tEENKUlT_SE_SF_SG_E_clIS8_S8_S9_S9_EESD_ST_SE_SF_SG_EUlST_E0_NS1_11comp_targetILNS1_3genE0ELNS1_11target_archE4294967295ELNS1_3gpuE0ELNS1_3repE0EEENS1_38merge_mergepath_config_static_selectorELNS0_4arch9wavefront6targetE0EEEvSF_,"axG",@progbits,_ZN7rocprim17ROCPRIM_400000_NS6detail17trampoline_kernelINS0_14default_configENS1_38merge_sort_block_merge_config_selectorIiNS0_10empty_typeEEEZZNS1_27merge_sort_block_merge_implIS3_PiPS5_jNS1_19radix_merge_compareILb0ELb1EiNS0_19identity_decomposerEEEEE10hipError_tT0_T1_T2_jT3_P12ihipStream_tbPNSt15iterator_traitsISE_E10value_typeEPNSK_ISF_E10value_typeEPSG_NS1_7vsmem_tEENKUlT_SE_SF_SG_E_clIS8_S8_S9_S9_EESD_ST_SE_SF_SG_EUlST_E0_NS1_11comp_targetILNS1_3genE0ELNS1_11target_archE4294967295ELNS1_3gpuE0ELNS1_3repE0EEENS1_38merge_mergepath_config_static_selectorELNS0_4arch9wavefront6targetE0EEEvSF_,comdat
.Lfunc_end926:
	.size	_ZN7rocprim17ROCPRIM_400000_NS6detail17trampoline_kernelINS0_14default_configENS1_38merge_sort_block_merge_config_selectorIiNS0_10empty_typeEEEZZNS1_27merge_sort_block_merge_implIS3_PiPS5_jNS1_19radix_merge_compareILb0ELb1EiNS0_19identity_decomposerEEEEE10hipError_tT0_T1_T2_jT3_P12ihipStream_tbPNSt15iterator_traitsISE_E10value_typeEPNSK_ISF_E10value_typeEPSG_NS1_7vsmem_tEENKUlT_SE_SF_SG_E_clIS8_S8_S9_S9_EESD_ST_SE_SF_SG_EUlST_E0_NS1_11comp_targetILNS1_3genE0ELNS1_11target_archE4294967295ELNS1_3gpuE0ELNS1_3repE0EEENS1_38merge_mergepath_config_static_selectorELNS0_4arch9wavefront6targetE0EEEvSF_, .Lfunc_end926-_ZN7rocprim17ROCPRIM_400000_NS6detail17trampoline_kernelINS0_14default_configENS1_38merge_sort_block_merge_config_selectorIiNS0_10empty_typeEEEZZNS1_27merge_sort_block_merge_implIS3_PiPS5_jNS1_19radix_merge_compareILb0ELb1EiNS0_19identity_decomposerEEEEE10hipError_tT0_T1_T2_jT3_P12ihipStream_tbPNSt15iterator_traitsISE_E10value_typeEPNSK_ISF_E10value_typeEPSG_NS1_7vsmem_tEENKUlT_SE_SF_SG_E_clIS8_S8_S9_S9_EESD_ST_SE_SF_SG_EUlST_E0_NS1_11comp_targetILNS1_3genE0ELNS1_11target_archE4294967295ELNS1_3gpuE0ELNS1_3repE0EEENS1_38merge_mergepath_config_static_selectorELNS0_4arch9wavefront6targetE0EEEvSF_
                                        ; -- End function
	.set _ZN7rocprim17ROCPRIM_400000_NS6detail17trampoline_kernelINS0_14default_configENS1_38merge_sort_block_merge_config_selectorIiNS0_10empty_typeEEEZZNS1_27merge_sort_block_merge_implIS3_PiPS5_jNS1_19radix_merge_compareILb0ELb1EiNS0_19identity_decomposerEEEEE10hipError_tT0_T1_T2_jT3_P12ihipStream_tbPNSt15iterator_traitsISE_E10value_typeEPNSK_ISF_E10value_typeEPSG_NS1_7vsmem_tEENKUlT_SE_SF_SG_E_clIS8_S8_S9_S9_EESD_ST_SE_SF_SG_EUlST_E0_NS1_11comp_targetILNS1_3genE0ELNS1_11target_archE4294967295ELNS1_3gpuE0ELNS1_3repE0EEENS1_38merge_mergepath_config_static_selectorELNS0_4arch9wavefront6targetE0EEEvSF_.num_vgpr, 32
	.set _ZN7rocprim17ROCPRIM_400000_NS6detail17trampoline_kernelINS0_14default_configENS1_38merge_sort_block_merge_config_selectorIiNS0_10empty_typeEEEZZNS1_27merge_sort_block_merge_implIS3_PiPS5_jNS1_19radix_merge_compareILb0ELb1EiNS0_19identity_decomposerEEEEE10hipError_tT0_T1_T2_jT3_P12ihipStream_tbPNSt15iterator_traitsISE_E10value_typeEPNSK_ISF_E10value_typeEPSG_NS1_7vsmem_tEENKUlT_SE_SF_SG_E_clIS8_S8_S9_S9_EESD_ST_SE_SF_SG_EUlST_E0_NS1_11comp_targetILNS1_3genE0ELNS1_11target_archE4294967295ELNS1_3gpuE0ELNS1_3repE0EEENS1_38merge_mergepath_config_static_selectorELNS0_4arch9wavefront6targetE0EEEvSF_.num_agpr, 0
	.set _ZN7rocprim17ROCPRIM_400000_NS6detail17trampoline_kernelINS0_14default_configENS1_38merge_sort_block_merge_config_selectorIiNS0_10empty_typeEEEZZNS1_27merge_sort_block_merge_implIS3_PiPS5_jNS1_19radix_merge_compareILb0ELb1EiNS0_19identity_decomposerEEEEE10hipError_tT0_T1_T2_jT3_P12ihipStream_tbPNSt15iterator_traitsISE_E10value_typeEPNSK_ISF_E10value_typeEPSG_NS1_7vsmem_tEENKUlT_SE_SF_SG_E_clIS8_S8_S9_S9_EESD_ST_SE_SF_SG_EUlST_E0_NS1_11comp_targetILNS1_3genE0ELNS1_11target_archE4294967295ELNS1_3gpuE0ELNS1_3repE0EEENS1_38merge_mergepath_config_static_selectorELNS0_4arch9wavefront6targetE0EEEvSF_.numbered_sgpr, 24
	.set _ZN7rocprim17ROCPRIM_400000_NS6detail17trampoline_kernelINS0_14default_configENS1_38merge_sort_block_merge_config_selectorIiNS0_10empty_typeEEEZZNS1_27merge_sort_block_merge_implIS3_PiPS5_jNS1_19radix_merge_compareILb0ELb1EiNS0_19identity_decomposerEEEEE10hipError_tT0_T1_T2_jT3_P12ihipStream_tbPNSt15iterator_traitsISE_E10value_typeEPNSK_ISF_E10value_typeEPSG_NS1_7vsmem_tEENKUlT_SE_SF_SG_E_clIS8_S8_S9_S9_EESD_ST_SE_SF_SG_EUlST_E0_NS1_11comp_targetILNS1_3genE0ELNS1_11target_archE4294967295ELNS1_3gpuE0ELNS1_3repE0EEENS1_38merge_mergepath_config_static_selectorELNS0_4arch9wavefront6targetE0EEEvSF_.num_named_barrier, 0
	.set _ZN7rocprim17ROCPRIM_400000_NS6detail17trampoline_kernelINS0_14default_configENS1_38merge_sort_block_merge_config_selectorIiNS0_10empty_typeEEEZZNS1_27merge_sort_block_merge_implIS3_PiPS5_jNS1_19radix_merge_compareILb0ELb1EiNS0_19identity_decomposerEEEEE10hipError_tT0_T1_T2_jT3_P12ihipStream_tbPNSt15iterator_traitsISE_E10value_typeEPNSK_ISF_E10value_typeEPSG_NS1_7vsmem_tEENKUlT_SE_SF_SG_E_clIS8_S8_S9_S9_EESD_ST_SE_SF_SG_EUlST_E0_NS1_11comp_targetILNS1_3genE0ELNS1_11target_archE4294967295ELNS1_3gpuE0ELNS1_3repE0EEENS1_38merge_mergepath_config_static_selectorELNS0_4arch9wavefront6targetE0EEEvSF_.private_seg_size, 0
	.set _ZN7rocprim17ROCPRIM_400000_NS6detail17trampoline_kernelINS0_14default_configENS1_38merge_sort_block_merge_config_selectorIiNS0_10empty_typeEEEZZNS1_27merge_sort_block_merge_implIS3_PiPS5_jNS1_19radix_merge_compareILb0ELb1EiNS0_19identity_decomposerEEEEE10hipError_tT0_T1_T2_jT3_P12ihipStream_tbPNSt15iterator_traitsISE_E10value_typeEPNSK_ISF_E10value_typeEPSG_NS1_7vsmem_tEENKUlT_SE_SF_SG_E_clIS8_S8_S9_S9_EESD_ST_SE_SF_SG_EUlST_E0_NS1_11comp_targetILNS1_3genE0ELNS1_11target_archE4294967295ELNS1_3gpuE0ELNS1_3repE0EEENS1_38merge_mergepath_config_static_selectorELNS0_4arch9wavefront6targetE0EEEvSF_.uses_vcc, 1
	.set _ZN7rocprim17ROCPRIM_400000_NS6detail17trampoline_kernelINS0_14default_configENS1_38merge_sort_block_merge_config_selectorIiNS0_10empty_typeEEEZZNS1_27merge_sort_block_merge_implIS3_PiPS5_jNS1_19radix_merge_compareILb0ELb1EiNS0_19identity_decomposerEEEEE10hipError_tT0_T1_T2_jT3_P12ihipStream_tbPNSt15iterator_traitsISE_E10value_typeEPNSK_ISF_E10value_typeEPSG_NS1_7vsmem_tEENKUlT_SE_SF_SG_E_clIS8_S8_S9_S9_EESD_ST_SE_SF_SG_EUlST_E0_NS1_11comp_targetILNS1_3genE0ELNS1_11target_archE4294967295ELNS1_3gpuE0ELNS1_3repE0EEENS1_38merge_mergepath_config_static_selectorELNS0_4arch9wavefront6targetE0EEEvSF_.uses_flat_scratch, 0
	.set _ZN7rocprim17ROCPRIM_400000_NS6detail17trampoline_kernelINS0_14default_configENS1_38merge_sort_block_merge_config_selectorIiNS0_10empty_typeEEEZZNS1_27merge_sort_block_merge_implIS3_PiPS5_jNS1_19radix_merge_compareILb0ELb1EiNS0_19identity_decomposerEEEEE10hipError_tT0_T1_T2_jT3_P12ihipStream_tbPNSt15iterator_traitsISE_E10value_typeEPNSK_ISF_E10value_typeEPSG_NS1_7vsmem_tEENKUlT_SE_SF_SG_E_clIS8_S8_S9_S9_EESD_ST_SE_SF_SG_EUlST_E0_NS1_11comp_targetILNS1_3genE0ELNS1_11target_archE4294967295ELNS1_3gpuE0ELNS1_3repE0EEENS1_38merge_mergepath_config_static_selectorELNS0_4arch9wavefront6targetE0EEEvSF_.has_dyn_sized_stack, 0
	.set _ZN7rocprim17ROCPRIM_400000_NS6detail17trampoline_kernelINS0_14default_configENS1_38merge_sort_block_merge_config_selectorIiNS0_10empty_typeEEEZZNS1_27merge_sort_block_merge_implIS3_PiPS5_jNS1_19radix_merge_compareILb0ELb1EiNS0_19identity_decomposerEEEEE10hipError_tT0_T1_T2_jT3_P12ihipStream_tbPNSt15iterator_traitsISE_E10value_typeEPNSK_ISF_E10value_typeEPSG_NS1_7vsmem_tEENKUlT_SE_SF_SG_E_clIS8_S8_S9_S9_EESD_ST_SE_SF_SG_EUlST_E0_NS1_11comp_targetILNS1_3genE0ELNS1_11target_archE4294967295ELNS1_3gpuE0ELNS1_3repE0EEENS1_38merge_mergepath_config_static_selectorELNS0_4arch9wavefront6targetE0EEEvSF_.has_recursion, 0
	.set _ZN7rocprim17ROCPRIM_400000_NS6detail17trampoline_kernelINS0_14default_configENS1_38merge_sort_block_merge_config_selectorIiNS0_10empty_typeEEEZZNS1_27merge_sort_block_merge_implIS3_PiPS5_jNS1_19radix_merge_compareILb0ELb1EiNS0_19identity_decomposerEEEEE10hipError_tT0_T1_T2_jT3_P12ihipStream_tbPNSt15iterator_traitsISE_E10value_typeEPNSK_ISF_E10value_typeEPSG_NS1_7vsmem_tEENKUlT_SE_SF_SG_E_clIS8_S8_S9_S9_EESD_ST_SE_SF_SG_EUlST_E0_NS1_11comp_targetILNS1_3genE0ELNS1_11target_archE4294967295ELNS1_3gpuE0ELNS1_3repE0EEENS1_38merge_mergepath_config_static_selectorELNS0_4arch9wavefront6targetE0EEEvSF_.has_indirect_call, 0
	.section	.AMDGPU.csdata,"",@progbits
; Kernel info:
; codeLenInByte = 4260
; TotalNumSgprs: 26
; NumVgprs: 32
; ScratchSize: 0
; MemoryBound: 0
; FloatMode: 240
; IeeeMode: 1
; LDSByteSize: 4224 bytes/workgroup (compile time only)
; SGPRBlocks: 0
; VGPRBlocks: 1
; NumSGPRsForWavesPerEU: 26
; NumVGPRsForWavesPerEU: 32
; NamedBarCnt: 0
; Occupancy: 16
; WaveLimiterHint : 1
; COMPUTE_PGM_RSRC2:SCRATCH_EN: 0
; COMPUTE_PGM_RSRC2:USER_SGPR: 2
; COMPUTE_PGM_RSRC2:TRAP_HANDLER: 0
; COMPUTE_PGM_RSRC2:TGID_X_EN: 1
; COMPUTE_PGM_RSRC2:TGID_Y_EN: 1
; COMPUTE_PGM_RSRC2:TGID_Z_EN: 1
; COMPUTE_PGM_RSRC2:TIDIG_COMP_CNT: 0
	.section	.text._ZN7rocprim17ROCPRIM_400000_NS6detail17trampoline_kernelINS0_14default_configENS1_38merge_sort_block_merge_config_selectorIiNS0_10empty_typeEEEZZNS1_27merge_sort_block_merge_implIS3_PiPS5_jNS1_19radix_merge_compareILb0ELb1EiNS0_19identity_decomposerEEEEE10hipError_tT0_T1_T2_jT3_P12ihipStream_tbPNSt15iterator_traitsISE_E10value_typeEPNSK_ISF_E10value_typeEPSG_NS1_7vsmem_tEENKUlT_SE_SF_SG_E_clIS8_S8_S9_S9_EESD_ST_SE_SF_SG_EUlST_E0_NS1_11comp_targetILNS1_3genE10ELNS1_11target_archE1201ELNS1_3gpuE5ELNS1_3repE0EEENS1_38merge_mergepath_config_static_selectorELNS0_4arch9wavefront6targetE0EEEvSF_,"axG",@progbits,_ZN7rocprim17ROCPRIM_400000_NS6detail17trampoline_kernelINS0_14default_configENS1_38merge_sort_block_merge_config_selectorIiNS0_10empty_typeEEEZZNS1_27merge_sort_block_merge_implIS3_PiPS5_jNS1_19radix_merge_compareILb0ELb1EiNS0_19identity_decomposerEEEEE10hipError_tT0_T1_T2_jT3_P12ihipStream_tbPNSt15iterator_traitsISE_E10value_typeEPNSK_ISF_E10value_typeEPSG_NS1_7vsmem_tEENKUlT_SE_SF_SG_E_clIS8_S8_S9_S9_EESD_ST_SE_SF_SG_EUlST_E0_NS1_11comp_targetILNS1_3genE10ELNS1_11target_archE1201ELNS1_3gpuE5ELNS1_3repE0EEENS1_38merge_mergepath_config_static_selectorELNS0_4arch9wavefront6targetE0EEEvSF_,comdat
	.protected	_ZN7rocprim17ROCPRIM_400000_NS6detail17trampoline_kernelINS0_14default_configENS1_38merge_sort_block_merge_config_selectorIiNS0_10empty_typeEEEZZNS1_27merge_sort_block_merge_implIS3_PiPS5_jNS1_19radix_merge_compareILb0ELb1EiNS0_19identity_decomposerEEEEE10hipError_tT0_T1_T2_jT3_P12ihipStream_tbPNSt15iterator_traitsISE_E10value_typeEPNSK_ISF_E10value_typeEPSG_NS1_7vsmem_tEENKUlT_SE_SF_SG_E_clIS8_S8_S9_S9_EESD_ST_SE_SF_SG_EUlST_E0_NS1_11comp_targetILNS1_3genE10ELNS1_11target_archE1201ELNS1_3gpuE5ELNS1_3repE0EEENS1_38merge_mergepath_config_static_selectorELNS0_4arch9wavefront6targetE0EEEvSF_ ; -- Begin function _ZN7rocprim17ROCPRIM_400000_NS6detail17trampoline_kernelINS0_14default_configENS1_38merge_sort_block_merge_config_selectorIiNS0_10empty_typeEEEZZNS1_27merge_sort_block_merge_implIS3_PiPS5_jNS1_19radix_merge_compareILb0ELb1EiNS0_19identity_decomposerEEEEE10hipError_tT0_T1_T2_jT3_P12ihipStream_tbPNSt15iterator_traitsISE_E10value_typeEPNSK_ISF_E10value_typeEPSG_NS1_7vsmem_tEENKUlT_SE_SF_SG_E_clIS8_S8_S9_S9_EESD_ST_SE_SF_SG_EUlST_E0_NS1_11comp_targetILNS1_3genE10ELNS1_11target_archE1201ELNS1_3gpuE5ELNS1_3repE0EEENS1_38merge_mergepath_config_static_selectorELNS0_4arch9wavefront6targetE0EEEvSF_
	.globl	_ZN7rocprim17ROCPRIM_400000_NS6detail17trampoline_kernelINS0_14default_configENS1_38merge_sort_block_merge_config_selectorIiNS0_10empty_typeEEEZZNS1_27merge_sort_block_merge_implIS3_PiPS5_jNS1_19radix_merge_compareILb0ELb1EiNS0_19identity_decomposerEEEEE10hipError_tT0_T1_T2_jT3_P12ihipStream_tbPNSt15iterator_traitsISE_E10value_typeEPNSK_ISF_E10value_typeEPSG_NS1_7vsmem_tEENKUlT_SE_SF_SG_E_clIS8_S8_S9_S9_EESD_ST_SE_SF_SG_EUlST_E0_NS1_11comp_targetILNS1_3genE10ELNS1_11target_archE1201ELNS1_3gpuE5ELNS1_3repE0EEENS1_38merge_mergepath_config_static_selectorELNS0_4arch9wavefront6targetE0EEEvSF_
	.p2align	8
	.type	_ZN7rocprim17ROCPRIM_400000_NS6detail17trampoline_kernelINS0_14default_configENS1_38merge_sort_block_merge_config_selectorIiNS0_10empty_typeEEEZZNS1_27merge_sort_block_merge_implIS3_PiPS5_jNS1_19radix_merge_compareILb0ELb1EiNS0_19identity_decomposerEEEEE10hipError_tT0_T1_T2_jT3_P12ihipStream_tbPNSt15iterator_traitsISE_E10value_typeEPNSK_ISF_E10value_typeEPSG_NS1_7vsmem_tEENKUlT_SE_SF_SG_E_clIS8_S8_S9_S9_EESD_ST_SE_SF_SG_EUlST_E0_NS1_11comp_targetILNS1_3genE10ELNS1_11target_archE1201ELNS1_3gpuE5ELNS1_3repE0EEENS1_38merge_mergepath_config_static_selectorELNS0_4arch9wavefront6targetE0EEEvSF_,@function
_ZN7rocprim17ROCPRIM_400000_NS6detail17trampoline_kernelINS0_14default_configENS1_38merge_sort_block_merge_config_selectorIiNS0_10empty_typeEEEZZNS1_27merge_sort_block_merge_implIS3_PiPS5_jNS1_19radix_merge_compareILb0ELb1EiNS0_19identity_decomposerEEEEE10hipError_tT0_T1_T2_jT3_P12ihipStream_tbPNSt15iterator_traitsISE_E10value_typeEPNSK_ISF_E10value_typeEPSG_NS1_7vsmem_tEENKUlT_SE_SF_SG_E_clIS8_S8_S9_S9_EESD_ST_SE_SF_SG_EUlST_E0_NS1_11comp_targetILNS1_3genE10ELNS1_11target_archE1201ELNS1_3gpuE5ELNS1_3repE0EEENS1_38merge_mergepath_config_static_selectorELNS0_4arch9wavefront6targetE0EEEvSF_: ; @_ZN7rocprim17ROCPRIM_400000_NS6detail17trampoline_kernelINS0_14default_configENS1_38merge_sort_block_merge_config_selectorIiNS0_10empty_typeEEEZZNS1_27merge_sort_block_merge_implIS3_PiPS5_jNS1_19radix_merge_compareILb0ELb1EiNS0_19identity_decomposerEEEEE10hipError_tT0_T1_T2_jT3_P12ihipStream_tbPNSt15iterator_traitsISE_E10value_typeEPNSK_ISF_E10value_typeEPSG_NS1_7vsmem_tEENKUlT_SE_SF_SG_E_clIS8_S8_S9_S9_EESD_ST_SE_SF_SG_EUlST_E0_NS1_11comp_targetILNS1_3genE10ELNS1_11target_archE1201ELNS1_3gpuE5ELNS1_3repE0EEENS1_38merge_mergepath_config_static_selectorELNS0_4arch9wavefront6targetE0EEEvSF_
; %bb.0:
	.section	.rodata,"a",@progbits
	.p2align	6, 0x0
	.amdhsa_kernel _ZN7rocprim17ROCPRIM_400000_NS6detail17trampoline_kernelINS0_14default_configENS1_38merge_sort_block_merge_config_selectorIiNS0_10empty_typeEEEZZNS1_27merge_sort_block_merge_implIS3_PiPS5_jNS1_19radix_merge_compareILb0ELb1EiNS0_19identity_decomposerEEEEE10hipError_tT0_T1_T2_jT3_P12ihipStream_tbPNSt15iterator_traitsISE_E10value_typeEPNSK_ISF_E10value_typeEPSG_NS1_7vsmem_tEENKUlT_SE_SF_SG_E_clIS8_S8_S9_S9_EESD_ST_SE_SF_SG_EUlST_E0_NS1_11comp_targetILNS1_3genE10ELNS1_11target_archE1201ELNS1_3gpuE5ELNS1_3repE0EEENS1_38merge_mergepath_config_static_selectorELNS0_4arch9wavefront6targetE0EEEvSF_
		.amdhsa_group_segment_fixed_size 0
		.amdhsa_private_segment_fixed_size 0
		.amdhsa_kernarg_size 64
		.amdhsa_user_sgpr_count 2
		.amdhsa_user_sgpr_dispatch_ptr 0
		.amdhsa_user_sgpr_queue_ptr 0
		.amdhsa_user_sgpr_kernarg_segment_ptr 1
		.amdhsa_user_sgpr_dispatch_id 0
		.amdhsa_user_sgpr_kernarg_preload_length 0
		.amdhsa_user_sgpr_kernarg_preload_offset 0
		.amdhsa_user_sgpr_private_segment_size 0
		.amdhsa_wavefront_size32 1
		.amdhsa_uses_dynamic_stack 0
		.amdhsa_enable_private_segment 0
		.amdhsa_system_sgpr_workgroup_id_x 1
		.amdhsa_system_sgpr_workgroup_id_y 0
		.amdhsa_system_sgpr_workgroup_id_z 0
		.amdhsa_system_sgpr_workgroup_info 0
		.amdhsa_system_vgpr_workitem_id 0
		.amdhsa_next_free_vgpr 1
		.amdhsa_next_free_sgpr 1
		.amdhsa_named_barrier_count 0
		.amdhsa_reserve_vcc 0
		.amdhsa_float_round_mode_32 0
		.amdhsa_float_round_mode_16_64 0
		.amdhsa_float_denorm_mode_32 3
		.amdhsa_float_denorm_mode_16_64 3
		.amdhsa_fp16_overflow 0
		.amdhsa_memory_ordered 1
		.amdhsa_forward_progress 1
		.amdhsa_inst_pref_size 0
		.amdhsa_round_robin_scheduling 0
		.amdhsa_exception_fp_ieee_invalid_op 0
		.amdhsa_exception_fp_denorm_src 0
		.amdhsa_exception_fp_ieee_div_zero 0
		.amdhsa_exception_fp_ieee_overflow 0
		.amdhsa_exception_fp_ieee_underflow 0
		.amdhsa_exception_fp_ieee_inexact 0
		.amdhsa_exception_int_div_zero 0
	.end_amdhsa_kernel
	.section	.text._ZN7rocprim17ROCPRIM_400000_NS6detail17trampoline_kernelINS0_14default_configENS1_38merge_sort_block_merge_config_selectorIiNS0_10empty_typeEEEZZNS1_27merge_sort_block_merge_implIS3_PiPS5_jNS1_19radix_merge_compareILb0ELb1EiNS0_19identity_decomposerEEEEE10hipError_tT0_T1_T2_jT3_P12ihipStream_tbPNSt15iterator_traitsISE_E10value_typeEPNSK_ISF_E10value_typeEPSG_NS1_7vsmem_tEENKUlT_SE_SF_SG_E_clIS8_S8_S9_S9_EESD_ST_SE_SF_SG_EUlST_E0_NS1_11comp_targetILNS1_3genE10ELNS1_11target_archE1201ELNS1_3gpuE5ELNS1_3repE0EEENS1_38merge_mergepath_config_static_selectorELNS0_4arch9wavefront6targetE0EEEvSF_,"axG",@progbits,_ZN7rocprim17ROCPRIM_400000_NS6detail17trampoline_kernelINS0_14default_configENS1_38merge_sort_block_merge_config_selectorIiNS0_10empty_typeEEEZZNS1_27merge_sort_block_merge_implIS3_PiPS5_jNS1_19radix_merge_compareILb0ELb1EiNS0_19identity_decomposerEEEEE10hipError_tT0_T1_T2_jT3_P12ihipStream_tbPNSt15iterator_traitsISE_E10value_typeEPNSK_ISF_E10value_typeEPSG_NS1_7vsmem_tEENKUlT_SE_SF_SG_E_clIS8_S8_S9_S9_EESD_ST_SE_SF_SG_EUlST_E0_NS1_11comp_targetILNS1_3genE10ELNS1_11target_archE1201ELNS1_3gpuE5ELNS1_3repE0EEENS1_38merge_mergepath_config_static_selectorELNS0_4arch9wavefront6targetE0EEEvSF_,comdat
.Lfunc_end927:
	.size	_ZN7rocprim17ROCPRIM_400000_NS6detail17trampoline_kernelINS0_14default_configENS1_38merge_sort_block_merge_config_selectorIiNS0_10empty_typeEEEZZNS1_27merge_sort_block_merge_implIS3_PiPS5_jNS1_19radix_merge_compareILb0ELb1EiNS0_19identity_decomposerEEEEE10hipError_tT0_T1_T2_jT3_P12ihipStream_tbPNSt15iterator_traitsISE_E10value_typeEPNSK_ISF_E10value_typeEPSG_NS1_7vsmem_tEENKUlT_SE_SF_SG_E_clIS8_S8_S9_S9_EESD_ST_SE_SF_SG_EUlST_E0_NS1_11comp_targetILNS1_3genE10ELNS1_11target_archE1201ELNS1_3gpuE5ELNS1_3repE0EEENS1_38merge_mergepath_config_static_selectorELNS0_4arch9wavefront6targetE0EEEvSF_, .Lfunc_end927-_ZN7rocprim17ROCPRIM_400000_NS6detail17trampoline_kernelINS0_14default_configENS1_38merge_sort_block_merge_config_selectorIiNS0_10empty_typeEEEZZNS1_27merge_sort_block_merge_implIS3_PiPS5_jNS1_19radix_merge_compareILb0ELb1EiNS0_19identity_decomposerEEEEE10hipError_tT0_T1_T2_jT3_P12ihipStream_tbPNSt15iterator_traitsISE_E10value_typeEPNSK_ISF_E10value_typeEPSG_NS1_7vsmem_tEENKUlT_SE_SF_SG_E_clIS8_S8_S9_S9_EESD_ST_SE_SF_SG_EUlST_E0_NS1_11comp_targetILNS1_3genE10ELNS1_11target_archE1201ELNS1_3gpuE5ELNS1_3repE0EEENS1_38merge_mergepath_config_static_selectorELNS0_4arch9wavefront6targetE0EEEvSF_
                                        ; -- End function
	.set _ZN7rocprim17ROCPRIM_400000_NS6detail17trampoline_kernelINS0_14default_configENS1_38merge_sort_block_merge_config_selectorIiNS0_10empty_typeEEEZZNS1_27merge_sort_block_merge_implIS3_PiPS5_jNS1_19radix_merge_compareILb0ELb1EiNS0_19identity_decomposerEEEEE10hipError_tT0_T1_T2_jT3_P12ihipStream_tbPNSt15iterator_traitsISE_E10value_typeEPNSK_ISF_E10value_typeEPSG_NS1_7vsmem_tEENKUlT_SE_SF_SG_E_clIS8_S8_S9_S9_EESD_ST_SE_SF_SG_EUlST_E0_NS1_11comp_targetILNS1_3genE10ELNS1_11target_archE1201ELNS1_3gpuE5ELNS1_3repE0EEENS1_38merge_mergepath_config_static_selectorELNS0_4arch9wavefront6targetE0EEEvSF_.num_vgpr, 0
	.set _ZN7rocprim17ROCPRIM_400000_NS6detail17trampoline_kernelINS0_14default_configENS1_38merge_sort_block_merge_config_selectorIiNS0_10empty_typeEEEZZNS1_27merge_sort_block_merge_implIS3_PiPS5_jNS1_19radix_merge_compareILb0ELb1EiNS0_19identity_decomposerEEEEE10hipError_tT0_T1_T2_jT3_P12ihipStream_tbPNSt15iterator_traitsISE_E10value_typeEPNSK_ISF_E10value_typeEPSG_NS1_7vsmem_tEENKUlT_SE_SF_SG_E_clIS8_S8_S9_S9_EESD_ST_SE_SF_SG_EUlST_E0_NS1_11comp_targetILNS1_3genE10ELNS1_11target_archE1201ELNS1_3gpuE5ELNS1_3repE0EEENS1_38merge_mergepath_config_static_selectorELNS0_4arch9wavefront6targetE0EEEvSF_.num_agpr, 0
	.set _ZN7rocprim17ROCPRIM_400000_NS6detail17trampoline_kernelINS0_14default_configENS1_38merge_sort_block_merge_config_selectorIiNS0_10empty_typeEEEZZNS1_27merge_sort_block_merge_implIS3_PiPS5_jNS1_19radix_merge_compareILb0ELb1EiNS0_19identity_decomposerEEEEE10hipError_tT0_T1_T2_jT3_P12ihipStream_tbPNSt15iterator_traitsISE_E10value_typeEPNSK_ISF_E10value_typeEPSG_NS1_7vsmem_tEENKUlT_SE_SF_SG_E_clIS8_S8_S9_S9_EESD_ST_SE_SF_SG_EUlST_E0_NS1_11comp_targetILNS1_3genE10ELNS1_11target_archE1201ELNS1_3gpuE5ELNS1_3repE0EEENS1_38merge_mergepath_config_static_selectorELNS0_4arch9wavefront6targetE0EEEvSF_.numbered_sgpr, 0
	.set _ZN7rocprim17ROCPRIM_400000_NS6detail17trampoline_kernelINS0_14default_configENS1_38merge_sort_block_merge_config_selectorIiNS0_10empty_typeEEEZZNS1_27merge_sort_block_merge_implIS3_PiPS5_jNS1_19radix_merge_compareILb0ELb1EiNS0_19identity_decomposerEEEEE10hipError_tT0_T1_T2_jT3_P12ihipStream_tbPNSt15iterator_traitsISE_E10value_typeEPNSK_ISF_E10value_typeEPSG_NS1_7vsmem_tEENKUlT_SE_SF_SG_E_clIS8_S8_S9_S9_EESD_ST_SE_SF_SG_EUlST_E0_NS1_11comp_targetILNS1_3genE10ELNS1_11target_archE1201ELNS1_3gpuE5ELNS1_3repE0EEENS1_38merge_mergepath_config_static_selectorELNS0_4arch9wavefront6targetE0EEEvSF_.num_named_barrier, 0
	.set _ZN7rocprim17ROCPRIM_400000_NS6detail17trampoline_kernelINS0_14default_configENS1_38merge_sort_block_merge_config_selectorIiNS0_10empty_typeEEEZZNS1_27merge_sort_block_merge_implIS3_PiPS5_jNS1_19radix_merge_compareILb0ELb1EiNS0_19identity_decomposerEEEEE10hipError_tT0_T1_T2_jT3_P12ihipStream_tbPNSt15iterator_traitsISE_E10value_typeEPNSK_ISF_E10value_typeEPSG_NS1_7vsmem_tEENKUlT_SE_SF_SG_E_clIS8_S8_S9_S9_EESD_ST_SE_SF_SG_EUlST_E0_NS1_11comp_targetILNS1_3genE10ELNS1_11target_archE1201ELNS1_3gpuE5ELNS1_3repE0EEENS1_38merge_mergepath_config_static_selectorELNS0_4arch9wavefront6targetE0EEEvSF_.private_seg_size, 0
	.set _ZN7rocprim17ROCPRIM_400000_NS6detail17trampoline_kernelINS0_14default_configENS1_38merge_sort_block_merge_config_selectorIiNS0_10empty_typeEEEZZNS1_27merge_sort_block_merge_implIS3_PiPS5_jNS1_19radix_merge_compareILb0ELb1EiNS0_19identity_decomposerEEEEE10hipError_tT0_T1_T2_jT3_P12ihipStream_tbPNSt15iterator_traitsISE_E10value_typeEPNSK_ISF_E10value_typeEPSG_NS1_7vsmem_tEENKUlT_SE_SF_SG_E_clIS8_S8_S9_S9_EESD_ST_SE_SF_SG_EUlST_E0_NS1_11comp_targetILNS1_3genE10ELNS1_11target_archE1201ELNS1_3gpuE5ELNS1_3repE0EEENS1_38merge_mergepath_config_static_selectorELNS0_4arch9wavefront6targetE0EEEvSF_.uses_vcc, 0
	.set _ZN7rocprim17ROCPRIM_400000_NS6detail17trampoline_kernelINS0_14default_configENS1_38merge_sort_block_merge_config_selectorIiNS0_10empty_typeEEEZZNS1_27merge_sort_block_merge_implIS3_PiPS5_jNS1_19radix_merge_compareILb0ELb1EiNS0_19identity_decomposerEEEEE10hipError_tT0_T1_T2_jT3_P12ihipStream_tbPNSt15iterator_traitsISE_E10value_typeEPNSK_ISF_E10value_typeEPSG_NS1_7vsmem_tEENKUlT_SE_SF_SG_E_clIS8_S8_S9_S9_EESD_ST_SE_SF_SG_EUlST_E0_NS1_11comp_targetILNS1_3genE10ELNS1_11target_archE1201ELNS1_3gpuE5ELNS1_3repE0EEENS1_38merge_mergepath_config_static_selectorELNS0_4arch9wavefront6targetE0EEEvSF_.uses_flat_scratch, 0
	.set _ZN7rocprim17ROCPRIM_400000_NS6detail17trampoline_kernelINS0_14default_configENS1_38merge_sort_block_merge_config_selectorIiNS0_10empty_typeEEEZZNS1_27merge_sort_block_merge_implIS3_PiPS5_jNS1_19radix_merge_compareILb0ELb1EiNS0_19identity_decomposerEEEEE10hipError_tT0_T1_T2_jT3_P12ihipStream_tbPNSt15iterator_traitsISE_E10value_typeEPNSK_ISF_E10value_typeEPSG_NS1_7vsmem_tEENKUlT_SE_SF_SG_E_clIS8_S8_S9_S9_EESD_ST_SE_SF_SG_EUlST_E0_NS1_11comp_targetILNS1_3genE10ELNS1_11target_archE1201ELNS1_3gpuE5ELNS1_3repE0EEENS1_38merge_mergepath_config_static_selectorELNS0_4arch9wavefront6targetE0EEEvSF_.has_dyn_sized_stack, 0
	.set _ZN7rocprim17ROCPRIM_400000_NS6detail17trampoline_kernelINS0_14default_configENS1_38merge_sort_block_merge_config_selectorIiNS0_10empty_typeEEEZZNS1_27merge_sort_block_merge_implIS3_PiPS5_jNS1_19radix_merge_compareILb0ELb1EiNS0_19identity_decomposerEEEEE10hipError_tT0_T1_T2_jT3_P12ihipStream_tbPNSt15iterator_traitsISE_E10value_typeEPNSK_ISF_E10value_typeEPSG_NS1_7vsmem_tEENKUlT_SE_SF_SG_E_clIS8_S8_S9_S9_EESD_ST_SE_SF_SG_EUlST_E0_NS1_11comp_targetILNS1_3genE10ELNS1_11target_archE1201ELNS1_3gpuE5ELNS1_3repE0EEENS1_38merge_mergepath_config_static_selectorELNS0_4arch9wavefront6targetE0EEEvSF_.has_recursion, 0
	.set _ZN7rocprim17ROCPRIM_400000_NS6detail17trampoline_kernelINS0_14default_configENS1_38merge_sort_block_merge_config_selectorIiNS0_10empty_typeEEEZZNS1_27merge_sort_block_merge_implIS3_PiPS5_jNS1_19radix_merge_compareILb0ELb1EiNS0_19identity_decomposerEEEEE10hipError_tT0_T1_T2_jT3_P12ihipStream_tbPNSt15iterator_traitsISE_E10value_typeEPNSK_ISF_E10value_typeEPSG_NS1_7vsmem_tEENKUlT_SE_SF_SG_E_clIS8_S8_S9_S9_EESD_ST_SE_SF_SG_EUlST_E0_NS1_11comp_targetILNS1_3genE10ELNS1_11target_archE1201ELNS1_3gpuE5ELNS1_3repE0EEENS1_38merge_mergepath_config_static_selectorELNS0_4arch9wavefront6targetE0EEEvSF_.has_indirect_call, 0
	.section	.AMDGPU.csdata,"",@progbits
; Kernel info:
; codeLenInByte = 0
; TotalNumSgprs: 0
; NumVgprs: 0
; ScratchSize: 0
; MemoryBound: 0
; FloatMode: 240
; IeeeMode: 1
; LDSByteSize: 0 bytes/workgroup (compile time only)
; SGPRBlocks: 0
; VGPRBlocks: 0
; NumSGPRsForWavesPerEU: 1
; NumVGPRsForWavesPerEU: 1
; NamedBarCnt: 0
; Occupancy: 16
; WaveLimiterHint : 0
; COMPUTE_PGM_RSRC2:SCRATCH_EN: 0
; COMPUTE_PGM_RSRC2:USER_SGPR: 2
; COMPUTE_PGM_RSRC2:TRAP_HANDLER: 0
; COMPUTE_PGM_RSRC2:TGID_X_EN: 1
; COMPUTE_PGM_RSRC2:TGID_Y_EN: 0
; COMPUTE_PGM_RSRC2:TGID_Z_EN: 0
; COMPUTE_PGM_RSRC2:TIDIG_COMP_CNT: 0
	.section	.text._ZN7rocprim17ROCPRIM_400000_NS6detail17trampoline_kernelINS0_14default_configENS1_38merge_sort_block_merge_config_selectorIiNS0_10empty_typeEEEZZNS1_27merge_sort_block_merge_implIS3_PiPS5_jNS1_19radix_merge_compareILb0ELb1EiNS0_19identity_decomposerEEEEE10hipError_tT0_T1_T2_jT3_P12ihipStream_tbPNSt15iterator_traitsISE_E10value_typeEPNSK_ISF_E10value_typeEPSG_NS1_7vsmem_tEENKUlT_SE_SF_SG_E_clIS8_S8_S9_S9_EESD_ST_SE_SF_SG_EUlST_E0_NS1_11comp_targetILNS1_3genE5ELNS1_11target_archE942ELNS1_3gpuE9ELNS1_3repE0EEENS1_38merge_mergepath_config_static_selectorELNS0_4arch9wavefront6targetE0EEEvSF_,"axG",@progbits,_ZN7rocprim17ROCPRIM_400000_NS6detail17trampoline_kernelINS0_14default_configENS1_38merge_sort_block_merge_config_selectorIiNS0_10empty_typeEEEZZNS1_27merge_sort_block_merge_implIS3_PiPS5_jNS1_19radix_merge_compareILb0ELb1EiNS0_19identity_decomposerEEEEE10hipError_tT0_T1_T2_jT3_P12ihipStream_tbPNSt15iterator_traitsISE_E10value_typeEPNSK_ISF_E10value_typeEPSG_NS1_7vsmem_tEENKUlT_SE_SF_SG_E_clIS8_S8_S9_S9_EESD_ST_SE_SF_SG_EUlST_E0_NS1_11comp_targetILNS1_3genE5ELNS1_11target_archE942ELNS1_3gpuE9ELNS1_3repE0EEENS1_38merge_mergepath_config_static_selectorELNS0_4arch9wavefront6targetE0EEEvSF_,comdat
	.protected	_ZN7rocprim17ROCPRIM_400000_NS6detail17trampoline_kernelINS0_14default_configENS1_38merge_sort_block_merge_config_selectorIiNS0_10empty_typeEEEZZNS1_27merge_sort_block_merge_implIS3_PiPS5_jNS1_19radix_merge_compareILb0ELb1EiNS0_19identity_decomposerEEEEE10hipError_tT0_T1_T2_jT3_P12ihipStream_tbPNSt15iterator_traitsISE_E10value_typeEPNSK_ISF_E10value_typeEPSG_NS1_7vsmem_tEENKUlT_SE_SF_SG_E_clIS8_S8_S9_S9_EESD_ST_SE_SF_SG_EUlST_E0_NS1_11comp_targetILNS1_3genE5ELNS1_11target_archE942ELNS1_3gpuE9ELNS1_3repE0EEENS1_38merge_mergepath_config_static_selectorELNS0_4arch9wavefront6targetE0EEEvSF_ ; -- Begin function _ZN7rocprim17ROCPRIM_400000_NS6detail17trampoline_kernelINS0_14default_configENS1_38merge_sort_block_merge_config_selectorIiNS0_10empty_typeEEEZZNS1_27merge_sort_block_merge_implIS3_PiPS5_jNS1_19radix_merge_compareILb0ELb1EiNS0_19identity_decomposerEEEEE10hipError_tT0_T1_T2_jT3_P12ihipStream_tbPNSt15iterator_traitsISE_E10value_typeEPNSK_ISF_E10value_typeEPSG_NS1_7vsmem_tEENKUlT_SE_SF_SG_E_clIS8_S8_S9_S9_EESD_ST_SE_SF_SG_EUlST_E0_NS1_11comp_targetILNS1_3genE5ELNS1_11target_archE942ELNS1_3gpuE9ELNS1_3repE0EEENS1_38merge_mergepath_config_static_selectorELNS0_4arch9wavefront6targetE0EEEvSF_
	.globl	_ZN7rocprim17ROCPRIM_400000_NS6detail17trampoline_kernelINS0_14default_configENS1_38merge_sort_block_merge_config_selectorIiNS0_10empty_typeEEEZZNS1_27merge_sort_block_merge_implIS3_PiPS5_jNS1_19radix_merge_compareILb0ELb1EiNS0_19identity_decomposerEEEEE10hipError_tT0_T1_T2_jT3_P12ihipStream_tbPNSt15iterator_traitsISE_E10value_typeEPNSK_ISF_E10value_typeEPSG_NS1_7vsmem_tEENKUlT_SE_SF_SG_E_clIS8_S8_S9_S9_EESD_ST_SE_SF_SG_EUlST_E0_NS1_11comp_targetILNS1_3genE5ELNS1_11target_archE942ELNS1_3gpuE9ELNS1_3repE0EEENS1_38merge_mergepath_config_static_selectorELNS0_4arch9wavefront6targetE0EEEvSF_
	.p2align	8
	.type	_ZN7rocprim17ROCPRIM_400000_NS6detail17trampoline_kernelINS0_14default_configENS1_38merge_sort_block_merge_config_selectorIiNS0_10empty_typeEEEZZNS1_27merge_sort_block_merge_implIS3_PiPS5_jNS1_19radix_merge_compareILb0ELb1EiNS0_19identity_decomposerEEEEE10hipError_tT0_T1_T2_jT3_P12ihipStream_tbPNSt15iterator_traitsISE_E10value_typeEPNSK_ISF_E10value_typeEPSG_NS1_7vsmem_tEENKUlT_SE_SF_SG_E_clIS8_S8_S9_S9_EESD_ST_SE_SF_SG_EUlST_E0_NS1_11comp_targetILNS1_3genE5ELNS1_11target_archE942ELNS1_3gpuE9ELNS1_3repE0EEENS1_38merge_mergepath_config_static_selectorELNS0_4arch9wavefront6targetE0EEEvSF_,@function
_ZN7rocprim17ROCPRIM_400000_NS6detail17trampoline_kernelINS0_14default_configENS1_38merge_sort_block_merge_config_selectorIiNS0_10empty_typeEEEZZNS1_27merge_sort_block_merge_implIS3_PiPS5_jNS1_19radix_merge_compareILb0ELb1EiNS0_19identity_decomposerEEEEE10hipError_tT0_T1_T2_jT3_P12ihipStream_tbPNSt15iterator_traitsISE_E10value_typeEPNSK_ISF_E10value_typeEPSG_NS1_7vsmem_tEENKUlT_SE_SF_SG_E_clIS8_S8_S9_S9_EESD_ST_SE_SF_SG_EUlST_E0_NS1_11comp_targetILNS1_3genE5ELNS1_11target_archE942ELNS1_3gpuE9ELNS1_3repE0EEENS1_38merge_mergepath_config_static_selectorELNS0_4arch9wavefront6targetE0EEEvSF_: ; @_ZN7rocprim17ROCPRIM_400000_NS6detail17trampoline_kernelINS0_14default_configENS1_38merge_sort_block_merge_config_selectorIiNS0_10empty_typeEEEZZNS1_27merge_sort_block_merge_implIS3_PiPS5_jNS1_19radix_merge_compareILb0ELb1EiNS0_19identity_decomposerEEEEE10hipError_tT0_T1_T2_jT3_P12ihipStream_tbPNSt15iterator_traitsISE_E10value_typeEPNSK_ISF_E10value_typeEPSG_NS1_7vsmem_tEENKUlT_SE_SF_SG_E_clIS8_S8_S9_S9_EESD_ST_SE_SF_SG_EUlST_E0_NS1_11comp_targetILNS1_3genE5ELNS1_11target_archE942ELNS1_3gpuE9ELNS1_3repE0EEENS1_38merge_mergepath_config_static_selectorELNS0_4arch9wavefront6targetE0EEEvSF_
; %bb.0:
	.section	.rodata,"a",@progbits
	.p2align	6, 0x0
	.amdhsa_kernel _ZN7rocprim17ROCPRIM_400000_NS6detail17trampoline_kernelINS0_14default_configENS1_38merge_sort_block_merge_config_selectorIiNS0_10empty_typeEEEZZNS1_27merge_sort_block_merge_implIS3_PiPS5_jNS1_19radix_merge_compareILb0ELb1EiNS0_19identity_decomposerEEEEE10hipError_tT0_T1_T2_jT3_P12ihipStream_tbPNSt15iterator_traitsISE_E10value_typeEPNSK_ISF_E10value_typeEPSG_NS1_7vsmem_tEENKUlT_SE_SF_SG_E_clIS8_S8_S9_S9_EESD_ST_SE_SF_SG_EUlST_E0_NS1_11comp_targetILNS1_3genE5ELNS1_11target_archE942ELNS1_3gpuE9ELNS1_3repE0EEENS1_38merge_mergepath_config_static_selectorELNS0_4arch9wavefront6targetE0EEEvSF_
		.amdhsa_group_segment_fixed_size 0
		.amdhsa_private_segment_fixed_size 0
		.amdhsa_kernarg_size 64
		.amdhsa_user_sgpr_count 2
		.amdhsa_user_sgpr_dispatch_ptr 0
		.amdhsa_user_sgpr_queue_ptr 0
		.amdhsa_user_sgpr_kernarg_segment_ptr 1
		.amdhsa_user_sgpr_dispatch_id 0
		.amdhsa_user_sgpr_kernarg_preload_length 0
		.amdhsa_user_sgpr_kernarg_preload_offset 0
		.amdhsa_user_sgpr_private_segment_size 0
		.amdhsa_wavefront_size32 1
		.amdhsa_uses_dynamic_stack 0
		.amdhsa_enable_private_segment 0
		.amdhsa_system_sgpr_workgroup_id_x 1
		.amdhsa_system_sgpr_workgroup_id_y 0
		.amdhsa_system_sgpr_workgroup_id_z 0
		.amdhsa_system_sgpr_workgroup_info 0
		.amdhsa_system_vgpr_workitem_id 0
		.amdhsa_next_free_vgpr 1
		.amdhsa_next_free_sgpr 1
		.amdhsa_named_barrier_count 0
		.amdhsa_reserve_vcc 0
		.amdhsa_float_round_mode_32 0
		.amdhsa_float_round_mode_16_64 0
		.amdhsa_float_denorm_mode_32 3
		.amdhsa_float_denorm_mode_16_64 3
		.amdhsa_fp16_overflow 0
		.amdhsa_memory_ordered 1
		.amdhsa_forward_progress 1
		.amdhsa_inst_pref_size 0
		.amdhsa_round_robin_scheduling 0
		.amdhsa_exception_fp_ieee_invalid_op 0
		.amdhsa_exception_fp_denorm_src 0
		.amdhsa_exception_fp_ieee_div_zero 0
		.amdhsa_exception_fp_ieee_overflow 0
		.amdhsa_exception_fp_ieee_underflow 0
		.amdhsa_exception_fp_ieee_inexact 0
		.amdhsa_exception_int_div_zero 0
	.end_amdhsa_kernel
	.section	.text._ZN7rocprim17ROCPRIM_400000_NS6detail17trampoline_kernelINS0_14default_configENS1_38merge_sort_block_merge_config_selectorIiNS0_10empty_typeEEEZZNS1_27merge_sort_block_merge_implIS3_PiPS5_jNS1_19radix_merge_compareILb0ELb1EiNS0_19identity_decomposerEEEEE10hipError_tT0_T1_T2_jT3_P12ihipStream_tbPNSt15iterator_traitsISE_E10value_typeEPNSK_ISF_E10value_typeEPSG_NS1_7vsmem_tEENKUlT_SE_SF_SG_E_clIS8_S8_S9_S9_EESD_ST_SE_SF_SG_EUlST_E0_NS1_11comp_targetILNS1_3genE5ELNS1_11target_archE942ELNS1_3gpuE9ELNS1_3repE0EEENS1_38merge_mergepath_config_static_selectorELNS0_4arch9wavefront6targetE0EEEvSF_,"axG",@progbits,_ZN7rocprim17ROCPRIM_400000_NS6detail17trampoline_kernelINS0_14default_configENS1_38merge_sort_block_merge_config_selectorIiNS0_10empty_typeEEEZZNS1_27merge_sort_block_merge_implIS3_PiPS5_jNS1_19radix_merge_compareILb0ELb1EiNS0_19identity_decomposerEEEEE10hipError_tT0_T1_T2_jT3_P12ihipStream_tbPNSt15iterator_traitsISE_E10value_typeEPNSK_ISF_E10value_typeEPSG_NS1_7vsmem_tEENKUlT_SE_SF_SG_E_clIS8_S8_S9_S9_EESD_ST_SE_SF_SG_EUlST_E0_NS1_11comp_targetILNS1_3genE5ELNS1_11target_archE942ELNS1_3gpuE9ELNS1_3repE0EEENS1_38merge_mergepath_config_static_selectorELNS0_4arch9wavefront6targetE0EEEvSF_,comdat
.Lfunc_end928:
	.size	_ZN7rocprim17ROCPRIM_400000_NS6detail17trampoline_kernelINS0_14default_configENS1_38merge_sort_block_merge_config_selectorIiNS0_10empty_typeEEEZZNS1_27merge_sort_block_merge_implIS3_PiPS5_jNS1_19radix_merge_compareILb0ELb1EiNS0_19identity_decomposerEEEEE10hipError_tT0_T1_T2_jT3_P12ihipStream_tbPNSt15iterator_traitsISE_E10value_typeEPNSK_ISF_E10value_typeEPSG_NS1_7vsmem_tEENKUlT_SE_SF_SG_E_clIS8_S8_S9_S9_EESD_ST_SE_SF_SG_EUlST_E0_NS1_11comp_targetILNS1_3genE5ELNS1_11target_archE942ELNS1_3gpuE9ELNS1_3repE0EEENS1_38merge_mergepath_config_static_selectorELNS0_4arch9wavefront6targetE0EEEvSF_, .Lfunc_end928-_ZN7rocprim17ROCPRIM_400000_NS6detail17trampoline_kernelINS0_14default_configENS1_38merge_sort_block_merge_config_selectorIiNS0_10empty_typeEEEZZNS1_27merge_sort_block_merge_implIS3_PiPS5_jNS1_19radix_merge_compareILb0ELb1EiNS0_19identity_decomposerEEEEE10hipError_tT0_T1_T2_jT3_P12ihipStream_tbPNSt15iterator_traitsISE_E10value_typeEPNSK_ISF_E10value_typeEPSG_NS1_7vsmem_tEENKUlT_SE_SF_SG_E_clIS8_S8_S9_S9_EESD_ST_SE_SF_SG_EUlST_E0_NS1_11comp_targetILNS1_3genE5ELNS1_11target_archE942ELNS1_3gpuE9ELNS1_3repE0EEENS1_38merge_mergepath_config_static_selectorELNS0_4arch9wavefront6targetE0EEEvSF_
                                        ; -- End function
	.set _ZN7rocprim17ROCPRIM_400000_NS6detail17trampoline_kernelINS0_14default_configENS1_38merge_sort_block_merge_config_selectorIiNS0_10empty_typeEEEZZNS1_27merge_sort_block_merge_implIS3_PiPS5_jNS1_19radix_merge_compareILb0ELb1EiNS0_19identity_decomposerEEEEE10hipError_tT0_T1_T2_jT3_P12ihipStream_tbPNSt15iterator_traitsISE_E10value_typeEPNSK_ISF_E10value_typeEPSG_NS1_7vsmem_tEENKUlT_SE_SF_SG_E_clIS8_S8_S9_S9_EESD_ST_SE_SF_SG_EUlST_E0_NS1_11comp_targetILNS1_3genE5ELNS1_11target_archE942ELNS1_3gpuE9ELNS1_3repE0EEENS1_38merge_mergepath_config_static_selectorELNS0_4arch9wavefront6targetE0EEEvSF_.num_vgpr, 0
	.set _ZN7rocprim17ROCPRIM_400000_NS6detail17trampoline_kernelINS0_14default_configENS1_38merge_sort_block_merge_config_selectorIiNS0_10empty_typeEEEZZNS1_27merge_sort_block_merge_implIS3_PiPS5_jNS1_19radix_merge_compareILb0ELb1EiNS0_19identity_decomposerEEEEE10hipError_tT0_T1_T2_jT3_P12ihipStream_tbPNSt15iterator_traitsISE_E10value_typeEPNSK_ISF_E10value_typeEPSG_NS1_7vsmem_tEENKUlT_SE_SF_SG_E_clIS8_S8_S9_S9_EESD_ST_SE_SF_SG_EUlST_E0_NS1_11comp_targetILNS1_3genE5ELNS1_11target_archE942ELNS1_3gpuE9ELNS1_3repE0EEENS1_38merge_mergepath_config_static_selectorELNS0_4arch9wavefront6targetE0EEEvSF_.num_agpr, 0
	.set _ZN7rocprim17ROCPRIM_400000_NS6detail17trampoline_kernelINS0_14default_configENS1_38merge_sort_block_merge_config_selectorIiNS0_10empty_typeEEEZZNS1_27merge_sort_block_merge_implIS3_PiPS5_jNS1_19radix_merge_compareILb0ELb1EiNS0_19identity_decomposerEEEEE10hipError_tT0_T1_T2_jT3_P12ihipStream_tbPNSt15iterator_traitsISE_E10value_typeEPNSK_ISF_E10value_typeEPSG_NS1_7vsmem_tEENKUlT_SE_SF_SG_E_clIS8_S8_S9_S9_EESD_ST_SE_SF_SG_EUlST_E0_NS1_11comp_targetILNS1_3genE5ELNS1_11target_archE942ELNS1_3gpuE9ELNS1_3repE0EEENS1_38merge_mergepath_config_static_selectorELNS0_4arch9wavefront6targetE0EEEvSF_.numbered_sgpr, 0
	.set _ZN7rocprim17ROCPRIM_400000_NS6detail17trampoline_kernelINS0_14default_configENS1_38merge_sort_block_merge_config_selectorIiNS0_10empty_typeEEEZZNS1_27merge_sort_block_merge_implIS3_PiPS5_jNS1_19radix_merge_compareILb0ELb1EiNS0_19identity_decomposerEEEEE10hipError_tT0_T1_T2_jT3_P12ihipStream_tbPNSt15iterator_traitsISE_E10value_typeEPNSK_ISF_E10value_typeEPSG_NS1_7vsmem_tEENKUlT_SE_SF_SG_E_clIS8_S8_S9_S9_EESD_ST_SE_SF_SG_EUlST_E0_NS1_11comp_targetILNS1_3genE5ELNS1_11target_archE942ELNS1_3gpuE9ELNS1_3repE0EEENS1_38merge_mergepath_config_static_selectorELNS0_4arch9wavefront6targetE0EEEvSF_.num_named_barrier, 0
	.set _ZN7rocprim17ROCPRIM_400000_NS6detail17trampoline_kernelINS0_14default_configENS1_38merge_sort_block_merge_config_selectorIiNS0_10empty_typeEEEZZNS1_27merge_sort_block_merge_implIS3_PiPS5_jNS1_19radix_merge_compareILb0ELb1EiNS0_19identity_decomposerEEEEE10hipError_tT0_T1_T2_jT3_P12ihipStream_tbPNSt15iterator_traitsISE_E10value_typeEPNSK_ISF_E10value_typeEPSG_NS1_7vsmem_tEENKUlT_SE_SF_SG_E_clIS8_S8_S9_S9_EESD_ST_SE_SF_SG_EUlST_E0_NS1_11comp_targetILNS1_3genE5ELNS1_11target_archE942ELNS1_3gpuE9ELNS1_3repE0EEENS1_38merge_mergepath_config_static_selectorELNS0_4arch9wavefront6targetE0EEEvSF_.private_seg_size, 0
	.set _ZN7rocprim17ROCPRIM_400000_NS6detail17trampoline_kernelINS0_14default_configENS1_38merge_sort_block_merge_config_selectorIiNS0_10empty_typeEEEZZNS1_27merge_sort_block_merge_implIS3_PiPS5_jNS1_19radix_merge_compareILb0ELb1EiNS0_19identity_decomposerEEEEE10hipError_tT0_T1_T2_jT3_P12ihipStream_tbPNSt15iterator_traitsISE_E10value_typeEPNSK_ISF_E10value_typeEPSG_NS1_7vsmem_tEENKUlT_SE_SF_SG_E_clIS8_S8_S9_S9_EESD_ST_SE_SF_SG_EUlST_E0_NS1_11comp_targetILNS1_3genE5ELNS1_11target_archE942ELNS1_3gpuE9ELNS1_3repE0EEENS1_38merge_mergepath_config_static_selectorELNS0_4arch9wavefront6targetE0EEEvSF_.uses_vcc, 0
	.set _ZN7rocprim17ROCPRIM_400000_NS6detail17trampoline_kernelINS0_14default_configENS1_38merge_sort_block_merge_config_selectorIiNS0_10empty_typeEEEZZNS1_27merge_sort_block_merge_implIS3_PiPS5_jNS1_19radix_merge_compareILb0ELb1EiNS0_19identity_decomposerEEEEE10hipError_tT0_T1_T2_jT3_P12ihipStream_tbPNSt15iterator_traitsISE_E10value_typeEPNSK_ISF_E10value_typeEPSG_NS1_7vsmem_tEENKUlT_SE_SF_SG_E_clIS8_S8_S9_S9_EESD_ST_SE_SF_SG_EUlST_E0_NS1_11comp_targetILNS1_3genE5ELNS1_11target_archE942ELNS1_3gpuE9ELNS1_3repE0EEENS1_38merge_mergepath_config_static_selectorELNS0_4arch9wavefront6targetE0EEEvSF_.uses_flat_scratch, 0
	.set _ZN7rocprim17ROCPRIM_400000_NS6detail17trampoline_kernelINS0_14default_configENS1_38merge_sort_block_merge_config_selectorIiNS0_10empty_typeEEEZZNS1_27merge_sort_block_merge_implIS3_PiPS5_jNS1_19radix_merge_compareILb0ELb1EiNS0_19identity_decomposerEEEEE10hipError_tT0_T1_T2_jT3_P12ihipStream_tbPNSt15iterator_traitsISE_E10value_typeEPNSK_ISF_E10value_typeEPSG_NS1_7vsmem_tEENKUlT_SE_SF_SG_E_clIS8_S8_S9_S9_EESD_ST_SE_SF_SG_EUlST_E0_NS1_11comp_targetILNS1_3genE5ELNS1_11target_archE942ELNS1_3gpuE9ELNS1_3repE0EEENS1_38merge_mergepath_config_static_selectorELNS0_4arch9wavefront6targetE0EEEvSF_.has_dyn_sized_stack, 0
	.set _ZN7rocprim17ROCPRIM_400000_NS6detail17trampoline_kernelINS0_14default_configENS1_38merge_sort_block_merge_config_selectorIiNS0_10empty_typeEEEZZNS1_27merge_sort_block_merge_implIS3_PiPS5_jNS1_19radix_merge_compareILb0ELb1EiNS0_19identity_decomposerEEEEE10hipError_tT0_T1_T2_jT3_P12ihipStream_tbPNSt15iterator_traitsISE_E10value_typeEPNSK_ISF_E10value_typeEPSG_NS1_7vsmem_tEENKUlT_SE_SF_SG_E_clIS8_S8_S9_S9_EESD_ST_SE_SF_SG_EUlST_E0_NS1_11comp_targetILNS1_3genE5ELNS1_11target_archE942ELNS1_3gpuE9ELNS1_3repE0EEENS1_38merge_mergepath_config_static_selectorELNS0_4arch9wavefront6targetE0EEEvSF_.has_recursion, 0
	.set _ZN7rocprim17ROCPRIM_400000_NS6detail17trampoline_kernelINS0_14default_configENS1_38merge_sort_block_merge_config_selectorIiNS0_10empty_typeEEEZZNS1_27merge_sort_block_merge_implIS3_PiPS5_jNS1_19radix_merge_compareILb0ELb1EiNS0_19identity_decomposerEEEEE10hipError_tT0_T1_T2_jT3_P12ihipStream_tbPNSt15iterator_traitsISE_E10value_typeEPNSK_ISF_E10value_typeEPSG_NS1_7vsmem_tEENKUlT_SE_SF_SG_E_clIS8_S8_S9_S9_EESD_ST_SE_SF_SG_EUlST_E0_NS1_11comp_targetILNS1_3genE5ELNS1_11target_archE942ELNS1_3gpuE9ELNS1_3repE0EEENS1_38merge_mergepath_config_static_selectorELNS0_4arch9wavefront6targetE0EEEvSF_.has_indirect_call, 0
	.section	.AMDGPU.csdata,"",@progbits
; Kernel info:
; codeLenInByte = 0
; TotalNumSgprs: 0
; NumVgprs: 0
; ScratchSize: 0
; MemoryBound: 0
; FloatMode: 240
; IeeeMode: 1
; LDSByteSize: 0 bytes/workgroup (compile time only)
; SGPRBlocks: 0
; VGPRBlocks: 0
; NumSGPRsForWavesPerEU: 1
; NumVGPRsForWavesPerEU: 1
; NamedBarCnt: 0
; Occupancy: 16
; WaveLimiterHint : 0
; COMPUTE_PGM_RSRC2:SCRATCH_EN: 0
; COMPUTE_PGM_RSRC2:USER_SGPR: 2
; COMPUTE_PGM_RSRC2:TRAP_HANDLER: 0
; COMPUTE_PGM_RSRC2:TGID_X_EN: 1
; COMPUTE_PGM_RSRC2:TGID_Y_EN: 0
; COMPUTE_PGM_RSRC2:TGID_Z_EN: 0
; COMPUTE_PGM_RSRC2:TIDIG_COMP_CNT: 0
	.section	.text._ZN7rocprim17ROCPRIM_400000_NS6detail17trampoline_kernelINS0_14default_configENS1_38merge_sort_block_merge_config_selectorIiNS0_10empty_typeEEEZZNS1_27merge_sort_block_merge_implIS3_PiPS5_jNS1_19radix_merge_compareILb0ELb1EiNS0_19identity_decomposerEEEEE10hipError_tT0_T1_T2_jT3_P12ihipStream_tbPNSt15iterator_traitsISE_E10value_typeEPNSK_ISF_E10value_typeEPSG_NS1_7vsmem_tEENKUlT_SE_SF_SG_E_clIS8_S8_S9_S9_EESD_ST_SE_SF_SG_EUlST_E0_NS1_11comp_targetILNS1_3genE4ELNS1_11target_archE910ELNS1_3gpuE8ELNS1_3repE0EEENS1_38merge_mergepath_config_static_selectorELNS0_4arch9wavefront6targetE0EEEvSF_,"axG",@progbits,_ZN7rocprim17ROCPRIM_400000_NS6detail17trampoline_kernelINS0_14default_configENS1_38merge_sort_block_merge_config_selectorIiNS0_10empty_typeEEEZZNS1_27merge_sort_block_merge_implIS3_PiPS5_jNS1_19radix_merge_compareILb0ELb1EiNS0_19identity_decomposerEEEEE10hipError_tT0_T1_T2_jT3_P12ihipStream_tbPNSt15iterator_traitsISE_E10value_typeEPNSK_ISF_E10value_typeEPSG_NS1_7vsmem_tEENKUlT_SE_SF_SG_E_clIS8_S8_S9_S9_EESD_ST_SE_SF_SG_EUlST_E0_NS1_11comp_targetILNS1_3genE4ELNS1_11target_archE910ELNS1_3gpuE8ELNS1_3repE0EEENS1_38merge_mergepath_config_static_selectorELNS0_4arch9wavefront6targetE0EEEvSF_,comdat
	.protected	_ZN7rocprim17ROCPRIM_400000_NS6detail17trampoline_kernelINS0_14default_configENS1_38merge_sort_block_merge_config_selectorIiNS0_10empty_typeEEEZZNS1_27merge_sort_block_merge_implIS3_PiPS5_jNS1_19radix_merge_compareILb0ELb1EiNS0_19identity_decomposerEEEEE10hipError_tT0_T1_T2_jT3_P12ihipStream_tbPNSt15iterator_traitsISE_E10value_typeEPNSK_ISF_E10value_typeEPSG_NS1_7vsmem_tEENKUlT_SE_SF_SG_E_clIS8_S8_S9_S9_EESD_ST_SE_SF_SG_EUlST_E0_NS1_11comp_targetILNS1_3genE4ELNS1_11target_archE910ELNS1_3gpuE8ELNS1_3repE0EEENS1_38merge_mergepath_config_static_selectorELNS0_4arch9wavefront6targetE0EEEvSF_ ; -- Begin function _ZN7rocprim17ROCPRIM_400000_NS6detail17trampoline_kernelINS0_14default_configENS1_38merge_sort_block_merge_config_selectorIiNS0_10empty_typeEEEZZNS1_27merge_sort_block_merge_implIS3_PiPS5_jNS1_19radix_merge_compareILb0ELb1EiNS0_19identity_decomposerEEEEE10hipError_tT0_T1_T2_jT3_P12ihipStream_tbPNSt15iterator_traitsISE_E10value_typeEPNSK_ISF_E10value_typeEPSG_NS1_7vsmem_tEENKUlT_SE_SF_SG_E_clIS8_S8_S9_S9_EESD_ST_SE_SF_SG_EUlST_E0_NS1_11comp_targetILNS1_3genE4ELNS1_11target_archE910ELNS1_3gpuE8ELNS1_3repE0EEENS1_38merge_mergepath_config_static_selectorELNS0_4arch9wavefront6targetE0EEEvSF_
	.globl	_ZN7rocprim17ROCPRIM_400000_NS6detail17trampoline_kernelINS0_14default_configENS1_38merge_sort_block_merge_config_selectorIiNS0_10empty_typeEEEZZNS1_27merge_sort_block_merge_implIS3_PiPS5_jNS1_19radix_merge_compareILb0ELb1EiNS0_19identity_decomposerEEEEE10hipError_tT0_T1_T2_jT3_P12ihipStream_tbPNSt15iterator_traitsISE_E10value_typeEPNSK_ISF_E10value_typeEPSG_NS1_7vsmem_tEENKUlT_SE_SF_SG_E_clIS8_S8_S9_S9_EESD_ST_SE_SF_SG_EUlST_E0_NS1_11comp_targetILNS1_3genE4ELNS1_11target_archE910ELNS1_3gpuE8ELNS1_3repE0EEENS1_38merge_mergepath_config_static_selectorELNS0_4arch9wavefront6targetE0EEEvSF_
	.p2align	8
	.type	_ZN7rocprim17ROCPRIM_400000_NS6detail17trampoline_kernelINS0_14default_configENS1_38merge_sort_block_merge_config_selectorIiNS0_10empty_typeEEEZZNS1_27merge_sort_block_merge_implIS3_PiPS5_jNS1_19radix_merge_compareILb0ELb1EiNS0_19identity_decomposerEEEEE10hipError_tT0_T1_T2_jT3_P12ihipStream_tbPNSt15iterator_traitsISE_E10value_typeEPNSK_ISF_E10value_typeEPSG_NS1_7vsmem_tEENKUlT_SE_SF_SG_E_clIS8_S8_S9_S9_EESD_ST_SE_SF_SG_EUlST_E0_NS1_11comp_targetILNS1_3genE4ELNS1_11target_archE910ELNS1_3gpuE8ELNS1_3repE0EEENS1_38merge_mergepath_config_static_selectorELNS0_4arch9wavefront6targetE0EEEvSF_,@function
_ZN7rocprim17ROCPRIM_400000_NS6detail17trampoline_kernelINS0_14default_configENS1_38merge_sort_block_merge_config_selectorIiNS0_10empty_typeEEEZZNS1_27merge_sort_block_merge_implIS3_PiPS5_jNS1_19radix_merge_compareILb0ELb1EiNS0_19identity_decomposerEEEEE10hipError_tT0_T1_T2_jT3_P12ihipStream_tbPNSt15iterator_traitsISE_E10value_typeEPNSK_ISF_E10value_typeEPSG_NS1_7vsmem_tEENKUlT_SE_SF_SG_E_clIS8_S8_S9_S9_EESD_ST_SE_SF_SG_EUlST_E0_NS1_11comp_targetILNS1_3genE4ELNS1_11target_archE910ELNS1_3gpuE8ELNS1_3repE0EEENS1_38merge_mergepath_config_static_selectorELNS0_4arch9wavefront6targetE0EEEvSF_: ; @_ZN7rocprim17ROCPRIM_400000_NS6detail17trampoline_kernelINS0_14default_configENS1_38merge_sort_block_merge_config_selectorIiNS0_10empty_typeEEEZZNS1_27merge_sort_block_merge_implIS3_PiPS5_jNS1_19radix_merge_compareILb0ELb1EiNS0_19identity_decomposerEEEEE10hipError_tT0_T1_T2_jT3_P12ihipStream_tbPNSt15iterator_traitsISE_E10value_typeEPNSK_ISF_E10value_typeEPSG_NS1_7vsmem_tEENKUlT_SE_SF_SG_E_clIS8_S8_S9_S9_EESD_ST_SE_SF_SG_EUlST_E0_NS1_11comp_targetILNS1_3genE4ELNS1_11target_archE910ELNS1_3gpuE8ELNS1_3repE0EEENS1_38merge_mergepath_config_static_selectorELNS0_4arch9wavefront6targetE0EEEvSF_
; %bb.0:
	.section	.rodata,"a",@progbits
	.p2align	6, 0x0
	.amdhsa_kernel _ZN7rocprim17ROCPRIM_400000_NS6detail17trampoline_kernelINS0_14default_configENS1_38merge_sort_block_merge_config_selectorIiNS0_10empty_typeEEEZZNS1_27merge_sort_block_merge_implIS3_PiPS5_jNS1_19radix_merge_compareILb0ELb1EiNS0_19identity_decomposerEEEEE10hipError_tT0_T1_T2_jT3_P12ihipStream_tbPNSt15iterator_traitsISE_E10value_typeEPNSK_ISF_E10value_typeEPSG_NS1_7vsmem_tEENKUlT_SE_SF_SG_E_clIS8_S8_S9_S9_EESD_ST_SE_SF_SG_EUlST_E0_NS1_11comp_targetILNS1_3genE4ELNS1_11target_archE910ELNS1_3gpuE8ELNS1_3repE0EEENS1_38merge_mergepath_config_static_selectorELNS0_4arch9wavefront6targetE0EEEvSF_
		.amdhsa_group_segment_fixed_size 0
		.amdhsa_private_segment_fixed_size 0
		.amdhsa_kernarg_size 64
		.amdhsa_user_sgpr_count 2
		.amdhsa_user_sgpr_dispatch_ptr 0
		.amdhsa_user_sgpr_queue_ptr 0
		.amdhsa_user_sgpr_kernarg_segment_ptr 1
		.amdhsa_user_sgpr_dispatch_id 0
		.amdhsa_user_sgpr_kernarg_preload_length 0
		.amdhsa_user_sgpr_kernarg_preload_offset 0
		.amdhsa_user_sgpr_private_segment_size 0
		.amdhsa_wavefront_size32 1
		.amdhsa_uses_dynamic_stack 0
		.amdhsa_enable_private_segment 0
		.amdhsa_system_sgpr_workgroup_id_x 1
		.amdhsa_system_sgpr_workgroup_id_y 0
		.amdhsa_system_sgpr_workgroup_id_z 0
		.amdhsa_system_sgpr_workgroup_info 0
		.amdhsa_system_vgpr_workitem_id 0
		.amdhsa_next_free_vgpr 1
		.amdhsa_next_free_sgpr 1
		.amdhsa_named_barrier_count 0
		.amdhsa_reserve_vcc 0
		.amdhsa_float_round_mode_32 0
		.amdhsa_float_round_mode_16_64 0
		.amdhsa_float_denorm_mode_32 3
		.amdhsa_float_denorm_mode_16_64 3
		.amdhsa_fp16_overflow 0
		.amdhsa_memory_ordered 1
		.amdhsa_forward_progress 1
		.amdhsa_inst_pref_size 0
		.amdhsa_round_robin_scheduling 0
		.amdhsa_exception_fp_ieee_invalid_op 0
		.amdhsa_exception_fp_denorm_src 0
		.amdhsa_exception_fp_ieee_div_zero 0
		.amdhsa_exception_fp_ieee_overflow 0
		.amdhsa_exception_fp_ieee_underflow 0
		.amdhsa_exception_fp_ieee_inexact 0
		.amdhsa_exception_int_div_zero 0
	.end_amdhsa_kernel
	.section	.text._ZN7rocprim17ROCPRIM_400000_NS6detail17trampoline_kernelINS0_14default_configENS1_38merge_sort_block_merge_config_selectorIiNS0_10empty_typeEEEZZNS1_27merge_sort_block_merge_implIS3_PiPS5_jNS1_19radix_merge_compareILb0ELb1EiNS0_19identity_decomposerEEEEE10hipError_tT0_T1_T2_jT3_P12ihipStream_tbPNSt15iterator_traitsISE_E10value_typeEPNSK_ISF_E10value_typeEPSG_NS1_7vsmem_tEENKUlT_SE_SF_SG_E_clIS8_S8_S9_S9_EESD_ST_SE_SF_SG_EUlST_E0_NS1_11comp_targetILNS1_3genE4ELNS1_11target_archE910ELNS1_3gpuE8ELNS1_3repE0EEENS1_38merge_mergepath_config_static_selectorELNS0_4arch9wavefront6targetE0EEEvSF_,"axG",@progbits,_ZN7rocprim17ROCPRIM_400000_NS6detail17trampoline_kernelINS0_14default_configENS1_38merge_sort_block_merge_config_selectorIiNS0_10empty_typeEEEZZNS1_27merge_sort_block_merge_implIS3_PiPS5_jNS1_19radix_merge_compareILb0ELb1EiNS0_19identity_decomposerEEEEE10hipError_tT0_T1_T2_jT3_P12ihipStream_tbPNSt15iterator_traitsISE_E10value_typeEPNSK_ISF_E10value_typeEPSG_NS1_7vsmem_tEENKUlT_SE_SF_SG_E_clIS8_S8_S9_S9_EESD_ST_SE_SF_SG_EUlST_E0_NS1_11comp_targetILNS1_3genE4ELNS1_11target_archE910ELNS1_3gpuE8ELNS1_3repE0EEENS1_38merge_mergepath_config_static_selectorELNS0_4arch9wavefront6targetE0EEEvSF_,comdat
.Lfunc_end929:
	.size	_ZN7rocprim17ROCPRIM_400000_NS6detail17trampoline_kernelINS0_14default_configENS1_38merge_sort_block_merge_config_selectorIiNS0_10empty_typeEEEZZNS1_27merge_sort_block_merge_implIS3_PiPS5_jNS1_19radix_merge_compareILb0ELb1EiNS0_19identity_decomposerEEEEE10hipError_tT0_T1_T2_jT3_P12ihipStream_tbPNSt15iterator_traitsISE_E10value_typeEPNSK_ISF_E10value_typeEPSG_NS1_7vsmem_tEENKUlT_SE_SF_SG_E_clIS8_S8_S9_S9_EESD_ST_SE_SF_SG_EUlST_E0_NS1_11comp_targetILNS1_3genE4ELNS1_11target_archE910ELNS1_3gpuE8ELNS1_3repE0EEENS1_38merge_mergepath_config_static_selectorELNS0_4arch9wavefront6targetE0EEEvSF_, .Lfunc_end929-_ZN7rocprim17ROCPRIM_400000_NS6detail17trampoline_kernelINS0_14default_configENS1_38merge_sort_block_merge_config_selectorIiNS0_10empty_typeEEEZZNS1_27merge_sort_block_merge_implIS3_PiPS5_jNS1_19radix_merge_compareILb0ELb1EiNS0_19identity_decomposerEEEEE10hipError_tT0_T1_T2_jT3_P12ihipStream_tbPNSt15iterator_traitsISE_E10value_typeEPNSK_ISF_E10value_typeEPSG_NS1_7vsmem_tEENKUlT_SE_SF_SG_E_clIS8_S8_S9_S9_EESD_ST_SE_SF_SG_EUlST_E0_NS1_11comp_targetILNS1_3genE4ELNS1_11target_archE910ELNS1_3gpuE8ELNS1_3repE0EEENS1_38merge_mergepath_config_static_selectorELNS0_4arch9wavefront6targetE0EEEvSF_
                                        ; -- End function
	.set _ZN7rocprim17ROCPRIM_400000_NS6detail17trampoline_kernelINS0_14default_configENS1_38merge_sort_block_merge_config_selectorIiNS0_10empty_typeEEEZZNS1_27merge_sort_block_merge_implIS3_PiPS5_jNS1_19radix_merge_compareILb0ELb1EiNS0_19identity_decomposerEEEEE10hipError_tT0_T1_T2_jT3_P12ihipStream_tbPNSt15iterator_traitsISE_E10value_typeEPNSK_ISF_E10value_typeEPSG_NS1_7vsmem_tEENKUlT_SE_SF_SG_E_clIS8_S8_S9_S9_EESD_ST_SE_SF_SG_EUlST_E0_NS1_11comp_targetILNS1_3genE4ELNS1_11target_archE910ELNS1_3gpuE8ELNS1_3repE0EEENS1_38merge_mergepath_config_static_selectorELNS0_4arch9wavefront6targetE0EEEvSF_.num_vgpr, 0
	.set _ZN7rocprim17ROCPRIM_400000_NS6detail17trampoline_kernelINS0_14default_configENS1_38merge_sort_block_merge_config_selectorIiNS0_10empty_typeEEEZZNS1_27merge_sort_block_merge_implIS3_PiPS5_jNS1_19radix_merge_compareILb0ELb1EiNS0_19identity_decomposerEEEEE10hipError_tT0_T1_T2_jT3_P12ihipStream_tbPNSt15iterator_traitsISE_E10value_typeEPNSK_ISF_E10value_typeEPSG_NS1_7vsmem_tEENKUlT_SE_SF_SG_E_clIS8_S8_S9_S9_EESD_ST_SE_SF_SG_EUlST_E0_NS1_11comp_targetILNS1_3genE4ELNS1_11target_archE910ELNS1_3gpuE8ELNS1_3repE0EEENS1_38merge_mergepath_config_static_selectorELNS0_4arch9wavefront6targetE0EEEvSF_.num_agpr, 0
	.set _ZN7rocprim17ROCPRIM_400000_NS6detail17trampoline_kernelINS0_14default_configENS1_38merge_sort_block_merge_config_selectorIiNS0_10empty_typeEEEZZNS1_27merge_sort_block_merge_implIS3_PiPS5_jNS1_19radix_merge_compareILb0ELb1EiNS0_19identity_decomposerEEEEE10hipError_tT0_T1_T2_jT3_P12ihipStream_tbPNSt15iterator_traitsISE_E10value_typeEPNSK_ISF_E10value_typeEPSG_NS1_7vsmem_tEENKUlT_SE_SF_SG_E_clIS8_S8_S9_S9_EESD_ST_SE_SF_SG_EUlST_E0_NS1_11comp_targetILNS1_3genE4ELNS1_11target_archE910ELNS1_3gpuE8ELNS1_3repE0EEENS1_38merge_mergepath_config_static_selectorELNS0_4arch9wavefront6targetE0EEEvSF_.numbered_sgpr, 0
	.set _ZN7rocprim17ROCPRIM_400000_NS6detail17trampoline_kernelINS0_14default_configENS1_38merge_sort_block_merge_config_selectorIiNS0_10empty_typeEEEZZNS1_27merge_sort_block_merge_implIS3_PiPS5_jNS1_19radix_merge_compareILb0ELb1EiNS0_19identity_decomposerEEEEE10hipError_tT0_T1_T2_jT3_P12ihipStream_tbPNSt15iterator_traitsISE_E10value_typeEPNSK_ISF_E10value_typeEPSG_NS1_7vsmem_tEENKUlT_SE_SF_SG_E_clIS8_S8_S9_S9_EESD_ST_SE_SF_SG_EUlST_E0_NS1_11comp_targetILNS1_3genE4ELNS1_11target_archE910ELNS1_3gpuE8ELNS1_3repE0EEENS1_38merge_mergepath_config_static_selectorELNS0_4arch9wavefront6targetE0EEEvSF_.num_named_barrier, 0
	.set _ZN7rocprim17ROCPRIM_400000_NS6detail17trampoline_kernelINS0_14default_configENS1_38merge_sort_block_merge_config_selectorIiNS0_10empty_typeEEEZZNS1_27merge_sort_block_merge_implIS3_PiPS5_jNS1_19radix_merge_compareILb0ELb1EiNS0_19identity_decomposerEEEEE10hipError_tT0_T1_T2_jT3_P12ihipStream_tbPNSt15iterator_traitsISE_E10value_typeEPNSK_ISF_E10value_typeEPSG_NS1_7vsmem_tEENKUlT_SE_SF_SG_E_clIS8_S8_S9_S9_EESD_ST_SE_SF_SG_EUlST_E0_NS1_11comp_targetILNS1_3genE4ELNS1_11target_archE910ELNS1_3gpuE8ELNS1_3repE0EEENS1_38merge_mergepath_config_static_selectorELNS0_4arch9wavefront6targetE0EEEvSF_.private_seg_size, 0
	.set _ZN7rocprim17ROCPRIM_400000_NS6detail17trampoline_kernelINS0_14default_configENS1_38merge_sort_block_merge_config_selectorIiNS0_10empty_typeEEEZZNS1_27merge_sort_block_merge_implIS3_PiPS5_jNS1_19radix_merge_compareILb0ELb1EiNS0_19identity_decomposerEEEEE10hipError_tT0_T1_T2_jT3_P12ihipStream_tbPNSt15iterator_traitsISE_E10value_typeEPNSK_ISF_E10value_typeEPSG_NS1_7vsmem_tEENKUlT_SE_SF_SG_E_clIS8_S8_S9_S9_EESD_ST_SE_SF_SG_EUlST_E0_NS1_11comp_targetILNS1_3genE4ELNS1_11target_archE910ELNS1_3gpuE8ELNS1_3repE0EEENS1_38merge_mergepath_config_static_selectorELNS0_4arch9wavefront6targetE0EEEvSF_.uses_vcc, 0
	.set _ZN7rocprim17ROCPRIM_400000_NS6detail17trampoline_kernelINS0_14default_configENS1_38merge_sort_block_merge_config_selectorIiNS0_10empty_typeEEEZZNS1_27merge_sort_block_merge_implIS3_PiPS5_jNS1_19radix_merge_compareILb0ELb1EiNS0_19identity_decomposerEEEEE10hipError_tT0_T1_T2_jT3_P12ihipStream_tbPNSt15iterator_traitsISE_E10value_typeEPNSK_ISF_E10value_typeEPSG_NS1_7vsmem_tEENKUlT_SE_SF_SG_E_clIS8_S8_S9_S9_EESD_ST_SE_SF_SG_EUlST_E0_NS1_11comp_targetILNS1_3genE4ELNS1_11target_archE910ELNS1_3gpuE8ELNS1_3repE0EEENS1_38merge_mergepath_config_static_selectorELNS0_4arch9wavefront6targetE0EEEvSF_.uses_flat_scratch, 0
	.set _ZN7rocprim17ROCPRIM_400000_NS6detail17trampoline_kernelINS0_14default_configENS1_38merge_sort_block_merge_config_selectorIiNS0_10empty_typeEEEZZNS1_27merge_sort_block_merge_implIS3_PiPS5_jNS1_19radix_merge_compareILb0ELb1EiNS0_19identity_decomposerEEEEE10hipError_tT0_T1_T2_jT3_P12ihipStream_tbPNSt15iterator_traitsISE_E10value_typeEPNSK_ISF_E10value_typeEPSG_NS1_7vsmem_tEENKUlT_SE_SF_SG_E_clIS8_S8_S9_S9_EESD_ST_SE_SF_SG_EUlST_E0_NS1_11comp_targetILNS1_3genE4ELNS1_11target_archE910ELNS1_3gpuE8ELNS1_3repE0EEENS1_38merge_mergepath_config_static_selectorELNS0_4arch9wavefront6targetE0EEEvSF_.has_dyn_sized_stack, 0
	.set _ZN7rocprim17ROCPRIM_400000_NS6detail17trampoline_kernelINS0_14default_configENS1_38merge_sort_block_merge_config_selectorIiNS0_10empty_typeEEEZZNS1_27merge_sort_block_merge_implIS3_PiPS5_jNS1_19radix_merge_compareILb0ELb1EiNS0_19identity_decomposerEEEEE10hipError_tT0_T1_T2_jT3_P12ihipStream_tbPNSt15iterator_traitsISE_E10value_typeEPNSK_ISF_E10value_typeEPSG_NS1_7vsmem_tEENKUlT_SE_SF_SG_E_clIS8_S8_S9_S9_EESD_ST_SE_SF_SG_EUlST_E0_NS1_11comp_targetILNS1_3genE4ELNS1_11target_archE910ELNS1_3gpuE8ELNS1_3repE0EEENS1_38merge_mergepath_config_static_selectorELNS0_4arch9wavefront6targetE0EEEvSF_.has_recursion, 0
	.set _ZN7rocprim17ROCPRIM_400000_NS6detail17trampoline_kernelINS0_14default_configENS1_38merge_sort_block_merge_config_selectorIiNS0_10empty_typeEEEZZNS1_27merge_sort_block_merge_implIS3_PiPS5_jNS1_19radix_merge_compareILb0ELb1EiNS0_19identity_decomposerEEEEE10hipError_tT0_T1_T2_jT3_P12ihipStream_tbPNSt15iterator_traitsISE_E10value_typeEPNSK_ISF_E10value_typeEPSG_NS1_7vsmem_tEENKUlT_SE_SF_SG_E_clIS8_S8_S9_S9_EESD_ST_SE_SF_SG_EUlST_E0_NS1_11comp_targetILNS1_3genE4ELNS1_11target_archE910ELNS1_3gpuE8ELNS1_3repE0EEENS1_38merge_mergepath_config_static_selectorELNS0_4arch9wavefront6targetE0EEEvSF_.has_indirect_call, 0
	.section	.AMDGPU.csdata,"",@progbits
; Kernel info:
; codeLenInByte = 0
; TotalNumSgprs: 0
; NumVgprs: 0
; ScratchSize: 0
; MemoryBound: 0
; FloatMode: 240
; IeeeMode: 1
; LDSByteSize: 0 bytes/workgroup (compile time only)
; SGPRBlocks: 0
; VGPRBlocks: 0
; NumSGPRsForWavesPerEU: 1
; NumVGPRsForWavesPerEU: 1
; NamedBarCnt: 0
; Occupancy: 16
; WaveLimiterHint : 0
; COMPUTE_PGM_RSRC2:SCRATCH_EN: 0
; COMPUTE_PGM_RSRC2:USER_SGPR: 2
; COMPUTE_PGM_RSRC2:TRAP_HANDLER: 0
; COMPUTE_PGM_RSRC2:TGID_X_EN: 1
; COMPUTE_PGM_RSRC2:TGID_Y_EN: 0
; COMPUTE_PGM_RSRC2:TGID_Z_EN: 0
; COMPUTE_PGM_RSRC2:TIDIG_COMP_CNT: 0
	.section	.text._ZN7rocprim17ROCPRIM_400000_NS6detail17trampoline_kernelINS0_14default_configENS1_38merge_sort_block_merge_config_selectorIiNS0_10empty_typeEEEZZNS1_27merge_sort_block_merge_implIS3_PiPS5_jNS1_19radix_merge_compareILb0ELb1EiNS0_19identity_decomposerEEEEE10hipError_tT0_T1_T2_jT3_P12ihipStream_tbPNSt15iterator_traitsISE_E10value_typeEPNSK_ISF_E10value_typeEPSG_NS1_7vsmem_tEENKUlT_SE_SF_SG_E_clIS8_S8_S9_S9_EESD_ST_SE_SF_SG_EUlST_E0_NS1_11comp_targetILNS1_3genE3ELNS1_11target_archE908ELNS1_3gpuE7ELNS1_3repE0EEENS1_38merge_mergepath_config_static_selectorELNS0_4arch9wavefront6targetE0EEEvSF_,"axG",@progbits,_ZN7rocprim17ROCPRIM_400000_NS6detail17trampoline_kernelINS0_14default_configENS1_38merge_sort_block_merge_config_selectorIiNS0_10empty_typeEEEZZNS1_27merge_sort_block_merge_implIS3_PiPS5_jNS1_19radix_merge_compareILb0ELb1EiNS0_19identity_decomposerEEEEE10hipError_tT0_T1_T2_jT3_P12ihipStream_tbPNSt15iterator_traitsISE_E10value_typeEPNSK_ISF_E10value_typeEPSG_NS1_7vsmem_tEENKUlT_SE_SF_SG_E_clIS8_S8_S9_S9_EESD_ST_SE_SF_SG_EUlST_E0_NS1_11comp_targetILNS1_3genE3ELNS1_11target_archE908ELNS1_3gpuE7ELNS1_3repE0EEENS1_38merge_mergepath_config_static_selectorELNS0_4arch9wavefront6targetE0EEEvSF_,comdat
	.protected	_ZN7rocprim17ROCPRIM_400000_NS6detail17trampoline_kernelINS0_14default_configENS1_38merge_sort_block_merge_config_selectorIiNS0_10empty_typeEEEZZNS1_27merge_sort_block_merge_implIS3_PiPS5_jNS1_19radix_merge_compareILb0ELb1EiNS0_19identity_decomposerEEEEE10hipError_tT0_T1_T2_jT3_P12ihipStream_tbPNSt15iterator_traitsISE_E10value_typeEPNSK_ISF_E10value_typeEPSG_NS1_7vsmem_tEENKUlT_SE_SF_SG_E_clIS8_S8_S9_S9_EESD_ST_SE_SF_SG_EUlST_E0_NS1_11comp_targetILNS1_3genE3ELNS1_11target_archE908ELNS1_3gpuE7ELNS1_3repE0EEENS1_38merge_mergepath_config_static_selectorELNS0_4arch9wavefront6targetE0EEEvSF_ ; -- Begin function _ZN7rocprim17ROCPRIM_400000_NS6detail17trampoline_kernelINS0_14default_configENS1_38merge_sort_block_merge_config_selectorIiNS0_10empty_typeEEEZZNS1_27merge_sort_block_merge_implIS3_PiPS5_jNS1_19radix_merge_compareILb0ELb1EiNS0_19identity_decomposerEEEEE10hipError_tT0_T1_T2_jT3_P12ihipStream_tbPNSt15iterator_traitsISE_E10value_typeEPNSK_ISF_E10value_typeEPSG_NS1_7vsmem_tEENKUlT_SE_SF_SG_E_clIS8_S8_S9_S9_EESD_ST_SE_SF_SG_EUlST_E0_NS1_11comp_targetILNS1_3genE3ELNS1_11target_archE908ELNS1_3gpuE7ELNS1_3repE0EEENS1_38merge_mergepath_config_static_selectorELNS0_4arch9wavefront6targetE0EEEvSF_
	.globl	_ZN7rocprim17ROCPRIM_400000_NS6detail17trampoline_kernelINS0_14default_configENS1_38merge_sort_block_merge_config_selectorIiNS0_10empty_typeEEEZZNS1_27merge_sort_block_merge_implIS3_PiPS5_jNS1_19radix_merge_compareILb0ELb1EiNS0_19identity_decomposerEEEEE10hipError_tT0_T1_T2_jT3_P12ihipStream_tbPNSt15iterator_traitsISE_E10value_typeEPNSK_ISF_E10value_typeEPSG_NS1_7vsmem_tEENKUlT_SE_SF_SG_E_clIS8_S8_S9_S9_EESD_ST_SE_SF_SG_EUlST_E0_NS1_11comp_targetILNS1_3genE3ELNS1_11target_archE908ELNS1_3gpuE7ELNS1_3repE0EEENS1_38merge_mergepath_config_static_selectorELNS0_4arch9wavefront6targetE0EEEvSF_
	.p2align	8
	.type	_ZN7rocprim17ROCPRIM_400000_NS6detail17trampoline_kernelINS0_14default_configENS1_38merge_sort_block_merge_config_selectorIiNS0_10empty_typeEEEZZNS1_27merge_sort_block_merge_implIS3_PiPS5_jNS1_19radix_merge_compareILb0ELb1EiNS0_19identity_decomposerEEEEE10hipError_tT0_T1_T2_jT3_P12ihipStream_tbPNSt15iterator_traitsISE_E10value_typeEPNSK_ISF_E10value_typeEPSG_NS1_7vsmem_tEENKUlT_SE_SF_SG_E_clIS8_S8_S9_S9_EESD_ST_SE_SF_SG_EUlST_E0_NS1_11comp_targetILNS1_3genE3ELNS1_11target_archE908ELNS1_3gpuE7ELNS1_3repE0EEENS1_38merge_mergepath_config_static_selectorELNS0_4arch9wavefront6targetE0EEEvSF_,@function
_ZN7rocprim17ROCPRIM_400000_NS6detail17trampoline_kernelINS0_14default_configENS1_38merge_sort_block_merge_config_selectorIiNS0_10empty_typeEEEZZNS1_27merge_sort_block_merge_implIS3_PiPS5_jNS1_19radix_merge_compareILb0ELb1EiNS0_19identity_decomposerEEEEE10hipError_tT0_T1_T2_jT3_P12ihipStream_tbPNSt15iterator_traitsISE_E10value_typeEPNSK_ISF_E10value_typeEPSG_NS1_7vsmem_tEENKUlT_SE_SF_SG_E_clIS8_S8_S9_S9_EESD_ST_SE_SF_SG_EUlST_E0_NS1_11comp_targetILNS1_3genE3ELNS1_11target_archE908ELNS1_3gpuE7ELNS1_3repE0EEENS1_38merge_mergepath_config_static_selectorELNS0_4arch9wavefront6targetE0EEEvSF_: ; @_ZN7rocprim17ROCPRIM_400000_NS6detail17trampoline_kernelINS0_14default_configENS1_38merge_sort_block_merge_config_selectorIiNS0_10empty_typeEEEZZNS1_27merge_sort_block_merge_implIS3_PiPS5_jNS1_19radix_merge_compareILb0ELb1EiNS0_19identity_decomposerEEEEE10hipError_tT0_T1_T2_jT3_P12ihipStream_tbPNSt15iterator_traitsISE_E10value_typeEPNSK_ISF_E10value_typeEPSG_NS1_7vsmem_tEENKUlT_SE_SF_SG_E_clIS8_S8_S9_S9_EESD_ST_SE_SF_SG_EUlST_E0_NS1_11comp_targetILNS1_3genE3ELNS1_11target_archE908ELNS1_3gpuE7ELNS1_3repE0EEENS1_38merge_mergepath_config_static_selectorELNS0_4arch9wavefront6targetE0EEEvSF_
; %bb.0:
	.section	.rodata,"a",@progbits
	.p2align	6, 0x0
	.amdhsa_kernel _ZN7rocprim17ROCPRIM_400000_NS6detail17trampoline_kernelINS0_14default_configENS1_38merge_sort_block_merge_config_selectorIiNS0_10empty_typeEEEZZNS1_27merge_sort_block_merge_implIS3_PiPS5_jNS1_19radix_merge_compareILb0ELb1EiNS0_19identity_decomposerEEEEE10hipError_tT0_T1_T2_jT3_P12ihipStream_tbPNSt15iterator_traitsISE_E10value_typeEPNSK_ISF_E10value_typeEPSG_NS1_7vsmem_tEENKUlT_SE_SF_SG_E_clIS8_S8_S9_S9_EESD_ST_SE_SF_SG_EUlST_E0_NS1_11comp_targetILNS1_3genE3ELNS1_11target_archE908ELNS1_3gpuE7ELNS1_3repE0EEENS1_38merge_mergepath_config_static_selectorELNS0_4arch9wavefront6targetE0EEEvSF_
		.amdhsa_group_segment_fixed_size 0
		.amdhsa_private_segment_fixed_size 0
		.amdhsa_kernarg_size 64
		.amdhsa_user_sgpr_count 2
		.amdhsa_user_sgpr_dispatch_ptr 0
		.amdhsa_user_sgpr_queue_ptr 0
		.amdhsa_user_sgpr_kernarg_segment_ptr 1
		.amdhsa_user_sgpr_dispatch_id 0
		.amdhsa_user_sgpr_kernarg_preload_length 0
		.amdhsa_user_sgpr_kernarg_preload_offset 0
		.amdhsa_user_sgpr_private_segment_size 0
		.amdhsa_wavefront_size32 1
		.amdhsa_uses_dynamic_stack 0
		.amdhsa_enable_private_segment 0
		.amdhsa_system_sgpr_workgroup_id_x 1
		.amdhsa_system_sgpr_workgroup_id_y 0
		.amdhsa_system_sgpr_workgroup_id_z 0
		.amdhsa_system_sgpr_workgroup_info 0
		.amdhsa_system_vgpr_workitem_id 0
		.amdhsa_next_free_vgpr 1
		.amdhsa_next_free_sgpr 1
		.amdhsa_named_barrier_count 0
		.amdhsa_reserve_vcc 0
		.amdhsa_float_round_mode_32 0
		.amdhsa_float_round_mode_16_64 0
		.amdhsa_float_denorm_mode_32 3
		.amdhsa_float_denorm_mode_16_64 3
		.amdhsa_fp16_overflow 0
		.amdhsa_memory_ordered 1
		.amdhsa_forward_progress 1
		.amdhsa_inst_pref_size 0
		.amdhsa_round_robin_scheduling 0
		.amdhsa_exception_fp_ieee_invalid_op 0
		.amdhsa_exception_fp_denorm_src 0
		.amdhsa_exception_fp_ieee_div_zero 0
		.amdhsa_exception_fp_ieee_overflow 0
		.amdhsa_exception_fp_ieee_underflow 0
		.amdhsa_exception_fp_ieee_inexact 0
		.amdhsa_exception_int_div_zero 0
	.end_amdhsa_kernel
	.section	.text._ZN7rocprim17ROCPRIM_400000_NS6detail17trampoline_kernelINS0_14default_configENS1_38merge_sort_block_merge_config_selectorIiNS0_10empty_typeEEEZZNS1_27merge_sort_block_merge_implIS3_PiPS5_jNS1_19radix_merge_compareILb0ELb1EiNS0_19identity_decomposerEEEEE10hipError_tT0_T1_T2_jT3_P12ihipStream_tbPNSt15iterator_traitsISE_E10value_typeEPNSK_ISF_E10value_typeEPSG_NS1_7vsmem_tEENKUlT_SE_SF_SG_E_clIS8_S8_S9_S9_EESD_ST_SE_SF_SG_EUlST_E0_NS1_11comp_targetILNS1_3genE3ELNS1_11target_archE908ELNS1_3gpuE7ELNS1_3repE0EEENS1_38merge_mergepath_config_static_selectorELNS0_4arch9wavefront6targetE0EEEvSF_,"axG",@progbits,_ZN7rocprim17ROCPRIM_400000_NS6detail17trampoline_kernelINS0_14default_configENS1_38merge_sort_block_merge_config_selectorIiNS0_10empty_typeEEEZZNS1_27merge_sort_block_merge_implIS3_PiPS5_jNS1_19radix_merge_compareILb0ELb1EiNS0_19identity_decomposerEEEEE10hipError_tT0_T1_T2_jT3_P12ihipStream_tbPNSt15iterator_traitsISE_E10value_typeEPNSK_ISF_E10value_typeEPSG_NS1_7vsmem_tEENKUlT_SE_SF_SG_E_clIS8_S8_S9_S9_EESD_ST_SE_SF_SG_EUlST_E0_NS1_11comp_targetILNS1_3genE3ELNS1_11target_archE908ELNS1_3gpuE7ELNS1_3repE0EEENS1_38merge_mergepath_config_static_selectorELNS0_4arch9wavefront6targetE0EEEvSF_,comdat
.Lfunc_end930:
	.size	_ZN7rocprim17ROCPRIM_400000_NS6detail17trampoline_kernelINS0_14default_configENS1_38merge_sort_block_merge_config_selectorIiNS0_10empty_typeEEEZZNS1_27merge_sort_block_merge_implIS3_PiPS5_jNS1_19radix_merge_compareILb0ELb1EiNS0_19identity_decomposerEEEEE10hipError_tT0_T1_T2_jT3_P12ihipStream_tbPNSt15iterator_traitsISE_E10value_typeEPNSK_ISF_E10value_typeEPSG_NS1_7vsmem_tEENKUlT_SE_SF_SG_E_clIS8_S8_S9_S9_EESD_ST_SE_SF_SG_EUlST_E0_NS1_11comp_targetILNS1_3genE3ELNS1_11target_archE908ELNS1_3gpuE7ELNS1_3repE0EEENS1_38merge_mergepath_config_static_selectorELNS0_4arch9wavefront6targetE0EEEvSF_, .Lfunc_end930-_ZN7rocprim17ROCPRIM_400000_NS6detail17trampoline_kernelINS0_14default_configENS1_38merge_sort_block_merge_config_selectorIiNS0_10empty_typeEEEZZNS1_27merge_sort_block_merge_implIS3_PiPS5_jNS1_19radix_merge_compareILb0ELb1EiNS0_19identity_decomposerEEEEE10hipError_tT0_T1_T2_jT3_P12ihipStream_tbPNSt15iterator_traitsISE_E10value_typeEPNSK_ISF_E10value_typeEPSG_NS1_7vsmem_tEENKUlT_SE_SF_SG_E_clIS8_S8_S9_S9_EESD_ST_SE_SF_SG_EUlST_E0_NS1_11comp_targetILNS1_3genE3ELNS1_11target_archE908ELNS1_3gpuE7ELNS1_3repE0EEENS1_38merge_mergepath_config_static_selectorELNS0_4arch9wavefront6targetE0EEEvSF_
                                        ; -- End function
	.set _ZN7rocprim17ROCPRIM_400000_NS6detail17trampoline_kernelINS0_14default_configENS1_38merge_sort_block_merge_config_selectorIiNS0_10empty_typeEEEZZNS1_27merge_sort_block_merge_implIS3_PiPS5_jNS1_19radix_merge_compareILb0ELb1EiNS0_19identity_decomposerEEEEE10hipError_tT0_T1_T2_jT3_P12ihipStream_tbPNSt15iterator_traitsISE_E10value_typeEPNSK_ISF_E10value_typeEPSG_NS1_7vsmem_tEENKUlT_SE_SF_SG_E_clIS8_S8_S9_S9_EESD_ST_SE_SF_SG_EUlST_E0_NS1_11comp_targetILNS1_3genE3ELNS1_11target_archE908ELNS1_3gpuE7ELNS1_3repE0EEENS1_38merge_mergepath_config_static_selectorELNS0_4arch9wavefront6targetE0EEEvSF_.num_vgpr, 0
	.set _ZN7rocprim17ROCPRIM_400000_NS6detail17trampoline_kernelINS0_14default_configENS1_38merge_sort_block_merge_config_selectorIiNS0_10empty_typeEEEZZNS1_27merge_sort_block_merge_implIS3_PiPS5_jNS1_19radix_merge_compareILb0ELb1EiNS0_19identity_decomposerEEEEE10hipError_tT0_T1_T2_jT3_P12ihipStream_tbPNSt15iterator_traitsISE_E10value_typeEPNSK_ISF_E10value_typeEPSG_NS1_7vsmem_tEENKUlT_SE_SF_SG_E_clIS8_S8_S9_S9_EESD_ST_SE_SF_SG_EUlST_E0_NS1_11comp_targetILNS1_3genE3ELNS1_11target_archE908ELNS1_3gpuE7ELNS1_3repE0EEENS1_38merge_mergepath_config_static_selectorELNS0_4arch9wavefront6targetE0EEEvSF_.num_agpr, 0
	.set _ZN7rocprim17ROCPRIM_400000_NS6detail17trampoline_kernelINS0_14default_configENS1_38merge_sort_block_merge_config_selectorIiNS0_10empty_typeEEEZZNS1_27merge_sort_block_merge_implIS3_PiPS5_jNS1_19radix_merge_compareILb0ELb1EiNS0_19identity_decomposerEEEEE10hipError_tT0_T1_T2_jT3_P12ihipStream_tbPNSt15iterator_traitsISE_E10value_typeEPNSK_ISF_E10value_typeEPSG_NS1_7vsmem_tEENKUlT_SE_SF_SG_E_clIS8_S8_S9_S9_EESD_ST_SE_SF_SG_EUlST_E0_NS1_11comp_targetILNS1_3genE3ELNS1_11target_archE908ELNS1_3gpuE7ELNS1_3repE0EEENS1_38merge_mergepath_config_static_selectorELNS0_4arch9wavefront6targetE0EEEvSF_.numbered_sgpr, 0
	.set _ZN7rocprim17ROCPRIM_400000_NS6detail17trampoline_kernelINS0_14default_configENS1_38merge_sort_block_merge_config_selectorIiNS0_10empty_typeEEEZZNS1_27merge_sort_block_merge_implIS3_PiPS5_jNS1_19radix_merge_compareILb0ELb1EiNS0_19identity_decomposerEEEEE10hipError_tT0_T1_T2_jT3_P12ihipStream_tbPNSt15iterator_traitsISE_E10value_typeEPNSK_ISF_E10value_typeEPSG_NS1_7vsmem_tEENKUlT_SE_SF_SG_E_clIS8_S8_S9_S9_EESD_ST_SE_SF_SG_EUlST_E0_NS1_11comp_targetILNS1_3genE3ELNS1_11target_archE908ELNS1_3gpuE7ELNS1_3repE0EEENS1_38merge_mergepath_config_static_selectorELNS0_4arch9wavefront6targetE0EEEvSF_.num_named_barrier, 0
	.set _ZN7rocprim17ROCPRIM_400000_NS6detail17trampoline_kernelINS0_14default_configENS1_38merge_sort_block_merge_config_selectorIiNS0_10empty_typeEEEZZNS1_27merge_sort_block_merge_implIS3_PiPS5_jNS1_19radix_merge_compareILb0ELb1EiNS0_19identity_decomposerEEEEE10hipError_tT0_T1_T2_jT3_P12ihipStream_tbPNSt15iterator_traitsISE_E10value_typeEPNSK_ISF_E10value_typeEPSG_NS1_7vsmem_tEENKUlT_SE_SF_SG_E_clIS8_S8_S9_S9_EESD_ST_SE_SF_SG_EUlST_E0_NS1_11comp_targetILNS1_3genE3ELNS1_11target_archE908ELNS1_3gpuE7ELNS1_3repE0EEENS1_38merge_mergepath_config_static_selectorELNS0_4arch9wavefront6targetE0EEEvSF_.private_seg_size, 0
	.set _ZN7rocprim17ROCPRIM_400000_NS6detail17trampoline_kernelINS0_14default_configENS1_38merge_sort_block_merge_config_selectorIiNS0_10empty_typeEEEZZNS1_27merge_sort_block_merge_implIS3_PiPS5_jNS1_19radix_merge_compareILb0ELb1EiNS0_19identity_decomposerEEEEE10hipError_tT0_T1_T2_jT3_P12ihipStream_tbPNSt15iterator_traitsISE_E10value_typeEPNSK_ISF_E10value_typeEPSG_NS1_7vsmem_tEENKUlT_SE_SF_SG_E_clIS8_S8_S9_S9_EESD_ST_SE_SF_SG_EUlST_E0_NS1_11comp_targetILNS1_3genE3ELNS1_11target_archE908ELNS1_3gpuE7ELNS1_3repE0EEENS1_38merge_mergepath_config_static_selectorELNS0_4arch9wavefront6targetE0EEEvSF_.uses_vcc, 0
	.set _ZN7rocprim17ROCPRIM_400000_NS6detail17trampoline_kernelINS0_14default_configENS1_38merge_sort_block_merge_config_selectorIiNS0_10empty_typeEEEZZNS1_27merge_sort_block_merge_implIS3_PiPS5_jNS1_19radix_merge_compareILb0ELb1EiNS0_19identity_decomposerEEEEE10hipError_tT0_T1_T2_jT3_P12ihipStream_tbPNSt15iterator_traitsISE_E10value_typeEPNSK_ISF_E10value_typeEPSG_NS1_7vsmem_tEENKUlT_SE_SF_SG_E_clIS8_S8_S9_S9_EESD_ST_SE_SF_SG_EUlST_E0_NS1_11comp_targetILNS1_3genE3ELNS1_11target_archE908ELNS1_3gpuE7ELNS1_3repE0EEENS1_38merge_mergepath_config_static_selectorELNS0_4arch9wavefront6targetE0EEEvSF_.uses_flat_scratch, 0
	.set _ZN7rocprim17ROCPRIM_400000_NS6detail17trampoline_kernelINS0_14default_configENS1_38merge_sort_block_merge_config_selectorIiNS0_10empty_typeEEEZZNS1_27merge_sort_block_merge_implIS3_PiPS5_jNS1_19radix_merge_compareILb0ELb1EiNS0_19identity_decomposerEEEEE10hipError_tT0_T1_T2_jT3_P12ihipStream_tbPNSt15iterator_traitsISE_E10value_typeEPNSK_ISF_E10value_typeEPSG_NS1_7vsmem_tEENKUlT_SE_SF_SG_E_clIS8_S8_S9_S9_EESD_ST_SE_SF_SG_EUlST_E0_NS1_11comp_targetILNS1_3genE3ELNS1_11target_archE908ELNS1_3gpuE7ELNS1_3repE0EEENS1_38merge_mergepath_config_static_selectorELNS0_4arch9wavefront6targetE0EEEvSF_.has_dyn_sized_stack, 0
	.set _ZN7rocprim17ROCPRIM_400000_NS6detail17trampoline_kernelINS0_14default_configENS1_38merge_sort_block_merge_config_selectorIiNS0_10empty_typeEEEZZNS1_27merge_sort_block_merge_implIS3_PiPS5_jNS1_19radix_merge_compareILb0ELb1EiNS0_19identity_decomposerEEEEE10hipError_tT0_T1_T2_jT3_P12ihipStream_tbPNSt15iterator_traitsISE_E10value_typeEPNSK_ISF_E10value_typeEPSG_NS1_7vsmem_tEENKUlT_SE_SF_SG_E_clIS8_S8_S9_S9_EESD_ST_SE_SF_SG_EUlST_E0_NS1_11comp_targetILNS1_3genE3ELNS1_11target_archE908ELNS1_3gpuE7ELNS1_3repE0EEENS1_38merge_mergepath_config_static_selectorELNS0_4arch9wavefront6targetE0EEEvSF_.has_recursion, 0
	.set _ZN7rocprim17ROCPRIM_400000_NS6detail17trampoline_kernelINS0_14default_configENS1_38merge_sort_block_merge_config_selectorIiNS0_10empty_typeEEEZZNS1_27merge_sort_block_merge_implIS3_PiPS5_jNS1_19radix_merge_compareILb0ELb1EiNS0_19identity_decomposerEEEEE10hipError_tT0_T1_T2_jT3_P12ihipStream_tbPNSt15iterator_traitsISE_E10value_typeEPNSK_ISF_E10value_typeEPSG_NS1_7vsmem_tEENKUlT_SE_SF_SG_E_clIS8_S8_S9_S9_EESD_ST_SE_SF_SG_EUlST_E0_NS1_11comp_targetILNS1_3genE3ELNS1_11target_archE908ELNS1_3gpuE7ELNS1_3repE0EEENS1_38merge_mergepath_config_static_selectorELNS0_4arch9wavefront6targetE0EEEvSF_.has_indirect_call, 0
	.section	.AMDGPU.csdata,"",@progbits
; Kernel info:
; codeLenInByte = 0
; TotalNumSgprs: 0
; NumVgprs: 0
; ScratchSize: 0
; MemoryBound: 0
; FloatMode: 240
; IeeeMode: 1
; LDSByteSize: 0 bytes/workgroup (compile time only)
; SGPRBlocks: 0
; VGPRBlocks: 0
; NumSGPRsForWavesPerEU: 1
; NumVGPRsForWavesPerEU: 1
; NamedBarCnt: 0
; Occupancy: 16
; WaveLimiterHint : 0
; COMPUTE_PGM_RSRC2:SCRATCH_EN: 0
; COMPUTE_PGM_RSRC2:USER_SGPR: 2
; COMPUTE_PGM_RSRC2:TRAP_HANDLER: 0
; COMPUTE_PGM_RSRC2:TGID_X_EN: 1
; COMPUTE_PGM_RSRC2:TGID_Y_EN: 0
; COMPUTE_PGM_RSRC2:TGID_Z_EN: 0
; COMPUTE_PGM_RSRC2:TIDIG_COMP_CNT: 0
	.section	.text._ZN7rocprim17ROCPRIM_400000_NS6detail17trampoline_kernelINS0_14default_configENS1_38merge_sort_block_merge_config_selectorIiNS0_10empty_typeEEEZZNS1_27merge_sort_block_merge_implIS3_PiPS5_jNS1_19radix_merge_compareILb0ELb1EiNS0_19identity_decomposerEEEEE10hipError_tT0_T1_T2_jT3_P12ihipStream_tbPNSt15iterator_traitsISE_E10value_typeEPNSK_ISF_E10value_typeEPSG_NS1_7vsmem_tEENKUlT_SE_SF_SG_E_clIS8_S8_S9_S9_EESD_ST_SE_SF_SG_EUlST_E0_NS1_11comp_targetILNS1_3genE2ELNS1_11target_archE906ELNS1_3gpuE6ELNS1_3repE0EEENS1_38merge_mergepath_config_static_selectorELNS0_4arch9wavefront6targetE0EEEvSF_,"axG",@progbits,_ZN7rocprim17ROCPRIM_400000_NS6detail17trampoline_kernelINS0_14default_configENS1_38merge_sort_block_merge_config_selectorIiNS0_10empty_typeEEEZZNS1_27merge_sort_block_merge_implIS3_PiPS5_jNS1_19radix_merge_compareILb0ELb1EiNS0_19identity_decomposerEEEEE10hipError_tT0_T1_T2_jT3_P12ihipStream_tbPNSt15iterator_traitsISE_E10value_typeEPNSK_ISF_E10value_typeEPSG_NS1_7vsmem_tEENKUlT_SE_SF_SG_E_clIS8_S8_S9_S9_EESD_ST_SE_SF_SG_EUlST_E0_NS1_11comp_targetILNS1_3genE2ELNS1_11target_archE906ELNS1_3gpuE6ELNS1_3repE0EEENS1_38merge_mergepath_config_static_selectorELNS0_4arch9wavefront6targetE0EEEvSF_,comdat
	.protected	_ZN7rocprim17ROCPRIM_400000_NS6detail17trampoline_kernelINS0_14default_configENS1_38merge_sort_block_merge_config_selectorIiNS0_10empty_typeEEEZZNS1_27merge_sort_block_merge_implIS3_PiPS5_jNS1_19radix_merge_compareILb0ELb1EiNS0_19identity_decomposerEEEEE10hipError_tT0_T1_T2_jT3_P12ihipStream_tbPNSt15iterator_traitsISE_E10value_typeEPNSK_ISF_E10value_typeEPSG_NS1_7vsmem_tEENKUlT_SE_SF_SG_E_clIS8_S8_S9_S9_EESD_ST_SE_SF_SG_EUlST_E0_NS1_11comp_targetILNS1_3genE2ELNS1_11target_archE906ELNS1_3gpuE6ELNS1_3repE0EEENS1_38merge_mergepath_config_static_selectorELNS0_4arch9wavefront6targetE0EEEvSF_ ; -- Begin function _ZN7rocprim17ROCPRIM_400000_NS6detail17trampoline_kernelINS0_14default_configENS1_38merge_sort_block_merge_config_selectorIiNS0_10empty_typeEEEZZNS1_27merge_sort_block_merge_implIS3_PiPS5_jNS1_19radix_merge_compareILb0ELb1EiNS0_19identity_decomposerEEEEE10hipError_tT0_T1_T2_jT3_P12ihipStream_tbPNSt15iterator_traitsISE_E10value_typeEPNSK_ISF_E10value_typeEPSG_NS1_7vsmem_tEENKUlT_SE_SF_SG_E_clIS8_S8_S9_S9_EESD_ST_SE_SF_SG_EUlST_E0_NS1_11comp_targetILNS1_3genE2ELNS1_11target_archE906ELNS1_3gpuE6ELNS1_3repE0EEENS1_38merge_mergepath_config_static_selectorELNS0_4arch9wavefront6targetE0EEEvSF_
	.globl	_ZN7rocprim17ROCPRIM_400000_NS6detail17trampoline_kernelINS0_14default_configENS1_38merge_sort_block_merge_config_selectorIiNS0_10empty_typeEEEZZNS1_27merge_sort_block_merge_implIS3_PiPS5_jNS1_19radix_merge_compareILb0ELb1EiNS0_19identity_decomposerEEEEE10hipError_tT0_T1_T2_jT3_P12ihipStream_tbPNSt15iterator_traitsISE_E10value_typeEPNSK_ISF_E10value_typeEPSG_NS1_7vsmem_tEENKUlT_SE_SF_SG_E_clIS8_S8_S9_S9_EESD_ST_SE_SF_SG_EUlST_E0_NS1_11comp_targetILNS1_3genE2ELNS1_11target_archE906ELNS1_3gpuE6ELNS1_3repE0EEENS1_38merge_mergepath_config_static_selectorELNS0_4arch9wavefront6targetE0EEEvSF_
	.p2align	8
	.type	_ZN7rocprim17ROCPRIM_400000_NS6detail17trampoline_kernelINS0_14default_configENS1_38merge_sort_block_merge_config_selectorIiNS0_10empty_typeEEEZZNS1_27merge_sort_block_merge_implIS3_PiPS5_jNS1_19radix_merge_compareILb0ELb1EiNS0_19identity_decomposerEEEEE10hipError_tT0_T1_T2_jT3_P12ihipStream_tbPNSt15iterator_traitsISE_E10value_typeEPNSK_ISF_E10value_typeEPSG_NS1_7vsmem_tEENKUlT_SE_SF_SG_E_clIS8_S8_S9_S9_EESD_ST_SE_SF_SG_EUlST_E0_NS1_11comp_targetILNS1_3genE2ELNS1_11target_archE906ELNS1_3gpuE6ELNS1_3repE0EEENS1_38merge_mergepath_config_static_selectorELNS0_4arch9wavefront6targetE0EEEvSF_,@function
_ZN7rocprim17ROCPRIM_400000_NS6detail17trampoline_kernelINS0_14default_configENS1_38merge_sort_block_merge_config_selectorIiNS0_10empty_typeEEEZZNS1_27merge_sort_block_merge_implIS3_PiPS5_jNS1_19radix_merge_compareILb0ELb1EiNS0_19identity_decomposerEEEEE10hipError_tT0_T1_T2_jT3_P12ihipStream_tbPNSt15iterator_traitsISE_E10value_typeEPNSK_ISF_E10value_typeEPSG_NS1_7vsmem_tEENKUlT_SE_SF_SG_E_clIS8_S8_S9_S9_EESD_ST_SE_SF_SG_EUlST_E0_NS1_11comp_targetILNS1_3genE2ELNS1_11target_archE906ELNS1_3gpuE6ELNS1_3repE0EEENS1_38merge_mergepath_config_static_selectorELNS0_4arch9wavefront6targetE0EEEvSF_: ; @_ZN7rocprim17ROCPRIM_400000_NS6detail17trampoline_kernelINS0_14default_configENS1_38merge_sort_block_merge_config_selectorIiNS0_10empty_typeEEEZZNS1_27merge_sort_block_merge_implIS3_PiPS5_jNS1_19radix_merge_compareILb0ELb1EiNS0_19identity_decomposerEEEEE10hipError_tT0_T1_T2_jT3_P12ihipStream_tbPNSt15iterator_traitsISE_E10value_typeEPNSK_ISF_E10value_typeEPSG_NS1_7vsmem_tEENKUlT_SE_SF_SG_E_clIS8_S8_S9_S9_EESD_ST_SE_SF_SG_EUlST_E0_NS1_11comp_targetILNS1_3genE2ELNS1_11target_archE906ELNS1_3gpuE6ELNS1_3repE0EEENS1_38merge_mergepath_config_static_selectorELNS0_4arch9wavefront6targetE0EEEvSF_
; %bb.0:
	.section	.rodata,"a",@progbits
	.p2align	6, 0x0
	.amdhsa_kernel _ZN7rocprim17ROCPRIM_400000_NS6detail17trampoline_kernelINS0_14default_configENS1_38merge_sort_block_merge_config_selectorIiNS0_10empty_typeEEEZZNS1_27merge_sort_block_merge_implIS3_PiPS5_jNS1_19radix_merge_compareILb0ELb1EiNS0_19identity_decomposerEEEEE10hipError_tT0_T1_T2_jT3_P12ihipStream_tbPNSt15iterator_traitsISE_E10value_typeEPNSK_ISF_E10value_typeEPSG_NS1_7vsmem_tEENKUlT_SE_SF_SG_E_clIS8_S8_S9_S9_EESD_ST_SE_SF_SG_EUlST_E0_NS1_11comp_targetILNS1_3genE2ELNS1_11target_archE906ELNS1_3gpuE6ELNS1_3repE0EEENS1_38merge_mergepath_config_static_selectorELNS0_4arch9wavefront6targetE0EEEvSF_
		.amdhsa_group_segment_fixed_size 0
		.amdhsa_private_segment_fixed_size 0
		.amdhsa_kernarg_size 64
		.amdhsa_user_sgpr_count 2
		.amdhsa_user_sgpr_dispatch_ptr 0
		.amdhsa_user_sgpr_queue_ptr 0
		.amdhsa_user_sgpr_kernarg_segment_ptr 1
		.amdhsa_user_sgpr_dispatch_id 0
		.amdhsa_user_sgpr_kernarg_preload_length 0
		.amdhsa_user_sgpr_kernarg_preload_offset 0
		.amdhsa_user_sgpr_private_segment_size 0
		.amdhsa_wavefront_size32 1
		.amdhsa_uses_dynamic_stack 0
		.amdhsa_enable_private_segment 0
		.amdhsa_system_sgpr_workgroup_id_x 1
		.amdhsa_system_sgpr_workgroup_id_y 0
		.amdhsa_system_sgpr_workgroup_id_z 0
		.amdhsa_system_sgpr_workgroup_info 0
		.amdhsa_system_vgpr_workitem_id 0
		.amdhsa_next_free_vgpr 1
		.amdhsa_next_free_sgpr 1
		.amdhsa_named_barrier_count 0
		.amdhsa_reserve_vcc 0
		.amdhsa_float_round_mode_32 0
		.amdhsa_float_round_mode_16_64 0
		.amdhsa_float_denorm_mode_32 3
		.amdhsa_float_denorm_mode_16_64 3
		.amdhsa_fp16_overflow 0
		.amdhsa_memory_ordered 1
		.amdhsa_forward_progress 1
		.amdhsa_inst_pref_size 0
		.amdhsa_round_robin_scheduling 0
		.amdhsa_exception_fp_ieee_invalid_op 0
		.amdhsa_exception_fp_denorm_src 0
		.amdhsa_exception_fp_ieee_div_zero 0
		.amdhsa_exception_fp_ieee_overflow 0
		.amdhsa_exception_fp_ieee_underflow 0
		.amdhsa_exception_fp_ieee_inexact 0
		.amdhsa_exception_int_div_zero 0
	.end_amdhsa_kernel
	.section	.text._ZN7rocprim17ROCPRIM_400000_NS6detail17trampoline_kernelINS0_14default_configENS1_38merge_sort_block_merge_config_selectorIiNS0_10empty_typeEEEZZNS1_27merge_sort_block_merge_implIS3_PiPS5_jNS1_19radix_merge_compareILb0ELb1EiNS0_19identity_decomposerEEEEE10hipError_tT0_T1_T2_jT3_P12ihipStream_tbPNSt15iterator_traitsISE_E10value_typeEPNSK_ISF_E10value_typeEPSG_NS1_7vsmem_tEENKUlT_SE_SF_SG_E_clIS8_S8_S9_S9_EESD_ST_SE_SF_SG_EUlST_E0_NS1_11comp_targetILNS1_3genE2ELNS1_11target_archE906ELNS1_3gpuE6ELNS1_3repE0EEENS1_38merge_mergepath_config_static_selectorELNS0_4arch9wavefront6targetE0EEEvSF_,"axG",@progbits,_ZN7rocprim17ROCPRIM_400000_NS6detail17trampoline_kernelINS0_14default_configENS1_38merge_sort_block_merge_config_selectorIiNS0_10empty_typeEEEZZNS1_27merge_sort_block_merge_implIS3_PiPS5_jNS1_19radix_merge_compareILb0ELb1EiNS0_19identity_decomposerEEEEE10hipError_tT0_T1_T2_jT3_P12ihipStream_tbPNSt15iterator_traitsISE_E10value_typeEPNSK_ISF_E10value_typeEPSG_NS1_7vsmem_tEENKUlT_SE_SF_SG_E_clIS8_S8_S9_S9_EESD_ST_SE_SF_SG_EUlST_E0_NS1_11comp_targetILNS1_3genE2ELNS1_11target_archE906ELNS1_3gpuE6ELNS1_3repE0EEENS1_38merge_mergepath_config_static_selectorELNS0_4arch9wavefront6targetE0EEEvSF_,comdat
.Lfunc_end931:
	.size	_ZN7rocprim17ROCPRIM_400000_NS6detail17trampoline_kernelINS0_14default_configENS1_38merge_sort_block_merge_config_selectorIiNS0_10empty_typeEEEZZNS1_27merge_sort_block_merge_implIS3_PiPS5_jNS1_19radix_merge_compareILb0ELb1EiNS0_19identity_decomposerEEEEE10hipError_tT0_T1_T2_jT3_P12ihipStream_tbPNSt15iterator_traitsISE_E10value_typeEPNSK_ISF_E10value_typeEPSG_NS1_7vsmem_tEENKUlT_SE_SF_SG_E_clIS8_S8_S9_S9_EESD_ST_SE_SF_SG_EUlST_E0_NS1_11comp_targetILNS1_3genE2ELNS1_11target_archE906ELNS1_3gpuE6ELNS1_3repE0EEENS1_38merge_mergepath_config_static_selectorELNS0_4arch9wavefront6targetE0EEEvSF_, .Lfunc_end931-_ZN7rocprim17ROCPRIM_400000_NS6detail17trampoline_kernelINS0_14default_configENS1_38merge_sort_block_merge_config_selectorIiNS0_10empty_typeEEEZZNS1_27merge_sort_block_merge_implIS3_PiPS5_jNS1_19radix_merge_compareILb0ELb1EiNS0_19identity_decomposerEEEEE10hipError_tT0_T1_T2_jT3_P12ihipStream_tbPNSt15iterator_traitsISE_E10value_typeEPNSK_ISF_E10value_typeEPSG_NS1_7vsmem_tEENKUlT_SE_SF_SG_E_clIS8_S8_S9_S9_EESD_ST_SE_SF_SG_EUlST_E0_NS1_11comp_targetILNS1_3genE2ELNS1_11target_archE906ELNS1_3gpuE6ELNS1_3repE0EEENS1_38merge_mergepath_config_static_selectorELNS0_4arch9wavefront6targetE0EEEvSF_
                                        ; -- End function
	.set _ZN7rocprim17ROCPRIM_400000_NS6detail17trampoline_kernelINS0_14default_configENS1_38merge_sort_block_merge_config_selectorIiNS0_10empty_typeEEEZZNS1_27merge_sort_block_merge_implIS3_PiPS5_jNS1_19radix_merge_compareILb0ELb1EiNS0_19identity_decomposerEEEEE10hipError_tT0_T1_T2_jT3_P12ihipStream_tbPNSt15iterator_traitsISE_E10value_typeEPNSK_ISF_E10value_typeEPSG_NS1_7vsmem_tEENKUlT_SE_SF_SG_E_clIS8_S8_S9_S9_EESD_ST_SE_SF_SG_EUlST_E0_NS1_11comp_targetILNS1_3genE2ELNS1_11target_archE906ELNS1_3gpuE6ELNS1_3repE0EEENS1_38merge_mergepath_config_static_selectorELNS0_4arch9wavefront6targetE0EEEvSF_.num_vgpr, 0
	.set _ZN7rocprim17ROCPRIM_400000_NS6detail17trampoline_kernelINS0_14default_configENS1_38merge_sort_block_merge_config_selectorIiNS0_10empty_typeEEEZZNS1_27merge_sort_block_merge_implIS3_PiPS5_jNS1_19radix_merge_compareILb0ELb1EiNS0_19identity_decomposerEEEEE10hipError_tT0_T1_T2_jT3_P12ihipStream_tbPNSt15iterator_traitsISE_E10value_typeEPNSK_ISF_E10value_typeEPSG_NS1_7vsmem_tEENKUlT_SE_SF_SG_E_clIS8_S8_S9_S9_EESD_ST_SE_SF_SG_EUlST_E0_NS1_11comp_targetILNS1_3genE2ELNS1_11target_archE906ELNS1_3gpuE6ELNS1_3repE0EEENS1_38merge_mergepath_config_static_selectorELNS0_4arch9wavefront6targetE0EEEvSF_.num_agpr, 0
	.set _ZN7rocprim17ROCPRIM_400000_NS6detail17trampoline_kernelINS0_14default_configENS1_38merge_sort_block_merge_config_selectorIiNS0_10empty_typeEEEZZNS1_27merge_sort_block_merge_implIS3_PiPS5_jNS1_19radix_merge_compareILb0ELb1EiNS0_19identity_decomposerEEEEE10hipError_tT0_T1_T2_jT3_P12ihipStream_tbPNSt15iterator_traitsISE_E10value_typeEPNSK_ISF_E10value_typeEPSG_NS1_7vsmem_tEENKUlT_SE_SF_SG_E_clIS8_S8_S9_S9_EESD_ST_SE_SF_SG_EUlST_E0_NS1_11comp_targetILNS1_3genE2ELNS1_11target_archE906ELNS1_3gpuE6ELNS1_3repE0EEENS1_38merge_mergepath_config_static_selectorELNS0_4arch9wavefront6targetE0EEEvSF_.numbered_sgpr, 0
	.set _ZN7rocprim17ROCPRIM_400000_NS6detail17trampoline_kernelINS0_14default_configENS1_38merge_sort_block_merge_config_selectorIiNS0_10empty_typeEEEZZNS1_27merge_sort_block_merge_implIS3_PiPS5_jNS1_19radix_merge_compareILb0ELb1EiNS0_19identity_decomposerEEEEE10hipError_tT0_T1_T2_jT3_P12ihipStream_tbPNSt15iterator_traitsISE_E10value_typeEPNSK_ISF_E10value_typeEPSG_NS1_7vsmem_tEENKUlT_SE_SF_SG_E_clIS8_S8_S9_S9_EESD_ST_SE_SF_SG_EUlST_E0_NS1_11comp_targetILNS1_3genE2ELNS1_11target_archE906ELNS1_3gpuE6ELNS1_3repE0EEENS1_38merge_mergepath_config_static_selectorELNS0_4arch9wavefront6targetE0EEEvSF_.num_named_barrier, 0
	.set _ZN7rocprim17ROCPRIM_400000_NS6detail17trampoline_kernelINS0_14default_configENS1_38merge_sort_block_merge_config_selectorIiNS0_10empty_typeEEEZZNS1_27merge_sort_block_merge_implIS3_PiPS5_jNS1_19radix_merge_compareILb0ELb1EiNS0_19identity_decomposerEEEEE10hipError_tT0_T1_T2_jT3_P12ihipStream_tbPNSt15iterator_traitsISE_E10value_typeEPNSK_ISF_E10value_typeEPSG_NS1_7vsmem_tEENKUlT_SE_SF_SG_E_clIS8_S8_S9_S9_EESD_ST_SE_SF_SG_EUlST_E0_NS1_11comp_targetILNS1_3genE2ELNS1_11target_archE906ELNS1_3gpuE6ELNS1_3repE0EEENS1_38merge_mergepath_config_static_selectorELNS0_4arch9wavefront6targetE0EEEvSF_.private_seg_size, 0
	.set _ZN7rocprim17ROCPRIM_400000_NS6detail17trampoline_kernelINS0_14default_configENS1_38merge_sort_block_merge_config_selectorIiNS0_10empty_typeEEEZZNS1_27merge_sort_block_merge_implIS3_PiPS5_jNS1_19radix_merge_compareILb0ELb1EiNS0_19identity_decomposerEEEEE10hipError_tT0_T1_T2_jT3_P12ihipStream_tbPNSt15iterator_traitsISE_E10value_typeEPNSK_ISF_E10value_typeEPSG_NS1_7vsmem_tEENKUlT_SE_SF_SG_E_clIS8_S8_S9_S9_EESD_ST_SE_SF_SG_EUlST_E0_NS1_11comp_targetILNS1_3genE2ELNS1_11target_archE906ELNS1_3gpuE6ELNS1_3repE0EEENS1_38merge_mergepath_config_static_selectorELNS0_4arch9wavefront6targetE0EEEvSF_.uses_vcc, 0
	.set _ZN7rocprim17ROCPRIM_400000_NS6detail17trampoline_kernelINS0_14default_configENS1_38merge_sort_block_merge_config_selectorIiNS0_10empty_typeEEEZZNS1_27merge_sort_block_merge_implIS3_PiPS5_jNS1_19radix_merge_compareILb0ELb1EiNS0_19identity_decomposerEEEEE10hipError_tT0_T1_T2_jT3_P12ihipStream_tbPNSt15iterator_traitsISE_E10value_typeEPNSK_ISF_E10value_typeEPSG_NS1_7vsmem_tEENKUlT_SE_SF_SG_E_clIS8_S8_S9_S9_EESD_ST_SE_SF_SG_EUlST_E0_NS1_11comp_targetILNS1_3genE2ELNS1_11target_archE906ELNS1_3gpuE6ELNS1_3repE0EEENS1_38merge_mergepath_config_static_selectorELNS0_4arch9wavefront6targetE0EEEvSF_.uses_flat_scratch, 0
	.set _ZN7rocprim17ROCPRIM_400000_NS6detail17trampoline_kernelINS0_14default_configENS1_38merge_sort_block_merge_config_selectorIiNS0_10empty_typeEEEZZNS1_27merge_sort_block_merge_implIS3_PiPS5_jNS1_19radix_merge_compareILb0ELb1EiNS0_19identity_decomposerEEEEE10hipError_tT0_T1_T2_jT3_P12ihipStream_tbPNSt15iterator_traitsISE_E10value_typeEPNSK_ISF_E10value_typeEPSG_NS1_7vsmem_tEENKUlT_SE_SF_SG_E_clIS8_S8_S9_S9_EESD_ST_SE_SF_SG_EUlST_E0_NS1_11comp_targetILNS1_3genE2ELNS1_11target_archE906ELNS1_3gpuE6ELNS1_3repE0EEENS1_38merge_mergepath_config_static_selectorELNS0_4arch9wavefront6targetE0EEEvSF_.has_dyn_sized_stack, 0
	.set _ZN7rocprim17ROCPRIM_400000_NS6detail17trampoline_kernelINS0_14default_configENS1_38merge_sort_block_merge_config_selectorIiNS0_10empty_typeEEEZZNS1_27merge_sort_block_merge_implIS3_PiPS5_jNS1_19radix_merge_compareILb0ELb1EiNS0_19identity_decomposerEEEEE10hipError_tT0_T1_T2_jT3_P12ihipStream_tbPNSt15iterator_traitsISE_E10value_typeEPNSK_ISF_E10value_typeEPSG_NS1_7vsmem_tEENKUlT_SE_SF_SG_E_clIS8_S8_S9_S9_EESD_ST_SE_SF_SG_EUlST_E0_NS1_11comp_targetILNS1_3genE2ELNS1_11target_archE906ELNS1_3gpuE6ELNS1_3repE0EEENS1_38merge_mergepath_config_static_selectorELNS0_4arch9wavefront6targetE0EEEvSF_.has_recursion, 0
	.set _ZN7rocprim17ROCPRIM_400000_NS6detail17trampoline_kernelINS0_14default_configENS1_38merge_sort_block_merge_config_selectorIiNS0_10empty_typeEEEZZNS1_27merge_sort_block_merge_implIS3_PiPS5_jNS1_19radix_merge_compareILb0ELb1EiNS0_19identity_decomposerEEEEE10hipError_tT0_T1_T2_jT3_P12ihipStream_tbPNSt15iterator_traitsISE_E10value_typeEPNSK_ISF_E10value_typeEPSG_NS1_7vsmem_tEENKUlT_SE_SF_SG_E_clIS8_S8_S9_S9_EESD_ST_SE_SF_SG_EUlST_E0_NS1_11comp_targetILNS1_3genE2ELNS1_11target_archE906ELNS1_3gpuE6ELNS1_3repE0EEENS1_38merge_mergepath_config_static_selectorELNS0_4arch9wavefront6targetE0EEEvSF_.has_indirect_call, 0
	.section	.AMDGPU.csdata,"",@progbits
; Kernel info:
; codeLenInByte = 0
; TotalNumSgprs: 0
; NumVgprs: 0
; ScratchSize: 0
; MemoryBound: 0
; FloatMode: 240
; IeeeMode: 1
; LDSByteSize: 0 bytes/workgroup (compile time only)
; SGPRBlocks: 0
; VGPRBlocks: 0
; NumSGPRsForWavesPerEU: 1
; NumVGPRsForWavesPerEU: 1
; NamedBarCnt: 0
; Occupancy: 16
; WaveLimiterHint : 0
; COMPUTE_PGM_RSRC2:SCRATCH_EN: 0
; COMPUTE_PGM_RSRC2:USER_SGPR: 2
; COMPUTE_PGM_RSRC2:TRAP_HANDLER: 0
; COMPUTE_PGM_RSRC2:TGID_X_EN: 1
; COMPUTE_PGM_RSRC2:TGID_Y_EN: 0
; COMPUTE_PGM_RSRC2:TGID_Z_EN: 0
; COMPUTE_PGM_RSRC2:TIDIG_COMP_CNT: 0
	.section	.text._ZN7rocprim17ROCPRIM_400000_NS6detail17trampoline_kernelINS0_14default_configENS1_38merge_sort_block_merge_config_selectorIiNS0_10empty_typeEEEZZNS1_27merge_sort_block_merge_implIS3_PiPS5_jNS1_19radix_merge_compareILb0ELb1EiNS0_19identity_decomposerEEEEE10hipError_tT0_T1_T2_jT3_P12ihipStream_tbPNSt15iterator_traitsISE_E10value_typeEPNSK_ISF_E10value_typeEPSG_NS1_7vsmem_tEENKUlT_SE_SF_SG_E_clIS8_S8_S9_S9_EESD_ST_SE_SF_SG_EUlST_E0_NS1_11comp_targetILNS1_3genE9ELNS1_11target_archE1100ELNS1_3gpuE3ELNS1_3repE0EEENS1_38merge_mergepath_config_static_selectorELNS0_4arch9wavefront6targetE0EEEvSF_,"axG",@progbits,_ZN7rocprim17ROCPRIM_400000_NS6detail17trampoline_kernelINS0_14default_configENS1_38merge_sort_block_merge_config_selectorIiNS0_10empty_typeEEEZZNS1_27merge_sort_block_merge_implIS3_PiPS5_jNS1_19radix_merge_compareILb0ELb1EiNS0_19identity_decomposerEEEEE10hipError_tT0_T1_T2_jT3_P12ihipStream_tbPNSt15iterator_traitsISE_E10value_typeEPNSK_ISF_E10value_typeEPSG_NS1_7vsmem_tEENKUlT_SE_SF_SG_E_clIS8_S8_S9_S9_EESD_ST_SE_SF_SG_EUlST_E0_NS1_11comp_targetILNS1_3genE9ELNS1_11target_archE1100ELNS1_3gpuE3ELNS1_3repE0EEENS1_38merge_mergepath_config_static_selectorELNS0_4arch9wavefront6targetE0EEEvSF_,comdat
	.protected	_ZN7rocprim17ROCPRIM_400000_NS6detail17trampoline_kernelINS0_14default_configENS1_38merge_sort_block_merge_config_selectorIiNS0_10empty_typeEEEZZNS1_27merge_sort_block_merge_implIS3_PiPS5_jNS1_19radix_merge_compareILb0ELb1EiNS0_19identity_decomposerEEEEE10hipError_tT0_T1_T2_jT3_P12ihipStream_tbPNSt15iterator_traitsISE_E10value_typeEPNSK_ISF_E10value_typeEPSG_NS1_7vsmem_tEENKUlT_SE_SF_SG_E_clIS8_S8_S9_S9_EESD_ST_SE_SF_SG_EUlST_E0_NS1_11comp_targetILNS1_3genE9ELNS1_11target_archE1100ELNS1_3gpuE3ELNS1_3repE0EEENS1_38merge_mergepath_config_static_selectorELNS0_4arch9wavefront6targetE0EEEvSF_ ; -- Begin function _ZN7rocprim17ROCPRIM_400000_NS6detail17trampoline_kernelINS0_14default_configENS1_38merge_sort_block_merge_config_selectorIiNS0_10empty_typeEEEZZNS1_27merge_sort_block_merge_implIS3_PiPS5_jNS1_19radix_merge_compareILb0ELb1EiNS0_19identity_decomposerEEEEE10hipError_tT0_T1_T2_jT3_P12ihipStream_tbPNSt15iterator_traitsISE_E10value_typeEPNSK_ISF_E10value_typeEPSG_NS1_7vsmem_tEENKUlT_SE_SF_SG_E_clIS8_S8_S9_S9_EESD_ST_SE_SF_SG_EUlST_E0_NS1_11comp_targetILNS1_3genE9ELNS1_11target_archE1100ELNS1_3gpuE3ELNS1_3repE0EEENS1_38merge_mergepath_config_static_selectorELNS0_4arch9wavefront6targetE0EEEvSF_
	.globl	_ZN7rocprim17ROCPRIM_400000_NS6detail17trampoline_kernelINS0_14default_configENS1_38merge_sort_block_merge_config_selectorIiNS0_10empty_typeEEEZZNS1_27merge_sort_block_merge_implIS3_PiPS5_jNS1_19radix_merge_compareILb0ELb1EiNS0_19identity_decomposerEEEEE10hipError_tT0_T1_T2_jT3_P12ihipStream_tbPNSt15iterator_traitsISE_E10value_typeEPNSK_ISF_E10value_typeEPSG_NS1_7vsmem_tEENKUlT_SE_SF_SG_E_clIS8_S8_S9_S9_EESD_ST_SE_SF_SG_EUlST_E0_NS1_11comp_targetILNS1_3genE9ELNS1_11target_archE1100ELNS1_3gpuE3ELNS1_3repE0EEENS1_38merge_mergepath_config_static_selectorELNS0_4arch9wavefront6targetE0EEEvSF_
	.p2align	8
	.type	_ZN7rocprim17ROCPRIM_400000_NS6detail17trampoline_kernelINS0_14default_configENS1_38merge_sort_block_merge_config_selectorIiNS0_10empty_typeEEEZZNS1_27merge_sort_block_merge_implIS3_PiPS5_jNS1_19radix_merge_compareILb0ELb1EiNS0_19identity_decomposerEEEEE10hipError_tT0_T1_T2_jT3_P12ihipStream_tbPNSt15iterator_traitsISE_E10value_typeEPNSK_ISF_E10value_typeEPSG_NS1_7vsmem_tEENKUlT_SE_SF_SG_E_clIS8_S8_S9_S9_EESD_ST_SE_SF_SG_EUlST_E0_NS1_11comp_targetILNS1_3genE9ELNS1_11target_archE1100ELNS1_3gpuE3ELNS1_3repE0EEENS1_38merge_mergepath_config_static_selectorELNS0_4arch9wavefront6targetE0EEEvSF_,@function
_ZN7rocprim17ROCPRIM_400000_NS6detail17trampoline_kernelINS0_14default_configENS1_38merge_sort_block_merge_config_selectorIiNS0_10empty_typeEEEZZNS1_27merge_sort_block_merge_implIS3_PiPS5_jNS1_19radix_merge_compareILb0ELb1EiNS0_19identity_decomposerEEEEE10hipError_tT0_T1_T2_jT3_P12ihipStream_tbPNSt15iterator_traitsISE_E10value_typeEPNSK_ISF_E10value_typeEPSG_NS1_7vsmem_tEENKUlT_SE_SF_SG_E_clIS8_S8_S9_S9_EESD_ST_SE_SF_SG_EUlST_E0_NS1_11comp_targetILNS1_3genE9ELNS1_11target_archE1100ELNS1_3gpuE3ELNS1_3repE0EEENS1_38merge_mergepath_config_static_selectorELNS0_4arch9wavefront6targetE0EEEvSF_: ; @_ZN7rocprim17ROCPRIM_400000_NS6detail17trampoline_kernelINS0_14default_configENS1_38merge_sort_block_merge_config_selectorIiNS0_10empty_typeEEEZZNS1_27merge_sort_block_merge_implIS3_PiPS5_jNS1_19radix_merge_compareILb0ELb1EiNS0_19identity_decomposerEEEEE10hipError_tT0_T1_T2_jT3_P12ihipStream_tbPNSt15iterator_traitsISE_E10value_typeEPNSK_ISF_E10value_typeEPSG_NS1_7vsmem_tEENKUlT_SE_SF_SG_E_clIS8_S8_S9_S9_EESD_ST_SE_SF_SG_EUlST_E0_NS1_11comp_targetILNS1_3genE9ELNS1_11target_archE1100ELNS1_3gpuE3ELNS1_3repE0EEENS1_38merge_mergepath_config_static_selectorELNS0_4arch9wavefront6targetE0EEEvSF_
; %bb.0:
	.section	.rodata,"a",@progbits
	.p2align	6, 0x0
	.amdhsa_kernel _ZN7rocprim17ROCPRIM_400000_NS6detail17trampoline_kernelINS0_14default_configENS1_38merge_sort_block_merge_config_selectorIiNS0_10empty_typeEEEZZNS1_27merge_sort_block_merge_implIS3_PiPS5_jNS1_19radix_merge_compareILb0ELb1EiNS0_19identity_decomposerEEEEE10hipError_tT0_T1_T2_jT3_P12ihipStream_tbPNSt15iterator_traitsISE_E10value_typeEPNSK_ISF_E10value_typeEPSG_NS1_7vsmem_tEENKUlT_SE_SF_SG_E_clIS8_S8_S9_S9_EESD_ST_SE_SF_SG_EUlST_E0_NS1_11comp_targetILNS1_3genE9ELNS1_11target_archE1100ELNS1_3gpuE3ELNS1_3repE0EEENS1_38merge_mergepath_config_static_selectorELNS0_4arch9wavefront6targetE0EEEvSF_
		.amdhsa_group_segment_fixed_size 0
		.amdhsa_private_segment_fixed_size 0
		.amdhsa_kernarg_size 64
		.amdhsa_user_sgpr_count 2
		.amdhsa_user_sgpr_dispatch_ptr 0
		.amdhsa_user_sgpr_queue_ptr 0
		.amdhsa_user_sgpr_kernarg_segment_ptr 1
		.amdhsa_user_sgpr_dispatch_id 0
		.amdhsa_user_sgpr_kernarg_preload_length 0
		.amdhsa_user_sgpr_kernarg_preload_offset 0
		.amdhsa_user_sgpr_private_segment_size 0
		.amdhsa_wavefront_size32 1
		.amdhsa_uses_dynamic_stack 0
		.amdhsa_enable_private_segment 0
		.amdhsa_system_sgpr_workgroup_id_x 1
		.amdhsa_system_sgpr_workgroup_id_y 0
		.amdhsa_system_sgpr_workgroup_id_z 0
		.amdhsa_system_sgpr_workgroup_info 0
		.amdhsa_system_vgpr_workitem_id 0
		.amdhsa_next_free_vgpr 1
		.amdhsa_next_free_sgpr 1
		.amdhsa_named_barrier_count 0
		.amdhsa_reserve_vcc 0
		.amdhsa_float_round_mode_32 0
		.amdhsa_float_round_mode_16_64 0
		.amdhsa_float_denorm_mode_32 3
		.amdhsa_float_denorm_mode_16_64 3
		.amdhsa_fp16_overflow 0
		.amdhsa_memory_ordered 1
		.amdhsa_forward_progress 1
		.amdhsa_inst_pref_size 0
		.amdhsa_round_robin_scheduling 0
		.amdhsa_exception_fp_ieee_invalid_op 0
		.amdhsa_exception_fp_denorm_src 0
		.amdhsa_exception_fp_ieee_div_zero 0
		.amdhsa_exception_fp_ieee_overflow 0
		.amdhsa_exception_fp_ieee_underflow 0
		.amdhsa_exception_fp_ieee_inexact 0
		.amdhsa_exception_int_div_zero 0
	.end_amdhsa_kernel
	.section	.text._ZN7rocprim17ROCPRIM_400000_NS6detail17trampoline_kernelINS0_14default_configENS1_38merge_sort_block_merge_config_selectorIiNS0_10empty_typeEEEZZNS1_27merge_sort_block_merge_implIS3_PiPS5_jNS1_19radix_merge_compareILb0ELb1EiNS0_19identity_decomposerEEEEE10hipError_tT0_T1_T2_jT3_P12ihipStream_tbPNSt15iterator_traitsISE_E10value_typeEPNSK_ISF_E10value_typeEPSG_NS1_7vsmem_tEENKUlT_SE_SF_SG_E_clIS8_S8_S9_S9_EESD_ST_SE_SF_SG_EUlST_E0_NS1_11comp_targetILNS1_3genE9ELNS1_11target_archE1100ELNS1_3gpuE3ELNS1_3repE0EEENS1_38merge_mergepath_config_static_selectorELNS0_4arch9wavefront6targetE0EEEvSF_,"axG",@progbits,_ZN7rocprim17ROCPRIM_400000_NS6detail17trampoline_kernelINS0_14default_configENS1_38merge_sort_block_merge_config_selectorIiNS0_10empty_typeEEEZZNS1_27merge_sort_block_merge_implIS3_PiPS5_jNS1_19radix_merge_compareILb0ELb1EiNS0_19identity_decomposerEEEEE10hipError_tT0_T1_T2_jT3_P12ihipStream_tbPNSt15iterator_traitsISE_E10value_typeEPNSK_ISF_E10value_typeEPSG_NS1_7vsmem_tEENKUlT_SE_SF_SG_E_clIS8_S8_S9_S9_EESD_ST_SE_SF_SG_EUlST_E0_NS1_11comp_targetILNS1_3genE9ELNS1_11target_archE1100ELNS1_3gpuE3ELNS1_3repE0EEENS1_38merge_mergepath_config_static_selectorELNS0_4arch9wavefront6targetE0EEEvSF_,comdat
.Lfunc_end932:
	.size	_ZN7rocprim17ROCPRIM_400000_NS6detail17trampoline_kernelINS0_14default_configENS1_38merge_sort_block_merge_config_selectorIiNS0_10empty_typeEEEZZNS1_27merge_sort_block_merge_implIS3_PiPS5_jNS1_19radix_merge_compareILb0ELb1EiNS0_19identity_decomposerEEEEE10hipError_tT0_T1_T2_jT3_P12ihipStream_tbPNSt15iterator_traitsISE_E10value_typeEPNSK_ISF_E10value_typeEPSG_NS1_7vsmem_tEENKUlT_SE_SF_SG_E_clIS8_S8_S9_S9_EESD_ST_SE_SF_SG_EUlST_E0_NS1_11comp_targetILNS1_3genE9ELNS1_11target_archE1100ELNS1_3gpuE3ELNS1_3repE0EEENS1_38merge_mergepath_config_static_selectorELNS0_4arch9wavefront6targetE0EEEvSF_, .Lfunc_end932-_ZN7rocprim17ROCPRIM_400000_NS6detail17trampoline_kernelINS0_14default_configENS1_38merge_sort_block_merge_config_selectorIiNS0_10empty_typeEEEZZNS1_27merge_sort_block_merge_implIS3_PiPS5_jNS1_19radix_merge_compareILb0ELb1EiNS0_19identity_decomposerEEEEE10hipError_tT0_T1_T2_jT3_P12ihipStream_tbPNSt15iterator_traitsISE_E10value_typeEPNSK_ISF_E10value_typeEPSG_NS1_7vsmem_tEENKUlT_SE_SF_SG_E_clIS8_S8_S9_S9_EESD_ST_SE_SF_SG_EUlST_E0_NS1_11comp_targetILNS1_3genE9ELNS1_11target_archE1100ELNS1_3gpuE3ELNS1_3repE0EEENS1_38merge_mergepath_config_static_selectorELNS0_4arch9wavefront6targetE0EEEvSF_
                                        ; -- End function
	.set _ZN7rocprim17ROCPRIM_400000_NS6detail17trampoline_kernelINS0_14default_configENS1_38merge_sort_block_merge_config_selectorIiNS0_10empty_typeEEEZZNS1_27merge_sort_block_merge_implIS3_PiPS5_jNS1_19radix_merge_compareILb0ELb1EiNS0_19identity_decomposerEEEEE10hipError_tT0_T1_T2_jT3_P12ihipStream_tbPNSt15iterator_traitsISE_E10value_typeEPNSK_ISF_E10value_typeEPSG_NS1_7vsmem_tEENKUlT_SE_SF_SG_E_clIS8_S8_S9_S9_EESD_ST_SE_SF_SG_EUlST_E0_NS1_11comp_targetILNS1_3genE9ELNS1_11target_archE1100ELNS1_3gpuE3ELNS1_3repE0EEENS1_38merge_mergepath_config_static_selectorELNS0_4arch9wavefront6targetE0EEEvSF_.num_vgpr, 0
	.set _ZN7rocprim17ROCPRIM_400000_NS6detail17trampoline_kernelINS0_14default_configENS1_38merge_sort_block_merge_config_selectorIiNS0_10empty_typeEEEZZNS1_27merge_sort_block_merge_implIS3_PiPS5_jNS1_19radix_merge_compareILb0ELb1EiNS0_19identity_decomposerEEEEE10hipError_tT0_T1_T2_jT3_P12ihipStream_tbPNSt15iterator_traitsISE_E10value_typeEPNSK_ISF_E10value_typeEPSG_NS1_7vsmem_tEENKUlT_SE_SF_SG_E_clIS8_S8_S9_S9_EESD_ST_SE_SF_SG_EUlST_E0_NS1_11comp_targetILNS1_3genE9ELNS1_11target_archE1100ELNS1_3gpuE3ELNS1_3repE0EEENS1_38merge_mergepath_config_static_selectorELNS0_4arch9wavefront6targetE0EEEvSF_.num_agpr, 0
	.set _ZN7rocprim17ROCPRIM_400000_NS6detail17trampoline_kernelINS0_14default_configENS1_38merge_sort_block_merge_config_selectorIiNS0_10empty_typeEEEZZNS1_27merge_sort_block_merge_implIS3_PiPS5_jNS1_19radix_merge_compareILb0ELb1EiNS0_19identity_decomposerEEEEE10hipError_tT0_T1_T2_jT3_P12ihipStream_tbPNSt15iterator_traitsISE_E10value_typeEPNSK_ISF_E10value_typeEPSG_NS1_7vsmem_tEENKUlT_SE_SF_SG_E_clIS8_S8_S9_S9_EESD_ST_SE_SF_SG_EUlST_E0_NS1_11comp_targetILNS1_3genE9ELNS1_11target_archE1100ELNS1_3gpuE3ELNS1_3repE0EEENS1_38merge_mergepath_config_static_selectorELNS0_4arch9wavefront6targetE0EEEvSF_.numbered_sgpr, 0
	.set _ZN7rocprim17ROCPRIM_400000_NS6detail17trampoline_kernelINS0_14default_configENS1_38merge_sort_block_merge_config_selectorIiNS0_10empty_typeEEEZZNS1_27merge_sort_block_merge_implIS3_PiPS5_jNS1_19radix_merge_compareILb0ELb1EiNS0_19identity_decomposerEEEEE10hipError_tT0_T1_T2_jT3_P12ihipStream_tbPNSt15iterator_traitsISE_E10value_typeEPNSK_ISF_E10value_typeEPSG_NS1_7vsmem_tEENKUlT_SE_SF_SG_E_clIS8_S8_S9_S9_EESD_ST_SE_SF_SG_EUlST_E0_NS1_11comp_targetILNS1_3genE9ELNS1_11target_archE1100ELNS1_3gpuE3ELNS1_3repE0EEENS1_38merge_mergepath_config_static_selectorELNS0_4arch9wavefront6targetE0EEEvSF_.num_named_barrier, 0
	.set _ZN7rocprim17ROCPRIM_400000_NS6detail17trampoline_kernelINS0_14default_configENS1_38merge_sort_block_merge_config_selectorIiNS0_10empty_typeEEEZZNS1_27merge_sort_block_merge_implIS3_PiPS5_jNS1_19radix_merge_compareILb0ELb1EiNS0_19identity_decomposerEEEEE10hipError_tT0_T1_T2_jT3_P12ihipStream_tbPNSt15iterator_traitsISE_E10value_typeEPNSK_ISF_E10value_typeEPSG_NS1_7vsmem_tEENKUlT_SE_SF_SG_E_clIS8_S8_S9_S9_EESD_ST_SE_SF_SG_EUlST_E0_NS1_11comp_targetILNS1_3genE9ELNS1_11target_archE1100ELNS1_3gpuE3ELNS1_3repE0EEENS1_38merge_mergepath_config_static_selectorELNS0_4arch9wavefront6targetE0EEEvSF_.private_seg_size, 0
	.set _ZN7rocprim17ROCPRIM_400000_NS6detail17trampoline_kernelINS0_14default_configENS1_38merge_sort_block_merge_config_selectorIiNS0_10empty_typeEEEZZNS1_27merge_sort_block_merge_implIS3_PiPS5_jNS1_19radix_merge_compareILb0ELb1EiNS0_19identity_decomposerEEEEE10hipError_tT0_T1_T2_jT3_P12ihipStream_tbPNSt15iterator_traitsISE_E10value_typeEPNSK_ISF_E10value_typeEPSG_NS1_7vsmem_tEENKUlT_SE_SF_SG_E_clIS8_S8_S9_S9_EESD_ST_SE_SF_SG_EUlST_E0_NS1_11comp_targetILNS1_3genE9ELNS1_11target_archE1100ELNS1_3gpuE3ELNS1_3repE0EEENS1_38merge_mergepath_config_static_selectorELNS0_4arch9wavefront6targetE0EEEvSF_.uses_vcc, 0
	.set _ZN7rocprim17ROCPRIM_400000_NS6detail17trampoline_kernelINS0_14default_configENS1_38merge_sort_block_merge_config_selectorIiNS0_10empty_typeEEEZZNS1_27merge_sort_block_merge_implIS3_PiPS5_jNS1_19radix_merge_compareILb0ELb1EiNS0_19identity_decomposerEEEEE10hipError_tT0_T1_T2_jT3_P12ihipStream_tbPNSt15iterator_traitsISE_E10value_typeEPNSK_ISF_E10value_typeEPSG_NS1_7vsmem_tEENKUlT_SE_SF_SG_E_clIS8_S8_S9_S9_EESD_ST_SE_SF_SG_EUlST_E0_NS1_11comp_targetILNS1_3genE9ELNS1_11target_archE1100ELNS1_3gpuE3ELNS1_3repE0EEENS1_38merge_mergepath_config_static_selectorELNS0_4arch9wavefront6targetE0EEEvSF_.uses_flat_scratch, 0
	.set _ZN7rocprim17ROCPRIM_400000_NS6detail17trampoline_kernelINS0_14default_configENS1_38merge_sort_block_merge_config_selectorIiNS0_10empty_typeEEEZZNS1_27merge_sort_block_merge_implIS3_PiPS5_jNS1_19radix_merge_compareILb0ELb1EiNS0_19identity_decomposerEEEEE10hipError_tT0_T1_T2_jT3_P12ihipStream_tbPNSt15iterator_traitsISE_E10value_typeEPNSK_ISF_E10value_typeEPSG_NS1_7vsmem_tEENKUlT_SE_SF_SG_E_clIS8_S8_S9_S9_EESD_ST_SE_SF_SG_EUlST_E0_NS1_11comp_targetILNS1_3genE9ELNS1_11target_archE1100ELNS1_3gpuE3ELNS1_3repE0EEENS1_38merge_mergepath_config_static_selectorELNS0_4arch9wavefront6targetE0EEEvSF_.has_dyn_sized_stack, 0
	.set _ZN7rocprim17ROCPRIM_400000_NS6detail17trampoline_kernelINS0_14default_configENS1_38merge_sort_block_merge_config_selectorIiNS0_10empty_typeEEEZZNS1_27merge_sort_block_merge_implIS3_PiPS5_jNS1_19radix_merge_compareILb0ELb1EiNS0_19identity_decomposerEEEEE10hipError_tT0_T1_T2_jT3_P12ihipStream_tbPNSt15iterator_traitsISE_E10value_typeEPNSK_ISF_E10value_typeEPSG_NS1_7vsmem_tEENKUlT_SE_SF_SG_E_clIS8_S8_S9_S9_EESD_ST_SE_SF_SG_EUlST_E0_NS1_11comp_targetILNS1_3genE9ELNS1_11target_archE1100ELNS1_3gpuE3ELNS1_3repE0EEENS1_38merge_mergepath_config_static_selectorELNS0_4arch9wavefront6targetE0EEEvSF_.has_recursion, 0
	.set _ZN7rocprim17ROCPRIM_400000_NS6detail17trampoline_kernelINS0_14default_configENS1_38merge_sort_block_merge_config_selectorIiNS0_10empty_typeEEEZZNS1_27merge_sort_block_merge_implIS3_PiPS5_jNS1_19radix_merge_compareILb0ELb1EiNS0_19identity_decomposerEEEEE10hipError_tT0_T1_T2_jT3_P12ihipStream_tbPNSt15iterator_traitsISE_E10value_typeEPNSK_ISF_E10value_typeEPSG_NS1_7vsmem_tEENKUlT_SE_SF_SG_E_clIS8_S8_S9_S9_EESD_ST_SE_SF_SG_EUlST_E0_NS1_11comp_targetILNS1_3genE9ELNS1_11target_archE1100ELNS1_3gpuE3ELNS1_3repE0EEENS1_38merge_mergepath_config_static_selectorELNS0_4arch9wavefront6targetE0EEEvSF_.has_indirect_call, 0
	.section	.AMDGPU.csdata,"",@progbits
; Kernel info:
; codeLenInByte = 0
; TotalNumSgprs: 0
; NumVgprs: 0
; ScratchSize: 0
; MemoryBound: 0
; FloatMode: 240
; IeeeMode: 1
; LDSByteSize: 0 bytes/workgroup (compile time only)
; SGPRBlocks: 0
; VGPRBlocks: 0
; NumSGPRsForWavesPerEU: 1
; NumVGPRsForWavesPerEU: 1
; NamedBarCnt: 0
; Occupancy: 16
; WaveLimiterHint : 0
; COMPUTE_PGM_RSRC2:SCRATCH_EN: 0
; COMPUTE_PGM_RSRC2:USER_SGPR: 2
; COMPUTE_PGM_RSRC2:TRAP_HANDLER: 0
; COMPUTE_PGM_RSRC2:TGID_X_EN: 1
; COMPUTE_PGM_RSRC2:TGID_Y_EN: 0
; COMPUTE_PGM_RSRC2:TGID_Z_EN: 0
; COMPUTE_PGM_RSRC2:TIDIG_COMP_CNT: 0
	.section	.text._ZN7rocprim17ROCPRIM_400000_NS6detail17trampoline_kernelINS0_14default_configENS1_38merge_sort_block_merge_config_selectorIiNS0_10empty_typeEEEZZNS1_27merge_sort_block_merge_implIS3_PiPS5_jNS1_19radix_merge_compareILb0ELb1EiNS0_19identity_decomposerEEEEE10hipError_tT0_T1_T2_jT3_P12ihipStream_tbPNSt15iterator_traitsISE_E10value_typeEPNSK_ISF_E10value_typeEPSG_NS1_7vsmem_tEENKUlT_SE_SF_SG_E_clIS8_S8_S9_S9_EESD_ST_SE_SF_SG_EUlST_E0_NS1_11comp_targetILNS1_3genE8ELNS1_11target_archE1030ELNS1_3gpuE2ELNS1_3repE0EEENS1_38merge_mergepath_config_static_selectorELNS0_4arch9wavefront6targetE0EEEvSF_,"axG",@progbits,_ZN7rocprim17ROCPRIM_400000_NS6detail17trampoline_kernelINS0_14default_configENS1_38merge_sort_block_merge_config_selectorIiNS0_10empty_typeEEEZZNS1_27merge_sort_block_merge_implIS3_PiPS5_jNS1_19radix_merge_compareILb0ELb1EiNS0_19identity_decomposerEEEEE10hipError_tT0_T1_T2_jT3_P12ihipStream_tbPNSt15iterator_traitsISE_E10value_typeEPNSK_ISF_E10value_typeEPSG_NS1_7vsmem_tEENKUlT_SE_SF_SG_E_clIS8_S8_S9_S9_EESD_ST_SE_SF_SG_EUlST_E0_NS1_11comp_targetILNS1_3genE8ELNS1_11target_archE1030ELNS1_3gpuE2ELNS1_3repE0EEENS1_38merge_mergepath_config_static_selectorELNS0_4arch9wavefront6targetE0EEEvSF_,comdat
	.protected	_ZN7rocprim17ROCPRIM_400000_NS6detail17trampoline_kernelINS0_14default_configENS1_38merge_sort_block_merge_config_selectorIiNS0_10empty_typeEEEZZNS1_27merge_sort_block_merge_implIS3_PiPS5_jNS1_19radix_merge_compareILb0ELb1EiNS0_19identity_decomposerEEEEE10hipError_tT0_T1_T2_jT3_P12ihipStream_tbPNSt15iterator_traitsISE_E10value_typeEPNSK_ISF_E10value_typeEPSG_NS1_7vsmem_tEENKUlT_SE_SF_SG_E_clIS8_S8_S9_S9_EESD_ST_SE_SF_SG_EUlST_E0_NS1_11comp_targetILNS1_3genE8ELNS1_11target_archE1030ELNS1_3gpuE2ELNS1_3repE0EEENS1_38merge_mergepath_config_static_selectorELNS0_4arch9wavefront6targetE0EEEvSF_ ; -- Begin function _ZN7rocprim17ROCPRIM_400000_NS6detail17trampoline_kernelINS0_14default_configENS1_38merge_sort_block_merge_config_selectorIiNS0_10empty_typeEEEZZNS1_27merge_sort_block_merge_implIS3_PiPS5_jNS1_19radix_merge_compareILb0ELb1EiNS0_19identity_decomposerEEEEE10hipError_tT0_T1_T2_jT3_P12ihipStream_tbPNSt15iterator_traitsISE_E10value_typeEPNSK_ISF_E10value_typeEPSG_NS1_7vsmem_tEENKUlT_SE_SF_SG_E_clIS8_S8_S9_S9_EESD_ST_SE_SF_SG_EUlST_E0_NS1_11comp_targetILNS1_3genE8ELNS1_11target_archE1030ELNS1_3gpuE2ELNS1_3repE0EEENS1_38merge_mergepath_config_static_selectorELNS0_4arch9wavefront6targetE0EEEvSF_
	.globl	_ZN7rocprim17ROCPRIM_400000_NS6detail17trampoline_kernelINS0_14default_configENS1_38merge_sort_block_merge_config_selectorIiNS0_10empty_typeEEEZZNS1_27merge_sort_block_merge_implIS3_PiPS5_jNS1_19radix_merge_compareILb0ELb1EiNS0_19identity_decomposerEEEEE10hipError_tT0_T1_T2_jT3_P12ihipStream_tbPNSt15iterator_traitsISE_E10value_typeEPNSK_ISF_E10value_typeEPSG_NS1_7vsmem_tEENKUlT_SE_SF_SG_E_clIS8_S8_S9_S9_EESD_ST_SE_SF_SG_EUlST_E0_NS1_11comp_targetILNS1_3genE8ELNS1_11target_archE1030ELNS1_3gpuE2ELNS1_3repE0EEENS1_38merge_mergepath_config_static_selectorELNS0_4arch9wavefront6targetE0EEEvSF_
	.p2align	8
	.type	_ZN7rocprim17ROCPRIM_400000_NS6detail17trampoline_kernelINS0_14default_configENS1_38merge_sort_block_merge_config_selectorIiNS0_10empty_typeEEEZZNS1_27merge_sort_block_merge_implIS3_PiPS5_jNS1_19radix_merge_compareILb0ELb1EiNS0_19identity_decomposerEEEEE10hipError_tT0_T1_T2_jT3_P12ihipStream_tbPNSt15iterator_traitsISE_E10value_typeEPNSK_ISF_E10value_typeEPSG_NS1_7vsmem_tEENKUlT_SE_SF_SG_E_clIS8_S8_S9_S9_EESD_ST_SE_SF_SG_EUlST_E0_NS1_11comp_targetILNS1_3genE8ELNS1_11target_archE1030ELNS1_3gpuE2ELNS1_3repE0EEENS1_38merge_mergepath_config_static_selectorELNS0_4arch9wavefront6targetE0EEEvSF_,@function
_ZN7rocprim17ROCPRIM_400000_NS6detail17trampoline_kernelINS0_14default_configENS1_38merge_sort_block_merge_config_selectorIiNS0_10empty_typeEEEZZNS1_27merge_sort_block_merge_implIS3_PiPS5_jNS1_19radix_merge_compareILb0ELb1EiNS0_19identity_decomposerEEEEE10hipError_tT0_T1_T2_jT3_P12ihipStream_tbPNSt15iterator_traitsISE_E10value_typeEPNSK_ISF_E10value_typeEPSG_NS1_7vsmem_tEENKUlT_SE_SF_SG_E_clIS8_S8_S9_S9_EESD_ST_SE_SF_SG_EUlST_E0_NS1_11comp_targetILNS1_3genE8ELNS1_11target_archE1030ELNS1_3gpuE2ELNS1_3repE0EEENS1_38merge_mergepath_config_static_selectorELNS0_4arch9wavefront6targetE0EEEvSF_: ; @_ZN7rocprim17ROCPRIM_400000_NS6detail17trampoline_kernelINS0_14default_configENS1_38merge_sort_block_merge_config_selectorIiNS0_10empty_typeEEEZZNS1_27merge_sort_block_merge_implIS3_PiPS5_jNS1_19radix_merge_compareILb0ELb1EiNS0_19identity_decomposerEEEEE10hipError_tT0_T1_T2_jT3_P12ihipStream_tbPNSt15iterator_traitsISE_E10value_typeEPNSK_ISF_E10value_typeEPSG_NS1_7vsmem_tEENKUlT_SE_SF_SG_E_clIS8_S8_S9_S9_EESD_ST_SE_SF_SG_EUlST_E0_NS1_11comp_targetILNS1_3genE8ELNS1_11target_archE1030ELNS1_3gpuE2ELNS1_3repE0EEENS1_38merge_mergepath_config_static_selectorELNS0_4arch9wavefront6targetE0EEEvSF_
; %bb.0:
	.section	.rodata,"a",@progbits
	.p2align	6, 0x0
	.amdhsa_kernel _ZN7rocprim17ROCPRIM_400000_NS6detail17trampoline_kernelINS0_14default_configENS1_38merge_sort_block_merge_config_selectorIiNS0_10empty_typeEEEZZNS1_27merge_sort_block_merge_implIS3_PiPS5_jNS1_19radix_merge_compareILb0ELb1EiNS0_19identity_decomposerEEEEE10hipError_tT0_T1_T2_jT3_P12ihipStream_tbPNSt15iterator_traitsISE_E10value_typeEPNSK_ISF_E10value_typeEPSG_NS1_7vsmem_tEENKUlT_SE_SF_SG_E_clIS8_S8_S9_S9_EESD_ST_SE_SF_SG_EUlST_E0_NS1_11comp_targetILNS1_3genE8ELNS1_11target_archE1030ELNS1_3gpuE2ELNS1_3repE0EEENS1_38merge_mergepath_config_static_selectorELNS0_4arch9wavefront6targetE0EEEvSF_
		.amdhsa_group_segment_fixed_size 0
		.amdhsa_private_segment_fixed_size 0
		.amdhsa_kernarg_size 64
		.amdhsa_user_sgpr_count 2
		.amdhsa_user_sgpr_dispatch_ptr 0
		.amdhsa_user_sgpr_queue_ptr 0
		.amdhsa_user_sgpr_kernarg_segment_ptr 1
		.amdhsa_user_sgpr_dispatch_id 0
		.amdhsa_user_sgpr_kernarg_preload_length 0
		.amdhsa_user_sgpr_kernarg_preload_offset 0
		.amdhsa_user_sgpr_private_segment_size 0
		.amdhsa_wavefront_size32 1
		.amdhsa_uses_dynamic_stack 0
		.amdhsa_enable_private_segment 0
		.amdhsa_system_sgpr_workgroup_id_x 1
		.amdhsa_system_sgpr_workgroup_id_y 0
		.amdhsa_system_sgpr_workgroup_id_z 0
		.amdhsa_system_sgpr_workgroup_info 0
		.amdhsa_system_vgpr_workitem_id 0
		.amdhsa_next_free_vgpr 1
		.amdhsa_next_free_sgpr 1
		.amdhsa_named_barrier_count 0
		.amdhsa_reserve_vcc 0
		.amdhsa_float_round_mode_32 0
		.amdhsa_float_round_mode_16_64 0
		.amdhsa_float_denorm_mode_32 3
		.amdhsa_float_denorm_mode_16_64 3
		.amdhsa_fp16_overflow 0
		.amdhsa_memory_ordered 1
		.amdhsa_forward_progress 1
		.amdhsa_inst_pref_size 0
		.amdhsa_round_robin_scheduling 0
		.amdhsa_exception_fp_ieee_invalid_op 0
		.amdhsa_exception_fp_denorm_src 0
		.amdhsa_exception_fp_ieee_div_zero 0
		.amdhsa_exception_fp_ieee_overflow 0
		.amdhsa_exception_fp_ieee_underflow 0
		.amdhsa_exception_fp_ieee_inexact 0
		.amdhsa_exception_int_div_zero 0
	.end_amdhsa_kernel
	.section	.text._ZN7rocprim17ROCPRIM_400000_NS6detail17trampoline_kernelINS0_14default_configENS1_38merge_sort_block_merge_config_selectorIiNS0_10empty_typeEEEZZNS1_27merge_sort_block_merge_implIS3_PiPS5_jNS1_19radix_merge_compareILb0ELb1EiNS0_19identity_decomposerEEEEE10hipError_tT0_T1_T2_jT3_P12ihipStream_tbPNSt15iterator_traitsISE_E10value_typeEPNSK_ISF_E10value_typeEPSG_NS1_7vsmem_tEENKUlT_SE_SF_SG_E_clIS8_S8_S9_S9_EESD_ST_SE_SF_SG_EUlST_E0_NS1_11comp_targetILNS1_3genE8ELNS1_11target_archE1030ELNS1_3gpuE2ELNS1_3repE0EEENS1_38merge_mergepath_config_static_selectorELNS0_4arch9wavefront6targetE0EEEvSF_,"axG",@progbits,_ZN7rocprim17ROCPRIM_400000_NS6detail17trampoline_kernelINS0_14default_configENS1_38merge_sort_block_merge_config_selectorIiNS0_10empty_typeEEEZZNS1_27merge_sort_block_merge_implIS3_PiPS5_jNS1_19radix_merge_compareILb0ELb1EiNS0_19identity_decomposerEEEEE10hipError_tT0_T1_T2_jT3_P12ihipStream_tbPNSt15iterator_traitsISE_E10value_typeEPNSK_ISF_E10value_typeEPSG_NS1_7vsmem_tEENKUlT_SE_SF_SG_E_clIS8_S8_S9_S9_EESD_ST_SE_SF_SG_EUlST_E0_NS1_11comp_targetILNS1_3genE8ELNS1_11target_archE1030ELNS1_3gpuE2ELNS1_3repE0EEENS1_38merge_mergepath_config_static_selectorELNS0_4arch9wavefront6targetE0EEEvSF_,comdat
.Lfunc_end933:
	.size	_ZN7rocprim17ROCPRIM_400000_NS6detail17trampoline_kernelINS0_14default_configENS1_38merge_sort_block_merge_config_selectorIiNS0_10empty_typeEEEZZNS1_27merge_sort_block_merge_implIS3_PiPS5_jNS1_19radix_merge_compareILb0ELb1EiNS0_19identity_decomposerEEEEE10hipError_tT0_T1_T2_jT3_P12ihipStream_tbPNSt15iterator_traitsISE_E10value_typeEPNSK_ISF_E10value_typeEPSG_NS1_7vsmem_tEENKUlT_SE_SF_SG_E_clIS8_S8_S9_S9_EESD_ST_SE_SF_SG_EUlST_E0_NS1_11comp_targetILNS1_3genE8ELNS1_11target_archE1030ELNS1_3gpuE2ELNS1_3repE0EEENS1_38merge_mergepath_config_static_selectorELNS0_4arch9wavefront6targetE0EEEvSF_, .Lfunc_end933-_ZN7rocprim17ROCPRIM_400000_NS6detail17trampoline_kernelINS0_14default_configENS1_38merge_sort_block_merge_config_selectorIiNS0_10empty_typeEEEZZNS1_27merge_sort_block_merge_implIS3_PiPS5_jNS1_19radix_merge_compareILb0ELb1EiNS0_19identity_decomposerEEEEE10hipError_tT0_T1_T2_jT3_P12ihipStream_tbPNSt15iterator_traitsISE_E10value_typeEPNSK_ISF_E10value_typeEPSG_NS1_7vsmem_tEENKUlT_SE_SF_SG_E_clIS8_S8_S9_S9_EESD_ST_SE_SF_SG_EUlST_E0_NS1_11comp_targetILNS1_3genE8ELNS1_11target_archE1030ELNS1_3gpuE2ELNS1_3repE0EEENS1_38merge_mergepath_config_static_selectorELNS0_4arch9wavefront6targetE0EEEvSF_
                                        ; -- End function
	.set _ZN7rocprim17ROCPRIM_400000_NS6detail17trampoline_kernelINS0_14default_configENS1_38merge_sort_block_merge_config_selectorIiNS0_10empty_typeEEEZZNS1_27merge_sort_block_merge_implIS3_PiPS5_jNS1_19radix_merge_compareILb0ELb1EiNS0_19identity_decomposerEEEEE10hipError_tT0_T1_T2_jT3_P12ihipStream_tbPNSt15iterator_traitsISE_E10value_typeEPNSK_ISF_E10value_typeEPSG_NS1_7vsmem_tEENKUlT_SE_SF_SG_E_clIS8_S8_S9_S9_EESD_ST_SE_SF_SG_EUlST_E0_NS1_11comp_targetILNS1_3genE8ELNS1_11target_archE1030ELNS1_3gpuE2ELNS1_3repE0EEENS1_38merge_mergepath_config_static_selectorELNS0_4arch9wavefront6targetE0EEEvSF_.num_vgpr, 0
	.set _ZN7rocprim17ROCPRIM_400000_NS6detail17trampoline_kernelINS0_14default_configENS1_38merge_sort_block_merge_config_selectorIiNS0_10empty_typeEEEZZNS1_27merge_sort_block_merge_implIS3_PiPS5_jNS1_19radix_merge_compareILb0ELb1EiNS0_19identity_decomposerEEEEE10hipError_tT0_T1_T2_jT3_P12ihipStream_tbPNSt15iterator_traitsISE_E10value_typeEPNSK_ISF_E10value_typeEPSG_NS1_7vsmem_tEENKUlT_SE_SF_SG_E_clIS8_S8_S9_S9_EESD_ST_SE_SF_SG_EUlST_E0_NS1_11comp_targetILNS1_3genE8ELNS1_11target_archE1030ELNS1_3gpuE2ELNS1_3repE0EEENS1_38merge_mergepath_config_static_selectorELNS0_4arch9wavefront6targetE0EEEvSF_.num_agpr, 0
	.set _ZN7rocprim17ROCPRIM_400000_NS6detail17trampoline_kernelINS0_14default_configENS1_38merge_sort_block_merge_config_selectorIiNS0_10empty_typeEEEZZNS1_27merge_sort_block_merge_implIS3_PiPS5_jNS1_19radix_merge_compareILb0ELb1EiNS0_19identity_decomposerEEEEE10hipError_tT0_T1_T2_jT3_P12ihipStream_tbPNSt15iterator_traitsISE_E10value_typeEPNSK_ISF_E10value_typeEPSG_NS1_7vsmem_tEENKUlT_SE_SF_SG_E_clIS8_S8_S9_S9_EESD_ST_SE_SF_SG_EUlST_E0_NS1_11comp_targetILNS1_3genE8ELNS1_11target_archE1030ELNS1_3gpuE2ELNS1_3repE0EEENS1_38merge_mergepath_config_static_selectorELNS0_4arch9wavefront6targetE0EEEvSF_.numbered_sgpr, 0
	.set _ZN7rocprim17ROCPRIM_400000_NS6detail17trampoline_kernelINS0_14default_configENS1_38merge_sort_block_merge_config_selectorIiNS0_10empty_typeEEEZZNS1_27merge_sort_block_merge_implIS3_PiPS5_jNS1_19radix_merge_compareILb0ELb1EiNS0_19identity_decomposerEEEEE10hipError_tT0_T1_T2_jT3_P12ihipStream_tbPNSt15iterator_traitsISE_E10value_typeEPNSK_ISF_E10value_typeEPSG_NS1_7vsmem_tEENKUlT_SE_SF_SG_E_clIS8_S8_S9_S9_EESD_ST_SE_SF_SG_EUlST_E0_NS1_11comp_targetILNS1_3genE8ELNS1_11target_archE1030ELNS1_3gpuE2ELNS1_3repE0EEENS1_38merge_mergepath_config_static_selectorELNS0_4arch9wavefront6targetE0EEEvSF_.num_named_barrier, 0
	.set _ZN7rocprim17ROCPRIM_400000_NS6detail17trampoline_kernelINS0_14default_configENS1_38merge_sort_block_merge_config_selectorIiNS0_10empty_typeEEEZZNS1_27merge_sort_block_merge_implIS3_PiPS5_jNS1_19radix_merge_compareILb0ELb1EiNS0_19identity_decomposerEEEEE10hipError_tT0_T1_T2_jT3_P12ihipStream_tbPNSt15iterator_traitsISE_E10value_typeEPNSK_ISF_E10value_typeEPSG_NS1_7vsmem_tEENKUlT_SE_SF_SG_E_clIS8_S8_S9_S9_EESD_ST_SE_SF_SG_EUlST_E0_NS1_11comp_targetILNS1_3genE8ELNS1_11target_archE1030ELNS1_3gpuE2ELNS1_3repE0EEENS1_38merge_mergepath_config_static_selectorELNS0_4arch9wavefront6targetE0EEEvSF_.private_seg_size, 0
	.set _ZN7rocprim17ROCPRIM_400000_NS6detail17trampoline_kernelINS0_14default_configENS1_38merge_sort_block_merge_config_selectorIiNS0_10empty_typeEEEZZNS1_27merge_sort_block_merge_implIS3_PiPS5_jNS1_19radix_merge_compareILb0ELb1EiNS0_19identity_decomposerEEEEE10hipError_tT0_T1_T2_jT3_P12ihipStream_tbPNSt15iterator_traitsISE_E10value_typeEPNSK_ISF_E10value_typeEPSG_NS1_7vsmem_tEENKUlT_SE_SF_SG_E_clIS8_S8_S9_S9_EESD_ST_SE_SF_SG_EUlST_E0_NS1_11comp_targetILNS1_3genE8ELNS1_11target_archE1030ELNS1_3gpuE2ELNS1_3repE0EEENS1_38merge_mergepath_config_static_selectorELNS0_4arch9wavefront6targetE0EEEvSF_.uses_vcc, 0
	.set _ZN7rocprim17ROCPRIM_400000_NS6detail17trampoline_kernelINS0_14default_configENS1_38merge_sort_block_merge_config_selectorIiNS0_10empty_typeEEEZZNS1_27merge_sort_block_merge_implIS3_PiPS5_jNS1_19radix_merge_compareILb0ELb1EiNS0_19identity_decomposerEEEEE10hipError_tT0_T1_T2_jT3_P12ihipStream_tbPNSt15iterator_traitsISE_E10value_typeEPNSK_ISF_E10value_typeEPSG_NS1_7vsmem_tEENKUlT_SE_SF_SG_E_clIS8_S8_S9_S9_EESD_ST_SE_SF_SG_EUlST_E0_NS1_11comp_targetILNS1_3genE8ELNS1_11target_archE1030ELNS1_3gpuE2ELNS1_3repE0EEENS1_38merge_mergepath_config_static_selectorELNS0_4arch9wavefront6targetE0EEEvSF_.uses_flat_scratch, 0
	.set _ZN7rocprim17ROCPRIM_400000_NS6detail17trampoline_kernelINS0_14default_configENS1_38merge_sort_block_merge_config_selectorIiNS0_10empty_typeEEEZZNS1_27merge_sort_block_merge_implIS3_PiPS5_jNS1_19radix_merge_compareILb0ELb1EiNS0_19identity_decomposerEEEEE10hipError_tT0_T1_T2_jT3_P12ihipStream_tbPNSt15iterator_traitsISE_E10value_typeEPNSK_ISF_E10value_typeEPSG_NS1_7vsmem_tEENKUlT_SE_SF_SG_E_clIS8_S8_S9_S9_EESD_ST_SE_SF_SG_EUlST_E0_NS1_11comp_targetILNS1_3genE8ELNS1_11target_archE1030ELNS1_3gpuE2ELNS1_3repE0EEENS1_38merge_mergepath_config_static_selectorELNS0_4arch9wavefront6targetE0EEEvSF_.has_dyn_sized_stack, 0
	.set _ZN7rocprim17ROCPRIM_400000_NS6detail17trampoline_kernelINS0_14default_configENS1_38merge_sort_block_merge_config_selectorIiNS0_10empty_typeEEEZZNS1_27merge_sort_block_merge_implIS3_PiPS5_jNS1_19radix_merge_compareILb0ELb1EiNS0_19identity_decomposerEEEEE10hipError_tT0_T1_T2_jT3_P12ihipStream_tbPNSt15iterator_traitsISE_E10value_typeEPNSK_ISF_E10value_typeEPSG_NS1_7vsmem_tEENKUlT_SE_SF_SG_E_clIS8_S8_S9_S9_EESD_ST_SE_SF_SG_EUlST_E0_NS1_11comp_targetILNS1_3genE8ELNS1_11target_archE1030ELNS1_3gpuE2ELNS1_3repE0EEENS1_38merge_mergepath_config_static_selectorELNS0_4arch9wavefront6targetE0EEEvSF_.has_recursion, 0
	.set _ZN7rocprim17ROCPRIM_400000_NS6detail17trampoline_kernelINS0_14default_configENS1_38merge_sort_block_merge_config_selectorIiNS0_10empty_typeEEEZZNS1_27merge_sort_block_merge_implIS3_PiPS5_jNS1_19radix_merge_compareILb0ELb1EiNS0_19identity_decomposerEEEEE10hipError_tT0_T1_T2_jT3_P12ihipStream_tbPNSt15iterator_traitsISE_E10value_typeEPNSK_ISF_E10value_typeEPSG_NS1_7vsmem_tEENKUlT_SE_SF_SG_E_clIS8_S8_S9_S9_EESD_ST_SE_SF_SG_EUlST_E0_NS1_11comp_targetILNS1_3genE8ELNS1_11target_archE1030ELNS1_3gpuE2ELNS1_3repE0EEENS1_38merge_mergepath_config_static_selectorELNS0_4arch9wavefront6targetE0EEEvSF_.has_indirect_call, 0
	.section	.AMDGPU.csdata,"",@progbits
; Kernel info:
; codeLenInByte = 0
; TotalNumSgprs: 0
; NumVgprs: 0
; ScratchSize: 0
; MemoryBound: 0
; FloatMode: 240
; IeeeMode: 1
; LDSByteSize: 0 bytes/workgroup (compile time only)
; SGPRBlocks: 0
; VGPRBlocks: 0
; NumSGPRsForWavesPerEU: 1
; NumVGPRsForWavesPerEU: 1
; NamedBarCnt: 0
; Occupancy: 16
; WaveLimiterHint : 0
; COMPUTE_PGM_RSRC2:SCRATCH_EN: 0
; COMPUTE_PGM_RSRC2:USER_SGPR: 2
; COMPUTE_PGM_RSRC2:TRAP_HANDLER: 0
; COMPUTE_PGM_RSRC2:TGID_X_EN: 1
; COMPUTE_PGM_RSRC2:TGID_Y_EN: 0
; COMPUTE_PGM_RSRC2:TGID_Z_EN: 0
; COMPUTE_PGM_RSRC2:TIDIG_COMP_CNT: 0
	.section	.text._ZN7rocprim17ROCPRIM_400000_NS6detail17trampoline_kernelINS0_14default_configENS1_38merge_sort_block_merge_config_selectorIiNS0_10empty_typeEEEZZNS1_27merge_sort_block_merge_implIS3_PiPS5_jNS1_19radix_merge_compareILb0ELb1EiNS0_19identity_decomposerEEEEE10hipError_tT0_T1_T2_jT3_P12ihipStream_tbPNSt15iterator_traitsISE_E10value_typeEPNSK_ISF_E10value_typeEPSG_NS1_7vsmem_tEENKUlT_SE_SF_SG_E_clIS8_S8_S9_S9_EESD_ST_SE_SF_SG_EUlST_E1_NS1_11comp_targetILNS1_3genE0ELNS1_11target_archE4294967295ELNS1_3gpuE0ELNS1_3repE0EEENS1_36merge_oddeven_config_static_selectorELNS0_4arch9wavefront6targetE0EEEvSF_,"axG",@progbits,_ZN7rocprim17ROCPRIM_400000_NS6detail17trampoline_kernelINS0_14default_configENS1_38merge_sort_block_merge_config_selectorIiNS0_10empty_typeEEEZZNS1_27merge_sort_block_merge_implIS3_PiPS5_jNS1_19radix_merge_compareILb0ELb1EiNS0_19identity_decomposerEEEEE10hipError_tT0_T1_T2_jT3_P12ihipStream_tbPNSt15iterator_traitsISE_E10value_typeEPNSK_ISF_E10value_typeEPSG_NS1_7vsmem_tEENKUlT_SE_SF_SG_E_clIS8_S8_S9_S9_EESD_ST_SE_SF_SG_EUlST_E1_NS1_11comp_targetILNS1_3genE0ELNS1_11target_archE4294967295ELNS1_3gpuE0ELNS1_3repE0EEENS1_36merge_oddeven_config_static_selectorELNS0_4arch9wavefront6targetE0EEEvSF_,comdat
	.protected	_ZN7rocprim17ROCPRIM_400000_NS6detail17trampoline_kernelINS0_14default_configENS1_38merge_sort_block_merge_config_selectorIiNS0_10empty_typeEEEZZNS1_27merge_sort_block_merge_implIS3_PiPS5_jNS1_19radix_merge_compareILb0ELb1EiNS0_19identity_decomposerEEEEE10hipError_tT0_T1_T2_jT3_P12ihipStream_tbPNSt15iterator_traitsISE_E10value_typeEPNSK_ISF_E10value_typeEPSG_NS1_7vsmem_tEENKUlT_SE_SF_SG_E_clIS8_S8_S9_S9_EESD_ST_SE_SF_SG_EUlST_E1_NS1_11comp_targetILNS1_3genE0ELNS1_11target_archE4294967295ELNS1_3gpuE0ELNS1_3repE0EEENS1_36merge_oddeven_config_static_selectorELNS0_4arch9wavefront6targetE0EEEvSF_ ; -- Begin function _ZN7rocprim17ROCPRIM_400000_NS6detail17trampoline_kernelINS0_14default_configENS1_38merge_sort_block_merge_config_selectorIiNS0_10empty_typeEEEZZNS1_27merge_sort_block_merge_implIS3_PiPS5_jNS1_19radix_merge_compareILb0ELb1EiNS0_19identity_decomposerEEEEE10hipError_tT0_T1_T2_jT3_P12ihipStream_tbPNSt15iterator_traitsISE_E10value_typeEPNSK_ISF_E10value_typeEPSG_NS1_7vsmem_tEENKUlT_SE_SF_SG_E_clIS8_S8_S9_S9_EESD_ST_SE_SF_SG_EUlST_E1_NS1_11comp_targetILNS1_3genE0ELNS1_11target_archE4294967295ELNS1_3gpuE0ELNS1_3repE0EEENS1_36merge_oddeven_config_static_selectorELNS0_4arch9wavefront6targetE0EEEvSF_
	.globl	_ZN7rocprim17ROCPRIM_400000_NS6detail17trampoline_kernelINS0_14default_configENS1_38merge_sort_block_merge_config_selectorIiNS0_10empty_typeEEEZZNS1_27merge_sort_block_merge_implIS3_PiPS5_jNS1_19radix_merge_compareILb0ELb1EiNS0_19identity_decomposerEEEEE10hipError_tT0_T1_T2_jT3_P12ihipStream_tbPNSt15iterator_traitsISE_E10value_typeEPNSK_ISF_E10value_typeEPSG_NS1_7vsmem_tEENKUlT_SE_SF_SG_E_clIS8_S8_S9_S9_EESD_ST_SE_SF_SG_EUlST_E1_NS1_11comp_targetILNS1_3genE0ELNS1_11target_archE4294967295ELNS1_3gpuE0ELNS1_3repE0EEENS1_36merge_oddeven_config_static_selectorELNS0_4arch9wavefront6targetE0EEEvSF_
	.p2align	8
	.type	_ZN7rocprim17ROCPRIM_400000_NS6detail17trampoline_kernelINS0_14default_configENS1_38merge_sort_block_merge_config_selectorIiNS0_10empty_typeEEEZZNS1_27merge_sort_block_merge_implIS3_PiPS5_jNS1_19radix_merge_compareILb0ELb1EiNS0_19identity_decomposerEEEEE10hipError_tT0_T1_T2_jT3_P12ihipStream_tbPNSt15iterator_traitsISE_E10value_typeEPNSK_ISF_E10value_typeEPSG_NS1_7vsmem_tEENKUlT_SE_SF_SG_E_clIS8_S8_S9_S9_EESD_ST_SE_SF_SG_EUlST_E1_NS1_11comp_targetILNS1_3genE0ELNS1_11target_archE4294967295ELNS1_3gpuE0ELNS1_3repE0EEENS1_36merge_oddeven_config_static_selectorELNS0_4arch9wavefront6targetE0EEEvSF_,@function
_ZN7rocprim17ROCPRIM_400000_NS6detail17trampoline_kernelINS0_14default_configENS1_38merge_sort_block_merge_config_selectorIiNS0_10empty_typeEEEZZNS1_27merge_sort_block_merge_implIS3_PiPS5_jNS1_19radix_merge_compareILb0ELb1EiNS0_19identity_decomposerEEEEE10hipError_tT0_T1_T2_jT3_P12ihipStream_tbPNSt15iterator_traitsISE_E10value_typeEPNSK_ISF_E10value_typeEPSG_NS1_7vsmem_tEENKUlT_SE_SF_SG_E_clIS8_S8_S9_S9_EESD_ST_SE_SF_SG_EUlST_E1_NS1_11comp_targetILNS1_3genE0ELNS1_11target_archE4294967295ELNS1_3gpuE0ELNS1_3repE0EEENS1_36merge_oddeven_config_static_selectorELNS0_4arch9wavefront6targetE0EEEvSF_: ; @_ZN7rocprim17ROCPRIM_400000_NS6detail17trampoline_kernelINS0_14default_configENS1_38merge_sort_block_merge_config_selectorIiNS0_10empty_typeEEEZZNS1_27merge_sort_block_merge_implIS3_PiPS5_jNS1_19radix_merge_compareILb0ELb1EiNS0_19identity_decomposerEEEEE10hipError_tT0_T1_T2_jT3_P12ihipStream_tbPNSt15iterator_traitsISE_E10value_typeEPNSK_ISF_E10value_typeEPSG_NS1_7vsmem_tEENKUlT_SE_SF_SG_E_clIS8_S8_S9_S9_EESD_ST_SE_SF_SG_EUlST_E1_NS1_11comp_targetILNS1_3genE0ELNS1_11target_archE4294967295ELNS1_3gpuE0ELNS1_3repE0EEENS1_36merge_oddeven_config_static_selectorELNS0_4arch9wavefront6targetE0EEEvSF_
; %bb.0:
	s_load_b32 s11, s[0:1], 0x20
	s_bfe_u32 s2, ttmp6, 0x4000c
	s_and_b32 s3, ttmp6, 15
	s_add_co_i32 s2, s2, 1
	s_getreg_b32 s4, hwreg(HW_REG_IB_STS2, 6, 4)
	s_mul_i32 s2, ttmp9, s2
	s_mov_b32 s9, 0
	s_add_co_i32 s3, s3, s2
	s_cmp_eq_u32 s4, 0
	s_cselect_b32 s2, ttmp9, s3
	s_wait_kmcnt 0x0
	s_lshr_b32 s3, s11, 8
	s_delay_alu instid0(SALU_CYCLE_1) | instskip(SKIP_4) | instid1(SALU_CYCLE_1)
	s_cmp_lg_u32 s2, s3
	s_cselect_b32 s15, -1, 0
	s_cmp_eq_u32 s2, s3
	s_cselect_b32 s12, -1, 0
	s_lshl_b32 s8, s2, 8
	s_sub_co_i32 s3, s11, s8
	s_delay_alu instid0(SALU_CYCLE_1) | instskip(SKIP_1) | instid1(SALU_CYCLE_1)
	v_cmp_gt_u32_e64 s3, s3, v0
	s_or_b32 s4, s15, s3
	s_and_saveexec_b32 s5, s4
	s_cbranch_execz .LBB934_20
; %bb.1:
	s_clause 0x1
	s_load_b128 s[4:7], s[0:1], 0x0
	s_load_b32 s13, s[0:1], 0x24
	s_lshl_b64 s[16:17], s[8:9], 2
	v_add_nc_u32_e32 v3, s8, v0
	s_wait_kmcnt 0x0
	s_add_nc_u64 s[16:17], s[4:5], s[16:17]
	s_lshr_b32 s10, s13, 8
	global_load_b32 v1, v0, s[16:17] scale_offset
	s_sub_co_i32 s14, 0, s10
	s_wait_xcnt 0x0
	s_sub_co_i32 s16, 0, s13
	s_and_b32 s2, s2, s14
	s_delay_alu instid0(SALU_CYCLE_1) | instskip(SKIP_3) | instid1(SALU_CYCLE_1)
	s_and_b32 s10, s2, s10
	s_lshl_b32 s14, s2, 8
	s_cmp_eq_u32 s10, 0
	s_cselect_b32 s2, -1, 0
	s_and_b32 s10, s2, exec_lo
	s_cselect_b32 s10, s13, s16
	s_delay_alu instid0(SALU_CYCLE_1) | instskip(NEXT) | instid1(SALU_CYCLE_1)
	s_add_co_i32 s10, s10, s14
	s_cmp_gt_u32 s11, s10
	s_cbranch_scc1 .LBB934_3
; %bb.2:
	v_cmp_gt_u32_e32 vcc_lo, s11, v3
	s_or_b32 s9, vcc_lo, s15
	s_delay_alu instid0(SALU_CYCLE_1)
	s_and_b32 s9, s9, exec_lo
	s_cbranch_execz .LBB934_4
	s_branch .LBB934_18
.LBB934_3:
.LBB934_4:
	s_load_b32 s0, s[0:1], 0x28
	s_wait_xcnt 0x0
	s_min_u32 s1, s10, s11
	s_and_b32 vcc_lo, exec_lo, s12
	s_add_co_i32 s8, s14, s1
	s_add_co_i32 s13, s1, s13
	v_subrev_nc_u32_e32 v0, s8, v3
	s_min_u32 s8, s14, s1
	s_delay_alu instid0(VALU_DEP_1) | instid1(SALU_CYCLE_1)
	v_add_nc_u32_e32 v0, s8, v0
	s_min_u32 s8, s13, s11
	s_wait_loadcnt 0x0
	s_wait_kmcnt 0x0
	v_and_b32_e32 v2, s0, v1
	s_cbranch_vccz .LBB934_12
; %bb.5:
                                        ; implicit-def: $vgpr3
	s_and_saveexec_b32 s11, s3
	s_cbranch_execz .LBB934_11
; %bb.6:
	v_mov_b32_e32 v3, s1
	s_cmp_ge_u32 s10, s8
	s_cbranch_scc1 .LBB934_10
; %bb.7:
	v_dual_mov_b32 v4, s8 :: v_dual_mov_b32 v3, s1
	s_mov_b32 s3, 0
.LBB934_8:                              ; =>This Inner Loop Header: Depth=1
	s_delay_alu instid0(VALU_DEP_1) | instskip(NEXT) | instid1(VALU_DEP_1)
	v_add_nc_u32_e32 v5, v3, v4
	v_lshrrev_b32_e32 v5, 1, v5
	global_load_b32 v6, v5, s[4:5] scale_offset
	s_wait_loadcnt 0x0
	v_and_b32_e32 v6, s0, v6
	s_delay_alu instid0(VALU_DEP_1) | instskip(SKIP_3) | instid1(VALU_DEP_1)
	v_cmp_gt_i32_e32 vcc_lo, v2, v6
	v_cndmask_b32_e64 v7, 0, 1, vcc_lo
	v_cmp_le_i32_e32 vcc_lo, v6, v2
	v_cndmask_b32_e64 v6, 0, 1, vcc_lo
	v_dual_cndmask_b32 v6, v6, v7, s2 :: v_dual_add_nc_u32 v7, 1, v5
	s_delay_alu instid0(VALU_DEP_1) | instskip(NEXT) | instid1(VALU_DEP_1)
	v_and_b32_e32 v6, 1, v6
	v_cmp_eq_u32_e32 vcc_lo, 1, v6
	s_delay_alu instid0(VALU_DEP_3) | instskip(NEXT) | instid1(VALU_DEP_1)
	v_dual_cndmask_b32 v4, v5, v4 :: v_dual_cndmask_b32 v3, v3, v7
	v_cmp_ge_u32_e32 vcc_lo, v3, v4
	s_or_b32 s3, vcc_lo, s3
	s_delay_alu instid0(SALU_CYCLE_1)
	s_and_not1_b32 exec_lo, exec_lo, s3
	s_cbranch_execnz .LBB934_8
; %bb.9:
	s_or_b32 exec_lo, exec_lo, s3
.LBB934_10:
	s_delay_alu instid0(VALU_DEP_1)
	v_add_nc_u32_e32 v3, v3, v0
	s_or_b32 s9, s9, exec_lo
.LBB934_11:
	s_or_b32 exec_lo, exec_lo, s11
	s_branch .LBB934_18
.LBB934_12:
                                        ; implicit-def: $vgpr3
	s_cbranch_execz .LBB934_18
; %bb.13:
	v_mov_b32_e32 v3, s1
	s_cmp_ge_u32 s10, s8
	s_cbranch_scc1 .LBB934_17
; %bb.14:
	v_dual_mov_b32 v4, s8 :: v_dual_mov_b32 v3, s1
	s_mov_b32 s1, 0
.LBB934_15:                             ; =>This Inner Loop Header: Depth=1
	s_delay_alu instid0(VALU_DEP_1) | instskip(NEXT) | instid1(VALU_DEP_1)
	v_add_nc_u32_e32 v5, v3, v4
	v_lshrrev_b32_e32 v5, 1, v5
	global_load_b32 v6, v5, s[4:5] scale_offset
	s_wait_loadcnt 0x0
	v_and_b32_e32 v6, s0, v6
	s_delay_alu instid0(VALU_DEP_1) | instskip(SKIP_3) | instid1(VALU_DEP_1)
	v_cmp_gt_i32_e32 vcc_lo, v2, v6
	v_cndmask_b32_e64 v7, 0, 1, vcc_lo
	v_cmp_le_i32_e32 vcc_lo, v6, v2
	v_cndmask_b32_e64 v6, 0, 1, vcc_lo
	v_dual_cndmask_b32 v6, v6, v7, s2 :: v_dual_add_nc_u32 v7, 1, v5
	s_delay_alu instid0(VALU_DEP_1) | instskip(NEXT) | instid1(VALU_DEP_1)
	v_and_b32_e32 v6, 1, v6
	v_cmp_eq_u32_e32 vcc_lo, 1, v6
	s_delay_alu instid0(VALU_DEP_3) | instskip(NEXT) | instid1(VALU_DEP_1)
	v_dual_cndmask_b32 v4, v5, v4 :: v_dual_cndmask_b32 v3, v3, v7
	v_cmp_ge_u32_e32 vcc_lo, v3, v4
	s_or_b32 s1, vcc_lo, s1
	s_delay_alu instid0(SALU_CYCLE_1)
	s_and_not1_b32 exec_lo, exec_lo, s1
	s_cbranch_execnz .LBB934_15
; %bb.16:
	s_or_b32 exec_lo, exec_lo, s1
.LBB934_17:
	s_delay_alu instid0(VALU_DEP_1)
	v_add_nc_u32_e32 v3, v3, v0
	s_mov_b32 s9, -1
.LBB934_18:
	s_delay_alu instid0(SALU_CYCLE_1)
	s_and_b32 exec_lo, exec_lo, s9
	s_cbranch_execz .LBB934_20
; %bb.19:
	s_wait_loadcnt 0x0
	global_store_b32 v3, v1, s[6:7] scale_offset
.LBB934_20:
	s_endpgm
	.section	.rodata,"a",@progbits
	.p2align	6, 0x0
	.amdhsa_kernel _ZN7rocprim17ROCPRIM_400000_NS6detail17trampoline_kernelINS0_14default_configENS1_38merge_sort_block_merge_config_selectorIiNS0_10empty_typeEEEZZNS1_27merge_sort_block_merge_implIS3_PiPS5_jNS1_19radix_merge_compareILb0ELb1EiNS0_19identity_decomposerEEEEE10hipError_tT0_T1_T2_jT3_P12ihipStream_tbPNSt15iterator_traitsISE_E10value_typeEPNSK_ISF_E10value_typeEPSG_NS1_7vsmem_tEENKUlT_SE_SF_SG_E_clIS8_S8_S9_S9_EESD_ST_SE_SF_SG_EUlST_E1_NS1_11comp_targetILNS1_3genE0ELNS1_11target_archE4294967295ELNS1_3gpuE0ELNS1_3repE0EEENS1_36merge_oddeven_config_static_selectorELNS0_4arch9wavefront6targetE0EEEvSF_
		.amdhsa_group_segment_fixed_size 0
		.amdhsa_private_segment_fixed_size 0
		.amdhsa_kernarg_size 48
		.amdhsa_user_sgpr_count 2
		.amdhsa_user_sgpr_dispatch_ptr 0
		.amdhsa_user_sgpr_queue_ptr 0
		.amdhsa_user_sgpr_kernarg_segment_ptr 1
		.amdhsa_user_sgpr_dispatch_id 0
		.amdhsa_user_sgpr_kernarg_preload_length 0
		.amdhsa_user_sgpr_kernarg_preload_offset 0
		.amdhsa_user_sgpr_private_segment_size 0
		.amdhsa_wavefront_size32 1
		.amdhsa_uses_dynamic_stack 0
		.amdhsa_enable_private_segment 0
		.amdhsa_system_sgpr_workgroup_id_x 1
		.amdhsa_system_sgpr_workgroup_id_y 0
		.amdhsa_system_sgpr_workgroup_id_z 0
		.amdhsa_system_sgpr_workgroup_info 0
		.amdhsa_system_vgpr_workitem_id 0
		.amdhsa_next_free_vgpr 8
		.amdhsa_next_free_sgpr 18
		.amdhsa_named_barrier_count 0
		.amdhsa_reserve_vcc 1
		.amdhsa_float_round_mode_32 0
		.amdhsa_float_round_mode_16_64 0
		.amdhsa_float_denorm_mode_32 3
		.amdhsa_float_denorm_mode_16_64 3
		.amdhsa_fp16_overflow 0
		.amdhsa_memory_ordered 1
		.amdhsa_forward_progress 1
		.amdhsa_inst_pref_size 6
		.amdhsa_round_robin_scheduling 0
		.amdhsa_exception_fp_ieee_invalid_op 0
		.amdhsa_exception_fp_denorm_src 0
		.amdhsa_exception_fp_ieee_div_zero 0
		.amdhsa_exception_fp_ieee_overflow 0
		.amdhsa_exception_fp_ieee_underflow 0
		.amdhsa_exception_fp_ieee_inexact 0
		.amdhsa_exception_int_div_zero 0
	.end_amdhsa_kernel
	.section	.text._ZN7rocprim17ROCPRIM_400000_NS6detail17trampoline_kernelINS0_14default_configENS1_38merge_sort_block_merge_config_selectorIiNS0_10empty_typeEEEZZNS1_27merge_sort_block_merge_implIS3_PiPS5_jNS1_19radix_merge_compareILb0ELb1EiNS0_19identity_decomposerEEEEE10hipError_tT0_T1_T2_jT3_P12ihipStream_tbPNSt15iterator_traitsISE_E10value_typeEPNSK_ISF_E10value_typeEPSG_NS1_7vsmem_tEENKUlT_SE_SF_SG_E_clIS8_S8_S9_S9_EESD_ST_SE_SF_SG_EUlST_E1_NS1_11comp_targetILNS1_3genE0ELNS1_11target_archE4294967295ELNS1_3gpuE0ELNS1_3repE0EEENS1_36merge_oddeven_config_static_selectorELNS0_4arch9wavefront6targetE0EEEvSF_,"axG",@progbits,_ZN7rocprim17ROCPRIM_400000_NS6detail17trampoline_kernelINS0_14default_configENS1_38merge_sort_block_merge_config_selectorIiNS0_10empty_typeEEEZZNS1_27merge_sort_block_merge_implIS3_PiPS5_jNS1_19radix_merge_compareILb0ELb1EiNS0_19identity_decomposerEEEEE10hipError_tT0_T1_T2_jT3_P12ihipStream_tbPNSt15iterator_traitsISE_E10value_typeEPNSK_ISF_E10value_typeEPSG_NS1_7vsmem_tEENKUlT_SE_SF_SG_E_clIS8_S8_S9_S9_EESD_ST_SE_SF_SG_EUlST_E1_NS1_11comp_targetILNS1_3genE0ELNS1_11target_archE4294967295ELNS1_3gpuE0ELNS1_3repE0EEENS1_36merge_oddeven_config_static_selectorELNS0_4arch9wavefront6targetE0EEEvSF_,comdat
.Lfunc_end934:
	.size	_ZN7rocprim17ROCPRIM_400000_NS6detail17trampoline_kernelINS0_14default_configENS1_38merge_sort_block_merge_config_selectorIiNS0_10empty_typeEEEZZNS1_27merge_sort_block_merge_implIS3_PiPS5_jNS1_19radix_merge_compareILb0ELb1EiNS0_19identity_decomposerEEEEE10hipError_tT0_T1_T2_jT3_P12ihipStream_tbPNSt15iterator_traitsISE_E10value_typeEPNSK_ISF_E10value_typeEPSG_NS1_7vsmem_tEENKUlT_SE_SF_SG_E_clIS8_S8_S9_S9_EESD_ST_SE_SF_SG_EUlST_E1_NS1_11comp_targetILNS1_3genE0ELNS1_11target_archE4294967295ELNS1_3gpuE0ELNS1_3repE0EEENS1_36merge_oddeven_config_static_selectorELNS0_4arch9wavefront6targetE0EEEvSF_, .Lfunc_end934-_ZN7rocprim17ROCPRIM_400000_NS6detail17trampoline_kernelINS0_14default_configENS1_38merge_sort_block_merge_config_selectorIiNS0_10empty_typeEEEZZNS1_27merge_sort_block_merge_implIS3_PiPS5_jNS1_19radix_merge_compareILb0ELb1EiNS0_19identity_decomposerEEEEE10hipError_tT0_T1_T2_jT3_P12ihipStream_tbPNSt15iterator_traitsISE_E10value_typeEPNSK_ISF_E10value_typeEPSG_NS1_7vsmem_tEENKUlT_SE_SF_SG_E_clIS8_S8_S9_S9_EESD_ST_SE_SF_SG_EUlST_E1_NS1_11comp_targetILNS1_3genE0ELNS1_11target_archE4294967295ELNS1_3gpuE0ELNS1_3repE0EEENS1_36merge_oddeven_config_static_selectorELNS0_4arch9wavefront6targetE0EEEvSF_
                                        ; -- End function
	.set _ZN7rocprim17ROCPRIM_400000_NS6detail17trampoline_kernelINS0_14default_configENS1_38merge_sort_block_merge_config_selectorIiNS0_10empty_typeEEEZZNS1_27merge_sort_block_merge_implIS3_PiPS5_jNS1_19radix_merge_compareILb0ELb1EiNS0_19identity_decomposerEEEEE10hipError_tT0_T1_T2_jT3_P12ihipStream_tbPNSt15iterator_traitsISE_E10value_typeEPNSK_ISF_E10value_typeEPSG_NS1_7vsmem_tEENKUlT_SE_SF_SG_E_clIS8_S8_S9_S9_EESD_ST_SE_SF_SG_EUlST_E1_NS1_11comp_targetILNS1_3genE0ELNS1_11target_archE4294967295ELNS1_3gpuE0ELNS1_3repE0EEENS1_36merge_oddeven_config_static_selectorELNS0_4arch9wavefront6targetE0EEEvSF_.num_vgpr, 8
	.set _ZN7rocprim17ROCPRIM_400000_NS6detail17trampoline_kernelINS0_14default_configENS1_38merge_sort_block_merge_config_selectorIiNS0_10empty_typeEEEZZNS1_27merge_sort_block_merge_implIS3_PiPS5_jNS1_19radix_merge_compareILb0ELb1EiNS0_19identity_decomposerEEEEE10hipError_tT0_T1_T2_jT3_P12ihipStream_tbPNSt15iterator_traitsISE_E10value_typeEPNSK_ISF_E10value_typeEPSG_NS1_7vsmem_tEENKUlT_SE_SF_SG_E_clIS8_S8_S9_S9_EESD_ST_SE_SF_SG_EUlST_E1_NS1_11comp_targetILNS1_3genE0ELNS1_11target_archE4294967295ELNS1_3gpuE0ELNS1_3repE0EEENS1_36merge_oddeven_config_static_selectorELNS0_4arch9wavefront6targetE0EEEvSF_.num_agpr, 0
	.set _ZN7rocprim17ROCPRIM_400000_NS6detail17trampoline_kernelINS0_14default_configENS1_38merge_sort_block_merge_config_selectorIiNS0_10empty_typeEEEZZNS1_27merge_sort_block_merge_implIS3_PiPS5_jNS1_19radix_merge_compareILb0ELb1EiNS0_19identity_decomposerEEEEE10hipError_tT0_T1_T2_jT3_P12ihipStream_tbPNSt15iterator_traitsISE_E10value_typeEPNSK_ISF_E10value_typeEPSG_NS1_7vsmem_tEENKUlT_SE_SF_SG_E_clIS8_S8_S9_S9_EESD_ST_SE_SF_SG_EUlST_E1_NS1_11comp_targetILNS1_3genE0ELNS1_11target_archE4294967295ELNS1_3gpuE0ELNS1_3repE0EEENS1_36merge_oddeven_config_static_selectorELNS0_4arch9wavefront6targetE0EEEvSF_.numbered_sgpr, 18
	.set _ZN7rocprim17ROCPRIM_400000_NS6detail17trampoline_kernelINS0_14default_configENS1_38merge_sort_block_merge_config_selectorIiNS0_10empty_typeEEEZZNS1_27merge_sort_block_merge_implIS3_PiPS5_jNS1_19radix_merge_compareILb0ELb1EiNS0_19identity_decomposerEEEEE10hipError_tT0_T1_T2_jT3_P12ihipStream_tbPNSt15iterator_traitsISE_E10value_typeEPNSK_ISF_E10value_typeEPSG_NS1_7vsmem_tEENKUlT_SE_SF_SG_E_clIS8_S8_S9_S9_EESD_ST_SE_SF_SG_EUlST_E1_NS1_11comp_targetILNS1_3genE0ELNS1_11target_archE4294967295ELNS1_3gpuE0ELNS1_3repE0EEENS1_36merge_oddeven_config_static_selectorELNS0_4arch9wavefront6targetE0EEEvSF_.num_named_barrier, 0
	.set _ZN7rocprim17ROCPRIM_400000_NS6detail17trampoline_kernelINS0_14default_configENS1_38merge_sort_block_merge_config_selectorIiNS0_10empty_typeEEEZZNS1_27merge_sort_block_merge_implIS3_PiPS5_jNS1_19radix_merge_compareILb0ELb1EiNS0_19identity_decomposerEEEEE10hipError_tT0_T1_T2_jT3_P12ihipStream_tbPNSt15iterator_traitsISE_E10value_typeEPNSK_ISF_E10value_typeEPSG_NS1_7vsmem_tEENKUlT_SE_SF_SG_E_clIS8_S8_S9_S9_EESD_ST_SE_SF_SG_EUlST_E1_NS1_11comp_targetILNS1_3genE0ELNS1_11target_archE4294967295ELNS1_3gpuE0ELNS1_3repE0EEENS1_36merge_oddeven_config_static_selectorELNS0_4arch9wavefront6targetE0EEEvSF_.private_seg_size, 0
	.set _ZN7rocprim17ROCPRIM_400000_NS6detail17trampoline_kernelINS0_14default_configENS1_38merge_sort_block_merge_config_selectorIiNS0_10empty_typeEEEZZNS1_27merge_sort_block_merge_implIS3_PiPS5_jNS1_19radix_merge_compareILb0ELb1EiNS0_19identity_decomposerEEEEE10hipError_tT0_T1_T2_jT3_P12ihipStream_tbPNSt15iterator_traitsISE_E10value_typeEPNSK_ISF_E10value_typeEPSG_NS1_7vsmem_tEENKUlT_SE_SF_SG_E_clIS8_S8_S9_S9_EESD_ST_SE_SF_SG_EUlST_E1_NS1_11comp_targetILNS1_3genE0ELNS1_11target_archE4294967295ELNS1_3gpuE0ELNS1_3repE0EEENS1_36merge_oddeven_config_static_selectorELNS0_4arch9wavefront6targetE0EEEvSF_.uses_vcc, 1
	.set _ZN7rocprim17ROCPRIM_400000_NS6detail17trampoline_kernelINS0_14default_configENS1_38merge_sort_block_merge_config_selectorIiNS0_10empty_typeEEEZZNS1_27merge_sort_block_merge_implIS3_PiPS5_jNS1_19radix_merge_compareILb0ELb1EiNS0_19identity_decomposerEEEEE10hipError_tT0_T1_T2_jT3_P12ihipStream_tbPNSt15iterator_traitsISE_E10value_typeEPNSK_ISF_E10value_typeEPSG_NS1_7vsmem_tEENKUlT_SE_SF_SG_E_clIS8_S8_S9_S9_EESD_ST_SE_SF_SG_EUlST_E1_NS1_11comp_targetILNS1_3genE0ELNS1_11target_archE4294967295ELNS1_3gpuE0ELNS1_3repE0EEENS1_36merge_oddeven_config_static_selectorELNS0_4arch9wavefront6targetE0EEEvSF_.uses_flat_scratch, 0
	.set _ZN7rocprim17ROCPRIM_400000_NS6detail17trampoline_kernelINS0_14default_configENS1_38merge_sort_block_merge_config_selectorIiNS0_10empty_typeEEEZZNS1_27merge_sort_block_merge_implIS3_PiPS5_jNS1_19radix_merge_compareILb0ELb1EiNS0_19identity_decomposerEEEEE10hipError_tT0_T1_T2_jT3_P12ihipStream_tbPNSt15iterator_traitsISE_E10value_typeEPNSK_ISF_E10value_typeEPSG_NS1_7vsmem_tEENKUlT_SE_SF_SG_E_clIS8_S8_S9_S9_EESD_ST_SE_SF_SG_EUlST_E1_NS1_11comp_targetILNS1_3genE0ELNS1_11target_archE4294967295ELNS1_3gpuE0ELNS1_3repE0EEENS1_36merge_oddeven_config_static_selectorELNS0_4arch9wavefront6targetE0EEEvSF_.has_dyn_sized_stack, 0
	.set _ZN7rocprim17ROCPRIM_400000_NS6detail17trampoline_kernelINS0_14default_configENS1_38merge_sort_block_merge_config_selectorIiNS0_10empty_typeEEEZZNS1_27merge_sort_block_merge_implIS3_PiPS5_jNS1_19radix_merge_compareILb0ELb1EiNS0_19identity_decomposerEEEEE10hipError_tT0_T1_T2_jT3_P12ihipStream_tbPNSt15iterator_traitsISE_E10value_typeEPNSK_ISF_E10value_typeEPSG_NS1_7vsmem_tEENKUlT_SE_SF_SG_E_clIS8_S8_S9_S9_EESD_ST_SE_SF_SG_EUlST_E1_NS1_11comp_targetILNS1_3genE0ELNS1_11target_archE4294967295ELNS1_3gpuE0ELNS1_3repE0EEENS1_36merge_oddeven_config_static_selectorELNS0_4arch9wavefront6targetE0EEEvSF_.has_recursion, 0
	.set _ZN7rocprim17ROCPRIM_400000_NS6detail17trampoline_kernelINS0_14default_configENS1_38merge_sort_block_merge_config_selectorIiNS0_10empty_typeEEEZZNS1_27merge_sort_block_merge_implIS3_PiPS5_jNS1_19radix_merge_compareILb0ELb1EiNS0_19identity_decomposerEEEEE10hipError_tT0_T1_T2_jT3_P12ihipStream_tbPNSt15iterator_traitsISE_E10value_typeEPNSK_ISF_E10value_typeEPSG_NS1_7vsmem_tEENKUlT_SE_SF_SG_E_clIS8_S8_S9_S9_EESD_ST_SE_SF_SG_EUlST_E1_NS1_11comp_targetILNS1_3genE0ELNS1_11target_archE4294967295ELNS1_3gpuE0ELNS1_3repE0EEENS1_36merge_oddeven_config_static_selectorELNS0_4arch9wavefront6targetE0EEEvSF_.has_indirect_call, 0
	.section	.AMDGPU.csdata,"",@progbits
; Kernel info:
; codeLenInByte = 672
; TotalNumSgprs: 20
; NumVgprs: 8
; ScratchSize: 0
; MemoryBound: 0
; FloatMode: 240
; IeeeMode: 1
; LDSByteSize: 0 bytes/workgroup (compile time only)
; SGPRBlocks: 0
; VGPRBlocks: 0
; NumSGPRsForWavesPerEU: 20
; NumVGPRsForWavesPerEU: 8
; NamedBarCnt: 0
; Occupancy: 16
; WaveLimiterHint : 0
; COMPUTE_PGM_RSRC2:SCRATCH_EN: 0
; COMPUTE_PGM_RSRC2:USER_SGPR: 2
; COMPUTE_PGM_RSRC2:TRAP_HANDLER: 0
; COMPUTE_PGM_RSRC2:TGID_X_EN: 1
; COMPUTE_PGM_RSRC2:TGID_Y_EN: 0
; COMPUTE_PGM_RSRC2:TGID_Z_EN: 0
; COMPUTE_PGM_RSRC2:TIDIG_COMP_CNT: 0
	.section	.text._ZN7rocprim17ROCPRIM_400000_NS6detail17trampoline_kernelINS0_14default_configENS1_38merge_sort_block_merge_config_selectorIiNS0_10empty_typeEEEZZNS1_27merge_sort_block_merge_implIS3_PiPS5_jNS1_19radix_merge_compareILb0ELb1EiNS0_19identity_decomposerEEEEE10hipError_tT0_T1_T2_jT3_P12ihipStream_tbPNSt15iterator_traitsISE_E10value_typeEPNSK_ISF_E10value_typeEPSG_NS1_7vsmem_tEENKUlT_SE_SF_SG_E_clIS8_S8_S9_S9_EESD_ST_SE_SF_SG_EUlST_E1_NS1_11comp_targetILNS1_3genE10ELNS1_11target_archE1201ELNS1_3gpuE5ELNS1_3repE0EEENS1_36merge_oddeven_config_static_selectorELNS0_4arch9wavefront6targetE0EEEvSF_,"axG",@progbits,_ZN7rocprim17ROCPRIM_400000_NS6detail17trampoline_kernelINS0_14default_configENS1_38merge_sort_block_merge_config_selectorIiNS0_10empty_typeEEEZZNS1_27merge_sort_block_merge_implIS3_PiPS5_jNS1_19radix_merge_compareILb0ELb1EiNS0_19identity_decomposerEEEEE10hipError_tT0_T1_T2_jT3_P12ihipStream_tbPNSt15iterator_traitsISE_E10value_typeEPNSK_ISF_E10value_typeEPSG_NS1_7vsmem_tEENKUlT_SE_SF_SG_E_clIS8_S8_S9_S9_EESD_ST_SE_SF_SG_EUlST_E1_NS1_11comp_targetILNS1_3genE10ELNS1_11target_archE1201ELNS1_3gpuE5ELNS1_3repE0EEENS1_36merge_oddeven_config_static_selectorELNS0_4arch9wavefront6targetE0EEEvSF_,comdat
	.protected	_ZN7rocprim17ROCPRIM_400000_NS6detail17trampoline_kernelINS0_14default_configENS1_38merge_sort_block_merge_config_selectorIiNS0_10empty_typeEEEZZNS1_27merge_sort_block_merge_implIS3_PiPS5_jNS1_19radix_merge_compareILb0ELb1EiNS0_19identity_decomposerEEEEE10hipError_tT0_T1_T2_jT3_P12ihipStream_tbPNSt15iterator_traitsISE_E10value_typeEPNSK_ISF_E10value_typeEPSG_NS1_7vsmem_tEENKUlT_SE_SF_SG_E_clIS8_S8_S9_S9_EESD_ST_SE_SF_SG_EUlST_E1_NS1_11comp_targetILNS1_3genE10ELNS1_11target_archE1201ELNS1_3gpuE5ELNS1_3repE0EEENS1_36merge_oddeven_config_static_selectorELNS0_4arch9wavefront6targetE0EEEvSF_ ; -- Begin function _ZN7rocprim17ROCPRIM_400000_NS6detail17trampoline_kernelINS0_14default_configENS1_38merge_sort_block_merge_config_selectorIiNS0_10empty_typeEEEZZNS1_27merge_sort_block_merge_implIS3_PiPS5_jNS1_19radix_merge_compareILb0ELb1EiNS0_19identity_decomposerEEEEE10hipError_tT0_T1_T2_jT3_P12ihipStream_tbPNSt15iterator_traitsISE_E10value_typeEPNSK_ISF_E10value_typeEPSG_NS1_7vsmem_tEENKUlT_SE_SF_SG_E_clIS8_S8_S9_S9_EESD_ST_SE_SF_SG_EUlST_E1_NS1_11comp_targetILNS1_3genE10ELNS1_11target_archE1201ELNS1_3gpuE5ELNS1_3repE0EEENS1_36merge_oddeven_config_static_selectorELNS0_4arch9wavefront6targetE0EEEvSF_
	.globl	_ZN7rocprim17ROCPRIM_400000_NS6detail17trampoline_kernelINS0_14default_configENS1_38merge_sort_block_merge_config_selectorIiNS0_10empty_typeEEEZZNS1_27merge_sort_block_merge_implIS3_PiPS5_jNS1_19radix_merge_compareILb0ELb1EiNS0_19identity_decomposerEEEEE10hipError_tT0_T1_T2_jT3_P12ihipStream_tbPNSt15iterator_traitsISE_E10value_typeEPNSK_ISF_E10value_typeEPSG_NS1_7vsmem_tEENKUlT_SE_SF_SG_E_clIS8_S8_S9_S9_EESD_ST_SE_SF_SG_EUlST_E1_NS1_11comp_targetILNS1_3genE10ELNS1_11target_archE1201ELNS1_3gpuE5ELNS1_3repE0EEENS1_36merge_oddeven_config_static_selectorELNS0_4arch9wavefront6targetE0EEEvSF_
	.p2align	8
	.type	_ZN7rocprim17ROCPRIM_400000_NS6detail17trampoline_kernelINS0_14default_configENS1_38merge_sort_block_merge_config_selectorIiNS0_10empty_typeEEEZZNS1_27merge_sort_block_merge_implIS3_PiPS5_jNS1_19radix_merge_compareILb0ELb1EiNS0_19identity_decomposerEEEEE10hipError_tT0_T1_T2_jT3_P12ihipStream_tbPNSt15iterator_traitsISE_E10value_typeEPNSK_ISF_E10value_typeEPSG_NS1_7vsmem_tEENKUlT_SE_SF_SG_E_clIS8_S8_S9_S9_EESD_ST_SE_SF_SG_EUlST_E1_NS1_11comp_targetILNS1_3genE10ELNS1_11target_archE1201ELNS1_3gpuE5ELNS1_3repE0EEENS1_36merge_oddeven_config_static_selectorELNS0_4arch9wavefront6targetE0EEEvSF_,@function
_ZN7rocprim17ROCPRIM_400000_NS6detail17trampoline_kernelINS0_14default_configENS1_38merge_sort_block_merge_config_selectorIiNS0_10empty_typeEEEZZNS1_27merge_sort_block_merge_implIS3_PiPS5_jNS1_19radix_merge_compareILb0ELb1EiNS0_19identity_decomposerEEEEE10hipError_tT0_T1_T2_jT3_P12ihipStream_tbPNSt15iterator_traitsISE_E10value_typeEPNSK_ISF_E10value_typeEPSG_NS1_7vsmem_tEENKUlT_SE_SF_SG_E_clIS8_S8_S9_S9_EESD_ST_SE_SF_SG_EUlST_E1_NS1_11comp_targetILNS1_3genE10ELNS1_11target_archE1201ELNS1_3gpuE5ELNS1_3repE0EEENS1_36merge_oddeven_config_static_selectorELNS0_4arch9wavefront6targetE0EEEvSF_: ; @_ZN7rocprim17ROCPRIM_400000_NS6detail17trampoline_kernelINS0_14default_configENS1_38merge_sort_block_merge_config_selectorIiNS0_10empty_typeEEEZZNS1_27merge_sort_block_merge_implIS3_PiPS5_jNS1_19radix_merge_compareILb0ELb1EiNS0_19identity_decomposerEEEEE10hipError_tT0_T1_T2_jT3_P12ihipStream_tbPNSt15iterator_traitsISE_E10value_typeEPNSK_ISF_E10value_typeEPSG_NS1_7vsmem_tEENKUlT_SE_SF_SG_E_clIS8_S8_S9_S9_EESD_ST_SE_SF_SG_EUlST_E1_NS1_11comp_targetILNS1_3genE10ELNS1_11target_archE1201ELNS1_3gpuE5ELNS1_3repE0EEENS1_36merge_oddeven_config_static_selectorELNS0_4arch9wavefront6targetE0EEEvSF_
; %bb.0:
	.section	.rodata,"a",@progbits
	.p2align	6, 0x0
	.amdhsa_kernel _ZN7rocprim17ROCPRIM_400000_NS6detail17trampoline_kernelINS0_14default_configENS1_38merge_sort_block_merge_config_selectorIiNS0_10empty_typeEEEZZNS1_27merge_sort_block_merge_implIS3_PiPS5_jNS1_19radix_merge_compareILb0ELb1EiNS0_19identity_decomposerEEEEE10hipError_tT0_T1_T2_jT3_P12ihipStream_tbPNSt15iterator_traitsISE_E10value_typeEPNSK_ISF_E10value_typeEPSG_NS1_7vsmem_tEENKUlT_SE_SF_SG_E_clIS8_S8_S9_S9_EESD_ST_SE_SF_SG_EUlST_E1_NS1_11comp_targetILNS1_3genE10ELNS1_11target_archE1201ELNS1_3gpuE5ELNS1_3repE0EEENS1_36merge_oddeven_config_static_selectorELNS0_4arch9wavefront6targetE0EEEvSF_
		.amdhsa_group_segment_fixed_size 0
		.amdhsa_private_segment_fixed_size 0
		.amdhsa_kernarg_size 48
		.amdhsa_user_sgpr_count 2
		.amdhsa_user_sgpr_dispatch_ptr 0
		.amdhsa_user_sgpr_queue_ptr 0
		.amdhsa_user_sgpr_kernarg_segment_ptr 1
		.amdhsa_user_sgpr_dispatch_id 0
		.amdhsa_user_sgpr_kernarg_preload_length 0
		.amdhsa_user_sgpr_kernarg_preload_offset 0
		.amdhsa_user_sgpr_private_segment_size 0
		.amdhsa_wavefront_size32 1
		.amdhsa_uses_dynamic_stack 0
		.amdhsa_enable_private_segment 0
		.amdhsa_system_sgpr_workgroup_id_x 1
		.amdhsa_system_sgpr_workgroup_id_y 0
		.amdhsa_system_sgpr_workgroup_id_z 0
		.amdhsa_system_sgpr_workgroup_info 0
		.amdhsa_system_vgpr_workitem_id 0
		.amdhsa_next_free_vgpr 1
		.amdhsa_next_free_sgpr 1
		.amdhsa_named_barrier_count 0
		.amdhsa_reserve_vcc 0
		.amdhsa_float_round_mode_32 0
		.amdhsa_float_round_mode_16_64 0
		.amdhsa_float_denorm_mode_32 3
		.amdhsa_float_denorm_mode_16_64 3
		.amdhsa_fp16_overflow 0
		.amdhsa_memory_ordered 1
		.amdhsa_forward_progress 1
		.amdhsa_inst_pref_size 0
		.amdhsa_round_robin_scheduling 0
		.amdhsa_exception_fp_ieee_invalid_op 0
		.amdhsa_exception_fp_denorm_src 0
		.amdhsa_exception_fp_ieee_div_zero 0
		.amdhsa_exception_fp_ieee_overflow 0
		.amdhsa_exception_fp_ieee_underflow 0
		.amdhsa_exception_fp_ieee_inexact 0
		.amdhsa_exception_int_div_zero 0
	.end_amdhsa_kernel
	.section	.text._ZN7rocprim17ROCPRIM_400000_NS6detail17trampoline_kernelINS0_14default_configENS1_38merge_sort_block_merge_config_selectorIiNS0_10empty_typeEEEZZNS1_27merge_sort_block_merge_implIS3_PiPS5_jNS1_19radix_merge_compareILb0ELb1EiNS0_19identity_decomposerEEEEE10hipError_tT0_T1_T2_jT3_P12ihipStream_tbPNSt15iterator_traitsISE_E10value_typeEPNSK_ISF_E10value_typeEPSG_NS1_7vsmem_tEENKUlT_SE_SF_SG_E_clIS8_S8_S9_S9_EESD_ST_SE_SF_SG_EUlST_E1_NS1_11comp_targetILNS1_3genE10ELNS1_11target_archE1201ELNS1_3gpuE5ELNS1_3repE0EEENS1_36merge_oddeven_config_static_selectorELNS0_4arch9wavefront6targetE0EEEvSF_,"axG",@progbits,_ZN7rocprim17ROCPRIM_400000_NS6detail17trampoline_kernelINS0_14default_configENS1_38merge_sort_block_merge_config_selectorIiNS0_10empty_typeEEEZZNS1_27merge_sort_block_merge_implIS3_PiPS5_jNS1_19radix_merge_compareILb0ELb1EiNS0_19identity_decomposerEEEEE10hipError_tT0_T1_T2_jT3_P12ihipStream_tbPNSt15iterator_traitsISE_E10value_typeEPNSK_ISF_E10value_typeEPSG_NS1_7vsmem_tEENKUlT_SE_SF_SG_E_clIS8_S8_S9_S9_EESD_ST_SE_SF_SG_EUlST_E1_NS1_11comp_targetILNS1_3genE10ELNS1_11target_archE1201ELNS1_3gpuE5ELNS1_3repE0EEENS1_36merge_oddeven_config_static_selectorELNS0_4arch9wavefront6targetE0EEEvSF_,comdat
.Lfunc_end935:
	.size	_ZN7rocprim17ROCPRIM_400000_NS6detail17trampoline_kernelINS0_14default_configENS1_38merge_sort_block_merge_config_selectorIiNS0_10empty_typeEEEZZNS1_27merge_sort_block_merge_implIS3_PiPS5_jNS1_19radix_merge_compareILb0ELb1EiNS0_19identity_decomposerEEEEE10hipError_tT0_T1_T2_jT3_P12ihipStream_tbPNSt15iterator_traitsISE_E10value_typeEPNSK_ISF_E10value_typeEPSG_NS1_7vsmem_tEENKUlT_SE_SF_SG_E_clIS8_S8_S9_S9_EESD_ST_SE_SF_SG_EUlST_E1_NS1_11comp_targetILNS1_3genE10ELNS1_11target_archE1201ELNS1_3gpuE5ELNS1_3repE0EEENS1_36merge_oddeven_config_static_selectorELNS0_4arch9wavefront6targetE0EEEvSF_, .Lfunc_end935-_ZN7rocprim17ROCPRIM_400000_NS6detail17trampoline_kernelINS0_14default_configENS1_38merge_sort_block_merge_config_selectorIiNS0_10empty_typeEEEZZNS1_27merge_sort_block_merge_implIS3_PiPS5_jNS1_19radix_merge_compareILb0ELb1EiNS0_19identity_decomposerEEEEE10hipError_tT0_T1_T2_jT3_P12ihipStream_tbPNSt15iterator_traitsISE_E10value_typeEPNSK_ISF_E10value_typeEPSG_NS1_7vsmem_tEENKUlT_SE_SF_SG_E_clIS8_S8_S9_S9_EESD_ST_SE_SF_SG_EUlST_E1_NS1_11comp_targetILNS1_3genE10ELNS1_11target_archE1201ELNS1_3gpuE5ELNS1_3repE0EEENS1_36merge_oddeven_config_static_selectorELNS0_4arch9wavefront6targetE0EEEvSF_
                                        ; -- End function
	.set _ZN7rocprim17ROCPRIM_400000_NS6detail17trampoline_kernelINS0_14default_configENS1_38merge_sort_block_merge_config_selectorIiNS0_10empty_typeEEEZZNS1_27merge_sort_block_merge_implIS3_PiPS5_jNS1_19radix_merge_compareILb0ELb1EiNS0_19identity_decomposerEEEEE10hipError_tT0_T1_T2_jT3_P12ihipStream_tbPNSt15iterator_traitsISE_E10value_typeEPNSK_ISF_E10value_typeEPSG_NS1_7vsmem_tEENKUlT_SE_SF_SG_E_clIS8_S8_S9_S9_EESD_ST_SE_SF_SG_EUlST_E1_NS1_11comp_targetILNS1_3genE10ELNS1_11target_archE1201ELNS1_3gpuE5ELNS1_3repE0EEENS1_36merge_oddeven_config_static_selectorELNS0_4arch9wavefront6targetE0EEEvSF_.num_vgpr, 0
	.set _ZN7rocprim17ROCPRIM_400000_NS6detail17trampoline_kernelINS0_14default_configENS1_38merge_sort_block_merge_config_selectorIiNS0_10empty_typeEEEZZNS1_27merge_sort_block_merge_implIS3_PiPS5_jNS1_19radix_merge_compareILb0ELb1EiNS0_19identity_decomposerEEEEE10hipError_tT0_T1_T2_jT3_P12ihipStream_tbPNSt15iterator_traitsISE_E10value_typeEPNSK_ISF_E10value_typeEPSG_NS1_7vsmem_tEENKUlT_SE_SF_SG_E_clIS8_S8_S9_S9_EESD_ST_SE_SF_SG_EUlST_E1_NS1_11comp_targetILNS1_3genE10ELNS1_11target_archE1201ELNS1_3gpuE5ELNS1_3repE0EEENS1_36merge_oddeven_config_static_selectorELNS0_4arch9wavefront6targetE0EEEvSF_.num_agpr, 0
	.set _ZN7rocprim17ROCPRIM_400000_NS6detail17trampoline_kernelINS0_14default_configENS1_38merge_sort_block_merge_config_selectorIiNS0_10empty_typeEEEZZNS1_27merge_sort_block_merge_implIS3_PiPS5_jNS1_19radix_merge_compareILb0ELb1EiNS0_19identity_decomposerEEEEE10hipError_tT0_T1_T2_jT3_P12ihipStream_tbPNSt15iterator_traitsISE_E10value_typeEPNSK_ISF_E10value_typeEPSG_NS1_7vsmem_tEENKUlT_SE_SF_SG_E_clIS8_S8_S9_S9_EESD_ST_SE_SF_SG_EUlST_E1_NS1_11comp_targetILNS1_3genE10ELNS1_11target_archE1201ELNS1_3gpuE5ELNS1_3repE0EEENS1_36merge_oddeven_config_static_selectorELNS0_4arch9wavefront6targetE0EEEvSF_.numbered_sgpr, 0
	.set _ZN7rocprim17ROCPRIM_400000_NS6detail17trampoline_kernelINS0_14default_configENS1_38merge_sort_block_merge_config_selectorIiNS0_10empty_typeEEEZZNS1_27merge_sort_block_merge_implIS3_PiPS5_jNS1_19radix_merge_compareILb0ELb1EiNS0_19identity_decomposerEEEEE10hipError_tT0_T1_T2_jT3_P12ihipStream_tbPNSt15iterator_traitsISE_E10value_typeEPNSK_ISF_E10value_typeEPSG_NS1_7vsmem_tEENKUlT_SE_SF_SG_E_clIS8_S8_S9_S9_EESD_ST_SE_SF_SG_EUlST_E1_NS1_11comp_targetILNS1_3genE10ELNS1_11target_archE1201ELNS1_3gpuE5ELNS1_3repE0EEENS1_36merge_oddeven_config_static_selectorELNS0_4arch9wavefront6targetE0EEEvSF_.num_named_barrier, 0
	.set _ZN7rocprim17ROCPRIM_400000_NS6detail17trampoline_kernelINS0_14default_configENS1_38merge_sort_block_merge_config_selectorIiNS0_10empty_typeEEEZZNS1_27merge_sort_block_merge_implIS3_PiPS5_jNS1_19radix_merge_compareILb0ELb1EiNS0_19identity_decomposerEEEEE10hipError_tT0_T1_T2_jT3_P12ihipStream_tbPNSt15iterator_traitsISE_E10value_typeEPNSK_ISF_E10value_typeEPSG_NS1_7vsmem_tEENKUlT_SE_SF_SG_E_clIS8_S8_S9_S9_EESD_ST_SE_SF_SG_EUlST_E1_NS1_11comp_targetILNS1_3genE10ELNS1_11target_archE1201ELNS1_3gpuE5ELNS1_3repE0EEENS1_36merge_oddeven_config_static_selectorELNS0_4arch9wavefront6targetE0EEEvSF_.private_seg_size, 0
	.set _ZN7rocprim17ROCPRIM_400000_NS6detail17trampoline_kernelINS0_14default_configENS1_38merge_sort_block_merge_config_selectorIiNS0_10empty_typeEEEZZNS1_27merge_sort_block_merge_implIS3_PiPS5_jNS1_19radix_merge_compareILb0ELb1EiNS0_19identity_decomposerEEEEE10hipError_tT0_T1_T2_jT3_P12ihipStream_tbPNSt15iterator_traitsISE_E10value_typeEPNSK_ISF_E10value_typeEPSG_NS1_7vsmem_tEENKUlT_SE_SF_SG_E_clIS8_S8_S9_S9_EESD_ST_SE_SF_SG_EUlST_E1_NS1_11comp_targetILNS1_3genE10ELNS1_11target_archE1201ELNS1_3gpuE5ELNS1_3repE0EEENS1_36merge_oddeven_config_static_selectorELNS0_4arch9wavefront6targetE0EEEvSF_.uses_vcc, 0
	.set _ZN7rocprim17ROCPRIM_400000_NS6detail17trampoline_kernelINS0_14default_configENS1_38merge_sort_block_merge_config_selectorIiNS0_10empty_typeEEEZZNS1_27merge_sort_block_merge_implIS3_PiPS5_jNS1_19radix_merge_compareILb0ELb1EiNS0_19identity_decomposerEEEEE10hipError_tT0_T1_T2_jT3_P12ihipStream_tbPNSt15iterator_traitsISE_E10value_typeEPNSK_ISF_E10value_typeEPSG_NS1_7vsmem_tEENKUlT_SE_SF_SG_E_clIS8_S8_S9_S9_EESD_ST_SE_SF_SG_EUlST_E1_NS1_11comp_targetILNS1_3genE10ELNS1_11target_archE1201ELNS1_3gpuE5ELNS1_3repE0EEENS1_36merge_oddeven_config_static_selectorELNS0_4arch9wavefront6targetE0EEEvSF_.uses_flat_scratch, 0
	.set _ZN7rocprim17ROCPRIM_400000_NS6detail17trampoline_kernelINS0_14default_configENS1_38merge_sort_block_merge_config_selectorIiNS0_10empty_typeEEEZZNS1_27merge_sort_block_merge_implIS3_PiPS5_jNS1_19radix_merge_compareILb0ELb1EiNS0_19identity_decomposerEEEEE10hipError_tT0_T1_T2_jT3_P12ihipStream_tbPNSt15iterator_traitsISE_E10value_typeEPNSK_ISF_E10value_typeEPSG_NS1_7vsmem_tEENKUlT_SE_SF_SG_E_clIS8_S8_S9_S9_EESD_ST_SE_SF_SG_EUlST_E1_NS1_11comp_targetILNS1_3genE10ELNS1_11target_archE1201ELNS1_3gpuE5ELNS1_3repE0EEENS1_36merge_oddeven_config_static_selectorELNS0_4arch9wavefront6targetE0EEEvSF_.has_dyn_sized_stack, 0
	.set _ZN7rocprim17ROCPRIM_400000_NS6detail17trampoline_kernelINS0_14default_configENS1_38merge_sort_block_merge_config_selectorIiNS0_10empty_typeEEEZZNS1_27merge_sort_block_merge_implIS3_PiPS5_jNS1_19radix_merge_compareILb0ELb1EiNS0_19identity_decomposerEEEEE10hipError_tT0_T1_T2_jT3_P12ihipStream_tbPNSt15iterator_traitsISE_E10value_typeEPNSK_ISF_E10value_typeEPSG_NS1_7vsmem_tEENKUlT_SE_SF_SG_E_clIS8_S8_S9_S9_EESD_ST_SE_SF_SG_EUlST_E1_NS1_11comp_targetILNS1_3genE10ELNS1_11target_archE1201ELNS1_3gpuE5ELNS1_3repE0EEENS1_36merge_oddeven_config_static_selectorELNS0_4arch9wavefront6targetE0EEEvSF_.has_recursion, 0
	.set _ZN7rocprim17ROCPRIM_400000_NS6detail17trampoline_kernelINS0_14default_configENS1_38merge_sort_block_merge_config_selectorIiNS0_10empty_typeEEEZZNS1_27merge_sort_block_merge_implIS3_PiPS5_jNS1_19radix_merge_compareILb0ELb1EiNS0_19identity_decomposerEEEEE10hipError_tT0_T1_T2_jT3_P12ihipStream_tbPNSt15iterator_traitsISE_E10value_typeEPNSK_ISF_E10value_typeEPSG_NS1_7vsmem_tEENKUlT_SE_SF_SG_E_clIS8_S8_S9_S9_EESD_ST_SE_SF_SG_EUlST_E1_NS1_11comp_targetILNS1_3genE10ELNS1_11target_archE1201ELNS1_3gpuE5ELNS1_3repE0EEENS1_36merge_oddeven_config_static_selectorELNS0_4arch9wavefront6targetE0EEEvSF_.has_indirect_call, 0
	.section	.AMDGPU.csdata,"",@progbits
; Kernel info:
; codeLenInByte = 0
; TotalNumSgprs: 0
; NumVgprs: 0
; ScratchSize: 0
; MemoryBound: 0
; FloatMode: 240
; IeeeMode: 1
; LDSByteSize: 0 bytes/workgroup (compile time only)
; SGPRBlocks: 0
; VGPRBlocks: 0
; NumSGPRsForWavesPerEU: 1
; NumVGPRsForWavesPerEU: 1
; NamedBarCnt: 0
; Occupancy: 16
; WaveLimiterHint : 0
; COMPUTE_PGM_RSRC2:SCRATCH_EN: 0
; COMPUTE_PGM_RSRC2:USER_SGPR: 2
; COMPUTE_PGM_RSRC2:TRAP_HANDLER: 0
; COMPUTE_PGM_RSRC2:TGID_X_EN: 1
; COMPUTE_PGM_RSRC2:TGID_Y_EN: 0
; COMPUTE_PGM_RSRC2:TGID_Z_EN: 0
; COMPUTE_PGM_RSRC2:TIDIG_COMP_CNT: 0
	.section	.text._ZN7rocprim17ROCPRIM_400000_NS6detail17trampoline_kernelINS0_14default_configENS1_38merge_sort_block_merge_config_selectorIiNS0_10empty_typeEEEZZNS1_27merge_sort_block_merge_implIS3_PiPS5_jNS1_19radix_merge_compareILb0ELb1EiNS0_19identity_decomposerEEEEE10hipError_tT0_T1_T2_jT3_P12ihipStream_tbPNSt15iterator_traitsISE_E10value_typeEPNSK_ISF_E10value_typeEPSG_NS1_7vsmem_tEENKUlT_SE_SF_SG_E_clIS8_S8_S9_S9_EESD_ST_SE_SF_SG_EUlST_E1_NS1_11comp_targetILNS1_3genE5ELNS1_11target_archE942ELNS1_3gpuE9ELNS1_3repE0EEENS1_36merge_oddeven_config_static_selectorELNS0_4arch9wavefront6targetE0EEEvSF_,"axG",@progbits,_ZN7rocprim17ROCPRIM_400000_NS6detail17trampoline_kernelINS0_14default_configENS1_38merge_sort_block_merge_config_selectorIiNS0_10empty_typeEEEZZNS1_27merge_sort_block_merge_implIS3_PiPS5_jNS1_19radix_merge_compareILb0ELb1EiNS0_19identity_decomposerEEEEE10hipError_tT0_T1_T2_jT3_P12ihipStream_tbPNSt15iterator_traitsISE_E10value_typeEPNSK_ISF_E10value_typeEPSG_NS1_7vsmem_tEENKUlT_SE_SF_SG_E_clIS8_S8_S9_S9_EESD_ST_SE_SF_SG_EUlST_E1_NS1_11comp_targetILNS1_3genE5ELNS1_11target_archE942ELNS1_3gpuE9ELNS1_3repE0EEENS1_36merge_oddeven_config_static_selectorELNS0_4arch9wavefront6targetE0EEEvSF_,comdat
	.protected	_ZN7rocprim17ROCPRIM_400000_NS6detail17trampoline_kernelINS0_14default_configENS1_38merge_sort_block_merge_config_selectorIiNS0_10empty_typeEEEZZNS1_27merge_sort_block_merge_implIS3_PiPS5_jNS1_19radix_merge_compareILb0ELb1EiNS0_19identity_decomposerEEEEE10hipError_tT0_T1_T2_jT3_P12ihipStream_tbPNSt15iterator_traitsISE_E10value_typeEPNSK_ISF_E10value_typeEPSG_NS1_7vsmem_tEENKUlT_SE_SF_SG_E_clIS8_S8_S9_S9_EESD_ST_SE_SF_SG_EUlST_E1_NS1_11comp_targetILNS1_3genE5ELNS1_11target_archE942ELNS1_3gpuE9ELNS1_3repE0EEENS1_36merge_oddeven_config_static_selectorELNS0_4arch9wavefront6targetE0EEEvSF_ ; -- Begin function _ZN7rocprim17ROCPRIM_400000_NS6detail17trampoline_kernelINS0_14default_configENS1_38merge_sort_block_merge_config_selectorIiNS0_10empty_typeEEEZZNS1_27merge_sort_block_merge_implIS3_PiPS5_jNS1_19radix_merge_compareILb0ELb1EiNS0_19identity_decomposerEEEEE10hipError_tT0_T1_T2_jT3_P12ihipStream_tbPNSt15iterator_traitsISE_E10value_typeEPNSK_ISF_E10value_typeEPSG_NS1_7vsmem_tEENKUlT_SE_SF_SG_E_clIS8_S8_S9_S9_EESD_ST_SE_SF_SG_EUlST_E1_NS1_11comp_targetILNS1_3genE5ELNS1_11target_archE942ELNS1_3gpuE9ELNS1_3repE0EEENS1_36merge_oddeven_config_static_selectorELNS0_4arch9wavefront6targetE0EEEvSF_
	.globl	_ZN7rocprim17ROCPRIM_400000_NS6detail17trampoline_kernelINS0_14default_configENS1_38merge_sort_block_merge_config_selectorIiNS0_10empty_typeEEEZZNS1_27merge_sort_block_merge_implIS3_PiPS5_jNS1_19radix_merge_compareILb0ELb1EiNS0_19identity_decomposerEEEEE10hipError_tT0_T1_T2_jT3_P12ihipStream_tbPNSt15iterator_traitsISE_E10value_typeEPNSK_ISF_E10value_typeEPSG_NS1_7vsmem_tEENKUlT_SE_SF_SG_E_clIS8_S8_S9_S9_EESD_ST_SE_SF_SG_EUlST_E1_NS1_11comp_targetILNS1_3genE5ELNS1_11target_archE942ELNS1_3gpuE9ELNS1_3repE0EEENS1_36merge_oddeven_config_static_selectorELNS0_4arch9wavefront6targetE0EEEvSF_
	.p2align	8
	.type	_ZN7rocprim17ROCPRIM_400000_NS6detail17trampoline_kernelINS0_14default_configENS1_38merge_sort_block_merge_config_selectorIiNS0_10empty_typeEEEZZNS1_27merge_sort_block_merge_implIS3_PiPS5_jNS1_19radix_merge_compareILb0ELb1EiNS0_19identity_decomposerEEEEE10hipError_tT0_T1_T2_jT3_P12ihipStream_tbPNSt15iterator_traitsISE_E10value_typeEPNSK_ISF_E10value_typeEPSG_NS1_7vsmem_tEENKUlT_SE_SF_SG_E_clIS8_S8_S9_S9_EESD_ST_SE_SF_SG_EUlST_E1_NS1_11comp_targetILNS1_3genE5ELNS1_11target_archE942ELNS1_3gpuE9ELNS1_3repE0EEENS1_36merge_oddeven_config_static_selectorELNS0_4arch9wavefront6targetE0EEEvSF_,@function
_ZN7rocprim17ROCPRIM_400000_NS6detail17trampoline_kernelINS0_14default_configENS1_38merge_sort_block_merge_config_selectorIiNS0_10empty_typeEEEZZNS1_27merge_sort_block_merge_implIS3_PiPS5_jNS1_19radix_merge_compareILb0ELb1EiNS0_19identity_decomposerEEEEE10hipError_tT0_T1_T2_jT3_P12ihipStream_tbPNSt15iterator_traitsISE_E10value_typeEPNSK_ISF_E10value_typeEPSG_NS1_7vsmem_tEENKUlT_SE_SF_SG_E_clIS8_S8_S9_S9_EESD_ST_SE_SF_SG_EUlST_E1_NS1_11comp_targetILNS1_3genE5ELNS1_11target_archE942ELNS1_3gpuE9ELNS1_3repE0EEENS1_36merge_oddeven_config_static_selectorELNS0_4arch9wavefront6targetE0EEEvSF_: ; @_ZN7rocprim17ROCPRIM_400000_NS6detail17trampoline_kernelINS0_14default_configENS1_38merge_sort_block_merge_config_selectorIiNS0_10empty_typeEEEZZNS1_27merge_sort_block_merge_implIS3_PiPS5_jNS1_19radix_merge_compareILb0ELb1EiNS0_19identity_decomposerEEEEE10hipError_tT0_T1_T2_jT3_P12ihipStream_tbPNSt15iterator_traitsISE_E10value_typeEPNSK_ISF_E10value_typeEPSG_NS1_7vsmem_tEENKUlT_SE_SF_SG_E_clIS8_S8_S9_S9_EESD_ST_SE_SF_SG_EUlST_E1_NS1_11comp_targetILNS1_3genE5ELNS1_11target_archE942ELNS1_3gpuE9ELNS1_3repE0EEENS1_36merge_oddeven_config_static_selectorELNS0_4arch9wavefront6targetE0EEEvSF_
; %bb.0:
	.section	.rodata,"a",@progbits
	.p2align	6, 0x0
	.amdhsa_kernel _ZN7rocprim17ROCPRIM_400000_NS6detail17trampoline_kernelINS0_14default_configENS1_38merge_sort_block_merge_config_selectorIiNS0_10empty_typeEEEZZNS1_27merge_sort_block_merge_implIS3_PiPS5_jNS1_19radix_merge_compareILb0ELb1EiNS0_19identity_decomposerEEEEE10hipError_tT0_T1_T2_jT3_P12ihipStream_tbPNSt15iterator_traitsISE_E10value_typeEPNSK_ISF_E10value_typeEPSG_NS1_7vsmem_tEENKUlT_SE_SF_SG_E_clIS8_S8_S9_S9_EESD_ST_SE_SF_SG_EUlST_E1_NS1_11comp_targetILNS1_3genE5ELNS1_11target_archE942ELNS1_3gpuE9ELNS1_3repE0EEENS1_36merge_oddeven_config_static_selectorELNS0_4arch9wavefront6targetE0EEEvSF_
		.amdhsa_group_segment_fixed_size 0
		.amdhsa_private_segment_fixed_size 0
		.amdhsa_kernarg_size 48
		.amdhsa_user_sgpr_count 2
		.amdhsa_user_sgpr_dispatch_ptr 0
		.amdhsa_user_sgpr_queue_ptr 0
		.amdhsa_user_sgpr_kernarg_segment_ptr 1
		.amdhsa_user_sgpr_dispatch_id 0
		.amdhsa_user_sgpr_kernarg_preload_length 0
		.amdhsa_user_sgpr_kernarg_preload_offset 0
		.amdhsa_user_sgpr_private_segment_size 0
		.amdhsa_wavefront_size32 1
		.amdhsa_uses_dynamic_stack 0
		.amdhsa_enable_private_segment 0
		.amdhsa_system_sgpr_workgroup_id_x 1
		.amdhsa_system_sgpr_workgroup_id_y 0
		.amdhsa_system_sgpr_workgroup_id_z 0
		.amdhsa_system_sgpr_workgroup_info 0
		.amdhsa_system_vgpr_workitem_id 0
		.amdhsa_next_free_vgpr 1
		.amdhsa_next_free_sgpr 1
		.amdhsa_named_barrier_count 0
		.amdhsa_reserve_vcc 0
		.amdhsa_float_round_mode_32 0
		.amdhsa_float_round_mode_16_64 0
		.amdhsa_float_denorm_mode_32 3
		.amdhsa_float_denorm_mode_16_64 3
		.amdhsa_fp16_overflow 0
		.amdhsa_memory_ordered 1
		.amdhsa_forward_progress 1
		.amdhsa_inst_pref_size 0
		.amdhsa_round_robin_scheduling 0
		.amdhsa_exception_fp_ieee_invalid_op 0
		.amdhsa_exception_fp_denorm_src 0
		.amdhsa_exception_fp_ieee_div_zero 0
		.amdhsa_exception_fp_ieee_overflow 0
		.amdhsa_exception_fp_ieee_underflow 0
		.amdhsa_exception_fp_ieee_inexact 0
		.amdhsa_exception_int_div_zero 0
	.end_amdhsa_kernel
	.section	.text._ZN7rocprim17ROCPRIM_400000_NS6detail17trampoline_kernelINS0_14default_configENS1_38merge_sort_block_merge_config_selectorIiNS0_10empty_typeEEEZZNS1_27merge_sort_block_merge_implIS3_PiPS5_jNS1_19radix_merge_compareILb0ELb1EiNS0_19identity_decomposerEEEEE10hipError_tT0_T1_T2_jT3_P12ihipStream_tbPNSt15iterator_traitsISE_E10value_typeEPNSK_ISF_E10value_typeEPSG_NS1_7vsmem_tEENKUlT_SE_SF_SG_E_clIS8_S8_S9_S9_EESD_ST_SE_SF_SG_EUlST_E1_NS1_11comp_targetILNS1_3genE5ELNS1_11target_archE942ELNS1_3gpuE9ELNS1_3repE0EEENS1_36merge_oddeven_config_static_selectorELNS0_4arch9wavefront6targetE0EEEvSF_,"axG",@progbits,_ZN7rocprim17ROCPRIM_400000_NS6detail17trampoline_kernelINS0_14default_configENS1_38merge_sort_block_merge_config_selectorIiNS0_10empty_typeEEEZZNS1_27merge_sort_block_merge_implIS3_PiPS5_jNS1_19radix_merge_compareILb0ELb1EiNS0_19identity_decomposerEEEEE10hipError_tT0_T1_T2_jT3_P12ihipStream_tbPNSt15iterator_traitsISE_E10value_typeEPNSK_ISF_E10value_typeEPSG_NS1_7vsmem_tEENKUlT_SE_SF_SG_E_clIS8_S8_S9_S9_EESD_ST_SE_SF_SG_EUlST_E1_NS1_11comp_targetILNS1_3genE5ELNS1_11target_archE942ELNS1_3gpuE9ELNS1_3repE0EEENS1_36merge_oddeven_config_static_selectorELNS0_4arch9wavefront6targetE0EEEvSF_,comdat
.Lfunc_end936:
	.size	_ZN7rocprim17ROCPRIM_400000_NS6detail17trampoline_kernelINS0_14default_configENS1_38merge_sort_block_merge_config_selectorIiNS0_10empty_typeEEEZZNS1_27merge_sort_block_merge_implIS3_PiPS5_jNS1_19radix_merge_compareILb0ELb1EiNS0_19identity_decomposerEEEEE10hipError_tT0_T1_T2_jT3_P12ihipStream_tbPNSt15iterator_traitsISE_E10value_typeEPNSK_ISF_E10value_typeEPSG_NS1_7vsmem_tEENKUlT_SE_SF_SG_E_clIS8_S8_S9_S9_EESD_ST_SE_SF_SG_EUlST_E1_NS1_11comp_targetILNS1_3genE5ELNS1_11target_archE942ELNS1_3gpuE9ELNS1_3repE0EEENS1_36merge_oddeven_config_static_selectorELNS0_4arch9wavefront6targetE0EEEvSF_, .Lfunc_end936-_ZN7rocprim17ROCPRIM_400000_NS6detail17trampoline_kernelINS0_14default_configENS1_38merge_sort_block_merge_config_selectorIiNS0_10empty_typeEEEZZNS1_27merge_sort_block_merge_implIS3_PiPS5_jNS1_19radix_merge_compareILb0ELb1EiNS0_19identity_decomposerEEEEE10hipError_tT0_T1_T2_jT3_P12ihipStream_tbPNSt15iterator_traitsISE_E10value_typeEPNSK_ISF_E10value_typeEPSG_NS1_7vsmem_tEENKUlT_SE_SF_SG_E_clIS8_S8_S9_S9_EESD_ST_SE_SF_SG_EUlST_E1_NS1_11comp_targetILNS1_3genE5ELNS1_11target_archE942ELNS1_3gpuE9ELNS1_3repE0EEENS1_36merge_oddeven_config_static_selectorELNS0_4arch9wavefront6targetE0EEEvSF_
                                        ; -- End function
	.set _ZN7rocprim17ROCPRIM_400000_NS6detail17trampoline_kernelINS0_14default_configENS1_38merge_sort_block_merge_config_selectorIiNS0_10empty_typeEEEZZNS1_27merge_sort_block_merge_implIS3_PiPS5_jNS1_19radix_merge_compareILb0ELb1EiNS0_19identity_decomposerEEEEE10hipError_tT0_T1_T2_jT3_P12ihipStream_tbPNSt15iterator_traitsISE_E10value_typeEPNSK_ISF_E10value_typeEPSG_NS1_7vsmem_tEENKUlT_SE_SF_SG_E_clIS8_S8_S9_S9_EESD_ST_SE_SF_SG_EUlST_E1_NS1_11comp_targetILNS1_3genE5ELNS1_11target_archE942ELNS1_3gpuE9ELNS1_3repE0EEENS1_36merge_oddeven_config_static_selectorELNS0_4arch9wavefront6targetE0EEEvSF_.num_vgpr, 0
	.set _ZN7rocprim17ROCPRIM_400000_NS6detail17trampoline_kernelINS0_14default_configENS1_38merge_sort_block_merge_config_selectorIiNS0_10empty_typeEEEZZNS1_27merge_sort_block_merge_implIS3_PiPS5_jNS1_19radix_merge_compareILb0ELb1EiNS0_19identity_decomposerEEEEE10hipError_tT0_T1_T2_jT3_P12ihipStream_tbPNSt15iterator_traitsISE_E10value_typeEPNSK_ISF_E10value_typeEPSG_NS1_7vsmem_tEENKUlT_SE_SF_SG_E_clIS8_S8_S9_S9_EESD_ST_SE_SF_SG_EUlST_E1_NS1_11comp_targetILNS1_3genE5ELNS1_11target_archE942ELNS1_3gpuE9ELNS1_3repE0EEENS1_36merge_oddeven_config_static_selectorELNS0_4arch9wavefront6targetE0EEEvSF_.num_agpr, 0
	.set _ZN7rocprim17ROCPRIM_400000_NS6detail17trampoline_kernelINS0_14default_configENS1_38merge_sort_block_merge_config_selectorIiNS0_10empty_typeEEEZZNS1_27merge_sort_block_merge_implIS3_PiPS5_jNS1_19radix_merge_compareILb0ELb1EiNS0_19identity_decomposerEEEEE10hipError_tT0_T1_T2_jT3_P12ihipStream_tbPNSt15iterator_traitsISE_E10value_typeEPNSK_ISF_E10value_typeEPSG_NS1_7vsmem_tEENKUlT_SE_SF_SG_E_clIS8_S8_S9_S9_EESD_ST_SE_SF_SG_EUlST_E1_NS1_11comp_targetILNS1_3genE5ELNS1_11target_archE942ELNS1_3gpuE9ELNS1_3repE0EEENS1_36merge_oddeven_config_static_selectorELNS0_4arch9wavefront6targetE0EEEvSF_.numbered_sgpr, 0
	.set _ZN7rocprim17ROCPRIM_400000_NS6detail17trampoline_kernelINS0_14default_configENS1_38merge_sort_block_merge_config_selectorIiNS0_10empty_typeEEEZZNS1_27merge_sort_block_merge_implIS3_PiPS5_jNS1_19radix_merge_compareILb0ELb1EiNS0_19identity_decomposerEEEEE10hipError_tT0_T1_T2_jT3_P12ihipStream_tbPNSt15iterator_traitsISE_E10value_typeEPNSK_ISF_E10value_typeEPSG_NS1_7vsmem_tEENKUlT_SE_SF_SG_E_clIS8_S8_S9_S9_EESD_ST_SE_SF_SG_EUlST_E1_NS1_11comp_targetILNS1_3genE5ELNS1_11target_archE942ELNS1_3gpuE9ELNS1_3repE0EEENS1_36merge_oddeven_config_static_selectorELNS0_4arch9wavefront6targetE0EEEvSF_.num_named_barrier, 0
	.set _ZN7rocprim17ROCPRIM_400000_NS6detail17trampoline_kernelINS0_14default_configENS1_38merge_sort_block_merge_config_selectorIiNS0_10empty_typeEEEZZNS1_27merge_sort_block_merge_implIS3_PiPS5_jNS1_19radix_merge_compareILb0ELb1EiNS0_19identity_decomposerEEEEE10hipError_tT0_T1_T2_jT3_P12ihipStream_tbPNSt15iterator_traitsISE_E10value_typeEPNSK_ISF_E10value_typeEPSG_NS1_7vsmem_tEENKUlT_SE_SF_SG_E_clIS8_S8_S9_S9_EESD_ST_SE_SF_SG_EUlST_E1_NS1_11comp_targetILNS1_3genE5ELNS1_11target_archE942ELNS1_3gpuE9ELNS1_3repE0EEENS1_36merge_oddeven_config_static_selectorELNS0_4arch9wavefront6targetE0EEEvSF_.private_seg_size, 0
	.set _ZN7rocprim17ROCPRIM_400000_NS6detail17trampoline_kernelINS0_14default_configENS1_38merge_sort_block_merge_config_selectorIiNS0_10empty_typeEEEZZNS1_27merge_sort_block_merge_implIS3_PiPS5_jNS1_19radix_merge_compareILb0ELb1EiNS0_19identity_decomposerEEEEE10hipError_tT0_T1_T2_jT3_P12ihipStream_tbPNSt15iterator_traitsISE_E10value_typeEPNSK_ISF_E10value_typeEPSG_NS1_7vsmem_tEENKUlT_SE_SF_SG_E_clIS8_S8_S9_S9_EESD_ST_SE_SF_SG_EUlST_E1_NS1_11comp_targetILNS1_3genE5ELNS1_11target_archE942ELNS1_3gpuE9ELNS1_3repE0EEENS1_36merge_oddeven_config_static_selectorELNS0_4arch9wavefront6targetE0EEEvSF_.uses_vcc, 0
	.set _ZN7rocprim17ROCPRIM_400000_NS6detail17trampoline_kernelINS0_14default_configENS1_38merge_sort_block_merge_config_selectorIiNS0_10empty_typeEEEZZNS1_27merge_sort_block_merge_implIS3_PiPS5_jNS1_19radix_merge_compareILb0ELb1EiNS0_19identity_decomposerEEEEE10hipError_tT0_T1_T2_jT3_P12ihipStream_tbPNSt15iterator_traitsISE_E10value_typeEPNSK_ISF_E10value_typeEPSG_NS1_7vsmem_tEENKUlT_SE_SF_SG_E_clIS8_S8_S9_S9_EESD_ST_SE_SF_SG_EUlST_E1_NS1_11comp_targetILNS1_3genE5ELNS1_11target_archE942ELNS1_3gpuE9ELNS1_3repE0EEENS1_36merge_oddeven_config_static_selectorELNS0_4arch9wavefront6targetE0EEEvSF_.uses_flat_scratch, 0
	.set _ZN7rocprim17ROCPRIM_400000_NS6detail17trampoline_kernelINS0_14default_configENS1_38merge_sort_block_merge_config_selectorIiNS0_10empty_typeEEEZZNS1_27merge_sort_block_merge_implIS3_PiPS5_jNS1_19radix_merge_compareILb0ELb1EiNS0_19identity_decomposerEEEEE10hipError_tT0_T1_T2_jT3_P12ihipStream_tbPNSt15iterator_traitsISE_E10value_typeEPNSK_ISF_E10value_typeEPSG_NS1_7vsmem_tEENKUlT_SE_SF_SG_E_clIS8_S8_S9_S9_EESD_ST_SE_SF_SG_EUlST_E1_NS1_11comp_targetILNS1_3genE5ELNS1_11target_archE942ELNS1_3gpuE9ELNS1_3repE0EEENS1_36merge_oddeven_config_static_selectorELNS0_4arch9wavefront6targetE0EEEvSF_.has_dyn_sized_stack, 0
	.set _ZN7rocprim17ROCPRIM_400000_NS6detail17trampoline_kernelINS0_14default_configENS1_38merge_sort_block_merge_config_selectorIiNS0_10empty_typeEEEZZNS1_27merge_sort_block_merge_implIS3_PiPS5_jNS1_19radix_merge_compareILb0ELb1EiNS0_19identity_decomposerEEEEE10hipError_tT0_T1_T2_jT3_P12ihipStream_tbPNSt15iterator_traitsISE_E10value_typeEPNSK_ISF_E10value_typeEPSG_NS1_7vsmem_tEENKUlT_SE_SF_SG_E_clIS8_S8_S9_S9_EESD_ST_SE_SF_SG_EUlST_E1_NS1_11comp_targetILNS1_3genE5ELNS1_11target_archE942ELNS1_3gpuE9ELNS1_3repE0EEENS1_36merge_oddeven_config_static_selectorELNS0_4arch9wavefront6targetE0EEEvSF_.has_recursion, 0
	.set _ZN7rocprim17ROCPRIM_400000_NS6detail17trampoline_kernelINS0_14default_configENS1_38merge_sort_block_merge_config_selectorIiNS0_10empty_typeEEEZZNS1_27merge_sort_block_merge_implIS3_PiPS5_jNS1_19radix_merge_compareILb0ELb1EiNS0_19identity_decomposerEEEEE10hipError_tT0_T1_T2_jT3_P12ihipStream_tbPNSt15iterator_traitsISE_E10value_typeEPNSK_ISF_E10value_typeEPSG_NS1_7vsmem_tEENKUlT_SE_SF_SG_E_clIS8_S8_S9_S9_EESD_ST_SE_SF_SG_EUlST_E1_NS1_11comp_targetILNS1_3genE5ELNS1_11target_archE942ELNS1_3gpuE9ELNS1_3repE0EEENS1_36merge_oddeven_config_static_selectorELNS0_4arch9wavefront6targetE0EEEvSF_.has_indirect_call, 0
	.section	.AMDGPU.csdata,"",@progbits
; Kernel info:
; codeLenInByte = 0
; TotalNumSgprs: 0
; NumVgprs: 0
; ScratchSize: 0
; MemoryBound: 0
; FloatMode: 240
; IeeeMode: 1
; LDSByteSize: 0 bytes/workgroup (compile time only)
; SGPRBlocks: 0
; VGPRBlocks: 0
; NumSGPRsForWavesPerEU: 1
; NumVGPRsForWavesPerEU: 1
; NamedBarCnt: 0
; Occupancy: 16
; WaveLimiterHint : 0
; COMPUTE_PGM_RSRC2:SCRATCH_EN: 0
; COMPUTE_PGM_RSRC2:USER_SGPR: 2
; COMPUTE_PGM_RSRC2:TRAP_HANDLER: 0
; COMPUTE_PGM_RSRC2:TGID_X_EN: 1
; COMPUTE_PGM_RSRC2:TGID_Y_EN: 0
; COMPUTE_PGM_RSRC2:TGID_Z_EN: 0
; COMPUTE_PGM_RSRC2:TIDIG_COMP_CNT: 0
	.section	.text._ZN7rocprim17ROCPRIM_400000_NS6detail17trampoline_kernelINS0_14default_configENS1_38merge_sort_block_merge_config_selectorIiNS0_10empty_typeEEEZZNS1_27merge_sort_block_merge_implIS3_PiPS5_jNS1_19radix_merge_compareILb0ELb1EiNS0_19identity_decomposerEEEEE10hipError_tT0_T1_T2_jT3_P12ihipStream_tbPNSt15iterator_traitsISE_E10value_typeEPNSK_ISF_E10value_typeEPSG_NS1_7vsmem_tEENKUlT_SE_SF_SG_E_clIS8_S8_S9_S9_EESD_ST_SE_SF_SG_EUlST_E1_NS1_11comp_targetILNS1_3genE4ELNS1_11target_archE910ELNS1_3gpuE8ELNS1_3repE0EEENS1_36merge_oddeven_config_static_selectorELNS0_4arch9wavefront6targetE0EEEvSF_,"axG",@progbits,_ZN7rocprim17ROCPRIM_400000_NS6detail17trampoline_kernelINS0_14default_configENS1_38merge_sort_block_merge_config_selectorIiNS0_10empty_typeEEEZZNS1_27merge_sort_block_merge_implIS3_PiPS5_jNS1_19radix_merge_compareILb0ELb1EiNS0_19identity_decomposerEEEEE10hipError_tT0_T1_T2_jT3_P12ihipStream_tbPNSt15iterator_traitsISE_E10value_typeEPNSK_ISF_E10value_typeEPSG_NS1_7vsmem_tEENKUlT_SE_SF_SG_E_clIS8_S8_S9_S9_EESD_ST_SE_SF_SG_EUlST_E1_NS1_11comp_targetILNS1_3genE4ELNS1_11target_archE910ELNS1_3gpuE8ELNS1_3repE0EEENS1_36merge_oddeven_config_static_selectorELNS0_4arch9wavefront6targetE0EEEvSF_,comdat
	.protected	_ZN7rocprim17ROCPRIM_400000_NS6detail17trampoline_kernelINS0_14default_configENS1_38merge_sort_block_merge_config_selectorIiNS0_10empty_typeEEEZZNS1_27merge_sort_block_merge_implIS3_PiPS5_jNS1_19radix_merge_compareILb0ELb1EiNS0_19identity_decomposerEEEEE10hipError_tT0_T1_T2_jT3_P12ihipStream_tbPNSt15iterator_traitsISE_E10value_typeEPNSK_ISF_E10value_typeEPSG_NS1_7vsmem_tEENKUlT_SE_SF_SG_E_clIS8_S8_S9_S9_EESD_ST_SE_SF_SG_EUlST_E1_NS1_11comp_targetILNS1_3genE4ELNS1_11target_archE910ELNS1_3gpuE8ELNS1_3repE0EEENS1_36merge_oddeven_config_static_selectorELNS0_4arch9wavefront6targetE0EEEvSF_ ; -- Begin function _ZN7rocprim17ROCPRIM_400000_NS6detail17trampoline_kernelINS0_14default_configENS1_38merge_sort_block_merge_config_selectorIiNS0_10empty_typeEEEZZNS1_27merge_sort_block_merge_implIS3_PiPS5_jNS1_19radix_merge_compareILb0ELb1EiNS0_19identity_decomposerEEEEE10hipError_tT0_T1_T2_jT3_P12ihipStream_tbPNSt15iterator_traitsISE_E10value_typeEPNSK_ISF_E10value_typeEPSG_NS1_7vsmem_tEENKUlT_SE_SF_SG_E_clIS8_S8_S9_S9_EESD_ST_SE_SF_SG_EUlST_E1_NS1_11comp_targetILNS1_3genE4ELNS1_11target_archE910ELNS1_3gpuE8ELNS1_3repE0EEENS1_36merge_oddeven_config_static_selectorELNS0_4arch9wavefront6targetE0EEEvSF_
	.globl	_ZN7rocprim17ROCPRIM_400000_NS6detail17trampoline_kernelINS0_14default_configENS1_38merge_sort_block_merge_config_selectorIiNS0_10empty_typeEEEZZNS1_27merge_sort_block_merge_implIS3_PiPS5_jNS1_19radix_merge_compareILb0ELb1EiNS0_19identity_decomposerEEEEE10hipError_tT0_T1_T2_jT3_P12ihipStream_tbPNSt15iterator_traitsISE_E10value_typeEPNSK_ISF_E10value_typeEPSG_NS1_7vsmem_tEENKUlT_SE_SF_SG_E_clIS8_S8_S9_S9_EESD_ST_SE_SF_SG_EUlST_E1_NS1_11comp_targetILNS1_3genE4ELNS1_11target_archE910ELNS1_3gpuE8ELNS1_3repE0EEENS1_36merge_oddeven_config_static_selectorELNS0_4arch9wavefront6targetE0EEEvSF_
	.p2align	8
	.type	_ZN7rocprim17ROCPRIM_400000_NS6detail17trampoline_kernelINS0_14default_configENS1_38merge_sort_block_merge_config_selectorIiNS0_10empty_typeEEEZZNS1_27merge_sort_block_merge_implIS3_PiPS5_jNS1_19radix_merge_compareILb0ELb1EiNS0_19identity_decomposerEEEEE10hipError_tT0_T1_T2_jT3_P12ihipStream_tbPNSt15iterator_traitsISE_E10value_typeEPNSK_ISF_E10value_typeEPSG_NS1_7vsmem_tEENKUlT_SE_SF_SG_E_clIS8_S8_S9_S9_EESD_ST_SE_SF_SG_EUlST_E1_NS1_11comp_targetILNS1_3genE4ELNS1_11target_archE910ELNS1_3gpuE8ELNS1_3repE0EEENS1_36merge_oddeven_config_static_selectorELNS0_4arch9wavefront6targetE0EEEvSF_,@function
_ZN7rocprim17ROCPRIM_400000_NS6detail17trampoline_kernelINS0_14default_configENS1_38merge_sort_block_merge_config_selectorIiNS0_10empty_typeEEEZZNS1_27merge_sort_block_merge_implIS3_PiPS5_jNS1_19radix_merge_compareILb0ELb1EiNS0_19identity_decomposerEEEEE10hipError_tT0_T1_T2_jT3_P12ihipStream_tbPNSt15iterator_traitsISE_E10value_typeEPNSK_ISF_E10value_typeEPSG_NS1_7vsmem_tEENKUlT_SE_SF_SG_E_clIS8_S8_S9_S9_EESD_ST_SE_SF_SG_EUlST_E1_NS1_11comp_targetILNS1_3genE4ELNS1_11target_archE910ELNS1_3gpuE8ELNS1_3repE0EEENS1_36merge_oddeven_config_static_selectorELNS0_4arch9wavefront6targetE0EEEvSF_: ; @_ZN7rocprim17ROCPRIM_400000_NS6detail17trampoline_kernelINS0_14default_configENS1_38merge_sort_block_merge_config_selectorIiNS0_10empty_typeEEEZZNS1_27merge_sort_block_merge_implIS3_PiPS5_jNS1_19radix_merge_compareILb0ELb1EiNS0_19identity_decomposerEEEEE10hipError_tT0_T1_T2_jT3_P12ihipStream_tbPNSt15iterator_traitsISE_E10value_typeEPNSK_ISF_E10value_typeEPSG_NS1_7vsmem_tEENKUlT_SE_SF_SG_E_clIS8_S8_S9_S9_EESD_ST_SE_SF_SG_EUlST_E1_NS1_11comp_targetILNS1_3genE4ELNS1_11target_archE910ELNS1_3gpuE8ELNS1_3repE0EEENS1_36merge_oddeven_config_static_selectorELNS0_4arch9wavefront6targetE0EEEvSF_
; %bb.0:
	.section	.rodata,"a",@progbits
	.p2align	6, 0x0
	.amdhsa_kernel _ZN7rocprim17ROCPRIM_400000_NS6detail17trampoline_kernelINS0_14default_configENS1_38merge_sort_block_merge_config_selectorIiNS0_10empty_typeEEEZZNS1_27merge_sort_block_merge_implIS3_PiPS5_jNS1_19radix_merge_compareILb0ELb1EiNS0_19identity_decomposerEEEEE10hipError_tT0_T1_T2_jT3_P12ihipStream_tbPNSt15iterator_traitsISE_E10value_typeEPNSK_ISF_E10value_typeEPSG_NS1_7vsmem_tEENKUlT_SE_SF_SG_E_clIS8_S8_S9_S9_EESD_ST_SE_SF_SG_EUlST_E1_NS1_11comp_targetILNS1_3genE4ELNS1_11target_archE910ELNS1_3gpuE8ELNS1_3repE0EEENS1_36merge_oddeven_config_static_selectorELNS0_4arch9wavefront6targetE0EEEvSF_
		.amdhsa_group_segment_fixed_size 0
		.amdhsa_private_segment_fixed_size 0
		.amdhsa_kernarg_size 48
		.amdhsa_user_sgpr_count 2
		.amdhsa_user_sgpr_dispatch_ptr 0
		.amdhsa_user_sgpr_queue_ptr 0
		.amdhsa_user_sgpr_kernarg_segment_ptr 1
		.amdhsa_user_sgpr_dispatch_id 0
		.amdhsa_user_sgpr_kernarg_preload_length 0
		.amdhsa_user_sgpr_kernarg_preload_offset 0
		.amdhsa_user_sgpr_private_segment_size 0
		.amdhsa_wavefront_size32 1
		.amdhsa_uses_dynamic_stack 0
		.amdhsa_enable_private_segment 0
		.amdhsa_system_sgpr_workgroup_id_x 1
		.amdhsa_system_sgpr_workgroup_id_y 0
		.amdhsa_system_sgpr_workgroup_id_z 0
		.amdhsa_system_sgpr_workgroup_info 0
		.amdhsa_system_vgpr_workitem_id 0
		.amdhsa_next_free_vgpr 1
		.amdhsa_next_free_sgpr 1
		.amdhsa_named_barrier_count 0
		.amdhsa_reserve_vcc 0
		.amdhsa_float_round_mode_32 0
		.amdhsa_float_round_mode_16_64 0
		.amdhsa_float_denorm_mode_32 3
		.amdhsa_float_denorm_mode_16_64 3
		.amdhsa_fp16_overflow 0
		.amdhsa_memory_ordered 1
		.amdhsa_forward_progress 1
		.amdhsa_inst_pref_size 0
		.amdhsa_round_robin_scheduling 0
		.amdhsa_exception_fp_ieee_invalid_op 0
		.amdhsa_exception_fp_denorm_src 0
		.amdhsa_exception_fp_ieee_div_zero 0
		.amdhsa_exception_fp_ieee_overflow 0
		.amdhsa_exception_fp_ieee_underflow 0
		.amdhsa_exception_fp_ieee_inexact 0
		.amdhsa_exception_int_div_zero 0
	.end_amdhsa_kernel
	.section	.text._ZN7rocprim17ROCPRIM_400000_NS6detail17trampoline_kernelINS0_14default_configENS1_38merge_sort_block_merge_config_selectorIiNS0_10empty_typeEEEZZNS1_27merge_sort_block_merge_implIS3_PiPS5_jNS1_19radix_merge_compareILb0ELb1EiNS0_19identity_decomposerEEEEE10hipError_tT0_T1_T2_jT3_P12ihipStream_tbPNSt15iterator_traitsISE_E10value_typeEPNSK_ISF_E10value_typeEPSG_NS1_7vsmem_tEENKUlT_SE_SF_SG_E_clIS8_S8_S9_S9_EESD_ST_SE_SF_SG_EUlST_E1_NS1_11comp_targetILNS1_3genE4ELNS1_11target_archE910ELNS1_3gpuE8ELNS1_3repE0EEENS1_36merge_oddeven_config_static_selectorELNS0_4arch9wavefront6targetE0EEEvSF_,"axG",@progbits,_ZN7rocprim17ROCPRIM_400000_NS6detail17trampoline_kernelINS0_14default_configENS1_38merge_sort_block_merge_config_selectorIiNS0_10empty_typeEEEZZNS1_27merge_sort_block_merge_implIS3_PiPS5_jNS1_19radix_merge_compareILb0ELb1EiNS0_19identity_decomposerEEEEE10hipError_tT0_T1_T2_jT3_P12ihipStream_tbPNSt15iterator_traitsISE_E10value_typeEPNSK_ISF_E10value_typeEPSG_NS1_7vsmem_tEENKUlT_SE_SF_SG_E_clIS8_S8_S9_S9_EESD_ST_SE_SF_SG_EUlST_E1_NS1_11comp_targetILNS1_3genE4ELNS1_11target_archE910ELNS1_3gpuE8ELNS1_3repE0EEENS1_36merge_oddeven_config_static_selectorELNS0_4arch9wavefront6targetE0EEEvSF_,comdat
.Lfunc_end937:
	.size	_ZN7rocprim17ROCPRIM_400000_NS6detail17trampoline_kernelINS0_14default_configENS1_38merge_sort_block_merge_config_selectorIiNS0_10empty_typeEEEZZNS1_27merge_sort_block_merge_implIS3_PiPS5_jNS1_19radix_merge_compareILb0ELb1EiNS0_19identity_decomposerEEEEE10hipError_tT0_T1_T2_jT3_P12ihipStream_tbPNSt15iterator_traitsISE_E10value_typeEPNSK_ISF_E10value_typeEPSG_NS1_7vsmem_tEENKUlT_SE_SF_SG_E_clIS8_S8_S9_S9_EESD_ST_SE_SF_SG_EUlST_E1_NS1_11comp_targetILNS1_3genE4ELNS1_11target_archE910ELNS1_3gpuE8ELNS1_3repE0EEENS1_36merge_oddeven_config_static_selectorELNS0_4arch9wavefront6targetE0EEEvSF_, .Lfunc_end937-_ZN7rocprim17ROCPRIM_400000_NS6detail17trampoline_kernelINS0_14default_configENS1_38merge_sort_block_merge_config_selectorIiNS0_10empty_typeEEEZZNS1_27merge_sort_block_merge_implIS3_PiPS5_jNS1_19radix_merge_compareILb0ELb1EiNS0_19identity_decomposerEEEEE10hipError_tT0_T1_T2_jT3_P12ihipStream_tbPNSt15iterator_traitsISE_E10value_typeEPNSK_ISF_E10value_typeEPSG_NS1_7vsmem_tEENKUlT_SE_SF_SG_E_clIS8_S8_S9_S9_EESD_ST_SE_SF_SG_EUlST_E1_NS1_11comp_targetILNS1_3genE4ELNS1_11target_archE910ELNS1_3gpuE8ELNS1_3repE0EEENS1_36merge_oddeven_config_static_selectorELNS0_4arch9wavefront6targetE0EEEvSF_
                                        ; -- End function
	.set _ZN7rocprim17ROCPRIM_400000_NS6detail17trampoline_kernelINS0_14default_configENS1_38merge_sort_block_merge_config_selectorIiNS0_10empty_typeEEEZZNS1_27merge_sort_block_merge_implIS3_PiPS5_jNS1_19radix_merge_compareILb0ELb1EiNS0_19identity_decomposerEEEEE10hipError_tT0_T1_T2_jT3_P12ihipStream_tbPNSt15iterator_traitsISE_E10value_typeEPNSK_ISF_E10value_typeEPSG_NS1_7vsmem_tEENKUlT_SE_SF_SG_E_clIS8_S8_S9_S9_EESD_ST_SE_SF_SG_EUlST_E1_NS1_11comp_targetILNS1_3genE4ELNS1_11target_archE910ELNS1_3gpuE8ELNS1_3repE0EEENS1_36merge_oddeven_config_static_selectorELNS0_4arch9wavefront6targetE0EEEvSF_.num_vgpr, 0
	.set _ZN7rocprim17ROCPRIM_400000_NS6detail17trampoline_kernelINS0_14default_configENS1_38merge_sort_block_merge_config_selectorIiNS0_10empty_typeEEEZZNS1_27merge_sort_block_merge_implIS3_PiPS5_jNS1_19radix_merge_compareILb0ELb1EiNS0_19identity_decomposerEEEEE10hipError_tT0_T1_T2_jT3_P12ihipStream_tbPNSt15iterator_traitsISE_E10value_typeEPNSK_ISF_E10value_typeEPSG_NS1_7vsmem_tEENKUlT_SE_SF_SG_E_clIS8_S8_S9_S9_EESD_ST_SE_SF_SG_EUlST_E1_NS1_11comp_targetILNS1_3genE4ELNS1_11target_archE910ELNS1_3gpuE8ELNS1_3repE0EEENS1_36merge_oddeven_config_static_selectorELNS0_4arch9wavefront6targetE0EEEvSF_.num_agpr, 0
	.set _ZN7rocprim17ROCPRIM_400000_NS6detail17trampoline_kernelINS0_14default_configENS1_38merge_sort_block_merge_config_selectorIiNS0_10empty_typeEEEZZNS1_27merge_sort_block_merge_implIS3_PiPS5_jNS1_19radix_merge_compareILb0ELb1EiNS0_19identity_decomposerEEEEE10hipError_tT0_T1_T2_jT3_P12ihipStream_tbPNSt15iterator_traitsISE_E10value_typeEPNSK_ISF_E10value_typeEPSG_NS1_7vsmem_tEENKUlT_SE_SF_SG_E_clIS8_S8_S9_S9_EESD_ST_SE_SF_SG_EUlST_E1_NS1_11comp_targetILNS1_3genE4ELNS1_11target_archE910ELNS1_3gpuE8ELNS1_3repE0EEENS1_36merge_oddeven_config_static_selectorELNS0_4arch9wavefront6targetE0EEEvSF_.numbered_sgpr, 0
	.set _ZN7rocprim17ROCPRIM_400000_NS6detail17trampoline_kernelINS0_14default_configENS1_38merge_sort_block_merge_config_selectorIiNS0_10empty_typeEEEZZNS1_27merge_sort_block_merge_implIS3_PiPS5_jNS1_19radix_merge_compareILb0ELb1EiNS0_19identity_decomposerEEEEE10hipError_tT0_T1_T2_jT3_P12ihipStream_tbPNSt15iterator_traitsISE_E10value_typeEPNSK_ISF_E10value_typeEPSG_NS1_7vsmem_tEENKUlT_SE_SF_SG_E_clIS8_S8_S9_S9_EESD_ST_SE_SF_SG_EUlST_E1_NS1_11comp_targetILNS1_3genE4ELNS1_11target_archE910ELNS1_3gpuE8ELNS1_3repE0EEENS1_36merge_oddeven_config_static_selectorELNS0_4arch9wavefront6targetE0EEEvSF_.num_named_barrier, 0
	.set _ZN7rocprim17ROCPRIM_400000_NS6detail17trampoline_kernelINS0_14default_configENS1_38merge_sort_block_merge_config_selectorIiNS0_10empty_typeEEEZZNS1_27merge_sort_block_merge_implIS3_PiPS5_jNS1_19radix_merge_compareILb0ELb1EiNS0_19identity_decomposerEEEEE10hipError_tT0_T1_T2_jT3_P12ihipStream_tbPNSt15iterator_traitsISE_E10value_typeEPNSK_ISF_E10value_typeEPSG_NS1_7vsmem_tEENKUlT_SE_SF_SG_E_clIS8_S8_S9_S9_EESD_ST_SE_SF_SG_EUlST_E1_NS1_11comp_targetILNS1_3genE4ELNS1_11target_archE910ELNS1_3gpuE8ELNS1_3repE0EEENS1_36merge_oddeven_config_static_selectorELNS0_4arch9wavefront6targetE0EEEvSF_.private_seg_size, 0
	.set _ZN7rocprim17ROCPRIM_400000_NS6detail17trampoline_kernelINS0_14default_configENS1_38merge_sort_block_merge_config_selectorIiNS0_10empty_typeEEEZZNS1_27merge_sort_block_merge_implIS3_PiPS5_jNS1_19radix_merge_compareILb0ELb1EiNS0_19identity_decomposerEEEEE10hipError_tT0_T1_T2_jT3_P12ihipStream_tbPNSt15iterator_traitsISE_E10value_typeEPNSK_ISF_E10value_typeEPSG_NS1_7vsmem_tEENKUlT_SE_SF_SG_E_clIS8_S8_S9_S9_EESD_ST_SE_SF_SG_EUlST_E1_NS1_11comp_targetILNS1_3genE4ELNS1_11target_archE910ELNS1_3gpuE8ELNS1_3repE0EEENS1_36merge_oddeven_config_static_selectorELNS0_4arch9wavefront6targetE0EEEvSF_.uses_vcc, 0
	.set _ZN7rocprim17ROCPRIM_400000_NS6detail17trampoline_kernelINS0_14default_configENS1_38merge_sort_block_merge_config_selectorIiNS0_10empty_typeEEEZZNS1_27merge_sort_block_merge_implIS3_PiPS5_jNS1_19radix_merge_compareILb0ELb1EiNS0_19identity_decomposerEEEEE10hipError_tT0_T1_T2_jT3_P12ihipStream_tbPNSt15iterator_traitsISE_E10value_typeEPNSK_ISF_E10value_typeEPSG_NS1_7vsmem_tEENKUlT_SE_SF_SG_E_clIS8_S8_S9_S9_EESD_ST_SE_SF_SG_EUlST_E1_NS1_11comp_targetILNS1_3genE4ELNS1_11target_archE910ELNS1_3gpuE8ELNS1_3repE0EEENS1_36merge_oddeven_config_static_selectorELNS0_4arch9wavefront6targetE0EEEvSF_.uses_flat_scratch, 0
	.set _ZN7rocprim17ROCPRIM_400000_NS6detail17trampoline_kernelINS0_14default_configENS1_38merge_sort_block_merge_config_selectorIiNS0_10empty_typeEEEZZNS1_27merge_sort_block_merge_implIS3_PiPS5_jNS1_19radix_merge_compareILb0ELb1EiNS0_19identity_decomposerEEEEE10hipError_tT0_T1_T2_jT3_P12ihipStream_tbPNSt15iterator_traitsISE_E10value_typeEPNSK_ISF_E10value_typeEPSG_NS1_7vsmem_tEENKUlT_SE_SF_SG_E_clIS8_S8_S9_S9_EESD_ST_SE_SF_SG_EUlST_E1_NS1_11comp_targetILNS1_3genE4ELNS1_11target_archE910ELNS1_3gpuE8ELNS1_3repE0EEENS1_36merge_oddeven_config_static_selectorELNS0_4arch9wavefront6targetE0EEEvSF_.has_dyn_sized_stack, 0
	.set _ZN7rocprim17ROCPRIM_400000_NS6detail17trampoline_kernelINS0_14default_configENS1_38merge_sort_block_merge_config_selectorIiNS0_10empty_typeEEEZZNS1_27merge_sort_block_merge_implIS3_PiPS5_jNS1_19radix_merge_compareILb0ELb1EiNS0_19identity_decomposerEEEEE10hipError_tT0_T1_T2_jT3_P12ihipStream_tbPNSt15iterator_traitsISE_E10value_typeEPNSK_ISF_E10value_typeEPSG_NS1_7vsmem_tEENKUlT_SE_SF_SG_E_clIS8_S8_S9_S9_EESD_ST_SE_SF_SG_EUlST_E1_NS1_11comp_targetILNS1_3genE4ELNS1_11target_archE910ELNS1_3gpuE8ELNS1_3repE0EEENS1_36merge_oddeven_config_static_selectorELNS0_4arch9wavefront6targetE0EEEvSF_.has_recursion, 0
	.set _ZN7rocprim17ROCPRIM_400000_NS6detail17trampoline_kernelINS0_14default_configENS1_38merge_sort_block_merge_config_selectorIiNS0_10empty_typeEEEZZNS1_27merge_sort_block_merge_implIS3_PiPS5_jNS1_19radix_merge_compareILb0ELb1EiNS0_19identity_decomposerEEEEE10hipError_tT0_T1_T2_jT3_P12ihipStream_tbPNSt15iterator_traitsISE_E10value_typeEPNSK_ISF_E10value_typeEPSG_NS1_7vsmem_tEENKUlT_SE_SF_SG_E_clIS8_S8_S9_S9_EESD_ST_SE_SF_SG_EUlST_E1_NS1_11comp_targetILNS1_3genE4ELNS1_11target_archE910ELNS1_3gpuE8ELNS1_3repE0EEENS1_36merge_oddeven_config_static_selectorELNS0_4arch9wavefront6targetE0EEEvSF_.has_indirect_call, 0
	.section	.AMDGPU.csdata,"",@progbits
; Kernel info:
; codeLenInByte = 0
; TotalNumSgprs: 0
; NumVgprs: 0
; ScratchSize: 0
; MemoryBound: 0
; FloatMode: 240
; IeeeMode: 1
; LDSByteSize: 0 bytes/workgroup (compile time only)
; SGPRBlocks: 0
; VGPRBlocks: 0
; NumSGPRsForWavesPerEU: 1
; NumVGPRsForWavesPerEU: 1
; NamedBarCnt: 0
; Occupancy: 16
; WaveLimiterHint : 0
; COMPUTE_PGM_RSRC2:SCRATCH_EN: 0
; COMPUTE_PGM_RSRC2:USER_SGPR: 2
; COMPUTE_PGM_RSRC2:TRAP_HANDLER: 0
; COMPUTE_PGM_RSRC2:TGID_X_EN: 1
; COMPUTE_PGM_RSRC2:TGID_Y_EN: 0
; COMPUTE_PGM_RSRC2:TGID_Z_EN: 0
; COMPUTE_PGM_RSRC2:TIDIG_COMP_CNT: 0
	.section	.text._ZN7rocprim17ROCPRIM_400000_NS6detail17trampoline_kernelINS0_14default_configENS1_38merge_sort_block_merge_config_selectorIiNS0_10empty_typeEEEZZNS1_27merge_sort_block_merge_implIS3_PiPS5_jNS1_19radix_merge_compareILb0ELb1EiNS0_19identity_decomposerEEEEE10hipError_tT0_T1_T2_jT3_P12ihipStream_tbPNSt15iterator_traitsISE_E10value_typeEPNSK_ISF_E10value_typeEPSG_NS1_7vsmem_tEENKUlT_SE_SF_SG_E_clIS8_S8_S9_S9_EESD_ST_SE_SF_SG_EUlST_E1_NS1_11comp_targetILNS1_3genE3ELNS1_11target_archE908ELNS1_3gpuE7ELNS1_3repE0EEENS1_36merge_oddeven_config_static_selectorELNS0_4arch9wavefront6targetE0EEEvSF_,"axG",@progbits,_ZN7rocprim17ROCPRIM_400000_NS6detail17trampoline_kernelINS0_14default_configENS1_38merge_sort_block_merge_config_selectorIiNS0_10empty_typeEEEZZNS1_27merge_sort_block_merge_implIS3_PiPS5_jNS1_19radix_merge_compareILb0ELb1EiNS0_19identity_decomposerEEEEE10hipError_tT0_T1_T2_jT3_P12ihipStream_tbPNSt15iterator_traitsISE_E10value_typeEPNSK_ISF_E10value_typeEPSG_NS1_7vsmem_tEENKUlT_SE_SF_SG_E_clIS8_S8_S9_S9_EESD_ST_SE_SF_SG_EUlST_E1_NS1_11comp_targetILNS1_3genE3ELNS1_11target_archE908ELNS1_3gpuE7ELNS1_3repE0EEENS1_36merge_oddeven_config_static_selectorELNS0_4arch9wavefront6targetE0EEEvSF_,comdat
	.protected	_ZN7rocprim17ROCPRIM_400000_NS6detail17trampoline_kernelINS0_14default_configENS1_38merge_sort_block_merge_config_selectorIiNS0_10empty_typeEEEZZNS1_27merge_sort_block_merge_implIS3_PiPS5_jNS1_19radix_merge_compareILb0ELb1EiNS0_19identity_decomposerEEEEE10hipError_tT0_T1_T2_jT3_P12ihipStream_tbPNSt15iterator_traitsISE_E10value_typeEPNSK_ISF_E10value_typeEPSG_NS1_7vsmem_tEENKUlT_SE_SF_SG_E_clIS8_S8_S9_S9_EESD_ST_SE_SF_SG_EUlST_E1_NS1_11comp_targetILNS1_3genE3ELNS1_11target_archE908ELNS1_3gpuE7ELNS1_3repE0EEENS1_36merge_oddeven_config_static_selectorELNS0_4arch9wavefront6targetE0EEEvSF_ ; -- Begin function _ZN7rocprim17ROCPRIM_400000_NS6detail17trampoline_kernelINS0_14default_configENS1_38merge_sort_block_merge_config_selectorIiNS0_10empty_typeEEEZZNS1_27merge_sort_block_merge_implIS3_PiPS5_jNS1_19radix_merge_compareILb0ELb1EiNS0_19identity_decomposerEEEEE10hipError_tT0_T1_T2_jT3_P12ihipStream_tbPNSt15iterator_traitsISE_E10value_typeEPNSK_ISF_E10value_typeEPSG_NS1_7vsmem_tEENKUlT_SE_SF_SG_E_clIS8_S8_S9_S9_EESD_ST_SE_SF_SG_EUlST_E1_NS1_11comp_targetILNS1_3genE3ELNS1_11target_archE908ELNS1_3gpuE7ELNS1_3repE0EEENS1_36merge_oddeven_config_static_selectorELNS0_4arch9wavefront6targetE0EEEvSF_
	.globl	_ZN7rocprim17ROCPRIM_400000_NS6detail17trampoline_kernelINS0_14default_configENS1_38merge_sort_block_merge_config_selectorIiNS0_10empty_typeEEEZZNS1_27merge_sort_block_merge_implIS3_PiPS5_jNS1_19radix_merge_compareILb0ELb1EiNS0_19identity_decomposerEEEEE10hipError_tT0_T1_T2_jT3_P12ihipStream_tbPNSt15iterator_traitsISE_E10value_typeEPNSK_ISF_E10value_typeEPSG_NS1_7vsmem_tEENKUlT_SE_SF_SG_E_clIS8_S8_S9_S9_EESD_ST_SE_SF_SG_EUlST_E1_NS1_11comp_targetILNS1_3genE3ELNS1_11target_archE908ELNS1_3gpuE7ELNS1_3repE0EEENS1_36merge_oddeven_config_static_selectorELNS0_4arch9wavefront6targetE0EEEvSF_
	.p2align	8
	.type	_ZN7rocprim17ROCPRIM_400000_NS6detail17trampoline_kernelINS0_14default_configENS1_38merge_sort_block_merge_config_selectorIiNS0_10empty_typeEEEZZNS1_27merge_sort_block_merge_implIS3_PiPS5_jNS1_19radix_merge_compareILb0ELb1EiNS0_19identity_decomposerEEEEE10hipError_tT0_T1_T2_jT3_P12ihipStream_tbPNSt15iterator_traitsISE_E10value_typeEPNSK_ISF_E10value_typeEPSG_NS1_7vsmem_tEENKUlT_SE_SF_SG_E_clIS8_S8_S9_S9_EESD_ST_SE_SF_SG_EUlST_E1_NS1_11comp_targetILNS1_3genE3ELNS1_11target_archE908ELNS1_3gpuE7ELNS1_3repE0EEENS1_36merge_oddeven_config_static_selectorELNS0_4arch9wavefront6targetE0EEEvSF_,@function
_ZN7rocprim17ROCPRIM_400000_NS6detail17trampoline_kernelINS0_14default_configENS1_38merge_sort_block_merge_config_selectorIiNS0_10empty_typeEEEZZNS1_27merge_sort_block_merge_implIS3_PiPS5_jNS1_19radix_merge_compareILb0ELb1EiNS0_19identity_decomposerEEEEE10hipError_tT0_T1_T2_jT3_P12ihipStream_tbPNSt15iterator_traitsISE_E10value_typeEPNSK_ISF_E10value_typeEPSG_NS1_7vsmem_tEENKUlT_SE_SF_SG_E_clIS8_S8_S9_S9_EESD_ST_SE_SF_SG_EUlST_E1_NS1_11comp_targetILNS1_3genE3ELNS1_11target_archE908ELNS1_3gpuE7ELNS1_3repE0EEENS1_36merge_oddeven_config_static_selectorELNS0_4arch9wavefront6targetE0EEEvSF_: ; @_ZN7rocprim17ROCPRIM_400000_NS6detail17trampoline_kernelINS0_14default_configENS1_38merge_sort_block_merge_config_selectorIiNS0_10empty_typeEEEZZNS1_27merge_sort_block_merge_implIS3_PiPS5_jNS1_19radix_merge_compareILb0ELb1EiNS0_19identity_decomposerEEEEE10hipError_tT0_T1_T2_jT3_P12ihipStream_tbPNSt15iterator_traitsISE_E10value_typeEPNSK_ISF_E10value_typeEPSG_NS1_7vsmem_tEENKUlT_SE_SF_SG_E_clIS8_S8_S9_S9_EESD_ST_SE_SF_SG_EUlST_E1_NS1_11comp_targetILNS1_3genE3ELNS1_11target_archE908ELNS1_3gpuE7ELNS1_3repE0EEENS1_36merge_oddeven_config_static_selectorELNS0_4arch9wavefront6targetE0EEEvSF_
; %bb.0:
	.section	.rodata,"a",@progbits
	.p2align	6, 0x0
	.amdhsa_kernel _ZN7rocprim17ROCPRIM_400000_NS6detail17trampoline_kernelINS0_14default_configENS1_38merge_sort_block_merge_config_selectorIiNS0_10empty_typeEEEZZNS1_27merge_sort_block_merge_implIS3_PiPS5_jNS1_19radix_merge_compareILb0ELb1EiNS0_19identity_decomposerEEEEE10hipError_tT0_T1_T2_jT3_P12ihipStream_tbPNSt15iterator_traitsISE_E10value_typeEPNSK_ISF_E10value_typeEPSG_NS1_7vsmem_tEENKUlT_SE_SF_SG_E_clIS8_S8_S9_S9_EESD_ST_SE_SF_SG_EUlST_E1_NS1_11comp_targetILNS1_3genE3ELNS1_11target_archE908ELNS1_3gpuE7ELNS1_3repE0EEENS1_36merge_oddeven_config_static_selectorELNS0_4arch9wavefront6targetE0EEEvSF_
		.amdhsa_group_segment_fixed_size 0
		.amdhsa_private_segment_fixed_size 0
		.amdhsa_kernarg_size 48
		.amdhsa_user_sgpr_count 2
		.amdhsa_user_sgpr_dispatch_ptr 0
		.amdhsa_user_sgpr_queue_ptr 0
		.amdhsa_user_sgpr_kernarg_segment_ptr 1
		.amdhsa_user_sgpr_dispatch_id 0
		.amdhsa_user_sgpr_kernarg_preload_length 0
		.amdhsa_user_sgpr_kernarg_preload_offset 0
		.amdhsa_user_sgpr_private_segment_size 0
		.amdhsa_wavefront_size32 1
		.amdhsa_uses_dynamic_stack 0
		.amdhsa_enable_private_segment 0
		.amdhsa_system_sgpr_workgroup_id_x 1
		.amdhsa_system_sgpr_workgroup_id_y 0
		.amdhsa_system_sgpr_workgroup_id_z 0
		.amdhsa_system_sgpr_workgroup_info 0
		.amdhsa_system_vgpr_workitem_id 0
		.amdhsa_next_free_vgpr 1
		.amdhsa_next_free_sgpr 1
		.amdhsa_named_barrier_count 0
		.amdhsa_reserve_vcc 0
		.amdhsa_float_round_mode_32 0
		.amdhsa_float_round_mode_16_64 0
		.amdhsa_float_denorm_mode_32 3
		.amdhsa_float_denorm_mode_16_64 3
		.amdhsa_fp16_overflow 0
		.amdhsa_memory_ordered 1
		.amdhsa_forward_progress 1
		.amdhsa_inst_pref_size 0
		.amdhsa_round_robin_scheduling 0
		.amdhsa_exception_fp_ieee_invalid_op 0
		.amdhsa_exception_fp_denorm_src 0
		.amdhsa_exception_fp_ieee_div_zero 0
		.amdhsa_exception_fp_ieee_overflow 0
		.amdhsa_exception_fp_ieee_underflow 0
		.amdhsa_exception_fp_ieee_inexact 0
		.amdhsa_exception_int_div_zero 0
	.end_amdhsa_kernel
	.section	.text._ZN7rocprim17ROCPRIM_400000_NS6detail17trampoline_kernelINS0_14default_configENS1_38merge_sort_block_merge_config_selectorIiNS0_10empty_typeEEEZZNS1_27merge_sort_block_merge_implIS3_PiPS5_jNS1_19radix_merge_compareILb0ELb1EiNS0_19identity_decomposerEEEEE10hipError_tT0_T1_T2_jT3_P12ihipStream_tbPNSt15iterator_traitsISE_E10value_typeEPNSK_ISF_E10value_typeEPSG_NS1_7vsmem_tEENKUlT_SE_SF_SG_E_clIS8_S8_S9_S9_EESD_ST_SE_SF_SG_EUlST_E1_NS1_11comp_targetILNS1_3genE3ELNS1_11target_archE908ELNS1_3gpuE7ELNS1_3repE0EEENS1_36merge_oddeven_config_static_selectorELNS0_4arch9wavefront6targetE0EEEvSF_,"axG",@progbits,_ZN7rocprim17ROCPRIM_400000_NS6detail17trampoline_kernelINS0_14default_configENS1_38merge_sort_block_merge_config_selectorIiNS0_10empty_typeEEEZZNS1_27merge_sort_block_merge_implIS3_PiPS5_jNS1_19radix_merge_compareILb0ELb1EiNS0_19identity_decomposerEEEEE10hipError_tT0_T1_T2_jT3_P12ihipStream_tbPNSt15iterator_traitsISE_E10value_typeEPNSK_ISF_E10value_typeEPSG_NS1_7vsmem_tEENKUlT_SE_SF_SG_E_clIS8_S8_S9_S9_EESD_ST_SE_SF_SG_EUlST_E1_NS1_11comp_targetILNS1_3genE3ELNS1_11target_archE908ELNS1_3gpuE7ELNS1_3repE0EEENS1_36merge_oddeven_config_static_selectorELNS0_4arch9wavefront6targetE0EEEvSF_,comdat
.Lfunc_end938:
	.size	_ZN7rocprim17ROCPRIM_400000_NS6detail17trampoline_kernelINS0_14default_configENS1_38merge_sort_block_merge_config_selectorIiNS0_10empty_typeEEEZZNS1_27merge_sort_block_merge_implIS3_PiPS5_jNS1_19radix_merge_compareILb0ELb1EiNS0_19identity_decomposerEEEEE10hipError_tT0_T1_T2_jT3_P12ihipStream_tbPNSt15iterator_traitsISE_E10value_typeEPNSK_ISF_E10value_typeEPSG_NS1_7vsmem_tEENKUlT_SE_SF_SG_E_clIS8_S8_S9_S9_EESD_ST_SE_SF_SG_EUlST_E1_NS1_11comp_targetILNS1_3genE3ELNS1_11target_archE908ELNS1_3gpuE7ELNS1_3repE0EEENS1_36merge_oddeven_config_static_selectorELNS0_4arch9wavefront6targetE0EEEvSF_, .Lfunc_end938-_ZN7rocprim17ROCPRIM_400000_NS6detail17trampoline_kernelINS0_14default_configENS1_38merge_sort_block_merge_config_selectorIiNS0_10empty_typeEEEZZNS1_27merge_sort_block_merge_implIS3_PiPS5_jNS1_19radix_merge_compareILb0ELb1EiNS0_19identity_decomposerEEEEE10hipError_tT0_T1_T2_jT3_P12ihipStream_tbPNSt15iterator_traitsISE_E10value_typeEPNSK_ISF_E10value_typeEPSG_NS1_7vsmem_tEENKUlT_SE_SF_SG_E_clIS8_S8_S9_S9_EESD_ST_SE_SF_SG_EUlST_E1_NS1_11comp_targetILNS1_3genE3ELNS1_11target_archE908ELNS1_3gpuE7ELNS1_3repE0EEENS1_36merge_oddeven_config_static_selectorELNS0_4arch9wavefront6targetE0EEEvSF_
                                        ; -- End function
	.set _ZN7rocprim17ROCPRIM_400000_NS6detail17trampoline_kernelINS0_14default_configENS1_38merge_sort_block_merge_config_selectorIiNS0_10empty_typeEEEZZNS1_27merge_sort_block_merge_implIS3_PiPS5_jNS1_19radix_merge_compareILb0ELb1EiNS0_19identity_decomposerEEEEE10hipError_tT0_T1_T2_jT3_P12ihipStream_tbPNSt15iterator_traitsISE_E10value_typeEPNSK_ISF_E10value_typeEPSG_NS1_7vsmem_tEENKUlT_SE_SF_SG_E_clIS8_S8_S9_S9_EESD_ST_SE_SF_SG_EUlST_E1_NS1_11comp_targetILNS1_3genE3ELNS1_11target_archE908ELNS1_3gpuE7ELNS1_3repE0EEENS1_36merge_oddeven_config_static_selectorELNS0_4arch9wavefront6targetE0EEEvSF_.num_vgpr, 0
	.set _ZN7rocprim17ROCPRIM_400000_NS6detail17trampoline_kernelINS0_14default_configENS1_38merge_sort_block_merge_config_selectorIiNS0_10empty_typeEEEZZNS1_27merge_sort_block_merge_implIS3_PiPS5_jNS1_19radix_merge_compareILb0ELb1EiNS0_19identity_decomposerEEEEE10hipError_tT0_T1_T2_jT3_P12ihipStream_tbPNSt15iterator_traitsISE_E10value_typeEPNSK_ISF_E10value_typeEPSG_NS1_7vsmem_tEENKUlT_SE_SF_SG_E_clIS8_S8_S9_S9_EESD_ST_SE_SF_SG_EUlST_E1_NS1_11comp_targetILNS1_3genE3ELNS1_11target_archE908ELNS1_3gpuE7ELNS1_3repE0EEENS1_36merge_oddeven_config_static_selectorELNS0_4arch9wavefront6targetE0EEEvSF_.num_agpr, 0
	.set _ZN7rocprim17ROCPRIM_400000_NS6detail17trampoline_kernelINS0_14default_configENS1_38merge_sort_block_merge_config_selectorIiNS0_10empty_typeEEEZZNS1_27merge_sort_block_merge_implIS3_PiPS5_jNS1_19radix_merge_compareILb0ELb1EiNS0_19identity_decomposerEEEEE10hipError_tT0_T1_T2_jT3_P12ihipStream_tbPNSt15iterator_traitsISE_E10value_typeEPNSK_ISF_E10value_typeEPSG_NS1_7vsmem_tEENKUlT_SE_SF_SG_E_clIS8_S8_S9_S9_EESD_ST_SE_SF_SG_EUlST_E1_NS1_11comp_targetILNS1_3genE3ELNS1_11target_archE908ELNS1_3gpuE7ELNS1_3repE0EEENS1_36merge_oddeven_config_static_selectorELNS0_4arch9wavefront6targetE0EEEvSF_.numbered_sgpr, 0
	.set _ZN7rocprim17ROCPRIM_400000_NS6detail17trampoline_kernelINS0_14default_configENS1_38merge_sort_block_merge_config_selectorIiNS0_10empty_typeEEEZZNS1_27merge_sort_block_merge_implIS3_PiPS5_jNS1_19radix_merge_compareILb0ELb1EiNS0_19identity_decomposerEEEEE10hipError_tT0_T1_T2_jT3_P12ihipStream_tbPNSt15iterator_traitsISE_E10value_typeEPNSK_ISF_E10value_typeEPSG_NS1_7vsmem_tEENKUlT_SE_SF_SG_E_clIS8_S8_S9_S9_EESD_ST_SE_SF_SG_EUlST_E1_NS1_11comp_targetILNS1_3genE3ELNS1_11target_archE908ELNS1_3gpuE7ELNS1_3repE0EEENS1_36merge_oddeven_config_static_selectorELNS0_4arch9wavefront6targetE0EEEvSF_.num_named_barrier, 0
	.set _ZN7rocprim17ROCPRIM_400000_NS6detail17trampoline_kernelINS0_14default_configENS1_38merge_sort_block_merge_config_selectorIiNS0_10empty_typeEEEZZNS1_27merge_sort_block_merge_implIS3_PiPS5_jNS1_19radix_merge_compareILb0ELb1EiNS0_19identity_decomposerEEEEE10hipError_tT0_T1_T2_jT3_P12ihipStream_tbPNSt15iterator_traitsISE_E10value_typeEPNSK_ISF_E10value_typeEPSG_NS1_7vsmem_tEENKUlT_SE_SF_SG_E_clIS8_S8_S9_S9_EESD_ST_SE_SF_SG_EUlST_E1_NS1_11comp_targetILNS1_3genE3ELNS1_11target_archE908ELNS1_3gpuE7ELNS1_3repE0EEENS1_36merge_oddeven_config_static_selectorELNS0_4arch9wavefront6targetE0EEEvSF_.private_seg_size, 0
	.set _ZN7rocprim17ROCPRIM_400000_NS6detail17trampoline_kernelINS0_14default_configENS1_38merge_sort_block_merge_config_selectorIiNS0_10empty_typeEEEZZNS1_27merge_sort_block_merge_implIS3_PiPS5_jNS1_19radix_merge_compareILb0ELb1EiNS0_19identity_decomposerEEEEE10hipError_tT0_T1_T2_jT3_P12ihipStream_tbPNSt15iterator_traitsISE_E10value_typeEPNSK_ISF_E10value_typeEPSG_NS1_7vsmem_tEENKUlT_SE_SF_SG_E_clIS8_S8_S9_S9_EESD_ST_SE_SF_SG_EUlST_E1_NS1_11comp_targetILNS1_3genE3ELNS1_11target_archE908ELNS1_3gpuE7ELNS1_3repE0EEENS1_36merge_oddeven_config_static_selectorELNS0_4arch9wavefront6targetE0EEEvSF_.uses_vcc, 0
	.set _ZN7rocprim17ROCPRIM_400000_NS6detail17trampoline_kernelINS0_14default_configENS1_38merge_sort_block_merge_config_selectorIiNS0_10empty_typeEEEZZNS1_27merge_sort_block_merge_implIS3_PiPS5_jNS1_19radix_merge_compareILb0ELb1EiNS0_19identity_decomposerEEEEE10hipError_tT0_T1_T2_jT3_P12ihipStream_tbPNSt15iterator_traitsISE_E10value_typeEPNSK_ISF_E10value_typeEPSG_NS1_7vsmem_tEENKUlT_SE_SF_SG_E_clIS8_S8_S9_S9_EESD_ST_SE_SF_SG_EUlST_E1_NS1_11comp_targetILNS1_3genE3ELNS1_11target_archE908ELNS1_3gpuE7ELNS1_3repE0EEENS1_36merge_oddeven_config_static_selectorELNS0_4arch9wavefront6targetE0EEEvSF_.uses_flat_scratch, 0
	.set _ZN7rocprim17ROCPRIM_400000_NS6detail17trampoline_kernelINS0_14default_configENS1_38merge_sort_block_merge_config_selectorIiNS0_10empty_typeEEEZZNS1_27merge_sort_block_merge_implIS3_PiPS5_jNS1_19radix_merge_compareILb0ELb1EiNS0_19identity_decomposerEEEEE10hipError_tT0_T1_T2_jT3_P12ihipStream_tbPNSt15iterator_traitsISE_E10value_typeEPNSK_ISF_E10value_typeEPSG_NS1_7vsmem_tEENKUlT_SE_SF_SG_E_clIS8_S8_S9_S9_EESD_ST_SE_SF_SG_EUlST_E1_NS1_11comp_targetILNS1_3genE3ELNS1_11target_archE908ELNS1_3gpuE7ELNS1_3repE0EEENS1_36merge_oddeven_config_static_selectorELNS0_4arch9wavefront6targetE0EEEvSF_.has_dyn_sized_stack, 0
	.set _ZN7rocprim17ROCPRIM_400000_NS6detail17trampoline_kernelINS0_14default_configENS1_38merge_sort_block_merge_config_selectorIiNS0_10empty_typeEEEZZNS1_27merge_sort_block_merge_implIS3_PiPS5_jNS1_19radix_merge_compareILb0ELb1EiNS0_19identity_decomposerEEEEE10hipError_tT0_T1_T2_jT3_P12ihipStream_tbPNSt15iterator_traitsISE_E10value_typeEPNSK_ISF_E10value_typeEPSG_NS1_7vsmem_tEENKUlT_SE_SF_SG_E_clIS8_S8_S9_S9_EESD_ST_SE_SF_SG_EUlST_E1_NS1_11comp_targetILNS1_3genE3ELNS1_11target_archE908ELNS1_3gpuE7ELNS1_3repE0EEENS1_36merge_oddeven_config_static_selectorELNS0_4arch9wavefront6targetE0EEEvSF_.has_recursion, 0
	.set _ZN7rocprim17ROCPRIM_400000_NS6detail17trampoline_kernelINS0_14default_configENS1_38merge_sort_block_merge_config_selectorIiNS0_10empty_typeEEEZZNS1_27merge_sort_block_merge_implIS3_PiPS5_jNS1_19radix_merge_compareILb0ELb1EiNS0_19identity_decomposerEEEEE10hipError_tT0_T1_T2_jT3_P12ihipStream_tbPNSt15iterator_traitsISE_E10value_typeEPNSK_ISF_E10value_typeEPSG_NS1_7vsmem_tEENKUlT_SE_SF_SG_E_clIS8_S8_S9_S9_EESD_ST_SE_SF_SG_EUlST_E1_NS1_11comp_targetILNS1_3genE3ELNS1_11target_archE908ELNS1_3gpuE7ELNS1_3repE0EEENS1_36merge_oddeven_config_static_selectorELNS0_4arch9wavefront6targetE0EEEvSF_.has_indirect_call, 0
	.section	.AMDGPU.csdata,"",@progbits
; Kernel info:
; codeLenInByte = 0
; TotalNumSgprs: 0
; NumVgprs: 0
; ScratchSize: 0
; MemoryBound: 0
; FloatMode: 240
; IeeeMode: 1
; LDSByteSize: 0 bytes/workgroup (compile time only)
; SGPRBlocks: 0
; VGPRBlocks: 0
; NumSGPRsForWavesPerEU: 1
; NumVGPRsForWavesPerEU: 1
; NamedBarCnt: 0
; Occupancy: 16
; WaveLimiterHint : 0
; COMPUTE_PGM_RSRC2:SCRATCH_EN: 0
; COMPUTE_PGM_RSRC2:USER_SGPR: 2
; COMPUTE_PGM_RSRC2:TRAP_HANDLER: 0
; COMPUTE_PGM_RSRC2:TGID_X_EN: 1
; COMPUTE_PGM_RSRC2:TGID_Y_EN: 0
; COMPUTE_PGM_RSRC2:TGID_Z_EN: 0
; COMPUTE_PGM_RSRC2:TIDIG_COMP_CNT: 0
	.section	.text._ZN7rocprim17ROCPRIM_400000_NS6detail17trampoline_kernelINS0_14default_configENS1_38merge_sort_block_merge_config_selectorIiNS0_10empty_typeEEEZZNS1_27merge_sort_block_merge_implIS3_PiPS5_jNS1_19radix_merge_compareILb0ELb1EiNS0_19identity_decomposerEEEEE10hipError_tT0_T1_T2_jT3_P12ihipStream_tbPNSt15iterator_traitsISE_E10value_typeEPNSK_ISF_E10value_typeEPSG_NS1_7vsmem_tEENKUlT_SE_SF_SG_E_clIS8_S8_S9_S9_EESD_ST_SE_SF_SG_EUlST_E1_NS1_11comp_targetILNS1_3genE2ELNS1_11target_archE906ELNS1_3gpuE6ELNS1_3repE0EEENS1_36merge_oddeven_config_static_selectorELNS0_4arch9wavefront6targetE0EEEvSF_,"axG",@progbits,_ZN7rocprim17ROCPRIM_400000_NS6detail17trampoline_kernelINS0_14default_configENS1_38merge_sort_block_merge_config_selectorIiNS0_10empty_typeEEEZZNS1_27merge_sort_block_merge_implIS3_PiPS5_jNS1_19radix_merge_compareILb0ELb1EiNS0_19identity_decomposerEEEEE10hipError_tT0_T1_T2_jT3_P12ihipStream_tbPNSt15iterator_traitsISE_E10value_typeEPNSK_ISF_E10value_typeEPSG_NS1_7vsmem_tEENKUlT_SE_SF_SG_E_clIS8_S8_S9_S9_EESD_ST_SE_SF_SG_EUlST_E1_NS1_11comp_targetILNS1_3genE2ELNS1_11target_archE906ELNS1_3gpuE6ELNS1_3repE0EEENS1_36merge_oddeven_config_static_selectorELNS0_4arch9wavefront6targetE0EEEvSF_,comdat
	.protected	_ZN7rocprim17ROCPRIM_400000_NS6detail17trampoline_kernelINS0_14default_configENS1_38merge_sort_block_merge_config_selectorIiNS0_10empty_typeEEEZZNS1_27merge_sort_block_merge_implIS3_PiPS5_jNS1_19radix_merge_compareILb0ELb1EiNS0_19identity_decomposerEEEEE10hipError_tT0_T1_T2_jT3_P12ihipStream_tbPNSt15iterator_traitsISE_E10value_typeEPNSK_ISF_E10value_typeEPSG_NS1_7vsmem_tEENKUlT_SE_SF_SG_E_clIS8_S8_S9_S9_EESD_ST_SE_SF_SG_EUlST_E1_NS1_11comp_targetILNS1_3genE2ELNS1_11target_archE906ELNS1_3gpuE6ELNS1_3repE0EEENS1_36merge_oddeven_config_static_selectorELNS0_4arch9wavefront6targetE0EEEvSF_ ; -- Begin function _ZN7rocprim17ROCPRIM_400000_NS6detail17trampoline_kernelINS0_14default_configENS1_38merge_sort_block_merge_config_selectorIiNS0_10empty_typeEEEZZNS1_27merge_sort_block_merge_implIS3_PiPS5_jNS1_19radix_merge_compareILb0ELb1EiNS0_19identity_decomposerEEEEE10hipError_tT0_T1_T2_jT3_P12ihipStream_tbPNSt15iterator_traitsISE_E10value_typeEPNSK_ISF_E10value_typeEPSG_NS1_7vsmem_tEENKUlT_SE_SF_SG_E_clIS8_S8_S9_S9_EESD_ST_SE_SF_SG_EUlST_E1_NS1_11comp_targetILNS1_3genE2ELNS1_11target_archE906ELNS1_3gpuE6ELNS1_3repE0EEENS1_36merge_oddeven_config_static_selectorELNS0_4arch9wavefront6targetE0EEEvSF_
	.globl	_ZN7rocprim17ROCPRIM_400000_NS6detail17trampoline_kernelINS0_14default_configENS1_38merge_sort_block_merge_config_selectorIiNS0_10empty_typeEEEZZNS1_27merge_sort_block_merge_implIS3_PiPS5_jNS1_19radix_merge_compareILb0ELb1EiNS0_19identity_decomposerEEEEE10hipError_tT0_T1_T2_jT3_P12ihipStream_tbPNSt15iterator_traitsISE_E10value_typeEPNSK_ISF_E10value_typeEPSG_NS1_7vsmem_tEENKUlT_SE_SF_SG_E_clIS8_S8_S9_S9_EESD_ST_SE_SF_SG_EUlST_E1_NS1_11comp_targetILNS1_3genE2ELNS1_11target_archE906ELNS1_3gpuE6ELNS1_3repE0EEENS1_36merge_oddeven_config_static_selectorELNS0_4arch9wavefront6targetE0EEEvSF_
	.p2align	8
	.type	_ZN7rocprim17ROCPRIM_400000_NS6detail17trampoline_kernelINS0_14default_configENS1_38merge_sort_block_merge_config_selectorIiNS0_10empty_typeEEEZZNS1_27merge_sort_block_merge_implIS3_PiPS5_jNS1_19radix_merge_compareILb0ELb1EiNS0_19identity_decomposerEEEEE10hipError_tT0_T1_T2_jT3_P12ihipStream_tbPNSt15iterator_traitsISE_E10value_typeEPNSK_ISF_E10value_typeEPSG_NS1_7vsmem_tEENKUlT_SE_SF_SG_E_clIS8_S8_S9_S9_EESD_ST_SE_SF_SG_EUlST_E1_NS1_11comp_targetILNS1_3genE2ELNS1_11target_archE906ELNS1_3gpuE6ELNS1_3repE0EEENS1_36merge_oddeven_config_static_selectorELNS0_4arch9wavefront6targetE0EEEvSF_,@function
_ZN7rocprim17ROCPRIM_400000_NS6detail17trampoline_kernelINS0_14default_configENS1_38merge_sort_block_merge_config_selectorIiNS0_10empty_typeEEEZZNS1_27merge_sort_block_merge_implIS3_PiPS5_jNS1_19radix_merge_compareILb0ELb1EiNS0_19identity_decomposerEEEEE10hipError_tT0_T1_T2_jT3_P12ihipStream_tbPNSt15iterator_traitsISE_E10value_typeEPNSK_ISF_E10value_typeEPSG_NS1_7vsmem_tEENKUlT_SE_SF_SG_E_clIS8_S8_S9_S9_EESD_ST_SE_SF_SG_EUlST_E1_NS1_11comp_targetILNS1_3genE2ELNS1_11target_archE906ELNS1_3gpuE6ELNS1_3repE0EEENS1_36merge_oddeven_config_static_selectorELNS0_4arch9wavefront6targetE0EEEvSF_: ; @_ZN7rocprim17ROCPRIM_400000_NS6detail17trampoline_kernelINS0_14default_configENS1_38merge_sort_block_merge_config_selectorIiNS0_10empty_typeEEEZZNS1_27merge_sort_block_merge_implIS3_PiPS5_jNS1_19radix_merge_compareILb0ELb1EiNS0_19identity_decomposerEEEEE10hipError_tT0_T1_T2_jT3_P12ihipStream_tbPNSt15iterator_traitsISE_E10value_typeEPNSK_ISF_E10value_typeEPSG_NS1_7vsmem_tEENKUlT_SE_SF_SG_E_clIS8_S8_S9_S9_EESD_ST_SE_SF_SG_EUlST_E1_NS1_11comp_targetILNS1_3genE2ELNS1_11target_archE906ELNS1_3gpuE6ELNS1_3repE0EEENS1_36merge_oddeven_config_static_selectorELNS0_4arch9wavefront6targetE0EEEvSF_
; %bb.0:
	.section	.rodata,"a",@progbits
	.p2align	6, 0x0
	.amdhsa_kernel _ZN7rocprim17ROCPRIM_400000_NS6detail17trampoline_kernelINS0_14default_configENS1_38merge_sort_block_merge_config_selectorIiNS0_10empty_typeEEEZZNS1_27merge_sort_block_merge_implIS3_PiPS5_jNS1_19radix_merge_compareILb0ELb1EiNS0_19identity_decomposerEEEEE10hipError_tT0_T1_T2_jT3_P12ihipStream_tbPNSt15iterator_traitsISE_E10value_typeEPNSK_ISF_E10value_typeEPSG_NS1_7vsmem_tEENKUlT_SE_SF_SG_E_clIS8_S8_S9_S9_EESD_ST_SE_SF_SG_EUlST_E1_NS1_11comp_targetILNS1_3genE2ELNS1_11target_archE906ELNS1_3gpuE6ELNS1_3repE0EEENS1_36merge_oddeven_config_static_selectorELNS0_4arch9wavefront6targetE0EEEvSF_
		.amdhsa_group_segment_fixed_size 0
		.amdhsa_private_segment_fixed_size 0
		.amdhsa_kernarg_size 48
		.amdhsa_user_sgpr_count 2
		.amdhsa_user_sgpr_dispatch_ptr 0
		.amdhsa_user_sgpr_queue_ptr 0
		.amdhsa_user_sgpr_kernarg_segment_ptr 1
		.amdhsa_user_sgpr_dispatch_id 0
		.amdhsa_user_sgpr_kernarg_preload_length 0
		.amdhsa_user_sgpr_kernarg_preload_offset 0
		.amdhsa_user_sgpr_private_segment_size 0
		.amdhsa_wavefront_size32 1
		.amdhsa_uses_dynamic_stack 0
		.amdhsa_enable_private_segment 0
		.amdhsa_system_sgpr_workgroup_id_x 1
		.amdhsa_system_sgpr_workgroup_id_y 0
		.amdhsa_system_sgpr_workgroup_id_z 0
		.amdhsa_system_sgpr_workgroup_info 0
		.amdhsa_system_vgpr_workitem_id 0
		.amdhsa_next_free_vgpr 1
		.amdhsa_next_free_sgpr 1
		.amdhsa_named_barrier_count 0
		.amdhsa_reserve_vcc 0
		.amdhsa_float_round_mode_32 0
		.amdhsa_float_round_mode_16_64 0
		.amdhsa_float_denorm_mode_32 3
		.amdhsa_float_denorm_mode_16_64 3
		.amdhsa_fp16_overflow 0
		.amdhsa_memory_ordered 1
		.amdhsa_forward_progress 1
		.amdhsa_inst_pref_size 0
		.amdhsa_round_robin_scheduling 0
		.amdhsa_exception_fp_ieee_invalid_op 0
		.amdhsa_exception_fp_denorm_src 0
		.amdhsa_exception_fp_ieee_div_zero 0
		.amdhsa_exception_fp_ieee_overflow 0
		.amdhsa_exception_fp_ieee_underflow 0
		.amdhsa_exception_fp_ieee_inexact 0
		.amdhsa_exception_int_div_zero 0
	.end_amdhsa_kernel
	.section	.text._ZN7rocprim17ROCPRIM_400000_NS6detail17trampoline_kernelINS0_14default_configENS1_38merge_sort_block_merge_config_selectorIiNS0_10empty_typeEEEZZNS1_27merge_sort_block_merge_implIS3_PiPS5_jNS1_19radix_merge_compareILb0ELb1EiNS0_19identity_decomposerEEEEE10hipError_tT0_T1_T2_jT3_P12ihipStream_tbPNSt15iterator_traitsISE_E10value_typeEPNSK_ISF_E10value_typeEPSG_NS1_7vsmem_tEENKUlT_SE_SF_SG_E_clIS8_S8_S9_S9_EESD_ST_SE_SF_SG_EUlST_E1_NS1_11comp_targetILNS1_3genE2ELNS1_11target_archE906ELNS1_3gpuE6ELNS1_3repE0EEENS1_36merge_oddeven_config_static_selectorELNS0_4arch9wavefront6targetE0EEEvSF_,"axG",@progbits,_ZN7rocprim17ROCPRIM_400000_NS6detail17trampoline_kernelINS0_14default_configENS1_38merge_sort_block_merge_config_selectorIiNS0_10empty_typeEEEZZNS1_27merge_sort_block_merge_implIS3_PiPS5_jNS1_19radix_merge_compareILb0ELb1EiNS0_19identity_decomposerEEEEE10hipError_tT0_T1_T2_jT3_P12ihipStream_tbPNSt15iterator_traitsISE_E10value_typeEPNSK_ISF_E10value_typeEPSG_NS1_7vsmem_tEENKUlT_SE_SF_SG_E_clIS8_S8_S9_S9_EESD_ST_SE_SF_SG_EUlST_E1_NS1_11comp_targetILNS1_3genE2ELNS1_11target_archE906ELNS1_3gpuE6ELNS1_3repE0EEENS1_36merge_oddeven_config_static_selectorELNS0_4arch9wavefront6targetE0EEEvSF_,comdat
.Lfunc_end939:
	.size	_ZN7rocprim17ROCPRIM_400000_NS6detail17trampoline_kernelINS0_14default_configENS1_38merge_sort_block_merge_config_selectorIiNS0_10empty_typeEEEZZNS1_27merge_sort_block_merge_implIS3_PiPS5_jNS1_19radix_merge_compareILb0ELb1EiNS0_19identity_decomposerEEEEE10hipError_tT0_T1_T2_jT3_P12ihipStream_tbPNSt15iterator_traitsISE_E10value_typeEPNSK_ISF_E10value_typeEPSG_NS1_7vsmem_tEENKUlT_SE_SF_SG_E_clIS8_S8_S9_S9_EESD_ST_SE_SF_SG_EUlST_E1_NS1_11comp_targetILNS1_3genE2ELNS1_11target_archE906ELNS1_3gpuE6ELNS1_3repE0EEENS1_36merge_oddeven_config_static_selectorELNS0_4arch9wavefront6targetE0EEEvSF_, .Lfunc_end939-_ZN7rocprim17ROCPRIM_400000_NS6detail17trampoline_kernelINS0_14default_configENS1_38merge_sort_block_merge_config_selectorIiNS0_10empty_typeEEEZZNS1_27merge_sort_block_merge_implIS3_PiPS5_jNS1_19radix_merge_compareILb0ELb1EiNS0_19identity_decomposerEEEEE10hipError_tT0_T1_T2_jT3_P12ihipStream_tbPNSt15iterator_traitsISE_E10value_typeEPNSK_ISF_E10value_typeEPSG_NS1_7vsmem_tEENKUlT_SE_SF_SG_E_clIS8_S8_S9_S9_EESD_ST_SE_SF_SG_EUlST_E1_NS1_11comp_targetILNS1_3genE2ELNS1_11target_archE906ELNS1_3gpuE6ELNS1_3repE0EEENS1_36merge_oddeven_config_static_selectorELNS0_4arch9wavefront6targetE0EEEvSF_
                                        ; -- End function
	.set _ZN7rocprim17ROCPRIM_400000_NS6detail17trampoline_kernelINS0_14default_configENS1_38merge_sort_block_merge_config_selectorIiNS0_10empty_typeEEEZZNS1_27merge_sort_block_merge_implIS3_PiPS5_jNS1_19radix_merge_compareILb0ELb1EiNS0_19identity_decomposerEEEEE10hipError_tT0_T1_T2_jT3_P12ihipStream_tbPNSt15iterator_traitsISE_E10value_typeEPNSK_ISF_E10value_typeEPSG_NS1_7vsmem_tEENKUlT_SE_SF_SG_E_clIS8_S8_S9_S9_EESD_ST_SE_SF_SG_EUlST_E1_NS1_11comp_targetILNS1_3genE2ELNS1_11target_archE906ELNS1_3gpuE6ELNS1_3repE0EEENS1_36merge_oddeven_config_static_selectorELNS0_4arch9wavefront6targetE0EEEvSF_.num_vgpr, 0
	.set _ZN7rocprim17ROCPRIM_400000_NS6detail17trampoline_kernelINS0_14default_configENS1_38merge_sort_block_merge_config_selectorIiNS0_10empty_typeEEEZZNS1_27merge_sort_block_merge_implIS3_PiPS5_jNS1_19radix_merge_compareILb0ELb1EiNS0_19identity_decomposerEEEEE10hipError_tT0_T1_T2_jT3_P12ihipStream_tbPNSt15iterator_traitsISE_E10value_typeEPNSK_ISF_E10value_typeEPSG_NS1_7vsmem_tEENKUlT_SE_SF_SG_E_clIS8_S8_S9_S9_EESD_ST_SE_SF_SG_EUlST_E1_NS1_11comp_targetILNS1_3genE2ELNS1_11target_archE906ELNS1_3gpuE6ELNS1_3repE0EEENS1_36merge_oddeven_config_static_selectorELNS0_4arch9wavefront6targetE0EEEvSF_.num_agpr, 0
	.set _ZN7rocprim17ROCPRIM_400000_NS6detail17trampoline_kernelINS0_14default_configENS1_38merge_sort_block_merge_config_selectorIiNS0_10empty_typeEEEZZNS1_27merge_sort_block_merge_implIS3_PiPS5_jNS1_19radix_merge_compareILb0ELb1EiNS0_19identity_decomposerEEEEE10hipError_tT0_T1_T2_jT3_P12ihipStream_tbPNSt15iterator_traitsISE_E10value_typeEPNSK_ISF_E10value_typeEPSG_NS1_7vsmem_tEENKUlT_SE_SF_SG_E_clIS8_S8_S9_S9_EESD_ST_SE_SF_SG_EUlST_E1_NS1_11comp_targetILNS1_3genE2ELNS1_11target_archE906ELNS1_3gpuE6ELNS1_3repE0EEENS1_36merge_oddeven_config_static_selectorELNS0_4arch9wavefront6targetE0EEEvSF_.numbered_sgpr, 0
	.set _ZN7rocprim17ROCPRIM_400000_NS6detail17trampoline_kernelINS0_14default_configENS1_38merge_sort_block_merge_config_selectorIiNS0_10empty_typeEEEZZNS1_27merge_sort_block_merge_implIS3_PiPS5_jNS1_19radix_merge_compareILb0ELb1EiNS0_19identity_decomposerEEEEE10hipError_tT0_T1_T2_jT3_P12ihipStream_tbPNSt15iterator_traitsISE_E10value_typeEPNSK_ISF_E10value_typeEPSG_NS1_7vsmem_tEENKUlT_SE_SF_SG_E_clIS8_S8_S9_S9_EESD_ST_SE_SF_SG_EUlST_E1_NS1_11comp_targetILNS1_3genE2ELNS1_11target_archE906ELNS1_3gpuE6ELNS1_3repE0EEENS1_36merge_oddeven_config_static_selectorELNS0_4arch9wavefront6targetE0EEEvSF_.num_named_barrier, 0
	.set _ZN7rocprim17ROCPRIM_400000_NS6detail17trampoline_kernelINS0_14default_configENS1_38merge_sort_block_merge_config_selectorIiNS0_10empty_typeEEEZZNS1_27merge_sort_block_merge_implIS3_PiPS5_jNS1_19radix_merge_compareILb0ELb1EiNS0_19identity_decomposerEEEEE10hipError_tT0_T1_T2_jT3_P12ihipStream_tbPNSt15iterator_traitsISE_E10value_typeEPNSK_ISF_E10value_typeEPSG_NS1_7vsmem_tEENKUlT_SE_SF_SG_E_clIS8_S8_S9_S9_EESD_ST_SE_SF_SG_EUlST_E1_NS1_11comp_targetILNS1_3genE2ELNS1_11target_archE906ELNS1_3gpuE6ELNS1_3repE0EEENS1_36merge_oddeven_config_static_selectorELNS0_4arch9wavefront6targetE0EEEvSF_.private_seg_size, 0
	.set _ZN7rocprim17ROCPRIM_400000_NS6detail17trampoline_kernelINS0_14default_configENS1_38merge_sort_block_merge_config_selectorIiNS0_10empty_typeEEEZZNS1_27merge_sort_block_merge_implIS3_PiPS5_jNS1_19radix_merge_compareILb0ELb1EiNS0_19identity_decomposerEEEEE10hipError_tT0_T1_T2_jT3_P12ihipStream_tbPNSt15iterator_traitsISE_E10value_typeEPNSK_ISF_E10value_typeEPSG_NS1_7vsmem_tEENKUlT_SE_SF_SG_E_clIS8_S8_S9_S9_EESD_ST_SE_SF_SG_EUlST_E1_NS1_11comp_targetILNS1_3genE2ELNS1_11target_archE906ELNS1_3gpuE6ELNS1_3repE0EEENS1_36merge_oddeven_config_static_selectorELNS0_4arch9wavefront6targetE0EEEvSF_.uses_vcc, 0
	.set _ZN7rocprim17ROCPRIM_400000_NS6detail17trampoline_kernelINS0_14default_configENS1_38merge_sort_block_merge_config_selectorIiNS0_10empty_typeEEEZZNS1_27merge_sort_block_merge_implIS3_PiPS5_jNS1_19radix_merge_compareILb0ELb1EiNS0_19identity_decomposerEEEEE10hipError_tT0_T1_T2_jT3_P12ihipStream_tbPNSt15iterator_traitsISE_E10value_typeEPNSK_ISF_E10value_typeEPSG_NS1_7vsmem_tEENKUlT_SE_SF_SG_E_clIS8_S8_S9_S9_EESD_ST_SE_SF_SG_EUlST_E1_NS1_11comp_targetILNS1_3genE2ELNS1_11target_archE906ELNS1_3gpuE6ELNS1_3repE0EEENS1_36merge_oddeven_config_static_selectorELNS0_4arch9wavefront6targetE0EEEvSF_.uses_flat_scratch, 0
	.set _ZN7rocprim17ROCPRIM_400000_NS6detail17trampoline_kernelINS0_14default_configENS1_38merge_sort_block_merge_config_selectorIiNS0_10empty_typeEEEZZNS1_27merge_sort_block_merge_implIS3_PiPS5_jNS1_19radix_merge_compareILb0ELb1EiNS0_19identity_decomposerEEEEE10hipError_tT0_T1_T2_jT3_P12ihipStream_tbPNSt15iterator_traitsISE_E10value_typeEPNSK_ISF_E10value_typeEPSG_NS1_7vsmem_tEENKUlT_SE_SF_SG_E_clIS8_S8_S9_S9_EESD_ST_SE_SF_SG_EUlST_E1_NS1_11comp_targetILNS1_3genE2ELNS1_11target_archE906ELNS1_3gpuE6ELNS1_3repE0EEENS1_36merge_oddeven_config_static_selectorELNS0_4arch9wavefront6targetE0EEEvSF_.has_dyn_sized_stack, 0
	.set _ZN7rocprim17ROCPRIM_400000_NS6detail17trampoline_kernelINS0_14default_configENS1_38merge_sort_block_merge_config_selectorIiNS0_10empty_typeEEEZZNS1_27merge_sort_block_merge_implIS3_PiPS5_jNS1_19radix_merge_compareILb0ELb1EiNS0_19identity_decomposerEEEEE10hipError_tT0_T1_T2_jT3_P12ihipStream_tbPNSt15iterator_traitsISE_E10value_typeEPNSK_ISF_E10value_typeEPSG_NS1_7vsmem_tEENKUlT_SE_SF_SG_E_clIS8_S8_S9_S9_EESD_ST_SE_SF_SG_EUlST_E1_NS1_11comp_targetILNS1_3genE2ELNS1_11target_archE906ELNS1_3gpuE6ELNS1_3repE0EEENS1_36merge_oddeven_config_static_selectorELNS0_4arch9wavefront6targetE0EEEvSF_.has_recursion, 0
	.set _ZN7rocprim17ROCPRIM_400000_NS6detail17trampoline_kernelINS0_14default_configENS1_38merge_sort_block_merge_config_selectorIiNS0_10empty_typeEEEZZNS1_27merge_sort_block_merge_implIS3_PiPS5_jNS1_19radix_merge_compareILb0ELb1EiNS0_19identity_decomposerEEEEE10hipError_tT0_T1_T2_jT3_P12ihipStream_tbPNSt15iterator_traitsISE_E10value_typeEPNSK_ISF_E10value_typeEPSG_NS1_7vsmem_tEENKUlT_SE_SF_SG_E_clIS8_S8_S9_S9_EESD_ST_SE_SF_SG_EUlST_E1_NS1_11comp_targetILNS1_3genE2ELNS1_11target_archE906ELNS1_3gpuE6ELNS1_3repE0EEENS1_36merge_oddeven_config_static_selectorELNS0_4arch9wavefront6targetE0EEEvSF_.has_indirect_call, 0
	.section	.AMDGPU.csdata,"",@progbits
; Kernel info:
; codeLenInByte = 0
; TotalNumSgprs: 0
; NumVgprs: 0
; ScratchSize: 0
; MemoryBound: 0
; FloatMode: 240
; IeeeMode: 1
; LDSByteSize: 0 bytes/workgroup (compile time only)
; SGPRBlocks: 0
; VGPRBlocks: 0
; NumSGPRsForWavesPerEU: 1
; NumVGPRsForWavesPerEU: 1
; NamedBarCnt: 0
; Occupancy: 16
; WaveLimiterHint : 0
; COMPUTE_PGM_RSRC2:SCRATCH_EN: 0
; COMPUTE_PGM_RSRC2:USER_SGPR: 2
; COMPUTE_PGM_RSRC2:TRAP_HANDLER: 0
; COMPUTE_PGM_RSRC2:TGID_X_EN: 1
; COMPUTE_PGM_RSRC2:TGID_Y_EN: 0
; COMPUTE_PGM_RSRC2:TGID_Z_EN: 0
; COMPUTE_PGM_RSRC2:TIDIG_COMP_CNT: 0
	.section	.text._ZN7rocprim17ROCPRIM_400000_NS6detail17trampoline_kernelINS0_14default_configENS1_38merge_sort_block_merge_config_selectorIiNS0_10empty_typeEEEZZNS1_27merge_sort_block_merge_implIS3_PiPS5_jNS1_19radix_merge_compareILb0ELb1EiNS0_19identity_decomposerEEEEE10hipError_tT0_T1_T2_jT3_P12ihipStream_tbPNSt15iterator_traitsISE_E10value_typeEPNSK_ISF_E10value_typeEPSG_NS1_7vsmem_tEENKUlT_SE_SF_SG_E_clIS8_S8_S9_S9_EESD_ST_SE_SF_SG_EUlST_E1_NS1_11comp_targetILNS1_3genE9ELNS1_11target_archE1100ELNS1_3gpuE3ELNS1_3repE0EEENS1_36merge_oddeven_config_static_selectorELNS0_4arch9wavefront6targetE0EEEvSF_,"axG",@progbits,_ZN7rocprim17ROCPRIM_400000_NS6detail17trampoline_kernelINS0_14default_configENS1_38merge_sort_block_merge_config_selectorIiNS0_10empty_typeEEEZZNS1_27merge_sort_block_merge_implIS3_PiPS5_jNS1_19radix_merge_compareILb0ELb1EiNS0_19identity_decomposerEEEEE10hipError_tT0_T1_T2_jT3_P12ihipStream_tbPNSt15iterator_traitsISE_E10value_typeEPNSK_ISF_E10value_typeEPSG_NS1_7vsmem_tEENKUlT_SE_SF_SG_E_clIS8_S8_S9_S9_EESD_ST_SE_SF_SG_EUlST_E1_NS1_11comp_targetILNS1_3genE9ELNS1_11target_archE1100ELNS1_3gpuE3ELNS1_3repE0EEENS1_36merge_oddeven_config_static_selectorELNS0_4arch9wavefront6targetE0EEEvSF_,comdat
	.protected	_ZN7rocprim17ROCPRIM_400000_NS6detail17trampoline_kernelINS0_14default_configENS1_38merge_sort_block_merge_config_selectorIiNS0_10empty_typeEEEZZNS1_27merge_sort_block_merge_implIS3_PiPS5_jNS1_19radix_merge_compareILb0ELb1EiNS0_19identity_decomposerEEEEE10hipError_tT0_T1_T2_jT3_P12ihipStream_tbPNSt15iterator_traitsISE_E10value_typeEPNSK_ISF_E10value_typeEPSG_NS1_7vsmem_tEENKUlT_SE_SF_SG_E_clIS8_S8_S9_S9_EESD_ST_SE_SF_SG_EUlST_E1_NS1_11comp_targetILNS1_3genE9ELNS1_11target_archE1100ELNS1_3gpuE3ELNS1_3repE0EEENS1_36merge_oddeven_config_static_selectorELNS0_4arch9wavefront6targetE0EEEvSF_ ; -- Begin function _ZN7rocprim17ROCPRIM_400000_NS6detail17trampoline_kernelINS0_14default_configENS1_38merge_sort_block_merge_config_selectorIiNS0_10empty_typeEEEZZNS1_27merge_sort_block_merge_implIS3_PiPS5_jNS1_19radix_merge_compareILb0ELb1EiNS0_19identity_decomposerEEEEE10hipError_tT0_T1_T2_jT3_P12ihipStream_tbPNSt15iterator_traitsISE_E10value_typeEPNSK_ISF_E10value_typeEPSG_NS1_7vsmem_tEENKUlT_SE_SF_SG_E_clIS8_S8_S9_S9_EESD_ST_SE_SF_SG_EUlST_E1_NS1_11comp_targetILNS1_3genE9ELNS1_11target_archE1100ELNS1_3gpuE3ELNS1_3repE0EEENS1_36merge_oddeven_config_static_selectorELNS0_4arch9wavefront6targetE0EEEvSF_
	.globl	_ZN7rocprim17ROCPRIM_400000_NS6detail17trampoline_kernelINS0_14default_configENS1_38merge_sort_block_merge_config_selectorIiNS0_10empty_typeEEEZZNS1_27merge_sort_block_merge_implIS3_PiPS5_jNS1_19radix_merge_compareILb0ELb1EiNS0_19identity_decomposerEEEEE10hipError_tT0_T1_T2_jT3_P12ihipStream_tbPNSt15iterator_traitsISE_E10value_typeEPNSK_ISF_E10value_typeEPSG_NS1_7vsmem_tEENKUlT_SE_SF_SG_E_clIS8_S8_S9_S9_EESD_ST_SE_SF_SG_EUlST_E1_NS1_11comp_targetILNS1_3genE9ELNS1_11target_archE1100ELNS1_3gpuE3ELNS1_3repE0EEENS1_36merge_oddeven_config_static_selectorELNS0_4arch9wavefront6targetE0EEEvSF_
	.p2align	8
	.type	_ZN7rocprim17ROCPRIM_400000_NS6detail17trampoline_kernelINS0_14default_configENS1_38merge_sort_block_merge_config_selectorIiNS0_10empty_typeEEEZZNS1_27merge_sort_block_merge_implIS3_PiPS5_jNS1_19radix_merge_compareILb0ELb1EiNS0_19identity_decomposerEEEEE10hipError_tT0_T1_T2_jT3_P12ihipStream_tbPNSt15iterator_traitsISE_E10value_typeEPNSK_ISF_E10value_typeEPSG_NS1_7vsmem_tEENKUlT_SE_SF_SG_E_clIS8_S8_S9_S9_EESD_ST_SE_SF_SG_EUlST_E1_NS1_11comp_targetILNS1_3genE9ELNS1_11target_archE1100ELNS1_3gpuE3ELNS1_3repE0EEENS1_36merge_oddeven_config_static_selectorELNS0_4arch9wavefront6targetE0EEEvSF_,@function
_ZN7rocprim17ROCPRIM_400000_NS6detail17trampoline_kernelINS0_14default_configENS1_38merge_sort_block_merge_config_selectorIiNS0_10empty_typeEEEZZNS1_27merge_sort_block_merge_implIS3_PiPS5_jNS1_19radix_merge_compareILb0ELb1EiNS0_19identity_decomposerEEEEE10hipError_tT0_T1_T2_jT3_P12ihipStream_tbPNSt15iterator_traitsISE_E10value_typeEPNSK_ISF_E10value_typeEPSG_NS1_7vsmem_tEENKUlT_SE_SF_SG_E_clIS8_S8_S9_S9_EESD_ST_SE_SF_SG_EUlST_E1_NS1_11comp_targetILNS1_3genE9ELNS1_11target_archE1100ELNS1_3gpuE3ELNS1_3repE0EEENS1_36merge_oddeven_config_static_selectorELNS0_4arch9wavefront6targetE0EEEvSF_: ; @_ZN7rocprim17ROCPRIM_400000_NS6detail17trampoline_kernelINS0_14default_configENS1_38merge_sort_block_merge_config_selectorIiNS0_10empty_typeEEEZZNS1_27merge_sort_block_merge_implIS3_PiPS5_jNS1_19radix_merge_compareILb0ELb1EiNS0_19identity_decomposerEEEEE10hipError_tT0_T1_T2_jT3_P12ihipStream_tbPNSt15iterator_traitsISE_E10value_typeEPNSK_ISF_E10value_typeEPSG_NS1_7vsmem_tEENKUlT_SE_SF_SG_E_clIS8_S8_S9_S9_EESD_ST_SE_SF_SG_EUlST_E1_NS1_11comp_targetILNS1_3genE9ELNS1_11target_archE1100ELNS1_3gpuE3ELNS1_3repE0EEENS1_36merge_oddeven_config_static_selectorELNS0_4arch9wavefront6targetE0EEEvSF_
; %bb.0:
	.section	.rodata,"a",@progbits
	.p2align	6, 0x0
	.amdhsa_kernel _ZN7rocprim17ROCPRIM_400000_NS6detail17trampoline_kernelINS0_14default_configENS1_38merge_sort_block_merge_config_selectorIiNS0_10empty_typeEEEZZNS1_27merge_sort_block_merge_implIS3_PiPS5_jNS1_19radix_merge_compareILb0ELb1EiNS0_19identity_decomposerEEEEE10hipError_tT0_T1_T2_jT3_P12ihipStream_tbPNSt15iterator_traitsISE_E10value_typeEPNSK_ISF_E10value_typeEPSG_NS1_7vsmem_tEENKUlT_SE_SF_SG_E_clIS8_S8_S9_S9_EESD_ST_SE_SF_SG_EUlST_E1_NS1_11comp_targetILNS1_3genE9ELNS1_11target_archE1100ELNS1_3gpuE3ELNS1_3repE0EEENS1_36merge_oddeven_config_static_selectorELNS0_4arch9wavefront6targetE0EEEvSF_
		.amdhsa_group_segment_fixed_size 0
		.amdhsa_private_segment_fixed_size 0
		.amdhsa_kernarg_size 48
		.amdhsa_user_sgpr_count 2
		.amdhsa_user_sgpr_dispatch_ptr 0
		.amdhsa_user_sgpr_queue_ptr 0
		.amdhsa_user_sgpr_kernarg_segment_ptr 1
		.amdhsa_user_sgpr_dispatch_id 0
		.amdhsa_user_sgpr_kernarg_preload_length 0
		.amdhsa_user_sgpr_kernarg_preload_offset 0
		.amdhsa_user_sgpr_private_segment_size 0
		.amdhsa_wavefront_size32 1
		.amdhsa_uses_dynamic_stack 0
		.amdhsa_enable_private_segment 0
		.amdhsa_system_sgpr_workgroup_id_x 1
		.amdhsa_system_sgpr_workgroup_id_y 0
		.amdhsa_system_sgpr_workgroup_id_z 0
		.amdhsa_system_sgpr_workgroup_info 0
		.amdhsa_system_vgpr_workitem_id 0
		.amdhsa_next_free_vgpr 1
		.amdhsa_next_free_sgpr 1
		.amdhsa_named_barrier_count 0
		.amdhsa_reserve_vcc 0
		.amdhsa_float_round_mode_32 0
		.amdhsa_float_round_mode_16_64 0
		.amdhsa_float_denorm_mode_32 3
		.amdhsa_float_denorm_mode_16_64 3
		.amdhsa_fp16_overflow 0
		.amdhsa_memory_ordered 1
		.amdhsa_forward_progress 1
		.amdhsa_inst_pref_size 0
		.amdhsa_round_robin_scheduling 0
		.amdhsa_exception_fp_ieee_invalid_op 0
		.amdhsa_exception_fp_denorm_src 0
		.amdhsa_exception_fp_ieee_div_zero 0
		.amdhsa_exception_fp_ieee_overflow 0
		.amdhsa_exception_fp_ieee_underflow 0
		.amdhsa_exception_fp_ieee_inexact 0
		.amdhsa_exception_int_div_zero 0
	.end_amdhsa_kernel
	.section	.text._ZN7rocprim17ROCPRIM_400000_NS6detail17trampoline_kernelINS0_14default_configENS1_38merge_sort_block_merge_config_selectorIiNS0_10empty_typeEEEZZNS1_27merge_sort_block_merge_implIS3_PiPS5_jNS1_19radix_merge_compareILb0ELb1EiNS0_19identity_decomposerEEEEE10hipError_tT0_T1_T2_jT3_P12ihipStream_tbPNSt15iterator_traitsISE_E10value_typeEPNSK_ISF_E10value_typeEPSG_NS1_7vsmem_tEENKUlT_SE_SF_SG_E_clIS8_S8_S9_S9_EESD_ST_SE_SF_SG_EUlST_E1_NS1_11comp_targetILNS1_3genE9ELNS1_11target_archE1100ELNS1_3gpuE3ELNS1_3repE0EEENS1_36merge_oddeven_config_static_selectorELNS0_4arch9wavefront6targetE0EEEvSF_,"axG",@progbits,_ZN7rocprim17ROCPRIM_400000_NS6detail17trampoline_kernelINS0_14default_configENS1_38merge_sort_block_merge_config_selectorIiNS0_10empty_typeEEEZZNS1_27merge_sort_block_merge_implIS3_PiPS5_jNS1_19radix_merge_compareILb0ELb1EiNS0_19identity_decomposerEEEEE10hipError_tT0_T1_T2_jT3_P12ihipStream_tbPNSt15iterator_traitsISE_E10value_typeEPNSK_ISF_E10value_typeEPSG_NS1_7vsmem_tEENKUlT_SE_SF_SG_E_clIS8_S8_S9_S9_EESD_ST_SE_SF_SG_EUlST_E1_NS1_11comp_targetILNS1_3genE9ELNS1_11target_archE1100ELNS1_3gpuE3ELNS1_3repE0EEENS1_36merge_oddeven_config_static_selectorELNS0_4arch9wavefront6targetE0EEEvSF_,comdat
.Lfunc_end940:
	.size	_ZN7rocprim17ROCPRIM_400000_NS6detail17trampoline_kernelINS0_14default_configENS1_38merge_sort_block_merge_config_selectorIiNS0_10empty_typeEEEZZNS1_27merge_sort_block_merge_implIS3_PiPS5_jNS1_19radix_merge_compareILb0ELb1EiNS0_19identity_decomposerEEEEE10hipError_tT0_T1_T2_jT3_P12ihipStream_tbPNSt15iterator_traitsISE_E10value_typeEPNSK_ISF_E10value_typeEPSG_NS1_7vsmem_tEENKUlT_SE_SF_SG_E_clIS8_S8_S9_S9_EESD_ST_SE_SF_SG_EUlST_E1_NS1_11comp_targetILNS1_3genE9ELNS1_11target_archE1100ELNS1_3gpuE3ELNS1_3repE0EEENS1_36merge_oddeven_config_static_selectorELNS0_4arch9wavefront6targetE0EEEvSF_, .Lfunc_end940-_ZN7rocprim17ROCPRIM_400000_NS6detail17trampoline_kernelINS0_14default_configENS1_38merge_sort_block_merge_config_selectorIiNS0_10empty_typeEEEZZNS1_27merge_sort_block_merge_implIS3_PiPS5_jNS1_19radix_merge_compareILb0ELb1EiNS0_19identity_decomposerEEEEE10hipError_tT0_T1_T2_jT3_P12ihipStream_tbPNSt15iterator_traitsISE_E10value_typeEPNSK_ISF_E10value_typeEPSG_NS1_7vsmem_tEENKUlT_SE_SF_SG_E_clIS8_S8_S9_S9_EESD_ST_SE_SF_SG_EUlST_E1_NS1_11comp_targetILNS1_3genE9ELNS1_11target_archE1100ELNS1_3gpuE3ELNS1_3repE0EEENS1_36merge_oddeven_config_static_selectorELNS0_4arch9wavefront6targetE0EEEvSF_
                                        ; -- End function
	.set _ZN7rocprim17ROCPRIM_400000_NS6detail17trampoline_kernelINS0_14default_configENS1_38merge_sort_block_merge_config_selectorIiNS0_10empty_typeEEEZZNS1_27merge_sort_block_merge_implIS3_PiPS5_jNS1_19radix_merge_compareILb0ELb1EiNS0_19identity_decomposerEEEEE10hipError_tT0_T1_T2_jT3_P12ihipStream_tbPNSt15iterator_traitsISE_E10value_typeEPNSK_ISF_E10value_typeEPSG_NS1_7vsmem_tEENKUlT_SE_SF_SG_E_clIS8_S8_S9_S9_EESD_ST_SE_SF_SG_EUlST_E1_NS1_11comp_targetILNS1_3genE9ELNS1_11target_archE1100ELNS1_3gpuE3ELNS1_3repE0EEENS1_36merge_oddeven_config_static_selectorELNS0_4arch9wavefront6targetE0EEEvSF_.num_vgpr, 0
	.set _ZN7rocprim17ROCPRIM_400000_NS6detail17trampoline_kernelINS0_14default_configENS1_38merge_sort_block_merge_config_selectorIiNS0_10empty_typeEEEZZNS1_27merge_sort_block_merge_implIS3_PiPS5_jNS1_19radix_merge_compareILb0ELb1EiNS0_19identity_decomposerEEEEE10hipError_tT0_T1_T2_jT3_P12ihipStream_tbPNSt15iterator_traitsISE_E10value_typeEPNSK_ISF_E10value_typeEPSG_NS1_7vsmem_tEENKUlT_SE_SF_SG_E_clIS8_S8_S9_S9_EESD_ST_SE_SF_SG_EUlST_E1_NS1_11comp_targetILNS1_3genE9ELNS1_11target_archE1100ELNS1_3gpuE3ELNS1_3repE0EEENS1_36merge_oddeven_config_static_selectorELNS0_4arch9wavefront6targetE0EEEvSF_.num_agpr, 0
	.set _ZN7rocprim17ROCPRIM_400000_NS6detail17trampoline_kernelINS0_14default_configENS1_38merge_sort_block_merge_config_selectorIiNS0_10empty_typeEEEZZNS1_27merge_sort_block_merge_implIS3_PiPS5_jNS1_19radix_merge_compareILb0ELb1EiNS0_19identity_decomposerEEEEE10hipError_tT0_T1_T2_jT3_P12ihipStream_tbPNSt15iterator_traitsISE_E10value_typeEPNSK_ISF_E10value_typeEPSG_NS1_7vsmem_tEENKUlT_SE_SF_SG_E_clIS8_S8_S9_S9_EESD_ST_SE_SF_SG_EUlST_E1_NS1_11comp_targetILNS1_3genE9ELNS1_11target_archE1100ELNS1_3gpuE3ELNS1_3repE0EEENS1_36merge_oddeven_config_static_selectorELNS0_4arch9wavefront6targetE0EEEvSF_.numbered_sgpr, 0
	.set _ZN7rocprim17ROCPRIM_400000_NS6detail17trampoline_kernelINS0_14default_configENS1_38merge_sort_block_merge_config_selectorIiNS0_10empty_typeEEEZZNS1_27merge_sort_block_merge_implIS3_PiPS5_jNS1_19radix_merge_compareILb0ELb1EiNS0_19identity_decomposerEEEEE10hipError_tT0_T1_T2_jT3_P12ihipStream_tbPNSt15iterator_traitsISE_E10value_typeEPNSK_ISF_E10value_typeEPSG_NS1_7vsmem_tEENKUlT_SE_SF_SG_E_clIS8_S8_S9_S9_EESD_ST_SE_SF_SG_EUlST_E1_NS1_11comp_targetILNS1_3genE9ELNS1_11target_archE1100ELNS1_3gpuE3ELNS1_3repE0EEENS1_36merge_oddeven_config_static_selectorELNS0_4arch9wavefront6targetE0EEEvSF_.num_named_barrier, 0
	.set _ZN7rocprim17ROCPRIM_400000_NS6detail17trampoline_kernelINS0_14default_configENS1_38merge_sort_block_merge_config_selectorIiNS0_10empty_typeEEEZZNS1_27merge_sort_block_merge_implIS3_PiPS5_jNS1_19radix_merge_compareILb0ELb1EiNS0_19identity_decomposerEEEEE10hipError_tT0_T1_T2_jT3_P12ihipStream_tbPNSt15iterator_traitsISE_E10value_typeEPNSK_ISF_E10value_typeEPSG_NS1_7vsmem_tEENKUlT_SE_SF_SG_E_clIS8_S8_S9_S9_EESD_ST_SE_SF_SG_EUlST_E1_NS1_11comp_targetILNS1_3genE9ELNS1_11target_archE1100ELNS1_3gpuE3ELNS1_3repE0EEENS1_36merge_oddeven_config_static_selectorELNS0_4arch9wavefront6targetE0EEEvSF_.private_seg_size, 0
	.set _ZN7rocprim17ROCPRIM_400000_NS6detail17trampoline_kernelINS0_14default_configENS1_38merge_sort_block_merge_config_selectorIiNS0_10empty_typeEEEZZNS1_27merge_sort_block_merge_implIS3_PiPS5_jNS1_19radix_merge_compareILb0ELb1EiNS0_19identity_decomposerEEEEE10hipError_tT0_T1_T2_jT3_P12ihipStream_tbPNSt15iterator_traitsISE_E10value_typeEPNSK_ISF_E10value_typeEPSG_NS1_7vsmem_tEENKUlT_SE_SF_SG_E_clIS8_S8_S9_S9_EESD_ST_SE_SF_SG_EUlST_E1_NS1_11comp_targetILNS1_3genE9ELNS1_11target_archE1100ELNS1_3gpuE3ELNS1_3repE0EEENS1_36merge_oddeven_config_static_selectorELNS0_4arch9wavefront6targetE0EEEvSF_.uses_vcc, 0
	.set _ZN7rocprim17ROCPRIM_400000_NS6detail17trampoline_kernelINS0_14default_configENS1_38merge_sort_block_merge_config_selectorIiNS0_10empty_typeEEEZZNS1_27merge_sort_block_merge_implIS3_PiPS5_jNS1_19radix_merge_compareILb0ELb1EiNS0_19identity_decomposerEEEEE10hipError_tT0_T1_T2_jT3_P12ihipStream_tbPNSt15iterator_traitsISE_E10value_typeEPNSK_ISF_E10value_typeEPSG_NS1_7vsmem_tEENKUlT_SE_SF_SG_E_clIS8_S8_S9_S9_EESD_ST_SE_SF_SG_EUlST_E1_NS1_11comp_targetILNS1_3genE9ELNS1_11target_archE1100ELNS1_3gpuE3ELNS1_3repE0EEENS1_36merge_oddeven_config_static_selectorELNS0_4arch9wavefront6targetE0EEEvSF_.uses_flat_scratch, 0
	.set _ZN7rocprim17ROCPRIM_400000_NS6detail17trampoline_kernelINS0_14default_configENS1_38merge_sort_block_merge_config_selectorIiNS0_10empty_typeEEEZZNS1_27merge_sort_block_merge_implIS3_PiPS5_jNS1_19radix_merge_compareILb0ELb1EiNS0_19identity_decomposerEEEEE10hipError_tT0_T1_T2_jT3_P12ihipStream_tbPNSt15iterator_traitsISE_E10value_typeEPNSK_ISF_E10value_typeEPSG_NS1_7vsmem_tEENKUlT_SE_SF_SG_E_clIS8_S8_S9_S9_EESD_ST_SE_SF_SG_EUlST_E1_NS1_11comp_targetILNS1_3genE9ELNS1_11target_archE1100ELNS1_3gpuE3ELNS1_3repE0EEENS1_36merge_oddeven_config_static_selectorELNS0_4arch9wavefront6targetE0EEEvSF_.has_dyn_sized_stack, 0
	.set _ZN7rocprim17ROCPRIM_400000_NS6detail17trampoline_kernelINS0_14default_configENS1_38merge_sort_block_merge_config_selectorIiNS0_10empty_typeEEEZZNS1_27merge_sort_block_merge_implIS3_PiPS5_jNS1_19radix_merge_compareILb0ELb1EiNS0_19identity_decomposerEEEEE10hipError_tT0_T1_T2_jT3_P12ihipStream_tbPNSt15iterator_traitsISE_E10value_typeEPNSK_ISF_E10value_typeEPSG_NS1_7vsmem_tEENKUlT_SE_SF_SG_E_clIS8_S8_S9_S9_EESD_ST_SE_SF_SG_EUlST_E1_NS1_11comp_targetILNS1_3genE9ELNS1_11target_archE1100ELNS1_3gpuE3ELNS1_3repE0EEENS1_36merge_oddeven_config_static_selectorELNS0_4arch9wavefront6targetE0EEEvSF_.has_recursion, 0
	.set _ZN7rocprim17ROCPRIM_400000_NS6detail17trampoline_kernelINS0_14default_configENS1_38merge_sort_block_merge_config_selectorIiNS0_10empty_typeEEEZZNS1_27merge_sort_block_merge_implIS3_PiPS5_jNS1_19radix_merge_compareILb0ELb1EiNS0_19identity_decomposerEEEEE10hipError_tT0_T1_T2_jT3_P12ihipStream_tbPNSt15iterator_traitsISE_E10value_typeEPNSK_ISF_E10value_typeEPSG_NS1_7vsmem_tEENKUlT_SE_SF_SG_E_clIS8_S8_S9_S9_EESD_ST_SE_SF_SG_EUlST_E1_NS1_11comp_targetILNS1_3genE9ELNS1_11target_archE1100ELNS1_3gpuE3ELNS1_3repE0EEENS1_36merge_oddeven_config_static_selectorELNS0_4arch9wavefront6targetE0EEEvSF_.has_indirect_call, 0
	.section	.AMDGPU.csdata,"",@progbits
; Kernel info:
; codeLenInByte = 0
; TotalNumSgprs: 0
; NumVgprs: 0
; ScratchSize: 0
; MemoryBound: 0
; FloatMode: 240
; IeeeMode: 1
; LDSByteSize: 0 bytes/workgroup (compile time only)
; SGPRBlocks: 0
; VGPRBlocks: 0
; NumSGPRsForWavesPerEU: 1
; NumVGPRsForWavesPerEU: 1
; NamedBarCnt: 0
; Occupancy: 16
; WaveLimiterHint : 0
; COMPUTE_PGM_RSRC2:SCRATCH_EN: 0
; COMPUTE_PGM_RSRC2:USER_SGPR: 2
; COMPUTE_PGM_RSRC2:TRAP_HANDLER: 0
; COMPUTE_PGM_RSRC2:TGID_X_EN: 1
; COMPUTE_PGM_RSRC2:TGID_Y_EN: 0
; COMPUTE_PGM_RSRC2:TGID_Z_EN: 0
; COMPUTE_PGM_RSRC2:TIDIG_COMP_CNT: 0
	.section	.text._ZN7rocprim17ROCPRIM_400000_NS6detail17trampoline_kernelINS0_14default_configENS1_38merge_sort_block_merge_config_selectorIiNS0_10empty_typeEEEZZNS1_27merge_sort_block_merge_implIS3_PiPS5_jNS1_19radix_merge_compareILb0ELb1EiNS0_19identity_decomposerEEEEE10hipError_tT0_T1_T2_jT3_P12ihipStream_tbPNSt15iterator_traitsISE_E10value_typeEPNSK_ISF_E10value_typeEPSG_NS1_7vsmem_tEENKUlT_SE_SF_SG_E_clIS8_S8_S9_S9_EESD_ST_SE_SF_SG_EUlST_E1_NS1_11comp_targetILNS1_3genE8ELNS1_11target_archE1030ELNS1_3gpuE2ELNS1_3repE0EEENS1_36merge_oddeven_config_static_selectorELNS0_4arch9wavefront6targetE0EEEvSF_,"axG",@progbits,_ZN7rocprim17ROCPRIM_400000_NS6detail17trampoline_kernelINS0_14default_configENS1_38merge_sort_block_merge_config_selectorIiNS0_10empty_typeEEEZZNS1_27merge_sort_block_merge_implIS3_PiPS5_jNS1_19radix_merge_compareILb0ELb1EiNS0_19identity_decomposerEEEEE10hipError_tT0_T1_T2_jT3_P12ihipStream_tbPNSt15iterator_traitsISE_E10value_typeEPNSK_ISF_E10value_typeEPSG_NS1_7vsmem_tEENKUlT_SE_SF_SG_E_clIS8_S8_S9_S9_EESD_ST_SE_SF_SG_EUlST_E1_NS1_11comp_targetILNS1_3genE8ELNS1_11target_archE1030ELNS1_3gpuE2ELNS1_3repE0EEENS1_36merge_oddeven_config_static_selectorELNS0_4arch9wavefront6targetE0EEEvSF_,comdat
	.protected	_ZN7rocprim17ROCPRIM_400000_NS6detail17trampoline_kernelINS0_14default_configENS1_38merge_sort_block_merge_config_selectorIiNS0_10empty_typeEEEZZNS1_27merge_sort_block_merge_implIS3_PiPS5_jNS1_19radix_merge_compareILb0ELb1EiNS0_19identity_decomposerEEEEE10hipError_tT0_T1_T2_jT3_P12ihipStream_tbPNSt15iterator_traitsISE_E10value_typeEPNSK_ISF_E10value_typeEPSG_NS1_7vsmem_tEENKUlT_SE_SF_SG_E_clIS8_S8_S9_S9_EESD_ST_SE_SF_SG_EUlST_E1_NS1_11comp_targetILNS1_3genE8ELNS1_11target_archE1030ELNS1_3gpuE2ELNS1_3repE0EEENS1_36merge_oddeven_config_static_selectorELNS0_4arch9wavefront6targetE0EEEvSF_ ; -- Begin function _ZN7rocprim17ROCPRIM_400000_NS6detail17trampoline_kernelINS0_14default_configENS1_38merge_sort_block_merge_config_selectorIiNS0_10empty_typeEEEZZNS1_27merge_sort_block_merge_implIS3_PiPS5_jNS1_19radix_merge_compareILb0ELb1EiNS0_19identity_decomposerEEEEE10hipError_tT0_T1_T2_jT3_P12ihipStream_tbPNSt15iterator_traitsISE_E10value_typeEPNSK_ISF_E10value_typeEPSG_NS1_7vsmem_tEENKUlT_SE_SF_SG_E_clIS8_S8_S9_S9_EESD_ST_SE_SF_SG_EUlST_E1_NS1_11comp_targetILNS1_3genE8ELNS1_11target_archE1030ELNS1_3gpuE2ELNS1_3repE0EEENS1_36merge_oddeven_config_static_selectorELNS0_4arch9wavefront6targetE0EEEvSF_
	.globl	_ZN7rocprim17ROCPRIM_400000_NS6detail17trampoline_kernelINS0_14default_configENS1_38merge_sort_block_merge_config_selectorIiNS0_10empty_typeEEEZZNS1_27merge_sort_block_merge_implIS3_PiPS5_jNS1_19radix_merge_compareILb0ELb1EiNS0_19identity_decomposerEEEEE10hipError_tT0_T1_T2_jT3_P12ihipStream_tbPNSt15iterator_traitsISE_E10value_typeEPNSK_ISF_E10value_typeEPSG_NS1_7vsmem_tEENKUlT_SE_SF_SG_E_clIS8_S8_S9_S9_EESD_ST_SE_SF_SG_EUlST_E1_NS1_11comp_targetILNS1_3genE8ELNS1_11target_archE1030ELNS1_3gpuE2ELNS1_3repE0EEENS1_36merge_oddeven_config_static_selectorELNS0_4arch9wavefront6targetE0EEEvSF_
	.p2align	8
	.type	_ZN7rocprim17ROCPRIM_400000_NS6detail17trampoline_kernelINS0_14default_configENS1_38merge_sort_block_merge_config_selectorIiNS0_10empty_typeEEEZZNS1_27merge_sort_block_merge_implIS3_PiPS5_jNS1_19radix_merge_compareILb0ELb1EiNS0_19identity_decomposerEEEEE10hipError_tT0_T1_T2_jT3_P12ihipStream_tbPNSt15iterator_traitsISE_E10value_typeEPNSK_ISF_E10value_typeEPSG_NS1_7vsmem_tEENKUlT_SE_SF_SG_E_clIS8_S8_S9_S9_EESD_ST_SE_SF_SG_EUlST_E1_NS1_11comp_targetILNS1_3genE8ELNS1_11target_archE1030ELNS1_3gpuE2ELNS1_3repE0EEENS1_36merge_oddeven_config_static_selectorELNS0_4arch9wavefront6targetE0EEEvSF_,@function
_ZN7rocprim17ROCPRIM_400000_NS6detail17trampoline_kernelINS0_14default_configENS1_38merge_sort_block_merge_config_selectorIiNS0_10empty_typeEEEZZNS1_27merge_sort_block_merge_implIS3_PiPS5_jNS1_19radix_merge_compareILb0ELb1EiNS0_19identity_decomposerEEEEE10hipError_tT0_T1_T2_jT3_P12ihipStream_tbPNSt15iterator_traitsISE_E10value_typeEPNSK_ISF_E10value_typeEPSG_NS1_7vsmem_tEENKUlT_SE_SF_SG_E_clIS8_S8_S9_S9_EESD_ST_SE_SF_SG_EUlST_E1_NS1_11comp_targetILNS1_3genE8ELNS1_11target_archE1030ELNS1_3gpuE2ELNS1_3repE0EEENS1_36merge_oddeven_config_static_selectorELNS0_4arch9wavefront6targetE0EEEvSF_: ; @_ZN7rocprim17ROCPRIM_400000_NS6detail17trampoline_kernelINS0_14default_configENS1_38merge_sort_block_merge_config_selectorIiNS0_10empty_typeEEEZZNS1_27merge_sort_block_merge_implIS3_PiPS5_jNS1_19radix_merge_compareILb0ELb1EiNS0_19identity_decomposerEEEEE10hipError_tT0_T1_T2_jT3_P12ihipStream_tbPNSt15iterator_traitsISE_E10value_typeEPNSK_ISF_E10value_typeEPSG_NS1_7vsmem_tEENKUlT_SE_SF_SG_E_clIS8_S8_S9_S9_EESD_ST_SE_SF_SG_EUlST_E1_NS1_11comp_targetILNS1_3genE8ELNS1_11target_archE1030ELNS1_3gpuE2ELNS1_3repE0EEENS1_36merge_oddeven_config_static_selectorELNS0_4arch9wavefront6targetE0EEEvSF_
; %bb.0:
	.section	.rodata,"a",@progbits
	.p2align	6, 0x0
	.amdhsa_kernel _ZN7rocprim17ROCPRIM_400000_NS6detail17trampoline_kernelINS0_14default_configENS1_38merge_sort_block_merge_config_selectorIiNS0_10empty_typeEEEZZNS1_27merge_sort_block_merge_implIS3_PiPS5_jNS1_19radix_merge_compareILb0ELb1EiNS0_19identity_decomposerEEEEE10hipError_tT0_T1_T2_jT3_P12ihipStream_tbPNSt15iterator_traitsISE_E10value_typeEPNSK_ISF_E10value_typeEPSG_NS1_7vsmem_tEENKUlT_SE_SF_SG_E_clIS8_S8_S9_S9_EESD_ST_SE_SF_SG_EUlST_E1_NS1_11comp_targetILNS1_3genE8ELNS1_11target_archE1030ELNS1_3gpuE2ELNS1_3repE0EEENS1_36merge_oddeven_config_static_selectorELNS0_4arch9wavefront6targetE0EEEvSF_
		.amdhsa_group_segment_fixed_size 0
		.amdhsa_private_segment_fixed_size 0
		.amdhsa_kernarg_size 48
		.amdhsa_user_sgpr_count 2
		.amdhsa_user_sgpr_dispatch_ptr 0
		.amdhsa_user_sgpr_queue_ptr 0
		.amdhsa_user_sgpr_kernarg_segment_ptr 1
		.amdhsa_user_sgpr_dispatch_id 0
		.amdhsa_user_sgpr_kernarg_preload_length 0
		.amdhsa_user_sgpr_kernarg_preload_offset 0
		.amdhsa_user_sgpr_private_segment_size 0
		.amdhsa_wavefront_size32 1
		.amdhsa_uses_dynamic_stack 0
		.amdhsa_enable_private_segment 0
		.amdhsa_system_sgpr_workgroup_id_x 1
		.amdhsa_system_sgpr_workgroup_id_y 0
		.amdhsa_system_sgpr_workgroup_id_z 0
		.amdhsa_system_sgpr_workgroup_info 0
		.amdhsa_system_vgpr_workitem_id 0
		.amdhsa_next_free_vgpr 1
		.amdhsa_next_free_sgpr 1
		.amdhsa_named_barrier_count 0
		.amdhsa_reserve_vcc 0
		.amdhsa_float_round_mode_32 0
		.amdhsa_float_round_mode_16_64 0
		.amdhsa_float_denorm_mode_32 3
		.amdhsa_float_denorm_mode_16_64 3
		.amdhsa_fp16_overflow 0
		.amdhsa_memory_ordered 1
		.amdhsa_forward_progress 1
		.amdhsa_inst_pref_size 0
		.amdhsa_round_robin_scheduling 0
		.amdhsa_exception_fp_ieee_invalid_op 0
		.amdhsa_exception_fp_denorm_src 0
		.amdhsa_exception_fp_ieee_div_zero 0
		.amdhsa_exception_fp_ieee_overflow 0
		.amdhsa_exception_fp_ieee_underflow 0
		.amdhsa_exception_fp_ieee_inexact 0
		.amdhsa_exception_int_div_zero 0
	.end_amdhsa_kernel
	.section	.text._ZN7rocprim17ROCPRIM_400000_NS6detail17trampoline_kernelINS0_14default_configENS1_38merge_sort_block_merge_config_selectorIiNS0_10empty_typeEEEZZNS1_27merge_sort_block_merge_implIS3_PiPS5_jNS1_19radix_merge_compareILb0ELb1EiNS0_19identity_decomposerEEEEE10hipError_tT0_T1_T2_jT3_P12ihipStream_tbPNSt15iterator_traitsISE_E10value_typeEPNSK_ISF_E10value_typeEPSG_NS1_7vsmem_tEENKUlT_SE_SF_SG_E_clIS8_S8_S9_S9_EESD_ST_SE_SF_SG_EUlST_E1_NS1_11comp_targetILNS1_3genE8ELNS1_11target_archE1030ELNS1_3gpuE2ELNS1_3repE0EEENS1_36merge_oddeven_config_static_selectorELNS0_4arch9wavefront6targetE0EEEvSF_,"axG",@progbits,_ZN7rocprim17ROCPRIM_400000_NS6detail17trampoline_kernelINS0_14default_configENS1_38merge_sort_block_merge_config_selectorIiNS0_10empty_typeEEEZZNS1_27merge_sort_block_merge_implIS3_PiPS5_jNS1_19radix_merge_compareILb0ELb1EiNS0_19identity_decomposerEEEEE10hipError_tT0_T1_T2_jT3_P12ihipStream_tbPNSt15iterator_traitsISE_E10value_typeEPNSK_ISF_E10value_typeEPSG_NS1_7vsmem_tEENKUlT_SE_SF_SG_E_clIS8_S8_S9_S9_EESD_ST_SE_SF_SG_EUlST_E1_NS1_11comp_targetILNS1_3genE8ELNS1_11target_archE1030ELNS1_3gpuE2ELNS1_3repE0EEENS1_36merge_oddeven_config_static_selectorELNS0_4arch9wavefront6targetE0EEEvSF_,comdat
.Lfunc_end941:
	.size	_ZN7rocprim17ROCPRIM_400000_NS6detail17trampoline_kernelINS0_14default_configENS1_38merge_sort_block_merge_config_selectorIiNS0_10empty_typeEEEZZNS1_27merge_sort_block_merge_implIS3_PiPS5_jNS1_19radix_merge_compareILb0ELb1EiNS0_19identity_decomposerEEEEE10hipError_tT0_T1_T2_jT3_P12ihipStream_tbPNSt15iterator_traitsISE_E10value_typeEPNSK_ISF_E10value_typeEPSG_NS1_7vsmem_tEENKUlT_SE_SF_SG_E_clIS8_S8_S9_S9_EESD_ST_SE_SF_SG_EUlST_E1_NS1_11comp_targetILNS1_3genE8ELNS1_11target_archE1030ELNS1_3gpuE2ELNS1_3repE0EEENS1_36merge_oddeven_config_static_selectorELNS0_4arch9wavefront6targetE0EEEvSF_, .Lfunc_end941-_ZN7rocprim17ROCPRIM_400000_NS6detail17trampoline_kernelINS0_14default_configENS1_38merge_sort_block_merge_config_selectorIiNS0_10empty_typeEEEZZNS1_27merge_sort_block_merge_implIS3_PiPS5_jNS1_19radix_merge_compareILb0ELb1EiNS0_19identity_decomposerEEEEE10hipError_tT0_T1_T2_jT3_P12ihipStream_tbPNSt15iterator_traitsISE_E10value_typeEPNSK_ISF_E10value_typeEPSG_NS1_7vsmem_tEENKUlT_SE_SF_SG_E_clIS8_S8_S9_S9_EESD_ST_SE_SF_SG_EUlST_E1_NS1_11comp_targetILNS1_3genE8ELNS1_11target_archE1030ELNS1_3gpuE2ELNS1_3repE0EEENS1_36merge_oddeven_config_static_selectorELNS0_4arch9wavefront6targetE0EEEvSF_
                                        ; -- End function
	.set _ZN7rocprim17ROCPRIM_400000_NS6detail17trampoline_kernelINS0_14default_configENS1_38merge_sort_block_merge_config_selectorIiNS0_10empty_typeEEEZZNS1_27merge_sort_block_merge_implIS3_PiPS5_jNS1_19radix_merge_compareILb0ELb1EiNS0_19identity_decomposerEEEEE10hipError_tT0_T1_T2_jT3_P12ihipStream_tbPNSt15iterator_traitsISE_E10value_typeEPNSK_ISF_E10value_typeEPSG_NS1_7vsmem_tEENKUlT_SE_SF_SG_E_clIS8_S8_S9_S9_EESD_ST_SE_SF_SG_EUlST_E1_NS1_11comp_targetILNS1_3genE8ELNS1_11target_archE1030ELNS1_3gpuE2ELNS1_3repE0EEENS1_36merge_oddeven_config_static_selectorELNS0_4arch9wavefront6targetE0EEEvSF_.num_vgpr, 0
	.set _ZN7rocprim17ROCPRIM_400000_NS6detail17trampoline_kernelINS0_14default_configENS1_38merge_sort_block_merge_config_selectorIiNS0_10empty_typeEEEZZNS1_27merge_sort_block_merge_implIS3_PiPS5_jNS1_19radix_merge_compareILb0ELb1EiNS0_19identity_decomposerEEEEE10hipError_tT0_T1_T2_jT3_P12ihipStream_tbPNSt15iterator_traitsISE_E10value_typeEPNSK_ISF_E10value_typeEPSG_NS1_7vsmem_tEENKUlT_SE_SF_SG_E_clIS8_S8_S9_S9_EESD_ST_SE_SF_SG_EUlST_E1_NS1_11comp_targetILNS1_3genE8ELNS1_11target_archE1030ELNS1_3gpuE2ELNS1_3repE0EEENS1_36merge_oddeven_config_static_selectorELNS0_4arch9wavefront6targetE0EEEvSF_.num_agpr, 0
	.set _ZN7rocprim17ROCPRIM_400000_NS6detail17trampoline_kernelINS0_14default_configENS1_38merge_sort_block_merge_config_selectorIiNS0_10empty_typeEEEZZNS1_27merge_sort_block_merge_implIS3_PiPS5_jNS1_19radix_merge_compareILb0ELb1EiNS0_19identity_decomposerEEEEE10hipError_tT0_T1_T2_jT3_P12ihipStream_tbPNSt15iterator_traitsISE_E10value_typeEPNSK_ISF_E10value_typeEPSG_NS1_7vsmem_tEENKUlT_SE_SF_SG_E_clIS8_S8_S9_S9_EESD_ST_SE_SF_SG_EUlST_E1_NS1_11comp_targetILNS1_3genE8ELNS1_11target_archE1030ELNS1_3gpuE2ELNS1_3repE0EEENS1_36merge_oddeven_config_static_selectorELNS0_4arch9wavefront6targetE0EEEvSF_.numbered_sgpr, 0
	.set _ZN7rocprim17ROCPRIM_400000_NS6detail17trampoline_kernelINS0_14default_configENS1_38merge_sort_block_merge_config_selectorIiNS0_10empty_typeEEEZZNS1_27merge_sort_block_merge_implIS3_PiPS5_jNS1_19radix_merge_compareILb0ELb1EiNS0_19identity_decomposerEEEEE10hipError_tT0_T1_T2_jT3_P12ihipStream_tbPNSt15iterator_traitsISE_E10value_typeEPNSK_ISF_E10value_typeEPSG_NS1_7vsmem_tEENKUlT_SE_SF_SG_E_clIS8_S8_S9_S9_EESD_ST_SE_SF_SG_EUlST_E1_NS1_11comp_targetILNS1_3genE8ELNS1_11target_archE1030ELNS1_3gpuE2ELNS1_3repE0EEENS1_36merge_oddeven_config_static_selectorELNS0_4arch9wavefront6targetE0EEEvSF_.num_named_barrier, 0
	.set _ZN7rocprim17ROCPRIM_400000_NS6detail17trampoline_kernelINS0_14default_configENS1_38merge_sort_block_merge_config_selectorIiNS0_10empty_typeEEEZZNS1_27merge_sort_block_merge_implIS3_PiPS5_jNS1_19radix_merge_compareILb0ELb1EiNS0_19identity_decomposerEEEEE10hipError_tT0_T1_T2_jT3_P12ihipStream_tbPNSt15iterator_traitsISE_E10value_typeEPNSK_ISF_E10value_typeEPSG_NS1_7vsmem_tEENKUlT_SE_SF_SG_E_clIS8_S8_S9_S9_EESD_ST_SE_SF_SG_EUlST_E1_NS1_11comp_targetILNS1_3genE8ELNS1_11target_archE1030ELNS1_3gpuE2ELNS1_3repE0EEENS1_36merge_oddeven_config_static_selectorELNS0_4arch9wavefront6targetE0EEEvSF_.private_seg_size, 0
	.set _ZN7rocprim17ROCPRIM_400000_NS6detail17trampoline_kernelINS0_14default_configENS1_38merge_sort_block_merge_config_selectorIiNS0_10empty_typeEEEZZNS1_27merge_sort_block_merge_implIS3_PiPS5_jNS1_19radix_merge_compareILb0ELb1EiNS0_19identity_decomposerEEEEE10hipError_tT0_T1_T2_jT3_P12ihipStream_tbPNSt15iterator_traitsISE_E10value_typeEPNSK_ISF_E10value_typeEPSG_NS1_7vsmem_tEENKUlT_SE_SF_SG_E_clIS8_S8_S9_S9_EESD_ST_SE_SF_SG_EUlST_E1_NS1_11comp_targetILNS1_3genE8ELNS1_11target_archE1030ELNS1_3gpuE2ELNS1_3repE0EEENS1_36merge_oddeven_config_static_selectorELNS0_4arch9wavefront6targetE0EEEvSF_.uses_vcc, 0
	.set _ZN7rocprim17ROCPRIM_400000_NS6detail17trampoline_kernelINS0_14default_configENS1_38merge_sort_block_merge_config_selectorIiNS0_10empty_typeEEEZZNS1_27merge_sort_block_merge_implIS3_PiPS5_jNS1_19radix_merge_compareILb0ELb1EiNS0_19identity_decomposerEEEEE10hipError_tT0_T1_T2_jT3_P12ihipStream_tbPNSt15iterator_traitsISE_E10value_typeEPNSK_ISF_E10value_typeEPSG_NS1_7vsmem_tEENKUlT_SE_SF_SG_E_clIS8_S8_S9_S9_EESD_ST_SE_SF_SG_EUlST_E1_NS1_11comp_targetILNS1_3genE8ELNS1_11target_archE1030ELNS1_3gpuE2ELNS1_3repE0EEENS1_36merge_oddeven_config_static_selectorELNS0_4arch9wavefront6targetE0EEEvSF_.uses_flat_scratch, 0
	.set _ZN7rocprim17ROCPRIM_400000_NS6detail17trampoline_kernelINS0_14default_configENS1_38merge_sort_block_merge_config_selectorIiNS0_10empty_typeEEEZZNS1_27merge_sort_block_merge_implIS3_PiPS5_jNS1_19radix_merge_compareILb0ELb1EiNS0_19identity_decomposerEEEEE10hipError_tT0_T1_T2_jT3_P12ihipStream_tbPNSt15iterator_traitsISE_E10value_typeEPNSK_ISF_E10value_typeEPSG_NS1_7vsmem_tEENKUlT_SE_SF_SG_E_clIS8_S8_S9_S9_EESD_ST_SE_SF_SG_EUlST_E1_NS1_11comp_targetILNS1_3genE8ELNS1_11target_archE1030ELNS1_3gpuE2ELNS1_3repE0EEENS1_36merge_oddeven_config_static_selectorELNS0_4arch9wavefront6targetE0EEEvSF_.has_dyn_sized_stack, 0
	.set _ZN7rocprim17ROCPRIM_400000_NS6detail17trampoline_kernelINS0_14default_configENS1_38merge_sort_block_merge_config_selectorIiNS0_10empty_typeEEEZZNS1_27merge_sort_block_merge_implIS3_PiPS5_jNS1_19radix_merge_compareILb0ELb1EiNS0_19identity_decomposerEEEEE10hipError_tT0_T1_T2_jT3_P12ihipStream_tbPNSt15iterator_traitsISE_E10value_typeEPNSK_ISF_E10value_typeEPSG_NS1_7vsmem_tEENKUlT_SE_SF_SG_E_clIS8_S8_S9_S9_EESD_ST_SE_SF_SG_EUlST_E1_NS1_11comp_targetILNS1_3genE8ELNS1_11target_archE1030ELNS1_3gpuE2ELNS1_3repE0EEENS1_36merge_oddeven_config_static_selectorELNS0_4arch9wavefront6targetE0EEEvSF_.has_recursion, 0
	.set _ZN7rocprim17ROCPRIM_400000_NS6detail17trampoline_kernelINS0_14default_configENS1_38merge_sort_block_merge_config_selectorIiNS0_10empty_typeEEEZZNS1_27merge_sort_block_merge_implIS3_PiPS5_jNS1_19radix_merge_compareILb0ELb1EiNS0_19identity_decomposerEEEEE10hipError_tT0_T1_T2_jT3_P12ihipStream_tbPNSt15iterator_traitsISE_E10value_typeEPNSK_ISF_E10value_typeEPSG_NS1_7vsmem_tEENKUlT_SE_SF_SG_E_clIS8_S8_S9_S9_EESD_ST_SE_SF_SG_EUlST_E1_NS1_11comp_targetILNS1_3genE8ELNS1_11target_archE1030ELNS1_3gpuE2ELNS1_3repE0EEENS1_36merge_oddeven_config_static_selectorELNS0_4arch9wavefront6targetE0EEEvSF_.has_indirect_call, 0
	.section	.AMDGPU.csdata,"",@progbits
; Kernel info:
; codeLenInByte = 0
; TotalNumSgprs: 0
; NumVgprs: 0
; ScratchSize: 0
; MemoryBound: 0
; FloatMode: 240
; IeeeMode: 1
; LDSByteSize: 0 bytes/workgroup (compile time only)
; SGPRBlocks: 0
; VGPRBlocks: 0
; NumSGPRsForWavesPerEU: 1
; NumVGPRsForWavesPerEU: 1
; NamedBarCnt: 0
; Occupancy: 16
; WaveLimiterHint : 0
; COMPUTE_PGM_RSRC2:SCRATCH_EN: 0
; COMPUTE_PGM_RSRC2:USER_SGPR: 2
; COMPUTE_PGM_RSRC2:TRAP_HANDLER: 0
; COMPUTE_PGM_RSRC2:TGID_X_EN: 1
; COMPUTE_PGM_RSRC2:TGID_Y_EN: 0
; COMPUTE_PGM_RSRC2:TGID_Z_EN: 0
; COMPUTE_PGM_RSRC2:TIDIG_COMP_CNT: 0
	.section	.text._ZN7rocprim17ROCPRIM_400000_NS6detail17trampoline_kernelINS0_14default_configENS1_35radix_sort_onesweep_config_selectorIiNS0_10empty_typeEEEZNS1_34radix_sort_onesweep_global_offsetsIS3_Lb0EPKiPS5_mNS0_19identity_decomposerEEE10hipError_tT1_T2_PT3_SF_jT4_jjP12ihipStream_tbEUlT_E_NS1_11comp_targetILNS1_3genE0ELNS1_11target_archE4294967295ELNS1_3gpuE0ELNS1_3repE0EEENS1_52radix_sort_onesweep_histogram_config_static_selectorELNS0_4arch9wavefront6targetE0EEEvSD_,"axG",@progbits,_ZN7rocprim17ROCPRIM_400000_NS6detail17trampoline_kernelINS0_14default_configENS1_35radix_sort_onesweep_config_selectorIiNS0_10empty_typeEEEZNS1_34radix_sort_onesweep_global_offsetsIS3_Lb0EPKiPS5_mNS0_19identity_decomposerEEE10hipError_tT1_T2_PT3_SF_jT4_jjP12ihipStream_tbEUlT_E_NS1_11comp_targetILNS1_3genE0ELNS1_11target_archE4294967295ELNS1_3gpuE0ELNS1_3repE0EEENS1_52radix_sort_onesweep_histogram_config_static_selectorELNS0_4arch9wavefront6targetE0EEEvSD_,comdat
	.protected	_ZN7rocprim17ROCPRIM_400000_NS6detail17trampoline_kernelINS0_14default_configENS1_35radix_sort_onesweep_config_selectorIiNS0_10empty_typeEEEZNS1_34radix_sort_onesweep_global_offsetsIS3_Lb0EPKiPS5_mNS0_19identity_decomposerEEE10hipError_tT1_T2_PT3_SF_jT4_jjP12ihipStream_tbEUlT_E_NS1_11comp_targetILNS1_3genE0ELNS1_11target_archE4294967295ELNS1_3gpuE0ELNS1_3repE0EEENS1_52radix_sort_onesweep_histogram_config_static_selectorELNS0_4arch9wavefront6targetE0EEEvSD_ ; -- Begin function _ZN7rocprim17ROCPRIM_400000_NS6detail17trampoline_kernelINS0_14default_configENS1_35radix_sort_onesweep_config_selectorIiNS0_10empty_typeEEEZNS1_34radix_sort_onesweep_global_offsetsIS3_Lb0EPKiPS5_mNS0_19identity_decomposerEEE10hipError_tT1_T2_PT3_SF_jT4_jjP12ihipStream_tbEUlT_E_NS1_11comp_targetILNS1_3genE0ELNS1_11target_archE4294967295ELNS1_3gpuE0ELNS1_3repE0EEENS1_52radix_sort_onesweep_histogram_config_static_selectorELNS0_4arch9wavefront6targetE0EEEvSD_
	.globl	_ZN7rocprim17ROCPRIM_400000_NS6detail17trampoline_kernelINS0_14default_configENS1_35radix_sort_onesweep_config_selectorIiNS0_10empty_typeEEEZNS1_34radix_sort_onesweep_global_offsetsIS3_Lb0EPKiPS5_mNS0_19identity_decomposerEEE10hipError_tT1_T2_PT3_SF_jT4_jjP12ihipStream_tbEUlT_E_NS1_11comp_targetILNS1_3genE0ELNS1_11target_archE4294967295ELNS1_3gpuE0ELNS1_3repE0EEENS1_52radix_sort_onesweep_histogram_config_static_selectorELNS0_4arch9wavefront6targetE0EEEvSD_
	.p2align	8
	.type	_ZN7rocprim17ROCPRIM_400000_NS6detail17trampoline_kernelINS0_14default_configENS1_35radix_sort_onesweep_config_selectorIiNS0_10empty_typeEEEZNS1_34radix_sort_onesweep_global_offsetsIS3_Lb0EPKiPS5_mNS0_19identity_decomposerEEE10hipError_tT1_T2_PT3_SF_jT4_jjP12ihipStream_tbEUlT_E_NS1_11comp_targetILNS1_3genE0ELNS1_11target_archE4294967295ELNS1_3gpuE0ELNS1_3repE0EEENS1_52radix_sort_onesweep_histogram_config_static_selectorELNS0_4arch9wavefront6targetE0EEEvSD_,@function
_ZN7rocprim17ROCPRIM_400000_NS6detail17trampoline_kernelINS0_14default_configENS1_35radix_sort_onesweep_config_selectorIiNS0_10empty_typeEEEZNS1_34radix_sort_onesweep_global_offsetsIS3_Lb0EPKiPS5_mNS0_19identity_decomposerEEE10hipError_tT1_T2_PT3_SF_jT4_jjP12ihipStream_tbEUlT_E_NS1_11comp_targetILNS1_3genE0ELNS1_11target_archE4294967295ELNS1_3gpuE0ELNS1_3repE0EEENS1_52radix_sort_onesweep_histogram_config_static_selectorELNS0_4arch9wavefront6targetE0EEEvSD_: ; @_ZN7rocprim17ROCPRIM_400000_NS6detail17trampoline_kernelINS0_14default_configENS1_35radix_sort_onesweep_config_selectorIiNS0_10empty_typeEEEZNS1_34radix_sort_onesweep_global_offsetsIS3_Lb0EPKiPS5_mNS0_19identity_decomposerEEE10hipError_tT1_T2_PT3_SF_jT4_jjP12ihipStream_tbEUlT_E_NS1_11comp_targetILNS1_3genE0ELNS1_11target_archE4294967295ELNS1_3gpuE0ELNS1_3repE0EEENS1_52radix_sort_onesweep_histogram_config_static_selectorELNS0_4arch9wavefront6targetE0EEEvSD_
; %bb.0:
	s_clause 0x1
	s_load_b64 s[8:9], s[0:1], 0x18
	s_load_b128 s[4:7], s[0:1], 0x0
	s_bfe_u32 s10, ttmp6, 0x4000c
	s_load_b64 s[2:3], s[0:1], 0x24
	s_add_co_i32 s10, s10, 1
	s_and_b32 s11, ttmp6, 15
	s_mul_i32 s10, ttmp9, s10
	s_getreg_b32 s12, hwreg(HW_REG_IB_STS2, 6, 4)
	s_add_co_i32 s10, s11, s10
	s_cmp_eq_u32 s12, 0
	s_mov_b32 s11, 0
	s_cselect_b32 s10, ttmp9, s10
	s_wait_kmcnt 0x0
	v_cmp_le_u64_e64 s9, s[8:9], s[10:11]
	s_mul_u64 s[10:11], s[10:11], 0x6000
	s_delay_alu instid0(SALU_CYCLE_1)
	s_add_nc_u64 s[4:5], s[4:5], s[10:11]
	s_and_b32 vcc_lo, exec_lo, s9
	s_mov_b32 s9, -1
	s_cbranch_vccz .LBB942_243
; %bb.1:
	s_load_b32 s1, s[0:1], 0x10
	s_wait_xcnt 0x0
	s_mul_i32 s0, s8, 0xffffe800
                                        ; implicit-def: $vgpr25
	s_wait_kmcnt 0x0
	s_add_co_i32 s1, s1, s0
	s_mov_b32 s0, exec_lo
	v_cmpx_gt_u32_e64 s1, v0
	s_cbranch_execz .LBB942_3
; %bb.2:
	global_load_b32 v1, v0, s[4:5] scale_offset
	s_wait_loadcnt 0x0
	v_xor_b32_e32 v25, 0x80000000, v1
.LBB942_3:
	s_or_b32 exec_lo, exec_lo, s0
	v_or_b32_e32 v24, 0x200, v0
	s_mov_b32 s0, exec_lo
                                        ; implicit-def: $vgpr23
	s_delay_alu instid0(VALU_DEP_1)
	v_cmpx_gt_u32_e64 s1, v24
	s_cbranch_execz .LBB942_5
; %bb.4:
	global_load_b32 v1, v0, s[4:5] offset:2048 scale_offset
	s_wait_loadcnt 0x0
	v_xor_b32_e32 v23, 0x80000000, v1
.LBB942_5:
	s_or_b32 exec_lo, exec_lo, s0
	v_or_b32_e32 v22, 0x400, v0
	s_mov_b32 s0, exec_lo
                                        ; implicit-def: $vgpr21
	s_delay_alu instid0(VALU_DEP_1)
	v_cmpx_gt_u32_e64 s1, v22
	s_cbranch_execz .LBB942_7
; %bb.6:
	global_load_b32 v1, v0, s[4:5] offset:4096 scale_offset
	s_wait_loadcnt 0x0
	v_xor_b32_e32 v21, 0x80000000, v1
.LBB942_7:
	s_or_b32 exec_lo, exec_lo, s0
	v_or_b32_e32 v20, 0x600, v0
	s_mov_b32 s0, exec_lo
                                        ; implicit-def: $vgpr19
	s_delay_alu instid0(VALU_DEP_1)
	v_cmpx_gt_u32_e64 s1, v20
	s_cbranch_execz .LBB942_9
; %bb.8:
	global_load_b32 v1, v0, s[4:5] offset:6144 scale_offset
	s_wait_loadcnt 0x0
	v_xor_b32_e32 v19, 0x80000000, v1
.LBB942_9:
	s_or_b32 exec_lo, exec_lo, s0
	v_or_b32_e32 v18, 0x800, v0
	s_mov_b32 s0, exec_lo
                                        ; implicit-def: $vgpr17
	s_delay_alu instid0(VALU_DEP_1)
	v_cmpx_gt_u32_e64 s1, v18
	s_cbranch_execz .LBB942_11
; %bb.10:
	global_load_b32 v1, v0, s[4:5] offset:8192 scale_offset
	s_wait_loadcnt 0x0
	v_xor_b32_e32 v17, 0x80000000, v1
.LBB942_11:
	s_or_b32 exec_lo, exec_lo, s0
	v_or_b32_e32 v16, 0xa00, v0
	s_mov_b32 s0, exec_lo
                                        ; implicit-def: $vgpr15
	s_delay_alu instid0(VALU_DEP_1)
	v_cmpx_gt_u32_e64 s1, v16
	s_cbranch_execz .LBB942_13
; %bb.12:
	global_load_b32 v1, v0, s[4:5] offset:10240 scale_offset
	s_wait_loadcnt 0x0
	v_xor_b32_e32 v15, 0x80000000, v1
.LBB942_13:
	s_or_b32 exec_lo, exec_lo, s0
	v_or_b32_e32 v14, 0xc00, v0
	s_mov_b32 s0, exec_lo
                                        ; implicit-def: $vgpr13
	s_delay_alu instid0(VALU_DEP_1)
	v_cmpx_gt_u32_e64 s1, v14
	s_cbranch_execz .LBB942_15
; %bb.14:
	global_load_b32 v1, v0, s[4:5] offset:12288 scale_offset
	s_wait_loadcnt 0x0
	v_xor_b32_e32 v13, 0x80000000, v1
.LBB942_15:
	s_or_b32 exec_lo, exec_lo, s0
	v_or_b32_e32 v12, 0xe00, v0
	s_mov_b32 s0, exec_lo
                                        ; implicit-def: $vgpr11
	s_delay_alu instid0(VALU_DEP_1)
	v_cmpx_gt_u32_e64 s1, v12
	s_cbranch_execz .LBB942_17
; %bb.16:
	global_load_b32 v1, v0, s[4:5] offset:14336 scale_offset
	s_wait_loadcnt 0x0
	v_xor_b32_e32 v11, 0x80000000, v1
.LBB942_17:
	s_or_b32 exec_lo, exec_lo, s0
	v_or_b32_e32 v10, 0x1000, v0
	s_mov_b32 s0, exec_lo
                                        ; implicit-def: $vgpr9
	s_delay_alu instid0(VALU_DEP_1)
	v_cmpx_gt_u32_e64 s1, v10
	s_cbranch_execz .LBB942_19
; %bb.18:
	global_load_b32 v1, v0, s[4:5] offset:16384 scale_offset
	s_wait_loadcnt 0x0
	v_xor_b32_e32 v9, 0x80000000, v1
.LBB942_19:
	s_or_b32 exec_lo, exec_lo, s0
	v_or_b32_e32 v8, 0x1200, v0
	s_mov_b32 s0, exec_lo
                                        ; implicit-def: $vgpr7
	s_delay_alu instid0(VALU_DEP_1)
	v_cmpx_gt_u32_e64 s1, v8
	s_cbranch_execz .LBB942_21
; %bb.20:
	global_load_b32 v1, v0, s[4:5] offset:18432 scale_offset
	s_wait_loadcnt 0x0
	v_xor_b32_e32 v7, 0x80000000, v1
.LBB942_21:
	s_or_b32 exec_lo, exec_lo, s0
	v_or_b32_e32 v6, 0x1400, v0
	s_mov_b32 s0, exec_lo
                                        ; implicit-def: $vgpr5
	s_delay_alu instid0(VALU_DEP_1)
	v_cmpx_gt_u32_e64 s1, v6
	s_cbranch_execz .LBB942_23
; %bb.22:
	global_load_b32 v1, v0, s[4:5] offset:20480 scale_offset
	s_wait_loadcnt 0x0
	v_xor_b32_e32 v5, 0x80000000, v1
.LBB942_23:
	s_or_b32 exec_lo, exec_lo, s0
	v_or_b32_e32 v4, 0x1600, v0
	s_mov_b32 s0, exec_lo
                                        ; implicit-def: $vgpr2
	s_delay_alu instid0(VALU_DEP_1)
	v_cmpx_gt_u32_e64 s1, v4
	s_cbranch_execz .LBB942_25
; %bb.24:
	global_load_b32 v1, v0, s[4:5] offset:22528 scale_offset
	s_wait_loadcnt 0x0
	v_xor_b32_e32 v2, 0x80000000, v1
.LBB942_25:
	s_or_b32 exec_lo, exec_lo, s0
	v_dual_lshlrev_b32 v1, 2, v0 :: v_dual_mov_b32 v3, 0
	s_mov_b32 s0, -1
	ds_store_2addr_stride64_b32 v1, v3, v3 offset1:8
	ds_store_2addr_stride64_b32 v1, v3, v3 offset0:16 offset1:24
	s_and_saveexec_b32 s8, s0
; %bb.26:
	ds_store_b32 v1, v3 offset:8192
; %bb.27:
	s_or_b32 exec_lo, exec_lo, s8
	s_and_saveexec_b32 s8, s0
; %bb.28:
	v_mov_b32_e32 v3, 0
	ds_store_b32 v1, v3 offset:10240
; %bb.29:
	s_or_b32 exec_lo, exec_lo, s8
	v_cmp_gt_u32_e64 s0, 7, 6
	s_mov_b32 s8, exec_lo
	v_cmpx_gt_u32_e64 7, 5
; %bb.30:
	v_mov_b32_e32 v3, 0
	ds_store_b32 v1, v3 offset:12288
; %bb.31:
	s_or_b32 exec_lo, exec_lo, s8
	s_and_saveexec_b32 s8, s0
; %bb.32:
	v_mov_b32_e32 v3, 0
	ds_store_b32 v1, v3 offset:14336
; %bb.33:
	s_or_b32 exec_lo, exec_lo, s8
	s_cmp_le_u32 s3, s2
	v_cmp_le_u32_e32 vcc_lo, s1, v0
	s_cselect_b32 s8, -1, 0
	s_wait_dscnt 0x0
	s_and_b32 s0, s8, exec_lo
	s_cselect_b32 s9, 8, 10
	s_delay_alu instid0(SALU_CYCLE_1)
	v_dual_mov_b32 v26, s9 :: v_dual_bitop2_b32 v3, 3, v0 bitop3:0x40
	s_nor_b32 s10, s8, vcc_lo
	s_barrier_signal -1
	s_barrier_wait -1
	s_and_saveexec_b32 s0, s10
	s_cbranch_execz .LBB942_35
; %bb.34:
	v_dual_lshrrev_b32 v26, s2, v25 :: v_dual_lshlrev_b32 v27, 2, v3
	s_sub_co_i32 s10, s3, s2
	s_delay_alu instid0(SALU_CYCLE_1)
	s_min_u32 s10, s10, 8
	s_delay_alu instid0(VALU_DEP_1) | instid1(SALU_CYCLE_1)
	v_bfe_u32 v26, v26, 0, s10
	s_delay_alu instid0(VALU_DEP_1)
	v_lshl_or_b32 v26, v26, 4, v27
	v_mov_b32_e32 v27, 1
	ds_add_u32 v26, v27
	v_mov_b32_e32 v26, 0
.LBB942_35:
	s_or_b32 exec_lo, exec_lo, s0
	s_mov_b32 s11, -1
	s_mov_b32 s10, exec_lo
	s_delay_alu instid0(VALU_DEP_1)
	v_cmpx_gt_i32_e32 10, v26
; %bb.36:
	v_cmp_eq_u32_e64 s0, 0, v26
	s_or_not1_b32 s11, s0, exec_lo
; %bb.37:
	s_or_b32 exec_lo, exec_lo, s10
	s_and_saveexec_b32 s10, s11
	s_cbranch_execz .LBB942_50
; %bb.38:
	s_add_co_i32 s11, s2, 8
	s_delay_alu instid0(SALU_CYCLE_1) | instskip(SKIP_1) | instid1(SALU_CYCLE_1)
	s_cmp_le_u32 s3, s11
	s_cselect_b32 s0, -1, 0
	s_and_b32 s12, s0, exec_lo
	s_cselect_b32 s12, 8, 10
	s_delay_alu instid0(SALU_CYCLE_1) | instskip(SKIP_1) | instid1(SALU_CYCLE_1)
	v_mov_b32_e32 v26, s12
	s_nor_b32 s12, s0, vcc_lo
	s_and_saveexec_b32 s0, s12
	s_cbranch_execz .LBB942_40
; %bb.39:
	v_dual_lshrrev_b32 v26, s11, v25 :: v_dual_lshlrev_b32 v27, 2, v3
	s_sub_co_i32 s11, s3, s11
	s_delay_alu instid0(SALU_CYCLE_1)
	s_min_u32 s11, s11, 8
	s_delay_alu instid0(VALU_DEP_1) | instid1(SALU_CYCLE_1)
	v_bfe_u32 v26, v26, 0, s11
	s_delay_alu instid0(VALU_DEP_1)
	v_lshl_or_b32 v26, v26, 4, v27
	v_mov_b32_e32 v27, 1
	ds_add_u32 v26, v27 offset:4096
	v_mov_b32_e32 v26, 0
.LBB942_40:
	s_or_b32 exec_lo, exec_lo, s0
	s_mov_b32 s11, -1
	s_mov_b32 s12, exec_lo
	s_delay_alu instid0(VALU_DEP_1)
	v_cmpx_gt_i32_e32 10, v26
; %bb.41:
	v_cmp_eq_u32_e64 s0, 0, v26
	s_or_not1_b32 s11, s0, exec_lo
; %bb.42:
	s_or_b32 exec_lo, exec_lo, s12
	s_delay_alu instid0(SALU_CYCLE_1)
	s_and_b32 exec_lo, exec_lo, s11
	s_cbranch_execz .LBB942_50
; %bb.43:
	s_add_co_i32 s11, s2, 16
	s_delay_alu instid0(SALU_CYCLE_1) | instskip(SKIP_1) | instid1(SALU_CYCLE_1)
	s_cmp_le_u32 s3, s11
	s_cselect_b32 s0, -1, 0
	s_and_b32 s12, s0, exec_lo
	s_cselect_b32 s12, 8, 10
	s_delay_alu instid0(SALU_CYCLE_1) | instskip(SKIP_1) | instid1(SALU_CYCLE_1)
	v_mov_b32_e32 v26, s12
	s_nor_b32 s12, s0, vcc_lo
	s_and_saveexec_b32 s0, s12
	s_cbranch_execz .LBB942_45
; %bb.44:
	v_dual_lshrrev_b32 v26, s11, v25 :: v_dual_lshlrev_b32 v27, 2, v3
	s_sub_co_i32 s11, s3, s11
	s_delay_alu instid0(SALU_CYCLE_1)
	s_min_u32 s11, s11, 8
	s_delay_alu instid0(VALU_DEP_1) | instid1(SALU_CYCLE_1)
	v_bfe_u32 v26, v26, 0, s11
	s_delay_alu instid0(VALU_DEP_1)
	v_lshl_or_b32 v26, v26, 4, v27
	v_mov_b32_e32 v27, 1
	ds_add_u32 v26, v27 offset:8192
	v_mov_b32_e32 v26, 0
.LBB942_45:
	s_or_b32 exec_lo, exec_lo, s0
	s_mov_b32 s11, -1
	s_mov_b32 s12, exec_lo
	s_delay_alu instid0(VALU_DEP_1)
	v_cmpx_gt_i32_e32 10, v26
; %bb.46:
	v_cmp_eq_u32_e64 s0, 0, v26
	s_or_not1_b32 s11, s0, exec_lo
; %bb.47:
	s_or_b32 exec_lo, exec_lo, s12
	s_delay_alu instid0(SALU_CYCLE_1)
	s_and_b32 exec_lo, exec_lo, s11
	s_cbranch_execz .LBB942_50
; %bb.48:
	s_add_co_i32 s0, s2, 24
	s_delay_alu instid0(SALU_CYCLE_1) | instskip(SKIP_2) | instid1(SALU_CYCLE_1)
	s_cmp_gt_u32 s3, s0
	s_cselect_b32 s11, -1, 0
	s_xor_b32 s12, vcc_lo, -1
	s_and_b32 s11, s11, s12
	s_delay_alu instid0(SALU_CYCLE_1)
	s_and_b32 exec_lo, exec_lo, s11
	s_cbranch_execz .LBB942_50
; %bb.49:
	v_dual_lshrrev_b32 v25, s0, v25 :: v_dual_lshlrev_b32 v26, 2, v3
	s_sub_co_i32 s0, s3, s0
	s_delay_alu instid0(SALU_CYCLE_1)
	s_min_u32 s0, s0, 8
	s_delay_alu instid0(VALU_DEP_1) | instid1(SALU_CYCLE_1)
	v_bfe_u32 v25, v25, 0, s0
	s_delay_alu instid0(VALU_DEP_1)
	v_lshl_or_b32 v25, v25, 4, v26
	v_mov_b32_e32 v26, 1
	ds_add_u32 v25, v26 offset:12288
.LBB942_50:
	s_or_b32 exec_lo, exec_lo, s10
	v_cmp_le_u32_e32 vcc_lo, s1, v24
	v_mov_b32_e32 v24, s9
	s_nor_b32 s10, s8, vcc_lo
	s_delay_alu instid0(SALU_CYCLE_1)
	s_and_saveexec_b32 s0, s10
	s_cbranch_execz .LBB942_52
; %bb.51:
	v_lshrrev_b32_e32 v24, s2, v23
	s_sub_co_i32 s10, s3, s2
	v_lshlrev_b32_e32 v25, 2, v3
	s_min_u32 s10, s10, 8
	s_delay_alu instid0(VALU_DEP_2) | instid1(SALU_CYCLE_1)
	v_bfe_u32 v24, v24, 0, s10
	s_delay_alu instid0(VALU_DEP_1)
	v_lshl_or_b32 v24, v24, 4, v25
	v_mov_b32_e32 v25, 1
	ds_add_u32 v24, v25
	v_mov_b32_e32 v24, 0
.LBB942_52:
	s_or_b32 exec_lo, exec_lo, s0
	s_mov_b32 s11, -1
	s_mov_b32 s10, exec_lo
	s_delay_alu instid0(VALU_DEP_1)
	v_cmpx_gt_i32_e32 10, v24
; %bb.53:
	v_cmp_eq_u32_e64 s0, 0, v24
	s_or_not1_b32 s11, s0, exec_lo
; %bb.54:
	s_or_b32 exec_lo, exec_lo, s10
	s_and_saveexec_b32 s10, s11
	s_cbranch_execz .LBB942_67
; %bb.55:
	s_add_co_i32 s11, s2, 8
	s_delay_alu instid0(SALU_CYCLE_1) | instskip(SKIP_1) | instid1(SALU_CYCLE_1)
	s_cmp_le_u32 s3, s11
	s_cselect_b32 s0, -1, 0
	s_and_b32 s12, s0, exec_lo
	s_cselect_b32 s12, 8, 10
	s_delay_alu instid0(SALU_CYCLE_1) | instskip(SKIP_1) | instid1(SALU_CYCLE_1)
	v_mov_b32_e32 v24, s12
	s_nor_b32 s12, s0, vcc_lo
	s_and_saveexec_b32 s0, s12
	s_cbranch_execz .LBB942_57
; %bb.56:
	v_lshrrev_b32_e32 v24, s11, v23
	s_sub_co_i32 s11, s3, s11
	v_lshlrev_b32_e32 v25, 2, v3
	s_min_u32 s11, s11, 8
	s_delay_alu instid0(VALU_DEP_2) | instid1(SALU_CYCLE_1)
	v_bfe_u32 v24, v24, 0, s11
	s_delay_alu instid0(VALU_DEP_1)
	v_lshl_or_b32 v24, v24, 4, v25
	v_mov_b32_e32 v25, 1
	ds_add_u32 v24, v25 offset:4096
	v_mov_b32_e32 v24, 0
.LBB942_57:
	s_or_b32 exec_lo, exec_lo, s0
	s_mov_b32 s11, -1
	s_mov_b32 s12, exec_lo
	s_delay_alu instid0(VALU_DEP_1)
	v_cmpx_gt_i32_e32 10, v24
; %bb.58:
	v_cmp_eq_u32_e64 s0, 0, v24
	s_or_not1_b32 s11, s0, exec_lo
; %bb.59:
	s_or_b32 exec_lo, exec_lo, s12
	s_delay_alu instid0(SALU_CYCLE_1)
	s_and_b32 exec_lo, exec_lo, s11
	s_cbranch_execz .LBB942_67
; %bb.60:
	s_add_co_i32 s11, s2, 16
	s_delay_alu instid0(SALU_CYCLE_1) | instskip(SKIP_1) | instid1(SALU_CYCLE_1)
	s_cmp_le_u32 s3, s11
	s_cselect_b32 s0, -1, 0
	s_and_b32 s12, s0, exec_lo
	s_cselect_b32 s12, 8, 10
	s_delay_alu instid0(SALU_CYCLE_1) | instskip(SKIP_1) | instid1(SALU_CYCLE_1)
	v_mov_b32_e32 v24, s12
	s_nor_b32 s12, s0, vcc_lo
	s_and_saveexec_b32 s0, s12
	s_cbranch_execz .LBB942_62
; %bb.61:
	v_lshrrev_b32_e32 v24, s11, v23
	s_sub_co_i32 s11, s3, s11
	v_lshlrev_b32_e32 v25, 2, v3
	s_min_u32 s11, s11, 8
	s_delay_alu instid0(VALU_DEP_2) | instid1(SALU_CYCLE_1)
	v_bfe_u32 v24, v24, 0, s11
	s_delay_alu instid0(VALU_DEP_1)
	v_lshl_or_b32 v24, v24, 4, v25
	v_mov_b32_e32 v25, 1
	ds_add_u32 v24, v25 offset:8192
	v_mov_b32_e32 v24, 0
.LBB942_62:
	s_or_b32 exec_lo, exec_lo, s0
	s_mov_b32 s11, -1
	s_mov_b32 s12, exec_lo
	s_delay_alu instid0(VALU_DEP_1)
	v_cmpx_gt_i32_e32 10, v24
; %bb.63:
	v_cmp_eq_u32_e64 s0, 0, v24
	s_or_not1_b32 s11, s0, exec_lo
; %bb.64:
	s_or_b32 exec_lo, exec_lo, s12
	s_delay_alu instid0(SALU_CYCLE_1)
	s_and_b32 exec_lo, exec_lo, s11
	s_cbranch_execz .LBB942_67
; %bb.65:
	s_add_co_i32 s0, s2, 24
	s_delay_alu instid0(SALU_CYCLE_1) | instskip(SKIP_2) | instid1(SALU_CYCLE_1)
	s_cmp_gt_u32 s3, s0
	s_cselect_b32 s11, -1, 0
	s_xor_b32 s12, vcc_lo, -1
	s_and_b32 s11, s11, s12
	s_delay_alu instid0(SALU_CYCLE_1)
	s_and_b32 exec_lo, exec_lo, s11
	s_cbranch_execz .LBB942_67
; %bb.66:
	v_lshrrev_b32_e32 v23, s0, v23
	s_sub_co_i32 s0, s3, s0
	v_lshlrev_b32_e32 v24, 2, v3
	s_min_u32 s0, s0, 8
	s_delay_alu instid0(VALU_DEP_2) | instid1(SALU_CYCLE_1)
	v_bfe_u32 v23, v23, 0, s0
	s_delay_alu instid0(VALU_DEP_1)
	v_lshl_or_b32 v23, v23, 4, v24
	v_mov_b32_e32 v24, 1
	ds_add_u32 v23, v24 offset:12288
.LBB942_67:
	s_or_b32 exec_lo, exec_lo, s10
	v_cmp_le_u32_e32 vcc_lo, s1, v22
	v_mov_b32_e32 v22, s9
	s_nor_b32 s10, s8, vcc_lo
	s_delay_alu instid0(SALU_CYCLE_1)
	s_and_saveexec_b32 s0, s10
	s_cbranch_execz .LBB942_69
; %bb.68:
	v_dual_lshrrev_b32 v22, s2, v21 :: v_dual_lshlrev_b32 v23, 2, v3
	s_sub_co_i32 s10, s3, s2
	s_delay_alu instid0(SALU_CYCLE_1)
	s_min_u32 s10, s10, 8
	s_delay_alu instid0(VALU_DEP_1) | instid1(SALU_CYCLE_1)
	v_bfe_u32 v22, v22, 0, s10
	s_delay_alu instid0(VALU_DEP_1)
	v_lshl_or_b32 v22, v22, 4, v23
	v_mov_b32_e32 v23, 1
	ds_add_u32 v22, v23
	v_mov_b32_e32 v22, 0
.LBB942_69:
	s_or_b32 exec_lo, exec_lo, s0
	s_mov_b32 s11, -1
	s_mov_b32 s10, exec_lo
	s_delay_alu instid0(VALU_DEP_1)
	v_cmpx_gt_i32_e32 10, v22
; %bb.70:
	v_cmp_eq_u32_e64 s0, 0, v22
	s_or_not1_b32 s11, s0, exec_lo
; %bb.71:
	s_or_b32 exec_lo, exec_lo, s10
	s_and_saveexec_b32 s10, s11
	s_cbranch_execz .LBB942_84
; %bb.72:
	s_add_co_i32 s11, s2, 8
	s_delay_alu instid0(SALU_CYCLE_1) | instskip(SKIP_1) | instid1(SALU_CYCLE_1)
	s_cmp_le_u32 s3, s11
	s_cselect_b32 s0, -1, 0
	s_and_b32 s12, s0, exec_lo
	s_cselect_b32 s12, 8, 10
	s_delay_alu instid0(SALU_CYCLE_1) | instskip(SKIP_1) | instid1(SALU_CYCLE_1)
	v_mov_b32_e32 v22, s12
	s_nor_b32 s12, s0, vcc_lo
	s_and_saveexec_b32 s0, s12
	s_cbranch_execz .LBB942_74
; %bb.73:
	v_dual_lshrrev_b32 v22, s11, v21 :: v_dual_lshlrev_b32 v23, 2, v3
	s_sub_co_i32 s11, s3, s11
	s_delay_alu instid0(SALU_CYCLE_1)
	s_min_u32 s11, s11, 8
	s_delay_alu instid0(VALU_DEP_1) | instid1(SALU_CYCLE_1)
	v_bfe_u32 v22, v22, 0, s11
	s_delay_alu instid0(VALU_DEP_1)
	v_lshl_or_b32 v22, v22, 4, v23
	v_mov_b32_e32 v23, 1
	ds_add_u32 v22, v23 offset:4096
	v_mov_b32_e32 v22, 0
.LBB942_74:
	s_or_b32 exec_lo, exec_lo, s0
	s_mov_b32 s11, -1
	s_mov_b32 s12, exec_lo
	s_delay_alu instid0(VALU_DEP_1)
	v_cmpx_gt_i32_e32 10, v22
; %bb.75:
	v_cmp_eq_u32_e64 s0, 0, v22
	s_or_not1_b32 s11, s0, exec_lo
; %bb.76:
	s_or_b32 exec_lo, exec_lo, s12
	s_delay_alu instid0(SALU_CYCLE_1)
	s_and_b32 exec_lo, exec_lo, s11
	s_cbranch_execz .LBB942_84
; %bb.77:
	s_add_co_i32 s11, s2, 16
	s_delay_alu instid0(SALU_CYCLE_1) | instskip(SKIP_1) | instid1(SALU_CYCLE_1)
	s_cmp_le_u32 s3, s11
	s_cselect_b32 s0, -1, 0
	s_and_b32 s12, s0, exec_lo
	s_cselect_b32 s12, 8, 10
	s_delay_alu instid0(SALU_CYCLE_1) | instskip(SKIP_1) | instid1(SALU_CYCLE_1)
	v_mov_b32_e32 v22, s12
	s_nor_b32 s12, s0, vcc_lo
	s_and_saveexec_b32 s0, s12
	s_cbranch_execz .LBB942_79
; %bb.78:
	v_dual_lshrrev_b32 v22, s11, v21 :: v_dual_lshlrev_b32 v23, 2, v3
	s_sub_co_i32 s11, s3, s11
	s_delay_alu instid0(SALU_CYCLE_1)
	s_min_u32 s11, s11, 8
	s_delay_alu instid0(VALU_DEP_1) | instid1(SALU_CYCLE_1)
	v_bfe_u32 v22, v22, 0, s11
	s_delay_alu instid0(VALU_DEP_1)
	v_lshl_or_b32 v22, v22, 4, v23
	v_mov_b32_e32 v23, 1
	ds_add_u32 v22, v23 offset:8192
	v_mov_b32_e32 v22, 0
.LBB942_79:
	s_or_b32 exec_lo, exec_lo, s0
	s_mov_b32 s11, -1
	s_mov_b32 s12, exec_lo
	s_delay_alu instid0(VALU_DEP_1)
	v_cmpx_gt_i32_e32 10, v22
; %bb.80:
	v_cmp_eq_u32_e64 s0, 0, v22
	s_or_not1_b32 s11, s0, exec_lo
; %bb.81:
	s_or_b32 exec_lo, exec_lo, s12
	s_delay_alu instid0(SALU_CYCLE_1)
	s_and_b32 exec_lo, exec_lo, s11
	s_cbranch_execz .LBB942_84
; %bb.82:
	s_add_co_i32 s0, s2, 24
	s_delay_alu instid0(SALU_CYCLE_1) | instskip(SKIP_2) | instid1(SALU_CYCLE_1)
	s_cmp_gt_u32 s3, s0
	s_cselect_b32 s11, -1, 0
	s_xor_b32 s12, vcc_lo, -1
	s_and_b32 s11, s11, s12
	s_delay_alu instid0(SALU_CYCLE_1)
	s_and_b32 exec_lo, exec_lo, s11
	s_cbranch_execz .LBB942_84
; %bb.83:
	v_dual_lshrrev_b32 v21, s0, v21 :: v_dual_lshlrev_b32 v22, 2, v3
	s_sub_co_i32 s0, s3, s0
	s_delay_alu instid0(SALU_CYCLE_1)
	s_min_u32 s0, s0, 8
	s_delay_alu instid0(VALU_DEP_1) | instid1(SALU_CYCLE_1)
	v_bfe_u32 v21, v21, 0, s0
	s_delay_alu instid0(VALU_DEP_1)
	v_lshl_or_b32 v21, v21, 4, v22
	v_mov_b32_e32 v22, 1
	ds_add_u32 v21, v22 offset:12288
.LBB942_84:
	s_or_b32 exec_lo, exec_lo, s10
	v_cmp_le_u32_e32 vcc_lo, s1, v20
	v_mov_b32_e32 v20, s9
	s_nor_b32 s10, s8, vcc_lo
	s_delay_alu instid0(SALU_CYCLE_1)
	s_and_saveexec_b32 s0, s10
	s_cbranch_execz .LBB942_86
; %bb.85:
	v_lshrrev_b32_e32 v20, s2, v19
	s_sub_co_i32 s10, s3, s2
	v_lshlrev_b32_e32 v21, 2, v3
	s_min_u32 s10, s10, 8
	s_delay_alu instid0(VALU_DEP_2) | instid1(SALU_CYCLE_1)
	v_bfe_u32 v20, v20, 0, s10
	s_delay_alu instid0(VALU_DEP_1)
	v_lshl_or_b32 v20, v20, 4, v21
	v_mov_b32_e32 v21, 1
	ds_add_u32 v20, v21
	v_mov_b32_e32 v20, 0
.LBB942_86:
	s_or_b32 exec_lo, exec_lo, s0
	s_mov_b32 s11, -1
	s_mov_b32 s10, exec_lo
	s_delay_alu instid0(VALU_DEP_1)
	v_cmpx_gt_i32_e32 10, v20
; %bb.87:
	v_cmp_eq_u32_e64 s0, 0, v20
	s_or_not1_b32 s11, s0, exec_lo
; %bb.88:
	s_or_b32 exec_lo, exec_lo, s10
	s_and_saveexec_b32 s10, s11
	s_cbranch_execz .LBB942_101
; %bb.89:
	s_add_co_i32 s11, s2, 8
	s_delay_alu instid0(SALU_CYCLE_1) | instskip(SKIP_1) | instid1(SALU_CYCLE_1)
	s_cmp_le_u32 s3, s11
	s_cselect_b32 s0, -1, 0
	s_and_b32 s12, s0, exec_lo
	s_cselect_b32 s12, 8, 10
	s_delay_alu instid0(SALU_CYCLE_1) | instskip(SKIP_1) | instid1(SALU_CYCLE_1)
	v_mov_b32_e32 v20, s12
	s_nor_b32 s12, s0, vcc_lo
	s_and_saveexec_b32 s0, s12
	s_cbranch_execz .LBB942_91
; %bb.90:
	v_lshrrev_b32_e32 v20, s11, v19
	s_sub_co_i32 s11, s3, s11
	v_lshlrev_b32_e32 v21, 2, v3
	s_min_u32 s11, s11, 8
	s_delay_alu instid0(VALU_DEP_2) | instid1(SALU_CYCLE_1)
	v_bfe_u32 v20, v20, 0, s11
	s_delay_alu instid0(VALU_DEP_1)
	v_lshl_or_b32 v20, v20, 4, v21
	v_mov_b32_e32 v21, 1
	ds_add_u32 v20, v21 offset:4096
	v_mov_b32_e32 v20, 0
.LBB942_91:
	s_or_b32 exec_lo, exec_lo, s0
	s_mov_b32 s11, -1
	s_mov_b32 s12, exec_lo
	s_delay_alu instid0(VALU_DEP_1)
	v_cmpx_gt_i32_e32 10, v20
; %bb.92:
	v_cmp_eq_u32_e64 s0, 0, v20
	s_or_not1_b32 s11, s0, exec_lo
; %bb.93:
	s_or_b32 exec_lo, exec_lo, s12
	s_delay_alu instid0(SALU_CYCLE_1)
	s_and_b32 exec_lo, exec_lo, s11
	s_cbranch_execz .LBB942_101
; %bb.94:
	s_add_co_i32 s11, s2, 16
	s_delay_alu instid0(SALU_CYCLE_1) | instskip(SKIP_1) | instid1(SALU_CYCLE_1)
	s_cmp_le_u32 s3, s11
	s_cselect_b32 s0, -1, 0
	s_and_b32 s12, s0, exec_lo
	s_cselect_b32 s12, 8, 10
	s_delay_alu instid0(SALU_CYCLE_1) | instskip(SKIP_1) | instid1(SALU_CYCLE_1)
	v_mov_b32_e32 v20, s12
	s_nor_b32 s12, s0, vcc_lo
	s_and_saveexec_b32 s0, s12
	s_cbranch_execz .LBB942_96
; %bb.95:
	v_lshrrev_b32_e32 v20, s11, v19
	s_sub_co_i32 s11, s3, s11
	v_lshlrev_b32_e32 v21, 2, v3
	s_min_u32 s11, s11, 8
	s_delay_alu instid0(VALU_DEP_2) | instid1(SALU_CYCLE_1)
	v_bfe_u32 v20, v20, 0, s11
	s_delay_alu instid0(VALU_DEP_1)
	v_lshl_or_b32 v20, v20, 4, v21
	v_mov_b32_e32 v21, 1
	ds_add_u32 v20, v21 offset:8192
	v_mov_b32_e32 v20, 0
.LBB942_96:
	s_or_b32 exec_lo, exec_lo, s0
	s_mov_b32 s11, -1
	s_mov_b32 s12, exec_lo
	s_delay_alu instid0(VALU_DEP_1)
	v_cmpx_gt_i32_e32 10, v20
; %bb.97:
	v_cmp_eq_u32_e64 s0, 0, v20
	s_or_not1_b32 s11, s0, exec_lo
; %bb.98:
	s_or_b32 exec_lo, exec_lo, s12
	s_delay_alu instid0(SALU_CYCLE_1)
	s_and_b32 exec_lo, exec_lo, s11
	s_cbranch_execz .LBB942_101
; %bb.99:
	s_add_co_i32 s0, s2, 24
	s_delay_alu instid0(SALU_CYCLE_1) | instskip(SKIP_2) | instid1(SALU_CYCLE_1)
	s_cmp_gt_u32 s3, s0
	s_cselect_b32 s11, -1, 0
	s_xor_b32 s12, vcc_lo, -1
	s_and_b32 s11, s11, s12
	s_delay_alu instid0(SALU_CYCLE_1)
	s_and_b32 exec_lo, exec_lo, s11
	s_cbranch_execz .LBB942_101
; %bb.100:
	v_lshrrev_b32_e32 v19, s0, v19
	s_sub_co_i32 s0, s3, s0
	v_lshlrev_b32_e32 v20, 2, v3
	s_min_u32 s0, s0, 8
	s_delay_alu instid0(VALU_DEP_2) | instid1(SALU_CYCLE_1)
	v_bfe_u32 v19, v19, 0, s0
	s_delay_alu instid0(VALU_DEP_1)
	v_lshl_or_b32 v19, v19, 4, v20
	v_mov_b32_e32 v20, 1
	ds_add_u32 v19, v20 offset:12288
.LBB942_101:
	s_or_b32 exec_lo, exec_lo, s10
	v_cmp_le_u32_e32 vcc_lo, s1, v18
	v_mov_b32_e32 v18, s9
	s_nor_b32 s10, s8, vcc_lo
	s_delay_alu instid0(SALU_CYCLE_1)
	s_and_saveexec_b32 s0, s10
	s_cbranch_execz .LBB942_103
; %bb.102:
	v_dual_lshrrev_b32 v18, s2, v17 :: v_dual_lshlrev_b32 v19, 2, v3
	s_sub_co_i32 s10, s3, s2
	s_delay_alu instid0(SALU_CYCLE_1)
	s_min_u32 s10, s10, 8
	s_delay_alu instid0(VALU_DEP_1) | instid1(SALU_CYCLE_1)
	v_bfe_u32 v18, v18, 0, s10
	s_delay_alu instid0(VALU_DEP_1)
	v_lshl_or_b32 v18, v18, 4, v19
	v_mov_b32_e32 v19, 1
	ds_add_u32 v18, v19
	v_mov_b32_e32 v18, 0
.LBB942_103:
	s_or_b32 exec_lo, exec_lo, s0
	s_mov_b32 s11, -1
	s_mov_b32 s10, exec_lo
	s_delay_alu instid0(VALU_DEP_1)
	v_cmpx_gt_i32_e32 10, v18
; %bb.104:
	v_cmp_eq_u32_e64 s0, 0, v18
	s_or_not1_b32 s11, s0, exec_lo
; %bb.105:
	s_or_b32 exec_lo, exec_lo, s10
	s_and_saveexec_b32 s10, s11
	s_cbranch_execz .LBB942_118
; %bb.106:
	s_add_co_i32 s11, s2, 8
	s_delay_alu instid0(SALU_CYCLE_1) | instskip(SKIP_1) | instid1(SALU_CYCLE_1)
	s_cmp_le_u32 s3, s11
	s_cselect_b32 s0, -1, 0
	s_and_b32 s12, s0, exec_lo
	s_cselect_b32 s12, 8, 10
	s_delay_alu instid0(SALU_CYCLE_1) | instskip(SKIP_1) | instid1(SALU_CYCLE_1)
	v_mov_b32_e32 v18, s12
	s_nor_b32 s12, s0, vcc_lo
	s_and_saveexec_b32 s0, s12
	s_cbranch_execz .LBB942_108
; %bb.107:
	v_dual_lshrrev_b32 v18, s11, v17 :: v_dual_lshlrev_b32 v19, 2, v3
	s_sub_co_i32 s11, s3, s11
	s_delay_alu instid0(SALU_CYCLE_1)
	s_min_u32 s11, s11, 8
	s_delay_alu instid0(VALU_DEP_1) | instid1(SALU_CYCLE_1)
	v_bfe_u32 v18, v18, 0, s11
	s_delay_alu instid0(VALU_DEP_1)
	v_lshl_or_b32 v18, v18, 4, v19
	v_mov_b32_e32 v19, 1
	ds_add_u32 v18, v19 offset:4096
	v_mov_b32_e32 v18, 0
.LBB942_108:
	s_or_b32 exec_lo, exec_lo, s0
	s_mov_b32 s11, -1
	s_mov_b32 s12, exec_lo
	s_delay_alu instid0(VALU_DEP_1)
	v_cmpx_gt_i32_e32 10, v18
; %bb.109:
	v_cmp_eq_u32_e64 s0, 0, v18
	s_or_not1_b32 s11, s0, exec_lo
; %bb.110:
	s_or_b32 exec_lo, exec_lo, s12
	s_delay_alu instid0(SALU_CYCLE_1)
	s_and_b32 exec_lo, exec_lo, s11
	s_cbranch_execz .LBB942_118
; %bb.111:
	s_add_co_i32 s11, s2, 16
	s_delay_alu instid0(SALU_CYCLE_1) | instskip(SKIP_1) | instid1(SALU_CYCLE_1)
	s_cmp_le_u32 s3, s11
	s_cselect_b32 s0, -1, 0
	s_and_b32 s12, s0, exec_lo
	s_cselect_b32 s12, 8, 10
	s_delay_alu instid0(SALU_CYCLE_1) | instskip(SKIP_1) | instid1(SALU_CYCLE_1)
	v_mov_b32_e32 v18, s12
	s_nor_b32 s12, s0, vcc_lo
	s_and_saveexec_b32 s0, s12
	s_cbranch_execz .LBB942_113
; %bb.112:
	v_dual_lshrrev_b32 v18, s11, v17 :: v_dual_lshlrev_b32 v19, 2, v3
	s_sub_co_i32 s11, s3, s11
	s_delay_alu instid0(SALU_CYCLE_1)
	s_min_u32 s11, s11, 8
	s_delay_alu instid0(VALU_DEP_1) | instid1(SALU_CYCLE_1)
	v_bfe_u32 v18, v18, 0, s11
	s_delay_alu instid0(VALU_DEP_1)
	v_lshl_or_b32 v18, v18, 4, v19
	v_mov_b32_e32 v19, 1
	ds_add_u32 v18, v19 offset:8192
	v_mov_b32_e32 v18, 0
.LBB942_113:
	s_or_b32 exec_lo, exec_lo, s0
	s_mov_b32 s11, -1
	s_mov_b32 s12, exec_lo
	s_delay_alu instid0(VALU_DEP_1)
	v_cmpx_gt_i32_e32 10, v18
; %bb.114:
	v_cmp_eq_u32_e64 s0, 0, v18
	s_or_not1_b32 s11, s0, exec_lo
; %bb.115:
	s_or_b32 exec_lo, exec_lo, s12
	s_delay_alu instid0(SALU_CYCLE_1)
	s_and_b32 exec_lo, exec_lo, s11
	s_cbranch_execz .LBB942_118
; %bb.116:
	s_add_co_i32 s0, s2, 24
	s_delay_alu instid0(SALU_CYCLE_1) | instskip(SKIP_2) | instid1(SALU_CYCLE_1)
	s_cmp_gt_u32 s3, s0
	s_cselect_b32 s11, -1, 0
	s_xor_b32 s12, vcc_lo, -1
	s_and_b32 s11, s11, s12
	s_delay_alu instid0(SALU_CYCLE_1)
	s_and_b32 exec_lo, exec_lo, s11
	s_cbranch_execz .LBB942_118
; %bb.117:
	v_dual_lshrrev_b32 v17, s0, v17 :: v_dual_lshlrev_b32 v18, 2, v3
	s_sub_co_i32 s0, s3, s0
	s_delay_alu instid0(SALU_CYCLE_1)
	s_min_u32 s0, s0, 8
	s_delay_alu instid0(VALU_DEP_1) | instid1(SALU_CYCLE_1)
	v_bfe_u32 v17, v17, 0, s0
	s_delay_alu instid0(VALU_DEP_1)
	v_lshl_or_b32 v17, v17, 4, v18
	v_mov_b32_e32 v18, 1
	ds_add_u32 v17, v18 offset:12288
.LBB942_118:
	s_or_b32 exec_lo, exec_lo, s10
	v_cmp_le_u32_e32 vcc_lo, s1, v16
	v_mov_b32_e32 v16, s9
	s_nor_b32 s10, s8, vcc_lo
	s_delay_alu instid0(SALU_CYCLE_1)
	s_and_saveexec_b32 s0, s10
	s_cbranch_execz .LBB942_120
; %bb.119:
	v_lshrrev_b32_e32 v16, s2, v15
	s_sub_co_i32 s10, s3, s2
	v_lshlrev_b32_e32 v17, 2, v3
	s_min_u32 s10, s10, 8
	s_delay_alu instid0(VALU_DEP_2) | instid1(SALU_CYCLE_1)
	v_bfe_u32 v16, v16, 0, s10
	s_delay_alu instid0(VALU_DEP_1)
	v_lshl_or_b32 v16, v16, 4, v17
	v_mov_b32_e32 v17, 1
	ds_add_u32 v16, v17
	v_mov_b32_e32 v16, 0
.LBB942_120:
	s_or_b32 exec_lo, exec_lo, s0
	s_mov_b32 s11, -1
	s_mov_b32 s10, exec_lo
	s_delay_alu instid0(VALU_DEP_1)
	v_cmpx_gt_i32_e32 10, v16
; %bb.121:
	v_cmp_eq_u32_e64 s0, 0, v16
	s_or_not1_b32 s11, s0, exec_lo
; %bb.122:
	s_or_b32 exec_lo, exec_lo, s10
	s_and_saveexec_b32 s10, s11
	s_cbranch_execz .LBB942_135
; %bb.123:
	s_add_co_i32 s11, s2, 8
	s_delay_alu instid0(SALU_CYCLE_1) | instskip(SKIP_1) | instid1(SALU_CYCLE_1)
	s_cmp_le_u32 s3, s11
	s_cselect_b32 s0, -1, 0
	s_and_b32 s12, s0, exec_lo
	s_cselect_b32 s12, 8, 10
	s_delay_alu instid0(SALU_CYCLE_1) | instskip(SKIP_1) | instid1(SALU_CYCLE_1)
	v_mov_b32_e32 v16, s12
	s_nor_b32 s12, s0, vcc_lo
	s_and_saveexec_b32 s0, s12
	s_cbranch_execz .LBB942_125
; %bb.124:
	v_lshrrev_b32_e32 v16, s11, v15
	s_sub_co_i32 s11, s3, s11
	v_lshlrev_b32_e32 v17, 2, v3
	s_min_u32 s11, s11, 8
	s_delay_alu instid0(VALU_DEP_2) | instid1(SALU_CYCLE_1)
	v_bfe_u32 v16, v16, 0, s11
	s_delay_alu instid0(VALU_DEP_1)
	v_lshl_or_b32 v16, v16, 4, v17
	v_mov_b32_e32 v17, 1
	ds_add_u32 v16, v17 offset:4096
	v_mov_b32_e32 v16, 0
.LBB942_125:
	s_or_b32 exec_lo, exec_lo, s0
	s_mov_b32 s11, -1
	s_mov_b32 s12, exec_lo
	s_delay_alu instid0(VALU_DEP_1)
	v_cmpx_gt_i32_e32 10, v16
; %bb.126:
	v_cmp_eq_u32_e64 s0, 0, v16
	s_or_not1_b32 s11, s0, exec_lo
; %bb.127:
	s_or_b32 exec_lo, exec_lo, s12
	s_delay_alu instid0(SALU_CYCLE_1)
	s_and_b32 exec_lo, exec_lo, s11
	s_cbranch_execz .LBB942_135
; %bb.128:
	s_add_co_i32 s11, s2, 16
	s_delay_alu instid0(SALU_CYCLE_1) | instskip(SKIP_1) | instid1(SALU_CYCLE_1)
	s_cmp_le_u32 s3, s11
	s_cselect_b32 s0, -1, 0
	s_and_b32 s12, s0, exec_lo
	s_cselect_b32 s12, 8, 10
	s_delay_alu instid0(SALU_CYCLE_1) | instskip(SKIP_1) | instid1(SALU_CYCLE_1)
	v_mov_b32_e32 v16, s12
	s_nor_b32 s12, s0, vcc_lo
	s_and_saveexec_b32 s0, s12
	s_cbranch_execz .LBB942_130
; %bb.129:
	v_lshrrev_b32_e32 v16, s11, v15
	s_sub_co_i32 s11, s3, s11
	v_lshlrev_b32_e32 v17, 2, v3
	s_min_u32 s11, s11, 8
	s_delay_alu instid0(VALU_DEP_2) | instid1(SALU_CYCLE_1)
	v_bfe_u32 v16, v16, 0, s11
	s_delay_alu instid0(VALU_DEP_1)
	v_lshl_or_b32 v16, v16, 4, v17
	v_mov_b32_e32 v17, 1
	ds_add_u32 v16, v17 offset:8192
	v_mov_b32_e32 v16, 0
.LBB942_130:
	s_or_b32 exec_lo, exec_lo, s0
	s_mov_b32 s11, -1
	s_mov_b32 s12, exec_lo
	s_delay_alu instid0(VALU_DEP_1)
	v_cmpx_gt_i32_e32 10, v16
; %bb.131:
	v_cmp_eq_u32_e64 s0, 0, v16
	s_or_not1_b32 s11, s0, exec_lo
; %bb.132:
	s_or_b32 exec_lo, exec_lo, s12
	s_delay_alu instid0(SALU_CYCLE_1)
	s_and_b32 exec_lo, exec_lo, s11
	s_cbranch_execz .LBB942_135
; %bb.133:
	s_add_co_i32 s0, s2, 24
	s_delay_alu instid0(SALU_CYCLE_1) | instskip(SKIP_2) | instid1(SALU_CYCLE_1)
	s_cmp_gt_u32 s3, s0
	s_cselect_b32 s11, -1, 0
	s_xor_b32 s12, vcc_lo, -1
	s_and_b32 s11, s11, s12
	s_delay_alu instid0(SALU_CYCLE_1)
	s_and_b32 exec_lo, exec_lo, s11
	s_cbranch_execz .LBB942_135
; %bb.134:
	v_lshrrev_b32_e32 v15, s0, v15
	s_sub_co_i32 s0, s3, s0
	v_lshlrev_b32_e32 v16, 2, v3
	s_min_u32 s0, s0, 8
	s_delay_alu instid0(VALU_DEP_2) | instid1(SALU_CYCLE_1)
	v_bfe_u32 v15, v15, 0, s0
	s_delay_alu instid0(VALU_DEP_1)
	v_lshl_or_b32 v15, v15, 4, v16
	v_mov_b32_e32 v16, 1
	ds_add_u32 v15, v16 offset:12288
.LBB942_135:
	s_or_b32 exec_lo, exec_lo, s10
	v_cmp_le_u32_e32 vcc_lo, s1, v14
	v_mov_b32_e32 v14, s9
	s_nor_b32 s10, s8, vcc_lo
	s_delay_alu instid0(SALU_CYCLE_1)
	s_and_saveexec_b32 s0, s10
	s_cbranch_execz .LBB942_137
; %bb.136:
	v_dual_lshrrev_b32 v14, s2, v13 :: v_dual_lshlrev_b32 v15, 2, v3
	s_sub_co_i32 s10, s3, s2
	s_delay_alu instid0(SALU_CYCLE_1)
	s_min_u32 s10, s10, 8
	s_delay_alu instid0(VALU_DEP_1) | instid1(SALU_CYCLE_1)
	v_bfe_u32 v14, v14, 0, s10
	s_delay_alu instid0(VALU_DEP_1)
	v_lshl_or_b32 v14, v14, 4, v15
	v_mov_b32_e32 v15, 1
	ds_add_u32 v14, v15
	v_mov_b32_e32 v14, 0
.LBB942_137:
	s_or_b32 exec_lo, exec_lo, s0
	s_mov_b32 s11, -1
	s_mov_b32 s10, exec_lo
	s_delay_alu instid0(VALU_DEP_1)
	v_cmpx_gt_i32_e32 10, v14
; %bb.138:
	v_cmp_eq_u32_e64 s0, 0, v14
	s_or_not1_b32 s11, s0, exec_lo
; %bb.139:
	s_or_b32 exec_lo, exec_lo, s10
	s_and_saveexec_b32 s10, s11
	s_cbranch_execz .LBB942_152
; %bb.140:
	s_add_co_i32 s11, s2, 8
	s_delay_alu instid0(SALU_CYCLE_1) | instskip(SKIP_1) | instid1(SALU_CYCLE_1)
	s_cmp_le_u32 s3, s11
	s_cselect_b32 s0, -1, 0
	s_and_b32 s12, s0, exec_lo
	s_cselect_b32 s12, 8, 10
	s_delay_alu instid0(SALU_CYCLE_1) | instskip(SKIP_1) | instid1(SALU_CYCLE_1)
	v_mov_b32_e32 v14, s12
	s_nor_b32 s12, s0, vcc_lo
	s_and_saveexec_b32 s0, s12
	s_cbranch_execz .LBB942_142
; %bb.141:
	v_dual_lshrrev_b32 v14, s11, v13 :: v_dual_lshlrev_b32 v15, 2, v3
	s_sub_co_i32 s11, s3, s11
	s_delay_alu instid0(SALU_CYCLE_1)
	s_min_u32 s11, s11, 8
	s_delay_alu instid0(VALU_DEP_1) | instid1(SALU_CYCLE_1)
	v_bfe_u32 v14, v14, 0, s11
	s_delay_alu instid0(VALU_DEP_1)
	v_lshl_or_b32 v14, v14, 4, v15
	v_mov_b32_e32 v15, 1
	ds_add_u32 v14, v15 offset:4096
	v_mov_b32_e32 v14, 0
.LBB942_142:
	s_or_b32 exec_lo, exec_lo, s0
	s_mov_b32 s11, -1
	s_mov_b32 s12, exec_lo
	s_delay_alu instid0(VALU_DEP_1)
	v_cmpx_gt_i32_e32 10, v14
; %bb.143:
	v_cmp_eq_u32_e64 s0, 0, v14
	s_or_not1_b32 s11, s0, exec_lo
; %bb.144:
	s_or_b32 exec_lo, exec_lo, s12
	s_delay_alu instid0(SALU_CYCLE_1)
	s_and_b32 exec_lo, exec_lo, s11
	s_cbranch_execz .LBB942_152
; %bb.145:
	s_add_co_i32 s11, s2, 16
	s_delay_alu instid0(SALU_CYCLE_1) | instskip(SKIP_1) | instid1(SALU_CYCLE_1)
	s_cmp_le_u32 s3, s11
	s_cselect_b32 s0, -1, 0
	s_and_b32 s12, s0, exec_lo
	s_cselect_b32 s12, 8, 10
	s_delay_alu instid0(SALU_CYCLE_1) | instskip(SKIP_1) | instid1(SALU_CYCLE_1)
	v_mov_b32_e32 v14, s12
	s_nor_b32 s12, s0, vcc_lo
	s_and_saveexec_b32 s0, s12
	s_cbranch_execz .LBB942_147
; %bb.146:
	v_dual_lshrrev_b32 v14, s11, v13 :: v_dual_lshlrev_b32 v15, 2, v3
	s_sub_co_i32 s11, s3, s11
	s_delay_alu instid0(SALU_CYCLE_1)
	s_min_u32 s11, s11, 8
	s_delay_alu instid0(VALU_DEP_1) | instid1(SALU_CYCLE_1)
	v_bfe_u32 v14, v14, 0, s11
	s_delay_alu instid0(VALU_DEP_1)
	v_lshl_or_b32 v14, v14, 4, v15
	v_mov_b32_e32 v15, 1
	ds_add_u32 v14, v15 offset:8192
	v_mov_b32_e32 v14, 0
.LBB942_147:
	s_or_b32 exec_lo, exec_lo, s0
	s_mov_b32 s11, -1
	s_mov_b32 s12, exec_lo
	s_delay_alu instid0(VALU_DEP_1)
	v_cmpx_gt_i32_e32 10, v14
; %bb.148:
	v_cmp_eq_u32_e64 s0, 0, v14
	s_or_not1_b32 s11, s0, exec_lo
; %bb.149:
	s_or_b32 exec_lo, exec_lo, s12
	s_delay_alu instid0(SALU_CYCLE_1)
	s_and_b32 exec_lo, exec_lo, s11
	s_cbranch_execz .LBB942_152
; %bb.150:
	s_add_co_i32 s0, s2, 24
	s_delay_alu instid0(SALU_CYCLE_1) | instskip(SKIP_2) | instid1(SALU_CYCLE_1)
	s_cmp_gt_u32 s3, s0
	s_cselect_b32 s11, -1, 0
	s_xor_b32 s12, vcc_lo, -1
	s_and_b32 s11, s11, s12
	s_delay_alu instid0(SALU_CYCLE_1)
	s_and_b32 exec_lo, exec_lo, s11
	s_cbranch_execz .LBB942_152
; %bb.151:
	v_dual_lshrrev_b32 v13, s0, v13 :: v_dual_lshlrev_b32 v14, 2, v3
	s_sub_co_i32 s0, s3, s0
	s_delay_alu instid0(SALU_CYCLE_1)
	s_min_u32 s0, s0, 8
	s_delay_alu instid0(VALU_DEP_1) | instid1(SALU_CYCLE_1)
	v_bfe_u32 v13, v13, 0, s0
	s_delay_alu instid0(VALU_DEP_1)
	v_lshl_or_b32 v13, v13, 4, v14
	v_mov_b32_e32 v14, 1
	ds_add_u32 v13, v14 offset:12288
.LBB942_152:
	s_or_b32 exec_lo, exec_lo, s10
	v_cmp_le_u32_e32 vcc_lo, s1, v12
	v_mov_b32_e32 v12, s9
	s_nor_b32 s10, s8, vcc_lo
	s_delay_alu instid0(SALU_CYCLE_1)
	s_and_saveexec_b32 s0, s10
	s_cbranch_execz .LBB942_154
; %bb.153:
	v_lshrrev_b32_e32 v12, s2, v11
	s_sub_co_i32 s10, s3, s2
	v_lshlrev_b32_e32 v13, 2, v3
	s_min_u32 s10, s10, 8
	s_delay_alu instid0(VALU_DEP_2) | instid1(SALU_CYCLE_1)
	v_bfe_u32 v12, v12, 0, s10
	s_delay_alu instid0(VALU_DEP_1)
	v_lshl_or_b32 v12, v12, 4, v13
	v_mov_b32_e32 v13, 1
	ds_add_u32 v12, v13
	v_mov_b32_e32 v12, 0
.LBB942_154:
	s_or_b32 exec_lo, exec_lo, s0
	s_mov_b32 s11, -1
	s_mov_b32 s10, exec_lo
	s_delay_alu instid0(VALU_DEP_1)
	v_cmpx_gt_i32_e32 10, v12
; %bb.155:
	v_cmp_eq_u32_e64 s0, 0, v12
	s_or_not1_b32 s11, s0, exec_lo
; %bb.156:
	s_or_b32 exec_lo, exec_lo, s10
	s_and_saveexec_b32 s10, s11
	s_cbranch_execz .LBB942_169
; %bb.157:
	s_add_co_i32 s11, s2, 8
	s_delay_alu instid0(SALU_CYCLE_1) | instskip(SKIP_1) | instid1(SALU_CYCLE_1)
	s_cmp_le_u32 s3, s11
	s_cselect_b32 s0, -1, 0
	s_and_b32 s12, s0, exec_lo
	s_cselect_b32 s12, 8, 10
	s_delay_alu instid0(SALU_CYCLE_1) | instskip(SKIP_1) | instid1(SALU_CYCLE_1)
	v_mov_b32_e32 v12, s12
	s_nor_b32 s12, s0, vcc_lo
	s_and_saveexec_b32 s0, s12
	s_cbranch_execz .LBB942_159
; %bb.158:
	v_lshrrev_b32_e32 v12, s11, v11
	s_sub_co_i32 s11, s3, s11
	v_lshlrev_b32_e32 v13, 2, v3
	s_min_u32 s11, s11, 8
	s_delay_alu instid0(VALU_DEP_2) | instid1(SALU_CYCLE_1)
	v_bfe_u32 v12, v12, 0, s11
	s_delay_alu instid0(VALU_DEP_1)
	v_lshl_or_b32 v12, v12, 4, v13
	v_mov_b32_e32 v13, 1
	ds_add_u32 v12, v13 offset:4096
	v_mov_b32_e32 v12, 0
.LBB942_159:
	s_or_b32 exec_lo, exec_lo, s0
	s_mov_b32 s11, -1
	s_mov_b32 s12, exec_lo
	s_delay_alu instid0(VALU_DEP_1)
	v_cmpx_gt_i32_e32 10, v12
; %bb.160:
	v_cmp_eq_u32_e64 s0, 0, v12
	s_or_not1_b32 s11, s0, exec_lo
; %bb.161:
	s_or_b32 exec_lo, exec_lo, s12
	s_delay_alu instid0(SALU_CYCLE_1)
	s_and_b32 exec_lo, exec_lo, s11
	s_cbranch_execz .LBB942_169
; %bb.162:
	s_add_co_i32 s11, s2, 16
	s_delay_alu instid0(SALU_CYCLE_1) | instskip(SKIP_1) | instid1(SALU_CYCLE_1)
	s_cmp_le_u32 s3, s11
	s_cselect_b32 s0, -1, 0
	s_and_b32 s12, s0, exec_lo
	s_cselect_b32 s12, 8, 10
	s_delay_alu instid0(SALU_CYCLE_1) | instskip(SKIP_1) | instid1(SALU_CYCLE_1)
	v_mov_b32_e32 v12, s12
	s_nor_b32 s12, s0, vcc_lo
	s_and_saveexec_b32 s0, s12
	s_cbranch_execz .LBB942_164
; %bb.163:
	v_lshrrev_b32_e32 v12, s11, v11
	s_sub_co_i32 s11, s3, s11
	v_lshlrev_b32_e32 v13, 2, v3
	s_min_u32 s11, s11, 8
	s_delay_alu instid0(VALU_DEP_2) | instid1(SALU_CYCLE_1)
	v_bfe_u32 v12, v12, 0, s11
	s_delay_alu instid0(VALU_DEP_1)
	v_lshl_or_b32 v12, v12, 4, v13
	v_mov_b32_e32 v13, 1
	ds_add_u32 v12, v13 offset:8192
	v_mov_b32_e32 v12, 0
.LBB942_164:
	s_or_b32 exec_lo, exec_lo, s0
	s_mov_b32 s11, -1
	s_mov_b32 s12, exec_lo
	s_delay_alu instid0(VALU_DEP_1)
	v_cmpx_gt_i32_e32 10, v12
; %bb.165:
	v_cmp_eq_u32_e64 s0, 0, v12
	s_or_not1_b32 s11, s0, exec_lo
; %bb.166:
	s_or_b32 exec_lo, exec_lo, s12
	s_delay_alu instid0(SALU_CYCLE_1)
	s_and_b32 exec_lo, exec_lo, s11
	s_cbranch_execz .LBB942_169
; %bb.167:
	s_add_co_i32 s0, s2, 24
	s_delay_alu instid0(SALU_CYCLE_1) | instskip(SKIP_2) | instid1(SALU_CYCLE_1)
	s_cmp_gt_u32 s3, s0
	s_cselect_b32 s11, -1, 0
	s_xor_b32 s12, vcc_lo, -1
	s_and_b32 s11, s11, s12
	s_delay_alu instid0(SALU_CYCLE_1)
	s_and_b32 exec_lo, exec_lo, s11
	s_cbranch_execz .LBB942_169
; %bb.168:
	v_lshrrev_b32_e32 v11, s0, v11
	s_sub_co_i32 s0, s3, s0
	v_lshlrev_b32_e32 v12, 2, v3
	s_min_u32 s0, s0, 8
	s_delay_alu instid0(VALU_DEP_2) | instid1(SALU_CYCLE_1)
	v_bfe_u32 v11, v11, 0, s0
	s_delay_alu instid0(VALU_DEP_1)
	v_lshl_or_b32 v11, v11, 4, v12
	v_mov_b32_e32 v12, 1
	ds_add_u32 v11, v12 offset:12288
.LBB942_169:
	s_or_b32 exec_lo, exec_lo, s10
	v_cmp_le_u32_e32 vcc_lo, s1, v10
	v_mov_b32_e32 v10, s9
	s_nor_b32 s10, s8, vcc_lo
	s_delay_alu instid0(SALU_CYCLE_1)
	s_and_saveexec_b32 s0, s10
	s_cbranch_execz .LBB942_171
; %bb.170:
	v_dual_lshrrev_b32 v10, s2, v9 :: v_dual_lshlrev_b32 v11, 2, v3
	s_sub_co_i32 s10, s3, s2
	s_delay_alu instid0(SALU_CYCLE_1)
	s_min_u32 s10, s10, 8
	s_delay_alu instid0(VALU_DEP_1) | instid1(SALU_CYCLE_1)
	v_bfe_u32 v10, v10, 0, s10
	s_delay_alu instid0(VALU_DEP_1)
	v_lshl_or_b32 v10, v10, 4, v11
	v_mov_b32_e32 v11, 1
	ds_add_u32 v10, v11
	v_mov_b32_e32 v10, 0
.LBB942_171:
	s_or_b32 exec_lo, exec_lo, s0
	s_mov_b32 s11, -1
	s_mov_b32 s10, exec_lo
	s_delay_alu instid0(VALU_DEP_1)
	v_cmpx_gt_i32_e32 10, v10
; %bb.172:
	v_cmp_eq_u32_e64 s0, 0, v10
	s_or_not1_b32 s11, s0, exec_lo
; %bb.173:
	s_or_b32 exec_lo, exec_lo, s10
	s_and_saveexec_b32 s10, s11
	s_cbranch_execz .LBB942_186
; %bb.174:
	s_add_co_i32 s11, s2, 8
	s_delay_alu instid0(SALU_CYCLE_1) | instskip(SKIP_1) | instid1(SALU_CYCLE_1)
	s_cmp_le_u32 s3, s11
	s_cselect_b32 s0, -1, 0
	s_and_b32 s12, s0, exec_lo
	s_cselect_b32 s12, 8, 10
	s_delay_alu instid0(SALU_CYCLE_1) | instskip(SKIP_1) | instid1(SALU_CYCLE_1)
	v_mov_b32_e32 v10, s12
	s_nor_b32 s12, s0, vcc_lo
	s_and_saveexec_b32 s0, s12
	s_cbranch_execz .LBB942_176
; %bb.175:
	v_dual_lshrrev_b32 v10, s11, v9 :: v_dual_lshlrev_b32 v11, 2, v3
	s_sub_co_i32 s11, s3, s11
	s_delay_alu instid0(SALU_CYCLE_1)
	s_min_u32 s11, s11, 8
	s_delay_alu instid0(VALU_DEP_1) | instid1(SALU_CYCLE_1)
	v_bfe_u32 v10, v10, 0, s11
	s_delay_alu instid0(VALU_DEP_1)
	v_lshl_or_b32 v10, v10, 4, v11
	v_mov_b32_e32 v11, 1
	ds_add_u32 v10, v11 offset:4096
	v_mov_b32_e32 v10, 0
.LBB942_176:
	s_or_b32 exec_lo, exec_lo, s0
	s_mov_b32 s11, -1
	s_mov_b32 s12, exec_lo
	s_delay_alu instid0(VALU_DEP_1)
	v_cmpx_gt_i32_e32 10, v10
; %bb.177:
	v_cmp_eq_u32_e64 s0, 0, v10
	s_or_not1_b32 s11, s0, exec_lo
; %bb.178:
	s_or_b32 exec_lo, exec_lo, s12
	s_delay_alu instid0(SALU_CYCLE_1)
	s_and_b32 exec_lo, exec_lo, s11
	s_cbranch_execz .LBB942_186
; %bb.179:
	s_add_co_i32 s11, s2, 16
	s_delay_alu instid0(SALU_CYCLE_1) | instskip(SKIP_1) | instid1(SALU_CYCLE_1)
	s_cmp_le_u32 s3, s11
	s_cselect_b32 s0, -1, 0
	s_and_b32 s12, s0, exec_lo
	s_cselect_b32 s12, 8, 10
	s_delay_alu instid0(SALU_CYCLE_1) | instskip(SKIP_1) | instid1(SALU_CYCLE_1)
	v_mov_b32_e32 v10, s12
	s_nor_b32 s12, s0, vcc_lo
	s_and_saveexec_b32 s0, s12
	s_cbranch_execz .LBB942_181
; %bb.180:
	v_dual_lshrrev_b32 v10, s11, v9 :: v_dual_lshlrev_b32 v11, 2, v3
	s_sub_co_i32 s11, s3, s11
	s_delay_alu instid0(SALU_CYCLE_1)
	s_min_u32 s11, s11, 8
	s_delay_alu instid0(VALU_DEP_1) | instid1(SALU_CYCLE_1)
	v_bfe_u32 v10, v10, 0, s11
	s_delay_alu instid0(VALU_DEP_1)
	v_lshl_or_b32 v10, v10, 4, v11
	v_mov_b32_e32 v11, 1
	ds_add_u32 v10, v11 offset:8192
	v_mov_b32_e32 v10, 0
.LBB942_181:
	s_or_b32 exec_lo, exec_lo, s0
	s_mov_b32 s11, -1
	s_mov_b32 s12, exec_lo
	s_delay_alu instid0(VALU_DEP_1)
	v_cmpx_gt_i32_e32 10, v10
; %bb.182:
	v_cmp_eq_u32_e64 s0, 0, v10
	s_or_not1_b32 s11, s0, exec_lo
; %bb.183:
	s_or_b32 exec_lo, exec_lo, s12
	s_delay_alu instid0(SALU_CYCLE_1)
	s_and_b32 exec_lo, exec_lo, s11
	s_cbranch_execz .LBB942_186
; %bb.184:
	s_add_co_i32 s0, s2, 24
	s_delay_alu instid0(SALU_CYCLE_1) | instskip(SKIP_2) | instid1(SALU_CYCLE_1)
	s_cmp_gt_u32 s3, s0
	s_cselect_b32 s11, -1, 0
	s_xor_b32 s12, vcc_lo, -1
	s_and_b32 s11, s11, s12
	s_delay_alu instid0(SALU_CYCLE_1)
	s_and_b32 exec_lo, exec_lo, s11
	s_cbranch_execz .LBB942_186
; %bb.185:
	v_dual_lshrrev_b32 v9, s0, v9 :: v_dual_lshlrev_b32 v10, 2, v3
	s_sub_co_i32 s0, s3, s0
	s_delay_alu instid0(SALU_CYCLE_1)
	s_min_u32 s0, s0, 8
	s_delay_alu instid0(VALU_DEP_1) | instid1(SALU_CYCLE_1)
	v_bfe_u32 v9, v9, 0, s0
	s_delay_alu instid0(VALU_DEP_1)
	v_lshl_or_b32 v9, v9, 4, v10
	v_mov_b32_e32 v10, 1
	ds_add_u32 v9, v10 offset:12288
.LBB942_186:
	s_or_b32 exec_lo, exec_lo, s10
	v_cmp_le_u32_e32 vcc_lo, s1, v8
	v_mov_b32_e32 v8, s9
	s_nor_b32 s10, s8, vcc_lo
	s_delay_alu instid0(SALU_CYCLE_1)
	s_and_saveexec_b32 s0, s10
	s_cbranch_execz .LBB942_188
; %bb.187:
	v_lshrrev_b32_e32 v8, s2, v7
	s_sub_co_i32 s10, s3, s2
	v_lshlrev_b32_e32 v9, 2, v3
	s_min_u32 s10, s10, 8
	s_delay_alu instid0(VALU_DEP_2) | instid1(SALU_CYCLE_1)
	v_bfe_u32 v8, v8, 0, s10
	s_delay_alu instid0(VALU_DEP_1)
	v_lshl_or_b32 v8, v8, 4, v9
	v_mov_b32_e32 v9, 1
	ds_add_u32 v8, v9
	v_mov_b32_e32 v8, 0
.LBB942_188:
	s_or_b32 exec_lo, exec_lo, s0
	s_mov_b32 s11, -1
	s_mov_b32 s10, exec_lo
	s_delay_alu instid0(VALU_DEP_1)
	v_cmpx_gt_i32_e32 10, v8
; %bb.189:
	v_cmp_eq_u32_e64 s0, 0, v8
	s_or_not1_b32 s11, s0, exec_lo
; %bb.190:
	s_or_b32 exec_lo, exec_lo, s10
	s_and_saveexec_b32 s10, s11
	s_cbranch_execz .LBB942_203
; %bb.191:
	s_add_co_i32 s11, s2, 8
	s_delay_alu instid0(SALU_CYCLE_1) | instskip(SKIP_1) | instid1(SALU_CYCLE_1)
	s_cmp_le_u32 s3, s11
	s_cselect_b32 s0, -1, 0
	s_and_b32 s12, s0, exec_lo
	s_cselect_b32 s12, 8, 10
	s_delay_alu instid0(SALU_CYCLE_1) | instskip(SKIP_1) | instid1(SALU_CYCLE_1)
	v_mov_b32_e32 v8, s12
	s_nor_b32 s12, s0, vcc_lo
	s_and_saveexec_b32 s0, s12
	s_cbranch_execz .LBB942_193
; %bb.192:
	v_lshrrev_b32_e32 v8, s11, v7
	s_sub_co_i32 s11, s3, s11
	v_lshlrev_b32_e32 v9, 2, v3
	s_min_u32 s11, s11, 8
	s_delay_alu instid0(VALU_DEP_2) | instid1(SALU_CYCLE_1)
	v_bfe_u32 v8, v8, 0, s11
	s_delay_alu instid0(VALU_DEP_1)
	v_lshl_or_b32 v8, v8, 4, v9
	v_mov_b32_e32 v9, 1
	ds_add_u32 v8, v9 offset:4096
	v_mov_b32_e32 v8, 0
.LBB942_193:
	s_or_b32 exec_lo, exec_lo, s0
	s_mov_b32 s11, -1
	s_mov_b32 s12, exec_lo
	s_delay_alu instid0(VALU_DEP_1)
	v_cmpx_gt_i32_e32 10, v8
; %bb.194:
	v_cmp_eq_u32_e64 s0, 0, v8
	s_or_not1_b32 s11, s0, exec_lo
; %bb.195:
	s_or_b32 exec_lo, exec_lo, s12
	s_delay_alu instid0(SALU_CYCLE_1)
	s_and_b32 exec_lo, exec_lo, s11
	s_cbranch_execz .LBB942_203
; %bb.196:
	s_add_co_i32 s11, s2, 16
	s_delay_alu instid0(SALU_CYCLE_1) | instskip(SKIP_1) | instid1(SALU_CYCLE_1)
	s_cmp_le_u32 s3, s11
	s_cselect_b32 s0, -1, 0
	s_and_b32 s12, s0, exec_lo
	s_cselect_b32 s12, 8, 10
	s_delay_alu instid0(SALU_CYCLE_1) | instskip(SKIP_1) | instid1(SALU_CYCLE_1)
	v_mov_b32_e32 v8, s12
	s_nor_b32 s12, s0, vcc_lo
	s_and_saveexec_b32 s0, s12
	s_cbranch_execz .LBB942_198
; %bb.197:
	v_lshrrev_b32_e32 v8, s11, v7
	s_sub_co_i32 s11, s3, s11
	v_lshlrev_b32_e32 v9, 2, v3
	s_min_u32 s11, s11, 8
	s_delay_alu instid0(VALU_DEP_2) | instid1(SALU_CYCLE_1)
	v_bfe_u32 v8, v8, 0, s11
	s_delay_alu instid0(VALU_DEP_1)
	v_lshl_or_b32 v8, v8, 4, v9
	v_mov_b32_e32 v9, 1
	ds_add_u32 v8, v9 offset:8192
	v_mov_b32_e32 v8, 0
.LBB942_198:
	s_or_b32 exec_lo, exec_lo, s0
	s_mov_b32 s11, -1
	s_mov_b32 s12, exec_lo
	s_delay_alu instid0(VALU_DEP_1)
	v_cmpx_gt_i32_e32 10, v8
; %bb.199:
	v_cmp_eq_u32_e64 s0, 0, v8
	s_or_not1_b32 s11, s0, exec_lo
; %bb.200:
	s_or_b32 exec_lo, exec_lo, s12
	s_delay_alu instid0(SALU_CYCLE_1)
	s_and_b32 exec_lo, exec_lo, s11
	s_cbranch_execz .LBB942_203
; %bb.201:
	s_add_co_i32 s0, s2, 24
	s_delay_alu instid0(SALU_CYCLE_1) | instskip(SKIP_2) | instid1(SALU_CYCLE_1)
	s_cmp_gt_u32 s3, s0
	s_cselect_b32 s11, -1, 0
	s_xor_b32 s12, vcc_lo, -1
	s_and_b32 s11, s11, s12
	s_delay_alu instid0(SALU_CYCLE_1)
	s_and_b32 exec_lo, exec_lo, s11
	s_cbranch_execz .LBB942_203
; %bb.202:
	v_lshrrev_b32_e32 v7, s0, v7
	s_sub_co_i32 s0, s3, s0
	v_lshlrev_b32_e32 v8, 2, v3
	s_min_u32 s0, s0, 8
	s_delay_alu instid0(VALU_DEP_2) | instid1(SALU_CYCLE_1)
	v_bfe_u32 v7, v7, 0, s0
	s_delay_alu instid0(VALU_DEP_1)
	v_lshl_or_b32 v7, v7, 4, v8
	v_mov_b32_e32 v8, 1
	ds_add_u32 v7, v8 offset:12288
.LBB942_203:
	s_or_b32 exec_lo, exec_lo, s10
	v_cmp_le_u32_e32 vcc_lo, s1, v6
	v_mov_b32_e32 v6, s9
	s_nor_b32 s10, s8, vcc_lo
	s_delay_alu instid0(SALU_CYCLE_1)
	s_and_saveexec_b32 s0, s10
	s_cbranch_execz .LBB942_205
; %bb.204:
	v_dual_lshrrev_b32 v6, s2, v5 :: v_dual_lshlrev_b32 v7, 2, v3
	s_sub_co_i32 s10, s3, s2
	s_delay_alu instid0(SALU_CYCLE_1)
	s_min_u32 s10, s10, 8
	s_delay_alu instid0(VALU_DEP_1) | instid1(SALU_CYCLE_1)
	v_bfe_u32 v6, v6, 0, s10
	s_delay_alu instid0(VALU_DEP_1)
	v_lshl_or_b32 v6, v6, 4, v7
	v_mov_b32_e32 v7, 1
	ds_add_u32 v6, v7
	v_mov_b32_e32 v6, 0
.LBB942_205:
	s_or_b32 exec_lo, exec_lo, s0
	s_mov_b32 s11, -1
	s_mov_b32 s10, exec_lo
	s_delay_alu instid0(VALU_DEP_1)
	v_cmpx_gt_i32_e32 10, v6
; %bb.206:
	v_cmp_eq_u32_e64 s0, 0, v6
	s_or_not1_b32 s11, s0, exec_lo
; %bb.207:
	s_or_b32 exec_lo, exec_lo, s10
	s_and_saveexec_b32 s10, s11
	s_cbranch_execz .LBB942_220
; %bb.208:
	s_add_co_i32 s11, s2, 8
	s_delay_alu instid0(SALU_CYCLE_1) | instskip(SKIP_1) | instid1(SALU_CYCLE_1)
	s_cmp_le_u32 s3, s11
	s_cselect_b32 s0, -1, 0
	s_and_b32 s12, s0, exec_lo
	s_cselect_b32 s12, 8, 10
	s_delay_alu instid0(SALU_CYCLE_1) | instskip(SKIP_1) | instid1(SALU_CYCLE_1)
	v_mov_b32_e32 v6, s12
	s_nor_b32 s12, s0, vcc_lo
	s_and_saveexec_b32 s0, s12
	s_cbranch_execz .LBB942_210
; %bb.209:
	v_dual_lshrrev_b32 v6, s11, v5 :: v_dual_lshlrev_b32 v7, 2, v3
	s_sub_co_i32 s11, s3, s11
	s_delay_alu instid0(SALU_CYCLE_1)
	s_min_u32 s11, s11, 8
	s_delay_alu instid0(VALU_DEP_1) | instid1(SALU_CYCLE_1)
	v_bfe_u32 v6, v6, 0, s11
	s_delay_alu instid0(VALU_DEP_1)
	v_lshl_or_b32 v6, v6, 4, v7
	v_mov_b32_e32 v7, 1
	ds_add_u32 v6, v7 offset:4096
	v_mov_b32_e32 v6, 0
.LBB942_210:
	s_or_b32 exec_lo, exec_lo, s0
	s_mov_b32 s11, -1
	s_mov_b32 s12, exec_lo
	s_delay_alu instid0(VALU_DEP_1)
	v_cmpx_gt_i32_e32 10, v6
; %bb.211:
	v_cmp_eq_u32_e64 s0, 0, v6
	s_or_not1_b32 s11, s0, exec_lo
; %bb.212:
	s_or_b32 exec_lo, exec_lo, s12
	s_delay_alu instid0(SALU_CYCLE_1)
	s_and_b32 exec_lo, exec_lo, s11
	s_cbranch_execz .LBB942_220
; %bb.213:
	s_add_co_i32 s11, s2, 16
	s_delay_alu instid0(SALU_CYCLE_1) | instskip(SKIP_1) | instid1(SALU_CYCLE_1)
	s_cmp_le_u32 s3, s11
	s_cselect_b32 s0, -1, 0
	s_and_b32 s12, s0, exec_lo
	s_cselect_b32 s12, 8, 10
	s_delay_alu instid0(SALU_CYCLE_1) | instskip(SKIP_1) | instid1(SALU_CYCLE_1)
	v_mov_b32_e32 v6, s12
	s_nor_b32 s12, s0, vcc_lo
	s_and_saveexec_b32 s0, s12
	s_cbranch_execz .LBB942_215
; %bb.214:
	v_dual_lshrrev_b32 v6, s11, v5 :: v_dual_lshlrev_b32 v7, 2, v3
	s_sub_co_i32 s11, s3, s11
	s_delay_alu instid0(SALU_CYCLE_1)
	s_min_u32 s11, s11, 8
	s_delay_alu instid0(VALU_DEP_1) | instid1(SALU_CYCLE_1)
	v_bfe_u32 v6, v6, 0, s11
	s_delay_alu instid0(VALU_DEP_1)
	v_lshl_or_b32 v6, v6, 4, v7
	v_mov_b32_e32 v7, 1
	ds_add_u32 v6, v7 offset:8192
	v_mov_b32_e32 v6, 0
.LBB942_215:
	s_or_b32 exec_lo, exec_lo, s0
	s_mov_b32 s11, -1
	s_mov_b32 s12, exec_lo
	s_delay_alu instid0(VALU_DEP_1)
	v_cmpx_gt_i32_e32 10, v6
; %bb.216:
	v_cmp_eq_u32_e64 s0, 0, v6
	s_or_not1_b32 s11, s0, exec_lo
; %bb.217:
	s_or_b32 exec_lo, exec_lo, s12
	s_delay_alu instid0(SALU_CYCLE_1)
	s_and_b32 exec_lo, exec_lo, s11
	s_cbranch_execz .LBB942_220
; %bb.218:
	s_add_co_i32 s0, s2, 24
	s_delay_alu instid0(SALU_CYCLE_1) | instskip(SKIP_2) | instid1(SALU_CYCLE_1)
	s_cmp_gt_u32 s3, s0
	s_cselect_b32 s11, -1, 0
	s_xor_b32 s12, vcc_lo, -1
	s_and_b32 s11, s11, s12
	s_delay_alu instid0(SALU_CYCLE_1)
	s_and_b32 exec_lo, exec_lo, s11
	s_cbranch_execz .LBB942_220
; %bb.219:
	v_dual_lshrrev_b32 v5, s0, v5 :: v_dual_lshlrev_b32 v6, 2, v3
	s_sub_co_i32 s0, s3, s0
	s_delay_alu instid0(SALU_CYCLE_1)
	s_min_u32 s0, s0, 8
	s_delay_alu instid0(VALU_DEP_1) | instid1(SALU_CYCLE_1)
	v_bfe_u32 v5, v5, 0, s0
	s_delay_alu instid0(VALU_DEP_1)
	v_lshl_or_b32 v5, v5, 4, v6
	v_mov_b32_e32 v6, 1
	ds_add_u32 v5, v6 offset:12288
.LBB942_220:
	s_or_b32 exec_lo, exec_lo, s10
	v_cmp_le_u32_e32 vcc_lo, s1, v4
	v_mov_b32_e32 v4, s9
	s_nor_b32 s1, s8, vcc_lo
	s_delay_alu instid0(SALU_CYCLE_1)
	s_and_saveexec_b32 s0, s1
	s_cbranch_execz .LBB942_222
; %bb.221:
	v_dual_lshrrev_b32 v4, s2, v2 :: v_dual_lshlrev_b32 v5, 2, v3
	s_sub_co_i32 s1, s3, s2
	s_delay_alu instid0(SALU_CYCLE_1)
	s_min_u32 s1, s1, 8
	s_delay_alu instid0(VALU_DEP_1) | instid1(SALU_CYCLE_1)
	v_bfe_u32 v4, v4, 0, s1
	s_delay_alu instid0(VALU_DEP_1)
	v_lshl_or_b32 v4, v4, 4, v5
	v_mov_b32_e32 v5, 1
	ds_add_u32 v4, v5
	v_mov_b32_e32 v4, 0
.LBB942_222:
	s_or_b32 exec_lo, exec_lo, s0
	s_mov_b32 s8, -1
	s_mov_b32 s1, exec_lo
	s_delay_alu instid0(VALU_DEP_1)
	v_cmpx_gt_i32_e32 10, v4
; %bb.223:
	v_cmp_eq_u32_e64 s0, 0, v4
	s_or_not1_b32 s8, s0, exec_lo
; %bb.224:
	s_or_b32 exec_lo, exec_lo, s1
	s_and_saveexec_b32 s1, s8
	s_cbranch_execz .LBB942_237
; %bb.225:
	s_add_co_i32 s8, s2, 8
	s_delay_alu instid0(SALU_CYCLE_1) | instskip(SKIP_1) | instid1(SALU_CYCLE_1)
	s_cmp_le_u32 s3, s8
	s_cselect_b32 s0, -1, 0
	s_and_b32 s9, s0, exec_lo
	s_cselect_b32 s9, 8, 10
	s_delay_alu instid0(SALU_CYCLE_1) | instskip(SKIP_1) | instid1(SALU_CYCLE_1)
	v_mov_b32_e32 v4, s9
	s_nor_b32 s9, s0, vcc_lo
	s_and_saveexec_b32 s0, s9
	s_cbranch_execz .LBB942_227
; %bb.226:
	v_dual_lshrrev_b32 v4, s8, v2 :: v_dual_lshlrev_b32 v5, 2, v3
	s_sub_co_i32 s8, s3, s8
	s_delay_alu instid0(SALU_CYCLE_1)
	s_min_u32 s8, s8, 8
	s_delay_alu instid0(VALU_DEP_1) | instid1(SALU_CYCLE_1)
	v_bfe_u32 v4, v4, 0, s8
	s_delay_alu instid0(VALU_DEP_1)
	v_lshl_or_b32 v4, v4, 4, v5
	v_mov_b32_e32 v5, 1
	ds_add_u32 v4, v5 offset:4096
	v_mov_b32_e32 v4, 0
.LBB942_227:
	s_or_b32 exec_lo, exec_lo, s0
	s_mov_b32 s8, -1
	s_mov_b32 s9, exec_lo
	s_delay_alu instid0(VALU_DEP_1)
	v_cmpx_gt_i32_e32 10, v4
; %bb.228:
	v_cmp_eq_u32_e64 s0, 0, v4
	s_or_not1_b32 s8, s0, exec_lo
; %bb.229:
	s_or_b32 exec_lo, exec_lo, s9
	s_delay_alu instid0(SALU_CYCLE_1)
	s_and_b32 exec_lo, exec_lo, s8
	s_cbranch_execz .LBB942_237
; %bb.230:
	s_add_co_i32 s8, s2, 16
	s_delay_alu instid0(SALU_CYCLE_1) | instskip(SKIP_1) | instid1(SALU_CYCLE_1)
	s_cmp_le_u32 s3, s8
	s_cselect_b32 s0, -1, 0
	s_and_b32 s9, s0, exec_lo
	s_cselect_b32 s9, 8, 10
	s_delay_alu instid0(SALU_CYCLE_1) | instskip(SKIP_1) | instid1(SALU_CYCLE_1)
	v_mov_b32_e32 v4, s9
	s_nor_b32 s9, s0, vcc_lo
	s_and_saveexec_b32 s0, s9
	s_cbranch_execz .LBB942_232
; %bb.231:
	v_dual_lshrrev_b32 v4, s8, v2 :: v_dual_lshlrev_b32 v5, 2, v3
	s_sub_co_i32 s8, s3, s8
	s_delay_alu instid0(SALU_CYCLE_1)
	s_min_u32 s8, s8, 8
	s_delay_alu instid0(VALU_DEP_1) | instid1(SALU_CYCLE_1)
	v_bfe_u32 v4, v4, 0, s8
	s_delay_alu instid0(VALU_DEP_1)
	v_lshl_or_b32 v4, v4, 4, v5
	v_mov_b32_e32 v5, 1
	ds_add_u32 v4, v5 offset:8192
	v_mov_b32_e32 v4, 0
.LBB942_232:
	s_or_b32 exec_lo, exec_lo, s0
	s_mov_b32 s8, -1
	s_mov_b32 s9, exec_lo
	s_delay_alu instid0(VALU_DEP_1)
	v_cmpx_gt_i32_e32 10, v4
; %bb.233:
	v_cmp_eq_u32_e64 s0, 0, v4
	s_or_not1_b32 s8, s0, exec_lo
; %bb.234:
	s_or_b32 exec_lo, exec_lo, s9
	s_delay_alu instid0(SALU_CYCLE_1)
	s_and_b32 exec_lo, exec_lo, s8
	s_cbranch_execz .LBB942_237
; %bb.235:
	s_add_co_i32 s0, s2, 24
	s_delay_alu instid0(SALU_CYCLE_1) | instskip(SKIP_2) | instid1(SALU_CYCLE_1)
	s_cmp_gt_u32 s3, s0
	s_cselect_b32 s8, -1, 0
	s_xor_b32 s9, vcc_lo, -1
	s_and_b32 s8, s8, s9
	s_delay_alu instid0(SALU_CYCLE_1)
	s_and_b32 exec_lo, exec_lo, s8
	s_cbranch_execz .LBB942_237
; %bb.236:
	v_dual_lshrrev_b32 v2, s0, v2 :: v_dual_lshlrev_b32 v3, 2, v3
	s_sub_co_i32 s0, s3, s0
	s_delay_alu instid0(SALU_CYCLE_1)
	s_min_u32 s0, s0, 8
	s_delay_alu instid0(VALU_DEP_1) | instid1(SALU_CYCLE_1)
	v_bfe_u32 v2, v2, 0, s0
	s_delay_alu instid0(VALU_DEP_1)
	v_lshl_or_b32 v2, v2, 4, v3
	v_mov_b32_e32 v3, 1
	ds_add_u32 v2, v3 offset:12288
.LBB942_237:
	s_or_b32 exec_lo, exec_lo, s1
	s_cmp_gt_u32 s3, s2
	s_wait_dscnt 0x0
	s_barrier_signal -1
	s_barrier_wait -1
	s_cbranch_scc0 .LBB942_242
; %bb.238:
	v_mad_u32_u24 v1, v0, 12, v1
	v_dual_mov_b32 v3, 0 :: v_dual_mov_b32 v4, v0
	s_mov_b32 s0, s2
	v_cmp_gt_u32_e32 vcc_lo, 0x100, v0
	s_branch .LBB942_240
.LBB942_239:                            ;   in Loop: Header=BB942_240 Depth=1
	s_wait_xcnt 0x0
	s_or_b32 exec_lo, exec_lo, s1
	v_add_nc_u32_e32 v4, 0x100, v4
	v_add_nc_u32_e32 v1, 0x1000, v1
	s_add_co_i32 s0, s0, 8
	s_delay_alu instid0(SALU_CYCLE_1)
	s_cmp_lt_u32 s0, s3
	s_cbranch_scc0 .LBB942_242
.LBB942_240:                            ; =>This Inner Loop Header: Depth=1
	s_and_saveexec_b32 s1, vcc_lo
	s_cbranch_execz .LBB942_239
; %bb.241:                              ;   in Loop: Header=BB942_240 Depth=1
	ds_load_2addr_b32 v[6:7], v1 offset1:1
	ds_load_2addr_b32 v[8:9], v1 offset0:2 offset1:3
	s_wait_dscnt 0x1
	v_add_nc_u32_e32 v2, v7, v6
	s_wait_dscnt 0x0
	s_delay_alu instid0(VALU_DEP_1)
	v_add3_u32 v2, v2, v8, v9
	global_atomic_add_u64 v4, v[2:3], s[6:7] scale_offset scope:SCOPE_DEV
	s_branch .LBB942_239
.LBB942_242:
	s_mov_b32 s9, 0
.LBB942_243:
	s_delay_alu instid0(SALU_CYCLE_1)
	s_and_b32 vcc_lo, exec_lo, s9
	s_cbranch_vccz .LBB942_343
; %bb.244:
	s_clause 0xb
	global_load_b32 v14, v0, s[4:5] scale_offset
	global_load_b32 v13, v0, s[4:5] offset:2048 scale_offset
	global_load_b32 v12, v0, s[4:5] offset:4096 scale_offset
	;; [unrolled: 1-line block ×11, first 2 shown]
	s_cmp_eq_u32 s2, 0
	v_dual_mov_b32 v2, 0 :: v_dual_lshlrev_b32 v15, 2, v0
	s_cselect_b32 s0, -1, 0
	s_cmp_eq_u32 s3, 32
	s_wait_xcnt 0x0
	v_cmp_gt_u32_e64 s4, 7, 3
	s_cselect_b32 s1, -1, 0
	s_delay_alu instid0(SALU_CYCLE_1)
	s_and_b32 s0, s0, s1
	s_mov_b32 s1, -1
	s_and_b32 vcc_lo, exec_lo, s0
	v_cmp_gt_u32_e64 s0, 7, 4
	s_cbranch_vccnz .LBB942_332
; %bb.245:
	ds_store_2addr_stride64_b32 v15, v2, v2 offset1:8
	ds_store_2addr_stride64_b32 v15, v2, v2 offset0:16 offset1:24
	s_and_saveexec_b32 s1, s4
; %bb.246:
	v_mov_b32_e32 v2, 0
	ds_store_b32 v15, v2 offset:8192
; %bb.247:
	s_or_b32 exec_lo, exec_lo, s1
	s_and_saveexec_b32 s1, s0
; %bb.248:
	v_mov_b32_e32 v2, 0
	ds_store_b32 v15, v2 offset:10240
; %bb.249:
	s_or_b32 exec_lo, exec_lo, s1
	v_cmp_gt_u32_e64 s0, 7, 6
	s_mov_b32 s1, exec_lo
	v_cmpx_gt_u32_e64 7, 5
; %bb.250:
	v_mov_b32_e32 v2, 0
	ds_store_b32 v15, v2 offset:12288
; %bb.251:
	s_or_b32 exec_lo, exec_lo, s1
	s_and_saveexec_b32 s1, s0
; %bb.252:
	v_mov_b32_e32 v2, 0
	ds_store_b32 v15, v2 offset:14336
; %bb.253:
	s_or_b32 exec_lo, exec_lo, s1
	s_cmp_gt_u32 s3, s2
	s_wait_storecnt 0x0
	s_wait_loadcnt_dscnt 0x0
	s_cselect_b32 s0, -1, 0
	s_barrier_signal -1
	s_and_b32 vcc_lo, exec_lo, s0
	s_barrier_wait -1
	s_cbranch_vccz .LBB942_326
; %bb.254:
	v_xor_b32_e32 v17, 0x80000000, v14
	s_sub_co_i32 s1, s3, s2
	v_and_b32_e32 v2, 3, v0
	s_min_u32 s1, s1, 8
	s_mov_b32 s9, -1
	v_lshrrev_b32_e32 v16, s2, v17
	s_lshl_b32 s4, -1, s1
	v_dual_mov_b32 v18, 1 :: v_dual_lshlrev_b32 v3, 2, v2
	s_add_co_i32 s1, s2, 8
	s_delay_alu instid0(VALU_DEP_2) | instskip(SKIP_3) | instid1(VALU_DEP_1)
	v_bitop3_b32 v16, v16, s4, v16 bitop3:0x30
	s_not_b32 s4, s4
	s_cmp_le_u32 s3, s1
	s_cselect_b32 s5, -1, 0
	v_lshl_or_b32 v16, v16, 4, v3
	s_and_b32 vcc_lo, exec_lo, s5
	ds_add_u32 v16, v18
	v_xor_b32_e32 v16, 0x80000000, v13
	s_delay_alu instid0(VALU_DEP_1) | instskip(NEXT) | instid1(VALU_DEP_1)
	v_lshrrev_b32_e32 v18, s2, v16
	v_and_b32_e32 v18, s4, v18
	s_cbranch_vccz .LBB942_256
; %bb.255:
	s_delay_alu instid0(VALU_DEP_1)
	v_lshlrev_b32_e32 v19, 4, v18
	s_mov_b32 s8, -1
	s_cbranch_execz .LBB942_257
	s_branch .LBB942_264
.LBB942_256:
	s_mov_b32 s8, 0
                                        ; implicit-def: $vgpr19
	s_and_not1_b32 vcc_lo, exec_lo, s9
	s_cbranch_vccnz .LBB942_264
.LBB942_257:
	s_sub_co_i32 s9, s3, s1
	v_lshrrev_b32_e32 v19, s1, v17
	s_min_u32 s9, s9, 8
	s_delay_alu instid0(SALU_CYCLE_1) | instskip(SKIP_1) | instid1(VALU_DEP_1)
	s_lshl_b32 s10, -1, s9
	s_add_co_i32 s9, s2, 16
	v_bitop3_b32 v19, v19, s10, v19 bitop3:0x30
	s_not_b32 s11, s10
	s_cmp_gt_u32 s3, s9
	s_cselect_b32 s10, -1, 0
	s_delay_alu instid0(VALU_DEP_1)
	v_lshl_or_b32 v20, v19, 4, v3
	v_mov_b32_e32 v19, 1
	s_cmp_le_u32 s3, s9
	ds_add_u32 v20, v19 offset:4096
	s_cbranch_scc1 .LBB942_260
; %bb.258:
	v_lshrrev_b32_e32 v20, s9, v17
	s_sub_co_i32 s12, s3, s9
	s_delay_alu instid0(SALU_CYCLE_1)
	s_min_u32 s12, s12, 8
	s_delay_alu instid0(VALU_DEP_1) | instid1(SALU_CYCLE_1)
	v_bfe_u32 v20, v20, 0, s12
	s_add_co_i32 s12, s2, 24
	s_delay_alu instid0(SALU_CYCLE_1) | instskip(NEXT) | instid1(VALU_DEP_1)
	s_cmp_le_u32 s3, s12
	v_lshl_or_b32 v20, v20, 4, v3
	ds_add_u32 v20, v19 offset:8192
	s_cbranch_scc1 .LBB942_260
; %bb.259:
	v_dual_mov_b32 v20, 1 :: v_dual_lshrrev_b32 v17, s12, v17
	s_sub_co_i32 s12, s3, s12
	s_delay_alu instid0(SALU_CYCLE_1)
	s_min_u32 s12, s12, 8
	s_delay_alu instid0(VALU_DEP_1) | instid1(SALU_CYCLE_1)
	v_bfe_u32 v17, v17, 0, s12
	s_delay_alu instid0(VALU_DEP_1)
	v_lshl_or_b32 v17, v17, 4, v3
	ds_add_u32 v17, v20 offset:12288
.LBB942_260:
	v_lshrrev_b32_e32 v17, s1, v16
	v_lshl_or_b32 v18, v18, 4, v3
	s_and_not1_b32 vcc_lo, exec_lo, s10
	s_delay_alu instid0(VALU_DEP_2) | instskip(NEXT) | instid1(VALU_DEP_1)
	v_and_b32_e32 v17, s11, v17
	v_lshl_or_b32 v17, v17, 4, v3
	ds_add_u32 v18, v19
	ds_add_u32 v17, v19 offset:4096
	s_cbranch_vccnz .LBB942_263
; %bb.261:
	v_dual_mov_b32 v18, 1 :: v_dual_lshrrev_b32 v17, s9, v16
	s_sub_co_i32 s9, s3, s9
                                        ; implicit-def: $vgpr19
	s_delay_alu instid0(SALU_CYCLE_1)
	s_min_u32 s9, s9, 8
	s_delay_alu instid0(VALU_DEP_1) | instid1(SALU_CYCLE_1)
	v_bfe_u32 v17, v17, 0, s9
	s_add_co_i32 s9, s2, 24
	s_delay_alu instid0(SALU_CYCLE_1) | instskip(NEXT) | instid1(VALU_DEP_1)
	s_cmp_gt_u32 s3, s9
	v_lshl_or_b32 v17, v17, 4, v3
	ds_add_u32 v17, v18 offset:8192
	s_cbranch_scc0 .LBB942_264
; %bb.262:
	v_lshrrev_b32_e32 v16, s9, v16
	s_sub_co_i32 s8, s3, s9
	s_delay_alu instid0(SALU_CYCLE_1)
	s_min_u32 s8, s8, 8
	s_delay_alu instid0(VALU_DEP_1) | instid1(SALU_CYCLE_1)
	v_bfe_u32 v16, v16, 0, s8
	s_mov_b32 s8, -1
	s_delay_alu instid0(VALU_DEP_1)
	v_lshl_add_u32 v19, v16, 4, 0x3000
	s_branch .LBB942_264
.LBB942_263:
                                        ; implicit-def: $vgpr19
.LBB942_264:
	s_and_b32 vcc_lo, exec_lo, s8
	s_cbranch_vccz .LBB942_266
; %bb.265:
	s_delay_alu instid0(VALU_DEP_1)
	v_lshl_add_u32 v16, v2, 2, v19
	v_mov_b32_e32 v17, 1
	ds_add_u32 v16, v17
.LBB942_266:
	v_xor_b32_e32 v18, 0x80000000, v12
	s_and_b32 vcc_lo, exec_lo, s5
	s_delay_alu instid0(VALU_DEP_1) | instskip(NEXT) | instid1(VALU_DEP_1)
	v_dual_mov_b32 v17, 1 :: v_dual_lshrrev_b32 v16, s2, v18
	v_and_b32_e32 v16, s4, v16
	s_delay_alu instid0(VALU_DEP_1) | instskip(SKIP_2) | instid1(VALU_DEP_1)
	v_lshl_or_b32 v16, v16, 4, v3
	ds_add_u32 v16, v17
	v_xor_b32_e32 v16, 0x80000000, v11
	v_lshrrev_b32_e32 v17, s2, v16
	s_delay_alu instid0(VALU_DEP_1)
	v_and_b32_e32 v17, s4, v17
	s_cbranch_vccz .LBB942_268
; %bb.267:
	s_delay_alu instid0(VALU_DEP_1)
	v_lshlrev_b32_e32 v19, 4, v17
	s_mov_b32 s8, -1
	s_cbranch_execz .LBB942_269
	s_branch .LBB942_276
.LBB942_268:
	s_mov_b32 s8, 0
                                        ; implicit-def: $vgpr19
.LBB942_269:
	s_sub_co_i32 s9, s3, s1
	v_lshrrev_b32_e32 v19, s1, v18
	s_min_u32 s9, s9, 8
	s_delay_alu instid0(SALU_CYCLE_1) | instskip(SKIP_1) | instid1(VALU_DEP_1)
	s_lshl_b32 s10, -1, s9
	s_add_co_i32 s9, s2, 16
	v_bitop3_b32 v19, v19, s10, v19 bitop3:0x30
	s_not_b32 s11, s10
	s_cmp_gt_u32 s3, s9
	s_cselect_b32 s10, -1, 0
	s_delay_alu instid0(VALU_DEP_1)
	v_lshl_or_b32 v20, v19, 4, v3
	v_mov_b32_e32 v19, 1
	s_cmp_le_u32 s3, s9
	ds_add_u32 v20, v19 offset:4096
	s_cbranch_scc1 .LBB942_272
; %bb.270:
	v_lshrrev_b32_e32 v20, s9, v18
	s_sub_co_i32 s12, s3, s9
	s_delay_alu instid0(SALU_CYCLE_1)
	s_min_u32 s12, s12, 8
	s_delay_alu instid0(VALU_DEP_1) | instid1(SALU_CYCLE_1)
	v_bfe_u32 v20, v20, 0, s12
	s_add_co_i32 s12, s2, 24
	s_delay_alu instid0(SALU_CYCLE_1) | instskip(NEXT) | instid1(VALU_DEP_1)
	s_cmp_le_u32 s3, s12
	v_lshl_or_b32 v20, v20, 4, v3
	ds_add_u32 v20, v19 offset:8192
	s_cbranch_scc1 .LBB942_272
; %bb.271:
	v_dual_lshrrev_b32 v18, s12, v18 :: v_dual_mov_b32 v20, 1
	s_sub_co_i32 s12, s3, s12
	s_delay_alu instid0(SALU_CYCLE_1)
	s_min_u32 s12, s12, 8
	s_delay_alu instid0(VALU_DEP_1) | instid1(SALU_CYCLE_1)
	v_bfe_u32 v18, v18, 0, s12
	s_delay_alu instid0(VALU_DEP_1)
	v_lshl_or_b32 v18, v18, 4, v3
	ds_add_u32 v18, v20 offset:12288
.LBB942_272:
	v_lshrrev_b32_e32 v18, s1, v16
	v_lshl_or_b32 v17, v17, 4, v3
	s_and_not1_b32 vcc_lo, exec_lo, s10
	s_delay_alu instid0(VALU_DEP_2) | instskip(NEXT) | instid1(VALU_DEP_1)
	v_and_b32_e32 v18, s11, v18
	v_lshl_or_b32 v18, v18, 4, v3
	ds_add_u32 v17, v19
	ds_add_u32 v18, v19 offset:4096
	s_cbranch_vccnz .LBB942_275
; %bb.273:
	v_dual_mov_b32 v18, 1 :: v_dual_lshrrev_b32 v17, s9, v16
	s_sub_co_i32 s9, s3, s9
                                        ; implicit-def: $vgpr19
	s_delay_alu instid0(SALU_CYCLE_1)
	s_min_u32 s9, s9, 8
	s_delay_alu instid0(VALU_DEP_1) | instid1(SALU_CYCLE_1)
	v_bfe_u32 v17, v17, 0, s9
	s_add_co_i32 s9, s2, 24
	s_delay_alu instid0(SALU_CYCLE_1) | instskip(NEXT) | instid1(VALU_DEP_1)
	s_cmp_gt_u32 s3, s9
	v_lshl_or_b32 v17, v17, 4, v3
	ds_add_u32 v17, v18 offset:8192
	s_cbranch_scc0 .LBB942_276
; %bb.274:
	v_lshrrev_b32_e32 v16, s9, v16
	s_sub_co_i32 s8, s3, s9
	s_delay_alu instid0(SALU_CYCLE_1)
	s_min_u32 s8, s8, 8
	s_delay_alu instid0(VALU_DEP_1) | instid1(SALU_CYCLE_1)
	v_bfe_u32 v16, v16, 0, s8
	s_mov_b32 s8, -1
	s_delay_alu instid0(VALU_DEP_1)
	v_lshl_add_u32 v19, v16, 4, 0x3000
	s_branch .LBB942_276
.LBB942_275:
                                        ; implicit-def: $vgpr19
.LBB942_276:
	s_and_b32 vcc_lo, exec_lo, s8
	s_cbranch_vccz .LBB942_278
; %bb.277:
	s_delay_alu instid0(VALU_DEP_1)
	v_lshl_add_u32 v16, v2, 2, v19
	v_mov_b32_e32 v17, 1
	ds_add_u32 v16, v17
.LBB942_278:
	v_xor_b32_e32 v18, 0x80000000, v10
	s_and_b32 vcc_lo, exec_lo, s5
	s_delay_alu instid0(VALU_DEP_1) | instskip(NEXT) | instid1(VALU_DEP_1)
	v_dual_mov_b32 v17, 1 :: v_dual_lshrrev_b32 v16, s2, v18
	v_and_b32_e32 v16, s4, v16
	s_delay_alu instid0(VALU_DEP_1) | instskip(SKIP_2) | instid1(VALU_DEP_1)
	v_lshl_or_b32 v16, v16, 4, v3
	ds_add_u32 v16, v17
	v_xor_b32_e32 v16, 0x80000000, v9
	v_lshrrev_b32_e32 v17, s2, v16
	s_delay_alu instid0(VALU_DEP_1)
	v_and_b32_e32 v17, s4, v17
	s_cbranch_vccz .LBB942_280
; %bb.279:
	s_delay_alu instid0(VALU_DEP_1)
	v_lshlrev_b32_e32 v19, 4, v17
	s_mov_b32 s8, -1
	s_cbranch_execz .LBB942_281
	s_branch .LBB942_288
.LBB942_280:
	s_mov_b32 s8, 0
                                        ; implicit-def: $vgpr19
.LBB942_281:
	s_sub_co_i32 s9, s3, s1
	v_lshrrev_b32_e32 v19, s1, v18
	s_min_u32 s9, s9, 8
	s_delay_alu instid0(SALU_CYCLE_1) | instskip(SKIP_1) | instid1(VALU_DEP_1)
	s_lshl_b32 s10, -1, s9
	s_add_co_i32 s9, s2, 16
	v_bitop3_b32 v19, v19, s10, v19 bitop3:0x30
	s_not_b32 s11, s10
	s_cmp_gt_u32 s3, s9
	s_cselect_b32 s10, -1, 0
	s_delay_alu instid0(VALU_DEP_1)
	v_lshl_or_b32 v20, v19, 4, v3
	v_mov_b32_e32 v19, 1
	s_cmp_le_u32 s3, s9
	ds_add_u32 v20, v19 offset:4096
	s_cbranch_scc1 .LBB942_284
; %bb.282:
	v_lshrrev_b32_e32 v20, s9, v18
	s_sub_co_i32 s12, s3, s9
	s_delay_alu instid0(SALU_CYCLE_1)
	s_min_u32 s12, s12, 8
	s_delay_alu instid0(VALU_DEP_1) | instid1(SALU_CYCLE_1)
	v_bfe_u32 v20, v20, 0, s12
	s_add_co_i32 s12, s2, 24
	s_delay_alu instid0(SALU_CYCLE_1) | instskip(NEXT) | instid1(VALU_DEP_1)
	s_cmp_le_u32 s3, s12
	v_lshl_or_b32 v20, v20, 4, v3
	ds_add_u32 v20, v19 offset:8192
	s_cbranch_scc1 .LBB942_284
; %bb.283:
	v_dual_lshrrev_b32 v18, s12, v18 :: v_dual_mov_b32 v20, 1
	s_sub_co_i32 s12, s3, s12
	s_delay_alu instid0(SALU_CYCLE_1)
	s_min_u32 s12, s12, 8
	s_delay_alu instid0(VALU_DEP_1) | instid1(SALU_CYCLE_1)
	v_bfe_u32 v18, v18, 0, s12
	s_delay_alu instid0(VALU_DEP_1)
	v_lshl_or_b32 v18, v18, 4, v3
	ds_add_u32 v18, v20 offset:12288
.LBB942_284:
	v_lshrrev_b32_e32 v18, s1, v16
	v_lshl_or_b32 v17, v17, 4, v3
	s_and_not1_b32 vcc_lo, exec_lo, s10
	s_delay_alu instid0(VALU_DEP_2) | instskip(NEXT) | instid1(VALU_DEP_1)
	v_and_b32_e32 v18, s11, v18
	v_lshl_or_b32 v18, v18, 4, v3
	ds_add_u32 v17, v19
	ds_add_u32 v18, v19 offset:4096
	s_cbranch_vccnz .LBB942_287
; %bb.285:
	v_dual_mov_b32 v18, 1 :: v_dual_lshrrev_b32 v17, s9, v16
	s_sub_co_i32 s9, s3, s9
                                        ; implicit-def: $vgpr19
	s_delay_alu instid0(SALU_CYCLE_1)
	s_min_u32 s9, s9, 8
	s_delay_alu instid0(VALU_DEP_1) | instid1(SALU_CYCLE_1)
	v_bfe_u32 v17, v17, 0, s9
	s_add_co_i32 s9, s2, 24
	s_delay_alu instid0(SALU_CYCLE_1) | instskip(NEXT) | instid1(VALU_DEP_1)
	s_cmp_gt_u32 s3, s9
	v_lshl_or_b32 v17, v17, 4, v3
	ds_add_u32 v17, v18 offset:8192
	s_cbranch_scc0 .LBB942_288
; %bb.286:
	v_lshrrev_b32_e32 v16, s9, v16
	s_sub_co_i32 s8, s3, s9
	s_delay_alu instid0(SALU_CYCLE_1)
	s_min_u32 s8, s8, 8
	s_delay_alu instid0(VALU_DEP_1) | instid1(SALU_CYCLE_1)
	v_bfe_u32 v16, v16, 0, s8
	s_mov_b32 s8, -1
	s_delay_alu instid0(VALU_DEP_1)
	v_lshl_add_u32 v19, v16, 4, 0x3000
	s_branch .LBB942_288
.LBB942_287:
                                        ; implicit-def: $vgpr19
.LBB942_288:
	s_and_b32 vcc_lo, exec_lo, s8
	s_cbranch_vccz .LBB942_290
; %bb.289:
	s_delay_alu instid0(VALU_DEP_1)
	v_lshl_add_u32 v16, v2, 2, v19
	v_mov_b32_e32 v17, 1
	ds_add_u32 v16, v17
.LBB942_290:
	v_xor_b32_e32 v18, 0x80000000, v8
	s_and_b32 vcc_lo, exec_lo, s5
	s_delay_alu instid0(VALU_DEP_1) | instskip(NEXT) | instid1(VALU_DEP_1)
	v_dual_mov_b32 v17, 1 :: v_dual_lshrrev_b32 v16, s2, v18
	v_and_b32_e32 v16, s4, v16
	s_delay_alu instid0(VALU_DEP_1) | instskip(SKIP_2) | instid1(VALU_DEP_1)
	v_lshl_or_b32 v16, v16, 4, v3
	ds_add_u32 v16, v17
	v_xor_b32_e32 v16, 0x80000000, v7
	v_lshrrev_b32_e32 v17, s2, v16
	s_delay_alu instid0(VALU_DEP_1)
	v_and_b32_e32 v17, s4, v17
	s_cbranch_vccz .LBB942_292
; %bb.291:
	s_delay_alu instid0(VALU_DEP_1)
	v_lshlrev_b32_e32 v19, 4, v17
	s_mov_b32 s8, -1
	s_cbranch_execz .LBB942_293
	s_branch .LBB942_300
.LBB942_292:
	s_mov_b32 s8, 0
                                        ; implicit-def: $vgpr19
.LBB942_293:
	s_sub_co_i32 s9, s3, s1
	v_lshrrev_b32_e32 v19, s1, v18
	s_min_u32 s9, s9, 8
	s_delay_alu instid0(SALU_CYCLE_1) | instskip(SKIP_1) | instid1(VALU_DEP_1)
	s_lshl_b32 s10, -1, s9
	s_add_co_i32 s9, s2, 16
	v_bitop3_b32 v19, v19, s10, v19 bitop3:0x30
	s_not_b32 s11, s10
	s_cmp_gt_u32 s3, s9
	s_cselect_b32 s10, -1, 0
	s_delay_alu instid0(VALU_DEP_1)
	v_lshl_or_b32 v20, v19, 4, v3
	v_mov_b32_e32 v19, 1
	s_cmp_le_u32 s3, s9
	ds_add_u32 v20, v19 offset:4096
	s_cbranch_scc1 .LBB942_296
; %bb.294:
	v_lshrrev_b32_e32 v20, s9, v18
	s_sub_co_i32 s12, s3, s9
	s_delay_alu instid0(SALU_CYCLE_1)
	s_min_u32 s12, s12, 8
	s_delay_alu instid0(VALU_DEP_1) | instid1(SALU_CYCLE_1)
	v_bfe_u32 v20, v20, 0, s12
	s_add_co_i32 s12, s2, 24
	s_delay_alu instid0(SALU_CYCLE_1) | instskip(NEXT) | instid1(VALU_DEP_1)
	s_cmp_le_u32 s3, s12
	v_lshl_or_b32 v20, v20, 4, v3
	ds_add_u32 v20, v19 offset:8192
	s_cbranch_scc1 .LBB942_296
; %bb.295:
	v_dual_lshrrev_b32 v18, s12, v18 :: v_dual_mov_b32 v20, 1
	s_sub_co_i32 s12, s3, s12
	s_delay_alu instid0(SALU_CYCLE_1)
	s_min_u32 s12, s12, 8
	s_delay_alu instid0(VALU_DEP_1) | instid1(SALU_CYCLE_1)
	v_bfe_u32 v18, v18, 0, s12
	s_delay_alu instid0(VALU_DEP_1)
	v_lshl_or_b32 v18, v18, 4, v3
	ds_add_u32 v18, v20 offset:12288
.LBB942_296:
	v_lshrrev_b32_e32 v18, s1, v16
	v_lshl_or_b32 v17, v17, 4, v3
	s_and_not1_b32 vcc_lo, exec_lo, s10
	s_delay_alu instid0(VALU_DEP_2) | instskip(NEXT) | instid1(VALU_DEP_1)
	v_and_b32_e32 v18, s11, v18
	v_lshl_or_b32 v18, v18, 4, v3
	ds_add_u32 v17, v19
	ds_add_u32 v18, v19 offset:4096
	s_cbranch_vccnz .LBB942_299
; %bb.297:
	v_dual_mov_b32 v18, 1 :: v_dual_lshrrev_b32 v17, s9, v16
	s_sub_co_i32 s9, s3, s9
                                        ; implicit-def: $vgpr19
	s_delay_alu instid0(SALU_CYCLE_1)
	s_min_u32 s9, s9, 8
	s_delay_alu instid0(VALU_DEP_1) | instid1(SALU_CYCLE_1)
	v_bfe_u32 v17, v17, 0, s9
	s_add_co_i32 s9, s2, 24
	s_delay_alu instid0(SALU_CYCLE_1) | instskip(NEXT) | instid1(VALU_DEP_1)
	s_cmp_gt_u32 s3, s9
	v_lshl_or_b32 v17, v17, 4, v3
	ds_add_u32 v17, v18 offset:8192
	s_cbranch_scc0 .LBB942_300
; %bb.298:
	v_lshrrev_b32_e32 v16, s9, v16
	s_sub_co_i32 s8, s3, s9
	s_delay_alu instid0(SALU_CYCLE_1)
	s_min_u32 s8, s8, 8
	s_delay_alu instid0(VALU_DEP_1) | instid1(SALU_CYCLE_1)
	v_bfe_u32 v16, v16, 0, s8
	s_mov_b32 s8, -1
	s_delay_alu instid0(VALU_DEP_1)
	v_lshl_add_u32 v19, v16, 4, 0x3000
	s_branch .LBB942_300
.LBB942_299:
                                        ; implicit-def: $vgpr19
.LBB942_300:
	s_and_b32 vcc_lo, exec_lo, s8
	s_cbranch_vccz .LBB942_302
; %bb.301:
	s_delay_alu instid0(VALU_DEP_1)
	v_lshl_add_u32 v16, v2, 2, v19
	v_mov_b32_e32 v17, 1
	ds_add_u32 v16, v17
.LBB942_302:
	v_xor_b32_e32 v18, 0x80000000, v6
	s_and_b32 vcc_lo, exec_lo, s5
	s_delay_alu instid0(VALU_DEP_1) | instskip(NEXT) | instid1(VALU_DEP_1)
	v_dual_mov_b32 v17, 1 :: v_dual_lshrrev_b32 v16, s2, v18
	v_and_b32_e32 v16, s4, v16
	s_delay_alu instid0(VALU_DEP_1) | instskip(SKIP_2) | instid1(VALU_DEP_1)
	v_lshl_or_b32 v16, v16, 4, v3
	ds_add_u32 v16, v17
	v_xor_b32_e32 v16, 0x80000000, v5
	v_lshrrev_b32_e32 v17, s2, v16
	s_delay_alu instid0(VALU_DEP_1)
	v_and_b32_e32 v17, s4, v17
	s_cbranch_vccz .LBB942_304
; %bb.303:
	s_delay_alu instid0(VALU_DEP_1)
	v_lshlrev_b32_e32 v19, 4, v17
	s_mov_b32 s8, -1
	s_cbranch_execz .LBB942_305
	s_branch .LBB942_312
.LBB942_304:
	s_mov_b32 s8, 0
                                        ; implicit-def: $vgpr19
.LBB942_305:
	s_sub_co_i32 s9, s3, s1
	v_lshrrev_b32_e32 v19, s1, v18
	s_min_u32 s9, s9, 8
	s_delay_alu instid0(SALU_CYCLE_1) | instskip(SKIP_1) | instid1(VALU_DEP_1)
	s_lshl_b32 s10, -1, s9
	s_add_co_i32 s9, s2, 16
	v_bitop3_b32 v19, v19, s10, v19 bitop3:0x30
	s_not_b32 s11, s10
	s_cmp_gt_u32 s3, s9
	s_cselect_b32 s10, -1, 0
	s_delay_alu instid0(VALU_DEP_1)
	v_lshl_or_b32 v20, v19, 4, v3
	v_mov_b32_e32 v19, 1
	s_cmp_le_u32 s3, s9
	ds_add_u32 v20, v19 offset:4096
	s_cbranch_scc1 .LBB942_308
; %bb.306:
	v_lshrrev_b32_e32 v20, s9, v18
	s_sub_co_i32 s12, s3, s9
	s_delay_alu instid0(SALU_CYCLE_1)
	s_min_u32 s12, s12, 8
	s_delay_alu instid0(VALU_DEP_1) | instid1(SALU_CYCLE_1)
	v_bfe_u32 v20, v20, 0, s12
	s_add_co_i32 s12, s2, 24
	s_delay_alu instid0(SALU_CYCLE_1) | instskip(NEXT) | instid1(VALU_DEP_1)
	s_cmp_le_u32 s3, s12
	v_lshl_or_b32 v20, v20, 4, v3
	ds_add_u32 v20, v19 offset:8192
	s_cbranch_scc1 .LBB942_308
; %bb.307:
	v_dual_lshrrev_b32 v18, s12, v18 :: v_dual_mov_b32 v20, 1
	s_sub_co_i32 s12, s3, s12
	s_delay_alu instid0(SALU_CYCLE_1)
	s_min_u32 s12, s12, 8
	s_delay_alu instid0(VALU_DEP_1) | instid1(SALU_CYCLE_1)
	v_bfe_u32 v18, v18, 0, s12
	s_delay_alu instid0(VALU_DEP_1)
	v_lshl_or_b32 v18, v18, 4, v3
	ds_add_u32 v18, v20 offset:12288
.LBB942_308:
	v_lshrrev_b32_e32 v18, s1, v16
	v_lshl_or_b32 v17, v17, 4, v3
	s_and_not1_b32 vcc_lo, exec_lo, s10
	s_delay_alu instid0(VALU_DEP_2) | instskip(NEXT) | instid1(VALU_DEP_1)
	v_and_b32_e32 v18, s11, v18
	v_lshl_or_b32 v18, v18, 4, v3
	ds_add_u32 v17, v19
	ds_add_u32 v18, v19 offset:4096
	s_cbranch_vccnz .LBB942_311
; %bb.309:
	v_dual_mov_b32 v18, 1 :: v_dual_lshrrev_b32 v17, s9, v16
	s_sub_co_i32 s9, s3, s9
                                        ; implicit-def: $vgpr19
	s_delay_alu instid0(SALU_CYCLE_1)
	s_min_u32 s9, s9, 8
	s_delay_alu instid0(VALU_DEP_1) | instid1(SALU_CYCLE_1)
	v_bfe_u32 v17, v17, 0, s9
	s_add_co_i32 s9, s2, 24
	s_delay_alu instid0(SALU_CYCLE_1) | instskip(NEXT) | instid1(VALU_DEP_1)
	s_cmp_gt_u32 s3, s9
	v_lshl_or_b32 v17, v17, 4, v3
	ds_add_u32 v17, v18 offset:8192
	s_cbranch_scc0 .LBB942_312
; %bb.310:
	v_lshrrev_b32_e32 v16, s9, v16
	s_sub_co_i32 s8, s3, s9
	s_delay_alu instid0(SALU_CYCLE_1)
	s_min_u32 s8, s8, 8
	s_delay_alu instid0(VALU_DEP_1) | instid1(SALU_CYCLE_1)
	v_bfe_u32 v16, v16, 0, s8
	s_mov_b32 s8, -1
	s_delay_alu instid0(VALU_DEP_1)
	v_lshl_add_u32 v19, v16, 4, 0x3000
	s_branch .LBB942_312
.LBB942_311:
                                        ; implicit-def: $vgpr19
.LBB942_312:
	s_and_b32 vcc_lo, exec_lo, s8
	s_cbranch_vccz .LBB942_314
; %bb.313:
	s_delay_alu instid0(VALU_DEP_1)
	v_lshl_add_u32 v16, v2, 2, v19
	v_mov_b32_e32 v17, 1
	ds_add_u32 v16, v17
.LBB942_314:
	v_xor_b32_e32 v18, 0x80000000, v4
	s_and_b32 vcc_lo, exec_lo, s5
	s_delay_alu instid0(VALU_DEP_1) | instskip(NEXT) | instid1(VALU_DEP_1)
	v_dual_mov_b32 v17, 1 :: v_dual_lshrrev_b32 v16, s2, v18
	v_and_b32_e32 v16, s4, v16
	s_delay_alu instid0(VALU_DEP_1) | instskip(SKIP_2) | instid1(VALU_DEP_1)
	v_lshl_or_b32 v16, v16, 4, v3
	ds_add_u32 v16, v17
	v_xor_b32_e32 v16, 0x80000000, v1
	v_lshrrev_b32_e32 v17, s2, v16
	s_delay_alu instid0(VALU_DEP_1)
	v_and_b32_e32 v17, s4, v17
	s_cbranch_vccz .LBB942_316
; %bb.315:
	s_delay_alu instid0(VALU_DEP_1)
	v_lshlrev_b32_e32 v19, 4, v17
	s_mov_b32 s4, -1
	s_cbranch_execz .LBB942_317
	s_branch .LBB942_324
.LBB942_316:
	s_mov_b32 s4, 0
                                        ; implicit-def: $vgpr19
.LBB942_317:
	s_sub_co_i32 s5, s3, s1
	v_lshrrev_b32_e32 v19, s1, v18
	s_min_u32 s5, s5, 8
	s_delay_alu instid0(SALU_CYCLE_1) | instskip(SKIP_1) | instid1(VALU_DEP_1)
	s_lshl_b32 s8, -1, s5
	s_add_co_i32 s5, s2, 16
	v_bitop3_b32 v19, v19, s8, v19 bitop3:0x30
	s_not_b32 s9, s8
	s_cmp_gt_u32 s3, s5
	s_cselect_b32 s8, -1, 0
	s_delay_alu instid0(VALU_DEP_1)
	v_lshl_or_b32 v20, v19, 4, v3
	v_mov_b32_e32 v19, 1
	s_cmp_le_u32 s3, s5
	ds_add_u32 v20, v19 offset:4096
	s_cbranch_scc1 .LBB942_320
; %bb.318:
	v_lshrrev_b32_e32 v20, s5, v18
	s_sub_co_i32 s10, s3, s5
	s_delay_alu instid0(SALU_CYCLE_1)
	s_min_u32 s10, s10, 8
	s_delay_alu instid0(VALU_DEP_1) | instid1(SALU_CYCLE_1)
	v_bfe_u32 v20, v20, 0, s10
	s_add_co_i32 s10, s2, 24
	s_delay_alu instid0(SALU_CYCLE_1) | instskip(NEXT) | instid1(VALU_DEP_1)
	s_cmp_le_u32 s3, s10
	v_lshl_or_b32 v20, v20, 4, v3
	ds_add_u32 v20, v19 offset:8192
	s_cbranch_scc1 .LBB942_320
; %bb.319:
	v_dual_lshrrev_b32 v18, s10, v18 :: v_dual_mov_b32 v20, 1
	s_sub_co_i32 s10, s3, s10
	s_delay_alu instid0(SALU_CYCLE_1)
	s_min_u32 s10, s10, 8
	s_delay_alu instid0(VALU_DEP_1) | instid1(SALU_CYCLE_1)
	v_bfe_u32 v18, v18, 0, s10
	s_delay_alu instid0(VALU_DEP_1)
	v_lshl_or_b32 v18, v18, 4, v3
	ds_add_u32 v18, v20 offset:12288
.LBB942_320:
	v_lshrrev_b32_e32 v18, s1, v16
	v_lshl_or_b32 v17, v17, 4, v3
	s_and_not1_b32 vcc_lo, exec_lo, s8
	s_delay_alu instid0(VALU_DEP_2) | instskip(NEXT) | instid1(VALU_DEP_1)
	v_and_b32_e32 v18, s9, v18
	v_lshl_or_b32 v18, v18, 4, v3
	ds_add_u32 v17, v19
	ds_add_u32 v18, v19 offset:4096
	s_cbranch_vccnz .LBB942_323
; %bb.321:
	v_lshrrev_b32_e32 v17, s5, v16
	s_sub_co_i32 s1, s3, s5
                                        ; implicit-def: $vgpr19
	s_delay_alu instid0(SALU_CYCLE_1)
	s_min_u32 s1, s1, 8
	s_delay_alu instid0(VALU_DEP_1) | instid1(SALU_CYCLE_1)
	v_bfe_u32 v17, v17, 0, s1
	s_add_co_i32 s1, s2, 24
	s_delay_alu instid0(SALU_CYCLE_1) | instskip(NEXT) | instid1(VALU_DEP_1)
	s_cmp_gt_u32 s3, s1
	v_lshl_or_b32 v3, v17, 4, v3
	v_mov_b32_e32 v17, 1
	ds_add_u32 v3, v17 offset:8192
	s_cbranch_scc0 .LBB942_324
; %bb.322:
	v_lshrrev_b32_e32 v3, s1, v16
	s_sub_co_i32 s1, s3, s1
	s_mov_b32 s4, -1
	s_min_u32 s1, s1, 8
	s_delay_alu instid0(VALU_DEP_1) | instid1(SALU_CYCLE_1)
	v_bfe_u32 v3, v3, 0, s1
	s_delay_alu instid0(VALU_DEP_1)
	v_lshl_add_u32 v19, v3, 4, 0x3000
	s_branch .LBB942_324
.LBB942_323:
                                        ; implicit-def: $vgpr19
.LBB942_324:
	s_and_b32 vcc_lo, exec_lo, s4
	s_cbranch_vccz .LBB942_326
; %bb.325:
	s_delay_alu instid0(VALU_DEP_1)
	v_lshl_add_u32 v2, v2, 2, v19
	v_mov_b32_e32 v3, 1
	ds_add_u32 v2, v3
.LBB942_326:
	s_and_b32 vcc_lo, exec_lo, s0
	s_wait_dscnt 0x0
	s_barrier_signal -1
	s_barrier_wait -1
	s_cbranch_vccz .LBB942_331
; %bb.327:
	v_dual_mov_b32 v3, 0 :: v_dual_lshlrev_b32 v16, 4, v0
	v_mov_b32_e32 v17, v0
	v_cmp_gt_u32_e32 vcc_lo, 0x100, v0
	s_branch .LBB942_329
.LBB942_328:                            ;   in Loop: Header=BB942_329 Depth=1
	s_wait_xcnt 0x0
	s_or_b32 exec_lo, exec_lo, s0
	v_add_nc_u32_e32 v17, 0x100, v17
	v_add_nc_u32_e32 v16, 0x1000, v16
	s_add_co_i32 s2, s2, 8
	s_delay_alu instid0(SALU_CYCLE_1)
	s_cmp_ge_u32 s2, s3
	s_cbranch_scc1 .LBB942_331
.LBB942_329:                            ; =>This Inner Loop Header: Depth=1
	s_and_saveexec_b32 s0, vcc_lo
	s_cbranch_execz .LBB942_328
; %bb.330:                              ;   in Loop: Header=BB942_329 Depth=1
	ds_load_2addr_b32 v[18:19], v16 offset1:1
	ds_load_2addr_b32 v[20:21], v16 offset0:2 offset1:3
	s_wait_dscnt 0x1
	v_add_nc_u32_e32 v2, v19, v18
	s_wait_dscnt 0x0
	s_delay_alu instid0(VALU_DEP_1)
	v_add3_u32 v2, v2, v20, v21
	global_atomic_add_u64 v17, v[2:3], s[6:7] scale_offset scope:SCOPE_DEV
	s_branch .LBB942_328
.LBB942_331:
	s_mov_b32 s1, 0
.LBB942_332:
	s_delay_alu instid0(SALU_CYCLE_1)
	s_and_b32 vcc_lo, exec_lo, s1
	s_cbranch_vccz .LBB942_343
; %bb.333:
	v_mov_b32_e32 v2, 0
	v_cmp_gt_u32_e64 s0, 7, 4
	s_mov_b32 s1, exec_lo
	ds_store_2addr_stride64_b32 v15, v2, v2 offset1:8
	ds_store_2addr_stride64_b32 v15, v2, v2 offset0:16 offset1:24
	v_cmpx_gt_u32_e64 7, 3
; %bb.334:
	ds_store_b32 v15, v2 offset:8192
; %bb.335:
	s_or_b32 exec_lo, exec_lo, s1
	s_and_saveexec_b32 s1, s0
; %bb.336:
	v_mov_b32_e32 v2, 0
	ds_store_b32 v15, v2 offset:10240
; %bb.337:
	s_or_b32 exec_lo, exec_lo, s1
	v_cmp_gt_u32_e64 s0, 7, 6
	s_mov_b32 s1, exec_lo
	v_cmpx_gt_u32_e64 7, 5
; %bb.338:
	v_mov_b32_e32 v2, 0
	ds_store_b32 v15, v2 offset:12288
; %bb.339:
	s_or_b32 exec_lo, exec_lo, s1
	s_and_saveexec_b32 s1, s0
; %bb.340:
	v_mov_b32_e32 v2, 0
	ds_store_b32 v15, v2 offset:14336
; %bb.341:
	s_or_b32 exec_lo, exec_lo, s1
	s_wait_loadcnt 0xb
	v_dual_lshlrev_b32 v3, 4, v14 :: v_dual_bitop2_b32 v2, 3, v0 bitop3:0x40
	v_dual_lshrrev_b32 v15, 4, v14 :: v_dual_lshrrev_b32 v16, 12, v14
	v_lshrrev_b32_e32 v14, 22, v14
	s_delay_alu instid0(VALU_DEP_3)
	v_dual_mov_b32 v17, 1 :: v_dual_lshlrev_b32 v2, 2, v2
	s_movk_i32 s0, 0x200
	s_wait_storecnt 0x0
	s_wait_loadcnt_dscnt 0x0
	s_barrier_signal -1
	v_and_or_b32 v3, 0xff0, v3, v2
	v_and_or_b32 v15, 0xff0, v15, v2
	;; [unrolled: 1-line block ×3, first 2 shown]
	s_barrier_wait -1
	ds_add_u32 v3, v17
	ds_add_u32 v15, v17 offset:4096
	ds_add_u32 v16, v17 offset:8192
	v_lshrrev_b32_e32 v15, 4, v13
	v_bitop3_b32 v3, v14, s0, 0x3fc bitop3:0x6c
	v_dual_lshlrev_b32 v14, 4, v13 :: v_dual_lshrrev_b32 v16, 12, v13
	v_lshrrev_b32_e32 v13, 22, v13
	s_delay_alu instid0(VALU_DEP_4) | instskip(NEXT) | instid1(VALU_DEP_4)
	v_and_or_b32 v15, 0xff0, v15, v2
	v_lshl_or_b32 v3, v3, 2, v2
	s_delay_alu instid0(VALU_DEP_4)
	v_and_or_b32 v14, 0xff0, v14, v2
	v_and_or_b32 v16, 0xff0, v16, v2
	ds_add_u32 v3, v17 offset:12288
	ds_add_u32 v14, v17
	ds_add_u32 v15, v17 offset:4096
	ds_add_u32 v16, v17 offset:8192
	v_lshrrev_b32_e32 v14, 4, v12
	v_bitop3_b32 v13, v13, s0, 0x3fc bitop3:0x6c
	v_lshrrev_b32_e32 v15, 12, v12
	s_delay_alu instid0(VALU_DEP_2)
	v_lshl_or_b32 v3, v13, 2, v2
	v_dual_lshlrev_b32 v13, 4, v12 :: v_dual_lshrrev_b32 v12, 22, v12
	ds_add_u32 v3, v17 offset:12288
	v_and_or_b32 v3, 0xff0, v13, v2
	v_and_or_b32 v13, 0xff0, v14, v2
	;; [unrolled: 1-line block ×3, first 2 shown]
	v_lshlrev_b32_e32 v15, 4, v11
	v_bitop3_b32 v12, v12, s0, 0x3fc bitop3:0x6c
	ds_add_u32 v3, v17
	ds_add_u32 v13, v17 offset:4096
	ds_add_u32 v14, v17 offset:8192
	v_dual_lshrrev_b32 v13, 4, v11 :: v_dual_lshrrev_b32 v14, 12, v11
	v_lshrrev_b32_e32 v11, 22, v11
	v_lshl_or_b32 v3, v12, 2, v2
	v_and_or_b32 v12, 0xff0, v15, v2
	ds_add_u32 v3, v17 offset:12288
	ds_add_u32 v12, v17
	v_and_or_b32 v3, 0xff0, v13, v2
	v_lshlrev_b32_e32 v13, 4, v10
	v_bitop3_b32 v11, v11, s0, 0x3fc bitop3:0x6c
	v_and_or_b32 v12, 0xff0, v14, v2
	v_lshrrev_b32_e32 v14, 4, v10
	ds_add_u32 v3, v17 offset:4096
	ds_add_u32 v12, v17 offset:8192
	v_lshl_or_b32 v3, v11, 2, v2
	v_and_or_b32 v11, 0xff0, v13, v2
	v_dual_lshrrev_b32 v13, 12, v10 :: v_dual_lshrrev_b32 v10, 22, v10
	v_and_or_b32 v12, 0xff0, v14, v2
	ds_add_u32 v3, v17 offset:12288
	ds_add_u32 v11, v17
	ds_add_u32 v12, v17 offset:4096
	v_and_or_b32 v3, 0xff0, v13, v2
	v_lshlrev_b32_e32 v11, 4, v9
	v_bitop3_b32 v10, v10, s0, 0x3fc bitop3:0x6c
	v_dual_lshrrev_b32 v12, 4, v9 :: v_dual_lshrrev_b32 v13, 12, v9
	ds_add_u32 v3, v17 offset:8192
	v_lshrrev_b32_e32 v9, 22, v9
	v_lshl_or_b32 v3, v10, 2, v2
	v_and_or_b32 v10, 0xff0, v11, v2
	v_and_or_b32 v11, 0xff0, v12, v2
	;; [unrolled: 1-line block ×3, first 2 shown]
	ds_add_u32 v3, v17 offset:12288
	ds_add_u32 v10, v17
	ds_add_u32 v11, v17 offset:4096
	ds_add_u32 v12, v17 offset:8192
	v_lshrrev_b32_e32 v10, 4, v8
	v_bitop3_b32 v3, v9, s0, 0x3fc bitop3:0x6c
	v_dual_lshlrev_b32 v9, 4, v8 :: v_dual_lshrrev_b32 v11, 12, v8
	v_lshrrev_b32_e32 v8, 22, v8
	s_delay_alu instid0(VALU_DEP_4) | instskip(NEXT) | instid1(VALU_DEP_4)
	v_and_or_b32 v10, 0xff0, v10, v2
	v_lshl_or_b32 v3, v3, 2, v2
	s_delay_alu instid0(VALU_DEP_4)
	v_and_or_b32 v9, 0xff0, v9, v2
	v_and_or_b32 v11, 0xff0, v11, v2
	ds_add_u32 v3, v17 offset:12288
	ds_add_u32 v9, v17
	ds_add_u32 v10, v17 offset:4096
	ds_add_u32 v11, v17 offset:8192
	v_lshrrev_b32_e32 v9, 4, v7
	v_bitop3_b32 v8, v8, s0, 0x3fc bitop3:0x6c
	v_lshrrev_b32_e32 v10, 12, v7
	s_delay_alu instid0(VALU_DEP_2)
	v_lshl_or_b32 v3, v8, 2, v2
	v_dual_lshlrev_b32 v8, 4, v7 :: v_dual_lshrrev_b32 v7, 22, v7
	ds_add_u32 v3, v17 offset:12288
	v_and_or_b32 v3, 0xff0, v8, v2
	v_and_or_b32 v8, 0xff0, v9, v2
	;; [unrolled: 1-line block ×3, first 2 shown]
	v_lshlrev_b32_e32 v10, 4, v6
	v_bitop3_b32 v7, v7, s0, 0x3fc bitop3:0x6c
	ds_add_u32 v3, v17
	ds_add_u32 v8, v17 offset:4096
	ds_add_u32 v9, v17 offset:8192
	v_dual_lshrrev_b32 v8, 4, v6 :: v_dual_lshrrev_b32 v9, 12, v6
	v_lshrrev_b32_e32 v6, 22, v6
	v_lshl_or_b32 v3, v7, 2, v2
	v_and_or_b32 v7, 0xff0, v10, v2
	ds_add_u32 v3, v17 offset:12288
	ds_add_u32 v7, v17
	v_and_or_b32 v3, 0xff0, v8, v2
	v_lshlrev_b32_e32 v8, 4, v5
	v_bitop3_b32 v6, v6, s0, 0x3fc bitop3:0x6c
	v_and_or_b32 v7, 0xff0, v9, v2
	v_lshrrev_b32_e32 v9, 4, v5
	ds_add_u32 v3, v17 offset:4096
	ds_add_u32 v7, v17 offset:8192
	v_lshl_or_b32 v3, v6, 2, v2
	v_and_or_b32 v6, 0xff0, v8, v2
	v_lshrrev_b32_e32 v8, 22, v5
	v_and_or_b32 v7, 0xff0, v9, v2
	v_lshrrev_b32_e32 v5, 12, v5
	ds_add_u32 v3, v17 offset:12288
	ds_add_u32 v6, v17
	ds_add_u32 v7, v17 offset:4096
	v_bitop3_b32 v3, v8, s0, 0x3fc bitop3:0x6c
	v_lshlrev_b32_e32 v6, 4, v4
	v_and_or_b32 v5, 0xff0, v5, v2
	v_dual_lshrrev_b32 v7, 4, v4 :: v_dual_lshrrev_b32 v8, 12, v4
	s_delay_alu instid0(VALU_DEP_4)
	v_lshl_or_b32 v3, v3, 2, v2
	ds_add_u32 v5, v17 offset:8192
	v_and_or_b32 v5, 0xff0, v6, v2
	v_and_or_b32 v6, 0xff0, v7, v2
	ds_add_u32 v3, v17 offset:12288
	v_dual_lshrrev_b32 v3, 22, v4 :: v_dual_lshrrev_b32 v4, 22, v1
	v_and_or_b32 v7, 0xff0, v8, v2
	ds_add_u32 v5, v17
	ds_add_u32 v6, v17 offset:4096
	ds_add_u32 v7, v17 offset:8192
	v_bitop3_b32 v3, v3, s0, 0x3fc bitop3:0x6c
	v_dual_lshlrev_b32 v5, 4, v1 :: v_dual_lshrrev_b32 v6, 4, v1
	v_lshrrev_b32_e32 v1, 12, v1
	v_bitop3_b32 v4, v4, s0, 0x3fc bitop3:0x6c
	s_delay_alu instid0(VALU_DEP_4) | instskip(NEXT) | instid1(VALU_DEP_4)
	v_lshl_or_b32 v3, v3, 2, v2
	v_and_or_b32 v5, 0xff0, v5, v2
	v_and_or_b32 v6, 0xff0, v6, v2
	v_and_or_b32 v1, 0xff0, v1, v2
	v_lshl_or_b32 v2, v4, 2, v2
	ds_add_u32 v3, v17 offset:12288
	ds_add_u32 v5, v17
	ds_add_u32 v6, v17 offset:4096
	ds_add_u32 v1, v17 offset:8192
	ds_add_u32 v2, v17 offset:12288
	s_wait_dscnt 0x0
	s_barrier_signal -1
	s_barrier_wait -1
	s_mov_b32 s0, exec_lo
	v_cmpx_gt_u32_e32 0x100, v0
	s_cbranch_execz .LBB942_343
; %bb.342:
	v_lshlrev_b32_e32 v1, 4, v0
	ds_load_2addr_b32 v[2:3], v1 offset1:1
	ds_load_2addr_b32 v[4:5], v1 offset0:2 offset1:3
	s_wait_dscnt 0x1
	v_dual_mov_b32 v3, 0 :: v_dual_add_nc_u32 v2, v3, v2
	v_add_nc_u32_e32 v6, 0x1008, v1
	s_wait_dscnt 0x0
	s_delay_alu instid0(VALU_DEP_2)
	v_add3_u32 v2, v2, v4, v5
	v_add_nc_u32_e32 v4, 0x1000, v1
	global_atomic_add_u64 v0, v[2:3], s[6:7] scale_offset scope:SCOPE_DEV
	ds_load_2addr_b32 v[4:5], v4 offset1:1
	ds_load_2addr_b32 v[6:7], v6 offset1:1
	s_wait_dscnt 0x1
	s_wait_xcnt 0x0
	v_add_nc_u32_e32 v2, v5, v4
	v_or_b32_e32 v4, 0x2000, v1
	s_wait_dscnt 0x0
	s_delay_alu instid0(VALU_DEP_2)
	v_add3_u32 v2, v2, v6, v7
	v_or_b32_e32 v6, 0x2008, v1
	global_atomic_add_u64 v0, v[2:3], s[6:7] offset:2048 scale_offset scope:SCOPE_DEV
	ds_load_2addr_b32 v[4:5], v4 offset1:1
	ds_load_2addr_b32 v[6:7], v6 offset1:1
	s_wait_dscnt 0x1
	s_wait_xcnt 0x0
	v_add_nc_u32_e32 v2, v5, v4
	v_add_nc_u32_e32 v4, 0x3000, v1
	v_add_nc_u32_e32 v1, 0x3008, v1
	s_wait_dscnt 0x0
	s_delay_alu instid0(VALU_DEP_3)
	v_add3_u32 v2, v2, v6, v7
	global_atomic_add_u64 v0, v[2:3], s[6:7] offset:4096 scale_offset scope:SCOPE_DEV
	ds_load_2addr_b32 v[4:5], v4 offset1:1
	ds_load_2addr_b32 v[6:7], v1 offset1:1
	s_wait_dscnt 0x1
	v_add_nc_u32_e32 v1, v5, v4
	s_wait_dscnt 0x0
	s_wait_xcnt 0x0
	s_delay_alu instid0(VALU_DEP_1)
	v_add3_u32 v2, v1, v6, v7
	global_atomic_add_u64 v0, v[2:3], s[6:7] offset:6144 scale_offset scope:SCOPE_DEV
.LBB942_343:
	s_endpgm
	.section	.rodata,"a",@progbits
	.p2align	6, 0x0
	.amdhsa_kernel _ZN7rocprim17ROCPRIM_400000_NS6detail17trampoline_kernelINS0_14default_configENS1_35radix_sort_onesweep_config_selectorIiNS0_10empty_typeEEEZNS1_34radix_sort_onesweep_global_offsetsIS3_Lb0EPKiPS5_mNS0_19identity_decomposerEEE10hipError_tT1_T2_PT3_SF_jT4_jjP12ihipStream_tbEUlT_E_NS1_11comp_targetILNS1_3genE0ELNS1_11target_archE4294967295ELNS1_3gpuE0ELNS1_3repE0EEENS1_52radix_sort_onesweep_histogram_config_static_selectorELNS0_4arch9wavefront6targetE0EEEvSD_
		.amdhsa_group_segment_fixed_size 16384
		.amdhsa_private_segment_fixed_size 0
		.amdhsa_kernarg_size 48
		.amdhsa_user_sgpr_count 2
		.amdhsa_user_sgpr_dispatch_ptr 0
		.amdhsa_user_sgpr_queue_ptr 0
		.amdhsa_user_sgpr_kernarg_segment_ptr 1
		.amdhsa_user_sgpr_dispatch_id 0
		.amdhsa_user_sgpr_kernarg_preload_length 0
		.amdhsa_user_sgpr_kernarg_preload_offset 0
		.amdhsa_user_sgpr_private_segment_size 0
		.amdhsa_wavefront_size32 1
		.amdhsa_uses_dynamic_stack 0
		.amdhsa_enable_private_segment 0
		.amdhsa_system_sgpr_workgroup_id_x 1
		.amdhsa_system_sgpr_workgroup_id_y 0
		.amdhsa_system_sgpr_workgroup_id_z 0
		.amdhsa_system_sgpr_workgroup_info 0
		.amdhsa_system_vgpr_workitem_id 0
		.amdhsa_next_free_vgpr 28
		.amdhsa_next_free_sgpr 13
		.amdhsa_named_barrier_count 0
		.amdhsa_reserve_vcc 1
		.amdhsa_float_round_mode_32 0
		.amdhsa_float_round_mode_16_64 0
		.amdhsa_float_denorm_mode_32 3
		.amdhsa_float_denorm_mode_16_64 3
		.amdhsa_fp16_overflow 0
		.amdhsa_memory_ordered 1
		.amdhsa_forward_progress 1
		.amdhsa_inst_pref_size 100
		.amdhsa_round_robin_scheduling 0
		.amdhsa_exception_fp_ieee_invalid_op 0
		.amdhsa_exception_fp_denorm_src 0
		.amdhsa_exception_fp_ieee_div_zero 0
		.amdhsa_exception_fp_ieee_overflow 0
		.amdhsa_exception_fp_ieee_underflow 0
		.amdhsa_exception_fp_ieee_inexact 0
		.amdhsa_exception_int_div_zero 0
	.end_amdhsa_kernel
	.section	.text._ZN7rocprim17ROCPRIM_400000_NS6detail17trampoline_kernelINS0_14default_configENS1_35radix_sort_onesweep_config_selectorIiNS0_10empty_typeEEEZNS1_34radix_sort_onesweep_global_offsetsIS3_Lb0EPKiPS5_mNS0_19identity_decomposerEEE10hipError_tT1_T2_PT3_SF_jT4_jjP12ihipStream_tbEUlT_E_NS1_11comp_targetILNS1_3genE0ELNS1_11target_archE4294967295ELNS1_3gpuE0ELNS1_3repE0EEENS1_52radix_sort_onesweep_histogram_config_static_selectorELNS0_4arch9wavefront6targetE0EEEvSD_,"axG",@progbits,_ZN7rocprim17ROCPRIM_400000_NS6detail17trampoline_kernelINS0_14default_configENS1_35radix_sort_onesweep_config_selectorIiNS0_10empty_typeEEEZNS1_34radix_sort_onesweep_global_offsetsIS3_Lb0EPKiPS5_mNS0_19identity_decomposerEEE10hipError_tT1_T2_PT3_SF_jT4_jjP12ihipStream_tbEUlT_E_NS1_11comp_targetILNS1_3genE0ELNS1_11target_archE4294967295ELNS1_3gpuE0ELNS1_3repE0EEENS1_52radix_sort_onesweep_histogram_config_static_selectorELNS0_4arch9wavefront6targetE0EEEvSD_,comdat
.Lfunc_end942:
	.size	_ZN7rocprim17ROCPRIM_400000_NS6detail17trampoline_kernelINS0_14default_configENS1_35radix_sort_onesweep_config_selectorIiNS0_10empty_typeEEEZNS1_34radix_sort_onesweep_global_offsetsIS3_Lb0EPKiPS5_mNS0_19identity_decomposerEEE10hipError_tT1_T2_PT3_SF_jT4_jjP12ihipStream_tbEUlT_E_NS1_11comp_targetILNS1_3genE0ELNS1_11target_archE4294967295ELNS1_3gpuE0ELNS1_3repE0EEENS1_52radix_sort_onesweep_histogram_config_static_selectorELNS0_4arch9wavefront6targetE0EEEvSD_, .Lfunc_end942-_ZN7rocprim17ROCPRIM_400000_NS6detail17trampoline_kernelINS0_14default_configENS1_35radix_sort_onesweep_config_selectorIiNS0_10empty_typeEEEZNS1_34radix_sort_onesweep_global_offsetsIS3_Lb0EPKiPS5_mNS0_19identity_decomposerEEE10hipError_tT1_T2_PT3_SF_jT4_jjP12ihipStream_tbEUlT_E_NS1_11comp_targetILNS1_3genE0ELNS1_11target_archE4294967295ELNS1_3gpuE0ELNS1_3repE0EEENS1_52radix_sort_onesweep_histogram_config_static_selectorELNS0_4arch9wavefront6targetE0EEEvSD_
                                        ; -- End function
	.set _ZN7rocprim17ROCPRIM_400000_NS6detail17trampoline_kernelINS0_14default_configENS1_35radix_sort_onesweep_config_selectorIiNS0_10empty_typeEEEZNS1_34radix_sort_onesweep_global_offsetsIS3_Lb0EPKiPS5_mNS0_19identity_decomposerEEE10hipError_tT1_T2_PT3_SF_jT4_jjP12ihipStream_tbEUlT_E_NS1_11comp_targetILNS1_3genE0ELNS1_11target_archE4294967295ELNS1_3gpuE0ELNS1_3repE0EEENS1_52radix_sort_onesweep_histogram_config_static_selectorELNS0_4arch9wavefront6targetE0EEEvSD_.num_vgpr, 28
	.set _ZN7rocprim17ROCPRIM_400000_NS6detail17trampoline_kernelINS0_14default_configENS1_35radix_sort_onesweep_config_selectorIiNS0_10empty_typeEEEZNS1_34radix_sort_onesweep_global_offsetsIS3_Lb0EPKiPS5_mNS0_19identity_decomposerEEE10hipError_tT1_T2_PT3_SF_jT4_jjP12ihipStream_tbEUlT_E_NS1_11comp_targetILNS1_3genE0ELNS1_11target_archE4294967295ELNS1_3gpuE0ELNS1_3repE0EEENS1_52radix_sort_onesweep_histogram_config_static_selectorELNS0_4arch9wavefront6targetE0EEEvSD_.num_agpr, 0
	.set _ZN7rocprim17ROCPRIM_400000_NS6detail17trampoline_kernelINS0_14default_configENS1_35radix_sort_onesweep_config_selectorIiNS0_10empty_typeEEEZNS1_34radix_sort_onesweep_global_offsetsIS3_Lb0EPKiPS5_mNS0_19identity_decomposerEEE10hipError_tT1_T2_PT3_SF_jT4_jjP12ihipStream_tbEUlT_E_NS1_11comp_targetILNS1_3genE0ELNS1_11target_archE4294967295ELNS1_3gpuE0ELNS1_3repE0EEENS1_52radix_sort_onesweep_histogram_config_static_selectorELNS0_4arch9wavefront6targetE0EEEvSD_.numbered_sgpr, 13
	.set _ZN7rocprim17ROCPRIM_400000_NS6detail17trampoline_kernelINS0_14default_configENS1_35radix_sort_onesweep_config_selectorIiNS0_10empty_typeEEEZNS1_34radix_sort_onesweep_global_offsetsIS3_Lb0EPKiPS5_mNS0_19identity_decomposerEEE10hipError_tT1_T2_PT3_SF_jT4_jjP12ihipStream_tbEUlT_E_NS1_11comp_targetILNS1_3genE0ELNS1_11target_archE4294967295ELNS1_3gpuE0ELNS1_3repE0EEENS1_52radix_sort_onesweep_histogram_config_static_selectorELNS0_4arch9wavefront6targetE0EEEvSD_.num_named_barrier, 0
	.set _ZN7rocprim17ROCPRIM_400000_NS6detail17trampoline_kernelINS0_14default_configENS1_35radix_sort_onesweep_config_selectorIiNS0_10empty_typeEEEZNS1_34radix_sort_onesweep_global_offsetsIS3_Lb0EPKiPS5_mNS0_19identity_decomposerEEE10hipError_tT1_T2_PT3_SF_jT4_jjP12ihipStream_tbEUlT_E_NS1_11comp_targetILNS1_3genE0ELNS1_11target_archE4294967295ELNS1_3gpuE0ELNS1_3repE0EEENS1_52radix_sort_onesweep_histogram_config_static_selectorELNS0_4arch9wavefront6targetE0EEEvSD_.private_seg_size, 0
	.set _ZN7rocprim17ROCPRIM_400000_NS6detail17trampoline_kernelINS0_14default_configENS1_35radix_sort_onesweep_config_selectorIiNS0_10empty_typeEEEZNS1_34radix_sort_onesweep_global_offsetsIS3_Lb0EPKiPS5_mNS0_19identity_decomposerEEE10hipError_tT1_T2_PT3_SF_jT4_jjP12ihipStream_tbEUlT_E_NS1_11comp_targetILNS1_3genE0ELNS1_11target_archE4294967295ELNS1_3gpuE0ELNS1_3repE0EEENS1_52radix_sort_onesweep_histogram_config_static_selectorELNS0_4arch9wavefront6targetE0EEEvSD_.uses_vcc, 1
	.set _ZN7rocprim17ROCPRIM_400000_NS6detail17trampoline_kernelINS0_14default_configENS1_35radix_sort_onesweep_config_selectorIiNS0_10empty_typeEEEZNS1_34radix_sort_onesweep_global_offsetsIS3_Lb0EPKiPS5_mNS0_19identity_decomposerEEE10hipError_tT1_T2_PT3_SF_jT4_jjP12ihipStream_tbEUlT_E_NS1_11comp_targetILNS1_3genE0ELNS1_11target_archE4294967295ELNS1_3gpuE0ELNS1_3repE0EEENS1_52radix_sort_onesweep_histogram_config_static_selectorELNS0_4arch9wavefront6targetE0EEEvSD_.uses_flat_scratch, 0
	.set _ZN7rocprim17ROCPRIM_400000_NS6detail17trampoline_kernelINS0_14default_configENS1_35radix_sort_onesweep_config_selectorIiNS0_10empty_typeEEEZNS1_34radix_sort_onesweep_global_offsetsIS3_Lb0EPKiPS5_mNS0_19identity_decomposerEEE10hipError_tT1_T2_PT3_SF_jT4_jjP12ihipStream_tbEUlT_E_NS1_11comp_targetILNS1_3genE0ELNS1_11target_archE4294967295ELNS1_3gpuE0ELNS1_3repE0EEENS1_52radix_sort_onesweep_histogram_config_static_selectorELNS0_4arch9wavefront6targetE0EEEvSD_.has_dyn_sized_stack, 0
	.set _ZN7rocprim17ROCPRIM_400000_NS6detail17trampoline_kernelINS0_14default_configENS1_35radix_sort_onesweep_config_selectorIiNS0_10empty_typeEEEZNS1_34radix_sort_onesweep_global_offsetsIS3_Lb0EPKiPS5_mNS0_19identity_decomposerEEE10hipError_tT1_T2_PT3_SF_jT4_jjP12ihipStream_tbEUlT_E_NS1_11comp_targetILNS1_3genE0ELNS1_11target_archE4294967295ELNS1_3gpuE0ELNS1_3repE0EEENS1_52radix_sort_onesweep_histogram_config_static_selectorELNS0_4arch9wavefront6targetE0EEEvSD_.has_recursion, 0
	.set _ZN7rocprim17ROCPRIM_400000_NS6detail17trampoline_kernelINS0_14default_configENS1_35radix_sort_onesweep_config_selectorIiNS0_10empty_typeEEEZNS1_34radix_sort_onesweep_global_offsetsIS3_Lb0EPKiPS5_mNS0_19identity_decomposerEEE10hipError_tT1_T2_PT3_SF_jT4_jjP12ihipStream_tbEUlT_E_NS1_11comp_targetILNS1_3genE0ELNS1_11target_archE4294967295ELNS1_3gpuE0ELNS1_3repE0EEENS1_52radix_sort_onesweep_histogram_config_static_selectorELNS0_4arch9wavefront6targetE0EEEvSD_.has_indirect_call, 0
	.section	.AMDGPU.csdata,"",@progbits
; Kernel info:
; codeLenInByte = 12792
; TotalNumSgprs: 15
; NumVgprs: 28
; ScratchSize: 0
; MemoryBound: 0
; FloatMode: 240
; IeeeMode: 1
; LDSByteSize: 16384 bytes/workgroup (compile time only)
; SGPRBlocks: 0
; VGPRBlocks: 1
; NumSGPRsForWavesPerEU: 15
; NumVGPRsForWavesPerEU: 28
; NamedBarCnt: 0
; Occupancy: 16
; WaveLimiterHint : 1
; COMPUTE_PGM_RSRC2:SCRATCH_EN: 0
; COMPUTE_PGM_RSRC2:USER_SGPR: 2
; COMPUTE_PGM_RSRC2:TRAP_HANDLER: 0
; COMPUTE_PGM_RSRC2:TGID_X_EN: 1
; COMPUTE_PGM_RSRC2:TGID_Y_EN: 0
; COMPUTE_PGM_RSRC2:TGID_Z_EN: 0
; COMPUTE_PGM_RSRC2:TIDIG_COMP_CNT: 0
	.section	.text._ZN7rocprim17ROCPRIM_400000_NS6detail17trampoline_kernelINS0_14default_configENS1_35radix_sort_onesweep_config_selectorIiNS0_10empty_typeEEEZNS1_34radix_sort_onesweep_global_offsetsIS3_Lb0EPKiPS5_mNS0_19identity_decomposerEEE10hipError_tT1_T2_PT3_SF_jT4_jjP12ihipStream_tbEUlT_E_NS1_11comp_targetILNS1_3genE6ELNS1_11target_archE950ELNS1_3gpuE13ELNS1_3repE0EEENS1_52radix_sort_onesweep_histogram_config_static_selectorELNS0_4arch9wavefront6targetE0EEEvSD_,"axG",@progbits,_ZN7rocprim17ROCPRIM_400000_NS6detail17trampoline_kernelINS0_14default_configENS1_35radix_sort_onesweep_config_selectorIiNS0_10empty_typeEEEZNS1_34radix_sort_onesweep_global_offsetsIS3_Lb0EPKiPS5_mNS0_19identity_decomposerEEE10hipError_tT1_T2_PT3_SF_jT4_jjP12ihipStream_tbEUlT_E_NS1_11comp_targetILNS1_3genE6ELNS1_11target_archE950ELNS1_3gpuE13ELNS1_3repE0EEENS1_52radix_sort_onesweep_histogram_config_static_selectorELNS0_4arch9wavefront6targetE0EEEvSD_,comdat
	.protected	_ZN7rocprim17ROCPRIM_400000_NS6detail17trampoline_kernelINS0_14default_configENS1_35radix_sort_onesweep_config_selectorIiNS0_10empty_typeEEEZNS1_34radix_sort_onesweep_global_offsetsIS3_Lb0EPKiPS5_mNS0_19identity_decomposerEEE10hipError_tT1_T2_PT3_SF_jT4_jjP12ihipStream_tbEUlT_E_NS1_11comp_targetILNS1_3genE6ELNS1_11target_archE950ELNS1_3gpuE13ELNS1_3repE0EEENS1_52radix_sort_onesweep_histogram_config_static_selectorELNS0_4arch9wavefront6targetE0EEEvSD_ ; -- Begin function _ZN7rocprim17ROCPRIM_400000_NS6detail17trampoline_kernelINS0_14default_configENS1_35radix_sort_onesweep_config_selectorIiNS0_10empty_typeEEEZNS1_34radix_sort_onesweep_global_offsetsIS3_Lb0EPKiPS5_mNS0_19identity_decomposerEEE10hipError_tT1_T2_PT3_SF_jT4_jjP12ihipStream_tbEUlT_E_NS1_11comp_targetILNS1_3genE6ELNS1_11target_archE950ELNS1_3gpuE13ELNS1_3repE0EEENS1_52radix_sort_onesweep_histogram_config_static_selectorELNS0_4arch9wavefront6targetE0EEEvSD_
	.globl	_ZN7rocprim17ROCPRIM_400000_NS6detail17trampoline_kernelINS0_14default_configENS1_35radix_sort_onesweep_config_selectorIiNS0_10empty_typeEEEZNS1_34radix_sort_onesweep_global_offsetsIS3_Lb0EPKiPS5_mNS0_19identity_decomposerEEE10hipError_tT1_T2_PT3_SF_jT4_jjP12ihipStream_tbEUlT_E_NS1_11comp_targetILNS1_3genE6ELNS1_11target_archE950ELNS1_3gpuE13ELNS1_3repE0EEENS1_52radix_sort_onesweep_histogram_config_static_selectorELNS0_4arch9wavefront6targetE0EEEvSD_
	.p2align	8
	.type	_ZN7rocprim17ROCPRIM_400000_NS6detail17trampoline_kernelINS0_14default_configENS1_35radix_sort_onesweep_config_selectorIiNS0_10empty_typeEEEZNS1_34radix_sort_onesweep_global_offsetsIS3_Lb0EPKiPS5_mNS0_19identity_decomposerEEE10hipError_tT1_T2_PT3_SF_jT4_jjP12ihipStream_tbEUlT_E_NS1_11comp_targetILNS1_3genE6ELNS1_11target_archE950ELNS1_3gpuE13ELNS1_3repE0EEENS1_52radix_sort_onesweep_histogram_config_static_selectorELNS0_4arch9wavefront6targetE0EEEvSD_,@function
_ZN7rocprim17ROCPRIM_400000_NS6detail17trampoline_kernelINS0_14default_configENS1_35radix_sort_onesweep_config_selectorIiNS0_10empty_typeEEEZNS1_34radix_sort_onesweep_global_offsetsIS3_Lb0EPKiPS5_mNS0_19identity_decomposerEEE10hipError_tT1_T2_PT3_SF_jT4_jjP12ihipStream_tbEUlT_E_NS1_11comp_targetILNS1_3genE6ELNS1_11target_archE950ELNS1_3gpuE13ELNS1_3repE0EEENS1_52radix_sort_onesweep_histogram_config_static_selectorELNS0_4arch9wavefront6targetE0EEEvSD_: ; @_ZN7rocprim17ROCPRIM_400000_NS6detail17trampoline_kernelINS0_14default_configENS1_35radix_sort_onesweep_config_selectorIiNS0_10empty_typeEEEZNS1_34radix_sort_onesweep_global_offsetsIS3_Lb0EPKiPS5_mNS0_19identity_decomposerEEE10hipError_tT1_T2_PT3_SF_jT4_jjP12ihipStream_tbEUlT_E_NS1_11comp_targetILNS1_3genE6ELNS1_11target_archE950ELNS1_3gpuE13ELNS1_3repE0EEENS1_52radix_sort_onesweep_histogram_config_static_selectorELNS0_4arch9wavefront6targetE0EEEvSD_
; %bb.0:
	.section	.rodata,"a",@progbits
	.p2align	6, 0x0
	.amdhsa_kernel _ZN7rocprim17ROCPRIM_400000_NS6detail17trampoline_kernelINS0_14default_configENS1_35radix_sort_onesweep_config_selectorIiNS0_10empty_typeEEEZNS1_34radix_sort_onesweep_global_offsetsIS3_Lb0EPKiPS5_mNS0_19identity_decomposerEEE10hipError_tT1_T2_PT3_SF_jT4_jjP12ihipStream_tbEUlT_E_NS1_11comp_targetILNS1_3genE6ELNS1_11target_archE950ELNS1_3gpuE13ELNS1_3repE0EEENS1_52radix_sort_onesweep_histogram_config_static_selectorELNS0_4arch9wavefront6targetE0EEEvSD_
		.amdhsa_group_segment_fixed_size 0
		.amdhsa_private_segment_fixed_size 0
		.amdhsa_kernarg_size 48
		.amdhsa_user_sgpr_count 2
		.amdhsa_user_sgpr_dispatch_ptr 0
		.amdhsa_user_sgpr_queue_ptr 0
		.amdhsa_user_sgpr_kernarg_segment_ptr 1
		.amdhsa_user_sgpr_dispatch_id 0
		.amdhsa_user_sgpr_kernarg_preload_length 0
		.amdhsa_user_sgpr_kernarg_preload_offset 0
		.amdhsa_user_sgpr_private_segment_size 0
		.amdhsa_wavefront_size32 1
		.amdhsa_uses_dynamic_stack 0
		.amdhsa_enable_private_segment 0
		.amdhsa_system_sgpr_workgroup_id_x 1
		.amdhsa_system_sgpr_workgroup_id_y 0
		.amdhsa_system_sgpr_workgroup_id_z 0
		.amdhsa_system_sgpr_workgroup_info 0
		.amdhsa_system_vgpr_workitem_id 0
		.amdhsa_next_free_vgpr 1
		.amdhsa_next_free_sgpr 1
		.amdhsa_named_barrier_count 0
		.amdhsa_reserve_vcc 0
		.amdhsa_float_round_mode_32 0
		.amdhsa_float_round_mode_16_64 0
		.amdhsa_float_denorm_mode_32 3
		.amdhsa_float_denorm_mode_16_64 3
		.amdhsa_fp16_overflow 0
		.amdhsa_memory_ordered 1
		.amdhsa_forward_progress 1
		.amdhsa_inst_pref_size 0
		.amdhsa_round_robin_scheduling 0
		.amdhsa_exception_fp_ieee_invalid_op 0
		.amdhsa_exception_fp_denorm_src 0
		.amdhsa_exception_fp_ieee_div_zero 0
		.amdhsa_exception_fp_ieee_overflow 0
		.amdhsa_exception_fp_ieee_underflow 0
		.amdhsa_exception_fp_ieee_inexact 0
		.amdhsa_exception_int_div_zero 0
	.end_amdhsa_kernel
	.section	.text._ZN7rocprim17ROCPRIM_400000_NS6detail17trampoline_kernelINS0_14default_configENS1_35radix_sort_onesweep_config_selectorIiNS0_10empty_typeEEEZNS1_34radix_sort_onesweep_global_offsetsIS3_Lb0EPKiPS5_mNS0_19identity_decomposerEEE10hipError_tT1_T2_PT3_SF_jT4_jjP12ihipStream_tbEUlT_E_NS1_11comp_targetILNS1_3genE6ELNS1_11target_archE950ELNS1_3gpuE13ELNS1_3repE0EEENS1_52radix_sort_onesweep_histogram_config_static_selectorELNS0_4arch9wavefront6targetE0EEEvSD_,"axG",@progbits,_ZN7rocprim17ROCPRIM_400000_NS6detail17trampoline_kernelINS0_14default_configENS1_35radix_sort_onesweep_config_selectorIiNS0_10empty_typeEEEZNS1_34radix_sort_onesweep_global_offsetsIS3_Lb0EPKiPS5_mNS0_19identity_decomposerEEE10hipError_tT1_T2_PT3_SF_jT4_jjP12ihipStream_tbEUlT_E_NS1_11comp_targetILNS1_3genE6ELNS1_11target_archE950ELNS1_3gpuE13ELNS1_3repE0EEENS1_52radix_sort_onesweep_histogram_config_static_selectorELNS0_4arch9wavefront6targetE0EEEvSD_,comdat
.Lfunc_end943:
	.size	_ZN7rocprim17ROCPRIM_400000_NS6detail17trampoline_kernelINS0_14default_configENS1_35radix_sort_onesweep_config_selectorIiNS0_10empty_typeEEEZNS1_34radix_sort_onesweep_global_offsetsIS3_Lb0EPKiPS5_mNS0_19identity_decomposerEEE10hipError_tT1_T2_PT3_SF_jT4_jjP12ihipStream_tbEUlT_E_NS1_11comp_targetILNS1_3genE6ELNS1_11target_archE950ELNS1_3gpuE13ELNS1_3repE0EEENS1_52radix_sort_onesweep_histogram_config_static_selectorELNS0_4arch9wavefront6targetE0EEEvSD_, .Lfunc_end943-_ZN7rocprim17ROCPRIM_400000_NS6detail17trampoline_kernelINS0_14default_configENS1_35radix_sort_onesweep_config_selectorIiNS0_10empty_typeEEEZNS1_34radix_sort_onesweep_global_offsetsIS3_Lb0EPKiPS5_mNS0_19identity_decomposerEEE10hipError_tT1_T2_PT3_SF_jT4_jjP12ihipStream_tbEUlT_E_NS1_11comp_targetILNS1_3genE6ELNS1_11target_archE950ELNS1_3gpuE13ELNS1_3repE0EEENS1_52radix_sort_onesweep_histogram_config_static_selectorELNS0_4arch9wavefront6targetE0EEEvSD_
                                        ; -- End function
	.set _ZN7rocprim17ROCPRIM_400000_NS6detail17trampoline_kernelINS0_14default_configENS1_35radix_sort_onesweep_config_selectorIiNS0_10empty_typeEEEZNS1_34radix_sort_onesweep_global_offsetsIS3_Lb0EPKiPS5_mNS0_19identity_decomposerEEE10hipError_tT1_T2_PT3_SF_jT4_jjP12ihipStream_tbEUlT_E_NS1_11comp_targetILNS1_3genE6ELNS1_11target_archE950ELNS1_3gpuE13ELNS1_3repE0EEENS1_52radix_sort_onesweep_histogram_config_static_selectorELNS0_4arch9wavefront6targetE0EEEvSD_.num_vgpr, 0
	.set _ZN7rocprim17ROCPRIM_400000_NS6detail17trampoline_kernelINS0_14default_configENS1_35radix_sort_onesweep_config_selectorIiNS0_10empty_typeEEEZNS1_34radix_sort_onesweep_global_offsetsIS3_Lb0EPKiPS5_mNS0_19identity_decomposerEEE10hipError_tT1_T2_PT3_SF_jT4_jjP12ihipStream_tbEUlT_E_NS1_11comp_targetILNS1_3genE6ELNS1_11target_archE950ELNS1_3gpuE13ELNS1_3repE0EEENS1_52radix_sort_onesweep_histogram_config_static_selectorELNS0_4arch9wavefront6targetE0EEEvSD_.num_agpr, 0
	.set _ZN7rocprim17ROCPRIM_400000_NS6detail17trampoline_kernelINS0_14default_configENS1_35radix_sort_onesweep_config_selectorIiNS0_10empty_typeEEEZNS1_34radix_sort_onesweep_global_offsetsIS3_Lb0EPKiPS5_mNS0_19identity_decomposerEEE10hipError_tT1_T2_PT3_SF_jT4_jjP12ihipStream_tbEUlT_E_NS1_11comp_targetILNS1_3genE6ELNS1_11target_archE950ELNS1_3gpuE13ELNS1_3repE0EEENS1_52radix_sort_onesweep_histogram_config_static_selectorELNS0_4arch9wavefront6targetE0EEEvSD_.numbered_sgpr, 0
	.set _ZN7rocprim17ROCPRIM_400000_NS6detail17trampoline_kernelINS0_14default_configENS1_35radix_sort_onesweep_config_selectorIiNS0_10empty_typeEEEZNS1_34radix_sort_onesweep_global_offsetsIS3_Lb0EPKiPS5_mNS0_19identity_decomposerEEE10hipError_tT1_T2_PT3_SF_jT4_jjP12ihipStream_tbEUlT_E_NS1_11comp_targetILNS1_3genE6ELNS1_11target_archE950ELNS1_3gpuE13ELNS1_3repE0EEENS1_52radix_sort_onesweep_histogram_config_static_selectorELNS0_4arch9wavefront6targetE0EEEvSD_.num_named_barrier, 0
	.set _ZN7rocprim17ROCPRIM_400000_NS6detail17trampoline_kernelINS0_14default_configENS1_35radix_sort_onesweep_config_selectorIiNS0_10empty_typeEEEZNS1_34radix_sort_onesweep_global_offsetsIS3_Lb0EPKiPS5_mNS0_19identity_decomposerEEE10hipError_tT1_T2_PT3_SF_jT4_jjP12ihipStream_tbEUlT_E_NS1_11comp_targetILNS1_3genE6ELNS1_11target_archE950ELNS1_3gpuE13ELNS1_3repE0EEENS1_52radix_sort_onesweep_histogram_config_static_selectorELNS0_4arch9wavefront6targetE0EEEvSD_.private_seg_size, 0
	.set _ZN7rocprim17ROCPRIM_400000_NS6detail17trampoline_kernelINS0_14default_configENS1_35radix_sort_onesweep_config_selectorIiNS0_10empty_typeEEEZNS1_34radix_sort_onesweep_global_offsetsIS3_Lb0EPKiPS5_mNS0_19identity_decomposerEEE10hipError_tT1_T2_PT3_SF_jT4_jjP12ihipStream_tbEUlT_E_NS1_11comp_targetILNS1_3genE6ELNS1_11target_archE950ELNS1_3gpuE13ELNS1_3repE0EEENS1_52radix_sort_onesweep_histogram_config_static_selectorELNS0_4arch9wavefront6targetE0EEEvSD_.uses_vcc, 0
	.set _ZN7rocprim17ROCPRIM_400000_NS6detail17trampoline_kernelINS0_14default_configENS1_35radix_sort_onesweep_config_selectorIiNS0_10empty_typeEEEZNS1_34radix_sort_onesweep_global_offsetsIS3_Lb0EPKiPS5_mNS0_19identity_decomposerEEE10hipError_tT1_T2_PT3_SF_jT4_jjP12ihipStream_tbEUlT_E_NS1_11comp_targetILNS1_3genE6ELNS1_11target_archE950ELNS1_3gpuE13ELNS1_3repE0EEENS1_52radix_sort_onesweep_histogram_config_static_selectorELNS0_4arch9wavefront6targetE0EEEvSD_.uses_flat_scratch, 0
	.set _ZN7rocprim17ROCPRIM_400000_NS6detail17trampoline_kernelINS0_14default_configENS1_35radix_sort_onesweep_config_selectorIiNS0_10empty_typeEEEZNS1_34radix_sort_onesweep_global_offsetsIS3_Lb0EPKiPS5_mNS0_19identity_decomposerEEE10hipError_tT1_T2_PT3_SF_jT4_jjP12ihipStream_tbEUlT_E_NS1_11comp_targetILNS1_3genE6ELNS1_11target_archE950ELNS1_3gpuE13ELNS1_3repE0EEENS1_52radix_sort_onesweep_histogram_config_static_selectorELNS0_4arch9wavefront6targetE0EEEvSD_.has_dyn_sized_stack, 0
	.set _ZN7rocprim17ROCPRIM_400000_NS6detail17trampoline_kernelINS0_14default_configENS1_35radix_sort_onesweep_config_selectorIiNS0_10empty_typeEEEZNS1_34radix_sort_onesweep_global_offsetsIS3_Lb0EPKiPS5_mNS0_19identity_decomposerEEE10hipError_tT1_T2_PT3_SF_jT4_jjP12ihipStream_tbEUlT_E_NS1_11comp_targetILNS1_3genE6ELNS1_11target_archE950ELNS1_3gpuE13ELNS1_3repE0EEENS1_52radix_sort_onesweep_histogram_config_static_selectorELNS0_4arch9wavefront6targetE0EEEvSD_.has_recursion, 0
	.set _ZN7rocprim17ROCPRIM_400000_NS6detail17trampoline_kernelINS0_14default_configENS1_35radix_sort_onesweep_config_selectorIiNS0_10empty_typeEEEZNS1_34radix_sort_onesweep_global_offsetsIS3_Lb0EPKiPS5_mNS0_19identity_decomposerEEE10hipError_tT1_T2_PT3_SF_jT4_jjP12ihipStream_tbEUlT_E_NS1_11comp_targetILNS1_3genE6ELNS1_11target_archE950ELNS1_3gpuE13ELNS1_3repE0EEENS1_52radix_sort_onesweep_histogram_config_static_selectorELNS0_4arch9wavefront6targetE0EEEvSD_.has_indirect_call, 0
	.section	.AMDGPU.csdata,"",@progbits
; Kernel info:
; codeLenInByte = 0
; TotalNumSgprs: 0
; NumVgprs: 0
; ScratchSize: 0
; MemoryBound: 0
; FloatMode: 240
; IeeeMode: 1
; LDSByteSize: 0 bytes/workgroup (compile time only)
; SGPRBlocks: 0
; VGPRBlocks: 0
; NumSGPRsForWavesPerEU: 1
; NumVGPRsForWavesPerEU: 1
; NamedBarCnt: 0
; Occupancy: 16
; WaveLimiterHint : 0
; COMPUTE_PGM_RSRC2:SCRATCH_EN: 0
; COMPUTE_PGM_RSRC2:USER_SGPR: 2
; COMPUTE_PGM_RSRC2:TRAP_HANDLER: 0
; COMPUTE_PGM_RSRC2:TGID_X_EN: 1
; COMPUTE_PGM_RSRC2:TGID_Y_EN: 0
; COMPUTE_PGM_RSRC2:TGID_Z_EN: 0
; COMPUTE_PGM_RSRC2:TIDIG_COMP_CNT: 0
	.section	.text._ZN7rocprim17ROCPRIM_400000_NS6detail17trampoline_kernelINS0_14default_configENS1_35radix_sort_onesweep_config_selectorIiNS0_10empty_typeEEEZNS1_34radix_sort_onesweep_global_offsetsIS3_Lb0EPKiPS5_mNS0_19identity_decomposerEEE10hipError_tT1_T2_PT3_SF_jT4_jjP12ihipStream_tbEUlT_E_NS1_11comp_targetILNS1_3genE5ELNS1_11target_archE942ELNS1_3gpuE9ELNS1_3repE0EEENS1_52radix_sort_onesweep_histogram_config_static_selectorELNS0_4arch9wavefront6targetE0EEEvSD_,"axG",@progbits,_ZN7rocprim17ROCPRIM_400000_NS6detail17trampoline_kernelINS0_14default_configENS1_35radix_sort_onesweep_config_selectorIiNS0_10empty_typeEEEZNS1_34radix_sort_onesweep_global_offsetsIS3_Lb0EPKiPS5_mNS0_19identity_decomposerEEE10hipError_tT1_T2_PT3_SF_jT4_jjP12ihipStream_tbEUlT_E_NS1_11comp_targetILNS1_3genE5ELNS1_11target_archE942ELNS1_3gpuE9ELNS1_3repE0EEENS1_52radix_sort_onesweep_histogram_config_static_selectorELNS0_4arch9wavefront6targetE0EEEvSD_,comdat
	.protected	_ZN7rocprim17ROCPRIM_400000_NS6detail17trampoline_kernelINS0_14default_configENS1_35radix_sort_onesweep_config_selectorIiNS0_10empty_typeEEEZNS1_34radix_sort_onesweep_global_offsetsIS3_Lb0EPKiPS5_mNS0_19identity_decomposerEEE10hipError_tT1_T2_PT3_SF_jT4_jjP12ihipStream_tbEUlT_E_NS1_11comp_targetILNS1_3genE5ELNS1_11target_archE942ELNS1_3gpuE9ELNS1_3repE0EEENS1_52radix_sort_onesweep_histogram_config_static_selectorELNS0_4arch9wavefront6targetE0EEEvSD_ ; -- Begin function _ZN7rocprim17ROCPRIM_400000_NS6detail17trampoline_kernelINS0_14default_configENS1_35radix_sort_onesweep_config_selectorIiNS0_10empty_typeEEEZNS1_34radix_sort_onesweep_global_offsetsIS3_Lb0EPKiPS5_mNS0_19identity_decomposerEEE10hipError_tT1_T2_PT3_SF_jT4_jjP12ihipStream_tbEUlT_E_NS1_11comp_targetILNS1_3genE5ELNS1_11target_archE942ELNS1_3gpuE9ELNS1_3repE0EEENS1_52radix_sort_onesweep_histogram_config_static_selectorELNS0_4arch9wavefront6targetE0EEEvSD_
	.globl	_ZN7rocprim17ROCPRIM_400000_NS6detail17trampoline_kernelINS0_14default_configENS1_35radix_sort_onesweep_config_selectorIiNS0_10empty_typeEEEZNS1_34radix_sort_onesweep_global_offsetsIS3_Lb0EPKiPS5_mNS0_19identity_decomposerEEE10hipError_tT1_T2_PT3_SF_jT4_jjP12ihipStream_tbEUlT_E_NS1_11comp_targetILNS1_3genE5ELNS1_11target_archE942ELNS1_3gpuE9ELNS1_3repE0EEENS1_52radix_sort_onesweep_histogram_config_static_selectorELNS0_4arch9wavefront6targetE0EEEvSD_
	.p2align	8
	.type	_ZN7rocprim17ROCPRIM_400000_NS6detail17trampoline_kernelINS0_14default_configENS1_35radix_sort_onesweep_config_selectorIiNS0_10empty_typeEEEZNS1_34radix_sort_onesweep_global_offsetsIS3_Lb0EPKiPS5_mNS0_19identity_decomposerEEE10hipError_tT1_T2_PT3_SF_jT4_jjP12ihipStream_tbEUlT_E_NS1_11comp_targetILNS1_3genE5ELNS1_11target_archE942ELNS1_3gpuE9ELNS1_3repE0EEENS1_52radix_sort_onesweep_histogram_config_static_selectorELNS0_4arch9wavefront6targetE0EEEvSD_,@function
_ZN7rocprim17ROCPRIM_400000_NS6detail17trampoline_kernelINS0_14default_configENS1_35radix_sort_onesweep_config_selectorIiNS0_10empty_typeEEEZNS1_34radix_sort_onesweep_global_offsetsIS3_Lb0EPKiPS5_mNS0_19identity_decomposerEEE10hipError_tT1_T2_PT3_SF_jT4_jjP12ihipStream_tbEUlT_E_NS1_11comp_targetILNS1_3genE5ELNS1_11target_archE942ELNS1_3gpuE9ELNS1_3repE0EEENS1_52radix_sort_onesweep_histogram_config_static_selectorELNS0_4arch9wavefront6targetE0EEEvSD_: ; @_ZN7rocprim17ROCPRIM_400000_NS6detail17trampoline_kernelINS0_14default_configENS1_35radix_sort_onesweep_config_selectorIiNS0_10empty_typeEEEZNS1_34radix_sort_onesweep_global_offsetsIS3_Lb0EPKiPS5_mNS0_19identity_decomposerEEE10hipError_tT1_T2_PT3_SF_jT4_jjP12ihipStream_tbEUlT_E_NS1_11comp_targetILNS1_3genE5ELNS1_11target_archE942ELNS1_3gpuE9ELNS1_3repE0EEENS1_52radix_sort_onesweep_histogram_config_static_selectorELNS0_4arch9wavefront6targetE0EEEvSD_
; %bb.0:
	.section	.rodata,"a",@progbits
	.p2align	6, 0x0
	.amdhsa_kernel _ZN7rocprim17ROCPRIM_400000_NS6detail17trampoline_kernelINS0_14default_configENS1_35radix_sort_onesweep_config_selectorIiNS0_10empty_typeEEEZNS1_34radix_sort_onesweep_global_offsetsIS3_Lb0EPKiPS5_mNS0_19identity_decomposerEEE10hipError_tT1_T2_PT3_SF_jT4_jjP12ihipStream_tbEUlT_E_NS1_11comp_targetILNS1_3genE5ELNS1_11target_archE942ELNS1_3gpuE9ELNS1_3repE0EEENS1_52radix_sort_onesweep_histogram_config_static_selectorELNS0_4arch9wavefront6targetE0EEEvSD_
		.amdhsa_group_segment_fixed_size 0
		.amdhsa_private_segment_fixed_size 0
		.amdhsa_kernarg_size 48
		.amdhsa_user_sgpr_count 2
		.amdhsa_user_sgpr_dispatch_ptr 0
		.amdhsa_user_sgpr_queue_ptr 0
		.amdhsa_user_sgpr_kernarg_segment_ptr 1
		.amdhsa_user_sgpr_dispatch_id 0
		.amdhsa_user_sgpr_kernarg_preload_length 0
		.amdhsa_user_sgpr_kernarg_preload_offset 0
		.amdhsa_user_sgpr_private_segment_size 0
		.amdhsa_wavefront_size32 1
		.amdhsa_uses_dynamic_stack 0
		.amdhsa_enable_private_segment 0
		.amdhsa_system_sgpr_workgroup_id_x 1
		.amdhsa_system_sgpr_workgroup_id_y 0
		.amdhsa_system_sgpr_workgroup_id_z 0
		.amdhsa_system_sgpr_workgroup_info 0
		.amdhsa_system_vgpr_workitem_id 0
		.amdhsa_next_free_vgpr 1
		.amdhsa_next_free_sgpr 1
		.amdhsa_named_barrier_count 0
		.amdhsa_reserve_vcc 0
		.amdhsa_float_round_mode_32 0
		.amdhsa_float_round_mode_16_64 0
		.amdhsa_float_denorm_mode_32 3
		.amdhsa_float_denorm_mode_16_64 3
		.amdhsa_fp16_overflow 0
		.amdhsa_memory_ordered 1
		.amdhsa_forward_progress 1
		.amdhsa_inst_pref_size 0
		.amdhsa_round_robin_scheduling 0
		.amdhsa_exception_fp_ieee_invalid_op 0
		.amdhsa_exception_fp_denorm_src 0
		.amdhsa_exception_fp_ieee_div_zero 0
		.amdhsa_exception_fp_ieee_overflow 0
		.amdhsa_exception_fp_ieee_underflow 0
		.amdhsa_exception_fp_ieee_inexact 0
		.amdhsa_exception_int_div_zero 0
	.end_amdhsa_kernel
	.section	.text._ZN7rocprim17ROCPRIM_400000_NS6detail17trampoline_kernelINS0_14default_configENS1_35radix_sort_onesweep_config_selectorIiNS0_10empty_typeEEEZNS1_34radix_sort_onesweep_global_offsetsIS3_Lb0EPKiPS5_mNS0_19identity_decomposerEEE10hipError_tT1_T2_PT3_SF_jT4_jjP12ihipStream_tbEUlT_E_NS1_11comp_targetILNS1_3genE5ELNS1_11target_archE942ELNS1_3gpuE9ELNS1_3repE0EEENS1_52radix_sort_onesweep_histogram_config_static_selectorELNS0_4arch9wavefront6targetE0EEEvSD_,"axG",@progbits,_ZN7rocprim17ROCPRIM_400000_NS6detail17trampoline_kernelINS0_14default_configENS1_35radix_sort_onesweep_config_selectorIiNS0_10empty_typeEEEZNS1_34radix_sort_onesweep_global_offsetsIS3_Lb0EPKiPS5_mNS0_19identity_decomposerEEE10hipError_tT1_T2_PT3_SF_jT4_jjP12ihipStream_tbEUlT_E_NS1_11comp_targetILNS1_3genE5ELNS1_11target_archE942ELNS1_3gpuE9ELNS1_3repE0EEENS1_52radix_sort_onesweep_histogram_config_static_selectorELNS0_4arch9wavefront6targetE0EEEvSD_,comdat
.Lfunc_end944:
	.size	_ZN7rocprim17ROCPRIM_400000_NS6detail17trampoline_kernelINS0_14default_configENS1_35radix_sort_onesweep_config_selectorIiNS0_10empty_typeEEEZNS1_34radix_sort_onesweep_global_offsetsIS3_Lb0EPKiPS5_mNS0_19identity_decomposerEEE10hipError_tT1_T2_PT3_SF_jT4_jjP12ihipStream_tbEUlT_E_NS1_11comp_targetILNS1_3genE5ELNS1_11target_archE942ELNS1_3gpuE9ELNS1_3repE0EEENS1_52radix_sort_onesweep_histogram_config_static_selectorELNS0_4arch9wavefront6targetE0EEEvSD_, .Lfunc_end944-_ZN7rocprim17ROCPRIM_400000_NS6detail17trampoline_kernelINS0_14default_configENS1_35radix_sort_onesweep_config_selectorIiNS0_10empty_typeEEEZNS1_34radix_sort_onesweep_global_offsetsIS3_Lb0EPKiPS5_mNS0_19identity_decomposerEEE10hipError_tT1_T2_PT3_SF_jT4_jjP12ihipStream_tbEUlT_E_NS1_11comp_targetILNS1_3genE5ELNS1_11target_archE942ELNS1_3gpuE9ELNS1_3repE0EEENS1_52radix_sort_onesweep_histogram_config_static_selectorELNS0_4arch9wavefront6targetE0EEEvSD_
                                        ; -- End function
	.set _ZN7rocprim17ROCPRIM_400000_NS6detail17trampoline_kernelINS0_14default_configENS1_35radix_sort_onesweep_config_selectorIiNS0_10empty_typeEEEZNS1_34radix_sort_onesweep_global_offsetsIS3_Lb0EPKiPS5_mNS0_19identity_decomposerEEE10hipError_tT1_T2_PT3_SF_jT4_jjP12ihipStream_tbEUlT_E_NS1_11comp_targetILNS1_3genE5ELNS1_11target_archE942ELNS1_3gpuE9ELNS1_3repE0EEENS1_52radix_sort_onesweep_histogram_config_static_selectorELNS0_4arch9wavefront6targetE0EEEvSD_.num_vgpr, 0
	.set _ZN7rocprim17ROCPRIM_400000_NS6detail17trampoline_kernelINS0_14default_configENS1_35radix_sort_onesweep_config_selectorIiNS0_10empty_typeEEEZNS1_34radix_sort_onesweep_global_offsetsIS3_Lb0EPKiPS5_mNS0_19identity_decomposerEEE10hipError_tT1_T2_PT3_SF_jT4_jjP12ihipStream_tbEUlT_E_NS1_11comp_targetILNS1_3genE5ELNS1_11target_archE942ELNS1_3gpuE9ELNS1_3repE0EEENS1_52radix_sort_onesweep_histogram_config_static_selectorELNS0_4arch9wavefront6targetE0EEEvSD_.num_agpr, 0
	.set _ZN7rocprim17ROCPRIM_400000_NS6detail17trampoline_kernelINS0_14default_configENS1_35radix_sort_onesweep_config_selectorIiNS0_10empty_typeEEEZNS1_34radix_sort_onesweep_global_offsetsIS3_Lb0EPKiPS5_mNS0_19identity_decomposerEEE10hipError_tT1_T2_PT3_SF_jT4_jjP12ihipStream_tbEUlT_E_NS1_11comp_targetILNS1_3genE5ELNS1_11target_archE942ELNS1_3gpuE9ELNS1_3repE0EEENS1_52radix_sort_onesweep_histogram_config_static_selectorELNS0_4arch9wavefront6targetE0EEEvSD_.numbered_sgpr, 0
	.set _ZN7rocprim17ROCPRIM_400000_NS6detail17trampoline_kernelINS0_14default_configENS1_35radix_sort_onesweep_config_selectorIiNS0_10empty_typeEEEZNS1_34radix_sort_onesweep_global_offsetsIS3_Lb0EPKiPS5_mNS0_19identity_decomposerEEE10hipError_tT1_T2_PT3_SF_jT4_jjP12ihipStream_tbEUlT_E_NS1_11comp_targetILNS1_3genE5ELNS1_11target_archE942ELNS1_3gpuE9ELNS1_3repE0EEENS1_52radix_sort_onesweep_histogram_config_static_selectorELNS0_4arch9wavefront6targetE0EEEvSD_.num_named_barrier, 0
	.set _ZN7rocprim17ROCPRIM_400000_NS6detail17trampoline_kernelINS0_14default_configENS1_35radix_sort_onesweep_config_selectorIiNS0_10empty_typeEEEZNS1_34radix_sort_onesweep_global_offsetsIS3_Lb0EPKiPS5_mNS0_19identity_decomposerEEE10hipError_tT1_T2_PT3_SF_jT4_jjP12ihipStream_tbEUlT_E_NS1_11comp_targetILNS1_3genE5ELNS1_11target_archE942ELNS1_3gpuE9ELNS1_3repE0EEENS1_52radix_sort_onesweep_histogram_config_static_selectorELNS0_4arch9wavefront6targetE0EEEvSD_.private_seg_size, 0
	.set _ZN7rocprim17ROCPRIM_400000_NS6detail17trampoline_kernelINS0_14default_configENS1_35radix_sort_onesweep_config_selectorIiNS0_10empty_typeEEEZNS1_34radix_sort_onesweep_global_offsetsIS3_Lb0EPKiPS5_mNS0_19identity_decomposerEEE10hipError_tT1_T2_PT3_SF_jT4_jjP12ihipStream_tbEUlT_E_NS1_11comp_targetILNS1_3genE5ELNS1_11target_archE942ELNS1_3gpuE9ELNS1_3repE0EEENS1_52radix_sort_onesweep_histogram_config_static_selectorELNS0_4arch9wavefront6targetE0EEEvSD_.uses_vcc, 0
	.set _ZN7rocprim17ROCPRIM_400000_NS6detail17trampoline_kernelINS0_14default_configENS1_35radix_sort_onesweep_config_selectorIiNS0_10empty_typeEEEZNS1_34radix_sort_onesweep_global_offsetsIS3_Lb0EPKiPS5_mNS0_19identity_decomposerEEE10hipError_tT1_T2_PT3_SF_jT4_jjP12ihipStream_tbEUlT_E_NS1_11comp_targetILNS1_3genE5ELNS1_11target_archE942ELNS1_3gpuE9ELNS1_3repE0EEENS1_52radix_sort_onesweep_histogram_config_static_selectorELNS0_4arch9wavefront6targetE0EEEvSD_.uses_flat_scratch, 0
	.set _ZN7rocprim17ROCPRIM_400000_NS6detail17trampoline_kernelINS0_14default_configENS1_35radix_sort_onesweep_config_selectorIiNS0_10empty_typeEEEZNS1_34radix_sort_onesweep_global_offsetsIS3_Lb0EPKiPS5_mNS0_19identity_decomposerEEE10hipError_tT1_T2_PT3_SF_jT4_jjP12ihipStream_tbEUlT_E_NS1_11comp_targetILNS1_3genE5ELNS1_11target_archE942ELNS1_3gpuE9ELNS1_3repE0EEENS1_52radix_sort_onesweep_histogram_config_static_selectorELNS0_4arch9wavefront6targetE0EEEvSD_.has_dyn_sized_stack, 0
	.set _ZN7rocprim17ROCPRIM_400000_NS6detail17trampoline_kernelINS0_14default_configENS1_35radix_sort_onesweep_config_selectorIiNS0_10empty_typeEEEZNS1_34radix_sort_onesweep_global_offsetsIS3_Lb0EPKiPS5_mNS0_19identity_decomposerEEE10hipError_tT1_T2_PT3_SF_jT4_jjP12ihipStream_tbEUlT_E_NS1_11comp_targetILNS1_3genE5ELNS1_11target_archE942ELNS1_3gpuE9ELNS1_3repE0EEENS1_52radix_sort_onesweep_histogram_config_static_selectorELNS0_4arch9wavefront6targetE0EEEvSD_.has_recursion, 0
	.set _ZN7rocprim17ROCPRIM_400000_NS6detail17trampoline_kernelINS0_14default_configENS1_35radix_sort_onesweep_config_selectorIiNS0_10empty_typeEEEZNS1_34radix_sort_onesweep_global_offsetsIS3_Lb0EPKiPS5_mNS0_19identity_decomposerEEE10hipError_tT1_T2_PT3_SF_jT4_jjP12ihipStream_tbEUlT_E_NS1_11comp_targetILNS1_3genE5ELNS1_11target_archE942ELNS1_3gpuE9ELNS1_3repE0EEENS1_52radix_sort_onesweep_histogram_config_static_selectorELNS0_4arch9wavefront6targetE0EEEvSD_.has_indirect_call, 0
	.section	.AMDGPU.csdata,"",@progbits
; Kernel info:
; codeLenInByte = 0
; TotalNumSgprs: 0
; NumVgprs: 0
; ScratchSize: 0
; MemoryBound: 0
; FloatMode: 240
; IeeeMode: 1
; LDSByteSize: 0 bytes/workgroup (compile time only)
; SGPRBlocks: 0
; VGPRBlocks: 0
; NumSGPRsForWavesPerEU: 1
; NumVGPRsForWavesPerEU: 1
; NamedBarCnt: 0
; Occupancy: 16
; WaveLimiterHint : 0
; COMPUTE_PGM_RSRC2:SCRATCH_EN: 0
; COMPUTE_PGM_RSRC2:USER_SGPR: 2
; COMPUTE_PGM_RSRC2:TRAP_HANDLER: 0
; COMPUTE_PGM_RSRC2:TGID_X_EN: 1
; COMPUTE_PGM_RSRC2:TGID_Y_EN: 0
; COMPUTE_PGM_RSRC2:TGID_Z_EN: 0
; COMPUTE_PGM_RSRC2:TIDIG_COMP_CNT: 0
	.section	.text._ZN7rocprim17ROCPRIM_400000_NS6detail17trampoline_kernelINS0_14default_configENS1_35radix_sort_onesweep_config_selectorIiNS0_10empty_typeEEEZNS1_34radix_sort_onesweep_global_offsetsIS3_Lb0EPKiPS5_mNS0_19identity_decomposerEEE10hipError_tT1_T2_PT3_SF_jT4_jjP12ihipStream_tbEUlT_E_NS1_11comp_targetILNS1_3genE2ELNS1_11target_archE906ELNS1_3gpuE6ELNS1_3repE0EEENS1_52radix_sort_onesweep_histogram_config_static_selectorELNS0_4arch9wavefront6targetE0EEEvSD_,"axG",@progbits,_ZN7rocprim17ROCPRIM_400000_NS6detail17trampoline_kernelINS0_14default_configENS1_35radix_sort_onesweep_config_selectorIiNS0_10empty_typeEEEZNS1_34radix_sort_onesweep_global_offsetsIS3_Lb0EPKiPS5_mNS0_19identity_decomposerEEE10hipError_tT1_T2_PT3_SF_jT4_jjP12ihipStream_tbEUlT_E_NS1_11comp_targetILNS1_3genE2ELNS1_11target_archE906ELNS1_3gpuE6ELNS1_3repE0EEENS1_52radix_sort_onesweep_histogram_config_static_selectorELNS0_4arch9wavefront6targetE0EEEvSD_,comdat
	.protected	_ZN7rocprim17ROCPRIM_400000_NS6detail17trampoline_kernelINS0_14default_configENS1_35radix_sort_onesweep_config_selectorIiNS0_10empty_typeEEEZNS1_34radix_sort_onesweep_global_offsetsIS3_Lb0EPKiPS5_mNS0_19identity_decomposerEEE10hipError_tT1_T2_PT3_SF_jT4_jjP12ihipStream_tbEUlT_E_NS1_11comp_targetILNS1_3genE2ELNS1_11target_archE906ELNS1_3gpuE6ELNS1_3repE0EEENS1_52radix_sort_onesweep_histogram_config_static_selectorELNS0_4arch9wavefront6targetE0EEEvSD_ ; -- Begin function _ZN7rocprim17ROCPRIM_400000_NS6detail17trampoline_kernelINS0_14default_configENS1_35radix_sort_onesweep_config_selectorIiNS0_10empty_typeEEEZNS1_34radix_sort_onesweep_global_offsetsIS3_Lb0EPKiPS5_mNS0_19identity_decomposerEEE10hipError_tT1_T2_PT3_SF_jT4_jjP12ihipStream_tbEUlT_E_NS1_11comp_targetILNS1_3genE2ELNS1_11target_archE906ELNS1_3gpuE6ELNS1_3repE0EEENS1_52radix_sort_onesweep_histogram_config_static_selectorELNS0_4arch9wavefront6targetE0EEEvSD_
	.globl	_ZN7rocprim17ROCPRIM_400000_NS6detail17trampoline_kernelINS0_14default_configENS1_35radix_sort_onesweep_config_selectorIiNS0_10empty_typeEEEZNS1_34radix_sort_onesweep_global_offsetsIS3_Lb0EPKiPS5_mNS0_19identity_decomposerEEE10hipError_tT1_T2_PT3_SF_jT4_jjP12ihipStream_tbEUlT_E_NS1_11comp_targetILNS1_3genE2ELNS1_11target_archE906ELNS1_3gpuE6ELNS1_3repE0EEENS1_52radix_sort_onesweep_histogram_config_static_selectorELNS0_4arch9wavefront6targetE0EEEvSD_
	.p2align	8
	.type	_ZN7rocprim17ROCPRIM_400000_NS6detail17trampoline_kernelINS0_14default_configENS1_35radix_sort_onesweep_config_selectorIiNS0_10empty_typeEEEZNS1_34radix_sort_onesweep_global_offsetsIS3_Lb0EPKiPS5_mNS0_19identity_decomposerEEE10hipError_tT1_T2_PT3_SF_jT4_jjP12ihipStream_tbEUlT_E_NS1_11comp_targetILNS1_3genE2ELNS1_11target_archE906ELNS1_3gpuE6ELNS1_3repE0EEENS1_52radix_sort_onesweep_histogram_config_static_selectorELNS0_4arch9wavefront6targetE0EEEvSD_,@function
_ZN7rocprim17ROCPRIM_400000_NS6detail17trampoline_kernelINS0_14default_configENS1_35radix_sort_onesweep_config_selectorIiNS0_10empty_typeEEEZNS1_34radix_sort_onesweep_global_offsetsIS3_Lb0EPKiPS5_mNS0_19identity_decomposerEEE10hipError_tT1_T2_PT3_SF_jT4_jjP12ihipStream_tbEUlT_E_NS1_11comp_targetILNS1_3genE2ELNS1_11target_archE906ELNS1_3gpuE6ELNS1_3repE0EEENS1_52radix_sort_onesweep_histogram_config_static_selectorELNS0_4arch9wavefront6targetE0EEEvSD_: ; @_ZN7rocprim17ROCPRIM_400000_NS6detail17trampoline_kernelINS0_14default_configENS1_35radix_sort_onesweep_config_selectorIiNS0_10empty_typeEEEZNS1_34radix_sort_onesweep_global_offsetsIS3_Lb0EPKiPS5_mNS0_19identity_decomposerEEE10hipError_tT1_T2_PT3_SF_jT4_jjP12ihipStream_tbEUlT_E_NS1_11comp_targetILNS1_3genE2ELNS1_11target_archE906ELNS1_3gpuE6ELNS1_3repE0EEENS1_52radix_sort_onesweep_histogram_config_static_selectorELNS0_4arch9wavefront6targetE0EEEvSD_
; %bb.0:
	.section	.rodata,"a",@progbits
	.p2align	6, 0x0
	.amdhsa_kernel _ZN7rocprim17ROCPRIM_400000_NS6detail17trampoline_kernelINS0_14default_configENS1_35radix_sort_onesweep_config_selectorIiNS0_10empty_typeEEEZNS1_34radix_sort_onesweep_global_offsetsIS3_Lb0EPKiPS5_mNS0_19identity_decomposerEEE10hipError_tT1_T2_PT3_SF_jT4_jjP12ihipStream_tbEUlT_E_NS1_11comp_targetILNS1_3genE2ELNS1_11target_archE906ELNS1_3gpuE6ELNS1_3repE0EEENS1_52radix_sort_onesweep_histogram_config_static_selectorELNS0_4arch9wavefront6targetE0EEEvSD_
		.amdhsa_group_segment_fixed_size 0
		.amdhsa_private_segment_fixed_size 0
		.amdhsa_kernarg_size 48
		.amdhsa_user_sgpr_count 2
		.amdhsa_user_sgpr_dispatch_ptr 0
		.amdhsa_user_sgpr_queue_ptr 0
		.amdhsa_user_sgpr_kernarg_segment_ptr 1
		.amdhsa_user_sgpr_dispatch_id 0
		.amdhsa_user_sgpr_kernarg_preload_length 0
		.amdhsa_user_sgpr_kernarg_preload_offset 0
		.amdhsa_user_sgpr_private_segment_size 0
		.amdhsa_wavefront_size32 1
		.amdhsa_uses_dynamic_stack 0
		.amdhsa_enable_private_segment 0
		.amdhsa_system_sgpr_workgroup_id_x 1
		.amdhsa_system_sgpr_workgroup_id_y 0
		.amdhsa_system_sgpr_workgroup_id_z 0
		.amdhsa_system_sgpr_workgroup_info 0
		.amdhsa_system_vgpr_workitem_id 0
		.amdhsa_next_free_vgpr 1
		.amdhsa_next_free_sgpr 1
		.amdhsa_named_barrier_count 0
		.amdhsa_reserve_vcc 0
		.amdhsa_float_round_mode_32 0
		.amdhsa_float_round_mode_16_64 0
		.amdhsa_float_denorm_mode_32 3
		.amdhsa_float_denorm_mode_16_64 3
		.amdhsa_fp16_overflow 0
		.amdhsa_memory_ordered 1
		.amdhsa_forward_progress 1
		.amdhsa_inst_pref_size 0
		.amdhsa_round_robin_scheduling 0
		.amdhsa_exception_fp_ieee_invalid_op 0
		.amdhsa_exception_fp_denorm_src 0
		.amdhsa_exception_fp_ieee_div_zero 0
		.amdhsa_exception_fp_ieee_overflow 0
		.amdhsa_exception_fp_ieee_underflow 0
		.amdhsa_exception_fp_ieee_inexact 0
		.amdhsa_exception_int_div_zero 0
	.end_amdhsa_kernel
	.section	.text._ZN7rocprim17ROCPRIM_400000_NS6detail17trampoline_kernelINS0_14default_configENS1_35radix_sort_onesweep_config_selectorIiNS0_10empty_typeEEEZNS1_34radix_sort_onesweep_global_offsetsIS3_Lb0EPKiPS5_mNS0_19identity_decomposerEEE10hipError_tT1_T2_PT3_SF_jT4_jjP12ihipStream_tbEUlT_E_NS1_11comp_targetILNS1_3genE2ELNS1_11target_archE906ELNS1_3gpuE6ELNS1_3repE0EEENS1_52radix_sort_onesweep_histogram_config_static_selectorELNS0_4arch9wavefront6targetE0EEEvSD_,"axG",@progbits,_ZN7rocprim17ROCPRIM_400000_NS6detail17trampoline_kernelINS0_14default_configENS1_35radix_sort_onesweep_config_selectorIiNS0_10empty_typeEEEZNS1_34radix_sort_onesweep_global_offsetsIS3_Lb0EPKiPS5_mNS0_19identity_decomposerEEE10hipError_tT1_T2_PT3_SF_jT4_jjP12ihipStream_tbEUlT_E_NS1_11comp_targetILNS1_3genE2ELNS1_11target_archE906ELNS1_3gpuE6ELNS1_3repE0EEENS1_52radix_sort_onesweep_histogram_config_static_selectorELNS0_4arch9wavefront6targetE0EEEvSD_,comdat
.Lfunc_end945:
	.size	_ZN7rocprim17ROCPRIM_400000_NS6detail17trampoline_kernelINS0_14default_configENS1_35radix_sort_onesweep_config_selectorIiNS0_10empty_typeEEEZNS1_34radix_sort_onesweep_global_offsetsIS3_Lb0EPKiPS5_mNS0_19identity_decomposerEEE10hipError_tT1_T2_PT3_SF_jT4_jjP12ihipStream_tbEUlT_E_NS1_11comp_targetILNS1_3genE2ELNS1_11target_archE906ELNS1_3gpuE6ELNS1_3repE0EEENS1_52radix_sort_onesweep_histogram_config_static_selectorELNS0_4arch9wavefront6targetE0EEEvSD_, .Lfunc_end945-_ZN7rocprim17ROCPRIM_400000_NS6detail17trampoline_kernelINS0_14default_configENS1_35radix_sort_onesweep_config_selectorIiNS0_10empty_typeEEEZNS1_34radix_sort_onesweep_global_offsetsIS3_Lb0EPKiPS5_mNS0_19identity_decomposerEEE10hipError_tT1_T2_PT3_SF_jT4_jjP12ihipStream_tbEUlT_E_NS1_11comp_targetILNS1_3genE2ELNS1_11target_archE906ELNS1_3gpuE6ELNS1_3repE0EEENS1_52radix_sort_onesweep_histogram_config_static_selectorELNS0_4arch9wavefront6targetE0EEEvSD_
                                        ; -- End function
	.set _ZN7rocprim17ROCPRIM_400000_NS6detail17trampoline_kernelINS0_14default_configENS1_35radix_sort_onesweep_config_selectorIiNS0_10empty_typeEEEZNS1_34radix_sort_onesweep_global_offsetsIS3_Lb0EPKiPS5_mNS0_19identity_decomposerEEE10hipError_tT1_T2_PT3_SF_jT4_jjP12ihipStream_tbEUlT_E_NS1_11comp_targetILNS1_3genE2ELNS1_11target_archE906ELNS1_3gpuE6ELNS1_3repE0EEENS1_52radix_sort_onesweep_histogram_config_static_selectorELNS0_4arch9wavefront6targetE0EEEvSD_.num_vgpr, 0
	.set _ZN7rocprim17ROCPRIM_400000_NS6detail17trampoline_kernelINS0_14default_configENS1_35radix_sort_onesweep_config_selectorIiNS0_10empty_typeEEEZNS1_34radix_sort_onesweep_global_offsetsIS3_Lb0EPKiPS5_mNS0_19identity_decomposerEEE10hipError_tT1_T2_PT3_SF_jT4_jjP12ihipStream_tbEUlT_E_NS1_11comp_targetILNS1_3genE2ELNS1_11target_archE906ELNS1_3gpuE6ELNS1_3repE0EEENS1_52radix_sort_onesweep_histogram_config_static_selectorELNS0_4arch9wavefront6targetE0EEEvSD_.num_agpr, 0
	.set _ZN7rocprim17ROCPRIM_400000_NS6detail17trampoline_kernelINS0_14default_configENS1_35radix_sort_onesweep_config_selectorIiNS0_10empty_typeEEEZNS1_34radix_sort_onesweep_global_offsetsIS3_Lb0EPKiPS5_mNS0_19identity_decomposerEEE10hipError_tT1_T2_PT3_SF_jT4_jjP12ihipStream_tbEUlT_E_NS1_11comp_targetILNS1_3genE2ELNS1_11target_archE906ELNS1_3gpuE6ELNS1_3repE0EEENS1_52radix_sort_onesweep_histogram_config_static_selectorELNS0_4arch9wavefront6targetE0EEEvSD_.numbered_sgpr, 0
	.set _ZN7rocprim17ROCPRIM_400000_NS6detail17trampoline_kernelINS0_14default_configENS1_35radix_sort_onesweep_config_selectorIiNS0_10empty_typeEEEZNS1_34radix_sort_onesweep_global_offsetsIS3_Lb0EPKiPS5_mNS0_19identity_decomposerEEE10hipError_tT1_T2_PT3_SF_jT4_jjP12ihipStream_tbEUlT_E_NS1_11comp_targetILNS1_3genE2ELNS1_11target_archE906ELNS1_3gpuE6ELNS1_3repE0EEENS1_52radix_sort_onesweep_histogram_config_static_selectorELNS0_4arch9wavefront6targetE0EEEvSD_.num_named_barrier, 0
	.set _ZN7rocprim17ROCPRIM_400000_NS6detail17trampoline_kernelINS0_14default_configENS1_35radix_sort_onesweep_config_selectorIiNS0_10empty_typeEEEZNS1_34radix_sort_onesweep_global_offsetsIS3_Lb0EPKiPS5_mNS0_19identity_decomposerEEE10hipError_tT1_T2_PT3_SF_jT4_jjP12ihipStream_tbEUlT_E_NS1_11comp_targetILNS1_3genE2ELNS1_11target_archE906ELNS1_3gpuE6ELNS1_3repE0EEENS1_52radix_sort_onesweep_histogram_config_static_selectorELNS0_4arch9wavefront6targetE0EEEvSD_.private_seg_size, 0
	.set _ZN7rocprim17ROCPRIM_400000_NS6detail17trampoline_kernelINS0_14default_configENS1_35radix_sort_onesweep_config_selectorIiNS0_10empty_typeEEEZNS1_34radix_sort_onesweep_global_offsetsIS3_Lb0EPKiPS5_mNS0_19identity_decomposerEEE10hipError_tT1_T2_PT3_SF_jT4_jjP12ihipStream_tbEUlT_E_NS1_11comp_targetILNS1_3genE2ELNS1_11target_archE906ELNS1_3gpuE6ELNS1_3repE0EEENS1_52radix_sort_onesweep_histogram_config_static_selectorELNS0_4arch9wavefront6targetE0EEEvSD_.uses_vcc, 0
	.set _ZN7rocprim17ROCPRIM_400000_NS6detail17trampoline_kernelINS0_14default_configENS1_35radix_sort_onesweep_config_selectorIiNS0_10empty_typeEEEZNS1_34radix_sort_onesweep_global_offsetsIS3_Lb0EPKiPS5_mNS0_19identity_decomposerEEE10hipError_tT1_T2_PT3_SF_jT4_jjP12ihipStream_tbEUlT_E_NS1_11comp_targetILNS1_3genE2ELNS1_11target_archE906ELNS1_3gpuE6ELNS1_3repE0EEENS1_52radix_sort_onesweep_histogram_config_static_selectorELNS0_4arch9wavefront6targetE0EEEvSD_.uses_flat_scratch, 0
	.set _ZN7rocprim17ROCPRIM_400000_NS6detail17trampoline_kernelINS0_14default_configENS1_35radix_sort_onesweep_config_selectorIiNS0_10empty_typeEEEZNS1_34radix_sort_onesweep_global_offsetsIS3_Lb0EPKiPS5_mNS0_19identity_decomposerEEE10hipError_tT1_T2_PT3_SF_jT4_jjP12ihipStream_tbEUlT_E_NS1_11comp_targetILNS1_3genE2ELNS1_11target_archE906ELNS1_3gpuE6ELNS1_3repE0EEENS1_52radix_sort_onesweep_histogram_config_static_selectorELNS0_4arch9wavefront6targetE0EEEvSD_.has_dyn_sized_stack, 0
	.set _ZN7rocprim17ROCPRIM_400000_NS6detail17trampoline_kernelINS0_14default_configENS1_35radix_sort_onesweep_config_selectorIiNS0_10empty_typeEEEZNS1_34radix_sort_onesweep_global_offsetsIS3_Lb0EPKiPS5_mNS0_19identity_decomposerEEE10hipError_tT1_T2_PT3_SF_jT4_jjP12ihipStream_tbEUlT_E_NS1_11comp_targetILNS1_3genE2ELNS1_11target_archE906ELNS1_3gpuE6ELNS1_3repE0EEENS1_52radix_sort_onesweep_histogram_config_static_selectorELNS0_4arch9wavefront6targetE0EEEvSD_.has_recursion, 0
	.set _ZN7rocprim17ROCPRIM_400000_NS6detail17trampoline_kernelINS0_14default_configENS1_35radix_sort_onesweep_config_selectorIiNS0_10empty_typeEEEZNS1_34radix_sort_onesweep_global_offsetsIS3_Lb0EPKiPS5_mNS0_19identity_decomposerEEE10hipError_tT1_T2_PT3_SF_jT4_jjP12ihipStream_tbEUlT_E_NS1_11comp_targetILNS1_3genE2ELNS1_11target_archE906ELNS1_3gpuE6ELNS1_3repE0EEENS1_52radix_sort_onesweep_histogram_config_static_selectorELNS0_4arch9wavefront6targetE0EEEvSD_.has_indirect_call, 0
	.section	.AMDGPU.csdata,"",@progbits
; Kernel info:
; codeLenInByte = 0
; TotalNumSgprs: 0
; NumVgprs: 0
; ScratchSize: 0
; MemoryBound: 0
; FloatMode: 240
; IeeeMode: 1
; LDSByteSize: 0 bytes/workgroup (compile time only)
; SGPRBlocks: 0
; VGPRBlocks: 0
; NumSGPRsForWavesPerEU: 1
; NumVGPRsForWavesPerEU: 1
; NamedBarCnt: 0
; Occupancy: 16
; WaveLimiterHint : 0
; COMPUTE_PGM_RSRC2:SCRATCH_EN: 0
; COMPUTE_PGM_RSRC2:USER_SGPR: 2
; COMPUTE_PGM_RSRC2:TRAP_HANDLER: 0
; COMPUTE_PGM_RSRC2:TGID_X_EN: 1
; COMPUTE_PGM_RSRC2:TGID_Y_EN: 0
; COMPUTE_PGM_RSRC2:TGID_Z_EN: 0
; COMPUTE_PGM_RSRC2:TIDIG_COMP_CNT: 0
	.section	.text._ZN7rocprim17ROCPRIM_400000_NS6detail17trampoline_kernelINS0_14default_configENS1_35radix_sort_onesweep_config_selectorIiNS0_10empty_typeEEEZNS1_34radix_sort_onesweep_global_offsetsIS3_Lb0EPKiPS5_mNS0_19identity_decomposerEEE10hipError_tT1_T2_PT3_SF_jT4_jjP12ihipStream_tbEUlT_E_NS1_11comp_targetILNS1_3genE4ELNS1_11target_archE910ELNS1_3gpuE8ELNS1_3repE0EEENS1_52radix_sort_onesweep_histogram_config_static_selectorELNS0_4arch9wavefront6targetE0EEEvSD_,"axG",@progbits,_ZN7rocprim17ROCPRIM_400000_NS6detail17trampoline_kernelINS0_14default_configENS1_35radix_sort_onesweep_config_selectorIiNS0_10empty_typeEEEZNS1_34radix_sort_onesweep_global_offsetsIS3_Lb0EPKiPS5_mNS0_19identity_decomposerEEE10hipError_tT1_T2_PT3_SF_jT4_jjP12ihipStream_tbEUlT_E_NS1_11comp_targetILNS1_3genE4ELNS1_11target_archE910ELNS1_3gpuE8ELNS1_3repE0EEENS1_52radix_sort_onesweep_histogram_config_static_selectorELNS0_4arch9wavefront6targetE0EEEvSD_,comdat
	.protected	_ZN7rocprim17ROCPRIM_400000_NS6detail17trampoline_kernelINS0_14default_configENS1_35radix_sort_onesweep_config_selectorIiNS0_10empty_typeEEEZNS1_34radix_sort_onesweep_global_offsetsIS3_Lb0EPKiPS5_mNS0_19identity_decomposerEEE10hipError_tT1_T2_PT3_SF_jT4_jjP12ihipStream_tbEUlT_E_NS1_11comp_targetILNS1_3genE4ELNS1_11target_archE910ELNS1_3gpuE8ELNS1_3repE0EEENS1_52radix_sort_onesweep_histogram_config_static_selectorELNS0_4arch9wavefront6targetE0EEEvSD_ ; -- Begin function _ZN7rocprim17ROCPRIM_400000_NS6detail17trampoline_kernelINS0_14default_configENS1_35radix_sort_onesweep_config_selectorIiNS0_10empty_typeEEEZNS1_34radix_sort_onesweep_global_offsetsIS3_Lb0EPKiPS5_mNS0_19identity_decomposerEEE10hipError_tT1_T2_PT3_SF_jT4_jjP12ihipStream_tbEUlT_E_NS1_11comp_targetILNS1_3genE4ELNS1_11target_archE910ELNS1_3gpuE8ELNS1_3repE0EEENS1_52radix_sort_onesweep_histogram_config_static_selectorELNS0_4arch9wavefront6targetE0EEEvSD_
	.globl	_ZN7rocprim17ROCPRIM_400000_NS6detail17trampoline_kernelINS0_14default_configENS1_35radix_sort_onesweep_config_selectorIiNS0_10empty_typeEEEZNS1_34radix_sort_onesweep_global_offsetsIS3_Lb0EPKiPS5_mNS0_19identity_decomposerEEE10hipError_tT1_T2_PT3_SF_jT4_jjP12ihipStream_tbEUlT_E_NS1_11comp_targetILNS1_3genE4ELNS1_11target_archE910ELNS1_3gpuE8ELNS1_3repE0EEENS1_52radix_sort_onesweep_histogram_config_static_selectorELNS0_4arch9wavefront6targetE0EEEvSD_
	.p2align	8
	.type	_ZN7rocprim17ROCPRIM_400000_NS6detail17trampoline_kernelINS0_14default_configENS1_35radix_sort_onesweep_config_selectorIiNS0_10empty_typeEEEZNS1_34radix_sort_onesweep_global_offsetsIS3_Lb0EPKiPS5_mNS0_19identity_decomposerEEE10hipError_tT1_T2_PT3_SF_jT4_jjP12ihipStream_tbEUlT_E_NS1_11comp_targetILNS1_3genE4ELNS1_11target_archE910ELNS1_3gpuE8ELNS1_3repE0EEENS1_52radix_sort_onesweep_histogram_config_static_selectorELNS0_4arch9wavefront6targetE0EEEvSD_,@function
_ZN7rocprim17ROCPRIM_400000_NS6detail17trampoline_kernelINS0_14default_configENS1_35radix_sort_onesweep_config_selectorIiNS0_10empty_typeEEEZNS1_34radix_sort_onesweep_global_offsetsIS3_Lb0EPKiPS5_mNS0_19identity_decomposerEEE10hipError_tT1_T2_PT3_SF_jT4_jjP12ihipStream_tbEUlT_E_NS1_11comp_targetILNS1_3genE4ELNS1_11target_archE910ELNS1_3gpuE8ELNS1_3repE0EEENS1_52radix_sort_onesweep_histogram_config_static_selectorELNS0_4arch9wavefront6targetE0EEEvSD_: ; @_ZN7rocprim17ROCPRIM_400000_NS6detail17trampoline_kernelINS0_14default_configENS1_35radix_sort_onesweep_config_selectorIiNS0_10empty_typeEEEZNS1_34radix_sort_onesweep_global_offsetsIS3_Lb0EPKiPS5_mNS0_19identity_decomposerEEE10hipError_tT1_T2_PT3_SF_jT4_jjP12ihipStream_tbEUlT_E_NS1_11comp_targetILNS1_3genE4ELNS1_11target_archE910ELNS1_3gpuE8ELNS1_3repE0EEENS1_52radix_sort_onesweep_histogram_config_static_selectorELNS0_4arch9wavefront6targetE0EEEvSD_
; %bb.0:
	.section	.rodata,"a",@progbits
	.p2align	6, 0x0
	.amdhsa_kernel _ZN7rocprim17ROCPRIM_400000_NS6detail17trampoline_kernelINS0_14default_configENS1_35radix_sort_onesweep_config_selectorIiNS0_10empty_typeEEEZNS1_34radix_sort_onesweep_global_offsetsIS3_Lb0EPKiPS5_mNS0_19identity_decomposerEEE10hipError_tT1_T2_PT3_SF_jT4_jjP12ihipStream_tbEUlT_E_NS1_11comp_targetILNS1_3genE4ELNS1_11target_archE910ELNS1_3gpuE8ELNS1_3repE0EEENS1_52radix_sort_onesweep_histogram_config_static_selectorELNS0_4arch9wavefront6targetE0EEEvSD_
		.amdhsa_group_segment_fixed_size 0
		.amdhsa_private_segment_fixed_size 0
		.amdhsa_kernarg_size 48
		.amdhsa_user_sgpr_count 2
		.amdhsa_user_sgpr_dispatch_ptr 0
		.amdhsa_user_sgpr_queue_ptr 0
		.amdhsa_user_sgpr_kernarg_segment_ptr 1
		.amdhsa_user_sgpr_dispatch_id 0
		.amdhsa_user_sgpr_kernarg_preload_length 0
		.amdhsa_user_sgpr_kernarg_preload_offset 0
		.amdhsa_user_sgpr_private_segment_size 0
		.amdhsa_wavefront_size32 1
		.amdhsa_uses_dynamic_stack 0
		.amdhsa_enable_private_segment 0
		.amdhsa_system_sgpr_workgroup_id_x 1
		.amdhsa_system_sgpr_workgroup_id_y 0
		.amdhsa_system_sgpr_workgroup_id_z 0
		.amdhsa_system_sgpr_workgroup_info 0
		.amdhsa_system_vgpr_workitem_id 0
		.amdhsa_next_free_vgpr 1
		.amdhsa_next_free_sgpr 1
		.amdhsa_named_barrier_count 0
		.amdhsa_reserve_vcc 0
		.amdhsa_float_round_mode_32 0
		.amdhsa_float_round_mode_16_64 0
		.amdhsa_float_denorm_mode_32 3
		.amdhsa_float_denorm_mode_16_64 3
		.amdhsa_fp16_overflow 0
		.amdhsa_memory_ordered 1
		.amdhsa_forward_progress 1
		.amdhsa_inst_pref_size 0
		.amdhsa_round_robin_scheduling 0
		.amdhsa_exception_fp_ieee_invalid_op 0
		.amdhsa_exception_fp_denorm_src 0
		.amdhsa_exception_fp_ieee_div_zero 0
		.amdhsa_exception_fp_ieee_overflow 0
		.amdhsa_exception_fp_ieee_underflow 0
		.amdhsa_exception_fp_ieee_inexact 0
		.amdhsa_exception_int_div_zero 0
	.end_amdhsa_kernel
	.section	.text._ZN7rocprim17ROCPRIM_400000_NS6detail17trampoline_kernelINS0_14default_configENS1_35radix_sort_onesweep_config_selectorIiNS0_10empty_typeEEEZNS1_34radix_sort_onesweep_global_offsetsIS3_Lb0EPKiPS5_mNS0_19identity_decomposerEEE10hipError_tT1_T2_PT3_SF_jT4_jjP12ihipStream_tbEUlT_E_NS1_11comp_targetILNS1_3genE4ELNS1_11target_archE910ELNS1_3gpuE8ELNS1_3repE0EEENS1_52radix_sort_onesweep_histogram_config_static_selectorELNS0_4arch9wavefront6targetE0EEEvSD_,"axG",@progbits,_ZN7rocprim17ROCPRIM_400000_NS6detail17trampoline_kernelINS0_14default_configENS1_35radix_sort_onesweep_config_selectorIiNS0_10empty_typeEEEZNS1_34radix_sort_onesweep_global_offsetsIS3_Lb0EPKiPS5_mNS0_19identity_decomposerEEE10hipError_tT1_T2_PT3_SF_jT4_jjP12ihipStream_tbEUlT_E_NS1_11comp_targetILNS1_3genE4ELNS1_11target_archE910ELNS1_3gpuE8ELNS1_3repE0EEENS1_52radix_sort_onesweep_histogram_config_static_selectorELNS0_4arch9wavefront6targetE0EEEvSD_,comdat
.Lfunc_end946:
	.size	_ZN7rocprim17ROCPRIM_400000_NS6detail17trampoline_kernelINS0_14default_configENS1_35radix_sort_onesweep_config_selectorIiNS0_10empty_typeEEEZNS1_34radix_sort_onesweep_global_offsetsIS3_Lb0EPKiPS5_mNS0_19identity_decomposerEEE10hipError_tT1_T2_PT3_SF_jT4_jjP12ihipStream_tbEUlT_E_NS1_11comp_targetILNS1_3genE4ELNS1_11target_archE910ELNS1_3gpuE8ELNS1_3repE0EEENS1_52radix_sort_onesweep_histogram_config_static_selectorELNS0_4arch9wavefront6targetE0EEEvSD_, .Lfunc_end946-_ZN7rocprim17ROCPRIM_400000_NS6detail17trampoline_kernelINS0_14default_configENS1_35radix_sort_onesweep_config_selectorIiNS0_10empty_typeEEEZNS1_34radix_sort_onesweep_global_offsetsIS3_Lb0EPKiPS5_mNS0_19identity_decomposerEEE10hipError_tT1_T2_PT3_SF_jT4_jjP12ihipStream_tbEUlT_E_NS1_11comp_targetILNS1_3genE4ELNS1_11target_archE910ELNS1_3gpuE8ELNS1_3repE0EEENS1_52radix_sort_onesweep_histogram_config_static_selectorELNS0_4arch9wavefront6targetE0EEEvSD_
                                        ; -- End function
	.set _ZN7rocprim17ROCPRIM_400000_NS6detail17trampoline_kernelINS0_14default_configENS1_35radix_sort_onesweep_config_selectorIiNS0_10empty_typeEEEZNS1_34radix_sort_onesweep_global_offsetsIS3_Lb0EPKiPS5_mNS0_19identity_decomposerEEE10hipError_tT1_T2_PT3_SF_jT4_jjP12ihipStream_tbEUlT_E_NS1_11comp_targetILNS1_3genE4ELNS1_11target_archE910ELNS1_3gpuE8ELNS1_3repE0EEENS1_52radix_sort_onesweep_histogram_config_static_selectorELNS0_4arch9wavefront6targetE0EEEvSD_.num_vgpr, 0
	.set _ZN7rocprim17ROCPRIM_400000_NS6detail17trampoline_kernelINS0_14default_configENS1_35radix_sort_onesweep_config_selectorIiNS0_10empty_typeEEEZNS1_34radix_sort_onesweep_global_offsetsIS3_Lb0EPKiPS5_mNS0_19identity_decomposerEEE10hipError_tT1_T2_PT3_SF_jT4_jjP12ihipStream_tbEUlT_E_NS1_11comp_targetILNS1_3genE4ELNS1_11target_archE910ELNS1_3gpuE8ELNS1_3repE0EEENS1_52radix_sort_onesweep_histogram_config_static_selectorELNS0_4arch9wavefront6targetE0EEEvSD_.num_agpr, 0
	.set _ZN7rocprim17ROCPRIM_400000_NS6detail17trampoline_kernelINS0_14default_configENS1_35radix_sort_onesweep_config_selectorIiNS0_10empty_typeEEEZNS1_34radix_sort_onesweep_global_offsetsIS3_Lb0EPKiPS5_mNS0_19identity_decomposerEEE10hipError_tT1_T2_PT3_SF_jT4_jjP12ihipStream_tbEUlT_E_NS1_11comp_targetILNS1_3genE4ELNS1_11target_archE910ELNS1_3gpuE8ELNS1_3repE0EEENS1_52radix_sort_onesweep_histogram_config_static_selectorELNS0_4arch9wavefront6targetE0EEEvSD_.numbered_sgpr, 0
	.set _ZN7rocprim17ROCPRIM_400000_NS6detail17trampoline_kernelINS0_14default_configENS1_35radix_sort_onesweep_config_selectorIiNS0_10empty_typeEEEZNS1_34radix_sort_onesweep_global_offsetsIS3_Lb0EPKiPS5_mNS0_19identity_decomposerEEE10hipError_tT1_T2_PT3_SF_jT4_jjP12ihipStream_tbEUlT_E_NS1_11comp_targetILNS1_3genE4ELNS1_11target_archE910ELNS1_3gpuE8ELNS1_3repE0EEENS1_52radix_sort_onesweep_histogram_config_static_selectorELNS0_4arch9wavefront6targetE0EEEvSD_.num_named_barrier, 0
	.set _ZN7rocprim17ROCPRIM_400000_NS6detail17trampoline_kernelINS0_14default_configENS1_35radix_sort_onesweep_config_selectorIiNS0_10empty_typeEEEZNS1_34radix_sort_onesweep_global_offsetsIS3_Lb0EPKiPS5_mNS0_19identity_decomposerEEE10hipError_tT1_T2_PT3_SF_jT4_jjP12ihipStream_tbEUlT_E_NS1_11comp_targetILNS1_3genE4ELNS1_11target_archE910ELNS1_3gpuE8ELNS1_3repE0EEENS1_52radix_sort_onesweep_histogram_config_static_selectorELNS0_4arch9wavefront6targetE0EEEvSD_.private_seg_size, 0
	.set _ZN7rocprim17ROCPRIM_400000_NS6detail17trampoline_kernelINS0_14default_configENS1_35radix_sort_onesweep_config_selectorIiNS0_10empty_typeEEEZNS1_34radix_sort_onesweep_global_offsetsIS3_Lb0EPKiPS5_mNS0_19identity_decomposerEEE10hipError_tT1_T2_PT3_SF_jT4_jjP12ihipStream_tbEUlT_E_NS1_11comp_targetILNS1_3genE4ELNS1_11target_archE910ELNS1_3gpuE8ELNS1_3repE0EEENS1_52radix_sort_onesweep_histogram_config_static_selectorELNS0_4arch9wavefront6targetE0EEEvSD_.uses_vcc, 0
	.set _ZN7rocprim17ROCPRIM_400000_NS6detail17trampoline_kernelINS0_14default_configENS1_35radix_sort_onesweep_config_selectorIiNS0_10empty_typeEEEZNS1_34radix_sort_onesweep_global_offsetsIS3_Lb0EPKiPS5_mNS0_19identity_decomposerEEE10hipError_tT1_T2_PT3_SF_jT4_jjP12ihipStream_tbEUlT_E_NS1_11comp_targetILNS1_3genE4ELNS1_11target_archE910ELNS1_3gpuE8ELNS1_3repE0EEENS1_52radix_sort_onesweep_histogram_config_static_selectorELNS0_4arch9wavefront6targetE0EEEvSD_.uses_flat_scratch, 0
	.set _ZN7rocprim17ROCPRIM_400000_NS6detail17trampoline_kernelINS0_14default_configENS1_35radix_sort_onesweep_config_selectorIiNS0_10empty_typeEEEZNS1_34radix_sort_onesweep_global_offsetsIS3_Lb0EPKiPS5_mNS0_19identity_decomposerEEE10hipError_tT1_T2_PT3_SF_jT4_jjP12ihipStream_tbEUlT_E_NS1_11comp_targetILNS1_3genE4ELNS1_11target_archE910ELNS1_3gpuE8ELNS1_3repE0EEENS1_52radix_sort_onesweep_histogram_config_static_selectorELNS0_4arch9wavefront6targetE0EEEvSD_.has_dyn_sized_stack, 0
	.set _ZN7rocprim17ROCPRIM_400000_NS6detail17trampoline_kernelINS0_14default_configENS1_35radix_sort_onesweep_config_selectorIiNS0_10empty_typeEEEZNS1_34radix_sort_onesweep_global_offsetsIS3_Lb0EPKiPS5_mNS0_19identity_decomposerEEE10hipError_tT1_T2_PT3_SF_jT4_jjP12ihipStream_tbEUlT_E_NS1_11comp_targetILNS1_3genE4ELNS1_11target_archE910ELNS1_3gpuE8ELNS1_3repE0EEENS1_52radix_sort_onesweep_histogram_config_static_selectorELNS0_4arch9wavefront6targetE0EEEvSD_.has_recursion, 0
	.set _ZN7rocprim17ROCPRIM_400000_NS6detail17trampoline_kernelINS0_14default_configENS1_35radix_sort_onesweep_config_selectorIiNS0_10empty_typeEEEZNS1_34radix_sort_onesweep_global_offsetsIS3_Lb0EPKiPS5_mNS0_19identity_decomposerEEE10hipError_tT1_T2_PT3_SF_jT4_jjP12ihipStream_tbEUlT_E_NS1_11comp_targetILNS1_3genE4ELNS1_11target_archE910ELNS1_3gpuE8ELNS1_3repE0EEENS1_52radix_sort_onesweep_histogram_config_static_selectorELNS0_4arch9wavefront6targetE0EEEvSD_.has_indirect_call, 0
	.section	.AMDGPU.csdata,"",@progbits
; Kernel info:
; codeLenInByte = 0
; TotalNumSgprs: 0
; NumVgprs: 0
; ScratchSize: 0
; MemoryBound: 0
; FloatMode: 240
; IeeeMode: 1
; LDSByteSize: 0 bytes/workgroup (compile time only)
; SGPRBlocks: 0
; VGPRBlocks: 0
; NumSGPRsForWavesPerEU: 1
; NumVGPRsForWavesPerEU: 1
; NamedBarCnt: 0
; Occupancy: 16
; WaveLimiterHint : 0
; COMPUTE_PGM_RSRC2:SCRATCH_EN: 0
; COMPUTE_PGM_RSRC2:USER_SGPR: 2
; COMPUTE_PGM_RSRC2:TRAP_HANDLER: 0
; COMPUTE_PGM_RSRC2:TGID_X_EN: 1
; COMPUTE_PGM_RSRC2:TGID_Y_EN: 0
; COMPUTE_PGM_RSRC2:TGID_Z_EN: 0
; COMPUTE_PGM_RSRC2:TIDIG_COMP_CNT: 0
	.section	.text._ZN7rocprim17ROCPRIM_400000_NS6detail17trampoline_kernelINS0_14default_configENS1_35radix_sort_onesweep_config_selectorIiNS0_10empty_typeEEEZNS1_34radix_sort_onesweep_global_offsetsIS3_Lb0EPKiPS5_mNS0_19identity_decomposerEEE10hipError_tT1_T2_PT3_SF_jT4_jjP12ihipStream_tbEUlT_E_NS1_11comp_targetILNS1_3genE3ELNS1_11target_archE908ELNS1_3gpuE7ELNS1_3repE0EEENS1_52radix_sort_onesweep_histogram_config_static_selectorELNS0_4arch9wavefront6targetE0EEEvSD_,"axG",@progbits,_ZN7rocprim17ROCPRIM_400000_NS6detail17trampoline_kernelINS0_14default_configENS1_35radix_sort_onesweep_config_selectorIiNS0_10empty_typeEEEZNS1_34radix_sort_onesweep_global_offsetsIS3_Lb0EPKiPS5_mNS0_19identity_decomposerEEE10hipError_tT1_T2_PT3_SF_jT4_jjP12ihipStream_tbEUlT_E_NS1_11comp_targetILNS1_3genE3ELNS1_11target_archE908ELNS1_3gpuE7ELNS1_3repE0EEENS1_52radix_sort_onesweep_histogram_config_static_selectorELNS0_4arch9wavefront6targetE0EEEvSD_,comdat
	.protected	_ZN7rocprim17ROCPRIM_400000_NS6detail17trampoline_kernelINS0_14default_configENS1_35radix_sort_onesweep_config_selectorIiNS0_10empty_typeEEEZNS1_34radix_sort_onesweep_global_offsetsIS3_Lb0EPKiPS5_mNS0_19identity_decomposerEEE10hipError_tT1_T2_PT3_SF_jT4_jjP12ihipStream_tbEUlT_E_NS1_11comp_targetILNS1_3genE3ELNS1_11target_archE908ELNS1_3gpuE7ELNS1_3repE0EEENS1_52radix_sort_onesweep_histogram_config_static_selectorELNS0_4arch9wavefront6targetE0EEEvSD_ ; -- Begin function _ZN7rocprim17ROCPRIM_400000_NS6detail17trampoline_kernelINS0_14default_configENS1_35radix_sort_onesweep_config_selectorIiNS0_10empty_typeEEEZNS1_34radix_sort_onesweep_global_offsetsIS3_Lb0EPKiPS5_mNS0_19identity_decomposerEEE10hipError_tT1_T2_PT3_SF_jT4_jjP12ihipStream_tbEUlT_E_NS1_11comp_targetILNS1_3genE3ELNS1_11target_archE908ELNS1_3gpuE7ELNS1_3repE0EEENS1_52radix_sort_onesweep_histogram_config_static_selectorELNS0_4arch9wavefront6targetE0EEEvSD_
	.globl	_ZN7rocprim17ROCPRIM_400000_NS6detail17trampoline_kernelINS0_14default_configENS1_35radix_sort_onesweep_config_selectorIiNS0_10empty_typeEEEZNS1_34radix_sort_onesweep_global_offsetsIS3_Lb0EPKiPS5_mNS0_19identity_decomposerEEE10hipError_tT1_T2_PT3_SF_jT4_jjP12ihipStream_tbEUlT_E_NS1_11comp_targetILNS1_3genE3ELNS1_11target_archE908ELNS1_3gpuE7ELNS1_3repE0EEENS1_52radix_sort_onesweep_histogram_config_static_selectorELNS0_4arch9wavefront6targetE0EEEvSD_
	.p2align	8
	.type	_ZN7rocprim17ROCPRIM_400000_NS6detail17trampoline_kernelINS0_14default_configENS1_35radix_sort_onesweep_config_selectorIiNS0_10empty_typeEEEZNS1_34radix_sort_onesweep_global_offsetsIS3_Lb0EPKiPS5_mNS0_19identity_decomposerEEE10hipError_tT1_T2_PT3_SF_jT4_jjP12ihipStream_tbEUlT_E_NS1_11comp_targetILNS1_3genE3ELNS1_11target_archE908ELNS1_3gpuE7ELNS1_3repE0EEENS1_52radix_sort_onesweep_histogram_config_static_selectorELNS0_4arch9wavefront6targetE0EEEvSD_,@function
_ZN7rocprim17ROCPRIM_400000_NS6detail17trampoline_kernelINS0_14default_configENS1_35radix_sort_onesweep_config_selectorIiNS0_10empty_typeEEEZNS1_34radix_sort_onesweep_global_offsetsIS3_Lb0EPKiPS5_mNS0_19identity_decomposerEEE10hipError_tT1_T2_PT3_SF_jT4_jjP12ihipStream_tbEUlT_E_NS1_11comp_targetILNS1_3genE3ELNS1_11target_archE908ELNS1_3gpuE7ELNS1_3repE0EEENS1_52radix_sort_onesweep_histogram_config_static_selectorELNS0_4arch9wavefront6targetE0EEEvSD_: ; @_ZN7rocprim17ROCPRIM_400000_NS6detail17trampoline_kernelINS0_14default_configENS1_35radix_sort_onesweep_config_selectorIiNS0_10empty_typeEEEZNS1_34radix_sort_onesweep_global_offsetsIS3_Lb0EPKiPS5_mNS0_19identity_decomposerEEE10hipError_tT1_T2_PT3_SF_jT4_jjP12ihipStream_tbEUlT_E_NS1_11comp_targetILNS1_3genE3ELNS1_11target_archE908ELNS1_3gpuE7ELNS1_3repE0EEENS1_52radix_sort_onesweep_histogram_config_static_selectorELNS0_4arch9wavefront6targetE0EEEvSD_
; %bb.0:
	.section	.rodata,"a",@progbits
	.p2align	6, 0x0
	.amdhsa_kernel _ZN7rocprim17ROCPRIM_400000_NS6detail17trampoline_kernelINS0_14default_configENS1_35radix_sort_onesweep_config_selectorIiNS0_10empty_typeEEEZNS1_34radix_sort_onesweep_global_offsetsIS3_Lb0EPKiPS5_mNS0_19identity_decomposerEEE10hipError_tT1_T2_PT3_SF_jT4_jjP12ihipStream_tbEUlT_E_NS1_11comp_targetILNS1_3genE3ELNS1_11target_archE908ELNS1_3gpuE7ELNS1_3repE0EEENS1_52radix_sort_onesweep_histogram_config_static_selectorELNS0_4arch9wavefront6targetE0EEEvSD_
		.amdhsa_group_segment_fixed_size 0
		.amdhsa_private_segment_fixed_size 0
		.amdhsa_kernarg_size 48
		.amdhsa_user_sgpr_count 2
		.amdhsa_user_sgpr_dispatch_ptr 0
		.amdhsa_user_sgpr_queue_ptr 0
		.amdhsa_user_sgpr_kernarg_segment_ptr 1
		.amdhsa_user_sgpr_dispatch_id 0
		.amdhsa_user_sgpr_kernarg_preload_length 0
		.amdhsa_user_sgpr_kernarg_preload_offset 0
		.amdhsa_user_sgpr_private_segment_size 0
		.amdhsa_wavefront_size32 1
		.amdhsa_uses_dynamic_stack 0
		.amdhsa_enable_private_segment 0
		.amdhsa_system_sgpr_workgroup_id_x 1
		.amdhsa_system_sgpr_workgroup_id_y 0
		.amdhsa_system_sgpr_workgroup_id_z 0
		.amdhsa_system_sgpr_workgroup_info 0
		.amdhsa_system_vgpr_workitem_id 0
		.amdhsa_next_free_vgpr 1
		.amdhsa_next_free_sgpr 1
		.amdhsa_named_barrier_count 0
		.amdhsa_reserve_vcc 0
		.amdhsa_float_round_mode_32 0
		.amdhsa_float_round_mode_16_64 0
		.amdhsa_float_denorm_mode_32 3
		.amdhsa_float_denorm_mode_16_64 3
		.amdhsa_fp16_overflow 0
		.amdhsa_memory_ordered 1
		.amdhsa_forward_progress 1
		.amdhsa_inst_pref_size 0
		.amdhsa_round_robin_scheduling 0
		.amdhsa_exception_fp_ieee_invalid_op 0
		.amdhsa_exception_fp_denorm_src 0
		.amdhsa_exception_fp_ieee_div_zero 0
		.amdhsa_exception_fp_ieee_overflow 0
		.amdhsa_exception_fp_ieee_underflow 0
		.amdhsa_exception_fp_ieee_inexact 0
		.amdhsa_exception_int_div_zero 0
	.end_amdhsa_kernel
	.section	.text._ZN7rocprim17ROCPRIM_400000_NS6detail17trampoline_kernelINS0_14default_configENS1_35radix_sort_onesweep_config_selectorIiNS0_10empty_typeEEEZNS1_34radix_sort_onesweep_global_offsetsIS3_Lb0EPKiPS5_mNS0_19identity_decomposerEEE10hipError_tT1_T2_PT3_SF_jT4_jjP12ihipStream_tbEUlT_E_NS1_11comp_targetILNS1_3genE3ELNS1_11target_archE908ELNS1_3gpuE7ELNS1_3repE0EEENS1_52radix_sort_onesweep_histogram_config_static_selectorELNS0_4arch9wavefront6targetE0EEEvSD_,"axG",@progbits,_ZN7rocprim17ROCPRIM_400000_NS6detail17trampoline_kernelINS0_14default_configENS1_35radix_sort_onesweep_config_selectorIiNS0_10empty_typeEEEZNS1_34radix_sort_onesweep_global_offsetsIS3_Lb0EPKiPS5_mNS0_19identity_decomposerEEE10hipError_tT1_T2_PT3_SF_jT4_jjP12ihipStream_tbEUlT_E_NS1_11comp_targetILNS1_3genE3ELNS1_11target_archE908ELNS1_3gpuE7ELNS1_3repE0EEENS1_52radix_sort_onesweep_histogram_config_static_selectorELNS0_4arch9wavefront6targetE0EEEvSD_,comdat
.Lfunc_end947:
	.size	_ZN7rocprim17ROCPRIM_400000_NS6detail17trampoline_kernelINS0_14default_configENS1_35radix_sort_onesweep_config_selectorIiNS0_10empty_typeEEEZNS1_34radix_sort_onesweep_global_offsetsIS3_Lb0EPKiPS5_mNS0_19identity_decomposerEEE10hipError_tT1_T2_PT3_SF_jT4_jjP12ihipStream_tbEUlT_E_NS1_11comp_targetILNS1_3genE3ELNS1_11target_archE908ELNS1_3gpuE7ELNS1_3repE0EEENS1_52radix_sort_onesweep_histogram_config_static_selectorELNS0_4arch9wavefront6targetE0EEEvSD_, .Lfunc_end947-_ZN7rocprim17ROCPRIM_400000_NS6detail17trampoline_kernelINS0_14default_configENS1_35radix_sort_onesweep_config_selectorIiNS0_10empty_typeEEEZNS1_34radix_sort_onesweep_global_offsetsIS3_Lb0EPKiPS5_mNS0_19identity_decomposerEEE10hipError_tT1_T2_PT3_SF_jT4_jjP12ihipStream_tbEUlT_E_NS1_11comp_targetILNS1_3genE3ELNS1_11target_archE908ELNS1_3gpuE7ELNS1_3repE0EEENS1_52radix_sort_onesweep_histogram_config_static_selectorELNS0_4arch9wavefront6targetE0EEEvSD_
                                        ; -- End function
	.set _ZN7rocprim17ROCPRIM_400000_NS6detail17trampoline_kernelINS0_14default_configENS1_35radix_sort_onesweep_config_selectorIiNS0_10empty_typeEEEZNS1_34radix_sort_onesweep_global_offsetsIS3_Lb0EPKiPS5_mNS0_19identity_decomposerEEE10hipError_tT1_T2_PT3_SF_jT4_jjP12ihipStream_tbEUlT_E_NS1_11comp_targetILNS1_3genE3ELNS1_11target_archE908ELNS1_3gpuE7ELNS1_3repE0EEENS1_52radix_sort_onesweep_histogram_config_static_selectorELNS0_4arch9wavefront6targetE0EEEvSD_.num_vgpr, 0
	.set _ZN7rocprim17ROCPRIM_400000_NS6detail17trampoline_kernelINS0_14default_configENS1_35radix_sort_onesweep_config_selectorIiNS0_10empty_typeEEEZNS1_34radix_sort_onesweep_global_offsetsIS3_Lb0EPKiPS5_mNS0_19identity_decomposerEEE10hipError_tT1_T2_PT3_SF_jT4_jjP12ihipStream_tbEUlT_E_NS1_11comp_targetILNS1_3genE3ELNS1_11target_archE908ELNS1_3gpuE7ELNS1_3repE0EEENS1_52radix_sort_onesweep_histogram_config_static_selectorELNS0_4arch9wavefront6targetE0EEEvSD_.num_agpr, 0
	.set _ZN7rocprim17ROCPRIM_400000_NS6detail17trampoline_kernelINS0_14default_configENS1_35radix_sort_onesweep_config_selectorIiNS0_10empty_typeEEEZNS1_34radix_sort_onesweep_global_offsetsIS3_Lb0EPKiPS5_mNS0_19identity_decomposerEEE10hipError_tT1_T2_PT3_SF_jT4_jjP12ihipStream_tbEUlT_E_NS1_11comp_targetILNS1_3genE3ELNS1_11target_archE908ELNS1_3gpuE7ELNS1_3repE0EEENS1_52radix_sort_onesweep_histogram_config_static_selectorELNS0_4arch9wavefront6targetE0EEEvSD_.numbered_sgpr, 0
	.set _ZN7rocprim17ROCPRIM_400000_NS6detail17trampoline_kernelINS0_14default_configENS1_35radix_sort_onesweep_config_selectorIiNS0_10empty_typeEEEZNS1_34radix_sort_onesweep_global_offsetsIS3_Lb0EPKiPS5_mNS0_19identity_decomposerEEE10hipError_tT1_T2_PT3_SF_jT4_jjP12ihipStream_tbEUlT_E_NS1_11comp_targetILNS1_3genE3ELNS1_11target_archE908ELNS1_3gpuE7ELNS1_3repE0EEENS1_52radix_sort_onesweep_histogram_config_static_selectorELNS0_4arch9wavefront6targetE0EEEvSD_.num_named_barrier, 0
	.set _ZN7rocprim17ROCPRIM_400000_NS6detail17trampoline_kernelINS0_14default_configENS1_35radix_sort_onesweep_config_selectorIiNS0_10empty_typeEEEZNS1_34radix_sort_onesweep_global_offsetsIS3_Lb0EPKiPS5_mNS0_19identity_decomposerEEE10hipError_tT1_T2_PT3_SF_jT4_jjP12ihipStream_tbEUlT_E_NS1_11comp_targetILNS1_3genE3ELNS1_11target_archE908ELNS1_3gpuE7ELNS1_3repE0EEENS1_52radix_sort_onesweep_histogram_config_static_selectorELNS0_4arch9wavefront6targetE0EEEvSD_.private_seg_size, 0
	.set _ZN7rocprim17ROCPRIM_400000_NS6detail17trampoline_kernelINS0_14default_configENS1_35radix_sort_onesweep_config_selectorIiNS0_10empty_typeEEEZNS1_34radix_sort_onesweep_global_offsetsIS3_Lb0EPKiPS5_mNS0_19identity_decomposerEEE10hipError_tT1_T2_PT3_SF_jT4_jjP12ihipStream_tbEUlT_E_NS1_11comp_targetILNS1_3genE3ELNS1_11target_archE908ELNS1_3gpuE7ELNS1_3repE0EEENS1_52radix_sort_onesweep_histogram_config_static_selectorELNS0_4arch9wavefront6targetE0EEEvSD_.uses_vcc, 0
	.set _ZN7rocprim17ROCPRIM_400000_NS6detail17trampoline_kernelINS0_14default_configENS1_35radix_sort_onesweep_config_selectorIiNS0_10empty_typeEEEZNS1_34radix_sort_onesweep_global_offsetsIS3_Lb0EPKiPS5_mNS0_19identity_decomposerEEE10hipError_tT1_T2_PT3_SF_jT4_jjP12ihipStream_tbEUlT_E_NS1_11comp_targetILNS1_3genE3ELNS1_11target_archE908ELNS1_3gpuE7ELNS1_3repE0EEENS1_52radix_sort_onesweep_histogram_config_static_selectorELNS0_4arch9wavefront6targetE0EEEvSD_.uses_flat_scratch, 0
	.set _ZN7rocprim17ROCPRIM_400000_NS6detail17trampoline_kernelINS0_14default_configENS1_35radix_sort_onesweep_config_selectorIiNS0_10empty_typeEEEZNS1_34radix_sort_onesweep_global_offsetsIS3_Lb0EPKiPS5_mNS0_19identity_decomposerEEE10hipError_tT1_T2_PT3_SF_jT4_jjP12ihipStream_tbEUlT_E_NS1_11comp_targetILNS1_3genE3ELNS1_11target_archE908ELNS1_3gpuE7ELNS1_3repE0EEENS1_52radix_sort_onesweep_histogram_config_static_selectorELNS0_4arch9wavefront6targetE0EEEvSD_.has_dyn_sized_stack, 0
	.set _ZN7rocprim17ROCPRIM_400000_NS6detail17trampoline_kernelINS0_14default_configENS1_35radix_sort_onesweep_config_selectorIiNS0_10empty_typeEEEZNS1_34radix_sort_onesweep_global_offsetsIS3_Lb0EPKiPS5_mNS0_19identity_decomposerEEE10hipError_tT1_T2_PT3_SF_jT4_jjP12ihipStream_tbEUlT_E_NS1_11comp_targetILNS1_3genE3ELNS1_11target_archE908ELNS1_3gpuE7ELNS1_3repE0EEENS1_52radix_sort_onesweep_histogram_config_static_selectorELNS0_4arch9wavefront6targetE0EEEvSD_.has_recursion, 0
	.set _ZN7rocprim17ROCPRIM_400000_NS6detail17trampoline_kernelINS0_14default_configENS1_35radix_sort_onesweep_config_selectorIiNS0_10empty_typeEEEZNS1_34radix_sort_onesweep_global_offsetsIS3_Lb0EPKiPS5_mNS0_19identity_decomposerEEE10hipError_tT1_T2_PT3_SF_jT4_jjP12ihipStream_tbEUlT_E_NS1_11comp_targetILNS1_3genE3ELNS1_11target_archE908ELNS1_3gpuE7ELNS1_3repE0EEENS1_52radix_sort_onesweep_histogram_config_static_selectorELNS0_4arch9wavefront6targetE0EEEvSD_.has_indirect_call, 0
	.section	.AMDGPU.csdata,"",@progbits
; Kernel info:
; codeLenInByte = 0
; TotalNumSgprs: 0
; NumVgprs: 0
; ScratchSize: 0
; MemoryBound: 0
; FloatMode: 240
; IeeeMode: 1
; LDSByteSize: 0 bytes/workgroup (compile time only)
; SGPRBlocks: 0
; VGPRBlocks: 0
; NumSGPRsForWavesPerEU: 1
; NumVGPRsForWavesPerEU: 1
; NamedBarCnt: 0
; Occupancy: 16
; WaveLimiterHint : 0
; COMPUTE_PGM_RSRC2:SCRATCH_EN: 0
; COMPUTE_PGM_RSRC2:USER_SGPR: 2
; COMPUTE_PGM_RSRC2:TRAP_HANDLER: 0
; COMPUTE_PGM_RSRC2:TGID_X_EN: 1
; COMPUTE_PGM_RSRC2:TGID_Y_EN: 0
; COMPUTE_PGM_RSRC2:TGID_Z_EN: 0
; COMPUTE_PGM_RSRC2:TIDIG_COMP_CNT: 0
	.section	.text._ZN7rocprim17ROCPRIM_400000_NS6detail17trampoline_kernelINS0_14default_configENS1_35radix_sort_onesweep_config_selectorIiNS0_10empty_typeEEEZNS1_34radix_sort_onesweep_global_offsetsIS3_Lb0EPKiPS5_mNS0_19identity_decomposerEEE10hipError_tT1_T2_PT3_SF_jT4_jjP12ihipStream_tbEUlT_E_NS1_11comp_targetILNS1_3genE10ELNS1_11target_archE1201ELNS1_3gpuE5ELNS1_3repE0EEENS1_52radix_sort_onesweep_histogram_config_static_selectorELNS0_4arch9wavefront6targetE0EEEvSD_,"axG",@progbits,_ZN7rocprim17ROCPRIM_400000_NS6detail17trampoline_kernelINS0_14default_configENS1_35radix_sort_onesweep_config_selectorIiNS0_10empty_typeEEEZNS1_34radix_sort_onesweep_global_offsetsIS3_Lb0EPKiPS5_mNS0_19identity_decomposerEEE10hipError_tT1_T2_PT3_SF_jT4_jjP12ihipStream_tbEUlT_E_NS1_11comp_targetILNS1_3genE10ELNS1_11target_archE1201ELNS1_3gpuE5ELNS1_3repE0EEENS1_52radix_sort_onesweep_histogram_config_static_selectorELNS0_4arch9wavefront6targetE0EEEvSD_,comdat
	.protected	_ZN7rocprim17ROCPRIM_400000_NS6detail17trampoline_kernelINS0_14default_configENS1_35radix_sort_onesweep_config_selectorIiNS0_10empty_typeEEEZNS1_34radix_sort_onesweep_global_offsetsIS3_Lb0EPKiPS5_mNS0_19identity_decomposerEEE10hipError_tT1_T2_PT3_SF_jT4_jjP12ihipStream_tbEUlT_E_NS1_11comp_targetILNS1_3genE10ELNS1_11target_archE1201ELNS1_3gpuE5ELNS1_3repE0EEENS1_52radix_sort_onesweep_histogram_config_static_selectorELNS0_4arch9wavefront6targetE0EEEvSD_ ; -- Begin function _ZN7rocprim17ROCPRIM_400000_NS6detail17trampoline_kernelINS0_14default_configENS1_35radix_sort_onesweep_config_selectorIiNS0_10empty_typeEEEZNS1_34radix_sort_onesweep_global_offsetsIS3_Lb0EPKiPS5_mNS0_19identity_decomposerEEE10hipError_tT1_T2_PT3_SF_jT4_jjP12ihipStream_tbEUlT_E_NS1_11comp_targetILNS1_3genE10ELNS1_11target_archE1201ELNS1_3gpuE5ELNS1_3repE0EEENS1_52radix_sort_onesweep_histogram_config_static_selectorELNS0_4arch9wavefront6targetE0EEEvSD_
	.globl	_ZN7rocprim17ROCPRIM_400000_NS6detail17trampoline_kernelINS0_14default_configENS1_35radix_sort_onesweep_config_selectorIiNS0_10empty_typeEEEZNS1_34radix_sort_onesweep_global_offsetsIS3_Lb0EPKiPS5_mNS0_19identity_decomposerEEE10hipError_tT1_T2_PT3_SF_jT4_jjP12ihipStream_tbEUlT_E_NS1_11comp_targetILNS1_3genE10ELNS1_11target_archE1201ELNS1_3gpuE5ELNS1_3repE0EEENS1_52radix_sort_onesweep_histogram_config_static_selectorELNS0_4arch9wavefront6targetE0EEEvSD_
	.p2align	8
	.type	_ZN7rocprim17ROCPRIM_400000_NS6detail17trampoline_kernelINS0_14default_configENS1_35radix_sort_onesweep_config_selectorIiNS0_10empty_typeEEEZNS1_34radix_sort_onesweep_global_offsetsIS3_Lb0EPKiPS5_mNS0_19identity_decomposerEEE10hipError_tT1_T2_PT3_SF_jT4_jjP12ihipStream_tbEUlT_E_NS1_11comp_targetILNS1_3genE10ELNS1_11target_archE1201ELNS1_3gpuE5ELNS1_3repE0EEENS1_52radix_sort_onesweep_histogram_config_static_selectorELNS0_4arch9wavefront6targetE0EEEvSD_,@function
_ZN7rocprim17ROCPRIM_400000_NS6detail17trampoline_kernelINS0_14default_configENS1_35radix_sort_onesweep_config_selectorIiNS0_10empty_typeEEEZNS1_34radix_sort_onesweep_global_offsetsIS3_Lb0EPKiPS5_mNS0_19identity_decomposerEEE10hipError_tT1_T2_PT3_SF_jT4_jjP12ihipStream_tbEUlT_E_NS1_11comp_targetILNS1_3genE10ELNS1_11target_archE1201ELNS1_3gpuE5ELNS1_3repE0EEENS1_52radix_sort_onesweep_histogram_config_static_selectorELNS0_4arch9wavefront6targetE0EEEvSD_: ; @_ZN7rocprim17ROCPRIM_400000_NS6detail17trampoline_kernelINS0_14default_configENS1_35radix_sort_onesweep_config_selectorIiNS0_10empty_typeEEEZNS1_34radix_sort_onesweep_global_offsetsIS3_Lb0EPKiPS5_mNS0_19identity_decomposerEEE10hipError_tT1_T2_PT3_SF_jT4_jjP12ihipStream_tbEUlT_E_NS1_11comp_targetILNS1_3genE10ELNS1_11target_archE1201ELNS1_3gpuE5ELNS1_3repE0EEENS1_52radix_sort_onesweep_histogram_config_static_selectorELNS0_4arch9wavefront6targetE0EEEvSD_
; %bb.0:
	.section	.rodata,"a",@progbits
	.p2align	6, 0x0
	.amdhsa_kernel _ZN7rocprim17ROCPRIM_400000_NS6detail17trampoline_kernelINS0_14default_configENS1_35radix_sort_onesweep_config_selectorIiNS0_10empty_typeEEEZNS1_34radix_sort_onesweep_global_offsetsIS3_Lb0EPKiPS5_mNS0_19identity_decomposerEEE10hipError_tT1_T2_PT3_SF_jT4_jjP12ihipStream_tbEUlT_E_NS1_11comp_targetILNS1_3genE10ELNS1_11target_archE1201ELNS1_3gpuE5ELNS1_3repE0EEENS1_52radix_sort_onesweep_histogram_config_static_selectorELNS0_4arch9wavefront6targetE0EEEvSD_
		.amdhsa_group_segment_fixed_size 0
		.amdhsa_private_segment_fixed_size 0
		.amdhsa_kernarg_size 48
		.amdhsa_user_sgpr_count 2
		.amdhsa_user_sgpr_dispatch_ptr 0
		.amdhsa_user_sgpr_queue_ptr 0
		.amdhsa_user_sgpr_kernarg_segment_ptr 1
		.amdhsa_user_sgpr_dispatch_id 0
		.amdhsa_user_sgpr_kernarg_preload_length 0
		.amdhsa_user_sgpr_kernarg_preload_offset 0
		.amdhsa_user_sgpr_private_segment_size 0
		.amdhsa_wavefront_size32 1
		.amdhsa_uses_dynamic_stack 0
		.amdhsa_enable_private_segment 0
		.amdhsa_system_sgpr_workgroup_id_x 1
		.amdhsa_system_sgpr_workgroup_id_y 0
		.amdhsa_system_sgpr_workgroup_id_z 0
		.amdhsa_system_sgpr_workgroup_info 0
		.amdhsa_system_vgpr_workitem_id 0
		.amdhsa_next_free_vgpr 1
		.amdhsa_next_free_sgpr 1
		.amdhsa_named_barrier_count 0
		.amdhsa_reserve_vcc 0
		.amdhsa_float_round_mode_32 0
		.amdhsa_float_round_mode_16_64 0
		.amdhsa_float_denorm_mode_32 3
		.amdhsa_float_denorm_mode_16_64 3
		.amdhsa_fp16_overflow 0
		.amdhsa_memory_ordered 1
		.amdhsa_forward_progress 1
		.amdhsa_inst_pref_size 0
		.amdhsa_round_robin_scheduling 0
		.amdhsa_exception_fp_ieee_invalid_op 0
		.amdhsa_exception_fp_denorm_src 0
		.amdhsa_exception_fp_ieee_div_zero 0
		.amdhsa_exception_fp_ieee_overflow 0
		.amdhsa_exception_fp_ieee_underflow 0
		.amdhsa_exception_fp_ieee_inexact 0
		.amdhsa_exception_int_div_zero 0
	.end_amdhsa_kernel
	.section	.text._ZN7rocprim17ROCPRIM_400000_NS6detail17trampoline_kernelINS0_14default_configENS1_35radix_sort_onesweep_config_selectorIiNS0_10empty_typeEEEZNS1_34radix_sort_onesweep_global_offsetsIS3_Lb0EPKiPS5_mNS0_19identity_decomposerEEE10hipError_tT1_T2_PT3_SF_jT4_jjP12ihipStream_tbEUlT_E_NS1_11comp_targetILNS1_3genE10ELNS1_11target_archE1201ELNS1_3gpuE5ELNS1_3repE0EEENS1_52radix_sort_onesweep_histogram_config_static_selectorELNS0_4arch9wavefront6targetE0EEEvSD_,"axG",@progbits,_ZN7rocprim17ROCPRIM_400000_NS6detail17trampoline_kernelINS0_14default_configENS1_35radix_sort_onesweep_config_selectorIiNS0_10empty_typeEEEZNS1_34radix_sort_onesweep_global_offsetsIS3_Lb0EPKiPS5_mNS0_19identity_decomposerEEE10hipError_tT1_T2_PT3_SF_jT4_jjP12ihipStream_tbEUlT_E_NS1_11comp_targetILNS1_3genE10ELNS1_11target_archE1201ELNS1_3gpuE5ELNS1_3repE0EEENS1_52radix_sort_onesweep_histogram_config_static_selectorELNS0_4arch9wavefront6targetE0EEEvSD_,comdat
.Lfunc_end948:
	.size	_ZN7rocprim17ROCPRIM_400000_NS6detail17trampoline_kernelINS0_14default_configENS1_35radix_sort_onesweep_config_selectorIiNS0_10empty_typeEEEZNS1_34radix_sort_onesweep_global_offsetsIS3_Lb0EPKiPS5_mNS0_19identity_decomposerEEE10hipError_tT1_T2_PT3_SF_jT4_jjP12ihipStream_tbEUlT_E_NS1_11comp_targetILNS1_3genE10ELNS1_11target_archE1201ELNS1_3gpuE5ELNS1_3repE0EEENS1_52radix_sort_onesweep_histogram_config_static_selectorELNS0_4arch9wavefront6targetE0EEEvSD_, .Lfunc_end948-_ZN7rocprim17ROCPRIM_400000_NS6detail17trampoline_kernelINS0_14default_configENS1_35radix_sort_onesweep_config_selectorIiNS0_10empty_typeEEEZNS1_34radix_sort_onesweep_global_offsetsIS3_Lb0EPKiPS5_mNS0_19identity_decomposerEEE10hipError_tT1_T2_PT3_SF_jT4_jjP12ihipStream_tbEUlT_E_NS1_11comp_targetILNS1_3genE10ELNS1_11target_archE1201ELNS1_3gpuE5ELNS1_3repE0EEENS1_52radix_sort_onesweep_histogram_config_static_selectorELNS0_4arch9wavefront6targetE0EEEvSD_
                                        ; -- End function
	.set _ZN7rocprim17ROCPRIM_400000_NS6detail17trampoline_kernelINS0_14default_configENS1_35radix_sort_onesweep_config_selectorIiNS0_10empty_typeEEEZNS1_34radix_sort_onesweep_global_offsetsIS3_Lb0EPKiPS5_mNS0_19identity_decomposerEEE10hipError_tT1_T2_PT3_SF_jT4_jjP12ihipStream_tbEUlT_E_NS1_11comp_targetILNS1_3genE10ELNS1_11target_archE1201ELNS1_3gpuE5ELNS1_3repE0EEENS1_52radix_sort_onesweep_histogram_config_static_selectorELNS0_4arch9wavefront6targetE0EEEvSD_.num_vgpr, 0
	.set _ZN7rocprim17ROCPRIM_400000_NS6detail17trampoline_kernelINS0_14default_configENS1_35radix_sort_onesweep_config_selectorIiNS0_10empty_typeEEEZNS1_34radix_sort_onesweep_global_offsetsIS3_Lb0EPKiPS5_mNS0_19identity_decomposerEEE10hipError_tT1_T2_PT3_SF_jT4_jjP12ihipStream_tbEUlT_E_NS1_11comp_targetILNS1_3genE10ELNS1_11target_archE1201ELNS1_3gpuE5ELNS1_3repE0EEENS1_52radix_sort_onesweep_histogram_config_static_selectorELNS0_4arch9wavefront6targetE0EEEvSD_.num_agpr, 0
	.set _ZN7rocprim17ROCPRIM_400000_NS6detail17trampoline_kernelINS0_14default_configENS1_35radix_sort_onesweep_config_selectorIiNS0_10empty_typeEEEZNS1_34radix_sort_onesweep_global_offsetsIS3_Lb0EPKiPS5_mNS0_19identity_decomposerEEE10hipError_tT1_T2_PT3_SF_jT4_jjP12ihipStream_tbEUlT_E_NS1_11comp_targetILNS1_3genE10ELNS1_11target_archE1201ELNS1_3gpuE5ELNS1_3repE0EEENS1_52radix_sort_onesweep_histogram_config_static_selectorELNS0_4arch9wavefront6targetE0EEEvSD_.numbered_sgpr, 0
	.set _ZN7rocprim17ROCPRIM_400000_NS6detail17trampoline_kernelINS0_14default_configENS1_35radix_sort_onesweep_config_selectorIiNS0_10empty_typeEEEZNS1_34radix_sort_onesweep_global_offsetsIS3_Lb0EPKiPS5_mNS0_19identity_decomposerEEE10hipError_tT1_T2_PT3_SF_jT4_jjP12ihipStream_tbEUlT_E_NS1_11comp_targetILNS1_3genE10ELNS1_11target_archE1201ELNS1_3gpuE5ELNS1_3repE0EEENS1_52radix_sort_onesweep_histogram_config_static_selectorELNS0_4arch9wavefront6targetE0EEEvSD_.num_named_barrier, 0
	.set _ZN7rocprim17ROCPRIM_400000_NS6detail17trampoline_kernelINS0_14default_configENS1_35radix_sort_onesweep_config_selectorIiNS0_10empty_typeEEEZNS1_34radix_sort_onesweep_global_offsetsIS3_Lb0EPKiPS5_mNS0_19identity_decomposerEEE10hipError_tT1_T2_PT3_SF_jT4_jjP12ihipStream_tbEUlT_E_NS1_11comp_targetILNS1_3genE10ELNS1_11target_archE1201ELNS1_3gpuE5ELNS1_3repE0EEENS1_52radix_sort_onesweep_histogram_config_static_selectorELNS0_4arch9wavefront6targetE0EEEvSD_.private_seg_size, 0
	.set _ZN7rocprim17ROCPRIM_400000_NS6detail17trampoline_kernelINS0_14default_configENS1_35radix_sort_onesweep_config_selectorIiNS0_10empty_typeEEEZNS1_34radix_sort_onesweep_global_offsetsIS3_Lb0EPKiPS5_mNS0_19identity_decomposerEEE10hipError_tT1_T2_PT3_SF_jT4_jjP12ihipStream_tbEUlT_E_NS1_11comp_targetILNS1_3genE10ELNS1_11target_archE1201ELNS1_3gpuE5ELNS1_3repE0EEENS1_52radix_sort_onesweep_histogram_config_static_selectorELNS0_4arch9wavefront6targetE0EEEvSD_.uses_vcc, 0
	.set _ZN7rocprim17ROCPRIM_400000_NS6detail17trampoline_kernelINS0_14default_configENS1_35radix_sort_onesweep_config_selectorIiNS0_10empty_typeEEEZNS1_34radix_sort_onesweep_global_offsetsIS3_Lb0EPKiPS5_mNS0_19identity_decomposerEEE10hipError_tT1_T2_PT3_SF_jT4_jjP12ihipStream_tbEUlT_E_NS1_11comp_targetILNS1_3genE10ELNS1_11target_archE1201ELNS1_3gpuE5ELNS1_3repE0EEENS1_52radix_sort_onesweep_histogram_config_static_selectorELNS0_4arch9wavefront6targetE0EEEvSD_.uses_flat_scratch, 0
	.set _ZN7rocprim17ROCPRIM_400000_NS6detail17trampoline_kernelINS0_14default_configENS1_35radix_sort_onesweep_config_selectorIiNS0_10empty_typeEEEZNS1_34radix_sort_onesweep_global_offsetsIS3_Lb0EPKiPS5_mNS0_19identity_decomposerEEE10hipError_tT1_T2_PT3_SF_jT4_jjP12ihipStream_tbEUlT_E_NS1_11comp_targetILNS1_3genE10ELNS1_11target_archE1201ELNS1_3gpuE5ELNS1_3repE0EEENS1_52radix_sort_onesweep_histogram_config_static_selectorELNS0_4arch9wavefront6targetE0EEEvSD_.has_dyn_sized_stack, 0
	.set _ZN7rocprim17ROCPRIM_400000_NS6detail17trampoline_kernelINS0_14default_configENS1_35radix_sort_onesweep_config_selectorIiNS0_10empty_typeEEEZNS1_34radix_sort_onesweep_global_offsetsIS3_Lb0EPKiPS5_mNS0_19identity_decomposerEEE10hipError_tT1_T2_PT3_SF_jT4_jjP12ihipStream_tbEUlT_E_NS1_11comp_targetILNS1_3genE10ELNS1_11target_archE1201ELNS1_3gpuE5ELNS1_3repE0EEENS1_52radix_sort_onesweep_histogram_config_static_selectorELNS0_4arch9wavefront6targetE0EEEvSD_.has_recursion, 0
	.set _ZN7rocprim17ROCPRIM_400000_NS6detail17trampoline_kernelINS0_14default_configENS1_35radix_sort_onesweep_config_selectorIiNS0_10empty_typeEEEZNS1_34radix_sort_onesweep_global_offsetsIS3_Lb0EPKiPS5_mNS0_19identity_decomposerEEE10hipError_tT1_T2_PT3_SF_jT4_jjP12ihipStream_tbEUlT_E_NS1_11comp_targetILNS1_3genE10ELNS1_11target_archE1201ELNS1_3gpuE5ELNS1_3repE0EEENS1_52radix_sort_onesweep_histogram_config_static_selectorELNS0_4arch9wavefront6targetE0EEEvSD_.has_indirect_call, 0
	.section	.AMDGPU.csdata,"",@progbits
; Kernel info:
; codeLenInByte = 0
; TotalNumSgprs: 0
; NumVgprs: 0
; ScratchSize: 0
; MemoryBound: 0
; FloatMode: 240
; IeeeMode: 1
; LDSByteSize: 0 bytes/workgroup (compile time only)
; SGPRBlocks: 0
; VGPRBlocks: 0
; NumSGPRsForWavesPerEU: 1
; NumVGPRsForWavesPerEU: 1
; NamedBarCnt: 0
; Occupancy: 16
; WaveLimiterHint : 0
; COMPUTE_PGM_RSRC2:SCRATCH_EN: 0
; COMPUTE_PGM_RSRC2:USER_SGPR: 2
; COMPUTE_PGM_RSRC2:TRAP_HANDLER: 0
; COMPUTE_PGM_RSRC2:TGID_X_EN: 1
; COMPUTE_PGM_RSRC2:TGID_Y_EN: 0
; COMPUTE_PGM_RSRC2:TGID_Z_EN: 0
; COMPUTE_PGM_RSRC2:TIDIG_COMP_CNT: 0
	.section	.text._ZN7rocprim17ROCPRIM_400000_NS6detail17trampoline_kernelINS0_14default_configENS1_35radix_sort_onesweep_config_selectorIiNS0_10empty_typeEEEZNS1_34radix_sort_onesweep_global_offsetsIS3_Lb0EPKiPS5_mNS0_19identity_decomposerEEE10hipError_tT1_T2_PT3_SF_jT4_jjP12ihipStream_tbEUlT_E_NS1_11comp_targetILNS1_3genE9ELNS1_11target_archE1100ELNS1_3gpuE3ELNS1_3repE0EEENS1_52radix_sort_onesweep_histogram_config_static_selectorELNS0_4arch9wavefront6targetE0EEEvSD_,"axG",@progbits,_ZN7rocprim17ROCPRIM_400000_NS6detail17trampoline_kernelINS0_14default_configENS1_35radix_sort_onesweep_config_selectorIiNS0_10empty_typeEEEZNS1_34radix_sort_onesweep_global_offsetsIS3_Lb0EPKiPS5_mNS0_19identity_decomposerEEE10hipError_tT1_T2_PT3_SF_jT4_jjP12ihipStream_tbEUlT_E_NS1_11comp_targetILNS1_3genE9ELNS1_11target_archE1100ELNS1_3gpuE3ELNS1_3repE0EEENS1_52radix_sort_onesweep_histogram_config_static_selectorELNS0_4arch9wavefront6targetE0EEEvSD_,comdat
	.protected	_ZN7rocprim17ROCPRIM_400000_NS6detail17trampoline_kernelINS0_14default_configENS1_35radix_sort_onesweep_config_selectorIiNS0_10empty_typeEEEZNS1_34radix_sort_onesweep_global_offsetsIS3_Lb0EPKiPS5_mNS0_19identity_decomposerEEE10hipError_tT1_T2_PT3_SF_jT4_jjP12ihipStream_tbEUlT_E_NS1_11comp_targetILNS1_3genE9ELNS1_11target_archE1100ELNS1_3gpuE3ELNS1_3repE0EEENS1_52radix_sort_onesweep_histogram_config_static_selectorELNS0_4arch9wavefront6targetE0EEEvSD_ ; -- Begin function _ZN7rocprim17ROCPRIM_400000_NS6detail17trampoline_kernelINS0_14default_configENS1_35radix_sort_onesweep_config_selectorIiNS0_10empty_typeEEEZNS1_34radix_sort_onesweep_global_offsetsIS3_Lb0EPKiPS5_mNS0_19identity_decomposerEEE10hipError_tT1_T2_PT3_SF_jT4_jjP12ihipStream_tbEUlT_E_NS1_11comp_targetILNS1_3genE9ELNS1_11target_archE1100ELNS1_3gpuE3ELNS1_3repE0EEENS1_52radix_sort_onesweep_histogram_config_static_selectorELNS0_4arch9wavefront6targetE0EEEvSD_
	.globl	_ZN7rocprim17ROCPRIM_400000_NS6detail17trampoline_kernelINS0_14default_configENS1_35radix_sort_onesweep_config_selectorIiNS0_10empty_typeEEEZNS1_34radix_sort_onesweep_global_offsetsIS3_Lb0EPKiPS5_mNS0_19identity_decomposerEEE10hipError_tT1_T2_PT3_SF_jT4_jjP12ihipStream_tbEUlT_E_NS1_11comp_targetILNS1_3genE9ELNS1_11target_archE1100ELNS1_3gpuE3ELNS1_3repE0EEENS1_52radix_sort_onesweep_histogram_config_static_selectorELNS0_4arch9wavefront6targetE0EEEvSD_
	.p2align	8
	.type	_ZN7rocprim17ROCPRIM_400000_NS6detail17trampoline_kernelINS0_14default_configENS1_35radix_sort_onesweep_config_selectorIiNS0_10empty_typeEEEZNS1_34radix_sort_onesweep_global_offsetsIS3_Lb0EPKiPS5_mNS0_19identity_decomposerEEE10hipError_tT1_T2_PT3_SF_jT4_jjP12ihipStream_tbEUlT_E_NS1_11comp_targetILNS1_3genE9ELNS1_11target_archE1100ELNS1_3gpuE3ELNS1_3repE0EEENS1_52radix_sort_onesweep_histogram_config_static_selectorELNS0_4arch9wavefront6targetE0EEEvSD_,@function
_ZN7rocprim17ROCPRIM_400000_NS6detail17trampoline_kernelINS0_14default_configENS1_35radix_sort_onesweep_config_selectorIiNS0_10empty_typeEEEZNS1_34radix_sort_onesweep_global_offsetsIS3_Lb0EPKiPS5_mNS0_19identity_decomposerEEE10hipError_tT1_T2_PT3_SF_jT4_jjP12ihipStream_tbEUlT_E_NS1_11comp_targetILNS1_3genE9ELNS1_11target_archE1100ELNS1_3gpuE3ELNS1_3repE0EEENS1_52radix_sort_onesweep_histogram_config_static_selectorELNS0_4arch9wavefront6targetE0EEEvSD_: ; @_ZN7rocprim17ROCPRIM_400000_NS6detail17trampoline_kernelINS0_14default_configENS1_35radix_sort_onesweep_config_selectorIiNS0_10empty_typeEEEZNS1_34radix_sort_onesweep_global_offsetsIS3_Lb0EPKiPS5_mNS0_19identity_decomposerEEE10hipError_tT1_T2_PT3_SF_jT4_jjP12ihipStream_tbEUlT_E_NS1_11comp_targetILNS1_3genE9ELNS1_11target_archE1100ELNS1_3gpuE3ELNS1_3repE0EEENS1_52radix_sort_onesweep_histogram_config_static_selectorELNS0_4arch9wavefront6targetE0EEEvSD_
; %bb.0:
	.section	.rodata,"a",@progbits
	.p2align	6, 0x0
	.amdhsa_kernel _ZN7rocprim17ROCPRIM_400000_NS6detail17trampoline_kernelINS0_14default_configENS1_35radix_sort_onesweep_config_selectorIiNS0_10empty_typeEEEZNS1_34radix_sort_onesweep_global_offsetsIS3_Lb0EPKiPS5_mNS0_19identity_decomposerEEE10hipError_tT1_T2_PT3_SF_jT4_jjP12ihipStream_tbEUlT_E_NS1_11comp_targetILNS1_3genE9ELNS1_11target_archE1100ELNS1_3gpuE3ELNS1_3repE0EEENS1_52radix_sort_onesweep_histogram_config_static_selectorELNS0_4arch9wavefront6targetE0EEEvSD_
		.amdhsa_group_segment_fixed_size 0
		.amdhsa_private_segment_fixed_size 0
		.amdhsa_kernarg_size 48
		.amdhsa_user_sgpr_count 2
		.amdhsa_user_sgpr_dispatch_ptr 0
		.amdhsa_user_sgpr_queue_ptr 0
		.amdhsa_user_sgpr_kernarg_segment_ptr 1
		.amdhsa_user_sgpr_dispatch_id 0
		.amdhsa_user_sgpr_kernarg_preload_length 0
		.amdhsa_user_sgpr_kernarg_preload_offset 0
		.amdhsa_user_sgpr_private_segment_size 0
		.amdhsa_wavefront_size32 1
		.amdhsa_uses_dynamic_stack 0
		.amdhsa_enable_private_segment 0
		.amdhsa_system_sgpr_workgroup_id_x 1
		.amdhsa_system_sgpr_workgroup_id_y 0
		.amdhsa_system_sgpr_workgroup_id_z 0
		.amdhsa_system_sgpr_workgroup_info 0
		.amdhsa_system_vgpr_workitem_id 0
		.amdhsa_next_free_vgpr 1
		.amdhsa_next_free_sgpr 1
		.amdhsa_named_barrier_count 0
		.amdhsa_reserve_vcc 0
		.amdhsa_float_round_mode_32 0
		.amdhsa_float_round_mode_16_64 0
		.amdhsa_float_denorm_mode_32 3
		.amdhsa_float_denorm_mode_16_64 3
		.amdhsa_fp16_overflow 0
		.amdhsa_memory_ordered 1
		.amdhsa_forward_progress 1
		.amdhsa_inst_pref_size 0
		.amdhsa_round_robin_scheduling 0
		.amdhsa_exception_fp_ieee_invalid_op 0
		.amdhsa_exception_fp_denorm_src 0
		.amdhsa_exception_fp_ieee_div_zero 0
		.amdhsa_exception_fp_ieee_overflow 0
		.amdhsa_exception_fp_ieee_underflow 0
		.amdhsa_exception_fp_ieee_inexact 0
		.amdhsa_exception_int_div_zero 0
	.end_amdhsa_kernel
	.section	.text._ZN7rocprim17ROCPRIM_400000_NS6detail17trampoline_kernelINS0_14default_configENS1_35radix_sort_onesweep_config_selectorIiNS0_10empty_typeEEEZNS1_34radix_sort_onesweep_global_offsetsIS3_Lb0EPKiPS5_mNS0_19identity_decomposerEEE10hipError_tT1_T2_PT3_SF_jT4_jjP12ihipStream_tbEUlT_E_NS1_11comp_targetILNS1_3genE9ELNS1_11target_archE1100ELNS1_3gpuE3ELNS1_3repE0EEENS1_52radix_sort_onesweep_histogram_config_static_selectorELNS0_4arch9wavefront6targetE0EEEvSD_,"axG",@progbits,_ZN7rocprim17ROCPRIM_400000_NS6detail17trampoline_kernelINS0_14default_configENS1_35radix_sort_onesweep_config_selectorIiNS0_10empty_typeEEEZNS1_34radix_sort_onesweep_global_offsetsIS3_Lb0EPKiPS5_mNS0_19identity_decomposerEEE10hipError_tT1_T2_PT3_SF_jT4_jjP12ihipStream_tbEUlT_E_NS1_11comp_targetILNS1_3genE9ELNS1_11target_archE1100ELNS1_3gpuE3ELNS1_3repE0EEENS1_52radix_sort_onesweep_histogram_config_static_selectorELNS0_4arch9wavefront6targetE0EEEvSD_,comdat
.Lfunc_end949:
	.size	_ZN7rocprim17ROCPRIM_400000_NS6detail17trampoline_kernelINS0_14default_configENS1_35radix_sort_onesweep_config_selectorIiNS0_10empty_typeEEEZNS1_34radix_sort_onesweep_global_offsetsIS3_Lb0EPKiPS5_mNS0_19identity_decomposerEEE10hipError_tT1_T2_PT3_SF_jT4_jjP12ihipStream_tbEUlT_E_NS1_11comp_targetILNS1_3genE9ELNS1_11target_archE1100ELNS1_3gpuE3ELNS1_3repE0EEENS1_52radix_sort_onesweep_histogram_config_static_selectorELNS0_4arch9wavefront6targetE0EEEvSD_, .Lfunc_end949-_ZN7rocprim17ROCPRIM_400000_NS6detail17trampoline_kernelINS0_14default_configENS1_35radix_sort_onesweep_config_selectorIiNS0_10empty_typeEEEZNS1_34radix_sort_onesweep_global_offsetsIS3_Lb0EPKiPS5_mNS0_19identity_decomposerEEE10hipError_tT1_T2_PT3_SF_jT4_jjP12ihipStream_tbEUlT_E_NS1_11comp_targetILNS1_3genE9ELNS1_11target_archE1100ELNS1_3gpuE3ELNS1_3repE0EEENS1_52radix_sort_onesweep_histogram_config_static_selectorELNS0_4arch9wavefront6targetE0EEEvSD_
                                        ; -- End function
	.set _ZN7rocprim17ROCPRIM_400000_NS6detail17trampoline_kernelINS0_14default_configENS1_35radix_sort_onesweep_config_selectorIiNS0_10empty_typeEEEZNS1_34radix_sort_onesweep_global_offsetsIS3_Lb0EPKiPS5_mNS0_19identity_decomposerEEE10hipError_tT1_T2_PT3_SF_jT4_jjP12ihipStream_tbEUlT_E_NS1_11comp_targetILNS1_3genE9ELNS1_11target_archE1100ELNS1_3gpuE3ELNS1_3repE0EEENS1_52radix_sort_onesweep_histogram_config_static_selectorELNS0_4arch9wavefront6targetE0EEEvSD_.num_vgpr, 0
	.set _ZN7rocprim17ROCPRIM_400000_NS6detail17trampoline_kernelINS0_14default_configENS1_35radix_sort_onesweep_config_selectorIiNS0_10empty_typeEEEZNS1_34radix_sort_onesweep_global_offsetsIS3_Lb0EPKiPS5_mNS0_19identity_decomposerEEE10hipError_tT1_T2_PT3_SF_jT4_jjP12ihipStream_tbEUlT_E_NS1_11comp_targetILNS1_3genE9ELNS1_11target_archE1100ELNS1_3gpuE3ELNS1_3repE0EEENS1_52radix_sort_onesweep_histogram_config_static_selectorELNS0_4arch9wavefront6targetE0EEEvSD_.num_agpr, 0
	.set _ZN7rocprim17ROCPRIM_400000_NS6detail17trampoline_kernelINS0_14default_configENS1_35radix_sort_onesweep_config_selectorIiNS0_10empty_typeEEEZNS1_34radix_sort_onesweep_global_offsetsIS3_Lb0EPKiPS5_mNS0_19identity_decomposerEEE10hipError_tT1_T2_PT3_SF_jT4_jjP12ihipStream_tbEUlT_E_NS1_11comp_targetILNS1_3genE9ELNS1_11target_archE1100ELNS1_3gpuE3ELNS1_3repE0EEENS1_52radix_sort_onesweep_histogram_config_static_selectorELNS0_4arch9wavefront6targetE0EEEvSD_.numbered_sgpr, 0
	.set _ZN7rocprim17ROCPRIM_400000_NS6detail17trampoline_kernelINS0_14default_configENS1_35radix_sort_onesweep_config_selectorIiNS0_10empty_typeEEEZNS1_34radix_sort_onesweep_global_offsetsIS3_Lb0EPKiPS5_mNS0_19identity_decomposerEEE10hipError_tT1_T2_PT3_SF_jT4_jjP12ihipStream_tbEUlT_E_NS1_11comp_targetILNS1_3genE9ELNS1_11target_archE1100ELNS1_3gpuE3ELNS1_3repE0EEENS1_52radix_sort_onesweep_histogram_config_static_selectorELNS0_4arch9wavefront6targetE0EEEvSD_.num_named_barrier, 0
	.set _ZN7rocprim17ROCPRIM_400000_NS6detail17trampoline_kernelINS0_14default_configENS1_35radix_sort_onesweep_config_selectorIiNS0_10empty_typeEEEZNS1_34radix_sort_onesweep_global_offsetsIS3_Lb0EPKiPS5_mNS0_19identity_decomposerEEE10hipError_tT1_T2_PT3_SF_jT4_jjP12ihipStream_tbEUlT_E_NS1_11comp_targetILNS1_3genE9ELNS1_11target_archE1100ELNS1_3gpuE3ELNS1_3repE0EEENS1_52radix_sort_onesweep_histogram_config_static_selectorELNS0_4arch9wavefront6targetE0EEEvSD_.private_seg_size, 0
	.set _ZN7rocprim17ROCPRIM_400000_NS6detail17trampoline_kernelINS0_14default_configENS1_35radix_sort_onesweep_config_selectorIiNS0_10empty_typeEEEZNS1_34radix_sort_onesweep_global_offsetsIS3_Lb0EPKiPS5_mNS0_19identity_decomposerEEE10hipError_tT1_T2_PT3_SF_jT4_jjP12ihipStream_tbEUlT_E_NS1_11comp_targetILNS1_3genE9ELNS1_11target_archE1100ELNS1_3gpuE3ELNS1_3repE0EEENS1_52radix_sort_onesweep_histogram_config_static_selectorELNS0_4arch9wavefront6targetE0EEEvSD_.uses_vcc, 0
	.set _ZN7rocprim17ROCPRIM_400000_NS6detail17trampoline_kernelINS0_14default_configENS1_35radix_sort_onesweep_config_selectorIiNS0_10empty_typeEEEZNS1_34radix_sort_onesweep_global_offsetsIS3_Lb0EPKiPS5_mNS0_19identity_decomposerEEE10hipError_tT1_T2_PT3_SF_jT4_jjP12ihipStream_tbEUlT_E_NS1_11comp_targetILNS1_3genE9ELNS1_11target_archE1100ELNS1_3gpuE3ELNS1_3repE0EEENS1_52radix_sort_onesweep_histogram_config_static_selectorELNS0_4arch9wavefront6targetE0EEEvSD_.uses_flat_scratch, 0
	.set _ZN7rocprim17ROCPRIM_400000_NS6detail17trampoline_kernelINS0_14default_configENS1_35radix_sort_onesweep_config_selectorIiNS0_10empty_typeEEEZNS1_34radix_sort_onesweep_global_offsetsIS3_Lb0EPKiPS5_mNS0_19identity_decomposerEEE10hipError_tT1_T2_PT3_SF_jT4_jjP12ihipStream_tbEUlT_E_NS1_11comp_targetILNS1_3genE9ELNS1_11target_archE1100ELNS1_3gpuE3ELNS1_3repE0EEENS1_52radix_sort_onesweep_histogram_config_static_selectorELNS0_4arch9wavefront6targetE0EEEvSD_.has_dyn_sized_stack, 0
	.set _ZN7rocprim17ROCPRIM_400000_NS6detail17trampoline_kernelINS0_14default_configENS1_35radix_sort_onesweep_config_selectorIiNS0_10empty_typeEEEZNS1_34radix_sort_onesweep_global_offsetsIS3_Lb0EPKiPS5_mNS0_19identity_decomposerEEE10hipError_tT1_T2_PT3_SF_jT4_jjP12ihipStream_tbEUlT_E_NS1_11comp_targetILNS1_3genE9ELNS1_11target_archE1100ELNS1_3gpuE3ELNS1_3repE0EEENS1_52radix_sort_onesweep_histogram_config_static_selectorELNS0_4arch9wavefront6targetE0EEEvSD_.has_recursion, 0
	.set _ZN7rocprim17ROCPRIM_400000_NS6detail17trampoline_kernelINS0_14default_configENS1_35radix_sort_onesweep_config_selectorIiNS0_10empty_typeEEEZNS1_34radix_sort_onesweep_global_offsetsIS3_Lb0EPKiPS5_mNS0_19identity_decomposerEEE10hipError_tT1_T2_PT3_SF_jT4_jjP12ihipStream_tbEUlT_E_NS1_11comp_targetILNS1_3genE9ELNS1_11target_archE1100ELNS1_3gpuE3ELNS1_3repE0EEENS1_52radix_sort_onesweep_histogram_config_static_selectorELNS0_4arch9wavefront6targetE0EEEvSD_.has_indirect_call, 0
	.section	.AMDGPU.csdata,"",@progbits
; Kernel info:
; codeLenInByte = 0
; TotalNumSgprs: 0
; NumVgprs: 0
; ScratchSize: 0
; MemoryBound: 0
; FloatMode: 240
; IeeeMode: 1
; LDSByteSize: 0 bytes/workgroup (compile time only)
; SGPRBlocks: 0
; VGPRBlocks: 0
; NumSGPRsForWavesPerEU: 1
; NumVGPRsForWavesPerEU: 1
; NamedBarCnt: 0
; Occupancy: 16
; WaveLimiterHint : 0
; COMPUTE_PGM_RSRC2:SCRATCH_EN: 0
; COMPUTE_PGM_RSRC2:USER_SGPR: 2
; COMPUTE_PGM_RSRC2:TRAP_HANDLER: 0
; COMPUTE_PGM_RSRC2:TGID_X_EN: 1
; COMPUTE_PGM_RSRC2:TGID_Y_EN: 0
; COMPUTE_PGM_RSRC2:TGID_Z_EN: 0
; COMPUTE_PGM_RSRC2:TIDIG_COMP_CNT: 0
	.section	.text._ZN7rocprim17ROCPRIM_400000_NS6detail17trampoline_kernelINS0_14default_configENS1_35radix_sort_onesweep_config_selectorIiNS0_10empty_typeEEEZNS1_34radix_sort_onesweep_global_offsetsIS3_Lb0EPKiPS5_mNS0_19identity_decomposerEEE10hipError_tT1_T2_PT3_SF_jT4_jjP12ihipStream_tbEUlT_E_NS1_11comp_targetILNS1_3genE8ELNS1_11target_archE1030ELNS1_3gpuE2ELNS1_3repE0EEENS1_52radix_sort_onesweep_histogram_config_static_selectorELNS0_4arch9wavefront6targetE0EEEvSD_,"axG",@progbits,_ZN7rocprim17ROCPRIM_400000_NS6detail17trampoline_kernelINS0_14default_configENS1_35radix_sort_onesweep_config_selectorIiNS0_10empty_typeEEEZNS1_34radix_sort_onesweep_global_offsetsIS3_Lb0EPKiPS5_mNS0_19identity_decomposerEEE10hipError_tT1_T2_PT3_SF_jT4_jjP12ihipStream_tbEUlT_E_NS1_11comp_targetILNS1_3genE8ELNS1_11target_archE1030ELNS1_3gpuE2ELNS1_3repE0EEENS1_52radix_sort_onesweep_histogram_config_static_selectorELNS0_4arch9wavefront6targetE0EEEvSD_,comdat
	.protected	_ZN7rocprim17ROCPRIM_400000_NS6detail17trampoline_kernelINS0_14default_configENS1_35radix_sort_onesweep_config_selectorIiNS0_10empty_typeEEEZNS1_34radix_sort_onesweep_global_offsetsIS3_Lb0EPKiPS5_mNS0_19identity_decomposerEEE10hipError_tT1_T2_PT3_SF_jT4_jjP12ihipStream_tbEUlT_E_NS1_11comp_targetILNS1_3genE8ELNS1_11target_archE1030ELNS1_3gpuE2ELNS1_3repE0EEENS1_52radix_sort_onesweep_histogram_config_static_selectorELNS0_4arch9wavefront6targetE0EEEvSD_ ; -- Begin function _ZN7rocprim17ROCPRIM_400000_NS6detail17trampoline_kernelINS0_14default_configENS1_35radix_sort_onesweep_config_selectorIiNS0_10empty_typeEEEZNS1_34radix_sort_onesweep_global_offsetsIS3_Lb0EPKiPS5_mNS0_19identity_decomposerEEE10hipError_tT1_T2_PT3_SF_jT4_jjP12ihipStream_tbEUlT_E_NS1_11comp_targetILNS1_3genE8ELNS1_11target_archE1030ELNS1_3gpuE2ELNS1_3repE0EEENS1_52radix_sort_onesweep_histogram_config_static_selectorELNS0_4arch9wavefront6targetE0EEEvSD_
	.globl	_ZN7rocprim17ROCPRIM_400000_NS6detail17trampoline_kernelINS0_14default_configENS1_35radix_sort_onesweep_config_selectorIiNS0_10empty_typeEEEZNS1_34radix_sort_onesweep_global_offsetsIS3_Lb0EPKiPS5_mNS0_19identity_decomposerEEE10hipError_tT1_T2_PT3_SF_jT4_jjP12ihipStream_tbEUlT_E_NS1_11comp_targetILNS1_3genE8ELNS1_11target_archE1030ELNS1_3gpuE2ELNS1_3repE0EEENS1_52radix_sort_onesweep_histogram_config_static_selectorELNS0_4arch9wavefront6targetE0EEEvSD_
	.p2align	8
	.type	_ZN7rocprim17ROCPRIM_400000_NS6detail17trampoline_kernelINS0_14default_configENS1_35radix_sort_onesweep_config_selectorIiNS0_10empty_typeEEEZNS1_34radix_sort_onesweep_global_offsetsIS3_Lb0EPKiPS5_mNS0_19identity_decomposerEEE10hipError_tT1_T2_PT3_SF_jT4_jjP12ihipStream_tbEUlT_E_NS1_11comp_targetILNS1_3genE8ELNS1_11target_archE1030ELNS1_3gpuE2ELNS1_3repE0EEENS1_52radix_sort_onesweep_histogram_config_static_selectorELNS0_4arch9wavefront6targetE0EEEvSD_,@function
_ZN7rocprim17ROCPRIM_400000_NS6detail17trampoline_kernelINS0_14default_configENS1_35radix_sort_onesweep_config_selectorIiNS0_10empty_typeEEEZNS1_34radix_sort_onesweep_global_offsetsIS3_Lb0EPKiPS5_mNS0_19identity_decomposerEEE10hipError_tT1_T2_PT3_SF_jT4_jjP12ihipStream_tbEUlT_E_NS1_11comp_targetILNS1_3genE8ELNS1_11target_archE1030ELNS1_3gpuE2ELNS1_3repE0EEENS1_52radix_sort_onesweep_histogram_config_static_selectorELNS0_4arch9wavefront6targetE0EEEvSD_: ; @_ZN7rocprim17ROCPRIM_400000_NS6detail17trampoline_kernelINS0_14default_configENS1_35radix_sort_onesweep_config_selectorIiNS0_10empty_typeEEEZNS1_34radix_sort_onesweep_global_offsetsIS3_Lb0EPKiPS5_mNS0_19identity_decomposerEEE10hipError_tT1_T2_PT3_SF_jT4_jjP12ihipStream_tbEUlT_E_NS1_11comp_targetILNS1_3genE8ELNS1_11target_archE1030ELNS1_3gpuE2ELNS1_3repE0EEENS1_52radix_sort_onesweep_histogram_config_static_selectorELNS0_4arch9wavefront6targetE0EEEvSD_
; %bb.0:
	.section	.rodata,"a",@progbits
	.p2align	6, 0x0
	.amdhsa_kernel _ZN7rocprim17ROCPRIM_400000_NS6detail17trampoline_kernelINS0_14default_configENS1_35radix_sort_onesweep_config_selectorIiNS0_10empty_typeEEEZNS1_34radix_sort_onesweep_global_offsetsIS3_Lb0EPKiPS5_mNS0_19identity_decomposerEEE10hipError_tT1_T2_PT3_SF_jT4_jjP12ihipStream_tbEUlT_E_NS1_11comp_targetILNS1_3genE8ELNS1_11target_archE1030ELNS1_3gpuE2ELNS1_3repE0EEENS1_52radix_sort_onesweep_histogram_config_static_selectorELNS0_4arch9wavefront6targetE0EEEvSD_
		.amdhsa_group_segment_fixed_size 0
		.amdhsa_private_segment_fixed_size 0
		.amdhsa_kernarg_size 48
		.amdhsa_user_sgpr_count 2
		.amdhsa_user_sgpr_dispatch_ptr 0
		.amdhsa_user_sgpr_queue_ptr 0
		.amdhsa_user_sgpr_kernarg_segment_ptr 1
		.amdhsa_user_sgpr_dispatch_id 0
		.amdhsa_user_sgpr_kernarg_preload_length 0
		.amdhsa_user_sgpr_kernarg_preload_offset 0
		.amdhsa_user_sgpr_private_segment_size 0
		.amdhsa_wavefront_size32 1
		.amdhsa_uses_dynamic_stack 0
		.amdhsa_enable_private_segment 0
		.amdhsa_system_sgpr_workgroup_id_x 1
		.amdhsa_system_sgpr_workgroup_id_y 0
		.amdhsa_system_sgpr_workgroup_id_z 0
		.amdhsa_system_sgpr_workgroup_info 0
		.amdhsa_system_vgpr_workitem_id 0
		.amdhsa_next_free_vgpr 1
		.amdhsa_next_free_sgpr 1
		.amdhsa_named_barrier_count 0
		.amdhsa_reserve_vcc 0
		.amdhsa_float_round_mode_32 0
		.amdhsa_float_round_mode_16_64 0
		.amdhsa_float_denorm_mode_32 3
		.amdhsa_float_denorm_mode_16_64 3
		.amdhsa_fp16_overflow 0
		.amdhsa_memory_ordered 1
		.amdhsa_forward_progress 1
		.amdhsa_inst_pref_size 0
		.amdhsa_round_robin_scheduling 0
		.amdhsa_exception_fp_ieee_invalid_op 0
		.amdhsa_exception_fp_denorm_src 0
		.amdhsa_exception_fp_ieee_div_zero 0
		.amdhsa_exception_fp_ieee_overflow 0
		.amdhsa_exception_fp_ieee_underflow 0
		.amdhsa_exception_fp_ieee_inexact 0
		.amdhsa_exception_int_div_zero 0
	.end_amdhsa_kernel
	.section	.text._ZN7rocprim17ROCPRIM_400000_NS6detail17trampoline_kernelINS0_14default_configENS1_35radix_sort_onesweep_config_selectorIiNS0_10empty_typeEEEZNS1_34radix_sort_onesweep_global_offsetsIS3_Lb0EPKiPS5_mNS0_19identity_decomposerEEE10hipError_tT1_T2_PT3_SF_jT4_jjP12ihipStream_tbEUlT_E_NS1_11comp_targetILNS1_3genE8ELNS1_11target_archE1030ELNS1_3gpuE2ELNS1_3repE0EEENS1_52radix_sort_onesweep_histogram_config_static_selectorELNS0_4arch9wavefront6targetE0EEEvSD_,"axG",@progbits,_ZN7rocprim17ROCPRIM_400000_NS6detail17trampoline_kernelINS0_14default_configENS1_35radix_sort_onesweep_config_selectorIiNS0_10empty_typeEEEZNS1_34radix_sort_onesweep_global_offsetsIS3_Lb0EPKiPS5_mNS0_19identity_decomposerEEE10hipError_tT1_T2_PT3_SF_jT4_jjP12ihipStream_tbEUlT_E_NS1_11comp_targetILNS1_3genE8ELNS1_11target_archE1030ELNS1_3gpuE2ELNS1_3repE0EEENS1_52radix_sort_onesweep_histogram_config_static_selectorELNS0_4arch9wavefront6targetE0EEEvSD_,comdat
.Lfunc_end950:
	.size	_ZN7rocprim17ROCPRIM_400000_NS6detail17trampoline_kernelINS0_14default_configENS1_35radix_sort_onesweep_config_selectorIiNS0_10empty_typeEEEZNS1_34radix_sort_onesweep_global_offsetsIS3_Lb0EPKiPS5_mNS0_19identity_decomposerEEE10hipError_tT1_T2_PT3_SF_jT4_jjP12ihipStream_tbEUlT_E_NS1_11comp_targetILNS1_3genE8ELNS1_11target_archE1030ELNS1_3gpuE2ELNS1_3repE0EEENS1_52radix_sort_onesweep_histogram_config_static_selectorELNS0_4arch9wavefront6targetE0EEEvSD_, .Lfunc_end950-_ZN7rocprim17ROCPRIM_400000_NS6detail17trampoline_kernelINS0_14default_configENS1_35radix_sort_onesweep_config_selectorIiNS0_10empty_typeEEEZNS1_34radix_sort_onesweep_global_offsetsIS3_Lb0EPKiPS5_mNS0_19identity_decomposerEEE10hipError_tT1_T2_PT3_SF_jT4_jjP12ihipStream_tbEUlT_E_NS1_11comp_targetILNS1_3genE8ELNS1_11target_archE1030ELNS1_3gpuE2ELNS1_3repE0EEENS1_52radix_sort_onesweep_histogram_config_static_selectorELNS0_4arch9wavefront6targetE0EEEvSD_
                                        ; -- End function
	.set _ZN7rocprim17ROCPRIM_400000_NS6detail17trampoline_kernelINS0_14default_configENS1_35radix_sort_onesweep_config_selectorIiNS0_10empty_typeEEEZNS1_34radix_sort_onesweep_global_offsetsIS3_Lb0EPKiPS5_mNS0_19identity_decomposerEEE10hipError_tT1_T2_PT3_SF_jT4_jjP12ihipStream_tbEUlT_E_NS1_11comp_targetILNS1_3genE8ELNS1_11target_archE1030ELNS1_3gpuE2ELNS1_3repE0EEENS1_52radix_sort_onesweep_histogram_config_static_selectorELNS0_4arch9wavefront6targetE0EEEvSD_.num_vgpr, 0
	.set _ZN7rocprim17ROCPRIM_400000_NS6detail17trampoline_kernelINS0_14default_configENS1_35radix_sort_onesweep_config_selectorIiNS0_10empty_typeEEEZNS1_34radix_sort_onesweep_global_offsetsIS3_Lb0EPKiPS5_mNS0_19identity_decomposerEEE10hipError_tT1_T2_PT3_SF_jT4_jjP12ihipStream_tbEUlT_E_NS1_11comp_targetILNS1_3genE8ELNS1_11target_archE1030ELNS1_3gpuE2ELNS1_3repE0EEENS1_52radix_sort_onesweep_histogram_config_static_selectorELNS0_4arch9wavefront6targetE0EEEvSD_.num_agpr, 0
	.set _ZN7rocprim17ROCPRIM_400000_NS6detail17trampoline_kernelINS0_14default_configENS1_35radix_sort_onesweep_config_selectorIiNS0_10empty_typeEEEZNS1_34radix_sort_onesweep_global_offsetsIS3_Lb0EPKiPS5_mNS0_19identity_decomposerEEE10hipError_tT1_T2_PT3_SF_jT4_jjP12ihipStream_tbEUlT_E_NS1_11comp_targetILNS1_3genE8ELNS1_11target_archE1030ELNS1_3gpuE2ELNS1_3repE0EEENS1_52radix_sort_onesweep_histogram_config_static_selectorELNS0_4arch9wavefront6targetE0EEEvSD_.numbered_sgpr, 0
	.set _ZN7rocprim17ROCPRIM_400000_NS6detail17trampoline_kernelINS0_14default_configENS1_35radix_sort_onesweep_config_selectorIiNS0_10empty_typeEEEZNS1_34radix_sort_onesweep_global_offsetsIS3_Lb0EPKiPS5_mNS0_19identity_decomposerEEE10hipError_tT1_T2_PT3_SF_jT4_jjP12ihipStream_tbEUlT_E_NS1_11comp_targetILNS1_3genE8ELNS1_11target_archE1030ELNS1_3gpuE2ELNS1_3repE0EEENS1_52radix_sort_onesweep_histogram_config_static_selectorELNS0_4arch9wavefront6targetE0EEEvSD_.num_named_barrier, 0
	.set _ZN7rocprim17ROCPRIM_400000_NS6detail17trampoline_kernelINS0_14default_configENS1_35radix_sort_onesweep_config_selectorIiNS0_10empty_typeEEEZNS1_34radix_sort_onesweep_global_offsetsIS3_Lb0EPKiPS5_mNS0_19identity_decomposerEEE10hipError_tT1_T2_PT3_SF_jT4_jjP12ihipStream_tbEUlT_E_NS1_11comp_targetILNS1_3genE8ELNS1_11target_archE1030ELNS1_3gpuE2ELNS1_3repE0EEENS1_52radix_sort_onesweep_histogram_config_static_selectorELNS0_4arch9wavefront6targetE0EEEvSD_.private_seg_size, 0
	.set _ZN7rocprim17ROCPRIM_400000_NS6detail17trampoline_kernelINS0_14default_configENS1_35radix_sort_onesweep_config_selectorIiNS0_10empty_typeEEEZNS1_34radix_sort_onesweep_global_offsetsIS3_Lb0EPKiPS5_mNS0_19identity_decomposerEEE10hipError_tT1_T2_PT3_SF_jT4_jjP12ihipStream_tbEUlT_E_NS1_11comp_targetILNS1_3genE8ELNS1_11target_archE1030ELNS1_3gpuE2ELNS1_3repE0EEENS1_52radix_sort_onesweep_histogram_config_static_selectorELNS0_4arch9wavefront6targetE0EEEvSD_.uses_vcc, 0
	.set _ZN7rocprim17ROCPRIM_400000_NS6detail17trampoline_kernelINS0_14default_configENS1_35radix_sort_onesweep_config_selectorIiNS0_10empty_typeEEEZNS1_34radix_sort_onesweep_global_offsetsIS3_Lb0EPKiPS5_mNS0_19identity_decomposerEEE10hipError_tT1_T2_PT3_SF_jT4_jjP12ihipStream_tbEUlT_E_NS1_11comp_targetILNS1_3genE8ELNS1_11target_archE1030ELNS1_3gpuE2ELNS1_3repE0EEENS1_52radix_sort_onesweep_histogram_config_static_selectorELNS0_4arch9wavefront6targetE0EEEvSD_.uses_flat_scratch, 0
	.set _ZN7rocprim17ROCPRIM_400000_NS6detail17trampoline_kernelINS0_14default_configENS1_35radix_sort_onesweep_config_selectorIiNS0_10empty_typeEEEZNS1_34radix_sort_onesweep_global_offsetsIS3_Lb0EPKiPS5_mNS0_19identity_decomposerEEE10hipError_tT1_T2_PT3_SF_jT4_jjP12ihipStream_tbEUlT_E_NS1_11comp_targetILNS1_3genE8ELNS1_11target_archE1030ELNS1_3gpuE2ELNS1_3repE0EEENS1_52radix_sort_onesweep_histogram_config_static_selectorELNS0_4arch9wavefront6targetE0EEEvSD_.has_dyn_sized_stack, 0
	.set _ZN7rocprim17ROCPRIM_400000_NS6detail17trampoline_kernelINS0_14default_configENS1_35radix_sort_onesweep_config_selectorIiNS0_10empty_typeEEEZNS1_34radix_sort_onesweep_global_offsetsIS3_Lb0EPKiPS5_mNS0_19identity_decomposerEEE10hipError_tT1_T2_PT3_SF_jT4_jjP12ihipStream_tbEUlT_E_NS1_11comp_targetILNS1_3genE8ELNS1_11target_archE1030ELNS1_3gpuE2ELNS1_3repE0EEENS1_52radix_sort_onesweep_histogram_config_static_selectorELNS0_4arch9wavefront6targetE0EEEvSD_.has_recursion, 0
	.set _ZN7rocprim17ROCPRIM_400000_NS6detail17trampoline_kernelINS0_14default_configENS1_35radix_sort_onesweep_config_selectorIiNS0_10empty_typeEEEZNS1_34radix_sort_onesweep_global_offsetsIS3_Lb0EPKiPS5_mNS0_19identity_decomposerEEE10hipError_tT1_T2_PT3_SF_jT4_jjP12ihipStream_tbEUlT_E_NS1_11comp_targetILNS1_3genE8ELNS1_11target_archE1030ELNS1_3gpuE2ELNS1_3repE0EEENS1_52radix_sort_onesweep_histogram_config_static_selectorELNS0_4arch9wavefront6targetE0EEEvSD_.has_indirect_call, 0
	.section	.AMDGPU.csdata,"",@progbits
; Kernel info:
; codeLenInByte = 0
; TotalNumSgprs: 0
; NumVgprs: 0
; ScratchSize: 0
; MemoryBound: 0
; FloatMode: 240
; IeeeMode: 1
; LDSByteSize: 0 bytes/workgroup (compile time only)
; SGPRBlocks: 0
; VGPRBlocks: 0
; NumSGPRsForWavesPerEU: 1
; NumVGPRsForWavesPerEU: 1
; NamedBarCnt: 0
; Occupancy: 16
; WaveLimiterHint : 0
; COMPUTE_PGM_RSRC2:SCRATCH_EN: 0
; COMPUTE_PGM_RSRC2:USER_SGPR: 2
; COMPUTE_PGM_RSRC2:TRAP_HANDLER: 0
; COMPUTE_PGM_RSRC2:TGID_X_EN: 1
; COMPUTE_PGM_RSRC2:TGID_Y_EN: 0
; COMPUTE_PGM_RSRC2:TGID_Z_EN: 0
; COMPUTE_PGM_RSRC2:TIDIG_COMP_CNT: 0
	.section	.text._ZN7rocprim17ROCPRIM_400000_NS6detail17trampoline_kernelINS0_14default_configENS1_35radix_sort_onesweep_config_selectorIiNS0_10empty_typeEEEZNS1_34radix_sort_onesweep_global_offsetsIS3_Lb0EPKiPS5_mNS0_19identity_decomposerEEE10hipError_tT1_T2_PT3_SF_jT4_jjP12ihipStream_tbEUlT_E0_NS1_11comp_targetILNS1_3genE0ELNS1_11target_archE4294967295ELNS1_3gpuE0ELNS1_3repE0EEENS1_52radix_sort_onesweep_histogram_config_static_selectorELNS0_4arch9wavefront6targetE0EEEvSD_,"axG",@progbits,_ZN7rocprim17ROCPRIM_400000_NS6detail17trampoline_kernelINS0_14default_configENS1_35radix_sort_onesweep_config_selectorIiNS0_10empty_typeEEEZNS1_34radix_sort_onesweep_global_offsetsIS3_Lb0EPKiPS5_mNS0_19identity_decomposerEEE10hipError_tT1_T2_PT3_SF_jT4_jjP12ihipStream_tbEUlT_E0_NS1_11comp_targetILNS1_3genE0ELNS1_11target_archE4294967295ELNS1_3gpuE0ELNS1_3repE0EEENS1_52radix_sort_onesweep_histogram_config_static_selectorELNS0_4arch9wavefront6targetE0EEEvSD_,comdat
	.protected	_ZN7rocprim17ROCPRIM_400000_NS6detail17trampoline_kernelINS0_14default_configENS1_35radix_sort_onesweep_config_selectorIiNS0_10empty_typeEEEZNS1_34radix_sort_onesweep_global_offsetsIS3_Lb0EPKiPS5_mNS0_19identity_decomposerEEE10hipError_tT1_T2_PT3_SF_jT4_jjP12ihipStream_tbEUlT_E0_NS1_11comp_targetILNS1_3genE0ELNS1_11target_archE4294967295ELNS1_3gpuE0ELNS1_3repE0EEENS1_52radix_sort_onesweep_histogram_config_static_selectorELNS0_4arch9wavefront6targetE0EEEvSD_ ; -- Begin function _ZN7rocprim17ROCPRIM_400000_NS6detail17trampoline_kernelINS0_14default_configENS1_35radix_sort_onesweep_config_selectorIiNS0_10empty_typeEEEZNS1_34radix_sort_onesweep_global_offsetsIS3_Lb0EPKiPS5_mNS0_19identity_decomposerEEE10hipError_tT1_T2_PT3_SF_jT4_jjP12ihipStream_tbEUlT_E0_NS1_11comp_targetILNS1_3genE0ELNS1_11target_archE4294967295ELNS1_3gpuE0ELNS1_3repE0EEENS1_52radix_sort_onesweep_histogram_config_static_selectorELNS0_4arch9wavefront6targetE0EEEvSD_
	.globl	_ZN7rocprim17ROCPRIM_400000_NS6detail17trampoline_kernelINS0_14default_configENS1_35radix_sort_onesweep_config_selectorIiNS0_10empty_typeEEEZNS1_34radix_sort_onesweep_global_offsetsIS3_Lb0EPKiPS5_mNS0_19identity_decomposerEEE10hipError_tT1_T2_PT3_SF_jT4_jjP12ihipStream_tbEUlT_E0_NS1_11comp_targetILNS1_3genE0ELNS1_11target_archE4294967295ELNS1_3gpuE0ELNS1_3repE0EEENS1_52radix_sort_onesweep_histogram_config_static_selectorELNS0_4arch9wavefront6targetE0EEEvSD_
	.p2align	8
	.type	_ZN7rocprim17ROCPRIM_400000_NS6detail17trampoline_kernelINS0_14default_configENS1_35radix_sort_onesweep_config_selectorIiNS0_10empty_typeEEEZNS1_34radix_sort_onesweep_global_offsetsIS3_Lb0EPKiPS5_mNS0_19identity_decomposerEEE10hipError_tT1_T2_PT3_SF_jT4_jjP12ihipStream_tbEUlT_E0_NS1_11comp_targetILNS1_3genE0ELNS1_11target_archE4294967295ELNS1_3gpuE0ELNS1_3repE0EEENS1_52radix_sort_onesweep_histogram_config_static_selectorELNS0_4arch9wavefront6targetE0EEEvSD_,@function
_ZN7rocprim17ROCPRIM_400000_NS6detail17trampoline_kernelINS0_14default_configENS1_35radix_sort_onesweep_config_selectorIiNS0_10empty_typeEEEZNS1_34radix_sort_onesweep_global_offsetsIS3_Lb0EPKiPS5_mNS0_19identity_decomposerEEE10hipError_tT1_T2_PT3_SF_jT4_jjP12ihipStream_tbEUlT_E0_NS1_11comp_targetILNS1_3genE0ELNS1_11target_archE4294967295ELNS1_3gpuE0ELNS1_3repE0EEENS1_52radix_sort_onesweep_histogram_config_static_selectorELNS0_4arch9wavefront6targetE0EEEvSD_: ; @_ZN7rocprim17ROCPRIM_400000_NS6detail17trampoline_kernelINS0_14default_configENS1_35radix_sort_onesweep_config_selectorIiNS0_10empty_typeEEEZNS1_34radix_sort_onesweep_global_offsetsIS3_Lb0EPKiPS5_mNS0_19identity_decomposerEEE10hipError_tT1_T2_PT3_SF_jT4_jjP12ihipStream_tbEUlT_E0_NS1_11comp_targetILNS1_3genE0ELNS1_11target_archE4294967295ELNS1_3gpuE0ELNS1_3repE0EEENS1_52radix_sort_onesweep_histogram_config_static_selectorELNS0_4arch9wavefront6targetE0EEEvSD_
; %bb.0:
	s_load_b64 s[0:1], s[0:1], 0x0
	s_bfe_u32 s2, ttmp6, 0x4000c
	s_and_b32 s3, ttmp6, 15
	s_add_co_i32 s2, s2, 1
	s_getreg_b32 s4, hwreg(HW_REG_IB_STS2, 6, 4)
	s_mul_i32 s2, ttmp9, s2
	v_cmp_gt_u32_e32 vcc_lo, 0x100, v0
	s_add_co_i32 s3, s3, s2
	s_cmp_eq_u32 s4, 0
                                        ; implicit-def: $vgpr2_vgpr3
	s_cselect_b32 s2, ttmp9, s3
	s_mov_b32 s3, 0
	s_lshl_b32 s2, s2, 8
	s_delay_alu instid0(SALU_CYCLE_1)
	s_lshl_b64 s[2:3], s[2:3], 3
	s_wait_kmcnt 0x0
	s_add_nc_u64 s[6:7], s[0:1], s[2:3]
	s_and_saveexec_b32 s0, vcc_lo
	s_cbranch_execz .LBB951_2
; %bb.1:
	global_load_b64 v[2:3], v0, s[6:7] scale_offset
.LBB951_2:
	s_wait_xcnt 0x0
	s_or_b32 exec_lo, exec_lo, s0
	v_mbcnt_lo_u32_b32 v1, -1, 0
	s_wait_loadcnt 0x0
	v_mov_b32_dpp v6, v2 row_shr:1 row_mask:0xf bank_mask:0xf
	v_mov_b32_dpp v9, v3 row_shr:1 row_mask:0xf bank_mask:0xf
	s_delay_alu instid0(VALU_DEP_3) | instskip(NEXT) | instid1(VALU_DEP_1)
	v_dual_mov_b32 v4, v2 :: v_dual_bitop2_b32 v10, 15, v1 bitop3:0x40
	v_cmp_ne_u32_e64 s0, 0, v10
	s_and_saveexec_b32 s1, s0
; %bb.3:
	v_mov_b32_e32 v8, 0
	s_delay_alu instid0(VALU_DEP_1) | instskip(NEXT) | instid1(VALU_DEP_1)
	v_mov_b32_e32 v7, v8
	v_add_nc_u64_e32 v[4:5], v[2:3], v[6:7]
	s_delay_alu instid0(VALU_DEP_1)
	v_add_nc_u64_e32 v[2:3], v[8:9], v[4:5]
; %bb.4:
	s_or_b32 exec_lo, exec_lo, s1
	v_mov_b32_dpp v6, v4 row_shr:2 row_mask:0xf bank_mask:0xf
	s_delay_alu instid0(VALU_DEP_2)
	v_mov_b32_dpp v9, v3 row_shr:2 row_mask:0xf bank_mask:0xf
	v_cmp_lt_u32_e64 s1, 1, v10
	s_and_saveexec_b32 s2, s1
; %bb.5:
	v_mov_b32_e32 v8, 0
	s_delay_alu instid0(VALU_DEP_1) | instskip(NEXT) | instid1(VALU_DEP_1)
	v_mov_b32_e32 v7, v8
	v_add_nc_u64_e32 v[4:5], v[2:3], v[6:7]
	s_delay_alu instid0(VALU_DEP_1)
	v_add_nc_u64_e32 v[2:3], v[8:9], v[4:5]
; %bb.6:
	s_or_b32 exec_lo, exec_lo, s2
	v_mov_b32_dpp v6, v4 row_shr:4 row_mask:0xf bank_mask:0xf
	s_delay_alu instid0(VALU_DEP_2)
	v_mov_b32_dpp v9, v3 row_shr:4 row_mask:0xf bank_mask:0xf
	v_cmp_lt_u32_e64 s2, 3, v10
	;; [unrolled: 14-line block ×3, first 2 shown]
	s_and_saveexec_b32 s4, s3
; %bb.9:
	v_mov_b32_e32 v8, 0
	s_delay_alu instid0(VALU_DEP_1) | instskip(NEXT) | instid1(VALU_DEP_1)
	v_mov_b32_e32 v7, v8
	v_add_nc_u64_e32 v[4:5], v[2:3], v[6:7]
	s_delay_alu instid0(VALU_DEP_1)
	v_add_nc_u64_e32 v[2:3], v[8:9], v[4:5]
; %bb.10:
	s_or_b32 exec_lo, exec_lo, s4
	ds_swizzle_b32 v4, v4 offset:swizzle(BROADCAST,32,15)
	ds_swizzle_b32 v7, v3 offset:swizzle(BROADCAST,32,15)
	v_and_b32_e32 v5, 16, v1
	s_mov_b32 s5, exec_lo
	s_delay_alu instid0(VALU_DEP_1)
	v_cmpx_ne_u32_e32 0, v5
	s_cbranch_execz .LBB951_12
; %bb.11:
	v_mov_b32_e32 v6, 0
	s_delay_alu instid0(VALU_DEP_1) | instskip(SKIP_1) | instid1(VALU_DEP_1)
	v_mov_b32_e32 v5, v6
	s_wait_dscnt 0x1
	v_add_nc_u64_e32 v[2:3], v[2:3], v[4:5]
	s_wait_dscnt 0x0
	s_delay_alu instid0(VALU_DEP_1)
	v_add_nc_u64_e32 v[2:3], v[2:3], v[6:7]
.LBB951_12:
	s_or_b32 exec_lo, exec_lo, s5
	s_wait_dscnt 0x1
	v_dual_lshrrev_b32 v12, 5, v0 :: v_dual_bitop2_b32 v4, 31, v0 bitop3:0x54
	s_mov_b32 s5, exec_lo
	s_delay_alu instid0(VALU_DEP_1)
	v_cmpx_eq_u32_e64 v0, v4
; %bb.13:
	s_delay_alu instid0(VALU_DEP_2)
	v_lshlrev_b32_e32 v4, 3, v12
	ds_store_b64 v4, v[2:3]
; %bb.14:
	s_or_b32 exec_lo, exec_lo, s5
	s_delay_alu instid0(SALU_CYCLE_1)
	s_mov_b32 s5, exec_lo
	s_wait_dscnt 0x0
	s_barrier_signal -1
	s_barrier_wait -1
	v_cmpx_gt_u32_e32 16, v0
	s_cbranch_execz .LBB951_24
; %bb.15:
	v_lshlrev_b32_e32 v13, 3, v0
	ds_load_b64 v[4:5], v13
	s_wait_dscnt 0x0
	v_mov_b32_dpp v8, v4 row_shr:1 row_mask:0xf bank_mask:0xf
	v_mov_b32_dpp v11, v5 row_shr:1 row_mask:0xf bank_mask:0xf
	v_mov_b32_e32 v6, v4
	s_and_saveexec_b32 s4, s0
; %bb.16:
	v_mov_b32_e32 v10, 0
	s_delay_alu instid0(VALU_DEP_1) | instskip(NEXT) | instid1(VALU_DEP_1)
	v_mov_b32_e32 v9, v10
	v_add_nc_u64_e32 v[6:7], v[4:5], v[8:9]
	s_delay_alu instid0(VALU_DEP_1)
	v_add_nc_u64_e32 v[4:5], v[10:11], v[6:7]
; %bb.17:
	s_or_b32 exec_lo, exec_lo, s4
	v_mov_b32_dpp v8, v6 row_shr:2 row_mask:0xf bank_mask:0xf
	s_delay_alu instid0(VALU_DEP_2)
	v_mov_b32_dpp v11, v5 row_shr:2 row_mask:0xf bank_mask:0xf
	s_and_saveexec_b32 s0, s1
; %bb.18:
	v_mov_b32_e32 v10, 0
	s_delay_alu instid0(VALU_DEP_1) | instskip(NEXT) | instid1(VALU_DEP_1)
	v_mov_b32_e32 v9, v10
	v_add_nc_u64_e32 v[6:7], v[4:5], v[8:9]
	s_delay_alu instid0(VALU_DEP_1)
	v_add_nc_u64_e32 v[4:5], v[10:11], v[6:7]
; %bb.19:
	s_or_b32 exec_lo, exec_lo, s0
	v_mov_b32_dpp v8, v6 row_shr:4 row_mask:0xf bank_mask:0xf
	s_delay_alu instid0(VALU_DEP_2)
	v_mov_b32_dpp v11, v5 row_shr:4 row_mask:0xf bank_mask:0xf
	;; [unrolled: 13-line block ×3, first 2 shown]
	s_and_saveexec_b32 s0, s3
; %bb.22:
	v_mov_b32_e32 v8, 0
	s_delay_alu instid0(VALU_DEP_1) | instskip(NEXT) | instid1(VALU_DEP_1)
	v_mov_b32_e32 v7, v8
	v_add_nc_u64_e32 v[4:5], v[4:5], v[6:7]
	s_delay_alu instid0(VALU_DEP_1)
	v_add_nc_u64_e32 v[4:5], v[4:5], v[8:9]
; %bb.23:
	s_or_b32 exec_lo, exec_lo, s0
	ds_store_b64 v13, v[4:5]
.LBB951_24:
	s_or_b32 exec_lo, exec_lo, s5
	v_mov_b64_e32 v[4:5], 0
	s_mov_b32 s1, exec_lo
	s_wait_dscnt 0x0
	s_barrier_signal -1
	s_barrier_wait -1
	v_cmpx_lt_u32_e32 31, v0
; %bb.25:
	v_lshl_add_u32 v4, v12, 3, -8
	ds_load_b64 v[4:5], v4
; %bb.26:
	s_or_b32 exec_lo, exec_lo, s1
	v_add_nc_u32_e32 v6, -1, v1
	s_wait_dscnt 0x0
	v_add_nc_u64_e32 v[2:3], v[4:5], v[2:3]
	s_delay_alu instid0(VALU_DEP_2) | instskip(NEXT) | instid1(VALU_DEP_1)
	v_cmp_gt_i32_e64 s0, 0, v6
	v_cndmask_b32_e64 v6, v6, v1, s0
	s_delay_alu instid0(VALU_DEP_1)
	v_lshlrev_b32_e32 v6, 2, v6
	ds_bpermute_b32 v2, v6, v2
	ds_bpermute_b32 v3, v6, v3
	s_and_saveexec_b32 s0, vcc_lo
	s_cbranch_execz .LBB951_28
; %bb.27:
	v_cmp_eq_u32_e32 vcc_lo, 0, v1
	s_wait_dscnt 0x0
	v_dual_cndmask_b32 v3, v3, v5 :: v_dual_cndmask_b32 v2, v2, v4
	global_store_b64 v0, v[2:3], s[6:7] scale_offset
.LBB951_28:
	s_endpgm
	.section	.rodata,"a",@progbits
	.p2align	6, 0x0
	.amdhsa_kernel _ZN7rocprim17ROCPRIM_400000_NS6detail17trampoline_kernelINS0_14default_configENS1_35radix_sort_onesweep_config_selectorIiNS0_10empty_typeEEEZNS1_34radix_sort_onesweep_global_offsetsIS3_Lb0EPKiPS5_mNS0_19identity_decomposerEEE10hipError_tT1_T2_PT3_SF_jT4_jjP12ihipStream_tbEUlT_E0_NS1_11comp_targetILNS1_3genE0ELNS1_11target_archE4294967295ELNS1_3gpuE0ELNS1_3repE0EEENS1_52radix_sort_onesweep_histogram_config_static_selectorELNS0_4arch9wavefront6targetE0EEEvSD_
		.amdhsa_group_segment_fixed_size 128
		.amdhsa_private_segment_fixed_size 0
		.amdhsa_kernarg_size 8
		.amdhsa_user_sgpr_count 2
		.amdhsa_user_sgpr_dispatch_ptr 0
		.amdhsa_user_sgpr_queue_ptr 0
		.amdhsa_user_sgpr_kernarg_segment_ptr 1
		.amdhsa_user_sgpr_dispatch_id 0
		.amdhsa_user_sgpr_kernarg_preload_length 0
		.amdhsa_user_sgpr_kernarg_preload_offset 0
		.amdhsa_user_sgpr_private_segment_size 0
		.amdhsa_wavefront_size32 1
		.amdhsa_uses_dynamic_stack 0
		.amdhsa_enable_private_segment 0
		.amdhsa_system_sgpr_workgroup_id_x 1
		.amdhsa_system_sgpr_workgroup_id_y 0
		.amdhsa_system_sgpr_workgroup_id_z 0
		.amdhsa_system_sgpr_workgroup_info 0
		.amdhsa_system_vgpr_workitem_id 0
		.amdhsa_next_free_vgpr 14
		.amdhsa_next_free_sgpr 8
		.amdhsa_named_barrier_count 0
		.amdhsa_reserve_vcc 1
		.amdhsa_float_round_mode_32 0
		.amdhsa_float_round_mode_16_64 0
		.amdhsa_float_denorm_mode_32 3
		.amdhsa_float_denorm_mode_16_64 3
		.amdhsa_fp16_overflow 0
		.amdhsa_memory_ordered 1
		.amdhsa_forward_progress 1
		.amdhsa_inst_pref_size 7
		.amdhsa_round_robin_scheduling 0
		.amdhsa_exception_fp_ieee_invalid_op 0
		.amdhsa_exception_fp_denorm_src 0
		.amdhsa_exception_fp_ieee_div_zero 0
		.amdhsa_exception_fp_ieee_overflow 0
		.amdhsa_exception_fp_ieee_underflow 0
		.amdhsa_exception_fp_ieee_inexact 0
		.amdhsa_exception_int_div_zero 0
	.end_amdhsa_kernel
	.section	.text._ZN7rocprim17ROCPRIM_400000_NS6detail17trampoline_kernelINS0_14default_configENS1_35radix_sort_onesweep_config_selectorIiNS0_10empty_typeEEEZNS1_34radix_sort_onesweep_global_offsetsIS3_Lb0EPKiPS5_mNS0_19identity_decomposerEEE10hipError_tT1_T2_PT3_SF_jT4_jjP12ihipStream_tbEUlT_E0_NS1_11comp_targetILNS1_3genE0ELNS1_11target_archE4294967295ELNS1_3gpuE0ELNS1_3repE0EEENS1_52radix_sort_onesweep_histogram_config_static_selectorELNS0_4arch9wavefront6targetE0EEEvSD_,"axG",@progbits,_ZN7rocprim17ROCPRIM_400000_NS6detail17trampoline_kernelINS0_14default_configENS1_35radix_sort_onesweep_config_selectorIiNS0_10empty_typeEEEZNS1_34radix_sort_onesweep_global_offsetsIS3_Lb0EPKiPS5_mNS0_19identity_decomposerEEE10hipError_tT1_T2_PT3_SF_jT4_jjP12ihipStream_tbEUlT_E0_NS1_11comp_targetILNS1_3genE0ELNS1_11target_archE4294967295ELNS1_3gpuE0ELNS1_3repE0EEENS1_52radix_sort_onesweep_histogram_config_static_selectorELNS0_4arch9wavefront6targetE0EEEvSD_,comdat
.Lfunc_end951:
	.size	_ZN7rocprim17ROCPRIM_400000_NS6detail17trampoline_kernelINS0_14default_configENS1_35radix_sort_onesweep_config_selectorIiNS0_10empty_typeEEEZNS1_34radix_sort_onesweep_global_offsetsIS3_Lb0EPKiPS5_mNS0_19identity_decomposerEEE10hipError_tT1_T2_PT3_SF_jT4_jjP12ihipStream_tbEUlT_E0_NS1_11comp_targetILNS1_3genE0ELNS1_11target_archE4294967295ELNS1_3gpuE0ELNS1_3repE0EEENS1_52radix_sort_onesweep_histogram_config_static_selectorELNS0_4arch9wavefront6targetE0EEEvSD_, .Lfunc_end951-_ZN7rocprim17ROCPRIM_400000_NS6detail17trampoline_kernelINS0_14default_configENS1_35radix_sort_onesweep_config_selectorIiNS0_10empty_typeEEEZNS1_34radix_sort_onesweep_global_offsetsIS3_Lb0EPKiPS5_mNS0_19identity_decomposerEEE10hipError_tT1_T2_PT3_SF_jT4_jjP12ihipStream_tbEUlT_E0_NS1_11comp_targetILNS1_3genE0ELNS1_11target_archE4294967295ELNS1_3gpuE0ELNS1_3repE0EEENS1_52radix_sort_onesweep_histogram_config_static_selectorELNS0_4arch9wavefront6targetE0EEEvSD_
                                        ; -- End function
	.set _ZN7rocprim17ROCPRIM_400000_NS6detail17trampoline_kernelINS0_14default_configENS1_35radix_sort_onesweep_config_selectorIiNS0_10empty_typeEEEZNS1_34radix_sort_onesweep_global_offsetsIS3_Lb0EPKiPS5_mNS0_19identity_decomposerEEE10hipError_tT1_T2_PT3_SF_jT4_jjP12ihipStream_tbEUlT_E0_NS1_11comp_targetILNS1_3genE0ELNS1_11target_archE4294967295ELNS1_3gpuE0ELNS1_3repE0EEENS1_52radix_sort_onesweep_histogram_config_static_selectorELNS0_4arch9wavefront6targetE0EEEvSD_.num_vgpr, 14
	.set _ZN7rocprim17ROCPRIM_400000_NS6detail17trampoline_kernelINS0_14default_configENS1_35radix_sort_onesweep_config_selectorIiNS0_10empty_typeEEEZNS1_34radix_sort_onesweep_global_offsetsIS3_Lb0EPKiPS5_mNS0_19identity_decomposerEEE10hipError_tT1_T2_PT3_SF_jT4_jjP12ihipStream_tbEUlT_E0_NS1_11comp_targetILNS1_3genE0ELNS1_11target_archE4294967295ELNS1_3gpuE0ELNS1_3repE0EEENS1_52radix_sort_onesweep_histogram_config_static_selectorELNS0_4arch9wavefront6targetE0EEEvSD_.num_agpr, 0
	.set _ZN7rocprim17ROCPRIM_400000_NS6detail17trampoline_kernelINS0_14default_configENS1_35radix_sort_onesweep_config_selectorIiNS0_10empty_typeEEEZNS1_34radix_sort_onesweep_global_offsetsIS3_Lb0EPKiPS5_mNS0_19identity_decomposerEEE10hipError_tT1_T2_PT3_SF_jT4_jjP12ihipStream_tbEUlT_E0_NS1_11comp_targetILNS1_3genE0ELNS1_11target_archE4294967295ELNS1_3gpuE0ELNS1_3repE0EEENS1_52radix_sort_onesweep_histogram_config_static_selectorELNS0_4arch9wavefront6targetE0EEEvSD_.numbered_sgpr, 8
	.set _ZN7rocprim17ROCPRIM_400000_NS6detail17trampoline_kernelINS0_14default_configENS1_35radix_sort_onesweep_config_selectorIiNS0_10empty_typeEEEZNS1_34radix_sort_onesweep_global_offsetsIS3_Lb0EPKiPS5_mNS0_19identity_decomposerEEE10hipError_tT1_T2_PT3_SF_jT4_jjP12ihipStream_tbEUlT_E0_NS1_11comp_targetILNS1_3genE0ELNS1_11target_archE4294967295ELNS1_3gpuE0ELNS1_3repE0EEENS1_52radix_sort_onesweep_histogram_config_static_selectorELNS0_4arch9wavefront6targetE0EEEvSD_.num_named_barrier, 0
	.set _ZN7rocprim17ROCPRIM_400000_NS6detail17trampoline_kernelINS0_14default_configENS1_35radix_sort_onesweep_config_selectorIiNS0_10empty_typeEEEZNS1_34radix_sort_onesweep_global_offsetsIS3_Lb0EPKiPS5_mNS0_19identity_decomposerEEE10hipError_tT1_T2_PT3_SF_jT4_jjP12ihipStream_tbEUlT_E0_NS1_11comp_targetILNS1_3genE0ELNS1_11target_archE4294967295ELNS1_3gpuE0ELNS1_3repE0EEENS1_52radix_sort_onesweep_histogram_config_static_selectorELNS0_4arch9wavefront6targetE0EEEvSD_.private_seg_size, 0
	.set _ZN7rocprim17ROCPRIM_400000_NS6detail17trampoline_kernelINS0_14default_configENS1_35radix_sort_onesweep_config_selectorIiNS0_10empty_typeEEEZNS1_34radix_sort_onesweep_global_offsetsIS3_Lb0EPKiPS5_mNS0_19identity_decomposerEEE10hipError_tT1_T2_PT3_SF_jT4_jjP12ihipStream_tbEUlT_E0_NS1_11comp_targetILNS1_3genE0ELNS1_11target_archE4294967295ELNS1_3gpuE0ELNS1_3repE0EEENS1_52radix_sort_onesweep_histogram_config_static_selectorELNS0_4arch9wavefront6targetE0EEEvSD_.uses_vcc, 1
	.set _ZN7rocprim17ROCPRIM_400000_NS6detail17trampoline_kernelINS0_14default_configENS1_35radix_sort_onesweep_config_selectorIiNS0_10empty_typeEEEZNS1_34radix_sort_onesweep_global_offsetsIS3_Lb0EPKiPS5_mNS0_19identity_decomposerEEE10hipError_tT1_T2_PT3_SF_jT4_jjP12ihipStream_tbEUlT_E0_NS1_11comp_targetILNS1_3genE0ELNS1_11target_archE4294967295ELNS1_3gpuE0ELNS1_3repE0EEENS1_52radix_sort_onesweep_histogram_config_static_selectorELNS0_4arch9wavefront6targetE0EEEvSD_.uses_flat_scratch, 0
	.set _ZN7rocprim17ROCPRIM_400000_NS6detail17trampoline_kernelINS0_14default_configENS1_35radix_sort_onesweep_config_selectorIiNS0_10empty_typeEEEZNS1_34radix_sort_onesweep_global_offsetsIS3_Lb0EPKiPS5_mNS0_19identity_decomposerEEE10hipError_tT1_T2_PT3_SF_jT4_jjP12ihipStream_tbEUlT_E0_NS1_11comp_targetILNS1_3genE0ELNS1_11target_archE4294967295ELNS1_3gpuE0ELNS1_3repE0EEENS1_52radix_sort_onesweep_histogram_config_static_selectorELNS0_4arch9wavefront6targetE0EEEvSD_.has_dyn_sized_stack, 0
	.set _ZN7rocprim17ROCPRIM_400000_NS6detail17trampoline_kernelINS0_14default_configENS1_35radix_sort_onesweep_config_selectorIiNS0_10empty_typeEEEZNS1_34radix_sort_onesweep_global_offsetsIS3_Lb0EPKiPS5_mNS0_19identity_decomposerEEE10hipError_tT1_T2_PT3_SF_jT4_jjP12ihipStream_tbEUlT_E0_NS1_11comp_targetILNS1_3genE0ELNS1_11target_archE4294967295ELNS1_3gpuE0ELNS1_3repE0EEENS1_52radix_sort_onesweep_histogram_config_static_selectorELNS0_4arch9wavefront6targetE0EEEvSD_.has_recursion, 0
	.set _ZN7rocprim17ROCPRIM_400000_NS6detail17trampoline_kernelINS0_14default_configENS1_35radix_sort_onesweep_config_selectorIiNS0_10empty_typeEEEZNS1_34radix_sort_onesweep_global_offsetsIS3_Lb0EPKiPS5_mNS0_19identity_decomposerEEE10hipError_tT1_T2_PT3_SF_jT4_jjP12ihipStream_tbEUlT_E0_NS1_11comp_targetILNS1_3genE0ELNS1_11target_archE4294967295ELNS1_3gpuE0ELNS1_3repE0EEENS1_52radix_sort_onesweep_histogram_config_static_selectorELNS0_4arch9wavefront6targetE0EEEvSD_.has_indirect_call, 0
	.section	.AMDGPU.csdata,"",@progbits
; Kernel info:
; codeLenInByte = 896
; TotalNumSgprs: 10
; NumVgprs: 14
; ScratchSize: 0
; MemoryBound: 0
; FloatMode: 240
; IeeeMode: 1
; LDSByteSize: 128 bytes/workgroup (compile time only)
; SGPRBlocks: 0
; VGPRBlocks: 0
; NumSGPRsForWavesPerEU: 10
; NumVGPRsForWavesPerEU: 14
; NamedBarCnt: 0
; Occupancy: 16
; WaveLimiterHint : 0
; COMPUTE_PGM_RSRC2:SCRATCH_EN: 0
; COMPUTE_PGM_RSRC2:USER_SGPR: 2
; COMPUTE_PGM_RSRC2:TRAP_HANDLER: 0
; COMPUTE_PGM_RSRC2:TGID_X_EN: 1
; COMPUTE_PGM_RSRC2:TGID_Y_EN: 0
; COMPUTE_PGM_RSRC2:TGID_Z_EN: 0
; COMPUTE_PGM_RSRC2:TIDIG_COMP_CNT: 0
	.section	.text._ZN7rocprim17ROCPRIM_400000_NS6detail17trampoline_kernelINS0_14default_configENS1_35radix_sort_onesweep_config_selectorIiNS0_10empty_typeEEEZNS1_34radix_sort_onesweep_global_offsetsIS3_Lb0EPKiPS5_mNS0_19identity_decomposerEEE10hipError_tT1_T2_PT3_SF_jT4_jjP12ihipStream_tbEUlT_E0_NS1_11comp_targetILNS1_3genE6ELNS1_11target_archE950ELNS1_3gpuE13ELNS1_3repE0EEENS1_52radix_sort_onesweep_histogram_config_static_selectorELNS0_4arch9wavefront6targetE0EEEvSD_,"axG",@progbits,_ZN7rocprim17ROCPRIM_400000_NS6detail17trampoline_kernelINS0_14default_configENS1_35radix_sort_onesweep_config_selectorIiNS0_10empty_typeEEEZNS1_34radix_sort_onesweep_global_offsetsIS3_Lb0EPKiPS5_mNS0_19identity_decomposerEEE10hipError_tT1_T2_PT3_SF_jT4_jjP12ihipStream_tbEUlT_E0_NS1_11comp_targetILNS1_3genE6ELNS1_11target_archE950ELNS1_3gpuE13ELNS1_3repE0EEENS1_52radix_sort_onesweep_histogram_config_static_selectorELNS0_4arch9wavefront6targetE0EEEvSD_,comdat
	.protected	_ZN7rocprim17ROCPRIM_400000_NS6detail17trampoline_kernelINS0_14default_configENS1_35radix_sort_onesweep_config_selectorIiNS0_10empty_typeEEEZNS1_34radix_sort_onesweep_global_offsetsIS3_Lb0EPKiPS5_mNS0_19identity_decomposerEEE10hipError_tT1_T2_PT3_SF_jT4_jjP12ihipStream_tbEUlT_E0_NS1_11comp_targetILNS1_3genE6ELNS1_11target_archE950ELNS1_3gpuE13ELNS1_3repE0EEENS1_52radix_sort_onesweep_histogram_config_static_selectorELNS0_4arch9wavefront6targetE0EEEvSD_ ; -- Begin function _ZN7rocprim17ROCPRIM_400000_NS6detail17trampoline_kernelINS0_14default_configENS1_35radix_sort_onesweep_config_selectorIiNS0_10empty_typeEEEZNS1_34radix_sort_onesweep_global_offsetsIS3_Lb0EPKiPS5_mNS0_19identity_decomposerEEE10hipError_tT1_T2_PT3_SF_jT4_jjP12ihipStream_tbEUlT_E0_NS1_11comp_targetILNS1_3genE6ELNS1_11target_archE950ELNS1_3gpuE13ELNS1_3repE0EEENS1_52radix_sort_onesweep_histogram_config_static_selectorELNS0_4arch9wavefront6targetE0EEEvSD_
	.globl	_ZN7rocprim17ROCPRIM_400000_NS6detail17trampoline_kernelINS0_14default_configENS1_35radix_sort_onesweep_config_selectorIiNS0_10empty_typeEEEZNS1_34radix_sort_onesweep_global_offsetsIS3_Lb0EPKiPS5_mNS0_19identity_decomposerEEE10hipError_tT1_T2_PT3_SF_jT4_jjP12ihipStream_tbEUlT_E0_NS1_11comp_targetILNS1_3genE6ELNS1_11target_archE950ELNS1_3gpuE13ELNS1_3repE0EEENS1_52radix_sort_onesweep_histogram_config_static_selectorELNS0_4arch9wavefront6targetE0EEEvSD_
	.p2align	8
	.type	_ZN7rocprim17ROCPRIM_400000_NS6detail17trampoline_kernelINS0_14default_configENS1_35radix_sort_onesweep_config_selectorIiNS0_10empty_typeEEEZNS1_34radix_sort_onesweep_global_offsetsIS3_Lb0EPKiPS5_mNS0_19identity_decomposerEEE10hipError_tT1_T2_PT3_SF_jT4_jjP12ihipStream_tbEUlT_E0_NS1_11comp_targetILNS1_3genE6ELNS1_11target_archE950ELNS1_3gpuE13ELNS1_3repE0EEENS1_52radix_sort_onesweep_histogram_config_static_selectorELNS0_4arch9wavefront6targetE0EEEvSD_,@function
_ZN7rocprim17ROCPRIM_400000_NS6detail17trampoline_kernelINS0_14default_configENS1_35radix_sort_onesweep_config_selectorIiNS0_10empty_typeEEEZNS1_34radix_sort_onesweep_global_offsetsIS3_Lb0EPKiPS5_mNS0_19identity_decomposerEEE10hipError_tT1_T2_PT3_SF_jT4_jjP12ihipStream_tbEUlT_E0_NS1_11comp_targetILNS1_3genE6ELNS1_11target_archE950ELNS1_3gpuE13ELNS1_3repE0EEENS1_52radix_sort_onesweep_histogram_config_static_selectorELNS0_4arch9wavefront6targetE0EEEvSD_: ; @_ZN7rocprim17ROCPRIM_400000_NS6detail17trampoline_kernelINS0_14default_configENS1_35radix_sort_onesweep_config_selectorIiNS0_10empty_typeEEEZNS1_34radix_sort_onesweep_global_offsetsIS3_Lb0EPKiPS5_mNS0_19identity_decomposerEEE10hipError_tT1_T2_PT3_SF_jT4_jjP12ihipStream_tbEUlT_E0_NS1_11comp_targetILNS1_3genE6ELNS1_11target_archE950ELNS1_3gpuE13ELNS1_3repE0EEENS1_52radix_sort_onesweep_histogram_config_static_selectorELNS0_4arch9wavefront6targetE0EEEvSD_
; %bb.0:
	.section	.rodata,"a",@progbits
	.p2align	6, 0x0
	.amdhsa_kernel _ZN7rocprim17ROCPRIM_400000_NS6detail17trampoline_kernelINS0_14default_configENS1_35radix_sort_onesweep_config_selectorIiNS0_10empty_typeEEEZNS1_34radix_sort_onesweep_global_offsetsIS3_Lb0EPKiPS5_mNS0_19identity_decomposerEEE10hipError_tT1_T2_PT3_SF_jT4_jjP12ihipStream_tbEUlT_E0_NS1_11comp_targetILNS1_3genE6ELNS1_11target_archE950ELNS1_3gpuE13ELNS1_3repE0EEENS1_52radix_sort_onesweep_histogram_config_static_selectorELNS0_4arch9wavefront6targetE0EEEvSD_
		.amdhsa_group_segment_fixed_size 0
		.amdhsa_private_segment_fixed_size 0
		.amdhsa_kernarg_size 8
		.amdhsa_user_sgpr_count 2
		.amdhsa_user_sgpr_dispatch_ptr 0
		.amdhsa_user_sgpr_queue_ptr 0
		.amdhsa_user_sgpr_kernarg_segment_ptr 1
		.amdhsa_user_sgpr_dispatch_id 0
		.amdhsa_user_sgpr_kernarg_preload_length 0
		.amdhsa_user_sgpr_kernarg_preload_offset 0
		.amdhsa_user_sgpr_private_segment_size 0
		.amdhsa_wavefront_size32 1
		.amdhsa_uses_dynamic_stack 0
		.amdhsa_enable_private_segment 0
		.amdhsa_system_sgpr_workgroup_id_x 1
		.amdhsa_system_sgpr_workgroup_id_y 0
		.amdhsa_system_sgpr_workgroup_id_z 0
		.amdhsa_system_sgpr_workgroup_info 0
		.amdhsa_system_vgpr_workitem_id 0
		.amdhsa_next_free_vgpr 1
		.amdhsa_next_free_sgpr 1
		.amdhsa_named_barrier_count 0
		.amdhsa_reserve_vcc 0
		.amdhsa_float_round_mode_32 0
		.amdhsa_float_round_mode_16_64 0
		.amdhsa_float_denorm_mode_32 3
		.amdhsa_float_denorm_mode_16_64 3
		.amdhsa_fp16_overflow 0
		.amdhsa_memory_ordered 1
		.amdhsa_forward_progress 1
		.amdhsa_inst_pref_size 0
		.amdhsa_round_robin_scheduling 0
		.amdhsa_exception_fp_ieee_invalid_op 0
		.amdhsa_exception_fp_denorm_src 0
		.amdhsa_exception_fp_ieee_div_zero 0
		.amdhsa_exception_fp_ieee_overflow 0
		.amdhsa_exception_fp_ieee_underflow 0
		.amdhsa_exception_fp_ieee_inexact 0
		.amdhsa_exception_int_div_zero 0
	.end_amdhsa_kernel
	.section	.text._ZN7rocprim17ROCPRIM_400000_NS6detail17trampoline_kernelINS0_14default_configENS1_35radix_sort_onesweep_config_selectorIiNS0_10empty_typeEEEZNS1_34radix_sort_onesweep_global_offsetsIS3_Lb0EPKiPS5_mNS0_19identity_decomposerEEE10hipError_tT1_T2_PT3_SF_jT4_jjP12ihipStream_tbEUlT_E0_NS1_11comp_targetILNS1_3genE6ELNS1_11target_archE950ELNS1_3gpuE13ELNS1_3repE0EEENS1_52radix_sort_onesweep_histogram_config_static_selectorELNS0_4arch9wavefront6targetE0EEEvSD_,"axG",@progbits,_ZN7rocprim17ROCPRIM_400000_NS6detail17trampoline_kernelINS0_14default_configENS1_35radix_sort_onesweep_config_selectorIiNS0_10empty_typeEEEZNS1_34radix_sort_onesweep_global_offsetsIS3_Lb0EPKiPS5_mNS0_19identity_decomposerEEE10hipError_tT1_T2_PT3_SF_jT4_jjP12ihipStream_tbEUlT_E0_NS1_11comp_targetILNS1_3genE6ELNS1_11target_archE950ELNS1_3gpuE13ELNS1_3repE0EEENS1_52radix_sort_onesweep_histogram_config_static_selectorELNS0_4arch9wavefront6targetE0EEEvSD_,comdat
.Lfunc_end952:
	.size	_ZN7rocprim17ROCPRIM_400000_NS6detail17trampoline_kernelINS0_14default_configENS1_35radix_sort_onesweep_config_selectorIiNS0_10empty_typeEEEZNS1_34radix_sort_onesweep_global_offsetsIS3_Lb0EPKiPS5_mNS0_19identity_decomposerEEE10hipError_tT1_T2_PT3_SF_jT4_jjP12ihipStream_tbEUlT_E0_NS1_11comp_targetILNS1_3genE6ELNS1_11target_archE950ELNS1_3gpuE13ELNS1_3repE0EEENS1_52radix_sort_onesweep_histogram_config_static_selectorELNS0_4arch9wavefront6targetE0EEEvSD_, .Lfunc_end952-_ZN7rocprim17ROCPRIM_400000_NS6detail17trampoline_kernelINS0_14default_configENS1_35radix_sort_onesweep_config_selectorIiNS0_10empty_typeEEEZNS1_34radix_sort_onesweep_global_offsetsIS3_Lb0EPKiPS5_mNS0_19identity_decomposerEEE10hipError_tT1_T2_PT3_SF_jT4_jjP12ihipStream_tbEUlT_E0_NS1_11comp_targetILNS1_3genE6ELNS1_11target_archE950ELNS1_3gpuE13ELNS1_3repE0EEENS1_52radix_sort_onesweep_histogram_config_static_selectorELNS0_4arch9wavefront6targetE0EEEvSD_
                                        ; -- End function
	.set _ZN7rocprim17ROCPRIM_400000_NS6detail17trampoline_kernelINS0_14default_configENS1_35radix_sort_onesweep_config_selectorIiNS0_10empty_typeEEEZNS1_34radix_sort_onesweep_global_offsetsIS3_Lb0EPKiPS5_mNS0_19identity_decomposerEEE10hipError_tT1_T2_PT3_SF_jT4_jjP12ihipStream_tbEUlT_E0_NS1_11comp_targetILNS1_3genE6ELNS1_11target_archE950ELNS1_3gpuE13ELNS1_3repE0EEENS1_52radix_sort_onesweep_histogram_config_static_selectorELNS0_4arch9wavefront6targetE0EEEvSD_.num_vgpr, 0
	.set _ZN7rocprim17ROCPRIM_400000_NS6detail17trampoline_kernelINS0_14default_configENS1_35radix_sort_onesweep_config_selectorIiNS0_10empty_typeEEEZNS1_34radix_sort_onesweep_global_offsetsIS3_Lb0EPKiPS5_mNS0_19identity_decomposerEEE10hipError_tT1_T2_PT3_SF_jT4_jjP12ihipStream_tbEUlT_E0_NS1_11comp_targetILNS1_3genE6ELNS1_11target_archE950ELNS1_3gpuE13ELNS1_3repE0EEENS1_52radix_sort_onesweep_histogram_config_static_selectorELNS0_4arch9wavefront6targetE0EEEvSD_.num_agpr, 0
	.set _ZN7rocprim17ROCPRIM_400000_NS6detail17trampoline_kernelINS0_14default_configENS1_35radix_sort_onesweep_config_selectorIiNS0_10empty_typeEEEZNS1_34radix_sort_onesweep_global_offsetsIS3_Lb0EPKiPS5_mNS0_19identity_decomposerEEE10hipError_tT1_T2_PT3_SF_jT4_jjP12ihipStream_tbEUlT_E0_NS1_11comp_targetILNS1_3genE6ELNS1_11target_archE950ELNS1_3gpuE13ELNS1_3repE0EEENS1_52radix_sort_onesweep_histogram_config_static_selectorELNS0_4arch9wavefront6targetE0EEEvSD_.numbered_sgpr, 0
	.set _ZN7rocprim17ROCPRIM_400000_NS6detail17trampoline_kernelINS0_14default_configENS1_35radix_sort_onesweep_config_selectorIiNS0_10empty_typeEEEZNS1_34radix_sort_onesweep_global_offsetsIS3_Lb0EPKiPS5_mNS0_19identity_decomposerEEE10hipError_tT1_T2_PT3_SF_jT4_jjP12ihipStream_tbEUlT_E0_NS1_11comp_targetILNS1_3genE6ELNS1_11target_archE950ELNS1_3gpuE13ELNS1_3repE0EEENS1_52radix_sort_onesweep_histogram_config_static_selectorELNS0_4arch9wavefront6targetE0EEEvSD_.num_named_barrier, 0
	.set _ZN7rocprim17ROCPRIM_400000_NS6detail17trampoline_kernelINS0_14default_configENS1_35radix_sort_onesweep_config_selectorIiNS0_10empty_typeEEEZNS1_34radix_sort_onesweep_global_offsetsIS3_Lb0EPKiPS5_mNS0_19identity_decomposerEEE10hipError_tT1_T2_PT3_SF_jT4_jjP12ihipStream_tbEUlT_E0_NS1_11comp_targetILNS1_3genE6ELNS1_11target_archE950ELNS1_3gpuE13ELNS1_3repE0EEENS1_52radix_sort_onesweep_histogram_config_static_selectorELNS0_4arch9wavefront6targetE0EEEvSD_.private_seg_size, 0
	.set _ZN7rocprim17ROCPRIM_400000_NS6detail17trampoline_kernelINS0_14default_configENS1_35radix_sort_onesweep_config_selectorIiNS0_10empty_typeEEEZNS1_34radix_sort_onesweep_global_offsetsIS3_Lb0EPKiPS5_mNS0_19identity_decomposerEEE10hipError_tT1_T2_PT3_SF_jT4_jjP12ihipStream_tbEUlT_E0_NS1_11comp_targetILNS1_3genE6ELNS1_11target_archE950ELNS1_3gpuE13ELNS1_3repE0EEENS1_52radix_sort_onesweep_histogram_config_static_selectorELNS0_4arch9wavefront6targetE0EEEvSD_.uses_vcc, 0
	.set _ZN7rocprim17ROCPRIM_400000_NS6detail17trampoline_kernelINS0_14default_configENS1_35radix_sort_onesweep_config_selectorIiNS0_10empty_typeEEEZNS1_34radix_sort_onesweep_global_offsetsIS3_Lb0EPKiPS5_mNS0_19identity_decomposerEEE10hipError_tT1_T2_PT3_SF_jT4_jjP12ihipStream_tbEUlT_E0_NS1_11comp_targetILNS1_3genE6ELNS1_11target_archE950ELNS1_3gpuE13ELNS1_3repE0EEENS1_52radix_sort_onesweep_histogram_config_static_selectorELNS0_4arch9wavefront6targetE0EEEvSD_.uses_flat_scratch, 0
	.set _ZN7rocprim17ROCPRIM_400000_NS6detail17trampoline_kernelINS0_14default_configENS1_35radix_sort_onesweep_config_selectorIiNS0_10empty_typeEEEZNS1_34radix_sort_onesweep_global_offsetsIS3_Lb0EPKiPS5_mNS0_19identity_decomposerEEE10hipError_tT1_T2_PT3_SF_jT4_jjP12ihipStream_tbEUlT_E0_NS1_11comp_targetILNS1_3genE6ELNS1_11target_archE950ELNS1_3gpuE13ELNS1_3repE0EEENS1_52radix_sort_onesweep_histogram_config_static_selectorELNS0_4arch9wavefront6targetE0EEEvSD_.has_dyn_sized_stack, 0
	.set _ZN7rocprim17ROCPRIM_400000_NS6detail17trampoline_kernelINS0_14default_configENS1_35radix_sort_onesweep_config_selectorIiNS0_10empty_typeEEEZNS1_34radix_sort_onesweep_global_offsetsIS3_Lb0EPKiPS5_mNS0_19identity_decomposerEEE10hipError_tT1_T2_PT3_SF_jT4_jjP12ihipStream_tbEUlT_E0_NS1_11comp_targetILNS1_3genE6ELNS1_11target_archE950ELNS1_3gpuE13ELNS1_3repE0EEENS1_52radix_sort_onesweep_histogram_config_static_selectorELNS0_4arch9wavefront6targetE0EEEvSD_.has_recursion, 0
	.set _ZN7rocprim17ROCPRIM_400000_NS6detail17trampoline_kernelINS0_14default_configENS1_35radix_sort_onesweep_config_selectorIiNS0_10empty_typeEEEZNS1_34radix_sort_onesweep_global_offsetsIS3_Lb0EPKiPS5_mNS0_19identity_decomposerEEE10hipError_tT1_T2_PT3_SF_jT4_jjP12ihipStream_tbEUlT_E0_NS1_11comp_targetILNS1_3genE6ELNS1_11target_archE950ELNS1_3gpuE13ELNS1_3repE0EEENS1_52radix_sort_onesweep_histogram_config_static_selectorELNS0_4arch9wavefront6targetE0EEEvSD_.has_indirect_call, 0
	.section	.AMDGPU.csdata,"",@progbits
; Kernel info:
; codeLenInByte = 0
; TotalNumSgprs: 0
; NumVgprs: 0
; ScratchSize: 0
; MemoryBound: 0
; FloatMode: 240
; IeeeMode: 1
; LDSByteSize: 0 bytes/workgroup (compile time only)
; SGPRBlocks: 0
; VGPRBlocks: 0
; NumSGPRsForWavesPerEU: 1
; NumVGPRsForWavesPerEU: 1
; NamedBarCnt: 0
; Occupancy: 16
; WaveLimiterHint : 0
; COMPUTE_PGM_RSRC2:SCRATCH_EN: 0
; COMPUTE_PGM_RSRC2:USER_SGPR: 2
; COMPUTE_PGM_RSRC2:TRAP_HANDLER: 0
; COMPUTE_PGM_RSRC2:TGID_X_EN: 1
; COMPUTE_PGM_RSRC2:TGID_Y_EN: 0
; COMPUTE_PGM_RSRC2:TGID_Z_EN: 0
; COMPUTE_PGM_RSRC2:TIDIG_COMP_CNT: 0
	.section	.text._ZN7rocprim17ROCPRIM_400000_NS6detail17trampoline_kernelINS0_14default_configENS1_35radix_sort_onesweep_config_selectorIiNS0_10empty_typeEEEZNS1_34radix_sort_onesweep_global_offsetsIS3_Lb0EPKiPS5_mNS0_19identity_decomposerEEE10hipError_tT1_T2_PT3_SF_jT4_jjP12ihipStream_tbEUlT_E0_NS1_11comp_targetILNS1_3genE5ELNS1_11target_archE942ELNS1_3gpuE9ELNS1_3repE0EEENS1_52radix_sort_onesweep_histogram_config_static_selectorELNS0_4arch9wavefront6targetE0EEEvSD_,"axG",@progbits,_ZN7rocprim17ROCPRIM_400000_NS6detail17trampoline_kernelINS0_14default_configENS1_35radix_sort_onesweep_config_selectorIiNS0_10empty_typeEEEZNS1_34radix_sort_onesweep_global_offsetsIS3_Lb0EPKiPS5_mNS0_19identity_decomposerEEE10hipError_tT1_T2_PT3_SF_jT4_jjP12ihipStream_tbEUlT_E0_NS1_11comp_targetILNS1_3genE5ELNS1_11target_archE942ELNS1_3gpuE9ELNS1_3repE0EEENS1_52radix_sort_onesweep_histogram_config_static_selectorELNS0_4arch9wavefront6targetE0EEEvSD_,comdat
	.protected	_ZN7rocprim17ROCPRIM_400000_NS6detail17trampoline_kernelINS0_14default_configENS1_35radix_sort_onesweep_config_selectorIiNS0_10empty_typeEEEZNS1_34radix_sort_onesweep_global_offsetsIS3_Lb0EPKiPS5_mNS0_19identity_decomposerEEE10hipError_tT1_T2_PT3_SF_jT4_jjP12ihipStream_tbEUlT_E0_NS1_11comp_targetILNS1_3genE5ELNS1_11target_archE942ELNS1_3gpuE9ELNS1_3repE0EEENS1_52radix_sort_onesweep_histogram_config_static_selectorELNS0_4arch9wavefront6targetE0EEEvSD_ ; -- Begin function _ZN7rocprim17ROCPRIM_400000_NS6detail17trampoline_kernelINS0_14default_configENS1_35radix_sort_onesweep_config_selectorIiNS0_10empty_typeEEEZNS1_34radix_sort_onesweep_global_offsetsIS3_Lb0EPKiPS5_mNS0_19identity_decomposerEEE10hipError_tT1_T2_PT3_SF_jT4_jjP12ihipStream_tbEUlT_E0_NS1_11comp_targetILNS1_3genE5ELNS1_11target_archE942ELNS1_3gpuE9ELNS1_3repE0EEENS1_52radix_sort_onesweep_histogram_config_static_selectorELNS0_4arch9wavefront6targetE0EEEvSD_
	.globl	_ZN7rocprim17ROCPRIM_400000_NS6detail17trampoline_kernelINS0_14default_configENS1_35radix_sort_onesweep_config_selectorIiNS0_10empty_typeEEEZNS1_34radix_sort_onesweep_global_offsetsIS3_Lb0EPKiPS5_mNS0_19identity_decomposerEEE10hipError_tT1_T2_PT3_SF_jT4_jjP12ihipStream_tbEUlT_E0_NS1_11comp_targetILNS1_3genE5ELNS1_11target_archE942ELNS1_3gpuE9ELNS1_3repE0EEENS1_52radix_sort_onesweep_histogram_config_static_selectorELNS0_4arch9wavefront6targetE0EEEvSD_
	.p2align	8
	.type	_ZN7rocprim17ROCPRIM_400000_NS6detail17trampoline_kernelINS0_14default_configENS1_35radix_sort_onesweep_config_selectorIiNS0_10empty_typeEEEZNS1_34radix_sort_onesweep_global_offsetsIS3_Lb0EPKiPS5_mNS0_19identity_decomposerEEE10hipError_tT1_T2_PT3_SF_jT4_jjP12ihipStream_tbEUlT_E0_NS1_11comp_targetILNS1_3genE5ELNS1_11target_archE942ELNS1_3gpuE9ELNS1_3repE0EEENS1_52radix_sort_onesweep_histogram_config_static_selectorELNS0_4arch9wavefront6targetE0EEEvSD_,@function
_ZN7rocprim17ROCPRIM_400000_NS6detail17trampoline_kernelINS0_14default_configENS1_35radix_sort_onesweep_config_selectorIiNS0_10empty_typeEEEZNS1_34radix_sort_onesweep_global_offsetsIS3_Lb0EPKiPS5_mNS0_19identity_decomposerEEE10hipError_tT1_T2_PT3_SF_jT4_jjP12ihipStream_tbEUlT_E0_NS1_11comp_targetILNS1_3genE5ELNS1_11target_archE942ELNS1_3gpuE9ELNS1_3repE0EEENS1_52radix_sort_onesweep_histogram_config_static_selectorELNS0_4arch9wavefront6targetE0EEEvSD_: ; @_ZN7rocprim17ROCPRIM_400000_NS6detail17trampoline_kernelINS0_14default_configENS1_35radix_sort_onesweep_config_selectorIiNS0_10empty_typeEEEZNS1_34radix_sort_onesweep_global_offsetsIS3_Lb0EPKiPS5_mNS0_19identity_decomposerEEE10hipError_tT1_T2_PT3_SF_jT4_jjP12ihipStream_tbEUlT_E0_NS1_11comp_targetILNS1_3genE5ELNS1_11target_archE942ELNS1_3gpuE9ELNS1_3repE0EEENS1_52radix_sort_onesweep_histogram_config_static_selectorELNS0_4arch9wavefront6targetE0EEEvSD_
; %bb.0:
	.section	.rodata,"a",@progbits
	.p2align	6, 0x0
	.amdhsa_kernel _ZN7rocprim17ROCPRIM_400000_NS6detail17trampoline_kernelINS0_14default_configENS1_35radix_sort_onesweep_config_selectorIiNS0_10empty_typeEEEZNS1_34radix_sort_onesweep_global_offsetsIS3_Lb0EPKiPS5_mNS0_19identity_decomposerEEE10hipError_tT1_T2_PT3_SF_jT4_jjP12ihipStream_tbEUlT_E0_NS1_11comp_targetILNS1_3genE5ELNS1_11target_archE942ELNS1_3gpuE9ELNS1_3repE0EEENS1_52radix_sort_onesweep_histogram_config_static_selectorELNS0_4arch9wavefront6targetE0EEEvSD_
		.amdhsa_group_segment_fixed_size 0
		.amdhsa_private_segment_fixed_size 0
		.amdhsa_kernarg_size 8
		.amdhsa_user_sgpr_count 2
		.amdhsa_user_sgpr_dispatch_ptr 0
		.amdhsa_user_sgpr_queue_ptr 0
		.amdhsa_user_sgpr_kernarg_segment_ptr 1
		.amdhsa_user_sgpr_dispatch_id 0
		.amdhsa_user_sgpr_kernarg_preload_length 0
		.amdhsa_user_sgpr_kernarg_preload_offset 0
		.amdhsa_user_sgpr_private_segment_size 0
		.amdhsa_wavefront_size32 1
		.amdhsa_uses_dynamic_stack 0
		.amdhsa_enable_private_segment 0
		.amdhsa_system_sgpr_workgroup_id_x 1
		.amdhsa_system_sgpr_workgroup_id_y 0
		.amdhsa_system_sgpr_workgroup_id_z 0
		.amdhsa_system_sgpr_workgroup_info 0
		.amdhsa_system_vgpr_workitem_id 0
		.amdhsa_next_free_vgpr 1
		.amdhsa_next_free_sgpr 1
		.amdhsa_named_barrier_count 0
		.amdhsa_reserve_vcc 0
		.amdhsa_float_round_mode_32 0
		.amdhsa_float_round_mode_16_64 0
		.amdhsa_float_denorm_mode_32 3
		.amdhsa_float_denorm_mode_16_64 3
		.amdhsa_fp16_overflow 0
		.amdhsa_memory_ordered 1
		.amdhsa_forward_progress 1
		.amdhsa_inst_pref_size 0
		.amdhsa_round_robin_scheduling 0
		.amdhsa_exception_fp_ieee_invalid_op 0
		.amdhsa_exception_fp_denorm_src 0
		.amdhsa_exception_fp_ieee_div_zero 0
		.amdhsa_exception_fp_ieee_overflow 0
		.amdhsa_exception_fp_ieee_underflow 0
		.amdhsa_exception_fp_ieee_inexact 0
		.amdhsa_exception_int_div_zero 0
	.end_amdhsa_kernel
	.section	.text._ZN7rocprim17ROCPRIM_400000_NS6detail17trampoline_kernelINS0_14default_configENS1_35radix_sort_onesweep_config_selectorIiNS0_10empty_typeEEEZNS1_34radix_sort_onesweep_global_offsetsIS3_Lb0EPKiPS5_mNS0_19identity_decomposerEEE10hipError_tT1_T2_PT3_SF_jT4_jjP12ihipStream_tbEUlT_E0_NS1_11comp_targetILNS1_3genE5ELNS1_11target_archE942ELNS1_3gpuE9ELNS1_3repE0EEENS1_52radix_sort_onesweep_histogram_config_static_selectorELNS0_4arch9wavefront6targetE0EEEvSD_,"axG",@progbits,_ZN7rocprim17ROCPRIM_400000_NS6detail17trampoline_kernelINS0_14default_configENS1_35radix_sort_onesweep_config_selectorIiNS0_10empty_typeEEEZNS1_34radix_sort_onesweep_global_offsetsIS3_Lb0EPKiPS5_mNS0_19identity_decomposerEEE10hipError_tT1_T2_PT3_SF_jT4_jjP12ihipStream_tbEUlT_E0_NS1_11comp_targetILNS1_3genE5ELNS1_11target_archE942ELNS1_3gpuE9ELNS1_3repE0EEENS1_52radix_sort_onesweep_histogram_config_static_selectorELNS0_4arch9wavefront6targetE0EEEvSD_,comdat
.Lfunc_end953:
	.size	_ZN7rocprim17ROCPRIM_400000_NS6detail17trampoline_kernelINS0_14default_configENS1_35radix_sort_onesweep_config_selectorIiNS0_10empty_typeEEEZNS1_34radix_sort_onesweep_global_offsetsIS3_Lb0EPKiPS5_mNS0_19identity_decomposerEEE10hipError_tT1_T2_PT3_SF_jT4_jjP12ihipStream_tbEUlT_E0_NS1_11comp_targetILNS1_3genE5ELNS1_11target_archE942ELNS1_3gpuE9ELNS1_3repE0EEENS1_52radix_sort_onesweep_histogram_config_static_selectorELNS0_4arch9wavefront6targetE0EEEvSD_, .Lfunc_end953-_ZN7rocprim17ROCPRIM_400000_NS6detail17trampoline_kernelINS0_14default_configENS1_35radix_sort_onesweep_config_selectorIiNS0_10empty_typeEEEZNS1_34radix_sort_onesweep_global_offsetsIS3_Lb0EPKiPS5_mNS0_19identity_decomposerEEE10hipError_tT1_T2_PT3_SF_jT4_jjP12ihipStream_tbEUlT_E0_NS1_11comp_targetILNS1_3genE5ELNS1_11target_archE942ELNS1_3gpuE9ELNS1_3repE0EEENS1_52radix_sort_onesweep_histogram_config_static_selectorELNS0_4arch9wavefront6targetE0EEEvSD_
                                        ; -- End function
	.set _ZN7rocprim17ROCPRIM_400000_NS6detail17trampoline_kernelINS0_14default_configENS1_35radix_sort_onesweep_config_selectorIiNS0_10empty_typeEEEZNS1_34radix_sort_onesweep_global_offsetsIS3_Lb0EPKiPS5_mNS0_19identity_decomposerEEE10hipError_tT1_T2_PT3_SF_jT4_jjP12ihipStream_tbEUlT_E0_NS1_11comp_targetILNS1_3genE5ELNS1_11target_archE942ELNS1_3gpuE9ELNS1_3repE0EEENS1_52radix_sort_onesweep_histogram_config_static_selectorELNS0_4arch9wavefront6targetE0EEEvSD_.num_vgpr, 0
	.set _ZN7rocprim17ROCPRIM_400000_NS6detail17trampoline_kernelINS0_14default_configENS1_35radix_sort_onesweep_config_selectorIiNS0_10empty_typeEEEZNS1_34radix_sort_onesweep_global_offsetsIS3_Lb0EPKiPS5_mNS0_19identity_decomposerEEE10hipError_tT1_T2_PT3_SF_jT4_jjP12ihipStream_tbEUlT_E0_NS1_11comp_targetILNS1_3genE5ELNS1_11target_archE942ELNS1_3gpuE9ELNS1_3repE0EEENS1_52radix_sort_onesweep_histogram_config_static_selectorELNS0_4arch9wavefront6targetE0EEEvSD_.num_agpr, 0
	.set _ZN7rocprim17ROCPRIM_400000_NS6detail17trampoline_kernelINS0_14default_configENS1_35radix_sort_onesweep_config_selectorIiNS0_10empty_typeEEEZNS1_34radix_sort_onesweep_global_offsetsIS3_Lb0EPKiPS5_mNS0_19identity_decomposerEEE10hipError_tT1_T2_PT3_SF_jT4_jjP12ihipStream_tbEUlT_E0_NS1_11comp_targetILNS1_3genE5ELNS1_11target_archE942ELNS1_3gpuE9ELNS1_3repE0EEENS1_52radix_sort_onesweep_histogram_config_static_selectorELNS0_4arch9wavefront6targetE0EEEvSD_.numbered_sgpr, 0
	.set _ZN7rocprim17ROCPRIM_400000_NS6detail17trampoline_kernelINS0_14default_configENS1_35radix_sort_onesweep_config_selectorIiNS0_10empty_typeEEEZNS1_34radix_sort_onesweep_global_offsetsIS3_Lb0EPKiPS5_mNS0_19identity_decomposerEEE10hipError_tT1_T2_PT3_SF_jT4_jjP12ihipStream_tbEUlT_E0_NS1_11comp_targetILNS1_3genE5ELNS1_11target_archE942ELNS1_3gpuE9ELNS1_3repE0EEENS1_52radix_sort_onesweep_histogram_config_static_selectorELNS0_4arch9wavefront6targetE0EEEvSD_.num_named_barrier, 0
	.set _ZN7rocprim17ROCPRIM_400000_NS6detail17trampoline_kernelINS0_14default_configENS1_35radix_sort_onesweep_config_selectorIiNS0_10empty_typeEEEZNS1_34radix_sort_onesweep_global_offsetsIS3_Lb0EPKiPS5_mNS0_19identity_decomposerEEE10hipError_tT1_T2_PT3_SF_jT4_jjP12ihipStream_tbEUlT_E0_NS1_11comp_targetILNS1_3genE5ELNS1_11target_archE942ELNS1_3gpuE9ELNS1_3repE0EEENS1_52radix_sort_onesweep_histogram_config_static_selectorELNS0_4arch9wavefront6targetE0EEEvSD_.private_seg_size, 0
	.set _ZN7rocprim17ROCPRIM_400000_NS6detail17trampoline_kernelINS0_14default_configENS1_35radix_sort_onesweep_config_selectorIiNS0_10empty_typeEEEZNS1_34radix_sort_onesweep_global_offsetsIS3_Lb0EPKiPS5_mNS0_19identity_decomposerEEE10hipError_tT1_T2_PT3_SF_jT4_jjP12ihipStream_tbEUlT_E0_NS1_11comp_targetILNS1_3genE5ELNS1_11target_archE942ELNS1_3gpuE9ELNS1_3repE0EEENS1_52radix_sort_onesweep_histogram_config_static_selectorELNS0_4arch9wavefront6targetE0EEEvSD_.uses_vcc, 0
	.set _ZN7rocprim17ROCPRIM_400000_NS6detail17trampoline_kernelINS0_14default_configENS1_35radix_sort_onesweep_config_selectorIiNS0_10empty_typeEEEZNS1_34radix_sort_onesweep_global_offsetsIS3_Lb0EPKiPS5_mNS0_19identity_decomposerEEE10hipError_tT1_T2_PT3_SF_jT4_jjP12ihipStream_tbEUlT_E0_NS1_11comp_targetILNS1_3genE5ELNS1_11target_archE942ELNS1_3gpuE9ELNS1_3repE0EEENS1_52radix_sort_onesweep_histogram_config_static_selectorELNS0_4arch9wavefront6targetE0EEEvSD_.uses_flat_scratch, 0
	.set _ZN7rocprim17ROCPRIM_400000_NS6detail17trampoline_kernelINS0_14default_configENS1_35radix_sort_onesweep_config_selectorIiNS0_10empty_typeEEEZNS1_34radix_sort_onesweep_global_offsetsIS3_Lb0EPKiPS5_mNS0_19identity_decomposerEEE10hipError_tT1_T2_PT3_SF_jT4_jjP12ihipStream_tbEUlT_E0_NS1_11comp_targetILNS1_3genE5ELNS1_11target_archE942ELNS1_3gpuE9ELNS1_3repE0EEENS1_52radix_sort_onesweep_histogram_config_static_selectorELNS0_4arch9wavefront6targetE0EEEvSD_.has_dyn_sized_stack, 0
	.set _ZN7rocprim17ROCPRIM_400000_NS6detail17trampoline_kernelINS0_14default_configENS1_35radix_sort_onesweep_config_selectorIiNS0_10empty_typeEEEZNS1_34radix_sort_onesweep_global_offsetsIS3_Lb0EPKiPS5_mNS0_19identity_decomposerEEE10hipError_tT1_T2_PT3_SF_jT4_jjP12ihipStream_tbEUlT_E0_NS1_11comp_targetILNS1_3genE5ELNS1_11target_archE942ELNS1_3gpuE9ELNS1_3repE0EEENS1_52radix_sort_onesweep_histogram_config_static_selectorELNS0_4arch9wavefront6targetE0EEEvSD_.has_recursion, 0
	.set _ZN7rocprim17ROCPRIM_400000_NS6detail17trampoline_kernelINS0_14default_configENS1_35radix_sort_onesweep_config_selectorIiNS0_10empty_typeEEEZNS1_34radix_sort_onesweep_global_offsetsIS3_Lb0EPKiPS5_mNS0_19identity_decomposerEEE10hipError_tT1_T2_PT3_SF_jT4_jjP12ihipStream_tbEUlT_E0_NS1_11comp_targetILNS1_3genE5ELNS1_11target_archE942ELNS1_3gpuE9ELNS1_3repE0EEENS1_52radix_sort_onesweep_histogram_config_static_selectorELNS0_4arch9wavefront6targetE0EEEvSD_.has_indirect_call, 0
	.section	.AMDGPU.csdata,"",@progbits
; Kernel info:
; codeLenInByte = 0
; TotalNumSgprs: 0
; NumVgprs: 0
; ScratchSize: 0
; MemoryBound: 0
; FloatMode: 240
; IeeeMode: 1
; LDSByteSize: 0 bytes/workgroup (compile time only)
; SGPRBlocks: 0
; VGPRBlocks: 0
; NumSGPRsForWavesPerEU: 1
; NumVGPRsForWavesPerEU: 1
; NamedBarCnt: 0
; Occupancy: 16
; WaveLimiterHint : 0
; COMPUTE_PGM_RSRC2:SCRATCH_EN: 0
; COMPUTE_PGM_RSRC2:USER_SGPR: 2
; COMPUTE_PGM_RSRC2:TRAP_HANDLER: 0
; COMPUTE_PGM_RSRC2:TGID_X_EN: 1
; COMPUTE_PGM_RSRC2:TGID_Y_EN: 0
; COMPUTE_PGM_RSRC2:TGID_Z_EN: 0
; COMPUTE_PGM_RSRC2:TIDIG_COMP_CNT: 0
	.section	.text._ZN7rocprim17ROCPRIM_400000_NS6detail17trampoline_kernelINS0_14default_configENS1_35radix_sort_onesweep_config_selectorIiNS0_10empty_typeEEEZNS1_34radix_sort_onesweep_global_offsetsIS3_Lb0EPKiPS5_mNS0_19identity_decomposerEEE10hipError_tT1_T2_PT3_SF_jT4_jjP12ihipStream_tbEUlT_E0_NS1_11comp_targetILNS1_3genE2ELNS1_11target_archE906ELNS1_3gpuE6ELNS1_3repE0EEENS1_52radix_sort_onesweep_histogram_config_static_selectorELNS0_4arch9wavefront6targetE0EEEvSD_,"axG",@progbits,_ZN7rocprim17ROCPRIM_400000_NS6detail17trampoline_kernelINS0_14default_configENS1_35radix_sort_onesweep_config_selectorIiNS0_10empty_typeEEEZNS1_34radix_sort_onesweep_global_offsetsIS3_Lb0EPKiPS5_mNS0_19identity_decomposerEEE10hipError_tT1_T2_PT3_SF_jT4_jjP12ihipStream_tbEUlT_E0_NS1_11comp_targetILNS1_3genE2ELNS1_11target_archE906ELNS1_3gpuE6ELNS1_3repE0EEENS1_52radix_sort_onesweep_histogram_config_static_selectorELNS0_4arch9wavefront6targetE0EEEvSD_,comdat
	.protected	_ZN7rocprim17ROCPRIM_400000_NS6detail17trampoline_kernelINS0_14default_configENS1_35radix_sort_onesweep_config_selectorIiNS0_10empty_typeEEEZNS1_34radix_sort_onesweep_global_offsetsIS3_Lb0EPKiPS5_mNS0_19identity_decomposerEEE10hipError_tT1_T2_PT3_SF_jT4_jjP12ihipStream_tbEUlT_E0_NS1_11comp_targetILNS1_3genE2ELNS1_11target_archE906ELNS1_3gpuE6ELNS1_3repE0EEENS1_52radix_sort_onesweep_histogram_config_static_selectorELNS0_4arch9wavefront6targetE0EEEvSD_ ; -- Begin function _ZN7rocprim17ROCPRIM_400000_NS6detail17trampoline_kernelINS0_14default_configENS1_35radix_sort_onesweep_config_selectorIiNS0_10empty_typeEEEZNS1_34radix_sort_onesweep_global_offsetsIS3_Lb0EPKiPS5_mNS0_19identity_decomposerEEE10hipError_tT1_T2_PT3_SF_jT4_jjP12ihipStream_tbEUlT_E0_NS1_11comp_targetILNS1_3genE2ELNS1_11target_archE906ELNS1_3gpuE6ELNS1_3repE0EEENS1_52radix_sort_onesweep_histogram_config_static_selectorELNS0_4arch9wavefront6targetE0EEEvSD_
	.globl	_ZN7rocprim17ROCPRIM_400000_NS6detail17trampoline_kernelINS0_14default_configENS1_35radix_sort_onesweep_config_selectorIiNS0_10empty_typeEEEZNS1_34radix_sort_onesweep_global_offsetsIS3_Lb0EPKiPS5_mNS0_19identity_decomposerEEE10hipError_tT1_T2_PT3_SF_jT4_jjP12ihipStream_tbEUlT_E0_NS1_11comp_targetILNS1_3genE2ELNS1_11target_archE906ELNS1_3gpuE6ELNS1_3repE0EEENS1_52radix_sort_onesweep_histogram_config_static_selectorELNS0_4arch9wavefront6targetE0EEEvSD_
	.p2align	8
	.type	_ZN7rocprim17ROCPRIM_400000_NS6detail17trampoline_kernelINS0_14default_configENS1_35radix_sort_onesweep_config_selectorIiNS0_10empty_typeEEEZNS1_34radix_sort_onesweep_global_offsetsIS3_Lb0EPKiPS5_mNS0_19identity_decomposerEEE10hipError_tT1_T2_PT3_SF_jT4_jjP12ihipStream_tbEUlT_E0_NS1_11comp_targetILNS1_3genE2ELNS1_11target_archE906ELNS1_3gpuE6ELNS1_3repE0EEENS1_52radix_sort_onesweep_histogram_config_static_selectorELNS0_4arch9wavefront6targetE0EEEvSD_,@function
_ZN7rocprim17ROCPRIM_400000_NS6detail17trampoline_kernelINS0_14default_configENS1_35radix_sort_onesweep_config_selectorIiNS0_10empty_typeEEEZNS1_34radix_sort_onesweep_global_offsetsIS3_Lb0EPKiPS5_mNS0_19identity_decomposerEEE10hipError_tT1_T2_PT3_SF_jT4_jjP12ihipStream_tbEUlT_E0_NS1_11comp_targetILNS1_3genE2ELNS1_11target_archE906ELNS1_3gpuE6ELNS1_3repE0EEENS1_52radix_sort_onesweep_histogram_config_static_selectorELNS0_4arch9wavefront6targetE0EEEvSD_: ; @_ZN7rocprim17ROCPRIM_400000_NS6detail17trampoline_kernelINS0_14default_configENS1_35radix_sort_onesweep_config_selectorIiNS0_10empty_typeEEEZNS1_34radix_sort_onesweep_global_offsetsIS3_Lb0EPKiPS5_mNS0_19identity_decomposerEEE10hipError_tT1_T2_PT3_SF_jT4_jjP12ihipStream_tbEUlT_E0_NS1_11comp_targetILNS1_3genE2ELNS1_11target_archE906ELNS1_3gpuE6ELNS1_3repE0EEENS1_52radix_sort_onesweep_histogram_config_static_selectorELNS0_4arch9wavefront6targetE0EEEvSD_
; %bb.0:
	.section	.rodata,"a",@progbits
	.p2align	6, 0x0
	.amdhsa_kernel _ZN7rocprim17ROCPRIM_400000_NS6detail17trampoline_kernelINS0_14default_configENS1_35radix_sort_onesweep_config_selectorIiNS0_10empty_typeEEEZNS1_34radix_sort_onesweep_global_offsetsIS3_Lb0EPKiPS5_mNS0_19identity_decomposerEEE10hipError_tT1_T2_PT3_SF_jT4_jjP12ihipStream_tbEUlT_E0_NS1_11comp_targetILNS1_3genE2ELNS1_11target_archE906ELNS1_3gpuE6ELNS1_3repE0EEENS1_52radix_sort_onesweep_histogram_config_static_selectorELNS0_4arch9wavefront6targetE0EEEvSD_
		.amdhsa_group_segment_fixed_size 0
		.amdhsa_private_segment_fixed_size 0
		.amdhsa_kernarg_size 8
		.amdhsa_user_sgpr_count 2
		.amdhsa_user_sgpr_dispatch_ptr 0
		.amdhsa_user_sgpr_queue_ptr 0
		.amdhsa_user_sgpr_kernarg_segment_ptr 1
		.amdhsa_user_sgpr_dispatch_id 0
		.amdhsa_user_sgpr_kernarg_preload_length 0
		.amdhsa_user_sgpr_kernarg_preload_offset 0
		.amdhsa_user_sgpr_private_segment_size 0
		.amdhsa_wavefront_size32 1
		.amdhsa_uses_dynamic_stack 0
		.amdhsa_enable_private_segment 0
		.amdhsa_system_sgpr_workgroup_id_x 1
		.amdhsa_system_sgpr_workgroup_id_y 0
		.amdhsa_system_sgpr_workgroup_id_z 0
		.amdhsa_system_sgpr_workgroup_info 0
		.amdhsa_system_vgpr_workitem_id 0
		.amdhsa_next_free_vgpr 1
		.amdhsa_next_free_sgpr 1
		.amdhsa_named_barrier_count 0
		.amdhsa_reserve_vcc 0
		.amdhsa_float_round_mode_32 0
		.amdhsa_float_round_mode_16_64 0
		.amdhsa_float_denorm_mode_32 3
		.amdhsa_float_denorm_mode_16_64 3
		.amdhsa_fp16_overflow 0
		.amdhsa_memory_ordered 1
		.amdhsa_forward_progress 1
		.amdhsa_inst_pref_size 0
		.amdhsa_round_robin_scheduling 0
		.amdhsa_exception_fp_ieee_invalid_op 0
		.amdhsa_exception_fp_denorm_src 0
		.amdhsa_exception_fp_ieee_div_zero 0
		.amdhsa_exception_fp_ieee_overflow 0
		.amdhsa_exception_fp_ieee_underflow 0
		.amdhsa_exception_fp_ieee_inexact 0
		.amdhsa_exception_int_div_zero 0
	.end_amdhsa_kernel
	.section	.text._ZN7rocprim17ROCPRIM_400000_NS6detail17trampoline_kernelINS0_14default_configENS1_35radix_sort_onesweep_config_selectorIiNS0_10empty_typeEEEZNS1_34radix_sort_onesweep_global_offsetsIS3_Lb0EPKiPS5_mNS0_19identity_decomposerEEE10hipError_tT1_T2_PT3_SF_jT4_jjP12ihipStream_tbEUlT_E0_NS1_11comp_targetILNS1_3genE2ELNS1_11target_archE906ELNS1_3gpuE6ELNS1_3repE0EEENS1_52radix_sort_onesweep_histogram_config_static_selectorELNS0_4arch9wavefront6targetE0EEEvSD_,"axG",@progbits,_ZN7rocprim17ROCPRIM_400000_NS6detail17trampoline_kernelINS0_14default_configENS1_35radix_sort_onesweep_config_selectorIiNS0_10empty_typeEEEZNS1_34radix_sort_onesweep_global_offsetsIS3_Lb0EPKiPS5_mNS0_19identity_decomposerEEE10hipError_tT1_T2_PT3_SF_jT4_jjP12ihipStream_tbEUlT_E0_NS1_11comp_targetILNS1_3genE2ELNS1_11target_archE906ELNS1_3gpuE6ELNS1_3repE0EEENS1_52radix_sort_onesweep_histogram_config_static_selectorELNS0_4arch9wavefront6targetE0EEEvSD_,comdat
.Lfunc_end954:
	.size	_ZN7rocprim17ROCPRIM_400000_NS6detail17trampoline_kernelINS0_14default_configENS1_35radix_sort_onesweep_config_selectorIiNS0_10empty_typeEEEZNS1_34radix_sort_onesweep_global_offsetsIS3_Lb0EPKiPS5_mNS0_19identity_decomposerEEE10hipError_tT1_T2_PT3_SF_jT4_jjP12ihipStream_tbEUlT_E0_NS1_11comp_targetILNS1_3genE2ELNS1_11target_archE906ELNS1_3gpuE6ELNS1_3repE0EEENS1_52radix_sort_onesweep_histogram_config_static_selectorELNS0_4arch9wavefront6targetE0EEEvSD_, .Lfunc_end954-_ZN7rocprim17ROCPRIM_400000_NS6detail17trampoline_kernelINS0_14default_configENS1_35radix_sort_onesweep_config_selectorIiNS0_10empty_typeEEEZNS1_34radix_sort_onesweep_global_offsetsIS3_Lb0EPKiPS5_mNS0_19identity_decomposerEEE10hipError_tT1_T2_PT3_SF_jT4_jjP12ihipStream_tbEUlT_E0_NS1_11comp_targetILNS1_3genE2ELNS1_11target_archE906ELNS1_3gpuE6ELNS1_3repE0EEENS1_52radix_sort_onesweep_histogram_config_static_selectorELNS0_4arch9wavefront6targetE0EEEvSD_
                                        ; -- End function
	.set _ZN7rocprim17ROCPRIM_400000_NS6detail17trampoline_kernelINS0_14default_configENS1_35radix_sort_onesweep_config_selectorIiNS0_10empty_typeEEEZNS1_34radix_sort_onesweep_global_offsetsIS3_Lb0EPKiPS5_mNS0_19identity_decomposerEEE10hipError_tT1_T2_PT3_SF_jT4_jjP12ihipStream_tbEUlT_E0_NS1_11comp_targetILNS1_3genE2ELNS1_11target_archE906ELNS1_3gpuE6ELNS1_3repE0EEENS1_52radix_sort_onesweep_histogram_config_static_selectorELNS0_4arch9wavefront6targetE0EEEvSD_.num_vgpr, 0
	.set _ZN7rocprim17ROCPRIM_400000_NS6detail17trampoline_kernelINS0_14default_configENS1_35radix_sort_onesweep_config_selectorIiNS0_10empty_typeEEEZNS1_34radix_sort_onesweep_global_offsetsIS3_Lb0EPKiPS5_mNS0_19identity_decomposerEEE10hipError_tT1_T2_PT3_SF_jT4_jjP12ihipStream_tbEUlT_E0_NS1_11comp_targetILNS1_3genE2ELNS1_11target_archE906ELNS1_3gpuE6ELNS1_3repE0EEENS1_52radix_sort_onesweep_histogram_config_static_selectorELNS0_4arch9wavefront6targetE0EEEvSD_.num_agpr, 0
	.set _ZN7rocprim17ROCPRIM_400000_NS6detail17trampoline_kernelINS0_14default_configENS1_35radix_sort_onesweep_config_selectorIiNS0_10empty_typeEEEZNS1_34radix_sort_onesweep_global_offsetsIS3_Lb0EPKiPS5_mNS0_19identity_decomposerEEE10hipError_tT1_T2_PT3_SF_jT4_jjP12ihipStream_tbEUlT_E0_NS1_11comp_targetILNS1_3genE2ELNS1_11target_archE906ELNS1_3gpuE6ELNS1_3repE0EEENS1_52radix_sort_onesweep_histogram_config_static_selectorELNS0_4arch9wavefront6targetE0EEEvSD_.numbered_sgpr, 0
	.set _ZN7rocprim17ROCPRIM_400000_NS6detail17trampoline_kernelINS0_14default_configENS1_35radix_sort_onesweep_config_selectorIiNS0_10empty_typeEEEZNS1_34radix_sort_onesweep_global_offsetsIS3_Lb0EPKiPS5_mNS0_19identity_decomposerEEE10hipError_tT1_T2_PT3_SF_jT4_jjP12ihipStream_tbEUlT_E0_NS1_11comp_targetILNS1_3genE2ELNS1_11target_archE906ELNS1_3gpuE6ELNS1_3repE0EEENS1_52radix_sort_onesweep_histogram_config_static_selectorELNS0_4arch9wavefront6targetE0EEEvSD_.num_named_barrier, 0
	.set _ZN7rocprim17ROCPRIM_400000_NS6detail17trampoline_kernelINS0_14default_configENS1_35radix_sort_onesweep_config_selectorIiNS0_10empty_typeEEEZNS1_34radix_sort_onesweep_global_offsetsIS3_Lb0EPKiPS5_mNS0_19identity_decomposerEEE10hipError_tT1_T2_PT3_SF_jT4_jjP12ihipStream_tbEUlT_E0_NS1_11comp_targetILNS1_3genE2ELNS1_11target_archE906ELNS1_3gpuE6ELNS1_3repE0EEENS1_52radix_sort_onesweep_histogram_config_static_selectorELNS0_4arch9wavefront6targetE0EEEvSD_.private_seg_size, 0
	.set _ZN7rocprim17ROCPRIM_400000_NS6detail17trampoline_kernelINS0_14default_configENS1_35radix_sort_onesweep_config_selectorIiNS0_10empty_typeEEEZNS1_34radix_sort_onesweep_global_offsetsIS3_Lb0EPKiPS5_mNS0_19identity_decomposerEEE10hipError_tT1_T2_PT3_SF_jT4_jjP12ihipStream_tbEUlT_E0_NS1_11comp_targetILNS1_3genE2ELNS1_11target_archE906ELNS1_3gpuE6ELNS1_3repE0EEENS1_52radix_sort_onesweep_histogram_config_static_selectorELNS0_4arch9wavefront6targetE0EEEvSD_.uses_vcc, 0
	.set _ZN7rocprim17ROCPRIM_400000_NS6detail17trampoline_kernelINS0_14default_configENS1_35radix_sort_onesweep_config_selectorIiNS0_10empty_typeEEEZNS1_34radix_sort_onesweep_global_offsetsIS3_Lb0EPKiPS5_mNS0_19identity_decomposerEEE10hipError_tT1_T2_PT3_SF_jT4_jjP12ihipStream_tbEUlT_E0_NS1_11comp_targetILNS1_3genE2ELNS1_11target_archE906ELNS1_3gpuE6ELNS1_3repE0EEENS1_52radix_sort_onesweep_histogram_config_static_selectorELNS0_4arch9wavefront6targetE0EEEvSD_.uses_flat_scratch, 0
	.set _ZN7rocprim17ROCPRIM_400000_NS6detail17trampoline_kernelINS0_14default_configENS1_35radix_sort_onesweep_config_selectorIiNS0_10empty_typeEEEZNS1_34radix_sort_onesweep_global_offsetsIS3_Lb0EPKiPS5_mNS0_19identity_decomposerEEE10hipError_tT1_T2_PT3_SF_jT4_jjP12ihipStream_tbEUlT_E0_NS1_11comp_targetILNS1_3genE2ELNS1_11target_archE906ELNS1_3gpuE6ELNS1_3repE0EEENS1_52radix_sort_onesweep_histogram_config_static_selectorELNS0_4arch9wavefront6targetE0EEEvSD_.has_dyn_sized_stack, 0
	.set _ZN7rocprim17ROCPRIM_400000_NS6detail17trampoline_kernelINS0_14default_configENS1_35radix_sort_onesweep_config_selectorIiNS0_10empty_typeEEEZNS1_34radix_sort_onesweep_global_offsetsIS3_Lb0EPKiPS5_mNS0_19identity_decomposerEEE10hipError_tT1_T2_PT3_SF_jT4_jjP12ihipStream_tbEUlT_E0_NS1_11comp_targetILNS1_3genE2ELNS1_11target_archE906ELNS1_3gpuE6ELNS1_3repE0EEENS1_52radix_sort_onesweep_histogram_config_static_selectorELNS0_4arch9wavefront6targetE0EEEvSD_.has_recursion, 0
	.set _ZN7rocprim17ROCPRIM_400000_NS6detail17trampoline_kernelINS0_14default_configENS1_35radix_sort_onesweep_config_selectorIiNS0_10empty_typeEEEZNS1_34radix_sort_onesweep_global_offsetsIS3_Lb0EPKiPS5_mNS0_19identity_decomposerEEE10hipError_tT1_T2_PT3_SF_jT4_jjP12ihipStream_tbEUlT_E0_NS1_11comp_targetILNS1_3genE2ELNS1_11target_archE906ELNS1_3gpuE6ELNS1_3repE0EEENS1_52radix_sort_onesweep_histogram_config_static_selectorELNS0_4arch9wavefront6targetE0EEEvSD_.has_indirect_call, 0
	.section	.AMDGPU.csdata,"",@progbits
; Kernel info:
; codeLenInByte = 0
; TotalNumSgprs: 0
; NumVgprs: 0
; ScratchSize: 0
; MemoryBound: 0
; FloatMode: 240
; IeeeMode: 1
; LDSByteSize: 0 bytes/workgroup (compile time only)
; SGPRBlocks: 0
; VGPRBlocks: 0
; NumSGPRsForWavesPerEU: 1
; NumVGPRsForWavesPerEU: 1
; NamedBarCnt: 0
; Occupancy: 16
; WaveLimiterHint : 0
; COMPUTE_PGM_RSRC2:SCRATCH_EN: 0
; COMPUTE_PGM_RSRC2:USER_SGPR: 2
; COMPUTE_PGM_RSRC2:TRAP_HANDLER: 0
; COMPUTE_PGM_RSRC2:TGID_X_EN: 1
; COMPUTE_PGM_RSRC2:TGID_Y_EN: 0
; COMPUTE_PGM_RSRC2:TGID_Z_EN: 0
; COMPUTE_PGM_RSRC2:TIDIG_COMP_CNT: 0
	.section	.text._ZN7rocprim17ROCPRIM_400000_NS6detail17trampoline_kernelINS0_14default_configENS1_35radix_sort_onesweep_config_selectorIiNS0_10empty_typeEEEZNS1_34radix_sort_onesweep_global_offsetsIS3_Lb0EPKiPS5_mNS0_19identity_decomposerEEE10hipError_tT1_T2_PT3_SF_jT4_jjP12ihipStream_tbEUlT_E0_NS1_11comp_targetILNS1_3genE4ELNS1_11target_archE910ELNS1_3gpuE8ELNS1_3repE0EEENS1_52radix_sort_onesweep_histogram_config_static_selectorELNS0_4arch9wavefront6targetE0EEEvSD_,"axG",@progbits,_ZN7rocprim17ROCPRIM_400000_NS6detail17trampoline_kernelINS0_14default_configENS1_35radix_sort_onesweep_config_selectorIiNS0_10empty_typeEEEZNS1_34radix_sort_onesweep_global_offsetsIS3_Lb0EPKiPS5_mNS0_19identity_decomposerEEE10hipError_tT1_T2_PT3_SF_jT4_jjP12ihipStream_tbEUlT_E0_NS1_11comp_targetILNS1_3genE4ELNS1_11target_archE910ELNS1_3gpuE8ELNS1_3repE0EEENS1_52radix_sort_onesweep_histogram_config_static_selectorELNS0_4arch9wavefront6targetE0EEEvSD_,comdat
	.protected	_ZN7rocprim17ROCPRIM_400000_NS6detail17trampoline_kernelINS0_14default_configENS1_35radix_sort_onesweep_config_selectorIiNS0_10empty_typeEEEZNS1_34radix_sort_onesweep_global_offsetsIS3_Lb0EPKiPS5_mNS0_19identity_decomposerEEE10hipError_tT1_T2_PT3_SF_jT4_jjP12ihipStream_tbEUlT_E0_NS1_11comp_targetILNS1_3genE4ELNS1_11target_archE910ELNS1_3gpuE8ELNS1_3repE0EEENS1_52radix_sort_onesweep_histogram_config_static_selectorELNS0_4arch9wavefront6targetE0EEEvSD_ ; -- Begin function _ZN7rocprim17ROCPRIM_400000_NS6detail17trampoline_kernelINS0_14default_configENS1_35radix_sort_onesweep_config_selectorIiNS0_10empty_typeEEEZNS1_34radix_sort_onesweep_global_offsetsIS3_Lb0EPKiPS5_mNS0_19identity_decomposerEEE10hipError_tT1_T2_PT3_SF_jT4_jjP12ihipStream_tbEUlT_E0_NS1_11comp_targetILNS1_3genE4ELNS1_11target_archE910ELNS1_3gpuE8ELNS1_3repE0EEENS1_52radix_sort_onesweep_histogram_config_static_selectorELNS0_4arch9wavefront6targetE0EEEvSD_
	.globl	_ZN7rocprim17ROCPRIM_400000_NS6detail17trampoline_kernelINS0_14default_configENS1_35radix_sort_onesweep_config_selectorIiNS0_10empty_typeEEEZNS1_34radix_sort_onesweep_global_offsetsIS3_Lb0EPKiPS5_mNS0_19identity_decomposerEEE10hipError_tT1_T2_PT3_SF_jT4_jjP12ihipStream_tbEUlT_E0_NS1_11comp_targetILNS1_3genE4ELNS1_11target_archE910ELNS1_3gpuE8ELNS1_3repE0EEENS1_52radix_sort_onesweep_histogram_config_static_selectorELNS0_4arch9wavefront6targetE0EEEvSD_
	.p2align	8
	.type	_ZN7rocprim17ROCPRIM_400000_NS6detail17trampoline_kernelINS0_14default_configENS1_35radix_sort_onesweep_config_selectorIiNS0_10empty_typeEEEZNS1_34radix_sort_onesweep_global_offsetsIS3_Lb0EPKiPS5_mNS0_19identity_decomposerEEE10hipError_tT1_T2_PT3_SF_jT4_jjP12ihipStream_tbEUlT_E0_NS1_11comp_targetILNS1_3genE4ELNS1_11target_archE910ELNS1_3gpuE8ELNS1_3repE0EEENS1_52radix_sort_onesweep_histogram_config_static_selectorELNS0_4arch9wavefront6targetE0EEEvSD_,@function
_ZN7rocprim17ROCPRIM_400000_NS6detail17trampoline_kernelINS0_14default_configENS1_35radix_sort_onesweep_config_selectorIiNS0_10empty_typeEEEZNS1_34radix_sort_onesweep_global_offsetsIS3_Lb0EPKiPS5_mNS0_19identity_decomposerEEE10hipError_tT1_T2_PT3_SF_jT4_jjP12ihipStream_tbEUlT_E0_NS1_11comp_targetILNS1_3genE4ELNS1_11target_archE910ELNS1_3gpuE8ELNS1_3repE0EEENS1_52radix_sort_onesweep_histogram_config_static_selectorELNS0_4arch9wavefront6targetE0EEEvSD_: ; @_ZN7rocprim17ROCPRIM_400000_NS6detail17trampoline_kernelINS0_14default_configENS1_35radix_sort_onesweep_config_selectorIiNS0_10empty_typeEEEZNS1_34radix_sort_onesweep_global_offsetsIS3_Lb0EPKiPS5_mNS0_19identity_decomposerEEE10hipError_tT1_T2_PT3_SF_jT4_jjP12ihipStream_tbEUlT_E0_NS1_11comp_targetILNS1_3genE4ELNS1_11target_archE910ELNS1_3gpuE8ELNS1_3repE0EEENS1_52radix_sort_onesweep_histogram_config_static_selectorELNS0_4arch9wavefront6targetE0EEEvSD_
; %bb.0:
	.section	.rodata,"a",@progbits
	.p2align	6, 0x0
	.amdhsa_kernel _ZN7rocprim17ROCPRIM_400000_NS6detail17trampoline_kernelINS0_14default_configENS1_35radix_sort_onesweep_config_selectorIiNS0_10empty_typeEEEZNS1_34radix_sort_onesweep_global_offsetsIS3_Lb0EPKiPS5_mNS0_19identity_decomposerEEE10hipError_tT1_T2_PT3_SF_jT4_jjP12ihipStream_tbEUlT_E0_NS1_11comp_targetILNS1_3genE4ELNS1_11target_archE910ELNS1_3gpuE8ELNS1_3repE0EEENS1_52radix_sort_onesweep_histogram_config_static_selectorELNS0_4arch9wavefront6targetE0EEEvSD_
		.amdhsa_group_segment_fixed_size 0
		.amdhsa_private_segment_fixed_size 0
		.amdhsa_kernarg_size 8
		.amdhsa_user_sgpr_count 2
		.amdhsa_user_sgpr_dispatch_ptr 0
		.amdhsa_user_sgpr_queue_ptr 0
		.amdhsa_user_sgpr_kernarg_segment_ptr 1
		.amdhsa_user_sgpr_dispatch_id 0
		.amdhsa_user_sgpr_kernarg_preload_length 0
		.amdhsa_user_sgpr_kernarg_preload_offset 0
		.amdhsa_user_sgpr_private_segment_size 0
		.amdhsa_wavefront_size32 1
		.amdhsa_uses_dynamic_stack 0
		.amdhsa_enable_private_segment 0
		.amdhsa_system_sgpr_workgroup_id_x 1
		.amdhsa_system_sgpr_workgroup_id_y 0
		.amdhsa_system_sgpr_workgroup_id_z 0
		.amdhsa_system_sgpr_workgroup_info 0
		.amdhsa_system_vgpr_workitem_id 0
		.amdhsa_next_free_vgpr 1
		.amdhsa_next_free_sgpr 1
		.amdhsa_named_barrier_count 0
		.amdhsa_reserve_vcc 0
		.amdhsa_float_round_mode_32 0
		.amdhsa_float_round_mode_16_64 0
		.amdhsa_float_denorm_mode_32 3
		.amdhsa_float_denorm_mode_16_64 3
		.amdhsa_fp16_overflow 0
		.amdhsa_memory_ordered 1
		.amdhsa_forward_progress 1
		.amdhsa_inst_pref_size 0
		.amdhsa_round_robin_scheduling 0
		.amdhsa_exception_fp_ieee_invalid_op 0
		.amdhsa_exception_fp_denorm_src 0
		.amdhsa_exception_fp_ieee_div_zero 0
		.amdhsa_exception_fp_ieee_overflow 0
		.amdhsa_exception_fp_ieee_underflow 0
		.amdhsa_exception_fp_ieee_inexact 0
		.amdhsa_exception_int_div_zero 0
	.end_amdhsa_kernel
	.section	.text._ZN7rocprim17ROCPRIM_400000_NS6detail17trampoline_kernelINS0_14default_configENS1_35radix_sort_onesweep_config_selectorIiNS0_10empty_typeEEEZNS1_34radix_sort_onesweep_global_offsetsIS3_Lb0EPKiPS5_mNS0_19identity_decomposerEEE10hipError_tT1_T2_PT3_SF_jT4_jjP12ihipStream_tbEUlT_E0_NS1_11comp_targetILNS1_3genE4ELNS1_11target_archE910ELNS1_3gpuE8ELNS1_3repE0EEENS1_52radix_sort_onesweep_histogram_config_static_selectorELNS0_4arch9wavefront6targetE0EEEvSD_,"axG",@progbits,_ZN7rocprim17ROCPRIM_400000_NS6detail17trampoline_kernelINS0_14default_configENS1_35radix_sort_onesweep_config_selectorIiNS0_10empty_typeEEEZNS1_34radix_sort_onesweep_global_offsetsIS3_Lb0EPKiPS5_mNS0_19identity_decomposerEEE10hipError_tT1_T2_PT3_SF_jT4_jjP12ihipStream_tbEUlT_E0_NS1_11comp_targetILNS1_3genE4ELNS1_11target_archE910ELNS1_3gpuE8ELNS1_3repE0EEENS1_52radix_sort_onesweep_histogram_config_static_selectorELNS0_4arch9wavefront6targetE0EEEvSD_,comdat
.Lfunc_end955:
	.size	_ZN7rocprim17ROCPRIM_400000_NS6detail17trampoline_kernelINS0_14default_configENS1_35radix_sort_onesweep_config_selectorIiNS0_10empty_typeEEEZNS1_34radix_sort_onesweep_global_offsetsIS3_Lb0EPKiPS5_mNS0_19identity_decomposerEEE10hipError_tT1_T2_PT3_SF_jT4_jjP12ihipStream_tbEUlT_E0_NS1_11comp_targetILNS1_3genE4ELNS1_11target_archE910ELNS1_3gpuE8ELNS1_3repE0EEENS1_52radix_sort_onesweep_histogram_config_static_selectorELNS0_4arch9wavefront6targetE0EEEvSD_, .Lfunc_end955-_ZN7rocprim17ROCPRIM_400000_NS6detail17trampoline_kernelINS0_14default_configENS1_35radix_sort_onesweep_config_selectorIiNS0_10empty_typeEEEZNS1_34radix_sort_onesweep_global_offsetsIS3_Lb0EPKiPS5_mNS0_19identity_decomposerEEE10hipError_tT1_T2_PT3_SF_jT4_jjP12ihipStream_tbEUlT_E0_NS1_11comp_targetILNS1_3genE4ELNS1_11target_archE910ELNS1_3gpuE8ELNS1_3repE0EEENS1_52radix_sort_onesweep_histogram_config_static_selectorELNS0_4arch9wavefront6targetE0EEEvSD_
                                        ; -- End function
	.set _ZN7rocprim17ROCPRIM_400000_NS6detail17trampoline_kernelINS0_14default_configENS1_35radix_sort_onesweep_config_selectorIiNS0_10empty_typeEEEZNS1_34radix_sort_onesweep_global_offsetsIS3_Lb0EPKiPS5_mNS0_19identity_decomposerEEE10hipError_tT1_T2_PT3_SF_jT4_jjP12ihipStream_tbEUlT_E0_NS1_11comp_targetILNS1_3genE4ELNS1_11target_archE910ELNS1_3gpuE8ELNS1_3repE0EEENS1_52radix_sort_onesweep_histogram_config_static_selectorELNS0_4arch9wavefront6targetE0EEEvSD_.num_vgpr, 0
	.set _ZN7rocprim17ROCPRIM_400000_NS6detail17trampoline_kernelINS0_14default_configENS1_35radix_sort_onesweep_config_selectorIiNS0_10empty_typeEEEZNS1_34radix_sort_onesweep_global_offsetsIS3_Lb0EPKiPS5_mNS0_19identity_decomposerEEE10hipError_tT1_T2_PT3_SF_jT4_jjP12ihipStream_tbEUlT_E0_NS1_11comp_targetILNS1_3genE4ELNS1_11target_archE910ELNS1_3gpuE8ELNS1_3repE0EEENS1_52radix_sort_onesweep_histogram_config_static_selectorELNS0_4arch9wavefront6targetE0EEEvSD_.num_agpr, 0
	.set _ZN7rocprim17ROCPRIM_400000_NS6detail17trampoline_kernelINS0_14default_configENS1_35radix_sort_onesweep_config_selectorIiNS0_10empty_typeEEEZNS1_34radix_sort_onesweep_global_offsetsIS3_Lb0EPKiPS5_mNS0_19identity_decomposerEEE10hipError_tT1_T2_PT3_SF_jT4_jjP12ihipStream_tbEUlT_E0_NS1_11comp_targetILNS1_3genE4ELNS1_11target_archE910ELNS1_3gpuE8ELNS1_3repE0EEENS1_52radix_sort_onesweep_histogram_config_static_selectorELNS0_4arch9wavefront6targetE0EEEvSD_.numbered_sgpr, 0
	.set _ZN7rocprim17ROCPRIM_400000_NS6detail17trampoline_kernelINS0_14default_configENS1_35radix_sort_onesweep_config_selectorIiNS0_10empty_typeEEEZNS1_34radix_sort_onesweep_global_offsetsIS3_Lb0EPKiPS5_mNS0_19identity_decomposerEEE10hipError_tT1_T2_PT3_SF_jT4_jjP12ihipStream_tbEUlT_E0_NS1_11comp_targetILNS1_3genE4ELNS1_11target_archE910ELNS1_3gpuE8ELNS1_3repE0EEENS1_52radix_sort_onesweep_histogram_config_static_selectorELNS0_4arch9wavefront6targetE0EEEvSD_.num_named_barrier, 0
	.set _ZN7rocprim17ROCPRIM_400000_NS6detail17trampoline_kernelINS0_14default_configENS1_35radix_sort_onesweep_config_selectorIiNS0_10empty_typeEEEZNS1_34radix_sort_onesweep_global_offsetsIS3_Lb0EPKiPS5_mNS0_19identity_decomposerEEE10hipError_tT1_T2_PT3_SF_jT4_jjP12ihipStream_tbEUlT_E0_NS1_11comp_targetILNS1_3genE4ELNS1_11target_archE910ELNS1_3gpuE8ELNS1_3repE0EEENS1_52radix_sort_onesweep_histogram_config_static_selectorELNS0_4arch9wavefront6targetE0EEEvSD_.private_seg_size, 0
	.set _ZN7rocprim17ROCPRIM_400000_NS6detail17trampoline_kernelINS0_14default_configENS1_35radix_sort_onesweep_config_selectorIiNS0_10empty_typeEEEZNS1_34radix_sort_onesweep_global_offsetsIS3_Lb0EPKiPS5_mNS0_19identity_decomposerEEE10hipError_tT1_T2_PT3_SF_jT4_jjP12ihipStream_tbEUlT_E0_NS1_11comp_targetILNS1_3genE4ELNS1_11target_archE910ELNS1_3gpuE8ELNS1_3repE0EEENS1_52radix_sort_onesweep_histogram_config_static_selectorELNS0_4arch9wavefront6targetE0EEEvSD_.uses_vcc, 0
	.set _ZN7rocprim17ROCPRIM_400000_NS6detail17trampoline_kernelINS0_14default_configENS1_35radix_sort_onesweep_config_selectorIiNS0_10empty_typeEEEZNS1_34radix_sort_onesweep_global_offsetsIS3_Lb0EPKiPS5_mNS0_19identity_decomposerEEE10hipError_tT1_T2_PT3_SF_jT4_jjP12ihipStream_tbEUlT_E0_NS1_11comp_targetILNS1_3genE4ELNS1_11target_archE910ELNS1_3gpuE8ELNS1_3repE0EEENS1_52radix_sort_onesweep_histogram_config_static_selectorELNS0_4arch9wavefront6targetE0EEEvSD_.uses_flat_scratch, 0
	.set _ZN7rocprim17ROCPRIM_400000_NS6detail17trampoline_kernelINS0_14default_configENS1_35radix_sort_onesweep_config_selectorIiNS0_10empty_typeEEEZNS1_34radix_sort_onesweep_global_offsetsIS3_Lb0EPKiPS5_mNS0_19identity_decomposerEEE10hipError_tT1_T2_PT3_SF_jT4_jjP12ihipStream_tbEUlT_E0_NS1_11comp_targetILNS1_3genE4ELNS1_11target_archE910ELNS1_3gpuE8ELNS1_3repE0EEENS1_52radix_sort_onesweep_histogram_config_static_selectorELNS0_4arch9wavefront6targetE0EEEvSD_.has_dyn_sized_stack, 0
	.set _ZN7rocprim17ROCPRIM_400000_NS6detail17trampoline_kernelINS0_14default_configENS1_35radix_sort_onesweep_config_selectorIiNS0_10empty_typeEEEZNS1_34radix_sort_onesweep_global_offsetsIS3_Lb0EPKiPS5_mNS0_19identity_decomposerEEE10hipError_tT1_T2_PT3_SF_jT4_jjP12ihipStream_tbEUlT_E0_NS1_11comp_targetILNS1_3genE4ELNS1_11target_archE910ELNS1_3gpuE8ELNS1_3repE0EEENS1_52radix_sort_onesweep_histogram_config_static_selectorELNS0_4arch9wavefront6targetE0EEEvSD_.has_recursion, 0
	.set _ZN7rocprim17ROCPRIM_400000_NS6detail17trampoline_kernelINS0_14default_configENS1_35radix_sort_onesweep_config_selectorIiNS0_10empty_typeEEEZNS1_34radix_sort_onesweep_global_offsetsIS3_Lb0EPKiPS5_mNS0_19identity_decomposerEEE10hipError_tT1_T2_PT3_SF_jT4_jjP12ihipStream_tbEUlT_E0_NS1_11comp_targetILNS1_3genE4ELNS1_11target_archE910ELNS1_3gpuE8ELNS1_3repE0EEENS1_52radix_sort_onesweep_histogram_config_static_selectorELNS0_4arch9wavefront6targetE0EEEvSD_.has_indirect_call, 0
	.section	.AMDGPU.csdata,"",@progbits
; Kernel info:
; codeLenInByte = 0
; TotalNumSgprs: 0
; NumVgprs: 0
; ScratchSize: 0
; MemoryBound: 0
; FloatMode: 240
; IeeeMode: 1
; LDSByteSize: 0 bytes/workgroup (compile time only)
; SGPRBlocks: 0
; VGPRBlocks: 0
; NumSGPRsForWavesPerEU: 1
; NumVGPRsForWavesPerEU: 1
; NamedBarCnt: 0
; Occupancy: 16
; WaveLimiterHint : 0
; COMPUTE_PGM_RSRC2:SCRATCH_EN: 0
; COMPUTE_PGM_RSRC2:USER_SGPR: 2
; COMPUTE_PGM_RSRC2:TRAP_HANDLER: 0
; COMPUTE_PGM_RSRC2:TGID_X_EN: 1
; COMPUTE_PGM_RSRC2:TGID_Y_EN: 0
; COMPUTE_PGM_RSRC2:TGID_Z_EN: 0
; COMPUTE_PGM_RSRC2:TIDIG_COMP_CNT: 0
	.section	.text._ZN7rocprim17ROCPRIM_400000_NS6detail17trampoline_kernelINS0_14default_configENS1_35radix_sort_onesweep_config_selectorIiNS0_10empty_typeEEEZNS1_34radix_sort_onesweep_global_offsetsIS3_Lb0EPKiPS5_mNS0_19identity_decomposerEEE10hipError_tT1_T2_PT3_SF_jT4_jjP12ihipStream_tbEUlT_E0_NS1_11comp_targetILNS1_3genE3ELNS1_11target_archE908ELNS1_3gpuE7ELNS1_3repE0EEENS1_52radix_sort_onesweep_histogram_config_static_selectorELNS0_4arch9wavefront6targetE0EEEvSD_,"axG",@progbits,_ZN7rocprim17ROCPRIM_400000_NS6detail17trampoline_kernelINS0_14default_configENS1_35radix_sort_onesweep_config_selectorIiNS0_10empty_typeEEEZNS1_34radix_sort_onesweep_global_offsetsIS3_Lb0EPKiPS5_mNS0_19identity_decomposerEEE10hipError_tT1_T2_PT3_SF_jT4_jjP12ihipStream_tbEUlT_E0_NS1_11comp_targetILNS1_3genE3ELNS1_11target_archE908ELNS1_3gpuE7ELNS1_3repE0EEENS1_52radix_sort_onesweep_histogram_config_static_selectorELNS0_4arch9wavefront6targetE0EEEvSD_,comdat
	.protected	_ZN7rocprim17ROCPRIM_400000_NS6detail17trampoline_kernelINS0_14default_configENS1_35radix_sort_onesweep_config_selectorIiNS0_10empty_typeEEEZNS1_34radix_sort_onesweep_global_offsetsIS3_Lb0EPKiPS5_mNS0_19identity_decomposerEEE10hipError_tT1_T2_PT3_SF_jT4_jjP12ihipStream_tbEUlT_E0_NS1_11comp_targetILNS1_3genE3ELNS1_11target_archE908ELNS1_3gpuE7ELNS1_3repE0EEENS1_52radix_sort_onesweep_histogram_config_static_selectorELNS0_4arch9wavefront6targetE0EEEvSD_ ; -- Begin function _ZN7rocprim17ROCPRIM_400000_NS6detail17trampoline_kernelINS0_14default_configENS1_35radix_sort_onesweep_config_selectorIiNS0_10empty_typeEEEZNS1_34radix_sort_onesweep_global_offsetsIS3_Lb0EPKiPS5_mNS0_19identity_decomposerEEE10hipError_tT1_T2_PT3_SF_jT4_jjP12ihipStream_tbEUlT_E0_NS1_11comp_targetILNS1_3genE3ELNS1_11target_archE908ELNS1_3gpuE7ELNS1_3repE0EEENS1_52radix_sort_onesweep_histogram_config_static_selectorELNS0_4arch9wavefront6targetE0EEEvSD_
	.globl	_ZN7rocprim17ROCPRIM_400000_NS6detail17trampoline_kernelINS0_14default_configENS1_35radix_sort_onesweep_config_selectorIiNS0_10empty_typeEEEZNS1_34radix_sort_onesweep_global_offsetsIS3_Lb0EPKiPS5_mNS0_19identity_decomposerEEE10hipError_tT1_T2_PT3_SF_jT4_jjP12ihipStream_tbEUlT_E0_NS1_11comp_targetILNS1_3genE3ELNS1_11target_archE908ELNS1_3gpuE7ELNS1_3repE0EEENS1_52radix_sort_onesweep_histogram_config_static_selectorELNS0_4arch9wavefront6targetE0EEEvSD_
	.p2align	8
	.type	_ZN7rocprim17ROCPRIM_400000_NS6detail17trampoline_kernelINS0_14default_configENS1_35radix_sort_onesweep_config_selectorIiNS0_10empty_typeEEEZNS1_34radix_sort_onesweep_global_offsetsIS3_Lb0EPKiPS5_mNS0_19identity_decomposerEEE10hipError_tT1_T2_PT3_SF_jT4_jjP12ihipStream_tbEUlT_E0_NS1_11comp_targetILNS1_3genE3ELNS1_11target_archE908ELNS1_3gpuE7ELNS1_3repE0EEENS1_52radix_sort_onesweep_histogram_config_static_selectorELNS0_4arch9wavefront6targetE0EEEvSD_,@function
_ZN7rocprim17ROCPRIM_400000_NS6detail17trampoline_kernelINS0_14default_configENS1_35radix_sort_onesweep_config_selectorIiNS0_10empty_typeEEEZNS1_34radix_sort_onesweep_global_offsetsIS3_Lb0EPKiPS5_mNS0_19identity_decomposerEEE10hipError_tT1_T2_PT3_SF_jT4_jjP12ihipStream_tbEUlT_E0_NS1_11comp_targetILNS1_3genE3ELNS1_11target_archE908ELNS1_3gpuE7ELNS1_3repE0EEENS1_52radix_sort_onesweep_histogram_config_static_selectorELNS0_4arch9wavefront6targetE0EEEvSD_: ; @_ZN7rocprim17ROCPRIM_400000_NS6detail17trampoline_kernelINS0_14default_configENS1_35radix_sort_onesweep_config_selectorIiNS0_10empty_typeEEEZNS1_34radix_sort_onesweep_global_offsetsIS3_Lb0EPKiPS5_mNS0_19identity_decomposerEEE10hipError_tT1_T2_PT3_SF_jT4_jjP12ihipStream_tbEUlT_E0_NS1_11comp_targetILNS1_3genE3ELNS1_11target_archE908ELNS1_3gpuE7ELNS1_3repE0EEENS1_52radix_sort_onesweep_histogram_config_static_selectorELNS0_4arch9wavefront6targetE0EEEvSD_
; %bb.0:
	.section	.rodata,"a",@progbits
	.p2align	6, 0x0
	.amdhsa_kernel _ZN7rocprim17ROCPRIM_400000_NS6detail17trampoline_kernelINS0_14default_configENS1_35radix_sort_onesweep_config_selectorIiNS0_10empty_typeEEEZNS1_34radix_sort_onesweep_global_offsetsIS3_Lb0EPKiPS5_mNS0_19identity_decomposerEEE10hipError_tT1_T2_PT3_SF_jT4_jjP12ihipStream_tbEUlT_E0_NS1_11comp_targetILNS1_3genE3ELNS1_11target_archE908ELNS1_3gpuE7ELNS1_3repE0EEENS1_52radix_sort_onesweep_histogram_config_static_selectorELNS0_4arch9wavefront6targetE0EEEvSD_
		.amdhsa_group_segment_fixed_size 0
		.amdhsa_private_segment_fixed_size 0
		.amdhsa_kernarg_size 8
		.amdhsa_user_sgpr_count 2
		.amdhsa_user_sgpr_dispatch_ptr 0
		.amdhsa_user_sgpr_queue_ptr 0
		.amdhsa_user_sgpr_kernarg_segment_ptr 1
		.amdhsa_user_sgpr_dispatch_id 0
		.amdhsa_user_sgpr_kernarg_preload_length 0
		.amdhsa_user_sgpr_kernarg_preload_offset 0
		.amdhsa_user_sgpr_private_segment_size 0
		.amdhsa_wavefront_size32 1
		.amdhsa_uses_dynamic_stack 0
		.amdhsa_enable_private_segment 0
		.amdhsa_system_sgpr_workgroup_id_x 1
		.amdhsa_system_sgpr_workgroup_id_y 0
		.amdhsa_system_sgpr_workgroup_id_z 0
		.amdhsa_system_sgpr_workgroup_info 0
		.amdhsa_system_vgpr_workitem_id 0
		.amdhsa_next_free_vgpr 1
		.amdhsa_next_free_sgpr 1
		.amdhsa_named_barrier_count 0
		.amdhsa_reserve_vcc 0
		.amdhsa_float_round_mode_32 0
		.amdhsa_float_round_mode_16_64 0
		.amdhsa_float_denorm_mode_32 3
		.amdhsa_float_denorm_mode_16_64 3
		.amdhsa_fp16_overflow 0
		.amdhsa_memory_ordered 1
		.amdhsa_forward_progress 1
		.amdhsa_inst_pref_size 0
		.amdhsa_round_robin_scheduling 0
		.amdhsa_exception_fp_ieee_invalid_op 0
		.amdhsa_exception_fp_denorm_src 0
		.amdhsa_exception_fp_ieee_div_zero 0
		.amdhsa_exception_fp_ieee_overflow 0
		.amdhsa_exception_fp_ieee_underflow 0
		.amdhsa_exception_fp_ieee_inexact 0
		.amdhsa_exception_int_div_zero 0
	.end_amdhsa_kernel
	.section	.text._ZN7rocprim17ROCPRIM_400000_NS6detail17trampoline_kernelINS0_14default_configENS1_35radix_sort_onesweep_config_selectorIiNS0_10empty_typeEEEZNS1_34radix_sort_onesweep_global_offsetsIS3_Lb0EPKiPS5_mNS0_19identity_decomposerEEE10hipError_tT1_T2_PT3_SF_jT4_jjP12ihipStream_tbEUlT_E0_NS1_11comp_targetILNS1_3genE3ELNS1_11target_archE908ELNS1_3gpuE7ELNS1_3repE0EEENS1_52radix_sort_onesweep_histogram_config_static_selectorELNS0_4arch9wavefront6targetE0EEEvSD_,"axG",@progbits,_ZN7rocprim17ROCPRIM_400000_NS6detail17trampoline_kernelINS0_14default_configENS1_35radix_sort_onesweep_config_selectorIiNS0_10empty_typeEEEZNS1_34radix_sort_onesweep_global_offsetsIS3_Lb0EPKiPS5_mNS0_19identity_decomposerEEE10hipError_tT1_T2_PT3_SF_jT4_jjP12ihipStream_tbEUlT_E0_NS1_11comp_targetILNS1_3genE3ELNS1_11target_archE908ELNS1_3gpuE7ELNS1_3repE0EEENS1_52radix_sort_onesweep_histogram_config_static_selectorELNS0_4arch9wavefront6targetE0EEEvSD_,comdat
.Lfunc_end956:
	.size	_ZN7rocprim17ROCPRIM_400000_NS6detail17trampoline_kernelINS0_14default_configENS1_35radix_sort_onesweep_config_selectorIiNS0_10empty_typeEEEZNS1_34radix_sort_onesweep_global_offsetsIS3_Lb0EPKiPS5_mNS0_19identity_decomposerEEE10hipError_tT1_T2_PT3_SF_jT4_jjP12ihipStream_tbEUlT_E0_NS1_11comp_targetILNS1_3genE3ELNS1_11target_archE908ELNS1_3gpuE7ELNS1_3repE0EEENS1_52radix_sort_onesweep_histogram_config_static_selectorELNS0_4arch9wavefront6targetE0EEEvSD_, .Lfunc_end956-_ZN7rocprim17ROCPRIM_400000_NS6detail17trampoline_kernelINS0_14default_configENS1_35radix_sort_onesweep_config_selectorIiNS0_10empty_typeEEEZNS1_34radix_sort_onesweep_global_offsetsIS3_Lb0EPKiPS5_mNS0_19identity_decomposerEEE10hipError_tT1_T2_PT3_SF_jT4_jjP12ihipStream_tbEUlT_E0_NS1_11comp_targetILNS1_3genE3ELNS1_11target_archE908ELNS1_3gpuE7ELNS1_3repE0EEENS1_52radix_sort_onesweep_histogram_config_static_selectorELNS0_4arch9wavefront6targetE0EEEvSD_
                                        ; -- End function
	.set _ZN7rocprim17ROCPRIM_400000_NS6detail17trampoline_kernelINS0_14default_configENS1_35radix_sort_onesweep_config_selectorIiNS0_10empty_typeEEEZNS1_34radix_sort_onesweep_global_offsetsIS3_Lb0EPKiPS5_mNS0_19identity_decomposerEEE10hipError_tT1_T2_PT3_SF_jT4_jjP12ihipStream_tbEUlT_E0_NS1_11comp_targetILNS1_3genE3ELNS1_11target_archE908ELNS1_3gpuE7ELNS1_3repE0EEENS1_52radix_sort_onesweep_histogram_config_static_selectorELNS0_4arch9wavefront6targetE0EEEvSD_.num_vgpr, 0
	.set _ZN7rocprim17ROCPRIM_400000_NS6detail17trampoline_kernelINS0_14default_configENS1_35radix_sort_onesweep_config_selectorIiNS0_10empty_typeEEEZNS1_34radix_sort_onesweep_global_offsetsIS3_Lb0EPKiPS5_mNS0_19identity_decomposerEEE10hipError_tT1_T2_PT3_SF_jT4_jjP12ihipStream_tbEUlT_E0_NS1_11comp_targetILNS1_3genE3ELNS1_11target_archE908ELNS1_3gpuE7ELNS1_3repE0EEENS1_52radix_sort_onesweep_histogram_config_static_selectorELNS0_4arch9wavefront6targetE0EEEvSD_.num_agpr, 0
	.set _ZN7rocprim17ROCPRIM_400000_NS6detail17trampoline_kernelINS0_14default_configENS1_35radix_sort_onesweep_config_selectorIiNS0_10empty_typeEEEZNS1_34radix_sort_onesweep_global_offsetsIS3_Lb0EPKiPS5_mNS0_19identity_decomposerEEE10hipError_tT1_T2_PT3_SF_jT4_jjP12ihipStream_tbEUlT_E0_NS1_11comp_targetILNS1_3genE3ELNS1_11target_archE908ELNS1_3gpuE7ELNS1_3repE0EEENS1_52radix_sort_onesweep_histogram_config_static_selectorELNS0_4arch9wavefront6targetE0EEEvSD_.numbered_sgpr, 0
	.set _ZN7rocprim17ROCPRIM_400000_NS6detail17trampoline_kernelINS0_14default_configENS1_35radix_sort_onesweep_config_selectorIiNS0_10empty_typeEEEZNS1_34radix_sort_onesweep_global_offsetsIS3_Lb0EPKiPS5_mNS0_19identity_decomposerEEE10hipError_tT1_T2_PT3_SF_jT4_jjP12ihipStream_tbEUlT_E0_NS1_11comp_targetILNS1_3genE3ELNS1_11target_archE908ELNS1_3gpuE7ELNS1_3repE0EEENS1_52radix_sort_onesweep_histogram_config_static_selectorELNS0_4arch9wavefront6targetE0EEEvSD_.num_named_barrier, 0
	.set _ZN7rocprim17ROCPRIM_400000_NS6detail17trampoline_kernelINS0_14default_configENS1_35radix_sort_onesweep_config_selectorIiNS0_10empty_typeEEEZNS1_34radix_sort_onesweep_global_offsetsIS3_Lb0EPKiPS5_mNS0_19identity_decomposerEEE10hipError_tT1_T2_PT3_SF_jT4_jjP12ihipStream_tbEUlT_E0_NS1_11comp_targetILNS1_3genE3ELNS1_11target_archE908ELNS1_3gpuE7ELNS1_3repE0EEENS1_52radix_sort_onesweep_histogram_config_static_selectorELNS0_4arch9wavefront6targetE0EEEvSD_.private_seg_size, 0
	.set _ZN7rocprim17ROCPRIM_400000_NS6detail17trampoline_kernelINS0_14default_configENS1_35radix_sort_onesweep_config_selectorIiNS0_10empty_typeEEEZNS1_34radix_sort_onesweep_global_offsetsIS3_Lb0EPKiPS5_mNS0_19identity_decomposerEEE10hipError_tT1_T2_PT3_SF_jT4_jjP12ihipStream_tbEUlT_E0_NS1_11comp_targetILNS1_3genE3ELNS1_11target_archE908ELNS1_3gpuE7ELNS1_3repE0EEENS1_52radix_sort_onesweep_histogram_config_static_selectorELNS0_4arch9wavefront6targetE0EEEvSD_.uses_vcc, 0
	.set _ZN7rocprim17ROCPRIM_400000_NS6detail17trampoline_kernelINS0_14default_configENS1_35radix_sort_onesweep_config_selectorIiNS0_10empty_typeEEEZNS1_34radix_sort_onesweep_global_offsetsIS3_Lb0EPKiPS5_mNS0_19identity_decomposerEEE10hipError_tT1_T2_PT3_SF_jT4_jjP12ihipStream_tbEUlT_E0_NS1_11comp_targetILNS1_3genE3ELNS1_11target_archE908ELNS1_3gpuE7ELNS1_3repE0EEENS1_52radix_sort_onesweep_histogram_config_static_selectorELNS0_4arch9wavefront6targetE0EEEvSD_.uses_flat_scratch, 0
	.set _ZN7rocprim17ROCPRIM_400000_NS6detail17trampoline_kernelINS0_14default_configENS1_35radix_sort_onesweep_config_selectorIiNS0_10empty_typeEEEZNS1_34radix_sort_onesweep_global_offsetsIS3_Lb0EPKiPS5_mNS0_19identity_decomposerEEE10hipError_tT1_T2_PT3_SF_jT4_jjP12ihipStream_tbEUlT_E0_NS1_11comp_targetILNS1_3genE3ELNS1_11target_archE908ELNS1_3gpuE7ELNS1_3repE0EEENS1_52radix_sort_onesweep_histogram_config_static_selectorELNS0_4arch9wavefront6targetE0EEEvSD_.has_dyn_sized_stack, 0
	.set _ZN7rocprim17ROCPRIM_400000_NS6detail17trampoline_kernelINS0_14default_configENS1_35radix_sort_onesweep_config_selectorIiNS0_10empty_typeEEEZNS1_34radix_sort_onesweep_global_offsetsIS3_Lb0EPKiPS5_mNS0_19identity_decomposerEEE10hipError_tT1_T2_PT3_SF_jT4_jjP12ihipStream_tbEUlT_E0_NS1_11comp_targetILNS1_3genE3ELNS1_11target_archE908ELNS1_3gpuE7ELNS1_3repE0EEENS1_52radix_sort_onesweep_histogram_config_static_selectorELNS0_4arch9wavefront6targetE0EEEvSD_.has_recursion, 0
	.set _ZN7rocprim17ROCPRIM_400000_NS6detail17trampoline_kernelINS0_14default_configENS1_35radix_sort_onesweep_config_selectorIiNS0_10empty_typeEEEZNS1_34radix_sort_onesweep_global_offsetsIS3_Lb0EPKiPS5_mNS0_19identity_decomposerEEE10hipError_tT1_T2_PT3_SF_jT4_jjP12ihipStream_tbEUlT_E0_NS1_11comp_targetILNS1_3genE3ELNS1_11target_archE908ELNS1_3gpuE7ELNS1_3repE0EEENS1_52radix_sort_onesweep_histogram_config_static_selectorELNS0_4arch9wavefront6targetE0EEEvSD_.has_indirect_call, 0
	.section	.AMDGPU.csdata,"",@progbits
; Kernel info:
; codeLenInByte = 0
; TotalNumSgprs: 0
; NumVgprs: 0
; ScratchSize: 0
; MemoryBound: 0
; FloatMode: 240
; IeeeMode: 1
; LDSByteSize: 0 bytes/workgroup (compile time only)
; SGPRBlocks: 0
; VGPRBlocks: 0
; NumSGPRsForWavesPerEU: 1
; NumVGPRsForWavesPerEU: 1
; NamedBarCnt: 0
; Occupancy: 16
; WaveLimiterHint : 0
; COMPUTE_PGM_RSRC2:SCRATCH_EN: 0
; COMPUTE_PGM_RSRC2:USER_SGPR: 2
; COMPUTE_PGM_RSRC2:TRAP_HANDLER: 0
; COMPUTE_PGM_RSRC2:TGID_X_EN: 1
; COMPUTE_PGM_RSRC2:TGID_Y_EN: 0
; COMPUTE_PGM_RSRC2:TGID_Z_EN: 0
; COMPUTE_PGM_RSRC2:TIDIG_COMP_CNT: 0
	.section	.text._ZN7rocprim17ROCPRIM_400000_NS6detail17trampoline_kernelINS0_14default_configENS1_35radix_sort_onesweep_config_selectorIiNS0_10empty_typeEEEZNS1_34radix_sort_onesweep_global_offsetsIS3_Lb0EPKiPS5_mNS0_19identity_decomposerEEE10hipError_tT1_T2_PT3_SF_jT4_jjP12ihipStream_tbEUlT_E0_NS1_11comp_targetILNS1_3genE10ELNS1_11target_archE1201ELNS1_3gpuE5ELNS1_3repE0EEENS1_52radix_sort_onesweep_histogram_config_static_selectorELNS0_4arch9wavefront6targetE0EEEvSD_,"axG",@progbits,_ZN7rocprim17ROCPRIM_400000_NS6detail17trampoline_kernelINS0_14default_configENS1_35radix_sort_onesweep_config_selectorIiNS0_10empty_typeEEEZNS1_34radix_sort_onesweep_global_offsetsIS3_Lb0EPKiPS5_mNS0_19identity_decomposerEEE10hipError_tT1_T2_PT3_SF_jT4_jjP12ihipStream_tbEUlT_E0_NS1_11comp_targetILNS1_3genE10ELNS1_11target_archE1201ELNS1_3gpuE5ELNS1_3repE0EEENS1_52radix_sort_onesweep_histogram_config_static_selectorELNS0_4arch9wavefront6targetE0EEEvSD_,comdat
	.protected	_ZN7rocprim17ROCPRIM_400000_NS6detail17trampoline_kernelINS0_14default_configENS1_35radix_sort_onesweep_config_selectorIiNS0_10empty_typeEEEZNS1_34radix_sort_onesweep_global_offsetsIS3_Lb0EPKiPS5_mNS0_19identity_decomposerEEE10hipError_tT1_T2_PT3_SF_jT4_jjP12ihipStream_tbEUlT_E0_NS1_11comp_targetILNS1_3genE10ELNS1_11target_archE1201ELNS1_3gpuE5ELNS1_3repE0EEENS1_52radix_sort_onesweep_histogram_config_static_selectorELNS0_4arch9wavefront6targetE0EEEvSD_ ; -- Begin function _ZN7rocprim17ROCPRIM_400000_NS6detail17trampoline_kernelINS0_14default_configENS1_35radix_sort_onesweep_config_selectorIiNS0_10empty_typeEEEZNS1_34radix_sort_onesweep_global_offsetsIS3_Lb0EPKiPS5_mNS0_19identity_decomposerEEE10hipError_tT1_T2_PT3_SF_jT4_jjP12ihipStream_tbEUlT_E0_NS1_11comp_targetILNS1_3genE10ELNS1_11target_archE1201ELNS1_3gpuE5ELNS1_3repE0EEENS1_52radix_sort_onesweep_histogram_config_static_selectorELNS0_4arch9wavefront6targetE0EEEvSD_
	.globl	_ZN7rocprim17ROCPRIM_400000_NS6detail17trampoline_kernelINS0_14default_configENS1_35radix_sort_onesweep_config_selectorIiNS0_10empty_typeEEEZNS1_34radix_sort_onesweep_global_offsetsIS3_Lb0EPKiPS5_mNS0_19identity_decomposerEEE10hipError_tT1_T2_PT3_SF_jT4_jjP12ihipStream_tbEUlT_E0_NS1_11comp_targetILNS1_3genE10ELNS1_11target_archE1201ELNS1_3gpuE5ELNS1_3repE0EEENS1_52radix_sort_onesweep_histogram_config_static_selectorELNS0_4arch9wavefront6targetE0EEEvSD_
	.p2align	8
	.type	_ZN7rocprim17ROCPRIM_400000_NS6detail17trampoline_kernelINS0_14default_configENS1_35radix_sort_onesweep_config_selectorIiNS0_10empty_typeEEEZNS1_34radix_sort_onesweep_global_offsetsIS3_Lb0EPKiPS5_mNS0_19identity_decomposerEEE10hipError_tT1_T2_PT3_SF_jT4_jjP12ihipStream_tbEUlT_E0_NS1_11comp_targetILNS1_3genE10ELNS1_11target_archE1201ELNS1_3gpuE5ELNS1_3repE0EEENS1_52radix_sort_onesweep_histogram_config_static_selectorELNS0_4arch9wavefront6targetE0EEEvSD_,@function
_ZN7rocprim17ROCPRIM_400000_NS6detail17trampoline_kernelINS0_14default_configENS1_35radix_sort_onesweep_config_selectorIiNS0_10empty_typeEEEZNS1_34radix_sort_onesweep_global_offsetsIS3_Lb0EPKiPS5_mNS0_19identity_decomposerEEE10hipError_tT1_T2_PT3_SF_jT4_jjP12ihipStream_tbEUlT_E0_NS1_11comp_targetILNS1_3genE10ELNS1_11target_archE1201ELNS1_3gpuE5ELNS1_3repE0EEENS1_52radix_sort_onesweep_histogram_config_static_selectorELNS0_4arch9wavefront6targetE0EEEvSD_: ; @_ZN7rocprim17ROCPRIM_400000_NS6detail17trampoline_kernelINS0_14default_configENS1_35radix_sort_onesweep_config_selectorIiNS0_10empty_typeEEEZNS1_34radix_sort_onesweep_global_offsetsIS3_Lb0EPKiPS5_mNS0_19identity_decomposerEEE10hipError_tT1_T2_PT3_SF_jT4_jjP12ihipStream_tbEUlT_E0_NS1_11comp_targetILNS1_3genE10ELNS1_11target_archE1201ELNS1_3gpuE5ELNS1_3repE0EEENS1_52radix_sort_onesweep_histogram_config_static_selectorELNS0_4arch9wavefront6targetE0EEEvSD_
; %bb.0:
	.section	.rodata,"a",@progbits
	.p2align	6, 0x0
	.amdhsa_kernel _ZN7rocprim17ROCPRIM_400000_NS6detail17trampoline_kernelINS0_14default_configENS1_35radix_sort_onesweep_config_selectorIiNS0_10empty_typeEEEZNS1_34radix_sort_onesweep_global_offsetsIS3_Lb0EPKiPS5_mNS0_19identity_decomposerEEE10hipError_tT1_T2_PT3_SF_jT4_jjP12ihipStream_tbEUlT_E0_NS1_11comp_targetILNS1_3genE10ELNS1_11target_archE1201ELNS1_3gpuE5ELNS1_3repE0EEENS1_52radix_sort_onesweep_histogram_config_static_selectorELNS0_4arch9wavefront6targetE0EEEvSD_
		.amdhsa_group_segment_fixed_size 0
		.amdhsa_private_segment_fixed_size 0
		.amdhsa_kernarg_size 8
		.amdhsa_user_sgpr_count 2
		.amdhsa_user_sgpr_dispatch_ptr 0
		.amdhsa_user_sgpr_queue_ptr 0
		.amdhsa_user_sgpr_kernarg_segment_ptr 1
		.amdhsa_user_sgpr_dispatch_id 0
		.amdhsa_user_sgpr_kernarg_preload_length 0
		.amdhsa_user_sgpr_kernarg_preload_offset 0
		.amdhsa_user_sgpr_private_segment_size 0
		.amdhsa_wavefront_size32 1
		.amdhsa_uses_dynamic_stack 0
		.amdhsa_enable_private_segment 0
		.amdhsa_system_sgpr_workgroup_id_x 1
		.amdhsa_system_sgpr_workgroup_id_y 0
		.amdhsa_system_sgpr_workgroup_id_z 0
		.amdhsa_system_sgpr_workgroup_info 0
		.amdhsa_system_vgpr_workitem_id 0
		.amdhsa_next_free_vgpr 1
		.amdhsa_next_free_sgpr 1
		.amdhsa_named_barrier_count 0
		.amdhsa_reserve_vcc 0
		.amdhsa_float_round_mode_32 0
		.amdhsa_float_round_mode_16_64 0
		.amdhsa_float_denorm_mode_32 3
		.amdhsa_float_denorm_mode_16_64 3
		.amdhsa_fp16_overflow 0
		.amdhsa_memory_ordered 1
		.amdhsa_forward_progress 1
		.amdhsa_inst_pref_size 0
		.amdhsa_round_robin_scheduling 0
		.amdhsa_exception_fp_ieee_invalid_op 0
		.amdhsa_exception_fp_denorm_src 0
		.amdhsa_exception_fp_ieee_div_zero 0
		.amdhsa_exception_fp_ieee_overflow 0
		.amdhsa_exception_fp_ieee_underflow 0
		.amdhsa_exception_fp_ieee_inexact 0
		.amdhsa_exception_int_div_zero 0
	.end_amdhsa_kernel
	.section	.text._ZN7rocprim17ROCPRIM_400000_NS6detail17trampoline_kernelINS0_14default_configENS1_35radix_sort_onesweep_config_selectorIiNS0_10empty_typeEEEZNS1_34radix_sort_onesweep_global_offsetsIS3_Lb0EPKiPS5_mNS0_19identity_decomposerEEE10hipError_tT1_T2_PT3_SF_jT4_jjP12ihipStream_tbEUlT_E0_NS1_11comp_targetILNS1_3genE10ELNS1_11target_archE1201ELNS1_3gpuE5ELNS1_3repE0EEENS1_52radix_sort_onesweep_histogram_config_static_selectorELNS0_4arch9wavefront6targetE0EEEvSD_,"axG",@progbits,_ZN7rocprim17ROCPRIM_400000_NS6detail17trampoline_kernelINS0_14default_configENS1_35radix_sort_onesweep_config_selectorIiNS0_10empty_typeEEEZNS1_34radix_sort_onesweep_global_offsetsIS3_Lb0EPKiPS5_mNS0_19identity_decomposerEEE10hipError_tT1_T2_PT3_SF_jT4_jjP12ihipStream_tbEUlT_E0_NS1_11comp_targetILNS1_3genE10ELNS1_11target_archE1201ELNS1_3gpuE5ELNS1_3repE0EEENS1_52radix_sort_onesweep_histogram_config_static_selectorELNS0_4arch9wavefront6targetE0EEEvSD_,comdat
.Lfunc_end957:
	.size	_ZN7rocprim17ROCPRIM_400000_NS6detail17trampoline_kernelINS0_14default_configENS1_35radix_sort_onesweep_config_selectorIiNS0_10empty_typeEEEZNS1_34radix_sort_onesweep_global_offsetsIS3_Lb0EPKiPS5_mNS0_19identity_decomposerEEE10hipError_tT1_T2_PT3_SF_jT4_jjP12ihipStream_tbEUlT_E0_NS1_11comp_targetILNS1_3genE10ELNS1_11target_archE1201ELNS1_3gpuE5ELNS1_3repE0EEENS1_52radix_sort_onesweep_histogram_config_static_selectorELNS0_4arch9wavefront6targetE0EEEvSD_, .Lfunc_end957-_ZN7rocprim17ROCPRIM_400000_NS6detail17trampoline_kernelINS0_14default_configENS1_35radix_sort_onesweep_config_selectorIiNS0_10empty_typeEEEZNS1_34radix_sort_onesweep_global_offsetsIS3_Lb0EPKiPS5_mNS0_19identity_decomposerEEE10hipError_tT1_T2_PT3_SF_jT4_jjP12ihipStream_tbEUlT_E0_NS1_11comp_targetILNS1_3genE10ELNS1_11target_archE1201ELNS1_3gpuE5ELNS1_3repE0EEENS1_52radix_sort_onesweep_histogram_config_static_selectorELNS0_4arch9wavefront6targetE0EEEvSD_
                                        ; -- End function
	.set _ZN7rocprim17ROCPRIM_400000_NS6detail17trampoline_kernelINS0_14default_configENS1_35radix_sort_onesweep_config_selectorIiNS0_10empty_typeEEEZNS1_34radix_sort_onesweep_global_offsetsIS3_Lb0EPKiPS5_mNS0_19identity_decomposerEEE10hipError_tT1_T2_PT3_SF_jT4_jjP12ihipStream_tbEUlT_E0_NS1_11comp_targetILNS1_3genE10ELNS1_11target_archE1201ELNS1_3gpuE5ELNS1_3repE0EEENS1_52radix_sort_onesweep_histogram_config_static_selectorELNS0_4arch9wavefront6targetE0EEEvSD_.num_vgpr, 0
	.set _ZN7rocprim17ROCPRIM_400000_NS6detail17trampoline_kernelINS0_14default_configENS1_35radix_sort_onesweep_config_selectorIiNS0_10empty_typeEEEZNS1_34radix_sort_onesweep_global_offsetsIS3_Lb0EPKiPS5_mNS0_19identity_decomposerEEE10hipError_tT1_T2_PT3_SF_jT4_jjP12ihipStream_tbEUlT_E0_NS1_11comp_targetILNS1_3genE10ELNS1_11target_archE1201ELNS1_3gpuE5ELNS1_3repE0EEENS1_52radix_sort_onesweep_histogram_config_static_selectorELNS0_4arch9wavefront6targetE0EEEvSD_.num_agpr, 0
	.set _ZN7rocprim17ROCPRIM_400000_NS6detail17trampoline_kernelINS0_14default_configENS1_35radix_sort_onesweep_config_selectorIiNS0_10empty_typeEEEZNS1_34radix_sort_onesweep_global_offsetsIS3_Lb0EPKiPS5_mNS0_19identity_decomposerEEE10hipError_tT1_T2_PT3_SF_jT4_jjP12ihipStream_tbEUlT_E0_NS1_11comp_targetILNS1_3genE10ELNS1_11target_archE1201ELNS1_3gpuE5ELNS1_3repE0EEENS1_52radix_sort_onesweep_histogram_config_static_selectorELNS0_4arch9wavefront6targetE0EEEvSD_.numbered_sgpr, 0
	.set _ZN7rocprim17ROCPRIM_400000_NS6detail17trampoline_kernelINS0_14default_configENS1_35radix_sort_onesweep_config_selectorIiNS0_10empty_typeEEEZNS1_34radix_sort_onesweep_global_offsetsIS3_Lb0EPKiPS5_mNS0_19identity_decomposerEEE10hipError_tT1_T2_PT3_SF_jT4_jjP12ihipStream_tbEUlT_E0_NS1_11comp_targetILNS1_3genE10ELNS1_11target_archE1201ELNS1_3gpuE5ELNS1_3repE0EEENS1_52radix_sort_onesweep_histogram_config_static_selectorELNS0_4arch9wavefront6targetE0EEEvSD_.num_named_barrier, 0
	.set _ZN7rocprim17ROCPRIM_400000_NS6detail17trampoline_kernelINS0_14default_configENS1_35radix_sort_onesweep_config_selectorIiNS0_10empty_typeEEEZNS1_34radix_sort_onesweep_global_offsetsIS3_Lb0EPKiPS5_mNS0_19identity_decomposerEEE10hipError_tT1_T2_PT3_SF_jT4_jjP12ihipStream_tbEUlT_E0_NS1_11comp_targetILNS1_3genE10ELNS1_11target_archE1201ELNS1_3gpuE5ELNS1_3repE0EEENS1_52radix_sort_onesweep_histogram_config_static_selectorELNS0_4arch9wavefront6targetE0EEEvSD_.private_seg_size, 0
	.set _ZN7rocprim17ROCPRIM_400000_NS6detail17trampoline_kernelINS0_14default_configENS1_35radix_sort_onesweep_config_selectorIiNS0_10empty_typeEEEZNS1_34radix_sort_onesweep_global_offsetsIS3_Lb0EPKiPS5_mNS0_19identity_decomposerEEE10hipError_tT1_T2_PT3_SF_jT4_jjP12ihipStream_tbEUlT_E0_NS1_11comp_targetILNS1_3genE10ELNS1_11target_archE1201ELNS1_3gpuE5ELNS1_3repE0EEENS1_52radix_sort_onesweep_histogram_config_static_selectorELNS0_4arch9wavefront6targetE0EEEvSD_.uses_vcc, 0
	.set _ZN7rocprim17ROCPRIM_400000_NS6detail17trampoline_kernelINS0_14default_configENS1_35radix_sort_onesweep_config_selectorIiNS0_10empty_typeEEEZNS1_34radix_sort_onesweep_global_offsetsIS3_Lb0EPKiPS5_mNS0_19identity_decomposerEEE10hipError_tT1_T2_PT3_SF_jT4_jjP12ihipStream_tbEUlT_E0_NS1_11comp_targetILNS1_3genE10ELNS1_11target_archE1201ELNS1_3gpuE5ELNS1_3repE0EEENS1_52radix_sort_onesweep_histogram_config_static_selectorELNS0_4arch9wavefront6targetE0EEEvSD_.uses_flat_scratch, 0
	.set _ZN7rocprim17ROCPRIM_400000_NS6detail17trampoline_kernelINS0_14default_configENS1_35radix_sort_onesweep_config_selectorIiNS0_10empty_typeEEEZNS1_34radix_sort_onesweep_global_offsetsIS3_Lb0EPKiPS5_mNS0_19identity_decomposerEEE10hipError_tT1_T2_PT3_SF_jT4_jjP12ihipStream_tbEUlT_E0_NS1_11comp_targetILNS1_3genE10ELNS1_11target_archE1201ELNS1_3gpuE5ELNS1_3repE0EEENS1_52radix_sort_onesweep_histogram_config_static_selectorELNS0_4arch9wavefront6targetE0EEEvSD_.has_dyn_sized_stack, 0
	.set _ZN7rocprim17ROCPRIM_400000_NS6detail17trampoline_kernelINS0_14default_configENS1_35radix_sort_onesweep_config_selectorIiNS0_10empty_typeEEEZNS1_34radix_sort_onesweep_global_offsetsIS3_Lb0EPKiPS5_mNS0_19identity_decomposerEEE10hipError_tT1_T2_PT3_SF_jT4_jjP12ihipStream_tbEUlT_E0_NS1_11comp_targetILNS1_3genE10ELNS1_11target_archE1201ELNS1_3gpuE5ELNS1_3repE0EEENS1_52radix_sort_onesweep_histogram_config_static_selectorELNS0_4arch9wavefront6targetE0EEEvSD_.has_recursion, 0
	.set _ZN7rocprim17ROCPRIM_400000_NS6detail17trampoline_kernelINS0_14default_configENS1_35radix_sort_onesweep_config_selectorIiNS0_10empty_typeEEEZNS1_34radix_sort_onesweep_global_offsetsIS3_Lb0EPKiPS5_mNS0_19identity_decomposerEEE10hipError_tT1_T2_PT3_SF_jT4_jjP12ihipStream_tbEUlT_E0_NS1_11comp_targetILNS1_3genE10ELNS1_11target_archE1201ELNS1_3gpuE5ELNS1_3repE0EEENS1_52radix_sort_onesweep_histogram_config_static_selectorELNS0_4arch9wavefront6targetE0EEEvSD_.has_indirect_call, 0
	.section	.AMDGPU.csdata,"",@progbits
; Kernel info:
; codeLenInByte = 0
; TotalNumSgprs: 0
; NumVgprs: 0
; ScratchSize: 0
; MemoryBound: 0
; FloatMode: 240
; IeeeMode: 1
; LDSByteSize: 0 bytes/workgroup (compile time only)
; SGPRBlocks: 0
; VGPRBlocks: 0
; NumSGPRsForWavesPerEU: 1
; NumVGPRsForWavesPerEU: 1
; NamedBarCnt: 0
; Occupancy: 16
; WaveLimiterHint : 0
; COMPUTE_PGM_RSRC2:SCRATCH_EN: 0
; COMPUTE_PGM_RSRC2:USER_SGPR: 2
; COMPUTE_PGM_RSRC2:TRAP_HANDLER: 0
; COMPUTE_PGM_RSRC2:TGID_X_EN: 1
; COMPUTE_PGM_RSRC2:TGID_Y_EN: 0
; COMPUTE_PGM_RSRC2:TGID_Z_EN: 0
; COMPUTE_PGM_RSRC2:TIDIG_COMP_CNT: 0
	.section	.text._ZN7rocprim17ROCPRIM_400000_NS6detail17trampoline_kernelINS0_14default_configENS1_35radix_sort_onesweep_config_selectorIiNS0_10empty_typeEEEZNS1_34radix_sort_onesweep_global_offsetsIS3_Lb0EPKiPS5_mNS0_19identity_decomposerEEE10hipError_tT1_T2_PT3_SF_jT4_jjP12ihipStream_tbEUlT_E0_NS1_11comp_targetILNS1_3genE9ELNS1_11target_archE1100ELNS1_3gpuE3ELNS1_3repE0EEENS1_52radix_sort_onesweep_histogram_config_static_selectorELNS0_4arch9wavefront6targetE0EEEvSD_,"axG",@progbits,_ZN7rocprim17ROCPRIM_400000_NS6detail17trampoline_kernelINS0_14default_configENS1_35radix_sort_onesweep_config_selectorIiNS0_10empty_typeEEEZNS1_34radix_sort_onesweep_global_offsetsIS3_Lb0EPKiPS5_mNS0_19identity_decomposerEEE10hipError_tT1_T2_PT3_SF_jT4_jjP12ihipStream_tbEUlT_E0_NS1_11comp_targetILNS1_3genE9ELNS1_11target_archE1100ELNS1_3gpuE3ELNS1_3repE0EEENS1_52radix_sort_onesweep_histogram_config_static_selectorELNS0_4arch9wavefront6targetE0EEEvSD_,comdat
	.protected	_ZN7rocprim17ROCPRIM_400000_NS6detail17trampoline_kernelINS0_14default_configENS1_35radix_sort_onesweep_config_selectorIiNS0_10empty_typeEEEZNS1_34radix_sort_onesweep_global_offsetsIS3_Lb0EPKiPS5_mNS0_19identity_decomposerEEE10hipError_tT1_T2_PT3_SF_jT4_jjP12ihipStream_tbEUlT_E0_NS1_11comp_targetILNS1_3genE9ELNS1_11target_archE1100ELNS1_3gpuE3ELNS1_3repE0EEENS1_52radix_sort_onesweep_histogram_config_static_selectorELNS0_4arch9wavefront6targetE0EEEvSD_ ; -- Begin function _ZN7rocprim17ROCPRIM_400000_NS6detail17trampoline_kernelINS0_14default_configENS1_35radix_sort_onesweep_config_selectorIiNS0_10empty_typeEEEZNS1_34radix_sort_onesweep_global_offsetsIS3_Lb0EPKiPS5_mNS0_19identity_decomposerEEE10hipError_tT1_T2_PT3_SF_jT4_jjP12ihipStream_tbEUlT_E0_NS1_11comp_targetILNS1_3genE9ELNS1_11target_archE1100ELNS1_3gpuE3ELNS1_3repE0EEENS1_52radix_sort_onesweep_histogram_config_static_selectorELNS0_4arch9wavefront6targetE0EEEvSD_
	.globl	_ZN7rocprim17ROCPRIM_400000_NS6detail17trampoline_kernelINS0_14default_configENS1_35radix_sort_onesweep_config_selectorIiNS0_10empty_typeEEEZNS1_34radix_sort_onesweep_global_offsetsIS3_Lb0EPKiPS5_mNS0_19identity_decomposerEEE10hipError_tT1_T2_PT3_SF_jT4_jjP12ihipStream_tbEUlT_E0_NS1_11comp_targetILNS1_3genE9ELNS1_11target_archE1100ELNS1_3gpuE3ELNS1_3repE0EEENS1_52radix_sort_onesweep_histogram_config_static_selectorELNS0_4arch9wavefront6targetE0EEEvSD_
	.p2align	8
	.type	_ZN7rocprim17ROCPRIM_400000_NS6detail17trampoline_kernelINS0_14default_configENS1_35radix_sort_onesweep_config_selectorIiNS0_10empty_typeEEEZNS1_34radix_sort_onesweep_global_offsetsIS3_Lb0EPKiPS5_mNS0_19identity_decomposerEEE10hipError_tT1_T2_PT3_SF_jT4_jjP12ihipStream_tbEUlT_E0_NS1_11comp_targetILNS1_3genE9ELNS1_11target_archE1100ELNS1_3gpuE3ELNS1_3repE0EEENS1_52radix_sort_onesweep_histogram_config_static_selectorELNS0_4arch9wavefront6targetE0EEEvSD_,@function
_ZN7rocprim17ROCPRIM_400000_NS6detail17trampoline_kernelINS0_14default_configENS1_35radix_sort_onesweep_config_selectorIiNS0_10empty_typeEEEZNS1_34radix_sort_onesweep_global_offsetsIS3_Lb0EPKiPS5_mNS0_19identity_decomposerEEE10hipError_tT1_T2_PT3_SF_jT4_jjP12ihipStream_tbEUlT_E0_NS1_11comp_targetILNS1_3genE9ELNS1_11target_archE1100ELNS1_3gpuE3ELNS1_3repE0EEENS1_52radix_sort_onesweep_histogram_config_static_selectorELNS0_4arch9wavefront6targetE0EEEvSD_: ; @_ZN7rocprim17ROCPRIM_400000_NS6detail17trampoline_kernelINS0_14default_configENS1_35radix_sort_onesweep_config_selectorIiNS0_10empty_typeEEEZNS1_34radix_sort_onesweep_global_offsetsIS3_Lb0EPKiPS5_mNS0_19identity_decomposerEEE10hipError_tT1_T2_PT3_SF_jT4_jjP12ihipStream_tbEUlT_E0_NS1_11comp_targetILNS1_3genE9ELNS1_11target_archE1100ELNS1_3gpuE3ELNS1_3repE0EEENS1_52radix_sort_onesweep_histogram_config_static_selectorELNS0_4arch9wavefront6targetE0EEEvSD_
; %bb.0:
	.section	.rodata,"a",@progbits
	.p2align	6, 0x0
	.amdhsa_kernel _ZN7rocprim17ROCPRIM_400000_NS6detail17trampoline_kernelINS0_14default_configENS1_35radix_sort_onesweep_config_selectorIiNS0_10empty_typeEEEZNS1_34radix_sort_onesweep_global_offsetsIS3_Lb0EPKiPS5_mNS0_19identity_decomposerEEE10hipError_tT1_T2_PT3_SF_jT4_jjP12ihipStream_tbEUlT_E0_NS1_11comp_targetILNS1_3genE9ELNS1_11target_archE1100ELNS1_3gpuE3ELNS1_3repE0EEENS1_52radix_sort_onesweep_histogram_config_static_selectorELNS0_4arch9wavefront6targetE0EEEvSD_
		.amdhsa_group_segment_fixed_size 0
		.amdhsa_private_segment_fixed_size 0
		.amdhsa_kernarg_size 8
		.amdhsa_user_sgpr_count 2
		.amdhsa_user_sgpr_dispatch_ptr 0
		.amdhsa_user_sgpr_queue_ptr 0
		.amdhsa_user_sgpr_kernarg_segment_ptr 1
		.amdhsa_user_sgpr_dispatch_id 0
		.amdhsa_user_sgpr_kernarg_preload_length 0
		.amdhsa_user_sgpr_kernarg_preload_offset 0
		.amdhsa_user_sgpr_private_segment_size 0
		.amdhsa_wavefront_size32 1
		.amdhsa_uses_dynamic_stack 0
		.amdhsa_enable_private_segment 0
		.amdhsa_system_sgpr_workgroup_id_x 1
		.amdhsa_system_sgpr_workgroup_id_y 0
		.amdhsa_system_sgpr_workgroup_id_z 0
		.amdhsa_system_sgpr_workgroup_info 0
		.amdhsa_system_vgpr_workitem_id 0
		.amdhsa_next_free_vgpr 1
		.amdhsa_next_free_sgpr 1
		.amdhsa_named_barrier_count 0
		.amdhsa_reserve_vcc 0
		.amdhsa_float_round_mode_32 0
		.amdhsa_float_round_mode_16_64 0
		.amdhsa_float_denorm_mode_32 3
		.amdhsa_float_denorm_mode_16_64 3
		.amdhsa_fp16_overflow 0
		.amdhsa_memory_ordered 1
		.amdhsa_forward_progress 1
		.amdhsa_inst_pref_size 0
		.amdhsa_round_robin_scheduling 0
		.amdhsa_exception_fp_ieee_invalid_op 0
		.amdhsa_exception_fp_denorm_src 0
		.amdhsa_exception_fp_ieee_div_zero 0
		.amdhsa_exception_fp_ieee_overflow 0
		.amdhsa_exception_fp_ieee_underflow 0
		.amdhsa_exception_fp_ieee_inexact 0
		.amdhsa_exception_int_div_zero 0
	.end_amdhsa_kernel
	.section	.text._ZN7rocprim17ROCPRIM_400000_NS6detail17trampoline_kernelINS0_14default_configENS1_35radix_sort_onesweep_config_selectorIiNS0_10empty_typeEEEZNS1_34radix_sort_onesweep_global_offsetsIS3_Lb0EPKiPS5_mNS0_19identity_decomposerEEE10hipError_tT1_T2_PT3_SF_jT4_jjP12ihipStream_tbEUlT_E0_NS1_11comp_targetILNS1_3genE9ELNS1_11target_archE1100ELNS1_3gpuE3ELNS1_3repE0EEENS1_52radix_sort_onesweep_histogram_config_static_selectorELNS0_4arch9wavefront6targetE0EEEvSD_,"axG",@progbits,_ZN7rocprim17ROCPRIM_400000_NS6detail17trampoline_kernelINS0_14default_configENS1_35radix_sort_onesweep_config_selectorIiNS0_10empty_typeEEEZNS1_34radix_sort_onesweep_global_offsetsIS3_Lb0EPKiPS5_mNS0_19identity_decomposerEEE10hipError_tT1_T2_PT3_SF_jT4_jjP12ihipStream_tbEUlT_E0_NS1_11comp_targetILNS1_3genE9ELNS1_11target_archE1100ELNS1_3gpuE3ELNS1_3repE0EEENS1_52radix_sort_onesweep_histogram_config_static_selectorELNS0_4arch9wavefront6targetE0EEEvSD_,comdat
.Lfunc_end958:
	.size	_ZN7rocprim17ROCPRIM_400000_NS6detail17trampoline_kernelINS0_14default_configENS1_35radix_sort_onesweep_config_selectorIiNS0_10empty_typeEEEZNS1_34radix_sort_onesweep_global_offsetsIS3_Lb0EPKiPS5_mNS0_19identity_decomposerEEE10hipError_tT1_T2_PT3_SF_jT4_jjP12ihipStream_tbEUlT_E0_NS1_11comp_targetILNS1_3genE9ELNS1_11target_archE1100ELNS1_3gpuE3ELNS1_3repE0EEENS1_52radix_sort_onesweep_histogram_config_static_selectorELNS0_4arch9wavefront6targetE0EEEvSD_, .Lfunc_end958-_ZN7rocprim17ROCPRIM_400000_NS6detail17trampoline_kernelINS0_14default_configENS1_35radix_sort_onesweep_config_selectorIiNS0_10empty_typeEEEZNS1_34radix_sort_onesweep_global_offsetsIS3_Lb0EPKiPS5_mNS0_19identity_decomposerEEE10hipError_tT1_T2_PT3_SF_jT4_jjP12ihipStream_tbEUlT_E0_NS1_11comp_targetILNS1_3genE9ELNS1_11target_archE1100ELNS1_3gpuE3ELNS1_3repE0EEENS1_52radix_sort_onesweep_histogram_config_static_selectorELNS0_4arch9wavefront6targetE0EEEvSD_
                                        ; -- End function
	.set _ZN7rocprim17ROCPRIM_400000_NS6detail17trampoline_kernelINS0_14default_configENS1_35radix_sort_onesweep_config_selectorIiNS0_10empty_typeEEEZNS1_34radix_sort_onesweep_global_offsetsIS3_Lb0EPKiPS5_mNS0_19identity_decomposerEEE10hipError_tT1_T2_PT3_SF_jT4_jjP12ihipStream_tbEUlT_E0_NS1_11comp_targetILNS1_3genE9ELNS1_11target_archE1100ELNS1_3gpuE3ELNS1_3repE0EEENS1_52radix_sort_onesweep_histogram_config_static_selectorELNS0_4arch9wavefront6targetE0EEEvSD_.num_vgpr, 0
	.set _ZN7rocprim17ROCPRIM_400000_NS6detail17trampoline_kernelINS0_14default_configENS1_35radix_sort_onesweep_config_selectorIiNS0_10empty_typeEEEZNS1_34radix_sort_onesweep_global_offsetsIS3_Lb0EPKiPS5_mNS0_19identity_decomposerEEE10hipError_tT1_T2_PT3_SF_jT4_jjP12ihipStream_tbEUlT_E0_NS1_11comp_targetILNS1_3genE9ELNS1_11target_archE1100ELNS1_3gpuE3ELNS1_3repE0EEENS1_52radix_sort_onesweep_histogram_config_static_selectorELNS0_4arch9wavefront6targetE0EEEvSD_.num_agpr, 0
	.set _ZN7rocprim17ROCPRIM_400000_NS6detail17trampoline_kernelINS0_14default_configENS1_35radix_sort_onesweep_config_selectorIiNS0_10empty_typeEEEZNS1_34radix_sort_onesweep_global_offsetsIS3_Lb0EPKiPS5_mNS0_19identity_decomposerEEE10hipError_tT1_T2_PT3_SF_jT4_jjP12ihipStream_tbEUlT_E0_NS1_11comp_targetILNS1_3genE9ELNS1_11target_archE1100ELNS1_3gpuE3ELNS1_3repE0EEENS1_52radix_sort_onesweep_histogram_config_static_selectorELNS0_4arch9wavefront6targetE0EEEvSD_.numbered_sgpr, 0
	.set _ZN7rocprim17ROCPRIM_400000_NS6detail17trampoline_kernelINS0_14default_configENS1_35radix_sort_onesweep_config_selectorIiNS0_10empty_typeEEEZNS1_34radix_sort_onesweep_global_offsetsIS3_Lb0EPKiPS5_mNS0_19identity_decomposerEEE10hipError_tT1_T2_PT3_SF_jT4_jjP12ihipStream_tbEUlT_E0_NS1_11comp_targetILNS1_3genE9ELNS1_11target_archE1100ELNS1_3gpuE3ELNS1_3repE0EEENS1_52radix_sort_onesweep_histogram_config_static_selectorELNS0_4arch9wavefront6targetE0EEEvSD_.num_named_barrier, 0
	.set _ZN7rocprim17ROCPRIM_400000_NS6detail17trampoline_kernelINS0_14default_configENS1_35radix_sort_onesweep_config_selectorIiNS0_10empty_typeEEEZNS1_34radix_sort_onesweep_global_offsetsIS3_Lb0EPKiPS5_mNS0_19identity_decomposerEEE10hipError_tT1_T2_PT3_SF_jT4_jjP12ihipStream_tbEUlT_E0_NS1_11comp_targetILNS1_3genE9ELNS1_11target_archE1100ELNS1_3gpuE3ELNS1_3repE0EEENS1_52radix_sort_onesweep_histogram_config_static_selectorELNS0_4arch9wavefront6targetE0EEEvSD_.private_seg_size, 0
	.set _ZN7rocprim17ROCPRIM_400000_NS6detail17trampoline_kernelINS0_14default_configENS1_35radix_sort_onesweep_config_selectorIiNS0_10empty_typeEEEZNS1_34radix_sort_onesweep_global_offsetsIS3_Lb0EPKiPS5_mNS0_19identity_decomposerEEE10hipError_tT1_T2_PT3_SF_jT4_jjP12ihipStream_tbEUlT_E0_NS1_11comp_targetILNS1_3genE9ELNS1_11target_archE1100ELNS1_3gpuE3ELNS1_3repE0EEENS1_52radix_sort_onesweep_histogram_config_static_selectorELNS0_4arch9wavefront6targetE0EEEvSD_.uses_vcc, 0
	.set _ZN7rocprim17ROCPRIM_400000_NS6detail17trampoline_kernelINS0_14default_configENS1_35radix_sort_onesweep_config_selectorIiNS0_10empty_typeEEEZNS1_34radix_sort_onesweep_global_offsetsIS3_Lb0EPKiPS5_mNS0_19identity_decomposerEEE10hipError_tT1_T2_PT3_SF_jT4_jjP12ihipStream_tbEUlT_E0_NS1_11comp_targetILNS1_3genE9ELNS1_11target_archE1100ELNS1_3gpuE3ELNS1_3repE0EEENS1_52radix_sort_onesweep_histogram_config_static_selectorELNS0_4arch9wavefront6targetE0EEEvSD_.uses_flat_scratch, 0
	.set _ZN7rocprim17ROCPRIM_400000_NS6detail17trampoline_kernelINS0_14default_configENS1_35radix_sort_onesweep_config_selectorIiNS0_10empty_typeEEEZNS1_34radix_sort_onesweep_global_offsetsIS3_Lb0EPKiPS5_mNS0_19identity_decomposerEEE10hipError_tT1_T2_PT3_SF_jT4_jjP12ihipStream_tbEUlT_E0_NS1_11comp_targetILNS1_3genE9ELNS1_11target_archE1100ELNS1_3gpuE3ELNS1_3repE0EEENS1_52radix_sort_onesweep_histogram_config_static_selectorELNS0_4arch9wavefront6targetE0EEEvSD_.has_dyn_sized_stack, 0
	.set _ZN7rocprim17ROCPRIM_400000_NS6detail17trampoline_kernelINS0_14default_configENS1_35radix_sort_onesweep_config_selectorIiNS0_10empty_typeEEEZNS1_34radix_sort_onesweep_global_offsetsIS3_Lb0EPKiPS5_mNS0_19identity_decomposerEEE10hipError_tT1_T2_PT3_SF_jT4_jjP12ihipStream_tbEUlT_E0_NS1_11comp_targetILNS1_3genE9ELNS1_11target_archE1100ELNS1_3gpuE3ELNS1_3repE0EEENS1_52radix_sort_onesweep_histogram_config_static_selectorELNS0_4arch9wavefront6targetE0EEEvSD_.has_recursion, 0
	.set _ZN7rocprim17ROCPRIM_400000_NS6detail17trampoline_kernelINS0_14default_configENS1_35radix_sort_onesweep_config_selectorIiNS0_10empty_typeEEEZNS1_34radix_sort_onesweep_global_offsetsIS3_Lb0EPKiPS5_mNS0_19identity_decomposerEEE10hipError_tT1_T2_PT3_SF_jT4_jjP12ihipStream_tbEUlT_E0_NS1_11comp_targetILNS1_3genE9ELNS1_11target_archE1100ELNS1_3gpuE3ELNS1_3repE0EEENS1_52radix_sort_onesweep_histogram_config_static_selectorELNS0_4arch9wavefront6targetE0EEEvSD_.has_indirect_call, 0
	.section	.AMDGPU.csdata,"",@progbits
; Kernel info:
; codeLenInByte = 0
; TotalNumSgprs: 0
; NumVgprs: 0
; ScratchSize: 0
; MemoryBound: 0
; FloatMode: 240
; IeeeMode: 1
; LDSByteSize: 0 bytes/workgroup (compile time only)
; SGPRBlocks: 0
; VGPRBlocks: 0
; NumSGPRsForWavesPerEU: 1
; NumVGPRsForWavesPerEU: 1
; NamedBarCnt: 0
; Occupancy: 16
; WaveLimiterHint : 0
; COMPUTE_PGM_RSRC2:SCRATCH_EN: 0
; COMPUTE_PGM_RSRC2:USER_SGPR: 2
; COMPUTE_PGM_RSRC2:TRAP_HANDLER: 0
; COMPUTE_PGM_RSRC2:TGID_X_EN: 1
; COMPUTE_PGM_RSRC2:TGID_Y_EN: 0
; COMPUTE_PGM_RSRC2:TGID_Z_EN: 0
; COMPUTE_PGM_RSRC2:TIDIG_COMP_CNT: 0
	.section	.text._ZN7rocprim17ROCPRIM_400000_NS6detail17trampoline_kernelINS0_14default_configENS1_35radix_sort_onesweep_config_selectorIiNS0_10empty_typeEEEZNS1_34radix_sort_onesweep_global_offsetsIS3_Lb0EPKiPS5_mNS0_19identity_decomposerEEE10hipError_tT1_T2_PT3_SF_jT4_jjP12ihipStream_tbEUlT_E0_NS1_11comp_targetILNS1_3genE8ELNS1_11target_archE1030ELNS1_3gpuE2ELNS1_3repE0EEENS1_52radix_sort_onesweep_histogram_config_static_selectorELNS0_4arch9wavefront6targetE0EEEvSD_,"axG",@progbits,_ZN7rocprim17ROCPRIM_400000_NS6detail17trampoline_kernelINS0_14default_configENS1_35radix_sort_onesweep_config_selectorIiNS0_10empty_typeEEEZNS1_34radix_sort_onesweep_global_offsetsIS3_Lb0EPKiPS5_mNS0_19identity_decomposerEEE10hipError_tT1_T2_PT3_SF_jT4_jjP12ihipStream_tbEUlT_E0_NS1_11comp_targetILNS1_3genE8ELNS1_11target_archE1030ELNS1_3gpuE2ELNS1_3repE0EEENS1_52radix_sort_onesweep_histogram_config_static_selectorELNS0_4arch9wavefront6targetE0EEEvSD_,comdat
	.protected	_ZN7rocprim17ROCPRIM_400000_NS6detail17trampoline_kernelINS0_14default_configENS1_35radix_sort_onesweep_config_selectorIiNS0_10empty_typeEEEZNS1_34radix_sort_onesweep_global_offsetsIS3_Lb0EPKiPS5_mNS0_19identity_decomposerEEE10hipError_tT1_T2_PT3_SF_jT4_jjP12ihipStream_tbEUlT_E0_NS1_11comp_targetILNS1_3genE8ELNS1_11target_archE1030ELNS1_3gpuE2ELNS1_3repE0EEENS1_52radix_sort_onesweep_histogram_config_static_selectorELNS0_4arch9wavefront6targetE0EEEvSD_ ; -- Begin function _ZN7rocprim17ROCPRIM_400000_NS6detail17trampoline_kernelINS0_14default_configENS1_35radix_sort_onesweep_config_selectorIiNS0_10empty_typeEEEZNS1_34radix_sort_onesweep_global_offsetsIS3_Lb0EPKiPS5_mNS0_19identity_decomposerEEE10hipError_tT1_T2_PT3_SF_jT4_jjP12ihipStream_tbEUlT_E0_NS1_11comp_targetILNS1_3genE8ELNS1_11target_archE1030ELNS1_3gpuE2ELNS1_3repE0EEENS1_52radix_sort_onesweep_histogram_config_static_selectorELNS0_4arch9wavefront6targetE0EEEvSD_
	.globl	_ZN7rocprim17ROCPRIM_400000_NS6detail17trampoline_kernelINS0_14default_configENS1_35radix_sort_onesweep_config_selectorIiNS0_10empty_typeEEEZNS1_34radix_sort_onesweep_global_offsetsIS3_Lb0EPKiPS5_mNS0_19identity_decomposerEEE10hipError_tT1_T2_PT3_SF_jT4_jjP12ihipStream_tbEUlT_E0_NS1_11comp_targetILNS1_3genE8ELNS1_11target_archE1030ELNS1_3gpuE2ELNS1_3repE0EEENS1_52radix_sort_onesweep_histogram_config_static_selectorELNS0_4arch9wavefront6targetE0EEEvSD_
	.p2align	8
	.type	_ZN7rocprim17ROCPRIM_400000_NS6detail17trampoline_kernelINS0_14default_configENS1_35radix_sort_onesweep_config_selectorIiNS0_10empty_typeEEEZNS1_34radix_sort_onesweep_global_offsetsIS3_Lb0EPKiPS5_mNS0_19identity_decomposerEEE10hipError_tT1_T2_PT3_SF_jT4_jjP12ihipStream_tbEUlT_E0_NS1_11comp_targetILNS1_3genE8ELNS1_11target_archE1030ELNS1_3gpuE2ELNS1_3repE0EEENS1_52radix_sort_onesweep_histogram_config_static_selectorELNS0_4arch9wavefront6targetE0EEEvSD_,@function
_ZN7rocprim17ROCPRIM_400000_NS6detail17trampoline_kernelINS0_14default_configENS1_35radix_sort_onesweep_config_selectorIiNS0_10empty_typeEEEZNS1_34radix_sort_onesweep_global_offsetsIS3_Lb0EPKiPS5_mNS0_19identity_decomposerEEE10hipError_tT1_T2_PT3_SF_jT4_jjP12ihipStream_tbEUlT_E0_NS1_11comp_targetILNS1_3genE8ELNS1_11target_archE1030ELNS1_3gpuE2ELNS1_3repE0EEENS1_52radix_sort_onesweep_histogram_config_static_selectorELNS0_4arch9wavefront6targetE0EEEvSD_: ; @_ZN7rocprim17ROCPRIM_400000_NS6detail17trampoline_kernelINS0_14default_configENS1_35radix_sort_onesweep_config_selectorIiNS0_10empty_typeEEEZNS1_34radix_sort_onesweep_global_offsetsIS3_Lb0EPKiPS5_mNS0_19identity_decomposerEEE10hipError_tT1_T2_PT3_SF_jT4_jjP12ihipStream_tbEUlT_E0_NS1_11comp_targetILNS1_3genE8ELNS1_11target_archE1030ELNS1_3gpuE2ELNS1_3repE0EEENS1_52radix_sort_onesweep_histogram_config_static_selectorELNS0_4arch9wavefront6targetE0EEEvSD_
; %bb.0:
	.section	.rodata,"a",@progbits
	.p2align	6, 0x0
	.amdhsa_kernel _ZN7rocprim17ROCPRIM_400000_NS6detail17trampoline_kernelINS0_14default_configENS1_35radix_sort_onesweep_config_selectorIiNS0_10empty_typeEEEZNS1_34radix_sort_onesweep_global_offsetsIS3_Lb0EPKiPS5_mNS0_19identity_decomposerEEE10hipError_tT1_T2_PT3_SF_jT4_jjP12ihipStream_tbEUlT_E0_NS1_11comp_targetILNS1_3genE8ELNS1_11target_archE1030ELNS1_3gpuE2ELNS1_3repE0EEENS1_52radix_sort_onesweep_histogram_config_static_selectorELNS0_4arch9wavefront6targetE0EEEvSD_
		.amdhsa_group_segment_fixed_size 0
		.amdhsa_private_segment_fixed_size 0
		.amdhsa_kernarg_size 8
		.amdhsa_user_sgpr_count 2
		.amdhsa_user_sgpr_dispatch_ptr 0
		.amdhsa_user_sgpr_queue_ptr 0
		.amdhsa_user_sgpr_kernarg_segment_ptr 1
		.amdhsa_user_sgpr_dispatch_id 0
		.amdhsa_user_sgpr_kernarg_preload_length 0
		.amdhsa_user_sgpr_kernarg_preload_offset 0
		.amdhsa_user_sgpr_private_segment_size 0
		.amdhsa_wavefront_size32 1
		.amdhsa_uses_dynamic_stack 0
		.amdhsa_enable_private_segment 0
		.amdhsa_system_sgpr_workgroup_id_x 1
		.amdhsa_system_sgpr_workgroup_id_y 0
		.amdhsa_system_sgpr_workgroup_id_z 0
		.amdhsa_system_sgpr_workgroup_info 0
		.amdhsa_system_vgpr_workitem_id 0
		.amdhsa_next_free_vgpr 1
		.amdhsa_next_free_sgpr 1
		.amdhsa_named_barrier_count 0
		.amdhsa_reserve_vcc 0
		.amdhsa_float_round_mode_32 0
		.amdhsa_float_round_mode_16_64 0
		.amdhsa_float_denorm_mode_32 3
		.amdhsa_float_denorm_mode_16_64 3
		.amdhsa_fp16_overflow 0
		.amdhsa_memory_ordered 1
		.amdhsa_forward_progress 1
		.amdhsa_inst_pref_size 0
		.amdhsa_round_robin_scheduling 0
		.amdhsa_exception_fp_ieee_invalid_op 0
		.amdhsa_exception_fp_denorm_src 0
		.amdhsa_exception_fp_ieee_div_zero 0
		.amdhsa_exception_fp_ieee_overflow 0
		.amdhsa_exception_fp_ieee_underflow 0
		.amdhsa_exception_fp_ieee_inexact 0
		.amdhsa_exception_int_div_zero 0
	.end_amdhsa_kernel
	.section	.text._ZN7rocprim17ROCPRIM_400000_NS6detail17trampoline_kernelINS0_14default_configENS1_35radix_sort_onesweep_config_selectorIiNS0_10empty_typeEEEZNS1_34radix_sort_onesweep_global_offsetsIS3_Lb0EPKiPS5_mNS0_19identity_decomposerEEE10hipError_tT1_T2_PT3_SF_jT4_jjP12ihipStream_tbEUlT_E0_NS1_11comp_targetILNS1_3genE8ELNS1_11target_archE1030ELNS1_3gpuE2ELNS1_3repE0EEENS1_52radix_sort_onesweep_histogram_config_static_selectorELNS0_4arch9wavefront6targetE0EEEvSD_,"axG",@progbits,_ZN7rocprim17ROCPRIM_400000_NS6detail17trampoline_kernelINS0_14default_configENS1_35radix_sort_onesweep_config_selectorIiNS0_10empty_typeEEEZNS1_34radix_sort_onesweep_global_offsetsIS3_Lb0EPKiPS5_mNS0_19identity_decomposerEEE10hipError_tT1_T2_PT3_SF_jT4_jjP12ihipStream_tbEUlT_E0_NS1_11comp_targetILNS1_3genE8ELNS1_11target_archE1030ELNS1_3gpuE2ELNS1_3repE0EEENS1_52radix_sort_onesweep_histogram_config_static_selectorELNS0_4arch9wavefront6targetE0EEEvSD_,comdat
.Lfunc_end959:
	.size	_ZN7rocprim17ROCPRIM_400000_NS6detail17trampoline_kernelINS0_14default_configENS1_35radix_sort_onesweep_config_selectorIiNS0_10empty_typeEEEZNS1_34radix_sort_onesweep_global_offsetsIS3_Lb0EPKiPS5_mNS0_19identity_decomposerEEE10hipError_tT1_T2_PT3_SF_jT4_jjP12ihipStream_tbEUlT_E0_NS1_11comp_targetILNS1_3genE8ELNS1_11target_archE1030ELNS1_3gpuE2ELNS1_3repE0EEENS1_52radix_sort_onesweep_histogram_config_static_selectorELNS0_4arch9wavefront6targetE0EEEvSD_, .Lfunc_end959-_ZN7rocprim17ROCPRIM_400000_NS6detail17trampoline_kernelINS0_14default_configENS1_35radix_sort_onesweep_config_selectorIiNS0_10empty_typeEEEZNS1_34radix_sort_onesweep_global_offsetsIS3_Lb0EPKiPS5_mNS0_19identity_decomposerEEE10hipError_tT1_T2_PT3_SF_jT4_jjP12ihipStream_tbEUlT_E0_NS1_11comp_targetILNS1_3genE8ELNS1_11target_archE1030ELNS1_3gpuE2ELNS1_3repE0EEENS1_52radix_sort_onesweep_histogram_config_static_selectorELNS0_4arch9wavefront6targetE0EEEvSD_
                                        ; -- End function
	.set _ZN7rocprim17ROCPRIM_400000_NS6detail17trampoline_kernelINS0_14default_configENS1_35radix_sort_onesweep_config_selectorIiNS0_10empty_typeEEEZNS1_34radix_sort_onesweep_global_offsetsIS3_Lb0EPKiPS5_mNS0_19identity_decomposerEEE10hipError_tT1_T2_PT3_SF_jT4_jjP12ihipStream_tbEUlT_E0_NS1_11comp_targetILNS1_3genE8ELNS1_11target_archE1030ELNS1_3gpuE2ELNS1_3repE0EEENS1_52radix_sort_onesweep_histogram_config_static_selectorELNS0_4arch9wavefront6targetE0EEEvSD_.num_vgpr, 0
	.set _ZN7rocprim17ROCPRIM_400000_NS6detail17trampoline_kernelINS0_14default_configENS1_35radix_sort_onesweep_config_selectorIiNS0_10empty_typeEEEZNS1_34radix_sort_onesweep_global_offsetsIS3_Lb0EPKiPS5_mNS0_19identity_decomposerEEE10hipError_tT1_T2_PT3_SF_jT4_jjP12ihipStream_tbEUlT_E0_NS1_11comp_targetILNS1_3genE8ELNS1_11target_archE1030ELNS1_3gpuE2ELNS1_3repE0EEENS1_52radix_sort_onesweep_histogram_config_static_selectorELNS0_4arch9wavefront6targetE0EEEvSD_.num_agpr, 0
	.set _ZN7rocprim17ROCPRIM_400000_NS6detail17trampoline_kernelINS0_14default_configENS1_35radix_sort_onesweep_config_selectorIiNS0_10empty_typeEEEZNS1_34radix_sort_onesweep_global_offsetsIS3_Lb0EPKiPS5_mNS0_19identity_decomposerEEE10hipError_tT1_T2_PT3_SF_jT4_jjP12ihipStream_tbEUlT_E0_NS1_11comp_targetILNS1_3genE8ELNS1_11target_archE1030ELNS1_3gpuE2ELNS1_3repE0EEENS1_52radix_sort_onesweep_histogram_config_static_selectorELNS0_4arch9wavefront6targetE0EEEvSD_.numbered_sgpr, 0
	.set _ZN7rocprim17ROCPRIM_400000_NS6detail17trampoline_kernelINS0_14default_configENS1_35radix_sort_onesweep_config_selectorIiNS0_10empty_typeEEEZNS1_34radix_sort_onesweep_global_offsetsIS3_Lb0EPKiPS5_mNS0_19identity_decomposerEEE10hipError_tT1_T2_PT3_SF_jT4_jjP12ihipStream_tbEUlT_E0_NS1_11comp_targetILNS1_3genE8ELNS1_11target_archE1030ELNS1_3gpuE2ELNS1_3repE0EEENS1_52radix_sort_onesweep_histogram_config_static_selectorELNS0_4arch9wavefront6targetE0EEEvSD_.num_named_barrier, 0
	.set _ZN7rocprim17ROCPRIM_400000_NS6detail17trampoline_kernelINS0_14default_configENS1_35radix_sort_onesweep_config_selectorIiNS0_10empty_typeEEEZNS1_34radix_sort_onesweep_global_offsetsIS3_Lb0EPKiPS5_mNS0_19identity_decomposerEEE10hipError_tT1_T2_PT3_SF_jT4_jjP12ihipStream_tbEUlT_E0_NS1_11comp_targetILNS1_3genE8ELNS1_11target_archE1030ELNS1_3gpuE2ELNS1_3repE0EEENS1_52radix_sort_onesweep_histogram_config_static_selectorELNS0_4arch9wavefront6targetE0EEEvSD_.private_seg_size, 0
	.set _ZN7rocprim17ROCPRIM_400000_NS6detail17trampoline_kernelINS0_14default_configENS1_35radix_sort_onesweep_config_selectorIiNS0_10empty_typeEEEZNS1_34radix_sort_onesweep_global_offsetsIS3_Lb0EPKiPS5_mNS0_19identity_decomposerEEE10hipError_tT1_T2_PT3_SF_jT4_jjP12ihipStream_tbEUlT_E0_NS1_11comp_targetILNS1_3genE8ELNS1_11target_archE1030ELNS1_3gpuE2ELNS1_3repE0EEENS1_52radix_sort_onesweep_histogram_config_static_selectorELNS0_4arch9wavefront6targetE0EEEvSD_.uses_vcc, 0
	.set _ZN7rocprim17ROCPRIM_400000_NS6detail17trampoline_kernelINS0_14default_configENS1_35radix_sort_onesweep_config_selectorIiNS0_10empty_typeEEEZNS1_34radix_sort_onesweep_global_offsetsIS3_Lb0EPKiPS5_mNS0_19identity_decomposerEEE10hipError_tT1_T2_PT3_SF_jT4_jjP12ihipStream_tbEUlT_E0_NS1_11comp_targetILNS1_3genE8ELNS1_11target_archE1030ELNS1_3gpuE2ELNS1_3repE0EEENS1_52radix_sort_onesweep_histogram_config_static_selectorELNS0_4arch9wavefront6targetE0EEEvSD_.uses_flat_scratch, 0
	.set _ZN7rocprim17ROCPRIM_400000_NS6detail17trampoline_kernelINS0_14default_configENS1_35radix_sort_onesweep_config_selectorIiNS0_10empty_typeEEEZNS1_34radix_sort_onesweep_global_offsetsIS3_Lb0EPKiPS5_mNS0_19identity_decomposerEEE10hipError_tT1_T2_PT3_SF_jT4_jjP12ihipStream_tbEUlT_E0_NS1_11comp_targetILNS1_3genE8ELNS1_11target_archE1030ELNS1_3gpuE2ELNS1_3repE0EEENS1_52radix_sort_onesweep_histogram_config_static_selectorELNS0_4arch9wavefront6targetE0EEEvSD_.has_dyn_sized_stack, 0
	.set _ZN7rocprim17ROCPRIM_400000_NS6detail17trampoline_kernelINS0_14default_configENS1_35radix_sort_onesweep_config_selectorIiNS0_10empty_typeEEEZNS1_34radix_sort_onesweep_global_offsetsIS3_Lb0EPKiPS5_mNS0_19identity_decomposerEEE10hipError_tT1_T2_PT3_SF_jT4_jjP12ihipStream_tbEUlT_E0_NS1_11comp_targetILNS1_3genE8ELNS1_11target_archE1030ELNS1_3gpuE2ELNS1_3repE0EEENS1_52radix_sort_onesweep_histogram_config_static_selectorELNS0_4arch9wavefront6targetE0EEEvSD_.has_recursion, 0
	.set _ZN7rocprim17ROCPRIM_400000_NS6detail17trampoline_kernelINS0_14default_configENS1_35radix_sort_onesweep_config_selectorIiNS0_10empty_typeEEEZNS1_34radix_sort_onesweep_global_offsetsIS3_Lb0EPKiPS5_mNS0_19identity_decomposerEEE10hipError_tT1_T2_PT3_SF_jT4_jjP12ihipStream_tbEUlT_E0_NS1_11comp_targetILNS1_3genE8ELNS1_11target_archE1030ELNS1_3gpuE2ELNS1_3repE0EEENS1_52radix_sort_onesweep_histogram_config_static_selectorELNS0_4arch9wavefront6targetE0EEEvSD_.has_indirect_call, 0
	.section	.AMDGPU.csdata,"",@progbits
; Kernel info:
; codeLenInByte = 0
; TotalNumSgprs: 0
; NumVgprs: 0
; ScratchSize: 0
; MemoryBound: 0
; FloatMode: 240
; IeeeMode: 1
; LDSByteSize: 0 bytes/workgroup (compile time only)
; SGPRBlocks: 0
; VGPRBlocks: 0
; NumSGPRsForWavesPerEU: 1
; NumVGPRsForWavesPerEU: 1
; NamedBarCnt: 0
; Occupancy: 16
; WaveLimiterHint : 0
; COMPUTE_PGM_RSRC2:SCRATCH_EN: 0
; COMPUTE_PGM_RSRC2:USER_SGPR: 2
; COMPUTE_PGM_RSRC2:TRAP_HANDLER: 0
; COMPUTE_PGM_RSRC2:TGID_X_EN: 1
; COMPUTE_PGM_RSRC2:TGID_Y_EN: 0
; COMPUTE_PGM_RSRC2:TGID_Z_EN: 0
; COMPUTE_PGM_RSRC2:TIDIG_COMP_CNT: 0
	.section	.text._ZN7rocprim17ROCPRIM_400000_NS6detail17trampoline_kernelINS0_14default_configENS1_35radix_sort_onesweep_config_selectorIiNS0_10empty_typeEEEZZNS1_29radix_sort_onesweep_iterationIS3_Lb0EPKiPiPS5_SB_mNS0_19identity_decomposerENS1_16block_id_wrapperIjLb1EEEEE10hipError_tT1_PNSt15iterator_traitsISG_E10value_typeET2_T3_PNSH_ISM_E10value_typeET4_T5_PSR_SS_PNS1_23onesweep_lookback_stateEbbT6_jjT7_P12ihipStream_tbENKUlT_T0_SG_SL_E_clIS9_SA_SB_SB_EEDaSZ_S10_SG_SL_EUlSZ_E_NS1_11comp_targetILNS1_3genE0ELNS1_11target_archE4294967295ELNS1_3gpuE0ELNS1_3repE0EEENS1_47radix_sort_onesweep_sort_config_static_selectorELNS0_4arch9wavefront6targetE0EEEvSG_,"axG",@progbits,_ZN7rocprim17ROCPRIM_400000_NS6detail17trampoline_kernelINS0_14default_configENS1_35radix_sort_onesweep_config_selectorIiNS0_10empty_typeEEEZZNS1_29radix_sort_onesweep_iterationIS3_Lb0EPKiPiPS5_SB_mNS0_19identity_decomposerENS1_16block_id_wrapperIjLb1EEEEE10hipError_tT1_PNSt15iterator_traitsISG_E10value_typeET2_T3_PNSH_ISM_E10value_typeET4_T5_PSR_SS_PNS1_23onesweep_lookback_stateEbbT6_jjT7_P12ihipStream_tbENKUlT_T0_SG_SL_E_clIS9_SA_SB_SB_EEDaSZ_S10_SG_SL_EUlSZ_E_NS1_11comp_targetILNS1_3genE0ELNS1_11target_archE4294967295ELNS1_3gpuE0ELNS1_3repE0EEENS1_47radix_sort_onesweep_sort_config_static_selectorELNS0_4arch9wavefront6targetE0EEEvSG_,comdat
	.protected	_ZN7rocprim17ROCPRIM_400000_NS6detail17trampoline_kernelINS0_14default_configENS1_35radix_sort_onesweep_config_selectorIiNS0_10empty_typeEEEZZNS1_29radix_sort_onesweep_iterationIS3_Lb0EPKiPiPS5_SB_mNS0_19identity_decomposerENS1_16block_id_wrapperIjLb1EEEEE10hipError_tT1_PNSt15iterator_traitsISG_E10value_typeET2_T3_PNSH_ISM_E10value_typeET4_T5_PSR_SS_PNS1_23onesweep_lookback_stateEbbT6_jjT7_P12ihipStream_tbENKUlT_T0_SG_SL_E_clIS9_SA_SB_SB_EEDaSZ_S10_SG_SL_EUlSZ_E_NS1_11comp_targetILNS1_3genE0ELNS1_11target_archE4294967295ELNS1_3gpuE0ELNS1_3repE0EEENS1_47radix_sort_onesweep_sort_config_static_selectorELNS0_4arch9wavefront6targetE0EEEvSG_ ; -- Begin function _ZN7rocprim17ROCPRIM_400000_NS6detail17trampoline_kernelINS0_14default_configENS1_35radix_sort_onesweep_config_selectorIiNS0_10empty_typeEEEZZNS1_29radix_sort_onesweep_iterationIS3_Lb0EPKiPiPS5_SB_mNS0_19identity_decomposerENS1_16block_id_wrapperIjLb1EEEEE10hipError_tT1_PNSt15iterator_traitsISG_E10value_typeET2_T3_PNSH_ISM_E10value_typeET4_T5_PSR_SS_PNS1_23onesweep_lookback_stateEbbT6_jjT7_P12ihipStream_tbENKUlT_T0_SG_SL_E_clIS9_SA_SB_SB_EEDaSZ_S10_SG_SL_EUlSZ_E_NS1_11comp_targetILNS1_3genE0ELNS1_11target_archE4294967295ELNS1_3gpuE0ELNS1_3repE0EEENS1_47radix_sort_onesweep_sort_config_static_selectorELNS0_4arch9wavefront6targetE0EEEvSG_
	.globl	_ZN7rocprim17ROCPRIM_400000_NS6detail17trampoline_kernelINS0_14default_configENS1_35radix_sort_onesweep_config_selectorIiNS0_10empty_typeEEEZZNS1_29radix_sort_onesweep_iterationIS3_Lb0EPKiPiPS5_SB_mNS0_19identity_decomposerENS1_16block_id_wrapperIjLb1EEEEE10hipError_tT1_PNSt15iterator_traitsISG_E10value_typeET2_T3_PNSH_ISM_E10value_typeET4_T5_PSR_SS_PNS1_23onesweep_lookback_stateEbbT6_jjT7_P12ihipStream_tbENKUlT_T0_SG_SL_E_clIS9_SA_SB_SB_EEDaSZ_S10_SG_SL_EUlSZ_E_NS1_11comp_targetILNS1_3genE0ELNS1_11target_archE4294967295ELNS1_3gpuE0ELNS1_3repE0EEENS1_47radix_sort_onesweep_sort_config_static_selectorELNS0_4arch9wavefront6targetE0EEEvSG_
	.p2align	8
	.type	_ZN7rocprim17ROCPRIM_400000_NS6detail17trampoline_kernelINS0_14default_configENS1_35radix_sort_onesweep_config_selectorIiNS0_10empty_typeEEEZZNS1_29radix_sort_onesweep_iterationIS3_Lb0EPKiPiPS5_SB_mNS0_19identity_decomposerENS1_16block_id_wrapperIjLb1EEEEE10hipError_tT1_PNSt15iterator_traitsISG_E10value_typeET2_T3_PNSH_ISM_E10value_typeET4_T5_PSR_SS_PNS1_23onesweep_lookback_stateEbbT6_jjT7_P12ihipStream_tbENKUlT_T0_SG_SL_E_clIS9_SA_SB_SB_EEDaSZ_S10_SG_SL_EUlSZ_E_NS1_11comp_targetILNS1_3genE0ELNS1_11target_archE4294967295ELNS1_3gpuE0ELNS1_3repE0EEENS1_47radix_sort_onesweep_sort_config_static_selectorELNS0_4arch9wavefront6targetE0EEEvSG_,@function
_ZN7rocprim17ROCPRIM_400000_NS6detail17trampoline_kernelINS0_14default_configENS1_35radix_sort_onesweep_config_selectorIiNS0_10empty_typeEEEZZNS1_29radix_sort_onesweep_iterationIS3_Lb0EPKiPiPS5_SB_mNS0_19identity_decomposerENS1_16block_id_wrapperIjLb1EEEEE10hipError_tT1_PNSt15iterator_traitsISG_E10value_typeET2_T3_PNSH_ISM_E10value_typeET4_T5_PSR_SS_PNS1_23onesweep_lookback_stateEbbT6_jjT7_P12ihipStream_tbENKUlT_T0_SG_SL_E_clIS9_SA_SB_SB_EEDaSZ_S10_SG_SL_EUlSZ_E_NS1_11comp_targetILNS1_3genE0ELNS1_11target_archE4294967295ELNS1_3gpuE0ELNS1_3repE0EEENS1_47radix_sort_onesweep_sort_config_static_selectorELNS0_4arch9wavefront6targetE0EEEvSG_: ; @_ZN7rocprim17ROCPRIM_400000_NS6detail17trampoline_kernelINS0_14default_configENS1_35radix_sort_onesweep_config_selectorIiNS0_10empty_typeEEEZZNS1_29radix_sort_onesweep_iterationIS3_Lb0EPKiPiPS5_SB_mNS0_19identity_decomposerENS1_16block_id_wrapperIjLb1EEEEE10hipError_tT1_PNSt15iterator_traitsISG_E10value_typeET2_T3_PNSH_ISM_E10value_typeET4_T5_PSR_SS_PNS1_23onesweep_lookback_stateEbbT6_jjT7_P12ihipStream_tbENKUlT_T0_SG_SL_E_clIS9_SA_SB_SB_EEDaSZ_S10_SG_SL_EUlSZ_E_NS1_11comp_targetILNS1_3genE0ELNS1_11target_archE4294967295ELNS1_3gpuE0ELNS1_3repE0EEENS1_47radix_sort_onesweep_sort_config_static_selectorELNS0_4arch9wavefront6targetE0EEEvSG_
; %bb.0:
	s_clause 0x1
	s_load_b128 s[8:11], s[0:1], 0x28
	s_load_b64 s[20:21], s[0:1], 0x38
	v_and_b32_e32 v14, 0x3ff, v0
	s_delay_alu instid0(VALU_DEP_1)
	v_cmp_eq_u32_e64 s2, 0, v14
	s_and_saveexec_b32 s3, s2
	s_cbranch_execz .LBB960_4
; %bb.1:
	s_mov_b32 s5, exec_lo
	s_mov_b32 s4, exec_lo
	v_mbcnt_lo_u32_b32 v1, s5, 0
                                        ; implicit-def: $vgpr2
	s_delay_alu instid0(VALU_DEP_1)
	v_cmpx_eq_u32_e32 0, v1
	s_cbranch_execz .LBB960_3
; %bb.2:
	s_load_b64 s[6:7], s[0:1], 0x50
	s_bcnt1_i32_b32 s5, s5
	s_delay_alu instid0(SALU_CYCLE_1)
	v_dual_mov_b32 v2, 0 :: v_dual_mov_b32 v3, s5
	s_wait_xcnt 0x0
	s_wait_kmcnt 0x0
	global_atomic_add_u32 v2, v2, v3, s[6:7] th:TH_ATOMIC_RETURN scope:SCOPE_DEV
.LBB960_3:
	s_wait_xcnt 0x0
	s_or_b32 exec_lo, exec_lo, s4
	s_wait_loadcnt 0x0
	v_readfirstlane_b32 s4, v2
	s_delay_alu instid0(VALU_DEP_1)
	v_dual_mov_b32 v2, 0 :: v_dual_add_nc_u32 v1, s4, v1
	ds_store_b32 v2, v1 offset:18496
.LBB960_4:
	s_or_b32 exec_lo, exec_lo, s3
	v_mov_b32_e32 v3, 0
	s_clause 0x2
	s_load_b128 s[12:15], s[0:1], 0x0
	s_load_b32 s3, s[0:1], 0x20
	s_load_b96 s[16:18], s[0:1], 0x44
	s_wait_dscnt 0x0
	s_barrier_signal -1
	s_barrier_wait -1
	ds_load_b32 v1, v3 offset:18496
	v_mbcnt_lo_u32_b32 v15, -1, 0
	v_and_b32_e32 v16, 0x3e0, v14
	s_mov_b32 s4, -1
	s_add_nc_u64 s[24:25], s[0:1], 0x58
	s_getreg_b32 s7, hwreg(HW_REG_IB_STS2, 6, 4)
	s_wait_dscnt 0x0
	s_barrier_signal -1
	s_barrier_wait -1
	s_wait_kmcnt 0x0
	v_cmp_le_u32_e32 vcc_lo, s18, v1
	v_readfirstlane_b32 s19, v1
	s_mul_i32 s22, s19, 0x1800
	s_cbranch_vccz .LBB960_94
; %bb.5:
	s_mov_b32 s23, 0
	v_mul_u32_u24_e32 v1, 12, v16
	v_lshlrev_b32_e32 v2, 2, v15
	s_lshl_b64 s[4:5], s[22:23], 2
	v_mov_b32_e32 v17, -1
	s_add_nc_u64 s[4:5], s[12:13], s[4:5]
	v_or_b32_e32 v4, v15, v1
	v_add_nc_u64_e32 v[6:7], s[4:5], v[2:3]
	v_dual_mov_b32 v1, -1 :: v_dual_lshlrev_b32 v2, 2, v1
	s_mulk_i32 s18, 0xe800
	s_delay_alu instid0(SALU_CYCLE_1) | instskip(SKIP_1) | instid1(VALU_DEP_1)
	s_add_co_i32 s18, s18, s3
	s_mov_b32 s3, exec_lo
	v_add_nc_u64_e32 v[2:3], v[6:7], v[2:3]
	v_cmpx_gt_u32_e64 s18, v4
	s_cbranch_execz .LBB960_7
; %bb.6:
	global_load_b32 v5, v[2:3], off
	s_wait_loadcnt 0x0
	v_xor_b32_e32 v17, 0x80000000, v5
.LBB960_7:
	s_or_b32 exec_lo, exec_lo, s3
	v_or_b32_e32 v5, 32, v4
	s_mov_b32 s3, exec_lo
	s_delay_alu instid0(VALU_DEP_1)
	v_cmpx_gt_u32_e64 s18, v5
	s_cbranch_execz .LBB960_9
; %bb.8:
	global_load_b32 v1, v[2:3], off offset:128
	s_wait_loadcnt 0x0
	v_xor_b32_e32 v1, 0x80000000, v1
.LBB960_9:
	s_or_b32 exec_lo, exec_lo, s3
	v_dual_mov_b32 v18, -1 :: v_dual_bitop2_b32 v5, 64, v4 bitop3:0x54
	v_mov_b32_e32 v19, -1
	s_mov_b32 s3, exec_lo
	s_delay_alu instid0(VALU_DEP_2)
	v_cmpx_gt_u32_e64 s18, v5
	s_cbranch_execz .LBB960_11
; %bb.10:
	global_load_b32 v5, v[2:3], off offset:256
	s_wait_loadcnt 0x0
	v_xor_b32_e32 v19, 0x80000000, v5
.LBB960_11:
	s_or_b32 exec_lo, exec_lo, s3
	v_or_b32_e32 v5, 0x60, v4
	s_mov_b32 s3, exec_lo
	s_delay_alu instid0(VALU_DEP_1)
	v_cmpx_gt_u32_e64 s18, v5
	s_cbranch_execz .LBB960_13
; %bb.12:
	global_load_b32 v5, v[2:3], off offset:384
	s_wait_loadcnt 0x0
	v_xor_b32_e32 v18, 0x80000000, v5
.LBB960_13:
	s_or_b32 exec_lo, exec_lo, s3
	v_dual_mov_b32 v20, -1 :: v_dual_add_nc_u32 v5, 0x80, v4
	v_mov_b32_e32 v21, -1
	s_mov_b32 s3, exec_lo
	s_delay_alu instid0(VALU_DEP_2)
	v_cmpx_gt_u32_e64 s18, v5
	s_cbranch_execz .LBB960_15
; %bb.14:
	global_load_b32 v5, v[2:3], off offset:512
	s_wait_loadcnt 0x0
	v_xor_b32_e32 v21, 0x80000000, v5
.LBB960_15:
	s_or_b32 exec_lo, exec_lo, s3
	v_add_nc_u32_e32 v5, 0xa0, v4
	s_mov_b32 s3, exec_lo
	s_delay_alu instid0(VALU_DEP_1)
	v_cmpx_gt_u32_e64 s18, v5
	s_cbranch_execz .LBB960_17
; %bb.16:
	global_load_b32 v5, v[2:3], off offset:640
	s_wait_loadcnt 0x0
	v_xor_b32_e32 v20, 0x80000000, v5
.LBB960_17:
	s_or_b32 exec_lo, exec_lo, s3
	v_dual_mov_b32 v22, -1 :: v_dual_add_nc_u32 v5, 0xc0, v4
	v_mov_b32_e32 v23, -1
	s_mov_b32 s3, exec_lo
	s_delay_alu instid0(VALU_DEP_2)
	v_cmpx_gt_u32_e64 s18, v5
	s_cbranch_execz .LBB960_19
; %bb.18:
	global_load_b32 v5, v[2:3], off offset:768
	s_wait_loadcnt 0x0
	v_xor_b32_e32 v23, 0x80000000, v5
.LBB960_19:
	s_or_b32 exec_lo, exec_lo, s3
	v_add_nc_u32_e32 v5, 0xe0, v4
	;; [unrolled: 23-line block ×4, first 2 shown]
	s_mov_b32 s3, exec_lo
	s_delay_alu instid0(VALU_DEP_1)
	v_cmpx_gt_u32_e64 s18, v4
	s_cbranch_execz .LBB960_29
; %bb.28:
	global_load_b32 v2, v[2:3], off offset:1408
	s_wait_loadcnt 0x0
	v_xor_b32_e32 v26, 0x80000000, v2
.LBB960_29:
	s_or_b32 exec_lo, exec_lo, s3
	s_clause 0x1
	s_load_b32 s23, s[0:1], 0x58
	s_load_u16 s3, s[0:1], 0x66
	s_bfe_u32 s4, ttmp6, 0x4000c
	s_and_b32 s5, ttmp6, 15
	s_add_co_i32 s4, s4, 1
	v_bfe_u32 v2, v0, 10, 10
	s_mul_i32 s4, ttmp9, s4
	v_bfe_u32 v3, v0, 20, 10
	s_add_co_i32 s5, s5, s4
	s_cmp_eq_u32 s7, 0
	v_lshrrev_b32_e32 v4, s16, v17
	s_cselect_b32 s4, ttmp9, s5
	s_mov_b32 s5, 0
	s_wait_kmcnt 0x0
	s_cmp_lt_u32 s4, s23
	v_mad_u32_u24 v2, v3, s3, v2
	s_cselect_b32 s4, 12, 18
	s_lshl_b32 s26, -1, s17
	s_add_nc_u64 s[4:5], s[24:25], s[4:5]
	v_bitop3_b32 v3, v4, 1, s26 bitop3:0x40
	s_load_u16 s27, s[4:5], 0x0
	s_delay_alu instid0(VALU_DEP_1) | instskip(NEXT) | instid1(VALU_DEP_1)
	v_add_co_u32 v3, s3, v3, -1
	v_cndmask_b32_e64 v5, 0, 1, s3
	s_delay_alu instid0(VALU_DEP_1) | instskip(NEXT) | instid1(VALU_DEP_3)
	v_cmp_ne_u32_e32 vcc_lo, 0, v5
	v_xor_b32_e32 v3, vcc_lo, v3
	v_bitop3_b32 v4, v4, s26, v4 bitop3:0x30
	s_not_b32 s26, s26
	s_wait_kmcnt 0x0
	v_mad_u32 v2, v2, s27, v14
	s_delay_alu instid0(VALU_DEP_2) | instskip(SKIP_2) | instid1(VALU_DEP_3)
	v_dual_lshlrev_b32 v6, 30, v4 :: v_dual_lshlrev_b32 v7, 29, v4
	v_dual_lshlrev_b32 v8, 28, v4 :: v_dual_lshlrev_b32 v9, 27, v4
	;; [unrolled: 1-line block ×3, first 2 shown]
	v_not_b32_e32 v5, v6
	v_lshlrev_b32_e32 v12, 24, v4
	v_cmp_gt_i32_e64 s3, 0, v6
	v_cmp_gt_i32_e64 s4, 0, v7
	v_not_b32_e32 v6, v7
	v_not_b32_e32 v7, v8
	v_ashrrev_i32_e32 v5, 31, v5
	v_cmp_gt_i32_e64 s5, 0, v8
	v_cmp_gt_i32_e64 s6, 0, v9
	s_delay_alu instid0(VALU_DEP_4) | instskip(NEXT) | instid1(VALU_DEP_4)
	v_dual_ashrrev_i32 v6, 31, v6 :: v_dual_ashrrev_i32 v7, 31, v7
	v_xor_b32_e32 v5, s3, v5
	v_not_b32_e32 v8, v9
	v_not_b32_e32 v9, v10
	s_delay_alu instid0(VALU_DEP_4)
	v_xor_b32_e32 v6, s4, v6
	v_xor_b32_e32 v7, s5, v7
	v_bitop3_b32 v3, v3, v5, exec_lo bitop3:0x80
	v_cmp_gt_i32_e32 vcc_lo, 0, v10
	v_dual_ashrrev_i32 v5, 31, v8 :: v_dual_ashrrev_i32 v8, 31, v9
	v_not_b32_e32 v9, v11
	s_delay_alu instid0(VALU_DEP_4) | instskip(SKIP_1) | instid1(VALU_DEP_4)
	v_bitop3_b32 v3, v3, v7, v6 bitop3:0x80
	v_not_b32_e32 v6, v12
	v_dual_lshrrev_b32 v2, 5, v2 :: v_dual_bitop2_b32 v5, s6, v5 bitop3:0x14
	s_delay_alu instid0(VALU_DEP_4) | instskip(SKIP_3) | instid1(VALU_DEP_4)
	v_dual_ashrrev_i32 v8, 31, v9 :: v_dual_bitop2_b32 v7, vcc_lo, v8 bitop3:0x14
	v_cmp_gt_i32_e32 vcc_lo, 0, v11
	v_cmp_gt_i32_e64 s3, 0, v12
	v_ashrrev_i32_e32 v6, 31, v6
	v_bitop3_b32 v3, v3, v7, v5 bitop3:0x80
	v_dual_mov_b32 v7, 0 :: v_dual_bitop2_b32 v5, vcc_lo, v8 bitop3:0x14
	v_lshlrev_b32_e32 v2, 2, v2
	s_delay_alu instid0(VALU_DEP_4)
	v_xor_b32_e32 v6, s3, v6
	v_mul_u32_u24_e32 v10, 36, v14
	ds_store_2addr_b32 v10, v7, v7 offset0:16 offset1:17
	ds_store_2addr_b32 v10, v7, v7 offset0:18 offset1:19
	;; [unrolled: 1-line block ×4, first 2 shown]
	v_bitop3_b32 v3, v3, v6, v5 bitop3:0x80
	v_mad_u32 v11, 0x44, v4, v2
	ds_store_b32 v10, v7 offset:96
	s_wait_dscnt 0x0
	s_barrier_signal -1
	v_mbcnt_lo_u32_b32 v28, v3, 0
	v_cmp_ne_u32_e64 s3, 0, v3
	s_barrier_wait -1
	s_delay_alu instid0(VALU_DEP_2) | instskip(SKIP_1) | instid1(SALU_CYCLE_1)
	v_cmp_eq_u32_e32 vcc_lo, 0, v28
	; wave barrier
	s_and_b32 s4, s3, vcc_lo
	s_and_saveexec_b32 s3, s4
; %bb.30:
	v_bcnt_u32_b32 v3, v3, 0
	ds_store_b32 v11, v3 offset:64
; %bb.31:
	s_or_b32 exec_lo, exec_lo, s3
	v_lshrrev_b32_e32 v3, s16, v1
	; wave barrier
	s_delay_alu instid0(VALU_DEP_1) | instskip(NEXT) | instid1(VALU_DEP_1)
	v_and_b32_e32 v4, s26, v3
	v_lshlrev_b32_e32 v6, 30, v4
	v_bitop3_b32 v3, v3, 1, s26 bitop3:0x80
	s_delay_alu instid0(VALU_DEP_1) | instskip(NEXT) | instid1(VALU_DEP_1)
	v_add_co_u32 v3, s3, v3, -1
	v_cndmask_b32_e64 v5, 0, 1, s3
	s_delay_alu instid0(VALU_DEP_4) | instskip(NEXT) | instid1(VALU_DEP_2)
	v_cmp_gt_i32_e64 s3, 0, v6
	v_cmp_ne_u32_e32 vcc_lo, 0, v5
	v_not_b32_e32 v5, v6
	s_delay_alu instid0(VALU_DEP_1) | instskip(SKIP_3) | instid1(VALU_DEP_4)
	v_dual_ashrrev_i32 v5, 31, v5 :: v_dual_lshlrev_b32 v7, 29, v4
	v_dual_lshlrev_b32 v8, 28, v4 :: v_dual_lshlrev_b32 v9, 27, v4
	v_lshlrev_b32_e32 v13, 26, v4
	v_mad_u32 v12, 0x44, v4, v2
	v_cmp_gt_i32_e64 s4, 0, v7
	v_not_b32_e32 v6, v7
	v_not_b32_e32 v7, v8
	v_cmp_gt_i32_e64 s5, 0, v8
	v_xor_b32_e32 v3, vcc_lo, v3
	s_delay_alu instid0(VALU_DEP_4) | instskip(NEXT) | instid1(VALU_DEP_4)
	v_dual_ashrrev_i32 v6, 31, v6 :: v_dual_bitop2_b32 v5, s3, v5 bitop3:0x14
	v_dual_ashrrev_i32 v7, 31, v7 :: v_dual_lshlrev_b32 v29, 25, v4
	v_lshlrev_b32_e32 v4, 24, v4
	v_not_b32_e32 v8, v9
	v_not_b32_e32 v30, v13
	v_xor_b32_e32 v6, s4, v6
	v_xor_b32_e32 v7, s5, v7
	v_bitop3_b32 v3, v3, v5, exec_lo bitop3:0x80
	v_cmp_gt_i32_e32 vcc_lo, 0, v9
	v_ashrrev_i32_e32 v5, 31, v8
	v_cmp_gt_i32_e64 s3, 0, v13
	v_ashrrev_i32_e32 v8, 31, v30
	v_bitop3_b32 v3, v3, v7, v6 bitop3:0x80
	v_not_b32_e32 v6, v29
	v_not_b32_e32 v7, v4
	v_xor_b32_e32 v5, vcc_lo, v5
	v_xor_b32_e32 v8, s3, v8
	v_cmp_gt_i32_e32 vcc_lo, 0, v29
	v_ashrrev_i32_e32 v6, 31, v6
	v_cmp_gt_i32_e64 s3, 0, v4
	v_ashrrev_i32_e32 v4, 31, v7
	v_bitop3_b32 v3, v3, v8, v5 bitop3:0x80
	ds_load_b32 v29, v12 offset:64
	v_xor_b32_e32 v5, vcc_lo, v6
	v_xor_b32_e32 v4, s3, v4
	; wave barrier
	s_delay_alu instid0(VALU_DEP_1) | instskip(NEXT) | instid1(VALU_DEP_1)
	v_bitop3_b32 v3, v3, v4, v5 bitop3:0x80
	v_mbcnt_lo_u32_b32 v30, v3, 0
	v_cmp_ne_u32_e64 s3, 0, v3
	s_delay_alu instid0(VALU_DEP_2) | instskip(SKIP_1) | instid1(SALU_CYCLE_1)
	v_cmp_eq_u32_e32 vcc_lo, 0, v30
	s_and_b32 s4, s3, vcc_lo
	s_and_saveexec_b32 s3, s4
	s_cbranch_execz .LBB960_33
; %bb.32:
	s_wait_dscnt 0x0
	v_bcnt_u32_b32 v3, v3, v29
	ds_store_b32 v12, v3 offset:64
.LBB960_33:
	s_or_b32 exec_lo, exec_lo, s3
	v_lshrrev_b32_e32 v3, s16, v19
	; wave barrier
	s_delay_alu instid0(VALU_DEP_1) | instskip(NEXT) | instid1(VALU_DEP_1)
	v_and_b32_e32 v4, s26, v3
	v_lshlrev_b32_e32 v6, 30, v4
	v_bitop3_b32 v3, v3, 1, s26 bitop3:0x80
	s_delay_alu instid0(VALU_DEP_1) | instskip(NEXT) | instid1(VALU_DEP_1)
	v_add_co_u32 v3, s3, v3, -1
	v_cndmask_b32_e64 v5, 0, 1, s3
	s_delay_alu instid0(VALU_DEP_4) | instskip(NEXT) | instid1(VALU_DEP_2)
	v_cmp_gt_i32_e64 s3, 0, v6
	v_cmp_ne_u32_e32 vcc_lo, 0, v5
	v_not_b32_e32 v5, v6
	s_delay_alu instid0(VALU_DEP_1) | instskip(SKIP_3) | instid1(VALU_DEP_4)
	v_dual_ashrrev_i32 v5, 31, v5 :: v_dual_lshlrev_b32 v7, 29, v4
	v_dual_lshlrev_b32 v8, 28, v4 :: v_dual_lshlrev_b32 v9, 27, v4
	v_lshlrev_b32_e32 v31, 26, v4
	v_mad_u32 v13, 0x44, v4, v2
	v_cmp_gt_i32_e64 s4, 0, v7
	v_not_b32_e32 v6, v7
	v_not_b32_e32 v7, v8
	v_cmp_gt_i32_e64 s5, 0, v8
	v_xor_b32_e32 v3, vcc_lo, v3
	s_delay_alu instid0(VALU_DEP_4) | instskip(NEXT) | instid1(VALU_DEP_4)
	v_dual_ashrrev_i32 v6, 31, v6 :: v_dual_bitop2_b32 v5, s3, v5 bitop3:0x14
	v_dual_ashrrev_i32 v7, 31, v7 :: v_dual_lshlrev_b32 v32, 25, v4
	v_lshlrev_b32_e32 v4, 24, v4
	v_not_b32_e32 v8, v9
	v_not_b32_e32 v33, v31
	v_xor_b32_e32 v6, s4, v6
	v_xor_b32_e32 v7, s5, v7
	v_bitop3_b32 v3, v3, v5, exec_lo bitop3:0x80
	v_cmp_gt_i32_e32 vcc_lo, 0, v9
	v_ashrrev_i32_e32 v5, 31, v8
	v_cmp_gt_i32_e64 s3, 0, v31
	v_ashrrev_i32_e32 v8, 31, v33
	v_bitop3_b32 v3, v3, v7, v6 bitop3:0x80
	v_not_b32_e32 v6, v32
	v_not_b32_e32 v7, v4
	v_xor_b32_e32 v5, vcc_lo, v5
	v_xor_b32_e32 v8, s3, v8
	v_cmp_gt_i32_e32 vcc_lo, 0, v32
	v_ashrrev_i32_e32 v6, 31, v6
	v_cmp_gt_i32_e64 s3, 0, v4
	v_ashrrev_i32_e32 v4, 31, v7
	v_bitop3_b32 v3, v3, v8, v5 bitop3:0x80
	ds_load_b32 v31, v13 offset:64
	v_xor_b32_e32 v5, vcc_lo, v6
	v_xor_b32_e32 v4, s3, v4
	; wave barrier
	s_delay_alu instid0(VALU_DEP_1) | instskip(NEXT) | instid1(VALU_DEP_1)
	v_bitop3_b32 v3, v3, v4, v5 bitop3:0x80
	v_mbcnt_lo_u32_b32 v32, v3, 0
	v_cmp_ne_u32_e64 s3, 0, v3
	s_delay_alu instid0(VALU_DEP_2) | instskip(SKIP_1) | instid1(SALU_CYCLE_1)
	v_cmp_eq_u32_e32 vcc_lo, 0, v32
	s_and_b32 s4, s3, vcc_lo
	s_and_saveexec_b32 s3, s4
	s_cbranch_execz .LBB960_35
; %bb.34:
	s_wait_dscnt 0x0
	v_bcnt_u32_b32 v3, v3, v31
	ds_store_b32 v13, v3 offset:64
.LBB960_35:
	s_or_b32 exec_lo, exec_lo, s3
	v_lshrrev_b32_e32 v3, s16, v18
	; wave barrier
	s_delay_alu instid0(VALU_DEP_1) | instskip(NEXT) | instid1(VALU_DEP_1)
	v_and_b32_e32 v4, s26, v3
	v_lshlrev_b32_e32 v6, 30, v4
	v_bitop3_b32 v3, v3, 1, s26 bitop3:0x80
	s_delay_alu instid0(VALU_DEP_1) | instskip(NEXT) | instid1(VALU_DEP_1)
	v_add_co_u32 v3, s3, v3, -1
	v_cndmask_b32_e64 v5, 0, 1, s3
	s_delay_alu instid0(VALU_DEP_4) | instskip(NEXT) | instid1(VALU_DEP_2)
	v_cmp_gt_i32_e64 s3, 0, v6
	v_cmp_ne_u32_e32 vcc_lo, 0, v5
	v_not_b32_e32 v5, v6
	s_delay_alu instid0(VALU_DEP_1) | instskip(SKIP_3) | instid1(VALU_DEP_4)
	v_dual_ashrrev_i32 v5, 31, v5 :: v_dual_lshlrev_b32 v7, 29, v4
	v_dual_lshlrev_b32 v8, 28, v4 :: v_dual_lshlrev_b32 v9, 27, v4
	v_lshlrev_b32_e32 v33, 26, v4
	v_mad_u32 v37, 0x44, v4, v2
	v_cmp_gt_i32_e64 s4, 0, v7
	v_not_b32_e32 v6, v7
	v_not_b32_e32 v7, v8
	v_cmp_gt_i32_e64 s5, 0, v8
	v_xor_b32_e32 v3, vcc_lo, v3
	s_delay_alu instid0(VALU_DEP_4) | instskip(NEXT) | instid1(VALU_DEP_4)
	v_dual_ashrrev_i32 v6, 31, v6 :: v_dual_bitop2_b32 v5, s3, v5 bitop3:0x14
	v_dual_ashrrev_i32 v7, 31, v7 :: v_dual_lshlrev_b32 v34, 25, v4
	v_lshlrev_b32_e32 v4, 24, v4
	v_not_b32_e32 v8, v9
	v_not_b32_e32 v35, v33
	v_xor_b32_e32 v6, s4, v6
	v_xor_b32_e32 v7, s5, v7
	v_bitop3_b32 v3, v3, v5, exec_lo bitop3:0x80
	v_cmp_gt_i32_e32 vcc_lo, 0, v9
	v_ashrrev_i32_e32 v5, 31, v8
	v_cmp_gt_i32_e64 s3, 0, v33
	v_ashrrev_i32_e32 v8, 31, v35
	v_bitop3_b32 v3, v3, v7, v6 bitop3:0x80
	v_not_b32_e32 v6, v34
	v_not_b32_e32 v7, v4
	v_xor_b32_e32 v5, vcc_lo, v5
	v_xor_b32_e32 v8, s3, v8
	v_cmp_gt_i32_e32 vcc_lo, 0, v34
	v_ashrrev_i32_e32 v6, 31, v6
	v_cmp_gt_i32_e64 s3, 0, v4
	v_ashrrev_i32_e32 v4, 31, v7
	v_bitop3_b32 v3, v3, v8, v5 bitop3:0x80
	ds_load_b32 v33, v37 offset:64
	v_xor_b32_e32 v5, vcc_lo, v6
	v_xor_b32_e32 v4, s3, v4
	; wave barrier
	s_delay_alu instid0(VALU_DEP_1) | instskip(NEXT) | instid1(VALU_DEP_1)
	v_bitop3_b32 v3, v3, v4, v5 bitop3:0x80
	v_mbcnt_lo_u32_b32 v34, v3, 0
	v_cmp_ne_u32_e64 s3, 0, v3
	s_delay_alu instid0(VALU_DEP_2) | instskip(SKIP_1) | instid1(SALU_CYCLE_1)
	v_cmp_eq_u32_e32 vcc_lo, 0, v34
	s_and_b32 s4, s3, vcc_lo
	s_and_saveexec_b32 s3, s4
	s_cbranch_execz .LBB960_37
; %bb.36:
	s_wait_dscnt 0x0
	v_bcnt_u32_b32 v3, v3, v33
	ds_store_b32 v37, v3 offset:64
.LBB960_37:
	s_or_b32 exec_lo, exec_lo, s3
	v_lshrrev_b32_e32 v3, s16, v21
	; wave barrier
	s_delay_alu instid0(VALU_DEP_1) | instskip(NEXT) | instid1(VALU_DEP_1)
	v_and_b32_e32 v4, s26, v3
	v_lshlrev_b32_e32 v6, 30, v4
	v_bitop3_b32 v3, v3, 1, s26 bitop3:0x80
	s_delay_alu instid0(VALU_DEP_1) | instskip(NEXT) | instid1(VALU_DEP_1)
	v_add_co_u32 v3, s3, v3, -1
	v_cndmask_b32_e64 v5, 0, 1, s3
	s_delay_alu instid0(VALU_DEP_4) | instskip(NEXT) | instid1(VALU_DEP_2)
	v_cmp_gt_i32_e64 s3, 0, v6
	v_cmp_ne_u32_e32 vcc_lo, 0, v5
	v_not_b32_e32 v5, v6
	s_delay_alu instid0(VALU_DEP_1) | instskip(SKIP_3) | instid1(VALU_DEP_4)
	v_dual_ashrrev_i32 v5, 31, v5 :: v_dual_lshlrev_b32 v7, 29, v4
	v_dual_lshlrev_b32 v8, 28, v4 :: v_dual_lshlrev_b32 v9, 27, v4
	v_lshlrev_b32_e32 v35, 26, v4
	v_mad_u32 v40, 0x44, v4, v2
	v_cmp_gt_i32_e64 s4, 0, v7
	v_not_b32_e32 v6, v7
	v_not_b32_e32 v7, v8
	v_cmp_gt_i32_e64 s5, 0, v8
	v_xor_b32_e32 v3, vcc_lo, v3
	s_delay_alu instid0(VALU_DEP_4) | instskip(NEXT) | instid1(VALU_DEP_4)
	v_dual_ashrrev_i32 v6, 31, v6 :: v_dual_bitop2_b32 v5, s3, v5 bitop3:0x14
	v_dual_ashrrev_i32 v7, 31, v7 :: v_dual_lshlrev_b32 v36, 25, v4
	v_lshlrev_b32_e32 v4, 24, v4
	v_not_b32_e32 v8, v9
	v_not_b32_e32 v38, v35
	v_xor_b32_e32 v6, s4, v6
	v_xor_b32_e32 v7, s5, v7
	v_bitop3_b32 v3, v3, v5, exec_lo bitop3:0x80
	v_cmp_gt_i32_e32 vcc_lo, 0, v9
	v_ashrrev_i32_e32 v5, 31, v8
	v_cmp_gt_i32_e64 s3, 0, v35
	v_ashrrev_i32_e32 v8, 31, v38
	v_bitop3_b32 v3, v3, v7, v6 bitop3:0x80
	v_not_b32_e32 v6, v36
	v_not_b32_e32 v7, v4
	v_xor_b32_e32 v5, vcc_lo, v5
	v_xor_b32_e32 v8, s3, v8
	v_cmp_gt_i32_e32 vcc_lo, 0, v36
	v_ashrrev_i32_e32 v6, 31, v6
	v_cmp_gt_i32_e64 s3, 0, v4
	v_ashrrev_i32_e32 v4, 31, v7
	v_bitop3_b32 v3, v3, v8, v5 bitop3:0x80
	ds_load_b32 v35, v40 offset:64
	v_xor_b32_e32 v5, vcc_lo, v6
	v_xor_b32_e32 v4, s3, v4
	; wave barrier
	s_delay_alu instid0(VALU_DEP_1) | instskip(NEXT) | instid1(VALU_DEP_1)
	v_bitop3_b32 v3, v3, v4, v5 bitop3:0x80
	v_mbcnt_lo_u32_b32 v36, v3, 0
	v_cmp_ne_u32_e64 s3, 0, v3
	s_delay_alu instid0(VALU_DEP_2) | instskip(SKIP_1) | instid1(SALU_CYCLE_1)
	v_cmp_eq_u32_e32 vcc_lo, 0, v36
	s_and_b32 s4, s3, vcc_lo
	s_and_saveexec_b32 s3, s4
	s_cbranch_execz .LBB960_39
; %bb.38:
	s_wait_dscnt 0x0
	v_bcnt_u32_b32 v3, v3, v35
	ds_store_b32 v40, v3 offset:64
.LBB960_39:
	s_or_b32 exec_lo, exec_lo, s3
	v_lshrrev_b32_e32 v3, s16, v20
	; wave barrier
	s_delay_alu instid0(VALU_DEP_1) | instskip(SKIP_1) | instid1(VALU_DEP_2)
	v_and_b32_e32 v4, s26, v3
	v_bitop3_b32 v3, v3, 1, s26 bitop3:0x80
	v_dual_lshlrev_b32 v6, 30, v4 :: v_dual_lshlrev_b32 v7, 29, v4
	s_delay_alu instid0(VALU_DEP_2) | instskip(NEXT) | instid1(VALU_DEP_1)
	v_add_co_u32 v3, s3, v3, -1
	v_cndmask_b32_e64 v5, 0, 1, s3
	s_delay_alu instid0(VALU_DEP_3) | instskip(NEXT) | instid1(VALU_DEP_4)
	v_cmp_gt_i32_e64 s3, 0, v6
	v_cmp_gt_i32_e64 s4, 0, v7
	s_delay_alu instid0(VALU_DEP_3) | instskip(SKIP_2) | instid1(VALU_DEP_2)
	v_cmp_ne_u32_e32 vcc_lo, 0, v5
	v_not_b32_e32 v5, v6
	v_not_b32_e32 v6, v7
	v_dual_ashrrev_i32 v5, 31, v5 :: v_dual_bitop2_b32 v3, vcc_lo, v3 bitop3:0x14
	s_delay_alu instid0(VALU_DEP_2) | instskip(SKIP_3) | instid1(VALU_DEP_4)
	v_dual_ashrrev_i32 v6, 31, v6 :: v_dual_lshlrev_b32 v8, 28, v4
	v_lshlrev_b32_e32 v9, 27, v4
	v_mad_u32 v43, 0x44, v4, v2
	v_dual_lshlrev_b32 v38, 26, v4 :: v_dual_lshlrev_b32 v39, 25, v4
	v_not_b32_e32 v7, v8
	v_lshlrev_b32_e32 v4, 24, v4
	v_cmp_gt_i32_e64 s5, 0, v8
	v_xor_b32_e32 v5, s3, v5
	v_not_b32_e32 v8, v9
	v_ashrrev_i32_e32 v7, 31, v7
	v_not_b32_e32 v41, v38
	v_xor_b32_e32 v6, s4, v6
	v_bitop3_b32 v3, v3, v5, exec_lo bitop3:0x80
	v_cmp_gt_i32_e32 vcc_lo, 0, v9
	v_dual_ashrrev_i32 v5, 31, v8 :: v_dual_bitop2_b32 v7, s5, v7 bitop3:0x14
	v_cmp_gt_i32_e64 s3, 0, v38
	v_ashrrev_i32_e32 v8, 31, v41
	ds_load_b32 v38, v43 offset:64
	v_bitop3_b32 v3, v3, v7, v6 bitop3:0x80
	v_not_b32_e32 v6, v39
	v_not_b32_e32 v7, v4
	v_xor_b32_e32 v5, vcc_lo, v5
	v_xor_b32_e32 v8, s3, v8
	v_cmp_gt_i32_e32 vcc_lo, 0, v39
	v_ashrrev_i32_e32 v6, 31, v6
	v_cmp_gt_i32_e64 s3, 0, v4
	v_ashrrev_i32_e32 v4, 31, v7
	v_bitop3_b32 v3, v3, v8, v5 bitop3:0x80
	s_delay_alu instid0(VALU_DEP_4) | instskip(NEXT) | instid1(VALU_DEP_3)
	v_xor_b32_e32 v5, vcc_lo, v6
	; wave barrier
	v_xor_b32_e32 v4, s3, v4
	s_delay_alu instid0(VALU_DEP_1) | instskip(NEXT) | instid1(VALU_DEP_1)
	v_bitop3_b32 v3, v3, v4, v5 bitop3:0x80
	v_mbcnt_lo_u32_b32 v39, v3, 0
	v_cmp_ne_u32_e64 s3, 0, v3
	s_delay_alu instid0(VALU_DEP_2) | instskip(SKIP_1) | instid1(SALU_CYCLE_1)
	v_cmp_eq_u32_e32 vcc_lo, 0, v39
	s_and_b32 s4, s3, vcc_lo
	s_and_saveexec_b32 s3, s4
	s_cbranch_execz .LBB960_41
; %bb.40:
	s_wait_dscnt 0x0
	v_bcnt_u32_b32 v3, v3, v38
	ds_store_b32 v43, v3 offset:64
.LBB960_41:
	s_or_b32 exec_lo, exec_lo, s3
	v_lshrrev_b32_e32 v3, s16, v23
	; wave barrier
	s_delay_alu instid0(VALU_DEP_1) | instskip(NEXT) | instid1(VALU_DEP_1)
	v_and_b32_e32 v4, s26, v3
	v_lshlrev_b32_e32 v6, 30, v4
	v_bitop3_b32 v3, v3, 1, s26 bitop3:0x80
	s_delay_alu instid0(VALU_DEP_1) | instskip(NEXT) | instid1(VALU_DEP_1)
	v_add_co_u32 v3, s3, v3, -1
	v_cndmask_b32_e64 v5, 0, 1, s3
	s_delay_alu instid0(VALU_DEP_4) | instskip(NEXT) | instid1(VALU_DEP_2)
	v_cmp_gt_i32_e64 s3, 0, v6
	v_cmp_ne_u32_e32 vcc_lo, 0, v5
	v_not_b32_e32 v5, v6
	s_delay_alu instid0(VALU_DEP_1) | instskip(SKIP_3) | instid1(VALU_DEP_4)
	v_dual_ashrrev_i32 v5, 31, v5 :: v_dual_lshlrev_b32 v7, 29, v4
	v_dual_lshlrev_b32 v8, 28, v4 :: v_dual_lshlrev_b32 v9, 27, v4
	v_lshlrev_b32_e32 v41, 26, v4
	v_mad_u32 v46, 0x44, v4, v2
	v_cmp_gt_i32_e64 s4, 0, v7
	v_not_b32_e32 v6, v7
	v_not_b32_e32 v7, v8
	v_cmp_gt_i32_e64 s5, 0, v8
	v_xor_b32_e32 v3, vcc_lo, v3
	s_delay_alu instid0(VALU_DEP_4) | instskip(NEXT) | instid1(VALU_DEP_4)
	v_dual_ashrrev_i32 v6, 31, v6 :: v_dual_bitop2_b32 v5, s3, v5 bitop3:0x14
	v_dual_ashrrev_i32 v7, 31, v7 :: v_dual_lshlrev_b32 v42, 25, v4
	v_lshlrev_b32_e32 v4, 24, v4
	v_not_b32_e32 v8, v9
	v_not_b32_e32 v44, v41
	v_xor_b32_e32 v6, s4, v6
	v_xor_b32_e32 v7, s5, v7
	v_bitop3_b32 v3, v3, v5, exec_lo bitop3:0x80
	v_cmp_gt_i32_e32 vcc_lo, 0, v9
	v_ashrrev_i32_e32 v5, 31, v8
	v_cmp_gt_i32_e64 s3, 0, v41
	v_ashrrev_i32_e32 v8, 31, v44
	v_bitop3_b32 v3, v3, v7, v6 bitop3:0x80
	v_not_b32_e32 v6, v42
	v_not_b32_e32 v7, v4
	v_xor_b32_e32 v5, vcc_lo, v5
	v_xor_b32_e32 v8, s3, v8
	v_cmp_gt_i32_e32 vcc_lo, 0, v42
	v_ashrrev_i32_e32 v6, 31, v6
	v_cmp_gt_i32_e64 s3, 0, v4
	v_ashrrev_i32_e32 v4, 31, v7
	v_bitop3_b32 v3, v3, v8, v5 bitop3:0x80
	ds_load_b32 v41, v46 offset:64
	v_xor_b32_e32 v5, vcc_lo, v6
	v_xor_b32_e32 v4, s3, v4
	; wave barrier
	s_delay_alu instid0(VALU_DEP_1) | instskip(NEXT) | instid1(VALU_DEP_1)
	v_bitop3_b32 v3, v3, v4, v5 bitop3:0x80
	v_mbcnt_lo_u32_b32 v42, v3, 0
	v_cmp_ne_u32_e64 s3, 0, v3
	s_delay_alu instid0(VALU_DEP_2) | instskip(SKIP_1) | instid1(SALU_CYCLE_1)
	v_cmp_eq_u32_e32 vcc_lo, 0, v42
	s_and_b32 s4, s3, vcc_lo
	s_and_saveexec_b32 s3, s4
	s_cbranch_execz .LBB960_43
; %bb.42:
	s_wait_dscnt 0x0
	v_bcnt_u32_b32 v3, v3, v41
	ds_store_b32 v46, v3 offset:64
.LBB960_43:
	s_or_b32 exec_lo, exec_lo, s3
	v_lshrrev_b32_e32 v3, s16, v22
	; wave barrier
	s_delay_alu instid0(VALU_DEP_1) | instskip(NEXT) | instid1(VALU_DEP_1)
	v_and_b32_e32 v4, s26, v3
	v_lshlrev_b32_e32 v6, 30, v4
	v_bitop3_b32 v3, v3, 1, s26 bitop3:0x80
	s_delay_alu instid0(VALU_DEP_1) | instskip(NEXT) | instid1(VALU_DEP_1)
	v_add_co_u32 v3, s3, v3, -1
	v_cndmask_b32_e64 v5, 0, 1, s3
	s_delay_alu instid0(VALU_DEP_4) | instskip(NEXT) | instid1(VALU_DEP_2)
	v_cmp_gt_i32_e64 s3, 0, v6
	v_cmp_ne_u32_e32 vcc_lo, 0, v5
	v_not_b32_e32 v5, v6
	s_delay_alu instid0(VALU_DEP_1) | instskip(SKIP_3) | instid1(VALU_DEP_4)
	v_dual_ashrrev_i32 v5, 31, v5 :: v_dual_lshlrev_b32 v7, 29, v4
	v_dual_lshlrev_b32 v8, 28, v4 :: v_dual_lshlrev_b32 v9, 27, v4
	v_lshlrev_b32_e32 v44, 26, v4
	v_mad_u32 v49, 0x44, v4, v2
	v_cmp_gt_i32_e64 s4, 0, v7
	v_not_b32_e32 v6, v7
	v_not_b32_e32 v7, v8
	v_cmp_gt_i32_e64 s5, 0, v8
	v_xor_b32_e32 v3, vcc_lo, v3
	s_delay_alu instid0(VALU_DEP_4) | instskip(NEXT) | instid1(VALU_DEP_4)
	v_dual_ashrrev_i32 v6, 31, v6 :: v_dual_bitop2_b32 v5, s3, v5 bitop3:0x14
	v_dual_ashrrev_i32 v7, 31, v7 :: v_dual_lshlrev_b32 v45, 25, v4
	v_lshlrev_b32_e32 v4, 24, v4
	v_not_b32_e32 v8, v9
	v_not_b32_e32 v47, v44
	v_xor_b32_e32 v6, s4, v6
	v_xor_b32_e32 v7, s5, v7
	v_bitop3_b32 v3, v3, v5, exec_lo bitop3:0x80
	v_cmp_gt_i32_e32 vcc_lo, 0, v9
	v_ashrrev_i32_e32 v5, 31, v8
	v_cmp_gt_i32_e64 s3, 0, v44
	v_ashrrev_i32_e32 v8, 31, v47
	v_bitop3_b32 v3, v3, v7, v6 bitop3:0x80
	v_not_b32_e32 v6, v45
	v_not_b32_e32 v7, v4
	v_xor_b32_e32 v5, vcc_lo, v5
	v_xor_b32_e32 v8, s3, v8
	v_cmp_gt_i32_e32 vcc_lo, 0, v45
	v_ashrrev_i32_e32 v6, 31, v6
	v_cmp_gt_i32_e64 s3, 0, v4
	v_ashrrev_i32_e32 v4, 31, v7
	v_bitop3_b32 v3, v3, v8, v5 bitop3:0x80
	ds_load_b32 v44, v49 offset:64
	v_xor_b32_e32 v5, vcc_lo, v6
	v_xor_b32_e32 v4, s3, v4
	; wave barrier
	s_delay_alu instid0(VALU_DEP_1) | instskip(NEXT) | instid1(VALU_DEP_1)
	v_bitop3_b32 v3, v3, v4, v5 bitop3:0x80
	v_mbcnt_lo_u32_b32 v45, v3, 0
	v_cmp_ne_u32_e64 s3, 0, v3
	s_delay_alu instid0(VALU_DEP_2) | instskip(SKIP_1) | instid1(SALU_CYCLE_1)
	v_cmp_eq_u32_e32 vcc_lo, 0, v45
	s_and_b32 s4, s3, vcc_lo
	s_and_saveexec_b32 s3, s4
	s_cbranch_execz .LBB960_45
; %bb.44:
	s_wait_dscnt 0x0
	v_bcnt_u32_b32 v3, v3, v44
	ds_store_b32 v49, v3 offset:64
.LBB960_45:
	s_or_b32 exec_lo, exec_lo, s3
	v_lshrrev_b32_e32 v3, s16, v25
	; wave barrier
	s_delay_alu instid0(VALU_DEP_1) | instskip(NEXT) | instid1(VALU_DEP_1)
	v_and_b32_e32 v4, s26, v3
	v_lshlrev_b32_e32 v6, 30, v4
	v_bitop3_b32 v3, v3, 1, s26 bitop3:0x80
	s_delay_alu instid0(VALU_DEP_1) | instskip(NEXT) | instid1(VALU_DEP_1)
	v_add_co_u32 v3, s3, v3, -1
	v_cndmask_b32_e64 v5, 0, 1, s3
	s_delay_alu instid0(VALU_DEP_4) | instskip(NEXT) | instid1(VALU_DEP_2)
	v_cmp_gt_i32_e64 s3, 0, v6
	v_cmp_ne_u32_e32 vcc_lo, 0, v5
	v_not_b32_e32 v5, v6
	s_delay_alu instid0(VALU_DEP_1) | instskip(SKIP_3) | instid1(VALU_DEP_4)
	v_dual_ashrrev_i32 v5, 31, v5 :: v_dual_lshlrev_b32 v7, 29, v4
	v_dual_lshlrev_b32 v8, 28, v4 :: v_dual_lshlrev_b32 v9, 27, v4
	v_lshlrev_b32_e32 v47, 26, v4
	v_mad_u32 v52, 0x44, v4, v2
	v_cmp_gt_i32_e64 s4, 0, v7
	v_not_b32_e32 v6, v7
	v_not_b32_e32 v7, v8
	v_cmp_gt_i32_e64 s5, 0, v8
	v_xor_b32_e32 v3, vcc_lo, v3
	s_delay_alu instid0(VALU_DEP_4) | instskip(NEXT) | instid1(VALU_DEP_4)
	v_dual_ashrrev_i32 v6, 31, v6 :: v_dual_bitop2_b32 v5, s3, v5 bitop3:0x14
	v_dual_ashrrev_i32 v7, 31, v7 :: v_dual_lshlrev_b32 v48, 25, v4
	v_lshlrev_b32_e32 v4, 24, v4
	v_not_b32_e32 v8, v9
	v_not_b32_e32 v50, v47
	v_xor_b32_e32 v6, s4, v6
	v_xor_b32_e32 v7, s5, v7
	v_bitop3_b32 v3, v3, v5, exec_lo bitop3:0x80
	v_cmp_gt_i32_e32 vcc_lo, 0, v9
	v_ashrrev_i32_e32 v5, 31, v8
	v_cmp_gt_i32_e64 s3, 0, v47
	v_ashrrev_i32_e32 v8, 31, v50
	v_bitop3_b32 v3, v3, v7, v6 bitop3:0x80
	v_not_b32_e32 v6, v48
	v_not_b32_e32 v7, v4
	v_xor_b32_e32 v5, vcc_lo, v5
	v_xor_b32_e32 v8, s3, v8
	v_cmp_gt_i32_e32 vcc_lo, 0, v48
	v_ashrrev_i32_e32 v6, 31, v6
	v_cmp_gt_i32_e64 s3, 0, v4
	v_ashrrev_i32_e32 v4, 31, v7
	v_bitop3_b32 v3, v3, v8, v5 bitop3:0x80
	ds_load_b32 v47, v52 offset:64
	v_xor_b32_e32 v5, vcc_lo, v6
	v_xor_b32_e32 v4, s3, v4
	; wave barrier
	s_delay_alu instid0(VALU_DEP_1) | instskip(NEXT) | instid1(VALU_DEP_1)
	v_bitop3_b32 v3, v3, v4, v5 bitop3:0x80
	v_mbcnt_lo_u32_b32 v48, v3, 0
	v_cmp_ne_u32_e64 s3, 0, v3
	s_delay_alu instid0(VALU_DEP_2) | instskip(SKIP_1) | instid1(SALU_CYCLE_1)
	v_cmp_eq_u32_e32 vcc_lo, 0, v48
	s_and_b32 s4, s3, vcc_lo
	s_and_saveexec_b32 s3, s4
	s_cbranch_execz .LBB960_47
; %bb.46:
	s_wait_dscnt 0x0
	v_bcnt_u32_b32 v3, v3, v47
	ds_store_b32 v52, v3 offset:64
.LBB960_47:
	s_or_b32 exec_lo, exec_lo, s3
	v_lshrrev_b32_e32 v3, s16, v24
	; wave barrier
	s_delay_alu instid0(VALU_DEP_1) | instskip(SKIP_1) | instid1(VALU_DEP_2)
	v_and_b32_e32 v4, s26, v3
	v_bitop3_b32 v3, v3, 1, s26 bitop3:0x80
	v_dual_lshlrev_b32 v6, 30, v4 :: v_dual_lshlrev_b32 v7, 29, v4
	s_delay_alu instid0(VALU_DEP_2) | instskip(NEXT) | instid1(VALU_DEP_1)
	v_add_co_u32 v3, s3, v3, -1
	v_cndmask_b32_e64 v5, 0, 1, s3
	s_delay_alu instid0(VALU_DEP_3) | instskip(NEXT) | instid1(VALU_DEP_4)
	v_cmp_gt_i32_e64 s3, 0, v6
	v_cmp_gt_i32_e64 s4, 0, v7
	s_delay_alu instid0(VALU_DEP_3) | instskip(SKIP_2) | instid1(VALU_DEP_2)
	v_cmp_ne_u32_e32 vcc_lo, 0, v5
	v_not_b32_e32 v5, v6
	v_not_b32_e32 v6, v7
	v_dual_ashrrev_i32 v5, 31, v5 :: v_dual_bitop2_b32 v3, vcc_lo, v3 bitop3:0x14
	s_delay_alu instid0(VALU_DEP_2) | instskip(SKIP_3) | instid1(VALU_DEP_4)
	v_dual_ashrrev_i32 v6, 31, v6 :: v_dual_lshlrev_b32 v8, 28, v4
	v_lshlrev_b32_e32 v9, 27, v4
	v_mad_u32 v53, 0x44, v4, v2
	v_dual_lshlrev_b32 v50, 26, v4 :: v_dual_lshlrev_b32 v51, 25, v4
	v_not_b32_e32 v7, v8
	v_lshlrev_b32_e32 v4, 24, v4
	v_cmp_gt_i32_e64 s5, 0, v8
	v_xor_b32_e32 v5, s3, v5
	v_not_b32_e32 v8, v9
	v_ashrrev_i32_e32 v7, 31, v7
	v_not_b32_e32 v54, v50
	v_xor_b32_e32 v6, s4, v6
	v_bitop3_b32 v3, v3, v5, exec_lo bitop3:0x80
	v_cmp_gt_i32_e32 vcc_lo, 0, v9
	v_dual_ashrrev_i32 v5, 31, v8 :: v_dual_bitop2_b32 v7, s5, v7 bitop3:0x14
	v_cmp_gt_i32_e64 s3, 0, v50
	v_ashrrev_i32_e32 v8, 31, v54
	ds_load_b32 v50, v53 offset:64
	v_bitop3_b32 v3, v3, v7, v6 bitop3:0x80
	v_not_b32_e32 v6, v51
	v_not_b32_e32 v7, v4
	v_xor_b32_e32 v5, vcc_lo, v5
	v_xor_b32_e32 v8, s3, v8
	v_cmp_gt_i32_e32 vcc_lo, 0, v51
	v_ashrrev_i32_e32 v6, 31, v6
	v_cmp_gt_i32_e64 s3, 0, v4
	v_ashrrev_i32_e32 v4, 31, v7
	v_bitop3_b32 v3, v3, v8, v5 bitop3:0x80
	s_delay_alu instid0(VALU_DEP_4) | instskip(NEXT) | instid1(VALU_DEP_3)
	v_xor_b32_e32 v5, vcc_lo, v6
	; wave barrier
	v_xor_b32_e32 v4, s3, v4
	s_delay_alu instid0(VALU_DEP_1) | instskip(NEXT) | instid1(VALU_DEP_1)
	v_bitop3_b32 v3, v3, v4, v5 bitop3:0x80
	v_mbcnt_lo_u32_b32 v51, v3, 0
	v_cmp_ne_u32_e64 s3, 0, v3
	s_delay_alu instid0(VALU_DEP_2) | instskip(SKIP_1) | instid1(SALU_CYCLE_1)
	v_cmp_eq_u32_e32 vcc_lo, 0, v51
	s_and_b32 s4, s3, vcc_lo
	s_and_saveexec_b32 s3, s4
	s_cbranch_execz .LBB960_49
; %bb.48:
	s_wait_dscnt 0x0
	v_bcnt_u32_b32 v3, v3, v50
	ds_store_b32 v53, v3 offset:64
.LBB960_49:
	s_or_b32 exec_lo, exec_lo, s3
	v_lshrrev_b32_e32 v3, s16, v27
	; wave barrier
	s_delay_alu instid0(VALU_DEP_1) | instskip(NEXT) | instid1(VALU_DEP_1)
	v_and_b32_e32 v4, s26, v3
	v_lshlrev_b32_e32 v6, 30, v4
	v_bitop3_b32 v3, v3, 1, s26 bitop3:0x80
	s_delay_alu instid0(VALU_DEP_1) | instskip(NEXT) | instid1(VALU_DEP_1)
	v_add_co_u32 v3, s3, v3, -1
	v_cndmask_b32_e64 v5, 0, 1, s3
	s_delay_alu instid0(VALU_DEP_4) | instskip(NEXT) | instid1(VALU_DEP_2)
	v_cmp_gt_i32_e64 s3, 0, v6
	v_cmp_ne_u32_e32 vcc_lo, 0, v5
	v_not_b32_e32 v5, v6
	s_delay_alu instid0(VALU_DEP_1) | instskip(SKIP_3) | instid1(VALU_DEP_4)
	v_dual_ashrrev_i32 v5, 31, v5 :: v_dual_lshlrev_b32 v7, 29, v4
	v_dual_lshlrev_b32 v8, 28, v4 :: v_dual_lshlrev_b32 v9, 27, v4
	v_lshlrev_b32_e32 v54, 26, v4
	v_mad_u32 v56, 0x44, v4, v2
	v_cmp_gt_i32_e64 s4, 0, v7
	v_not_b32_e32 v6, v7
	v_not_b32_e32 v7, v8
	v_cmp_gt_i32_e64 s5, 0, v8
	v_xor_b32_e32 v3, vcc_lo, v3
	s_delay_alu instid0(VALU_DEP_4) | instskip(NEXT) | instid1(VALU_DEP_4)
	v_dual_ashrrev_i32 v6, 31, v6 :: v_dual_bitop2_b32 v5, s3, v5 bitop3:0x14
	v_dual_ashrrev_i32 v7, 31, v7 :: v_dual_lshlrev_b32 v55, 25, v4
	v_lshlrev_b32_e32 v4, 24, v4
	v_not_b32_e32 v8, v9
	v_not_b32_e32 v57, v54
	v_xor_b32_e32 v6, s4, v6
	v_xor_b32_e32 v7, s5, v7
	v_bitop3_b32 v3, v3, v5, exec_lo bitop3:0x80
	v_cmp_gt_i32_e32 vcc_lo, 0, v9
	v_ashrrev_i32_e32 v5, 31, v8
	v_cmp_gt_i32_e64 s3, 0, v54
	v_ashrrev_i32_e32 v8, 31, v57
	v_bitop3_b32 v3, v3, v7, v6 bitop3:0x80
	v_not_b32_e32 v6, v55
	v_not_b32_e32 v7, v4
	v_xor_b32_e32 v5, vcc_lo, v5
	v_xor_b32_e32 v8, s3, v8
	v_cmp_gt_i32_e32 vcc_lo, 0, v55
	v_ashrrev_i32_e32 v6, 31, v6
	v_cmp_gt_i32_e64 s3, 0, v4
	v_ashrrev_i32_e32 v4, 31, v7
	v_bitop3_b32 v3, v3, v8, v5 bitop3:0x80
	ds_load_b32 v54, v56 offset:64
	v_xor_b32_e32 v5, vcc_lo, v6
	v_xor_b32_e32 v4, s3, v4
	; wave barrier
	s_delay_alu instid0(VALU_DEP_1) | instskip(NEXT) | instid1(VALU_DEP_1)
	v_bitop3_b32 v3, v3, v4, v5 bitop3:0x80
	v_mbcnt_lo_u32_b32 v55, v3, 0
	v_cmp_ne_u32_e64 s3, 0, v3
	s_delay_alu instid0(VALU_DEP_2) | instskip(SKIP_1) | instid1(SALU_CYCLE_1)
	v_cmp_eq_u32_e32 vcc_lo, 0, v55
	s_and_b32 s4, s3, vcc_lo
	s_and_saveexec_b32 s3, s4
	s_cbranch_execz .LBB960_51
; %bb.50:
	s_wait_dscnt 0x0
	v_bcnt_u32_b32 v3, v3, v54
	ds_store_b32 v56, v3 offset:64
.LBB960_51:
	s_or_b32 exec_lo, exec_lo, s3
	v_lshrrev_b32_e32 v3, s16, v26
	; wave barrier
	s_delay_alu instid0(VALU_DEP_1) | instskip(NEXT) | instid1(VALU_DEP_1)
	v_and_b32_e32 v4, s26, v3
	v_lshlrev_b32_e32 v5, 30, v4
	v_bitop3_b32 v3, v3, 1, s26 bitop3:0x80
	v_mad_u32 v59, 0x44, v4, v2
	s_delay_alu instid0(VALU_DEP_2) | instskip(NEXT) | instid1(VALU_DEP_1)
	v_add_co_u32 v2, s3, v3, -1
	v_cndmask_b32_e64 v3, 0, 1, s3
	v_cmp_gt_i32_e64 s3, 0, v5
	s_delay_alu instid0(VALU_DEP_2) | instskip(SKIP_1) | instid1(VALU_DEP_1)
	v_cmp_ne_u32_e32 vcc_lo, 0, v3
	v_not_b32_e32 v3, v5
	v_dual_ashrrev_i32 v3, 31, v3 :: v_dual_lshlrev_b32 v6, 29, v4
	v_dual_lshlrev_b32 v7, 28, v4 :: v_dual_lshlrev_b32 v8, 27, v4
	v_dual_lshlrev_b32 v9, 26, v4 :: v_dual_lshlrev_b32 v57, 25, v4
	v_lshlrev_b32_e32 v4, 24, v4
	s_delay_alu instid0(VALU_DEP_4) | instskip(SKIP_4) | instid1(VALU_DEP_4)
	v_cmp_gt_i32_e64 s4, 0, v6
	v_not_b32_e32 v5, v6
	v_not_b32_e32 v6, v7
	v_cmp_gt_i32_e64 s5, 0, v7
	v_xor_b32_e32 v2, vcc_lo, v2
	v_dual_ashrrev_i32 v5, 31, v5 :: v_dual_bitop2_b32 v3, s3, v3 bitop3:0x14
	s_delay_alu instid0(VALU_DEP_4) | instskip(SKIP_2) | instid1(VALU_DEP_4)
	v_ashrrev_i32_e32 v6, 31, v6
	v_not_b32_e32 v7, v8
	v_not_b32_e32 v58, v9
	v_bitop3_b32 v2, v2, v3, exec_lo bitop3:0x80
	v_xor_b32_e32 v5, s4, v5
	v_xor_b32_e32 v6, s5, v6
	v_cmp_gt_i32_e32 vcc_lo, 0, v8
	v_ashrrev_i32_e32 v3, 31, v7
	v_cmp_gt_i32_e64 s3, 0, v9
	v_ashrrev_i32_e32 v7, 31, v58
	v_bitop3_b32 v2, v2, v6, v5 bitop3:0x80
	v_not_b32_e32 v5, v57
	v_not_b32_e32 v6, v4
	v_xor_b32_e32 v3, vcc_lo, v3
	v_xor_b32_e32 v7, s3, v7
	v_cmp_gt_i32_e32 vcc_lo, 0, v57
	v_ashrrev_i32_e32 v5, 31, v5
	v_cmp_gt_i32_e64 s3, 0, v4
	v_ashrrev_i32_e32 v4, 31, v6
	v_bitop3_b32 v2, v2, v7, v3 bitop3:0x80
	ds_load_b32 v57, v59 offset:64
	v_xor_b32_e32 v3, vcc_lo, v5
	v_xor_b32_e32 v4, s3, v4
	; wave barrier
	s_delay_alu instid0(VALU_DEP_1) | instskip(NEXT) | instid1(VALU_DEP_1)
	v_bitop3_b32 v2, v2, v4, v3 bitop3:0x80
	v_mbcnt_lo_u32_b32 v58, v2, 0
	v_cmp_ne_u32_e64 s3, 0, v2
	s_delay_alu instid0(VALU_DEP_2) | instskip(SKIP_1) | instid1(SALU_CYCLE_1)
	v_cmp_eq_u32_e32 vcc_lo, 0, v58
	s_and_b32 s4, s3, vcc_lo
	s_and_saveexec_b32 s3, s4
	s_cbranch_execz .LBB960_53
; %bb.52:
	s_wait_dscnt 0x0
	v_bcnt_u32_b32 v2, v2, v57
	ds_store_b32 v59, v2 offset:64
.LBB960_53:
	s_or_b32 exec_lo, exec_lo, s3
	; wave barrier
	s_wait_dscnt 0x0
	s_barrier_signal -1
	s_barrier_wait -1
	ds_load_2addr_b32 v[8:9], v10 offset0:16 offset1:17
	ds_load_2addr_b32 v[6:7], v10 offset0:18 offset1:19
	;; [unrolled: 1-line block ×4, first 2 shown]
	ds_load_b32 v60, v10 offset:96
	v_min_u32_e32 v63, 0x1e0, v16
	s_mov_b32 s27, exec_lo
	s_wait_dscnt 0x3
	v_add3_u32 v61, v9, v8, v6
	s_wait_dscnt 0x2
	s_delay_alu instid0(VALU_DEP_1) | instskip(SKIP_1) | instid1(VALU_DEP_1)
	v_add3_u32 v61, v61, v7, v4
	s_wait_dscnt 0x1
	v_add3_u32 v61, v61, v5, v2
	s_wait_dscnt 0x0
	s_delay_alu instid0(VALU_DEP_1) | instskip(SKIP_1) | instid1(VALU_DEP_2)
	v_add3_u32 v60, v61, v3, v60
	v_and_b32_e32 v61, 15, v15
	v_mov_b32_dpp v62, v60 row_shr:1 row_mask:0xf bank_mask:0xf
	s_delay_alu instid0(VALU_DEP_2) | instskip(NEXT) | instid1(VALU_DEP_2)
	v_cmp_eq_u32_e32 vcc_lo, 0, v61
	v_cndmask_b32_e64 v62, v62, 0, vcc_lo
	s_delay_alu instid0(VALU_DEP_1) | instskip(SKIP_3) | instid1(VALU_DEP_4)
	v_add_nc_u32_e32 v60, v62, v60
	v_cmp_lt_u32_e64 s3, 1, v61
	v_cmp_lt_u32_e64 s4, 3, v61
	;; [unrolled: 1-line block ×3, first 2 shown]
	v_mov_b32_dpp v62, v60 row_shr:2 row_mask:0xf bank_mask:0xf
	s_delay_alu instid0(VALU_DEP_1) | instskip(NEXT) | instid1(VALU_DEP_1)
	v_cndmask_b32_e64 v62, 0, v62, s3
	v_add_nc_u32_e32 v60, v60, v62
	s_delay_alu instid0(VALU_DEP_1) | instskip(NEXT) | instid1(VALU_DEP_1)
	v_mov_b32_dpp v62, v60 row_shr:4 row_mask:0xf bank_mask:0xf
	v_cndmask_b32_e64 v62, 0, v62, s4
	s_delay_alu instid0(VALU_DEP_1) | instskip(NEXT) | instid1(VALU_DEP_1)
	v_add_nc_u32_e32 v60, v60, v62
	v_mov_b32_dpp v62, v60 row_shr:8 row_mask:0xf bank_mask:0xf
	s_delay_alu instid0(VALU_DEP_1) | instskip(SKIP_1) | instid1(VALU_DEP_2)
	v_cndmask_b32_e64 v61, 0, v62, s5
	v_bfe_i32 v62, v15, 4, 1
	v_add_nc_u32_e32 v60, v60, v61
	ds_swizzle_b32 v61, v60 offset:swizzle(BROADCAST,32,15)
	s_wait_dscnt 0x0
	v_dual_lshrrev_b32 v61, 5, v14 :: v_dual_bitop2_b32 v62, v62, v61 bitop3:0x40
	s_delay_alu instid0(VALU_DEP_1) | instskip(NEXT) | instid1(VALU_DEP_1)
	v_dual_add_nc_u32 v60, v60, v62 :: v_dual_bitop2_b32 v63, 31, v63 bitop3:0x54
	v_cmpx_eq_u32_e64 v14, v63
; %bb.54:
	s_delay_alu instid0(VALU_DEP_3)
	v_lshlrev_b32_e32 v62, 2, v61
	ds_store_b32 v62, v60
; %bb.55:
	s_or_b32 exec_lo, exec_lo, s27
	s_delay_alu instid0(SALU_CYCLE_1)
	s_mov_b32 s27, exec_lo
	s_wait_dscnt 0x0
	s_barrier_signal -1
	s_barrier_wait -1
	v_cmpx_gt_u32_e32 16, v14
	s_cbranch_execz .LBB960_57
; %bb.56:
	v_lshlrev_b32_e32 v62, 2, v14
	ds_load_b32 v63, v62
	s_wait_dscnt 0x0
	v_mov_b32_dpp v64, v63 row_shr:1 row_mask:0xf bank_mask:0xf
	s_delay_alu instid0(VALU_DEP_1) | instskip(NEXT) | instid1(VALU_DEP_1)
	v_cndmask_b32_e64 v64, v64, 0, vcc_lo
	v_add_nc_u32_e32 v63, v64, v63
	s_delay_alu instid0(VALU_DEP_1) | instskip(NEXT) | instid1(VALU_DEP_1)
	v_mov_b32_dpp v64, v63 row_shr:2 row_mask:0xf bank_mask:0xf
	v_cndmask_b32_e64 v64, 0, v64, s3
	s_delay_alu instid0(VALU_DEP_1) | instskip(NEXT) | instid1(VALU_DEP_1)
	v_add_nc_u32_e32 v63, v63, v64
	v_mov_b32_dpp v64, v63 row_shr:4 row_mask:0xf bank_mask:0xf
	s_delay_alu instid0(VALU_DEP_1) | instskip(NEXT) | instid1(VALU_DEP_1)
	v_cndmask_b32_e64 v64, 0, v64, s4
	v_add_nc_u32_e32 v63, v63, v64
	s_delay_alu instid0(VALU_DEP_1) | instskip(NEXT) | instid1(VALU_DEP_1)
	v_mov_b32_dpp v64, v63 row_shr:8 row_mask:0xf bank_mask:0xf
	v_cndmask_b32_e64 v64, 0, v64, s5
	s_delay_alu instid0(VALU_DEP_1)
	v_add_nc_u32_e32 v63, v63, v64
	ds_store_b32 v62, v63
.LBB960_57:
	s_or_b32 exec_lo, exec_lo, s27
	v_mov_b32_e32 v62, 0
	s_mov_b32 s3, exec_lo
	s_wait_dscnt 0x0
	s_barrier_signal -1
	s_barrier_wait -1
	v_cmpx_lt_u32_e32 31, v14
; %bb.58:
	v_lshl_add_u32 v61, v61, 2, -4
	ds_load_b32 v62, v61
; %bb.59:
	s_or_b32 exec_lo, exec_lo, s3
	v_sub_co_u32 v61, vcc_lo, v15, 1
	s_wait_dscnt 0x0
	v_add_nc_u32_e32 v60, v62, v60
	s_delay_alu instid0(VALU_DEP_2) | instskip(NEXT) | instid1(VALU_DEP_1)
	v_cmp_gt_i32_e64 s3, 0, v61
	v_cndmask_b32_e64 v61, v61, v15, s3
	v_cmp_lt_u32_e64 s3, 0xff, v14
	s_delay_alu instid0(VALU_DEP_2) | instskip(SKIP_4) | instid1(VALU_DEP_2)
	v_lshlrev_b32_e32 v61, 2, v61
	ds_bpermute_b32 v60, v61, v60
	s_wait_dscnt 0x0
	v_cndmask_b32_e32 v60, v60, v62, vcc_lo
	v_cmp_gt_u32_e32 vcc_lo, 0x100, v14
	v_cndmask_b32_e64 v60, v60, 0, s2
	s_delay_alu instid0(VALU_DEP_1) | instskip(NEXT) | instid1(VALU_DEP_1)
	v_add_nc_u32_e32 v8, v60, v8
	v_add_nc_u32_e32 v9, v8, v9
	s_delay_alu instid0(VALU_DEP_1) | instskip(NEXT) | instid1(VALU_DEP_1)
	v_add_nc_u32_e32 v6, v9, v6
	v_add_nc_u32_e32 v7, v6, v7
	;; [unrolled: 3-line block ×4, first 2 shown]
	ds_store_2addr_b32 v10, v60, v8 offset0:16 offset1:17
	ds_store_2addr_b32 v10, v9, v6 offset0:18 offset1:19
	;; [unrolled: 1-line block ×4, first 2 shown]
	ds_store_b32 v10, v3 offset:96
	s_wait_dscnt 0x0
	s_barrier_signal -1
	s_barrier_wait -1
	ds_load_b32 v63, v11 offset:64
	ds_load_b32 v60, v12 offset:64
	;; [unrolled: 1-line block ×12, first 2 shown]
	v_mov_b64_e32 v[2:3], 0
                                        ; implicit-def: $vgpr4
	s_and_saveexec_b32 s5, vcc_lo
	s_cbranch_execz .LBB960_63
; %bb.60:
	v_mul_u32_u24_e32 v2, 0x44, v14
	v_dual_mov_b32 v3, 0x1800 :: v_dual_add_nc_u32 v4, 1, v14
	s_mov_b32 s6, exec_lo
	ds_load_b32 v2, v2 offset:64
	v_cmpx_ne_u32_e32 0x100, v4
; %bb.61:
	v_mul_u32_u24_e32 v3, 0x44, v4
	ds_load_b32 v3, v3 offset:64
; %bb.62:
	s_or_b32 exec_lo, exec_lo, s6
	s_wait_dscnt 0x0
	v_dual_mov_b32 v3, 0 :: v_dual_sub_nc_u32 v4, v3, v2
.LBB960_63:
	s_or_b32 exec_lo, exec_lo, s5
	v_dual_mov_b32 v7, 0 :: v_dual_lshlrev_b32 v5, 3, v14
	s_wait_dscnt 0x0
	s_barrier_signal -1
	s_barrier_wait -1
	s_and_saveexec_b32 s4, vcc_lo
	s_cbranch_execz .LBB960_73
; %bb.64:
	v_lshl_add_u32 v6, s19, 8, v14
	v_dual_mov_b32 v10, 0 :: v_dual_bitop2_b32 v11, 2.0, v4 bitop3:0x54
	s_mov_b32 s5, 0
	s_mov_b32 s6, s19
	s_delay_alu instid0(VALU_DEP_2)
	v_lshl_add_u64 v[8:9], v[6:7], 2, s[20:21]
	global_store_b32 v6, v11, s[20:21] scale_offset scope:SCOPE_DEV
                                        ; implicit-def: $sgpr27
	s_branch .LBB960_67
.LBB960_65:                             ;   in Loop: Header=BB960_67 Depth=1
	s_or_b32 exec_lo, exec_lo, s28
.LBB960_66:                             ;   in Loop: Header=BB960_67 Depth=1
	s_delay_alu instid0(SALU_CYCLE_1) | instskip(SKIP_2) | instid1(VALU_DEP_2)
	s_or_b32 exec_lo, exec_lo, s27
	v_and_b32_e32 v6, 0x3fffffff, v11
	v_cmp_gt_i32_e64 s27, -2.0, v11
	v_add_nc_u32_e32 v10, v6, v10
	s_and_b32 s28, exec_lo, s27
	s_delay_alu instid0(SALU_CYCLE_1) | instskip(NEXT) | instid1(SALU_CYCLE_1)
	s_or_b32 s5, s28, s5
	s_and_not1_b32 exec_lo, exec_lo, s5
	s_cbranch_execz .LBB960_72
.LBB960_67:                             ; =>This Loop Header: Depth=1
                                        ;     Child Loop BB960_70 Depth 2
	s_or_b32 s27, s27, exec_lo
	s_cmp_eq_u32 s6, 0
	s_cbranch_scc1 .LBB960_71
; %bb.68:                               ;   in Loop: Header=BB960_67 Depth=1
	s_add_co_i32 s6, s6, -1
	s_mov_b32 s27, exec_lo
	s_wait_xcnt 0x0
	v_lshl_or_b32 v6, s6, 8, v14
	global_load_b32 v11, v6, s[20:21] scale_offset scope:SCOPE_DEV
	s_wait_loadcnt 0x0
	v_cmpx_gt_u32_e32 2.0, v11
	s_cbranch_execz .LBB960_66
; %bb.69:                               ;   in Loop: Header=BB960_67 Depth=1
	v_lshl_add_u64 v[12:13], v[6:7], 2, s[20:21]
	s_mov_b32 s28, 0
.LBB960_70:                             ;   Parent Loop BB960_67 Depth=1
                                        ; =>  This Inner Loop Header: Depth=2
	global_load_b32 v11, v[12:13], off scope:SCOPE_DEV
	s_wait_loadcnt 0x0
	v_cmp_lt_u32_e32 vcc_lo, 0x3fffffff, v11
	s_or_b32 s28, vcc_lo, s28
	s_wait_xcnt 0x0
	s_and_not1_b32 exec_lo, exec_lo, s28
	s_cbranch_execnz .LBB960_70
	s_branch .LBB960_65
.LBB960_71:                             ;   in Loop: Header=BB960_67 Depth=1
                                        ; implicit-def: $sgpr6
	s_and_b32 s28, exec_lo, s27
	s_delay_alu instid0(SALU_CYCLE_1)
	s_or_b32 s5, s28, s5
	s_wait_xcnt 0x0
	s_and_not1_b32 exec_lo, exec_lo, s5
	s_cbranch_execnz .LBB960_67
.LBB960_72:
	s_or_b32 exec_lo, exec_lo, s5
	v_dual_mov_b32 v11, 0 :: v_dual_add_nc_u32 v6, v10, v4
	s_delay_alu instid0(VALU_DEP_1) | instskip(SKIP_4) | instid1(VALU_DEP_1)
	v_or_b32_e32 v6, 0x80000000, v6
	global_store_b32 v[8:9], v6, off scope:SCOPE_DEV
	global_load_b64 v[6:7], v14, s[8:9] scale_offset
	v_sub_nc_u64_e32 v[8:9], v[10:11], v[2:3]
	s_wait_loadcnt 0x0
	v_add_nc_u64_e32 v[6:7], v[8:9], v[6:7]
	ds_store_b64 v5, v[6:7]
.LBB960_73:
	s_wait_xcnt 0x0
	s_or_b32 exec_lo, exec_lo, s4
	v_dual_lshlrev_b32 v6, 2, v14 :: v_dual_add_nc_u32 v8, v63, v28
	v_mov_b32_e32 v7, 0
	v_add3_u32 v10, v55, v53, v54
	v_add3_u32 v9, v58, v56, v57
	s_delay_alu instid0(VALU_DEP_4)
	v_sub_nc_u32_e32 v53, 0, v6
	v_add3_u32 v11, v51, v52, v50
	v_add_nc_u64_e32 v[6:7], s[14:15], v[6:7]
	v_add3_u32 v12, v48, v49, v47
	v_add3_u32 v13, v45, v46, v44
	;; [unrolled: 1-line block ×6, first 2 shown]
	v_add_nc_u64_e32 v[6:7], 0x3800, v[6:7]
	v_add3_u32 v31, v32, v61, v31
	v_add3_u32 v29, v30, v60, v29
	v_add_nc_u32_e32 v30, 0xe00, v14
	v_add_nc_u32_e32 v32, v5, v53
	s_mov_b32 s4, 0
	s_mov_b32 s5, -1
	s_branch .LBB960_75
.LBB960_74:                             ;   in Loop: Header=BB960_75 Depth=1
	s_wait_xcnt 0x0
	s_or_b32 exec_lo, exec_lo, s6
	v_add_nc_u64_e32 v[6:7], 0x4000, v[6:7]
	v_add_nc_u32_e32 v30, 0x1000, v30
	s_xor_b32 s5, s5, -1
	s_addk_co_i32 s4, 0xf000
	s_and_b32 vcc_lo, exec_lo, s5
	s_mov_b32 s5, 0
	s_wait_storecnt 0x0
	s_barrier_signal -1
	s_barrier_wait -1
	s_cbranch_vccnz .LBB960_91
.LBB960_75:                             ; =>This Inner Loop Header: Depth=1
	v_add_min_u32_e64 v34, v8, s4, 0x1000
	v_add_min_u32_e64 v36, v29, s4, 0x1000
	;; [unrolled: 1-line block ×5, first 2 shown]
	s_delay_alu instid0(VALU_DEP_4) | instskip(NEXT) | instid1(VALU_DEP_4)
	v_dual_lshlrev_b32 v34, 2, v34 :: v_dual_lshlrev_b32 v36, 2, v36
	v_lshlrev_b32_e32 v38, 2, v38
	v_add_min_u32_e64 v41, v37, s4, 0x1000
	s_mov_b32 s6, exec_lo
	ds_store_b32 v34, v17 offset:2048
	ds_store_b32 v36, v1 offset:2048
	v_add_min_u32_e64 v34, v28, s4, 0x1000
	v_lshlrev_b32_e32 v36, 2, v39
	ds_store_b32 v38, v19 offset:2048
	v_dual_lshlrev_b32 v38, 2, v40 :: v_dual_lshlrev_b32 v39, 2, v41
	v_add_min_u32_e64 v40, v13, s4, 0x1000
	v_lshlrev_b32_e32 v34, 2, v34
	ds_store_b32 v36, v18 offset:2048
	ds_store_b32 v38, v21 offset:2048
	;; [unrolled: 1-line block ×4, first 2 shown]
	v_add_min_u32_e64 v36, v12, s4, 0x1000
	v_add_min_u32_e64 v38, v11, s4, 0x1000
	v_lshlrev_b32_e32 v34, 2, v40
	v_add_min_u32_e64 v39, v10, s4, 0x1000
	v_add_min_u32_e64 v40, v9, s4, 0x1000
	ds_store_b32 v34, v22 offset:2048
	v_dual_lshlrev_b32 v34, 2, v36 :: v_dual_lshlrev_b32 v36, 2, v38
	v_dual_lshlrev_b32 v38, 2, v39 :: v_dual_lshlrev_b32 v39, 2, v40
	v_add_nc_u32_e32 v40, 0xfffff200, v30
	ds_store_b32 v34, v25 offset:2048
	ds_store_b32 v36, v24 offset:2048
	ds_store_b32 v38, v27 offset:2048
	ds_store_b32 v39, v26 offset:2048
	s_wait_storecnt_dscnt 0x0
	s_barrier_signal -1
	s_barrier_wait -1
	v_cmpx_gt_u32_e64 s18, v40
	s_cbranch_execz .LBB960_77
; %bb.76:                               ;   in Loop: Header=BB960_75 Depth=1
	ds_load_b32 v34, v32 offset:2048
	s_wait_dscnt 0x0
	v_lshrrev_b32_e32 v36, s16, v34
	v_xor_b32_e32 v34, 0x80000000, v34
	s_delay_alu instid0(VALU_DEP_2) | instskip(NEXT) | instid1(VALU_DEP_1)
	v_and_b32_e32 v36, s26, v36
	v_lshlrev_b32_e32 v36, 3, v36
	ds_load_b64 v[38:39], v36
	s_wait_dscnt 0x0
	v_lshl_add_u64 v[38:39], v[38:39], 2, v[6:7]
	global_store_b32 v[38:39], v34, off offset:-14336
.LBB960_77:                             ;   in Loop: Header=BB960_75 Depth=1
	s_wait_xcnt 0x0
	s_or_b32 exec_lo, exec_lo, s6
	v_add_nc_u32_e32 v34, 0xfffff400, v30
	s_mov_b32 s6, exec_lo
	s_delay_alu instid0(VALU_DEP_1)
	v_cmpx_gt_u32_e64 s18, v34
	s_cbranch_execz .LBB960_79
; %bb.78:                               ;   in Loop: Header=BB960_75 Depth=1
	ds_load_b32 v34, v32 offset:4096
	s_wait_dscnt 0x0
	v_lshrrev_b32_e32 v36, s16, v34
	v_xor_b32_e32 v34, 0x80000000, v34
	s_delay_alu instid0(VALU_DEP_2) | instskip(NEXT) | instid1(VALU_DEP_1)
	v_and_b32_e32 v36, s26, v36
	v_lshlrev_b32_e32 v36, 3, v36
	ds_load_b64 v[38:39], v36
	s_wait_dscnt 0x0
	v_lshl_add_u64 v[38:39], v[38:39], 2, v[6:7]
	global_store_b32 v[38:39], v34, off offset:-12288
.LBB960_79:                             ;   in Loop: Header=BB960_75 Depth=1
	s_wait_xcnt 0x0
	s_or_b32 exec_lo, exec_lo, s6
	v_add_nc_u32_e32 v34, 0xfffff600, v30
	s_mov_b32 s6, exec_lo
	s_delay_alu instid0(VALU_DEP_1)
	;; [unrolled: 20-line block ×6, first 2 shown]
	v_cmpx_gt_u32_e64 s18, v34
	s_cbranch_execz .LBB960_89
; %bb.88:                               ;   in Loop: Header=BB960_75 Depth=1
	ds_load_b32 v34, v32 offset:14336
	s_wait_dscnt 0x0
	v_lshrrev_b32_e32 v36, s16, v34
	v_xor_b32_e32 v34, 0x80000000, v34
	s_delay_alu instid0(VALU_DEP_2) | instskip(NEXT) | instid1(VALU_DEP_1)
	v_and_b32_e32 v36, s26, v36
	v_lshlrev_b32_e32 v36, 3, v36
	ds_load_b64 v[38:39], v36
	s_wait_dscnt 0x0
	v_lshl_add_u64 v[38:39], v[38:39], 2, v[6:7]
	global_store_b32 v[38:39], v34, off offset:-2048
.LBB960_89:                             ;   in Loop: Header=BB960_75 Depth=1
	s_wait_xcnt 0x0
	s_or_b32 exec_lo, exec_lo, s6
	s_delay_alu instid0(SALU_CYCLE_1)
	s_mov_b32 s6, exec_lo
	v_cmpx_gt_u32_e64 s18, v30
	s_cbranch_execz .LBB960_74
; %bb.90:                               ;   in Loop: Header=BB960_75 Depth=1
	ds_load_b32 v34, v32 offset:16384
	s_wait_dscnt 0x0
	v_lshrrev_b32_e32 v36, s16, v34
	v_xor_b32_e32 v34, 0x80000000, v34
	s_delay_alu instid0(VALU_DEP_2) | instskip(NEXT) | instid1(VALU_DEP_1)
	v_and_b32_e32 v36, s26, v36
	v_lshlrev_b32_e32 v36, 3, v36
	ds_load_b64 v[38:39], v36
	s_wait_dscnt 0x0
	v_lshl_add_u64 v[38:39], v[38:39], 2, v[6:7]
	global_store_b32 v[38:39], v34, off
	s_branch .LBB960_74
.LBB960_91:
	s_add_co_i32 s23, s23, -1
	s_delay_alu instid0(SALU_CYCLE_1) | instskip(SKIP_2) | instid1(SALU_CYCLE_1)
	s_cmp_eq_u32 s19, s23
	s_cselect_b32 s4, -1, 0
	s_xor_b32 s3, s3, -1
	s_and_b32 s4, s3, s4
	s_delay_alu instid0(SALU_CYCLE_1)
	s_and_saveexec_b32 s3, s4
	s_cbranch_execz .LBB960_93
; %bb.92:
	ds_load_b64 v[6:7], v5
	v_mov_b32_e32 v5, 0
	s_delay_alu instid0(VALU_DEP_1) | instskip(SKIP_1) | instid1(VALU_DEP_1)
	v_add_nc_u64_e32 v[2:3], v[2:3], v[4:5]
	s_wait_dscnt 0x0
	v_add_nc_u64_e32 v[2:3], v[2:3], v[6:7]
	global_store_b64 v14, v[2:3], s[10:11] scale_offset
.LBB960_93:
	s_wait_xcnt 0x0
	s_or_b32 exec_lo, exec_lo, s3
	s_mov_b32 s4, 0
.LBB960_94:
	s_delay_alu instid0(SALU_CYCLE_1)
	s_and_b32 vcc_lo, exec_lo, s4
	s_cbranch_vccz .LBB960_153
; %bb.95:
	s_mov_b32 s23, 0
	v_dual_mov_b32 v11, 0 :: v_dual_lshlrev_b32 v10, 2, v15
	s_lshl_b64 s[4:5], s[22:23], 2
	v_mul_u32_u24_e32 v1, 12, v16
	s_add_nc_u64 s[4:5], s[12:13], s[4:5]
	s_bfe_u32 s3, ttmp6, 0x4000c
	v_add_nc_u64_e32 v[2:3], s[4:5], v[10:11]
	s_add_co_i32 s3, s3, 1
	v_lshlrev_b32_e32 v10, 2, v1
	s_and_b32 s4, ttmp6, 15
	s_mul_i32 s3, ttmp9, s3
	s_delay_alu instid0(SALU_CYCLE_1) | instskip(NEXT) | instid1(VALU_DEP_1)
	s_add_co_i32 s4, s4, s3
	v_add_nc_u64_e32 v[18:19], v[2:3], v[10:11]
	s_cmp_eq_u32 s7, 0
	s_clause 0xb
	global_load_b32 v5, v[18:19], off
	global_load_b32 v12, v[18:19], off offset:128
	global_load_b32 v13, v[18:19], off offset:256
	;; [unrolled: 1-line block ×11, first 2 shown]
	s_load_b32 s12, s[0:1], 0x58
	s_cselect_b32 s3, ttmp9, s4
	s_load_u16 s4, s[0:1], 0x66
	s_wait_kmcnt 0x0
	s_cmp_lt_u32 s3, s12
	s_cselect_b32 s22, 12, 18
	s_lshl_b32 s13, -1, s17
	s_add_nc_u64 s[0:1], s[24:25], s[22:23]
	s_load_u16 s0, s[0:1], 0x0
	s_wait_loadcnt 0xb
	v_xor_b32_e32 v17, 0x80000000, v5
	v_bfe_u32 v5, v0, 10, 10
	v_bfe_u32 v0, v0, 20, 10
	s_delay_alu instid0(VALU_DEP_3) | instskip(NEXT) | instid1(VALU_DEP_2)
	v_lshrrev_b32_e32 v10, s16, v17
	v_mad_u32_u24 v0, v0, s4, v5
	s_delay_alu instid0(VALU_DEP_2) | instskip(SKIP_1) | instid1(VALU_DEP_2)
	v_bitop3_b32 v19, v10, s13, v10 bitop3:0x30
	s_wait_kmcnt 0x0
	v_mad_u32 v0, v0, s0, v14
	s_delay_alu instid0(VALU_DEP_2) | instskip(SKIP_4) | instid1(VALU_DEP_4)
	v_lshlrev_b32_e32 v21, 29, v19
	v_bitop3_b32 v5, v10, 1, s13 bitop3:0x40
	v_dual_lshlrev_b32 v18, 30, v19 :: v_dual_lshlrev_b32 v22, 28, v19
	v_dual_lshlrev_b32 v23, 27, v19 :: v_dual_lshlrev_b32 v24, 26, v19
	v_lshlrev_b32_e32 v25, 25, v19
	v_add_co_u32 v5, s0, v5, -1
	s_delay_alu instid0(VALU_DEP_1)
	v_cndmask_b32_e64 v10, 0, 1, s0
	v_cmp_gt_i32_e64 s0, 0, v18
	v_cmp_gt_i32_e64 s1, 0, v21
	;; [unrolled: 1-line block ×4, first 2 shown]
	v_cmp_ne_u32_e32 vcc_lo, 0, v10
	v_not_b32_e32 v10, v18
	v_lshlrev_b32_e32 v26, 24, v19
	v_not_b32_e32 v18, v21
	v_not_b32_e32 v21, v22
	;; [unrolled: 1-line block ×3, first 2 shown]
	v_ashrrev_i32_e32 v10, 31, v10
	v_not_b32_e32 v23, v24
	v_dual_ashrrev_i32 v18, 31, v18 :: v_dual_bitop2_b32 v5, vcc_lo, v5 bitop3:0x14
	s_delay_alu instid0(VALU_DEP_3)
	v_dual_ashrrev_i32 v21, 31, v21 :: v_dual_bitop2_b32 v10, s0, v10 bitop3:0x14
	v_cmp_gt_i32_e64 s5, 0, v24
	v_cmp_gt_i32_e64 s6, 0, v25
	v_not_b32_e32 v24, v25
	v_not_b32_e32 v25, v26
	v_dual_ashrrev_i32 v22, 31, v22 :: v_dual_ashrrev_i32 v23, 31, v23
	v_xor_b32_e32 v18, s1, v18
	v_dual_lshrrev_b32 v0, 5, v0 :: v_dual_bitop2_b32 v21, s3, v21 bitop3:0x14
	v_bitop3_b32 v5, v5, v10, exec_lo bitop3:0x80
	v_cmp_gt_i32_e64 s7, 0, v26
	v_dual_ashrrev_i32 v10, 31, v24 :: v_dual_ashrrev_i32 v24, 31, v25
	v_xor_b32_e32 v22, s4, v22
	v_dual_lshlrev_b32 v0, 2, v0 :: v_dual_bitop2_b32 v23, s5, v23 bitop3:0x14
	v_bitop3_b32 v5, v5, v21, v18 bitop3:0x80
	s_delay_alu instid0(VALU_DEP_4)
	v_xor_b32_e32 v18, s6, v10
	v_xor_b32_e32 v21, s7, v24
	v_mul_u32_u24_e32 v10, 36, v14
	ds_store_2addr_b32 v10, v11, v11 offset0:16 offset1:17
	ds_store_2addr_b32 v10, v11, v11 offset0:18 offset1:19
	;; [unrolled: 1-line block ×4, first 2 shown]
	v_bitop3_b32 v5, v5, v23, v22 bitop3:0x80
	ds_store_b32 v10, v11 offset:96
	v_mad_u32 v11, 0x44, v19, v0
	s_not_b32 s6, s13
	s_wait_storecnt 0x0
	s_wait_loadcnt_dscnt 0x0
	v_bitop3_b32 v18, v5, v21, v18 bitop3:0x80
	s_barrier_signal -1
	s_barrier_wait -1
	s_delay_alu instid0(VALU_DEP_1) | instskip(SKIP_1) | instid1(VALU_DEP_2)
	v_mbcnt_lo_u32_b32 v5, v18, 0
	v_cmp_ne_u32_e64 s0, 0, v18
	; wave barrier
	v_cmp_eq_u32_e32 vcc_lo, 0, v5
	s_and_b32 s1, s0, vcc_lo
	s_delay_alu instid0(SALU_CYCLE_1)
	s_and_saveexec_b32 s0, s1
; %bb.96:
	v_bcnt_u32_b32 v18, v18, 0
	ds_store_b32 v11, v18 offset:64
; %bb.97:
	s_or_b32 exec_lo, exec_lo, s0
	v_xor_b32_e32 v18, 0x80000000, v12
	; wave barrier
	s_delay_alu instid0(VALU_DEP_1) | instskip(NEXT) | instid1(VALU_DEP_1)
	v_lshrrev_b32_e32 v12, s16, v18
	v_and_b32_e32 v19, s6, v12
	s_delay_alu instid0(VALU_DEP_1) | instskip(SKIP_1) | instid1(VALU_DEP_1)
	v_lshlrev_b32_e32 v23, 30, v19
	v_bitop3_b32 v21, v12, 1, s6 bitop3:0x80
	v_add_co_u32 v21, s0, v21, -1
	s_delay_alu instid0(VALU_DEP_1) | instskip(NEXT) | instid1(VALU_DEP_4)
	v_cndmask_b32_e64 v22, 0, 1, s0
	v_cmp_gt_i32_e64 s0, 0, v23
	s_delay_alu instid0(VALU_DEP_2) | instskip(SKIP_1) | instid1(VALU_DEP_1)
	v_cmp_ne_u32_e32 vcc_lo, 0, v22
	v_not_b32_e32 v22, v23
	v_dual_ashrrev_i32 v22, 31, v22 :: v_dual_lshlrev_b32 v24, 29, v19
	v_dual_lshlrev_b32 v25, 28, v19 :: v_dual_lshlrev_b32 v26, 27, v19
	v_lshlrev_b32_e32 v27, 26, v19
	v_mad_u32 v12, 0x44, v19, v0
	s_delay_alu instid0(VALU_DEP_4)
	v_cmp_gt_i32_e64 s1, 0, v24
	v_not_b32_e32 v23, v24
	v_not_b32_e32 v24, v25
	v_dual_lshlrev_b32 v28, 25, v19 :: v_dual_lshlrev_b32 v19, 24, v19
	v_cmp_gt_i32_e64 s3, 0, v25
	v_cmp_gt_i32_e64 s4, 0, v26
	v_not_b32_e32 v25, v26
	v_not_b32_e32 v26, v27
	v_dual_ashrrev_i32 v23, 31, v23 :: v_dual_bitop2_b32 v21, vcc_lo, v21 bitop3:0x14
	v_dual_ashrrev_i32 v24, 31, v24 :: v_dual_bitop2_b32 v22, s0, v22 bitop3:0x14
	v_cmp_gt_i32_e64 s5, 0, v27
	s_delay_alu instid0(VALU_DEP_4) | instskip(SKIP_1) | instid1(VALU_DEP_4)
	v_dual_ashrrev_i32 v25, 31, v25 :: v_dual_ashrrev_i32 v26, 31, v26
	v_not_b32_e32 v27, v19
	v_xor_b32_e32 v24, s3, v24
	v_bitop3_b32 v21, v21, v22, exec_lo bitop3:0x80
	v_not_b32_e32 v22, v28
	v_xor_b32_e32 v23, s1, v23
	v_xor_b32_e32 v25, s4, v25
	;; [unrolled: 1-line block ×3, first 2 shown]
	v_cmp_gt_i32_e32 vcc_lo, 0, v28
	v_ashrrev_i32_e32 v22, 31, v22
	v_cmp_gt_i32_e64 s0, 0, v19
	v_ashrrev_i32_e32 v19, 31, v27
	v_bitop3_b32 v21, v21, v24, v23 bitop3:0x80
	s_delay_alu instid0(VALU_DEP_4) | instskip(NEXT) | instid1(VALU_DEP_3)
	v_xor_b32_e32 v22, vcc_lo, v22
	v_xor_b32_e32 v19, s0, v19
	s_delay_alu instid0(VALU_DEP_3) | instskip(SKIP_2) | instid1(VALU_DEP_1)
	v_bitop3_b32 v23, v21, v26, v25 bitop3:0x80
	ds_load_b32 v21, v12 offset:64
	; wave barrier
	v_bitop3_b32 v19, v23, v19, v22 bitop3:0x80
	v_mbcnt_lo_u32_b32 v22, v19, 0
	v_cmp_ne_u32_e64 s0, 0, v19
	s_delay_alu instid0(VALU_DEP_2) | instskip(SKIP_1) | instid1(SALU_CYCLE_1)
	v_cmp_eq_u32_e32 vcc_lo, 0, v22
	s_and_b32 s1, s0, vcc_lo
	s_and_saveexec_b32 s0, s1
	s_cbranch_execz .LBB960_99
; %bb.98:
	s_wait_dscnt 0x0
	v_bcnt_u32_b32 v19, v19, v21
	ds_store_b32 v12, v19 offset:64
.LBB960_99:
	s_or_b32 exec_lo, exec_lo, s0
	v_xor_b32_e32 v19, 0x80000000, v13
	; wave barrier
	s_delay_alu instid0(VALU_DEP_1) | instskip(NEXT) | instid1(VALU_DEP_1)
	v_lshrrev_b32_e32 v13, s16, v19
	v_bitop3_b32 v24, v13, 1, s6 bitop3:0x80
	v_and_b32_e32 v23, s6, v13
	s_delay_alu instid0(VALU_DEP_2) | instskip(NEXT) | instid1(VALU_DEP_1)
	v_add_co_u32 v24, s0, v24, -1
	v_cndmask_b32_e64 v25, 0, 1, s0
	s_delay_alu instid0(VALU_DEP_3) | instskip(NEXT) | instid1(VALU_DEP_2)
	v_dual_lshlrev_b32 v26, 30, v23 :: v_dual_lshlrev_b32 v27, 29, v23
	v_cmp_ne_u32_e32 vcc_lo, 0, v25
	s_delay_alu instid0(VALU_DEP_2) | instskip(SKIP_1) | instid1(VALU_DEP_4)
	v_cmp_gt_i32_e64 s0, 0, v26
	v_not_b32_e32 v25, v26
	v_not_b32_e32 v26, v27
	v_cmp_gt_i32_e64 s1, 0, v27
	s_delay_alu instid0(VALU_DEP_3) | instskip(NEXT) | instid1(VALU_DEP_3)
	v_dual_ashrrev_i32 v25, 31, v25 :: v_dual_bitop2_b32 v24, vcc_lo, v24 bitop3:0x14
	v_dual_ashrrev_i32 v26, 31, v26 :: v_dual_lshlrev_b32 v28, 28, v23
	v_dual_lshlrev_b32 v29, 27, v23 :: v_dual_lshlrev_b32 v30, 26, v23
	v_lshlrev_b32_e32 v31, 25, v23
	v_mad_u32 v13, 0x44, v23, v0
	s_delay_alu instid0(VALU_DEP_4)
	v_not_b32_e32 v27, v28
	v_lshlrev_b32_e32 v23, 24, v23
	v_cmp_gt_i32_e64 s3, 0, v28
	v_cmp_gt_i32_e64 s4, 0, v29
	v_not_b32_e32 v28, v29
	v_not_b32_e32 v29, v30
	v_dual_ashrrev_i32 v27, 31, v27 :: v_dual_bitop2_b32 v25, s0, v25 bitop3:0x14
	v_cmp_gt_i32_e64 s5, 0, v30
	s_delay_alu instid0(VALU_DEP_3) | instskip(SKIP_1) | instid1(VALU_DEP_4)
	v_dual_ashrrev_i32 v28, 31, v28 :: v_dual_ashrrev_i32 v29, 31, v29
	v_not_b32_e32 v30, v23
	v_xor_b32_e32 v27, s3, v27
	v_bitop3_b32 v24, v24, v25, exec_lo bitop3:0x80
	v_not_b32_e32 v25, v31
	v_xor_b32_e32 v26, s1, v26
	v_xor_b32_e32 v28, s4, v28
	;; [unrolled: 1-line block ×3, first 2 shown]
	v_cmp_gt_i32_e32 vcc_lo, 0, v31
	v_ashrrev_i32_e32 v25, 31, v25
	v_cmp_gt_i32_e64 s0, 0, v23
	v_ashrrev_i32_e32 v23, 31, v30
	v_bitop3_b32 v24, v24, v27, v26 bitop3:0x80
	s_delay_alu instid0(VALU_DEP_4) | instskip(NEXT) | instid1(VALU_DEP_3)
	v_xor_b32_e32 v25, vcc_lo, v25
	v_xor_b32_e32 v23, s0, v23
	s_delay_alu instid0(VALU_DEP_3) | instskip(SKIP_2) | instid1(VALU_DEP_1)
	v_bitop3_b32 v26, v24, v29, v28 bitop3:0x80
	ds_load_b32 v24, v13 offset:64
	; wave barrier
	v_bitop3_b32 v23, v26, v23, v25 bitop3:0x80
	v_mbcnt_lo_u32_b32 v25, v23, 0
	v_cmp_ne_u32_e64 s0, 0, v23
	s_delay_alu instid0(VALU_DEP_2) | instskip(SKIP_1) | instid1(SALU_CYCLE_1)
	v_cmp_eq_u32_e32 vcc_lo, 0, v25
	s_and_b32 s1, s0, vcc_lo
	s_and_saveexec_b32 s0, s1
	s_cbranch_execz .LBB960_101
; %bb.100:
	s_wait_dscnt 0x0
	v_bcnt_u32_b32 v23, v23, v24
	ds_store_b32 v13, v23 offset:64
.LBB960_101:
	s_or_b32 exec_lo, exec_lo, s0
	v_xor_b32_e32 v20, 0x80000000, v20
	; wave barrier
	s_delay_alu instid0(VALU_DEP_1) | instskip(NEXT) | instid1(VALU_DEP_1)
	v_lshrrev_b32_e32 v23, s16, v20
	v_and_b32_e32 v26, s6, v23
	s_delay_alu instid0(VALU_DEP_1) | instskip(SKIP_2) | instid1(VALU_DEP_2)
	v_lshlrev_b32_e32 v28, 30, v26
	v_bitop3_b32 v23, v23, 1, s6 bitop3:0x80
	v_lshlrev_b32_e32 v29, 29, v26
	v_add_co_u32 v23, s0, v23, -1
	s_delay_alu instid0(VALU_DEP_1) | instskip(SKIP_1) | instid1(VALU_DEP_2)
	v_cndmask_b32_e64 v27, 0, 1, s0
	v_cmp_gt_i32_e64 s0, 0, v28
	v_cmp_ne_u32_e32 vcc_lo, 0, v27
	v_not_b32_e32 v27, v28
	v_not_b32_e32 v28, v29
	s_delay_alu instid0(VALU_DEP_1)
	v_dual_ashrrev_i32 v28, 31, v28 :: v_dual_lshlrev_b32 v30, 28, v26
	v_mad_u32 v33, 0x44, v26, v0
	v_dual_lshlrev_b32 v31, 27, v26 :: v_dual_lshlrev_b32 v32, 26, v26
	v_dual_lshlrev_b32 v34, 25, v26 :: v_dual_lshlrev_b32 v26, 24, v26
	v_cmp_gt_i32_e64 s1, 0, v29
	v_not_b32_e32 v29, v30
	v_ashrrev_i32_e32 v27, 31, v27
	v_cmp_gt_i32_e64 s3, 0, v30
	v_cmp_gt_i32_e64 s4, 0, v31
	v_not_b32_e32 v30, v31
	v_cmp_gt_i32_e64 s5, 0, v32
	v_not_b32_e32 v31, v32
	v_dual_ashrrev_i32 v29, 31, v29 :: v_dual_bitop2_b32 v23, vcc_lo, v23 bitop3:0x14
	v_not_b32_e32 v32, v26
	v_dual_ashrrev_i32 v30, 31, v30 :: v_dual_bitop2_b32 v27, s0, v27 bitop3:0x14
	s_delay_alu instid0(VALU_DEP_4) | instskip(SKIP_1) | instid1(VALU_DEP_4)
	v_dual_ashrrev_i32 v31, 31, v31 :: v_dual_bitop2_b32 v28, s1, v28 bitop3:0x14
	v_cmp_gt_i32_e64 s0, 0, v26
	v_ashrrev_i32_e32 v26, 31, v32
	s_delay_alu instid0(VALU_DEP_4)
	v_bitop3_b32 v23, v23, v27, exec_lo bitop3:0x80
	v_not_b32_e32 v27, v34
	v_xor_b32_e32 v29, s3, v29
	v_xor_b32_e32 v30, s4, v30
	v_xor_b32_e32 v31, s5, v31
	v_cmp_gt_i32_e32 vcc_lo, 0, v34
	v_ashrrev_i32_e32 v27, 31, v27
	v_bitop3_b32 v23, v23, v29, v28 bitop3:0x80
	v_xor_b32_e32 v26, s0, v26
	s_delay_alu instid0(VALU_DEP_3) | instskip(NEXT) | instid1(VALU_DEP_3)
	v_xor_b32_e32 v28, vcc_lo, v27
	v_bitop3_b32 v23, v23, v31, v30 bitop3:0x80
	ds_load_b32 v27, v33 offset:64
	; wave barrier
	v_bitop3_b32 v23, v23, v26, v28 bitop3:0x80
	s_delay_alu instid0(VALU_DEP_1) | instskip(SKIP_1) | instid1(VALU_DEP_2)
	v_mbcnt_lo_u32_b32 v28, v23, 0
	v_cmp_ne_u32_e64 s0, 0, v23
	v_cmp_eq_u32_e32 vcc_lo, 0, v28
	s_and_b32 s1, s0, vcc_lo
	s_delay_alu instid0(SALU_CYCLE_1)
	s_and_saveexec_b32 s0, s1
	s_cbranch_execz .LBB960_103
; %bb.102:
	s_wait_dscnt 0x0
	v_bcnt_u32_b32 v23, v23, v27
	ds_store_b32 v33, v23 offset:64
.LBB960_103:
	s_or_b32 exec_lo, exec_lo, s0
	v_xor_b32_e32 v23, 0x80000000, v9
	; wave barrier
	s_delay_alu instid0(VALU_DEP_1) | instskip(NEXT) | instid1(VALU_DEP_1)
	v_lshrrev_b32_e32 v9, s16, v23
	v_and_b32_e32 v26, s6, v9
	s_delay_alu instid0(VALU_DEP_1) | instskip(SKIP_2) | instid1(VALU_DEP_2)
	v_lshlrev_b32_e32 v30, 30, v26
	v_bitop3_b32 v9, v9, 1, s6 bitop3:0x80
	v_lshlrev_b32_e32 v31, 29, v26
	v_add_co_u32 v9, s0, v9, -1
	s_delay_alu instid0(VALU_DEP_1) | instskip(SKIP_1) | instid1(VALU_DEP_2)
	v_cndmask_b32_e64 v29, 0, 1, s0
	v_cmp_gt_i32_e64 s0, 0, v30
	v_cmp_ne_u32_e32 vcc_lo, 0, v29
	v_not_b32_e32 v29, v30
	v_not_b32_e32 v30, v31
	s_delay_alu instid0(VALU_DEP_1) | instskip(SKIP_4) | instid1(VALU_DEP_4)
	v_ashrrev_i32_e32 v30, 31, v30
	v_dual_lshlrev_b32 v32, 28, v26 :: v_dual_lshlrev_b32 v34, 27, v26
	v_lshlrev_b32_e32 v35, 26, v26
	v_cmp_gt_i32_e64 s1, 0, v31
	v_mad_u32 v37, 0x44, v26, v0
	v_not_b32_e32 v31, v32
	v_dual_ashrrev_i32 v29, 31, v29 :: v_dual_lshlrev_b32 v36, 25, v26
	v_lshlrev_b32_e32 v26, 24, v26
	v_cmp_gt_i32_e64 s3, 0, v32
	v_cmp_gt_i32_e64 s4, 0, v34
	v_not_b32_e32 v32, v34
	v_not_b32_e32 v34, v35
	v_dual_ashrrev_i32 v31, 31, v31 :: v_dual_bitop2_b32 v9, vcc_lo, v9 bitop3:0x14
	v_xor_b32_e32 v29, s0, v29
	v_cmp_gt_i32_e64 s5, 0, v35
	s_delay_alu instid0(VALU_DEP_4) | instskip(NEXT) | instid1(VALU_DEP_4)
	v_dual_ashrrev_i32 v32, 31, v32 :: v_dual_ashrrev_i32 v34, 31, v34
	v_xor_b32_e32 v31, s3, v31
	s_delay_alu instid0(VALU_DEP_4)
	v_bitop3_b32 v9, v9, v29, exec_lo bitop3:0x80
	v_not_b32_e32 v29, v36
	v_xor_b32_e32 v30, s1, v30
	v_not_b32_e32 v35, v26
	v_xor_b32_e32 v32, s4, v32
	v_xor_b32_e32 v34, s5, v34
	v_cmp_gt_i32_e32 vcc_lo, 0, v36
	v_ashrrev_i32_e32 v29, 31, v29
	v_bitop3_b32 v9, v9, v31, v30 bitop3:0x80
	v_cmp_gt_i32_e64 s0, 0, v26
	v_ashrrev_i32_e32 v26, 31, v35
	ds_load_b32 v30, v37 offset:64
	v_xor_b32_e32 v29, vcc_lo, v29
	v_bitop3_b32 v9, v9, v34, v32 bitop3:0x80
	v_xor_b32_e32 v26, s0, v26
	; wave barrier
	s_delay_alu instid0(VALU_DEP_1) | instskip(NEXT) | instid1(VALU_DEP_1)
	v_bitop3_b32 v9, v9, v26, v29 bitop3:0x80
	v_mbcnt_lo_u32_b32 v31, v9, 0
	v_cmp_ne_u32_e64 s0, 0, v9
	s_delay_alu instid0(VALU_DEP_2) | instskip(SKIP_1) | instid1(SALU_CYCLE_1)
	v_cmp_eq_u32_e32 vcc_lo, 0, v31
	s_and_b32 s1, s0, vcc_lo
	s_and_saveexec_b32 s0, s1
	s_cbranch_execz .LBB960_105
; %bb.104:
	s_wait_dscnt 0x0
	v_bcnt_u32_b32 v9, v9, v30
	ds_store_b32 v37, v9 offset:64
.LBB960_105:
	s_or_b32 exec_lo, exec_lo, s0
	v_xor_b32_e32 v26, 0x80000000, v8
	; wave barrier
	s_delay_alu instid0(VALU_DEP_1) | instskip(NEXT) | instid1(VALU_DEP_1)
	v_lshrrev_b32_e32 v8, s16, v26
	v_and_b32_e32 v9, s6, v8
	s_delay_alu instid0(VALU_DEP_1) | instskip(SKIP_1) | instid1(VALU_DEP_1)
	v_lshlrev_b32_e32 v32, 30, v9
	v_bitop3_b32 v8, v8, 1, s6 bitop3:0x80
	v_add_co_u32 v8, s0, v8, -1
	s_delay_alu instid0(VALU_DEP_1) | instskip(NEXT) | instid1(VALU_DEP_4)
	v_cndmask_b32_e64 v29, 0, 1, s0
	v_cmp_gt_i32_e64 s0, 0, v32
	s_delay_alu instid0(VALU_DEP_2) | instskip(SKIP_1) | instid1(VALU_DEP_1)
	v_cmp_ne_u32_e32 vcc_lo, 0, v29
	v_not_b32_e32 v29, v32
	v_ashrrev_i32_e32 v29, 31, v29
	v_dual_lshlrev_b32 v34, 29, v9 :: v_dual_lshlrev_b32 v35, 28, v9
	v_dual_lshlrev_b32 v36, 27, v9 :: v_dual_lshlrev_b32 v38, 26, v9
	v_mad_u32 v40, 0x44, v9, v0
	s_delay_alu instid0(VALU_DEP_3)
	v_cmp_gt_i32_e64 s1, 0, v34
	v_not_b32_e32 v32, v34
	v_not_b32_e32 v34, v35
	v_dual_lshlrev_b32 v39, 25, v9 :: v_dual_lshlrev_b32 v9, 24, v9
	v_cmp_gt_i32_e64 s3, 0, v35
	v_cmp_gt_i32_e64 s4, 0, v36
	v_not_b32_e32 v35, v36
	v_not_b32_e32 v36, v38
	v_dual_ashrrev_i32 v34, 31, v34 :: v_dual_bitop2_b32 v8, vcc_lo, v8 bitop3:0x14
	v_dual_ashrrev_i32 v32, 31, v32 :: v_dual_bitop2_b32 v29, s0, v29 bitop3:0x14
	v_cmp_gt_i32_e64 s5, 0, v38
	s_delay_alu instid0(VALU_DEP_4) | instskip(NEXT) | instid1(VALU_DEP_4)
	v_dual_ashrrev_i32 v35, 31, v35 :: v_dual_ashrrev_i32 v36, 31, v36
	v_xor_b32_e32 v34, s3, v34
	s_delay_alu instid0(VALU_DEP_4)
	v_bitop3_b32 v8, v8, v29, exec_lo bitop3:0x80
	v_not_b32_e32 v29, v39
	v_xor_b32_e32 v32, s1, v32
	v_not_b32_e32 v38, v9
	v_xor_b32_e32 v35, s4, v35
	v_xor_b32_e32 v36, s5, v36
	v_cmp_gt_i32_e32 vcc_lo, 0, v39
	v_ashrrev_i32_e32 v29, 31, v29
	v_bitop3_b32 v8, v8, v34, v32 bitop3:0x80
	v_cmp_gt_i32_e64 s0, 0, v9
	v_ashrrev_i32_e32 v9, 31, v38
	ds_load_b32 v34, v40 offset:64
	v_xor_b32_e32 v29, vcc_lo, v29
	v_bitop3_b32 v8, v8, v36, v35 bitop3:0x80
	v_xor_b32_e32 v9, s0, v9
	; wave barrier
	s_delay_alu instid0(VALU_DEP_1) | instskip(NEXT) | instid1(VALU_DEP_1)
	v_bitop3_b32 v8, v8, v9, v29 bitop3:0x80
	v_mbcnt_lo_u32_b32 v35, v8, 0
	v_cmp_ne_u32_e64 s0, 0, v8
	s_delay_alu instid0(VALU_DEP_2) | instskip(SKIP_1) | instid1(SALU_CYCLE_1)
	v_cmp_eq_u32_e32 vcc_lo, 0, v35
	s_and_b32 s1, s0, vcc_lo
	s_and_saveexec_b32 s0, s1
	s_cbranch_execz .LBB960_107
; %bb.106:
	s_wait_dscnt 0x0
	v_bcnt_u32_b32 v8, v8, v34
	ds_store_b32 v40, v8 offset:64
.LBB960_107:
	s_or_b32 exec_lo, exec_lo, s0
	v_xor_b32_e32 v29, 0x80000000, v7
	; wave barrier
	s_delay_alu instid0(VALU_DEP_1) | instskip(NEXT) | instid1(VALU_DEP_1)
	v_lshrrev_b32_e32 v7, s16, v29
	v_and_b32_e32 v8, s6, v7
	s_delay_alu instid0(VALU_DEP_1) | instskip(SKIP_1) | instid1(VALU_DEP_1)
	v_lshlrev_b32_e32 v32, 30, v8
	v_bitop3_b32 v7, v7, 1, s6 bitop3:0x80
	v_add_co_u32 v7, s0, v7, -1
	s_delay_alu instid0(VALU_DEP_1) | instskip(NEXT) | instid1(VALU_DEP_4)
	v_cndmask_b32_e64 v9, 0, 1, s0
	v_cmp_gt_i32_e64 s0, 0, v32
	s_delay_alu instid0(VALU_DEP_2) | instskip(SKIP_1) | instid1(VALU_DEP_1)
	v_cmp_ne_u32_e32 vcc_lo, 0, v9
	v_not_b32_e32 v9, v32
	v_dual_ashrrev_i32 v9, 31, v9 :: v_dual_lshlrev_b32 v36, 29, v8
	v_dual_lshlrev_b32 v38, 28, v8 :: v_dual_lshlrev_b32 v39, 27, v8
	v_lshlrev_b32_e32 v41, 26, v8
	v_mad_u32 v44, 0x44, v8, v0
	s_delay_alu instid0(VALU_DEP_4)
	v_cmp_gt_i32_e64 s1, 0, v36
	v_not_b32_e32 v32, v36
	v_not_b32_e32 v36, v38
	v_dual_lshlrev_b32 v42, 25, v8 :: v_dual_lshlrev_b32 v8, 24, v8
	v_cmp_gt_i32_e64 s3, 0, v38
	v_cmp_gt_i32_e64 s4, 0, v39
	v_not_b32_e32 v38, v39
	v_not_b32_e32 v39, v41
	v_dual_ashrrev_i32 v32, 31, v32 :: v_dual_bitop2_b32 v7, vcc_lo, v7 bitop3:0x14
	v_dual_ashrrev_i32 v36, 31, v36 :: v_dual_bitop2_b32 v9, s0, v9 bitop3:0x14
	v_cmp_gt_i32_e64 s5, 0, v41
	s_delay_alu instid0(VALU_DEP_4) | instskip(SKIP_1) | instid1(VALU_DEP_4)
	v_dual_ashrrev_i32 v38, 31, v38 :: v_dual_ashrrev_i32 v39, 31, v39
	v_not_b32_e32 v41, v8
	v_xor_b32_e32 v36, s3, v36
	v_bitop3_b32 v7, v7, v9, exec_lo bitop3:0x80
	v_not_b32_e32 v9, v42
	v_xor_b32_e32 v32, s1, v32
	v_xor_b32_e32 v38, s4, v38
	;; [unrolled: 1-line block ×3, first 2 shown]
	v_cmp_gt_i32_e32 vcc_lo, 0, v42
	v_ashrrev_i32_e32 v9, 31, v9
	v_cmp_gt_i32_e64 s0, 0, v8
	v_ashrrev_i32_e32 v8, 31, v41
	v_bitop3_b32 v7, v7, v36, v32 bitop3:0x80
	s_delay_alu instid0(VALU_DEP_4) | instskip(NEXT) | instid1(VALU_DEP_3)
	v_xor_b32_e32 v9, vcc_lo, v9
	v_xor_b32_e32 v8, s0, v8
	s_delay_alu instid0(VALU_DEP_3) | instskip(SKIP_2) | instid1(VALU_DEP_1)
	v_bitop3_b32 v7, v7, v39, v38 bitop3:0x80
	ds_load_b32 v38, v44 offset:64
	; wave barrier
	v_bitop3_b32 v7, v7, v8, v9 bitop3:0x80
	v_mbcnt_lo_u32_b32 v39, v7, 0
	v_cmp_ne_u32_e64 s0, 0, v7
	s_delay_alu instid0(VALU_DEP_2) | instskip(SKIP_1) | instid1(SALU_CYCLE_1)
	v_cmp_eq_u32_e32 vcc_lo, 0, v39
	s_and_b32 s1, s0, vcc_lo
	s_and_saveexec_b32 s0, s1
	s_cbranch_execz .LBB960_109
; %bb.108:
	s_wait_dscnt 0x0
	v_bcnt_u32_b32 v7, v7, v38
	ds_store_b32 v44, v7 offset:64
.LBB960_109:
	s_or_b32 exec_lo, exec_lo, s0
	v_xor_b32_e32 v32, 0x80000000, v6
	; wave barrier
	s_delay_alu instid0(VALU_DEP_1) | instskip(NEXT) | instid1(VALU_DEP_1)
	v_lshrrev_b32_e32 v6, s16, v32
	v_and_b32_e32 v7, s6, v6
	s_delay_alu instid0(VALU_DEP_1) | instskip(SKIP_1) | instid1(VALU_DEP_1)
	v_lshlrev_b32_e32 v9, 30, v7
	v_bitop3_b32 v6, v6, 1, s6 bitop3:0x80
	v_add_co_u32 v6, s0, v6, -1
	s_delay_alu instid0(VALU_DEP_1) | instskip(NEXT) | instid1(VALU_DEP_4)
	v_cndmask_b32_e64 v8, 0, 1, s0
	v_cmp_gt_i32_e64 s0, 0, v9
	s_delay_alu instid0(VALU_DEP_2) | instskip(SKIP_1) | instid1(VALU_DEP_1)
	v_cmp_ne_u32_e32 vcc_lo, 0, v8
	v_not_b32_e32 v8, v9
	v_dual_ashrrev_i32 v8, 31, v8 :: v_dual_lshlrev_b32 v36, 29, v7
	v_dual_lshlrev_b32 v41, 28, v7 :: v_dual_lshlrev_b32 v42, 27, v7
	v_lshlrev_b32_e32 v43, 26, v7
	v_mad_u32 v47, 0x44, v7, v0
	s_delay_alu instid0(VALU_DEP_4)
	v_cmp_gt_i32_e64 s1, 0, v36
	v_not_b32_e32 v9, v36
	v_not_b32_e32 v36, v41
	v_dual_lshlrev_b32 v45, 25, v7 :: v_dual_lshlrev_b32 v7, 24, v7
	v_cmp_gt_i32_e64 s3, 0, v41
	v_cmp_gt_i32_e64 s4, 0, v42
	v_not_b32_e32 v41, v42
	v_not_b32_e32 v42, v43
	v_dual_ashrrev_i32 v9, 31, v9 :: v_dual_bitop2_b32 v6, vcc_lo, v6 bitop3:0x14
	s_delay_alu instid0(VALU_DEP_3) | instskip(NEXT) | instid1(VALU_DEP_3)
	v_dual_ashrrev_i32 v36, 31, v36 :: v_dual_ashrrev_i32 v41, 31, v41
	v_dual_ashrrev_i32 v42, 31, v42 :: v_dual_bitop2_b32 v8, s0, v8 bitop3:0x14
	v_cmp_gt_i32_e64 s5, 0, v43
	v_not_b32_e32 v43, v7
	s_delay_alu instid0(VALU_DEP_4) | instskip(NEXT) | instid1(VALU_DEP_4)
	v_xor_b32_e32 v36, s3, v36
	v_bitop3_b32 v6, v6, v8, exec_lo bitop3:0x80
	v_not_b32_e32 v8, v45
	v_xor_b32_e32 v9, s1, v9
	v_xor_b32_e32 v41, s4, v41
	v_xor_b32_e32 v42, s5, v42
	v_cmp_gt_i32_e32 vcc_lo, 0, v45
	v_ashrrev_i32_e32 v8, 31, v8
	v_cmp_gt_i32_e64 s0, 0, v7
	v_ashrrev_i32_e32 v7, 31, v43
	v_bitop3_b32 v6, v6, v36, v9 bitop3:0x80
	s_delay_alu instid0(VALU_DEP_4) | instskip(NEXT) | instid1(VALU_DEP_3)
	v_xor_b32_e32 v8, vcc_lo, v8
	v_xor_b32_e32 v7, s0, v7
	s_delay_alu instid0(VALU_DEP_3) | instskip(SKIP_2) | instid1(VALU_DEP_1)
	v_bitop3_b32 v6, v6, v42, v41 bitop3:0x80
	ds_load_b32 v42, v47 offset:64
	; wave barrier
	v_bitop3_b32 v6, v6, v7, v8 bitop3:0x80
	v_mbcnt_lo_u32_b32 v43, v6, 0
	v_cmp_ne_u32_e64 s0, 0, v6
	s_delay_alu instid0(VALU_DEP_2) | instskip(SKIP_1) | instid1(SALU_CYCLE_1)
	v_cmp_eq_u32_e32 vcc_lo, 0, v43
	s_and_b32 s1, s0, vcc_lo
	s_and_saveexec_b32 s0, s1
	s_cbranch_execz .LBB960_111
; %bb.110:
	s_wait_dscnt 0x0
	v_bcnt_u32_b32 v6, v6, v42
	ds_store_b32 v47, v6 offset:64
.LBB960_111:
	s_or_b32 exec_lo, exec_lo, s0
	v_xor_b32_e32 v36, 0x80000000, v4
	; wave barrier
	s_delay_alu instid0(VALU_DEP_1) | instskip(NEXT) | instid1(VALU_DEP_1)
	v_lshrrev_b32_e32 v4, s16, v36
	v_and_b32_e32 v6, s6, v4
	s_delay_alu instid0(VALU_DEP_1) | instskip(SKIP_1) | instid1(VALU_DEP_1)
	v_lshlrev_b32_e32 v8, 30, v6
	v_bitop3_b32 v4, v4, 1, s6 bitop3:0x80
	v_add_co_u32 v4, s0, v4, -1
	s_delay_alu instid0(VALU_DEP_1) | instskip(NEXT) | instid1(VALU_DEP_4)
	v_cndmask_b32_e64 v7, 0, 1, s0
	v_cmp_gt_i32_e64 s0, 0, v8
	s_delay_alu instid0(VALU_DEP_2) | instskip(SKIP_1) | instid1(VALU_DEP_1)
	v_cmp_ne_u32_e32 vcc_lo, 0, v7
	v_not_b32_e32 v7, v8
	v_dual_ashrrev_i32 v7, 31, v7 :: v_dual_lshlrev_b32 v9, 29, v6
	v_dual_lshlrev_b32 v41, 28, v6 :: v_dual_lshlrev_b32 v45, 27, v6
	v_lshlrev_b32_e32 v46, 26, v6
	v_mad_u32 v51, 0x44, v6, v0
	s_delay_alu instid0(VALU_DEP_4)
	v_cmp_gt_i32_e64 s1, 0, v9
	v_not_b32_e32 v8, v9
	v_not_b32_e32 v9, v41
	v_dual_lshlrev_b32 v48, 25, v6 :: v_dual_lshlrev_b32 v6, 24, v6
	v_cmp_gt_i32_e64 s3, 0, v41
	v_cmp_gt_i32_e64 s4, 0, v45
	v_not_b32_e32 v41, v45
	v_not_b32_e32 v45, v46
	v_dual_ashrrev_i32 v9, 31, v9 :: v_dual_bitop2_b32 v4, vcc_lo, v4 bitop3:0x14
	v_dual_ashrrev_i32 v8, 31, v8 :: v_dual_bitop2_b32 v7, s0, v7 bitop3:0x14
	v_cmp_gt_i32_e64 s5, 0, v46
	v_ashrrev_i32_e32 v41, 31, v41
	v_not_b32_e32 v46, v6
	s_delay_alu instid0(VALU_DEP_4)
	v_xor_b32_e32 v8, s1, v8
	v_xor_b32_e32 v9, s3, v9
	v_bitop3_b32 v4, v4, v7, exec_lo bitop3:0x80
	v_not_b32_e32 v7, v48
	v_ashrrev_i32_e32 v45, 31, v45
	v_xor_b32_e32 v41, s4, v41
	v_cmp_gt_i32_e32 vcc_lo, 0, v48
	v_cmp_gt_i32_e64 s0, 0, v6
	s_delay_alu instid0(VALU_DEP_4)
	v_dual_ashrrev_i32 v7, 31, v7 :: v_dual_bitop2_b32 v45, s5, v45 bitop3:0x14
	v_ashrrev_i32_e32 v6, 31, v46
	v_bitop3_b32 v4, v4, v9, v8 bitop3:0x80
	ds_load_b32 v46, v51 offset:64
	v_xor_b32_e32 v7, vcc_lo, v7
	v_xor_b32_e32 v6, s0, v6
	v_bitop3_b32 v4, v4, v45, v41 bitop3:0x80
	; wave barrier
	s_delay_alu instid0(VALU_DEP_1) | instskip(NEXT) | instid1(VALU_DEP_1)
	v_bitop3_b32 v4, v4, v6, v7 bitop3:0x80
	v_mbcnt_lo_u32_b32 v48, v4, 0
	v_cmp_ne_u32_e64 s0, 0, v4
	s_delay_alu instid0(VALU_DEP_2) | instskip(SKIP_1) | instid1(SALU_CYCLE_1)
	v_cmp_eq_u32_e32 vcc_lo, 0, v48
	s_and_b32 s1, s0, vcc_lo
	s_and_saveexec_b32 s0, s1
	s_cbranch_execz .LBB960_113
; %bb.112:
	s_wait_dscnt 0x0
	v_bcnt_u32_b32 v4, v4, v46
	ds_store_b32 v51, v4 offset:64
.LBB960_113:
	s_or_b32 exec_lo, exec_lo, s0
	v_xor_b32_e32 v41, 0x80000000, v3
	; wave barrier
	s_delay_alu instid0(VALU_DEP_1) | instskip(NEXT) | instid1(VALU_DEP_1)
	v_lshrrev_b32_e32 v3, s16, v41
	v_and_b32_e32 v4, s6, v3
	s_delay_alu instid0(VALU_DEP_1) | instskip(SKIP_1) | instid1(VALU_DEP_1)
	v_lshlrev_b32_e32 v7, 30, v4
	v_bitop3_b32 v3, v3, 1, s6 bitop3:0x80
	v_add_co_u32 v3, s0, v3, -1
	s_delay_alu instid0(VALU_DEP_1) | instskip(NEXT) | instid1(VALU_DEP_4)
	v_cndmask_b32_e64 v6, 0, 1, s0
	v_cmp_gt_i32_e64 s0, 0, v7
	s_delay_alu instid0(VALU_DEP_2) | instskip(SKIP_1) | instid1(VALU_DEP_1)
	v_cmp_ne_u32_e32 vcc_lo, 0, v6
	v_not_b32_e32 v6, v7
	v_dual_ashrrev_i32 v6, 31, v6 :: v_dual_lshlrev_b32 v8, 29, v4
	v_dual_lshlrev_b32 v9, 28, v4 :: v_dual_lshlrev_b32 v45, 27, v4
	v_lshlrev_b32_e32 v49, 26, v4
	v_mad_u32 v54, 0x44, v4, v0
	s_delay_alu instid0(VALU_DEP_4)
	v_cmp_gt_i32_e64 s1, 0, v8
	v_not_b32_e32 v7, v8
	v_not_b32_e32 v8, v9
	v_dual_lshlrev_b32 v50, 25, v4 :: v_dual_lshlrev_b32 v4, 24, v4
	v_cmp_gt_i32_e64 s3, 0, v9
	v_cmp_gt_i32_e64 s4, 0, v45
	v_not_b32_e32 v9, v45
	v_not_b32_e32 v45, v49
	v_dual_ashrrev_i32 v8, 31, v8 :: v_dual_bitop2_b32 v3, vcc_lo, v3 bitop3:0x14
	v_dual_ashrrev_i32 v7, 31, v7 :: v_dual_bitop2_b32 v6, s0, v6 bitop3:0x14
	v_cmp_gt_i32_e64 s5, 0, v49
	v_ashrrev_i32_e32 v9, 31, v9
	s_delay_alu instid0(VALU_DEP_4) | instskip(NEXT) | instid1(VALU_DEP_4)
	v_dual_ashrrev_i32 v45, 31, v45 :: v_dual_bitop2_b32 v8, s3, v8 bitop3:0x14
	v_xor_b32_e32 v7, s1, v7
	v_bitop3_b32 v3, v3, v6, exec_lo bitop3:0x80
	v_not_b32_e32 v6, v50
	v_not_b32_e32 v49, v4
	v_xor_b32_e32 v9, s4, v9
	v_xor_b32_e32 v45, s5, v45
	v_bitop3_b32 v3, v3, v8, v7 bitop3:0x80
	v_cmp_gt_i32_e32 vcc_lo, 0, v50
	v_ashrrev_i32_e32 v6, 31, v6
	v_cmp_gt_i32_e64 s0, 0, v4
	v_ashrrev_i32_e32 v4, 31, v49
	v_bitop3_b32 v3, v3, v45, v9 bitop3:0x80
	ds_load_b32 v50, v54 offset:64
	v_xor_b32_e32 v6, vcc_lo, v6
	v_xor_b32_e32 v4, s0, v4
	; wave barrier
	s_delay_alu instid0(VALU_DEP_1) | instskip(NEXT) | instid1(VALU_DEP_1)
	v_bitop3_b32 v3, v3, v4, v6 bitop3:0x80
	v_mbcnt_lo_u32_b32 v52, v3, 0
	v_cmp_ne_u32_e64 s0, 0, v3
	s_delay_alu instid0(VALU_DEP_2) | instskip(SKIP_1) | instid1(SALU_CYCLE_1)
	v_cmp_eq_u32_e32 vcc_lo, 0, v52
	s_and_b32 s1, s0, vcc_lo
	s_and_saveexec_b32 s0, s1
	s_cbranch_execz .LBB960_115
; %bb.114:
	s_wait_dscnt 0x0
	v_bcnt_u32_b32 v3, v3, v50
	ds_store_b32 v54, v3 offset:64
.LBB960_115:
	s_or_b32 exec_lo, exec_lo, s0
	v_xor_b32_e32 v45, 0x80000000, v2
	; wave barrier
	s_delay_alu instid0(VALU_DEP_1) | instskip(NEXT) | instid1(VALU_DEP_1)
	v_lshrrev_b32_e32 v2, s16, v45
	v_and_b32_e32 v3, s6, v2
	s_delay_alu instid0(VALU_DEP_1) | instskip(SKIP_1) | instid1(VALU_DEP_1)
	v_lshlrev_b32_e32 v6, 30, v3
	v_bitop3_b32 v2, v2, 1, s6 bitop3:0x80
	v_add_co_u32 v2, s0, v2, -1
	s_delay_alu instid0(VALU_DEP_1) | instskip(NEXT) | instid1(VALU_DEP_4)
	v_cndmask_b32_e64 v4, 0, 1, s0
	v_cmp_gt_i32_e64 s0, 0, v6
	s_delay_alu instid0(VALU_DEP_2) | instskip(SKIP_1) | instid1(VALU_DEP_1)
	v_cmp_ne_u32_e32 vcc_lo, 0, v4
	v_not_b32_e32 v4, v6
	v_dual_ashrrev_i32 v4, 31, v4 :: v_dual_lshlrev_b32 v7, 29, v3
	v_dual_lshlrev_b32 v8, 28, v3 :: v_dual_lshlrev_b32 v9, 27, v3
	v_lshlrev_b32_e32 v49, 26, v3
	v_mad_u32 v56, 0x44, v3, v0
	s_delay_alu instid0(VALU_DEP_4)
	v_cmp_gt_i32_e64 s1, 0, v7
	v_not_b32_e32 v6, v7
	v_not_b32_e32 v7, v8
	v_dual_lshlrev_b32 v53, 25, v3 :: v_dual_lshlrev_b32 v3, 24, v3
	v_cmp_gt_i32_e64 s3, 0, v8
	v_cmp_gt_i32_e64 s4, 0, v9
	v_not_b32_e32 v8, v9
	v_not_b32_e32 v9, v49
	v_dual_ashrrev_i32 v7, 31, v7 :: v_dual_bitop2_b32 v2, vcc_lo, v2 bitop3:0x14
	v_dual_ashrrev_i32 v6, 31, v6 :: v_dual_bitop2_b32 v4, s0, v4 bitop3:0x14
	v_cmp_gt_i32_e64 s5, 0, v49
	s_delay_alu instid0(VALU_DEP_4)
	v_dual_ashrrev_i32 v8, 31, v8 :: v_dual_ashrrev_i32 v9, 31, v9
	v_not_b32_e32 v49, v3
	v_xor_b32_e32 v7, s3, v7
	v_bitop3_b32 v2, v2, v4, exec_lo bitop3:0x80
	v_not_b32_e32 v4, v53
	v_xor_b32_e32 v6, s1, v6
	v_xor_b32_e32 v8, s4, v8
	;; [unrolled: 1-line block ×3, first 2 shown]
	v_cmp_gt_i32_e32 vcc_lo, 0, v53
	v_ashrrev_i32_e32 v4, 31, v4
	v_cmp_gt_i32_e64 s0, 0, v3
	v_ashrrev_i32_e32 v3, 31, v49
	v_bitop3_b32 v2, v2, v7, v6 bitop3:0x80
	ds_load_b32 v53, v56 offset:64
	v_xor_b32_e32 v4, vcc_lo, v4
	v_xor_b32_e32 v3, s0, v3
	v_bitop3_b32 v2, v2, v9, v8 bitop3:0x80
	; wave barrier
	s_delay_alu instid0(VALU_DEP_1) | instskip(NEXT) | instid1(VALU_DEP_1)
	v_bitop3_b32 v2, v2, v3, v4 bitop3:0x80
	v_mbcnt_lo_u32_b32 v55, v2, 0
	v_cmp_ne_u32_e64 s0, 0, v2
	s_delay_alu instid0(VALU_DEP_2) | instskip(SKIP_1) | instid1(SALU_CYCLE_1)
	v_cmp_eq_u32_e32 vcc_lo, 0, v55
	s_and_b32 s1, s0, vcc_lo
	s_and_saveexec_b32 s0, s1
	s_cbranch_execz .LBB960_117
; %bb.116:
	s_wait_dscnt 0x0
	v_bcnt_u32_b32 v2, v2, v53
	ds_store_b32 v56, v2 offset:64
.LBB960_117:
	s_or_b32 exec_lo, exec_lo, s0
	v_xor_b32_e32 v49, 0x80000000, v1
	; wave barrier
	s_delay_alu instid0(VALU_DEP_1) | instskip(NEXT) | instid1(VALU_DEP_1)
	v_lshrrev_b32_e32 v1, s16, v49
	v_and_b32_e32 v2, s6, v1
	s_delay_alu instid0(VALU_DEP_1) | instskip(SKIP_2) | instid1(VALU_DEP_2)
	v_lshlrev_b32_e32 v3, 30, v2
	v_bitop3_b32 v1, v1, 1, s6 bitop3:0x80
	v_mad_u32 v59, 0x44, v2, v0
	v_add_co_u32 v0, s0, v1, -1
	s_delay_alu instid0(VALU_DEP_1) | instskip(SKIP_4) | instid1(VALU_DEP_1)
	v_cndmask_b32_e64 v1, 0, 1, s0
	v_cmp_gt_i32_e64 s0, 0, v3
	ds_load_b32 v57, v59 offset:64
	v_cmp_ne_u32_e32 vcc_lo, 0, v1
	v_not_b32_e32 v1, v3
	; wave barrier
	v_dual_ashrrev_i32 v1, 31, v1 :: v_dual_lshlrev_b32 v4, 29, v2
	v_dual_lshlrev_b32 v6, 28, v2 :: v_dual_lshlrev_b32 v7, 27, v2
	v_dual_lshlrev_b32 v8, 26, v2 :: v_dual_lshlrev_b32 v9, 25, v2
	v_lshlrev_b32_e32 v2, 24, v2
	s_delay_alu instid0(VALU_DEP_4)
	v_cmp_gt_i32_e64 s1, 0, v4
	v_not_b32_e32 v3, v4
	v_not_b32_e32 v4, v6
	v_cmp_gt_i32_e64 s3, 0, v6
	v_cmp_gt_i32_e64 s4, 0, v7
	v_not_b32_e32 v6, v7
	v_not_b32_e32 v7, v8
	v_dual_ashrrev_i32 v3, 31, v3 :: v_dual_bitop2_b32 v0, vcc_lo, v0 bitop3:0x14
	v_dual_ashrrev_i32 v4, 31, v4 :: v_dual_bitop2_b32 v1, s0, v1 bitop3:0x14
	v_cmp_gt_i32_e64 s5, 0, v8
	s_delay_alu instid0(VALU_DEP_4) | instskip(NEXT) | instid1(VALU_DEP_3)
	v_dual_ashrrev_i32 v6, 31, v6 :: v_dual_ashrrev_i32 v7, 31, v7
	v_xor_b32_e32 v4, s3, v4
	s_delay_alu instid0(VALU_DEP_4)
	v_bitop3_b32 v0, v0, v1, exec_lo bitop3:0x80
	v_not_b32_e32 v1, v9
	v_xor_b32_e32 v3, s1, v3
	v_not_b32_e32 v8, v2
	v_xor_b32_e32 v6, s4, v6
	v_xor_b32_e32 v7, s5, v7
	v_cmp_gt_i32_e32 vcc_lo, 0, v9
	v_ashrrev_i32_e32 v1, 31, v1
	v_bitop3_b32 v0, v0, v4, v3 bitop3:0x80
	v_cmp_gt_i32_e64 s0, 0, v2
	s_delay_alu instid0(VALU_DEP_3) | instskip(NEXT) | instid1(VALU_DEP_3)
	v_dual_ashrrev_i32 v2, 31, v8 :: v_dual_bitop2_b32 v1, vcc_lo, v1 bitop3:0x14
	v_bitop3_b32 v0, v0, v7, v6 bitop3:0x80
	s_delay_alu instid0(VALU_DEP_2) | instskip(NEXT) | instid1(VALU_DEP_1)
	v_xor_b32_e32 v2, s0, v2
	v_bitop3_b32 v0, v0, v2, v1 bitop3:0x80
	s_delay_alu instid0(VALU_DEP_1) | instskip(SKIP_1) | instid1(VALU_DEP_2)
	v_mbcnt_lo_u32_b32 v58, v0, 0
	v_cmp_ne_u32_e64 s0, 0, v0
	v_cmp_eq_u32_e32 vcc_lo, 0, v58
	s_and_b32 s1, s0, vcc_lo
	s_delay_alu instid0(SALU_CYCLE_1)
	s_and_saveexec_b32 s0, s1
	s_cbranch_execz .LBB960_119
; %bb.118:
	s_wait_dscnt 0x0
	v_bcnt_u32_b32 v0, v0, v57
	ds_store_b32 v59, v0 offset:64
.LBB960_119:
	s_or_b32 exec_lo, exec_lo, s0
	; wave barrier
	s_wait_dscnt 0x0
	s_barrier_signal -1
	s_barrier_wait -1
	ds_load_2addr_b32 v[8:9], v10 offset0:16 offset1:17
	ds_load_2addr_b32 v[6:7], v10 offset0:18 offset1:19
	;; [unrolled: 1-line block ×4, first 2 shown]
	ds_load_b32 v4, v10 offset:96
	v_min_u32_e32 v16, 0x1e0, v16
	s_mov_b32 s5, exec_lo
	s_wait_dscnt 0x3
	v_add3_u32 v60, v9, v8, v6
	s_wait_dscnt 0x2
	s_delay_alu instid0(VALU_DEP_1) | instskip(SKIP_1) | instid1(VALU_DEP_1)
	v_add3_u32 v60, v60, v7, v2
	s_wait_dscnt 0x1
	v_add3_u32 v60, v60, v3, v0
	s_wait_dscnt 0x0
	s_delay_alu instid0(VALU_DEP_1) | instskip(SKIP_1) | instid1(VALU_DEP_2)
	v_add3_u32 v4, v60, v1, v4
	v_and_b32_e32 v60, 15, v15
	v_mov_b32_dpp v61, v4 row_shr:1 row_mask:0xf bank_mask:0xf
	s_delay_alu instid0(VALU_DEP_2) | instskip(NEXT) | instid1(VALU_DEP_2)
	v_cmp_eq_u32_e32 vcc_lo, 0, v60
	v_cndmask_b32_e64 v61, v61, 0, vcc_lo
	s_delay_alu instid0(VALU_DEP_1) | instskip(SKIP_3) | instid1(VALU_DEP_4)
	v_add_nc_u32_e32 v4, v61, v4
	v_cmp_lt_u32_e64 s0, 1, v60
	v_cmp_lt_u32_e64 s1, 3, v60
	;; [unrolled: 1-line block ×3, first 2 shown]
	v_mov_b32_dpp v61, v4 row_shr:2 row_mask:0xf bank_mask:0xf
	s_delay_alu instid0(VALU_DEP_1) | instskip(NEXT) | instid1(VALU_DEP_1)
	v_cndmask_b32_e64 v61, 0, v61, s0
	v_add_nc_u32_e32 v4, v4, v61
	s_delay_alu instid0(VALU_DEP_1) | instskip(NEXT) | instid1(VALU_DEP_1)
	v_mov_b32_dpp v61, v4 row_shr:4 row_mask:0xf bank_mask:0xf
	v_cndmask_b32_e64 v61, 0, v61, s1
	s_delay_alu instid0(VALU_DEP_1) | instskip(NEXT) | instid1(VALU_DEP_1)
	v_add_nc_u32_e32 v4, v4, v61
	v_mov_b32_dpp v61, v4 row_shr:8 row_mask:0xf bank_mask:0xf
	s_delay_alu instid0(VALU_DEP_1) | instskip(SKIP_1) | instid1(VALU_DEP_2)
	v_cndmask_b32_e64 v60, 0, v61, s3
	v_bfe_i32 v61, v15, 4, 1
	v_add_nc_u32_e32 v4, v4, v60
	ds_swizzle_b32 v60, v4 offset:swizzle(BROADCAST,32,15)
	s_wait_dscnt 0x0
	v_dual_lshrrev_b32 v60, 5, v14 :: v_dual_bitop2_b32 v61, v61, v60 bitop3:0x40
	s_delay_alu instid0(VALU_DEP_1) | instskip(NEXT) | instid1(VALU_DEP_1)
	v_dual_add_nc_u32 v16, v4, v61 :: v_dual_bitop2_b32 v62, 31, v16 bitop3:0x54
	v_cmpx_eq_u32_e64 v14, v62
; %bb.120:
	s_delay_alu instid0(VALU_DEP_3)
	v_lshlrev_b32_e32 v4, 2, v60
	ds_store_b32 v4, v16
; %bb.121:
	s_or_b32 exec_lo, exec_lo, s5
	v_lshlrev_b32_e32 v4, 2, v14
	s_mov_b32 s5, exec_lo
	s_wait_dscnt 0x0
	s_barrier_signal -1
	s_barrier_wait -1
	v_cmpx_gt_u32_e32 16, v14
	s_cbranch_execz .LBB960_123
; %bb.122:
	ds_load_b32 v61, v4
	s_wait_dscnt 0x0
	v_mov_b32_dpp v62, v61 row_shr:1 row_mask:0xf bank_mask:0xf
	s_delay_alu instid0(VALU_DEP_1) | instskip(NEXT) | instid1(VALU_DEP_1)
	v_cndmask_b32_e64 v62, v62, 0, vcc_lo
	v_add_nc_u32_e32 v61, v62, v61
	s_delay_alu instid0(VALU_DEP_1) | instskip(NEXT) | instid1(VALU_DEP_1)
	v_mov_b32_dpp v62, v61 row_shr:2 row_mask:0xf bank_mask:0xf
	v_cndmask_b32_e64 v62, 0, v62, s0
	s_delay_alu instid0(VALU_DEP_1) | instskip(NEXT) | instid1(VALU_DEP_1)
	v_add_nc_u32_e32 v61, v61, v62
	v_mov_b32_dpp v62, v61 row_shr:4 row_mask:0xf bank_mask:0xf
	s_delay_alu instid0(VALU_DEP_1) | instskip(NEXT) | instid1(VALU_DEP_1)
	v_cndmask_b32_e64 v62, 0, v62, s1
	v_add_nc_u32_e32 v61, v61, v62
	s_delay_alu instid0(VALU_DEP_1) | instskip(NEXT) | instid1(VALU_DEP_1)
	v_mov_b32_dpp v62, v61 row_shr:8 row_mask:0xf bank_mask:0xf
	v_cndmask_b32_e64 v62, 0, v62, s3
	s_delay_alu instid0(VALU_DEP_1)
	v_add_nc_u32_e32 v61, v61, v62
	ds_store_b32 v4, v61
.LBB960_123:
	s_or_b32 exec_lo, exec_lo, s5
	v_mov_b32_e32 v61, 0
	s_mov_b32 s0, exec_lo
	s_wait_dscnt 0x0
	s_barrier_signal -1
	s_barrier_wait -1
	v_cmpx_lt_u32_e32 31, v14
; %bb.124:
	v_lshl_add_u32 v60, v60, 2, -4
	ds_load_b32 v61, v60
; %bb.125:
	s_or_b32 exec_lo, exec_lo, s0
	v_sub_co_u32 v60, vcc_lo, v15, 1
	s_wait_dscnt 0x0
	v_add_nc_u32_e32 v16, v61, v16
	s_delay_alu instid0(VALU_DEP_2) | instskip(NEXT) | instid1(VALU_DEP_1)
	v_cmp_gt_i32_e64 s0, 0, v60
	v_cndmask_b32_e64 v15, v60, v15, s0
	v_cmp_lt_u32_e64 s0, 0xff, v14
	s_delay_alu instid0(VALU_DEP_2) | instskip(SKIP_4) | instid1(VALU_DEP_2)
	v_lshlrev_b32_e32 v15, 2, v15
	ds_bpermute_b32 v15, v15, v16
	s_wait_dscnt 0x0
	v_cndmask_b32_e32 v15, v15, v61, vcc_lo
	v_cmp_gt_u32_e32 vcc_lo, 0x100, v14
	v_cndmask_b32_e64 v15, v15, 0, s2
	s_delay_alu instid0(VALU_DEP_1) | instskip(NEXT) | instid1(VALU_DEP_1)
	v_add_nc_u32_e32 v8, v15, v8
	v_add_nc_u32_e32 v9, v8, v9
	s_delay_alu instid0(VALU_DEP_1) | instskip(NEXT) | instid1(VALU_DEP_1)
	v_add_nc_u32_e32 v6, v9, v6
	v_add_nc_u32_e32 v7, v6, v7
	;; [unrolled: 3-line block ×4, first 2 shown]
	ds_store_2addr_b32 v10, v15, v8 offset0:16 offset1:17
	ds_store_2addr_b32 v10, v9, v6 offset0:18 offset1:19
	;; [unrolled: 1-line block ×4, first 2 shown]
	ds_store_b32 v10, v1 offset:96
	s_wait_dscnt 0x0
	s_barrier_signal -1
	s_barrier_wait -1
	ds_load_b32 v62, v11 offset:64
	ds_load_b32 v60, v12 offset:64
	;; [unrolled: 1-line block ×12, first 2 shown]
	v_mov_b64_e32 v[0:1], 0
                                        ; implicit-def: $vgpr2
	s_and_saveexec_b32 s2, vcc_lo
	s_cbranch_execz .LBB960_129
; %bb.126:
	v_mul_u32_u24_e32 v0, 0x44, v14
	v_dual_mov_b32 v1, 0x1800 :: v_dual_add_nc_u32 v2, 1, v14
	s_mov_b32 s3, exec_lo
	ds_load_b32 v0, v0 offset:64
	v_cmpx_ne_u32_e32 0x100, v2
; %bb.127:
	v_mul_u32_u24_e32 v1, 0x44, v2
	ds_load_b32 v1, v1 offset:64
; %bb.128:
	s_or_b32 exec_lo, exec_lo, s3
	s_wait_dscnt 0x0
	v_dual_mov_b32 v1, 0 :: v_dual_sub_nc_u32 v2, v1, v0
.LBB960_129:
	s_or_b32 exec_lo, exec_lo, s2
	v_dual_mov_b32 v7, 0 :: v_dual_lshlrev_b32 v3, 3, v14
	s_wait_dscnt 0x0
	s_barrier_signal -1
	s_barrier_wait -1
	s_and_saveexec_b32 s1, vcc_lo
	s_cbranch_execz .LBB960_139
; %bb.130:
	v_lshl_add_u32 v6, s19, 8, v14
	v_dual_mov_b32 v10, 0 :: v_dual_bitop2_b32 v11, 2.0, v2 bitop3:0x54
	s_mov_b32 s2, 0
	s_mov_b32 s3, s19
	s_delay_alu instid0(VALU_DEP_2)
	v_lshl_add_u64 v[8:9], v[6:7], 2, s[20:21]
	global_store_b32 v6, v11, s[20:21] scale_offset scope:SCOPE_DEV
                                        ; implicit-def: $sgpr4
	s_branch .LBB960_133
.LBB960_131:                            ;   in Loop: Header=BB960_133 Depth=1
	s_or_b32 exec_lo, exec_lo, s5
.LBB960_132:                            ;   in Loop: Header=BB960_133 Depth=1
	s_delay_alu instid0(SALU_CYCLE_1) | instskip(SKIP_2) | instid1(VALU_DEP_2)
	s_or_b32 exec_lo, exec_lo, s4
	v_and_b32_e32 v6, 0x3fffffff, v11
	v_cmp_gt_i32_e64 s4, -2.0, v11
	v_add_nc_u32_e32 v10, v6, v10
	s_and_b32 s5, exec_lo, s4
	s_delay_alu instid0(SALU_CYCLE_1) | instskip(NEXT) | instid1(SALU_CYCLE_1)
	s_or_b32 s2, s5, s2
	s_and_not1_b32 exec_lo, exec_lo, s2
	s_cbranch_execz .LBB960_138
.LBB960_133:                            ; =>This Loop Header: Depth=1
                                        ;     Child Loop BB960_136 Depth 2
	s_or_b32 s4, s4, exec_lo
	s_cmp_eq_u32 s3, 0
	s_cbranch_scc1 .LBB960_137
; %bb.134:                              ;   in Loop: Header=BB960_133 Depth=1
	s_add_co_i32 s3, s3, -1
	s_mov_b32 s4, exec_lo
	s_wait_xcnt 0x0
	v_lshl_or_b32 v6, s3, 8, v14
	global_load_b32 v11, v6, s[20:21] scale_offset scope:SCOPE_DEV
	s_wait_loadcnt 0x0
	v_cmpx_gt_u32_e32 2.0, v11
	s_cbranch_execz .LBB960_132
; %bb.135:                              ;   in Loop: Header=BB960_133 Depth=1
	v_lshl_add_u64 v[12:13], v[6:7], 2, s[20:21]
	s_mov_b32 s5, 0
.LBB960_136:                            ;   Parent Loop BB960_133 Depth=1
                                        ; =>  This Inner Loop Header: Depth=2
	global_load_b32 v11, v[12:13], off scope:SCOPE_DEV
	s_wait_loadcnt 0x0
	v_cmp_lt_u32_e32 vcc_lo, 0x3fffffff, v11
	s_or_b32 s5, vcc_lo, s5
	s_wait_xcnt 0x0
	s_and_not1_b32 exec_lo, exec_lo, s5
	s_cbranch_execnz .LBB960_136
	s_branch .LBB960_131
.LBB960_137:                            ;   in Loop: Header=BB960_133 Depth=1
                                        ; implicit-def: $sgpr3
	s_and_b32 s5, exec_lo, s4
	s_delay_alu instid0(SALU_CYCLE_1)
	s_or_b32 s2, s5, s2
	s_wait_xcnt 0x0
	s_and_not1_b32 exec_lo, exec_lo, s2
	s_cbranch_execnz .LBB960_133
.LBB960_138:
	s_or_b32 exec_lo, exec_lo, s2
	v_dual_mov_b32 v11, 0 :: v_dual_add_nc_u32 v6, v10, v2
	s_delay_alu instid0(VALU_DEP_1) | instskip(SKIP_4) | instid1(VALU_DEP_1)
	v_or_b32_e32 v6, 0x80000000, v6
	global_store_b32 v[8:9], v6, off scope:SCOPE_DEV
	global_load_b64 v[6:7], v14, s[8:9] scale_offset
	v_sub_nc_u64_e32 v[8:9], v[10:11], v[0:1]
	s_wait_loadcnt 0x0
	v_add_nc_u64_e32 v[6:7], v[8:9], v[6:7]
	ds_store_b64 v3, v[6:7]
.LBB960_139:
	s_wait_xcnt 0x0
	s_or_b32 exec_lo, exec_lo, s1
	v_dual_add_nc_u32 v6, v62, v5 :: v_dual_sub_nc_u32 v56, 0, v4
	v_mov_b32_e32 v5, 0
	v_add3_u32 v21, v22, v60, v21
	v_add3_u32 v7, v58, v54, v57
	;; [unrolled: 1-line block ×3, first 2 shown]
	v_add_nc_u32_e32 v22, v3, v56
	v_add_nc_u64_e32 v[4:5], s[14:15], v[4:5]
	v_add3_u32 v9, v52, v47, v50
	v_add3_u32 v10, v48, v44, v46
	;; [unrolled: 1-line block ×6, first 2 shown]
	v_add_nc_u64_e32 v[4:5], 0x2000, v[4:5]
	v_add3_u32 v16, v28, v16, v27
	v_add3_u32 v24, v25, v61, v24
	v_mov_b32_e32 v25, v14
	s_mov_b32 s1, 0
	s_mov_b32 s2, -1
	s_branch .LBB960_141
.LBB960_140:                            ;   in Loop: Header=BB960_141 Depth=1
	s_wait_xcnt 0x0
	s_or_b32 exec_lo, exec_lo, s3
	v_add_nc_u64_e32 v[4:5], 0x4000, v[4:5]
	v_add_nc_u32_e32 v25, 0x1000, v25
	s_xor_b32 s2, s2, -1
	s_addk_co_i32 s1, 0xf000
	s_and_b32 vcc_lo, exec_lo, s2
	s_mov_b32 s2, 0
	s_wait_storecnt 0x0
	s_barrier_signal -1
	s_barrier_wait -1
	s_cbranch_vccnz .LBB960_151
.LBB960_141:                            ; =>This Inner Loop Header: Depth=1
	v_add_min_u32_e64 v27, v6, s1, 0x1000
	v_add_min_u32_e64 v28, v21, s1, 0x1000
	;; [unrolled: 1-line block ×5, first 2 shown]
	s_delay_alu instid0(VALU_DEP_4)
	v_dual_lshlrev_b32 v27, 2, v27 :: v_dual_lshlrev_b32 v28, 2, v28
	v_add_min_u32_e64 v34, v13, s1, 0x1000
	v_add_min_u32_e64 v35, v12, s1, 0x1000
	s_mov_b32 s3, exec_lo
	ds_store_b32 v27, v17 offset:2048
	ds_store_b32 v28, v18 offset:2048
	v_dual_lshlrev_b32 v27, 2, v30 :: v_dual_lshlrev_b32 v28, 2, v31
	v_dual_lshlrev_b32 v30, 2, v33 :: v_dual_lshlrev_b32 v31, 2, v34
	v_lshlrev_b32_e32 v33, 2, v35
	ds_store_b32 v27, v19 offset:2048
	ds_store_b32 v28, v20 offset:2048
	ds_store_b32 v30, v23 offset:2048
	ds_store_b32 v31, v26 offset:2048
	ds_store_b32 v33, v29 offset:2048
	v_add_min_u32_e64 v27, v11, s1, 0x1000
	v_add_min_u32_e64 v28, v10, s1, 0x1000
	;; [unrolled: 1-line block ×5, first 2 shown]
	s_delay_alu instid0(VALU_DEP_4) | instskip(NEXT) | instid1(VALU_DEP_3)
	v_dual_lshlrev_b32 v27, 2, v27 :: v_dual_lshlrev_b32 v28, 2, v28
	v_dual_lshlrev_b32 v30, 2, v30 :: v_dual_lshlrev_b32 v31, 2, v31
	s_delay_alu instid0(VALU_DEP_3)
	v_lshlrev_b32_e32 v33, 2, v33
	ds_store_b32 v27, v32 offset:2048
	ds_store_b32 v28, v36 offset:2048
	ds_store_b32 v30, v41 offset:2048
	ds_store_b32 v31, v45 offset:2048
	ds_store_b32 v33, v49 offset:2048
	s_wait_storecnt_dscnt 0x0
	s_barrier_signal -1
	s_barrier_wait -1
	ds_load_2addr_stride64_b32 v[30:31], v22 offset0:8 offset1:16
	s_wait_dscnt 0x0
	v_dual_lshrrev_b32 v27, s16, v31 :: v_dual_lshrrev_b32 v28, s16, v30
	s_delay_alu instid0(VALU_DEP_1) | instskip(NEXT) | instid1(VALU_DEP_1)
	v_and_b32_e32 v28, s6, v28
	v_dual_lshlrev_b32 v28, 3, v28 :: v_dual_bitop2_b32 v27, s6, v27 bitop3:0x40
	s_delay_alu instid0(VALU_DEP_1)
	v_lshlrev_b32_e32 v27, 3, v27
	ds_load_b64 v[34:35], v27
	ds_load_b32 v27, v22 offset:6144
	s_wait_dscnt 0x0
	v_lshrrev_b32_e32 v33, s16, v27
	v_xor_b32_e32 v27, 0x80000000, v27
	s_delay_alu instid0(VALU_DEP_2) | instskip(NEXT) | instid1(VALU_DEP_1)
	v_and_b32_e32 v33, s6, v33
	v_lshlrev_b32_e32 v33, 3, v33
	ds_load_b64 v[38:39], v28
	ds_load_b64 v[42:43], v33
	v_xor_b32_e32 v28, 0x80000000, v30
	v_xor_b32_e32 v33, 0x80000000, v31
	v_lshl_add_u64 v[30:31], v[34:35], 2, v[4:5]
	s_wait_dscnt 0x1
	v_lshl_add_u64 v[38:39], v[38:39], 2, v[4:5]
	s_wait_dscnt 0x0
	v_lshl_add_u64 v[34:35], v[42:43], 2, v[4:5]
	s_clause 0x2
	global_store_b32 v[38:39], v28, off offset:-8192
	global_store_b32 v[30:31], v33, off offset:-6144
	;; [unrolled: 1-line block ×3, first 2 shown]
	s_wait_xcnt 0x0
	v_cmpx_gt_u32_e32 0x1200, v25
	s_cbranch_execz .LBB960_143
; %bb.142:                              ;   in Loop: Header=BB960_141 Depth=1
	ds_load_b32 v27, v22 offset:8192
	s_wait_dscnt 0x0
	v_lshrrev_b32_e32 v28, s16, v27
	v_xor_b32_e32 v27, 0x80000000, v27
	s_delay_alu instid0(VALU_DEP_2) | instskip(NEXT) | instid1(VALU_DEP_1)
	v_and_b32_e32 v28, s6, v28
	v_lshlrev_b32_e32 v28, 3, v28
	ds_load_b64 v[30:31], v28
	s_wait_dscnt 0x0
	v_lshl_add_u64 v[30:31], v[30:31], 2, v[4:5]
	global_store_b32 v[30:31], v27, off offset:-2048
.LBB960_143:                            ;   in Loop: Header=BB960_141 Depth=1
	s_wait_xcnt 0x0
	s_or_b32 exec_lo, exec_lo, s3
	v_add_nc_u32_e32 v27, 0x800, v25
	s_mov_b32 s3, exec_lo
	s_delay_alu instid0(VALU_DEP_1)
	v_cmpx_gt_u32_e32 0x1800, v27
	s_cbranch_execz .LBB960_145
; %bb.144:                              ;   in Loop: Header=BB960_141 Depth=1
	ds_load_b32 v27, v22 offset:10240
	s_wait_dscnt 0x0
	v_lshrrev_b32_e32 v28, s16, v27
	v_xor_b32_e32 v27, 0x80000000, v27
	s_delay_alu instid0(VALU_DEP_2) | instskip(NEXT) | instid1(VALU_DEP_1)
	v_and_b32_e32 v28, s6, v28
	v_lshlrev_b32_e32 v28, 3, v28
	ds_load_b64 v[30:31], v28
	s_wait_dscnt 0x0
	v_lshl_add_u64 v[30:31], v[30:31], 2, v[4:5]
	global_store_b32 v[30:31], v27, off
.LBB960_145:                            ;   in Loop: Header=BB960_141 Depth=1
	s_wait_xcnt 0x0
	s_or_b32 exec_lo, exec_lo, s3
	s_delay_alu instid0(SALU_CYCLE_1)
	s_mov_b32 s3, exec_lo
	v_cmpx_gt_u32_e32 0xe00, v25
	s_cbranch_execz .LBB960_147
; %bb.146:                              ;   in Loop: Header=BB960_141 Depth=1
	ds_load_b32 v27, v22 offset:12288
	s_wait_dscnt 0x0
	v_lshrrev_b32_e32 v28, s16, v27
	v_xor_b32_e32 v27, 0x80000000, v27
	s_delay_alu instid0(VALU_DEP_2) | instskip(NEXT) | instid1(VALU_DEP_1)
	v_and_b32_e32 v28, s6, v28
	v_lshlrev_b32_e32 v28, 3, v28
	ds_load_b64 v[30:31], v28
	s_wait_dscnt 0x0
	v_lshl_add_u64 v[30:31], v[30:31], 2, v[4:5]
	global_store_b32 v[30:31], v27, off offset:2048
.LBB960_147:                            ;   in Loop: Header=BB960_141 Depth=1
	s_wait_xcnt 0x0
	s_or_b32 exec_lo, exec_lo, s3
	v_add_nc_u32_e32 v27, 0xc00, v25
	s_mov_b32 s3, exec_lo
	s_delay_alu instid0(VALU_DEP_1)
	v_cmpx_gt_u32_e32 0x1800, v27
	s_cbranch_execz .LBB960_149
; %bb.148:                              ;   in Loop: Header=BB960_141 Depth=1
	ds_load_b32 v27, v22 offset:14336
	s_wait_dscnt 0x0
	v_lshrrev_b32_e32 v28, s16, v27
	v_xor_b32_e32 v27, 0x80000000, v27
	s_delay_alu instid0(VALU_DEP_2) | instskip(NEXT) | instid1(VALU_DEP_1)
	v_and_b32_e32 v28, s6, v28
	v_lshlrev_b32_e32 v28, 3, v28
	ds_load_b64 v[30:31], v28
	s_wait_dscnt 0x0
	v_lshl_add_u64 v[30:31], v[30:31], 2, v[4:5]
	global_store_b32 v[30:31], v27, off offset:4096
.LBB960_149:                            ;   in Loop: Header=BB960_141 Depth=1
	s_wait_xcnt 0x0
	s_or_b32 exec_lo, exec_lo, s3
	s_delay_alu instid0(SALU_CYCLE_1)
	s_mov_b32 s3, exec_lo
	v_cmpx_gt_u32_e32 0xa00, v25
	s_cbranch_execz .LBB960_140
; %bb.150:                              ;   in Loop: Header=BB960_141 Depth=1
	ds_load_b32 v27, v22 offset:16384
	s_wait_dscnt 0x0
	v_lshrrev_b32_e32 v28, s16, v27
	v_xor_b32_e32 v27, 0x80000000, v27
	s_delay_alu instid0(VALU_DEP_2) | instskip(NEXT) | instid1(VALU_DEP_1)
	v_and_b32_e32 v28, s6, v28
	v_lshlrev_b32_e32 v28, 3, v28
	ds_load_b64 v[30:31], v28
	s_wait_dscnt 0x0
	v_lshl_add_u64 v[30:31], v[30:31], 2, v[4:5]
	global_store_b32 v[30:31], v27, off offset:6144
	s_branch .LBB960_140
.LBB960_151:
	s_add_co_i32 s12, s12, -1
	s_delay_alu instid0(SALU_CYCLE_1) | instskip(SKIP_2) | instid1(SALU_CYCLE_1)
	s_cmp_eq_u32 s19, s12
	s_cselect_b32 s1, -1, 0
	s_xor_b32 s0, s0, -1
	s_and_b32 s0, s0, s1
	s_delay_alu instid0(SALU_CYCLE_1)
	s_and_saveexec_b32 s1, s0
	s_cbranch_execz .LBB960_153
; %bb.152:
	ds_load_b64 v[4:5], v3
	v_mov_b32_e32 v3, 0
	s_delay_alu instid0(VALU_DEP_1) | instskip(SKIP_1) | instid1(VALU_DEP_1)
	v_add_nc_u64_e32 v[0:1], v[0:1], v[2:3]
	s_wait_dscnt 0x0
	v_add_nc_u64_e32 v[0:1], v[0:1], v[4:5]
	global_store_b64 v14, v[0:1], s[10:11] scale_offset
.LBB960_153:
	s_sendmsg sendmsg(MSG_DEALLOC_VGPRS)
	s_endpgm
	.section	.rodata,"a",@progbits
	.p2align	6, 0x0
	.amdhsa_kernel _ZN7rocprim17ROCPRIM_400000_NS6detail17trampoline_kernelINS0_14default_configENS1_35radix_sort_onesweep_config_selectorIiNS0_10empty_typeEEEZZNS1_29radix_sort_onesweep_iterationIS3_Lb0EPKiPiPS5_SB_mNS0_19identity_decomposerENS1_16block_id_wrapperIjLb1EEEEE10hipError_tT1_PNSt15iterator_traitsISG_E10value_typeET2_T3_PNSH_ISM_E10value_typeET4_T5_PSR_SS_PNS1_23onesweep_lookback_stateEbbT6_jjT7_P12ihipStream_tbENKUlT_T0_SG_SL_E_clIS9_SA_SB_SB_EEDaSZ_S10_SG_SL_EUlSZ_E_NS1_11comp_targetILNS1_3genE0ELNS1_11target_archE4294967295ELNS1_3gpuE0ELNS1_3repE0EEENS1_47radix_sort_onesweep_sort_config_static_selectorELNS0_4arch9wavefront6targetE0EEEvSG_
		.amdhsa_group_segment_fixed_size 18504
		.amdhsa_private_segment_fixed_size 0
		.amdhsa_kernarg_size 344
		.amdhsa_user_sgpr_count 2
		.amdhsa_user_sgpr_dispatch_ptr 0
		.amdhsa_user_sgpr_queue_ptr 0
		.amdhsa_user_sgpr_kernarg_segment_ptr 1
		.amdhsa_user_sgpr_dispatch_id 0
		.amdhsa_user_sgpr_kernarg_preload_length 0
		.amdhsa_user_sgpr_kernarg_preload_offset 0
		.amdhsa_user_sgpr_private_segment_size 0
		.amdhsa_wavefront_size32 1
		.amdhsa_uses_dynamic_stack 0
		.amdhsa_enable_private_segment 0
		.amdhsa_system_sgpr_workgroup_id_x 1
		.amdhsa_system_sgpr_workgroup_id_y 0
		.amdhsa_system_sgpr_workgroup_id_z 0
		.amdhsa_system_sgpr_workgroup_info 0
		.amdhsa_system_vgpr_workitem_id 2
		.amdhsa_next_free_vgpr 65
		.amdhsa_next_free_sgpr 29
		.amdhsa_named_barrier_count 0
		.amdhsa_reserve_vcc 1
		.amdhsa_float_round_mode_32 0
		.amdhsa_float_round_mode_16_64 0
		.amdhsa_float_denorm_mode_32 3
		.amdhsa_float_denorm_mode_16_64 3
		.amdhsa_fp16_overflow 0
		.amdhsa_memory_ordered 1
		.amdhsa_forward_progress 1
		.amdhsa_inst_pref_size 123
		.amdhsa_round_robin_scheduling 0
		.amdhsa_exception_fp_ieee_invalid_op 0
		.amdhsa_exception_fp_denorm_src 0
		.amdhsa_exception_fp_ieee_div_zero 0
		.amdhsa_exception_fp_ieee_overflow 0
		.amdhsa_exception_fp_ieee_underflow 0
		.amdhsa_exception_fp_ieee_inexact 0
		.amdhsa_exception_int_div_zero 0
	.end_amdhsa_kernel
	.section	.text._ZN7rocprim17ROCPRIM_400000_NS6detail17trampoline_kernelINS0_14default_configENS1_35radix_sort_onesweep_config_selectorIiNS0_10empty_typeEEEZZNS1_29radix_sort_onesweep_iterationIS3_Lb0EPKiPiPS5_SB_mNS0_19identity_decomposerENS1_16block_id_wrapperIjLb1EEEEE10hipError_tT1_PNSt15iterator_traitsISG_E10value_typeET2_T3_PNSH_ISM_E10value_typeET4_T5_PSR_SS_PNS1_23onesweep_lookback_stateEbbT6_jjT7_P12ihipStream_tbENKUlT_T0_SG_SL_E_clIS9_SA_SB_SB_EEDaSZ_S10_SG_SL_EUlSZ_E_NS1_11comp_targetILNS1_3genE0ELNS1_11target_archE4294967295ELNS1_3gpuE0ELNS1_3repE0EEENS1_47radix_sort_onesweep_sort_config_static_selectorELNS0_4arch9wavefront6targetE0EEEvSG_,"axG",@progbits,_ZN7rocprim17ROCPRIM_400000_NS6detail17trampoline_kernelINS0_14default_configENS1_35radix_sort_onesweep_config_selectorIiNS0_10empty_typeEEEZZNS1_29radix_sort_onesweep_iterationIS3_Lb0EPKiPiPS5_SB_mNS0_19identity_decomposerENS1_16block_id_wrapperIjLb1EEEEE10hipError_tT1_PNSt15iterator_traitsISG_E10value_typeET2_T3_PNSH_ISM_E10value_typeET4_T5_PSR_SS_PNS1_23onesweep_lookback_stateEbbT6_jjT7_P12ihipStream_tbENKUlT_T0_SG_SL_E_clIS9_SA_SB_SB_EEDaSZ_S10_SG_SL_EUlSZ_E_NS1_11comp_targetILNS1_3genE0ELNS1_11target_archE4294967295ELNS1_3gpuE0ELNS1_3repE0EEENS1_47radix_sort_onesweep_sort_config_static_selectorELNS0_4arch9wavefront6targetE0EEEvSG_,comdat
.Lfunc_end960:
	.size	_ZN7rocprim17ROCPRIM_400000_NS6detail17trampoline_kernelINS0_14default_configENS1_35radix_sort_onesweep_config_selectorIiNS0_10empty_typeEEEZZNS1_29radix_sort_onesweep_iterationIS3_Lb0EPKiPiPS5_SB_mNS0_19identity_decomposerENS1_16block_id_wrapperIjLb1EEEEE10hipError_tT1_PNSt15iterator_traitsISG_E10value_typeET2_T3_PNSH_ISM_E10value_typeET4_T5_PSR_SS_PNS1_23onesweep_lookback_stateEbbT6_jjT7_P12ihipStream_tbENKUlT_T0_SG_SL_E_clIS9_SA_SB_SB_EEDaSZ_S10_SG_SL_EUlSZ_E_NS1_11comp_targetILNS1_3genE0ELNS1_11target_archE4294967295ELNS1_3gpuE0ELNS1_3repE0EEENS1_47radix_sort_onesweep_sort_config_static_selectorELNS0_4arch9wavefront6targetE0EEEvSG_, .Lfunc_end960-_ZN7rocprim17ROCPRIM_400000_NS6detail17trampoline_kernelINS0_14default_configENS1_35radix_sort_onesweep_config_selectorIiNS0_10empty_typeEEEZZNS1_29radix_sort_onesweep_iterationIS3_Lb0EPKiPiPS5_SB_mNS0_19identity_decomposerENS1_16block_id_wrapperIjLb1EEEEE10hipError_tT1_PNSt15iterator_traitsISG_E10value_typeET2_T3_PNSH_ISM_E10value_typeET4_T5_PSR_SS_PNS1_23onesweep_lookback_stateEbbT6_jjT7_P12ihipStream_tbENKUlT_T0_SG_SL_E_clIS9_SA_SB_SB_EEDaSZ_S10_SG_SL_EUlSZ_E_NS1_11comp_targetILNS1_3genE0ELNS1_11target_archE4294967295ELNS1_3gpuE0ELNS1_3repE0EEENS1_47radix_sort_onesweep_sort_config_static_selectorELNS0_4arch9wavefront6targetE0EEEvSG_
                                        ; -- End function
	.set _ZN7rocprim17ROCPRIM_400000_NS6detail17trampoline_kernelINS0_14default_configENS1_35radix_sort_onesweep_config_selectorIiNS0_10empty_typeEEEZZNS1_29radix_sort_onesweep_iterationIS3_Lb0EPKiPiPS5_SB_mNS0_19identity_decomposerENS1_16block_id_wrapperIjLb1EEEEE10hipError_tT1_PNSt15iterator_traitsISG_E10value_typeET2_T3_PNSH_ISM_E10value_typeET4_T5_PSR_SS_PNS1_23onesweep_lookback_stateEbbT6_jjT7_P12ihipStream_tbENKUlT_T0_SG_SL_E_clIS9_SA_SB_SB_EEDaSZ_S10_SG_SL_EUlSZ_E_NS1_11comp_targetILNS1_3genE0ELNS1_11target_archE4294967295ELNS1_3gpuE0ELNS1_3repE0EEENS1_47radix_sort_onesweep_sort_config_static_selectorELNS0_4arch9wavefront6targetE0EEEvSG_.num_vgpr, 65
	.set _ZN7rocprim17ROCPRIM_400000_NS6detail17trampoline_kernelINS0_14default_configENS1_35radix_sort_onesweep_config_selectorIiNS0_10empty_typeEEEZZNS1_29radix_sort_onesweep_iterationIS3_Lb0EPKiPiPS5_SB_mNS0_19identity_decomposerENS1_16block_id_wrapperIjLb1EEEEE10hipError_tT1_PNSt15iterator_traitsISG_E10value_typeET2_T3_PNSH_ISM_E10value_typeET4_T5_PSR_SS_PNS1_23onesweep_lookback_stateEbbT6_jjT7_P12ihipStream_tbENKUlT_T0_SG_SL_E_clIS9_SA_SB_SB_EEDaSZ_S10_SG_SL_EUlSZ_E_NS1_11comp_targetILNS1_3genE0ELNS1_11target_archE4294967295ELNS1_3gpuE0ELNS1_3repE0EEENS1_47radix_sort_onesweep_sort_config_static_selectorELNS0_4arch9wavefront6targetE0EEEvSG_.num_agpr, 0
	.set _ZN7rocprim17ROCPRIM_400000_NS6detail17trampoline_kernelINS0_14default_configENS1_35radix_sort_onesweep_config_selectorIiNS0_10empty_typeEEEZZNS1_29radix_sort_onesweep_iterationIS3_Lb0EPKiPiPS5_SB_mNS0_19identity_decomposerENS1_16block_id_wrapperIjLb1EEEEE10hipError_tT1_PNSt15iterator_traitsISG_E10value_typeET2_T3_PNSH_ISM_E10value_typeET4_T5_PSR_SS_PNS1_23onesweep_lookback_stateEbbT6_jjT7_P12ihipStream_tbENKUlT_T0_SG_SL_E_clIS9_SA_SB_SB_EEDaSZ_S10_SG_SL_EUlSZ_E_NS1_11comp_targetILNS1_3genE0ELNS1_11target_archE4294967295ELNS1_3gpuE0ELNS1_3repE0EEENS1_47radix_sort_onesweep_sort_config_static_selectorELNS0_4arch9wavefront6targetE0EEEvSG_.numbered_sgpr, 29
	.set _ZN7rocprim17ROCPRIM_400000_NS6detail17trampoline_kernelINS0_14default_configENS1_35radix_sort_onesweep_config_selectorIiNS0_10empty_typeEEEZZNS1_29radix_sort_onesweep_iterationIS3_Lb0EPKiPiPS5_SB_mNS0_19identity_decomposerENS1_16block_id_wrapperIjLb1EEEEE10hipError_tT1_PNSt15iterator_traitsISG_E10value_typeET2_T3_PNSH_ISM_E10value_typeET4_T5_PSR_SS_PNS1_23onesweep_lookback_stateEbbT6_jjT7_P12ihipStream_tbENKUlT_T0_SG_SL_E_clIS9_SA_SB_SB_EEDaSZ_S10_SG_SL_EUlSZ_E_NS1_11comp_targetILNS1_3genE0ELNS1_11target_archE4294967295ELNS1_3gpuE0ELNS1_3repE0EEENS1_47radix_sort_onesweep_sort_config_static_selectorELNS0_4arch9wavefront6targetE0EEEvSG_.num_named_barrier, 0
	.set _ZN7rocprim17ROCPRIM_400000_NS6detail17trampoline_kernelINS0_14default_configENS1_35radix_sort_onesweep_config_selectorIiNS0_10empty_typeEEEZZNS1_29radix_sort_onesweep_iterationIS3_Lb0EPKiPiPS5_SB_mNS0_19identity_decomposerENS1_16block_id_wrapperIjLb1EEEEE10hipError_tT1_PNSt15iterator_traitsISG_E10value_typeET2_T3_PNSH_ISM_E10value_typeET4_T5_PSR_SS_PNS1_23onesweep_lookback_stateEbbT6_jjT7_P12ihipStream_tbENKUlT_T0_SG_SL_E_clIS9_SA_SB_SB_EEDaSZ_S10_SG_SL_EUlSZ_E_NS1_11comp_targetILNS1_3genE0ELNS1_11target_archE4294967295ELNS1_3gpuE0ELNS1_3repE0EEENS1_47radix_sort_onesweep_sort_config_static_selectorELNS0_4arch9wavefront6targetE0EEEvSG_.private_seg_size, 0
	.set _ZN7rocprim17ROCPRIM_400000_NS6detail17trampoline_kernelINS0_14default_configENS1_35radix_sort_onesweep_config_selectorIiNS0_10empty_typeEEEZZNS1_29radix_sort_onesweep_iterationIS3_Lb0EPKiPiPS5_SB_mNS0_19identity_decomposerENS1_16block_id_wrapperIjLb1EEEEE10hipError_tT1_PNSt15iterator_traitsISG_E10value_typeET2_T3_PNSH_ISM_E10value_typeET4_T5_PSR_SS_PNS1_23onesweep_lookback_stateEbbT6_jjT7_P12ihipStream_tbENKUlT_T0_SG_SL_E_clIS9_SA_SB_SB_EEDaSZ_S10_SG_SL_EUlSZ_E_NS1_11comp_targetILNS1_3genE0ELNS1_11target_archE4294967295ELNS1_3gpuE0ELNS1_3repE0EEENS1_47radix_sort_onesweep_sort_config_static_selectorELNS0_4arch9wavefront6targetE0EEEvSG_.uses_vcc, 1
	.set _ZN7rocprim17ROCPRIM_400000_NS6detail17trampoline_kernelINS0_14default_configENS1_35radix_sort_onesweep_config_selectorIiNS0_10empty_typeEEEZZNS1_29radix_sort_onesweep_iterationIS3_Lb0EPKiPiPS5_SB_mNS0_19identity_decomposerENS1_16block_id_wrapperIjLb1EEEEE10hipError_tT1_PNSt15iterator_traitsISG_E10value_typeET2_T3_PNSH_ISM_E10value_typeET4_T5_PSR_SS_PNS1_23onesweep_lookback_stateEbbT6_jjT7_P12ihipStream_tbENKUlT_T0_SG_SL_E_clIS9_SA_SB_SB_EEDaSZ_S10_SG_SL_EUlSZ_E_NS1_11comp_targetILNS1_3genE0ELNS1_11target_archE4294967295ELNS1_3gpuE0ELNS1_3repE0EEENS1_47radix_sort_onesweep_sort_config_static_selectorELNS0_4arch9wavefront6targetE0EEEvSG_.uses_flat_scratch, 0
	.set _ZN7rocprim17ROCPRIM_400000_NS6detail17trampoline_kernelINS0_14default_configENS1_35radix_sort_onesweep_config_selectorIiNS0_10empty_typeEEEZZNS1_29radix_sort_onesweep_iterationIS3_Lb0EPKiPiPS5_SB_mNS0_19identity_decomposerENS1_16block_id_wrapperIjLb1EEEEE10hipError_tT1_PNSt15iterator_traitsISG_E10value_typeET2_T3_PNSH_ISM_E10value_typeET4_T5_PSR_SS_PNS1_23onesweep_lookback_stateEbbT6_jjT7_P12ihipStream_tbENKUlT_T0_SG_SL_E_clIS9_SA_SB_SB_EEDaSZ_S10_SG_SL_EUlSZ_E_NS1_11comp_targetILNS1_3genE0ELNS1_11target_archE4294967295ELNS1_3gpuE0ELNS1_3repE0EEENS1_47radix_sort_onesweep_sort_config_static_selectorELNS0_4arch9wavefront6targetE0EEEvSG_.has_dyn_sized_stack, 0
	.set _ZN7rocprim17ROCPRIM_400000_NS6detail17trampoline_kernelINS0_14default_configENS1_35radix_sort_onesweep_config_selectorIiNS0_10empty_typeEEEZZNS1_29radix_sort_onesweep_iterationIS3_Lb0EPKiPiPS5_SB_mNS0_19identity_decomposerENS1_16block_id_wrapperIjLb1EEEEE10hipError_tT1_PNSt15iterator_traitsISG_E10value_typeET2_T3_PNSH_ISM_E10value_typeET4_T5_PSR_SS_PNS1_23onesweep_lookback_stateEbbT6_jjT7_P12ihipStream_tbENKUlT_T0_SG_SL_E_clIS9_SA_SB_SB_EEDaSZ_S10_SG_SL_EUlSZ_E_NS1_11comp_targetILNS1_3genE0ELNS1_11target_archE4294967295ELNS1_3gpuE0ELNS1_3repE0EEENS1_47radix_sort_onesweep_sort_config_static_selectorELNS0_4arch9wavefront6targetE0EEEvSG_.has_recursion, 0
	.set _ZN7rocprim17ROCPRIM_400000_NS6detail17trampoline_kernelINS0_14default_configENS1_35radix_sort_onesweep_config_selectorIiNS0_10empty_typeEEEZZNS1_29radix_sort_onesweep_iterationIS3_Lb0EPKiPiPS5_SB_mNS0_19identity_decomposerENS1_16block_id_wrapperIjLb1EEEEE10hipError_tT1_PNSt15iterator_traitsISG_E10value_typeET2_T3_PNSH_ISM_E10value_typeET4_T5_PSR_SS_PNS1_23onesweep_lookback_stateEbbT6_jjT7_P12ihipStream_tbENKUlT_T0_SG_SL_E_clIS9_SA_SB_SB_EEDaSZ_S10_SG_SL_EUlSZ_E_NS1_11comp_targetILNS1_3genE0ELNS1_11target_archE4294967295ELNS1_3gpuE0ELNS1_3repE0EEENS1_47radix_sort_onesweep_sort_config_static_selectorELNS0_4arch9wavefront6targetE0EEEvSG_.has_indirect_call, 0
	.section	.AMDGPU.csdata,"",@progbits
; Kernel info:
; codeLenInByte = 15660
; TotalNumSgprs: 31
; NumVgprs: 65
; ScratchSize: 0
; MemoryBound: 0
; FloatMode: 240
; IeeeMode: 1
; LDSByteSize: 18504 bytes/workgroup (compile time only)
; SGPRBlocks: 0
; VGPRBlocks: 4
; NumSGPRsForWavesPerEU: 31
; NumVGPRsForWavesPerEU: 65
; NamedBarCnt: 0
; Occupancy: 12
; WaveLimiterHint : 1
; COMPUTE_PGM_RSRC2:SCRATCH_EN: 0
; COMPUTE_PGM_RSRC2:USER_SGPR: 2
; COMPUTE_PGM_RSRC2:TRAP_HANDLER: 0
; COMPUTE_PGM_RSRC2:TGID_X_EN: 1
; COMPUTE_PGM_RSRC2:TGID_Y_EN: 0
; COMPUTE_PGM_RSRC2:TGID_Z_EN: 0
; COMPUTE_PGM_RSRC2:TIDIG_COMP_CNT: 2
	.section	.text._ZN7rocprim17ROCPRIM_400000_NS6detail17trampoline_kernelINS0_14default_configENS1_35radix_sort_onesweep_config_selectorIiNS0_10empty_typeEEEZZNS1_29radix_sort_onesweep_iterationIS3_Lb0EPKiPiPS5_SB_mNS0_19identity_decomposerENS1_16block_id_wrapperIjLb1EEEEE10hipError_tT1_PNSt15iterator_traitsISG_E10value_typeET2_T3_PNSH_ISM_E10value_typeET4_T5_PSR_SS_PNS1_23onesweep_lookback_stateEbbT6_jjT7_P12ihipStream_tbENKUlT_T0_SG_SL_E_clIS9_SA_SB_SB_EEDaSZ_S10_SG_SL_EUlSZ_E_NS1_11comp_targetILNS1_3genE6ELNS1_11target_archE950ELNS1_3gpuE13ELNS1_3repE0EEENS1_47radix_sort_onesweep_sort_config_static_selectorELNS0_4arch9wavefront6targetE0EEEvSG_,"axG",@progbits,_ZN7rocprim17ROCPRIM_400000_NS6detail17trampoline_kernelINS0_14default_configENS1_35radix_sort_onesweep_config_selectorIiNS0_10empty_typeEEEZZNS1_29radix_sort_onesweep_iterationIS3_Lb0EPKiPiPS5_SB_mNS0_19identity_decomposerENS1_16block_id_wrapperIjLb1EEEEE10hipError_tT1_PNSt15iterator_traitsISG_E10value_typeET2_T3_PNSH_ISM_E10value_typeET4_T5_PSR_SS_PNS1_23onesweep_lookback_stateEbbT6_jjT7_P12ihipStream_tbENKUlT_T0_SG_SL_E_clIS9_SA_SB_SB_EEDaSZ_S10_SG_SL_EUlSZ_E_NS1_11comp_targetILNS1_3genE6ELNS1_11target_archE950ELNS1_3gpuE13ELNS1_3repE0EEENS1_47radix_sort_onesweep_sort_config_static_selectorELNS0_4arch9wavefront6targetE0EEEvSG_,comdat
	.protected	_ZN7rocprim17ROCPRIM_400000_NS6detail17trampoline_kernelINS0_14default_configENS1_35radix_sort_onesweep_config_selectorIiNS0_10empty_typeEEEZZNS1_29radix_sort_onesweep_iterationIS3_Lb0EPKiPiPS5_SB_mNS0_19identity_decomposerENS1_16block_id_wrapperIjLb1EEEEE10hipError_tT1_PNSt15iterator_traitsISG_E10value_typeET2_T3_PNSH_ISM_E10value_typeET4_T5_PSR_SS_PNS1_23onesweep_lookback_stateEbbT6_jjT7_P12ihipStream_tbENKUlT_T0_SG_SL_E_clIS9_SA_SB_SB_EEDaSZ_S10_SG_SL_EUlSZ_E_NS1_11comp_targetILNS1_3genE6ELNS1_11target_archE950ELNS1_3gpuE13ELNS1_3repE0EEENS1_47radix_sort_onesweep_sort_config_static_selectorELNS0_4arch9wavefront6targetE0EEEvSG_ ; -- Begin function _ZN7rocprim17ROCPRIM_400000_NS6detail17trampoline_kernelINS0_14default_configENS1_35radix_sort_onesweep_config_selectorIiNS0_10empty_typeEEEZZNS1_29radix_sort_onesweep_iterationIS3_Lb0EPKiPiPS5_SB_mNS0_19identity_decomposerENS1_16block_id_wrapperIjLb1EEEEE10hipError_tT1_PNSt15iterator_traitsISG_E10value_typeET2_T3_PNSH_ISM_E10value_typeET4_T5_PSR_SS_PNS1_23onesweep_lookback_stateEbbT6_jjT7_P12ihipStream_tbENKUlT_T0_SG_SL_E_clIS9_SA_SB_SB_EEDaSZ_S10_SG_SL_EUlSZ_E_NS1_11comp_targetILNS1_3genE6ELNS1_11target_archE950ELNS1_3gpuE13ELNS1_3repE0EEENS1_47radix_sort_onesweep_sort_config_static_selectorELNS0_4arch9wavefront6targetE0EEEvSG_
	.globl	_ZN7rocprim17ROCPRIM_400000_NS6detail17trampoline_kernelINS0_14default_configENS1_35radix_sort_onesweep_config_selectorIiNS0_10empty_typeEEEZZNS1_29radix_sort_onesweep_iterationIS3_Lb0EPKiPiPS5_SB_mNS0_19identity_decomposerENS1_16block_id_wrapperIjLb1EEEEE10hipError_tT1_PNSt15iterator_traitsISG_E10value_typeET2_T3_PNSH_ISM_E10value_typeET4_T5_PSR_SS_PNS1_23onesweep_lookback_stateEbbT6_jjT7_P12ihipStream_tbENKUlT_T0_SG_SL_E_clIS9_SA_SB_SB_EEDaSZ_S10_SG_SL_EUlSZ_E_NS1_11comp_targetILNS1_3genE6ELNS1_11target_archE950ELNS1_3gpuE13ELNS1_3repE0EEENS1_47radix_sort_onesweep_sort_config_static_selectorELNS0_4arch9wavefront6targetE0EEEvSG_
	.p2align	8
	.type	_ZN7rocprim17ROCPRIM_400000_NS6detail17trampoline_kernelINS0_14default_configENS1_35radix_sort_onesweep_config_selectorIiNS0_10empty_typeEEEZZNS1_29radix_sort_onesweep_iterationIS3_Lb0EPKiPiPS5_SB_mNS0_19identity_decomposerENS1_16block_id_wrapperIjLb1EEEEE10hipError_tT1_PNSt15iterator_traitsISG_E10value_typeET2_T3_PNSH_ISM_E10value_typeET4_T5_PSR_SS_PNS1_23onesweep_lookback_stateEbbT6_jjT7_P12ihipStream_tbENKUlT_T0_SG_SL_E_clIS9_SA_SB_SB_EEDaSZ_S10_SG_SL_EUlSZ_E_NS1_11comp_targetILNS1_3genE6ELNS1_11target_archE950ELNS1_3gpuE13ELNS1_3repE0EEENS1_47radix_sort_onesweep_sort_config_static_selectorELNS0_4arch9wavefront6targetE0EEEvSG_,@function
_ZN7rocprim17ROCPRIM_400000_NS6detail17trampoline_kernelINS0_14default_configENS1_35radix_sort_onesweep_config_selectorIiNS0_10empty_typeEEEZZNS1_29radix_sort_onesweep_iterationIS3_Lb0EPKiPiPS5_SB_mNS0_19identity_decomposerENS1_16block_id_wrapperIjLb1EEEEE10hipError_tT1_PNSt15iterator_traitsISG_E10value_typeET2_T3_PNSH_ISM_E10value_typeET4_T5_PSR_SS_PNS1_23onesweep_lookback_stateEbbT6_jjT7_P12ihipStream_tbENKUlT_T0_SG_SL_E_clIS9_SA_SB_SB_EEDaSZ_S10_SG_SL_EUlSZ_E_NS1_11comp_targetILNS1_3genE6ELNS1_11target_archE950ELNS1_3gpuE13ELNS1_3repE0EEENS1_47radix_sort_onesweep_sort_config_static_selectorELNS0_4arch9wavefront6targetE0EEEvSG_: ; @_ZN7rocprim17ROCPRIM_400000_NS6detail17trampoline_kernelINS0_14default_configENS1_35radix_sort_onesweep_config_selectorIiNS0_10empty_typeEEEZZNS1_29radix_sort_onesweep_iterationIS3_Lb0EPKiPiPS5_SB_mNS0_19identity_decomposerENS1_16block_id_wrapperIjLb1EEEEE10hipError_tT1_PNSt15iterator_traitsISG_E10value_typeET2_T3_PNSH_ISM_E10value_typeET4_T5_PSR_SS_PNS1_23onesweep_lookback_stateEbbT6_jjT7_P12ihipStream_tbENKUlT_T0_SG_SL_E_clIS9_SA_SB_SB_EEDaSZ_S10_SG_SL_EUlSZ_E_NS1_11comp_targetILNS1_3genE6ELNS1_11target_archE950ELNS1_3gpuE13ELNS1_3repE0EEENS1_47radix_sort_onesweep_sort_config_static_selectorELNS0_4arch9wavefront6targetE0EEEvSG_
; %bb.0:
	.section	.rodata,"a",@progbits
	.p2align	6, 0x0
	.amdhsa_kernel _ZN7rocprim17ROCPRIM_400000_NS6detail17trampoline_kernelINS0_14default_configENS1_35radix_sort_onesweep_config_selectorIiNS0_10empty_typeEEEZZNS1_29radix_sort_onesweep_iterationIS3_Lb0EPKiPiPS5_SB_mNS0_19identity_decomposerENS1_16block_id_wrapperIjLb1EEEEE10hipError_tT1_PNSt15iterator_traitsISG_E10value_typeET2_T3_PNSH_ISM_E10value_typeET4_T5_PSR_SS_PNS1_23onesweep_lookback_stateEbbT6_jjT7_P12ihipStream_tbENKUlT_T0_SG_SL_E_clIS9_SA_SB_SB_EEDaSZ_S10_SG_SL_EUlSZ_E_NS1_11comp_targetILNS1_3genE6ELNS1_11target_archE950ELNS1_3gpuE13ELNS1_3repE0EEENS1_47radix_sort_onesweep_sort_config_static_selectorELNS0_4arch9wavefront6targetE0EEEvSG_
		.amdhsa_group_segment_fixed_size 0
		.amdhsa_private_segment_fixed_size 0
		.amdhsa_kernarg_size 88
		.amdhsa_user_sgpr_count 2
		.amdhsa_user_sgpr_dispatch_ptr 0
		.amdhsa_user_sgpr_queue_ptr 0
		.amdhsa_user_sgpr_kernarg_segment_ptr 1
		.amdhsa_user_sgpr_dispatch_id 0
		.amdhsa_user_sgpr_kernarg_preload_length 0
		.amdhsa_user_sgpr_kernarg_preload_offset 0
		.amdhsa_user_sgpr_private_segment_size 0
		.amdhsa_wavefront_size32 1
		.amdhsa_uses_dynamic_stack 0
		.amdhsa_enable_private_segment 0
		.amdhsa_system_sgpr_workgroup_id_x 1
		.amdhsa_system_sgpr_workgroup_id_y 0
		.amdhsa_system_sgpr_workgroup_id_z 0
		.amdhsa_system_sgpr_workgroup_info 0
		.amdhsa_system_vgpr_workitem_id 0
		.amdhsa_next_free_vgpr 1
		.amdhsa_next_free_sgpr 1
		.amdhsa_named_barrier_count 0
		.amdhsa_reserve_vcc 0
		.amdhsa_float_round_mode_32 0
		.amdhsa_float_round_mode_16_64 0
		.amdhsa_float_denorm_mode_32 3
		.amdhsa_float_denorm_mode_16_64 3
		.amdhsa_fp16_overflow 0
		.amdhsa_memory_ordered 1
		.amdhsa_forward_progress 1
		.amdhsa_inst_pref_size 0
		.amdhsa_round_robin_scheduling 0
		.amdhsa_exception_fp_ieee_invalid_op 0
		.amdhsa_exception_fp_denorm_src 0
		.amdhsa_exception_fp_ieee_div_zero 0
		.amdhsa_exception_fp_ieee_overflow 0
		.amdhsa_exception_fp_ieee_underflow 0
		.amdhsa_exception_fp_ieee_inexact 0
		.amdhsa_exception_int_div_zero 0
	.end_amdhsa_kernel
	.section	.text._ZN7rocprim17ROCPRIM_400000_NS6detail17trampoline_kernelINS0_14default_configENS1_35radix_sort_onesweep_config_selectorIiNS0_10empty_typeEEEZZNS1_29radix_sort_onesweep_iterationIS3_Lb0EPKiPiPS5_SB_mNS0_19identity_decomposerENS1_16block_id_wrapperIjLb1EEEEE10hipError_tT1_PNSt15iterator_traitsISG_E10value_typeET2_T3_PNSH_ISM_E10value_typeET4_T5_PSR_SS_PNS1_23onesweep_lookback_stateEbbT6_jjT7_P12ihipStream_tbENKUlT_T0_SG_SL_E_clIS9_SA_SB_SB_EEDaSZ_S10_SG_SL_EUlSZ_E_NS1_11comp_targetILNS1_3genE6ELNS1_11target_archE950ELNS1_3gpuE13ELNS1_3repE0EEENS1_47radix_sort_onesweep_sort_config_static_selectorELNS0_4arch9wavefront6targetE0EEEvSG_,"axG",@progbits,_ZN7rocprim17ROCPRIM_400000_NS6detail17trampoline_kernelINS0_14default_configENS1_35radix_sort_onesweep_config_selectorIiNS0_10empty_typeEEEZZNS1_29radix_sort_onesweep_iterationIS3_Lb0EPKiPiPS5_SB_mNS0_19identity_decomposerENS1_16block_id_wrapperIjLb1EEEEE10hipError_tT1_PNSt15iterator_traitsISG_E10value_typeET2_T3_PNSH_ISM_E10value_typeET4_T5_PSR_SS_PNS1_23onesweep_lookback_stateEbbT6_jjT7_P12ihipStream_tbENKUlT_T0_SG_SL_E_clIS9_SA_SB_SB_EEDaSZ_S10_SG_SL_EUlSZ_E_NS1_11comp_targetILNS1_3genE6ELNS1_11target_archE950ELNS1_3gpuE13ELNS1_3repE0EEENS1_47radix_sort_onesweep_sort_config_static_selectorELNS0_4arch9wavefront6targetE0EEEvSG_,comdat
.Lfunc_end961:
	.size	_ZN7rocprim17ROCPRIM_400000_NS6detail17trampoline_kernelINS0_14default_configENS1_35radix_sort_onesweep_config_selectorIiNS0_10empty_typeEEEZZNS1_29radix_sort_onesweep_iterationIS3_Lb0EPKiPiPS5_SB_mNS0_19identity_decomposerENS1_16block_id_wrapperIjLb1EEEEE10hipError_tT1_PNSt15iterator_traitsISG_E10value_typeET2_T3_PNSH_ISM_E10value_typeET4_T5_PSR_SS_PNS1_23onesweep_lookback_stateEbbT6_jjT7_P12ihipStream_tbENKUlT_T0_SG_SL_E_clIS9_SA_SB_SB_EEDaSZ_S10_SG_SL_EUlSZ_E_NS1_11comp_targetILNS1_3genE6ELNS1_11target_archE950ELNS1_3gpuE13ELNS1_3repE0EEENS1_47radix_sort_onesweep_sort_config_static_selectorELNS0_4arch9wavefront6targetE0EEEvSG_, .Lfunc_end961-_ZN7rocprim17ROCPRIM_400000_NS6detail17trampoline_kernelINS0_14default_configENS1_35radix_sort_onesweep_config_selectorIiNS0_10empty_typeEEEZZNS1_29radix_sort_onesweep_iterationIS3_Lb0EPKiPiPS5_SB_mNS0_19identity_decomposerENS1_16block_id_wrapperIjLb1EEEEE10hipError_tT1_PNSt15iterator_traitsISG_E10value_typeET2_T3_PNSH_ISM_E10value_typeET4_T5_PSR_SS_PNS1_23onesweep_lookback_stateEbbT6_jjT7_P12ihipStream_tbENKUlT_T0_SG_SL_E_clIS9_SA_SB_SB_EEDaSZ_S10_SG_SL_EUlSZ_E_NS1_11comp_targetILNS1_3genE6ELNS1_11target_archE950ELNS1_3gpuE13ELNS1_3repE0EEENS1_47radix_sort_onesweep_sort_config_static_selectorELNS0_4arch9wavefront6targetE0EEEvSG_
                                        ; -- End function
	.set _ZN7rocprim17ROCPRIM_400000_NS6detail17trampoline_kernelINS0_14default_configENS1_35radix_sort_onesweep_config_selectorIiNS0_10empty_typeEEEZZNS1_29radix_sort_onesweep_iterationIS3_Lb0EPKiPiPS5_SB_mNS0_19identity_decomposerENS1_16block_id_wrapperIjLb1EEEEE10hipError_tT1_PNSt15iterator_traitsISG_E10value_typeET2_T3_PNSH_ISM_E10value_typeET4_T5_PSR_SS_PNS1_23onesweep_lookback_stateEbbT6_jjT7_P12ihipStream_tbENKUlT_T0_SG_SL_E_clIS9_SA_SB_SB_EEDaSZ_S10_SG_SL_EUlSZ_E_NS1_11comp_targetILNS1_3genE6ELNS1_11target_archE950ELNS1_3gpuE13ELNS1_3repE0EEENS1_47radix_sort_onesweep_sort_config_static_selectorELNS0_4arch9wavefront6targetE0EEEvSG_.num_vgpr, 0
	.set _ZN7rocprim17ROCPRIM_400000_NS6detail17trampoline_kernelINS0_14default_configENS1_35radix_sort_onesweep_config_selectorIiNS0_10empty_typeEEEZZNS1_29radix_sort_onesweep_iterationIS3_Lb0EPKiPiPS5_SB_mNS0_19identity_decomposerENS1_16block_id_wrapperIjLb1EEEEE10hipError_tT1_PNSt15iterator_traitsISG_E10value_typeET2_T3_PNSH_ISM_E10value_typeET4_T5_PSR_SS_PNS1_23onesweep_lookback_stateEbbT6_jjT7_P12ihipStream_tbENKUlT_T0_SG_SL_E_clIS9_SA_SB_SB_EEDaSZ_S10_SG_SL_EUlSZ_E_NS1_11comp_targetILNS1_3genE6ELNS1_11target_archE950ELNS1_3gpuE13ELNS1_3repE0EEENS1_47radix_sort_onesweep_sort_config_static_selectorELNS0_4arch9wavefront6targetE0EEEvSG_.num_agpr, 0
	.set _ZN7rocprim17ROCPRIM_400000_NS6detail17trampoline_kernelINS0_14default_configENS1_35radix_sort_onesweep_config_selectorIiNS0_10empty_typeEEEZZNS1_29radix_sort_onesweep_iterationIS3_Lb0EPKiPiPS5_SB_mNS0_19identity_decomposerENS1_16block_id_wrapperIjLb1EEEEE10hipError_tT1_PNSt15iterator_traitsISG_E10value_typeET2_T3_PNSH_ISM_E10value_typeET4_T5_PSR_SS_PNS1_23onesweep_lookback_stateEbbT6_jjT7_P12ihipStream_tbENKUlT_T0_SG_SL_E_clIS9_SA_SB_SB_EEDaSZ_S10_SG_SL_EUlSZ_E_NS1_11comp_targetILNS1_3genE6ELNS1_11target_archE950ELNS1_3gpuE13ELNS1_3repE0EEENS1_47radix_sort_onesweep_sort_config_static_selectorELNS0_4arch9wavefront6targetE0EEEvSG_.numbered_sgpr, 0
	.set _ZN7rocprim17ROCPRIM_400000_NS6detail17trampoline_kernelINS0_14default_configENS1_35radix_sort_onesweep_config_selectorIiNS0_10empty_typeEEEZZNS1_29radix_sort_onesweep_iterationIS3_Lb0EPKiPiPS5_SB_mNS0_19identity_decomposerENS1_16block_id_wrapperIjLb1EEEEE10hipError_tT1_PNSt15iterator_traitsISG_E10value_typeET2_T3_PNSH_ISM_E10value_typeET4_T5_PSR_SS_PNS1_23onesweep_lookback_stateEbbT6_jjT7_P12ihipStream_tbENKUlT_T0_SG_SL_E_clIS9_SA_SB_SB_EEDaSZ_S10_SG_SL_EUlSZ_E_NS1_11comp_targetILNS1_3genE6ELNS1_11target_archE950ELNS1_3gpuE13ELNS1_3repE0EEENS1_47radix_sort_onesweep_sort_config_static_selectorELNS0_4arch9wavefront6targetE0EEEvSG_.num_named_barrier, 0
	.set _ZN7rocprim17ROCPRIM_400000_NS6detail17trampoline_kernelINS0_14default_configENS1_35radix_sort_onesweep_config_selectorIiNS0_10empty_typeEEEZZNS1_29radix_sort_onesweep_iterationIS3_Lb0EPKiPiPS5_SB_mNS0_19identity_decomposerENS1_16block_id_wrapperIjLb1EEEEE10hipError_tT1_PNSt15iterator_traitsISG_E10value_typeET2_T3_PNSH_ISM_E10value_typeET4_T5_PSR_SS_PNS1_23onesweep_lookback_stateEbbT6_jjT7_P12ihipStream_tbENKUlT_T0_SG_SL_E_clIS9_SA_SB_SB_EEDaSZ_S10_SG_SL_EUlSZ_E_NS1_11comp_targetILNS1_3genE6ELNS1_11target_archE950ELNS1_3gpuE13ELNS1_3repE0EEENS1_47radix_sort_onesweep_sort_config_static_selectorELNS0_4arch9wavefront6targetE0EEEvSG_.private_seg_size, 0
	.set _ZN7rocprim17ROCPRIM_400000_NS6detail17trampoline_kernelINS0_14default_configENS1_35radix_sort_onesweep_config_selectorIiNS0_10empty_typeEEEZZNS1_29radix_sort_onesweep_iterationIS3_Lb0EPKiPiPS5_SB_mNS0_19identity_decomposerENS1_16block_id_wrapperIjLb1EEEEE10hipError_tT1_PNSt15iterator_traitsISG_E10value_typeET2_T3_PNSH_ISM_E10value_typeET4_T5_PSR_SS_PNS1_23onesweep_lookback_stateEbbT6_jjT7_P12ihipStream_tbENKUlT_T0_SG_SL_E_clIS9_SA_SB_SB_EEDaSZ_S10_SG_SL_EUlSZ_E_NS1_11comp_targetILNS1_3genE6ELNS1_11target_archE950ELNS1_3gpuE13ELNS1_3repE0EEENS1_47radix_sort_onesweep_sort_config_static_selectorELNS0_4arch9wavefront6targetE0EEEvSG_.uses_vcc, 0
	.set _ZN7rocprim17ROCPRIM_400000_NS6detail17trampoline_kernelINS0_14default_configENS1_35radix_sort_onesweep_config_selectorIiNS0_10empty_typeEEEZZNS1_29radix_sort_onesweep_iterationIS3_Lb0EPKiPiPS5_SB_mNS0_19identity_decomposerENS1_16block_id_wrapperIjLb1EEEEE10hipError_tT1_PNSt15iterator_traitsISG_E10value_typeET2_T3_PNSH_ISM_E10value_typeET4_T5_PSR_SS_PNS1_23onesweep_lookback_stateEbbT6_jjT7_P12ihipStream_tbENKUlT_T0_SG_SL_E_clIS9_SA_SB_SB_EEDaSZ_S10_SG_SL_EUlSZ_E_NS1_11comp_targetILNS1_3genE6ELNS1_11target_archE950ELNS1_3gpuE13ELNS1_3repE0EEENS1_47radix_sort_onesweep_sort_config_static_selectorELNS0_4arch9wavefront6targetE0EEEvSG_.uses_flat_scratch, 0
	.set _ZN7rocprim17ROCPRIM_400000_NS6detail17trampoline_kernelINS0_14default_configENS1_35radix_sort_onesweep_config_selectorIiNS0_10empty_typeEEEZZNS1_29radix_sort_onesweep_iterationIS3_Lb0EPKiPiPS5_SB_mNS0_19identity_decomposerENS1_16block_id_wrapperIjLb1EEEEE10hipError_tT1_PNSt15iterator_traitsISG_E10value_typeET2_T3_PNSH_ISM_E10value_typeET4_T5_PSR_SS_PNS1_23onesweep_lookback_stateEbbT6_jjT7_P12ihipStream_tbENKUlT_T0_SG_SL_E_clIS9_SA_SB_SB_EEDaSZ_S10_SG_SL_EUlSZ_E_NS1_11comp_targetILNS1_3genE6ELNS1_11target_archE950ELNS1_3gpuE13ELNS1_3repE0EEENS1_47radix_sort_onesweep_sort_config_static_selectorELNS0_4arch9wavefront6targetE0EEEvSG_.has_dyn_sized_stack, 0
	.set _ZN7rocprim17ROCPRIM_400000_NS6detail17trampoline_kernelINS0_14default_configENS1_35radix_sort_onesweep_config_selectorIiNS0_10empty_typeEEEZZNS1_29radix_sort_onesweep_iterationIS3_Lb0EPKiPiPS5_SB_mNS0_19identity_decomposerENS1_16block_id_wrapperIjLb1EEEEE10hipError_tT1_PNSt15iterator_traitsISG_E10value_typeET2_T3_PNSH_ISM_E10value_typeET4_T5_PSR_SS_PNS1_23onesweep_lookback_stateEbbT6_jjT7_P12ihipStream_tbENKUlT_T0_SG_SL_E_clIS9_SA_SB_SB_EEDaSZ_S10_SG_SL_EUlSZ_E_NS1_11comp_targetILNS1_3genE6ELNS1_11target_archE950ELNS1_3gpuE13ELNS1_3repE0EEENS1_47radix_sort_onesweep_sort_config_static_selectorELNS0_4arch9wavefront6targetE0EEEvSG_.has_recursion, 0
	.set _ZN7rocprim17ROCPRIM_400000_NS6detail17trampoline_kernelINS0_14default_configENS1_35radix_sort_onesweep_config_selectorIiNS0_10empty_typeEEEZZNS1_29radix_sort_onesweep_iterationIS3_Lb0EPKiPiPS5_SB_mNS0_19identity_decomposerENS1_16block_id_wrapperIjLb1EEEEE10hipError_tT1_PNSt15iterator_traitsISG_E10value_typeET2_T3_PNSH_ISM_E10value_typeET4_T5_PSR_SS_PNS1_23onesweep_lookback_stateEbbT6_jjT7_P12ihipStream_tbENKUlT_T0_SG_SL_E_clIS9_SA_SB_SB_EEDaSZ_S10_SG_SL_EUlSZ_E_NS1_11comp_targetILNS1_3genE6ELNS1_11target_archE950ELNS1_3gpuE13ELNS1_3repE0EEENS1_47radix_sort_onesweep_sort_config_static_selectorELNS0_4arch9wavefront6targetE0EEEvSG_.has_indirect_call, 0
	.section	.AMDGPU.csdata,"",@progbits
; Kernel info:
; codeLenInByte = 0
; TotalNumSgprs: 0
; NumVgprs: 0
; ScratchSize: 0
; MemoryBound: 0
; FloatMode: 240
; IeeeMode: 1
; LDSByteSize: 0 bytes/workgroup (compile time only)
; SGPRBlocks: 0
; VGPRBlocks: 0
; NumSGPRsForWavesPerEU: 1
; NumVGPRsForWavesPerEU: 1
; NamedBarCnt: 0
; Occupancy: 16
; WaveLimiterHint : 0
; COMPUTE_PGM_RSRC2:SCRATCH_EN: 0
; COMPUTE_PGM_RSRC2:USER_SGPR: 2
; COMPUTE_PGM_RSRC2:TRAP_HANDLER: 0
; COMPUTE_PGM_RSRC2:TGID_X_EN: 1
; COMPUTE_PGM_RSRC2:TGID_Y_EN: 0
; COMPUTE_PGM_RSRC2:TGID_Z_EN: 0
; COMPUTE_PGM_RSRC2:TIDIG_COMP_CNT: 0
	.section	.text._ZN7rocprim17ROCPRIM_400000_NS6detail17trampoline_kernelINS0_14default_configENS1_35radix_sort_onesweep_config_selectorIiNS0_10empty_typeEEEZZNS1_29radix_sort_onesweep_iterationIS3_Lb0EPKiPiPS5_SB_mNS0_19identity_decomposerENS1_16block_id_wrapperIjLb1EEEEE10hipError_tT1_PNSt15iterator_traitsISG_E10value_typeET2_T3_PNSH_ISM_E10value_typeET4_T5_PSR_SS_PNS1_23onesweep_lookback_stateEbbT6_jjT7_P12ihipStream_tbENKUlT_T0_SG_SL_E_clIS9_SA_SB_SB_EEDaSZ_S10_SG_SL_EUlSZ_E_NS1_11comp_targetILNS1_3genE5ELNS1_11target_archE942ELNS1_3gpuE9ELNS1_3repE0EEENS1_47radix_sort_onesweep_sort_config_static_selectorELNS0_4arch9wavefront6targetE0EEEvSG_,"axG",@progbits,_ZN7rocprim17ROCPRIM_400000_NS6detail17trampoline_kernelINS0_14default_configENS1_35radix_sort_onesweep_config_selectorIiNS0_10empty_typeEEEZZNS1_29radix_sort_onesweep_iterationIS3_Lb0EPKiPiPS5_SB_mNS0_19identity_decomposerENS1_16block_id_wrapperIjLb1EEEEE10hipError_tT1_PNSt15iterator_traitsISG_E10value_typeET2_T3_PNSH_ISM_E10value_typeET4_T5_PSR_SS_PNS1_23onesweep_lookback_stateEbbT6_jjT7_P12ihipStream_tbENKUlT_T0_SG_SL_E_clIS9_SA_SB_SB_EEDaSZ_S10_SG_SL_EUlSZ_E_NS1_11comp_targetILNS1_3genE5ELNS1_11target_archE942ELNS1_3gpuE9ELNS1_3repE0EEENS1_47radix_sort_onesweep_sort_config_static_selectorELNS0_4arch9wavefront6targetE0EEEvSG_,comdat
	.protected	_ZN7rocprim17ROCPRIM_400000_NS6detail17trampoline_kernelINS0_14default_configENS1_35radix_sort_onesweep_config_selectorIiNS0_10empty_typeEEEZZNS1_29radix_sort_onesweep_iterationIS3_Lb0EPKiPiPS5_SB_mNS0_19identity_decomposerENS1_16block_id_wrapperIjLb1EEEEE10hipError_tT1_PNSt15iterator_traitsISG_E10value_typeET2_T3_PNSH_ISM_E10value_typeET4_T5_PSR_SS_PNS1_23onesweep_lookback_stateEbbT6_jjT7_P12ihipStream_tbENKUlT_T0_SG_SL_E_clIS9_SA_SB_SB_EEDaSZ_S10_SG_SL_EUlSZ_E_NS1_11comp_targetILNS1_3genE5ELNS1_11target_archE942ELNS1_3gpuE9ELNS1_3repE0EEENS1_47radix_sort_onesweep_sort_config_static_selectorELNS0_4arch9wavefront6targetE0EEEvSG_ ; -- Begin function _ZN7rocprim17ROCPRIM_400000_NS6detail17trampoline_kernelINS0_14default_configENS1_35radix_sort_onesweep_config_selectorIiNS0_10empty_typeEEEZZNS1_29radix_sort_onesweep_iterationIS3_Lb0EPKiPiPS5_SB_mNS0_19identity_decomposerENS1_16block_id_wrapperIjLb1EEEEE10hipError_tT1_PNSt15iterator_traitsISG_E10value_typeET2_T3_PNSH_ISM_E10value_typeET4_T5_PSR_SS_PNS1_23onesweep_lookback_stateEbbT6_jjT7_P12ihipStream_tbENKUlT_T0_SG_SL_E_clIS9_SA_SB_SB_EEDaSZ_S10_SG_SL_EUlSZ_E_NS1_11comp_targetILNS1_3genE5ELNS1_11target_archE942ELNS1_3gpuE9ELNS1_3repE0EEENS1_47radix_sort_onesweep_sort_config_static_selectorELNS0_4arch9wavefront6targetE0EEEvSG_
	.globl	_ZN7rocprim17ROCPRIM_400000_NS6detail17trampoline_kernelINS0_14default_configENS1_35radix_sort_onesweep_config_selectorIiNS0_10empty_typeEEEZZNS1_29radix_sort_onesweep_iterationIS3_Lb0EPKiPiPS5_SB_mNS0_19identity_decomposerENS1_16block_id_wrapperIjLb1EEEEE10hipError_tT1_PNSt15iterator_traitsISG_E10value_typeET2_T3_PNSH_ISM_E10value_typeET4_T5_PSR_SS_PNS1_23onesweep_lookback_stateEbbT6_jjT7_P12ihipStream_tbENKUlT_T0_SG_SL_E_clIS9_SA_SB_SB_EEDaSZ_S10_SG_SL_EUlSZ_E_NS1_11comp_targetILNS1_3genE5ELNS1_11target_archE942ELNS1_3gpuE9ELNS1_3repE0EEENS1_47radix_sort_onesweep_sort_config_static_selectorELNS0_4arch9wavefront6targetE0EEEvSG_
	.p2align	8
	.type	_ZN7rocprim17ROCPRIM_400000_NS6detail17trampoline_kernelINS0_14default_configENS1_35radix_sort_onesweep_config_selectorIiNS0_10empty_typeEEEZZNS1_29radix_sort_onesweep_iterationIS3_Lb0EPKiPiPS5_SB_mNS0_19identity_decomposerENS1_16block_id_wrapperIjLb1EEEEE10hipError_tT1_PNSt15iterator_traitsISG_E10value_typeET2_T3_PNSH_ISM_E10value_typeET4_T5_PSR_SS_PNS1_23onesweep_lookback_stateEbbT6_jjT7_P12ihipStream_tbENKUlT_T0_SG_SL_E_clIS9_SA_SB_SB_EEDaSZ_S10_SG_SL_EUlSZ_E_NS1_11comp_targetILNS1_3genE5ELNS1_11target_archE942ELNS1_3gpuE9ELNS1_3repE0EEENS1_47radix_sort_onesweep_sort_config_static_selectorELNS0_4arch9wavefront6targetE0EEEvSG_,@function
_ZN7rocprim17ROCPRIM_400000_NS6detail17trampoline_kernelINS0_14default_configENS1_35radix_sort_onesweep_config_selectorIiNS0_10empty_typeEEEZZNS1_29radix_sort_onesweep_iterationIS3_Lb0EPKiPiPS5_SB_mNS0_19identity_decomposerENS1_16block_id_wrapperIjLb1EEEEE10hipError_tT1_PNSt15iterator_traitsISG_E10value_typeET2_T3_PNSH_ISM_E10value_typeET4_T5_PSR_SS_PNS1_23onesweep_lookback_stateEbbT6_jjT7_P12ihipStream_tbENKUlT_T0_SG_SL_E_clIS9_SA_SB_SB_EEDaSZ_S10_SG_SL_EUlSZ_E_NS1_11comp_targetILNS1_3genE5ELNS1_11target_archE942ELNS1_3gpuE9ELNS1_3repE0EEENS1_47radix_sort_onesweep_sort_config_static_selectorELNS0_4arch9wavefront6targetE0EEEvSG_: ; @_ZN7rocprim17ROCPRIM_400000_NS6detail17trampoline_kernelINS0_14default_configENS1_35radix_sort_onesweep_config_selectorIiNS0_10empty_typeEEEZZNS1_29radix_sort_onesweep_iterationIS3_Lb0EPKiPiPS5_SB_mNS0_19identity_decomposerENS1_16block_id_wrapperIjLb1EEEEE10hipError_tT1_PNSt15iterator_traitsISG_E10value_typeET2_T3_PNSH_ISM_E10value_typeET4_T5_PSR_SS_PNS1_23onesweep_lookback_stateEbbT6_jjT7_P12ihipStream_tbENKUlT_T0_SG_SL_E_clIS9_SA_SB_SB_EEDaSZ_S10_SG_SL_EUlSZ_E_NS1_11comp_targetILNS1_3genE5ELNS1_11target_archE942ELNS1_3gpuE9ELNS1_3repE0EEENS1_47radix_sort_onesweep_sort_config_static_selectorELNS0_4arch9wavefront6targetE0EEEvSG_
; %bb.0:
	.section	.rodata,"a",@progbits
	.p2align	6, 0x0
	.amdhsa_kernel _ZN7rocprim17ROCPRIM_400000_NS6detail17trampoline_kernelINS0_14default_configENS1_35radix_sort_onesweep_config_selectorIiNS0_10empty_typeEEEZZNS1_29radix_sort_onesweep_iterationIS3_Lb0EPKiPiPS5_SB_mNS0_19identity_decomposerENS1_16block_id_wrapperIjLb1EEEEE10hipError_tT1_PNSt15iterator_traitsISG_E10value_typeET2_T3_PNSH_ISM_E10value_typeET4_T5_PSR_SS_PNS1_23onesweep_lookback_stateEbbT6_jjT7_P12ihipStream_tbENKUlT_T0_SG_SL_E_clIS9_SA_SB_SB_EEDaSZ_S10_SG_SL_EUlSZ_E_NS1_11comp_targetILNS1_3genE5ELNS1_11target_archE942ELNS1_3gpuE9ELNS1_3repE0EEENS1_47radix_sort_onesweep_sort_config_static_selectorELNS0_4arch9wavefront6targetE0EEEvSG_
		.amdhsa_group_segment_fixed_size 0
		.amdhsa_private_segment_fixed_size 0
		.amdhsa_kernarg_size 88
		.amdhsa_user_sgpr_count 2
		.amdhsa_user_sgpr_dispatch_ptr 0
		.amdhsa_user_sgpr_queue_ptr 0
		.amdhsa_user_sgpr_kernarg_segment_ptr 1
		.amdhsa_user_sgpr_dispatch_id 0
		.amdhsa_user_sgpr_kernarg_preload_length 0
		.amdhsa_user_sgpr_kernarg_preload_offset 0
		.amdhsa_user_sgpr_private_segment_size 0
		.amdhsa_wavefront_size32 1
		.amdhsa_uses_dynamic_stack 0
		.amdhsa_enable_private_segment 0
		.amdhsa_system_sgpr_workgroup_id_x 1
		.amdhsa_system_sgpr_workgroup_id_y 0
		.amdhsa_system_sgpr_workgroup_id_z 0
		.amdhsa_system_sgpr_workgroup_info 0
		.amdhsa_system_vgpr_workitem_id 0
		.amdhsa_next_free_vgpr 1
		.amdhsa_next_free_sgpr 1
		.amdhsa_named_barrier_count 0
		.amdhsa_reserve_vcc 0
		.amdhsa_float_round_mode_32 0
		.amdhsa_float_round_mode_16_64 0
		.amdhsa_float_denorm_mode_32 3
		.amdhsa_float_denorm_mode_16_64 3
		.amdhsa_fp16_overflow 0
		.amdhsa_memory_ordered 1
		.amdhsa_forward_progress 1
		.amdhsa_inst_pref_size 0
		.amdhsa_round_robin_scheduling 0
		.amdhsa_exception_fp_ieee_invalid_op 0
		.amdhsa_exception_fp_denorm_src 0
		.amdhsa_exception_fp_ieee_div_zero 0
		.amdhsa_exception_fp_ieee_overflow 0
		.amdhsa_exception_fp_ieee_underflow 0
		.amdhsa_exception_fp_ieee_inexact 0
		.amdhsa_exception_int_div_zero 0
	.end_amdhsa_kernel
	.section	.text._ZN7rocprim17ROCPRIM_400000_NS6detail17trampoline_kernelINS0_14default_configENS1_35radix_sort_onesweep_config_selectorIiNS0_10empty_typeEEEZZNS1_29radix_sort_onesweep_iterationIS3_Lb0EPKiPiPS5_SB_mNS0_19identity_decomposerENS1_16block_id_wrapperIjLb1EEEEE10hipError_tT1_PNSt15iterator_traitsISG_E10value_typeET2_T3_PNSH_ISM_E10value_typeET4_T5_PSR_SS_PNS1_23onesweep_lookback_stateEbbT6_jjT7_P12ihipStream_tbENKUlT_T0_SG_SL_E_clIS9_SA_SB_SB_EEDaSZ_S10_SG_SL_EUlSZ_E_NS1_11comp_targetILNS1_3genE5ELNS1_11target_archE942ELNS1_3gpuE9ELNS1_3repE0EEENS1_47radix_sort_onesweep_sort_config_static_selectorELNS0_4arch9wavefront6targetE0EEEvSG_,"axG",@progbits,_ZN7rocprim17ROCPRIM_400000_NS6detail17trampoline_kernelINS0_14default_configENS1_35radix_sort_onesweep_config_selectorIiNS0_10empty_typeEEEZZNS1_29radix_sort_onesweep_iterationIS3_Lb0EPKiPiPS5_SB_mNS0_19identity_decomposerENS1_16block_id_wrapperIjLb1EEEEE10hipError_tT1_PNSt15iterator_traitsISG_E10value_typeET2_T3_PNSH_ISM_E10value_typeET4_T5_PSR_SS_PNS1_23onesweep_lookback_stateEbbT6_jjT7_P12ihipStream_tbENKUlT_T0_SG_SL_E_clIS9_SA_SB_SB_EEDaSZ_S10_SG_SL_EUlSZ_E_NS1_11comp_targetILNS1_3genE5ELNS1_11target_archE942ELNS1_3gpuE9ELNS1_3repE0EEENS1_47radix_sort_onesweep_sort_config_static_selectorELNS0_4arch9wavefront6targetE0EEEvSG_,comdat
.Lfunc_end962:
	.size	_ZN7rocprim17ROCPRIM_400000_NS6detail17trampoline_kernelINS0_14default_configENS1_35radix_sort_onesweep_config_selectorIiNS0_10empty_typeEEEZZNS1_29radix_sort_onesweep_iterationIS3_Lb0EPKiPiPS5_SB_mNS0_19identity_decomposerENS1_16block_id_wrapperIjLb1EEEEE10hipError_tT1_PNSt15iterator_traitsISG_E10value_typeET2_T3_PNSH_ISM_E10value_typeET4_T5_PSR_SS_PNS1_23onesweep_lookback_stateEbbT6_jjT7_P12ihipStream_tbENKUlT_T0_SG_SL_E_clIS9_SA_SB_SB_EEDaSZ_S10_SG_SL_EUlSZ_E_NS1_11comp_targetILNS1_3genE5ELNS1_11target_archE942ELNS1_3gpuE9ELNS1_3repE0EEENS1_47radix_sort_onesweep_sort_config_static_selectorELNS0_4arch9wavefront6targetE0EEEvSG_, .Lfunc_end962-_ZN7rocprim17ROCPRIM_400000_NS6detail17trampoline_kernelINS0_14default_configENS1_35radix_sort_onesweep_config_selectorIiNS0_10empty_typeEEEZZNS1_29radix_sort_onesweep_iterationIS3_Lb0EPKiPiPS5_SB_mNS0_19identity_decomposerENS1_16block_id_wrapperIjLb1EEEEE10hipError_tT1_PNSt15iterator_traitsISG_E10value_typeET2_T3_PNSH_ISM_E10value_typeET4_T5_PSR_SS_PNS1_23onesweep_lookback_stateEbbT6_jjT7_P12ihipStream_tbENKUlT_T0_SG_SL_E_clIS9_SA_SB_SB_EEDaSZ_S10_SG_SL_EUlSZ_E_NS1_11comp_targetILNS1_3genE5ELNS1_11target_archE942ELNS1_3gpuE9ELNS1_3repE0EEENS1_47radix_sort_onesweep_sort_config_static_selectorELNS0_4arch9wavefront6targetE0EEEvSG_
                                        ; -- End function
	.set _ZN7rocprim17ROCPRIM_400000_NS6detail17trampoline_kernelINS0_14default_configENS1_35radix_sort_onesweep_config_selectorIiNS0_10empty_typeEEEZZNS1_29radix_sort_onesweep_iterationIS3_Lb0EPKiPiPS5_SB_mNS0_19identity_decomposerENS1_16block_id_wrapperIjLb1EEEEE10hipError_tT1_PNSt15iterator_traitsISG_E10value_typeET2_T3_PNSH_ISM_E10value_typeET4_T5_PSR_SS_PNS1_23onesweep_lookback_stateEbbT6_jjT7_P12ihipStream_tbENKUlT_T0_SG_SL_E_clIS9_SA_SB_SB_EEDaSZ_S10_SG_SL_EUlSZ_E_NS1_11comp_targetILNS1_3genE5ELNS1_11target_archE942ELNS1_3gpuE9ELNS1_3repE0EEENS1_47radix_sort_onesweep_sort_config_static_selectorELNS0_4arch9wavefront6targetE0EEEvSG_.num_vgpr, 0
	.set _ZN7rocprim17ROCPRIM_400000_NS6detail17trampoline_kernelINS0_14default_configENS1_35radix_sort_onesweep_config_selectorIiNS0_10empty_typeEEEZZNS1_29radix_sort_onesweep_iterationIS3_Lb0EPKiPiPS5_SB_mNS0_19identity_decomposerENS1_16block_id_wrapperIjLb1EEEEE10hipError_tT1_PNSt15iterator_traitsISG_E10value_typeET2_T3_PNSH_ISM_E10value_typeET4_T5_PSR_SS_PNS1_23onesweep_lookback_stateEbbT6_jjT7_P12ihipStream_tbENKUlT_T0_SG_SL_E_clIS9_SA_SB_SB_EEDaSZ_S10_SG_SL_EUlSZ_E_NS1_11comp_targetILNS1_3genE5ELNS1_11target_archE942ELNS1_3gpuE9ELNS1_3repE0EEENS1_47radix_sort_onesweep_sort_config_static_selectorELNS0_4arch9wavefront6targetE0EEEvSG_.num_agpr, 0
	.set _ZN7rocprim17ROCPRIM_400000_NS6detail17trampoline_kernelINS0_14default_configENS1_35radix_sort_onesweep_config_selectorIiNS0_10empty_typeEEEZZNS1_29radix_sort_onesweep_iterationIS3_Lb0EPKiPiPS5_SB_mNS0_19identity_decomposerENS1_16block_id_wrapperIjLb1EEEEE10hipError_tT1_PNSt15iterator_traitsISG_E10value_typeET2_T3_PNSH_ISM_E10value_typeET4_T5_PSR_SS_PNS1_23onesweep_lookback_stateEbbT6_jjT7_P12ihipStream_tbENKUlT_T0_SG_SL_E_clIS9_SA_SB_SB_EEDaSZ_S10_SG_SL_EUlSZ_E_NS1_11comp_targetILNS1_3genE5ELNS1_11target_archE942ELNS1_3gpuE9ELNS1_3repE0EEENS1_47radix_sort_onesweep_sort_config_static_selectorELNS0_4arch9wavefront6targetE0EEEvSG_.numbered_sgpr, 0
	.set _ZN7rocprim17ROCPRIM_400000_NS6detail17trampoline_kernelINS0_14default_configENS1_35radix_sort_onesweep_config_selectorIiNS0_10empty_typeEEEZZNS1_29radix_sort_onesweep_iterationIS3_Lb0EPKiPiPS5_SB_mNS0_19identity_decomposerENS1_16block_id_wrapperIjLb1EEEEE10hipError_tT1_PNSt15iterator_traitsISG_E10value_typeET2_T3_PNSH_ISM_E10value_typeET4_T5_PSR_SS_PNS1_23onesweep_lookback_stateEbbT6_jjT7_P12ihipStream_tbENKUlT_T0_SG_SL_E_clIS9_SA_SB_SB_EEDaSZ_S10_SG_SL_EUlSZ_E_NS1_11comp_targetILNS1_3genE5ELNS1_11target_archE942ELNS1_3gpuE9ELNS1_3repE0EEENS1_47radix_sort_onesweep_sort_config_static_selectorELNS0_4arch9wavefront6targetE0EEEvSG_.num_named_barrier, 0
	.set _ZN7rocprim17ROCPRIM_400000_NS6detail17trampoline_kernelINS0_14default_configENS1_35radix_sort_onesweep_config_selectorIiNS0_10empty_typeEEEZZNS1_29radix_sort_onesweep_iterationIS3_Lb0EPKiPiPS5_SB_mNS0_19identity_decomposerENS1_16block_id_wrapperIjLb1EEEEE10hipError_tT1_PNSt15iterator_traitsISG_E10value_typeET2_T3_PNSH_ISM_E10value_typeET4_T5_PSR_SS_PNS1_23onesweep_lookback_stateEbbT6_jjT7_P12ihipStream_tbENKUlT_T0_SG_SL_E_clIS9_SA_SB_SB_EEDaSZ_S10_SG_SL_EUlSZ_E_NS1_11comp_targetILNS1_3genE5ELNS1_11target_archE942ELNS1_3gpuE9ELNS1_3repE0EEENS1_47radix_sort_onesweep_sort_config_static_selectorELNS0_4arch9wavefront6targetE0EEEvSG_.private_seg_size, 0
	.set _ZN7rocprim17ROCPRIM_400000_NS6detail17trampoline_kernelINS0_14default_configENS1_35radix_sort_onesweep_config_selectorIiNS0_10empty_typeEEEZZNS1_29radix_sort_onesweep_iterationIS3_Lb0EPKiPiPS5_SB_mNS0_19identity_decomposerENS1_16block_id_wrapperIjLb1EEEEE10hipError_tT1_PNSt15iterator_traitsISG_E10value_typeET2_T3_PNSH_ISM_E10value_typeET4_T5_PSR_SS_PNS1_23onesweep_lookback_stateEbbT6_jjT7_P12ihipStream_tbENKUlT_T0_SG_SL_E_clIS9_SA_SB_SB_EEDaSZ_S10_SG_SL_EUlSZ_E_NS1_11comp_targetILNS1_3genE5ELNS1_11target_archE942ELNS1_3gpuE9ELNS1_3repE0EEENS1_47radix_sort_onesweep_sort_config_static_selectorELNS0_4arch9wavefront6targetE0EEEvSG_.uses_vcc, 0
	.set _ZN7rocprim17ROCPRIM_400000_NS6detail17trampoline_kernelINS0_14default_configENS1_35radix_sort_onesweep_config_selectorIiNS0_10empty_typeEEEZZNS1_29radix_sort_onesweep_iterationIS3_Lb0EPKiPiPS5_SB_mNS0_19identity_decomposerENS1_16block_id_wrapperIjLb1EEEEE10hipError_tT1_PNSt15iterator_traitsISG_E10value_typeET2_T3_PNSH_ISM_E10value_typeET4_T5_PSR_SS_PNS1_23onesweep_lookback_stateEbbT6_jjT7_P12ihipStream_tbENKUlT_T0_SG_SL_E_clIS9_SA_SB_SB_EEDaSZ_S10_SG_SL_EUlSZ_E_NS1_11comp_targetILNS1_3genE5ELNS1_11target_archE942ELNS1_3gpuE9ELNS1_3repE0EEENS1_47radix_sort_onesweep_sort_config_static_selectorELNS0_4arch9wavefront6targetE0EEEvSG_.uses_flat_scratch, 0
	.set _ZN7rocprim17ROCPRIM_400000_NS6detail17trampoline_kernelINS0_14default_configENS1_35radix_sort_onesweep_config_selectorIiNS0_10empty_typeEEEZZNS1_29radix_sort_onesweep_iterationIS3_Lb0EPKiPiPS5_SB_mNS0_19identity_decomposerENS1_16block_id_wrapperIjLb1EEEEE10hipError_tT1_PNSt15iterator_traitsISG_E10value_typeET2_T3_PNSH_ISM_E10value_typeET4_T5_PSR_SS_PNS1_23onesweep_lookback_stateEbbT6_jjT7_P12ihipStream_tbENKUlT_T0_SG_SL_E_clIS9_SA_SB_SB_EEDaSZ_S10_SG_SL_EUlSZ_E_NS1_11comp_targetILNS1_3genE5ELNS1_11target_archE942ELNS1_3gpuE9ELNS1_3repE0EEENS1_47radix_sort_onesweep_sort_config_static_selectorELNS0_4arch9wavefront6targetE0EEEvSG_.has_dyn_sized_stack, 0
	.set _ZN7rocprim17ROCPRIM_400000_NS6detail17trampoline_kernelINS0_14default_configENS1_35radix_sort_onesweep_config_selectorIiNS0_10empty_typeEEEZZNS1_29radix_sort_onesweep_iterationIS3_Lb0EPKiPiPS5_SB_mNS0_19identity_decomposerENS1_16block_id_wrapperIjLb1EEEEE10hipError_tT1_PNSt15iterator_traitsISG_E10value_typeET2_T3_PNSH_ISM_E10value_typeET4_T5_PSR_SS_PNS1_23onesweep_lookback_stateEbbT6_jjT7_P12ihipStream_tbENKUlT_T0_SG_SL_E_clIS9_SA_SB_SB_EEDaSZ_S10_SG_SL_EUlSZ_E_NS1_11comp_targetILNS1_3genE5ELNS1_11target_archE942ELNS1_3gpuE9ELNS1_3repE0EEENS1_47radix_sort_onesweep_sort_config_static_selectorELNS0_4arch9wavefront6targetE0EEEvSG_.has_recursion, 0
	.set _ZN7rocprim17ROCPRIM_400000_NS6detail17trampoline_kernelINS0_14default_configENS1_35radix_sort_onesweep_config_selectorIiNS0_10empty_typeEEEZZNS1_29radix_sort_onesweep_iterationIS3_Lb0EPKiPiPS5_SB_mNS0_19identity_decomposerENS1_16block_id_wrapperIjLb1EEEEE10hipError_tT1_PNSt15iterator_traitsISG_E10value_typeET2_T3_PNSH_ISM_E10value_typeET4_T5_PSR_SS_PNS1_23onesweep_lookback_stateEbbT6_jjT7_P12ihipStream_tbENKUlT_T0_SG_SL_E_clIS9_SA_SB_SB_EEDaSZ_S10_SG_SL_EUlSZ_E_NS1_11comp_targetILNS1_3genE5ELNS1_11target_archE942ELNS1_3gpuE9ELNS1_3repE0EEENS1_47radix_sort_onesweep_sort_config_static_selectorELNS0_4arch9wavefront6targetE0EEEvSG_.has_indirect_call, 0
	.section	.AMDGPU.csdata,"",@progbits
; Kernel info:
; codeLenInByte = 0
; TotalNumSgprs: 0
; NumVgprs: 0
; ScratchSize: 0
; MemoryBound: 0
; FloatMode: 240
; IeeeMode: 1
; LDSByteSize: 0 bytes/workgroup (compile time only)
; SGPRBlocks: 0
; VGPRBlocks: 0
; NumSGPRsForWavesPerEU: 1
; NumVGPRsForWavesPerEU: 1
; NamedBarCnt: 0
; Occupancy: 16
; WaveLimiterHint : 0
; COMPUTE_PGM_RSRC2:SCRATCH_EN: 0
; COMPUTE_PGM_RSRC2:USER_SGPR: 2
; COMPUTE_PGM_RSRC2:TRAP_HANDLER: 0
; COMPUTE_PGM_RSRC2:TGID_X_EN: 1
; COMPUTE_PGM_RSRC2:TGID_Y_EN: 0
; COMPUTE_PGM_RSRC2:TGID_Z_EN: 0
; COMPUTE_PGM_RSRC2:TIDIG_COMP_CNT: 0
	.section	.text._ZN7rocprim17ROCPRIM_400000_NS6detail17trampoline_kernelINS0_14default_configENS1_35radix_sort_onesweep_config_selectorIiNS0_10empty_typeEEEZZNS1_29radix_sort_onesweep_iterationIS3_Lb0EPKiPiPS5_SB_mNS0_19identity_decomposerENS1_16block_id_wrapperIjLb1EEEEE10hipError_tT1_PNSt15iterator_traitsISG_E10value_typeET2_T3_PNSH_ISM_E10value_typeET4_T5_PSR_SS_PNS1_23onesweep_lookback_stateEbbT6_jjT7_P12ihipStream_tbENKUlT_T0_SG_SL_E_clIS9_SA_SB_SB_EEDaSZ_S10_SG_SL_EUlSZ_E_NS1_11comp_targetILNS1_3genE2ELNS1_11target_archE906ELNS1_3gpuE6ELNS1_3repE0EEENS1_47radix_sort_onesweep_sort_config_static_selectorELNS0_4arch9wavefront6targetE0EEEvSG_,"axG",@progbits,_ZN7rocprim17ROCPRIM_400000_NS6detail17trampoline_kernelINS0_14default_configENS1_35radix_sort_onesweep_config_selectorIiNS0_10empty_typeEEEZZNS1_29radix_sort_onesweep_iterationIS3_Lb0EPKiPiPS5_SB_mNS0_19identity_decomposerENS1_16block_id_wrapperIjLb1EEEEE10hipError_tT1_PNSt15iterator_traitsISG_E10value_typeET2_T3_PNSH_ISM_E10value_typeET4_T5_PSR_SS_PNS1_23onesweep_lookback_stateEbbT6_jjT7_P12ihipStream_tbENKUlT_T0_SG_SL_E_clIS9_SA_SB_SB_EEDaSZ_S10_SG_SL_EUlSZ_E_NS1_11comp_targetILNS1_3genE2ELNS1_11target_archE906ELNS1_3gpuE6ELNS1_3repE0EEENS1_47radix_sort_onesweep_sort_config_static_selectorELNS0_4arch9wavefront6targetE0EEEvSG_,comdat
	.protected	_ZN7rocprim17ROCPRIM_400000_NS6detail17trampoline_kernelINS0_14default_configENS1_35radix_sort_onesweep_config_selectorIiNS0_10empty_typeEEEZZNS1_29radix_sort_onesweep_iterationIS3_Lb0EPKiPiPS5_SB_mNS0_19identity_decomposerENS1_16block_id_wrapperIjLb1EEEEE10hipError_tT1_PNSt15iterator_traitsISG_E10value_typeET2_T3_PNSH_ISM_E10value_typeET4_T5_PSR_SS_PNS1_23onesweep_lookback_stateEbbT6_jjT7_P12ihipStream_tbENKUlT_T0_SG_SL_E_clIS9_SA_SB_SB_EEDaSZ_S10_SG_SL_EUlSZ_E_NS1_11comp_targetILNS1_3genE2ELNS1_11target_archE906ELNS1_3gpuE6ELNS1_3repE0EEENS1_47radix_sort_onesweep_sort_config_static_selectorELNS0_4arch9wavefront6targetE0EEEvSG_ ; -- Begin function _ZN7rocprim17ROCPRIM_400000_NS6detail17trampoline_kernelINS0_14default_configENS1_35radix_sort_onesweep_config_selectorIiNS0_10empty_typeEEEZZNS1_29radix_sort_onesweep_iterationIS3_Lb0EPKiPiPS5_SB_mNS0_19identity_decomposerENS1_16block_id_wrapperIjLb1EEEEE10hipError_tT1_PNSt15iterator_traitsISG_E10value_typeET2_T3_PNSH_ISM_E10value_typeET4_T5_PSR_SS_PNS1_23onesweep_lookback_stateEbbT6_jjT7_P12ihipStream_tbENKUlT_T0_SG_SL_E_clIS9_SA_SB_SB_EEDaSZ_S10_SG_SL_EUlSZ_E_NS1_11comp_targetILNS1_3genE2ELNS1_11target_archE906ELNS1_3gpuE6ELNS1_3repE0EEENS1_47radix_sort_onesweep_sort_config_static_selectorELNS0_4arch9wavefront6targetE0EEEvSG_
	.globl	_ZN7rocprim17ROCPRIM_400000_NS6detail17trampoline_kernelINS0_14default_configENS1_35radix_sort_onesweep_config_selectorIiNS0_10empty_typeEEEZZNS1_29radix_sort_onesweep_iterationIS3_Lb0EPKiPiPS5_SB_mNS0_19identity_decomposerENS1_16block_id_wrapperIjLb1EEEEE10hipError_tT1_PNSt15iterator_traitsISG_E10value_typeET2_T3_PNSH_ISM_E10value_typeET4_T5_PSR_SS_PNS1_23onesweep_lookback_stateEbbT6_jjT7_P12ihipStream_tbENKUlT_T0_SG_SL_E_clIS9_SA_SB_SB_EEDaSZ_S10_SG_SL_EUlSZ_E_NS1_11comp_targetILNS1_3genE2ELNS1_11target_archE906ELNS1_3gpuE6ELNS1_3repE0EEENS1_47radix_sort_onesweep_sort_config_static_selectorELNS0_4arch9wavefront6targetE0EEEvSG_
	.p2align	8
	.type	_ZN7rocprim17ROCPRIM_400000_NS6detail17trampoline_kernelINS0_14default_configENS1_35radix_sort_onesweep_config_selectorIiNS0_10empty_typeEEEZZNS1_29radix_sort_onesweep_iterationIS3_Lb0EPKiPiPS5_SB_mNS0_19identity_decomposerENS1_16block_id_wrapperIjLb1EEEEE10hipError_tT1_PNSt15iterator_traitsISG_E10value_typeET2_T3_PNSH_ISM_E10value_typeET4_T5_PSR_SS_PNS1_23onesweep_lookback_stateEbbT6_jjT7_P12ihipStream_tbENKUlT_T0_SG_SL_E_clIS9_SA_SB_SB_EEDaSZ_S10_SG_SL_EUlSZ_E_NS1_11comp_targetILNS1_3genE2ELNS1_11target_archE906ELNS1_3gpuE6ELNS1_3repE0EEENS1_47radix_sort_onesweep_sort_config_static_selectorELNS0_4arch9wavefront6targetE0EEEvSG_,@function
_ZN7rocprim17ROCPRIM_400000_NS6detail17trampoline_kernelINS0_14default_configENS1_35radix_sort_onesweep_config_selectorIiNS0_10empty_typeEEEZZNS1_29radix_sort_onesweep_iterationIS3_Lb0EPKiPiPS5_SB_mNS0_19identity_decomposerENS1_16block_id_wrapperIjLb1EEEEE10hipError_tT1_PNSt15iterator_traitsISG_E10value_typeET2_T3_PNSH_ISM_E10value_typeET4_T5_PSR_SS_PNS1_23onesweep_lookback_stateEbbT6_jjT7_P12ihipStream_tbENKUlT_T0_SG_SL_E_clIS9_SA_SB_SB_EEDaSZ_S10_SG_SL_EUlSZ_E_NS1_11comp_targetILNS1_3genE2ELNS1_11target_archE906ELNS1_3gpuE6ELNS1_3repE0EEENS1_47radix_sort_onesweep_sort_config_static_selectorELNS0_4arch9wavefront6targetE0EEEvSG_: ; @_ZN7rocprim17ROCPRIM_400000_NS6detail17trampoline_kernelINS0_14default_configENS1_35radix_sort_onesweep_config_selectorIiNS0_10empty_typeEEEZZNS1_29radix_sort_onesweep_iterationIS3_Lb0EPKiPiPS5_SB_mNS0_19identity_decomposerENS1_16block_id_wrapperIjLb1EEEEE10hipError_tT1_PNSt15iterator_traitsISG_E10value_typeET2_T3_PNSH_ISM_E10value_typeET4_T5_PSR_SS_PNS1_23onesweep_lookback_stateEbbT6_jjT7_P12ihipStream_tbENKUlT_T0_SG_SL_E_clIS9_SA_SB_SB_EEDaSZ_S10_SG_SL_EUlSZ_E_NS1_11comp_targetILNS1_3genE2ELNS1_11target_archE906ELNS1_3gpuE6ELNS1_3repE0EEENS1_47radix_sort_onesweep_sort_config_static_selectorELNS0_4arch9wavefront6targetE0EEEvSG_
; %bb.0:
	.section	.rodata,"a",@progbits
	.p2align	6, 0x0
	.amdhsa_kernel _ZN7rocprim17ROCPRIM_400000_NS6detail17trampoline_kernelINS0_14default_configENS1_35radix_sort_onesweep_config_selectorIiNS0_10empty_typeEEEZZNS1_29radix_sort_onesweep_iterationIS3_Lb0EPKiPiPS5_SB_mNS0_19identity_decomposerENS1_16block_id_wrapperIjLb1EEEEE10hipError_tT1_PNSt15iterator_traitsISG_E10value_typeET2_T3_PNSH_ISM_E10value_typeET4_T5_PSR_SS_PNS1_23onesweep_lookback_stateEbbT6_jjT7_P12ihipStream_tbENKUlT_T0_SG_SL_E_clIS9_SA_SB_SB_EEDaSZ_S10_SG_SL_EUlSZ_E_NS1_11comp_targetILNS1_3genE2ELNS1_11target_archE906ELNS1_3gpuE6ELNS1_3repE0EEENS1_47radix_sort_onesweep_sort_config_static_selectorELNS0_4arch9wavefront6targetE0EEEvSG_
		.amdhsa_group_segment_fixed_size 0
		.amdhsa_private_segment_fixed_size 0
		.amdhsa_kernarg_size 88
		.amdhsa_user_sgpr_count 2
		.amdhsa_user_sgpr_dispatch_ptr 0
		.amdhsa_user_sgpr_queue_ptr 0
		.amdhsa_user_sgpr_kernarg_segment_ptr 1
		.amdhsa_user_sgpr_dispatch_id 0
		.amdhsa_user_sgpr_kernarg_preload_length 0
		.amdhsa_user_sgpr_kernarg_preload_offset 0
		.amdhsa_user_sgpr_private_segment_size 0
		.amdhsa_wavefront_size32 1
		.amdhsa_uses_dynamic_stack 0
		.amdhsa_enable_private_segment 0
		.amdhsa_system_sgpr_workgroup_id_x 1
		.amdhsa_system_sgpr_workgroup_id_y 0
		.amdhsa_system_sgpr_workgroup_id_z 0
		.amdhsa_system_sgpr_workgroup_info 0
		.amdhsa_system_vgpr_workitem_id 0
		.amdhsa_next_free_vgpr 1
		.amdhsa_next_free_sgpr 1
		.amdhsa_named_barrier_count 0
		.amdhsa_reserve_vcc 0
		.amdhsa_float_round_mode_32 0
		.amdhsa_float_round_mode_16_64 0
		.amdhsa_float_denorm_mode_32 3
		.amdhsa_float_denorm_mode_16_64 3
		.amdhsa_fp16_overflow 0
		.amdhsa_memory_ordered 1
		.amdhsa_forward_progress 1
		.amdhsa_inst_pref_size 0
		.amdhsa_round_robin_scheduling 0
		.amdhsa_exception_fp_ieee_invalid_op 0
		.amdhsa_exception_fp_denorm_src 0
		.amdhsa_exception_fp_ieee_div_zero 0
		.amdhsa_exception_fp_ieee_overflow 0
		.amdhsa_exception_fp_ieee_underflow 0
		.amdhsa_exception_fp_ieee_inexact 0
		.amdhsa_exception_int_div_zero 0
	.end_amdhsa_kernel
	.section	.text._ZN7rocprim17ROCPRIM_400000_NS6detail17trampoline_kernelINS0_14default_configENS1_35radix_sort_onesweep_config_selectorIiNS0_10empty_typeEEEZZNS1_29radix_sort_onesweep_iterationIS3_Lb0EPKiPiPS5_SB_mNS0_19identity_decomposerENS1_16block_id_wrapperIjLb1EEEEE10hipError_tT1_PNSt15iterator_traitsISG_E10value_typeET2_T3_PNSH_ISM_E10value_typeET4_T5_PSR_SS_PNS1_23onesweep_lookback_stateEbbT6_jjT7_P12ihipStream_tbENKUlT_T0_SG_SL_E_clIS9_SA_SB_SB_EEDaSZ_S10_SG_SL_EUlSZ_E_NS1_11comp_targetILNS1_3genE2ELNS1_11target_archE906ELNS1_3gpuE6ELNS1_3repE0EEENS1_47radix_sort_onesweep_sort_config_static_selectorELNS0_4arch9wavefront6targetE0EEEvSG_,"axG",@progbits,_ZN7rocprim17ROCPRIM_400000_NS6detail17trampoline_kernelINS0_14default_configENS1_35radix_sort_onesweep_config_selectorIiNS0_10empty_typeEEEZZNS1_29radix_sort_onesweep_iterationIS3_Lb0EPKiPiPS5_SB_mNS0_19identity_decomposerENS1_16block_id_wrapperIjLb1EEEEE10hipError_tT1_PNSt15iterator_traitsISG_E10value_typeET2_T3_PNSH_ISM_E10value_typeET4_T5_PSR_SS_PNS1_23onesweep_lookback_stateEbbT6_jjT7_P12ihipStream_tbENKUlT_T0_SG_SL_E_clIS9_SA_SB_SB_EEDaSZ_S10_SG_SL_EUlSZ_E_NS1_11comp_targetILNS1_3genE2ELNS1_11target_archE906ELNS1_3gpuE6ELNS1_3repE0EEENS1_47radix_sort_onesweep_sort_config_static_selectorELNS0_4arch9wavefront6targetE0EEEvSG_,comdat
.Lfunc_end963:
	.size	_ZN7rocprim17ROCPRIM_400000_NS6detail17trampoline_kernelINS0_14default_configENS1_35radix_sort_onesweep_config_selectorIiNS0_10empty_typeEEEZZNS1_29radix_sort_onesweep_iterationIS3_Lb0EPKiPiPS5_SB_mNS0_19identity_decomposerENS1_16block_id_wrapperIjLb1EEEEE10hipError_tT1_PNSt15iterator_traitsISG_E10value_typeET2_T3_PNSH_ISM_E10value_typeET4_T5_PSR_SS_PNS1_23onesweep_lookback_stateEbbT6_jjT7_P12ihipStream_tbENKUlT_T0_SG_SL_E_clIS9_SA_SB_SB_EEDaSZ_S10_SG_SL_EUlSZ_E_NS1_11comp_targetILNS1_3genE2ELNS1_11target_archE906ELNS1_3gpuE6ELNS1_3repE0EEENS1_47radix_sort_onesweep_sort_config_static_selectorELNS0_4arch9wavefront6targetE0EEEvSG_, .Lfunc_end963-_ZN7rocprim17ROCPRIM_400000_NS6detail17trampoline_kernelINS0_14default_configENS1_35radix_sort_onesweep_config_selectorIiNS0_10empty_typeEEEZZNS1_29radix_sort_onesweep_iterationIS3_Lb0EPKiPiPS5_SB_mNS0_19identity_decomposerENS1_16block_id_wrapperIjLb1EEEEE10hipError_tT1_PNSt15iterator_traitsISG_E10value_typeET2_T3_PNSH_ISM_E10value_typeET4_T5_PSR_SS_PNS1_23onesweep_lookback_stateEbbT6_jjT7_P12ihipStream_tbENKUlT_T0_SG_SL_E_clIS9_SA_SB_SB_EEDaSZ_S10_SG_SL_EUlSZ_E_NS1_11comp_targetILNS1_3genE2ELNS1_11target_archE906ELNS1_3gpuE6ELNS1_3repE0EEENS1_47radix_sort_onesweep_sort_config_static_selectorELNS0_4arch9wavefront6targetE0EEEvSG_
                                        ; -- End function
	.set _ZN7rocprim17ROCPRIM_400000_NS6detail17trampoline_kernelINS0_14default_configENS1_35radix_sort_onesweep_config_selectorIiNS0_10empty_typeEEEZZNS1_29radix_sort_onesweep_iterationIS3_Lb0EPKiPiPS5_SB_mNS0_19identity_decomposerENS1_16block_id_wrapperIjLb1EEEEE10hipError_tT1_PNSt15iterator_traitsISG_E10value_typeET2_T3_PNSH_ISM_E10value_typeET4_T5_PSR_SS_PNS1_23onesweep_lookback_stateEbbT6_jjT7_P12ihipStream_tbENKUlT_T0_SG_SL_E_clIS9_SA_SB_SB_EEDaSZ_S10_SG_SL_EUlSZ_E_NS1_11comp_targetILNS1_3genE2ELNS1_11target_archE906ELNS1_3gpuE6ELNS1_3repE0EEENS1_47radix_sort_onesweep_sort_config_static_selectorELNS0_4arch9wavefront6targetE0EEEvSG_.num_vgpr, 0
	.set _ZN7rocprim17ROCPRIM_400000_NS6detail17trampoline_kernelINS0_14default_configENS1_35radix_sort_onesweep_config_selectorIiNS0_10empty_typeEEEZZNS1_29radix_sort_onesweep_iterationIS3_Lb0EPKiPiPS5_SB_mNS0_19identity_decomposerENS1_16block_id_wrapperIjLb1EEEEE10hipError_tT1_PNSt15iterator_traitsISG_E10value_typeET2_T3_PNSH_ISM_E10value_typeET4_T5_PSR_SS_PNS1_23onesweep_lookback_stateEbbT6_jjT7_P12ihipStream_tbENKUlT_T0_SG_SL_E_clIS9_SA_SB_SB_EEDaSZ_S10_SG_SL_EUlSZ_E_NS1_11comp_targetILNS1_3genE2ELNS1_11target_archE906ELNS1_3gpuE6ELNS1_3repE0EEENS1_47radix_sort_onesweep_sort_config_static_selectorELNS0_4arch9wavefront6targetE0EEEvSG_.num_agpr, 0
	.set _ZN7rocprim17ROCPRIM_400000_NS6detail17trampoline_kernelINS0_14default_configENS1_35radix_sort_onesweep_config_selectorIiNS0_10empty_typeEEEZZNS1_29radix_sort_onesweep_iterationIS3_Lb0EPKiPiPS5_SB_mNS0_19identity_decomposerENS1_16block_id_wrapperIjLb1EEEEE10hipError_tT1_PNSt15iterator_traitsISG_E10value_typeET2_T3_PNSH_ISM_E10value_typeET4_T5_PSR_SS_PNS1_23onesweep_lookback_stateEbbT6_jjT7_P12ihipStream_tbENKUlT_T0_SG_SL_E_clIS9_SA_SB_SB_EEDaSZ_S10_SG_SL_EUlSZ_E_NS1_11comp_targetILNS1_3genE2ELNS1_11target_archE906ELNS1_3gpuE6ELNS1_3repE0EEENS1_47radix_sort_onesweep_sort_config_static_selectorELNS0_4arch9wavefront6targetE0EEEvSG_.numbered_sgpr, 0
	.set _ZN7rocprim17ROCPRIM_400000_NS6detail17trampoline_kernelINS0_14default_configENS1_35radix_sort_onesweep_config_selectorIiNS0_10empty_typeEEEZZNS1_29radix_sort_onesweep_iterationIS3_Lb0EPKiPiPS5_SB_mNS0_19identity_decomposerENS1_16block_id_wrapperIjLb1EEEEE10hipError_tT1_PNSt15iterator_traitsISG_E10value_typeET2_T3_PNSH_ISM_E10value_typeET4_T5_PSR_SS_PNS1_23onesweep_lookback_stateEbbT6_jjT7_P12ihipStream_tbENKUlT_T0_SG_SL_E_clIS9_SA_SB_SB_EEDaSZ_S10_SG_SL_EUlSZ_E_NS1_11comp_targetILNS1_3genE2ELNS1_11target_archE906ELNS1_3gpuE6ELNS1_3repE0EEENS1_47radix_sort_onesweep_sort_config_static_selectorELNS0_4arch9wavefront6targetE0EEEvSG_.num_named_barrier, 0
	.set _ZN7rocprim17ROCPRIM_400000_NS6detail17trampoline_kernelINS0_14default_configENS1_35radix_sort_onesweep_config_selectorIiNS0_10empty_typeEEEZZNS1_29radix_sort_onesweep_iterationIS3_Lb0EPKiPiPS5_SB_mNS0_19identity_decomposerENS1_16block_id_wrapperIjLb1EEEEE10hipError_tT1_PNSt15iterator_traitsISG_E10value_typeET2_T3_PNSH_ISM_E10value_typeET4_T5_PSR_SS_PNS1_23onesweep_lookback_stateEbbT6_jjT7_P12ihipStream_tbENKUlT_T0_SG_SL_E_clIS9_SA_SB_SB_EEDaSZ_S10_SG_SL_EUlSZ_E_NS1_11comp_targetILNS1_3genE2ELNS1_11target_archE906ELNS1_3gpuE6ELNS1_3repE0EEENS1_47radix_sort_onesweep_sort_config_static_selectorELNS0_4arch9wavefront6targetE0EEEvSG_.private_seg_size, 0
	.set _ZN7rocprim17ROCPRIM_400000_NS6detail17trampoline_kernelINS0_14default_configENS1_35radix_sort_onesweep_config_selectorIiNS0_10empty_typeEEEZZNS1_29radix_sort_onesweep_iterationIS3_Lb0EPKiPiPS5_SB_mNS0_19identity_decomposerENS1_16block_id_wrapperIjLb1EEEEE10hipError_tT1_PNSt15iterator_traitsISG_E10value_typeET2_T3_PNSH_ISM_E10value_typeET4_T5_PSR_SS_PNS1_23onesweep_lookback_stateEbbT6_jjT7_P12ihipStream_tbENKUlT_T0_SG_SL_E_clIS9_SA_SB_SB_EEDaSZ_S10_SG_SL_EUlSZ_E_NS1_11comp_targetILNS1_3genE2ELNS1_11target_archE906ELNS1_3gpuE6ELNS1_3repE0EEENS1_47radix_sort_onesweep_sort_config_static_selectorELNS0_4arch9wavefront6targetE0EEEvSG_.uses_vcc, 0
	.set _ZN7rocprim17ROCPRIM_400000_NS6detail17trampoline_kernelINS0_14default_configENS1_35radix_sort_onesweep_config_selectorIiNS0_10empty_typeEEEZZNS1_29radix_sort_onesweep_iterationIS3_Lb0EPKiPiPS5_SB_mNS0_19identity_decomposerENS1_16block_id_wrapperIjLb1EEEEE10hipError_tT1_PNSt15iterator_traitsISG_E10value_typeET2_T3_PNSH_ISM_E10value_typeET4_T5_PSR_SS_PNS1_23onesweep_lookback_stateEbbT6_jjT7_P12ihipStream_tbENKUlT_T0_SG_SL_E_clIS9_SA_SB_SB_EEDaSZ_S10_SG_SL_EUlSZ_E_NS1_11comp_targetILNS1_3genE2ELNS1_11target_archE906ELNS1_3gpuE6ELNS1_3repE0EEENS1_47radix_sort_onesweep_sort_config_static_selectorELNS0_4arch9wavefront6targetE0EEEvSG_.uses_flat_scratch, 0
	.set _ZN7rocprim17ROCPRIM_400000_NS6detail17trampoline_kernelINS0_14default_configENS1_35radix_sort_onesweep_config_selectorIiNS0_10empty_typeEEEZZNS1_29radix_sort_onesweep_iterationIS3_Lb0EPKiPiPS5_SB_mNS0_19identity_decomposerENS1_16block_id_wrapperIjLb1EEEEE10hipError_tT1_PNSt15iterator_traitsISG_E10value_typeET2_T3_PNSH_ISM_E10value_typeET4_T5_PSR_SS_PNS1_23onesweep_lookback_stateEbbT6_jjT7_P12ihipStream_tbENKUlT_T0_SG_SL_E_clIS9_SA_SB_SB_EEDaSZ_S10_SG_SL_EUlSZ_E_NS1_11comp_targetILNS1_3genE2ELNS1_11target_archE906ELNS1_3gpuE6ELNS1_3repE0EEENS1_47radix_sort_onesweep_sort_config_static_selectorELNS0_4arch9wavefront6targetE0EEEvSG_.has_dyn_sized_stack, 0
	.set _ZN7rocprim17ROCPRIM_400000_NS6detail17trampoline_kernelINS0_14default_configENS1_35radix_sort_onesweep_config_selectorIiNS0_10empty_typeEEEZZNS1_29radix_sort_onesweep_iterationIS3_Lb0EPKiPiPS5_SB_mNS0_19identity_decomposerENS1_16block_id_wrapperIjLb1EEEEE10hipError_tT1_PNSt15iterator_traitsISG_E10value_typeET2_T3_PNSH_ISM_E10value_typeET4_T5_PSR_SS_PNS1_23onesweep_lookback_stateEbbT6_jjT7_P12ihipStream_tbENKUlT_T0_SG_SL_E_clIS9_SA_SB_SB_EEDaSZ_S10_SG_SL_EUlSZ_E_NS1_11comp_targetILNS1_3genE2ELNS1_11target_archE906ELNS1_3gpuE6ELNS1_3repE0EEENS1_47radix_sort_onesweep_sort_config_static_selectorELNS0_4arch9wavefront6targetE0EEEvSG_.has_recursion, 0
	.set _ZN7rocprim17ROCPRIM_400000_NS6detail17trampoline_kernelINS0_14default_configENS1_35radix_sort_onesweep_config_selectorIiNS0_10empty_typeEEEZZNS1_29radix_sort_onesweep_iterationIS3_Lb0EPKiPiPS5_SB_mNS0_19identity_decomposerENS1_16block_id_wrapperIjLb1EEEEE10hipError_tT1_PNSt15iterator_traitsISG_E10value_typeET2_T3_PNSH_ISM_E10value_typeET4_T5_PSR_SS_PNS1_23onesweep_lookback_stateEbbT6_jjT7_P12ihipStream_tbENKUlT_T0_SG_SL_E_clIS9_SA_SB_SB_EEDaSZ_S10_SG_SL_EUlSZ_E_NS1_11comp_targetILNS1_3genE2ELNS1_11target_archE906ELNS1_3gpuE6ELNS1_3repE0EEENS1_47radix_sort_onesweep_sort_config_static_selectorELNS0_4arch9wavefront6targetE0EEEvSG_.has_indirect_call, 0
	.section	.AMDGPU.csdata,"",@progbits
; Kernel info:
; codeLenInByte = 0
; TotalNumSgprs: 0
; NumVgprs: 0
; ScratchSize: 0
; MemoryBound: 0
; FloatMode: 240
; IeeeMode: 1
; LDSByteSize: 0 bytes/workgroup (compile time only)
; SGPRBlocks: 0
; VGPRBlocks: 0
; NumSGPRsForWavesPerEU: 1
; NumVGPRsForWavesPerEU: 1
; NamedBarCnt: 0
; Occupancy: 16
; WaveLimiterHint : 0
; COMPUTE_PGM_RSRC2:SCRATCH_EN: 0
; COMPUTE_PGM_RSRC2:USER_SGPR: 2
; COMPUTE_PGM_RSRC2:TRAP_HANDLER: 0
; COMPUTE_PGM_RSRC2:TGID_X_EN: 1
; COMPUTE_PGM_RSRC2:TGID_Y_EN: 0
; COMPUTE_PGM_RSRC2:TGID_Z_EN: 0
; COMPUTE_PGM_RSRC2:TIDIG_COMP_CNT: 0
	.section	.text._ZN7rocprim17ROCPRIM_400000_NS6detail17trampoline_kernelINS0_14default_configENS1_35radix_sort_onesweep_config_selectorIiNS0_10empty_typeEEEZZNS1_29radix_sort_onesweep_iterationIS3_Lb0EPKiPiPS5_SB_mNS0_19identity_decomposerENS1_16block_id_wrapperIjLb1EEEEE10hipError_tT1_PNSt15iterator_traitsISG_E10value_typeET2_T3_PNSH_ISM_E10value_typeET4_T5_PSR_SS_PNS1_23onesweep_lookback_stateEbbT6_jjT7_P12ihipStream_tbENKUlT_T0_SG_SL_E_clIS9_SA_SB_SB_EEDaSZ_S10_SG_SL_EUlSZ_E_NS1_11comp_targetILNS1_3genE4ELNS1_11target_archE910ELNS1_3gpuE8ELNS1_3repE0EEENS1_47radix_sort_onesweep_sort_config_static_selectorELNS0_4arch9wavefront6targetE0EEEvSG_,"axG",@progbits,_ZN7rocprim17ROCPRIM_400000_NS6detail17trampoline_kernelINS0_14default_configENS1_35radix_sort_onesweep_config_selectorIiNS0_10empty_typeEEEZZNS1_29radix_sort_onesweep_iterationIS3_Lb0EPKiPiPS5_SB_mNS0_19identity_decomposerENS1_16block_id_wrapperIjLb1EEEEE10hipError_tT1_PNSt15iterator_traitsISG_E10value_typeET2_T3_PNSH_ISM_E10value_typeET4_T5_PSR_SS_PNS1_23onesweep_lookback_stateEbbT6_jjT7_P12ihipStream_tbENKUlT_T0_SG_SL_E_clIS9_SA_SB_SB_EEDaSZ_S10_SG_SL_EUlSZ_E_NS1_11comp_targetILNS1_3genE4ELNS1_11target_archE910ELNS1_3gpuE8ELNS1_3repE0EEENS1_47radix_sort_onesweep_sort_config_static_selectorELNS0_4arch9wavefront6targetE0EEEvSG_,comdat
	.protected	_ZN7rocprim17ROCPRIM_400000_NS6detail17trampoline_kernelINS0_14default_configENS1_35radix_sort_onesweep_config_selectorIiNS0_10empty_typeEEEZZNS1_29radix_sort_onesweep_iterationIS3_Lb0EPKiPiPS5_SB_mNS0_19identity_decomposerENS1_16block_id_wrapperIjLb1EEEEE10hipError_tT1_PNSt15iterator_traitsISG_E10value_typeET2_T3_PNSH_ISM_E10value_typeET4_T5_PSR_SS_PNS1_23onesweep_lookback_stateEbbT6_jjT7_P12ihipStream_tbENKUlT_T0_SG_SL_E_clIS9_SA_SB_SB_EEDaSZ_S10_SG_SL_EUlSZ_E_NS1_11comp_targetILNS1_3genE4ELNS1_11target_archE910ELNS1_3gpuE8ELNS1_3repE0EEENS1_47radix_sort_onesweep_sort_config_static_selectorELNS0_4arch9wavefront6targetE0EEEvSG_ ; -- Begin function _ZN7rocprim17ROCPRIM_400000_NS6detail17trampoline_kernelINS0_14default_configENS1_35radix_sort_onesweep_config_selectorIiNS0_10empty_typeEEEZZNS1_29radix_sort_onesweep_iterationIS3_Lb0EPKiPiPS5_SB_mNS0_19identity_decomposerENS1_16block_id_wrapperIjLb1EEEEE10hipError_tT1_PNSt15iterator_traitsISG_E10value_typeET2_T3_PNSH_ISM_E10value_typeET4_T5_PSR_SS_PNS1_23onesweep_lookback_stateEbbT6_jjT7_P12ihipStream_tbENKUlT_T0_SG_SL_E_clIS9_SA_SB_SB_EEDaSZ_S10_SG_SL_EUlSZ_E_NS1_11comp_targetILNS1_3genE4ELNS1_11target_archE910ELNS1_3gpuE8ELNS1_3repE0EEENS1_47radix_sort_onesweep_sort_config_static_selectorELNS0_4arch9wavefront6targetE0EEEvSG_
	.globl	_ZN7rocprim17ROCPRIM_400000_NS6detail17trampoline_kernelINS0_14default_configENS1_35radix_sort_onesweep_config_selectorIiNS0_10empty_typeEEEZZNS1_29radix_sort_onesweep_iterationIS3_Lb0EPKiPiPS5_SB_mNS0_19identity_decomposerENS1_16block_id_wrapperIjLb1EEEEE10hipError_tT1_PNSt15iterator_traitsISG_E10value_typeET2_T3_PNSH_ISM_E10value_typeET4_T5_PSR_SS_PNS1_23onesweep_lookback_stateEbbT6_jjT7_P12ihipStream_tbENKUlT_T0_SG_SL_E_clIS9_SA_SB_SB_EEDaSZ_S10_SG_SL_EUlSZ_E_NS1_11comp_targetILNS1_3genE4ELNS1_11target_archE910ELNS1_3gpuE8ELNS1_3repE0EEENS1_47radix_sort_onesweep_sort_config_static_selectorELNS0_4arch9wavefront6targetE0EEEvSG_
	.p2align	8
	.type	_ZN7rocprim17ROCPRIM_400000_NS6detail17trampoline_kernelINS0_14default_configENS1_35radix_sort_onesweep_config_selectorIiNS0_10empty_typeEEEZZNS1_29radix_sort_onesweep_iterationIS3_Lb0EPKiPiPS5_SB_mNS0_19identity_decomposerENS1_16block_id_wrapperIjLb1EEEEE10hipError_tT1_PNSt15iterator_traitsISG_E10value_typeET2_T3_PNSH_ISM_E10value_typeET4_T5_PSR_SS_PNS1_23onesweep_lookback_stateEbbT6_jjT7_P12ihipStream_tbENKUlT_T0_SG_SL_E_clIS9_SA_SB_SB_EEDaSZ_S10_SG_SL_EUlSZ_E_NS1_11comp_targetILNS1_3genE4ELNS1_11target_archE910ELNS1_3gpuE8ELNS1_3repE0EEENS1_47radix_sort_onesweep_sort_config_static_selectorELNS0_4arch9wavefront6targetE0EEEvSG_,@function
_ZN7rocprim17ROCPRIM_400000_NS6detail17trampoline_kernelINS0_14default_configENS1_35radix_sort_onesweep_config_selectorIiNS0_10empty_typeEEEZZNS1_29radix_sort_onesweep_iterationIS3_Lb0EPKiPiPS5_SB_mNS0_19identity_decomposerENS1_16block_id_wrapperIjLb1EEEEE10hipError_tT1_PNSt15iterator_traitsISG_E10value_typeET2_T3_PNSH_ISM_E10value_typeET4_T5_PSR_SS_PNS1_23onesweep_lookback_stateEbbT6_jjT7_P12ihipStream_tbENKUlT_T0_SG_SL_E_clIS9_SA_SB_SB_EEDaSZ_S10_SG_SL_EUlSZ_E_NS1_11comp_targetILNS1_3genE4ELNS1_11target_archE910ELNS1_3gpuE8ELNS1_3repE0EEENS1_47radix_sort_onesweep_sort_config_static_selectorELNS0_4arch9wavefront6targetE0EEEvSG_: ; @_ZN7rocprim17ROCPRIM_400000_NS6detail17trampoline_kernelINS0_14default_configENS1_35radix_sort_onesweep_config_selectorIiNS0_10empty_typeEEEZZNS1_29radix_sort_onesweep_iterationIS3_Lb0EPKiPiPS5_SB_mNS0_19identity_decomposerENS1_16block_id_wrapperIjLb1EEEEE10hipError_tT1_PNSt15iterator_traitsISG_E10value_typeET2_T3_PNSH_ISM_E10value_typeET4_T5_PSR_SS_PNS1_23onesweep_lookback_stateEbbT6_jjT7_P12ihipStream_tbENKUlT_T0_SG_SL_E_clIS9_SA_SB_SB_EEDaSZ_S10_SG_SL_EUlSZ_E_NS1_11comp_targetILNS1_3genE4ELNS1_11target_archE910ELNS1_3gpuE8ELNS1_3repE0EEENS1_47radix_sort_onesweep_sort_config_static_selectorELNS0_4arch9wavefront6targetE0EEEvSG_
; %bb.0:
	.section	.rodata,"a",@progbits
	.p2align	6, 0x0
	.amdhsa_kernel _ZN7rocprim17ROCPRIM_400000_NS6detail17trampoline_kernelINS0_14default_configENS1_35radix_sort_onesweep_config_selectorIiNS0_10empty_typeEEEZZNS1_29radix_sort_onesweep_iterationIS3_Lb0EPKiPiPS5_SB_mNS0_19identity_decomposerENS1_16block_id_wrapperIjLb1EEEEE10hipError_tT1_PNSt15iterator_traitsISG_E10value_typeET2_T3_PNSH_ISM_E10value_typeET4_T5_PSR_SS_PNS1_23onesweep_lookback_stateEbbT6_jjT7_P12ihipStream_tbENKUlT_T0_SG_SL_E_clIS9_SA_SB_SB_EEDaSZ_S10_SG_SL_EUlSZ_E_NS1_11comp_targetILNS1_3genE4ELNS1_11target_archE910ELNS1_3gpuE8ELNS1_3repE0EEENS1_47radix_sort_onesweep_sort_config_static_selectorELNS0_4arch9wavefront6targetE0EEEvSG_
		.amdhsa_group_segment_fixed_size 0
		.amdhsa_private_segment_fixed_size 0
		.amdhsa_kernarg_size 88
		.amdhsa_user_sgpr_count 2
		.amdhsa_user_sgpr_dispatch_ptr 0
		.amdhsa_user_sgpr_queue_ptr 0
		.amdhsa_user_sgpr_kernarg_segment_ptr 1
		.amdhsa_user_sgpr_dispatch_id 0
		.amdhsa_user_sgpr_kernarg_preload_length 0
		.amdhsa_user_sgpr_kernarg_preload_offset 0
		.amdhsa_user_sgpr_private_segment_size 0
		.amdhsa_wavefront_size32 1
		.amdhsa_uses_dynamic_stack 0
		.amdhsa_enable_private_segment 0
		.amdhsa_system_sgpr_workgroup_id_x 1
		.amdhsa_system_sgpr_workgroup_id_y 0
		.amdhsa_system_sgpr_workgroup_id_z 0
		.amdhsa_system_sgpr_workgroup_info 0
		.amdhsa_system_vgpr_workitem_id 0
		.amdhsa_next_free_vgpr 1
		.amdhsa_next_free_sgpr 1
		.amdhsa_named_barrier_count 0
		.amdhsa_reserve_vcc 0
		.amdhsa_float_round_mode_32 0
		.amdhsa_float_round_mode_16_64 0
		.amdhsa_float_denorm_mode_32 3
		.amdhsa_float_denorm_mode_16_64 3
		.amdhsa_fp16_overflow 0
		.amdhsa_memory_ordered 1
		.amdhsa_forward_progress 1
		.amdhsa_inst_pref_size 0
		.amdhsa_round_robin_scheduling 0
		.amdhsa_exception_fp_ieee_invalid_op 0
		.amdhsa_exception_fp_denorm_src 0
		.amdhsa_exception_fp_ieee_div_zero 0
		.amdhsa_exception_fp_ieee_overflow 0
		.amdhsa_exception_fp_ieee_underflow 0
		.amdhsa_exception_fp_ieee_inexact 0
		.amdhsa_exception_int_div_zero 0
	.end_amdhsa_kernel
	.section	.text._ZN7rocprim17ROCPRIM_400000_NS6detail17trampoline_kernelINS0_14default_configENS1_35radix_sort_onesweep_config_selectorIiNS0_10empty_typeEEEZZNS1_29radix_sort_onesweep_iterationIS3_Lb0EPKiPiPS5_SB_mNS0_19identity_decomposerENS1_16block_id_wrapperIjLb1EEEEE10hipError_tT1_PNSt15iterator_traitsISG_E10value_typeET2_T3_PNSH_ISM_E10value_typeET4_T5_PSR_SS_PNS1_23onesweep_lookback_stateEbbT6_jjT7_P12ihipStream_tbENKUlT_T0_SG_SL_E_clIS9_SA_SB_SB_EEDaSZ_S10_SG_SL_EUlSZ_E_NS1_11comp_targetILNS1_3genE4ELNS1_11target_archE910ELNS1_3gpuE8ELNS1_3repE0EEENS1_47radix_sort_onesweep_sort_config_static_selectorELNS0_4arch9wavefront6targetE0EEEvSG_,"axG",@progbits,_ZN7rocprim17ROCPRIM_400000_NS6detail17trampoline_kernelINS0_14default_configENS1_35radix_sort_onesweep_config_selectorIiNS0_10empty_typeEEEZZNS1_29radix_sort_onesweep_iterationIS3_Lb0EPKiPiPS5_SB_mNS0_19identity_decomposerENS1_16block_id_wrapperIjLb1EEEEE10hipError_tT1_PNSt15iterator_traitsISG_E10value_typeET2_T3_PNSH_ISM_E10value_typeET4_T5_PSR_SS_PNS1_23onesweep_lookback_stateEbbT6_jjT7_P12ihipStream_tbENKUlT_T0_SG_SL_E_clIS9_SA_SB_SB_EEDaSZ_S10_SG_SL_EUlSZ_E_NS1_11comp_targetILNS1_3genE4ELNS1_11target_archE910ELNS1_3gpuE8ELNS1_3repE0EEENS1_47radix_sort_onesweep_sort_config_static_selectorELNS0_4arch9wavefront6targetE0EEEvSG_,comdat
.Lfunc_end964:
	.size	_ZN7rocprim17ROCPRIM_400000_NS6detail17trampoline_kernelINS0_14default_configENS1_35radix_sort_onesweep_config_selectorIiNS0_10empty_typeEEEZZNS1_29radix_sort_onesweep_iterationIS3_Lb0EPKiPiPS5_SB_mNS0_19identity_decomposerENS1_16block_id_wrapperIjLb1EEEEE10hipError_tT1_PNSt15iterator_traitsISG_E10value_typeET2_T3_PNSH_ISM_E10value_typeET4_T5_PSR_SS_PNS1_23onesweep_lookback_stateEbbT6_jjT7_P12ihipStream_tbENKUlT_T0_SG_SL_E_clIS9_SA_SB_SB_EEDaSZ_S10_SG_SL_EUlSZ_E_NS1_11comp_targetILNS1_3genE4ELNS1_11target_archE910ELNS1_3gpuE8ELNS1_3repE0EEENS1_47radix_sort_onesweep_sort_config_static_selectorELNS0_4arch9wavefront6targetE0EEEvSG_, .Lfunc_end964-_ZN7rocprim17ROCPRIM_400000_NS6detail17trampoline_kernelINS0_14default_configENS1_35radix_sort_onesweep_config_selectorIiNS0_10empty_typeEEEZZNS1_29radix_sort_onesweep_iterationIS3_Lb0EPKiPiPS5_SB_mNS0_19identity_decomposerENS1_16block_id_wrapperIjLb1EEEEE10hipError_tT1_PNSt15iterator_traitsISG_E10value_typeET2_T3_PNSH_ISM_E10value_typeET4_T5_PSR_SS_PNS1_23onesweep_lookback_stateEbbT6_jjT7_P12ihipStream_tbENKUlT_T0_SG_SL_E_clIS9_SA_SB_SB_EEDaSZ_S10_SG_SL_EUlSZ_E_NS1_11comp_targetILNS1_3genE4ELNS1_11target_archE910ELNS1_3gpuE8ELNS1_3repE0EEENS1_47radix_sort_onesweep_sort_config_static_selectorELNS0_4arch9wavefront6targetE0EEEvSG_
                                        ; -- End function
	.set _ZN7rocprim17ROCPRIM_400000_NS6detail17trampoline_kernelINS0_14default_configENS1_35radix_sort_onesweep_config_selectorIiNS0_10empty_typeEEEZZNS1_29radix_sort_onesweep_iterationIS3_Lb0EPKiPiPS5_SB_mNS0_19identity_decomposerENS1_16block_id_wrapperIjLb1EEEEE10hipError_tT1_PNSt15iterator_traitsISG_E10value_typeET2_T3_PNSH_ISM_E10value_typeET4_T5_PSR_SS_PNS1_23onesweep_lookback_stateEbbT6_jjT7_P12ihipStream_tbENKUlT_T0_SG_SL_E_clIS9_SA_SB_SB_EEDaSZ_S10_SG_SL_EUlSZ_E_NS1_11comp_targetILNS1_3genE4ELNS1_11target_archE910ELNS1_3gpuE8ELNS1_3repE0EEENS1_47radix_sort_onesweep_sort_config_static_selectorELNS0_4arch9wavefront6targetE0EEEvSG_.num_vgpr, 0
	.set _ZN7rocprim17ROCPRIM_400000_NS6detail17trampoline_kernelINS0_14default_configENS1_35radix_sort_onesweep_config_selectorIiNS0_10empty_typeEEEZZNS1_29radix_sort_onesweep_iterationIS3_Lb0EPKiPiPS5_SB_mNS0_19identity_decomposerENS1_16block_id_wrapperIjLb1EEEEE10hipError_tT1_PNSt15iterator_traitsISG_E10value_typeET2_T3_PNSH_ISM_E10value_typeET4_T5_PSR_SS_PNS1_23onesweep_lookback_stateEbbT6_jjT7_P12ihipStream_tbENKUlT_T0_SG_SL_E_clIS9_SA_SB_SB_EEDaSZ_S10_SG_SL_EUlSZ_E_NS1_11comp_targetILNS1_3genE4ELNS1_11target_archE910ELNS1_3gpuE8ELNS1_3repE0EEENS1_47radix_sort_onesweep_sort_config_static_selectorELNS0_4arch9wavefront6targetE0EEEvSG_.num_agpr, 0
	.set _ZN7rocprim17ROCPRIM_400000_NS6detail17trampoline_kernelINS0_14default_configENS1_35radix_sort_onesweep_config_selectorIiNS0_10empty_typeEEEZZNS1_29radix_sort_onesweep_iterationIS3_Lb0EPKiPiPS5_SB_mNS0_19identity_decomposerENS1_16block_id_wrapperIjLb1EEEEE10hipError_tT1_PNSt15iterator_traitsISG_E10value_typeET2_T3_PNSH_ISM_E10value_typeET4_T5_PSR_SS_PNS1_23onesweep_lookback_stateEbbT6_jjT7_P12ihipStream_tbENKUlT_T0_SG_SL_E_clIS9_SA_SB_SB_EEDaSZ_S10_SG_SL_EUlSZ_E_NS1_11comp_targetILNS1_3genE4ELNS1_11target_archE910ELNS1_3gpuE8ELNS1_3repE0EEENS1_47radix_sort_onesweep_sort_config_static_selectorELNS0_4arch9wavefront6targetE0EEEvSG_.numbered_sgpr, 0
	.set _ZN7rocprim17ROCPRIM_400000_NS6detail17trampoline_kernelINS0_14default_configENS1_35radix_sort_onesweep_config_selectorIiNS0_10empty_typeEEEZZNS1_29radix_sort_onesweep_iterationIS3_Lb0EPKiPiPS5_SB_mNS0_19identity_decomposerENS1_16block_id_wrapperIjLb1EEEEE10hipError_tT1_PNSt15iterator_traitsISG_E10value_typeET2_T3_PNSH_ISM_E10value_typeET4_T5_PSR_SS_PNS1_23onesweep_lookback_stateEbbT6_jjT7_P12ihipStream_tbENKUlT_T0_SG_SL_E_clIS9_SA_SB_SB_EEDaSZ_S10_SG_SL_EUlSZ_E_NS1_11comp_targetILNS1_3genE4ELNS1_11target_archE910ELNS1_3gpuE8ELNS1_3repE0EEENS1_47radix_sort_onesweep_sort_config_static_selectorELNS0_4arch9wavefront6targetE0EEEvSG_.num_named_barrier, 0
	.set _ZN7rocprim17ROCPRIM_400000_NS6detail17trampoline_kernelINS0_14default_configENS1_35radix_sort_onesweep_config_selectorIiNS0_10empty_typeEEEZZNS1_29radix_sort_onesweep_iterationIS3_Lb0EPKiPiPS5_SB_mNS0_19identity_decomposerENS1_16block_id_wrapperIjLb1EEEEE10hipError_tT1_PNSt15iterator_traitsISG_E10value_typeET2_T3_PNSH_ISM_E10value_typeET4_T5_PSR_SS_PNS1_23onesweep_lookback_stateEbbT6_jjT7_P12ihipStream_tbENKUlT_T0_SG_SL_E_clIS9_SA_SB_SB_EEDaSZ_S10_SG_SL_EUlSZ_E_NS1_11comp_targetILNS1_3genE4ELNS1_11target_archE910ELNS1_3gpuE8ELNS1_3repE0EEENS1_47radix_sort_onesweep_sort_config_static_selectorELNS0_4arch9wavefront6targetE0EEEvSG_.private_seg_size, 0
	.set _ZN7rocprim17ROCPRIM_400000_NS6detail17trampoline_kernelINS0_14default_configENS1_35radix_sort_onesweep_config_selectorIiNS0_10empty_typeEEEZZNS1_29radix_sort_onesweep_iterationIS3_Lb0EPKiPiPS5_SB_mNS0_19identity_decomposerENS1_16block_id_wrapperIjLb1EEEEE10hipError_tT1_PNSt15iterator_traitsISG_E10value_typeET2_T3_PNSH_ISM_E10value_typeET4_T5_PSR_SS_PNS1_23onesweep_lookback_stateEbbT6_jjT7_P12ihipStream_tbENKUlT_T0_SG_SL_E_clIS9_SA_SB_SB_EEDaSZ_S10_SG_SL_EUlSZ_E_NS1_11comp_targetILNS1_3genE4ELNS1_11target_archE910ELNS1_3gpuE8ELNS1_3repE0EEENS1_47radix_sort_onesweep_sort_config_static_selectorELNS0_4arch9wavefront6targetE0EEEvSG_.uses_vcc, 0
	.set _ZN7rocprim17ROCPRIM_400000_NS6detail17trampoline_kernelINS0_14default_configENS1_35radix_sort_onesweep_config_selectorIiNS0_10empty_typeEEEZZNS1_29radix_sort_onesweep_iterationIS3_Lb0EPKiPiPS5_SB_mNS0_19identity_decomposerENS1_16block_id_wrapperIjLb1EEEEE10hipError_tT1_PNSt15iterator_traitsISG_E10value_typeET2_T3_PNSH_ISM_E10value_typeET4_T5_PSR_SS_PNS1_23onesweep_lookback_stateEbbT6_jjT7_P12ihipStream_tbENKUlT_T0_SG_SL_E_clIS9_SA_SB_SB_EEDaSZ_S10_SG_SL_EUlSZ_E_NS1_11comp_targetILNS1_3genE4ELNS1_11target_archE910ELNS1_3gpuE8ELNS1_3repE0EEENS1_47radix_sort_onesweep_sort_config_static_selectorELNS0_4arch9wavefront6targetE0EEEvSG_.uses_flat_scratch, 0
	.set _ZN7rocprim17ROCPRIM_400000_NS6detail17trampoline_kernelINS0_14default_configENS1_35radix_sort_onesweep_config_selectorIiNS0_10empty_typeEEEZZNS1_29radix_sort_onesweep_iterationIS3_Lb0EPKiPiPS5_SB_mNS0_19identity_decomposerENS1_16block_id_wrapperIjLb1EEEEE10hipError_tT1_PNSt15iterator_traitsISG_E10value_typeET2_T3_PNSH_ISM_E10value_typeET4_T5_PSR_SS_PNS1_23onesweep_lookback_stateEbbT6_jjT7_P12ihipStream_tbENKUlT_T0_SG_SL_E_clIS9_SA_SB_SB_EEDaSZ_S10_SG_SL_EUlSZ_E_NS1_11comp_targetILNS1_3genE4ELNS1_11target_archE910ELNS1_3gpuE8ELNS1_3repE0EEENS1_47radix_sort_onesweep_sort_config_static_selectorELNS0_4arch9wavefront6targetE0EEEvSG_.has_dyn_sized_stack, 0
	.set _ZN7rocprim17ROCPRIM_400000_NS6detail17trampoline_kernelINS0_14default_configENS1_35radix_sort_onesweep_config_selectorIiNS0_10empty_typeEEEZZNS1_29radix_sort_onesweep_iterationIS3_Lb0EPKiPiPS5_SB_mNS0_19identity_decomposerENS1_16block_id_wrapperIjLb1EEEEE10hipError_tT1_PNSt15iterator_traitsISG_E10value_typeET2_T3_PNSH_ISM_E10value_typeET4_T5_PSR_SS_PNS1_23onesweep_lookback_stateEbbT6_jjT7_P12ihipStream_tbENKUlT_T0_SG_SL_E_clIS9_SA_SB_SB_EEDaSZ_S10_SG_SL_EUlSZ_E_NS1_11comp_targetILNS1_3genE4ELNS1_11target_archE910ELNS1_3gpuE8ELNS1_3repE0EEENS1_47radix_sort_onesweep_sort_config_static_selectorELNS0_4arch9wavefront6targetE0EEEvSG_.has_recursion, 0
	.set _ZN7rocprim17ROCPRIM_400000_NS6detail17trampoline_kernelINS0_14default_configENS1_35radix_sort_onesweep_config_selectorIiNS0_10empty_typeEEEZZNS1_29radix_sort_onesweep_iterationIS3_Lb0EPKiPiPS5_SB_mNS0_19identity_decomposerENS1_16block_id_wrapperIjLb1EEEEE10hipError_tT1_PNSt15iterator_traitsISG_E10value_typeET2_T3_PNSH_ISM_E10value_typeET4_T5_PSR_SS_PNS1_23onesweep_lookback_stateEbbT6_jjT7_P12ihipStream_tbENKUlT_T0_SG_SL_E_clIS9_SA_SB_SB_EEDaSZ_S10_SG_SL_EUlSZ_E_NS1_11comp_targetILNS1_3genE4ELNS1_11target_archE910ELNS1_3gpuE8ELNS1_3repE0EEENS1_47radix_sort_onesweep_sort_config_static_selectorELNS0_4arch9wavefront6targetE0EEEvSG_.has_indirect_call, 0
	.section	.AMDGPU.csdata,"",@progbits
; Kernel info:
; codeLenInByte = 0
; TotalNumSgprs: 0
; NumVgprs: 0
; ScratchSize: 0
; MemoryBound: 0
; FloatMode: 240
; IeeeMode: 1
; LDSByteSize: 0 bytes/workgroup (compile time only)
; SGPRBlocks: 0
; VGPRBlocks: 0
; NumSGPRsForWavesPerEU: 1
; NumVGPRsForWavesPerEU: 1
; NamedBarCnt: 0
; Occupancy: 16
; WaveLimiterHint : 0
; COMPUTE_PGM_RSRC2:SCRATCH_EN: 0
; COMPUTE_PGM_RSRC2:USER_SGPR: 2
; COMPUTE_PGM_RSRC2:TRAP_HANDLER: 0
; COMPUTE_PGM_RSRC2:TGID_X_EN: 1
; COMPUTE_PGM_RSRC2:TGID_Y_EN: 0
; COMPUTE_PGM_RSRC2:TGID_Z_EN: 0
; COMPUTE_PGM_RSRC2:TIDIG_COMP_CNT: 0
	.section	.text._ZN7rocprim17ROCPRIM_400000_NS6detail17trampoline_kernelINS0_14default_configENS1_35radix_sort_onesweep_config_selectorIiNS0_10empty_typeEEEZZNS1_29radix_sort_onesweep_iterationIS3_Lb0EPKiPiPS5_SB_mNS0_19identity_decomposerENS1_16block_id_wrapperIjLb1EEEEE10hipError_tT1_PNSt15iterator_traitsISG_E10value_typeET2_T3_PNSH_ISM_E10value_typeET4_T5_PSR_SS_PNS1_23onesweep_lookback_stateEbbT6_jjT7_P12ihipStream_tbENKUlT_T0_SG_SL_E_clIS9_SA_SB_SB_EEDaSZ_S10_SG_SL_EUlSZ_E_NS1_11comp_targetILNS1_3genE3ELNS1_11target_archE908ELNS1_3gpuE7ELNS1_3repE0EEENS1_47radix_sort_onesweep_sort_config_static_selectorELNS0_4arch9wavefront6targetE0EEEvSG_,"axG",@progbits,_ZN7rocprim17ROCPRIM_400000_NS6detail17trampoline_kernelINS0_14default_configENS1_35radix_sort_onesweep_config_selectorIiNS0_10empty_typeEEEZZNS1_29radix_sort_onesweep_iterationIS3_Lb0EPKiPiPS5_SB_mNS0_19identity_decomposerENS1_16block_id_wrapperIjLb1EEEEE10hipError_tT1_PNSt15iterator_traitsISG_E10value_typeET2_T3_PNSH_ISM_E10value_typeET4_T5_PSR_SS_PNS1_23onesweep_lookback_stateEbbT6_jjT7_P12ihipStream_tbENKUlT_T0_SG_SL_E_clIS9_SA_SB_SB_EEDaSZ_S10_SG_SL_EUlSZ_E_NS1_11comp_targetILNS1_3genE3ELNS1_11target_archE908ELNS1_3gpuE7ELNS1_3repE0EEENS1_47radix_sort_onesweep_sort_config_static_selectorELNS0_4arch9wavefront6targetE0EEEvSG_,comdat
	.protected	_ZN7rocprim17ROCPRIM_400000_NS6detail17trampoline_kernelINS0_14default_configENS1_35radix_sort_onesweep_config_selectorIiNS0_10empty_typeEEEZZNS1_29radix_sort_onesweep_iterationIS3_Lb0EPKiPiPS5_SB_mNS0_19identity_decomposerENS1_16block_id_wrapperIjLb1EEEEE10hipError_tT1_PNSt15iterator_traitsISG_E10value_typeET2_T3_PNSH_ISM_E10value_typeET4_T5_PSR_SS_PNS1_23onesweep_lookback_stateEbbT6_jjT7_P12ihipStream_tbENKUlT_T0_SG_SL_E_clIS9_SA_SB_SB_EEDaSZ_S10_SG_SL_EUlSZ_E_NS1_11comp_targetILNS1_3genE3ELNS1_11target_archE908ELNS1_3gpuE7ELNS1_3repE0EEENS1_47radix_sort_onesweep_sort_config_static_selectorELNS0_4arch9wavefront6targetE0EEEvSG_ ; -- Begin function _ZN7rocprim17ROCPRIM_400000_NS6detail17trampoline_kernelINS0_14default_configENS1_35radix_sort_onesweep_config_selectorIiNS0_10empty_typeEEEZZNS1_29radix_sort_onesweep_iterationIS3_Lb0EPKiPiPS5_SB_mNS0_19identity_decomposerENS1_16block_id_wrapperIjLb1EEEEE10hipError_tT1_PNSt15iterator_traitsISG_E10value_typeET2_T3_PNSH_ISM_E10value_typeET4_T5_PSR_SS_PNS1_23onesweep_lookback_stateEbbT6_jjT7_P12ihipStream_tbENKUlT_T0_SG_SL_E_clIS9_SA_SB_SB_EEDaSZ_S10_SG_SL_EUlSZ_E_NS1_11comp_targetILNS1_3genE3ELNS1_11target_archE908ELNS1_3gpuE7ELNS1_3repE0EEENS1_47radix_sort_onesweep_sort_config_static_selectorELNS0_4arch9wavefront6targetE0EEEvSG_
	.globl	_ZN7rocprim17ROCPRIM_400000_NS6detail17trampoline_kernelINS0_14default_configENS1_35radix_sort_onesweep_config_selectorIiNS0_10empty_typeEEEZZNS1_29radix_sort_onesweep_iterationIS3_Lb0EPKiPiPS5_SB_mNS0_19identity_decomposerENS1_16block_id_wrapperIjLb1EEEEE10hipError_tT1_PNSt15iterator_traitsISG_E10value_typeET2_T3_PNSH_ISM_E10value_typeET4_T5_PSR_SS_PNS1_23onesweep_lookback_stateEbbT6_jjT7_P12ihipStream_tbENKUlT_T0_SG_SL_E_clIS9_SA_SB_SB_EEDaSZ_S10_SG_SL_EUlSZ_E_NS1_11comp_targetILNS1_3genE3ELNS1_11target_archE908ELNS1_3gpuE7ELNS1_3repE0EEENS1_47radix_sort_onesweep_sort_config_static_selectorELNS0_4arch9wavefront6targetE0EEEvSG_
	.p2align	8
	.type	_ZN7rocprim17ROCPRIM_400000_NS6detail17trampoline_kernelINS0_14default_configENS1_35radix_sort_onesweep_config_selectorIiNS0_10empty_typeEEEZZNS1_29radix_sort_onesweep_iterationIS3_Lb0EPKiPiPS5_SB_mNS0_19identity_decomposerENS1_16block_id_wrapperIjLb1EEEEE10hipError_tT1_PNSt15iterator_traitsISG_E10value_typeET2_T3_PNSH_ISM_E10value_typeET4_T5_PSR_SS_PNS1_23onesweep_lookback_stateEbbT6_jjT7_P12ihipStream_tbENKUlT_T0_SG_SL_E_clIS9_SA_SB_SB_EEDaSZ_S10_SG_SL_EUlSZ_E_NS1_11comp_targetILNS1_3genE3ELNS1_11target_archE908ELNS1_3gpuE7ELNS1_3repE0EEENS1_47radix_sort_onesweep_sort_config_static_selectorELNS0_4arch9wavefront6targetE0EEEvSG_,@function
_ZN7rocprim17ROCPRIM_400000_NS6detail17trampoline_kernelINS0_14default_configENS1_35radix_sort_onesweep_config_selectorIiNS0_10empty_typeEEEZZNS1_29radix_sort_onesweep_iterationIS3_Lb0EPKiPiPS5_SB_mNS0_19identity_decomposerENS1_16block_id_wrapperIjLb1EEEEE10hipError_tT1_PNSt15iterator_traitsISG_E10value_typeET2_T3_PNSH_ISM_E10value_typeET4_T5_PSR_SS_PNS1_23onesweep_lookback_stateEbbT6_jjT7_P12ihipStream_tbENKUlT_T0_SG_SL_E_clIS9_SA_SB_SB_EEDaSZ_S10_SG_SL_EUlSZ_E_NS1_11comp_targetILNS1_3genE3ELNS1_11target_archE908ELNS1_3gpuE7ELNS1_3repE0EEENS1_47radix_sort_onesweep_sort_config_static_selectorELNS0_4arch9wavefront6targetE0EEEvSG_: ; @_ZN7rocprim17ROCPRIM_400000_NS6detail17trampoline_kernelINS0_14default_configENS1_35radix_sort_onesweep_config_selectorIiNS0_10empty_typeEEEZZNS1_29radix_sort_onesweep_iterationIS3_Lb0EPKiPiPS5_SB_mNS0_19identity_decomposerENS1_16block_id_wrapperIjLb1EEEEE10hipError_tT1_PNSt15iterator_traitsISG_E10value_typeET2_T3_PNSH_ISM_E10value_typeET4_T5_PSR_SS_PNS1_23onesweep_lookback_stateEbbT6_jjT7_P12ihipStream_tbENKUlT_T0_SG_SL_E_clIS9_SA_SB_SB_EEDaSZ_S10_SG_SL_EUlSZ_E_NS1_11comp_targetILNS1_3genE3ELNS1_11target_archE908ELNS1_3gpuE7ELNS1_3repE0EEENS1_47radix_sort_onesweep_sort_config_static_selectorELNS0_4arch9wavefront6targetE0EEEvSG_
; %bb.0:
	.section	.rodata,"a",@progbits
	.p2align	6, 0x0
	.amdhsa_kernel _ZN7rocprim17ROCPRIM_400000_NS6detail17trampoline_kernelINS0_14default_configENS1_35radix_sort_onesweep_config_selectorIiNS0_10empty_typeEEEZZNS1_29radix_sort_onesweep_iterationIS3_Lb0EPKiPiPS5_SB_mNS0_19identity_decomposerENS1_16block_id_wrapperIjLb1EEEEE10hipError_tT1_PNSt15iterator_traitsISG_E10value_typeET2_T3_PNSH_ISM_E10value_typeET4_T5_PSR_SS_PNS1_23onesweep_lookback_stateEbbT6_jjT7_P12ihipStream_tbENKUlT_T0_SG_SL_E_clIS9_SA_SB_SB_EEDaSZ_S10_SG_SL_EUlSZ_E_NS1_11comp_targetILNS1_3genE3ELNS1_11target_archE908ELNS1_3gpuE7ELNS1_3repE0EEENS1_47radix_sort_onesweep_sort_config_static_selectorELNS0_4arch9wavefront6targetE0EEEvSG_
		.amdhsa_group_segment_fixed_size 0
		.amdhsa_private_segment_fixed_size 0
		.amdhsa_kernarg_size 88
		.amdhsa_user_sgpr_count 2
		.amdhsa_user_sgpr_dispatch_ptr 0
		.amdhsa_user_sgpr_queue_ptr 0
		.amdhsa_user_sgpr_kernarg_segment_ptr 1
		.amdhsa_user_sgpr_dispatch_id 0
		.amdhsa_user_sgpr_kernarg_preload_length 0
		.amdhsa_user_sgpr_kernarg_preload_offset 0
		.amdhsa_user_sgpr_private_segment_size 0
		.amdhsa_wavefront_size32 1
		.amdhsa_uses_dynamic_stack 0
		.amdhsa_enable_private_segment 0
		.amdhsa_system_sgpr_workgroup_id_x 1
		.amdhsa_system_sgpr_workgroup_id_y 0
		.amdhsa_system_sgpr_workgroup_id_z 0
		.amdhsa_system_sgpr_workgroup_info 0
		.amdhsa_system_vgpr_workitem_id 0
		.amdhsa_next_free_vgpr 1
		.amdhsa_next_free_sgpr 1
		.amdhsa_named_barrier_count 0
		.amdhsa_reserve_vcc 0
		.amdhsa_float_round_mode_32 0
		.amdhsa_float_round_mode_16_64 0
		.amdhsa_float_denorm_mode_32 3
		.amdhsa_float_denorm_mode_16_64 3
		.amdhsa_fp16_overflow 0
		.amdhsa_memory_ordered 1
		.amdhsa_forward_progress 1
		.amdhsa_inst_pref_size 0
		.amdhsa_round_robin_scheduling 0
		.amdhsa_exception_fp_ieee_invalid_op 0
		.amdhsa_exception_fp_denorm_src 0
		.amdhsa_exception_fp_ieee_div_zero 0
		.amdhsa_exception_fp_ieee_overflow 0
		.amdhsa_exception_fp_ieee_underflow 0
		.amdhsa_exception_fp_ieee_inexact 0
		.amdhsa_exception_int_div_zero 0
	.end_amdhsa_kernel
	.section	.text._ZN7rocprim17ROCPRIM_400000_NS6detail17trampoline_kernelINS0_14default_configENS1_35radix_sort_onesweep_config_selectorIiNS0_10empty_typeEEEZZNS1_29radix_sort_onesweep_iterationIS3_Lb0EPKiPiPS5_SB_mNS0_19identity_decomposerENS1_16block_id_wrapperIjLb1EEEEE10hipError_tT1_PNSt15iterator_traitsISG_E10value_typeET2_T3_PNSH_ISM_E10value_typeET4_T5_PSR_SS_PNS1_23onesweep_lookback_stateEbbT6_jjT7_P12ihipStream_tbENKUlT_T0_SG_SL_E_clIS9_SA_SB_SB_EEDaSZ_S10_SG_SL_EUlSZ_E_NS1_11comp_targetILNS1_3genE3ELNS1_11target_archE908ELNS1_3gpuE7ELNS1_3repE0EEENS1_47radix_sort_onesweep_sort_config_static_selectorELNS0_4arch9wavefront6targetE0EEEvSG_,"axG",@progbits,_ZN7rocprim17ROCPRIM_400000_NS6detail17trampoline_kernelINS0_14default_configENS1_35radix_sort_onesweep_config_selectorIiNS0_10empty_typeEEEZZNS1_29radix_sort_onesweep_iterationIS3_Lb0EPKiPiPS5_SB_mNS0_19identity_decomposerENS1_16block_id_wrapperIjLb1EEEEE10hipError_tT1_PNSt15iterator_traitsISG_E10value_typeET2_T3_PNSH_ISM_E10value_typeET4_T5_PSR_SS_PNS1_23onesweep_lookback_stateEbbT6_jjT7_P12ihipStream_tbENKUlT_T0_SG_SL_E_clIS9_SA_SB_SB_EEDaSZ_S10_SG_SL_EUlSZ_E_NS1_11comp_targetILNS1_3genE3ELNS1_11target_archE908ELNS1_3gpuE7ELNS1_3repE0EEENS1_47radix_sort_onesweep_sort_config_static_selectorELNS0_4arch9wavefront6targetE0EEEvSG_,comdat
.Lfunc_end965:
	.size	_ZN7rocprim17ROCPRIM_400000_NS6detail17trampoline_kernelINS0_14default_configENS1_35radix_sort_onesweep_config_selectorIiNS0_10empty_typeEEEZZNS1_29radix_sort_onesweep_iterationIS3_Lb0EPKiPiPS5_SB_mNS0_19identity_decomposerENS1_16block_id_wrapperIjLb1EEEEE10hipError_tT1_PNSt15iterator_traitsISG_E10value_typeET2_T3_PNSH_ISM_E10value_typeET4_T5_PSR_SS_PNS1_23onesweep_lookback_stateEbbT6_jjT7_P12ihipStream_tbENKUlT_T0_SG_SL_E_clIS9_SA_SB_SB_EEDaSZ_S10_SG_SL_EUlSZ_E_NS1_11comp_targetILNS1_3genE3ELNS1_11target_archE908ELNS1_3gpuE7ELNS1_3repE0EEENS1_47radix_sort_onesweep_sort_config_static_selectorELNS0_4arch9wavefront6targetE0EEEvSG_, .Lfunc_end965-_ZN7rocprim17ROCPRIM_400000_NS6detail17trampoline_kernelINS0_14default_configENS1_35radix_sort_onesweep_config_selectorIiNS0_10empty_typeEEEZZNS1_29radix_sort_onesweep_iterationIS3_Lb0EPKiPiPS5_SB_mNS0_19identity_decomposerENS1_16block_id_wrapperIjLb1EEEEE10hipError_tT1_PNSt15iterator_traitsISG_E10value_typeET2_T3_PNSH_ISM_E10value_typeET4_T5_PSR_SS_PNS1_23onesweep_lookback_stateEbbT6_jjT7_P12ihipStream_tbENKUlT_T0_SG_SL_E_clIS9_SA_SB_SB_EEDaSZ_S10_SG_SL_EUlSZ_E_NS1_11comp_targetILNS1_3genE3ELNS1_11target_archE908ELNS1_3gpuE7ELNS1_3repE0EEENS1_47radix_sort_onesweep_sort_config_static_selectorELNS0_4arch9wavefront6targetE0EEEvSG_
                                        ; -- End function
	.set _ZN7rocprim17ROCPRIM_400000_NS6detail17trampoline_kernelINS0_14default_configENS1_35radix_sort_onesweep_config_selectorIiNS0_10empty_typeEEEZZNS1_29radix_sort_onesweep_iterationIS3_Lb0EPKiPiPS5_SB_mNS0_19identity_decomposerENS1_16block_id_wrapperIjLb1EEEEE10hipError_tT1_PNSt15iterator_traitsISG_E10value_typeET2_T3_PNSH_ISM_E10value_typeET4_T5_PSR_SS_PNS1_23onesweep_lookback_stateEbbT6_jjT7_P12ihipStream_tbENKUlT_T0_SG_SL_E_clIS9_SA_SB_SB_EEDaSZ_S10_SG_SL_EUlSZ_E_NS1_11comp_targetILNS1_3genE3ELNS1_11target_archE908ELNS1_3gpuE7ELNS1_3repE0EEENS1_47radix_sort_onesweep_sort_config_static_selectorELNS0_4arch9wavefront6targetE0EEEvSG_.num_vgpr, 0
	.set _ZN7rocprim17ROCPRIM_400000_NS6detail17trampoline_kernelINS0_14default_configENS1_35radix_sort_onesweep_config_selectorIiNS0_10empty_typeEEEZZNS1_29radix_sort_onesweep_iterationIS3_Lb0EPKiPiPS5_SB_mNS0_19identity_decomposerENS1_16block_id_wrapperIjLb1EEEEE10hipError_tT1_PNSt15iterator_traitsISG_E10value_typeET2_T3_PNSH_ISM_E10value_typeET4_T5_PSR_SS_PNS1_23onesweep_lookback_stateEbbT6_jjT7_P12ihipStream_tbENKUlT_T0_SG_SL_E_clIS9_SA_SB_SB_EEDaSZ_S10_SG_SL_EUlSZ_E_NS1_11comp_targetILNS1_3genE3ELNS1_11target_archE908ELNS1_3gpuE7ELNS1_3repE0EEENS1_47radix_sort_onesweep_sort_config_static_selectorELNS0_4arch9wavefront6targetE0EEEvSG_.num_agpr, 0
	.set _ZN7rocprim17ROCPRIM_400000_NS6detail17trampoline_kernelINS0_14default_configENS1_35radix_sort_onesweep_config_selectorIiNS0_10empty_typeEEEZZNS1_29radix_sort_onesweep_iterationIS3_Lb0EPKiPiPS5_SB_mNS0_19identity_decomposerENS1_16block_id_wrapperIjLb1EEEEE10hipError_tT1_PNSt15iterator_traitsISG_E10value_typeET2_T3_PNSH_ISM_E10value_typeET4_T5_PSR_SS_PNS1_23onesweep_lookback_stateEbbT6_jjT7_P12ihipStream_tbENKUlT_T0_SG_SL_E_clIS9_SA_SB_SB_EEDaSZ_S10_SG_SL_EUlSZ_E_NS1_11comp_targetILNS1_3genE3ELNS1_11target_archE908ELNS1_3gpuE7ELNS1_3repE0EEENS1_47radix_sort_onesweep_sort_config_static_selectorELNS0_4arch9wavefront6targetE0EEEvSG_.numbered_sgpr, 0
	.set _ZN7rocprim17ROCPRIM_400000_NS6detail17trampoline_kernelINS0_14default_configENS1_35radix_sort_onesweep_config_selectorIiNS0_10empty_typeEEEZZNS1_29radix_sort_onesweep_iterationIS3_Lb0EPKiPiPS5_SB_mNS0_19identity_decomposerENS1_16block_id_wrapperIjLb1EEEEE10hipError_tT1_PNSt15iterator_traitsISG_E10value_typeET2_T3_PNSH_ISM_E10value_typeET4_T5_PSR_SS_PNS1_23onesweep_lookback_stateEbbT6_jjT7_P12ihipStream_tbENKUlT_T0_SG_SL_E_clIS9_SA_SB_SB_EEDaSZ_S10_SG_SL_EUlSZ_E_NS1_11comp_targetILNS1_3genE3ELNS1_11target_archE908ELNS1_3gpuE7ELNS1_3repE0EEENS1_47radix_sort_onesweep_sort_config_static_selectorELNS0_4arch9wavefront6targetE0EEEvSG_.num_named_barrier, 0
	.set _ZN7rocprim17ROCPRIM_400000_NS6detail17trampoline_kernelINS0_14default_configENS1_35radix_sort_onesweep_config_selectorIiNS0_10empty_typeEEEZZNS1_29radix_sort_onesweep_iterationIS3_Lb0EPKiPiPS5_SB_mNS0_19identity_decomposerENS1_16block_id_wrapperIjLb1EEEEE10hipError_tT1_PNSt15iterator_traitsISG_E10value_typeET2_T3_PNSH_ISM_E10value_typeET4_T5_PSR_SS_PNS1_23onesweep_lookback_stateEbbT6_jjT7_P12ihipStream_tbENKUlT_T0_SG_SL_E_clIS9_SA_SB_SB_EEDaSZ_S10_SG_SL_EUlSZ_E_NS1_11comp_targetILNS1_3genE3ELNS1_11target_archE908ELNS1_3gpuE7ELNS1_3repE0EEENS1_47radix_sort_onesweep_sort_config_static_selectorELNS0_4arch9wavefront6targetE0EEEvSG_.private_seg_size, 0
	.set _ZN7rocprim17ROCPRIM_400000_NS6detail17trampoline_kernelINS0_14default_configENS1_35radix_sort_onesweep_config_selectorIiNS0_10empty_typeEEEZZNS1_29radix_sort_onesweep_iterationIS3_Lb0EPKiPiPS5_SB_mNS0_19identity_decomposerENS1_16block_id_wrapperIjLb1EEEEE10hipError_tT1_PNSt15iterator_traitsISG_E10value_typeET2_T3_PNSH_ISM_E10value_typeET4_T5_PSR_SS_PNS1_23onesweep_lookback_stateEbbT6_jjT7_P12ihipStream_tbENKUlT_T0_SG_SL_E_clIS9_SA_SB_SB_EEDaSZ_S10_SG_SL_EUlSZ_E_NS1_11comp_targetILNS1_3genE3ELNS1_11target_archE908ELNS1_3gpuE7ELNS1_3repE0EEENS1_47radix_sort_onesweep_sort_config_static_selectorELNS0_4arch9wavefront6targetE0EEEvSG_.uses_vcc, 0
	.set _ZN7rocprim17ROCPRIM_400000_NS6detail17trampoline_kernelINS0_14default_configENS1_35radix_sort_onesweep_config_selectorIiNS0_10empty_typeEEEZZNS1_29radix_sort_onesweep_iterationIS3_Lb0EPKiPiPS5_SB_mNS0_19identity_decomposerENS1_16block_id_wrapperIjLb1EEEEE10hipError_tT1_PNSt15iterator_traitsISG_E10value_typeET2_T3_PNSH_ISM_E10value_typeET4_T5_PSR_SS_PNS1_23onesweep_lookback_stateEbbT6_jjT7_P12ihipStream_tbENKUlT_T0_SG_SL_E_clIS9_SA_SB_SB_EEDaSZ_S10_SG_SL_EUlSZ_E_NS1_11comp_targetILNS1_3genE3ELNS1_11target_archE908ELNS1_3gpuE7ELNS1_3repE0EEENS1_47radix_sort_onesweep_sort_config_static_selectorELNS0_4arch9wavefront6targetE0EEEvSG_.uses_flat_scratch, 0
	.set _ZN7rocprim17ROCPRIM_400000_NS6detail17trampoline_kernelINS0_14default_configENS1_35radix_sort_onesweep_config_selectorIiNS0_10empty_typeEEEZZNS1_29radix_sort_onesweep_iterationIS3_Lb0EPKiPiPS5_SB_mNS0_19identity_decomposerENS1_16block_id_wrapperIjLb1EEEEE10hipError_tT1_PNSt15iterator_traitsISG_E10value_typeET2_T3_PNSH_ISM_E10value_typeET4_T5_PSR_SS_PNS1_23onesweep_lookback_stateEbbT6_jjT7_P12ihipStream_tbENKUlT_T0_SG_SL_E_clIS9_SA_SB_SB_EEDaSZ_S10_SG_SL_EUlSZ_E_NS1_11comp_targetILNS1_3genE3ELNS1_11target_archE908ELNS1_3gpuE7ELNS1_3repE0EEENS1_47radix_sort_onesweep_sort_config_static_selectorELNS0_4arch9wavefront6targetE0EEEvSG_.has_dyn_sized_stack, 0
	.set _ZN7rocprim17ROCPRIM_400000_NS6detail17trampoline_kernelINS0_14default_configENS1_35radix_sort_onesweep_config_selectorIiNS0_10empty_typeEEEZZNS1_29radix_sort_onesweep_iterationIS3_Lb0EPKiPiPS5_SB_mNS0_19identity_decomposerENS1_16block_id_wrapperIjLb1EEEEE10hipError_tT1_PNSt15iterator_traitsISG_E10value_typeET2_T3_PNSH_ISM_E10value_typeET4_T5_PSR_SS_PNS1_23onesweep_lookback_stateEbbT6_jjT7_P12ihipStream_tbENKUlT_T0_SG_SL_E_clIS9_SA_SB_SB_EEDaSZ_S10_SG_SL_EUlSZ_E_NS1_11comp_targetILNS1_3genE3ELNS1_11target_archE908ELNS1_3gpuE7ELNS1_3repE0EEENS1_47radix_sort_onesweep_sort_config_static_selectorELNS0_4arch9wavefront6targetE0EEEvSG_.has_recursion, 0
	.set _ZN7rocprim17ROCPRIM_400000_NS6detail17trampoline_kernelINS0_14default_configENS1_35radix_sort_onesweep_config_selectorIiNS0_10empty_typeEEEZZNS1_29radix_sort_onesweep_iterationIS3_Lb0EPKiPiPS5_SB_mNS0_19identity_decomposerENS1_16block_id_wrapperIjLb1EEEEE10hipError_tT1_PNSt15iterator_traitsISG_E10value_typeET2_T3_PNSH_ISM_E10value_typeET4_T5_PSR_SS_PNS1_23onesweep_lookback_stateEbbT6_jjT7_P12ihipStream_tbENKUlT_T0_SG_SL_E_clIS9_SA_SB_SB_EEDaSZ_S10_SG_SL_EUlSZ_E_NS1_11comp_targetILNS1_3genE3ELNS1_11target_archE908ELNS1_3gpuE7ELNS1_3repE0EEENS1_47radix_sort_onesweep_sort_config_static_selectorELNS0_4arch9wavefront6targetE0EEEvSG_.has_indirect_call, 0
	.section	.AMDGPU.csdata,"",@progbits
; Kernel info:
; codeLenInByte = 0
; TotalNumSgprs: 0
; NumVgprs: 0
; ScratchSize: 0
; MemoryBound: 0
; FloatMode: 240
; IeeeMode: 1
; LDSByteSize: 0 bytes/workgroup (compile time only)
; SGPRBlocks: 0
; VGPRBlocks: 0
; NumSGPRsForWavesPerEU: 1
; NumVGPRsForWavesPerEU: 1
; NamedBarCnt: 0
; Occupancy: 16
; WaveLimiterHint : 0
; COMPUTE_PGM_RSRC2:SCRATCH_EN: 0
; COMPUTE_PGM_RSRC2:USER_SGPR: 2
; COMPUTE_PGM_RSRC2:TRAP_HANDLER: 0
; COMPUTE_PGM_RSRC2:TGID_X_EN: 1
; COMPUTE_PGM_RSRC2:TGID_Y_EN: 0
; COMPUTE_PGM_RSRC2:TGID_Z_EN: 0
; COMPUTE_PGM_RSRC2:TIDIG_COMP_CNT: 0
	.section	.text._ZN7rocprim17ROCPRIM_400000_NS6detail17trampoline_kernelINS0_14default_configENS1_35radix_sort_onesweep_config_selectorIiNS0_10empty_typeEEEZZNS1_29radix_sort_onesweep_iterationIS3_Lb0EPKiPiPS5_SB_mNS0_19identity_decomposerENS1_16block_id_wrapperIjLb1EEEEE10hipError_tT1_PNSt15iterator_traitsISG_E10value_typeET2_T3_PNSH_ISM_E10value_typeET4_T5_PSR_SS_PNS1_23onesweep_lookback_stateEbbT6_jjT7_P12ihipStream_tbENKUlT_T0_SG_SL_E_clIS9_SA_SB_SB_EEDaSZ_S10_SG_SL_EUlSZ_E_NS1_11comp_targetILNS1_3genE10ELNS1_11target_archE1201ELNS1_3gpuE5ELNS1_3repE0EEENS1_47radix_sort_onesweep_sort_config_static_selectorELNS0_4arch9wavefront6targetE0EEEvSG_,"axG",@progbits,_ZN7rocprim17ROCPRIM_400000_NS6detail17trampoline_kernelINS0_14default_configENS1_35radix_sort_onesweep_config_selectorIiNS0_10empty_typeEEEZZNS1_29radix_sort_onesweep_iterationIS3_Lb0EPKiPiPS5_SB_mNS0_19identity_decomposerENS1_16block_id_wrapperIjLb1EEEEE10hipError_tT1_PNSt15iterator_traitsISG_E10value_typeET2_T3_PNSH_ISM_E10value_typeET4_T5_PSR_SS_PNS1_23onesweep_lookback_stateEbbT6_jjT7_P12ihipStream_tbENKUlT_T0_SG_SL_E_clIS9_SA_SB_SB_EEDaSZ_S10_SG_SL_EUlSZ_E_NS1_11comp_targetILNS1_3genE10ELNS1_11target_archE1201ELNS1_3gpuE5ELNS1_3repE0EEENS1_47radix_sort_onesweep_sort_config_static_selectorELNS0_4arch9wavefront6targetE0EEEvSG_,comdat
	.protected	_ZN7rocprim17ROCPRIM_400000_NS6detail17trampoline_kernelINS0_14default_configENS1_35radix_sort_onesweep_config_selectorIiNS0_10empty_typeEEEZZNS1_29radix_sort_onesweep_iterationIS3_Lb0EPKiPiPS5_SB_mNS0_19identity_decomposerENS1_16block_id_wrapperIjLb1EEEEE10hipError_tT1_PNSt15iterator_traitsISG_E10value_typeET2_T3_PNSH_ISM_E10value_typeET4_T5_PSR_SS_PNS1_23onesweep_lookback_stateEbbT6_jjT7_P12ihipStream_tbENKUlT_T0_SG_SL_E_clIS9_SA_SB_SB_EEDaSZ_S10_SG_SL_EUlSZ_E_NS1_11comp_targetILNS1_3genE10ELNS1_11target_archE1201ELNS1_3gpuE5ELNS1_3repE0EEENS1_47radix_sort_onesweep_sort_config_static_selectorELNS0_4arch9wavefront6targetE0EEEvSG_ ; -- Begin function _ZN7rocprim17ROCPRIM_400000_NS6detail17trampoline_kernelINS0_14default_configENS1_35radix_sort_onesweep_config_selectorIiNS0_10empty_typeEEEZZNS1_29radix_sort_onesweep_iterationIS3_Lb0EPKiPiPS5_SB_mNS0_19identity_decomposerENS1_16block_id_wrapperIjLb1EEEEE10hipError_tT1_PNSt15iterator_traitsISG_E10value_typeET2_T3_PNSH_ISM_E10value_typeET4_T5_PSR_SS_PNS1_23onesweep_lookback_stateEbbT6_jjT7_P12ihipStream_tbENKUlT_T0_SG_SL_E_clIS9_SA_SB_SB_EEDaSZ_S10_SG_SL_EUlSZ_E_NS1_11comp_targetILNS1_3genE10ELNS1_11target_archE1201ELNS1_3gpuE5ELNS1_3repE0EEENS1_47radix_sort_onesweep_sort_config_static_selectorELNS0_4arch9wavefront6targetE0EEEvSG_
	.globl	_ZN7rocprim17ROCPRIM_400000_NS6detail17trampoline_kernelINS0_14default_configENS1_35radix_sort_onesweep_config_selectorIiNS0_10empty_typeEEEZZNS1_29radix_sort_onesweep_iterationIS3_Lb0EPKiPiPS5_SB_mNS0_19identity_decomposerENS1_16block_id_wrapperIjLb1EEEEE10hipError_tT1_PNSt15iterator_traitsISG_E10value_typeET2_T3_PNSH_ISM_E10value_typeET4_T5_PSR_SS_PNS1_23onesweep_lookback_stateEbbT6_jjT7_P12ihipStream_tbENKUlT_T0_SG_SL_E_clIS9_SA_SB_SB_EEDaSZ_S10_SG_SL_EUlSZ_E_NS1_11comp_targetILNS1_3genE10ELNS1_11target_archE1201ELNS1_3gpuE5ELNS1_3repE0EEENS1_47radix_sort_onesweep_sort_config_static_selectorELNS0_4arch9wavefront6targetE0EEEvSG_
	.p2align	8
	.type	_ZN7rocprim17ROCPRIM_400000_NS6detail17trampoline_kernelINS0_14default_configENS1_35radix_sort_onesweep_config_selectorIiNS0_10empty_typeEEEZZNS1_29radix_sort_onesweep_iterationIS3_Lb0EPKiPiPS5_SB_mNS0_19identity_decomposerENS1_16block_id_wrapperIjLb1EEEEE10hipError_tT1_PNSt15iterator_traitsISG_E10value_typeET2_T3_PNSH_ISM_E10value_typeET4_T5_PSR_SS_PNS1_23onesweep_lookback_stateEbbT6_jjT7_P12ihipStream_tbENKUlT_T0_SG_SL_E_clIS9_SA_SB_SB_EEDaSZ_S10_SG_SL_EUlSZ_E_NS1_11comp_targetILNS1_3genE10ELNS1_11target_archE1201ELNS1_3gpuE5ELNS1_3repE0EEENS1_47radix_sort_onesweep_sort_config_static_selectorELNS0_4arch9wavefront6targetE0EEEvSG_,@function
_ZN7rocprim17ROCPRIM_400000_NS6detail17trampoline_kernelINS0_14default_configENS1_35radix_sort_onesweep_config_selectorIiNS0_10empty_typeEEEZZNS1_29radix_sort_onesweep_iterationIS3_Lb0EPKiPiPS5_SB_mNS0_19identity_decomposerENS1_16block_id_wrapperIjLb1EEEEE10hipError_tT1_PNSt15iterator_traitsISG_E10value_typeET2_T3_PNSH_ISM_E10value_typeET4_T5_PSR_SS_PNS1_23onesweep_lookback_stateEbbT6_jjT7_P12ihipStream_tbENKUlT_T0_SG_SL_E_clIS9_SA_SB_SB_EEDaSZ_S10_SG_SL_EUlSZ_E_NS1_11comp_targetILNS1_3genE10ELNS1_11target_archE1201ELNS1_3gpuE5ELNS1_3repE0EEENS1_47radix_sort_onesweep_sort_config_static_selectorELNS0_4arch9wavefront6targetE0EEEvSG_: ; @_ZN7rocprim17ROCPRIM_400000_NS6detail17trampoline_kernelINS0_14default_configENS1_35radix_sort_onesweep_config_selectorIiNS0_10empty_typeEEEZZNS1_29radix_sort_onesweep_iterationIS3_Lb0EPKiPiPS5_SB_mNS0_19identity_decomposerENS1_16block_id_wrapperIjLb1EEEEE10hipError_tT1_PNSt15iterator_traitsISG_E10value_typeET2_T3_PNSH_ISM_E10value_typeET4_T5_PSR_SS_PNS1_23onesweep_lookback_stateEbbT6_jjT7_P12ihipStream_tbENKUlT_T0_SG_SL_E_clIS9_SA_SB_SB_EEDaSZ_S10_SG_SL_EUlSZ_E_NS1_11comp_targetILNS1_3genE10ELNS1_11target_archE1201ELNS1_3gpuE5ELNS1_3repE0EEENS1_47radix_sort_onesweep_sort_config_static_selectorELNS0_4arch9wavefront6targetE0EEEvSG_
; %bb.0:
	.section	.rodata,"a",@progbits
	.p2align	6, 0x0
	.amdhsa_kernel _ZN7rocprim17ROCPRIM_400000_NS6detail17trampoline_kernelINS0_14default_configENS1_35radix_sort_onesweep_config_selectorIiNS0_10empty_typeEEEZZNS1_29radix_sort_onesweep_iterationIS3_Lb0EPKiPiPS5_SB_mNS0_19identity_decomposerENS1_16block_id_wrapperIjLb1EEEEE10hipError_tT1_PNSt15iterator_traitsISG_E10value_typeET2_T3_PNSH_ISM_E10value_typeET4_T5_PSR_SS_PNS1_23onesweep_lookback_stateEbbT6_jjT7_P12ihipStream_tbENKUlT_T0_SG_SL_E_clIS9_SA_SB_SB_EEDaSZ_S10_SG_SL_EUlSZ_E_NS1_11comp_targetILNS1_3genE10ELNS1_11target_archE1201ELNS1_3gpuE5ELNS1_3repE0EEENS1_47radix_sort_onesweep_sort_config_static_selectorELNS0_4arch9wavefront6targetE0EEEvSG_
		.amdhsa_group_segment_fixed_size 0
		.amdhsa_private_segment_fixed_size 0
		.amdhsa_kernarg_size 88
		.amdhsa_user_sgpr_count 2
		.amdhsa_user_sgpr_dispatch_ptr 0
		.amdhsa_user_sgpr_queue_ptr 0
		.amdhsa_user_sgpr_kernarg_segment_ptr 1
		.amdhsa_user_sgpr_dispatch_id 0
		.amdhsa_user_sgpr_kernarg_preload_length 0
		.amdhsa_user_sgpr_kernarg_preload_offset 0
		.amdhsa_user_sgpr_private_segment_size 0
		.amdhsa_wavefront_size32 1
		.amdhsa_uses_dynamic_stack 0
		.amdhsa_enable_private_segment 0
		.amdhsa_system_sgpr_workgroup_id_x 1
		.amdhsa_system_sgpr_workgroup_id_y 0
		.amdhsa_system_sgpr_workgroup_id_z 0
		.amdhsa_system_sgpr_workgroup_info 0
		.amdhsa_system_vgpr_workitem_id 0
		.amdhsa_next_free_vgpr 1
		.amdhsa_next_free_sgpr 1
		.amdhsa_named_barrier_count 0
		.amdhsa_reserve_vcc 0
		.amdhsa_float_round_mode_32 0
		.amdhsa_float_round_mode_16_64 0
		.amdhsa_float_denorm_mode_32 3
		.amdhsa_float_denorm_mode_16_64 3
		.amdhsa_fp16_overflow 0
		.amdhsa_memory_ordered 1
		.amdhsa_forward_progress 1
		.amdhsa_inst_pref_size 0
		.amdhsa_round_robin_scheduling 0
		.amdhsa_exception_fp_ieee_invalid_op 0
		.amdhsa_exception_fp_denorm_src 0
		.amdhsa_exception_fp_ieee_div_zero 0
		.amdhsa_exception_fp_ieee_overflow 0
		.amdhsa_exception_fp_ieee_underflow 0
		.amdhsa_exception_fp_ieee_inexact 0
		.amdhsa_exception_int_div_zero 0
	.end_amdhsa_kernel
	.section	.text._ZN7rocprim17ROCPRIM_400000_NS6detail17trampoline_kernelINS0_14default_configENS1_35radix_sort_onesweep_config_selectorIiNS0_10empty_typeEEEZZNS1_29radix_sort_onesweep_iterationIS3_Lb0EPKiPiPS5_SB_mNS0_19identity_decomposerENS1_16block_id_wrapperIjLb1EEEEE10hipError_tT1_PNSt15iterator_traitsISG_E10value_typeET2_T3_PNSH_ISM_E10value_typeET4_T5_PSR_SS_PNS1_23onesweep_lookback_stateEbbT6_jjT7_P12ihipStream_tbENKUlT_T0_SG_SL_E_clIS9_SA_SB_SB_EEDaSZ_S10_SG_SL_EUlSZ_E_NS1_11comp_targetILNS1_3genE10ELNS1_11target_archE1201ELNS1_3gpuE5ELNS1_3repE0EEENS1_47radix_sort_onesweep_sort_config_static_selectorELNS0_4arch9wavefront6targetE0EEEvSG_,"axG",@progbits,_ZN7rocprim17ROCPRIM_400000_NS6detail17trampoline_kernelINS0_14default_configENS1_35radix_sort_onesweep_config_selectorIiNS0_10empty_typeEEEZZNS1_29radix_sort_onesweep_iterationIS3_Lb0EPKiPiPS5_SB_mNS0_19identity_decomposerENS1_16block_id_wrapperIjLb1EEEEE10hipError_tT1_PNSt15iterator_traitsISG_E10value_typeET2_T3_PNSH_ISM_E10value_typeET4_T5_PSR_SS_PNS1_23onesweep_lookback_stateEbbT6_jjT7_P12ihipStream_tbENKUlT_T0_SG_SL_E_clIS9_SA_SB_SB_EEDaSZ_S10_SG_SL_EUlSZ_E_NS1_11comp_targetILNS1_3genE10ELNS1_11target_archE1201ELNS1_3gpuE5ELNS1_3repE0EEENS1_47radix_sort_onesweep_sort_config_static_selectorELNS0_4arch9wavefront6targetE0EEEvSG_,comdat
.Lfunc_end966:
	.size	_ZN7rocprim17ROCPRIM_400000_NS6detail17trampoline_kernelINS0_14default_configENS1_35radix_sort_onesweep_config_selectorIiNS0_10empty_typeEEEZZNS1_29radix_sort_onesweep_iterationIS3_Lb0EPKiPiPS5_SB_mNS0_19identity_decomposerENS1_16block_id_wrapperIjLb1EEEEE10hipError_tT1_PNSt15iterator_traitsISG_E10value_typeET2_T3_PNSH_ISM_E10value_typeET4_T5_PSR_SS_PNS1_23onesweep_lookback_stateEbbT6_jjT7_P12ihipStream_tbENKUlT_T0_SG_SL_E_clIS9_SA_SB_SB_EEDaSZ_S10_SG_SL_EUlSZ_E_NS1_11comp_targetILNS1_3genE10ELNS1_11target_archE1201ELNS1_3gpuE5ELNS1_3repE0EEENS1_47radix_sort_onesweep_sort_config_static_selectorELNS0_4arch9wavefront6targetE0EEEvSG_, .Lfunc_end966-_ZN7rocprim17ROCPRIM_400000_NS6detail17trampoline_kernelINS0_14default_configENS1_35radix_sort_onesweep_config_selectorIiNS0_10empty_typeEEEZZNS1_29radix_sort_onesweep_iterationIS3_Lb0EPKiPiPS5_SB_mNS0_19identity_decomposerENS1_16block_id_wrapperIjLb1EEEEE10hipError_tT1_PNSt15iterator_traitsISG_E10value_typeET2_T3_PNSH_ISM_E10value_typeET4_T5_PSR_SS_PNS1_23onesweep_lookback_stateEbbT6_jjT7_P12ihipStream_tbENKUlT_T0_SG_SL_E_clIS9_SA_SB_SB_EEDaSZ_S10_SG_SL_EUlSZ_E_NS1_11comp_targetILNS1_3genE10ELNS1_11target_archE1201ELNS1_3gpuE5ELNS1_3repE0EEENS1_47radix_sort_onesweep_sort_config_static_selectorELNS0_4arch9wavefront6targetE0EEEvSG_
                                        ; -- End function
	.set _ZN7rocprim17ROCPRIM_400000_NS6detail17trampoline_kernelINS0_14default_configENS1_35radix_sort_onesweep_config_selectorIiNS0_10empty_typeEEEZZNS1_29radix_sort_onesweep_iterationIS3_Lb0EPKiPiPS5_SB_mNS0_19identity_decomposerENS1_16block_id_wrapperIjLb1EEEEE10hipError_tT1_PNSt15iterator_traitsISG_E10value_typeET2_T3_PNSH_ISM_E10value_typeET4_T5_PSR_SS_PNS1_23onesweep_lookback_stateEbbT6_jjT7_P12ihipStream_tbENKUlT_T0_SG_SL_E_clIS9_SA_SB_SB_EEDaSZ_S10_SG_SL_EUlSZ_E_NS1_11comp_targetILNS1_3genE10ELNS1_11target_archE1201ELNS1_3gpuE5ELNS1_3repE0EEENS1_47radix_sort_onesweep_sort_config_static_selectorELNS0_4arch9wavefront6targetE0EEEvSG_.num_vgpr, 0
	.set _ZN7rocprim17ROCPRIM_400000_NS6detail17trampoline_kernelINS0_14default_configENS1_35radix_sort_onesweep_config_selectorIiNS0_10empty_typeEEEZZNS1_29radix_sort_onesweep_iterationIS3_Lb0EPKiPiPS5_SB_mNS0_19identity_decomposerENS1_16block_id_wrapperIjLb1EEEEE10hipError_tT1_PNSt15iterator_traitsISG_E10value_typeET2_T3_PNSH_ISM_E10value_typeET4_T5_PSR_SS_PNS1_23onesweep_lookback_stateEbbT6_jjT7_P12ihipStream_tbENKUlT_T0_SG_SL_E_clIS9_SA_SB_SB_EEDaSZ_S10_SG_SL_EUlSZ_E_NS1_11comp_targetILNS1_3genE10ELNS1_11target_archE1201ELNS1_3gpuE5ELNS1_3repE0EEENS1_47radix_sort_onesweep_sort_config_static_selectorELNS0_4arch9wavefront6targetE0EEEvSG_.num_agpr, 0
	.set _ZN7rocprim17ROCPRIM_400000_NS6detail17trampoline_kernelINS0_14default_configENS1_35radix_sort_onesweep_config_selectorIiNS0_10empty_typeEEEZZNS1_29radix_sort_onesweep_iterationIS3_Lb0EPKiPiPS5_SB_mNS0_19identity_decomposerENS1_16block_id_wrapperIjLb1EEEEE10hipError_tT1_PNSt15iterator_traitsISG_E10value_typeET2_T3_PNSH_ISM_E10value_typeET4_T5_PSR_SS_PNS1_23onesweep_lookback_stateEbbT6_jjT7_P12ihipStream_tbENKUlT_T0_SG_SL_E_clIS9_SA_SB_SB_EEDaSZ_S10_SG_SL_EUlSZ_E_NS1_11comp_targetILNS1_3genE10ELNS1_11target_archE1201ELNS1_3gpuE5ELNS1_3repE0EEENS1_47radix_sort_onesweep_sort_config_static_selectorELNS0_4arch9wavefront6targetE0EEEvSG_.numbered_sgpr, 0
	.set _ZN7rocprim17ROCPRIM_400000_NS6detail17trampoline_kernelINS0_14default_configENS1_35radix_sort_onesweep_config_selectorIiNS0_10empty_typeEEEZZNS1_29radix_sort_onesweep_iterationIS3_Lb0EPKiPiPS5_SB_mNS0_19identity_decomposerENS1_16block_id_wrapperIjLb1EEEEE10hipError_tT1_PNSt15iterator_traitsISG_E10value_typeET2_T3_PNSH_ISM_E10value_typeET4_T5_PSR_SS_PNS1_23onesweep_lookback_stateEbbT6_jjT7_P12ihipStream_tbENKUlT_T0_SG_SL_E_clIS9_SA_SB_SB_EEDaSZ_S10_SG_SL_EUlSZ_E_NS1_11comp_targetILNS1_3genE10ELNS1_11target_archE1201ELNS1_3gpuE5ELNS1_3repE0EEENS1_47radix_sort_onesweep_sort_config_static_selectorELNS0_4arch9wavefront6targetE0EEEvSG_.num_named_barrier, 0
	.set _ZN7rocprim17ROCPRIM_400000_NS6detail17trampoline_kernelINS0_14default_configENS1_35radix_sort_onesweep_config_selectorIiNS0_10empty_typeEEEZZNS1_29radix_sort_onesweep_iterationIS3_Lb0EPKiPiPS5_SB_mNS0_19identity_decomposerENS1_16block_id_wrapperIjLb1EEEEE10hipError_tT1_PNSt15iterator_traitsISG_E10value_typeET2_T3_PNSH_ISM_E10value_typeET4_T5_PSR_SS_PNS1_23onesweep_lookback_stateEbbT6_jjT7_P12ihipStream_tbENKUlT_T0_SG_SL_E_clIS9_SA_SB_SB_EEDaSZ_S10_SG_SL_EUlSZ_E_NS1_11comp_targetILNS1_3genE10ELNS1_11target_archE1201ELNS1_3gpuE5ELNS1_3repE0EEENS1_47radix_sort_onesweep_sort_config_static_selectorELNS0_4arch9wavefront6targetE0EEEvSG_.private_seg_size, 0
	.set _ZN7rocprim17ROCPRIM_400000_NS6detail17trampoline_kernelINS0_14default_configENS1_35radix_sort_onesweep_config_selectorIiNS0_10empty_typeEEEZZNS1_29radix_sort_onesweep_iterationIS3_Lb0EPKiPiPS5_SB_mNS0_19identity_decomposerENS1_16block_id_wrapperIjLb1EEEEE10hipError_tT1_PNSt15iterator_traitsISG_E10value_typeET2_T3_PNSH_ISM_E10value_typeET4_T5_PSR_SS_PNS1_23onesweep_lookback_stateEbbT6_jjT7_P12ihipStream_tbENKUlT_T0_SG_SL_E_clIS9_SA_SB_SB_EEDaSZ_S10_SG_SL_EUlSZ_E_NS1_11comp_targetILNS1_3genE10ELNS1_11target_archE1201ELNS1_3gpuE5ELNS1_3repE0EEENS1_47radix_sort_onesweep_sort_config_static_selectorELNS0_4arch9wavefront6targetE0EEEvSG_.uses_vcc, 0
	.set _ZN7rocprim17ROCPRIM_400000_NS6detail17trampoline_kernelINS0_14default_configENS1_35radix_sort_onesweep_config_selectorIiNS0_10empty_typeEEEZZNS1_29radix_sort_onesweep_iterationIS3_Lb0EPKiPiPS5_SB_mNS0_19identity_decomposerENS1_16block_id_wrapperIjLb1EEEEE10hipError_tT1_PNSt15iterator_traitsISG_E10value_typeET2_T3_PNSH_ISM_E10value_typeET4_T5_PSR_SS_PNS1_23onesweep_lookback_stateEbbT6_jjT7_P12ihipStream_tbENKUlT_T0_SG_SL_E_clIS9_SA_SB_SB_EEDaSZ_S10_SG_SL_EUlSZ_E_NS1_11comp_targetILNS1_3genE10ELNS1_11target_archE1201ELNS1_3gpuE5ELNS1_3repE0EEENS1_47radix_sort_onesweep_sort_config_static_selectorELNS0_4arch9wavefront6targetE0EEEvSG_.uses_flat_scratch, 0
	.set _ZN7rocprim17ROCPRIM_400000_NS6detail17trampoline_kernelINS0_14default_configENS1_35radix_sort_onesweep_config_selectorIiNS0_10empty_typeEEEZZNS1_29radix_sort_onesweep_iterationIS3_Lb0EPKiPiPS5_SB_mNS0_19identity_decomposerENS1_16block_id_wrapperIjLb1EEEEE10hipError_tT1_PNSt15iterator_traitsISG_E10value_typeET2_T3_PNSH_ISM_E10value_typeET4_T5_PSR_SS_PNS1_23onesweep_lookback_stateEbbT6_jjT7_P12ihipStream_tbENKUlT_T0_SG_SL_E_clIS9_SA_SB_SB_EEDaSZ_S10_SG_SL_EUlSZ_E_NS1_11comp_targetILNS1_3genE10ELNS1_11target_archE1201ELNS1_3gpuE5ELNS1_3repE0EEENS1_47radix_sort_onesweep_sort_config_static_selectorELNS0_4arch9wavefront6targetE0EEEvSG_.has_dyn_sized_stack, 0
	.set _ZN7rocprim17ROCPRIM_400000_NS6detail17trampoline_kernelINS0_14default_configENS1_35radix_sort_onesweep_config_selectorIiNS0_10empty_typeEEEZZNS1_29radix_sort_onesweep_iterationIS3_Lb0EPKiPiPS5_SB_mNS0_19identity_decomposerENS1_16block_id_wrapperIjLb1EEEEE10hipError_tT1_PNSt15iterator_traitsISG_E10value_typeET2_T3_PNSH_ISM_E10value_typeET4_T5_PSR_SS_PNS1_23onesweep_lookback_stateEbbT6_jjT7_P12ihipStream_tbENKUlT_T0_SG_SL_E_clIS9_SA_SB_SB_EEDaSZ_S10_SG_SL_EUlSZ_E_NS1_11comp_targetILNS1_3genE10ELNS1_11target_archE1201ELNS1_3gpuE5ELNS1_3repE0EEENS1_47radix_sort_onesweep_sort_config_static_selectorELNS0_4arch9wavefront6targetE0EEEvSG_.has_recursion, 0
	.set _ZN7rocprim17ROCPRIM_400000_NS6detail17trampoline_kernelINS0_14default_configENS1_35radix_sort_onesweep_config_selectorIiNS0_10empty_typeEEEZZNS1_29radix_sort_onesweep_iterationIS3_Lb0EPKiPiPS5_SB_mNS0_19identity_decomposerENS1_16block_id_wrapperIjLb1EEEEE10hipError_tT1_PNSt15iterator_traitsISG_E10value_typeET2_T3_PNSH_ISM_E10value_typeET4_T5_PSR_SS_PNS1_23onesweep_lookback_stateEbbT6_jjT7_P12ihipStream_tbENKUlT_T0_SG_SL_E_clIS9_SA_SB_SB_EEDaSZ_S10_SG_SL_EUlSZ_E_NS1_11comp_targetILNS1_3genE10ELNS1_11target_archE1201ELNS1_3gpuE5ELNS1_3repE0EEENS1_47radix_sort_onesweep_sort_config_static_selectorELNS0_4arch9wavefront6targetE0EEEvSG_.has_indirect_call, 0
	.section	.AMDGPU.csdata,"",@progbits
; Kernel info:
; codeLenInByte = 0
; TotalNumSgprs: 0
; NumVgprs: 0
; ScratchSize: 0
; MemoryBound: 0
; FloatMode: 240
; IeeeMode: 1
; LDSByteSize: 0 bytes/workgroup (compile time only)
; SGPRBlocks: 0
; VGPRBlocks: 0
; NumSGPRsForWavesPerEU: 1
; NumVGPRsForWavesPerEU: 1
; NamedBarCnt: 0
; Occupancy: 16
; WaveLimiterHint : 0
; COMPUTE_PGM_RSRC2:SCRATCH_EN: 0
; COMPUTE_PGM_RSRC2:USER_SGPR: 2
; COMPUTE_PGM_RSRC2:TRAP_HANDLER: 0
; COMPUTE_PGM_RSRC2:TGID_X_EN: 1
; COMPUTE_PGM_RSRC2:TGID_Y_EN: 0
; COMPUTE_PGM_RSRC2:TGID_Z_EN: 0
; COMPUTE_PGM_RSRC2:TIDIG_COMP_CNT: 0
	.section	.text._ZN7rocprim17ROCPRIM_400000_NS6detail17trampoline_kernelINS0_14default_configENS1_35radix_sort_onesweep_config_selectorIiNS0_10empty_typeEEEZZNS1_29radix_sort_onesweep_iterationIS3_Lb0EPKiPiPS5_SB_mNS0_19identity_decomposerENS1_16block_id_wrapperIjLb1EEEEE10hipError_tT1_PNSt15iterator_traitsISG_E10value_typeET2_T3_PNSH_ISM_E10value_typeET4_T5_PSR_SS_PNS1_23onesweep_lookback_stateEbbT6_jjT7_P12ihipStream_tbENKUlT_T0_SG_SL_E_clIS9_SA_SB_SB_EEDaSZ_S10_SG_SL_EUlSZ_E_NS1_11comp_targetILNS1_3genE9ELNS1_11target_archE1100ELNS1_3gpuE3ELNS1_3repE0EEENS1_47radix_sort_onesweep_sort_config_static_selectorELNS0_4arch9wavefront6targetE0EEEvSG_,"axG",@progbits,_ZN7rocprim17ROCPRIM_400000_NS6detail17trampoline_kernelINS0_14default_configENS1_35radix_sort_onesweep_config_selectorIiNS0_10empty_typeEEEZZNS1_29radix_sort_onesweep_iterationIS3_Lb0EPKiPiPS5_SB_mNS0_19identity_decomposerENS1_16block_id_wrapperIjLb1EEEEE10hipError_tT1_PNSt15iterator_traitsISG_E10value_typeET2_T3_PNSH_ISM_E10value_typeET4_T5_PSR_SS_PNS1_23onesweep_lookback_stateEbbT6_jjT7_P12ihipStream_tbENKUlT_T0_SG_SL_E_clIS9_SA_SB_SB_EEDaSZ_S10_SG_SL_EUlSZ_E_NS1_11comp_targetILNS1_3genE9ELNS1_11target_archE1100ELNS1_3gpuE3ELNS1_3repE0EEENS1_47radix_sort_onesweep_sort_config_static_selectorELNS0_4arch9wavefront6targetE0EEEvSG_,comdat
	.protected	_ZN7rocprim17ROCPRIM_400000_NS6detail17trampoline_kernelINS0_14default_configENS1_35radix_sort_onesweep_config_selectorIiNS0_10empty_typeEEEZZNS1_29radix_sort_onesweep_iterationIS3_Lb0EPKiPiPS5_SB_mNS0_19identity_decomposerENS1_16block_id_wrapperIjLb1EEEEE10hipError_tT1_PNSt15iterator_traitsISG_E10value_typeET2_T3_PNSH_ISM_E10value_typeET4_T5_PSR_SS_PNS1_23onesweep_lookback_stateEbbT6_jjT7_P12ihipStream_tbENKUlT_T0_SG_SL_E_clIS9_SA_SB_SB_EEDaSZ_S10_SG_SL_EUlSZ_E_NS1_11comp_targetILNS1_3genE9ELNS1_11target_archE1100ELNS1_3gpuE3ELNS1_3repE0EEENS1_47radix_sort_onesweep_sort_config_static_selectorELNS0_4arch9wavefront6targetE0EEEvSG_ ; -- Begin function _ZN7rocprim17ROCPRIM_400000_NS6detail17trampoline_kernelINS0_14default_configENS1_35radix_sort_onesweep_config_selectorIiNS0_10empty_typeEEEZZNS1_29radix_sort_onesweep_iterationIS3_Lb0EPKiPiPS5_SB_mNS0_19identity_decomposerENS1_16block_id_wrapperIjLb1EEEEE10hipError_tT1_PNSt15iterator_traitsISG_E10value_typeET2_T3_PNSH_ISM_E10value_typeET4_T5_PSR_SS_PNS1_23onesweep_lookback_stateEbbT6_jjT7_P12ihipStream_tbENKUlT_T0_SG_SL_E_clIS9_SA_SB_SB_EEDaSZ_S10_SG_SL_EUlSZ_E_NS1_11comp_targetILNS1_3genE9ELNS1_11target_archE1100ELNS1_3gpuE3ELNS1_3repE0EEENS1_47radix_sort_onesweep_sort_config_static_selectorELNS0_4arch9wavefront6targetE0EEEvSG_
	.globl	_ZN7rocprim17ROCPRIM_400000_NS6detail17trampoline_kernelINS0_14default_configENS1_35radix_sort_onesweep_config_selectorIiNS0_10empty_typeEEEZZNS1_29radix_sort_onesweep_iterationIS3_Lb0EPKiPiPS5_SB_mNS0_19identity_decomposerENS1_16block_id_wrapperIjLb1EEEEE10hipError_tT1_PNSt15iterator_traitsISG_E10value_typeET2_T3_PNSH_ISM_E10value_typeET4_T5_PSR_SS_PNS1_23onesweep_lookback_stateEbbT6_jjT7_P12ihipStream_tbENKUlT_T0_SG_SL_E_clIS9_SA_SB_SB_EEDaSZ_S10_SG_SL_EUlSZ_E_NS1_11comp_targetILNS1_3genE9ELNS1_11target_archE1100ELNS1_3gpuE3ELNS1_3repE0EEENS1_47radix_sort_onesweep_sort_config_static_selectorELNS0_4arch9wavefront6targetE0EEEvSG_
	.p2align	8
	.type	_ZN7rocprim17ROCPRIM_400000_NS6detail17trampoline_kernelINS0_14default_configENS1_35radix_sort_onesweep_config_selectorIiNS0_10empty_typeEEEZZNS1_29radix_sort_onesweep_iterationIS3_Lb0EPKiPiPS5_SB_mNS0_19identity_decomposerENS1_16block_id_wrapperIjLb1EEEEE10hipError_tT1_PNSt15iterator_traitsISG_E10value_typeET2_T3_PNSH_ISM_E10value_typeET4_T5_PSR_SS_PNS1_23onesweep_lookback_stateEbbT6_jjT7_P12ihipStream_tbENKUlT_T0_SG_SL_E_clIS9_SA_SB_SB_EEDaSZ_S10_SG_SL_EUlSZ_E_NS1_11comp_targetILNS1_3genE9ELNS1_11target_archE1100ELNS1_3gpuE3ELNS1_3repE0EEENS1_47radix_sort_onesweep_sort_config_static_selectorELNS0_4arch9wavefront6targetE0EEEvSG_,@function
_ZN7rocprim17ROCPRIM_400000_NS6detail17trampoline_kernelINS0_14default_configENS1_35radix_sort_onesweep_config_selectorIiNS0_10empty_typeEEEZZNS1_29radix_sort_onesweep_iterationIS3_Lb0EPKiPiPS5_SB_mNS0_19identity_decomposerENS1_16block_id_wrapperIjLb1EEEEE10hipError_tT1_PNSt15iterator_traitsISG_E10value_typeET2_T3_PNSH_ISM_E10value_typeET4_T5_PSR_SS_PNS1_23onesweep_lookback_stateEbbT6_jjT7_P12ihipStream_tbENKUlT_T0_SG_SL_E_clIS9_SA_SB_SB_EEDaSZ_S10_SG_SL_EUlSZ_E_NS1_11comp_targetILNS1_3genE9ELNS1_11target_archE1100ELNS1_3gpuE3ELNS1_3repE0EEENS1_47radix_sort_onesweep_sort_config_static_selectorELNS0_4arch9wavefront6targetE0EEEvSG_: ; @_ZN7rocprim17ROCPRIM_400000_NS6detail17trampoline_kernelINS0_14default_configENS1_35radix_sort_onesweep_config_selectorIiNS0_10empty_typeEEEZZNS1_29radix_sort_onesweep_iterationIS3_Lb0EPKiPiPS5_SB_mNS0_19identity_decomposerENS1_16block_id_wrapperIjLb1EEEEE10hipError_tT1_PNSt15iterator_traitsISG_E10value_typeET2_T3_PNSH_ISM_E10value_typeET4_T5_PSR_SS_PNS1_23onesweep_lookback_stateEbbT6_jjT7_P12ihipStream_tbENKUlT_T0_SG_SL_E_clIS9_SA_SB_SB_EEDaSZ_S10_SG_SL_EUlSZ_E_NS1_11comp_targetILNS1_3genE9ELNS1_11target_archE1100ELNS1_3gpuE3ELNS1_3repE0EEENS1_47radix_sort_onesweep_sort_config_static_selectorELNS0_4arch9wavefront6targetE0EEEvSG_
; %bb.0:
	.section	.rodata,"a",@progbits
	.p2align	6, 0x0
	.amdhsa_kernel _ZN7rocprim17ROCPRIM_400000_NS6detail17trampoline_kernelINS0_14default_configENS1_35radix_sort_onesweep_config_selectorIiNS0_10empty_typeEEEZZNS1_29radix_sort_onesweep_iterationIS3_Lb0EPKiPiPS5_SB_mNS0_19identity_decomposerENS1_16block_id_wrapperIjLb1EEEEE10hipError_tT1_PNSt15iterator_traitsISG_E10value_typeET2_T3_PNSH_ISM_E10value_typeET4_T5_PSR_SS_PNS1_23onesweep_lookback_stateEbbT6_jjT7_P12ihipStream_tbENKUlT_T0_SG_SL_E_clIS9_SA_SB_SB_EEDaSZ_S10_SG_SL_EUlSZ_E_NS1_11comp_targetILNS1_3genE9ELNS1_11target_archE1100ELNS1_3gpuE3ELNS1_3repE0EEENS1_47radix_sort_onesweep_sort_config_static_selectorELNS0_4arch9wavefront6targetE0EEEvSG_
		.amdhsa_group_segment_fixed_size 0
		.amdhsa_private_segment_fixed_size 0
		.amdhsa_kernarg_size 88
		.amdhsa_user_sgpr_count 2
		.amdhsa_user_sgpr_dispatch_ptr 0
		.amdhsa_user_sgpr_queue_ptr 0
		.amdhsa_user_sgpr_kernarg_segment_ptr 1
		.amdhsa_user_sgpr_dispatch_id 0
		.amdhsa_user_sgpr_kernarg_preload_length 0
		.amdhsa_user_sgpr_kernarg_preload_offset 0
		.amdhsa_user_sgpr_private_segment_size 0
		.amdhsa_wavefront_size32 1
		.amdhsa_uses_dynamic_stack 0
		.amdhsa_enable_private_segment 0
		.amdhsa_system_sgpr_workgroup_id_x 1
		.amdhsa_system_sgpr_workgroup_id_y 0
		.amdhsa_system_sgpr_workgroup_id_z 0
		.amdhsa_system_sgpr_workgroup_info 0
		.amdhsa_system_vgpr_workitem_id 0
		.amdhsa_next_free_vgpr 1
		.amdhsa_next_free_sgpr 1
		.amdhsa_named_barrier_count 0
		.amdhsa_reserve_vcc 0
		.amdhsa_float_round_mode_32 0
		.amdhsa_float_round_mode_16_64 0
		.amdhsa_float_denorm_mode_32 3
		.amdhsa_float_denorm_mode_16_64 3
		.amdhsa_fp16_overflow 0
		.amdhsa_memory_ordered 1
		.amdhsa_forward_progress 1
		.amdhsa_inst_pref_size 0
		.amdhsa_round_robin_scheduling 0
		.amdhsa_exception_fp_ieee_invalid_op 0
		.amdhsa_exception_fp_denorm_src 0
		.amdhsa_exception_fp_ieee_div_zero 0
		.amdhsa_exception_fp_ieee_overflow 0
		.amdhsa_exception_fp_ieee_underflow 0
		.amdhsa_exception_fp_ieee_inexact 0
		.amdhsa_exception_int_div_zero 0
	.end_amdhsa_kernel
	.section	.text._ZN7rocprim17ROCPRIM_400000_NS6detail17trampoline_kernelINS0_14default_configENS1_35radix_sort_onesweep_config_selectorIiNS0_10empty_typeEEEZZNS1_29radix_sort_onesweep_iterationIS3_Lb0EPKiPiPS5_SB_mNS0_19identity_decomposerENS1_16block_id_wrapperIjLb1EEEEE10hipError_tT1_PNSt15iterator_traitsISG_E10value_typeET2_T3_PNSH_ISM_E10value_typeET4_T5_PSR_SS_PNS1_23onesweep_lookback_stateEbbT6_jjT7_P12ihipStream_tbENKUlT_T0_SG_SL_E_clIS9_SA_SB_SB_EEDaSZ_S10_SG_SL_EUlSZ_E_NS1_11comp_targetILNS1_3genE9ELNS1_11target_archE1100ELNS1_3gpuE3ELNS1_3repE0EEENS1_47radix_sort_onesweep_sort_config_static_selectorELNS0_4arch9wavefront6targetE0EEEvSG_,"axG",@progbits,_ZN7rocprim17ROCPRIM_400000_NS6detail17trampoline_kernelINS0_14default_configENS1_35radix_sort_onesweep_config_selectorIiNS0_10empty_typeEEEZZNS1_29radix_sort_onesweep_iterationIS3_Lb0EPKiPiPS5_SB_mNS0_19identity_decomposerENS1_16block_id_wrapperIjLb1EEEEE10hipError_tT1_PNSt15iterator_traitsISG_E10value_typeET2_T3_PNSH_ISM_E10value_typeET4_T5_PSR_SS_PNS1_23onesweep_lookback_stateEbbT6_jjT7_P12ihipStream_tbENKUlT_T0_SG_SL_E_clIS9_SA_SB_SB_EEDaSZ_S10_SG_SL_EUlSZ_E_NS1_11comp_targetILNS1_3genE9ELNS1_11target_archE1100ELNS1_3gpuE3ELNS1_3repE0EEENS1_47radix_sort_onesweep_sort_config_static_selectorELNS0_4arch9wavefront6targetE0EEEvSG_,comdat
.Lfunc_end967:
	.size	_ZN7rocprim17ROCPRIM_400000_NS6detail17trampoline_kernelINS0_14default_configENS1_35radix_sort_onesweep_config_selectorIiNS0_10empty_typeEEEZZNS1_29radix_sort_onesweep_iterationIS3_Lb0EPKiPiPS5_SB_mNS0_19identity_decomposerENS1_16block_id_wrapperIjLb1EEEEE10hipError_tT1_PNSt15iterator_traitsISG_E10value_typeET2_T3_PNSH_ISM_E10value_typeET4_T5_PSR_SS_PNS1_23onesweep_lookback_stateEbbT6_jjT7_P12ihipStream_tbENKUlT_T0_SG_SL_E_clIS9_SA_SB_SB_EEDaSZ_S10_SG_SL_EUlSZ_E_NS1_11comp_targetILNS1_3genE9ELNS1_11target_archE1100ELNS1_3gpuE3ELNS1_3repE0EEENS1_47radix_sort_onesweep_sort_config_static_selectorELNS0_4arch9wavefront6targetE0EEEvSG_, .Lfunc_end967-_ZN7rocprim17ROCPRIM_400000_NS6detail17trampoline_kernelINS0_14default_configENS1_35radix_sort_onesweep_config_selectorIiNS0_10empty_typeEEEZZNS1_29radix_sort_onesweep_iterationIS3_Lb0EPKiPiPS5_SB_mNS0_19identity_decomposerENS1_16block_id_wrapperIjLb1EEEEE10hipError_tT1_PNSt15iterator_traitsISG_E10value_typeET2_T3_PNSH_ISM_E10value_typeET4_T5_PSR_SS_PNS1_23onesweep_lookback_stateEbbT6_jjT7_P12ihipStream_tbENKUlT_T0_SG_SL_E_clIS9_SA_SB_SB_EEDaSZ_S10_SG_SL_EUlSZ_E_NS1_11comp_targetILNS1_3genE9ELNS1_11target_archE1100ELNS1_3gpuE3ELNS1_3repE0EEENS1_47radix_sort_onesweep_sort_config_static_selectorELNS0_4arch9wavefront6targetE0EEEvSG_
                                        ; -- End function
	.set _ZN7rocprim17ROCPRIM_400000_NS6detail17trampoline_kernelINS0_14default_configENS1_35radix_sort_onesweep_config_selectorIiNS0_10empty_typeEEEZZNS1_29radix_sort_onesweep_iterationIS3_Lb0EPKiPiPS5_SB_mNS0_19identity_decomposerENS1_16block_id_wrapperIjLb1EEEEE10hipError_tT1_PNSt15iterator_traitsISG_E10value_typeET2_T3_PNSH_ISM_E10value_typeET4_T5_PSR_SS_PNS1_23onesweep_lookback_stateEbbT6_jjT7_P12ihipStream_tbENKUlT_T0_SG_SL_E_clIS9_SA_SB_SB_EEDaSZ_S10_SG_SL_EUlSZ_E_NS1_11comp_targetILNS1_3genE9ELNS1_11target_archE1100ELNS1_3gpuE3ELNS1_3repE0EEENS1_47radix_sort_onesweep_sort_config_static_selectorELNS0_4arch9wavefront6targetE0EEEvSG_.num_vgpr, 0
	.set _ZN7rocprim17ROCPRIM_400000_NS6detail17trampoline_kernelINS0_14default_configENS1_35radix_sort_onesweep_config_selectorIiNS0_10empty_typeEEEZZNS1_29radix_sort_onesweep_iterationIS3_Lb0EPKiPiPS5_SB_mNS0_19identity_decomposerENS1_16block_id_wrapperIjLb1EEEEE10hipError_tT1_PNSt15iterator_traitsISG_E10value_typeET2_T3_PNSH_ISM_E10value_typeET4_T5_PSR_SS_PNS1_23onesweep_lookback_stateEbbT6_jjT7_P12ihipStream_tbENKUlT_T0_SG_SL_E_clIS9_SA_SB_SB_EEDaSZ_S10_SG_SL_EUlSZ_E_NS1_11comp_targetILNS1_3genE9ELNS1_11target_archE1100ELNS1_3gpuE3ELNS1_3repE0EEENS1_47radix_sort_onesweep_sort_config_static_selectorELNS0_4arch9wavefront6targetE0EEEvSG_.num_agpr, 0
	.set _ZN7rocprim17ROCPRIM_400000_NS6detail17trampoline_kernelINS0_14default_configENS1_35radix_sort_onesweep_config_selectorIiNS0_10empty_typeEEEZZNS1_29radix_sort_onesweep_iterationIS3_Lb0EPKiPiPS5_SB_mNS0_19identity_decomposerENS1_16block_id_wrapperIjLb1EEEEE10hipError_tT1_PNSt15iterator_traitsISG_E10value_typeET2_T3_PNSH_ISM_E10value_typeET4_T5_PSR_SS_PNS1_23onesweep_lookback_stateEbbT6_jjT7_P12ihipStream_tbENKUlT_T0_SG_SL_E_clIS9_SA_SB_SB_EEDaSZ_S10_SG_SL_EUlSZ_E_NS1_11comp_targetILNS1_3genE9ELNS1_11target_archE1100ELNS1_3gpuE3ELNS1_3repE0EEENS1_47radix_sort_onesweep_sort_config_static_selectorELNS0_4arch9wavefront6targetE0EEEvSG_.numbered_sgpr, 0
	.set _ZN7rocprim17ROCPRIM_400000_NS6detail17trampoline_kernelINS0_14default_configENS1_35radix_sort_onesweep_config_selectorIiNS0_10empty_typeEEEZZNS1_29radix_sort_onesweep_iterationIS3_Lb0EPKiPiPS5_SB_mNS0_19identity_decomposerENS1_16block_id_wrapperIjLb1EEEEE10hipError_tT1_PNSt15iterator_traitsISG_E10value_typeET2_T3_PNSH_ISM_E10value_typeET4_T5_PSR_SS_PNS1_23onesweep_lookback_stateEbbT6_jjT7_P12ihipStream_tbENKUlT_T0_SG_SL_E_clIS9_SA_SB_SB_EEDaSZ_S10_SG_SL_EUlSZ_E_NS1_11comp_targetILNS1_3genE9ELNS1_11target_archE1100ELNS1_3gpuE3ELNS1_3repE0EEENS1_47radix_sort_onesweep_sort_config_static_selectorELNS0_4arch9wavefront6targetE0EEEvSG_.num_named_barrier, 0
	.set _ZN7rocprim17ROCPRIM_400000_NS6detail17trampoline_kernelINS0_14default_configENS1_35radix_sort_onesweep_config_selectorIiNS0_10empty_typeEEEZZNS1_29radix_sort_onesweep_iterationIS3_Lb0EPKiPiPS5_SB_mNS0_19identity_decomposerENS1_16block_id_wrapperIjLb1EEEEE10hipError_tT1_PNSt15iterator_traitsISG_E10value_typeET2_T3_PNSH_ISM_E10value_typeET4_T5_PSR_SS_PNS1_23onesweep_lookback_stateEbbT6_jjT7_P12ihipStream_tbENKUlT_T0_SG_SL_E_clIS9_SA_SB_SB_EEDaSZ_S10_SG_SL_EUlSZ_E_NS1_11comp_targetILNS1_3genE9ELNS1_11target_archE1100ELNS1_3gpuE3ELNS1_3repE0EEENS1_47radix_sort_onesweep_sort_config_static_selectorELNS0_4arch9wavefront6targetE0EEEvSG_.private_seg_size, 0
	.set _ZN7rocprim17ROCPRIM_400000_NS6detail17trampoline_kernelINS0_14default_configENS1_35radix_sort_onesweep_config_selectorIiNS0_10empty_typeEEEZZNS1_29radix_sort_onesweep_iterationIS3_Lb0EPKiPiPS5_SB_mNS0_19identity_decomposerENS1_16block_id_wrapperIjLb1EEEEE10hipError_tT1_PNSt15iterator_traitsISG_E10value_typeET2_T3_PNSH_ISM_E10value_typeET4_T5_PSR_SS_PNS1_23onesweep_lookback_stateEbbT6_jjT7_P12ihipStream_tbENKUlT_T0_SG_SL_E_clIS9_SA_SB_SB_EEDaSZ_S10_SG_SL_EUlSZ_E_NS1_11comp_targetILNS1_3genE9ELNS1_11target_archE1100ELNS1_3gpuE3ELNS1_3repE0EEENS1_47radix_sort_onesweep_sort_config_static_selectorELNS0_4arch9wavefront6targetE0EEEvSG_.uses_vcc, 0
	.set _ZN7rocprim17ROCPRIM_400000_NS6detail17trampoline_kernelINS0_14default_configENS1_35radix_sort_onesweep_config_selectorIiNS0_10empty_typeEEEZZNS1_29radix_sort_onesweep_iterationIS3_Lb0EPKiPiPS5_SB_mNS0_19identity_decomposerENS1_16block_id_wrapperIjLb1EEEEE10hipError_tT1_PNSt15iterator_traitsISG_E10value_typeET2_T3_PNSH_ISM_E10value_typeET4_T5_PSR_SS_PNS1_23onesweep_lookback_stateEbbT6_jjT7_P12ihipStream_tbENKUlT_T0_SG_SL_E_clIS9_SA_SB_SB_EEDaSZ_S10_SG_SL_EUlSZ_E_NS1_11comp_targetILNS1_3genE9ELNS1_11target_archE1100ELNS1_3gpuE3ELNS1_3repE0EEENS1_47radix_sort_onesweep_sort_config_static_selectorELNS0_4arch9wavefront6targetE0EEEvSG_.uses_flat_scratch, 0
	.set _ZN7rocprim17ROCPRIM_400000_NS6detail17trampoline_kernelINS0_14default_configENS1_35radix_sort_onesweep_config_selectorIiNS0_10empty_typeEEEZZNS1_29radix_sort_onesweep_iterationIS3_Lb0EPKiPiPS5_SB_mNS0_19identity_decomposerENS1_16block_id_wrapperIjLb1EEEEE10hipError_tT1_PNSt15iterator_traitsISG_E10value_typeET2_T3_PNSH_ISM_E10value_typeET4_T5_PSR_SS_PNS1_23onesweep_lookback_stateEbbT6_jjT7_P12ihipStream_tbENKUlT_T0_SG_SL_E_clIS9_SA_SB_SB_EEDaSZ_S10_SG_SL_EUlSZ_E_NS1_11comp_targetILNS1_3genE9ELNS1_11target_archE1100ELNS1_3gpuE3ELNS1_3repE0EEENS1_47radix_sort_onesweep_sort_config_static_selectorELNS0_4arch9wavefront6targetE0EEEvSG_.has_dyn_sized_stack, 0
	.set _ZN7rocprim17ROCPRIM_400000_NS6detail17trampoline_kernelINS0_14default_configENS1_35radix_sort_onesweep_config_selectorIiNS0_10empty_typeEEEZZNS1_29radix_sort_onesweep_iterationIS3_Lb0EPKiPiPS5_SB_mNS0_19identity_decomposerENS1_16block_id_wrapperIjLb1EEEEE10hipError_tT1_PNSt15iterator_traitsISG_E10value_typeET2_T3_PNSH_ISM_E10value_typeET4_T5_PSR_SS_PNS1_23onesweep_lookback_stateEbbT6_jjT7_P12ihipStream_tbENKUlT_T0_SG_SL_E_clIS9_SA_SB_SB_EEDaSZ_S10_SG_SL_EUlSZ_E_NS1_11comp_targetILNS1_3genE9ELNS1_11target_archE1100ELNS1_3gpuE3ELNS1_3repE0EEENS1_47radix_sort_onesweep_sort_config_static_selectorELNS0_4arch9wavefront6targetE0EEEvSG_.has_recursion, 0
	.set _ZN7rocprim17ROCPRIM_400000_NS6detail17trampoline_kernelINS0_14default_configENS1_35radix_sort_onesweep_config_selectorIiNS0_10empty_typeEEEZZNS1_29radix_sort_onesweep_iterationIS3_Lb0EPKiPiPS5_SB_mNS0_19identity_decomposerENS1_16block_id_wrapperIjLb1EEEEE10hipError_tT1_PNSt15iterator_traitsISG_E10value_typeET2_T3_PNSH_ISM_E10value_typeET4_T5_PSR_SS_PNS1_23onesweep_lookback_stateEbbT6_jjT7_P12ihipStream_tbENKUlT_T0_SG_SL_E_clIS9_SA_SB_SB_EEDaSZ_S10_SG_SL_EUlSZ_E_NS1_11comp_targetILNS1_3genE9ELNS1_11target_archE1100ELNS1_3gpuE3ELNS1_3repE0EEENS1_47radix_sort_onesweep_sort_config_static_selectorELNS0_4arch9wavefront6targetE0EEEvSG_.has_indirect_call, 0
	.section	.AMDGPU.csdata,"",@progbits
; Kernel info:
; codeLenInByte = 0
; TotalNumSgprs: 0
; NumVgprs: 0
; ScratchSize: 0
; MemoryBound: 0
; FloatMode: 240
; IeeeMode: 1
; LDSByteSize: 0 bytes/workgroup (compile time only)
; SGPRBlocks: 0
; VGPRBlocks: 0
; NumSGPRsForWavesPerEU: 1
; NumVGPRsForWavesPerEU: 1
; NamedBarCnt: 0
; Occupancy: 16
; WaveLimiterHint : 0
; COMPUTE_PGM_RSRC2:SCRATCH_EN: 0
; COMPUTE_PGM_RSRC2:USER_SGPR: 2
; COMPUTE_PGM_RSRC2:TRAP_HANDLER: 0
; COMPUTE_PGM_RSRC2:TGID_X_EN: 1
; COMPUTE_PGM_RSRC2:TGID_Y_EN: 0
; COMPUTE_PGM_RSRC2:TGID_Z_EN: 0
; COMPUTE_PGM_RSRC2:TIDIG_COMP_CNT: 0
	.section	.text._ZN7rocprim17ROCPRIM_400000_NS6detail17trampoline_kernelINS0_14default_configENS1_35radix_sort_onesweep_config_selectorIiNS0_10empty_typeEEEZZNS1_29radix_sort_onesweep_iterationIS3_Lb0EPKiPiPS5_SB_mNS0_19identity_decomposerENS1_16block_id_wrapperIjLb1EEEEE10hipError_tT1_PNSt15iterator_traitsISG_E10value_typeET2_T3_PNSH_ISM_E10value_typeET4_T5_PSR_SS_PNS1_23onesweep_lookback_stateEbbT6_jjT7_P12ihipStream_tbENKUlT_T0_SG_SL_E_clIS9_SA_SB_SB_EEDaSZ_S10_SG_SL_EUlSZ_E_NS1_11comp_targetILNS1_3genE8ELNS1_11target_archE1030ELNS1_3gpuE2ELNS1_3repE0EEENS1_47radix_sort_onesweep_sort_config_static_selectorELNS0_4arch9wavefront6targetE0EEEvSG_,"axG",@progbits,_ZN7rocprim17ROCPRIM_400000_NS6detail17trampoline_kernelINS0_14default_configENS1_35radix_sort_onesweep_config_selectorIiNS0_10empty_typeEEEZZNS1_29radix_sort_onesweep_iterationIS3_Lb0EPKiPiPS5_SB_mNS0_19identity_decomposerENS1_16block_id_wrapperIjLb1EEEEE10hipError_tT1_PNSt15iterator_traitsISG_E10value_typeET2_T3_PNSH_ISM_E10value_typeET4_T5_PSR_SS_PNS1_23onesweep_lookback_stateEbbT6_jjT7_P12ihipStream_tbENKUlT_T0_SG_SL_E_clIS9_SA_SB_SB_EEDaSZ_S10_SG_SL_EUlSZ_E_NS1_11comp_targetILNS1_3genE8ELNS1_11target_archE1030ELNS1_3gpuE2ELNS1_3repE0EEENS1_47radix_sort_onesweep_sort_config_static_selectorELNS0_4arch9wavefront6targetE0EEEvSG_,comdat
	.protected	_ZN7rocprim17ROCPRIM_400000_NS6detail17trampoline_kernelINS0_14default_configENS1_35radix_sort_onesweep_config_selectorIiNS0_10empty_typeEEEZZNS1_29radix_sort_onesweep_iterationIS3_Lb0EPKiPiPS5_SB_mNS0_19identity_decomposerENS1_16block_id_wrapperIjLb1EEEEE10hipError_tT1_PNSt15iterator_traitsISG_E10value_typeET2_T3_PNSH_ISM_E10value_typeET4_T5_PSR_SS_PNS1_23onesweep_lookback_stateEbbT6_jjT7_P12ihipStream_tbENKUlT_T0_SG_SL_E_clIS9_SA_SB_SB_EEDaSZ_S10_SG_SL_EUlSZ_E_NS1_11comp_targetILNS1_3genE8ELNS1_11target_archE1030ELNS1_3gpuE2ELNS1_3repE0EEENS1_47radix_sort_onesweep_sort_config_static_selectorELNS0_4arch9wavefront6targetE0EEEvSG_ ; -- Begin function _ZN7rocprim17ROCPRIM_400000_NS6detail17trampoline_kernelINS0_14default_configENS1_35radix_sort_onesweep_config_selectorIiNS0_10empty_typeEEEZZNS1_29radix_sort_onesweep_iterationIS3_Lb0EPKiPiPS5_SB_mNS0_19identity_decomposerENS1_16block_id_wrapperIjLb1EEEEE10hipError_tT1_PNSt15iterator_traitsISG_E10value_typeET2_T3_PNSH_ISM_E10value_typeET4_T5_PSR_SS_PNS1_23onesweep_lookback_stateEbbT6_jjT7_P12ihipStream_tbENKUlT_T0_SG_SL_E_clIS9_SA_SB_SB_EEDaSZ_S10_SG_SL_EUlSZ_E_NS1_11comp_targetILNS1_3genE8ELNS1_11target_archE1030ELNS1_3gpuE2ELNS1_3repE0EEENS1_47radix_sort_onesweep_sort_config_static_selectorELNS0_4arch9wavefront6targetE0EEEvSG_
	.globl	_ZN7rocprim17ROCPRIM_400000_NS6detail17trampoline_kernelINS0_14default_configENS1_35radix_sort_onesweep_config_selectorIiNS0_10empty_typeEEEZZNS1_29radix_sort_onesweep_iterationIS3_Lb0EPKiPiPS5_SB_mNS0_19identity_decomposerENS1_16block_id_wrapperIjLb1EEEEE10hipError_tT1_PNSt15iterator_traitsISG_E10value_typeET2_T3_PNSH_ISM_E10value_typeET4_T5_PSR_SS_PNS1_23onesweep_lookback_stateEbbT6_jjT7_P12ihipStream_tbENKUlT_T0_SG_SL_E_clIS9_SA_SB_SB_EEDaSZ_S10_SG_SL_EUlSZ_E_NS1_11comp_targetILNS1_3genE8ELNS1_11target_archE1030ELNS1_3gpuE2ELNS1_3repE0EEENS1_47radix_sort_onesweep_sort_config_static_selectorELNS0_4arch9wavefront6targetE0EEEvSG_
	.p2align	8
	.type	_ZN7rocprim17ROCPRIM_400000_NS6detail17trampoline_kernelINS0_14default_configENS1_35radix_sort_onesweep_config_selectorIiNS0_10empty_typeEEEZZNS1_29radix_sort_onesweep_iterationIS3_Lb0EPKiPiPS5_SB_mNS0_19identity_decomposerENS1_16block_id_wrapperIjLb1EEEEE10hipError_tT1_PNSt15iterator_traitsISG_E10value_typeET2_T3_PNSH_ISM_E10value_typeET4_T5_PSR_SS_PNS1_23onesweep_lookback_stateEbbT6_jjT7_P12ihipStream_tbENKUlT_T0_SG_SL_E_clIS9_SA_SB_SB_EEDaSZ_S10_SG_SL_EUlSZ_E_NS1_11comp_targetILNS1_3genE8ELNS1_11target_archE1030ELNS1_3gpuE2ELNS1_3repE0EEENS1_47radix_sort_onesweep_sort_config_static_selectorELNS0_4arch9wavefront6targetE0EEEvSG_,@function
_ZN7rocprim17ROCPRIM_400000_NS6detail17trampoline_kernelINS0_14default_configENS1_35radix_sort_onesweep_config_selectorIiNS0_10empty_typeEEEZZNS1_29radix_sort_onesweep_iterationIS3_Lb0EPKiPiPS5_SB_mNS0_19identity_decomposerENS1_16block_id_wrapperIjLb1EEEEE10hipError_tT1_PNSt15iterator_traitsISG_E10value_typeET2_T3_PNSH_ISM_E10value_typeET4_T5_PSR_SS_PNS1_23onesweep_lookback_stateEbbT6_jjT7_P12ihipStream_tbENKUlT_T0_SG_SL_E_clIS9_SA_SB_SB_EEDaSZ_S10_SG_SL_EUlSZ_E_NS1_11comp_targetILNS1_3genE8ELNS1_11target_archE1030ELNS1_3gpuE2ELNS1_3repE0EEENS1_47radix_sort_onesweep_sort_config_static_selectorELNS0_4arch9wavefront6targetE0EEEvSG_: ; @_ZN7rocprim17ROCPRIM_400000_NS6detail17trampoline_kernelINS0_14default_configENS1_35radix_sort_onesweep_config_selectorIiNS0_10empty_typeEEEZZNS1_29radix_sort_onesweep_iterationIS3_Lb0EPKiPiPS5_SB_mNS0_19identity_decomposerENS1_16block_id_wrapperIjLb1EEEEE10hipError_tT1_PNSt15iterator_traitsISG_E10value_typeET2_T3_PNSH_ISM_E10value_typeET4_T5_PSR_SS_PNS1_23onesweep_lookback_stateEbbT6_jjT7_P12ihipStream_tbENKUlT_T0_SG_SL_E_clIS9_SA_SB_SB_EEDaSZ_S10_SG_SL_EUlSZ_E_NS1_11comp_targetILNS1_3genE8ELNS1_11target_archE1030ELNS1_3gpuE2ELNS1_3repE0EEENS1_47radix_sort_onesweep_sort_config_static_selectorELNS0_4arch9wavefront6targetE0EEEvSG_
; %bb.0:
	.section	.rodata,"a",@progbits
	.p2align	6, 0x0
	.amdhsa_kernel _ZN7rocprim17ROCPRIM_400000_NS6detail17trampoline_kernelINS0_14default_configENS1_35radix_sort_onesweep_config_selectorIiNS0_10empty_typeEEEZZNS1_29radix_sort_onesweep_iterationIS3_Lb0EPKiPiPS5_SB_mNS0_19identity_decomposerENS1_16block_id_wrapperIjLb1EEEEE10hipError_tT1_PNSt15iterator_traitsISG_E10value_typeET2_T3_PNSH_ISM_E10value_typeET4_T5_PSR_SS_PNS1_23onesweep_lookback_stateEbbT6_jjT7_P12ihipStream_tbENKUlT_T0_SG_SL_E_clIS9_SA_SB_SB_EEDaSZ_S10_SG_SL_EUlSZ_E_NS1_11comp_targetILNS1_3genE8ELNS1_11target_archE1030ELNS1_3gpuE2ELNS1_3repE0EEENS1_47radix_sort_onesweep_sort_config_static_selectorELNS0_4arch9wavefront6targetE0EEEvSG_
		.amdhsa_group_segment_fixed_size 0
		.amdhsa_private_segment_fixed_size 0
		.amdhsa_kernarg_size 88
		.amdhsa_user_sgpr_count 2
		.amdhsa_user_sgpr_dispatch_ptr 0
		.amdhsa_user_sgpr_queue_ptr 0
		.amdhsa_user_sgpr_kernarg_segment_ptr 1
		.amdhsa_user_sgpr_dispatch_id 0
		.amdhsa_user_sgpr_kernarg_preload_length 0
		.amdhsa_user_sgpr_kernarg_preload_offset 0
		.amdhsa_user_sgpr_private_segment_size 0
		.amdhsa_wavefront_size32 1
		.amdhsa_uses_dynamic_stack 0
		.amdhsa_enable_private_segment 0
		.amdhsa_system_sgpr_workgroup_id_x 1
		.amdhsa_system_sgpr_workgroup_id_y 0
		.amdhsa_system_sgpr_workgroup_id_z 0
		.amdhsa_system_sgpr_workgroup_info 0
		.amdhsa_system_vgpr_workitem_id 0
		.amdhsa_next_free_vgpr 1
		.amdhsa_next_free_sgpr 1
		.amdhsa_named_barrier_count 0
		.amdhsa_reserve_vcc 0
		.amdhsa_float_round_mode_32 0
		.amdhsa_float_round_mode_16_64 0
		.amdhsa_float_denorm_mode_32 3
		.amdhsa_float_denorm_mode_16_64 3
		.amdhsa_fp16_overflow 0
		.amdhsa_memory_ordered 1
		.amdhsa_forward_progress 1
		.amdhsa_inst_pref_size 0
		.amdhsa_round_robin_scheduling 0
		.amdhsa_exception_fp_ieee_invalid_op 0
		.amdhsa_exception_fp_denorm_src 0
		.amdhsa_exception_fp_ieee_div_zero 0
		.amdhsa_exception_fp_ieee_overflow 0
		.amdhsa_exception_fp_ieee_underflow 0
		.amdhsa_exception_fp_ieee_inexact 0
		.amdhsa_exception_int_div_zero 0
	.end_amdhsa_kernel
	.section	.text._ZN7rocprim17ROCPRIM_400000_NS6detail17trampoline_kernelINS0_14default_configENS1_35radix_sort_onesweep_config_selectorIiNS0_10empty_typeEEEZZNS1_29radix_sort_onesweep_iterationIS3_Lb0EPKiPiPS5_SB_mNS0_19identity_decomposerENS1_16block_id_wrapperIjLb1EEEEE10hipError_tT1_PNSt15iterator_traitsISG_E10value_typeET2_T3_PNSH_ISM_E10value_typeET4_T5_PSR_SS_PNS1_23onesweep_lookback_stateEbbT6_jjT7_P12ihipStream_tbENKUlT_T0_SG_SL_E_clIS9_SA_SB_SB_EEDaSZ_S10_SG_SL_EUlSZ_E_NS1_11comp_targetILNS1_3genE8ELNS1_11target_archE1030ELNS1_3gpuE2ELNS1_3repE0EEENS1_47radix_sort_onesweep_sort_config_static_selectorELNS0_4arch9wavefront6targetE0EEEvSG_,"axG",@progbits,_ZN7rocprim17ROCPRIM_400000_NS6detail17trampoline_kernelINS0_14default_configENS1_35radix_sort_onesweep_config_selectorIiNS0_10empty_typeEEEZZNS1_29radix_sort_onesweep_iterationIS3_Lb0EPKiPiPS5_SB_mNS0_19identity_decomposerENS1_16block_id_wrapperIjLb1EEEEE10hipError_tT1_PNSt15iterator_traitsISG_E10value_typeET2_T3_PNSH_ISM_E10value_typeET4_T5_PSR_SS_PNS1_23onesweep_lookback_stateEbbT6_jjT7_P12ihipStream_tbENKUlT_T0_SG_SL_E_clIS9_SA_SB_SB_EEDaSZ_S10_SG_SL_EUlSZ_E_NS1_11comp_targetILNS1_3genE8ELNS1_11target_archE1030ELNS1_3gpuE2ELNS1_3repE0EEENS1_47radix_sort_onesweep_sort_config_static_selectorELNS0_4arch9wavefront6targetE0EEEvSG_,comdat
.Lfunc_end968:
	.size	_ZN7rocprim17ROCPRIM_400000_NS6detail17trampoline_kernelINS0_14default_configENS1_35radix_sort_onesweep_config_selectorIiNS0_10empty_typeEEEZZNS1_29radix_sort_onesweep_iterationIS3_Lb0EPKiPiPS5_SB_mNS0_19identity_decomposerENS1_16block_id_wrapperIjLb1EEEEE10hipError_tT1_PNSt15iterator_traitsISG_E10value_typeET2_T3_PNSH_ISM_E10value_typeET4_T5_PSR_SS_PNS1_23onesweep_lookback_stateEbbT6_jjT7_P12ihipStream_tbENKUlT_T0_SG_SL_E_clIS9_SA_SB_SB_EEDaSZ_S10_SG_SL_EUlSZ_E_NS1_11comp_targetILNS1_3genE8ELNS1_11target_archE1030ELNS1_3gpuE2ELNS1_3repE0EEENS1_47radix_sort_onesweep_sort_config_static_selectorELNS0_4arch9wavefront6targetE0EEEvSG_, .Lfunc_end968-_ZN7rocprim17ROCPRIM_400000_NS6detail17trampoline_kernelINS0_14default_configENS1_35radix_sort_onesweep_config_selectorIiNS0_10empty_typeEEEZZNS1_29radix_sort_onesweep_iterationIS3_Lb0EPKiPiPS5_SB_mNS0_19identity_decomposerENS1_16block_id_wrapperIjLb1EEEEE10hipError_tT1_PNSt15iterator_traitsISG_E10value_typeET2_T3_PNSH_ISM_E10value_typeET4_T5_PSR_SS_PNS1_23onesweep_lookback_stateEbbT6_jjT7_P12ihipStream_tbENKUlT_T0_SG_SL_E_clIS9_SA_SB_SB_EEDaSZ_S10_SG_SL_EUlSZ_E_NS1_11comp_targetILNS1_3genE8ELNS1_11target_archE1030ELNS1_3gpuE2ELNS1_3repE0EEENS1_47radix_sort_onesweep_sort_config_static_selectorELNS0_4arch9wavefront6targetE0EEEvSG_
                                        ; -- End function
	.set _ZN7rocprim17ROCPRIM_400000_NS6detail17trampoline_kernelINS0_14default_configENS1_35radix_sort_onesweep_config_selectorIiNS0_10empty_typeEEEZZNS1_29radix_sort_onesweep_iterationIS3_Lb0EPKiPiPS5_SB_mNS0_19identity_decomposerENS1_16block_id_wrapperIjLb1EEEEE10hipError_tT1_PNSt15iterator_traitsISG_E10value_typeET2_T3_PNSH_ISM_E10value_typeET4_T5_PSR_SS_PNS1_23onesweep_lookback_stateEbbT6_jjT7_P12ihipStream_tbENKUlT_T0_SG_SL_E_clIS9_SA_SB_SB_EEDaSZ_S10_SG_SL_EUlSZ_E_NS1_11comp_targetILNS1_3genE8ELNS1_11target_archE1030ELNS1_3gpuE2ELNS1_3repE0EEENS1_47radix_sort_onesweep_sort_config_static_selectorELNS0_4arch9wavefront6targetE0EEEvSG_.num_vgpr, 0
	.set _ZN7rocprim17ROCPRIM_400000_NS6detail17trampoline_kernelINS0_14default_configENS1_35radix_sort_onesweep_config_selectorIiNS0_10empty_typeEEEZZNS1_29radix_sort_onesweep_iterationIS3_Lb0EPKiPiPS5_SB_mNS0_19identity_decomposerENS1_16block_id_wrapperIjLb1EEEEE10hipError_tT1_PNSt15iterator_traitsISG_E10value_typeET2_T3_PNSH_ISM_E10value_typeET4_T5_PSR_SS_PNS1_23onesweep_lookback_stateEbbT6_jjT7_P12ihipStream_tbENKUlT_T0_SG_SL_E_clIS9_SA_SB_SB_EEDaSZ_S10_SG_SL_EUlSZ_E_NS1_11comp_targetILNS1_3genE8ELNS1_11target_archE1030ELNS1_3gpuE2ELNS1_3repE0EEENS1_47radix_sort_onesweep_sort_config_static_selectorELNS0_4arch9wavefront6targetE0EEEvSG_.num_agpr, 0
	.set _ZN7rocprim17ROCPRIM_400000_NS6detail17trampoline_kernelINS0_14default_configENS1_35radix_sort_onesweep_config_selectorIiNS0_10empty_typeEEEZZNS1_29radix_sort_onesweep_iterationIS3_Lb0EPKiPiPS5_SB_mNS0_19identity_decomposerENS1_16block_id_wrapperIjLb1EEEEE10hipError_tT1_PNSt15iterator_traitsISG_E10value_typeET2_T3_PNSH_ISM_E10value_typeET4_T5_PSR_SS_PNS1_23onesweep_lookback_stateEbbT6_jjT7_P12ihipStream_tbENKUlT_T0_SG_SL_E_clIS9_SA_SB_SB_EEDaSZ_S10_SG_SL_EUlSZ_E_NS1_11comp_targetILNS1_3genE8ELNS1_11target_archE1030ELNS1_3gpuE2ELNS1_3repE0EEENS1_47radix_sort_onesweep_sort_config_static_selectorELNS0_4arch9wavefront6targetE0EEEvSG_.numbered_sgpr, 0
	.set _ZN7rocprim17ROCPRIM_400000_NS6detail17trampoline_kernelINS0_14default_configENS1_35radix_sort_onesweep_config_selectorIiNS0_10empty_typeEEEZZNS1_29radix_sort_onesweep_iterationIS3_Lb0EPKiPiPS5_SB_mNS0_19identity_decomposerENS1_16block_id_wrapperIjLb1EEEEE10hipError_tT1_PNSt15iterator_traitsISG_E10value_typeET2_T3_PNSH_ISM_E10value_typeET4_T5_PSR_SS_PNS1_23onesweep_lookback_stateEbbT6_jjT7_P12ihipStream_tbENKUlT_T0_SG_SL_E_clIS9_SA_SB_SB_EEDaSZ_S10_SG_SL_EUlSZ_E_NS1_11comp_targetILNS1_3genE8ELNS1_11target_archE1030ELNS1_3gpuE2ELNS1_3repE0EEENS1_47radix_sort_onesweep_sort_config_static_selectorELNS0_4arch9wavefront6targetE0EEEvSG_.num_named_barrier, 0
	.set _ZN7rocprim17ROCPRIM_400000_NS6detail17trampoline_kernelINS0_14default_configENS1_35radix_sort_onesweep_config_selectorIiNS0_10empty_typeEEEZZNS1_29radix_sort_onesweep_iterationIS3_Lb0EPKiPiPS5_SB_mNS0_19identity_decomposerENS1_16block_id_wrapperIjLb1EEEEE10hipError_tT1_PNSt15iterator_traitsISG_E10value_typeET2_T3_PNSH_ISM_E10value_typeET4_T5_PSR_SS_PNS1_23onesweep_lookback_stateEbbT6_jjT7_P12ihipStream_tbENKUlT_T0_SG_SL_E_clIS9_SA_SB_SB_EEDaSZ_S10_SG_SL_EUlSZ_E_NS1_11comp_targetILNS1_3genE8ELNS1_11target_archE1030ELNS1_3gpuE2ELNS1_3repE0EEENS1_47radix_sort_onesweep_sort_config_static_selectorELNS0_4arch9wavefront6targetE0EEEvSG_.private_seg_size, 0
	.set _ZN7rocprim17ROCPRIM_400000_NS6detail17trampoline_kernelINS0_14default_configENS1_35radix_sort_onesweep_config_selectorIiNS0_10empty_typeEEEZZNS1_29radix_sort_onesweep_iterationIS3_Lb0EPKiPiPS5_SB_mNS0_19identity_decomposerENS1_16block_id_wrapperIjLb1EEEEE10hipError_tT1_PNSt15iterator_traitsISG_E10value_typeET2_T3_PNSH_ISM_E10value_typeET4_T5_PSR_SS_PNS1_23onesweep_lookback_stateEbbT6_jjT7_P12ihipStream_tbENKUlT_T0_SG_SL_E_clIS9_SA_SB_SB_EEDaSZ_S10_SG_SL_EUlSZ_E_NS1_11comp_targetILNS1_3genE8ELNS1_11target_archE1030ELNS1_3gpuE2ELNS1_3repE0EEENS1_47radix_sort_onesweep_sort_config_static_selectorELNS0_4arch9wavefront6targetE0EEEvSG_.uses_vcc, 0
	.set _ZN7rocprim17ROCPRIM_400000_NS6detail17trampoline_kernelINS0_14default_configENS1_35radix_sort_onesweep_config_selectorIiNS0_10empty_typeEEEZZNS1_29radix_sort_onesweep_iterationIS3_Lb0EPKiPiPS5_SB_mNS0_19identity_decomposerENS1_16block_id_wrapperIjLb1EEEEE10hipError_tT1_PNSt15iterator_traitsISG_E10value_typeET2_T3_PNSH_ISM_E10value_typeET4_T5_PSR_SS_PNS1_23onesweep_lookback_stateEbbT6_jjT7_P12ihipStream_tbENKUlT_T0_SG_SL_E_clIS9_SA_SB_SB_EEDaSZ_S10_SG_SL_EUlSZ_E_NS1_11comp_targetILNS1_3genE8ELNS1_11target_archE1030ELNS1_3gpuE2ELNS1_3repE0EEENS1_47radix_sort_onesweep_sort_config_static_selectorELNS0_4arch9wavefront6targetE0EEEvSG_.uses_flat_scratch, 0
	.set _ZN7rocprim17ROCPRIM_400000_NS6detail17trampoline_kernelINS0_14default_configENS1_35radix_sort_onesweep_config_selectorIiNS0_10empty_typeEEEZZNS1_29radix_sort_onesweep_iterationIS3_Lb0EPKiPiPS5_SB_mNS0_19identity_decomposerENS1_16block_id_wrapperIjLb1EEEEE10hipError_tT1_PNSt15iterator_traitsISG_E10value_typeET2_T3_PNSH_ISM_E10value_typeET4_T5_PSR_SS_PNS1_23onesweep_lookback_stateEbbT6_jjT7_P12ihipStream_tbENKUlT_T0_SG_SL_E_clIS9_SA_SB_SB_EEDaSZ_S10_SG_SL_EUlSZ_E_NS1_11comp_targetILNS1_3genE8ELNS1_11target_archE1030ELNS1_3gpuE2ELNS1_3repE0EEENS1_47radix_sort_onesweep_sort_config_static_selectorELNS0_4arch9wavefront6targetE0EEEvSG_.has_dyn_sized_stack, 0
	.set _ZN7rocprim17ROCPRIM_400000_NS6detail17trampoline_kernelINS0_14default_configENS1_35radix_sort_onesweep_config_selectorIiNS0_10empty_typeEEEZZNS1_29radix_sort_onesweep_iterationIS3_Lb0EPKiPiPS5_SB_mNS0_19identity_decomposerENS1_16block_id_wrapperIjLb1EEEEE10hipError_tT1_PNSt15iterator_traitsISG_E10value_typeET2_T3_PNSH_ISM_E10value_typeET4_T5_PSR_SS_PNS1_23onesweep_lookback_stateEbbT6_jjT7_P12ihipStream_tbENKUlT_T0_SG_SL_E_clIS9_SA_SB_SB_EEDaSZ_S10_SG_SL_EUlSZ_E_NS1_11comp_targetILNS1_3genE8ELNS1_11target_archE1030ELNS1_3gpuE2ELNS1_3repE0EEENS1_47radix_sort_onesweep_sort_config_static_selectorELNS0_4arch9wavefront6targetE0EEEvSG_.has_recursion, 0
	.set _ZN7rocprim17ROCPRIM_400000_NS6detail17trampoline_kernelINS0_14default_configENS1_35radix_sort_onesweep_config_selectorIiNS0_10empty_typeEEEZZNS1_29radix_sort_onesweep_iterationIS3_Lb0EPKiPiPS5_SB_mNS0_19identity_decomposerENS1_16block_id_wrapperIjLb1EEEEE10hipError_tT1_PNSt15iterator_traitsISG_E10value_typeET2_T3_PNSH_ISM_E10value_typeET4_T5_PSR_SS_PNS1_23onesweep_lookback_stateEbbT6_jjT7_P12ihipStream_tbENKUlT_T0_SG_SL_E_clIS9_SA_SB_SB_EEDaSZ_S10_SG_SL_EUlSZ_E_NS1_11comp_targetILNS1_3genE8ELNS1_11target_archE1030ELNS1_3gpuE2ELNS1_3repE0EEENS1_47radix_sort_onesweep_sort_config_static_selectorELNS0_4arch9wavefront6targetE0EEEvSG_.has_indirect_call, 0
	.section	.AMDGPU.csdata,"",@progbits
; Kernel info:
; codeLenInByte = 0
; TotalNumSgprs: 0
; NumVgprs: 0
; ScratchSize: 0
; MemoryBound: 0
; FloatMode: 240
; IeeeMode: 1
; LDSByteSize: 0 bytes/workgroup (compile time only)
; SGPRBlocks: 0
; VGPRBlocks: 0
; NumSGPRsForWavesPerEU: 1
; NumVGPRsForWavesPerEU: 1
; NamedBarCnt: 0
; Occupancy: 16
; WaveLimiterHint : 0
; COMPUTE_PGM_RSRC2:SCRATCH_EN: 0
; COMPUTE_PGM_RSRC2:USER_SGPR: 2
; COMPUTE_PGM_RSRC2:TRAP_HANDLER: 0
; COMPUTE_PGM_RSRC2:TGID_X_EN: 1
; COMPUTE_PGM_RSRC2:TGID_Y_EN: 0
; COMPUTE_PGM_RSRC2:TGID_Z_EN: 0
; COMPUTE_PGM_RSRC2:TIDIG_COMP_CNT: 0
	.section	.text._ZN7rocprim17ROCPRIM_400000_NS6detail17trampoline_kernelINS0_14default_configENS1_35radix_sort_onesweep_config_selectorIiNS0_10empty_typeEEEZZNS1_29radix_sort_onesweep_iterationIS3_Lb0EPKiPiPS5_SB_mNS0_19identity_decomposerENS1_16block_id_wrapperIjLb1EEEEE10hipError_tT1_PNSt15iterator_traitsISG_E10value_typeET2_T3_PNSH_ISM_E10value_typeET4_T5_PSR_SS_PNS1_23onesweep_lookback_stateEbbT6_jjT7_P12ihipStream_tbENKUlT_T0_SG_SL_E_clISA_SA_SB_SB_EEDaSZ_S10_SG_SL_EUlSZ_E_NS1_11comp_targetILNS1_3genE0ELNS1_11target_archE4294967295ELNS1_3gpuE0ELNS1_3repE0EEENS1_47radix_sort_onesweep_sort_config_static_selectorELNS0_4arch9wavefront6targetE0EEEvSG_,"axG",@progbits,_ZN7rocprim17ROCPRIM_400000_NS6detail17trampoline_kernelINS0_14default_configENS1_35radix_sort_onesweep_config_selectorIiNS0_10empty_typeEEEZZNS1_29radix_sort_onesweep_iterationIS3_Lb0EPKiPiPS5_SB_mNS0_19identity_decomposerENS1_16block_id_wrapperIjLb1EEEEE10hipError_tT1_PNSt15iterator_traitsISG_E10value_typeET2_T3_PNSH_ISM_E10value_typeET4_T5_PSR_SS_PNS1_23onesweep_lookback_stateEbbT6_jjT7_P12ihipStream_tbENKUlT_T0_SG_SL_E_clISA_SA_SB_SB_EEDaSZ_S10_SG_SL_EUlSZ_E_NS1_11comp_targetILNS1_3genE0ELNS1_11target_archE4294967295ELNS1_3gpuE0ELNS1_3repE0EEENS1_47radix_sort_onesweep_sort_config_static_selectorELNS0_4arch9wavefront6targetE0EEEvSG_,comdat
	.protected	_ZN7rocprim17ROCPRIM_400000_NS6detail17trampoline_kernelINS0_14default_configENS1_35radix_sort_onesweep_config_selectorIiNS0_10empty_typeEEEZZNS1_29radix_sort_onesweep_iterationIS3_Lb0EPKiPiPS5_SB_mNS0_19identity_decomposerENS1_16block_id_wrapperIjLb1EEEEE10hipError_tT1_PNSt15iterator_traitsISG_E10value_typeET2_T3_PNSH_ISM_E10value_typeET4_T5_PSR_SS_PNS1_23onesweep_lookback_stateEbbT6_jjT7_P12ihipStream_tbENKUlT_T0_SG_SL_E_clISA_SA_SB_SB_EEDaSZ_S10_SG_SL_EUlSZ_E_NS1_11comp_targetILNS1_3genE0ELNS1_11target_archE4294967295ELNS1_3gpuE0ELNS1_3repE0EEENS1_47radix_sort_onesweep_sort_config_static_selectorELNS0_4arch9wavefront6targetE0EEEvSG_ ; -- Begin function _ZN7rocprim17ROCPRIM_400000_NS6detail17trampoline_kernelINS0_14default_configENS1_35radix_sort_onesweep_config_selectorIiNS0_10empty_typeEEEZZNS1_29radix_sort_onesweep_iterationIS3_Lb0EPKiPiPS5_SB_mNS0_19identity_decomposerENS1_16block_id_wrapperIjLb1EEEEE10hipError_tT1_PNSt15iterator_traitsISG_E10value_typeET2_T3_PNSH_ISM_E10value_typeET4_T5_PSR_SS_PNS1_23onesweep_lookback_stateEbbT6_jjT7_P12ihipStream_tbENKUlT_T0_SG_SL_E_clISA_SA_SB_SB_EEDaSZ_S10_SG_SL_EUlSZ_E_NS1_11comp_targetILNS1_3genE0ELNS1_11target_archE4294967295ELNS1_3gpuE0ELNS1_3repE0EEENS1_47radix_sort_onesweep_sort_config_static_selectorELNS0_4arch9wavefront6targetE0EEEvSG_
	.globl	_ZN7rocprim17ROCPRIM_400000_NS6detail17trampoline_kernelINS0_14default_configENS1_35radix_sort_onesweep_config_selectorIiNS0_10empty_typeEEEZZNS1_29radix_sort_onesweep_iterationIS3_Lb0EPKiPiPS5_SB_mNS0_19identity_decomposerENS1_16block_id_wrapperIjLb1EEEEE10hipError_tT1_PNSt15iterator_traitsISG_E10value_typeET2_T3_PNSH_ISM_E10value_typeET4_T5_PSR_SS_PNS1_23onesweep_lookback_stateEbbT6_jjT7_P12ihipStream_tbENKUlT_T0_SG_SL_E_clISA_SA_SB_SB_EEDaSZ_S10_SG_SL_EUlSZ_E_NS1_11comp_targetILNS1_3genE0ELNS1_11target_archE4294967295ELNS1_3gpuE0ELNS1_3repE0EEENS1_47radix_sort_onesweep_sort_config_static_selectorELNS0_4arch9wavefront6targetE0EEEvSG_
	.p2align	8
	.type	_ZN7rocprim17ROCPRIM_400000_NS6detail17trampoline_kernelINS0_14default_configENS1_35radix_sort_onesweep_config_selectorIiNS0_10empty_typeEEEZZNS1_29radix_sort_onesweep_iterationIS3_Lb0EPKiPiPS5_SB_mNS0_19identity_decomposerENS1_16block_id_wrapperIjLb1EEEEE10hipError_tT1_PNSt15iterator_traitsISG_E10value_typeET2_T3_PNSH_ISM_E10value_typeET4_T5_PSR_SS_PNS1_23onesweep_lookback_stateEbbT6_jjT7_P12ihipStream_tbENKUlT_T0_SG_SL_E_clISA_SA_SB_SB_EEDaSZ_S10_SG_SL_EUlSZ_E_NS1_11comp_targetILNS1_3genE0ELNS1_11target_archE4294967295ELNS1_3gpuE0ELNS1_3repE0EEENS1_47radix_sort_onesweep_sort_config_static_selectorELNS0_4arch9wavefront6targetE0EEEvSG_,@function
_ZN7rocprim17ROCPRIM_400000_NS6detail17trampoline_kernelINS0_14default_configENS1_35radix_sort_onesweep_config_selectorIiNS0_10empty_typeEEEZZNS1_29radix_sort_onesweep_iterationIS3_Lb0EPKiPiPS5_SB_mNS0_19identity_decomposerENS1_16block_id_wrapperIjLb1EEEEE10hipError_tT1_PNSt15iterator_traitsISG_E10value_typeET2_T3_PNSH_ISM_E10value_typeET4_T5_PSR_SS_PNS1_23onesweep_lookback_stateEbbT6_jjT7_P12ihipStream_tbENKUlT_T0_SG_SL_E_clISA_SA_SB_SB_EEDaSZ_S10_SG_SL_EUlSZ_E_NS1_11comp_targetILNS1_3genE0ELNS1_11target_archE4294967295ELNS1_3gpuE0ELNS1_3repE0EEENS1_47radix_sort_onesweep_sort_config_static_selectorELNS0_4arch9wavefront6targetE0EEEvSG_: ; @_ZN7rocprim17ROCPRIM_400000_NS6detail17trampoline_kernelINS0_14default_configENS1_35radix_sort_onesweep_config_selectorIiNS0_10empty_typeEEEZZNS1_29radix_sort_onesweep_iterationIS3_Lb0EPKiPiPS5_SB_mNS0_19identity_decomposerENS1_16block_id_wrapperIjLb1EEEEE10hipError_tT1_PNSt15iterator_traitsISG_E10value_typeET2_T3_PNSH_ISM_E10value_typeET4_T5_PSR_SS_PNS1_23onesweep_lookback_stateEbbT6_jjT7_P12ihipStream_tbENKUlT_T0_SG_SL_E_clISA_SA_SB_SB_EEDaSZ_S10_SG_SL_EUlSZ_E_NS1_11comp_targetILNS1_3genE0ELNS1_11target_archE4294967295ELNS1_3gpuE0ELNS1_3repE0EEENS1_47radix_sort_onesweep_sort_config_static_selectorELNS0_4arch9wavefront6targetE0EEEvSG_
; %bb.0:
	s_clause 0x1
	s_load_b128 s[8:11], s[0:1], 0x28
	s_load_b64 s[20:21], s[0:1], 0x38
	v_and_b32_e32 v14, 0x3ff, v0
	s_delay_alu instid0(VALU_DEP_1)
	v_cmp_eq_u32_e64 s2, 0, v14
	s_and_saveexec_b32 s3, s2
	s_cbranch_execz .LBB969_4
; %bb.1:
	s_mov_b32 s5, exec_lo
	s_mov_b32 s4, exec_lo
	v_mbcnt_lo_u32_b32 v1, s5, 0
                                        ; implicit-def: $vgpr2
	s_delay_alu instid0(VALU_DEP_1)
	v_cmpx_eq_u32_e32 0, v1
	s_cbranch_execz .LBB969_3
; %bb.2:
	s_load_b64 s[6:7], s[0:1], 0x50
	s_bcnt1_i32_b32 s5, s5
	s_delay_alu instid0(SALU_CYCLE_1)
	v_dual_mov_b32 v2, 0 :: v_dual_mov_b32 v3, s5
	s_wait_xcnt 0x0
	s_wait_kmcnt 0x0
	global_atomic_add_u32 v2, v2, v3, s[6:7] th:TH_ATOMIC_RETURN scope:SCOPE_DEV
.LBB969_3:
	s_wait_xcnt 0x0
	s_or_b32 exec_lo, exec_lo, s4
	s_wait_loadcnt 0x0
	v_readfirstlane_b32 s4, v2
	s_delay_alu instid0(VALU_DEP_1)
	v_dual_mov_b32 v2, 0 :: v_dual_add_nc_u32 v1, s4, v1
	ds_store_b32 v2, v1 offset:18496
.LBB969_4:
	s_or_b32 exec_lo, exec_lo, s3
	v_mov_b32_e32 v3, 0
	s_clause 0x2
	s_load_b128 s[12:15], s[0:1], 0x0
	s_load_b32 s3, s[0:1], 0x20
	s_load_b96 s[16:18], s[0:1], 0x44
	s_wait_dscnt 0x0
	s_barrier_signal -1
	s_barrier_wait -1
	ds_load_b32 v1, v3 offset:18496
	v_mbcnt_lo_u32_b32 v15, -1, 0
	v_and_b32_e32 v16, 0x3e0, v14
	s_mov_b32 s4, -1
	s_add_nc_u64 s[24:25], s[0:1], 0x58
	s_getreg_b32 s7, hwreg(HW_REG_IB_STS2, 6, 4)
	s_wait_dscnt 0x0
	s_barrier_signal -1
	s_barrier_wait -1
	s_wait_kmcnt 0x0
	v_cmp_le_u32_e32 vcc_lo, s18, v1
	v_readfirstlane_b32 s19, v1
	s_mul_i32 s22, s19, 0x1800
	s_cbranch_vccz .LBB969_94
; %bb.5:
	s_mov_b32 s23, 0
	v_mul_u32_u24_e32 v1, 12, v16
	v_lshlrev_b32_e32 v2, 2, v15
	s_lshl_b64 s[4:5], s[22:23], 2
	v_mov_b32_e32 v17, -1
	s_add_nc_u64 s[4:5], s[12:13], s[4:5]
	v_or_b32_e32 v4, v15, v1
	v_add_nc_u64_e32 v[6:7], s[4:5], v[2:3]
	v_dual_mov_b32 v1, -1 :: v_dual_lshlrev_b32 v2, 2, v1
	s_mulk_i32 s18, 0xe800
	s_delay_alu instid0(SALU_CYCLE_1) | instskip(SKIP_1) | instid1(VALU_DEP_1)
	s_add_co_i32 s18, s18, s3
	s_mov_b32 s3, exec_lo
	v_add_nc_u64_e32 v[2:3], v[6:7], v[2:3]
	v_cmpx_gt_u32_e64 s18, v4
	s_cbranch_execz .LBB969_7
; %bb.6:
	global_load_b32 v5, v[2:3], off
	s_wait_loadcnt 0x0
	v_xor_b32_e32 v17, 0x80000000, v5
.LBB969_7:
	s_or_b32 exec_lo, exec_lo, s3
	v_or_b32_e32 v5, 32, v4
	s_mov_b32 s3, exec_lo
	s_delay_alu instid0(VALU_DEP_1)
	v_cmpx_gt_u32_e64 s18, v5
	s_cbranch_execz .LBB969_9
; %bb.8:
	global_load_b32 v1, v[2:3], off offset:128
	s_wait_loadcnt 0x0
	v_xor_b32_e32 v1, 0x80000000, v1
.LBB969_9:
	s_or_b32 exec_lo, exec_lo, s3
	v_dual_mov_b32 v18, -1 :: v_dual_bitop2_b32 v5, 64, v4 bitop3:0x54
	v_mov_b32_e32 v19, -1
	s_mov_b32 s3, exec_lo
	s_delay_alu instid0(VALU_DEP_2)
	v_cmpx_gt_u32_e64 s18, v5
	s_cbranch_execz .LBB969_11
; %bb.10:
	global_load_b32 v5, v[2:3], off offset:256
	s_wait_loadcnt 0x0
	v_xor_b32_e32 v19, 0x80000000, v5
.LBB969_11:
	s_or_b32 exec_lo, exec_lo, s3
	v_or_b32_e32 v5, 0x60, v4
	s_mov_b32 s3, exec_lo
	s_delay_alu instid0(VALU_DEP_1)
	v_cmpx_gt_u32_e64 s18, v5
	s_cbranch_execz .LBB969_13
; %bb.12:
	global_load_b32 v5, v[2:3], off offset:384
	s_wait_loadcnt 0x0
	v_xor_b32_e32 v18, 0x80000000, v5
.LBB969_13:
	s_or_b32 exec_lo, exec_lo, s3
	v_dual_mov_b32 v20, -1 :: v_dual_add_nc_u32 v5, 0x80, v4
	v_mov_b32_e32 v21, -1
	s_mov_b32 s3, exec_lo
	s_delay_alu instid0(VALU_DEP_2)
	v_cmpx_gt_u32_e64 s18, v5
	s_cbranch_execz .LBB969_15
; %bb.14:
	global_load_b32 v5, v[2:3], off offset:512
	s_wait_loadcnt 0x0
	v_xor_b32_e32 v21, 0x80000000, v5
.LBB969_15:
	s_or_b32 exec_lo, exec_lo, s3
	v_add_nc_u32_e32 v5, 0xa0, v4
	s_mov_b32 s3, exec_lo
	s_delay_alu instid0(VALU_DEP_1)
	v_cmpx_gt_u32_e64 s18, v5
	s_cbranch_execz .LBB969_17
; %bb.16:
	global_load_b32 v5, v[2:3], off offset:640
	s_wait_loadcnt 0x0
	v_xor_b32_e32 v20, 0x80000000, v5
.LBB969_17:
	s_or_b32 exec_lo, exec_lo, s3
	v_dual_mov_b32 v22, -1 :: v_dual_add_nc_u32 v5, 0xc0, v4
	v_mov_b32_e32 v23, -1
	s_mov_b32 s3, exec_lo
	s_delay_alu instid0(VALU_DEP_2)
	v_cmpx_gt_u32_e64 s18, v5
	s_cbranch_execz .LBB969_19
; %bb.18:
	global_load_b32 v5, v[2:3], off offset:768
	s_wait_loadcnt 0x0
	v_xor_b32_e32 v23, 0x80000000, v5
.LBB969_19:
	s_or_b32 exec_lo, exec_lo, s3
	v_add_nc_u32_e32 v5, 0xe0, v4
	;; [unrolled: 23-line block ×4, first 2 shown]
	s_mov_b32 s3, exec_lo
	s_delay_alu instid0(VALU_DEP_1)
	v_cmpx_gt_u32_e64 s18, v4
	s_cbranch_execz .LBB969_29
; %bb.28:
	global_load_b32 v2, v[2:3], off offset:1408
	s_wait_loadcnt 0x0
	v_xor_b32_e32 v26, 0x80000000, v2
.LBB969_29:
	s_or_b32 exec_lo, exec_lo, s3
	s_clause 0x1
	s_load_b32 s23, s[0:1], 0x58
	s_load_u16 s3, s[0:1], 0x66
	s_bfe_u32 s4, ttmp6, 0x4000c
	s_and_b32 s5, ttmp6, 15
	s_add_co_i32 s4, s4, 1
	v_bfe_u32 v2, v0, 10, 10
	s_mul_i32 s4, ttmp9, s4
	v_bfe_u32 v3, v0, 20, 10
	s_add_co_i32 s5, s5, s4
	s_cmp_eq_u32 s7, 0
	v_lshrrev_b32_e32 v4, s16, v17
	s_cselect_b32 s4, ttmp9, s5
	s_mov_b32 s5, 0
	s_wait_kmcnt 0x0
	s_cmp_lt_u32 s4, s23
	v_mad_u32_u24 v2, v3, s3, v2
	s_cselect_b32 s4, 12, 18
	s_lshl_b32 s26, -1, s17
	s_add_nc_u64 s[4:5], s[24:25], s[4:5]
	v_bitop3_b32 v3, v4, 1, s26 bitop3:0x40
	s_load_u16 s27, s[4:5], 0x0
	s_delay_alu instid0(VALU_DEP_1) | instskip(NEXT) | instid1(VALU_DEP_1)
	v_add_co_u32 v3, s3, v3, -1
	v_cndmask_b32_e64 v5, 0, 1, s3
	s_delay_alu instid0(VALU_DEP_1) | instskip(NEXT) | instid1(VALU_DEP_3)
	v_cmp_ne_u32_e32 vcc_lo, 0, v5
	v_xor_b32_e32 v3, vcc_lo, v3
	v_bitop3_b32 v4, v4, s26, v4 bitop3:0x30
	s_not_b32 s26, s26
	s_wait_kmcnt 0x0
	v_mad_u32 v2, v2, s27, v14
	s_delay_alu instid0(VALU_DEP_2) | instskip(SKIP_2) | instid1(VALU_DEP_3)
	v_dual_lshlrev_b32 v6, 30, v4 :: v_dual_lshlrev_b32 v7, 29, v4
	v_dual_lshlrev_b32 v8, 28, v4 :: v_dual_lshlrev_b32 v9, 27, v4
	;; [unrolled: 1-line block ×3, first 2 shown]
	v_not_b32_e32 v5, v6
	v_lshlrev_b32_e32 v12, 24, v4
	v_cmp_gt_i32_e64 s3, 0, v6
	v_cmp_gt_i32_e64 s4, 0, v7
	v_not_b32_e32 v6, v7
	v_not_b32_e32 v7, v8
	v_ashrrev_i32_e32 v5, 31, v5
	v_cmp_gt_i32_e64 s5, 0, v8
	v_cmp_gt_i32_e64 s6, 0, v9
	s_delay_alu instid0(VALU_DEP_4) | instskip(NEXT) | instid1(VALU_DEP_4)
	v_dual_ashrrev_i32 v6, 31, v6 :: v_dual_ashrrev_i32 v7, 31, v7
	v_xor_b32_e32 v5, s3, v5
	v_not_b32_e32 v8, v9
	v_not_b32_e32 v9, v10
	s_delay_alu instid0(VALU_DEP_4)
	v_xor_b32_e32 v6, s4, v6
	v_xor_b32_e32 v7, s5, v7
	v_bitop3_b32 v3, v3, v5, exec_lo bitop3:0x80
	v_cmp_gt_i32_e32 vcc_lo, 0, v10
	v_dual_ashrrev_i32 v5, 31, v8 :: v_dual_ashrrev_i32 v8, 31, v9
	v_not_b32_e32 v9, v11
	s_delay_alu instid0(VALU_DEP_4) | instskip(SKIP_1) | instid1(VALU_DEP_4)
	v_bitop3_b32 v3, v3, v7, v6 bitop3:0x80
	v_not_b32_e32 v6, v12
	v_dual_lshrrev_b32 v2, 5, v2 :: v_dual_bitop2_b32 v5, s6, v5 bitop3:0x14
	s_delay_alu instid0(VALU_DEP_4) | instskip(SKIP_3) | instid1(VALU_DEP_4)
	v_dual_ashrrev_i32 v8, 31, v9 :: v_dual_bitop2_b32 v7, vcc_lo, v8 bitop3:0x14
	v_cmp_gt_i32_e32 vcc_lo, 0, v11
	v_cmp_gt_i32_e64 s3, 0, v12
	v_ashrrev_i32_e32 v6, 31, v6
	v_bitop3_b32 v3, v3, v7, v5 bitop3:0x80
	v_dual_mov_b32 v7, 0 :: v_dual_bitop2_b32 v5, vcc_lo, v8 bitop3:0x14
	v_lshlrev_b32_e32 v2, 2, v2
	s_delay_alu instid0(VALU_DEP_4)
	v_xor_b32_e32 v6, s3, v6
	v_mul_u32_u24_e32 v10, 36, v14
	ds_store_2addr_b32 v10, v7, v7 offset0:16 offset1:17
	ds_store_2addr_b32 v10, v7, v7 offset0:18 offset1:19
	;; [unrolled: 1-line block ×4, first 2 shown]
	v_bitop3_b32 v3, v3, v6, v5 bitop3:0x80
	v_mad_u32 v11, 0x44, v4, v2
	ds_store_b32 v10, v7 offset:96
	s_wait_dscnt 0x0
	s_barrier_signal -1
	v_mbcnt_lo_u32_b32 v28, v3, 0
	v_cmp_ne_u32_e64 s3, 0, v3
	s_barrier_wait -1
	s_delay_alu instid0(VALU_DEP_2) | instskip(SKIP_1) | instid1(SALU_CYCLE_1)
	v_cmp_eq_u32_e32 vcc_lo, 0, v28
	; wave barrier
	s_and_b32 s4, s3, vcc_lo
	s_and_saveexec_b32 s3, s4
; %bb.30:
	v_bcnt_u32_b32 v3, v3, 0
	ds_store_b32 v11, v3 offset:64
; %bb.31:
	s_or_b32 exec_lo, exec_lo, s3
	v_lshrrev_b32_e32 v3, s16, v1
	; wave barrier
	s_delay_alu instid0(VALU_DEP_1) | instskip(NEXT) | instid1(VALU_DEP_1)
	v_and_b32_e32 v4, s26, v3
	v_lshlrev_b32_e32 v6, 30, v4
	v_bitop3_b32 v3, v3, 1, s26 bitop3:0x80
	s_delay_alu instid0(VALU_DEP_1) | instskip(NEXT) | instid1(VALU_DEP_1)
	v_add_co_u32 v3, s3, v3, -1
	v_cndmask_b32_e64 v5, 0, 1, s3
	s_delay_alu instid0(VALU_DEP_4) | instskip(NEXT) | instid1(VALU_DEP_2)
	v_cmp_gt_i32_e64 s3, 0, v6
	v_cmp_ne_u32_e32 vcc_lo, 0, v5
	v_not_b32_e32 v5, v6
	s_delay_alu instid0(VALU_DEP_1) | instskip(SKIP_3) | instid1(VALU_DEP_4)
	v_dual_ashrrev_i32 v5, 31, v5 :: v_dual_lshlrev_b32 v7, 29, v4
	v_dual_lshlrev_b32 v8, 28, v4 :: v_dual_lshlrev_b32 v9, 27, v4
	v_lshlrev_b32_e32 v13, 26, v4
	v_mad_u32 v12, 0x44, v4, v2
	v_cmp_gt_i32_e64 s4, 0, v7
	v_not_b32_e32 v6, v7
	v_not_b32_e32 v7, v8
	v_cmp_gt_i32_e64 s5, 0, v8
	v_xor_b32_e32 v3, vcc_lo, v3
	s_delay_alu instid0(VALU_DEP_4) | instskip(NEXT) | instid1(VALU_DEP_4)
	v_dual_ashrrev_i32 v6, 31, v6 :: v_dual_bitop2_b32 v5, s3, v5 bitop3:0x14
	v_dual_ashrrev_i32 v7, 31, v7 :: v_dual_lshlrev_b32 v29, 25, v4
	v_lshlrev_b32_e32 v4, 24, v4
	v_not_b32_e32 v8, v9
	v_not_b32_e32 v30, v13
	v_xor_b32_e32 v6, s4, v6
	v_xor_b32_e32 v7, s5, v7
	v_bitop3_b32 v3, v3, v5, exec_lo bitop3:0x80
	v_cmp_gt_i32_e32 vcc_lo, 0, v9
	v_ashrrev_i32_e32 v5, 31, v8
	v_cmp_gt_i32_e64 s3, 0, v13
	v_ashrrev_i32_e32 v8, 31, v30
	v_bitop3_b32 v3, v3, v7, v6 bitop3:0x80
	v_not_b32_e32 v6, v29
	v_not_b32_e32 v7, v4
	v_xor_b32_e32 v5, vcc_lo, v5
	v_xor_b32_e32 v8, s3, v8
	v_cmp_gt_i32_e32 vcc_lo, 0, v29
	v_ashrrev_i32_e32 v6, 31, v6
	v_cmp_gt_i32_e64 s3, 0, v4
	v_ashrrev_i32_e32 v4, 31, v7
	v_bitop3_b32 v3, v3, v8, v5 bitop3:0x80
	ds_load_b32 v29, v12 offset:64
	v_xor_b32_e32 v5, vcc_lo, v6
	v_xor_b32_e32 v4, s3, v4
	; wave barrier
	s_delay_alu instid0(VALU_DEP_1) | instskip(NEXT) | instid1(VALU_DEP_1)
	v_bitop3_b32 v3, v3, v4, v5 bitop3:0x80
	v_mbcnt_lo_u32_b32 v30, v3, 0
	v_cmp_ne_u32_e64 s3, 0, v3
	s_delay_alu instid0(VALU_DEP_2) | instskip(SKIP_1) | instid1(SALU_CYCLE_1)
	v_cmp_eq_u32_e32 vcc_lo, 0, v30
	s_and_b32 s4, s3, vcc_lo
	s_and_saveexec_b32 s3, s4
	s_cbranch_execz .LBB969_33
; %bb.32:
	s_wait_dscnt 0x0
	v_bcnt_u32_b32 v3, v3, v29
	ds_store_b32 v12, v3 offset:64
.LBB969_33:
	s_or_b32 exec_lo, exec_lo, s3
	v_lshrrev_b32_e32 v3, s16, v19
	; wave barrier
	s_delay_alu instid0(VALU_DEP_1) | instskip(NEXT) | instid1(VALU_DEP_1)
	v_and_b32_e32 v4, s26, v3
	v_lshlrev_b32_e32 v6, 30, v4
	v_bitop3_b32 v3, v3, 1, s26 bitop3:0x80
	s_delay_alu instid0(VALU_DEP_1) | instskip(NEXT) | instid1(VALU_DEP_1)
	v_add_co_u32 v3, s3, v3, -1
	v_cndmask_b32_e64 v5, 0, 1, s3
	s_delay_alu instid0(VALU_DEP_4) | instskip(NEXT) | instid1(VALU_DEP_2)
	v_cmp_gt_i32_e64 s3, 0, v6
	v_cmp_ne_u32_e32 vcc_lo, 0, v5
	v_not_b32_e32 v5, v6
	s_delay_alu instid0(VALU_DEP_1) | instskip(SKIP_3) | instid1(VALU_DEP_4)
	v_dual_ashrrev_i32 v5, 31, v5 :: v_dual_lshlrev_b32 v7, 29, v4
	v_dual_lshlrev_b32 v8, 28, v4 :: v_dual_lshlrev_b32 v9, 27, v4
	v_lshlrev_b32_e32 v31, 26, v4
	v_mad_u32 v13, 0x44, v4, v2
	v_cmp_gt_i32_e64 s4, 0, v7
	v_not_b32_e32 v6, v7
	v_not_b32_e32 v7, v8
	v_cmp_gt_i32_e64 s5, 0, v8
	v_xor_b32_e32 v3, vcc_lo, v3
	s_delay_alu instid0(VALU_DEP_4) | instskip(NEXT) | instid1(VALU_DEP_4)
	v_dual_ashrrev_i32 v6, 31, v6 :: v_dual_bitop2_b32 v5, s3, v5 bitop3:0x14
	v_dual_ashrrev_i32 v7, 31, v7 :: v_dual_lshlrev_b32 v32, 25, v4
	v_lshlrev_b32_e32 v4, 24, v4
	v_not_b32_e32 v8, v9
	v_not_b32_e32 v33, v31
	v_xor_b32_e32 v6, s4, v6
	v_xor_b32_e32 v7, s5, v7
	v_bitop3_b32 v3, v3, v5, exec_lo bitop3:0x80
	v_cmp_gt_i32_e32 vcc_lo, 0, v9
	v_ashrrev_i32_e32 v5, 31, v8
	v_cmp_gt_i32_e64 s3, 0, v31
	v_ashrrev_i32_e32 v8, 31, v33
	v_bitop3_b32 v3, v3, v7, v6 bitop3:0x80
	v_not_b32_e32 v6, v32
	v_not_b32_e32 v7, v4
	v_xor_b32_e32 v5, vcc_lo, v5
	v_xor_b32_e32 v8, s3, v8
	v_cmp_gt_i32_e32 vcc_lo, 0, v32
	v_ashrrev_i32_e32 v6, 31, v6
	v_cmp_gt_i32_e64 s3, 0, v4
	v_ashrrev_i32_e32 v4, 31, v7
	v_bitop3_b32 v3, v3, v8, v5 bitop3:0x80
	ds_load_b32 v31, v13 offset:64
	v_xor_b32_e32 v5, vcc_lo, v6
	v_xor_b32_e32 v4, s3, v4
	; wave barrier
	s_delay_alu instid0(VALU_DEP_1) | instskip(NEXT) | instid1(VALU_DEP_1)
	v_bitop3_b32 v3, v3, v4, v5 bitop3:0x80
	v_mbcnt_lo_u32_b32 v32, v3, 0
	v_cmp_ne_u32_e64 s3, 0, v3
	s_delay_alu instid0(VALU_DEP_2) | instskip(SKIP_1) | instid1(SALU_CYCLE_1)
	v_cmp_eq_u32_e32 vcc_lo, 0, v32
	s_and_b32 s4, s3, vcc_lo
	s_and_saveexec_b32 s3, s4
	s_cbranch_execz .LBB969_35
; %bb.34:
	s_wait_dscnt 0x0
	v_bcnt_u32_b32 v3, v3, v31
	ds_store_b32 v13, v3 offset:64
.LBB969_35:
	s_or_b32 exec_lo, exec_lo, s3
	v_lshrrev_b32_e32 v3, s16, v18
	; wave barrier
	s_delay_alu instid0(VALU_DEP_1) | instskip(NEXT) | instid1(VALU_DEP_1)
	v_and_b32_e32 v4, s26, v3
	v_lshlrev_b32_e32 v6, 30, v4
	v_bitop3_b32 v3, v3, 1, s26 bitop3:0x80
	s_delay_alu instid0(VALU_DEP_1) | instskip(NEXT) | instid1(VALU_DEP_1)
	v_add_co_u32 v3, s3, v3, -1
	v_cndmask_b32_e64 v5, 0, 1, s3
	s_delay_alu instid0(VALU_DEP_4) | instskip(NEXT) | instid1(VALU_DEP_2)
	v_cmp_gt_i32_e64 s3, 0, v6
	v_cmp_ne_u32_e32 vcc_lo, 0, v5
	v_not_b32_e32 v5, v6
	s_delay_alu instid0(VALU_DEP_1) | instskip(SKIP_3) | instid1(VALU_DEP_4)
	v_dual_ashrrev_i32 v5, 31, v5 :: v_dual_lshlrev_b32 v7, 29, v4
	v_dual_lshlrev_b32 v8, 28, v4 :: v_dual_lshlrev_b32 v9, 27, v4
	v_lshlrev_b32_e32 v33, 26, v4
	v_mad_u32 v37, 0x44, v4, v2
	v_cmp_gt_i32_e64 s4, 0, v7
	v_not_b32_e32 v6, v7
	v_not_b32_e32 v7, v8
	v_cmp_gt_i32_e64 s5, 0, v8
	v_xor_b32_e32 v3, vcc_lo, v3
	s_delay_alu instid0(VALU_DEP_4) | instskip(NEXT) | instid1(VALU_DEP_4)
	v_dual_ashrrev_i32 v6, 31, v6 :: v_dual_bitop2_b32 v5, s3, v5 bitop3:0x14
	v_dual_ashrrev_i32 v7, 31, v7 :: v_dual_lshlrev_b32 v34, 25, v4
	v_lshlrev_b32_e32 v4, 24, v4
	v_not_b32_e32 v8, v9
	v_not_b32_e32 v35, v33
	v_xor_b32_e32 v6, s4, v6
	v_xor_b32_e32 v7, s5, v7
	v_bitop3_b32 v3, v3, v5, exec_lo bitop3:0x80
	v_cmp_gt_i32_e32 vcc_lo, 0, v9
	v_ashrrev_i32_e32 v5, 31, v8
	v_cmp_gt_i32_e64 s3, 0, v33
	v_ashrrev_i32_e32 v8, 31, v35
	v_bitop3_b32 v3, v3, v7, v6 bitop3:0x80
	v_not_b32_e32 v6, v34
	v_not_b32_e32 v7, v4
	v_xor_b32_e32 v5, vcc_lo, v5
	v_xor_b32_e32 v8, s3, v8
	v_cmp_gt_i32_e32 vcc_lo, 0, v34
	v_ashrrev_i32_e32 v6, 31, v6
	v_cmp_gt_i32_e64 s3, 0, v4
	v_ashrrev_i32_e32 v4, 31, v7
	v_bitop3_b32 v3, v3, v8, v5 bitop3:0x80
	ds_load_b32 v33, v37 offset:64
	v_xor_b32_e32 v5, vcc_lo, v6
	v_xor_b32_e32 v4, s3, v4
	; wave barrier
	s_delay_alu instid0(VALU_DEP_1) | instskip(NEXT) | instid1(VALU_DEP_1)
	v_bitop3_b32 v3, v3, v4, v5 bitop3:0x80
	v_mbcnt_lo_u32_b32 v34, v3, 0
	v_cmp_ne_u32_e64 s3, 0, v3
	s_delay_alu instid0(VALU_DEP_2) | instskip(SKIP_1) | instid1(SALU_CYCLE_1)
	v_cmp_eq_u32_e32 vcc_lo, 0, v34
	s_and_b32 s4, s3, vcc_lo
	s_and_saveexec_b32 s3, s4
	s_cbranch_execz .LBB969_37
; %bb.36:
	s_wait_dscnt 0x0
	v_bcnt_u32_b32 v3, v3, v33
	ds_store_b32 v37, v3 offset:64
.LBB969_37:
	s_or_b32 exec_lo, exec_lo, s3
	v_lshrrev_b32_e32 v3, s16, v21
	; wave barrier
	s_delay_alu instid0(VALU_DEP_1) | instskip(NEXT) | instid1(VALU_DEP_1)
	v_and_b32_e32 v4, s26, v3
	v_lshlrev_b32_e32 v6, 30, v4
	v_bitop3_b32 v3, v3, 1, s26 bitop3:0x80
	s_delay_alu instid0(VALU_DEP_1) | instskip(NEXT) | instid1(VALU_DEP_1)
	v_add_co_u32 v3, s3, v3, -1
	v_cndmask_b32_e64 v5, 0, 1, s3
	s_delay_alu instid0(VALU_DEP_4) | instskip(NEXT) | instid1(VALU_DEP_2)
	v_cmp_gt_i32_e64 s3, 0, v6
	v_cmp_ne_u32_e32 vcc_lo, 0, v5
	v_not_b32_e32 v5, v6
	s_delay_alu instid0(VALU_DEP_1) | instskip(SKIP_3) | instid1(VALU_DEP_4)
	v_dual_ashrrev_i32 v5, 31, v5 :: v_dual_lshlrev_b32 v7, 29, v4
	v_dual_lshlrev_b32 v8, 28, v4 :: v_dual_lshlrev_b32 v9, 27, v4
	v_lshlrev_b32_e32 v35, 26, v4
	v_mad_u32 v40, 0x44, v4, v2
	v_cmp_gt_i32_e64 s4, 0, v7
	v_not_b32_e32 v6, v7
	v_not_b32_e32 v7, v8
	v_cmp_gt_i32_e64 s5, 0, v8
	v_xor_b32_e32 v3, vcc_lo, v3
	s_delay_alu instid0(VALU_DEP_4) | instskip(NEXT) | instid1(VALU_DEP_4)
	v_dual_ashrrev_i32 v6, 31, v6 :: v_dual_bitop2_b32 v5, s3, v5 bitop3:0x14
	v_dual_ashrrev_i32 v7, 31, v7 :: v_dual_lshlrev_b32 v36, 25, v4
	v_lshlrev_b32_e32 v4, 24, v4
	v_not_b32_e32 v8, v9
	v_not_b32_e32 v38, v35
	v_xor_b32_e32 v6, s4, v6
	v_xor_b32_e32 v7, s5, v7
	v_bitop3_b32 v3, v3, v5, exec_lo bitop3:0x80
	v_cmp_gt_i32_e32 vcc_lo, 0, v9
	v_ashrrev_i32_e32 v5, 31, v8
	v_cmp_gt_i32_e64 s3, 0, v35
	v_ashrrev_i32_e32 v8, 31, v38
	v_bitop3_b32 v3, v3, v7, v6 bitop3:0x80
	v_not_b32_e32 v6, v36
	v_not_b32_e32 v7, v4
	v_xor_b32_e32 v5, vcc_lo, v5
	v_xor_b32_e32 v8, s3, v8
	v_cmp_gt_i32_e32 vcc_lo, 0, v36
	v_ashrrev_i32_e32 v6, 31, v6
	v_cmp_gt_i32_e64 s3, 0, v4
	v_ashrrev_i32_e32 v4, 31, v7
	v_bitop3_b32 v3, v3, v8, v5 bitop3:0x80
	ds_load_b32 v35, v40 offset:64
	v_xor_b32_e32 v5, vcc_lo, v6
	v_xor_b32_e32 v4, s3, v4
	; wave barrier
	s_delay_alu instid0(VALU_DEP_1) | instskip(NEXT) | instid1(VALU_DEP_1)
	v_bitop3_b32 v3, v3, v4, v5 bitop3:0x80
	v_mbcnt_lo_u32_b32 v36, v3, 0
	v_cmp_ne_u32_e64 s3, 0, v3
	s_delay_alu instid0(VALU_DEP_2) | instskip(SKIP_1) | instid1(SALU_CYCLE_1)
	v_cmp_eq_u32_e32 vcc_lo, 0, v36
	s_and_b32 s4, s3, vcc_lo
	s_and_saveexec_b32 s3, s4
	s_cbranch_execz .LBB969_39
; %bb.38:
	s_wait_dscnt 0x0
	v_bcnt_u32_b32 v3, v3, v35
	ds_store_b32 v40, v3 offset:64
.LBB969_39:
	s_or_b32 exec_lo, exec_lo, s3
	v_lshrrev_b32_e32 v3, s16, v20
	; wave barrier
	s_delay_alu instid0(VALU_DEP_1) | instskip(SKIP_1) | instid1(VALU_DEP_2)
	v_and_b32_e32 v4, s26, v3
	v_bitop3_b32 v3, v3, 1, s26 bitop3:0x80
	v_dual_lshlrev_b32 v6, 30, v4 :: v_dual_lshlrev_b32 v7, 29, v4
	s_delay_alu instid0(VALU_DEP_2) | instskip(NEXT) | instid1(VALU_DEP_1)
	v_add_co_u32 v3, s3, v3, -1
	v_cndmask_b32_e64 v5, 0, 1, s3
	s_delay_alu instid0(VALU_DEP_3) | instskip(NEXT) | instid1(VALU_DEP_4)
	v_cmp_gt_i32_e64 s3, 0, v6
	v_cmp_gt_i32_e64 s4, 0, v7
	s_delay_alu instid0(VALU_DEP_3) | instskip(SKIP_2) | instid1(VALU_DEP_2)
	v_cmp_ne_u32_e32 vcc_lo, 0, v5
	v_not_b32_e32 v5, v6
	v_not_b32_e32 v6, v7
	v_dual_ashrrev_i32 v5, 31, v5 :: v_dual_bitop2_b32 v3, vcc_lo, v3 bitop3:0x14
	s_delay_alu instid0(VALU_DEP_2) | instskip(SKIP_3) | instid1(VALU_DEP_4)
	v_dual_ashrrev_i32 v6, 31, v6 :: v_dual_lshlrev_b32 v8, 28, v4
	v_lshlrev_b32_e32 v9, 27, v4
	v_mad_u32 v43, 0x44, v4, v2
	v_dual_lshlrev_b32 v38, 26, v4 :: v_dual_lshlrev_b32 v39, 25, v4
	v_not_b32_e32 v7, v8
	v_lshlrev_b32_e32 v4, 24, v4
	v_cmp_gt_i32_e64 s5, 0, v8
	v_xor_b32_e32 v5, s3, v5
	v_not_b32_e32 v8, v9
	v_ashrrev_i32_e32 v7, 31, v7
	v_not_b32_e32 v41, v38
	v_xor_b32_e32 v6, s4, v6
	v_bitop3_b32 v3, v3, v5, exec_lo bitop3:0x80
	v_cmp_gt_i32_e32 vcc_lo, 0, v9
	v_dual_ashrrev_i32 v5, 31, v8 :: v_dual_bitop2_b32 v7, s5, v7 bitop3:0x14
	v_cmp_gt_i32_e64 s3, 0, v38
	v_ashrrev_i32_e32 v8, 31, v41
	ds_load_b32 v38, v43 offset:64
	v_bitop3_b32 v3, v3, v7, v6 bitop3:0x80
	v_not_b32_e32 v6, v39
	v_not_b32_e32 v7, v4
	v_xor_b32_e32 v5, vcc_lo, v5
	v_xor_b32_e32 v8, s3, v8
	v_cmp_gt_i32_e32 vcc_lo, 0, v39
	v_ashrrev_i32_e32 v6, 31, v6
	v_cmp_gt_i32_e64 s3, 0, v4
	v_ashrrev_i32_e32 v4, 31, v7
	v_bitop3_b32 v3, v3, v8, v5 bitop3:0x80
	s_delay_alu instid0(VALU_DEP_4) | instskip(NEXT) | instid1(VALU_DEP_3)
	v_xor_b32_e32 v5, vcc_lo, v6
	; wave barrier
	v_xor_b32_e32 v4, s3, v4
	s_delay_alu instid0(VALU_DEP_1) | instskip(NEXT) | instid1(VALU_DEP_1)
	v_bitop3_b32 v3, v3, v4, v5 bitop3:0x80
	v_mbcnt_lo_u32_b32 v39, v3, 0
	v_cmp_ne_u32_e64 s3, 0, v3
	s_delay_alu instid0(VALU_DEP_2) | instskip(SKIP_1) | instid1(SALU_CYCLE_1)
	v_cmp_eq_u32_e32 vcc_lo, 0, v39
	s_and_b32 s4, s3, vcc_lo
	s_and_saveexec_b32 s3, s4
	s_cbranch_execz .LBB969_41
; %bb.40:
	s_wait_dscnt 0x0
	v_bcnt_u32_b32 v3, v3, v38
	ds_store_b32 v43, v3 offset:64
.LBB969_41:
	s_or_b32 exec_lo, exec_lo, s3
	v_lshrrev_b32_e32 v3, s16, v23
	; wave barrier
	s_delay_alu instid0(VALU_DEP_1) | instskip(NEXT) | instid1(VALU_DEP_1)
	v_and_b32_e32 v4, s26, v3
	v_lshlrev_b32_e32 v6, 30, v4
	v_bitop3_b32 v3, v3, 1, s26 bitop3:0x80
	s_delay_alu instid0(VALU_DEP_1) | instskip(NEXT) | instid1(VALU_DEP_1)
	v_add_co_u32 v3, s3, v3, -1
	v_cndmask_b32_e64 v5, 0, 1, s3
	s_delay_alu instid0(VALU_DEP_4) | instskip(NEXT) | instid1(VALU_DEP_2)
	v_cmp_gt_i32_e64 s3, 0, v6
	v_cmp_ne_u32_e32 vcc_lo, 0, v5
	v_not_b32_e32 v5, v6
	s_delay_alu instid0(VALU_DEP_1) | instskip(SKIP_3) | instid1(VALU_DEP_4)
	v_dual_ashrrev_i32 v5, 31, v5 :: v_dual_lshlrev_b32 v7, 29, v4
	v_dual_lshlrev_b32 v8, 28, v4 :: v_dual_lshlrev_b32 v9, 27, v4
	v_lshlrev_b32_e32 v41, 26, v4
	v_mad_u32 v46, 0x44, v4, v2
	v_cmp_gt_i32_e64 s4, 0, v7
	v_not_b32_e32 v6, v7
	v_not_b32_e32 v7, v8
	v_cmp_gt_i32_e64 s5, 0, v8
	v_xor_b32_e32 v3, vcc_lo, v3
	s_delay_alu instid0(VALU_DEP_4) | instskip(NEXT) | instid1(VALU_DEP_4)
	v_dual_ashrrev_i32 v6, 31, v6 :: v_dual_bitop2_b32 v5, s3, v5 bitop3:0x14
	v_dual_ashrrev_i32 v7, 31, v7 :: v_dual_lshlrev_b32 v42, 25, v4
	v_lshlrev_b32_e32 v4, 24, v4
	v_not_b32_e32 v8, v9
	v_not_b32_e32 v44, v41
	v_xor_b32_e32 v6, s4, v6
	v_xor_b32_e32 v7, s5, v7
	v_bitop3_b32 v3, v3, v5, exec_lo bitop3:0x80
	v_cmp_gt_i32_e32 vcc_lo, 0, v9
	v_ashrrev_i32_e32 v5, 31, v8
	v_cmp_gt_i32_e64 s3, 0, v41
	v_ashrrev_i32_e32 v8, 31, v44
	v_bitop3_b32 v3, v3, v7, v6 bitop3:0x80
	v_not_b32_e32 v6, v42
	v_not_b32_e32 v7, v4
	v_xor_b32_e32 v5, vcc_lo, v5
	v_xor_b32_e32 v8, s3, v8
	v_cmp_gt_i32_e32 vcc_lo, 0, v42
	v_ashrrev_i32_e32 v6, 31, v6
	v_cmp_gt_i32_e64 s3, 0, v4
	v_ashrrev_i32_e32 v4, 31, v7
	v_bitop3_b32 v3, v3, v8, v5 bitop3:0x80
	ds_load_b32 v41, v46 offset:64
	v_xor_b32_e32 v5, vcc_lo, v6
	v_xor_b32_e32 v4, s3, v4
	; wave barrier
	s_delay_alu instid0(VALU_DEP_1) | instskip(NEXT) | instid1(VALU_DEP_1)
	v_bitop3_b32 v3, v3, v4, v5 bitop3:0x80
	v_mbcnt_lo_u32_b32 v42, v3, 0
	v_cmp_ne_u32_e64 s3, 0, v3
	s_delay_alu instid0(VALU_DEP_2) | instskip(SKIP_1) | instid1(SALU_CYCLE_1)
	v_cmp_eq_u32_e32 vcc_lo, 0, v42
	s_and_b32 s4, s3, vcc_lo
	s_and_saveexec_b32 s3, s4
	s_cbranch_execz .LBB969_43
; %bb.42:
	s_wait_dscnt 0x0
	v_bcnt_u32_b32 v3, v3, v41
	ds_store_b32 v46, v3 offset:64
.LBB969_43:
	s_or_b32 exec_lo, exec_lo, s3
	v_lshrrev_b32_e32 v3, s16, v22
	; wave barrier
	s_delay_alu instid0(VALU_DEP_1) | instskip(NEXT) | instid1(VALU_DEP_1)
	v_and_b32_e32 v4, s26, v3
	v_lshlrev_b32_e32 v6, 30, v4
	v_bitop3_b32 v3, v3, 1, s26 bitop3:0x80
	s_delay_alu instid0(VALU_DEP_1) | instskip(NEXT) | instid1(VALU_DEP_1)
	v_add_co_u32 v3, s3, v3, -1
	v_cndmask_b32_e64 v5, 0, 1, s3
	s_delay_alu instid0(VALU_DEP_4) | instskip(NEXT) | instid1(VALU_DEP_2)
	v_cmp_gt_i32_e64 s3, 0, v6
	v_cmp_ne_u32_e32 vcc_lo, 0, v5
	v_not_b32_e32 v5, v6
	s_delay_alu instid0(VALU_DEP_1) | instskip(SKIP_3) | instid1(VALU_DEP_4)
	v_dual_ashrrev_i32 v5, 31, v5 :: v_dual_lshlrev_b32 v7, 29, v4
	v_dual_lshlrev_b32 v8, 28, v4 :: v_dual_lshlrev_b32 v9, 27, v4
	v_lshlrev_b32_e32 v44, 26, v4
	v_mad_u32 v49, 0x44, v4, v2
	v_cmp_gt_i32_e64 s4, 0, v7
	v_not_b32_e32 v6, v7
	v_not_b32_e32 v7, v8
	v_cmp_gt_i32_e64 s5, 0, v8
	v_xor_b32_e32 v3, vcc_lo, v3
	s_delay_alu instid0(VALU_DEP_4) | instskip(NEXT) | instid1(VALU_DEP_4)
	v_dual_ashrrev_i32 v6, 31, v6 :: v_dual_bitop2_b32 v5, s3, v5 bitop3:0x14
	v_dual_ashrrev_i32 v7, 31, v7 :: v_dual_lshlrev_b32 v45, 25, v4
	v_lshlrev_b32_e32 v4, 24, v4
	v_not_b32_e32 v8, v9
	v_not_b32_e32 v47, v44
	v_xor_b32_e32 v6, s4, v6
	v_xor_b32_e32 v7, s5, v7
	v_bitop3_b32 v3, v3, v5, exec_lo bitop3:0x80
	v_cmp_gt_i32_e32 vcc_lo, 0, v9
	v_ashrrev_i32_e32 v5, 31, v8
	v_cmp_gt_i32_e64 s3, 0, v44
	v_ashrrev_i32_e32 v8, 31, v47
	v_bitop3_b32 v3, v3, v7, v6 bitop3:0x80
	v_not_b32_e32 v6, v45
	v_not_b32_e32 v7, v4
	v_xor_b32_e32 v5, vcc_lo, v5
	v_xor_b32_e32 v8, s3, v8
	v_cmp_gt_i32_e32 vcc_lo, 0, v45
	v_ashrrev_i32_e32 v6, 31, v6
	v_cmp_gt_i32_e64 s3, 0, v4
	v_ashrrev_i32_e32 v4, 31, v7
	v_bitop3_b32 v3, v3, v8, v5 bitop3:0x80
	ds_load_b32 v44, v49 offset:64
	v_xor_b32_e32 v5, vcc_lo, v6
	v_xor_b32_e32 v4, s3, v4
	; wave barrier
	s_delay_alu instid0(VALU_DEP_1) | instskip(NEXT) | instid1(VALU_DEP_1)
	v_bitop3_b32 v3, v3, v4, v5 bitop3:0x80
	v_mbcnt_lo_u32_b32 v45, v3, 0
	v_cmp_ne_u32_e64 s3, 0, v3
	s_delay_alu instid0(VALU_DEP_2) | instskip(SKIP_1) | instid1(SALU_CYCLE_1)
	v_cmp_eq_u32_e32 vcc_lo, 0, v45
	s_and_b32 s4, s3, vcc_lo
	s_and_saveexec_b32 s3, s4
	s_cbranch_execz .LBB969_45
; %bb.44:
	s_wait_dscnt 0x0
	v_bcnt_u32_b32 v3, v3, v44
	ds_store_b32 v49, v3 offset:64
.LBB969_45:
	s_or_b32 exec_lo, exec_lo, s3
	v_lshrrev_b32_e32 v3, s16, v25
	; wave barrier
	s_delay_alu instid0(VALU_DEP_1) | instskip(NEXT) | instid1(VALU_DEP_1)
	v_and_b32_e32 v4, s26, v3
	v_lshlrev_b32_e32 v6, 30, v4
	v_bitop3_b32 v3, v3, 1, s26 bitop3:0x80
	s_delay_alu instid0(VALU_DEP_1) | instskip(NEXT) | instid1(VALU_DEP_1)
	v_add_co_u32 v3, s3, v3, -1
	v_cndmask_b32_e64 v5, 0, 1, s3
	s_delay_alu instid0(VALU_DEP_4) | instskip(NEXT) | instid1(VALU_DEP_2)
	v_cmp_gt_i32_e64 s3, 0, v6
	v_cmp_ne_u32_e32 vcc_lo, 0, v5
	v_not_b32_e32 v5, v6
	s_delay_alu instid0(VALU_DEP_1) | instskip(SKIP_3) | instid1(VALU_DEP_4)
	v_dual_ashrrev_i32 v5, 31, v5 :: v_dual_lshlrev_b32 v7, 29, v4
	v_dual_lshlrev_b32 v8, 28, v4 :: v_dual_lshlrev_b32 v9, 27, v4
	v_lshlrev_b32_e32 v47, 26, v4
	v_mad_u32 v52, 0x44, v4, v2
	v_cmp_gt_i32_e64 s4, 0, v7
	v_not_b32_e32 v6, v7
	v_not_b32_e32 v7, v8
	v_cmp_gt_i32_e64 s5, 0, v8
	v_xor_b32_e32 v3, vcc_lo, v3
	s_delay_alu instid0(VALU_DEP_4) | instskip(NEXT) | instid1(VALU_DEP_4)
	v_dual_ashrrev_i32 v6, 31, v6 :: v_dual_bitop2_b32 v5, s3, v5 bitop3:0x14
	v_dual_ashrrev_i32 v7, 31, v7 :: v_dual_lshlrev_b32 v48, 25, v4
	v_lshlrev_b32_e32 v4, 24, v4
	v_not_b32_e32 v8, v9
	v_not_b32_e32 v50, v47
	v_xor_b32_e32 v6, s4, v6
	v_xor_b32_e32 v7, s5, v7
	v_bitop3_b32 v3, v3, v5, exec_lo bitop3:0x80
	v_cmp_gt_i32_e32 vcc_lo, 0, v9
	v_ashrrev_i32_e32 v5, 31, v8
	v_cmp_gt_i32_e64 s3, 0, v47
	v_ashrrev_i32_e32 v8, 31, v50
	v_bitop3_b32 v3, v3, v7, v6 bitop3:0x80
	v_not_b32_e32 v6, v48
	v_not_b32_e32 v7, v4
	v_xor_b32_e32 v5, vcc_lo, v5
	v_xor_b32_e32 v8, s3, v8
	v_cmp_gt_i32_e32 vcc_lo, 0, v48
	v_ashrrev_i32_e32 v6, 31, v6
	v_cmp_gt_i32_e64 s3, 0, v4
	v_ashrrev_i32_e32 v4, 31, v7
	v_bitop3_b32 v3, v3, v8, v5 bitop3:0x80
	ds_load_b32 v47, v52 offset:64
	v_xor_b32_e32 v5, vcc_lo, v6
	v_xor_b32_e32 v4, s3, v4
	; wave barrier
	s_delay_alu instid0(VALU_DEP_1) | instskip(NEXT) | instid1(VALU_DEP_1)
	v_bitop3_b32 v3, v3, v4, v5 bitop3:0x80
	v_mbcnt_lo_u32_b32 v48, v3, 0
	v_cmp_ne_u32_e64 s3, 0, v3
	s_delay_alu instid0(VALU_DEP_2) | instskip(SKIP_1) | instid1(SALU_CYCLE_1)
	v_cmp_eq_u32_e32 vcc_lo, 0, v48
	s_and_b32 s4, s3, vcc_lo
	s_and_saveexec_b32 s3, s4
	s_cbranch_execz .LBB969_47
; %bb.46:
	s_wait_dscnt 0x0
	v_bcnt_u32_b32 v3, v3, v47
	ds_store_b32 v52, v3 offset:64
.LBB969_47:
	s_or_b32 exec_lo, exec_lo, s3
	v_lshrrev_b32_e32 v3, s16, v24
	; wave barrier
	s_delay_alu instid0(VALU_DEP_1) | instskip(SKIP_1) | instid1(VALU_DEP_2)
	v_and_b32_e32 v4, s26, v3
	v_bitop3_b32 v3, v3, 1, s26 bitop3:0x80
	v_dual_lshlrev_b32 v6, 30, v4 :: v_dual_lshlrev_b32 v7, 29, v4
	s_delay_alu instid0(VALU_DEP_2) | instskip(NEXT) | instid1(VALU_DEP_1)
	v_add_co_u32 v3, s3, v3, -1
	v_cndmask_b32_e64 v5, 0, 1, s3
	s_delay_alu instid0(VALU_DEP_3) | instskip(NEXT) | instid1(VALU_DEP_4)
	v_cmp_gt_i32_e64 s3, 0, v6
	v_cmp_gt_i32_e64 s4, 0, v7
	s_delay_alu instid0(VALU_DEP_3) | instskip(SKIP_2) | instid1(VALU_DEP_2)
	v_cmp_ne_u32_e32 vcc_lo, 0, v5
	v_not_b32_e32 v5, v6
	v_not_b32_e32 v6, v7
	v_dual_ashrrev_i32 v5, 31, v5 :: v_dual_bitop2_b32 v3, vcc_lo, v3 bitop3:0x14
	s_delay_alu instid0(VALU_DEP_2) | instskip(SKIP_3) | instid1(VALU_DEP_4)
	v_dual_ashrrev_i32 v6, 31, v6 :: v_dual_lshlrev_b32 v8, 28, v4
	v_lshlrev_b32_e32 v9, 27, v4
	v_mad_u32 v53, 0x44, v4, v2
	v_dual_lshlrev_b32 v50, 26, v4 :: v_dual_lshlrev_b32 v51, 25, v4
	v_not_b32_e32 v7, v8
	v_lshlrev_b32_e32 v4, 24, v4
	v_cmp_gt_i32_e64 s5, 0, v8
	v_xor_b32_e32 v5, s3, v5
	v_not_b32_e32 v8, v9
	v_ashrrev_i32_e32 v7, 31, v7
	v_not_b32_e32 v54, v50
	v_xor_b32_e32 v6, s4, v6
	v_bitop3_b32 v3, v3, v5, exec_lo bitop3:0x80
	v_cmp_gt_i32_e32 vcc_lo, 0, v9
	v_dual_ashrrev_i32 v5, 31, v8 :: v_dual_bitop2_b32 v7, s5, v7 bitop3:0x14
	v_cmp_gt_i32_e64 s3, 0, v50
	v_ashrrev_i32_e32 v8, 31, v54
	ds_load_b32 v50, v53 offset:64
	v_bitop3_b32 v3, v3, v7, v6 bitop3:0x80
	v_not_b32_e32 v6, v51
	v_not_b32_e32 v7, v4
	v_xor_b32_e32 v5, vcc_lo, v5
	v_xor_b32_e32 v8, s3, v8
	v_cmp_gt_i32_e32 vcc_lo, 0, v51
	v_ashrrev_i32_e32 v6, 31, v6
	v_cmp_gt_i32_e64 s3, 0, v4
	v_ashrrev_i32_e32 v4, 31, v7
	v_bitop3_b32 v3, v3, v8, v5 bitop3:0x80
	s_delay_alu instid0(VALU_DEP_4) | instskip(NEXT) | instid1(VALU_DEP_3)
	v_xor_b32_e32 v5, vcc_lo, v6
	; wave barrier
	v_xor_b32_e32 v4, s3, v4
	s_delay_alu instid0(VALU_DEP_1) | instskip(NEXT) | instid1(VALU_DEP_1)
	v_bitop3_b32 v3, v3, v4, v5 bitop3:0x80
	v_mbcnt_lo_u32_b32 v51, v3, 0
	v_cmp_ne_u32_e64 s3, 0, v3
	s_delay_alu instid0(VALU_DEP_2) | instskip(SKIP_1) | instid1(SALU_CYCLE_1)
	v_cmp_eq_u32_e32 vcc_lo, 0, v51
	s_and_b32 s4, s3, vcc_lo
	s_and_saveexec_b32 s3, s4
	s_cbranch_execz .LBB969_49
; %bb.48:
	s_wait_dscnt 0x0
	v_bcnt_u32_b32 v3, v3, v50
	ds_store_b32 v53, v3 offset:64
.LBB969_49:
	s_or_b32 exec_lo, exec_lo, s3
	v_lshrrev_b32_e32 v3, s16, v27
	; wave barrier
	s_delay_alu instid0(VALU_DEP_1) | instskip(NEXT) | instid1(VALU_DEP_1)
	v_and_b32_e32 v4, s26, v3
	v_lshlrev_b32_e32 v6, 30, v4
	v_bitop3_b32 v3, v3, 1, s26 bitop3:0x80
	s_delay_alu instid0(VALU_DEP_1) | instskip(NEXT) | instid1(VALU_DEP_1)
	v_add_co_u32 v3, s3, v3, -1
	v_cndmask_b32_e64 v5, 0, 1, s3
	s_delay_alu instid0(VALU_DEP_4) | instskip(NEXT) | instid1(VALU_DEP_2)
	v_cmp_gt_i32_e64 s3, 0, v6
	v_cmp_ne_u32_e32 vcc_lo, 0, v5
	v_not_b32_e32 v5, v6
	s_delay_alu instid0(VALU_DEP_1) | instskip(SKIP_3) | instid1(VALU_DEP_4)
	v_dual_ashrrev_i32 v5, 31, v5 :: v_dual_lshlrev_b32 v7, 29, v4
	v_dual_lshlrev_b32 v8, 28, v4 :: v_dual_lshlrev_b32 v9, 27, v4
	v_lshlrev_b32_e32 v54, 26, v4
	v_mad_u32 v56, 0x44, v4, v2
	v_cmp_gt_i32_e64 s4, 0, v7
	v_not_b32_e32 v6, v7
	v_not_b32_e32 v7, v8
	v_cmp_gt_i32_e64 s5, 0, v8
	v_xor_b32_e32 v3, vcc_lo, v3
	s_delay_alu instid0(VALU_DEP_4) | instskip(NEXT) | instid1(VALU_DEP_4)
	v_dual_ashrrev_i32 v6, 31, v6 :: v_dual_bitop2_b32 v5, s3, v5 bitop3:0x14
	v_dual_ashrrev_i32 v7, 31, v7 :: v_dual_lshlrev_b32 v55, 25, v4
	v_lshlrev_b32_e32 v4, 24, v4
	v_not_b32_e32 v8, v9
	v_not_b32_e32 v57, v54
	v_xor_b32_e32 v6, s4, v6
	v_xor_b32_e32 v7, s5, v7
	v_bitop3_b32 v3, v3, v5, exec_lo bitop3:0x80
	v_cmp_gt_i32_e32 vcc_lo, 0, v9
	v_ashrrev_i32_e32 v5, 31, v8
	v_cmp_gt_i32_e64 s3, 0, v54
	v_ashrrev_i32_e32 v8, 31, v57
	v_bitop3_b32 v3, v3, v7, v6 bitop3:0x80
	v_not_b32_e32 v6, v55
	v_not_b32_e32 v7, v4
	v_xor_b32_e32 v5, vcc_lo, v5
	v_xor_b32_e32 v8, s3, v8
	v_cmp_gt_i32_e32 vcc_lo, 0, v55
	v_ashrrev_i32_e32 v6, 31, v6
	v_cmp_gt_i32_e64 s3, 0, v4
	v_ashrrev_i32_e32 v4, 31, v7
	v_bitop3_b32 v3, v3, v8, v5 bitop3:0x80
	ds_load_b32 v54, v56 offset:64
	v_xor_b32_e32 v5, vcc_lo, v6
	v_xor_b32_e32 v4, s3, v4
	; wave barrier
	s_delay_alu instid0(VALU_DEP_1) | instskip(NEXT) | instid1(VALU_DEP_1)
	v_bitop3_b32 v3, v3, v4, v5 bitop3:0x80
	v_mbcnt_lo_u32_b32 v55, v3, 0
	v_cmp_ne_u32_e64 s3, 0, v3
	s_delay_alu instid0(VALU_DEP_2) | instskip(SKIP_1) | instid1(SALU_CYCLE_1)
	v_cmp_eq_u32_e32 vcc_lo, 0, v55
	s_and_b32 s4, s3, vcc_lo
	s_and_saveexec_b32 s3, s4
	s_cbranch_execz .LBB969_51
; %bb.50:
	s_wait_dscnt 0x0
	v_bcnt_u32_b32 v3, v3, v54
	ds_store_b32 v56, v3 offset:64
.LBB969_51:
	s_or_b32 exec_lo, exec_lo, s3
	v_lshrrev_b32_e32 v3, s16, v26
	; wave barrier
	s_delay_alu instid0(VALU_DEP_1) | instskip(NEXT) | instid1(VALU_DEP_1)
	v_and_b32_e32 v4, s26, v3
	v_lshlrev_b32_e32 v5, 30, v4
	v_bitop3_b32 v3, v3, 1, s26 bitop3:0x80
	v_mad_u32 v59, 0x44, v4, v2
	s_delay_alu instid0(VALU_DEP_2) | instskip(NEXT) | instid1(VALU_DEP_1)
	v_add_co_u32 v2, s3, v3, -1
	v_cndmask_b32_e64 v3, 0, 1, s3
	v_cmp_gt_i32_e64 s3, 0, v5
	s_delay_alu instid0(VALU_DEP_2) | instskip(SKIP_1) | instid1(VALU_DEP_1)
	v_cmp_ne_u32_e32 vcc_lo, 0, v3
	v_not_b32_e32 v3, v5
	v_dual_ashrrev_i32 v3, 31, v3 :: v_dual_lshlrev_b32 v6, 29, v4
	v_dual_lshlrev_b32 v7, 28, v4 :: v_dual_lshlrev_b32 v8, 27, v4
	v_dual_lshlrev_b32 v9, 26, v4 :: v_dual_lshlrev_b32 v57, 25, v4
	v_lshlrev_b32_e32 v4, 24, v4
	s_delay_alu instid0(VALU_DEP_4) | instskip(SKIP_4) | instid1(VALU_DEP_4)
	v_cmp_gt_i32_e64 s4, 0, v6
	v_not_b32_e32 v5, v6
	v_not_b32_e32 v6, v7
	v_cmp_gt_i32_e64 s5, 0, v7
	v_xor_b32_e32 v2, vcc_lo, v2
	v_dual_ashrrev_i32 v5, 31, v5 :: v_dual_bitop2_b32 v3, s3, v3 bitop3:0x14
	s_delay_alu instid0(VALU_DEP_4) | instskip(SKIP_2) | instid1(VALU_DEP_4)
	v_ashrrev_i32_e32 v6, 31, v6
	v_not_b32_e32 v7, v8
	v_not_b32_e32 v58, v9
	v_bitop3_b32 v2, v2, v3, exec_lo bitop3:0x80
	v_xor_b32_e32 v5, s4, v5
	v_xor_b32_e32 v6, s5, v6
	v_cmp_gt_i32_e32 vcc_lo, 0, v8
	v_ashrrev_i32_e32 v3, 31, v7
	v_cmp_gt_i32_e64 s3, 0, v9
	v_ashrrev_i32_e32 v7, 31, v58
	v_bitop3_b32 v2, v2, v6, v5 bitop3:0x80
	v_not_b32_e32 v5, v57
	v_not_b32_e32 v6, v4
	v_xor_b32_e32 v3, vcc_lo, v3
	v_xor_b32_e32 v7, s3, v7
	v_cmp_gt_i32_e32 vcc_lo, 0, v57
	v_ashrrev_i32_e32 v5, 31, v5
	v_cmp_gt_i32_e64 s3, 0, v4
	v_ashrrev_i32_e32 v4, 31, v6
	v_bitop3_b32 v2, v2, v7, v3 bitop3:0x80
	ds_load_b32 v57, v59 offset:64
	v_xor_b32_e32 v3, vcc_lo, v5
	v_xor_b32_e32 v4, s3, v4
	; wave barrier
	s_delay_alu instid0(VALU_DEP_1) | instskip(NEXT) | instid1(VALU_DEP_1)
	v_bitop3_b32 v2, v2, v4, v3 bitop3:0x80
	v_mbcnt_lo_u32_b32 v58, v2, 0
	v_cmp_ne_u32_e64 s3, 0, v2
	s_delay_alu instid0(VALU_DEP_2) | instskip(SKIP_1) | instid1(SALU_CYCLE_1)
	v_cmp_eq_u32_e32 vcc_lo, 0, v58
	s_and_b32 s4, s3, vcc_lo
	s_and_saveexec_b32 s3, s4
	s_cbranch_execz .LBB969_53
; %bb.52:
	s_wait_dscnt 0x0
	v_bcnt_u32_b32 v2, v2, v57
	ds_store_b32 v59, v2 offset:64
.LBB969_53:
	s_or_b32 exec_lo, exec_lo, s3
	; wave barrier
	s_wait_dscnt 0x0
	s_barrier_signal -1
	s_barrier_wait -1
	ds_load_2addr_b32 v[8:9], v10 offset0:16 offset1:17
	ds_load_2addr_b32 v[6:7], v10 offset0:18 offset1:19
	;; [unrolled: 1-line block ×4, first 2 shown]
	ds_load_b32 v60, v10 offset:96
	v_min_u32_e32 v63, 0x1e0, v16
	s_mov_b32 s27, exec_lo
	s_wait_dscnt 0x3
	v_add3_u32 v61, v9, v8, v6
	s_wait_dscnt 0x2
	s_delay_alu instid0(VALU_DEP_1) | instskip(SKIP_1) | instid1(VALU_DEP_1)
	v_add3_u32 v61, v61, v7, v4
	s_wait_dscnt 0x1
	v_add3_u32 v61, v61, v5, v2
	s_wait_dscnt 0x0
	s_delay_alu instid0(VALU_DEP_1) | instskip(SKIP_1) | instid1(VALU_DEP_2)
	v_add3_u32 v60, v61, v3, v60
	v_and_b32_e32 v61, 15, v15
	v_mov_b32_dpp v62, v60 row_shr:1 row_mask:0xf bank_mask:0xf
	s_delay_alu instid0(VALU_DEP_2) | instskip(NEXT) | instid1(VALU_DEP_2)
	v_cmp_eq_u32_e32 vcc_lo, 0, v61
	v_cndmask_b32_e64 v62, v62, 0, vcc_lo
	s_delay_alu instid0(VALU_DEP_1) | instskip(SKIP_3) | instid1(VALU_DEP_4)
	v_add_nc_u32_e32 v60, v62, v60
	v_cmp_lt_u32_e64 s3, 1, v61
	v_cmp_lt_u32_e64 s4, 3, v61
	;; [unrolled: 1-line block ×3, first 2 shown]
	v_mov_b32_dpp v62, v60 row_shr:2 row_mask:0xf bank_mask:0xf
	s_delay_alu instid0(VALU_DEP_1) | instskip(NEXT) | instid1(VALU_DEP_1)
	v_cndmask_b32_e64 v62, 0, v62, s3
	v_add_nc_u32_e32 v60, v60, v62
	s_delay_alu instid0(VALU_DEP_1) | instskip(NEXT) | instid1(VALU_DEP_1)
	v_mov_b32_dpp v62, v60 row_shr:4 row_mask:0xf bank_mask:0xf
	v_cndmask_b32_e64 v62, 0, v62, s4
	s_delay_alu instid0(VALU_DEP_1) | instskip(NEXT) | instid1(VALU_DEP_1)
	v_add_nc_u32_e32 v60, v60, v62
	v_mov_b32_dpp v62, v60 row_shr:8 row_mask:0xf bank_mask:0xf
	s_delay_alu instid0(VALU_DEP_1) | instskip(SKIP_1) | instid1(VALU_DEP_2)
	v_cndmask_b32_e64 v61, 0, v62, s5
	v_bfe_i32 v62, v15, 4, 1
	v_add_nc_u32_e32 v60, v60, v61
	ds_swizzle_b32 v61, v60 offset:swizzle(BROADCAST,32,15)
	s_wait_dscnt 0x0
	v_dual_lshrrev_b32 v61, 5, v14 :: v_dual_bitop2_b32 v62, v62, v61 bitop3:0x40
	s_delay_alu instid0(VALU_DEP_1) | instskip(NEXT) | instid1(VALU_DEP_1)
	v_dual_add_nc_u32 v60, v60, v62 :: v_dual_bitop2_b32 v63, 31, v63 bitop3:0x54
	v_cmpx_eq_u32_e64 v14, v63
; %bb.54:
	s_delay_alu instid0(VALU_DEP_3)
	v_lshlrev_b32_e32 v62, 2, v61
	ds_store_b32 v62, v60
; %bb.55:
	s_or_b32 exec_lo, exec_lo, s27
	s_delay_alu instid0(SALU_CYCLE_1)
	s_mov_b32 s27, exec_lo
	s_wait_dscnt 0x0
	s_barrier_signal -1
	s_barrier_wait -1
	v_cmpx_gt_u32_e32 16, v14
	s_cbranch_execz .LBB969_57
; %bb.56:
	v_lshlrev_b32_e32 v62, 2, v14
	ds_load_b32 v63, v62
	s_wait_dscnt 0x0
	v_mov_b32_dpp v64, v63 row_shr:1 row_mask:0xf bank_mask:0xf
	s_delay_alu instid0(VALU_DEP_1) | instskip(NEXT) | instid1(VALU_DEP_1)
	v_cndmask_b32_e64 v64, v64, 0, vcc_lo
	v_add_nc_u32_e32 v63, v64, v63
	s_delay_alu instid0(VALU_DEP_1) | instskip(NEXT) | instid1(VALU_DEP_1)
	v_mov_b32_dpp v64, v63 row_shr:2 row_mask:0xf bank_mask:0xf
	v_cndmask_b32_e64 v64, 0, v64, s3
	s_delay_alu instid0(VALU_DEP_1) | instskip(NEXT) | instid1(VALU_DEP_1)
	v_add_nc_u32_e32 v63, v63, v64
	v_mov_b32_dpp v64, v63 row_shr:4 row_mask:0xf bank_mask:0xf
	s_delay_alu instid0(VALU_DEP_1) | instskip(NEXT) | instid1(VALU_DEP_1)
	v_cndmask_b32_e64 v64, 0, v64, s4
	v_add_nc_u32_e32 v63, v63, v64
	s_delay_alu instid0(VALU_DEP_1) | instskip(NEXT) | instid1(VALU_DEP_1)
	v_mov_b32_dpp v64, v63 row_shr:8 row_mask:0xf bank_mask:0xf
	v_cndmask_b32_e64 v64, 0, v64, s5
	s_delay_alu instid0(VALU_DEP_1)
	v_add_nc_u32_e32 v63, v63, v64
	ds_store_b32 v62, v63
.LBB969_57:
	s_or_b32 exec_lo, exec_lo, s27
	v_mov_b32_e32 v62, 0
	s_mov_b32 s3, exec_lo
	s_wait_dscnt 0x0
	s_barrier_signal -1
	s_barrier_wait -1
	v_cmpx_lt_u32_e32 31, v14
; %bb.58:
	v_lshl_add_u32 v61, v61, 2, -4
	ds_load_b32 v62, v61
; %bb.59:
	s_or_b32 exec_lo, exec_lo, s3
	v_sub_co_u32 v61, vcc_lo, v15, 1
	s_wait_dscnt 0x0
	v_add_nc_u32_e32 v60, v62, v60
	s_delay_alu instid0(VALU_DEP_2) | instskip(NEXT) | instid1(VALU_DEP_1)
	v_cmp_gt_i32_e64 s3, 0, v61
	v_cndmask_b32_e64 v61, v61, v15, s3
	v_cmp_lt_u32_e64 s3, 0xff, v14
	s_delay_alu instid0(VALU_DEP_2) | instskip(SKIP_4) | instid1(VALU_DEP_2)
	v_lshlrev_b32_e32 v61, 2, v61
	ds_bpermute_b32 v60, v61, v60
	s_wait_dscnt 0x0
	v_cndmask_b32_e32 v60, v60, v62, vcc_lo
	v_cmp_gt_u32_e32 vcc_lo, 0x100, v14
	v_cndmask_b32_e64 v60, v60, 0, s2
	s_delay_alu instid0(VALU_DEP_1) | instskip(NEXT) | instid1(VALU_DEP_1)
	v_add_nc_u32_e32 v8, v60, v8
	v_add_nc_u32_e32 v9, v8, v9
	s_delay_alu instid0(VALU_DEP_1) | instskip(NEXT) | instid1(VALU_DEP_1)
	v_add_nc_u32_e32 v6, v9, v6
	v_add_nc_u32_e32 v7, v6, v7
	;; [unrolled: 3-line block ×4, first 2 shown]
	ds_store_2addr_b32 v10, v60, v8 offset0:16 offset1:17
	ds_store_2addr_b32 v10, v9, v6 offset0:18 offset1:19
	;; [unrolled: 1-line block ×4, first 2 shown]
	ds_store_b32 v10, v3 offset:96
	s_wait_dscnt 0x0
	s_barrier_signal -1
	s_barrier_wait -1
	ds_load_b32 v63, v11 offset:64
	ds_load_b32 v60, v12 offset:64
	;; [unrolled: 1-line block ×12, first 2 shown]
	v_mov_b64_e32 v[2:3], 0
                                        ; implicit-def: $vgpr4
	s_and_saveexec_b32 s5, vcc_lo
	s_cbranch_execz .LBB969_63
; %bb.60:
	v_mul_u32_u24_e32 v2, 0x44, v14
	v_dual_mov_b32 v3, 0x1800 :: v_dual_add_nc_u32 v4, 1, v14
	s_mov_b32 s6, exec_lo
	ds_load_b32 v2, v2 offset:64
	v_cmpx_ne_u32_e32 0x100, v4
; %bb.61:
	v_mul_u32_u24_e32 v3, 0x44, v4
	ds_load_b32 v3, v3 offset:64
; %bb.62:
	s_or_b32 exec_lo, exec_lo, s6
	s_wait_dscnt 0x0
	v_dual_mov_b32 v3, 0 :: v_dual_sub_nc_u32 v4, v3, v2
.LBB969_63:
	s_or_b32 exec_lo, exec_lo, s5
	v_dual_mov_b32 v7, 0 :: v_dual_lshlrev_b32 v5, 3, v14
	s_wait_dscnt 0x0
	s_barrier_signal -1
	s_barrier_wait -1
	s_and_saveexec_b32 s4, vcc_lo
	s_cbranch_execz .LBB969_73
; %bb.64:
	v_lshl_add_u32 v6, s19, 8, v14
	v_dual_mov_b32 v10, 0 :: v_dual_bitop2_b32 v11, 2.0, v4 bitop3:0x54
	s_mov_b32 s5, 0
	s_mov_b32 s6, s19
	s_delay_alu instid0(VALU_DEP_2)
	v_lshl_add_u64 v[8:9], v[6:7], 2, s[20:21]
	global_store_b32 v6, v11, s[20:21] scale_offset scope:SCOPE_DEV
                                        ; implicit-def: $sgpr27
	s_branch .LBB969_67
.LBB969_65:                             ;   in Loop: Header=BB969_67 Depth=1
	s_or_b32 exec_lo, exec_lo, s28
.LBB969_66:                             ;   in Loop: Header=BB969_67 Depth=1
	s_delay_alu instid0(SALU_CYCLE_1) | instskip(SKIP_2) | instid1(VALU_DEP_2)
	s_or_b32 exec_lo, exec_lo, s27
	v_and_b32_e32 v6, 0x3fffffff, v11
	v_cmp_gt_i32_e64 s27, -2.0, v11
	v_add_nc_u32_e32 v10, v6, v10
	s_and_b32 s28, exec_lo, s27
	s_delay_alu instid0(SALU_CYCLE_1) | instskip(NEXT) | instid1(SALU_CYCLE_1)
	s_or_b32 s5, s28, s5
	s_and_not1_b32 exec_lo, exec_lo, s5
	s_cbranch_execz .LBB969_72
.LBB969_67:                             ; =>This Loop Header: Depth=1
                                        ;     Child Loop BB969_70 Depth 2
	s_or_b32 s27, s27, exec_lo
	s_cmp_eq_u32 s6, 0
	s_cbranch_scc1 .LBB969_71
; %bb.68:                               ;   in Loop: Header=BB969_67 Depth=1
	s_add_co_i32 s6, s6, -1
	s_mov_b32 s27, exec_lo
	s_wait_xcnt 0x0
	v_lshl_or_b32 v6, s6, 8, v14
	global_load_b32 v11, v6, s[20:21] scale_offset scope:SCOPE_DEV
	s_wait_loadcnt 0x0
	v_cmpx_gt_u32_e32 2.0, v11
	s_cbranch_execz .LBB969_66
; %bb.69:                               ;   in Loop: Header=BB969_67 Depth=1
	v_lshl_add_u64 v[12:13], v[6:7], 2, s[20:21]
	s_mov_b32 s28, 0
.LBB969_70:                             ;   Parent Loop BB969_67 Depth=1
                                        ; =>  This Inner Loop Header: Depth=2
	global_load_b32 v11, v[12:13], off scope:SCOPE_DEV
	s_wait_loadcnt 0x0
	v_cmp_lt_u32_e32 vcc_lo, 0x3fffffff, v11
	s_or_b32 s28, vcc_lo, s28
	s_wait_xcnt 0x0
	s_and_not1_b32 exec_lo, exec_lo, s28
	s_cbranch_execnz .LBB969_70
	s_branch .LBB969_65
.LBB969_71:                             ;   in Loop: Header=BB969_67 Depth=1
                                        ; implicit-def: $sgpr6
	s_and_b32 s28, exec_lo, s27
	s_delay_alu instid0(SALU_CYCLE_1)
	s_or_b32 s5, s28, s5
	s_wait_xcnt 0x0
	s_and_not1_b32 exec_lo, exec_lo, s5
	s_cbranch_execnz .LBB969_67
.LBB969_72:
	s_or_b32 exec_lo, exec_lo, s5
	v_dual_mov_b32 v11, 0 :: v_dual_add_nc_u32 v6, v10, v4
	s_delay_alu instid0(VALU_DEP_1) | instskip(SKIP_4) | instid1(VALU_DEP_1)
	v_or_b32_e32 v6, 0x80000000, v6
	global_store_b32 v[8:9], v6, off scope:SCOPE_DEV
	global_load_b64 v[6:7], v14, s[8:9] scale_offset
	v_sub_nc_u64_e32 v[8:9], v[10:11], v[2:3]
	s_wait_loadcnt 0x0
	v_add_nc_u64_e32 v[6:7], v[8:9], v[6:7]
	ds_store_b64 v5, v[6:7]
.LBB969_73:
	s_wait_xcnt 0x0
	s_or_b32 exec_lo, exec_lo, s4
	v_dual_lshlrev_b32 v6, 2, v14 :: v_dual_add_nc_u32 v8, v63, v28
	v_mov_b32_e32 v7, 0
	v_add3_u32 v10, v55, v53, v54
	v_add3_u32 v9, v58, v56, v57
	s_delay_alu instid0(VALU_DEP_4)
	v_sub_nc_u32_e32 v53, 0, v6
	v_add3_u32 v11, v51, v52, v50
	v_add_nc_u64_e32 v[6:7], s[14:15], v[6:7]
	v_add3_u32 v12, v48, v49, v47
	v_add3_u32 v13, v45, v46, v44
	;; [unrolled: 1-line block ×6, first 2 shown]
	v_add_nc_u64_e32 v[6:7], 0x3800, v[6:7]
	v_add3_u32 v31, v32, v61, v31
	v_add3_u32 v29, v30, v60, v29
	v_add_nc_u32_e32 v30, 0xe00, v14
	v_add_nc_u32_e32 v32, v5, v53
	s_mov_b32 s4, 0
	s_mov_b32 s5, -1
	s_branch .LBB969_75
.LBB969_74:                             ;   in Loop: Header=BB969_75 Depth=1
	s_wait_xcnt 0x0
	s_or_b32 exec_lo, exec_lo, s6
	v_add_nc_u64_e32 v[6:7], 0x4000, v[6:7]
	v_add_nc_u32_e32 v30, 0x1000, v30
	s_xor_b32 s5, s5, -1
	s_addk_co_i32 s4, 0xf000
	s_and_b32 vcc_lo, exec_lo, s5
	s_mov_b32 s5, 0
	s_wait_storecnt 0x0
	s_barrier_signal -1
	s_barrier_wait -1
	s_cbranch_vccnz .LBB969_91
.LBB969_75:                             ; =>This Inner Loop Header: Depth=1
	v_add_min_u32_e64 v34, v8, s4, 0x1000
	v_add_min_u32_e64 v36, v29, s4, 0x1000
	;; [unrolled: 1-line block ×5, first 2 shown]
	s_delay_alu instid0(VALU_DEP_4) | instskip(NEXT) | instid1(VALU_DEP_4)
	v_dual_lshlrev_b32 v34, 2, v34 :: v_dual_lshlrev_b32 v36, 2, v36
	v_lshlrev_b32_e32 v38, 2, v38
	v_add_min_u32_e64 v41, v37, s4, 0x1000
	s_mov_b32 s6, exec_lo
	ds_store_b32 v34, v17 offset:2048
	ds_store_b32 v36, v1 offset:2048
	v_add_min_u32_e64 v34, v28, s4, 0x1000
	v_lshlrev_b32_e32 v36, 2, v39
	ds_store_b32 v38, v19 offset:2048
	v_dual_lshlrev_b32 v38, 2, v40 :: v_dual_lshlrev_b32 v39, 2, v41
	v_add_min_u32_e64 v40, v13, s4, 0x1000
	v_lshlrev_b32_e32 v34, 2, v34
	ds_store_b32 v36, v18 offset:2048
	ds_store_b32 v38, v21 offset:2048
	;; [unrolled: 1-line block ×4, first 2 shown]
	v_add_min_u32_e64 v36, v12, s4, 0x1000
	v_add_min_u32_e64 v38, v11, s4, 0x1000
	v_lshlrev_b32_e32 v34, 2, v40
	v_add_min_u32_e64 v39, v10, s4, 0x1000
	v_add_min_u32_e64 v40, v9, s4, 0x1000
	ds_store_b32 v34, v22 offset:2048
	v_dual_lshlrev_b32 v34, 2, v36 :: v_dual_lshlrev_b32 v36, 2, v38
	v_dual_lshlrev_b32 v38, 2, v39 :: v_dual_lshlrev_b32 v39, 2, v40
	v_add_nc_u32_e32 v40, 0xfffff200, v30
	ds_store_b32 v34, v25 offset:2048
	ds_store_b32 v36, v24 offset:2048
	;; [unrolled: 1-line block ×4, first 2 shown]
	s_wait_storecnt_dscnt 0x0
	s_barrier_signal -1
	s_barrier_wait -1
	v_cmpx_gt_u32_e64 s18, v40
	s_cbranch_execz .LBB969_77
; %bb.76:                               ;   in Loop: Header=BB969_75 Depth=1
	ds_load_b32 v34, v32 offset:2048
	s_wait_dscnt 0x0
	v_lshrrev_b32_e32 v36, s16, v34
	v_xor_b32_e32 v34, 0x80000000, v34
	s_delay_alu instid0(VALU_DEP_2) | instskip(NEXT) | instid1(VALU_DEP_1)
	v_and_b32_e32 v36, s26, v36
	v_lshlrev_b32_e32 v36, 3, v36
	ds_load_b64 v[38:39], v36
	s_wait_dscnt 0x0
	v_lshl_add_u64 v[38:39], v[38:39], 2, v[6:7]
	global_store_b32 v[38:39], v34, off offset:-14336
.LBB969_77:                             ;   in Loop: Header=BB969_75 Depth=1
	s_wait_xcnt 0x0
	s_or_b32 exec_lo, exec_lo, s6
	v_add_nc_u32_e32 v34, 0xfffff400, v30
	s_mov_b32 s6, exec_lo
	s_delay_alu instid0(VALU_DEP_1)
	v_cmpx_gt_u32_e64 s18, v34
	s_cbranch_execz .LBB969_79
; %bb.78:                               ;   in Loop: Header=BB969_75 Depth=1
	ds_load_b32 v34, v32 offset:4096
	s_wait_dscnt 0x0
	v_lshrrev_b32_e32 v36, s16, v34
	v_xor_b32_e32 v34, 0x80000000, v34
	s_delay_alu instid0(VALU_DEP_2) | instskip(NEXT) | instid1(VALU_DEP_1)
	v_and_b32_e32 v36, s26, v36
	v_lshlrev_b32_e32 v36, 3, v36
	ds_load_b64 v[38:39], v36
	s_wait_dscnt 0x0
	v_lshl_add_u64 v[38:39], v[38:39], 2, v[6:7]
	global_store_b32 v[38:39], v34, off offset:-12288
.LBB969_79:                             ;   in Loop: Header=BB969_75 Depth=1
	s_wait_xcnt 0x0
	s_or_b32 exec_lo, exec_lo, s6
	v_add_nc_u32_e32 v34, 0xfffff600, v30
	s_mov_b32 s6, exec_lo
	s_delay_alu instid0(VALU_DEP_1)
	;; [unrolled: 20-line block ×6, first 2 shown]
	v_cmpx_gt_u32_e64 s18, v34
	s_cbranch_execz .LBB969_89
; %bb.88:                               ;   in Loop: Header=BB969_75 Depth=1
	ds_load_b32 v34, v32 offset:14336
	s_wait_dscnt 0x0
	v_lshrrev_b32_e32 v36, s16, v34
	v_xor_b32_e32 v34, 0x80000000, v34
	s_delay_alu instid0(VALU_DEP_2) | instskip(NEXT) | instid1(VALU_DEP_1)
	v_and_b32_e32 v36, s26, v36
	v_lshlrev_b32_e32 v36, 3, v36
	ds_load_b64 v[38:39], v36
	s_wait_dscnt 0x0
	v_lshl_add_u64 v[38:39], v[38:39], 2, v[6:7]
	global_store_b32 v[38:39], v34, off offset:-2048
.LBB969_89:                             ;   in Loop: Header=BB969_75 Depth=1
	s_wait_xcnt 0x0
	s_or_b32 exec_lo, exec_lo, s6
	s_delay_alu instid0(SALU_CYCLE_1)
	s_mov_b32 s6, exec_lo
	v_cmpx_gt_u32_e64 s18, v30
	s_cbranch_execz .LBB969_74
; %bb.90:                               ;   in Loop: Header=BB969_75 Depth=1
	ds_load_b32 v34, v32 offset:16384
	s_wait_dscnt 0x0
	v_lshrrev_b32_e32 v36, s16, v34
	v_xor_b32_e32 v34, 0x80000000, v34
	s_delay_alu instid0(VALU_DEP_2) | instskip(NEXT) | instid1(VALU_DEP_1)
	v_and_b32_e32 v36, s26, v36
	v_lshlrev_b32_e32 v36, 3, v36
	ds_load_b64 v[38:39], v36
	s_wait_dscnt 0x0
	v_lshl_add_u64 v[38:39], v[38:39], 2, v[6:7]
	global_store_b32 v[38:39], v34, off
	s_branch .LBB969_74
.LBB969_91:
	s_add_co_i32 s23, s23, -1
	s_delay_alu instid0(SALU_CYCLE_1) | instskip(SKIP_2) | instid1(SALU_CYCLE_1)
	s_cmp_eq_u32 s19, s23
	s_cselect_b32 s4, -1, 0
	s_xor_b32 s3, s3, -1
	s_and_b32 s4, s3, s4
	s_delay_alu instid0(SALU_CYCLE_1)
	s_and_saveexec_b32 s3, s4
	s_cbranch_execz .LBB969_93
; %bb.92:
	ds_load_b64 v[6:7], v5
	v_mov_b32_e32 v5, 0
	s_delay_alu instid0(VALU_DEP_1) | instskip(SKIP_1) | instid1(VALU_DEP_1)
	v_add_nc_u64_e32 v[2:3], v[2:3], v[4:5]
	s_wait_dscnt 0x0
	v_add_nc_u64_e32 v[2:3], v[2:3], v[6:7]
	global_store_b64 v14, v[2:3], s[10:11] scale_offset
.LBB969_93:
	s_wait_xcnt 0x0
	s_or_b32 exec_lo, exec_lo, s3
	s_mov_b32 s4, 0
.LBB969_94:
	s_delay_alu instid0(SALU_CYCLE_1)
	s_and_b32 vcc_lo, exec_lo, s4
	s_cbranch_vccz .LBB969_153
; %bb.95:
	s_mov_b32 s23, 0
	v_dual_mov_b32 v11, 0 :: v_dual_lshlrev_b32 v10, 2, v15
	s_lshl_b64 s[4:5], s[22:23], 2
	v_mul_u32_u24_e32 v1, 12, v16
	s_add_nc_u64 s[4:5], s[12:13], s[4:5]
	s_bfe_u32 s3, ttmp6, 0x4000c
	v_add_nc_u64_e32 v[2:3], s[4:5], v[10:11]
	s_add_co_i32 s3, s3, 1
	v_lshlrev_b32_e32 v10, 2, v1
	s_and_b32 s4, ttmp6, 15
	s_mul_i32 s3, ttmp9, s3
	s_delay_alu instid0(SALU_CYCLE_1) | instskip(NEXT) | instid1(VALU_DEP_1)
	s_add_co_i32 s4, s4, s3
	v_add_nc_u64_e32 v[18:19], v[2:3], v[10:11]
	s_cmp_eq_u32 s7, 0
	s_clause 0xb
	global_load_b32 v5, v[18:19], off
	global_load_b32 v12, v[18:19], off offset:128
	global_load_b32 v13, v[18:19], off offset:256
	;; [unrolled: 1-line block ×11, first 2 shown]
	s_load_b32 s12, s[0:1], 0x58
	s_cselect_b32 s3, ttmp9, s4
	s_load_u16 s4, s[0:1], 0x66
	s_wait_kmcnt 0x0
	s_cmp_lt_u32 s3, s12
	s_cselect_b32 s22, 12, 18
	s_lshl_b32 s13, -1, s17
	s_add_nc_u64 s[0:1], s[24:25], s[22:23]
	s_load_u16 s0, s[0:1], 0x0
	s_wait_loadcnt 0xb
	v_xor_b32_e32 v17, 0x80000000, v5
	v_bfe_u32 v5, v0, 10, 10
	v_bfe_u32 v0, v0, 20, 10
	s_delay_alu instid0(VALU_DEP_3) | instskip(NEXT) | instid1(VALU_DEP_2)
	v_lshrrev_b32_e32 v10, s16, v17
	v_mad_u32_u24 v0, v0, s4, v5
	s_delay_alu instid0(VALU_DEP_2) | instskip(SKIP_1) | instid1(VALU_DEP_2)
	v_bitop3_b32 v19, v10, s13, v10 bitop3:0x30
	s_wait_kmcnt 0x0
	v_mad_u32 v0, v0, s0, v14
	s_delay_alu instid0(VALU_DEP_2) | instskip(SKIP_4) | instid1(VALU_DEP_4)
	v_lshlrev_b32_e32 v21, 29, v19
	v_bitop3_b32 v5, v10, 1, s13 bitop3:0x40
	v_dual_lshlrev_b32 v18, 30, v19 :: v_dual_lshlrev_b32 v22, 28, v19
	v_dual_lshlrev_b32 v23, 27, v19 :: v_dual_lshlrev_b32 v24, 26, v19
	v_lshlrev_b32_e32 v25, 25, v19
	v_add_co_u32 v5, s0, v5, -1
	s_delay_alu instid0(VALU_DEP_1)
	v_cndmask_b32_e64 v10, 0, 1, s0
	v_cmp_gt_i32_e64 s0, 0, v18
	v_cmp_gt_i32_e64 s1, 0, v21
	;; [unrolled: 1-line block ×4, first 2 shown]
	v_cmp_ne_u32_e32 vcc_lo, 0, v10
	v_not_b32_e32 v10, v18
	v_lshlrev_b32_e32 v26, 24, v19
	v_not_b32_e32 v18, v21
	v_not_b32_e32 v21, v22
	;; [unrolled: 1-line block ×3, first 2 shown]
	v_ashrrev_i32_e32 v10, 31, v10
	v_not_b32_e32 v23, v24
	v_dual_ashrrev_i32 v18, 31, v18 :: v_dual_bitop2_b32 v5, vcc_lo, v5 bitop3:0x14
	s_delay_alu instid0(VALU_DEP_3)
	v_dual_ashrrev_i32 v21, 31, v21 :: v_dual_bitop2_b32 v10, s0, v10 bitop3:0x14
	v_cmp_gt_i32_e64 s5, 0, v24
	v_cmp_gt_i32_e64 s6, 0, v25
	v_not_b32_e32 v24, v25
	v_not_b32_e32 v25, v26
	v_dual_ashrrev_i32 v22, 31, v22 :: v_dual_ashrrev_i32 v23, 31, v23
	v_xor_b32_e32 v18, s1, v18
	v_dual_lshrrev_b32 v0, 5, v0 :: v_dual_bitop2_b32 v21, s3, v21 bitop3:0x14
	v_bitop3_b32 v5, v5, v10, exec_lo bitop3:0x80
	v_cmp_gt_i32_e64 s7, 0, v26
	v_dual_ashrrev_i32 v10, 31, v24 :: v_dual_ashrrev_i32 v24, 31, v25
	v_xor_b32_e32 v22, s4, v22
	v_dual_lshlrev_b32 v0, 2, v0 :: v_dual_bitop2_b32 v23, s5, v23 bitop3:0x14
	v_bitop3_b32 v5, v5, v21, v18 bitop3:0x80
	s_delay_alu instid0(VALU_DEP_4)
	v_xor_b32_e32 v18, s6, v10
	v_xor_b32_e32 v21, s7, v24
	v_mul_u32_u24_e32 v10, 36, v14
	ds_store_2addr_b32 v10, v11, v11 offset0:16 offset1:17
	ds_store_2addr_b32 v10, v11, v11 offset0:18 offset1:19
	;; [unrolled: 1-line block ×4, first 2 shown]
	v_bitop3_b32 v5, v5, v23, v22 bitop3:0x80
	ds_store_b32 v10, v11 offset:96
	v_mad_u32 v11, 0x44, v19, v0
	s_not_b32 s6, s13
	s_wait_storecnt 0x0
	s_wait_loadcnt_dscnt 0x0
	v_bitop3_b32 v18, v5, v21, v18 bitop3:0x80
	s_barrier_signal -1
	s_barrier_wait -1
	s_delay_alu instid0(VALU_DEP_1) | instskip(SKIP_1) | instid1(VALU_DEP_2)
	v_mbcnt_lo_u32_b32 v5, v18, 0
	v_cmp_ne_u32_e64 s0, 0, v18
	; wave barrier
	v_cmp_eq_u32_e32 vcc_lo, 0, v5
	s_and_b32 s1, s0, vcc_lo
	s_delay_alu instid0(SALU_CYCLE_1)
	s_and_saveexec_b32 s0, s1
; %bb.96:
	v_bcnt_u32_b32 v18, v18, 0
	ds_store_b32 v11, v18 offset:64
; %bb.97:
	s_or_b32 exec_lo, exec_lo, s0
	v_xor_b32_e32 v18, 0x80000000, v12
	; wave barrier
	s_delay_alu instid0(VALU_DEP_1) | instskip(NEXT) | instid1(VALU_DEP_1)
	v_lshrrev_b32_e32 v12, s16, v18
	v_and_b32_e32 v19, s6, v12
	s_delay_alu instid0(VALU_DEP_1) | instskip(SKIP_1) | instid1(VALU_DEP_1)
	v_lshlrev_b32_e32 v23, 30, v19
	v_bitop3_b32 v21, v12, 1, s6 bitop3:0x80
	v_add_co_u32 v21, s0, v21, -1
	s_delay_alu instid0(VALU_DEP_1) | instskip(NEXT) | instid1(VALU_DEP_4)
	v_cndmask_b32_e64 v22, 0, 1, s0
	v_cmp_gt_i32_e64 s0, 0, v23
	s_delay_alu instid0(VALU_DEP_2) | instskip(SKIP_1) | instid1(VALU_DEP_1)
	v_cmp_ne_u32_e32 vcc_lo, 0, v22
	v_not_b32_e32 v22, v23
	v_dual_ashrrev_i32 v22, 31, v22 :: v_dual_lshlrev_b32 v24, 29, v19
	v_dual_lshlrev_b32 v25, 28, v19 :: v_dual_lshlrev_b32 v26, 27, v19
	v_lshlrev_b32_e32 v27, 26, v19
	v_mad_u32 v12, 0x44, v19, v0
	s_delay_alu instid0(VALU_DEP_4)
	v_cmp_gt_i32_e64 s1, 0, v24
	v_not_b32_e32 v23, v24
	v_not_b32_e32 v24, v25
	v_dual_lshlrev_b32 v28, 25, v19 :: v_dual_lshlrev_b32 v19, 24, v19
	v_cmp_gt_i32_e64 s3, 0, v25
	v_cmp_gt_i32_e64 s4, 0, v26
	v_not_b32_e32 v25, v26
	v_not_b32_e32 v26, v27
	v_dual_ashrrev_i32 v23, 31, v23 :: v_dual_bitop2_b32 v21, vcc_lo, v21 bitop3:0x14
	v_dual_ashrrev_i32 v24, 31, v24 :: v_dual_bitop2_b32 v22, s0, v22 bitop3:0x14
	v_cmp_gt_i32_e64 s5, 0, v27
	s_delay_alu instid0(VALU_DEP_4) | instskip(SKIP_1) | instid1(VALU_DEP_4)
	v_dual_ashrrev_i32 v25, 31, v25 :: v_dual_ashrrev_i32 v26, 31, v26
	v_not_b32_e32 v27, v19
	v_xor_b32_e32 v24, s3, v24
	v_bitop3_b32 v21, v21, v22, exec_lo bitop3:0x80
	v_not_b32_e32 v22, v28
	v_xor_b32_e32 v23, s1, v23
	v_xor_b32_e32 v25, s4, v25
	;; [unrolled: 1-line block ×3, first 2 shown]
	v_cmp_gt_i32_e32 vcc_lo, 0, v28
	v_ashrrev_i32_e32 v22, 31, v22
	v_cmp_gt_i32_e64 s0, 0, v19
	v_ashrrev_i32_e32 v19, 31, v27
	v_bitop3_b32 v21, v21, v24, v23 bitop3:0x80
	s_delay_alu instid0(VALU_DEP_4) | instskip(NEXT) | instid1(VALU_DEP_3)
	v_xor_b32_e32 v22, vcc_lo, v22
	v_xor_b32_e32 v19, s0, v19
	s_delay_alu instid0(VALU_DEP_3) | instskip(SKIP_2) | instid1(VALU_DEP_1)
	v_bitop3_b32 v23, v21, v26, v25 bitop3:0x80
	ds_load_b32 v21, v12 offset:64
	; wave barrier
	v_bitop3_b32 v19, v23, v19, v22 bitop3:0x80
	v_mbcnt_lo_u32_b32 v22, v19, 0
	v_cmp_ne_u32_e64 s0, 0, v19
	s_delay_alu instid0(VALU_DEP_2) | instskip(SKIP_1) | instid1(SALU_CYCLE_1)
	v_cmp_eq_u32_e32 vcc_lo, 0, v22
	s_and_b32 s1, s0, vcc_lo
	s_and_saveexec_b32 s0, s1
	s_cbranch_execz .LBB969_99
; %bb.98:
	s_wait_dscnt 0x0
	v_bcnt_u32_b32 v19, v19, v21
	ds_store_b32 v12, v19 offset:64
.LBB969_99:
	s_or_b32 exec_lo, exec_lo, s0
	v_xor_b32_e32 v19, 0x80000000, v13
	; wave barrier
	s_delay_alu instid0(VALU_DEP_1) | instskip(NEXT) | instid1(VALU_DEP_1)
	v_lshrrev_b32_e32 v13, s16, v19
	v_bitop3_b32 v24, v13, 1, s6 bitop3:0x80
	v_and_b32_e32 v23, s6, v13
	s_delay_alu instid0(VALU_DEP_2) | instskip(NEXT) | instid1(VALU_DEP_1)
	v_add_co_u32 v24, s0, v24, -1
	v_cndmask_b32_e64 v25, 0, 1, s0
	s_delay_alu instid0(VALU_DEP_3) | instskip(NEXT) | instid1(VALU_DEP_2)
	v_dual_lshlrev_b32 v26, 30, v23 :: v_dual_lshlrev_b32 v27, 29, v23
	v_cmp_ne_u32_e32 vcc_lo, 0, v25
	s_delay_alu instid0(VALU_DEP_2) | instskip(SKIP_1) | instid1(VALU_DEP_4)
	v_cmp_gt_i32_e64 s0, 0, v26
	v_not_b32_e32 v25, v26
	v_not_b32_e32 v26, v27
	v_cmp_gt_i32_e64 s1, 0, v27
	s_delay_alu instid0(VALU_DEP_3) | instskip(NEXT) | instid1(VALU_DEP_3)
	v_dual_ashrrev_i32 v25, 31, v25 :: v_dual_bitop2_b32 v24, vcc_lo, v24 bitop3:0x14
	v_dual_ashrrev_i32 v26, 31, v26 :: v_dual_lshlrev_b32 v28, 28, v23
	v_dual_lshlrev_b32 v29, 27, v23 :: v_dual_lshlrev_b32 v30, 26, v23
	v_lshlrev_b32_e32 v31, 25, v23
	v_mad_u32 v13, 0x44, v23, v0
	s_delay_alu instid0(VALU_DEP_4)
	v_not_b32_e32 v27, v28
	v_lshlrev_b32_e32 v23, 24, v23
	v_cmp_gt_i32_e64 s3, 0, v28
	v_cmp_gt_i32_e64 s4, 0, v29
	v_not_b32_e32 v28, v29
	v_not_b32_e32 v29, v30
	v_dual_ashrrev_i32 v27, 31, v27 :: v_dual_bitop2_b32 v25, s0, v25 bitop3:0x14
	v_cmp_gt_i32_e64 s5, 0, v30
	s_delay_alu instid0(VALU_DEP_3) | instskip(SKIP_1) | instid1(VALU_DEP_4)
	v_dual_ashrrev_i32 v28, 31, v28 :: v_dual_ashrrev_i32 v29, 31, v29
	v_not_b32_e32 v30, v23
	v_xor_b32_e32 v27, s3, v27
	v_bitop3_b32 v24, v24, v25, exec_lo bitop3:0x80
	v_not_b32_e32 v25, v31
	v_xor_b32_e32 v26, s1, v26
	v_xor_b32_e32 v28, s4, v28
	;; [unrolled: 1-line block ×3, first 2 shown]
	v_cmp_gt_i32_e32 vcc_lo, 0, v31
	v_ashrrev_i32_e32 v25, 31, v25
	v_cmp_gt_i32_e64 s0, 0, v23
	v_ashrrev_i32_e32 v23, 31, v30
	v_bitop3_b32 v24, v24, v27, v26 bitop3:0x80
	s_delay_alu instid0(VALU_DEP_4) | instskip(NEXT) | instid1(VALU_DEP_3)
	v_xor_b32_e32 v25, vcc_lo, v25
	v_xor_b32_e32 v23, s0, v23
	s_delay_alu instid0(VALU_DEP_3) | instskip(SKIP_2) | instid1(VALU_DEP_1)
	v_bitop3_b32 v26, v24, v29, v28 bitop3:0x80
	ds_load_b32 v24, v13 offset:64
	; wave barrier
	v_bitop3_b32 v23, v26, v23, v25 bitop3:0x80
	v_mbcnt_lo_u32_b32 v25, v23, 0
	v_cmp_ne_u32_e64 s0, 0, v23
	s_delay_alu instid0(VALU_DEP_2) | instskip(SKIP_1) | instid1(SALU_CYCLE_1)
	v_cmp_eq_u32_e32 vcc_lo, 0, v25
	s_and_b32 s1, s0, vcc_lo
	s_and_saveexec_b32 s0, s1
	s_cbranch_execz .LBB969_101
; %bb.100:
	s_wait_dscnt 0x0
	v_bcnt_u32_b32 v23, v23, v24
	ds_store_b32 v13, v23 offset:64
.LBB969_101:
	s_or_b32 exec_lo, exec_lo, s0
	v_xor_b32_e32 v20, 0x80000000, v20
	; wave barrier
	s_delay_alu instid0(VALU_DEP_1) | instskip(NEXT) | instid1(VALU_DEP_1)
	v_lshrrev_b32_e32 v23, s16, v20
	v_and_b32_e32 v26, s6, v23
	s_delay_alu instid0(VALU_DEP_1) | instskip(SKIP_2) | instid1(VALU_DEP_2)
	v_lshlrev_b32_e32 v28, 30, v26
	v_bitop3_b32 v23, v23, 1, s6 bitop3:0x80
	v_lshlrev_b32_e32 v29, 29, v26
	v_add_co_u32 v23, s0, v23, -1
	s_delay_alu instid0(VALU_DEP_1) | instskip(SKIP_1) | instid1(VALU_DEP_2)
	v_cndmask_b32_e64 v27, 0, 1, s0
	v_cmp_gt_i32_e64 s0, 0, v28
	v_cmp_ne_u32_e32 vcc_lo, 0, v27
	v_not_b32_e32 v27, v28
	v_not_b32_e32 v28, v29
	s_delay_alu instid0(VALU_DEP_1)
	v_dual_ashrrev_i32 v28, 31, v28 :: v_dual_lshlrev_b32 v30, 28, v26
	v_mad_u32 v33, 0x44, v26, v0
	v_dual_lshlrev_b32 v31, 27, v26 :: v_dual_lshlrev_b32 v32, 26, v26
	v_dual_lshlrev_b32 v34, 25, v26 :: v_dual_lshlrev_b32 v26, 24, v26
	v_cmp_gt_i32_e64 s1, 0, v29
	v_not_b32_e32 v29, v30
	v_ashrrev_i32_e32 v27, 31, v27
	v_cmp_gt_i32_e64 s3, 0, v30
	v_cmp_gt_i32_e64 s4, 0, v31
	v_not_b32_e32 v30, v31
	v_cmp_gt_i32_e64 s5, 0, v32
	v_not_b32_e32 v31, v32
	v_dual_ashrrev_i32 v29, 31, v29 :: v_dual_bitop2_b32 v23, vcc_lo, v23 bitop3:0x14
	v_not_b32_e32 v32, v26
	v_dual_ashrrev_i32 v30, 31, v30 :: v_dual_bitop2_b32 v27, s0, v27 bitop3:0x14
	s_delay_alu instid0(VALU_DEP_4) | instskip(SKIP_1) | instid1(VALU_DEP_4)
	v_dual_ashrrev_i32 v31, 31, v31 :: v_dual_bitop2_b32 v28, s1, v28 bitop3:0x14
	v_cmp_gt_i32_e64 s0, 0, v26
	v_ashrrev_i32_e32 v26, 31, v32
	s_delay_alu instid0(VALU_DEP_4)
	v_bitop3_b32 v23, v23, v27, exec_lo bitop3:0x80
	v_not_b32_e32 v27, v34
	v_xor_b32_e32 v29, s3, v29
	v_xor_b32_e32 v30, s4, v30
	v_xor_b32_e32 v31, s5, v31
	v_cmp_gt_i32_e32 vcc_lo, 0, v34
	v_ashrrev_i32_e32 v27, 31, v27
	v_bitop3_b32 v23, v23, v29, v28 bitop3:0x80
	v_xor_b32_e32 v26, s0, v26
	s_delay_alu instid0(VALU_DEP_3) | instskip(NEXT) | instid1(VALU_DEP_3)
	v_xor_b32_e32 v28, vcc_lo, v27
	v_bitop3_b32 v23, v23, v31, v30 bitop3:0x80
	ds_load_b32 v27, v33 offset:64
	; wave barrier
	v_bitop3_b32 v23, v23, v26, v28 bitop3:0x80
	s_delay_alu instid0(VALU_DEP_1) | instskip(SKIP_1) | instid1(VALU_DEP_2)
	v_mbcnt_lo_u32_b32 v28, v23, 0
	v_cmp_ne_u32_e64 s0, 0, v23
	v_cmp_eq_u32_e32 vcc_lo, 0, v28
	s_and_b32 s1, s0, vcc_lo
	s_delay_alu instid0(SALU_CYCLE_1)
	s_and_saveexec_b32 s0, s1
	s_cbranch_execz .LBB969_103
; %bb.102:
	s_wait_dscnt 0x0
	v_bcnt_u32_b32 v23, v23, v27
	ds_store_b32 v33, v23 offset:64
.LBB969_103:
	s_or_b32 exec_lo, exec_lo, s0
	v_xor_b32_e32 v23, 0x80000000, v9
	; wave barrier
	s_delay_alu instid0(VALU_DEP_1) | instskip(NEXT) | instid1(VALU_DEP_1)
	v_lshrrev_b32_e32 v9, s16, v23
	v_and_b32_e32 v26, s6, v9
	s_delay_alu instid0(VALU_DEP_1) | instskip(SKIP_2) | instid1(VALU_DEP_2)
	v_lshlrev_b32_e32 v30, 30, v26
	v_bitop3_b32 v9, v9, 1, s6 bitop3:0x80
	v_lshlrev_b32_e32 v31, 29, v26
	v_add_co_u32 v9, s0, v9, -1
	s_delay_alu instid0(VALU_DEP_1) | instskip(SKIP_1) | instid1(VALU_DEP_2)
	v_cndmask_b32_e64 v29, 0, 1, s0
	v_cmp_gt_i32_e64 s0, 0, v30
	v_cmp_ne_u32_e32 vcc_lo, 0, v29
	v_not_b32_e32 v29, v30
	v_not_b32_e32 v30, v31
	s_delay_alu instid0(VALU_DEP_1) | instskip(SKIP_4) | instid1(VALU_DEP_4)
	v_ashrrev_i32_e32 v30, 31, v30
	v_dual_lshlrev_b32 v32, 28, v26 :: v_dual_lshlrev_b32 v34, 27, v26
	v_lshlrev_b32_e32 v35, 26, v26
	v_cmp_gt_i32_e64 s1, 0, v31
	v_mad_u32 v37, 0x44, v26, v0
	v_not_b32_e32 v31, v32
	v_dual_ashrrev_i32 v29, 31, v29 :: v_dual_lshlrev_b32 v36, 25, v26
	v_lshlrev_b32_e32 v26, 24, v26
	v_cmp_gt_i32_e64 s3, 0, v32
	v_cmp_gt_i32_e64 s4, 0, v34
	v_not_b32_e32 v32, v34
	v_not_b32_e32 v34, v35
	v_dual_ashrrev_i32 v31, 31, v31 :: v_dual_bitop2_b32 v9, vcc_lo, v9 bitop3:0x14
	v_xor_b32_e32 v29, s0, v29
	v_cmp_gt_i32_e64 s5, 0, v35
	s_delay_alu instid0(VALU_DEP_4) | instskip(NEXT) | instid1(VALU_DEP_4)
	v_dual_ashrrev_i32 v32, 31, v32 :: v_dual_ashrrev_i32 v34, 31, v34
	v_xor_b32_e32 v31, s3, v31
	s_delay_alu instid0(VALU_DEP_4)
	v_bitop3_b32 v9, v9, v29, exec_lo bitop3:0x80
	v_not_b32_e32 v29, v36
	v_xor_b32_e32 v30, s1, v30
	v_not_b32_e32 v35, v26
	v_xor_b32_e32 v32, s4, v32
	v_xor_b32_e32 v34, s5, v34
	v_cmp_gt_i32_e32 vcc_lo, 0, v36
	v_ashrrev_i32_e32 v29, 31, v29
	v_bitop3_b32 v9, v9, v31, v30 bitop3:0x80
	v_cmp_gt_i32_e64 s0, 0, v26
	v_ashrrev_i32_e32 v26, 31, v35
	ds_load_b32 v30, v37 offset:64
	v_xor_b32_e32 v29, vcc_lo, v29
	v_bitop3_b32 v9, v9, v34, v32 bitop3:0x80
	v_xor_b32_e32 v26, s0, v26
	; wave barrier
	s_delay_alu instid0(VALU_DEP_1) | instskip(NEXT) | instid1(VALU_DEP_1)
	v_bitop3_b32 v9, v9, v26, v29 bitop3:0x80
	v_mbcnt_lo_u32_b32 v31, v9, 0
	v_cmp_ne_u32_e64 s0, 0, v9
	s_delay_alu instid0(VALU_DEP_2) | instskip(SKIP_1) | instid1(SALU_CYCLE_1)
	v_cmp_eq_u32_e32 vcc_lo, 0, v31
	s_and_b32 s1, s0, vcc_lo
	s_and_saveexec_b32 s0, s1
	s_cbranch_execz .LBB969_105
; %bb.104:
	s_wait_dscnt 0x0
	v_bcnt_u32_b32 v9, v9, v30
	ds_store_b32 v37, v9 offset:64
.LBB969_105:
	s_or_b32 exec_lo, exec_lo, s0
	v_xor_b32_e32 v26, 0x80000000, v8
	; wave barrier
	s_delay_alu instid0(VALU_DEP_1) | instskip(NEXT) | instid1(VALU_DEP_1)
	v_lshrrev_b32_e32 v8, s16, v26
	v_and_b32_e32 v9, s6, v8
	s_delay_alu instid0(VALU_DEP_1) | instskip(SKIP_1) | instid1(VALU_DEP_1)
	v_lshlrev_b32_e32 v32, 30, v9
	v_bitop3_b32 v8, v8, 1, s6 bitop3:0x80
	v_add_co_u32 v8, s0, v8, -1
	s_delay_alu instid0(VALU_DEP_1) | instskip(NEXT) | instid1(VALU_DEP_4)
	v_cndmask_b32_e64 v29, 0, 1, s0
	v_cmp_gt_i32_e64 s0, 0, v32
	s_delay_alu instid0(VALU_DEP_2) | instskip(SKIP_1) | instid1(VALU_DEP_1)
	v_cmp_ne_u32_e32 vcc_lo, 0, v29
	v_not_b32_e32 v29, v32
	v_ashrrev_i32_e32 v29, 31, v29
	v_dual_lshlrev_b32 v34, 29, v9 :: v_dual_lshlrev_b32 v35, 28, v9
	v_dual_lshlrev_b32 v36, 27, v9 :: v_dual_lshlrev_b32 v38, 26, v9
	v_mad_u32 v40, 0x44, v9, v0
	s_delay_alu instid0(VALU_DEP_3)
	v_cmp_gt_i32_e64 s1, 0, v34
	v_not_b32_e32 v32, v34
	v_not_b32_e32 v34, v35
	v_dual_lshlrev_b32 v39, 25, v9 :: v_dual_lshlrev_b32 v9, 24, v9
	v_cmp_gt_i32_e64 s3, 0, v35
	v_cmp_gt_i32_e64 s4, 0, v36
	v_not_b32_e32 v35, v36
	v_not_b32_e32 v36, v38
	v_dual_ashrrev_i32 v34, 31, v34 :: v_dual_bitop2_b32 v8, vcc_lo, v8 bitop3:0x14
	v_dual_ashrrev_i32 v32, 31, v32 :: v_dual_bitop2_b32 v29, s0, v29 bitop3:0x14
	v_cmp_gt_i32_e64 s5, 0, v38
	s_delay_alu instid0(VALU_DEP_4) | instskip(NEXT) | instid1(VALU_DEP_4)
	v_dual_ashrrev_i32 v35, 31, v35 :: v_dual_ashrrev_i32 v36, 31, v36
	v_xor_b32_e32 v34, s3, v34
	s_delay_alu instid0(VALU_DEP_4)
	v_bitop3_b32 v8, v8, v29, exec_lo bitop3:0x80
	v_not_b32_e32 v29, v39
	v_xor_b32_e32 v32, s1, v32
	v_not_b32_e32 v38, v9
	v_xor_b32_e32 v35, s4, v35
	v_xor_b32_e32 v36, s5, v36
	v_cmp_gt_i32_e32 vcc_lo, 0, v39
	v_ashrrev_i32_e32 v29, 31, v29
	v_bitop3_b32 v8, v8, v34, v32 bitop3:0x80
	v_cmp_gt_i32_e64 s0, 0, v9
	v_ashrrev_i32_e32 v9, 31, v38
	ds_load_b32 v34, v40 offset:64
	v_xor_b32_e32 v29, vcc_lo, v29
	v_bitop3_b32 v8, v8, v36, v35 bitop3:0x80
	v_xor_b32_e32 v9, s0, v9
	; wave barrier
	s_delay_alu instid0(VALU_DEP_1) | instskip(NEXT) | instid1(VALU_DEP_1)
	v_bitop3_b32 v8, v8, v9, v29 bitop3:0x80
	v_mbcnt_lo_u32_b32 v35, v8, 0
	v_cmp_ne_u32_e64 s0, 0, v8
	s_delay_alu instid0(VALU_DEP_2) | instskip(SKIP_1) | instid1(SALU_CYCLE_1)
	v_cmp_eq_u32_e32 vcc_lo, 0, v35
	s_and_b32 s1, s0, vcc_lo
	s_and_saveexec_b32 s0, s1
	s_cbranch_execz .LBB969_107
; %bb.106:
	s_wait_dscnt 0x0
	v_bcnt_u32_b32 v8, v8, v34
	ds_store_b32 v40, v8 offset:64
.LBB969_107:
	s_or_b32 exec_lo, exec_lo, s0
	v_xor_b32_e32 v29, 0x80000000, v7
	; wave barrier
	s_delay_alu instid0(VALU_DEP_1) | instskip(NEXT) | instid1(VALU_DEP_1)
	v_lshrrev_b32_e32 v7, s16, v29
	v_and_b32_e32 v8, s6, v7
	s_delay_alu instid0(VALU_DEP_1) | instskip(SKIP_1) | instid1(VALU_DEP_1)
	v_lshlrev_b32_e32 v32, 30, v8
	v_bitop3_b32 v7, v7, 1, s6 bitop3:0x80
	v_add_co_u32 v7, s0, v7, -1
	s_delay_alu instid0(VALU_DEP_1) | instskip(NEXT) | instid1(VALU_DEP_4)
	v_cndmask_b32_e64 v9, 0, 1, s0
	v_cmp_gt_i32_e64 s0, 0, v32
	s_delay_alu instid0(VALU_DEP_2) | instskip(SKIP_1) | instid1(VALU_DEP_1)
	v_cmp_ne_u32_e32 vcc_lo, 0, v9
	v_not_b32_e32 v9, v32
	v_dual_ashrrev_i32 v9, 31, v9 :: v_dual_lshlrev_b32 v36, 29, v8
	v_dual_lshlrev_b32 v38, 28, v8 :: v_dual_lshlrev_b32 v39, 27, v8
	v_lshlrev_b32_e32 v41, 26, v8
	v_mad_u32 v44, 0x44, v8, v0
	s_delay_alu instid0(VALU_DEP_4)
	v_cmp_gt_i32_e64 s1, 0, v36
	v_not_b32_e32 v32, v36
	v_not_b32_e32 v36, v38
	v_dual_lshlrev_b32 v42, 25, v8 :: v_dual_lshlrev_b32 v8, 24, v8
	v_cmp_gt_i32_e64 s3, 0, v38
	v_cmp_gt_i32_e64 s4, 0, v39
	v_not_b32_e32 v38, v39
	v_not_b32_e32 v39, v41
	v_dual_ashrrev_i32 v32, 31, v32 :: v_dual_bitop2_b32 v7, vcc_lo, v7 bitop3:0x14
	v_dual_ashrrev_i32 v36, 31, v36 :: v_dual_bitop2_b32 v9, s0, v9 bitop3:0x14
	v_cmp_gt_i32_e64 s5, 0, v41
	s_delay_alu instid0(VALU_DEP_4) | instskip(SKIP_1) | instid1(VALU_DEP_4)
	v_dual_ashrrev_i32 v38, 31, v38 :: v_dual_ashrrev_i32 v39, 31, v39
	v_not_b32_e32 v41, v8
	v_xor_b32_e32 v36, s3, v36
	v_bitop3_b32 v7, v7, v9, exec_lo bitop3:0x80
	v_not_b32_e32 v9, v42
	v_xor_b32_e32 v32, s1, v32
	v_xor_b32_e32 v38, s4, v38
	;; [unrolled: 1-line block ×3, first 2 shown]
	v_cmp_gt_i32_e32 vcc_lo, 0, v42
	v_ashrrev_i32_e32 v9, 31, v9
	v_cmp_gt_i32_e64 s0, 0, v8
	v_ashrrev_i32_e32 v8, 31, v41
	v_bitop3_b32 v7, v7, v36, v32 bitop3:0x80
	s_delay_alu instid0(VALU_DEP_4) | instskip(NEXT) | instid1(VALU_DEP_3)
	v_xor_b32_e32 v9, vcc_lo, v9
	v_xor_b32_e32 v8, s0, v8
	s_delay_alu instid0(VALU_DEP_3) | instskip(SKIP_2) | instid1(VALU_DEP_1)
	v_bitop3_b32 v7, v7, v39, v38 bitop3:0x80
	ds_load_b32 v38, v44 offset:64
	; wave barrier
	v_bitop3_b32 v7, v7, v8, v9 bitop3:0x80
	v_mbcnt_lo_u32_b32 v39, v7, 0
	v_cmp_ne_u32_e64 s0, 0, v7
	s_delay_alu instid0(VALU_DEP_2) | instskip(SKIP_1) | instid1(SALU_CYCLE_1)
	v_cmp_eq_u32_e32 vcc_lo, 0, v39
	s_and_b32 s1, s0, vcc_lo
	s_and_saveexec_b32 s0, s1
	s_cbranch_execz .LBB969_109
; %bb.108:
	s_wait_dscnt 0x0
	v_bcnt_u32_b32 v7, v7, v38
	ds_store_b32 v44, v7 offset:64
.LBB969_109:
	s_or_b32 exec_lo, exec_lo, s0
	v_xor_b32_e32 v32, 0x80000000, v6
	; wave barrier
	s_delay_alu instid0(VALU_DEP_1) | instskip(NEXT) | instid1(VALU_DEP_1)
	v_lshrrev_b32_e32 v6, s16, v32
	v_and_b32_e32 v7, s6, v6
	s_delay_alu instid0(VALU_DEP_1) | instskip(SKIP_1) | instid1(VALU_DEP_1)
	v_lshlrev_b32_e32 v9, 30, v7
	v_bitop3_b32 v6, v6, 1, s6 bitop3:0x80
	v_add_co_u32 v6, s0, v6, -1
	s_delay_alu instid0(VALU_DEP_1) | instskip(NEXT) | instid1(VALU_DEP_4)
	v_cndmask_b32_e64 v8, 0, 1, s0
	v_cmp_gt_i32_e64 s0, 0, v9
	s_delay_alu instid0(VALU_DEP_2) | instskip(SKIP_1) | instid1(VALU_DEP_1)
	v_cmp_ne_u32_e32 vcc_lo, 0, v8
	v_not_b32_e32 v8, v9
	v_dual_ashrrev_i32 v8, 31, v8 :: v_dual_lshlrev_b32 v36, 29, v7
	v_dual_lshlrev_b32 v41, 28, v7 :: v_dual_lshlrev_b32 v42, 27, v7
	v_lshlrev_b32_e32 v43, 26, v7
	v_mad_u32 v47, 0x44, v7, v0
	s_delay_alu instid0(VALU_DEP_4)
	v_cmp_gt_i32_e64 s1, 0, v36
	v_not_b32_e32 v9, v36
	v_not_b32_e32 v36, v41
	v_dual_lshlrev_b32 v45, 25, v7 :: v_dual_lshlrev_b32 v7, 24, v7
	v_cmp_gt_i32_e64 s3, 0, v41
	v_cmp_gt_i32_e64 s4, 0, v42
	v_not_b32_e32 v41, v42
	v_not_b32_e32 v42, v43
	v_dual_ashrrev_i32 v9, 31, v9 :: v_dual_bitop2_b32 v6, vcc_lo, v6 bitop3:0x14
	s_delay_alu instid0(VALU_DEP_3) | instskip(NEXT) | instid1(VALU_DEP_3)
	v_dual_ashrrev_i32 v36, 31, v36 :: v_dual_ashrrev_i32 v41, 31, v41
	v_dual_ashrrev_i32 v42, 31, v42 :: v_dual_bitop2_b32 v8, s0, v8 bitop3:0x14
	v_cmp_gt_i32_e64 s5, 0, v43
	v_not_b32_e32 v43, v7
	s_delay_alu instid0(VALU_DEP_4) | instskip(NEXT) | instid1(VALU_DEP_4)
	v_xor_b32_e32 v36, s3, v36
	v_bitop3_b32 v6, v6, v8, exec_lo bitop3:0x80
	v_not_b32_e32 v8, v45
	v_xor_b32_e32 v9, s1, v9
	v_xor_b32_e32 v41, s4, v41
	;; [unrolled: 1-line block ×3, first 2 shown]
	v_cmp_gt_i32_e32 vcc_lo, 0, v45
	v_ashrrev_i32_e32 v8, 31, v8
	v_cmp_gt_i32_e64 s0, 0, v7
	v_ashrrev_i32_e32 v7, 31, v43
	v_bitop3_b32 v6, v6, v36, v9 bitop3:0x80
	s_delay_alu instid0(VALU_DEP_4) | instskip(NEXT) | instid1(VALU_DEP_3)
	v_xor_b32_e32 v8, vcc_lo, v8
	v_xor_b32_e32 v7, s0, v7
	s_delay_alu instid0(VALU_DEP_3) | instskip(SKIP_2) | instid1(VALU_DEP_1)
	v_bitop3_b32 v6, v6, v42, v41 bitop3:0x80
	ds_load_b32 v42, v47 offset:64
	; wave barrier
	v_bitop3_b32 v6, v6, v7, v8 bitop3:0x80
	v_mbcnt_lo_u32_b32 v43, v6, 0
	v_cmp_ne_u32_e64 s0, 0, v6
	s_delay_alu instid0(VALU_DEP_2) | instskip(SKIP_1) | instid1(SALU_CYCLE_1)
	v_cmp_eq_u32_e32 vcc_lo, 0, v43
	s_and_b32 s1, s0, vcc_lo
	s_and_saveexec_b32 s0, s1
	s_cbranch_execz .LBB969_111
; %bb.110:
	s_wait_dscnt 0x0
	v_bcnt_u32_b32 v6, v6, v42
	ds_store_b32 v47, v6 offset:64
.LBB969_111:
	s_or_b32 exec_lo, exec_lo, s0
	v_xor_b32_e32 v36, 0x80000000, v4
	; wave barrier
	s_delay_alu instid0(VALU_DEP_1) | instskip(NEXT) | instid1(VALU_DEP_1)
	v_lshrrev_b32_e32 v4, s16, v36
	v_and_b32_e32 v6, s6, v4
	s_delay_alu instid0(VALU_DEP_1) | instskip(SKIP_1) | instid1(VALU_DEP_1)
	v_lshlrev_b32_e32 v8, 30, v6
	v_bitop3_b32 v4, v4, 1, s6 bitop3:0x80
	v_add_co_u32 v4, s0, v4, -1
	s_delay_alu instid0(VALU_DEP_1) | instskip(NEXT) | instid1(VALU_DEP_4)
	v_cndmask_b32_e64 v7, 0, 1, s0
	v_cmp_gt_i32_e64 s0, 0, v8
	s_delay_alu instid0(VALU_DEP_2) | instskip(SKIP_1) | instid1(VALU_DEP_1)
	v_cmp_ne_u32_e32 vcc_lo, 0, v7
	v_not_b32_e32 v7, v8
	v_dual_ashrrev_i32 v7, 31, v7 :: v_dual_lshlrev_b32 v9, 29, v6
	v_dual_lshlrev_b32 v41, 28, v6 :: v_dual_lshlrev_b32 v45, 27, v6
	v_lshlrev_b32_e32 v46, 26, v6
	v_mad_u32 v51, 0x44, v6, v0
	s_delay_alu instid0(VALU_DEP_4)
	v_cmp_gt_i32_e64 s1, 0, v9
	v_not_b32_e32 v8, v9
	v_not_b32_e32 v9, v41
	v_dual_lshlrev_b32 v48, 25, v6 :: v_dual_lshlrev_b32 v6, 24, v6
	v_cmp_gt_i32_e64 s3, 0, v41
	v_cmp_gt_i32_e64 s4, 0, v45
	v_not_b32_e32 v41, v45
	v_not_b32_e32 v45, v46
	v_dual_ashrrev_i32 v9, 31, v9 :: v_dual_bitop2_b32 v4, vcc_lo, v4 bitop3:0x14
	v_dual_ashrrev_i32 v8, 31, v8 :: v_dual_bitop2_b32 v7, s0, v7 bitop3:0x14
	v_cmp_gt_i32_e64 s5, 0, v46
	v_ashrrev_i32_e32 v41, 31, v41
	v_not_b32_e32 v46, v6
	s_delay_alu instid0(VALU_DEP_4)
	v_xor_b32_e32 v8, s1, v8
	v_xor_b32_e32 v9, s3, v9
	v_bitop3_b32 v4, v4, v7, exec_lo bitop3:0x80
	v_not_b32_e32 v7, v48
	v_ashrrev_i32_e32 v45, 31, v45
	v_xor_b32_e32 v41, s4, v41
	v_cmp_gt_i32_e32 vcc_lo, 0, v48
	v_cmp_gt_i32_e64 s0, 0, v6
	s_delay_alu instid0(VALU_DEP_4)
	v_dual_ashrrev_i32 v7, 31, v7 :: v_dual_bitop2_b32 v45, s5, v45 bitop3:0x14
	v_ashrrev_i32_e32 v6, 31, v46
	v_bitop3_b32 v4, v4, v9, v8 bitop3:0x80
	ds_load_b32 v46, v51 offset:64
	v_xor_b32_e32 v7, vcc_lo, v7
	v_xor_b32_e32 v6, s0, v6
	v_bitop3_b32 v4, v4, v45, v41 bitop3:0x80
	; wave barrier
	s_delay_alu instid0(VALU_DEP_1) | instskip(NEXT) | instid1(VALU_DEP_1)
	v_bitop3_b32 v4, v4, v6, v7 bitop3:0x80
	v_mbcnt_lo_u32_b32 v48, v4, 0
	v_cmp_ne_u32_e64 s0, 0, v4
	s_delay_alu instid0(VALU_DEP_2) | instskip(SKIP_1) | instid1(SALU_CYCLE_1)
	v_cmp_eq_u32_e32 vcc_lo, 0, v48
	s_and_b32 s1, s0, vcc_lo
	s_and_saveexec_b32 s0, s1
	s_cbranch_execz .LBB969_113
; %bb.112:
	s_wait_dscnt 0x0
	v_bcnt_u32_b32 v4, v4, v46
	ds_store_b32 v51, v4 offset:64
.LBB969_113:
	s_or_b32 exec_lo, exec_lo, s0
	v_xor_b32_e32 v41, 0x80000000, v3
	; wave barrier
	s_delay_alu instid0(VALU_DEP_1) | instskip(NEXT) | instid1(VALU_DEP_1)
	v_lshrrev_b32_e32 v3, s16, v41
	v_and_b32_e32 v4, s6, v3
	s_delay_alu instid0(VALU_DEP_1) | instskip(SKIP_1) | instid1(VALU_DEP_1)
	v_lshlrev_b32_e32 v7, 30, v4
	v_bitop3_b32 v3, v3, 1, s6 bitop3:0x80
	v_add_co_u32 v3, s0, v3, -1
	s_delay_alu instid0(VALU_DEP_1) | instskip(NEXT) | instid1(VALU_DEP_4)
	v_cndmask_b32_e64 v6, 0, 1, s0
	v_cmp_gt_i32_e64 s0, 0, v7
	s_delay_alu instid0(VALU_DEP_2) | instskip(SKIP_1) | instid1(VALU_DEP_1)
	v_cmp_ne_u32_e32 vcc_lo, 0, v6
	v_not_b32_e32 v6, v7
	v_dual_ashrrev_i32 v6, 31, v6 :: v_dual_lshlrev_b32 v8, 29, v4
	v_dual_lshlrev_b32 v9, 28, v4 :: v_dual_lshlrev_b32 v45, 27, v4
	v_lshlrev_b32_e32 v49, 26, v4
	v_mad_u32 v54, 0x44, v4, v0
	s_delay_alu instid0(VALU_DEP_4)
	v_cmp_gt_i32_e64 s1, 0, v8
	v_not_b32_e32 v7, v8
	v_not_b32_e32 v8, v9
	v_dual_lshlrev_b32 v50, 25, v4 :: v_dual_lshlrev_b32 v4, 24, v4
	v_cmp_gt_i32_e64 s3, 0, v9
	v_cmp_gt_i32_e64 s4, 0, v45
	v_not_b32_e32 v9, v45
	v_not_b32_e32 v45, v49
	v_dual_ashrrev_i32 v8, 31, v8 :: v_dual_bitop2_b32 v3, vcc_lo, v3 bitop3:0x14
	v_dual_ashrrev_i32 v7, 31, v7 :: v_dual_bitop2_b32 v6, s0, v6 bitop3:0x14
	v_cmp_gt_i32_e64 s5, 0, v49
	v_ashrrev_i32_e32 v9, 31, v9
	s_delay_alu instid0(VALU_DEP_4) | instskip(NEXT) | instid1(VALU_DEP_4)
	v_dual_ashrrev_i32 v45, 31, v45 :: v_dual_bitop2_b32 v8, s3, v8 bitop3:0x14
	v_xor_b32_e32 v7, s1, v7
	v_bitop3_b32 v3, v3, v6, exec_lo bitop3:0x80
	v_not_b32_e32 v6, v50
	v_not_b32_e32 v49, v4
	v_xor_b32_e32 v9, s4, v9
	v_xor_b32_e32 v45, s5, v45
	v_bitop3_b32 v3, v3, v8, v7 bitop3:0x80
	v_cmp_gt_i32_e32 vcc_lo, 0, v50
	v_ashrrev_i32_e32 v6, 31, v6
	v_cmp_gt_i32_e64 s0, 0, v4
	v_ashrrev_i32_e32 v4, 31, v49
	v_bitop3_b32 v3, v3, v45, v9 bitop3:0x80
	ds_load_b32 v50, v54 offset:64
	v_xor_b32_e32 v6, vcc_lo, v6
	v_xor_b32_e32 v4, s0, v4
	; wave barrier
	s_delay_alu instid0(VALU_DEP_1) | instskip(NEXT) | instid1(VALU_DEP_1)
	v_bitop3_b32 v3, v3, v4, v6 bitop3:0x80
	v_mbcnt_lo_u32_b32 v52, v3, 0
	v_cmp_ne_u32_e64 s0, 0, v3
	s_delay_alu instid0(VALU_DEP_2) | instskip(SKIP_1) | instid1(SALU_CYCLE_1)
	v_cmp_eq_u32_e32 vcc_lo, 0, v52
	s_and_b32 s1, s0, vcc_lo
	s_and_saveexec_b32 s0, s1
	s_cbranch_execz .LBB969_115
; %bb.114:
	s_wait_dscnt 0x0
	v_bcnt_u32_b32 v3, v3, v50
	ds_store_b32 v54, v3 offset:64
.LBB969_115:
	s_or_b32 exec_lo, exec_lo, s0
	v_xor_b32_e32 v45, 0x80000000, v2
	; wave barrier
	s_delay_alu instid0(VALU_DEP_1) | instskip(NEXT) | instid1(VALU_DEP_1)
	v_lshrrev_b32_e32 v2, s16, v45
	v_and_b32_e32 v3, s6, v2
	s_delay_alu instid0(VALU_DEP_1) | instskip(SKIP_1) | instid1(VALU_DEP_1)
	v_lshlrev_b32_e32 v6, 30, v3
	v_bitop3_b32 v2, v2, 1, s6 bitop3:0x80
	v_add_co_u32 v2, s0, v2, -1
	s_delay_alu instid0(VALU_DEP_1) | instskip(NEXT) | instid1(VALU_DEP_4)
	v_cndmask_b32_e64 v4, 0, 1, s0
	v_cmp_gt_i32_e64 s0, 0, v6
	s_delay_alu instid0(VALU_DEP_2) | instskip(SKIP_1) | instid1(VALU_DEP_1)
	v_cmp_ne_u32_e32 vcc_lo, 0, v4
	v_not_b32_e32 v4, v6
	v_dual_ashrrev_i32 v4, 31, v4 :: v_dual_lshlrev_b32 v7, 29, v3
	v_dual_lshlrev_b32 v8, 28, v3 :: v_dual_lshlrev_b32 v9, 27, v3
	v_lshlrev_b32_e32 v49, 26, v3
	v_mad_u32 v56, 0x44, v3, v0
	s_delay_alu instid0(VALU_DEP_4)
	v_cmp_gt_i32_e64 s1, 0, v7
	v_not_b32_e32 v6, v7
	v_not_b32_e32 v7, v8
	v_dual_lshlrev_b32 v53, 25, v3 :: v_dual_lshlrev_b32 v3, 24, v3
	v_cmp_gt_i32_e64 s3, 0, v8
	v_cmp_gt_i32_e64 s4, 0, v9
	v_not_b32_e32 v8, v9
	v_not_b32_e32 v9, v49
	v_dual_ashrrev_i32 v7, 31, v7 :: v_dual_bitop2_b32 v2, vcc_lo, v2 bitop3:0x14
	v_dual_ashrrev_i32 v6, 31, v6 :: v_dual_bitop2_b32 v4, s0, v4 bitop3:0x14
	v_cmp_gt_i32_e64 s5, 0, v49
	s_delay_alu instid0(VALU_DEP_4)
	v_dual_ashrrev_i32 v8, 31, v8 :: v_dual_ashrrev_i32 v9, 31, v9
	v_not_b32_e32 v49, v3
	v_xor_b32_e32 v7, s3, v7
	v_bitop3_b32 v2, v2, v4, exec_lo bitop3:0x80
	v_not_b32_e32 v4, v53
	v_xor_b32_e32 v6, s1, v6
	v_xor_b32_e32 v8, s4, v8
	;; [unrolled: 1-line block ×3, first 2 shown]
	v_cmp_gt_i32_e32 vcc_lo, 0, v53
	v_ashrrev_i32_e32 v4, 31, v4
	v_cmp_gt_i32_e64 s0, 0, v3
	v_ashrrev_i32_e32 v3, 31, v49
	v_bitop3_b32 v2, v2, v7, v6 bitop3:0x80
	ds_load_b32 v53, v56 offset:64
	v_xor_b32_e32 v4, vcc_lo, v4
	v_xor_b32_e32 v3, s0, v3
	v_bitop3_b32 v2, v2, v9, v8 bitop3:0x80
	; wave barrier
	s_delay_alu instid0(VALU_DEP_1) | instskip(NEXT) | instid1(VALU_DEP_1)
	v_bitop3_b32 v2, v2, v3, v4 bitop3:0x80
	v_mbcnt_lo_u32_b32 v55, v2, 0
	v_cmp_ne_u32_e64 s0, 0, v2
	s_delay_alu instid0(VALU_DEP_2) | instskip(SKIP_1) | instid1(SALU_CYCLE_1)
	v_cmp_eq_u32_e32 vcc_lo, 0, v55
	s_and_b32 s1, s0, vcc_lo
	s_and_saveexec_b32 s0, s1
	s_cbranch_execz .LBB969_117
; %bb.116:
	s_wait_dscnt 0x0
	v_bcnt_u32_b32 v2, v2, v53
	ds_store_b32 v56, v2 offset:64
.LBB969_117:
	s_or_b32 exec_lo, exec_lo, s0
	v_xor_b32_e32 v49, 0x80000000, v1
	; wave barrier
	s_delay_alu instid0(VALU_DEP_1) | instskip(NEXT) | instid1(VALU_DEP_1)
	v_lshrrev_b32_e32 v1, s16, v49
	v_and_b32_e32 v2, s6, v1
	s_delay_alu instid0(VALU_DEP_1) | instskip(SKIP_2) | instid1(VALU_DEP_2)
	v_lshlrev_b32_e32 v3, 30, v2
	v_bitop3_b32 v1, v1, 1, s6 bitop3:0x80
	v_mad_u32 v59, 0x44, v2, v0
	v_add_co_u32 v0, s0, v1, -1
	s_delay_alu instid0(VALU_DEP_1) | instskip(SKIP_4) | instid1(VALU_DEP_1)
	v_cndmask_b32_e64 v1, 0, 1, s0
	v_cmp_gt_i32_e64 s0, 0, v3
	ds_load_b32 v57, v59 offset:64
	v_cmp_ne_u32_e32 vcc_lo, 0, v1
	v_not_b32_e32 v1, v3
	; wave barrier
	v_dual_ashrrev_i32 v1, 31, v1 :: v_dual_lshlrev_b32 v4, 29, v2
	v_dual_lshlrev_b32 v6, 28, v2 :: v_dual_lshlrev_b32 v7, 27, v2
	v_dual_lshlrev_b32 v8, 26, v2 :: v_dual_lshlrev_b32 v9, 25, v2
	v_lshlrev_b32_e32 v2, 24, v2
	s_delay_alu instid0(VALU_DEP_4)
	v_cmp_gt_i32_e64 s1, 0, v4
	v_not_b32_e32 v3, v4
	v_not_b32_e32 v4, v6
	v_cmp_gt_i32_e64 s3, 0, v6
	v_cmp_gt_i32_e64 s4, 0, v7
	v_not_b32_e32 v6, v7
	v_not_b32_e32 v7, v8
	v_dual_ashrrev_i32 v3, 31, v3 :: v_dual_bitop2_b32 v0, vcc_lo, v0 bitop3:0x14
	v_dual_ashrrev_i32 v4, 31, v4 :: v_dual_bitop2_b32 v1, s0, v1 bitop3:0x14
	v_cmp_gt_i32_e64 s5, 0, v8
	s_delay_alu instid0(VALU_DEP_4) | instskip(NEXT) | instid1(VALU_DEP_3)
	v_dual_ashrrev_i32 v6, 31, v6 :: v_dual_ashrrev_i32 v7, 31, v7
	v_xor_b32_e32 v4, s3, v4
	s_delay_alu instid0(VALU_DEP_4)
	v_bitop3_b32 v0, v0, v1, exec_lo bitop3:0x80
	v_not_b32_e32 v1, v9
	v_xor_b32_e32 v3, s1, v3
	v_not_b32_e32 v8, v2
	v_xor_b32_e32 v6, s4, v6
	v_xor_b32_e32 v7, s5, v7
	v_cmp_gt_i32_e32 vcc_lo, 0, v9
	v_ashrrev_i32_e32 v1, 31, v1
	v_bitop3_b32 v0, v0, v4, v3 bitop3:0x80
	v_cmp_gt_i32_e64 s0, 0, v2
	s_delay_alu instid0(VALU_DEP_3) | instskip(NEXT) | instid1(VALU_DEP_3)
	v_dual_ashrrev_i32 v2, 31, v8 :: v_dual_bitop2_b32 v1, vcc_lo, v1 bitop3:0x14
	v_bitop3_b32 v0, v0, v7, v6 bitop3:0x80
	s_delay_alu instid0(VALU_DEP_2) | instskip(NEXT) | instid1(VALU_DEP_1)
	v_xor_b32_e32 v2, s0, v2
	v_bitop3_b32 v0, v0, v2, v1 bitop3:0x80
	s_delay_alu instid0(VALU_DEP_1) | instskip(SKIP_1) | instid1(VALU_DEP_2)
	v_mbcnt_lo_u32_b32 v58, v0, 0
	v_cmp_ne_u32_e64 s0, 0, v0
	v_cmp_eq_u32_e32 vcc_lo, 0, v58
	s_and_b32 s1, s0, vcc_lo
	s_delay_alu instid0(SALU_CYCLE_1)
	s_and_saveexec_b32 s0, s1
	s_cbranch_execz .LBB969_119
; %bb.118:
	s_wait_dscnt 0x0
	v_bcnt_u32_b32 v0, v0, v57
	ds_store_b32 v59, v0 offset:64
.LBB969_119:
	s_or_b32 exec_lo, exec_lo, s0
	; wave barrier
	s_wait_dscnt 0x0
	s_barrier_signal -1
	s_barrier_wait -1
	ds_load_2addr_b32 v[8:9], v10 offset0:16 offset1:17
	ds_load_2addr_b32 v[6:7], v10 offset0:18 offset1:19
	;; [unrolled: 1-line block ×4, first 2 shown]
	ds_load_b32 v4, v10 offset:96
	v_min_u32_e32 v16, 0x1e0, v16
	s_mov_b32 s5, exec_lo
	s_wait_dscnt 0x3
	v_add3_u32 v60, v9, v8, v6
	s_wait_dscnt 0x2
	s_delay_alu instid0(VALU_DEP_1) | instskip(SKIP_1) | instid1(VALU_DEP_1)
	v_add3_u32 v60, v60, v7, v2
	s_wait_dscnt 0x1
	v_add3_u32 v60, v60, v3, v0
	s_wait_dscnt 0x0
	s_delay_alu instid0(VALU_DEP_1) | instskip(SKIP_1) | instid1(VALU_DEP_2)
	v_add3_u32 v4, v60, v1, v4
	v_and_b32_e32 v60, 15, v15
	v_mov_b32_dpp v61, v4 row_shr:1 row_mask:0xf bank_mask:0xf
	s_delay_alu instid0(VALU_DEP_2) | instskip(NEXT) | instid1(VALU_DEP_2)
	v_cmp_eq_u32_e32 vcc_lo, 0, v60
	v_cndmask_b32_e64 v61, v61, 0, vcc_lo
	s_delay_alu instid0(VALU_DEP_1) | instskip(SKIP_3) | instid1(VALU_DEP_4)
	v_add_nc_u32_e32 v4, v61, v4
	v_cmp_lt_u32_e64 s0, 1, v60
	v_cmp_lt_u32_e64 s1, 3, v60
	;; [unrolled: 1-line block ×3, first 2 shown]
	v_mov_b32_dpp v61, v4 row_shr:2 row_mask:0xf bank_mask:0xf
	s_delay_alu instid0(VALU_DEP_1) | instskip(NEXT) | instid1(VALU_DEP_1)
	v_cndmask_b32_e64 v61, 0, v61, s0
	v_add_nc_u32_e32 v4, v4, v61
	s_delay_alu instid0(VALU_DEP_1) | instskip(NEXT) | instid1(VALU_DEP_1)
	v_mov_b32_dpp v61, v4 row_shr:4 row_mask:0xf bank_mask:0xf
	v_cndmask_b32_e64 v61, 0, v61, s1
	s_delay_alu instid0(VALU_DEP_1) | instskip(NEXT) | instid1(VALU_DEP_1)
	v_add_nc_u32_e32 v4, v4, v61
	v_mov_b32_dpp v61, v4 row_shr:8 row_mask:0xf bank_mask:0xf
	s_delay_alu instid0(VALU_DEP_1) | instskip(SKIP_1) | instid1(VALU_DEP_2)
	v_cndmask_b32_e64 v60, 0, v61, s3
	v_bfe_i32 v61, v15, 4, 1
	v_add_nc_u32_e32 v4, v4, v60
	ds_swizzle_b32 v60, v4 offset:swizzle(BROADCAST,32,15)
	s_wait_dscnt 0x0
	v_dual_lshrrev_b32 v60, 5, v14 :: v_dual_bitop2_b32 v61, v61, v60 bitop3:0x40
	s_delay_alu instid0(VALU_DEP_1) | instskip(NEXT) | instid1(VALU_DEP_1)
	v_dual_add_nc_u32 v16, v4, v61 :: v_dual_bitop2_b32 v62, 31, v16 bitop3:0x54
	v_cmpx_eq_u32_e64 v14, v62
; %bb.120:
	s_delay_alu instid0(VALU_DEP_3)
	v_lshlrev_b32_e32 v4, 2, v60
	ds_store_b32 v4, v16
; %bb.121:
	s_or_b32 exec_lo, exec_lo, s5
	v_lshlrev_b32_e32 v4, 2, v14
	s_mov_b32 s5, exec_lo
	s_wait_dscnt 0x0
	s_barrier_signal -1
	s_barrier_wait -1
	v_cmpx_gt_u32_e32 16, v14
	s_cbranch_execz .LBB969_123
; %bb.122:
	ds_load_b32 v61, v4
	s_wait_dscnt 0x0
	v_mov_b32_dpp v62, v61 row_shr:1 row_mask:0xf bank_mask:0xf
	s_delay_alu instid0(VALU_DEP_1) | instskip(NEXT) | instid1(VALU_DEP_1)
	v_cndmask_b32_e64 v62, v62, 0, vcc_lo
	v_add_nc_u32_e32 v61, v62, v61
	s_delay_alu instid0(VALU_DEP_1) | instskip(NEXT) | instid1(VALU_DEP_1)
	v_mov_b32_dpp v62, v61 row_shr:2 row_mask:0xf bank_mask:0xf
	v_cndmask_b32_e64 v62, 0, v62, s0
	s_delay_alu instid0(VALU_DEP_1) | instskip(NEXT) | instid1(VALU_DEP_1)
	v_add_nc_u32_e32 v61, v61, v62
	v_mov_b32_dpp v62, v61 row_shr:4 row_mask:0xf bank_mask:0xf
	s_delay_alu instid0(VALU_DEP_1) | instskip(NEXT) | instid1(VALU_DEP_1)
	v_cndmask_b32_e64 v62, 0, v62, s1
	v_add_nc_u32_e32 v61, v61, v62
	s_delay_alu instid0(VALU_DEP_1) | instskip(NEXT) | instid1(VALU_DEP_1)
	v_mov_b32_dpp v62, v61 row_shr:8 row_mask:0xf bank_mask:0xf
	v_cndmask_b32_e64 v62, 0, v62, s3
	s_delay_alu instid0(VALU_DEP_1)
	v_add_nc_u32_e32 v61, v61, v62
	ds_store_b32 v4, v61
.LBB969_123:
	s_or_b32 exec_lo, exec_lo, s5
	v_mov_b32_e32 v61, 0
	s_mov_b32 s0, exec_lo
	s_wait_dscnt 0x0
	s_barrier_signal -1
	s_barrier_wait -1
	v_cmpx_lt_u32_e32 31, v14
; %bb.124:
	v_lshl_add_u32 v60, v60, 2, -4
	ds_load_b32 v61, v60
; %bb.125:
	s_or_b32 exec_lo, exec_lo, s0
	v_sub_co_u32 v60, vcc_lo, v15, 1
	s_wait_dscnt 0x0
	v_add_nc_u32_e32 v16, v61, v16
	s_delay_alu instid0(VALU_DEP_2) | instskip(NEXT) | instid1(VALU_DEP_1)
	v_cmp_gt_i32_e64 s0, 0, v60
	v_cndmask_b32_e64 v15, v60, v15, s0
	v_cmp_lt_u32_e64 s0, 0xff, v14
	s_delay_alu instid0(VALU_DEP_2) | instskip(SKIP_4) | instid1(VALU_DEP_2)
	v_lshlrev_b32_e32 v15, 2, v15
	ds_bpermute_b32 v15, v15, v16
	s_wait_dscnt 0x0
	v_cndmask_b32_e32 v15, v15, v61, vcc_lo
	v_cmp_gt_u32_e32 vcc_lo, 0x100, v14
	v_cndmask_b32_e64 v15, v15, 0, s2
	s_delay_alu instid0(VALU_DEP_1) | instskip(NEXT) | instid1(VALU_DEP_1)
	v_add_nc_u32_e32 v8, v15, v8
	v_add_nc_u32_e32 v9, v8, v9
	s_delay_alu instid0(VALU_DEP_1) | instskip(NEXT) | instid1(VALU_DEP_1)
	v_add_nc_u32_e32 v6, v9, v6
	v_add_nc_u32_e32 v7, v6, v7
	;; [unrolled: 3-line block ×4, first 2 shown]
	ds_store_2addr_b32 v10, v15, v8 offset0:16 offset1:17
	ds_store_2addr_b32 v10, v9, v6 offset0:18 offset1:19
	;; [unrolled: 1-line block ×4, first 2 shown]
	ds_store_b32 v10, v1 offset:96
	s_wait_dscnt 0x0
	s_barrier_signal -1
	s_barrier_wait -1
	ds_load_b32 v62, v11 offset:64
	ds_load_b32 v60, v12 offset:64
	;; [unrolled: 1-line block ×12, first 2 shown]
	v_mov_b64_e32 v[0:1], 0
                                        ; implicit-def: $vgpr2
	s_and_saveexec_b32 s2, vcc_lo
	s_cbranch_execz .LBB969_129
; %bb.126:
	v_mul_u32_u24_e32 v0, 0x44, v14
	v_dual_mov_b32 v1, 0x1800 :: v_dual_add_nc_u32 v2, 1, v14
	s_mov_b32 s3, exec_lo
	ds_load_b32 v0, v0 offset:64
	v_cmpx_ne_u32_e32 0x100, v2
; %bb.127:
	v_mul_u32_u24_e32 v1, 0x44, v2
	ds_load_b32 v1, v1 offset:64
; %bb.128:
	s_or_b32 exec_lo, exec_lo, s3
	s_wait_dscnt 0x0
	v_dual_mov_b32 v1, 0 :: v_dual_sub_nc_u32 v2, v1, v0
.LBB969_129:
	s_or_b32 exec_lo, exec_lo, s2
	v_dual_mov_b32 v7, 0 :: v_dual_lshlrev_b32 v3, 3, v14
	s_wait_dscnt 0x0
	s_barrier_signal -1
	s_barrier_wait -1
	s_and_saveexec_b32 s1, vcc_lo
	s_cbranch_execz .LBB969_139
; %bb.130:
	v_lshl_add_u32 v6, s19, 8, v14
	v_dual_mov_b32 v10, 0 :: v_dual_bitop2_b32 v11, 2.0, v2 bitop3:0x54
	s_mov_b32 s2, 0
	s_mov_b32 s3, s19
	s_delay_alu instid0(VALU_DEP_2)
	v_lshl_add_u64 v[8:9], v[6:7], 2, s[20:21]
	global_store_b32 v6, v11, s[20:21] scale_offset scope:SCOPE_DEV
                                        ; implicit-def: $sgpr4
	s_branch .LBB969_133
.LBB969_131:                            ;   in Loop: Header=BB969_133 Depth=1
	s_or_b32 exec_lo, exec_lo, s5
.LBB969_132:                            ;   in Loop: Header=BB969_133 Depth=1
	s_delay_alu instid0(SALU_CYCLE_1) | instskip(SKIP_2) | instid1(VALU_DEP_2)
	s_or_b32 exec_lo, exec_lo, s4
	v_and_b32_e32 v6, 0x3fffffff, v11
	v_cmp_gt_i32_e64 s4, -2.0, v11
	v_add_nc_u32_e32 v10, v6, v10
	s_and_b32 s5, exec_lo, s4
	s_delay_alu instid0(SALU_CYCLE_1) | instskip(NEXT) | instid1(SALU_CYCLE_1)
	s_or_b32 s2, s5, s2
	s_and_not1_b32 exec_lo, exec_lo, s2
	s_cbranch_execz .LBB969_138
.LBB969_133:                            ; =>This Loop Header: Depth=1
                                        ;     Child Loop BB969_136 Depth 2
	s_or_b32 s4, s4, exec_lo
	s_cmp_eq_u32 s3, 0
	s_cbranch_scc1 .LBB969_137
; %bb.134:                              ;   in Loop: Header=BB969_133 Depth=1
	s_add_co_i32 s3, s3, -1
	s_mov_b32 s4, exec_lo
	s_wait_xcnt 0x0
	v_lshl_or_b32 v6, s3, 8, v14
	global_load_b32 v11, v6, s[20:21] scale_offset scope:SCOPE_DEV
	s_wait_loadcnt 0x0
	v_cmpx_gt_u32_e32 2.0, v11
	s_cbranch_execz .LBB969_132
; %bb.135:                              ;   in Loop: Header=BB969_133 Depth=1
	v_lshl_add_u64 v[12:13], v[6:7], 2, s[20:21]
	s_mov_b32 s5, 0
.LBB969_136:                            ;   Parent Loop BB969_133 Depth=1
                                        ; =>  This Inner Loop Header: Depth=2
	global_load_b32 v11, v[12:13], off scope:SCOPE_DEV
	s_wait_loadcnt 0x0
	v_cmp_lt_u32_e32 vcc_lo, 0x3fffffff, v11
	s_or_b32 s5, vcc_lo, s5
	s_wait_xcnt 0x0
	s_and_not1_b32 exec_lo, exec_lo, s5
	s_cbranch_execnz .LBB969_136
	s_branch .LBB969_131
.LBB969_137:                            ;   in Loop: Header=BB969_133 Depth=1
                                        ; implicit-def: $sgpr3
	s_and_b32 s5, exec_lo, s4
	s_delay_alu instid0(SALU_CYCLE_1)
	s_or_b32 s2, s5, s2
	s_wait_xcnt 0x0
	s_and_not1_b32 exec_lo, exec_lo, s2
	s_cbranch_execnz .LBB969_133
.LBB969_138:
	s_or_b32 exec_lo, exec_lo, s2
	v_dual_mov_b32 v11, 0 :: v_dual_add_nc_u32 v6, v10, v2
	s_delay_alu instid0(VALU_DEP_1) | instskip(SKIP_4) | instid1(VALU_DEP_1)
	v_or_b32_e32 v6, 0x80000000, v6
	global_store_b32 v[8:9], v6, off scope:SCOPE_DEV
	global_load_b64 v[6:7], v14, s[8:9] scale_offset
	v_sub_nc_u64_e32 v[8:9], v[10:11], v[0:1]
	s_wait_loadcnt 0x0
	v_add_nc_u64_e32 v[6:7], v[8:9], v[6:7]
	ds_store_b64 v3, v[6:7]
.LBB969_139:
	s_wait_xcnt 0x0
	s_or_b32 exec_lo, exec_lo, s1
	v_dual_add_nc_u32 v6, v62, v5 :: v_dual_sub_nc_u32 v56, 0, v4
	v_mov_b32_e32 v5, 0
	v_add3_u32 v21, v22, v60, v21
	v_add3_u32 v7, v58, v54, v57
	;; [unrolled: 1-line block ×3, first 2 shown]
	v_add_nc_u32_e32 v22, v3, v56
	v_add_nc_u64_e32 v[4:5], s[14:15], v[4:5]
	v_add3_u32 v9, v52, v47, v50
	v_add3_u32 v10, v48, v44, v46
	;; [unrolled: 1-line block ×6, first 2 shown]
	v_add_nc_u64_e32 v[4:5], 0x2000, v[4:5]
	v_add3_u32 v16, v28, v16, v27
	v_add3_u32 v24, v25, v61, v24
	v_mov_b32_e32 v25, v14
	s_mov_b32 s1, 0
	s_mov_b32 s2, -1
	s_branch .LBB969_141
.LBB969_140:                            ;   in Loop: Header=BB969_141 Depth=1
	s_wait_xcnt 0x0
	s_or_b32 exec_lo, exec_lo, s3
	v_add_nc_u64_e32 v[4:5], 0x4000, v[4:5]
	v_add_nc_u32_e32 v25, 0x1000, v25
	s_xor_b32 s2, s2, -1
	s_addk_co_i32 s1, 0xf000
	s_and_b32 vcc_lo, exec_lo, s2
	s_mov_b32 s2, 0
	s_wait_storecnt 0x0
	s_barrier_signal -1
	s_barrier_wait -1
	s_cbranch_vccnz .LBB969_151
.LBB969_141:                            ; =>This Inner Loop Header: Depth=1
	v_add_min_u32_e64 v27, v6, s1, 0x1000
	v_add_min_u32_e64 v28, v21, s1, 0x1000
	;; [unrolled: 1-line block ×5, first 2 shown]
	s_delay_alu instid0(VALU_DEP_4)
	v_dual_lshlrev_b32 v27, 2, v27 :: v_dual_lshlrev_b32 v28, 2, v28
	v_add_min_u32_e64 v34, v13, s1, 0x1000
	v_add_min_u32_e64 v35, v12, s1, 0x1000
	s_mov_b32 s3, exec_lo
	ds_store_b32 v27, v17 offset:2048
	ds_store_b32 v28, v18 offset:2048
	v_dual_lshlrev_b32 v27, 2, v30 :: v_dual_lshlrev_b32 v28, 2, v31
	v_dual_lshlrev_b32 v30, 2, v33 :: v_dual_lshlrev_b32 v31, 2, v34
	v_lshlrev_b32_e32 v33, 2, v35
	ds_store_b32 v27, v19 offset:2048
	ds_store_b32 v28, v20 offset:2048
	;; [unrolled: 1-line block ×5, first 2 shown]
	v_add_min_u32_e64 v27, v11, s1, 0x1000
	v_add_min_u32_e64 v28, v10, s1, 0x1000
	v_add_min_u32_e64 v30, v9, s1, 0x1000
	v_add_min_u32_e64 v31, v8, s1, 0x1000
	v_add_min_u32_e64 v33, v7, s1, 0x1000
	s_delay_alu instid0(VALU_DEP_4) | instskip(NEXT) | instid1(VALU_DEP_3)
	v_dual_lshlrev_b32 v27, 2, v27 :: v_dual_lshlrev_b32 v28, 2, v28
	v_dual_lshlrev_b32 v30, 2, v30 :: v_dual_lshlrev_b32 v31, 2, v31
	s_delay_alu instid0(VALU_DEP_3)
	v_lshlrev_b32_e32 v33, 2, v33
	ds_store_b32 v27, v32 offset:2048
	ds_store_b32 v28, v36 offset:2048
	;; [unrolled: 1-line block ×5, first 2 shown]
	s_wait_storecnt_dscnt 0x0
	s_barrier_signal -1
	s_barrier_wait -1
	ds_load_2addr_stride64_b32 v[30:31], v22 offset0:8 offset1:16
	s_wait_dscnt 0x0
	v_dual_lshrrev_b32 v27, s16, v31 :: v_dual_lshrrev_b32 v28, s16, v30
	s_delay_alu instid0(VALU_DEP_1) | instskip(NEXT) | instid1(VALU_DEP_1)
	v_and_b32_e32 v28, s6, v28
	v_dual_lshlrev_b32 v28, 3, v28 :: v_dual_bitop2_b32 v27, s6, v27 bitop3:0x40
	s_delay_alu instid0(VALU_DEP_1)
	v_lshlrev_b32_e32 v27, 3, v27
	ds_load_b64 v[34:35], v27
	ds_load_b32 v27, v22 offset:6144
	s_wait_dscnt 0x0
	v_lshrrev_b32_e32 v33, s16, v27
	v_xor_b32_e32 v27, 0x80000000, v27
	s_delay_alu instid0(VALU_DEP_2) | instskip(NEXT) | instid1(VALU_DEP_1)
	v_and_b32_e32 v33, s6, v33
	v_lshlrev_b32_e32 v33, 3, v33
	ds_load_b64 v[38:39], v28
	ds_load_b64 v[42:43], v33
	v_xor_b32_e32 v28, 0x80000000, v30
	v_xor_b32_e32 v33, 0x80000000, v31
	v_lshl_add_u64 v[30:31], v[34:35], 2, v[4:5]
	s_wait_dscnt 0x1
	v_lshl_add_u64 v[38:39], v[38:39], 2, v[4:5]
	s_wait_dscnt 0x0
	v_lshl_add_u64 v[34:35], v[42:43], 2, v[4:5]
	s_clause 0x2
	global_store_b32 v[38:39], v28, off offset:-8192
	global_store_b32 v[30:31], v33, off offset:-6144
	;; [unrolled: 1-line block ×3, first 2 shown]
	s_wait_xcnt 0x0
	v_cmpx_gt_u32_e32 0x1200, v25
	s_cbranch_execz .LBB969_143
; %bb.142:                              ;   in Loop: Header=BB969_141 Depth=1
	ds_load_b32 v27, v22 offset:8192
	s_wait_dscnt 0x0
	v_lshrrev_b32_e32 v28, s16, v27
	v_xor_b32_e32 v27, 0x80000000, v27
	s_delay_alu instid0(VALU_DEP_2) | instskip(NEXT) | instid1(VALU_DEP_1)
	v_and_b32_e32 v28, s6, v28
	v_lshlrev_b32_e32 v28, 3, v28
	ds_load_b64 v[30:31], v28
	s_wait_dscnt 0x0
	v_lshl_add_u64 v[30:31], v[30:31], 2, v[4:5]
	global_store_b32 v[30:31], v27, off offset:-2048
.LBB969_143:                            ;   in Loop: Header=BB969_141 Depth=1
	s_wait_xcnt 0x0
	s_or_b32 exec_lo, exec_lo, s3
	v_add_nc_u32_e32 v27, 0x800, v25
	s_mov_b32 s3, exec_lo
	s_delay_alu instid0(VALU_DEP_1)
	v_cmpx_gt_u32_e32 0x1800, v27
	s_cbranch_execz .LBB969_145
; %bb.144:                              ;   in Loop: Header=BB969_141 Depth=1
	ds_load_b32 v27, v22 offset:10240
	s_wait_dscnt 0x0
	v_lshrrev_b32_e32 v28, s16, v27
	v_xor_b32_e32 v27, 0x80000000, v27
	s_delay_alu instid0(VALU_DEP_2) | instskip(NEXT) | instid1(VALU_DEP_1)
	v_and_b32_e32 v28, s6, v28
	v_lshlrev_b32_e32 v28, 3, v28
	ds_load_b64 v[30:31], v28
	s_wait_dscnt 0x0
	v_lshl_add_u64 v[30:31], v[30:31], 2, v[4:5]
	global_store_b32 v[30:31], v27, off
.LBB969_145:                            ;   in Loop: Header=BB969_141 Depth=1
	s_wait_xcnt 0x0
	s_or_b32 exec_lo, exec_lo, s3
	s_delay_alu instid0(SALU_CYCLE_1)
	s_mov_b32 s3, exec_lo
	v_cmpx_gt_u32_e32 0xe00, v25
	s_cbranch_execz .LBB969_147
; %bb.146:                              ;   in Loop: Header=BB969_141 Depth=1
	ds_load_b32 v27, v22 offset:12288
	s_wait_dscnt 0x0
	v_lshrrev_b32_e32 v28, s16, v27
	v_xor_b32_e32 v27, 0x80000000, v27
	s_delay_alu instid0(VALU_DEP_2) | instskip(NEXT) | instid1(VALU_DEP_1)
	v_and_b32_e32 v28, s6, v28
	v_lshlrev_b32_e32 v28, 3, v28
	ds_load_b64 v[30:31], v28
	s_wait_dscnt 0x0
	v_lshl_add_u64 v[30:31], v[30:31], 2, v[4:5]
	global_store_b32 v[30:31], v27, off offset:2048
.LBB969_147:                            ;   in Loop: Header=BB969_141 Depth=1
	s_wait_xcnt 0x0
	s_or_b32 exec_lo, exec_lo, s3
	v_add_nc_u32_e32 v27, 0xc00, v25
	s_mov_b32 s3, exec_lo
	s_delay_alu instid0(VALU_DEP_1)
	v_cmpx_gt_u32_e32 0x1800, v27
	s_cbranch_execz .LBB969_149
; %bb.148:                              ;   in Loop: Header=BB969_141 Depth=1
	ds_load_b32 v27, v22 offset:14336
	s_wait_dscnt 0x0
	v_lshrrev_b32_e32 v28, s16, v27
	v_xor_b32_e32 v27, 0x80000000, v27
	s_delay_alu instid0(VALU_DEP_2) | instskip(NEXT) | instid1(VALU_DEP_1)
	v_and_b32_e32 v28, s6, v28
	v_lshlrev_b32_e32 v28, 3, v28
	ds_load_b64 v[30:31], v28
	s_wait_dscnt 0x0
	v_lshl_add_u64 v[30:31], v[30:31], 2, v[4:5]
	global_store_b32 v[30:31], v27, off offset:4096
.LBB969_149:                            ;   in Loop: Header=BB969_141 Depth=1
	s_wait_xcnt 0x0
	s_or_b32 exec_lo, exec_lo, s3
	s_delay_alu instid0(SALU_CYCLE_1)
	s_mov_b32 s3, exec_lo
	v_cmpx_gt_u32_e32 0xa00, v25
	s_cbranch_execz .LBB969_140
; %bb.150:                              ;   in Loop: Header=BB969_141 Depth=1
	ds_load_b32 v27, v22 offset:16384
	s_wait_dscnt 0x0
	v_lshrrev_b32_e32 v28, s16, v27
	v_xor_b32_e32 v27, 0x80000000, v27
	s_delay_alu instid0(VALU_DEP_2) | instskip(NEXT) | instid1(VALU_DEP_1)
	v_and_b32_e32 v28, s6, v28
	v_lshlrev_b32_e32 v28, 3, v28
	ds_load_b64 v[30:31], v28
	s_wait_dscnt 0x0
	v_lshl_add_u64 v[30:31], v[30:31], 2, v[4:5]
	global_store_b32 v[30:31], v27, off offset:6144
	s_branch .LBB969_140
.LBB969_151:
	s_add_co_i32 s12, s12, -1
	s_delay_alu instid0(SALU_CYCLE_1) | instskip(SKIP_2) | instid1(SALU_CYCLE_1)
	s_cmp_eq_u32 s19, s12
	s_cselect_b32 s1, -1, 0
	s_xor_b32 s0, s0, -1
	s_and_b32 s0, s0, s1
	s_delay_alu instid0(SALU_CYCLE_1)
	s_and_saveexec_b32 s1, s0
	s_cbranch_execz .LBB969_153
; %bb.152:
	ds_load_b64 v[4:5], v3
	v_mov_b32_e32 v3, 0
	s_delay_alu instid0(VALU_DEP_1) | instskip(SKIP_1) | instid1(VALU_DEP_1)
	v_add_nc_u64_e32 v[0:1], v[0:1], v[2:3]
	s_wait_dscnt 0x0
	v_add_nc_u64_e32 v[0:1], v[0:1], v[4:5]
	global_store_b64 v14, v[0:1], s[10:11] scale_offset
.LBB969_153:
	s_sendmsg sendmsg(MSG_DEALLOC_VGPRS)
	s_endpgm
	.section	.rodata,"a",@progbits
	.p2align	6, 0x0
	.amdhsa_kernel _ZN7rocprim17ROCPRIM_400000_NS6detail17trampoline_kernelINS0_14default_configENS1_35radix_sort_onesweep_config_selectorIiNS0_10empty_typeEEEZZNS1_29radix_sort_onesweep_iterationIS3_Lb0EPKiPiPS5_SB_mNS0_19identity_decomposerENS1_16block_id_wrapperIjLb1EEEEE10hipError_tT1_PNSt15iterator_traitsISG_E10value_typeET2_T3_PNSH_ISM_E10value_typeET4_T5_PSR_SS_PNS1_23onesweep_lookback_stateEbbT6_jjT7_P12ihipStream_tbENKUlT_T0_SG_SL_E_clISA_SA_SB_SB_EEDaSZ_S10_SG_SL_EUlSZ_E_NS1_11comp_targetILNS1_3genE0ELNS1_11target_archE4294967295ELNS1_3gpuE0ELNS1_3repE0EEENS1_47radix_sort_onesweep_sort_config_static_selectorELNS0_4arch9wavefront6targetE0EEEvSG_
		.amdhsa_group_segment_fixed_size 18504
		.amdhsa_private_segment_fixed_size 0
		.amdhsa_kernarg_size 344
		.amdhsa_user_sgpr_count 2
		.amdhsa_user_sgpr_dispatch_ptr 0
		.amdhsa_user_sgpr_queue_ptr 0
		.amdhsa_user_sgpr_kernarg_segment_ptr 1
		.amdhsa_user_sgpr_dispatch_id 0
		.amdhsa_user_sgpr_kernarg_preload_length 0
		.amdhsa_user_sgpr_kernarg_preload_offset 0
		.amdhsa_user_sgpr_private_segment_size 0
		.amdhsa_wavefront_size32 1
		.amdhsa_uses_dynamic_stack 0
		.amdhsa_enable_private_segment 0
		.amdhsa_system_sgpr_workgroup_id_x 1
		.amdhsa_system_sgpr_workgroup_id_y 0
		.amdhsa_system_sgpr_workgroup_id_z 0
		.amdhsa_system_sgpr_workgroup_info 0
		.amdhsa_system_vgpr_workitem_id 2
		.amdhsa_next_free_vgpr 65
		.amdhsa_next_free_sgpr 29
		.amdhsa_named_barrier_count 0
		.amdhsa_reserve_vcc 1
		.amdhsa_float_round_mode_32 0
		.amdhsa_float_round_mode_16_64 0
		.amdhsa_float_denorm_mode_32 3
		.amdhsa_float_denorm_mode_16_64 3
		.amdhsa_fp16_overflow 0
		.amdhsa_memory_ordered 1
		.amdhsa_forward_progress 1
		.amdhsa_inst_pref_size 123
		.amdhsa_round_robin_scheduling 0
		.amdhsa_exception_fp_ieee_invalid_op 0
		.amdhsa_exception_fp_denorm_src 0
		.amdhsa_exception_fp_ieee_div_zero 0
		.amdhsa_exception_fp_ieee_overflow 0
		.amdhsa_exception_fp_ieee_underflow 0
		.amdhsa_exception_fp_ieee_inexact 0
		.amdhsa_exception_int_div_zero 0
	.end_amdhsa_kernel
	.section	.text._ZN7rocprim17ROCPRIM_400000_NS6detail17trampoline_kernelINS0_14default_configENS1_35radix_sort_onesweep_config_selectorIiNS0_10empty_typeEEEZZNS1_29radix_sort_onesweep_iterationIS3_Lb0EPKiPiPS5_SB_mNS0_19identity_decomposerENS1_16block_id_wrapperIjLb1EEEEE10hipError_tT1_PNSt15iterator_traitsISG_E10value_typeET2_T3_PNSH_ISM_E10value_typeET4_T5_PSR_SS_PNS1_23onesweep_lookback_stateEbbT6_jjT7_P12ihipStream_tbENKUlT_T0_SG_SL_E_clISA_SA_SB_SB_EEDaSZ_S10_SG_SL_EUlSZ_E_NS1_11comp_targetILNS1_3genE0ELNS1_11target_archE4294967295ELNS1_3gpuE0ELNS1_3repE0EEENS1_47radix_sort_onesweep_sort_config_static_selectorELNS0_4arch9wavefront6targetE0EEEvSG_,"axG",@progbits,_ZN7rocprim17ROCPRIM_400000_NS6detail17trampoline_kernelINS0_14default_configENS1_35radix_sort_onesweep_config_selectorIiNS0_10empty_typeEEEZZNS1_29radix_sort_onesweep_iterationIS3_Lb0EPKiPiPS5_SB_mNS0_19identity_decomposerENS1_16block_id_wrapperIjLb1EEEEE10hipError_tT1_PNSt15iterator_traitsISG_E10value_typeET2_T3_PNSH_ISM_E10value_typeET4_T5_PSR_SS_PNS1_23onesweep_lookback_stateEbbT6_jjT7_P12ihipStream_tbENKUlT_T0_SG_SL_E_clISA_SA_SB_SB_EEDaSZ_S10_SG_SL_EUlSZ_E_NS1_11comp_targetILNS1_3genE0ELNS1_11target_archE4294967295ELNS1_3gpuE0ELNS1_3repE0EEENS1_47radix_sort_onesweep_sort_config_static_selectorELNS0_4arch9wavefront6targetE0EEEvSG_,comdat
.Lfunc_end969:
	.size	_ZN7rocprim17ROCPRIM_400000_NS6detail17trampoline_kernelINS0_14default_configENS1_35radix_sort_onesweep_config_selectorIiNS0_10empty_typeEEEZZNS1_29radix_sort_onesweep_iterationIS3_Lb0EPKiPiPS5_SB_mNS0_19identity_decomposerENS1_16block_id_wrapperIjLb1EEEEE10hipError_tT1_PNSt15iterator_traitsISG_E10value_typeET2_T3_PNSH_ISM_E10value_typeET4_T5_PSR_SS_PNS1_23onesweep_lookback_stateEbbT6_jjT7_P12ihipStream_tbENKUlT_T0_SG_SL_E_clISA_SA_SB_SB_EEDaSZ_S10_SG_SL_EUlSZ_E_NS1_11comp_targetILNS1_3genE0ELNS1_11target_archE4294967295ELNS1_3gpuE0ELNS1_3repE0EEENS1_47radix_sort_onesweep_sort_config_static_selectorELNS0_4arch9wavefront6targetE0EEEvSG_, .Lfunc_end969-_ZN7rocprim17ROCPRIM_400000_NS6detail17trampoline_kernelINS0_14default_configENS1_35radix_sort_onesweep_config_selectorIiNS0_10empty_typeEEEZZNS1_29radix_sort_onesweep_iterationIS3_Lb0EPKiPiPS5_SB_mNS0_19identity_decomposerENS1_16block_id_wrapperIjLb1EEEEE10hipError_tT1_PNSt15iterator_traitsISG_E10value_typeET2_T3_PNSH_ISM_E10value_typeET4_T5_PSR_SS_PNS1_23onesweep_lookback_stateEbbT6_jjT7_P12ihipStream_tbENKUlT_T0_SG_SL_E_clISA_SA_SB_SB_EEDaSZ_S10_SG_SL_EUlSZ_E_NS1_11comp_targetILNS1_3genE0ELNS1_11target_archE4294967295ELNS1_3gpuE0ELNS1_3repE0EEENS1_47radix_sort_onesweep_sort_config_static_selectorELNS0_4arch9wavefront6targetE0EEEvSG_
                                        ; -- End function
	.set _ZN7rocprim17ROCPRIM_400000_NS6detail17trampoline_kernelINS0_14default_configENS1_35radix_sort_onesweep_config_selectorIiNS0_10empty_typeEEEZZNS1_29radix_sort_onesweep_iterationIS3_Lb0EPKiPiPS5_SB_mNS0_19identity_decomposerENS1_16block_id_wrapperIjLb1EEEEE10hipError_tT1_PNSt15iterator_traitsISG_E10value_typeET2_T3_PNSH_ISM_E10value_typeET4_T5_PSR_SS_PNS1_23onesweep_lookback_stateEbbT6_jjT7_P12ihipStream_tbENKUlT_T0_SG_SL_E_clISA_SA_SB_SB_EEDaSZ_S10_SG_SL_EUlSZ_E_NS1_11comp_targetILNS1_3genE0ELNS1_11target_archE4294967295ELNS1_3gpuE0ELNS1_3repE0EEENS1_47radix_sort_onesweep_sort_config_static_selectorELNS0_4arch9wavefront6targetE0EEEvSG_.num_vgpr, 65
	.set _ZN7rocprim17ROCPRIM_400000_NS6detail17trampoline_kernelINS0_14default_configENS1_35radix_sort_onesweep_config_selectorIiNS0_10empty_typeEEEZZNS1_29radix_sort_onesweep_iterationIS3_Lb0EPKiPiPS5_SB_mNS0_19identity_decomposerENS1_16block_id_wrapperIjLb1EEEEE10hipError_tT1_PNSt15iterator_traitsISG_E10value_typeET2_T3_PNSH_ISM_E10value_typeET4_T5_PSR_SS_PNS1_23onesweep_lookback_stateEbbT6_jjT7_P12ihipStream_tbENKUlT_T0_SG_SL_E_clISA_SA_SB_SB_EEDaSZ_S10_SG_SL_EUlSZ_E_NS1_11comp_targetILNS1_3genE0ELNS1_11target_archE4294967295ELNS1_3gpuE0ELNS1_3repE0EEENS1_47radix_sort_onesweep_sort_config_static_selectorELNS0_4arch9wavefront6targetE0EEEvSG_.num_agpr, 0
	.set _ZN7rocprim17ROCPRIM_400000_NS6detail17trampoline_kernelINS0_14default_configENS1_35radix_sort_onesweep_config_selectorIiNS0_10empty_typeEEEZZNS1_29radix_sort_onesweep_iterationIS3_Lb0EPKiPiPS5_SB_mNS0_19identity_decomposerENS1_16block_id_wrapperIjLb1EEEEE10hipError_tT1_PNSt15iterator_traitsISG_E10value_typeET2_T3_PNSH_ISM_E10value_typeET4_T5_PSR_SS_PNS1_23onesweep_lookback_stateEbbT6_jjT7_P12ihipStream_tbENKUlT_T0_SG_SL_E_clISA_SA_SB_SB_EEDaSZ_S10_SG_SL_EUlSZ_E_NS1_11comp_targetILNS1_3genE0ELNS1_11target_archE4294967295ELNS1_3gpuE0ELNS1_3repE0EEENS1_47radix_sort_onesweep_sort_config_static_selectorELNS0_4arch9wavefront6targetE0EEEvSG_.numbered_sgpr, 29
	.set _ZN7rocprim17ROCPRIM_400000_NS6detail17trampoline_kernelINS0_14default_configENS1_35radix_sort_onesweep_config_selectorIiNS0_10empty_typeEEEZZNS1_29radix_sort_onesweep_iterationIS3_Lb0EPKiPiPS5_SB_mNS0_19identity_decomposerENS1_16block_id_wrapperIjLb1EEEEE10hipError_tT1_PNSt15iterator_traitsISG_E10value_typeET2_T3_PNSH_ISM_E10value_typeET4_T5_PSR_SS_PNS1_23onesweep_lookback_stateEbbT6_jjT7_P12ihipStream_tbENKUlT_T0_SG_SL_E_clISA_SA_SB_SB_EEDaSZ_S10_SG_SL_EUlSZ_E_NS1_11comp_targetILNS1_3genE0ELNS1_11target_archE4294967295ELNS1_3gpuE0ELNS1_3repE0EEENS1_47radix_sort_onesweep_sort_config_static_selectorELNS0_4arch9wavefront6targetE0EEEvSG_.num_named_barrier, 0
	.set _ZN7rocprim17ROCPRIM_400000_NS6detail17trampoline_kernelINS0_14default_configENS1_35radix_sort_onesweep_config_selectorIiNS0_10empty_typeEEEZZNS1_29radix_sort_onesweep_iterationIS3_Lb0EPKiPiPS5_SB_mNS0_19identity_decomposerENS1_16block_id_wrapperIjLb1EEEEE10hipError_tT1_PNSt15iterator_traitsISG_E10value_typeET2_T3_PNSH_ISM_E10value_typeET4_T5_PSR_SS_PNS1_23onesweep_lookback_stateEbbT6_jjT7_P12ihipStream_tbENKUlT_T0_SG_SL_E_clISA_SA_SB_SB_EEDaSZ_S10_SG_SL_EUlSZ_E_NS1_11comp_targetILNS1_3genE0ELNS1_11target_archE4294967295ELNS1_3gpuE0ELNS1_3repE0EEENS1_47radix_sort_onesweep_sort_config_static_selectorELNS0_4arch9wavefront6targetE0EEEvSG_.private_seg_size, 0
	.set _ZN7rocprim17ROCPRIM_400000_NS6detail17trampoline_kernelINS0_14default_configENS1_35radix_sort_onesweep_config_selectorIiNS0_10empty_typeEEEZZNS1_29radix_sort_onesweep_iterationIS3_Lb0EPKiPiPS5_SB_mNS0_19identity_decomposerENS1_16block_id_wrapperIjLb1EEEEE10hipError_tT1_PNSt15iterator_traitsISG_E10value_typeET2_T3_PNSH_ISM_E10value_typeET4_T5_PSR_SS_PNS1_23onesweep_lookback_stateEbbT6_jjT7_P12ihipStream_tbENKUlT_T0_SG_SL_E_clISA_SA_SB_SB_EEDaSZ_S10_SG_SL_EUlSZ_E_NS1_11comp_targetILNS1_3genE0ELNS1_11target_archE4294967295ELNS1_3gpuE0ELNS1_3repE0EEENS1_47radix_sort_onesweep_sort_config_static_selectorELNS0_4arch9wavefront6targetE0EEEvSG_.uses_vcc, 1
	.set _ZN7rocprim17ROCPRIM_400000_NS6detail17trampoline_kernelINS0_14default_configENS1_35radix_sort_onesweep_config_selectorIiNS0_10empty_typeEEEZZNS1_29radix_sort_onesweep_iterationIS3_Lb0EPKiPiPS5_SB_mNS0_19identity_decomposerENS1_16block_id_wrapperIjLb1EEEEE10hipError_tT1_PNSt15iterator_traitsISG_E10value_typeET2_T3_PNSH_ISM_E10value_typeET4_T5_PSR_SS_PNS1_23onesweep_lookback_stateEbbT6_jjT7_P12ihipStream_tbENKUlT_T0_SG_SL_E_clISA_SA_SB_SB_EEDaSZ_S10_SG_SL_EUlSZ_E_NS1_11comp_targetILNS1_3genE0ELNS1_11target_archE4294967295ELNS1_3gpuE0ELNS1_3repE0EEENS1_47radix_sort_onesweep_sort_config_static_selectorELNS0_4arch9wavefront6targetE0EEEvSG_.uses_flat_scratch, 0
	.set _ZN7rocprim17ROCPRIM_400000_NS6detail17trampoline_kernelINS0_14default_configENS1_35radix_sort_onesweep_config_selectorIiNS0_10empty_typeEEEZZNS1_29radix_sort_onesweep_iterationIS3_Lb0EPKiPiPS5_SB_mNS0_19identity_decomposerENS1_16block_id_wrapperIjLb1EEEEE10hipError_tT1_PNSt15iterator_traitsISG_E10value_typeET2_T3_PNSH_ISM_E10value_typeET4_T5_PSR_SS_PNS1_23onesweep_lookback_stateEbbT6_jjT7_P12ihipStream_tbENKUlT_T0_SG_SL_E_clISA_SA_SB_SB_EEDaSZ_S10_SG_SL_EUlSZ_E_NS1_11comp_targetILNS1_3genE0ELNS1_11target_archE4294967295ELNS1_3gpuE0ELNS1_3repE0EEENS1_47radix_sort_onesweep_sort_config_static_selectorELNS0_4arch9wavefront6targetE0EEEvSG_.has_dyn_sized_stack, 0
	.set _ZN7rocprim17ROCPRIM_400000_NS6detail17trampoline_kernelINS0_14default_configENS1_35radix_sort_onesweep_config_selectorIiNS0_10empty_typeEEEZZNS1_29radix_sort_onesweep_iterationIS3_Lb0EPKiPiPS5_SB_mNS0_19identity_decomposerENS1_16block_id_wrapperIjLb1EEEEE10hipError_tT1_PNSt15iterator_traitsISG_E10value_typeET2_T3_PNSH_ISM_E10value_typeET4_T5_PSR_SS_PNS1_23onesweep_lookback_stateEbbT6_jjT7_P12ihipStream_tbENKUlT_T0_SG_SL_E_clISA_SA_SB_SB_EEDaSZ_S10_SG_SL_EUlSZ_E_NS1_11comp_targetILNS1_3genE0ELNS1_11target_archE4294967295ELNS1_3gpuE0ELNS1_3repE0EEENS1_47radix_sort_onesweep_sort_config_static_selectorELNS0_4arch9wavefront6targetE0EEEvSG_.has_recursion, 0
	.set _ZN7rocprim17ROCPRIM_400000_NS6detail17trampoline_kernelINS0_14default_configENS1_35radix_sort_onesweep_config_selectorIiNS0_10empty_typeEEEZZNS1_29radix_sort_onesweep_iterationIS3_Lb0EPKiPiPS5_SB_mNS0_19identity_decomposerENS1_16block_id_wrapperIjLb1EEEEE10hipError_tT1_PNSt15iterator_traitsISG_E10value_typeET2_T3_PNSH_ISM_E10value_typeET4_T5_PSR_SS_PNS1_23onesweep_lookback_stateEbbT6_jjT7_P12ihipStream_tbENKUlT_T0_SG_SL_E_clISA_SA_SB_SB_EEDaSZ_S10_SG_SL_EUlSZ_E_NS1_11comp_targetILNS1_3genE0ELNS1_11target_archE4294967295ELNS1_3gpuE0ELNS1_3repE0EEENS1_47radix_sort_onesweep_sort_config_static_selectorELNS0_4arch9wavefront6targetE0EEEvSG_.has_indirect_call, 0
	.section	.AMDGPU.csdata,"",@progbits
; Kernel info:
; codeLenInByte = 15660
; TotalNumSgprs: 31
; NumVgprs: 65
; ScratchSize: 0
; MemoryBound: 0
; FloatMode: 240
; IeeeMode: 1
; LDSByteSize: 18504 bytes/workgroup (compile time only)
; SGPRBlocks: 0
; VGPRBlocks: 4
; NumSGPRsForWavesPerEU: 31
; NumVGPRsForWavesPerEU: 65
; NamedBarCnt: 0
; Occupancy: 12
; WaveLimiterHint : 1
; COMPUTE_PGM_RSRC2:SCRATCH_EN: 0
; COMPUTE_PGM_RSRC2:USER_SGPR: 2
; COMPUTE_PGM_RSRC2:TRAP_HANDLER: 0
; COMPUTE_PGM_RSRC2:TGID_X_EN: 1
; COMPUTE_PGM_RSRC2:TGID_Y_EN: 0
; COMPUTE_PGM_RSRC2:TGID_Z_EN: 0
; COMPUTE_PGM_RSRC2:TIDIG_COMP_CNT: 2
	.section	.text._ZN7rocprim17ROCPRIM_400000_NS6detail17trampoline_kernelINS0_14default_configENS1_35radix_sort_onesweep_config_selectorIiNS0_10empty_typeEEEZZNS1_29radix_sort_onesweep_iterationIS3_Lb0EPKiPiPS5_SB_mNS0_19identity_decomposerENS1_16block_id_wrapperIjLb1EEEEE10hipError_tT1_PNSt15iterator_traitsISG_E10value_typeET2_T3_PNSH_ISM_E10value_typeET4_T5_PSR_SS_PNS1_23onesweep_lookback_stateEbbT6_jjT7_P12ihipStream_tbENKUlT_T0_SG_SL_E_clISA_SA_SB_SB_EEDaSZ_S10_SG_SL_EUlSZ_E_NS1_11comp_targetILNS1_3genE6ELNS1_11target_archE950ELNS1_3gpuE13ELNS1_3repE0EEENS1_47radix_sort_onesweep_sort_config_static_selectorELNS0_4arch9wavefront6targetE0EEEvSG_,"axG",@progbits,_ZN7rocprim17ROCPRIM_400000_NS6detail17trampoline_kernelINS0_14default_configENS1_35radix_sort_onesweep_config_selectorIiNS0_10empty_typeEEEZZNS1_29radix_sort_onesweep_iterationIS3_Lb0EPKiPiPS5_SB_mNS0_19identity_decomposerENS1_16block_id_wrapperIjLb1EEEEE10hipError_tT1_PNSt15iterator_traitsISG_E10value_typeET2_T3_PNSH_ISM_E10value_typeET4_T5_PSR_SS_PNS1_23onesweep_lookback_stateEbbT6_jjT7_P12ihipStream_tbENKUlT_T0_SG_SL_E_clISA_SA_SB_SB_EEDaSZ_S10_SG_SL_EUlSZ_E_NS1_11comp_targetILNS1_3genE6ELNS1_11target_archE950ELNS1_3gpuE13ELNS1_3repE0EEENS1_47radix_sort_onesweep_sort_config_static_selectorELNS0_4arch9wavefront6targetE0EEEvSG_,comdat
	.protected	_ZN7rocprim17ROCPRIM_400000_NS6detail17trampoline_kernelINS0_14default_configENS1_35radix_sort_onesweep_config_selectorIiNS0_10empty_typeEEEZZNS1_29radix_sort_onesweep_iterationIS3_Lb0EPKiPiPS5_SB_mNS0_19identity_decomposerENS1_16block_id_wrapperIjLb1EEEEE10hipError_tT1_PNSt15iterator_traitsISG_E10value_typeET2_T3_PNSH_ISM_E10value_typeET4_T5_PSR_SS_PNS1_23onesweep_lookback_stateEbbT6_jjT7_P12ihipStream_tbENKUlT_T0_SG_SL_E_clISA_SA_SB_SB_EEDaSZ_S10_SG_SL_EUlSZ_E_NS1_11comp_targetILNS1_3genE6ELNS1_11target_archE950ELNS1_3gpuE13ELNS1_3repE0EEENS1_47radix_sort_onesweep_sort_config_static_selectorELNS0_4arch9wavefront6targetE0EEEvSG_ ; -- Begin function _ZN7rocprim17ROCPRIM_400000_NS6detail17trampoline_kernelINS0_14default_configENS1_35radix_sort_onesweep_config_selectorIiNS0_10empty_typeEEEZZNS1_29radix_sort_onesweep_iterationIS3_Lb0EPKiPiPS5_SB_mNS0_19identity_decomposerENS1_16block_id_wrapperIjLb1EEEEE10hipError_tT1_PNSt15iterator_traitsISG_E10value_typeET2_T3_PNSH_ISM_E10value_typeET4_T5_PSR_SS_PNS1_23onesweep_lookback_stateEbbT6_jjT7_P12ihipStream_tbENKUlT_T0_SG_SL_E_clISA_SA_SB_SB_EEDaSZ_S10_SG_SL_EUlSZ_E_NS1_11comp_targetILNS1_3genE6ELNS1_11target_archE950ELNS1_3gpuE13ELNS1_3repE0EEENS1_47radix_sort_onesweep_sort_config_static_selectorELNS0_4arch9wavefront6targetE0EEEvSG_
	.globl	_ZN7rocprim17ROCPRIM_400000_NS6detail17trampoline_kernelINS0_14default_configENS1_35radix_sort_onesweep_config_selectorIiNS0_10empty_typeEEEZZNS1_29radix_sort_onesweep_iterationIS3_Lb0EPKiPiPS5_SB_mNS0_19identity_decomposerENS1_16block_id_wrapperIjLb1EEEEE10hipError_tT1_PNSt15iterator_traitsISG_E10value_typeET2_T3_PNSH_ISM_E10value_typeET4_T5_PSR_SS_PNS1_23onesweep_lookback_stateEbbT6_jjT7_P12ihipStream_tbENKUlT_T0_SG_SL_E_clISA_SA_SB_SB_EEDaSZ_S10_SG_SL_EUlSZ_E_NS1_11comp_targetILNS1_3genE6ELNS1_11target_archE950ELNS1_3gpuE13ELNS1_3repE0EEENS1_47radix_sort_onesweep_sort_config_static_selectorELNS0_4arch9wavefront6targetE0EEEvSG_
	.p2align	8
	.type	_ZN7rocprim17ROCPRIM_400000_NS6detail17trampoline_kernelINS0_14default_configENS1_35radix_sort_onesweep_config_selectorIiNS0_10empty_typeEEEZZNS1_29radix_sort_onesweep_iterationIS3_Lb0EPKiPiPS5_SB_mNS0_19identity_decomposerENS1_16block_id_wrapperIjLb1EEEEE10hipError_tT1_PNSt15iterator_traitsISG_E10value_typeET2_T3_PNSH_ISM_E10value_typeET4_T5_PSR_SS_PNS1_23onesweep_lookback_stateEbbT6_jjT7_P12ihipStream_tbENKUlT_T0_SG_SL_E_clISA_SA_SB_SB_EEDaSZ_S10_SG_SL_EUlSZ_E_NS1_11comp_targetILNS1_3genE6ELNS1_11target_archE950ELNS1_3gpuE13ELNS1_3repE0EEENS1_47radix_sort_onesweep_sort_config_static_selectorELNS0_4arch9wavefront6targetE0EEEvSG_,@function
_ZN7rocprim17ROCPRIM_400000_NS6detail17trampoline_kernelINS0_14default_configENS1_35radix_sort_onesweep_config_selectorIiNS0_10empty_typeEEEZZNS1_29radix_sort_onesweep_iterationIS3_Lb0EPKiPiPS5_SB_mNS0_19identity_decomposerENS1_16block_id_wrapperIjLb1EEEEE10hipError_tT1_PNSt15iterator_traitsISG_E10value_typeET2_T3_PNSH_ISM_E10value_typeET4_T5_PSR_SS_PNS1_23onesweep_lookback_stateEbbT6_jjT7_P12ihipStream_tbENKUlT_T0_SG_SL_E_clISA_SA_SB_SB_EEDaSZ_S10_SG_SL_EUlSZ_E_NS1_11comp_targetILNS1_3genE6ELNS1_11target_archE950ELNS1_3gpuE13ELNS1_3repE0EEENS1_47radix_sort_onesweep_sort_config_static_selectorELNS0_4arch9wavefront6targetE0EEEvSG_: ; @_ZN7rocprim17ROCPRIM_400000_NS6detail17trampoline_kernelINS0_14default_configENS1_35radix_sort_onesweep_config_selectorIiNS0_10empty_typeEEEZZNS1_29radix_sort_onesweep_iterationIS3_Lb0EPKiPiPS5_SB_mNS0_19identity_decomposerENS1_16block_id_wrapperIjLb1EEEEE10hipError_tT1_PNSt15iterator_traitsISG_E10value_typeET2_T3_PNSH_ISM_E10value_typeET4_T5_PSR_SS_PNS1_23onesweep_lookback_stateEbbT6_jjT7_P12ihipStream_tbENKUlT_T0_SG_SL_E_clISA_SA_SB_SB_EEDaSZ_S10_SG_SL_EUlSZ_E_NS1_11comp_targetILNS1_3genE6ELNS1_11target_archE950ELNS1_3gpuE13ELNS1_3repE0EEENS1_47radix_sort_onesweep_sort_config_static_selectorELNS0_4arch9wavefront6targetE0EEEvSG_
; %bb.0:
	.section	.rodata,"a",@progbits
	.p2align	6, 0x0
	.amdhsa_kernel _ZN7rocprim17ROCPRIM_400000_NS6detail17trampoline_kernelINS0_14default_configENS1_35radix_sort_onesweep_config_selectorIiNS0_10empty_typeEEEZZNS1_29radix_sort_onesweep_iterationIS3_Lb0EPKiPiPS5_SB_mNS0_19identity_decomposerENS1_16block_id_wrapperIjLb1EEEEE10hipError_tT1_PNSt15iterator_traitsISG_E10value_typeET2_T3_PNSH_ISM_E10value_typeET4_T5_PSR_SS_PNS1_23onesweep_lookback_stateEbbT6_jjT7_P12ihipStream_tbENKUlT_T0_SG_SL_E_clISA_SA_SB_SB_EEDaSZ_S10_SG_SL_EUlSZ_E_NS1_11comp_targetILNS1_3genE6ELNS1_11target_archE950ELNS1_3gpuE13ELNS1_3repE0EEENS1_47radix_sort_onesweep_sort_config_static_selectorELNS0_4arch9wavefront6targetE0EEEvSG_
		.amdhsa_group_segment_fixed_size 0
		.amdhsa_private_segment_fixed_size 0
		.amdhsa_kernarg_size 88
		.amdhsa_user_sgpr_count 2
		.amdhsa_user_sgpr_dispatch_ptr 0
		.amdhsa_user_sgpr_queue_ptr 0
		.amdhsa_user_sgpr_kernarg_segment_ptr 1
		.amdhsa_user_sgpr_dispatch_id 0
		.amdhsa_user_sgpr_kernarg_preload_length 0
		.amdhsa_user_sgpr_kernarg_preload_offset 0
		.amdhsa_user_sgpr_private_segment_size 0
		.amdhsa_wavefront_size32 1
		.amdhsa_uses_dynamic_stack 0
		.amdhsa_enable_private_segment 0
		.amdhsa_system_sgpr_workgroup_id_x 1
		.amdhsa_system_sgpr_workgroup_id_y 0
		.amdhsa_system_sgpr_workgroup_id_z 0
		.amdhsa_system_sgpr_workgroup_info 0
		.amdhsa_system_vgpr_workitem_id 0
		.amdhsa_next_free_vgpr 1
		.amdhsa_next_free_sgpr 1
		.amdhsa_named_barrier_count 0
		.amdhsa_reserve_vcc 0
		.amdhsa_float_round_mode_32 0
		.amdhsa_float_round_mode_16_64 0
		.amdhsa_float_denorm_mode_32 3
		.amdhsa_float_denorm_mode_16_64 3
		.amdhsa_fp16_overflow 0
		.amdhsa_memory_ordered 1
		.amdhsa_forward_progress 1
		.amdhsa_inst_pref_size 0
		.amdhsa_round_robin_scheduling 0
		.amdhsa_exception_fp_ieee_invalid_op 0
		.amdhsa_exception_fp_denorm_src 0
		.amdhsa_exception_fp_ieee_div_zero 0
		.amdhsa_exception_fp_ieee_overflow 0
		.amdhsa_exception_fp_ieee_underflow 0
		.amdhsa_exception_fp_ieee_inexact 0
		.amdhsa_exception_int_div_zero 0
	.end_amdhsa_kernel
	.section	.text._ZN7rocprim17ROCPRIM_400000_NS6detail17trampoline_kernelINS0_14default_configENS1_35radix_sort_onesweep_config_selectorIiNS0_10empty_typeEEEZZNS1_29radix_sort_onesweep_iterationIS3_Lb0EPKiPiPS5_SB_mNS0_19identity_decomposerENS1_16block_id_wrapperIjLb1EEEEE10hipError_tT1_PNSt15iterator_traitsISG_E10value_typeET2_T3_PNSH_ISM_E10value_typeET4_T5_PSR_SS_PNS1_23onesweep_lookback_stateEbbT6_jjT7_P12ihipStream_tbENKUlT_T0_SG_SL_E_clISA_SA_SB_SB_EEDaSZ_S10_SG_SL_EUlSZ_E_NS1_11comp_targetILNS1_3genE6ELNS1_11target_archE950ELNS1_3gpuE13ELNS1_3repE0EEENS1_47radix_sort_onesweep_sort_config_static_selectorELNS0_4arch9wavefront6targetE0EEEvSG_,"axG",@progbits,_ZN7rocprim17ROCPRIM_400000_NS6detail17trampoline_kernelINS0_14default_configENS1_35radix_sort_onesweep_config_selectorIiNS0_10empty_typeEEEZZNS1_29radix_sort_onesweep_iterationIS3_Lb0EPKiPiPS5_SB_mNS0_19identity_decomposerENS1_16block_id_wrapperIjLb1EEEEE10hipError_tT1_PNSt15iterator_traitsISG_E10value_typeET2_T3_PNSH_ISM_E10value_typeET4_T5_PSR_SS_PNS1_23onesweep_lookback_stateEbbT6_jjT7_P12ihipStream_tbENKUlT_T0_SG_SL_E_clISA_SA_SB_SB_EEDaSZ_S10_SG_SL_EUlSZ_E_NS1_11comp_targetILNS1_3genE6ELNS1_11target_archE950ELNS1_3gpuE13ELNS1_3repE0EEENS1_47radix_sort_onesweep_sort_config_static_selectorELNS0_4arch9wavefront6targetE0EEEvSG_,comdat
.Lfunc_end970:
	.size	_ZN7rocprim17ROCPRIM_400000_NS6detail17trampoline_kernelINS0_14default_configENS1_35radix_sort_onesweep_config_selectorIiNS0_10empty_typeEEEZZNS1_29radix_sort_onesweep_iterationIS3_Lb0EPKiPiPS5_SB_mNS0_19identity_decomposerENS1_16block_id_wrapperIjLb1EEEEE10hipError_tT1_PNSt15iterator_traitsISG_E10value_typeET2_T3_PNSH_ISM_E10value_typeET4_T5_PSR_SS_PNS1_23onesweep_lookback_stateEbbT6_jjT7_P12ihipStream_tbENKUlT_T0_SG_SL_E_clISA_SA_SB_SB_EEDaSZ_S10_SG_SL_EUlSZ_E_NS1_11comp_targetILNS1_3genE6ELNS1_11target_archE950ELNS1_3gpuE13ELNS1_3repE0EEENS1_47radix_sort_onesweep_sort_config_static_selectorELNS0_4arch9wavefront6targetE0EEEvSG_, .Lfunc_end970-_ZN7rocprim17ROCPRIM_400000_NS6detail17trampoline_kernelINS0_14default_configENS1_35radix_sort_onesweep_config_selectorIiNS0_10empty_typeEEEZZNS1_29radix_sort_onesweep_iterationIS3_Lb0EPKiPiPS5_SB_mNS0_19identity_decomposerENS1_16block_id_wrapperIjLb1EEEEE10hipError_tT1_PNSt15iterator_traitsISG_E10value_typeET2_T3_PNSH_ISM_E10value_typeET4_T5_PSR_SS_PNS1_23onesweep_lookback_stateEbbT6_jjT7_P12ihipStream_tbENKUlT_T0_SG_SL_E_clISA_SA_SB_SB_EEDaSZ_S10_SG_SL_EUlSZ_E_NS1_11comp_targetILNS1_3genE6ELNS1_11target_archE950ELNS1_3gpuE13ELNS1_3repE0EEENS1_47radix_sort_onesweep_sort_config_static_selectorELNS0_4arch9wavefront6targetE0EEEvSG_
                                        ; -- End function
	.set _ZN7rocprim17ROCPRIM_400000_NS6detail17trampoline_kernelINS0_14default_configENS1_35radix_sort_onesweep_config_selectorIiNS0_10empty_typeEEEZZNS1_29radix_sort_onesweep_iterationIS3_Lb0EPKiPiPS5_SB_mNS0_19identity_decomposerENS1_16block_id_wrapperIjLb1EEEEE10hipError_tT1_PNSt15iterator_traitsISG_E10value_typeET2_T3_PNSH_ISM_E10value_typeET4_T5_PSR_SS_PNS1_23onesweep_lookback_stateEbbT6_jjT7_P12ihipStream_tbENKUlT_T0_SG_SL_E_clISA_SA_SB_SB_EEDaSZ_S10_SG_SL_EUlSZ_E_NS1_11comp_targetILNS1_3genE6ELNS1_11target_archE950ELNS1_3gpuE13ELNS1_3repE0EEENS1_47radix_sort_onesweep_sort_config_static_selectorELNS0_4arch9wavefront6targetE0EEEvSG_.num_vgpr, 0
	.set _ZN7rocprim17ROCPRIM_400000_NS6detail17trampoline_kernelINS0_14default_configENS1_35radix_sort_onesweep_config_selectorIiNS0_10empty_typeEEEZZNS1_29radix_sort_onesweep_iterationIS3_Lb0EPKiPiPS5_SB_mNS0_19identity_decomposerENS1_16block_id_wrapperIjLb1EEEEE10hipError_tT1_PNSt15iterator_traitsISG_E10value_typeET2_T3_PNSH_ISM_E10value_typeET4_T5_PSR_SS_PNS1_23onesweep_lookback_stateEbbT6_jjT7_P12ihipStream_tbENKUlT_T0_SG_SL_E_clISA_SA_SB_SB_EEDaSZ_S10_SG_SL_EUlSZ_E_NS1_11comp_targetILNS1_3genE6ELNS1_11target_archE950ELNS1_3gpuE13ELNS1_3repE0EEENS1_47radix_sort_onesweep_sort_config_static_selectorELNS0_4arch9wavefront6targetE0EEEvSG_.num_agpr, 0
	.set _ZN7rocprim17ROCPRIM_400000_NS6detail17trampoline_kernelINS0_14default_configENS1_35radix_sort_onesweep_config_selectorIiNS0_10empty_typeEEEZZNS1_29radix_sort_onesweep_iterationIS3_Lb0EPKiPiPS5_SB_mNS0_19identity_decomposerENS1_16block_id_wrapperIjLb1EEEEE10hipError_tT1_PNSt15iterator_traitsISG_E10value_typeET2_T3_PNSH_ISM_E10value_typeET4_T5_PSR_SS_PNS1_23onesweep_lookback_stateEbbT6_jjT7_P12ihipStream_tbENKUlT_T0_SG_SL_E_clISA_SA_SB_SB_EEDaSZ_S10_SG_SL_EUlSZ_E_NS1_11comp_targetILNS1_3genE6ELNS1_11target_archE950ELNS1_3gpuE13ELNS1_3repE0EEENS1_47radix_sort_onesweep_sort_config_static_selectorELNS0_4arch9wavefront6targetE0EEEvSG_.numbered_sgpr, 0
	.set _ZN7rocprim17ROCPRIM_400000_NS6detail17trampoline_kernelINS0_14default_configENS1_35radix_sort_onesweep_config_selectorIiNS0_10empty_typeEEEZZNS1_29radix_sort_onesweep_iterationIS3_Lb0EPKiPiPS5_SB_mNS0_19identity_decomposerENS1_16block_id_wrapperIjLb1EEEEE10hipError_tT1_PNSt15iterator_traitsISG_E10value_typeET2_T3_PNSH_ISM_E10value_typeET4_T5_PSR_SS_PNS1_23onesweep_lookback_stateEbbT6_jjT7_P12ihipStream_tbENKUlT_T0_SG_SL_E_clISA_SA_SB_SB_EEDaSZ_S10_SG_SL_EUlSZ_E_NS1_11comp_targetILNS1_3genE6ELNS1_11target_archE950ELNS1_3gpuE13ELNS1_3repE0EEENS1_47radix_sort_onesweep_sort_config_static_selectorELNS0_4arch9wavefront6targetE0EEEvSG_.num_named_barrier, 0
	.set _ZN7rocprim17ROCPRIM_400000_NS6detail17trampoline_kernelINS0_14default_configENS1_35radix_sort_onesweep_config_selectorIiNS0_10empty_typeEEEZZNS1_29radix_sort_onesweep_iterationIS3_Lb0EPKiPiPS5_SB_mNS0_19identity_decomposerENS1_16block_id_wrapperIjLb1EEEEE10hipError_tT1_PNSt15iterator_traitsISG_E10value_typeET2_T3_PNSH_ISM_E10value_typeET4_T5_PSR_SS_PNS1_23onesweep_lookback_stateEbbT6_jjT7_P12ihipStream_tbENKUlT_T0_SG_SL_E_clISA_SA_SB_SB_EEDaSZ_S10_SG_SL_EUlSZ_E_NS1_11comp_targetILNS1_3genE6ELNS1_11target_archE950ELNS1_3gpuE13ELNS1_3repE0EEENS1_47radix_sort_onesweep_sort_config_static_selectorELNS0_4arch9wavefront6targetE0EEEvSG_.private_seg_size, 0
	.set _ZN7rocprim17ROCPRIM_400000_NS6detail17trampoline_kernelINS0_14default_configENS1_35radix_sort_onesweep_config_selectorIiNS0_10empty_typeEEEZZNS1_29radix_sort_onesweep_iterationIS3_Lb0EPKiPiPS5_SB_mNS0_19identity_decomposerENS1_16block_id_wrapperIjLb1EEEEE10hipError_tT1_PNSt15iterator_traitsISG_E10value_typeET2_T3_PNSH_ISM_E10value_typeET4_T5_PSR_SS_PNS1_23onesweep_lookback_stateEbbT6_jjT7_P12ihipStream_tbENKUlT_T0_SG_SL_E_clISA_SA_SB_SB_EEDaSZ_S10_SG_SL_EUlSZ_E_NS1_11comp_targetILNS1_3genE6ELNS1_11target_archE950ELNS1_3gpuE13ELNS1_3repE0EEENS1_47radix_sort_onesweep_sort_config_static_selectorELNS0_4arch9wavefront6targetE0EEEvSG_.uses_vcc, 0
	.set _ZN7rocprim17ROCPRIM_400000_NS6detail17trampoline_kernelINS0_14default_configENS1_35radix_sort_onesweep_config_selectorIiNS0_10empty_typeEEEZZNS1_29radix_sort_onesweep_iterationIS3_Lb0EPKiPiPS5_SB_mNS0_19identity_decomposerENS1_16block_id_wrapperIjLb1EEEEE10hipError_tT1_PNSt15iterator_traitsISG_E10value_typeET2_T3_PNSH_ISM_E10value_typeET4_T5_PSR_SS_PNS1_23onesweep_lookback_stateEbbT6_jjT7_P12ihipStream_tbENKUlT_T0_SG_SL_E_clISA_SA_SB_SB_EEDaSZ_S10_SG_SL_EUlSZ_E_NS1_11comp_targetILNS1_3genE6ELNS1_11target_archE950ELNS1_3gpuE13ELNS1_3repE0EEENS1_47radix_sort_onesweep_sort_config_static_selectorELNS0_4arch9wavefront6targetE0EEEvSG_.uses_flat_scratch, 0
	.set _ZN7rocprim17ROCPRIM_400000_NS6detail17trampoline_kernelINS0_14default_configENS1_35radix_sort_onesweep_config_selectorIiNS0_10empty_typeEEEZZNS1_29radix_sort_onesweep_iterationIS3_Lb0EPKiPiPS5_SB_mNS0_19identity_decomposerENS1_16block_id_wrapperIjLb1EEEEE10hipError_tT1_PNSt15iterator_traitsISG_E10value_typeET2_T3_PNSH_ISM_E10value_typeET4_T5_PSR_SS_PNS1_23onesweep_lookback_stateEbbT6_jjT7_P12ihipStream_tbENKUlT_T0_SG_SL_E_clISA_SA_SB_SB_EEDaSZ_S10_SG_SL_EUlSZ_E_NS1_11comp_targetILNS1_3genE6ELNS1_11target_archE950ELNS1_3gpuE13ELNS1_3repE0EEENS1_47radix_sort_onesweep_sort_config_static_selectorELNS0_4arch9wavefront6targetE0EEEvSG_.has_dyn_sized_stack, 0
	.set _ZN7rocprim17ROCPRIM_400000_NS6detail17trampoline_kernelINS0_14default_configENS1_35radix_sort_onesweep_config_selectorIiNS0_10empty_typeEEEZZNS1_29radix_sort_onesweep_iterationIS3_Lb0EPKiPiPS5_SB_mNS0_19identity_decomposerENS1_16block_id_wrapperIjLb1EEEEE10hipError_tT1_PNSt15iterator_traitsISG_E10value_typeET2_T3_PNSH_ISM_E10value_typeET4_T5_PSR_SS_PNS1_23onesweep_lookback_stateEbbT6_jjT7_P12ihipStream_tbENKUlT_T0_SG_SL_E_clISA_SA_SB_SB_EEDaSZ_S10_SG_SL_EUlSZ_E_NS1_11comp_targetILNS1_3genE6ELNS1_11target_archE950ELNS1_3gpuE13ELNS1_3repE0EEENS1_47radix_sort_onesweep_sort_config_static_selectorELNS0_4arch9wavefront6targetE0EEEvSG_.has_recursion, 0
	.set _ZN7rocprim17ROCPRIM_400000_NS6detail17trampoline_kernelINS0_14default_configENS1_35radix_sort_onesweep_config_selectorIiNS0_10empty_typeEEEZZNS1_29radix_sort_onesweep_iterationIS3_Lb0EPKiPiPS5_SB_mNS0_19identity_decomposerENS1_16block_id_wrapperIjLb1EEEEE10hipError_tT1_PNSt15iterator_traitsISG_E10value_typeET2_T3_PNSH_ISM_E10value_typeET4_T5_PSR_SS_PNS1_23onesweep_lookback_stateEbbT6_jjT7_P12ihipStream_tbENKUlT_T0_SG_SL_E_clISA_SA_SB_SB_EEDaSZ_S10_SG_SL_EUlSZ_E_NS1_11comp_targetILNS1_3genE6ELNS1_11target_archE950ELNS1_3gpuE13ELNS1_3repE0EEENS1_47radix_sort_onesweep_sort_config_static_selectorELNS0_4arch9wavefront6targetE0EEEvSG_.has_indirect_call, 0
	.section	.AMDGPU.csdata,"",@progbits
; Kernel info:
; codeLenInByte = 0
; TotalNumSgprs: 0
; NumVgprs: 0
; ScratchSize: 0
; MemoryBound: 0
; FloatMode: 240
; IeeeMode: 1
; LDSByteSize: 0 bytes/workgroup (compile time only)
; SGPRBlocks: 0
; VGPRBlocks: 0
; NumSGPRsForWavesPerEU: 1
; NumVGPRsForWavesPerEU: 1
; NamedBarCnt: 0
; Occupancy: 16
; WaveLimiterHint : 0
; COMPUTE_PGM_RSRC2:SCRATCH_EN: 0
; COMPUTE_PGM_RSRC2:USER_SGPR: 2
; COMPUTE_PGM_RSRC2:TRAP_HANDLER: 0
; COMPUTE_PGM_RSRC2:TGID_X_EN: 1
; COMPUTE_PGM_RSRC2:TGID_Y_EN: 0
; COMPUTE_PGM_RSRC2:TGID_Z_EN: 0
; COMPUTE_PGM_RSRC2:TIDIG_COMP_CNT: 0
	.section	.text._ZN7rocprim17ROCPRIM_400000_NS6detail17trampoline_kernelINS0_14default_configENS1_35radix_sort_onesweep_config_selectorIiNS0_10empty_typeEEEZZNS1_29radix_sort_onesweep_iterationIS3_Lb0EPKiPiPS5_SB_mNS0_19identity_decomposerENS1_16block_id_wrapperIjLb1EEEEE10hipError_tT1_PNSt15iterator_traitsISG_E10value_typeET2_T3_PNSH_ISM_E10value_typeET4_T5_PSR_SS_PNS1_23onesweep_lookback_stateEbbT6_jjT7_P12ihipStream_tbENKUlT_T0_SG_SL_E_clISA_SA_SB_SB_EEDaSZ_S10_SG_SL_EUlSZ_E_NS1_11comp_targetILNS1_3genE5ELNS1_11target_archE942ELNS1_3gpuE9ELNS1_3repE0EEENS1_47radix_sort_onesweep_sort_config_static_selectorELNS0_4arch9wavefront6targetE0EEEvSG_,"axG",@progbits,_ZN7rocprim17ROCPRIM_400000_NS6detail17trampoline_kernelINS0_14default_configENS1_35radix_sort_onesweep_config_selectorIiNS0_10empty_typeEEEZZNS1_29radix_sort_onesweep_iterationIS3_Lb0EPKiPiPS5_SB_mNS0_19identity_decomposerENS1_16block_id_wrapperIjLb1EEEEE10hipError_tT1_PNSt15iterator_traitsISG_E10value_typeET2_T3_PNSH_ISM_E10value_typeET4_T5_PSR_SS_PNS1_23onesweep_lookback_stateEbbT6_jjT7_P12ihipStream_tbENKUlT_T0_SG_SL_E_clISA_SA_SB_SB_EEDaSZ_S10_SG_SL_EUlSZ_E_NS1_11comp_targetILNS1_3genE5ELNS1_11target_archE942ELNS1_3gpuE9ELNS1_3repE0EEENS1_47radix_sort_onesweep_sort_config_static_selectorELNS0_4arch9wavefront6targetE0EEEvSG_,comdat
	.protected	_ZN7rocprim17ROCPRIM_400000_NS6detail17trampoline_kernelINS0_14default_configENS1_35radix_sort_onesweep_config_selectorIiNS0_10empty_typeEEEZZNS1_29radix_sort_onesweep_iterationIS3_Lb0EPKiPiPS5_SB_mNS0_19identity_decomposerENS1_16block_id_wrapperIjLb1EEEEE10hipError_tT1_PNSt15iterator_traitsISG_E10value_typeET2_T3_PNSH_ISM_E10value_typeET4_T5_PSR_SS_PNS1_23onesweep_lookback_stateEbbT6_jjT7_P12ihipStream_tbENKUlT_T0_SG_SL_E_clISA_SA_SB_SB_EEDaSZ_S10_SG_SL_EUlSZ_E_NS1_11comp_targetILNS1_3genE5ELNS1_11target_archE942ELNS1_3gpuE9ELNS1_3repE0EEENS1_47radix_sort_onesweep_sort_config_static_selectorELNS0_4arch9wavefront6targetE0EEEvSG_ ; -- Begin function _ZN7rocprim17ROCPRIM_400000_NS6detail17trampoline_kernelINS0_14default_configENS1_35radix_sort_onesweep_config_selectorIiNS0_10empty_typeEEEZZNS1_29radix_sort_onesweep_iterationIS3_Lb0EPKiPiPS5_SB_mNS0_19identity_decomposerENS1_16block_id_wrapperIjLb1EEEEE10hipError_tT1_PNSt15iterator_traitsISG_E10value_typeET2_T3_PNSH_ISM_E10value_typeET4_T5_PSR_SS_PNS1_23onesweep_lookback_stateEbbT6_jjT7_P12ihipStream_tbENKUlT_T0_SG_SL_E_clISA_SA_SB_SB_EEDaSZ_S10_SG_SL_EUlSZ_E_NS1_11comp_targetILNS1_3genE5ELNS1_11target_archE942ELNS1_3gpuE9ELNS1_3repE0EEENS1_47radix_sort_onesweep_sort_config_static_selectorELNS0_4arch9wavefront6targetE0EEEvSG_
	.globl	_ZN7rocprim17ROCPRIM_400000_NS6detail17trampoline_kernelINS0_14default_configENS1_35radix_sort_onesweep_config_selectorIiNS0_10empty_typeEEEZZNS1_29radix_sort_onesweep_iterationIS3_Lb0EPKiPiPS5_SB_mNS0_19identity_decomposerENS1_16block_id_wrapperIjLb1EEEEE10hipError_tT1_PNSt15iterator_traitsISG_E10value_typeET2_T3_PNSH_ISM_E10value_typeET4_T5_PSR_SS_PNS1_23onesweep_lookback_stateEbbT6_jjT7_P12ihipStream_tbENKUlT_T0_SG_SL_E_clISA_SA_SB_SB_EEDaSZ_S10_SG_SL_EUlSZ_E_NS1_11comp_targetILNS1_3genE5ELNS1_11target_archE942ELNS1_3gpuE9ELNS1_3repE0EEENS1_47radix_sort_onesweep_sort_config_static_selectorELNS0_4arch9wavefront6targetE0EEEvSG_
	.p2align	8
	.type	_ZN7rocprim17ROCPRIM_400000_NS6detail17trampoline_kernelINS0_14default_configENS1_35radix_sort_onesweep_config_selectorIiNS0_10empty_typeEEEZZNS1_29radix_sort_onesweep_iterationIS3_Lb0EPKiPiPS5_SB_mNS0_19identity_decomposerENS1_16block_id_wrapperIjLb1EEEEE10hipError_tT1_PNSt15iterator_traitsISG_E10value_typeET2_T3_PNSH_ISM_E10value_typeET4_T5_PSR_SS_PNS1_23onesweep_lookback_stateEbbT6_jjT7_P12ihipStream_tbENKUlT_T0_SG_SL_E_clISA_SA_SB_SB_EEDaSZ_S10_SG_SL_EUlSZ_E_NS1_11comp_targetILNS1_3genE5ELNS1_11target_archE942ELNS1_3gpuE9ELNS1_3repE0EEENS1_47radix_sort_onesweep_sort_config_static_selectorELNS0_4arch9wavefront6targetE0EEEvSG_,@function
_ZN7rocprim17ROCPRIM_400000_NS6detail17trampoline_kernelINS0_14default_configENS1_35radix_sort_onesweep_config_selectorIiNS0_10empty_typeEEEZZNS1_29radix_sort_onesweep_iterationIS3_Lb0EPKiPiPS5_SB_mNS0_19identity_decomposerENS1_16block_id_wrapperIjLb1EEEEE10hipError_tT1_PNSt15iterator_traitsISG_E10value_typeET2_T3_PNSH_ISM_E10value_typeET4_T5_PSR_SS_PNS1_23onesweep_lookback_stateEbbT6_jjT7_P12ihipStream_tbENKUlT_T0_SG_SL_E_clISA_SA_SB_SB_EEDaSZ_S10_SG_SL_EUlSZ_E_NS1_11comp_targetILNS1_3genE5ELNS1_11target_archE942ELNS1_3gpuE9ELNS1_3repE0EEENS1_47radix_sort_onesweep_sort_config_static_selectorELNS0_4arch9wavefront6targetE0EEEvSG_: ; @_ZN7rocprim17ROCPRIM_400000_NS6detail17trampoline_kernelINS0_14default_configENS1_35radix_sort_onesweep_config_selectorIiNS0_10empty_typeEEEZZNS1_29radix_sort_onesweep_iterationIS3_Lb0EPKiPiPS5_SB_mNS0_19identity_decomposerENS1_16block_id_wrapperIjLb1EEEEE10hipError_tT1_PNSt15iterator_traitsISG_E10value_typeET2_T3_PNSH_ISM_E10value_typeET4_T5_PSR_SS_PNS1_23onesweep_lookback_stateEbbT6_jjT7_P12ihipStream_tbENKUlT_T0_SG_SL_E_clISA_SA_SB_SB_EEDaSZ_S10_SG_SL_EUlSZ_E_NS1_11comp_targetILNS1_3genE5ELNS1_11target_archE942ELNS1_3gpuE9ELNS1_3repE0EEENS1_47radix_sort_onesweep_sort_config_static_selectorELNS0_4arch9wavefront6targetE0EEEvSG_
; %bb.0:
	.section	.rodata,"a",@progbits
	.p2align	6, 0x0
	.amdhsa_kernel _ZN7rocprim17ROCPRIM_400000_NS6detail17trampoline_kernelINS0_14default_configENS1_35radix_sort_onesweep_config_selectorIiNS0_10empty_typeEEEZZNS1_29radix_sort_onesweep_iterationIS3_Lb0EPKiPiPS5_SB_mNS0_19identity_decomposerENS1_16block_id_wrapperIjLb1EEEEE10hipError_tT1_PNSt15iterator_traitsISG_E10value_typeET2_T3_PNSH_ISM_E10value_typeET4_T5_PSR_SS_PNS1_23onesweep_lookback_stateEbbT6_jjT7_P12ihipStream_tbENKUlT_T0_SG_SL_E_clISA_SA_SB_SB_EEDaSZ_S10_SG_SL_EUlSZ_E_NS1_11comp_targetILNS1_3genE5ELNS1_11target_archE942ELNS1_3gpuE9ELNS1_3repE0EEENS1_47radix_sort_onesweep_sort_config_static_selectorELNS0_4arch9wavefront6targetE0EEEvSG_
		.amdhsa_group_segment_fixed_size 0
		.amdhsa_private_segment_fixed_size 0
		.amdhsa_kernarg_size 88
		.amdhsa_user_sgpr_count 2
		.amdhsa_user_sgpr_dispatch_ptr 0
		.amdhsa_user_sgpr_queue_ptr 0
		.amdhsa_user_sgpr_kernarg_segment_ptr 1
		.amdhsa_user_sgpr_dispatch_id 0
		.amdhsa_user_sgpr_kernarg_preload_length 0
		.amdhsa_user_sgpr_kernarg_preload_offset 0
		.amdhsa_user_sgpr_private_segment_size 0
		.amdhsa_wavefront_size32 1
		.amdhsa_uses_dynamic_stack 0
		.amdhsa_enable_private_segment 0
		.amdhsa_system_sgpr_workgroup_id_x 1
		.amdhsa_system_sgpr_workgroup_id_y 0
		.amdhsa_system_sgpr_workgroup_id_z 0
		.amdhsa_system_sgpr_workgroup_info 0
		.amdhsa_system_vgpr_workitem_id 0
		.amdhsa_next_free_vgpr 1
		.amdhsa_next_free_sgpr 1
		.amdhsa_named_barrier_count 0
		.amdhsa_reserve_vcc 0
		.amdhsa_float_round_mode_32 0
		.amdhsa_float_round_mode_16_64 0
		.amdhsa_float_denorm_mode_32 3
		.amdhsa_float_denorm_mode_16_64 3
		.amdhsa_fp16_overflow 0
		.amdhsa_memory_ordered 1
		.amdhsa_forward_progress 1
		.amdhsa_inst_pref_size 0
		.amdhsa_round_robin_scheduling 0
		.amdhsa_exception_fp_ieee_invalid_op 0
		.amdhsa_exception_fp_denorm_src 0
		.amdhsa_exception_fp_ieee_div_zero 0
		.amdhsa_exception_fp_ieee_overflow 0
		.amdhsa_exception_fp_ieee_underflow 0
		.amdhsa_exception_fp_ieee_inexact 0
		.amdhsa_exception_int_div_zero 0
	.end_amdhsa_kernel
	.section	.text._ZN7rocprim17ROCPRIM_400000_NS6detail17trampoline_kernelINS0_14default_configENS1_35radix_sort_onesweep_config_selectorIiNS0_10empty_typeEEEZZNS1_29radix_sort_onesweep_iterationIS3_Lb0EPKiPiPS5_SB_mNS0_19identity_decomposerENS1_16block_id_wrapperIjLb1EEEEE10hipError_tT1_PNSt15iterator_traitsISG_E10value_typeET2_T3_PNSH_ISM_E10value_typeET4_T5_PSR_SS_PNS1_23onesweep_lookback_stateEbbT6_jjT7_P12ihipStream_tbENKUlT_T0_SG_SL_E_clISA_SA_SB_SB_EEDaSZ_S10_SG_SL_EUlSZ_E_NS1_11comp_targetILNS1_3genE5ELNS1_11target_archE942ELNS1_3gpuE9ELNS1_3repE0EEENS1_47radix_sort_onesweep_sort_config_static_selectorELNS0_4arch9wavefront6targetE0EEEvSG_,"axG",@progbits,_ZN7rocprim17ROCPRIM_400000_NS6detail17trampoline_kernelINS0_14default_configENS1_35radix_sort_onesweep_config_selectorIiNS0_10empty_typeEEEZZNS1_29radix_sort_onesweep_iterationIS3_Lb0EPKiPiPS5_SB_mNS0_19identity_decomposerENS1_16block_id_wrapperIjLb1EEEEE10hipError_tT1_PNSt15iterator_traitsISG_E10value_typeET2_T3_PNSH_ISM_E10value_typeET4_T5_PSR_SS_PNS1_23onesweep_lookback_stateEbbT6_jjT7_P12ihipStream_tbENKUlT_T0_SG_SL_E_clISA_SA_SB_SB_EEDaSZ_S10_SG_SL_EUlSZ_E_NS1_11comp_targetILNS1_3genE5ELNS1_11target_archE942ELNS1_3gpuE9ELNS1_3repE0EEENS1_47radix_sort_onesweep_sort_config_static_selectorELNS0_4arch9wavefront6targetE0EEEvSG_,comdat
.Lfunc_end971:
	.size	_ZN7rocprim17ROCPRIM_400000_NS6detail17trampoline_kernelINS0_14default_configENS1_35radix_sort_onesweep_config_selectorIiNS0_10empty_typeEEEZZNS1_29radix_sort_onesweep_iterationIS3_Lb0EPKiPiPS5_SB_mNS0_19identity_decomposerENS1_16block_id_wrapperIjLb1EEEEE10hipError_tT1_PNSt15iterator_traitsISG_E10value_typeET2_T3_PNSH_ISM_E10value_typeET4_T5_PSR_SS_PNS1_23onesweep_lookback_stateEbbT6_jjT7_P12ihipStream_tbENKUlT_T0_SG_SL_E_clISA_SA_SB_SB_EEDaSZ_S10_SG_SL_EUlSZ_E_NS1_11comp_targetILNS1_3genE5ELNS1_11target_archE942ELNS1_3gpuE9ELNS1_3repE0EEENS1_47radix_sort_onesweep_sort_config_static_selectorELNS0_4arch9wavefront6targetE0EEEvSG_, .Lfunc_end971-_ZN7rocprim17ROCPRIM_400000_NS6detail17trampoline_kernelINS0_14default_configENS1_35radix_sort_onesweep_config_selectorIiNS0_10empty_typeEEEZZNS1_29radix_sort_onesweep_iterationIS3_Lb0EPKiPiPS5_SB_mNS0_19identity_decomposerENS1_16block_id_wrapperIjLb1EEEEE10hipError_tT1_PNSt15iterator_traitsISG_E10value_typeET2_T3_PNSH_ISM_E10value_typeET4_T5_PSR_SS_PNS1_23onesweep_lookback_stateEbbT6_jjT7_P12ihipStream_tbENKUlT_T0_SG_SL_E_clISA_SA_SB_SB_EEDaSZ_S10_SG_SL_EUlSZ_E_NS1_11comp_targetILNS1_3genE5ELNS1_11target_archE942ELNS1_3gpuE9ELNS1_3repE0EEENS1_47radix_sort_onesweep_sort_config_static_selectorELNS0_4arch9wavefront6targetE0EEEvSG_
                                        ; -- End function
	.set _ZN7rocprim17ROCPRIM_400000_NS6detail17trampoline_kernelINS0_14default_configENS1_35radix_sort_onesweep_config_selectorIiNS0_10empty_typeEEEZZNS1_29radix_sort_onesweep_iterationIS3_Lb0EPKiPiPS5_SB_mNS0_19identity_decomposerENS1_16block_id_wrapperIjLb1EEEEE10hipError_tT1_PNSt15iterator_traitsISG_E10value_typeET2_T3_PNSH_ISM_E10value_typeET4_T5_PSR_SS_PNS1_23onesweep_lookback_stateEbbT6_jjT7_P12ihipStream_tbENKUlT_T0_SG_SL_E_clISA_SA_SB_SB_EEDaSZ_S10_SG_SL_EUlSZ_E_NS1_11comp_targetILNS1_3genE5ELNS1_11target_archE942ELNS1_3gpuE9ELNS1_3repE0EEENS1_47radix_sort_onesweep_sort_config_static_selectorELNS0_4arch9wavefront6targetE0EEEvSG_.num_vgpr, 0
	.set _ZN7rocprim17ROCPRIM_400000_NS6detail17trampoline_kernelINS0_14default_configENS1_35radix_sort_onesweep_config_selectorIiNS0_10empty_typeEEEZZNS1_29radix_sort_onesweep_iterationIS3_Lb0EPKiPiPS5_SB_mNS0_19identity_decomposerENS1_16block_id_wrapperIjLb1EEEEE10hipError_tT1_PNSt15iterator_traitsISG_E10value_typeET2_T3_PNSH_ISM_E10value_typeET4_T5_PSR_SS_PNS1_23onesweep_lookback_stateEbbT6_jjT7_P12ihipStream_tbENKUlT_T0_SG_SL_E_clISA_SA_SB_SB_EEDaSZ_S10_SG_SL_EUlSZ_E_NS1_11comp_targetILNS1_3genE5ELNS1_11target_archE942ELNS1_3gpuE9ELNS1_3repE0EEENS1_47radix_sort_onesweep_sort_config_static_selectorELNS0_4arch9wavefront6targetE0EEEvSG_.num_agpr, 0
	.set _ZN7rocprim17ROCPRIM_400000_NS6detail17trampoline_kernelINS0_14default_configENS1_35radix_sort_onesweep_config_selectorIiNS0_10empty_typeEEEZZNS1_29radix_sort_onesweep_iterationIS3_Lb0EPKiPiPS5_SB_mNS0_19identity_decomposerENS1_16block_id_wrapperIjLb1EEEEE10hipError_tT1_PNSt15iterator_traitsISG_E10value_typeET2_T3_PNSH_ISM_E10value_typeET4_T5_PSR_SS_PNS1_23onesweep_lookback_stateEbbT6_jjT7_P12ihipStream_tbENKUlT_T0_SG_SL_E_clISA_SA_SB_SB_EEDaSZ_S10_SG_SL_EUlSZ_E_NS1_11comp_targetILNS1_3genE5ELNS1_11target_archE942ELNS1_3gpuE9ELNS1_3repE0EEENS1_47radix_sort_onesweep_sort_config_static_selectorELNS0_4arch9wavefront6targetE0EEEvSG_.numbered_sgpr, 0
	.set _ZN7rocprim17ROCPRIM_400000_NS6detail17trampoline_kernelINS0_14default_configENS1_35radix_sort_onesweep_config_selectorIiNS0_10empty_typeEEEZZNS1_29radix_sort_onesweep_iterationIS3_Lb0EPKiPiPS5_SB_mNS0_19identity_decomposerENS1_16block_id_wrapperIjLb1EEEEE10hipError_tT1_PNSt15iterator_traitsISG_E10value_typeET2_T3_PNSH_ISM_E10value_typeET4_T5_PSR_SS_PNS1_23onesweep_lookback_stateEbbT6_jjT7_P12ihipStream_tbENKUlT_T0_SG_SL_E_clISA_SA_SB_SB_EEDaSZ_S10_SG_SL_EUlSZ_E_NS1_11comp_targetILNS1_3genE5ELNS1_11target_archE942ELNS1_3gpuE9ELNS1_3repE0EEENS1_47radix_sort_onesweep_sort_config_static_selectorELNS0_4arch9wavefront6targetE0EEEvSG_.num_named_barrier, 0
	.set _ZN7rocprim17ROCPRIM_400000_NS6detail17trampoline_kernelINS0_14default_configENS1_35radix_sort_onesweep_config_selectorIiNS0_10empty_typeEEEZZNS1_29radix_sort_onesweep_iterationIS3_Lb0EPKiPiPS5_SB_mNS0_19identity_decomposerENS1_16block_id_wrapperIjLb1EEEEE10hipError_tT1_PNSt15iterator_traitsISG_E10value_typeET2_T3_PNSH_ISM_E10value_typeET4_T5_PSR_SS_PNS1_23onesweep_lookback_stateEbbT6_jjT7_P12ihipStream_tbENKUlT_T0_SG_SL_E_clISA_SA_SB_SB_EEDaSZ_S10_SG_SL_EUlSZ_E_NS1_11comp_targetILNS1_3genE5ELNS1_11target_archE942ELNS1_3gpuE9ELNS1_3repE0EEENS1_47radix_sort_onesweep_sort_config_static_selectorELNS0_4arch9wavefront6targetE0EEEvSG_.private_seg_size, 0
	.set _ZN7rocprim17ROCPRIM_400000_NS6detail17trampoline_kernelINS0_14default_configENS1_35radix_sort_onesweep_config_selectorIiNS0_10empty_typeEEEZZNS1_29radix_sort_onesweep_iterationIS3_Lb0EPKiPiPS5_SB_mNS0_19identity_decomposerENS1_16block_id_wrapperIjLb1EEEEE10hipError_tT1_PNSt15iterator_traitsISG_E10value_typeET2_T3_PNSH_ISM_E10value_typeET4_T5_PSR_SS_PNS1_23onesweep_lookback_stateEbbT6_jjT7_P12ihipStream_tbENKUlT_T0_SG_SL_E_clISA_SA_SB_SB_EEDaSZ_S10_SG_SL_EUlSZ_E_NS1_11comp_targetILNS1_3genE5ELNS1_11target_archE942ELNS1_3gpuE9ELNS1_3repE0EEENS1_47radix_sort_onesweep_sort_config_static_selectorELNS0_4arch9wavefront6targetE0EEEvSG_.uses_vcc, 0
	.set _ZN7rocprim17ROCPRIM_400000_NS6detail17trampoline_kernelINS0_14default_configENS1_35radix_sort_onesweep_config_selectorIiNS0_10empty_typeEEEZZNS1_29radix_sort_onesweep_iterationIS3_Lb0EPKiPiPS5_SB_mNS0_19identity_decomposerENS1_16block_id_wrapperIjLb1EEEEE10hipError_tT1_PNSt15iterator_traitsISG_E10value_typeET2_T3_PNSH_ISM_E10value_typeET4_T5_PSR_SS_PNS1_23onesweep_lookback_stateEbbT6_jjT7_P12ihipStream_tbENKUlT_T0_SG_SL_E_clISA_SA_SB_SB_EEDaSZ_S10_SG_SL_EUlSZ_E_NS1_11comp_targetILNS1_3genE5ELNS1_11target_archE942ELNS1_3gpuE9ELNS1_3repE0EEENS1_47radix_sort_onesweep_sort_config_static_selectorELNS0_4arch9wavefront6targetE0EEEvSG_.uses_flat_scratch, 0
	.set _ZN7rocprim17ROCPRIM_400000_NS6detail17trampoline_kernelINS0_14default_configENS1_35radix_sort_onesweep_config_selectorIiNS0_10empty_typeEEEZZNS1_29radix_sort_onesweep_iterationIS3_Lb0EPKiPiPS5_SB_mNS0_19identity_decomposerENS1_16block_id_wrapperIjLb1EEEEE10hipError_tT1_PNSt15iterator_traitsISG_E10value_typeET2_T3_PNSH_ISM_E10value_typeET4_T5_PSR_SS_PNS1_23onesweep_lookback_stateEbbT6_jjT7_P12ihipStream_tbENKUlT_T0_SG_SL_E_clISA_SA_SB_SB_EEDaSZ_S10_SG_SL_EUlSZ_E_NS1_11comp_targetILNS1_3genE5ELNS1_11target_archE942ELNS1_3gpuE9ELNS1_3repE0EEENS1_47radix_sort_onesweep_sort_config_static_selectorELNS0_4arch9wavefront6targetE0EEEvSG_.has_dyn_sized_stack, 0
	.set _ZN7rocprim17ROCPRIM_400000_NS6detail17trampoline_kernelINS0_14default_configENS1_35radix_sort_onesweep_config_selectorIiNS0_10empty_typeEEEZZNS1_29radix_sort_onesweep_iterationIS3_Lb0EPKiPiPS5_SB_mNS0_19identity_decomposerENS1_16block_id_wrapperIjLb1EEEEE10hipError_tT1_PNSt15iterator_traitsISG_E10value_typeET2_T3_PNSH_ISM_E10value_typeET4_T5_PSR_SS_PNS1_23onesweep_lookback_stateEbbT6_jjT7_P12ihipStream_tbENKUlT_T0_SG_SL_E_clISA_SA_SB_SB_EEDaSZ_S10_SG_SL_EUlSZ_E_NS1_11comp_targetILNS1_3genE5ELNS1_11target_archE942ELNS1_3gpuE9ELNS1_3repE0EEENS1_47radix_sort_onesweep_sort_config_static_selectorELNS0_4arch9wavefront6targetE0EEEvSG_.has_recursion, 0
	.set _ZN7rocprim17ROCPRIM_400000_NS6detail17trampoline_kernelINS0_14default_configENS1_35radix_sort_onesweep_config_selectorIiNS0_10empty_typeEEEZZNS1_29radix_sort_onesweep_iterationIS3_Lb0EPKiPiPS5_SB_mNS0_19identity_decomposerENS1_16block_id_wrapperIjLb1EEEEE10hipError_tT1_PNSt15iterator_traitsISG_E10value_typeET2_T3_PNSH_ISM_E10value_typeET4_T5_PSR_SS_PNS1_23onesweep_lookback_stateEbbT6_jjT7_P12ihipStream_tbENKUlT_T0_SG_SL_E_clISA_SA_SB_SB_EEDaSZ_S10_SG_SL_EUlSZ_E_NS1_11comp_targetILNS1_3genE5ELNS1_11target_archE942ELNS1_3gpuE9ELNS1_3repE0EEENS1_47radix_sort_onesweep_sort_config_static_selectorELNS0_4arch9wavefront6targetE0EEEvSG_.has_indirect_call, 0
	.section	.AMDGPU.csdata,"",@progbits
; Kernel info:
; codeLenInByte = 0
; TotalNumSgprs: 0
; NumVgprs: 0
; ScratchSize: 0
; MemoryBound: 0
; FloatMode: 240
; IeeeMode: 1
; LDSByteSize: 0 bytes/workgroup (compile time only)
; SGPRBlocks: 0
; VGPRBlocks: 0
; NumSGPRsForWavesPerEU: 1
; NumVGPRsForWavesPerEU: 1
; NamedBarCnt: 0
; Occupancy: 16
; WaveLimiterHint : 0
; COMPUTE_PGM_RSRC2:SCRATCH_EN: 0
; COMPUTE_PGM_RSRC2:USER_SGPR: 2
; COMPUTE_PGM_RSRC2:TRAP_HANDLER: 0
; COMPUTE_PGM_RSRC2:TGID_X_EN: 1
; COMPUTE_PGM_RSRC2:TGID_Y_EN: 0
; COMPUTE_PGM_RSRC2:TGID_Z_EN: 0
; COMPUTE_PGM_RSRC2:TIDIG_COMP_CNT: 0
	.section	.text._ZN7rocprim17ROCPRIM_400000_NS6detail17trampoline_kernelINS0_14default_configENS1_35radix_sort_onesweep_config_selectorIiNS0_10empty_typeEEEZZNS1_29radix_sort_onesweep_iterationIS3_Lb0EPKiPiPS5_SB_mNS0_19identity_decomposerENS1_16block_id_wrapperIjLb1EEEEE10hipError_tT1_PNSt15iterator_traitsISG_E10value_typeET2_T3_PNSH_ISM_E10value_typeET4_T5_PSR_SS_PNS1_23onesweep_lookback_stateEbbT6_jjT7_P12ihipStream_tbENKUlT_T0_SG_SL_E_clISA_SA_SB_SB_EEDaSZ_S10_SG_SL_EUlSZ_E_NS1_11comp_targetILNS1_3genE2ELNS1_11target_archE906ELNS1_3gpuE6ELNS1_3repE0EEENS1_47radix_sort_onesweep_sort_config_static_selectorELNS0_4arch9wavefront6targetE0EEEvSG_,"axG",@progbits,_ZN7rocprim17ROCPRIM_400000_NS6detail17trampoline_kernelINS0_14default_configENS1_35radix_sort_onesweep_config_selectorIiNS0_10empty_typeEEEZZNS1_29radix_sort_onesweep_iterationIS3_Lb0EPKiPiPS5_SB_mNS0_19identity_decomposerENS1_16block_id_wrapperIjLb1EEEEE10hipError_tT1_PNSt15iterator_traitsISG_E10value_typeET2_T3_PNSH_ISM_E10value_typeET4_T5_PSR_SS_PNS1_23onesweep_lookback_stateEbbT6_jjT7_P12ihipStream_tbENKUlT_T0_SG_SL_E_clISA_SA_SB_SB_EEDaSZ_S10_SG_SL_EUlSZ_E_NS1_11comp_targetILNS1_3genE2ELNS1_11target_archE906ELNS1_3gpuE6ELNS1_3repE0EEENS1_47radix_sort_onesweep_sort_config_static_selectorELNS0_4arch9wavefront6targetE0EEEvSG_,comdat
	.protected	_ZN7rocprim17ROCPRIM_400000_NS6detail17trampoline_kernelINS0_14default_configENS1_35radix_sort_onesweep_config_selectorIiNS0_10empty_typeEEEZZNS1_29radix_sort_onesweep_iterationIS3_Lb0EPKiPiPS5_SB_mNS0_19identity_decomposerENS1_16block_id_wrapperIjLb1EEEEE10hipError_tT1_PNSt15iterator_traitsISG_E10value_typeET2_T3_PNSH_ISM_E10value_typeET4_T5_PSR_SS_PNS1_23onesweep_lookback_stateEbbT6_jjT7_P12ihipStream_tbENKUlT_T0_SG_SL_E_clISA_SA_SB_SB_EEDaSZ_S10_SG_SL_EUlSZ_E_NS1_11comp_targetILNS1_3genE2ELNS1_11target_archE906ELNS1_3gpuE6ELNS1_3repE0EEENS1_47radix_sort_onesweep_sort_config_static_selectorELNS0_4arch9wavefront6targetE0EEEvSG_ ; -- Begin function _ZN7rocprim17ROCPRIM_400000_NS6detail17trampoline_kernelINS0_14default_configENS1_35radix_sort_onesweep_config_selectorIiNS0_10empty_typeEEEZZNS1_29radix_sort_onesweep_iterationIS3_Lb0EPKiPiPS5_SB_mNS0_19identity_decomposerENS1_16block_id_wrapperIjLb1EEEEE10hipError_tT1_PNSt15iterator_traitsISG_E10value_typeET2_T3_PNSH_ISM_E10value_typeET4_T5_PSR_SS_PNS1_23onesweep_lookback_stateEbbT6_jjT7_P12ihipStream_tbENKUlT_T0_SG_SL_E_clISA_SA_SB_SB_EEDaSZ_S10_SG_SL_EUlSZ_E_NS1_11comp_targetILNS1_3genE2ELNS1_11target_archE906ELNS1_3gpuE6ELNS1_3repE0EEENS1_47radix_sort_onesweep_sort_config_static_selectorELNS0_4arch9wavefront6targetE0EEEvSG_
	.globl	_ZN7rocprim17ROCPRIM_400000_NS6detail17trampoline_kernelINS0_14default_configENS1_35radix_sort_onesweep_config_selectorIiNS0_10empty_typeEEEZZNS1_29radix_sort_onesweep_iterationIS3_Lb0EPKiPiPS5_SB_mNS0_19identity_decomposerENS1_16block_id_wrapperIjLb1EEEEE10hipError_tT1_PNSt15iterator_traitsISG_E10value_typeET2_T3_PNSH_ISM_E10value_typeET4_T5_PSR_SS_PNS1_23onesweep_lookback_stateEbbT6_jjT7_P12ihipStream_tbENKUlT_T0_SG_SL_E_clISA_SA_SB_SB_EEDaSZ_S10_SG_SL_EUlSZ_E_NS1_11comp_targetILNS1_3genE2ELNS1_11target_archE906ELNS1_3gpuE6ELNS1_3repE0EEENS1_47radix_sort_onesweep_sort_config_static_selectorELNS0_4arch9wavefront6targetE0EEEvSG_
	.p2align	8
	.type	_ZN7rocprim17ROCPRIM_400000_NS6detail17trampoline_kernelINS0_14default_configENS1_35radix_sort_onesweep_config_selectorIiNS0_10empty_typeEEEZZNS1_29radix_sort_onesweep_iterationIS3_Lb0EPKiPiPS5_SB_mNS0_19identity_decomposerENS1_16block_id_wrapperIjLb1EEEEE10hipError_tT1_PNSt15iterator_traitsISG_E10value_typeET2_T3_PNSH_ISM_E10value_typeET4_T5_PSR_SS_PNS1_23onesweep_lookback_stateEbbT6_jjT7_P12ihipStream_tbENKUlT_T0_SG_SL_E_clISA_SA_SB_SB_EEDaSZ_S10_SG_SL_EUlSZ_E_NS1_11comp_targetILNS1_3genE2ELNS1_11target_archE906ELNS1_3gpuE6ELNS1_3repE0EEENS1_47radix_sort_onesweep_sort_config_static_selectorELNS0_4arch9wavefront6targetE0EEEvSG_,@function
_ZN7rocprim17ROCPRIM_400000_NS6detail17trampoline_kernelINS0_14default_configENS1_35radix_sort_onesweep_config_selectorIiNS0_10empty_typeEEEZZNS1_29radix_sort_onesweep_iterationIS3_Lb0EPKiPiPS5_SB_mNS0_19identity_decomposerENS1_16block_id_wrapperIjLb1EEEEE10hipError_tT1_PNSt15iterator_traitsISG_E10value_typeET2_T3_PNSH_ISM_E10value_typeET4_T5_PSR_SS_PNS1_23onesweep_lookback_stateEbbT6_jjT7_P12ihipStream_tbENKUlT_T0_SG_SL_E_clISA_SA_SB_SB_EEDaSZ_S10_SG_SL_EUlSZ_E_NS1_11comp_targetILNS1_3genE2ELNS1_11target_archE906ELNS1_3gpuE6ELNS1_3repE0EEENS1_47radix_sort_onesweep_sort_config_static_selectorELNS0_4arch9wavefront6targetE0EEEvSG_: ; @_ZN7rocprim17ROCPRIM_400000_NS6detail17trampoline_kernelINS0_14default_configENS1_35radix_sort_onesweep_config_selectorIiNS0_10empty_typeEEEZZNS1_29radix_sort_onesweep_iterationIS3_Lb0EPKiPiPS5_SB_mNS0_19identity_decomposerENS1_16block_id_wrapperIjLb1EEEEE10hipError_tT1_PNSt15iterator_traitsISG_E10value_typeET2_T3_PNSH_ISM_E10value_typeET4_T5_PSR_SS_PNS1_23onesweep_lookback_stateEbbT6_jjT7_P12ihipStream_tbENKUlT_T0_SG_SL_E_clISA_SA_SB_SB_EEDaSZ_S10_SG_SL_EUlSZ_E_NS1_11comp_targetILNS1_3genE2ELNS1_11target_archE906ELNS1_3gpuE6ELNS1_3repE0EEENS1_47radix_sort_onesweep_sort_config_static_selectorELNS0_4arch9wavefront6targetE0EEEvSG_
; %bb.0:
	.section	.rodata,"a",@progbits
	.p2align	6, 0x0
	.amdhsa_kernel _ZN7rocprim17ROCPRIM_400000_NS6detail17trampoline_kernelINS0_14default_configENS1_35radix_sort_onesweep_config_selectorIiNS0_10empty_typeEEEZZNS1_29radix_sort_onesweep_iterationIS3_Lb0EPKiPiPS5_SB_mNS0_19identity_decomposerENS1_16block_id_wrapperIjLb1EEEEE10hipError_tT1_PNSt15iterator_traitsISG_E10value_typeET2_T3_PNSH_ISM_E10value_typeET4_T5_PSR_SS_PNS1_23onesweep_lookback_stateEbbT6_jjT7_P12ihipStream_tbENKUlT_T0_SG_SL_E_clISA_SA_SB_SB_EEDaSZ_S10_SG_SL_EUlSZ_E_NS1_11comp_targetILNS1_3genE2ELNS1_11target_archE906ELNS1_3gpuE6ELNS1_3repE0EEENS1_47radix_sort_onesweep_sort_config_static_selectorELNS0_4arch9wavefront6targetE0EEEvSG_
		.amdhsa_group_segment_fixed_size 0
		.amdhsa_private_segment_fixed_size 0
		.amdhsa_kernarg_size 88
		.amdhsa_user_sgpr_count 2
		.amdhsa_user_sgpr_dispatch_ptr 0
		.amdhsa_user_sgpr_queue_ptr 0
		.amdhsa_user_sgpr_kernarg_segment_ptr 1
		.amdhsa_user_sgpr_dispatch_id 0
		.amdhsa_user_sgpr_kernarg_preload_length 0
		.amdhsa_user_sgpr_kernarg_preload_offset 0
		.amdhsa_user_sgpr_private_segment_size 0
		.amdhsa_wavefront_size32 1
		.amdhsa_uses_dynamic_stack 0
		.amdhsa_enable_private_segment 0
		.amdhsa_system_sgpr_workgroup_id_x 1
		.amdhsa_system_sgpr_workgroup_id_y 0
		.amdhsa_system_sgpr_workgroup_id_z 0
		.amdhsa_system_sgpr_workgroup_info 0
		.amdhsa_system_vgpr_workitem_id 0
		.amdhsa_next_free_vgpr 1
		.amdhsa_next_free_sgpr 1
		.amdhsa_named_barrier_count 0
		.amdhsa_reserve_vcc 0
		.amdhsa_float_round_mode_32 0
		.amdhsa_float_round_mode_16_64 0
		.amdhsa_float_denorm_mode_32 3
		.amdhsa_float_denorm_mode_16_64 3
		.amdhsa_fp16_overflow 0
		.amdhsa_memory_ordered 1
		.amdhsa_forward_progress 1
		.amdhsa_inst_pref_size 0
		.amdhsa_round_robin_scheduling 0
		.amdhsa_exception_fp_ieee_invalid_op 0
		.amdhsa_exception_fp_denorm_src 0
		.amdhsa_exception_fp_ieee_div_zero 0
		.amdhsa_exception_fp_ieee_overflow 0
		.amdhsa_exception_fp_ieee_underflow 0
		.amdhsa_exception_fp_ieee_inexact 0
		.amdhsa_exception_int_div_zero 0
	.end_amdhsa_kernel
	.section	.text._ZN7rocprim17ROCPRIM_400000_NS6detail17trampoline_kernelINS0_14default_configENS1_35radix_sort_onesweep_config_selectorIiNS0_10empty_typeEEEZZNS1_29radix_sort_onesweep_iterationIS3_Lb0EPKiPiPS5_SB_mNS0_19identity_decomposerENS1_16block_id_wrapperIjLb1EEEEE10hipError_tT1_PNSt15iterator_traitsISG_E10value_typeET2_T3_PNSH_ISM_E10value_typeET4_T5_PSR_SS_PNS1_23onesweep_lookback_stateEbbT6_jjT7_P12ihipStream_tbENKUlT_T0_SG_SL_E_clISA_SA_SB_SB_EEDaSZ_S10_SG_SL_EUlSZ_E_NS1_11comp_targetILNS1_3genE2ELNS1_11target_archE906ELNS1_3gpuE6ELNS1_3repE0EEENS1_47radix_sort_onesweep_sort_config_static_selectorELNS0_4arch9wavefront6targetE0EEEvSG_,"axG",@progbits,_ZN7rocprim17ROCPRIM_400000_NS6detail17trampoline_kernelINS0_14default_configENS1_35radix_sort_onesweep_config_selectorIiNS0_10empty_typeEEEZZNS1_29radix_sort_onesweep_iterationIS3_Lb0EPKiPiPS5_SB_mNS0_19identity_decomposerENS1_16block_id_wrapperIjLb1EEEEE10hipError_tT1_PNSt15iterator_traitsISG_E10value_typeET2_T3_PNSH_ISM_E10value_typeET4_T5_PSR_SS_PNS1_23onesweep_lookback_stateEbbT6_jjT7_P12ihipStream_tbENKUlT_T0_SG_SL_E_clISA_SA_SB_SB_EEDaSZ_S10_SG_SL_EUlSZ_E_NS1_11comp_targetILNS1_3genE2ELNS1_11target_archE906ELNS1_3gpuE6ELNS1_3repE0EEENS1_47radix_sort_onesweep_sort_config_static_selectorELNS0_4arch9wavefront6targetE0EEEvSG_,comdat
.Lfunc_end972:
	.size	_ZN7rocprim17ROCPRIM_400000_NS6detail17trampoline_kernelINS0_14default_configENS1_35radix_sort_onesweep_config_selectorIiNS0_10empty_typeEEEZZNS1_29radix_sort_onesweep_iterationIS3_Lb0EPKiPiPS5_SB_mNS0_19identity_decomposerENS1_16block_id_wrapperIjLb1EEEEE10hipError_tT1_PNSt15iterator_traitsISG_E10value_typeET2_T3_PNSH_ISM_E10value_typeET4_T5_PSR_SS_PNS1_23onesweep_lookback_stateEbbT6_jjT7_P12ihipStream_tbENKUlT_T0_SG_SL_E_clISA_SA_SB_SB_EEDaSZ_S10_SG_SL_EUlSZ_E_NS1_11comp_targetILNS1_3genE2ELNS1_11target_archE906ELNS1_3gpuE6ELNS1_3repE0EEENS1_47radix_sort_onesweep_sort_config_static_selectorELNS0_4arch9wavefront6targetE0EEEvSG_, .Lfunc_end972-_ZN7rocprim17ROCPRIM_400000_NS6detail17trampoline_kernelINS0_14default_configENS1_35radix_sort_onesweep_config_selectorIiNS0_10empty_typeEEEZZNS1_29radix_sort_onesweep_iterationIS3_Lb0EPKiPiPS5_SB_mNS0_19identity_decomposerENS1_16block_id_wrapperIjLb1EEEEE10hipError_tT1_PNSt15iterator_traitsISG_E10value_typeET2_T3_PNSH_ISM_E10value_typeET4_T5_PSR_SS_PNS1_23onesweep_lookback_stateEbbT6_jjT7_P12ihipStream_tbENKUlT_T0_SG_SL_E_clISA_SA_SB_SB_EEDaSZ_S10_SG_SL_EUlSZ_E_NS1_11comp_targetILNS1_3genE2ELNS1_11target_archE906ELNS1_3gpuE6ELNS1_3repE0EEENS1_47radix_sort_onesweep_sort_config_static_selectorELNS0_4arch9wavefront6targetE0EEEvSG_
                                        ; -- End function
	.set _ZN7rocprim17ROCPRIM_400000_NS6detail17trampoline_kernelINS0_14default_configENS1_35radix_sort_onesweep_config_selectorIiNS0_10empty_typeEEEZZNS1_29radix_sort_onesweep_iterationIS3_Lb0EPKiPiPS5_SB_mNS0_19identity_decomposerENS1_16block_id_wrapperIjLb1EEEEE10hipError_tT1_PNSt15iterator_traitsISG_E10value_typeET2_T3_PNSH_ISM_E10value_typeET4_T5_PSR_SS_PNS1_23onesweep_lookback_stateEbbT6_jjT7_P12ihipStream_tbENKUlT_T0_SG_SL_E_clISA_SA_SB_SB_EEDaSZ_S10_SG_SL_EUlSZ_E_NS1_11comp_targetILNS1_3genE2ELNS1_11target_archE906ELNS1_3gpuE6ELNS1_3repE0EEENS1_47radix_sort_onesweep_sort_config_static_selectorELNS0_4arch9wavefront6targetE0EEEvSG_.num_vgpr, 0
	.set _ZN7rocprim17ROCPRIM_400000_NS6detail17trampoline_kernelINS0_14default_configENS1_35radix_sort_onesweep_config_selectorIiNS0_10empty_typeEEEZZNS1_29radix_sort_onesweep_iterationIS3_Lb0EPKiPiPS5_SB_mNS0_19identity_decomposerENS1_16block_id_wrapperIjLb1EEEEE10hipError_tT1_PNSt15iterator_traitsISG_E10value_typeET2_T3_PNSH_ISM_E10value_typeET4_T5_PSR_SS_PNS1_23onesweep_lookback_stateEbbT6_jjT7_P12ihipStream_tbENKUlT_T0_SG_SL_E_clISA_SA_SB_SB_EEDaSZ_S10_SG_SL_EUlSZ_E_NS1_11comp_targetILNS1_3genE2ELNS1_11target_archE906ELNS1_3gpuE6ELNS1_3repE0EEENS1_47radix_sort_onesweep_sort_config_static_selectorELNS0_4arch9wavefront6targetE0EEEvSG_.num_agpr, 0
	.set _ZN7rocprim17ROCPRIM_400000_NS6detail17trampoline_kernelINS0_14default_configENS1_35radix_sort_onesweep_config_selectorIiNS0_10empty_typeEEEZZNS1_29radix_sort_onesweep_iterationIS3_Lb0EPKiPiPS5_SB_mNS0_19identity_decomposerENS1_16block_id_wrapperIjLb1EEEEE10hipError_tT1_PNSt15iterator_traitsISG_E10value_typeET2_T3_PNSH_ISM_E10value_typeET4_T5_PSR_SS_PNS1_23onesweep_lookback_stateEbbT6_jjT7_P12ihipStream_tbENKUlT_T0_SG_SL_E_clISA_SA_SB_SB_EEDaSZ_S10_SG_SL_EUlSZ_E_NS1_11comp_targetILNS1_3genE2ELNS1_11target_archE906ELNS1_3gpuE6ELNS1_3repE0EEENS1_47radix_sort_onesweep_sort_config_static_selectorELNS0_4arch9wavefront6targetE0EEEvSG_.numbered_sgpr, 0
	.set _ZN7rocprim17ROCPRIM_400000_NS6detail17trampoline_kernelINS0_14default_configENS1_35radix_sort_onesweep_config_selectorIiNS0_10empty_typeEEEZZNS1_29radix_sort_onesweep_iterationIS3_Lb0EPKiPiPS5_SB_mNS0_19identity_decomposerENS1_16block_id_wrapperIjLb1EEEEE10hipError_tT1_PNSt15iterator_traitsISG_E10value_typeET2_T3_PNSH_ISM_E10value_typeET4_T5_PSR_SS_PNS1_23onesweep_lookback_stateEbbT6_jjT7_P12ihipStream_tbENKUlT_T0_SG_SL_E_clISA_SA_SB_SB_EEDaSZ_S10_SG_SL_EUlSZ_E_NS1_11comp_targetILNS1_3genE2ELNS1_11target_archE906ELNS1_3gpuE6ELNS1_3repE0EEENS1_47radix_sort_onesweep_sort_config_static_selectorELNS0_4arch9wavefront6targetE0EEEvSG_.num_named_barrier, 0
	.set _ZN7rocprim17ROCPRIM_400000_NS6detail17trampoline_kernelINS0_14default_configENS1_35radix_sort_onesweep_config_selectorIiNS0_10empty_typeEEEZZNS1_29radix_sort_onesweep_iterationIS3_Lb0EPKiPiPS5_SB_mNS0_19identity_decomposerENS1_16block_id_wrapperIjLb1EEEEE10hipError_tT1_PNSt15iterator_traitsISG_E10value_typeET2_T3_PNSH_ISM_E10value_typeET4_T5_PSR_SS_PNS1_23onesweep_lookback_stateEbbT6_jjT7_P12ihipStream_tbENKUlT_T0_SG_SL_E_clISA_SA_SB_SB_EEDaSZ_S10_SG_SL_EUlSZ_E_NS1_11comp_targetILNS1_3genE2ELNS1_11target_archE906ELNS1_3gpuE6ELNS1_3repE0EEENS1_47radix_sort_onesweep_sort_config_static_selectorELNS0_4arch9wavefront6targetE0EEEvSG_.private_seg_size, 0
	.set _ZN7rocprim17ROCPRIM_400000_NS6detail17trampoline_kernelINS0_14default_configENS1_35radix_sort_onesweep_config_selectorIiNS0_10empty_typeEEEZZNS1_29radix_sort_onesweep_iterationIS3_Lb0EPKiPiPS5_SB_mNS0_19identity_decomposerENS1_16block_id_wrapperIjLb1EEEEE10hipError_tT1_PNSt15iterator_traitsISG_E10value_typeET2_T3_PNSH_ISM_E10value_typeET4_T5_PSR_SS_PNS1_23onesweep_lookback_stateEbbT6_jjT7_P12ihipStream_tbENKUlT_T0_SG_SL_E_clISA_SA_SB_SB_EEDaSZ_S10_SG_SL_EUlSZ_E_NS1_11comp_targetILNS1_3genE2ELNS1_11target_archE906ELNS1_3gpuE6ELNS1_3repE0EEENS1_47radix_sort_onesweep_sort_config_static_selectorELNS0_4arch9wavefront6targetE0EEEvSG_.uses_vcc, 0
	.set _ZN7rocprim17ROCPRIM_400000_NS6detail17trampoline_kernelINS0_14default_configENS1_35radix_sort_onesweep_config_selectorIiNS0_10empty_typeEEEZZNS1_29radix_sort_onesweep_iterationIS3_Lb0EPKiPiPS5_SB_mNS0_19identity_decomposerENS1_16block_id_wrapperIjLb1EEEEE10hipError_tT1_PNSt15iterator_traitsISG_E10value_typeET2_T3_PNSH_ISM_E10value_typeET4_T5_PSR_SS_PNS1_23onesweep_lookback_stateEbbT6_jjT7_P12ihipStream_tbENKUlT_T0_SG_SL_E_clISA_SA_SB_SB_EEDaSZ_S10_SG_SL_EUlSZ_E_NS1_11comp_targetILNS1_3genE2ELNS1_11target_archE906ELNS1_3gpuE6ELNS1_3repE0EEENS1_47radix_sort_onesweep_sort_config_static_selectorELNS0_4arch9wavefront6targetE0EEEvSG_.uses_flat_scratch, 0
	.set _ZN7rocprim17ROCPRIM_400000_NS6detail17trampoline_kernelINS0_14default_configENS1_35radix_sort_onesweep_config_selectorIiNS0_10empty_typeEEEZZNS1_29radix_sort_onesweep_iterationIS3_Lb0EPKiPiPS5_SB_mNS0_19identity_decomposerENS1_16block_id_wrapperIjLb1EEEEE10hipError_tT1_PNSt15iterator_traitsISG_E10value_typeET2_T3_PNSH_ISM_E10value_typeET4_T5_PSR_SS_PNS1_23onesweep_lookback_stateEbbT6_jjT7_P12ihipStream_tbENKUlT_T0_SG_SL_E_clISA_SA_SB_SB_EEDaSZ_S10_SG_SL_EUlSZ_E_NS1_11comp_targetILNS1_3genE2ELNS1_11target_archE906ELNS1_3gpuE6ELNS1_3repE0EEENS1_47radix_sort_onesweep_sort_config_static_selectorELNS0_4arch9wavefront6targetE0EEEvSG_.has_dyn_sized_stack, 0
	.set _ZN7rocprim17ROCPRIM_400000_NS6detail17trampoline_kernelINS0_14default_configENS1_35radix_sort_onesweep_config_selectorIiNS0_10empty_typeEEEZZNS1_29radix_sort_onesweep_iterationIS3_Lb0EPKiPiPS5_SB_mNS0_19identity_decomposerENS1_16block_id_wrapperIjLb1EEEEE10hipError_tT1_PNSt15iterator_traitsISG_E10value_typeET2_T3_PNSH_ISM_E10value_typeET4_T5_PSR_SS_PNS1_23onesweep_lookback_stateEbbT6_jjT7_P12ihipStream_tbENKUlT_T0_SG_SL_E_clISA_SA_SB_SB_EEDaSZ_S10_SG_SL_EUlSZ_E_NS1_11comp_targetILNS1_3genE2ELNS1_11target_archE906ELNS1_3gpuE6ELNS1_3repE0EEENS1_47radix_sort_onesweep_sort_config_static_selectorELNS0_4arch9wavefront6targetE0EEEvSG_.has_recursion, 0
	.set _ZN7rocprim17ROCPRIM_400000_NS6detail17trampoline_kernelINS0_14default_configENS1_35radix_sort_onesweep_config_selectorIiNS0_10empty_typeEEEZZNS1_29radix_sort_onesweep_iterationIS3_Lb0EPKiPiPS5_SB_mNS0_19identity_decomposerENS1_16block_id_wrapperIjLb1EEEEE10hipError_tT1_PNSt15iterator_traitsISG_E10value_typeET2_T3_PNSH_ISM_E10value_typeET4_T5_PSR_SS_PNS1_23onesweep_lookback_stateEbbT6_jjT7_P12ihipStream_tbENKUlT_T0_SG_SL_E_clISA_SA_SB_SB_EEDaSZ_S10_SG_SL_EUlSZ_E_NS1_11comp_targetILNS1_3genE2ELNS1_11target_archE906ELNS1_3gpuE6ELNS1_3repE0EEENS1_47radix_sort_onesweep_sort_config_static_selectorELNS0_4arch9wavefront6targetE0EEEvSG_.has_indirect_call, 0
	.section	.AMDGPU.csdata,"",@progbits
; Kernel info:
; codeLenInByte = 0
; TotalNumSgprs: 0
; NumVgprs: 0
; ScratchSize: 0
; MemoryBound: 0
; FloatMode: 240
; IeeeMode: 1
; LDSByteSize: 0 bytes/workgroup (compile time only)
; SGPRBlocks: 0
; VGPRBlocks: 0
; NumSGPRsForWavesPerEU: 1
; NumVGPRsForWavesPerEU: 1
; NamedBarCnt: 0
; Occupancy: 16
; WaveLimiterHint : 0
; COMPUTE_PGM_RSRC2:SCRATCH_EN: 0
; COMPUTE_PGM_RSRC2:USER_SGPR: 2
; COMPUTE_PGM_RSRC2:TRAP_HANDLER: 0
; COMPUTE_PGM_RSRC2:TGID_X_EN: 1
; COMPUTE_PGM_RSRC2:TGID_Y_EN: 0
; COMPUTE_PGM_RSRC2:TGID_Z_EN: 0
; COMPUTE_PGM_RSRC2:TIDIG_COMP_CNT: 0
	.section	.text._ZN7rocprim17ROCPRIM_400000_NS6detail17trampoline_kernelINS0_14default_configENS1_35radix_sort_onesweep_config_selectorIiNS0_10empty_typeEEEZZNS1_29radix_sort_onesweep_iterationIS3_Lb0EPKiPiPS5_SB_mNS0_19identity_decomposerENS1_16block_id_wrapperIjLb1EEEEE10hipError_tT1_PNSt15iterator_traitsISG_E10value_typeET2_T3_PNSH_ISM_E10value_typeET4_T5_PSR_SS_PNS1_23onesweep_lookback_stateEbbT6_jjT7_P12ihipStream_tbENKUlT_T0_SG_SL_E_clISA_SA_SB_SB_EEDaSZ_S10_SG_SL_EUlSZ_E_NS1_11comp_targetILNS1_3genE4ELNS1_11target_archE910ELNS1_3gpuE8ELNS1_3repE0EEENS1_47radix_sort_onesweep_sort_config_static_selectorELNS0_4arch9wavefront6targetE0EEEvSG_,"axG",@progbits,_ZN7rocprim17ROCPRIM_400000_NS6detail17trampoline_kernelINS0_14default_configENS1_35radix_sort_onesweep_config_selectorIiNS0_10empty_typeEEEZZNS1_29radix_sort_onesweep_iterationIS3_Lb0EPKiPiPS5_SB_mNS0_19identity_decomposerENS1_16block_id_wrapperIjLb1EEEEE10hipError_tT1_PNSt15iterator_traitsISG_E10value_typeET2_T3_PNSH_ISM_E10value_typeET4_T5_PSR_SS_PNS1_23onesweep_lookback_stateEbbT6_jjT7_P12ihipStream_tbENKUlT_T0_SG_SL_E_clISA_SA_SB_SB_EEDaSZ_S10_SG_SL_EUlSZ_E_NS1_11comp_targetILNS1_3genE4ELNS1_11target_archE910ELNS1_3gpuE8ELNS1_3repE0EEENS1_47radix_sort_onesweep_sort_config_static_selectorELNS0_4arch9wavefront6targetE0EEEvSG_,comdat
	.protected	_ZN7rocprim17ROCPRIM_400000_NS6detail17trampoline_kernelINS0_14default_configENS1_35radix_sort_onesweep_config_selectorIiNS0_10empty_typeEEEZZNS1_29radix_sort_onesweep_iterationIS3_Lb0EPKiPiPS5_SB_mNS0_19identity_decomposerENS1_16block_id_wrapperIjLb1EEEEE10hipError_tT1_PNSt15iterator_traitsISG_E10value_typeET2_T3_PNSH_ISM_E10value_typeET4_T5_PSR_SS_PNS1_23onesweep_lookback_stateEbbT6_jjT7_P12ihipStream_tbENKUlT_T0_SG_SL_E_clISA_SA_SB_SB_EEDaSZ_S10_SG_SL_EUlSZ_E_NS1_11comp_targetILNS1_3genE4ELNS1_11target_archE910ELNS1_3gpuE8ELNS1_3repE0EEENS1_47radix_sort_onesweep_sort_config_static_selectorELNS0_4arch9wavefront6targetE0EEEvSG_ ; -- Begin function _ZN7rocprim17ROCPRIM_400000_NS6detail17trampoline_kernelINS0_14default_configENS1_35radix_sort_onesweep_config_selectorIiNS0_10empty_typeEEEZZNS1_29radix_sort_onesweep_iterationIS3_Lb0EPKiPiPS5_SB_mNS0_19identity_decomposerENS1_16block_id_wrapperIjLb1EEEEE10hipError_tT1_PNSt15iterator_traitsISG_E10value_typeET2_T3_PNSH_ISM_E10value_typeET4_T5_PSR_SS_PNS1_23onesweep_lookback_stateEbbT6_jjT7_P12ihipStream_tbENKUlT_T0_SG_SL_E_clISA_SA_SB_SB_EEDaSZ_S10_SG_SL_EUlSZ_E_NS1_11comp_targetILNS1_3genE4ELNS1_11target_archE910ELNS1_3gpuE8ELNS1_3repE0EEENS1_47radix_sort_onesweep_sort_config_static_selectorELNS0_4arch9wavefront6targetE0EEEvSG_
	.globl	_ZN7rocprim17ROCPRIM_400000_NS6detail17trampoline_kernelINS0_14default_configENS1_35radix_sort_onesweep_config_selectorIiNS0_10empty_typeEEEZZNS1_29radix_sort_onesweep_iterationIS3_Lb0EPKiPiPS5_SB_mNS0_19identity_decomposerENS1_16block_id_wrapperIjLb1EEEEE10hipError_tT1_PNSt15iterator_traitsISG_E10value_typeET2_T3_PNSH_ISM_E10value_typeET4_T5_PSR_SS_PNS1_23onesweep_lookback_stateEbbT6_jjT7_P12ihipStream_tbENKUlT_T0_SG_SL_E_clISA_SA_SB_SB_EEDaSZ_S10_SG_SL_EUlSZ_E_NS1_11comp_targetILNS1_3genE4ELNS1_11target_archE910ELNS1_3gpuE8ELNS1_3repE0EEENS1_47radix_sort_onesweep_sort_config_static_selectorELNS0_4arch9wavefront6targetE0EEEvSG_
	.p2align	8
	.type	_ZN7rocprim17ROCPRIM_400000_NS6detail17trampoline_kernelINS0_14default_configENS1_35radix_sort_onesweep_config_selectorIiNS0_10empty_typeEEEZZNS1_29radix_sort_onesweep_iterationIS3_Lb0EPKiPiPS5_SB_mNS0_19identity_decomposerENS1_16block_id_wrapperIjLb1EEEEE10hipError_tT1_PNSt15iterator_traitsISG_E10value_typeET2_T3_PNSH_ISM_E10value_typeET4_T5_PSR_SS_PNS1_23onesweep_lookback_stateEbbT6_jjT7_P12ihipStream_tbENKUlT_T0_SG_SL_E_clISA_SA_SB_SB_EEDaSZ_S10_SG_SL_EUlSZ_E_NS1_11comp_targetILNS1_3genE4ELNS1_11target_archE910ELNS1_3gpuE8ELNS1_3repE0EEENS1_47radix_sort_onesweep_sort_config_static_selectorELNS0_4arch9wavefront6targetE0EEEvSG_,@function
_ZN7rocprim17ROCPRIM_400000_NS6detail17trampoline_kernelINS0_14default_configENS1_35radix_sort_onesweep_config_selectorIiNS0_10empty_typeEEEZZNS1_29radix_sort_onesweep_iterationIS3_Lb0EPKiPiPS5_SB_mNS0_19identity_decomposerENS1_16block_id_wrapperIjLb1EEEEE10hipError_tT1_PNSt15iterator_traitsISG_E10value_typeET2_T3_PNSH_ISM_E10value_typeET4_T5_PSR_SS_PNS1_23onesweep_lookback_stateEbbT6_jjT7_P12ihipStream_tbENKUlT_T0_SG_SL_E_clISA_SA_SB_SB_EEDaSZ_S10_SG_SL_EUlSZ_E_NS1_11comp_targetILNS1_3genE4ELNS1_11target_archE910ELNS1_3gpuE8ELNS1_3repE0EEENS1_47radix_sort_onesweep_sort_config_static_selectorELNS0_4arch9wavefront6targetE0EEEvSG_: ; @_ZN7rocprim17ROCPRIM_400000_NS6detail17trampoline_kernelINS0_14default_configENS1_35radix_sort_onesweep_config_selectorIiNS0_10empty_typeEEEZZNS1_29radix_sort_onesweep_iterationIS3_Lb0EPKiPiPS5_SB_mNS0_19identity_decomposerENS1_16block_id_wrapperIjLb1EEEEE10hipError_tT1_PNSt15iterator_traitsISG_E10value_typeET2_T3_PNSH_ISM_E10value_typeET4_T5_PSR_SS_PNS1_23onesweep_lookback_stateEbbT6_jjT7_P12ihipStream_tbENKUlT_T0_SG_SL_E_clISA_SA_SB_SB_EEDaSZ_S10_SG_SL_EUlSZ_E_NS1_11comp_targetILNS1_3genE4ELNS1_11target_archE910ELNS1_3gpuE8ELNS1_3repE0EEENS1_47radix_sort_onesweep_sort_config_static_selectorELNS0_4arch9wavefront6targetE0EEEvSG_
; %bb.0:
	.section	.rodata,"a",@progbits
	.p2align	6, 0x0
	.amdhsa_kernel _ZN7rocprim17ROCPRIM_400000_NS6detail17trampoline_kernelINS0_14default_configENS1_35radix_sort_onesweep_config_selectorIiNS0_10empty_typeEEEZZNS1_29radix_sort_onesweep_iterationIS3_Lb0EPKiPiPS5_SB_mNS0_19identity_decomposerENS1_16block_id_wrapperIjLb1EEEEE10hipError_tT1_PNSt15iterator_traitsISG_E10value_typeET2_T3_PNSH_ISM_E10value_typeET4_T5_PSR_SS_PNS1_23onesweep_lookback_stateEbbT6_jjT7_P12ihipStream_tbENKUlT_T0_SG_SL_E_clISA_SA_SB_SB_EEDaSZ_S10_SG_SL_EUlSZ_E_NS1_11comp_targetILNS1_3genE4ELNS1_11target_archE910ELNS1_3gpuE8ELNS1_3repE0EEENS1_47radix_sort_onesweep_sort_config_static_selectorELNS0_4arch9wavefront6targetE0EEEvSG_
		.amdhsa_group_segment_fixed_size 0
		.amdhsa_private_segment_fixed_size 0
		.amdhsa_kernarg_size 88
		.amdhsa_user_sgpr_count 2
		.amdhsa_user_sgpr_dispatch_ptr 0
		.amdhsa_user_sgpr_queue_ptr 0
		.amdhsa_user_sgpr_kernarg_segment_ptr 1
		.amdhsa_user_sgpr_dispatch_id 0
		.amdhsa_user_sgpr_kernarg_preload_length 0
		.amdhsa_user_sgpr_kernarg_preload_offset 0
		.amdhsa_user_sgpr_private_segment_size 0
		.amdhsa_wavefront_size32 1
		.amdhsa_uses_dynamic_stack 0
		.amdhsa_enable_private_segment 0
		.amdhsa_system_sgpr_workgroup_id_x 1
		.amdhsa_system_sgpr_workgroup_id_y 0
		.amdhsa_system_sgpr_workgroup_id_z 0
		.amdhsa_system_sgpr_workgroup_info 0
		.amdhsa_system_vgpr_workitem_id 0
		.amdhsa_next_free_vgpr 1
		.amdhsa_next_free_sgpr 1
		.amdhsa_named_barrier_count 0
		.amdhsa_reserve_vcc 0
		.amdhsa_float_round_mode_32 0
		.amdhsa_float_round_mode_16_64 0
		.amdhsa_float_denorm_mode_32 3
		.amdhsa_float_denorm_mode_16_64 3
		.amdhsa_fp16_overflow 0
		.amdhsa_memory_ordered 1
		.amdhsa_forward_progress 1
		.amdhsa_inst_pref_size 0
		.amdhsa_round_robin_scheduling 0
		.amdhsa_exception_fp_ieee_invalid_op 0
		.amdhsa_exception_fp_denorm_src 0
		.amdhsa_exception_fp_ieee_div_zero 0
		.amdhsa_exception_fp_ieee_overflow 0
		.amdhsa_exception_fp_ieee_underflow 0
		.amdhsa_exception_fp_ieee_inexact 0
		.amdhsa_exception_int_div_zero 0
	.end_amdhsa_kernel
	.section	.text._ZN7rocprim17ROCPRIM_400000_NS6detail17trampoline_kernelINS0_14default_configENS1_35radix_sort_onesweep_config_selectorIiNS0_10empty_typeEEEZZNS1_29radix_sort_onesweep_iterationIS3_Lb0EPKiPiPS5_SB_mNS0_19identity_decomposerENS1_16block_id_wrapperIjLb1EEEEE10hipError_tT1_PNSt15iterator_traitsISG_E10value_typeET2_T3_PNSH_ISM_E10value_typeET4_T5_PSR_SS_PNS1_23onesweep_lookback_stateEbbT6_jjT7_P12ihipStream_tbENKUlT_T0_SG_SL_E_clISA_SA_SB_SB_EEDaSZ_S10_SG_SL_EUlSZ_E_NS1_11comp_targetILNS1_3genE4ELNS1_11target_archE910ELNS1_3gpuE8ELNS1_3repE0EEENS1_47radix_sort_onesweep_sort_config_static_selectorELNS0_4arch9wavefront6targetE0EEEvSG_,"axG",@progbits,_ZN7rocprim17ROCPRIM_400000_NS6detail17trampoline_kernelINS0_14default_configENS1_35radix_sort_onesweep_config_selectorIiNS0_10empty_typeEEEZZNS1_29radix_sort_onesweep_iterationIS3_Lb0EPKiPiPS5_SB_mNS0_19identity_decomposerENS1_16block_id_wrapperIjLb1EEEEE10hipError_tT1_PNSt15iterator_traitsISG_E10value_typeET2_T3_PNSH_ISM_E10value_typeET4_T5_PSR_SS_PNS1_23onesweep_lookback_stateEbbT6_jjT7_P12ihipStream_tbENKUlT_T0_SG_SL_E_clISA_SA_SB_SB_EEDaSZ_S10_SG_SL_EUlSZ_E_NS1_11comp_targetILNS1_3genE4ELNS1_11target_archE910ELNS1_3gpuE8ELNS1_3repE0EEENS1_47radix_sort_onesweep_sort_config_static_selectorELNS0_4arch9wavefront6targetE0EEEvSG_,comdat
.Lfunc_end973:
	.size	_ZN7rocprim17ROCPRIM_400000_NS6detail17trampoline_kernelINS0_14default_configENS1_35radix_sort_onesweep_config_selectorIiNS0_10empty_typeEEEZZNS1_29radix_sort_onesweep_iterationIS3_Lb0EPKiPiPS5_SB_mNS0_19identity_decomposerENS1_16block_id_wrapperIjLb1EEEEE10hipError_tT1_PNSt15iterator_traitsISG_E10value_typeET2_T3_PNSH_ISM_E10value_typeET4_T5_PSR_SS_PNS1_23onesweep_lookback_stateEbbT6_jjT7_P12ihipStream_tbENKUlT_T0_SG_SL_E_clISA_SA_SB_SB_EEDaSZ_S10_SG_SL_EUlSZ_E_NS1_11comp_targetILNS1_3genE4ELNS1_11target_archE910ELNS1_3gpuE8ELNS1_3repE0EEENS1_47radix_sort_onesweep_sort_config_static_selectorELNS0_4arch9wavefront6targetE0EEEvSG_, .Lfunc_end973-_ZN7rocprim17ROCPRIM_400000_NS6detail17trampoline_kernelINS0_14default_configENS1_35radix_sort_onesweep_config_selectorIiNS0_10empty_typeEEEZZNS1_29radix_sort_onesweep_iterationIS3_Lb0EPKiPiPS5_SB_mNS0_19identity_decomposerENS1_16block_id_wrapperIjLb1EEEEE10hipError_tT1_PNSt15iterator_traitsISG_E10value_typeET2_T3_PNSH_ISM_E10value_typeET4_T5_PSR_SS_PNS1_23onesweep_lookback_stateEbbT6_jjT7_P12ihipStream_tbENKUlT_T0_SG_SL_E_clISA_SA_SB_SB_EEDaSZ_S10_SG_SL_EUlSZ_E_NS1_11comp_targetILNS1_3genE4ELNS1_11target_archE910ELNS1_3gpuE8ELNS1_3repE0EEENS1_47radix_sort_onesweep_sort_config_static_selectorELNS0_4arch9wavefront6targetE0EEEvSG_
                                        ; -- End function
	.set _ZN7rocprim17ROCPRIM_400000_NS6detail17trampoline_kernelINS0_14default_configENS1_35radix_sort_onesweep_config_selectorIiNS0_10empty_typeEEEZZNS1_29radix_sort_onesweep_iterationIS3_Lb0EPKiPiPS5_SB_mNS0_19identity_decomposerENS1_16block_id_wrapperIjLb1EEEEE10hipError_tT1_PNSt15iterator_traitsISG_E10value_typeET2_T3_PNSH_ISM_E10value_typeET4_T5_PSR_SS_PNS1_23onesweep_lookback_stateEbbT6_jjT7_P12ihipStream_tbENKUlT_T0_SG_SL_E_clISA_SA_SB_SB_EEDaSZ_S10_SG_SL_EUlSZ_E_NS1_11comp_targetILNS1_3genE4ELNS1_11target_archE910ELNS1_3gpuE8ELNS1_3repE0EEENS1_47radix_sort_onesweep_sort_config_static_selectorELNS0_4arch9wavefront6targetE0EEEvSG_.num_vgpr, 0
	.set _ZN7rocprim17ROCPRIM_400000_NS6detail17trampoline_kernelINS0_14default_configENS1_35radix_sort_onesweep_config_selectorIiNS0_10empty_typeEEEZZNS1_29radix_sort_onesweep_iterationIS3_Lb0EPKiPiPS5_SB_mNS0_19identity_decomposerENS1_16block_id_wrapperIjLb1EEEEE10hipError_tT1_PNSt15iterator_traitsISG_E10value_typeET2_T3_PNSH_ISM_E10value_typeET4_T5_PSR_SS_PNS1_23onesweep_lookback_stateEbbT6_jjT7_P12ihipStream_tbENKUlT_T0_SG_SL_E_clISA_SA_SB_SB_EEDaSZ_S10_SG_SL_EUlSZ_E_NS1_11comp_targetILNS1_3genE4ELNS1_11target_archE910ELNS1_3gpuE8ELNS1_3repE0EEENS1_47radix_sort_onesweep_sort_config_static_selectorELNS0_4arch9wavefront6targetE0EEEvSG_.num_agpr, 0
	.set _ZN7rocprim17ROCPRIM_400000_NS6detail17trampoline_kernelINS0_14default_configENS1_35radix_sort_onesweep_config_selectorIiNS0_10empty_typeEEEZZNS1_29radix_sort_onesweep_iterationIS3_Lb0EPKiPiPS5_SB_mNS0_19identity_decomposerENS1_16block_id_wrapperIjLb1EEEEE10hipError_tT1_PNSt15iterator_traitsISG_E10value_typeET2_T3_PNSH_ISM_E10value_typeET4_T5_PSR_SS_PNS1_23onesweep_lookback_stateEbbT6_jjT7_P12ihipStream_tbENKUlT_T0_SG_SL_E_clISA_SA_SB_SB_EEDaSZ_S10_SG_SL_EUlSZ_E_NS1_11comp_targetILNS1_3genE4ELNS1_11target_archE910ELNS1_3gpuE8ELNS1_3repE0EEENS1_47radix_sort_onesweep_sort_config_static_selectorELNS0_4arch9wavefront6targetE0EEEvSG_.numbered_sgpr, 0
	.set _ZN7rocprim17ROCPRIM_400000_NS6detail17trampoline_kernelINS0_14default_configENS1_35radix_sort_onesweep_config_selectorIiNS0_10empty_typeEEEZZNS1_29radix_sort_onesweep_iterationIS3_Lb0EPKiPiPS5_SB_mNS0_19identity_decomposerENS1_16block_id_wrapperIjLb1EEEEE10hipError_tT1_PNSt15iterator_traitsISG_E10value_typeET2_T3_PNSH_ISM_E10value_typeET4_T5_PSR_SS_PNS1_23onesweep_lookback_stateEbbT6_jjT7_P12ihipStream_tbENKUlT_T0_SG_SL_E_clISA_SA_SB_SB_EEDaSZ_S10_SG_SL_EUlSZ_E_NS1_11comp_targetILNS1_3genE4ELNS1_11target_archE910ELNS1_3gpuE8ELNS1_3repE0EEENS1_47radix_sort_onesweep_sort_config_static_selectorELNS0_4arch9wavefront6targetE0EEEvSG_.num_named_barrier, 0
	.set _ZN7rocprim17ROCPRIM_400000_NS6detail17trampoline_kernelINS0_14default_configENS1_35radix_sort_onesweep_config_selectorIiNS0_10empty_typeEEEZZNS1_29radix_sort_onesweep_iterationIS3_Lb0EPKiPiPS5_SB_mNS0_19identity_decomposerENS1_16block_id_wrapperIjLb1EEEEE10hipError_tT1_PNSt15iterator_traitsISG_E10value_typeET2_T3_PNSH_ISM_E10value_typeET4_T5_PSR_SS_PNS1_23onesweep_lookback_stateEbbT6_jjT7_P12ihipStream_tbENKUlT_T0_SG_SL_E_clISA_SA_SB_SB_EEDaSZ_S10_SG_SL_EUlSZ_E_NS1_11comp_targetILNS1_3genE4ELNS1_11target_archE910ELNS1_3gpuE8ELNS1_3repE0EEENS1_47radix_sort_onesweep_sort_config_static_selectorELNS0_4arch9wavefront6targetE0EEEvSG_.private_seg_size, 0
	.set _ZN7rocprim17ROCPRIM_400000_NS6detail17trampoline_kernelINS0_14default_configENS1_35radix_sort_onesweep_config_selectorIiNS0_10empty_typeEEEZZNS1_29radix_sort_onesweep_iterationIS3_Lb0EPKiPiPS5_SB_mNS0_19identity_decomposerENS1_16block_id_wrapperIjLb1EEEEE10hipError_tT1_PNSt15iterator_traitsISG_E10value_typeET2_T3_PNSH_ISM_E10value_typeET4_T5_PSR_SS_PNS1_23onesweep_lookback_stateEbbT6_jjT7_P12ihipStream_tbENKUlT_T0_SG_SL_E_clISA_SA_SB_SB_EEDaSZ_S10_SG_SL_EUlSZ_E_NS1_11comp_targetILNS1_3genE4ELNS1_11target_archE910ELNS1_3gpuE8ELNS1_3repE0EEENS1_47radix_sort_onesweep_sort_config_static_selectorELNS0_4arch9wavefront6targetE0EEEvSG_.uses_vcc, 0
	.set _ZN7rocprim17ROCPRIM_400000_NS6detail17trampoline_kernelINS0_14default_configENS1_35radix_sort_onesweep_config_selectorIiNS0_10empty_typeEEEZZNS1_29radix_sort_onesweep_iterationIS3_Lb0EPKiPiPS5_SB_mNS0_19identity_decomposerENS1_16block_id_wrapperIjLb1EEEEE10hipError_tT1_PNSt15iterator_traitsISG_E10value_typeET2_T3_PNSH_ISM_E10value_typeET4_T5_PSR_SS_PNS1_23onesweep_lookback_stateEbbT6_jjT7_P12ihipStream_tbENKUlT_T0_SG_SL_E_clISA_SA_SB_SB_EEDaSZ_S10_SG_SL_EUlSZ_E_NS1_11comp_targetILNS1_3genE4ELNS1_11target_archE910ELNS1_3gpuE8ELNS1_3repE0EEENS1_47radix_sort_onesweep_sort_config_static_selectorELNS0_4arch9wavefront6targetE0EEEvSG_.uses_flat_scratch, 0
	.set _ZN7rocprim17ROCPRIM_400000_NS6detail17trampoline_kernelINS0_14default_configENS1_35radix_sort_onesweep_config_selectorIiNS0_10empty_typeEEEZZNS1_29radix_sort_onesweep_iterationIS3_Lb0EPKiPiPS5_SB_mNS0_19identity_decomposerENS1_16block_id_wrapperIjLb1EEEEE10hipError_tT1_PNSt15iterator_traitsISG_E10value_typeET2_T3_PNSH_ISM_E10value_typeET4_T5_PSR_SS_PNS1_23onesweep_lookback_stateEbbT6_jjT7_P12ihipStream_tbENKUlT_T0_SG_SL_E_clISA_SA_SB_SB_EEDaSZ_S10_SG_SL_EUlSZ_E_NS1_11comp_targetILNS1_3genE4ELNS1_11target_archE910ELNS1_3gpuE8ELNS1_3repE0EEENS1_47radix_sort_onesweep_sort_config_static_selectorELNS0_4arch9wavefront6targetE0EEEvSG_.has_dyn_sized_stack, 0
	.set _ZN7rocprim17ROCPRIM_400000_NS6detail17trampoline_kernelINS0_14default_configENS1_35radix_sort_onesweep_config_selectorIiNS0_10empty_typeEEEZZNS1_29radix_sort_onesweep_iterationIS3_Lb0EPKiPiPS5_SB_mNS0_19identity_decomposerENS1_16block_id_wrapperIjLb1EEEEE10hipError_tT1_PNSt15iterator_traitsISG_E10value_typeET2_T3_PNSH_ISM_E10value_typeET4_T5_PSR_SS_PNS1_23onesweep_lookback_stateEbbT6_jjT7_P12ihipStream_tbENKUlT_T0_SG_SL_E_clISA_SA_SB_SB_EEDaSZ_S10_SG_SL_EUlSZ_E_NS1_11comp_targetILNS1_3genE4ELNS1_11target_archE910ELNS1_3gpuE8ELNS1_3repE0EEENS1_47radix_sort_onesweep_sort_config_static_selectorELNS0_4arch9wavefront6targetE0EEEvSG_.has_recursion, 0
	.set _ZN7rocprim17ROCPRIM_400000_NS6detail17trampoline_kernelINS0_14default_configENS1_35radix_sort_onesweep_config_selectorIiNS0_10empty_typeEEEZZNS1_29radix_sort_onesweep_iterationIS3_Lb0EPKiPiPS5_SB_mNS0_19identity_decomposerENS1_16block_id_wrapperIjLb1EEEEE10hipError_tT1_PNSt15iterator_traitsISG_E10value_typeET2_T3_PNSH_ISM_E10value_typeET4_T5_PSR_SS_PNS1_23onesweep_lookback_stateEbbT6_jjT7_P12ihipStream_tbENKUlT_T0_SG_SL_E_clISA_SA_SB_SB_EEDaSZ_S10_SG_SL_EUlSZ_E_NS1_11comp_targetILNS1_3genE4ELNS1_11target_archE910ELNS1_3gpuE8ELNS1_3repE0EEENS1_47radix_sort_onesweep_sort_config_static_selectorELNS0_4arch9wavefront6targetE0EEEvSG_.has_indirect_call, 0
	.section	.AMDGPU.csdata,"",@progbits
; Kernel info:
; codeLenInByte = 0
; TotalNumSgprs: 0
; NumVgprs: 0
; ScratchSize: 0
; MemoryBound: 0
; FloatMode: 240
; IeeeMode: 1
; LDSByteSize: 0 bytes/workgroup (compile time only)
; SGPRBlocks: 0
; VGPRBlocks: 0
; NumSGPRsForWavesPerEU: 1
; NumVGPRsForWavesPerEU: 1
; NamedBarCnt: 0
; Occupancy: 16
; WaveLimiterHint : 0
; COMPUTE_PGM_RSRC2:SCRATCH_EN: 0
; COMPUTE_PGM_RSRC2:USER_SGPR: 2
; COMPUTE_PGM_RSRC2:TRAP_HANDLER: 0
; COMPUTE_PGM_RSRC2:TGID_X_EN: 1
; COMPUTE_PGM_RSRC2:TGID_Y_EN: 0
; COMPUTE_PGM_RSRC2:TGID_Z_EN: 0
; COMPUTE_PGM_RSRC2:TIDIG_COMP_CNT: 0
	.section	.text._ZN7rocprim17ROCPRIM_400000_NS6detail17trampoline_kernelINS0_14default_configENS1_35radix_sort_onesweep_config_selectorIiNS0_10empty_typeEEEZZNS1_29radix_sort_onesweep_iterationIS3_Lb0EPKiPiPS5_SB_mNS0_19identity_decomposerENS1_16block_id_wrapperIjLb1EEEEE10hipError_tT1_PNSt15iterator_traitsISG_E10value_typeET2_T3_PNSH_ISM_E10value_typeET4_T5_PSR_SS_PNS1_23onesweep_lookback_stateEbbT6_jjT7_P12ihipStream_tbENKUlT_T0_SG_SL_E_clISA_SA_SB_SB_EEDaSZ_S10_SG_SL_EUlSZ_E_NS1_11comp_targetILNS1_3genE3ELNS1_11target_archE908ELNS1_3gpuE7ELNS1_3repE0EEENS1_47radix_sort_onesweep_sort_config_static_selectorELNS0_4arch9wavefront6targetE0EEEvSG_,"axG",@progbits,_ZN7rocprim17ROCPRIM_400000_NS6detail17trampoline_kernelINS0_14default_configENS1_35radix_sort_onesweep_config_selectorIiNS0_10empty_typeEEEZZNS1_29radix_sort_onesweep_iterationIS3_Lb0EPKiPiPS5_SB_mNS0_19identity_decomposerENS1_16block_id_wrapperIjLb1EEEEE10hipError_tT1_PNSt15iterator_traitsISG_E10value_typeET2_T3_PNSH_ISM_E10value_typeET4_T5_PSR_SS_PNS1_23onesweep_lookback_stateEbbT6_jjT7_P12ihipStream_tbENKUlT_T0_SG_SL_E_clISA_SA_SB_SB_EEDaSZ_S10_SG_SL_EUlSZ_E_NS1_11comp_targetILNS1_3genE3ELNS1_11target_archE908ELNS1_3gpuE7ELNS1_3repE0EEENS1_47radix_sort_onesweep_sort_config_static_selectorELNS0_4arch9wavefront6targetE0EEEvSG_,comdat
	.protected	_ZN7rocprim17ROCPRIM_400000_NS6detail17trampoline_kernelINS0_14default_configENS1_35radix_sort_onesweep_config_selectorIiNS0_10empty_typeEEEZZNS1_29radix_sort_onesweep_iterationIS3_Lb0EPKiPiPS5_SB_mNS0_19identity_decomposerENS1_16block_id_wrapperIjLb1EEEEE10hipError_tT1_PNSt15iterator_traitsISG_E10value_typeET2_T3_PNSH_ISM_E10value_typeET4_T5_PSR_SS_PNS1_23onesweep_lookback_stateEbbT6_jjT7_P12ihipStream_tbENKUlT_T0_SG_SL_E_clISA_SA_SB_SB_EEDaSZ_S10_SG_SL_EUlSZ_E_NS1_11comp_targetILNS1_3genE3ELNS1_11target_archE908ELNS1_3gpuE7ELNS1_3repE0EEENS1_47radix_sort_onesweep_sort_config_static_selectorELNS0_4arch9wavefront6targetE0EEEvSG_ ; -- Begin function _ZN7rocprim17ROCPRIM_400000_NS6detail17trampoline_kernelINS0_14default_configENS1_35radix_sort_onesweep_config_selectorIiNS0_10empty_typeEEEZZNS1_29radix_sort_onesweep_iterationIS3_Lb0EPKiPiPS5_SB_mNS0_19identity_decomposerENS1_16block_id_wrapperIjLb1EEEEE10hipError_tT1_PNSt15iterator_traitsISG_E10value_typeET2_T3_PNSH_ISM_E10value_typeET4_T5_PSR_SS_PNS1_23onesweep_lookback_stateEbbT6_jjT7_P12ihipStream_tbENKUlT_T0_SG_SL_E_clISA_SA_SB_SB_EEDaSZ_S10_SG_SL_EUlSZ_E_NS1_11comp_targetILNS1_3genE3ELNS1_11target_archE908ELNS1_3gpuE7ELNS1_3repE0EEENS1_47radix_sort_onesweep_sort_config_static_selectorELNS0_4arch9wavefront6targetE0EEEvSG_
	.globl	_ZN7rocprim17ROCPRIM_400000_NS6detail17trampoline_kernelINS0_14default_configENS1_35radix_sort_onesweep_config_selectorIiNS0_10empty_typeEEEZZNS1_29radix_sort_onesweep_iterationIS3_Lb0EPKiPiPS5_SB_mNS0_19identity_decomposerENS1_16block_id_wrapperIjLb1EEEEE10hipError_tT1_PNSt15iterator_traitsISG_E10value_typeET2_T3_PNSH_ISM_E10value_typeET4_T5_PSR_SS_PNS1_23onesweep_lookback_stateEbbT6_jjT7_P12ihipStream_tbENKUlT_T0_SG_SL_E_clISA_SA_SB_SB_EEDaSZ_S10_SG_SL_EUlSZ_E_NS1_11comp_targetILNS1_3genE3ELNS1_11target_archE908ELNS1_3gpuE7ELNS1_3repE0EEENS1_47radix_sort_onesweep_sort_config_static_selectorELNS0_4arch9wavefront6targetE0EEEvSG_
	.p2align	8
	.type	_ZN7rocprim17ROCPRIM_400000_NS6detail17trampoline_kernelINS0_14default_configENS1_35radix_sort_onesweep_config_selectorIiNS0_10empty_typeEEEZZNS1_29radix_sort_onesweep_iterationIS3_Lb0EPKiPiPS5_SB_mNS0_19identity_decomposerENS1_16block_id_wrapperIjLb1EEEEE10hipError_tT1_PNSt15iterator_traitsISG_E10value_typeET2_T3_PNSH_ISM_E10value_typeET4_T5_PSR_SS_PNS1_23onesweep_lookback_stateEbbT6_jjT7_P12ihipStream_tbENKUlT_T0_SG_SL_E_clISA_SA_SB_SB_EEDaSZ_S10_SG_SL_EUlSZ_E_NS1_11comp_targetILNS1_3genE3ELNS1_11target_archE908ELNS1_3gpuE7ELNS1_3repE0EEENS1_47radix_sort_onesweep_sort_config_static_selectorELNS0_4arch9wavefront6targetE0EEEvSG_,@function
_ZN7rocprim17ROCPRIM_400000_NS6detail17trampoline_kernelINS0_14default_configENS1_35radix_sort_onesweep_config_selectorIiNS0_10empty_typeEEEZZNS1_29radix_sort_onesweep_iterationIS3_Lb0EPKiPiPS5_SB_mNS0_19identity_decomposerENS1_16block_id_wrapperIjLb1EEEEE10hipError_tT1_PNSt15iterator_traitsISG_E10value_typeET2_T3_PNSH_ISM_E10value_typeET4_T5_PSR_SS_PNS1_23onesweep_lookback_stateEbbT6_jjT7_P12ihipStream_tbENKUlT_T0_SG_SL_E_clISA_SA_SB_SB_EEDaSZ_S10_SG_SL_EUlSZ_E_NS1_11comp_targetILNS1_3genE3ELNS1_11target_archE908ELNS1_3gpuE7ELNS1_3repE0EEENS1_47radix_sort_onesweep_sort_config_static_selectorELNS0_4arch9wavefront6targetE0EEEvSG_: ; @_ZN7rocprim17ROCPRIM_400000_NS6detail17trampoline_kernelINS0_14default_configENS1_35radix_sort_onesweep_config_selectorIiNS0_10empty_typeEEEZZNS1_29radix_sort_onesweep_iterationIS3_Lb0EPKiPiPS5_SB_mNS0_19identity_decomposerENS1_16block_id_wrapperIjLb1EEEEE10hipError_tT1_PNSt15iterator_traitsISG_E10value_typeET2_T3_PNSH_ISM_E10value_typeET4_T5_PSR_SS_PNS1_23onesweep_lookback_stateEbbT6_jjT7_P12ihipStream_tbENKUlT_T0_SG_SL_E_clISA_SA_SB_SB_EEDaSZ_S10_SG_SL_EUlSZ_E_NS1_11comp_targetILNS1_3genE3ELNS1_11target_archE908ELNS1_3gpuE7ELNS1_3repE0EEENS1_47radix_sort_onesweep_sort_config_static_selectorELNS0_4arch9wavefront6targetE0EEEvSG_
; %bb.0:
	.section	.rodata,"a",@progbits
	.p2align	6, 0x0
	.amdhsa_kernel _ZN7rocprim17ROCPRIM_400000_NS6detail17trampoline_kernelINS0_14default_configENS1_35radix_sort_onesweep_config_selectorIiNS0_10empty_typeEEEZZNS1_29radix_sort_onesweep_iterationIS3_Lb0EPKiPiPS5_SB_mNS0_19identity_decomposerENS1_16block_id_wrapperIjLb1EEEEE10hipError_tT1_PNSt15iterator_traitsISG_E10value_typeET2_T3_PNSH_ISM_E10value_typeET4_T5_PSR_SS_PNS1_23onesweep_lookback_stateEbbT6_jjT7_P12ihipStream_tbENKUlT_T0_SG_SL_E_clISA_SA_SB_SB_EEDaSZ_S10_SG_SL_EUlSZ_E_NS1_11comp_targetILNS1_3genE3ELNS1_11target_archE908ELNS1_3gpuE7ELNS1_3repE0EEENS1_47radix_sort_onesweep_sort_config_static_selectorELNS0_4arch9wavefront6targetE0EEEvSG_
		.amdhsa_group_segment_fixed_size 0
		.amdhsa_private_segment_fixed_size 0
		.amdhsa_kernarg_size 88
		.amdhsa_user_sgpr_count 2
		.amdhsa_user_sgpr_dispatch_ptr 0
		.amdhsa_user_sgpr_queue_ptr 0
		.amdhsa_user_sgpr_kernarg_segment_ptr 1
		.amdhsa_user_sgpr_dispatch_id 0
		.amdhsa_user_sgpr_kernarg_preload_length 0
		.amdhsa_user_sgpr_kernarg_preload_offset 0
		.amdhsa_user_sgpr_private_segment_size 0
		.amdhsa_wavefront_size32 1
		.amdhsa_uses_dynamic_stack 0
		.amdhsa_enable_private_segment 0
		.amdhsa_system_sgpr_workgroup_id_x 1
		.amdhsa_system_sgpr_workgroup_id_y 0
		.amdhsa_system_sgpr_workgroup_id_z 0
		.amdhsa_system_sgpr_workgroup_info 0
		.amdhsa_system_vgpr_workitem_id 0
		.amdhsa_next_free_vgpr 1
		.amdhsa_next_free_sgpr 1
		.amdhsa_named_barrier_count 0
		.amdhsa_reserve_vcc 0
		.amdhsa_float_round_mode_32 0
		.amdhsa_float_round_mode_16_64 0
		.amdhsa_float_denorm_mode_32 3
		.amdhsa_float_denorm_mode_16_64 3
		.amdhsa_fp16_overflow 0
		.amdhsa_memory_ordered 1
		.amdhsa_forward_progress 1
		.amdhsa_inst_pref_size 0
		.amdhsa_round_robin_scheduling 0
		.amdhsa_exception_fp_ieee_invalid_op 0
		.amdhsa_exception_fp_denorm_src 0
		.amdhsa_exception_fp_ieee_div_zero 0
		.amdhsa_exception_fp_ieee_overflow 0
		.amdhsa_exception_fp_ieee_underflow 0
		.amdhsa_exception_fp_ieee_inexact 0
		.amdhsa_exception_int_div_zero 0
	.end_amdhsa_kernel
	.section	.text._ZN7rocprim17ROCPRIM_400000_NS6detail17trampoline_kernelINS0_14default_configENS1_35radix_sort_onesweep_config_selectorIiNS0_10empty_typeEEEZZNS1_29radix_sort_onesweep_iterationIS3_Lb0EPKiPiPS5_SB_mNS0_19identity_decomposerENS1_16block_id_wrapperIjLb1EEEEE10hipError_tT1_PNSt15iterator_traitsISG_E10value_typeET2_T3_PNSH_ISM_E10value_typeET4_T5_PSR_SS_PNS1_23onesweep_lookback_stateEbbT6_jjT7_P12ihipStream_tbENKUlT_T0_SG_SL_E_clISA_SA_SB_SB_EEDaSZ_S10_SG_SL_EUlSZ_E_NS1_11comp_targetILNS1_3genE3ELNS1_11target_archE908ELNS1_3gpuE7ELNS1_3repE0EEENS1_47radix_sort_onesweep_sort_config_static_selectorELNS0_4arch9wavefront6targetE0EEEvSG_,"axG",@progbits,_ZN7rocprim17ROCPRIM_400000_NS6detail17trampoline_kernelINS0_14default_configENS1_35radix_sort_onesweep_config_selectorIiNS0_10empty_typeEEEZZNS1_29radix_sort_onesweep_iterationIS3_Lb0EPKiPiPS5_SB_mNS0_19identity_decomposerENS1_16block_id_wrapperIjLb1EEEEE10hipError_tT1_PNSt15iterator_traitsISG_E10value_typeET2_T3_PNSH_ISM_E10value_typeET4_T5_PSR_SS_PNS1_23onesweep_lookback_stateEbbT6_jjT7_P12ihipStream_tbENKUlT_T0_SG_SL_E_clISA_SA_SB_SB_EEDaSZ_S10_SG_SL_EUlSZ_E_NS1_11comp_targetILNS1_3genE3ELNS1_11target_archE908ELNS1_3gpuE7ELNS1_3repE0EEENS1_47radix_sort_onesweep_sort_config_static_selectorELNS0_4arch9wavefront6targetE0EEEvSG_,comdat
.Lfunc_end974:
	.size	_ZN7rocprim17ROCPRIM_400000_NS6detail17trampoline_kernelINS0_14default_configENS1_35radix_sort_onesweep_config_selectorIiNS0_10empty_typeEEEZZNS1_29radix_sort_onesweep_iterationIS3_Lb0EPKiPiPS5_SB_mNS0_19identity_decomposerENS1_16block_id_wrapperIjLb1EEEEE10hipError_tT1_PNSt15iterator_traitsISG_E10value_typeET2_T3_PNSH_ISM_E10value_typeET4_T5_PSR_SS_PNS1_23onesweep_lookback_stateEbbT6_jjT7_P12ihipStream_tbENKUlT_T0_SG_SL_E_clISA_SA_SB_SB_EEDaSZ_S10_SG_SL_EUlSZ_E_NS1_11comp_targetILNS1_3genE3ELNS1_11target_archE908ELNS1_3gpuE7ELNS1_3repE0EEENS1_47radix_sort_onesweep_sort_config_static_selectorELNS0_4arch9wavefront6targetE0EEEvSG_, .Lfunc_end974-_ZN7rocprim17ROCPRIM_400000_NS6detail17trampoline_kernelINS0_14default_configENS1_35radix_sort_onesweep_config_selectorIiNS0_10empty_typeEEEZZNS1_29radix_sort_onesweep_iterationIS3_Lb0EPKiPiPS5_SB_mNS0_19identity_decomposerENS1_16block_id_wrapperIjLb1EEEEE10hipError_tT1_PNSt15iterator_traitsISG_E10value_typeET2_T3_PNSH_ISM_E10value_typeET4_T5_PSR_SS_PNS1_23onesweep_lookback_stateEbbT6_jjT7_P12ihipStream_tbENKUlT_T0_SG_SL_E_clISA_SA_SB_SB_EEDaSZ_S10_SG_SL_EUlSZ_E_NS1_11comp_targetILNS1_3genE3ELNS1_11target_archE908ELNS1_3gpuE7ELNS1_3repE0EEENS1_47radix_sort_onesweep_sort_config_static_selectorELNS0_4arch9wavefront6targetE0EEEvSG_
                                        ; -- End function
	.set _ZN7rocprim17ROCPRIM_400000_NS6detail17trampoline_kernelINS0_14default_configENS1_35radix_sort_onesweep_config_selectorIiNS0_10empty_typeEEEZZNS1_29radix_sort_onesweep_iterationIS3_Lb0EPKiPiPS5_SB_mNS0_19identity_decomposerENS1_16block_id_wrapperIjLb1EEEEE10hipError_tT1_PNSt15iterator_traitsISG_E10value_typeET2_T3_PNSH_ISM_E10value_typeET4_T5_PSR_SS_PNS1_23onesweep_lookback_stateEbbT6_jjT7_P12ihipStream_tbENKUlT_T0_SG_SL_E_clISA_SA_SB_SB_EEDaSZ_S10_SG_SL_EUlSZ_E_NS1_11comp_targetILNS1_3genE3ELNS1_11target_archE908ELNS1_3gpuE7ELNS1_3repE0EEENS1_47radix_sort_onesweep_sort_config_static_selectorELNS0_4arch9wavefront6targetE0EEEvSG_.num_vgpr, 0
	.set _ZN7rocprim17ROCPRIM_400000_NS6detail17trampoline_kernelINS0_14default_configENS1_35radix_sort_onesweep_config_selectorIiNS0_10empty_typeEEEZZNS1_29radix_sort_onesweep_iterationIS3_Lb0EPKiPiPS5_SB_mNS0_19identity_decomposerENS1_16block_id_wrapperIjLb1EEEEE10hipError_tT1_PNSt15iterator_traitsISG_E10value_typeET2_T3_PNSH_ISM_E10value_typeET4_T5_PSR_SS_PNS1_23onesweep_lookback_stateEbbT6_jjT7_P12ihipStream_tbENKUlT_T0_SG_SL_E_clISA_SA_SB_SB_EEDaSZ_S10_SG_SL_EUlSZ_E_NS1_11comp_targetILNS1_3genE3ELNS1_11target_archE908ELNS1_3gpuE7ELNS1_3repE0EEENS1_47radix_sort_onesweep_sort_config_static_selectorELNS0_4arch9wavefront6targetE0EEEvSG_.num_agpr, 0
	.set _ZN7rocprim17ROCPRIM_400000_NS6detail17trampoline_kernelINS0_14default_configENS1_35radix_sort_onesweep_config_selectorIiNS0_10empty_typeEEEZZNS1_29radix_sort_onesweep_iterationIS3_Lb0EPKiPiPS5_SB_mNS0_19identity_decomposerENS1_16block_id_wrapperIjLb1EEEEE10hipError_tT1_PNSt15iterator_traitsISG_E10value_typeET2_T3_PNSH_ISM_E10value_typeET4_T5_PSR_SS_PNS1_23onesweep_lookback_stateEbbT6_jjT7_P12ihipStream_tbENKUlT_T0_SG_SL_E_clISA_SA_SB_SB_EEDaSZ_S10_SG_SL_EUlSZ_E_NS1_11comp_targetILNS1_3genE3ELNS1_11target_archE908ELNS1_3gpuE7ELNS1_3repE0EEENS1_47radix_sort_onesweep_sort_config_static_selectorELNS0_4arch9wavefront6targetE0EEEvSG_.numbered_sgpr, 0
	.set _ZN7rocprim17ROCPRIM_400000_NS6detail17trampoline_kernelINS0_14default_configENS1_35radix_sort_onesweep_config_selectorIiNS0_10empty_typeEEEZZNS1_29radix_sort_onesweep_iterationIS3_Lb0EPKiPiPS5_SB_mNS0_19identity_decomposerENS1_16block_id_wrapperIjLb1EEEEE10hipError_tT1_PNSt15iterator_traitsISG_E10value_typeET2_T3_PNSH_ISM_E10value_typeET4_T5_PSR_SS_PNS1_23onesweep_lookback_stateEbbT6_jjT7_P12ihipStream_tbENKUlT_T0_SG_SL_E_clISA_SA_SB_SB_EEDaSZ_S10_SG_SL_EUlSZ_E_NS1_11comp_targetILNS1_3genE3ELNS1_11target_archE908ELNS1_3gpuE7ELNS1_3repE0EEENS1_47radix_sort_onesweep_sort_config_static_selectorELNS0_4arch9wavefront6targetE0EEEvSG_.num_named_barrier, 0
	.set _ZN7rocprim17ROCPRIM_400000_NS6detail17trampoline_kernelINS0_14default_configENS1_35radix_sort_onesweep_config_selectorIiNS0_10empty_typeEEEZZNS1_29radix_sort_onesweep_iterationIS3_Lb0EPKiPiPS5_SB_mNS0_19identity_decomposerENS1_16block_id_wrapperIjLb1EEEEE10hipError_tT1_PNSt15iterator_traitsISG_E10value_typeET2_T3_PNSH_ISM_E10value_typeET4_T5_PSR_SS_PNS1_23onesweep_lookback_stateEbbT6_jjT7_P12ihipStream_tbENKUlT_T0_SG_SL_E_clISA_SA_SB_SB_EEDaSZ_S10_SG_SL_EUlSZ_E_NS1_11comp_targetILNS1_3genE3ELNS1_11target_archE908ELNS1_3gpuE7ELNS1_3repE0EEENS1_47radix_sort_onesweep_sort_config_static_selectorELNS0_4arch9wavefront6targetE0EEEvSG_.private_seg_size, 0
	.set _ZN7rocprim17ROCPRIM_400000_NS6detail17trampoline_kernelINS0_14default_configENS1_35radix_sort_onesweep_config_selectorIiNS0_10empty_typeEEEZZNS1_29radix_sort_onesweep_iterationIS3_Lb0EPKiPiPS5_SB_mNS0_19identity_decomposerENS1_16block_id_wrapperIjLb1EEEEE10hipError_tT1_PNSt15iterator_traitsISG_E10value_typeET2_T3_PNSH_ISM_E10value_typeET4_T5_PSR_SS_PNS1_23onesweep_lookback_stateEbbT6_jjT7_P12ihipStream_tbENKUlT_T0_SG_SL_E_clISA_SA_SB_SB_EEDaSZ_S10_SG_SL_EUlSZ_E_NS1_11comp_targetILNS1_3genE3ELNS1_11target_archE908ELNS1_3gpuE7ELNS1_3repE0EEENS1_47radix_sort_onesweep_sort_config_static_selectorELNS0_4arch9wavefront6targetE0EEEvSG_.uses_vcc, 0
	.set _ZN7rocprim17ROCPRIM_400000_NS6detail17trampoline_kernelINS0_14default_configENS1_35radix_sort_onesweep_config_selectorIiNS0_10empty_typeEEEZZNS1_29radix_sort_onesweep_iterationIS3_Lb0EPKiPiPS5_SB_mNS0_19identity_decomposerENS1_16block_id_wrapperIjLb1EEEEE10hipError_tT1_PNSt15iterator_traitsISG_E10value_typeET2_T3_PNSH_ISM_E10value_typeET4_T5_PSR_SS_PNS1_23onesweep_lookback_stateEbbT6_jjT7_P12ihipStream_tbENKUlT_T0_SG_SL_E_clISA_SA_SB_SB_EEDaSZ_S10_SG_SL_EUlSZ_E_NS1_11comp_targetILNS1_3genE3ELNS1_11target_archE908ELNS1_3gpuE7ELNS1_3repE0EEENS1_47radix_sort_onesweep_sort_config_static_selectorELNS0_4arch9wavefront6targetE0EEEvSG_.uses_flat_scratch, 0
	.set _ZN7rocprim17ROCPRIM_400000_NS6detail17trampoline_kernelINS0_14default_configENS1_35radix_sort_onesweep_config_selectorIiNS0_10empty_typeEEEZZNS1_29radix_sort_onesweep_iterationIS3_Lb0EPKiPiPS5_SB_mNS0_19identity_decomposerENS1_16block_id_wrapperIjLb1EEEEE10hipError_tT1_PNSt15iterator_traitsISG_E10value_typeET2_T3_PNSH_ISM_E10value_typeET4_T5_PSR_SS_PNS1_23onesweep_lookback_stateEbbT6_jjT7_P12ihipStream_tbENKUlT_T0_SG_SL_E_clISA_SA_SB_SB_EEDaSZ_S10_SG_SL_EUlSZ_E_NS1_11comp_targetILNS1_3genE3ELNS1_11target_archE908ELNS1_3gpuE7ELNS1_3repE0EEENS1_47radix_sort_onesweep_sort_config_static_selectorELNS0_4arch9wavefront6targetE0EEEvSG_.has_dyn_sized_stack, 0
	.set _ZN7rocprim17ROCPRIM_400000_NS6detail17trampoline_kernelINS0_14default_configENS1_35radix_sort_onesweep_config_selectorIiNS0_10empty_typeEEEZZNS1_29radix_sort_onesweep_iterationIS3_Lb0EPKiPiPS5_SB_mNS0_19identity_decomposerENS1_16block_id_wrapperIjLb1EEEEE10hipError_tT1_PNSt15iterator_traitsISG_E10value_typeET2_T3_PNSH_ISM_E10value_typeET4_T5_PSR_SS_PNS1_23onesweep_lookback_stateEbbT6_jjT7_P12ihipStream_tbENKUlT_T0_SG_SL_E_clISA_SA_SB_SB_EEDaSZ_S10_SG_SL_EUlSZ_E_NS1_11comp_targetILNS1_3genE3ELNS1_11target_archE908ELNS1_3gpuE7ELNS1_3repE0EEENS1_47radix_sort_onesweep_sort_config_static_selectorELNS0_4arch9wavefront6targetE0EEEvSG_.has_recursion, 0
	.set _ZN7rocprim17ROCPRIM_400000_NS6detail17trampoline_kernelINS0_14default_configENS1_35radix_sort_onesweep_config_selectorIiNS0_10empty_typeEEEZZNS1_29radix_sort_onesweep_iterationIS3_Lb0EPKiPiPS5_SB_mNS0_19identity_decomposerENS1_16block_id_wrapperIjLb1EEEEE10hipError_tT1_PNSt15iterator_traitsISG_E10value_typeET2_T3_PNSH_ISM_E10value_typeET4_T5_PSR_SS_PNS1_23onesweep_lookback_stateEbbT6_jjT7_P12ihipStream_tbENKUlT_T0_SG_SL_E_clISA_SA_SB_SB_EEDaSZ_S10_SG_SL_EUlSZ_E_NS1_11comp_targetILNS1_3genE3ELNS1_11target_archE908ELNS1_3gpuE7ELNS1_3repE0EEENS1_47radix_sort_onesweep_sort_config_static_selectorELNS0_4arch9wavefront6targetE0EEEvSG_.has_indirect_call, 0
	.section	.AMDGPU.csdata,"",@progbits
; Kernel info:
; codeLenInByte = 0
; TotalNumSgprs: 0
; NumVgprs: 0
; ScratchSize: 0
; MemoryBound: 0
; FloatMode: 240
; IeeeMode: 1
; LDSByteSize: 0 bytes/workgroup (compile time only)
; SGPRBlocks: 0
; VGPRBlocks: 0
; NumSGPRsForWavesPerEU: 1
; NumVGPRsForWavesPerEU: 1
; NamedBarCnt: 0
; Occupancy: 16
; WaveLimiterHint : 0
; COMPUTE_PGM_RSRC2:SCRATCH_EN: 0
; COMPUTE_PGM_RSRC2:USER_SGPR: 2
; COMPUTE_PGM_RSRC2:TRAP_HANDLER: 0
; COMPUTE_PGM_RSRC2:TGID_X_EN: 1
; COMPUTE_PGM_RSRC2:TGID_Y_EN: 0
; COMPUTE_PGM_RSRC2:TGID_Z_EN: 0
; COMPUTE_PGM_RSRC2:TIDIG_COMP_CNT: 0
	.section	.text._ZN7rocprim17ROCPRIM_400000_NS6detail17trampoline_kernelINS0_14default_configENS1_35radix_sort_onesweep_config_selectorIiNS0_10empty_typeEEEZZNS1_29radix_sort_onesweep_iterationIS3_Lb0EPKiPiPS5_SB_mNS0_19identity_decomposerENS1_16block_id_wrapperIjLb1EEEEE10hipError_tT1_PNSt15iterator_traitsISG_E10value_typeET2_T3_PNSH_ISM_E10value_typeET4_T5_PSR_SS_PNS1_23onesweep_lookback_stateEbbT6_jjT7_P12ihipStream_tbENKUlT_T0_SG_SL_E_clISA_SA_SB_SB_EEDaSZ_S10_SG_SL_EUlSZ_E_NS1_11comp_targetILNS1_3genE10ELNS1_11target_archE1201ELNS1_3gpuE5ELNS1_3repE0EEENS1_47radix_sort_onesweep_sort_config_static_selectorELNS0_4arch9wavefront6targetE0EEEvSG_,"axG",@progbits,_ZN7rocprim17ROCPRIM_400000_NS6detail17trampoline_kernelINS0_14default_configENS1_35radix_sort_onesweep_config_selectorIiNS0_10empty_typeEEEZZNS1_29radix_sort_onesweep_iterationIS3_Lb0EPKiPiPS5_SB_mNS0_19identity_decomposerENS1_16block_id_wrapperIjLb1EEEEE10hipError_tT1_PNSt15iterator_traitsISG_E10value_typeET2_T3_PNSH_ISM_E10value_typeET4_T5_PSR_SS_PNS1_23onesweep_lookback_stateEbbT6_jjT7_P12ihipStream_tbENKUlT_T0_SG_SL_E_clISA_SA_SB_SB_EEDaSZ_S10_SG_SL_EUlSZ_E_NS1_11comp_targetILNS1_3genE10ELNS1_11target_archE1201ELNS1_3gpuE5ELNS1_3repE0EEENS1_47radix_sort_onesweep_sort_config_static_selectorELNS0_4arch9wavefront6targetE0EEEvSG_,comdat
	.protected	_ZN7rocprim17ROCPRIM_400000_NS6detail17trampoline_kernelINS0_14default_configENS1_35radix_sort_onesweep_config_selectorIiNS0_10empty_typeEEEZZNS1_29radix_sort_onesweep_iterationIS3_Lb0EPKiPiPS5_SB_mNS0_19identity_decomposerENS1_16block_id_wrapperIjLb1EEEEE10hipError_tT1_PNSt15iterator_traitsISG_E10value_typeET2_T3_PNSH_ISM_E10value_typeET4_T5_PSR_SS_PNS1_23onesweep_lookback_stateEbbT6_jjT7_P12ihipStream_tbENKUlT_T0_SG_SL_E_clISA_SA_SB_SB_EEDaSZ_S10_SG_SL_EUlSZ_E_NS1_11comp_targetILNS1_3genE10ELNS1_11target_archE1201ELNS1_3gpuE5ELNS1_3repE0EEENS1_47radix_sort_onesweep_sort_config_static_selectorELNS0_4arch9wavefront6targetE0EEEvSG_ ; -- Begin function _ZN7rocprim17ROCPRIM_400000_NS6detail17trampoline_kernelINS0_14default_configENS1_35radix_sort_onesweep_config_selectorIiNS0_10empty_typeEEEZZNS1_29radix_sort_onesweep_iterationIS3_Lb0EPKiPiPS5_SB_mNS0_19identity_decomposerENS1_16block_id_wrapperIjLb1EEEEE10hipError_tT1_PNSt15iterator_traitsISG_E10value_typeET2_T3_PNSH_ISM_E10value_typeET4_T5_PSR_SS_PNS1_23onesweep_lookback_stateEbbT6_jjT7_P12ihipStream_tbENKUlT_T0_SG_SL_E_clISA_SA_SB_SB_EEDaSZ_S10_SG_SL_EUlSZ_E_NS1_11comp_targetILNS1_3genE10ELNS1_11target_archE1201ELNS1_3gpuE5ELNS1_3repE0EEENS1_47radix_sort_onesweep_sort_config_static_selectorELNS0_4arch9wavefront6targetE0EEEvSG_
	.globl	_ZN7rocprim17ROCPRIM_400000_NS6detail17trampoline_kernelINS0_14default_configENS1_35radix_sort_onesweep_config_selectorIiNS0_10empty_typeEEEZZNS1_29radix_sort_onesweep_iterationIS3_Lb0EPKiPiPS5_SB_mNS0_19identity_decomposerENS1_16block_id_wrapperIjLb1EEEEE10hipError_tT1_PNSt15iterator_traitsISG_E10value_typeET2_T3_PNSH_ISM_E10value_typeET4_T5_PSR_SS_PNS1_23onesweep_lookback_stateEbbT6_jjT7_P12ihipStream_tbENKUlT_T0_SG_SL_E_clISA_SA_SB_SB_EEDaSZ_S10_SG_SL_EUlSZ_E_NS1_11comp_targetILNS1_3genE10ELNS1_11target_archE1201ELNS1_3gpuE5ELNS1_3repE0EEENS1_47radix_sort_onesweep_sort_config_static_selectorELNS0_4arch9wavefront6targetE0EEEvSG_
	.p2align	8
	.type	_ZN7rocprim17ROCPRIM_400000_NS6detail17trampoline_kernelINS0_14default_configENS1_35radix_sort_onesweep_config_selectorIiNS0_10empty_typeEEEZZNS1_29radix_sort_onesweep_iterationIS3_Lb0EPKiPiPS5_SB_mNS0_19identity_decomposerENS1_16block_id_wrapperIjLb1EEEEE10hipError_tT1_PNSt15iterator_traitsISG_E10value_typeET2_T3_PNSH_ISM_E10value_typeET4_T5_PSR_SS_PNS1_23onesweep_lookback_stateEbbT6_jjT7_P12ihipStream_tbENKUlT_T0_SG_SL_E_clISA_SA_SB_SB_EEDaSZ_S10_SG_SL_EUlSZ_E_NS1_11comp_targetILNS1_3genE10ELNS1_11target_archE1201ELNS1_3gpuE5ELNS1_3repE0EEENS1_47radix_sort_onesweep_sort_config_static_selectorELNS0_4arch9wavefront6targetE0EEEvSG_,@function
_ZN7rocprim17ROCPRIM_400000_NS6detail17trampoline_kernelINS0_14default_configENS1_35radix_sort_onesweep_config_selectorIiNS0_10empty_typeEEEZZNS1_29radix_sort_onesweep_iterationIS3_Lb0EPKiPiPS5_SB_mNS0_19identity_decomposerENS1_16block_id_wrapperIjLb1EEEEE10hipError_tT1_PNSt15iterator_traitsISG_E10value_typeET2_T3_PNSH_ISM_E10value_typeET4_T5_PSR_SS_PNS1_23onesweep_lookback_stateEbbT6_jjT7_P12ihipStream_tbENKUlT_T0_SG_SL_E_clISA_SA_SB_SB_EEDaSZ_S10_SG_SL_EUlSZ_E_NS1_11comp_targetILNS1_3genE10ELNS1_11target_archE1201ELNS1_3gpuE5ELNS1_3repE0EEENS1_47radix_sort_onesweep_sort_config_static_selectorELNS0_4arch9wavefront6targetE0EEEvSG_: ; @_ZN7rocprim17ROCPRIM_400000_NS6detail17trampoline_kernelINS0_14default_configENS1_35radix_sort_onesweep_config_selectorIiNS0_10empty_typeEEEZZNS1_29radix_sort_onesweep_iterationIS3_Lb0EPKiPiPS5_SB_mNS0_19identity_decomposerENS1_16block_id_wrapperIjLb1EEEEE10hipError_tT1_PNSt15iterator_traitsISG_E10value_typeET2_T3_PNSH_ISM_E10value_typeET4_T5_PSR_SS_PNS1_23onesweep_lookback_stateEbbT6_jjT7_P12ihipStream_tbENKUlT_T0_SG_SL_E_clISA_SA_SB_SB_EEDaSZ_S10_SG_SL_EUlSZ_E_NS1_11comp_targetILNS1_3genE10ELNS1_11target_archE1201ELNS1_3gpuE5ELNS1_3repE0EEENS1_47radix_sort_onesweep_sort_config_static_selectorELNS0_4arch9wavefront6targetE0EEEvSG_
; %bb.0:
	.section	.rodata,"a",@progbits
	.p2align	6, 0x0
	.amdhsa_kernel _ZN7rocprim17ROCPRIM_400000_NS6detail17trampoline_kernelINS0_14default_configENS1_35radix_sort_onesweep_config_selectorIiNS0_10empty_typeEEEZZNS1_29radix_sort_onesweep_iterationIS3_Lb0EPKiPiPS5_SB_mNS0_19identity_decomposerENS1_16block_id_wrapperIjLb1EEEEE10hipError_tT1_PNSt15iterator_traitsISG_E10value_typeET2_T3_PNSH_ISM_E10value_typeET4_T5_PSR_SS_PNS1_23onesweep_lookback_stateEbbT6_jjT7_P12ihipStream_tbENKUlT_T0_SG_SL_E_clISA_SA_SB_SB_EEDaSZ_S10_SG_SL_EUlSZ_E_NS1_11comp_targetILNS1_3genE10ELNS1_11target_archE1201ELNS1_3gpuE5ELNS1_3repE0EEENS1_47radix_sort_onesweep_sort_config_static_selectorELNS0_4arch9wavefront6targetE0EEEvSG_
		.amdhsa_group_segment_fixed_size 0
		.amdhsa_private_segment_fixed_size 0
		.amdhsa_kernarg_size 88
		.amdhsa_user_sgpr_count 2
		.amdhsa_user_sgpr_dispatch_ptr 0
		.amdhsa_user_sgpr_queue_ptr 0
		.amdhsa_user_sgpr_kernarg_segment_ptr 1
		.amdhsa_user_sgpr_dispatch_id 0
		.amdhsa_user_sgpr_kernarg_preload_length 0
		.amdhsa_user_sgpr_kernarg_preload_offset 0
		.amdhsa_user_sgpr_private_segment_size 0
		.amdhsa_wavefront_size32 1
		.amdhsa_uses_dynamic_stack 0
		.amdhsa_enable_private_segment 0
		.amdhsa_system_sgpr_workgroup_id_x 1
		.amdhsa_system_sgpr_workgroup_id_y 0
		.amdhsa_system_sgpr_workgroup_id_z 0
		.amdhsa_system_sgpr_workgroup_info 0
		.amdhsa_system_vgpr_workitem_id 0
		.amdhsa_next_free_vgpr 1
		.amdhsa_next_free_sgpr 1
		.amdhsa_named_barrier_count 0
		.amdhsa_reserve_vcc 0
		.amdhsa_float_round_mode_32 0
		.amdhsa_float_round_mode_16_64 0
		.amdhsa_float_denorm_mode_32 3
		.amdhsa_float_denorm_mode_16_64 3
		.amdhsa_fp16_overflow 0
		.amdhsa_memory_ordered 1
		.amdhsa_forward_progress 1
		.amdhsa_inst_pref_size 0
		.amdhsa_round_robin_scheduling 0
		.amdhsa_exception_fp_ieee_invalid_op 0
		.amdhsa_exception_fp_denorm_src 0
		.amdhsa_exception_fp_ieee_div_zero 0
		.amdhsa_exception_fp_ieee_overflow 0
		.amdhsa_exception_fp_ieee_underflow 0
		.amdhsa_exception_fp_ieee_inexact 0
		.amdhsa_exception_int_div_zero 0
	.end_amdhsa_kernel
	.section	.text._ZN7rocprim17ROCPRIM_400000_NS6detail17trampoline_kernelINS0_14default_configENS1_35radix_sort_onesweep_config_selectorIiNS0_10empty_typeEEEZZNS1_29radix_sort_onesweep_iterationIS3_Lb0EPKiPiPS5_SB_mNS0_19identity_decomposerENS1_16block_id_wrapperIjLb1EEEEE10hipError_tT1_PNSt15iterator_traitsISG_E10value_typeET2_T3_PNSH_ISM_E10value_typeET4_T5_PSR_SS_PNS1_23onesweep_lookback_stateEbbT6_jjT7_P12ihipStream_tbENKUlT_T0_SG_SL_E_clISA_SA_SB_SB_EEDaSZ_S10_SG_SL_EUlSZ_E_NS1_11comp_targetILNS1_3genE10ELNS1_11target_archE1201ELNS1_3gpuE5ELNS1_3repE0EEENS1_47radix_sort_onesweep_sort_config_static_selectorELNS0_4arch9wavefront6targetE0EEEvSG_,"axG",@progbits,_ZN7rocprim17ROCPRIM_400000_NS6detail17trampoline_kernelINS0_14default_configENS1_35radix_sort_onesweep_config_selectorIiNS0_10empty_typeEEEZZNS1_29radix_sort_onesweep_iterationIS3_Lb0EPKiPiPS5_SB_mNS0_19identity_decomposerENS1_16block_id_wrapperIjLb1EEEEE10hipError_tT1_PNSt15iterator_traitsISG_E10value_typeET2_T3_PNSH_ISM_E10value_typeET4_T5_PSR_SS_PNS1_23onesweep_lookback_stateEbbT6_jjT7_P12ihipStream_tbENKUlT_T0_SG_SL_E_clISA_SA_SB_SB_EEDaSZ_S10_SG_SL_EUlSZ_E_NS1_11comp_targetILNS1_3genE10ELNS1_11target_archE1201ELNS1_3gpuE5ELNS1_3repE0EEENS1_47radix_sort_onesweep_sort_config_static_selectorELNS0_4arch9wavefront6targetE0EEEvSG_,comdat
.Lfunc_end975:
	.size	_ZN7rocprim17ROCPRIM_400000_NS6detail17trampoline_kernelINS0_14default_configENS1_35radix_sort_onesweep_config_selectorIiNS0_10empty_typeEEEZZNS1_29radix_sort_onesweep_iterationIS3_Lb0EPKiPiPS5_SB_mNS0_19identity_decomposerENS1_16block_id_wrapperIjLb1EEEEE10hipError_tT1_PNSt15iterator_traitsISG_E10value_typeET2_T3_PNSH_ISM_E10value_typeET4_T5_PSR_SS_PNS1_23onesweep_lookback_stateEbbT6_jjT7_P12ihipStream_tbENKUlT_T0_SG_SL_E_clISA_SA_SB_SB_EEDaSZ_S10_SG_SL_EUlSZ_E_NS1_11comp_targetILNS1_3genE10ELNS1_11target_archE1201ELNS1_3gpuE5ELNS1_3repE0EEENS1_47radix_sort_onesweep_sort_config_static_selectorELNS0_4arch9wavefront6targetE0EEEvSG_, .Lfunc_end975-_ZN7rocprim17ROCPRIM_400000_NS6detail17trampoline_kernelINS0_14default_configENS1_35radix_sort_onesweep_config_selectorIiNS0_10empty_typeEEEZZNS1_29radix_sort_onesweep_iterationIS3_Lb0EPKiPiPS5_SB_mNS0_19identity_decomposerENS1_16block_id_wrapperIjLb1EEEEE10hipError_tT1_PNSt15iterator_traitsISG_E10value_typeET2_T3_PNSH_ISM_E10value_typeET4_T5_PSR_SS_PNS1_23onesweep_lookback_stateEbbT6_jjT7_P12ihipStream_tbENKUlT_T0_SG_SL_E_clISA_SA_SB_SB_EEDaSZ_S10_SG_SL_EUlSZ_E_NS1_11comp_targetILNS1_3genE10ELNS1_11target_archE1201ELNS1_3gpuE5ELNS1_3repE0EEENS1_47radix_sort_onesweep_sort_config_static_selectorELNS0_4arch9wavefront6targetE0EEEvSG_
                                        ; -- End function
	.set _ZN7rocprim17ROCPRIM_400000_NS6detail17trampoline_kernelINS0_14default_configENS1_35radix_sort_onesweep_config_selectorIiNS0_10empty_typeEEEZZNS1_29radix_sort_onesweep_iterationIS3_Lb0EPKiPiPS5_SB_mNS0_19identity_decomposerENS1_16block_id_wrapperIjLb1EEEEE10hipError_tT1_PNSt15iterator_traitsISG_E10value_typeET2_T3_PNSH_ISM_E10value_typeET4_T5_PSR_SS_PNS1_23onesweep_lookback_stateEbbT6_jjT7_P12ihipStream_tbENKUlT_T0_SG_SL_E_clISA_SA_SB_SB_EEDaSZ_S10_SG_SL_EUlSZ_E_NS1_11comp_targetILNS1_3genE10ELNS1_11target_archE1201ELNS1_3gpuE5ELNS1_3repE0EEENS1_47radix_sort_onesweep_sort_config_static_selectorELNS0_4arch9wavefront6targetE0EEEvSG_.num_vgpr, 0
	.set _ZN7rocprim17ROCPRIM_400000_NS6detail17trampoline_kernelINS0_14default_configENS1_35radix_sort_onesweep_config_selectorIiNS0_10empty_typeEEEZZNS1_29radix_sort_onesweep_iterationIS3_Lb0EPKiPiPS5_SB_mNS0_19identity_decomposerENS1_16block_id_wrapperIjLb1EEEEE10hipError_tT1_PNSt15iterator_traitsISG_E10value_typeET2_T3_PNSH_ISM_E10value_typeET4_T5_PSR_SS_PNS1_23onesweep_lookback_stateEbbT6_jjT7_P12ihipStream_tbENKUlT_T0_SG_SL_E_clISA_SA_SB_SB_EEDaSZ_S10_SG_SL_EUlSZ_E_NS1_11comp_targetILNS1_3genE10ELNS1_11target_archE1201ELNS1_3gpuE5ELNS1_3repE0EEENS1_47radix_sort_onesweep_sort_config_static_selectorELNS0_4arch9wavefront6targetE0EEEvSG_.num_agpr, 0
	.set _ZN7rocprim17ROCPRIM_400000_NS6detail17trampoline_kernelINS0_14default_configENS1_35radix_sort_onesweep_config_selectorIiNS0_10empty_typeEEEZZNS1_29radix_sort_onesweep_iterationIS3_Lb0EPKiPiPS5_SB_mNS0_19identity_decomposerENS1_16block_id_wrapperIjLb1EEEEE10hipError_tT1_PNSt15iterator_traitsISG_E10value_typeET2_T3_PNSH_ISM_E10value_typeET4_T5_PSR_SS_PNS1_23onesweep_lookback_stateEbbT6_jjT7_P12ihipStream_tbENKUlT_T0_SG_SL_E_clISA_SA_SB_SB_EEDaSZ_S10_SG_SL_EUlSZ_E_NS1_11comp_targetILNS1_3genE10ELNS1_11target_archE1201ELNS1_3gpuE5ELNS1_3repE0EEENS1_47radix_sort_onesweep_sort_config_static_selectorELNS0_4arch9wavefront6targetE0EEEvSG_.numbered_sgpr, 0
	.set _ZN7rocprim17ROCPRIM_400000_NS6detail17trampoline_kernelINS0_14default_configENS1_35radix_sort_onesweep_config_selectorIiNS0_10empty_typeEEEZZNS1_29radix_sort_onesweep_iterationIS3_Lb0EPKiPiPS5_SB_mNS0_19identity_decomposerENS1_16block_id_wrapperIjLb1EEEEE10hipError_tT1_PNSt15iterator_traitsISG_E10value_typeET2_T3_PNSH_ISM_E10value_typeET4_T5_PSR_SS_PNS1_23onesweep_lookback_stateEbbT6_jjT7_P12ihipStream_tbENKUlT_T0_SG_SL_E_clISA_SA_SB_SB_EEDaSZ_S10_SG_SL_EUlSZ_E_NS1_11comp_targetILNS1_3genE10ELNS1_11target_archE1201ELNS1_3gpuE5ELNS1_3repE0EEENS1_47radix_sort_onesweep_sort_config_static_selectorELNS0_4arch9wavefront6targetE0EEEvSG_.num_named_barrier, 0
	.set _ZN7rocprim17ROCPRIM_400000_NS6detail17trampoline_kernelINS0_14default_configENS1_35radix_sort_onesweep_config_selectorIiNS0_10empty_typeEEEZZNS1_29radix_sort_onesweep_iterationIS3_Lb0EPKiPiPS5_SB_mNS0_19identity_decomposerENS1_16block_id_wrapperIjLb1EEEEE10hipError_tT1_PNSt15iterator_traitsISG_E10value_typeET2_T3_PNSH_ISM_E10value_typeET4_T5_PSR_SS_PNS1_23onesweep_lookback_stateEbbT6_jjT7_P12ihipStream_tbENKUlT_T0_SG_SL_E_clISA_SA_SB_SB_EEDaSZ_S10_SG_SL_EUlSZ_E_NS1_11comp_targetILNS1_3genE10ELNS1_11target_archE1201ELNS1_3gpuE5ELNS1_3repE0EEENS1_47radix_sort_onesweep_sort_config_static_selectorELNS0_4arch9wavefront6targetE0EEEvSG_.private_seg_size, 0
	.set _ZN7rocprim17ROCPRIM_400000_NS6detail17trampoline_kernelINS0_14default_configENS1_35radix_sort_onesweep_config_selectorIiNS0_10empty_typeEEEZZNS1_29radix_sort_onesweep_iterationIS3_Lb0EPKiPiPS5_SB_mNS0_19identity_decomposerENS1_16block_id_wrapperIjLb1EEEEE10hipError_tT1_PNSt15iterator_traitsISG_E10value_typeET2_T3_PNSH_ISM_E10value_typeET4_T5_PSR_SS_PNS1_23onesweep_lookback_stateEbbT6_jjT7_P12ihipStream_tbENKUlT_T0_SG_SL_E_clISA_SA_SB_SB_EEDaSZ_S10_SG_SL_EUlSZ_E_NS1_11comp_targetILNS1_3genE10ELNS1_11target_archE1201ELNS1_3gpuE5ELNS1_3repE0EEENS1_47radix_sort_onesweep_sort_config_static_selectorELNS0_4arch9wavefront6targetE0EEEvSG_.uses_vcc, 0
	.set _ZN7rocprim17ROCPRIM_400000_NS6detail17trampoline_kernelINS0_14default_configENS1_35radix_sort_onesweep_config_selectorIiNS0_10empty_typeEEEZZNS1_29radix_sort_onesweep_iterationIS3_Lb0EPKiPiPS5_SB_mNS0_19identity_decomposerENS1_16block_id_wrapperIjLb1EEEEE10hipError_tT1_PNSt15iterator_traitsISG_E10value_typeET2_T3_PNSH_ISM_E10value_typeET4_T5_PSR_SS_PNS1_23onesweep_lookback_stateEbbT6_jjT7_P12ihipStream_tbENKUlT_T0_SG_SL_E_clISA_SA_SB_SB_EEDaSZ_S10_SG_SL_EUlSZ_E_NS1_11comp_targetILNS1_3genE10ELNS1_11target_archE1201ELNS1_3gpuE5ELNS1_3repE0EEENS1_47radix_sort_onesweep_sort_config_static_selectorELNS0_4arch9wavefront6targetE0EEEvSG_.uses_flat_scratch, 0
	.set _ZN7rocprim17ROCPRIM_400000_NS6detail17trampoline_kernelINS0_14default_configENS1_35radix_sort_onesweep_config_selectorIiNS0_10empty_typeEEEZZNS1_29radix_sort_onesweep_iterationIS3_Lb0EPKiPiPS5_SB_mNS0_19identity_decomposerENS1_16block_id_wrapperIjLb1EEEEE10hipError_tT1_PNSt15iterator_traitsISG_E10value_typeET2_T3_PNSH_ISM_E10value_typeET4_T5_PSR_SS_PNS1_23onesweep_lookback_stateEbbT6_jjT7_P12ihipStream_tbENKUlT_T0_SG_SL_E_clISA_SA_SB_SB_EEDaSZ_S10_SG_SL_EUlSZ_E_NS1_11comp_targetILNS1_3genE10ELNS1_11target_archE1201ELNS1_3gpuE5ELNS1_3repE0EEENS1_47radix_sort_onesweep_sort_config_static_selectorELNS0_4arch9wavefront6targetE0EEEvSG_.has_dyn_sized_stack, 0
	.set _ZN7rocprim17ROCPRIM_400000_NS6detail17trampoline_kernelINS0_14default_configENS1_35radix_sort_onesweep_config_selectorIiNS0_10empty_typeEEEZZNS1_29radix_sort_onesweep_iterationIS3_Lb0EPKiPiPS5_SB_mNS0_19identity_decomposerENS1_16block_id_wrapperIjLb1EEEEE10hipError_tT1_PNSt15iterator_traitsISG_E10value_typeET2_T3_PNSH_ISM_E10value_typeET4_T5_PSR_SS_PNS1_23onesweep_lookback_stateEbbT6_jjT7_P12ihipStream_tbENKUlT_T0_SG_SL_E_clISA_SA_SB_SB_EEDaSZ_S10_SG_SL_EUlSZ_E_NS1_11comp_targetILNS1_3genE10ELNS1_11target_archE1201ELNS1_3gpuE5ELNS1_3repE0EEENS1_47radix_sort_onesweep_sort_config_static_selectorELNS0_4arch9wavefront6targetE0EEEvSG_.has_recursion, 0
	.set _ZN7rocprim17ROCPRIM_400000_NS6detail17trampoline_kernelINS0_14default_configENS1_35radix_sort_onesweep_config_selectorIiNS0_10empty_typeEEEZZNS1_29radix_sort_onesweep_iterationIS3_Lb0EPKiPiPS5_SB_mNS0_19identity_decomposerENS1_16block_id_wrapperIjLb1EEEEE10hipError_tT1_PNSt15iterator_traitsISG_E10value_typeET2_T3_PNSH_ISM_E10value_typeET4_T5_PSR_SS_PNS1_23onesweep_lookback_stateEbbT6_jjT7_P12ihipStream_tbENKUlT_T0_SG_SL_E_clISA_SA_SB_SB_EEDaSZ_S10_SG_SL_EUlSZ_E_NS1_11comp_targetILNS1_3genE10ELNS1_11target_archE1201ELNS1_3gpuE5ELNS1_3repE0EEENS1_47radix_sort_onesweep_sort_config_static_selectorELNS0_4arch9wavefront6targetE0EEEvSG_.has_indirect_call, 0
	.section	.AMDGPU.csdata,"",@progbits
; Kernel info:
; codeLenInByte = 0
; TotalNumSgprs: 0
; NumVgprs: 0
; ScratchSize: 0
; MemoryBound: 0
; FloatMode: 240
; IeeeMode: 1
; LDSByteSize: 0 bytes/workgroup (compile time only)
; SGPRBlocks: 0
; VGPRBlocks: 0
; NumSGPRsForWavesPerEU: 1
; NumVGPRsForWavesPerEU: 1
; NamedBarCnt: 0
; Occupancy: 16
; WaveLimiterHint : 0
; COMPUTE_PGM_RSRC2:SCRATCH_EN: 0
; COMPUTE_PGM_RSRC2:USER_SGPR: 2
; COMPUTE_PGM_RSRC2:TRAP_HANDLER: 0
; COMPUTE_PGM_RSRC2:TGID_X_EN: 1
; COMPUTE_PGM_RSRC2:TGID_Y_EN: 0
; COMPUTE_PGM_RSRC2:TGID_Z_EN: 0
; COMPUTE_PGM_RSRC2:TIDIG_COMP_CNT: 0
	.section	.text._ZN7rocprim17ROCPRIM_400000_NS6detail17trampoline_kernelINS0_14default_configENS1_35radix_sort_onesweep_config_selectorIiNS0_10empty_typeEEEZZNS1_29radix_sort_onesweep_iterationIS3_Lb0EPKiPiPS5_SB_mNS0_19identity_decomposerENS1_16block_id_wrapperIjLb1EEEEE10hipError_tT1_PNSt15iterator_traitsISG_E10value_typeET2_T3_PNSH_ISM_E10value_typeET4_T5_PSR_SS_PNS1_23onesweep_lookback_stateEbbT6_jjT7_P12ihipStream_tbENKUlT_T0_SG_SL_E_clISA_SA_SB_SB_EEDaSZ_S10_SG_SL_EUlSZ_E_NS1_11comp_targetILNS1_3genE9ELNS1_11target_archE1100ELNS1_3gpuE3ELNS1_3repE0EEENS1_47radix_sort_onesweep_sort_config_static_selectorELNS0_4arch9wavefront6targetE0EEEvSG_,"axG",@progbits,_ZN7rocprim17ROCPRIM_400000_NS6detail17trampoline_kernelINS0_14default_configENS1_35radix_sort_onesweep_config_selectorIiNS0_10empty_typeEEEZZNS1_29radix_sort_onesweep_iterationIS3_Lb0EPKiPiPS5_SB_mNS0_19identity_decomposerENS1_16block_id_wrapperIjLb1EEEEE10hipError_tT1_PNSt15iterator_traitsISG_E10value_typeET2_T3_PNSH_ISM_E10value_typeET4_T5_PSR_SS_PNS1_23onesweep_lookback_stateEbbT6_jjT7_P12ihipStream_tbENKUlT_T0_SG_SL_E_clISA_SA_SB_SB_EEDaSZ_S10_SG_SL_EUlSZ_E_NS1_11comp_targetILNS1_3genE9ELNS1_11target_archE1100ELNS1_3gpuE3ELNS1_3repE0EEENS1_47radix_sort_onesweep_sort_config_static_selectorELNS0_4arch9wavefront6targetE0EEEvSG_,comdat
	.protected	_ZN7rocprim17ROCPRIM_400000_NS6detail17trampoline_kernelINS0_14default_configENS1_35radix_sort_onesweep_config_selectorIiNS0_10empty_typeEEEZZNS1_29radix_sort_onesweep_iterationIS3_Lb0EPKiPiPS5_SB_mNS0_19identity_decomposerENS1_16block_id_wrapperIjLb1EEEEE10hipError_tT1_PNSt15iterator_traitsISG_E10value_typeET2_T3_PNSH_ISM_E10value_typeET4_T5_PSR_SS_PNS1_23onesweep_lookback_stateEbbT6_jjT7_P12ihipStream_tbENKUlT_T0_SG_SL_E_clISA_SA_SB_SB_EEDaSZ_S10_SG_SL_EUlSZ_E_NS1_11comp_targetILNS1_3genE9ELNS1_11target_archE1100ELNS1_3gpuE3ELNS1_3repE0EEENS1_47radix_sort_onesweep_sort_config_static_selectorELNS0_4arch9wavefront6targetE0EEEvSG_ ; -- Begin function _ZN7rocprim17ROCPRIM_400000_NS6detail17trampoline_kernelINS0_14default_configENS1_35radix_sort_onesweep_config_selectorIiNS0_10empty_typeEEEZZNS1_29radix_sort_onesweep_iterationIS3_Lb0EPKiPiPS5_SB_mNS0_19identity_decomposerENS1_16block_id_wrapperIjLb1EEEEE10hipError_tT1_PNSt15iterator_traitsISG_E10value_typeET2_T3_PNSH_ISM_E10value_typeET4_T5_PSR_SS_PNS1_23onesweep_lookback_stateEbbT6_jjT7_P12ihipStream_tbENKUlT_T0_SG_SL_E_clISA_SA_SB_SB_EEDaSZ_S10_SG_SL_EUlSZ_E_NS1_11comp_targetILNS1_3genE9ELNS1_11target_archE1100ELNS1_3gpuE3ELNS1_3repE0EEENS1_47radix_sort_onesweep_sort_config_static_selectorELNS0_4arch9wavefront6targetE0EEEvSG_
	.globl	_ZN7rocprim17ROCPRIM_400000_NS6detail17trampoline_kernelINS0_14default_configENS1_35radix_sort_onesweep_config_selectorIiNS0_10empty_typeEEEZZNS1_29radix_sort_onesweep_iterationIS3_Lb0EPKiPiPS5_SB_mNS0_19identity_decomposerENS1_16block_id_wrapperIjLb1EEEEE10hipError_tT1_PNSt15iterator_traitsISG_E10value_typeET2_T3_PNSH_ISM_E10value_typeET4_T5_PSR_SS_PNS1_23onesweep_lookback_stateEbbT6_jjT7_P12ihipStream_tbENKUlT_T0_SG_SL_E_clISA_SA_SB_SB_EEDaSZ_S10_SG_SL_EUlSZ_E_NS1_11comp_targetILNS1_3genE9ELNS1_11target_archE1100ELNS1_3gpuE3ELNS1_3repE0EEENS1_47radix_sort_onesweep_sort_config_static_selectorELNS0_4arch9wavefront6targetE0EEEvSG_
	.p2align	8
	.type	_ZN7rocprim17ROCPRIM_400000_NS6detail17trampoline_kernelINS0_14default_configENS1_35radix_sort_onesweep_config_selectorIiNS0_10empty_typeEEEZZNS1_29radix_sort_onesweep_iterationIS3_Lb0EPKiPiPS5_SB_mNS0_19identity_decomposerENS1_16block_id_wrapperIjLb1EEEEE10hipError_tT1_PNSt15iterator_traitsISG_E10value_typeET2_T3_PNSH_ISM_E10value_typeET4_T5_PSR_SS_PNS1_23onesweep_lookback_stateEbbT6_jjT7_P12ihipStream_tbENKUlT_T0_SG_SL_E_clISA_SA_SB_SB_EEDaSZ_S10_SG_SL_EUlSZ_E_NS1_11comp_targetILNS1_3genE9ELNS1_11target_archE1100ELNS1_3gpuE3ELNS1_3repE0EEENS1_47radix_sort_onesweep_sort_config_static_selectorELNS0_4arch9wavefront6targetE0EEEvSG_,@function
_ZN7rocprim17ROCPRIM_400000_NS6detail17trampoline_kernelINS0_14default_configENS1_35radix_sort_onesweep_config_selectorIiNS0_10empty_typeEEEZZNS1_29radix_sort_onesweep_iterationIS3_Lb0EPKiPiPS5_SB_mNS0_19identity_decomposerENS1_16block_id_wrapperIjLb1EEEEE10hipError_tT1_PNSt15iterator_traitsISG_E10value_typeET2_T3_PNSH_ISM_E10value_typeET4_T5_PSR_SS_PNS1_23onesweep_lookback_stateEbbT6_jjT7_P12ihipStream_tbENKUlT_T0_SG_SL_E_clISA_SA_SB_SB_EEDaSZ_S10_SG_SL_EUlSZ_E_NS1_11comp_targetILNS1_3genE9ELNS1_11target_archE1100ELNS1_3gpuE3ELNS1_3repE0EEENS1_47radix_sort_onesweep_sort_config_static_selectorELNS0_4arch9wavefront6targetE0EEEvSG_: ; @_ZN7rocprim17ROCPRIM_400000_NS6detail17trampoline_kernelINS0_14default_configENS1_35radix_sort_onesweep_config_selectorIiNS0_10empty_typeEEEZZNS1_29radix_sort_onesweep_iterationIS3_Lb0EPKiPiPS5_SB_mNS0_19identity_decomposerENS1_16block_id_wrapperIjLb1EEEEE10hipError_tT1_PNSt15iterator_traitsISG_E10value_typeET2_T3_PNSH_ISM_E10value_typeET4_T5_PSR_SS_PNS1_23onesweep_lookback_stateEbbT6_jjT7_P12ihipStream_tbENKUlT_T0_SG_SL_E_clISA_SA_SB_SB_EEDaSZ_S10_SG_SL_EUlSZ_E_NS1_11comp_targetILNS1_3genE9ELNS1_11target_archE1100ELNS1_3gpuE3ELNS1_3repE0EEENS1_47radix_sort_onesweep_sort_config_static_selectorELNS0_4arch9wavefront6targetE0EEEvSG_
; %bb.0:
	.section	.rodata,"a",@progbits
	.p2align	6, 0x0
	.amdhsa_kernel _ZN7rocprim17ROCPRIM_400000_NS6detail17trampoline_kernelINS0_14default_configENS1_35radix_sort_onesweep_config_selectorIiNS0_10empty_typeEEEZZNS1_29radix_sort_onesweep_iterationIS3_Lb0EPKiPiPS5_SB_mNS0_19identity_decomposerENS1_16block_id_wrapperIjLb1EEEEE10hipError_tT1_PNSt15iterator_traitsISG_E10value_typeET2_T3_PNSH_ISM_E10value_typeET4_T5_PSR_SS_PNS1_23onesweep_lookback_stateEbbT6_jjT7_P12ihipStream_tbENKUlT_T0_SG_SL_E_clISA_SA_SB_SB_EEDaSZ_S10_SG_SL_EUlSZ_E_NS1_11comp_targetILNS1_3genE9ELNS1_11target_archE1100ELNS1_3gpuE3ELNS1_3repE0EEENS1_47radix_sort_onesweep_sort_config_static_selectorELNS0_4arch9wavefront6targetE0EEEvSG_
		.amdhsa_group_segment_fixed_size 0
		.amdhsa_private_segment_fixed_size 0
		.amdhsa_kernarg_size 88
		.amdhsa_user_sgpr_count 2
		.amdhsa_user_sgpr_dispatch_ptr 0
		.amdhsa_user_sgpr_queue_ptr 0
		.amdhsa_user_sgpr_kernarg_segment_ptr 1
		.amdhsa_user_sgpr_dispatch_id 0
		.amdhsa_user_sgpr_kernarg_preload_length 0
		.amdhsa_user_sgpr_kernarg_preload_offset 0
		.amdhsa_user_sgpr_private_segment_size 0
		.amdhsa_wavefront_size32 1
		.amdhsa_uses_dynamic_stack 0
		.amdhsa_enable_private_segment 0
		.amdhsa_system_sgpr_workgroup_id_x 1
		.amdhsa_system_sgpr_workgroup_id_y 0
		.amdhsa_system_sgpr_workgroup_id_z 0
		.amdhsa_system_sgpr_workgroup_info 0
		.amdhsa_system_vgpr_workitem_id 0
		.amdhsa_next_free_vgpr 1
		.amdhsa_next_free_sgpr 1
		.amdhsa_named_barrier_count 0
		.amdhsa_reserve_vcc 0
		.amdhsa_float_round_mode_32 0
		.amdhsa_float_round_mode_16_64 0
		.amdhsa_float_denorm_mode_32 3
		.amdhsa_float_denorm_mode_16_64 3
		.amdhsa_fp16_overflow 0
		.amdhsa_memory_ordered 1
		.amdhsa_forward_progress 1
		.amdhsa_inst_pref_size 0
		.amdhsa_round_robin_scheduling 0
		.amdhsa_exception_fp_ieee_invalid_op 0
		.amdhsa_exception_fp_denorm_src 0
		.amdhsa_exception_fp_ieee_div_zero 0
		.amdhsa_exception_fp_ieee_overflow 0
		.amdhsa_exception_fp_ieee_underflow 0
		.amdhsa_exception_fp_ieee_inexact 0
		.amdhsa_exception_int_div_zero 0
	.end_amdhsa_kernel
	.section	.text._ZN7rocprim17ROCPRIM_400000_NS6detail17trampoline_kernelINS0_14default_configENS1_35radix_sort_onesweep_config_selectorIiNS0_10empty_typeEEEZZNS1_29radix_sort_onesweep_iterationIS3_Lb0EPKiPiPS5_SB_mNS0_19identity_decomposerENS1_16block_id_wrapperIjLb1EEEEE10hipError_tT1_PNSt15iterator_traitsISG_E10value_typeET2_T3_PNSH_ISM_E10value_typeET4_T5_PSR_SS_PNS1_23onesweep_lookback_stateEbbT6_jjT7_P12ihipStream_tbENKUlT_T0_SG_SL_E_clISA_SA_SB_SB_EEDaSZ_S10_SG_SL_EUlSZ_E_NS1_11comp_targetILNS1_3genE9ELNS1_11target_archE1100ELNS1_3gpuE3ELNS1_3repE0EEENS1_47radix_sort_onesweep_sort_config_static_selectorELNS0_4arch9wavefront6targetE0EEEvSG_,"axG",@progbits,_ZN7rocprim17ROCPRIM_400000_NS6detail17trampoline_kernelINS0_14default_configENS1_35radix_sort_onesweep_config_selectorIiNS0_10empty_typeEEEZZNS1_29radix_sort_onesweep_iterationIS3_Lb0EPKiPiPS5_SB_mNS0_19identity_decomposerENS1_16block_id_wrapperIjLb1EEEEE10hipError_tT1_PNSt15iterator_traitsISG_E10value_typeET2_T3_PNSH_ISM_E10value_typeET4_T5_PSR_SS_PNS1_23onesweep_lookback_stateEbbT6_jjT7_P12ihipStream_tbENKUlT_T0_SG_SL_E_clISA_SA_SB_SB_EEDaSZ_S10_SG_SL_EUlSZ_E_NS1_11comp_targetILNS1_3genE9ELNS1_11target_archE1100ELNS1_3gpuE3ELNS1_3repE0EEENS1_47radix_sort_onesweep_sort_config_static_selectorELNS0_4arch9wavefront6targetE0EEEvSG_,comdat
.Lfunc_end976:
	.size	_ZN7rocprim17ROCPRIM_400000_NS6detail17trampoline_kernelINS0_14default_configENS1_35radix_sort_onesweep_config_selectorIiNS0_10empty_typeEEEZZNS1_29radix_sort_onesweep_iterationIS3_Lb0EPKiPiPS5_SB_mNS0_19identity_decomposerENS1_16block_id_wrapperIjLb1EEEEE10hipError_tT1_PNSt15iterator_traitsISG_E10value_typeET2_T3_PNSH_ISM_E10value_typeET4_T5_PSR_SS_PNS1_23onesweep_lookback_stateEbbT6_jjT7_P12ihipStream_tbENKUlT_T0_SG_SL_E_clISA_SA_SB_SB_EEDaSZ_S10_SG_SL_EUlSZ_E_NS1_11comp_targetILNS1_3genE9ELNS1_11target_archE1100ELNS1_3gpuE3ELNS1_3repE0EEENS1_47radix_sort_onesweep_sort_config_static_selectorELNS0_4arch9wavefront6targetE0EEEvSG_, .Lfunc_end976-_ZN7rocprim17ROCPRIM_400000_NS6detail17trampoline_kernelINS0_14default_configENS1_35radix_sort_onesweep_config_selectorIiNS0_10empty_typeEEEZZNS1_29radix_sort_onesweep_iterationIS3_Lb0EPKiPiPS5_SB_mNS0_19identity_decomposerENS1_16block_id_wrapperIjLb1EEEEE10hipError_tT1_PNSt15iterator_traitsISG_E10value_typeET2_T3_PNSH_ISM_E10value_typeET4_T5_PSR_SS_PNS1_23onesweep_lookback_stateEbbT6_jjT7_P12ihipStream_tbENKUlT_T0_SG_SL_E_clISA_SA_SB_SB_EEDaSZ_S10_SG_SL_EUlSZ_E_NS1_11comp_targetILNS1_3genE9ELNS1_11target_archE1100ELNS1_3gpuE3ELNS1_3repE0EEENS1_47radix_sort_onesweep_sort_config_static_selectorELNS0_4arch9wavefront6targetE0EEEvSG_
                                        ; -- End function
	.set _ZN7rocprim17ROCPRIM_400000_NS6detail17trampoline_kernelINS0_14default_configENS1_35radix_sort_onesweep_config_selectorIiNS0_10empty_typeEEEZZNS1_29radix_sort_onesweep_iterationIS3_Lb0EPKiPiPS5_SB_mNS0_19identity_decomposerENS1_16block_id_wrapperIjLb1EEEEE10hipError_tT1_PNSt15iterator_traitsISG_E10value_typeET2_T3_PNSH_ISM_E10value_typeET4_T5_PSR_SS_PNS1_23onesweep_lookback_stateEbbT6_jjT7_P12ihipStream_tbENKUlT_T0_SG_SL_E_clISA_SA_SB_SB_EEDaSZ_S10_SG_SL_EUlSZ_E_NS1_11comp_targetILNS1_3genE9ELNS1_11target_archE1100ELNS1_3gpuE3ELNS1_3repE0EEENS1_47radix_sort_onesweep_sort_config_static_selectorELNS0_4arch9wavefront6targetE0EEEvSG_.num_vgpr, 0
	.set _ZN7rocprim17ROCPRIM_400000_NS6detail17trampoline_kernelINS0_14default_configENS1_35radix_sort_onesweep_config_selectorIiNS0_10empty_typeEEEZZNS1_29radix_sort_onesweep_iterationIS3_Lb0EPKiPiPS5_SB_mNS0_19identity_decomposerENS1_16block_id_wrapperIjLb1EEEEE10hipError_tT1_PNSt15iterator_traitsISG_E10value_typeET2_T3_PNSH_ISM_E10value_typeET4_T5_PSR_SS_PNS1_23onesweep_lookback_stateEbbT6_jjT7_P12ihipStream_tbENKUlT_T0_SG_SL_E_clISA_SA_SB_SB_EEDaSZ_S10_SG_SL_EUlSZ_E_NS1_11comp_targetILNS1_3genE9ELNS1_11target_archE1100ELNS1_3gpuE3ELNS1_3repE0EEENS1_47radix_sort_onesweep_sort_config_static_selectorELNS0_4arch9wavefront6targetE0EEEvSG_.num_agpr, 0
	.set _ZN7rocprim17ROCPRIM_400000_NS6detail17trampoline_kernelINS0_14default_configENS1_35radix_sort_onesweep_config_selectorIiNS0_10empty_typeEEEZZNS1_29radix_sort_onesweep_iterationIS3_Lb0EPKiPiPS5_SB_mNS0_19identity_decomposerENS1_16block_id_wrapperIjLb1EEEEE10hipError_tT1_PNSt15iterator_traitsISG_E10value_typeET2_T3_PNSH_ISM_E10value_typeET4_T5_PSR_SS_PNS1_23onesweep_lookback_stateEbbT6_jjT7_P12ihipStream_tbENKUlT_T0_SG_SL_E_clISA_SA_SB_SB_EEDaSZ_S10_SG_SL_EUlSZ_E_NS1_11comp_targetILNS1_3genE9ELNS1_11target_archE1100ELNS1_3gpuE3ELNS1_3repE0EEENS1_47radix_sort_onesweep_sort_config_static_selectorELNS0_4arch9wavefront6targetE0EEEvSG_.numbered_sgpr, 0
	.set _ZN7rocprim17ROCPRIM_400000_NS6detail17trampoline_kernelINS0_14default_configENS1_35radix_sort_onesweep_config_selectorIiNS0_10empty_typeEEEZZNS1_29radix_sort_onesweep_iterationIS3_Lb0EPKiPiPS5_SB_mNS0_19identity_decomposerENS1_16block_id_wrapperIjLb1EEEEE10hipError_tT1_PNSt15iterator_traitsISG_E10value_typeET2_T3_PNSH_ISM_E10value_typeET4_T5_PSR_SS_PNS1_23onesweep_lookback_stateEbbT6_jjT7_P12ihipStream_tbENKUlT_T0_SG_SL_E_clISA_SA_SB_SB_EEDaSZ_S10_SG_SL_EUlSZ_E_NS1_11comp_targetILNS1_3genE9ELNS1_11target_archE1100ELNS1_3gpuE3ELNS1_3repE0EEENS1_47radix_sort_onesweep_sort_config_static_selectorELNS0_4arch9wavefront6targetE0EEEvSG_.num_named_barrier, 0
	.set _ZN7rocprim17ROCPRIM_400000_NS6detail17trampoline_kernelINS0_14default_configENS1_35radix_sort_onesweep_config_selectorIiNS0_10empty_typeEEEZZNS1_29radix_sort_onesweep_iterationIS3_Lb0EPKiPiPS5_SB_mNS0_19identity_decomposerENS1_16block_id_wrapperIjLb1EEEEE10hipError_tT1_PNSt15iterator_traitsISG_E10value_typeET2_T3_PNSH_ISM_E10value_typeET4_T5_PSR_SS_PNS1_23onesweep_lookback_stateEbbT6_jjT7_P12ihipStream_tbENKUlT_T0_SG_SL_E_clISA_SA_SB_SB_EEDaSZ_S10_SG_SL_EUlSZ_E_NS1_11comp_targetILNS1_3genE9ELNS1_11target_archE1100ELNS1_3gpuE3ELNS1_3repE0EEENS1_47radix_sort_onesweep_sort_config_static_selectorELNS0_4arch9wavefront6targetE0EEEvSG_.private_seg_size, 0
	.set _ZN7rocprim17ROCPRIM_400000_NS6detail17trampoline_kernelINS0_14default_configENS1_35radix_sort_onesweep_config_selectorIiNS0_10empty_typeEEEZZNS1_29radix_sort_onesweep_iterationIS3_Lb0EPKiPiPS5_SB_mNS0_19identity_decomposerENS1_16block_id_wrapperIjLb1EEEEE10hipError_tT1_PNSt15iterator_traitsISG_E10value_typeET2_T3_PNSH_ISM_E10value_typeET4_T5_PSR_SS_PNS1_23onesweep_lookback_stateEbbT6_jjT7_P12ihipStream_tbENKUlT_T0_SG_SL_E_clISA_SA_SB_SB_EEDaSZ_S10_SG_SL_EUlSZ_E_NS1_11comp_targetILNS1_3genE9ELNS1_11target_archE1100ELNS1_3gpuE3ELNS1_3repE0EEENS1_47radix_sort_onesweep_sort_config_static_selectorELNS0_4arch9wavefront6targetE0EEEvSG_.uses_vcc, 0
	.set _ZN7rocprim17ROCPRIM_400000_NS6detail17trampoline_kernelINS0_14default_configENS1_35radix_sort_onesweep_config_selectorIiNS0_10empty_typeEEEZZNS1_29radix_sort_onesweep_iterationIS3_Lb0EPKiPiPS5_SB_mNS0_19identity_decomposerENS1_16block_id_wrapperIjLb1EEEEE10hipError_tT1_PNSt15iterator_traitsISG_E10value_typeET2_T3_PNSH_ISM_E10value_typeET4_T5_PSR_SS_PNS1_23onesweep_lookback_stateEbbT6_jjT7_P12ihipStream_tbENKUlT_T0_SG_SL_E_clISA_SA_SB_SB_EEDaSZ_S10_SG_SL_EUlSZ_E_NS1_11comp_targetILNS1_3genE9ELNS1_11target_archE1100ELNS1_3gpuE3ELNS1_3repE0EEENS1_47radix_sort_onesweep_sort_config_static_selectorELNS0_4arch9wavefront6targetE0EEEvSG_.uses_flat_scratch, 0
	.set _ZN7rocprim17ROCPRIM_400000_NS6detail17trampoline_kernelINS0_14default_configENS1_35radix_sort_onesweep_config_selectorIiNS0_10empty_typeEEEZZNS1_29radix_sort_onesweep_iterationIS3_Lb0EPKiPiPS5_SB_mNS0_19identity_decomposerENS1_16block_id_wrapperIjLb1EEEEE10hipError_tT1_PNSt15iterator_traitsISG_E10value_typeET2_T3_PNSH_ISM_E10value_typeET4_T5_PSR_SS_PNS1_23onesweep_lookback_stateEbbT6_jjT7_P12ihipStream_tbENKUlT_T0_SG_SL_E_clISA_SA_SB_SB_EEDaSZ_S10_SG_SL_EUlSZ_E_NS1_11comp_targetILNS1_3genE9ELNS1_11target_archE1100ELNS1_3gpuE3ELNS1_3repE0EEENS1_47radix_sort_onesweep_sort_config_static_selectorELNS0_4arch9wavefront6targetE0EEEvSG_.has_dyn_sized_stack, 0
	.set _ZN7rocprim17ROCPRIM_400000_NS6detail17trampoline_kernelINS0_14default_configENS1_35radix_sort_onesweep_config_selectorIiNS0_10empty_typeEEEZZNS1_29radix_sort_onesweep_iterationIS3_Lb0EPKiPiPS5_SB_mNS0_19identity_decomposerENS1_16block_id_wrapperIjLb1EEEEE10hipError_tT1_PNSt15iterator_traitsISG_E10value_typeET2_T3_PNSH_ISM_E10value_typeET4_T5_PSR_SS_PNS1_23onesweep_lookback_stateEbbT6_jjT7_P12ihipStream_tbENKUlT_T0_SG_SL_E_clISA_SA_SB_SB_EEDaSZ_S10_SG_SL_EUlSZ_E_NS1_11comp_targetILNS1_3genE9ELNS1_11target_archE1100ELNS1_3gpuE3ELNS1_3repE0EEENS1_47radix_sort_onesweep_sort_config_static_selectorELNS0_4arch9wavefront6targetE0EEEvSG_.has_recursion, 0
	.set _ZN7rocprim17ROCPRIM_400000_NS6detail17trampoline_kernelINS0_14default_configENS1_35radix_sort_onesweep_config_selectorIiNS0_10empty_typeEEEZZNS1_29radix_sort_onesweep_iterationIS3_Lb0EPKiPiPS5_SB_mNS0_19identity_decomposerENS1_16block_id_wrapperIjLb1EEEEE10hipError_tT1_PNSt15iterator_traitsISG_E10value_typeET2_T3_PNSH_ISM_E10value_typeET4_T5_PSR_SS_PNS1_23onesweep_lookback_stateEbbT6_jjT7_P12ihipStream_tbENKUlT_T0_SG_SL_E_clISA_SA_SB_SB_EEDaSZ_S10_SG_SL_EUlSZ_E_NS1_11comp_targetILNS1_3genE9ELNS1_11target_archE1100ELNS1_3gpuE3ELNS1_3repE0EEENS1_47radix_sort_onesweep_sort_config_static_selectorELNS0_4arch9wavefront6targetE0EEEvSG_.has_indirect_call, 0
	.section	.AMDGPU.csdata,"",@progbits
; Kernel info:
; codeLenInByte = 0
; TotalNumSgprs: 0
; NumVgprs: 0
; ScratchSize: 0
; MemoryBound: 0
; FloatMode: 240
; IeeeMode: 1
; LDSByteSize: 0 bytes/workgroup (compile time only)
; SGPRBlocks: 0
; VGPRBlocks: 0
; NumSGPRsForWavesPerEU: 1
; NumVGPRsForWavesPerEU: 1
; NamedBarCnt: 0
; Occupancy: 16
; WaveLimiterHint : 0
; COMPUTE_PGM_RSRC2:SCRATCH_EN: 0
; COMPUTE_PGM_RSRC2:USER_SGPR: 2
; COMPUTE_PGM_RSRC2:TRAP_HANDLER: 0
; COMPUTE_PGM_RSRC2:TGID_X_EN: 1
; COMPUTE_PGM_RSRC2:TGID_Y_EN: 0
; COMPUTE_PGM_RSRC2:TGID_Z_EN: 0
; COMPUTE_PGM_RSRC2:TIDIG_COMP_CNT: 0
	.section	.text._ZN7rocprim17ROCPRIM_400000_NS6detail17trampoline_kernelINS0_14default_configENS1_35radix_sort_onesweep_config_selectorIiNS0_10empty_typeEEEZZNS1_29radix_sort_onesweep_iterationIS3_Lb0EPKiPiPS5_SB_mNS0_19identity_decomposerENS1_16block_id_wrapperIjLb1EEEEE10hipError_tT1_PNSt15iterator_traitsISG_E10value_typeET2_T3_PNSH_ISM_E10value_typeET4_T5_PSR_SS_PNS1_23onesweep_lookback_stateEbbT6_jjT7_P12ihipStream_tbENKUlT_T0_SG_SL_E_clISA_SA_SB_SB_EEDaSZ_S10_SG_SL_EUlSZ_E_NS1_11comp_targetILNS1_3genE8ELNS1_11target_archE1030ELNS1_3gpuE2ELNS1_3repE0EEENS1_47radix_sort_onesweep_sort_config_static_selectorELNS0_4arch9wavefront6targetE0EEEvSG_,"axG",@progbits,_ZN7rocprim17ROCPRIM_400000_NS6detail17trampoline_kernelINS0_14default_configENS1_35radix_sort_onesweep_config_selectorIiNS0_10empty_typeEEEZZNS1_29radix_sort_onesweep_iterationIS3_Lb0EPKiPiPS5_SB_mNS0_19identity_decomposerENS1_16block_id_wrapperIjLb1EEEEE10hipError_tT1_PNSt15iterator_traitsISG_E10value_typeET2_T3_PNSH_ISM_E10value_typeET4_T5_PSR_SS_PNS1_23onesweep_lookback_stateEbbT6_jjT7_P12ihipStream_tbENKUlT_T0_SG_SL_E_clISA_SA_SB_SB_EEDaSZ_S10_SG_SL_EUlSZ_E_NS1_11comp_targetILNS1_3genE8ELNS1_11target_archE1030ELNS1_3gpuE2ELNS1_3repE0EEENS1_47radix_sort_onesweep_sort_config_static_selectorELNS0_4arch9wavefront6targetE0EEEvSG_,comdat
	.protected	_ZN7rocprim17ROCPRIM_400000_NS6detail17trampoline_kernelINS0_14default_configENS1_35radix_sort_onesweep_config_selectorIiNS0_10empty_typeEEEZZNS1_29radix_sort_onesweep_iterationIS3_Lb0EPKiPiPS5_SB_mNS0_19identity_decomposerENS1_16block_id_wrapperIjLb1EEEEE10hipError_tT1_PNSt15iterator_traitsISG_E10value_typeET2_T3_PNSH_ISM_E10value_typeET4_T5_PSR_SS_PNS1_23onesweep_lookback_stateEbbT6_jjT7_P12ihipStream_tbENKUlT_T0_SG_SL_E_clISA_SA_SB_SB_EEDaSZ_S10_SG_SL_EUlSZ_E_NS1_11comp_targetILNS1_3genE8ELNS1_11target_archE1030ELNS1_3gpuE2ELNS1_3repE0EEENS1_47radix_sort_onesweep_sort_config_static_selectorELNS0_4arch9wavefront6targetE0EEEvSG_ ; -- Begin function _ZN7rocprim17ROCPRIM_400000_NS6detail17trampoline_kernelINS0_14default_configENS1_35radix_sort_onesweep_config_selectorIiNS0_10empty_typeEEEZZNS1_29radix_sort_onesweep_iterationIS3_Lb0EPKiPiPS5_SB_mNS0_19identity_decomposerENS1_16block_id_wrapperIjLb1EEEEE10hipError_tT1_PNSt15iterator_traitsISG_E10value_typeET2_T3_PNSH_ISM_E10value_typeET4_T5_PSR_SS_PNS1_23onesweep_lookback_stateEbbT6_jjT7_P12ihipStream_tbENKUlT_T0_SG_SL_E_clISA_SA_SB_SB_EEDaSZ_S10_SG_SL_EUlSZ_E_NS1_11comp_targetILNS1_3genE8ELNS1_11target_archE1030ELNS1_3gpuE2ELNS1_3repE0EEENS1_47radix_sort_onesweep_sort_config_static_selectorELNS0_4arch9wavefront6targetE0EEEvSG_
	.globl	_ZN7rocprim17ROCPRIM_400000_NS6detail17trampoline_kernelINS0_14default_configENS1_35radix_sort_onesweep_config_selectorIiNS0_10empty_typeEEEZZNS1_29radix_sort_onesweep_iterationIS3_Lb0EPKiPiPS5_SB_mNS0_19identity_decomposerENS1_16block_id_wrapperIjLb1EEEEE10hipError_tT1_PNSt15iterator_traitsISG_E10value_typeET2_T3_PNSH_ISM_E10value_typeET4_T5_PSR_SS_PNS1_23onesweep_lookback_stateEbbT6_jjT7_P12ihipStream_tbENKUlT_T0_SG_SL_E_clISA_SA_SB_SB_EEDaSZ_S10_SG_SL_EUlSZ_E_NS1_11comp_targetILNS1_3genE8ELNS1_11target_archE1030ELNS1_3gpuE2ELNS1_3repE0EEENS1_47radix_sort_onesweep_sort_config_static_selectorELNS0_4arch9wavefront6targetE0EEEvSG_
	.p2align	8
	.type	_ZN7rocprim17ROCPRIM_400000_NS6detail17trampoline_kernelINS0_14default_configENS1_35radix_sort_onesweep_config_selectorIiNS0_10empty_typeEEEZZNS1_29radix_sort_onesweep_iterationIS3_Lb0EPKiPiPS5_SB_mNS0_19identity_decomposerENS1_16block_id_wrapperIjLb1EEEEE10hipError_tT1_PNSt15iterator_traitsISG_E10value_typeET2_T3_PNSH_ISM_E10value_typeET4_T5_PSR_SS_PNS1_23onesweep_lookback_stateEbbT6_jjT7_P12ihipStream_tbENKUlT_T0_SG_SL_E_clISA_SA_SB_SB_EEDaSZ_S10_SG_SL_EUlSZ_E_NS1_11comp_targetILNS1_3genE8ELNS1_11target_archE1030ELNS1_3gpuE2ELNS1_3repE0EEENS1_47radix_sort_onesweep_sort_config_static_selectorELNS0_4arch9wavefront6targetE0EEEvSG_,@function
_ZN7rocprim17ROCPRIM_400000_NS6detail17trampoline_kernelINS0_14default_configENS1_35radix_sort_onesweep_config_selectorIiNS0_10empty_typeEEEZZNS1_29radix_sort_onesweep_iterationIS3_Lb0EPKiPiPS5_SB_mNS0_19identity_decomposerENS1_16block_id_wrapperIjLb1EEEEE10hipError_tT1_PNSt15iterator_traitsISG_E10value_typeET2_T3_PNSH_ISM_E10value_typeET4_T5_PSR_SS_PNS1_23onesweep_lookback_stateEbbT6_jjT7_P12ihipStream_tbENKUlT_T0_SG_SL_E_clISA_SA_SB_SB_EEDaSZ_S10_SG_SL_EUlSZ_E_NS1_11comp_targetILNS1_3genE8ELNS1_11target_archE1030ELNS1_3gpuE2ELNS1_3repE0EEENS1_47radix_sort_onesweep_sort_config_static_selectorELNS0_4arch9wavefront6targetE0EEEvSG_: ; @_ZN7rocprim17ROCPRIM_400000_NS6detail17trampoline_kernelINS0_14default_configENS1_35radix_sort_onesweep_config_selectorIiNS0_10empty_typeEEEZZNS1_29radix_sort_onesweep_iterationIS3_Lb0EPKiPiPS5_SB_mNS0_19identity_decomposerENS1_16block_id_wrapperIjLb1EEEEE10hipError_tT1_PNSt15iterator_traitsISG_E10value_typeET2_T3_PNSH_ISM_E10value_typeET4_T5_PSR_SS_PNS1_23onesweep_lookback_stateEbbT6_jjT7_P12ihipStream_tbENKUlT_T0_SG_SL_E_clISA_SA_SB_SB_EEDaSZ_S10_SG_SL_EUlSZ_E_NS1_11comp_targetILNS1_3genE8ELNS1_11target_archE1030ELNS1_3gpuE2ELNS1_3repE0EEENS1_47radix_sort_onesweep_sort_config_static_selectorELNS0_4arch9wavefront6targetE0EEEvSG_
; %bb.0:
	.section	.rodata,"a",@progbits
	.p2align	6, 0x0
	.amdhsa_kernel _ZN7rocprim17ROCPRIM_400000_NS6detail17trampoline_kernelINS0_14default_configENS1_35radix_sort_onesweep_config_selectorIiNS0_10empty_typeEEEZZNS1_29radix_sort_onesweep_iterationIS3_Lb0EPKiPiPS5_SB_mNS0_19identity_decomposerENS1_16block_id_wrapperIjLb1EEEEE10hipError_tT1_PNSt15iterator_traitsISG_E10value_typeET2_T3_PNSH_ISM_E10value_typeET4_T5_PSR_SS_PNS1_23onesweep_lookback_stateEbbT6_jjT7_P12ihipStream_tbENKUlT_T0_SG_SL_E_clISA_SA_SB_SB_EEDaSZ_S10_SG_SL_EUlSZ_E_NS1_11comp_targetILNS1_3genE8ELNS1_11target_archE1030ELNS1_3gpuE2ELNS1_3repE0EEENS1_47radix_sort_onesweep_sort_config_static_selectorELNS0_4arch9wavefront6targetE0EEEvSG_
		.amdhsa_group_segment_fixed_size 0
		.amdhsa_private_segment_fixed_size 0
		.amdhsa_kernarg_size 88
		.amdhsa_user_sgpr_count 2
		.amdhsa_user_sgpr_dispatch_ptr 0
		.amdhsa_user_sgpr_queue_ptr 0
		.amdhsa_user_sgpr_kernarg_segment_ptr 1
		.amdhsa_user_sgpr_dispatch_id 0
		.amdhsa_user_sgpr_kernarg_preload_length 0
		.amdhsa_user_sgpr_kernarg_preload_offset 0
		.amdhsa_user_sgpr_private_segment_size 0
		.amdhsa_wavefront_size32 1
		.amdhsa_uses_dynamic_stack 0
		.amdhsa_enable_private_segment 0
		.amdhsa_system_sgpr_workgroup_id_x 1
		.amdhsa_system_sgpr_workgroup_id_y 0
		.amdhsa_system_sgpr_workgroup_id_z 0
		.amdhsa_system_sgpr_workgroup_info 0
		.amdhsa_system_vgpr_workitem_id 0
		.amdhsa_next_free_vgpr 1
		.amdhsa_next_free_sgpr 1
		.amdhsa_named_barrier_count 0
		.amdhsa_reserve_vcc 0
		.amdhsa_float_round_mode_32 0
		.amdhsa_float_round_mode_16_64 0
		.amdhsa_float_denorm_mode_32 3
		.amdhsa_float_denorm_mode_16_64 3
		.amdhsa_fp16_overflow 0
		.amdhsa_memory_ordered 1
		.amdhsa_forward_progress 1
		.amdhsa_inst_pref_size 0
		.amdhsa_round_robin_scheduling 0
		.amdhsa_exception_fp_ieee_invalid_op 0
		.amdhsa_exception_fp_denorm_src 0
		.amdhsa_exception_fp_ieee_div_zero 0
		.amdhsa_exception_fp_ieee_overflow 0
		.amdhsa_exception_fp_ieee_underflow 0
		.amdhsa_exception_fp_ieee_inexact 0
		.amdhsa_exception_int_div_zero 0
	.end_amdhsa_kernel
	.section	.text._ZN7rocprim17ROCPRIM_400000_NS6detail17trampoline_kernelINS0_14default_configENS1_35radix_sort_onesweep_config_selectorIiNS0_10empty_typeEEEZZNS1_29radix_sort_onesweep_iterationIS3_Lb0EPKiPiPS5_SB_mNS0_19identity_decomposerENS1_16block_id_wrapperIjLb1EEEEE10hipError_tT1_PNSt15iterator_traitsISG_E10value_typeET2_T3_PNSH_ISM_E10value_typeET4_T5_PSR_SS_PNS1_23onesweep_lookback_stateEbbT6_jjT7_P12ihipStream_tbENKUlT_T0_SG_SL_E_clISA_SA_SB_SB_EEDaSZ_S10_SG_SL_EUlSZ_E_NS1_11comp_targetILNS1_3genE8ELNS1_11target_archE1030ELNS1_3gpuE2ELNS1_3repE0EEENS1_47radix_sort_onesweep_sort_config_static_selectorELNS0_4arch9wavefront6targetE0EEEvSG_,"axG",@progbits,_ZN7rocprim17ROCPRIM_400000_NS6detail17trampoline_kernelINS0_14default_configENS1_35radix_sort_onesweep_config_selectorIiNS0_10empty_typeEEEZZNS1_29radix_sort_onesweep_iterationIS3_Lb0EPKiPiPS5_SB_mNS0_19identity_decomposerENS1_16block_id_wrapperIjLb1EEEEE10hipError_tT1_PNSt15iterator_traitsISG_E10value_typeET2_T3_PNSH_ISM_E10value_typeET4_T5_PSR_SS_PNS1_23onesweep_lookback_stateEbbT6_jjT7_P12ihipStream_tbENKUlT_T0_SG_SL_E_clISA_SA_SB_SB_EEDaSZ_S10_SG_SL_EUlSZ_E_NS1_11comp_targetILNS1_3genE8ELNS1_11target_archE1030ELNS1_3gpuE2ELNS1_3repE0EEENS1_47radix_sort_onesweep_sort_config_static_selectorELNS0_4arch9wavefront6targetE0EEEvSG_,comdat
.Lfunc_end977:
	.size	_ZN7rocprim17ROCPRIM_400000_NS6detail17trampoline_kernelINS0_14default_configENS1_35radix_sort_onesweep_config_selectorIiNS0_10empty_typeEEEZZNS1_29radix_sort_onesweep_iterationIS3_Lb0EPKiPiPS5_SB_mNS0_19identity_decomposerENS1_16block_id_wrapperIjLb1EEEEE10hipError_tT1_PNSt15iterator_traitsISG_E10value_typeET2_T3_PNSH_ISM_E10value_typeET4_T5_PSR_SS_PNS1_23onesweep_lookback_stateEbbT6_jjT7_P12ihipStream_tbENKUlT_T0_SG_SL_E_clISA_SA_SB_SB_EEDaSZ_S10_SG_SL_EUlSZ_E_NS1_11comp_targetILNS1_3genE8ELNS1_11target_archE1030ELNS1_3gpuE2ELNS1_3repE0EEENS1_47radix_sort_onesweep_sort_config_static_selectorELNS0_4arch9wavefront6targetE0EEEvSG_, .Lfunc_end977-_ZN7rocprim17ROCPRIM_400000_NS6detail17trampoline_kernelINS0_14default_configENS1_35radix_sort_onesweep_config_selectorIiNS0_10empty_typeEEEZZNS1_29radix_sort_onesweep_iterationIS3_Lb0EPKiPiPS5_SB_mNS0_19identity_decomposerENS1_16block_id_wrapperIjLb1EEEEE10hipError_tT1_PNSt15iterator_traitsISG_E10value_typeET2_T3_PNSH_ISM_E10value_typeET4_T5_PSR_SS_PNS1_23onesweep_lookback_stateEbbT6_jjT7_P12ihipStream_tbENKUlT_T0_SG_SL_E_clISA_SA_SB_SB_EEDaSZ_S10_SG_SL_EUlSZ_E_NS1_11comp_targetILNS1_3genE8ELNS1_11target_archE1030ELNS1_3gpuE2ELNS1_3repE0EEENS1_47radix_sort_onesweep_sort_config_static_selectorELNS0_4arch9wavefront6targetE0EEEvSG_
                                        ; -- End function
	.set _ZN7rocprim17ROCPRIM_400000_NS6detail17trampoline_kernelINS0_14default_configENS1_35radix_sort_onesweep_config_selectorIiNS0_10empty_typeEEEZZNS1_29radix_sort_onesweep_iterationIS3_Lb0EPKiPiPS5_SB_mNS0_19identity_decomposerENS1_16block_id_wrapperIjLb1EEEEE10hipError_tT1_PNSt15iterator_traitsISG_E10value_typeET2_T3_PNSH_ISM_E10value_typeET4_T5_PSR_SS_PNS1_23onesweep_lookback_stateEbbT6_jjT7_P12ihipStream_tbENKUlT_T0_SG_SL_E_clISA_SA_SB_SB_EEDaSZ_S10_SG_SL_EUlSZ_E_NS1_11comp_targetILNS1_3genE8ELNS1_11target_archE1030ELNS1_3gpuE2ELNS1_3repE0EEENS1_47radix_sort_onesweep_sort_config_static_selectorELNS0_4arch9wavefront6targetE0EEEvSG_.num_vgpr, 0
	.set _ZN7rocprim17ROCPRIM_400000_NS6detail17trampoline_kernelINS0_14default_configENS1_35radix_sort_onesweep_config_selectorIiNS0_10empty_typeEEEZZNS1_29radix_sort_onesweep_iterationIS3_Lb0EPKiPiPS5_SB_mNS0_19identity_decomposerENS1_16block_id_wrapperIjLb1EEEEE10hipError_tT1_PNSt15iterator_traitsISG_E10value_typeET2_T3_PNSH_ISM_E10value_typeET4_T5_PSR_SS_PNS1_23onesweep_lookback_stateEbbT6_jjT7_P12ihipStream_tbENKUlT_T0_SG_SL_E_clISA_SA_SB_SB_EEDaSZ_S10_SG_SL_EUlSZ_E_NS1_11comp_targetILNS1_3genE8ELNS1_11target_archE1030ELNS1_3gpuE2ELNS1_3repE0EEENS1_47radix_sort_onesweep_sort_config_static_selectorELNS0_4arch9wavefront6targetE0EEEvSG_.num_agpr, 0
	.set _ZN7rocprim17ROCPRIM_400000_NS6detail17trampoline_kernelINS0_14default_configENS1_35radix_sort_onesweep_config_selectorIiNS0_10empty_typeEEEZZNS1_29radix_sort_onesweep_iterationIS3_Lb0EPKiPiPS5_SB_mNS0_19identity_decomposerENS1_16block_id_wrapperIjLb1EEEEE10hipError_tT1_PNSt15iterator_traitsISG_E10value_typeET2_T3_PNSH_ISM_E10value_typeET4_T5_PSR_SS_PNS1_23onesweep_lookback_stateEbbT6_jjT7_P12ihipStream_tbENKUlT_T0_SG_SL_E_clISA_SA_SB_SB_EEDaSZ_S10_SG_SL_EUlSZ_E_NS1_11comp_targetILNS1_3genE8ELNS1_11target_archE1030ELNS1_3gpuE2ELNS1_3repE0EEENS1_47radix_sort_onesweep_sort_config_static_selectorELNS0_4arch9wavefront6targetE0EEEvSG_.numbered_sgpr, 0
	.set _ZN7rocprim17ROCPRIM_400000_NS6detail17trampoline_kernelINS0_14default_configENS1_35radix_sort_onesweep_config_selectorIiNS0_10empty_typeEEEZZNS1_29radix_sort_onesweep_iterationIS3_Lb0EPKiPiPS5_SB_mNS0_19identity_decomposerENS1_16block_id_wrapperIjLb1EEEEE10hipError_tT1_PNSt15iterator_traitsISG_E10value_typeET2_T3_PNSH_ISM_E10value_typeET4_T5_PSR_SS_PNS1_23onesweep_lookback_stateEbbT6_jjT7_P12ihipStream_tbENKUlT_T0_SG_SL_E_clISA_SA_SB_SB_EEDaSZ_S10_SG_SL_EUlSZ_E_NS1_11comp_targetILNS1_3genE8ELNS1_11target_archE1030ELNS1_3gpuE2ELNS1_3repE0EEENS1_47radix_sort_onesweep_sort_config_static_selectorELNS0_4arch9wavefront6targetE0EEEvSG_.num_named_barrier, 0
	.set _ZN7rocprim17ROCPRIM_400000_NS6detail17trampoline_kernelINS0_14default_configENS1_35radix_sort_onesweep_config_selectorIiNS0_10empty_typeEEEZZNS1_29radix_sort_onesweep_iterationIS3_Lb0EPKiPiPS5_SB_mNS0_19identity_decomposerENS1_16block_id_wrapperIjLb1EEEEE10hipError_tT1_PNSt15iterator_traitsISG_E10value_typeET2_T3_PNSH_ISM_E10value_typeET4_T5_PSR_SS_PNS1_23onesweep_lookback_stateEbbT6_jjT7_P12ihipStream_tbENKUlT_T0_SG_SL_E_clISA_SA_SB_SB_EEDaSZ_S10_SG_SL_EUlSZ_E_NS1_11comp_targetILNS1_3genE8ELNS1_11target_archE1030ELNS1_3gpuE2ELNS1_3repE0EEENS1_47radix_sort_onesweep_sort_config_static_selectorELNS0_4arch9wavefront6targetE0EEEvSG_.private_seg_size, 0
	.set _ZN7rocprim17ROCPRIM_400000_NS6detail17trampoline_kernelINS0_14default_configENS1_35radix_sort_onesweep_config_selectorIiNS0_10empty_typeEEEZZNS1_29radix_sort_onesweep_iterationIS3_Lb0EPKiPiPS5_SB_mNS0_19identity_decomposerENS1_16block_id_wrapperIjLb1EEEEE10hipError_tT1_PNSt15iterator_traitsISG_E10value_typeET2_T3_PNSH_ISM_E10value_typeET4_T5_PSR_SS_PNS1_23onesweep_lookback_stateEbbT6_jjT7_P12ihipStream_tbENKUlT_T0_SG_SL_E_clISA_SA_SB_SB_EEDaSZ_S10_SG_SL_EUlSZ_E_NS1_11comp_targetILNS1_3genE8ELNS1_11target_archE1030ELNS1_3gpuE2ELNS1_3repE0EEENS1_47radix_sort_onesweep_sort_config_static_selectorELNS0_4arch9wavefront6targetE0EEEvSG_.uses_vcc, 0
	.set _ZN7rocprim17ROCPRIM_400000_NS6detail17trampoline_kernelINS0_14default_configENS1_35radix_sort_onesweep_config_selectorIiNS0_10empty_typeEEEZZNS1_29radix_sort_onesweep_iterationIS3_Lb0EPKiPiPS5_SB_mNS0_19identity_decomposerENS1_16block_id_wrapperIjLb1EEEEE10hipError_tT1_PNSt15iterator_traitsISG_E10value_typeET2_T3_PNSH_ISM_E10value_typeET4_T5_PSR_SS_PNS1_23onesweep_lookback_stateEbbT6_jjT7_P12ihipStream_tbENKUlT_T0_SG_SL_E_clISA_SA_SB_SB_EEDaSZ_S10_SG_SL_EUlSZ_E_NS1_11comp_targetILNS1_3genE8ELNS1_11target_archE1030ELNS1_3gpuE2ELNS1_3repE0EEENS1_47radix_sort_onesweep_sort_config_static_selectorELNS0_4arch9wavefront6targetE0EEEvSG_.uses_flat_scratch, 0
	.set _ZN7rocprim17ROCPRIM_400000_NS6detail17trampoline_kernelINS0_14default_configENS1_35radix_sort_onesweep_config_selectorIiNS0_10empty_typeEEEZZNS1_29radix_sort_onesweep_iterationIS3_Lb0EPKiPiPS5_SB_mNS0_19identity_decomposerENS1_16block_id_wrapperIjLb1EEEEE10hipError_tT1_PNSt15iterator_traitsISG_E10value_typeET2_T3_PNSH_ISM_E10value_typeET4_T5_PSR_SS_PNS1_23onesweep_lookback_stateEbbT6_jjT7_P12ihipStream_tbENKUlT_T0_SG_SL_E_clISA_SA_SB_SB_EEDaSZ_S10_SG_SL_EUlSZ_E_NS1_11comp_targetILNS1_3genE8ELNS1_11target_archE1030ELNS1_3gpuE2ELNS1_3repE0EEENS1_47radix_sort_onesweep_sort_config_static_selectorELNS0_4arch9wavefront6targetE0EEEvSG_.has_dyn_sized_stack, 0
	.set _ZN7rocprim17ROCPRIM_400000_NS6detail17trampoline_kernelINS0_14default_configENS1_35radix_sort_onesweep_config_selectorIiNS0_10empty_typeEEEZZNS1_29radix_sort_onesweep_iterationIS3_Lb0EPKiPiPS5_SB_mNS0_19identity_decomposerENS1_16block_id_wrapperIjLb1EEEEE10hipError_tT1_PNSt15iterator_traitsISG_E10value_typeET2_T3_PNSH_ISM_E10value_typeET4_T5_PSR_SS_PNS1_23onesweep_lookback_stateEbbT6_jjT7_P12ihipStream_tbENKUlT_T0_SG_SL_E_clISA_SA_SB_SB_EEDaSZ_S10_SG_SL_EUlSZ_E_NS1_11comp_targetILNS1_3genE8ELNS1_11target_archE1030ELNS1_3gpuE2ELNS1_3repE0EEENS1_47radix_sort_onesweep_sort_config_static_selectorELNS0_4arch9wavefront6targetE0EEEvSG_.has_recursion, 0
	.set _ZN7rocprim17ROCPRIM_400000_NS6detail17trampoline_kernelINS0_14default_configENS1_35radix_sort_onesweep_config_selectorIiNS0_10empty_typeEEEZZNS1_29radix_sort_onesweep_iterationIS3_Lb0EPKiPiPS5_SB_mNS0_19identity_decomposerENS1_16block_id_wrapperIjLb1EEEEE10hipError_tT1_PNSt15iterator_traitsISG_E10value_typeET2_T3_PNSH_ISM_E10value_typeET4_T5_PSR_SS_PNS1_23onesweep_lookback_stateEbbT6_jjT7_P12ihipStream_tbENKUlT_T0_SG_SL_E_clISA_SA_SB_SB_EEDaSZ_S10_SG_SL_EUlSZ_E_NS1_11comp_targetILNS1_3genE8ELNS1_11target_archE1030ELNS1_3gpuE2ELNS1_3repE0EEENS1_47radix_sort_onesweep_sort_config_static_selectorELNS0_4arch9wavefront6targetE0EEEvSG_.has_indirect_call, 0
	.section	.AMDGPU.csdata,"",@progbits
; Kernel info:
; codeLenInByte = 0
; TotalNumSgprs: 0
; NumVgprs: 0
; ScratchSize: 0
; MemoryBound: 0
; FloatMode: 240
; IeeeMode: 1
; LDSByteSize: 0 bytes/workgroup (compile time only)
; SGPRBlocks: 0
; VGPRBlocks: 0
; NumSGPRsForWavesPerEU: 1
; NumVGPRsForWavesPerEU: 1
; NamedBarCnt: 0
; Occupancy: 16
; WaveLimiterHint : 0
; COMPUTE_PGM_RSRC2:SCRATCH_EN: 0
; COMPUTE_PGM_RSRC2:USER_SGPR: 2
; COMPUTE_PGM_RSRC2:TRAP_HANDLER: 0
; COMPUTE_PGM_RSRC2:TGID_X_EN: 1
; COMPUTE_PGM_RSRC2:TGID_Y_EN: 0
; COMPUTE_PGM_RSRC2:TGID_Z_EN: 0
; COMPUTE_PGM_RSRC2:TIDIG_COMP_CNT: 0
	.section	.text._ZN7rocprim17ROCPRIM_400000_NS6detail17trampoline_kernelINS0_14default_configENS1_35radix_sort_onesweep_config_selectorIiNS0_10empty_typeEEEZZNS1_29radix_sort_onesweep_iterationIS3_Lb0EPKiPiPS5_SB_mNS0_19identity_decomposerENS1_16block_id_wrapperIjLb0EEEEE10hipError_tT1_PNSt15iterator_traitsISG_E10value_typeET2_T3_PNSH_ISM_E10value_typeET4_T5_PSR_SS_PNS1_23onesweep_lookback_stateEbbT6_jjT7_P12ihipStream_tbENKUlT_T0_SG_SL_E_clIS9_SA_SB_SB_EEDaSZ_S10_SG_SL_EUlSZ_E_NS1_11comp_targetILNS1_3genE0ELNS1_11target_archE4294967295ELNS1_3gpuE0ELNS1_3repE0EEENS1_47radix_sort_onesweep_sort_config_static_selectorELNS0_4arch9wavefront6targetE0EEEvSG_,"axG",@progbits,_ZN7rocprim17ROCPRIM_400000_NS6detail17trampoline_kernelINS0_14default_configENS1_35radix_sort_onesweep_config_selectorIiNS0_10empty_typeEEEZZNS1_29radix_sort_onesweep_iterationIS3_Lb0EPKiPiPS5_SB_mNS0_19identity_decomposerENS1_16block_id_wrapperIjLb0EEEEE10hipError_tT1_PNSt15iterator_traitsISG_E10value_typeET2_T3_PNSH_ISM_E10value_typeET4_T5_PSR_SS_PNS1_23onesweep_lookback_stateEbbT6_jjT7_P12ihipStream_tbENKUlT_T0_SG_SL_E_clIS9_SA_SB_SB_EEDaSZ_S10_SG_SL_EUlSZ_E_NS1_11comp_targetILNS1_3genE0ELNS1_11target_archE4294967295ELNS1_3gpuE0ELNS1_3repE0EEENS1_47radix_sort_onesweep_sort_config_static_selectorELNS0_4arch9wavefront6targetE0EEEvSG_,comdat
	.protected	_ZN7rocprim17ROCPRIM_400000_NS6detail17trampoline_kernelINS0_14default_configENS1_35radix_sort_onesweep_config_selectorIiNS0_10empty_typeEEEZZNS1_29radix_sort_onesweep_iterationIS3_Lb0EPKiPiPS5_SB_mNS0_19identity_decomposerENS1_16block_id_wrapperIjLb0EEEEE10hipError_tT1_PNSt15iterator_traitsISG_E10value_typeET2_T3_PNSH_ISM_E10value_typeET4_T5_PSR_SS_PNS1_23onesweep_lookback_stateEbbT6_jjT7_P12ihipStream_tbENKUlT_T0_SG_SL_E_clIS9_SA_SB_SB_EEDaSZ_S10_SG_SL_EUlSZ_E_NS1_11comp_targetILNS1_3genE0ELNS1_11target_archE4294967295ELNS1_3gpuE0ELNS1_3repE0EEENS1_47radix_sort_onesweep_sort_config_static_selectorELNS0_4arch9wavefront6targetE0EEEvSG_ ; -- Begin function _ZN7rocprim17ROCPRIM_400000_NS6detail17trampoline_kernelINS0_14default_configENS1_35radix_sort_onesweep_config_selectorIiNS0_10empty_typeEEEZZNS1_29radix_sort_onesweep_iterationIS3_Lb0EPKiPiPS5_SB_mNS0_19identity_decomposerENS1_16block_id_wrapperIjLb0EEEEE10hipError_tT1_PNSt15iterator_traitsISG_E10value_typeET2_T3_PNSH_ISM_E10value_typeET4_T5_PSR_SS_PNS1_23onesweep_lookback_stateEbbT6_jjT7_P12ihipStream_tbENKUlT_T0_SG_SL_E_clIS9_SA_SB_SB_EEDaSZ_S10_SG_SL_EUlSZ_E_NS1_11comp_targetILNS1_3genE0ELNS1_11target_archE4294967295ELNS1_3gpuE0ELNS1_3repE0EEENS1_47radix_sort_onesweep_sort_config_static_selectorELNS0_4arch9wavefront6targetE0EEEvSG_
	.globl	_ZN7rocprim17ROCPRIM_400000_NS6detail17trampoline_kernelINS0_14default_configENS1_35radix_sort_onesweep_config_selectorIiNS0_10empty_typeEEEZZNS1_29radix_sort_onesweep_iterationIS3_Lb0EPKiPiPS5_SB_mNS0_19identity_decomposerENS1_16block_id_wrapperIjLb0EEEEE10hipError_tT1_PNSt15iterator_traitsISG_E10value_typeET2_T3_PNSH_ISM_E10value_typeET4_T5_PSR_SS_PNS1_23onesweep_lookback_stateEbbT6_jjT7_P12ihipStream_tbENKUlT_T0_SG_SL_E_clIS9_SA_SB_SB_EEDaSZ_S10_SG_SL_EUlSZ_E_NS1_11comp_targetILNS1_3genE0ELNS1_11target_archE4294967295ELNS1_3gpuE0ELNS1_3repE0EEENS1_47radix_sort_onesweep_sort_config_static_selectorELNS0_4arch9wavefront6targetE0EEEvSG_
	.p2align	8
	.type	_ZN7rocprim17ROCPRIM_400000_NS6detail17trampoline_kernelINS0_14default_configENS1_35radix_sort_onesweep_config_selectorIiNS0_10empty_typeEEEZZNS1_29radix_sort_onesweep_iterationIS3_Lb0EPKiPiPS5_SB_mNS0_19identity_decomposerENS1_16block_id_wrapperIjLb0EEEEE10hipError_tT1_PNSt15iterator_traitsISG_E10value_typeET2_T3_PNSH_ISM_E10value_typeET4_T5_PSR_SS_PNS1_23onesweep_lookback_stateEbbT6_jjT7_P12ihipStream_tbENKUlT_T0_SG_SL_E_clIS9_SA_SB_SB_EEDaSZ_S10_SG_SL_EUlSZ_E_NS1_11comp_targetILNS1_3genE0ELNS1_11target_archE4294967295ELNS1_3gpuE0ELNS1_3repE0EEENS1_47radix_sort_onesweep_sort_config_static_selectorELNS0_4arch9wavefront6targetE0EEEvSG_,@function
_ZN7rocprim17ROCPRIM_400000_NS6detail17trampoline_kernelINS0_14default_configENS1_35radix_sort_onesweep_config_selectorIiNS0_10empty_typeEEEZZNS1_29radix_sort_onesweep_iterationIS3_Lb0EPKiPiPS5_SB_mNS0_19identity_decomposerENS1_16block_id_wrapperIjLb0EEEEE10hipError_tT1_PNSt15iterator_traitsISG_E10value_typeET2_T3_PNSH_ISM_E10value_typeET4_T5_PSR_SS_PNS1_23onesweep_lookback_stateEbbT6_jjT7_P12ihipStream_tbENKUlT_T0_SG_SL_E_clIS9_SA_SB_SB_EEDaSZ_S10_SG_SL_EUlSZ_E_NS1_11comp_targetILNS1_3genE0ELNS1_11target_archE4294967295ELNS1_3gpuE0ELNS1_3repE0EEENS1_47radix_sort_onesweep_sort_config_static_selectorELNS0_4arch9wavefront6targetE0EEEvSG_: ; @_ZN7rocprim17ROCPRIM_400000_NS6detail17trampoline_kernelINS0_14default_configENS1_35radix_sort_onesweep_config_selectorIiNS0_10empty_typeEEEZZNS1_29radix_sort_onesweep_iterationIS3_Lb0EPKiPiPS5_SB_mNS0_19identity_decomposerENS1_16block_id_wrapperIjLb0EEEEE10hipError_tT1_PNSt15iterator_traitsISG_E10value_typeET2_T3_PNSH_ISM_E10value_typeET4_T5_PSR_SS_PNS1_23onesweep_lookback_stateEbbT6_jjT7_P12ihipStream_tbENKUlT_T0_SG_SL_E_clIS9_SA_SB_SB_EEDaSZ_S10_SG_SL_EUlSZ_E_NS1_11comp_targetILNS1_3genE0ELNS1_11target_archE4294967295ELNS1_3gpuE0ELNS1_3repE0EEENS1_47radix_sort_onesweep_sort_config_static_selectorELNS0_4arch9wavefront6targetE0EEEvSG_
; %bb.0:
	s_clause 0x3
	s_load_b96 s[20:22], s[0:1], 0x44
	s_load_b64 s[10:11], s[0:1], 0x38
	s_load_b128 s[16:19], s[0:1], 0x0
	s_load_b128 s[12:15], s[0:1], 0x28
	s_bfe_u32 s2, ttmp6, 0x4000c
	s_and_b32 s3, ttmp6, 15
	s_add_co_i32 s2, s2, 1
	s_getreg_b32 s4, hwreg(HW_REG_IB_STS2, 6, 4)
	s_mul_i32 s5, ttmp9, s2
	v_mbcnt_lo_u32_b32 v16, -1, 0
	s_add_co_i32 s3, s3, s5
	s_cmp_eq_u32 s4, 0
	v_and_b32_e32 v17, 0x1e0, v0
	s_cselect_b32 s9, ttmp9, s3
	s_mov_b32 s25, 0
	s_mov_b32 s2, -1
	s_mul_i32 s24, s9, 0x1800
	s_add_nc_u64 s[26:27], s[0:1], 0x58
	s_wait_kmcnt 0x0
	s_cmp_ge_u32 s9, s22
	s_cbranch_scc0 .LBB978_90
; %bb.1:
	s_load_b32 s4, s[0:1], 0x20
	v_dual_mov_b32 v3, 0 :: v_dual_lshlrev_b32 v2, 2, v16
	s_lshl_b64 s[2:3], s[24:25], 2
	v_mul_u32_u24_e32 v1, 12, v17
	s_add_nc_u64 s[2:3], s[16:17], s[2:3]
	v_mov_b32_e32 v18, -1
	v_add_nc_u64_e32 v[6:7], s[2:3], v[2:3]
	s_mul_i32 s2, s22, 0xffffe800
	v_dual_lshlrev_b32 v2, 2, v1 :: v_dual_bitop2_b32 v4, v16, v1 bitop3:0x54
	v_mov_b32_e32 v1, -1
	s_delay_alu instid0(VALU_DEP_2)
	v_add_nc_u64_e32 v[2:3], v[6:7], v[2:3]
	s_wait_kmcnt 0x0
	s_add_co_i32 s22, s4, s2
	s_mov_b32 s2, exec_lo
	v_cmpx_gt_u32_e64 s22, v4
	s_cbranch_execz .LBB978_3
; %bb.2:
	global_load_b32 v5, v[2:3], off
	s_wait_loadcnt 0x0
	v_xor_b32_e32 v18, 0x80000000, v5
.LBB978_3:
	s_or_b32 exec_lo, exec_lo, s2
	v_or_b32_e32 v5, 32, v4
	s_mov_b32 s2, exec_lo
	s_delay_alu instid0(VALU_DEP_1)
	v_cmpx_gt_u32_e64 s22, v5
	s_cbranch_execz .LBB978_5
; %bb.4:
	global_load_b32 v1, v[2:3], off offset:128
	s_wait_loadcnt 0x0
	v_xor_b32_e32 v1, 0x80000000, v1
.LBB978_5:
	s_or_b32 exec_lo, exec_lo, s2
	v_dual_mov_b32 v19, -1 :: v_dual_bitop2_b32 v5, 64, v4 bitop3:0x54
	v_mov_b32_e32 v20, -1
	s_mov_b32 s2, exec_lo
	s_delay_alu instid0(VALU_DEP_2)
	v_cmpx_gt_u32_e64 s22, v5
	s_cbranch_execz .LBB978_7
; %bb.6:
	global_load_b32 v5, v[2:3], off offset:256
	s_wait_loadcnt 0x0
	v_xor_b32_e32 v20, 0x80000000, v5
.LBB978_7:
	s_or_b32 exec_lo, exec_lo, s2
	v_or_b32_e32 v5, 0x60, v4
	s_mov_b32 s2, exec_lo
	s_delay_alu instid0(VALU_DEP_1)
	v_cmpx_gt_u32_e64 s22, v5
	s_cbranch_execz .LBB978_9
; %bb.8:
	global_load_b32 v5, v[2:3], off offset:384
	s_wait_loadcnt 0x0
	v_xor_b32_e32 v19, 0x80000000, v5
.LBB978_9:
	s_or_b32 exec_lo, exec_lo, s2
	v_dual_mov_b32 v22, -1 :: v_dual_add_nc_u32 v5, 0x80, v4
	v_mov_b32_e32 v21, -1
	s_mov_b32 s2, exec_lo
	s_delay_alu instid0(VALU_DEP_2)
	v_cmpx_gt_u32_e64 s22, v5
	s_cbranch_execz .LBB978_11
; %bb.10:
	global_load_b32 v5, v[2:3], off offset:512
	s_wait_loadcnt 0x0
	v_xor_b32_e32 v22, 0x80000000, v5
.LBB978_11:
	s_or_b32 exec_lo, exec_lo, s2
	v_add_nc_u32_e32 v5, 0xa0, v4
	s_mov_b32 s2, exec_lo
	s_delay_alu instid0(VALU_DEP_1)
	v_cmpx_gt_u32_e64 s22, v5
	s_cbranch_execz .LBB978_13
; %bb.12:
	global_load_b32 v5, v[2:3], off offset:640
	s_wait_loadcnt 0x0
	v_xor_b32_e32 v21, 0x80000000, v5
.LBB978_13:
	s_or_b32 exec_lo, exec_lo, s2
	v_dual_mov_b32 v24, -1 :: v_dual_add_nc_u32 v5, 0xc0, v4
	v_mov_b32_e32 v23, -1
	s_mov_b32 s2, exec_lo
	s_delay_alu instid0(VALU_DEP_2)
	v_cmpx_gt_u32_e64 s22, v5
	s_cbranch_execz .LBB978_15
; %bb.14:
	global_load_b32 v5, v[2:3], off offset:768
	s_wait_loadcnt 0x0
	v_xor_b32_e32 v24, 0x80000000, v5
.LBB978_15:
	s_or_b32 exec_lo, exec_lo, s2
	v_add_nc_u32_e32 v5, 0xe0, v4
	;; [unrolled: 23-line block ×4, first 2 shown]
	v_and_b32_e32 v27, 0x3ff, v0
	s_mov_b32 s2, exec_lo
	s_delay_alu instid0(VALU_DEP_2)
	v_cmpx_gt_u32_e64 s22, v4
	s_cbranch_execz .LBB978_25
; %bb.24:
	global_load_b32 v2, v[2:3], off offset:1408
	s_wait_loadcnt 0x0
	v_xor_b32_e32 v28, 0x80000000, v2
.LBB978_25:
	s_or_b32 exec_lo, exec_lo, s2
	s_clause 0x1
	s_load_b32 s23, s[0:1], 0x58
	s_load_u16 s4, s[0:1], 0x66
	v_bfe_u32 v2, v0, 10, 10
	v_bfe_u32 v3, v0, 20, 10
	v_lshrrev_b32_e32 v4, s20, v18
	s_mov_b32 s3, 0
	s_wait_kmcnt 0x0
	s_cmp_lt_u32 s9, s23
	v_mad_u32_u24 v2, v3, s4, v2
	s_cselect_b32 s2, 12, 18
	s_lshl_b32 s25, -1, s21
	s_add_nc_u64 s[2:3], s[26:27], s[2:3]
	v_bitop3_b32 v3, v4, 1, s25 bitop3:0x40
	v_bitop3_b32 v4, v4, s25, v4 bitop3:0x30
	s_load_u16 s28, s[2:3], 0x0
	s_wait_xcnt 0x0
	s_delay_alu instid0(VALU_DEP_2) | instskip(NEXT) | instid1(VALU_DEP_1)
	v_add_co_u32 v3, s2, v3, -1
	v_cndmask_b32_e64 v5, 0, 1, s2
	v_dual_lshlrev_b32 v6, 30, v4 :: v_dual_lshlrev_b32 v7, 29, v4
	v_dual_lshlrev_b32 v8, 28, v4 :: v_dual_lshlrev_b32 v9, 27, v4
	s_delay_alu instid0(VALU_DEP_3) | instskip(NEXT) | instid1(VALU_DEP_3)
	v_cmp_ne_u32_e32 vcc_lo, 0, v5
	v_not_b32_e32 v5, v6
	v_dual_lshlrev_b32 v10, 26, v4 :: v_dual_lshlrev_b32 v11, 25, v4
	v_cmp_gt_i32_e64 s2, 0, v6
	v_cmp_gt_i32_e64 s3, 0, v7
	v_not_b32_e32 v6, v7
	v_cmp_gt_i32_e64 s4, 0, v8
	v_not_b32_e32 v7, v8
	v_not_b32_e32 v8, v9
	v_dual_ashrrev_i32 v5, 31, v5 :: v_dual_lshlrev_b32 v12, 24, v4
	v_xor_b32_e32 v3, vcc_lo, v3
	v_cmp_gt_i32_e64 s5, 0, v9
	v_not_b32_e32 v9, v10
	v_dual_ashrrev_i32 v6, 31, v6 :: v_dual_ashrrev_i32 v7, 31, v7
	v_dual_ashrrev_i32 v8, 31, v8 :: v_dual_bitop2_b32 v5, s2, v5 bitop3:0x14
	v_cmp_gt_i32_e64 s6, 0, v10
	v_cmp_gt_i32_e64 s7, 0, v11
	v_not_b32_e32 v10, v11
	v_not_b32_e32 v11, v12
	v_dual_ashrrev_i32 v9, 31, v9 :: v_dual_bitop2_b32 v6, s3, v6 bitop3:0x14
	s_wait_kmcnt 0x0
	v_mad_u32 v2, v2, s28, v27
	v_xor_b32_e32 v7, s4, v7
	v_bitop3_b32 v3, v3, v5, exec_lo bitop3:0x80
	v_cmp_gt_i32_e64 s8, 0, v12
	v_dual_ashrrev_i32 v5, 31, v10 :: v_dual_ashrrev_i32 v10, 31, v11
	v_xor_b32_e32 v8, s5, v8
	v_xor_b32_e32 v9, s6, v9
	v_bitop3_b32 v3, v3, v7, v6 bitop3:0x80
	s_delay_alu instid0(VALU_DEP_4) | instskip(SKIP_2) | instid1(VALU_DEP_4)
	v_dual_mov_b32 v6, 0 :: v_dual_bitop2_b32 v5, s7, v5 bitop3:0x14
	v_lshrrev_b32_e32 v2, 5, v2
	v_xor_b32_e32 v7, s8, v10
	v_bitop3_b32 v3, v3, v9, v8 bitop3:0x80
	v_mul_u32_u24_e32 v12, 36, v27
	s_not_b32 s6, s25
	v_lshlrev_b32_e32 v2, 2, v2
	ds_store_2addr_b32 v12, v6, v6 offset0:16 offset1:17
	ds_store_2addr_b32 v12, v6, v6 offset0:18 offset1:19
	;; [unrolled: 1-line block ×4, first 2 shown]
	v_bitop3_b32 v3, v3, v7, v5 bitop3:0x80
	v_mad_u32 v13, 0x44, v4, v2
	ds_store_b32 v12, v6 offset:96
	s_wait_dscnt 0x0
	s_barrier_signal -1
	v_mbcnt_lo_u32_b32 v7, v3, 0
	v_cmp_ne_u32_e64 s2, 0, v3
	s_barrier_wait -1
	s_delay_alu instid0(VALU_DEP_2) | instskip(SKIP_1) | instid1(SALU_CYCLE_1)
	v_cmp_eq_u32_e32 vcc_lo, 0, v7
	; wave barrier
	s_and_b32 s3, s2, vcc_lo
	s_and_saveexec_b32 s2, s3
; %bb.26:
	v_bcnt_u32_b32 v3, v3, 0
	ds_store_b32 v13, v3 offset:64
; %bb.27:
	s_or_b32 exec_lo, exec_lo, s2
	v_lshrrev_b32_e32 v3, s20, v1
	; wave barrier
	s_delay_alu instid0(VALU_DEP_1) | instskip(NEXT) | instid1(VALU_DEP_1)
	v_and_b32_e32 v4, s6, v3
	v_lshlrev_b32_e32 v6, 30, v4
	v_bitop3_b32 v3, v3, 1, s6 bitop3:0x80
	s_delay_alu instid0(VALU_DEP_1) | instskip(NEXT) | instid1(VALU_DEP_1)
	v_add_co_u32 v3, s2, v3, -1
	v_cndmask_b32_e64 v5, 0, 1, s2
	s_delay_alu instid0(VALU_DEP_4) | instskip(NEXT) | instid1(VALU_DEP_2)
	v_cmp_gt_i32_e64 s2, 0, v6
	v_cmp_ne_u32_e32 vcc_lo, 0, v5
	v_not_b32_e32 v5, v6
	s_delay_alu instid0(VALU_DEP_1) | instskip(SKIP_3) | instid1(VALU_DEP_4)
	v_dual_ashrrev_i32 v5, 31, v5 :: v_dual_lshlrev_b32 v8, 29, v4
	v_dual_lshlrev_b32 v9, 28, v4 :: v_dual_lshlrev_b32 v10, 27, v4
	v_lshlrev_b32_e32 v11, 26, v4
	v_mad_u32 v14, 0x44, v4, v2
	v_cmp_gt_i32_e64 s3, 0, v8
	v_not_b32_e32 v6, v8
	v_not_b32_e32 v8, v9
	v_cmp_gt_i32_e64 s4, 0, v9
	v_xor_b32_e32 v3, vcc_lo, v3
	s_delay_alu instid0(VALU_DEP_4) | instskip(NEXT) | instid1(VALU_DEP_4)
	v_dual_ashrrev_i32 v6, 31, v6 :: v_dual_bitop2_b32 v5, s2, v5 bitop3:0x14
	v_ashrrev_i32_e32 v8, 31, v8
	v_dual_lshlrev_b32 v15, 25, v4 :: v_dual_lshlrev_b32 v4, 24, v4
	v_not_b32_e32 v9, v10
	v_not_b32_e32 v30, v11
	v_xor_b32_e32 v6, s3, v6
	v_xor_b32_e32 v8, s4, v8
	v_bitop3_b32 v3, v3, v5, exec_lo bitop3:0x80
	v_cmp_gt_i32_e32 vcc_lo, 0, v10
	v_ashrrev_i32_e32 v5, 31, v9
	v_cmp_gt_i32_e64 s2, 0, v11
	v_ashrrev_i32_e32 v9, 31, v30
	v_bitop3_b32 v3, v3, v8, v6 bitop3:0x80
	v_not_b32_e32 v6, v15
	v_not_b32_e32 v8, v4
	v_xor_b32_e32 v5, vcc_lo, v5
	v_xor_b32_e32 v9, s2, v9
	v_cmp_gt_i32_e32 vcc_lo, 0, v15
	v_ashrrev_i32_e32 v6, 31, v6
	v_cmp_gt_i32_e64 s2, 0, v4
	v_ashrrev_i32_e32 v4, 31, v8
	v_bitop3_b32 v3, v3, v9, v5 bitop3:0x80
	ds_load_b32 v30, v14 offset:64
	v_xor_b32_e32 v5, vcc_lo, v6
	v_xor_b32_e32 v4, s2, v4
	; wave barrier
	s_delay_alu instid0(VALU_DEP_1) | instskip(NEXT) | instid1(VALU_DEP_1)
	v_bitop3_b32 v3, v3, v4, v5 bitop3:0x80
	v_mbcnt_lo_u32_b32 v31, v3, 0
	v_cmp_ne_u32_e64 s2, 0, v3
	s_delay_alu instid0(VALU_DEP_2) | instskip(SKIP_1) | instid1(SALU_CYCLE_1)
	v_cmp_eq_u32_e32 vcc_lo, 0, v31
	s_and_b32 s3, s2, vcc_lo
	s_and_saveexec_b32 s2, s3
	s_cbranch_execz .LBB978_29
; %bb.28:
	s_wait_dscnt 0x0
	v_bcnt_u32_b32 v3, v3, v30
	ds_store_b32 v14, v3 offset:64
.LBB978_29:
	s_or_b32 exec_lo, exec_lo, s2
	v_lshrrev_b32_e32 v3, s20, v20
	; wave barrier
	s_delay_alu instid0(VALU_DEP_1) | instskip(SKIP_1) | instid1(VALU_DEP_2)
	v_and_b32_e32 v4, s6, v3
	v_bitop3_b32 v3, v3, 1, s6 bitop3:0x80
	v_dual_lshlrev_b32 v6, 30, v4 :: v_dual_lshlrev_b32 v8, 29, v4
	s_delay_alu instid0(VALU_DEP_2) | instskip(NEXT) | instid1(VALU_DEP_1)
	v_add_co_u32 v3, s2, v3, -1
	v_cndmask_b32_e64 v5, 0, 1, s2
	s_delay_alu instid0(VALU_DEP_3) | instskip(NEXT) | instid1(VALU_DEP_4)
	v_cmp_gt_i32_e64 s2, 0, v6
	v_cmp_gt_i32_e64 s3, 0, v8
	s_delay_alu instid0(VALU_DEP_3) | instskip(SKIP_2) | instid1(VALU_DEP_2)
	v_cmp_ne_u32_e32 vcc_lo, 0, v5
	v_not_b32_e32 v5, v6
	v_not_b32_e32 v6, v8
	v_dual_ashrrev_i32 v5, 31, v5 :: v_dual_bitop2_b32 v3, vcc_lo, v3 bitop3:0x14
	s_delay_alu instid0(VALU_DEP_2) | instskip(SKIP_3) | instid1(VALU_DEP_4)
	v_dual_ashrrev_i32 v6, 31, v6 :: v_dual_lshlrev_b32 v9, 28, v4
	v_lshlrev_b32_e32 v10, 27, v4
	v_mad_u32 v15, 0x44, v4, v2
	v_dual_lshlrev_b32 v11, 26, v4 :: v_dual_lshlrev_b32 v32, 25, v4
	v_not_b32_e32 v8, v9
	v_lshlrev_b32_e32 v4, 24, v4
	v_cmp_gt_i32_e64 s4, 0, v9
	v_xor_b32_e32 v5, s2, v5
	v_not_b32_e32 v9, v10
	v_ashrrev_i32_e32 v8, 31, v8
	v_not_b32_e32 v33, v11
	v_xor_b32_e32 v6, s3, v6
	v_bitop3_b32 v3, v3, v5, exec_lo bitop3:0x80
	v_cmp_gt_i32_e32 vcc_lo, 0, v10
	v_dual_ashrrev_i32 v5, 31, v9 :: v_dual_bitop2_b32 v8, s4, v8 bitop3:0x14
	v_cmp_gt_i32_e64 s2, 0, v11
	v_ashrrev_i32_e32 v9, 31, v33
	s_delay_alu instid0(VALU_DEP_3)
	v_bitop3_b32 v3, v3, v8, v6 bitop3:0x80
	v_not_b32_e32 v6, v32
	v_not_b32_e32 v8, v4
	v_xor_b32_e32 v5, vcc_lo, v5
	v_xor_b32_e32 v9, s2, v9
	v_cmp_gt_i32_e32 vcc_lo, 0, v32
	v_ashrrev_i32_e32 v6, 31, v6
	v_cmp_gt_i32_e64 s2, 0, v4
	v_ashrrev_i32_e32 v4, 31, v8
	v_bitop3_b32 v3, v3, v9, v5 bitop3:0x80
	ds_load_b32 v32, v15 offset:64
	v_xor_b32_e32 v5, vcc_lo, v6
	v_xor_b32_e32 v4, s2, v4
	; wave barrier
	s_delay_alu instid0(VALU_DEP_1) | instskip(NEXT) | instid1(VALU_DEP_1)
	v_bitop3_b32 v3, v3, v4, v5 bitop3:0x80
	v_mbcnt_lo_u32_b32 v33, v3, 0
	v_cmp_ne_u32_e64 s2, 0, v3
	s_delay_alu instid0(VALU_DEP_2) | instskip(SKIP_1) | instid1(SALU_CYCLE_1)
	v_cmp_eq_u32_e32 vcc_lo, 0, v33
	s_and_b32 s3, s2, vcc_lo
	s_and_saveexec_b32 s2, s3
	s_cbranch_execz .LBB978_31
; %bb.30:
	s_wait_dscnt 0x0
	v_bcnt_u32_b32 v3, v3, v32
	ds_store_b32 v15, v3 offset:64
.LBB978_31:
	s_or_b32 exec_lo, exec_lo, s2
	v_lshrrev_b32_e32 v3, s20, v19
	; wave barrier
	s_delay_alu instid0(VALU_DEP_1) | instskip(NEXT) | instid1(VALU_DEP_1)
	v_and_b32_e32 v4, s6, v3
	v_lshlrev_b32_e32 v6, 30, v4
	v_bitop3_b32 v3, v3, 1, s6 bitop3:0x80
	s_delay_alu instid0(VALU_DEP_1) | instskip(NEXT) | instid1(VALU_DEP_1)
	v_add_co_u32 v3, s2, v3, -1
	v_cndmask_b32_e64 v5, 0, 1, s2
	s_delay_alu instid0(VALU_DEP_4) | instskip(NEXT) | instid1(VALU_DEP_2)
	v_cmp_gt_i32_e64 s2, 0, v6
	v_cmp_ne_u32_e32 vcc_lo, 0, v5
	v_not_b32_e32 v5, v6
	s_delay_alu instid0(VALU_DEP_1) | instskip(SKIP_3) | instid1(VALU_DEP_4)
	v_dual_ashrrev_i32 v5, 31, v5 :: v_dual_lshlrev_b32 v8, 29, v4
	v_dual_lshlrev_b32 v9, 28, v4 :: v_dual_lshlrev_b32 v10, 27, v4
	v_lshlrev_b32_e32 v11, 26, v4
	v_mad_u32 v38, 0x44, v4, v2
	v_cmp_gt_i32_e64 s3, 0, v8
	v_not_b32_e32 v6, v8
	v_not_b32_e32 v8, v9
	v_cmp_gt_i32_e64 s4, 0, v9
	v_xor_b32_e32 v3, vcc_lo, v3
	s_delay_alu instid0(VALU_DEP_4) | instskip(NEXT) | instid1(VALU_DEP_4)
	v_dual_ashrrev_i32 v6, 31, v6 :: v_dual_bitop2_b32 v5, s2, v5 bitop3:0x14
	v_ashrrev_i32_e32 v8, 31, v8
	v_dual_lshlrev_b32 v34, 25, v4 :: v_dual_lshlrev_b32 v4, 24, v4
	v_not_b32_e32 v9, v10
	v_not_b32_e32 v35, v11
	v_xor_b32_e32 v6, s3, v6
	v_xor_b32_e32 v8, s4, v8
	v_bitop3_b32 v3, v3, v5, exec_lo bitop3:0x80
	v_cmp_gt_i32_e32 vcc_lo, 0, v10
	v_ashrrev_i32_e32 v5, 31, v9
	v_cmp_gt_i32_e64 s2, 0, v11
	v_ashrrev_i32_e32 v9, 31, v35
	v_bitop3_b32 v3, v3, v8, v6 bitop3:0x80
	v_not_b32_e32 v6, v34
	v_not_b32_e32 v8, v4
	v_xor_b32_e32 v5, vcc_lo, v5
	v_xor_b32_e32 v9, s2, v9
	v_cmp_gt_i32_e32 vcc_lo, 0, v34
	v_ashrrev_i32_e32 v6, 31, v6
	v_cmp_gt_i32_e64 s2, 0, v4
	v_ashrrev_i32_e32 v4, 31, v8
	v_bitop3_b32 v3, v3, v9, v5 bitop3:0x80
	ds_load_b32 v34, v38 offset:64
	v_xor_b32_e32 v5, vcc_lo, v6
	v_xor_b32_e32 v4, s2, v4
	; wave barrier
	s_delay_alu instid0(VALU_DEP_1) | instskip(NEXT) | instid1(VALU_DEP_1)
	v_bitop3_b32 v3, v3, v4, v5 bitop3:0x80
	v_mbcnt_lo_u32_b32 v35, v3, 0
	v_cmp_ne_u32_e64 s2, 0, v3
	s_delay_alu instid0(VALU_DEP_2) | instskip(SKIP_1) | instid1(SALU_CYCLE_1)
	v_cmp_eq_u32_e32 vcc_lo, 0, v35
	s_and_b32 s3, s2, vcc_lo
	s_and_saveexec_b32 s2, s3
	s_cbranch_execz .LBB978_33
; %bb.32:
	s_wait_dscnt 0x0
	v_bcnt_u32_b32 v3, v3, v34
	ds_store_b32 v38, v3 offset:64
.LBB978_33:
	s_or_b32 exec_lo, exec_lo, s2
	v_lshrrev_b32_e32 v3, s20, v22
	; wave barrier
	s_delay_alu instid0(VALU_DEP_1) | instskip(NEXT) | instid1(VALU_DEP_1)
	v_and_b32_e32 v4, s6, v3
	v_lshlrev_b32_e32 v6, 30, v4
	v_bitop3_b32 v3, v3, 1, s6 bitop3:0x80
	s_delay_alu instid0(VALU_DEP_1) | instskip(NEXT) | instid1(VALU_DEP_1)
	v_add_co_u32 v3, s2, v3, -1
	v_cndmask_b32_e64 v5, 0, 1, s2
	s_delay_alu instid0(VALU_DEP_4) | instskip(NEXT) | instid1(VALU_DEP_2)
	v_cmp_gt_i32_e64 s2, 0, v6
	v_cmp_ne_u32_e32 vcc_lo, 0, v5
	v_not_b32_e32 v5, v6
	s_delay_alu instid0(VALU_DEP_1) | instskip(SKIP_3) | instid1(VALU_DEP_4)
	v_dual_ashrrev_i32 v5, 31, v5 :: v_dual_lshlrev_b32 v8, 29, v4
	v_dual_lshlrev_b32 v9, 28, v4 :: v_dual_lshlrev_b32 v10, 27, v4
	v_lshlrev_b32_e32 v11, 26, v4
	v_mad_u32 v41, 0x44, v4, v2
	v_cmp_gt_i32_e64 s3, 0, v8
	v_not_b32_e32 v6, v8
	v_not_b32_e32 v8, v9
	v_cmp_gt_i32_e64 s4, 0, v9
	v_xor_b32_e32 v3, vcc_lo, v3
	s_delay_alu instid0(VALU_DEP_4) | instskip(NEXT) | instid1(VALU_DEP_4)
	v_dual_ashrrev_i32 v6, 31, v6 :: v_dual_bitop2_b32 v5, s2, v5 bitop3:0x14
	v_ashrrev_i32_e32 v8, 31, v8
	v_dual_lshlrev_b32 v36, 25, v4 :: v_dual_lshlrev_b32 v4, 24, v4
	v_not_b32_e32 v9, v10
	v_not_b32_e32 v37, v11
	v_xor_b32_e32 v6, s3, v6
	v_xor_b32_e32 v8, s4, v8
	v_bitop3_b32 v3, v3, v5, exec_lo bitop3:0x80
	v_cmp_gt_i32_e32 vcc_lo, 0, v10
	v_ashrrev_i32_e32 v5, 31, v9
	v_cmp_gt_i32_e64 s2, 0, v11
	v_ashrrev_i32_e32 v9, 31, v37
	v_bitop3_b32 v3, v3, v8, v6 bitop3:0x80
	v_not_b32_e32 v6, v36
	v_not_b32_e32 v8, v4
	v_xor_b32_e32 v5, vcc_lo, v5
	v_xor_b32_e32 v9, s2, v9
	v_cmp_gt_i32_e32 vcc_lo, 0, v36
	v_ashrrev_i32_e32 v6, 31, v6
	v_cmp_gt_i32_e64 s2, 0, v4
	v_ashrrev_i32_e32 v4, 31, v8
	v_bitop3_b32 v3, v3, v9, v5 bitop3:0x80
	ds_load_b32 v36, v41 offset:64
	v_xor_b32_e32 v5, vcc_lo, v6
	v_xor_b32_e32 v4, s2, v4
	; wave barrier
	s_delay_alu instid0(VALU_DEP_1) | instskip(NEXT) | instid1(VALU_DEP_1)
	v_bitop3_b32 v3, v3, v4, v5 bitop3:0x80
	v_mbcnt_lo_u32_b32 v37, v3, 0
	v_cmp_ne_u32_e64 s2, 0, v3
	s_delay_alu instid0(VALU_DEP_2) | instskip(SKIP_1) | instid1(SALU_CYCLE_1)
	v_cmp_eq_u32_e32 vcc_lo, 0, v37
	s_and_b32 s3, s2, vcc_lo
	s_and_saveexec_b32 s2, s3
	s_cbranch_execz .LBB978_35
; %bb.34:
	s_wait_dscnt 0x0
	v_bcnt_u32_b32 v3, v3, v36
	ds_store_b32 v41, v3 offset:64
.LBB978_35:
	s_or_b32 exec_lo, exec_lo, s2
	v_lshrrev_b32_e32 v3, s20, v21
	; wave barrier
	s_delay_alu instid0(VALU_DEP_1) | instskip(NEXT) | instid1(VALU_DEP_1)
	v_and_b32_e32 v4, s6, v3
	v_lshlrev_b32_e32 v6, 30, v4
	v_bitop3_b32 v3, v3, 1, s6 bitop3:0x80
	s_delay_alu instid0(VALU_DEP_1) | instskip(NEXT) | instid1(VALU_DEP_1)
	v_add_co_u32 v3, s2, v3, -1
	v_cndmask_b32_e64 v5, 0, 1, s2
	s_delay_alu instid0(VALU_DEP_4) | instskip(NEXT) | instid1(VALU_DEP_2)
	v_cmp_gt_i32_e64 s2, 0, v6
	v_cmp_ne_u32_e32 vcc_lo, 0, v5
	v_not_b32_e32 v5, v6
	s_delay_alu instid0(VALU_DEP_1) | instskip(SKIP_3) | instid1(VALU_DEP_4)
	v_dual_ashrrev_i32 v5, 31, v5 :: v_dual_lshlrev_b32 v8, 29, v4
	v_dual_lshlrev_b32 v9, 28, v4 :: v_dual_lshlrev_b32 v10, 27, v4
	v_lshlrev_b32_e32 v11, 26, v4
	v_mad_u32 v44, 0x44, v4, v2
	v_cmp_gt_i32_e64 s3, 0, v8
	v_not_b32_e32 v6, v8
	v_not_b32_e32 v8, v9
	v_cmp_gt_i32_e64 s4, 0, v9
	v_xor_b32_e32 v3, vcc_lo, v3
	s_delay_alu instid0(VALU_DEP_4) | instskip(NEXT) | instid1(VALU_DEP_4)
	v_dual_ashrrev_i32 v6, 31, v6 :: v_dual_bitop2_b32 v5, s2, v5 bitop3:0x14
	v_ashrrev_i32_e32 v8, 31, v8
	v_dual_lshlrev_b32 v39, 25, v4 :: v_dual_lshlrev_b32 v4, 24, v4
	v_not_b32_e32 v9, v10
	v_not_b32_e32 v40, v11
	v_xor_b32_e32 v6, s3, v6
	v_xor_b32_e32 v8, s4, v8
	v_bitop3_b32 v3, v3, v5, exec_lo bitop3:0x80
	v_cmp_gt_i32_e32 vcc_lo, 0, v10
	v_ashrrev_i32_e32 v5, 31, v9
	v_cmp_gt_i32_e64 s2, 0, v11
	v_ashrrev_i32_e32 v9, 31, v40
	v_bitop3_b32 v3, v3, v8, v6 bitop3:0x80
	v_not_b32_e32 v6, v39
	v_not_b32_e32 v8, v4
	v_xor_b32_e32 v5, vcc_lo, v5
	v_xor_b32_e32 v9, s2, v9
	v_cmp_gt_i32_e32 vcc_lo, 0, v39
	v_ashrrev_i32_e32 v6, 31, v6
	v_cmp_gt_i32_e64 s2, 0, v4
	v_ashrrev_i32_e32 v4, 31, v8
	v_bitop3_b32 v3, v3, v9, v5 bitop3:0x80
	ds_load_b32 v39, v44 offset:64
	v_xor_b32_e32 v5, vcc_lo, v6
	v_xor_b32_e32 v4, s2, v4
	; wave barrier
	s_delay_alu instid0(VALU_DEP_1) | instskip(NEXT) | instid1(VALU_DEP_1)
	v_bitop3_b32 v3, v3, v4, v5 bitop3:0x80
	v_mbcnt_lo_u32_b32 v40, v3, 0
	v_cmp_ne_u32_e64 s2, 0, v3
	s_delay_alu instid0(VALU_DEP_2) | instskip(SKIP_1) | instid1(SALU_CYCLE_1)
	v_cmp_eq_u32_e32 vcc_lo, 0, v40
	s_and_b32 s3, s2, vcc_lo
	s_and_saveexec_b32 s2, s3
	s_cbranch_execz .LBB978_37
; %bb.36:
	s_wait_dscnt 0x0
	v_bcnt_u32_b32 v3, v3, v39
	ds_store_b32 v44, v3 offset:64
.LBB978_37:
	s_or_b32 exec_lo, exec_lo, s2
	v_lshrrev_b32_e32 v3, s20, v24
	; wave barrier
	s_delay_alu instid0(VALU_DEP_1) | instskip(SKIP_1) | instid1(VALU_DEP_2)
	v_and_b32_e32 v4, s6, v3
	v_bitop3_b32 v3, v3, 1, s6 bitop3:0x80
	v_dual_lshlrev_b32 v6, 30, v4 :: v_dual_lshlrev_b32 v8, 29, v4
	s_delay_alu instid0(VALU_DEP_2) | instskip(NEXT) | instid1(VALU_DEP_1)
	v_add_co_u32 v3, s2, v3, -1
	v_cndmask_b32_e64 v5, 0, 1, s2
	s_delay_alu instid0(VALU_DEP_3) | instskip(NEXT) | instid1(VALU_DEP_4)
	v_cmp_gt_i32_e64 s2, 0, v6
	v_cmp_gt_i32_e64 s3, 0, v8
	s_delay_alu instid0(VALU_DEP_3) | instskip(SKIP_2) | instid1(VALU_DEP_2)
	v_cmp_ne_u32_e32 vcc_lo, 0, v5
	v_not_b32_e32 v5, v6
	v_not_b32_e32 v6, v8
	v_dual_ashrrev_i32 v5, 31, v5 :: v_dual_bitop2_b32 v3, vcc_lo, v3 bitop3:0x14
	s_delay_alu instid0(VALU_DEP_2) | instskip(SKIP_3) | instid1(VALU_DEP_4)
	v_dual_ashrrev_i32 v6, 31, v6 :: v_dual_lshlrev_b32 v9, 28, v4
	v_lshlrev_b32_e32 v10, 27, v4
	v_mad_u32 v47, 0x44, v4, v2
	v_dual_lshlrev_b32 v11, 26, v4 :: v_dual_lshlrev_b32 v42, 25, v4
	v_not_b32_e32 v8, v9
	v_lshlrev_b32_e32 v4, 24, v4
	v_cmp_gt_i32_e64 s4, 0, v9
	v_xor_b32_e32 v5, s2, v5
	v_not_b32_e32 v9, v10
	v_ashrrev_i32_e32 v8, 31, v8
	v_not_b32_e32 v43, v11
	v_xor_b32_e32 v6, s3, v6
	v_bitop3_b32 v3, v3, v5, exec_lo bitop3:0x80
	v_cmp_gt_i32_e32 vcc_lo, 0, v10
	v_dual_ashrrev_i32 v5, 31, v9 :: v_dual_bitop2_b32 v8, s4, v8 bitop3:0x14
	v_cmp_gt_i32_e64 s2, 0, v11
	v_ashrrev_i32_e32 v9, 31, v43
	s_delay_alu instid0(VALU_DEP_3)
	v_bitop3_b32 v3, v3, v8, v6 bitop3:0x80
	v_not_b32_e32 v6, v42
	v_not_b32_e32 v8, v4
	v_xor_b32_e32 v5, vcc_lo, v5
	v_xor_b32_e32 v9, s2, v9
	v_cmp_gt_i32_e32 vcc_lo, 0, v42
	v_ashrrev_i32_e32 v6, 31, v6
	v_cmp_gt_i32_e64 s2, 0, v4
	v_ashrrev_i32_e32 v4, 31, v8
	v_bitop3_b32 v3, v3, v9, v5 bitop3:0x80
	ds_load_b32 v42, v47 offset:64
	v_xor_b32_e32 v5, vcc_lo, v6
	v_xor_b32_e32 v4, s2, v4
	; wave barrier
	s_delay_alu instid0(VALU_DEP_1) | instskip(NEXT) | instid1(VALU_DEP_1)
	v_bitop3_b32 v3, v3, v4, v5 bitop3:0x80
	v_mbcnt_lo_u32_b32 v43, v3, 0
	v_cmp_ne_u32_e64 s2, 0, v3
	s_delay_alu instid0(VALU_DEP_2) | instskip(SKIP_1) | instid1(SALU_CYCLE_1)
	v_cmp_eq_u32_e32 vcc_lo, 0, v43
	s_and_b32 s3, s2, vcc_lo
	s_and_saveexec_b32 s2, s3
	s_cbranch_execz .LBB978_39
; %bb.38:
	s_wait_dscnt 0x0
	v_bcnt_u32_b32 v3, v3, v42
	ds_store_b32 v47, v3 offset:64
.LBB978_39:
	s_or_b32 exec_lo, exec_lo, s2
	v_lshrrev_b32_e32 v3, s20, v23
	; wave barrier
	s_delay_alu instid0(VALU_DEP_1) | instskip(NEXT) | instid1(VALU_DEP_1)
	v_and_b32_e32 v4, s6, v3
	v_lshlrev_b32_e32 v6, 30, v4
	v_bitop3_b32 v3, v3, 1, s6 bitop3:0x80
	s_delay_alu instid0(VALU_DEP_1) | instskip(NEXT) | instid1(VALU_DEP_1)
	v_add_co_u32 v3, s2, v3, -1
	v_cndmask_b32_e64 v5, 0, 1, s2
	s_delay_alu instid0(VALU_DEP_4) | instskip(NEXT) | instid1(VALU_DEP_2)
	v_cmp_gt_i32_e64 s2, 0, v6
	v_cmp_ne_u32_e32 vcc_lo, 0, v5
	v_not_b32_e32 v5, v6
	s_delay_alu instid0(VALU_DEP_1) | instskip(SKIP_3) | instid1(VALU_DEP_4)
	v_dual_ashrrev_i32 v5, 31, v5 :: v_dual_lshlrev_b32 v8, 29, v4
	v_dual_lshlrev_b32 v9, 28, v4 :: v_dual_lshlrev_b32 v10, 27, v4
	v_lshlrev_b32_e32 v11, 26, v4
	v_mad_u32 v50, 0x44, v4, v2
	v_cmp_gt_i32_e64 s3, 0, v8
	v_not_b32_e32 v6, v8
	v_not_b32_e32 v8, v9
	v_cmp_gt_i32_e64 s4, 0, v9
	v_xor_b32_e32 v3, vcc_lo, v3
	s_delay_alu instid0(VALU_DEP_4) | instskip(NEXT) | instid1(VALU_DEP_4)
	v_dual_ashrrev_i32 v6, 31, v6 :: v_dual_bitop2_b32 v5, s2, v5 bitop3:0x14
	v_ashrrev_i32_e32 v8, 31, v8
	v_dual_lshlrev_b32 v45, 25, v4 :: v_dual_lshlrev_b32 v4, 24, v4
	v_not_b32_e32 v9, v10
	v_not_b32_e32 v46, v11
	v_xor_b32_e32 v6, s3, v6
	v_xor_b32_e32 v8, s4, v8
	v_bitop3_b32 v3, v3, v5, exec_lo bitop3:0x80
	v_cmp_gt_i32_e32 vcc_lo, 0, v10
	v_ashrrev_i32_e32 v5, 31, v9
	v_cmp_gt_i32_e64 s2, 0, v11
	v_ashrrev_i32_e32 v9, 31, v46
	v_bitop3_b32 v3, v3, v8, v6 bitop3:0x80
	v_not_b32_e32 v6, v45
	v_not_b32_e32 v8, v4
	v_xor_b32_e32 v5, vcc_lo, v5
	v_xor_b32_e32 v9, s2, v9
	v_cmp_gt_i32_e32 vcc_lo, 0, v45
	v_ashrrev_i32_e32 v6, 31, v6
	v_cmp_gt_i32_e64 s2, 0, v4
	v_ashrrev_i32_e32 v4, 31, v8
	v_bitop3_b32 v3, v3, v9, v5 bitop3:0x80
	ds_load_b32 v45, v50 offset:64
	v_xor_b32_e32 v5, vcc_lo, v6
	v_xor_b32_e32 v4, s2, v4
	; wave barrier
	s_delay_alu instid0(VALU_DEP_1) | instskip(NEXT) | instid1(VALU_DEP_1)
	v_bitop3_b32 v3, v3, v4, v5 bitop3:0x80
	v_mbcnt_lo_u32_b32 v46, v3, 0
	v_cmp_ne_u32_e64 s2, 0, v3
	s_delay_alu instid0(VALU_DEP_2) | instskip(SKIP_1) | instid1(SALU_CYCLE_1)
	v_cmp_eq_u32_e32 vcc_lo, 0, v46
	s_and_b32 s3, s2, vcc_lo
	s_and_saveexec_b32 s2, s3
	s_cbranch_execz .LBB978_41
; %bb.40:
	s_wait_dscnt 0x0
	v_bcnt_u32_b32 v3, v3, v45
	ds_store_b32 v50, v3 offset:64
.LBB978_41:
	s_or_b32 exec_lo, exec_lo, s2
	v_lshrrev_b32_e32 v3, s20, v26
	; wave barrier
	s_delay_alu instid0(VALU_DEP_1) | instskip(NEXT) | instid1(VALU_DEP_1)
	v_and_b32_e32 v4, s6, v3
	v_lshlrev_b32_e32 v6, 30, v4
	v_bitop3_b32 v3, v3, 1, s6 bitop3:0x80
	s_delay_alu instid0(VALU_DEP_1) | instskip(NEXT) | instid1(VALU_DEP_1)
	v_add_co_u32 v3, s2, v3, -1
	v_cndmask_b32_e64 v5, 0, 1, s2
	s_delay_alu instid0(VALU_DEP_4) | instskip(NEXT) | instid1(VALU_DEP_2)
	v_cmp_gt_i32_e64 s2, 0, v6
	v_cmp_ne_u32_e32 vcc_lo, 0, v5
	v_not_b32_e32 v5, v6
	s_delay_alu instid0(VALU_DEP_1) | instskip(SKIP_3) | instid1(VALU_DEP_4)
	v_dual_ashrrev_i32 v5, 31, v5 :: v_dual_lshlrev_b32 v8, 29, v4
	v_dual_lshlrev_b32 v9, 28, v4 :: v_dual_lshlrev_b32 v10, 27, v4
	v_lshlrev_b32_e32 v11, 26, v4
	v_mad_u32 v52, 0x44, v4, v2
	v_cmp_gt_i32_e64 s3, 0, v8
	v_not_b32_e32 v6, v8
	v_not_b32_e32 v8, v9
	v_cmp_gt_i32_e64 s4, 0, v9
	v_xor_b32_e32 v3, vcc_lo, v3
	s_delay_alu instid0(VALU_DEP_4) | instskip(NEXT) | instid1(VALU_DEP_4)
	v_dual_ashrrev_i32 v6, 31, v6 :: v_dual_bitop2_b32 v5, s2, v5 bitop3:0x14
	v_ashrrev_i32_e32 v8, 31, v8
	v_dual_lshlrev_b32 v48, 25, v4 :: v_dual_lshlrev_b32 v4, 24, v4
	v_not_b32_e32 v9, v10
	v_not_b32_e32 v49, v11
	v_xor_b32_e32 v6, s3, v6
	v_xor_b32_e32 v8, s4, v8
	v_bitop3_b32 v3, v3, v5, exec_lo bitop3:0x80
	v_cmp_gt_i32_e32 vcc_lo, 0, v10
	v_ashrrev_i32_e32 v5, 31, v9
	v_cmp_gt_i32_e64 s2, 0, v11
	v_ashrrev_i32_e32 v9, 31, v49
	v_bitop3_b32 v3, v3, v8, v6 bitop3:0x80
	v_not_b32_e32 v6, v48
	v_not_b32_e32 v8, v4
	v_xor_b32_e32 v5, vcc_lo, v5
	v_xor_b32_e32 v9, s2, v9
	v_cmp_gt_i32_e32 vcc_lo, 0, v48
	v_ashrrev_i32_e32 v6, 31, v6
	v_cmp_gt_i32_e64 s2, 0, v4
	v_ashrrev_i32_e32 v4, 31, v8
	v_bitop3_b32 v3, v3, v9, v5 bitop3:0x80
	ds_load_b32 v48, v52 offset:64
	v_xor_b32_e32 v5, vcc_lo, v6
	v_xor_b32_e32 v4, s2, v4
	; wave barrier
	s_delay_alu instid0(VALU_DEP_1) | instskip(NEXT) | instid1(VALU_DEP_1)
	v_bitop3_b32 v3, v3, v4, v5 bitop3:0x80
	v_mbcnt_lo_u32_b32 v49, v3, 0
	v_cmp_ne_u32_e64 s2, 0, v3
	s_delay_alu instid0(VALU_DEP_2) | instskip(SKIP_1) | instid1(SALU_CYCLE_1)
	v_cmp_eq_u32_e32 vcc_lo, 0, v49
	s_and_b32 s3, s2, vcc_lo
	s_and_saveexec_b32 s2, s3
	s_cbranch_execz .LBB978_43
; %bb.42:
	s_wait_dscnt 0x0
	v_bcnt_u32_b32 v3, v3, v48
	ds_store_b32 v52, v3 offset:64
.LBB978_43:
	s_or_b32 exec_lo, exec_lo, s2
	v_lshrrev_b32_e32 v3, s20, v25
	; wave barrier
	s_delay_alu instid0(VALU_DEP_1) | instskip(NEXT) | instid1(VALU_DEP_1)
	v_and_b32_e32 v4, s6, v3
	v_lshlrev_b32_e32 v6, 30, v4
	v_bitop3_b32 v3, v3, 1, s6 bitop3:0x80
	s_delay_alu instid0(VALU_DEP_1) | instskip(NEXT) | instid1(VALU_DEP_1)
	v_add_co_u32 v3, s2, v3, -1
	v_cndmask_b32_e64 v5, 0, 1, s2
	s_delay_alu instid0(VALU_DEP_4) | instskip(NEXT) | instid1(VALU_DEP_2)
	v_cmp_gt_i32_e64 s2, 0, v6
	v_cmp_ne_u32_e32 vcc_lo, 0, v5
	v_not_b32_e32 v5, v6
	s_delay_alu instid0(VALU_DEP_1) | instskip(SKIP_3) | instid1(VALU_DEP_4)
	v_dual_ashrrev_i32 v5, 31, v5 :: v_dual_lshlrev_b32 v8, 29, v4
	v_dual_lshlrev_b32 v9, 28, v4 :: v_dual_lshlrev_b32 v10, 27, v4
	v_lshlrev_b32_e32 v11, 26, v4
	v_mad_u32 v55, 0x44, v4, v2
	v_cmp_gt_i32_e64 s3, 0, v8
	v_not_b32_e32 v6, v8
	v_not_b32_e32 v8, v9
	v_cmp_gt_i32_e64 s4, 0, v9
	v_xor_b32_e32 v3, vcc_lo, v3
	s_delay_alu instid0(VALU_DEP_4) | instskip(NEXT) | instid1(VALU_DEP_4)
	v_dual_ashrrev_i32 v6, 31, v6 :: v_dual_bitop2_b32 v5, s2, v5 bitop3:0x14
	v_ashrrev_i32_e32 v8, 31, v8
	v_dual_lshlrev_b32 v51, 25, v4 :: v_dual_lshlrev_b32 v4, 24, v4
	v_not_b32_e32 v9, v10
	v_not_b32_e32 v53, v11
	v_xor_b32_e32 v6, s3, v6
	v_xor_b32_e32 v8, s4, v8
	v_bitop3_b32 v3, v3, v5, exec_lo bitop3:0x80
	v_cmp_gt_i32_e32 vcc_lo, 0, v10
	v_ashrrev_i32_e32 v5, 31, v9
	v_cmp_gt_i32_e64 s2, 0, v11
	v_ashrrev_i32_e32 v9, 31, v53
	v_bitop3_b32 v3, v3, v8, v6 bitop3:0x80
	v_not_b32_e32 v6, v51
	v_not_b32_e32 v8, v4
	v_xor_b32_e32 v5, vcc_lo, v5
	v_xor_b32_e32 v9, s2, v9
	v_cmp_gt_i32_e32 vcc_lo, 0, v51
	v_ashrrev_i32_e32 v6, 31, v6
	v_cmp_gt_i32_e64 s2, 0, v4
	v_ashrrev_i32_e32 v4, 31, v8
	v_bitop3_b32 v3, v3, v9, v5 bitop3:0x80
	ds_load_b32 v51, v55 offset:64
	v_xor_b32_e32 v5, vcc_lo, v6
	v_xor_b32_e32 v4, s2, v4
	; wave barrier
	s_delay_alu instid0(VALU_DEP_1) | instskip(NEXT) | instid1(VALU_DEP_1)
	v_bitop3_b32 v3, v3, v4, v5 bitop3:0x80
	v_mbcnt_lo_u32_b32 v53, v3, 0
	v_cmp_ne_u32_e64 s2, 0, v3
	s_delay_alu instid0(VALU_DEP_2) | instskip(SKIP_1) | instid1(SALU_CYCLE_1)
	v_cmp_eq_u32_e32 vcc_lo, 0, v53
	s_and_b32 s3, s2, vcc_lo
	s_and_saveexec_b32 s2, s3
	s_cbranch_execz .LBB978_45
; %bb.44:
	s_wait_dscnt 0x0
	v_bcnt_u32_b32 v3, v3, v51
	ds_store_b32 v55, v3 offset:64
.LBB978_45:
	s_or_b32 exec_lo, exec_lo, s2
	v_lshrrev_b32_e32 v3, s20, v29
	; wave barrier
	s_delay_alu instid0(VALU_DEP_1) | instskip(NEXT) | instid1(VALU_DEP_1)
	v_and_b32_e32 v4, s6, v3
	v_lshlrev_b32_e32 v6, 30, v4
	v_bitop3_b32 v3, v3, 1, s6 bitop3:0x80
	s_delay_alu instid0(VALU_DEP_1) | instskip(NEXT) | instid1(VALU_DEP_1)
	v_add_co_u32 v3, s2, v3, -1
	v_cndmask_b32_e64 v5, 0, 1, s2
	s_delay_alu instid0(VALU_DEP_4) | instskip(NEXT) | instid1(VALU_DEP_2)
	v_cmp_gt_i32_e64 s2, 0, v6
	v_cmp_ne_u32_e32 vcc_lo, 0, v5
	v_not_b32_e32 v5, v6
	s_delay_alu instid0(VALU_DEP_1) | instskip(SKIP_3) | instid1(VALU_DEP_4)
	v_dual_ashrrev_i32 v5, 31, v5 :: v_dual_lshlrev_b32 v8, 29, v4
	v_dual_lshlrev_b32 v9, 28, v4 :: v_dual_lshlrev_b32 v10, 27, v4
	v_lshlrev_b32_e32 v11, 26, v4
	v_mad_u32 v57, 0x44, v4, v2
	v_cmp_gt_i32_e64 s3, 0, v8
	v_not_b32_e32 v6, v8
	v_not_b32_e32 v8, v9
	v_cmp_gt_i32_e64 s4, 0, v9
	v_xor_b32_e32 v3, vcc_lo, v3
	s_delay_alu instid0(VALU_DEP_4) | instskip(NEXT) | instid1(VALU_DEP_4)
	v_dual_ashrrev_i32 v6, 31, v6 :: v_dual_bitop2_b32 v5, s2, v5 bitop3:0x14
	v_ashrrev_i32_e32 v8, 31, v8
	v_dual_lshlrev_b32 v54, 25, v4 :: v_dual_lshlrev_b32 v4, 24, v4
	v_not_b32_e32 v9, v10
	v_not_b32_e32 v56, v11
	v_xor_b32_e32 v6, s3, v6
	v_xor_b32_e32 v8, s4, v8
	v_bitop3_b32 v3, v3, v5, exec_lo bitop3:0x80
	v_cmp_gt_i32_e32 vcc_lo, 0, v10
	v_ashrrev_i32_e32 v5, 31, v9
	v_cmp_gt_i32_e64 s2, 0, v11
	v_ashrrev_i32_e32 v9, 31, v56
	v_bitop3_b32 v3, v3, v8, v6 bitop3:0x80
	v_not_b32_e32 v6, v54
	v_not_b32_e32 v8, v4
	v_xor_b32_e32 v5, vcc_lo, v5
	v_xor_b32_e32 v9, s2, v9
	v_cmp_gt_i32_e32 vcc_lo, 0, v54
	v_ashrrev_i32_e32 v6, 31, v6
	v_cmp_gt_i32_e64 s2, 0, v4
	v_ashrrev_i32_e32 v4, 31, v8
	v_bitop3_b32 v3, v3, v9, v5 bitop3:0x80
	ds_load_b32 v54, v57 offset:64
	v_xor_b32_e32 v5, vcc_lo, v6
	v_xor_b32_e32 v4, s2, v4
	; wave barrier
	s_delay_alu instid0(VALU_DEP_1) | instskip(NEXT) | instid1(VALU_DEP_1)
	v_bitop3_b32 v3, v3, v4, v5 bitop3:0x80
	v_mbcnt_lo_u32_b32 v56, v3, 0
	v_cmp_ne_u32_e64 s2, 0, v3
	s_delay_alu instid0(VALU_DEP_2) | instskip(SKIP_1) | instid1(SALU_CYCLE_1)
	v_cmp_eq_u32_e32 vcc_lo, 0, v56
	s_and_b32 s3, s2, vcc_lo
	s_and_saveexec_b32 s2, s3
	s_cbranch_execz .LBB978_47
; %bb.46:
	s_wait_dscnt 0x0
	v_bcnt_u32_b32 v3, v3, v54
	ds_store_b32 v57, v3 offset:64
.LBB978_47:
	s_or_b32 exec_lo, exec_lo, s2
	v_lshrrev_b32_e32 v3, s20, v28
	; wave barrier
	s_delay_alu instid0(VALU_DEP_1) | instskip(SKIP_1) | instid1(VALU_DEP_2)
	v_and_b32_e32 v4, s6, v3
	v_bitop3_b32 v3, v3, 1, s6 bitop3:0x80
	v_mad_u32 v60, 0x44, v4, v2
	s_delay_alu instid0(VALU_DEP_2) | instskip(NEXT) | instid1(VALU_DEP_1)
	v_add_co_u32 v2, s2, v3, -1
	v_cndmask_b32_e64 v3, 0, 1, s2
	v_lshlrev_b32_e32 v5, 30, v4
	s_delay_alu instid0(VALU_DEP_2) | instskip(NEXT) | instid1(VALU_DEP_2)
	v_cmp_ne_u32_e32 vcc_lo, 0, v3
	v_not_b32_e32 v3, v5
	s_delay_alu instid0(VALU_DEP_1) | instskip(SKIP_4) | instid1(VALU_DEP_4)
	v_dual_ashrrev_i32 v3, 31, v3 :: v_dual_bitop2_b32 v2, vcc_lo, v2 bitop3:0x14
	v_dual_lshlrev_b32 v6, 29, v4 :: v_dual_lshlrev_b32 v8, 28, v4
	v_lshlrev_b32_e32 v9, 27, v4
	v_cmp_gt_i32_e64 s2, 0, v5
	v_dual_lshlrev_b32 v10, 26, v4 :: v_dual_lshlrev_b32 v11, 25, v4
	v_cmp_gt_i32_e64 s3, 0, v6
	v_not_b32_e32 v5, v6
	v_not_b32_e32 v6, v8
	v_lshlrev_b32_e32 v4, 24, v4
	v_cmp_gt_i32_e64 s4, 0, v8
	s_delay_alu instid0(VALU_DEP_4) | instskip(NEXT) | instid1(VALU_DEP_4)
	v_dual_ashrrev_i32 v5, 31, v5 :: v_dual_bitop2_b32 v3, s2, v3 bitop3:0x14
	v_ashrrev_i32_e32 v6, 31, v6
	v_not_b32_e32 v8, v9
	v_not_b32_e32 v58, v10
	s_delay_alu instid0(VALU_DEP_4)
	v_bitop3_b32 v2, v2, v3, exec_lo bitop3:0x80
	v_xor_b32_e32 v5, s3, v5
	v_xor_b32_e32 v6, s4, v6
	v_cmp_gt_i32_e32 vcc_lo, 0, v9
	v_ashrrev_i32_e32 v3, 31, v8
	v_cmp_gt_i32_e64 s2, 0, v10
	v_ashrrev_i32_e32 v8, 31, v58
	v_bitop3_b32 v2, v2, v6, v5 bitop3:0x80
	v_not_b32_e32 v5, v11
	v_not_b32_e32 v6, v4
	v_xor_b32_e32 v3, vcc_lo, v3
	v_xor_b32_e32 v8, s2, v8
	v_cmp_gt_i32_e32 vcc_lo, 0, v11
	v_ashrrev_i32_e32 v5, 31, v5
	v_cmp_gt_i32_e64 s2, 0, v4
	v_ashrrev_i32_e32 v4, 31, v6
	v_bitop3_b32 v2, v2, v8, v3 bitop3:0x80
	ds_load_b32 v58, v60 offset:64
	v_xor_b32_e32 v3, vcc_lo, v5
	v_xor_b32_e32 v4, s2, v4
	; wave barrier
	s_delay_alu instid0(VALU_DEP_1) | instskip(NEXT) | instid1(VALU_DEP_1)
	v_bitop3_b32 v2, v2, v4, v3 bitop3:0x80
	v_mbcnt_lo_u32_b32 v59, v2, 0
	v_cmp_ne_u32_e64 s2, 0, v2
	s_delay_alu instid0(VALU_DEP_2) | instskip(SKIP_1) | instid1(SALU_CYCLE_1)
	v_cmp_eq_u32_e32 vcc_lo, 0, v59
	s_and_b32 s3, s2, vcc_lo
	s_and_saveexec_b32 s2, s3
	s_cbranch_execz .LBB978_49
; %bb.48:
	s_wait_dscnt 0x0
	v_bcnt_u32_b32 v2, v2, v58
	ds_store_b32 v60, v2 offset:64
.LBB978_49:
	s_or_b32 exec_lo, exec_lo, s2
	; wave barrier
	s_wait_dscnt 0x0
	s_barrier_signal -1
	s_barrier_wait -1
	ds_load_2addr_b32 v[10:11], v12 offset0:16 offset1:17
	ds_load_2addr_b32 v[8:9], v12 offset0:18 offset1:19
	;; [unrolled: 1-line block ×4, first 2 shown]
	ds_load_b32 v6, v12 offset:96
	v_min_u32_e32 v63, 0x1e0, v17
	s_mov_b32 s7, exec_lo
	s_wait_dscnt 0x3
	v_add3_u32 v61, v11, v10, v8
	s_wait_dscnt 0x2
	s_delay_alu instid0(VALU_DEP_1) | instskip(SKIP_1) | instid1(VALU_DEP_1)
	v_add3_u32 v61, v61, v9, v4
	s_wait_dscnt 0x1
	v_add3_u32 v61, v61, v5, v2
	s_wait_dscnt 0x0
	s_delay_alu instid0(VALU_DEP_1) | instskip(SKIP_1) | instid1(VALU_DEP_2)
	v_add3_u32 v6, v61, v3, v6
	v_and_b32_e32 v61, 15, v16
	v_mov_b32_dpp v62, v6 row_shr:1 row_mask:0xf bank_mask:0xf
	s_delay_alu instid0(VALU_DEP_2) | instskip(NEXT) | instid1(VALU_DEP_2)
	v_cmp_eq_u32_e32 vcc_lo, 0, v61
	v_cndmask_b32_e64 v62, v62, 0, vcc_lo
	s_delay_alu instid0(VALU_DEP_1) | instskip(SKIP_3) | instid1(VALU_DEP_4)
	v_add_nc_u32_e32 v6, v62, v6
	v_cmp_lt_u32_e64 s2, 1, v61
	v_cmp_lt_u32_e64 s3, 3, v61
	;; [unrolled: 1-line block ×3, first 2 shown]
	v_mov_b32_dpp v62, v6 row_shr:2 row_mask:0xf bank_mask:0xf
	s_delay_alu instid0(VALU_DEP_1) | instskip(NEXT) | instid1(VALU_DEP_1)
	v_cndmask_b32_e64 v62, 0, v62, s2
	v_add_nc_u32_e32 v6, v6, v62
	s_delay_alu instid0(VALU_DEP_1) | instskip(NEXT) | instid1(VALU_DEP_1)
	v_mov_b32_dpp v62, v6 row_shr:4 row_mask:0xf bank_mask:0xf
	v_cndmask_b32_e64 v62, 0, v62, s3
	s_delay_alu instid0(VALU_DEP_1) | instskip(NEXT) | instid1(VALU_DEP_1)
	v_add_nc_u32_e32 v6, v6, v62
	v_mov_b32_dpp v62, v6 row_shr:8 row_mask:0xf bank_mask:0xf
	s_delay_alu instid0(VALU_DEP_1) | instskip(SKIP_1) | instid1(VALU_DEP_2)
	v_cndmask_b32_e64 v61, 0, v62, s4
	v_bfe_i32 v62, v16, 4, 1
	v_add_nc_u32_e32 v6, v6, v61
	ds_swizzle_b32 v61, v6 offset:swizzle(BROADCAST,32,15)
	s_wait_dscnt 0x0
	v_dual_lshrrev_b32 v62, 5, v27 :: v_dual_bitop2_b32 v61, v62, v61 bitop3:0x40
	s_delay_alu instid0(VALU_DEP_1) | instskip(NEXT) | instid1(VALU_DEP_1)
	v_dual_add_nc_u32 v61, v6, v61 :: v_dual_bitop2_b32 v63, 31, v63 bitop3:0x54
	v_cmpx_eq_u32_e64 v27, v63
; %bb.50:
	s_delay_alu instid0(VALU_DEP_3)
	v_lshlrev_b32_e32 v6, 2, v62
	ds_store_b32 v6, v61
; %bb.51:
	s_or_b32 exec_lo, exec_lo, s7
	v_lshlrev_b32_e32 v6, 2, v27
	s_mov_b32 s7, exec_lo
	s_wait_dscnt 0x0
	s_barrier_signal -1
	s_barrier_wait -1
	v_cmpx_gt_u32_e32 16, v27
	s_cbranch_execz .LBB978_53
; %bb.52:
	ds_load_b32 v63, v6
	s_wait_dscnt 0x0
	v_mov_b32_dpp v64, v63 row_shr:1 row_mask:0xf bank_mask:0xf
	s_delay_alu instid0(VALU_DEP_1) | instskip(NEXT) | instid1(VALU_DEP_1)
	v_cndmask_b32_e64 v64, v64, 0, vcc_lo
	v_add_nc_u32_e32 v63, v64, v63
	s_delay_alu instid0(VALU_DEP_1) | instskip(NEXT) | instid1(VALU_DEP_1)
	v_mov_b32_dpp v64, v63 row_shr:2 row_mask:0xf bank_mask:0xf
	v_cndmask_b32_e64 v64, 0, v64, s2
	s_delay_alu instid0(VALU_DEP_1) | instskip(NEXT) | instid1(VALU_DEP_1)
	v_add_nc_u32_e32 v63, v63, v64
	v_mov_b32_dpp v64, v63 row_shr:4 row_mask:0xf bank_mask:0xf
	s_delay_alu instid0(VALU_DEP_1) | instskip(NEXT) | instid1(VALU_DEP_1)
	v_cndmask_b32_e64 v64, 0, v64, s3
	v_add_nc_u32_e32 v63, v63, v64
	s_delay_alu instid0(VALU_DEP_1) | instskip(NEXT) | instid1(VALU_DEP_1)
	v_mov_b32_dpp v64, v63 row_shr:8 row_mask:0xf bank_mask:0xf
	v_cndmask_b32_e64 v64, 0, v64, s4
	s_delay_alu instid0(VALU_DEP_1)
	v_add_nc_u32_e32 v63, v63, v64
	ds_store_b32 v6, v63
.LBB978_53:
	s_or_b32 exec_lo, exec_lo, s7
	v_mov_b32_e32 v63, 0
	s_mov_b32 s2, exec_lo
	s_wait_dscnt 0x0
	s_barrier_signal -1
	s_barrier_wait -1
	v_cmpx_lt_u32_e32 31, v27
; %bb.54:
	v_lshl_add_u32 v62, v62, 2, -4
	ds_load_b32 v63, v62
; %bb.55:
	s_or_b32 exec_lo, exec_lo, s2
	v_sub_co_u32 v62, vcc_lo, v16, 1
	s_wait_dscnt 0x0
	v_add_nc_u32_e32 v61, v63, v61
	s_delay_alu instid0(VALU_DEP_2) | instskip(NEXT) | instid1(VALU_DEP_1)
	v_cmp_gt_i32_e64 s2, 0, v62
	v_cndmask_b32_e64 v62, v62, v16, s2
	v_cmp_lt_u32_e64 s2, 0xff, v27
	s_delay_alu instid0(VALU_DEP_2) | instskip(SKIP_4) | instid1(VALU_DEP_2)
	v_lshlrev_b32_e32 v62, 2, v62
	ds_bpermute_b32 v61, v62, v61
	s_wait_dscnt 0x0
	v_cndmask_b32_e32 v61, v61, v63, vcc_lo
	v_cmp_ne_u32_e32 vcc_lo, 0, v27
	v_cndmask_b32_e32 v61, 0, v61, vcc_lo
	v_cmp_gt_u32_e32 vcc_lo, 0x100, v27
	s_delay_alu instid0(VALU_DEP_2) | instskip(NEXT) | instid1(VALU_DEP_1)
	v_add_nc_u32_e32 v10, v61, v10
	v_add_nc_u32_e32 v11, v10, v11
	s_delay_alu instid0(VALU_DEP_1) | instskip(NEXT) | instid1(VALU_DEP_1)
	v_add_nc_u32_e32 v8, v11, v8
	v_add_nc_u32_e32 v9, v8, v9
	s_delay_alu instid0(VALU_DEP_1) | instskip(NEXT) | instid1(VALU_DEP_1)
	;; [unrolled: 3-line block ×3, first 2 shown]
	v_add_nc_u32_e32 v2, v5, v2
	v_add_nc_u32_e32 v3, v2, v3
	ds_store_2addr_b32 v12, v61, v10 offset0:16 offset1:17
	ds_store_2addr_b32 v12, v11, v8 offset0:18 offset1:19
	;; [unrolled: 1-line block ×4, first 2 shown]
	ds_store_b32 v12, v3 offset:96
	s_wait_dscnt 0x0
	s_barrier_signal -1
	s_barrier_wait -1
	ds_load_b32 v63, v13 offset:64
	ds_load_b32 v61, v14 offset:64
	;; [unrolled: 1-line block ×12, first 2 shown]
	v_mov_b64_e32 v[2:3], 0
                                        ; implicit-def: $vgpr4
	s_and_saveexec_b32 s4, vcc_lo
	s_cbranch_execz .LBB978_59
; %bb.56:
	v_mul_u32_u24_e32 v2, 0x44, v27
	v_dual_mov_b32 v3, 0x1800 :: v_dual_add_nc_u32 v4, 1, v27
	s_mov_b32 s5, exec_lo
	ds_load_b32 v2, v2 offset:64
	v_cmpx_ne_u32_e32 0x100, v4
; %bb.57:
	v_mul_u32_u24_e32 v3, 0x44, v4
	ds_load_b32 v3, v3 offset:64
; %bb.58:
	s_or_b32 exec_lo, exec_lo, s5
	s_wait_dscnt 0x0
	v_dual_mov_b32 v3, 0 :: v_dual_sub_nc_u32 v4, v3, v2
.LBB978_59:
	s_or_b32 exec_lo, exec_lo, s4
	v_dual_mov_b32 v9, 0 :: v_dual_lshlrev_b32 v5, 3, v27
	s_wait_dscnt 0x0
	s_barrier_signal -1
	s_barrier_wait -1
	s_and_saveexec_b32 s3, vcc_lo
	s_cbranch_execz .LBB978_69
; %bb.60:
	v_lshl_add_u32 v8, s9, 8, v27
	v_dual_mov_b32 v12, 0 :: v_dual_bitop2_b32 v13, 2.0, v4 bitop3:0x54
	s_mov_b32 s4, 0
	s_mov_b32 s5, s9
	s_delay_alu instid0(VALU_DEP_2)
	v_lshl_add_u64 v[10:11], v[8:9], 2, s[10:11]
	global_store_b32 v8, v13, s[10:11] scale_offset scope:SCOPE_DEV
                                        ; implicit-def: $sgpr7
	s_branch .LBB978_63
.LBB978_61:                             ;   in Loop: Header=BB978_63 Depth=1
	s_or_b32 exec_lo, exec_lo, s8
.LBB978_62:                             ;   in Loop: Header=BB978_63 Depth=1
	s_delay_alu instid0(SALU_CYCLE_1) | instskip(SKIP_2) | instid1(VALU_DEP_2)
	s_or_b32 exec_lo, exec_lo, s7
	v_and_b32_e32 v8, 0x3fffffff, v13
	v_cmp_gt_i32_e64 s7, -2.0, v13
	v_add_nc_u32_e32 v12, v8, v12
	s_and_b32 s8, exec_lo, s7
	s_delay_alu instid0(SALU_CYCLE_1) | instskip(NEXT) | instid1(SALU_CYCLE_1)
	s_or_b32 s4, s8, s4
	s_and_not1_b32 exec_lo, exec_lo, s4
	s_cbranch_execz .LBB978_68
.LBB978_63:                             ; =>This Loop Header: Depth=1
                                        ;     Child Loop BB978_66 Depth 2
	s_or_b32 s7, s7, exec_lo
	s_cmp_eq_u32 s5, 0
	s_cbranch_scc1 .LBB978_67
; %bb.64:                               ;   in Loop: Header=BB978_63 Depth=1
	s_add_co_i32 s5, s5, -1
	s_mov_b32 s7, exec_lo
	s_wait_xcnt 0x0
	v_lshl_or_b32 v8, s5, 8, v27
	global_load_b32 v13, v8, s[10:11] scale_offset scope:SCOPE_DEV
	s_wait_loadcnt 0x0
	v_cmpx_gt_u32_e32 2.0, v13
	s_cbranch_execz .LBB978_62
; %bb.65:                               ;   in Loop: Header=BB978_63 Depth=1
	v_lshl_add_u64 v[14:15], v[8:9], 2, s[10:11]
	s_mov_b32 s8, 0
.LBB978_66:                             ;   Parent Loop BB978_63 Depth=1
                                        ; =>  This Inner Loop Header: Depth=2
	global_load_b32 v13, v[14:15], off scope:SCOPE_DEV
	s_wait_loadcnt 0x0
	v_cmp_lt_u32_e32 vcc_lo, 0x3fffffff, v13
	s_or_b32 s8, vcc_lo, s8
	s_wait_xcnt 0x0
	s_and_not1_b32 exec_lo, exec_lo, s8
	s_cbranch_execnz .LBB978_66
	s_branch .LBB978_61
.LBB978_67:                             ;   in Loop: Header=BB978_63 Depth=1
                                        ; implicit-def: $sgpr5
	s_and_b32 s8, exec_lo, s7
	s_delay_alu instid0(SALU_CYCLE_1)
	s_or_b32 s4, s8, s4
	s_wait_xcnt 0x0
	s_and_not1_b32 exec_lo, exec_lo, s4
	s_cbranch_execnz .LBB978_63
.LBB978_68:
	s_or_b32 exec_lo, exec_lo, s4
	v_dual_mov_b32 v13, 0 :: v_dual_add_nc_u32 v8, v12, v4
	s_delay_alu instid0(VALU_DEP_1) | instskip(SKIP_4) | instid1(VALU_DEP_1)
	v_or_b32_e32 v8, 0x80000000, v8
	global_store_b32 v[10:11], v8, off scope:SCOPE_DEV
	global_load_b64 v[8:9], v27, s[12:13] scale_offset
	v_sub_nc_u64_e32 v[10:11], v[12:13], v[2:3]
	s_wait_loadcnt 0x0
	v_add_nc_u64_e32 v[8:9], v[10:11], v[8:9]
	ds_store_b64 v5, v[8:9]
.LBB978_69:
	s_wait_xcnt 0x0
	s_or_b32 exec_lo, exec_lo, s3
	v_dual_add_nc_u32 v8, v63, v7 :: v_dual_sub_nc_u32 v63, 0, v6
	v_mov_b32_e32 v7, 0
	v_add3_u32 v32, v33, v62, v32
	v_add3_u32 v9, v59, v60, v58
	;; [unrolled: 1-line block ×3, first 2 shown]
	v_add_nc_u32_e32 v33, v5, v63
	v_add_nc_u64_e32 v[6:7], s[18:19], v[6:7]
	v_add3_u32 v11, v53, v55, v51
	v_add3_u32 v12, v49, v52, v48
	;; [unrolled: 1-line block ×6, first 2 shown]
	v_add_nc_u64_e32 v[6:7], 0x3800, v[6:7]
	v_add3_u32 v34, v35, v38, v34
	v_add3_u32 v30, v31, v61, v30
	v_add_nc_u32_e32 v31, 0xe00, v27
	s_mov_b32 s3, 0
	s_mov_b32 s4, -1
	s_branch .LBB978_71
.LBB978_70:                             ;   in Loop: Header=BB978_71 Depth=1
	s_wait_xcnt 0x0
	s_or_b32 exec_lo, exec_lo, s5
	v_add_nc_u64_e32 v[6:7], 0x4000, v[6:7]
	v_add_nc_u32_e32 v31, 0x1000, v31
	s_xor_b32 s4, s4, -1
	s_addk_co_i32 s3, 0xf000
	s_and_b32 vcc_lo, exec_lo, s4
	s_mov_b32 s4, 0
	s_wait_storecnt 0x0
	s_barrier_signal -1
	s_barrier_wait -1
	s_cbranch_vccnz .LBB978_87
.LBB978_71:                             ; =>This Inner Loop Header: Depth=1
	v_add_min_u32_e64 v35, v8, s3, 0x1000
	v_add_min_u32_e64 v37, v30, s3, 0x1000
	;; [unrolled: 1-line block ×5, first 2 shown]
	s_delay_alu instid0(VALU_DEP_4) | instskip(NEXT) | instid1(VALU_DEP_4)
	v_dual_lshlrev_b32 v35, 2, v35 :: v_dual_lshlrev_b32 v37, 2, v37
	v_lshlrev_b32_e32 v38, 2, v38
	v_add_min_u32_e64 v41, v15, s3, 0x1000
	s_mov_b32 s5, exec_lo
	ds_store_b32 v35, v18 offset:2048
	ds_store_b32 v37, v1 offset:2048
	v_add_min_u32_e64 v35, v14, s3, 0x1000
	v_lshlrev_b32_e32 v37, 2, v39
	ds_store_b32 v38, v20 offset:2048
	v_dual_lshlrev_b32 v38, 2, v40 :: v_dual_lshlrev_b32 v39, 2, v41
	v_add_min_u32_e64 v40, v13, s3, 0x1000
	v_lshlrev_b32_e32 v35, 2, v35
	ds_store_b32 v37, v19 offset:2048
	ds_store_b32 v38, v22 offset:2048
	;; [unrolled: 1-line block ×4, first 2 shown]
	v_add_min_u32_e64 v37, v12, s3, 0x1000
	v_add_min_u32_e64 v38, v11, s3, 0x1000
	;; [unrolled: 1-line block ×3, first 2 shown]
	v_lshlrev_b32_e32 v35, 2, v40
	v_add_min_u32_e64 v40, v9, s3, 0x1000
	ds_store_b32 v35, v23 offset:2048
	v_dual_lshlrev_b32 v35, 2, v37 :: v_dual_lshlrev_b32 v37, 2, v38
	v_dual_lshlrev_b32 v38, 2, v39 :: v_dual_lshlrev_b32 v39, 2, v40
	v_add_nc_u32_e32 v40, 0xfffff200, v31
	ds_store_b32 v35, v26 offset:2048
	ds_store_b32 v37, v25 offset:2048
	;; [unrolled: 1-line block ×4, first 2 shown]
	s_wait_storecnt_dscnt 0x0
	s_barrier_signal -1
	s_barrier_wait -1
	v_cmpx_gt_u32_e64 s22, v40
	s_cbranch_execz .LBB978_73
; %bb.72:                               ;   in Loop: Header=BB978_71 Depth=1
	ds_load_b32 v35, v33 offset:2048
	s_wait_dscnt 0x0
	v_lshrrev_b32_e32 v37, s20, v35
	v_xor_b32_e32 v35, 0x80000000, v35
	s_delay_alu instid0(VALU_DEP_2) | instskip(NEXT) | instid1(VALU_DEP_1)
	v_and_b32_e32 v37, s6, v37
	v_lshlrev_b32_e32 v37, 3, v37
	ds_load_b64 v[38:39], v37
	s_wait_dscnt 0x0
	v_lshl_add_u64 v[38:39], v[38:39], 2, v[6:7]
	global_store_b32 v[38:39], v35, off offset:-14336
.LBB978_73:                             ;   in Loop: Header=BB978_71 Depth=1
	s_wait_xcnt 0x0
	s_or_b32 exec_lo, exec_lo, s5
	v_add_nc_u32_e32 v35, 0xfffff400, v31
	s_mov_b32 s5, exec_lo
	s_delay_alu instid0(VALU_DEP_1)
	v_cmpx_gt_u32_e64 s22, v35
	s_cbranch_execz .LBB978_75
; %bb.74:                               ;   in Loop: Header=BB978_71 Depth=1
	ds_load_b32 v35, v33 offset:4096
	s_wait_dscnt 0x0
	v_lshrrev_b32_e32 v37, s20, v35
	v_xor_b32_e32 v35, 0x80000000, v35
	s_delay_alu instid0(VALU_DEP_2) | instskip(NEXT) | instid1(VALU_DEP_1)
	v_and_b32_e32 v37, s6, v37
	v_lshlrev_b32_e32 v37, 3, v37
	ds_load_b64 v[38:39], v37
	s_wait_dscnt 0x0
	v_lshl_add_u64 v[38:39], v[38:39], 2, v[6:7]
	global_store_b32 v[38:39], v35, off offset:-12288
.LBB978_75:                             ;   in Loop: Header=BB978_71 Depth=1
	s_wait_xcnt 0x0
	s_or_b32 exec_lo, exec_lo, s5
	v_add_nc_u32_e32 v35, 0xfffff600, v31
	s_mov_b32 s5, exec_lo
	s_delay_alu instid0(VALU_DEP_1)
	;; [unrolled: 20-line block ×6, first 2 shown]
	v_cmpx_gt_u32_e64 s22, v35
	s_cbranch_execz .LBB978_85
; %bb.84:                               ;   in Loop: Header=BB978_71 Depth=1
	ds_load_b32 v35, v33 offset:14336
	s_wait_dscnt 0x0
	v_lshrrev_b32_e32 v37, s20, v35
	v_xor_b32_e32 v35, 0x80000000, v35
	s_delay_alu instid0(VALU_DEP_2) | instskip(NEXT) | instid1(VALU_DEP_1)
	v_and_b32_e32 v37, s6, v37
	v_lshlrev_b32_e32 v37, 3, v37
	ds_load_b64 v[38:39], v37
	s_wait_dscnt 0x0
	v_lshl_add_u64 v[38:39], v[38:39], 2, v[6:7]
	global_store_b32 v[38:39], v35, off offset:-2048
.LBB978_85:                             ;   in Loop: Header=BB978_71 Depth=1
	s_wait_xcnt 0x0
	s_or_b32 exec_lo, exec_lo, s5
	s_delay_alu instid0(SALU_CYCLE_1)
	s_mov_b32 s5, exec_lo
	v_cmpx_gt_u32_e64 s22, v31
	s_cbranch_execz .LBB978_70
; %bb.86:                               ;   in Loop: Header=BB978_71 Depth=1
	ds_load_b32 v35, v33 offset:16384
	s_wait_dscnt 0x0
	v_lshrrev_b32_e32 v37, s20, v35
	v_xor_b32_e32 v35, 0x80000000, v35
	s_delay_alu instid0(VALU_DEP_2) | instskip(NEXT) | instid1(VALU_DEP_1)
	v_and_b32_e32 v37, s6, v37
	v_lshlrev_b32_e32 v37, 3, v37
	ds_load_b64 v[38:39], v37
	s_wait_dscnt 0x0
	v_lshl_add_u64 v[38:39], v[38:39], 2, v[6:7]
	global_store_b32 v[38:39], v35, off
	s_branch .LBB978_70
.LBB978_87:
	s_add_co_i32 s23, s23, -1
	s_delay_alu instid0(SALU_CYCLE_1) | instskip(SKIP_2) | instid1(SALU_CYCLE_1)
	s_cmp_eq_u32 s9, s23
	s_cselect_b32 s3, -1, 0
	s_xor_b32 s2, s2, -1
	s_and_b32 s3, s2, s3
	s_delay_alu instid0(SALU_CYCLE_1)
	s_and_saveexec_b32 s2, s3
	s_cbranch_execz .LBB978_89
; %bb.88:
	ds_load_b64 v[6:7], v5
	v_mov_b32_e32 v5, 0
	s_delay_alu instid0(VALU_DEP_1) | instskip(SKIP_1) | instid1(VALU_DEP_1)
	v_add_nc_u64_e32 v[2:3], v[2:3], v[4:5]
	s_wait_dscnt 0x0
	v_add_nc_u64_e32 v[2:3], v[2:3], v[6:7]
	global_store_b64 v27, v[2:3], s[14:15] scale_offset
.LBB978_89:
	s_wait_xcnt 0x0
	s_or_b32 exec_lo, exec_lo, s2
	s_mov_b32 s2, 0
.LBB978_90:
	s_delay_alu instid0(SALU_CYCLE_1)
	s_and_b32 vcc_lo, exec_lo, s2
	s_cbranch_vccz .LBB978_149
; %bb.91:
	s_mov_b32 s25, 0
	v_dual_mov_b32 v11, 0 :: v_dual_lshlrev_b32 v10, 2, v16
	s_lshl_b64 s[2:3], s[24:25], 2
	v_mul_u32_u24_e32 v1, 12, v17
	s_add_nc_u64 s[2:3], s[16:17], s[2:3]
	s_delay_alu instid0(VALU_DEP_2) | instid1(SALU_CYCLE_1)
	v_add_nc_u64_e32 v[2:3], s[2:3], v[10:11]
	s_delay_alu instid0(VALU_DEP_2) | instskip(NEXT) | instid1(VALU_DEP_1)
	v_lshlrev_b32_e32 v10, 2, v1
	v_add_nc_u64_e32 v[14:15], v[2:3], v[10:11]
	v_bfe_u32 v10, v0, 20, 10
	s_clause 0xb
	global_load_b32 v5, v[14:15], off
	global_load_b32 v12, v[14:15], off offset:128
	global_load_b32 v13, v[14:15], off offset:256
	;; [unrolled: 1-line block ×11, first 2 shown]
	s_clause 0x1
	s_load_b32 s7, s[0:1], 0x58
	s_load_u16 s2, s[0:1], 0x66
	v_and_b32_e32 v14, 0x3ff, v0
	s_wait_kmcnt 0x0
	s_cmp_lt_u32 s9, s7
	s_cselect_b32 s24, 12, 18
	s_lshl_b32 s8, -1, s21
	s_add_nc_u64 s[0:1], s[26:27], s[24:25]
	s_load_u16 s0, s[0:1], 0x0
	s_wait_loadcnt 0xb
	v_xor_b32_e32 v15, 0x80000000, v5
	v_bfe_u32 v5, v0, 10, 10
	s_delay_alu instid0(VALU_DEP_2) | instskip(NEXT) | instid1(VALU_DEP_2)
	v_lshrrev_b32_e32 v18, s20, v15
	v_mad_u32_u24 v0, v10, s2, v5
	s_delay_alu instid0(VALU_DEP_2) | instskip(SKIP_2) | instid1(VALU_DEP_3)
	v_bitop3_b32 v5, v18, 1, s8 bitop3:0x40
	v_bitop3_b32 v19, v18, s8, v18 bitop3:0x30
	s_wait_kmcnt 0x0
	v_mad_u32 v0, v0, s0, v14
	s_delay_alu instid0(VALU_DEP_3) | instskip(NEXT) | instid1(VALU_DEP_1)
	v_add_co_u32 v5, s0, v5, -1
	v_cndmask_b32_e64 v10, 0, 1, s0
	v_dual_lshlrev_b32 v18, 30, v19 :: v_dual_lshlrev_b32 v21, 29, v19
	v_dual_lshlrev_b32 v22, 28, v19 :: v_dual_lshlrev_b32 v23, 27, v19
	s_delay_alu instid0(VALU_DEP_3) | instskip(NEXT) | instid1(VALU_DEP_3)
	v_cmp_ne_u32_e32 vcc_lo, 0, v10
	v_not_b32_e32 v10, v18
	v_dual_lshlrev_b32 v24, 26, v19 :: v_dual_lshlrev_b32 v25, 25, v19
	v_lshlrev_b32_e32 v26, 24, v19
	v_cmp_gt_i32_e64 s0, 0, v18
	v_cmp_gt_i32_e64 s1, 0, v21
	v_not_b32_e32 v18, v21
	v_not_b32_e32 v21, v22
	v_ashrrev_i32_e32 v10, 31, v10
	v_cmp_gt_i32_e64 s2, 0, v22
	v_cmp_gt_i32_e64 s3, 0, v23
	v_not_b32_e32 v22, v23
	v_not_b32_e32 v23, v24
	v_dual_ashrrev_i32 v18, 31, v18 :: v_dual_bitop2_b32 v5, vcc_lo, v5 bitop3:0x14
	v_dual_ashrrev_i32 v21, 31, v21 :: v_dual_bitop2_b32 v10, s0, v10 bitop3:0x14
	v_cmp_gt_i32_e64 s4, 0, v24
	v_cmp_gt_i32_e64 s5, 0, v25
	v_not_b32_e32 v24, v25
	v_not_b32_e32 v25, v26
	v_dual_ashrrev_i32 v22, 31, v22 :: v_dual_ashrrev_i32 v23, 31, v23
	v_xor_b32_e32 v18, s1, v18
	v_dual_lshrrev_b32 v0, 5, v0 :: v_dual_bitop2_b32 v21, s2, v21 bitop3:0x14
	v_bitop3_b32 v5, v5, v10, exec_lo bitop3:0x80
	v_cmp_gt_i32_e64 s6, 0, v26
	v_dual_ashrrev_i32 v10, 31, v24 :: v_dual_ashrrev_i32 v24, 31, v25
	v_xor_b32_e32 v22, s3, v22
	v_dual_lshlrev_b32 v0, 2, v0 :: v_dual_bitop2_b32 v23, s4, v23 bitop3:0x14
	v_bitop3_b32 v5, v5, v21, v18 bitop3:0x80
	s_delay_alu instid0(VALU_DEP_4)
	v_xor_b32_e32 v18, s5, v10
	v_xor_b32_e32 v21, s6, v24
	v_mul_u32_u24_e32 v10, 36, v14
	ds_store_2addr_b32 v10, v11, v11 offset0:16 offset1:17
	ds_store_2addr_b32 v10, v11, v11 offset0:18 offset1:19
	ds_store_2addr_b32 v10, v11, v11 offset0:20 offset1:21
	ds_store_2addr_b32 v10, v11, v11 offset0:22 offset1:23
	v_bitop3_b32 v5, v5, v23, v22 bitop3:0x80
	ds_store_b32 v10, v11 offset:96
	v_mad_u32 v11, 0x44, v19, v0
	s_not_b32 s5, s8
	s_wait_storecnt 0x0
	s_wait_loadcnt_dscnt 0x0
	v_bitop3_b32 v18, v5, v21, v18 bitop3:0x80
	s_barrier_signal -1
	s_barrier_wait -1
	s_delay_alu instid0(VALU_DEP_1) | instskip(SKIP_1) | instid1(VALU_DEP_2)
	v_mbcnt_lo_u32_b32 v5, v18, 0
	v_cmp_ne_u32_e64 s0, 0, v18
	; wave barrier
	v_cmp_eq_u32_e32 vcc_lo, 0, v5
	s_and_b32 s1, s0, vcc_lo
	s_delay_alu instid0(SALU_CYCLE_1)
	s_and_saveexec_b32 s0, s1
; %bb.92:
	v_bcnt_u32_b32 v18, v18, 0
	ds_store_b32 v11, v18 offset:64
; %bb.93:
	s_or_b32 exec_lo, exec_lo, s0
	v_xor_b32_e32 v18, 0x80000000, v12
	; wave barrier
	s_delay_alu instid0(VALU_DEP_1) | instskip(NEXT) | instid1(VALU_DEP_1)
	v_lshrrev_b32_e32 v12, s20, v18
	v_and_b32_e32 v19, s5, v12
	s_delay_alu instid0(VALU_DEP_1) | instskip(SKIP_1) | instid1(VALU_DEP_1)
	v_lshlrev_b32_e32 v23, 30, v19
	v_bitop3_b32 v21, v12, 1, s5 bitop3:0x80
	v_add_co_u32 v21, s0, v21, -1
	s_delay_alu instid0(VALU_DEP_1) | instskip(NEXT) | instid1(VALU_DEP_4)
	v_cndmask_b32_e64 v22, 0, 1, s0
	v_cmp_gt_i32_e64 s0, 0, v23
	s_delay_alu instid0(VALU_DEP_2) | instskip(SKIP_1) | instid1(VALU_DEP_1)
	v_cmp_ne_u32_e32 vcc_lo, 0, v22
	v_not_b32_e32 v22, v23
	v_dual_ashrrev_i32 v22, 31, v22 :: v_dual_lshlrev_b32 v24, 29, v19
	v_dual_lshlrev_b32 v25, 28, v19 :: v_dual_lshlrev_b32 v26, 27, v19
	v_lshlrev_b32_e32 v27, 26, v19
	v_mad_u32 v12, 0x44, v19, v0
	s_delay_alu instid0(VALU_DEP_4)
	v_cmp_gt_i32_e64 s1, 0, v24
	v_not_b32_e32 v23, v24
	v_not_b32_e32 v24, v25
	v_dual_lshlrev_b32 v28, 25, v19 :: v_dual_lshlrev_b32 v19, 24, v19
	v_cmp_gt_i32_e64 s2, 0, v25
	v_cmp_gt_i32_e64 s3, 0, v26
	v_not_b32_e32 v25, v26
	v_not_b32_e32 v26, v27
	v_dual_ashrrev_i32 v23, 31, v23 :: v_dual_bitop2_b32 v21, vcc_lo, v21 bitop3:0x14
	v_dual_ashrrev_i32 v24, 31, v24 :: v_dual_bitop2_b32 v22, s0, v22 bitop3:0x14
	v_cmp_gt_i32_e64 s4, 0, v27
	s_delay_alu instid0(VALU_DEP_4) | instskip(SKIP_1) | instid1(VALU_DEP_4)
	v_dual_ashrrev_i32 v25, 31, v25 :: v_dual_ashrrev_i32 v26, 31, v26
	v_not_b32_e32 v27, v19
	v_xor_b32_e32 v24, s2, v24
	v_bitop3_b32 v21, v21, v22, exec_lo bitop3:0x80
	v_not_b32_e32 v22, v28
	v_xor_b32_e32 v23, s1, v23
	v_xor_b32_e32 v25, s3, v25
	;; [unrolled: 1-line block ×3, first 2 shown]
	v_cmp_gt_i32_e32 vcc_lo, 0, v28
	v_ashrrev_i32_e32 v22, 31, v22
	v_cmp_gt_i32_e64 s0, 0, v19
	v_ashrrev_i32_e32 v19, 31, v27
	v_bitop3_b32 v21, v21, v24, v23 bitop3:0x80
	s_delay_alu instid0(VALU_DEP_4) | instskip(NEXT) | instid1(VALU_DEP_3)
	v_xor_b32_e32 v22, vcc_lo, v22
	v_xor_b32_e32 v19, s0, v19
	s_delay_alu instid0(VALU_DEP_3) | instskip(SKIP_2) | instid1(VALU_DEP_1)
	v_bitop3_b32 v23, v21, v26, v25 bitop3:0x80
	ds_load_b32 v21, v12 offset:64
	; wave barrier
	v_bitop3_b32 v19, v23, v19, v22 bitop3:0x80
	v_mbcnt_lo_u32_b32 v22, v19, 0
	v_cmp_ne_u32_e64 s0, 0, v19
	s_delay_alu instid0(VALU_DEP_2) | instskip(SKIP_1) | instid1(SALU_CYCLE_1)
	v_cmp_eq_u32_e32 vcc_lo, 0, v22
	s_and_b32 s1, s0, vcc_lo
	s_and_saveexec_b32 s0, s1
	s_cbranch_execz .LBB978_95
; %bb.94:
	s_wait_dscnt 0x0
	v_bcnt_u32_b32 v19, v19, v21
	ds_store_b32 v12, v19 offset:64
.LBB978_95:
	s_or_b32 exec_lo, exec_lo, s0
	v_xor_b32_e32 v19, 0x80000000, v13
	; wave barrier
	s_delay_alu instid0(VALU_DEP_1) | instskip(NEXT) | instid1(VALU_DEP_1)
	v_lshrrev_b32_e32 v13, s20, v19
	v_bitop3_b32 v24, v13, 1, s5 bitop3:0x80
	v_and_b32_e32 v23, s5, v13
	s_delay_alu instid0(VALU_DEP_2) | instskip(NEXT) | instid1(VALU_DEP_1)
	v_add_co_u32 v24, s0, v24, -1
	v_cndmask_b32_e64 v25, 0, 1, s0
	s_delay_alu instid0(VALU_DEP_3) | instskip(NEXT) | instid1(VALU_DEP_2)
	v_dual_lshlrev_b32 v26, 30, v23 :: v_dual_lshlrev_b32 v27, 29, v23
	v_cmp_ne_u32_e32 vcc_lo, 0, v25
	s_delay_alu instid0(VALU_DEP_2) | instskip(SKIP_1) | instid1(VALU_DEP_4)
	v_cmp_gt_i32_e64 s0, 0, v26
	v_not_b32_e32 v25, v26
	v_not_b32_e32 v26, v27
	v_cmp_gt_i32_e64 s1, 0, v27
	s_delay_alu instid0(VALU_DEP_3) | instskip(NEXT) | instid1(VALU_DEP_3)
	v_dual_ashrrev_i32 v25, 31, v25 :: v_dual_bitop2_b32 v24, vcc_lo, v24 bitop3:0x14
	v_dual_ashrrev_i32 v26, 31, v26 :: v_dual_lshlrev_b32 v28, 28, v23
	v_dual_lshlrev_b32 v29, 27, v23 :: v_dual_lshlrev_b32 v30, 26, v23
	v_lshlrev_b32_e32 v31, 25, v23
	v_mad_u32 v13, 0x44, v23, v0
	s_delay_alu instid0(VALU_DEP_4)
	v_not_b32_e32 v27, v28
	v_lshlrev_b32_e32 v23, 24, v23
	v_cmp_gt_i32_e64 s2, 0, v28
	v_cmp_gt_i32_e64 s3, 0, v29
	v_not_b32_e32 v28, v29
	v_not_b32_e32 v29, v30
	v_dual_ashrrev_i32 v27, 31, v27 :: v_dual_bitop2_b32 v25, s0, v25 bitop3:0x14
	v_cmp_gt_i32_e64 s4, 0, v30
	s_delay_alu instid0(VALU_DEP_3) | instskip(SKIP_1) | instid1(VALU_DEP_4)
	v_dual_ashrrev_i32 v28, 31, v28 :: v_dual_ashrrev_i32 v29, 31, v29
	v_not_b32_e32 v30, v23
	v_xor_b32_e32 v27, s2, v27
	v_bitop3_b32 v24, v24, v25, exec_lo bitop3:0x80
	v_not_b32_e32 v25, v31
	v_xor_b32_e32 v26, s1, v26
	v_xor_b32_e32 v28, s3, v28
	v_xor_b32_e32 v29, s4, v29
	v_cmp_gt_i32_e32 vcc_lo, 0, v31
	v_ashrrev_i32_e32 v25, 31, v25
	v_cmp_gt_i32_e64 s0, 0, v23
	v_ashrrev_i32_e32 v23, 31, v30
	v_bitop3_b32 v24, v24, v27, v26 bitop3:0x80
	s_delay_alu instid0(VALU_DEP_4) | instskip(NEXT) | instid1(VALU_DEP_3)
	v_xor_b32_e32 v25, vcc_lo, v25
	v_xor_b32_e32 v23, s0, v23
	s_delay_alu instid0(VALU_DEP_3) | instskip(SKIP_2) | instid1(VALU_DEP_1)
	v_bitop3_b32 v26, v24, v29, v28 bitop3:0x80
	ds_load_b32 v24, v13 offset:64
	; wave barrier
	v_bitop3_b32 v23, v26, v23, v25 bitop3:0x80
	v_mbcnt_lo_u32_b32 v25, v23, 0
	v_cmp_ne_u32_e64 s0, 0, v23
	s_delay_alu instid0(VALU_DEP_2) | instskip(SKIP_1) | instid1(SALU_CYCLE_1)
	v_cmp_eq_u32_e32 vcc_lo, 0, v25
	s_and_b32 s1, s0, vcc_lo
	s_and_saveexec_b32 s0, s1
	s_cbranch_execz .LBB978_97
; %bb.96:
	s_wait_dscnt 0x0
	v_bcnt_u32_b32 v23, v23, v24
	ds_store_b32 v13, v23 offset:64
.LBB978_97:
	s_or_b32 exec_lo, exec_lo, s0
	v_xor_b32_e32 v20, 0x80000000, v20
	; wave barrier
	s_delay_alu instid0(VALU_DEP_1) | instskip(NEXT) | instid1(VALU_DEP_1)
	v_lshrrev_b32_e32 v23, s20, v20
	v_and_b32_e32 v26, s5, v23
	s_delay_alu instid0(VALU_DEP_1) | instskip(SKIP_2) | instid1(VALU_DEP_2)
	v_lshlrev_b32_e32 v28, 30, v26
	v_bitop3_b32 v23, v23, 1, s5 bitop3:0x80
	v_lshlrev_b32_e32 v29, 29, v26
	v_add_co_u32 v23, s0, v23, -1
	s_delay_alu instid0(VALU_DEP_1) | instskip(SKIP_1) | instid1(VALU_DEP_2)
	v_cndmask_b32_e64 v27, 0, 1, s0
	v_cmp_gt_i32_e64 s0, 0, v28
	v_cmp_ne_u32_e32 vcc_lo, 0, v27
	v_not_b32_e32 v27, v28
	v_not_b32_e32 v28, v29
	s_delay_alu instid0(VALU_DEP_1)
	v_dual_ashrrev_i32 v28, 31, v28 :: v_dual_lshlrev_b32 v30, 28, v26
	v_mad_u32 v33, 0x44, v26, v0
	v_dual_lshlrev_b32 v31, 27, v26 :: v_dual_lshlrev_b32 v32, 26, v26
	v_dual_lshlrev_b32 v34, 25, v26 :: v_dual_lshlrev_b32 v26, 24, v26
	v_cmp_gt_i32_e64 s1, 0, v29
	v_not_b32_e32 v29, v30
	v_ashrrev_i32_e32 v27, 31, v27
	v_cmp_gt_i32_e64 s2, 0, v30
	v_cmp_gt_i32_e64 s3, 0, v31
	v_not_b32_e32 v30, v31
	v_cmp_gt_i32_e64 s4, 0, v32
	v_not_b32_e32 v31, v32
	v_dual_ashrrev_i32 v29, 31, v29 :: v_dual_bitop2_b32 v23, vcc_lo, v23 bitop3:0x14
	v_not_b32_e32 v32, v26
	v_dual_ashrrev_i32 v30, 31, v30 :: v_dual_bitop2_b32 v27, s0, v27 bitop3:0x14
	s_delay_alu instid0(VALU_DEP_4) | instskip(SKIP_1) | instid1(VALU_DEP_4)
	v_dual_ashrrev_i32 v31, 31, v31 :: v_dual_bitop2_b32 v28, s1, v28 bitop3:0x14
	v_cmp_gt_i32_e64 s0, 0, v26
	v_ashrrev_i32_e32 v26, 31, v32
	s_delay_alu instid0(VALU_DEP_4)
	v_bitop3_b32 v23, v23, v27, exec_lo bitop3:0x80
	v_not_b32_e32 v27, v34
	v_xor_b32_e32 v29, s2, v29
	v_xor_b32_e32 v30, s3, v30
	;; [unrolled: 1-line block ×3, first 2 shown]
	v_cmp_gt_i32_e32 vcc_lo, 0, v34
	v_ashrrev_i32_e32 v27, 31, v27
	v_bitop3_b32 v23, v23, v29, v28 bitop3:0x80
	v_xor_b32_e32 v26, s0, v26
	s_delay_alu instid0(VALU_DEP_3) | instskip(NEXT) | instid1(VALU_DEP_3)
	v_xor_b32_e32 v28, vcc_lo, v27
	v_bitop3_b32 v23, v23, v31, v30 bitop3:0x80
	ds_load_b32 v27, v33 offset:64
	; wave barrier
	v_bitop3_b32 v23, v23, v26, v28 bitop3:0x80
	s_delay_alu instid0(VALU_DEP_1) | instskip(SKIP_1) | instid1(VALU_DEP_2)
	v_mbcnt_lo_u32_b32 v28, v23, 0
	v_cmp_ne_u32_e64 s0, 0, v23
	v_cmp_eq_u32_e32 vcc_lo, 0, v28
	s_and_b32 s1, s0, vcc_lo
	s_delay_alu instid0(SALU_CYCLE_1)
	s_and_saveexec_b32 s0, s1
	s_cbranch_execz .LBB978_99
; %bb.98:
	s_wait_dscnt 0x0
	v_bcnt_u32_b32 v23, v23, v27
	ds_store_b32 v33, v23 offset:64
.LBB978_99:
	s_or_b32 exec_lo, exec_lo, s0
	v_xor_b32_e32 v23, 0x80000000, v9
	; wave barrier
	s_delay_alu instid0(VALU_DEP_1) | instskip(NEXT) | instid1(VALU_DEP_1)
	v_lshrrev_b32_e32 v9, s20, v23
	v_and_b32_e32 v26, s5, v9
	s_delay_alu instid0(VALU_DEP_1) | instskip(SKIP_2) | instid1(VALU_DEP_2)
	v_lshlrev_b32_e32 v30, 30, v26
	v_bitop3_b32 v9, v9, 1, s5 bitop3:0x80
	v_lshlrev_b32_e32 v31, 29, v26
	v_add_co_u32 v9, s0, v9, -1
	s_delay_alu instid0(VALU_DEP_1) | instskip(SKIP_1) | instid1(VALU_DEP_2)
	v_cndmask_b32_e64 v29, 0, 1, s0
	v_cmp_gt_i32_e64 s0, 0, v30
	v_cmp_ne_u32_e32 vcc_lo, 0, v29
	v_not_b32_e32 v29, v30
	v_not_b32_e32 v30, v31
	s_delay_alu instid0(VALU_DEP_1) | instskip(SKIP_4) | instid1(VALU_DEP_4)
	v_ashrrev_i32_e32 v30, 31, v30
	v_dual_lshlrev_b32 v32, 28, v26 :: v_dual_lshlrev_b32 v34, 27, v26
	v_lshlrev_b32_e32 v35, 26, v26
	v_cmp_gt_i32_e64 s1, 0, v31
	v_mad_u32 v37, 0x44, v26, v0
	v_not_b32_e32 v31, v32
	v_dual_ashrrev_i32 v29, 31, v29 :: v_dual_lshlrev_b32 v36, 25, v26
	v_lshlrev_b32_e32 v26, 24, v26
	v_cmp_gt_i32_e64 s2, 0, v32
	v_cmp_gt_i32_e64 s3, 0, v34
	v_not_b32_e32 v32, v34
	v_not_b32_e32 v34, v35
	v_dual_ashrrev_i32 v31, 31, v31 :: v_dual_bitop2_b32 v9, vcc_lo, v9 bitop3:0x14
	v_xor_b32_e32 v29, s0, v29
	v_cmp_gt_i32_e64 s4, 0, v35
	s_delay_alu instid0(VALU_DEP_4) | instskip(NEXT) | instid1(VALU_DEP_4)
	v_dual_ashrrev_i32 v32, 31, v32 :: v_dual_ashrrev_i32 v34, 31, v34
	v_xor_b32_e32 v31, s2, v31
	s_delay_alu instid0(VALU_DEP_4)
	v_bitop3_b32 v9, v9, v29, exec_lo bitop3:0x80
	v_not_b32_e32 v29, v36
	v_xor_b32_e32 v30, s1, v30
	v_not_b32_e32 v35, v26
	v_xor_b32_e32 v32, s3, v32
	v_xor_b32_e32 v34, s4, v34
	v_cmp_gt_i32_e32 vcc_lo, 0, v36
	v_ashrrev_i32_e32 v29, 31, v29
	v_bitop3_b32 v9, v9, v31, v30 bitop3:0x80
	v_cmp_gt_i32_e64 s0, 0, v26
	v_ashrrev_i32_e32 v26, 31, v35
	ds_load_b32 v30, v37 offset:64
	v_xor_b32_e32 v29, vcc_lo, v29
	v_bitop3_b32 v9, v9, v34, v32 bitop3:0x80
	v_xor_b32_e32 v26, s0, v26
	; wave barrier
	s_delay_alu instid0(VALU_DEP_1) | instskip(NEXT) | instid1(VALU_DEP_1)
	v_bitop3_b32 v9, v9, v26, v29 bitop3:0x80
	v_mbcnt_lo_u32_b32 v31, v9, 0
	v_cmp_ne_u32_e64 s0, 0, v9
	s_delay_alu instid0(VALU_DEP_2) | instskip(SKIP_1) | instid1(SALU_CYCLE_1)
	v_cmp_eq_u32_e32 vcc_lo, 0, v31
	s_and_b32 s1, s0, vcc_lo
	s_and_saveexec_b32 s0, s1
	s_cbranch_execz .LBB978_101
; %bb.100:
	s_wait_dscnt 0x0
	v_bcnt_u32_b32 v9, v9, v30
	ds_store_b32 v37, v9 offset:64
.LBB978_101:
	s_or_b32 exec_lo, exec_lo, s0
	v_xor_b32_e32 v26, 0x80000000, v8
	; wave barrier
	s_delay_alu instid0(VALU_DEP_1) | instskip(NEXT) | instid1(VALU_DEP_1)
	v_lshrrev_b32_e32 v8, s20, v26
	v_and_b32_e32 v9, s5, v8
	s_delay_alu instid0(VALU_DEP_1) | instskip(SKIP_1) | instid1(VALU_DEP_1)
	v_lshlrev_b32_e32 v32, 30, v9
	v_bitop3_b32 v8, v8, 1, s5 bitop3:0x80
	v_add_co_u32 v8, s0, v8, -1
	s_delay_alu instid0(VALU_DEP_1) | instskip(NEXT) | instid1(VALU_DEP_4)
	v_cndmask_b32_e64 v29, 0, 1, s0
	v_cmp_gt_i32_e64 s0, 0, v32
	s_delay_alu instid0(VALU_DEP_2) | instskip(SKIP_1) | instid1(VALU_DEP_1)
	v_cmp_ne_u32_e32 vcc_lo, 0, v29
	v_not_b32_e32 v29, v32
	v_ashrrev_i32_e32 v29, 31, v29
	v_dual_lshlrev_b32 v34, 29, v9 :: v_dual_lshlrev_b32 v35, 28, v9
	v_dual_lshlrev_b32 v36, 27, v9 :: v_dual_lshlrev_b32 v38, 26, v9
	v_mad_u32 v40, 0x44, v9, v0
	s_delay_alu instid0(VALU_DEP_3)
	v_cmp_gt_i32_e64 s1, 0, v34
	v_not_b32_e32 v32, v34
	v_not_b32_e32 v34, v35
	v_dual_lshlrev_b32 v39, 25, v9 :: v_dual_lshlrev_b32 v9, 24, v9
	v_cmp_gt_i32_e64 s2, 0, v35
	v_cmp_gt_i32_e64 s3, 0, v36
	v_not_b32_e32 v35, v36
	v_not_b32_e32 v36, v38
	v_dual_ashrrev_i32 v34, 31, v34 :: v_dual_bitop2_b32 v8, vcc_lo, v8 bitop3:0x14
	v_dual_ashrrev_i32 v32, 31, v32 :: v_dual_bitop2_b32 v29, s0, v29 bitop3:0x14
	v_cmp_gt_i32_e64 s4, 0, v38
	s_delay_alu instid0(VALU_DEP_4) | instskip(NEXT) | instid1(VALU_DEP_4)
	v_dual_ashrrev_i32 v35, 31, v35 :: v_dual_ashrrev_i32 v36, 31, v36
	v_xor_b32_e32 v34, s2, v34
	s_delay_alu instid0(VALU_DEP_4)
	v_bitop3_b32 v8, v8, v29, exec_lo bitop3:0x80
	v_not_b32_e32 v29, v39
	v_xor_b32_e32 v32, s1, v32
	v_not_b32_e32 v38, v9
	v_xor_b32_e32 v35, s3, v35
	v_xor_b32_e32 v36, s4, v36
	v_cmp_gt_i32_e32 vcc_lo, 0, v39
	v_ashrrev_i32_e32 v29, 31, v29
	v_bitop3_b32 v8, v8, v34, v32 bitop3:0x80
	v_cmp_gt_i32_e64 s0, 0, v9
	v_ashrrev_i32_e32 v9, 31, v38
	ds_load_b32 v34, v40 offset:64
	v_xor_b32_e32 v29, vcc_lo, v29
	v_bitop3_b32 v8, v8, v36, v35 bitop3:0x80
	v_xor_b32_e32 v9, s0, v9
	; wave barrier
	s_delay_alu instid0(VALU_DEP_1) | instskip(NEXT) | instid1(VALU_DEP_1)
	v_bitop3_b32 v8, v8, v9, v29 bitop3:0x80
	v_mbcnt_lo_u32_b32 v35, v8, 0
	v_cmp_ne_u32_e64 s0, 0, v8
	s_delay_alu instid0(VALU_DEP_2) | instskip(SKIP_1) | instid1(SALU_CYCLE_1)
	v_cmp_eq_u32_e32 vcc_lo, 0, v35
	s_and_b32 s1, s0, vcc_lo
	s_and_saveexec_b32 s0, s1
	s_cbranch_execz .LBB978_103
; %bb.102:
	s_wait_dscnt 0x0
	v_bcnt_u32_b32 v8, v8, v34
	ds_store_b32 v40, v8 offset:64
.LBB978_103:
	s_or_b32 exec_lo, exec_lo, s0
	v_xor_b32_e32 v29, 0x80000000, v7
	; wave barrier
	s_delay_alu instid0(VALU_DEP_1) | instskip(NEXT) | instid1(VALU_DEP_1)
	v_lshrrev_b32_e32 v7, s20, v29
	v_and_b32_e32 v8, s5, v7
	s_delay_alu instid0(VALU_DEP_1) | instskip(SKIP_1) | instid1(VALU_DEP_1)
	v_lshlrev_b32_e32 v32, 30, v8
	v_bitop3_b32 v7, v7, 1, s5 bitop3:0x80
	v_add_co_u32 v7, s0, v7, -1
	s_delay_alu instid0(VALU_DEP_1) | instskip(NEXT) | instid1(VALU_DEP_4)
	v_cndmask_b32_e64 v9, 0, 1, s0
	v_cmp_gt_i32_e64 s0, 0, v32
	s_delay_alu instid0(VALU_DEP_2) | instskip(SKIP_1) | instid1(VALU_DEP_1)
	v_cmp_ne_u32_e32 vcc_lo, 0, v9
	v_not_b32_e32 v9, v32
	v_dual_ashrrev_i32 v9, 31, v9 :: v_dual_lshlrev_b32 v36, 29, v8
	v_dual_lshlrev_b32 v38, 28, v8 :: v_dual_lshlrev_b32 v39, 27, v8
	v_lshlrev_b32_e32 v41, 26, v8
	v_mad_u32 v44, 0x44, v8, v0
	s_delay_alu instid0(VALU_DEP_4)
	v_cmp_gt_i32_e64 s1, 0, v36
	v_not_b32_e32 v32, v36
	v_not_b32_e32 v36, v38
	v_dual_lshlrev_b32 v42, 25, v8 :: v_dual_lshlrev_b32 v8, 24, v8
	v_cmp_gt_i32_e64 s2, 0, v38
	v_cmp_gt_i32_e64 s3, 0, v39
	v_not_b32_e32 v38, v39
	v_not_b32_e32 v39, v41
	v_dual_ashrrev_i32 v32, 31, v32 :: v_dual_bitop2_b32 v7, vcc_lo, v7 bitop3:0x14
	v_dual_ashrrev_i32 v36, 31, v36 :: v_dual_bitop2_b32 v9, s0, v9 bitop3:0x14
	v_cmp_gt_i32_e64 s4, 0, v41
	s_delay_alu instid0(VALU_DEP_4) | instskip(SKIP_1) | instid1(VALU_DEP_4)
	v_dual_ashrrev_i32 v38, 31, v38 :: v_dual_ashrrev_i32 v39, 31, v39
	v_not_b32_e32 v41, v8
	v_xor_b32_e32 v36, s2, v36
	v_bitop3_b32 v7, v7, v9, exec_lo bitop3:0x80
	v_not_b32_e32 v9, v42
	v_xor_b32_e32 v32, s1, v32
	v_xor_b32_e32 v38, s3, v38
	;; [unrolled: 1-line block ×3, first 2 shown]
	v_cmp_gt_i32_e32 vcc_lo, 0, v42
	v_ashrrev_i32_e32 v9, 31, v9
	v_cmp_gt_i32_e64 s0, 0, v8
	v_ashrrev_i32_e32 v8, 31, v41
	v_bitop3_b32 v7, v7, v36, v32 bitop3:0x80
	s_delay_alu instid0(VALU_DEP_4) | instskip(NEXT) | instid1(VALU_DEP_3)
	v_xor_b32_e32 v9, vcc_lo, v9
	v_xor_b32_e32 v8, s0, v8
	s_delay_alu instid0(VALU_DEP_3) | instskip(SKIP_2) | instid1(VALU_DEP_1)
	v_bitop3_b32 v7, v7, v39, v38 bitop3:0x80
	ds_load_b32 v38, v44 offset:64
	; wave barrier
	v_bitop3_b32 v7, v7, v8, v9 bitop3:0x80
	v_mbcnt_lo_u32_b32 v39, v7, 0
	v_cmp_ne_u32_e64 s0, 0, v7
	s_delay_alu instid0(VALU_DEP_2) | instskip(SKIP_1) | instid1(SALU_CYCLE_1)
	v_cmp_eq_u32_e32 vcc_lo, 0, v39
	s_and_b32 s1, s0, vcc_lo
	s_and_saveexec_b32 s0, s1
	s_cbranch_execz .LBB978_105
; %bb.104:
	s_wait_dscnt 0x0
	v_bcnt_u32_b32 v7, v7, v38
	ds_store_b32 v44, v7 offset:64
.LBB978_105:
	s_or_b32 exec_lo, exec_lo, s0
	v_xor_b32_e32 v32, 0x80000000, v6
	; wave barrier
	s_delay_alu instid0(VALU_DEP_1) | instskip(NEXT) | instid1(VALU_DEP_1)
	v_lshrrev_b32_e32 v6, s20, v32
	v_and_b32_e32 v7, s5, v6
	s_delay_alu instid0(VALU_DEP_1) | instskip(SKIP_1) | instid1(VALU_DEP_1)
	v_lshlrev_b32_e32 v9, 30, v7
	v_bitop3_b32 v6, v6, 1, s5 bitop3:0x80
	v_add_co_u32 v6, s0, v6, -1
	s_delay_alu instid0(VALU_DEP_1) | instskip(NEXT) | instid1(VALU_DEP_4)
	v_cndmask_b32_e64 v8, 0, 1, s0
	v_cmp_gt_i32_e64 s0, 0, v9
	s_delay_alu instid0(VALU_DEP_2) | instskip(SKIP_1) | instid1(VALU_DEP_1)
	v_cmp_ne_u32_e32 vcc_lo, 0, v8
	v_not_b32_e32 v8, v9
	v_dual_ashrrev_i32 v8, 31, v8 :: v_dual_lshlrev_b32 v36, 29, v7
	v_dual_lshlrev_b32 v41, 28, v7 :: v_dual_lshlrev_b32 v42, 27, v7
	v_lshlrev_b32_e32 v43, 26, v7
	v_mad_u32 v47, 0x44, v7, v0
	s_delay_alu instid0(VALU_DEP_4)
	v_cmp_gt_i32_e64 s1, 0, v36
	v_not_b32_e32 v9, v36
	v_not_b32_e32 v36, v41
	v_dual_lshlrev_b32 v45, 25, v7 :: v_dual_lshlrev_b32 v7, 24, v7
	v_cmp_gt_i32_e64 s2, 0, v41
	v_cmp_gt_i32_e64 s3, 0, v42
	v_not_b32_e32 v41, v42
	v_not_b32_e32 v42, v43
	v_dual_ashrrev_i32 v9, 31, v9 :: v_dual_bitop2_b32 v6, vcc_lo, v6 bitop3:0x14
	s_delay_alu instid0(VALU_DEP_3) | instskip(NEXT) | instid1(VALU_DEP_3)
	v_dual_ashrrev_i32 v36, 31, v36 :: v_dual_ashrrev_i32 v41, 31, v41
	v_dual_ashrrev_i32 v42, 31, v42 :: v_dual_bitop2_b32 v8, s0, v8 bitop3:0x14
	v_cmp_gt_i32_e64 s4, 0, v43
	v_not_b32_e32 v43, v7
	s_delay_alu instid0(VALU_DEP_4) | instskip(NEXT) | instid1(VALU_DEP_4)
	v_xor_b32_e32 v36, s2, v36
	v_bitop3_b32 v6, v6, v8, exec_lo bitop3:0x80
	v_not_b32_e32 v8, v45
	v_xor_b32_e32 v9, s1, v9
	v_xor_b32_e32 v41, s3, v41
	;; [unrolled: 1-line block ×3, first 2 shown]
	v_cmp_gt_i32_e32 vcc_lo, 0, v45
	v_ashrrev_i32_e32 v8, 31, v8
	v_cmp_gt_i32_e64 s0, 0, v7
	v_ashrrev_i32_e32 v7, 31, v43
	v_bitop3_b32 v6, v6, v36, v9 bitop3:0x80
	s_delay_alu instid0(VALU_DEP_4) | instskip(NEXT) | instid1(VALU_DEP_3)
	v_xor_b32_e32 v8, vcc_lo, v8
	v_xor_b32_e32 v7, s0, v7
	s_delay_alu instid0(VALU_DEP_3) | instskip(SKIP_2) | instid1(VALU_DEP_1)
	v_bitop3_b32 v6, v6, v42, v41 bitop3:0x80
	ds_load_b32 v42, v47 offset:64
	; wave barrier
	v_bitop3_b32 v6, v6, v7, v8 bitop3:0x80
	v_mbcnt_lo_u32_b32 v43, v6, 0
	v_cmp_ne_u32_e64 s0, 0, v6
	s_delay_alu instid0(VALU_DEP_2) | instskip(SKIP_1) | instid1(SALU_CYCLE_1)
	v_cmp_eq_u32_e32 vcc_lo, 0, v43
	s_and_b32 s1, s0, vcc_lo
	s_and_saveexec_b32 s0, s1
	s_cbranch_execz .LBB978_107
; %bb.106:
	s_wait_dscnt 0x0
	v_bcnt_u32_b32 v6, v6, v42
	ds_store_b32 v47, v6 offset:64
.LBB978_107:
	s_or_b32 exec_lo, exec_lo, s0
	v_xor_b32_e32 v36, 0x80000000, v4
	; wave barrier
	s_delay_alu instid0(VALU_DEP_1) | instskip(NEXT) | instid1(VALU_DEP_1)
	v_lshrrev_b32_e32 v4, s20, v36
	v_and_b32_e32 v6, s5, v4
	s_delay_alu instid0(VALU_DEP_1) | instskip(SKIP_1) | instid1(VALU_DEP_1)
	v_lshlrev_b32_e32 v8, 30, v6
	v_bitop3_b32 v4, v4, 1, s5 bitop3:0x80
	v_add_co_u32 v4, s0, v4, -1
	s_delay_alu instid0(VALU_DEP_1) | instskip(NEXT) | instid1(VALU_DEP_4)
	v_cndmask_b32_e64 v7, 0, 1, s0
	v_cmp_gt_i32_e64 s0, 0, v8
	s_delay_alu instid0(VALU_DEP_2) | instskip(SKIP_1) | instid1(VALU_DEP_1)
	v_cmp_ne_u32_e32 vcc_lo, 0, v7
	v_not_b32_e32 v7, v8
	v_dual_ashrrev_i32 v7, 31, v7 :: v_dual_lshlrev_b32 v9, 29, v6
	v_dual_lshlrev_b32 v41, 28, v6 :: v_dual_lshlrev_b32 v45, 27, v6
	v_lshlrev_b32_e32 v46, 26, v6
	v_mad_u32 v51, 0x44, v6, v0
	s_delay_alu instid0(VALU_DEP_4)
	v_cmp_gt_i32_e64 s1, 0, v9
	v_not_b32_e32 v8, v9
	v_not_b32_e32 v9, v41
	v_dual_lshlrev_b32 v48, 25, v6 :: v_dual_lshlrev_b32 v6, 24, v6
	v_cmp_gt_i32_e64 s2, 0, v41
	v_cmp_gt_i32_e64 s3, 0, v45
	v_not_b32_e32 v41, v45
	v_not_b32_e32 v45, v46
	v_dual_ashrrev_i32 v9, 31, v9 :: v_dual_bitop2_b32 v4, vcc_lo, v4 bitop3:0x14
	v_dual_ashrrev_i32 v8, 31, v8 :: v_dual_bitop2_b32 v7, s0, v7 bitop3:0x14
	v_cmp_gt_i32_e64 s4, 0, v46
	v_ashrrev_i32_e32 v41, 31, v41
	v_not_b32_e32 v46, v6
	s_delay_alu instid0(VALU_DEP_4)
	v_xor_b32_e32 v8, s1, v8
	v_xor_b32_e32 v9, s2, v9
	v_bitop3_b32 v4, v4, v7, exec_lo bitop3:0x80
	v_not_b32_e32 v7, v48
	v_ashrrev_i32_e32 v45, 31, v45
	v_xor_b32_e32 v41, s3, v41
	v_cmp_gt_i32_e32 vcc_lo, 0, v48
	v_cmp_gt_i32_e64 s0, 0, v6
	s_delay_alu instid0(VALU_DEP_4)
	v_dual_ashrrev_i32 v7, 31, v7 :: v_dual_bitop2_b32 v45, s4, v45 bitop3:0x14
	v_ashrrev_i32_e32 v6, 31, v46
	v_bitop3_b32 v4, v4, v9, v8 bitop3:0x80
	ds_load_b32 v46, v51 offset:64
	v_xor_b32_e32 v7, vcc_lo, v7
	v_xor_b32_e32 v6, s0, v6
	v_bitop3_b32 v4, v4, v45, v41 bitop3:0x80
	; wave barrier
	s_delay_alu instid0(VALU_DEP_1) | instskip(NEXT) | instid1(VALU_DEP_1)
	v_bitop3_b32 v4, v4, v6, v7 bitop3:0x80
	v_mbcnt_lo_u32_b32 v48, v4, 0
	v_cmp_ne_u32_e64 s0, 0, v4
	s_delay_alu instid0(VALU_DEP_2) | instskip(SKIP_1) | instid1(SALU_CYCLE_1)
	v_cmp_eq_u32_e32 vcc_lo, 0, v48
	s_and_b32 s1, s0, vcc_lo
	s_and_saveexec_b32 s0, s1
	s_cbranch_execz .LBB978_109
; %bb.108:
	s_wait_dscnt 0x0
	v_bcnt_u32_b32 v4, v4, v46
	ds_store_b32 v51, v4 offset:64
.LBB978_109:
	s_or_b32 exec_lo, exec_lo, s0
	v_xor_b32_e32 v41, 0x80000000, v3
	; wave barrier
	s_delay_alu instid0(VALU_DEP_1) | instskip(NEXT) | instid1(VALU_DEP_1)
	v_lshrrev_b32_e32 v3, s20, v41
	v_and_b32_e32 v4, s5, v3
	s_delay_alu instid0(VALU_DEP_1) | instskip(SKIP_1) | instid1(VALU_DEP_1)
	v_lshlrev_b32_e32 v7, 30, v4
	v_bitop3_b32 v3, v3, 1, s5 bitop3:0x80
	v_add_co_u32 v3, s0, v3, -1
	s_delay_alu instid0(VALU_DEP_1) | instskip(NEXT) | instid1(VALU_DEP_4)
	v_cndmask_b32_e64 v6, 0, 1, s0
	v_cmp_gt_i32_e64 s0, 0, v7
	s_delay_alu instid0(VALU_DEP_2) | instskip(SKIP_1) | instid1(VALU_DEP_1)
	v_cmp_ne_u32_e32 vcc_lo, 0, v6
	v_not_b32_e32 v6, v7
	v_dual_ashrrev_i32 v6, 31, v6 :: v_dual_lshlrev_b32 v8, 29, v4
	v_dual_lshlrev_b32 v9, 28, v4 :: v_dual_lshlrev_b32 v45, 27, v4
	v_lshlrev_b32_e32 v49, 26, v4
	v_mad_u32 v54, 0x44, v4, v0
	s_delay_alu instid0(VALU_DEP_4)
	v_cmp_gt_i32_e64 s1, 0, v8
	v_not_b32_e32 v7, v8
	v_not_b32_e32 v8, v9
	v_dual_lshlrev_b32 v50, 25, v4 :: v_dual_lshlrev_b32 v4, 24, v4
	v_cmp_gt_i32_e64 s2, 0, v9
	v_cmp_gt_i32_e64 s3, 0, v45
	v_not_b32_e32 v9, v45
	v_not_b32_e32 v45, v49
	v_dual_ashrrev_i32 v8, 31, v8 :: v_dual_bitop2_b32 v3, vcc_lo, v3 bitop3:0x14
	v_dual_ashrrev_i32 v7, 31, v7 :: v_dual_bitop2_b32 v6, s0, v6 bitop3:0x14
	v_cmp_gt_i32_e64 s4, 0, v49
	v_ashrrev_i32_e32 v9, 31, v9
	s_delay_alu instid0(VALU_DEP_4) | instskip(NEXT) | instid1(VALU_DEP_4)
	v_dual_ashrrev_i32 v45, 31, v45 :: v_dual_bitop2_b32 v8, s2, v8 bitop3:0x14
	v_xor_b32_e32 v7, s1, v7
	v_bitop3_b32 v3, v3, v6, exec_lo bitop3:0x80
	v_not_b32_e32 v6, v50
	v_not_b32_e32 v49, v4
	v_xor_b32_e32 v9, s3, v9
	v_xor_b32_e32 v45, s4, v45
	v_bitop3_b32 v3, v3, v8, v7 bitop3:0x80
	v_cmp_gt_i32_e32 vcc_lo, 0, v50
	v_ashrrev_i32_e32 v6, 31, v6
	v_cmp_gt_i32_e64 s0, 0, v4
	v_ashrrev_i32_e32 v4, 31, v49
	v_bitop3_b32 v3, v3, v45, v9 bitop3:0x80
	ds_load_b32 v50, v54 offset:64
	v_xor_b32_e32 v6, vcc_lo, v6
	v_xor_b32_e32 v4, s0, v4
	; wave barrier
	s_delay_alu instid0(VALU_DEP_1) | instskip(NEXT) | instid1(VALU_DEP_1)
	v_bitop3_b32 v3, v3, v4, v6 bitop3:0x80
	v_mbcnt_lo_u32_b32 v52, v3, 0
	v_cmp_ne_u32_e64 s0, 0, v3
	s_delay_alu instid0(VALU_DEP_2) | instskip(SKIP_1) | instid1(SALU_CYCLE_1)
	v_cmp_eq_u32_e32 vcc_lo, 0, v52
	s_and_b32 s1, s0, vcc_lo
	s_and_saveexec_b32 s0, s1
	s_cbranch_execz .LBB978_111
; %bb.110:
	s_wait_dscnt 0x0
	v_bcnt_u32_b32 v3, v3, v50
	ds_store_b32 v54, v3 offset:64
.LBB978_111:
	s_or_b32 exec_lo, exec_lo, s0
	v_xor_b32_e32 v45, 0x80000000, v2
	; wave barrier
	s_delay_alu instid0(VALU_DEP_1) | instskip(NEXT) | instid1(VALU_DEP_1)
	v_lshrrev_b32_e32 v2, s20, v45
	v_and_b32_e32 v3, s5, v2
	s_delay_alu instid0(VALU_DEP_1) | instskip(SKIP_1) | instid1(VALU_DEP_1)
	v_lshlrev_b32_e32 v6, 30, v3
	v_bitop3_b32 v2, v2, 1, s5 bitop3:0x80
	v_add_co_u32 v2, s0, v2, -1
	s_delay_alu instid0(VALU_DEP_1) | instskip(NEXT) | instid1(VALU_DEP_4)
	v_cndmask_b32_e64 v4, 0, 1, s0
	v_cmp_gt_i32_e64 s0, 0, v6
	s_delay_alu instid0(VALU_DEP_2) | instskip(SKIP_1) | instid1(VALU_DEP_1)
	v_cmp_ne_u32_e32 vcc_lo, 0, v4
	v_not_b32_e32 v4, v6
	v_dual_ashrrev_i32 v4, 31, v4 :: v_dual_lshlrev_b32 v7, 29, v3
	v_dual_lshlrev_b32 v8, 28, v3 :: v_dual_lshlrev_b32 v9, 27, v3
	v_lshlrev_b32_e32 v49, 26, v3
	v_mad_u32 v56, 0x44, v3, v0
	s_delay_alu instid0(VALU_DEP_4)
	v_cmp_gt_i32_e64 s1, 0, v7
	v_not_b32_e32 v6, v7
	v_not_b32_e32 v7, v8
	v_dual_lshlrev_b32 v53, 25, v3 :: v_dual_lshlrev_b32 v3, 24, v3
	v_cmp_gt_i32_e64 s2, 0, v8
	v_cmp_gt_i32_e64 s3, 0, v9
	v_not_b32_e32 v8, v9
	v_not_b32_e32 v9, v49
	v_dual_ashrrev_i32 v7, 31, v7 :: v_dual_bitop2_b32 v2, vcc_lo, v2 bitop3:0x14
	v_dual_ashrrev_i32 v6, 31, v6 :: v_dual_bitop2_b32 v4, s0, v4 bitop3:0x14
	v_cmp_gt_i32_e64 s4, 0, v49
	s_delay_alu instid0(VALU_DEP_4)
	v_dual_ashrrev_i32 v8, 31, v8 :: v_dual_ashrrev_i32 v9, 31, v9
	v_not_b32_e32 v49, v3
	v_xor_b32_e32 v7, s2, v7
	v_bitop3_b32 v2, v2, v4, exec_lo bitop3:0x80
	v_not_b32_e32 v4, v53
	v_xor_b32_e32 v6, s1, v6
	v_xor_b32_e32 v8, s3, v8
	;; [unrolled: 1-line block ×3, first 2 shown]
	v_cmp_gt_i32_e32 vcc_lo, 0, v53
	v_ashrrev_i32_e32 v4, 31, v4
	v_cmp_gt_i32_e64 s0, 0, v3
	v_ashrrev_i32_e32 v3, 31, v49
	v_bitop3_b32 v2, v2, v7, v6 bitop3:0x80
	ds_load_b32 v53, v56 offset:64
	v_xor_b32_e32 v4, vcc_lo, v4
	v_xor_b32_e32 v3, s0, v3
	v_bitop3_b32 v2, v2, v9, v8 bitop3:0x80
	; wave barrier
	s_delay_alu instid0(VALU_DEP_1) | instskip(NEXT) | instid1(VALU_DEP_1)
	v_bitop3_b32 v2, v2, v3, v4 bitop3:0x80
	v_mbcnt_lo_u32_b32 v55, v2, 0
	v_cmp_ne_u32_e64 s0, 0, v2
	s_delay_alu instid0(VALU_DEP_2) | instskip(SKIP_1) | instid1(SALU_CYCLE_1)
	v_cmp_eq_u32_e32 vcc_lo, 0, v55
	s_and_b32 s1, s0, vcc_lo
	s_and_saveexec_b32 s0, s1
	s_cbranch_execz .LBB978_113
; %bb.112:
	s_wait_dscnt 0x0
	v_bcnt_u32_b32 v2, v2, v53
	ds_store_b32 v56, v2 offset:64
.LBB978_113:
	s_or_b32 exec_lo, exec_lo, s0
	v_xor_b32_e32 v49, 0x80000000, v1
	; wave barrier
	s_delay_alu instid0(VALU_DEP_1) | instskip(NEXT) | instid1(VALU_DEP_1)
	v_lshrrev_b32_e32 v1, s20, v49
	v_and_b32_e32 v2, s5, v1
	s_delay_alu instid0(VALU_DEP_1) | instskip(SKIP_2) | instid1(VALU_DEP_2)
	v_lshlrev_b32_e32 v3, 30, v2
	v_bitop3_b32 v1, v1, 1, s5 bitop3:0x80
	v_mad_u32 v59, 0x44, v2, v0
	v_add_co_u32 v0, s0, v1, -1
	s_delay_alu instid0(VALU_DEP_1) | instskip(SKIP_4) | instid1(VALU_DEP_1)
	v_cndmask_b32_e64 v1, 0, 1, s0
	v_cmp_gt_i32_e64 s0, 0, v3
	ds_load_b32 v57, v59 offset:64
	v_cmp_ne_u32_e32 vcc_lo, 0, v1
	v_not_b32_e32 v1, v3
	; wave barrier
	v_dual_ashrrev_i32 v1, 31, v1 :: v_dual_lshlrev_b32 v4, 29, v2
	v_dual_lshlrev_b32 v6, 28, v2 :: v_dual_lshlrev_b32 v7, 27, v2
	v_dual_lshlrev_b32 v8, 26, v2 :: v_dual_lshlrev_b32 v9, 25, v2
	v_lshlrev_b32_e32 v2, 24, v2
	s_delay_alu instid0(VALU_DEP_4)
	v_cmp_gt_i32_e64 s1, 0, v4
	v_not_b32_e32 v3, v4
	v_not_b32_e32 v4, v6
	v_cmp_gt_i32_e64 s2, 0, v6
	v_cmp_gt_i32_e64 s3, 0, v7
	v_not_b32_e32 v6, v7
	v_not_b32_e32 v7, v8
	v_dual_ashrrev_i32 v3, 31, v3 :: v_dual_bitop2_b32 v0, vcc_lo, v0 bitop3:0x14
	v_dual_ashrrev_i32 v4, 31, v4 :: v_dual_bitop2_b32 v1, s0, v1 bitop3:0x14
	v_cmp_gt_i32_e64 s4, 0, v8
	s_delay_alu instid0(VALU_DEP_4) | instskip(NEXT) | instid1(VALU_DEP_3)
	v_dual_ashrrev_i32 v6, 31, v6 :: v_dual_ashrrev_i32 v7, 31, v7
	v_xor_b32_e32 v4, s2, v4
	s_delay_alu instid0(VALU_DEP_4)
	v_bitop3_b32 v0, v0, v1, exec_lo bitop3:0x80
	v_not_b32_e32 v1, v9
	v_xor_b32_e32 v3, s1, v3
	v_not_b32_e32 v8, v2
	v_xor_b32_e32 v6, s3, v6
	v_xor_b32_e32 v7, s4, v7
	v_cmp_gt_i32_e32 vcc_lo, 0, v9
	v_ashrrev_i32_e32 v1, 31, v1
	v_bitop3_b32 v0, v0, v4, v3 bitop3:0x80
	v_cmp_gt_i32_e64 s0, 0, v2
	s_delay_alu instid0(VALU_DEP_3) | instskip(NEXT) | instid1(VALU_DEP_3)
	v_dual_ashrrev_i32 v2, 31, v8 :: v_dual_bitop2_b32 v1, vcc_lo, v1 bitop3:0x14
	v_bitop3_b32 v0, v0, v7, v6 bitop3:0x80
	s_delay_alu instid0(VALU_DEP_2) | instskip(NEXT) | instid1(VALU_DEP_1)
	v_xor_b32_e32 v2, s0, v2
	v_bitop3_b32 v0, v0, v2, v1 bitop3:0x80
	s_delay_alu instid0(VALU_DEP_1) | instskip(SKIP_1) | instid1(VALU_DEP_2)
	v_mbcnt_lo_u32_b32 v58, v0, 0
	v_cmp_ne_u32_e64 s0, 0, v0
	v_cmp_eq_u32_e32 vcc_lo, 0, v58
	s_and_b32 s1, s0, vcc_lo
	s_delay_alu instid0(SALU_CYCLE_1)
	s_and_saveexec_b32 s0, s1
	s_cbranch_execz .LBB978_115
; %bb.114:
	s_wait_dscnt 0x0
	v_bcnt_u32_b32 v0, v0, v57
	ds_store_b32 v59, v0 offset:64
.LBB978_115:
	s_or_b32 exec_lo, exec_lo, s0
	; wave barrier
	s_wait_dscnt 0x0
	s_barrier_signal -1
	s_barrier_wait -1
	ds_load_2addr_b32 v[8:9], v10 offset0:16 offset1:17
	ds_load_2addr_b32 v[6:7], v10 offset0:18 offset1:19
	;; [unrolled: 1-line block ×4, first 2 shown]
	ds_load_b32 v4, v10 offset:96
	v_min_u32_e32 v17, 0x1e0, v17
	s_mov_b32 s4, exec_lo
	s_delay_alu instid0(VALU_DEP_1) | instskip(SKIP_3) | instid1(VALU_DEP_1)
	v_or_b32_e32 v62, 31, v17
	s_wait_dscnt 0x3
	v_add3_u32 v60, v9, v8, v6
	s_wait_dscnt 0x2
	v_add3_u32 v60, v60, v7, v2
	s_wait_dscnt 0x1
	s_delay_alu instid0(VALU_DEP_1) | instskip(SKIP_1) | instid1(VALU_DEP_1)
	v_add3_u32 v60, v60, v3, v0
	s_wait_dscnt 0x0
	v_add3_u32 v4, v60, v1, v4
	v_and_b32_e32 v60, 15, v16
	s_delay_alu instid0(VALU_DEP_2) | instskip(NEXT) | instid1(VALU_DEP_2)
	v_mov_b32_dpp v61, v4 row_shr:1 row_mask:0xf bank_mask:0xf
	v_cmp_eq_u32_e32 vcc_lo, 0, v60
	v_cmp_lt_u32_e64 s0, 1, v60
	s_delay_alu instid0(VALU_DEP_3) | instskip(NEXT) | instid1(VALU_DEP_1)
	v_cndmask_b32_e64 v61, v61, 0, vcc_lo
	v_add_nc_u32_e32 v4, v61, v4
	s_delay_alu instid0(VALU_DEP_1) | instskip(NEXT) | instid1(VALU_DEP_1)
	v_mov_b32_dpp v61, v4 row_shr:2 row_mask:0xf bank_mask:0xf
	v_cndmask_b32_e64 v61, 0, v61, s0
	v_cmp_lt_u32_e64 s2, 7, v60
	v_cmp_lt_u32_e64 s1, 3, v60
	s_delay_alu instid0(VALU_DEP_3) | instskip(NEXT) | instid1(VALU_DEP_1)
	v_add_nc_u32_e32 v4, v4, v61
	v_mov_b32_dpp v61, v4 row_shr:4 row_mask:0xf bank_mask:0xf
	s_delay_alu instid0(VALU_DEP_1) | instskip(NEXT) | instid1(VALU_DEP_1)
	v_cndmask_b32_e64 v61, 0, v61, s1
	v_add_nc_u32_e32 v4, v4, v61
	s_delay_alu instid0(VALU_DEP_1) | instskip(NEXT) | instid1(VALU_DEP_1)
	v_mov_b32_dpp v61, v4 row_shr:8 row_mask:0xf bank_mask:0xf
	v_cndmask_b32_e64 v60, 0, v61, s2
	v_bfe_i32 v61, v16, 4, 1
	s_delay_alu instid0(VALU_DEP_2) | instskip(SKIP_3) | instid1(VALU_DEP_1)
	v_add_nc_u32_e32 v4, v4, v60
	ds_swizzle_b32 v60, v4 offset:swizzle(BROADCAST,32,15)
	s_wait_dscnt 0x0
	v_dual_lshrrev_b32 v60, 5, v14 :: v_dual_bitop2_b32 v61, v61, v60 bitop3:0x40
	v_add_nc_u32_e32 v17, v4, v61
	v_cmpx_eq_u32_e64 v14, v62
; %bb.116:
	s_delay_alu instid0(VALU_DEP_3)
	v_lshlrev_b32_e32 v4, 2, v60
	ds_store_b32 v4, v17
; %bb.117:
	s_or_b32 exec_lo, exec_lo, s4
	v_lshlrev_b32_e32 v4, 2, v14
	s_mov_b32 s4, exec_lo
	s_wait_dscnt 0x0
	s_barrier_signal -1
	s_barrier_wait -1
	v_cmpx_gt_u32_e32 16, v14
	s_cbranch_execz .LBB978_119
; %bb.118:
	ds_load_b32 v61, v4
	s_wait_dscnt 0x0
	v_mov_b32_dpp v62, v61 row_shr:1 row_mask:0xf bank_mask:0xf
	s_delay_alu instid0(VALU_DEP_1) | instskip(NEXT) | instid1(VALU_DEP_1)
	v_cndmask_b32_e64 v62, v62, 0, vcc_lo
	v_add_nc_u32_e32 v61, v62, v61
	s_delay_alu instid0(VALU_DEP_1) | instskip(NEXT) | instid1(VALU_DEP_1)
	v_mov_b32_dpp v62, v61 row_shr:2 row_mask:0xf bank_mask:0xf
	v_cndmask_b32_e64 v62, 0, v62, s0
	s_delay_alu instid0(VALU_DEP_1) | instskip(NEXT) | instid1(VALU_DEP_1)
	v_add_nc_u32_e32 v61, v61, v62
	v_mov_b32_dpp v62, v61 row_shr:4 row_mask:0xf bank_mask:0xf
	s_delay_alu instid0(VALU_DEP_1) | instskip(NEXT) | instid1(VALU_DEP_1)
	v_cndmask_b32_e64 v62, 0, v62, s1
	v_add_nc_u32_e32 v61, v61, v62
	s_delay_alu instid0(VALU_DEP_1) | instskip(NEXT) | instid1(VALU_DEP_1)
	v_mov_b32_dpp v62, v61 row_shr:8 row_mask:0xf bank_mask:0xf
	v_cndmask_b32_e64 v62, 0, v62, s2
	s_delay_alu instid0(VALU_DEP_1)
	v_add_nc_u32_e32 v61, v61, v62
	ds_store_b32 v4, v61
.LBB978_119:
	s_or_b32 exec_lo, exec_lo, s4
	v_mov_b32_e32 v61, 0
	s_mov_b32 s0, exec_lo
	s_wait_dscnt 0x0
	s_barrier_signal -1
	s_barrier_wait -1
	v_cmpx_lt_u32_e32 31, v14
; %bb.120:
	v_lshl_add_u32 v60, v60, 2, -4
	ds_load_b32 v61, v60
; %bb.121:
	s_or_b32 exec_lo, exec_lo, s0
	v_sub_co_u32 v60, vcc_lo, v16, 1
	s_wait_dscnt 0x0
	v_add_nc_u32_e32 v17, v61, v17
	s_delay_alu instid0(VALU_DEP_2) | instskip(NEXT) | instid1(VALU_DEP_1)
	v_cmp_gt_i32_e64 s0, 0, v60
	v_cndmask_b32_e64 v16, v60, v16, s0
	v_cmp_lt_u32_e64 s0, 0xff, v14
	s_delay_alu instid0(VALU_DEP_2) | instskip(SKIP_4) | instid1(VALU_DEP_2)
	v_lshlrev_b32_e32 v16, 2, v16
	ds_bpermute_b32 v16, v16, v17
	s_wait_dscnt 0x0
	v_cndmask_b32_e32 v16, v16, v61, vcc_lo
	v_cmp_ne_u32_e32 vcc_lo, 0, v14
	v_cndmask_b32_e32 v16, 0, v16, vcc_lo
	v_cmp_gt_u32_e32 vcc_lo, 0x100, v14
	s_delay_alu instid0(VALU_DEP_2) | instskip(NEXT) | instid1(VALU_DEP_1)
	v_add_nc_u32_e32 v8, v16, v8
	v_add_nc_u32_e32 v9, v8, v9
	s_delay_alu instid0(VALU_DEP_1) | instskip(NEXT) | instid1(VALU_DEP_1)
	v_add_nc_u32_e32 v6, v9, v6
	v_add_nc_u32_e32 v7, v6, v7
	s_delay_alu instid0(VALU_DEP_1) | instskip(NEXT) | instid1(VALU_DEP_1)
	;; [unrolled: 3-line block ×3, first 2 shown]
	v_add_nc_u32_e32 v0, v3, v0
	v_add_nc_u32_e32 v1, v0, v1
	ds_store_2addr_b32 v10, v16, v8 offset0:16 offset1:17
	ds_store_2addr_b32 v10, v9, v6 offset0:18 offset1:19
	;; [unrolled: 1-line block ×4, first 2 shown]
	ds_store_b32 v10, v1 offset:96
	s_wait_dscnt 0x0
	s_barrier_signal -1
	s_barrier_wait -1
	ds_load_b32 v62, v11 offset:64
	ds_load_b32 v60, v12 offset:64
	;; [unrolled: 1-line block ×12, first 2 shown]
	v_mov_b64_e32 v[0:1], 0
                                        ; implicit-def: $vgpr2
	s_and_saveexec_b32 s2, vcc_lo
	s_cbranch_execz .LBB978_125
; %bb.122:
	v_mul_u32_u24_e32 v0, 0x44, v14
	v_dual_mov_b32 v1, 0x1800 :: v_dual_add_nc_u32 v2, 1, v14
	s_mov_b32 s3, exec_lo
	ds_load_b32 v0, v0 offset:64
	v_cmpx_ne_u32_e32 0x100, v2
; %bb.123:
	v_mul_u32_u24_e32 v1, 0x44, v2
	ds_load_b32 v1, v1 offset:64
; %bb.124:
	s_or_b32 exec_lo, exec_lo, s3
	s_wait_dscnt 0x0
	v_dual_mov_b32 v1, 0 :: v_dual_sub_nc_u32 v2, v1, v0
.LBB978_125:
	s_or_b32 exec_lo, exec_lo, s2
	v_dual_mov_b32 v7, 0 :: v_dual_lshlrev_b32 v3, 3, v14
	s_wait_dscnt 0x0
	s_barrier_signal -1
	s_barrier_wait -1
	s_and_saveexec_b32 s1, vcc_lo
	s_cbranch_execz .LBB978_135
; %bb.126:
	v_lshl_add_u32 v6, s9, 8, v14
	v_dual_mov_b32 v10, 0 :: v_dual_bitop2_b32 v11, 2.0, v2 bitop3:0x54
	s_mov_b32 s2, 0
	s_mov_b32 s3, s9
	s_delay_alu instid0(VALU_DEP_2)
	v_lshl_add_u64 v[8:9], v[6:7], 2, s[10:11]
	global_store_b32 v6, v11, s[10:11] scale_offset scope:SCOPE_DEV
                                        ; implicit-def: $sgpr4
	s_branch .LBB978_129
.LBB978_127:                            ;   in Loop: Header=BB978_129 Depth=1
	s_or_b32 exec_lo, exec_lo, s6
.LBB978_128:                            ;   in Loop: Header=BB978_129 Depth=1
	s_delay_alu instid0(SALU_CYCLE_1) | instskip(SKIP_2) | instid1(VALU_DEP_2)
	s_or_b32 exec_lo, exec_lo, s4
	v_and_b32_e32 v6, 0x3fffffff, v11
	v_cmp_gt_i32_e64 s4, -2.0, v11
	v_add_nc_u32_e32 v10, v6, v10
	s_and_b32 s6, exec_lo, s4
	s_delay_alu instid0(SALU_CYCLE_1) | instskip(NEXT) | instid1(SALU_CYCLE_1)
	s_or_b32 s2, s6, s2
	s_and_not1_b32 exec_lo, exec_lo, s2
	s_cbranch_execz .LBB978_134
.LBB978_129:                            ; =>This Loop Header: Depth=1
                                        ;     Child Loop BB978_132 Depth 2
	s_or_b32 s4, s4, exec_lo
	s_cmp_eq_u32 s3, 0
	s_cbranch_scc1 .LBB978_133
; %bb.130:                              ;   in Loop: Header=BB978_129 Depth=1
	s_add_co_i32 s3, s3, -1
	s_mov_b32 s4, exec_lo
	s_wait_xcnt 0x0
	v_lshl_or_b32 v6, s3, 8, v14
	global_load_b32 v11, v6, s[10:11] scale_offset scope:SCOPE_DEV
	s_wait_loadcnt 0x0
	v_cmpx_gt_u32_e32 2.0, v11
	s_cbranch_execz .LBB978_128
; %bb.131:                              ;   in Loop: Header=BB978_129 Depth=1
	v_lshl_add_u64 v[12:13], v[6:7], 2, s[10:11]
	s_mov_b32 s6, 0
.LBB978_132:                            ;   Parent Loop BB978_129 Depth=1
                                        ; =>  This Inner Loop Header: Depth=2
	global_load_b32 v11, v[12:13], off scope:SCOPE_DEV
	s_wait_loadcnt 0x0
	v_cmp_lt_u32_e32 vcc_lo, 0x3fffffff, v11
	s_or_b32 s6, vcc_lo, s6
	s_wait_xcnt 0x0
	s_and_not1_b32 exec_lo, exec_lo, s6
	s_cbranch_execnz .LBB978_132
	s_branch .LBB978_127
.LBB978_133:                            ;   in Loop: Header=BB978_129 Depth=1
                                        ; implicit-def: $sgpr3
	s_and_b32 s6, exec_lo, s4
	s_delay_alu instid0(SALU_CYCLE_1)
	s_or_b32 s2, s6, s2
	s_wait_xcnt 0x0
	s_and_not1_b32 exec_lo, exec_lo, s2
	s_cbranch_execnz .LBB978_129
.LBB978_134:
	s_or_b32 exec_lo, exec_lo, s2
	v_dual_mov_b32 v11, 0 :: v_dual_add_nc_u32 v6, v10, v2
	s_delay_alu instid0(VALU_DEP_1) | instskip(SKIP_4) | instid1(VALU_DEP_1)
	v_or_b32_e32 v6, 0x80000000, v6
	global_store_b32 v[8:9], v6, off scope:SCOPE_DEV
	global_load_b64 v[6:7], v14, s[12:13] scale_offset
	v_sub_nc_u64_e32 v[8:9], v[10:11], v[0:1]
	s_wait_loadcnt 0x0
	v_add_nc_u64_e32 v[6:7], v[8:9], v[6:7]
	ds_store_b64 v3, v[6:7]
.LBB978_135:
	s_wait_xcnt 0x0
	s_or_b32 exec_lo, exec_lo, s1
	v_dual_add_nc_u32 v6, v62, v5 :: v_dual_sub_nc_u32 v56, 0, v4
	v_mov_b32_e32 v5, 0
	v_add3_u32 v21, v22, v60, v21
	v_add3_u32 v7, v58, v54, v57
	;; [unrolled: 1-line block ×3, first 2 shown]
	v_add_nc_u32_e32 v22, v3, v56
	v_add_nc_u64_e32 v[4:5], s[18:19], v[4:5]
	v_add3_u32 v9, v52, v47, v50
	v_add3_u32 v10, v48, v44, v46
	;; [unrolled: 1-line block ×6, first 2 shown]
	v_add_nc_u64_e32 v[4:5], 0x2000, v[4:5]
	v_add3_u32 v17, v28, v17, v27
	v_add3_u32 v24, v25, v61, v24
	v_mov_b32_e32 v25, v14
	s_mov_b32 s1, 0
	s_mov_b32 s2, -1
	s_branch .LBB978_137
.LBB978_136:                            ;   in Loop: Header=BB978_137 Depth=1
	s_wait_xcnt 0x0
	s_or_b32 exec_lo, exec_lo, s3
	v_add_nc_u64_e32 v[4:5], 0x4000, v[4:5]
	v_add_nc_u32_e32 v25, 0x1000, v25
	s_xor_b32 s2, s2, -1
	s_addk_co_i32 s1, 0xf000
	s_and_b32 vcc_lo, exec_lo, s2
	s_mov_b32 s2, 0
	s_wait_storecnt 0x0
	s_barrier_signal -1
	s_barrier_wait -1
	s_cbranch_vccnz .LBB978_147
.LBB978_137:                            ; =>This Inner Loop Header: Depth=1
	v_add_min_u32_e64 v27, v6, s1, 0x1000
	v_add_min_u32_e64 v28, v21, s1, 0x1000
	;; [unrolled: 1-line block ×5, first 2 shown]
	s_delay_alu instid0(VALU_DEP_4)
	v_dual_lshlrev_b32 v27, 2, v27 :: v_dual_lshlrev_b32 v28, 2, v28
	v_add_min_u32_e64 v34, v13, s1, 0x1000
	v_add_min_u32_e64 v35, v12, s1, 0x1000
	s_mov_b32 s3, exec_lo
	ds_store_b32 v27, v15 offset:2048
	ds_store_b32 v28, v18 offset:2048
	v_dual_lshlrev_b32 v27, 2, v30 :: v_dual_lshlrev_b32 v28, 2, v31
	v_dual_lshlrev_b32 v30, 2, v33 :: v_dual_lshlrev_b32 v31, 2, v34
	v_lshlrev_b32_e32 v33, 2, v35
	ds_store_b32 v27, v19 offset:2048
	ds_store_b32 v28, v20 offset:2048
	;; [unrolled: 1-line block ×5, first 2 shown]
	v_add_min_u32_e64 v27, v11, s1, 0x1000
	v_add_min_u32_e64 v28, v10, s1, 0x1000
	;; [unrolled: 1-line block ×5, first 2 shown]
	s_delay_alu instid0(VALU_DEP_4) | instskip(NEXT) | instid1(VALU_DEP_3)
	v_dual_lshlrev_b32 v27, 2, v27 :: v_dual_lshlrev_b32 v28, 2, v28
	v_dual_lshlrev_b32 v30, 2, v30 :: v_dual_lshlrev_b32 v31, 2, v31
	s_delay_alu instid0(VALU_DEP_3)
	v_lshlrev_b32_e32 v33, 2, v33
	ds_store_b32 v27, v32 offset:2048
	ds_store_b32 v28, v36 offset:2048
	;; [unrolled: 1-line block ×5, first 2 shown]
	s_wait_storecnt_dscnt 0x0
	s_barrier_signal -1
	s_barrier_wait -1
	ds_load_2addr_stride64_b32 v[30:31], v22 offset0:8 offset1:16
	s_wait_dscnt 0x0
	v_dual_lshrrev_b32 v27, s20, v31 :: v_dual_lshrrev_b32 v28, s20, v30
	s_delay_alu instid0(VALU_DEP_1) | instskip(NEXT) | instid1(VALU_DEP_1)
	v_and_b32_e32 v28, s5, v28
	v_dual_lshlrev_b32 v28, 3, v28 :: v_dual_bitop2_b32 v27, s5, v27 bitop3:0x40
	s_delay_alu instid0(VALU_DEP_1)
	v_lshlrev_b32_e32 v27, 3, v27
	ds_load_b64 v[34:35], v27
	ds_load_b32 v27, v22 offset:6144
	s_wait_dscnt 0x0
	v_lshrrev_b32_e32 v33, s20, v27
	v_xor_b32_e32 v27, 0x80000000, v27
	s_delay_alu instid0(VALU_DEP_2) | instskip(NEXT) | instid1(VALU_DEP_1)
	v_and_b32_e32 v33, s5, v33
	v_lshlrev_b32_e32 v33, 3, v33
	ds_load_b64 v[38:39], v28
	ds_load_b64 v[42:43], v33
	v_xor_b32_e32 v28, 0x80000000, v30
	v_xor_b32_e32 v33, 0x80000000, v31
	v_lshl_add_u64 v[30:31], v[34:35], 2, v[4:5]
	s_wait_dscnt 0x1
	v_lshl_add_u64 v[38:39], v[38:39], 2, v[4:5]
	s_wait_dscnt 0x0
	v_lshl_add_u64 v[34:35], v[42:43], 2, v[4:5]
	s_clause 0x2
	global_store_b32 v[38:39], v28, off offset:-8192
	global_store_b32 v[30:31], v33, off offset:-6144
	;; [unrolled: 1-line block ×3, first 2 shown]
	s_wait_xcnt 0x0
	v_cmpx_gt_u32_e32 0x1200, v25
	s_cbranch_execz .LBB978_139
; %bb.138:                              ;   in Loop: Header=BB978_137 Depth=1
	ds_load_b32 v27, v22 offset:8192
	s_wait_dscnt 0x0
	v_lshrrev_b32_e32 v28, s20, v27
	v_xor_b32_e32 v27, 0x80000000, v27
	s_delay_alu instid0(VALU_DEP_2) | instskip(NEXT) | instid1(VALU_DEP_1)
	v_and_b32_e32 v28, s5, v28
	v_lshlrev_b32_e32 v28, 3, v28
	ds_load_b64 v[30:31], v28
	s_wait_dscnt 0x0
	v_lshl_add_u64 v[30:31], v[30:31], 2, v[4:5]
	global_store_b32 v[30:31], v27, off offset:-2048
.LBB978_139:                            ;   in Loop: Header=BB978_137 Depth=1
	s_wait_xcnt 0x0
	s_or_b32 exec_lo, exec_lo, s3
	v_add_nc_u32_e32 v27, 0x800, v25
	s_mov_b32 s3, exec_lo
	s_delay_alu instid0(VALU_DEP_1)
	v_cmpx_gt_u32_e32 0x1800, v27
	s_cbranch_execz .LBB978_141
; %bb.140:                              ;   in Loop: Header=BB978_137 Depth=1
	ds_load_b32 v27, v22 offset:10240
	s_wait_dscnt 0x0
	v_lshrrev_b32_e32 v28, s20, v27
	v_xor_b32_e32 v27, 0x80000000, v27
	s_delay_alu instid0(VALU_DEP_2) | instskip(NEXT) | instid1(VALU_DEP_1)
	v_and_b32_e32 v28, s5, v28
	v_lshlrev_b32_e32 v28, 3, v28
	ds_load_b64 v[30:31], v28
	s_wait_dscnt 0x0
	v_lshl_add_u64 v[30:31], v[30:31], 2, v[4:5]
	global_store_b32 v[30:31], v27, off
.LBB978_141:                            ;   in Loop: Header=BB978_137 Depth=1
	s_wait_xcnt 0x0
	s_or_b32 exec_lo, exec_lo, s3
	s_delay_alu instid0(SALU_CYCLE_1)
	s_mov_b32 s3, exec_lo
	v_cmpx_gt_u32_e32 0xe00, v25
	s_cbranch_execz .LBB978_143
; %bb.142:                              ;   in Loop: Header=BB978_137 Depth=1
	ds_load_b32 v27, v22 offset:12288
	s_wait_dscnt 0x0
	v_lshrrev_b32_e32 v28, s20, v27
	v_xor_b32_e32 v27, 0x80000000, v27
	s_delay_alu instid0(VALU_DEP_2) | instskip(NEXT) | instid1(VALU_DEP_1)
	v_and_b32_e32 v28, s5, v28
	v_lshlrev_b32_e32 v28, 3, v28
	ds_load_b64 v[30:31], v28
	s_wait_dscnt 0x0
	v_lshl_add_u64 v[30:31], v[30:31], 2, v[4:5]
	global_store_b32 v[30:31], v27, off offset:2048
.LBB978_143:                            ;   in Loop: Header=BB978_137 Depth=1
	s_wait_xcnt 0x0
	s_or_b32 exec_lo, exec_lo, s3
	v_add_nc_u32_e32 v27, 0xc00, v25
	s_mov_b32 s3, exec_lo
	s_delay_alu instid0(VALU_DEP_1)
	v_cmpx_gt_u32_e32 0x1800, v27
	s_cbranch_execz .LBB978_145
; %bb.144:                              ;   in Loop: Header=BB978_137 Depth=1
	ds_load_b32 v27, v22 offset:14336
	s_wait_dscnt 0x0
	v_lshrrev_b32_e32 v28, s20, v27
	v_xor_b32_e32 v27, 0x80000000, v27
	s_delay_alu instid0(VALU_DEP_2) | instskip(NEXT) | instid1(VALU_DEP_1)
	v_and_b32_e32 v28, s5, v28
	v_lshlrev_b32_e32 v28, 3, v28
	ds_load_b64 v[30:31], v28
	s_wait_dscnt 0x0
	v_lshl_add_u64 v[30:31], v[30:31], 2, v[4:5]
	global_store_b32 v[30:31], v27, off offset:4096
.LBB978_145:                            ;   in Loop: Header=BB978_137 Depth=1
	s_wait_xcnt 0x0
	s_or_b32 exec_lo, exec_lo, s3
	s_delay_alu instid0(SALU_CYCLE_1)
	s_mov_b32 s3, exec_lo
	v_cmpx_gt_u32_e32 0xa00, v25
	s_cbranch_execz .LBB978_136
; %bb.146:                              ;   in Loop: Header=BB978_137 Depth=1
	ds_load_b32 v27, v22 offset:16384
	s_wait_dscnt 0x0
	v_lshrrev_b32_e32 v28, s20, v27
	v_xor_b32_e32 v27, 0x80000000, v27
	s_delay_alu instid0(VALU_DEP_2) | instskip(NEXT) | instid1(VALU_DEP_1)
	v_and_b32_e32 v28, s5, v28
	v_lshlrev_b32_e32 v28, 3, v28
	ds_load_b64 v[30:31], v28
	s_wait_dscnt 0x0
	v_lshl_add_u64 v[30:31], v[30:31], 2, v[4:5]
	global_store_b32 v[30:31], v27, off offset:6144
	s_branch .LBB978_136
.LBB978_147:
	s_add_co_i32 s7, s7, -1
	s_delay_alu instid0(SALU_CYCLE_1) | instskip(SKIP_2) | instid1(SALU_CYCLE_1)
	s_cmp_eq_u32 s9, s7
	s_cselect_b32 s1, -1, 0
	s_xor_b32 s0, s0, -1
	s_and_b32 s0, s0, s1
	s_delay_alu instid0(SALU_CYCLE_1)
	s_and_saveexec_b32 s1, s0
	s_cbranch_execz .LBB978_149
; %bb.148:
	ds_load_b64 v[4:5], v3
	v_mov_b32_e32 v3, 0
	s_delay_alu instid0(VALU_DEP_1) | instskip(SKIP_1) | instid1(VALU_DEP_1)
	v_add_nc_u64_e32 v[0:1], v[0:1], v[2:3]
	s_wait_dscnt 0x0
	v_add_nc_u64_e32 v[0:1], v[0:1], v[4:5]
	global_store_b64 v14, v[0:1], s[14:15] scale_offset
.LBB978_149:
	s_sendmsg sendmsg(MSG_DEALLOC_VGPRS)
	s_endpgm
	.section	.rodata,"a",@progbits
	.p2align	6, 0x0
	.amdhsa_kernel _ZN7rocprim17ROCPRIM_400000_NS6detail17trampoline_kernelINS0_14default_configENS1_35radix_sort_onesweep_config_selectorIiNS0_10empty_typeEEEZZNS1_29radix_sort_onesweep_iterationIS3_Lb0EPKiPiPS5_SB_mNS0_19identity_decomposerENS1_16block_id_wrapperIjLb0EEEEE10hipError_tT1_PNSt15iterator_traitsISG_E10value_typeET2_T3_PNSH_ISM_E10value_typeET4_T5_PSR_SS_PNS1_23onesweep_lookback_stateEbbT6_jjT7_P12ihipStream_tbENKUlT_T0_SG_SL_E_clIS9_SA_SB_SB_EEDaSZ_S10_SG_SL_EUlSZ_E_NS1_11comp_targetILNS1_3genE0ELNS1_11target_archE4294967295ELNS1_3gpuE0ELNS1_3repE0EEENS1_47radix_sort_onesweep_sort_config_static_selectorELNS0_4arch9wavefront6targetE0EEEvSG_
		.amdhsa_group_segment_fixed_size 18504
		.amdhsa_private_segment_fixed_size 0
		.amdhsa_kernarg_size 344
		.amdhsa_user_sgpr_count 2
		.amdhsa_user_sgpr_dispatch_ptr 0
		.amdhsa_user_sgpr_queue_ptr 0
		.amdhsa_user_sgpr_kernarg_segment_ptr 1
		.amdhsa_user_sgpr_dispatch_id 0
		.amdhsa_user_sgpr_kernarg_preload_length 0
		.amdhsa_user_sgpr_kernarg_preload_offset 0
		.amdhsa_user_sgpr_private_segment_size 0
		.amdhsa_wavefront_size32 1
		.amdhsa_uses_dynamic_stack 0
		.amdhsa_enable_private_segment 0
		.amdhsa_system_sgpr_workgroup_id_x 1
		.amdhsa_system_sgpr_workgroup_id_y 0
		.amdhsa_system_sgpr_workgroup_id_z 0
		.amdhsa_system_sgpr_workgroup_info 0
		.amdhsa_system_vgpr_workitem_id 2
		.amdhsa_next_free_vgpr 65
		.amdhsa_next_free_sgpr 29
		.amdhsa_named_barrier_count 0
		.amdhsa_reserve_vcc 1
		.amdhsa_float_round_mode_32 0
		.amdhsa_float_round_mode_16_64 0
		.amdhsa_float_denorm_mode_32 3
		.amdhsa_float_denorm_mode_16_64 3
		.amdhsa_fp16_overflow 0
		.amdhsa_memory_ordered 1
		.amdhsa_forward_progress 1
		.amdhsa_inst_pref_size 121
		.amdhsa_round_robin_scheduling 0
		.amdhsa_exception_fp_ieee_invalid_op 0
		.amdhsa_exception_fp_denorm_src 0
		.amdhsa_exception_fp_ieee_div_zero 0
		.amdhsa_exception_fp_ieee_overflow 0
		.amdhsa_exception_fp_ieee_underflow 0
		.amdhsa_exception_fp_ieee_inexact 0
		.amdhsa_exception_int_div_zero 0
	.end_amdhsa_kernel
	.section	.text._ZN7rocprim17ROCPRIM_400000_NS6detail17trampoline_kernelINS0_14default_configENS1_35radix_sort_onesweep_config_selectorIiNS0_10empty_typeEEEZZNS1_29radix_sort_onesweep_iterationIS3_Lb0EPKiPiPS5_SB_mNS0_19identity_decomposerENS1_16block_id_wrapperIjLb0EEEEE10hipError_tT1_PNSt15iterator_traitsISG_E10value_typeET2_T3_PNSH_ISM_E10value_typeET4_T5_PSR_SS_PNS1_23onesweep_lookback_stateEbbT6_jjT7_P12ihipStream_tbENKUlT_T0_SG_SL_E_clIS9_SA_SB_SB_EEDaSZ_S10_SG_SL_EUlSZ_E_NS1_11comp_targetILNS1_3genE0ELNS1_11target_archE4294967295ELNS1_3gpuE0ELNS1_3repE0EEENS1_47radix_sort_onesweep_sort_config_static_selectorELNS0_4arch9wavefront6targetE0EEEvSG_,"axG",@progbits,_ZN7rocprim17ROCPRIM_400000_NS6detail17trampoline_kernelINS0_14default_configENS1_35radix_sort_onesweep_config_selectorIiNS0_10empty_typeEEEZZNS1_29radix_sort_onesweep_iterationIS3_Lb0EPKiPiPS5_SB_mNS0_19identity_decomposerENS1_16block_id_wrapperIjLb0EEEEE10hipError_tT1_PNSt15iterator_traitsISG_E10value_typeET2_T3_PNSH_ISM_E10value_typeET4_T5_PSR_SS_PNS1_23onesweep_lookback_stateEbbT6_jjT7_P12ihipStream_tbENKUlT_T0_SG_SL_E_clIS9_SA_SB_SB_EEDaSZ_S10_SG_SL_EUlSZ_E_NS1_11comp_targetILNS1_3genE0ELNS1_11target_archE4294967295ELNS1_3gpuE0ELNS1_3repE0EEENS1_47radix_sort_onesweep_sort_config_static_selectorELNS0_4arch9wavefront6targetE0EEEvSG_,comdat
.Lfunc_end978:
	.size	_ZN7rocprim17ROCPRIM_400000_NS6detail17trampoline_kernelINS0_14default_configENS1_35radix_sort_onesweep_config_selectorIiNS0_10empty_typeEEEZZNS1_29radix_sort_onesweep_iterationIS3_Lb0EPKiPiPS5_SB_mNS0_19identity_decomposerENS1_16block_id_wrapperIjLb0EEEEE10hipError_tT1_PNSt15iterator_traitsISG_E10value_typeET2_T3_PNSH_ISM_E10value_typeET4_T5_PSR_SS_PNS1_23onesweep_lookback_stateEbbT6_jjT7_P12ihipStream_tbENKUlT_T0_SG_SL_E_clIS9_SA_SB_SB_EEDaSZ_S10_SG_SL_EUlSZ_E_NS1_11comp_targetILNS1_3genE0ELNS1_11target_archE4294967295ELNS1_3gpuE0ELNS1_3repE0EEENS1_47radix_sort_onesweep_sort_config_static_selectorELNS0_4arch9wavefront6targetE0EEEvSG_, .Lfunc_end978-_ZN7rocprim17ROCPRIM_400000_NS6detail17trampoline_kernelINS0_14default_configENS1_35radix_sort_onesweep_config_selectorIiNS0_10empty_typeEEEZZNS1_29radix_sort_onesweep_iterationIS3_Lb0EPKiPiPS5_SB_mNS0_19identity_decomposerENS1_16block_id_wrapperIjLb0EEEEE10hipError_tT1_PNSt15iterator_traitsISG_E10value_typeET2_T3_PNSH_ISM_E10value_typeET4_T5_PSR_SS_PNS1_23onesweep_lookback_stateEbbT6_jjT7_P12ihipStream_tbENKUlT_T0_SG_SL_E_clIS9_SA_SB_SB_EEDaSZ_S10_SG_SL_EUlSZ_E_NS1_11comp_targetILNS1_3genE0ELNS1_11target_archE4294967295ELNS1_3gpuE0ELNS1_3repE0EEENS1_47radix_sort_onesweep_sort_config_static_selectorELNS0_4arch9wavefront6targetE0EEEvSG_
                                        ; -- End function
	.set _ZN7rocprim17ROCPRIM_400000_NS6detail17trampoline_kernelINS0_14default_configENS1_35radix_sort_onesweep_config_selectorIiNS0_10empty_typeEEEZZNS1_29radix_sort_onesweep_iterationIS3_Lb0EPKiPiPS5_SB_mNS0_19identity_decomposerENS1_16block_id_wrapperIjLb0EEEEE10hipError_tT1_PNSt15iterator_traitsISG_E10value_typeET2_T3_PNSH_ISM_E10value_typeET4_T5_PSR_SS_PNS1_23onesweep_lookback_stateEbbT6_jjT7_P12ihipStream_tbENKUlT_T0_SG_SL_E_clIS9_SA_SB_SB_EEDaSZ_S10_SG_SL_EUlSZ_E_NS1_11comp_targetILNS1_3genE0ELNS1_11target_archE4294967295ELNS1_3gpuE0ELNS1_3repE0EEENS1_47radix_sort_onesweep_sort_config_static_selectorELNS0_4arch9wavefront6targetE0EEEvSG_.num_vgpr, 65
	.set _ZN7rocprim17ROCPRIM_400000_NS6detail17trampoline_kernelINS0_14default_configENS1_35radix_sort_onesweep_config_selectorIiNS0_10empty_typeEEEZZNS1_29radix_sort_onesweep_iterationIS3_Lb0EPKiPiPS5_SB_mNS0_19identity_decomposerENS1_16block_id_wrapperIjLb0EEEEE10hipError_tT1_PNSt15iterator_traitsISG_E10value_typeET2_T3_PNSH_ISM_E10value_typeET4_T5_PSR_SS_PNS1_23onesweep_lookback_stateEbbT6_jjT7_P12ihipStream_tbENKUlT_T0_SG_SL_E_clIS9_SA_SB_SB_EEDaSZ_S10_SG_SL_EUlSZ_E_NS1_11comp_targetILNS1_3genE0ELNS1_11target_archE4294967295ELNS1_3gpuE0ELNS1_3repE0EEENS1_47radix_sort_onesweep_sort_config_static_selectorELNS0_4arch9wavefront6targetE0EEEvSG_.num_agpr, 0
	.set _ZN7rocprim17ROCPRIM_400000_NS6detail17trampoline_kernelINS0_14default_configENS1_35radix_sort_onesweep_config_selectorIiNS0_10empty_typeEEEZZNS1_29radix_sort_onesweep_iterationIS3_Lb0EPKiPiPS5_SB_mNS0_19identity_decomposerENS1_16block_id_wrapperIjLb0EEEEE10hipError_tT1_PNSt15iterator_traitsISG_E10value_typeET2_T3_PNSH_ISM_E10value_typeET4_T5_PSR_SS_PNS1_23onesweep_lookback_stateEbbT6_jjT7_P12ihipStream_tbENKUlT_T0_SG_SL_E_clIS9_SA_SB_SB_EEDaSZ_S10_SG_SL_EUlSZ_E_NS1_11comp_targetILNS1_3genE0ELNS1_11target_archE4294967295ELNS1_3gpuE0ELNS1_3repE0EEENS1_47radix_sort_onesweep_sort_config_static_selectorELNS0_4arch9wavefront6targetE0EEEvSG_.numbered_sgpr, 29
	.set _ZN7rocprim17ROCPRIM_400000_NS6detail17trampoline_kernelINS0_14default_configENS1_35radix_sort_onesweep_config_selectorIiNS0_10empty_typeEEEZZNS1_29radix_sort_onesweep_iterationIS3_Lb0EPKiPiPS5_SB_mNS0_19identity_decomposerENS1_16block_id_wrapperIjLb0EEEEE10hipError_tT1_PNSt15iterator_traitsISG_E10value_typeET2_T3_PNSH_ISM_E10value_typeET4_T5_PSR_SS_PNS1_23onesweep_lookback_stateEbbT6_jjT7_P12ihipStream_tbENKUlT_T0_SG_SL_E_clIS9_SA_SB_SB_EEDaSZ_S10_SG_SL_EUlSZ_E_NS1_11comp_targetILNS1_3genE0ELNS1_11target_archE4294967295ELNS1_3gpuE0ELNS1_3repE0EEENS1_47radix_sort_onesweep_sort_config_static_selectorELNS0_4arch9wavefront6targetE0EEEvSG_.num_named_barrier, 0
	.set _ZN7rocprim17ROCPRIM_400000_NS6detail17trampoline_kernelINS0_14default_configENS1_35radix_sort_onesweep_config_selectorIiNS0_10empty_typeEEEZZNS1_29radix_sort_onesweep_iterationIS3_Lb0EPKiPiPS5_SB_mNS0_19identity_decomposerENS1_16block_id_wrapperIjLb0EEEEE10hipError_tT1_PNSt15iterator_traitsISG_E10value_typeET2_T3_PNSH_ISM_E10value_typeET4_T5_PSR_SS_PNS1_23onesweep_lookback_stateEbbT6_jjT7_P12ihipStream_tbENKUlT_T0_SG_SL_E_clIS9_SA_SB_SB_EEDaSZ_S10_SG_SL_EUlSZ_E_NS1_11comp_targetILNS1_3genE0ELNS1_11target_archE4294967295ELNS1_3gpuE0ELNS1_3repE0EEENS1_47radix_sort_onesweep_sort_config_static_selectorELNS0_4arch9wavefront6targetE0EEEvSG_.private_seg_size, 0
	.set _ZN7rocprim17ROCPRIM_400000_NS6detail17trampoline_kernelINS0_14default_configENS1_35radix_sort_onesweep_config_selectorIiNS0_10empty_typeEEEZZNS1_29radix_sort_onesweep_iterationIS3_Lb0EPKiPiPS5_SB_mNS0_19identity_decomposerENS1_16block_id_wrapperIjLb0EEEEE10hipError_tT1_PNSt15iterator_traitsISG_E10value_typeET2_T3_PNSH_ISM_E10value_typeET4_T5_PSR_SS_PNS1_23onesweep_lookback_stateEbbT6_jjT7_P12ihipStream_tbENKUlT_T0_SG_SL_E_clIS9_SA_SB_SB_EEDaSZ_S10_SG_SL_EUlSZ_E_NS1_11comp_targetILNS1_3genE0ELNS1_11target_archE4294967295ELNS1_3gpuE0ELNS1_3repE0EEENS1_47radix_sort_onesweep_sort_config_static_selectorELNS0_4arch9wavefront6targetE0EEEvSG_.uses_vcc, 1
	.set _ZN7rocprim17ROCPRIM_400000_NS6detail17trampoline_kernelINS0_14default_configENS1_35radix_sort_onesweep_config_selectorIiNS0_10empty_typeEEEZZNS1_29radix_sort_onesweep_iterationIS3_Lb0EPKiPiPS5_SB_mNS0_19identity_decomposerENS1_16block_id_wrapperIjLb0EEEEE10hipError_tT1_PNSt15iterator_traitsISG_E10value_typeET2_T3_PNSH_ISM_E10value_typeET4_T5_PSR_SS_PNS1_23onesweep_lookback_stateEbbT6_jjT7_P12ihipStream_tbENKUlT_T0_SG_SL_E_clIS9_SA_SB_SB_EEDaSZ_S10_SG_SL_EUlSZ_E_NS1_11comp_targetILNS1_3genE0ELNS1_11target_archE4294967295ELNS1_3gpuE0ELNS1_3repE0EEENS1_47radix_sort_onesweep_sort_config_static_selectorELNS0_4arch9wavefront6targetE0EEEvSG_.uses_flat_scratch, 0
	.set _ZN7rocprim17ROCPRIM_400000_NS6detail17trampoline_kernelINS0_14default_configENS1_35radix_sort_onesweep_config_selectorIiNS0_10empty_typeEEEZZNS1_29radix_sort_onesweep_iterationIS3_Lb0EPKiPiPS5_SB_mNS0_19identity_decomposerENS1_16block_id_wrapperIjLb0EEEEE10hipError_tT1_PNSt15iterator_traitsISG_E10value_typeET2_T3_PNSH_ISM_E10value_typeET4_T5_PSR_SS_PNS1_23onesweep_lookback_stateEbbT6_jjT7_P12ihipStream_tbENKUlT_T0_SG_SL_E_clIS9_SA_SB_SB_EEDaSZ_S10_SG_SL_EUlSZ_E_NS1_11comp_targetILNS1_3genE0ELNS1_11target_archE4294967295ELNS1_3gpuE0ELNS1_3repE0EEENS1_47radix_sort_onesweep_sort_config_static_selectorELNS0_4arch9wavefront6targetE0EEEvSG_.has_dyn_sized_stack, 0
	.set _ZN7rocprim17ROCPRIM_400000_NS6detail17trampoline_kernelINS0_14default_configENS1_35radix_sort_onesweep_config_selectorIiNS0_10empty_typeEEEZZNS1_29radix_sort_onesweep_iterationIS3_Lb0EPKiPiPS5_SB_mNS0_19identity_decomposerENS1_16block_id_wrapperIjLb0EEEEE10hipError_tT1_PNSt15iterator_traitsISG_E10value_typeET2_T3_PNSH_ISM_E10value_typeET4_T5_PSR_SS_PNS1_23onesweep_lookback_stateEbbT6_jjT7_P12ihipStream_tbENKUlT_T0_SG_SL_E_clIS9_SA_SB_SB_EEDaSZ_S10_SG_SL_EUlSZ_E_NS1_11comp_targetILNS1_3genE0ELNS1_11target_archE4294967295ELNS1_3gpuE0ELNS1_3repE0EEENS1_47radix_sort_onesweep_sort_config_static_selectorELNS0_4arch9wavefront6targetE0EEEvSG_.has_recursion, 0
	.set _ZN7rocprim17ROCPRIM_400000_NS6detail17trampoline_kernelINS0_14default_configENS1_35radix_sort_onesweep_config_selectorIiNS0_10empty_typeEEEZZNS1_29radix_sort_onesweep_iterationIS3_Lb0EPKiPiPS5_SB_mNS0_19identity_decomposerENS1_16block_id_wrapperIjLb0EEEEE10hipError_tT1_PNSt15iterator_traitsISG_E10value_typeET2_T3_PNSH_ISM_E10value_typeET4_T5_PSR_SS_PNS1_23onesweep_lookback_stateEbbT6_jjT7_P12ihipStream_tbENKUlT_T0_SG_SL_E_clIS9_SA_SB_SB_EEDaSZ_S10_SG_SL_EUlSZ_E_NS1_11comp_targetILNS1_3genE0ELNS1_11target_archE4294967295ELNS1_3gpuE0ELNS1_3repE0EEENS1_47radix_sort_onesweep_sort_config_static_selectorELNS0_4arch9wavefront6targetE0EEEvSG_.has_indirect_call, 0
	.section	.AMDGPU.csdata,"",@progbits
; Kernel info:
; codeLenInByte = 15468
; TotalNumSgprs: 31
; NumVgprs: 65
; ScratchSize: 0
; MemoryBound: 0
; FloatMode: 240
; IeeeMode: 1
; LDSByteSize: 18504 bytes/workgroup (compile time only)
; SGPRBlocks: 0
; VGPRBlocks: 4
; NumSGPRsForWavesPerEU: 31
; NumVGPRsForWavesPerEU: 65
; NamedBarCnt: 0
; Occupancy: 12
; WaveLimiterHint : 1
; COMPUTE_PGM_RSRC2:SCRATCH_EN: 0
; COMPUTE_PGM_RSRC2:USER_SGPR: 2
; COMPUTE_PGM_RSRC2:TRAP_HANDLER: 0
; COMPUTE_PGM_RSRC2:TGID_X_EN: 1
; COMPUTE_PGM_RSRC2:TGID_Y_EN: 0
; COMPUTE_PGM_RSRC2:TGID_Z_EN: 0
; COMPUTE_PGM_RSRC2:TIDIG_COMP_CNT: 2
	.section	.text._ZN7rocprim17ROCPRIM_400000_NS6detail17trampoline_kernelINS0_14default_configENS1_35radix_sort_onesweep_config_selectorIiNS0_10empty_typeEEEZZNS1_29radix_sort_onesweep_iterationIS3_Lb0EPKiPiPS5_SB_mNS0_19identity_decomposerENS1_16block_id_wrapperIjLb0EEEEE10hipError_tT1_PNSt15iterator_traitsISG_E10value_typeET2_T3_PNSH_ISM_E10value_typeET4_T5_PSR_SS_PNS1_23onesweep_lookback_stateEbbT6_jjT7_P12ihipStream_tbENKUlT_T0_SG_SL_E_clIS9_SA_SB_SB_EEDaSZ_S10_SG_SL_EUlSZ_E_NS1_11comp_targetILNS1_3genE6ELNS1_11target_archE950ELNS1_3gpuE13ELNS1_3repE0EEENS1_47radix_sort_onesweep_sort_config_static_selectorELNS0_4arch9wavefront6targetE0EEEvSG_,"axG",@progbits,_ZN7rocprim17ROCPRIM_400000_NS6detail17trampoline_kernelINS0_14default_configENS1_35radix_sort_onesweep_config_selectorIiNS0_10empty_typeEEEZZNS1_29radix_sort_onesweep_iterationIS3_Lb0EPKiPiPS5_SB_mNS0_19identity_decomposerENS1_16block_id_wrapperIjLb0EEEEE10hipError_tT1_PNSt15iterator_traitsISG_E10value_typeET2_T3_PNSH_ISM_E10value_typeET4_T5_PSR_SS_PNS1_23onesweep_lookback_stateEbbT6_jjT7_P12ihipStream_tbENKUlT_T0_SG_SL_E_clIS9_SA_SB_SB_EEDaSZ_S10_SG_SL_EUlSZ_E_NS1_11comp_targetILNS1_3genE6ELNS1_11target_archE950ELNS1_3gpuE13ELNS1_3repE0EEENS1_47radix_sort_onesweep_sort_config_static_selectorELNS0_4arch9wavefront6targetE0EEEvSG_,comdat
	.protected	_ZN7rocprim17ROCPRIM_400000_NS6detail17trampoline_kernelINS0_14default_configENS1_35radix_sort_onesweep_config_selectorIiNS0_10empty_typeEEEZZNS1_29radix_sort_onesweep_iterationIS3_Lb0EPKiPiPS5_SB_mNS0_19identity_decomposerENS1_16block_id_wrapperIjLb0EEEEE10hipError_tT1_PNSt15iterator_traitsISG_E10value_typeET2_T3_PNSH_ISM_E10value_typeET4_T5_PSR_SS_PNS1_23onesweep_lookback_stateEbbT6_jjT7_P12ihipStream_tbENKUlT_T0_SG_SL_E_clIS9_SA_SB_SB_EEDaSZ_S10_SG_SL_EUlSZ_E_NS1_11comp_targetILNS1_3genE6ELNS1_11target_archE950ELNS1_3gpuE13ELNS1_3repE0EEENS1_47radix_sort_onesweep_sort_config_static_selectorELNS0_4arch9wavefront6targetE0EEEvSG_ ; -- Begin function _ZN7rocprim17ROCPRIM_400000_NS6detail17trampoline_kernelINS0_14default_configENS1_35radix_sort_onesweep_config_selectorIiNS0_10empty_typeEEEZZNS1_29radix_sort_onesweep_iterationIS3_Lb0EPKiPiPS5_SB_mNS0_19identity_decomposerENS1_16block_id_wrapperIjLb0EEEEE10hipError_tT1_PNSt15iterator_traitsISG_E10value_typeET2_T3_PNSH_ISM_E10value_typeET4_T5_PSR_SS_PNS1_23onesweep_lookback_stateEbbT6_jjT7_P12ihipStream_tbENKUlT_T0_SG_SL_E_clIS9_SA_SB_SB_EEDaSZ_S10_SG_SL_EUlSZ_E_NS1_11comp_targetILNS1_3genE6ELNS1_11target_archE950ELNS1_3gpuE13ELNS1_3repE0EEENS1_47radix_sort_onesweep_sort_config_static_selectorELNS0_4arch9wavefront6targetE0EEEvSG_
	.globl	_ZN7rocprim17ROCPRIM_400000_NS6detail17trampoline_kernelINS0_14default_configENS1_35radix_sort_onesweep_config_selectorIiNS0_10empty_typeEEEZZNS1_29radix_sort_onesweep_iterationIS3_Lb0EPKiPiPS5_SB_mNS0_19identity_decomposerENS1_16block_id_wrapperIjLb0EEEEE10hipError_tT1_PNSt15iterator_traitsISG_E10value_typeET2_T3_PNSH_ISM_E10value_typeET4_T5_PSR_SS_PNS1_23onesweep_lookback_stateEbbT6_jjT7_P12ihipStream_tbENKUlT_T0_SG_SL_E_clIS9_SA_SB_SB_EEDaSZ_S10_SG_SL_EUlSZ_E_NS1_11comp_targetILNS1_3genE6ELNS1_11target_archE950ELNS1_3gpuE13ELNS1_3repE0EEENS1_47radix_sort_onesweep_sort_config_static_selectorELNS0_4arch9wavefront6targetE0EEEvSG_
	.p2align	8
	.type	_ZN7rocprim17ROCPRIM_400000_NS6detail17trampoline_kernelINS0_14default_configENS1_35radix_sort_onesweep_config_selectorIiNS0_10empty_typeEEEZZNS1_29radix_sort_onesweep_iterationIS3_Lb0EPKiPiPS5_SB_mNS0_19identity_decomposerENS1_16block_id_wrapperIjLb0EEEEE10hipError_tT1_PNSt15iterator_traitsISG_E10value_typeET2_T3_PNSH_ISM_E10value_typeET4_T5_PSR_SS_PNS1_23onesweep_lookback_stateEbbT6_jjT7_P12ihipStream_tbENKUlT_T0_SG_SL_E_clIS9_SA_SB_SB_EEDaSZ_S10_SG_SL_EUlSZ_E_NS1_11comp_targetILNS1_3genE6ELNS1_11target_archE950ELNS1_3gpuE13ELNS1_3repE0EEENS1_47radix_sort_onesweep_sort_config_static_selectorELNS0_4arch9wavefront6targetE0EEEvSG_,@function
_ZN7rocprim17ROCPRIM_400000_NS6detail17trampoline_kernelINS0_14default_configENS1_35radix_sort_onesweep_config_selectorIiNS0_10empty_typeEEEZZNS1_29radix_sort_onesweep_iterationIS3_Lb0EPKiPiPS5_SB_mNS0_19identity_decomposerENS1_16block_id_wrapperIjLb0EEEEE10hipError_tT1_PNSt15iterator_traitsISG_E10value_typeET2_T3_PNSH_ISM_E10value_typeET4_T5_PSR_SS_PNS1_23onesweep_lookback_stateEbbT6_jjT7_P12ihipStream_tbENKUlT_T0_SG_SL_E_clIS9_SA_SB_SB_EEDaSZ_S10_SG_SL_EUlSZ_E_NS1_11comp_targetILNS1_3genE6ELNS1_11target_archE950ELNS1_3gpuE13ELNS1_3repE0EEENS1_47radix_sort_onesweep_sort_config_static_selectorELNS0_4arch9wavefront6targetE0EEEvSG_: ; @_ZN7rocprim17ROCPRIM_400000_NS6detail17trampoline_kernelINS0_14default_configENS1_35radix_sort_onesweep_config_selectorIiNS0_10empty_typeEEEZZNS1_29radix_sort_onesweep_iterationIS3_Lb0EPKiPiPS5_SB_mNS0_19identity_decomposerENS1_16block_id_wrapperIjLb0EEEEE10hipError_tT1_PNSt15iterator_traitsISG_E10value_typeET2_T3_PNSH_ISM_E10value_typeET4_T5_PSR_SS_PNS1_23onesweep_lookback_stateEbbT6_jjT7_P12ihipStream_tbENKUlT_T0_SG_SL_E_clIS9_SA_SB_SB_EEDaSZ_S10_SG_SL_EUlSZ_E_NS1_11comp_targetILNS1_3genE6ELNS1_11target_archE950ELNS1_3gpuE13ELNS1_3repE0EEENS1_47radix_sort_onesweep_sort_config_static_selectorELNS0_4arch9wavefront6targetE0EEEvSG_
; %bb.0:
	.section	.rodata,"a",@progbits
	.p2align	6, 0x0
	.amdhsa_kernel _ZN7rocprim17ROCPRIM_400000_NS6detail17trampoline_kernelINS0_14default_configENS1_35radix_sort_onesweep_config_selectorIiNS0_10empty_typeEEEZZNS1_29radix_sort_onesweep_iterationIS3_Lb0EPKiPiPS5_SB_mNS0_19identity_decomposerENS1_16block_id_wrapperIjLb0EEEEE10hipError_tT1_PNSt15iterator_traitsISG_E10value_typeET2_T3_PNSH_ISM_E10value_typeET4_T5_PSR_SS_PNS1_23onesweep_lookback_stateEbbT6_jjT7_P12ihipStream_tbENKUlT_T0_SG_SL_E_clIS9_SA_SB_SB_EEDaSZ_S10_SG_SL_EUlSZ_E_NS1_11comp_targetILNS1_3genE6ELNS1_11target_archE950ELNS1_3gpuE13ELNS1_3repE0EEENS1_47radix_sort_onesweep_sort_config_static_selectorELNS0_4arch9wavefront6targetE0EEEvSG_
		.amdhsa_group_segment_fixed_size 0
		.amdhsa_private_segment_fixed_size 0
		.amdhsa_kernarg_size 88
		.amdhsa_user_sgpr_count 2
		.amdhsa_user_sgpr_dispatch_ptr 0
		.amdhsa_user_sgpr_queue_ptr 0
		.amdhsa_user_sgpr_kernarg_segment_ptr 1
		.amdhsa_user_sgpr_dispatch_id 0
		.amdhsa_user_sgpr_kernarg_preload_length 0
		.amdhsa_user_sgpr_kernarg_preload_offset 0
		.amdhsa_user_sgpr_private_segment_size 0
		.amdhsa_wavefront_size32 1
		.amdhsa_uses_dynamic_stack 0
		.amdhsa_enable_private_segment 0
		.amdhsa_system_sgpr_workgroup_id_x 1
		.amdhsa_system_sgpr_workgroup_id_y 0
		.amdhsa_system_sgpr_workgroup_id_z 0
		.amdhsa_system_sgpr_workgroup_info 0
		.amdhsa_system_vgpr_workitem_id 0
		.amdhsa_next_free_vgpr 1
		.amdhsa_next_free_sgpr 1
		.amdhsa_named_barrier_count 0
		.amdhsa_reserve_vcc 0
		.amdhsa_float_round_mode_32 0
		.amdhsa_float_round_mode_16_64 0
		.amdhsa_float_denorm_mode_32 3
		.amdhsa_float_denorm_mode_16_64 3
		.amdhsa_fp16_overflow 0
		.amdhsa_memory_ordered 1
		.amdhsa_forward_progress 1
		.amdhsa_inst_pref_size 0
		.amdhsa_round_robin_scheduling 0
		.amdhsa_exception_fp_ieee_invalid_op 0
		.amdhsa_exception_fp_denorm_src 0
		.amdhsa_exception_fp_ieee_div_zero 0
		.amdhsa_exception_fp_ieee_overflow 0
		.amdhsa_exception_fp_ieee_underflow 0
		.amdhsa_exception_fp_ieee_inexact 0
		.amdhsa_exception_int_div_zero 0
	.end_amdhsa_kernel
	.section	.text._ZN7rocprim17ROCPRIM_400000_NS6detail17trampoline_kernelINS0_14default_configENS1_35radix_sort_onesweep_config_selectorIiNS0_10empty_typeEEEZZNS1_29radix_sort_onesweep_iterationIS3_Lb0EPKiPiPS5_SB_mNS0_19identity_decomposerENS1_16block_id_wrapperIjLb0EEEEE10hipError_tT1_PNSt15iterator_traitsISG_E10value_typeET2_T3_PNSH_ISM_E10value_typeET4_T5_PSR_SS_PNS1_23onesweep_lookback_stateEbbT6_jjT7_P12ihipStream_tbENKUlT_T0_SG_SL_E_clIS9_SA_SB_SB_EEDaSZ_S10_SG_SL_EUlSZ_E_NS1_11comp_targetILNS1_3genE6ELNS1_11target_archE950ELNS1_3gpuE13ELNS1_3repE0EEENS1_47radix_sort_onesweep_sort_config_static_selectorELNS0_4arch9wavefront6targetE0EEEvSG_,"axG",@progbits,_ZN7rocprim17ROCPRIM_400000_NS6detail17trampoline_kernelINS0_14default_configENS1_35radix_sort_onesweep_config_selectorIiNS0_10empty_typeEEEZZNS1_29radix_sort_onesweep_iterationIS3_Lb0EPKiPiPS5_SB_mNS0_19identity_decomposerENS1_16block_id_wrapperIjLb0EEEEE10hipError_tT1_PNSt15iterator_traitsISG_E10value_typeET2_T3_PNSH_ISM_E10value_typeET4_T5_PSR_SS_PNS1_23onesweep_lookback_stateEbbT6_jjT7_P12ihipStream_tbENKUlT_T0_SG_SL_E_clIS9_SA_SB_SB_EEDaSZ_S10_SG_SL_EUlSZ_E_NS1_11comp_targetILNS1_3genE6ELNS1_11target_archE950ELNS1_3gpuE13ELNS1_3repE0EEENS1_47radix_sort_onesweep_sort_config_static_selectorELNS0_4arch9wavefront6targetE0EEEvSG_,comdat
.Lfunc_end979:
	.size	_ZN7rocprim17ROCPRIM_400000_NS6detail17trampoline_kernelINS0_14default_configENS1_35radix_sort_onesweep_config_selectorIiNS0_10empty_typeEEEZZNS1_29radix_sort_onesweep_iterationIS3_Lb0EPKiPiPS5_SB_mNS0_19identity_decomposerENS1_16block_id_wrapperIjLb0EEEEE10hipError_tT1_PNSt15iterator_traitsISG_E10value_typeET2_T3_PNSH_ISM_E10value_typeET4_T5_PSR_SS_PNS1_23onesweep_lookback_stateEbbT6_jjT7_P12ihipStream_tbENKUlT_T0_SG_SL_E_clIS9_SA_SB_SB_EEDaSZ_S10_SG_SL_EUlSZ_E_NS1_11comp_targetILNS1_3genE6ELNS1_11target_archE950ELNS1_3gpuE13ELNS1_3repE0EEENS1_47radix_sort_onesweep_sort_config_static_selectorELNS0_4arch9wavefront6targetE0EEEvSG_, .Lfunc_end979-_ZN7rocprim17ROCPRIM_400000_NS6detail17trampoline_kernelINS0_14default_configENS1_35radix_sort_onesweep_config_selectorIiNS0_10empty_typeEEEZZNS1_29radix_sort_onesweep_iterationIS3_Lb0EPKiPiPS5_SB_mNS0_19identity_decomposerENS1_16block_id_wrapperIjLb0EEEEE10hipError_tT1_PNSt15iterator_traitsISG_E10value_typeET2_T3_PNSH_ISM_E10value_typeET4_T5_PSR_SS_PNS1_23onesweep_lookback_stateEbbT6_jjT7_P12ihipStream_tbENKUlT_T0_SG_SL_E_clIS9_SA_SB_SB_EEDaSZ_S10_SG_SL_EUlSZ_E_NS1_11comp_targetILNS1_3genE6ELNS1_11target_archE950ELNS1_3gpuE13ELNS1_3repE0EEENS1_47radix_sort_onesweep_sort_config_static_selectorELNS0_4arch9wavefront6targetE0EEEvSG_
                                        ; -- End function
	.set _ZN7rocprim17ROCPRIM_400000_NS6detail17trampoline_kernelINS0_14default_configENS1_35radix_sort_onesweep_config_selectorIiNS0_10empty_typeEEEZZNS1_29radix_sort_onesweep_iterationIS3_Lb0EPKiPiPS5_SB_mNS0_19identity_decomposerENS1_16block_id_wrapperIjLb0EEEEE10hipError_tT1_PNSt15iterator_traitsISG_E10value_typeET2_T3_PNSH_ISM_E10value_typeET4_T5_PSR_SS_PNS1_23onesweep_lookback_stateEbbT6_jjT7_P12ihipStream_tbENKUlT_T0_SG_SL_E_clIS9_SA_SB_SB_EEDaSZ_S10_SG_SL_EUlSZ_E_NS1_11comp_targetILNS1_3genE6ELNS1_11target_archE950ELNS1_3gpuE13ELNS1_3repE0EEENS1_47radix_sort_onesweep_sort_config_static_selectorELNS0_4arch9wavefront6targetE0EEEvSG_.num_vgpr, 0
	.set _ZN7rocprim17ROCPRIM_400000_NS6detail17trampoline_kernelINS0_14default_configENS1_35radix_sort_onesweep_config_selectorIiNS0_10empty_typeEEEZZNS1_29radix_sort_onesweep_iterationIS3_Lb0EPKiPiPS5_SB_mNS0_19identity_decomposerENS1_16block_id_wrapperIjLb0EEEEE10hipError_tT1_PNSt15iterator_traitsISG_E10value_typeET2_T3_PNSH_ISM_E10value_typeET4_T5_PSR_SS_PNS1_23onesweep_lookback_stateEbbT6_jjT7_P12ihipStream_tbENKUlT_T0_SG_SL_E_clIS9_SA_SB_SB_EEDaSZ_S10_SG_SL_EUlSZ_E_NS1_11comp_targetILNS1_3genE6ELNS1_11target_archE950ELNS1_3gpuE13ELNS1_3repE0EEENS1_47radix_sort_onesweep_sort_config_static_selectorELNS0_4arch9wavefront6targetE0EEEvSG_.num_agpr, 0
	.set _ZN7rocprim17ROCPRIM_400000_NS6detail17trampoline_kernelINS0_14default_configENS1_35radix_sort_onesweep_config_selectorIiNS0_10empty_typeEEEZZNS1_29radix_sort_onesweep_iterationIS3_Lb0EPKiPiPS5_SB_mNS0_19identity_decomposerENS1_16block_id_wrapperIjLb0EEEEE10hipError_tT1_PNSt15iterator_traitsISG_E10value_typeET2_T3_PNSH_ISM_E10value_typeET4_T5_PSR_SS_PNS1_23onesweep_lookback_stateEbbT6_jjT7_P12ihipStream_tbENKUlT_T0_SG_SL_E_clIS9_SA_SB_SB_EEDaSZ_S10_SG_SL_EUlSZ_E_NS1_11comp_targetILNS1_3genE6ELNS1_11target_archE950ELNS1_3gpuE13ELNS1_3repE0EEENS1_47radix_sort_onesweep_sort_config_static_selectorELNS0_4arch9wavefront6targetE0EEEvSG_.numbered_sgpr, 0
	.set _ZN7rocprim17ROCPRIM_400000_NS6detail17trampoline_kernelINS0_14default_configENS1_35radix_sort_onesweep_config_selectorIiNS0_10empty_typeEEEZZNS1_29radix_sort_onesweep_iterationIS3_Lb0EPKiPiPS5_SB_mNS0_19identity_decomposerENS1_16block_id_wrapperIjLb0EEEEE10hipError_tT1_PNSt15iterator_traitsISG_E10value_typeET2_T3_PNSH_ISM_E10value_typeET4_T5_PSR_SS_PNS1_23onesweep_lookback_stateEbbT6_jjT7_P12ihipStream_tbENKUlT_T0_SG_SL_E_clIS9_SA_SB_SB_EEDaSZ_S10_SG_SL_EUlSZ_E_NS1_11comp_targetILNS1_3genE6ELNS1_11target_archE950ELNS1_3gpuE13ELNS1_3repE0EEENS1_47radix_sort_onesweep_sort_config_static_selectorELNS0_4arch9wavefront6targetE0EEEvSG_.num_named_barrier, 0
	.set _ZN7rocprim17ROCPRIM_400000_NS6detail17trampoline_kernelINS0_14default_configENS1_35radix_sort_onesweep_config_selectorIiNS0_10empty_typeEEEZZNS1_29radix_sort_onesweep_iterationIS3_Lb0EPKiPiPS5_SB_mNS0_19identity_decomposerENS1_16block_id_wrapperIjLb0EEEEE10hipError_tT1_PNSt15iterator_traitsISG_E10value_typeET2_T3_PNSH_ISM_E10value_typeET4_T5_PSR_SS_PNS1_23onesweep_lookback_stateEbbT6_jjT7_P12ihipStream_tbENKUlT_T0_SG_SL_E_clIS9_SA_SB_SB_EEDaSZ_S10_SG_SL_EUlSZ_E_NS1_11comp_targetILNS1_3genE6ELNS1_11target_archE950ELNS1_3gpuE13ELNS1_3repE0EEENS1_47radix_sort_onesweep_sort_config_static_selectorELNS0_4arch9wavefront6targetE0EEEvSG_.private_seg_size, 0
	.set _ZN7rocprim17ROCPRIM_400000_NS6detail17trampoline_kernelINS0_14default_configENS1_35radix_sort_onesweep_config_selectorIiNS0_10empty_typeEEEZZNS1_29radix_sort_onesweep_iterationIS3_Lb0EPKiPiPS5_SB_mNS0_19identity_decomposerENS1_16block_id_wrapperIjLb0EEEEE10hipError_tT1_PNSt15iterator_traitsISG_E10value_typeET2_T3_PNSH_ISM_E10value_typeET4_T5_PSR_SS_PNS1_23onesweep_lookback_stateEbbT6_jjT7_P12ihipStream_tbENKUlT_T0_SG_SL_E_clIS9_SA_SB_SB_EEDaSZ_S10_SG_SL_EUlSZ_E_NS1_11comp_targetILNS1_3genE6ELNS1_11target_archE950ELNS1_3gpuE13ELNS1_3repE0EEENS1_47radix_sort_onesweep_sort_config_static_selectorELNS0_4arch9wavefront6targetE0EEEvSG_.uses_vcc, 0
	.set _ZN7rocprim17ROCPRIM_400000_NS6detail17trampoline_kernelINS0_14default_configENS1_35radix_sort_onesweep_config_selectorIiNS0_10empty_typeEEEZZNS1_29radix_sort_onesweep_iterationIS3_Lb0EPKiPiPS5_SB_mNS0_19identity_decomposerENS1_16block_id_wrapperIjLb0EEEEE10hipError_tT1_PNSt15iterator_traitsISG_E10value_typeET2_T3_PNSH_ISM_E10value_typeET4_T5_PSR_SS_PNS1_23onesweep_lookback_stateEbbT6_jjT7_P12ihipStream_tbENKUlT_T0_SG_SL_E_clIS9_SA_SB_SB_EEDaSZ_S10_SG_SL_EUlSZ_E_NS1_11comp_targetILNS1_3genE6ELNS1_11target_archE950ELNS1_3gpuE13ELNS1_3repE0EEENS1_47radix_sort_onesweep_sort_config_static_selectorELNS0_4arch9wavefront6targetE0EEEvSG_.uses_flat_scratch, 0
	.set _ZN7rocprim17ROCPRIM_400000_NS6detail17trampoline_kernelINS0_14default_configENS1_35radix_sort_onesweep_config_selectorIiNS0_10empty_typeEEEZZNS1_29radix_sort_onesweep_iterationIS3_Lb0EPKiPiPS5_SB_mNS0_19identity_decomposerENS1_16block_id_wrapperIjLb0EEEEE10hipError_tT1_PNSt15iterator_traitsISG_E10value_typeET2_T3_PNSH_ISM_E10value_typeET4_T5_PSR_SS_PNS1_23onesweep_lookback_stateEbbT6_jjT7_P12ihipStream_tbENKUlT_T0_SG_SL_E_clIS9_SA_SB_SB_EEDaSZ_S10_SG_SL_EUlSZ_E_NS1_11comp_targetILNS1_3genE6ELNS1_11target_archE950ELNS1_3gpuE13ELNS1_3repE0EEENS1_47radix_sort_onesweep_sort_config_static_selectorELNS0_4arch9wavefront6targetE0EEEvSG_.has_dyn_sized_stack, 0
	.set _ZN7rocprim17ROCPRIM_400000_NS6detail17trampoline_kernelINS0_14default_configENS1_35radix_sort_onesweep_config_selectorIiNS0_10empty_typeEEEZZNS1_29radix_sort_onesweep_iterationIS3_Lb0EPKiPiPS5_SB_mNS0_19identity_decomposerENS1_16block_id_wrapperIjLb0EEEEE10hipError_tT1_PNSt15iterator_traitsISG_E10value_typeET2_T3_PNSH_ISM_E10value_typeET4_T5_PSR_SS_PNS1_23onesweep_lookback_stateEbbT6_jjT7_P12ihipStream_tbENKUlT_T0_SG_SL_E_clIS9_SA_SB_SB_EEDaSZ_S10_SG_SL_EUlSZ_E_NS1_11comp_targetILNS1_3genE6ELNS1_11target_archE950ELNS1_3gpuE13ELNS1_3repE0EEENS1_47radix_sort_onesweep_sort_config_static_selectorELNS0_4arch9wavefront6targetE0EEEvSG_.has_recursion, 0
	.set _ZN7rocprim17ROCPRIM_400000_NS6detail17trampoline_kernelINS0_14default_configENS1_35radix_sort_onesweep_config_selectorIiNS0_10empty_typeEEEZZNS1_29radix_sort_onesweep_iterationIS3_Lb0EPKiPiPS5_SB_mNS0_19identity_decomposerENS1_16block_id_wrapperIjLb0EEEEE10hipError_tT1_PNSt15iterator_traitsISG_E10value_typeET2_T3_PNSH_ISM_E10value_typeET4_T5_PSR_SS_PNS1_23onesweep_lookback_stateEbbT6_jjT7_P12ihipStream_tbENKUlT_T0_SG_SL_E_clIS9_SA_SB_SB_EEDaSZ_S10_SG_SL_EUlSZ_E_NS1_11comp_targetILNS1_3genE6ELNS1_11target_archE950ELNS1_3gpuE13ELNS1_3repE0EEENS1_47radix_sort_onesweep_sort_config_static_selectorELNS0_4arch9wavefront6targetE0EEEvSG_.has_indirect_call, 0
	.section	.AMDGPU.csdata,"",@progbits
; Kernel info:
; codeLenInByte = 0
; TotalNumSgprs: 0
; NumVgprs: 0
; ScratchSize: 0
; MemoryBound: 0
; FloatMode: 240
; IeeeMode: 1
; LDSByteSize: 0 bytes/workgroup (compile time only)
; SGPRBlocks: 0
; VGPRBlocks: 0
; NumSGPRsForWavesPerEU: 1
; NumVGPRsForWavesPerEU: 1
; NamedBarCnt: 0
; Occupancy: 16
; WaveLimiterHint : 0
; COMPUTE_PGM_RSRC2:SCRATCH_EN: 0
; COMPUTE_PGM_RSRC2:USER_SGPR: 2
; COMPUTE_PGM_RSRC2:TRAP_HANDLER: 0
; COMPUTE_PGM_RSRC2:TGID_X_EN: 1
; COMPUTE_PGM_RSRC2:TGID_Y_EN: 0
; COMPUTE_PGM_RSRC2:TGID_Z_EN: 0
; COMPUTE_PGM_RSRC2:TIDIG_COMP_CNT: 0
	.section	.text._ZN7rocprim17ROCPRIM_400000_NS6detail17trampoline_kernelINS0_14default_configENS1_35radix_sort_onesweep_config_selectorIiNS0_10empty_typeEEEZZNS1_29radix_sort_onesweep_iterationIS3_Lb0EPKiPiPS5_SB_mNS0_19identity_decomposerENS1_16block_id_wrapperIjLb0EEEEE10hipError_tT1_PNSt15iterator_traitsISG_E10value_typeET2_T3_PNSH_ISM_E10value_typeET4_T5_PSR_SS_PNS1_23onesweep_lookback_stateEbbT6_jjT7_P12ihipStream_tbENKUlT_T0_SG_SL_E_clIS9_SA_SB_SB_EEDaSZ_S10_SG_SL_EUlSZ_E_NS1_11comp_targetILNS1_3genE5ELNS1_11target_archE942ELNS1_3gpuE9ELNS1_3repE0EEENS1_47radix_sort_onesweep_sort_config_static_selectorELNS0_4arch9wavefront6targetE0EEEvSG_,"axG",@progbits,_ZN7rocprim17ROCPRIM_400000_NS6detail17trampoline_kernelINS0_14default_configENS1_35radix_sort_onesweep_config_selectorIiNS0_10empty_typeEEEZZNS1_29radix_sort_onesweep_iterationIS3_Lb0EPKiPiPS5_SB_mNS0_19identity_decomposerENS1_16block_id_wrapperIjLb0EEEEE10hipError_tT1_PNSt15iterator_traitsISG_E10value_typeET2_T3_PNSH_ISM_E10value_typeET4_T5_PSR_SS_PNS1_23onesweep_lookback_stateEbbT6_jjT7_P12ihipStream_tbENKUlT_T0_SG_SL_E_clIS9_SA_SB_SB_EEDaSZ_S10_SG_SL_EUlSZ_E_NS1_11comp_targetILNS1_3genE5ELNS1_11target_archE942ELNS1_3gpuE9ELNS1_3repE0EEENS1_47radix_sort_onesweep_sort_config_static_selectorELNS0_4arch9wavefront6targetE0EEEvSG_,comdat
	.protected	_ZN7rocprim17ROCPRIM_400000_NS6detail17trampoline_kernelINS0_14default_configENS1_35radix_sort_onesweep_config_selectorIiNS0_10empty_typeEEEZZNS1_29radix_sort_onesweep_iterationIS3_Lb0EPKiPiPS5_SB_mNS0_19identity_decomposerENS1_16block_id_wrapperIjLb0EEEEE10hipError_tT1_PNSt15iterator_traitsISG_E10value_typeET2_T3_PNSH_ISM_E10value_typeET4_T5_PSR_SS_PNS1_23onesweep_lookback_stateEbbT6_jjT7_P12ihipStream_tbENKUlT_T0_SG_SL_E_clIS9_SA_SB_SB_EEDaSZ_S10_SG_SL_EUlSZ_E_NS1_11comp_targetILNS1_3genE5ELNS1_11target_archE942ELNS1_3gpuE9ELNS1_3repE0EEENS1_47radix_sort_onesweep_sort_config_static_selectorELNS0_4arch9wavefront6targetE0EEEvSG_ ; -- Begin function _ZN7rocprim17ROCPRIM_400000_NS6detail17trampoline_kernelINS0_14default_configENS1_35radix_sort_onesweep_config_selectorIiNS0_10empty_typeEEEZZNS1_29radix_sort_onesweep_iterationIS3_Lb0EPKiPiPS5_SB_mNS0_19identity_decomposerENS1_16block_id_wrapperIjLb0EEEEE10hipError_tT1_PNSt15iterator_traitsISG_E10value_typeET2_T3_PNSH_ISM_E10value_typeET4_T5_PSR_SS_PNS1_23onesweep_lookback_stateEbbT6_jjT7_P12ihipStream_tbENKUlT_T0_SG_SL_E_clIS9_SA_SB_SB_EEDaSZ_S10_SG_SL_EUlSZ_E_NS1_11comp_targetILNS1_3genE5ELNS1_11target_archE942ELNS1_3gpuE9ELNS1_3repE0EEENS1_47radix_sort_onesweep_sort_config_static_selectorELNS0_4arch9wavefront6targetE0EEEvSG_
	.globl	_ZN7rocprim17ROCPRIM_400000_NS6detail17trampoline_kernelINS0_14default_configENS1_35radix_sort_onesweep_config_selectorIiNS0_10empty_typeEEEZZNS1_29radix_sort_onesweep_iterationIS3_Lb0EPKiPiPS5_SB_mNS0_19identity_decomposerENS1_16block_id_wrapperIjLb0EEEEE10hipError_tT1_PNSt15iterator_traitsISG_E10value_typeET2_T3_PNSH_ISM_E10value_typeET4_T5_PSR_SS_PNS1_23onesweep_lookback_stateEbbT6_jjT7_P12ihipStream_tbENKUlT_T0_SG_SL_E_clIS9_SA_SB_SB_EEDaSZ_S10_SG_SL_EUlSZ_E_NS1_11comp_targetILNS1_3genE5ELNS1_11target_archE942ELNS1_3gpuE9ELNS1_3repE0EEENS1_47radix_sort_onesweep_sort_config_static_selectorELNS0_4arch9wavefront6targetE0EEEvSG_
	.p2align	8
	.type	_ZN7rocprim17ROCPRIM_400000_NS6detail17trampoline_kernelINS0_14default_configENS1_35radix_sort_onesweep_config_selectorIiNS0_10empty_typeEEEZZNS1_29radix_sort_onesweep_iterationIS3_Lb0EPKiPiPS5_SB_mNS0_19identity_decomposerENS1_16block_id_wrapperIjLb0EEEEE10hipError_tT1_PNSt15iterator_traitsISG_E10value_typeET2_T3_PNSH_ISM_E10value_typeET4_T5_PSR_SS_PNS1_23onesweep_lookback_stateEbbT6_jjT7_P12ihipStream_tbENKUlT_T0_SG_SL_E_clIS9_SA_SB_SB_EEDaSZ_S10_SG_SL_EUlSZ_E_NS1_11comp_targetILNS1_3genE5ELNS1_11target_archE942ELNS1_3gpuE9ELNS1_3repE0EEENS1_47radix_sort_onesweep_sort_config_static_selectorELNS0_4arch9wavefront6targetE0EEEvSG_,@function
_ZN7rocprim17ROCPRIM_400000_NS6detail17trampoline_kernelINS0_14default_configENS1_35radix_sort_onesweep_config_selectorIiNS0_10empty_typeEEEZZNS1_29radix_sort_onesweep_iterationIS3_Lb0EPKiPiPS5_SB_mNS0_19identity_decomposerENS1_16block_id_wrapperIjLb0EEEEE10hipError_tT1_PNSt15iterator_traitsISG_E10value_typeET2_T3_PNSH_ISM_E10value_typeET4_T5_PSR_SS_PNS1_23onesweep_lookback_stateEbbT6_jjT7_P12ihipStream_tbENKUlT_T0_SG_SL_E_clIS9_SA_SB_SB_EEDaSZ_S10_SG_SL_EUlSZ_E_NS1_11comp_targetILNS1_3genE5ELNS1_11target_archE942ELNS1_3gpuE9ELNS1_3repE0EEENS1_47radix_sort_onesweep_sort_config_static_selectorELNS0_4arch9wavefront6targetE0EEEvSG_: ; @_ZN7rocprim17ROCPRIM_400000_NS6detail17trampoline_kernelINS0_14default_configENS1_35radix_sort_onesweep_config_selectorIiNS0_10empty_typeEEEZZNS1_29radix_sort_onesweep_iterationIS3_Lb0EPKiPiPS5_SB_mNS0_19identity_decomposerENS1_16block_id_wrapperIjLb0EEEEE10hipError_tT1_PNSt15iterator_traitsISG_E10value_typeET2_T3_PNSH_ISM_E10value_typeET4_T5_PSR_SS_PNS1_23onesweep_lookback_stateEbbT6_jjT7_P12ihipStream_tbENKUlT_T0_SG_SL_E_clIS9_SA_SB_SB_EEDaSZ_S10_SG_SL_EUlSZ_E_NS1_11comp_targetILNS1_3genE5ELNS1_11target_archE942ELNS1_3gpuE9ELNS1_3repE0EEENS1_47radix_sort_onesweep_sort_config_static_selectorELNS0_4arch9wavefront6targetE0EEEvSG_
; %bb.0:
	.section	.rodata,"a",@progbits
	.p2align	6, 0x0
	.amdhsa_kernel _ZN7rocprim17ROCPRIM_400000_NS6detail17trampoline_kernelINS0_14default_configENS1_35radix_sort_onesweep_config_selectorIiNS0_10empty_typeEEEZZNS1_29radix_sort_onesweep_iterationIS3_Lb0EPKiPiPS5_SB_mNS0_19identity_decomposerENS1_16block_id_wrapperIjLb0EEEEE10hipError_tT1_PNSt15iterator_traitsISG_E10value_typeET2_T3_PNSH_ISM_E10value_typeET4_T5_PSR_SS_PNS1_23onesweep_lookback_stateEbbT6_jjT7_P12ihipStream_tbENKUlT_T0_SG_SL_E_clIS9_SA_SB_SB_EEDaSZ_S10_SG_SL_EUlSZ_E_NS1_11comp_targetILNS1_3genE5ELNS1_11target_archE942ELNS1_3gpuE9ELNS1_3repE0EEENS1_47radix_sort_onesweep_sort_config_static_selectorELNS0_4arch9wavefront6targetE0EEEvSG_
		.amdhsa_group_segment_fixed_size 0
		.amdhsa_private_segment_fixed_size 0
		.amdhsa_kernarg_size 88
		.amdhsa_user_sgpr_count 2
		.amdhsa_user_sgpr_dispatch_ptr 0
		.amdhsa_user_sgpr_queue_ptr 0
		.amdhsa_user_sgpr_kernarg_segment_ptr 1
		.amdhsa_user_sgpr_dispatch_id 0
		.amdhsa_user_sgpr_kernarg_preload_length 0
		.amdhsa_user_sgpr_kernarg_preload_offset 0
		.amdhsa_user_sgpr_private_segment_size 0
		.amdhsa_wavefront_size32 1
		.amdhsa_uses_dynamic_stack 0
		.amdhsa_enable_private_segment 0
		.amdhsa_system_sgpr_workgroup_id_x 1
		.amdhsa_system_sgpr_workgroup_id_y 0
		.amdhsa_system_sgpr_workgroup_id_z 0
		.amdhsa_system_sgpr_workgroup_info 0
		.amdhsa_system_vgpr_workitem_id 0
		.amdhsa_next_free_vgpr 1
		.amdhsa_next_free_sgpr 1
		.amdhsa_named_barrier_count 0
		.amdhsa_reserve_vcc 0
		.amdhsa_float_round_mode_32 0
		.amdhsa_float_round_mode_16_64 0
		.amdhsa_float_denorm_mode_32 3
		.amdhsa_float_denorm_mode_16_64 3
		.amdhsa_fp16_overflow 0
		.amdhsa_memory_ordered 1
		.amdhsa_forward_progress 1
		.amdhsa_inst_pref_size 0
		.amdhsa_round_robin_scheduling 0
		.amdhsa_exception_fp_ieee_invalid_op 0
		.amdhsa_exception_fp_denorm_src 0
		.amdhsa_exception_fp_ieee_div_zero 0
		.amdhsa_exception_fp_ieee_overflow 0
		.amdhsa_exception_fp_ieee_underflow 0
		.amdhsa_exception_fp_ieee_inexact 0
		.amdhsa_exception_int_div_zero 0
	.end_amdhsa_kernel
	.section	.text._ZN7rocprim17ROCPRIM_400000_NS6detail17trampoline_kernelINS0_14default_configENS1_35radix_sort_onesweep_config_selectorIiNS0_10empty_typeEEEZZNS1_29radix_sort_onesweep_iterationIS3_Lb0EPKiPiPS5_SB_mNS0_19identity_decomposerENS1_16block_id_wrapperIjLb0EEEEE10hipError_tT1_PNSt15iterator_traitsISG_E10value_typeET2_T3_PNSH_ISM_E10value_typeET4_T5_PSR_SS_PNS1_23onesweep_lookback_stateEbbT6_jjT7_P12ihipStream_tbENKUlT_T0_SG_SL_E_clIS9_SA_SB_SB_EEDaSZ_S10_SG_SL_EUlSZ_E_NS1_11comp_targetILNS1_3genE5ELNS1_11target_archE942ELNS1_3gpuE9ELNS1_3repE0EEENS1_47radix_sort_onesweep_sort_config_static_selectorELNS0_4arch9wavefront6targetE0EEEvSG_,"axG",@progbits,_ZN7rocprim17ROCPRIM_400000_NS6detail17trampoline_kernelINS0_14default_configENS1_35radix_sort_onesweep_config_selectorIiNS0_10empty_typeEEEZZNS1_29radix_sort_onesweep_iterationIS3_Lb0EPKiPiPS5_SB_mNS0_19identity_decomposerENS1_16block_id_wrapperIjLb0EEEEE10hipError_tT1_PNSt15iterator_traitsISG_E10value_typeET2_T3_PNSH_ISM_E10value_typeET4_T5_PSR_SS_PNS1_23onesweep_lookback_stateEbbT6_jjT7_P12ihipStream_tbENKUlT_T0_SG_SL_E_clIS9_SA_SB_SB_EEDaSZ_S10_SG_SL_EUlSZ_E_NS1_11comp_targetILNS1_3genE5ELNS1_11target_archE942ELNS1_3gpuE9ELNS1_3repE0EEENS1_47radix_sort_onesweep_sort_config_static_selectorELNS0_4arch9wavefront6targetE0EEEvSG_,comdat
.Lfunc_end980:
	.size	_ZN7rocprim17ROCPRIM_400000_NS6detail17trampoline_kernelINS0_14default_configENS1_35radix_sort_onesweep_config_selectorIiNS0_10empty_typeEEEZZNS1_29radix_sort_onesweep_iterationIS3_Lb0EPKiPiPS5_SB_mNS0_19identity_decomposerENS1_16block_id_wrapperIjLb0EEEEE10hipError_tT1_PNSt15iterator_traitsISG_E10value_typeET2_T3_PNSH_ISM_E10value_typeET4_T5_PSR_SS_PNS1_23onesweep_lookback_stateEbbT6_jjT7_P12ihipStream_tbENKUlT_T0_SG_SL_E_clIS9_SA_SB_SB_EEDaSZ_S10_SG_SL_EUlSZ_E_NS1_11comp_targetILNS1_3genE5ELNS1_11target_archE942ELNS1_3gpuE9ELNS1_3repE0EEENS1_47radix_sort_onesweep_sort_config_static_selectorELNS0_4arch9wavefront6targetE0EEEvSG_, .Lfunc_end980-_ZN7rocprim17ROCPRIM_400000_NS6detail17trampoline_kernelINS0_14default_configENS1_35radix_sort_onesweep_config_selectorIiNS0_10empty_typeEEEZZNS1_29radix_sort_onesweep_iterationIS3_Lb0EPKiPiPS5_SB_mNS0_19identity_decomposerENS1_16block_id_wrapperIjLb0EEEEE10hipError_tT1_PNSt15iterator_traitsISG_E10value_typeET2_T3_PNSH_ISM_E10value_typeET4_T5_PSR_SS_PNS1_23onesweep_lookback_stateEbbT6_jjT7_P12ihipStream_tbENKUlT_T0_SG_SL_E_clIS9_SA_SB_SB_EEDaSZ_S10_SG_SL_EUlSZ_E_NS1_11comp_targetILNS1_3genE5ELNS1_11target_archE942ELNS1_3gpuE9ELNS1_3repE0EEENS1_47radix_sort_onesweep_sort_config_static_selectorELNS0_4arch9wavefront6targetE0EEEvSG_
                                        ; -- End function
	.set _ZN7rocprim17ROCPRIM_400000_NS6detail17trampoline_kernelINS0_14default_configENS1_35radix_sort_onesweep_config_selectorIiNS0_10empty_typeEEEZZNS1_29radix_sort_onesweep_iterationIS3_Lb0EPKiPiPS5_SB_mNS0_19identity_decomposerENS1_16block_id_wrapperIjLb0EEEEE10hipError_tT1_PNSt15iterator_traitsISG_E10value_typeET2_T3_PNSH_ISM_E10value_typeET4_T5_PSR_SS_PNS1_23onesweep_lookback_stateEbbT6_jjT7_P12ihipStream_tbENKUlT_T0_SG_SL_E_clIS9_SA_SB_SB_EEDaSZ_S10_SG_SL_EUlSZ_E_NS1_11comp_targetILNS1_3genE5ELNS1_11target_archE942ELNS1_3gpuE9ELNS1_3repE0EEENS1_47radix_sort_onesweep_sort_config_static_selectorELNS0_4arch9wavefront6targetE0EEEvSG_.num_vgpr, 0
	.set _ZN7rocprim17ROCPRIM_400000_NS6detail17trampoline_kernelINS0_14default_configENS1_35radix_sort_onesweep_config_selectorIiNS0_10empty_typeEEEZZNS1_29radix_sort_onesweep_iterationIS3_Lb0EPKiPiPS5_SB_mNS0_19identity_decomposerENS1_16block_id_wrapperIjLb0EEEEE10hipError_tT1_PNSt15iterator_traitsISG_E10value_typeET2_T3_PNSH_ISM_E10value_typeET4_T5_PSR_SS_PNS1_23onesweep_lookback_stateEbbT6_jjT7_P12ihipStream_tbENKUlT_T0_SG_SL_E_clIS9_SA_SB_SB_EEDaSZ_S10_SG_SL_EUlSZ_E_NS1_11comp_targetILNS1_3genE5ELNS1_11target_archE942ELNS1_3gpuE9ELNS1_3repE0EEENS1_47radix_sort_onesweep_sort_config_static_selectorELNS0_4arch9wavefront6targetE0EEEvSG_.num_agpr, 0
	.set _ZN7rocprim17ROCPRIM_400000_NS6detail17trampoline_kernelINS0_14default_configENS1_35radix_sort_onesweep_config_selectorIiNS0_10empty_typeEEEZZNS1_29radix_sort_onesweep_iterationIS3_Lb0EPKiPiPS5_SB_mNS0_19identity_decomposerENS1_16block_id_wrapperIjLb0EEEEE10hipError_tT1_PNSt15iterator_traitsISG_E10value_typeET2_T3_PNSH_ISM_E10value_typeET4_T5_PSR_SS_PNS1_23onesweep_lookback_stateEbbT6_jjT7_P12ihipStream_tbENKUlT_T0_SG_SL_E_clIS9_SA_SB_SB_EEDaSZ_S10_SG_SL_EUlSZ_E_NS1_11comp_targetILNS1_3genE5ELNS1_11target_archE942ELNS1_3gpuE9ELNS1_3repE0EEENS1_47radix_sort_onesweep_sort_config_static_selectorELNS0_4arch9wavefront6targetE0EEEvSG_.numbered_sgpr, 0
	.set _ZN7rocprim17ROCPRIM_400000_NS6detail17trampoline_kernelINS0_14default_configENS1_35radix_sort_onesweep_config_selectorIiNS0_10empty_typeEEEZZNS1_29radix_sort_onesweep_iterationIS3_Lb0EPKiPiPS5_SB_mNS0_19identity_decomposerENS1_16block_id_wrapperIjLb0EEEEE10hipError_tT1_PNSt15iterator_traitsISG_E10value_typeET2_T3_PNSH_ISM_E10value_typeET4_T5_PSR_SS_PNS1_23onesweep_lookback_stateEbbT6_jjT7_P12ihipStream_tbENKUlT_T0_SG_SL_E_clIS9_SA_SB_SB_EEDaSZ_S10_SG_SL_EUlSZ_E_NS1_11comp_targetILNS1_3genE5ELNS1_11target_archE942ELNS1_3gpuE9ELNS1_3repE0EEENS1_47radix_sort_onesweep_sort_config_static_selectorELNS0_4arch9wavefront6targetE0EEEvSG_.num_named_barrier, 0
	.set _ZN7rocprim17ROCPRIM_400000_NS6detail17trampoline_kernelINS0_14default_configENS1_35radix_sort_onesweep_config_selectorIiNS0_10empty_typeEEEZZNS1_29radix_sort_onesweep_iterationIS3_Lb0EPKiPiPS5_SB_mNS0_19identity_decomposerENS1_16block_id_wrapperIjLb0EEEEE10hipError_tT1_PNSt15iterator_traitsISG_E10value_typeET2_T3_PNSH_ISM_E10value_typeET4_T5_PSR_SS_PNS1_23onesweep_lookback_stateEbbT6_jjT7_P12ihipStream_tbENKUlT_T0_SG_SL_E_clIS9_SA_SB_SB_EEDaSZ_S10_SG_SL_EUlSZ_E_NS1_11comp_targetILNS1_3genE5ELNS1_11target_archE942ELNS1_3gpuE9ELNS1_3repE0EEENS1_47radix_sort_onesweep_sort_config_static_selectorELNS0_4arch9wavefront6targetE0EEEvSG_.private_seg_size, 0
	.set _ZN7rocprim17ROCPRIM_400000_NS6detail17trampoline_kernelINS0_14default_configENS1_35radix_sort_onesweep_config_selectorIiNS0_10empty_typeEEEZZNS1_29radix_sort_onesweep_iterationIS3_Lb0EPKiPiPS5_SB_mNS0_19identity_decomposerENS1_16block_id_wrapperIjLb0EEEEE10hipError_tT1_PNSt15iterator_traitsISG_E10value_typeET2_T3_PNSH_ISM_E10value_typeET4_T5_PSR_SS_PNS1_23onesweep_lookback_stateEbbT6_jjT7_P12ihipStream_tbENKUlT_T0_SG_SL_E_clIS9_SA_SB_SB_EEDaSZ_S10_SG_SL_EUlSZ_E_NS1_11comp_targetILNS1_3genE5ELNS1_11target_archE942ELNS1_3gpuE9ELNS1_3repE0EEENS1_47radix_sort_onesweep_sort_config_static_selectorELNS0_4arch9wavefront6targetE0EEEvSG_.uses_vcc, 0
	.set _ZN7rocprim17ROCPRIM_400000_NS6detail17trampoline_kernelINS0_14default_configENS1_35radix_sort_onesweep_config_selectorIiNS0_10empty_typeEEEZZNS1_29radix_sort_onesweep_iterationIS3_Lb0EPKiPiPS5_SB_mNS0_19identity_decomposerENS1_16block_id_wrapperIjLb0EEEEE10hipError_tT1_PNSt15iterator_traitsISG_E10value_typeET2_T3_PNSH_ISM_E10value_typeET4_T5_PSR_SS_PNS1_23onesweep_lookback_stateEbbT6_jjT7_P12ihipStream_tbENKUlT_T0_SG_SL_E_clIS9_SA_SB_SB_EEDaSZ_S10_SG_SL_EUlSZ_E_NS1_11comp_targetILNS1_3genE5ELNS1_11target_archE942ELNS1_3gpuE9ELNS1_3repE0EEENS1_47radix_sort_onesweep_sort_config_static_selectorELNS0_4arch9wavefront6targetE0EEEvSG_.uses_flat_scratch, 0
	.set _ZN7rocprim17ROCPRIM_400000_NS6detail17trampoline_kernelINS0_14default_configENS1_35radix_sort_onesweep_config_selectorIiNS0_10empty_typeEEEZZNS1_29radix_sort_onesweep_iterationIS3_Lb0EPKiPiPS5_SB_mNS0_19identity_decomposerENS1_16block_id_wrapperIjLb0EEEEE10hipError_tT1_PNSt15iterator_traitsISG_E10value_typeET2_T3_PNSH_ISM_E10value_typeET4_T5_PSR_SS_PNS1_23onesweep_lookback_stateEbbT6_jjT7_P12ihipStream_tbENKUlT_T0_SG_SL_E_clIS9_SA_SB_SB_EEDaSZ_S10_SG_SL_EUlSZ_E_NS1_11comp_targetILNS1_3genE5ELNS1_11target_archE942ELNS1_3gpuE9ELNS1_3repE0EEENS1_47radix_sort_onesweep_sort_config_static_selectorELNS0_4arch9wavefront6targetE0EEEvSG_.has_dyn_sized_stack, 0
	.set _ZN7rocprim17ROCPRIM_400000_NS6detail17trampoline_kernelINS0_14default_configENS1_35radix_sort_onesweep_config_selectorIiNS0_10empty_typeEEEZZNS1_29radix_sort_onesweep_iterationIS3_Lb0EPKiPiPS5_SB_mNS0_19identity_decomposerENS1_16block_id_wrapperIjLb0EEEEE10hipError_tT1_PNSt15iterator_traitsISG_E10value_typeET2_T3_PNSH_ISM_E10value_typeET4_T5_PSR_SS_PNS1_23onesweep_lookback_stateEbbT6_jjT7_P12ihipStream_tbENKUlT_T0_SG_SL_E_clIS9_SA_SB_SB_EEDaSZ_S10_SG_SL_EUlSZ_E_NS1_11comp_targetILNS1_3genE5ELNS1_11target_archE942ELNS1_3gpuE9ELNS1_3repE0EEENS1_47radix_sort_onesweep_sort_config_static_selectorELNS0_4arch9wavefront6targetE0EEEvSG_.has_recursion, 0
	.set _ZN7rocprim17ROCPRIM_400000_NS6detail17trampoline_kernelINS0_14default_configENS1_35radix_sort_onesweep_config_selectorIiNS0_10empty_typeEEEZZNS1_29radix_sort_onesweep_iterationIS3_Lb0EPKiPiPS5_SB_mNS0_19identity_decomposerENS1_16block_id_wrapperIjLb0EEEEE10hipError_tT1_PNSt15iterator_traitsISG_E10value_typeET2_T3_PNSH_ISM_E10value_typeET4_T5_PSR_SS_PNS1_23onesweep_lookback_stateEbbT6_jjT7_P12ihipStream_tbENKUlT_T0_SG_SL_E_clIS9_SA_SB_SB_EEDaSZ_S10_SG_SL_EUlSZ_E_NS1_11comp_targetILNS1_3genE5ELNS1_11target_archE942ELNS1_3gpuE9ELNS1_3repE0EEENS1_47radix_sort_onesweep_sort_config_static_selectorELNS0_4arch9wavefront6targetE0EEEvSG_.has_indirect_call, 0
	.section	.AMDGPU.csdata,"",@progbits
; Kernel info:
; codeLenInByte = 0
; TotalNumSgprs: 0
; NumVgprs: 0
; ScratchSize: 0
; MemoryBound: 0
; FloatMode: 240
; IeeeMode: 1
; LDSByteSize: 0 bytes/workgroup (compile time only)
; SGPRBlocks: 0
; VGPRBlocks: 0
; NumSGPRsForWavesPerEU: 1
; NumVGPRsForWavesPerEU: 1
; NamedBarCnt: 0
; Occupancy: 16
; WaveLimiterHint : 0
; COMPUTE_PGM_RSRC2:SCRATCH_EN: 0
; COMPUTE_PGM_RSRC2:USER_SGPR: 2
; COMPUTE_PGM_RSRC2:TRAP_HANDLER: 0
; COMPUTE_PGM_RSRC2:TGID_X_EN: 1
; COMPUTE_PGM_RSRC2:TGID_Y_EN: 0
; COMPUTE_PGM_RSRC2:TGID_Z_EN: 0
; COMPUTE_PGM_RSRC2:TIDIG_COMP_CNT: 0
	.section	.text._ZN7rocprim17ROCPRIM_400000_NS6detail17trampoline_kernelINS0_14default_configENS1_35radix_sort_onesweep_config_selectorIiNS0_10empty_typeEEEZZNS1_29radix_sort_onesweep_iterationIS3_Lb0EPKiPiPS5_SB_mNS0_19identity_decomposerENS1_16block_id_wrapperIjLb0EEEEE10hipError_tT1_PNSt15iterator_traitsISG_E10value_typeET2_T3_PNSH_ISM_E10value_typeET4_T5_PSR_SS_PNS1_23onesweep_lookback_stateEbbT6_jjT7_P12ihipStream_tbENKUlT_T0_SG_SL_E_clIS9_SA_SB_SB_EEDaSZ_S10_SG_SL_EUlSZ_E_NS1_11comp_targetILNS1_3genE2ELNS1_11target_archE906ELNS1_3gpuE6ELNS1_3repE0EEENS1_47radix_sort_onesweep_sort_config_static_selectorELNS0_4arch9wavefront6targetE0EEEvSG_,"axG",@progbits,_ZN7rocprim17ROCPRIM_400000_NS6detail17trampoline_kernelINS0_14default_configENS1_35radix_sort_onesweep_config_selectorIiNS0_10empty_typeEEEZZNS1_29radix_sort_onesweep_iterationIS3_Lb0EPKiPiPS5_SB_mNS0_19identity_decomposerENS1_16block_id_wrapperIjLb0EEEEE10hipError_tT1_PNSt15iterator_traitsISG_E10value_typeET2_T3_PNSH_ISM_E10value_typeET4_T5_PSR_SS_PNS1_23onesweep_lookback_stateEbbT6_jjT7_P12ihipStream_tbENKUlT_T0_SG_SL_E_clIS9_SA_SB_SB_EEDaSZ_S10_SG_SL_EUlSZ_E_NS1_11comp_targetILNS1_3genE2ELNS1_11target_archE906ELNS1_3gpuE6ELNS1_3repE0EEENS1_47radix_sort_onesweep_sort_config_static_selectorELNS0_4arch9wavefront6targetE0EEEvSG_,comdat
	.protected	_ZN7rocprim17ROCPRIM_400000_NS6detail17trampoline_kernelINS0_14default_configENS1_35radix_sort_onesweep_config_selectorIiNS0_10empty_typeEEEZZNS1_29radix_sort_onesweep_iterationIS3_Lb0EPKiPiPS5_SB_mNS0_19identity_decomposerENS1_16block_id_wrapperIjLb0EEEEE10hipError_tT1_PNSt15iterator_traitsISG_E10value_typeET2_T3_PNSH_ISM_E10value_typeET4_T5_PSR_SS_PNS1_23onesweep_lookback_stateEbbT6_jjT7_P12ihipStream_tbENKUlT_T0_SG_SL_E_clIS9_SA_SB_SB_EEDaSZ_S10_SG_SL_EUlSZ_E_NS1_11comp_targetILNS1_3genE2ELNS1_11target_archE906ELNS1_3gpuE6ELNS1_3repE0EEENS1_47radix_sort_onesweep_sort_config_static_selectorELNS0_4arch9wavefront6targetE0EEEvSG_ ; -- Begin function _ZN7rocprim17ROCPRIM_400000_NS6detail17trampoline_kernelINS0_14default_configENS1_35radix_sort_onesweep_config_selectorIiNS0_10empty_typeEEEZZNS1_29radix_sort_onesweep_iterationIS3_Lb0EPKiPiPS5_SB_mNS0_19identity_decomposerENS1_16block_id_wrapperIjLb0EEEEE10hipError_tT1_PNSt15iterator_traitsISG_E10value_typeET2_T3_PNSH_ISM_E10value_typeET4_T5_PSR_SS_PNS1_23onesweep_lookback_stateEbbT6_jjT7_P12ihipStream_tbENKUlT_T0_SG_SL_E_clIS9_SA_SB_SB_EEDaSZ_S10_SG_SL_EUlSZ_E_NS1_11comp_targetILNS1_3genE2ELNS1_11target_archE906ELNS1_3gpuE6ELNS1_3repE0EEENS1_47radix_sort_onesweep_sort_config_static_selectorELNS0_4arch9wavefront6targetE0EEEvSG_
	.globl	_ZN7rocprim17ROCPRIM_400000_NS6detail17trampoline_kernelINS0_14default_configENS1_35radix_sort_onesweep_config_selectorIiNS0_10empty_typeEEEZZNS1_29radix_sort_onesweep_iterationIS3_Lb0EPKiPiPS5_SB_mNS0_19identity_decomposerENS1_16block_id_wrapperIjLb0EEEEE10hipError_tT1_PNSt15iterator_traitsISG_E10value_typeET2_T3_PNSH_ISM_E10value_typeET4_T5_PSR_SS_PNS1_23onesweep_lookback_stateEbbT6_jjT7_P12ihipStream_tbENKUlT_T0_SG_SL_E_clIS9_SA_SB_SB_EEDaSZ_S10_SG_SL_EUlSZ_E_NS1_11comp_targetILNS1_3genE2ELNS1_11target_archE906ELNS1_3gpuE6ELNS1_3repE0EEENS1_47radix_sort_onesweep_sort_config_static_selectorELNS0_4arch9wavefront6targetE0EEEvSG_
	.p2align	8
	.type	_ZN7rocprim17ROCPRIM_400000_NS6detail17trampoline_kernelINS0_14default_configENS1_35radix_sort_onesweep_config_selectorIiNS0_10empty_typeEEEZZNS1_29radix_sort_onesweep_iterationIS3_Lb0EPKiPiPS5_SB_mNS0_19identity_decomposerENS1_16block_id_wrapperIjLb0EEEEE10hipError_tT1_PNSt15iterator_traitsISG_E10value_typeET2_T3_PNSH_ISM_E10value_typeET4_T5_PSR_SS_PNS1_23onesweep_lookback_stateEbbT6_jjT7_P12ihipStream_tbENKUlT_T0_SG_SL_E_clIS9_SA_SB_SB_EEDaSZ_S10_SG_SL_EUlSZ_E_NS1_11comp_targetILNS1_3genE2ELNS1_11target_archE906ELNS1_3gpuE6ELNS1_3repE0EEENS1_47radix_sort_onesweep_sort_config_static_selectorELNS0_4arch9wavefront6targetE0EEEvSG_,@function
_ZN7rocprim17ROCPRIM_400000_NS6detail17trampoline_kernelINS0_14default_configENS1_35radix_sort_onesweep_config_selectorIiNS0_10empty_typeEEEZZNS1_29radix_sort_onesweep_iterationIS3_Lb0EPKiPiPS5_SB_mNS0_19identity_decomposerENS1_16block_id_wrapperIjLb0EEEEE10hipError_tT1_PNSt15iterator_traitsISG_E10value_typeET2_T3_PNSH_ISM_E10value_typeET4_T5_PSR_SS_PNS1_23onesweep_lookback_stateEbbT6_jjT7_P12ihipStream_tbENKUlT_T0_SG_SL_E_clIS9_SA_SB_SB_EEDaSZ_S10_SG_SL_EUlSZ_E_NS1_11comp_targetILNS1_3genE2ELNS1_11target_archE906ELNS1_3gpuE6ELNS1_3repE0EEENS1_47radix_sort_onesweep_sort_config_static_selectorELNS0_4arch9wavefront6targetE0EEEvSG_: ; @_ZN7rocprim17ROCPRIM_400000_NS6detail17trampoline_kernelINS0_14default_configENS1_35radix_sort_onesweep_config_selectorIiNS0_10empty_typeEEEZZNS1_29radix_sort_onesweep_iterationIS3_Lb0EPKiPiPS5_SB_mNS0_19identity_decomposerENS1_16block_id_wrapperIjLb0EEEEE10hipError_tT1_PNSt15iterator_traitsISG_E10value_typeET2_T3_PNSH_ISM_E10value_typeET4_T5_PSR_SS_PNS1_23onesweep_lookback_stateEbbT6_jjT7_P12ihipStream_tbENKUlT_T0_SG_SL_E_clIS9_SA_SB_SB_EEDaSZ_S10_SG_SL_EUlSZ_E_NS1_11comp_targetILNS1_3genE2ELNS1_11target_archE906ELNS1_3gpuE6ELNS1_3repE0EEENS1_47radix_sort_onesweep_sort_config_static_selectorELNS0_4arch9wavefront6targetE0EEEvSG_
; %bb.0:
	.section	.rodata,"a",@progbits
	.p2align	6, 0x0
	.amdhsa_kernel _ZN7rocprim17ROCPRIM_400000_NS6detail17trampoline_kernelINS0_14default_configENS1_35radix_sort_onesweep_config_selectorIiNS0_10empty_typeEEEZZNS1_29radix_sort_onesweep_iterationIS3_Lb0EPKiPiPS5_SB_mNS0_19identity_decomposerENS1_16block_id_wrapperIjLb0EEEEE10hipError_tT1_PNSt15iterator_traitsISG_E10value_typeET2_T3_PNSH_ISM_E10value_typeET4_T5_PSR_SS_PNS1_23onesweep_lookback_stateEbbT6_jjT7_P12ihipStream_tbENKUlT_T0_SG_SL_E_clIS9_SA_SB_SB_EEDaSZ_S10_SG_SL_EUlSZ_E_NS1_11comp_targetILNS1_3genE2ELNS1_11target_archE906ELNS1_3gpuE6ELNS1_3repE0EEENS1_47radix_sort_onesweep_sort_config_static_selectorELNS0_4arch9wavefront6targetE0EEEvSG_
		.amdhsa_group_segment_fixed_size 0
		.amdhsa_private_segment_fixed_size 0
		.amdhsa_kernarg_size 88
		.amdhsa_user_sgpr_count 2
		.amdhsa_user_sgpr_dispatch_ptr 0
		.amdhsa_user_sgpr_queue_ptr 0
		.amdhsa_user_sgpr_kernarg_segment_ptr 1
		.amdhsa_user_sgpr_dispatch_id 0
		.amdhsa_user_sgpr_kernarg_preload_length 0
		.amdhsa_user_sgpr_kernarg_preload_offset 0
		.amdhsa_user_sgpr_private_segment_size 0
		.amdhsa_wavefront_size32 1
		.amdhsa_uses_dynamic_stack 0
		.amdhsa_enable_private_segment 0
		.amdhsa_system_sgpr_workgroup_id_x 1
		.amdhsa_system_sgpr_workgroup_id_y 0
		.amdhsa_system_sgpr_workgroup_id_z 0
		.amdhsa_system_sgpr_workgroup_info 0
		.amdhsa_system_vgpr_workitem_id 0
		.amdhsa_next_free_vgpr 1
		.amdhsa_next_free_sgpr 1
		.amdhsa_named_barrier_count 0
		.amdhsa_reserve_vcc 0
		.amdhsa_float_round_mode_32 0
		.amdhsa_float_round_mode_16_64 0
		.amdhsa_float_denorm_mode_32 3
		.amdhsa_float_denorm_mode_16_64 3
		.amdhsa_fp16_overflow 0
		.amdhsa_memory_ordered 1
		.amdhsa_forward_progress 1
		.amdhsa_inst_pref_size 0
		.amdhsa_round_robin_scheduling 0
		.amdhsa_exception_fp_ieee_invalid_op 0
		.amdhsa_exception_fp_denorm_src 0
		.amdhsa_exception_fp_ieee_div_zero 0
		.amdhsa_exception_fp_ieee_overflow 0
		.amdhsa_exception_fp_ieee_underflow 0
		.amdhsa_exception_fp_ieee_inexact 0
		.amdhsa_exception_int_div_zero 0
	.end_amdhsa_kernel
	.section	.text._ZN7rocprim17ROCPRIM_400000_NS6detail17trampoline_kernelINS0_14default_configENS1_35radix_sort_onesweep_config_selectorIiNS0_10empty_typeEEEZZNS1_29radix_sort_onesweep_iterationIS3_Lb0EPKiPiPS5_SB_mNS0_19identity_decomposerENS1_16block_id_wrapperIjLb0EEEEE10hipError_tT1_PNSt15iterator_traitsISG_E10value_typeET2_T3_PNSH_ISM_E10value_typeET4_T5_PSR_SS_PNS1_23onesweep_lookback_stateEbbT6_jjT7_P12ihipStream_tbENKUlT_T0_SG_SL_E_clIS9_SA_SB_SB_EEDaSZ_S10_SG_SL_EUlSZ_E_NS1_11comp_targetILNS1_3genE2ELNS1_11target_archE906ELNS1_3gpuE6ELNS1_3repE0EEENS1_47radix_sort_onesweep_sort_config_static_selectorELNS0_4arch9wavefront6targetE0EEEvSG_,"axG",@progbits,_ZN7rocprim17ROCPRIM_400000_NS6detail17trampoline_kernelINS0_14default_configENS1_35radix_sort_onesweep_config_selectorIiNS0_10empty_typeEEEZZNS1_29radix_sort_onesweep_iterationIS3_Lb0EPKiPiPS5_SB_mNS0_19identity_decomposerENS1_16block_id_wrapperIjLb0EEEEE10hipError_tT1_PNSt15iterator_traitsISG_E10value_typeET2_T3_PNSH_ISM_E10value_typeET4_T5_PSR_SS_PNS1_23onesweep_lookback_stateEbbT6_jjT7_P12ihipStream_tbENKUlT_T0_SG_SL_E_clIS9_SA_SB_SB_EEDaSZ_S10_SG_SL_EUlSZ_E_NS1_11comp_targetILNS1_3genE2ELNS1_11target_archE906ELNS1_3gpuE6ELNS1_3repE0EEENS1_47radix_sort_onesweep_sort_config_static_selectorELNS0_4arch9wavefront6targetE0EEEvSG_,comdat
.Lfunc_end981:
	.size	_ZN7rocprim17ROCPRIM_400000_NS6detail17trampoline_kernelINS0_14default_configENS1_35radix_sort_onesweep_config_selectorIiNS0_10empty_typeEEEZZNS1_29radix_sort_onesweep_iterationIS3_Lb0EPKiPiPS5_SB_mNS0_19identity_decomposerENS1_16block_id_wrapperIjLb0EEEEE10hipError_tT1_PNSt15iterator_traitsISG_E10value_typeET2_T3_PNSH_ISM_E10value_typeET4_T5_PSR_SS_PNS1_23onesweep_lookback_stateEbbT6_jjT7_P12ihipStream_tbENKUlT_T0_SG_SL_E_clIS9_SA_SB_SB_EEDaSZ_S10_SG_SL_EUlSZ_E_NS1_11comp_targetILNS1_3genE2ELNS1_11target_archE906ELNS1_3gpuE6ELNS1_3repE0EEENS1_47radix_sort_onesweep_sort_config_static_selectorELNS0_4arch9wavefront6targetE0EEEvSG_, .Lfunc_end981-_ZN7rocprim17ROCPRIM_400000_NS6detail17trampoline_kernelINS0_14default_configENS1_35radix_sort_onesweep_config_selectorIiNS0_10empty_typeEEEZZNS1_29radix_sort_onesweep_iterationIS3_Lb0EPKiPiPS5_SB_mNS0_19identity_decomposerENS1_16block_id_wrapperIjLb0EEEEE10hipError_tT1_PNSt15iterator_traitsISG_E10value_typeET2_T3_PNSH_ISM_E10value_typeET4_T5_PSR_SS_PNS1_23onesweep_lookback_stateEbbT6_jjT7_P12ihipStream_tbENKUlT_T0_SG_SL_E_clIS9_SA_SB_SB_EEDaSZ_S10_SG_SL_EUlSZ_E_NS1_11comp_targetILNS1_3genE2ELNS1_11target_archE906ELNS1_3gpuE6ELNS1_3repE0EEENS1_47radix_sort_onesweep_sort_config_static_selectorELNS0_4arch9wavefront6targetE0EEEvSG_
                                        ; -- End function
	.set _ZN7rocprim17ROCPRIM_400000_NS6detail17trampoline_kernelINS0_14default_configENS1_35radix_sort_onesweep_config_selectorIiNS0_10empty_typeEEEZZNS1_29radix_sort_onesweep_iterationIS3_Lb0EPKiPiPS5_SB_mNS0_19identity_decomposerENS1_16block_id_wrapperIjLb0EEEEE10hipError_tT1_PNSt15iterator_traitsISG_E10value_typeET2_T3_PNSH_ISM_E10value_typeET4_T5_PSR_SS_PNS1_23onesweep_lookback_stateEbbT6_jjT7_P12ihipStream_tbENKUlT_T0_SG_SL_E_clIS9_SA_SB_SB_EEDaSZ_S10_SG_SL_EUlSZ_E_NS1_11comp_targetILNS1_3genE2ELNS1_11target_archE906ELNS1_3gpuE6ELNS1_3repE0EEENS1_47radix_sort_onesweep_sort_config_static_selectorELNS0_4arch9wavefront6targetE0EEEvSG_.num_vgpr, 0
	.set _ZN7rocprim17ROCPRIM_400000_NS6detail17trampoline_kernelINS0_14default_configENS1_35radix_sort_onesweep_config_selectorIiNS0_10empty_typeEEEZZNS1_29radix_sort_onesweep_iterationIS3_Lb0EPKiPiPS5_SB_mNS0_19identity_decomposerENS1_16block_id_wrapperIjLb0EEEEE10hipError_tT1_PNSt15iterator_traitsISG_E10value_typeET2_T3_PNSH_ISM_E10value_typeET4_T5_PSR_SS_PNS1_23onesweep_lookback_stateEbbT6_jjT7_P12ihipStream_tbENKUlT_T0_SG_SL_E_clIS9_SA_SB_SB_EEDaSZ_S10_SG_SL_EUlSZ_E_NS1_11comp_targetILNS1_3genE2ELNS1_11target_archE906ELNS1_3gpuE6ELNS1_3repE0EEENS1_47radix_sort_onesweep_sort_config_static_selectorELNS0_4arch9wavefront6targetE0EEEvSG_.num_agpr, 0
	.set _ZN7rocprim17ROCPRIM_400000_NS6detail17trampoline_kernelINS0_14default_configENS1_35radix_sort_onesweep_config_selectorIiNS0_10empty_typeEEEZZNS1_29radix_sort_onesweep_iterationIS3_Lb0EPKiPiPS5_SB_mNS0_19identity_decomposerENS1_16block_id_wrapperIjLb0EEEEE10hipError_tT1_PNSt15iterator_traitsISG_E10value_typeET2_T3_PNSH_ISM_E10value_typeET4_T5_PSR_SS_PNS1_23onesweep_lookback_stateEbbT6_jjT7_P12ihipStream_tbENKUlT_T0_SG_SL_E_clIS9_SA_SB_SB_EEDaSZ_S10_SG_SL_EUlSZ_E_NS1_11comp_targetILNS1_3genE2ELNS1_11target_archE906ELNS1_3gpuE6ELNS1_3repE0EEENS1_47radix_sort_onesweep_sort_config_static_selectorELNS0_4arch9wavefront6targetE0EEEvSG_.numbered_sgpr, 0
	.set _ZN7rocprim17ROCPRIM_400000_NS6detail17trampoline_kernelINS0_14default_configENS1_35radix_sort_onesweep_config_selectorIiNS0_10empty_typeEEEZZNS1_29radix_sort_onesweep_iterationIS3_Lb0EPKiPiPS5_SB_mNS0_19identity_decomposerENS1_16block_id_wrapperIjLb0EEEEE10hipError_tT1_PNSt15iterator_traitsISG_E10value_typeET2_T3_PNSH_ISM_E10value_typeET4_T5_PSR_SS_PNS1_23onesweep_lookback_stateEbbT6_jjT7_P12ihipStream_tbENKUlT_T0_SG_SL_E_clIS9_SA_SB_SB_EEDaSZ_S10_SG_SL_EUlSZ_E_NS1_11comp_targetILNS1_3genE2ELNS1_11target_archE906ELNS1_3gpuE6ELNS1_3repE0EEENS1_47radix_sort_onesweep_sort_config_static_selectorELNS0_4arch9wavefront6targetE0EEEvSG_.num_named_barrier, 0
	.set _ZN7rocprim17ROCPRIM_400000_NS6detail17trampoline_kernelINS0_14default_configENS1_35radix_sort_onesweep_config_selectorIiNS0_10empty_typeEEEZZNS1_29radix_sort_onesweep_iterationIS3_Lb0EPKiPiPS5_SB_mNS0_19identity_decomposerENS1_16block_id_wrapperIjLb0EEEEE10hipError_tT1_PNSt15iterator_traitsISG_E10value_typeET2_T3_PNSH_ISM_E10value_typeET4_T5_PSR_SS_PNS1_23onesweep_lookback_stateEbbT6_jjT7_P12ihipStream_tbENKUlT_T0_SG_SL_E_clIS9_SA_SB_SB_EEDaSZ_S10_SG_SL_EUlSZ_E_NS1_11comp_targetILNS1_3genE2ELNS1_11target_archE906ELNS1_3gpuE6ELNS1_3repE0EEENS1_47radix_sort_onesweep_sort_config_static_selectorELNS0_4arch9wavefront6targetE0EEEvSG_.private_seg_size, 0
	.set _ZN7rocprim17ROCPRIM_400000_NS6detail17trampoline_kernelINS0_14default_configENS1_35radix_sort_onesweep_config_selectorIiNS0_10empty_typeEEEZZNS1_29radix_sort_onesweep_iterationIS3_Lb0EPKiPiPS5_SB_mNS0_19identity_decomposerENS1_16block_id_wrapperIjLb0EEEEE10hipError_tT1_PNSt15iterator_traitsISG_E10value_typeET2_T3_PNSH_ISM_E10value_typeET4_T5_PSR_SS_PNS1_23onesweep_lookback_stateEbbT6_jjT7_P12ihipStream_tbENKUlT_T0_SG_SL_E_clIS9_SA_SB_SB_EEDaSZ_S10_SG_SL_EUlSZ_E_NS1_11comp_targetILNS1_3genE2ELNS1_11target_archE906ELNS1_3gpuE6ELNS1_3repE0EEENS1_47radix_sort_onesweep_sort_config_static_selectorELNS0_4arch9wavefront6targetE0EEEvSG_.uses_vcc, 0
	.set _ZN7rocprim17ROCPRIM_400000_NS6detail17trampoline_kernelINS0_14default_configENS1_35radix_sort_onesweep_config_selectorIiNS0_10empty_typeEEEZZNS1_29radix_sort_onesweep_iterationIS3_Lb0EPKiPiPS5_SB_mNS0_19identity_decomposerENS1_16block_id_wrapperIjLb0EEEEE10hipError_tT1_PNSt15iterator_traitsISG_E10value_typeET2_T3_PNSH_ISM_E10value_typeET4_T5_PSR_SS_PNS1_23onesweep_lookback_stateEbbT6_jjT7_P12ihipStream_tbENKUlT_T0_SG_SL_E_clIS9_SA_SB_SB_EEDaSZ_S10_SG_SL_EUlSZ_E_NS1_11comp_targetILNS1_3genE2ELNS1_11target_archE906ELNS1_3gpuE6ELNS1_3repE0EEENS1_47radix_sort_onesweep_sort_config_static_selectorELNS0_4arch9wavefront6targetE0EEEvSG_.uses_flat_scratch, 0
	.set _ZN7rocprim17ROCPRIM_400000_NS6detail17trampoline_kernelINS0_14default_configENS1_35radix_sort_onesweep_config_selectorIiNS0_10empty_typeEEEZZNS1_29radix_sort_onesweep_iterationIS3_Lb0EPKiPiPS5_SB_mNS0_19identity_decomposerENS1_16block_id_wrapperIjLb0EEEEE10hipError_tT1_PNSt15iterator_traitsISG_E10value_typeET2_T3_PNSH_ISM_E10value_typeET4_T5_PSR_SS_PNS1_23onesweep_lookback_stateEbbT6_jjT7_P12ihipStream_tbENKUlT_T0_SG_SL_E_clIS9_SA_SB_SB_EEDaSZ_S10_SG_SL_EUlSZ_E_NS1_11comp_targetILNS1_3genE2ELNS1_11target_archE906ELNS1_3gpuE6ELNS1_3repE0EEENS1_47radix_sort_onesweep_sort_config_static_selectorELNS0_4arch9wavefront6targetE0EEEvSG_.has_dyn_sized_stack, 0
	.set _ZN7rocprim17ROCPRIM_400000_NS6detail17trampoline_kernelINS0_14default_configENS1_35radix_sort_onesweep_config_selectorIiNS0_10empty_typeEEEZZNS1_29radix_sort_onesweep_iterationIS3_Lb0EPKiPiPS5_SB_mNS0_19identity_decomposerENS1_16block_id_wrapperIjLb0EEEEE10hipError_tT1_PNSt15iterator_traitsISG_E10value_typeET2_T3_PNSH_ISM_E10value_typeET4_T5_PSR_SS_PNS1_23onesweep_lookback_stateEbbT6_jjT7_P12ihipStream_tbENKUlT_T0_SG_SL_E_clIS9_SA_SB_SB_EEDaSZ_S10_SG_SL_EUlSZ_E_NS1_11comp_targetILNS1_3genE2ELNS1_11target_archE906ELNS1_3gpuE6ELNS1_3repE0EEENS1_47radix_sort_onesweep_sort_config_static_selectorELNS0_4arch9wavefront6targetE0EEEvSG_.has_recursion, 0
	.set _ZN7rocprim17ROCPRIM_400000_NS6detail17trampoline_kernelINS0_14default_configENS1_35radix_sort_onesweep_config_selectorIiNS0_10empty_typeEEEZZNS1_29radix_sort_onesweep_iterationIS3_Lb0EPKiPiPS5_SB_mNS0_19identity_decomposerENS1_16block_id_wrapperIjLb0EEEEE10hipError_tT1_PNSt15iterator_traitsISG_E10value_typeET2_T3_PNSH_ISM_E10value_typeET4_T5_PSR_SS_PNS1_23onesweep_lookback_stateEbbT6_jjT7_P12ihipStream_tbENKUlT_T0_SG_SL_E_clIS9_SA_SB_SB_EEDaSZ_S10_SG_SL_EUlSZ_E_NS1_11comp_targetILNS1_3genE2ELNS1_11target_archE906ELNS1_3gpuE6ELNS1_3repE0EEENS1_47radix_sort_onesweep_sort_config_static_selectorELNS0_4arch9wavefront6targetE0EEEvSG_.has_indirect_call, 0
	.section	.AMDGPU.csdata,"",@progbits
; Kernel info:
; codeLenInByte = 0
; TotalNumSgprs: 0
; NumVgprs: 0
; ScratchSize: 0
; MemoryBound: 0
; FloatMode: 240
; IeeeMode: 1
; LDSByteSize: 0 bytes/workgroup (compile time only)
; SGPRBlocks: 0
; VGPRBlocks: 0
; NumSGPRsForWavesPerEU: 1
; NumVGPRsForWavesPerEU: 1
; NamedBarCnt: 0
; Occupancy: 16
; WaveLimiterHint : 0
; COMPUTE_PGM_RSRC2:SCRATCH_EN: 0
; COMPUTE_PGM_RSRC2:USER_SGPR: 2
; COMPUTE_PGM_RSRC2:TRAP_HANDLER: 0
; COMPUTE_PGM_RSRC2:TGID_X_EN: 1
; COMPUTE_PGM_RSRC2:TGID_Y_EN: 0
; COMPUTE_PGM_RSRC2:TGID_Z_EN: 0
; COMPUTE_PGM_RSRC2:TIDIG_COMP_CNT: 0
	.section	.text._ZN7rocprim17ROCPRIM_400000_NS6detail17trampoline_kernelINS0_14default_configENS1_35radix_sort_onesweep_config_selectorIiNS0_10empty_typeEEEZZNS1_29radix_sort_onesweep_iterationIS3_Lb0EPKiPiPS5_SB_mNS0_19identity_decomposerENS1_16block_id_wrapperIjLb0EEEEE10hipError_tT1_PNSt15iterator_traitsISG_E10value_typeET2_T3_PNSH_ISM_E10value_typeET4_T5_PSR_SS_PNS1_23onesweep_lookback_stateEbbT6_jjT7_P12ihipStream_tbENKUlT_T0_SG_SL_E_clIS9_SA_SB_SB_EEDaSZ_S10_SG_SL_EUlSZ_E_NS1_11comp_targetILNS1_3genE4ELNS1_11target_archE910ELNS1_3gpuE8ELNS1_3repE0EEENS1_47radix_sort_onesweep_sort_config_static_selectorELNS0_4arch9wavefront6targetE0EEEvSG_,"axG",@progbits,_ZN7rocprim17ROCPRIM_400000_NS6detail17trampoline_kernelINS0_14default_configENS1_35radix_sort_onesweep_config_selectorIiNS0_10empty_typeEEEZZNS1_29radix_sort_onesweep_iterationIS3_Lb0EPKiPiPS5_SB_mNS0_19identity_decomposerENS1_16block_id_wrapperIjLb0EEEEE10hipError_tT1_PNSt15iterator_traitsISG_E10value_typeET2_T3_PNSH_ISM_E10value_typeET4_T5_PSR_SS_PNS1_23onesweep_lookback_stateEbbT6_jjT7_P12ihipStream_tbENKUlT_T0_SG_SL_E_clIS9_SA_SB_SB_EEDaSZ_S10_SG_SL_EUlSZ_E_NS1_11comp_targetILNS1_3genE4ELNS1_11target_archE910ELNS1_3gpuE8ELNS1_3repE0EEENS1_47radix_sort_onesweep_sort_config_static_selectorELNS0_4arch9wavefront6targetE0EEEvSG_,comdat
	.protected	_ZN7rocprim17ROCPRIM_400000_NS6detail17trampoline_kernelINS0_14default_configENS1_35radix_sort_onesweep_config_selectorIiNS0_10empty_typeEEEZZNS1_29radix_sort_onesweep_iterationIS3_Lb0EPKiPiPS5_SB_mNS0_19identity_decomposerENS1_16block_id_wrapperIjLb0EEEEE10hipError_tT1_PNSt15iterator_traitsISG_E10value_typeET2_T3_PNSH_ISM_E10value_typeET4_T5_PSR_SS_PNS1_23onesweep_lookback_stateEbbT6_jjT7_P12ihipStream_tbENKUlT_T0_SG_SL_E_clIS9_SA_SB_SB_EEDaSZ_S10_SG_SL_EUlSZ_E_NS1_11comp_targetILNS1_3genE4ELNS1_11target_archE910ELNS1_3gpuE8ELNS1_3repE0EEENS1_47radix_sort_onesweep_sort_config_static_selectorELNS0_4arch9wavefront6targetE0EEEvSG_ ; -- Begin function _ZN7rocprim17ROCPRIM_400000_NS6detail17trampoline_kernelINS0_14default_configENS1_35radix_sort_onesweep_config_selectorIiNS0_10empty_typeEEEZZNS1_29radix_sort_onesweep_iterationIS3_Lb0EPKiPiPS5_SB_mNS0_19identity_decomposerENS1_16block_id_wrapperIjLb0EEEEE10hipError_tT1_PNSt15iterator_traitsISG_E10value_typeET2_T3_PNSH_ISM_E10value_typeET4_T5_PSR_SS_PNS1_23onesweep_lookback_stateEbbT6_jjT7_P12ihipStream_tbENKUlT_T0_SG_SL_E_clIS9_SA_SB_SB_EEDaSZ_S10_SG_SL_EUlSZ_E_NS1_11comp_targetILNS1_3genE4ELNS1_11target_archE910ELNS1_3gpuE8ELNS1_3repE0EEENS1_47radix_sort_onesweep_sort_config_static_selectorELNS0_4arch9wavefront6targetE0EEEvSG_
	.globl	_ZN7rocprim17ROCPRIM_400000_NS6detail17trampoline_kernelINS0_14default_configENS1_35radix_sort_onesweep_config_selectorIiNS0_10empty_typeEEEZZNS1_29radix_sort_onesweep_iterationIS3_Lb0EPKiPiPS5_SB_mNS0_19identity_decomposerENS1_16block_id_wrapperIjLb0EEEEE10hipError_tT1_PNSt15iterator_traitsISG_E10value_typeET2_T3_PNSH_ISM_E10value_typeET4_T5_PSR_SS_PNS1_23onesweep_lookback_stateEbbT6_jjT7_P12ihipStream_tbENKUlT_T0_SG_SL_E_clIS9_SA_SB_SB_EEDaSZ_S10_SG_SL_EUlSZ_E_NS1_11comp_targetILNS1_3genE4ELNS1_11target_archE910ELNS1_3gpuE8ELNS1_3repE0EEENS1_47radix_sort_onesweep_sort_config_static_selectorELNS0_4arch9wavefront6targetE0EEEvSG_
	.p2align	8
	.type	_ZN7rocprim17ROCPRIM_400000_NS6detail17trampoline_kernelINS0_14default_configENS1_35radix_sort_onesweep_config_selectorIiNS0_10empty_typeEEEZZNS1_29radix_sort_onesweep_iterationIS3_Lb0EPKiPiPS5_SB_mNS0_19identity_decomposerENS1_16block_id_wrapperIjLb0EEEEE10hipError_tT1_PNSt15iterator_traitsISG_E10value_typeET2_T3_PNSH_ISM_E10value_typeET4_T5_PSR_SS_PNS1_23onesweep_lookback_stateEbbT6_jjT7_P12ihipStream_tbENKUlT_T0_SG_SL_E_clIS9_SA_SB_SB_EEDaSZ_S10_SG_SL_EUlSZ_E_NS1_11comp_targetILNS1_3genE4ELNS1_11target_archE910ELNS1_3gpuE8ELNS1_3repE0EEENS1_47radix_sort_onesweep_sort_config_static_selectorELNS0_4arch9wavefront6targetE0EEEvSG_,@function
_ZN7rocprim17ROCPRIM_400000_NS6detail17trampoline_kernelINS0_14default_configENS1_35radix_sort_onesweep_config_selectorIiNS0_10empty_typeEEEZZNS1_29radix_sort_onesweep_iterationIS3_Lb0EPKiPiPS5_SB_mNS0_19identity_decomposerENS1_16block_id_wrapperIjLb0EEEEE10hipError_tT1_PNSt15iterator_traitsISG_E10value_typeET2_T3_PNSH_ISM_E10value_typeET4_T5_PSR_SS_PNS1_23onesweep_lookback_stateEbbT6_jjT7_P12ihipStream_tbENKUlT_T0_SG_SL_E_clIS9_SA_SB_SB_EEDaSZ_S10_SG_SL_EUlSZ_E_NS1_11comp_targetILNS1_3genE4ELNS1_11target_archE910ELNS1_3gpuE8ELNS1_3repE0EEENS1_47radix_sort_onesweep_sort_config_static_selectorELNS0_4arch9wavefront6targetE0EEEvSG_: ; @_ZN7rocprim17ROCPRIM_400000_NS6detail17trampoline_kernelINS0_14default_configENS1_35radix_sort_onesweep_config_selectorIiNS0_10empty_typeEEEZZNS1_29radix_sort_onesweep_iterationIS3_Lb0EPKiPiPS5_SB_mNS0_19identity_decomposerENS1_16block_id_wrapperIjLb0EEEEE10hipError_tT1_PNSt15iterator_traitsISG_E10value_typeET2_T3_PNSH_ISM_E10value_typeET4_T5_PSR_SS_PNS1_23onesweep_lookback_stateEbbT6_jjT7_P12ihipStream_tbENKUlT_T0_SG_SL_E_clIS9_SA_SB_SB_EEDaSZ_S10_SG_SL_EUlSZ_E_NS1_11comp_targetILNS1_3genE4ELNS1_11target_archE910ELNS1_3gpuE8ELNS1_3repE0EEENS1_47radix_sort_onesweep_sort_config_static_selectorELNS0_4arch9wavefront6targetE0EEEvSG_
; %bb.0:
	.section	.rodata,"a",@progbits
	.p2align	6, 0x0
	.amdhsa_kernel _ZN7rocprim17ROCPRIM_400000_NS6detail17trampoline_kernelINS0_14default_configENS1_35radix_sort_onesweep_config_selectorIiNS0_10empty_typeEEEZZNS1_29radix_sort_onesweep_iterationIS3_Lb0EPKiPiPS5_SB_mNS0_19identity_decomposerENS1_16block_id_wrapperIjLb0EEEEE10hipError_tT1_PNSt15iterator_traitsISG_E10value_typeET2_T3_PNSH_ISM_E10value_typeET4_T5_PSR_SS_PNS1_23onesweep_lookback_stateEbbT6_jjT7_P12ihipStream_tbENKUlT_T0_SG_SL_E_clIS9_SA_SB_SB_EEDaSZ_S10_SG_SL_EUlSZ_E_NS1_11comp_targetILNS1_3genE4ELNS1_11target_archE910ELNS1_3gpuE8ELNS1_3repE0EEENS1_47radix_sort_onesweep_sort_config_static_selectorELNS0_4arch9wavefront6targetE0EEEvSG_
		.amdhsa_group_segment_fixed_size 0
		.amdhsa_private_segment_fixed_size 0
		.amdhsa_kernarg_size 88
		.amdhsa_user_sgpr_count 2
		.amdhsa_user_sgpr_dispatch_ptr 0
		.amdhsa_user_sgpr_queue_ptr 0
		.amdhsa_user_sgpr_kernarg_segment_ptr 1
		.amdhsa_user_sgpr_dispatch_id 0
		.amdhsa_user_sgpr_kernarg_preload_length 0
		.amdhsa_user_sgpr_kernarg_preload_offset 0
		.amdhsa_user_sgpr_private_segment_size 0
		.amdhsa_wavefront_size32 1
		.amdhsa_uses_dynamic_stack 0
		.amdhsa_enable_private_segment 0
		.amdhsa_system_sgpr_workgroup_id_x 1
		.amdhsa_system_sgpr_workgroup_id_y 0
		.amdhsa_system_sgpr_workgroup_id_z 0
		.amdhsa_system_sgpr_workgroup_info 0
		.amdhsa_system_vgpr_workitem_id 0
		.amdhsa_next_free_vgpr 1
		.amdhsa_next_free_sgpr 1
		.amdhsa_named_barrier_count 0
		.amdhsa_reserve_vcc 0
		.amdhsa_float_round_mode_32 0
		.amdhsa_float_round_mode_16_64 0
		.amdhsa_float_denorm_mode_32 3
		.amdhsa_float_denorm_mode_16_64 3
		.amdhsa_fp16_overflow 0
		.amdhsa_memory_ordered 1
		.amdhsa_forward_progress 1
		.amdhsa_inst_pref_size 0
		.amdhsa_round_robin_scheduling 0
		.amdhsa_exception_fp_ieee_invalid_op 0
		.amdhsa_exception_fp_denorm_src 0
		.amdhsa_exception_fp_ieee_div_zero 0
		.amdhsa_exception_fp_ieee_overflow 0
		.amdhsa_exception_fp_ieee_underflow 0
		.amdhsa_exception_fp_ieee_inexact 0
		.amdhsa_exception_int_div_zero 0
	.end_amdhsa_kernel
	.section	.text._ZN7rocprim17ROCPRIM_400000_NS6detail17trampoline_kernelINS0_14default_configENS1_35radix_sort_onesweep_config_selectorIiNS0_10empty_typeEEEZZNS1_29radix_sort_onesweep_iterationIS3_Lb0EPKiPiPS5_SB_mNS0_19identity_decomposerENS1_16block_id_wrapperIjLb0EEEEE10hipError_tT1_PNSt15iterator_traitsISG_E10value_typeET2_T3_PNSH_ISM_E10value_typeET4_T5_PSR_SS_PNS1_23onesweep_lookback_stateEbbT6_jjT7_P12ihipStream_tbENKUlT_T0_SG_SL_E_clIS9_SA_SB_SB_EEDaSZ_S10_SG_SL_EUlSZ_E_NS1_11comp_targetILNS1_3genE4ELNS1_11target_archE910ELNS1_3gpuE8ELNS1_3repE0EEENS1_47radix_sort_onesweep_sort_config_static_selectorELNS0_4arch9wavefront6targetE0EEEvSG_,"axG",@progbits,_ZN7rocprim17ROCPRIM_400000_NS6detail17trampoline_kernelINS0_14default_configENS1_35radix_sort_onesweep_config_selectorIiNS0_10empty_typeEEEZZNS1_29radix_sort_onesweep_iterationIS3_Lb0EPKiPiPS5_SB_mNS0_19identity_decomposerENS1_16block_id_wrapperIjLb0EEEEE10hipError_tT1_PNSt15iterator_traitsISG_E10value_typeET2_T3_PNSH_ISM_E10value_typeET4_T5_PSR_SS_PNS1_23onesweep_lookback_stateEbbT6_jjT7_P12ihipStream_tbENKUlT_T0_SG_SL_E_clIS9_SA_SB_SB_EEDaSZ_S10_SG_SL_EUlSZ_E_NS1_11comp_targetILNS1_3genE4ELNS1_11target_archE910ELNS1_3gpuE8ELNS1_3repE0EEENS1_47radix_sort_onesweep_sort_config_static_selectorELNS0_4arch9wavefront6targetE0EEEvSG_,comdat
.Lfunc_end982:
	.size	_ZN7rocprim17ROCPRIM_400000_NS6detail17trampoline_kernelINS0_14default_configENS1_35radix_sort_onesweep_config_selectorIiNS0_10empty_typeEEEZZNS1_29radix_sort_onesweep_iterationIS3_Lb0EPKiPiPS5_SB_mNS0_19identity_decomposerENS1_16block_id_wrapperIjLb0EEEEE10hipError_tT1_PNSt15iterator_traitsISG_E10value_typeET2_T3_PNSH_ISM_E10value_typeET4_T5_PSR_SS_PNS1_23onesweep_lookback_stateEbbT6_jjT7_P12ihipStream_tbENKUlT_T0_SG_SL_E_clIS9_SA_SB_SB_EEDaSZ_S10_SG_SL_EUlSZ_E_NS1_11comp_targetILNS1_3genE4ELNS1_11target_archE910ELNS1_3gpuE8ELNS1_3repE0EEENS1_47radix_sort_onesweep_sort_config_static_selectorELNS0_4arch9wavefront6targetE0EEEvSG_, .Lfunc_end982-_ZN7rocprim17ROCPRIM_400000_NS6detail17trampoline_kernelINS0_14default_configENS1_35radix_sort_onesweep_config_selectorIiNS0_10empty_typeEEEZZNS1_29radix_sort_onesweep_iterationIS3_Lb0EPKiPiPS5_SB_mNS0_19identity_decomposerENS1_16block_id_wrapperIjLb0EEEEE10hipError_tT1_PNSt15iterator_traitsISG_E10value_typeET2_T3_PNSH_ISM_E10value_typeET4_T5_PSR_SS_PNS1_23onesweep_lookback_stateEbbT6_jjT7_P12ihipStream_tbENKUlT_T0_SG_SL_E_clIS9_SA_SB_SB_EEDaSZ_S10_SG_SL_EUlSZ_E_NS1_11comp_targetILNS1_3genE4ELNS1_11target_archE910ELNS1_3gpuE8ELNS1_3repE0EEENS1_47radix_sort_onesweep_sort_config_static_selectorELNS0_4arch9wavefront6targetE0EEEvSG_
                                        ; -- End function
	.set _ZN7rocprim17ROCPRIM_400000_NS6detail17trampoline_kernelINS0_14default_configENS1_35radix_sort_onesweep_config_selectorIiNS0_10empty_typeEEEZZNS1_29radix_sort_onesweep_iterationIS3_Lb0EPKiPiPS5_SB_mNS0_19identity_decomposerENS1_16block_id_wrapperIjLb0EEEEE10hipError_tT1_PNSt15iterator_traitsISG_E10value_typeET2_T3_PNSH_ISM_E10value_typeET4_T5_PSR_SS_PNS1_23onesweep_lookback_stateEbbT6_jjT7_P12ihipStream_tbENKUlT_T0_SG_SL_E_clIS9_SA_SB_SB_EEDaSZ_S10_SG_SL_EUlSZ_E_NS1_11comp_targetILNS1_3genE4ELNS1_11target_archE910ELNS1_3gpuE8ELNS1_3repE0EEENS1_47radix_sort_onesweep_sort_config_static_selectorELNS0_4arch9wavefront6targetE0EEEvSG_.num_vgpr, 0
	.set _ZN7rocprim17ROCPRIM_400000_NS6detail17trampoline_kernelINS0_14default_configENS1_35radix_sort_onesweep_config_selectorIiNS0_10empty_typeEEEZZNS1_29radix_sort_onesweep_iterationIS3_Lb0EPKiPiPS5_SB_mNS0_19identity_decomposerENS1_16block_id_wrapperIjLb0EEEEE10hipError_tT1_PNSt15iterator_traitsISG_E10value_typeET2_T3_PNSH_ISM_E10value_typeET4_T5_PSR_SS_PNS1_23onesweep_lookback_stateEbbT6_jjT7_P12ihipStream_tbENKUlT_T0_SG_SL_E_clIS9_SA_SB_SB_EEDaSZ_S10_SG_SL_EUlSZ_E_NS1_11comp_targetILNS1_3genE4ELNS1_11target_archE910ELNS1_3gpuE8ELNS1_3repE0EEENS1_47radix_sort_onesweep_sort_config_static_selectorELNS0_4arch9wavefront6targetE0EEEvSG_.num_agpr, 0
	.set _ZN7rocprim17ROCPRIM_400000_NS6detail17trampoline_kernelINS0_14default_configENS1_35radix_sort_onesweep_config_selectorIiNS0_10empty_typeEEEZZNS1_29radix_sort_onesweep_iterationIS3_Lb0EPKiPiPS5_SB_mNS0_19identity_decomposerENS1_16block_id_wrapperIjLb0EEEEE10hipError_tT1_PNSt15iterator_traitsISG_E10value_typeET2_T3_PNSH_ISM_E10value_typeET4_T5_PSR_SS_PNS1_23onesweep_lookback_stateEbbT6_jjT7_P12ihipStream_tbENKUlT_T0_SG_SL_E_clIS9_SA_SB_SB_EEDaSZ_S10_SG_SL_EUlSZ_E_NS1_11comp_targetILNS1_3genE4ELNS1_11target_archE910ELNS1_3gpuE8ELNS1_3repE0EEENS1_47radix_sort_onesweep_sort_config_static_selectorELNS0_4arch9wavefront6targetE0EEEvSG_.numbered_sgpr, 0
	.set _ZN7rocprim17ROCPRIM_400000_NS6detail17trampoline_kernelINS0_14default_configENS1_35radix_sort_onesweep_config_selectorIiNS0_10empty_typeEEEZZNS1_29radix_sort_onesweep_iterationIS3_Lb0EPKiPiPS5_SB_mNS0_19identity_decomposerENS1_16block_id_wrapperIjLb0EEEEE10hipError_tT1_PNSt15iterator_traitsISG_E10value_typeET2_T3_PNSH_ISM_E10value_typeET4_T5_PSR_SS_PNS1_23onesweep_lookback_stateEbbT6_jjT7_P12ihipStream_tbENKUlT_T0_SG_SL_E_clIS9_SA_SB_SB_EEDaSZ_S10_SG_SL_EUlSZ_E_NS1_11comp_targetILNS1_3genE4ELNS1_11target_archE910ELNS1_3gpuE8ELNS1_3repE0EEENS1_47radix_sort_onesweep_sort_config_static_selectorELNS0_4arch9wavefront6targetE0EEEvSG_.num_named_barrier, 0
	.set _ZN7rocprim17ROCPRIM_400000_NS6detail17trampoline_kernelINS0_14default_configENS1_35radix_sort_onesweep_config_selectorIiNS0_10empty_typeEEEZZNS1_29radix_sort_onesweep_iterationIS3_Lb0EPKiPiPS5_SB_mNS0_19identity_decomposerENS1_16block_id_wrapperIjLb0EEEEE10hipError_tT1_PNSt15iterator_traitsISG_E10value_typeET2_T3_PNSH_ISM_E10value_typeET4_T5_PSR_SS_PNS1_23onesweep_lookback_stateEbbT6_jjT7_P12ihipStream_tbENKUlT_T0_SG_SL_E_clIS9_SA_SB_SB_EEDaSZ_S10_SG_SL_EUlSZ_E_NS1_11comp_targetILNS1_3genE4ELNS1_11target_archE910ELNS1_3gpuE8ELNS1_3repE0EEENS1_47radix_sort_onesweep_sort_config_static_selectorELNS0_4arch9wavefront6targetE0EEEvSG_.private_seg_size, 0
	.set _ZN7rocprim17ROCPRIM_400000_NS6detail17trampoline_kernelINS0_14default_configENS1_35radix_sort_onesweep_config_selectorIiNS0_10empty_typeEEEZZNS1_29radix_sort_onesweep_iterationIS3_Lb0EPKiPiPS5_SB_mNS0_19identity_decomposerENS1_16block_id_wrapperIjLb0EEEEE10hipError_tT1_PNSt15iterator_traitsISG_E10value_typeET2_T3_PNSH_ISM_E10value_typeET4_T5_PSR_SS_PNS1_23onesweep_lookback_stateEbbT6_jjT7_P12ihipStream_tbENKUlT_T0_SG_SL_E_clIS9_SA_SB_SB_EEDaSZ_S10_SG_SL_EUlSZ_E_NS1_11comp_targetILNS1_3genE4ELNS1_11target_archE910ELNS1_3gpuE8ELNS1_3repE0EEENS1_47radix_sort_onesweep_sort_config_static_selectorELNS0_4arch9wavefront6targetE0EEEvSG_.uses_vcc, 0
	.set _ZN7rocprim17ROCPRIM_400000_NS6detail17trampoline_kernelINS0_14default_configENS1_35radix_sort_onesweep_config_selectorIiNS0_10empty_typeEEEZZNS1_29radix_sort_onesweep_iterationIS3_Lb0EPKiPiPS5_SB_mNS0_19identity_decomposerENS1_16block_id_wrapperIjLb0EEEEE10hipError_tT1_PNSt15iterator_traitsISG_E10value_typeET2_T3_PNSH_ISM_E10value_typeET4_T5_PSR_SS_PNS1_23onesweep_lookback_stateEbbT6_jjT7_P12ihipStream_tbENKUlT_T0_SG_SL_E_clIS9_SA_SB_SB_EEDaSZ_S10_SG_SL_EUlSZ_E_NS1_11comp_targetILNS1_3genE4ELNS1_11target_archE910ELNS1_3gpuE8ELNS1_3repE0EEENS1_47radix_sort_onesweep_sort_config_static_selectorELNS0_4arch9wavefront6targetE0EEEvSG_.uses_flat_scratch, 0
	.set _ZN7rocprim17ROCPRIM_400000_NS6detail17trampoline_kernelINS0_14default_configENS1_35radix_sort_onesweep_config_selectorIiNS0_10empty_typeEEEZZNS1_29radix_sort_onesweep_iterationIS3_Lb0EPKiPiPS5_SB_mNS0_19identity_decomposerENS1_16block_id_wrapperIjLb0EEEEE10hipError_tT1_PNSt15iterator_traitsISG_E10value_typeET2_T3_PNSH_ISM_E10value_typeET4_T5_PSR_SS_PNS1_23onesweep_lookback_stateEbbT6_jjT7_P12ihipStream_tbENKUlT_T0_SG_SL_E_clIS9_SA_SB_SB_EEDaSZ_S10_SG_SL_EUlSZ_E_NS1_11comp_targetILNS1_3genE4ELNS1_11target_archE910ELNS1_3gpuE8ELNS1_3repE0EEENS1_47radix_sort_onesweep_sort_config_static_selectorELNS0_4arch9wavefront6targetE0EEEvSG_.has_dyn_sized_stack, 0
	.set _ZN7rocprim17ROCPRIM_400000_NS6detail17trampoline_kernelINS0_14default_configENS1_35radix_sort_onesweep_config_selectorIiNS0_10empty_typeEEEZZNS1_29radix_sort_onesweep_iterationIS3_Lb0EPKiPiPS5_SB_mNS0_19identity_decomposerENS1_16block_id_wrapperIjLb0EEEEE10hipError_tT1_PNSt15iterator_traitsISG_E10value_typeET2_T3_PNSH_ISM_E10value_typeET4_T5_PSR_SS_PNS1_23onesweep_lookback_stateEbbT6_jjT7_P12ihipStream_tbENKUlT_T0_SG_SL_E_clIS9_SA_SB_SB_EEDaSZ_S10_SG_SL_EUlSZ_E_NS1_11comp_targetILNS1_3genE4ELNS1_11target_archE910ELNS1_3gpuE8ELNS1_3repE0EEENS1_47radix_sort_onesweep_sort_config_static_selectorELNS0_4arch9wavefront6targetE0EEEvSG_.has_recursion, 0
	.set _ZN7rocprim17ROCPRIM_400000_NS6detail17trampoline_kernelINS0_14default_configENS1_35radix_sort_onesweep_config_selectorIiNS0_10empty_typeEEEZZNS1_29radix_sort_onesweep_iterationIS3_Lb0EPKiPiPS5_SB_mNS0_19identity_decomposerENS1_16block_id_wrapperIjLb0EEEEE10hipError_tT1_PNSt15iterator_traitsISG_E10value_typeET2_T3_PNSH_ISM_E10value_typeET4_T5_PSR_SS_PNS1_23onesweep_lookback_stateEbbT6_jjT7_P12ihipStream_tbENKUlT_T0_SG_SL_E_clIS9_SA_SB_SB_EEDaSZ_S10_SG_SL_EUlSZ_E_NS1_11comp_targetILNS1_3genE4ELNS1_11target_archE910ELNS1_3gpuE8ELNS1_3repE0EEENS1_47radix_sort_onesweep_sort_config_static_selectorELNS0_4arch9wavefront6targetE0EEEvSG_.has_indirect_call, 0
	.section	.AMDGPU.csdata,"",@progbits
; Kernel info:
; codeLenInByte = 0
; TotalNumSgprs: 0
; NumVgprs: 0
; ScratchSize: 0
; MemoryBound: 0
; FloatMode: 240
; IeeeMode: 1
; LDSByteSize: 0 bytes/workgroup (compile time only)
; SGPRBlocks: 0
; VGPRBlocks: 0
; NumSGPRsForWavesPerEU: 1
; NumVGPRsForWavesPerEU: 1
; NamedBarCnt: 0
; Occupancy: 16
; WaveLimiterHint : 0
; COMPUTE_PGM_RSRC2:SCRATCH_EN: 0
; COMPUTE_PGM_RSRC2:USER_SGPR: 2
; COMPUTE_PGM_RSRC2:TRAP_HANDLER: 0
; COMPUTE_PGM_RSRC2:TGID_X_EN: 1
; COMPUTE_PGM_RSRC2:TGID_Y_EN: 0
; COMPUTE_PGM_RSRC2:TGID_Z_EN: 0
; COMPUTE_PGM_RSRC2:TIDIG_COMP_CNT: 0
	.section	.text._ZN7rocprim17ROCPRIM_400000_NS6detail17trampoline_kernelINS0_14default_configENS1_35radix_sort_onesweep_config_selectorIiNS0_10empty_typeEEEZZNS1_29radix_sort_onesweep_iterationIS3_Lb0EPKiPiPS5_SB_mNS0_19identity_decomposerENS1_16block_id_wrapperIjLb0EEEEE10hipError_tT1_PNSt15iterator_traitsISG_E10value_typeET2_T3_PNSH_ISM_E10value_typeET4_T5_PSR_SS_PNS1_23onesweep_lookback_stateEbbT6_jjT7_P12ihipStream_tbENKUlT_T0_SG_SL_E_clIS9_SA_SB_SB_EEDaSZ_S10_SG_SL_EUlSZ_E_NS1_11comp_targetILNS1_3genE3ELNS1_11target_archE908ELNS1_3gpuE7ELNS1_3repE0EEENS1_47radix_sort_onesweep_sort_config_static_selectorELNS0_4arch9wavefront6targetE0EEEvSG_,"axG",@progbits,_ZN7rocprim17ROCPRIM_400000_NS6detail17trampoline_kernelINS0_14default_configENS1_35radix_sort_onesweep_config_selectorIiNS0_10empty_typeEEEZZNS1_29radix_sort_onesweep_iterationIS3_Lb0EPKiPiPS5_SB_mNS0_19identity_decomposerENS1_16block_id_wrapperIjLb0EEEEE10hipError_tT1_PNSt15iterator_traitsISG_E10value_typeET2_T3_PNSH_ISM_E10value_typeET4_T5_PSR_SS_PNS1_23onesweep_lookback_stateEbbT6_jjT7_P12ihipStream_tbENKUlT_T0_SG_SL_E_clIS9_SA_SB_SB_EEDaSZ_S10_SG_SL_EUlSZ_E_NS1_11comp_targetILNS1_3genE3ELNS1_11target_archE908ELNS1_3gpuE7ELNS1_3repE0EEENS1_47radix_sort_onesweep_sort_config_static_selectorELNS0_4arch9wavefront6targetE0EEEvSG_,comdat
	.protected	_ZN7rocprim17ROCPRIM_400000_NS6detail17trampoline_kernelINS0_14default_configENS1_35radix_sort_onesweep_config_selectorIiNS0_10empty_typeEEEZZNS1_29radix_sort_onesweep_iterationIS3_Lb0EPKiPiPS5_SB_mNS0_19identity_decomposerENS1_16block_id_wrapperIjLb0EEEEE10hipError_tT1_PNSt15iterator_traitsISG_E10value_typeET2_T3_PNSH_ISM_E10value_typeET4_T5_PSR_SS_PNS1_23onesweep_lookback_stateEbbT6_jjT7_P12ihipStream_tbENKUlT_T0_SG_SL_E_clIS9_SA_SB_SB_EEDaSZ_S10_SG_SL_EUlSZ_E_NS1_11comp_targetILNS1_3genE3ELNS1_11target_archE908ELNS1_3gpuE7ELNS1_3repE0EEENS1_47radix_sort_onesweep_sort_config_static_selectorELNS0_4arch9wavefront6targetE0EEEvSG_ ; -- Begin function _ZN7rocprim17ROCPRIM_400000_NS6detail17trampoline_kernelINS0_14default_configENS1_35radix_sort_onesweep_config_selectorIiNS0_10empty_typeEEEZZNS1_29radix_sort_onesweep_iterationIS3_Lb0EPKiPiPS5_SB_mNS0_19identity_decomposerENS1_16block_id_wrapperIjLb0EEEEE10hipError_tT1_PNSt15iterator_traitsISG_E10value_typeET2_T3_PNSH_ISM_E10value_typeET4_T5_PSR_SS_PNS1_23onesweep_lookback_stateEbbT6_jjT7_P12ihipStream_tbENKUlT_T0_SG_SL_E_clIS9_SA_SB_SB_EEDaSZ_S10_SG_SL_EUlSZ_E_NS1_11comp_targetILNS1_3genE3ELNS1_11target_archE908ELNS1_3gpuE7ELNS1_3repE0EEENS1_47radix_sort_onesweep_sort_config_static_selectorELNS0_4arch9wavefront6targetE0EEEvSG_
	.globl	_ZN7rocprim17ROCPRIM_400000_NS6detail17trampoline_kernelINS0_14default_configENS1_35radix_sort_onesweep_config_selectorIiNS0_10empty_typeEEEZZNS1_29radix_sort_onesweep_iterationIS3_Lb0EPKiPiPS5_SB_mNS0_19identity_decomposerENS1_16block_id_wrapperIjLb0EEEEE10hipError_tT1_PNSt15iterator_traitsISG_E10value_typeET2_T3_PNSH_ISM_E10value_typeET4_T5_PSR_SS_PNS1_23onesweep_lookback_stateEbbT6_jjT7_P12ihipStream_tbENKUlT_T0_SG_SL_E_clIS9_SA_SB_SB_EEDaSZ_S10_SG_SL_EUlSZ_E_NS1_11comp_targetILNS1_3genE3ELNS1_11target_archE908ELNS1_3gpuE7ELNS1_3repE0EEENS1_47radix_sort_onesweep_sort_config_static_selectorELNS0_4arch9wavefront6targetE0EEEvSG_
	.p2align	8
	.type	_ZN7rocprim17ROCPRIM_400000_NS6detail17trampoline_kernelINS0_14default_configENS1_35radix_sort_onesweep_config_selectorIiNS0_10empty_typeEEEZZNS1_29radix_sort_onesweep_iterationIS3_Lb0EPKiPiPS5_SB_mNS0_19identity_decomposerENS1_16block_id_wrapperIjLb0EEEEE10hipError_tT1_PNSt15iterator_traitsISG_E10value_typeET2_T3_PNSH_ISM_E10value_typeET4_T5_PSR_SS_PNS1_23onesweep_lookback_stateEbbT6_jjT7_P12ihipStream_tbENKUlT_T0_SG_SL_E_clIS9_SA_SB_SB_EEDaSZ_S10_SG_SL_EUlSZ_E_NS1_11comp_targetILNS1_3genE3ELNS1_11target_archE908ELNS1_3gpuE7ELNS1_3repE0EEENS1_47radix_sort_onesweep_sort_config_static_selectorELNS0_4arch9wavefront6targetE0EEEvSG_,@function
_ZN7rocprim17ROCPRIM_400000_NS6detail17trampoline_kernelINS0_14default_configENS1_35radix_sort_onesweep_config_selectorIiNS0_10empty_typeEEEZZNS1_29radix_sort_onesweep_iterationIS3_Lb0EPKiPiPS5_SB_mNS0_19identity_decomposerENS1_16block_id_wrapperIjLb0EEEEE10hipError_tT1_PNSt15iterator_traitsISG_E10value_typeET2_T3_PNSH_ISM_E10value_typeET4_T5_PSR_SS_PNS1_23onesweep_lookback_stateEbbT6_jjT7_P12ihipStream_tbENKUlT_T0_SG_SL_E_clIS9_SA_SB_SB_EEDaSZ_S10_SG_SL_EUlSZ_E_NS1_11comp_targetILNS1_3genE3ELNS1_11target_archE908ELNS1_3gpuE7ELNS1_3repE0EEENS1_47radix_sort_onesweep_sort_config_static_selectorELNS0_4arch9wavefront6targetE0EEEvSG_: ; @_ZN7rocprim17ROCPRIM_400000_NS6detail17trampoline_kernelINS0_14default_configENS1_35radix_sort_onesweep_config_selectorIiNS0_10empty_typeEEEZZNS1_29radix_sort_onesweep_iterationIS3_Lb0EPKiPiPS5_SB_mNS0_19identity_decomposerENS1_16block_id_wrapperIjLb0EEEEE10hipError_tT1_PNSt15iterator_traitsISG_E10value_typeET2_T3_PNSH_ISM_E10value_typeET4_T5_PSR_SS_PNS1_23onesweep_lookback_stateEbbT6_jjT7_P12ihipStream_tbENKUlT_T0_SG_SL_E_clIS9_SA_SB_SB_EEDaSZ_S10_SG_SL_EUlSZ_E_NS1_11comp_targetILNS1_3genE3ELNS1_11target_archE908ELNS1_3gpuE7ELNS1_3repE0EEENS1_47radix_sort_onesweep_sort_config_static_selectorELNS0_4arch9wavefront6targetE0EEEvSG_
; %bb.0:
	.section	.rodata,"a",@progbits
	.p2align	6, 0x0
	.amdhsa_kernel _ZN7rocprim17ROCPRIM_400000_NS6detail17trampoline_kernelINS0_14default_configENS1_35radix_sort_onesweep_config_selectorIiNS0_10empty_typeEEEZZNS1_29radix_sort_onesweep_iterationIS3_Lb0EPKiPiPS5_SB_mNS0_19identity_decomposerENS1_16block_id_wrapperIjLb0EEEEE10hipError_tT1_PNSt15iterator_traitsISG_E10value_typeET2_T3_PNSH_ISM_E10value_typeET4_T5_PSR_SS_PNS1_23onesweep_lookback_stateEbbT6_jjT7_P12ihipStream_tbENKUlT_T0_SG_SL_E_clIS9_SA_SB_SB_EEDaSZ_S10_SG_SL_EUlSZ_E_NS1_11comp_targetILNS1_3genE3ELNS1_11target_archE908ELNS1_3gpuE7ELNS1_3repE0EEENS1_47radix_sort_onesweep_sort_config_static_selectorELNS0_4arch9wavefront6targetE0EEEvSG_
		.amdhsa_group_segment_fixed_size 0
		.amdhsa_private_segment_fixed_size 0
		.amdhsa_kernarg_size 88
		.amdhsa_user_sgpr_count 2
		.amdhsa_user_sgpr_dispatch_ptr 0
		.amdhsa_user_sgpr_queue_ptr 0
		.amdhsa_user_sgpr_kernarg_segment_ptr 1
		.amdhsa_user_sgpr_dispatch_id 0
		.amdhsa_user_sgpr_kernarg_preload_length 0
		.amdhsa_user_sgpr_kernarg_preload_offset 0
		.amdhsa_user_sgpr_private_segment_size 0
		.amdhsa_wavefront_size32 1
		.amdhsa_uses_dynamic_stack 0
		.amdhsa_enable_private_segment 0
		.amdhsa_system_sgpr_workgroup_id_x 1
		.amdhsa_system_sgpr_workgroup_id_y 0
		.amdhsa_system_sgpr_workgroup_id_z 0
		.amdhsa_system_sgpr_workgroup_info 0
		.amdhsa_system_vgpr_workitem_id 0
		.amdhsa_next_free_vgpr 1
		.amdhsa_next_free_sgpr 1
		.amdhsa_named_barrier_count 0
		.amdhsa_reserve_vcc 0
		.amdhsa_float_round_mode_32 0
		.amdhsa_float_round_mode_16_64 0
		.amdhsa_float_denorm_mode_32 3
		.amdhsa_float_denorm_mode_16_64 3
		.amdhsa_fp16_overflow 0
		.amdhsa_memory_ordered 1
		.amdhsa_forward_progress 1
		.amdhsa_inst_pref_size 0
		.amdhsa_round_robin_scheduling 0
		.amdhsa_exception_fp_ieee_invalid_op 0
		.amdhsa_exception_fp_denorm_src 0
		.amdhsa_exception_fp_ieee_div_zero 0
		.amdhsa_exception_fp_ieee_overflow 0
		.amdhsa_exception_fp_ieee_underflow 0
		.amdhsa_exception_fp_ieee_inexact 0
		.amdhsa_exception_int_div_zero 0
	.end_amdhsa_kernel
	.section	.text._ZN7rocprim17ROCPRIM_400000_NS6detail17trampoline_kernelINS0_14default_configENS1_35radix_sort_onesweep_config_selectorIiNS0_10empty_typeEEEZZNS1_29radix_sort_onesweep_iterationIS3_Lb0EPKiPiPS5_SB_mNS0_19identity_decomposerENS1_16block_id_wrapperIjLb0EEEEE10hipError_tT1_PNSt15iterator_traitsISG_E10value_typeET2_T3_PNSH_ISM_E10value_typeET4_T5_PSR_SS_PNS1_23onesweep_lookback_stateEbbT6_jjT7_P12ihipStream_tbENKUlT_T0_SG_SL_E_clIS9_SA_SB_SB_EEDaSZ_S10_SG_SL_EUlSZ_E_NS1_11comp_targetILNS1_3genE3ELNS1_11target_archE908ELNS1_3gpuE7ELNS1_3repE0EEENS1_47radix_sort_onesweep_sort_config_static_selectorELNS0_4arch9wavefront6targetE0EEEvSG_,"axG",@progbits,_ZN7rocprim17ROCPRIM_400000_NS6detail17trampoline_kernelINS0_14default_configENS1_35radix_sort_onesweep_config_selectorIiNS0_10empty_typeEEEZZNS1_29radix_sort_onesweep_iterationIS3_Lb0EPKiPiPS5_SB_mNS0_19identity_decomposerENS1_16block_id_wrapperIjLb0EEEEE10hipError_tT1_PNSt15iterator_traitsISG_E10value_typeET2_T3_PNSH_ISM_E10value_typeET4_T5_PSR_SS_PNS1_23onesweep_lookback_stateEbbT6_jjT7_P12ihipStream_tbENKUlT_T0_SG_SL_E_clIS9_SA_SB_SB_EEDaSZ_S10_SG_SL_EUlSZ_E_NS1_11comp_targetILNS1_3genE3ELNS1_11target_archE908ELNS1_3gpuE7ELNS1_3repE0EEENS1_47radix_sort_onesweep_sort_config_static_selectorELNS0_4arch9wavefront6targetE0EEEvSG_,comdat
.Lfunc_end983:
	.size	_ZN7rocprim17ROCPRIM_400000_NS6detail17trampoline_kernelINS0_14default_configENS1_35radix_sort_onesweep_config_selectorIiNS0_10empty_typeEEEZZNS1_29radix_sort_onesweep_iterationIS3_Lb0EPKiPiPS5_SB_mNS0_19identity_decomposerENS1_16block_id_wrapperIjLb0EEEEE10hipError_tT1_PNSt15iterator_traitsISG_E10value_typeET2_T3_PNSH_ISM_E10value_typeET4_T5_PSR_SS_PNS1_23onesweep_lookback_stateEbbT6_jjT7_P12ihipStream_tbENKUlT_T0_SG_SL_E_clIS9_SA_SB_SB_EEDaSZ_S10_SG_SL_EUlSZ_E_NS1_11comp_targetILNS1_3genE3ELNS1_11target_archE908ELNS1_3gpuE7ELNS1_3repE0EEENS1_47radix_sort_onesweep_sort_config_static_selectorELNS0_4arch9wavefront6targetE0EEEvSG_, .Lfunc_end983-_ZN7rocprim17ROCPRIM_400000_NS6detail17trampoline_kernelINS0_14default_configENS1_35radix_sort_onesweep_config_selectorIiNS0_10empty_typeEEEZZNS1_29radix_sort_onesweep_iterationIS3_Lb0EPKiPiPS5_SB_mNS0_19identity_decomposerENS1_16block_id_wrapperIjLb0EEEEE10hipError_tT1_PNSt15iterator_traitsISG_E10value_typeET2_T3_PNSH_ISM_E10value_typeET4_T5_PSR_SS_PNS1_23onesweep_lookback_stateEbbT6_jjT7_P12ihipStream_tbENKUlT_T0_SG_SL_E_clIS9_SA_SB_SB_EEDaSZ_S10_SG_SL_EUlSZ_E_NS1_11comp_targetILNS1_3genE3ELNS1_11target_archE908ELNS1_3gpuE7ELNS1_3repE0EEENS1_47radix_sort_onesweep_sort_config_static_selectorELNS0_4arch9wavefront6targetE0EEEvSG_
                                        ; -- End function
	.set _ZN7rocprim17ROCPRIM_400000_NS6detail17trampoline_kernelINS0_14default_configENS1_35radix_sort_onesweep_config_selectorIiNS0_10empty_typeEEEZZNS1_29radix_sort_onesweep_iterationIS3_Lb0EPKiPiPS5_SB_mNS0_19identity_decomposerENS1_16block_id_wrapperIjLb0EEEEE10hipError_tT1_PNSt15iterator_traitsISG_E10value_typeET2_T3_PNSH_ISM_E10value_typeET4_T5_PSR_SS_PNS1_23onesweep_lookback_stateEbbT6_jjT7_P12ihipStream_tbENKUlT_T0_SG_SL_E_clIS9_SA_SB_SB_EEDaSZ_S10_SG_SL_EUlSZ_E_NS1_11comp_targetILNS1_3genE3ELNS1_11target_archE908ELNS1_3gpuE7ELNS1_3repE0EEENS1_47radix_sort_onesweep_sort_config_static_selectorELNS0_4arch9wavefront6targetE0EEEvSG_.num_vgpr, 0
	.set _ZN7rocprim17ROCPRIM_400000_NS6detail17trampoline_kernelINS0_14default_configENS1_35radix_sort_onesweep_config_selectorIiNS0_10empty_typeEEEZZNS1_29radix_sort_onesweep_iterationIS3_Lb0EPKiPiPS5_SB_mNS0_19identity_decomposerENS1_16block_id_wrapperIjLb0EEEEE10hipError_tT1_PNSt15iterator_traitsISG_E10value_typeET2_T3_PNSH_ISM_E10value_typeET4_T5_PSR_SS_PNS1_23onesweep_lookback_stateEbbT6_jjT7_P12ihipStream_tbENKUlT_T0_SG_SL_E_clIS9_SA_SB_SB_EEDaSZ_S10_SG_SL_EUlSZ_E_NS1_11comp_targetILNS1_3genE3ELNS1_11target_archE908ELNS1_3gpuE7ELNS1_3repE0EEENS1_47radix_sort_onesweep_sort_config_static_selectorELNS0_4arch9wavefront6targetE0EEEvSG_.num_agpr, 0
	.set _ZN7rocprim17ROCPRIM_400000_NS6detail17trampoline_kernelINS0_14default_configENS1_35radix_sort_onesweep_config_selectorIiNS0_10empty_typeEEEZZNS1_29radix_sort_onesweep_iterationIS3_Lb0EPKiPiPS5_SB_mNS0_19identity_decomposerENS1_16block_id_wrapperIjLb0EEEEE10hipError_tT1_PNSt15iterator_traitsISG_E10value_typeET2_T3_PNSH_ISM_E10value_typeET4_T5_PSR_SS_PNS1_23onesweep_lookback_stateEbbT6_jjT7_P12ihipStream_tbENKUlT_T0_SG_SL_E_clIS9_SA_SB_SB_EEDaSZ_S10_SG_SL_EUlSZ_E_NS1_11comp_targetILNS1_3genE3ELNS1_11target_archE908ELNS1_3gpuE7ELNS1_3repE0EEENS1_47radix_sort_onesweep_sort_config_static_selectorELNS0_4arch9wavefront6targetE0EEEvSG_.numbered_sgpr, 0
	.set _ZN7rocprim17ROCPRIM_400000_NS6detail17trampoline_kernelINS0_14default_configENS1_35radix_sort_onesweep_config_selectorIiNS0_10empty_typeEEEZZNS1_29radix_sort_onesweep_iterationIS3_Lb0EPKiPiPS5_SB_mNS0_19identity_decomposerENS1_16block_id_wrapperIjLb0EEEEE10hipError_tT1_PNSt15iterator_traitsISG_E10value_typeET2_T3_PNSH_ISM_E10value_typeET4_T5_PSR_SS_PNS1_23onesweep_lookback_stateEbbT6_jjT7_P12ihipStream_tbENKUlT_T0_SG_SL_E_clIS9_SA_SB_SB_EEDaSZ_S10_SG_SL_EUlSZ_E_NS1_11comp_targetILNS1_3genE3ELNS1_11target_archE908ELNS1_3gpuE7ELNS1_3repE0EEENS1_47radix_sort_onesweep_sort_config_static_selectorELNS0_4arch9wavefront6targetE0EEEvSG_.num_named_barrier, 0
	.set _ZN7rocprim17ROCPRIM_400000_NS6detail17trampoline_kernelINS0_14default_configENS1_35radix_sort_onesweep_config_selectorIiNS0_10empty_typeEEEZZNS1_29radix_sort_onesweep_iterationIS3_Lb0EPKiPiPS5_SB_mNS0_19identity_decomposerENS1_16block_id_wrapperIjLb0EEEEE10hipError_tT1_PNSt15iterator_traitsISG_E10value_typeET2_T3_PNSH_ISM_E10value_typeET4_T5_PSR_SS_PNS1_23onesweep_lookback_stateEbbT6_jjT7_P12ihipStream_tbENKUlT_T0_SG_SL_E_clIS9_SA_SB_SB_EEDaSZ_S10_SG_SL_EUlSZ_E_NS1_11comp_targetILNS1_3genE3ELNS1_11target_archE908ELNS1_3gpuE7ELNS1_3repE0EEENS1_47radix_sort_onesweep_sort_config_static_selectorELNS0_4arch9wavefront6targetE0EEEvSG_.private_seg_size, 0
	.set _ZN7rocprim17ROCPRIM_400000_NS6detail17trampoline_kernelINS0_14default_configENS1_35radix_sort_onesweep_config_selectorIiNS0_10empty_typeEEEZZNS1_29radix_sort_onesweep_iterationIS3_Lb0EPKiPiPS5_SB_mNS0_19identity_decomposerENS1_16block_id_wrapperIjLb0EEEEE10hipError_tT1_PNSt15iterator_traitsISG_E10value_typeET2_T3_PNSH_ISM_E10value_typeET4_T5_PSR_SS_PNS1_23onesweep_lookback_stateEbbT6_jjT7_P12ihipStream_tbENKUlT_T0_SG_SL_E_clIS9_SA_SB_SB_EEDaSZ_S10_SG_SL_EUlSZ_E_NS1_11comp_targetILNS1_3genE3ELNS1_11target_archE908ELNS1_3gpuE7ELNS1_3repE0EEENS1_47radix_sort_onesweep_sort_config_static_selectorELNS0_4arch9wavefront6targetE0EEEvSG_.uses_vcc, 0
	.set _ZN7rocprim17ROCPRIM_400000_NS6detail17trampoline_kernelINS0_14default_configENS1_35radix_sort_onesweep_config_selectorIiNS0_10empty_typeEEEZZNS1_29radix_sort_onesweep_iterationIS3_Lb0EPKiPiPS5_SB_mNS0_19identity_decomposerENS1_16block_id_wrapperIjLb0EEEEE10hipError_tT1_PNSt15iterator_traitsISG_E10value_typeET2_T3_PNSH_ISM_E10value_typeET4_T5_PSR_SS_PNS1_23onesweep_lookback_stateEbbT6_jjT7_P12ihipStream_tbENKUlT_T0_SG_SL_E_clIS9_SA_SB_SB_EEDaSZ_S10_SG_SL_EUlSZ_E_NS1_11comp_targetILNS1_3genE3ELNS1_11target_archE908ELNS1_3gpuE7ELNS1_3repE0EEENS1_47radix_sort_onesweep_sort_config_static_selectorELNS0_4arch9wavefront6targetE0EEEvSG_.uses_flat_scratch, 0
	.set _ZN7rocprim17ROCPRIM_400000_NS6detail17trampoline_kernelINS0_14default_configENS1_35radix_sort_onesweep_config_selectorIiNS0_10empty_typeEEEZZNS1_29radix_sort_onesweep_iterationIS3_Lb0EPKiPiPS5_SB_mNS0_19identity_decomposerENS1_16block_id_wrapperIjLb0EEEEE10hipError_tT1_PNSt15iterator_traitsISG_E10value_typeET2_T3_PNSH_ISM_E10value_typeET4_T5_PSR_SS_PNS1_23onesweep_lookback_stateEbbT6_jjT7_P12ihipStream_tbENKUlT_T0_SG_SL_E_clIS9_SA_SB_SB_EEDaSZ_S10_SG_SL_EUlSZ_E_NS1_11comp_targetILNS1_3genE3ELNS1_11target_archE908ELNS1_3gpuE7ELNS1_3repE0EEENS1_47radix_sort_onesweep_sort_config_static_selectorELNS0_4arch9wavefront6targetE0EEEvSG_.has_dyn_sized_stack, 0
	.set _ZN7rocprim17ROCPRIM_400000_NS6detail17trampoline_kernelINS0_14default_configENS1_35radix_sort_onesweep_config_selectorIiNS0_10empty_typeEEEZZNS1_29radix_sort_onesweep_iterationIS3_Lb0EPKiPiPS5_SB_mNS0_19identity_decomposerENS1_16block_id_wrapperIjLb0EEEEE10hipError_tT1_PNSt15iterator_traitsISG_E10value_typeET2_T3_PNSH_ISM_E10value_typeET4_T5_PSR_SS_PNS1_23onesweep_lookback_stateEbbT6_jjT7_P12ihipStream_tbENKUlT_T0_SG_SL_E_clIS9_SA_SB_SB_EEDaSZ_S10_SG_SL_EUlSZ_E_NS1_11comp_targetILNS1_3genE3ELNS1_11target_archE908ELNS1_3gpuE7ELNS1_3repE0EEENS1_47radix_sort_onesweep_sort_config_static_selectorELNS0_4arch9wavefront6targetE0EEEvSG_.has_recursion, 0
	.set _ZN7rocprim17ROCPRIM_400000_NS6detail17trampoline_kernelINS0_14default_configENS1_35radix_sort_onesweep_config_selectorIiNS0_10empty_typeEEEZZNS1_29radix_sort_onesweep_iterationIS3_Lb0EPKiPiPS5_SB_mNS0_19identity_decomposerENS1_16block_id_wrapperIjLb0EEEEE10hipError_tT1_PNSt15iterator_traitsISG_E10value_typeET2_T3_PNSH_ISM_E10value_typeET4_T5_PSR_SS_PNS1_23onesweep_lookback_stateEbbT6_jjT7_P12ihipStream_tbENKUlT_T0_SG_SL_E_clIS9_SA_SB_SB_EEDaSZ_S10_SG_SL_EUlSZ_E_NS1_11comp_targetILNS1_3genE3ELNS1_11target_archE908ELNS1_3gpuE7ELNS1_3repE0EEENS1_47radix_sort_onesweep_sort_config_static_selectorELNS0_4arch9wavefront6targetE0EEEvSG_.has_indirect_call, 0
	.section	.AMDGPU.csdata,"",@progbits
; Kernel info:
; codeLenInByte = 0
; TotalNumSgprs: 0
; NumVgprs: 0
; ScratchSize: 0
; MemoryBound: 0
; FloatMode: 240
; IeeeMode: 1
; LDSByteSize: 0 bytes/workgroup (compile time only)
; SGPRBlocks: 0
; VGPRBlocks: 0
; NumSGPRsForWavesPerEU: 1
; NumVGPRsForWavesPerEU: 1
; NamedBarCnt: 0
; Occupancy: 16
; WaveLimiterHint : 0
; COMPUTE_PGM_RSRC2:SCRATCH_EN: 0
; COMPUTE_PGM_RSRC2:USER_SGPR: 2
; COMPUTE_PGM_RSRC2:TRAP_HANDLER: 0
; COMPUTE_PGM_RSRC2:TGID_X_EN: 1
; COMPUTE_PGM_RSRC2:TGID_Y_EN: 0
; COMPUTE_PGM_RSRC2:TGID_Z_EN: 0
; COMPUTE_PGM_RSRC2:TIDIG_COMP_CNT: 0
	.section	.text._ZN7rocprim17ROCPRIM_400000_NS6detail17trampoline_kernelINS0_14default_configENS1_35radix_sort_onesweep_config_selectorIiNS0_10empty_typeEEEZZNS1_29radix_sort_onesweep_iterationIS3_Lb0EPKiPiPS5_SB_mNS0_19identity_decomposerENS1_16block_id_wrapperIjLb0EEEEE10hipError_tT1_PNSt15iterator_traitsISG_E10value_typeET2_T3_PNSH_ISM_E10value_typeET4_T5_PSR_SS_PNS1_23onesweep_lookback_stateEbbT6_jjT7_P12ihipStream_tbENKUlT_T0_SG_SL_E_clIS9_SA_SB_SB_EEDaSZ_S10_SG_SL_EUlSZ_E_NS1_11comp_targetILNS1_3genE10ELNS1_11target_archE1201ELNS1_3gpuE5ELNS1_3repE0EEENS1_47radix_sort_onesweep_sort_config_static_selectorELNS0_4arch9wavefront6targetE0EEEvSG_,"axG",@progbits,_ZN7rocprim17ROCPRIM_400000_NS6detail17trampoline_kernelINS0_14default_configENS1_35radix_sort_onesweep_config_selectorIiNS0_10empty_typeEEEZZNS1_29radix_sort_onesweep_iterationIS3_Lb0EPKiPiPS5_SB_mNS0_19identity_decomposerENS1_16block_id_wrapperIjLb0EEEEE10hipError_tT1_PNSt15iterator_traitsISG_E10value_typeET2_T3_PNSH_ISM_E10value_typeET4_T5_PSR_SS_PNS1_23onesweep_lookback_stateEbbT6_jjT7_P12ihipStream_tbENKUlT_T0_SG_SL_E_clIS9_SA_SB_SB_EEDaSZ_S10_SG_SL_EUlSZ_E_NS1_11comp_targetILNS1_3genE10ELNS1_11target_archE1201ELNS1_3gpuE5ELNS1_3repE0EEENS1_47radix_sort_onesweep_sort_config_static_selectorELNS0_4arch9wavefront6targetE0EEEvSG_,comdat
	.protected	_ZN7rocprim17ROCPRIM_400000_NS6detail17trampoline_kernelINS0_14default_configENS1_35radix_sort_onesweep_config_selectorIiNS0_10empty_typeEEEZZNS1_29radix_sort_onesweep_iterationIS3_Lb0EPKiPiPS5_SB_mNS0_19identity_decomposerENS1_16block_id_wrapperIjLb0EEEEE10hipError_tT1_PNSt15iterator_traitsISG_E10value_typeET2_T3_PNSH_ISM_E10value_typeET4_T5_PSR_SS_PNS1_23onesweep_lookback_stateEbbT6_jjT7_P12ihipStream_tbENKUlT_T0_SG_SL_E_clIS9_SA_SB_SB_EEDaSZ_S10_SG_SL_EUlSZ_E_NS1_11comp_targetILNS1_3genE10ELNS1_11target_archE1201ELNS1_3gpuE5ELNS1_3repE0EEENS1_47radix_sort_onesweep_sort_config_static_selectorELNS0_4arch9wavefront6targetE0EEEvSG_ ; -- Begin function _ZN7rocprim17ROCPRIM_400000_NS6detail17trampoline_kernelINS0_14default_configENS1_35radix_sort_onesweep_config_selectorIiNS0_10empty_typeEEEZZNS1_29radix_sort_onesweep_iterationIS3_Lb0EPKiPiPS5_SB_mNS0_19identity_decomposerENS1_16block_id_wrapperIjLb0EEEEE10hipError_tT1_PNSt15iterator_traitsISG_E10value_typeET2_T3_PNSH_ISM_E10value_typeET4_T5_PSR_SS_PNS1_23onesweep_lookback_stateEbbT6_jjT7_P12ihipStream_tbENKUlT_T0_SG_SL_E_clIS9_SA_SB_SB_EEDaSZ_S10_SG_SL_EUlSZ_E_NS1_11comp_targetILNS1_3genE10ELNS1_11target_archE1201ELNS1_3gpuE5ELNS1_3repE0EEENS1_47radix_sort_onesweep_sort_config_static_selectorELNS0_4arch9wavefront6targetE0EEEvSG_
	.globl	_ZN7rocprim17ROCPRIM_400000_NS6detail17trampoline_kernelINS0_14default_configENS1_35radix_sort_onesweep_config_selectorIiNS0_10empty_typeEEEZZNS1_29radix_sort_onesweep_iterationIS3_Lb0EPKiPiPS5_SB_mNS0_19identity_decomposerENS1_16block_id_wrapperIjLb0EEEEE10hipError_tT1_PNSt15iterator_traitsISG_E10value_typeET2_T3_PNSH_ISM_E10value_typeET4_T5_PSR_SS_PNS1_23onesweep_lookback_stateEbbT6_jjT7_P12ihipStream_tbENKUlT_T0_SG_SL_E_clIS9_SA_SB_SB_EEDaSZ_S10_SG_SL_EUlSZ_E_NS1_11comp_targetILNS1_3genE10ELNS1_11target_archE1201ELNS1_3gpuE5ELNS1_3repE0EEENS1_47radix_sort_onesweep_sort_config_static_selectorELNS0_4arch9wavefront6targetE0EEEvSG_
	.p2align	8
	.type	_ZN7rocprim17ROCPRIM_400000_NS6detail17trampoline_kernelINS0_14default_configENS1_35radix_sort_onesweep_config_selectorIiNS0_10empty_typeEEEZZNS1_29radix_sort_onesweep_iterationIS3_Lb0EPKiPiPS5_SB_mNS0_19identity_decomposerENS1_16block_id_wrapperIjLb0EEEEE10hipError_tT1_PNSt15iterator_traitsISG_E10value_typeET2_T3_PNSH_ISM_E10value_typeET4_T5_PSR_SS_PNS1_23onesweep_lookback_stateEbbT6_jjT7_P12ihipStream_tbENKUlT_T0_SG_SL_E_clIS9_SA_SB_SB_EEDaSZ_S10_SG_SL_EUlSZ_E_NS1_11comp_targetILNS1_3genE10ELNS1_11target_archE1201ELNS1_3gpuE5ELNS1_3repE0EEENS1_47radix_sort_onesweep_sort_config_static_selectorELNS0_4arch9wavefront6targetE0EEEvSG_,@function
_ZN7rocprim17ROCPRIM_400000_NS6detail17trampoline_kernelINS0_14default_configENS1_35radix_sort_onesweep_config_selectorIiNS0_10empty_typeEEEZZNS1_29radix_sort_onesweep_iterationIS3_Lb0EPKiPiPS5_SB_mNS0_19identity_decomposerENS1_16block_id_wrapperIjLb0EEEEE10hipError_tT1_PNSt15iterator_traitsISG_E10value_typeET2_T3_PNSH_ISM_E10value_typeET4_T5_PSR_SS_PNS1_23onesweep_lookback_stateEbbT6_jjT7_P12ihipStream_tbENKUlT_T0_SG_SL_E_clIS9_SA_SB_SB_EEDaSZ_S10_SG_SL_EUlSZ_E_NS1_11comp_targetILNS1_3genE10ELNS1_11target_archE1201ELNS1_3gpuE5ELNS1_3repE0EEENS1_47radix_sort_onesweep_sort_config_static_selectorELNS0_4arch9wavefront6targetE0EEEvSG_: ; @_ZN7rocprim17ROCPRIM_400000_NS6detail17trampoline_kernelINS0_14default_configENS1_35radix_sort_onesweep_config_selectorIiNS0_10empty_typeEEEZZNS1_29radix_sort_onesweep_iterationIS3_Lb0EPKiPiPS5_SB_mNS0_19identity_decomposerENS1_16block_id_wrapperIjLb0EEEEE10hipError_tT1_PNSt15iterator_traitsISG_E10value_typeET2_T3_PNSH_ISM_E10value_typeET4_T5_PSR_SS_PNS1_23onesweep_lookback_stateEbbT6_jjT7_P12ihipStream_tbENKUlT_T0_SG_SL_E_clIS9_SA_SB_SB_EEDaSZ_S10_SG_SL_EUlSZ_E_NS1_11comp_targetILNS1_3genE10ELNS1_11target_archE1201ELNS1_3gpuE5ELNS1_3repE0EEENS1_47radix_sort_onesweep_sort_config_static_selectorELNS0_4arch9wavefront6targetE0EEEvSG_
; %bb.0:
	.section	.rodata,"a",@progbits
	.p2align	6, 0x0
	.amdhsa_kernel _ZN7rocprim17ROCPRIM_400000_NS6detail17trampoline_kernelINS0_14default_configENS1_35radix_sort_onesweep_config_selectorIiNS0_10empty_typeEEEZZNS1_29radix_sort_onesweep_iterationIS3_Lb0EPKiPiPS5_SB_mNS0_19identity_decomposerENS1_16block_id_wrapperIjLb0EEEEE10hipError_tT1_PNSt15iterator_traitsISG_E10value_typeET2_T3_PNSH_ISM_E10value_typeET4_T5_PSR_SS_PNS1_23onesweep_lookback_stateEbbT6_jjT7_P12ihipStream_tbENKUlT_T0_SG_SL_E_clIS9_SA_SB_SB_EEDaSZ_S10_SG_SL_EUlSZ_E_NS1_11comp_targetILNS1_3genE10ELNS1_11target_archE1201ELNS1_3gpuE5ELNS1_3repE0EEENS1_47radix_sort_onesweep_sort_config_static_selectorELNS0_4arch9wavefront6targetE0EEEvSG_
		.amdhsa_group_segment_fixed_size 0
		.amdhsa_private_segment_fixed_size 0
		.amdhsa_kernarg_size 88
		.amdhsa_user_sgpr_count 2
		.amdhsa_user_sgpr_dispatch_ptr 0
		.amdhsa_user_sgpr_queue_ptr 0
		.amdhsa_user_sgpr_kernarg_segment_ptr 1
		.amdhsa_user_sgpr_dispatch_id 0
		.amdhsa_user_sgpr_kernarg_preload_length 0
		.amdhsa_user_sgpr_kernarg_preload_offset 0
		.amdhsa_user_sgpr_private_segment_size 0
		.amdhsa_wavefront_size32 1
		.amdhsa_uses_dynamic_stack 0
		.amdhsa_enable_private_segment 0
		.amdhsa_system_sgpr_workgroup_id_x 1
		.amdhsa_system_sgpr_workgroup_id_y 0
		.amdhsa_system_sgpr_workgroup_id_z 0
		.amdhsa_system_sgpr_workgroup_info 0
		.amdhsa_system_vgpr_workitem_id 0
		.amdhsa_next_free_vgpr 1
		.amdhsa_next_free_sgpr 1
		.amdhsa_named_barrier_count 0
		.amdhsa_reserve_vcc 0
		.amdhsa_float_round_mode_32 0
		.amdhsa_float_round_mode_16_64 0
		.amdhsa_float_denorm_mode_32 3
		.amdhsa_float_denorm_mode_16_64 3
		.amdhsa_fp16_overflow 0
		.amdhsa_memory_ordered 1
		.amdhsa_forward_progress 1
		.amdhsa_inst_pref_size 0
		.amdhsa_round_robin_scheduling 0
		.amdhsa_exception_fp_ieee_invalid_op 0
		.amdhsa_exception_fp_denorm_src 0
		.amdhsa_exception_fp_ieee_div_zero 0
		.amdhsa_exception_fp_ieee_overflow 0
		.amdhsa_exception_fp_ieee_underflow 0
		.amdhsa_exception_fp_ieee_inexact 0
		.amdhsa_exception_int_div_zero 0
	.end_amdhsa_kernel
	.section	.text._ZN7rocprim17ROCPRIM_400000_NS6detail17trampoline_kernelINS0_14default_configENS1_35radix_sort_onesweep_config_selectorIiNS0_10empty_typeEEEZZNS1_29radix_sort_onesweep_iterationIS3_Lb0EPKiPiPS5_SB_mNS0_19identity_decomposerENS1_16block_id_wrapperIjLb0EEEEE10hipError_tT1_PNSt15iterator_traitsISG_E10value_typeET2_T3_PNSH_ISM_E10value_typeET4_T5_PSR_SS_PNS1_23onesweep_lookback_stateEbbT6_jjT7_P12ihipStream_tbENKUlT_T0_SG_SL_E_clIS9_SA_SB_SB_EEDaSZ_S10_SG_SL_EUlSZ_E_NS1_11comp_targetILNS1_3genE10ELNS1_11target_archE1201ELNS1_3gpuE5ELNS1_3repE0EEENS1_47radix_sort_onesweep_sort_config_static_selectorELNS0_4arch9wavefront6targetE0EEEvSG_,"axG",@progbits,_ZN7rocprim17ROCPRIM_400000_NS6detail17trampoline_kernelINS0_14default_configENS1_35radix_sort_onesweep_config_selectorIiNS0_10empty_typeEEEZZNS1_29radix_sort_onesweep_iterationIS3_Lb0EPKiPiPS5_SB_mNS0_19identity_decomposerENS1_16block_id_wrapperIjLb0EEEEE10hipError_tT1_PNSt15iterator_traitsISG_E10value_typeET2_T3_PNSH_ISM_E10value_typeET4_T5_PSR_SS_PNS1_23onesweep_lookback_stateEbbT6_jjT7_P12ihipStream_tbENKUlT_T0_SG_SL_E_clIS9_SA_SB_SB_EEDaSZ_S10_SG_SL_EUlSZ_E_NS1_11comp_targetILNS1_3genE10ELNS1_11target_archE1201ELNS1_3gpuE5ELNS1_3repE0EEENS1_47radix_sort_onesweep_sort_config_static_selectorELNS0_4arch9wavefront6targetE0EEEvSG_,comdat
.Lfunc_end984:
	.size	_ZN7rocprim17ROCPRIM_400000_NS6detail17trampoline_kernelINS0_14default_configENS1_35radix_sort_onesweep_config_selectorIiNS0_10empty_typeEEEZZNS1_29radix_sort_onesweep_iterationIS3_Lb0EPKiPiPS5_SB_mNS0_19identity_decomposerENS1_16block_id_wrapperIjLb0EEEEE10hipError_tT1_PNSt15iterator_traitsISG_E10value_typeET2_T3_PNSH_ISM_E10value_typeET4_T5_PSR_SS_PNS1_23onesweep_lookback_stateEbbT6_jjT7_P12ihipStream_tbENKUlT_T0_SG_SL_E_clIS9_SA_SB_SB_EEDaSZ_S10_SG_SL_EUlSZ_E_NS1_11comp_targetILNS1_3genE10ELNS1_11target_archE1201ELNS1_3gpuE5ELNS1_3repE0EEENS1_47radix_sort_onesweep_sort_config_static_selectorELNS0_4arch9wavefront6targetE0EEEvSG_, .Lfunc_end984-_ZN7rocprim17ROCPRIM_400000_NS6detail17trampoline_kernelINS0_14default_configENS1_35radix_sort_onesweep_config_selectorIiNS0_10empty_typeEEEZZNS1_29radix_sort_onesweep_iterationIS3_Lb0EPKiPiPS5_SB_mNS0_19identity_decomposerENS1_16block_id_wrapperIjLb0EEEEE10hipError_tT1_PNSt15iterator_traitsISG_E10value_typeET2_T3_PNSH_ISM_E10value_typeET4_T5_PSR_SS_PNS1_23onesweep_lookback_stateEbbT6_jjT7_P12ihipStream_tbENKUlT_T0_SG_SL_E_clIS9_SA_SB_SB_EEDaSZ_S10_SG_SL_EUlSZ_E_NS1_11comp_targetILNS1_3genE10ELNS1_11target_archE1201ELNS1_3gpuE5ELNS1_3repE0EEENS1_47radix_sort_onesweep_sort_config_static_selectorELNS0_4arch9wavefront6targetE0EEEvSG_
                                        ; -- End function
	.set _ZN7rocprim17ROCPRIM_400000_NS6detail17trampoline_kernelINS0_14default_configENS1_35radix_sort_onesweep_config_selectorIiNS0_10empty_typeEEEZZNS1_29radix_sort_onesweep_iterationIS3_Lb0EPKiPiPS5_SB_mNS0_19identity_decomposerENS1_16block_id_wrapperIjLb0EEEEE10hipError_tT1_PNSt15iterator_traitsISG_E10value_typeET2_T3_PNSH_ISM_E10value_typeET4_T5_PSR_SS_PNS1_23onesweep_lookback_stateEbbT6_jjT7_P12ihipStream_tbENKUlT_T0_SG_SL_E_clIS9_SA_SB_SB_EEDaSZ_S10_SG_SL_EUlSZ_E_NS1_11comp_targetILNS1_3genE10ELNS1_11target_archE1201ELNS1_3gpuE5ELNS1_3repE0EEENS1_47radix_sort_onesweep_sort_config_static_selectorELNS0_4arch9wavefront6targetE0EEEvSG_.num_vgpr, 0
	.set _ZN7rocprim17ROCPRIM_400000_NS6detail17trampoline_kernelINS0_14default_configENS1_35radix_sort_onesweep_config_selectorIiNS0_10empty_typeEEEZZNS1_29radix_sort_onesweep_iterationIS3_Lb0EPKiPiPS5_SB_mNS0_19identity_decomposerENS1_16block_id_wrapperIjLb0EEEEE10hipError_tT1_PNSt15iterator_traitsISG_E10value_typeET2_T3_PNSH_ISM_E10value_typeET4_T5_PSR_SS_PNS1_23onesweep_lookback_stateEbbT6_jjT7_P12ihipStream_tbENKUlT_T0_SG_SL_E_clIS9_SA_SB_SB_EEDaSZ_S10_SG_SL_EUlSZ_E_NS1_11comp_targetILNS1_3genE10ELNS1_11target_archE1201ELNS1_3gpuE5ELNS1_3repE0EEENS1_47radix_sort_onesweep_sort_config_static_selectorELNS0_4arch9wavefront6targetE0EEEvSG_.num_agpr, 0
	.set _ZN7rocprim17ROCPRIM_400000_NS6detail17trampoline_kernelINS0_14default_configENS1_35radix_sort_onesweep_config_selectorIiNS0_10empty_typeEEEZZNS1_29radix_sort_onesweep_iterationIS3_Lb0EPKiPiPS5_SB_mNS0_19identity_decomposerENS1_16block_id_wrapperIjLb0EEEEE10hipError_tT1_PNSt15iterator_traitsISG_E10value_typeET2_T3_PNSH_ISM_E10value_typeET4_T5_PSR_SS_PNS1_23onesweep_lookback_stateEbbT6_jjT7_P12ihipStream_tbENKUlT_T0_SG_SL_E_clIS9_SA_SB_SB_EEDaSZ_S10_SG_SL_EUlSZ_E_NS1_11comp_targetILNS1_3genE10ELNS1_11target_archE1201ELNS1_3gpuE5ELNS1_3repE0EEENS1_47radix_sort_onesweep_sort_config_static_selectorELNS0_4arch9wavefront6targetE0EEEvSG_.numbered_sgpr, 0
	.set _ZN7rocprim17ROCPRIM_400000_NS6detail17trampoline_kernelINS0_14default_configENS1_35radix_sort_onesweep_config_selectorIiNS0_10empty_typeEEEZZNS1_29radix_sort_onesweep_iterationIS3_Lb0EPKiPiPS5_SB_mNS0_19identity_decomposerENS1_16block_id_wrapperIjLb0EEEEE10hipError_tT1_PNSt15iterator_traitsISG_E10value_typeET2_T3_PNSH_ISM_E10value_typeET4_T5_PSR_SS_PNS1_23onesweep_lookback_stateEbbT6_jjT7_P12ihipStream_tbENKUlT_T0_SG_SL_E_clIS9_SA_SB_SB_EEDaSZ_S10_SG_SL_EUlSZ_E_NS1_11comp_targetILNS1_3genE10ELNS1_11target_archE1201ELNS1_3gpuE5ELNS1_3repE0EEENS1_47radix_sort_onesweep_sort_config_static_selectorELNS0_4arch9wavefront6targetE0EEEvSG_.num_named_barrier, 0
	.set _ZN7rocprim17ROCPRIM_400000_NS6detail17trampoline_kernelINS0_14default_configENS1_35radix_sort_onesweep_config_selectorIiNS0_10empty_typeEEEZZNS1_29radix_sort_onesweep_iterationIS3_Lb0EPKiPiPS5_SB_mNS0_19identity_decomposerENS1_16block_id_wrapperIjLb0EEEEE10hipError_tT1_PNSt15iterator_traitsISG_E10value_typeET2_T3_PNSH_ISM_E10value_typeET4_T5_PSR_SS_PNS1_23onesweep_lookback_stateEbbT6_jjT7_P12ihipStream_tbENKUlT_T0_SG_SL_E_clIS9_SA_SB_SB_EEDaSZ_S10_SG_SL_EUlSZ_E_NS1_11comp_targetILNS1_3genE10ELNS1_11target_archE1201ELNS1_3gpuE5ELNS1_3repE0EEENS1_47radix_sort_onesweep_sort_config_static_selectorELNS0_4arch9wavefront6targetE0EEEvSG_.private_seg_size, 0
	.set _ZN7rocprim17ROCPRIM_400000_NS6detail17trampoline_kernelINS0_14default_configENS1_35radix_sort_onesweep_config_selectorIiNS0_10empty_typeEEEZZNS1_29radix_sort_onesweep_iterationIS3_Lb0EPKiPiPS5_SB_mNS0_19identity_decomposerENS1_16block_id_wrapperIjLb0EEEEE10hipError_tT1_PNSt15iterator_traitsISG_E10value_typeET2_T3_PNSH_ISM_E10value_typeET4_T5_PSR_SS_PNS1_23onesweep_lookback_stateEbbT6_jjT7_P12ihipStream_tbENKUlT_T0_SG_SL_E_clIS9_SA_SB_SB_EEDaSZ_S10_SG_SL_EUlSZ_E_NS1_11comp_targetILNS1_3genE10ELNS1_11target_archE1201ELNS1_3gpuE5ELNS1_3repE0EEENS1_47radix_sort_onesweep_sort_config_static_selectorELNS0_4arch9wavefront6targetE0EEEvSG_.uses_vcc, 0
	.set _ZN7rocprim17ROCPRIM_400000_NS6detail17trampoline_kernelINS0_14default_configENS1_35radix_sort_onesweep_config_selectorIiNS0_10empty_typeEEEZZNS1_29radix_sort_onesweep_iterationIS3_Lb0EPKiPiPS5_SB_mNS0_19identity_decomposerENS1_16block_id_wrapperIjLb0EEEEE10hipError_tT1_PNSt15iterator_traitsISG_E10value_typeET2_T3_PNSH_ISM_E10value_typeET4_T5_PSR_SS_PNS1_23onesweep_lookback_stateEbbT6_jjT7_P12ihipStream_tbENKUlT_T0_SG_SL_E_clIS9_SA_SB_SB_EEDaSZ_S10_SG_SL_EUlSZ_E_NS1_11comp_targetILNS1_3genE10ELNS1_11target_archE1201ELNS1_3gpuE5ELNS1_3repE0EEENS1_47radix_sort_onesweep_sort_config_static_selectorELNS0_4arch9wavefront6targetE0EEEvSG_.uses_flat_scratch, 0
	.set _ZN7rocprim17ROCPRIM_400000_NS6detail17trampoline_kernelINS0_14default_configENS1_35radix_sort_onesweep_config_selectorIiNS0_10empty_typeEEEZZNS1_29radix_sort_onesweep_iterationIS3_Lb0EPKiPiPS5_SB_mNS0_19identity_decomposerENS1_16block_id_wrapperIjLb0EEEEE10hipError_tT1_PNSt15iterator_traitsISG_E10value_typeET2_T3_PNSH_ISM_E10value_typeET4_T5_PSR_SS_PNS1_23onesweep_lookback_stateEbbT6_jjT7_P12ihipStream_tbENKUlT_T0_SG_SL_E_clIS9_SA_SB_SB_EEDaSZ_S10_SG_SL_EUlSZ_E_NS1_11comp_targetILNS1_3genE10ELNS1_11target_archE1201ELNS1_3gpuE5ELNS1_3repE0EEENS1_47radix_sort_onesweep_sort_config_static_selectorELNS0_4arch9wavefront6targetE0EEEvSG_.has_dyn_sized_stack, 0
	.set _ZN7rocprim17ROCPRIM_400000_NS6detail17trampoline_kernelINS0_14default_configENS1_35radix_sort_onesweep_config_selectorIiNS0_10empty_typeEEEZZNS1_29radix_sort_onesweep_iterationIS3_Lb0EPKiPiPS5_SB_mNS0_19identity_decomposerENS1_16block_id_wrapperIjLb0EEEEE10hipError_tT1_PNSt15iterator_traitsISG_E10value_typeET2_T3_PNSH_ISM_E10value_typeET4_T5_PSR_SS_PNS1_23onesweep_lookback_stateEbbT6_jjT7_P12ihipStream_tbENKUlT_T0_SG_SL_E_clIS9_SA_SB_SB_EEDaSZ_S10_SG_SL_EUlSZ_E_NS1_11comp_targetILNS1_3genE10ELNS1_11target_archE1201ELNS1_3gpuE5ELNS1_3repE0EEENS1_47radix_sort_onesweep_sort_config_static_selectorELNS0_4arch9wavefront6targetE0EEEvSG_.has_recursion, 0
	.set _ZN7rocprim17ROCPRIM_400000_NS6detail17trampoline_kernelINS0_14default_configENS1_35radix_sort_onesweep_config_selectorIiNS0_10empty_typeEEEZZNS1_29radix_sort_onesweep_iterationIS3_Lb0EPKiPiPS5_SB_mNS0_19identity_decomposerENS1_16block_id_wrapperIjLb0EEEEE10hipError_tT1_PNSt15iterator_traitsISG_E10value_typeET2_T3_PNSH_ISM_E10value_typeET4_T5_PSR_SS_PNS1_23onesweep_lookback_stateEbbT6_jjT7_P12ihipStream_tbENKUlT_T0_SG_SL_E_clIS9_SA_SB_SB_EEDaSZ_S10_SG_SL_EUlSZ_E_NS1_11comp_targetILNS1_3genE10ELNS1_11target_archE1201ELNS1_3gpuE5ELNS1_3repE0EEENS1_47radix_sort_onesweep_sort_config_static_selectorELNS0_4arch9wavefront6targetE0EEEvSG_.has_indirect_call, 0
	.section	.AMDGPU.csdata,"",@progbits
; Kernel info:
; codeLenInByte = 0
; TotalNumSgprs: 0
; NumVgprs: 0
; ScratchSize: 0
; MemoryBound: 0
; FloatMode: 240
; IeeeMode: 1
; LDSByteSize: 0 bytes/workgroup (compile time only)
; SGPRBlocks: 0
; VGPRBlocks: 0
; NumSGPRsForWavesPerEU: 1
; NumVGPRsForWavesPerEU: 1
; NamedBarCnt: 0
; Occupancy: 16
; WaveLimiterHint : 0
; COMPUTE_PGM_RSRC2:SCRATCH_EN: 0
; COMPUTE_PGM_RSRC2:USER_SGPR: 2
; COMPUTE_PGM_RSRC2:TRAP_HANDLER: 0
; COMPUTE_PGM_RSRC2:TGID_X_EN: 1
; COMPUTE_PGM_RSRC2:TGID_Y_EN: 0
; COMPUTE_PGM_RSRC2:TGID_Z_EN: 0
; COMPUTE_PGM_RSRC2:TIDIG_COMP_CNT: 0
	.section	.text._ZN7rocprim17ROCPRIM_400000_NS6detail17trampoline_kernelINS0_14default_configENS1_35radix_sort_onesweep_config_selectorIiNS0_10empty_typeEEEZZNS1_29radix_sort_onesweep_iterationIS3_Lb0EPKiPiPS5_SB_mNS0_19identity_decomposerENS1_16block_id_wrapperIjLb0EEEEE10hipError_tT1_PNSt15iterator_traitsISG_E10value_typeET2_T3_PNSH_ISM_E10value_typeET4_T5_PSR_SS_PNS1_23onesweep_lookback_stateEbbT6_jjT7_P12ihipStream_tbENKUlT_T0_SG_SL_E_clIS9_SA_SB_SB_EEDaSZ_S10_SG_SL_EUlSZ_E_NS1_11comp_targetILNS1_3genE9ELNS1_11target_archE1100ELNS1_3gpuE3ELNS1_3repE0EEENS1_47radix_sort_onesweep_sort_config_static_selectorELNS0_4arch9wavefront6targetE0EEEvSG_,"axG",@progbits,_ZN7rocprim17ROCPRIM_400000_NS6detail17trampoline_kernelINS0_14default_configENS1_35radix_sort_onesweep_config_selectorIiNS0_10empty_typeEEEZZNS1_29radix_sort_onesweep_iterationIS3_Lb0EPKiPiPS5_SB_mNS0_19identity_decomposerENS1_16block_id_wrapperIjLb0EEEEE10hipError_tT1_PNSt15iterator_traitsISG_E10value_typeET2_T3_PNSH_ISM_E10value_typeET4_T5_PSR_SS_PNS1_23onesweep_lookback_stateEbbT6_jjT7_P12ihipStream_tbENKUlT_T0_SG_SL_E_clIS9_SA_SB_SB_EEDaSZ_S10_SG_SL_EUlSZ_E_NS1_11comp_targetILNS1_3genE9ELNS1_11target_archE1100ELNS1_3gpuE3ELNS1_3repE0EEENS1_47radix_sort_onesweep_sort_config_static_selectorELNS0_4arch9wavefront6targetE0EEEvSG_,comdat
	.protected	_ZN7rocprim17ROCPRIM_400000_NS6detail17trampoline_kernelINS0_14default_configENS1_35radix_sort_onesweep_config_selectorIiNS0_10empty_typeEEEZZNS1_29radix_sort_onesweep_iterationIS3_Lb0EPKiPiPS5_SB_mNS0_19identity_decomposerENS1_16block_id_wrapperIjLb0EEEEE10hipError_tT1_PNSt15iterator_traitsISG_E10value_typeET2_T3_PNSH_ISM_E10value_typeET4_T5_PSR_SS_PNS1_23onesweep_lookback_stateEbbT6_jjT7_P12ihipStream_tbENKUlT_T0_SG_SL_E_clIS9_SA_SB_SB_EEDaSZ_S10_SG_SL_EUlSZ_E_NS1_11comp_targetILNS1_3genE9ELNS1_11target_archE1100ELNS1_3gpuE3ELNS1_3repE0EEENS1_47radix_sort_onesweep_sort_config_static_selectorELNS0_4arch9wavefront6targetE0EEEvSG_ ; -- Begin function _ZN7rocprim17ROCPRIM_400000_NS6detail17trampoline_kernelINS0_14default_configENS1_35radix_sort_onesweep_config_selectorIiNS0_10empty_typeEEEZZNS1_29radix_sort_onesweep_iterationIS3_Lb0EPKiPiPS5_SB_mNS0_19identity_decomposerENS1_16block_id_wrapperIjLb0EEEEE10hipError_tT1_PNSt15iterator_traitsISG_E10value_typeET2_T3_PNSH_ISM_E10value_typeET4_T5_PSR_SS_PNS1_23onesweep_lookback_stateEbbT6_jjT7_P12ihipStream_tbENKUlT_T0_SG_SL_E_clIS9_SA_SB_SB_EEDaSZ_S10_SG_SL_EUlSZ_E_NS1_11comp_targetILNS1_3genE9ELNS1_11target_archE1100ELNS1_3gpuE3ELNS1_3repE0EEENS1_47radix_sort_onesweep_sort_config_static_selectorELNS0_4arch9wavefront6targetE0EEEvSG_
	.globl	_ZN7rocprim17ROCPRIM_400000_NS6detail17trampoline_kernelINS0_14default_configENS1_35radix_sort_onesweep_config_selectorIiNS0_10empty_typeEEEZZNS1_29radix_sort_onesweep_iterationIS3_Lb0EPKiPiPS5_SB_mNS0_19identity_decomposerENS1_16block_id_wrapperIjLb0EEEEE10hipError_tT1_PNSt15iterator_traitsISG_E10value_typeET2_T3_PNSH_ISM_E10value_typeET4_T5_PSR_SS_PNS1_23onesweep_lookback_stateEbbT6_jjT7_P12ihipStream_tbENKUlT_T0_SG_SL_E_clIS9_SA_SB_SB_EEDaSZ_S10_SG_SL_EUlSZ_E_NS1_11comp_targetILNS1_3genE9ELNS1_11target_archE1100ELNS1_3gpuE3ELNS1_3repE0EEENS1_47radix_sort_onesweep_sort_config_static_selectorELNS0_4arch9wavefront6targetE0EEEvSG_
	.p2align	8
	.type	_ZN7rocprim17ROCPRIM_400000_NS6detail17trampoline_kernelINS0_14default_configENS1_35radix_sort_onesweep_config_selectorIiNS0_10empty_typeEEEZZNS1_29radix_sort_onesweep_iterationIS3_Lb0EPKiPiPS5_SB_mNS0_19identity_decomposerENS1_16block_id_wrapperIjLb0EEEEE10hipError_tT1_PNSt15iterator_traitsISG_E10value_typeET2_T3_PNSH_ISM_E10value_typeET4_T5_PSR_SS_PNS1_23onesweep_lookback_stateEbbT6_jjT7_P12ihipStream_tbENKUlT_T0_SG_SL_E_clIS9_SA_SB_SB_EEDaSZ_S10_SG_SL_EUlSZ_E_NS1_11comp_targetILNS1_3genE9ELNS1_11target_archE1100ELNS1_3gpuE3ELNS1_3repE0EEENS1_47radix_sort_onesweep_sort_config_static_selectorELNS0_4arch9wavefront6targetE0EEEvSG_,@function
_ZN7rocprim17ROCPRIM_400000_NS6detail17trampoline_kernelINS0_14default_configENS1_35radix_sort_onesweep_config_selectorIiNS0_10empty_typeEEEZZNS1_29radix_sort_onesweep_iterationIS3_Lb0EPKiPiPS5_SB_mNS0_19identity_decomposerENS1_16block_id_wrapperIjLb0EEEEE10hipError_tT1_PNSt15iterator_traitsISG_E10value_typeET2_T3_PNSH_ISM_E10value_typeET4_T5_PSR_SS_PNS1_23onesweep_lookback_stateEbbT6_jjT7_P12ihipStream_tbENKUlT_T0_SG_SL_E_clIS9_SA_SB_SB_EEDaSZ_S10_SG_SL_EUlSZ_E_NS1_11comp_targetILNS1_3genE9ELNS1_11target_archE1100ELNS1_3gpuE3ELNS1_3repE0EEENS1_47radix_sort_onesweep_sort_config_static_selectorELNS0_4arch9wavefront6targetE0EEEvSG_: ; @_ZN7rocprim17ROCPRIM_400000_NS6detail17trampoline_kernelINS0_14default_configENS1_35radix_sort_onesweep_config_selectorIiNS0_10empty_typeEEEZZNS1_29radix_sort_onesweep_iterationIS3_Lb0EPKiPiPS5_SB_mNS0_19identity_decomposerENS1_16block_id_wrapperIjLb0EEEEE10hipError_tT1_PNSt15iterator_traitsISG_E10value_typeET2_T3_PNSH_ISM_E10value_typeET4_T5_PSR_SS_PNS1_23onesweep_lookback_stateEbbT6_jjT7_P12ihipStream_tbENKUlT_T0_SG_SL_E_clIS9_SA_SB_SB_EEDaSZ_S10_SG_SL_EUlSZ_E_NS1_11comp_targetILNS1_3genE9ELNS1_11target_archE1100ELNS1_3gpuE3ELNS1_3repE0EEENS1_47radix_sort_onesweep_sort_config_static_selectorELNS0_4arch9wavefront6targetE0EEEvSG_
; %bb.0:
	.section	.rodata,"a",@progbits
	.p2align	6, 0x0
	.amdhsa_kernel _ZN7rocprim17ROCPRIM_400000_NS6detail17trampoline_kernelINS0_14default_configENS1_35radix_sort_onesweep_config_selectorIiNS0_10empty_typeEEEZZNS1_29radix_sort_onesweep_iterationIS3_Lb0EPKiPiPS5_SB_mNS0_19identity_decomposerENS1_16block_id_wrapperIjLb0EEEEE10hipError_tT1_PNSt15iterator_traitsISG_E10value_typeET2_T3_PNSH_ISM_E10value_typeET4_T5_PSR_SS_PNS1_23onesweep_lookback_stateEbbT6_jjT7_P12ihipStream_tbENKUlT_T0_SG_SL_E_clIS9_SA_SB_SB_EEDaSZ_S10_SG_SL_EUlSZ_E_NS1_11comp_targetILNS1_3genE9ELNS1_11target_archE1100ELNS1_3gpuE3ELNS1_3repE0EEENS1_47radix_sort_onesweep_sort_config_static_selectorELNS0_4arch9wavefront6targetE0EEEvSG_
		.amdhsa_group_segment_fixed_size 0
		.amdhsa_private_segment_fixed_size 0
		.amdhsa_kernarg_size 88
		.amdhsa_user_sgpr_count 2
		.amdhsa_user_sgpr_dispatch_ptr 0
		.amdhsa_user_sgpr_queue_ptr 0
		.amdhsa_user_sgpr_kernarg_segment_ptr 1
		.amdhsa_user_sgpr_dispatch_id 0
		.amdhsa_user_sgpr_kernarg_preload_length 0
		.amdhsa_user_sgpr_kernarg_preload_offset 0
		.amdhsa_user_sgpr_private_segment_size 0
		.amdhsa_wavefront_size32 1
		.amdhsa_uses_dynamic_stack 0
		.amdhsa_enable_private_segment 0
		.amdhsa_system_sgpr_workgroup_id_x 1
		.amdhsa_system_sgpr_workgroup_id_y 0
		.amdhsa_system_sgpr_workgroup_id_z 0
		.amdhsa_system_sgpr_workgroup_info 0
		.amdhsa_system_vgpr_workitem_id 0
		.amdhsa_next_free_vgpr 1
		.amdhsa_next_free_sgpr 1
		.amdhsa_named_barrier_count 0
		.amdhsa_reserve_vcc 0
		.amdhsa_float_round_mode_32 0
		.amdhsa_float_round_mode_16_64 0
		.amdhsa_float_denorm_mode_32 3
		.amdhsa_float_denorm_mode_16_64 3
		.amdhsa_fp16_overflow 0
		.amdhsa_memory_ordered 1
		.amdhsa_forward_progress 1
		.amdhsa_inst_pref_size 0
		.amdhsa_round_robin_scheduling 0
		.amdhsa_exception_fp_ieee_invalid_op 0
		.amdhsa_exception_fp_denorm_src 0
		.amdhsa_exception_fp_ieee_div_zero 0
		.amdhsa_exception_fp_ieee_overflow 0
		.amdhsa_exception_fp_ieee_underflow 0
		.amdhsa_exception_fp_ieee_inexact 0
		.amdhsa_exception_int_div_zero 0
	.end_amdhsa_kernel
	.section	.text._ZN7rocprim17ROCPRIM_400000_NS6detail17trampoline_kernelINS0_14default_configENS1_35radix_sort_onesweep_config_selectorIiNS0_10empty_typeEEEZZNS1_29radix_sort_onesweep_iterationIS3_Lb0EPKiPiPS5_SB_mNS0_19identity_decomposerENS1_16block_id_wrapperIjLb0EEEEE10hipError_tT1_PNSt15iterator_traitsISG_E10value_typeET2_T3_PNSH_ISM_E10value_typeET4_T5_PSR_SS_PNS1_23onesweep_lookback_stateEbbT6_jjT7_P12ihipStream_tbENKUlT_T0_SG_SL_E_clIS9_SA_SB_SB_EEDaSZ_S10_SG_SL_EUlSZ_E_NS1_11comp_targetILNS1_3genE9ELNS1_11target_archE1100ELNS1_3gpuE3ELNS1_3repE0EEENS1_47radix_sort_onesweep_sort_config_static_selectorELNS0_4arch9wavefront6targetE0EEEvSG_,"axG",@progbits,_ZN7rocprim17ROCPRIM_400000_NS6detail17trampoline_kernelINS0_14default_configENS1_35radix_sort_onesweep_config_selectorIiNS0_10empty_typeEEEZZNS1_29radix_sort_onesweep_iterationIS3_Lb0EPKiPiPS5_SB_mNS0_19identity_decomposerENS1_16block_id_wrapperIjLb0EEEEE10hipError_tT1_PNSt15iterator_traitsISG_E10value_typeET2_T3_PNSH_ISM_E10value_typeET4_T5_PSR_SS_PNS1_23onesweep_lookback_stateEbbT6_jjT7_P12ihipStream_tbENKUlT_T0_SG_SL_E_clIS9_SA_SB_SB_EEDaSZ_S10_SG_SL_EUlSZ_E_NS1_11comp_targetILNS1_3genE9ELNS1_11target_archE1100ELNS1_3gpuE3ELNS1_3repE0EEENS1_47radix_sort_onesweep_sort_config_static_selectorELNS0_4arch9wavefront6targetE0EEEvSG_,comdat
.Lfunc_end985:
	.size	_ZN7rocprim17ROCPRIM_400000_NS6detail17trampoline_kernelINS0_14default_configENS1_35radix_sort_onesweep_config_selectorIiNS0_10empty_typeEEEZZNS1_29radix_sort_onesweep_iterationIS3_Lb0EPKiPiPS5_SB_mNS0_19identity_decomposerENS1_16block_id_wrapperIjLb0EEEEE10hipError_tT1_PNSt15iterator_traitsISG_E10value_typeET2_T3_PNSH_ISM_E10value_typeET4_T5_PSR_SS_PNS1_23onesweep_lookback_stateEbbT6_jjT7_P12ihipStream_tbENKUlT_T0_SG_SL_E_clIS9_SA_SB_SB_EEDaSZ_S10_SG_SL_EUlSZ_E_NS1_11comp_targetILNS1_3genE9ELNS1_11target_archE1100ELNS1_3gpuE3ELNS1_3repE0EEENS1_47radix_sort_onesweep_sort_config_static_selectorELNS0_4arch9wavefront6targetE0EEEvSG_, .Lfunc_end985-_ZN7rocprim17ROCPRIM_400000_NS6detail17trampoline_kernelINS0_14default_configENS1_35radix_sort_onesweep_config_selectorIiNS0_10empty_typeEEEZZNS1_29radix_sort_onesweep_iterationIS3_Lb0EPKiPiPS5_SB_mNS0_19identity_decomposerENS1_16block_id_wrapperIjLb0EEEEE10hipError_tT1_PNSt15iterator_traitsISG_E10value_typeET2_T3_PNSH_ISM_E10value_typeET4_T5_PSR_SS_PNS1_23onesweep_lookback_stateEbbT6_jjT7_P12ihipStream_tbENKUlT_T0_SG_SL_E_clIS9_SA_SB_SB_EEDaSZ_S10_SG_SL_EUlSZ_E_NS1_11comp_targetILNS1_3genE9ELNS1_11target_archE1100ELNS1_3gpuE3ELNS1_3repE0EEENS1_47radix_sort_onesweep_sort_config_static_selectorELNS0_4arch9wavefront6targetE0EEEvSG_
                                        ; -- End function
	.set _ZN7rocprim17ROCPRIM_400000_NS6detail17trampoline_kernelINS0_14default_configENS1_35radix_sort_onesweep_config_selectorIiNS0_10empty_typeEEEZZNS1_29radix_sort_onesweep_iterationIS3_Lb0EPKiPiPS5_SB_mNS0_19identity_decomposerENS1_16block_id_wrapperIjLb0EEEEE10hipError_tT1_PNSt15iterator_traitsISG_E10value_typeET2_T3_PNSH_ISM_E10value_typeET4_T5_PSR_SS_PNS1_23onesweep_lookback_stateEbbT6_jjT7_P12ihipStream_tbENKUlT_T0_SG_SL_E_clIS9_SA_SB_SB_EEDaSZ_S10_SG_SL_EUlSZ_E_NS1_11comp_targetILNS1_3genE9ELNS1_11target_archE1100ELNS1_3gpuE3ELNS1_3repE0EEENS1_47radix_sort_onesweep_sort_config_static_selectorELNS0_4arch9wavefront6targetE0EEEvSG_.num_vgpr, 0
	.set _ZN7rocprim17ROCPRIM_400000_NS6detail17trampoline_kernelINS0_14default_configENS1_35radix_sort_onesweep_config_selectorIiNS0_10empty_typeEEEZZNS1_29radix_sort_onesweep_iterationIS3_Lb0EPKiPiPS5_SB_mNS0_19identity_decomposerENS1_16block_id_wrapperIjLb0EEEEE10hipError_tT1_PNSt15iterator_traitsISG_E10value_typeET2_T3_PNSH_ISM_E10value_typeET4_T5_PSR_SS_PNS1_23onesweep_lookback_stateEbbT6_jjT7_P12ihipStream_tbENKUlT_T0_SG_SL_E_clIS9_SA_SB_SB_EEDaSZ_S10_SG_SL_EUlSZ_E_NS1_11comp_targetILNS1_3genE9ELNS1_11target_archE1100ELNS1_3gpuE3ELNS1_3repE0EEENS1_47radix_sort_onesweep_sort_config_static_selectorELNS0_4arch9wavefront6targetE0EEEvSG_.num_agpr, 0
	.set _ZN7rocprim17ROCPRIM_400000_NS6detail17trampoline_kernelINS0_14default_configENS1_35radix_sort_onesweep_config_selectorIiNS0_10empty_typeEEEZZNS1_29radix_sort_onesweep_iterationIS3_Lb0EPKiPiPS5_SB_mNS0_19identity_decomposerENS1_16block_id_wrapperIjLb0EEEEE10hipError_tT1_PNSt15iterator_traitsISG_E10value_typeET2_T3_PNSH_ISM_E10value_typeET4_T5_PSR_SS_PNS1_23onesweep_lookback_stateEbbT6_jjT7_P12ihipStream_tbENKUlT_T0_SG_SL_E_clIS9_SA_SB_SB_EEDaSZ_S10_SG_SL_EUlSZ_E_NS1_11comp_targetILNS1_3genE9ELNS1_11target_archE1100ELNS1_3gpuE3ELNS1_3repE0EEENS1_47radix_sort_onesweep_sort_config_static_selectorELNS0_4arch9wavefront6targetE0EEEvSG_.numbered_sgpr, 0
	.set _ZN7rocprim17ROCPRIM_400000_NS6detail17trampoline_kernelINS0_14default_configENS1_35radix_sort_onesweep_config_selectorIiNS0_10empty_typeEEEZZNS1_29radix_sort_onesweep_iterationIS3_Lb0EPKiPiPS5_SB_mNS0_19identity_decomposerENS1_16block_id_wrapperIjLb0EEEEE10hipError_tT1_PNSt15iterator_traitsISG_E10value_typeET2_T3_PNSH_ISM_E10value_typeET4_T5_PSR_SS_PNS1_23onesweep_lookback_stateEbbT6_jjT7_P12ihipStream_tbENKUlT_T0_SG_SL_E_clIS9_SA_SB_SB_EEDaSZ_S10_SG_SL_EUlSZ_E_NS1_11comp_targetILNS1_3genE9ELNS1_11target_archE1100ELNS1_3gpuE3ELNS1_3repE0EEENS1_47radix_sort_onesweep_sort_config_static_selectorELNS0_4arch9wavefront6targetE0EEEvSG_.num_named_barrier, 0
	.set _ZN7rocprim17ROCPRIM_400000_NS6detail17trampoline_kernelINS0_14default_configENS1_35radix_sort_onesweep_config_selectorIiNS0_10empty_typeEEEZZNS1_29radix_sort_onesweep_iterationIS3_Lb0EPKiPiPS5_SB_mNS0_19identity_decomposerENS1_16block_id_wrapperIjLb0EEEEE10hipError_tT1_PNSt15iterator_traitsISG_E10value_typeET2_T3_PNSH_ISM_E10value_typeET4_T5_PSR_SS_PNS1_23onesweep_lookback_stateEbbT6_jjT7_P12ihipStream_tbENKUlT_T0_SG_SL_E_clIS9_SA_SB_SB_EEDaSZ_S10_SG_SL_EUlSZ_E_NS1_11comp_targetILNS1_3genE9ELNS1_11target_archE1100ELNS1_3gpuE3ELNS1_3repE0EEENS1_47radix_sort_onesweep_sort_config_static_selectorELNS0_4arch9wavefront6targetE0EEEvSG_.private_seg_size, 0
	.set _ZN7rocprim17ROCPRIM_400000_NS6detail17trampoline_kernelINS0_14default_configENS1_35radix_sort_onesweep_config_selectorIiNS0_10empty_typeEEEZZNS1_29radix_sort_onesweep_iterationIS3_Lb0EPKiPiPS5_SB_mNS0_19identity_decomposerENS1_16block_id_wrapperIjLb0EEEEE10hipError_tT1_PNSt15iterator_traitsISG_E10value_typeET2_T3_PNSH_ISM_E10value_typeET4_T5_PSR_SS_PNS1_23onesweep_lookback_stateEbbT6_jjT7_P12ihipStream_tbENKUlT_T0_SG_SL_E_clIS9_SA_SB_SB_EEDaSZ_S10_SG_SL_EUlSZ_E_NS1_11comp_targetILNS1_3genE9ELNS1_11target_archE1100ELNS1_3gpuE3ELNS1_3repE0EEENS1_47radix_sort_onesweep_sort_config_static_selectorELNS0_4arch9wavefront6targetE0EEEvSG_.uses_vcc, 0
	.set _ZN7rocprim17ROCPRIM_400000_NS6detail17trampoline_kernelINS0_14default_configENS1_35radix_sort_onesweep_config_selectorIiNS0_10empty_typeEEEZZNS1_29radix_sort_onesweep_iterationIS3_Lb0EPKiPiPS5_SB_mNS0_19identity_decomposerENS1_16block_id_wrapperIjLb0EEEEE10hipError_tT1_PNSt15iterator_traitsISG_E10value_typeET2_T3_PNSH_ISM_E10value_typeET4_T5_PSR_SS_PNS1_23onesweep_lookback_stateEbbT6_jjT7_P12ihipStream_tbENKUlT_T0_SG_SL_E_clIS9_SA_SB_SB_EEDaSZ_S10_SG_SL_EUlSZ_E_NS1_11comp_targetILNS1_3genE9ELNS1_11target_archE1100ELNS1_3gpuE3ELNS1_3repE0EEENS1_47radix_sort_onesweep_sort_config_static_selectorELNS0_4arch9wavefront6targetE0EEEvSG_.uses_flat_scratch, 0
	.set _ZN7rocprim17ROCPRIM_400000_NS6detail17trampoline_kernelINS0_14default_configENS1_35radix_sort_onesweep_config_selectorIiNS0_10empty_typeEEEZZNS1_29radix_sort_onesweep_iterationIS3_Lb0EPKiPiPS5_SB_mNS0_19identity_decomposerENS1_16block_id_wrapperIjLb0EEEEE10hipError_tT1_PNSt15iterator_traitsISG_E10value_typeET2_T3_PNSH_ISM_E10value_typeET4_T5_PSR_SS_PNS1_23onesweep_lookback_stateEbbT6_jjT7_P12ihipStream_tbENKUlT_T0_SG_SL_E_clIS9_SA_SB_SB_EEDaSZ_S10_SG_SL_EUlSZ_E_NS1_11comp_targetILNS1_3genE9ELNS1_11target_archE1100ELNS1_3gpuE3ELNS1_3repE0EEENS1_47radix_sort_onesweep_sort_config_static_selectorELNS0_4arch9wavefront6targetE0EEEvSG_.has_dyn_sized_stack, 0
	.set _ZN7rocprim17ROCPRIM_400000_NS6detail17trampoline_kernelINS0_14default_configENS1_35radix_sort_onesweep_config_selectorIiNS0_10empty_typeEEEZZNS1_29radix_sort_onesweep_iterationIS3_Lb0EPKiPiPS5_SB_mNS0_19identity_decomposerENS1_16block_id_wrapperIjLb0EEEEE10hipError_tT1_PNSt15iterator_traitsISG_E10value_typeET2_T3_PNSH_ISM_E10value_typeET4_T5_PSR_SS_PNS1_23onesweep_lookback_stateEbbT6_jjT7_P12ihipStream_tbENKUlT_T0_SG_SL_E_clIS9_SA_SB_SB_EEDaSZ_S10_SG_SL_EUlSZ_E_NS1_11comp_targetILNS1_3genE9ELNS1_11target_archE1100ELNS1_3gpuE3ELNS1_3repE0EEENS1_47radix_sort_onesweep_sort_config_static_selectorELNS0_4arch9wavefront6targetE0EEEvSG_.has_recursion, 0
	.set _ZN7rocprim17ROCPRIM_400000_NS6detail17trampoline_kernelINS0_14default_configENS1_35radix_sort_onesweep_config_selectorIiNS0_10empty_typeEEEZZNS1_29radix_sort_onesweep_iterationIS3_Lb0EPKiPiPS5_SB_mNS0_19identity_decomposerENS1_16block_id_wrapperIjLb0EEEEE10hipError_tT1_PNSt15iterator_traitsISG_E10value_typeET2_T3_PNSH_ISM_E10value_typeET4_T5_PSR_SS_PNS1_23onesweep_lookback_stateEbbT6_jjT7_P12ihipStream_tbENKUlT_T0_SG_SL_E_clIS9_SA_SB_SB_EEDaSZ_S10_SG_SL_EUlSZ_E_NS1_11comp_targetILNS1_3genE9ELNS1_11target_archE1100ELNS1_3gpuE3ELNS1_3repE0EEENS1_47radix_sort_onesweep_sort_config_static_selectorELNS0_4arch9wavefront6targetE0EEEvSG_.has_indirect_call, 0
	.section	.AMDGPU.csdata,"",@progbits
; Kernel info:
; codeLenInByte = 0
; TotalNumSgprs: 0
; NumVgprs: 0
; ScratchSize: 0
; MemoryBound: 0
; FloatMode: 240
; IeeeMode: 1
; LDSByteSize: 0 bytes/workgroup (compile time only)
; SGPRBlocks: 0
; VGPRBlocks: 0
; NumSGPRsForWavesPerEU: 1
; NumVGPRsForWavesPerEU: 1
; NamedBarCnt: 0
; Occupancy: 16
; WaveLimiterHint : 0
; COMPUTE_PGM_RSRC2:SCRATCH_EN: 0
; COMPUTE_PGM_RSRC2:USER_SGPR: 2
; COMPUTE_PGM_RSRC2:TRAP_HANDLER: 0
; COMPUTE_PGM_RSRC2:TGID_X_EN: 1
; COMPUTE_PGM_RSRC2:TGID_Y_EN: 0
; COMPUTE_PGM_RSRC2:TGID_Z_EN: 0
; COMPUTE_PGM_RSRC2:TIDIG_COMP_CNT: 0
	.section	.text._ZN7rocprim17ROCPRIM_400000_NS6detail17trampoline_kernelINS0_14default_configENS1_35radix_sort_onesweep_config_selectorIiNS0_10empty_typeEEEZZNS1_29radix_sort_onesweep_iterationIS3_Lb0EPKiPiPS5_SB_mNS0_19identity_decomposerENS1_16block_id_wrapperIjLb0EEEEE10hipError_tT1_PNSt15iterator_traitsISG_E10value_typeET2_T3_PNSH_ISM_E10value_typeET4_T5_PSR_SS_PNS1_23onesweep_lookback_stateEbbT6_jjT7_P12ihipStream_tbENKUlT_T0_SG_SL_E_clIS9_SA_SB_SB_EEDaSZ_S10_SG_SL_EUlSZ_E_NS1_11comp_targetILNS1_3genE8ELNS1_11target_archE1030ELNS1_3gpuE2ELNS1_3repE0EEENS1_47radix_sort_onesweep_sort_config_static_selectorELNS0_4arch9wavefront6targetE0EEEvSG_,"axG",@progbits,_ZN7rocprim17ROCPRIM_400000_NS6detail17trampoline_kernelINS0_14default_configENS1_35radix_sort_onesweep_config_selectorIiNS0_10empty_typeEEEZZNS1_29radix_sort_onesweep_iterationIS3_Lb0EPKiPiPS5_SB_mNS0_19identity_decomposerENS1_16block_id_wrapperIjLb0EEEEE10hipError_tT1_PNSt15iterator_traitsISG_E10value_typeET2_T3_PNSH_ISM_E10value_typeET4_T5_PSR_SS_PNS1_23onesweep_lookback_stateEbbT6_jjT7_P12ihipStream_tbENKUlT_T0_SG_SL_E_clIS9_SA_SB_SB_EEDaSZ_S10_SG_SL_EUlSZ_E_NS1_11comp_targetILNS1_3genE8ELNS1_11target_archE1030ELNS1_3gpuE2ELNS1_3repE0EEENS1_47radix_sort_onesweep_sort_config_static_selectorELNS0_4arch9wavefront6targetE0EEEvSG_,comdat
	.protected	_ZN7rocprim17ROCPRIM_400000_NS6detail17trampoline_kernelINS0_14default_configENS1_35radix_sort_onesweep_config_selectorIiNS0_10empty_typeEEEZZNS1_29radix_sort_onesweep_iterationIS3_Lb0EPKiPiPS5_SB_mNS0_19identity_decomposerENS1_16block_id_wrapperIjLb0EEEEE10hipError_tT1_PNSt15iterator_traitsISG_E10value_typeET2_T3_PNSH_ISM_E10value_typeET4_T5_PSR_SS_PNS1_23onesweep_lookback_stateEbbT6_jjT7_P12ihipStream_tbENKUlT_T0_SG_SL_E_clIS9_SA_SB_SB_EEDaSZ_S10_SG_SL_EUlSZ_E_NS1_11comp_targetILNS1_3genE8ELNS1_11target_archE1030ELNS1_3gpuE2ELNS1_3repE0EEENS1_47radix_sort_onesweep_sort_config_static_selectorELNS0_4arch9wavefront6targetE0EEEvSG_ ; -- Begin function _ZN7rocprim17ROCPRIM_400000_NS6detail17trampoline_kernelINS0_14default_configENS1_35radix_sort_onesweep_config_selectorIiNS0_10empty_typeEEEZZNS1_29radix_sort_onesweep_iterationIS3_Lb0EPKiPiPS5_SB_mNS0_19identity_decomposerENS1_16block_id_wrapperIjLb0EEEEE10hipError_tT1_PNSt15iterator_traitsISG_E10value_typeET2_T3_PNSH_ISM_E10value_typeET4_T5_PSR_SS_PNS1_23onesweep_lookback_stateEbbT6_jjT7_P12ihipStream_tbENKUlT_T0_SG_SL_E_clIS9_SA_SB_SB_EEDaSZ_S10_SG_SL_EUlSZ_E_NS1_11comp_targetILNS1_3genE8ELNS1_11target_archE1030ELNS1_3gpuE2ELNS1_3repE0EEENS1_47radix_sort_onesweep_sort_config_static_selectorELNS0_4arch9wavefront6targetE0EEEvSG_
	.globl	_ZN7rocprim17ROCPRIM_400000_NS6detail17trampoline_kernelINS0_14default_configENS1_35radix_sort_onesweep_config_selectorIiNS0_10empty_typeEEEZZNS1_29radix_sort_onesweep_iterationIS3_Lb0EPKiPiPS5_SB_mNS0_19identity_decomposerENS1_16block_id_wrapperIjLb0EEEEE10hipError_tT1_PNSt15iterator_traitsISG_E10value_typeET2_T3_PNSH_ISM_E10value_typeET4_T5_PSR_SS_PNS1_23onesweep_lookback_stateEbbT6_jjT7_P12ihipStream_tbENKUlT_T0_SG_SL_E_clIS9_SA_SB_SB_EEDaSZ_S10_SG_SL_EUlSZ_E_NS1_11comp_targetILNS1_3genE8ELNS1_11target_archE1030ELNS1_3gpuE2ELNS1_3repE0EEENS1_47radix_sort_onesweep_sort_config_static_selectorELNS0_4arch9wavefront6targetE0EEEvSG_
	.p2align	8
	.type	_ZN7rocprim17ROCPRIM_400000_NS6detail17trampoline_kernelINS0_14default_configENS1_35radix_sort_onesweep_config_selectorIiNS0_10empty_typeEEEZZNS1_29radix_sort_onesweep_iterationIS3_Lb0EPKiPiPS5_SB_mNS0_19identity_decomposerENS1_16block_id_wrapperIjLb0EEEEE10hipError_tT1_PNSt15iterator_traitsISG_E10value_typeET2_T3_PNSH_ISM_E10value_typeET4_T5_PSR_SS_PNS1_23onesweep_lookback_stateEbbT6_jjT7_P12ihipStream_tbENKUlT_T0_SG_SL_E_clIS9_SA_SB_SB_EEDaSZ_S10_SG_SL_EUlSZ_E_NS1_11comp_targetILNS1_3genE8ELNS1_11target_archE1030ELNS1_3gpuE2ELNS1_3repE0EEENS1_47radix_sort_onesweep_sort_config_static_selectorELNS0_4arch9wavefront6targetE0EEEvSG_,@function
_ZN7rocprim17ROCPRIM_400000_NS6detail17trampoline_kernelINS0_14default_configENS1_35radix_sort_onesweep_config_selectorIiNS0_10empty_typeEEEZZNS1_29radix_sort_onesweep_iterationIS3_Lb0EPKiPiPS5_SB_mNS0_19identity_decomposerENS1_16block_id_wrapperIjLb0EEEEE10hipError_tT1_PNSt15iterator_traitsISG_E10value_typeET2_T3_PNSH_ISM_E10value_typeET4_T5_PSR_SS_PNS1_23onesweep_lookback_stateEbbT6_jjT7_P12ihipStream_tbENKUlT_T0_SG_SL_E_clIS9_SA_SB_SB_EEDaSZ_S10_SG_SL_EUlSZ_E_NS1_11comp_targetILNS1_3genE8ELNS1_11target_archE1030ELNS1_3gpuE2ELNS1_3repE0EEENS1_47radix_sort_onesweep_sort_config_static_selectorELNS0_4arch9wavefront6targetE0EEEvSG_: ; @_ZN7rocprim17ROCPRIM_400000_NS6detail17trampoline_kernelINS0_14default_configENS1_35radix_sort_onesweep_config_selectorIiNS0_10empty_typeEEEZZNS1_29radix_sort_onesweep_iterationIS3_Lb0EPKiPiPS5_SB_mNS0_19identity_decomposerENS1_16block_id_wrapperIjLb0EEEEE10hipError_tT1_PNSt15iterator_traitsISG_E10value_typeET2_T3_PNSH_ISM_E10value_typeET4_T5_PSR_SS_PNS1_23onesweep_lookback_stateEbbT6_jjT7_P12ihipStream_tbENKUlT_T0_SG_SL_E_clIS9_SA_SB_SB_EEDaSZ_S10_SG_SL_EUlSZ_E_NS1_11comp_targetILNS1_3genE8ELNS1_11target_archE1030ELNS1_3gpuE2ELNS1_3repE0EEENS1_47radix_sort_onesweep_sort_config_static_selectorELNS0_4arch9wavefront6targetE0EEEvSG_
; %bb.0:
	.section	.rodata,"a",@progbits
	.p2align	6, 0x0
	.amdhsa_kernel _ZN7rocprim17ROCPRIM_400000_NS6detail17trampoline_kernelINS0_14default_configENS1_35radix_sort_onesweep_config_selectorIiNS0_10empty_typeEEEZZNS1_29radix_sort_onesweep_iterationIS3_Lb0EPKiPiPS5_SB_mNS0_19identity_decomposerENS1_16block_id_wrapperIjLb0EEEEE10hipError_tT1_PNSt15iterator_traitsISG_E10value_typeET2_T3_PNSH_ISM_E10value_typeET4_T5_PSR_SS_PNS1_23onesweep_lookback_stateEbbT6_jjT7_P12ihipStream_tbENKUlT_T0_SG_SL_E_clIS9_SA_SB_SB_EEDaSZ_S10_SG_SL_EUlSZ_E_NS1_11comp_targetILNS1_3genE8ELNS1_11target_archE1030ELNS1_3gpuE2ELNS1_3repE0EEENS1_47radix_sort_onesweep_sort_config_static_selectorELNS0_4arch9wavefront6targetE0EEEvSG_
		.amdhsa_group_segment_fixed_size 0
		.amdhsa_private_segment_fixed_size 0
		.amdhsa_kernarg_size 88
		.amdhsa_user_sgpr_count 2
		.amdhsa_user_sgpr_dispatch_ptr 0
		.amdhsa_user_sgpr_queue_ptr 0
		.amdhsa_user_sgpr_kernarg_segment_ptr 1
		.amdhsa_user_sgpr_dispatch_id 0
		.amdhsa_user_sgpr_kernarg_preload_length 0
		.amdhsa_user_sgpr_kernarg_preload_offset 0
		.amdhsa_user_sgpr_private_segment_size 0
		.amdhsa_wavefront_size32 1
		.amdhsa_uses_dynamic_stack 0
		.amdhsa_enable_private_segment 0
		.amdhsa_system_sgpr_workgroup_id_x 1
		.amdhsa_system_sgpr_workgroup_id_y 0
		.amdhsa_system_sgpr_workgroup_id_z 0
		.amdhsa_system_sgpr_workgroup_info 0
		.amdhsa_system_vgpr_workitem_id 0
		.amdhsa_next_free_vgpr 1
		.amdhsa_next_free_sgpr 1
		.amdhsa_named_barrier_count 0
		.amdhsa_reserve_vcc 0
		.amdhsa_float_round_mode_32 0
		.amdhsa_float_round_mode_16_64 0
		.amdhsa_float_denorm_mode_32 3
		.amdhsa_float_denorm_mode_16_64 3
		.amdhsa_fp16_overflow 0
		.amdhsa_memory_ordered 1
		.amdhsa_forward_progress 1
		.amdhsa_inst_pref_size 0
		.amdhsa_round_robin_scheduling 0
		.amdhsa_exception_fp_ieee_invalid_op 0
		.amdhsa_exception_fp_denorm_src 0
		.amdhsa_exception_fp_ieee_div_zero 0
		.amdhsa_exception_fp_ieee_overflow 0
		.amdhsa_exception_fp_ieee_underflow 0
		.amdhsa_exception_fp_ieee_inexact 0
		.amdhsa_exception_int_div_zero 0
	.end_amdhsa_kernel
	.section	.text._ZN7rocprim17ROCPRIM_400000_NS6detail17trampoline_kernelINS0_14default_configENS1_35radix_sort_onesweep_config_selectorIiNS0_10empty_typeEEEZZNS1_29radix_sort_onesweep_iterationIS3_Lb0EPKiPiPS5_SB_mNS0_19identity_decomposerENS1_16block_id_wrapperIjLb0EEEEE10hipError_tT1_PNSt15iterator_traitsISG_E10value_typeET2_T3_PNSH_ISM_E10value_typeET4_T5_PSR_SS_PNS1_23onesweep_lookback_stateEbbT6_jjT7_P12ihipStream_tbENKUlT_T0_SG_SL_E_clIS9_SA_SB_SB_EEDaSZ_S10_SG_SL_EUlSZ_E_NS1_11comp_targetILNS1_3genE8ELNS1_11target_archE1030ELNS1_3gpuE2ELNS1_3repE0EEENS1_47radix_sort_onesweep_sort_config_static_selectorELNS0_4arch9wavefront6targetE0EEEvSG_,"axG",@progbits,_ZN7rocprim17ROCPRIM_400000_NS6detail17trampoline_kernelINS0_14default_configENS1_35radix_sort_onesweep_config_selectorIiNS0_10empty_typeEEEZZNS1_29radix_sort_onesweep_iterationIS3_Lb0EPKiPiPS5_SB_mNS0_19identity_decomposerENS1_16block_id_wrapperIjLb0EEEEE10hipError_tT1_PNSt15iterator_traitsISG_E10value_typeET2_T3_PNSH_ISM_E10value_typeET4_T5_PSR_SS_PNS1_23onesweep_lookback_stateEbbT6_jjT7_P12ihipStream_tbENKUlT_T0_SG_SL_E_clIS9_SA_SB_SB_EEDaSZ_S10_SG_SL_EUlSZ_E_NS1_11comp_targetILNS1_3genE8ELNS1_11target_archE1030ELNS1_3gpuE2ELNS1_3repE0EEENS1_47radix_sort_onesweep_sort_config_static_selectorELNS0_4arch9wavefront6targetE0EEEvSG_,comdat
.Lfunc_end986:
	.size	_ZN7rocprim17ROCPRIM_400000_NS6detail17trampoline_kernelINS0_14default_configENS1_35radix_sort_onesweep_config_selectorIiNS0_10empty_typeEEEZZNS1_29radix_sort_onesweep_iterationIS3_Lb0EPKiPiPS5_SB_mNS0_19identity_decomposerENS1_16block_id_wrapperIjLb0EEEEE10hipError_tT1_PNSt15iterator_traitsISG_E10value_typeET2_T3_PNSH_ISM_E10value_typeET4_T5_PSR_SS_PNS1_23onesweep_lookback_stateEbbT6_jjT7_P12ihipStream_tbENKUlT_T0_SG_SL_E_clIS9_SA_SB_SB_EEDaSZ_S10_SG_SL_EUlSZ_E_NS1_11comp_targetILNS1_3genE8ELNS1_11target_archE1030ELNS1_3gpuE2ELNS1_3repE0EEENS1_47radix_sort_onesweep_sort_config_static_selectorELNS0_4arch9wavefront6targetE0EEEvSG_, .Lfunc_end986-_ZN7rocprim17ROCPRIM_400000_NS6detail17trampoline_kernelINS0_14default_configENS1_35radix_sort_onesweep_config_selectorIiNS0_10empty_typeEEEZZNS1_29radix_sort_onesweep_iterationIS3_Lb0EPKiPiPS5_SB_mNS0_19identity_decomposerENS1_16block_id_wrapperIjLb0EEEEE10hipError_tT1_PNSt15iterator_traitsISG_E10value_typeET2_T3_PNSH_ISM_E10value_typeET4_T5_PSR_SS_PNS1_23onesweep_lookback_stateEbbT6_jjT7_P12ihipStream_tbENKUlT_T0_SG_SL_E_clIS9_SA_SB_SB_EEDaSZ_S10_SG_SL_EUlSZ_E_NS1_11comp_targetILNS1_3genE8ELNS1_11target_archE1030ELNS1_3gpuE2ELNS1_3repE0EEENS1_47radix_sort_onesweep_sort_config_static_selectorELNS0_4arch9wavefront6targetE0EEEvSG_
                                        ; -- End function
	.set _ZN7rocprim17ROCPRIM_400000_NS6detail17trampoline_kernelINS0_14default_configENS1_35radix_sort_onesweep_config_selectorIiNS0_10empty_typeEEEZZNS1_29radix_sort_onesweep_iterationIS3_Lb0EPKiPiPS5_SB_mNS0_19identity_decomposerENS1_16block_id_wrapperIjLb0EEEEE10hipError_tT1_PNSt15iterator_traitsISG_E10value_typeET2_T3_PNSH_ISM_E10value_typeET4_T5_PSR_SS_PNS1_23onesweep_lookback_stateEbbT6_jjT7_P12ihipStream_tbENKUlT_T0_SG_SL_E_clIS9_SA_SB_SB_EEDaSZ_S10_SG_SL_EUlSZ_E_NS1_11comp_targetILNS1_3genE8ELNS1_11target_archE1030ELNS1_3gpuE2ELNS1_3repE0EEENS1_47radix_sort_onesweep_sort_config_static_selectorELNS0_4arch9wavefront6targetE0EEEvSG_.num_vgpr, 0
	.set _ZN7rocprim17ROCPRIM_400000_NS6detail17trampoline_kernelINS0_14default_configENS1_35radix_sort_onesweep_config_selectorIiNS0_10empty_typeEEEZZNS1_29radix_sort_onesweep_iterationIS3_Lb0EPKiPiPS5_SB_mNS0_19identity_decomposerENS1_16block_id_wrapperIjLb0EEEEE10hipError_tT1_PNSt15iterator_traitsISG_E10value_typeET2_T3_PNSH_ISM_E10value_typeET4_T5_PSR_SS_PNS1_23onesweep_lookback_stateEbbT6_jjT7_P12ihipStream_tbENKUlT_T0_SG_SL_E_clIS9_SA_SB_SB_EEDaSZ_S10_SG_SL_EUlSZ_E_NS1_11comp_targetILNS1_3genE8ELNS1_11target_archE1030ELNS1_3gpuE2ELNS1_3repE0EEENS1_47radix_sort_onesweep_sort_config_static_selectorELNS0_4arch9wavefront6targetE0EEEvSG_.num_agpr, 0
	.set _ZN7rocprim17ROCPRIM_400000_NS6detail17trampoline_kernelINS0_14default_configENS1_35radix_sort_onesweep_config_selectorIiNS0_10empty_typeEEEZZNS1_29radix_sort_onesweep_iterationIS3_Lb0EPKiPiPS5_SB_mNS0_19identity_decomposerENS1_16block_id_wrapperIjLb0EEEEE10hipError_tT1_PNSt15iterator_traitsISG_E10value_typeET2_T3_PNSH_ISM_E10value_typeET4_T5_PSR_SS_PNS1_23onesweep_lookback_stateEbbT6_jjT7_P12ihipStream_tbENKUlT_T0_SG_SL_E_clIS9_SA_SB_SB_EEDaSZ_S10_SG_SL_EUlSZ_E_NS1_11comp_targetILNS1_3genE8ELNS1_11target_archE1030ELNS1_3gpuE2ELNS1_3repE0EEENS1_47radix_sort_onesweep_sort_config_static_selectorELNS0_4arch9wavefront6targetE0EEEvSG_.numbered_sgpr, 0
	.set _ZN7rocprim17ROCPRIM_400000_NS6detail17trampoline_kernelINS0_14default_configENS1_35radix_sort_onesweep_config_selectorIiNS0_10empty_typeEEEZZNS1_29radix_sort_onesweep_iterationIS3_Lb0EPKiPiPS5_SB_mNS0_19identity_decomposerENS1_16block_id_wrapperIjLb0EEEEE10hipError_tT1_PNSt15iterator_traitsISG_E10value_typeET2_T3_PNSH_ISM_E10value_typeET4_T5_PSR_SS_PNS1_23onesweep_lookback_stateEbbT6_jjT7_P12ihipStream_tbENKUlT_T0_SG_SL_E_clIS9_SA_SB_SB_EEDaSZ_S10_SG_SL_EUlSZ_E_NS1_11comp_targetILNS1_3genE8ELNS1_11target_archE1030ELNS1_3gpuE2ELNS1_3repE0EEENS1_47radix_sort_onesweep_sort_config_static_selectorELNS0_4arch9wavefront6targetE0EEEvSG_.num_named_barrier, 0
	.set _ZN7rocprim17ROCPRIM_400000_NS6detail17trampoline_kernelINS0_14default_configENS1_35radix_sort_onesweep_config_selectorIiNS0_10empty_typeEEEZZNS1_29radix_sort_onesweep_iterationIS3_Lb0EPKiPiPS5_SB_mNS0_19identity_decomposerENS1_16block_id_wrapperIjLb0EEEEE10hipError_tT1_PNSt15iterator_traitsISG_E10value_typeET2_T3_PNSH_ISM_E10value_typeET4_T5_PSR_SS_PNS1_23onesweep_lookback_stateEbbT6_jjT7_P12ihipStream_tbENKUlT_T0_SG_SL_E_clIS9_SA_SB_SB_EEDaSZ_S10_SG_SL_EUlSZ_E_NS1_11comp_targetILNS1_3genE8ELNS1_11target_archE1030ELNS1_3gpuE2ELNS1_3repE0EEENS1_47radix_sort_onesweep_sort_config_static_selectorELNS0_4arch9wavefront6targetE0EEEvSG_.private_seg_size, 0
	.set _ZN7rocprim17ROCPRIM_400000_NS6detail17trampoline_kernelINS0_14default_configENS1_35radix_sort_onesweep_config_selectorIiNS0_10empty_typeEEEZZNS1_29radix_sort_onesweep_iterationIS3_Lb0EPKiPiPS5_SB_mNS0_19identity_decomposerENS1_16block_id_wrapperIjLb0EEEEE10hipError_tT1_PNSt15iterator_traitsISG_E10value_typeET2_T3_PNSH_ISM_E10value_typeET4_T5_PSR_SS_PNS1_23onesweep_lookback_stateEbbT6_jjT7_P12ihipStream_tbENKUlT_T0_SG_SL_E_clIS9_SA_SB_SB_EEDaSZ_S10_SG_SL_EUlSZ_E_NS1_11comp_targetILNS1_3genE8ELNS1_11target_archE1030ELNS1_3gpuE2ELNS1_3repE0EEENS1_47radix_sort_onesweep_sort_config_static_selectorELNS0_4arch9wavefront6targetE0EEEvSG_.uses_vcc, 0
	.set _ZN7rocprim17ROCPRIM_400000_NS6detail17trampoline_kernelINS0_14default_configENS1_35radix_sort_onesweep_config_selectorIiNS0_10empty_typeEEEZZNS1_29radix_sort_onesweep_iterationIS3_Lb0EPKiPiPS5_SB_mNS0_19identity_decomposerENS1_16block_id_wrapperIjLb0EEEEE10hipError_tT1_PNSt15iterator_traitsISG_E10value_typeET2_T3_PNSH_ISM_E10value_typeET4_T5_PSR_SS_PNS1_23onesweep_lookback_stateEbbT6_jjT7_P12ihipStream_tbENKUlT_T0_SG_SL_E_clIS9_SA_SB_SB_EEDaSZ_S10_SG_SL_EUlSZ_E_NS1_11comp_targetILNS1_3genE8ELNS1_11target_archE1030ELNS1_3gpuE2ELNS1_3repE0EEENS1_47radix_sort_onesweep_sort_config_static_selectorELNS0_4arch9wavefront6targetE0EEEvSG_.uses_flat_scratch, 0
	.set _ZN7rocprim17ROCPRIM_400000_NS6detail17trampoline_kernelINS0_14default_configENS1_35radix_sort_onesweep_config_selectorIiNS0_10empty_typeEEEZZNS1_29radix_sort_onesweep_iterationIS3_Lb0EPKiPiPS5_SB_mNS0_19identity_decomposerENS1_16block_id_wrapperIjLb0EEEEE10hipError_tT1_PNSt15iterator_traitsISG_E10value_typeET2_T3_PNSH_ISM_E10value_typeET4_T5_PSR_SS_PNS1_23onesweep_lookback_stateEbbT6_jjT7_P12ihipStream_tbENKUlT_T0_SG_SL_E_clIS9_SA_SB_SB_EEDaSZ_S10_SG_SL_EUlSZ_E_NS1_11comp_targetILNS1_3genE8ELNS1_11target_archE1030ELNS1_3gpuE2ELNS1_3repE0EEENS1_47radix_sort_onesweep_sort_config_static_selectorELNS0_4arch9wavefront6targetE0EEEvSG_.has_dyn_sized_stack, 0
	.set _ZN7rocprim17ROCPRIM_400000_NS6detail17trampoline_kernelINS0_14default_configENS1_35radix_sort_onesweep_config_selectorIiNS0_10empty_typeEEEZZNS1_29radix_sort_onesweep_iterationIS3_Lb0EPKiPiPS5_SB_mNS0_19identity_decomposerENS1_16block_id_wrapperIjLb0EEEEE10hipError_tT1_PNSt15iterator_traitsISG_E10value_typeET2_T3_PNSH_ISM_E10value_typeET4_T5_PSR_SS_PNS1_23onesweep_lookback_stateEbbT6_jjT7_P12ihipStream_tbENKUlT_T0_SG_SL_E_clIS9_SA_SB_SB_EEDaSZ_S10_SG_SL_EUlSZ_E_NS1_11comp_targetILNS1_3genE8ELNS1_11target_archE1030ELNS1_3gpuE2ELNS1_3repE0EEENS1_47radix_sort_onesweep_sort_config_static_selectorELNS0_4arch9wavefront6targetE0EEEvSG_.has_recursion, 0
	.set _ZN7rocprim17ROCPRIM_400000_NS6detail17trampoline_kernelINS0_14default_configENS1_35radix_sort_onesweep_config_selectorIiNS0_10empty_typeEEEZZNS1_29radix_sort_onesweep_iterationIS3_Lb0EPKiPiPS5_SB_mNS0_19identity_decomposerENS1_16block_id_wrapperIjLb0EEEEE10hipError_tT1_PNSt15iterator_traitsISG_E10value_typeET2_T3_PNSH_ISM_E10value_typeET4_T5_PSR_SS_PNS1_23onesweep_lookback_stateEbbT6_jjT7_P12ihipStream_tbENKUlT_T0_SG_SL_E_clIS9_SA_SB_SB_EEDaSZ_S10_SG_SL_EUlSZ_E_NS1_11comp_targetILNS1_3genE8ELNS1_11target_archE1030ELNS1_3gpuE2ELNS1_3repE0EEENS1_47radix_sort_onesweep_sort_config_static_selectorELNS0_4arch9wavefront6targetE0EEEvSG_.has_indirect_call, 0
	.section	.AMDGPU.csdata,"",@progbits
; Kernel info:
; codeLenInByte = 0
; TotalNumSgprs: 0
; NumVgprs: 0
; ScratchSize: 0
; MemoryBound: 0
; FloatMode: 240
; IeeeMode: 1
; LDSByteSize: 0 bytes/workgroup (compile time only)
; SGPRBlocks: 0
; VGPRBlocks: 0
; NumSGPRsForWavesPerEU: 1
; NumVGPRsForWavesPerEU: 1
; NamedBarCnt: 0
; Occupancy: 16
; WaveLimiterHint : 0
; COMPUTE_PGM_RSRC2:SCRATCH_EN: 0
; COMPUTE_PGM_RSRC2:USER_SGPR: 2
; COMPUTE_PGM_RSRC2:TRAP_HANDLER: 0
; COMPUTE_PGM_RSRC2:TGID_X_EN: 1
; COMPUTE_PGM_RSRC2:TGID_Y_EN: 0
; COMPUTE_PGM_RSRC2:TGID_Z_EN: 0
; COMPUTE_PGM_RSRC2:TIDIG_COMP_CNT: 0
	.section	.text._ZN7rocprim17ROCPRIM_400000_NS6detail17trampoline_kernelINS0_14default_configENS1_35radix_sort_onesweep_config_selectorIiNS0_10empty_typeEEEZZNS1_29radix_sort_onesweep_iterationIS3_Lb0EPKiPiPS5_SB_mNS0_19identity_decomposerENS1_16block_id_wrapperIjLb0EEEEE10hipError_tT1_PNSt15iterator_traitsISG_E10value_typeET2_T3_PNSH_ISM_E10value_typeET4_T5_PSR_SS_PNS1_23onesweep_lookback_stateEbbT6_jjT7_P12ihipStream_tbENKUlT_T0_SG_SL_E_clISA_SA_SB_SB_EEDaSZ_S10_SG_SL_EUlSZ_E_NS1_11comp_targetILNS1_3genE0ELNS1_11target_archE4294967295ELNS1_3gpuE0ELNS1_3repE0EEENS1_47radix_sort_onesweep_sort_config_static_selectorELNS0_4arch9wavefront6targetE0EEEvSG_,"axG",@progbits,_ZN7rocprim17ROCPRIM_400000_NS6detail17trampoline_kernelINS0_14default_configENS1_35radix_sort_onesweep_config_selectorIiNS0_10empty_typeEEEZZNS1_29radix_sort_onesweep_iterationIS3_Lb0EPKiPiPS5_SB_mNS0_19identity_decomposerENS1_16block_id_wrapperIjLb0EEEEE10hipError_tT1_PNSt15iterator_traitsISG_E10value_typeET2_T3_PNSH_ISM_E10value_typeET4_T5_PSR_SS_PNS1_23onesweep_lookback_stateEbbT6_jjT7_P12ihipStream_tbENKUlT_T0_SG_SL_E_clISA_SA_SB_SB_EEDaSZ_S10_SG_SL_EUlSZ_E_NS1_11comp_targetILNS1_3genE0ELNS1_11target_archE4294967295ELNS1_3gpuE0ELNS1_3repE0EEENS1_47radix_sort_onesweep_sort_config_static_selectorELNS0_4arch9wavefront6targetE0EEEvSG_,comdat
	.protected	_ZN7rocprim17ROCPRIM_400000_NS6detail17trampoline_kernelINS0_14default_configENS1_35radix_sort_onesweep_config_selectorIiNS0_10empty_typeEEEZZNS1_29radix_sort_onesweep_iterationIS3_Lb0EPKiPiPS5_SB_mNS0_19identity_decomposerENS1_16block_id_wrapperIjLb0EEEEE10hipError_tT1_PNSt15iterator_traitsISG_E10value_typeET2_T3_PNSH_ISM_E10value_typeET4_T5_PSR_SS_PNS1_23onesweep_lookback_stateEbbT6_jjT7_P12ihipStream_tbENKUlT_T0_SG_SL_E_clISA_SA_SB_SB_EEDaSZ_S10_SG_SL_EUlSZ_E_NS1_11comp_targetILNS1_3genE0ELNS1_11target_archE4294967295ELNS1_3gpuE0ELNS1_3repE0EEENS1_47radix_sort_onesweep_sort_config_static_selectorELNS0_4arch9wavefront6targetE0EEEvSG_ ; -- Begin function _ZN7rocprim17ROCPRIM_400000_NS6detail17trampoline_kernelINS0_14default_configENS1_35radix_sort_onesweep_config_selectorIiNS0_10empty_typeEEEZZNS1_29radix_sort_onesweep_iterationIS3_Lb0EPKiPiPS5_SB_mNS0_19identity_decomposerENS1_16block_id_wrapperIjLb0EEEEE10hipError_tT1_PNSt15iterator_traitsISG_E10value_typeET2_T3_PNSH_ISM_E10value_typeET4_T5_PSR_SS_PNS1_23onesweep_lookback_stateEbbT6_jjT7_P12ihipStream_tbENKUlT_T0_SG_SL_E_clISA_SA_SB_SB_EEDaSZ_S10_SG_SL_EUlSZ_E_NS1_11comp_targetILNS1_3genE0ELNS1_11target_archE4294967295ELNS1_3gpuE0ELNS1_3repE0EEENS1_47radix_sort_onesweep_sort_config_static_selectorELNS0_4arch9wavefront6targetE0EEEvSG_
	.globl	_ZN7rocprim17ROCPRIM_400000_NS6detail17trampoline_kernelINS0_14default_configENS1_35radix_sort_onesweep_config_selectorIiNS0_10empty_typeEEEZZNS1_29radix_sort_onesweep_iterationIS3_Lb0EPKiPiPS5_SB_mNS0_19identity_decomposerENS1_16block_id_wrapperIjLb0EEEEE10hipError_tT1_PNSt15iterator_traitsISG_E10value_typeET2_T3_PNSH_ISM_E10value_typeET4_T5_PSR_SS_PNS1_23onesweep_lookback_stateEbbT6_jjT7_P12ihipStream_tbENKUlT_T0_SG_SL_E_clISA_SA_SB_SB_EEDaSZ_S10_SG_SL_EUlSZ_E_NS1_11comp_targetILNS1_3genE0ELNS1_11target_archE4294967295ELNS1_3gpuE0ELNS1_3repE0EEENS1_47radix_sort_onesweep_sort_config_static_selectorELNS0_4arch9wavefront6targetE0EEEvSG_
	.p2align	8
	.type	_ZN7rocprim17ROCPRIM_400000_NS6detail17trampoline_kernelINS0_14default_configENS1_35radix_sort_onesweep_config_selectorIiNS0_10empty_typeEEEZZNS1_29radix_sort_onesweep_iterationIS3_Lb0EPKiPiPS5_SB_mNS0_19identity_decomposerENS1_16block_id_wrapperIjLb0EEEEE10hipError_tT1_PNSt15iterator_traitsISG_E10value_typeET2_T3_PNSH_ISM_E10value_typeET4_T5_PSR_SS_PNS1_23onesweep_lookback_stateEbbT6_jjT7_P12ihipStream_tbENKUlT_T0_SG_SL_E_clISA_SA_SB_SB_EEDaSZ_S10_SG_SL_EUlSZ_E_NS1_11comp_targetILNS1_3genE0ELNS1_11target_archE4294967295ELNS1_3gpuE0ELNS1_3repE0EEENS1_47radix_sort_onesweep_sort_config_static_selectorELNS0_4arch9wavefront6targetE0EEEvSG_,@function
_ZN7rocprim17ROCPRIM_400000_NS6detail17trampoline_kernelINS0_14default_configENS1_35radix_sort_onesweep_config_selectorIiNS0_10empty_typeEEEZZNS1_29radix_sort_onesweep_iterationIS3_Lb0EPKiPiPS5_SB_mNS0_19identity_decomposerENS1_16block_id_wrapperIjLb0EEEEE10hipError_tT1_PNSt15iterator_traitsISG_E10value_typeET2_T3_PNSH_ISM_E10value_typeET4_T5_PSR_SS_PNS1_23onesweep_lookback_stateEbbT6_jjT7_P12ihipStream_tbENKUlT_T0_SG_SL_E_clISA_SA_SB_SB_EEDaSZ_S10_SG_SL_EUlSZ_E_NS1_11comp_targetILNS1_3genE0ELNS1_11target_archE4294967295ELNS1_3gpuE0ELNS1_3repE0EEENS1_47radix_sort_onesweep_sort_config_static_selectorELNS0_4arch9wavefront6targetE0EEEvSG_: ; @_ZN7rocprim17ROCPRIM_400000_NS6detail17trampoline_kernelINS0_14default_configENS1_35radix_sort_onesweep_config_selectorIiNS0_10empty_typeEEEZZNS1_29radix_sort_onesweep_iterationIS3_Lb0EPKiPiPS5_SB_mNS0_19identity_decomposerENS1_16block_id_wrapperIjLb0EEEEE10hipError_tT1_PNSt15iterator_traitsISG_E10value_typeET2_T3_PNSH_ISM_E10value_typeET4_T5_PSR_SS_PNS1_23onesweep_lookback_stateEbbT6_jjT7_P12ihipStream_tbENKUlT_T0_SG_SL_E_clISA_SA_SB_SB_EEDaSZ_S10_SG_SL_EUlSZ_E_NS1_11comp_targetILNS1_3genE0ELNS1_11target_archE4294967295ELNS1_3gpuE0ELNS1_3repE0EEENS1_47radix_sort_onesweep_sort_config_static_selectorELNS0_4arch9wavefront6targetE0EEEvSG_
; %bb.0:
	s_clause 0x3
	s_load_b96 s[20:22], s[0:1], 0x44
	s_load_b64 s[10:11], s[0:1], 0x38
	s_load_b128 s[16:19], s[0:1], 0x0
	s_load_b128 s[12:15], s[0:1], 0x28
	s_bfe_u32 s2, ttmp6, 0x4000c
	s_and_b32 s3, ttmp6, 15
	s_add_co_i32 s2, s2, 1
	s_getreg_b32 s4, hwreg(HW_REG_IB_STS2, 6, 4)
	s_mul_i32 s5, ttmp9, s2
	v_mbcnt_lo_u32_b32 v16, -1, 0
	s_add_co_i32 s3, s3, s5
	s_cmp_eq_u32 s4, 0
	v_and_b32_e32 v17, 0x1e0, v0
	s_cselect_b32 s9, ttmp9, s3
	s_mov_b32 s25, 0
	s_mov_b32 s2, -1
	s_mul_i32 s24, s9, 0x1800
	s_add_nc_u64 s[26:27], s[0:1], 0x58
	s_wait_kmcnt 0x0
	s_cmp_ge_u32 s9, s22
	s_cbranch_scc0 .LBB987_90
; %bb.1:
	s_load_b32 s4, s[0:1], 0x20
	v_dual_mov_b32 v3, 0 :: v_dual_lshlrev_b32 v2, 2, v16
	s_lshl_b64 s[2:3], s[24:25], 2
	v_mul_u32_u24_e32 v1, 12, v17
	s_add_nc_u64 s[2:3], s[16:17], s[2:3]
	v_mov_b32_e32 v18, -1
	v_add_nc_u64_e32 v[6:7], s[2:3], v[2:3]
	s_mul_i32 s2, s22, 0xffffe800
	v_dual_lshlrev_b32 v2, 2, v1 :: v_dual_bitop2_b32 v4, v16, v1 bitop3:0x54
	v_mov_b32_e32 v1, -1
	s_delay_alu instid0(VALU_DEP_2)
	v_add_nc_u64_e32 v[2:3], v[6:7], v[2:3]
	s_wait_kmcnt 0x0
	s_add_co_i32 s22, s4, s2
	s_mov_b32 s2, exec_lo
	v_cmpx_gt_u32_e64 s22, v4
	s_cbranch_execz .LBB987_3
; %bb.2:
	global_load_b32 v5, v[2:3], off
	s_wait_loadcnt 0x0
	v_xor_b32_e32 v18, 0x80000000, v5
.LBB987_3:
	s_or_b32 exec_lo, exec_lo, s2
	v_or_b32_e32 v5, 32, v4
	s_mov_b32 s2, exec_lo
	s_delay_alu instid0(VALU_DEP_1)
	v_cmpx_gt_u32_e64 s22, v5
	s_cbranch_execz .LBB987_5
; %bb.4:
	global_load_b32 v1, v[2:3], off offset:128
	s_wait_loadcnt 0x0
	v_xor_b32_e32 v1, 0x80000000, v1
.LBB987_5:
	s_or_b32 exec_lo, exec_lo, s2
	v_dual_mov_b32 v19, -1 :: v_dual_bitop2_b32 v5, 64, v4 bitop3:0x54
	v_mov_b32_e32 v20, -1
	s_mov_b32 s2, exec_lo
	s_delay_alu instid0(VALU_DEP_2)
	v_cmpx_gt_u32_e64 s22, v5
	s_cbranch_execz .LBB987_7
; %bb.6:
	global_load_b32 v5, v[2:3], off offset:256
	s_wait_loadcnt 0x0
	v_xor_b32_e32 v20, 0x80000000, v5
.LBB987_7:
	s_or_b32 exec_lo, exec_lo, s2
	v_or_b32_e32 v5, 0x60, v4
	s_mov_b32 s2, exec_lo
	s_delay_alu instid0(VALU_DEP_1)
	v_cmpx_gt_u32_e64 s22, v5
	s_cbranch_execz .LBB987_9
; %bb.8:
	global_load_b32 v5, v[2:3], off offset:384
	s_wait_loadcnt 0x0
	v_xor_b32_e32 v19, 0x80000000, v5
.LBB987_9:
	s_or_b32 exec_lo, exec_lo, s2
	v_dual_mov_b32 v22, -1 :: v_dual_add_nc_u32 v5, 0x80, v4
	v_mov_b32_e32 v21, -1
	s_mov_b32 s2, exec_lo
	s_delay_alu instid0(VALU_DEP_2)
	v_cmpx_gt_u32_e64 s22, v5
	s_cbranch_execz .LBB987_11
; %bb.10:
	global_load_b32 v5, v[2:3], off offset:512
	s_wait_loadcnt 0x0
	v_xor_b32_e32 v22, 0x80000000, v5
.LBB987_11:
	s_or_b32 exec_lo, exec_lo, s2
	v_add_nc_u32_e32 v5, 0xa0, v4
	s_mov_b32 s2, exec_lo
	s_delay_alu instid0(VALU_DEP_1)
	v_cmpx_gt_u32_e64 s22, v5
	s_cbranch_execz .LBB987_13
; %bb.12:
	global_load_b32 v5, v[2:3], off offset:640
	s_wait_loadcnt 0x0
	v_xor_b32_e32 v21, 0x80000000, v5
.LBB987_13:
	s_or_b32 exec_lo, exec_lo, s2
	v_dual_mov_b32 v24, -1 :: v_dual_add_nc_u32 v5, 0xc0, v4
	v_mov_b32_e32 v23, -1
	s_mov_b32 s2, exec_lo
	s_delay_alu instid0(VALU_DEP_2)
	v_cmpx_gt_u32_e64 s22, v5
	s_cbranch_execz .LBB987_15
; %bb.14:
	global_load_b32 v5, v[2:3], off offset:768
	s_wait_loadcnt 0x0
	v_xor_b32_e32 v24, 0x80000000, v5
.LBB987_15:
	s_or_b32 exec_lo, exec_lo, s2
	v_add_nc_u32_e32 v5, 0xe0, v4
	;; [unrolled: 23-line block ×4, first 2 shown]
	v_and_b32_e32 v27, 0x3ff, v0
	s_mov_b32 s2, exec_lo
	s_delay_alu instid0(VALU_DEP_2)
	v_cmpx_gt_u32_e64 s22, v4
	s_cbranch_execz .LBB987_25
; %bb.24:
	global_load_b32 v2, v[2:3], off offset:1408
	s_wait_loadcnt 0x0
	v_xor_b32_e32 v28, 0x80000000, v2
.LBB987_25:
	s_or_b32 exec_lo, exec_lo, s2
	s_clause 0x1
	s_load_b32 s23, s[0:1], 0x58
	s_load_u16 s4, s[0:1], 0x66
	v_bfe_u32 v2, v0, 10, 10
	v_bfe_u32 v3, v0, 20, 10
	v_lshrrev_b32_e32 v4, s20, v18
	s_mov_b32 s3, 0
	s_wait_kmcnt 0x0
	s_cmp_lt_u32 s9, s23
	v_mad_u32_u24 v2, v3, s4, v2
	s_cselect_b32 s2, 12, 18
	s_lshl_b32 s25, -1, s21
	s_add_nc_u64 s[2:3], s[26:27], s[2:3]
	v_bitop3_b32 v3, v4, 1, s25 bitop3:0x40
	v_bitop3_b32 v4, v4, s25, v4 bitop3:0x30
	s_load_u16 s28, s[2:3], 0x0
	s_wait_xcnt 0x0
	s_delay_alu instid0(VALU_DEP_2) | instskip(NEXT) | instid1(VALU_DEP_1)
	v_add_co_u32 v3, s2, v3, -1
	v_cndmask_b32_e64 v5, 0, 1, s2
	v_dual_lshlrev_b32 v6, 30, v4 :: v_dual_lshlrev_b32 v7, 29, v4
	v_dual_lshlrev_b32 v8, 28, v4 :: v_dual_lshlrev_b32 v9, 27, v4
	s_delay_alu instid0(VALU_DEP_3) | instskip(NEXT) | instid1(VALU_DEP_3)
	v_cmp_ne_u32_e32 vcc_lo, 0, v5
	v_not_b32_e32 v5, v6
	v_dual_lshlrev_b32 v10, 26, v4 :: v_dual_lshlrev_b32 v11, 25, v4
	v_cmp_gt_i32_e64 s2, 0, v6
	v_cmp_gt_i32_e64 s3, 0, v7
	v_not_b32_e32 v6, v7
	v_cmp_gt_i32_e64 s4, 0, v8
	v_not_b32_e32 v7, v8
	v_not_b32_e32 v8, v9
	v_dual_ashrrev_i32 v5, 31, v5 :: v_dual_lshlrev_b32 v12, 24, v4
	v_xor_b32_e32 v3, vcc_lo, v3
	v_cmp_gt_i32_e64 s5, 0, v9
	v_not_b32_e32 v9, v10
	v_dual_ashrrev_i32 v6, 31, v6 :: v_dual_ashrrev_i32 v7, 31, v7
	v_dual_ashrrev_i32 v8, 31, v8 :: v_dual_bitop2_b32 v5, s2, v5 bitop3:0x14
	v_cmp_gt_i32_e64 s6, 0, v10
	v_cmp_gt_i32_e64 s7, 0, v11
	v_not_b32_e32 v10, v11
	v_not_b32_e32 v11, v12
	v_dual_ashrrev_i32 v9, 31, v9 :: v_dual_bitop2_b32 v6, s3, v6 bitop3:0x14
	s_wait_kmcnt 0x0
	v_mad_u32 v2, v2, s28, v27
	v_xor_b32_e32 v7, s4, v7
	v_bitop3_b32 v3, v3, v5, exec_lo bitop3:0x80
	v_cmp_gt_i32_e64 s8, 0, v12
	v_dual_ashrrev_i32 v5, 31, v10 :: v_dual_ashrrev_i32 v10, 31, v11
	v_xor_b32_e32 v8, s5, v8
	v_xor_b32_e32 v9, s6, v9
	v_bitop3_b32 v3, v3, v7, v6 bitop3:0x80
	s_delay_alu instid0(VALU_DEP_4) | instskip(SKIP_2) | instid1(VALU_DEP_4)
	v_dual_mov_b32 v6, 0 :: v_dual_bitop2_b32 v5, s7, v5 bitop3:0x14
	v_lshrrev_b32_e32 v2, 5, v2
	v_xor_b32_e32 v7, s8, v10
	v_bitop3_b32 v3, v3, v9, v8 bitop3:0x80
	v_mul_u32_u24_e32 v12, 36, v27
	s_not_b32 s6, s25
	v_lshlrev_b32_e32 v2, 2, v2
	ds_store_2addr_b32 v12, v6, v6 offset0:16 offset1:17
	ds_store_2addr_b32 v12, v6, v6 offset0:18 offset1:19
	ds_store_2addr_b32 v12, v6, v6 offset0:20 offset1:21
	ds_store_2addr_b32 v12, v6, v6 offset0:22 offset1:23
	v_bitop3_b32 v3, v3, v7, v5 bitop3:0x80
	v_mad_u32 v13, 0x44, v4, v2
	ds_store_b32 v12, v6 offset:96
	s_wait_dscnt 0x0
	s_barrier_signal -1
	v_mbcnt_lo_u32_b32 v7, v3, 0
	v_cmp_ne_u32_e64 s2, 0, v3
	s_barrier_wait -1
	s_delay_alu instid0(VALU_DEP_2) | instskip(SKIP_1) | instid1(SALU_CYCLE_1)
	v_cmp_eq_u32_e32 vcc_lo, 0, v7
	; wave barrier
	s_and_b32 s3, s2, vcc_lo
	s_and_saveexec_b32 s2, s3
; %bb.26:
	v_bcnt_u32_b32 v3, v3, 0
	ds_store_b32 v13, v3 offset:64
; %bb.27:
	s_or_b32 exec_lo, exec_lo, s2
	v_lshrrev_b32_e32 v3, s20, v1
	; wave barrier
	s_delay_alu instid0(VALU_DEP_1) | instskip(NEXT) | instid1(VALU_DEP_1)
	v_and_b32_e32 v4, s6, v3
	v_lshlrev_b32_e32 v6, 30, v4
	v_bitop3_b32 v3, v3, 1, s6 bitop3:0x80
	s_delay_alu instid0(VALU_DEP_1) | instskip(NEXT) | instid1(VALU_DEP_1)
	v_add_co_u32 v3, s2, v3, -1
	v_cndmask_b32_e64 v5, 0, 1, s2
	s_delay_alu instid0(VALU_DEP_4) | instskip(NEXT) | instid1(VALU_DEP_2)
	v_cmp_gt_i32_e64 s2, 0, v6
	v_cmp_ne_u32_e32 vcc_lo, 0, v5
	v_not_b32_e32 v5, v6
	s_delay_alu instid0(VALU_DEP_1) | instskip(SKIP_3) | instid1(VALU_DEP_4)
	v_dual_ashrrev_i32 v5, 31, v5 :: v_dual_lshlrev_b32 v8, 29, v4
	v_dual_lshlrev_b32 v9, 28, v4 :: v_dual_lshlrev_b32 v10, 27, v4
	v_lshlrev_b32_e32 v11, 26, v4
	v_mad_u32 v14, 0x44, v4, v2
	v_cmp_gt_i32_e64 s3, 0, v8
	v_not_b32_e32 v6, v8
	v_not_b32_e32 v8, v9
	v_cmp_gt_i32_e64 s4, 0, v9
	v_xor_b32_e32 v3, vcc_lo, v3
	s_delay_alu instid0(VALU_DEP_4) | instskip(NEXT) | instid1(VALU_DEP_4)
	v_dual_ashrrev_i32 v6, 31, v6 :: v_dual_bitop2_b32 v5, s2, v5 bitop3:0x14
	v_ashrrev_i32_e32 v8, 31, v8
	v_dual_lshlrev_b32 v15, 25, v4 :: v_dual_lshlrev_b32 v4, 24, v4
	v_not_b32_e32 v9, v10
	v_not_b32_e32 v30, v11
	v_xor_b32_e32 v6, s3, v6
	v_xor_b32_e32 v8, s4, v8
	v_bitop3_b32 v3, v3, v5, exec_lo bitop3:0x80
	v_cmp_gt_i32_e32 vcc_lo, 0, v10
	v_ashrrev_i32_e32 v5, 31, v9
	v_cmp_gt_i32_e64 s2, 0, v11
	v_ashrrev_i32_e32 v9, 31, v30
	v_bitop3_b32 v3, v3, v8, v6 bitop3:0x80
	v_not_b32_e32 v6, v15
	v_not_b32_e32 v8, v4
	v_xor_b32_e32 v5, vcc_lo, v5
	v_xor_b32_e32 v9, s2, v9
	v_cmp_gt_i32_e32 vcc_lo, 0, v15
	v_ashrrev_i32_e32 v6, 31, v6
	v_cmp_gt_i32_e64 s2, 0, v4
	v_ashrrev_i32_e32 v4, 31, v8
	v_bitop3_b32 v3, v3, v9, v5 bitop3:0x80
	ds_load_b32 v30, v14 offset:64
	v_xor_b32_e32 v5, vcc_lo, v6
	v_xor_b32_e32 v4, s2, v4
	; wave barrier
	s_delay_alu instid0(VALU_DEP_1) | instskip(NEXT) | instid1(VALU_DEP_1)
	v_bitop3_b32 v3, v3, v4, v5 bitop3:0x80
	v_mbcnt_lo_u32_b32 v31, v3, 0
	v_cmp_ne_u32_e64 s2, 0, v3
	s_delay_alu instid0(VALU_DEP_2) | instskip(SKIP_1) | instid1(SALU_CYCLE_1)
	v_cmp_eq_u32_e32 vcc_lo, 0, v31
	s_and_b32 s3, s2, vcc_lo
	s_and_saveexec_b32 s2, s3
	s_cbranch_execz .LBB987_29
; %bb.28:
	s_wait_dscnt 0x0
	v_bcnt_u32_b32 v3, v3, v30
	ds_store_b32 v14, v3 offset:64
.LBB987_29:
	s_or_b32 exec_lo, exec_lo, s2
	v_lshrrev_b32_e32 v3, s20, v20
	; wave barrier
	s_delay_alu instid0(VALU_DEP_1) | instskip(SKIP_1) | instid1(VALU_DEP_2)
	v_and_b32_e32 v4, s6, v3
	v_bitop3_b32 v3, v3, 1, s6 bitop3:0x80
	v_dual_lshlrev_b32 v6, 30, v4 :: v_dual_lshlrev_b32 v8, 29, v4
	s_delay_alu instid0(VALU_DEP_2) | instskip(NEXT) | instid1(VALU_DEP_1)
	v_add_co_u32 v3, s2, v3, -1
	v_cndmask_b32_e64 v5, 0, 1, s2
	s_delay_alu instid0(VALU_DEP_3) | instskip(NEXT) | instid1(VALU_DEP_4)
	v_cmp_gt_i32_e64 s2, 0, v6
	v_cmp_gt_i32_e64 s3, 0, v8
	s_delay_alu instid0(VALU_DEP_3) | instskip(SKIP_2) | instid1(VALU_DEP_2)
	v_cmp_ne_u32_e32 vcc_lo, 0, v5
	v_not_b32_e32 v5, v6
	v_not_b32_e32 v6, v8
	v_dual_ashrrev_i32 v5, 31, v5 :: v_dual_bitop2_b32 v3, vcc_lo, v3 bitop3:0x14
	s_delay_alu instid0(VALU_DEP_2) | instskip(SKIP_3) | instid1(VALU_DEP_4)
	v_dual_ashrrev_i32 v6, 31, v6 :: v_dual_lshlrev_b32 v9, 28, v4
	v_lshlrev_b32_e32 v10, 27, v4
	v_mad_u32 v15, 0x44, v4, v2
	v_dual_lshlrev_b32 v11, 26, v4 :: v_dual_lshlrev_b32 v32, 25, v4
	v_not_b32_e32 v8, v9
	v_lshlrev_b32_e32 v4, 24, v4
	v_cmp_gt_i32_e64 s4, 0, v9
	v_xor_b32_e32 v5, s2, v5
	v_not_b32_e32 v9, v10
	v_ashrrev_i32_e32 v8, 31, v8
	v_not_b32_e32 v33, v11
	v_xor_b32_e32 v6, s3, v6
	v_bitop3_b32 v3, v3, v5, exec_lo bitop3:0x80
	v_cmp_gt_i32_e32 vcc_lo, 0, v10
	v_dual_ashrrev_i32 v5, 31, v9 :: v_dual_bitop2_b32 v8, s4, v8 bitop3:0x14
	v_cmp_gt_i32_e64 s2, 0, v11
	v_ashrrev_i32_e32 v9, 31, v33
	s_delay_alu instid0(VALU_DEP_3)
	v_bitop3_b32 v3, v3, v8, v6 bitop3:0x80
	v_not_b32_e32 v6, v32
	v_not_b32_e32 v8, v4
	v_xor_b32_e32 v5, vcc_lo, v5
	v_xor_b32_e32 v9, s2, v9
	v_cmp_gt_i32_e32 vcc_lo, 0, v32
	v_ashrrev_i32_e32 v6, 31, v6
	v_cmp_gt_i32_e64 s2, 0, v4
	v_ashrrev_i32_e32 v4, 31, v8
	v_bitop3_b32 v3, v3, v9, v5 bitop3:0x80
	ds_load_b32 v32, v15 offset:64
	v_xor_b32_e32 v5, vcc_lo, v6
	v_xor_b32_e32 v4, s2, v4
	; wave barrier
	s_delay_alu instid0(VALU_DEP_1) | instskip(NEXT) | instid1(VALU_DEP_1)
	v_bitop3_b32 v3, v3, v4, v5 bitop3:0x80
	v_mbcnt_lo_u32_b32 v33, v3, 0
	v_cmp_ne_u32_e64 s2, 0, v3
	s_delay_alu instid0(VALU_DEP_2) | instskip(SKIP_1) | instid1(SALU_CYCLE_1)
	v_cmp_eq_u32_e32 vcc_lo, 0, v33
	s_and_b32 s3, s2, vcc_lo
	s_and_saveexec_b32 s2, s3
	s_cbranch_execz .LBB987_31
; %bb.30:
	s_wait_dscnt 0x0
	v_bcnt_u32_b32 v3, v3, v32
	ds_store_b32 v15, v3 offset:64
.LBB987_31:
	s_or_b32 exec_lo, exec_lo, s2
	v_lshrrev_b32_e32 v3, s20, v19
	; wave barrier
	s_delay_alu instid0(VALU_DEP_1) | instskip(NEXT) | instid1(VALU_DEP_1)
	v_and_b32_e32 v4, s6, v3
	v_lshlrev_b32_e32 v6, 30, v4
	v_bitop3_b32 v3, v3, 1, s6 bitop3:0x80
	s_delay_alu instid0(VALU_DEP_1) | instskip(NEXT) | instid1(VALU_DEP_1)
	v_add_co_u32 v3, s2, v3, -1
	v_cndmask_b32_e64 v5, 0, 1, s2
	s_delay_alu instid0(VALU_DEP_4) | instskip(NEXT) | instid1(VALU_DEP_2)
	v_cmp_gt_i32_e64 s2, 0, v6
	v_cmp_ne_u32_e32 vcc_lo, 0, v5
	v_not_b32_e32 v5, v6
	s_delay_alu instid0(VALU_DEP_1) | instskip(SKIP_3) | instid1(VALU_DEP_4)
	v_dual_ashrrev_i32 v5, 31, v5 :: v_dual_lshlrev_b32 v8, 29, v4
	v_dual_lshlrev_b32 v9, 28, v4 :: v_dual_lshlrev_b32 v10, 27, v4
	v_lshlrev_b32_e32 v11, 26, v4
	v_mad_u32 v38, 0x44, v4, v2
	v_cmp_gt_i32_e64 s3, 0, v8
	v_not_b32_e32 v6, v8
	v_not_b32_e32 v8, v9
	v_cmp_gt_i32_e64 s4, 0, v9
	v_xor_b32_e32 v3, vcc_lo, v3
	s_delay_alu instid0(VALU_DEP_4) | instskip(NEXT) | instid1(VALU_DEP_4)
	v_dual_ashrrev_i32 v6, 31, v6 :: v_dual_bitop2_b32 v5, s2, v5 bitop3:0x14
	v_ashrrev_i32_e32 v8, 31, v8
	v_dual_lshlrev_b32 v34, 25, v4 :: v_dual_lshlrev_b32 v4, 24, v4
	v_not_b32_e32 v9, v10
	v_not_b32_e32 v35, v11
	v_xor_b32_e32 v6, s3, v6
	v_xor_b32_e32 v8, s4, v8
	v_bitop3_b32 v3, v3, v5, exec_lo bitop3:0x80
	v_cmp_gt_i32_e32 vcc_lo, 0, v10
	v_ashrrev_i32_e32 v5, 31, v9
	v_cmp_gt_i32_e64 s2, 0, v11
	v_ashrrev_i32_e32 v9, 31, v35
	v_bitop3_b32 v3, v3, v8, v6 bitop3:0x80
	v_not_b32_e32 v6, v34
	v_not_b32_e32 v8, v4
	v_xor_b32_e32 v5, vcc_lo, v5
	v_xor_b32_e32 v9, s2, v9
	v_cmp_gt_i32_e32 vcc_lo, 0, v34
	v_ashrrev_i32_e32 v6, 31, v6
	v_cmp_gt_i32_e64 s2, 0, v4
	v_ashrrev_i32_e32 v4, 31, v8
	v_bitop3_b32 v3, v3, v9, v5 bitop3:0x80
	ds_load_b32 v34, v38 offset:64
	v_xor_b32_e32 v5, vcc_lo, v6
	v_xor_b32_e32 v4, s2, v4
	; wave barrier
	s_delay_alu instid0(VALU_DEP_1) | instskip(NEXT) | instid1(VALU_DEP_1)
	v_bitop3_b32 v3, v3, v4, v5 bitop3:0x80
	v_mbcnt_lo_u32_b32 v35, v3, 0
	v_cmp_ne_u32_e64 s2, 0, v3
	s_delay_alu instid0(VALU_DEP_2) | instskip(SKIP_1) | instid1(SALU_CYCLE_1)
	v_cmp_eq_u32_e32 vcc_lo, 0, v35
	s_and_b32 s3, s2, vcc_lo
	s_and_saveexec_b32 s2, s3
	s_cbranch_execz .LBB987_33
; %bb.32:
	s_wait_dscnt 0x0
	v_bcnt_u32_b32 v3, v3, v34
	ds_store_b32 v38, v3 offset:64
.LBB987_33:
	s_or_b32 exec_lo, exec_lo, s2
	v_lshrrev_b32_e32 v3, s20, v22
	; wave barrier
	s_delay_alu instid0(VALU_DEP_1) | instskip(NEXT) | instid1(VALU_DEP_1)
	v_and_b32_e32 v4, s6, v3
	v_lshlrev_b32_e32 v6, 30, v4
	v_bitop3_b32 v3, v3, 1, s6 bitop3:0x80
	s_delay_alu instid0(VALU_DEP_1) | instskip(NEXT) | instid1(VALU_DEP_1)
	v_add_co_u32 v3, s2, v3, -1
	v_cndmask_b32_e64 v5, 0, 1, s2
	s_delay_alu instid0(VALU_DEP_4) | instskip(NEXT) | instid1(VALU_DEP_2)
	v_cmp_gt_i32_e64 s2, 0, v6
	v_cmp_ne_u32_e32 vcc_lo, 0, v5
	v_not_b32_e32 v5, v6
	s_delay_alu instid0(VALU_DEP_1) | instskip(SKIP_3) | instid1(VALU_DEP_4)
	v_dual_ashrrev_i32 v5, 31, v5 :: v_dual_lshlrev_b32 v8, 29, v4
	v_dual_lshlrev_b32 v9, 28, v4 :: v_dual_lshlrev_b32 v10, 27, v4
	v_lshlrev_b32_e32 v11, 26, v4
	v_mad_u32 v41, 0x44, v4, v2
	v_cmp_gt_i32_e64 s3, 0, v8
	v_not_b32_e32 v6, v8
	v_not_b32_e32 v8, v9
	v_cmp_gt_i32_e64 s4, 0, v9
	v_xor_b32_e32 v3, vcc_lo, v3
	s_delay_alu instid0(VALU_DEP_4) | instskip(NEXT) | instid1(VALU_DEP_4)
	v_dual_ashrrev_i32 v6, 31, v6 :: v_dual_bitop2_b32 v5, s2, v5 bitop3:0x14
	v_ashrrev_i32_e32 v8, 31, v8
	v_dual_lshlrev_b32 v36, 25, v4 :: v_dual_lshlrev_b32 v4, 24, v4
	v_not_b32_e32 v9, v10
	v_not_b32_e32 v37, v11
	v_xor_b32_e32 v6, s3, v6
	v_xor_b32_e32 v8, s4, v8
	v_bitop3_b32 v3, v3, v5, exec_lo bitop3:0x80
	v_cmp_gt_i32_e32 vcc_lo, 0, v10
	v_ashrrev_i32_e32 v5, 31, v9
	v_cmp_gt_i32_e64 s2, 0, v11
	v_ashrrev_i32_e32 v9, 31, v37
	v_bitop3_b32 v3, v3, v8, v6 bitop3:0x80
	v_not_b32_e32 v6, v36
	v_not_b32_e32 v8, v4
	v_xor_b32_e32 v5, vcc_lo, v5
	v_xor_b32_e32 v9, s2, v9
	v_cmp_gt_i32_e32 vcc_lo, 0, v36
	v_ashrrev_i32_e32 v6, 31, v6
	v_cmp_gt_i32_e64 s2, 0, v4
	v_ashrrev_i32_e32 v4, 31, v8
	v_bitop3_b32 v3, v3, v9, v5 bitop3:0x80
	ds_load_b32 v36, v41 offset:64
	v_xor_b32_e32 v5, vcc_lo, v6
	v_xor_b32_e32 v4, s2, v4
	; wave barrier
	s_delay_alu instid0(VALU_DEP_1) | instskip(NEXT) | instid1(VALU_DEP_1)
	v_bitop3_b32 v3, v3, v4, v5 bitop3:0x80
	v_mbcnt_lo_u32_b32 v37, v3, 0
	v_cmp_ne_u32_e64 s2, 0, v3
	s_delay_alu instid0(VALU_DEP_2) | instskip(SKIP_1) | instid1(SALU_CYCLE_1)
	v_cmp_eq_u32_e32 vcc_lo, 0, v37
	s_and_b32 s3, s2, vcc_lo
	s_and_saveexec_b32 s2, s3
	s_cbranch_execz .LBB987_35
; %bb.34:
	s_wait_dscnt 0x0
	v_bcnt_u32_b32 v3, v3, v36
	ds_store_b32 v41, v3 offset:64
.LBB987_35:
	s_or_b32 exec_lo, exec_lo, s2
	v_lshrrev_b32_e32 v3, s20, v21
	; wave barrier
	s_delay_alu instid0(VALU_DEP_1) | instskip(NEXT) | instid1(VALU_DEP_1)
	v_and_b32_e32 v4, s6, v3
	v_lshlrev_b32_e32 v6, 30, v4
	v_bitop3_b32 v3, v3, 1, s6 bitop3:0x80
	s_delay_alu instid0(VALU_DEP_1) | instskip(NEXT) | instid1(VALU_DEP_1)
	v_add_co_u32 v3, s2, v3, -1
	v_cndmask_b32_e64 v5, 0, 1, s2
	s_delay_alu instid0(VALU_DEP_4) | instskip(NEXT) | instid1(VALU_DEP_2)
	v_cmp_gt_i32_e64 s2, 0, v6
	v_cmp_ne_u32_e32 vcc_lo, 0, v5
	v_not_b32_e32 v5, v6
	s_delay_alu instid0(VALU_DEP_1) | instskip(SKIP_3) | instid1(VALU_DEP_4)
	v_dual_ashrrev_i32 v5, 31, v5 :: v_dual_lshlrev_b32 v8, 29, v4
	v_dual_lshlrev_b32 v9, 28, v4 :: v_dual_lshlrev_b32 v10, 27, v4
	v_lshlrev_b32_e32 v11, 26, v4
	v_mad_u32 v44, 0x44, v4, v2
	v_cmp_gt_i32_e64 s3, 0, v8
	v_not_b32_e32 v6, v8
	v_not_b32_e32 v8, v9
	v_cmp_gt_i32_e64 s4, 0, v9
	v_xor_b32_e32 v3, vcc_lo, v3
	s_delay_alu instid0(VALU_DEP_4) | instskip(NEXT) | instid1(VALU_DEP_4)
	v_dual_ashrrev_i32 v6, 31, v6 :: v_dual_bitop2_b32 v5, s2, v5 bitop3:0x14
	v_ashrrev_i32_e32 v8, 31, v8
	v_dual_lshlrev_b32 v39, 25, v4 :: v_dual_lshlrev_b32 v4, 24, v4
	v_not_b32_e32 v9, v10
	v_not_b32_e32 v40, v11
	v_xor_b32_e32 v6, s3, v6
	v_xor_b32_e32 v8, s4, v8
	v_bitop3_b32 v3, v3, v5, exec_lo bitop3:0x80
	v_cmp_gt_i32_e32 vcc_lo, 0, v10
	v_ashrrev_i32_e32 v5, 31, v9
	v_cmp_gt_i32_e64 s2, 0, v11
	v_ashrrev_i32_e32 v9, 31, v40
	v_bitop3_b32 v3, v3, v8, v6 bitop3:0x80
	v_not_b32_e32 v6, v39
	v_not_b32_e32 v8, v4
	v_xor_b32_e32 v5, vcc_lo, v5
	v_xor_b32_e32 v9, s2, v9
	v_cmp_gt_i32_e32 vcc_lo, 0, v39
	v_ashrrev_i32_e32 v6, 31, v6
	v_cmp_gt_i32_e64 s2, 0, v4
	v_ashrrev_i32_e32 v4, 31, v8
	v_bitop3_b32 v3, v3, v9, v5 bitop3:0x80
	ds_load_b32 v39, v44 offset:64
	v_xor_b32_e32 v5, vcc_lo, v6
	v_xor_b32_e32 v4, s2, v4
	; wave barrier
	s_delay_alu instid0(VALU_DEP_1) | instskip(NEXT) | instid1(VALU_DEP_1)
	v_bitop3_b32 v3, v3, v4, v5 bitop3:0x80
	v_mbcnt_lo_u32_b32 v40, v3, 0
	v_cmp_ne_u32_e64 s2, 0, v3
	s_delay_alu instid0(VALU_DEP_2) | instskip(SKIP_1) | instid1(SALU_CYCLE_1)
	v_cmp_eq_u32_e32 vcc_lo, 0, v40
	s_and_b32 s3, s2, vcc_lo
	s_and_saveexec_b32 s2, s3
	s_cbranch_execz .LBB987_37
; %bb.36:
	s_wait_dscnt 0x0
	v_bcnt_u32_b32 v3, v3, v39
	ds_store_b32 v44, v3 offset:64
.LBB987_37:
	s_or_b32 exec_lo, exec_lo, s2
	v_lshrrev_b32_e32 v3, s20, v24
	; wave barrier
	s_delay_alu instid0(VALU_DEP_1) | instskip(SKIP_1) | instid1(VALU_DEP_2)
	v_and_b32_e32 v4, s6, v3
	v_bitop3_b32 v3, v3, 1, s6 bitop3:0x80
	v_dual_lshlrev_b32 v6, 30, v4 :: v_dual_lshlrev_b32 v8, 29, v4
	s_delay_alu instid0(VALU_DEP_2) | instskip(NEXT) | instid1(VALU_DEP_1)
	v_add_co_u32 v3, s2, v3, -1
	v_cndmask_b32_e64 v5, 0, 1, s2
	s_delay_alu instid0(VALU_DEP_3) | instskip(NEXT) | instid1(VALU_DEP_4)
	v_cmp_gt_i32_e64 s2, 0, v6
	v_cmp_gt_i32_e64 s3, 0, v8
	s_delay_alu instid0(VALU_DEP_3) | instskip(SKIP_2) | instid1(VALU_DEP_2)
	v_cmp_ne_u32_e32 vcc_lo, 0, v5
	v_not_b32_e32 v5, v6
	v_not_b32_e32 v6, v8
	v_dual_ashrrev_i32 v5, 31, v5 :: v_dual_bitop2_b32 v3, vcc_lo, v3 bitop3:0x14
	s_delay_alu instid0(VALU_DEP_2) | instskip(SKIP_3) | instid1(VALU_DEP_4)
	v_dual_ashrrev_i32 v6, 31, v6 :: v_dual_lshlrev_b32 v9, 28, v4
	v_lshlrev_b32_e32 v10, 27, v4
	v_mad_u32 v47, 0x44, v4, v2
	v_dual_lshlrev_b32 v11, 26, v4 :: v_dual_lshlrev_b32 v42, 25, v4
	v_not_b32_e32 v8, v9
	v_lshlrev_b32_e32 v4, 24, v4
	v_cmp_gt_i32_e64 s4, 0, v9
	v_xor_b32_e32 v5, s2, v5
	v_not_b32_e32 v9, v10
	v_ashrrev_i32_e32 v8, 31, v8
	v_not_b32_e32 v43, v11
	v_xor_b32_e32 v6, s3, v6
	v_bitop3_b32 v3, v3, v5, exec_lo bitop3:0x80
	v_cmp_gt_i32_e32 vcc_lo, 0, v10
	v_dual_ashrrev_i32 v5, 31, v9 :: v_dual_bitop2_b32 v8, s4, v8 bitop3:0x14
	v_cmp_gt_i32_e64 s2, 0, v11
	v_ashrrev_i32_e32 v9, 31, v43
	s_delay_alu instid0(VALU_DEP_3)
	v_bitop3_b32 v3, v3, v8, v6 bitop3:0x80
	v_not_b32_e32 v6, v42
	v_not_b32_e32 v8, v4
	v_xor_b32_e32 v5, vcc_lo, v5
	v_xor_b32_e32 v9, s2, v9
	v_cmp_gt_i32_e32 vcc_lo, 0, v42
	v_ashrrev_i32_e32 v6, 31, v6
	v_cmp_gt_i32_e64 s2, 0, v4
	v_ashrrev_i32_e32 v4, 31, v8
	v_bitop3_b32 v3, v3, v9, v5 bitop3:0x80
	ds_load_b32 v42, v47 offset:64
	v_xor_b32_e32 v5, vcc_lo, v6
	v_xor_b32_e32 v4, s2, v4
	; wave barrier
	s_delay_alu instid0(VALU_DEP_1) | instskip(NEXT) | instid1(VALU_DEP_1)
	v_bitop3_b32 v3, v3, v4, v5 bitop3:0x80
	v_mbcnt_lo_u32_b32 v43, v3, 0
	v_cmp_ne_u32_e64 s2, 0, v3
	s_delay_alu instid0(VALU_DEP_2) | instskip(SKIP_1) | instid1(SALU_CYCLE_1)
	v_cmp_eq_u32_e32 vcc_lo, 0, v43
	s_and_b32 s3, s2, vcc_lo
	s_and_saveexec_b32 s2, s3
	s_cbranch_execz .LBB987_39
; %bb.38:
	s_wait_dscnt 0x0
	v_bcnt_u32_b32 v3, v3, v42
	ds_store_b32 v47, v3 offset:64
.LBB987_39:
	s_or_b32 exec_lo, exec_lo, s2
	v_lshrrev_b32_e32 v3, s20, v23
	; wave barrier
	s_delay_alu instid0(VALU_DEP_1) | instskip(NEXT) | instid1(VALU_DEP_1)
	v_and_b32_e32 v4, s6, v3
	v_lshlrev_b32_e32 v6, 30, v4
	v_bitop3_b32 v3, v3, 1, s6 bitop3:0x80
	s_delay_alu instid0(VALU_DEP_1) | instskip(NEXT) | instid1(VALU_DEP_1)
	v_add_co_u32 v3, s2, v3, -1
	v_cndmask_b32_e64 v5, 0, 1, s2
	s_delay_alu instid0(VALU_DEP_4) | instskip(NEXT) | instid1(VALU_DEP_2)
	v_cmp_gt_i32_e64 s2, 0, v6
	v_cmp_ne_u32_e32 vcc_lo, 0, v5
	v_not_b32_e32 v5, v6
	s_delay_alu instid0(VALU_DEP_1) | instskip(SKIP_3) | instid1(VALU_DEP_4)
	v_dual_ashrrev_i32 v5, 31, v5 :: v_dual_lshlrev_b32 v8, 29, v4
	v_dual_lshlrev_b32 v9, 28, v4 :: v_dual_lshlrev_b32 v10, 27, v4
	v_lshlrev_b32_e32 v11, 26, v4
	v_mad_u32 v50, 0x44, v4, v2
	v_cmp_gt_i32_e64 s3, 0, v8
	v_not_b32_e32 v6, v8
	v_not_b32_e32 v8, v9
	v_cmp_gt_i32_e64 s4, 0, v9
	v_xor_b32_e32 v3, vcc_lo, v3
	s_delay_alu instid0(VALU_DEP_4) | instskip(NEXT) | instid1(VALU_DEP_4)
	v_dual_ashrrev_i32 v6, 31, v6 :: v_dual_bitop2_b32 v5, s2, v5 bitop3:0x14
	v_ashrrev_i32_e32 v8, 31, v8
	v_dual_lshlrev_b32 v45, 25, v4 :: v_dual_lshlrev_b32 v4, 24, v4
	v_not_b32_e32 v9, v10
	v_not_b32_e32 v46, v11
	v_xor_b32_e32 v6, s3, v6
	v_xor_b32_e32 v8, s4, v8
	v_bitop3_b32 v3, v3, v5, exec_lo bitop3:0x80
	v_cmp_gt_i32_e32 vcc_lo, 0, v10
	v_ashrrev_i32_e32 v5, 31, v9
	v_cmp_gt_i32_e64 s2, 0, v11
	v_ashrrev_i32_e32 v9, 31, v46
	v_bitop3_b32 v3, v3, v8, v6 bitop3:0x80
	v_not_b32_e32 v6, v45
	v_not_b32_e32 v8, v4
	v_xor_b32_e32 v5, vcc_lo, v5
	v_xor_b32_e32 v9, s2, v9
	v_cmp_gt_i32_e32 vcc_lo, 0, v45
	v_ashrrev_i32_e32 v6, 31, v6
	v_cmp_gt_i32_e64 s2, 0, v4
	v_ashrrev_i32_e32 v4, 31, v8
	v_bitop3_b32 v3, v3, v9, v5 bitop3:0x80
	ds_load_b32 v45, v50 offset:64
	v_xor_b32_e32 v5, vcc_lo, v6
	v_xor_b32_e32 v4, s2, v4
	; wave barrier
	s_delay_alu instid0(VALU_DEP_1) | instskip(NEXT) | instid1(VALU_DEP_1)
	v_bitop3_b32 v3, v3, v4, v5 bitop3:0x80
	v_mbcnt_lo_u32_b32 v46, v3, 0
	v_cmp_ne_u32_e64 s2, 0, v3
	s_delay_alu instid0(VALU_DEP_2) | instskip(SKIP_1) | instid1(SALU_CYCLE_1)
	v_cmp_eq_u32_e32 vcc_lo, 0, v46
	s_and_b32 s3, s2, vcc_lo
	s_and_saveexec_b32 s2, s3
	s_cbranch_execz .LBB987_41
; %bb.40:
	s_wait_dscnt 0x0
	v_bcnt_u32_b32 v3, v3, v45
	ds_store_b32 v50, v3 offset:64
.LBB987_41:
	s_or_b32 exec_lo, exec_lo, s2
	v_lshrrev_b32_e32 v3, s20, v26
	; wave barrier
	s_delay_alu instid0(VALU_DEP_1) | instskip(NEXT) | instid1(VALU_DEP_1)
	v_and_b32_e32 v4, s6, v3
	v_lshlrev_b32_e32 v6, 30, v4
	v_bitop3_b32 v3, v3, 1, s6 bitop3:0x80
	s_delay_alu instid0(VALU_DEP_1) | instskip(NEXT) | instid1(VALU_DEP_1)
	v_add_co_u32 v3, s2, v3, -1
	v_cndmask_b32_e64 v5, 0, 1, s2
	s_delay_alu instid0(VALU_DEP_4) | instskip(NEXT) | instid1(VALU_DEP_2)
	v_cmp_gt_i32_e64 s2, 0, v6
	v_cmp_ne_u32_e32 vcc_lo, 0, v5
	v_not_b32_e32 v5, v6
	s_delay_alu instid0(VALU_DEP_1) | instskip(SKIP_3) | instid1(VALU_DEP_4)
	v_dual_ashrrev_i32 v5, 31, v5 :: v_dual_lshlrev_b32 v8, 29, v4
	v_dual_lshlrev_b32 v9, 28, v4 :: v_dual_lshlrev_b32 v10, 27, v4
	v_lshlrev_b32_e32 v11, 26, v4
	v_mad_u32 v52, 0x44, v4, v2
	v_cmp_gt_i32_e64 s3, 0, v8
	v_not_b32_e32 v6, v8
	v_not_b32_e32 v8, v9
	v_cmp_gt_i32_e64 s4, 0, v9
	v_xor_b32_e32 v3, vcc_lo, v3
	s_delay_alu instid0(VALU_DEP_4) | instskip(NEXT) | instid1(VALU_DEP_4)
	v_dual_ashrrev_i32 v6, 31, v6 :: v_dual_bitop2_b32 v5, s2, v5 bitop3:0x14
	v_ashrrev_i32_e32 v8, 31, v8
	v_dual_lshlrev_b32 v48, 25, v4 :: v_dual_lshlrev_b32 v4, 24, v4
	v_not_b32_e32 v9, v10
	v_not_b32_e32 v49, v11
	v_xor_b32_e32 v6, s3, v6
	v_xor_b32_e32 v8, s4, v8
	v_bitop3_b32 v3, v3, v5, exec_lo bitop3:0x80
	v_cmp_gt_i32_e32 vcc_lo, 0, v10
	v_ashrrev_i32_e32 v5, 31, v9
	v_cmp_gt_i32_e64 s2, 0, v11
	v_ashrrev_i32_e32 v9, 31, v49
	v_bitop3_b32 v3, v3, v8, v6 bitop3:0x80
	v_not_b32_e32 v6, v48
	v_not_b32_e32 v8, v4
	v_xor_b32_e32 v5, vcc_lo, v5
	v_xor_b32_e32 v9, s2, v9
	v_cmp_gt_i32_e32 vcc_lo, 0, v48
	v_ashrrev_i32_e32 v6, 31, v6
	v_cmp_gt_i32_e64 s2, 0, v4
	v_ashrrev_i32_e32 v4, 31, v8
	v_bitop3_b32 v3, v3, v9, v5 bitop3:0x80
	ds_load_b32 v48, v52 offset:64
	v_xor_b32_e32 v5, vcc_lo, v6
	v_xor_b32_e32 v4, s2, v4
	; wave barrier
	s_delay_alu instid0(VALU_DEP_1) | instskip(NEXT) | instid1(VALU_DEP_1)
	v_bitop3_b32 v3, v3, v4, v5 bitop3:0x80
	v_mbcnt_lo_u32_b32 v49, v3, 0
	v_cmp_ne_u32_e64 s2, 0, v3
	s_delay_alu instid0(VALU_DEP_2) | instskip(SKIP_1) | instid1(SALU_CYCLE_1)
	v_cmp_eq_u32_e32 vcc_lo, 0, v49
	s_and_b32 s3, s2, vcc_lo
	s_and_saveexec_b32 s2, s3
	s_cbranch_execz .LBB987_43
; %bb.42:
	s_wait_dscnt 0x0
	v_bcnt_u32_b32 v3, v3, v48
	ds_store_b32 v52, v3 offset:64
.LBB987_43:
	s_or_b32 exec_lo, exec_lo, s2
	v_lshrrev_b32_e32 v3, s20, v25
	; wave barrier
	s_delay_alu instid0(VALU_DEP_1) | instskip(NEXT) | instid1(VALU_DEP_1)
	v_and_b32_e32 v4, s6, v3
	v_lshlrev_b32_e32 v6, 30, v4
	v_bitop3_b32 v3, v3, 1, s6 bitop3:0x80
	s_delay_alu instid0(VALU_DEP_1) | instskip(NEXT) | instid1(VALU_DEP_1)
	v_add_co_u32 v3, s2, v3, -1
	v_cndmask_b32_e64 v5, 0, 1, s2
	s_delay_alu instid0(VALU_DEP_4) | instskip(NEXT) | instid1(VALU_DEP_2)
	v_cmp_gt_i32_e64 s2, 0, v6
	v_cmp_ne_u32_e32 vcc_lo, 0, v5
	v_not_b32_e32 v5, v6
	s_delay_alu instid0(VALU_DEP_1) | instskip(SKIP_3) | instid1(VALU_DEP_4)
	v_dual_ashrrev_i32 v5, 31, v5 :: v_dual_lshlrev_b32 v8, 29, v4
	v_dual_lshlrev_b32 v9, 28, v4 :: v_dual_lshlrev_b32 v10, 27, v4
	v_lshlrev_b32_e32 v11, 26, v4
	v_mad_u32 v55, 0x44, v4, v2
	v_cmp_gt_i32_e64 s3, 0, v8
	v_not_b32_e32 v6, v8
	v_not_b32_e32 v8, v9
	v_cmp_gt_i32_e64 s4, 0, v9
	v_xor_b32_e32 v3, vcc_lo, v3
	s_delay_alu instid0(VALU_DEP_4) | instskip(NEXT) | instid1(VALU_DEP_4)
	v_dual_ashrrev_i32 v6, 31, v6 :: v_dual_bitop2_b32 v5, s2, v5 bitop3:0x14
	v_ashrrev_i32_e32 v8, 31, v8
	v_dual_lshlrev_b32 v51, 25, v4 :: v_dual_lshlrev_b32 v4, 24, v4
	v_not_b32_e32 v9, v10
	v_not_b32_e32 v53, v11
	v_xor_b32_e32 v6, s3, v6
	v_xor_b32_e32 v8, s4, v8
	v_bitop3_b32 v3, v3, v5, exec_lo bitop3:0x80
	v_cmp_gt_i32_e32 vcc_lo, 0, v10
	v_ashrrev_i32_e32 v5, 31, v9
	v_cmp_gt_i32_e64 s2, 0, v11
	v_ashrrev_i32_e32 v9, 31, v53
	v_bitop3_b32 v3, v3, v8, v6 bitop3:0x80
	v_not_b32_e32 v6, v51
	v_not_b32_e32 v8, v4
	v_xor_b32_e32 v5, vcc_lo, v5
	v_xor_b32_e32 v9, s2, v9
	v_cmp_gt_i32_e32 vcc_lo, 0, v51
	v_ashrrev_i32_e32 v6, 31, v6
	v_cmp_gt_i32_e64 s2, 0, v4
	v_ashrrev_i32_e32 v4, 31, v8
	v_bitop3_b32 v3, v3, v9, v5 bitop3:0x80
	ds_load_b32 v51, v55 offset:64
	v_xor_b32_e32 v5, vcc_lo, v6
	v_xor_b32_e32 v4, s2, v4
	; wave barrier
	s_delay_alu instid0(VALU_DEP_1) | instskip(NEXT) | instid1(VALU_DEP_1)
	v_bitop3_b32 v3, v3, v4, v5 bitop3:0x80
	v_mbcnt_lo_u32_b32 v53, v3, 0
	v_cmp_ne_u32_e64 s2, 0, v3
	s_delay_alu instid0(VALU_DEP_2) | instskip(SKIP_1) | instid1(SALU_CYCLE_1)
	v_cmp_eq_u32_e32 vcc_lo, 0, v53
	s_and_b32 s3, s2, vcc_lo
	s_and_saveexec_b32 s2, s3
	s_cbranch_execz .LBB987_45
; %bb.44:
	s_wait_dscnt 0x0
	v_bcnt_u32_b32 v3, v3, v51
	ds_store_b32 v55, v3 offset:64
.LBB987_45:
	s_or_b32 exec_lo, exec_lo, s2
	v_lshrrev_b32_e32 v3, s20, v29
	; wave barrier
	s_delay_alu instid0(VALU_DEP_1) | instskip(NEXT) | instid1(VALU_DEP_1)
	v_and_b32_e32 v4, s6, v3
	v_lshlrev_b32_e32 v6, 30, v4
	v_bitop3_b32 v3, v3, 1, s6 bitop3:0x80
	s_delay_alu instid0(VALU_DEP_1) | instskip(NEXT) | instid1(VALU_DEP_1)
	v_add_co_u32 v3, s2, v3, -1
	v_cndmask_b32_e64 v5, 0, 1, s2
	s_delay_alu instid0(VALU_DEP_4) | instskip(NEXT) | instid1(VALU_DEP_2)
	v_cmp_gt_i32_e64 s2, 0, v6
	v_cmp_ne_u32_e32 vcc_lo, 0, v5
	v_not_b32_e32 v5, v6
	s_delay_alu instid0(VALU_DEP_1) | instskip(SKIP_3) | instid1(VALU_DEP_4)
	v_dual_ashrrev_i32 v5, 31, v5 :: v_dual_lshlrev_b32 v8, 29, v4
	v_dual_lshlrev_b32 v9, 28, v4 :: v_dual_lshlrev_b32 v10, 27, v4
	v_lshlrev_b32_e32 v11, 26, v4
	v_mad_u32 v57, 0x44, v4, v2
	v_cmp_gt_i32_e64 s3, 0, v8
	v_not_b32_e32 v6, v8
	v_not_b32_e32 v8, v9
	v_cmp_gt_i32_e64 s4, 0, v9
	v_xor_b32_e32 v3, vcc_lo, v3
	s_delay_alu instid0(VALU_DEP_4) | instskip(NEXT) | instid1(VALU_DEP_4)
	v_dual_ashrrev_i32 v6, 31, v6 :: v_dual_bitop2_b32 v5, s2, v5 bitop3:0x14
	v_ashrrev_i32_e32 v8, 31, v8
	v_dual_lshlrev_b32 v54, 25, v4 :: v_dual_lshlrev_b32 v4, 24, v4
	v_not_b32_e32 v9, v10
	v_not_b32_e32 v56, v11
	v_xor_b32_e32 v6, s3, v6
	v_xor_b32_e32 v8, s4, v8
	v_bitop3_b32 v3, v3, v5, exec_lo bitop3:0x80
	v_cmp_gt_i32_e32 vcc_lo, 0, v10
	v_ashrrev_i32_e32 v5, 31, v9
	v_cmp_gt_i32_e64 s2, 0, v11
	v_ashrrev_i32_e32 v9, 31, v56
	v_bitop3_b32 v3, v3, v8, v6 bitop3:0x80
	v_not_b32_e32 v6, v54
	v_not_b32_e32 v8, v4
	v_xor_b32_e32 v5, vcc_lo, v5
	v_xor_b32_e32 v9, s2, v9
	v_cmp_gt_i32_e32 vcc_lo, 0, v54
	v_ashrrev_i32_e32 v6, 31, v6
	v_cmp_gt_i32_e64 s2, 0, v4
	v_ashrrev_i32_e32 v4, 31, v8
	v_bitop3_b32 v3, v3, v9, v5 bitop3:0x80
	ds_load_b32 v54, v57 offset:64
	v_xor_b32_e32 v5, vcc_lo, v6
	v_xor_b32_e32 v4, s2, v4
	; wave barrier
	s_delay_alu instid0(VALU_DEP_1) | instskip(NEXT) | instid1(VALU_DEP_1)
	v_bitop3_b32 v3, v3, v4, v5 bitop3:0x80
	v_mbcnt_lo_u32_b32 v56, v3, 0
	v_cmp_ne_u32_e64 s2, 0, v3
	s_delay_alu instid0(VALU_DEP_2) | instskip(SKIP_1) | instid1(SALU_CYCLE_1)
	v_cmp_eq_u32_e32 vcc_lo, 0, v56
	s_and_b32 s3, s2, vcc_lo
	s_and_saveexec_b32 s2, s3
	s_cbranch_execz .LBB987_47
; %bb.46:
	s_wait_dscnt 0x0
	v_bcnt_u32_b32 v3, v3, v54
	ds_store_b32 v57, v3 offset:64
.LBB987_47:
	s_or_b32 exec_lo, exec_lo, s2
	v_lshrrev_b32_e32 v3, s20, v28
	; wave barrier
	s_delay_alu instid0(VALU_DEP_1) | instskip(SKIP_1) | instid1(VALU_DEP_2)
	v_and_b32_e32 v4, s6, v3
	v_bitop3_b32 v3, v3, 1, s6 bitop3:0x80
	v_mad_u32 v60, 0x44, v4, v2
	s_delay_alu instid0(VALU_DEP_2) | instskip(NEXT) | instid1(VALU_DEP_1)
	v_add_co_u32 v2, s2, v3, -1
	v_cndmask_b32_e64 v3, 0, 1, s2
	v_lshlrev_b32_e32 v5, 30, v4
	s_delay_alu instid0(VALU_DEP_2) | instskip(NEXT) | instid1(VALU_DEP_2)
	v_cmp_ne_u32_e32 vcc_lo, 0, v3
	v_not_b32_e32 v3, v5
	s_delay_alu instid0(VALU_DEP_1) | instskip(SKIP_4) | instid1(VALU_DEP_4)
	v_dual_ashrrev_i32 v3, 31, v3 :: v_dual_bitop2_b32 v2, vcc_lo, v2 bitop3:0x14
	v_dual_lshlrev_b32 v6, 29, v4 :: v_dual_lshlrev_b32 v8, 28, v4
	v_lshlrev_b32_e32 v9, 27, v4
	v_cmp_gt_i32_e64 s2, 0, v5
	v_dual_lshlrev_b32 v10, 26, v4 :: v_dual_lshlrev_b32 v11, 25, v4
	v_cmp_gt_i32_e64 s3, 0, v6
	v_not_b32_e32 v5, v6
	v_not_b32_e32 v6, v8
	v_lshlrev_b32_e32 v4, 24, v4
	v_cmp_gt_i32_e64 s4, 0, v8
	s_delay_alu instid0(VALU_DEP_4) | instskip(NEXT) | instid1(VALU_DEP_4)
	v_dual_ashrrev_i32 v5, 31, v5 :: v_dual_bitop2_b32 v3, s2, v3 bitop3:0x14
	v_ashrrev_i32_e32 v6, 31, v6
	v_not_b32_e32 v8, v9
	v_not_b32_e32 v58, v10
	s_delay_alu instid0(VALU_DEP_4)
	v_bitop3_b32 v2, v2, v3, exec_lo bitop3:0x80
	v_xor_b32_e32 v5, s3, v5
	v_xor_b32_e32 v6, s4, v6
	v_cmp_gt_i32_e32 vcc_lo, 0, v9
	v_ashrrev_i32_e32 v3, 31, v8
	v_cmp_gt_i32_e64 s2, 0, v10
	v_ashrrev_i32_e32 v8, 31, v58
	v_bitop3_b32 v2, v2, v6, v5 bitop3:0x80
	v_not_b32_e32 v5, v11
	v_not_b32_e32 v6, v4
	v_xor_b32_e32 v3, vcc_lo, v3
	v_xor_b32_e32 v8, s2, v8
	v_cmp_gt_i32_e32 vcc_lo, 0, v11
	v_ashrrev_i32_e32 v5, 31, v5
	v_cmp_gt_i32_e64 s2, 0, v4
	v_ashrrev_i32_e32 v4, 31, v6
	v_bitop3_b32 v2, v2, v8, v3 bitop3:0x80
	ds_load_b32 v58, v60 offset:64
	v_xor_b32_e32 v3, vcc_lo, v5
	v_xor_b32_e32 v4, s2, v4
	; wave barrier
	s_delay_alu instid0(VALU_DEP_1) | instskip(NEXT) | instid1(VALU_DEP_1)
	v_bitop3_b32 v2, v2, v4, v3 bitop3:0x80
	v_mbcnt_lo_u32_b32 v59, v2, 0
	v_cmp_ne_u32_e64 s2, 0, v2
	s_delay_alu instid0(VALU_DEP_2) | instskip(SKIP_1) | instid1(SALU_CYCLE_1)
	v_cmp_eq_u32_e32 vcc_lo, 0, v59
	s_and_b32 s3, s2, vcc_lo
	s_and_saveexec_b32 s2, s3
	s_cbranch_execz .LBB987_49
; %bb.48:
	s_wait_dscnt 0x0
	v_bcnt_u32_b32 v2, v2, v58
	ds_store_b32 v60, v2 offset:64
.LBB987_49:
	s_or_b32 exec_lo, exec_lo, s2
	; wave barrier
	s_wait_dscnt 0x0
	s_barrier_signal -1
	s_barrier_wait -1
	ds_load_2addr_b32 v[10:11], v12 offset0:16 offset1:17
	ds_load_2addr_b32 v[8:9], v12 offset0:18 offset1:19
	;; [unrolled: 1-line block ×4, first 2 shown]
	ds_load_b32 v6, v12 offset:96
	v_min_u32_e32 v63, 0x1e0, v17
	s_mov_b32 s7, exec_lo
	s_wait_dscnt 0x3
	v_add3_u32 v61, v11, v10, v8
	s_wait_dscnt 0x2
	s_delay_alu instid0(VALU_DEP_1) | instskip(SKIP_1) | instid1(VALU_DEP_1)
	v_add3_u32 v61, v61, v9, v4
	s_wait_dscnt 0x1
	v_add3_u32 v61, v61, v5, v2
	s_wait_dscnt 0x0
	s_delay_alu instid0(VALU_DEP_1) | instskip(SKIP_1) | instid1(VALU_DEP_2)
	v_add3_u32 v6, v61, v3, v6
	v_and_b32_e32 v61, 15, v16
	v_mov_b32_dpp v62, v6 row_shr:1 row_mask:0xf bank_mask:0xf
	s_delay_alu instid0(VALU_DEP_2) | instskip(NEXT) | instid1(VALU_DEP_2)
	v_cmp_eq_u32_e32 vcc_lo, 0, v61
	v_cndmask_b32_e64 v62, v62, 0, vcc_lo
	s_delay_alu instid0(VALU_DEP_1) | instskip(SKIP_3) | instid1(VALU_DEP_4)
	v_add_nc_u32_e32 v6, v62, v6
	v_cmp_lt_u32_e64 s2, 1, v61
	v_cmp_lt_u32_e64 s3, 3, v61
	;; [unrolled: 1-line block ×3, first 2 shown]
	v_mov_b32_dpp v62, v6 row_shr:2 row_mask:0xf bank_mask:0xf
	s_delay_alu instid0(VALU_DEP_1) | instskip(NEXT) | instid1(VALU_DEP_1)
	v_cndmask_b32_e64 v62, 0, v62, s2
	v_add_nc_u32_e32 v6, v6, v62
	s_delay_alu instid0(VALU_DEP_1) | instskip(NEXT) | instid1(VALU_DEP_1)
	v_mov_b32_dpp v62, v6 row_shr:4 row_mask:0xf bank_mask:0xf
	v_cndmask_b32_e64 v62, 0, v62, s3
	s_delay_alu instid0(VALU_DEP_1) | instskip(NEXT) | instid1(VALU_DEP_1)
	v_add_nc_u32_e32 v6, v6, v62
	v_mov_b32_dpp v62, v6 row_shr:8 row_mask:0xf bank_mask:0xf
	s_delay_alu instid0(VALU_DEP_1) | instskip(SKIP_1) | instid1(VALU_DEP_2)
	v_cndmask_b32_e64 v61, 0, v62, s4
	v_bfe_i32 v62, v16, 4, 1
	v_add_nc_u32_e32 v6, v6, v61
	ds_swizzle_b32 v61, v6 offset:swizzle(BROADCAST,32,15)
	s_wait_dscnt 0x0
	v_dual_lshrrev_b32 v62, 5, v27 :: v_dual_bitop2_b32 v61, v62, v61 bitop3:0x40
	s_delay_alu instid0(VALU_DEP_1) | instskip(NEXT) | instid1(VALU_DEP_1)
	v_dual_add_nc_u32 v61, v6, v61 :: v_dual_bitop2_b32 v63, 31, v63 bitop3:0x54
	v_cmpx_eq_u32_e64 v27, v63
; %bb.50:
	s_delay_alu instid0(VALU_DEP_3)
	v_lshlrev_b32_e32 v6, 2, v62
	ds_store_b32 v6, v61
; %bb.51:
	s_or_b32 exec_lo, exec_lo, s7
	v_lshlrev_b32_e32 v6, 2, v27
	s_mov_b32 s7, exec_lo
	s_wait_dscnt 0x0
	s_barrier_signal -1
	s_barrier_wait -1
	v_cmpx_gt_u32_e32 16, v27
	s_cbranch_execz .LBB987_53
; %bb.52:
	ds_load_b32 v63, v6
	s_wait_dscnt 0x0
	v_mov_b32_dpp v64, v63 row_shr:1 row_mask:0xf bank_mask:0xf
	s_delay_alu instid0(VALU_DEP_1) | instskip(NEXT) | instid1(VALU_DEP_1)
	v_cndmask_b32_e64 v64, v64, 0, vcc_lo
	v_add_nc_u32_e32 v63, v64, v63
	s_delay_alu instid0(VALU_DEP_1) | instskip(NEXT) | instid1(VALU_DEP_1)
	v_mov_b32_dpp v64, v63 row_shr:2 row_mask:0xf bank_mask:0xf
	v_cndmask_b32_e64 v64, 0, v64, s2
	s_delay_alu instid0(VALU_DEP_1) | instskip(NEXT) | instid1(VALU_DEP_1)
	v_add_nc_u32_e32 v63, v63, v64
	v_mov_b32_dpp v64, v63 row_shr:4 row_mask:0xf bank_mask:0xf
	s_delay_alu instid0(VALU_DEP_1) | instskip(NEXT) | instid1(VALU_DEP_1)
	v_cndmask_b32_e64 v64, 0, v64, s3
	v_add_nc_u32_e32 v63, v63, v64
	s_delay_alu instid0(VALU_DEP_1) | instskip(NEXT) | instid1(VALU_DEP_1)
	v_mov_b32_dpp v64, v63 row_shr:8 row_mask:0xf bank_mask:0xf
	v_cndmask_b32_e64 v64, 0, v64, s4
	s_delay_alu instid0(VALU_DEP_1)
	v_add_nc_u32_e32 v63, v63, v64
	ds_store_b32 v6, v63
.LBB987_53:
	s_or_b32 exec_lo, exec_lo, s7
	v_mov_b32_e32 v63, 0
	s_mov_b32 s2, exec_lo
	s_wait_dscnt 0x0
	s_barrier_signal -1
	s_barrier_wait -1
	v_cmpx_lt_u32_e32 31, v27
; %bb.54:
	v_lshl_add_u32 v62, v62, 2, -4
	ds_load_b32 v63, v62
; %bb.55:
	s_or_b32 exec_lo, exec_lo, s2
	v_sub_co_u32 v62, vcc_lo, v16, 1
	s_wait_dscnt 0x0
	v_add_nc_u32_e32 v61, v63, v61
	s_delay_alu instid0(VALU_DEP_2) | instskip(NEXT) | instid1(VALU_DEP_1)
	v_cmp_gt_i32_e64 s2, 0, v62
	v_cndmask_b32_e64 v62, v62, v16, s2
	v_cmp_lt_u32_e64 s2, 0xff, v27
	s_delay_alu instid0(VALU_DEP_2) | instskip(SKIP_4) | instid1(VALU_DEP_2)
	v_lshlrev_b32_e32 v62, 2, v62
	ds_bpermute_b32 v61, v62, v61
	s_wait_dscnt 0x0
	v_cndmask_b32_e32 v61, v61, v63, vcc_lo
	v_cmp_ne_u32_e32 vcc_lo, 0, v27
	v_cndmask_b32_e32 v61, 0, v61, vcc_lo
	v_cmp_gt_u32_e32 vcc_lo, 0x100, v27
	s_delay_alu instid0(VALU_DEP_2) | instskip(NEXT) | instid1(VALU_DEP_1)
	v_add_nc_u32_e32 v10, v61, v10
	v_add_nc_u32_e32 v11, v10, v11
	s_delay_alu instid0(VALU_DEP_1) | instskip(NEXT) | instid1(VALU_DEP_1)
	v_add_nc_u32_e32 v8, v11, v8
	v_add_nc_u32_e32 v9, v8, v9
	s_delay_alu instid0(VALU_DEP_1) | instskip(NEXT) | instid1(VALU_DEP_1)
	;; [unrolled: 3-line block ×3, first 2 shown]
	v_add_nc_u32_e32 v2, v5, v2
	v_add_nc_u32_e32 v3, v2, v3
	ds_store_2addr_b32 v12, v61, v10 offset0:16 offset1:17
	ds_store_2addr_b32 v12, v11, v8 offset0:18 offset1:19
	;; [unrolled: 1-line block ×4, first 2 shown]
	ds_store_b32 v12, v3 offset:96
	s_wait_dscnt 0x0
	s_barrier_signal -1
	s_barrier_wait -1
	ds_load_b32 v63, v13 offset:64
	ds_load_b32 v61, v14 offset:64
	ds_load_b32 v62, v15 offset:64
	ds_load_b32 v38, v38 offset:64
	ds_load_b32 v41, v41 offset:64
	ds_load_b32 v44, v44 offset:64
	ds_load_b32 v47, v47 offset:64
	ds_load_b32 v50, v50 offset:64
	ds_load_b32 v52, v52 offset:64
	ds_load_b32 v55, v55 offset:64
	ds_load_b32 v57, v57 offset:64
	ds_load_b32 v60, v60 offset:64
	v_mov_b64_e32 v[2:3], 0
                                        ; implicit-def: $vgpr4
	s_and_saveexec_b32 s4, vcc_lo
	s_cbranch_execz .LBB987_59
; %bb.56:
	v_mul_u32_u24_e32 v2, 0x44, v27
	v_dual_mov_b32 v3, 0x1800 :: v_dual_add_nc_u32 v4, 1, v27
	s_mov_b32 s5, exec_lo
	ds_load_b32 v2, v2 offset:64
	v_cmpx_ne_u32_e32 0x100, v4
; %bb.57:
	v_mul_u32_u24_e32 v3, 0x44, v4
	ds_load_b32 v3, v3 offset:64
; %bb.58:
	s_or_b32 exec_lo, exec_lo, s5
	s_wait_dscnt 0x0
	v_dual_mov_b32 v3, 0 :: v_dual_sub_nc_u32 v4, v3, v2
.LBB987_59:
	s_or_b32 exec_lo, exec_lo, s4
	v_dual_mov_b32 v9, 0 :: v_dual_lshlrev_b32 v5, 3, v27
	s_wait_dscnt 0x0
	s_barrier_signal -1
	s_barrier_wait -1
	s_and_saveexec_b32 s3, vcc_lo
	s_cbranch_execz .LBB987_69
; %bb.60:
	v_lshl_add_u32 v8, s9, 8, v27
	v_dual_mov_b32 v12, 0 :: v_dual_bitop2_b32 v13, 2.0, v4 bitop3:0x54
	s_mov_b32 s4, 0
	s_mov_b32 s5, s9
	s_delay_alu instid0(VALU_DEP_2)
	v_lshl_add_u64 v[10:11], v[8:9], 2, s[10:11]
	global_store_b32 v8, v13, s[10:11] scale_offset scope:SCOPE_DEV
                                        ; implicit-def: $sgpr7
	s_branch .LBB987_63
.LBB987_61:                             ;   in Loop: Header=BB987_63 Depth=1
	s_or_b32 exec_lo, exec_lo, s8
.LBB987_62:                             ;   in Loop: Header=BB987_63 Depth=1
	s_delay_alu instid0(SALU_CYCLE_1) | instskip(SKIP_2) | instid1(VALU_DEP_2)
	s_or_b32 exec_lo, exec_lo, s7
	v_and_b32_e32 v8, 0x3fffffff, v13
	v_cmp_gt_i32_e64 s7, -2.0, v13
	v_add_nc_u32_e32 v12, v8, v12
	s_and_b32 s8, exec_lo, s7
	s_delay_alu instid0(SALU_CYCLE_1) | instskip(NEXT) | instid1(SALU_CYCLE_1)
	s_or_b32 s4, s8, s4
	s_and_not1_b32 exec_lo, exec_lo, s4
	s_cbranch_execz .LBB987_68
.LBB987_63:                             ; =>This Loop Header: Depth=1
                                        ;     Child Loop BB987_66 Depth 2
	s_or_b32 s7, s7, exec_lo
	s_cmp_eq_u32 s5, 0
	s_cbranch_scc1 .LBB987_67
; %bb.64:                               ;   in Loop: Header=BB987_63 Depth=1
	s_add_co_i32 s5, s5, -1
	s_mov_b32 s7, exec_lo
	s_wait_xcnt 0x0
	v_lshl_or_b32 v8, s5, 8, v27
	global_load_b32 v13, v8, s[10:11] scale_offset scope:SCOPE_DEV
	s_wait_loadcnt 0x0
	v_cmpx_gt_u32_e32 2.0, v13
	s_cbranch_execz .LBB987_62
; %bb.65:                               ;   in Loop: Header=BB987_63 Depth=1
	v_lshl_add_u64 v[14:15], v[8:9], 2, s[10:11]
	s_mov_b32 s8, 0
.LBB987_66:                             ;   Parent Loop BB987_63 Depth=1
                                        ; =>  This Inner Loop Header: Depth=2
	global_load_b32 v13, v[14:15], off scope:SCOPE_DEV
	s_wait_loadcnt 0x0
	v_cmp_lt_u32_e32 vcc_lo, 0x3fffffff, v13
	s_or_b32 s8, vcc_lo, s8
	s_wait_xcnt 0x0
	s_and_not1_b32 exec_lo, exec_lo, s8
	s_cbranch_execnz .LBB987_66
	s_branch .LBB987_61
.LBB987_67:                             ;   in Loop: Header=BB987_63 Depth=1
                                        ; implicit-def: $sgpr5
	s_and_b32 s8, exec_lo, s7
	s_delay_alu instid0(SALU_CYCLE_1)
	s_or_b32 s4, s8, s4
	s_wait_xcnt 0x0
	s_and_not1_b32 exec_lo, exec_lo, s4
	s_cbranch_execnz .LBB987_63
.LBB987_68:
	s_or_b32 exec_lo, exec_lo, s4
	v_dual_mov_b32 v13, 0 :: v_dual_add_nc_u32 v8, v12, v4
	s_delay_alu instid0(VALU_DEP_1) | instskip(SKIP_4) | instid1(VALU_DEP_1)
	v_or_b32_e32 v8, 0x80000000, v8
	global_store_b32 v[10:11], v8, off scope:SCOPE_DEV
	global_load_b64 v[8:9], v27, s[12:13] scale_offset
	v_sub_nc_u64_e32 v[10:11], v[12:13], v[2:3]
	s_wait_loadcnt 0x0
	v_add_nc_u64_e32 v[8:9], v[10:11], v[8:9]
	ds_store_b64 v5, v[8:9]
.LBB987_69:
	s_wait_xcnt 0x0
	s_or_b32 exec_lo, exec_lo, s3
	v_dual_add_nc_u32 v8, v63, v7 :: v_dual_sub_nc_u32 v63, 0, v6
	v_mov_b32_e32 v7, 0
	v_add3_u32 v32, v33, v62, v32
	v_add3_u32 v9, v59, v60, v58
	;; [unrolled: 1-line block ×3, first 2 shown]
	v_add_nc_u32_e32 v33, v5, v63
	v_add_nc_u64_e32 v[6:7], s[18:19], v[6:7]
	v_add3_u32 v11, v53, v55, v51
	v_add3_u32 v12, v49, v52, v48
	;; [unrolled: 1-line block ×6, first 2 shown]
	v_add_nc_u64_e32 v[6:7], 0x3800, v[6:7]
	v_add3_u32 v34, v35, v38, v34
	v_add3_u32 v30, v31, v61, v30
	v_add_nc_u32_e32 v31, 0xe00, v27
	s_mov_b32 s3, 0
	s_mov_b32 s4, -1
	s_branch .LBB987_71
.LBB987_70:                             ;   in Loop: Header=BB987_71 Depth=1
	s_wait_xcnt 0x0
	s_or_b32 exec_lo, exec_lo, s5
	v_add_nc_u64_e32 v[6:7], 0x4000, v[6:7]
	v_add_nc_u32_e32 v31, 0x1000, v31
	s_xor_b32 s4, s4, -1
	s_addk_co_i32 s3, 0xf000
	s_and_b32 vcc_lo, exec_lo, s4
	s_mov_b32 s4, 0
	s_wait_storecnt 0x0
	s_barrier_signal -1
	s_barrier_wait -1
	s_cbranch_vccnz .LBB987_87
.LBB987_71:                             ; =>This Inner Loop Header: Depth=1
	v_add_min_u32_e64 v35, v8, s3, 0x1000
	v_add_min_u32_e64 v37, v30, s3, 0x1000
	;; [unrolled: 1-line block ×5, first 2 shown]
	s_delay_alu instid0(VALU_DEP_4) | instskip(NEXT) | instid1(VALU_DEP_4)
	v_dual_lshlrev_b32 v35, 2, v35 :: v_dual_lshlrev_b32 v37, 2, v37
	v_lshlrev_b32_e32 v38, 2, v38
	v_add_min_u32_e64 v41, v15, s3, 0x1000
	s_mov_b32 s5, exec_lo
	ds_store_b32 v35, v18 offset:2048
	ds_store_b32 v37, v1 offset:2048
	v_add_min_u32_e64 v35, v14, s3, 0x1000
	v_lshlrev_b32_e32 v37, 2, v39
	ds_store_b32 v38, v20 offset:2048
	v_dual_lshlrev_b32 v38, 2, v40 :: v_dual_lshlrev_b32 v39, 2, v41
	v_add_min_u32_e64 v40, v13, s3, 0x1000
	v_lshlrev_b32_e32 v35, 2, v35
	ds_store_b32 v37, v19 offset:2048
	ds_store_b32 v38, v22 offset:2048
	;; [unrolled: 1-line block ×4, first 2 shown]
	v_add_min_u32_e64 v37, v12, s3, 0x1000
	v_add_min_u32_e64 v38, v11, s3, 0x1000
	;; [unrolled: 1-line block ×3, first 2 shown]
	v_lshlrev_b32_e32 v35, 2, v40
	v_add_min_u32_e64 v40, v9, s3, 0x1000
	ds_store_b32 v35, v23 offset:2048
	v_dual_lshlrev_b32 v35, 2, v37 :: v_dual_lshlrev_b32 v37, 2, v38
	v_dual_lshlrev_b32 v38, 2, v39 :: v_dual_lshlrev_b32 v39, 2, v40
	v_add_nc_u32_e32 v40, 0xfffff200, v31
	ds_store_b32 v35, v26 offset:2048
	ds_store_b32 v37, v25 offset:2048
	;; [unrolled: 1-line block ×4, first 2 shown]
	s_wait_storecnt_dscnt 0x0
	s_barrier_signal -1
	s_barrier_wait -1
	v_cmpx_gt_u32_e64 s22, v40
	s_cbranch_execz .LBB987_73
; %bb.72:                               ;   in Loop: Header=BB987_71 Depth=1
	ds_load_b32 v35, v33 offset:2048
	s_wait_dscnt 0x0
	v_lshrrev_b32_e32 v37, s20, v35
	v_xor_b32_e32 v35, 0x80000000, v35
	s_delay_alu instid0(VALU_DEP_2) | instskip(NEXT) | instid1(VALU_DEP_1)
	v_and_b32_e32 v37, s6, v37
	v_lshlrev_b32_e32 v37, 3, v37
	ds_load_b64 v[38:39], v37
	s_wait_dscnt 0x0
	v_lshl_add_u64 v[38:39], v[38:39], 2, v[6:7]
	global_store_b32 v[38:39], v35, off offset:-14336
.LBB987_73:                             ;   in Loop: Header=BB987_71 Depth=1
	s_wait_xcnt 0x0
	s_or_b32 exec_lo, exec_lo, s5
	v_add_nc_u32_e32 v35, 0xfffff400, v31
	s_mov_b32 s5, exec_lo
	s_delay_alu instid0(VALU_DEP_1)
	v_cmpx_gt_u32_e64 s22, v35
	s_cbranch_execz .LBB987_75
; %bb.74:                               ;   in Loop: Header=BB987_71 Depth=1
	ds_load_b32 v35, v33 offset:4096
	s_wait_dscnt 0x0
	v_lshrrev_b32_e32 v37, s20, v35
	v_xor_b32_e32 v35, 0x80000000, v35
	s_delay_alu instid0(VALU_DEP_2) | instskip(NEXT) | instid1(VALU_DEP_1)
	v_and_b32_e32 v37, s6, v37
	v_lshlrev_b32_e32 v37, 3, v37
	ds_load_b64 v[38:39], v37
	s_wait_dscnt 0x0
	v_lshl_add_u64 v[38:39], v[38:39], 2, v[6:7]
	global_store_b32 v[38:39], v35, off offset:-12288
.LBB987_75:                             ;   in Loop: Header=BB987_71 Depth=1
	s_wait_xcnt 0x0
	s_or_b32 exec_lo, exec_lo, s5
	v_add_nc_u32_e32 v35, 0xfffff600, v31
	s_mov_b32 s5, exec_lo
	s_delay_alu instid0(VALU_DEP_1)
	;; [unrolled: 20-line block ×6, first 2 shown]
	v_cmpx_gt_u32_e64 s22, v35
	s_cbranch_execz .LBB987_85
; %bb.84:                               ;   in Loop: Header=BB987_71 Depth=1
	ds_load_b32 v35, v33 offset:14336
	s_wait_dscnt 0x0
	v_lshrrev_b32_e32 v37, s20, v35
	v_xor_b32_e32 v35, 0x80000000, v35
	s_delay_alu instid0(VALU_DEP_2) | instskip(NEXT) | instid1(VALU_DEP_1)
	v_and_b32_e32 v37, s6, v37
	v_lshlrev_b32_e32 v37, 3, v37
	ds_load_b64 v[38:39], v37
	s_wait_dscnt 0x0
	v_lshl_add_u64 v[38:39], v[38:39], 2, v[6:7]
	global_store_b32 v[38:39], v35, off offset:-2048
.LBB987_85:                             ;   in Loop: Header=BB987_71 Depth=1
	s_wait_xcnt 0x0
	s_or_b32 exec_lo, exec_lo, s5
	s_delay_alu instid0(SALU_CYCLE_1)
	s_mov_b32 s5, exec_lo
	v_cmpx_gt_u32_e64 s22, v31
	s_cbranch_execz .LBB987_70
; %bb.86:                               ;   in Loop: Header=BB987_71 Depth=1
	ds_load_b32 v35, v33 offset:16384
	s_wait_dscnt 0x0
	v_lshrrev_b32_e32 v37, s20, v35
	v_xor_b32_e32 v35, 0x80000000, v35
	s_delay_alu instid0(VALU_DEP_2) | instskip(NEXT) | instid1(VALU_DEP_1)
	v_and_b32_e32 v37, s6, v37
	v_lshlrev_b32_e32 v37, 3, v37
	ds_load_b64 v[38:39], v37
	s_wait_dscnt 0x0
	v_lshl_add_u64 v[38:39], v[38:39], 2, v[6:7]
	global_store_b32 v[38:39], v35, off
	s_branch .LBB987_70
.LBB987_87:
	s_add_co_i32 s23, s23, -1
	s_delay_alu instid0(SALU_CYCLE_1) | instskip(SKIP_2) | instid1(SALU_CYCLE_1)
	s_cmp_eq_u32 s9, s23
	s_cselect_b32 s3, -1, 0
	s_xor_b32 s2, s2, -1
	s_and_b32 s3, s2, s3
	s_delay_alu instid0(SALU_CYCLE_1)
	s_and_saveexec_b32 s2, s3
	s_cbranch_execz .LBB987_89
; %bb.88:
	ds_load_b64 v[6:7], v5
	v_mov_b32_e32 v5, 0
	s_delay_alu instid0(VALU_DEP_1) | instskip(SKIP_1) | instid1(VALU_DEP_1)
	v_add_nc_u64_e32 v[2:3], v[2:3], v[4:5]
	s_wait_dscnt 0x0
	v_add_nc_u64_e32 v[2:3], v[2:3], v[6:7]
	global_store_b64 v27, v[2:3], s[14:15] scale_offset
.LBB987_89:
	s_wait_xcnt 0x0
	s_or_b32 exec_lo, exec_lo, s2
	s_mov_b32 s2, 0
.LBB987_90:
	s_delay_alu instid0(SALU_CYCLE_1)
	s_and_b32 vcc_lo, exec_lo, s2
	s_cbranch_vccz .LBB987_149
; %bb.91:
	s_mov_b32 s25, 0
	v_dual_mov_b32 v11, 0 :: v_dual_lshlrev_b32 v10, 2, v16
	s_lshl_b64 s[2:3], s[24:25], 2
	v_mul_u32_u24_e32 v1, 12, v17
	s_add_nc_u64 s[2:3], s[16:17], s[2:3]
	s_delay_alu instid0(VALU_DEP_2) | instid1(SALU_CYCLE_1)
	v_add_nc_u64_e32 v[2:3], s[2:3], v[10:11]
	s_delay_alu instid0(VALU_DEP_2) | instskip(NEXT) | instid1(VALU_DEP_1)
	v_lshlrev_b32_e32 v10, 2, v1
	v_add_nc_u64_e32 v[14:15], v[2:3], v[10:11]
	v_bfe_u32 v10, v0, 20, 10
	s_clause 0xb
	global_load_b32 v5, v[14:15], off
	global_load_b32 v12, v[14:15], off offset:128
	global_load_b32 v13, v[14:15], off offset:256
	;; [unrolled: 1-line block ×11, first 2 shown]
	s_clause 0x1
	s_load_b32 s7, s[0:1], 0x58
	s_load_u16 s2, s[0:1], 0x66
	v_and_b32_e32 v14, 0x3ff, v0
	s_wait_kmcnt 0x0
	s_cmp_lt_u32 s9, s7
	s_cselect_b32 s24, 12, 18
	s_lshl_b32 s8, -1, s21
	s_add_nc_u64 s[0:1], s[26:27], s[24:25]
	s_load_u16 s0, s[0:1], 0x0
	s_wait_loadcnt 0xb
	v_xor_b32_e32 v15, 0x80000000, v5
	v_bfe_u32 v5, v0, 10, 10
	s_delay_alu instid0(VALU_DEP_2) | instskip(NEXT) | instid1(VALU_DEP_2)
	v_lshrrev_b32_e32 v18, s20, v15
	v_mad_u32_u24 v0, v10, s2, v5
	s_delay_alu instid0(VALU_DEP_2) | instskip(SKIP_2) | instid1(VALU_DEP_3)
	v_bitop3_b32 v5, v18, 1, s8 bitop3:0x40
	v_bitop3_b32 v19, v18, s8, v18 bitop3:0x30
	s_wait_kmcnt 0x0
	v_mad_u32 v0, v0, s0, v14
	s_delay_alu instid0(VALU_DEP_3) | instskip(NEXT) | instid1(VALU_DEP_1)
	v_add_co_u32 v5, s0, v5, -1
	v_cndmask_b32_e64 v10, 0, 1, s0
	v_dual_lshlrev_b32 v18, 30, v19 :: v_dual_lshlrev_b32 v21, 29, v19
	v_dual_lshlrev_b32 v22, 28, v19 :: v_dual_lshlrev_b32 v23, 27, v19
	s_delay_alu instid0(VALU_DEP_3) | instskip(NEXT) | instid1(VALU_DEP_3)
	v_cmp_ne_u32_e32 vcc_lo, 0, v10
	v_not_b32_e32 v10, v18
	v_dual_lshlrev_b32 v24, 26, v19 :: v_dual_lshlrev_b32 v25, 25, v19
	v_lshlrev_b32_e32 v26, 24, v19
	v_cmp_gt_i32_e64 s0, 0, v18
	v_cmp_gt_i32_e64 s1, 0, v21
	v_not_b32_e32 v18, v21
	v_not_b32_e32 v21, v22
	v_ashrrev_i32_e32 v10, 31, v10
	v_cmp_gt_i32_e64 s2, 0, v22
	v_cmp_gt_i32_e64 s3, 0, v23
	v_not_b32_e32 v22, v23
	v_not_b32_e32 v23, v24
	v_dual_ashrrev_i32 v18, 31, v18 :: v_dual_bitop2_b32 v5, vcc_lo, v5 bitop3:0x14
	v_dual_ashrrev_i32 v21, 31, v21 :: v_dual_bitop2_b32 v10, s0, v10 bitop3:0x14
	v_cmp_gt_i32_e64 s4, 0, v24
	v_cmp_gt_i32_e64 s5, 0, v25
	v_not_b32_e32 v24, v25
	v_not_b32_e32 v25, v26
	v_dual_ashrrev_i32 v22, 31, v22 :: v_dual_ashrrev_i32 v23, 31, v23
	v_xor_b32_e32 v18, s1, v18
	v_dual_lshrrev_b32 v0, 5, v0 :: v_dual_bitop2_b32 v21, s2, v21 bitop3:0x14
	v_bitop3_b32 v5, v5, v10, exec_lo bitop3:0x80
	v_cmp_gt_i32_e64 s6, 0, v26
	v_dual_ashrrev_i32 v10, 31, v24 :: v_dual_ashrrev_i32 v24, 31, v25
	v_xor_b32_e32 v22, s3, v22
	v_dual_lshlrev_b32 v0, 2, v0 :: v_dual_bitop2_b32 v23, s4, v23 bitop3:0x14
	v_bitop3_b32 v5, v5, v21, v18 bitop3:0x80
	s_delay_alu instid0(VALU_DEP_4)
	v_xor_b32_e32 v18, s5, v10
	v_xor_b32_e32 v21, s6, v24
	v_mul_u32_u24_e32 v10, 36, v14
	ds_store_2addr_b32 v10, v11, v11 offset0:16 offset1:17
	ds_store_2addr_b32 v10, v11, v11 offset0:18 offset1:19
	;; [unrolled: 1-line block ×4, first 2 shown]
	v_bitop3_b32 v5, v5, v23, v22 bitop3:0x80
	ds_store_b32 v10, v11 offset:96
	v_mad_u32 v11, 0x44, v19, v0
	s_not_b32 s5, s8
	s_wait_storecnt 0x0
	s_wait_loadcnt_dscnt 0x0
	v_bitop3_b32 v18, v5, v21, v18 bitop3:0x80
	s_barrier_signal -1
	s_barrier_wait -1
	s_delay_alu instid0(VALU_DEP_1) | instskip(SKIP_1) | instid1(VALU_DEP_2)
	v_mbcnt_lo_u32_b32 v5, v18, 0
	v_cmp_ne_u32_e64 s0, 0, v18
	; wave barrier
	v_cmp_eq_u32_e32 vcc_lo, 0, v5
	s_and_b32 s1, s0, vcc_lo
	s_delay_alu instid0(SALU_CYCLE_1)
	s_and_saveexec_b32 s0, s1
; %bb.92:
	v_bcnt_u32_b32 v18, v18, 0
	ds_store_b32 v11, v18 offset:64
; %bb.93:
	s_or_b32 exec_lo, exec_lo, s0
	v_xor_b32_e32 v18, 0x80000000, v12
	; wave barrier
	s_delay_alu instid0(VALU_DEP_1) | instskip(NEXT) | instid1(VALU_DEP_1)
	v_lshrrev_b32_e32 v12, s20, v18
	v_and_b32_e32 v19, s5, v12
	s_delay_alu instid0(VALU_DEP_1) | instskip(SKIP_1) | instid1(VALU_DEP_1)
	v_lshlrev_b32_e32 v23, 30, v19
	v_bitop3_b32 v21, v12, 1, s5 bitop3:0x80
	v_add_co_u32 v21, s0, v21, -1
	s_delay_alu instid0(VALU_DEP_1) | instskip(NEXT) | instid1(VALU_DEP_4)
	v_cndmask_b32_e64 v22, 0, 1, s0
	v_cmp_gt_i32_e64 s0, 0, v23
	s_delay_alu instid0(VALU_DEP_2) | instskip(SKIP_1) | instid1(VALU_DEP_1)
	v_cmp_ne_u32_e32 vcc_lo, 0, v22
	v_not_b32_e32 v22, v23
	v_dual_ashrrev_i32 v22, 31, v22 :: v_dual_lshlrev_b32 v24, 29, v19
	v_dual_lshlrev_b32 v25, 28, v19 :: v_dual_lshlrev_b32 v26, 27, v19
	v_lshlrev_b32_e32 v27, 26, v19
	v_mad_u32 v12, 0x44, v19, v0
	s_delay_alu instid0(VALU_DEP_4)
	v_cmp_gt_i32_e64 s1, 0, v24
	v_not_b32_e32 v23, v24
	v_not_b32_e32 v24, v25
	v_dual_lshlrev_b32 v28, 25, v19 :: v_dual_lshlrev_b32 v19, 24, v19
	v_cmp_gt_i32_e64 s2, 0, v25
	v_cmp_gt_i32_e64 s3, 0, v26
	v_not_b32_e32 v25, v26
	v_not_b32_e32 v26, v27
	v_dual_ashrrev_i32 v23, 31, v23 :: v_dual_bitop2_b32 v21, vcc_lo, v21 bitop3:0x14
	v_dual_ashrrev_i32 v24, 31, v24 :: v_dual_bitop2_b32 v22, s0, v22 bitop3:0x14
	v_cmp_gt_i32_e64 s4, 0, v27
	s_delay_alu instid0(VALU_DEP_4) | instskip(SKIP_1) | instid1(VALU_DEP_4)
	v_dual_ashrrev_i32 v25, 31, v25 :: v_dual_ashrrev_i32 v26, 31, v26
	v_not_b32_e32 v27, v19
	v_xor_b32_e32 v24, s2, v24
	v_bitop3_b32 v21, v21, v22, exec_lo bitop3:0x80
	v_not_b32_e32 v22, v28
	v_xor_b32_e32 v23, s1, v23
	v_xor_b32_e32 v25, s3, v25
	;; [unrolled: 1-line block ×3, first 2 shown]
	v_cmp_gt_i32_e32 vcc_lo, 0, v28
	v_ashrrev_i32_e32 v22, 31, v22
	v_cmp_gt_i32_e64 s0, 0, v19
	v_ashrrev_i32_e32 v19, 31, v27
	v_bitop3_b32 v21, v21, v24, v23 bitop3:0x80
	s_delay_alu instid0(VALU_DEP_4) | instskip(NEXT) | instid1(VALU_DEP_3)
	v_xor_b32_e32 v22, vcc_lo, v22
	v_xor_b32_e32 v19, s0, v19
	s_delay_alu instid0(VALU_DEP_3) | instskip(SKIP_2) | instid1(VALU_DEP_1)
	v_bitop3_b32 v23, v21, v26, v25 bitop3:0x80
	ds_load_b32 v21, v12 offset:64
	; wave barrier
	v_bitop3_b32 v19, v23, v19, v22 bitop3:0x80
	v_mbcnt_lo_u32_b32 v22, v19, 0
	v_cmp_ne_u32_e64 s0, 0, v19
	s_delay_alu instid0(VALU_DEP_2) | instskip(SKIP_1) | instid1(SALU_CYCLE_1)
	v_cmp_eq_u32_e32 vcc_lo, 0, v22
	s_and_b32 s1, s0, vcc_lo
	s_and_saveexec_b32 s0, s1
	s_cbranch_execz .LBB987_95
; %bb.94:
	s_wait_dscnt 0x0
	v_bcnt_u32_b32 v19, v19, v21
	ds_store_b32 v12, v19 offset:64
.LBB987_95:
	s_or_b32 exec_lo, exec_lo, s0
	v_xor_b32_e32 v19, 0x80000000, v13
	; wave barrier
	s_delay_alu instid0(VALU_DEP_1) | instskip(NEXT) | instid1(VALU_DEP_1)
	v_lshrrev_b32_e32 v13, s20, v19
	v_bitop3_b32 v24, v13, 1, s5 bitop3:0x80
	v_and_b32_e32 v23, s5, v13
	s_delay_alu instid0(VALU_DEP_2) | instskip(NEXT) | instid1(VALU_DEP_1)
	v_add_co_u32 v24, s0, v24, -1
	v_cndmask_b32_e64 v25, 0, 1, s0
	s_delay_alu instid0(VALU_DEP_3) | instskip(NEXT) | instid1(VALU_DEP_2)
	v_dual_lshlrev_b32 v26, 30, v23 :: v_dual_lshlrev_b32 v27, 29, v23
	v_cmp_ne_u32_e32 vcc_lo, 0, v25
	s_delay_alu instid0(VALU_DEP_2) | instskip(SKIP_1) | instid1(VALU_DEP_4)
	v_cmp_gt_i32_e64 s0, 0, v26
	v_not_b32_e32 v25, v26
	v_not_b32_e32 v26, v27
	v_cmp_gt_i32_e64 s1, 0, v27
	s_delay_alu instid0(VALU_DEP_3) | instskip(NEXT) | instid1(VALU_DEP_3)
	v_dual_ashrrev_i32 v25, 31, v25 :: v_dual_bitop2_b32 v24, vcc_lo, v24 bitop3:0x14
	v_dual_ashrrev_i32 v26, 31, v26 :: v_dual_lshlrev_b32 v28, 28, v23
	v_dual_lshlrev_b32 v29, 27, v23 :: v_dual_lshlrev_b32 v30, 26, v23
	v_lshlrev_b32_e32 v31, 25, v23
	v_mad_u32 v13, 0x44, v23, v0
	s_delay_alu instid0(VALU_DEP_4)
	v_not_b32_e32 v27, v28
	v_lshlrev_b32_e32 v23, 24, v23
	v_cmp_gt_i32_e64 s2, 0, v28
	v_cmp_gt_i32_e64 s3, 0, v29
	v_not_b32_e32 v28, v29
	v_not_b32_e32 v29, v30
	v_dual_ashrrev_i32 v27, 31, v27 :: v_dual_bitop2_b32 v25, s0, v25 bitop3:0x14
	v_cmp_gt_i32_e64 s4, 0, v30
	s_delay_alu instid0(VALU_DEP_3) | instskip(SKIP_1) | instid1(VALU_DEP_4)
	v_dual_ashrrev_i32 v28, 31, v28 :: v_dual_ashrrev_i32 v29, 31, v29
	v_not_b32_e32 v30, v23
	v_xor_b32_e32 v27, s2, v27
	v_bitop3_b32 v24, v24, v25, exec_lo bitop3:0x80
	v_not_b32_e32 v25, v31
	v_xor_b32_e32 v26, s1, v26
	v_xor_b32_e32 v28, s3, v28
	;; [unrolled: 1-line block ×3, first 2 shown]
	v_cmp_gt_i32_e32 vcc_lo, 0, v31
	v_ashrrev_i32_e32 v25, 31, v25
	v_cmp_gt_i32_e64 s0, 0, v23
	v_ashrrev_i32_e32 v23, 31, v30
	v_bitop3_b32 v24, v24, v27, v26 bitop3:0x80
	s_delay_alu instid0(VALU_DEP_4) | instskip(NEXT) | instid1(VALU_DEP_3)
	v_xor_b32_e32 v25, vcc_lo, v25
	v_xor_b32_e32 v23, s0, v23
	s_delay_alu instid0(VALU_DEP_3) | instskip(SKIP_2) | instid1(VALU_DEP_1)
	v_bitop3_b32 v26, v24, v29, v28 bitop3:0x80
	ds_load_b32 v24, v13 offset:64
	; wave barrier
	v_bitop3_b32 v23, v26, v23, v25 bitop3:0x80
	v_mbcnt_lo_u32_b32 v25, v23, 0
	v_cmp_ne_u32_e64 s0, 0, v23
	s_delay_alu instid0(VALU_DEP_2) | instskip(SKIP_1) | instid1(SALU_CYCLE_1)
	v_cmp_eq_u32_e32 vcc_lo, 0, v25
	s_and_b32 s1, s0, vcc_lo
	s_and_saveexec_b32 s0, s1
	s_cbranch_execz .LBB987_97
; %bb.96:
	s_wait_dscnt 0x0
	v_bcnt_u32_b32 v23, v23, v24
	ds_store_b32 v13, v23 offset:64
.LBB987_97:
	s_or_b32 exec_lo, exec_lo, s0
	v_xor_b32_e32 v20, 0x80000000, v20
	; wave barrier
	s_delay_alu instid0(VALU_DEP_1) | instskip(NEXT) | instid1(VALU_DEP_1)
	v_lshrrev_b32_e32 v23, s20, v20
	v_and_b32_e32 v26, s5, v23
	s_delay_alu instid0(VALU_DEP_1) | instskip(SKIP_2) | instid1(VALU_DEP_2)
	v_lshlrev_b32_e32 v28, 30, v26
	v_bitop3_b32 v23, v23, 1, s5 bitop3:0x80
	v_lshlrev_b32_e32 v29, 29, v26
	v_add_co_u32 v23, s0, v23, -1
	s_delay_alu instid0(VALU_DEP_1) | instskip(SKIP_1) | instid1(VALU_DEP_2)
	v_cndmask_b32_e64 v27, 0, 1, s0
	v_cmp_gt_i32_e64 s0, 0, v28
	v_cmp_ne_u32_e32 vcc_lo, 0, v27
	v_not_b32_e32 v27, v28
	v_not_b32_e32 v28, v29
	s_delay_alu instid0(VALU_DEP_1)
	v_dual_ashrrev_i32 v28, 31, v28 :: v_dual_lshlrev_b32 v30, 28, v26
	v_mad_u32 v33, 0x44, v26, v0
	v_dual_lshlrev_b32 v31, 27, v26 :: v_dual_lshlrev_b32 v32, 26, v26
	v_dual_lshlrev_b32 v34, 25, v26 :: v_dual_lshlrev_b32 v26, 24, v26
	v_cmp_gt_i32_e64 s1, 0, v29
	v_not_b32_e32 v29, v30
	v_ashrrev_i32_e32 v27, 31, v27
	v_cmp_gt_i32_e64 s2, 0, v30
	v_cmp_gt_i32_e64 s3, 0, v31
	v_not_b32_e32 v30, v31
	v_cmp_gt_i32_e64 s4, 0, v32
	v_not_b32_e32 v31, v32
	v_dual_ashrrev_i32 v29, 31, v29 :: v_dual_bitop2_b32 v23, vcc_lo, v23 bitop3:0x14
	v_not_b32_e32 v32, v26
	v_dual_ashrrev_i32 v30, 31, v30 :: v_dual_bitop2_b32 v27, s0, v27 bitop3:0x14
	s_delay_alu instid0(VALU_DEP_4) | instskip(SKIP_1) | instid1(VALU_DEP_4)
	v_dual_ashrrev_i32 v31, 31, v31 :: v_dual_bitop2_b32 v28, s1, v28 bitop3:0x14
	v_cmp_gt_i32_e64 s0, 0, v26
	v_ashrrev_i32_e32 v26, 31, v32
	s_delay_alu instid0(VALU_DEP_4)
	v_bitop3_b32 v23, v23, v27, exec_lo bitop3:0x80
	v_not_b32_e32 v27, v34
	v_xor_b32_e32 v29, s2, v29
	v_xor_b32_e32 v30, s3, v30
	;; [unrolled: 1-line block ×3, first 2 shown]
	v_cmp_gt_i32_e32 vcc_lo, 0, v34
	v_ashrrev_i32_e32 v27, 31, v27
	v_bitop3_b32 v23, v23, v29, v28 bitop3:0x80
	v_xor_b32_e32 v26, s0, v26
	s_delay_alu instid0(VALU_DEP_3) | instskip(NEXT) | instid1(VALU_DEP_3)
	v_xor_b32_e32 v28, vcc_lo, v27
	v_bitop3_b32 v23, v23, v31, v30 bitop3:0x80
	ds_load_b32 v27, v33 offset:64
	; wave barrier
	v_bitop3_b32 v23, v23, v26, v28 bitop3:0x80
	s_delay_alu instid0(VALU_DEP_1) | instskip(SKIP_1) | instid1(VALU_DEP_2)
	v_mbcnt_lo_u32_b32 v28, v23, 0
	v_cmp_ne_u32_e64 s0, 0, v23
	v_cmp_eq_u32_e32 vcc_lo, 0, v28
	s_and_b32 s1, s0, vcc_lo
	s_delay_alu instid0(SALU_CYCLE_1)
	s_and_saveexec_b32 s0, s1
	s_cbranch_execz .LBB987_99
; %bb.98:
	s_wait_dscnt 0x0
	v_bcnt_u32_b32 v23, v23, v27
	ds_store_b32 v33, v23 offset:64
.LBB987_99:
	s_or_b32 exec_lo, exec_lo, s0
	v_xor_b32_e32 v23, 0x80000000, v9
	; wave barrier
	s_delay_alu instid0(VALU_DEP_1) | instskip(NEXT) | instid1(VALU_DEP_1)
	v_lshrrev_b32_e32 v9, s20, v23
	v_and_b32_e32 v26, s5, v9
	s_delay_alu instid0(VALU_DEP_1) | instskip(SKIP_2) | instid1(VALU_DEP_2)
	v_lshlrev_b32_e32 v30, 30, v26
	v_bitop3_b32 v9, v9, 1, s5 bitop3:0x80
	v_lshlrev_b32_e32 v31, 29, v26
	v_add_co_u32 v9, s0, v9, -1
	s_delay_alu instid0(VALU_DEP_1) | instskip(SKIP_1) | instid1(VALU_DEP_2)
	v_cndmask_b32_e64 v29, 0, 1, s0
	v_cmp_gt_i32_e64 s0, 0, v30
	v_cmp_ne_u32_e32 vcc_lo, 0, v29
	v_not_b32_e32 v29, v30
	v_not_b32_e32 v30, v31
	s_delay_alu instid0(VALU_DEP_1) | instskip(SKIP_4) | instid1(VALU_DEP_4)
	v_ashrrev_i32_e32 v30, 31, v30
	v_dual_lshlrev_b32 v32, 28, v26 :: v_dual_lshlrev_b32 v34, 27, v26
	v_lshlrev_b32_e32 v35, 26, v26
	v_cmp_gt_i32_e64 s1, 0, v31
	v_mad_u32 v37, 0x44, v26, v0
	v_not_b32_e32 v31, v32
	v_dual_ashrrev_i32 v29, 31, v29 :: v_dual_lshlrev_b32 v36, 25, v26
	v_lshlrev_b32_e32 v26, 24, v26
	v_cmp_gt_i32_e64 s2, 0, v32
	v_cmp_gt_i32_e64 s3, 0, v34
	v_not_b32_e32 v32, v34
	v_not_b32_e32 v34, v35
	v_dual_ashrrev_i32 v31, 31, v31 :: v_dual_bitop2_b32 v9, vcc_lo, v9 bitop3:0x14
	v_xor_b32_e32 v29, s0, v29
	v_cmp_gt_i32_e64 s4, 0, v35
	s_delay_alu instid0(VALU_DEP_4) | instskip(NEXT) | instid1(VALU_DEP_4)
	v_dual_ashrrev_i32 v32, 31, v32 :: v_dual_ashrrev_i32 v34, 31, v34
	v_xor_b32_e32 v31, s2, v31
	s_delay_alu instid0(VALU_DEP_4)
	v_bitop3_b32 v9, v9, v29, exec_lo bitop3:0x80
	v_not_b32_e32 v29, v36
	v_xor_b32_e32 v30, s1, v30
	v_not_b32_e32 v35, v26
	v_xor_b32_e32 v32, s3, v32
	v_xor_b32_e32 v34, s4, v34
	v_cmp_gt_i32_e32 vcc_lo, 0, v36
	v_ashrrev_i32_e32 v29, 31, v29
	v_bitop3_b32 v9, v9, v31, v30 bitop3:0x80
	v_cmp_gt_i32_e64 s0, 0, v26
	v_ashrrev_i32_e32 v26, 31, v35
	ds_load_b32 v30, v37 offset:64
	v_xor_b32_e32 v29, vcc_lo, v29
	v_bitop3_b32 v9, v9, v34, v32 bitop3:0x80
	v_xor_b32_e32 v26, s0, v26
	; wave barrier
	s_delay_alu instid0(VALU_DEP_1) | instskip(NEXT) | instid1(VALU_DEP_1)
	v_bitop3_b32 v9, v9, v26, v29 bitop3:0x80
	v_mbcnt_lo_u32_b32 v31, v9, 0
	v_cmp_ne_u32_e64 s0, 0, v9
	s_delay_alu instid0(VALU_DEP_2) | instskip(SKIP_1) | instid1(SALU_CYCLE_1)
	v_cmp_eq_u32_e32 vcc_lo, 0, v31
	s_and_b32 s1, s0, vcc_lo
	s_and_saveexec_b32 s0, s1
	s_cbranch_execz .LBB987_101
; %bb.100:
	s_wait_dscnt 0x0
	v_bcnt_u32_b32 v9, v9, v30
	ds_store_b32 v37, v9 offset:64
.LBB987_101:
	s_or_b32 exec_lo, exec_lo, s0
	v_xor_b32_e32 v26, 0x80000000, v8
	; wave barrier
	s_delay_alu instid0(VALU_DEP_1) | instskip(NEXT) | instid1(VALU_DEP_1)
	v_lshrrev_b32_e32 v8, s20, v26
	v_and_b32_e32 v9, s5, v8
	s_delay_alu instid0(VALU_DEP_1) | instskip(SKIP_1) | instid1(VALU_DEP_1)
	v_lshlrev_b32_e32 v32, 30, v9
	v_bitop3_b32 v8, v8, 1, s5 bitop3:0x80
	v_add_co_u32 v8, s0, v8, -1
	s_delay_alu instid0(VALU_DEP_1) | instskip(NEXT) | instid1(VALU_DEP_4)
	v_cndmask_b32_e64 v29, 0, 1, s0
	v_cmp_gt_i32_e64 s0, 0, v32
	s_delay_alu instid0(VALU_DEP_2) | instskip(SKIP_1) | instid1(VALU_DEP_1)
	v_cmp_ne_u32_e32 vcc_lo, 0, v29
	v_not_b32_e32 v29, v32
	v_ashrrev_i32_e32 v29, 31, v29
	v_dual_lshlrev_b32 v34, 29, v9 :: v_dual_lshlrev_b32 v35, 28, v9
	v_dual_lshlrev_b32 v36, 27, v9 :: v_dual_lshlrev_b32 v38, 26, v9
	v_mad_u32 v40, 0x44, v9, v0
	s_delay_alu instid0(VALU_DEP_3)
	v_cmp_gt_i32_e64 s1, 0, v34
	v_not_b32_e32 v32, v34
	v_not_b32_e32 v34, v35
	v_dual_lshlrev_b32 v39, 25, v9 :: v_dual_lshlrev_b32 v9, 24, v9
	v_cmp_gt_i32_e64 s2, 0, v35
	v_cmp_gt_i32_e64 s3, 0, v36
	v_not_b32_e32 v35, v36
	v_not_b32_e32 v36, v38
	v_dual_ashrrev_i32 v34, 31, v34 :: v_dual_bitop2_b32 v8, vcc_lo, v8 bitop3:0x14
	v_dual_ashrrev_i32 v32, 31, v32 :: v_dual_bitop2_b32 v29, s0, v29 bitop3:0x14
	v_cmp_gt_i32_e64 s4, 0, v38
	s_delay_alu instid0(VALU_DEP_4) | instskip(NEXT) | instid1(VALU_DEP_4)
	v_dual_ashrrev_i32 v35, 31, v35 :: v_dual_ashrrev_i32 v36, 31, v36
	v_xor_b32_e32 v34, s2, v34
	s_delay_alu instid0(VALU_DEP_4)
	v_bitop3_b32 v8, v8, v29, exec_lo bitop3:0x80
	v_not_b32_e32 v29, v39
	v_xor_b32_e32 v32, s1, v32
	v_not_b32_e32 v38, v9
	v_xor_b32_e32 v35, s3, v35
	v_xor_b32_e32 v36, s4, v36
	v_cmp_gt_i32_e32 vcc_lo, 0, v39
	v_ashrrev_i32_e32 v29, 31, v29
	v_bitop3_b32 v8, v8, v34, v32 bitop3:0x80
	v_cmp_gt_i32_e64 s0, 0, v9
	v_ashrrev_i32_e32 v9, 31, v38
	ds_load_b32 v34, v40 offset:64
	v_xor_b32_e32 v29, vcc_lo, v29
	v_bitop3_b32 v8, v8, v36, v35 bitop3:0x80
	v_xor_b32_e32 v9, s0, v9
	; wave barrier
	s_delay_alu instid0(VALU_DEP_1) | instskip(NEXT) | instid1(VALU_DEP_1)
	v_bitop3_b32 v8, v8, v9, v29 bitop3:0x80
	v_mbcnt_lo_u32_b32 v35, v8, 0
	v_cmp_ne_u32_e64 s0, 0, v8
	s_delay_alu instid0(VALU_DEP_2) | instskip(SKIP_1) | instid1(SALU_CYCLE_1)
	v_cmp_eq_u32_e32 vcc_lo, 0, v35
	s_and_b32 s1, s0, vcc_lo
	s_and_saveexec_b32 s0, s1
	s_cbranch_execz .LBB987_103
; %bb.102:
	s_wait_dscnt 0x0
	v_bcnt_u32_b32 v8, v8, v34
	ds_store_b32 v40, v8 offset:64
.LBB987_103:
	s_or_b32 exec_lo, exec_lo, s0
	v_xor_b32_e32 v29, 0x80000000, v7
	; wave barrier
	s_delay_alu instid0(VALU_DEP_1) | instskip(NEXT) | instid1(VALU_DEP_1)
	v_lshrrev_b32_e32 v7, s20, v29
	v_and_b32_e32 v8, s5, v7
	s_delay_alu instid0(VALU_DEP_1) | instskip(SKIP_1) | instid1(VALU_DEP_1)
	v_lshlrev_b32_e32 v32, 30, v8
	v_bitop3_b32 v7, v7, 1, s5 bitop3:0x80
	v_add_co_u32 v7, s0, v7, -1
	s_delay_alu instid0(VALU_DEP_1) | instskip(NEXT) | instid1(VALU_DEP_4)
	v_cndmask_b32_e64 v9, 0, 1, s0
	v_cmp_gt_i32_e64 s0, 0, v32
	s_delay_alu instid0(VALU_DEP_2) | instskip(SKIP_1) | instid1(VALU_DEP_1)
	v_cmp_ne_u32_e32 vcc_lo, 0, v9
	v_not_b32_e32 v9, v32
	v_dual_ashrrev_i32 v9, 31, v9 :: v_dual_lshlrev_b32 v36, 29, v8
	v_dual_lshlrev_b32 v38, 28, v8 :: v_dual_lshlrev_b32 v39, 27, v8
	v_lshlrev_b32_e32 v41, 26, v8
	v_mad_u32 v44, 0x44, v8, v0
	s_delay_alu instid0(VALU_DEP_4)
	v_cmp_gt_i32_e64 s1, 0, v36
	v_not_b32_e32 v32, v36
	v_not_b32_e32 v36, v38
	v_dual_lshlrev_b32 v42, 25, v8 :: v_dual_lshlrev_b32 v8, 24, v8
	v_cmp_gt_i32_e64 s2, 0, v38
	v_cmp_gt_i32_e64 s3, 0, v39
	v_not_b32_e32 v38, v39
	v_not_b32_e32 v39, v41
	v_dual_ashrrev_i32 v32, 31, v32 :: v_dual_bitop2_b32 v7, vcc_lo, v7 bitop3:0x14
	v_dual_ashrrev_i32 v36, 31, v36 :: v_dual_bitop2_b32 v9, s0, v9 bitop3:0x14
	v_cmp_gt_i32_e64 s4, 0, v41
	s_delay_alu instid0(VALU_DEP_4) | instskip(SKIP_1) | instid1(VALU_DEP_4)
	v_dual_ashrrev_i32 v38, 31, v38 :: v_dual_ashrrev_i32 v39, 31, v39
	v_not_b32_e32 v41, v8
	v_xor_b32_e32 v36, s2, v36
	v_bitop3_b32 v7, v7, v9, exec_lo bitop3:0x80
	v_not_b32_e32 v9, v42
	v_xor_b32_e32 v32, s1, v32
	v_xor_b32_e32 v38, s3, v38
	;; [unrolled: 1-line block ×3, first 2 shown]
	v_cmp_gt_i32_e32 vcc_lo, 0, v42
	v_ashrrev_i32_e32 v9, 31, v9
	v_cmp_gt_i32_e64 s0, 0, v8
	v_ashrrev_i32_e32 v8, 31, v41
	v_bitop3_b32 v7, v7, v36, v32 bitop3:0x80
	s_delay_alu instid0(VALU_DEP_4) | instskip(NEXT) | instid1(VALU_DEP_3)
	v_xor_b32_e32 v9, vcc_lo, v9
	v_xor_b32_e32 v8, s0, v8
	s_delay_alu instid0(VALU_DEP_3) | instskip(SKIP_2) | instid1(VALU_DEP_1)
	v_bitop3_b32 v7, v7, v39, v38 bitop3:0x80
	ds_load_b32 v38, v44 offset:64
	; wave barrier
	v_bitop3_b32 v7, v7, v8, v9 bitop3:0x80
	v_mbcnt_lo_u32_b32 v39, v7, 0
	v_cmp_ne_u32_e64 s0, 0, v7
	s_delay_alu instid0(VALU_DEP_2) | instskip(SKIP_1) | instid1(SALU_CYCLE_1)
	v_cmp_eq_u32_e32 vcc_lo, 0, v39
	s_and_b32 s1, s0, vcc_lo
	s_and_saveexec_b32 s0, s1
	s_cbranch_execz .LBB987_105
; %bb.104:
	s_wait_dscnt 0x0
	v_bcnt_u32_b32 v7, v7, v38
	ds_store_b32 v44, v7 offset:64
.LBB987_105:
	s_or_b32 exec_lo, exec_lo, s0
	v_xor_b32_e32 v32, 0x80000000, v6
	; wave barrier
	s_delay_alu instid0(VALU_DEP_1) | instskip(NEXT) | instid1(VALU_DEP_1)
	v_lshrrev_b32_e32 v6, s20, v32
	v_and_b32_e32 v7, s5, v6
	s_delay_alu instid0(VALU_DEP_1) | instskip(SKIP_1) | instid1(VALU_DEP_1)
	v_lshlrev_b32_e32 v9, 30, v7
	v_bitop3_b32 v6, v6, 1, s5 bitop3:0x80
	v_add_co_u32 v6, s0, v6, -1
	s_delay_alu instid0(VALU_DEP_1) | instskip(NEXT) | instid1(VALU_DEP_4)
	v_cndmask_b32_e64 v8, 0, 1, s0
	v_cmp_gt_i32_e64 s0, 0, v9
	s_delay_alu instid0(VALU_DEP_2) | instskip(SKIP_1) | instid1(VALU_DEP_1)
	v_cmp_ne_u32_e32 vcc_lo, 0, v8
	v_not_b32_e32 v8, v9
	v_dual_ashrrev_i32 v8, 31, v8 :: v_dual_lshlrev_b32 v36, 29, v7
	v_dual_lshlrev_b32 v41, 28, v7 :: v_dual_lshlrev_b32 v42, 27, v7
	v_lshlrev_b32_e32 v43, 26, v7
	v_mad_u32 v47, 0x44, v7, v0
	s_delay_alu instid0(VALU_DEP_4)
	v_cmp_gt_i32_e64 s1, 0, v36
	v_not_b32_e32 v9, v36
	v_not_b32_e32 v36, v41
	v_dual_lshlrev_b32 v45, 25, v7 :: v_dual_lshlrev_b32 v7, 24, v7
	v_cmp_gt_i32_e64 s2, 0, v41
	v_cmp_gt_i32_e64 s3, 0, v42
	v_not_b32_e32 v41, v42
	v_not_b32_e32 v42, v43
	v_dual_ashrrev_i32 v9, 31, v9 :: v_dual_bitop2_b32 v6, vcc_lo, v6 bitop3:0x14
	s_delay_alu instid0(VALU_DEP_3) | instskip(NEXT) | instid1(VALU_DEP_3)
	v_dual_ashrrev_i32 v36, 31, v36 :: v_dual_ashrrev_i32 v41, 31, v41
	v_dual_ashrrev_i32 v42, 31, v42 :: v_dual_bitop2_b32 v8, s0, v8 bitop3:0x14
	v_cmp_gt_i32_e64 s4, 0, v43
	v_not_b32_e32 v43, v7
	s_delay_alu instid0(VALU_DEP_4) | instskip(NEXT) | instid1(VALU_DEP_4)
	v_xor_b32_e32 v36, s2, v36
	v_bitop3_b32 v6, v6, v8, exec_lo bitop3:0x80
	v_not_b32_e32 v8, v45
	v_xor_b32_e32 v9, s1, v9
	v_xor_b32_e32 v41, s3, v41
	;; [unrolled: 1-line block ×3, first 2 shown]
	v_cmp_gt_i32_e32 vcc_lo, 0, v45
	v_ashrrev_i32_e32 v8, 31, v8
	v_cmp_gt_i32_e64 s0, 0, v7
	v_ashrrev_i32_e32 v7, 31, v43
	v_bitop3_b32 v6, v6, v36, v9 bitop3:0x80
	s_delay_alu instid0(VALU_DEP_4) | instskip(NEXT) | instid1(VALU_DEP_3)
	v_xor_b32_e32 v8, vcc_lo, v8
	v_xor_b32_e32 v7, s0, v7
	s_delay_alu instid0(VALU_DEP_3) | instskip(SKIP_2) | instid1(VALU_DEP_1)
	v_bitop3_b32 v6, v6, v42, v41 bitop3:0x80
	ds_load_b32 v42, v47 offset:64
	; wave barrier
	v_bitop3_b32 v6, v6, v7, v8 bitop3:0x80
	v_mbcnt_lo_u32_b32 v43, v6, 0
	v_cmp_ne_u32_e64 s0, 0, v6
	s_delay_alu instid0(VALU_DEP_2) | instskip(SKIP_1) | instid1(SALU_CYCLE_1)
	v_cmp_eq_u32_e32 vcc_lo, 0, v43
	s_and_b32 s1, s0, vcc_lo
	s_and_saveexec_b32 s0, s1
	s_cbranch_execz .LBB987_107
; %bb.106:
	s_wait_dscnt 0x0
	v_bcnt_u32_b32 v6, v6, v42
	ds_store_b32 v47, v6 offset:64
.LBB987_107:
	s_or_b32 exec_lo, exec_lo, s0
	v_xor_b32_e32 v36, 0x80000000, v4
	; wave barrier
	s_delay_alu instid0(VALU_DEP_1) | instskip(NEXT) | instid1(VALU_DEP_1)
	v_lshrrev_b32_e32 v4, s20, v36
	v_and_b32_e32 v6, s5, v4
	s_delay_alu instid0(VALU_DEP_1) | instskip(SKIP_1) | instid1(VALU_DEP_1)
	v_lshlrev_b32_e32 v8, 30, v6
	v_bitop3_b32 v4, v4, 1, s5 bitop3:0x80
	v_add_co_u32 v4, s0, v4, -1
	s_delay_alu instid0(VALU_DEP_1) | instskip(NEXT) | instid1(VALU_DEP_4)
	v_cndmask_b32_e64 v7, 0, 1, s0
	v_cmp_gt_i32_e64 s0, 0, v8
	s_delay_alu instid0(VALU_DEP_2) | instskip(SKIP_1) | instid1(VALU_DEP_1)
	v_cmp_ne_u32_e32 vcc_lo, 0, v7
	v_not_b32_e32 v7, v8
	v_dual_ashrrev_i32 v7, 31, v7 :: v_dual_lshlrev_b32 v9, 29, v6
	v_dual_lshlrev_b32 v41, 28, v6 :: v_dual_lshlrev_b32 v45, 27, v6
	v_lshlrev_b32_e32 v46, 26, v6
	v_mad_u32 v51, 0x44, v6, v0
	s_delay_alu instid0(VALU_DEP_4)
	v_cmp_gt_i32_e64 s1, 0, v9
	v_not_b32_e32 v8, v9
	v_not_b32_e32 v9, v41
	v_dual_lshlrev_b32 v48, 25, v6 :: v_dual_lshlrev_b32 v6, 24, v6
	v_cmp_gt_i32_e64 s2, 0, v41
	v_cmp_gt_i32_e64 s3, 0, v45
	v_not_b32_e32 v41, v45
	v_not_b32_e32 v45, v46
	v_dual_ashrrev_i32 v9, 31, v9 :: v_dual_bitop2_b32 v4, vcc_lo, v4 bitop3:0x14
	v_dual_ashrrev_i32 v8, 31, v8 :: v_dual_bitop2_b32 v7, s0, v7 bitop3:0x14
	v_cmp_gt_i32_e64 s4, 0, v46
	v_ashrrev_i32_e32 v41, 31, v41
	v_not_b32_e32 v46, v6
	s_delay_alu instid0(VALU_DEP_4)
	v_xor_b32_e32 v8, s1, v8
	v_xor_b32_e32 v9, s2, v9
	v_bitop3_b32 v4, v4, v7, exec_lo bitop3:0x80
	v_not_b32_e32 v7, v48
	v_ashrrev_i32_e32 v45, 31, v45
	v_xor_b32_e32 v41, s3, v41
	v_cmp_gt_i32_e32 vcc_lo, 0, v48
	v_cmp_gt_i32_e64 s0, 0, v6
	s_delay_alu instid0(VALU_DEP_4)
	v_dual_ashrrev_i32 v7, 31, v7 :: v_dual_bitop2_b32 v45, s4, v45 bitop3:0x14
	v_ashrrev_i32_e32 v6, 31, v46
	v_bitop3_b32 v4, v4, v9, v8 bitop3:0x80
	ds_load_b32 v46, v51 offset:64
	v_xor_b32_e32 v7, vcc_lo, v7
	v_xor_b32_e32 v6, s0, v6
	v_bitop3_b32 v4, v4, v45, v41 bitop3:0x80
	; wave barrier
	s_delay_alu instid0(VALU_DEP_1) | instskip(NEXT) | instid1(VALU_DEP_1)
	v_bitop3_b32 v4, v4, v6, v7 bitop3:0x80
	v_mbcnt_lo_u32_b32 v48, v4, 0
	v_cmp_ne_u32_e64 s0, 0, v4
	s_delay_alu instid0(VALU_DEP_2) | instskip(SKIP_1) | instid1(SALU_CYCLE_1)
	v_cmp_eq_u32_e32 vcc_lo, 0, v48
	s_and_b32 s1, s0, vcc_lo
	s_and_saveexec_b32 s0, s1
	s_cbranch_execz .LBB987_109
; %bb.108:
	s_wait_dscnt 0x0
	v_bcnt_u32_b32 v4, v4, v46
	ds_store_b32 v51, v4 offset:64
.LBB987_109:
	s_or_b32 exec_lo, exec_lo, s0
	v_xor_b32_e32 v41, 0x80000000, v3
	; wave barrier
	s_delay_alu instid0(VALU_DEP_1) | instskip(NEXT) | instid1(VALU_DEP_1)
	v_lshrrev_b32_e32 v3, s20, v41
	v_and_b32_e32 v4, s5, v3
	s_delay_alu instid0(VALU_DEP_1) | instskip(SKIP_1) | instid1(VALU_DEP_1)
	v_lshlrev_b32_e32 v7, 30, v4
	v_bitop3_b32 v3, v3, 1, s5 bitop3:0x80
	v_add_co_u32 v3, s0, v3, -1
	s_delay_alu instid0(VALU_DEP_1) | instskip(NEXT) | instid1(VALU_DEP_4)
	v_cndmask_b32_e64 v6, 0, 1, s0
	v_cmp_gt_i32_e64 s0, 0, v7
	s_delay_alu instid0(VALU_DEP_2) | instskip(SKIP_1) | instid1(VALU_DEP_1)
	v_cmp_ne_u32_e32 vcc_lo, 0, v6
	v_not_b32_e32 v6, v7
	v_dual_ashrrev_i32 v6, 31, v6 :: v_dual_lshlrev_b32 v8, 29, v4
	v_dual_lshlrev_b32 v9, 28, v4 :: v_dual_lshlrev_b32 v45, 27, v4
	v_lshlrev_b32_e32 v49, 26, v4
	v_mad_u32 v54, 0x44, v4, v0
	s_delay_alu instid0(VALU_DEP_4)
	v_cmp_gt_i32_e64 s1, 0, v8
	v_not_b32_e32 v7, v8
	v_not_b32_e32 v8, v9
	v_dual_lshlrev_b32 v50, 25, v4 :: v_dual_lshlrev_b32 v4, 24, v4
	v_cmp_gt_i32_e64 s2, 0, v9
	v_cmp_gt_i32_e64 s3, 0, v45
	v_not_b32_e32 v9, v45
	v_not_b32_e32 v45, v49
	v_dual_ashrrev_i32 v8, 31, v8 :: v_dual_bitop2_b32 v3, vcc_lo, v3 bitop3:0x14
	v_dual_ashrrev_i32 v7, 31, v7 :: v_dual_bitop2_b32 v6, s0, v6 bitop3:0x14
	v_cmp_gt_i32_e64 s4, 0, v49
	v_ashrrev_i32_e32 v9, 31, v9
	s_delay_alu instid0(VALU_DEP_4) | instskip(NEXT) | instid1(VALU_DEP_4)
	v_dual_ashrrev_i32 v45, 31, v45 :: v_dual_bitop2_b32 v8, s2, v8 bitop3:0x14
	v_xor_b32_e32 v7, s1, v7
	v_bitop3_b32 v3, v3, v6, exec_lo bitop3:0x80
	v_not_b32_e32 v6, v50
	v_not_b32_e32 v49, v4
	v_xor_b32_e32 v9, s3, v9
	v_xor_b32_e32 v45, s4, v45
	v_bitop3_b32 v3, v3, v8, v7 bitop3:0x80
	v_cmp_gt_i32_e32 vcc_lo, 0, v50
	v_ashrrev_i32_e32 v6, 31, v6
	v_cmp_gt_i32_e64 s0, 0, v4
	v_ashrrev_i32_e32 v4, 31, v49
	v_bitop3_b32 v3, v3, v45, v9 bitop3:0x80
	ds_load_b32 v50, v54 offset:64
	v_xor_b32_e32 v6, vcc_lo, v6
	v_xor_b32_e32 v4, s0, v4
	; wave barrier
	s_delay_alu instid0(VALU_DEP_1) | instskip(NEXT) | instid1(VALU_DEP_1)
	v_bitop3_b32 v3, v3, v4, v6 bitop3:0x80
	v_mbcnt_lo_u32_b32 v52, v3, 0
	v_cmp_ne_u32_e64 s0, 0, v3
	s_delay_alu instid0(VALU_DEP_2) | instskip(SKIP_1) | instid1(SALU_CYCLE_1)
	v_cmp_eq_u32_e32 vcc_lo, 0, v52
	s_and_b32 s1, s0, vcc_lo
	s_and_saveexec_b32 s0, s1
	s_cbranch_execz .LBB987_111
; %bb.110:
	s_wait_dscnt 0x0
	v_bcnt_u32_b32 v3, v3, v50
	ds_store_b32 v54, v3 offset:64
.LBB987_111:
	s_or_b32 exec_lo, exec_lo, s0
	v_xor_b32_e32 v45, 0x80000000, v2
	; wave barrier
	s_delay_alu instid0(VALU_DEP_1) | instskip(NEXT) | instid1(VALU_DEP_1)
	v_lshrrev_b32_e32 v2, s20, v45
	v_and_b32_e32 v3, s5, v2
	s_delay_alu instid0(VALU_DEP_1) | instskip(SKIP_1) | instid1(VALU_DEP_1)
	v_lshlrev_b32_e32 v6, 30, v3
	v_bitop3_b32 v2, v2, 1, s5 bitop3:0x80
	v_add_co_u32 v2, s0, v2, -1
	s_delay_alu instid0(VALU_DEP_1) | instskip(NEXT) | instid1(VALU_DEP_4)
	v_cndmask_b32_e64 v4, 0, 1, s0
	v_cmp_gt_i32_e64 s0, 0, v6
	s_delay_alu instid0(VALU_DEP_2) | instskip(SKIP_1) | instid1(VALU_DEP_1)
	v_cmp_ne_u32_e32 vcc_lo, 0, v4
	v_not_b32_e32 v4, v6
	v_dual_ashrrev_i32 v4, 31, v4 :: v_dual_lshlrev_b32 v7, 29, v3
	v_dual_lshlrev_b32 v8, 28, v3 :: v_dual_lshlrev_b32 v9, 27, v3
	v_lshlrev_b32_e32 v49, 26, v3
	v_mad_u32 v56, 0x44, v3, v0
	s_delay_alu instid0(VALU_DEP_4)
	v_cmp_gt_i32_e64 s1, 0, v7
	v_not_b32_e32 v6, v7
	v_not_b32_e32 v7, v8
	v_dual_lshlrev_b32 v53, 25, v3 :: v_dual_lshlrev_b32 v3, 24, v3
	v_cmp_gt_i32_e64 s2, 0, v8
	v_cmp_gt_i32_e64 s3, 0, v9
	v_not_b32_e32 v8, v9
	v_not_b32_e32 v9, v49
	v_dual_ashrrev_i32 v7, 31, v7 :: v_dual_bitop2_b32 v2, vcc_lo, v2 bitop3:0x14
	v_dual_ashrrev_i32 v6, 31, v6 :: v_dual_bitop2_b32 v4, s0, v4 bitop3:0x14
	v_cmp_gt_i32_e64 s4, 0, v49
	s_delay_alu instid0(VALU_DEP_4)
	v_dual_ashrrev_i32 v8, 31, v8 :: v_dual_ashrrev_i32 v9, 31, v9
	v_not_b32_e32 v49, v3
	v_xor_b32_e32 v7, s2, v7
	v_bitop3_b32 v2, v2, v4, exec_lo bitop3:0x80
	v_not_b32_e32 v4, v53
	v_xor_b32_e32 v6, s1, v6
	v_xor_b32_e32 v8, s3, v8
	;; [unrolled: 1-line block ×3, first 2 shown]
	v_cmp_gt_i32_e32 vcc_lo, 0, v53
	v_ashrrev_i32_e32 v4, 31, v4
	v_cmp_gt_i32_e64 s0, 0, v3
	v_ashrrev_i32_e32 v3, 31, v49
	v_bitop3_b32 v2, v2, v7, v6 bitop3:0x80
	ds_load_b32 v53, v56 offset:64
	v_xor_b32_e32 v4, vcc_lo, v4
	v_xor_b32_e32 v3, s0, v3
	v_bitop3_b32 v2, v2, v9, v8 bitop3:0x80
	; wave barrier
	s_delay_alu instid0(VALU_DEP_1) | instskip(NEXT) | instid1(VALU_DEP_1)
	v_bitop3_b32 v2, v2, v3, v4 bitop3:0x80
	v_mbcnt_lo_u32_b32 v55, v2, 0
	v_cmp_ne_u32_e64 s0, 0, v2
	s_delay_alu instid0(VALU_DEP_2) | instskip(SKIP_1) | instid1(SALU_CYCLE_1)
	v_cmp_eq_u32_e32 vcc_lo, 0, v55
	s_and_b32 s1, s0, vcc_lo
	s_and_saveexec_b32 s0, s1
	s_cbranch_execz .LBB987_113
; %bb.112:
	s_wait_dscnt 0x0
	v_bcnt_u32_b32 v2, v2, v53
	ds_store_b32 v56, v2 offset:64
.LBB987_113:
	s_or_b32 exec_lo, exec_lo, s0
	v_xor_b32_e32 v49, 0x80000000, v1
	; wave barrier
	s_delay_alu instid0(VALU_DEP_1) | instskip(NEXT) | instid1(VALU_DEP_1)
	v_lshrrev_b32_e32 v1, s20, v49
	v_and_b32_e32 v2, s5, v1
	s_delay_alu instid0(VALU_DEP_1) | instskip(SKIP_2) | instid1(VALU_DEP_2)
	v_lshlrev_b32_e32 v3, 30, v2
	v_bitop3_b32 v1, v1, 1, s5 bitop3:0x80
	v_mad_u32 v59, 0x44, v2, v0
	v_add_co_u32 v0, s0, v1, -1
	s_delay_alu instid0(VALU_DEP_1) | instskip(SKIP_4) | instid1(VALU_DEP_1)
	v_cndmask_b32_e64 v1, 0, 1, s0
	v_cmp_gt_i32_e64 s0, 0, v3
	ds_load_b32 v57, v59 offset:64
	v_cmp_ne_u32_e32 vcc_lo, 0, v1
	v_not_b32_e32 v1, v3
	; wave barrier
	v_dual_ashrrev_i32 v1, 31, v1 :: v_dual_lshlrev_b32 v4, 29, v2
	v_dual_lshlrev_b32 v6, 28, v2 :: v_dual_lshlrev_b32 v7, 27, v2
	v_dual_lshlrev_b32 v8, 26, v2 :: v_dual_lshlrev_b32 v9, 25, v2
	v_lshlrev_b32_e32 v2, 24, v2
	s_delay_alu instid0(VALU_DEP_4)
	v_cmp_gt_i32_e64 s1, 0, v4
	v_not_b32_e32 v3, v4
	v_not_b32_e32 v4, v6
	v_cmp_gt_i32_e64 s2, 0, v6
	v_cmp_gt_i32_e64 s3, 0, v7
	v_not_b32_e32 v6, v7
	v_not_b32_e32 v7, v8
	v_dual_ashrrev_i32 v3, 31, v3 :: v_dual_bitop2_b32 v0, vcc_lo, v0 bitop3:0x14
	v_dual_ashrrev_i32 v4, 31, v4 :: v_dual_bitop2_b32 v1, s0, v1 bitop3:0x14
	v_cmp_gt_i32_e64 s4, 0, v8
	s_delay_alu instid0(VALU_DEP_4) | instskip(NEXT) | instid1(VALU_DEP_3)
	v_dual_ashrrev_i32 v6, 31, v6 :: v_dual_ashrrev_i32 v7, 31, v7
	v_xor_b32_e32 v4, s2, v4
	s_delay_alu instid0(VALU_DEP_4)
	v_bitop3_b32 v0, v0, v1, exec_lo bitop3:0x80
	v_not_b32_e32 v1, v9
	v_xor_b32_e32 v3, s1, v3
	v_not_b32_e32 v8, v2
	v_xor_b32_e32 v6, s3, v6
	v_xor_b32_e32 v7, s4, v7
	v_cmp_gt_i32_e32 vcc_lo, 0, v9
	v_ashrrev_i32_e32 v1, 31, v1
	v_bitop3_b32 v0, v0, v4, v3 bitop3:0x80
	v_cmp_gt_i32_e64 s0, 0, v2
	s_delay_alu instid0(VALU_DEP_3) | instskip(NEXT) | instid1(VALU_DEP_3)
	v_dual_ashrrev_i32 v2, 31, v8 :: v_dual_bitop2_b32 v1, vcc_lo, v1 bitop3:0x14
	v_bitop3_b32 v0, v0, v7, v6 bitop3:0x80
	s_delay_alu instid0(VALU_DEP_2) | instskip(NEXT) | instid1(VALU_DEP_1)
	v_xor_b32_e32 v2, s0, v2
	v_bitop3_b32 v0, v0, v2, v1 bitop3:0x80
	s_delay_alu instid0(VALU_DEP_1) | instskip(SKIP_1) | instid1(VALU_DEP_2)
	v_mbcnt_lo_u32_b32 v58, v0, 0
	v_cmp_ne_u32_e64 s0, 0, v0
	v_cmp_eq_u32_e32 vcc_lo, 0, v58
	s_and_b32 s1, s0, vcc_lo
	s_delay_alu instid0(SALU_CYCLE_1)
	s_and_saveexec_b32 s0, s1
	s_cbranch_execz .LBB987_115
; %bb.114:
	s_wait_dscnt 0x0
	v_bcnt_u32_b32 v0, v0, v57
	ds_store_b32 v59, v0 offset:64
.LBB987_115:
	s_or_b32 exec_lo, exec_lo, s0
	; wave barrier
	s_wait_dscnt 0x0
	s_barrier_signal -1
	s_barrier_wait -1
	ds_load_2addr_b32 v[8:9], v10 offset0:16 offset1:17
	ds_load_2addr_b32 v[6:7], v10 offset0:18 offset1:19
	;; [unrolled: 1-line block ×4, first 2 shown]
	ds_load_b32 v4, v10 offset:96
	v_min_u32_e32 v17, 0x1e0, v17
	s_mov_b32 s4, exec_lo
	s_delay_alu instid0(VALU_DEP_1) | instskip(SKIP_3) | instid1(VALU_DEP_1)
	v_or_b32_e32 v62, 31, v17
	s_wait_dscnt 0x3
	v_add3_u32 v60, v9, v8, v6
	s_wait_dscnt 0x2
	v_add3_u32 v60, v60, v7, v2
	s_wait_dscnt 0x1
	s_delay_alu instid0(VALU_DEP_1) | instskip(SKIP_1) | instid1(VALU_DEP_1)
	v_add3_u32 v60, v60, v3, v0
	s_wait_dscnt 0x0
	v_add3_u32 v4, v60, v1, v4
	v_and_b32_e32 v60, 15, v16
	s_delay_alu instid0(VALU_DEP_2) | instskip(NEXT) | instid1(VALU_DEP_2)
	v_mov_b32_dpp v61, v4 row_shr:1 row_mask:0xf bank_mask:0xf
	v_cmp_eq_u32_e32 vcc_lo, 0, v60
	v_cmp_lt_u32_e64 s0, 1, v60
	s_delay_alu instid0(VALU_DEP_3) | instskip(NEXT) | instid1(VALU_DEP_1)
	v_cndmask_b32_e64 v61, v61, 0, vcc_lo
	v_add_nc_u32_e32 v4, v61, v4
	s_delay_alu instid0(VALU_DEP_1) | instskip(NEXT) | instid1(VALU_DEP_1)
	v_mov_b32_dpp v61, v4 row_shr:2 row_mask:0xf bank_mask:0xf
	v_cndmask_b32_e64 v61, 0, v61, s0
	v_cmp_lt_u32_e64 s2, 7, v60
	v_cmp_lt_u32_e64 s1, 3, v60
	s_delay_alu instid0(VALU_DEP_3) | instskip(NEXT) | instid1(VALU_DEP_1)
	v_add_nc_u32_e32 v4, v4, v61
	v_mov_b32_dpp v61, v4 row_shr:4 row_mask:0xf bank_mask:0xf
	s_delay_alu instid0(VALU_DEP_1) | instskip(NEXT) | instid1(VALU_DEP_1)
	v_cndmask_b32_e64 v61, 0, v61, s1
	v_add_nc_u32_e32 v4, v4, v61
	s_delay_alu instid0(VALU_DEP_1) | instskip(NEXT) | instid1(VALU_DEP_1)
	v_mov_b32_dpp v61, v4 row_shr:8 row_mask:0xf bank_mask:0xf
	v_cndmask_b32_e64 v60, 0, v61, s2
	v_bfe_i32 v61, v16, 4, 1
	s_delay_alu instid0(VALU_DEP_2) | instskip(SKIP_3) | instid1(VALU_DEP_1)
	v_add_nc_u32_e32 v4, v4, v60
	ds_swizzle_b32 v60, v4 offset:swizzle(BROADCAST,32,15)
	s_wait_dscnt 0x0
	v_dual_lshrrev_b32 v60, 5, v14 :: v_dual_bitop2_b32 v61, v61, v60 bitop3:0x40
	v_add_nc_u32_e32 v17, v4, v61
	v_cmpx_eq_u32_e64 v14, v62
; %bb.116:
	s_delay_alu instid0(VALU_DEP_3)
	v_lshlrev_b32_e32 v4, 2, v60
	ds_store_b32 v4, v17
; %bb.117:
	s_or_b32 exec_lo, exec_lo, s4
	v_lshlrev_b32_e32 v4, 2, v14
	s_mov_b32 s4, exec_lo
	s_wait_dscnt 0x0
	s_barrier_signal -1
	s_barrier_wait -1
	v_cmpx_gt_u32_e32 16, v14
	s_cbranch_execz .LBB987_119
; %bb.118:
	ds_load_b32 v61, v4
	s_wait_dscnt 0x0
	v_mov_b32_dpp v62, v61 row_shr:1 row_mask:0xf bank_mask:0xf
	s_delay_alu instid0(VALU_DEP_1) | instskip(NEXT) | instid1(VALU_DEP_1)
	v_cndmask_b32_e64 v62, v62, 0, vcc_lo
	v_add_nc_u32_e32 v61, v62, v61
	s_delay_alu instid0(VALU_DEP_1) | instskip(NEXT) | instid1(VALU_DEP_1)
	v_mov_b32_dpp v62, v61 row_shr:2 row_mask:0xf bank_mask:0xf
	v_cndmask_b32_e64 v62, 0, v62, s0
	s_delay_alu instid0(VALU_DEP_1) | instskip(NEXT) | instid1(VALU_DEP_1)
	v_add_nc_u32_e32 v61, v61, v62
	v_mov_b32_dpp v62, v61 row_shr:4 row_mask:0xf bank_mask:0xf
	s_delay_alu instid0(VALU_DEP_1) | instskip(NEXT) | instid1(VALU_DEP_1)
	v_cndmask_b32_e64 v62, 0, v62, s1
	v_add_nc_u32_e32 v61, v61, v62
	s_delay_alu instid0(VALU_DEP_1) | instskip(NEXT) | instid1(VALU_DEP_1)
	v_mov_b32_dpp v62, v61 row_shr:8 row_mask:0xf bank_mask:0xf
	v_cndmask_b32_e64 v62, 0, v62, s2
	s_delay_alu instid0(VALU_DEP_1)
	v_add_nc_u32_e32 v61, v61, v62
	ds_store_b32 v4, v61
.LBB987_119:
	s_or_b32 exec_lo, exec_lo, s4
	v_mov_b32_e32 v61, 0
	s_mov_b32 s0, exec_lo
	s_wait_dscnt 0x0
	s_barrier_signal -1
	s_barrier_wait -1
	v_cmpx_lt_u32_e32 31, v14
; %bb.120:
	v_lshl_add_u32 v60, v60, 2, -4
	ds_load_b32 v61, v60
; %bb.121:
	s_or_b32 exec_lo, exec_lo, s0
	v_sub_co_u32 v60, vcc_lo, v16, 1
	s_wait_dscnt 0x0
	v_add_nc_u32_e32 v17, v61, v17
	s_delay_alu instid0(VALU_DEP_2) | instskip(NEXT) | instid1(VALU_DEP_1)
	v_cmp_gt_i32_e64 s0, 0, v60
	v_cndmask_b32_e64 v16, v60, v16, s0
	v_cmp_lt_u32_e64 s0, 0xff, v14
	s_delay_alu instid0(VALU_DEP_2) | instskip(SKIP_4) | instid1(VALU_DEP_2)
	v_lshlrev_b32_e32 v16, 2, v16
	ds_bpermute_b32 v16, v16, v17
	s_wait_dscnt 0x0
	v_cndmask_b32_e32 v16, v16, v61, vcc_lo
	v_cmp_ne_u32_e32 vcc_lo, 0, v14
	v_cndmask_b32_e32 v16, 0, v16, vcc_lo
	v_cmp_gt_u32_e32 vcc_lo, 0x100, v14
	s_delay_alu instid0(VALU_DEP_2) | instskip(NEXT) | instid1(VALU_DEP_1)
	v_add_nc_u32_e32 v8, v16, v8
	v_add_nc_u32_e32 v9, v8, v9
	s_delay_alu instid0(VALU_DEP_1) | instskip(NEXT) | instid1(VALU_DEP_1)
	v_add_nc_u32_e32 v6, v9, v6
	v_add_nc_u32_e32 v7, v6, v7
	s_delay_alu instid0(VALU_DEP_1) | instskip(NEXT) | instid1(VALU_DEP_1)
	;; [unrolled: 3-line block ×3, first 2 shown]
	v_add_nc_u32_e32 v0, v3, v0
	v_add_nc_u32_e32 v1, v0, v1
	ds_store_2addr_b32 v10, v16, v8 offset0:16 offset1:17
	ds_store_2addr_b32 v10, v9, v6 offset0:18 offset1:19
	;; [unrolled: 1-line block ×4, first 2 shown]
	ds_store_b32 v10, v1 offset:96
	s_wait_dscnt 0x0
	s_barrier_signal -1
	s_barrier_wait -1
	ds_load_b32 v62, v11 offset:64
	ds_load_b32 v60, v12 offset:64
	ds_load_b32 v61, v13 offset:64
	ds_load_b32 v17, v33 offset:64
	ds_load_b32 v16, v37 offset:64
	ds_load_b32 v33, v40 offset:64
	ds_load_b32 v37, v44 offset:64
	ds_load_b32 v40, v47 offset:64
	ds_load_b32 v44, v51 offset:64
	ds_load_b32 v47, v54 offset:64
	ds_load_b32 v51, v56 offset:64
	ds_load_b32 v54, v59 offset:64
	v_mov_b64_e32 v[0:1], 0
                                        ; implicit-def: $vgpr2
	s_and_saveexec_b32 s2, vcc_lo
	s_cbranch_execz .LBB987_125
; %bb.122:
	v_mul_u32_u24_e32 v0, 0x44, v14
	v_dual_mov_b32 v1, 0x1800 :: v_dual_add_nc_u32 v2, 1, v14
	s_mov_b32 s3, exec_lo
	ds_load_b32 v0, v0 offset:64
	v_cmpx_ne_u32_e32 0x100, v2
; %bb.123:
	v_mul_u32_u24_e32 v1, 0x44, v2
	ds_load_b32 v1, v1 offset:64
; %bb.124:
	s_or_b32 exec_lo, exec_lo, s3
	s_wait_dscnt 0x0
	v_dual_mov_b32 v1, 0 :: v_dual_sub_nc_u32 v2, v1, v0
.LBB987_125:
	s_or_b32 exec_lo, exec_lo, s2
	v_dual_mov_b32 v7, 0 :: v_dual_lshlrev_b32 v3, 3, v14
	s_wait_dscnt 0x0
	s_barrier_signal -1
	s_barrier_wait -1
	s_and_saveexec_b32 s1, vcc_lo
	s_cbranch_execz .LBB987_135
; %bb.126:
	v_lshl_add_u32 v6, s9, 8, v14
	v_dual_mov_b32 v10, 0 :: v_dual_bitop2_b32 v11, 2.0, v2 bitop3:0x54
	s_mov_b32 s2, 0
	s_mov_b32 s3, s9
	s_delay_alu instid0(VALU_DEP_2)
	v_lshl_add_u64 v[8:9], v[6:7], 2, s[10:11]
	global_store_b32 v6, v11, s[10:11] scale_offset scope:SCOPE_DEV
                                        ; implicit-def: $sgpr4
	s_branch .LBB987_129
.LBB987_127:                            ;   in Loop: Header=BB987_129 Depth=1
	s_or_b32 exec_lo, exec_lo, s6
.LBB987_128:                            ;   in Loop: Header=BB987_129 Depth=1
	s_delay_alu instid0(SALU_CYCLE_1) | instskip(SKIP_2) | instid1(VALU_DEP_2)
	s_or_b32 exec_lo, exec_lo, s4
	v_and_b32_e32 v6, 0x3fffffff, v11
	v_cmp_gt_i32_e64 s4, -2.0, v11
	v_add_nc_u32_e32 v10, v6, v10
	s_and_b32 s6, exec_lo, s4
	s_delay_alu instid0(SALU_CYCLE_1) | instskip(NEXT) | instid1(SALU_CYCLE_1)
	s_or_b32 s2, s6, s2
	s_and_not1_b32 exec_lo, exec_lo, s2
	s_cbranch_execz .LBB987_134
.LBB987_129:                            ; =>This Loop Header: Depth=1
                                        ;     Child Loop BB987_132 Depth 2
	s_or_b32 s4, s4, exec_lo
	s_cmp_eq_u32 s3, 0
	s_cbranch_scc1 .LBB987_133
; %bb.130:                              ;   in Loop: Header=BB987_129 Depth=1
	s_add_co_i32 s3, s3, -1
	s_mov_b32 s4, exec_lo
	s_wait_xcnt 0x0
	v_lshl_or_b32 v6, s3, 8, v14
	global_load_b32 v11, v6, s[10:11] scale_offset scope:SCOPE_DEV
	s_wait_loadcnt 0x0
	v_cmpx_gt_u32_e32 2.0, v11
	s_cbranch_execz .LBB987_128
; %bb.131:                              ;   in Loop: Header=BB987_129 Depth=1
	v_lshl_add_u64 v[12:13], v[6:7], 2, s[10:11]
	s_mov_b32 s6, 0
.LBB987_132:                            ;   Parent Loop BB987_129 Depth=1
                                        ; =>  This Inner Loop Header: Depth=2
	global_load_b32 v11, v[12:13], off scope:SCOPE_DEV
	s_wait_loadcnt 0x0
	v_cmp_lt_u32_e32 vcc_lo, 0x3fffffff, v11
	s_or_b32 s6, vcc_lo, s6
	s_wait_xcnt 0x0
	s_and_not1_b32 exec_lo, exec_lo, s6
	s_cbranch_execnz .LBB987_132
	s_branch .LBB987_127
.LBB987_133:                            ;   in Loop: Header=BB987_129 Depth=1
                                        ; implicit-def: $sgpr3
	s_and_b32 s6, exec_lo, s4
	s_delay_alu instid0(SALU_CYCLE_1)
	s_or_b32 s2, s6, s2
	s_wait_xcnt 0x0
	s_and_not1_b32 exec_lo, exec_lo, s2
	s_cbranch_execnz .LBB987_129
.LBB987_134:
	s_or_b32 exec_lo, exec_lo, s2
	v_dual_mov_b32 v11, 0 :: v_dual_add_nc_u32 v6, v10, v2
	s_delay_alu instid0(VALU_DEP_1) | instskip(SKIP_4) | instid1(VALU_DEP_1)
	v_or_b32_e32 v6, 0x80000000, v6
	global_store_b32 v[8:9], v6, off scope:SCOPE_DEV
	global_load_b64 v[6:7], v14, s[12:13] scale_offset
	v_sub_nc_u64_e32 v[8:9], v[10:11], v[0:1]
	s_wait_loadcnt 0x0
	v_add_nc_u64_e32 v[6:7], v[8:9], v[6:7]
	ds_store_b64 v3, v[6:7]
.LBB987_135:
	s_wait_xcnt 0x0
	s_or_b32 exec_lo, exec_lo, s1
	v_dual_add_nc_u32 v6, v62, v5 :: v_dual_sub_nc_u32 v56, 0, v4
	v_mov_b32_e32 v5, 0
	v_add3_u32 v21, v22, v60, v21
	v_add3_u32 v7, v58, v54, v57
	;; [unrolled: 1-line block ×3, first 2 shown]
	v_add_nc_u32_e32 v22, v3, v56
	v_add_nc_u64_e32 v[4:5], s[18:19], v[4:5]
	v_add3_u32 v9, v52, v47, v50
	v_add3_u32 v10, v48, v44, v46
	;; [unrolled: 1-line block ×6, first 2 shown]
	v_add_nc_u64_e32 v[4:5], 0x2000, v[4:5]
	v_add3_u32 v17, v28, v17, v27
	v_add3_u32 v24, v25, v61, v24
	v_mov_b32_e32 v25, v14
	s_mov_b32 s1, 0
	s_mov_b32 s2, -1
	s_branch .LBB987_137
.LBB987_136:                            ;   in Loop: Header=BB987_137 Depth=1
	s_wait_xcnt 0x0
	s_or_b32 exec_lo, exec_lo, s3
	v_add_nc_u64_e32 v[4:5], 0x4000, v[4:5]
	v_add_nc_u32_e32 v25, 0x1000, v25
	s_xor_b32 s2, s2, -1
	s_addk_co_i32 s1, 0xf000
	s_and_b32 vcc_lo, exec_lo, s2
	s_mov_b32 s2, 0
	s_wait_storecnt 0x0
	s_barrier_signal -1
	s_barrier_wait -1
	s_cbranch_vccnz .LBB987_147
.LBB987_137:                            ; =>This Inner Loop Header: Depth=1
	v_add_min_u32_e64 v27, v6, s1, 0x1000
	v_add_min_u32_e64 v28, v21, s1, 0x1000
	v_add_min_u32_e64 v30, v24, s1, 0x1000
	v_add_min_u32_e64 v31, v17, s1, 0x1000
	v_add_min_u32_e64 v33, v16, s1, 0x1000
	s_delay_alu instid0(VALU_DEP_4)
	v_dual_lshlrev_b32 v27, 2, v27 :: v_dual_lshlrev_b32 v28, 2, v28
	v_add_min_u32_e64 v34, v13, s1, 0x1000
	v_add_min_u32_e64 v35, v12, s1, 0x1000
	s_mov_b32 s3, exec_lo
	ds_store_b32 v27, v15 offset:2048
	ds_store_b32 v28, v18 offset:2048
	v_dual_lshlrev_b32 v27, 2, v30 :: v_dual_lshlrev_b32 v28, 2, v31
	v_dual_lshlrev_b32 v30, 2, v33 :: v_dual_lshlrev_b32 v31, 2, v34
	v_lshlrev_b32_e32 v33, 2, v35
	ds_store_b32 v27, v19 offset:2048
	ds_store_b32 v28, v20 offset:2048
	;; [unrolled: 1-line block ×5, first 2 shown]
	v_add_min_u32_e64 v27, v11, s1, 0x1000
	v_add_min_u32_e64 v28, v10, s1, 0x1000
	;; [unrolled: 1-line block ×5, first 2 shown]
	s_delay_alu instid0(VALU_DEP_4) | instskip(NEXT) | instid1(VALU_DEP_3)
	v_dual_lshlrev_b32 v27, 2, v27 :: v_dual_lshlrev_b32 v28, 2, v28
	v_dual_lshlrev_b32 v30, 2, v30 :: v_dual_lshlrev_b32 v31, 2, v31
	s_delay_alu instid0(VALU_DEP_3)
	v_lshlrev_b32_e32 v33, 2, v33
	ds_store_b32 v27, v32 offset:2048
	ds_store_b32 v28, v36 offset:2048
	;; [unrolled: 1-line block ×5, first 2 shown]
	s_wait_storecnt_dscnt 0x0
	s_barrier_signal -1
	s_barrier_wait -1
	ds_load_2addr_stride64_b32 v[30:31], v22 offset0:8 offset1:16
	s_wait_dscnt 0x0
	v_dual_lshrrev_b32 v27, s20, v31 :: v_dual_lshrrev_b32 v28, s20, v30
	s_delay_alu instid0(VALU_DEP_1) | instskip(NEXT) | instid1(VALU_DEP_1)
	v_and_b32_e32 v28, s5, v28
	v_dual_lshlrev_b32 v28, 3, v28 :: v_dual_bitop2_b32 v27, s5, v27 bitop3:0x40
	s_delay_alu instid0(VALU_DEP_1)
	v_lshlrev_b32_e32 v27, 3, v27
	ds_load_b64 v[34:35], v27
	ds_load_b32 v27, v22 offset:6144
	s_wait_dscnt 0x0
	v_lshrrev_b32_e32 v33, s20, v27
	v_xor_b32_e32 v27, 0x80000000, v27
	s_delay_alu instid0(VALU_DEP_2) | instskip(NEXT) | instid1(VALU_DEP_1)
	v_and_b32_e32 v33, s5, v33
	v_lshlrev_b32_e32 v33, 3, v33
	ds_load_b64 v[38:39], v28
	ds_load_b64 v[42:43], v33
	v_xor_b32_e32 v28, 0x80000000, v30
	v_xor_b32_e32 v33, 0x80000000, v31
	v_lshl_add_u64 v[30:31], v[34:35], 2, v[4:5]
	s_wait_dscnt 0x1
	v_lshl_add_u64 v[38:39], v[38:39], 2, v[4:5]
	s_wait_dscnt 0x0
	v_lshl_add_u64 v[34:35], v[42:43], 2, v[4:5]
	s_clause 0x2
	global_store_b32 v[38:39], v28, off offset:-8192
	global_store_b32 v[30:31], v33, off offset:-6144
	;; [unrolled: 1-line block ×3, first 2 shown]
	s_wait_xcnt 0x0
	v_cmpx_gt_u32_e32 0x1200, v25
	s_cbranch_execz .LBB987_139
; %bb.138:                              ;   in Loop: Header=BB987_137 Depth=1
	ds_load_b32 v27, v22 offset:8192
	s_wait_dscnt 0x0
	v_lshrrev_b32_e32 v28, s20, v27
	v_xor_b32_e32 v27, 0x80000000, v27
	s_delay_alu instid0(VALU_DEP_2) | instskip(NEXT) | instid1(VALU_DEP_1)
	v_and_b32_e32 v28, s5, v28
	v_lshlrev_b32_e32 v28, 3, v28
	ds_load_b64 v[30:31], v28
	s_wait_dscnt 0x0
	v_lshl_add_u64 v[30:31], v[30:31], 2, v[4:5]
	global_store_b32 v[30:31], v27, off offset:-2048
.LBB987_139:                            ;   in Loop: Header=BB987_137 Depth=1
	s_wait_xcnt 0x0
	s_or_b32 exec_lo, exec_lo, s3
	v_add_nc_u32_e32 v27, 0x800, v25
	s_mov_b32 s3, exec_lo
	s_delay_alu instid0(VALU_DEP_1)
	v_cmpx_gt_u32_e32 0x1800, v27
	s_cbranch_execz .LBB987_141
; %bb.140:                              ;   in Loop: Header=BB987_137 Depth=1
	ds_load_b32 v27, v22 offset:10240
	s_wait_dscnt 0x0
	v_lshrrev_b32_e32 v28, s20, v27
	v_xor_b32_e32 v27, 0x80000000, v27
	s_delay_alu instid0(VALU_DEP_2) | instskip(NEXT) | instid1(VALU_DEP_1)
	v_and_b32_e32 v28, s5, v28
	v_lshlrev_b32_e32 v28, 3, v28
	ds_load_b64 v[30:31], v28
	s_wait_dscnt 0x0
	v_lshl_add_u64 v[30:31], v[30:31], 2, v[4:5]
	global_store_b32 v[30:31], v27, off
.LBB987_141:                            ;   in Loop: Header=BB987_137 Depth=1
	s_wait_xcnt 0x0
	s_or_b32 exec_lo, exec_lo, s3
	s_delay_alu instid0(SALU_CYCLE_1)
	s_mov_b32 s3, exec_lo
	v_cmpx_gt_u32_e32 0xe00, v25
	s_cbranch_execz .LBB987_143
; %bb.142:                              ;   in Loop: Header=BB987_137 Depth=1
	ds_load_b32 v27, v22 offset:12288
	s_wait_dscnt 0x0
	v_lshrrev_b32_e32 v28, s20, v27
	v_xor_b32_e32 v27, 0x80000000, v27
	s_delay_alu instid0(VALU_DEP_2) | instskip(NEXT) | instid1(VALU_DEP_1)
	v_and_b32_e32 v28, s5, v28
	v_lshlrev_b32_e32 v28, 3, v28
	ds_load_b64 v[30:31], v28
	s_wait_dscnt 0x0
	v_lshl_add_u64 v[30:31], v[30:31], 2, v[4:5]
	global_store_b32 v[30:31], v27, off offset:2048
.LBB987_143:                            ;   in Loop: Header=BB987_137 Depth=1
	s_wait_xcnt 0x0
	s_or_b32 exec_lo, exec_lo, s3
	v_add_nc_u32_e32 v27, 0xc00, v25
	s_mov_b32 s3, exec_lo
	s_delay_alu instid0(VALU_DEP_1)
	v_cmpx_gt_u32_e32 0x1800, v27
	s_cbranch_execz .LBB987_145
; %bb.144:                              ;   in Loop: Header=BB987_137 Depth=1
	ds_load_b32 v27, v22 offset:14336
	s_wait_dscnt 0x0
	v_lshrrev_b32_e32 v28, s20, v27
	v_xor_b32_e32 v27, 0x80000000, v27
	s_delay_alu instid0(VALU_DEP_2) | instskip(NEXT) | instid1(VALU_DEP_1)
	v_and_b32_e32 v28, s5, v28
	v_lshlrev_b32_e32 v28, 3, v28
	ds_load_b64 v[30:31], v28
	s_wait_dscnt 0x0
	v_lshl_add_u64 v[30:31], v[30:31], 2, v[4:5]
	global_store_b32 v[30:31], v27, off offset:4096
.LBB987_145:                            ;   in Loop: Header=BB987_137 Depth=1
	s_wait_xcnt 0x0
	s_or_b32 exec_lo, exec_lo, s3
	s_delay_alu instid0(SALU_CYCLE_1)
	s_mov_b32 s3, exec_lo
	v_cmpx_gt_u32_e32 0xa00, v25
	s_cbranch_execz .LBB987_136
; %bb.146:                              ;   in Loop: Header=BB987_137 Depth=1
	ds_load_b32 v27, v22 offset:16384
	s_wait_dscnt 0x0
	v_lshrrev_b32_e32 v28, s20, v27
	v_xor_b32_e32 v27, 0x80000000, v27
	s_delay_alu instid0(VALU_DEP_2) | instskip(NEXT) | instid1(VALU_DEP_1)
	v_and_b32_e32 v28, s5, v28
	v_lshlrev_b32_e32 v28, 3, v28
	ds_load_b64 v[30:31], v28
	s_wait_dscnt 0x0
	v_lshl_add_u64 v[30:31], v[30:31], 2, v[4:5]
	global_store_b32 v[30:31], v27, off offset:6144
	s_branch .LBB987_136
.LBB987_147:
	s_add_co_i32 s7, s7, -1
	s_delay_alu instid0(SALU_CYCLE_1) | instskip(SKIP_2) | instid1(SALU_CYCLE_1)
	s_cmp_eq_u32 s9, s7
	s_cselect_b32 s1, -1, 0
	s_xor_b32 s0, s0, -1
	s_and_b32 s0, s0, s1
	s_delay_alu instid0(SALU_CYCLE_1)
	s_and_saveexec_b32 s1, s0
	s_cbranch_execz .LBB987_149
; %bb.148:
	ds_load_b64 v[4:5], v3
	v_mov_b32_e32 v3, 0
	s_delay_alu instid0(VALU_DEP_1) | instskip(SKIP_1) | instid1(VALU_DEP_1)
	v_add_nc_u64_e32 v[0:1], v[0:1], v[2:3]
	s_wait_dscnt 0x0
	v_add_nc_u64_e32 v[0:1], v[0:1], v[4:5]
	global_store_b64 v14, v[0:1], s[14:15] scale_offset
.LBB987_149:
	s_sendmsg sendmsg(MSG_DEALLOC_VGPRS)
	s_endpgm
	.section	.rodata,"a",@progbits
	.p2align	6, 0x0
	.amdhsa_kernel _ZN7rocprim17ROCPRIM_400000_NS6detail17trampoline_kernelINS0_14default_configENS1_35radix_sort_onesweep_config_selectorIiNS0_10empty_typeEEEZZNS1_29radix_sort_onesweep_iterationIS3_Lb0EPKiPiPS5_SB_mNS0_19identity_decomposerENS1_16block_id_wrapperIjLb0EEEEE10hipError_tT1_PNSt15iterator_traitsISG_E10value_typeET2_T3_PNSH_ISM_E10value_typeET4_T5_PSR_SS_PNS1_23onesweep_lookback_stateEbbT6_jjT7_P12ihipStream_tbENKUlT_T0_SG_SL_E_clISA_SA_SB_SB_EEDaSZ_S10_SG_SL_EUlSZ_E_NS1_11comp_targetILNS1_3genE0ELNS1_11target_archE4294967295ELNS1_3gpuE0ELNS1_3repE0EEENS1_47radix_sort_onesweep_sort_config_static_selectorELNS0_4arch9wavefront6targetE0EEEvSG_
		.amdhsa_group_segment_fixed_size 18504
		.amdhsa_private_segment_fixed_size 0
		.amdhsa_kernarg_size 344
		.amdhsa_user_sgpr_count 2
		.amdhsa_user_sgpr_dispatch_ptr 0
		.amdhsa_user_sgpr_queue_ptr 0
		.amdhsa_user_sgpr_kernarg_segment_ptr 1
		.amdhsa_user_sgpr_dispatch_id 0
		.amdhsa_user_sgpr_kernarg_preload_length 0
		.amdhsa_user_sgpr_kernarg_preload_offset 0
		.amdhsa_user_sgpr_private_segment_size 0
		.amdhsa_wavefront_size32 1
		.amdhsa_uses_dynamic_stack 0
		.amdhsa_enable_private_segment 0
		.amdhsa_system_sgpr_workgroup_id_x 1
		.amdhsa_system_sgpr_workgroup_id_y 0
		.amdhsa_system_sgpr_workgroup_id_z 0
		.amdhsa_system_sgpr_workgroup_info 0
		.amdhsa_system_vgpr_workitem_id 2
		.amdhsa_next_free_vgpr 65
		.amdhsa_next_free_sgpr 29
		.amdhsa_named_barrier_count 0
		.amdhsa_reserve_vcc 1
		.amdhsa_float_round_mode_32 0
		.amdhsa_float_round_mode_16_64 0
		.amdhsa_float_denorm_mode_32 3
		.amdhsa_float_denorm_mode_16_64 3
		.amdhsa_fp16_overflow 0
		.amdhsa_memory_ordered 1
		.amdhsa_forward_progress 1
		.amdhsa_inst_pref_size 121
		.amdhsa_round_robin_scheduling 0
		.amdhsa_exception_fp_ieee_invalid_op 0
		.amdhsa_exception_fp_denorm_src 0
		.amdhsa_exception_fp_ieee_div_zero 0
		.amdhsa_exception_fp_ieee_overflow 0
		.amdhsa_exception_fp_ieee_underflow 0
		.amdhsa_exception_fp_ieee_inexact 0
		.amdhsa_exception_int_div_zero 0
	.end_amdhsa_kernel
	.section	.text._ZN7rocprim17ROCPRIM_400000_NS6detail17trampoline_kernelINS0_14default_configENS1_35radix_sort_onesweep_config_selectorIiNS0_10empty_typeEEEZZNS1_29radix_sort_onesweep_iterationIS3_Lb0EPKiPiPS5_SB_mNS0_19identity_decomposerENS1_16block_id_wrapperIjLb0EEEEE10hipError_tT1_PNSt15iterator_traitsISG_E10value_typeET2_T3_PNSH_ISM_E10value_typeET4_T5_PSR_SS_PNS1_23onesweep_lookback_stateEbbT6_jjT7_P12ihipStream_tbENKUlT_T0_SG_SL_E_clISA_SA_SB_SB_EEDaSZ_S10_SG_SL_EUlSZ_E_NS1_11comp_targetILNS1_3genE0ELNS1_11target_archE4294967295ELNS1_3gpuE0ELNS1_3repE0EEENS1_47radix_sort_onesweep_sort_config_static_selectorELNS0_4arch9wavefront6targetE0EEEvSG_,"axG",@progbits,_ZN7rocprim17ROCPRIM_400000_NS6detail17trampoline_kernelINS0_14default_configENS1_35radix_sort_onesweep_config_selectorIiNS0_10empty_typeEEEZZNS1_29radix_sort_onesweep_iterationIS3_Lb0EPKiPiPS5_SB_mNS0_19identity_decomposerENS1_16block_id_wrapperIjLb0EEEEE10hipError_tT1_PNSt15iterator_traitsISG_E10value_typeET2_T3_PNSH_ISM_E10value_typeET4_T5_PSR_SS_PNS1_23onesweep_lookback_stateEbbT6_jjT7_P12ihipStream_tbENKUlT_T0_SG_SL_E_clISA_SA_SB_SB_EEDaSZ_S10_SG_SL_EUlSZ_E_NS1_11comp_targetILNS1_3genE0ELNS1_11target_archE4294967295ELNS1_3gpuE0ELNS1_3repE0EEENS1_47radix_sort_onesweep_sort_config_static_selectorELNS0_4arch9wavefront6targetE0EEEvSG_,comdat
.Lfunc_end987:
	.size	_ZN7rocprim17ROCPRIM_400000_NS6detail17trampoline_kernelINS0_14default_configENS1_35radix_sort_onesweep_config_selectorIiNS0_10empty_typeEEEZZNS1_29radix_sort_onesweep_iterationIS3_Lb0EPKiPiPS5_SB_mNS0_19identity_decomposerENS1_16block_id_wrapperIjLb0EEEEE10hipError_tT1_PNSt15iterator_traitsISG_E10value_typeET2_T3_PNSH_ISM_E10value_typeET4_T5_PSR_SS_PNS1_23onesweep_lookback_stateEbbT6_jjT7_P12ihipStream_tbENKUlT_T0_SG_SL_E_clISA_SA_SB_SB_EEDaSZ_S10_SG_SL_EUlSZ_E_NS1_11comp_targetILNS1_3genE0ELNS1_11target_archE4294967295ELNS1_3gpuE0ELNS1_3repE0EEENS1_47radix_sort_onesweep_sort_config_static_selectorELNS0_4arch9wavefront6targetE0EEEvSG_, .Lfunc_end987-_ZN7rocprim17ROCPRIM_400000_NS6detail17trampoline_kernelINS0_14default_configENS1_35radix_sort_onesweep_config_selectorIiNS0_10empty_typeEEEZZNS1_29radix_sort_onesweep_iterationIS3_Lb0EPKiPiPS5_SB_mNS0_19identity_decomposerENS1_16block_id_wrapperIjLb0EEEEE10hipError_tT1_PNSt15iterator_traitsISG_E10value_typeET2_T3_PNSH_ISM_E10value_typeET4_T5_PSR_SS_PNS1_23onesweep_lookback_stateEbbT6_jjT7_P12ihipStream_tbENKUlT_T0_SG_SL_E_clISA_SA_SB_SB_EEDaSZ_S10_SG_SL_EUlSZ_E_NS1_11comp_targetILNS1_3genE0ELNS1_11target_archE4294967295ELNS1_3gpuE0ELNS1_3repE0EEENS1_47radix_sort_onesweep_sort_config_static_selectorELNS0_4arch9wavefront6targetE0EEEvSG_
                                        ; -- End function
	.set _ZN7rocprim17ROCPRIM_400000_NS6detail17trampoline_kernelINS0_14default_configENS1_35radix_sort_onesweep_config_selectorIiNS0_10empty_typeEEEZZNS1_29radix_sort_onesweep_iterationIS3_Lb0EPKiPiPS5_SB_mNS0_19identity_decomposerENS1_16block_id_wrapperIjLb0EEEEE10hipError_tT1_PNSt15iterator_traitsISG_E10value_typeET2_T3_PNSH_ISM_E10value_typeET4_T5_PSR_SS_PNS1_23onesweep_lookback_stateEbbT6_jjT7_P12ihipStream_tbENKUlT_T0_SG_SL_E_clISA_SA_SB_SB_EEDaSZ_S10_SG_SL_EUlSZ_E_NS1_11comp_targetILNS1_3genE0ELNS1_11target_archE4294967295ELNS1_3gpuE0ELNS1_3repE0EEENS1_47radix_sort_onesweep_sort_config_static_selectorELNS0_4arch9wavefront6targetE0EEEvSG_.num_vgpr, 65
	.set _ZN7rocprim17ROCPRIM_400000_NS6detail17trampoline_kernelINS0_14default_configENS1_35radix_sort_onesweep_config_selectorIiNS0_10empty_typeEEEZZNS1_29radix_sort_onesweep_iterationIS3_Lb0EPKiPiPS5_SB_mNS0_19identity_decomposerENS1_16block_id_wrapperIjLb0EEEEE10hipError_tT1_PNSt15iterator_traitsISG_E10value_typeET2_T3_PNSH_ISM_E10value_typeET4_T5_PSR_SS_PNS1_23onesweep_lookback_stateEbbT6_jjT7_P12ihipStream_tbENKUlT_T0_SG_SL_E_clISA_SA_SB_SB_EEDaSZ_S10_SG_SL_EUlSZ_E_NS1_11comp_targetILNS1_3genE0ELNS1_11target_archE4294967295ELNS1_3gpuE0ELNS1_3repE0EEENS1_47radix_sort_onesweep_sort_config_static_selectorELNS0_4arch9wavefront6targetE0EEEvSG_.num_agpr, 0
	.set _ZN7rocprim17ROCPRIM_400000_NS6detail17trampoline_kernelINS0_14default_configENS1_35radix_sort_onesweep_config_selectorIiNS0_10empty_typeEEEZZNS1_29radix_sort_onesweep_iterationIS3_Lb0EPKiPiPS5_SB_mNS0_19identity_decomposerENS1_16block_id_wrapperIjLb0EEEEE10hipError_tT1_PNSt15iterator_traitsISG_E10value_typeET2_T3_PNSH_ISM_E10value_typeET4_T5_PSR_SS_PNS1_23onesweep_lookback_stateEbbT6_jjT7_P12ihipStream_tbENKUlT_T0_SG_SL_E_clISA_SA_SB_SB_EEDaSZ_S10_SG_SL_EUlSZ_E_NS1_11comp_targetILNS1_3genE0ELNS1_11target_archE4294967295ELNS1_3gpuE0ELNS1_3repE0EEENS1_47radix_sort_onesweep_sort_config_static_selectorELNS0_4arch9wavefront6targetE0EEEvSG_.numbered_sgpr, 29
	.set _ZN7rocprim17ROCPRIM_400000_NS6detail17trampoline_kernelINS0_14default_configENS1_35radix_sort_onesweep_config_selectorIiNS0_10empty_typeEEEZZNS1_29radix_sort_onesweep_iterationIS3_Lb0EPKiPiPS5_SB_mNS0_19identity_decomposerENS1_16block_id_wrapperIjLb0EEEEE10hipError_tT1_PNSt15iterator_traitsISG_E10value_typeET2_T3_PNSH_ISM_E10value_typeET4_T5_PSR_SS_PNS1_23onesweep_lookback_stateEbbT6_jjT7_P12ihipStream_tbENKUlT_T0_SG_SL_E_clISA_SA_SB_SB_EEDaSZ_S10_SG_SL_EUlSZ_E_NS1_11comp_targetILNS1_3genE0ELNS1_11target_archE4294967295ELNS1_3gpuE0ELNS1_3repE0EEENS1_47radix_sort_onesweep_sort_config_static_selectorELNS0_4arch9wavefront6targetE0EEEvSG_.num_named_barrier, 0
	.set _ZN7rocprim17ROCPRIM_400000_NS6detail17trampoline_kernelINS0_14default_configENS1_35radix_sort_onesweep_config_selectorIiNS0_10empty_typeEEEZZNS1_29radix_sort_onesweep_iterationIS3_Lb0EPKiPiPS5_SB_mNS0_19identity_decomposerENS1_16block_id_wrapperIjLb0EEEEE10hipError_tT1_PNSt15iterator_traitsISG_E10value_typeET2_T3_PNSH_ISM_E10value_typeET4_T5_PSR_SS_PNS1_23onesweep_lookback_stateEbbT6_jjT7_P12ihipStream_tbENKUlT_T0_SG_SL_E_clISA_SA_SB_SB_EEDaSZ_S10_SG_SL_EUlSZ_E_NS1_11comp_targetILNS1_3genE0ELNS1_11target_archE4294967295ELNS1_3gpuE0ELNS1_3repE0EEENS1_47radix_sort_onesweep_sort_config_static_selectorELNS0_4arch9wavefront6targetE0EEEvSG_.private_seg_size, 0
	.set _ZN7rocprim17ROCPRIM_400000_NS6detail17trampoline_kernelINS0_14default_configENS1_35radix_sort_onesweep_config_selectorIiNS0_10empty_typeEEEZZNS1_29radix_sort_onesweep_iterationIS3_Lb0EPKiPiPS5_SB_mNS0_19identity_decomposerENS1_16block_id_wrapperIjLb0EEEEE10hipError_tT1_PNSt15iterator_traitsISG_E10value_typeET2_T3_PNSH_ISM_E10value_typeET4_T5_PSR_SS_PNS1_23onesweep_lookback_stateEbbT6_jjT7_P12ihipStream_tbENKUlT_T0_SG_SL_E_clISA_SA_SB_SB_EEDaSZ_S10_SG_SL_EUlSZ_E_NS1_11comp_targetILNS1_3genE0ELNS1_11target_archE4294967295ELNS1_3gpuE0ELNS1_3repE0EEENS1_47radix_sort_onesweep_sort_config_static_selectorELNS0_4arch9wavefront6targetE0EEEvSG_.uses_vcc, 1
	.set _ZN7rocprim17ROCPRIM_400000_NS6detail17trampoline_kernelINS0_14default_configENS1_35radix_sort_onesweep_config_selectorIiNS0_10empty_typeEEEZZNS1_29radix_sort_onesweep_iterationIS3_Lb0EPKiPiPS5_SB_mNS0_19identity_decomposerENS1_16block_id_wrapperIjLb0EEEEE10hipError_tT1_PNSt15iterator_traitsISG_E10value_typeET2_T3_PNSH_ISM_E10value_typeET4_T5_PSR_SS_PNS1_23onesweep_lookback_stateEbbT6_jjT7_P12ihipStream_tbENKUlT_T0_SG_SL_E_clISA_SA_SB_SB_EEDaSZ_S10_SG_SL_EUlSZ_E_NS1_11comp_targetILNS1_3genE0ELNS1_11target_archE4294967295ELNS1_3gpuE0ELNS1_3repE0EEENS1_47radix_sort_onesweep_sort_config_static_selectorELNS0_4arch9wavefront6targetE0EEEvSG_.uses_flat_scratch, 0
	.set _ZN7rocprim17ROCPRIM_400000_NS6detail17trampoline_kernelINS0_14default_configENS1_35radix_sort_onesweep_config_selectorIiNS0_10empty_typeEEEZZNS1_29radix_sort_onesweep_iterationIS3_Lb0EPKiPiPS5_SB_mNS0_19identity_decomposerENS1_16block_id_wrapperIjLb0EEEEE10hipError_tT1_PNSt15iterator_traitsISG_E10value_typeET2_T3_PNSH_ISM_E10value_typeET4_T5_PSR_SS_PNS1_23onesweep_lookback_stateEbbT6_jjT7_P12ihipStream_tbENKUlT_T0_SG_SL_E_clISA_SA_SB_SB_EEDaSZ_S10_SG_SL_EUlSZ_E_NS1_11comp_targetILNS1_3genE0ELNS1_11target_archE4294967295ELNS1_3gpuE0ELNS1_3repE0EEENS1_47radix_sort_onesweep_sort_config_static_selectorELNS0_4arch9wavefront6targetE0EEEvSG_.has_dyn_sized_stack, 0
	.set _ZN7rocprim17ROCPRIM_400000_NS6detail17trampoline_kernelINS0_14default_configENS1_35radix_sort_onesweep_config_selectorIiNS0_10empty_typeEEEZZNS1_29radix_sort_onesweep_iterationIS3_Lb0EPKiPiPS5_SB_mNS0_19identity_decomposerENS1_16block_id_wrapperIjLb0EEEEE10hipError_tT1_PNSt15iterator_traitsISG_E10value_typeET2_T3_PNSH_ISM_E10value_typeET4_T5_PSR_SS_PNS1_23onesweep_lookback_stateEbbT6_jjT7_P12ihipStream_tbENKUlT_T0_SG_SL_E_clISA_SA_SB_SB_EEDaSZ_S10_SG_SL_EUlSZ_E_NS1_11comp_targetILNS1_3genE0ELNS1_11target_archE4294967295ELNS1_3gpuE0ELNS1_3repE0EEENS1_47radix_sort_onesweep_sort_config_static_selectorELNS0_4arch9wavefront6targetE0EEEvSG_.has_recursion, 0
	.set _ZN7rocprim17ROCPRIM_400000_NS6detail17trampoline_kernelINS0_14default_configENS1_35radix_sort_onesweep_config_selectorIiNS0_10empty_typeEEEZZNS1_29radix_sort_onesweep_iterationIS3_Lb0EPKiPiPS5_SB_mNS0_19identity_decomposerENS1_16block_id_wrapperIjLb0EEEEE10hipError_tT1_PNSt15iterator_traitsISG_E10value_typeET2_T3_PNSH_ISM_E10value_typeET4_T5_PSR_SS_PNS1_23onesweep_lookback_stateEbbT6_jjT7_P12ihipStream_tbENKUlT_T0_SG_SL_E_clISA_SA_SB_SB_EEDaSZ_S10_SG_SL_EUlSZ_E_NS1_11comp_targetILNS1_3genE0ELNS1_11target_archE4294967295ELNS1_3gpuE0ELNS1_3repE0EEENS1_47radix_sort_onesweep_sort_config_static_selectorELNS0_4arch9wavefront6targetE0EEEvSG_.has_indirect_call, 0
	.section	.AMDGPU.csdata,"",@progbits
; Kernel info:
; codeLenInByte = 15468
; TotalNumSgprs: 31
; NumVgprs: 65
; ScratchSize: 0
; MemoryBound: 0
; FloatMode: 240
; IeeeMode: 1
; LDSByteSize: 18504 bytes/workgroup (compile time only)
; SGPRBlocks: 0
; VGPRBlocks: 4
; NumSGPRsForWavesPerEU: 31
; NumVGPRsForWavesPerEU: 65
; NamedBarCnt: 0
; Occupancy: 12
; WaveLimiterHint : 1
; COMPUTE_PGM_RSRC2:SCRATCH_EN: 0
; COMPUTE_PGM_RSRC2:USER_SGPR: 2
; COMPUTE_PGM_RSRC2:TRAP_HANDLER: 0
; COMPUTE_PGM_RSRC2:TGID_X_EN: 1
; COMPUTE_PGM_RSRC2:TGID_Y_EN: 0
; COMPUTE_PGM_RSRC2:TGID_Z_EN: 0
; COMPUTE_PGM_RSRC2:TIDIG_COMP_CNT: 2
	.section	.text._ZN7rocprim17ROCPRIM_400000_NS6detail17trampoline_kernelINS0_14default_configENS1_35radix_sort_onesweep_config_selectorIiNS0_10empty_typeEEEZZNS1_29radix_sort_onesweep_iterationIS3_Lb0EPKiPiPS5_SB_mNS0_19identity_decomposerENS1_16block_id_wrapperIjLb0EEEEE10hipError_tT1_PNSt15iterator_traitsISG_E10value_typeET2_T3_PNSH_ISM_E10value_typeET4_T5_PSR_SS_PNS1_23onesweep_lookback_stateEbbT6_jjT7_P12ihipStream_tbENKUlT_T0_SG_SL_E_clISA_SA_SB_SB_EEDaSZ_S10_SG_SL_EUlSZ_E_NS1_11comp_targetILNS1_3genE6ELNS1_11target_archE950ELNS1_3gpuE13ELNS1_3repE0EEENS1_47radix_sort_onesweep_sort_config_static_selectorELNS0_4arch9wavefront6targetE0EEEvSG_,"axG",@progbits,_ZN7rocprim17ROCPRIM_400000_NS6detail17trampoline_kernelINS0_14default_configENS1_35radix_sort_onesweep_config_selectorIiNS0_10empty_typeEEEZZNS1_29radix_sort_onesweep_iterationIS3_Lb0EPKiPiPS5_SB_mNS0_19identity_decomposerENS1_16block_id_wrapperIjLb0EEEEE10hipError_tT1_PNSt15iterator_traitsISG_E10value_typeET2_T3_PNSH_ISM_E10value_typeET4_T5_PSR_SS_PNS1_23onesweep_lookback_stateEbbT6_jjT7_P12ihipStream_tbENKUlT_T0_SG_SL_E_clISA_SA_SB_SB_EEDaSZ_S10_SG_SL_EUlSZ_E_NS1_11comp_targetILNS1_3genE6ELNS1_11target_archE950ELNS1_3gpuE13ELNS1_3repE0EEENS1_47radix_sort_onesweep_sort_config_static_selectorELNS0_4arch9wavefront6targetE0EEEvSG_,comdat
	.protected	_ZN7rocprim17ROCPRIM_400000_NS6detail17trampoline_kernelINS0_14default_configENS1_35radix_sort_onesweep_config_selectorIiNS0_10empty_typeEEEZZNS1_29radix_sort_onesweep_iterationIS3_Lb0EPKiPiPS5_SB_mNS0_19identity_decomposerENS1_16block_id_wrapperIjLb0EEEEE10hipError_tT1_PNSt15iterator_traitsISG_E10value_typeET2_T3_PNSH_ISM_E10value_typeET4_T5_PSR_SS_PNS1_23onesweep_lookback_stateEbbT6_jjT7_P12ihipStream_tbENKUlT_T0_SG_SL_E_clISA_SA_SB_SB_EEDaSZ_S10_SG_SL_EUlSZ_E_NS1_11comp_targetILNS1_3genE6ELNS1_11target_archE950ELNS1_3gpuE13ELNS1_3repE0EEENS1_47radix_sort_onesweep_sort_config_static_selectorELNS0_4arch9wavefront6targetE0EEEvSG_ ; -- Begin function _ZN7rocprim17ROCPRIM_400000_NS6detail17trampoline_kernelINS0_14default_configENS1_35radix_sort_onesweep_config_selectorIiNS0_10empty_typeEEEZZNS1_29radix_sort_onesweep_iterationIS3_Lb0EPKiPiPS5_SB_mNS0_19identity_decomposerENS1_16block_id_wrapperIjLb0EEEEE10hipError_tT1_PNSt15iterator_traitsISG_E10value_typeET2_T3_PNSH_ISM_E10value_typeET4_T5_PSR_SS_PNS1_23onesweep_lookback_stateEbbT6_jjT7_P12ihipStream_tbENKUlT_T0_SG_SL_E_clISA_SA_SB_SB_EEDaSZ_S10_SG_SL_EUlSZ_E_NS1_11comp_targetILNS1_3genE6ELNS1_11target_archE950ELNS1_3gpuE13ELNS1_3repE0EEENS1_47radix_sort_onesweep_sort_config_static_selectorELNS0_4arch9wavefront6targetE0EEEvSG_
	.globl	_ZN7rocprim17ROCPRIM_400000_NS6detail17trampoline_kernelINS0_14default_configENS1_35radix_sort_onesweep_config_selectorIiNS0_10empty_typeEEEZZNS1_29radix_sort_onesweep_iterationIS3_Lb0EPKiPiPS5_SB_mNS0_19identity_decomposerENS1_16block_id_wrapperIjLb0EEEEE10hipError_tT1_PNSt15iterator_traitsISG_E10value_typeET2_T3_PNSH_ISM_E10value_typeET4_T5_PSR_SS_PNS1_23onesweep_lookback_stateEbbT6_jjT7_P12ihipStream_tbENKUlT_T0_SG_SL_E_clISA_SA_SB_SB_EEDaSZ_S10_SG_SL_EUlSZ_E_NS1_11comp_targetILNS1_3genE6ELNS1_11target_archE950ELNS1_3gpuE13ELNS1_3repE0EEENS1_47radix_sort_onesweep_sort_config_static_selectorELNS0_4arch9wavefront6targetE0EEEvSG_
	.p2align	8
	.type	_ZN7rocprim17ROCPRIM_400000_NS6detail17trampoline_kernelINS0_14default_configENS1_35radix_sort_onesweep_config_selectorIiNS0_10empty_typeEEEZZNS1_29radix_sort_onesweep_iterationIS3_Lb0EPKiPiPS5_SB_mNS0_19identity_decomposerENS1_16block_id_wrapperIjLb0EEEEE10hipError_tT1_PNSt15iterator_traitsISG_E10value_typeET2_T3_PNSH_ISM_E10value_typeET4_T5_PSR_SS_PNS1_23onesweep_lookback_stateEbbT6_jjT7_P12ihipStream_tbENKUlT_T0_SG_SL_E_clISA_SA_SB_SB_EEDaSZ_S10_SG_SL_EUlSZ_E_NS1_11comp_targetILNS1_3genE6ELNS1_11target_archE950ELNS1_3gpuE13ELNS1_3repE0EEENS1_47radix_sort_onesweep_sort_config_static_selectorELNS0_4arch9wavefront6targetE0EEEvSG_,@function
_ZN7rocprim17ROCPRIM_400000_NS6detail17trampoline_kernelINS0_14default_configENS1_35radix_sort_onesweep_config_selectorIiNS0_10empty_typeEEEZZNS1_29radix_sort_onesweep_iterationIS3_Lb0EPKiPiPS5_SB_mNS0_19identity_decomposerENS1_16block_id_wrapperIjLb0EEEEE10hipError_tT1_PNSt15iterator_traitsISG_E10value_typeET2_T3_PNSH_ISM_E10value_typeET4_T5_PSR_SS_PNS1_23onesweep_lookback_stateEbbT6_jjT7_P12ihipStream_tbENKUlT_T0_SG_SL_E_clISA_SA_SB_SB_EEDaSZ_S10_SG_SL_EUlSZ_E_NS1_11comp_targetILNS1_3genE6ELNS1_11target_archE950ELNS1_3gpuE13ELNS1_3repE0EEENS1_47radix_sort_onesweep_sort_config_static_selectorELNS0_4arch9wavefront6targetE0EEEvSG_: ; @_ZN7rocprim17ROCPRIM_400000_NS6detail17trampoline_kernelINS0_14default_configENS1_35radix_sort_onesweep_config_selectorIiNS0_10empty_typeEEEZZNS1_29radix_sort_onesweep_iterationIS3_Lb0EPKiPiPS5_SB_mNS0_19identity_decomposerENS1_16block_id_wrapperIjLb0EEEEE10hipError_tT1_PNSt15iterator_traitsISG_E10value_typeET2_T3_PNSH_ISM_E10value_typeET4_T5_PSR_SS_PNS1_23onesweep_lookback_stateEbbT6_jjT7_P12ihipStream_tbENKUlT_T0_SG_SL_E_clISA_SA_SB_SB_EEDaSZ_S10_SG_SL_EUlSZ_E_NS1_11comp_targetILNS1_3genE6ELNS1_11target_archE950ELNS1_3gpuE13ELNS1_3repE0EEENS1_47radix_sort_onesweep_sort_config_static_selectorELNS0_4arch9wavefront6targetE0EEEvSG_
; %bb.0:
	.section	.rodata,"a",@progbits
	.p2align	6, 0x0
	.amdhsa_kernel _ZN7rocprim17ROCPRIM_400000_NS6detail17trampoline_kernelINS0_14default_configENS1_35radix_sort_onesweep_config_selectorIiNS0_10empty_typeEEEZZNS1_29radix_sort_onesweep_iterationIS3_Lb0EPKiPiPS5_SB_mNS0_19identity_decomposerENS1_16block_id_wrapperIjLb0EEEEE10hipError_tT1_PNSt15iterator_traitsISG_E10value_typeET2_T3_PNSH_ISM_E10value_typeET4_T5_PSR_SS_PNS1_23onesweep_lookback_stateEbbT6_jjT7_P12ihipStream_tbENKUlT_T0_SG_SL_E_clISA_SA_SB_SB_EEDaSZ_S10_SG_SL_EUlSZ_E_NS1_11comp_targetILNS1_3genE6ELNS1_11target_archE950ELNS1_3gpuE13ELNS1_3repE0EEENS1_47radix_sort_onesweep_sort_config_static_selectorELNS0_4arch9wavefront6targetE0EEEvSG_
		.amdhsa_group_segment_fixed_size 0
		.amdhsa_private_segment_fixed_size 0
		.amdhsa_kernarg_size 88
		.amdhsa_user_sgpr_count 2
		.amdhsa_user_sgpr_dispatch_ptr 0
		.amdhsa_user_sgpr_queue_ptr 0
		.amdhsa_user_sgpr_kernarg_segment_ptr 1
		.amdhsa_user_sgpr_dispatch_id 0
		.amdhsa_user_sgpr_kernarg_preload_length 0
		.amdhsa_user_sgpr_kernarg_preload_offset 0
		.amdhsa_user_sgpr_private_segment_size 0
		.amdhsa_wavefront_size32 1
		.amdhsa_uses_dynamic_stack 0
		.amdhsa_enable_private_segment 0
		.amdhsa_system_sgpr_workgroup_id_x 1
		.amdhsa_system_sgpr_workgroup_id_y 0
		.amdhsa_system_sgpr_workgroup_id_z 0
		.amdhsa_system_sgpr_workgroup_info 0
		.amdhsa_system_vgpr_workitem_id 0
		.amdhsa_next_free_vgpr 1
		.amdhsa_next_free_sgpr 1
		.amdhsa_named_barrier_count 0
		.amdhsa_reserve_vcc 0
		.amdhsa_float_round_mode_32 0
		.amdhsa_float_round_mode_16_64 0
		.amdhsa_float_denorm_mode_32 3
		.amdhsa_float_denorm_mode_16_64 3
		.amdhsa_fp16_overflow 0
		.amdhsa_memory_ordered 1
		.amdhsa_forward_progress 1
		.amdhsa_inst_pref_size 0
		.amdhsa_round_robin_scheduling 0
		.amdhsa_exception_fp_ieee_invalid_op 0
		.amdhsa_exception_fp_denorm_src 0
		.amdhsa_exception_fp_ieee_div_zero 0
		.amdhsa_exception_fp_ieee_overflow 0
		.amdhsa_exception_fp_ieee_underflow 0
		.amdhsa_exception_fp_ieee_inexact 0
		.amdhsa_exception_int_div_zero 0
	.end_amdhsa_kernel
	.section	.text._ZN7rocprim17ROCPRIM_400000_NS6detail17trampoline_kernelINS0_14default_configENS1_35radix_sort_onesweep_config_selectorIiNS0_10empty_typeEEEZZNS1_29radix_sort_onesweep_iterationIS3_Lb0EPKiPiPS5_SB_mNS0_19identity_decomposerENS1_16block_id_wrapperIjLb0EEEEE10hipError_tT1_PNSt15iterator_traitsISG_E10value_typeET2_T3_PNSH_ISM_E10value_typeET4_T5_PSR_SS_PNS1_23onesweep_lookback_stateEbbT6_jjT7_P12ihipStream_tbENKUlT_T0_SG_SL_E_clISA_SA_SB_SB_EEDaSZ_S10_SG_SL_EUlSZ_E_NS1_11comp_targetILNS1_3genE6ELNS1_11target_archE950ELNS1_3gpuE13ELNS1_3repE0EEENS1_47radix_sort_onesweep_sort_config_static_selectorELNS0_4arch9wavefront6targetE0EEEvSG_,"axG",@progbits,_ZN7rocprim17ROCPRIM_400000_NS6detail17trampoline_kernelINS0_14default_configENS1_35radix_sort_onesweep_config_selectorIiNS0_10empty_typeEEEZZNS1_29radix_sort_onesweep_iterationIS3_Lb0EPKiPiPS5_SB_mNS0_19identity_decomposerENS1_16block_id_wrapperIjLb0EEEEE10hipError_tT1_PNSt15iterator_traitsISG_E10value_typeET2_T3_PNSH_ISM_E10value_typeET4_T5_PSR_SS_PNS1_23onesweep_lookback_stateEbbT6_jjT7_P12ihipStream_tbENKUlT_T0_SG_SL_E_clISA_SA_SB_SB_EEDaSZ_S10_SG_SL_EUlSZ_E_NS1_11comp_targetILNS1_3genE6ELNS1_11target_archE950ELNS1_3gpuE13ELNS1_3repE0EEENS1_47radix_sort_onesweep_sort_config_static_selectorELNS0_4arch9wavefront6targetE0EEEvSG_,comdat
.Lfunc_end988:
	.size	_ZN7rocprim17ROCPRIM_400000_NS6detail17trampoline_kernelINS0_14default_configENS1_35radix_sort_onesweep_config_selectorIiNS0_10empty_typeEEEZZNS1_29radix_sort_onesweep_iterationIS3_Lb0EPKiPiPS5_SB_mNS0_19identity_decomposerENS1_16block_id_wrapperIjLb0EEEEE10hipError_tT1_PNSt15iterator_traitsISG_E10value_typeET2_T3_PNSH_ISM_E10value_typeET4_T5_PSR_SS_PNS1_23onesweep_lookback_stateEbbT6_jjT7_P12ihipStream_tbENKUlT_T0_SG_SL_E_clISA_SA_SB_SB_EEDaSZ_S10_SG_SL_EUlSZ_E_NS1_11comp_targetILNS1_3genE6ELNS1_11target_archE950ELNS1_3gpuE13ELNS1_3repE0EEENS1_47radix_sort_onesweep_sort_config_static_selectorELNS0_4arch9wavefront6targetE0EEEvSG_, .Lfunc_end988-_ZN7rocprim17ROCPRIM_400000_NS6detail17trampoline_kernelINS0_14default_configENS1_35radix_sort_onesweep_config_selectorIiNS0_10empty_typeEEEZZNS1_29radix_sort_onesweep_iterationIS3_Lb0EPKiPiPS5_SB_mNS0_19identity_decomposerENS1_16block_id_wrapperIjLb0EEEEE10hipError_tT1_PNSt15iterator_traitsISG_E10value_typeET2_T3_PNSH_ISM_E10value_typeET4_T5_PSR_SS_PNS1_23onesweep_lookback_stateEbbT6_jjT7_P12ihipStream_tbENKUlT_T0_SG_SL_E_clISA_SA_SB_SB_EEDaSZ_S10_SG_SL_EUlSZ_E_NS1_11comp_targetILNS1_3genE6ELNS1_11target_archE950ELNS1_3gpuE13ELNS1_3repE0EEENS1_47radix_sort_onesweep_sort_config_static_selectorELNS0_4arch9wavefront6targetE0EEEvSG_
                                        ; -- End function
	.set _ZN7rocprim17ROCPRIM_400000_NS6detail17trampoline_kernelINS0_14default_configENS1_35radix_sort_onesweep_config_selectorIiNS0_10empty_typeEEEZZNS1_29radix_sort_onesweep_iterationIS3_Lb0EPKiPiPS5_SB_mNS0_19identity_decomposerENS1_16block_id_wrapperIjLb0EEEEE10hipError_tT1_PNSt15iterator_traitsISG_E10value_typeET2_T3_PNSH_ISM_E10value_typeET4_T5_PSR_SS_PNS1_23onesweep_lookback_stateEbbT6_jjT7_P12ihipStream_tbENKUlT_T0_SG_SL_E_clISA_SA_SB_SB_EEDaSZ_S10_SG_SL_EUlSZ_E_NS1_11comp_targetILNS1_3genE6ELNS1_11target_archE950ELNS1_3gpuE13ELNS1_3repE0EEENS1_47radix_sort_onesweep_sort_config_static_selectorELNS0_4arch9wavefront6targetE0EEEvSG_.num_vgpr, 0
	.set _ZN7rocprim17ROCPRIM_400000_NS6detail17trampoline_kernelINS0_14default_configENS1_35radix_sort_onesweep_config_selectorIiNS0_10empty_typeEEEZZNS1_29radix_sort_onesweep_iterationIS3_Lb0EPKiPiPS5_SB_mNS0_19identity_decomposerENS1_16block_id_wrapperIjLb0EEEEE10hipError_tT1_PNSt15iterator_traitsISG_E10value_typeET2_T3_PNSH_ISM_E10value_typeET4_T5_PSR_SS_PNS1_23onesweep_lookback_stateEbbT6_jjT7_P12ihipStream_tbENKUlT_T0_SG_SL_E_clISA_SA_SB_SB_EEDaSZ_S10_SG_SL_EUlSZ_E_NS1_11comp_targetILNS1_3genE6ELNS1_11target_archE950ELNS1_3gpuE13ELNS1_3repE0EEENS1_47radix_sort_onesweep_sort_config_static_selectorELNS0_4arch9wavefront6targetE0EEEvSG_.num_agpr, 0
	.set _ZN7rocprim17ROCPRIM_400000_NS6detail17trampoline_kernelINS0_14default_configENS1_35radix_sort_onesweep_config_selectorIiNS0_10empty_typeEEEZZNS1_29radix_sort_onesweep_iterationIS3_Lb0EPKiPiPS5_SB_mNS0_19identity_decomposerENS1_16block_id_wrapperIjLb0EEEEE10hipError_tT1_PNSt15iterator_traitsISG_E10value_typeET2_T3_PNSH_ISM_E10value_typeET4_T5_PSR_SS_PNS1_23onesweep_lookback_stateEbbT6_jjT7_P12ihipStream_tbENKUlT_T0_SG_SL_E_clISA_SA_SB_SB_EEDaSZ_S10_SG_SL_EUlSZ_E_NS1_11comp_targetILNS1_3genE6ELNS1_11target_archE950ELNS1_3gpuE13ELNS1_3repE0EEENS1_47radix_sort_onesweep_sort_config_static_selectorELNS0_4arch9wavefront6targetE0EEEvSG_.numbered_sgpr, 0
	.set _ZN7rocprim17ROCPRIM_400000_NS6detail17trampoline_kernelINS0_14default_configENS1_35radix_sort_onesweep_config_selectorIiNS0_10empty_typeEEEZZNS1_29radix_sort_onesweep_iterationIS3_Lb0EPKiPiPS5_SB_mNS0_19identity_decomposerENS1_16block_id_wrapperIjLb0EEEEE10hipError_tT1_PNSt15iterator_traitsISG_E10value_typeET2_T3_PNSH_ISM_E10value_typeET4_T5_PSR_SS_PNS1_23onesweep_lookback_stateEbbT6_jjT7_P12ihipStream_tbENKUlT_T0_SG_SL_E_clISA_SA_SB_SB_EEDaSZ_S10_SG_SL_EUlSZ_E_NS1_11comp_targetILNS1_3genE6ELNS1_11target_archE950ELNS1_3gpuE13ELNS1_3repE0EEENS1_47radix_sort_onesweep_sort_config_static_selectorELNS0_4arch9wavefront6targetE0EEEvSG_.num_named_barrier, 0
	.set _ZN7rocprim17ROCPRIM_400000_NS6detail17trampoline_kernelINS0_14default_configENS1_35radix_sort_onesweep_config_selectorIiNS0_10empty_typeEEEZZNS1_29radix_sort_onesweep_iterationIS3_Lb0EPKiPiPS5_SB_mNS0_19identity_decomposerENS1_16block_id_wrapperIjLb0EEEEE10hipError_tT1_PNSt15iterator_traitsISG_E10value_typeET2_T3_PNSH_ISM_E10value_typeET4_T5_PSR_SS_PNS1_23onesweep_lookback_stateEbbT6_jjT7_P12ihipStream_tbENKUlT_T0_SG_SL_E_clISA_SA_SB_SB_EEDaSZ_S10_SG_SL_EUlSZ_E_NS1_11comp_targetILNS1_3genE6ELNS1_11target_archE950ELNS1_3gpuE13ELNS1_3repE0EEENS1_47radix_sort_onesweep_sort_config_static_selectorELNS0_4arch9wavefront6targetE0EEEvSG_.private_seg_size, 0
	.set _ZN7rocprim17ROCPRIM_400000_NS6detail17trampoline_kernelINS0_14default_configENS1_35radix_sort_onesweep_config_selectorIiNS0_10empty_typeEEEZZNS1_29radix_sort_onesweep_iterationIS3_Lb0EPKiPiPS5_SB_mNS0_19identity_decomposerENS1_16block_id_wrapperIjLb0EEEEE10hipError_tT1_PNSt15iterator_traitsISG_E10value_typeET2_T3_PNSH_ISM_E10value_typeET4_T5_PSR_SS_PNS1_23onesweep_lookback_stateEbbT6_jjT7_P12ihipStream_tbENKUlT_T0_SG_SL_E_clISA_SA_SB_SB_EEDaSZ_S10_SG_SL_EUlSZ_E_NS1_11comp_targetILNS1_3genE6ELNS1_11target_archE950ELNS1_3gpuE13ELNS1_3repE0EEENS1_47radix_sort_onesweep_sort_config_static_selectorELNS0_4arch9wavefront6targetE0EEEvSG_.uses_vcc, 0
	.set _ZN7rocprim17ROCPRIM_400000_NS6detail17trampoline_kernelINS0_14default_configENS1_35radix_sort_onesweep_config_selectorIiNS0_10empty_typeEEEZZNS1_29radix_sort_onesweep_iterationIS3_Lb0EPKiPiPS5_SB_mNS0_19identity_decomposerENS1_16block_id_wrapperIjLb0EEEEE10hipError_tT1_PNSt15iterator_traitsISG_E10value_typeET2_T3_PNSH_ISM_E10value_typeET4_T5_PSR_SS_PNS1_23onesweep_lookback_stateEbbT6_jjT7_P12ihipStream_tbENKUlT_T0_SG_SL_E_clISA_SA_SB_SB_EEDaSZ_S10_SG_SL_EUlSZ_E_NS1_11comp_targetILNS1_3genE6ELNS1_11target_archE950ELNS1_3gpuE13ELNS1_3repE0EEENS1_47radix_sort_onesweep_sort_config_static_selectorELNS0_4arch9wavefront6targetE0EEEvSG_.uses_flat_scratch, 0
	.set _ZN7rocprim17ROCPRIM_400000_NS6detail17trampoline_kernelINS0_14default_configENS1_35radix_sort_onesweep_config_selectorIiNS0_10empty_typeEEEZZNS1_29radix_sort_onesweep_iterationIS3_Lb0EPKiPiPS5_SB_mNS0_19identity_decomposerENS1_16block_id_wrapperIjLb0EEEEE10hipError_tT1_PNSt15iterator_traitsISG_E10value_typeET2_T3_PNSH_ISM_E10value_typeET4_T5_PSR_SS_PNS1_23onesweep_lookback_stateEbbT6_jjT7_P12ihipStream_tbENKUlT_T0_SG_SL_E_clISA_SA_SB_SB_EEDaSZ_S10_SG_SL_EUlSZ_E_NS1_11comp_targetILNS1_3genE6ELNS1_11target_archE950ELNS1_3gpuE13ELNS1_3repE0EEENS1_47radix_sort_onesweep_sort_config_static_selectorELNS0_4arch9wavefront6targetE0EEEvSG_.has_dyn_sized_stack, 0
	.set _ZN7rocprim17ROCPRIM_400000_NS6detail17trampoline_kernelINS0_14default_configENS1_35radix_sort_onesweep_config_selectorIiNS0_10empty_typeEEEZZNS1_29radix_sort_onesweep_iterationIS3_Lb0EPKiPiPS5_SB_mNS0_19identity_decomposerENS1_16block_id_wrapperIjLb0EEEEE10hipError_tT1_PNSt15iterator_traitsISG_E10value_typeET2_T3_PNSH_ISM_E10value_typeET4_T5_PSR_SS_PNS1_23onesweep_lookback_stateEbbT6_jjT7_P12ihipStream_tbENKUlT_T0_SG_SL_E_clISA_SA_SB_SB_EEDaSZ_S10_SG_SL_EUlSZ_E_NS1_11comp_targetILNS1_3genE6ELNS1_11target_archE950ELNS1_3gpuE13ELNS1_3repE0EEENS1_47radix_sort_onesweep_sort_config_static_selectorELNS0_4arch9wavefront6targetE0EEEvSG_.has_recursion, 0
	.set _ZN7rocprim17ROCPRIM_400000_NS6detail17trampoline_kernelINS0_14default_configENS1_35radix_sort_onesweep_config_selectorIiNS0_10empty_typeEEEZZNS1_29radix_sort_onesweep_iterationIS3_Lb0EPKiPiPS5_SB_mNS0_19identity_decomposerENS1_16block_id_wrapperIjLb0EEEEE10hipError_tT1_PNSt15iterator_traitsISG_E10value_typeET2_T3_PNSH_ISM_E10value_typeET4_T5_PSR_SS_PNS1_23onesweep_lookback_stateEbbT6_jjT7_P12ihipStream_tbENKUlT_T0_SG_SL_E_clISA_SA_SB_SB_EEDaSZ_S10_SG_SL_EUlSZ_E_NS1_11comp_targetILNS1_3genE6ELNS1_11target_archE950ELNS1_3gpuE13ELNS1_3repE0EEENS1_47radix_sort_onesweep_sort_config_static_selectorELNS0_4arch9wavefront6targetE0EEEvSG_.has_indirect_call, 0
	.section	.AMDGPU.csdata,"",@progbits
; Kernel info:
; codeLenInByte = 0
; TotalNumSgprs: 0
; NumVgprs: 0
; ScratchSize: 0
; MemoryBound: 0
; FloatMode: 240
; IeeeMode: 1
; LDSByteSize: 0 bytes/workgroup (compile time only)
; SGPRBlocks: 0
; VGPRBlocks: 0
; NumSGPRsForWavesPerEU: 1
; NumVGPRsForWavesPerEU: 1
; NamedBarCnt: 0
; Occupancy: 16
; WaveLimiterHint : 0
; COMPUTE_PGM_RSRC2:SCRATCH_EN: 0
; COMPUTE_PGM_RSRC2:USER_SGPR: 2
; COMPUTE_PGM_RSRC2:TRAP_HANDLER: 0
; COMPUTE_PGM_RSRC2:TGID_X_EN: 1
; COMPUTE_PGM_RSRC2:TGID_Y_EN: 0
; COMPUTE_PGM_RSRC2:TGID_Z_EN: 0
; COMPUTE_PGM_RSRC2:TIDIG_COMP_CNT: 0
	.section	.text._ZN7rocprim17ROCPRIM_400000_NS6detail17trampoline_kernelINS0_14default_configENS1_35radix_sort_onesweep_config_selectorIiNS0_10empty_typeEEEZZNS1_29radix_sort_onesweep_iterationIS3_Lb0EPKiPiPS5_SB_mNS0_19identity_decomposerENS1_16block_id_wrapperIjLb0EEEEE10hipError_tT1_PNSt15iterator_traitsISG_E10value_typeET2_T3_PNSH_ISM_E10value_typeET4_T5_PSR_SS_PNS1_23onesweep_lookback_stateEbbT6_jjT7_P12ihipStream_tbENKUlT_T0_SG_SL_E_clISA_SA_SB_SB_EEDaSZ_S10_SG_SL_EUlSZ_E_NS1_11comp_targetILNS1_3genE5ELNS1_11target_archE942ELNS1_3gpuE9ELNS1_3repE0EEENS1_47radix_sort_onesweep_sort_config_static_selectorELNS0_4arch9wavefront6targetE0EEEvSG_,"axG",@progbits,_ZN7rocprim17ROCPRIM_400000_NS6detail17trampoline_kernelINS0_14default_configENS1_35radix_sort_onesweep_config_selectorIiNS0_10empty_typeEEEZZNS1_29radix_sort_onesweep_iterationIS3_Lb0EPKiPiPS5_SB_mNS0_19identity_decomposerENS1_16block_id_wrapperIjLb0EEEEE10hipError_tT1_PNSt15iterator_traitsISG_E10value_typeET2_T3_PNSH_ISM_E10value_typeET4_T5_PSR_SS_PNS1_23onesweep_lookback_stateEbbT6_jjT7_P12ihipStream_tbENKUlT_T0_SG_SL_E_clISA_SA_SB_SB_EEDaSZ_S10_SG_SL_EUlSZ_E_NS1_11comp_targetILNS1_3genE5ELNS1_11target_archE942ELNS1_3gpuE9ELNS1_3repE0EEENS1_47radix_sort_onesweep_sort_config_static_selectorELNS0_4arch9wavefront6targetE0EEEvSG_,comdat
	.protected	_ZN7rocprim17ROCPRIM_400000_NS6detail17trampoline_kernelINS0_14default_configENS1_35radix_sort_onesweep_config_selectorIiNS0_10empty_typeEEEZZNS1_29radix_sort_onesweep_iterationIS3_Lb0EPKiPiPS5_SB_mNS0_19identity_decomposerENS1_16block_id_wrapperIjLb0EEEEE10hipError_tT1_PNSt15iterator_traitsISG_E10value_typeET2_T3_PNSH_ISM_E10value_typeET4_T5_PSR_SS_PNS1_23onesweep_lookback_stateEbbT6_jjT7_P12ihipStream_tbENKUlT_T0_SG_SL_E_clISA_SA_SB_SB_EEDaSZ_S10_SG_SL_EUlSZ_E_NS1_11comp_targetILNS1_3genE5ELNS1_11target_archE942ELNS1_3gpuE9ELNS1_3repE0EEENS1_47radix_sort_onesweep_sort_config_static_selectorELNS0_4arch9wavefront6targetE0EEEvSG_ ; -- Begin function _ZN7rocprim17ROCPRIM_400000_NS6detail17trampoline_kernelINS0_14default_configENS1_35radix_sort_onesweep_config_selectorIiNS0_10empty_typeEEEZZNS1_29radix_sort_onesweep_iterationIS3_Lb0EPKiPiPS5_SB_mNS0_19identity_decomposerENS1_16block_id_wrapperIjLb0EEEEE10hipError_tT1_PNSt15iterator_traitsISG_E10value_typeET2_T3_PNSH_ISM_E10value_typeET4_T5_PSR_SS_PNS1_23onesweep_lookback_stateEbbT6_jjT7_P12ihipStream_tbENKUlT_T0_SG_SL_E_clISA_SA_SB_SB_EEDaSZ_S10_SG_SL_EUlSZ_E_NS1_11comp_targetILNS1_3genE5ELNS1_11target_archE942ELNS1_3gpuE9ELNS1_3repE0EEENS1_47radix_sort_onesweep_sort_config_static_selectorELNS0_4arch9wavefront6targetE0EEEvSG_
	.globl	_ZN7rocprim17ROCPRIM_400000_NS6detail17trampoline_kernelINS0_14default_configENS1_35radix_sort_onesweep_config_selectorIiNS0_10empty_typeEEEZZNS1_29radix_sort_onesweep_iterationIS3_Lb0EPKiPiPS5_SB_mNS0_19identity_decomposerENS1_16block_id_wrapperIjLb0EEEEE10hipError_tT1_PNSt15iterator_traitsISG_E10value_typeET2_T3_PNSH_ISM_E10value_typeET4_T5_PSR_SS_PNS1_23onesweep_lookback_stateEbbT6_jjT7_P12ihipStream_tbENKUlT_T0_SG_SL_E_clISA_SA_SB_SB_EEDaSZ_S10_SG_SL_EUlSZ_E_NS1_11comp_targetILNS1_3genE5ELNS1_11target_archE942ELNS1_3gpuE9ELNS1_3repE0EEENS1_47radix_sort_onesweep_sort_config_static_selectorELNS0_4arch9wavefront6targetE0EEEvSG_
	.p2align	8
	.type	_ZN7rocprim17ROCPRIM_400000_NS6detail17trampoline_kernelINS0_14default_configENS1_35radix_sort_onesweep_config_selectorIiNS0_10empty_typeEEEZZNS1_29radix_sort_onesweep_iterationIS3_Lb0EPKiPiPS5_SB_mNS0_19identity_decomposerENS1_16block_id_wrapperIjLb0EEEEE10hipError_tT1_PNSt15iterator_traitsISG_E10value_typeET2_T3_PNSH_ISM_E10value_typeET4_T5_PSR_SS_PNS1_23onesweep_lookback_stateEbbT6_jjT7_P12ihipStream_tbENKUlT_T0_SG_SL_E_clISA_SA_SB_SB_EEDaSZ_S10_SG_SL_EUlSZ_E_NS1_11comp_targetILNS1_3genE5ELNS1_11target_archE942ELNS1_3gpuE9ELNS1_3repE0EEENS1_47radix_sort_onesweep_sort_config_static_selectorELNS0_4arch9wavefront6targetE0EEEvSG_,@function
_ZN7rocprim17ROCPRIM_400000_NS6detail17trampoline_kernelINS0_14default_configENS1_35radix_sort_onesweep_config_selectorIiNS0_10empty_typeEEEZZNS1_29radix_sort_onesweep_iterationIS3_Lb0EPKiPiPS5_SB_mNS0_19identity_decomposerENS1_16block_id_wrapperIjLb0EEEEE10hipError_tT1_PNSt15iterator_traitsISG_E10value_typeET2_T3_PNSH_ISM_E10value_typeET4_T5_PSR_SS_PNS1_23onesweep_lookback_stateEbbT6_jjT7_P12ihipStream_tbENKUlT_T0_SG_SL_E_clISA_SA_SB_SB_EEDaSZ_S10_SG_SL_EUlSZ_E_NS1_11comp_targetILNS1_3genE5ELNS1_11target_archE942ELNS1_3gpuE9ELNS1_3repE0EEENS1_47radix_sort_onesweep_sort_config_static_selectorELNS0_4arch9wavefront6targetE0EEEvSG_: ; @_ZN7rocprim17ROCPRIM_400000_NS6detail17trampoline_kernelINS0_14default_configENS1_35radix_sort_onesweep_config_selectorIiNS0_10empty_typeEEEZZNS1_29radix_sort_onesweep_iterationIS3_Lb0EPKiPiPS5_SB_mNS0_19identity_decomposerENS1_16block_id_wrapperIjLb0EEEEE10hipError_tT1_PNSt15iterator_traitsISG_E10value_typeET2_T3_PNSH_ISM_E10value_typeET4_T5_PSR_SS_PNS1_23onesweep_lookback_stateEbbT6_jjT7_P12ihipStream_tbENKUlT_T0_SG_SL_E_clISA_SA_SB_SB_EEDaSZ_S10_SG_SL_EUlSZ_E_NS1_11comp_targetILNS1_3genE5ELNS1_11target_archE942ELNS1_3gpuE9ELNS1_3repE0EEENS1_47radix_sort_onesweep_sort_config_static_selectorELNS0_4arch9wavefront6targetE0EEEvSG_
; %bb.0:
	.section	.rodata,"a",@progbits
	.p2align	6, 0x0
	.amdhsa_kernel _ZN7rocprim17ROCPRIM_400000_NS6detail17trampoline_kernelINS0_14default_configENS1_35radix_sort_onesweep_config_selectorIiNS0_10empty_typeEEEZZNS1_29radix_sort_onesweep_iterationIS3_Lb0EPKiPiPS5_SB_mNS0_19identity_decomposerENS1_16block_id_wrapperIjLb0EEEEE10hipError_tT1_PNSt15iterator_traitsISG_E10value_typeET2_T3_PNSH_ISM_E10value_typeET4_T5_PSR_SS_PNS1_23onesweep_lookback_stateEbbT6_jjT7_P12ihipStream_tbENKUlT_T0_SG_SL_E_clISA_SA_SB_SB_EEDaSZ_S10_SG_SL_EUlSZ_E_NS1_11comp_targetILNS1_3genE5ELNS1_11target_archE942ELNS1_3gpuE9ELNS1_3repE0EEENS1_47radix_sort_onesweep_sort_config_static_selectorELNS0_4arch9wavefront6targetE0EEEvSG_
		.amdhsa_group_segment_fixed_size 0
		.amdhsa_private_segment_fixed_size 0
		.amdhsa_kernarg_size 88
		.amdhsa_user_sgpr_count 2
		.amdhsa_user_sgpr_dispatch_ptr 0
		.amdhsa_user_sgpr_queue_ptr 0
		.amdhsa_user_sgpr_kernarg_segment_ptr 1
		.amdhsa_user_sgpr_dispatch_id 0
		.amdhsa_user_sgpr_kernarg_preload_length 0
		.amdhsa_user_sgpr_kernarg_preload_offset 0
		.amdhsa_user_sgpr_private_segment_size 0
		.amdhsa_wavefront_size32 1
		.amdhsa_uses_dynamic_stack 0
		.amdhsa_enable_private_segment 0
		.amdhsa_system_sgpr_workgroup_id_x 1
		.amdhsa_system_sgpr_workgroup_id_y 0
		.amdhsa_system_sgpr_workgroup_id_z 0
		.amdhsa_system_sgpr_workgroup_info 0
		.amdhsa_system_vgpr_workitem_id 0
		.amdhsa_next_free_vgpr 1
		.amdhsa_next_free_sgpr 1
		.amdhsa_named_barrier_count 0
		.amdhsa_reserve_vcc 0
		.amdhsa_float_round_mode_32 0
		.amdhsa_float_round_mode_16_64 0
		.amdhsa_float_denorm_mode_32 3
		.amdhsa_float_denorm_mode_16_64 3
		.amdhsa_fp16_overflow 0
		.amdhsa_memory_ordered 1
		.amdhsa_forward_progress 1
		.amdhsa_inst_pref_size 0
		.amdhsa_round_robin_scheduling 0
		.amdhsa_exception_fp_ieee_invalid_op 0
		.amdhsa_exception_fp_denorm_src 0
		.amdhsa_exception_fp_ieee_div_zero 0
		.amdhsa_exception_fp_ieee_overflow 0
		.amdhsa_exception_fp_ieee_underflow 0
		.amdhsa_exception_fp_ieee_inexact 0
		.amdhsa_exception_int_div_zero 0
	.end_amdhsa_kernel
	.section	.text._ZN7rocprim17ROCPRIM_400000_NS6detail17trampoline_kernelINS0_14default_configENS1_35radix_sort_onesweep_config_selectorIiNS0_10empty_typeEEEZZNS1_29radix_sort_onesweep_iterationIS3_Lb0EPKiPiPS5_SB_mNS0_19identity_decomposerENS1_16block_id_wrapperIjLb0EEEEE10hipError_tT1_PNSt15iterator_traitsISG_E10value_typeET2_T3_PNSH_ISM_E10value_typeET4_T5_PSR_SS_PNS1_23onesweep_lookback_stateEbbT6_jjT7_P12ihipStream_tbENKUlT_T0_SG_SL_E_clISA_SA_SB_SB_EEDaSZ_S10_SG_SL_EUlSZ_E_NS1_11comp_targetILNS1_3genE5ELNS1_11target_archE942ELNS1_3gpuE9ELNS1_3repE0EEENS1_47radix_sort_onesweep_sort_config_static_selectorELNS0_4arch9wavefront6targetE0EEEvSG_,"axG",@progbits,_ZN7rocprim17ROCPRIM_400000_NS6detail17trampoline_kernelINS0_14default_configENS1_35radix_sort_onesweep_config_selectorIiNS0_10empty_typeEEEZZNS1_29radix_sort_onesweep_iterationIS3_Lb0EPKiPiPS5_SB_mNS0_19identity_decomposerENS1_16block_id_wrapperIjLb0EEEEE10hipError_tT1_PNSt15iterator_traitsISG_E10value_typeET2_T3_PNSH_ISM_E10value_typeET4_T5_PSR_SS_PNS1_23onesweep_lookback_stateEbbT6_jjT7_P12ihipStream_tbENKUlT_T0_SG_SL_E_clISA_SA_SB_SB_EEDaSZ_S10_SG_SL_EUlSZ_E_NS1_11comp_targetILNS1_3genE5ELNS1_11target_archE942ELNS1_3gpuE9ELNS1_3repE0EEENS1_47radix_sort_onesweep_sort_config_static_selectorELNS0_4arch9wavefront6targetE0EEEvSG_,comdat
.Lfunc_end989:
	.size	_ZN7rocprim17ROCPRIM_400000_NS6detail17trampoline_kernelINS0_14default_configENS1_35radix_sort_onesweep_config_selectorIiNS0_10empty_typeEEEZZNS1_29radix_sort_onesweep_iterationIS3_Lb0EPKiPiPS5_SB_mNS0_19identity_decomposerENS1_16block_id_wrapperIjLb0EEEEE10hipError_tT1_PNSt15iterator_traitsISG_E10value_typeET2_T3_PNSH_ISM_E10value_typeET4_T5_PSR_SS_PNS1_23onesweep_lookback_stateEbbT6_jjT7_P12ihipStream_tbENKUlT_T0_SG_SL_E_clISA_SA_SB_SB_EEDaSZ_S10_SG_SL_EUlSZ_E_NS1_11comp_targetILNS1_3genE5ELNS1_11target_archE942ELNS1_3gpuE9ELNS1_3repE0EEENS1_47radix_sort_onesweep_sort_config_static_selectorELNS0_4arch9wavefront6targetE0EEEvSG_, .Lfunc_end989-_ZN7rocprim17ROCPRIM_400000_NS6detail17trampoline_kernelINS0_14default_configENS1_35radix_sort_onesweep_config_selectorIiNS0_10empty_typeEEEZZNS1_29radix_sort_onesweep_iterationIS3_Lb0EPKiPiPS5_SB_mNS0_19identity_decomposerENS1_16block_id_wrapperIjLb0EEEEE10hipError_tT1_PNSt15iterator_traitsISG_E10value_typeET2_T3_PNSH_ISM_E10value_typeET4_T5_PSR_SS_PNS1_23onesweep_lookback_stateEbbT6_jjT7_P12ihipStream_tbENKUlT_T0_SG_SL_E_clISA_SA_SB_SB_EEDaSZ_S10_SG_SL_EUlSZ_E_NS1_11comp_targetILNS1_3genE5ELNS1_11target_archE942ELNS1_3gpuE9ELNS1_3repE0EEENS1_47radix_sort_onesweep_sort_config_static_selectorELNS0_4arch9wavefront6targetE0EEEvSG_
                                        ; -- End function
	.set _ZN7rocprim17ROCPRIM_400000_NS6detail17trampoline_kernelINS0_14default_configENS1_35radix_sort_onesweep_config_selectorIiNS0_10empty_typeEEEZZNS1_29radix_sort_onesweep_iterationIS3_Lb0EPKiPiPS5_SB_mNS0_19identity_decomposerENS1_16block_id_wrapperIjLb0EEEEE10hipError_tT1_PNSt15iterator_traitsISG_E10value_typeET2_T3_PNSH_ISM_E10value_typeET4_T5_PSR_SS_PNS1_23onesweep_lookback_stateEbbT6_jjT7_P12ihipStream_tbENKUlT_T0_SG_SL_E_clISA_SA_SB_SB_EEDaSZ_S10_SG_SL_EUlSZ_E_NS1_11comp_targetILNS1_3genE5ELNS1_11target_archE942ELNS1_3gpuE9ELNS1_3repE0EEENS1_47radix_sort_onesweep_sort_config_static_selectorELNS0_4arch9wavefront6targetE0EEEvSG_.num_vgpr, 0
	.set _ZN7rocprim17ROCPRIM_400000_NS6detail17trampoline_kernelINS0_14default_configENS1_35radix_sort_onesweep_config_selectorIiNS0_10empty_typeEEEZZNS1_29radix_sort_onesweep_iterationIS3_Lb0EPKiPiPS5_SB_mNS0_19identity_decomposerENS1_16block_id_wrapperIjLb0EEEEE10hipError_tT1_PNSt15iterator_traitsISG_E10value_typeET2_T3_PNSH_ISM_E10value_typeET4_T5_PSR_SS_PNS1_23onesweep_lookback_stateEbbT6_jjT7_P12ihipStream_tbENKUlT_T0_SG_SL_E_clISA_SA_SB_SB_EEDaSZ_S10_SG_SL_EUlSZ_E_NS1_11comp_targetILNS1_3genE5ELNS1_11target_archE942ELNS1_3gpuE9ELNS1_3repE0EEENS1_47radix_sort_onesweep_sort_config_static_selectorELNS0_4arch9wavefront6targetE0EEEvSG_.num_agpr, 0
	.set _ZN7rocprim17ROCPRIM_400000_NS6detail17trampoline_kernelINS0_14default_configENS1_35radix_sort_onesweep_config_selectorIiNS0_10empty_typeEEEZZNS1_29radix_sort_onesweep_iterationIS3_Lb0EPKiPiPS5_SB_mNS0_19identity_decomposerENS1_16block_id_wrapperIjLb0EEEEE10hipError_tT1_PNSt15iterator_traitsISG_E10value_typeET2_T3_PNSH_ISM_E10value_typeET4_T5_PSR_SS_PNS1_23onesweep_lookback_stateEbbT6_jjT7_P12ihipStream_tbENKUlT_T0_SG_SL_E_clISA_SA_SB_SB_EEDaSZ_S10_SG_SL_EUlSZ_E_NS1_11comp_targetILNS1_3genE5ELNS1_11target_archE942ELNS1_3gpuE9ELNS1_3repE0EEENS1_47radix_sort_onesweep_sort_config_static_selectorELNS0_4arch9wavefront6targetE0EEEvSG_.numbered_sgpr, 0
	.set _ZN7rocprim17ROCPRIM_400000_NS6detail17trampoline_kernelINS0_14default_configENS1_35radix_sort_onesweep_config_selectorIiNS0_10empty_typeEEEZZNS1_29radix_sort_onesweep_iterationIS3_Lb0EPKiPiPS5_SB_mNS0_19identity_decomposerENS1_16block_id_wrapperIjLb0EEEEE10hipError_tT1_PNSt15iterator_traitsISG_E10value_typeET2_T3_PNSH_ISM_E10value_typeET4_T5_PSR_SS_PNS1_23onesweep_lookback_stateEbbT6_jjT7_P12ihipStream_tbENKUlT_T0_SG_SL_E_clISA_SA_SB_SB_EEDaSZ_S10_SG_SL_EUlSZ_E_NS1_11comp_targetILNS1_3genE5ELNS1_11target_archE942ELNS1_3gpuE9ELNS1_3repE0EEENS1_47radix_sort_onesweep_sort_config_static_selectorELNS0_4arch9wavefront6targetE0EEEvSG_.num_named_barrier, 0
	.set _ZN7rocprim17ROCPRIM_400000_NS6detail17trampoline_kernelINS0_14default_configENS1_35radix_sort_onesweep_config_selectorIiNS0_10empty_typeEEEZZNS1_29radix_sort_onesweep_iterationIS3_Lb0EPKiPiPS5_SB_mNS0_19identity_decomposerENS1_16block_id_wrapperIjLb0EEEEE10hipError_tT1_PNSt15iterator_traitsISG_E10value_typeET2_T3_PNSH_ISM_E10value_typeET4_T5_PSR_SS_PNS1_23onesweep_lookback_stateEbbT6_jjT7_P12ihipStream_tbENKUlT_T0_SG_SL_E_clISA_SA_SB_SB_EEDaSZ_S10_SG_SL_EUlSZ_E_NS1_11comp_targetILNS1_3genE5ELNS1_11target_archE942ELNS1_3gpuE9ELNS1_3repE0EEENS1_47radix_sort_onesweep_sort_config_static_selectorELNS0_4arch9wavefront6targetE0EEEvSG_.private_seg_size, 0
	.set _ZN7rocprim17ROCPRIM_400000_NS6detail17trampoline_kernelINS0_14default_configENS1_35radix_sort_onesweep_config_selectorIiNS0_10empty_typeEEEZZNS1_29radix_sort_onesweep_iterationIS3_Lb0EPKiPiPS5_SB_mNS0_19identity_decomposerENS1_16block_id_wrapperIjLb0EEEEE10hipError_tT1_PNSt15iterator_traitsISG_E10value_typeET2_T3_PNSH_ISM_E10value_typeET4_T5_PSR_SS_PNS1_23onesweep_lookback_stateEbbT6_jjT7_P12ihipStream_tbENKUlT_T0_SG_SL_E_clISA_SA_SB_SB_EEDaSZ_S10_SG_SL_EUlSZ_E_NS1_11comp_targetILNS1_3genE5ELNS1_11target_archE942ELNS1_3gpuE9ELNS1_3repE0EEENS1_47radix_sort_onesweep_sort_config_static_selectorELNS0_4arch9wavefront6targetE0EEEvSG_.uses_vcc, 0
	.set _ZN7rocprim17ROCPRIM_400000_NS6detail17trampoline_kernelINS0_14default_configENS1_35radix_sort_onesweep_config_selectorIiNS0_10empty_typeEEEZZNS1_29radix_sort_onesweep_iterationIS3_Lb0EPKiPiPS5_SB_mNS0_19identity_decomposerENS1_16block_id_wrapperIjLb0EEEEE10hipError_tT1_PNSt15iterator_traitsISG_E10value_typeET2_T3_PNSH_ISM_E10value_typeET4_T5_PSR_SS_PNS1_23onesweep_lookback_stateEbbT6_jjT7_P12ihipStream_tbENKUlT_T0_SG_SL_E_clISA_SA_SB_SB_EEDaSZ_S10_SG_SL_EUlSZ_E_NS1_11comp_targetILNS1_3genE5ELNS1_11target_archE942ELNS1_3gpuE9ELNS1_3repE0EEENS1_47radix_sort_onesweep_sort_config_static_selectorELNS0_4arch9wavefront6targetE0EEEvSG_.uses_flat_scratch, 0
	.set _ZN7rocprim17ROCPRIM_400000_NS6detail17trampoline_kernelINS0_14default_configENS1_35radix_sort_onesweep_config_selectorIiNS0_10empty_typeEEEZZNS1_29radix_sort_onesweep_iterationIS3_Lb0EPKiPiPS5_SB_mNS0_19identity_decomposerENS1_16block_id_wrapperIjLb0EEEEE10hipError_tT1_PNSt15iterator_traitsISG_E10value_typeET2_T3_PNSH_ISM_E10value_typeET4_T5_PSR_SS_PNS1_23onesweep_lookback_stateEbbT6_jjT7_P12ihipStream_tbENKUlT_T0_SG_SL_E_clISA_SA_SB_SB_EEDaSZ_S10_SG_SL_EUlSZ_E_NS1_11comp_targetILNS1_3genE5ELNS1_11target_archE942ELNS1_3gpuE9ELNS1_3repE0EEENS1_47radix_sort_onesweep_sort_config_static_selectorELNS0_4arch9wavefront6targetE0EEEvSG_.has_dyn_sized_stack, 0
	.set _ZN7rocprim17ROCPRIM_400000_NS6detail17trampoline_kernelINS0_14default_configENS1_35radix_sort_onesweep_config_selectorIiNS0_10empty_typeEEEZZNS1_29radix_sort_onesweep_iterationIS3_Lb0EPKiPiPS5_SB_mNS0_19identity_decomposerENS1_16block_id_wrapperIjLb0EEEEE10hipError_tT1_PNSt15iterator_traitsISG_E10value_typeET2_T3_PNSH_ISM_E10value_typeET4_T5_PSR_SS_PNS1_23onesweep_lookback_stateEbbT6_jjT7_P12ihipStream_tbENKUlT_T0_SG_SL_E_clISA_SA_SB_SB_EEDaSZ_S10_SG_SL_EUlSZ_E_NS1_11comp_targetILNS1_3genE5ELNS1_11target_archE942ELNS1_3gpuE9ELNS1_3repE0EEENS1_47radix_sort_onesweep_sort_config_static_selectorELNS0_4arch9wavefront6targetE0EEEvSG_.has_recursion, 0
	.set _ZN7rocprim17ROCPRIM_400000_NS6detail17trampoline_kernelINS0_14default_configENS1_35radix_sort_onesweep_config_selectorIiNS0_10empty_typeEEEZZNS1_29radix_sort_onesweep_iterationIS3_Lb0EPKiPiPS5_SB_mNS0_19identity_decomposerENS1_16block_id_wrapperIjLb0EEEEE10hipError_tT1_PNSt15iterator_traitsISG_E10value_typeET2_T3_PNSH_ISM_E10value_typeET4_T5_PSR_SS_PNS1_23onesweep_lookback_stateEbbT6_jjT7_P12ihipStream_tbENKUlT_T0_SG_SL_E_clISA_SA_SB_SB_EEDaSZ_S10_SG_SL_EUlSZ_E_NS1_11comp_targetILNS1_3genE5ELNS1_11target_archE942ELNS1_3gpuE9ELNS1_3repE0EEENS1_47radix_sort_onesweep_sort_config_static_selectorELNS0_4arch9wavefront6targetE0EEEvSG_.has_indirect_call, 0
	.section	.AMDGPU.csdata,"",@progbits
; Kernel info:
; codeLenInByte = 0
; TotalNumSgprs: 0
; NumVgprs: 0
; ScratchSize: 0
; MemoryBound: 0
; FloatMode: 240
; IeeeMode: 1
; LDSByteSize: 0 bytes/workgroup (compile time only)
; SGPRBlocks: 0
; VGPRBlocks: 0
; NumSGPRsForWavesPerEU: 1
; NumVGPRsForWavesPerEU: 1
; NamedBarCnt: 0
; Occupancy: 16
; WaveLimiterHint : 0
; COMPUTE_PGM_RSRC2:SCRATCH_EN: 0
; COMPUTE_PGM_RSRC2:USER_SGPR: 2
; COMPUTE_PGM_RSRC2:TRAP_HANDLER: 0
; COMPUTE_PGM_RSRC2:TGID_X_EN: 1
; COMPUTE_PGM_RSRC2:TGID_Y_EN: 0
; COMPUTE_PGM_RSRC2:TGID_Z_EN: 0
; COMPUTE_PGM_RSRC2:TIDIG_COMP_CNT: 0
	.section	.text._ZN7rocprim17ROCPRIM_400000_NS6detail17trampoline_kernelINS0_14default_configENS1_35radix_sort_onesweep_config_selectorIiNS0_10empty_typeEEEZZNS1_29radix_sort_onesweep_iterationIS3_Lb0EPKiPiPS5_SB_mNS0_19identity_decomposerENS1_16block_id_wrapperIjLb0EEEEE10hipError_tT1_PNSt15iterator_traitsISG_E10value_typeET2_T3_PNSH_ISM_E10value_typeET4_T5_PSR_SS_PNS1_23onesweep_lookback_stateEbbT6_jjT7_P12ihipStream_tbENKUlT_T0_SG_SL_E_clISA_SA_SB_SB_EEDaSZ_S10_SG_SL_EUlSZ_E_NS1_11comp_targetILNS1_3genE2ELNS1_11target_archE906ELNS1_3gpuE6ELNS1_3repE0EEENS1_47radix_sort_onesweep_sort_config_static_selectorELNS0_4arch9wavefront6targetE0EEEvSG_,"axG",@progbits,_ZN7rocprim17ROCPRIM_400000_NS6detail17trampoline_kernelINS0_14default_configENS1_35radix_sort_onesweep_config_selectorIiNS0_10empty_typeEEEZZNS1_29radix_sort_onesweep_iterationIS3_Lb0EPKiPiPS5_SB_mNS0_19identity_decomposerENS1_16block_id_wrapperIjLb0EEEEE10hipError_tT1_PNSt15iterator_traitsISG_E10value_typeET2_T3_PNSH_ISM_E10value_typeET4_T5_PSR_SS_PNS1_23onesweep_lookback_stateEbbT6_jjT7_P12ihipStream_tbENKUlT_T0_SG_SL_E_clISA_SA_SB_SB_EEDaSZ_S10_SG_SL_EUlSZ_E_NS1_11comp_targetILNS1_3genE2ELNS1_11target_archE906ELNS1_3gpuE6ELNS1_3repE0EEENS1_47radix_sort_onesweep_sort_config_static_selectorELNS0_4arch9wavefront6targetE0EEEvSG_,comdat
	.protected	_ZN7rocprim17ROCPRIM_400000_NS6detail17trampoline_kernelINS0_14default_configENS1_35radix_sort_onesweep_config_selectorIiNS0_10empty_typeEEEZZNS1_29radix_sort_onesweep_iterationIS3_Lb0EPKiPiPS5_SB_mNS0_19identity_decomposerENS1_16block_id_wrapperIjLb0EEEEE10hipError_tT1_PNSt15iterator_traitsISG_E10value_typeET2_T3_PNSH_ISM_E10value_typeET4_T5_PSR_SS_PNS1_23onesweep_lookback_stateEbbT6_jjT7_P12ihipStream_tbENKUlT_T0_SG_SL_E_clISA_SA_SB_SB_EEDaSZ_S10_SG_SL_EUlSZ_E_NS1_11comp_targetILNS1_3genE2ELNS1_11target_archE906ELNS1_3gpuE6ELNS1_3repE0EEENS1_47radix_sort_onesweep_sort_config_static_selectorELNS0_4arch9wavefront6targetE0EEEvSG_ ; -- Begin function _ZN7rocprim17ROCPRIM_400000_NS6detail17trampoline_kernelINS0_14default_configENS1_35radix_sort_onesweep_config_selectorIiNS0_10empty_typeEEEZZNS1_29radix_sort_onesweep_iterationIS3_Lb0EPKiPiPS5_SB_mNS0_19identity_decomposerENS1_16block_id_wrapperIjLb0EEEEE10hipError_tT1_PNSt15iterator_traitsISG_E10value_typeET2_T3_PNSH_ISM_E10value_typeET4_T5_PSR_SS_PNS1_23onesweep_lookback_stateEbbT6_jjT7_P12ihipStream_tbENKUlT_T0_SG_SL_E_clISA_SA_SB_SB_EEDaSZ_S10_SG_SL_EUlSZ_E_NS1_11comp_targetILNS1_3genE2ELNS1_11target_archE906ELNS1_3gpuE6ELNS1_3repE0EEENS1_47radix_sort_onesweep_sort_config_static_selectorELNS0_4arch9wavefront6targetE0EEEvSG_
	.globl	_ZN7rocprim17ROCPRIM_400000_NS6detail17trampoline_kernelINS0_14default_configENS1_35radix_sort_onesweep_config_selectorIiNS0_10empty_typeEEEZZNS1_29radix_sort_onesweep_iterationIS3_Lb0EPKiPiPS5_SB_mNS0_19identity_decomposerENS1_16block_id_wrapperIjLb0EEEEE10hipError_tT1_PNSt15iterator_traitsISG_E10value_typeET2_T3_PNSH_ISM_E10value_typeET4_T5_PSR_SS_PNS1_23onesweep_lookback_stateEbbT6_jjT7_P12ihipStream_tbENKUlT_T0_SG_SL_E_clISA_SA_SB_SB_EEDaSZ_S10_SG_SL_EUlSZ_E_NS1_11comp_targetILNS1_3genE2ELNS1_11target_archE906ELNS1_3gpuE6ELNS1_3repE0EEENS1_47radix_sort_onesweep_sort_config_static_selectorELNS0_4arch9wavefront6targetE0EEEvSG_
	.p2align	8
	.type	_ZN7rocprim17ROCPRIM_400000_NS6detail17trampoline_kernelINS0_14default_configENS1_35radix_sort_onesweep_config_selectorIiNS0_10empty_typeEEEZZNS1_29radix_sort_onesweep_iterationIS3_Lb0EPKiPiPS5_SB_mNS0_19identity_decomposerENS1_16block_id_wrapperIjLb0EEEEE10hipError_tT1_PNSt15iterator_traitsISG_E10value_typeET2_T3_PNSH_ISM_E10value_typeET4_T5_PSR_SS_PNS1_23onesweep_lookback_stateEbbT6_jjT7_P12ihipStream_tbENKUlT_T0_SG_SL_E_clISA_SA_SB_SB_EEDaSZ_S10_SG_SL_EUlSZ_E_NS1_11comp_targetILNS1_3genE2ELNS1_11target_archE906ELNS1_3gpuE6ELNS1_3repE0EEENS1_47radix_sort_onesweep_sort_config_static_selectorELNS0_4arch9wavefront6targetE0EEEvSG_,@function
_ZN7rocprim17ROCPRIM_400000_NS6detail17trampoline_kernelINS0_14default_configENS1_35radix_sort_onesweep_config_selectorIiNS0_10empty_typeEEEZZNS1_29radix_sort_onesweep_iterationIS3_Lb0EPKiPiPS5_SB_mNS0_19identity_decomposerENS1_16block_id_wrapperIjLb0EEEEE10hipError_tT1_PNSt15iterator_traitsISG_E10value_typeET2_T3_PNSH_ISM_E10value_typeET4_T5_PSR_SS_PNS1_23onesweep_lookback_stateEbbT6_jjT7_P12ihipStream_tbENKUlT_T0_SG_SL_E_clISA_SA_SB_SB_EEDaSZ_S10_SG_SL_EUlSZ_E_NS1_11comp_targetILNS1_3genE2ELNS1_11target_archE906ELNS1_3gpuE6ELNS1_3repE0EEENS1_47radix_sort_onesweep_sort_config_static_selectorELNS0_4arch9wavefront6targetE0EEEvSG_: ; @_ZN7rocprim17ROCPRIM_400000_NS6detail17trampoline_kernelINS0_14default_configENS1_35radix_sort_onesweep_config_selectorIiNS0_10empty_typeEEEZZNS1_29radix_sort_onesweep_iterationIS3_Lb0EPKiPiPS5_SB_mNS0_19identity_decomposerENS1_16block_id_wrapperIjLb0EEEEE10hipError_tT1_PNSt15iterator_traitsISG_E10value_typeET2_T3_PNSH_ISM_E10value_typeET4_T5_PSR_SS_PNS1_23onesweep_lookback_stateEbbT6_jjT7_P12ihipStream_tbENKUlT_T0_SG_SL_E_clISA_SA_SB_SB_EEDaSZ_S10_SG_SL_EUlSZ_E_NS1_11comp_targetILNS1_3genE2ELNS1_11target_archE906ELNS1_3gpuE6ELNS1_3repE0EEENS1_47radix_sort_onesweep_sort_config_static_selectorELNS0_4arch9wavefront6targetE0EEEvSG_
; %bb.0:
	.section	.rodata,"a",@progbits
	.p2align	6, 0x0
	.amdhsa_kernel _ZN7rocprim17ROCPRIM_400000_NS6detail17trampoline_kernelINS0_14default_configENS1_35radix_sort_onesweep_config_selectorIiNS0_10empty_typeEEEZZNS1_29radix_sort_onesweep_iterationIS3_Lb0EPKiPiPS5_SB_mNS0_19identity_decomposerENS1_16block_id_wrapperIjLb0EEEEE10hipError_tT1_PNSt15iterator_traitsISG_E10value_typeET2_T3_PNSH_ISM_E10value_typeET4_T5_PSR_SS_PNS1_23onesweep_lookback_stateEbbT6_jjT7_P12ihipStream_tbENKUlT_T0_SG_SL_E_clISA_SA_SB_SB_EEDaSZ_S10_SG_SL_EUlSZ_E_NS1_11comp_targetILNS1_3genE2ELNS1_11target_archE906ELNS1_3gpuE6ELNS1_3repE0EEENS1_47radix_sort_onesweep_sort_config_static_selectorELNS0_4arch9wavefront6targetE0EEEvSG_
		.amdhsa_group_segment_fixed_size 0
		.amdhsa_private_segment_fixed_size 0
		.amdhsa_kernarg_size 88
		.amdhsa_user_sgpr_count 2
		.amdhsa_user_sgpr_dispatch_ptr 0
		.amdhsa_user_sgpr_queue_ptr 0
		.amdhsa_user_sgpr_kernarg_segment_ptr 1
		.amdhsa_user_sgpr_dispatch_id 0
		.amdhsa_user_sgpr_kernarg_preload_length 0
		.amdhsa_user_sgpr_kernarg_preload_offset 0
		.amdhsa_user_sgpr_private_segment_size 0
		.amdhsa_wavefront_size32 1
		.amdhsa_uses_dynamic_stack 0
		.amdhsa_enable_private_segment 0
		.amdhsa_system_sgpr_workgroup_id_x 1
		.amdhsa_system_sgpr_workgroup_id_y 0
		.amdhsa_system_sgpr_workgroup_id_z 0
		.amdhsa_system_sgpr_workgroup_info 0
		.amdhsa_system_vgpr_workitem_id 0
		.amdhsa_next_free_vgpr 1
		.amdhsa_next_free_sgpr 1
		.amdhsa_named_barrier_count 0
		.amdhsa_reserve_vcc 0
		.amdhsa_float_round_mode_32 0
		.amdhsa_float_round_mode_16_64 0
		.amdhsa_float_denorm_mode_32 3
		.amdhsa_float_denorm_mode_16_64 3
		.amdhsa_fp16_overflow 0
		.amdhsa_memory_ordered 1
		.amdhsa_forward_progress 1
		.amdhsa_inst_pref_size 0
		.amdhsa_round_robin_scheduling 0
		.amdhsa_exception_fp_ieee_invalid_op 0
		.amdhsa_exception_fp_denorm_src 0
		.amdhsa_exception_fp_ieee_div_zero 0
		.amdhsa_exception_fp_ieee_overflow 0
		.amdhsa_exception_fp_ieee_underflow 0
		.amdhsa_exception_fp_ieee_inexact 0
		.amdhsa_exception_int_div_zero 0
	.end_amdhsa_kernel
	.section	.text._ZN7rocprim17ROCPRIM_400000_NS6detail17trampoline_kernelINS0_14default_configENS1_35radix_sort_onesweep_config_selectorIiNS0_10empty_typeEEEZZNS1_29radix_sort_onesweep_iterationIS3_Lb0EPKiPiPS5_SB_mNS0_19identity_decomposerENS1_16block_id_wrapperIjLb0EEEEE10hipError_tT1_PNSt15iterator_traitsISG_E10value_typeET2_T3_PNSH_ISM_E10value_typeET4_T5_PSR_SS_PNS1_23onesweep_lookback_stateEbbT6_jjT7_P12ihipStream_tbENKUlT_T0_SG_SL_E_clISA_SA_SB_SB_EEDaSZ_S10_SG_SL_EUlSZ_E_NS1_11comp_targetILNS1_3genE2ELNS1_11target_archE906ELNS1_3gpuE6ELNS1_3repE0EEENS1_47radix_sort_onesweep_sort_config_static_selectorELNS0_4arch9wavefront6targetE0EEEvSG_,"axG",@progbits,_ZN7rocprim17ROCPRIM_400000_NS6detail17trampoline_kernelINS0_14default_configENS1_35radix_sort_onesweep_config_selectorIiNS0_10empty_typeEEEZZNS1_29radix_sort_onesweep_iterationIS3_Lb0EPKiPiPS5_SB_mNS0_19identity_decomposerENS1_16block_id_wrapperIjLb0EEEEE10hipError_tT1_PNSt15iterator_traitsISG_E10value_typeET2_T3_PNSH_ISM_E10value_typeET4_T5_PSR_SS_PNS1_23onesweep_lookback_stateEbbT6_jjT7_P12ihipStream_tbENKUlT_T0_SG_SL_E_clISA_SA_SB_SB_EEDaSZ_S10_SG_SL_EUlSZ_E_NS1_11comp_targetILNS1_3genE2ELNS1_11target_archE906ELNS1_3gpuE6ELNS1_3repE0EEENS1_47radix_sort_onesweep_sort_config_static_selectorELNS0_4arch9wavefront6targetE0EEEvSG_,comdat
.Lfunc_end990:
	.size	_ZN7rocprim17ROCPRIM_400000_NS6detail17trampoline_kernelINS0_14default_configENS1_35radix_sort_onesweep_config_selectorIiNS0_10empty_typeEEEZZNS1_29radix_sort_onesweep_iterationIS3_Lb0EPKiPiPS5_SB_mNS0_19identity_decomposerENS1_16block_id_wrapperIjLb0EEEEE10hipError_tT1_PNSt15iterator_traitsISG_E10value_typeET2_T3_PNSH_ISM_E10value_typeET4_T5_PSR_SS_PNS1_23onesweep_lookback_stateEbbT6_jjT7_P12ihipStream_tbENKUlT_T0_SG_SL_E_clISA_SA_SB_SB_EEDaSZ_S10_SG_SL_EUlSZ_E_NS1_11comp_targetILNS1_3genE2ELNS1_11target_archE906ELNS1_3gpuE6ELNS1_3repE0EEENS1_47radix_sort_onesweep_sort_config_static_selectorELNS0_4arch9wavefront6targetE0EEEvSG_, .Lfunc_end990-_ZN7rocprim17ROCPRIM_400000_NS6detail17trampoline_kernelINS0_14default_configENS1_35radix_sort_onesweep_config_selectorIiNS0_10empty_typeEEEZZNS1_29radix_sort_onesweep_iterationIS3_Lb0EPKiPiPS5_SB_mNS0_19identity_decomposerENS1_16block_id_wrapperIjLb0EEEEE10hipError_tT1_PNSt15iterator_traitsISG_E10value_typeET2_T3_PNSH_ISM_E10value_typeET4_T5_PSR_SS_PNS1_23onesweep_lookback_stateEbbT6_jjT7_P12ihipStream_tbENKUlT_T0_SG_SL_E_clISA_SA_SB_SB_EEDaSZ_S10_SG_SL_EUlSZ_E_NS1_11comp_targetILNS1_3genE2ELNS1_11target_archE906ELNS1_3gpuE6ELNS1_3repE0EEENS1_47radix_sort_onesweep_sort_config_static_selectorELNS0_4arch9wavefront6targetE0EEEvSG_
                                        ; -- End function
	.set _ZN7rocprim17ROCPRIM_400000_NS6detail17trampoline_kernelINS0_14default_configENS1_35radix_sort_onesweep_config_selectorIiNS0_10empty_typeEEEZZNS1_29radix_sort_onesweep_iterationIS3_Lb0EPKiPiPS5_SB_mNS0_19identity_decomposerENS1_16block_id_wrapperIjLb0EEEEE10hipError_tT1_PNSt15iterator_traitsISG_E10value_typeET2_T3_PNSH_ISM_E10value_typeET4_T5_PSR_SS_PNS1_23onesweep_lookback_stateEbbT6_jjT7_P12ihipStream_tbENKUlT_T0_SG_SL_E_clISA_SA_SB_SB_EEDaSZ_S10_SG_SL_EUlSZ_E_NS1_11comp_targetILNS1_3genE2ELNS1_11target_archE906ELNS1_3gpuE6ELNS1_3repE0EEENS1_47radix_sort_onesweep_sort_config_static_selectorELNS0_4arch9wavefront6targetE0EEEvSG_.num_vgpr, 0
	.set _ZN7rocprim17ROCPRIM_400000_NS6detail17trampoline_kernelINS0_14default_configENS1_35radix_sort_onesweep_config_selectorIiNS0_10empty_typeEEEZZNS1_29radix_sort_onesweep_iterationIS3_Lb0EPKiPiPS5_SB_mNS0_19identity_decomposerENS1_16block_id_wrapperIjLb0EEEEE10hipError_tT1_PNSt15iterator_traitsISG_E10value_typeET2_T3_PNSH_ISM_E10value_typeET4_T5_PSR_SS_PNS1_23onesweep_lookback_stateEbbT6_jjT7_P12ihipStream_tbENKUlT_T0_SG_SL_E_clISA_SA_SB_SB_EEDaSZ_S10_SG_SL_EUlSZ_E_NS1_11comp_targetILNS1_3genE2ELNS1_11target_archE906ELNS1_3gpuE6ELNS1_3repE0EEENS1_47radix_sort_onesweep_sort_config_static_selectorELNS0_4arch9wavefront6targetE0EEEvSG_.num_agpr, 0
	.set _ZN7rocprim17ROCPRIM_400000_NS6detail17trampoline_kernelINS0_14default_configENS1_35radix_sort_onesweep_config_selectorIiNS0_10empty_typeEEEZZNS1_29radix_sort_onesweep_iterationIS3_Lb0EPKiPiPS5_SB_mNS0_19identity_decomposerENS1_16block_id_wrapperIjLb0EEEEE10hipError_tT1_PNSt15iterator_traitsISG_E10value_typeET2_T3_PNSH_ISM_E10value_typeET4_T5_PSR_SS_PNS1_23onesweep_lookback_stateEbbT6_jjT7_P12ihipStream_tbENKUlT_T0_SG_SL_E_clISA_SA_SB_SB_EEDaSZ_S10_SG_SL_EUlSZ_E_NS1_11comp_targetILNS1_3genE2ELNS1_11target_archE906ELNS1_3gpuE6ELNS1_3repE0EEENS1_47radix_sort_onesweep_sort_config_static_selectorELNS0_4arch9wavefront6targetE0EEEvSG_.numbered_sgpr, 0
	.set _ZN7rocprim17ROCPRIM_400000_NS6detail17trampoline_kernelINS0_14default_configENS1_35radix_sort_onesweep_config_selectorIiNS0_10empty_typeEEEZZNS1_29radix_sort_onesweep_iterationIS3_Lb0EPKiPiPS5_SB_mNS0_19identity_decomposerENS1_16block_id_wrapperIjLb0EEEEE10hipError_tT1_PNSt15iterator_traitsISG_E10value_typeET2_T3_PNSH_ISM_E10value_typeET4_T5_PSR_SS_PNS1_23onesweep_lookback_stateEbbT6_jjT7_P12ihipStream_tbENKUlT_T0_SG_SL_E_clISA_SA_SB_SB_EEDaSZ_S10_SG_SL_EUlSZ_E_NS1_11comp_targetILNS1_3genE2ELNS1_11target_archE906ELNS1_3gpuE6ELNS1_3repE0EEENS1_47radix_sort_onesweep_sort_config_static_selectorELNS0_4arch9wavefront6targetE0EEEvSG_.num_named_barrier, 0
	.set _ZN7rocprim17ROCPRIM_400000_NS6detail17trampoline_kernelINS0_14default_configENS1_35radix_sort_onesweep_config_selectorIiNS0_10empty_typeEEEZZNS1_29radix_sort_onesweep_iterationIS3_Lb0EPKiPiPS5_SB_mNS0_19identity_decomposerENS1_16block_id_wrapperIjLb0EEEEE10hipError_tT1_PNSt15iterator_traitsISG_E10value_typeET2_T3_PNSH_ISM_E10value_typeET4_T5_PSR_SS_PNS1_23onesweep_lookback_stateEbbT6_jjT7_P12ihipStream_tbENKUlT_T0_SG_SL_E_clISA_SA_SB_SB_EEDaSZ_S10_SG_SL_EUlSZ_E_NS1_11comp_targetILNS1_3genE2ELNS1_11target_archE906ELNS1_3gpuE6ELNS1_3repE0EEENS1_47radix_sort_onesweep_sort_config_static_selectorELNS0_4arch9wavefront6targetE0EEEvSG_.private_seg_size, 0
	.set _ZN7rocprim17ROCPRIM_400000_NS6detail17trampoline_kernelINS0_14default_configENS1_35radix_sort_onesweep_config_selectorIiNS0_10empty_typeEEEZZNS1_29radix_sort_onesweep_iterationIS3_Lb0EPKiPiPS5_SB_mNS0_19identity_decomposerENS1_16block_id_wrapperIjLb0EEEEE10hipError_tT1_PNSt15iterator_traitsISG_E10value_typeET2_T3_PNSH_ISM_E10value_typeET4_T5_PSR_SS_PNS1_23onesweep_lookback_stateEbbT6_jjT7_P12ihipStream_tbENKUlT_T0_SG_SL_E_clISA_SA_SB_SB_EEDaSZ_S10_SG_SL_EUlSZ_E_NS1_11comp_targetILNS1_3genE2ELNS1_11target_archE906ELNS1_3gpuE6ELNS1_3repE0EEENS1_47radix_sort_onesweep_sort_config_static_selectorELNS0_4arch9wavefront6targetE0EEEvSG_.uses_vcc, 0
	.set _ZN7rocprim17ROCPRIM_400000_NS6detail17trampoline_kernelINS0_14default_configENS1_35radix_sort_onesweep_config_selectorIiNS0_10empty_typeEEEZZNS1_29radix_sort_onesweep_iterationIS3_Lb0EPKiPiPS5_SB_mNS0_19identity_decomposerENS1_16block_id_wrapperIjLb0EEEEE10hipError_tT1_PNSt15iterator_traitsISG_E10value_typeET2_T3_PNSH_ISM_E10value_typeET4_T5_PSR_SS_PNS1_23onesweep_lookback_stateEbbT6_jjT7_P12ihipStream_tbENKUlT_T0_SG_SL_E_clISA_SA_SB_SB_EEDaSZ_S10_SG_SL_EUlSZ_E_NS1_11comp_targetILNS1_3genE2ELNS1_11target_archE906ELNS1_3gpuE6ELNS1_3repE0EEENS1_47radix_sort_onesweep_sort_config_static_selectorELNS0_4arch9wavefront6targetE0EEEvSG_.uses_flat_scratch, 0
	.set _ZN7rocprim17ROCPRIM_400000_NS6detail17trampoline_kernelINS0_14default_configENS1_35radix_sort_onesweep_config_selectorIiNS0_10empty_typeEEEZZNS1_29radix_sort_onesweep_iterationIS3_Lb0EPKiPiPS5_SB_mNS0_19identity_decomposerENS1_16block_id_wrapperIjLb0EEEEE10hipError_tT1_PNSt15iterator_traitsISG_E10value_typeET2_T3_PNSH_ISM_E10value_typeET4_T5_PSR_SS_PNS1_23onesweep_lookback_stateEbbT6_jjT7_P12ihipStream_tbENKUlT_T0_SG_SL_E_clISA_SA_SB_SB_EEDaSZ_S10_SG_SL_EUlSZ_E_NS1_11comp_targetILNS1_3genE2ELNS1_11target_archE906ELNS1_3gpuE6ELNS1_3repE0EEENS1_47radix_sort_onesweep_sort_config_static_selectorELNS0_4arch9wavefront6targetE0EEEvSG_.has_dyn_sized_stack, 0
	.set _ZN7rocprim17ROCPRIM_400000_NS6detail17trampoline_kernelINS0_14default_configENS1_35radix_sort_onesweep_config_selectorIiNS0_10empty_typeEEEZZNS1_29radix_sort_onesweep_iterationIS3_Lb0EPKiPiPS5_SB_mNS0_19identity_decomposerENS1_16block_id_wrapperIjLb0EEEEE10hipError_tT1_PNSt15iterator_traitsISG_E10value_typeET2_T3_PNSH_ISM_E10value_typeET4_T5_PSR_SS_PNS1_23onesweep_lookback_stateEbbT6_jjT7_P12ihipStream_tbENKUlT_T0_SG_SL_E_clISA_SA_SB_SB_EEDaSZ_S10_SG_SL_EUlSZ_E_NS1_11comp_targetILNS1_3genE2ELNS1_11target_archE906ELNS1_3gpuE6ELNS1_3repE0EEENS1_47radix_sort_onesweep_sort_config_static_selectorELNS0_4arch9wavefront6targetE0EEEvSG_.has_recursion, 0
	.set _ZN7rocprim17ROCPRIM_400000_NS6detail17trampoline_kernelINS0_14default_configENS1_35radix_sort_onesweep_config_selectorIiNS0_10empty_typeEEEZZNS1_29radix_sort_onesweep_iterationIS3_Lb0EPKiPiPS5_SB_mNS0_19identity_decomposerENS1_16block_id_wrapperIjLb0EEEEE10hipError_tT1_PNSt15iterator_traitsISG_E10value_typeET2_T3_PNSH_ISM_E10value_typeET4_T5_PSR_SS_PNS1_23onesweep_lookback_stateEbbT6_jjT7_P12ihipStream_tbENKUlT_T0_SG_SL_E_clISA_SA_SB_SB_EEDaSZ_S10_SG_SL_EUlSZ_E_NS1_11comp_targetILNS1_3genE2ELNS1_11target_archE906ELNS1_3gpuE6ELNS1_3repE0EEENS1_47radix_sort_onesweep_sort_config_static_selectorELNS0_4arch9wavefront6targetE0EEEvSG_.has_indirect_call, 0
	.section	.AMDGPU.csdata,"",@progbits
; Kernel info:
; codeLenInByte = 0
; TotalNumSgprs: 0
; NumVgprs: 0
; ScratchSize: 0
; MemoryBound: 0
; FloatMode: 240
; IeeeMode: 1
; LDSByteSize: 0 bytes/workgroup (compile time only)
; SGPRBlocks: 0
; VGPRBlocks: 0
; NumSGPRsForWavesPerEU: 1
; NumVGPRsForWavesPerEU: 1
; NamedBarCnt: 0
; Occupancy: 16
; WaveLimiterHint : 0
; COMPUTE_PGM_RSRC2:SCRATCH_EN: 0
; COMPUTE_PGM_RSRC2:USER_SGPR: 2
; COMPUTE_PGM_RSRC2:TRAP_HANDLER: 0
; COMPUTE_PGM_RSRC2:TGID_X_EN: 1
; COMPUTE_PGM_RSRC2:TGID_Y_EN: 0
; COMPUTE_PGM_RSRC2:TGID_Z_EN: 0
; COMPUTE_PGM_RSRC2:TIDIG_COMP_CNT: 0
	.section	.text._ZN7rocprim17ROCPRIM_400000_NS6detail17trampoline_kernelINS0_14default_configENS1_35radix_sort_onesweep_config_selectorIiNS0_10empty_typeEEEZZNS1_29radix_sort_onesweep_iterationIS3_Lb0EPKiPiPS5_SB_mNS0_19identity_decomposerENS1_16block_id_wrapperIjLb0EEEEE10hipError_tT1_PNSt15iterator_traitsISG_E10value_typeET2_T3_PNSH_ISM_E10value_typeET4_T5_PSR_SS_PNS1_23onesweep_lookback_stateEbbT6_jjT7_P12ihipStream_tbENKUlT_T0_SG_SL_E_clISA_SA_SB_SB_EEDaSZ_S10_SG_SL_EUlSZ_E_NS1_11comp_targetILNS1_3genE4ELNS1_11target_archE910ELNS1_3gpuE8ELNS1_3repE0EEENS1_47radix_sort_onesweep_sort_config_static_selectorELNS0_4arch9wavefront6targetE0EEEvSG_,"axG",@progbits,_ZN7rocprim17ROCPRIM_400000_NS6detail17trampoline_kernelINS0_14default_configENS1_35radix_sort_onesweep_config_selectorIiNS0_10empty_typeEEEZZNS1_29radix_sort_onesweep_iterationIS3_Lb0EPKiPiPS5_SB_mNS0_19identity_decomposerENS1_16block_id_wrapperIjLb0EEEEE10hipError_tT1_PNSt15iterator_traitsISG_E10value_typeET2_T3_PNSH_ISM_E10value_typeET4_T5_PSR_SS_PNS1_23onesweep_lookback_stateEbbT6_jjT7_P12ihipStream_tbENKUlT_T0_SG_SL_E_clISA_SA_SB_SB_EEDaSZ_S10_SG_SL_EUlSZ_E_NS1_11comp_targetILNS1_3genE4ELNS1_11target_archE910ELNS1_3gpuE8ELNS1_3repE0EEENS1_47radix_sort_onesweep_sort_config_static_selectorELNS0_4arch9wavefront6targetE0EEEvSG_,comdat
	.protected	_ZN7rocprim17ROCPRIM_400000_NS6detail17trampoline_kernelINS0_14default_configENS1_35radix_sort_onesweep_config_selectorIiNS0_10empty_typeEEEZZNS1_29radix_sort_onesweep_iterationIS3_Lb0EPKiPiPS5_SB_mNS0_19identity_decomposerENS1_16block_id_wrapperIjLb0EEEEE10hipError_tT1_PNSt15iterator_traitsISG_E10value_typeET2_T3_PNSH_ISM_E10value_typeET4_T5_PSR_SS_PNS1_23onesweep_lookback_stateEbbT6_jjT7_P12ihipStream_tbENKUlT_T0_SG_SL_E_clISA_SA_SB_SB_EEDaSZ_S10_SG_SL_EUlSZ_E_NS1_11comp_targetILNS1_3genE4ELNS1_11target_archE910ELNS1_3gpuE8ELNS1_3repE0EEENS1_47radix_sort_onesweep_sort_config_static_selectorELNS0_4arch9wavefront6targetE0EEEvSG_ ; -- Begin function _ZN7rocprim17ROCPRIM_400000_NS6detail17trampoline_kernelINS0_14default_configENS1_35radix_sort_onesweep_config_selectorIiNS0_10empty_typeEEEZZNS1_29radix_sort_onesweep_iterationIS3_Lb0EPKiPiPS5_SB_mNS0_19identity_decomposerENS1_16block_id_wrapperIjLb0EEEEE10hipError_tT1_PNSt15iterator_traitsISG_E10value_typeET2_T3_PNSH_ISM_E10value_typeET4_T5_PSR_SS_PNS1_23onesweep_lookback_stateEbbT6_jjT7_P12ihipStream_tbENKUlT_T0_SG_SL_E_clISA_SA_SB_SB_EEDaSZ_S10_SG_SL_EUlSZ_E_NS1_11comp_targetILNS1_3genE4ELNS1_11target_archE910ELNS1_3gpuE8ELNS1_3repE0EEENS1_47radix_sort_onesweep_sort_config_static_selectorELNS0_4arch9wavefront6targetE0EEEvSG_
	.globl	_ZN7rocprim17ROCPRIM_400000_NS6detail17trampoline_kernelINS0_14default_configENS1_35radix_sort_onesweep_config_selectorIiNS0_10empty_typeEEEZZNS1_29radix_sort_onesweep_iterationIS3_Lb0EPKiPiPS5_SB_mNS0_19identity_decomposerENS1_16block_id_wrapperIjLb0EEEEE10hipError_tT1_PNSt15iterator_traitsISG_E10value_typeET2_T3_PNSH_ISM_E10value_typeET4_T5_PSR_SS_PNS1_23onesweep_lookback_stateEbbT6_jjT7_P12ihipStream_tbENKUlT_T0_SG_SL_E_clISA_SA_SB_SB_EEDaSZ_S10_SG_SL_EUlSZ_E_NS1_11comp_targetILNS1_3genE4ELNS1_11target_archE910ELNS1_3gpuE8ELNS1_3repE0EEENS1_47radix_sort_onesweep_sort_config_static_selectorELNS0_4arch9wavefront6targetE0EEEvSG_
	.p2align	8
	.type	_ZN7rocprim17ROCPRIM_400000_NS6detail17trampoline_kernelINS0_14default_configENS1_35radix_sort_onesweep_config_selectorIiNS0_10empty_typeEEEZZNS1_29radix_sort_onesweep_iterationIS3_Lb0EPKiPiPS5_SB_mNS0_19identity_decomposerENS1_16block_id_wrapperIjLb0EEEEE10hipError_tT1_PNSt15iterator_traitsISG_E10value_typeET2_T3_PNSH_ISM_E10value_typeET4_T5_PSR_SS_PNS1_23onesweep_lookback_stateEbbT6_jjT7_P12ihipStream_tbENKUlT_T0_SG_SL_E_clISA_SA_SB_SB_EEDaSZ_S10_SG_SL_EUlSZ_E_NS1_11comp_targetILNS1_3genE4ELNS1_11target_archE910ELNS1_3gpuE8ELNS1_3repE0EEENS1_47radix_sort_onesweep_sort_config_static_selectorELNS0_4arch9wavefront6targetE0EEEvSG_,@function
_ZN7rocprim17ROCPRIM_400000_NS6detail17trampoline_kernelINS0_14default_configENS1_35radix_sort_onesweep_config_selectorIiNS0_10empty_typeEEEZZNS1_29radix_sort_onesweep_iterationIS3_Lb0EPKiPiPS5_SB_mNS0_19identity_decomposerENS1_16block_id_wrapperIjLb0EEEEE10hipError_tT1_PNSt15iterator_traitsISG_E10value_typeET2_T3_PNSH_ISM_E10value_typeET4_T5_PSR_SS_PNS1_23onesweep_lookback_stateEbbT6_jjT7_P12ihipStream_tbENKUlT_T0_SG_SL_E_clISA_SA_SB_SB_EEDaSZ_S10_SG_SL_EUlSZ_E_NS1_11comp_targetILNS1_3genE4ELNS1_11target_archE910ELNS1_3gpuE8ELNS1_3repE0EEENS1_47radix_sort_onesweep_sort_config_static_selectorELNS0_4arch9wavefront6targetE0EEEvSG_: ; @_ZN7rocprim17ROCPRIM_400000_NS6detail17trampoline_kernelINS0_14default_configENS1_35radix_sort_onesweep_config_selectorIiNS0_10empty_typeEEEZZNS1_29radix_sort_onesweep_iterationIS3_Lb0EPKiPiPS5_SB_mNS0_19identity_decomposerENS1_16block_id_wrapperIjLb0EEEEE10hipError_tT1_PNSt15iterator_traitsISG_E10value_typeET2_T3_PNSH_ISM_E10value_typeET4_T5_PSR_SS_PNS1_23onesweep_lookback_stateEbbT6_jjT7_P12ihipStream_tbENKUlT_T0_SG_SL_E_clISA_SA_SB_SB_EEDaSZ_S10_SG_SL_EUlSZ_E_NS1_11comp_targetILNS1_3genE4ELNS1_11target_archE910ELNS1_3gpuE8ELNS1_3repE0EEENS1_47radix_sort_onesweep_sort_config_static_selectorELNS0_4arch9wavefront6targetE0EEEvSG_
; %bb.0:
	.section	.rodata,"a",@progbits
	.p2align	6, 0x0
	.amdhsa_kernel _ZN7rocprim17ROCPRIM_400000_NS6detail17trampoline_kernelINS0_14default_configENS1_35radix_sort_onesweep_config_selectorIiNS0_10empty_typeEEEZZNS1_29radix_sort_onesweep_iterationIS3_Lb0EPKiPiPS5_SB_mNS0_19identity_decomposerENS1_16block_id_wrapperIjLb0EEEEE10hipError_tT1_PNSt15iterator_traitsISG_E10value_typeET2_T3_PNSH_ISM_E10value_typeET4_T5_PSR_SS_PNS1_23onesweep_lookback_stateEbbT6_jjT7_P12ihipStream_tbENKUlT_T0_SG_SL_E_clISA_SA_SB_SB_EEDaSZ_S10_SG_SL_EUlSZ_E_NS1_11comp_targetILNS1_3genE4ELNS1_11target_archE910ELNS1_3gpuE8ELNS1_3repE0EEENS1_47radix_sort_onesweep_sort_config_static_selectorELNS0_4arch9wavefront6targetE0EEEvSG_
		.amdhsa_group_segment_fixed_size 0
		.amdhsa_private_segment_fixed_size 0
		.amdhsa_kernarg_size 88
		.amdhsa_user_sgpr_count 2
		.amdhsa_user_sgpr_dispatch_ptr 0
		.amdhsa_user_sgpr_queue_ptr 0
		.amdhsa_user_sgpr_kernarg_segment_ptr 1
		.amdhsa_user_sgpr_dispatch_id 0
		.amdhsa_user_sgpr_kernarg_preload_length 0
		.amdhsa_user_sgpr_kernarg_preload_offset 0
		.amdhsa_user_sgpr_private_segment_size 0
		.amdhsa_wavefront_size32 1
		.amdhsa_uses_dynamic_stack 0
		.amdhsa_enable_private_segment 0
		.amdhsa_system_sgpr_workgroup_id_x 1
		.amdhsa_system_sgpr_workgroup_id_y 0
		.amdhsa_system_sgpr_workgroup_id_z 0
		.amdhsa_system_sgpr_workgroup_info 0
		.amdhsa_system_vgpr_workitem_id 0
		.amdhsa_next_free_vgpr 1
		.amdhsa_next_free_sgpr 1
		.amdhsa_named_barrier_count 0
		.amdhsa_reserve_vcc 0
		.amdhsa_float_round_mode_32 0
		.amdhsa_float_round_mode_16_64 0
		.amdhsa_float_denorm_mode_32 3
		.amdhsa_float_denorm_mode_16_64 3
		.amdhsa_fp16_overflow 0
		.amdhsa_memory_ordered 1
		.amdhsa_forward_progress 1
		.amdhsa_inst_pref_size 0
		.amdhsa_round_robin_scheduling 0
		.amdhsa_exception_fp_ieee_invalid_op 0
		.amdhsa_exception_fp_denorm_src 0
		.amdhsa_exception_fp_ieee_div_zero 0
		.amdhsa_exception_fp_ieee_overflow 0
		.amdhsa_exception_fp_ieee_underflow 0
		.amdhsa_exception_fp_ieee_inexact 0
		.amdhsa_exception_int_div_zero 0
	.end_amdhsa_kernel
	.section	.text._ZN7rocprim17ROCPRIM_400000_NS6detail17trampoline_kernelINS0_14default_configENS1_35radix_sort_onesweep_config_selectorIiNS0_10empty_typeEEEZZNS1_29radix_sort_onesweep_iterationIS3_Lb0EPKiPiPS5_SB_mNS0_19identity_decomposerENS1_16block_id_wrapperIjLb0EEEEE10hipError_tT1_PNSt15iterator_traitsISG_E10value_typeET2_T3_PNSH_ISM_E10value_typeET4_T5_PSR_SS_PNS1_23onesweep_lookback_stateEbbT6_jjT7_P12ihipStream_tbENKUlT_T0_SG_SL_E_clISA_SA_SB_SB_EEDaSZ_S10_SG_SL_EUlSZ_E_NS1_11comp_targetILNS1_3genE4ELNS1_11target_archE910ELNS1_3gpuE8ELNS1_3repE0EEENS1_47radix_sort_onesweep_sort_config_static_selectorELNS0_4arch9wavefront6targetE0EEEvSG_,"axG",@progbits,_ZN7rocprim17ROCPRIM_400000_NS6detail17trampoline_kernelINS0_14default_configENS1_35radix_sort_onesweep_config_selectorIiNS0_10empty_typeEEEZZNS1_29radix_sort_onesweep_iterationIS3_Lb0EPKiPiPS5_SB_mNS0_19identity_decomposerENS1_16block_id_wrapperIjLb0EEEEE10hipError_tT1_PNSt15iterator_traitsISG_E10value_typeET2_T3_PNSH_ISM_E10value_typeET4_T5_PSR_SS_PNS1_23onesweep_lookback_stateEbbT6_jjT7_P12ihipStream_tbENKUlT_T0_SG_SL_E_clISA_SA_SB_SB_EEDaSZ_S10_SG_SL_EUlSZ_E_NS1_11comp_targetILNS1_3genE4ELNS1_11target_archE910ELNS1_3gpuE8ELNS1_3repE0EEENS1_47radix_sort_onesweep_sort_config_static_selectorELNS0_4arch9wavefront6targetE0EEEvSG_,comdat
.Lfunc_end991:
	.size	_ZN7rocprim17ROCPRIM_400000_NS6detail17trampoline_kernelINS0_14default_configENS1_35radix_sort_onesweep_config_selectorIiNS0_10empty_typeEEEZZNS1_29radix_sort_onesweep_iterationIS3_Lb0EPKiPiPS5_SB_mNS0_19identity_decomposerENS1_16block_id_wrapperIjLb0EEEEE10hipError_tT1_PNSt15iterator_traitsISG_E10value_typeET2_T3_PNSH_ISM_E10value_typeET4_T5_PSR_SS_PNS1_23onesweep_lookback_stateEbbT6_jjT7_P12ihipStream_tbENKUlT_T0_SG_SL_E_clISA_SA_SB_SB_EEDaSZ_S10_SG_SL_EUlSZ_E_NS1_11comp_targetILNS1_3genE4ELNS1_11target_archE910ELNS1_3gpuE8ELNS1_3repE0EEENS1_47radix_sort_onesweep_sort_config_static_selectorELNS0_4arch9wavefront6targetE0EEEvSG_, .Lfunc_end991-_ZN7rocprim17ROCPRIM_400000_NS6detail17trampoline_kernelINS0_14default_configENS1_35radix_sort_onesweep_config_selectorIiNS0_10empty_typeEEEZZNS1_29radix_sort_onesweep_iterationIS3_Lb0EPKiPiPS5_SB_mNS0_19identity_decomposerENS1_16block_id_wrapperIjLb0EEEEE10hipError_tT1_PNSt15iterator_traitsISG_E10value_typeET2_T3_PNSH_ISM_E10value_typeET4_T5_PSR_SS_PNS1_23onesweep_lookback_stateEbbT6_jjT7_P12ihipStream_tbENKUlT_T0_SG_SL_E_clISA_SA_SB_SB_EEDaSZ_S10_SG_SL_EUlSZ_E_NS1_11comp_targetILNS1_3genE4ELNS1_11target_archE910ELNS1_3gpuE8ELNS1_3repE0EEENS1_47radix_sort_onesweep_sort_config_static_selectorELNS0_4arch9wavefront6targetE0EEEvSG_
                                        ; -- End function
	.set _ZN7rocprim17ROCPRIM_400000_NS6detail17trampoline_kernelINS0_14default_configENS1_35radix_sort_onesweep_config_selectorIiNS0_10empty_typeEEEZZNS1_29radix_sort_onesweep_iterationIS3_Lb0EPKiPiPS5_SB_mNS0_19identity_decomposerENS1_16block_id_wrapperIjLb0EEEEE10hipError_tT1_PNSt15iterator_traitsISG_E10value_typeET2_T3_PNSH_ISM_E10value_typeET4_T5_PSR_SS_PNS1_23onesweep_lookback_stateEbbT6_jjT7_P12ihipStream_tbENKUlT_T0_SG_SL_E_clISA_SA_SB_SB_EEDaSZ_S10_SG_SL_EUlSZ_E_NS1_11comp_targetILNS1_3genE4ELNS1_11target_archE910ELNS1_3gpuE8ELNS1_3repE0EEENS1_47radix_sort_onesweep_sort_config_static_selectorELNS0_4arch9wavefront6targetE0EEEvSG_.num_vgpr, 0
	.set _ZN7rocprim17ROCPRIM_400000_NS6detail17trampoline_kernelINS0_14default_configENS1_35radix_sort_onesweep_config_selectorIiNS0_10empty_typeEEEZZNS1_29radix_sort_onesweep_iterationIS3_Lb0EPKiPiPS5_SB_mNS0_19identity_decomposerENS1_16block_id_wrapperIjLb0EEEEE10hipError_tT1_PNSt15iterator_traitsISG_E10value_typeET2_T3_PNSH_ISM_E10value_typeET4_T5_PSR_SS_PNS1_23onesweep_lookback_stateEbbT6_jjT7_P12ihipStream_tbENKUlT_T0_SG_SL_E_clISA_SA_SB_SB_EEDaSZ_S10_SG_SL_EUlSZ_E_NS1_11comp_targetILNS1_3genE4ELNS1_11target_archE910ELNS1_3gpuE8ELNS1_3repE0EEENS1_47radix_sort_onesweep_sort_config_static_selectorELNS0_4arch9wavefront6targetE0EEEvSG_.num_agpr, 0
	.set _ZN7rocprim17ROCPRIM_400000_NS6detail17trampoline_kernelINS0_14default_configENS1_35radix_sort_onesweep_config_selectorIiNS0_10empty_typeEEEZZNS1_29radix_sort_onesweep_iterationIS3_Lb0EPKiPiPS5_SB_mNS0_19identity_decomposerENS1_16block_id_wrapperIjLb0EEEEE10hipError_tT1_PNSt15iterator_traitsISG_E10value_typeET2_T3_PNSH_ISM_E10value_typeET4_T5_PSR_SS_PNS1_23onesweep_lookback_stateEbbT6_jjT7_P12ihipStream_tbENKUlT_T0_SG_SL_E_clISA_SA_SB_SB_EEDaSZ_S10_SG_SL_EUlSZ_E_NS1_11comp_targetILNS1_3genE4ELNS1_11target_archE910ELNS1_3gpuE8ELNS1_3repE0EEENS1_47radix_sort_onesweep_sort_config_static_selectorELNS0_4arch9wavefront6targetE0EEEvSG_.numbered_sgpr, 0
	.set _ZN7rocprim17ROCPRIM_400000_NS6detail17trampoline_kernelINS0_14default_configENS1_35radix_sort_onesweep_config_selectorIiNS0_10empty_typeEEEZZNS1_29radix_sort_onesweep_iterationIS3_Lb0EPKiPiPS5_SB_mNS0_19identity_decomposerENS1_16block_id_wrapperIjLb0EEEEE10hipError_tT1_PNSt15iterator_traitsISG_E10value_typeET2_T3_PNSH_ISM_E10value_typeET4_T5_PSR_SS_PNS1_23onesweep_lookback_stateEbbT6_jjT7_P12ihipStream_tbENKUlT_T0_SG_SL_E_clISA_SA_SB_SB_EEDaSZ_S10_SG_SL_EUlSZ_E_NS1_11comp_targetILNS1_3genE4ELNS1_11target_archE910ELNS1_3gpuE8ELNS1_3repE0EEENS1_47radix_sort_onesweep_sort_config_static_selectorELNS0_4arch9wavefront6targetE0EEEvSG_.num_named_barrier, 0
	.set _ZN7rocprim17ROCPRIM_400000_NS6detail17trampoline_kernelINS0_14default_configENS1_35radix_sort_onesweep_config_selectorIiNS0_10empty_typeEEEZZNS1_29radix_sort_onesweep_iterationIS3_Lb0EPKiPiPS5_SB_mNS0_19identity_decomposerENS1_16block_id_wrapperIjLb0EEEEE10hipError_tT1_PNSt15iterator_traitsISG_E10value_typeET2_T3_PNSH_ISM_E10value_typeET4_T5_PSR_SS_PNS1_23onesweep_lookback_stateEbbT6_jjT7_P12ihipStream_tbENKUlT_T0_SG_SL_E_clISA_SA_SB_SB_EEDaSZ_S10_SG_SL_EUlSZ_E_NS1_11comp_targetILNS1_3genE4ELNS1_11target_archE910ELNS1_3gpuE8ELNS1_3repE0EEENS1_47radix_sort_onesweep_sort_config_static_selectorELNS0_4arch9wavefront6targetE0EEEvSG_.private_seg_size, 0
	.set _ZN7rocprim17ROCPRIM_400000_NS6detail17trampoline_kernelINS0_14default_configENS1_35radix_sort_onesweep_config_selectorIiNS0_10empty_typeEEEZZNS1_29radix_sort_onesweep_iterationIS3_Lb0EPKiPiPS5_SB_mNS0_19identity_decomposerENS1_16block_id_wrapperIjLb0EEEEE10hipError_tT1_PNSt15iterator_traitsISG_E10value_typeET2_T3_PNSH_ISM_E10value_typeET4_T5_PSR_SS_PNS1_23onesweep_lookback_stateEbbT6_jjT7_P12ihipStream_tbENKUlT_T0_SG_SL_E_clISA_SA_SB_SB_EEDaSZ_S10_SG_SL_EUlSZ_E_NS1_11comp_targetILNS1_3genE4ELNS1_11target_archE910ELNS1_3gpuE8ELNS1_3repE0EEENS1_47radix_sort_onesweep_sort_config_static_selectorELNS0_4arch9wavefront6targetE0EEEvSG_.uses_vcc, 0
	.set _ZN7rocprim17ROCPRIM_400000_NS6detail17trampoline_kernelINS0_14default_configENS1_35radix_sort_onesweep_config_selectorIiNS0_10empty_typeEEEZZNS1_29radix_sort_onesweep_iterationIS3_Lb0EPKiPiPS5_SB_mNS0_19identity_decomposerENS1_16block_id_wrapperIjLb0EEEEE10hipError_tT1_PNSt15iterator_traitsISG_E10value_typeET2_T3_PNSH_ISM_E10value_typeET4_T5_PSR_SS_PNS1_23onesweep_lookback_stateEbbT6_jjT7_P12ihipStream_tbENKUlT_T0_SG_SL_E_clISA_SA_SB_SB_EEDaSZ_S10_SG_SL_EUlSZ_E_NS1_11comp_targetILNS1_3genE4ELNS1_11target_archE910ELNS1_3gpuE8ELNS1_3repE0EEENS1_47radix_sort_onesweep_sort_config_static_selectorELNS0_4arch9wavefront6targetE0EEEvSG_.uses_flat_scratch, 0
	.set _ZN7rocprim17ROCPRIM_400000_NS6detail17trampoline_kernelINS0_14default_configENS1_35radix_sort_onesweep_config_selectorIiNS0_10empty_typeEEEZZNS1_29radix_sort_onesweep_iterationIS3_Lb0EPKiPiPS5_SB_mNS0_19identity_decomposerENS1_16block_id_wrapperIjLb0EEEEE10hipError_tT1_PNSt15iterator_traitsISG_E10value_typeET2_T3_PNSH_ISM_E10value_typeET4_T5_PSR_SS_PNS1_23onesweep_lookback_stateEbbT6_jjT7_P12ihipStream_tbENKUlT_T0_SG_SL_E_clISA_SA_SB_SB_EEDaSZ_S10_SG_SL_EUlSZ_E_NS1_11comp_targetILNS1_3genE4ELNS1_11target_archE910ELNS1_3gpuE8ELNS1_3repE0EEENS1_47radix_sort_onesweep_sort_config_static_selectorELNS0_4arch9wavefront6targetE0EEEvSG_.has_dyn_sized_stack, 0
	.set _ZN7rocprim17ROCPRIM_400000_NS6detail17trampoline_kernelINS0_14default_configENS1_35radix_sort_onesweep_config_selectorIiNS0_10empty_typeEEEZZNS1_29radix_sort_onesweep_iterationIS3_Lb0EPKiPiPS5_SB_mNS0_19identity_decomposerENS1_16block_id_wrapperIjLb0EEEEE10hipError_tT1_PNSt15iterator_traitsISG_E10value_typeET2_T3_PNSH_ISM_E10value_typeET4_T5_PSR_SS_PNS1_23onesweep_lookback_stateEbbT6_jjT7_P12ihipStream_tbENKUlT_T0_SG_SL_E_clISA_SA_SB_SB_EEDaSZ_S10_SG_SL_EUlSZ_E_NS1_11comp_targetILNS1_3genE4ELNS1_11target_archE910ELNS1_3gpuE8ELNS1_3repE0EEENS1_47radix_sort_onesweep_sort_config_static_selectorELNS0_4arch9wavefront6targetE0EEEvSG_.has_recursion, 0
	.set _ZN7rocprim17ROCPRIM_400000_NS6detail17trampoline_kernelINS0_14default_configENS1_35radix_sort_onesweep_config_selectorIiNS0_10empty_typeEEEZZNS1_29radix_sort_onesweep_iterationIS3_Lb0EPKiPiPS5_SB_mNS0_19identity_decomposerENS1_16block_id_wrapperIjLb0EEEEE10hipError_tT1_PNSt15iterator_traitsISG_E10value_typeET2_T3_PNSH_ISM_E10value_typeET4_T5_PSR_SS_PNS1_23onesweep_lookback_stateEbbT6_jjT7_P12ihipStream_tbENKUlT_T0_SG_SL_E_clISA_SA_SB_SB_EEDaSZ_S10_SG_SL_EUlSZ_E_NS1_11comp_targetILNS1_3genE4ELNS1_11target_archE910ELNS1_3gpuE8ELNS1_3repE0EEENS1_47radix_sort_onesweep_sort_config_static_selectorELNS0_4arch9wavefront6targetE0EEEvSG_.has_indirect_call, 0
	.section	.AMDGPU.csdata,"",@progbits
; Kernel info:
; codeLenInByte = 0
; TotalNumSgprs: 0
; NumVgprs: 0
; ScratchSize: 0
; MemoryBound: 0
; FloatMode: 240
; IeeeMode: 1
; LDSByteSize: 0 bytes/workgroup (compile time only)
; SGPRBlocks: 0
; VGPRBlocks: 0
; NumSGPRsForWavesPerEU: 1
; NumVGPRsForWavesPerEU: 1
; NamedBarCnt: 0
; Occupancy: 16
; WaveLimiterHint : 0
; COMPUTE_PGM_RSRC2:SCRATCH_EN: 0
; COMPUTE_PGM_RSRC2:USER_SGPR: 2
; COMPUTE_PGM_RSRC2:TRAP_HANDLER: 0
; COMPUTE_PGM_RSRC2:TGID_X_EN: 1
; COMPUTE_PGM_RSRC2:TGID_Y_EN: 0
; COMPUTE_PGM_RSRC2:TGID_Z_EN: 0
; COMPUTE_PGM_RSRC2:TIDIG_COMP_CNT: 0
	.section	.text._ZN7rocprim17ROCPRIM_400000_NS6detail17trampoline_kernelINS0_14default_configENS1_35radix_sort_onesweep_config_selectorIiNS0_10empty_typeEEEZZNS1_29radix_sort_onesweep_iterationIS3_Lb0EPKiPiPS5_SB_mNS0_19identity_decomposerENS1_16block_id_wrapperIjLb0EEEEE10hipError_tT1_PNSt15iterator_traitsISG_E10value_typeET2_T3_PNSH_ISM_E10value_typeET4_T5_PSR_SS_PNS1_23onesweep_lookback_stateEbbT6_jjT7_P12ihipStream_tbENKUlT_T0_SG_SL_E_clISA_SA_SB_SB_EEDaSZ_S10_SG_SL_EUlSZ_E_NS1_11comp_targetILNS1_3genE3ELNS1_11target_archE908ELNS1_3gpuE7ELNS1_3repE0EEENS1_47radix_sort_onesweep_sort_config_static_selectorELNS0_4arch9wavefront6targetE0EEEvSG_,"axG",@progbits,_ZN7rocprim17ROCPRIM_400000_NS6detail17trampoline_kernelINS0_14default_configENS1_35radix_sort_onesweep_config_selectorIiNS0_10empty_typeEEEZZNS1_29radix_sort_onesweep_iterationIS3_Lb0EPKiPiPS5_SB_mNS0_19identity_decomposerENS1_16block_id_wrapperIjLb0EEEEE10hipError_tT1_PNSt15iterator_traitsISG_E10value_typeET2_T3_PNSH_ISM_E10value_typeET4_T5_PSR_SS_PNS1_23onesweep_lookback_stateEbbT6_jjT7_P12ihipStream_tbENKUlT_T0_SG_SL_E_clISA_SA_SB_SB_EEDaSZ_S10_SG_SL_EUlSZ_E_NS1_11comp_targetILNS1_3genE3ELNS1_11target_archE908ELNS1_3gpuE7ELNS1_3repE0EEENS1_47radix_sort_onesweep_sort_config_static_selectorELNS0_4arch9wavefront6targetE0EEEvSG_,comdat
	.protected	_ZN7rocprim17ROCPRIM_400000_NS6detail17trampoline_kernelINS0_14default_configENS1_35radix_sort_onesweep_config_selectorIiNS0_10empty_typeEEEZZNS1_29radix_sort_onesweep_iterationIS3_Lb0EPKiPiPS5_SB_mNS0_19identity_decomposerENS1_16block_id_wrapperIjLb0EEEEE10hipError_tT1_PNSt15iterator_traitsISG_E10value_typeET2_T3_PNSH_ISM_E10value_typeET4_T5_PSR_SS_PNS1_23onesweep_lookback_stateEbbT6_jjT7_P12ihipStream_tbENKUlT_T0_SG_SL_E_clISA_SA_SB_SB_EEDaSZ_S10_SG_SL_EUlSZ_E_NS1_11comp_targetILNS1_3genE3ELNS1_11target_archE908ELNS1_3gpuE7ELNS1_3repE0EEENS1_47radix_sort_onesweep_sort_config_static_selectorELNS0_4arch9wavefront6targetE0EEEvSG_ ; -- Begin function _ZN7rocprim17ROCPRIM_400000_NS6detail17trampoline_kernelINS0_14default_configENS1_35radix_sort_onesweep_config_selectorIiNS0_10empty_typeEEEZZNS1_29radix_sort_onesweep_iterationIS3_Lb0EPKiPiPS5_SB_mNS0_19identity_decomposerENS1_16block_id_wrapperIjLb0EEEEE10hipError_tT1_PNSt15iterator_traitsISG_E10value_typeET2_T3_PNSH_ISM_E10value_typeET4_T5_PSR_SS_PNS1_23onesweep_lookback_stateEbbT6_jjT7_P12ihipStream_tbENKUlT_T0_SG_SL_E_clISA_SA_SB_SB_EEDaSZ_S10_SG_SL_EUlSZ_E_NS1_11comp_targetILNS1_3genE3ELNS1_11target_archE908ELNS1_3gpuE7ELNS1_3repE0EEENS1_47radix_sort_onesweep_sort_config_static_selectorELNS0_4arch9wavefront6targetE0EEEvSG_
	.globl	_ZN7rocprim17ROCPRIM_400000_NS6detail17trampoline_kernelINS0_14default_configENS1_35radix_sort_onesweep_config_selectorIiNS0_10empty_typeEEEZZNS1_29radix_sort_onesweep_iterationIS3_Lb0EPKiPiPS5_SB_mNS0_19identity_decomposerENS1_16block_id_wrapperIjLb0EEEEE10hipError_tT1_PNSt15iterator_traitsISG_E10value_typeET2_T3_PNSH_ISM_E10value_typeET4_T5_PSR_SS_PNS1_23onesweep_lookback_stateEbbT6_jjT7_P12ihipStream_tbENKUlT_T0_SG_SL_E_clISA_SA_SB_SB_EEDaSZ_S10_SG_SL_EUlSZ_E_NS1_11comp_targetILNS1_3genE3ELNS1_11target_archE908ELNS1_3gpuE7ELNS1_3repE0EEENS1_47radix_sort_onesweep_sort_config_static_selectorELNS0_4arch9wavefront6targetE0EEEvSG_
	.p2align	8
	.type	_ZN7rocprim17ROCPRIM_400000_NS6detail17trampoline_kernelINS0_14default_configENS1_35radix_sort_onesweep_config_selectorIiNS0_10empty_typeEEEZZNS1_29radix_sort_onesweep_iterationIS3_Lb0EPKiPiPS5_SB_mNS0_19identity_decomposerENS1_16block_id_wrapperIjLb0EEEEE10hipError_tT1_PNSt15iterator_traitsISG_E10value_typeET2_T3_PNSH_ISM_E10value_typeET4_T5_PSR_SS_PNS1_23onesweep_lookback_stateEbbT6_jjT7_P12ihipStream_tbENKUlT_T0_SG_SL_E_clISA_SA_SB_SB_EEDaSZ_S10_SG_SL_EUlSZ_E_NS1_11comp_targetILNS1_3genE3ELNS1_11target_archE908ELNS1_3gpuE7ELNS1_3repE0EEENS1_47radix_sort_onesweep_sort_config_static_selectorELNS0_4arch9wavefront6targetE0EEEvSG_,@function
_ZN7rocprim17ROCPRIM_400000_NS6detail17trampoline_kernelINS0_14default_configENS1_35radix_sort_onesweep_config_selectorIiNS0_10empty_typeEEEZZNS1_29radix_sort_onesweep_iterationIS3_Lb0EPKiPiPS5_SB_mNS0_19identity_decomposerENS1_16block_id_wrapperIjLb0EEEEE10hipError_tT1_PNSt15iterator_traitsISG_E10value_typeET2_T3_PNSH_ISM_E10value_typeET4_T5_PSR_SS_PNS1_23onesweep_lookback_stateEbbT6_jjT7_P12ihipStream_tbENKUlT_T0_SG_SL_E_clISA_SA_SB_SB_EEDaSZ_S10_SG_SL_EUlSZ_E_NS1_11comp_targetILNS1_3genE3ELNS1_11target_archE908ELNS1_3gpuE7ELNS1_3repE0EEENS1_47radix_sort_onesweep_sort_config_static_selectorELNS0_4arch9wavefront6targetE0EEEvSG_: ; @_ZN7rocprim17ROCPRIM_400000_NS6detail17trampoline_kernelINS0_14default_configENS1_35radix_sort_onesweep_config_selectorIiNS0_10empty_typeEEEZZNS1_29radix_sort_onesweep_iterationIS3_Lb0EPKiPiPS5_SB_mNS0_19identity_decomposerENS1_16block_id_wrapperIjLb0EEEEE10hipError_tT1_PNSt15iterator_traitsISG_E10value_typeET2_T3_PNSH_ISM_E10value_typeET4_T5_PSR_SS_PNS1_23onesweep_lookback_stateEbbT6_jjT7_P12ihipStream_tbENKUlT_T0_SG_SL_E_clISA_SA_SB_SB_EEDaSZ_S10_SG_SL_EUlSZ_E_NS1_11comp_targetILNS1_3genE3ELNS1_11target_archE908ELNS1_3gpuE7ELNS1_3repE0EEENS1_47radix_sort_onesweep_sort_config_static_selectorELNS0_4arch9wavefront6targetE0EEEvSG_
; %bb.0:
	.section	.rodata,"a",@progbits
	.p2align	6, 0x0
	.amdhsa_kernel _ZN7rocprim17ROCPRIM_400000_NS6detail17trampoline_kernelINS0_14default_configENS1_35radix_sort_onesweep_config_selectorIiNS0_10empty_typeEEEZZNS1_29radix_sort_onesweep_iterationIS3_Lb0EPKiPiPS5_SB_mNS0_19identity_decomposerENS1_16block_id_wrapperIjLb0EEEEE10hipError_tT1_PNSt15iterator_traitsISG_E10value_typeET2_T3_PNSH_ISM_E10value_typeET4_T5_PSR_SS_PNS1_23onesweep_lookback_stateEbbT6_jjT7_P12ihipStream_tbENKUlT_T0_SG_SL_E_clISA_SA_SB_SB_EEDaSZ_S10_SG_SL_EUlSZ_E_NS1_11comp_targetILNS1_3genE3ELNS1_11target_archE908ELNS1_3gpuE7ELNS1_3repE0EEENS1_47radix_sort_onesweep_sort_config_static_selectorELNS0_4arch9wavefront6targetE0EEEvSG_
		.amdhsa_group_segment_fixed_size 0
		.amdhsa_private_segment_fixed_size 0
		.amdhsa_kernarg_size 88
		.amdhsa_user_sgpr_count 2
		.amdhsa_user_sgpr_dispatch_ptr 0
		.amdhsa_user_sgpr_queue_ptr 0
		.amdhsa_user_sgpr_kernarg_segment_ptr 1
		.amdhsa_user_sgpr_dispatch_id 0
		.amdhsa_user_sgpr_kernarg_preload_length 0
		.amdhsa_user_sgpr_kernarg_preload_offset 0
		.amdhsa_user_sgpr_private_segment_size 0
		.amdhsa_wavefront_size32 1
		.amdhsa_uses_dynamic_stack 0
		.amdhsa_enable_private_segment 0
		.amdhsa_system_sgpr_workgroup_id_x 1
		.amdhsa_system_sgpr_workgroup_id_y 0
		.amdhsa_system_sgpr_workgroup_id_z 0
		.amdhsa_system_sgpr_workgroup_info 0
		.amdhsa_system_vgpr_workitem_id 0
		.amdhsa_next_free_vgpr 1
		.amdhsa_next_free_sgpr 1
		.amdhsa_named_barrier_count 0
		.amdhsa_reserve_vcc 0
		.amdhsa_float_round_mode_32 0
		.amdhsa_float_round_mode_16_64 0
		.amdhsa_float_denorm_mode_32 3
		.amdhsa_float_denorm_mode_16_64 3
		.amdhsa_fp16_overflow 0
		.amdhsa_memory_ordered 1
		.amdhsa_forward_progress 1
		.amdhsa_inst_pref_size 0
		.amdhsa_round_robin_scheduling 0
		.amdhsa_exception_fp_ieee_invalid_op 0
		.amdhsa_exception_fp_denorm_src 0
		.amdhsa_exception_fp_ieee_div_zero 0
		.amdhsa_exception_fp_ieee_overflow 0
		.amdhsa_exception_fp_ieee_underflow 0
		.amdhsa_exception_fp_ieee_inexact 0
		.amdhsa_exception_int_div_zero 0
	.end_amdhsa_kernel
	.section	.text._ZN7rocprim17ROCPRIM_400000_NS6detail17trampoline_kernelINS0_14default_configENS1_35radix_sort_onesweep_config_selectorIiNS0_10empty_typeEEEZZNS1_29radix_sort_onesweep_iterationIS3_Lb0EPKiPiPS5_SB_mNS0_19identity_decomposerENS1_16block_id_wrapperIjLb0EEEEE10hipError_tT1_PNSt15iterator_traitsISG_E10value_typeET2_T3_PNSH_ISM_E10value_typeET4_T5_PSR_SS_PNS1_23onesweep_lookback_stateEbbT6_jjT7_P12ihipStream_tbENKUlT_T0_SG_SL_E_clISA_SA_SB_SB_EEDaSZ_S10_SG_SL_EUlSZ_E_NS1_11comp_targetILNS1_3genE3ELNS1_11target_archE908ELNS1_3gpuE7ELNS1_3repE0EEENS1_47radix_sort_onesweep_sort_config_static_selectorELNS0_4arch9wavefront6targetE0EEEvSG_,"axG",@progbits,_ZN7rocprim17ROCPRIM_400000_NS6detail17trampoline_kernelINS0_14default_configENS1_35radix_sort_onesweep_config_selectorIiNS0_10empty_typeEEEZZNS1_29radix_sort_onesweep_iterationIS3_Lb0EPKiPiPS5_SB_mNS0_19identity_decomposerENS1_16block_id_wrapperIjLb0EEEEE10hipError_tT1_PNSt15iterator_traitsISG_E10value_typeET2_T3_PNSH_ISM_E10value_typeET4_T5_PSR_SS_PNS1_23onesweep_lookback_stateEbbT6_jjT7_P12ihipStream_tbENKUlT_T0_SG_SL_E_clISA_SA_SB_SB_EEDaSZ_S10_SG_SL_EUlSZ_E_NS1_11comp_targetILNS1_3genE3ELNS1_11target_archE908ELNS1_3gpuE7ELNS1_3repE0EEENS1_47radix_sort_onesweep_sort_config_static_selectorELNS0_4arch9wavefront6targetE0EEEvSG_,comdat
.Lfunc_end992:
	.size	_ZN7rocprim17ROCPRIM_400000_NS6detail17trampoline_kernelINS0_14default_configENS1_35radix_sort_onesweep_config_selectorIiNS0_10empty_typeEEEZZNS1_29radix_sort_onesweep_iterationIS3_Lb0EPKiPiPS5_SB_mNS0_19identity_decomposerENS1_16block_id_wrapperIjLb0EEEEE10hipError_tT1_PNSt15iterator_traitsISG_E10value_typeET2_T3_PNSH_ISM_E10value_typeET4_T5_PSR_SS_PNS1_23onesweep_lookback_stateEbbT6_jjT7_P12ihipStream_tbENKUlT_T0_SG_SL_E_clISA_SA_SB_SB_EEDaSZ_S10_SG_SL_EUlSZ_E_NS1_11comp_targetILNS1_3genE3ELNS1_11target_archE908ELNS1_3gpuE7ELNS1_3repE0EEENS1_47radix_sort_onesweep_sort_config_static_selectorELNS0_4arch9wavefront6targetE0EEEvSG_, .Lfunc_end992-_ZN7rocprim17ROCPRIM_400000_NS6detail17trampoline_kernelINS0_14default_configENS1_35radix_sort_onesweep_config_selectorIiNS0_10empty_typeEEEZZNS1_29radix_sort_onesweep_iterationIS3_Lb0EPKiPiPS5_SB_mNS0_19identity_decomposerENS1_16block_id_wrapperIjLb0EEEEE10hipError_tT1_PNSt15iterator_traitsISG_E10value_typeET2_T3_PNSH_ISM_E10value_typeET4_T5_PSR_SS_PNS1_23onesweep_lookback_stateEbbT6_jjT7_P12ihipStream_tbENKUlT_T0_SG_SL_E_clISA_SA_SB_SB_EEDaSZ_S10_SG_SL_EUlSZ_E_NS1_11comp_targetILNS1_3genE3ELNS1_11target_archE908ELNS1_3gpuE7ELNS1_3repE0EEENS1_47radix_sort_onesweep_sort_config_static_selectorELNS0_4arch9wavefront6targetE0EEEvSG_
                                        ; -- End function
	.set _ZN7rocprim17ROCPRIM_400000_NS6detail17trampoline_kernelINS0_14default_configENS1_35radix_sort_onesweep_config_selectorIiNS0_10empty_typeEEEZZNS1_29radix_sort_onesweep_iterationIS3_Lb0EPKiPiPS5_SB_mNS0_19identity_decomposerENS1_16block_id_wrapperIjLb0EEEEE10hipError_tT1_PNSt15iterator_traitsISG_E10value_typeET2_T3_PNSH_ISM_E10value_typeET4_T5_PSR_SS_PNS1_23onesweep_lookback_stateEbbT6_jjT7_P12ihipStream_tbENKUlT_T0_SG_SL_E_clISA_SA_SB_SB_EEDaSZ_S10_SG_SL_EUlSZ_E_NS1_11comp_targetILNS1_3genE3ELNS1_11target_archE908ELNS1_3gpuE7ELNS1_3repE0EEENS1_47radix_sort_onesweep_sort_config_static_selectorELNS0_4arch9wavefront6targetE0EEEvSG_.num_vgpr, 0
	.set _ZN7rocprim17ROCPRIM_400000_NS6detail17trampoline_kernelINS0_14default_configENS1_35radix_sort_onesweep_config_selectorIiNS0_10empty_typeEEEZZNS1_29radix_sort_onesweep_iterationIS3_Lb0EPKiPiPS5_SB_mNS0_19identity_decomposerENS1_16block_id_wrapperIjLb0EEEEE10hipError_tT1_PNSt15iterator_traitsISG_E10value_typeET2_T3_PNSH_ISM_E10value_typeET4_T5_PSR_SS_PNS1_23onesweep_lookback_stateEbbT6_jjT7_P12ihipStream_tbENKUlT_T0_SG_SL_E_clISA_SA_SB_SB_EEDaSZ_S10_SG_SL_EUlSZ_E_NS1_11comp_targetILNS1_3genE3ELNS1_11target_archE908ELNS1_3gpuE7ELNS1_3repE0EEENS1_47radix_sort_onesweep_sort_config_static_selectorELNS0_4arch9wavefront6targetE0EEEvSG_.num_agpr, 0
	.set _ZN7rocprim17ROCPRIM_400000_NS6detail17trampoline_kernelINS0_14default_configENS1_35radix_sort_onesweep_config_selectorIiNS0_10empty_typeEEEZZNS1_29radix_sort_onesweep_iterationIS3_Lb0EPKiPiPS5_SB_mNS0_19identity_decomposerENS1_16block_id_wrapperIjLb0EEEEE10hipError_tT1_PNSt15iterator_traitsISG_E10value_typeET2_T3_PNSH_ISM_E10value_typeET4_T5_PSR_SS_PNS1_23onesweep_lookback_stateEbbT6_jjT7_P12ihipStream_tbENKUlT_T0_SG_SL_E_clISA_SA_SB_SB_EEDaSZ_S10_SG_SL_EUlSZ_E_NS1_11comp_targetILNS1_3genE3ELNS1_11target_archE908ELNS1_3gpuE7ELNS1_3repE0EEENS1_47radix_sort_onesweep_sort_config_static_selectorELNS0_4arch9wavefront6targetE0EEEvSG_.numbered_sgpr, 0
	.set _ZN7rocprim17ROCPRIM_400000_NS6detail17trampoline_kernelINS0_14default_configENS1_35radix_sort_onesweep_config_selectorIiNS0_10empty_typeEEEZZNS1_29radix_sort_onesweep_iterationIS3_Lb0EPKiPiPS5_SB_mNS0_19identity_decomposerENS1_16block_id_wrapperIjLb0EEEEE10hipError_tT1_PNSt15iterator_traitsISG_E10value_typeET2_T3_PNSH_ISM_E10value_typeET4_T5_PSR_SS_PNS1_23onesweep_lookback_stateEbbT6_jjT7_P12ihipStream_tbENKUlT_T0_SG_SL_E_clISA_SA_SB_SB_EEDaSZ_S10_SG_SL_EUlSZ_E_NS1_11comp_targetILNS1_3genE3ELNS1_11target_archE908ELNS1_3gpuE7ELNS1_3repE0EEENS1_47radix_sort_onesweep_sort_config_static_selectorELNS0_4arch9wavefront6targetE0EEEvSG_.num_named_barrier, 0
	.set _ZN7rocprim17ROCPRIM_400000_NS6detail17trampoline_kernelINS0_14default_configENS1_35radix_sort_onesweep_config_selectorIiNS0_10empty_typeEEEZZNS1_29radix_sort_onesweep_iterationIS3_Lb0EPKiPiPS5_SB_mNS0_19identity_decomposerENS1_16block_id_wrapperIjLb0EEEEE10hipError_tT1_PNSt15iterator_traitsISG_E10value_typeET2_T3_PNSH_ISM_E10value_typeET4_T5_PSR_SS_PNS1_23onesweep_lookback_stateEbbT6_jjT7_P12ihipStream_tbENKUlT_T0_SG_SL_E_clISA_SA_SB_SB_EEDaSZ_S10_SG_SL_EUlSZ_E_NS1_11comp_targetILNS1_3genE3ELNS1_11target_archE908ELNS1_3gpuE7ELNS1_3repE0EEENS1_47radix_sort_onesweep_sort_config_static_selectorELNS0_4arch9wavefront6targetE0EEEvSG_.private_seg_size, 0
	.set _ZN7rocprim17ROCPRIM_400000_NS6detail17trampoline_kernelINS0_14default_configENS1_35radix_sort_onesweep_config_selectorIiNS0_10empty_typeEEEZZNS1_29radix_sort_onesweep_iterationIS3_Lb0EPKiPiPS5_SB_mNS0_19identity_decomposerENS1_16block_id_wrapperIjLb0EEEEE10hipError_tT1_PNSt15iterator_traitsISG_E10value_typeET2_T3_PNSH_ISM_E10value_typeET4_T5_PSR_SS_PNS1_23onesweep_lookback_stateEbbT6_jjT7_P12ihipStream_tbENKUlT_T0_SG_SL_E_clISA_SA_SB_SB_EEDaSZ_S10_SG_SL_EUlSZ_E_NS1_11comp_targetILNS1_3genE3ELNS1_11target_archE908ELNS1_3gpuE7ELNS1_3repE0EEENS1_47radix_sort_onesweep_sort_config_static_selectorELNS0_4arch9wavefront6targetE0EEEvSG_.uses_vcc, 0
	.set _ZN7rocprim17ROCPRIM_400000_NS6detail17trampoline_kernelINS0_14default_configENS1_35radix_sort_onesweep_config_selectorIiNS0_10empty_typeEEEZZNS1_29radix_sort_onesweep_iterationIS3_Lb0EPKiPiPS5_SB_mNS0_19identity_decomposerENS1_16block_id_wrapperIjLb0EEEEE10hipError_tT1_PNSt15iterator_traitsISG_E10value_typeET2_T3_PNSH_ISM_E10value_typeET4_T5_PSR_SS_PNS1_23onesweep_lookback_stateEbbT6_jjT7_P12ihipStream_tbENKUlT_T0_SG_SL_E_clISA_SA_SB_SB_EEDaSZ_S10_SG_SL_EUlSZ_E_NS1_11comp_targetILNS1_3genE3ELNS1_11target_archE908ELNS1_3gpuE7ELNS1_3repE0EEENS1_47radix_sort_onesweep_sort_config_static_selectorELNS0_4arch9wavefront6targetE0EEEvSG_.uses_flat_scratch, 0
	.set _ZN7rocprim17ROCPRIM_400000_NS6detail17trampoline_kernelINS0_14default_configENS1_35radix_sort_onesweep_config_selectorIiNS0_10empty_typeEEEZZNS1_29radix_sort_onesweep_iterationIS3_Lb0EPKiPiPS5_SB_mNS0_19identity_decomposerENS1_16block_id_wrapperIjLb0EEEEE10hipError_tT1_PNSt15iterator_traitsISG_E10value_typeET2_T3_PNSH_ISM_E10value_typeET4_T5_PSR_SS_PNS1_23onesweep_lookback_stateEbbT6_jjT7_P12ihipStream_tbENKUlT_T0_SG_SL_E_clISA_SA_SB_SB_EEDaSZ_S10_SG_SL_EUlSZ_E_NS1_11comp_targetILNS1_3genE3ELNS1_11target_archE908ELNS1_3gpuE7ELNS1_3repE0EEENS1_47radix_sort_onesweep_sort_config_static_selectorELNS0_4arch9wavefront6targetE0EEEvSG_.has_dyn_sized_stack, 0
	.set _ZN7rocprim17ROCPRIM_400000_NS6detail17trampoline_kernelINS0_14default_configENS1_35radix_sort_onesweep_config_selectorIiNS0_10empty_typeEEEZZNS1_29radix_sort_onesweep_iterationIS3_Lb0EPKiPiPS5_SB_mNS0_19identity_decomposerENS1_16block_id_wrapperIjLb0EEEEE10hipError_tT1_PNSt15iterator_traitsISG_E10value_typeET2_T3_PNSH_ISM_E10value_typeET4_T5_PSR_SS_PNS1_23onesweep_lookback_stateEbbT6_jjT7_P12ihipStream_tbENKUlT_T0_SG_SL_E_clISA_SA_SB_SB_EEDaSZ_S10_SG_SL_EUlSZ_E_NS1_11comp_targetILNS1_3genE3ELNS1_11target_archE908ELNS1_3gpuE7ELNS1_3repE0EEENS1_47radix_sort_onesweep_sort_config_static_selectorELNS0_4arch9wavefront6targetE0EEEvSG_.has_recursion, 0
	.set _ZN7rocprim17ROCPRIM_400000_NS6detail17trampoline_kernelINS0_14default_configENS1_35radix_sort_onesweep_config_selectorIiNS0_10empty_typeEEEZZNS1_29radix_sort_onesweep_iterationIS3_Lb0EPKiPiPS5_SB_mNS0_19identity_decomposerENS1_16block_id_wrapperIjLb0EEEEE10hipError_tT1_PNSt15iterator_traitsISG_E10value_typeET2_T3_PNSH_ISM_E10value_typeET4_T5_PSR_SS_PNS1_23onesweep_lookback_stateEbbT6_jjT7_P12ihipStream_tbENKUlT_T0_SG_SL_E_clISA_SA_SB_SB_EEDaSZ_S10_SG_SL_EUlSZ_E_NS1_11comp_targetILNS1_3genE3ELNS1_11target_archE908ELNS1_3gpuE7ELNS1_3repE0EEENS1_47radix_sort_onesweep_sort_config_static_selectorELNS0_4arch9wavefront6targetE0EEEvSG_.has_indirect_call, 0
	.section	.AMDGPU.csdata,"",@progbits
; Kernel info:
; codeLenInByte = 0
; TotalNumSgprs: 0
; NumVgprs: 0
; ScratchSize: 0
; MemoryBound: 0
; FloatMode: 240
; IeeeMode: 1
; LDSByteSize: 0 bytes/workgroup (compile time only)
; SGPRBlocks: 0
; VGPRBlocks: 0
; NumSGPRsForWavesPerEU: 1
; NumVGPRsForWavesPerEU: 1
; NamedBarCnt: 0
; Occupancy: 16
; WaveLimiterHint : 0
; COMPUTE_PGM_RSRC2:SCRATCH_EN: 0
; COMPUTE_PGM_RSRC2:USER_SGPR: 2
; COMPUTE_PGM_RSRC2:TRAP_HANDLER: 0
; COMPUTE_PGM_RSRC2:TGID_X_EN: 1
; COMPUTE_PGM_RSRC2:TGID_Y_EN: 0
; COMPUTE_PGM_RSRC2:TGID_Z_EN: 0
; COMPUTE_PGM_RSRC2:TIDIG_COMP_CNT: 0
	.section	.text._ZN7rocprim17ROCPRIM_400000_NS6detail17trampoline_kernelINS0_14default_configENS1_35radix_sort_onesweep_config_selectorIiNS0_10empty_typeEEEZZNS1_29radix_sort_onesweep_iterationIS3_Lb0EPKiPiPS5_SB_mNS0_19identity_decomposerENS1_16block_id_wrapperIjLb0EEEEE10hipError_tT1_PNSt15iterator_traitsISG_E10value_typeET2_T3_PNSH_ISM_E10value_typeET4_T5_PSR_SS_PNS1_23onesweep_lookback_stateEbbT6_jjT7_P12ihipStream_tbENKUlT_T0_SG_SL_E_clISA_SA_SB_SB_EEDaSZ_S10_SG_SL_EUlSZ_E_NS1_11comp_targetILNS1_3genE10ELNS1_11target_archE1201ELNS1_3gpuE5ELNS1_3repE0EEENS1_47radix_sort_onesweep_sort_config_static_selectorELNS0_4arch9wavefront6targetE0EEEvSG_,"axG",@progbits,_ZN7rocprim17ROCPRIM_400000_NS6detail17trampoline_kernelINS0_14default_configENS1_35radix_sort_onesweep_config_selectorIiNS0_10empty_typeEEEZZNS1_29radix_sort_onesweep_iterationIS3_Lb0EPKiPiPS5_SB_mNS0_19identity_decomposerENS1_16block_id_wrapperIjLb0EEEEE10hipError_tT1_PNSt15iterator_traitsISG_E10value_typeET2_T3_PNSH_ISM_E10value_typeET4_T5_PSR_SS_PNS1_23onesweep_lookback_stateEbbT6_jjT7_P12ihipStream_tbENKUlT_T0_SG_SL_E_clISA_SA_SB_SB_EEDaSZ_S10_SG_SL_EUlSZ_E_NS1_11comp_targetILNS1_3genE10ELNS1_11target_archE1201ELNS1_3gpuE5ELNS1_3repE0EEENS1_47radix_sort_onesweep_sort_config_static_selectorELNS0_4arch9wavefront6targetE0EEEvSG_,comdat
	.protected	_ZN7rocprim17ROCPRIM_400000_NS6detail17trampoline_kernelINS0_14default_configENS1_35radix_sort_onesweep_config_selectorIiNS0_10empty_typeEEEZZNS1_29radix_sort_onesweep_iterationIS3_Lb0EPKiPiPS5_SB_mNS0_19identity_decomposerENS1_16block_id_wrapperIjLb0EEEEE10hipError_tT1_PNSt15iterator_traitsISG_E10value_typeET2_T3_PNSH_ISM_E10value_typeET4_T5_PSR_SS_PNS1_23onesweep_lookback_stateEbbT6_jjT7_P12ihipStream_tbENKUlT_T0_SG_SL_E_clISA_SA_SB_SB_EEDaSZ_S10_SG_SL_EUlSZ_E_NS1_11comp_targetILNS1_3genE10ELNS1_11target_archE1201ELNS1_3gpuE5ELNS1_3repE0EEENS1_47radix_sort_onesweep_sort_config_static_selectorELNS0_4arch9wavefront6targetE0EEEvSG_ ; -- Begin function _ZN7rocprim17ROCPRIM_400000_NS6detail17trampoline_kernelINS0_14default_configENS1_35radix_sort_onesweep_config_selectorIiNS0_10empty_typeEEEZZNS1_29radix_sort_onesweep_iterationIS3_Lb0EPKiPiPS5_SB_mNS0_19identity_decomposerENS1_16block_id_wrapperIjLb0EEEEE10hipError_tT1_PNSt15iterator_traitsISG_E10value_typeET2_T3_PNSH_ISM_E10value_typeET4_T5_PSR_SS_PNS1_23onesweep_lookback_stateEbbT6_jjT7_P12ihipStream_tbENKUlT_T0_SG_SL_E_clISA_SA_SB_SB_EEDaSZ_S10_SG_SL_EUlSZ_E_NS1_11comp_targetILNS1_3genE10ELNS1_11target_archE1201ELNS1_3gpuE5ELNS1_3repE0EEENS1_47radix_sort_onesweep_sort_config_static_selectorELNS0_4arch9wavefront6targetE0EEEvSG_
	.globl	_ZN7rocprim17ROCPRIM_400000_NS6detail17trampoline_kernelINS0_14default_configENS1_35radix_sort_onesweep_config_selectorIiNS0_10empty_typeEEEZZNS1_29radix_sort_onesweep_iterationIS3_Lb0EPKiPiPS5_SB_mNS0_19identity_decomposerENS1_16block_id_wrapperIjLb0EEEEE10hipError_tT1_PNSt15iterator_traitsISG_E10value_typeET2_T3_PNSH_ISM_E10value_typeET4_T5_PSR_SS_PNS1_23onesweep_lookback_stateEbbT6_jjT7_P12ihipStream_tbENKUlT_T0_SG_SL_E_clISA_SA_SB_SB_EEDaSZ_S10_SG_SL_EUlSZ_E_NS1_11comp_targetILNS1_3genE10ELNS1_11target_archE1201ELNS1_3gpuE5ELNS1_3repE0EEENS1_47radix_sort_onesweep_sort_config_static_selectorELNS0_4arch9wavefront6targetE0EEEvSG_
	.p2align	8
	.type	_ZN7rocprim17ROCPRIM_400000_NS6detail17trampoline_kernelINS0_14default_configENS1_35radix_sort_onesweep_config_selectorIiNS0_10empty_typeEEEZZNS1_29radix_sort_onesweep_iterationIS3_Lb0EPKiPiPS5_SB_mNS0_19identity_decomposerENS1_16block_id_wrapperIjLb0EEEEE10hipError_tT1_PNSt15iterator_traitsISG_E10value_typeET2_T3_PNSH_ISM_E10value_typeET4_T5_PSR_SS_PNS1_23onesweep_lookback_stateEbbT6_jjT7_P12ihipStream_tbENKUlT_T0_SG_SL_E_clISA_SA_SB_SB_EEDaSZ_S10_SG_SL_EUlSZ_E_NS1_11comp_targetILNS1_3genE10ELNS1_11target_archE1201ELNS1_3gpuE5ELNS1_3repE0EEENS1_47radix_sort_onesweep_sort_config_static_selectorELNS0_4arch9wavefront6targetE0EEEvSG_,@function
_ZN7rocprim17ROCPRIM_400000_NS6detail17trampoline_kernelINS0_14default_configENS1_35radix_sort_onesweep_config_selectorIiNS0_10empty_typeEEEZZNS1_29radix_sort_onesweep_iterationIS3_Lb0EPKiPiPS5_SB_mNS0_19identity_decomposerENS1_16block_id_wrapperIjLb0EEEEE10hipError_tT1_PNSt15iterator_traitsISG_E10value_typeET2_T3_PNSH_ISM_E10value_typeET4_T5_PSR_SS_PNS1_23onesweep_lookback_stateEbbT6_jjT7_P12ihipStream_tbENKUlT_T0_SG_SL_E_clISA_SA_SB_SB_EEDaSZ_S10_SG_SL_EUlSZ_E_NS1_11comp_targetILNS1_3genE10ELNS1_11target_archE1201ELNS1_3gpuE5ELNS1_3repE0EEENS1_47radix_sort_onesweep_sort_config_static_selectorELNS0_4arch9wavefront6targetE0EEEvSG_: ; @_ZN7rocprim17ROCPRIM_400000_NS6detail17trampoline_kernelINS0_14default_configENS1_35radix_sort_onesweep_config_selectorIiNS0_10empty_typeEEEZZNS1_29radix_sort_onesweep_iterationIS3_Lb0EPKiPiPS5_SB_mNS0_19identity_decomposerENS1_16block_id_wrapperIjLb0EEEEE10hipError_tT1_PNSt15iterator_traitsISG_E10value_typeET2_T3_PNSH_ISM_E10value_typeET4_T5_PSR_SS_PNS1_23onesweep_lookback_stateEbbT6_jjT7_P12ihipStream_tbENKUlT_T0_SG_SL_E_clISA_SA_SB_SB_EEDaSZ_S10_SG_SL_EUlSZ_E_NS1_11comp_targetILNS1_3genE10ELNS1_11target_archE1201ELNS1_3gpuE5ELNS1_3repE0EEENS1_47radix_sort_onesweep_sort_config_static_selectorELNS0_4arch9wavefront6targetE0EEEvSG_
; %bb.0:
	.section	.rodata,"a",@progbits
	.p2align	6, 0x0
	.amdhsa_kernel _ZN7rocprim17ROCPRIM_400000_NS6detail17trampoline_kernelINS0_14default_configENS1_35radix_sort_onesweep_config_selectorIiNS0_10empty_typeEEEZZNS1_29radix_sort_onesweep_iterationIS3_Lb0EPKiPiPS5_SB_mNS0_19identity_decomposerENS1_16block_id_wrapperIjLb0EEEEE10hipError_tT1_PNSt15iterator_traitsISG_E10value_typeET2_T3_PNSH_ISM_E10value_typeET4_T5_PSR_SS_PNS1_23onesweep_lookback_stateEbbT6_jjT7_P12ihipStream_tbENKUlT_T0_SG_SL_E_clISA_SA_SB_SB_EEDaSZ_S10_SG_SL_EUlSZ_E_NS1_11comp_targetILNS1_3genE10ELNS1_11target_archE1201ELNS1_3gpuE5ELNS1_3repE0EEENS1_47radix_sort_onesweep_sort_config_static_selectorELNS0_4arch9wavefront6targetE0EEEvSG_
		.amdhsa_group_segment_fixed_size 0
		.amdhsa_private_segment_fixed_size 0
		.amdhsa_kernarg_size 88
		.amdhsa_user_sgpr_count 2
		.amdhsa_user_sgpr_dispatch_ptr 0
		.amdhsa_user_sgpr_queue_ptr 0
		.amdhsa_user_sgpr_kernarg_segment_ptr 1
		.amdhsa_user_sgpr_dispatch_id 0
		.amdhsa_user_sgpr_kernarg_preload_length 0
		.amdhsa_user_sgpr_kernarg_preload_offset 0
		.amdhsa_user_sgpr_private_segment_size 0
		.amdhsa_wavefront_size32 1
		.amdhsa_uses_dynamic_stack 0
		.amdhsa_enable_private_segment 0
		.amdhsa_system_sgpr_workgroup_id_x 1
		.amdhsa_system_sgpr_workgroup_id_y 0
		.amdhsa_system_sgpr_workgroup_id_z 0
		.amdhsa_system_sgpr_workgroup_info 0
		.amdhsa_system_vgpr_workitem_id 0
		.amdhsa_next_free_vgpr 1
		.amdhsa_next_free_sgpr 1
		.amdhsa_named_barrier_count 0
		.amdhsa_reserve_vcc 0
		.amdhsa_float_round_mode_32 0
		.amdhsa_float_round_mode_16_64 0
		.amdhsa_float_denorm_mode_32 3
		.amdhsa_float_denorm_mode_16_64 3
		.amdhsa_fp16_overflow 0
		.amdhsa_memory_ordered 1
		.amdhsa_forward_progress 1
		.amdhsa_inst_pref_size 0
		.amdhsa_round_robin_scheduling 0
		.amdhsa_exception_fp_ieee_invalid_op 0
		.amdhsa_exception_fp_denorm_src 0
		.amdhsa_exception_fp_ieee_div_zero 0
		.amdhsa_exception_fp_ieee_overflow 0
		.amdhsa_exception_fp_ieee_underflow 0
		.amdhsa_exception_fp_ieee_inexact 0
		.amdhsa_exception_int_div_zero 0
	.end_amdhsa_kernel
	.section	.text._ZN7rocprim17ROCPRIM_400000_NS6detail17trampoline_kernelINS0_14default_configENS1_35radix_sort_onesweep_config_selectorIiNS0_10empty_typeEEEZZNS1_29radix_sort_onesweep_iterationIS3_Lb0EPKiPiPS5_SB_mNS0_19identity_decomposerENS1_16block_id_wrapperIjLb0EEEEE10hipError_tT1_PNSt15iterator_traitsISG_E10value_typeET2_T3_PNSH_ISM_E10value_typeET4_T5_PSR_SS_PNS1_23onesweep_lookback_stateEbbT6_jjT7_P12ihipStream_tbENKUlT_T0_SG_SL_E_clISA_SA_SB_SB_EEDaSZ_S10_SG_SL_EUlSZ_E_NS1_11comp_targetILNS1_3genE10ELNS1_11target_archE1201ELNS1_3gpuE5ELNS1_3repE0EEENS1_47radix_sort_onesweep_sort_config_static_selectorELNS0_4arch9wavefront6targetE0EEEvSG_,"axG",@progbits,_ZN7rocprim17ROCPRIM_400000_NS6detail17trampoline_kernelINS0_14default_configENS1_35radix_sort_onesweep_config_selectorIiNS0_10empty_typeEEEZZNS1_29radix_sort_onesweep_iterationIS3_Lb0EPKiPiPS5_SB_mNS0_19identity_decomposerENS1_16block_id_wrapperIjLb0EEEEE10hipError_tT1_PNSt15iterator_traitsISG_E10value_typeET2_T3_PNSH_ISM_E10value_typeET4_T5_PSR_SS_PNS1_23onesweep_lookback_stateEbbT6_jjT7_P12ihipStream_tbENKUlT_T0_SG_SL_E_clISA_SA_SB_SB_EEDaSZ_S10_SG_SL_EUlSZ_E_NS1_11comp_targetILNS1_3genE10ELNS1_11target_archE1201ELNS1_3gpuE5ELNS1_3repE0EEENS1_47radix_sort_onesweep_sort_config_static_selectorELNS0_4arch9wavefront6targetE0EEEvSG_,comdat
.Lfunc_end993:
	.size	_ZN7rocprim17ROCPRIM_400000_NS6detail17trampoline_kernelINS0_14default_configENS1_35radix_sort_onesweep_config_selectorIiNS0_10empty_typeEEEZZNS1_29radix_sort_onesweep_iterationIS3_Lb0EPKiPiPS5_SB_mNS0_19identity_decomposerENS1_16block_id_wrapperIjLb0EEEEE10hipError_tT1_PNSt15iterator_traitsISG_E10value_typeET2_T3_PNSH_ISM_E10value_typeET4_T5_PSR_SS_PNS1_23onesweep_lookback_stateEbbT6_jjT7_P12ihipStream_tbENKUlT_T0_SG_SL_E_clISA_SA_SB_SB_EEDaSZ_S10_SG_SL_EUlSZ_E_NS1_11comp_targetILNS1_3genE10ELNS1_11target_archE1201ELNS1_3gpuE5ELNS1_3repE0EEENS1_47radix_sort_onesweep_sort_config_static_selectorELNS0_4arch9wavefront6targetE0EEEvSG_, .Lfunc_end993-_ZN7rocprim17ROCPRIM_400000_NS6detail17trampoline_kernelINS0_14default_configENS1_35radix_sort_onesweep_config_selectorIiNS0_10empty_typeEEEZZNS1_29radix_sort_onesweep_iterationIS3_Lb0EPKiPiPS5_SB_mNS0_19identity_decomposerENS1_16block_id_wrapperIjLb0EEEEE10hipError_tT1_PNSt15iterator_traitsISG_E10value_typeET2_T3_PNSH_ISM_E10value_typeET4_T5_PSR_SS_PNS1_23onesweep_lookback_stateEbbT6_jjT7_P12ihipStream_tbENKUlT_T0_SG_SL_E_clISA_SA_SB_SB_EEDaSZ_S10_SG_SL_EUlSZ_E_NS1_11comp_targetILNS1_3genE10ELNS1_11target_archE1201ELNS1_3gpuE5ELNS1_3repE0EEENS1_47radix_sort_onesweep_sort_config_static_selectorELNS0_4arch9wavefront6targetE0EEEvSG_
                                        ; -- End function
	.set _ZN7rocprim17ROCPRIM_400000_NS6detail17trampoline_kernelINS0_14default_configENS1_35radix_sort_onesweep_config_selectorIiNS0_10empty_typeEEEZZNS1_29radix_sort_onesweep_iterationIS3_Lb0EPKiPiPS5_SB_mNS0_19identity_decomposerENS1_16block_id_wrapperIjLb0EEEEE10hipError_tT1_PNSt15iterator_traitsISG_E10value_typeET2_T3_PNSH_ISM_E10value_typeET4_T5_PSR_SS_PNS1_23onesweep_lookback_stateEbbT6_jjT7_P12ihipStream_tbENKUlT_T0_SG_SL_E_clISA_SA_SB_SB_EEDaSZ_S10_SG_SL_EUlSZ_E_NS1_11comp_targetILNS1_3genE10ELNS1_11target_archE1201ELNS1_3gpuE5ELNS1_3repE0EEENS1_47radix_sort_onesweep_sort_config_static_selectorELNS0_4arch9wavefront6targetE0EEEvSG_.num_vgpr, 0
	.set _ZN7rocprim17ROCPRIM_400000_NS6detail17trampoline_kernelINS0_14default_configENS1_35radix_sort_onesweep_config_selectorIiNS0_10empty_typeEEEZZNS1_29radix_sort_onesweep_iterationIS3_Lb0EPKiPiPS5_SB_mNS0_19identity_decomposerENS1_16block_id_wrapperIjLb0EEEEE10hipError_tT1_PNSt15iterator_traitsISG_E10value_typeET2_T3_PNSH_ISM_E10value_typeET4_T5_PSR_SS_PNS1_23onesweep_lookback_stateEbbT6_jjT7_P12ihipStream_tbENKUlT_T0_SG_SL_E_clISA_SA_SB_SB_EEDaSZ_S10_SG_SL_EUlSZ_E_NS1_11comp_targetILNS1_3genE10ELNS1_11target_archE1201ELNS1_3gpuE5ELNS1_3repE0EEENS1_47radix_sort_onesweep_sort_config_static_selectorELNS0_4arch9wavefront6targetE0EEEvSG_.num_agpr, 0
	.set _ZN7rocprim17ROCPRIM_400000_NS6detail17trampoline_kernelINS0_14default_configENS1_35radix_sort_onesweep_config_selectorIiNS0_10empty_typeEEEZZNS1_29radix_sort_onesweep_iterationIS3_Lb0EPKiPiPS5_SB_mNS0_19identity_decomposerENS1_16block_id_wrapperIjLb0EEEEE10hipError_tT1_PNSt15iterator_traitsISG_E10value_typeET2_T3_PNSH_ISM_E10value_typeET4_T5_PSR_SS_PNS1_23onesweep_lookback_stateEbbT6_jjT7_P12ihipStream_tbENKUlT_T0_SG_SL_E_clISA_SA_SB_SB_EEDaSZ_S10_SG_SL_EUlSZ_E_NS1_11comp_targetILNS1_3genE10ELNS1_11target_archE1201ELNS1_3gpuE5ELNS1_3repE0EEENS1_47radix_sort_onesweep_sort_config_static_selectorELNS0_4arch9wavefront6targetE0EEEvSG_.numbered_sgpr, 0
	.set _ZN7rocprim17ROCPRIM_400000_NS6detail17trampoline_kernelINS0_14default_configENS1_35radix_sort_onesweep_config_selectorIiNS0_10empty_typeEEEZZNS1_29radix_sort_onesweep_iterationIS3_Lb0EPKiPiPS5_SB_mNS0_19identity_decomposerENS1_16block_id_wrapperIjLb0EEEEE10hipError_tT1_PNSt15iterator_traitsISG_E10value_typeET2_T3_PNSH_ISM_E10value_typeET4_T5_PSR_SS_PNS1_23onesweep_lookback_stateEbbT6_jjT7_P12ihipStream_tbENKUlT_T0_SG_SL_E_clISA_SA_SB_SB_EEDaSZ_S10_SG_SL_EUlSZ_E_NS1_11comp_targetILNS1_3genE10ELNS1_11target_archE1201ELNS1_3gpuE5ELNS1_3repE0EEENS1_47radix_sort_onesweep_sort_config_static_selectorELNS0_4arch9wavefront6targetE0EEEvSG_.num_named_barrier, 0
	.set _ZN7rocprim17ROCPRIM_400000_NS6detail17trampoline_kernelINS0_14default_configENS1_35radix_sort_onesweep_config_selectorIiNS0_10empty_typeEEEZZNS1_29radix_sort_onesweep_iterationIS3_Lb0EPKiPiPS5_SB_mNS0_19identity_decomposerENS1_16block_id_wrapperIjLb0EEEEE10hipError_tT1_PNSt15iterator_traitsISG_E10value_typeET2_T3_PNSH_ISM_E10value_typeET4_T5_PSR_SS_PNS1_23onesweep_lookback_stateEbbT6_jjT7_P12ihipStream_tbENKUlT_T0_SG_SL_E_clISA_SA_SB_SB_EEDaSZ_S10_SG_SL_EUlSZ_E_NS1_11comp_targetILNS1_3genE10ELNS1_11target_archE1201ELNS1_3gpuE5ELNS1_3repE0EEENS1_47radix_sort_onesweep_sort_config_static_selectorELNS0_4arch9wavefront6targetE0EEEvSG_.private_seg_size, 0
	.set _ZN7rocprim17ROCPRIM_400000_NS6detail17trampoline_kernelINS0_14default_configENS1_35radix_sort_onesweep_config_selectorIiNS0_10empty_typeEEEZZNS1_29radix_sort_onesweep_iterationIS3_Lb0EPKiPiPS5_SB_mNS0_19identity_decomposerENS1_16block_id_wrapperIjLb0EEEEE10hipError_tT1_PNSt15iterator_traitsISG_E10value_typeET2_T3_PNSH_ISM_E10value_typeET4_T5_PSR_SS_PNS1_23onesweep_lookback_stateEbbT6_jjT7_P12ihipStream_tbENKUlT_T0_SG_SL_E_clISA_SA_SB_SB_EEDaSZ_S10_SG_SL_EUlSZ_E_NS1_11comp_targetILNS1_3genE10ELNS1_11target_archE1201ELNS1_3gpuE5ELNS1_3repE0EEENS1_47radix_sort_onesweep_sort_config_static_selectorELNS0_4arch9wavefront6targetE0EEEvSG_.uses_vcc, 0
	.set _ZN7rocprim17ROCPRIM_400000_NS6detail17trampoline_kernelINS0_14default_configENS1_35radix_sort_onesweep_config_selectorIiNS0_10empty_typeEEEZZNS1_29radix_sort_onesweep_iterationIS3_Lb0EPKiPiPS5_SB_mNS0_19identity_decomposerENS1_16block_id_wrapperIjLb0EEEEE10hipError_tT1_PNSt15iterator_traitsISG_E10value_typeET2_T3_PNSH_ISM_E10value_typeET4_T5_PSR_SS_PNS1_23onesweep_lookback_stateEbbT6_jjT7_P12ihipStream_tbENKUlT_T0_SG_SL_E_clISA_SA_SB_SB_EEDaSZ_S10_SG_SL_EUlSZ_E_NS1_11comp_targetILNS1_3genE10ELNS1_11target_archE1201ELNS1_3gpuE5ELNS1_3repE0EEENS1_47radix_sort_onesweep_sort_config_static_selectorELNS0_4arch9wavefront6targetE0EEEvSG_.uses_flat_scratch, 0
	.set _ZN7rocprim17ROCPRIM_400000_NS6detail17trampoline_kernelINS0_14default_configENS1_35radix_sort_onesweep_config_selectorIiNS0_10empty_typeEEEZZNS1_29radix_sort_onesweep_iterationIS3_Lb0EPKiPiPS5_SB_mNS0_19identity_decomposerENS1_16block_id_wrapperIjLb0EEEEE10hipError_tT1_PNSt15iterator_traitsISG_E10value_typeET2_T3_PNSH_ISM_E10value_typeET4_T5_PSR_SS_PNS1_23onesweep_lookback_stateEbbT6_jjT7_P12ihipStream_tbENKUlT_T0_SG_SL_E_clISA_SA_SB_SB_EEDaSZ_S10_SG_SL_EUlSZ_E_NS1_11comp_targetILNS1_3genE10ELNS1_11target_archE1201ELNS1_3gpuE5ELNS1_3repE0EEENS1_47radix_sort_onesweep_sort_config_static_selectorELNS0_4arch9wavefront6targetE0EEEvSG_.has_dyn_sized_stack, 0
	.set _ZN7rocprim17ROCPRIM_400000_NS6detail17trampoline_kernelINS0_14default_configENS1_35radix_sort_onesweep_config_selectorIiNS0_10empty_typeEEEZZNS1_29radix_sort_onesweep_iterationIS3_Lb0EPKiPiPS5_SB_mNS0_19identity_decomposerENS1_16block_id_wrapperIjLb0EEEEE10hipError_tT1_PNSt15iterator_traitsISG_E10value_typeET2_T3_PNSH_ISM_E10value_typeET4_T5_PSR_SS_PNS1_23onesweep_lookback_stateEbbT6_jjT7_P12ihipStream_tbENKUlT_T0_SG_SL_E_clISA_SA_SB_SB_EEDaSZ_S10_SG_SL_EUlSZ_E_NS1_11comp_targetILNS1_3genE10ELNS1_11target_archE1201ELNS1_3gpuE5ELNS1_3repE0EEENS1_47radix_sort_onesweep_sort_config_static_selectorELNS0_4arch9wavefront6targetE0EEEvSG_.has_recursion, 0
	.set _ZN7rocprim17ROCPRIM_400000_NS6detail17trampoline_kernelINS0_14default_configENS1_35radix_sort_onesweep_config_selectorIiNS0_10empty_typeEEEZZNS1_29radix_sort_onesweep_iterationIS3_Lb0EPKiPiPS5_SB_mNS0_19identity_decomposerENS1_16block_id_wrapperIjLb0EEEEE10hipError_tT1_PNSt15iterator_traitsISG_E10value_typeET2_T3_PNSH_ISM_E10value_typeET4_T5_PSR_SS_PNS1_23onesweep_lookback_stateEbbT6_jjT7_P12ihipStream_tbENKUlT_T0_SG_SL_E_clISA_SA_SB_SB_EEDaSZ_S10_SG_SL_EUlSZ_E_NS1_11comp_targetILNS1_3genE10ELNS1_11target_archE1201ELNS1_3gpuE5ELNS1_3repE0EEENS1_47radix_sort_onesweep_sort_config_static_selectorELNS0_4arch9wavefront6targetE0EEEvSG_.has_indirect_call, 0
	.section	.AMDGPU.csdata,"",@progbits
; Kernel info:
; codeLenInByte = 0
; TotalNumSgprs: 0
; NumVgprs: 0
; ScratchSize: 0
; MemoryBound: 0
; FloatMode: 240
; IeeeMode: 1
; LDSByteSize: 0 bytes/workgroup (compile time only)
; SGPRBlocks: 0
; VGPRBlocks: 0
; NumSGPRsForWavesPerEU: 1
; NumVGPRsForWavesPerEU: 1
; NamedBarCnt: 0
; Occupancy: 16
; WaveLimiterHint : 0
; COMPUTE_PGM_RSRC2:SCRATCH_EN: 0
; COMPUTE_PGM_RSRC2:USER_SGPR: 2
; COMPUTE_PGM_RSRC2:TRAP_HANDLER: 0
; COMPUTE_PGM_RSRC2:TGID_X_EN: 1
; COMPUTE_PGM_RSRC2:TGID_Y_EN: 0
; COMPUTE_PGM_RSRC2:TGID_Z_EN: 0
; COMPUTE_PGM_RSRC2:TIDIG_COMP_CNT: 0
	.section	.text._ZN7rocprim17ROCPRIM_400000_NS6detail17trampoline_kernelINS0_14default_configENS1_35radix_sort_onesweep_config_selectorIiNS0_10empty_typeEEEZZNS1_29radix_sort_onesweep_iterationIS3_Lb0EPKiPiPS5_SB_mNS0_19identity_decomposerENS1_16block_id_wrapperIjLb0EEEEE10hipError_tT1_PNSt15iterator_traitsISG_E10value_typeET2_T3_PNSH_ISM_E10value_typeET4_T5_PSR_SS_PNS1_23onesweep_lookback_stateEbbT6_jjT7_P12ihipStream_tbENKUlT_T0_SG_SL_E_clISA_SA_SB_SB_EEDaSZ_S10_SG_SL_EUlSZ_E_NS1_11comp_targetILNS1_3genE9ELNS1_11target_archE1100ELNS1_3gpuE3ELNS1_3repE0EEENS1_47radix_sort_onesweep_sort_config_static_selectorELNS0_4arch9wavefront6targetE0EEEvSG_,"axG",@progbits,_ZN7rocprim17ROCPRIM_400000_NS6detail17trampoline_kernelINS0_14default_configENS1_35radix_sort_onesweep_config_selectorIiNS0_10empty_typeEEEZZNS1_29radix_sort_onesweep_iterationIS3_Lb0EPKiPiPS5_SB_mNS0_19identity_decomposerENS1_16block_id_wrapperIjLb0EEEEE10hipError_tT1_PNSt15iterator_traitsISG_E10value_typeET2_T3_PNSH_ISM_E10value_typeET4_T5_PSR_SS_PNS1_23onesweep_lookback_stateEbbT6_jjT7_P12ihipStream_tbENKUlT_T0_SG_SL_E_clISA_SA_SB_SB_EEDaSZ_S10_SG_SL_EUlSZ_E_NS1_11comp_targetILNS1_3genE9ELNS1_11target_archE1100ELNS1_3gpuE3ELNS1_3repE0EEENS1_47radix_sort_onesweep_sort_config_static_selectorELNS0_4arch9wavefront6targetE0EEEvSG_,comdat
	.protected	_ZN7rocprim17ROCPRIM_400000_NS6detail17trampoline_kernelINS0_14default_configENS1_35radix_sort_onesweep_config_selectorIiNS0_10empty_typeEEEZZNS1_29radix_sort_onesweep_iterationIS3_Lb0EPKiPiPS5_SB_mNS0_19identity_decomposerENS1_16block_id_wrapperIjLb0EEEEE10hipError_tT1_PNSt15iterator_traitsISG_E10value_typeET2_T3_PNSH_ISM_E10value_typeET4_T5_PSR_SS_PNS1_23onesweep_lookback_stateEbbT6_jjT7_P12ihipStream_tbENKUlT_T0_SG_SL_E_clISA_SA_SB_SB_EEDaSZ_S10_SG_SL_EUlSZ_E_NS1_11comp_targetILNS1_3genE9ELNS1_11target_archE1100ELNS1_3gpuE3ELNS1_3repE0EEENS1_47radix_sort_onesweep_sort_config_static_selectorELNS0_4arch9wavefront6targetE0EEEvSG_ ; -- Begin function _ZN7rocprim17ROCPRIM_400000_NS6detail17trampoline_kernelINS0_14default_configENS1_35radix_sort_onesweep_config_selectorIiNS0_10empty_typeEEEZZNS1_29radix_sort_onesweep_iterationIS3_Lb0EPKiPiPS5_SB_mNS0_19identity_decomposerENS1_16block_id_wrapperIjLb0EEEEE10hipError_tT1_PNSt15iterator_traitsISG_E10value_typeET2_T3_PNSH_ISM_E10value_typeET4_T5_PSR_SS_PNS1_23onesweep_lookback_stateEbbT6_jjT7_P12ihipStream_tbENKUlT_T0_SG_SL_E_clISA_SA_SB_SB_EEDaSZ_S10_SG_SL_EUlSZ_E_NS1_11comp_targetILNS1_3genE9ELNS1_11target_archE1100ELNS1_3gpuE3ELNS1_3repE0EEENS1_47radix_sort_onesweep_sort_config_static_selectorELNS0_4arch9wavefront6targetE0EEEvSG_
	.globl	_ZN7rocprim17ROCPRIM_400000_NS6detail17trampoline_kernelINS0_14default_configENS1_35radix_sort_onesweep_config_selectorIiNS0_10empty_typeEEEZZNS1_29radix_sort_onesweep_iterationIS3_Lb0EPKiPiPS5_SB_mNS0_19identity_decomposerENS1_16block_id_wrapperIjLb0EEEEE10hipError_tT1_PNSt15iterator_traitsISG_E10value_typeET2_T3_PNSH_ISM_E10value_typeET4_T5_PSR_SS_PNS1_23onesweep_lookback_stateEbbT6_jjT7_P12ihipStream_tbENKUlT_T0_SG_SL_E_clISA_SA_SB_SB_EEDaSZ_S10_SG_SL_EUlSZ_E_NS1_11comp_targetILNS1_3genE9ELNS1_11target_archE1100ELNS1_3gpuE3ELNS1_3repE0EEENS1_47radix_sort_onesweep_sort_config_static_selectorELNS0_4arch9wavefront6targetE0EEEvSG_
	.p2align	8
	.type	_ZN7rocprim17ROCPRIM_400000_NS6detail17trampoline_kernelINS0_14default_configENS1_35radix_sort_onesweep_config_selectorIiNS0_10empty_typeEEEZZNS1_29radix_sort_onesweep_iterationIS3_Lb0EPKiPiPS5_SB_mNS0_19identity_decomposerENS1_16block_id_wrapperIjLb0EEEEE10hipError_tT1_PNSt15iterator_traitsISG_E10value_typeET2_T3_PNSH_ISM_E10value_typeET4_T5_PSR_SS_PNS1_23onesweep_lookback_stateEbbT6_jjT7_P12ihipStream_tbENKUlT_T0_SG_SL_E_clISA_SA_SB_SB_EEDaSZ_S10_SG_SL_EUlSZ_E_NS1_11comp_targetILNS1_3genE9ELNS1_11target_archE1100ELNS1_3gpuE3ELNS1_3repE0EEENS1_47radix_sort_onesweep_sort_config_static_selectorELNS0_4arch9wavefront6targetE0EEEvSG_,@function
_ZN7rocprim17ROCPRIM_400000_NS6detail17trampoline_kernelINS0_14default_configENS1_35radix_sort_onesweep_config_selectorIiNS0_10empty_typeEEEZZNS1_29radix_sort_onesweep_iterationIS3_Lb0EPKiPiPS5_SB_mNS0_19identity_decomposerENS1_16block_id_wrapperIjLb0EEEEE10hipError_tT1_PNSt15iterator_traitsISG_E10value_typeET2_T3_PNSH_ISM_E10value_typeET4_T5_PSR_SS_PNS1_23onesweep_lookback_stateEbbT6_jjT7_P12ihipStream_tbENKUlT_T0_SG_SL_E_clISA_SA_SB_SB_EEDaSZ_S10_SG_SL_EUlSZ_E_NS1_11comp_targetILNS1_3genE9ELNS1_11target_archE1100ELNS1_3gpuE3ELNS1_3repE0EEENS1_47radix_sort_onesweep_sort_config_static_selectorELNS0_4arch9wavefront6targetE0EEEvSG_: ; @_ZN7rocprim17ROCPRIM_400000_NS6detail17trampoline_kernelINS0_14default_configENS1_35radix_sort_onesweep_config_selectorIiNS0_10empty_typeEEEZZNS1_29radix_sort_onesweep_iterationIS3_Lb0EPKiPiPS5_SB_mNS0_19identity_decomposerENS1_16block_id_wrapperIjLb0EEEEE10hipError_tT1_PNSt15iterator_traitsISG_E10value_typeET2_T3_PNSH_ISM_E10value_typeET4_T5_PSR_SS_PNS1_23onesweep_lookback_stateEbbT6_jjT7_P12ihipStream_tbENKUlT_T0_SG_SL_E_clISA_SA_SB_SB_EEDaSZ_S10_SG_SL_EUlSZ_E_NS1_11comp_targetILNS1_3genE9ELNS1_11target_archE1100ELNS1_3gpuE3ELNS1_3repE0EEENS1_47radix_sort_onesweep_sort_config_static_selectorELNS0_4arch9wavefront6targetE0EEEvSG_
; %bb.0:
	.section	.rodata,"a",@progbits
	.p2align	6, 0x0
	.amdhsa_kernel _ZN7rocprim17ROCPRIM_400000_NS6detail17trampoline_kernelINS0_14default_configENS1_35radix_sort_onesweep_config_selectorIiNS0_10empty_typeEEEZZNS1_29radix_sort_onesweep_iterationIS3_Lb0EPKiPiPS5_SB_mNS0_19identity_decomposerENS1_16block_id_wrapperIjLb0EEEEE10hipError_tT1_PNSt15iterator_traitsISG_E10value_typeET2_T3_PNSH_ISM_E10value_typeET4_T5_PSR_SS_PNS1_23onesweep_lookback_stateEbbT6_jjT7_P12ihipStream_tbENKUlT_T0_SG_SL_E_clISA_SA_SB_SB_EEDaSZ_S10_SG_SL_EUlSZ_E_NS1_11comp_targetILNS1_3genE9ELNS1_11target_archE1100ELNS1_3gpuE3ELNS1_3repE0EEENS1_47radix_sort_onesweep_sort_config_static_selectorELNS0_4arch9wavefront6targetE0EEEvSG_
		.amdhsa_group_segment_fixed_size 0
		.amdhsa_private_segment_fixed_size 0
		.amdhsa_kernarg_size 88
		.amdhsa_user_sgpr_count 2
		.amdhsa_user_sgpr_dispatch_ptr 0
		.amdhsa_user_sgpr_queue_ptr 0
		.amdhsa_user_sgpr_kernarg_segment_ptr 1
		.amdhsa_user_sgpr_dispatch_id 0
		.amdhsa_user_sgpr_kernarg_preload_length 0
		.amdhsa_user_sgpr_kernarg_preload_offset 0
		.amdhsa_user_sgpr_private_segment_size 0
		.amdhsa_wavefront_size32 1
		.amdhsa_uses_dynamic_stack 0
		.amdhsa_enable_private_segment 0
		.amdhsa_system_sgpr_workgroup_id_x 1
		.amdhsa_system_sgpr_workgroup_id_y 0
		.amdhsa_system_sgpr_workgroup_id_z 0
		.amdhsa_system_sgpr_workgroup_info 0
		.amdhsa_system_vgpr_workitem_id 0
		.amdhsa_next_free_vgpr 1
		.amdhsa_next_free_sgpr 1
		.amdhsa_named_barrier_count 0
		.amdhsa_reserve_vcc 0
		.amdhsa_float_round_mode_32 0
		.amdhsa_float_round_mode_16_64 0
		.amdhsa_float_denorm_mode_32 3
		.amdhsa_float_denorm_mode_16_64 3
		.amdhsa_fp16_overflow 0
		.amdhsa_memory_ordered 1
		.amdhsa_forward_progress 1
		.amdhsa_inst_pref_size 0
		.amdhsa_round_robin_scheduling 0
		.amdhsa_exception_fp_ieee_invalid_op 0
		.amdhsa_exception_fp_denorm_src 0
		.amdhsa_exception_fp_ieee_div_zero 0
		.amdhsa_exception_fp_ieee_overflow 0
		.amdhsa_exception_fp_ieee_underflow 0
		.amdhsa_exception_fp_ieee_inexact 0
		.amdhsa_exception_int_div_zero 0
	.end_amdhsa_kernel
	.section	.text._ZN7rocprim17ROCPRIM_400000_NS6detail17trampoline_kernelINS0_14default_configENS1_35radix_sort_onesweep_config_selectorIiNS0_10empty_typeEEEZZNS1_29radix_sort_onesweep_iterationIS3_Lb0EPKiPiPS5_SB_mNS0_19identity_decomposerENS1_16block_id_wrapperIjLb0EEEEE10hipError_tT1_PNSt15iterator_traitsISG_E10value_typeET2_T3_PNSH_ISM_E10value_typeET4_T5_PSR_SS_PNS1_23onesweep_lookback_stateEbbT6_jjT7_P12ihipStream_tbENKUlT_T0_SG_SL_E_clISA_SA_SB_SB_EEDaSZ_S10_SG_SL_EUlSZ_E_NS1_11comp_targetILNS1_3genE9ELNS1_11target_archE1100ELNS1_3gpuE3ELNS1_3repE0EEENS1_47radix_sort_onesweep_sort_config_static_selectorELNS0_4arch9wavefront6targetE0EEEvSG_,"axG",@progbits,_ZN7rocprim17ROCPRIM_400000_NS6detail17trampoline_kernelINS0_14default_configENS1_35radix_sort_onesweep_config_selectorIiNS0_10empty_typeEEEZZNS1_29radix_sort_onesweep_iterationIS3_Lb0EPKiPiPS5_SB_mNS0_19identity_decomposerENS1_16block_id_wrapperIjLb0EEEEE10hipError_tT1_PNSt15iterator_traitsISG_E10value_typeET2_T3_PNSH_ISM_E10value_typeET4_T5_PSR_SS_PNS1_23onesweep_lookback_stateEbbT6_jjT7_P12ihipStream_tbENKUlT_T0_SG_SL_E_clISA_SA_SB_SB_EEDaSZ_S10_SG_SL_EUlSZ_E_NS1_11comp_targetILNS1_3genE9ELNS1_11target_archE1100ELNS1_3gpuE3ELNS1_3repE0EEENS1_47radix_sort_onesweep_sort_config_static_selectorELNS0_4arch9wavefront6targetE0EEEvSG_,comdat
.Lfunc_end994:
	.size	_ZN7rocprim17ROCPRIM_400000_NS6detail17trampoline_kernelINS0_14default_configENS1_35radix_sort_onesweep_config_selectorIiNS0_10empty_typeEEEZZNS1_29radix_sort_onesweep_iterationIS3_Lb0EPKiPiPS5_SB_mNS0_19identity_decomposerENS1_16block_id_wrapperIjLb0EEEEE10hipError_tT1_PNSt15iterator_traitsISG_E10value_typeET2_T3_PNSH_ISM_E10value_typeET4_T5_PSR_SS_PNS1_23onesweep_lookback_stateEbbT6_jjT7_P12ihipStream_tbENKUlT_T0_SG_SL_E_clISA_SA_SB_SB_EEDaSZ_S10_SG_SL_EUlSZ_E_NS1_11comp_targetILNS1_3genE9ELNS1_11target_archE1100ELNS1_3gpuE3ELNS1_3repE0EEENS1_47radix_sort_onesweep_sort_config_static_selectorELNS0_4arch9wavefront6targetE0EEEvSG_, .Lfunc_end994-_ZN7rocprim17ROCPRIM_400000_NS6detail17trampoline_kernelINS0_14default_configENS1_35radix_sort_onesweep_config_selectorIiNS0_10empty_typeEEEZZNS1_29radix_sort_onesweep_iterationIS3_Lb0EPKiPiPS5_SB_mNS0_19identity_decomposerENS1_16block_id_wrapperIjLb0EEEEE10hipError_tT1_PNSt15iterator_traitsISG_E10value_typeET2_T3_PNSH_ISM_E10value_typeET4_T5_PSR_SS_PNS1_23onesweep_lookback_stateEbbT6_jjT7_P12ihipStream_tbENKUlT_T0_SG_SL_E_clISA_SA_SB_SB_EEDaSZ_S10_SG_SL_EUlSZ_E_NS1_11comp_targetILNS1_3genE9ELNS1_11target_archE1100ELNS1_3gpuE3ELNS1_3repE0EEENS1_47radix_sort_onesweep_sort_config_static_selectorELNS0_4arch9wavefront6targetE0EEEvSG_
                                        ; -- End function
	.set _ZN7rocprim17ROCPRIM_400000_NS6detail17trampoline_kernelINS0_14default_configENS1_35radix_sort_onesweep_config_selectorIiNS0_10empty_typeEEEZZNS1_29radix_sort_onesweep_iterationIS3_Lb0EPKiPiPS5_SB_mNS0_19identity_decomposerENS1_16block_id_wrapperIjLb0EEEEE10hipError_tT1_PNSt15iterator_traitsISG_E10value_typeET2_T3_PNSH_ISM_E10value_typeET4_T5_PSR_SS_PNS1_23onesweep_lookback_stateEbbT6_jjT7_P12ihipStream_tbENKUlT_T0_SG_SL_E_clISA_SA_SB_SB_EEDaSZ_S10_SG_SL_EUlSZ_E_NS1_11comp_targetILNS1_3genE9ELNS1_11target_archE1100ELNS1_3gpuE3ELNS1_3repE0EEENS1_47radix_sort_onesweep_sort_config_static_selectorELNS0_4arch9wavefront6targetE0EEEvSG_.num_vgpr, 0
	.set _ZN7rocprim17ROCPRIM_400000_NS6detail17trampoline_kernelINS0_14default_configENS1_35radix_sort_onesweep_config_selectorIiNS0_10empty_typeEEEZZNS1_29radix_sort_onesweep_iterationIS3_Lb0EPKiPiPS5_SB_mNS0_19identity_decomposerENS1_16block_id_wrapperIjLb0EEEEE10hipError_tT1_PNSt15iterator_traitsISG_E10value_typeET2_T3_PNSH_ISM_E10value_typeET4_T5_PSR_SS_PNS1_23onesweep_lookback_stateEbbT6_jjT7_P12ihipStream_tbENKUlT_T0_SG_SL_E_clISA_SA_SB_SB_EEDaSZ_S10_SG_SL_EUlSZ_E_NS1_11comp_targetILNS1_3genE9ELNS1_11target_archE1100ELNS1_3gpuE3ELNS1_3repE0EEENS1_47radix_sort_onesweep_sort_config_static_selectorELNS0_4arch9wavefront6targetE0EEEvSG_.num_agpr, 0
	.set _ZN7rocprim17ROCPRIM_400000_NS6detail17trampoline_kernelINS0_14default_configENS1_35radix_sort_onesweep_config_selectorIiNS0_10empty_typeEEEZZNS1_29radix_sort_onesweep_iterationIS3_Lb0EPKiPiPS5_SB_mNS0_19identity_decomposerENS1_16block_id_wrapperIjLb0EEEEE10hipError_tT1_PNSt15iterator_traitsISG_E10value_typeET2_T3_PNSH_ISM_E10value_typeET4_T5_PSR_SS_PNS1_23onesweep_lookback_stateEbbT6_jjT7_P12ihipStream_tbENKUlT_T0_SG_SL_E_clISA_SA_SB_SB_EEDaSZ_S10_SG_SL_EUlSZ_E_NS1_11comp_targetILNS1_3genE9ELNS1_11target_archE1100ELNS1_3gpuE3ELNS1_3repE0EEENS1_47radix_sort_onesweep_sort_config_static_selectorELNS0_4arch9wavefront6targetE0EEEvSG_.numbered_sgpr, 0
	.set _ZN7rocprim17ROCPRIM_400000_NS6detail17trampoline_kernelINS0_14default_configENS1_35radix_sort_onesweep_config_selectorIiNS0_10empty_typeEEEZZNS1_29radix_sort_onesweep_iterationIS3_Lb0EPKiPiPS5_SB_mNS0_19identity_decomposerENS1_16block_id_wrapperIjLb0EEEEE10hipError_tT1_PNSt15iterator_traitsISG_E10value_typeET2_T3_PNSH_ISM_E10value_typeET4_T5_PSR_SS_PNS1_23onesweep_lookback_stateEbbT6_jjT7_P12ihipStream_tbENKUlT_T0_SG_SL_E_clISA_SA_SB_SB_EEDaSZ_S10_SG_SL_EUlSZ_E_NS1_11comp_targetILNS1_3genE9ELNS1_11target_archE1100ELNS1_3gpuE3ELNS1_3repE0EEENS1_47radix_sort_onesweep_sort_config_static_selectorELNS0_4arch9wavefront6targetE0EEEvSG_.num_named_barrier, 0
	.set _ZN7rocprim17ROCPRIM_400000_NS6detail17trampoline_kernelINS0_14default_configENS1_35radix_sort_onesweep_config_selectorIiNS0_10empty_typeEEEZZNS1_29radix_sort_onesweep_iterationIS3_Lb0EPKiPiPS5_SB_mNS0_19identity_decomposerENS1_16block_id_wrapperIjLb0EEEEE10hipError_tT1_PNSt15iterator_traitsISG_E10value_typeET2_T3_PNSH_ISM_E10value_typeET4_T5_PSR_SS_PNS1_23onesweep_lookback_stateEbbT6_jjT7_P12ihipStream_tbENKUlT_T0_SG_SL_E_clISA_SA_SB_SB_EEDaSZ_S10_SG_SL_EUlSZ_E_NS1_11comp_targetILNS1_3genE9ELNS1_11target_archE1100ELNS1_3gpuE3ELNS1_3repE0EEENS1_47radix_sort_onesweep_sort_config_static_selectorELNS0_4arch9wavefront6targetE0EEEvSG_.private_seg_size, 0
	.set _ZN7rocprim17ROCPRIM_400000_NS6detail17trampoline_kernelINS0_14default_configENS1_35radix_sort_onesweep_config_selectorIiNS0_10empty_typeEEEZZNS1_29radix_sort_onesweep_iterationIS3_Lb0EPKiPiPS5_SB_mNS0_19identity_decomposerENS1_16block_id_wrapperIjLb0EEEEE10hipError_tT1_PNSt15iterator_traitsISG_E10value_typeET2_T3_PNSH_ISM_E10value_typeET4_T5_PSR_SS_PNS1_23onesweep_lookback_stateEbbT6_jjT7_P12ihipStream_tbENKUlT_T0_SG_SL_E_clISA_SA_SB_SB_EEDaSZ_S10_SG_SL_EUlSZ_E_NS1_11comp_targetILNS1_3genE9ELNS1_11target_archE1100ELNS1_3gpuE3ELNS1_3repE0EEENS1_47radix_sort_onesweep_sort_config_static_selectorELNS0_4arch9wavefront6targetE0EEEvSG_.uses_vcc, 0
	.set _ZN7rocprim17ROCPRIM_400000_NS6detail17trampoline_kernelINS0_14default_configENS1_35radix_sort_onesweep_config_selectorIiNS0_10empty_typeEEEZZNS1_29radix_sort_onesweep_iterationIS3_Lb0EPKiPiPS5_SB_mNS0_19identity_decomposerENS1_16block_id_wrapperIjLb0EEEEE10hipError_tT1_PNSt15iterator_traitsISG_E10value_typeET2_T3_PNSH_ISM_E10value_typeET4_T5_PSR_SS_PNS1_23onesweep_lookback_stateEbbT6_jjT7_P12ihipStream_tbENKUlT_T0_SG_SL_E_clISA_SA_SB_SB_EEDaSZ_S10_SG_SL_EUlSZ_E_NS1_11comp_targetILNS1_3genE9ELNS1_11target_archE1100ELNS1_3gpuE3ELNS1_3repE0EEENS1_47radix_sort_onesweep_sort_config_static_selectorELNS0_4arch9wavefront6targetE0EEEvSG_.uses_flat_scratch, 0
	.set _ZN7rocprim17ROCPRIM_400000_NS6detail17trampoline_kernelINS0_14default_configENS1_35radix_sort_onesweep_config_selectorIiNS0_10empty_typeEEEZZNS1_29radix_sort_onesweep_iterationIS3_Lb0EPKiPiPS5_SB_mNS0_19identity_decomposerENS1_16block_id_wrapperIjLb0EEEEE10hipError_tT1_PNSt15iterator_traitsISG_E10value_typeET2_T3_PNSH_ISM_E10value_typeET4_T5_PSR_SS_PNS1_23onesweep_lookback_stateEbbT6_jjT7_P12ihipStream_tbENKUlT_T0_SG_SL_E_clISA_SA_SB_SB_EEDaSZ_S10_SG_SL_EUlSZ_E_NS1_11comp_targetILNS1_3genE9ELNS1_11target_archE1100ELNS1_3gpuE3ELNS1_3repE0EEENS1_47radix_sort_onesweep_sort_config_static_selectorELNS0_4arch9wavefront6targetE0EEEvSG_.has_dyn_sized_stack, 0
	.set _ZN7rocprim17ROCPRIM_400000_NS6detail17trampoline_kernelINS0_14default_configENS1_35radix_sort_onesweep_config_selectorIiNS0_10empty_typeEEEZZNS1_29radix_sort_onesweep_iterationIS3_Lb0EPKiPiPS5_SB_mNS0_19identity_decomposerENS1_16block_id_wrapperIjLb0EEEEE10hipError_tT1_PNSt15iterator_traitsISG_E10value_typeET2_T3_PNSH_ISM_E10value_typeET4_T5_PSR_SS_PNS1_23onesweep_lookback_stateEbbT6_jjT7_P12ihipStream_tbENKUlT_T0_SG_SL_E_clISA_SA_SB_SB_EEDaSZ_S10_SG_SL_EUlSZ_E_NS1_11comp_targetILNS1_3genE9ELNS1_11target_archE1100ELNS1_3gpuE3ELNS1_3repE0EEENS1_47radix_sort_onesweep_sort_config_static_selectorELNS0_4arch9wavefront6targetE0EEEvSG_.has_recursion, 0
	.set _ZN7rocprim17ROCPRIM_400000_NS6detail17trampoline_kernelINS0_14default_configENS1_35radix_sort_onesweep_config_selectorIiNS0_10empty_typeEEEZZNS1_29radix_sort_onesweep_iterationIS3_Lb0EPKiPiPS5_SB_mNS0_19identity_decomposerENS1_16block_id_wrapperIjLb0EEEEE10hipError_tT1_PNSt15iterator_traitsISG_E10value_typeET2_T3_PNSH_ISM_E10value_typeET4_T5_PSR_SS_PNS1_23onesweep_lookback_stateEbbT6_jjT7_P12ihipStream_tbENKUlT_T0_SG_SL_E_clISA_SA_SB_SB_EEDaSZ_S10_SG_SL_EUlSZ_E_NS1_11comp_targetILNS1_3genE9ELNS1_11target_archE1100ELNS1_3gpuE3ELNS1_3repE0EEENS1_47radix_sort_onesweep_sort_config_static_selectorELNS0_4arch9wavefront6targetE0EEEvSG_.has_indirect_call, 0
	.section	.AMDGPU.csdata,"",@progbits
; Kernel info:
; codeLenInByte = 0
; TotalNumSgprs: 0
; NumVgprs: 0
; ScratchSize: 0
; MemoryBound: 0
; FloatMode: 240
; IeeeMode: 1
; LDSByteSize: 0 bytes/workgroup (compile time only)
; SGPRBlocks: 0
; VGPRBlocks: 0
; NumSGPRsForWavesPerEU: 1
; NumVGPRsForWavesPerEU: 1
; NamedBarCnt: 0
; Occupancy: 16
; WaveLimiterHint : 0
; COMPUTE_PGM_RSRC2:SCRATCH_EN: 0
; COMPUTE_PGM_RSRC2:USER_SGPR: 2
; COMPUTE_PGM_RSRC2:TRAP_HANDLER: 0
; COMPUTE_PGM_RSRC2:TGID_X_EN: 1
; COMPUTE_PGM_RSRC2:TGID_Y_EN: 0
; COMPUTE_PGM_RSRC2:TGID_Z_EN: 0
; COMPUTE_PGM_RSRC2:TIDIG_COMP_CNT: 0
	.section	.text._ZN7rocprim17ROCPRIM_400000_NS6detail17trampoline_kernelINS0_14default_configENS1_35radix_sort_onesweep_config_selectorIiNS0_10empty_typeEEEZZNS1_29radix_sort_onesweep_iterationIS3_Lb0EPKiPiPS5_SB_mNS0_19identity_decomposerENS1_16block_id_wrapperIjLb0EEEEE10hipError_tT1_PNSt15iterator_traitsISG_E10value_typeET2_T3_PNSH_ISM_E10value_typeET4_T5_PSR_SS_PNS1_23onesweep_lookback_stateEbbT6_jjT7_P12ihipStream_tbENKUlT_T0_SG_SL_E_clISA_SA_SB_SB_EEDaSZ_S10_SG_SL_EUlSZ_E_NS1_11comp_targetILNS1_3genE8ELNS1_11target_archE1030ELNS1_3gpuE2ELNS1_3repE0EEENS1_47radix_sort_onesweep_sort_config_static_selectorELNS0_4arch9wavefront6targetE0EEEvSG_,"axG",@progbits,_ZN7rocprim17ROCPRIM_400000_NS6detail17trampoline_kernelINS0_14default_configENS1_35radix_sort_onesweep_config_selectorIiNS0_10empty_typeEEEZZNS1_29radix_sort_onesweep_iterationIS3_Lb0EPKiPiPS5_SB_mNS0_19identity_decomposerENS1_16block_id_wrapperIjLb0EEEEE10hipError_tT1_PNSt15iterator_traitsISG_E10value_typeET2_T3_PNSH_ISM_E10value_typeET4_T5_PSR_SS_PNS1_23onesweep_lookback_stateEbbT6_jjT7_P12ihipStream_tbENKUlT_T0_SG_SL_E_clISA_SA_SB_SB_EEDaSZ_S10_SG_SL_EUlSZ_E_NS1_11comp_targetILNS1_3genE8ELNS1_11target_archE1030ELNS1_3gpuE2ELNS1_3repE0EEENS1_47radix_sort_onesweep_sort_config_static_selectorELNS0_4arch9wavefront6targetE0EEEvSG_,comdat
	.protected	_ZN7rocprim17ROCPRIM_400000_NS6detail17trampoline_kernelINS0_14default_configENS1_35radix_sort_onesweep_config_selectorIiNS0_10empty_typeEEEZZNS1_29radix_sort_onesweep_iterationIS3_Lb0EPKiPiPS5_SB_mNS0_19identity_decomposerENS1_16block_id_wrapperIjLb0EEEEE10hipError_tT1_PNSt15iterator_traitsISG_E10value_typeET2_T3_PNSH_ISM_E10value_typeET4_T5_PSR_SS_PNS1_23onesweep_lookback_stateEbbT6_jjT7_P12ihipStream_tbENKUlT_T0_SG_SL_E_clISA_SA_SB_SB_EEDaSZ_S10_SG_SL_EUlSZ_E_NS1_11comp_targetILNS1_3genE8ELNS1_11target_archE1030ELNS1_3gpuE2ELNS1_3repE0EEENS1_47radix_sort_onesweep_sort_config_static_selectorELNS0_4arch9wavefront6targetE0EEEvSG_ ; -- Begin function _ZN7rocprim17ROCPRIM_400000_NS6detail17trampoline_kernelINS0_14default_configENS1_35radix_sort_onesweep_config_selectorIiNS0_10empty_typeEEEZZNS1_29radix_sort_onesweep_iterationIS3_Lb0EPKiPiPS5_SB_mNS0_19identity_decomposerENS1_16block_id_wrapperIjLb0EEEEE10hipError_tT1_PNSt15iterator_traitsISG_E10value_typeET2_T3_PNSH_ISM_E10value_typeET4_T5_PSR_SS_PNS1_23onesweep_lookback_stateEbbT6_jjT7_P12ihipStream_tbENKUlT_T0_SG_SL_E_clISA_SA_SB_SB_EEDaSZ_S10_SG_SL_EUlSZ_E_NS1_11comp_targetILNS1_3genE8ELNS1_11target_archE1030ELNS1_3gpuE2ELNS1_3repE0EEENS1_47radix_sort_onesweep_sort_config_static_selectorELNS0_4arch9wavefront6targetE0EEEvSG_
	.globl	_ZN7rocprim17ROCPRIM_400000_NS6detail17trampoline_kernelINS0_14default_configENS1_35radix_sort_onesweep_config_selectorIiNS0_10empty_typeEEEZZNS1_29radix_sort_onesweep_iterationIS3_Lb0EPKiPiPS5_SB_mNS0_19identity_decomposerENS1_16block_id_wrapperIjLb0EEEEE10hipError_tT1_PNSt15iterator_traitsISG_E10value_typeET2_T3_PNSH_ISM_E10value_typeET4_T5_PSR_SS_PNS1_23onesweep_lookback_stateEbbT6_jjT7_P12ihipStream_tbENKUlT_T0_SG_SL_E_clISA_SA_SB_SB_EEDaSZ_S10_SG_SL_EUlSZ_E_NS1_11comp_targetILNS1_3genE8ELNS1_11target_archE1030ELNS1_3gpuE2ELNS1_3repE0EEENS1_47radix_sort_onesweep_sort_config_static_selectorELNS0_4arch9wavefront6targetE0EEEvSG_
	.p2align	8
	.type	_ZN7rocprim17ROCPRIM_400000_NS6detail17trampoline_kernelINS0_14default_configENS1_35radix_sort_onesweep_config_selectorIiNS0_10empty_typeEEEZZNS1_29radix_sort_onesweep_iterationIS3_Lb0EPKiPiPS5_SB_mNS0_19identity_decomposerENS1_16block_id_wrapperIjLb0EEEEE10hipError_tT1_PNSt15iterator_traitsISG_E10value_typeET2_T3_PNSH_ISM_E10value_typeET4_T5_PSR_SS_PNS1_23onesweep_lookback_stateEbbT6_jjT7_P12ihipStream_tbENKUlT_T0_SG_SL_E_clISA_SA_SB_SB_EEDaSZ_S10_SG_SL_EUlSZ_E_NS1_11comp_targetILNS1_3genE8ELNS1_11target_archE1030ELNS1_3gpuE2ELNS1_3repE0EEENS1_47radix_sort_onesweep_sort_config_static_selectorELNS0_4arch9wavefront6targetE0EEEvSG_,@function
_ZN7rocprim17ROCPRIM_400000_NS6detail17trampoline_kernelINS0_14default_configENS1_35radix_sort_onesweep_config_selectorIiNS0_10empty_typeEEEZZNS1_29radix_sort_onesweep_iterationIS3_Lb0EPKiPiPS5_SB_mNS0_19identity_decomposerENS1_16block_id_wrapperIjLb0EEEEE10hipError_tT1_PNSt15iterator_traitsISG_E10value_typeET2_T3_PNSH_ISM_E10value_typeET4_T5_PSR_SS_PNS1_23onesweep_lookback_stateEbbT6_jjT7_P12ihipStream_tbENKUlT_T0_SG_SL_E_clISA_SA_SB_SB_EEDaSZ_S10_SG_SL_EUlSZ_E_NS1_11comp_targetILNS1_3genE8ELNS1_11target_archE1030ELNS1_3gpuE2ELNS1_3repE0EEENS1_47radix_sort_onesweep_sort_config_static_selectorELNS0_4arch9wavefront6targetE0EEEvSG_: ; @_ZN7rocprim17ROCPRIM_400000_NS6detail17trampoline_kernelINS0_14default_configENS1_35radix_sort_onesweep_config_selectorIiNS0_10empty_typeEEEZZNS1_29radix_sort_onesweep_iterationIS3_Lb0EPKiPiPS5_SB_mNS0_19identity_decomposerENS1_16block_id_wrapperIjLb0EEEEE10hipError_tT1_PNSt15iterator_traitsISG_E10value_typeET2_T3_PNSH_ISM_E10value_typeET4_T5_PSR_SS_PNS1_23onesweep_lookback_stateEbbT6_jjT7_P12ihipStream_tbENKUlT_T0_SG_SL_E_clISA_SA_SB_SB_EEDaSZ_S10_SG_SL_EUlSZ_E_NS1_11comp_targetILNS1_3genE8ELNS1_11target_archE1030ELNS1_3gpuE2ELNS1_3repE0EEENS1_47radix_sort_onesweep_sort_config_static_selectorELNS0_4arch9wavefront6targetE0EEEvSG_
; %bb.0:
	.section	.rodata,"a",@progbits
	.p2align	6, 0x0
	.amdhsa_kernel _ZN7rocprim17ROCPRIM_400000_NS6detail17trampoline_kernelINS0_14default_configENS1_35radix_sort_onesweep_config_selectorIiNS0_10empty_typeEEEZZNS1_29radix_sort_onesweep_iterationIS3_Lb0EPKiPiPS5_SB_mNS0_19identity_decomposerENS1_16block_id_wrapperIjLb0EEEEE10hipError_tT1_PNSt15iterator_traitsISG_E10value_typeET2_T3_PNSH_ISM_E10value_typeET4_T5_PSR_SS_PNS1_23onesweep_lookback_stateEbbT6_jjT7_P12ihipStream_tbENKUlT_T0_SG_SL_E_clISA_SA_SB_SB_EEDaSZ_S10_SG_SL_EUlSZ_E_NS1_11comp_targetILNS1_3genE8ELNS1_11target_archE1030ELNS1_3gpuE2ELNS1_3repE0EEENS1_47radix_sort_onesweep_sort_config_static_selectorELNS0_4arch9wavefront6targetE0EEEvSG_
		.amdhsa_group_segment_fixed_size 0
		.amdhsa_private_segment_fixed_size 0
		.amdhsa_kernarg_size 88
		.amdhsa_user_sgpr_count 2
		.amdhsa_user_sgpr_dispatch_ptr 0
		.amdhsa_user_sgpr_queue_ptr 0
		.amdhsa_user_sgpr_kernarg_segment_ptr 1
		.amdhsa_user_sgpr_dispatch_id 0
		.amdhsa_user_sgpr_kernarg_preload_length 0
		.amdhsa_user_sgpr_kernarg_preload_offset 0
		.amdhsa_user_sgpr_private_segment_size 0
		.amdhsa_wavefront_size32 1
		.amdhsa_uses_dynamic_stack 0
		.amdhsa_enable_private_segment 0
		.amdhsa_system_sgpr_workgroup_id_x 1
		.amdhsa_system_sgpr_workgroup_id_y 0
		.amdhsa_system_sgpr_workgroup_id_z 0
		.amdhsa_system_sgpr_workgroup_info 0
		.amdhsa_system_vgpr_workitem_id 0
		.amdhsa_next_free_vgpr 1
		.amdhsa_next_free_sgpr 1
		.amdhsa_named_barrier_count 0
		.amdhsa_reserve_vcc 0
		.amdhsa_float_round_mode_32 0
		.amdhsa_float_round_mode_16_64 0
		.amdhsa_float_denorm_mode_32 3
		.amdhsa_float_denorm_mode_16_64 3
		.amdhsa_fp16_overflow 0
		.amdhsa_memory_ordered 1
		.amdhsa_forward_progress 1
		.amdhsa_inst_pref_size 0
		.amdhsa_round_robin_scheduling 0
		.amdhsa_exception_fp_ieee_invalid_op 0
		.amdhsa_exception_fp_denorm_src 0
		.amdhsa_exception_fp_ieee_div_zero 0
		.amdhsa_exception_fp_ieee_overflow 0
		.amdhsa_exception_fp_ieee_underflow 0
		.amdhsa_exception_fp_ieee_inexact 0
		.amdhsa_exception_int_div_zero 0
	.end_amdhsa_kernel
	.section	.text._ZN7rocprim17ROCPRIM_400000_NS6detail17trampoline_kernelINS0_14default_configENS1_35radix_sort_onesweep_config_selectorIiNS0_10empty_typeEEEZZNS1_29radix_sort_onesweep_iterationIS3_Lb0EPKiPiPS5_SB_mNS0_19identity_decomposerENS1_16block_id_wrapperIjLb0EEEEE10hipError_tT1_PNSt15iterator_traitsISG_E10value_typeET2_T3_PNSH_ISM_E10value_typeET4_T5_PSR_SS_PNS1_23onesweep_lookback_stateEbbT6_jjT7_P12ihipStream_tbENKUlT_T0_SG_SL_E_clISA_SA_SB_SB_EEDaSZ_S10_SG_SL_EUlSZ_E_NS1_11comp_targetILNS1_3genE8ELNS1_11target_archE1030ELNS1_3gpuE2ELNS1_3repE0EEENS1_47radix_sort_onesweep_sort_config_static_selectorELNS0_4arch9wavefront6targetE0EEEvSG_,"axG",@progbits,_ZN7rocprim17ROCPRIM_400000_NS6detail17trampoline_kernelINS0_14default_configENS1_35radix_sort_onesweep_config_selectorIiNS0_10empty_typeEEEZZNS1_29radix_sort_onesweep_iterationIS3_Lb0EPKiPiPS5_SB_mNS0_19identity_decomposerENS1_16block_id_wrapperIjLb0EEEEE10hipError_tT1_PNSt15iterator_traitsISG_E10value_typeET2_T3_PNSH_ISM_E10value_typeET4_T5_PSR_SS_PNS1_23onesweep_lookback_stateEbbT6_jjT7_P12ihipStream_tbENKUlT_T0_SG_SL_E_clISA_SA_SB_SB_EEDaSZ_S10_SG_SL_EUlSZ_E_NS1_11comp_targetILNS1_3genE8ELNS1_11target_archE1030ELNS1_3gpuE2ELNS1_3repE0EEENS1_47radix_sort_onesweep_sort_config_static_selectorELNS0_4arch9wavefront6targetE0EEEvSG_,comdat
.Lfunc_end995:
	.size	_ZN7rocprim17ROCPRIM_400000_NS6detail17trampoline_kernelINS0_14default_configENS1_35radix_sort_onesweep_config_selectorIiNS0_10empty_typeEEEZZNS1_29radix_sort_onesweep_iterationIS3_Lb0EPKiPiPS5_SB_mNS0_19identity_decomposerENS1_16block_id_wrapperIjLb0EEEEE10hipError_tT1_PNSt15iterator_traitsISG_E10value_typeET2_T3_PNSH_ISM_E10value_typeET4_T5_PSR_SS_PNS1_23onesweep_lookback_stateEbbT6_jjT7_P12ihipStream_tbENKUlT_T0_SG_SL_E_clISA_SA_SB_SB_EEDaSZ_S10_SG_SL_EUlSZ_E_NS1_11comp_targetILNS1_3genE8ELNS1_11target_archE1030ELNS1_3gpuE2ELNS1_3repE0EEENS1_47radix_sort_onesweep_sort_config_static_selectorELNS0_4arch9wavefront6targetE0EEEvSG_, .Lfunc_end995-_ZN7rocprim17ROCPRIM_400000_NS6detail17trampoline_kernelINS0_14default_configENS1_35radix_sort_onesweep_config_selectorIiNS0_10empty_typeEEEZZNS1_29radix_sort_onesweep_iterationIS3_Lb0EPKiPiPS5_SB_mNS0_19identity_decomposerENS1_16block_id_wrapperIjLb0EEEEE10hipError_tT1_PNSt15iterator_traitsISG_E10value_typeET2_T3_PNSH_ISM_E10value_typeET4_T5_PSR_SS_PNS1_23onesweep_lookback_stateEbbT6_jjT7_P12ihipStream_tbENKUlT_T0_SG_SL_E_clISA_SA_SB_SB_EEDaSZ_S10_SG_SL_EUlSZ_E_NS1_11comp_targetILNS1_3genE8ELNS1_11target_archE1030ELNS1_3gpuE2ELNS1_3repE0EEENS1_47radix_sort_onesweep_sort_config_static_selectorELNS0_4arch9wavefront6targetE0EEEvSG_
                                        ; -- End function
	.set _ZN7rocprim17ROCPRIM_400000_NS6detail17trampoline_kernelINS0_14default_configENS1_35radix_sort_onesweep_config_selectorIiNS0_10empty_typeEEEZZNS1_29radix_sort_onesweep_iterationIS3_Lb0EPKiPiPS5_SB_mNS0_19identity_decomposerENS1_16block_id_wrapperIjLb0EEEEE10hipError_tT1_PNSt15iterator_traitsISG_E10value_typeET2_T3_PNSH_ISM_E10value_typeET4_T5_PSR_SS_PNS1_23onesweep_lookback_stateEbbT6_jjT7_P12ihipStream_tbENKUlT_T0_SG_SL_E_clISA_SA_SB_SB_EEDaSZ_S10_SG_SL_EUlSZ_E_NS1_11comp_targetILNS1_3genE8ELNS1_11target_archE1030ELNS1_3gpuE2ELNS1_3repE0EEENS1_47radix_sort_onesweep_sort_config_static_selectorELNS0_4arch9wavefront6targetE0EEEvSG_.num_vgpr, 0
	.set _ZN7rocprim17ROCPRIM_400000_NS6detail17trampoline_kernelINS0_14default_configENS1_35radix_sort_onesweep_config_selectorIiNS0_10empty_typeEEEZZNS1_29radix_sort_onesweep_iterationIS3_Lb0EPKiPiPS5_SB_mNS0_19identity_decomposerENS1_16block_id_wrapperIjLb0EEEEE10hipError_tT1_PNSt15iterator_traitsISG_E10value_typeET2_T3_PNSH_ISM_E10value_typeET4_T5_PSR_SS_PNS1_23onesweep_lookback_stateEbbT6_jjT7_P12ihipStream_tbENKUlT_T0_SG_SL_E_clISA_SA_SB_SB_EEDaSZ_S10_SG_SL_EUlSZ_E_NS1_11comp_targetILNS1_3genE8ELNS1_11target_archE1030ELNS1_3gpuE2ELNS1_3repE0EEENS1_47radix_sort_onesweep_sort_config_static_selectorELNS0_4arch9wavefront6targetE0EEEvSG_.num_agpr, 0
	.set _ZN7rocprim17ROCPRIM_400000_NS6detail17trampoline_kernelINS0_14default_configENS1_35radix_sort_onesweep_config_selectorIiNS0_10empty_typeEEEZZNS1_29radix_sort_onesweep_iterationIS3_Lb0EPKiPiPS5_SB_mNS0_19identity_decomposerENS1_16block_id_wrapperIjLb0EEEEE10hipError_tT1_PNSt15iterator_traitsISG_E10value_typeET2_T3_PNSH_ISM_E10value_typeET4_T5_PSR_SS_PNS1_23onesweep_lookback_stateEbbT6_jjT7_P12ihipStream_tbENKUlT_T0_SG_SL_E_clISA_SA_SB_SB_EEDaSZ_S10_SG_SL_EUlSZ_E_NS1_11comp_targetILNS1_3genE8ELNS1_11target_archE1030ELNS1_3gpuE2ELNS1_3repE0EEENS1_47radix_sort_onesweep_sort_config_static_selectorELNS0_4arch9wavefront6targetE0EEEvSG_.numbered_sgpr, 0
	.set _ZN7rocprim17ROCPRIM_400000_NS6detail17trampoline_kernelINS0_14default_configENS1_35radix_sort_onesweep_config_selectorIiNS0_10empty_typeEEEZZNS1_29radix_sort_onesweep_iterationIS3_Lb0EPKiPiPS5_SB_mNS0_19identity_decomposerENS1_16block_id_wrapperIjLb0EEEEE10hipError_tT1_PNSt15iterator_traitsISG_E10value_typeET2_T3_PNSH_ISM_E10value_typeET4_T5_PSR_SS_PNS1_23onesweep_lookback_stateEbbT6_jjT7_P12ihipStream_tbENKUlT_T0_SG_SL_E_clISA_SA_SB_SB_EEDaSZ_S10_SG_SL_EUlSZ_E_NS1_11comp_targetILNS1_3genE8ELNS1_11target_archE1030ELNS1_3gpuE2ELNS1_3repE0EEENS1_47radix_sort_onesweep_sort_config_static_selectorELNS0_4arch9wavefront6targetE0EEEvSG_.num_named_barrier, 0
	.set _ZN7rocprim17ROCPRIM_400000_NS6detail17trampoline_kernelINS0_14default_configENS1_35radix_sort_onesweep_config_selectorIiNS0_10empty_typeEEEZZNS1_29radix_sort_onesweep_iterationIS3_Lb0EPKiPiPS5_SB_mNS0_19identity_decomposerENS1_16block_id_wrapperIjLb0EEEEE10hipError_tT1_PNSt15iterator_traitsISG_E10value_typeET2_T3_PNSH_ISM_E10value_typeET4_T5_PSR_SS_PNS1_23onesweep_lookback_stateEbbT6_jjT7_P12ihipStream_tbENKUlT_T0_SG_SL_E_clISA_SA_SB_SB_EEDaSZ_S10_SG_SL_EUlSZ_E_NS1_11comp_targetILNS1_3genE8ELNS1_11target_archE1030ELNS1_3gpuE2ELNS1_3repE0EEENS1_47radix_sort_onesweep_sort_config_static_selectorELNS0_4arch9wavefront6targetE0EEEvSG_.private_seg_size, 0
	.set _ZN7rocprim17ROCPRIM_400000_NS6detail17trampoline_kernelINS0_14default_configENS1_35radix_sort_onesweep_config_selectorIiNS0_10empty_typeEEEZZNS1_29radix_sort_onesweep_iterationIS3_Lb0EPKiPiPS5_SB_mNS0_19identity_decomposerENS1_16block_id_wrapperIjLb0EEEEE10hipError_tT1_PNSt15iterator_traitsISG_E10value_typeET2_T3_PNSH_ISM_E10value_typeET4_T5_PSR_SS_PNS1_23onesweep_lookback_stateEbbT6_jjT7_P12ihipStream_tbENKUlT_T0_SG_SL_E_clISA_SA_SB_SB_EEDaSZ_S10_SG_SL_EUlSZ_E_NS1_11comp_targetILNS1_3genE8ELNS1_11target_archE1030ELNS1_3gpuE2ELNS1_3repE0EEENS1_47radix_sort_onesweep_sort_config_static_selectorELNS0_4arch9wavefront6targetE0EEEvSG_.uses_vcc, 0
	.set _ZN7rocprim17ROCPRIM_400000_NS6detail17trampoline_kernelINS0_14default_configENS1_35radix_sort_onesweep_config_selectorIiNS0_10empty_typeEEEZZNS1_29radix_sort_onesweep_iterationIS3_Lb0EPKiPiPS5_SB_mNS0_19identity_decomposerENS1_16block_id_wrapperIjLb0EEEEE10hipError_tT1_PNSt15iterator_traitsISG_E10value_typeET2_T3_PNSH_ISM_E10value_typeET4_T5_PSR_SS_PNS1_23onesweep_lookback_stateEbbT6_jjT7_P12ihipStream_tbENKUlT_T0_SG_SL_E_clISA_SA_SB_SB_EEDaSZ_S10_SG_SL_EUlSZ_E_NS1_11comp_targetILNS1_3genE8ELNS1_11target_archE1030ELNS1_3gpuE2ELNS1_3repE0EEENS1_47radix_sort_onesweep_sort_config_static_selectorELNS0_4arch9wavefront6targetE0EEEvSG_.uses_flat_scratch, 0
	.set _ZN7rocprim17ROCPRIM_400000_NS6detail17trampoline_kernelINS0_14default_configENS1_35radix_sort_onesweep_config_selectorIiNS0_10empty_typeEEEZZNS1_29radix_sort_onesweep_iterationIS3_Lb0EPKiPiPS5_SB_mNS0_19identity_decomposerENS1_16block_id_wrapperIjLb0EEEEE10hipError_tT1_PNSt15iterator_traitsISG_E10value_typeET2_T3_PNSH_ISM_E10value_typeET4_T5_PSR_SS_PNS1_23onesweep_lookback_stateEbbT6_jjT7_P12ihipStream_tbENKUlT_T0_SG_SL_E_clISA_SA_SB_SB_EEDaSZ_S10_SG_SL_EUlSZ_E_NS1_11comp_targetILNS1_3genE8ELNS1_11target_archE1030ELNS1_3gpuE2ELNS1_3repE0EEENS1_47radix_sort_onesweep_sort_config_static_selectorELNS0_4arch9wavefront6targetE0EEEvSG_.has_dyn_sized_stack, 0
	.set _ZN7rocprim17ROCPRIM_400000_NS6detail17trampoline_kernelINS0_14default_configENS1_35radix_sort_onesweep_config_selectorIiNS0_10empty_typeEEEZZNS1_29radix_sort_onesweep_iterationIS3_Lb0EPKiPiPS5_SB_mNS0_19identity_decomposerENS1_16block_id_wrapperIjLb0EEEEE10hipError_tT1_PNSt15iterator_traitsISG_E10value_typeET2_T3_PNSH_ISM_E10value_typeET4_T5_PSR_SS_PNS1_23onesweep_lookback_stateEbbT6_jjT7_P12ihipStream_tbENKUlT_T0_SG_SL_E_clISA_SA_SB_SB_EEDaSZ_S10_SG_SL_EUlSZ_E_NS1_11comp_targetILNS1_3genE8ELNS1_11target_archE1030ELNS1_3gpuE2ELNS1_3repE0EEENS1_47radix_sort_onesweep_sort_config_static_selectorELNS0_4arch9wavefront6targetE0EEEvSG_.has_recursion, 0
	.set _ZN7rocprim17ROCPRIM_400000_NS6detail17trampoline_kernelINS0_14default_configENS1_35radix_sort_onesweep_config_selectorIiNS0_10empty_typeEEEZZNS1_29radix_sort_onesweep_iterationIS3_Lb0EPKiPiPS5_SB_mNS0_19identity_decomposerENS1_16block_id_wrapperIjLb0EEEEE10hipError_tT1_PNSt15iterator_traitsISG_E10value_typeET2_T3_PNSH_ISM_E10value_typeET4_T5_PSR_SS_PNS1_23onesweep_lookback_stateEbbT6_jjT7_P12ihipStream_tbENKUlT_T0_SG_SL_E_clISA_SA_SB_SB_EEDaSZ_S10_SG_SL_EUlSZ_E_NS1_11comp_targetILNS1_3genE8ELNS1_11target_archE1030ELNS1_3gpuE2ELNS1_3repE0EEENS1_47radix_sort_onesweep_sort_config_static_selectorELNS0_4arch9wavefront6targetE0EEEvSG_.has_indirect_call, 0
	.section	.AMDGPU.csdata,"",@progbits
; Kernel info:
; codeLenInByte = 0
; TotalNumSgprs: 0
; NumVgprs: 0
; ScratchSize: 0
; MemoryBound: 0
; FloatMode: 240
; IeeeMode: 1
; LDSByteSize: 0 bytes/workgroup (compile time only)
; SGPRBlocks: 0
; VGPRBlocks: 0
; NumSGPRsForWavesPerEU: 1
; NumVGPRsForWavesPerEU: 1
; NamedBarCnt: 0
; Occupancy: 16
; WaveLimiterHint : 0
; COMPUTE_PGM_RSRC2:SCRATCH_EN: 0
; COMPUTE_PGM_RSRC2:USER_SGPR: 2
; COMPUTE_PGM_RSRC2:TRAP_HANDLER: 0
; COMPUTE_PGM_RSRC2:TGID_X_EN: 1
; COMPUTE_PGM_RSRC2:TGID_Y_EN: 0
; COMPUTE_PGM_RSRC2:TGID_Z_EN: 0
; COMPUTE_PGM_RSRC2:TIDIG_COMP_CNT: 0
	.section	.text._ZN7rocprim17ROCPRIM_400000_NS6detail17trampoline_kernelINS0_13kernel_configILj256ELj4ELj4294967295EEENS1_37radix_sort_block_sort_config_selectorIlNS0_10empty_typeEEEZNS1_21radix_sort_block_sortIS4_Lb1EPKlPlPS6_SC_NS0_19identity_decomposerEEE10hipError_tT1_T2_T3_T4_jRjT5_jjP12ihipStream_tbEUlT_E_NS1_11comp_targetILNS1_3genE0ELNS1_11target_archE4294967295ELNS1_3gpuE0ELNS1_3repE0EEENS1_44radix_sort_block_sort_config_static_selectorELNS0_4arch9wavefront6targetE0EEEvSF_,"axG",@progbits,_ZN7rocprim17ROCPRIM_400000_NS6detail17trampoline_kernelINS0_13kernel_configILj256ELj4ELj4294967295EEENS1_37radix_sort_block_sort_config_selectorIlNS0_10empty_typeEEEZNS1_21radix_sort_block_sortIS4_Lb1EPKlPlPS6_SC_NS0_19identity_decomposerEEE10hipError_tT1_T2_T3_T4_jRjT5_jjP12ihipStream_tbEUlT_E_NS1_11comp_targetILNS1_3genE0ELNS1_11target_archE4294967295ELNS1_3gpuE0ELNS1_3repE0EEENS1_44radix_sort_block_sort_config_static_selectorELNS0_4arch9wavefront6targetE0EEEvSF_,comdat
	.protected	_ZN7rocprim17ROCPRIM_400000_NS6detail17trampoline_kernelINS0_13kernel_configILj256ELj4ELj4294967295EEENS1_37radix_sort_block_sort_config_selectorIlNS0_10empty_typeEEEZNS1_21radix_sort_block_sortIS4_Lb1EPKlPlPS6_SC_NS0_19identity_decomposerEEE10hipError_tT1_T2_T3_T4_jRjT5_jjP12ihipStream_tbEUlT_E_NS1_11comp_targetILNS1_3genE0ELNS1_11target_archE4294967295ELNS1_3gpuE0ELNS1_3repE0EEENS1_44radix_sort_block_sort_config_static_selectorELNS0_4arch9wavefront6targetE0EEEvSF_ ; -- Begin function _ZN7rocprim17ROCPRIM_400000_NS6detail17trampoline_kernelINS0_13kernel_configILj256ELj4ELj4294967295EEENS1_37radix_sort_block_sort_config_selectorIlNS0_10empty_typeEEEZNS1_21radix_sort_block_sortIS4_Lb1EPKlPlPS6_SC_NS0_19identity_decomposerEEE10hipError_tT1_T2_T3_T4_jRjT5_jjP12ihipStream_tbEUlT_E_NS1_11comp_targetILNS1_3genE0ELNS1_11target_archE4294967295ELNS1_3gpuE0ELNS1_3repE0EEENS1_44radix_sort_block_sort_config_static_selectorELNS0_4arch9wavefront6targetE0EEEvSF_
	.globl	_ZN7rocprim17ROCPRIM_400000_NS6detail17trampoline_kernelINS0_13kernel_configILj256ELj4ELj4294967295EEENS1_37radix_sort_block_sort_config_selectorIlNS0_10empty_typeEEEZNS1_21radix_sort_block_sortIS4_Lb1EPKlPlPS6_SC_NS0_19identity_decomposerEEE10hipError_tT1_T2_T3_T4_jRjT5_jjP12ihipStream_tbEUlT_E_NS1_11comp_targetILNS1_3genE0ELNS1_11target_archE4294967295ELNS1_3gpuE0ELNS1_3repE0EEENS1_44radix_sort_block_sort_config_static_selectorELNS0_4arch9wavefront6targetE0EEEvSF_
	.p2align	8
	.type	_ZN7rocprim17ROCPRIM_400000_NS6detail17trampoline_kernelINS0_13kernel_configILj256ELj4ELj4294967295EEENS1_37radix_sort_block_sort_config_selectorIlNS0_10empty_typeEEEZNS1_21radix_sort_block_sortIS4_Lb1EPKlPlPS6_SC_NS0_19identity_decomposerEEE10hipError_tT1_T2_T3_T4_jRjT5_jjP12ihipStream_tbEUlT_E_NS1_11comp_targetILNS1_3genE0ELNS1_11target_archE4294967295ELNS1_3gpuE0ELNS1_3repE0EEENS1_44radix_sort_block_sort_config_static_selectorELNS0_4arch9wavefront6targetE0EEEvSF_,@function
_ZN7rocprim17ROCPRIM_400000_NS6detail17trampoline_kernelINS0_13kernel_configILj256ELj4ELj4294967295EEENS1_37radix_sort_block_sort_config_selectorIlNS0_10empty_typeEEEZNS1_21radix_sort_block_sortIS4_Lb1EPKlPlPS6_SC_NS0_19identity_decomposerEEE10hipError_tT1_T2_T3_T4_jRjT5_jjP12ihipStream_tbEUlT_E_NS1_11comp_targetILNS1_3genE0ELNS1_11target_archE4294967295ELNS1_3gpuE0ELNS1_3repE0EEENS1_44radix_sort_block_sort_config_static_selectorELNS0_4arch9wavefront6targetE0EEEvSF_: ; @_ZN7rocprim17ROCPRIM_400000_NS6detail17trampoline_kernelINS0_13kernel_configILj256ELj4ELj4294967295EEENS1_37radix_sort_block_sort_config_selectorIlNS0_10empty_typeEEEZNS1_21radix_sort_block_sortIS4_Lb1EPKlPlPS6_SC_NS0_19identity_decomposerEEE10hipError_tT1_T2_T3_T4_jRjT5_jjP12ihipStream_tbEUlT_E_NS1_11comp_targetILNS1_3genE0ELNS1_11target_archE4294967295ELNS1_3gpuE0ELNS1_3repE0EEENS1_44radix_sort_block_sort_config_static_selectorELNS0_4arch9wavefront6targetE0EEEvSF_
; %bb.0:
	s_clause 0x1
	s_load_b32 s4, s[0:1], 0x20
	s_load_b128 s[20:23], s[0:1], 0x0
	s_bfe_u32 s5, ttmp6, 0x4000c
	s_and_b32 s2, ttmp6, 15
	s_add_co_i32 s5, s5, 1
	s_getreg_b32 s6, hwreg(HW_REG_IB_STS2, 6, 4)
	s_mul_i32 s5, ttmp9, s5
	v_and_b32_e32 v22, 0x3ff, v0
	s_add_co_i32 s2, s2, s5
	s_cmp_eq_u32 s6, 0
	v_mbcnt_lo_u32_b32 v1, -1, 0
	s_cselect_b32 s5, ttmp9, s2
	v_dual_mov_b32 v11, 0 :: v_dual_lshlrev_b32 v2, 2, v22
	s_lshl_b32 s2, s5, 10
	s_mov_b32 s3, 0
	v_lshlrev_b32_e32 v10, 3, v1
	s_delay_alu instid0(VALU_DEP_2) | instskip(SKIP_2) | instid1(SALU_CYCLE_1)
	v_and_b32_e32 v14, 0x380, v2
	s_wait_kmcnt 0x0
	s_lshr_b32 s8, s4, 10
	s_cmp_lg_u32 s5, s8
	s_cselect_b32 s26, -1, 0
	s_lshl_b64 s[24:25], s[2:3], 3
	s_cmp_eq_u32 s5, s8
	s_add_nc_u64 s[6:7], s[20:21], s[24:25]
	s_mov_b32 s5, -1
	v_add_nc_u64_e32 v[2:3], s[6:7], v[10:11]
	v_lshlrev_b32_e32 v10, 3, v14
	s_delay_alu instid0(VALU_DEP_1)
	v_add_nc_u64_e32 v[12:13], v[2:3], v[10:11]
                                        ; implicit-def: $vgpr2_vgpr3_vgpr4_vgpr5_vgpr6_vgpr7_vgpr8_vgpr9
	s_cbranch_scc0 .LBB996_24
; %bb.1:
	s_load_b64 s[20:21], s[0:1], 0x28
	s_and_not1_b32 vcc_lo, exec_lo, s5
	s_sub_co_i32 s19, s4, s2
	s_cbranch_vccz .LBB996_25
.LBB996_2:
	s_and_saveexec_b32 s2, s3
	s_cbranch_execz .LBB996_4
.LBB996_3:
	global_load_b64 v[8:9], v[12:13], off offset:768
.LBB996_4:
	s_wait_xcnt 0x0
	s_or_b32 exec_lo, exec_lo, s2
	s_load_b32 s6, s[0:1], 0x3c
	v_bfe_u32 v11, v0, 10, 10
	v_bfe_u32 v0, v0, 20, 10
	s_wait_loadcnt 0x0
	v_xor_b32_e32 v8, -1, v8
	s_get_pc_i64 s[4:5]
	s_add_nc_u64 s[4:5], s[4:5], _ZN7rocprim17ROCPRIM_400000_NS16block_radix_sortIlLj256ELj4ENS0_10empty_typeELj1ELj1ELj0ELNS0_26block_radix_rank_algorithmE1ELNS0_18block_padding_hintE2ELNS0_4arch9wavefront6targetE0EE19radix_bits_per_passE@rel64+4
	v_sub_co_u32 v15, s2, v1, 1
	v_and_b32_e32 v14, 0x3e0, v22
	s_load_b32 s27, s[4:5], 0x0
	s_mov_b32 s14, 0
	s_delay_alu instid0(VALU_DEP_2)
	v_cmp_gt_i32_e32 vcc_lo, 0, v15
	v_xor_b32_e32 v2, -1, v2
	v_min_u32_e32 v14, 0xe0, v14
	v_dual_lshlrev_b32 v23, 5, v22 :: v_dual_bitop2_b32 v4, -1, v4 bitop3:0x14
	v_mul_i32_i24_e32 v16, 0xffffffe4, v22
	v_and_b32_e32 v17, 7, v1
	s_delay_alu instid0(VALU_DEP_4)
	v_or_b32_e32 v14, 31, v14
	s_mov_b32 s15, s14
	s_mov_b32 s16, s14
	s_wait_kmcnt 0x0
	s_lshr_b32 s3, s6, 16
	s_and_b32 s6, s6, 0xffff
	v_mad_u32_u24 v0, v0, s3, v11
	v_lshrrev_b32_e32 v11, 3, v22
	s_mov_b32 s17, s14
	v_lshl_add_u32 v28, v1, 3, v10
	v_xor_b32_e32 v3, 0x7fffffff, v3
	v_mad_u32 v0, v0, s6, v22
	v_and_b32_e32 v24, 0x7c, v11
	v_and_b32_e32 v12, 15, v1
	v_xor_b32_e32 v6, -1, v6
	v_mov_b64_e32 v[10:11], s[14:15]
	v_xor_b32_e32 v5, 0x7fffffff, v5
	v_add_nc_u32_e32 v27, -4, v24
	v_cmp_eq_u32_e64 s4, 0, v12
	v_cmp_lt_u32_e64 s5, 1, v12
	v_cmp_lt_u32_e64 s6, 3, v12
	;; [unrolled: 1-line block ×3, first 2 shown]
	v_dual_cndmask_b32 v12, v15, v1, vcc_lo :: v_dual_bitop2_b32 v13, 16, v1 bitop3:0x40
	v_lshrrev_b32_e32 v0, 3, v0
	v_xor_b32_e32 v7, 0x7fffffff, v7
	v_xor_b32_e32 v9, 0x7fffffff, v9
	s_delay_alu instid0(VALU_DEP_4)
	v_lshlrev_b32_e32 v25, 2, v12
	v_cmp_eq_u32_e64 s8, 0, v13
	v_mov_b64_e32 v[12:13], s[16:17]
	v_cmp_gt_u32_e64 s0, 8, v22
	v_cmp_lt_u32_e64 s1, 31, v22
	v_cmp_eq_u32_e64 s3, 0, v22
	v_cmp_eq_u32_e64 s9, v22, v14
	v_and_b32_e32 v26, 0x1ffffffc, v0
	v_add_nc_u32_e32 v29, v23, v16
	v_cmp_eq_u32_e64 s10, 0, v17
	v_cmp_lt_u32_e64 s11, 1, v17
	v_cmp_lt_u32_e64 s12, 3, v17
	s_add_co_i32 s28, s21, s20
	s_branch .LBB996_6
.LBB996_5:                              ;   in Loop: Header=BB996_6 Depth=1
	s_and_not1_b32 vcc_lo, exec_lo, s13
	s_cbranch_vccz .LBB996_22
.LBB996_6:                              ; =>This Inner Loop Header: Depth=1
	v_mov_b64_e32 v[14:15], v[2:3]
	s_min_u32 s13, s27, s21
	ds_store_2addr_b64 v23, v[10:11], v[12:13] offset0:4 offset1:5
	ds_store_2addr_b64 v23, v[10:11], v[12:13] offset0:6 offset1:7
	s_lshl_b32 s29, -1, s13
	s_wait_dscnt 0x0
	s_barrier_signal -1
	s_barrier_wait -1
	v_lshrrev_b64 v[0:1], s20, v[14:15]
	; wave barrier
	s_delay_alu instid0(VALU_DEP_1) | instskip(SKIP_1) | instid1(VALU_DEP_2)
	v_bitop3_b32 v1, v0, 1, s29 bitop3:0x40
	v_bitop3_b32 v2, v0, s29, v0 bitop3:0x30
	v_add_co_u32 v0, s13, v1, -1
	s_delay_alu instid0(VALU_DEP_1) | instskip(NEXT) | instid1(VALU_DEP_3)
	v_cndmask_b32_e64 v1, 0, 1, s13
	v_dual_lshlrev_b32 v3, 30, v2 :: v_dual_lshlrev_b32 v16, 29, v2
	v_dual_lshlrev_b32 v17, 28, v2 :: v_dual_lshlrev_b32 v18, 27, v2
	s_delay_alu instid0(VALU_DEP_3) | instskip(NEXT) | instid1(VALU_DEP_3)
	v_cmp_ne_u32_e32 vcc_lo, 0, v1
	v_not_b32_e32 v1, v3
	v_dual_lshlrev_b32 v19, 26, v2 :: v_dual_lshlrev_b32 v20, 25, v2
	v_lshlrev_b32_e32 v21, 24, v2
	v_cmp_gt_i32_e64 s13, 0, v3
	v_cmp_gt_i32_e64 s14, 0, v16
	v_not_b32_e32 v3, v16
	v_not_b32_e32 v16, v17
	v_ashrrev_i32_e32 v1, 31, v1
	v_cmp_gt_i32_e64 s15, 0, v17
	v_cmp_gt_i32_e64 s16, 0, v18
	v_not_b32_e32 v17, v18
	v_not_b32_e32 v18, v19
	v_dual_ashrrev_i32 v3, 31, v3 :: v_dual_bitop2_b32 v0, vcc_lo, v0 bitop3:0x14
	v_dual_ashrrev_i32 v16, 31, v16 :: v_dual_bitop2_b32 v1, s13, v1 bitop3:0x14
	v_cmp_gt_i32_e64 s17, 0, v19
	v_not_b32_e32 v19, v20
	s_delay_alu instid0(VALU_DEP_4) | instskip(NEXT) | instid1(VALU_DEP_4)
	v_dual_ashrrev_i32 v17, 31, v17 :: v_dual_bitop2_b32 v3, s14, v3 bitop3:0x14
	v_dual_ashrrev_i32 v18, 31, v18 :: v_dual_bitop2_b32 v16, s15, v16 bitop3:0x14
	v_bitop3_b32 v0, v0, v1, exec_lo bitop3:0x80
	v_not_b32_e32 v1, v21
	v_cmp_gt_i32_e64 s18, 0, v20
	v_dual_ashrrev_i32 v19, 31, v19 :: v_dual_bitop2_b32 v17, s16, v17 bitop3:0x14
	s_delay_alu instid0(VALU_DEP_4) | instskip(SKIP_2) | instid1(VALU_DEP_4)
	v_bitop3_b32 v0, v0, v16, v3 bitop3:0x80
	v_cmp_gt_i32_e32 vcc_lo, 0, v21
	v_dual_ashrrev_i32 v1, 31, v1 :: v_dual_bitop2_b32 v3, s17, v18 bitop3:0x14
	v_xor_b32_e32 v16, s18, v19
	v_mov_b64_e32 v[18:19], v[6:7]
	v_mov_b64_e32 v[20:21], v[4:5]
	s_delay_alu instid0(VALU_DEP_4) | instskip(SKIP_1) | instid1(VALU_DEP_1)
	v_xor_b32_e32 v1, vcc_lo, v1
	v_bitop3_b32 v0, v0, v3, v17 bitop3:0x80
	v_bitop3_b32 v0, v0, v1, v16 bitop3:0x80
	v_mov_b64_e32 v[16:17], v[8:9]
	v_lshlrev_b32_e32 v1, 5, v2
	s_delay_alu instid0(VALU_DEP_3) | instskip(SKIP_1) | instid1(VALU_DEP_3)
	v_mbcnt_lo_u32_b32 v8, v0, 0
	v_cmp_ne_u32_e64 s13, 0, v0
	v_add_nc_u32_e32 v9, v26, v1
	s_delay_alu instid0(VALU_DEP_3) | instskip(SKIP_1) | instid1(SALU_CYCLE_1)
	v_cmp_eq_u32_e32 vcc_lo, 0, v8
	s_and_b32 s14, s13, vcc_lo
	s_and_saveexec_b32 s13, s14
; %bb.7:                                ;   in Loop: Header=BB996_6 Depth=1
	v_bcnt_u32_b32 v0, v0, 0
	ds_store_b32 v9, v0 offset:32
; %bb.8:                                ;   in Loop: Header=BB996_6 Depth=1
	s_or_b32 exec_lo, exec_lo, s13
	v_lshrrev_b64 v[0:1], s20, v[20:21]
	s_not_b32 s17, s29
	; wave barrier
	s_delay_alu instid0(VALU_DEP_1) | instid1(SALU_CYCLE_1)
	v_and_b32_e32 v1, s17, v0
	v_bitop3_b32 v0, v0, 1, s17 bitop3:0x80
	s_delay_alu instid0(VALU_DEP_2) | instskip(NEXT) | instid1(VALU_DEP_2)
	v_lshlrev_b32_e32 v4, 30, v1
	v_add_co_u32 v0, s13, v0, -1
	s_delay_alu instid0(VALU_DEP_1) | instskip(NEXT) | instid1(VALU_DEP_1)
	v_cndmask_b32_e64 v3, 0, 1, s13
	v_cmp_ne_u32_e32 vcc_lo, 0, v3
	s_delay_alu instid0(VALU_DEP_4) | instskip(NEXT) | instid1(VALU_DEP_1)
	v_not_b32_e32 v3, v4
	v_dual_ashrrev_i32 v3, 31, v3 :: v_dual_lshlrev_b32 v2, 5, v1
	v_dual_lshlrev_b32 v5, 29, v1 :: v_dual_lshlrev_b32 v6, 28, v1
	v_cmp_gt_i32_e64 s13, 0, v4
	v_dual_lshlrev_b32 v7, 27, v1 :: v_dual_lshlrev_b32 v30, 26, v1
	s_delay_alu instid0(VALU_DEP_3) | instskip(SKIP_4) | instid1(VALU_DEP_4)
	v_cmp_gt_i32_e64 s14, 0, v5
	v_not_b32_e32 v4, v5
	v_not_b32_e32 v5, v6
	v_cmp_gt_i32_e64 s15, 0, v6
	v_xor_b32_e32 v0, vcc_lo, v0
	v_dual_ashrrev_i32 v4, 31, v4 :: v_dual_bitop2_b32 v3, s13, v3 bitop3:0x14
	s_delay_alu instid0(VALU_DEP_4)
	v_ashrrev_i32_e32 v5, 31, v5
	v_dual_lshlrev_b32 v31, 25, v1 :: v_dual_lshlrev_b32 v1, 24, v1
	v_cmp_gt_i32_e64 s16, 0, v7
	v_not_b32_e32 v6, v7
	v_not_b32_e32 v7, v30
	v_xor_b32_e32 v4, s14, v4
	v_xor_b32_e32 v5, s15, v5
	v_bitop3_b32 v0, v0, v3, exec_lo bitop3:0x80
	v_ashrrev_i32_e32 v3, 31, v6
	v_cmp_gt_i32_e32 vcc_lo, 0, v30
	v_ashrrev_i32_e32 v6, 31, v7
	v_not_b32_e32 v7, v31
	v_bitop3_b32 v0, v0, v5, v4 bitop3:0x80
	v_not_b32_e32 v4, v1
	v_xor_b32_e32 v3, s16, v3
	s_delay_alu instid0(VALU_DEP_4) | instskip(SKIP_3) | instid1(VALU_DEP_4)
	v_dual_ashrrev_i32 v6, 31, v7 :: v_dual_bitop2_b32 v5, vcc_lo, v6 bitop3:0x14
	v_cmp_gt_i32_e32 vcc_lo, 0, v31
	v_cmp_gt_i32_e64 s13, 0, v1
	v_dual_ashrrev_i32 v1, 31, v4 :: v_dual_add_nc_u32 v31, v26, v2
	v_bitop3_b32 v0, v0, v5, v3 bitop3:0x80
	v_xor_b32_e32 v2, vcc_lo, v6
	s_delay_alu instid0(VALU_DEP_3) | instskip(SKIP_2) | instid1(VALU_DEP_1)
	v_xor_b32_e32 v1, s13, v1
	ds_load_b32 v30, v31 offset:32
	; wave barrier
	v_bitop3_b32 v0, v0, v1, v2 bitop3:0x80
	v_mbcnt_lo_u32_b32 v32, v0, 0
	v_cmp_ne_u32_e64 s13, 0, v0
	s_delay_alu instid0(VALU_DEP_2) | instskip(SKIP_1) | instid1(SALU_CYCLE_1)
	v_cmp_eq_u32_e32 vcc_lo, 0, v32
	s_and_b32 s14, s13, vcc_lo
	s_and_saveexec_b32 s13, s14
	s_cbranch_execz .LBB996_10
; %bb.9:                                ;   in Loop: Header=BB996_6 Depth=1
	s_wait_dscnt 0x0
	v_bcnt_u32_b32 v0, v0, v30
	ds_store_b32 v31, v0 offset:32
.LBB996_10:                             ;   in Loop: Header=BB996_6 Depth=1
	s_or_b32 exec_lo, exec_lo, s13
	v_lshrrev_b64 v[0:1], s20, v[18:19]
	; wave barrier
	s_delay_alu instid0(VALU_DEP_1) | instskip(SKIP_1) | instid1(VALU_DEP_2)
	v_and_b32_e32 v1, s17, v0
	v_bitop3_b32 v0, v0, 1, s17 bitop3:0x80
	v_lshlrev_b32_e32 v4, 30, v1
	s_delay_alu instid0(VALU_DEP_2) | instskip(NEXT) | instid1(VALU_DEP_1)
	v_add_co_u32 v0, s13, v0, -1
	v_cndmask_b32_e64 v3, 0, 1, s13
	s_delay_alu instid0(VALU_DEP_1) | instskip(NEXT) | instid1(VALU_DEP_4)
	v_cmp_ne_u32_e32 vcc_lo, 0, v3
	v_not_b32_e32 v3, v4
	s_delay_alu instid0(VALU_DEP_1) | instskip(SKIP_3) | instid1(VALU_DEP_3)
	v_dual_ashrrev_i32 v3, 31, v3 :: v_dual_lshlrev_b32 v2, 5, v1
	v_dual_lshlrev_b32 v5, 29, v1 :: v_dual_lshlrev_b32 v6, 28, v1
	v_dual_lshlrev_b32 v7, 27, v1 :: v_dual_lshlrev_b32 v33, 26, v1
	v_cmp_gt_i32_e64 s13, 0, v4
	v_cmp_gt_i32_e64 s14, 0, v5
	v_not_b32_e32 v4, v5
	v_not_b32_e32 v5, v6
	v_cmp_gt_i32_e64 s15, 0, v6
	v_not_b32_e32 v6, v7
	v_xor_b32_e32 v0, vcc_lo, v0
	v_dual_ashrrev_i32 v4, 31, v4 :: v_dual_bitop2_b32 v3, s13, v3 bitop3:0x14
	v_ashrrev_i32_e32 v5, 31, v5
	v_dual_lshlrev_b32 v34, 25, v1 :: v_dual_lshlrev_b32 v1, 24, v1
	v_cmp_gt_i32_e64 s16, 0, v7
	v_not_b32_e32 v7, v33
	v_dual_ashrrev_i32 v6, 31, v6 :: v_dual_bitop2_b32 v4, s14, v4 bitop3:0x14
	v_xor_b32_e32 v5, s15, v5
	v_bitop3_b32 v0, v0, v3, exec_lo bitop3:0x80
	v_cmp_gt_i32_e32 vcc_lo, 0, v33
	v_ashrrev_i32_e32 v3, 31, v7
	v_not_b32_e32 v7, v34
	v_xor_b32_e32 v6, s16, v6
	v_bitop3_b32 v0, v0, v5, v4 bitop3:0x80
	v_not_b32_e32 v4, v1
	v_xor_b32_e32 v3, vcc_lo, v3
	v_cmp_gt_i32_e32 vcc_lo, 0, v34
	v_ashrrev_i32_e32 v5, 31, v7
	v_cmp_gt_i32_e64 s13, 0, v1
	v_dual_ashrrev_i32 v1, 31, v4 :: v_dual_add_nc_u32 v35, v26, v2
	v_bitop3_b32 v0, v0, v3, v6 bitop3:0x80
	s_delay_alu instid0(VALU_DEP_4) | instskip(NEXT) | instid1(VALU_DEP_3)
	v_xor_b32_e32 v2, vcc_lo, v5
	v_xor_b32_e32 v1, s13, v1
	ds_load_b32 v33, v35 offset:32
	; wave barrier
	v_bitop3_b32 v0, v0, v1, v2 bitop3:0x80
	s_delay_alu instid0(VALU_DEP_1) | instskip(SKIP_1) | instid1(VALU_DEP_2)
	v_mbcnt_lo_u32_b32 v34, v0, 0
	v_cmp_ne_u32_e64 s13, 0, v0
	v_cmp_eq_u32_e32 vcc_lo, 0, v34
	s_and_b32 s14, s13, vcc_lo
	s_delay_alu instid0(SALU_CYCLE_1)
	s_and_saveexec_b32 s13, s14
	s_cbranch_execz .LBB996_12
; %bb.11:                               ;   in Loop: Header=BB996_6 Depth=1
	s_wait_dscnt 0x0
	v_bcnt_u32_b32 v0, v0, v33
	ds_store_b32 v35, v0 offset:32
.LBB996_12:                             ;   in Loop: Header=BB996_6 Depth=1
	s_or_b32 exec_lo, exec_lo, s13
	v_lshrrev_b64 v[0:1], s20, v[16:17]
	; wave barrier
	s_delay_alu instid0(VALU_DEP_1) | instskip(SKIP_1) | instid1(VALU_DEP_2)
	v_and_b32_e32 v1, s17, v0
	v_bitop3_b32 v0, v0, 1, s17 bitop3:0x80
	v_lshlrev_b32_e32 v4, 30, v1
	s_delay_alu instid0(VALU_DEP_2) | instskip(NEXT) | instid1(VALU_DEP_1)
	v_add_co_u32 v0, s13, v0, -1
	v_cndmask_b32_e64 v3, 0, 1, s13
	s_delay_alu instid0(VALU_DEP_1) | instskip(NEXT) | instid1(VALU_DEP_4)
	v_cmp_ne_u32_e32 vcc_lo, 0, v3
	v_not_b32_e32 v3, v4
	s_delay_alu instid0(VALU_DEP_1) | instskip(SKIP_3) | instid1(VALU_DEP_3)
	v_dual_ashrrev_i32 v3, 31, v3 :: v_dual_lshlrev_b32 v2, 5, v1
	v_dual_lshlrev_b32 v5, 29, v1 :: v_dual_lshlrev_b32 v6, 28, v1
	v_dual_lshlrev_b32 v7, 27, v1 :: v_dual_lshlrev_b32 v36, 26, v1
	v_cmp_gt_i32_e64 s13, 0, v4
	v_cmp_gt_i32_e64 s14, 0, v5
	v_not_b32_e32 v4, v5
	v_not_b32_e32 v5, v6
	v_cmp_gt_i32_e64 s15, 0, v6
	v_not_b32_e32 v6, v7
	v_xor_b32_e32 v0, vcc_lo, v0
	v_dual_ashrrev_i32 v4, 31, v4 :: v_dual_bitop2_b32 v3, s13, v3 bitop3:0x14
	v_ashrrev_i32_e32 v5, 31, v5
	v_dual_lshlrev_b32 v37, 25, v1 :: v_dual_lshlrev_b32 v1, 24, v1
	v_cmp_gt_i32_e64 s16, 0, v7
	v_not_b32_e32 v7, v36
	v_dual_ashrrev_i32 v6, 31, v6 :: v_dual_bitop2_b32 v4, s14, v4 bitop3:0x14
	v_xor_b32_e32 v5, s15, v5
	v_bitop3_b32 v0, v0, v3, exec_lo bitop3:0x80
	v_cmp_gt_i32_e32 vcc_lo, 0, v36
	v_ashrrev_i32_e32 v3, 31, v7
	v_not_b32_e32 v7, v37
	v_xor_b32_e32 v6, s16, v6
	v_bitop3_b32 v0, v0, v5, v4 bitop3:0x80
	v_not_b32_e32 v4, v1
	v_xor_b32_e32 v3, vcc_lo, v3
	v_cmp_gt_i32_e32 vcc_lo, 0, v37
	v_ashrrev_i32_e32 v5, 31, v7
	v_cmp_gt_i32_e64 s13, 0, v1
	v_dual_ashrrev_i32 v1, 31, v4 :: v_dual_add_nc_u32 v38, v26, v2
	v_bitop3_b32 v0, v0, v3, v6 bitop3:0x80
	s_delay_alu instid0(VALU_DEP_4) | instskip(NEXT) | instid1(VALU_DEP_3)
	v_xor_b32_e32 v2, vcc_lo, v5
	v_xor_b32_e32 v1, s13, v1
	ds_load_b32 v36, v38 offset:32
	; wave barrier
	v_bitop3_b32 v0, v0, v1, v2 bitop3:0x80
	s_delay_alu instid0(VALU_DEP_1) | instskip(SKIP_1) | instid1(VALU_DEP_2)
	v_mbcnt_lo_u32_b32 v37, v0, 0
	v_cmp_ne_u32_e64 s13, 0, v0
	v_cmp_eq_u32_e32 vcc_lo, 0, v37
	s_and_b32 s14, s13, vcc_lo
	s_delay_alu instid0(SALU_CYCLE_1)
	s_and_saveexec_b32 s13, s14
	s_cbranch_execz .LBB996_14
; %bb.13:                               ;   in Loop: Header=BB996_6 Depth=1
	s_wait_dscnt 0x0
	v_bcnt_u32_b32 v0, v0, v36
	ds_store_b32 v38, v0 offset:32
.LBB996_14:                             ;   in Loop: Header=BB996_6 Depth=1
	s_or_b32 exec_lo, exec_lo, s13
	; wave barrier
	s_wait_dscnt 0x0
	s_barrier_signal -1
	s_barrier_wait -1
	ds_load_2addr_b64 v[4:7], v23 offset0:4 offset1:5
	ds_load_2addr_b64 v[0:3], v23 offset0:6 offset1:7
	s_wait_dscnt 0x1
	v_add_nc_u32_e32 v39, v5, v4
	s_delay_alu instid0(VALU_DEP_1) | instskip(SKIP_1) | instid1(VALU_DEP_1)
	v_add3_u32 v39, v39, v6, v7
	s_wait_dscnt 0x0
	v_add3_u32 v39, v39, v0, v1
	s_delay_alu instid0(VALU_DEP_1) | instskip(NEXT) | instid1(VALU_DEP_1)
	v_add3_u32 v3, v39, v2, v3
	v_mov_b32_dpp v39, v3 row_shr:1 row_mask:0xf bank_mask:0xf
	s_delay_alu instid0(VALU_DEP_1) | instskip(NEXT) | instid1(VALU_DEP_1)
	v_cndmask_b32_e64 v39, v39, 0, s4
	v_add_nc_u32_e32 v3, v39, v3
	s_delay_alu instid0(VALU_DEP_1) | instskip(NEXT) | instid1(VALU_DEP_1)
	v_mov_b32_dpp v39, v3 row_shr:2 row_mask:0xf bank_mask:0xf
	v_cndmask_b32_e64 v39, 0, v39, s5
	s_delay_alu instid0(VALU_DEP_1) | instskip(NEXT) | instid1(VALU_DEP_1)
	v_add_nc_u32_e32 v3, v3, v39
	v_mov_b32_dpp v39, v3 row_shr:4 row_mask:0xf bank_mask:0xf
	s_delay_alu instid0(VALU_DEP_1) | instskip(NEXT) | instid1(VALU_DEP_1)
	v_cndmask_b32_e64 v39, 0, v39, s6
	v_add_nc_u32_e32 v3, v3, v39
	s_delay_alu instid0(VALU_DEP_1) | instskip(NEXT) | instid1(VALU_DEP_1)
	v_mov_b32_dpp v39, v3 row_shr:8 row_mask:0xf bank_mask:0xf
	v_cndmask_b32_e64 v39, 0, v39, s7
	s_delay_alu instid0(VALU_DEP_1) | instskip(SKIP_3) | instid1(VALU_DEP_1)
	v_add_nc_u32_e32 v3, v3, v39
	ds_swizzle_b32 v39, v3 offset:swizzle(BROADCAST,32,15)
	s_wait_dscnt 0x0
	v_cndmask_b32_e64 v39, v39, 0, s8
	v_add_nc_u32_e32 v3, v3, v39
	s_and_saveexec_b32 s13, s9
; %bb.15:                               ;   in Loop: Header=BB996_6 Depth=1
	ds_store_b32 v24, v3
; %bb.16:                               ;   in Loop: Header=BB996_6 Depth=1
	s_or_b32 exec_lo, exec_lo, s13
	s_wait_dscnt 0x0
	s_barrier_signal -1
	s_barrier_wait -1
	s_and_saveexec_b32 s13, s0
	s_cbranch_execz .LBB996_18
; %bb.17:                               ;   in Loop: Header=BB996_6 Depth=1
	ds_load_b32 v39, v29
	s_wait_dscnt 0x0
	v_mov_b32_dpp v40, v39 row_shr:1 row_mask:0xf bank_mask:0xf
	s_delay_alu instid0(VALU_DEP_1) | instskip(NEXT) | instid1(VALU_DEP_1)
	v_cndmask_b32_e64 v40, v40, 0, s10
	v_add_nc_u32_e32 v39, v40, v39
	s_delay_alu instid0(VALU_DEP_1) | instskip(NEXT) | instid1(VALU_DEP_1)
	v_mov_b32_dpp v40, v39 row_shr:2 row_mask:0xf bank_mask:0xf
	v_cndmask_b32_e64 v40, 0, v40, s11
	s_delay_alu instid0(VALU_DEP_1) | instskip(NEXT) | instid1(VALU_DEP_1)
	v_add_nc_u32_e32 v39, v39, v40
	v_mov_b32_dpp v40, v39 row_shr:4 row_mask:0xf bank_mask:0xf
	s_delay_alu instid0(VALU_DEP_1) | instskip(NEXT) | instid1(VALU_DEP_1)
	v_cndmask_b32_e64 v40, 0, v40, s12
	v_add_nc_u32_e32 v39, v39, v40
	ds_store_b32 v29, v39
.LBB996_18:                             ;   in Loop: Header=BB996_6 Depth=1
	s_or_b32 exec_lo, exec_lo, s13
	v_mov_b32_e32 v39, 0
	s_wait_dscnt 0x0
	s_barrier_signal -1
	s_barrier_wait -1
	s_and_saveexec_b32 s13, s1
; %bb.19:                               ;   in Loop: Header=BB996_6 Depth=1
	ds_load_b32 v39, v27
; %bb.20:                               ;   in Loop: Header=BB996_6 Depth=1
	s_or_b32 exec_lo, exec_lo, s13
	s_wait_dscnt 0x0
	v_add_nc_u32_e32 v3, v39, v3
	s_add_co_i32 s20, s20, 8
	s_mov_b32 s13, -1
	s_cmp_ge_u32 s20, s28
	ds_bpermute_b32 v3, v25, v3
	s_wait_dscnt 0x0
	v_cndmask_b32_e64 v3, v3, v39, s2
	s_delay_alu instid0(VALU_DEP_1) | instskip(NEXT) | instid1(VALU_DEP_1)
	v_cndmask_b32_e64 v40, v3, 0, s3
	v_add_nc_u32_e32 v41, v40, v4
	s_delay_alu instid0(VALU_DEP_1) | instskip(NEXT) | instid1(VALU_DEP_1)
	v_add_nc_u32_e32 v4, v41, v5
	v_add_nc_u32_e32 v5, v4, v6
	s_delay_alu instid0(VALU_DEP_1) | instskip(NEXT) | instid1(VALU_DEP_1)
	v_add_nc_u32_e32 v6, v5, v7
	;; [unrolled: 3-line block ×3, first 2 shown]
	v_add_nc_u32_e32 v1, v0, v2
	ds_store_2addr_b64 v23, v[40:41], v[4:5] offset0:4 offset1:5
	ds_store_2addr_b64 v23, v[6:7], v[0:1] offset0:6 offset1:7
	s_wait_dscnt 0x0
	s_barrier_signal -1
	s_barrier_wait -1
	ds_load_b32 v0, v31 offset:32
	ds_load_b32 v1, v35 offset:32
	;; [unrolled: 1-line block ×4, first 2 shown]
	v_lshlrev_b32_e32 v4, 3, v8
	v_dual_lshlrev_b32 v5, 3, v32 :: v_dual_lshlrev_b32 v6, 3, v30
	v_dual_lshlrev_b32 v7, 3, v34 :: v_dual_lshlrev_b32 v8, 3, v33
	;; [unrolled: 1-line block ×3, first 2 shown]
	s_wait_dscnt 0x0
	v_dual_lshlrev_b32 v30, 3, v0 :: v_dual_lshlrev_b32 v32, 3, v1
	v_lshlrev_b32_e32 v2, 3, v2
	v_lshl_add_u32 v0, v3, 3, v4
	s_delay_alu instid0(VALU_DEP_3) | instskip(NEXT) | instid1(VALU_DEP_4)
	v_add3_u32 v1, v5, v6, v30
	v_add3_u32 v30, v7, v8, v32
	s_delay_alu instid0(VALU_DEP_4)
	v_add3_u32 v31, v9, v31, v2
                                        ; implicit-def: $vgpr8_vgpr9
                                        ; implicit-def: $vgpr4_vgpr5
	s_cbranch_scc1 .LBB996_5
; %bb.21:                               ;   in Loop: Header=BB996_6 Depth=1
	s_barrier_signal -1
	s_barrier_wait -1
	ds_store_b64 v0, v[14:15]
	ds_store_b64 v1, v[20:21]
	ds_store_b64 v30, v[18:19]
	ds_store_b64 v31, v[16:17]
	s_wait_dscnt 0x0
	s_barrier_signal -1
	s_barrier_wait -1
	ds_load_2addr_b64 v[2:5], v28 offset1:32
	ds_load_2addr_b64 v[6:9], v28 offset0:64 offset1:96
	s_add_co_i32 s21, s21, -8
	s_mov_b32 s13, 0
	s_wait_dscnt 0x0
	s_barrier_signal -1
	s_barrier_wait -1
	s_branch .LBB996_5
.LBB996_22:
	v_dual_mov_b32 v5, 0 :: v_dual_lshlrev_b32 v4, 3, v22
	s_barrier_signal -1
	s_barrier_wait -1
	ds_store_b64 v0, v[14:15]
	ds_store_b64 v1, v[20:21]
	;; [unrolled: 1-line block ×4, first 2 shown]
	s_wait_dscnt 0x0
	s_barrier_signal -1
	s_barrier_wait -1
	ds_load_2addr_stride64_b64 v[8:11], v4 offset1:4
	ds_load_2addr_stride64_b64 v[0:3], v4 offset0:8 offset1:12
	s_add_nc_u64 s[0:1], s[22:23], s[24:25]
	s_and_not1_b32 vcc_lo, exec_lo, s26
	v_add_nc_u64_e32 v[4:5], s[0:1], v[4:5]
	s_wait_dscnt 0x1
	v_xor_b32_e32 v9, 0x7fffffff, v9
	v_xor_b32_e32 v8, -1, v8
	v_xor_b32_e32 v7, 0x7fffffff, v11
	v_xor_b32_e32 v6, -1, v10
	s_wait_dscnt 0x0
	v_xor_b32_e32 v1, 0x7fffffff, v1
	v_xor_b32_e32 v0, -1, v0
	s_cbranch_vccnz .LBB996_32
; %bb.23:
	s_mov_b32 s0, -1
	s_clause 0x2
	global_store_b64 v[4:5], v[8:9], off
	global_store_b64 v[4:5], v[6:7], off offset:2048
	global_store_b64 v[4:5], v[0:1], off offset:4096
	s_cbranch_execz .LBB996_33
	s_branch .LBB996_40
.LBB996_24:
	s_clause 0x2
	global_load_b64 v[2:3], v[12:13], off
	global_load_b64 v[4:5], v[12:13], off offset:256
	global_load_b64 v[6:7], v[12:13], off offset:512
	s_mov_b32 s3, -1
	s_load_b64 s[20:21], s[0:1], 0x28
	s_sub_co_i32 s19, s4, s2
	s_cbranch_execnz .LBB996_2
.LBB996_25:
	s_wait_loadcnt 0x2
	v_dual_mov_b32 v2, 0 :: v_dual_bitop2_b32 v11, v1, v14 bitop3:0x54
	v_bfrev_b32_e32 v3, 1
	s_mov_b32 s2, exec_lo
	s_wait_loadcnt 0x1
	s_delay_alu instid0(VALU_DEP_1)
	v_dual_mov_b32 v4, v2 :: v_dual_mov_b32 v5, v3
	s_wait_loadcnt 0x0
	v_dual_mov_b32 v6, v2 :: v_dual_mov_b32 v7, v3
	v_dual_mov_b32 v8, v2 :: v_dual_mov_b32 v9, v3
	v_cmpx_gt_u32_e64 s19, v11
	s_cbranch_execz .LBB996_27
; %bb.26:
	global_load_b64 v[14:15], v[12:13], off
	v_dual_mov_b32 v16, v2 :: v_dual_mov_b32 v17, v3
	v_dual_mov_b32 v18, v2 :: v_dual_mov_b32 v19, v3
	;; [unrolled: 1-line block ×3, first 2 shown]
	s_wait_loadcnt 0x0
	v_mov_b64_e32 v[2:3], v[14:15]
	v_mov_b64_e32 v[4:5], v[16:17]
	;; [unrolled: 1-line block ×4, first 2 shown]
.LBB996_27:
	s_or_b32 exec_lo, exec_lo, s2
	v_or_b32_e32 v14, 32, v11
	s_mov_b32 s2, exec_lo
	s_delay_alu instid0(VALU_DEP_1)
	v_cmpx_gt_u32_e64 s19, v14
	s_cbranch_execz .LBB996_29
; %bb.28:
	global_load_b64 v[4:5], v[12:13], off offset:256
.LBB996_29:
	s_wait_xcnt 0x0
	s_or_b32 exec_lo, exec_lo, s2
	v_or_b32_e32 v14, 64, v11
	s_mov_b32 s2, exec_lo
	s_delay_alu instid0(VALU_DEP_1)
	v_cmpx_gt_u32_e64 s19, v14
	s_cbranch_execz .LBB996_31
; %bb.30:
	global_load_b64 v[6:7], v[12:13], off offset:512
.LBB996_31:
	s_wait_xcnt 0x0
	s_or_b32 exec_lo, exec_lo, s2
	v_or_b32_e32 v11, 0x60, v11
	s_delay_alu instid0(VALU_DEP_1)
	v_cmp_gt_u32_e64 s3, s19, v11
	s_and_saveexec_b32 s2, s3
	s_cbranch_execnz .LBB996_3
	s_branch .LBB996_4
.LBB996_32:
	s_mov_b32 s0, 0
.LBB996_33:
	s_mov_b32 s0, exec_lo
	s_wait_xcnt 0x0
	v_cmpx_gt_u32_e64 s19, v22
	s_cbranch_execz .LBB996_35
; %bb.34:
	global_store_b64 v[4:5], v[8:9], off
.LBB996_35:
	s_wait_xcnt 0x0
	s_or_b32 exec_lo, exec_lo, s0
	v_add_nc_u32_e32 v8, 0x100, v22
	s_mov_b32 s0, exec_lo
	s_delay_alu instid0(VALU_DEP_1)
	v_cmpx_gt_u32_e64 s19, v8
	s_cbranch_execz .LBB996_37
; %bb.36:
	global_store_b64 v[4:5], v[6:7], off offset:2048
.LBB996_37:
	s_wait_xcnt 0x0
	s_or_b32 exec_lo, exec_lo, s0
	v_add_nc_u32_e32 v6, 0x200, v22
	s_mov_b32 s0, exec_lo
	s_delay_alu instid0(VALU_DEP_1)
	v_cmpx_gt_u32_e64 s19, v6
	s_cbranch_execz .LBB996_39
; %bb.38:
	global_store_b64 v[4:5], v[0:1], off offset:4096
.LBB996_39:
	s_wait_xcnt 0x0
	s_or_b32 exec_lo, exec_lo, s0
	v_add_nc_u32_e32 v0, 0x300, v22
	s_delay_alu instid0(VALU_DEP_1)
	v_cmp_gt_u32_e64 s0, s19, v0
.LBB996_40:
	s_wait_xcnt 0x0
	s_delay_alu instid0(VALU_DEP_1)
	s_and_saveexec_b32 s1, s0
	s_cbranch_execnz .LBB996_42
; %bb.41:
	s_endpgm
.LBB996_42:
	v_xor_b32_e32 v1, 0x7fffffff, v3
	v_not_b32_e32 v0, v2
	global_store_b64 v[4:5], v[0:1], off offset:6144
	s_endpgm
	.section	.rodata,"a",@progbits
	.p2align	6, 0x0
	.amdhsa_kernel _ZN7rocprim17ROCPRIM_400000_NS6detail17trampoline_kernelINS0_13kernel_configILj256ELj4ELj4294967295EEENS1_37radix_sort_block_sort_config_selectorIlNS0_10empty_typeEEEZNS1_21radix_sort_block_sortIS4_Lb1EPKlPlPS6_SC_NS0_19identity_decomposerEEE10hipError_tT1_T2_T3_T4_jRjT5_jjP12ihipStream_tbEUlT_E_NS1_11comp_targetILNS1_3genE0ELNS1_11target_archE4294967295ELNS1_3gpuE0ELNS1_3repE0EEENS1_44radix_sort_block_sort_config_static_selectorELNS0_4arch9wavefront6targetE0EEEvSF_
		.amdhsa_group_segment_fixed_size 8224
		.amdhsa_private_segment_fixed_size 0
		.amdhsa_kernarg_size 304
		.amdhsa_user_sgpr_count 2
		.amdhsa_user_sgpr_dispatch_ptr 0
		.amdhsa_user_sgpr_queue_ptr 0
		.amdhsa_user_sgpr_kernarg_segment_ptr 1
		.amdhsa_user_sgpr_dispatch_id 0
		.amdhsa_user_sgpr_kernarg_preload_length 0
		.amdhsa_user_sgpr_kernarg_preload_offset 0
		.amdhsa_user_sgpr_private_segment_size 0
		.amdhsa_wavefront_size32 1
		.amdhsa_uses_dynamic_stack 0
		.amdhsa_enable_private_segment 0
		.amdhsa_system_sgpr_workgroup_id_x 1
		.amdhsa_system_sgpr_workgroup_id_y 0
		.amdhsa_system_sgpr_workgroup_id_z 0
		.amdhsa_system_sgpr_workgroup_info 0
		.amdhsa_system_vgpr_workitem_id 2
		.amdhsa_next_free_vgpr 42
		.amdhsa_next_free_sgpr 30
		.amdhsa_named_barrier_count 0
		.amdhsa_reserve_vcc 1
		.amdhsa_float_round_mode_32 0
		.amdhsa_float_round_mode_16_64 0
		.amdhsa_float_denorm_mode_32 3
		.amdhsa_float_denorm_mode_16_64 3
		.amdhsa_fp16_overflow 0
		.amdhsa_memory_ordered 1
		.amdhsa_forward_progress 1
		.amdhsa_inst_pref_size 28
		.amdhsa_round_robin_scheduling 0
		.amdhsa_exception_fp_ieee_invalid_op 0
		.amdhsa_exception_fp_denorm_src 0
		.amdhsa_exception_fp_ieee_div_zero 0
		.amdhsa_exception_fp_ieee_overflow 0
		.amdhsa_exception_fp_ieee_underflow 0
		.amdhsa_exception_fp_ieee_inexact 0
		.amdhsa_exception_int_div_zero 0
	.end_amdhsa_kernel
	.section	.text._ZN7rocprim17ROCPRIM_400000_NS6detail17trampoline_kernelINS0_13kernel_configILj256ELj4ELj4294967295EEENS1_37radix_sort_block_sort_config_selectorIlNS0_10empty_typeEEEZNS1_21radix_sort_block_sortIS4_Lb1EPKlPlPS6_SC_NS0_19identity_decomposerEEE10hipError_tT1_T2_T3_T4_jRjT5_jjP12ihipStream_tbEUlT_E_NS1_11comp_targetILNS1_3genE0ELNS1_11target_archE4294967295ELNS1_3gpuE0ELNS1_3repE0EEENS1_44radix_sort_block_sort_config_static_selectorELNS0_4arch9wavefront6targetE0EEEvSF_,"axG",@progbits,_ZN7rocprim17ROCPRIM_400000_NS6detail17trampoline_kernelINS0_13kernel_configILj256ELj4ELj4294967295EEENS1_37radix_sort_block_sort_config_selectorIlNS0_10empty_typeEEEZNS1_21radix_sort_block_sortIS4_Lb1EPKlPlPS6_SC_NS0_19identity_decomposerEEE10hipError_tT1_T2_T3_T4_jRjT5_jjP12ihipStream_tbEUlT_E_NS1_11comp_targetILNS1_3genE0ELNS1_11target_archE4294967295ELNS1_3gpuE0ELNS1_3repE0EEENS1_44radix_sort_block_sort_config_static_selectorELNS0_4arch9wavefront6targetE0EEEvSF_,comdat
.Lfunc_end996:
	.size	_ZN7rocprim17ROCPRIM_400000_NS6detail17trampoline_kernelINS0_13kernel_configILj256ELj4ELj4294967295EEENS1_37radix_sort_block_sort_config_selectorIlNS0_10empty_typeEEEZNS1_21radix_sort_block_sortIS4_Lb1EPKlPlPS6_SC_NS0_19identity_decomposerEEE10hipError_tT1_T2_T3_T4_jRjT5_jjP12ihipStream_tbEUlT_E_NS1_11comp_targetILNS1_3genE0ELNS1_11target_archE4294967295ELNS1_3gpuE0ELNS1_3repE0EEENS1_44radix_sort_block_sort_config_static_selectorELNS0_4arch9wavefront6targetE0EEEvSF_, .Lfunc_end996-_ZN7rocprim17ROCPRIM_400000_NS6detail17trampoline_kernelINS0_13kernel_configILj256ELj4ELj4294967295EEENS1_37radix_sort_block_sort_config_selectorIlNS0_10empty_typeEEEZNS1_21radix_sort_block_sortIS4_Lb1EPKlPlPS6_SC_NS0_19identity_decomposerEEE10hipError_tT1_T2_T3_T4_jRjT5_jjP12ihipStream_tbEUlT_E_NS1_11comp_targetILNS1_3genE0ELNS1_11target_archE4294967295ELNS1_3gpuE0ELNS1_3repE0EEENS1_44radix_sort_block_sort_config_static_selectorELNS0_4arch9wavefront6targetE0EEEvSF_
                                        ; -- End function
	.set _ZN7rocprim17ROCPRIM_400000_NS6detail17trampoline_kernelINS0_13kernel_configILj256ELj4ELj4294967295EEENS1_37radix_sort_block_sort_config_selectorIlNS0_10empty_typeEEEZNS1_21radix_sort_block_sortIS4_Lb1EPKlPlPS6_SC_NS0_19identity_decomposerEEE10hipError_tT1_T2_T3_T4_jRjT5_jjP12ihipStream_tbEUlT_E_NS1_11comp_targetILNS1_3genE0ELNS1_11target_archE4294967295ELNS1_3gpuE0ELNS1_3repE0EEENS1_44radix_sort_block_sort_config_static_selectorELNS0_4arch9wavefront6targetE0EEEvSF_.num_vgpr, 42
	.set _ZN7rocprim17ROCPRIM_400000_NS6detail17trampoline_kernelINS0_13kernel_configILj256ELj4ELj4294967295EEENS1_37radix_sort_block_sort_config_selectorIlNS0_10empty_typeEEEZNS1_21radix_sort_block_sortIS4_Lb1EPKlPlPS6_SC_NS0_19identity_decomposerEEE10hipError_tT1_T2_T3_T4_jRjT5_jjP12ihipStream_tbEUlT_E_NS1_11comp_targetILNS1_3genE0ELNS1_11target_archE4294967295ELNS1_3gpuE0ELNS1_3repE0EEENS1_44radix_sort_block_sort_config_static_selectorELNS0_4arch9wavefront6targetE0EEEvSF_.num_agpr, 0
	.set _ZN7rocprim17ROCPRIM_400000_NS6detail17trampoline_kernelINS0_13kernel_configILj256ELj4ELj4294967295EEENS1_37radix_sort_block_sort_config_selectorIlNS0_10empty_typeEEEZNS1_21radix_sort_block_sortIS4_Lb1EPKlPlPS6_SC_NS0_19identity_decomposerEEE10hipError_tT1_T2_T3_T4_jRjT5_jjP12ihipStream_tbEUlT_E_NS1_11comp_targetILNS1_3genE0ELNS1_11target_archE4294967295ELNS1_3gpuE0ELNS1_3repE0EEENS1_44radix_sort_block_sort_config_static_selectorELNS0_4arch9wavefront6targetE0EEEvSF_.numbered_sgpr, 30
	.set _ZN7rocprim17ROCPRIM_400000_NS6detail17trampoline_kernelINS0_13kernel_configILj256ELj4ELj4294967295EEENS1_37radix_sort_block_sort_config_selectorIlNS0_10empty_typeEEEZNS1_21radix_sort_block_sortIS4_Lb1EPKlPlPS6_SC_NS0_19identity_decomposerEEE10hipError_tT1_T2_T3_T4_jRjT5_jjP12ihipStream_tbEUlT_E_NS1_11comp_targetILNS1_3genE0ELNS1_11target_archE4294967295ELNS1_3gpuE0ELNS1_3repE0EEENS1_44radix_sort_block_sort_config_static_selectorELNS0_4arch9wavefront6targetE0EEEvSF_.num_named_barrier, 0
	.set _ZN7rocprim17ROCPRIM_400000_NS6detail17trampoline_kernelINS0_13kernel_configILj256ELj4ELj4294967295EEENS1_37radix_sort_block_sort_config_selectorIlNS0_10empty_typeEEEZNS1_21radix_sort_block_sortIS4_Lb1EPKlPlPS6_SC_NS0_19identity_decomposerEEE10hipError_tT1_T2_T3_T4_jRjT5_jjP12ihipStream_tbEUlT_E_NS1_11comp_targetILNS1_3genE0ELNS1_11target_archE4294967295ELNS1_3gpuE0ELNS1_3repE0EEENS1_44radix_sort_block_sort_config_static_selectorELNS0_4arch9wavefront6targetE0EEEvSF_.private_seg_size, 0
	.set _ZN7rocprim17ROCPRIM_400000_NS6detail17trampoline_kernelINS0_13kernel_configILj256ELj4ELj4294967295EEENS1_37radix_sort_block_sort_config_selectorIlNS0_10empty_typeEEEZNS1_21radix_sort_block_sortIS4_Lb1EPKlPlPS6_SC_NS0_19identity_decomposerEEE10hipError_tT1_T2_T3_T4_jRjT5_jjP12ihipStream_tbEUlT_E_NS1_11comp_targetILNS1_3genE0ELNS1_11target_archE4294967295ELNS1_3gpuE0ELNS1_3repE0EEENS1_44radix_sort_block_sort_config_static_selectorELNS0_4arch9wavefront6targetE0EEEvSF_.uses_vcc, 1
	.set _ZN7rocprim17ROCPRIM_400000_NS6detail17trampoline_kernelINS0_13kernel_configILj256ELj4ELj4294967295EEENS1_37radix_sort_block_sort_config_selectorIlNS0_10empty_typeEEEZNS1_21radix_sort_block_sortIS4_Lb1EPKlPlPS6_SC_NS0_19identity_decomposerEEE10hipError_tT1_T2_T3_T4_jRjT5_jjP12ihipStream_tbEUlT_E_NS1_11comp_targetILNS1_3genE0ELNS1_11target_archE4294967295ELNS1_3gpuE0ELNS1_3repE0EEENS1_44radix_sort_block_sort_config_static_selectorELNS0_4arch9wavefront6targetE0EEEvSF_.uses_flat_scratch, 0
	.set _ZN7rocprim17ROCPRIM_400000_NS6detail17trampoline_kernelINS0_13kernel_configILj256ELj4ELj4294967295EEENS1_37radix_sort_block_sort_config_selectorIlNS0_10empty_typeEEEZNS1_21radix_sort_block_sortIS4_Lb1EPKlPlPS6_SC_NS0_19identity_decomposerEEE10hipError_tT1_T2_T3_T4_jRjT5_jjP12ihipStream_tbEUlT_E_NS1_11comp_targetILNS1_3genE0ELNS1_11target_archE4294967295ELNS1_3gpuE0ELNS1_3repE0EEENS1_44radix_sort_block_sort_config_static_selectorELNS0_4arch9wavefront6targetE0EEEvSF_.has_dyn_sized_stack, 0
	.set _ZN7rocprim17ROCPRIM_400000_NS6detail17trampoline_kernelINS0_13kernel_configILj256ELj4ELj4294967295EEENS1_37radix_sort_block_sort_config_selectorIlNS0_10empty_typeEEEZNS1_21radix_sort_block_sortIS4_Lb1EPKlPlPS6_SC_NS0_19identity_decomposerEEE10hipError_tT1_T2_T3_T4_jRjT5_jjP12ihipStream_tbEUlT_E_NS1_11comp_targetILNS1_3genE0ELNS1_11target_archE4294967295ELNS1_3gpuE0ELNS1_3repE0EEENS1_44radix_sort_block_sort_config_static_selectorELNS0_4arch9wavefront6targetE0EEEvSF_.has_recursion, 0
	.set _ZN7rocprim17ROCPRIM_400000_NS6detail17trampoline_kernelINS0_13kernel_configILj256ELj4ELj4294967295EEENS1_37radix_sort_block_sort_config_selectorIlNS0_10empty_typeEEEZNS1_21radix_sort_block_sortIS4_Lb1EPKlPlPS6_SC_NS0_19identity_decomposerEEE10hipError_tT1_T2_T3_T4_jRjT5_jjP12ihipStream_tbEUlT_E_NS1_11comp_targetILNS1_3genE0ELNS1_11target_archE4294967295ELNS1_3gpuE0ELNS1_3repE0EEENS1_44radix_sort_block_sort_config_static_selectorELNS0_4arch9wavefront6targetE0EEEvSF_.has_indirect_call, 0
	.section	.AMDGPU.csdata,"",@progbits
; Kernel info:
; codeLenInByte = 3544
; TotalNumSgprs: 32
; NumVgprs: 42
; ScratchSize: 0
; MemoryBound: 1
; FloatMode: 240
; IeeeMode: 1
; LDSByteSize: 8224 bytes/workgroup (compile time only)
; SGPRBlocks: 0
; VGPRBlocks: 2
; NumSGPRsForWavesPerEU: 32
; NumVGPRsForWavesPerEU: 42
; NamedBarCnt: 0
; Occupancy: 16
; WaveLimiterHint : 1
; COMPUTE_PGM_RSRC2:SCRATCH_EN: 0
; COMPUTE_PGM_RSRC2:USER_SGPR: 2
; COMPUTE_PGM_RSRC2:TRAP_HANDLER: 0
; COMPUTE_PGM_RSRC2:TGID_X_EN: 1
; COMPUTE_PGM_RSRC2:TGID_Y_EN: 0
; COMPUTE_PGM_RSRC2:TGID_Z_EN: 0
; COMPUTE_PGM_RSRC2:TIDIG_COMP_CNT: 2
	.section	.text._ZN7rocprim17ROCPRIM_400000_NS6detail17trampoline_kernelINS0_13kernel_configILj256ELj4ELj4294967295EEENS1_37radix_sort_block_sort_config_selectorIlNS0_10empty_typeEEEZNS1_21radix_sort_block_sortIS4_Lb1EPKlPlPS6_SC_NS0_19identity_decomposerEEE10hipError_tT1_T2_T3_T4_jRjT5_jjP12ihipStream_tbEUlT_E_NS1_11comp_targetILNS1_3genE5ELNS1_11target_archE942ELNS1_3gpuE9ELNS1_3repE0EEENS1_44radix_sort_block_sort_config_static_selectorELNS0_4arch9wavefront6targetE0EEEvSF_,"axG",@progbits,_ZN7rocprim17ROCPRIM_400000_NS6detail17trampoline_kernelINS0_13kernel_configILj256ELj4ELj4294967295EEENS1_37radix_sort_block_sort_config_selectorIlNS0_10empty_typeEEEZNS1_21radix_sort_block_sortIS4_Lb1EPKlPlPS6_SC_NS0_19identity_decomposerEEE10hipError_tT1_T2_T3_T4_jRjT5_jjP12ihipStream_tbEUlT_E_NS1_11comp_targetILNS1_3genE5ELNS1_11target_archE942ELNS1_3gpuE9ELNS1_3repE0EEENS1_44radix_sort_block_sort_config_static_selectorELNS0_4arch9wavefront6targetE0EEEvSF_,comdat
	.protected	_ZN7rocprim17ROCPRIM_400000_NS6detail17trampoline_kernelINS0_13kernel_configILj256ELj4ELj4294967295EEENS1_37radix_sort_block_sort_config_selectorIlNS0_10empty_typeEEEZNS1_21radix_sort_block_sortIS4_Lb1EPKlPlPS6_SC_NS0_19identity_decomposerEEE10hipError_tT1_T2_T3_T4_jRjT5_jjP12ihipStream_tbEUlT_E_NS1_11comp_targetILNS1_3genE5ELNS1_11target_archE942ELNS1_3gpuE9ELNS1_3repE0EEENS1_44radix_sort_block_sort_config_static_selectorELNS0_4arch9wavefront6targetE0EEEvSF_ ; -- Begin function _ZN7rocprim17ROCPRIM_400000_NS6detail17trampoline_kernelINS0_13kernel_configILj256ELj4ELj4294967295EEENS1_37radix_sort_block_sort_config_selectorIlNS0_10empty_typeEEEZNS1_21radix_sort_block_sortIS4_Lb1EPKlPlPS6_SC_NS0_19identity_decomposerEEE10hipError_tT1_T2_T3_T4_jRjT5_jjP12ihipStream_tbEUlT_E_NS1_11comp_targetILNS1_3genE5ELNS1_11target_archE942ELNS1_3gpuE9ELNS1_3repE0EEENS1_44radix_sort_block_sort_config_static_selectorELNS0_4arch9wavefront6targetE0EEEvSF_
	.globl	_ZN7rocprim17ROCPRIM_400000_NS6detail17trampoline_kernelINS0_13kernel_configILj256ELj4ELj4294967295EEENS1_37radix_sort_block_sort_config_selectorIlNS0_10empty_typeEEEZNS1_21radix_sort_block_sortIS4_Lb1EPKlPlPS6_SC_NS0_19identity_decomposerEEE10hipError_tT1_T2_T3_T4_jRjT5_jjP12ihipStream_tbEUlT_E_NS1_11comp_targetILNS1_3genE5ELNS1_11target_archE942ELNS1_3gpuE9ELNS1_3repE0EEENS1_44radix_sort_block_sort_config_static_selectorELNS0_4arch9wavefront6targetE0EEEvSF_
	.p2align	8
	.type	_ZN7rocprim17ROCPRIM_400000_NS6detail17trampoline_kernelINS0_13kernel_configILj256ELj4ELj4294967295EEENS1_37radix_sort_block_sort_config_selectorIlNS0_10empty_typeEEEZNS1_21radix_sort_block_sortIS4_Lb1EPKlPlPS6_SC_NS0_19identity_decomposerEEE10hipError_tT1_T2_T3_T4_jRjT5_jjP12ihipStream_tbEUlT_E_NS1_11comp_targetILNS1_3genE5ELNS1_11target_archE942ELNS1_3gpuE9ELNS1_3repE0EEENS1_44radix_sort_block_sort_config_static_selectorELNS0_4arch9wavefront6targetE0EEEvSF_,@function
_ZN7rocprim17ROCPRIM_400000_NS6detail17trampoline_kernelINS0_13kernel_configILj256ELj4ELj4294967295EEENS1_37radix_sort_block_sort_config_selectorIlNS0_10empty_typeEEEZNS1_21radix_sort_block_sortIS4_Lb1EPKlPlPS6_SC_NS0_19identity_decomposerEEE10hipError_tT1_T2_T3_T4_jRjT5_jjP12ihipStream_tbEUlT_E_NS1_11comp_targetILNS1_3genE5ELNS1_11target_archE942ELNS1_3gpuE9ELNS1_3repE0EEENS1_44radix_sort_block_sort_config_static_selectorELNS0_4arch9wavefront6targetE0EEEvSF_: ; @_ZN7rocprim17ROCPRIM_400000_NS6detail17trampoline_kernelINS0_13kernel_configILj256ELj4ELj4294967295EEENS1_37radix_sort_block_sort_config_selectorIlNS0_10empty_typeEEEZNS1_21radix_sort_block_sortIS4_Lb1EPKlPlPS6_SC_NS0_19identity_decomposerEEE10hipError_tT1_T2_T3_T4_jRjT5_jjP12ihipStream_tbEUlT_E_NS1_11comp_targetILNS1_3genE5ELNS1_11target_archE942ELNS1_3gpuE9ELNS1_3repE0EEENS1_44radix_sort_block_sort_config_static_selectorELNS0_4arch9wavefront6targetE0EEEvSF_
; %bb.0:
	.section	.rodata,"a",@progbits
	.p2align	6, 0x0
	.amdhsa_kernel _ZN7rocprim17ROCPRIM_400000_NS6detail17trampoline_kernelINS0_13kernel_configILj256ELj4ELj4294967295EEENS1_37radix_sort_block_sort_config_selectorIlNS0_10empty_typeEEEZNS1_21radix_sort_block_sortIS4_Lb1EPKlPlPS6_SC_NS0_19identity_decomposerEEE10hipError_tT1_T2_T3_T4_jRjT5_jjP12ihipStream_tbEUlT_E_NS1_11comp_targetILNS1_3genE5ELNS1_11target_archE942ELNS1_3gpuE9ELNS1_3repE0EEENS1_44radix_sort_block_sort_config_static_selectorELNS0_4arch9wavefront6targetE0EEEvSF_
		.amdhsa_group_segment_fixed_size 0
		.amdhsa_private_segment_fixed_size 0
		.amdhsa_kernarg_size 48
		.amdhsa_user_sgpr_count 2
		.amdhsa_user_sgpr_dispatch_ptr 0
		.amdhsa_user_sgpr_queue_ptr 0
		.amdhsa_user_sgpr_kernarg_segment_ptr 1
		.amdhsa_user_sgpr_dispatch_id 0
		.amdhsa_user_sgpr_kernarg_preload_length 0
		.amdhsa_user_sgpr_kernarg_preload_offset 0
		.amdhsa_user_sgpr_private_segment_size 0
		.amdhsa_wavefront_size32 1
		.amdhsa_uses_dynamic_stack 0
		.amdhsa_enable_private_segment 0
		.amdhsa_system_sgpr_workgroup_id_x 1
		.amdhsa_system_sgpr_workgroup_id_y 0
		.amdhsa_system_sgpr_workgroup_id_z 0
		.amdhsa_system_sgpr_workgroup_info 0
		.amdhsa_system_vgpr_workitem_id 0
		.amdhsa_next_free_vgpr 1
		.amdhsa_next_free_sgpr 1
		.amdhsa_named_barrier_count 0
		.amdhsa_reserve_vcc 0
		.amdhsa_float_round_mode_32 0
		.amdhsa_float_round_mode_16_64 0
		.amdhsa_float_denorm_mode_32 3
		.amdhsa_float_denorm_mode_16_64 3
		.amdhsa_fp16_overflow 0
		.amdhsa_memory_ordered 1
		.amdhsa_forward_progress 1
		.amdhsa_inst_pref_size 0
		.amdhsa_round_robin_scheduling 0
		.amdhsa_exception_fp_ieee_invalid_op 0
		.amdhsa_exception_fp_denorm_src 0
		.amdhsa_exception_fp_ieee_div_zero 0
		.amdhsa_exception_fp_ieee_overflow 0
		.amdhsa_exception_fp_ieee_underflow 0
		.amdhsa_exception_fp_ieee_inexact 0
		.amdhsa_exception_int_div_zero 0
	.end_amdhsa_kernel
	.section	.text._ZN7rocprim17ROCPRIM_400000_NS6detail17trampoline_kernelINS0_13kernel_configILj256ELj4ELj4294967295EEENS1_37radix_sort_block_sort_config_selectorIlNS0_10empty_typeEEEZNS1_21radix_sort_block_sortIS4_Lb1EPKlPlPS6_SC_NS0_19identity_decomposerEEE10hipError_tT1_T2_T3_T4_jRjT5_jjP12ihipStream_tbEUlT_E_NS1_11comp_targetILNS1_3genE5ELNS1_11target_archE942ELNS1_3gpuE9ELNS1_3repE0EEENS1_44radix_sort_block_sort_config_static_selectorELNS0_4arch9wavefront6targetE0EEEvSF_,"axG",@progbits,_ZN7rocprim17ROCPRIM_400000_NS6detail17trampoline_kernelINS0_13kernel_configILj256ELj4ELj4294967295EEENS1_37radix_sort_block_sort_config_selectorIlNS0_10empty_typeEEEZNS1_21radix_sort_block_sortIS4_Lb1EPKlPlPS6_SC_NS0_19identity_decomposerEEE10hipError_tT1_T2_T3_T4_jRjT5_jjP12ihipStream_tbEUlT_E_NS1_11comp_targetILNS1_3genE5ELNS1_11target_archE942ELNS1_3gpuE9ELNS1_3repE0EEENS1_44radix_sort_block_sort_config_static_selectorELNS0_4arch9wavefront6targetE0EEEvSF_,comdat
.Lfunc_end997:
	.size	_ZN7rocprim17ROCPRIM_400000_NS6detail17trampoline_kernelINS0_13kernel_configILj256ELj4ELj4294967295EEENS1_37radix_sort_block_sort_config_selectorIlNS0_10empty_typeEEEZNS1_21radix_sort_block_sortIS4_Lb1EPKlPlPS6_SC_NS0_19identity_decomposerEEE10hipError_tT1_T2_T3_T4_jRjT5_jjP12ihipStream_tbEUlT_E_NS1_11comp_targetILNS1_3genE5ELNS1_11target_archE942ELNS1_3gpuE9ELNS1_3repE0EEENS1_44radix_sort_block_sort_config_static_selectorELNS0_4arch9wavefront6targetE0EEEvSF_, .Lfunc_end997-_ZN7rocprim17ROCPRIM_400000_NS6detail17trampoline_kernelINS0_13kernel_configILj256ELj4ELj4294967295EEENS1_37radix_sort_block_sort_config_selectorIlNS0_10empty_typeEEEZNS1_21radix_sort_block_sortIS4_Lb1EPKlPlPS6_SC_NS0_19identity_decomposerEEE10hipError_tT1_T2_T3_T4_jRjT5_jjP12ihipStream_tbEUlT_E_NS1_11comp_targetILNS1_3genE5ELNS1_11target_archE942ELNS1_3gpuE9ELNS1_3repE0EEENS1_44radix_sort_block_sort_config_static_selectorELNS0_4arch9wavefront6targetE0EEEvSF_
                                        ; -- End function
	.set _ZN7rocprim17ROCPRIM_400000_NS6detail17trampoline_kernelINS0_13kernel_configILj256ELj4ELj4294967295EEENS1_37radix_sort_block_sort_config_selectorIlNS0_10empty_typeEEEZNS1_21radix_sort_block_sortIS4_Lb1EPKlPlPS6_SC_NS0_19identity_decomposerEEE10hipError_tT1_T2_T3_T4_jRjT5_jjP12ihipStream_tbEUlT_E_NS1_11comp_targetILNS1_3genE5ELNS1_11target_archE942ELNS1_3gpuE9ELNS1_3repE0EEENS1_44radix_sort_block_sort_config_static_selectorELNS0_4arch9wavefront6targetE0EEEvSF_.num_vgpr, 0
	.set _ZN7rocprim17ROCPRIM_400000_NS6detail17trampoline_kernelINS0_13kernel_configILj256ELj4ELj4294967295EEENS1_37radix_sort_block_sort_config_selectorIlNS0_10empty_typeEEEZNS1_21radix_sort_block_sortIS4_Lb1EPKlPlPS6_SC_NS0_19identity_decomposerEEE10hipError_tT1_T2_T3_T4_jRjT5_jjP12ihipStream_tbEUlT_E_NS1_11comp_targetILNS1_3genE5ELNS1_11target_archE942ELNS1_3gpuE9ELNS1_3repE0EEENS1_44radix_sort_block_sort_config_static_selectorELNS0_4arch9wavefront6targetE0EEEvSF_.num_agpr, 0
	.set _ZN7rocprim17ROCPRIM_400000_NS6detail17trampoline_kernelINS0_13kernel_configILj256ELj4ELj4294967295EEENS1_37radix_sort_block_sort_config_selectorIlNS0_10empty_typeEEEZNS1_21radix_sort_block_sortIS4_Lb1EPKlPlPS6_SC_NS0_19identity_decomposerEEE10hipError_tT1_T2_T3_T4_jRjT5_jjP12ihipStream_tbEUlT_E_NS1_11comp_targetILNS1_3genE5ELNS1_11target_archE942ELNS1_3gpuE9ELNS1_3repE0EEENS1_44radix_sort_block_sort_config_static_selectorELNS0_4arch9wavefront6targetE0EEEvSF_.numbered_sgpr, 0
	.set _ZN7rocprim17ROCPRIM_400000_NS6detail17trampoline_kernelINS0_13kernel_configILj256ELj4ELj4294967295EEENS1_37radix_sort_block_sort_config_selectorIlNS0_10empty_typeEEEZNS1_21radix_sort_block_sortIS4_Lb1EPKlPlPS6_SC_NS0_19identity_decomposerEEE10hipError_tT1_T2_T3_T4_jRjT5_jjP12ihipStream_tbEUlT_E_NS1_11comp_targetILNS1_3genE5ELNS1_11target_archE942ELNS1_3gpuE9ELNS1_3repE0EEENS1_44radix_sort_block_sort_config_static_selectorELNS0_4arch9wavefront6targetE0EEEvSF_.num_named_barrier, 0
	.set _ZN7rocprim17ROCPRIM_400000_NS6detail17trampoline_kernelINS0_13kernel_configILj256ELj4ELj4294967295EEENS1_37radix_sort_block_sort_config_selectorIlNS0_10empty_typeEEEZNS1_21radix_sort_block_sortIS4_Lb1EPKlPlPS6_SC_NS0_19identity_decomposerEEE10hipError_tT1_T2_T3_T4_jRjT5_jjP12ihipStream_tbEUlT_E_NS1_11comp_targetILNS1_3genE5ELNS1_11target_archE942ELNS1_3gpuE9ELNS1_3repE0EEENS1_44radix_sort_block_sort_config_static_selectorELNS0_4arch9wavefront6targetE0EEEvSF_.private_seg_size, 0
	.set _ZN7rocprim17ROCPRIM_400000_NS6detail17trampoline_kernelINS0_13kernel_configILj256ELj4ELj4294967295EEENS1_37radix_sort_block_sort_config_selectorIlNS0_10empty_typeEEEZNS1_21radix_sort_block_sortIS4_Lb1EPKlPlPS6_SC_NS0_19identity_decomposerEEE10hipError_tT1_T2_T3_T4_jRjT5_jjP12ihipStream_tbEUlT_E_NS1_11comp_targetILNS1_3genE5ELNS1_11target_archE942ELNS1_3gpuE9ELNS1_3repE0EEENS1_44radix_sort_block_sort_config_static_selectorELNS0_4arch9wavefront6targetE0EEEvSF_.uses_vcc, 0
	.set _ZN7rocprim17ROCPRIM_400000_NS6detail17trampoline_kernelINS0_13kernel_configILj256ELj4ELj4294967295EEENS1_37radix_sort_block_sort_config_selectorIlNS0_10empty_typeEEEZNS1_21radix_sort_block_sortIS4_Lb1EPKlPlPS6_SC_NS0_19identity_decomposerEEE10hipError_tT1_T2_T3_T4_jRjT5_jjP12ihipStream_tbEUlT_E_NS1_11comp_targetILNS1_3genE5ELNS1_11target_archE942ELNS1_3gpuE9ELNS1_3repE0EEENS1_44radix_sort_block_sort_config_static_selectorELNS0_4arch9wavefront6targetE0EEEvSF_.uses_flat_scratch, 0
	.set _ZN7rocprim17ROCPRIM_400000_NS6detail17trampoline_kernelINS0_13kernel_configILj256ELj4ELj4294967295EEENS1_37radix_sort_block_sort_config_selectorIlNS0_10empty_typeEEEZNS1_21radix_sort_block_sortIS4_Lb1EPKlPlPS6_SC_NS0_19identity_decomposerEEE10hipError_tT1_T2_T3_T4_jRjT5_jjP12ihipStream_tbEUlT_E_NS1_11comp_targetILNS1_3genE5ELNS1_11target_archE942ELNS1_3gpuE9ELNS1_3repE0EEENS1_44radix_sort_block_sort_config_static_selectorELNS0_4arch9wavefront6targetE0EEEvSF_.has_dyn_sized_stack, 0
	.set _ZN7rocprim17ROCPRIM_400000_NS6detail17trampoline_kernelINS0_13kernel_configILj256ELj4ELj4294967295EEENS1_37radix_sort_block_sort_config_selectorIlNS0_10empty_typeEEEZNS1_21radix_sort_block_sortIS4_Lb1EPKlPlPS6_SC_NS0_19identity_decomposerEEE10hipError_tT1_T2_T3_T4_jRjT5_jjP12ihipStream_tbEUlT_E_NS1_11comp_targetILNS1_3genE5ELNS1_11target_archE942ELNS1_3gpuE9ELNS1_3repE0EEENS1_44radix_sort_block_sort_config_static_selectorELNS0_4arch9wavefront6targetE0EEEvSF_.has_recursion, 0
	.set _ZN7rocprim17ROCPRIM_400000_NS6detail17trampoline_kernelINS0_13kernel_configILj256ELj4ELj4294967295EEENS1_37radix_sort_block_sort_config_selectorIlNS0_10empty_typeEEEZNS1_21radix_sort_block_sortIS4_Lb1EPKlPlPS6_SC_NS0_19identity_decomposerEEE10hipError_tT1_T2_T3_T4_jRjT5_jjP12ihipStream_tbEUlT_E_NS1_11comp_targetILNS1_3genE5ELNS1_11target_archE942ELNS1_3gpuE9ELNS1_3repE0EEENS1_44radix_sort_block_sort_config_static_selectorELNS0_4arch9wavefront6targetE0EEEvSF_.has_indirect_call, 0
	.section	.AMDGPU.csdata,"",@progbits
; Kernel info:
; codeLenInByte = 0
; TotalNumSgprs: 0
; NumVgprs: 0
; ScratchSize: 0
; MemoryBound: 0
; FloatMode: 240
; IeeeMode: 1
; LDSByteSize: 0 bytes/workgroup (compile time only)
; SGPRBlocks: 0
; VGPRBlocks: 0
; NumSGPRsForWavesPerEU: 1
; NumVGPRsForWavesPerEU: 1
; NamedBarCnt: 0
; Occupancy: 16
; WaveLimiterHint : 0
; COMPUTE_PGM_RSRC2:SCRATCH_EN: 0
; COMPUTE_PGM_RSRC2:USER_SGPR: 2
; COMPUTE_PGM_RSRC2:TRAP_HANDLER: 0
; COMPUTE_PGM_RSRC2:TGID_X_EN: 1
; COMPUTE_PGM_RSRC2:TGID_Y_EN: 0
; COMPUTE_PGM_RSRC2:TGID_Z_EN: 0
; COMPUTE_PGM_RSRC2:TIDIG_COMP_CNT: 0
	.section	.text._ZN7rocprim17ROCPRIM_400000_NS6detail17trampoline_kernelINS0_13kernel_configILj256ELj4ELj4294967295EEENS1_37radix_sort_block_sort_config_selectorIlNS0_10empty_typeEEEZNS1_21radix_sort_block_sortIS4_Lb1EPKlPlPS6_SC_NS0_19identity_decomposerEEE10hipError_tT1_T2_T3_T4_jRjT5_jjP12ihipStream_tbEUlT_E_NS1_11comp_targetILNS1_3genE4ELNS1_11target_archE910ELNS1_3gpuE8ELNS1_3repE0EEENS1_44radix_sort_block_sort_config_static_selectorELNS0_4arch9wavefront6targetE0EEEvSF_,"axG",@progbits,_ZN7rocprim17ROCPRIM_400000_NS6detail17trampoline_kernelINS0_13kernel_configILj256ELj4ELj4294967295EEENS1_37radix_sort_block_sort_config_selectorIlNS0_10empty_typeEEEZNS1_21radix_sort_block_sortIS4_Lb1EPKlPlPS6_SC_NS0_19identity_decomposerEEE10hipError_tT1_T2_T3_T4_jRjT5_jjP12ihipStream_tbEUlT_E_NS1_11comp_targetILNS1_3genE4ELNS1_11target_archE910ELNS1_3gpuE8ELNS1_3repE0EEENS1_44radix_sort_block_sort_config_static_selectorELNS0_4arch9wavefront6targetE0EEEvSF_,comdat
	.protected	_ZN7rocprim17ROCPRIM_400000_NS6detail17trampoline_kernelINS0_13kernel_configILj256ELj4ELj4294967295EEENS1_37radix_sort_block_sort_config_selectorIlNS0_10empty_typeEEEZNS1_21radix_sort_block_sortIS4_Lb1EPKlPlPS6_SC_NS0_19identity_decomposerEEE10hipError_tT1_T2_T3_T4_jRjT5_jjP12ihipStream_tbEUlT_E_NS1_11comp_targetILNS1_3genE4ELNS1_11target_archE910ELNS1_3gpuE8ELNS1_3repE0EEENS1_44radix_sort_block_sort_config_static_selectorELNS0_4arch9wavefront6targetE0EEEvSF_ ; -- Begin function _ZN7rocprim17ROCPRIM_400000_NS6detail17trampoline_kernelINS0_13kernel_configILj256ELj4ELj4294967295EEENS1_37radix_sort_block_sort_config_selectorIlNS0_10empty_typeEEEZNS1_21radix_sort_block_sortIS4_Lb1EPKlPlPS6_SC_NS0_19identity_decomposerEEE10hipError_tT1_T2_T3_T4_jRjT5_jjP12ihipStream_tbEUlT_E_NS1_11comp_targetILNS1_3genE4ELNS1_11target_archE910ELNS1_3gpuE8ELNS1_3repE0EEENS1_44radix_sort_block_sort_config_static_selectorELNS0_4arch9wavefront6targetE0EEEvSF_
	.globl	_ZN7rocprim17ROCPRIM_400000_NS6detail17trampoline_kernelINS0_13kernel_configILj256ELj4ELj4294967295EEENS1_37radix_sort_block_sort_config_selectorIlNS0_10empty_typeEEEZNS1_21radix_sort_block_sortIS4_Lb1EPKlPlPS6_SC_NS0_19identity_decomposerEEE10hipError_tT1_T2_T3_T4_jRjT5_jjP12ihipStream_tbEUlT_E_NS1_11comp_targetILNS1_3genE4ELNS1_11target_archE910ELNS1_3gpuE8ELNS1_3repE0EEENS1_44radix_sort_block_sort_config_static_selectorELNS0_4arch9wavefront6targetE0EEEvSF_
	.p2align	8
	.type	_ZN7rocprim17ROCPRIM_400000_NS6detail17trampoline_kernelINS0_13kernel_configILj256ELj4ELj4294967295EEENS1_37radix_sort_block_sort_config_selectorIlNS0_10empty_typeEEEZNS1_21radix_sort_block_sortIS4_Lb1EPKlPlPS6_SC_NS0_19identity_decomposerEEE10hipError_tT1_T2_T3_T4_jRjT5_jjP12ihipStream_tbEUlT_E_NS1_11comp_targetILNS1_3genE4ELNS1_11target_archE910ELNS1_3gpuE8ELNS1_3repE0EEENS1_44radix_sort_block_sort_config_static_selectorELNS0_4arch9wavefront6targetE0EEEvSF_,@function
_ZN7rocprim17ROCPRIM_400000_NS6detail17trampoline_kernelINS0_13kernel_configILj256ELj4ELj4294967295EEENS1_37radix_sort_block_sort_config_selectorIlNS0_10empty_typeEEEZNS1_21radix_sort_block_sortIS4_Lb1EPKlPlPS6_SC_NS0_19identity_decomposerEEE10hipError_tT1_T2_T3_T4_jRjT5_jjP12ihipStream_tbEUlT_E_NS1_11comp_targetILNS1_3genE4ELNS1_11target_archE910ELNS1_3gpuE8ELNS1_3repE0EEENS1_44radix_sort_block_sort_config_static_selectorELNS0_4arch9wavefront6targetE0EEEvSF_: ; @_ZN7rocprim17ROCPRIM_400000_NS6detail17trampoline_kernelINS0_13kernel_configILj256ELj4ELj4294967295EEENS1_37radix_sort_block_sort_config_selectorIlNS0_10empty_typeEEEZNS1_21radix_sort_block_sortIS4_Lb1EPKlPlPS6_SC_NS0_19identity_decomposerEEE10hipError_tT1_T2_T3_T4_jRjT5_jjP12ihipStream_tbEUlT_E_NS1_11comp_targetILNS1_3genE4ELNS1_11target_archE910ELNS1_3gpuE8ELNS1_3repE0EEENS1_44radix_sort_block_sort_config_static_selectorELNS0_4arch9wavefront6targetE0EEEvSF_
; %bb.0:
	.section	.rodata,"a",@progbits
	.p2align	6, 0x0
	.amdhsa_kernel _ZN7rocprim17ROCPRIM_400000_NS6detail17trampoline_kernelINS0_13kernel_configILj256ELj4ELj4294967295EEENS1_37radix_sort_block_sort_config_selectorIlNS0_10empty_typeEEEZNS1_21radix_sort_block_sortIS4_Lb1EPKlPlPS6_SC_NS0_19identity_decomposerEEE10hipError_tT1_T2_T3_T4_jRjT5_jjP12ihipStream_tbEUlT_E_NS1_11comp_targetILNS1_3genE4ELNS1_11target_archE910ELNS1_3gpuE8ELNS1_3repE0EEENS1_44radix_sort_block_sort_config_static_selectorELNS0_4arch9wavefront6targetE0EEEvSF_
		.amdhsa_group_segment_fixed_size 0
		.amdhsa_private_segment_fixed_size 0
		.amdhsa_kernarg_size 48
		.amdhsa_user_sgpr_count 2
		.amdhsa_user_sgpr_dispatch_ptr 0
		.amdhsa_user_sgpr_queue_ptr 0
		.amdhsa_user_sgpr_kernarg_segment_ptr 1
		.amdhsa_user_sgpr_dispatch_id 0
		.amdhsa_user_sgpr_kernarg_preload_length 0
		.amdhsa_user_sgpr_kernarg_preload_offset 0
		.amdhsa_user_sgpr_private_segment_size 0
		.amdhsa_wavefront_size32 1
		.amdhsa_uses_dynamic_stack 0
		.amdhsa_enable_private_segment 0
		.amdhsa_system_sgpr_workgroup_id_x 1
		.amdhsa_system_sgpr_workgroup_id_y 0
		.amdhsa_system_sgpr_workgroup_id_z 0
		.amdhsa_system_sgpr_workgroup_info 0
		.amdhsa_system_vgpr_workitem_id 0
		.amdhsa_next_free_vgpr 1
		.amdhsa_next_free_sgpr 1
		.amdhsa_named_barrier_count 0
		.amdhsa_reserve_vcc 0
		.amdhsa_float_round_mode_32 0
		.amdhsa_float_round_mode_16_64 0
		.amdhsa_float_denorm_mode_32 3
		.amdhsa_float_denorm_mode_16_64 3
		.amdhsa_fp16_overflow 0
		.amdhsa_memory_ordered 1
		.amdhsa_forward_progress 1
		.amdhsa_inst_pref_size 0
		.amdhsa_round_robin_scheduling 0
		.amdhsa_exception_fp_ieee_invalid_op 0
		.amdhsa_exception_fp_denorm_src 0
		.amdhsa_exception_fp_ieee_div_zero 0
		.amdhsa_exception_fp_ieee_overflow 0
		.amdhsa_exception_fp_ieee_underflow 0
		.amdhsa_exception_fp_ieee_inexact 0
		.amdhsa_exception_int_div_zero 0
	.end_amdhsa_kernel
	.section	.text._ZN7rocprim17ROCPRIM_400000_NS6detail17trampoline_kernelINS0_13kernel_configILj256ELj4ELj4294967295EEENS1_37radix_sort_block_sort_config_selectorIlNS0_10empty_typeEEEZNS1_21radix_sort_block_sortIS4_Lb1EPKlPlPS6_SC_NS0_19identity_decomposerEEE10hipError_tT1_T2_T3_T4_jRjT5_jjP12ihipStream_tbEUlT_E_NS1_11comp_targetILNS1_3genE4ELNS1_11target_archE910ELNS1_3gpuE8ELNS1_3repE0EEENS1_44radix_sort_block_sort_config_static_selectorELNS0_4arch9wavefront6targetE0EEEvSF_,"axG",@progbits,_ZN7rocprim17ROCPRIM_400000_NS6detail17trampoline_kernelINS0_13kernel_configILj256ELj4ELj4294967295EEENS1_37radix_sort_block_sort_config_selectorIlNS0_10empty_typeEEEZNS1_21radix_sort_block_sortIS4_Lb1EPKlPlPS6_SC_NS0_19identity_decomposerEEE10hipError_tT1_T2_T3_T4_jRjT5_jjP12ihipStream_tbEUlT_E_NS1_11comp_targetILNS1_3genE4ELNS1_11target_archE910ELNS1_3gpuE8ELNS1_3repE0EEENS1_44radix_sort_block_sort_config_static_selectorELNS0_4arch9wavefront6targetE0EEEvSF_,comdat
.Lfunc_end998:
	.size	_ZN7rocprim17ROCPRIM_400000_NS6detail17trampoline_kernelINS0_13kernel_configILj256ELj4ELj4294967295EEENS1_37radix_sort_block_sort_config_selectorIlNS0_10empty_typeEEEZNS1_21radix_sort_block_sortIS4_Lb1EPKlPlPS6_SC_NS0_19identity_decomposerEEE10hipError_tT1_T2_T3_T4_jRjT5_jjP12ihipStream_tbEUlT_E_NS1_11comp_targetILNS1_3genE4ELNS1_11target_archE910ELNS1_3gpuE8ELNS1_3repE0EEENS1_44radix_sort_block_sort_config_static_selectorELNS0_4arch9wavefront6targetE0EEEvSF_, .Lfunc_end998-_ZN7rocprim17ROCPRIM_400000_NS6detail17trampoline_kernelINS0_13kernel_configILj256ELj4ELj4294967295EEENS1_37radix_sort_block_sort_config_selectorIlNS0_10empty_typeEEEZNS1_21radix_sort_block_sortIS4_Lb1EPKlPlPS6_SC_NS0_19identity_decomposerEEE10hipError_tT1_T2_T3_T4_jRjT5_jjP12ihipStream_tbEUlT_E_NS1_11comp_targetILNS1_3genE4ELNS1_11target_archE910ELNS1_3gpuE8ELNS1_3repE0EEENS1_44radix_sort_block_sort_config_static_selectorELNS0_4arch9wavefront6targetE0EEEvSF_
                                        ; -- End function
	.set _ZN7rocprim17ROCPRIM_400000_NS6detail17trampoline_kernelINS0_13kernel_configILj256ELj4ELj4294967295EEENS1_37radix_sort_block_sort_config_selectorIlNS0_10empty_typeEEEZNS1_21radix_sort_block_sortIS4_Lb1EPKlPlPS6_SC_NS0_19identity_decomposerEEE10hipError_tT1_T2_T3_T4_jRjT5_jjP12ihipStream_tbEUlT_E_NS1_11comp_targetILNS1_3genE4ELNS1_11target_archE910ELNS1_3gpuE8ELNS1_3repE0EEENS1_44radix_sort_block_sort_config_static_selectorELNS0_4arch9wavefront6targetE0EEEvSF_.num_vgpr, 0
	.set _ZN7rocprim17ROCPRIM_400000_NS6detail17trampoline_kernelINS0_13kernel_configILj256ELj4ELj4294967295EEENS1_37radix_sort_block_sort_config_selectorIlNS0_10empty_typeEEEZNS1_21radix_sort_block_sortIS4_Lb1EPKlPlPS6_SC_NS0_19identity_decomposerEEE10hipError_tT1_T2_T3_T4_jRjT5_jjP12ihipStream_tbEUlT_E_NS1_11comp_targetILNS1_3genE4ELNS1_11target_archE910ELNS1_3gpuE8ELNS1_3repE0EEENS1_44radix_sort_block_sort_config_static_selectorELNS0_4arch9wavefront6targetE0EEEvSF_.num_agpr, 0
	.set _ZN7rocprim17ROCPRIM_400000_NS6detail17trampoline_kernelINS0_13kernel_configILj256ELj4ELj4294967295EEENS1_37radix_sort_block_sort_config_selectorIlNS0_10empty_typeEEEZNS1_21radix_sort_block_sortIS4_Lb1EPKlPlPS6_SC_NS0_19identity_decomposerEEE10hipError_tT1_T2_T3_T4_jRjT5_jjP12ihipStream_tbEUlT_E_NS1_11comp_targetILNS1_3genE4ELNS1_11target_archE910ELNS1_3gpuE8ELNS1_3repE0EEENS1_44radix_sort_block_sort_config_static_selectorELNS0_4arch9wavefront6targetE0EEEvSF_.numbered_sgpr, 0
	.set _ZN7rocprim17ROCPRIM_400000_NS6detail17trampoline_kernelINS0_13kernel_configILj256ELj4ELj4294967295EEENS1_37radix_sort_block_sort_config_selectorIlNS0_10empty_typeEEEZNS1_21radix_sort_block_sortIS4_Lb1EPKlPlPS6_SC_NS0_19identity_decomposerEEE10hipError_tT1_T2_T3_T4_jRjT5_jjP12ihipStream_tbEUlT_E_NS1_11comp_targetILNS1_3genE4ELNS1_11target_archE910ELNS1_3gpuE8ELNS1_3repE0EEENS1_44radix_sort_block_sort_config_static_selectorELNS0_4arch9wavefront6targetE0EEEvSF_.num_named_barrier, 0
	.set _ZN7rocprim17ROCPRIM_400000_NS6detail17trampoline_kernelINS0_13kernel_configILj256ELj4ELj4294967295EEENS1_37radix_sort_block_sort_config_selectorIlNS0_10empty_typeEEEZNS1_21radix_sort_block_sortIS4_Lb1EPKlPlPS6_SC_NS0_19identity_decomposerEEE10hipError_tT1_T2_T3_T4_jRjT5_jjP12ihipStream_tbEUlT_E_NS1_11comp_targetILNS1_3genE4ELNS1_11target_archE910ELNS1_3gpuE8ELNS1_3repE0EEENS1_44radix_sort_block_sort_config_static_selectorELNS0_4arch9wavefront6targetE0EEEvSF_.private_seg_size, 0
	.set _ZN7rocprim17ROCPRIM_400000_NS6detail17trampoline_kernelINS0_13kernel_configILj256ELj4ELj4294967295EEENS1_37radix_sort_block_sort_config_selectorIlNS0_10empty_typeEEEZNS1_21radix_sort_block_sortIS4_Lb1EPKlPlPS6_SC_NS0_19identity_decomposerEEE10hipError_tT1_T2_T3_T4_jRjT5_jjP12ihipStream_tbEUlT_E_NS1_11comp_targetILNS1_3genE4ELNS1_11target_archE910ELNS1_3gpuE8ELNS1_3repE0EEENS1_44radix_sort_block_sort_config_static_selectorELNS0_4arch9wavefront6targetE0EEEvSF_.uses_vcc, 0
	.set _ZN7rocprim17ROCPRIM_400000_NS6detail17trampoline_kernelINS0_13kernel_configILj256ELj4ELj4294967295EEENS1_37radix_sort_block_sort_config_selectorIlNS0_10empty_typeEEEZNS1_21radix_sort_block_sortIS4_Lb1EPKlPlPS6_SC_NS0_19identity_decomposerEEE10hipError_tT1_T2_T3_T4_jRjT5_jjP12ihipStream_tbEUlT_E_NS1_11comp_targetILNS1_3genE4ELNS1_11target_archE910ELNS1_3gpuE8ELNS1_3repE0EEENS1_44radix_sort_block_sort_config_static_selectorELNS0_4arch9wavefront6targetE0EEEvSF_.uses_flat_scratch, 0
	.set _ZN7rocprim17ROCPRIM_400000_NS6detail17trampoline_kernelINS0_13kernel_configILj256ELj4ELj4294967295EEENS1_37radix_sort_block_sort_config_selectorIlNS0_10empty_typeEEEZNS1_21radix_sort_block_sortIS4_Lb1EPKlPlPS6_SC_NS0_19identity_decomposerEEE10hipError_tT1_T2_T3_T4_jRjT5_jjP12ihipStream_tbEUlT_E_NS1_11comp_targetILNS1_3genE4ELNS1_11target_archE910ELNS1_3gpuE8ELNS1_3repE0EEENS1_44radix_sort_block_sort_config_static_selectorELNS0_4arch9wavefront6targetE0EEEvSF_.has_dyn_sized_stack, 0
	.set _ZN7rocprim17ROCPRIM_400000_NS6detail17trampoline_kernelINS0_13kernel_configILj256ELj4ELj4294967295EEENS1_37radix_sort_block_sort_config_selectorIlNS0_10empty_typeEEEZNS1_21radix_sort_block_sortIS4_Lb1EPKlPlPS6_SC_NS0_19identity_decomposerEEE10hipError_tT1_T2_T3_T4_jRjT5_jjP12ihipStream_tbEUlT_E_NS1_11comp_targetILNS1_3genE4ELNS1_11target_archE910ELNS1_3gpuE8ELNS1_3repE0EEENS1_44radix_sort_block_sort_config_static_selectorELNS0_4arch9wavefront6targetE0EEEvSF_.has_recursion, 0
	.set _ZN7rocprim17ROCPRIM_400000_NS6detail17trampoline_kernelINS0_13kernel_configILj256ELj4ELj4294967295EEENS1_37radix_sort_block_sort_config_selectorIlNS0_10empty_typeEEEZNS1_21radix_sort_block_sortIS4_Lb1EPKlPlPS6_SC_NS0_19identity_decomposerEEE10hipError_tT1_T2_T3_T4_jRjT5_jjP12ihipStream_tbEUlT_E_NS1_11comp_targetILNS1_3genE4ELNS1_11target_archE910ELNS1_3gpuE8ELNS1_3repE0EEENS1_44radix_sort_block_sort_config_static_selectorELNS0_4arch9wavefront6targetE0EEEvSF_.has_indirect_call, 0
	.section	.AMDGPU.csdata,"",@progbits
; Kernel info:
; codeLenInByte = 0
; TotalNumSgprs: 0
; NumVgprs: 0
; ScratchSize: 0
; MemoryBound: 0
; FloatMode: 240
; IeeeMode: 1
; LDSByteSize: 0 bytes/workgroup (compile time only)
; SGPRBlocks: 0
; VGPRBlocks: 0
; NumSGPRsForWavesPerEU: 1
; NumVGPRsForWavesPerEU: 1
; NamedBarCnt: 0
; Occupancy: 16
; WaveLimiterHint : 0
; COMPUTE_PGM_RSRC2:SCRATCH_EN: 0
; COMPUTE_PGM_RSRC2:USER_SGPR: 2
; COMPUTE_PGM_RSRC2:TRAP_HANDLER: 0
; COMPUTE_PGM_RSRC2:TGID_X_EN: 1
; COMPUTE_PGM_RSRC2:TGID_Y_EN: 0
; COMPUTE_PGM_RSRC2:TGID_Z_EN: 0
; COMPUTE_PGM_RSRC2:TIDIG_COMP_CNT: 0
	.section	.text._ZN7rocprim17ROCPRIM_400000_NS6detail17trampoline_kernelINS0_13kernel_configILj256ELj4ELj4294967295EEENS1_37radix_sort_block_sort_config_selectorIlNS0_10empty_typeEEEZNS1_21radix_sort_block_sortIS4_Lb1EPKlPlPS6_SC_NS0_19identity_decomposerEEE10hipError_tT1_T2_T3_T4_jRjT5_jjP12ihipStream_tbEUlT_E_NS1_11comp_targetILNS1_3genE3ELNS1_11target_archE908ELNS1_3gpuE7ELNS1_3repE0EEENS1_44radix_sort_block_sort_config_static_selectorELNS0_4arch9wavefront6targetE0EEEvSF_,"axG",@progbits,_ZN7rocprim17ROCPRIM_400000_NS6detail17trampoline_kernelINS0_13kernel_configILj256ELj4ELj4294967295EEENS1_37radix_sort_block_sort_config_selectorIlNS0_10empty_typeEEEZNS1_21radix_sort_block_sortIS4_Lb1EPKlPlPS6_SC_NS0_19identity_decomposerEEE10hipError_tT1_T2_T3_T4_jRjT5_jjP12ihipStream_tbEUlT_E_NS1_11comp_targetILNS1_3genE3ELNS1_11target_archE908ELNS1_3gpuE7ELNS1_3repE0EEENS1_44radix_sort_block_sort_config_static_selectorELNS0_4arch9wavefront6targetE0EEEvSF_,comdat
	.protected	_ZN7rocprim17ROCPRIM_400000_NS6detail17trampoline_kernelINS0_13kernel_configILj256ELj4ELj4294967295EEENS1_37radix_sort_block_sort_config_selectorIlNS0_10empty_typeEEEZNS1_21radix_sort_block_sortIS4_Lb1EPKlPlPS6_SC_NS0_19identity_decomposerEEE10hipError_tT1_T2_T3_T4_jRjT5_jjP12ihipStream_tbEUlT_E_NS1_11comp_targetILNS1_3genE3ELNS1_11target_archE908ELNS1_3gpuE7ELNS1_3repE0EEENS1_44radix_sort_block_sort_config_static_selectorELNS0_4arch9wavefront6targetE0EEEvSF_ ; -- Begin function _ZN7rocprim17ROCPRIM_400000_NS6detail17trampoline_kernelINS0_13kernel_configILj256ELj4ELj4294967295EEENS1_37radix_sort_block_sort_config_selectorIlNS0_10empty_typeEEEZNS1_21radix_sort_block_sortIS4_Lb1EPKlPlPS6_SC_NS0_19identity_decomposerEEE10hipError_tT1_T2_T3_T4_jRjT5_jjP12ihipStream_tbEUlT_E_NS1_11comp_targetILNS1_3genE3ELNS1_11target_archE908ELNS1_3gpuE7ELNS1_3repE0EEENS1_44radix_sort_block_sort_config_static_selectorELNS0_4arch9wavefront6targetE0EEEvSF_
	.globl	_ZN7rocprim17ROCPRIM_400000_NS6detail17trampoline_kernelINS0_13kernel_configILj256ELj4ELj4294967295EEENS1_37radix_sort_block_sort_config_selectorIlNS0_10empty_typeEEEZNS1_21radix_sort_block_sortIS4_Lb1EPKlPlPS6_SC_NS0_19identity_decomposerEEE10hipError_tT1_T2_T3_T4_jRjT5_jjP12ihipStream_tbEUlT_E_NS1_11comp_targetILNS1_3genE3ELNS1_11target_archE908ELNS1_3gpuE7ELNS1_3repE0EEENS1_44radix_sort_block_sort_config_static_selectorELNS0_4arch9wavefront6targetE0EEEvSF_
	.p2align	8
	.type	_ZN7rocprim17ROCPRIM_400000_NS6detail17trampoline_kernelINS0_13kernel_configILj256ELj4ELj4294967295EEENS1_37radix_sort_block_sort_config_selectorIlNS0_10empty_typeEEEZNS1_21radix_sort_block_sortIS4_Lb1EPKlPlPS6_SC_NS0_19identity_decomposerEEE10hipError_tT1_T2_T3_T4_jRjT5_jjP12ihipStream_tbEUlT_E_NS1_11comp_targetILNS1_3genE3ELNS1_11target_archE908ELNS1_3gpuE7ELNS1_3repE0EEENS1_44radix_sort_block_sort_config_static_selectorELNS0_4arch9wavefront6targetE0EEEvSF_,@function
_ZN7rocprim17ROCPRIM_400000_NS6detail17trampoline_kernelINS0_13kernel_configILj256ELj4ELj4294967295EEENS1_37radix_sort_block_sort_config_selectorIlNS0_10empty_typeEEEZNS1_21radix_sort_block_sortIS4_Lb1EPKlPlPS6_SC_NS0_19identity_decomposerEEE10hipError_tT1_T2_T3_T4_jRjT5_jjP12ihipStream_tbEUlT_E_NS1_11comp_targetILNS1_3genE3ELNS1_11target_archE908ELNS1_3gpuE7ELNS1_3repE0EEENS1_44radix_sort_block_sort_config_static_selectorELNS0_4arch9wavefront6targetE0EEEvSF_: ; @_ZN7rocprim17ROCPRIM_400000_NS6detail17trampoline_kernelINS0_13kernel_configILj256ELj4ELj4294967295EEENS1_37radix_sort_block_sort_config_selectorIlNS0_10empty_typeEEEZNS1_21radix_sort_block_sortIS4_Lb1EPKlPlPS6_SC_NS0_19identity_decomposerEEE10hipError_tT1_T2_T3_T4_jRjT5_jjP12ihipStream_tbEUlT_E_NS1_11comp_targetILNS1_3genE3ELNS1_11target_archE908ELNS1_3gpuE7ELNS1_3repE0EEENS1_44radix_sort_block_sort_config_static_selectorELNS0_4arch9wavefront6targetE0EEEvSF_
; %bb.0:
	.section	.rodata,"a",@progbits
	.p2align	6, 0x0
	.amdhsa_kernel _ZN7rocprim17ROCPRIM_400000_NS6detail17trampoline_kernelINS0_13kernel_configILj256ELj4ELj4294967295EEENS1_37radix_sort_block_sort_config_selectorIlNS0_10empty_typeEEEZNS1_21radix_sort_block_sortIS4_Lb1EPKlPlPS6_SC_NS0_19identity_decomposerEEE10hipError_tT1_T2_T3_T4_jRjT5_jjP12ihipStream_tbEUlT_E_NS1_11comp_targetILNS1_3genE3ELNS1_11target_archE908ELNS1_3gpuE7ELNS1_3repE0EEENS1_44radix_sort_block_sort_config_static_selectorELNS0_4arch9wavefront6targetE0EEEvSF_
		.amdhsa_group_segment_fixed_size 0
		.amdhsa_private_segment_fixed_size 0
		.amdhsa_kernarg_size 48
		.amdhsa_user_sgpr_count 2
		.amdhsa_user_sgpr_dispatch_ptr 0
		.amdhsa_user_sgpr_queue_ptr 0
		.amdhsa_user_sgpr_kernarg_segment_ptr 1
		.amdhsa_user_sgpr_dispatch_id 0
		.amdhsa_user_sgpr_kernarg_preload_length 0
		.amdhsa_user_sgpr_kernarg_preload_offset 0
		.amdhsa_user_sgpr_private_segment_size 0
		.amdhsa_wavefront_size32 1
		.amdhsa_uses_dynamic_stack 0
		.amdhsa_enable_private_segment 0
		.amdhsa_system_sgpr_workgroup_id_x 1
		.amdhsa_system_sgpr_workgroup_id_y 0
		.amdhsa_system_sgpr_workgroup_id_z 0
		.amdhsa_system_sgpr_workgroup_info 0
		.amdhsa_system_vgpr_workitem_id 0
		.amdhsa_next_free_vgpr 1
		.amdhsa_next_free_sgpr 1
		.amdhsa_named_barrier_count 0
		.amdhsa_reserve_vcc 0
		.amdhsa_float_round_mode_32 0
		.amdhsa_float_round_mode_16_64 0
		.amdhsa_float_denorm_mode_32 3
		.amdhsa_float_denorm_mode_16_64 3
		.amdhsa_fp16_overflow 0
		.amdhsa_memory_ordered 1
		.amdhsa_forward_progress 1
		.amdhsa_inst_pref_size 0
		.amdhsa_round_robin_scheduling 0
		.amdhsa_exception_fp_ieee_invalid_op 0
		.amdhsa_exception_fp_denorm_src 0
		.amdhsa_exception_fp_ieee_div_zero 0
		.amdhsa_exception_fp_ieee_overflow 0
		.amdhsa_exception_fp_ieee_underflow 0
		.amdhsa_exception_fp_ieee_inexact 0
		.amdhsa_exception_int_div_zero 0
	.end_amdhsa_kernel
	.section	.text._ZN7rocprim17ROCPRIM_400000_NS6detail17trampoline_kernelINS0_13kernel_configILj256ELj4ELj4294967295EEENS1_37radix_sort_block_sort_config_selectorIlNS0_10empty_typeEEEZNS1_21radix_sort_block_sortIS4_Lb1EPKlPlPS6_SC_NS0_19identity_decomposerEEE10hipError_tT1_T2_T3_T4_jRjT5_jjP12ihipStream_tbEUlT_E_NS1_11comp_targetILNS1_3genE3ELNS1_11target_archE908ELNS1_3gpuE7ELNS1_3repE0EEENS1_44radix_sort_block_sort_config_static_selectorELNS0_4arch9wavefront6targetE0EEEvSF_,"axG",@progbits,_ZN7rocprim17ROCPRIM_400000_NS6detail17trampoline_kernelINS0_13kernel_configILj256ELj4ELj4294967295EEENS1_37radix_sort_block_sort_config_selectorIlNS0_10empty_typeEEEZNS1_21radix_sort_block_sortIS4_Lb1EPKlPlPS6_SC_NS0_19identity_decomposerEEE10hipError_tT1_T2_T3_T4_jRjT5_jjP12ihipStream_tbEUlT_E_NS1_11comp_targetILNS1_3genE3ELNS1_11target_archE908ELNS1_3gpuE7ELNS1_3repE0EEENS1_44radix_sort_block_sort_config_static_selectorELNS0_4arch9wavefront6targetE0EEEvSF_,comdat
.Lfunc_end999:
	.size	_ZN7rocprim17ROCPRIM_400000_NS6detail17trampoline_kernelINS0_13kernel_configILj256ELj4ELj4294967295EEENS1_37radix_sort_block_sort_config_selectorIlNS0_10empty_typeEEEZNS1_21radix_sort_block_sortIS4_Lb1EPKlPlPS6_SC_NS0_19identity_decomposerEEE10hipError_tT1_T2_T3_T4_jRjT5_jjP12ihipStream_tbEUlT_E_NS1_11comp_targetILNS1_3genE3ELNS1_11target_archE908ELNS1_3gpuE7ELNS1_3repE0EEENS1_44radix_sort_block_sort_config_static_selectorELNS0_4arch9wavefront6targetE0EEEvSF_, .Lfunc_end999-_ZN7rocprim17ROCPRIM_400000_NS6detail17trampoline_kernelINS0_13kernel_configILj256ELj4ELj4294967295EEENS1_37radix_sort_block_sort_config_selectorIlNS0_10empty_typeEEEZNS1_21radix_sort_block_sortIS4_Lb1EPKlPlPS6_SC_NS0_19identity_decomposerEEE10hipError_tT1_T2_T3_T4_jRjT5_jjP12ihipStream_tbEUlT_E_NS1_11comp_targetILNS1_3genE3ELNS1_11target_archE908ELNS1_3gpuE7ELNS1_3repE0EEENS1_44radix_sort_block_sort_config_static_selectorELNS0_4arch9wavefront6targetE0EEEvSF_
                                        ; -- End function
	.set _ZN7rocprim17ROCPRIM_400000_NS6detail17trampoline_kernelINS0_13kernel_configILj256ELj4ELj4294967295EEENS1_37radix_sort_block_sort_config_selectorIlNS0_10empty_typeEEEZNS1_21radix_sort_block_sortIS4_Lb1EPKlPlPS6_SC_NS0_19identity_decomposerEEE10hipError_tT1_T2_T3_T4_jRjT5_jjP12ihipStream_tbEUlT_E_NS1_11comp_targetILNS1_3genE3ELNS1_11target_archE908ELNS1_3gpuE7ELNS1_3repE0EEENS1_44radix_sort_block_sort_config_static_selectorELNS0_4arch9wavefront6targetE0EEEvSF_.num_vgpr, 0
	.set _ZN7rocprim17ROCPRIM_400000_NS6detail17trampoline_kernelINS0_13kernel_configILj256ELj4ELj4294967295EEENS1_37radix_sort_block_sort_config_selectorIlNS0_10empty_typeEEEZNS1_21radix_sort_block_sortIS4_Lb1EPKlPlPS6_SC_NS0_19identity_decomposerEEE10hipError_tT1_T2_T3_T4_jRjT5_jjP12ihipStream_tbEUlT_E_NS1_11comp_targetILNS1_3genE3ELNS1_11target_archE908ELNS1_3gpuE7ELNS1_3repE0EEENS1_44radix_sort_block_sort_config_static_selectorELNS0_4arch9wavefront6targetE0EEEvSF_.num_agpr, 0
	.set _ZN7rocprim17ROCPRIM_400000_NS6detail17trampoline_kernelINS0_13kernel_configILj256ELj4ELj4294967295EEENS1_37radix_sort_block_sort_config_selectorIlNS0_10empty_typeEEEZNS1_21radix_sort_block_sortIS4_Lb1EPKlPlPS6_SC_NS0_19identity_decomposerEEE10hipError_tT1_T2_T3_T4_jRjT5_jjP12ihipStream_tbEUlT_E_NS1_11comp_targetILNS1_3genE3ELNS1_11target_archE908ELNS1_3gpuE7ELNS1_3repE0EEENS1_44radix_sort_block_sort_config_static_selectorELNS0_4arch9wavefront6targetE0EEEvSF_.numbered_sgpr, 0
	.set _ZN7rocprim17ROCPRIM_400000_NS6detail17trampoline_kernelINS0_13kernel_configILj256ELj4ELj4294967295EEENS1_37radix_sort_block_sort_config_selectorIlNS0_10empty_typeEEEZNS1_21radix_sort_block_sortIS4_Lb1EPKlPlPS6_SC_NS0_19identity_decomposerEEE10hipError_tT1_T2_T3_T4_jRjT5_jjP12ihipStream_tbEUlT_E_NS1_11comp_targetILNS1_3genE3ELNS1_11target_archE908ELNS1_3gpuE7ELNS1_3repE0EEENS1_44radix_sort_block_sort_config_static_selectorELNS0_4arch9wavefront6targetE0EEEvSF_.num_named_barrier, 0
	.set _ZN7rocprim17ROCPRIM_400000_NS6detail17trampoline_kernelINS0_13kernel_configILj256ELj4ELj4294967295EEENS1_37radix_sort_block_sort_config_selectorIlNS0_10empty_typeEEEZNS1_21radix_sort_block_sortIS4_Lb1EPKlPlPS6_SC_NS0_19identity_decomposerEEE10hipError_tT1_T2_T3_T4_jRjT5_jjP12ihipStream_tbEUlT_E_NS1_11comp_targetILNS1_3genE3ELNS1_11target_archE908ELNS1_3gpuE7ELNS1_3repE0EEENS1_44radix_sort_block_sort_config_static_selectorELNS0_4arch9wavefront6targetE0EEEvSF_.private_seg_size, 0
	.set _ZN7rocprim17ROCPRIM_400000_NS6detail17trampoline_kernelINS0_13kernel_configILj256ELj4ELj4294967295EEENS1_37radix_sort_block_sort_config_selectorIlNS0_10empty_typeEEEZNS1_21radix_sort_block_sortIS4_Lb1EPKlPlPS6_SC_NS0_19identity_decomposerEEE10hipError_tT1_T2_T3_T4_jRjT5_jjP12ihipStream_tbEUlT_E_NS1_11comp_targetILNS1_3genE3ELNS1_11target_archE908ELNS1_3gpuE7ELNS1_3repE0EEENS1_44radix_sort_block_sort_config_static_selectorELNS0_4arch9wavefront6targetE0EEEvSF_.uses_vcc, 0
	.set _ZN7rocprim17ROCPRIM_400000_NS6detail17trampoline_kernelINS0_13kernel_configILj256ELj4ELj4294967295EEENS1_37radix_sort_block_sort_config_selectorIlNS0_10empty_typeEEEZNS1_21radix_sort_block_sortIS4_Lb1EPKlPlPS6_SC_NS0_19identity_decomposerEEE10hipError_tT1_T2_T3_T4_jRjT5_jjP12ihipStream_tbEUlT_E_NS1_11comp_targetILNS1_3genE3ELNS1_11target_archE908ELNS1_3gpuE7ELNS1_3repE0EEENS1_44radix_sort_block_sort_config_static_selectorELNS0_4arch9wavefront6targetE0EEEvSF_.uses_flat_scratch, 0
	.set _ZN7rocprim17ROCPRIM_400000_NS6detail17trampoline_kernelINS0_13kernel_configILj256ELj4ELj4294967295EEENS1_37radix_sort_block_sort_config_selectorIlNS0_10empty_typeEEEZNS1_21radix_sort_block_sortIS4_Lb1EPKlPlPS6_SC_NS0_19identity_decomposerEEE10hipError_tT1_T2_T3_T4_jRjT5_jjP12ihipStream_tbEUlT_E_NS1_11comp_targetILNS1_3genE3ELNS1_11target_archE908ELNS1_3gpuE7ELNS1_3repE0EEENS1_44radix_sort_block_sort_config_static_selectorELNS0_4arch9wavefront6targetE0EEEvSF_.has_dyn_sized_stack, 0
	.set _ZN7rocprim17ROCPRIM_400000_NS6detail17trampoline_kernelINS0_13kernel_configILj256ELj4ELj4294967295EEENS1_37radix_sort_block_sort_config_selectorIlNS0_10empty_typeEEEZNS1_21radix_sort_block_sortIS4_Lb1EPKlPlPS6_SC_NS0_19identity_decomposerEEE10hipError_tT1_T2_T3_T4_jRjT5_jjP12ihipStream_tbEUlT_E_NS1_11comp_targetILNS1_3genE3ELNS1_11target_archE908ELNS1_3gpuE7ELNS1_3repE0EEENS1_44radix_sort_block_sort_config_static_selectorELNS0_4arch9wavefront6targetE0EEEvSF_.has_recursion, 0
	.set _ZN7rocprim17ROCPRIM_400000_NS6detail17trampoline_kernelINS0_13kernel_configILj256ELj4ELj4294967295EEENS1_37radix_sort_block_sort_config_selectorIlNS0_10empty_typeEEEZNS1_21radix_sort_block_sortIS4_Lb1EPKlPlPS6_SC_NS0_19identity_decomposerEEE10hipError_tT1_T2_T3_T4_jRjT5_jjP12ihipStream_tbEUlT_E_NS1_11comp_targetILNS1_3genE3ELNS1_11target_archE908ELNS1_3gpuE7ELNS1_3repE0EEENS1_44radix_sort_block_sort_config_static_selectorELNS0_4arch9wavefront6targetE0EEEvSF_.has_indirect_call, 0
	.section	.AMDGPU.csdata,"",@progbits
; Kernel info:
; codeLenInByte = 0
; TotalNumSgprs: 0
; NumVgprs: 0
; ScratchSize: 0
; MemoryBound: 0
; FloatMode: 240
; IeeeMode: 1
; LDSByteSize: 0 bytes/workgroup (compile time only)
; SGPRBlocks: 0
; VGPRBlocks: 0
; NumSGPRsForWavesPerEU: 1
; NumVGPRsForWavesPerEU: 1
; NamedBarCnt: 0
; Occupancy: 16
; WaveLimiterHint : 0
; COMPUTE_PGM_RSRC2:SCRATCH_EN: 0
; COMPUTE_PGM_RSRC2:USER_SGPR: 2
; COMPUTE_PGM_RSRC2:TRAP_HANDLER: 0
; COMPUTE_PGM_RSRC2:TGID_X_EN: 1
; COMPUTE_PGM_RSRC2:TGID_Y_EN: 0
; COMPUTE_PGM_RSRC2:TGID_Z_EN: 0
; COMPUTE_PGM_RSRC2:TIDIG_COMP_CNT: 0
	.section	.text._ZN7rocprim17ROCPRIM_400000_NS6detail17trampoline_kernelINS0_13kernel_configILj256ELj4ELj4294967295EEENS1_37radix_sort_block_sort_config_selectorIlNS0_10empty_typeEEEZNS1_21radix_sort_block_sortIS4_Lb1EPKlPlPS6_SC_NS0_19identity_decomposerEEE10hipError_tT1_T2_T3_T4_jRjT5_jjP12ihipStream_tbEUlT_E_NS1_11comp_targetILNS1_3genE2ELNS1_11target_archE906ELNS1_3gpuE6ELNS1_3repE0EEENS1_44radix_sort_block_sort_config_static_selectorELNS0_4arch9wavefront6targetE0EEEvSF_,"axG",@progbits,_ZN7rocprim17ROCPRIM_400000_NS6detail17trampoline_kernelINS0_13kernel_configILj256ELj4ELj4294967295EEENS1_37radix_sort_block_sort_config_selectorIlNS0_10empty_typeEEEZNS1_21radix_sort_block_sortIS4_Lb1EPKlPlPS6_SC_NS0_19identity_decomposerEEE10hipError_tT1_T2_T3_T4_jRjT5_jjP12ihipStream_tbEUlT_E_NS1_11comp_targetILNS1_3genE2ELNS1_11target_archE906ELNS1_3gpuE6ELNS1_3repE0EEENS1_44radix_sort_block_sort_config_static_selectorELNS0_4arch9wavefront6targetE0EEEvSF_,comdat
	.protected	_ZN7rocprim17ROCPRIM_400000_NS6detail17trampoline_kernelINS0_13kernel_configILj256ELj4ELj4294967295EEENS1_37radix_sort_block_sort_config_selectorIlNS0_10empty_typeEEEZNS1_21radix_sort_block_sortIS4_Lb1EPKlPlPS6_SC_NS0_19identity_decomposerEEE10hipError_tT1_T2_T3_T4_jRjT5_jjP12ihipStream_tbEUlT_E_NS1_11comp_targetILNS1_3genE2ELNS1_11target_archE906ELNS1_3gpuE6ELNS1_3repE0EEENS1_44radix_sort_block_sort_config_static_selectorELNS0_4arch9wavefront6targetE0EEEvSF_ ; -- Begin function _ZN7rocprim17ROCPRIM_400000_NS6detail17trampoline_kernelINS0_13kernel_configILj256ELj4ELj4294967295EEENS1_37radix_sort_block_sort_config_selectorIlNS0_10empty_typeEEEZNS1_21radix_sort_block_sortIS4_Lb1EPKlPlPS6_SC_NS0_19identity_decomposerEEE10hipError_tT1_T2_T3_T4_jRjT5_jjP12ihipStream_tbEUlT_E_NS1_11comp_targetILNS1_3genE2ELNS1_11target_archE906ELNS1_3gpuE6ELNS1_3repE0EEENS1_44radix_sort_block_sort_config_static_selectorELNS0_4arch9wavefront6targetE0EEEvSF_
	.globl	_ZN7rocprim17ROCPRIM_400000_NS6detail17trampoline_kernelINS0_13kernel_configILj256ELj4ELj4294967295EEENS1_37radix_sort_block_sort_config_selectorIlNS0_10empty_typeEEEZNS1_21radix_sort_block_sortIS4_Lb1EPKlPlPS6_SC_NS0_19identity_decomposerEEE10hipError_tT1_T2_T3_T4_jRjT5_jjP12ihipStream_tbEUlT_E_NS1_11comp_targetILNS1_3genE2ELNS1_11target_archE906ELNS1_3gpuE6ELNS1_3repE0EEENS1_44radix_sort_block_sort_config_static_selectorELNS0_4arch9wavefront6targetE0EEEvSF_
	.p2align	8
	.type	_ZN7rocprim17ROCPRIM_400000_NS6detail17trampoline_kernelINS0_13kernel_configILj256ELj4ELj4294967295EEENS1_37radix_sort_block_sort_config_selectorIlNS0_10empty_typeEEEZNS1_21radix_sort_block_sortIS4_Lb1EPKlPlPS6_SC_NS0_19identity_decomposerEEE10hipError_tT1_T2_T3_T4_jRjT5_jjP12ihipStream_tbEUlT_E_NS1_11comp_targetILNS1_3genE2ELNS1_11target_archE906ELNS1_3gpuE6ELNS1_3repE0EEENS1_44radix_sort_block_sort_config_static_selectorELNS0_4arch9wavefront6targetE0EEEvSF_,@function
_ZN7rocprim17ROCPRIM_400000_NS6detail17trampoline_kernelINS0_13kernel_configILj256ELj4ELj4294967295EEENS1_37radix_sort_block_sort_config_selectorIlNS0_10empty_typeEEEZNS1_21radix_sort_block_sortIS4_Lb1EPKlPlPS6_SC_NS0_19identity_decomposerEEE10hipError_tT1_T2_T3_T4_jRjT5_jjP12ihipStream_tbEUlT_E_NS1_11comp_targetILNS1_3genE2ELNS1_11target_archE906ELNS1_3gpuE6ELNS1_3repE0EEENS1_44radix_sort_block_sort_config_static_selectorELNS0_4arch9wavefront6targetE0EEEvSF_: ; @_ZN7rocprim17ROCPRIM_400000_NS6detail17trampoline_kernelINS0_13kernel_configILj256ELj4ELj4294967295EEENS1_37radix_sort_block_sort_config_selectorIlNS0_10empty_typeEEEZNS1_21radix_sort_block_sortIS4_Lb1EPKlPlPS6_SC_NS0_19identity_decomposerEEE10hipError_tT1_T2_T3_T4_jRjT5_jjP12ihipStream_tbEUlT_E_NS1_11comp_targetILNS1_3genE2ELNS1_11target_archE906ELNS1_3gpuE6ELNS1_3repE0EEENS1_44radix_sort_block_sort_config_static_selectorELNS0_4arch9wavefront6targetE0EEEvSF_
; %bb.0:
	.section	.rodata,"a",@progbits
	.p2align	6, 0x0
	.amdhsa_kernel _ZN7rocprim17ROCPRIM_400000_NS6detail17trampoline_kernelINS0_13kernel_configILj256ELj4ELj4294967295EEENS1_37radix_sort_block_sort_config_selectorIlNS0_10empty_typeEEEZNS1_21radix_sort_block_sortIS4_Lb1EPKlPlPS6_SC_NS0_19identity_decomposerEEE10hipError_tT1_T2_T3_T4_jRjT5_jjP12ihipStream_tbEUlT_E_NS1_11comp_targetILNS1_3genE2ELNS1_11target_archE906ELNS1_3gpuE6ELNS1_3repE0EEENS1_44radix_sort_block_sort_config_static_selectorELNS0_4arch9wavefront6targetE0EEEvSF_
		.amdhsa_group_segment_fixed_size 0
		.amdhsa_private_segment_fixed_size 0
		.amdhsa_kernarg_size 48
		.amdhsa_user_sgpr_count 2
		.amdhsa_user_sgpr_dispatch_ptr 0
		.amdhsa_user_sgpr_queue_ptr 0
		.amdhsa_user_sgpr_kernarg_segment_ptr 1
		.amdhsa_user_sgpr_dispatch_id 0
		.amdhsa_user_sgpr_kernarg_preload_length 0
		.amdhsa_user_sgpr_kernarg_preload_offset 0
		.amdhsa_user_sgpr_private_segment_size 0
		.amdhsa_wavefront_size32 1
		.amdhsa_uses_dynamic_stack 0
		.amdhsa_enable_private_segment 0
		.amdhsa_system_sgpr_workgroup_id_x 1
		.amdhsa_system_sgpr_workgroup_id_y 0
		.amdhsa_system_sgpr_workgroup_id_z 0
		.amdhsa_system_sgpr_workgroup_info 0
		.amdhsa_system_vgpr_workitem_id 0
		.amdhsa_next_free_vgpr 1
		.amdhsa_next_free_sgpr 1
		.amdhsa_named_barrier_count 0
		.amdhsa_reserve_vcc 0
		.amdhsa_float_round_mode_32 0
		.amdhsa_float_round_mode_16_64 0
		.amdhsa_float_denorm_mode_32 3
		.amdhsa_float_denorm_mode_16_64 3
		.amdhsa_fp16_overflow 0
		.amdhsa_memory_ordered 1
		.amdhsa_forward_progress 1
		.amdhsa_inst_pref_size 0
		.amdhsa_round_robin_scheduling 0
		.amdhsa_exception_fp_ieee_invalid_op 0
		.amdhsa_exception_fp_denorm_src 0
		.amdhsa_exception_fp_ieee_div_zero 0
		.amdhsa_exception_fp_ieee_overflow 0
		.amdhsa_exception_fp_ieee_underflow 0
		.amdhsa_exception_fp_ieee_inexact 0
		.amdhsa_exception_int_div_zero 0
	.end_amdhsa_kernel
	.section	.text._ZN7rocprim17ROCPRIM_400000_NS6detail17trampoline_kernelINS0_13kernel_configILj256ELj4ELj4294967295EEENS1_37radix_sort_block_sort_config_selectorIlNS0_10empty_typeEEEZNS1_21radix_sort_block_sortIS4_Lb1EPKlPlPS6_SC_NS0_19identity_decomposerEEE10hipError_tT1_T2_T3_T4_jRjT5_jjP12ihipStream_tbEUlT_E_NS1_11comp_targetILNS1_3genE2ELNS1_11target_archE906ELNS1_3gpuE6ELNS1_3repE0EEENS1_44radix_sort_block_sort_config_static_selectorELNS0_4arch9wavefront6targetE0EEEvSF_,"axG",@progbits,_ZN7rocprim17ROCPRIM_400000_NS6detail17trampoline_kernelINS0_13kernel_configILj256ELj4ELj4294967295EEENS1_37radix_sort_block_sort_config_selectorIlNS0_10empty_typeEEEZNS1_21radix_sort_block_sortIS4_Lb1EPKlPlPS6_SC_NS0_19identity_decomposerEEE10hipError_tT1_T2_T3_T4_jRjT5_jjP12ihipStream_tbEUlT_E_NS1_11comp_targetILNS1_3genE2ELNS1_11target_archE906ELNS1_3gpuE6ELNS1_3repE0EEENS1_44radix_sort_block_sort_config_static_selectorELNS0_4arch9wavefront6targetE0EEEvSF_,comdat
.Lfunc_end1000:
	.size	_ZN7rocprim17ROCPRIM_400000_NS6detail17trampoline_kernelINS0_13kernel_configILj256ELj4ELj4294967295EEENS1_37radix_sort_block_sort_config_selectorIlNS0_10empty_typeEEEZNS1_21radix_sort_block_sortIS4_Lb1EPKlPlPS6_SC_NS0_19identity_decomposerEEE10hipError_tT1_T2_T3_T4_jRjT5_jjP12ihipStream_tbEUlT_E_NS1_11comp_targetILNS1_3genE2ELNS1_11target_archE906ELNS1_3gpuE6ELNS1_3repE0EEENS1_44radix_sort_block_sort_config_static_selectorELNS0_4arch9wavefront6targetE0EEEvSF_, .Lfunc_end1000-_ZN7rocprim17ROCPRIM_400000_NS6detail17trampoline_kernelINS0_13kernel_configILj256ELj4ELj4294967295EEENS1_37radix_sort_block_sort_config_selectorIlNS0_10empty_typeEEEZNS1_21radix_sort_block_sortIS4_Lb1EPKlPlPS6_SC_NS0_19identity_decomposerEEE10hipError_tT1_T2_T3_T4_jRjT5_jjP12ihipStream_tbEUlT_E_NS1_11comp_targetILNS1_3genE2ELNS1_11target_archE906ELNS1_3gpuE6ELNS1_3repE0EEENS1_44radix_sort_block_sort_config_static_selectorELNS0_4arch9wavefront6targetE0EEEvSF_
                                        ; -- End function
	.set _ZN7rocprim17ROCPRIM_400000_NS6detail17trampoline_kernelINS0_13kernel_configILj256ELj4ELj4294967295EEENS1_37radix_sort_block_sort_config_selectorIlNS0_10empty_typeEEEZNS1_21radix_sort_block_sortIS4_Lb1EPKlPlPS6_SC_NS0_19identity_decomposerEEE10hipError_tT1_T2_T3_T4_jRjT5_jjP12ihipStream_tbEUlT_E_NS1_11comp_targetILNS1_3genE2ELNS1_11target_archE906ELNS1_3gpuE6ELNS1_3repE0EEENS1_44radix_sort_block_sort_config_static_selectorELNS0_4arch9wavefront6targetE0EEEvSF_.num_vgpr, 0
	.set _ZN7rocprim17ROCPRIM_400000_NS6detail17trampoline_kernelINS0_13kernel_configILj256ELj4ELj4294967295EEENS1_37radix_sort_block_sort_config_selectorIlNS0_10empty_typeEEEZNS1_21radix_sort_block_sortIS4_Lb1EPKlPlPS6_SC_NS0_19identity_decomposerEEE10hipError_tT1_T2_T3_T4_jRjT5_jjP12ihipStream_tbEUlT_E_NS1_11comp_targetILNS1_3genE2ELNS1_11target_archE906ELNS1_3gpuE6ELNS1_3repE0EEENS1_44radix_sort_block_sort_config_static_selectorELNS0_4arch9wavefront6targetE0EEEvSF_.num_agpr, 0
	.set _ZN7rocprim17ROCPRIM_400000_NS6detail17trampoline_kernelINS0_13kernel_configILj256ELj4ELj4294967295EEENS1_37radix_sort_block_sort_config_selectorIlNS0_10empty_typeEEEZNS1_21radix_sort_block_sortIS4_Lb1EPKlPlPS6_SC_NS0_19identity_decomposerEEE10hipError_tT1_T2_T3_T4_jRjT5_jjP12ihipStream_tbEUlT_E_NS1_11comp_targetILNS1_3genE2ELNS1_11target_archE906ELNS1_3gpuE6ELNS1_3repE0EEENS1_44radix_sort_block_sort_config_static_selectorELNS0_4arch9wavefront6targetE0EEEvSF_.numbered_sgpr, 0
	.set _ZN7rocprim17ROCPRIM_400000_NS6detail17trampoline_kernelINS0_13kernel_configILj256ELj4ELj4294967295EEENS1_37radix_sort_block_sort_config_selectorIlNS0_10empty_typeEEEZNS1_21radix_sort_block_sortIS4_Lb1EPKlPlPS6_SC_NS0_19identity_decomposerEEE10hipError_tT1_T2_T3_T4_jRjT5_jjP12ihipStream_tbEUlT_E_NS1_11comp_targetILNS1_3genE2ELNS1_11target_archE906ELNS1_3gpuE6ELNS1_3repE0EEENS1_44radix_sort_block_sort_config_static_selectorELNS0_4arch9wavefront6targetE0EEEvSF_.num_named_barrier, 0
	.set _ZN7rocprim17ROCPRIM_400000_NS6detail17trampoline_kernelINS0_13kernel_configILj256ELj4ELj4294967295EEENS1_37radix_sort_block_sort_config_selectorIlNS0_10empty_typeEEEZNS1_21radix_sort_block_sortIS4_Lb1EPKlPlPS6_SC_NS0_19identity_decomposerEEE10hipError_tT1_T2_T3_T4_jRjT5_jjP12ihipStream_tbEUlT_E_NS1_11comp_targetILNS1_3genE2ELNS1_11target_archE906ELNS1_3gpuE6ELNS1_3repE0EEENS1_44radix_sort_block_sort_config_static_selectorELNS0_4arch9wavefront6targetE0EEEvSF_.private_seg_size, 0
	.set _ZN7rocprim17ROCPRIM_400000_NS6detail17trampoline_kernelINS0_13kernel_configILj256ELj4ELj4294967295EEENS1_37radix_sort_block_sort_config_selectorIlNS0_10empty_typeEEEZNS1_21radix_sort_block_sortIS4_Lb1EPKlPlPS6_SC_NS0_19identity_decomposerEEE10hipError_tT1_T2_T3_T4_jRjT5_jjP12ihipStream_tbEUlT_E_NS1_11comp_targetILNS1_3genE2ELNS1_11target_archE906ELNS1_3gpuE6ELNS1_3repE0EEENS1_44radix_sort_block_sort_config_static_selectorELNS0_4arch9wavefront6targetE0EEEvSF_.uses_vcc, 0
	.set _ZN7rocprim17ROCPRIM_400000_NS6detail17trampoline_kernelINS0_13kernel_configILj256ELj4ELj4294967295EEENS1_37radix_sort_block_sort_config_selectorIlNS0_10empty_typeEEEZNS1_21radix_sort_block_sortIS4_Lb1EPKlPlPS6_SC_NS0_19identity_decomposerEEE10hipError_tT1_T2_T3_T4_jRjT5_jjP12ihipStream_tbEUlT_E_NS1_11comp_targetILNS1_3genE2ELNS1_11target_archE906ELNS1_3gpuE6ELNS1_3repE0EEENS1_44radix_sort_block_sort_config_static_selectorELNS0_4arch9wavefront6targetE0EEEvSF_.uses_flat_scratch, 0
	.set _ZN7rocprim17ROCPRIM_400000_NS6detail17trampoline_kernelINS0_13kernel_configILj256ELj4ELj4294967295EEENS1_37radix_sort_block_sort_config_selectorIlNS0_10empty_typeEEEZNS1_21radix_sort_block_sortIS4_Lb1EPKlPlPS6_SC_NS0_19identity_decomposerEEE10hipError_tT1_T2_T3_T4_jRjT5_jjP12ihipStream_tbEUlT_E_NS1_11comp_targetILNS1_3genE2ELNS1_11target_archE906ELNS1_3gpuE6ELNS1_3repE0EEENS1_44radix_sort_block_sort_config_static_selectorELNS0_4arch9wavefront6targetE0EEEvSF_.has_dyn_sized_stack, 0
	.set _ZN7rocprim17ROCPRIM_400000_NS6detail17trampoline_kernelINS0_13kernel_configILj256ELj4ELj4294967295EEENS1_37radix_sort_block_sort_config_selectorIlNS0_10empty_typeEEEZNS1_21radix_sort_block_sortIS4_Lb1EPKlPlPS6_SC_NS0_19identity_decomposerEEE10hipError_tT1_T2_T3_T4_jRjT5_jjP12ihipStream_tbEUlT_E_NS1_11comp_targetILNS1_3genE2ELNS1_11target_archE906ELNS1_3gpuE6ELNS1_3repE0EEENS1_44radix_sort_block_sort_config_static_selectorELNS0_4arch9wavefront6targetE0EEEvSF_.has_recursion, 0
	.set _ZN7rocprim17ROCPRIM_400000_NS6detail17trampoline_kernelINS0_13kernel_configILj256ELj4ELj4294967295EEENS1_37radix_sort_block_sort_config_selectorIlNS0_10empty_typeEEEZNS1_21radix_sort_block_sortIS4_Lb1EPKlPlPS6_SC_NS0_19identity_decomposerEEE10hipError_tT1_T2_T3_T4_jRjT5_jjP12ihipStream_tbEUlT_E_NS1_11comp_targetILNS1_3genE2ELNS1_11target_archE906ELNS1_3gpuE6ELNS1_3repE0EEENS1_44radix_sort_block_sort_config_static_selectorELNS0_4arch9wavefront6targetE0EEEvSF_.has_indirect_call, 0
	.section	.AMDGPU.csdata,"",@progbits
; Kernel info:
; codeLenInByte = 0
; TotalNumSgprs: 0
; NumVgprs: 0
; ScratchSize: 0
; MemoryBound: 0
; FloatMode: 240
; IeeeMode: 1
; LDSByteSize: 0 bytes/workgroup (compile time only)
; SGPRBlocks: 0
; VGPRBlocks: 0
; NumSGPRsForWavesPerEU: 1
; NumVGPRsForWavesPerEU: 1
; NamedBarCnt: 0
; Occupancy: 16
; WaveLimiterHint : 0
; COMPUTE_PGM_RSRC2:SCRATCH_EN: 0
; COMPUTE_PGM_RSRC2:USER_SGPR: 2
; COMPUTE_PGM_RSRC2:TRAP_HANDLER: 0
; COMPUTE_PGM_RSRC2:TGID_X_EN: 1
; COMPUTE_PGM_RSRC2:TGID_Y_EN: 0
; COMPUTE_PGM_RSRC2:TGID_Z_EN: 0
; COMPUTE_PGM_RSRC2:TIDIG_COMP_CNT: 0
	.section	.text._ZN7rocprim17ROCPRIM_400000_NS6detail17trampoline_kernelINS0_13kernel_configILj256ELj4ELj4294967295EEENS1_37radix_sort_block_sort_config_selectorIlNS0_10empty_typeEEEZNS1_21radix_sort_block_sortIS4_Lb1EPKlPlPS6_SC_NS0_19identity_decomposerEEE10hipError_tT1_T2_T3_T4_jRjT5_jjP12ihipStream_tbEUlT_E_NS1_11comp_targetILNS1_3genE10ELNS1_11target_archE1201ELNS1_3gpuE5ELNS1_3repE0EEENS1_44radix_sort_block_sort_config_static_selectorELNS0_4arch9wavefront6targetE0EEEvSF_,"axG",@progbits,_ZN7rocprim17ROCPRIM_400000_NS6detail17trampoline_kernelINS0_13kernel_configILj256ELj4ELj4294967295EEENS1_37radix_sort_block_sort_config_selectorIlNS0_10empty_typeEEEZNS1_21radix_sort_block_sortIS4_Lb1EPKlPlPS6_SC_NS0_19identity_decomposerEEE10hipError_tT1_T2_T3_T4_jRjT5_jjP12ihipStream_tbEUlT_E_NS1_11comp_targetILNS1_3genE10ELNS1_11target_archE1201ELNS1_3gpuE5ELNS1_3repE0EEENS1_44radix_sort_block_sort_config_static_selectorELNS0_4arch9wavefront6targetE0EEEvSF_,comdat
	.protected	_ZN7rocprim17ROCPRIM_400000_NS6detail17trampoline_kernelINS0_13kernel_configILj256ELj4ELj4294967295EEENS1_37radix_sort_block_sort_config_selectorIlNS0_10empty_typeEEEZNS1_21radix_sort_block_sortIS4_Lb1EPKlPlPS6_SC_NS0_19identity_decomposerEEE10hipError_tT1_T2_T3_T4_jRjT5_jjP12ihipStream_tbEUlT_E_NS1_11comp_targetILNS1_3genE10ELNS1_11target_archE1201ELNS1_3gpuE5ELNS1_3repE0EEENS1_44radix_sort_block_sort_config_static_selectorELNS0_4arch9wavefront6targetE0EEEvSF_ ; -- Begin function _ZN7rocprim17ROCPRIM_400000_NS6detail17trampoline_kernelINS0_13kernel_configILj256ELj4ELj4294967295EEENS1_37radix_sort_block_sort_config_selectorIlNS0_10empty_typeEEEZNS1_21radix_sort_block_sortIS4_Lb1EPKlPlPS6_SC_NS0_19identity_decomposerEEE10hipError_tT1_T2_T3_T4_jRjT5_jjP12ihipStream_tbEUlT_E_NS1_11comp_targetILNS1_3genE10ELNS1_11target_archE1201ELNS1_3gpuE5ELNS1_3repE0EEENS1_44radix_sort_block_sort_config_static_selectorELNS0_4arch9wavefront6targetE0EEEvSF_
	.globl	_ZN7rocprim17ROCPRIM_400000_NS6detail17trampoline_kernelINS0_13kernel_configILj256ELj4ELj4294967295EEENS1_37radix_sort_block_sort_config_selectorIlNS0_10empty_typeEEEZNS1_21radix_sort_block_sortIS4_Lb1EPKlPlPS6_SC_NS0_19identity_decomposerEEE10hipError_tT1_T2_T3_T4_jRjT5_jjP12ihipStream_tbEUlT_E_NS1_11comp_targetILNS1_3genE10ELNS1_11target_archE1201ELNS1_3gpuE5ELNS1_3repE0EEENS1_44radix_sort_block_sort_config_static_selectorELNS0_4arch9wavefront6targetE0EEEvSF_
	.p2align	8
	.type	_ZN7rocprim17ROCPRIM_400000_NS6detail17trampoline_kernelINS0_13kernel_configILj256ELj4ELj4294967295EEENS1_37radix_sort_block_sort_config_selectorIlNS0_10empty_typeEEEZNS1_21radix_sort_block_sortIS4_Lb1EPKlPlPS6_SC_NS0_19identity_decomposerEEE10hipError_tT1_T2_T3_T4_jRjT5_jjP12ihipStream_tbEUlT_E_NS1_11comp_targetILNS1_3genE10ELNS1_11target_archE1201ELNS1_3gpuE5ELNS1_3repE0EEENS1_44radix_sort_block_sort_config_static_selectorELNS0_4arch9wavefront6targetE0EEEvSF_,@function
_ZN7rocprim17ROCPRIM_400000_NS6detail17trampoline_kernelINS0_13kernel_configILj256ELj4ELj4294967295EEENS1_37radix_sort_block_sort_config_selectorIlNS0_10empty_typeEEEZNS1_21radix_sort_block_sortIS4_Lb1EPKlPlPS6_SC_NS0_19identity_decomposerEEE10hipError_tT1_T2_T3_T4_jRjT5_jjP12ihipStream_tbEUlT_E_NS1_11comp_targetILNS1_3genE10ELNS1_11target_archE1201ELNS1_3gpuE5ELNS1_3repE0EEENS1_44radix_sort_block_sort_config_static_selectorELNS0_4arch9wavefront6targetE0EEEvSF_: ; @_ZN7rocprim17ROCPRIM_400000_NS6detail17trampoline_kernelINS0_13kernel_configILj256ELj4ELj4294967295EEENS1_37radix_sort_block_sort_config_selectorIlNS0_10empty_typeEEEZNS1_21radix_sort_block_sortIS4_Lb1EPKlPlPS6_SC_NS0_19identity_decomposerEEE10hipError_tT1_T2_T3_T4_jRjT5_jjP12ihipStream_tbEUlT_E_NS1_11comp_targetILNS1_3genE10ELNS1_11target_archE1201ELNS1_3gpuE5ELNS1_3repE0EEENS1_44radix_sort_block_sort_config_static_selectorELNS0_4arch9wavefront6targetE0EEEvSF_
; %bb.0:
	.section	.rodata,"a",@progbits
	.p2align	6, 0x0
	.amdhsa_kernel _ZN7rocprim17ROCPRIM_400000_NS6detail17trampoline_kernelINS0_13kernel_configILj256ELj4ELj4294967295EEENS1_37radix_sort_block_sort_config_selectorIlNS0_10empty_typeEEEZNS1_21radix_sort_block_sortIS4_Lb1EPKlPlPS6_SC_NS0_19identity_decomposerEEE10hipError_tT1_T2_T3_T4_jRjT5_jjP12ihipStream_tbEUlT_E_NS1_11comp_targetILNS1_3genE10ELNS1_11target_archE1201ELNS1_3gpuE5ELNS1_3repE0EEENS1_44radix_sort_block_sort_config_static_selectorELNS0_4arch9wavefront6targetE0EEEvSF_
		.amdhsa_group_segment_fixed_size 0
		.amdhsa_private_segment_fixed_size 0
		.amdhsa_kernarg_size 48
		.amdhsa_user_sgpr_count 2
		.amdhsa_user_sgpr_dispatch_ptr 0
		.amdhsa_user_sgpr_queue_ptr 0
		.amdhsa_user_sgpr_kernarg_segment_ptr 1
		.amdhsa_user_sgpr_dispatch_id 0
		.amdhsa_user_sgpr_kernarg_preload_length 0
		.amdhsa_user_sgpr_kernarg_preload_offset 0
		.amdhsa_user_sgpr_private_segment_size 0
		.amdhsa_wavefront_size32 1
		.amdhsa_uses_dynamic_stack 0
		.amdhsa_enable_private_segment 0
		.amdhsa_system_sgpr_workgroup_id_x 1
		.amdhsa_system_sgpr_workgroup_id_y 0
		.amdhsa_system_sgpr_workgroup_id_z 0
		.amdhsa_system_sgpr_workgroup_info 0
		.amdhsa_system_vgpr_workitem_id 0
		.amdhsa_next_free_vgpr 1
		.amdhsa_next_free_sgpr 1
		.amdhsa_named_barrier_count 0
		.amdhsa_reserve_vcc 0
		.amdhsa_float_round_mode_32 0
		.amdhsa_float_round_mode_16_64 0
		.amdhsa_float_denorm_mode_32 3
		.amdhsa_float_denorm_mode_16_64 3
		.amdhsa_fp16_overflow 0
		.amdhsa_memory_ordered 1
		.amdhsa_forward_progress 1
		.amdhsa_inst_pref_size 0
		.amdhsa_round_robin_scheduling 0
		.amdhsa_exception_fp_ieee_invalid_op 0
		.amdhsa_exception_fp_denorm_src 0
		.amdhsa_exception_fp_ieee_div_zero 0
		.amdhsa_exception_fp_ieee_overflow 0
		.amdhsa_exception_fp_ieee_underflow 0
		.amdhsa_exception_fp_ieee_inexact 0
		.amdhsa_exception_int_div_zero 0
	.end_amdhsa_kernel
	.section	.text._ZN7rocprim17ROCPRIM_400000_NS6detail17trampoline_kernelINS0_13kernel_configILj256ELj4ELj4294967295EEENS1_37radix_sort_block_sort_config_selectorIlNS0_10empty_typeEEEZNS1_21radix_sort_block_sortIS4_Lb1EPKlPlPS6_SC_NS0_19identity_decomposerEEE10hipError_tT1_T2_T3_T4_jRjT5_jjP12ihipStream_tbEUlT_E_NS1_11comp_targetILNS1_3genE10ELNS1_11target_archE1201ELNS1_3gpuE5ELNS1_3repE0EEENS1_44radix_sort_block_sort_config_static_selectorELNS0_4arch9wavefront6targetE0EEEvSF_,"axG",@progbits,_ZN7rocprim17ROCPRIM_400000_NS6detail17trampoline_kernelINS0_13kernel_configILj256ELj4ELj4294967295EEENS1_37radix_sort_block_sort_config_selectorIlNS0_10empty_typeEEEZNS1_21radix_sort_block_sortIS4_Lb1EPKlPlPS6_SC_NS0_19identity_decomposerEEE10hipError_tT1_T2_T3_T4_jRjT5_jjP12ihipStream_tbEUlT_E_NS1_11comp_targetILNS1_3genE10ELNS1_11target_archE1201ELNS1_3gpuE5ELNS1_3repE0EEENS1_44radix_sort_block_sort_config_static_selectorELNS0_4arch9wavefront6targetE0EEEvSF_,comdat
.Lfunc_end1001:
	.size	_ZN7rocprim17ROCPRIM_400000_NS6detail17trampoline_kernelINS0_13kernel_configILj256ELj4ELj4294967295EEENS1_37radix_sort_block_sort_config_selectorIlNS0_10empty_typeEEEZNS1_21radix_sort_block_sortIS4_Lb1EPKlPlPS6_SC_NS0_19identity_decomposerEEE10hipError_tT1_T2_T3_T4_jRjT5_jjP12ihipStream_tbEUlT_E_NS1_11comp_targetILNS1_3genE10ELNS1_11target_archE1201ELNS1_3gpuE5ELNS1_3repE0EEENS1_44radix_sort_block_sort_config_static_selectorELNS0_4arch9wavefront6targetE0EEEvSF_, .Lfunc_end1001-_ZN7rocprim17ROCPRIM_400000_NS6detail17trampoline_kernelINS0_13kernel_configILj256ELj4ELj4294967295EEENS1_37radix_sort_block_sort_config_selectorIlNS0_10empty_typeEEEZNS1_21radix_sort_block_sortIS4_Lb1EPKlPlPS6_SC_NS0_19identity_decomposerEEE10hipError_tT1_T2_T3_T4_jRjT5_jjP12ihipStream_tbEUlT_E_NS1_11comp_targetILNS1_3genE10ELNS1_11target_archE1201ELNS1_3gpuE5ELNS1_3repE0EEENS1_44radix_sort_block_sort_config_static_selectorELNS0_4arch9wavefront6targetE0EEEvSF_
                                        ; -- End function
	.set _ZN7rocprim17ROCPRIM_400000_NS6detail17trampoline_kernelINS0_13kernel_configILj256ELj4ELj4294967295EEENS1_37radix_sort_block_sort_config_selectorIlNS0_10empty_typeEEEZNS1_21radix_sort_block_sortIS4_Lb1EPKlPlPS6_SC_NS0_19identity_decomposerEEE10hipError_tT1_T2_T3_T4_jRjT5_jjP12ihipStream_tbEUlT_E_NS1_11comp_targetILNS1_3genE10ELNS1_11target_archE1201ELNS1_3gpuE5ELNS1_3repE0EEENS1_44radix_sort_block_sort_config_static_selectorELNS0_4arch9wavefront6targetE0EEEvSF_.num_vgpr, 0
	.set _ZN7rocprim17ROCPRIM_400000_NS6detail17trampoline_kernelINS0_13kernel_configILj256ELj4ELj4294967295EEENS1_37radix_sort_block_sort_config_selectorIlNS0_10empty_typeEEEZNS1_21radix_sort_block_sortIS4_Lb1EPKlPlPS6_SC_NS0_19identity_decomposerEEE10hipError_tT1_T2_T3_T4_jRjT5_jjP12ihipStream_tbEUlT_E_NS1_11comp_targetILNS1_3genE10ELNS1_11target_archE1201ELNS1_3gpuE5ELNS1_3repE0EEENS1_44radix_sort_block_sort_config_static_selectorELNS0_4arch9wavefront6targetE0EEEvSF_.num_agpr, 0
	.set _ZN7rocprim17ROCPRIM_400000_NS6detail17trampoline_kernelINS0_13kernel_configILj256ELj4ELj4294967295EEENS1_37radix_sort_block_sort_config_selectorIlNS0_10empty_typeEEEZNS1_21radix_sort_block_sortIS4_Lb1EPKlPlPS6_SC_NS0_19identity_decomposerEEE10hipError_tT1_T2_T3_T4_jRjT5_jjP12ihipStream_tbEUlT_E_NS1_11comp_targetILNS1_3genE10ELNS1_11target_archE1201ELNS1_3gpuE5ELNS1_3repE0EEENS1_44radix_sort_block_sort_config_static_selectorELNS0_4arch9wavefront6targetE0EEEvSF_.numbered_sgpr, 0
	.set _ZN7rocprim17ROCPRIM_400000_NS6detail17trampoline_kernelINS0_13kernel_configILj256ELj4ELj4294967295EEENS1_37radix_sort_block_sort_config_selectorIlNS0_10empty_typeEEEZNS1_21radix_sort_block_sortIS4_Lb1EPKlPlPS6_SC_NS0_19identity_decomposerEEE10hipError_tT1_T2_T3_T4_jRjT5_jjP12ihipStream_tbEUlT_E_NS1_11comp_targetILNS1_3genE10ELNS1_11target_archE1201ELNS1_3gpuE5ELNS1_3repE0EEENS1_44radix_sort_block_sort_config_static_selectorELNS0_4arch9wavefront6targetE0EEEvSF_.num_named_barrier, 0
	.set _ZN7rocprim17ROCPRIM_400000_NS6detail17trampoline_kernelINS0_13kernel_configILj256ELj4ELj4294967295EEENS1_37radix_sort_block_sort_config_selectorIlNS0_10empty_typeEEEZNS1_21radix_sort_block_sortIS4_Lb1EPKlPlPS6_SC_NS0_19identity_decomposerEEE10hipError_tT1_T2_T3_T4_jRjT5_jjP12ihipStream_tbEUlT_E_NS1_11comp_targetILNS1_3genE10ELNS1_11target_archE1201ELNS1_3gpuE5ELNS1_3repE0EEENS1_44radix_sort_block_sort_config_static_selectorELNS0_4arch9wavefront6targetE0EEEvSF_.private_seg_size, 0
	.set _ZN7rocprim17ROCPRIM_400000_NS6detail17trampoline_kernelINS0_13kernel_configILj256ELj4ELj4294967295EEENS1_37radix_sort_block_sort_config_selectorIlNS0_10empty_typeEEEZNS1_21radix_sort_block_sortIS4_Lb1EPKlPlPS6_SC_NS0_19identity_decomposerEEE10hipError_tT1_T2_T3_T4_jRjT5_jjP12ihipStream_tbEUlT_E_NS1_11comp_targetILNS1_3genE10ELNS1_11target_archE1201ELNS1_3gpuE5ELNS1_3repE0EEENS1_44radix_sort_block_sort_config_static_selectorELNS0_4arch9wavefront6targetE0EEEvSF_.uses_vcc, 0
	.set _ZN7rocprim17ROCPRIM_400000_NS6detail17trampoline_kernelINS0_13kernel_configILj256ELj4ELj4294967295EEENS1_37radix_sort_block_sort_config_selectorIlNS0_10empty_typeEEEZNS1_21radix_sort_block_sortIS4_Lb1EPKlPlPS6_SC_NS0_19identity_decomposerEEE10hipError_tT1_T2_T3_T4_jRjT5_jjP12ihipStream_tbEUlT_E_NS1_11comp_targetILNS1_3genE10ELNS1_11target_archE1201ELNS1_3gpuE5ELNS1_3repE0EEENS1_44radix_sort_block_sort_config_static_selectorELNS0_4arch9wavefront6targetE0EEEvSF_.uses_flat_scratch, 0
	.set _ZN7rocprim17ROCPRIM_400000_NS6detail17trampoline_kernelINS0_13kernel_configILj256ELj4ELj4294967295EEENS1_37radix_sort_block_sort_config_selectorIlNS0_10empty_typeEEEZNS1_21radix_sort_block_sortIS4_Lb1EPKlPlPS6_SC_NS0_19identity_decomposerEEE10hipError_tT1_T2_T3_T4_jRjT5_jjP12ihipStream_tbEUlT_E_NS1_11comp_targetILNS1_3genE10ELNS1_11target_archE1201ELNS1_3gpuE5ELNS1_3repE0EEENS1_44radix_sort_block_sort_config_static_selectorELNS0_4arch9wavefront6targetE0EEEvSF_.has_dyn_sized_stack, 0
	.set _ZN7rocprim17ROCPRIM_400000_NS6detail17trampoline_kernelINS0_13kernel_configILj256ELj4ELj4294967295EEENS1_37radix_sort_block_sort_config_selectorIlNS0_10empty_typeEEEZNS1_21radix_sort_block_sortIS4_Lb1EPKlPlPS6_SC_NS0_19identity_decomposerEEE10hipError_tT1_T2_T3_T4_jRjT5_jjP12ihipStream_tbEUlT_E_NS1_11comp_targetILNS1_3genE10ELNS1_11target_archE1201ELNS1_3gpuE5ELNS1_3repE0EEENS1_44radix_sort_block_sort_config_static_selectorELNS0_4arch9wavefront6targetE0EEEvSF_.has_recursion, 0
	.set _ZN7rocprim17ROCPRIM_400000_NS6detail17trampoline_kernelINS0_13kernel_configILj256ELj4ELj4294967295EEENS1_37radix_sort_block_sort_config_selectorIlNS0_10empty_typeEEEZNS1_21radix_sort_block_sortIS4_Lb1EPKlPlPS6_SC_NS0_19identity_decomposerEEE10hipError_tT1_T2_T3_T4_jRjT5_jjP12ihipStream_tbEUlT_E_NS1_11comp_targetILNS1_3genE10ELNS1_11target_archE1201ELNS1_3gpuE5ELNS1_3repE0EEENS1_44radix_sort_block_sort_config_static_selectorELNS0_4arch9wavefront6targetE0EEEvSF_.has_indirect_call, 0
	.section	.AMDGPU.csdata,"",@progbits
; Kernel info:
; codeLenInByte = 0
; TotalNumSgprs: 0
; NumVgprs: 0
; ScratchSize: 0
; MemoryBound: 0
; FloatMode: 240
; IeeeMode: 1
; LDSByteSize: 0 bytes/workgroup (compile time only)
; SGPRBlocks: 0
; VGPRBlocks: 0
; NumSGPRsForWavesPerEU: 1
; NumVGPRsForWavesPerEU: 1
; NamedBarCnt: 0
; Occupancy: 16
; WaveLimiterHint : 0
; COMPUTE_PGM_RSRC2:SCRATCH_EN: 0
; COMPUTE_PGM_RSRC2:USER_SGPR: 2
; COMPUTE_PGM_RSRC2:TRAP_HANDLER: 0
; COMPUTE_PGM_RSRC2:TGID_X_EN: 1
; COMPUTE_PGM_RSRC2:TGID_Y_EN: 0
; COMPUTE_PGM_RSRC2:TGID_Z_EN: 0
; COMPUTE_PGM_RSRC2:TIDIG_COMP_CNT: 0
	.section	.text._ZN7rocprim17ROCPRIM_400000_NS6detail17trampoline_kernelINS0_13kernel_configILj256ELj4ELj4294967295EEENS1_37radix_sort_block_sort_config_selectorIlNS0_10empty_typeEEEZNS1_21radix_sort_block_sortIS4_Lb1EPKlPlPS6_SC_NS0_19identity_decomposerEEE10hipError_tT1_T2_T3_T4_jRjT5_jjP12ihipStream_tbEUlT_E_NS1_11comp_targetILNS1_3genE10ELNS1_11target_archE1200ELNS1_3gpuE4ELNS1_3repE0EEENS1_44radix_sort_block_sort_config_static_selectorELNS0_4arch9wavefront6targetE0EEEvSF_,"axG",@progbits,_ZN7rocprim17ROCPRIM_400000_NS6detail17trampoline_kernelINS0_13kernel_configILj256ELj4ELj4294967295EEENS1_37radix_sort_block_sort_config_selectorIlNS0_10empty_typeEEEZNS1_21radix_sort_block_sortIS4_Lb1EPKlPlPS6_SC_NS0_19identity_decomposerEEE10hipError_tT1_T2_T3_T4_jRjT5_jjP12ihipStream_tbEUlT_E_NS1_11comp_targetILNS1_3genE10ELNS1_11target_archE1200ELNS1_3gpuE4ELNS1_3repE0EEENS1_44radix_sort_block_sort_config_static_selectorELNS0_4arch9wavefront6targetE0EEEvSF_,comdat
	.protected	_ZN7rocprim17ROCPRIM_400000_NS6detail17trampoline_kernelINS0_13kernel_configILj256ELj4ELj4294967295EEENS1_37radix_sort_block_sort_config_selectorIlNS0_10empty_typeEEEZNS1_21radix_sort_block_sortIS4_Lb1EPKlPlPS6_SC_NS0_19identity_decomposerEEE10hipError_tT1_T2_T3_T4_jRjT5_jjP12ihipStream_tbEUlT_E_NS1_11comp_targetILNS1_3genE10ELNS1_11target_archE1200ELNS1_3gpuE4ELNS1_3repE0EEENS1_44radix_sort_block_sort_config_static_selectorELNS0_4arch9wavefront6targetE0EEEvSF_ ; -- Begin function _ZN7rocprim17ROCPRIM_400000_NS6detail17trampoline_kernelINS0_13kernel_configILj256ELj4ELj4294967295EEENS1_37radix_sort_block_sort_config_selectorIlNS0_10empty_typeEEEZNS1_21radix_sort_block_sortIS4_Lb1EPKlPlPS6_SC_NS0_19identity_decomposerEEE10hipError_tT1_T2_T3_T4_jRjT5_jjP12ihipStream_tbEUlT_E_NS1_11comp_targetILNS1_3genE10ELNS1_11target_archE1200ELNS1_3gpuE4ELNS1_3repE0EEENS1_44radix_sort_block_sort_config_static_selectorELNS0_4arch9wavefront6targetE0EEEvSF_
	.globl	_ZN7rocprim17ROCPRIM_400000_NS6detail17trampoline_kernelINS0_13kernel_configILj256ELj4ELj4294967295EEENS1_37radix_sort_block_sort_config_selectorIlNS0_10empty_typeEEEZNS1_21radix_sort_block_sortIS4_Lb1EPKlPlPS6_SC_NS0_19identity_decomposerEEE10hipError_tT1_T2_T3_T4_jRjT5_jjP12ihipStream_tbEUlT_E_NS1_11comp_targetILNS1_3genE10ELNS1_11target_archE1200ELNS1_3gpuE4ELNS1_3repE0EEENS1_44radix_sort_block_sort_config_static_selectorELNS0_4arch9wavefront6targetE0EEEvSF_
	.p2align	8
	.type	_ZN7rocprim17ROCPRIM_400000_NS6detail17trampoline_kernelINS0_13kernel_configILj256ELj4ELj4294967295EEENS1_37radix_sort_block_sort_config_selectorIlNS0_10empty_typeEEEZNS1_21radix_sort_block_sortIS4_Lb1EPKlPlPS6_SC_NS0_19identity_decomposerEEE10hipError_tT1_T2_T3_T4_jRjT5_jjP12ihipStream_tbEUlT_E_NS1_11comp_targetILNS1_3genE10ELNS1_11target_archE1200ELNS1_3gpuE4ELNS1_3repE0EEENS1_44radix_sort_block_sort_config_static_selectorELNS0_4arch9wavefront6targetE0EEEvSF_,@function
_ZN7rocprim17ROCPRIM_400000_NS6detail17trampoline_kernelINS0_13kernel_configILj256ELj4ELj4294967295EEENS1_37radix_sort_block_sort_config_selectorIlNS0_10empty_typeEEEZNS1_21radix_sort_block_sortIS4_Lb1EPKlPlPS6_SC_NS0_19identity_decomposerEEE10hipError_tT1_T2_T3_T4_jRjT5_jjP12ihipStream_tbEUlT_E_NS1_11comp_targetILNS1_3genE10ELNS1_11target_archE1200ELNS1_3gpuE4ELNS1_3repE0EEENS1_44radix_sort_block_sort_config_static_selectorELNS0_4arch9wavefront6targetE0EEEvSF_: ; @_ZN7rocprim17ROCPRIM_400000_NS6detail17trampoline_kernelINS0_13kernel_configILj256ELj4ELj4294967295EEENS1_37radix_sort_block_sort_config_selectorIlNS0_10empty_typeEEEZNS1_21radix_sort_block_sortIS4_Lb1EPKlPlPS6_SC_NS0_19identity_decomposerEEE10hipError_tT1_T2_T3_T4_jRjT5_jjP12ihipStream_tbEUlT_E_NS1_11comp_targetILNS1_3genE10ELNS1_11target_archE1200ELNS1_3gpuE4ELNS1_3repE0EEENS1_44radix_sort_block_sort_config_static_selectorELNS0_4arch9wavefront6targetE0EEEvSF_
; %bb.0:
	.section	.rodata,"a",@progbits
	.p2align	6, 0x0
	.amdhsa_kernel _ZN7rocprim17ROCPRIM_400000_NS6detail17trampoline_kernelINS0_13kernel_configILj256ELj4ELj4294967295EEENS1_37radix_sort_block_sort_config_selectorIlNS0_10empty_typeEEEZNS1_21radix_sort_block_sortIS4_Lb1EPKlPlPS6_SC_NS0_19identity_decomposerEEE10hipError_tT1_T2_T3_T4_jRjT5_jjP12ihipStream_tbEUlT_E_NS1_11comp_targetILNS1_3genE10ELNS1_11target_archE1200ELNS1_3gpuE4ELNS1_3repE0EEENS1_44radix_sort_block_sort_config_static_selectorELNS0_4arch9wavefront6targetE0EEEvSF_
		.amdhsa_group_segment_fixed_size 0
		.amdhsa_private_segment_fixed_size 0
		.amdhsa_kernarg_size 48
		.amdhsa_user_sgpr_count 2
		.amdhsa_user_sgpr_dispatch_ptr 0
		.amdhsa_user_sgpr_queue_ptr 0
		.amdhsa_user_sgpr_kernarg_segment_ptr 1
		.amdhsa_user_sgpr_dispatch_id 0
		.amdhsa_user_sgpr_kernarg_preload_length 0
		.amdhsa_user_sgpr_kernarg_preload_offset 0
		.amdhsa_user_sgpr_private_segment_size 0
		.amdhsa_wavefront_size32 1
		.amdhsa_uses_dynamic_stack 0
		.amdhsa_enable_private_segment 0
		.amdhsa_system_sgpr_workgroup_id_x 1
		.amdhsa_system_sgpr_workgroup_id_y 0
		.amdhsa_system_sgpr_workgroup_id_z 0
		.amdhsa_system_sgpr_workgroup_info 0
		.amdhsa_system_vgpr_workitem_id 0
		.amdhsa_next_free_vgpr 1
		.amdhsa_next_free_sgpr 1
		.amdhsa_named_barrier_count 0
		.amdhsa_reserve_vcc 0
		.amdhsa_float_round_mode_32 0
		.amdhsa_float_round_mode_16_64 0
		.amdhsa_float_denorm_mode_32 3
		.amdhsa_float_denorm_mode_16_64 3
		.amdhsa_fp16_overflow 0
		.amdhsa_memory_ordered 1
		.amdhsa_forward_progress 1
		.amdhsa_inst_pref_size 0
		.amdhsa_round_robin_scheduling 0
		.amdhsa_exception_fp_ieee_invalid_op 0
		.amdhsa_exception_fp_denorm_src 0
		.amdhsa_exception_fp_ieee_div_zero 0
		.amdhsa_exception_fp_ieee_overflow 0
		.amdhsa_exception_fp_ieee_underflow 0
		.amdhsa_exception_fp_ieee_inexact 0
		.amdhsa_exception_int_div_zero 0
	.end_amdhsa_kernel
	.section	.text._ZN7rocprim17ROCPRIM_400000_NS6detail17trampoline_kernelINS0_13kernel_configILj256ELj4ELj4294967295EEENS1_37radix_sort_block_sort_config_selectorIlNS0_10empty_typeEEEZNS1_21radix_sort_block_sortIS4_Lb1EPKlPlPS6_SC_NS0_19identity_decomposerEEE10hipError_tT1_T2_T3_T4_jRjT5_jjP12ihipStream_tbEUlT_E_NS1_11comp_targetILNS1_3genE10ELNS1_11target_archE1200ELNS1_3gpuE4ELNS1_3repE0EEENS1_44radix_sort_block_sort_config_static_selectorELNS0_4arch9wavefront6targetE0EEEvSF_,"axG",@progbits,_ZN7rocprim17ROCPRIM_400000_NS6detail17trampoline_kernelINS0_13kernel_configILj256ELj4ELj4294967295EEENS1_37radix_sort_block_sort_config_selectorIlNS0_10empty_typeEEEZNS1_21radix_sort_block_sortIS4_Lb1EPKlPlPS6_SC_NS0_19identity_decomposerEEE10hipError_tT1_T2_T3_T4_jRjT5_jjP12ihipStream_tbEUlT_E_NS1_11comp_targetILNS1_3genE10ELNS1_11target_archE1200ELNS1_3gpuE4ELNS1_3repE0EEENS1_44radix_sort_block_sort_config_static_selectorELNS0_4arch9wavefront6targetE0EEEvSF_,comdat
.Lfunc_end1002:
	.size	_ZN7rocprim17ROCPRIM_400000_NS6detail17trampoline_kernelINS0_13kernel_configILj256ELj4ELj4294967295EEENS1_37radix_sort_block_sort_config_selectorIlNS0_10empty_typeEEEZNS1_21radix_sort_block_sortIS4_Lb1EPKlPlPS6_SC_NS0_19identity_decomposerEEE10hipError_tT1_T2_T3_T4_jRjT5_jjP12ihipStream_tbEUlT_E_NS1_11comp_targetILNS1_3genE10ELNS1_11target_archE1200ELNS1_3gpuE4ELNS1_3repE0EEENS1_44radix_sort_block_sort_config_static_selectorELNS0_4arch9wavefront6targetE0EEEvSF_, .Lfunc_end1002-_ZN7rocprim17ROCPRIM_400000_NS6detail17trampoline_kernelINS0_13kernel_configILj256ELj4ELj4294967295EEENS1_37radix_sort_block_sort_config_selectorIlNS0_10empty_typeEEEZNS1_21radix_sort_block_sortIS4_Lb1EPKlPlPS6_SC_NS0_19identity_decomposerEEE10hipError_tT1_T2_T3_T4_jRjT5_jjP12ihipStream_tbEUlT_E_NS1_11comp_targetILNS1_3genE10ELNS1_11target_archE1200ELNS1_3gpuE4ELNS1_3repE0EEENS1_44radix_sort_block_sort_config_static_selectorELNS0_4arch9wavefront6targetE0EEEvSF_
                                        ; -- End function
	.set _ZN7rocprim17ROCPRIM_400000_NS6detail17trampoline_kernelINS0_13kernel_configILj256ELj4ELj4294967295EEENS1_37radix_sort_block_sort_config_selectorIlNS0_10empty_typeEEEZNS1_21radix_sort_block_sortIS4_Lb1EPKlPlPS6_SC_NS0_19identity_decomposerEEE10hipError_tT1_T2_T3_T4_jRjT5_jjP12ihipStream_tbEUlT_E_NS1_11comp_targetILNS1_3genE10ELNS1_11target_archE1200ELNS1_3gpuE4ELNS1_3repE0EEENS1_44radix_sort_block_sort_config_static_selectorELNS0_4arch9wavefront6targetE0EEEvSF_.num_vgpr, 0
	.set _ZN7rocprim17ROCPRIM_400000_NS6detail17trampoline_kernelINS0_13kernel_configILj256ELj4ELj4294967295EEENS1_37radix_sort_block_sort_config_selectorIlNS0_10empty_typeEEEZNS1_21radix_sort_block_sortIS4_Lb1EPKlPlPS6_SC_NS0_19identity_decomposerEEE10hipError_tT1_T2_T3_T4_jRjT5_jjP12ihipStream_tbEUlT_E_NS1_11comp_targetILNS1_3genE10ELNS1_11target_archE1200ELNS1_3gpuE4ELNS1_3repE0EEENS1_44radix_sort_block_sort_config_static_selectorELNS0_4arch9wavefront6targetE0EEEvSF_.num_agpr, 0
	.set _ZN7rocprim17ROCPRIM_400000_NS6detail17trampoline_kernelINS0_13kernel_configILj256ELj4ELj4294967295EEENS1_37radix_sort_block_sort_config_selectorIlNS0_10empty_typeEEEZNS1_21radix_sort_block_sortIS4_Lb1EPKlPlPS6_SC_NS0_19identity_decomposerEEE10hipError_tT1_T2_T3_T4_jRjT5_jjP12ihipStream_tbEUlT_E_NS1_11comp_targetILNS1_3genE10ELNS1_11target_archE1200ELNS1_3gpuE4ELNS1_3repE0EEENS1_44radix_sort_block_sort_config_static_selectorELNS0_4arch9wavefront6targetE0EEEvSF_.numbered_sgpr, 0
	.set _ZN7rocprim17ROCPRIM_400000_NS6detail17trampoline_kernelINS0_13kernel_configILj256ELj4ELj4294967295EEENS1_37radix_sort_block_sort_config_selectorIlNS0_10empty_typeEEEZNS1_21radix_sort_block_sortIS4_Lb1EPKlPlPS6_SC_NS0_19identity_decomposerEEE10hipError_tT1_T2_T3_T4_jRjT5_jjP12ihipStream_tbEUlT_E_NS1_11comp_targetILNS1_3genE10ELNS1_11target_archE1200ELNS1_3gpuE4ELNS1_3repE0EEENS1_44radix_sort_block_sort_config_static_selectorELNS0_4arch9wavefront6targetE0EEEvSF_.num_named_barrier, 0
	.set _ZN7rocprim17ROCPRIM_400000_NS6detail17trampoline_kernelINS0_13kernel_configILj256ELj4ELj4294967295EEENS1_37radix_sort_block_sort_config_selectorIlNS0_10empty_typeEEEZNS1_21radix_sort_block_sortIS4_Lb1EPKlPlPS6_SC_NS0_19identity_decomposerEEE10hipError_tT1_T2_T3_T4_jRjT5_jjP12ihipStream_tbEUlT_E_NS1_11comp_targetILNS1_3genE10ELNS1_11target_archE1200ELNS1_3gpuE4ELNS1_3repE0EEENS1_44radix_sort_block_sort_config_static_selectorELNS0_4arch9wavefront6targetE0EEEvSF_.private_seg_size, 0
	.set _ZN7rocprim17ROCPRIM_400000_NS6detail17trampoline_kernelINS0_13kernel_configILj256ELj4ELj4294967295EEENS1_37radix_sort_block_sort_config_selectorIlNS0_10empty_typeEEEZNS1_21radix_sort_block_sortIS4_Lb1EPKlPlPS6_SC_NS0_19identity_decomposerEEE10hipError_tT1_T2_T3_T4_jRjT5_jjP12ihipStream_tbEUlT_E_NS1_11comp_targetILNS1_3genE10ELNS1_11target_archE1200ELNS1_3gpuE4ELNS1_3repE0EEENS1_44radix_sort_block_sort_config_static_selectorELNS0_4arch9wavefront6targetE0EEEvSF_.uses_vcc, 0
	.set _ZN7rocprim17ROCPRIM_400000_NS6detail17trampoline_kernelINS0_13kernel_configILj256ELj4ELj4294967295EEENS1_37radix_sort_block_sort_config_selectorIlNS0_10empty_typeEEEZNS1_21radix_sort_block_sortIS4_Lb1EPKlPlPS6_SC_NS0_19identity_decomposerEEE10hipError_tT1_T2_T3_T4_jRjT5_jjP12ihipStream_tbEUlT_E_NS1_11comp_targetILNS1_3genE10ELNS1_11target_archE1200ELNS1_3gpuE4ELNS1_3repE0EEENS1_44radix_sort_block_sort_config_static_selectorELNS0_4arch9wavefront6targetE0EEEvSF_.uses_flat_scratch, 0
	.set _ZN7rocprim17ROCPRIM_400000_NS6detail17trampoline_kernelINS0_13kernel_configILj256ELj4ELj4294967295EEENS1_37radix_sort_block_sort_config_selectorIlNS0_10empty_typeEEEZNS1_21radix_sort_block_sortIS4_Lb1EPKlPlPS6_SC_NS0_19identity_decomposerEEE10hipError_tT1_T2_T3_T4_jRjT5_jjP12ihipStream_tbEUlT_E_NS1_11comp_targetILNS1_3genE10ELNS1_11target_archE1200ELNS1_3gpuE4ELNS1_3repE0EEENS1_44radix_sort_block_sort_config_static_selectorELNS0_4arch9wavefront6targetE0EEEvSF_.has_dyn_sized_stack, 0
	.set _ZN7rocprim17ROCPRIM_400000_NS6detail17trampoline_kernelINS0_13kernel_configILj256ELj4ELj4294967295EEENS1_37radix_sort_block_sort_config_selectorIlNS0_10empty_typeEEEZNS1_21radix_sort_block_sortIS4_Lb1EPKlPlPS6_SC_NS0_19identity_decomposerEEE10hipError_tT1_T2_T3_T4_jRjT5_jjP12ihipStream_tbEUlT_E_NS1_11comp_targetILNS1_3genE10ELNS1_11target_archE1200ELNS1_3gpuE4ELNS1_3repE0EEENS1_44radix_sort_block_sort_config_static_selectorELNS0_4arch9wavefront6targetE0EEEvSF_.has_recursion, 0
	.set _ZN7rocprim17ROCPRIM_400000_NS6detail17trampoline_kernelINS0_13kernel_configILj256ELj4ELj4294967295EEENS1_37radix_sort_block_sort_config_selectorIlNS0_10empty_typeEEEZNS1_21radix_sort_block_sortIS4_Lb1EPKlPlPS6_SC_NS0_19identity_decomposerEEE10hipError_tT1_T2_T3_T4_jRjT5_jjP12ihipStream_tbEUlT_E_NS1_11comp_targetILNS1_3genE10ELNS1_11target_archE1200ELNS1_3gpuE4ELNS1_3repE0EEENS1_44radix_sort_block_sort_config_static_selectorELNS0_4arch9wavefront6targetE0EEEvSF_.has_indirect_call, 0
	.section	.AMDGPU.csdata,"",@progbits
; Kernel info:
; codeLenInByte = 0
; TotalNumSgprs: 0
; NumVgprs: 0
; ScratchSize: 0
; MemoryBound: 0
; FloatMode: 240
; IeeeMode: 1
; LDSByteSize: 0 bytes/workgroup (compile time only)
; SGPRBlocks: 0
; VGPRBlocks: 0
; NumSGPRsForWavesPerEU: 1
; NumVGPRsForWavesPerEU: 1
; NamedBarCnt: 0
; Occupancy: 16
; WaveLimiterHint : 0
; COMPUTE_PGM_RSRC2:SCRATCH_EN: 0
; COMPUTE_PGM_RSRC2:USER_SGPR: 2
; COMPUTE_PGM_RSRC2:TRAP_HANDLER: 0
; COMPUTE_PGM_RSRC2:TGID_X_EN: 1
; COMPUTE_PGM_RSRC2:TGID_Y_EN: 0
; COMPUTE_PGM_RSRC2:TGID_Z_EN: 0
; COMPUTE_PGM_RSRC2:TIDIG_COMP_CNT: 0
	.section	.text._ZN7rocprim17ROCPRIM_400000_NS6detail17trampoline_kernelINS0_13kernel_configILj256ELj4ELj4294967295EEENS1_37radix_sort_block_sort_config_selectorIlNS0_10empty_typeEEEZNS1_21radix_sort_block_sortIS4_Lb1EPKlPlPS6_SC_NS0_19identity_decomposerEEE10hipError_tT1_T2_T3_T4_jRjT5_jjP12ihipStream_tbEUlT_E_NS1_11comp_targetILNS1_3genE9ELNS1_11target_archE1100ELNS1_3gpuE3ELNS1_3repE0EEENS1_44radix_sort_block_sort_config_static_selectorELNS0_4arch9wavefront6targetE0EEEvSF_,"axG",@progbits,_ZN7rocprim17ROCPRIM_400000_NS6detail17trampoline_kernelINS0_13kernel_configILj256ELj4ELj4294967295EEENS1_37radix_sort_block_sort_config_selectorIlNS0_10empty_typeEEEZNS1_21radix_sort_block_sortIS4_Lb1EPKlPlPS6_SC_NS0_19identity_decomposerEEE10hipError_tT1_T2_T3_T4_jRjT5_jjP12ihipStream_tbEUlT_E_NS1_11comp_targetILNS1_3genE9ELNS1_11target_archE1100ELNS1_3gpuE3ELNS1_3repE0EEENS1_44radix_sort_block_sort_config_static_selectorELNS0_4arch9wavefront6targetE0EEEvSF_,comdat
	.protected	_ZN7rocprim17ROCPRIM_400000_NS6detail17trampoline_kernelINS0_13kernel_configILj256ELj4ELj4294967295EEENS1_37radix_sort_block_sort_config_selectorIlNS0_10empty_typeEEEZNS1_21radix_sort_block_sortIS4_Lb1EPKlPlPS6_SC_NS0_19identity_decomposerEEE10hipError_tT1_T2_T3_T4_jRjT5_jjP12ihipStream_tbEUlT_E_NS1_11comp_targetILNS1_3genE9ELNS1_11target_archE1100ELNS1_3gpuE3ELNS1_3repE0EEENS1_44radix_sort_block_sort_config_static_selectorELNS0_4arch9wavefront6targetE0EEEvSF_ ; -- Begin function _ZN7rocprim17ROCPRIM_400000_NS6detail17trampoline_kernelINS0_13kernel_configILj256ELj4ELj4294967295EEENS1_37radix_sort_block_sort_config_selectorIlNS0_10empty_typeEEEZNS1_21radix_sort_block_sortIS4_Lb1EPKlPlPS6_SC_NS0_19identity_decomposerEEE10hipError_tT1_T2_T3_T4_jRjT5_jjP12ihipStream_tbEUlT_E_NS1_11comp_targetILNS1_3genE9ELNS1_11target_archE1100ELNS1_3gpuE3ELNS1_3repE0EEENS1_44radix_sort_block_sort_config_static_selectorELNS0_4arch9wavefront6targetE0EEEvSF_
	.globl	_ZN7rocprim17ROCPRIM_400000_NS6detail17trampoline_kernelINS0_13kernel_configILj256ELj4ELj4294967295EEENS1_37radix_sort_block_sort_config_selectorIlNS0_10empty_typeEEEZNS1_21radix_sort_block_sortIS4_Lb1EPKlPlPS6_SC_NS0_19identity_decomposerEEE10hipError_tT1_T2_T3_T4_jRjT5_jjP12ihipStream_tbEUlT_E_NS1_11comp_targetILNS1_3genE9ELNS1_11target_archE1100ELNS1_3gpuE3ELNS1_3repE0EEENS1_44radix_sort_block_sort_config_static_selectorELNS0_4arch9wavefront6targetE0EEEvSF_
	.p2align	8
	.type	_ZN7rocprim17ROCPRIM_400000_NS6detail17trampoline_kernelINS0_13kernel_configILj256ELj4ELj4294967295EEENS1_37radix_sort_block_sort_config_selectorIlNS0_10empty_typeEEEZNS1_21radix_sort_block_sortIS4_Lb1EPKlPlPS6_SC_NS0_19identity_decomposerEEE10hipError_tT1_T2_T3_T4_jRjT5_jjP12ihipStream_tbEUlT_E_NS1_11comp_targetILNS1_3genE9ELNS1_11target_archE1100ELNS1_3gpuE3ELNS1_3repE0EEENS1_44radix_sort_block_sort_config_static_selectorELNS0_4arch9wavefront6targetE0EEEvSF_,@function
_ZN7rocprim17ROCPRIM_400000_NS6detail17trampoline_kernelINS0_13kernel_configILj256ELj4ELj4294967295EEENS1_37radix_sort_block_sort_config_selectorIlNS0_10empty_typeEEEZNS1_21radix_sort_block_sortIS4_Lb1EPKlPlPS6_SC_NS0_19identity_decomposerEEE10hipError_tT1_T2_T3_T4_jRjT5_jjP12ihipStream_tbEUlT_E_NS1_11comp_targetILNS1_3genE9ELNS1_11target_archE1100ELNS1_3gpuE3ELNS1_3repE0EEENS1_44radix_sort_block_sort_config_static_selectorELNS0_4arch9wavefront6targetE0EEEvSF_: ; @_ZN7rocprim17ROCPRIM_400000_NS6detail17trampoline_kernelINS0_13kernel_configILj256ELj4ELj4294967295EEENS1_37radix_sort_block_sort_config_selectorIlNS0_10empty_typeEEEZNS1_21radix_sort_block_sortIS4_Lb1EPKlPlPS6_SC_NS0_19identity_decomposerEEE10hipError_tT1_T2_T3_T4_jRjT5_jjP12ihipStream_tbEUlT_E_NS1_11comp_targetILNS1_3genE9ELNS1_11target_archE1100ELNS1_3gpuE3ELNS1_3repE0EEENS1_44radix_sort_block_sort_config_static_selectorELNS0_4arch9wavefront6targetE0EEEvSF_
; %bb.0:
	.section	.rodata,"a",@progbits
	.p2align	6, 0x0
	.amdhsa_kernel _ZN7rocprim17ROCPRIM_400000_NS6detail17trampoline_kernelINS0_13kernel_configILj256ELj4ELj4294967295EEENS1_37radix_sort_block_sort_config_selectorIlNS0_10empty_typeEEEZNS1_21radix_sort_block_sortIS4_Lb1EPKlPlPS6_SC_NS0_19identity_decomposerEEE10hipError_tT1_T2_T3_T4_jRjT5_jjP12ihipStream_tbEUlT_E_NS1_11comp_targetILNS1_3genE9ELNS1_11target_archE1100ELNS1_3gpuE3ELNS1_3repE0EEENS1_44radix_sort_block_sort_config_static_selectorELNS0_4arch9wavefront6targetE0EEEvSF_
		.amdhsa_group_segment_fixed_size 0
		.amdhsa_private_segment_fixed_size 0
		.amdhsa_kernarg_size 48
		.amdhsa_user_sgpr_count 2
		.amdhsa_user_sgpr_dispatch_ptr 0
		.amdhsa_user_sgpr_queue_ptr 0
		.amdhsa_user_sgpr_kernarg_segment_ptr 1
		.amdhsa_user_sgpr_dispatch_id 0
		.amdhsa_user_sgpr_kernarg_preload_length 0
		.amdhsa_user_sgpr_kernarg_preload_offset 0
		.amdhsa_user_sgpr_private_segment_size 0
		.amdhsa_wavefront_size32 1
		.amdhsa_uses_dynamic_stack 0
		.amdhsa_enable_private_segment 0
		.amdhsa_system_sgpr_workgroup_id_x 1
		.amdhsa_system_sgpr_workgroup_id_y 0
		.amdhsa_system_sgpr_workgroup_id_z 0
		.amdhsa_system_sgpr_workgroup_info 0
		.amdhsa_system_vgpr_workitem_id 0
		.amdhsa_next_free_vgpr 1
		.amdhsa_next_free_sgpr 1
		.amdhsa_named_barrier_count 0
		.amdhsa_reserve_vcc 0
		.amdhsa_float_round_mode_32 0
		.amdhsa_float_round_mode_16_64 0
		.amdhsa_float_denorm_mode_32 3
		.amdhsa_float_denorm_mode_16_64 3
		.amdhsa_fp16_overflow 0
		.amdhsa_memory_ordered 1
		.amdhsa_forward_progress 1
		.amdhsa_inst_pref_size 0
		.amdhsa_round_robin_scheduling 0
		.amdhsa_exception_fp_ieee_invalid_op 0
		.amdhsa_exception_fp_denorm_src 0
		.amdhsa_exception_fp_ieee_div_zero 0
		.amdhsa_exception_fp_ieee_overflow 0
		.amdhsa_exception_fp_ieee_underflow 0
		.amdhsa_exception_fp_ieee_inexact 0
		.amdhsa_exception_int_div_zero 0
	.end_amdhsa_kernel
	.section	.text._ZN7rocprim17ROCPRIM_400000_NS6detail17trampoline_kernelINS0_13kernel_configILj256ELj4ELj4294967295EEENS1_37radix_sort_block_sort_config_selectorIlNS0_10empty_typeEEEZNS1_21radix_sort_block_sortIS4_Lb1EPKlPlPS6_SC_NS0_19identity_decomposerEEE10hipError_tT1_T2_T3_T4_jRjT5_jjP12ihipStream_tbEUlT_E_NS1_11comp_targetILNS1_3genE9ELNS1_11target_archE1100ELNS1_3gpuE3ELNS1_3repE0EEENS1_44radix_sort_block_sort_config_static_selectorELNS0_4arch9wavefront6targetE0EEEvSF_,"axG",@progbits,_ZN7rocprim17ROCPRIM_400000_NS6detail17trampoline_kernelINS0_13kernel_configILj256ELj4ELj4294967295EEENS1_37radix_sort_block_sort_config_selectorIlNS0_10empty_typeEEEZNS1_21radix_sort_block_sortIS4_Lb1EPKlPlPS6_SC_NS0_19identity_decomposerEEE10hipError_tT1_T2_T3_T4_jRjT5_jjP12ihipStream_tbEUlT_E_NS1_11comp_targetILNS1_3genE9ELNS1_11target_archE1100ELNS1_3gpuE3ELNS1_3repE0EEENS1_44radix_sort_block_sort_config_static_selectorELNS0_4arch9wavefront6targetE0EEEvSF_,comdat
.Lfunc_end1003:
	.size	_ZN7rocprim17ROCPRIM_400000_NS6detail17trampoline_kernelINS0_13kernel_configILj256ELj4ELj4294967295EEENS1_37radix_sort_block_sort_config_selectorIlNS0_10empty_typeEEEZNS1_21radix_sort_block_sortIS4_Lb1EPKlPlPS6_SC_NS0_19identity_decomposerEEE10hipError_tT1_T2_T3_T4_jRjT5_jjP12ihipStream_tbEUlT_E_NS1_11comp_targetILNS1_3genE9ELNS1_11target_archE1100ELNS1_3gpuE3ELNS1_3repE0EEENS1_44radix_sort_block_sort_config_static_selectorELNS0_4arch9wavefront6targetE0EEEvSF_, .Lfunc_end1003-_ZN7rocprim17ROCPRIM_400000_NS6detail17trampoline_kernelINS0_13kernel_configILj256ELj4ELj4294967295EEENS1_37radix_sort_block_sort_config_selectorIlNS0_10empty_typeEEEZNS1_21radix_sort_block_sortIS4_Lb1EPKlPlPS6_SC_NS0_19identity_decomposerEEE10hipError_tT1_T2_T3_T4_jRjT5_jjP12ihipStream_tbEUlT_E_NS1_11comp_targetILNS1_3genE9ELNS1_11target_archE1100ELNS1_3gpuE3ELNS1_3repE0EEENS1_44radix_sort_block_sort_config_static_selectorELNS0_4arch9wavefront6targetE0EEEvSF_
                                        ; -- End function
	.set _ZN7rocprim17ROCPRIM_400000_NS6detail17trampoline_kernelINS0_13kernel_configILj256ELj4ELj4294967295EEENS1_37radix_sort_block_sort_config_selectorIlNS0_10empty_typeEEEZNS1_21radix_sort_block_sortIS4_Lb1EPKlPlPS6_SC_NS0_19identity_decomposerEEE10hipError_tT1_T2_T3_T4_jRjT5_jjP12ihipStream_tbEUlT_E_NS1_11comp_targetILNS1_3genE9ELNS1_11target_archE1100ELNS1_3gpuE3ELNS1_3repE0EEENS1_44radix_sort_block_sort_config_static_selectorELNS0_4arch9wavefront6targetE0EEEvSF_.num_vgpr, 0
	.set _ZN7rocprim17ROCPRIM_400000_NS6detail17trampoline_kernelINS0_13kernel_configILj256ELj4ELj4294967295EEENS1_37radix_sort_block_sort_config_selectorIlNS0_10empty_typeEEEZNS1_21radix_sort_block_sortIS4_Lb1EPKlPlPS6_SC_NS0_19identity_decomposerEEE10hipError_tT1_T2_T3_T4_jRjT5_jjP12ihipStream_tbEUlT_E_NS1_11comp_targetILNS1_3genE9ELNS1_11target_archE1100ELNS1_3gpuE3ELNS1_3repE0EEENS1_44radix_sort_block_sort_config_static_selectorELNS0_4arch9wavefront6targetE0EEEvSF_.num_agpr, 0
	.set _ZN7rocprim17ROCPRIM_400000_NS6detail17trampoline_kernelINS0_13kernel_configILj256ELj4ELj4294967295EEENS1_37radix_sort_block_sort_config_selectorIlNS0_10empty_typeEEEZNS1_21radix_sort_block_sortIS4_Lb1EPKlPlPS6_SC_NS0_19identity_decomposerEEE10hipError_tT1_T2_T3_T4_jRjT5_jjP12ihipStream_tbEUlT_E_NS1_11comp_targetILNS1_3genE9ELNS1_11target_archE1100ELNS1_3gpuE3ELNS1_3repE0EEENS1_44radix_sort_block_sort_config_static_selectorELNS0_4arch9wavefront6targetE0EEEvSF_.numbered_sgpr, 0
	.set _ZN7rocprim17ROCPRIM_400000_NS6detail17trampoline_kernelINS0_13kernel_configILj256ELj4ELj4294967295EEENS1_37radix_sort_block_sort_config_selectorIlNS0_10empty_typeEEEZNS1_21radix_sort_block_sortIS4_Lb1EPKlPlPS6_SC_NS0_19identity_decomposerEEE10hipError_tT1_T2_T3_T4_jRjT5_jjP12ihipStream_tbEUlT_E_NS1_11comp_targetILNS1_3genE9ELNS1_11target_archE1100ELNS1_3gpuE3ELNS1_3repE0EEENS1_44radix_sort_block_sort_config_static_selectorELNS0_4arch9wavefront6targetE0EEEvSF_.num_named_barrier, 0
	.set _ZN7rocprim17ROCPRIM_400000_NS6detail17trampoline_kernelINS0_13kernel_configILj256ELj4ELj4294967295EEENS1_37radix_sort_block_sort_config_selectorIlNS0_10empty_typeEEEZNS1_21radix_sort_block_sortIS4_Lb1EPKlPlPS6_SC_NS0_19identity_decomposerEEE10hipError_tT1_T2_T3_T4_jRjT5_jjP12ihipStream_tbEUlT_E_NS1_11comp_targetILNS1_3genE9ELNS1_11target_archE1100ELNS1_3gpuE3ELNS1_3repE0EEENS1_44radix_sort_block_sort_config_static_selectorELNS0_4arch9wavefront6targetE0EEEvSF_.private_seg_size, 0
	.set _ZN7rocprim17ROCPRIM_400000_NS6detail17trampoline_kernelINS0_13kernel_configILj256ELj4ELj4294967295EEENS1_37radix_sort_block_sort_config_selectorIlNS0_10empty_typeEEEZNS1_21radix_sort_block_sortIS4_Lb1EPKlPlPS6_SC_NS0_19identity_decomposerEEE10hipError_tT1_T2_T3_T4_jRjT5_jjP12ihipStream_tbEUlT_E_NS1_11comp_targetILNS1_3genE9ELNS1_11target_archE1100ELNS1_3gpuE3ELNS1_3repE0EEENS1_44radix_sort_block_sort_config_static_selectorELNS0_4arch9wavefront6targetE0EEEvSF_.uses_vcc, 0
	.set _ZN7rocprim17ROCPRIM_400000_NS6detail17trampoline_kernelINS0_13kernel_configILj256ELj4ELj4294967295EEENS1_37radix_sort_block_sort_config_selectorIlNS0_10empty_typeEEEZNS1_21radix_sort_block_sortIS4_Lb1EPKlPlPS6_SC_NS0_19identity_decomposerEEE10hipError_tT1_T2_T3_T4_jRjT5_jjP12ihipStream_tbEUlT_E_NS1_11comp_targetILNS1_3genE9ELNS1_11target_archE1100ELNS1_3gpuE3ELNS1_3repE0EEENS1_44radix_sort_block_sort_config_static_selectorELNS0_4arch9wavefront6targetE0EEEvSF_.uses_flat_scratch, 0
	.set _ZN7rocprim17ROCPRIM_400000_NS6detail17trampoline_kernelINS0_13kernel_configILj256ELj4ELj4294967295EEENS1_37radix_sort_block_sort_config_selectorIlNS0_10empty_typeEEEZNS1_21radix_sort_block_sortIS4_Lb1EPKlPlPS6_SC_NS0_19identity_decomposerEEE10hipError_tT1_T2_T3_T4_jRjT5_jjP12ihipStream_tbEUlT_E_NS1_11comp_targetILNS1_3genE9ELNS1_11target_archE1100ELNS1_3gpuE3ELNS1_3repE0EEENS1_44radix_sort_block_sort_config_static_selectorELNS0_4arch9wavefront6targetE0EEEvSF_.has_dyn_sized_stack, 0
	.set _ZN7rocprim17ROCPRIM_400000_NS6detail17trampoline_kernelINS0_13kernel_configILj256ELj4ELj4294967295EEENS1_37radix_sort_block_sort_config_selectorIlNS0_10empty_typeEEEZNS1_21radix_sort_block_sortIS4_Lb1EPKlPlPS6_SC_NS0_19identity_decomposerEEE10hipError_tT1_T2_T3_T4_jRjT5_jjP12ihipStream_tbEUlT_E_NS1_11comp_targetILNS1_3genE9ELNS1_11target_archE1100ELNS1_3gpuE3ELNS1_3repE0EEENS1_44radix_sort_block_sort_config_static_selectorELNS0_4arch9wavefront6targetE0EEEvSF_.has_recursion, 0
	.set _ZN7rocprim17ROCPRIM_400000_NS6detail17trampoline_kernelINS0_13kernel_configILj256ELj4ELj4294967295EEENS1_37radix_sort_block_sort_config_selectorIlNS0_10empty_typeEEEZNS1_21radix_sort_block_sortIS4_Lb1EPKlPlPS6_SC_NS0_19identity_decomposerEEE10hipError_tT1_T2_T3_T4_jRjT5_jjP12ihipStream_tbEUlT_E_NS1_11comp_targetILNS1_3genE9ELNS1_11target_archE1100ELNS1_3gpuE3ELNS1_3repE0EEENS1_44radix_sort_block_sort_config_static_selectorELNS0_4arch9wavefront6targetE0EEEvSF_.has_indirect_call, 0
	.section	.AMDGPU.csdata,"",@progbits
; Kernel info:
; codeLenInByte = 0
; TotalNumSgprs: 0
; NumVgprs: 0
; ScratchSize: 0
; MemoryBound: 0
; FloatMode: 240
; IeeeMode: 1
; LDSByteSize: 0 bytes/workgroup (compile time only)
; SGPRBlocks: 0
; VGPRBlocks: 0
; NumSGPRsForWavesPerEU: 1
; NumVGPRsForWavesPerEU: 1
; NamedBarCnt: 0
; Occupancy: 16
; WaveLimiterHint : 0
; COMPUTE_PGM_RSRC2:SCRATCH_EN: 0
; COMPUTE_PGM_RSRC2:USER_SGPR: 2
; COMPUTE_PGM_RSRC2:TRAP_HANDLER: 0
; COMPUTE_PGM_RSRC2:TGID_X_EN: 1
; COMPUTE_PGM_RSRC2:TGID_Y_EN: 0
; COMPUTE_PGM_RSRC2:TGID_Z_EN: 0
; COMPUTE_PGM_RSRC2:TIDIG_COMP_CNT: 0
	.section	.text._ZN7rocprim17ROCPRIM_400000_NS6detail17trampoline_kernelINS0_13kernel_configILj256ELj4ELj4294967295EEENS1_37radix_sort_block_sort_config_selectorIlNS0_10empty_typeEEEZNS1_21radix_sort_block_sortIS4_Lb1EPKlPlPS6_SC_NS0_19identity_decomposerEEE10hipError_tT1_T2_T3_T4_jRjT5_jjP12ihipStream_tbEUlT_E_NS1_11comp_targetILNS1_3genE8ELNS1_11target_archE1030ELNS1_3gpuE2ELNS1_3repE0EEENS1_44radix_sort_block_sort_config_static_selectorELNS0_4arch9wavefront6targetE0EEEvSF_,"axG",@progbits,_ZN7rocprim17ROCPRIM_400000_NS6detail17trampoline_kernelINS0_13kernel_configILj256ELj4ELj4294967295EEENS1_37radix_sort_block_sort_config_selectorIlNS0_10empty_typeEEEZNS1_21radix_sort_block_sortIS4_Lb1EPKlPlPS6_SC_NS0_19identity_decomposerEEE10hipError_tT1_T2_T3_T4_jRjT5_jjP12ihipStream_tbEUlT_E_NS1_11comp_targetILNS1_3genE8ELNS1_11target_archE1030ELNS1_3gpuE2ELNS1_3repE0EEENS1_44radix_sort_block_sort_config_static_selectorELNS0_4arch9wavefront6targetE0EEEvSF_,comdat
	.protected	_ZN7rocprim17ROCPRIM_400000_NS6detail17trampoline_kernelINS0_13kernel_configILj256ELj4ELj4294967295EEENS1_37radix_sort_block_sort_config_selectorIlNS0_10empty_typeEEEZNS1_21radix_sort_block_sortIS4_Lb1EPKlPlPS6_SC_NS0_19identity_decomposerEEE10hipError_tT1_T2_T3_T4_jRjT5_jjP12ihipStream_tbEUlT_E_NS1_11comp_targetILNS1_3genE8ELNS1_11target_archE1030ELNS1_3gpuE2ELNS1_3repE0EEENS1_44radix_sort_block_sort_config_static_selectorELNS0_4arch9wavefront6targetE0EEEvSF_ ; -- Begin function _ZN7rocprim17ROCPRIM_400000_NS6detail17trampoline_kernelINS0_13kernel_configILj256ELj4ELj4294967295EEENS1_37radix_sort_block_sort_config_selectorIlNS0_10empty_typeEEEZNS1_21radix_sort_block_sortIS4_Lb1EPKlPlPS6_SC_NS0_19identity_decomposerEEE10hipError_tT1_T2_T3_T4_jRjT5_jjP12ihipStream_tbEUlT_E_NS1_11comp_targetILNS1_3genE8ELNS1_11target_archE1030ELNS1_3gpuE2ELNS1_3repE0EEENS1_44radix_sort_block_sort_config_static_selectorELNS0_4arch9wavefront6targetE0EEEvSF_
	.globl	_ZN7rocprim17ROCPRIM_400000_NS6detail17trampoline_kernelINS0_13kernel_configILj256ELj4ELj4294967295EEENS1_37radix_sort_block_sort_config_selectorIlNS0_10empty_typeEEEZNS1_21radix_sort_block_sortIS4_Lb1EPKlPlPS6_SC_NS0_19identity_decomposerEEE10hipError_tT1_T2_T3_T4_jRjT5_jjP12ihipStream_tbEUlT_E_NS1_11comp_targetILNS1_3genE8ELNS1_11target_archE1030ELNS1_3gpuE2ELNS1_3repE0EEENS1_44radix_sort_block_sort_config_static_selectorELNS0_4arch9wavefront6targetE0EEEvSF_
	.p2align	8
	.type	_ZN7rocprim17ROCPRIM_400000_NS6detail17trampoline_kernelINS0_13kernel_configILj256ELj4ELj4294967295EEENS1_37radix_sort_block_sort_config_selectorIlNS0_10empty_typeEEEZNS1_21radix_sort_block_sortIS4_Lb1EPKlPlPS6_SC_NS0_19identity_decomposerEEE10hipError_tT1_T2_T3_T4_jRjT5_jjP12ihipStream_tbEUlT_E_NS1_11comp_targetILNS1_3genE8ELNS1_11target_archE1030ELNS1_3gpuE2ELNS1_3repE0EEENS1_44radix_sort_block_sort_config_static_selectorELNS0_4arch9wavefront6targetE0EEEvSF_,@function
_ZN7rocprim17ROCPRIM_400000_NS6detail17trampoline_kernelINS0_13kernel_configILj256ELj4ELj4294967295EEENS1_37radix_sort_block_sort_config_selectorIlNS0_10empty_typeEEEZNS1_21radix_sort_block_sortIS4_Lb1EPKlPlPS6_SC_NS0_19identity_decomposerEEE10hipError_tT1_T2_T3_T4_jRjT5_jjP12ihipStream_tbEUlT_E_NS1_11comp_targetILNS1_3genE8ELNS1_11target_archE1030ELNS1_3gpuE2ELNS1_3repE0EEENS1_44radix_sort_block_sort_config_static_selectorELNS0_4arch9wavefront6targetE0EEEvSF_: ; @_ZN7rocprim17ROCPRIM_400000_NS6detail17trampoline_kernelINS0_13kernel_configILj256ELj4ELj4294967295EEENS1_37radix_sort_block_sort_config_selectorIlNS0_10empty_typeEEEZNS1_21radix_sort_block_sortIS4_Lb1EPKlPlPS6_SC_NS0_19identity_decomposerEEE10hipError_tT1_T2_T3_T4_jRjT5_jjP12ihipStream_tbEUlT_E_NS1_11comp_targetILNS1_3genE8ELNS1_11target_archE1030ELNS1_3gpuE2ELNS1_3repE0EEENS1_44radix_sort_block_sort_config_static_selectorELNS0_4arch9wavefront6targetE0EEEvSF_
; %bb.0:
	.section	.rodata,"a",@progbits
	.p2align	6, 0x0
	.amdhsa_kernel _ZN7rocprim17ROCPRIM_400000_NS6detail17trampoline_kernelINS0_13kernel_configILj256ELj4ELj4294967295EEENS1_37radix_sort_block_sort_config_selectorIlNS0_10empty_typeEEEZNS1_21radix_sort_block_sortIS4_Lb1EPKlPlPS6_SC_NS0_19identity_decomposerEEE10hipError_tT1_T2_T3_T4_jRjT5_jjP12ihipStream_tbEUlT_E_NS1_11comp_targetILNS1_3genE8ELNS1_11target_archE1030ELNS1_3gpuE2ELNS1_3repE0EEENS1_44radix_sort_block_sort_config_static_selectorELNS0_4arch9wavefront6targetE0EEEvSF_
		.amdhsa_group_segment_fixed_size 0
		.amdhsa_private_segment_fixed_size 0
		.amdhsa_kernarg_size 48
		.amdhsa_user_sgpr_count 2
		.amdhsa_user_sgpr_dispatch_ptr 0
		.amdhsa_user_sgpr_queue_ptr 0
		.amdhsa_user_sgpr_kernarg_segment_ptr 1
		.amdhsa_user_sgpr_dispatch_id 0
		.amdhsa_user_sgpr_kernarg_preload_length 0
		.amdhsa_user_sgpr_kernarg_preload_offset 0
		.amdhsa_user_sgpr_private_segment_size 0
		.amdhsa_wavefront_size32 1
		.amdhsa_uses_dynamic_stack 0
		.amdhsa_enable_private_segment 0
		.amdhsa_system_sgpr_workgroup_id_x 1
		.amdhsa_system_sgpr_workgroup_id_y 0
		.amdhsa_system_sgpr_workgroup_id_z 0
		.amdhsa_system_sgpr_workgroup_info 0
		.amdhsa_system_vgpr_workitem_id 0
		.amdhsa_next_free_vgpr 1
		.amdhsa_next_free_sgpr 1
		.amdhsa_named_barrier_count 0
		.amdhsa_reserve_vcc 0
		.amdhsa_float_round_mode_32 0
		.amdhsa_float_round_mode_16_64 0
		.amdhsa_float_denorm_mode_32 3
		.amdhsa_float_denorm_mode_16_64 3
		.amdhsa_fp16_overflow 0
		.amdhsa_memory_ordered 1
		.amdhsa_forward_progress 1
		.amdhsa_inst_pref_size 0
		.amdhsa_round_robin_scheduling 0
		.amdhsa_exception_fp_ieee_invalid_op 0
		.amdhsa_exception_fp_denorm_src 0
		.amdhsa_exception_fp_ieee_div_zero 0
		.amdhsa_exception_fp_ieee_overflow 0
		.amdhsa_exception_fp_ieee_underflow 0
		.amdhsa_exception_fp_ieee_inexact 0
		.amdhsa_exception_int_div_zero 0
	.end_amdhsa_kernel
	.section	.text._ZN7rocprim17ROCPRIM_400000_NS6detail17trampoline_kernelINS0_13kernel_configILj256ELj4ELj4294967295EEENS1_37radix_sort_block_sort_config_selectorIlNS0_10empty_typeEEEZNS1_21radix_sort_block_sortIS4_Lb1EPKlPlPS6_SC_NS0_19identity_decomposerEEE10hipError_tT1_T2_T3_T4_jRjT5_jjP12ihipStream_tbEUlT_E_NS1_11comp_targetILNS1_3genE8ELNS1_11target_archE1030ELNS1_3gpuE2ELNS1_3repE0EEENS1_44radix_sort_block_sort_config_static_selectorELNS0_4arch9wavefront6targetE0EEEvSF_,"axG",@progbits,_ZN7rocprim17ROCPRIM_400000_NS6detail17trampoline_kernelINS0_13kernel_configILj256ELj4ELj4294967295EEENS1_37radix_sort_block_sort_config_selectorIlNS0_10empty_typeEEEZNS1_21radix_sort_block_sortIS4_Lb1EPKlPlPS6_SC_NS0_19identity_decomposerEEE10hipError_tT1_T2_T3_T4_jRjT5_jjP12ihipStream_tbEUlT_E_NS1_11comp_targetILNS1_3genE8ELNS1_11target_archE1030ELNS1_3gpuE2ELNS1_3repE0EEENS1_44radix_sort_block_sort_config_static_selectorELNS0_4arch9wavefront6targetE0EEEvSF_,comdat
.Lfunc_end1004:
	.size	_ZN7rocprim17ROCPRIM_400000_NS6detail17trampoline_kernelINS0_13kernel_configILj256ELj4ELj4294967295EEENS1_37radix_sort_block_sort_config_selectorIlNS0_10empty_typeEEEZNS1_21radix_sort_block_sortIS4_Lb1EPKlPlPS6_SC_NS0_19identity_decomposerEEE10hipError_tT1_T2_T3_T4_jRjT5_jjP12ihipStream_tbEUlT_E_NS1_11comp_targetILNS1_3genE8ELNS1_11target_archE1030ELNS1_3gpuE2ELNS1_3repE0EEENS1_44radix_sort_block_sort_config_static_selectorELNS0_4arch9wavefront6targetE0EEEvSF_, .Lfunc_end1004-_ZN7rocprim17ROCPRIM_400000_NS6detail17trampoline_kernelINS0_13kernel_configILj256ELj4ELj4294967295EEENS1_37radix_sort_block_sort_config_selectorIlNS0_10empty_typeEEEZNS1_21radix_sort_block_sortIS4_Lb1EPKlPlPS6_SC_NS0_19identity_decomposerEEE10hipError_tT1_T2_T3_T4_jRjT5_jjP12ihipStream_tbEUlT_E_NS1_11comp_targetILNS1_3genE8ELNS1_11target_archE1030ELNS1_3gpuE2ELNS1_3repE0EEENS1_44radix_sort_block_sort_config_static_selectorELNS0_4arch9wavefront6targetE0EEEvSF_
                                        ; -- End function
	.set _ZN7rocprim17ROCPRIM_400000_NS6detail17trampoline_kernelINS0_13kernel_configILj256ELj4ELj4294967295EEENS1_37radix_sort_block_sort_config_selectorIlNS0_10empty_typeEEEZNS1_21radix_sort_block_sortIS4_Lb1EPKlPlPS6_SC_NS0_19identity_decomposerEEE10hipError_tT1_T2_T3_T4_jRjT5_jjP12ihipStream_tbEUlT_E_NS1_11comp_targetILNS1_3genE8ELNS1_11target_archE1030ELNS1_3gpuE2ELNS1_3repE0EEENS1_44radix_sort_block_sort_config_static_selectorELNS0_4arch9wavefront6targetE0EEEvSF_.num_vgpr, 0
	.set _ZN7rocprim17ROCPRIM_400000_NS6detail17trampoline_kernelINS0_13kernel_configILj256ELj4ELj4294967295EEENS1_37radix_sort_block_sort_config_selectorIlNS0_10empty_typeEEEZNS1_21radix_sort_block_sortIS4_Lb1EPKlPlPS6_SC_NS0_19identity_decomposerEEE10hipError_tT1_T2_T3_T4_jRjT5_jjP12ihipStream_tbEUlT_E_NS1_11comp_targetILNS1_3genE8ELNS1_11target_archE1030ELNS1_3gpuE2ELNS1_3repE0EEENS1_44radix_sort_block_sort_config_static_selectorELNS0_4arch9wavefront6targetE0EEEvSF_.num_agpr, 0
	.set _ZN7rocprim17ROCPRIM_400000_NS6detail17trampoline_kernelINS0_13kernel_configILj256ELj4ELj4294967295EEENS1_37radix_sort_block_sort_config_selectorIlNS0_10empty_typeEEEZNS1_21radix_sort_block_sortIS4_Lb1EPKlPlPS6_SC_NS0_19identity_decomposerEEE10hipError_tT1_T2_T3_T4_jRjT5_jjP12ihipStream_tbEUlT_E_NS1_11comp_targetILNS1_3genE8ELNS1_11target_archE1030ELNS1_3gpuE2ELNS1_3repE0EEENS1_44radix_sort_block_sort_config_static_selectorELNS0_4arch9wavefront6targetE0EEEvSF_.numbered_sgpr, 0
	.set _ZN7rocprim17ROCPRIM_400000_NS6detail17trampoline_kernelINS0_13kernel_configILj256ELj4ELj4294967295EEENS1_37radix_sort_block_sort_config_selectorIlNS0_10empty_typeEEEZNS1_21radix_sort_block_sortIS4_Lb1EPKlPlPS6_SC_NS0_19identity_decomposerEEE10hipError_tT1_T2_T3_T4_jRjT5_jjP12ihipStream_tbEUlT_E_NS1_11comp_targetILNS1_3genE8ELNS1_11target_archE1030ELNS1_3gpuE2ELNS1_3repE0EEENS1_44radix_sort_block_sort_config_static_selectorELNS0_4arch9wavefront6targetE0EEEvSF_.num_named_barrier, 0
	.set _ZN7rocprim17ROCPRIM_400000_NS6detail17trampoline_kernelINS0_13kernel_configILj256ELj4ELj4294967295EEENS1_37radix_sort_block_sort_config_selectorIlNS0_10empty_typeEEEZNS1_21radix_sort_block_sortIS4_Lb1EPKlPlPS6_SC_NS0_19identity_decomposerEEE10hipError_tT1_T2_T3_T4_jRjT5_jjP12ihipStream_tbEUlT_E_NS1_11comp_targetILNS1_3genE8ELNS1_11target_archE1030ELNS1_3gpuE2ELNS1_3repE0EEENS1_44radix_sort_block_sort_config_static_selectorELNS0_4arch9wavefront6targetE0EEEvSF_.private_seg_size, 0
	.set _ZN7rocprim17ROCPRIM_400000_NS6detail17trampoline_kernelINS0_13kernel_configILj256ELj4ELj4294967295EEENS1_37radix_sort_block_sort_config_selectorIlNS0_10empty_typeEEEZNS1_21radix_sort_block_sortIS4_Lb1EPKlPlPS6_SC_NS0_19identity_decomposerEEE10hipError_tT1_T2_T3_T4_jRjT5_jjP12ihipStream_tbEUlT_E_NS1_11comp_targetILNS1_3genE8ELNS1_11target_archE1030ELNS1_3gpuE2ELNS1_3repE0EEENS1_44radix_sort_block_sort_config_static_selectorELNS0_4arch9wavefront6targetE0EEEvSF_.uses_vcc, 0
	.set _ZN7rocprim17ROCPRIM_400000_NS6detail17trampoline_kernelINS0_13kernel_configILj256ELj4ELj4294967295EEENS1_37radix_sort_block_sort_config_selectorIlNS0_10empty_typeEEEZNS1_21radix_sort_block_sortIS4_Lb1EPKlPlPS6_SC_NS0_19identity_decomposerEEE10hipError_tT1_T2_T3_T4_jRjT5_jjP12ihipStream_tbEUlT_E_NS1_11comp_targetILNS1_3genE8ELNS1_11target_archE1030ELNS1_3gpuE2ELNS1_3repE0EEENS1_44radix_sort_block_sort_config_static_selectorELNS0_4arch9wavefront6targetE0EEEvSF_.uses_flat_scratch, 0
	.set _ZN7rocprim17ROCPRIM_400000_NS6detail17trampoline_kernelINS0_13kernel_configILj256ELj4ELj4294967295EEENS1_37radix_sort_block_sort_config_selectorIlNS0_10empty_typeEEEZNS1_21radix_sort_block_sortIS4_Lb1EPKlPlPS6_SC_NS0_19identity_decomposerEEE10hipError_tT1_T2_T3_T4_jRjT5_jjP12ihipStream_tbEUlT_E_NS1_11comp_targetILNS1_3genE8ELNS1_11target_archE1030ELNS1_3gpuE2ELNS1_3repE0EEENS1_44radix_sort_block_sort_config_static_selectorELNS0_4arch9wavefront6targetE0EEEvSF_.has_dyn_sized_stack, 0
	.set _ZN7rocprim17ROCPRIM_400000_NS6detail17trampoline_kernelINS0_13kernel_configILj256ELj4ELj4294967295EEENS1_37radix_sort_block_sort_config_selectorIlNS0_10empty_typeEEEZNS1_21radix_sort_block_sortIS4_Lb1EPKlPlPS6_SC_NS0_19identity_decomposerEEE10hipError_tT1_T2_T3_T4_jRjT5_jjP12ihipStream_tbEUlT_E_NS1_11comp_targetILNS1_3genE8ELNS1_11target_archE1030ELNS1_3gpuE2ELNS1_3repE0EEENS1_44radix_sort_block_sort_config_static_selectorELNS0_4arch9wavefront6targetE0EEEvSF_.has_recursion, 0
	.set _ZN7rocprim17ROCPRIM_400000_NS6detail17trampoline_kernelINS0_13kernel_configILj256ELj4ELj4294967295EEENS1_37radix_sort_block_sort_config_selectorIlNS0_10empty_typeEEEZNS1_21radix_sort_block_sortIS4_Lb1EPKlPlPS6_SC_NS0_19identity_decomposerEEE10hipError_tT1_T2_T3_T4_jRjT5_jjP12ihipStream_tbEUlT_E_NS1_11comp_targetILNS1_3genE8ELNS1_11target_archE1030ELNS1_3gpuE2ELNS1_3repE0EEENS1_44radix_sort_block_sort_config_static_selectorELNS0_4arch9wavefront6targetE0EEEvSF_.has_indirect_call, 0
	.section	.AMDGPU.csdata,"",@progbits
; Kernel info:
; codeLenInByte = 0
; TotalNumSgprs: 0
; NumVgprs: 0
; ScratchSize: 0
; MemoryBound: 0
; FloatMode: 240
; IeeeMode: 1
; LDSByteSize: 0 bytes/workgroup (compile time only)
; SGPRBlocks: 0
; VGPRBlocks: 0
; NumSGPRsForWavesPerEU: 1
; NumVGPRsForWavesPerEU: 1
; NamedBarCnt: 0
; Occupancy: 16
; WaveLimiterHint : 0
; COMPUTE_PGM_RSRC2:SCRATCH_EN: 0
; COMPUTE_PGM_RSRC2:USER_SGPR: 2
; COMPUTE_PGM_RSRC2:TRAP_HANDLER: 0
; COMPUTE_PGM_RSRC2:TGID_X_EN: 1
; COMPUTE_PGM_RSRC2:TGID_Y_EN: 0
; COMPUTE_PGM_RSRC2:TGID_Z_EN: 0
; COMPUTE_PGM_RSRC2:TIDIG_COMP_CNT: 0
	.section	.text._ZN7rocprim17ROCPRIM_400000_NS6detail44device_merge_sort_compile_time_verifier_archINS1_11comp_targetILNS1_3genE0ELNS1_11target_archE4294967295ELNS1_3gpuE0ELNS1_3repE0EEES8_NS1_28merge_sort_block_sort_configILj256ELj4ELNS0_20block_sort_algorithmE0EEENS0_14default_configENS1_37merge_sort_block_sort_config_selectorIlNS0_10empty_typeEEENS1_38merge_sort_block_merge_config_selectorIlSE_EEEEvv,"axG",@progbits,_ZN7rocprim17ROCPRIM_400000_NS6detail44device_merge_sort_compile_time_verifier_archINS1_11comp_targetILNS1_3genE0ELNS1_11target_archE4294967295ELNS1_3gpuE0ELNS1_3repE0EEES8_NS1_28merge_sort_block_sort_configILj256ELj4ELNS0_20block_sort_algorithmE0EEENS0_14default_configENS1_37merge_sort_block_sort_config_selectorIlNS0_10empty_typeEEENS1_38merge_sort_block_merge_config_selectorIlSE_EEEEvv,comdat
	.protected	_ZN7rocprim17ROCPRIM_400000_NS6detail44device_merge_sort_compile_time_verifier_archINS1_11comp_targetILNS1_3genE0ELNS1_11target_archE4294967295ELNS1_3gpuE0ELNS1_3repE0EEES8_NS1_28merge_sort_block_sort_configILj256ELj4ELNS0_20block_sort_algorithmE0EEENS0_14default_configENS1_37merge_sort_block_sort_config_selectorIlNS0_10empty_typeEEENS1_38merge_sort_block_merge_config_selectorIlSE_EEEEvv ; -- Begin function _ZN7rocprim17ROCPRIM_400000_NS6detail44device_merge_sort_compile_time_verifier_archINS1_11comp_targetILNS1_3genE0ELNS1_11target_archE4294967295ELNS1_3gpuE0ELNS1_3repE0EEES8_NS1_28merge_sort_block_sort_configILj256ELj4ELNS0_20block_sort_algorithmE0EEENS0_14default_configENS1_37merge_sort_block_sort_config_selectorIlNS0_10empty_typeEEENS1_38merge_sort_block_merge_config_selectorIlSE_EEEEvv
	.globl	_ZN7rocprim17ROCPRIM_400000_NS6detail44device_merge_sort_compile_time_verifier_archINS1_11comp_targetILNS1_3genE0ELNS1_11target_archE4294967295ELNS1_3gpuE0ELNS1_3repE0EEES8_NS1_28merge_sort_block_sort_configILj256ELj4ELNS0_20block_sort_algorithmE0EEENS0_14default_configENS1_37merge_sort_block_sort_config_selectorIlNS0_10empty_typeEEENS1_38merge_sort_block_merge_config_selectorIlSE_EEEEvv
	.p2align	8
	.type	_ZN7rocprim17ROCPRIM_400000_NS6detail44device_merge_sort_compile_time_verifier_archINS1_11comp_targetILNS1_3genE0ELNS1_11target_archE4294967295ELNS1_3gpuE0ELNS1_3repE0EEES8_NS1_28merge_sort_block_sort_configILj256ELj4ELNS0_20block_sort_algorithmE0EEENS0_14default_configENS1_37merge_sort_block_sort_config_selectorIlNS0_10empty_typeEEENS1_38merge_sort_block_merge_config_selectorIlSE_EEEEvv,@function
_ZN7rocprim17ROCPRIM_400000_NS6detail44device_merge_sort_compile_time_verifier_archINS1_11comp_targetILNS1_3genE0ELNS1_11target_archE4294967295ELNS1_3gpuE0ELNS1_3repE0EEES8_NS1_28merge_sort_block_sort_configILj256ELj4ELNS0_20block_sort_algorithmE0EEENS0_14default_configENS1_37merge_sort_block_sort_config_selectorIlNS0_10empty_typeEEENS1_38merge_sort_block_merge_config_selectorIlSE_EEEEvv: ; @_ZN7rocprim17ROCPRIM_400000_NS6detail44device_merge_sort_compile_time_verifier_archINS1_11comp_targetILNS1_3genE0ELNS1_11target_archE4294967295ELNS1_3gpuE0ELNS1_3repE0EEES8_NS1_28merge_sort_block_sort_configILj256ELj4ELNS0_20block_sort_algorithmE0EEENS0_14default_configENS1_37merge_sort_block_sort_config_selectorIlNS0_10empty_typeEEENS1_38merge_sort_block_merge_config_selectorIlSE_EEEEvv
; %bb.0:
	s_endpgm
	.section	.rodata,"a",@progbits
	.p2align	6, 0x0
	.amdhsa_kernel _ZN7rocprim17ROCPRIM_400000_NS6detail44device_merge_sort_compile_time_verifier_archINS1_11comp_targetILNS1_3genE0ELNS1_11target_archE4294967295ELNS1_3gpuE0ELNS1_3repE0EEES8_NS1_28merge_sort_block_sort_configILj256ELj4ELNS0_20block_sort_algorithmE0EEENS0_14default_configENS1_37merge_sort_block_sort_config_selectorIlNS0_10empty_typeEEENS1_38merge_sort_block_merge_config_selectorIlSE_EEEEvv
		.amdhsa_group_segment_fixed_size 0
		.amdhsa_private_segment_fixed_size 0
		.amdhsa_kernarg_size 0
		.amdhsa_user_sgpr_count 0
		.amdhsa_user_sgpr_dispatch_ptr 0
		.amdhsa_user_sgpr_queue_ptr 0
		.amdhsa_user_sgpr_kernarg_segment_ptr 0
		.amdhsa_user_sgpr_dispatch_id 0
		.amdhsa_user_sgpr_kernarg_preload_length 0
		.amdhsa_user_sgpr_kernarg_preload_offset 0
		.amdhsa_user_sgpr_private_segment_size 0
		.amdhsa_wavefront_size32 1
		.amdhsa_uses_dynamic_stack 0
		.amdhsa_enable_private_segment 0
		.amdhsa_system_sgpr_workgroup_id_x 1
		.amdhsa_system_sgpr_workgroup_id_y 0
		.amdhsa_system_sgpr_workgroup_id_z 0
		.amdhsa_system_sgpr_workgroup_info 0
		.amdhsa_system_vgpr_workitem_id 0
		.amdhsa_next_free_vgpr 1
		.amdhsa_next_free_sgpr 1
		.amdhsa_named_barrier_count 0
		.amdhsa_reserve_vcc 0
		.amdhsa_float_round_mode_32 0
		.amdhsa_float_round_mode_16_64 0
		.amdhsa_float_denorm_mode_32 3
		.amdhsa_float_denorm_mode_16_64 3
		.amdhsa_fp16_overflow 0
		.amdhsa_memory_ordered 1
		.amdhsa_forward_progress 1
		.amdhsa_inst_pref_size 1
		.amdhsa_round_robin_scheduling 0
		.amdhsa_exception_fp_ieee_invalid_op 0
		.amdhsa_exception_fp_denorm_src 0
		.amdhsa_exception_fp_ieee_div_zero 0
		.amdhsa_exception_fp_ieee_overflow 0
		.amdhsa_exception_fp_ieee_underflow 0
		.amdhsa_exception_fp_ieee_inexact 0
		.amdhsa_exception_int_div_zero 0
	.end_amdhsa_kernel
	.section	.text._ZN7rocprim17ROCPRIM_400000_NS6detail44device_merge_sort_compile_time_verifier_archINS1_11comp_targetILNS1_3genE0ELNS1_11target_archE4294967295ELNS1_3gpuE0ELNS1_3repE0EEES8_NS1_28merge_sort_block_sort_configILj256ELj4ELNS0_20block_sort_algorithmE0EEENS0_14default_configENS1_37merge_sort_block_sort_config_selectorIlNS0_10empty_typeEEENS1_38merge_sort_block_merge_config_selectorIlSE_EEEEvv,"axG",@progbits,_ZN7rocprim17ROCPRIM_400000_NS6detail44device_merge_sort_compile_time_verifier_archINS1_11comp_targetILNS1_3genE0ELNS1_11target_archE4294967295ELNS1_3gpuE0ELNS1_3repE0EEES8_NS1_28merge_sort_block_sort_configILj256ELj4ELNS0_20block_sort_algorithmE0EEENS0_14default_configENS1_37merge_sort_block_sort_config_selectorIlNS0_10empty_typeEEENS1_38merge_sort_block_merge_config_selectorIlSE_EEEEvv,comdat
.Lfunc_end1005:
	.size	_ZN7rocprim17ROCPRIM_400000_NS6detail44device_merge_sort_compile_time_verifier_archINS1_11comp_targetILNS1_3genE0ELNS1_11target_archE4294967295ELNS1_3gpuE0ELNS1_3repE0EEES8_NS1_28merge_sort_block_sort_configILj256ELj4ELNS0_20block_sort_algorithmE0EEENS0_14default_configENS1_37merge_sort_block_sort_config_selectorIlNS0_10empty_typeEEENS1_38merge_sort_block_merge_config_selectorIlSE_EEEEvv, .Lfunc_end1005-_ZN7rocprim17ROCPRIM_400000_NS6detail44device_merge_sort_compile_time_verifier_archINS1_11comp_targetILNS1_3genE0ELNS1_11target_archE4294967295ELNS1_3gpuE0ELNS1_3repE0EEES8_NS1_28merge_sort_block_sort_configILj256ELj4ELNS0_20block_sort_algorithmE0EEENS0_14default_configENS1_37merge_sort_block_sort_config_selectorIlNS0_10empty_typeEEENS1_38merge_sort_block_merge_config_selectorIlSE_EEEEvv
                                        ; -- End function
	.set _ZN7rocprim17ROCPRIM_400000_NS6detail44device_merge_sort_compile_time_verifier_archINS1_11comp_targetILNS1_3genE0ELNS1_11target_archE4294967295ELNS1_3gpuE0ELNS1_3repE0EEES8_NS1_28merge_sort_block_sort_configILj256ELj4ELNS0_20block_sort_algorithmE0EEENS0_14default_configENS1_37merge_sort_block_sort_config_selectorIlNS0_10empty_typeEEENS1_38merge_sort_block_merge_config_selectorIlSE_EEEEvv.num_vgpr, 0
	.set _ZN7rocprim17ROCPRIM_400000_NS6detail44device_merge_sort_compile_time_verifier_archINS1_11comp_targetILNS1_3genE0ELNS1_11target_archE4294967295ELNS1_3gpuE0ELNS1_3repE0EEES8_NS1_28merge_sort_block_sort_configILj256ELj4ELNS0_20block_sort_algorithmE0EEENS0_14default_configENS1_37merge_sort_block_sort_config_selectorIlNS0_10empty_typeEEENS1_38merge_sort_block_merge_config_selectorIlSE_EEEEvv.num_agpr, 0
	.set _ZN7rocprim17ROCPRIM_400000_NS6detail44device_merge_sort_compile_time_verifier_archINS1_11comp_targetILNS1_3genE0ELNS1_11target_archE4294967295ELNS1_3gpuE0ELNS1_3repE0EEES8_NS1_28merge_sort_block_sort_configILj256ELj4ELNS0_20block_sort_algorithmE0EEENS0_14default_configENS1_37merge_sort_block_sort_config_selectorIlNS0_10empty_typeEEENS1_38merge_sort_block_merge_config_selectorIlSE_EEEEvv.numbered_sgpr, 0
	.set _ZN7rocprim17ROCPRIM_400000_NS6detail44device_merge_sort_compile_time_verifier_archINS1_11comp_targetILNS1_3genE0ELNS1_11target_archE4294967295ELNS1_3gpuE0ELNS1_3repE0EEES8_NS1_28merge_sort_block_sort_configILj256ELj4ELNS0_20block_sort_algorithmE0EEENS0_14default_configENS1_37merge_sort_block_sort_config_selectorIlNS0_10empty_typeEEENS1_38merge_sort_block_merge_config_selectorIlSE_EEEEvv.num_named_barrier, 0
	.set _ZN7rocprim17ROCPRIM_400000_NS6detail44device_merge_sort_compile_time_verifier_archINS1_11comp_targetILNS1_3genE0ELNS1_11target_archE4294967295ELNS1_3gpuE0ELNS1_3repE0EEES8_NS1_28merge_sort_block_sort_configILj256ELj4ELNS0_20block_sort_algorithmE0EEENS0_14default_configENS1_37merge_sort_block_sort_config_selectorIlNS0_10empty_typeEEENS1_38merge_sort_block_merge_config_selectorIlSE_EEEEvv.private_seg_size, 0
	.set _ZN7rocprim17ROCPRIM_400000_NS6detail44device_merge_sort_compile_time_verifier_archINS1_11comp_targetILNS1_3genE0ELNS1_11target_archE4294967295ELNS1_3gpuE0ELNS1_3repE0EEES8_NS1_28merge_sort_block_sort_configILj256ELj4ELNS0_20block_sort_algorithmE0EEENS0_14default_configENS1_37merge_sort_block_sort_config_selectorIlNS0_10empty_typeEEENS1_38merge_sort_block_merge_config_selectorIlSE_EEEEvv.uses_vcc, 0
	.set _ZN7rocprim17ROCPRIM_400000_NS6detail44device_merge_sort_compile_time_verifier_archINS1_11comp_targetILNS1_3genE0ELNS1_11target_archE4294967295ELNS1_3gpuE0ELNS1_3repE0EEES8_NS1_28merge_sort_block_sort_configILj256ELj4ELNS0_20block_sort_algorithmE0EEENS0_14default_configENS1_37merge_sort_block_sort_config_selectorIlNS0_10empty_typeEEENS1_38merge_sort_block_merge_config_selectorIlSE_EEEEvv.uses_flat_scratch, 0
	.set _ZN7rocprim17ROCPRIM_400000_NS6detail44device_merge_sort_compile_time_verifier_archINS1_11comp_targetILNS1_3genE0ELNS1_11target_archE4294967295ELNS1_3gpuE0ELNS1_3repE0EEES8_NS1_28merge_sort_block_sort_configILj256ELj4ELNS0_20block_sort_algorithmE0EEENS0_14default_configENS1_37merge_sort_block_sort_config_selectorIlNS0_10empty_typeEEENS1_38merge_sort_block_merge_config_selectorIlSE_EEEEvv.has_dyn_sized_stack, 0
	.set _ZN7rocprim17ROCPRIM_400000_NS6detail44device_merge_sort_compile_time_verifier_archINS1_11comp_targetILNS1_3genE0ELNS1_11target_archE4294967295ELNS1_3gpuE0ELNS1_3repE0EEES8_NS1_28merge_sort_block_sort_configILj256ELj4ELNS0_20block_sort_algorithmE0EEENS0_14default_configENS1_37merge_sort_block_sort_config_selectorIlNS0_10empty_typeEEENS1_38merge_sort_block_merge_config_selectorIlSE_EEEEvv.has_recursion, 0
	.set _ZN7rocprim17ROCPRIM_400000_NS6detail44device_merge_sort_compile_time_verifier_archINS1_11comp_targetILNS1_3genE0ELNS1_11target_archE4294967295ELNS1_3gpuE0ELNS1_3repE0EEES8_NS1_28merge_sort_block_sort_configILj256ELj4ELNS0_20block_sort_algorithmE0EEENS0_14default_configENS1_37merge_sort_block_sort_config_selectorIlNS0_10empty_typeEEENS1_38merge_sort_block_merge_config_selectorIlSE_EEEEvv.has_indirect_call, 0
	.section	.AMDGPU.csdata,"",@progbits
; Kernel info:
; codeLenInByte = 4
; TotalNumSgprs: 0
; NumVgprs: 0
; ScratchSize: 0
; MemoryBound: 0
; FloatMode: 240
; IeeeMode: 1
; LDSByteSize: 0 bytes/workgroup (compile time only)
; SGPRBlocks: 0
; VGPRBlocks: 0
; NumSGPRsForWavesPerEU: 1
; NumVGPRsForWavesPerEU: 1
; NamedBarCnt: 0
; Occupancy: 16
; WaveLimiterHint : 0
; COMPUTE_PGM_RSRC2:SCRATCH_EN: 0
; COMPUTE_PGM_RSRC2:USER_SGPR: 0
; COMPUTE_PGM_RSRC2:TRAP_HANDLER: 0
; COMPUTE_PGM_RSRC2:TGID_X_EN: 1
; COMPUTE_PGM_RSRC2:TGID_Y_EN: 0
; COMPUTE_PGM_RSRC2:TGID_Z_EN: 0
; COMPUTE_PGM_RSRC2:TIDIG_COMP_CNT: 0
	.section	.text._ZN7rocprim17ROCPRIM_400000_NS6detail44device_merge_sort_compile_time_verifier_archINS1_11comp_targetILNS1_3genE5ELNS1_11target_archE942ELNS1_3gpuE9ELNS1_3repE0EEES8_NS1_28merge_sort_block_sort_configILj256ELj4ELNS0_20block_sort_algorithmE0EEENS0_14default_configENS1_37merge_sort_block_sort_config_selectorIlNS0_10empty_typeEEENS1_38merge_sort_block_merge_config_selectorIlSE_EEEEvv,"axG",@progbits,_ZN7rocprim17ROCPRIM_400000_NS6detail44device_merge_sort_compile_time_verifier_archINS1_11comp_targetILNS1_3genE5ELNS1_11target_archE942ELNS1_3gpuE9ELNS1_3repE0EEES8_NS1_28merge_sort_block_sort_configILj256ELj4ELNS0_20block_sort_algorithmE0EEENS0_14default_configENS1_37merge_sort_block_sort_config_selectorIlNS0_10empty_typeEEENS1_38merge_sort_block_merge_config_selectorIlSE_EEEEvv,comdat
	.protected	_ZN7rocprim17ROCPRIM_400000_NS6detail44device_merge_sort_compile_time_verifier_archINS1_11comp_targetILNS1_3genE5ELNS1_11target_archE942ELNS1_3gpuE9ELNS1_3repE0EEES8_NS1_28merge_sort_block_sort_configILj256ELj4ELNS0_20block_sort_algorithmE0EEENS0_14default_configENS1_37merge_sort_block_sort_config_selectorIlNS0_10empty_typeEEENS1_38merge_sort_block_merge_config_selectorIlSE_EEEEvv ; -- Begin function _ZN7rocprim17ROCPRIM_400000_NS6detail44device_merge_sort_compile_time_verifier_archINS1_11comp_targetILNS1_3genE5ELNS1_11target_archE942ELNS1_3gpuE9ELNS1_3repE0EEES8_NS1_28merge_sort_block_sort_configILj256ELj4ELNS0_20block_sort_algorithmE0EEENS0_14default_configENS1_37merge_sort_block_sort_config_selectorIlNS0_10empty_typeEEENS1_38merge_sort_block_merge_config_selectorIlSE_EEEEvv
	.globl	_ZN7rocprim17ROCPRIM_400000_NS6detail44device_merge_sort_compile_time_verifier_archINS1_11comp_targetILNS1_3genE5ELNS1_11target_archE942ELNS1_3gpuE9ELNS1_3repE0EEES8_NS1_28merge_sort_block_sort_configILj256ELj4ELNS0_20block_sort_algorithmE0EEENS0_14default_configENS1_37merge_sort_block_sort_config_selectorIlNS0_10empty_typeEEENS1_38merge_sort_block_merge_config_selectorIlSE_EEEEvv
	.p2align	8
	.type	_ZN7rocprim17ROCPRIM_400000_NS6detail44device_merge_sort_compile_time_verifier_archINS1_11comp_targetILNS1_3genE5ELNS1_11target_archE942ELNS1_3gpuE9ELNS1_3repE0EEES8_NS1_28merge_sort_block_sort_configILj256ELj4ELNS0_20block_sort_algorithmE0EEENS0_14default_configENS1_37merge_sort_block_sort_config_selectorIlNS0_10empty_typeEEENS1_38merge_sort_block_merge_config_selectorIlSE_EEEEvv,@function
_ZN7rocprim17ROCPRIM_400000_NS6detail44device_merge_sort_compile_time_verifier_archINS1_11comp_targetILNS1_3genE5ELNS1_11target_archE942ELNS1_3gpuE9ELNS1_3repE0EEES8_NS1_28merge_sort_block_sort_configILj256ELj4ELNS0_20block_sort_algorithmE0EEENS0_14default_configENS1_37merge_sort_block_sort_config_selectorIlNS0_10empty_typeEEENS1_38merge_sort_block_merge_config_selectorIlSE_EEEEvv: ; @_ZN7rocprim17ROCPRIM_400000_NS6detail44device_merge_sort_compile_time_verifier_archINS1_11comp_targetILNS1_3genE5ELNS1_11target_archE942ELNS1_3gpuE9ELNS1_3repE0EEES8_NS1_28merge_sort_block_sort_configILj256ELj4ELNS0_20block_sort_algorithmE0EEENS0_14default_configENS1_37merge_sort_block_sort_config_selectorIlNS0_10empty_typeEEENS1_38merge_sort_block_merge_config_selectorIlSE_EEEEvv
; %bb.0:
	s_endpgm
	.section	.rodata,"a",@progbits
	.p2align	6, 0x0
	.amdhsa_kernel _ZN7rocprim17ROCPRIM_400000_NS6detail44device_merge_sort_compile_time_verifier_archINS1_11comp_targetILNS1_3genE5ELNS1_11target_archE942ELNS1_3gpuE9ELNS1_3repE0EEES8_NS1_28merge_sort_block_sort_configILj256ELj4ELNS0_20block_sort_algorithmE0EEENS0_14default_configENS1_37merge_sort_block_sort_config_selectorIlNS0_10empty_typeEEENS1_38merge_sort_block_merge_config_selectorIlSE_EEEEvv
		.amdhsa_group_segment_fixed_size 0
		.amdhsa_private_segment_fixed_size 0
		.amdhsa_kernarg_size 0
		.amdhsa_user_sgpr_count 0
		.amdhsa_user_sgpr_dispatch_ptr 0
		.amdhsa_user_sgpr_queue_ptr 0
		.amdhsa_user_sgpr_kernarg_segment_ptr 0
		.amdhsa_user_sgpr_dispatch_id 0
		.amdhsa_user_sgpr_kernarg_preload_length 0
		.amdhsa_user_sgpr_kernarg_preload_offset 0
		.amdhsa_user_sgpr_private_segment_size 0
		.amdhsa_wavefront_size32 1
		.amdhsa_uses_dynamic_stack 0
		.amdhsa_enable_private_segment 0
		.amdhsa_system_sgpr_workgroup_id_x 1
		.amdhsa_system_sgpr_workgroup_id_y 0
		.amdhsa_system_sgpr_workgroup_id_z 0
		.amdhsa_system_sgpr_workgroup_info 0
		.amdhsa_system_vgpr_workitem_id 0
		.amdhsa_next_free_vgpr 1
		.amdhsa_next_free_sgpr 1
		.amdhsa_named_barrier_count 0
		.amdhsa_reserve_vcc 0
		.amdhsa_float_round_mode_32 0
		.amdhsa_float_round_mode_16_64 0
		.amdhsa_float_denorm_mode_32 3
		.amdhsa_float_denorm_mode_16_64 3
		.amdhsa_fp16_overflow 0
		.amdhsa_memory_ordered 1
		.amdhsa_forward_progress 1
		.amdhsa_inst_pref_size 1
		.amdhsa_round_robin_scheduling 0
		.amdhsa_exception_fp_ieee_invalid_op 0
		.amdhsa_exception_fp_denorm_src 0
		.amdhsa_exception_fp_ieee_div_zero 0
		.amdhsa_exception_fp_ieee_overflow 0
		.amdhsa_exception_fp_ieee_underflow 0
		.amdhsa_exception_fp_ieee_inexact 0
		.amdhsa_exception_int_div_zero 0
	.end_amdhsa_kernel
	.section	.text._ZN7rocprim17ROCPRIM_400000_NS6detail44device_merge_sort_compile_time_verifier_archINS1_11comp_targetILNS1_3genE5ELNS1_11target_archE942ELNS1_3gpuE9ELNS1_3repE0EEES8_NS1_28merge_sort_block_sort_configILj256ELj4ELNS0_20block_sort_algorithmE0EEENS0_14default_configENS1_37merge_sort_block_sort_config_selectorIlNS0_10empty_typeEEENS1_38merge_sort_block_merge_config_selectorIlSE_EEEEvv,"axG",@progbits,_ZN7rocprim17ROCPRIM_400000_NS6detail44device_merge_sort_compile_time_verifier_archINS1_11comp_targetILNS1_3genE5ELNS1_11target_archE942ELNS1_3gpuE9ELNS1_3repE0EEES8_NS1_28merge_sort_block_sort_configILj256ELj4ELNS0_20block_sort_algorithmE0EEENS0_14default_configENS1_37merge_sort_block_sort_config_selectorIlNS0_10empty_typeEEENS1_38merge_sort_block_merge_config_selectorIlSE_EEEEvv,comdat
.Lfunc_end1006:
	.size	_ZN7rocprim17ROCPRIM_400000_NS6detail44device_merge_sort_compile_time_verifier_archINS1_11comp_targetILNS1_3genE5ELNS1_11target_archE942ELNS1_3gpuE9ELNS1_3repE0EEES8_NS1_28merge_sort_block_sort_configILj256ELj4ELNS0_20block_sort_algorithmE0EEENS0_14default_configENS1_37merge_sort_block_sort_config_selectorIlNS0_10empty_typeEEENS1_38merge_sort_block_merge_config_selectorIlSE_EEEEvv, .Lfunc_end1006-_ZN7rocprim17ROCPRIM_400000_NS6detail44device_merge_sort_compile_time_verifier_archINS1_11comp_targetILNS1_3genE5ELNS1_11target_archE942ELNS1_3gpuE9ELNS1_3repE0EEES8_NS1_28merge_sort_block_sort_configILj256ELj4ELNS0_20block_sort_algorithmE0EEENS0_14default_configENS1_37merge_sort_block_sort_config_selectorIlNS0_10empty_typeEEENS1_38merge_sort_block_merge_config_selectorIlSE_EEEEvv
                                        ; -- End function
	.set _ZN7rocprim17ROCPRIM_400000_NS6detail44device_merge_sort_compile_time_verifier_archINS1_11comp_targetILNS1_3genE5ELNS1_11target_archE942ELNS1_3gpuE9ELNS1_3repE0EEES8_NS1_28merge_sort_block_sort_configILj256ELj4ELNS0_20block_sort_algorithmE0EEENS0_14default_configENS1_37merge_sort_block_sort_config_selectorIlNS0_10empty_typeEEENS1_38merge_sort_block_merge_config_selectorIlSE_EEEEvv.num_vgpr, 0
	.set _ZN7rocprim17ROCPRIM_400000_NS6detail44device_merge_sort_compile_time_verifier_archINS1_11comp_targetILNS1_3genE5ELNS1_11target_archE942ELNS1_3gpuE9ELNS1_3repE0EEES8_NS1_28merge_sort_block_sort_configILj256ELj4ELNS0_20block_sort_algorithmE0EEENS0_14default_configENS1_37merge_sort_block_sort_config_selectorIlNS0_10empty_typeEEENS1_38merge_sort_block_merge_config_selectorIlSE_EEEEvv.num_agpr, 0
	.set _ZN7rocprim17ROCPRIM_400000_NS6detail44device_merge_sort_compile_time_verifier_archINS1_11comp_targetILNS1_3genE5ELNS1_11target_archE942ELNS1_3gpuE9ELNS1_3repE0EEES8_NS1_28merge_sort_block_sort_configILj256ELj4ELNS0_20block_sort_algorithmE0EEENS0_14default_configENS1_37merge_sort_block_sort_config_selectorIlNS0_10empty_typeEEENS1_38merge_sort_block_merge_config_selectorIlSE_EEEEvv.numbered_sgpr, 0
	.set _ZN7rocprim17ROCPRIM_400000_NS6detail44device_merge_sort_compile_time_verifier_archINS1_11comp_targetILNS1_3genE5ELNS1_11target_archE942ELNS1_3gpuE9ELNS1_3repE0EEES8_NS1_28merge_sort_block_sort_configILj256ELj4ELNS0_20block_sort_algorithmE0EEENS0_14default_configENS1_37merge_sort_block_sort_config_selectorIlNS0_10empty_typeEEENS1_38merge_sort_block_merge_config_selectorIlSE_EEEEvv.num_named_barrier, 0
	.set _ZN7rocprim17ROCPRIM_400000_NS6detail44device_merge_sort_compile_time_verifier_archINS1_11comp_targetILNS1_3genE5ELNS1_11target_archE942ELNS1_3gpuE9ELNS1_3repE0EEES8_NS1_28merge_sort_block_sort_configILj256ELj4ELNS0_20block_sort_algorithmE0EEENS0_14default_configENS1_37merge_sort_block_sort_config_selectorIlNS0_10empty_typeEEENS1_38merge_sort_block_merge_config_selectorIlSE_EEEEvv.private_seg_size, 0
	.set _ZN7rocprim17ROCPRIM_400000_NS6detail44device_merge_sort_compile_time_verifier_archINS1_11comp_targetILNS1_3genE5ELNS1_11target_archE942ELNS1_3gpuE9ELNS1_3repE0EEES8_NS1_28merge_sort_block_sort_configILj256ELj4ELNS0_20block_sort_algorithmE0EEENS0_14default_configENS1_37merge_sort_block_sort_config_selectorIlNS0_10empty_typeEEENS1_38merge_sort_block_merge_config_selectorIlSE_EEEEvv.uses_vcc, 0
	.set _ZN7rocprim17ROCPRIM_400000_NS6detail44device_merge_sort_compile_time_verifier_archINS1_11comp_targetILNS1_3genE5ELNS1_11target_archE942ELNS1_3gpuE9ELNS1_3repE0EEES8_NS1_28merge_sort_block_sort_configILj256ELj4ELNS0_20block_sort_algorithmE0EEENS0_14default_configENS1_37merge_sort_block_sort_config_selectorIlNS0_10empty_typeEEENS1_38merge_sort_block_merge_config_selectorIlSE_EEEEvv.uses_flat_scratch, 0
	.set _ZN7rocprim17ROCPRIM_400000_NS6detail44device_merge_sort_compile_time_verifier_archINS1_11comp_targetILNS1_3genE5ELNS1_11target_archE942ELNS1_3gpuE9ELNS1_3repE0EEES8_NS1_28merge_sort_block_sort_configILj256ELj4ELNS0_20block_sort_algorithmE0EEENS0_14default_configENS1_37merge_sort_block_sort_config_selectorIlNS0_10empty_typeEEENS1_38merge_sort_block_merge_config_selectorIlSE_EEEEvv.has_dyn_sized_stack, 0
	.set _ZN7rocprim17ROCPRIM_400000_NS6detail44device_merge_sort_compile_time_verifier_archINS1_11comp_targetILNS1_3genE5ELNS1_11target_archE942ELNS1_3gpuE9ELNS1_3repE0EEES8_NS1_28merge_sort_block_sort_configILj256ELj4ELNS0_20block_sort_algorithmE0EEENS0_14default_configENS1_37merge_sort_block_sort_config_selectorIlNS0_10empty_typeEEENS1_38merge_sort_block_merge_config_selectorIlSE_EEEEvv.has_recursion, 0
	.set _ZN7rocprim17ROCPRIM_400000_NS6detail44device_merge_sort_compile_time_verifier_archINS1_11comp_targetILNS1_3genE5ELNS1_11target_archE942ELNS1_3gpuE9ELNS1_3repE0EEES8_NS1_28merge_sort_block_sort_configILj256ELj4ELNS0_20block_sort_algorithmE0EEENS0_14default_configENS1_37merge_sort_block_sort_config_selectorIlNS0_10empty_typeEEENS1_38merge_sort_block_merge_config_selectorIlSE_EEEEvv.has_indirect_call, 0
	.section	.AMDGPU.csdata,"",@progbits
; Kernel info:
; codeLenInByte = 4
; TotalNumSgprs: 0
; NumVgprs: 0
; ScratchSize: 0
; MemoryBound: 0
; FloatMode: 240
; IeeeMode: 1
; LDSByteSize: 0 bytes/workgroup (compile time only)
; SGPRBlocks: 0
; VGPRBlocks: 0
; NumSGPRsForWavesPerEU: 1
; NumVGPRsForWavesPerEU: 1
; NamedBarCnt: 0
; Occupancy: 16
; WaveLimiterHint : 0
; COMPUTE_PGM_RSRC2:SCRATCH_EN: 0
; COMPUTE_PGM_RSRC2:USER_SGPR: 0
; COMPUTE_PGM_RSRC2:TRAP_HANDLER: 0
; COMPUTE_PGM_RSRC2:TGID_X_EN: 1
; COMPUTE_PGM_RSRC2:TGID_Y_EN: 0
; COMPUTE_PGM_RSRC2:TGID_Z_EN: 0
; COMPUTE_PGM_RSRC2:TIDIG_COMP_CNT: 0
	.section	.text._ZN7rocprim17ROCPRIM_400000_NS6detail44device_merge_sort_compile_time_verifier_archINS1_11comp_targetILNS1_3genE4ELNS1_11target_archE910ELNS1_3gpuE8ELNS1_3repE0EEES8_NS1_28merge_sort_block_sort_configILj256ELj4ELNS0_20block_sort_algorithmE0EEENS0_14default_configENS1_37merge_sort_block_sort_config_selectorIlNS0_10empty_typeEEENS1_38merge_sort_block_merge_config_selectorIlSE_EEEEvv,"axG",@progbits,_ZN7rocprim17ROCPRIM_400000_NS6detail44device_merge_sort_compile_time_verifier_archINS1_11comp_targetILNS1_3genE4ELNS1_11target_archE910ELNS1_3gpuE8ELNS1_3repE0EEES8_NS1_28merge_sort_block_sort_configILj256ELj4ELNS0_20block_sort_algorithmE0EEENS0_14default_configENS1_37merge_sort_block_sort_config_selectorIlNS0_10empty_typeEEENS1_38merge_sort_block_merge_config_selectorIlSE_EEEEvv,comdat
	.protected	_ZN7rocprim17ROCPRIM_400000_NS6detail44device_merge_sort_compile_time_verifier_archINS1_11comp_targetILNS1_3genE4ELNS1_11target_archE910ELNS1_3gpuE8ELNS1_3repE0EEES8_NS1_28merge_sort_block_sort_configILj256ELj4ELNS0_20block_sort_algorithmE0EEENS0_14default_configENS1_37merge_sort_block_sort_config_selectorIlNS0_10empty_typeEEENS1_38merge_sort_block_merge_config_selectorIlSE_EEEEvv ; -- Begin function _ZN7rocprim17ROCPRIM_400000_NS6detail44device_merge_sort_compile_time_verifier_archINS1_11comp_targetILNS1_3genE4ELNS1_11target_archE910ELNS1_3gpuE8ELNS1_3repE0EEES8_NS1_28merge_sort_block_sort_configILj256ELj4ELNS0_20block_sort_algorithmE0EEENS0_14default_configENS1_37merge_sort_block_sort_config_selectorIlNS0_10empty_typeEEENS1_38merge_sort_block_merge_config_selectorIlSE_EEEEvv
	.globl	_ZN7rocprim17ROCPRIM_400000_NS6detail44device_merge_sort_compile_time_verifier_archINS1_11comp_targetILNS1_3genE4ELNS1_11target_archE910ELNS1_3gpuE8ELNS1_3repE0EEES8_NS1_28merge_sort_block_sort_configILj256ELj4ELNS0_20block_sort_algorithmE0EEENS0_14default_configENS1_37merge_sort_block_sort_config_selectorIlNS0_10empty_typeEEENS1_38merge_sort_block_merge_config_selectorIlSE_EEEEvv
	.p2align	8
	.type	_ZN7rocprim17ROCPRIM_400000_NS6detail44device_merge_sort_compile_time_verifier_archINS1_11comp_targetILNS1_3genE4ELNS1_11target_archE910ELNS1_3gpuE8ELNS1_3repE0EEES8_NS1_28merge_sort_block_sort_configILj256ELj4ELNS0_20block_sort_algorithmE0EEENS0_14default_configENS1_37merge_sort_block_sort_config_selectorIlNS0_10empty_typeEEENS1_38merge_sort_block_merge_config_selectorIlSE_EEEEvv,@function
_ZN7rocprim17ROCPRIM_400000_NS6detail44device_merge_sort_compile_time_verifier_archINS1_11comp_targetILNS1_3genE4ELNS1_11target_archE910ELNS1_3gpuE8ELNS1_3repE0EEES8_NS1_28merge_sort_block_sort_configILj256ELj4ELNS0_20block_sort_algorithmE0EEENS0_14default_configENS1_37merge_sort_block_sort_config_selectorIlNS0_10empty_typeEEENS1_38merge_sort_block_merge_config_selectorIlSE_EEEEvv: ; @_ZN7rocprim17ROCPRIM_400000_NS6detail44device_merge_sort_compile_time_verifier_archINS1_11comp_targetILNS1_3genE4ELNS1_11target_archE910ELNS1_3gpuE8ELNS1_3repE0EEES8_NS1_28merge_sort_block_sort_configILj256ELj4ELNS0_20block_sort_algorithmE0EEENS0_14default_configENS1_37merge_sort_block_sort_config_selectorIlNS0_10empty_typeEEENS1_38merge_sort_block_merge_config_selectorIlSE_EEEEvv
; %bb.0:
	s_endpgm
	.section	.rodata,"a",@progbits
	.p2align	6, 0x0
	.amdhsa_kernel _ZN7rocprim17ROCPRIM_400000_NS6detail44device_merge_sort_compile_time_verifier_archINS1_11comp_targetILNS1_3genE4ELNS1_11target_archE910ELNS1_3gpuE8ELNS1_3repE0EEES8_NS1_28merge_sort_block_sort_configILj256ELj4ELNS0_20block_sort_algorithmE0EEENS0_14default_configENS1_37merge_sort_block_sort_config_selectorIlNS0_10empty_typeEEENS1_38merge_sort_block_merge_config_selectorIlSE_EEEEvv
		.amdhsa_group_segment_fixed_size 0
		.amdhsa_private_segment_fixed_size 0
		.amdhsa_kernarg_size 0
		.amdhsa_user_sgpr_count 0
		.amdhsa_user_sgpr_dispatch_ptr 0
		.amdhsa_user_sgpr_queue_ptr 0
		.amdhsa_user_sgpr_kernarg_segment_ptr 0
		.amdhsa_user_sgpr_dispatch_id 0
		.amdhsa_user_sgpr_kernarg_preload_length 0
		.amdhsa_user_sgpr_kernarg_preload_offset 0
		.amdhsa_user_sgpr_private_segment_size 0
		.amdhsa_wavefront_size32 1
		.amdhsa_uses_dynamic_stack 0
		.amdhsa_enable_private_segment 0
		.amdhsa_system_sgpr_workgroup_id_x 1
		.amdhsa_system_sgpr_workgroup_id_y 0
		.amdhsa_system_sgpr_workgroup_id_z 0
		.amdhsa_system_sgpr_workgroup_info 0
		.amdhsa_system_vgpr_workitem_id 0
		.amdhsa_next_free_vgpr 1
		.amdhsa_next_free_sgpr 1
		.amdhsa_named_barrier_count 0
		.amdhsa_reserve_vcc 0
		.amdhsa_float_round_mode_32 0
		.amdhsa_float_round_mode_16_64 0
		.amdhsa_float_denorm_mode_32 3
		.amdhsa_float_denorm_mode_16_64 3
		.amdhsa_fp16_overflow 0
		.amdhsa_memory_ordered 1
		.amdhsa_forward_progress 1
		.amdhsa_inst_pref_size 1
		.amdhsa_round_robin_scheduling 0
		.amdhsa_exception_fp_ieee_invalid_op 0
		.amdhsa_exception_fp_denorm_src 0
		.amdhsa_exception_fp_ieee_div_zero 0
		.amdhsa_exception_fp_ieee_overflow 0
		.amdhsa_exception_fp_ieee_underflow 0
		.amdhsa_exception_fp_ieee_inexact 0
		.amdhsa_exception_int_div_zero 0
	.end_amdhsa_kernel
	.section	.text._ZN7rocprim17ROCPRIM_400000_NS6detail44device_merge_sort_compile_time_verifier_archINS1_11comp_targetILNS1_3genE4ELNS1_11target_archE910ELNS1_3gpuE8ELNS1_3repE0EEES8_NS1_28merge_sort_block_sort_configILj256ELj4ELNS0_20block_sort_algorithmE0EEENS0_14default_configENS1_37merge_sort_block_sort_config_selectorIlNS0_10empty_typeEEENS1_38merge_sort_block_merge_config_selectorIlSE_EEEEvv,"axG",@progbits,_ZN7rocprim17ROCPRIM_400000_NS6detail44device_merge_sort_compile_time_verifier_archINS1_11comp_targetILNS1_3genE4ELNS1_11target_archE910ELNS1_3gpuE8ELNS1_3repE0EEES8_NS1_28merge_sort_block_sort_configILj256ELj4ELNS0_20block_sort_algorithmE0EEENS0_14default_configENS1_37merge_sort_block_sort_config_selectorIlNS0_10empty_typeEEENS1_38merge_sort_block_merge_config_selectorIlSE_EEEEvv,comdat
.Lfunc_end1007:
	.size	_ZN7rocprim17ROCPRIM_400000_NS6detail44device_merge_sort_compile_time_verifier_archINS1_11comp_targetILNS1_3genE4ELNS1_11target_archE910ELNS1_3gpuE8ELNS1_3repE0EEES8_NS1_28merge_sort_block_sort_configILj256ELj4ELNS0_20block_sort_algorithmE0EEENS0_14default_configENS1_37merge_sort_block_sort_config_selectorIlNS0_10empty_typeEEENS1_38merge_sort_block_merge_config_selectorIlSE_EEEEvv, .Lfunc_end1007-_ZN7rocprim17ROCPRIM_400000_NS6detail44device_merge_sort_compile_time_verifier_archINS1_11comp_targetILNS1_3genE4ELNS1_11target_archE910ELNS1_3gpuE8ELNS1_3repE0EEES8_NS1_28merge_sort_block_sort_configILj256ELj4ELNS0_20block_sort_algorithmE0EEENS0_14default_configENS1_37merge_sort_block_sort_config_selectorIlNS0_10empty_typeEEENS1_38merge_sort_block_merge_config_selectorIlSE_EEEEvv
                                        ; -- End function
	.set _ZN7rocprim17ROCPRIM_400000_NS6detail44device_merge_sort_compile_time_verifier_archINS1_11comp_targetILNS1_3genE4ELNS1_11target_archE910ELNS1_3gpuE8ELNS1_3repE0EEES8_NS1_28merge_sort_block_sort_configILj256ELj4ELNS0_20block_sort_algorithmE0EEENS0_14default_configENS1_37merge_sort_block_sort_config_selectorIlNS0_10empty_typeEEENS1_38merge_sort_block_merge_config_selectorIlSE_EEEEvv.num_vgpr, 0
	.set _ZN7rocprim17ROCPRIM_400000_NS6detail44device_merge_sort_compile_time_verifier_archINS1_11comp_targetILNS1_3genE4ELNS1_11target_archE910ELNS1_3gpuE8ELNS1_3repE0EEES8_NS1_28merge_sort_block_sort_configILj256ELj4ELNS0_20block_sort_algorithmE0EEENS0_14default_configENS1_37merge_sort_block_sort_config_selectorIlNS0_10empty_typeEEENS1_38merge_sort_block_merge_config_selectorIlSE_EEEEvv.num_agpr, 0
	.set _ZN7rocprim17ROCPRIM_400000_NS6detail44device_merge_sort_compile_time_verifier_archINS1_11comp_targetILNS1_3genE4ELNS1_11target_archE910ELNS1_3gpuE8ELNS1_3repE0EEES8_NS1_28merge_sort_block_sort_configILj256ELj4ELNS0_20block_sort_algorithmE0EEENS0_14default_configENS1_37merge_sort_block_sort_config_selectorIlNS0_10empty_typeEEENS1_38merge_sort_block_merge_config_selectorIlSE_EEEEvv.numbered_sgpr, 0
	.set _ZN7rocprim17ROCPRIM_400000_NS6detail44device_merge_sort_compile_time_verifier_archINS1_11comp_targetILNS1_3genE4ELNS1_11target_archE910ELNS1_3gpuE8ELNS1_3repE0EEES8_NS1_28merge_sort_block_sort_configILj256ELj4ELNS0_20block_sort_algorithmE0EEENS0_14default_configENS1_37merge_sort_block_sort_config_selectorIlNS0_10empty_typeEEENS1_38merge_sort_block_merge_config_selectorIlSE_EEEEvv.num_named_barrier, 0
	.set _ZN7rocprim17ROCPRIM_400000_NS6detail44device_merge_sort_compile_time_verifier_archINS1_11comp_targetILNS1_3genE4ELNS1_11target_archE910ELNS1_3gpuE8ELNS1_3repE0EEES8_NS1_28merge_sort_block_sort_configILj256ELj4ELNS0_20block_sort_algorithmE0EEENS0_14default_configENS1_37merge_sort_block_sort_config_selectorIlNS0_10empty_typeEEENS1_38merge_sort_block_merge_config_selectorIlSE_EEEEvv.private_seg_size, 0
	.set _ZN7rocprim17ROCPRIM_400000_NS6detail44device_merge_sort_compile_time_verifier_archINS1_11comp_targetILNS1_3genE4ELNS1_11target_archE910ELNS1_3gpuE8ELNS1_3repE0EEES8_NS1_28merge_sort_block_sort_configILj256ELj4ELNS0_20block_sort_algorithmE0EEENS0_14default_configENS1_37merge_sort_block_sort_config_selectorIlNS0_10empty_typeEEENS1_38merge_sort_block_merge_config_selectorIlSE_EEEEvv.uses_vcc, 0
	.set _ZN7rocprim17ROCPRIM_400000_NS6detail44device_merge_sort_compile_time_verifier_archINS1_11comp_targetILNS1_3genE4ELNS1_11target_archE910ELNS1_3gpuE8ELNS1_3repE0EEES8_NS1_28merge_sort_block_sort_configILj256ELj4ELNS0_20block_sort_algorithmE0EEENS0_14default_configENS1_37merge_sort_block_sort_config_selectorIlNS0_10empty_typeEEENS1_38merge_sort_block_merge_config_selectorIlSE_EEEEvv.uses_flat_scratch, 0
	.set _ZN7rocprim17ROCPRIM_400000_NS6detail44device_merge_sort_compile_time_verifier_archINS1_11comp_targetILNS1_3genE4ELNS1_11target_archE910ELNS1_3gpuE8ELNS1_3repE0EEES8_NS1_28merge_sort_block_sort_configILj256ELj4ELNS0_20block_sort_algorithmE0EEENS0_14default_configENS1_37merge_sort_block_sort_config_selectorIlNS0_10empty_typeEEENS1_38merge_sort_block_merge_config_selectorIlSE_EEEEvv.has_dyn_sized_stack, 0
	.set _ZN7rocprim17ROCPRIM_400000_NS6detail44device_merge_sort_compile_time_verifier_archINS1_11comp_targetILNS1_3genE4ELNS1_11target_archE910ELNS1_3gpuE8ELNS1_3repE0EEES8_NS1_28merge_sort_block_sort_configILj256ELj4ELNS0_20block_sort_algorithmE0EEENS0_14default_configENS1_37merge_sort_block_sort_config_selectorIlNS0_10empty_typeEEENS1_38merge_sort_block_merge_config_selectorIlSE_EEEEvv.has_recursion, 0
	.set _ZN7rocprim17ROCPRIM_400000_NS6detail44device_merge_sort_compile_time_verifier_archINS1_11comp_targetILNS1_3genE4ELNS1_11target_archE910ELNS1_3gpuE8ELNS1_3repE0EEES8_NS1_28merge_sort_block_sort_configILj256ELj4ELNS0_20block_sort_algorithmE0EEENS0_14default_configENS1_37merge_sort_block_sort_config_selectorIlNS0_10empty_typeEEENS1_38merge_sort_block_merge_config_selectorIlSE_EEEEvv.has_indirect_call, 0
	.section	.AMDGPU.csdata,"",@progbits
; Kernel info:
; codeLenInByte = 4
; TotalNumSgprs: 0
; NumVgprs: 0
; ScratchSize: 0
; MemoryBound: 0
; FloatMode: 240
; IeeeMode: 1
; LDSByteSize: 0 bytes/workgroup (compile time only)
; SGPRBlocks: 0
; VGPRBlocks: 0
; NumSGPRsForWavesPerEU: 1
; NumVGPRsForWavesPerEU: 1
; NamedBarCnt: 0
; Occupancy: 16
; WaveLimiterHint : 0
; COMPUTE_PGM_RSRC2:SCRATCH_EN: 0
; COMPUTE_PGM_RSRC2:USER_SGPR: 0
; COMPUTE_PGM_RSRC2:TRAP_HANDLER: 0
; COMPUTE_PGM_RSRC2:TGID_X_EN: 1
; COMPUTE_PGM_RSRC2:TGID_Y_EN: 0
; COMPUTE_PGM_RSRC2:TGID_Z_EN: 0
; COMPUTE_PGM_RSRC2:TIDIG_COMP_CNT: 0
	.section	.text._ZN7rocprim17ROCPRIM_400000_NS6detail44device_merge_sort_compile_time_verifier_archINS1_11comp_targetILNS1_3genE3ELNS1_11target_archE908ELNS1_3gpuE7ELNS1_3repE0EEES8_NS1_28merge_sort_block_sort_configILj256ELj4ELNS0_20block_sort_algorithmE0EEENS0_14default_configENS1_37merge_sort_block_sort_config_selectorIlNS0_10empty_typeEEENS1_38merge_sort_block_merge_config_selectorIlSE_EEEEvv,"axG",@progbits,_ZN7rocprim17ROCPRIM_400000_NS6detail44device_merge_sort_compile_time_verifier_archINS1_11comp_targetILNS1_3genE3ELNS1_11target_archE908ELNS1_3gpuE7ELNS1_3repE0EEES8_NS1_28merge_sort_block_sort_configILj256ELj4ELNS0_20block_sort_algorithmE0EEENS0_14default_configENS1_37merge_sort_block_sort_config_selectorIlNS0_10empty_typeEEENS1_38merge_sort_block_merge_config_selectorIlSE_EEEEvv,comdat
	.protected	_ZN7rocprim17ROCPRIM_400000_NS6detail44device_merge_sort_compile_time_verifier_archINS1_11comp_targetILNS1_3genE3ELNS1_11target_archE908ELNS1_3gpuE7ELNS1_3repE0EEES8_NS1_28merge_sort_block_sort_configILj256ELj4ELNS0_20block_sort_algorithmE0EEENS0_14default_configENS1_37merge_sort_block_sort_config_selectorIlNS0_10empty_typeEEENS1_38merge_sort_block_merge_config_selectorIlSE_EEEEvv ; -- Begin function _ZN7rocprim17ROCPRIM_400000_NS6detail44device_merge_sort_compile_time_verifier_archINS1_11comp_targetILNS1_3genE3ELNS1_11target_archE908ELNS1_3gpuE7ELNS1_3repE0EEES8_NS1_28merge_sort_block_sort_configILj256ELj4ELNS0_20block_sort_algorithmE0EEENS0_14default_configENS1_37merge_sort_block_sort_config_selectorIlNS0_10empty_typeEEENS1_38merge_sort_block_merge_config_selectorIlSE_EEEEvv
	.globl	_ZN7rocprim17ROCPRIM_400000_NS6detail44device_merge_sort_compile_time_verifier_archINS1_11comp_targetILNS1_3genE3ELNS1_11target_archE908ELNS1_3gpuE7ELNS1_3repE0EEES8_NS1_28merge_sort_block_sort_configILj256ELj4ELNS0_20block_sort_algorithmE0EEENS0_14default_configENS1_37merge_sort_block_sort_config_selectorIlNS0_10empty_typeEEENS1_38merge_sort_block_merge_config_selectorIlSE_EEEEvv
	.p2align	8
	.type	_ZN7rocprim17ROCPRIM_400000_NS6detail44device_merge_sort_compile_time_verifier_archINS1_11comp_targetILNS1_3genE3ELNS1_11target_archE908ELNS1_3gpuE7ELNS1_3repE0EEES8_NS1_28merge_sort_block_sort_configILj256ELj4ELNS0_20block_sort_algorithmE0EEENS0_14default_configENS1_37merge_sort_block_sort_config_selectorIlNS0_10empty_typeEEENS1_38merge_sort_block_merge_config_selectorIlSE_EEEEvv,@function
_ZN7rocprim17ROCPRIM_400000_NS6detail44device_merge_sort_compile_time_verifier_archINS1_11comp_targetILNS1_3genE3ELNS1_11target_archE908ELNS1_3gpuE7ELNS1_3repE0EEES8_NS1_28merge_sort_block_sort_configILj256ELj4ELNS0_20block_sort_algorithmE0EEENS0_14default_configENS1_37merge_sort_block_sort_config_selectorIlNS0_10empty_typeEEENS1_38merge_sort_block_merge_config_selectorIlSE_EEEEvv: ; @_ZN7rocprim17ROCPRIM_400000_NS6detail44device_merge_sort_compile_time_verifier_archINS1_11comp_targetILNS1_3genE3ELNS1_11target_archE908ELNS1_3gpuE7ELNS1_3repE0EEES8_NS1_28merge_sort_block_sort_configILj256ELj4ELNS0_20block_sort_algorithmE0EEENS0_14default_configENS1_37merge_sort_block_sort_config_selectorIlNS0_10empty_typeEEENS1_38merge_sort_block_merge_config_selectorIlSE_EEEEvv
; %bb.0:
	s_endpgm
	.section	.rodata,"a",@progbits
	.p2align	6, 0x0
	.amdhsa_kernel _ZN7rocprim17ROCPRIM_400000_NS6detail44device_merge_sort_compile_time_verifier_archINS1_11comp_targetILNS1_3genE3ELNS1_11target_archE908ELNS1_3gpuE7ELNS1_3repE0EEES8_NS1_28merge_sort_block_sort_configILj256ELj4ELNS0_20block_sort_algorithmE0EEENS0_14default_configENS1_37merge_sort_block_sort_config_selectorIlNS0_10empty_typeEEENS1_38merge_sort_block_merge_config_selectorIlSE_EEEEvv
		.amdhsa_group_segment_fixed_size 0
		.amdhsa_private_segment_fixed_size 0
		.amdhsa_kernarg_size 0
		.amdhsa_user_sgpr_count 0
		.amdhsa_user_sgpr_dispatch_ptr 0
		.amdhsa_user_sgpr_queue_ptr 0
		.amdhsa_user_sgpr_kernarg_segment_ptr 0
		.amdhsa_user_sgpr_dispatch_id 0
		.amdhsa_user_sgpr_kernarg_preload_length 0
		.amdhsa_user_sgpr_kernarg_preload_offset 0
		.amdhsa_user_sgpr_private_segment_size 0
		.amdhsa_wavefront_size32 1
		.amdhsa_uses_dynamic_stack 0
		.amdhsa_enable_private_segment 0
		.amdhsa_system_sgpr_workgroup_id_x 1
		.amdhsa_system_sgpr_workgroup_id_y 0
		.amdhsa_system_sgpr_workgroup_id_z 0
		.amdhsa_system_sgpr_workgroup_info 0
		.amdhsa_system_vgpr_workitem_id 0
		.amdhsa_next_free_vgpr 1
		.amdhsa_next_free_sgpr 1
		.amdhsa_named_barrier_count 0
		.amdhsa_reserve_vcc 0
		.amdhsa_float_round_mode_32 0
		.amdhsa_float_round_mode_16_64 0
		.amdhsa_float_denorm_mode_32 3
		.amdhsa_float_denorm_mode_16_64 3
		.amdhsa_fp16_overflow 0
		.amdhsa_memory_ordered 1
		.amdhsa_forward_progress 1
		.amdhsa_inst_pref_size 1
		.amdhsa_round_robin_scheduling 0
		.amdhsa_exception_fp_ieee_invalid_op 0
		.amdhsa_exception_fp_denorm_src 0
		.amdhsa_exception_fp_ieee_div_zero 0
		.amdhsa_exception_fp_ieee_overflow 0
		.amdhsa_exception_fp_ieee_underflow 0
		.amdhsa_exception_fp_ieee_inexact 0
		.amdhsa_exception_int_div_zero 0
	.end_amdhsa_kernel
	.section	.text._ZN7rocprim17ROCPRIM_400000_NS6detail44device_merge_sort_compile_time_verifier_archINS1_11comp_targetILNS1_3genE3ELNS1_11target_archE908ELNS1_3gpuE7ELNS1_3repE0EEES8_NS1_28merge_sort_block_sort_configILj256ELj4ELNS0_20block_sort_algorithmE0EEENS0_14default_configENS1_37merge_sort_block_sort_config_selectorIlNS0_10empty_typeEEENS1_38merge_sort_block_merge_config_selectorIlSE_EEEEvv,"axG",@progbits,_ZN7rocprim17ROCPRIM_400000_NS6detail44device_merge_sort_compile_time_verifier_archINS1_11comp_targetILNS1_3genE3ELNS1_11target_archE908ELNS1_3gpuE7ELNS1_3repE0EEES8_NS1_28merge_sort_block_sort_configILj256ELj4ELNS0_20block_sort_algorithmE0EEENS0_14default_configENS1_37merge_sort_block_sort_config_selectorIlNS0_10empty_typeEEENS1_38merge_sort_block_merge_config_selectorIlSE_EEEEvv,comdat
.Lfunc_end1008:
	.size	_ZN7rocprim17ROCPRIM_400000_NS6detail44device_merge_sort_compile_time_verifier_archINS1_11comp_targetILNS1_3genE3ELNS1_11target_archE908ELNS1_3gpuE7ELNS1_3repE0EEES8_NS1_28merge_sort_block_sort_configILj256ELj4ELNS0_20block_sort_algorithmE0EEENS0_14default_configENS1_37merge_sort_block_sort_config_selectorIlNS0_10empty_typeEEENS1_38merge_sort_block_merge_config_selectorIlSE_EEEEvv, .Lfunc_end1008-_ZN7rocprim17ROCPRIM_400000_NS6detail44device_merge_sort_compile_time_verifier_archINS1_11comp_targetILNS1_3genE3ELNS1_11target_archE908ELNS1_3gpuE7ELNS1_3repE0EEES8_NS1_28merge_sort_block_sort_configILj256ELj4ELNS0_20block_sort_algorithmE0EEENS0_14default_configENS1_37merge_sort_block_sort_config_selectorIlNS0_10empty_typeEEENS1_38merge_sort_block_merge_config_selectorIlSE_EEEEvv
                                        ; -- End function
	.set _ZN7rocprim17ROCPRIM_400000_NS6detail44device_merge_sort_compile_time_verifier_archINS1_11comp_targetILNS1_3genE3ELNS1_11target_archE908ELNS1_3gpuE7ELNS1_3repE0EEES8_NS1_28merge_sort_block_sort_configILj256ELj4ELNS0_20block_sort_algorithmE0EEENS0_14default_configENS1_37merge_sort_block_sort_config_selectorIlNS0_10empty_typeEEENS1_38merge_sort_block_merge_config_selectorIlSE_EEEEvv.num_vgpr, 0
	.set _ZN7rocprim17ROCPRIM_400000_NS6detail44device_merge_sort_compile_time_verifier_archINS1_11comp_targetILNS1_3genE3ELNS1_11target_archE908ELNS1_3gpuE7ELNS1_3repE0EEES8_NS1_28merge_sort_block_sort_configILj256ELj4ELNS0_20block_sort_algorithmE0EEENS0_14default_configENS1_37merge_sort_block_sort_config_selectorIlNS0_10empty_typeEEENS1_38merge_sort_block_merge_config_selectorIlSE_EEEEvv.num_agpr, 0
	.set _ZN7rocprim17ROCPRIM_400000_NS6detail44device_merge_sort_compile_time_verifier_archINS1_11comp_targetILNS1_3genE3ELNS1_11target_archE908ELNS1_3gpuE7ELNS1_3repE0EEES8_NS1_28merge_sort_block_sort_configILj256ELj4ELNS0_20block_sort_algorithmE0EEENS0_14default_configENS1_37merge_sort_block_sort_config_selectorIlNS0_10empty_typeEEENS1_38merge_sort_block_merge_config_selectorIlSE_EEEEvv.numbered_sgpr, 0
	.set _ZN7rocprim17ROCPRIM_400000_NS6detail44device_merge_sort_compile_time_verifier_archINS1_11comp_targetILNS1_3genE3ELNS1_11target_archE908ELNS1_3gpuE7ELNS1_3repE0EEES8_NS1_28merge_sort_block_sort_configILj256ELj4ELNS0_20block_sort_algorithmE0EEENS0_14default_configENS1_37merge_sort_block_sort_config_selectorIlNS0_10empty_typeEEENS1_38merge_sort_block_merge_config_selectorIlSE_EEEEvv.num_named_barrier, 0
	.set _ZN7rocprim17ROCPRIM_400000_NS6detail44device_merge_sort_compile_time_verifier_archINS1_11comp_targetILNS1_3genE3ELNS1_11target_archE908ELNS1_3gpuE7ELNS1_3repE0EEES8_NS1_28merge_sort_block_sort_configILj256ELj4ELNS0_20block_sort_algorithmE0EEENS0_14default_configENS1_37merge_sort_block_sort_config_selectorIlNS0_10empty_typeEEENS1_38merge_sort_block_merge_config_selectorIlSE_EEEEvv.private_seg_size, 0
	.set _ZN7rocprim17ROCPRIM_400000_NS6detail44device_merge_sort_compile_time_verifier_archINS1_11comp_targetILNS1_3genE3ELNS1_11target_archE908ELNS1_3gpuE7ELNS1_3repE0EEES8_NS1_28merge_sort_block_sort_configILj256ELj4ELNS0_20block_sort_algorithmE0EEENS0_14default_configENS1_37merge_sort_block_sort_config_selectorIlNS0_10empty_typeEEENS1_38merge_sort_block_merge_config_selectorIlSE_EEEEvv.uses_vcc, 0
	.set _ZN7rocprim17ROCPRIM_400000_NS6detail44device_merge_sort_compile_time_verifier_archINS1_11comp_targetILNS1_3genE3ELNS1_11target_archE908ELNS1_3gpuE7ELNS1_3repE0EEES8_NS1_28merge_sort_block_sort_configILj256ELj4ELNS0_20block_sort_algorithmE0EEENS0_14default_configENS1_37merge_sort_block_sort_config_selectorIlNS0_10empty_typeEEENS1_38merge_sort_block_merge_config_selectorIlSE_EEEEvv.uses_flat_scratch, 0
	.set _ZN7rocprim17ROCPRIM_400000_NS6detail44device_merge_sort_compile_time_verifier_archINS1_11comp_targetILNS1_3genE3ELNS1_11target_archE908ELNS1_3gpuE7ELNS1_3repE0EEES8_NS1_28merge_sort_block_sort_configILj256ELj4ELNS0_20block_sort_algorithmE0EEENS0_14default_configENS1_37merge_sort_block_sort_config_selectorIlNS0_10empty_typeEEENS1_38merge_sort_block_merge_config_selectorIlSE_EEEEvv.has_dyn_sized_stack, 0
	.set _ZN7rocprim17ROCPRIM_400000_NS6detail44device_merge_sort_compile_time_verifier_archINS1_11comp_targetILNS1_3genE3ELNS1_11target_archE908ELNS1_3gpuE7ELNS1_3repE0EEES8_NS1_28merge_sort_block_sort_configILj256ELj4ELNS0_20block_sort_algorithmE0EEENS0_14default_configENS1_37merge_sort_block_sort_config_selectorIlNS0_10empty_typeEEENS1_38merge_sort_block_merge_config_selectorIlSE_EEEEvv.has_recursion, 0
	.set _ZN7rocprim17ROCPRIM_400000_NS6detail44device_merge_sort_compile_time_verifier_archINS1_11comp_targetILNS1_3genE3ELNS1_11target_archE908ELNS1_3gpuE7ELNS1_3repE0EEES8_NS1_28merge_sort_block_sort_configILj256ELj4ELNS0_20block_sort_algorithmE0EEENS0_14default_configENS1_37merge_sort_block_sort_config_selectorIlNS0_10empty_typeEEENS1_38merge_sort_block_merge_config_selectorIlSE_EEEEvv.has_indirect_call, 0
	.section	.AMDGPU.csdata,"",@progbits
; Kernel info:
; codeLenInByte = 4
; TotalNumSgprs: 0
; NumVgprs: 0
; ScratchSize: 0
; MemoryBound: 0
; FloatMode: 240
; IeeeMode: 1
; LDSByteSize: 0 bytes/workgroup (compile time only)
; SGPRBlocks: 0
; VGPRBlocks: 0
; NumSGPRsForWavesPerEU: 1
; NumVGPRsForWavesPerEU: 1
; NamedBarCnt: 0
; Occupancy: 16
; WaveLimiterHint : 0
; COMPUTE_PGM_RSRC2:SCRATCH_EN: 0
; COMPUTE_PGM_RSRC2:USER_SGPR: 0
; COMPUTE_PGM_RSRC2:TRAP_HANDLER: 0
; COMPUTE_PGM_RSRC2:TGID_X_EN: 1
; COMPUTE_PGM_RSRC2:TGID_Y_EN: 0
; COMPUTE_PGM_RSRC2:TGID_Z_EN: 0
; COMPUTE_PGM_RSRC2:TIDIG_COMP_CNT: 0
	.section	.text._ZN7rocprim17ROCPRIM_400000_NS6detail44device_merge_sort_compile_time_verifier_archINS1_11comp_targetILNS1_3genE2ELNS1_11target_archE906ELNS1_3gpuE6ELNS1_3repE0EEES8_NS1_28merge_sort_block_sort_configILj256ELj4ELNS0_20block_sort_algorithmE0EEENS0_14default_configENS1_37merge_sort_block_sort_config_selectorIlNS0_10empty_typeEEENS1_38merge_sort_block_merge_config_selectorIlSE_EEEEvv,"axG",@progbits,_ZN7rocprim17ROCPRIM_400000_NS6detail44device_merge_sort_compile_time_verifier_archINS1_11comp_targetILNS1_3genE2ELNS1_11target_archE906ELNS1_3gpuE6ELNS1_3repE0EEES8_NS1_28merge_sort_block_sort_configILj256ELj4ELNS0_20block_sort_algorithmE0EEENS0_14default_configENS1_37merge_sort_block_sort_config_selectorIlNS0_10empty_typeEEENS1_38merge_sort_block_merge_config_selectorIlSE_EEEEvv,comdat
	.protected	_ZN7rocprim17ROCPRIM_400000_NS6detail44device_merge_sort_compile_time_verifier_archINS1_11comp_targetILNS1_3genE2ELNS1_11target_archE906ELNS1_3gpuE6ELNS1_3repE0EEES8_NS1_28merge_sort_block_sort_configILj256ELj4ELNS0_20block_sort_algorithmE0EEENS0_14default_configENS1_37merge_sort_block_sort_config_selectorIlNS0_10empty_typeEEENS1_38merge_sort_block_merge_config_selectorIlSE_EEEEvv ; -- Begin function _ZN7rocprim17ROCPRIM_400000_NS6detail44device_merge_sort_compile_time_verifier_archINS1_11comp_targetILNS1_3genE2ELNS1_11target_archE906ELNS1_3gpuE6ELNS1_3repE0EEES8_NS1_28merge_sort_block_sort_configILj256ELj4ELNS0_20block_sort_algorithmE0EEENS0_14default_configENS1_37merge_sort_block_sort_config_selectorIlNS0_10empty_typeEEENS1_38merge_sort_block_merge_config_selectorIlSE_EEEEvv
	.globl	_ZN7rocprim17ROCPRIM_400000_NS6detail44device_merge_sort_compile_time_verifier_archINS1_11comp_targetILNS1_3genE2ELNS1_11target_archE906ELNS1_3gpuE6ELNS1_3repE0EEES8_NS1_28merge_sort_block_sort_configILj256ELj4ELNS0_20block_sort_algorithmE0EEENS0_14default_configENS1_37merge_sort_block_sort_config_selectorIlNS0_10empty_typeEEENS1_38merge_sort_block_merge_config_selectorIlSE_EEEEvv
	.p2align	8
	.type	_ZN7rocprim17ROCPRIM_400000_NS6detail44device_merge_sort_compile_time_verifier_archINS1_11comp_targetILNS1_3genE2ELNS1_11target_archE906ELNS1_3gpuE6ELNS1_3repE0EEES8_NS1_28merge_sort_block_sort_configILj256ELj4ELNS0_20block_sort_algorithmE0EEENS0_14default_configENS1_37merge_sort_block_sort_config_selectorIlNS0_10empty_typeEEENS1_38merge_sort_block_merge_config_selectorIlSE_EEEEvv,@function
_ZN7rocprim17ROCPRIM_400000_NS6detail44device_merge_sort_compile_time_verifier_archINS1_11comp_targetILNS1_3genE2ELNS1_11target_archE906ELNS1_3gpuE6ELNS1_3repE0EEES8_NS1_28merge_sort_block_sort_configILj256ELj4ELNS0_20block_sort_algorithmE0EEENS0_14default_configENS1_37merge_sort_block_sort_config_selectorIlNS0_10empty_typeEEENS1_38merge_sort_block_merge_config_selectorIlSE_EEEEvv: ; @_ZN7rocprim17ROCPRIM_400000_NS6detail44device_merge_sort_compile_time_verifier_archINS1_11comp_targetILNS1_3genE2ELNS1_11target_archE906ELNS1_3gpuE6ELNS1_3repE0EEES8_NS1_28merge_sort_block_sort_configILj256ELj4ELNS0_20block_sort_algorithmE0EEENS0_14default_configENS1_37merge_sort_block_sort_config_selectorIlNS0_10empty_typeEEENS1_38merge_sort_block_merge_config_selectorIlSE_EEEEvv
; %bb.0:
	s_endpgm
	.section	.rodata,"a",@progbits
	.p2align	6, 0x0
	.amdhsa_kernel _ZN7rocprim17ROCPRIM_400000_NS6detail44device_merge_sort_compile_time_verifier_archINS1_11comp_targetILNS1_3genE2ELNS1_11target_archE906ELNS1_3gpuE6ELNS1_3repE0EEES8_NS1_28merge_sort_block_sort_configILj256ELj4ELNS0_20block_sort_algorithmE0EEENS0_14default_configENS1_37merge_sort_block_sort_config_selectorIlNS0_10empty_typeEEENS1_38merge_sort_block_merge_config_selectorIlSE_EEEEvv
		.amdhsa_group_segment_fixed_size 0
		.amdhsa_private_segment_fixed_size 0
		.amdhsa_kernarg_size 0
		.amdhsa_user_sgpr_count 0
		.amdhsa_user_sgpr_dispatch_ptr 0
		.amdhsa_user_sgpr_queue_ptr 0
		.amdhsa_user_sgpr_kernarg_segment_ptr 0
		.amdhsa_user_sgpr_dispatch_id 0
		.amdhsa_user_sgpr_kernarg_preload_length 0
		.amdhsa_user_sgpr_kernarg_preload_offset 0
		.amdhsa_user_sgpr_private_segment_size 0
		.amdhsa_wavefront_size32 1
		.amdhsa_uses_dynamic_stack 0
		.amdhsa_enable_private_segment 0
		.amdhsa_system_sgpr_workgroup_id_x 1
		.amdhsa_system_sgpr_workgroup_id_y 0
		.amdhsa_system_sgpr_workgroup_id_z 0
		.amdhsa_system_sgpr_workgroup_info 0
		.amdhsa_system_vgpr_workitem_id 0
		.amdhsa_next_free_vgpr 1
		.amdhsa_next_free_sgpr 1
		.amdhsa_named_barrier_count 0
		.amdhsa_reserve_vcc 0
		.amdhsa_float_round_mode_32 0
		.amdhsa_float_round_mode_16_64 0
		.amdhsa_float_denorm_mode_32 3
		.amdhsa_float_denorm_mode_16_64 3
		.amdhsa_fp16_overflow 0
		.amdhsa_memory_ordered 1
		.amdhsa_forward_progress 1
		.amdhsa_inst_pref_size 1
		.amdhsa_round_robin_scheduling 0
		.amdhsa_exception_fp_ieee_invalid_op 0
		.amdhsa_exception_fp_denorm_src 0
		.amdhsa_exception_fp_ieee_div_zero 0
		.amdhsa_exception_fp_ieee_overflow 0
		.amdhsa_exception_fp_ieee_underflow 0
		.amdhsa_exception_fp_ieee_inexact 0
		.amdhsa_exception_int_div_zero 0
	.end_amdhsa_kernel
	.section	.text._ZN7rocprim17ROCPRIM_400000_NS6detail44device_merge_sort_compile_time_verifier_archINS1_11comp_targetILNS1_3genE2ELNS1_11target_archE906ELNS1_3gpuE6ELNS1_3repE0EEES8_NS1_28merge_sort_block_sort_configILj256ELj4ELNS0_20block_sort_algorithmE0EEENS0_14default_configENS1_37merge_sort_block_sort_config_selectorIlNS0_10empty_typeEEENS1_38merge_sort_block_merge_config_selectorIlSE_EEEEvv,"axG",@progbits,_ZN7rocprim17ROCPRIM_400000_NS6detail44device_merge_sort_compile_time_verifier_archINS1_11comp_targetILNS1_3genE2ELNS1_11target_archE906ELNS1_3gpuE6ELNS1_3repE0EEES8_NS1_28merge_sort_block_sort_configILj256ELj4ELNS0_20block_sort_algorithmE0EEENS0_14default_configENS1_37merge_sort_block_sort_config_selectorIlNS0_10empty_typeEEENS1_38merge_sort_block_merge_config_selectorIlSE_EEEEvv,comdat
.Lfunc_end1009:
	.size	_ZN7rocprim17ROCPRIM_400000_NS6detail44device_merge_sort_compile_time_verifier_archINS1_11comp_targetILNS1_3genE2ELNS1_11target_archE906ELNS1_3gpuE6ELNS1_3repE0EEES8_NS1_28merge_sort_block_sort_configILj256ELj4ELNS0_20block_sort_algorithmE0EEENS0_14default_configENS1_37merge_sort_block_sort_config_selectorIlNS0_10empty_typeEEENS1_38merge_sort_block_merge_config_selectorIlSE_EEEEvv, .Lfunc_end1009-_ZN7rocprim17ROCPRIM_400000_NS6detail44device_merge_sort_compile_time_verifier_archINS1_11comp_targetILNS1_3genE2ELNS1_11target_archE906ELNS1_3gpuE6ELNS1_3repE0EEES8_NS1_28merge_sort_block_sort_configILj256ELj4ELNS0_20block_sort_algorithmE0EEENS0_14default_configENS1_37merge_sort_block_sort_config_selectorIlNS0_10empty_typeEEENS1_38merge_sort_block_merge_config_selectorIlSE_EEEEvv
                                        ; -- End function
	.set _ZN7rocprim17ROCPRIM_400000_NS6detail44device_merge_sort_compile_time_verifier_archINS1_11comp_targetILNS1_3genE2ELNS1_11target_archE906ELNS1_3gpuE6ELNS1_3repE0EEES8_NS1_28merge_sort_block_sort_configILj256ELj4ELNS0_20block_sort_algorithmE0EEENS0_14default_configENS1_37merge_sort_block_sort_config_selectorIlNS0_10empty_typeEEENS1_38merge_sort_block_merge_config_selectorIlSE_EEEEvv.num_vgpr, 0
	.set _ZN7rocprim17ROCPRIM_400000_NS6detail44device_merge_sort_compile_time_verifier_archINS1_11comp_targetILNS1_3genE2ELNS1_11target_archE906ELNS1_3gpuE6ELNS1_3repE0EEES8_NS1_28merge_sort_block_sort_configILj256ELj4ELNS0_20block_sort_algorithmE0EEENS0_14default_configENS1_37merge_sort_block_sort_config_selectorIlNS0_10empty_typeEEENS1_38merge_sort_block_merge_config_selectorIlSE_EEEEvv.num_agpr, 0
	.set _ZN7rocprim17ROCPRIM_400000_NS6detail44device_merge_sort_compile_time_verifier_archINS1_11comp_targetILNS1_3genE2ELNS1_11target_archE906ELNS1_3gpuE6ELNS1_3repE0EEES8_NS1_28merge_sort_block_sort_configILj256ELj4ELNS0_20block_sort_algorithmE0EEENS0_14default_configENS1_37merge_sort_block_sort_config_selectorIlNS0_10empty_typeEEENS1_38merge_sort_block_merge_config_selectorIlSE_EEEEvv.numbered_sgpr, 0
	.set _ZN7rocprim17ROCPRIM_400000_NS6detail44device_merge_sort_compile_time_verifier_archINS1_11comp_targetILNS1_3genE2ELNS1_11target_archE906ELNS1_3gpuE6ELNS1_3repE0EEES8_NS1_28merge_sort_block_sort_configILj256ELj4ELNS0_20block_sort_algorithmE0EEENS0_14default_configENS1_37merge_sort_block_sort_config_selectorIlNS0_10empty_typeEEENS1_38merge_sort_block_merge_config_selectorIlSE_EEEEvv.num_named_barrier, 0
	.set _ZN7rocprim17ROCPRIM_400000_NS6detail44device_merge_sort_compile_time_verifier_archINS1_11comp_targetILNS1_3genE2ELNS1_11target_archE906ELNS1_3gpuE6ELNS1_3repE0EEES8_NS1_28merge_sort_block_sort_configILj256ELj4ELNS0_20block_sort_algorithmE0EEENS0_14default_configENS1_37merge_sort_block_sort_config_selectorIlNS0_10empty_typeEEENS1_38merge_sort_block_merge_config_selectorIlSE_EEEEvv.private_seg_size, 0
	.set _ZN7rocprim17ROCPRIM_400000_NS6detail44device_merge_sort_compile_time_verifier_archINS1_11comp_targetILNS1_3genE2ELNS1_11target_archE906ELNS1_3gpuE6ELNS1_3repE0EEES8_NS1_28merge_sort_block_sort_configILj256ELj4ELNS0_20block_sort_algorithmE0EEENS0_14default_configENS1_37merge_sort_block_sort_config_selectorIlNS0_10empty_typeEEENS1_38merge_sort_block_merge_config_selectorIlSE_EEEEvv.uses_vcc, 0
	.set _ZN7rocprim17ROCPRIM_400000_NS6detail44device_merge_sort_compile_time_verifier_archINS1_11comp_targetILNS1_3genE2ELNS1_11target_archE906ELNS1_3gpuE6ELNS1_3repE0EEES8_NS1_28merge_sort_block_sort_configILj256ELj4ELNS0_20block_sort_algorithmE0EEENS0_14default_configENS1_37merge_sort_block_sort_config_selectorIlNS0_10empty_typeEEENS1_38merge_sort_block_merge_config_selectorIlSE_EEEEvv.uses_flat_scratch, 0
	.set _ZN7rocprim17ROCPRIM_400000_NS6detail44device_merge_sort_compile_time_verifier_archINS1_11comp_targetILNS1_3genE2ELNS1_11target_archE906ELNS1_3gpuE6ELNS1_3repE0EEES8_NS1_28merge_sort_block_sort_configILj256ELj4ELNS0_20block_sort_algorithmE0EEENS0_14default_configENS1_37merge_sort_block_sort_config_selectorIlNS0_10empty_typeEEENS1_38merge_sort_block_merge_config_selectorIlSE_EEEEvv.has_dyn_sized_stack, 0
	.set _ZN7rocprim17ROCPRIM_400000_NS6detail44device_merge_sort_compile_time_verifier_archINS1_11comp_targetILNS1_3genE2ELNS1_11target_archE906ELNS1_3gpuE6ELNS1_3repE0EEES8_NS1_28merge_sort_block_sort_configILj256ELj4ELNS0_20block_sort_algorithmE0EEENS0_14default_configENS1_37merge_sort_block_sort_config_selectorIlNS0_10empty_typeEEENS1_38merge_sort_block_merge_config_selectorIlSE_EEEEvv.has_recursion, 0
	.set _ZN7rocprim17ROCPRIM_400000_NS6detail44device_merge_sort_compile_time_verifier_archINS1_11comp_targetILNS1_3genE2ELNS1_11target_archE906ELNS1_3gpuE6ELNS1_3repE0EEES8_NS1_28merge_sort_block_sort_configILj256ELj4ELNS0_20block_sort_algorithmE0EEENS0_14default_configENS1_37merge_sort_block_sort_config_selectorIlNS0_10empty_typeEEENS1_38merge_sort_block_merge_config_selectorIlSE_EEEEvv.has_indirect_call, 0
	.section	.AMDGPU.csdata,"",@progbits
; Kernel info:
; codeLenInByte = 4
; TotalNumSgprs: 0
; NumVgprs: 0
; ScratchSize: 0
; MemoryBound: 0
; FloatMode: 240
; IeeeMode: 1
; LDSByteSize: 0 bytes/workgroup (compile time only)
; SGPRBlocks: 0
; VGPRBlocks: 0
; NumSGPRsForWavesPerEU: 1
; NumVGPRsForWavesPerEU: 1
; NamedBarCnt: 0
; Occupancy: 16
; WaveLimiterHint : 0
; COMPUTE_PGM_RSRC2:SCRATCH_EN: 0
; COMPUTE_PGM_RSRC2:USER_SGPR: 0
; COMPUTE_PGM_RSRC2:TRAP_HANDLER: 0
; COMPUTE_PGM_RSRC2:TGID_X_EN: 1
; COMPUTE_PGM_RSRC2:TGID_Y_EN: 0
; COMPUTE_PGM_RSRC2:TGID_Z_EN: 0
; COMPUTE_PGM_RSRC2:TIDIG_COMP_CNT: 0
	.section	.text._ZN7rocprim17ROCPRIM_400000_NS6detail44device_merge_sort_compile_time_verifier_archINS1_11comp_targetILNS1_3genE10ELNS1_11target_archE1201ELNS1_3gpuE5ELNS1_3repE0EEES8_NS1_28merge_sort_block_sort_configILj256ELj4ELNS0_20block_sort_algorithmE0EEENS0_14default_configENS1_37merge_sort_block_sort_config_selectorIlNS0_10empty_typeEEENS1_38merge_sort_block_merge_config_selectorIlSE_EEEEvv,"axG",@progbits,_ZN7rocprim17ROCPRIM_400000_NS6detail44device_merge_sort_compile_time_verifier_archINS1_11comp_targetILNS1_3genE10ELNS1_11target_archE1201ELNS1_3gpuE5ELNS1_3repE0EEES8_NS1_28merge_sort_block_sort_configILj256ELj4ELNS0_20block_sort_algorithmE0EEENS0_14default_configENS1_37merge_sort_block_sort_config_selectorIlNS0_10empty_typeEEENS1_38merge_sort_block_merge_config_selectorIlSE_EEEEvv,comdat
	.protected	_ZN7rocprim17ROCPRIM_400000_NS6detail44device_merge_sort_compile_time_verifier_archINS1_11comp_targetILNS1_3genE10ELNS1_11target_archE1201ELNS1_3gpuE5ELNS1_3repE0EEES8_NS1_28merge_sort_block_sort_configILj256ELj4ELNS0_20block_sort_algorithmE0EEENS0_14default_configENS1_37merge_sort_block_sort_config_selectorIlNS0_10empty_typeEEENS1_38merge_sort_block_merge_config_selectorIlSE_EEEEvv ; -- Begin function _ZN7rocprim17ROCPRIM_400000_NS6detail44device_merge_sort_compile_time_verifier_archINS1_11comp_targetILNS1_3genE10ELNS1_11target_archE1201ELNS1_3gpuE5ELNS1_3repE0EEES8_NS1_28merge_sort_block_sort_configILj256ELj4ELNS0_20block_sort_algorithmE0EEENS0_14default_configENS1_37merge_sort_block_sort_config_selectorIlNS0_10empty_typeEEENS1_38merge_sort_block_merge_config_selectorIlSE_EEEEvv
	.globl	_ZN7rocprim17ROCPRIM_400000_NS6detail44device_merge_sort_compile_time_verifier_archINS1_11comp_targetILNS1_3genE10ELNS1_11target_archE1201ELNS1_3gpuE5ELNS1_3repE0EEES8_NS1_28merge_sort_block_sort_configILj256ELj4ELNS0_20block_sort_algorithmE0EEENS0_14default_configENS1_37merge_sort_block_sort_config_selectorIlNS0_10empty_typeEEENS1_38merge_sort_block_merge_config_selectorIlSE_EEEEvv
	.p2align	8
	.type	_ZN7rocprim17ROCPRIM_400000_NS6detail44device_merge_sort_compile_time_verifier_archINS1_11comp_targetILNS1_3genE10ELNS1_11target_archE1201ELNS1_3gpuE5ELNS1_3repE0EEES8_NS1_28merge_sort_block_sort_configILj256ELj4ELNS0_20block_sort_algorithmE0EEENS0_14default_configENS1_37merge_sort_block_sort_config_selectorIlNS0_10empty_typeEEENS1_38merge_sort_block_merge_config_selectorIlSE_EEEEvv,@function
_ZN7rocprim17ROCPRIM_400000_NS6detail44device_merge_sort_compile_time_verifier_archINS1_11comp_targetILNS1_3genE10ELNS1_11target_archE1201ELNS1_3gpuE5ELNS1_3repE0EEES8_NS1_28merge_sort_block_sort_configILj256ELj4ELNS0_20block_sort_algorithmE0EEENS0_14default_configENS1_37merge_sort_block_sort_config_selectorIlNS0_10empty_typeEEENS1_38merge_sort_block_merge_config_selectorIlSE_EEEEvv: ; @_ZN7rocprim17ROCPRIM_400000_NS6detail44device_merge_sort_compile_time_verifier_archINS1_11comp_targetILNS1_3genE10ELNS1_11target_archE1201ELNS1_3gpuE5ELNS1_3repE0EEES8_NS1_28merge_sort_block_sort_configILj256ELj4ELNS0_20block_sort_algorithmE0EEENS0_14default_configENS1_37merge_sort_block_sort_config_selectorIlNS0_10empty_typeEEENS1_38merge_sort_block_merge_config_selectorIlSE_EEEEvv
; %bb.0:
	s_endpgm
	.section	.rodata,"a",@progbits
	.p2align	6, 0x0
	.amdhsa_kernel _ZN7rocprim17ROCPRIM_400000_NS6detail44device_merge_sort_compile_time_verifier_archINS1_11comp_targetILNS1_3genE10ELNS1_11target_archE1201ELNS1_3gpuE5ELNS1_3repE0EEES8_NS1_28merge_sort_block_sort_configILj256ELj4ELNS0_20block_sort_algorithmE0EEENS0_14default_configENS1_37merge_sort_block_sort_config_selectorIlNS0_10empty_typeEEENS1_38merge_sort_block_merge_config_selectorIlSE_EEEEvv
		.amdhsa_group_segment_fixed_size 0
		.amdhsa_private_segment_fixed_size 0
		.amdhsa_kernarg_size 0
		.amdhsa_user_sgpr_count 0
		.amdhsa_user_sgpr_dispatch_ptr 0
		.amdhsa_user_sgpr_queue_ptr 0
		.amdhsa_user_sgpr_kernarg_segment_ptr 0
		.amdhsa_user_sgpr_dispatch_id 0
		.amdhsa_user_sgpr_kernarg_preload_length 0
		.amdhsa_user_sgpr_kernarg_preload_offset 0
		.amdhsa_user_sgpr_private_segment_size 0
		.amdhsa_wavefront_size32 1
		.amdhsa_uses_dynamic_stack 0
		.amdhsa_enable_private_segment 0
		.amdhsa_system_sgpr_workgroup_id_x 1
		.amdhsa_system_sgpr_workgroup_id_y 0
		.amdhsa_system_sgpr_workgroup_id_z 0
		.amdhsa_system_sgpr_workgroup_info 0
		.amdhsa_system_vgpr_workitem_id 0
		.amdhsa_next_free_vgpr 1
		.amdhsa_next_free_sgpr 1
		.amdhsa_named_barrier_count 0
		.amdhsa_reserve_vcc 0
		.amdhsa_float_round_mode_32 0
		.amdhsa_float_round_mode_16_64 0
		.amdhsa_float_denorm_mode_32 3
		.amdhsa_float_denorm_mode_16_64 3
		.amdhsa_fp16_overflow 0
		.amdhsa_memory_ordered 1
		.amdhsa_forward_progress 1
		.amdhsa_inst_pref_size 1
		.amdhsa_round_robin_scheduling 0
		.amdhsa_exception_fp_ieee_invalid_op 0
		.amdhsa_exception_fp_denorm_src 0
		.amdhsa_exception_fp_ieee_div_zero 0
		.amdhsa_exception_fp_ieee_overflow 0
		.amdhsa_exception_fp_ieee_underflow 0
		.amdhsa_exception_fp_ieee_inexact 0
		.amdhsa_exception_int_div_zero 0
	.end_amdhsa_kernel
	.section	.text._ZN7rocprim17ROCPRIM_400000_NS6detail44device_merge_sort_compile_time_verifier_archINS1_11comp_targetILNS1_3genE10ELNS1_11target_archE1201ELNS1_3gpuE5ELNS1_3repE0EEES8_NS1_28merge_sort_block_sort_configILj256ELj4ELNS0_20block_sort_algorithmE0EEENS0_14default_configENS1_37merge_sort_block_sort_config_selectorIlNS0_10empty_typeEEENS1_38merge_sort_block_merge_config_selectorIlSE_EEEEvv,"axG",@progbits,_ZN7rocprim17ROCPRIM_400000_NS6detail44device_merge_sort_compile_time_verifier_archINS1_11comp_targetILNS1_3genE10ELNS1_11target_archE1201ELNS1_3gpuE5ELNS1_3repE0EEES8_NS1_28merge_sort_block_sort_configILj256ELj4ELNS0_20block_sort_algorithmE0EEENS0_14default_configENS1_37merge_sort_block_sort_config_selectorIlNS0_10empty_typeEEENS1_38merge_sort_block_merge_config_selectorIlSE_EEEEvv,comdat
.Lfunc_end1010:
	.size	_ZN7rocprim17ROCPRIM_400000_NS6detail44device_merge_sort_compile_time_verifier_archINS1_11comp_targetILNS1_3genE10ELNS1_11target_archE1201ELNS1_3gpuE5ELNS1_3repE0EEES8_NS1_28merge_sort_block_sort_configILj256ELj4ELNS0_20block_sort_algorithmE0EEENS0_14default_configENS1_37merge_sort_block_sort_config_selectorIlNS0_10empty_typeEEENS1_38merge_sort_block_merge_config_selectorIlSE_EEEEvv, .Lfunc_end1010-_ZN7rocprim17ROCPRIM_400000_NS6detail44device_merge_sort_compile_time_verifier_archINS1_11comp_targetILNS1_3genE10ELNS1_11target_archE1201ELNS1_3gpuE5ELNS1_3repE0EEES8_NS1_28merge_sort_block_sort_configILj256ELj4ELNS0_20block_sort_algorithmE0EEENS0_14default_configENS1_37merge_sort_block_sort_config_selectorIlNS0_10empty_typeEEENS1_38merge_sort_block_merge_config_selectorIlSE_EEEEvv
                                        ; -- End function
	.set _ZN7rocprim17ROCPRIM_400000_NS6detail44device_merge_sort_compile_time_verifier_archINS1_11comp_targetILNS1_3genE10ELNS1_11target_archE1201ELNS1_3gpuE5ELNS1_3repE0EEES8_NS1_28merge_sort_block_sort_configILj256ELj4ELNS0_20block_sort_algorithmE0EEENS0_14default_configENS1_37merge_sort_block_sort_config_selectorIlNS0_10empty_typeEEENS1_38merge_sort_block_merge_config_selectorIlSE_EEEEvv.num_vgpr, 0
	.set _ZN7rocprim17ROCPRIM_400000_NS6detail44device_merge_sort_compile_time_verifier_archINS1_11comp_targetILNS1_3genE10ELNS1_11target_archE1201ELNS1_3gpuE5ELNS1_3repE0EEES8_NS1_28merge_sort_block_sort_configILj256ELj4ELNS0_20block_sort_algorithmE0EEENS0_14default_configENS1_37merge_sort_block_sort_config_selectorIlNS0_10empty_typeEEENS1_38merge_sort_block_merge_config_selectorIlSE_EEEEvv.num_agpr, 0
	.set _ZN7rocprim17ROCPRIM_400000_NS6detail44device_merge_sort_compile_time_verifier_archINS1_11comp_targetILNS1_3genE10ELNS1_11target_archE1201ELNS1_3gpuE5ELNS1_3repE0EEES8_NS1_28merge_sort_block_sort_configILj256ELj4ELNS0_20block_sort_algorithmE0EEENS0_14default_configENS1_37merge_sort_block_sort_config_selectorIlNS0_10empty_typeEEENS1_38merge_sort_block_merge_config_selectorIlSE_EEEEvv.numbered_sgpr, 0
	.set _ZN7rocprim17ROCPRIM_400000_NS6detail44device_merge_sort_compile_time_verifier_archINS1_11comp_targetILNS1_3genE10ELNS1_11target_archE1201ELNS1_3gpuE5ELNS1_3repE0EEES8_NS1_28merge_sort_block_sort_configILj256ELj4ELNS0_20block_sort_algorithmE0EEENS0_14default_configENS1_37merge_sort_block_sort_config_selectorIlNS0_10empty_typeEEENS1_38merge_sort_block_merge_config_selectorIlSE_EEEEvv.num_named_barrier, 0
	.set _ZN7rocprim17ROCPRIM_400000_NS6detail44device_merge_sort_compile_time_verifier_archINS1_11comp_targetILNS1_3genE10ELNS1_11target_archE1201ELNS1_3gpuE5ELNS1_3repE0EEES8_NS1_28merge_sort_block_sort_configILj256ELj4ELNS0_20block_sort_algorithmE0EEENS0_14default_configENS1_37merge_sort_block_sort_config_selectorIlNS0_10empty_typeEEENS1_38merge_sort_block_merge_config_selectorIlSE_EEEEvv.private_seg_size, 0
	.set _ZN7rocprim17ROCPRIM_400000_NS6detail44device_merge_sort_compile_time_verifier_archINS1_11comp_targetILNS1_3genE10ELNS1_11target_archE1201ELNS1_3gpuE5ELNS1_3repE0EEES8_NS1_28merge_sort_block_sort_configILj256ELj4ELNS0_20block_sort_algorithmE0EEENS0_14default_configENS1_37merge_sort_block_sort_config_selectorIlNS0_10empty_typeEEENS1_38merge_sort_block_merge_config_selectorIlSE_EEEEvv.uses_vcc, 0
	.set _ZN7rocprim17ROCPRIM_400000_NS6detail44device_merge_sort_compile_time_verifier_archINS1_11comp_targetILNS1_3genE10ELNS1_11target_archE1201ELNS1_3gpuE5ELNS1_3repE0EEES8_NS1_28merge_sort_block_sort_configILj256ELj4ELNS0_20block_sort_algorithmE0EEENS0_14default_configENS1_37merge_sort_block_sort_config_selectorIlNS0_10empty_typeEEENS1_38merge_sort_block_merge_config_selectorIlSE_EEEEvv.uses_flat_scratch, 0
	.set _ZN7rocprim17ROCPRIM_400000_NS6detail44device_merge_sort_compile_time_verifier_archINS1_11comp_targetILNS1_3genE10ELNS1_11target_archE1201ELNS1_3gpuE5ELNS1_3repE0EEES8_NS1_28merge_sort_block_sort_configILj256ELj4ELNS0_20block_sort_algorithmE0EEENS0_14default_configENS1_37merge_sort_block_sort_config_selectorIlNS0_10empty_typeEEENS1_38merge_sort_block_merge_config_selectorIlSE_EEEEvv.has_dyn_sized_stack, 0
	.set _ZN7rocprim17ROCPRIM_400000_NS6detail44device_merge_sort_compile_time_verifier_archINS1_11comp_targetILNS1_3genE10ELNS1_11target_archE1201ELNS1_3gpuE5ELNS1_3repE0EEES8_NS1_28merge_sort_block_sort_configILj256ELj4ELNS0_20block_sort_algorithmE0EEENS0_14default_configENS1_37merge_sort_block_sort_config_selectorIlNS0_10empty_typeEEENS1_38merge_sort_block_merge_config_selectorIlSE_EEEEvv.has_recursion, 0
	.set _ZN7rocprim17ROCPRIM_400000_NS6detail44device_merge_sort_compile_time_verifier_archINS1_11comp_targetILNS1_3genE10ELNS1_11target_archE1201ELNS1_3gpuE5ELNS1_3repE0EEES8_NS1_28merge_sort_block_sort_configILj256ELj4ELNS0_20block_sort_algorithmE0EEENS0_14default_configENS1_37merge_sort_block_sort_config_selectorIlNS0_10empty_typeEEENS1_38merge_sort_block_merge_config_selectorIlSE_EEEEvv.has_indirect_call, 0
	.section	.AMDGPU.csdata,"",@progbits
; Kernel info:
; codeLenInByte = 4
; TotalNumSgprs: 0
; NumVgprs: 0
; ScratchSize: 0
; MemoryBound: 0
; FloatMode: 240
; IeeeMode: 1
; LDSByteSize: 0 bytes/workgroup (compile time only)
; SGPRBlocks: 0
; VGPRBlocks: 0
; NumSGPRsForWavesPerEU: 1
; NumVGPRsForWavesPerEU: 1
; NamedBarCnt: 0
; Occupancy: 16
; WaveLimiterHint : 0
; COMPUTE_PGM_RSRC2:SCRATCH_EN: 0
; COMPUTE_PGM_RSRC2:USER_SGPR: 0
; COMPUTE_PGM_RSRC2:TRAP_HANDLER: 0
; COMPUTE_PGM_RSRC2:TGID_X_EN: 1
; COMPUTE_PGM_RSRC2:TGID_Y_EN: 0
; COMPUTE_PGM_RSRC2:TGID_Z_EN: 0
; COMPUTE_PGM_RSRC2:TIDIG_COMP_CNT: 0
	.section	.text._ZN7rocprim17ROCPRIM_400000_NS6detail44device_merge_sort_compile_time_verifier_archINS1_11comp_targetILNS1_3genE10ELNS1_11target_archE1200ELNS1_3gpuE4ELNS1_3repE0EEENS3_ILS4_10ELS5_1201ELS6_5ELS7_0EEENS1_28merge_sort_block_sort_configILj256ELj4ELNS0_20block_sort_algorithmE0EEENS0_14default_configENS1_37merge_sort_block_sort_config_selectorIlNS0_10empty_typeEEENS1_38merge_sort_block_merge_config_selectorIlSF_EEEEvv,"axG",@progbits,_ZN7rocprim17ROCPRIM_400000_NS6detail44device_merge_sort_compile_time_verifier_archINS1_11comp_targetILNS1_3genE10ELNS1_11target_archE1200ELNS1_3gpuE4ELNS1_3repE0EEENS3_ILS4_10ELS5_1201ELS6_5ELS7_0EEENS1_28merge_sort_block_sort_configILj256ELj4ELNS0_20block_sort_algorithmE0EEENS0_14default_configENS1_37merge_sort_block_sort_config_selectorIlNS0_10empty_typeEEENS1_38merge_sort_block_merge_config_selectorIlSF_EEEEvv,comdat
	.protected	_ZN7rocprim17ROCPRIM_400000_NS6detail44device_merge_sort_compile_time_verifier_archINS1_11comp_targetILNS1_3genE10ELNS1_11target_archE1200ELNS1_3gpuE4ELNS1_3repE0EEENS3_ILS4_10ELS5_1201ELS6_5ELS7_0EEENS1_28merge_sort_block_sort_configILj256ELj4ELNS0_20block_sort_algorithmE0EEENS0_14default_configENS1_37merge_sort_block_sort_config_selectorIlNS0_10empty_typeEEENS1_38merge_sort_block_merge_config_selectorIlSF_EEEEvv ; -- Begin function _ZN7rocprim17ROCPRIM_400000_NS6detail44device_merge_sort_compile_time_verifier_archINS1_11comp_targetILNS1_3genE10ELNS1_11target_archE1200ELNS1_3gpuE4ELNS1_3repE0EEENS3_ILS4_10ELS5_1201ELS6_5ELS7_0EEENS1_28merge_sort_block_sort_configILj256ELj4ELNS0_20block_sort_algorithmE0EEENS0_14default_configENS1_37merge_sort_block_sort_config_selectorIlNS0_10empty_typeEEENS1_38merge_sort_block_merge_config_selectorIlSF_EEEEvv
	.globl	_ZN7rocprim17ROCPRIM_400000_NS6detail44device_merge_sort_compile_time_verifier_archINS1_11comp_targetILNS1_3genE10ELNS1_11target_archE1200ELNS1_3gpuE4ELNS1_3repE0EEENS3_ILS4_10ELS5_1201ELS6_5ELS7_0EEENS1_28merge_sort_block_sort_configILj256ELj4ELNS0_20block_sort_algorithmE0EEENS0_14default_configENS1_37merge_sort_block_sort_config_selectorIlNS0_10empty_typeEEENS1_38merge_sort_block_merge_config_selectorIlSF_EEEEvv
	.p2align	8
	.type	_ZN7rocprim17ROCPRIM_400000_NS6detail44device_merge_sort_compile_time_verifier_archINS1_11comp_targetILNS1_3genE10ELNS1_11target_archE1200ELNS1_3gpuE4ELNS1_3repE0EEENS3_ILS4_10ELS5_1201ELS6_5ELS7_0EEENS1_28merge_sort_block_sort_configILj256ELj4ELNS0_20block_sort_algorithmE0EEENS0_14default_configENS1_37merge_sort_block_sort_config_selectorIlNS0_10empty_typeEEENS1_38merge_sort_block_merge_config_selectorIlSF_EEEEvv,@function
_ZN7rocprim17ROCPRIM_400000_NS6detail44device_merge_sort_compile_time_verifier_archINS1_11comp_targetILNS1_3genE10ELNS1_11target_archE1200ELNS1_3gpuE4ELNS1_3repE0EEENS3_ILS4_10ELS5_1201ELS6_5ELS7_0EEENS1_28merge_sort_block_sort_configILj256ELj4ELNS0_20block_sort_algorithmE0EEENS0_14default_configENS1_37merge_sort_block_sort_config_selectorIlNS0_10empty_typeEEENS1_38merge_sort_block_merge_config_selectorIlSF_EEEEvv: ; @_ZN7rocprim17ROCPRIM_400000_NS6detail44device_merge_sort_compile_time_verifier_archINS1_11comp_targetILNS1_3genE10ELNS1_11target_archE1200ELNS1_3gpuE4ELNS1_3repE0EEENS3_ILS4_10ELS5_1201ELS6_5ELS7_0EEENS1_28merge_sort_block_sort_configILj256ELj4ELNS0_20block_sort_algorithmE0EEENS0_14default_configENS1_37merge_sort_block_sort_config_selectorIlNS0_10empty_typeEEENS1_38merge_sort_block_merge_config_selectorIlSF_EEEEvv
; %bb.0:
	s_endpgm
	.section	.rodata,"a",@progbits
	.p2align	6, 0x0
	.amdhsa_kernel _ZN7rocprim17ROCPRIM_400000_NS6detail44device_merge_sort_compile_time_verifier_archINS1_11comp_targetILNS1_3genE10ELNS1_11target_archE1200ELNS1_3gpuE4ELNS1_3repE0EEENS3_ILS4_10ELS5_1201ELS6_5ELS7_0EEENS1_28merge_sort_block_sort_configILj256ELj4ELNS0_20block_sort_algorithmE0EEENS0_14default_configENS1_37merge_sort_block_sort_config_selectorIlNS0_10empty_typeEEENS1_38merge_sort_block_merge_config_selectorIlSF_EEEEvv
		.amdhsa_group_segment_fixed_size 0
		.amdhsa_private_segment_fixed_size 0
		.amdhsa_kernarg_size 0
		.amdhsa_user_sgpr_count 0
		.amdhsa_user_sgpr_dispatch_ptr 0
		.amdhsa_user_sgpr_queue_ptr 0
		.amdhsa_user_sgpr_kernarg_segment_ptr 0
		.amdhsa_user_sgpr_dispatch_id 0
		.amdhsa_user_sgpr_kernarg_preload_length 0
		.amdhsa_user_sgpr_kernarg_preload_offset 0
		.amdhsa_user_sgpr_private_segment_size 0
		.amdhsa_wavefront_size32 1
		.amdhsa_uses_dynamic_stack 0
		.amdhsa_enable_private_segment 0
		.amdhsa_system_sgpr_workgroup_id_x 1
		.amdhsa_system_sgpr_workgroup_id_y 0
		.amdhsa_system_sgpr_workgroup_id_z 0
		.amdhsa_system_sgpr_workgroup_info 0
		.amdhsa_system_vgpr_workitem_id 0
		.amdhsa_next_free_vgpr 1
		.amdhsa_next_free_sgpr 1
		.amdhsa_named_barrier_count 0
		.amdhsa_reserve_vcc 0
		.amdhsa_float_round_mode_32 0
		.amdhsa_float_round_mode_16_64 0
		.amdhsa_float_denorm_mode_32 3
		.amdhsa_float_denorm_mode_16_64 3
		.amdhsa_fp16_overflow 0
		.amdhsa_memory_ordered 1
		.amdhsa_forward_progress 1
		.amdhsa_inst_pref_size 1
		.amdhsa_round_robin_scheduling 0
		.amdhsa_exception_fp_ieee_invalid_op 0
		.amdhsa_exception_fp_denorm_src 0
		.amdhsa_exception_fp_ieee_div_zero 0
		.amdhsa_exception_fp_ieee_overflow 0
		.amdhsa_exception_fp_ieee_underflow 0
		.amdhsa_exception_fp_ieee_inexact 0
		.amdhsa_exception_int_div_zero 0
	.end_amdhsa_kernel
	.section	.text._ZN7rocprim17ROCPRIM_400000_NS6detail44device_merge_sort_compile_time_verifier_archINS1_11comp_targetILNS1_3genE10ELNS1_11target_archE1200ELNS1_3gpuE4ELNS1_3repE0EEENS3_ILS4_10ELS5_1201ELS6_5ELS7_0EEENS1_28merge_sort_block_sort_configILj256ELj4ELNS0_20block_sort_algorithmE0EEENS0_14default_configENS1_37merge_sort_block_sort_config_selectorIlNS0_10empty_typeEEENS1_38merge_sort_block_merge_config_selectorIlSF_EEEEvv,"axG",@progbits,_ZN7rocprim17ROCPRIM_400000_NS6detail44device_merge_sort_compile_time_verifier_archINS1_11comp_targetILNS1_3genE10ELNS1_11target_archE1200ELNS1_3gpuE4ELNS1_3repE0EEENS3_ILS4_10ELS5_1201ELS6_5ELS7_0EEENS1_28merge_sort_block_sort_configILj256ELj4ELNS0_20block_sort_algorithmE0EEENS0_14default_configENS1_37merge_sort_block_sort_config_selectorIlNS0_10empty_typeEEENS1_38merge_sort_block_merge_config_selectorIlSF_EEEEvv,comdat
.Lfunc_end1011:
	.size	_ZN7rocprim17ROCPRIM_400000_NS6detail44device_merge_sort_compile_time_verifier_archINS1_11comp_targetILNS1_3genE10ELNS1_11target_archE1200ELNS1_3gpuE4ELNS1_3repE0EEENS3_ILS4_10ELS5_1201ELS6_5ELS7_0EEENS1_28merge_sort_block_sort_configILj256ELj4ELNS0_20block_sort_algorithmE0EEENS0_14default_configENS1_37merge_sort_block_sort_config_selectorIlNS0_10empty_typeEEENS1_38merge_sort_block_merge_config_selectorIlSF_EEEEvv, .Lfunc_end1011-_ZN7rocprim17ROCPRIM_400000_NS6detail44device_merge_sort_compile_time_verifier_archINS1_11comp_targetILNS1_3genE10ELNS1_11target_archE1200ELNS1_3gpuE4ELNS1_3repE0EEENS3_ILS4_10ELS5_1201ELS6_5ELS7_0EEENS1_28merge_sort_block_sort_configILj256ELj4ELNS0_20block_sort_algorithmE0EEENS0_14default_configENS1_37merge_sort_block_sort_config_selectorIlNS0_10empty_typeEEENS1_38merge_sort_block_merge_config_selectorIlSF_EEEEvv
                                        ; -- End function
	.set _ZN7rocprim17ROCPRIM_400000_NS6detail44device_merge_sort_compile_time_verifier_archINS1_11comp_targetILNS1_3genE10ELNS1_11target_archE1200ELNS1_3gpuE4ELNS1_3repE0EEENS3_ILS4_10ELS5_1201ELS6_5ELS7_0EEENS1_28merge_sort_block_sort_configILj256ELj4ELNS0_20block_sort_algorithmE0EEENS0_14default_configENS1_37merge_sort_block_sort_config_selectorIlNS0_10empty_typeEEENS1_38merge_sort_block_merge_config_selectorIlSF_EEEEvv.num_vgpr, 0
	.set _ZN7rocprim17ROCPRIM_400000_NS6detail44device_merge_sort_compile_time_verifier_archINS1_11comp_targetILNS1_3genE10ELNS1_11target_archE1200ELNS1_3gpuE4ELNS1_3repE0EEENS3_ILS4_10ELS5_1201ELS6_5ELS7_0EEENS1_28merge_sort_block_sort_configILj256ELj4ELNS0_20block_sort_algorithmE0EEENS0_14default_configENS1_37merge_sort_block_sort_config_selectorIlNS0_10empty_typeEEENS1_38merge_sort_block_merge_config_selectorIlSF_EEEEvv.num_agpr, 0
	.set _ZN7rocprim17ROCPRIM_400000_NS6detail44device_merge_sort_compile_time_verifier_archINS1_11comp_targetILNS1_3genE10ELNS1_11target_archE1200ELNS1_3gpuE4ELNS1_3repE0EEENS3_ILS4_10ELS5_1201ELS6_5ELS7_0EEENS1_28merge_sort_block_sort_configILj256ELj4ELNS0_20block_sort_algorithmE0EEENS0_14default_configENS1_37merge_sort_block_sort_config_selectorIlNS0_10empty_typeEEENS1_38merge_sort_block_merge_config_selectorIlSF_EEEEvv.numbered_sgpr, 0
	.set _ZN7rocprim17ROCPRIM_400000_NS6detail44device_merge_sort_compile_time_verifier_archINS1_11comp_targetILNS1_3genE10ELNS1_11target_archE1200ELNS1_3gpuE4ELNS1_3repE0EEENS3_ILS4_10ELS5_1201ELS6_5ELS7_0EEENS1_28merge_sort_block_sort_configILj256ELj4ELNS0_20block_sort_algorithmE0EEENS0_14default_configENS1_37merge_sort_block_sort_config_selectorIlNS0_10empty_typeEEENS1_38merge_sort_block_merge_config_selectorIlSF_EEEEvv.num_named_barrier, 0
	.set _ZN7rocprim17ROCPRIM_400000_NS6detail44device_merge_sort_compile_time_verifier_archINS1_11comp_targetILNS1_3genE10ELNS1_11target_archE1200ELNS1_3gpuE4ELNS1_3repE0EEENS3_ILS4_10ELS5_1201ELS6_5ELS7_0EEENS1_28merge_sort_block_sort_configILj256ELj4ELNS0_20block_sort_algorithmE0EEENS0_14default_configENS1_37merge_sort_block_sort_config_selectorIlNS0_10empty_typeEEENS1_38merge_sort_block_merge_config_selectorIlSF_EEEEvv.private_seg_size, 0
	.set _ZN7rocprim17ROCPRIM_400000_NS6detail44device_merge_sort_compile_time_verifier_archINS1_11comp_targetILNS1_3genE10ELNS1_11target_archE1200ELNS1_3gpuE4ELNS1_3repE0EEENS3_ILS4_10ELS5_1201ELS6_5ELS7_0EEENS1_28merge_sort_block_sort_configILj256ELj4ELNS0_20block_sort_algorithmE0EEENS0_14default_configENS1_37merge_sort_block_sort_config_selectorIlNS0_10empty_typeEEENS1_38merge_sort_block_merge_config_selectorIlSF_EEEEvv.uses_vcc, 0
	.set _ZN7rocprim17ROCPRIM_400000_NS6detail44device_merge_sort_compile_time_verifier_archINS1_11comp_targetILNS1_3genE10ELNS1_11target_archE1200ELNS1_3gpuE4ELNS1_3repE0EEENS3_ILS4_10ELS5_1201ELS6_5ELS7_0EEENS1_28merge_sort_block_sort_configILj256ELj4ELNS0_20block_sort_algorithmE0EEENS0_14default_configENS1_37merge_sort_block_sort_config_selectorIlNS0_10empty_typeEEENS1_38merge_sort_block_merge_config_selectorIlSF_EEEEvv.uses_flat_scratch, 0
	.set _ZN7rocprim17ROCPRIM_400000_NS6detail44device_merge_sort_compile_time_verifier_archINS1_11comp_targetILNS1_3genE10ELNS1_11target_archE1200ELNS1_3gpuE4ELNS1_3repE0EEENS3_ILS4_10ELS5_1201ELS6_5ELS7_0EEENS1_28merge_sort_block_sort_configILj256ELj4ELNS0_20block_sort_algorithmE0EEENS0_14default_configENS1_37merge_sort_block_sort_config_selectorIlNS0_10empty_typeEEENS1_38merge_sort_block_merge_config_selectorIlSF_EEEEvv.has_dyn_sized_stack, 0
	.set _ZN7rocprim17ROCPRIM_400000_NS6detail44device_merge_sort_compile_time_verifier_archINS1_11comp_targetILNS1_3genE10ELNS1_11target_archE1200ELNS1_3gpuE4ELNS1_3repE0EEENS3_ILS4_10ELS5_1201ELS6_5ELS7_0EEENS1_28merge_sort_block_sort_configILj256ELj4ELNS0_20block_sort_algorithmE0EEENS0_14default_configENS1_37merge_sort_block_sort_config_selectorIlNS0_10empty_typeEEENS1_38merge_sort_block_merge_config_selectorIlSF_EEEEvv.has_recursion, 0
	.set _ZN7rocprim17ROCPRIM_400000_NS6detail44device_merge_sort_compile_time_verifier_archINS1_11comp_targetILNS1_3genE10ELNS1_11target_archE1200ELNS1_3gpuE4ELNS1_3repE0EEENS3_ILS4_10ELS5_1201ELS6_5ELS7_0EEENS1_28merge_sort_block_sort_configILj256ELj4ELNS0_20block_sort_algorithmE0EEENS0_14default_configENS1_37merge_sort_block_sort_config_selectorIlNS0_10empty_typeEEENS1_38merge_sort_block_merge_config_selectorIlSF_EEEEvv.has_indirect_call, 0
	.section	.AMDGPU.csdata,"",@progbits
; Kernel info:
; codeLenInByte = 4
; TotalNumSgprs: 0
; NumVgprs: 0
; ScratchSize: 0
; MemoryBound: 0
; FloatMode: 240
; IeeeMode: 1
; LDSByteSize: 0 bytes/workgroup (compile time only)
; SGPRBlocks: 0
; VGPRBlocks: 0
; NumSGPRsForWavesPerEU: 1
; NumVGPRsForWavesPerEU: 1
; NamedBarCnt: 0
; Occupancy: 16
; WaveLimiterHint : 0
; COMPUTE_PGM_RSRC2:SCRATCH_EN: 0
; COMPUTE_PGM_RSRC2:USER_SGPR: 0
; COMPUTE_PGM_RSRC2:TRAP_HANDLER: 0
; COMPUTE_PGM_RSRC2:TGID_X_EN: 1
; COMPUTE_PGM_RSRC2:TGID_Y_EN: 0
; COMPUTE_PGM_RSRC2:TGID_Z_EN: 0
; COMPUTE_PGM_RSRC2:TIDIG_COMP_CNT: 0
	.section	.text._ZN7rocprim17ROCPRIM_400000_NS6detail44device_merge_sort_compile_time_verifier_archINS1_11comp_targetILNS1_3genE9ELNS1_11target_archE1100ELNS1_3gpuE3ELNS1_3repE0EEES8_NS1_28merge_sort_block_sort_configILj256ELj4ELNS0_20block_sort_algorithmE0EEENS0_14default_configENS1_37merge_sort_block_sort_config_selectorIlNS0_10empty_typeEEENS1_38merge_sort_block_merge_config_selectorIlSE_EEEEvv,"axG",@progbits,_ZN7rocprim17ROCPRIM_400000_NS6detail44device_merge_sort_compile_time_verifier_archINS1_11comp_targetILNS1_3genE9ELNS1_11target_archE1100ELNS1_3gpuE3ELNS1_3repE0EEES8_NS1_28merge_sort_block_sort_configILj256ELj4ELNS0_20block_sort_algorithmE0EEENS0_14default_configENS1_37merge_sort_block_sort_config_selectorIlNS0_10empty_typeEEENS1_38merge_sort_block_merge_config_selectorIlSE_EEEEvv,comdat
	.protected	_ZN7rocprim17ROCPRIM_400000_NS6detail44device_merge_sort_compile_time_verifier_archINS1_11comp_targetILNS1_3genE9ELNS1_11target_archE1100ELNS1_3gpuE3ELNS1_3repE0EEES8_NS1_28merge_sort_block_sort_configILj256ELj4ELNS0_20block_sort_algorithmE0EEENS0_14default_configENS1_37merge_sort_block_sort_config_selectorIlNS0_10empty_typeEEENS1_38merge_sort_block_merge_config_selectorIlSE_EEEEvv ; -- Begin function _ZN7rocprim17ROCPRIM_400000_NS6detail44device_merge_sort_compile_time_verifier_archINS1_11comp_targetILNS1_3genE9ELNS1_11target_archE1100ELNS1_3gpuE3ELNS1_3repE0EEES8_NS1_28merge_sort_block_sort_configILj256ELj4ELNS0_20block_sort_algorithmE0EEENS0_14default_configENS1_37merge_sort_block_sort_config_selectorIlNS0_10empty_typeEEENS1_38merge_sort_block_merge_config_selectorIlSE_EEEEvv
	.globl	_ZN7rocprim17ROCPRIM_400000_NS6detail44device_merge_sort_compile_time_verifier_archINS1_11comp_targetILNS1_3genE9ELNS1_11target_archE1100ELNS1_3gpuE3ELNS1_3repE0EEES8_NS1_28merge_sort_block_sort_configILj256ELj4ELNS0_20block_sort_algorithmE0EEENS0_14default_configENS1_37merge_sort_block_sort_config_selectorIlNS0_10empty_typeEEENS1_38merge_sort_block_merge_config_selectorIlSE_EEEEvv
	.p2align	8
	.type	_ZN7rocprim17ROCPRIM_400000_NS6detail44device_merge_sort_compile_time_verifier_archINS1_11comp_targetILNS1_3genE9ELNS1_11target_archE1100ELNS1_3gpuE3ELNS1_3repE0EEES8_NS1_28merge_sort_block_sort_configILj256ELj4ELNS0_20block_sort_algorithmE0EEENS0_14default_configENS1_37merge_sort_block_sort_config_selectorIlNS0_10empty_typeEEENS1_38merge_sort_block_merge_config_selectorIlSE_EEEEvv,@function
_ZN7rocprim17ROCPRIM_400000_NS6detail44device_merge_sort_compile_time_verifier_archINS1_11comp_targetILNS1_3genE9ELNS1_11target_archE1100ELNS1_3gpuE3ELNS1_3repE0EEES8_NS1_28merge_sort_block_sort_configILj256ELj4ELNS0_20block_sort_algorithmE0EEENS0_14default_configENS1_37merge_sort_block_sort_config_selectorIlNS0_10empty_typeEEENS1_38merge_sort_block_merge_config_selectorIlSE_EEEEvv: ; @_ZN7rocprim17ROCPRIM_400000_NS6detail44device_merge_sort_compile_time_verifier_archINS1_11comp_targetILNS1_3genE9ELNS1_11target_archE1100ELNS1_3gpuE3ELNS1_3repE0EEES8_NS1_28merge_sort_block_sort_configILj256ELj4ELNS0_20block_sort_algorithmE0EEENS0_14default_configENS1_37merge_sort_block_sort_config_selectorIlNS0_10empty_typeEEENS1_38merge_sort_block_merge_config_selectorIlSE_EEEEvv
; %bb.0:
	s_endpgm
	.section	.rodata,"a",@progbits
	.p2align	6, 0x0
	.amdhsa_kernel _ZN7rocprim17ROCPRIM_400000_NS6detail44device_merge_sort_compile_time_verifier_archINS1_11comp_targetILNS1_3genE9ELNS1_11target_archE1100ELNS1_3gpuE3ELNS1_3repE0EEES8_NS1_28merge_sort_block_sort_configILj256ELj4ELNS0_20block_sort_algorithmE0EEENS0_14default_configENS1_37merge_sort_block_sort_config_selectorIlNS0_10empty_typeEEENS1_38merge_sort_block_merge_config_selectorIlSE_EEEEvv
		.amdhsa_group_segment_fixed_size 0
		.amdhsa_private_segment_fixed_size 0
		.amdhsa_kernarg_size 0
		.amdhsa_user_sgpr_count 0
		.amdhsa_user_sgpr_dispatch_ptr 0
		.amdhsa_user_sgpr_queue_ptr 0
		.amdhsa_user_sgpr_kernarg_segment_ptr 0
		.amdhsa_user_sgpr_dispatch_id 0
		.amdhsa_user_sgpr_kernarg_preload_length 0
		.amdhsa_user_sgpr_kernarg_preload_offset 0
		.amdhsa_user_sgpr_private_segment_size 0
		.amdhsa_wavefront_size32 1
		.amdhsa_uses_dynamic_stack 0
		.amdhsa_enable_private_segment 0
		.amdhsa_system_sgpr_workgroup_id_x 1
		.amdhsa_system_sgpr_workgroup_id_y 0
		.amdhsa_system_sgpr_workgroup_id_z 0
		.amdhsa_system_sgpr_workgroup_info 0
		.amdhsa_system_vgpr_workitem_id 0
		.amdhsa_next_free_vgpr 1
		.amdhsa_next_free_sgpr 1
		.amdhsa_named_barrier_count 0
		.amdhsa_reserve_vcc 0
		.amdhsa_float_round_mode_32 0
		.amdhsa_float_round_mode_16_64 0
		.amdhsa_float_denorm_mode_32 3
		.amdhsa_float_denorm_mode_16_64 3
		.amdhsa_fp16_overflow 0
		.amdhsa_memory_ordered 1
		.amdhsa_forward_progress 1
		.amdhsa_inst_pref_size 1
		.amdhsa_round_robin_scheduling 0
		.amdhsa_exception_fp_ieee_invalid_op 0
		.amdhsa_exception_fp_denorm_src 0
		.amdhsa_exception_fp_ieee_div_zero 0
		.amdhsa_exception_fp_ieee_overflow 0
		.amdhsa_exception_fp_ieee_underflow 0
		.amdhsa_exception_fp_ieee_inexact 0
		.amdhsa_exception_int_div_zero 0
	.end_amdhsa_kernel
	.section	.text._ZN7rocprim17ROCPRIM_400000_NS6detail44device_merge_sort_compile_time_verifier_archINS1_11comp_targetILNS1_3genE9ELNS1_11target_archE1100ELNS1_3gpuE3ELNS1_3repE0EEES8_NS1_28merge_sort_block_sort_configILj256ELj4ELNS0_20block_sort_algorithmE0EEENS0_14default_configENS1_37merge_sort_block_sort_config_selectorIlNS0_10empty_typeEEENS1_38merge_sort_block_merge_config_selectorIlSE_EEEEvv,"axG",@progbits,_ZN7rocprim17ROCPRIM_400000_NS6detail44device_merge_sort_compile_time_verifier_archINS1_11comp_targetILNS1_3genE9ELNS1_11target_archE1100ELNS1_3gpuE3ELNS1_3repE0EEES8_NS1_28merge_sort_block_sort_configILj256ELj4ELNS0_20block_sort_algorithmE0EEENS0_14default_configENS1_37merge_sort_block_sort_config_selectorIlNS0_10empty_typeEEENS1_38merge_sort_block_merge_config_selectorIlSE_EEEEvv,comdat
.Lfunc_end1012:
	.size	_ZN7rocprim17ROCPRIM_400000_NS6detail44device_merge_sort_compile_time_verifier_archINS1_11comp_targetILNS1_3genE9ELNS1_11target_archE1100ELNS1_3gpuE3ELNS1_3repE0EEES8_NS1_28merge_sort_block_sort_configILj256ELj4ELNS0_20block_sort_algorithmE0EEENS0_14default_configENS1_37merge_sort_block_sort_config_selectorIlNS0_10empty_typeEEENS1_38merge_sort_block_merge_config_selectorIlSE_EEEEvv, .Lfunc_end1012-_ZN7rocprim17ROCPRIM_400000_NS6detail44device_merge_sort_compile_time_verifier_archINS1_11comp_targetILNS1_3genE9ELNS1_11target_archE1100ELNS1_3gpuE3ELNS1_3repE0EEES8_NS1_28merge_sort_block_sort_configILj256ELj4ELNS0_20block_sort_algorithmE0EEENS0_14default_configENS1_37merge_sort_block_sort_config_selectorIlNS0_10empty_typeEEENS1_38merge_sort_block_merge_config_selectorIlSE_EEEEvv
                                        ; -- End function
	.set _ZN7rocprim17ROCPRIM_400000_NS6detail44device_merge_sort_compile_time_verifier_archINS1_11comp_targetILNS1_3genE9ELNS1_11target_archE1100ELNS1_3gpuE3ELNS1_3repE0EEES8_NS1_28merge_sort_block_sort_configILj256ELj4ELNS0_20block_sort_algorithmE0EEENS0_14default_configENS1_37merge_sort_block_sort_config_selectorIlNS0_10empty_typeEEENS1_38merge_sort_block_merge_config_selectorIlSE_EEEEvv.num_vgpr, 0
	.set _ZN7rocprim17ROCPRIM_400000_NS6detail44device_merge_sort_compile_time_verifier_archINS1_11comp_targetILNS1_3genE9ELNS1_11target_archE1100ELNS1_3gpuE3ELNS1_3repE0EEES8_NS1_28merge_sort_block_sort_configILj256ELj4ELNS0_20block_sort_algorithmE0EEENS0_14default_configENS1_37merge_sort_block_sort_config_selectorIlNS0_10empty_typeEEENS1_38merge_sort_block_merge_config_selectorIlSE_EEEEvv.num_agpr, 0
	.set _ZN7rocprim17ROCPRIM_400000_NS6detail44device_merge_sort_compile_time_verifier_archINS1_11comp_targetILNS1_3genE9ELNS1_11target_archE1100ELNS1_3gpuE3ELNS1_3repE0EEES8_NS1_28merge_sort_block_sort_configILj256ELj4ELNS0_20block_sort_algorithmE0EEENS0_14default_configENS1_37merge_sort_block_sort_config_selectorIlNS0_10empty_typeEEENS1_38merge_sort_block_merge_config_selectorIlSE_EEEEvv.numbered_sgpr, 0
	.set _ZN7rocprim17ROCPRIM_400000_NS6detail44device_merge_sort_compile_time_verifier_archINS1_11comp_targetILNS1_3genE9ELNS1_11target_archE1100ELNS1_3gpuE3ELNS1_3repE0EEES8_NS1_28merge_sort_block_sort_configILj256ELj4ELNS0_20block_sort_algorithmE0EEENS0_14default_configENS1_37merge_sort_block_sort_config_selectorIlNS0_10empty_typeEEENS1_38merge_sort_block_merge_config_selectorIlSE_EEEEvv.num_named_barrier, 0
	.set _ZN7rocprim17ROCPRIM_400000_NS6detail44device_merge_sort_compile_time_verifier_archINS1_11comp_targetILNS1_3genE9ELNS1_11target_archE1100ELNS1_3gpuE3ELNS1_3repE0EEES8_NS1_28merge_sort_block_sort_configILj256ELj4ELNS0_20block_sort_algorithmE0EEENS0_14default_configENS1_37merge_sort_block_sort_config_selectorIlNS0_10empty_typeEEENS1_38merge_sort_block_merge_config_selectorIlSE_EEEEvv.private_seg_size, 0
	.set _ZN7rocprim17ROCPRIM_400000_NS6detail44device_merge_sort_compile_time_verifier_archINS1_11comp_targetILNS1_3genE9ELNS1_11target_archE1100ELNS1_3gpuE3ELNS1_3repE0EEES8_NS1_28merge_sort_block_sort_configILj256ELj4ELNS0_20block_sort_algorithmE0EEENS0_14default_configENS1_37merge_sort_block_sort_config_selectorIlNS0_10empty_typeEEENS1_38merge_sort_block_merge_config_selectorIlSE_EEEEvv.uses_vcc, 0
	.set _ZN7rocprim17ROCPRIM_400000_NS6detail44device_merge_sort_compile_time_verifier_archINS1_11comp_targetILNS1_3genE9ELNS1_11target_archE1100ELNS1_3gpuE3ELNS1_3repE0EEES8_NS1_28merge_sort_block_sort_configILj256ELj4ELNS0_20block_sort_algorithmE0EEENS0_14default_configENS1_37merge_sort_block_sort_config_selectorIlNS0_10empty_typeEEENS1_38merge_sort_block_merge_config_selectorIlSE_EEEEvv.uses_flat_scratch, 0
	.set _ZN7rocprim17ROCPRIM_400000_NS6detail44device_merge_sort_compile_time_verifier_archINS1_11comp_targetILNS1_3genE9ELNS1_11target_archE1100ELNS1_3gpuE3ELNS1_3repE0EEES8_NS1_28merge_sort_block_sort_configILj256ELj4ELNS0_20block_sort_algorithmE0EEENS0_14default_configENS1_37merge_sort_block_sort_config_selectorIlNS0_10empty_typeEEENS1_38merge_sort_block_merge_config_selectorIlSE_EEEEvv.has_dyn_sized_stack, 0
	.set _ZN7rocprim17ROCPRIM_400000_NS6detail44device_merge_sort_compile_time_verifier_archINS1_11comp_targetILNS1_3genE9ELNS1_11target_archE1100ELNS1_3gpuE3ELNS1_3repE0EEES8_NS1_28merge_sort_block_sort_configILj256ELj4ELNS0_20block_sort_algorithmE0EEENS0_14default_configENS1_37merge_sort_block_sort_config_selectorIlNS0_10empty_typeEEENS1_38merge_sort_block_merge_config_selectorIlSE_EEEEvv.has_recursion, 0
	.set _ZN7rocprim17ROCPRIM_400000_NS6detail44device_merge_sort_compile_time_verifier_archINS1_11comp_targetILNS1_3genE9ELNS1_11target_archE1100ELNS1_3gpuE3ELNS1_3repE0EEES8_NS1_28merge_sort_block_sort_configILj256ELj4ELNS0_20block_sort_algorithmE0EEENS0_14default_configENS1_37merge_sort_block_sort_config_selectorIlNS0_10empty_typeEEENS1_38merge_sort_block_merge_config_selectorIlSE_EEEEvv.has_indirect_call, 0
	.section	.AMDGPU.csdata,"",@progbits
; Kernel info:
; codeLenInByte = 4
; TotalNumSgprs: 0
; NumVgprs: 0
; ScratchSize: 0
; MemoryBound: 0
; FloatMode: 240
; IeeeMode: 1
; LDSByteSize: 0 bytes/workgroup (compile time only)
; SGPRBlocks: 0
; VGPRBlocks: 0
; NumSGPRsForWavesPerEU: 1
; NumVGPRsForWavesPerEU: 1
; NamedBarCnt: 0
; Occupancy: 16
; WaveLimiterHint : 0
; COMPUTE_PGM_RSRC2:SCRATCH_EN: 0
; COMPUTE_PGM_RSRC2:USER_SGPR: 0
; COMPUTE_PGM_RSRC2:TRAP_HANDLER: 0
; COMPUTE_PGM_RSRC2:TGID_X_EN: 1
; COMPUTE_PGM_RSRC2:TGID_Y_EN: 0
; COMPUTE_PGM_RSRC2:TGID_Z_EN: 0
; COMPUTE_PGM_RSRC2:TIDIG_COMP_CNT: 0
	.section	.text._ZN7rocprim17ROCPRIM_400000_NS6detail44device_merge_sort_compile_time_verifier_archINS1_11comp_targetILNS1_3genE8ELNS1_11target_archE1030ELNS1_3gpuE2ELNS1_3repE0EEES8_NS1_28merge_sort_block_sort_configILj256ELj4ELNS0_20block_sort_algorithmE0EEENS0_14default_configENS1_37merge_sort_block_sort_config_selectorIlNS0_10empty_typeEEENS1_38merge_sort_block_merge_config_selectorIlSE_EEEEvv,"axG",@progbits,_ZN7rocprim17ROCPRIM_400000_NS6detail44device_merge_sort_compile_time_verifier_archINS1_11comp_targetILNS1_3genE8ELNS1_11target_archE1030ELNS1_3gpuE2ELNS1_3repE0EEES8_NS1_28merge_sort_block_sort_configILj256ELj4ELNS0_20block_sort_algorithmE0EEENS0_14default_configENS1_37merge_sort_block_sort_config_selectorIlNS0_10empty_typeEEENS1_38merge_sort_block_merge_config_selectorIlSE_EEEEvv,comdat
	.protected	_ZN7rocprim17ROCPRIM_400000_NS6detail44device_merge_sort_compile_time_verifier_archINS1_11comp_targetILNS1_3genE8ELNS1_11target_archE1030ELNS1_3gpuE2ELNS1_3repE0EEES8_NS1_28merge_sort_block_sort_configILj256ELj4ELNS0_20block_sort_algorithmE0EEENS0_14default_configENS1_37merge_sort_block_sort_config_selectorIlNS0_10empty_typeEEENS1_38merge_sort_block_merge_config_selectorIlSE_EEEEvv ; -- Begin function _ZN7rocprim17ROCPRIM_400000_NS6detail44device_merge_sort_compile_time_verifier_archINS1_11comp_targetILNS1_3genE8ELNS1_11target_archE1030ELNS1_3gpuE2ELNS1_3repE0EEES8_NS1_28merge_sort_block_sort_configILj256ELj4ELNS0_20block_sort_algorithmE0EEENS0_14default_configENS1_37merge_sort_block_sort_config_selectorIlNS0_10empty_typeEEENS1_38merge_sort_block_merge_config_selectorIlSE_EEEEvv
	.globl	_ZN7rocprim17ROCPRIM_400000_NS6detail44device_merge_sort_compile_time_verifier_archINS1_11comp_targetILNS1_3genE8ELNS1_11target_archE1030ELNS1_3gpuE2ELNS1_3repE0EEES8_NS1_28merge_sort_block_sort_configILj256ELj4ELNS0_20block_sort_algorithmE0EEENS0_14default_configENS1_37merge_sort_block_sort_config_selectorIlNS0_10empty_typeEEENS1_38merge_sort_block_merge_config_selectorIlSE_EEEEvv
	.p2align	8
	.type	_ZN7rocprim17ROCPRIM_400000_NS6detail44device_merge_sort_compile_time_verifier_archINS1_11comp_targetILNS1_3genE8ELNS1_11target_archE1030ELNS1_3gpuE2ELNS1_3repE0EEES8_NS1_28merge_sort_block_sort_configILj256ELj4ELNS0_20block_sort_algorithmE0EEENS0_14default_configENS1_37merge_sort_block_sort_config_selectorIlNS0_10empty_typeEEENS1_38merge_sort_block_merge_config_selectorIlSE_EEEEvv,@function
_ZN7rocprim17ROCPRIM_400000_NS6detail44device_merge_sort_compile_time_verifier_archINS1_11comp_targetILNS1_3genE8ELNS1_11target_archE1030ELNS1_3gpuE2ELNS1_3repE0EEES8_NS1_28merge_sort_block_sort_configILj256ELj4ELNS0_20block_sort_algorithmE0EEENS0_14default_configENS1_37merge_sort_block_sort_config_selectorIlNS0_10empty_typeEEENS1_38merge_sort_block_merge_config_selectorIlSE_EEEEvv: ; @_ZN7rocprim17ROCPRIM_400000_NS6detail44device_merge_sort_compile_time_verifier_archINS1_11comp_targetILNS1_3genE8ELNS1_11target_archE1030ELNS1_3gpuE2ELNS1_3repE0EEES8_NS1_28merge_sort_block_sort_configILj256ELj4ELNS0_20block_sort_algorithmE0EEENS0_14default_configENS1_37merge_sort_block_sort_config_selectorIlNS0_10empty_typeEEENS1_38merge_sort_block_merge_config_selectorIlSE_EEEEvv
; %bb.0:
	s_endpgm
	.section	.rodata,"a",@progbits
	.p2align	6, 0x0
	.amdhsa_kernel _ZN7rocprim17ROCPRIM_400000_NS6detail44device_merge_sort_compile_time_verifier_archINS1_11comp_targetILNS1_3genE8ELNS1_11target_archE1030ELNS1_3gpuE2ELNS1_3repE0EEES8_NS1_28merge_sort_block_sort_configILj256ELj4ELNS0_20block_sort_algorithmE0EEENS0_14default_configENS1_37merge_sort_block_sort_config_selectorIlNS0_10empty_typeEEENS1_38merge_sort_block_merge_config_selectorIlSE_EEEEvv
		.amdhsa_group_segment_fixed_size 0
		.amdhsa_private_segment_fixed_size 0
		.amdhsa_kernarg_size 0
		.amdhsa_user_sgpr_count 0
		.amdhsa_user_sgpr_dispatch_ptr 0
		.amdhsa_user_sgpr_queue_ptr 0
		.amdhsa_user_sgpr_kernarg_segment_ptr 0
		.amdhsa_user_sgpr_dispatch_id 0
		.amdhsa_user_sgpr_kernarg_preload_length 0
		.amdhsa_user_sgpr_kernarg_preload_offset 0
		.amdhsa_user_sgpr_private_segment_size 0
		.amdhsa_wavefront_size32 1
		.amdhsa_uses_dynamic_stack 0
		.amdhsa_enable_private_segment 0
		.amdhsa_system_sgpr_workgroup_id_x 1
		.amdhsa_system_sgpr_workgroup_id_y 0
		.amdhsa_system_sgpr_workgroup_id_z 0
		.amdhsa_system_sgpr_workgroup_info 0
		.amdhsa_system_vgpr_workitem_id 0
		.amdhsa_next_free_vgpr 1
		.amdhsa_next_free_sgpr 1
		.amdhsa_named_barrier_count 0
		.amdhsa_reserve_vcc 0
		.amdhsa_float_round_mode_32 0
		.amdhsa_float_round_mode_16_64 0
		.amdhsa_float_denorm_mode_32 3
		.amdhsa_float_denorm_mode_16_64 3
		.amdhsa_fp16_overflow 0
		.amdhsa_memory_ordered 1
		.amdhsa_forward_progress 1
		.amdhsa_inst_pref_size 1
		.amdhsa_round_robin_scheduling 0
		.amdhsa_exception_fp_ieee_invalid_op 0
		.amdhsa_exception_fp_denorm_src 0
		.amdhsa_exception_fp_ieee_div_zero 0
		.amdhsa_exception_fp_ieee_overflow 0
		.amdhsa_exception_fp_ieee_underflow 0
		.amdhsa_exception_fp_ieee_inexact 0
		.amdhsa_exception_int_div_zero 0
	.end_amdhsa_kernel
	.section	.text._ZN7rocprim17ROCPRIM_400000_NS6detail44device_merge_sort_compile_time_verifier_archINS1_11comp_targetILNS1_3genE8ELNS1_11target_archE1030ELNS1_3gpuE2ELNS1_3repE0EEES8_NS1_28merge_sort_block_sort_configILj256ELj4ELNS0_20block_sort_algorithmE0EEENS0_14default_configENS1_37merge_sort_block_sort_config_selectorIlNS0_10empty_typeEEENS1_38merge_sort_block_merge_config_selectorIlSE_EEEEvv,"axG",@progbits,_ZN7rocprim17ROCPRIM_400000_NS6detail44device_merge_sort_compile_time_verifier_archINS1_11comp_targetILNS1_3genE8ELNS1_11target_archE1030ELNS1_3gpuE2ELNS1_3repE0EEES8_NS1_28merge_sort_block_sort_configILj256ELj4ELNS0_20block_sort_algorithmE0EEENS0_14default_configENS1_37merge_sort_block_sort_config_selectorIlNS0_10empty_typeEEENS1_38merge_sort_block_merge_config_selectorIlSE_EEEEvv,comdat
.Lfunc_end1013:
	.size	_ZN7rocprim17ROCPRIM_400000_NS6detail44device_merge_sort_compile_time_verifier_archINS1_11comp_targetILNS1_3genE8ELNS1_11target_archE1030ELNS1_3gpuE2ELNS1_3repE0EEES8_NS1_28merge_sort_block_sort_configILj256ELj4ELNS0_20block_sort_algorithmE0EEENS0_14default_configENS1_37merge_sort_block_sort_config_selectorIlNS0_10empty_typeEEENS1_38merge_sort_block_merge_config_selectorIlSE_EEEEvv, .Lfunc_end1013-_ZN7rocprim17ROCPRIM_400000_NS6detail44device_merge_sort_compile_time_verifier_archINS1_11comp_targetILNS1_3genE8ELNS1_11target_archE1030ELNS1_3gpuE2ELNS1_3repE0EEES8_NS1_28merge_sort_block_sort_configILj256ELj4ELNS0_20block_sort_algorithmE0EEENS0_14default_configENS1_37merge_sort_block_sort_config_selectorIlNS0_10empty_typeEEENS1_38merge_sort_block_merge_config_selectorIlSE_EEEEvv
                                        ; -- End function
	.set _ZN7rocprim17ROCPRIM_400000_NS6detail44device_merge_sort_compile_time_verifier_archINS1_11comp_targetILNS1_3genE8ELNS1_11target_archE1030ELNS1_3gpuE2ELNS1_3repE0EEES8_NS1_28merge_sort_block_sort_configILj256ELj4ELNS0_20block_sort_algorithmE0EEENS0_14default_configENS1_37merge_sort_block_sort_config_selectorIlNS0_10empty_typeEEENS1_38merge_sort_block_merge_config_selectorIlSE_EEEEvv.num_vgpr, 0
	.set _ZN7rocprim17ROCPRIM_400000_NS6detail44device_merge_sort_compile_time_verifier_archINS1_11comp_targetILNS1_3genE8ELNS1_11target_archE1030ELNS1_3gpuE2ELNS1_3repE0EEES8_NS1_28merge_sort_block_sort_configILj256ELj4ELNS0_20block_sort_algorithmE0EEENS0_14default_configENS1_37merge_sort_block_sort_config_selectorIlNS0_10empty_typeEEENS1_38merge_sort_block_merge_config_selectorIlSE_EEEEvv.num_agpr, 0
	.set _ZN7rocprim17ROCPRIM_400000_NS6detail44device_merge_sort_compile_time_verifier_archINS1_11comp_targetILNS1_3genE8ELNS1_11target_archE1030ELNS1_3gpuE2ELNS1_3repE0EEES8_NS1_28merge_sort_block_sort_configILj256ELj4ELNS0_20block_sort_algorithmE0EEENS0_14default_configENS1_37merge_sort_block_sort_config_selectorIlNS0_10empty_typeEEENS1_38merge_sort_block_merge_config_selectorIlSE_EEEEvv.numbered_sgpr, 0
	.set _ZN7rocprim17ROCPRIM_400000_NS6detail44device_merge_sort_compile_time_verifier_archINS1_11comp_targetILNS1_3genE8ELNS1_11target_archE1030ELNS1_3gpuE2ELNS1_3repE0EEES8_NS1_28merge_sort_block_sort_configILj256ELj4ELNS0_20block_sort_algorithmE0EEENS0_14default_configENS1_37merge_sort_block_sort_config_selectorIlNS0_10empty_typeEEENS1_38merge_sort_block_merge_config_selectorIlSE_EEEEvv.num_named_barrier, 0
	.set _ZN7rocprim17ROCPRIM_400000_NS6detail44device_merge_sort_compile_time_verifier_archINS1_11comp_targetILNS1_3genE8ELNS1_11target_archE1030ELNS1_3gpuE2ELNS1_3repE0EEES8_NS1_28merge_sort_block_sort_configILj256ELj4ELNS0_20block_sort_algorithmE0EEENS0_14default_configENS1_37merge_sort_block_sort_config_selectorIlNS0_10empty_typeEEENS1_38merge_sort_block_merge_config_selectorIlSE_EEEEvv.private_seg_size, 0
	.set _ZN7rocprim17ROCPRIM_400000_NS6detail44device_merge_sort_compile_time_verifier_archINS1_11comp_targetILNS1_3genE8ELNS1_11target_archE1030ELNS1_3gpuE2ELNS1_3repE0EEES8_NS1_28merge_sort_block_sort_configILj256ELj4ELNS0_20block_sort_algorithmE0EEENS0_14default_configENS1_37merge_sort_block_sort_config_selectorIlNS0_10empty_typeEEENS1_38merge_sort_block_merge_config_selectorIlSE_EEEEvv.uses_vcc, 0
	.set _ZN7rocprim17ROCPRIM_400000_NS6detail44device_merge_sort_compile_time_verifier_archINS1_11comp_targetILNS1_3genE8ELNS1_11target_archE1030ELNS1_3gpuE2ELNS1_3repE0EEES8_NS1_28merge_sort_block_sort_configILj256ELj4ELNS0_20block_sort_algorithmE0EEENS0_14default_configENS1_37merge_sort_block_sort_config_selectorIlNS0_10empty_typeEEENS1_38merge_sort_block_merge_config_selectorIlSE_EEEEvv.uses_flat_scratch, 0
	.set _ZN7rocprim17ROCPRIM_400000_NS6detail44device_merge_sort_compile_time_verifier_archINS1_11comp_targetILNS1_3genE8ELNS1_11target_archE1030ELNS1_3gpuE2ELNS1_3repE0EEES8_NS1_28merge_sort_block_sort_configILj256ELj4ELNS0_20block_sort_algorithmE0EEENS0_14default_configENS1_37merge_sort_block_sort_config_selectorIlNS0_10empty_typeEEENS1_38merge_sort_block_merge_config_selectorIlSE_EEEEvv.has_dyn_sized_stack, 0
	.set _ZN7rocprim17ROCPRIM_400000_NS6detail44device_merge_sort_compile_time_verifier_archINS1_11comp_targetILNS1_3genE8ELNS1_11target_archE1030ELNS1_3gpuE2ELNS1_3repE0EEES8_NS1_28merge_sort_block_sort_configILj256ELj4ELNS0_20block_sort_algorithmE0EEENS0_14default_configENS1_37merge_sort_block_sort_config_selectorIlNS0_10empty_typeEEENS1_38merge_sort_block_merge_config_selectorIlSE_EEEEvv.has_recursion, 0
	.set _ZN7rocprim17ROCPRIM_400000_NS6detail44device_merge_sort_compile_time_verifier_archINS1_11comp_targetILNS1_3genE8ELNS1_11target_archE1030ELNS1_3gpuE2ELNS1_3repE0EEES8_NS1_28merge_sort_block_sort_configILj256ELj4ELNS0_20block_sort_algorithmE0EEENS0_14default_configENS1_37merge_sort_block_sort_config_selectorIlNS0_10empty_typeEEENS1_38merge_sort_block_merge_config_selectorIlSE_EEEEvv.has_indirect_call, 0
	.section	.AMDGPU.csdata,"",@progbits
; Kernel info:
; codeLenInByte = 4
; TotalNumSgprs: 0
; NumVgprs: 0
; ScratchSize: 0
; MemoryBound: 0
; FloatMode: 240
; IeeeMode: 1
; LDSByteSize: 0 bytes/workgroup (compile time only)
; SGPRBlocks: 0
; VGPRBlocks: 0
; NumSGPRsForWavesPerEU: 1
; NumVGPRsForWavesPerEU: 1
; NamedBarCnt: 0
; Occupancy: 16
; WaveLimiterHint : 0
; COMPUTE_PGM_RSRC2:SCRATCH_EN: 0
; COMPUTE_PGM_RSRC2:USER_SGPR: 0
; COMPUTE_PGM_RSRC2:TRAP_HANDLER: 0
; COMPUTE_PGM_RSRC2:TGID_X_EN: 1
; COMPUTE_PGM_RSRC2:TGID_Y_EN: 0
; COMPUTE_PGM_RSRC2:TGID_Z_EN: 0
; COMPUTE_PGM_RSRC2:TIDIG_COMP_CNT: 0
	.section	.text._ZN7rocprim17ROCPRIM_400000_NS6detail17trampoline_kernelINS0_14default_configENS1_38merge_sort_block_merge_config_selectorIlNS0_10empty_typeEEEZZNS1_27merge_sort_block_merge_implIS3_PlPS5_jNS1_19radix_merge_compareILb1ELb0ElNS0_19identity_decomposerEEEEE10hipError_tT0_T1_T2_jT3_P12ihipStream_tbPNSt15iterator_traitsISE_E10value_typeEPNSK_ISF_E10value_typeEPSG_NS1_7vsmem_tEENKUlT_SE_SF_SG_E_clIS8_S8_S9_S9_EESD_ST_SE_SF_SG_EUlST_E_NS1_11comp_targetILNS1_3genE0ELNS1_11target_archE4294967295ELNS1_3gpuE0ELNS1_3repE0EEENS1_48merge_mergepath_partition_config_static_selectorELNS0_4arch9wavefront6targetE0EEEvSF_,"axG",@progbits,_ZN7rocprim17ROCPRIM_400000_NS6detail17trampoline_kernelINS0_14default_configENS1_38merge_sort_block_merge_config_selectorIlNS0_10empty_typeEEEZZNS1_27merge_sort_block_merge_implIS3_PlPS5_jNS1_19radix_merge_compareILb1ELb0ElNS0_19identity_decomposerEEEEE10hipError_tT0_T1_T2_jT3_P12ihipStream_tbPNSt15iterator_traitsISE_E10value_typeEPNSK_ISF_E10value_typeEPSG_NS1_7vsmem_tEENKUlT_SE_SF_SG_E_clIS8_S8_S9_S9_EESD_ST_SE_SF_SG_EUlST_E_NS1_11comp_targetILNS1_3genE0ELNS1_11target_archE4294967295ELNS1_3gpuE0ELNS1_3repE0EEENS1_48merge_mergepath_partition_config_static_selectorELNS0_4arch9wavefront6targetE0EEEvSF_,comdat
	.protected	_ZN7rocprim17ROCPRIM_400000_NS6detail17trampoline_kernelINS0_14default_configENS1_38merge_sort_block_merge_config_selectorIlNS0_10empty_typeEEEZZNS1_27merge_sort_block_merge_implIS3_PlPS5_jNS1_19radix_merge_compareILb1ELb0ElNS0_19identity_decomposerEEEEE10hipError_tT0_T1_T2_jT3_P12ihipStream_tbPNSt15iterator_traitsISE_E10value_typeEPNSK_ISF_E10value_typeEPSG_NS1_7vsmem_tEENKUlT_SE_SF_SG_E_clIS8_S8_S9_S9_EESD_ST_SE_SF_SG_EUlST_E_NS1_11comp_targetILNS1_3genE0ELNS1_11target_archE4294967295ELNS1_3gpuE0ELNS1_3repE0EEENS1_48merge_mergepath_partition_config_static_selectorELNS0_4arch9wavefront6targetE0EEEvSF_ ; -- Begin function _ZN7rocprim17ROCPRIM_400000_NS6detail17trampoline_kernelINS0_14default_configENS1_38merge_sort_block_merge_config_selectorIlNS0_10empty_typeEEEZZNS1_27merge_sort_block_merge_implIS3_PlPS5_jNS1_19radix_merge_compareILb1ELb0ElNS0_19identity_decomposerEEEEE10hipError_tT0_T1_T2_jT3_P12ihipStream_tbPNSt15iterator_traitsISE_E10value_typeEPNSK_ISF_E10value_typeEPSG_NS1_7vsmem_tEENKUlT_SE_SF_SG_E_clIS8_S8_S9_S9_EESD_ST_SE_SF_SG_EUlST_E_NS1_11comp_targetILNS1_3genE0ELNS1_11target_archE4294967295ELNS1_3gpuE0ELNS1_3repE0EEENS1_48merge_mergepath_partition_config_static_selectorELNS0_4arch9wavefront6targetE0EEEvSF_
	.globl	_ZN7rocprim17ROCPRIM_400000_NS6detail17trampoline_kernelINS0_14default_configENS1_38merge_sort_block_merge_config_selectorIlNS0_10empty_typeEEEZZNS1_27merge_sort_block_merge_implIS3_PlPS5_jNS1_19radix_merge_compareILb1ELb0ElNS0_19identity_decomposerEEEEE10hipError_tT0_T1_T2_jT3_P12ihipStream_tbPNSt15iterator_traitsISE_E10value_typeEPNSK_ISF_E10value_typeEPSG_NS1_7vsmem_tEENKUlT_SE_SF_SG_E_clIS8_S8_S9_S9_EESD_ST_SE_SF_SG_EUlST_E_NS1_11comp_targetILNS1_3genE0ELNS1_11target_archE4294967295ELNS1_3gpuE0ELNS1_3repE0EEENS1_48merge_mergepath_partition_config_static_selectorELNS0_4arch9wavefront6targetE0EEEvSF_
	.p2align	8
	.type	_ZN7rocprim17ROCPRIM_400000_NS6detail17trampoline_kernelINS0_14default_configENS1_38merge_sort_block_merge_config_selectorIlNS0_10empty_typeEEEZZNS1_27merge_sort_block_merge_implIS3_PlPS5_jNS1_19radix_merge_compareILb1ELb0ElNS0_19identity_decomposerEEEEE10hipError_tT0_T1_T2_jT3_P12ihipStream_tbPNSt15iterator_traitsISE_E10value_typeEPNSK_ISF_E10value_typeEPSG_NS1_7vsmem_tEENKUlT_SE_SF_SG_E_clIS8_S8_S9_S9_EESD_ST_SE_SF_SG_EUlST_E_NS1_11comp_targetILNS1_3genE0ELNS1_11target_archE4294967295ELNS1_3gpuE0ELNS1_3repE0EEENS1_48merge_mergepath_partition_config_static_selectorELNS0_4arch9wavefront6targetE0EEEvSF_,@function
_ZN7rocprim17ROCPRIM_400000_NS6detail17trampoline_kernelINS0_14default_configENS1_38merge_sort_block_merge_config_selectorIlNS0_10empty_typeEEEZZNS1_27merge_sort_block_merge_implIS3_PlPS5_jNS1_19radix_merge_compareILb1ELb0ElNS0_19identity_decomposerEEEEE10hipError_tT0_T1_T2_jT3_P12ihipStream_tbPNSt15iterator_traitsISE_E10value_typeEPNSK_ISF_E10value_typeEPSG_NS1_7vsmem_tEENKUlT_SE_SF_SG_E_clIS8_S8_S9_S9_EESD_ST_SE_SF_SG_EUlST_E_NS1_11comp_targetILNS1_3genE0ELNS1_11target_archE4294967295ELNS1_3gpuE0ELNS1_3repE0EEENS1_48merge_mergepath_partition_config_static_selectorELNS0_4arch9wavefront6targetE0EEEvSF_: ; @_ZN7rocprim17ROCPRIM_400000_NS6detail17trampoline_kernelINS0_14default_configENS1_38merge_sort_block_merge_config_selectorIlNS0_10empty_typeEEEZZNS1_27merge_sort_block_merge_implIS3_PlPS5_jNS1_19radix_merge_compareILb1ELb0ElNS0_19identity_decomposerEEEEE10hipError_tT0_T1_T2_jT3_P12ihipStream_tbPNSt15iterator_traitsISE_E10value_typeEPNSK_ISF_E10value_typeEPSG_NS1_7vsmem_tEENKUlT_SE_SF_SG_E_clIS8_S8_S9_S9_EESD_ST_SE_SF_SG_EUlST_E_NS1_11comp_targetILNS1_3genE0ELNS1_11target_archE4294967295ELNS1_3gpuE0ELNS1_3repE0EEENS1_48merge_mergepath_partition_config_static_selectorELNS0_4arch9wavefront6targetE0EEEvSF_
; %bb.0:
	s_load_b32 s2, s[0:1], 0x0
	s_bfe_u32 s3, ttmp6, 0x4000c
	s_and_b32 s4, ttmp6, 15
	s_add_co_i32 s3, s3, 1
	s_getreg_b32 s5, hwreg(HW_REG_IB_STS2, 6, 4)
	s_mul_i32 s3, ttmp9, s3
	s_delay_alu instid0(SALU_CYCLE_1) | instskip(SKIP_2) | instid1(SALU_CYCLE_1)
	s_add_co_i32 s4, s4, s3
	s_cmp_eq_u32 s5, 0
	s_cselect_b32 s3, ttmp9, s4
	v_lshl_or_b32 v8, s3, 7, v0
	s_wait_kmcnt 0x0
	s_delay_alu instid0(VALU_DEP_1)
	v_cmp_gt_u32_e32 vcc_lo, s2, v8
	s_and_saveexec_b32 s2, vcc_lo
	s_cbranch_execz .LBB1014_6
; %bb.1:
	s_load_b64 s[2:3], s[0:1], 0x4
	s_wait_kmcnt 0x0
	s_lshr_b32 s4, s2, 9
	s_delay_alu instid0(SALU_CYCLE_1) | instskip(NEXT) | instid1(SALU_CYCLE_1)
	s_and_b32 s4, s4, 0x7ffffe
	s_sub_co_i32 s5, 0, s4
	s_add_co_i32 s4, s4, -1
	s_delay_alu instid0(SALU_CYCLE_1) | instskip(SKIP_2) | instid1(VALU_DEP_1)
	v_and_b32_e32 v1, s4, v8
	v_and_b32_e32 v0, s5, v8
	s_mov_b32 s4, exec_lo
	v_dual_lshlrev_b32 v1, 10, v1 :: v_dual_lshlrev_b32 v0, 10, v0
	s_delay_alu instid0(VALU_DEP_1) | instskip(SKIP_1) | instid1(VALU_DEP_2)
	v_add_min_u32_e64 v2, v0, s2, s3
	v_min_u32_e32 v0, s3, v0
	v_add_min_u32_e64 v3, v2, s2, s3
	s_load_b64 s[2:3], s[0:1], 0x20
	s_delay_alu instid0(VALU_DEP_1) | instskip(NEXT) | instid1(VALU_DEP_1)
	v_dual_sub_nc_u32 v4, v3, v0 :: v_dual_sub_nc_u32 v3, v3, v2
	v_min_u32_e32 v10, v4, v1
	v_sub_nc_u32_e32 v1, v2, v0
	s_delay_alu instid0(VALU_DEP_2) | instskip(NEXT) | instid1(VALU_DEP_2)
	v_sub_nc_u32_e64 v9, v10, v3 clamp
	v_min_u32_e32 v11, v10, v1
	s_delay_alu instid0(VALU_DEP_1)
	v_cmpx_lt_u32_e64 v9, v11
	s_cbranch_execz .LBB1014_5
; %bb.2:
	s_wait_xcnt 0x0
	s_load_b64 s[0:1], s[0:1], 0x10
	v_mov_b32_e32 v3, 0
	s_delay_alu instid0(VALU_DEP_1) | instskip(SKIP_1) | instid1(VALU_DEP_1)
	v_mov_b32_e32 v1, v3
	s_wait_kmcnt 0x0
	v_lshl_add_u64 v[4:5], v[0:1], 3, s[0:1]
	v_lshl_add_u64 v[6:7], v[2:3], 3, s[0:1]
	s_mov_b32 s0, 0
.LBB1014_3:                             ; =>This Inner Loop Header: Depth=1
	v_add_nc_u32_e32 v1, v11, v9
	s_delay_alu instid0(VALU_DEP_1) | instskip(NEXT) | instid1(VALU_DEP_1)
	v_dual_mov_b32 v13, v3 :: v_dual_lshrrev_b32 v2, 1, v1
	v_xad_u32 v12, v2, -1, v10
	v_lshl_add_u64 v[14:15], v[2:3], 3, v[4:5]
	v_add_nc_u32_e32 v1, 1, v2
	s_delay_alu instid0(VALU_DEP_3)
	v_lshl_add_u64 v[12:13], v[12:13], 3, v[6:7]
	s_clause 0x1
	global_load_b64 v[16:17], v[14:15], off
	global_load_b64 v[18:19], v[12:13], off
	s_wait_loadcnt 0x0
	v_cmp_gt_i64_e32 vcc_lo, v[18:19], v[16:17]
	v_dual_cndmask_b32 v11, v11, v2, vcc_lo :: v_dual_cndmask_b32 v9, v1, v9, vcc_lo
	s_delay_alu instid0(VALU_DEP_1) | instskip(SKIP_1) | instid1(SALU_CYCLE_1)
	v_cmp_ge_u32_e32 vcc_lo, v9, v11
	s_or_b32 s0, vcc_lo, s0
	s_and_not1_b32 exec_lo, exec_lo, s0
	s_cbranch_execnz .LBB1014_3
; %bb.4:
	s_or_b32 exec_lo, exec_lo, s0
.LBB1014_5:
	s_delay_alu instid0(SALU_CYCLE_1)
	s_or_b32 exec_lo, exec_lo, s4
	v_add_nc_u32_e32 v0, v9, v0
	s_wait_kmcnt 0x0
	global_store_b32 v8, v0, s[2:3] scale_offset
.LBB1014_6:
	s_endpgm
	.section	.rodata,"a",@progbits
	.p2align	6, 0x0
	.amdhsa_kernel _ZN7rocprim17ROCPRIM_400000_NS6detail17trampoline_kernelINS0_14default_configENS1_38merge_sort_block_merge_config_selectorIlNS0_10empty_typeEEEZZNS1_27merge_sort_block_merge_implIS3_PlPS5_jNS1_19radix_merge_compareILb1ELb0ElNS0_19identity_decomposerEEEEE10hipError_tT0_T1_T2_jT3_P12ihipStream_tbPNSt15iterator_traitsISE_E10value_typeEPNSK_ISF_E10value_typeEPSG_NS1_7vsmem_tEENKUlT_SE_SF_SG_E_clIS8_S8_S9_S9_EESD_ST_SE_SF_SG_EUlST_E_NS1_11comp_targetILNS1_3genE0ELNS1_11target_archE4294967295ELNS1_3gpuE0ELNS1_3repE0EEENS1_48merge_mergepath_partition_config_static_selectorELNS0_4arch9wavefront6targetE0EEEvSF_
		.amdhsa_group_segment_fixed_size 0
		.amdhsa_private_segment_fixed_size 0
		.amdhsa_kernarg_size 40
		.amdhsa_user_sgpr_count 2
		.amdhsa_user_sgpr_dispatch_ptr 0
		.amdhsa_user_sgpr_queue_ptr 0
		.amdhsa_user_sgpr_kernarg_segment_ptr 1
		.amdhsa_user_sgpr_dispatch_id 0
		.amdhsa_user_sgpr_kernarg_preload_length 0
		.amdhsa_user_sgpr_kernarg_preload_offset 0
		.amdhsa_user_sgpr_private_segment_size 0
		.amdhsa_wavefront_size32 1
		.amdhsa_uses_dynamic_stack 0
		.amdhsa_enable_private_segment 0
		.amdhsa_system_sgpr_workgroup_id_x 1
		.amdhsa_system_sgpr_workgroup_id_y 0
		.amdhsa_system_sgpr_workgroup_id_z 0
		.amdhsa_system_sgpr_workgroup_info 0
		.amdhsa_system_vgpr_workitem_id 0
		.amdhsa_next_free_vgpr 20
		.amdhsa_next_free_sgpr 6
		.amdhsa_named_barrier_count 0
		.amdhsa_reserve_vcc 1
		.amdhsa_float_round_mode_32 0
		.amdhsa_float_round_mode_16_64 0
		.amdhsa_float_denorm_mode_32 3
		.amdhsa_float_denorm_mode_16_64 3
		.amdhsa_fp16_overflow 0
		.amdhsa_memory_ordered 1
		.amdhsa_forward_progress 1
		.amdhsa_inst_pref_size 4
		.amdhsa_round_robin_scheduling 0
		.amdhsa_exception_fp_ieee_invalid_op 0
		.amdhsa_exception_fp_denorm_src 0
		.amdhsa_exception_fp_ieee_div_zero 0
		.amdhsa_exception_fp_ieee_overflow 0
		.amdhsa_exception_fp_ieee_underflow 0
		.amdhsa_exception_fp_ieee_inexact 0
		.amdhsa_exception_int_div_zero 0
	.end_amdhsa_kernel
	.section	.text._ZN7rocprim17ROCPRIM_400000_NS6detail17trampoline_kernelINS0_14default_configENS1_38merge_sort_block_merge_config_selectorIlNS0_10empty_typeEEEZZNS1_27merge_sort_block_merge_implIS3_PlPS5_jNS1_19radix_merge_compareILb1ELb0ElNS0_19identity_decomposerEEEEE10hipError_tT0_T1_T2_jT3_P12ihipStream_tbPNSt15iterator_traitsISE_E10value_typeEPNSK_ISF_E10value_typeEPSG_NS1_7vsmem_tEENKUlT_SE_SF_SG_E_clIS8_S8_S9_S9_EESD_ST_SE_SF_SG_EUlST_E_NS1_11comp_targetILNS1_3genE0ELNS1_11target_archE4294967295ELNS1_3gpuE0ELNS1_3repE0EEENS1_48merge_mergepath_partition_config_static_selectorELNS0_4arch9wavefront6targetE0EEEvSF_,"axG",@progbits,_ZN7rocprim17ROCPRIM_400000_NS6detail17trampoline_kernelINS0_14default_configENS1_38merge_sort_block_merge_config_selectorIlNS0_10empty_typeEEEZZNS1_27merge_sort_block_merge_implIS3_PlPS5_jNS1_19radix_merge_compareILb1ELb0ElNS0_19identity_decomposerEEEEE10hipError_tT0_T1_T2_jT3_P12ihipStream_tbPNSt15iterator_traitsISE_E10value_typeEPNSK_ISF_E10value_typeEPSG_NS1_7vsmem_tEENKUlT_SE_SF_SG_E_clIS8_S8_S9_S9_EESD_ST_SE_SF_SG_EUlST_E_NS1_11comp_targetILNS1_3genE0ELNS1_11target_archE4294967295ELNS1_3gpuE0ELNS1_3repE0EEENS1_48merge_mergepath_partition_config_static_selectorELNS0_4arch9wavefront6targetE0EEEvSF_,comdat
.Lfunc_end1014:
	.size	_ZN7rocprim17ROCPRIM_400000_NS6detail17trampoline_kernelINS0_14default_configENS1_38merge_sort_block_merge_config_selectorIlNS0_10empty_typeEEEZZNS1_27merge_sort_block_merge_implIS3_PlPS5_jNS1_19radix_merge_compareILb1ELb0ElNS0_19identity_decomposerEEEEE10hipError_tT0_T1_T2_jT3_P12ihipStream_tbPNSt15iterator_traitsISE_E10value_typeEPNSK_ISF_E10value_typeEPSG_NS1_7vsmem_tEENKUlT_SE_SF_SG_E_clIS8_S8_S9_S9_EESD_ST_SE_SF_SG_EUlST_E_NS1_11comp_targetILNS1_3genE0ELNS1_11target_archE4294967295ELNS1_3gpuE0ELNS1_3repE0EEENS1_48merge_mergepath_partition_config_static_selectorELNS0_4arch9wavefront6targetE0EEEvSF_, .Lfunc_end1014-_ZN7rocprim17ROCPRIM_400000_NS6detail17trampoline_kernelINS0_14default_configENS1_38merge_sort_block_merge_config_selectorIlNS0_10empty_typeEEEZZNS1_27merge_sort_block_merge_implIS3_PlPS5_jNS1_19radix_merge_compareILb1ELb0ElNS0_19identity_decomposerEEEEE10hipError_tT0_T1_T2_jT3_P12ihipStream_tbPNSt15iterator_traitsISE_E10value_typeEPNSK_ISF_E10value_typeEPSG_NS1_7vsmem_tEENKUlT_SE_SF_SG_E_clIS8_S8_S9_S9_EESD_ST_SE_SF_SG_EUlST_E_NS1_11comp_targetILNS1_3genE0ELNS1_11target_archE4294967295ELNS1_3gpuE0ELNS1_3repE0EEENS1_48merge_mergepath_partition_config_static_selectorELNS0_4arch9wavefront6targetE0EEEvSF_
                                        ; -- End function
	.set _ZN7rocprim17ROCPRIM_400000_NS6detail17trampoline_kernelINS0_14default_configENS1_38merge_sort_block_merge_config_selectorIlNS0_10empty_typeEEEZZNS1_27merge_sort_block_merge_implIS3_PlPS5_jNS1_19radix_merge_compareILb1ELb0ElNS0_19identity_decomposerEEEEE10hipError_tT0_T1_T2_jT3_P12ihipStream_tbPNSt15iterator_traitsISE_E10value_typeEPNSK_ISF_E10value_typeEPSG_NS1_7vsmem_tEENKUlT_SE_SF_SG_E_clIS8_S8_S9_S9_EESD_ST_SE_SF_SG_EUlST_E_NS1_11comp_targetILNS1_3genE0ELNS1_11target_archE4294967295ELNS1_3gpuE0ELNS1_3repE0EEENS1_48merge_mergepath_partition_config_static_selectorELNS0_4arch9wavefront6targetE0EEEvSF_.num_vgpr, 20
	.set _ZN7rocprim17ROCPRIM_400000_NS6detail17trampoline_kernelINS0_14default_configENS1_38merge_sort_block_merge_config_selectorIlNS0_10empty_typeEEEZZNS1_27merge_sort_block_merge_implIS3_PlPS5_jNS1_19radix_merge_compareILb1ELb0ElNS0_19identity_decomposerEEEEE10hipError_tT0_T1_T2_jT3_P12ihipStream_tbPNSt15iterator_traitsISE_E10value_typeEPNSK_ISF_E10value_typeEPSG_NS1_7vsmem_tEENKUlT_SE_SF_SG_E_clIS8_S8_S9_S9_EESD_ST_SE_SF_SG_EUlST_E_NS1_11comp_targetILNS1_3genE0ELNS1_11target_archE4294967295ELNS1_3gpuE0ELNS1_3repE0EEENS1_48merge_mergepath_partition_config_static_selectorELNS0_4arch9wavefront6targetE0EEEvSF_.num_agpr, 0
	.set _ZN7rocprim17ROCPRIM_400000_NS6detail17trampoline_kernelINS0_14default_configENS1_38merge_sort_block_merge_config_selectorIlNS0_10empty_typeEEEZZNS1_27merge_sort_block_merge_implIS3_PlPS5_jNS1_19radix_merge_compareILb1ELb0ElNS0_19identity_decomposerEEEEE10hipError_tT0_T1_T2_jT3_P12ihipStream_tbPNSt15iterator_traitsISE_E10value_typeEPNSK_ISF_E10value_typeEPSG_NS1_7vsmem_tEENKUlT_SE_SF_SG_E_clIS8_S8_S9_S9_EESD_ST_SE_SF_SG_EUlST_E_NS1_11comp_targetILNS1_3genE0ELNS1_11target_archE4294967295ELNS1_3gpuE0ELNS1_3repE0EEENS1_48merge_mergepath_partition_config_static_selectorELNS0_4arch9wavefront6targetE0EEEvSF_.numbered_sgpr, 6
	.set _ZN7rocprim17ROCPRIM_400000_NS6detail17trampoline_kernelINS0_14default_configENS1_38merge_sort_block_merge_config_selectorIlNS0_10empty_typeEEEZZNS1_27merge_sort_block_merge_implIS3_PlPS5_jNS1_19radix_merge_compareILb1ELb0ElNS0_19identity_decomposerEEEEE10hipError_tT0_T1_T2_jT3_P12ihipStream_tbPNSt15iterator_traitsISE_E10value_typeEPNSK_ISF_E10value_typeEPSG_NS1_7vsmem_tEENKUlT_SE_SF_SG_E_clIS8_S8_S9_S9_EESD_ST_SE_SF_SG_EUlST_E_NS1_11comp_targetILNS1_3genE0ELNS1_11target_archE4294967295ELNS1_3gpuE0ELNS1_3repE0EEENS1_48merge_mergepath_partition_config_static_selectorELNS0_4arch9wavefront6targetE0EEEvSF_.num_named_barrier, 0
	.set _ZN7rocprim17ROCPRIM_400000_NS6detail17trampoline_kernelINS0_14default_configENS1_38merge_sort_block_merge_config_selectorIlNS0_10empty_typeEEEZZNS1_27merge_sort_block_merge_implIS3_PlPS5_jNS1_19radix_merge_compareILb1ELb0ElNS0_19identity_decomposerEEEEE10hipError_tT0_T1_T2_jT3_P12ihipStream_tbPNSt15iterator_traitsISE_E10value_typeEPNSK_ISF_E10value_typeEPSG_NS1_7vsmem_tEENKUlT_SE_SF_SG_E_clIS8_S8_S9_S9_EESD_ST_SE_SF_SG_EUlST_E_NS1_11comp_targetILNS1_3genE0ELNS1_11target_archE4294967295ELNS1_3gpuE0ELNS1_3repE0EEENS1_48merge_mergepath_partition_config_static_selectorELNS0_4arch9wavefront6targetE0EEEvSF_.private_seg_size, 0
	.set _ZN7rocprim17ROCPRIM_400000_NS6detail17trampoline_kernelINS0_14default_configENS1_38merge_sort_block_merge_config_selectorIlNS0_10empty_typeEEEZZNS1_27merge_sort_block_merge_implIS3_PlPS5_jNS1_19radix_merge_compareILb1ELb0ElNS0_19identity_decomposerEEEEE10hipError_tT0_T1_T2_jT3_P12ihipStream_tbPNSt15iterator_traitsISE_E10value_typeEPNSK_ISF_E10value_typeEPSG_NS1_7vsmem_tEENKUlT_SE_SF_SG_E_clIS8_S8_S9_S9_EESD_ST_SE_SF_SG_EUlST_E_NS1_11comp_targetILNS1_3genE0ELNS1_11target_archE4294967295ELNS1_3gpuE0ELNS1_3repE0EEENS1_48merge_mergepath_partition_config_static_selectorELNS0_4arch9wavefront6targetE0EEEvSF_.uses_vcc, 1
	.set _ZN7rocprim17ROCPRIM_400000_NS6detail17trampoline_kernelINS0_14default_configENS1_38merge_sort_block_merge_config_selectorIlNS0_10empty_typeEEEZZNS1_27merge_sort_block_merge_implIS3_PlPS5_jNS1_19radix_merge_compareILb1ELb0ElNS0_19identity_decomposerEEEEE10hipError_tT0_T1_T2_jT3_P12ihipStream_tbPNSt15iterator_traitsISE_E10value_typeEPNSK_ISF_E10value_typeEPSG_NS1_7vsmem_tEENKUlT_SE_SF_SG_E_clIS8_S8_S9_S9_EESD_ST_SE_SF_SG_EUlST_E_NS1_11comp_targetILNS1_3genE0ELNS1_11target_archE4294967295ELNS1_3gpuE0ELNS1_3repE0EEENS1_48merge_mergepath_partition_config_static_selectorELNS0_4arch9wavefront6targetE0EEEvSF_.uses_flat_scratch, 0
	.set _ZN7rocprim17ROCPRIM_400000_NS6detail17trampoline_kernelINS0_14default_configENS1_38merge_sort_block_merge_config_selectorIlNS0_10empty_typeEEEZZNS1_27merge_sort_block_merge_implIS3_PlPS5_jNS1_19radix_merge_compareILb1ELb0ElNS0_19identity_decomposerEEEEE10hipError_tT0_T1_T2_jT3_P12ihipStream_tbPNSt15iterator_traitsISE_E10value_typeEPNSK_ISF_E10value_typeEPSG_NS1_7vsmem_tEENKUlT_SE_SF_SG_E_clIS8_S8_S9_S9_EESD_ST_SE_SF_SG_EUlST_E_NS1_11comp_targetILNS1_3genE0ELNS1_11target_archE4294967295ELNS1_3gpuE0ELNS1_3repE0EEENS1_48merge_mergepath_partition_config_static_selectorELNS0_4arch9wavefront6targetE0EEEvSF_.has_dyn_sized_stack, 0
	.set _ZN7rocprim17ROCPRIM_400000_NS6detail17trampoline_kernelINS0_14default_configENS1_38merge_sort_block_merge_config_selectorIlNS0_10empty_typeEEEZZNS1_27merge_sort_block_merge_implIS3_PlPS5_jNS1_19radix_merge_compareILb1ELb0ElNS0_19identity_decomposerEEEEE10hipError_tT0_T1_T2_jT3_P12ihipStream_tbPNSt15iterator_traitsISE_E10value_typeEPNSK_ISF_E10value_typeEPSG_NS1_7vsmem_tEENKUlT_SE_SF_SG_E_clIS8_S8_S9_S9_EESD_ST_SE_SF_SG_EUlST_E_NS1_11comp_targetILNS1_3genE0ELNS1_11target_archE4294967295ELNS1_3gpuE0ELNS1_3repE0EEENS1_48merge_mergepath_partition_config_static_selectorELNS0_4arch9wavefront6targetE0EEEvSF_.has_recursion, 0
	.set _ZN7rocprim17ROCPRIM_400000_NS6detail17trampoline_kernelINS0_14default_configENS1_38merge_sort_block_merge_config_selectorIlNS0_10empty_typeEEEZZNS1_27merge_sort_block_merge_implIS3_PlPS5_jNS1_19radix_merge_compareILb1ELb0ElNS0_19identity_decomposerEEEEE10hipError_tT0_T1_T2_jT3_P12ihipStream_tbPNSt15iterator_traitsISE_E10value_typeEPNSK_ISF_E10value_typeEPSG_NS1_7vsmem_tEENKUlT_SE_SF_SG_E_clIS8_S8_S9_S9_EESD_ST_SE_SF_SG_EUlST_E_NS1_11comp_targetILNS1_3genE0ELNS1_11target_archE4294967295ELNS1_3gpuE0ELNS1_3repE0EEENS1_48merge_mergepath_partition_config_static_selectorELNS0_4arch9wavefront6targetE0EEEvSF_.has_indirect_call, 0
	.section	.AMDGPU.csdata,"",@progbits
; Kernel info:
; codeLenInByte = 428
; TotalNumSgprs: 8
; NumVgprs: 20
; ScratchSize: 0
; MemoryBound: 0
; FloatMode: 240
; IeeeMode: 1
; LDSByteSize: 0 bytes/workgroup (compile time only)
; SGPRBlocks: 0
; VGPRBlocks: 1
; NumSGPRsForWavesPerEU: 8
; NumVGPRsForWavesPerEU: 20
; NamedBarCnt: 0
; Occupancy: 16
; WaveLimiterHint : 0
; COMPUTE_PGM_RSRC2:SCRATCH_EN: 0
; COMPUTE_PGM_RSRC2:USER_SGPR: 2
; COMPUTE_PGM_RSRC2:TRAP_HANDLER: 0
; COMPUTE_PGM_RSRC2:TGID_X_EN: 1
; COMPUTE_PGM_RSRC2:TGID_Y_EN: 0
; COMPUTE_PGM_RSRC2:TGID_Z_EN: 0
; COMPUTE_PGM_RSRC2:TIDIG_COMP_CNT: 0
	.section	.text._ZN7rocprim17ROCPRIM_400000_NS6detail17trampoline_kernelINS0_14default_configENS1_38merge_sort_block_merge_config_selectorIlNS0_10empty_typeEEEZZNS1_27merge_sort_block_merge_implIS3_PlPS5_jNS1_19radix_merge_compareILb1ELb0ElNS0_19identity_decomposerEEEEE10hipError_tT0_T1_T2_jT3_P12ihipStream_tbPNSt15iterator_traitsISE_E10value_typeEPNSK_ISF_E10value_typeEPSG_NS1_7vsmem_tEENKUlT_SE_SF_SG_E_clIS8_S8_S9_S9_EESD_ST_SE_SF_SG_EUlST_E_NS1_11comp_targetILNS1_3genE10ELNS1_11target_archE1201ELNS1_3gpuE5ELNS1_3repE0EEENS1_48merge_mergepath_partition_config_static_selectorELNS0_4arch9wavefront6targetE0EEEvSF_,"axG",@progbits,_ZN7rocprim17ROCPRIM_400000_NS6detail17trampoline_kernelINS0_14default_configENS1_38merge_sort_block_merge_config_selectorIlNS0_10empty_typeEEEZZNS1_27merge_sort_block_merge_implIS3_PlPS5_jNS1_19radix_merge_compareILb1ELb0ElNS0_19identity_decomposerEEEEE10hipError_tT0_T1_T2_jT3_P12ihipStream_tbPNSt15iterator_traitsISE_E10value_typeEPNSK_ISF_E10value_typeEPSG_NS1_7vsmem_tEENKUlT_SE_SF_SG_E_clIS8_S8_S9_S9_EESD_ST_SE_SF_SG_EUlST_E_NS1_11comp_targetILNS1_3genE10ELNS1_11target_archE1201ELNS1_3gpuE5ELNS1_3repE0EEENS1_48merge_mergepath_partition_config_static_selectorELNS0_4arch9wavefront6targetE0EEEvSF_,comdat
	.protected	_ZN7rocprim17ROCPRIM_400000_NS6detail17trampoline_kernelINS0_14default_configENS1_38merge_sort_block_merge_config_selectorIlNS0_10empty_typeEEEZZNS1_27merge_sort_block_merge_implIS3_PlPS5_jNS1_19radix_merge_compareILb1ELb0ElNS0_19identity_decomposerEEEEE10hipError_tT0_T1_T2_jT3_P12ihipStream_tbPNSt15iterator_traitsISE_E10value_typeEPNSK_ISF_E10value_typeEPSG_NS1_7vsmem_tEENKUlT_SE_SF_SG_E_clIS8_S8_S9_S9_EESD_ST_SE_SF_SG_EUlST_E_NS1_11comp_targetILNS1_3genE10ELNS1_11target_archE1201ELNS1_3gpuE5ELNS1_3repE0EEENS1_48merge_mergepath_partition_config_static_selectorELNS0_4arch9wavefront6targetE0EEEvSF_ ; -- Begin function _ZN7rocprim17ROCPRIM_400000_NS6detail17trampoline_kernelINS0_14default_configENS1_38merge_sort_block_merge_config_selectorIlNS0_10empty_typeEEEZZNS1_27merge_sort_block_merge_implIS3_PlPS5_jNS1_19radix_merge_compareILb1ELb0ElNS0_19identity_decomposerEEEEE10hipError_tT0_T1_T2_jT3_P12ihipStream_tbPNSt15iterator_traitsISE_E10value_typeEPNSK_ISF_E10value_typeEPSG_NS1_7vsmem_tEENKUlT_SE_SF_SG_E_clIS8_S8_S9_S9_EESD_ST_SE_SF_SG_EUlST_E_NS1_11comp_targetILNS1_3genE10ELNS1_11target_archE1201ELNS1_3gpuE5ELNS1_3repE0EEENS1_48merge_mergepath_partition_config_static_selectorELNS0_4arch9wavefront6targetE0EEEvSF_
	.globl	_ZN7rocprim17ROCPRIM_400000_NS6detail17trampoline_kernelINS0_14default_configENS1_38merge_sort_block_merge_config_selectorIlNS0_10empty_typeEEEZZNS1_27merge_sort_block_merge_implIS3_PlPS5_jNS1_19radix_merge_compareILb1ELb0ElNS0_19identity_decomposerEEEEE10hipError_tT0_T1_T2_jT3_P12ihipStream_tbPNSt15iterator_traitsISE_E10value_typeEPNSK_ISF_E10value_typeEPSG_NS1_7vsmem_tEENKUlT_SE_SF_SG_E_clIS8_S8_S9_S9_EESD_ST_SE_SF_SG_EUlST_E_NS1_11comp_targetILNS1_3genE10ELNS1_11target_archE1201ELNS1_3gpuE5ELNS1_3repE0EEENS1_48merge_mergepath_partition_config_static_selectorELNS0_4arch9wavefront6targetE0EEEvSF_
	.p2align	8
	.type	_ZN7rocprim17ROCPRIM_400000_NS6detail17trampoline_kernelINS0_14default_configENS1_38merge_sort_block_merge_config_selectorIlNS0_10empty_typeEEEZZNS1_27merge_sort_block_merge_implIS3_PlPS5_jNS1_19radix_merge_compareILb1ELb0ElNS0_19identity_decomposerEEEEE10hipError_tT0_T1_T2_jT3_P12ihipStream_tbPNSt15iterator_traitsISE_E10value_typeEPNSK_ISF_E10value_typeEPSG_NS1_7vsmem_tEENKUlT_SE_SF_SG_E_clIS8_S8_S9_S9_EESD_ST_SE_SF_SG_EUlST_E_NS1_11comp_targetILNS1_3genE10ELNS1_11target_archE1201ELNS1_3gpuE5ELNS1_3repE0EEENS1_48merge_mergepath_partition_config_static_selectorELNS0_4arch9wavefront6targetE0EEEvSF_,@function
_ZN7rocprim17ROCPRIM_400000_NS6detail17trampoline_kernelINS0_14default_configENS1_38merge_sort_block_merge_config_selectorIlNS0_10empty_typeEEEZZNS1_27merge_sort_block_merge_implIS3_PlPS5_jNS1_19radix_merge_compareILb1ELb0ElNS0_19identity_decomposerEEEEE10hipError_tT0_T1_T2_jT3_P12ihipStream_tbPNSt15iterator_traitsISE_E10value_typeEPNSK_ISF_E10value_typeEPSG_NS1_7vsmem_tEENKUlT_SE_SF_SG_E_clIS8_S8_S9_S9_EESD_ST_SE_SF_SG_EUlST_E_NS1_11comp_targetILNS1_3genE10ELNS1_11target_archE1201ELNS1_3gpuE5ELNS1_3repE0EEENS1_48merge_mergepath_partition_config_static_selectorELNS0_4arch9wavefront6targetE0EEEvSF_: ; @_ZN7rocprim17ROCPRIM_400000_NS6detail17trampoline_kernelINS0_14default_configENS1_38merge_sort_block_merge_config_selectorIlNS0_10empty_typeEEEZZNS1_27merge_sort_block_merge_implIS3_PlPS5_jNS1_19radix_merge_compareILb1ELb0ElNS0_19identity_decomposerEEEEE10hipError_tT0_T1_T2_jT3_P12ihipStream_tbPNSt15iterator_traitsISE_E10value_typeEPNSK_ISF_E10value_typeEPSG_NS1_7vsmem_tEENKUlT_SE_SF_SG_E_clIS8_S8_S9_S9_EESD_ST_SE_SF_SG_EUlST_E_NS1_11comp_targetILNS1_3genE10ELNS1_11target_archE1201ELNS1_3gpuE5ELNS1_3repE0EEENS1_48merge_mergepath_partition_config_static_selectorELNS0_4arch9wavefront6targetE0EEEvSF_
; %bb.0:
	.section	.rodata,"a",@progbits
	.p2align	6, 0x0
	.amdhsa_kernel _ZN7rocprim17ROCPRIM_400000_NS6detail17trampoline_kernelINS0_14default_configENS1_38merge_sort_block_merge_config_selectorIlNS0_10empty_typeEEEZZNS1_27merge_sort_block_merge_implIS3_PlPS5_jNS1_19radix_merge_compareILb1ELb0ElNS0_19identity_decomposerEEEEE10hipError_tT0_T1_T2_jT3_P12ihipStream_tbPNSt15iterator_traitsISE_E10value_typeEPNSK_ISF_E10value_typeEPSG_NS1_7vsmem_tEENKUlT_SE_SF_SG_E_clIS8_S8_S9_S9_EESD_ST_SE_SF_SG_EUlST_E_NS1_11comp_targetILNS1_3genE10ELNS1_11target_archE1201ELNS1_3gpuE5ELNS1_3repE0EEENS1_48merge_mergepath_partition_config_static_selectorELNS0_4arch9wavefront6targetE0EEEvSF_
		.amdhsa_group_segment_fixed_size 0
		.amdhsa_private_segment_fixed_size 0
		.amdhsa_kernarg_size 40
		.amdhsa_user_sgpr_count 2
		.amdhsa_user_sgpr_dispatch_ptr 0
		.amdhsa_user_sgpr_queue_ptr 0
		.amdhsa_user_sgpr_kernarg_segment_ptr 1
		.amdhsa_user_sgpr_dispatch_id 0
		.amdhsa_user_sgpr_kernarg_preload_length 0
		.amdhsa_user_sgpr_kernarg_preload_offset 0
		.amdhsa_user_sgpr_private_segment_size 0
		.amdhsa_wavefront_size32 1
		.amdhsa_uses_dynamic_stack 0
		.amdhsa_enable_private_segment 0
		.amdhsa_system_sgpr_workgroup_id_x 1
		.amdhsa_system_sgpr_workgroup_id_y 0
		.amdhsa_system_sgpr_workgroup_id_z 0
		.amdhsa_system_sgpr_workgroup_info 0
		.amdhsa_system_vgpr_workitem_id 0
		.amdhsa_next_free_vgpr 1
		.amdhsa_next_free_sgpr 1
		.amdhsa_named_barrier_count 0
		.amdhsa_reserve_vcc 0
		.amdhsa_float_round_mode_32 0
		.amdhsa_float_round_mode_16_64 0
		.amdhsa_float_denorm_mode_32 3
		.amdhsa_float_denorm_mode_16_64 3
		.amdhsa_fp16_overflow 0
		.amdhsa_memory_ordered 1
		.amdhsa_forward_progress 1
		.amdhsa_inst_pref_size 0
		.amdhsa_round_robin_scheduling 0
		.amdhsa_exception_fp_ieee_invalid_op 0
		.amdhsa_exception_fp_denorm_src 0
		.amdhsa_exception_fp_ieee_div_zero 0
		.amdhsa_exception_fp_ieee_overflow 0
		.amdhsa_exception_fp_ieee_underflow 0
		.amdhsa_exception_fp_ieee_inexact 0
		.amdhsa_exception_int_div_zero 0
	.end_amdhsa_kernel
	.section	.text._ZN7rocprim17ROCPRIM_400000_NS6detail17trampoline_kernelINS0_14default_configENS1_38merge_sort_block_merge_config_selectorIlNS0_10empty_typeEEEZZNS1_27merge_sort_block_merge_implIS3_PlPS5_jNS1_19radix_merge_compareILb1ELb0ElNS0_19identity_decomposerEEEEE10hipError_tT0_T1_T2_jT3_P12ihipStream_tbPNSt15iterator_traitsISE_E10value_typeEPNSK_ISF_E10value_typeEPSG_NS1_7vsmem_tEENKUlT_SE_SF_SG_E_clIS8_S8_S9_S9_EESD_ST_SE_SF_SG_EUlST_E_NS1_11comp_targetILNS1_3genE10ELNS1_11target_archE1201ELNS1_3gpuE5ELNS1_3repE0EEENS1_48merge_mergepath_partition_config_static_selectorELNS0_4arch9wavefront6targetE0EEEvSF_,"axG",@progbits,_ZN7rocprim17ROCPRIM_400000_NS6detail17trampoline_kernelINS0_14default_configENS1_38merge_sort_block_merge_config_selectorIlNS0_10empty_typeEEEZZNS1_27merge_sort_block_merge_implIS3_PlPS5_jNS1_19radix_merge_compareILb1ELb0ElNS0_19identity_decomposerEEEEE10hipError_tT0_T1_T2_jT3_P12ihipStream_tbPNSt15iterator_traitsISE_E10value_typeEPNSK_ISF_E10value_typeEPSG_NS1_7vsmem_tEENKUlT_SE_SF_SG_E_clIS8_S8_S9_S9_EESD_ST_SE_SF_SG_EUlST_E_NS1_11comp_targetILNS1_3genE10ELNS1_11target_archE1201ELNS1_3gpuE5ELNS1_3repE0EEENS1_48merge_mergepath_partition_config_static_selectorELNS0_4arch9wavefront6targetE0EEEvSF_,comdat
.Lfunc_end1015:
	.size	_ZN7rocprim17ROCPRIM_400000_NS6detail17trampoline_kernelINS0_14default_configENS1_38merge_sort_block_merge_config_selectorIlNS0_10empty_typeEEEZZNS1_27merge_sort_block_merge_implIS3_PlPS5_jNS1_19radix_merge_compareILb1ELb0ElNS0_19identity_decomposerEEEEE10hipError_tT0_T1_T2_jT3_P12ihipStream_tbPNSt15iterator_traitsISE_E10value_typeEPNSK_ISF_E10value_typeEPSG_NS1_7vsmem_tEENKUlT_SE_SF_SG_E_clIS8_S8_S9_S9_EESD_ST_SE_SF_SG_EUlST_E_NS1_11comp_targetILNS1_3genE10ELNS1_11target_archE1201ELNS1_3gpuE5ELNS1_3repE0EEENS1_48merge_mergepath_partition_config_static_selectorELNS0_4arch9wavefront6targetE0EEEvSF_, .Lfunc_end1015-_ZN7rocprim17ROCPRIM_400000_NS6detail17trampoline_kernelINS0_14default_configENS1_38merge_sort_block_merge_config_selectorIlNS0_10empty_typeEEEZZNS1_27merge_sort_block_merge_implIS3_PlPS5_jNS1_19radix_merge_compareILb1ELb0ElNS0_19identity_decomposerEEEEE10hipError_tT0_T1_T2_jT3_P12ihipStream_tbPNSt15iterator_traitsISE_E10value_typeEPNSK_ISF_E10value_typeEPSG_NS1_7vsmem_tEENKUlT_SE_SF_SG_E_clIS8_S8_S9_S9_EESD_ST_SE_SF_SG_EUlST_E_NS1_11comp_targetILNS1_3genE10ELNS1_11target_archE1201ELNS1_3gpuE5ELNS1_3repE0EEENS1_48merge_mergepath_partition_config_static_selectorELNS0_4arch9wavefront6targetE0EEEvSF_
                                        ; -- End function
	.set _ZN7rocprim17ROCPRIM_400000_NS6detail17trampoline_kernelINS0_14default_configENS1_38merge_sort_block_merge_config_selectorIlNS0_10empty_typeEEEZZNS1_27merge_sort_block_merge_implIS3_PlPS5_jNS1_19radix_merge_compareILb1ELb0ElNS0_19identity_decomposerEEEEE10hipError_tT0_T1_T2_jT3_P12ihipStream_tbPNSt15iterator_traitsISE_E10value_typeEPNSK_ISF_E10value_typeEPSG_NS1_7vsmem_tEENKUlT_SE_SF_SG_E_clIS8_S8_S9_S9_EESD_ST_SE_SF_SG_EUlST_E_NS1_11comp_targetILNS1_3genE10ELNS1_11target_archE1201ELNS1_3gpuE5ELNS1_3repE0EEENS1_48merge_mergepath_partition_config_static_selectorELNS0_4arch9wavefront6targetE0EEEvSF_.num_vgpr, 0
	.set _ZN7rocprim17ROCPRIM_400000_NS6detail17trampoline_kernelINS0_14default_configENS1_38merge_sort_block_merge_config_selectorIlNS0_10empty_typeEEEZZNS1_27merge_sort_block_merge_implIS3_PlPS5_jNS1_19radix_merge_compareILb1ELb0ElNS0_19identity_decomposerEEEEE10hipError_tT0_T1_T2_jT3_P12ihipStream_tbPNSt15iterator_traitsISE_E10value_typeEPNSK_ISF_E10value_typeEPSG_NS1_7vsmem_tEENKUlT_SE_SF_SG_E_clIS8_S8_S9_S9_EESD_ST_SE_SF_SG_EUlST_E_NS1_11comp_targetILNS1_3genE10ELNS1_11target_archE1201ELNS1_3gpuE5ELNS1_3repE0EEENS1_48merge_mergepath_partition_config_static_selectorELNS0_4arch9wavefront6targetE0EEEvSF_.num_agpr, 0
	.set _ZN7rocprim17ROCPRIM_400000_NS6detail17trampoline_kernelINS0_14default_configENS1_38merge_sort_block_merge_config_selectorIlNS0_10empty_typeEEEZZNS1_27merge_sort_block_merge_implIS3_PlPS5_jNS1_19radix_merge_compareILb1ELb0ElNS0_19identity_decomposerEEEEE10hipError_tT0_T1_T2_jT3_P12ihipStream_tbPNSt15iterator_traitsISE_E10value_typeEPNSK_ISF_E10value_typeEPSG_NS1_7vsmem_tEENKUlT_SE_SF_SG_E_clIS8_S8_S9_S9_EESD_ST_SE_SF_SG_EUlST_E_NS1_11comp_targetILNS1_3genE10ELNS1_11target_archE1201ELNS1_3gpuE5ELNS1_3repE0EEENS1_48merge_mergepath_partition_config_static_selectorELNS0_4arch9wavefront6targetE0EEEvSF_.numbered_sgpr, 0
	.set _ZN7rocprim17ROCPRIM_400000_NS6detail17trampoline_kernelINS0_14default_configENS1_38merge_sort_block_merge_config_selectorIlNS0_10empty_typeEEEZZNS1_27merge_sort_block_merge_implIS3_PlPS5_jNS1_19radix_merge_compareILb1ELb0ElNS0_19identity_decomposerEEEEE10hipError_tT0_T1_T2_jT3_P12ihipStream_tbPNSt15iterator_traitsISE_E10value_typeEPNSK_ISF_E10value_typeEPSG_NS1_7vsmem_tEENKUlT_SE_SF_SG_E_clIS8_S8_S9_S9_EESD_ST_SE_SF_SG_EUlST_E_NS1_11comp_targetILNS1_3genE10ELNS1_11target_archE1201ELNS1_3gpuE5ELNS1_3repE0EEENS1_48merge_mergepath_partition_config_static_selectorELNS0_4arch9wavefront6targetE0EEEvSF_.num_named_barrier, 0
	.set _ZN7rocprim17ROCPRIM_400000_NS6detail17trampoline_kernelINS0_14default_configENS1_38merge_sort_block_merge_config_selectorIlNS0_10empty_typeEEEZZNS1_27merge_sort_block_merge_implIS3_PlPS5_jNS1_19radix_merge_compareILb1ELb0ElNS0_19identity_decomposerEEEEE10hipError_tT0_T1_T2_jT3_P12ihipStream_tbPNSt15iterator_traitsISE_E10value_typeEPNSK_ISF_E10value_typeEPSG_NS1_7vsmem_tEENKUlT_SE_SF_SG_E_clIS8_S8_S9_S9_EESD_ST_SE_SF_SG_EUlST_E_NS1_11comp_targetILNS1_3genE10ELNS1_11target_archE1201ELNS1_3gpuE5ELNS1_3repE0EEENS1_48merge_mergepath_partition_config_static_selectorELNS0_4arch9wavefront6targetE0EEEvSF_.private_seg_size, 0
	.set _ZN7rocprim17ROCPRIM_400000_NS6detail17trampoline_kernelINS0_14default_configENS1_38merge_sort_block_merge_config_selectorIlNS0_10empty_typeEEEZZNS1_27merge_sort_block_merge_implIS3_PlPS5_jNS1_19radix_merge_compareILb1ELb0ElNS0_19identity_decomposerEEEEE10hipError_tT0_T1_T2_jT3_P12ihipStream_tbPNSt15iterator_traitsISE_E10value_typeEPNSK_ISF_E10value_typeEPSG_NS1_7vsmem_tEENKUlT_SE_SF_SG_E_clIS8_S8_S9_S9_EESD_ST_SE_SF_SG_EUlST_E_NS1_11comp_targetILNS1_3genE10ELNS1_11target_archE1201ELNS1_3gpuE5ELNS1_3repE0EEENS1_48merge_mergepath_partition_config_static_selectorELNS0_4arch9wavefront6targetE0EEEvSF_.uses_vcc, 0
	.set _ZN7rocprim17ROCPRIM_400000_NS6detail17trampoline_kernelINS0_14default_configENS1_38merge_sort_block_merge_config_selectorIlNS0_10empty_typeEEEZZNS1_27merge_sort_block_merge_implIS3_PlPS5_jNS1_19radix_merge_compareILb1ELb0ElNS0_19identity_decomposerEEEEE10hipError_tT0_T1_T2_jT3_P12ihipStream_tbPNSt15iterator_traitsISE_E10value_typeEPNSK_ISF_E10value_typeEPSG_NS1_7vsmem_tEENKUlT_SE_SF_SG_E_clIS8_S8_S9_S9_EESD_ST_SE_SF_SG_EUlST_E_NS1_11comp_targetILNS1_3genE10ELNS1_11target_archE1201ELNS1_3gpuE5ELNS1_3repE0EEENS1_48merge_mergepath_partition_config_static_selectorELNS0_4arch9wavefront6targetE0EEEvSF_.uses_flat_scratch, 0
	.set _ZN7rocprim17ROCPRIM_400000_NS6detail17trampoline_kernelINS0_14default_configENS1_38merge_sort_block_merge_config_selectorIlNS0_10empty_typeEEEZZNS1_27merge_sort_block_merge_implIS3_PlPS5_jNS1_19radix_merge_compareILb1ELb0ElNS0_19identity_decomposerEEEEE10hipError_tT0_T1_T2_jT3_P12ihipStream_tbPNSt15iterator_traitsISE_E10value_typeEPNSK_ISF_E10value_typeEPSG_NS1_7vsmem_tEENKUlT_SE_SF_SG_E_clIS8_S8_S9_S9_EESD_ST_SE_SF_SG_EUlST_E_NS1_11comp_targetILNS1_3genE10ELNS1_11target_archE1201ELNS1_3gpuE5ELNS1_3repE0EEENS1_48merge_mergepath_partition_config_static_selectorELNS0_4arch9wavefront6targetE0EEEvSF_.has_dyn_sized_stack, 0
	.set _ZN7rocprim17ROCPRIM_400000_NS6detail17trampoline_kernelINS0_14default_configENS1_38merge_sort_block_merge_config_selectorIlNS0_10empty_typeEEEZZNS1_27merge_sort_block_merge_implIS3_PlPS5_jNS1_19radix_merge_compareILb1ELb0ElNS0_19identity_decomposerEEEEE10hipError_tT0_T1_T2_jT3_P12ihipStream_tbPNSt15iterator_traitsISE_E10value_typeEPNSK_ISF_E10value_typeEPSG_NS1_7vsmem_tEENKUlT_SE_SF_SG_E_clIS8_S8_S9_S9_EESD_ST_SE_SF_SG_EUlST_E_NS1_11comp_targetILNS1_3genE10ELNS1_11target_archE1201ELNS1_3gpuE5ELNS1_3repE0EEENS1_48merge_mergepath_partition_config_static_selectorELNS0_4arch9wavefront6targetE0EEEvSF_.has_recursion, 0
	.set _ZN7rocprim17ROCPRIM_400000_NS6detail17trampoline_kernelINS0_14default_configENS1_38merge_sort_block_merge_config_selectorIlNS0_10empty_typeEEEZZNS1_27merge_sort_block_merge_implIS3_PlPS5_jNS1_19radix_merge_compareILb1ELb0ElNS0_19identity_decomposerEEEEE10hipError_tT0_T1_T2_jT3_P12ihipStream_tbPNSt15iterator_traitsISE_E10value_typeEPNSK_ISF_E10value_typeEPSG_NS1_7vsmem_tEENKUlT_SE_SF_SG_E_clIS8_S8_S9_S9_EESD_ST_SE_SF_SG_EUlST_E_NS1_11comp_targetILNS1_3genE10ELNS1_11target_archE1201ELNS1_3gpuE5ELNS1_3repE0EEENS1_48merge_mergepath_partition_config_static_selectorELNS0_4arch9wavefront6targetE0EEEvSF_.has_indirect_call, 0
	.section	.AMDGPU.csdata,"",@progbits
; Kernel info:
; codeLenInByte = 0
; TotalNumSgprs: 0
; NumVgprs: 0
; ScratchSize: 0
; MemoryBound: 0
; FloatMode: 240
; IeeeMode: 1
; LDSByteSize: 0 bytes/workgroup (compile time only)
; SGPRBlocks: 0
; VGPRBlocks: 0
; NumSGPRsForWavesPerEU: 1
; NumVGPRsForWavesPerEU: 1
; NamedBarCnt: 0
; Occupancy: 16
; WaveLimiterHint : 0
; COMPUTE_PGM_RSRC2:SCRATCH_EN: 0
; COMPUTE_PGM_RSRC2:USER_SGPR: 2
; COMPUTE_PGM_RSRC2:TRAP_HANDLER: 0
; COMPUTE_PGM_RSRC2:TGID_X_EN: 1
; COMPUTE_PGM_RSRC2:TGID_Y_EN: 0
; COMPUTE_PGM_RSRC2:TGID_Z_EN: 0
; COMPUTE_PGM_RSRC2:TIDIG_COMP_CNT: 0
	.section	.text._ZN7rocprim17ROCPRIM_400000_NS6detail17trampoline_kernelINS0_14default_configENS1_38merge_sort_block_merge_config_selectorIlNS0_10empty_typeEEEZZNS1_27merge_sort_block_merge_implIS3_PlPS5_jNS1_19radix_merge_compareILb1ELb0ElNS0_19identity_decomposerEEEEE10hipError_tT0_T1_T2_jT3_P12ihipStream_tbPNSt15iterator_traitsISE_E10value_typeEPNSK_ISF_E10value_typeEPSG_NS1_7vsmem_tEENKUlT_SE_SF_SG_E_clIS8_S8_S9_S9_EESD_ST_SE_SF_SG_EUlST_E_NS1_11comp_targetILNS1_3genE5ELNS1_11target_archE942ELNS1_3gpuE9ELNS1_3repE0EEENS1_48merge_mergepath_partition_config_static_selectorELNS0_4arch9wavefront6targetE0EEEvSF_,"axG",@progbits,_ZN7rocprim17ROCPRIM_400000_NS6detail17trampoline_kernelINS0_14default_configENS1_38merge_sort_block_merge_config_selectorIlNS0_10empty_typeEEEZZNS1_27merge_sort_block_merge_implIS3_PlPS5_jNS1_19radix_merge_compareILb1ELb0ElNS0_19identity_decomposerEEEEE10hipError_tT0_T1_T2_jT3_P12ihipStream_tbPNSt15iterator_traitsISE_E10value_typeEPNSK_ISF_E10value_typeEPSG_NS1_7vsmem_tEENKUlT_SE_SF_SG_E_clIS8_S8_S9_S9_EESD_ST_SE_SF_SG_EUlST_E_NS1_11comp_targetILNS1_3genE5ELNS1_11target_archE942ELNS1_3gpuE9ELNS1_3repE0EEENS1_48merge_mergepath_partition_config_static_selectorELNS0_4arch9wavefront6targetE0EEEvSF_,comdat
	.protected	_ZN7rocprim17ROCPRIM_400000_NS6detail17trampoline_kernelINS0_14default_configENS1_38merge_sort_block_merge_config_selectorIlNS0_10empty_typeEEEZZNS1_27merge_sort_block_merge_implIS3_PlPS5_jNS1_19radix_merge_compareILb1ELb0ElNS0_19identity_decomposerEEEEE10hipError_tT0_T1_T2_jT3_P12ihipStream_tbPNSt15iterator_traitsISE_E10value_typeEPNSK_ISF_E10value_typeEPSG_NS1_7vsmem_tEENKUlT_SE_SF_SG_E_clIS8_S8_S9_S9_EESD_ST_SE_SF_SG_EUlST_E_NS1_11comp_targetILNS1_3genE5ELNS1_11target_archE942ELNS1_3gpuE9ELNS1_3repE0EEENS1_48merge_mergepath_partition_config_static_selectorELNS0_4arch9wavefront6targetE0EEEvSF_ ; -- Begin function _ZN7rocprim17ROCPRIM_400000_NS6detail17trampoline_kernelINS0_14default_configENS1_38merge_sort_block_merge_config_selectorIlNS0_10empty_typeEEEZZNS1_27merge_sort_block_merge_implIS3_PlPS5_jNS1_19radix_merge_compareILb1ELb0ElNS0_19identity_decomposerEEEEE10hipError_tT0_T1_T2_jT3_P12ihipStream_tbPNSt15iterator_traitsISE_E10value_typeEPNSK_ISF_E10value_typeEPSG_NS1_7vsmem_tEENKUlT_SE_SF_SG_E_clIS8_S8_S9_S9_EESD_ST_SE_SF_SG_EUlST_E_NS1_11comp_targetILNS1_3genE5ELNS1_11target_archE942ELNS1_3gpuE9ELNS1_3repE0EEENS1_48merge_mergepath_partition_config_static_selectorELNS0_4arch9wavefront6targetE0EEEvSF_
	.globl	_ZN7rocprim17ROCPRIM_400000_NS6detail17trampoline_kernelINS0_14default_configENS1_38merge_sort_block_merge_config_selectorIlNS0_10empty_typeEEEZZNS1_27merge_sort_block_merge_implIS3_PlPS5_jNS1_19radix_merge_compareILb1ELb0ElNS0_19identity_decomposerEEEEE10hipError_tT0_T1_T2_jT3_P12ihipStream_tbPNSt15iterator_traitsISE_E10value_typeEPNSK_ISF_E10value_typeEPSG_NS1_7vsmem_tEENKUlT_SE_SF_SG_E_clIS8_S8_S9_S9_EESD_ST_SE_SF_SG_EUlST_E_NS1_11comp_targetILNS1_3genE5ELNS1_11target_archE942ELNS1_3gpuE9ELNS1_3repE0EEENS1_48merge_mergepath_partition_config_static_selectorELNS0_4arch9wavefront6targetE0EEEvSF_
	.p2align	8
	.type	_ZN7rocprim17ROCPRIM_400000_NS6detail17trampoline_kernelINS0_14default_configENS1_38merge_sort_block_merge_config_selectorIlNS0_10empty_typeEEEZZNS1_27merge_sort_block_merge_implIS3_PlPS5_jNS1_19radix_merge_compareILb1ELb0ElNS0_19identity_decomposerEEEEE10hipError_tT0_T1_T2_jT3_P12ihipStream_tbPNSt15iterator_traitsISE_E10value_typeEPNSK_ISF_E10value_typeEPSG_NS1_7vsmem_tEENKUlT_SE_SF_SG_E_clIS8_S8_S9_S9_EESD_ST_SE_SF_SG_EUlST_E_NS1_11comp_targetILNS1_3genE5ELNS1_11target_archE942ELNS1_3gpuE9ELNS1_3repE0EEENS1_48merge_mergepath_partition_config_static_selectorELNS0_4arch9wavefront6targetE0EEEvSF_,@function
_ZN7rocprim17ROCPRIM_400000_NS6detail17trampoline_kernelINS0_14default_configENS1_38merge_sort_block_merge_config_selectorIlNS0_10empty_typeEEEZZNS1_27merge_sort_block_merge_implIS3_PlPS5_jNS1_19radix_merge_compareILb1ELb0ElNS0_19identity_decomposerEEEEE10hipError_tT0_T1_T2_jT3_P12ihipStream_tbPNSt15iterator_traitsISE_E10value_typeEPNSK_ISF_E10value_typeEPSG_NS1_7vsmem_tEENKUlT_SE_SF_SG_E_clIS8_S8_S9_S9_EESD_ST_SE_SF_SG_EUlST_E_NS1_11comp_targetILNS1_3genE5ELNS1_11target_archE942ELNS1_3gpuE9ELNS1_3repE0EEENS1_48merge_mergepath_partition_config_static_selectorELNS0_4arch9wavefront6targetE0EEEvSF_: ; @_ZN7rocprim17ROCPRIM_400000_NS6detail17trampoline_kernelINS0_14default_configENS1_38merge_sort_block_merge_config_selectorIlNS0_10empty_typeEEEZZNS1_27merge_sort_block_merge_implIS3_PlPS5_jNS1_19radix_merge_compareILb1ELb0ElNS0_19identity_decomposerEEEEE10hipError_tT0_T1_T2_jT3_P12ihipStream_tbPNSt15iterator_traitsISE_E10value_typeEPNSK_ISF_E10value_typeEPSG_NS1_7vsmem_tEENKUlT_SE_SF_SG_E_clIS8_S8_S9_S9_EESD_ST_SE_SF_SG_EUlST_E_NS1_11comp_targetILNS1_3genE5ELNS1_11target_archE942ELNS1_3gpuE9ELNS1_3repE0EEENS1_48merge_mergepath_partition_config_static_selectorELNS0_4arch9wavefront6targetE0EEEvSF_
; %bb.0:
	.section	.rodata,"a",@progbits
	.p2align	6, 0x0
	.amdhsa_kernel _ZN7rocprim17ROCPRIM_400000_NS6detail17trampoline_kernelINS0_14default_configENS1_38merge_sort_block_merge_config_selectorIlNS0_10empty_typeEEEZZNS1_27merge_sort_block_merge_implIS3_PlPS5_jNS1_19radix_merge_compareILb1ELb0ElNS0_19identity_decomposerEEEEE10hipError_tT0_T1_T2_jT3_P12ihipStream_tbPNSt15iterator_traitsISE_E10value_typeEPNSK_ISF_E10value_typeEPSG_NS1_7vsmem_tEENKUlT_SE_SF_SG_E_clIS8_S8_S9_S9_EESD_ST_SE_SF_SG_EUlST_E_NS1_11comp_targetILNS1_3genE5ELNS1_11target_archE942ELNS1_3gpuE9ELNS1_3repE0EEENS1_48merge_mergepath_partition_config_static_selectorELNS0_4arch9wavefront6targetE0EEEvSF_
		.amdhsa_group_segment_fixed_size 0
		.amdhsa_private_segment_fixed_size 0
		.amdhsa_kernarg_size 40
		.amdhsa_user_sgpr_count 2
		.amdhsa_user_sgpr_dispatch_ptr 0
		.amdhsa_user_sgpr_queue_ptr 0
		.amdhsa_user_sgpr_kernarg_segment_ptr 1
		.amdhsa_user_sgpr_dispatch_id 0
		.amdhsa_user_sgpr_kernarg_preload_length 0
		.amdhsa_user_sgpr_kernarg_preload_offset 0
		.amdhsa_user_sgpr_private_segment_size 0
		.amdhsa_wavefront_size32 1
		.amdhsa_uses_dynamic_stack 0
		.amdhsa_enable_private_segment 0
		.amdhsa_system_sgpr_workgroup_id_x 1
		.amdhsa_system_sgpr_workgroup_id_y 0
		.amdhsa_system_sgpr_workgroup_id_z 0
		.amdhsa_system_sgpr_workgroup_info 0
		.amdhsa_system_vgpr_workitem_id 0
		.amdhsa_next_free_vgpr 1
		.amdhsa_next_free_sgpr 1
		.amdhsa_named_barrier_count 0
		.amdhsa_reserve_vcc 0
		.amdhsa_float_round_mode_32 0
		.amdhsa_float_round_mode_16_64 0
		.amdhsa_float_denorm_mode_32 3
		.amdhsa_float_denorm_mode_16_64 3
		.amdhsa_fp16_overflow 0
		.amdhsa_memory_ordered 1
		.amdhsa_forward_progress 1
		.amdhsa_inst_pref_size 0
		.amdhsa_round_robin_scheduling 0
		.amdhsa_exception_fp_ieee_invalid_op 0
		.amdhsa_exception_fp_denorm_src 0
		.amdhsa_exception_fp_ieee_div_zero 0
		.amdhsa_exception_fp_ieee_overflow 0
		.amdhsa_exception_fp_ieee_underflow 0
		.amdhsa_exception_fp_ieee_inexact 0
		.amdhsa_exception_int_div_zero 0
	.end_amdhsa_kernel
	.section	.text._ZN7rocprim17ROCPRIM_400000_NS6detail17trampoline_kernelINS0_14default_configENS1_38merge_sort_block_merge_config_selectorIlNS0_10empty_typeEEEZZNS1_27merge_sort_block_merge_implIS3_PlPS5_jNS1_19radix_merge_compareILb1ELb0ElNS0_19identity_decomposerEEEEE10hipError_tT0_T1_T2_jT3_P12ihipStream_tbPNSt15iterator_traitsISE_E10value_typeEPNSK_ISF_E10value_typeEPSG_NS1_7vsmem_tEENKUlT_SE_SF_SG_E_clIS8_S8_S9_S9_EESD_ST_SE_SF_SG_EUlST_E_NS1_11comp_targetILNS1_3genE5ELNS1_11target_archE942ELNS1_3gpuE9ELNS1_3repE0EEENS1_48merge_mergepath_partition_config_static_selectorELNS0_4arch9wavefront6targetE0EEEvSF_,"axG",@progbits,_ZN7rocprim17ROCPRIM_400000_NS6detail17trampoline_kernelINS0_14default_configENS1_38merge_sort_block_merge_config_selectorIlNS0_10empty_typeEEEZZNS1_27merge_sort_block_merge_implIS3_PlPS5_jNS1_19radix_merge_compareILb1ELb0ElNS0_19identity_decomposerEEEEE10hipError_tT0_T1_T2_jT3_P12ihipStream_tbPNSt15iterator_traitsISE_E10value_typeEPNSK_ISF_E10value_typeEPSG_NS1_7vsmem_tEENKUlT_SE_SF_SG_E_clIS8_S8_S9_S9_EESD_ST_SE_SF_SG_EUlST_E_NS1_11comp_targetILNS1_3genE5ELNS1_11target_archE942ELNS1_3gpuE9ELNS1_3repE0EEENS1_48merge_mergepath_partition_config_static_selectorELNS0_4arch9wavefront6targetE0EEEvSF_,comdat
.Lfunc_end1016:
	.size	_ZN7rocprim17ROCPRIM_400000_NS6detail17trampoline_kernelINS0_14default_configENS1_38merge_sort_block_merge_config_selectorIlNS0_10empty_typeEEEZZNS1_27merge_sort_block_merge_implIS3_PlPS5_jNS1_19radix_merge_compareILb1ELb0ElNS0_19identity_decomposerEEEEE10hipError_tT0_T1_T2_jT3_P12ihipStream_tbPNSt15iterator_traitsISE_E10value_typeEPNSK_ISF_E10value_typeEPSG_NS1_7vsmem_tEENKUlT_SE_SF_SG_E_clIS8_S8_S9_S9_EESD_ST_SE_SF_SG_EUlST_E_NS1_11comp_targetILNS1_3genE5ELNS1_11target_archE942ELNS1_3gpuE9ELNS1_3repE0EEENS1_48merge_mergepath_partition_config_static_selectorELNS0_4arch9wavefront6targetE0EEEvSF_, .Lfunc_end1016-_ZN7rocprim17ROCPRIM_400000_NS6detail17trampoline_kernelINS0_14default_configENS1_38merge_sort_block_merge_config_selectorIlNS0_10empty_typeEEEZZNS1_27merge_sort_block_merge_implIS3_PlPS5_jNS1_19radix_merge_compareILb1ELb0ElNS0_19identity_decomposerEEEEE10hipError_tT0_T1_T2_jT3_P12ihipStream_tbPNSt15iterator_traitsISE_E10value_typeEPNSK_ISF_E10value_typeEPSG_NS1_7vsmem_tEENKUlT_SE_SF_SG_E_clIS8_S8_S9_S9_EESD_ST_SE_SF_SG_EUlST_E_NS1_11comp_targetILNS1_3genE5ELNS1_11target_archE942ELNS1_3gpuE9ELNS1_3repE0EEENS1_48merge_mergepath_partition_config_static_selectorELNS0_4arch9wavefront6targetE0EEEvSF_
                                        ; -- End function
	.set _ZN7rocprim17ROCPRIM_400000_NS6detail17trampoline_kernelINS0_14default_configENS1_38merge_sort_block_merge_config_selectorIlNS0_10empty_typeEEEZZNS1_27merge_sort_block_merge_implIS3_PlPS5_jNS1_19radix_merge_compareILb1ELb0ElNS0_19identity_decomposerEEEEE10hipError_tT0_T1_T2_jT3_P12ihipStream_tbPNSt15iterator_traitsISE_E10value_typeEPNSK_ISF_E10value_typeEPSG_NS1_7vsmem_tEENKUlT_SE_SF_SG_E_clIS8_S8_S9_S9_EESD_ST_SE_SF_SG_EUlST_E_NS1_11comp_targetILNS1_3genE5ELNS1_11target_archE942ELNS1_3gpuE9ELNS1_3repE0EEENS1_48merge_mergepath_partition_config_static_selectorELNS0_4arch9wavefront6targetE0EEEvSF_.num_vgpr, 0
	.set _ZN7rocprim17ROCPRIM_400000_NS6detail17trampoline_kernelINS0_14default_configENS1_38merge_sort_block_merge_config_selectorIlNS0_10empty_typeEEEZZNS1_27merge_sort_block_merge_implIS3_PlPS5_jNS1_19radix_merge_compareILb1ELb0ElNS0_19identity_decomposerEEEEE10hipError_tT0_T1_T2_jT3_P12ihipStream_tbPNSt15iterator_traitsISE_E10value_typeEPNSK_ISF_E10value_typeEPSG_NS1_7vsmem_tEENKUlT_SE_SF_SG_E_clIS8_S8_S9_S9_EESD_ST_SE_SF_SG_EUlST_E_NS1_11comp_targetILNS1_3genE5ELNS1_11target_archE942ELNS1_3gpuE9ELNS1_3repE0EEENS1_48merge_mergepath_partition_config_static_selectorELNS0_4arch9wavefront6targetE0EEEvSF_.num_agpr, 0
	.set _ZN7rocprim17ROCPRIM_400000_NS6detail17trampoline_kernelINS0_14default_configENS1_38merge_sort_block_merge_config_selectorIlNS0_10empty_typeEEEZZNS1_27merge_sort_block_merge_implIS3_PlPS5_jNS1_19radix_merge_compareILb1ELb0ElNS0_19identity_decomposerEEEEE10hipError_tT0_T1_T2_jT3_P12ihipStream_tbPNSt15iterator_traitsISE_E10value_typeEPNSK_ISF_E10value_typeEPSG_NS1_7vsmem_tEENKUlT_SE_SF_SG_E_clIS8_S8_S9_S9_EESD_ST_SE_SF_SG_EUlST_E_NS1_11comp_targetILNS1_3genE5ELNS1_11target_archE942ELNS1_3gpuE9ELNS1_3repE0EEENS1_48merge_mergepath_partition_config_static_selectorELNS0_4arch9wavefront6targetE0EEEvSF_.numbered_sgpr, 0
	.set _ZN7rocprim17ROCPRIM_400000_NS6detail17trampoline_kernelINS0_14default_configENS1_38merge_sort_block_merge_config_selectorIlNS0_10empty_typeEEEZZNS1_27merge_sort_block_merge_implIS3_PlPS5_jNS1_19radix_merge_compareILb1ELb0ElNS0_19identity_decomposerEEEEE10hipError_tT0_T1_T2_jT3_P12ihipStream_tbPNSt15iterator_traitsISE_E10value_typeEPNSK_ISF_E10value_typeEPSG_NS1_7vsmem_tEENKUlT_SE_SF_SG_E_clIS8_S8_S9_S9_EESD_ST_SE_SF_SG_EUlST_E_NS1_11comp_targetILNS1_3genE5ELNS1_11target_archE942ELNS1_3gpuE9ELNS1_3repE0EEENS1_48merge_mergepath_partition_config_static_selectorELNS0_4arch9wavefront6targetE0EEEvSF_.num_named_barrier, 0
	.set _ZN7rocprim17ROCPRIM_400000_NS6detail17trampoline_kernelINS0_14default_configENS1_38merge_sort_block_merge_config_selectorIlNS0_10empty_typeEEEZZNS1_27merge_sort_block_merge_implIS3_PlPS5_jNS1_19radix_merge_compareILb1ELb0ElNS0_19identity_decomposerEEEEE10hipError_tT0_T1_T2_jT3_P12ihipStream_tbPNSt15iterator_traitsISE_E10value_typeEPNSK_ISF_E10value_typeEPSG_NS1_7vsmem_tEENKUlT_SE_SF_SG_E_clIS8_S8_S9_S9_EESD_ST_SE_SF_SG_EUlST_E_NS1_11comp_targetILNS1_3genE5ELNS1_11target_archE942ELNS1_3gpuE9ELNS1_3repE0EEENS1_48merge_mergepath_partition_config_static_selectorELNS0_4arch9wavefront6targetE0EEEvSF_.private_seg_size, 0
	.set _ZN7rocprim17ROCPRIM_400000_NS6detail17trampoline_kernelINS0_14default_configENS1_38merge_sort_block_merge_config_selectorIlNS0_10empty_typeEEEZZNS1_27merge_sort_block_merge_implIS3_PlPS5_jNS1_19radix_merge_compareILb1ELb0ElNS0_19identity_decomposerEEEEE10hipError_tT0_T1_T2_jT3_P12ihipStream_tbPNSt15iterator_traitsISE_E10value_typeEPNSK_ISF_E10value_typeEPSG_NS1_7vsmem_tEENKUlT_SE_SF_SG_E_clIS8_S8_S9_S9_EESD_ST_SE_SF_SG_EUlST_E_NS1_11comp_targetILNS1_3genE5ELNS1_11target_archE942ELNS1_3gpuE9ELNS1_3repE0EEENS1_48merge_mergepath_partition_config_static_selectorELNS0_4arch9wavefront6targetE0EEEvSF_.uses_vcc, 0
	.set _ZN7rocprim17ROCPRIM_400000_NS6detail17trampoline_kernelINS0_14default_configENS1_38merge_sort_block_merge_config_selectorIlNS0_10empty_typeEEEZZNS1_27merge_sort_block_merge_implIS3_PlPS5_jNS1_19radix_merge_compareILb1ELb0ElNS0_19identity_decomposerEEEEE10hipError_tT0_T1_T2_jT3_P12ihipStream_tbPNSt15iterator_traitsISE_E10value_typeEPNSK_ISF_E10value_typeEPSG_NS1_7vsmem_tEENKUlT_SE_SF_SG_E_clIS8_S8_S9_S9_EESD_ST_SE_SF_SG_EUlST_E_NS1_11comp_targetILNS1_3genE5ELNS1_11target_archE942ELNS1_3gpuE9ELNS1_3repE0EEENS1_48merge_mergepath_partition_config_static_selectorELNS0_4arch9wavefront6targetE0EEEvSF_.uses_flat_scratch, 0
	.set _ZN7rocprim17ROCPRIM_400000_NS6detail17trampoline_kernelINS0_14default_configENS1_38merge_sort_block_merge_config_selectorIlNS0_10empty_typeEEEZZNS1_27merge_sort_block_merge_implIS3_PlPS5_jNS1_19radix_merge_compareILb1ELb0ElNS0_19identity_decomposerEEEEE10hipError_tT0_T1_T2_jT3_P12ihipStream_tbPNSt15iterator_traitsISE_E10value_typeEPNSK_ISF_E10value_typeEPSG_NS1_7vsmem_tEENKUlT_SE_SF_SG_E_clIS8_S8_S9_S9_EESD_ST_SE_SF_SG_EUlST_E_NS1_11comp_targetILNS1_3genE5ELNS1_11target_archE942ELNS1_3gpuE9ELNS1_3repE0EEENS1_48merge_mergepath_partition_config_static_selectorELNS0_4arch9wavefront6targetE0EEEvSF_.has_dyn_sized_stack, 0
	.set _ZN7rocprim17ROCPRIM_400000_NS6detail17trampoline_kernelINS0_14default_configENS1_38merge_sort_block_merge_config_selectorIlNS0_10empty_typeEEEZZNS1_27merge_sort_block_merge_implIS3_PlPS5_jNS1_19radix_merge_compareILb1ELb0ElNS0_19identity_decomposerEEEEE10hipError_tT0_T1_T2_jT3_P12ihipStream_tbPNSt15iterator_traitsISE_E10value_typeEPNSK_ISF_E10value_typeEPSG_NS1_7vsmem_tEENKUlT_SE_SF_SG_E_clIS8_S8_S9_S9_EESD_ST_SE_SF_SG_EUlST_E_NS1_11comp_targetILNS1_3genE5ELNS1_11target_archE942ELNS1_3gpuE9ELNS1_3repE0EEENS1_48merge_mergepath_partition_config_static_selectorELNS0_4arch9wavefront6targetE0EEEvSF_.has_recursion, 0
	.set _ZN7rocprim17ROCPRIM_400000_NS6detail17trampoline_kernelINS0_14default_configENS1_38merge_sort_block_merge_config_selectorIlNS0_10empty_typeEEEZZNS1_27merge_sort_block_merge_implIS3_PlPS5_jNS1_19radix_merge_compareILb1ELb0ElNS0_19identity_decomposerEEEEE10hipError_tT0_T1_T2_jT3_P12ihipStream_tbPNSt15iterator_traitsISE_E10value_typeEPNSK_ISF_E10value_typeEPSG_NS1_7vsmem_tEENKUlT_SE_SF_SG_E_clIS8_S8_S9_S9_EESD_ST_SE_SF_SG_EUlST_E_NS1_11comp_targetILNS1_3genE5ELNS1_11target_archE942ELNS1_3gpuE9ELNS1_3repE0EEENS1_48merge_mergepath_partition_config_static_selectorELNS0_4arch9wavefront6targetE0EEEvSF_.has_indirect_call, 0
	.section	.AMDGPU.csdata,"",@progbits
; Kernel info:
; codeLenInByte = 0
; TotalNumSgprs: 0
; NumVgprs: 0
; ScratchSize: 0
; MemoryBound: 0
; FloatMode: 240
; IeeeMode: 1
; LDSByteSize: 0 bytes/workgroup (compile time only)
; SGPRBlocks: 0
; VGPRBlocks: 0
; NumSGPRsForWavesPerEU: 1
; NumVGPRsForWavesPerEU: 1
; NamedBarCnt: 0
; Occupancy: 16
; WaveLimiterHint : 0
; COMPUTE_PGM_RSRC2:SCRATCH_EN: 0
; COMPUTE_PGM_RSRC2:USER_SGPR: 2
; COMPUTE_PGM_RSRC2:TRAP_HANDLER: 0
; COMPUTE_PGM_RSRC2:TGID_X_EN: 1
; COMPUTE_PGM_RSRC2:TGID_Y_EN: 0
; COMPUTE_PGM_RSRC2:TGID_Z_EN: 0
; COMPUTE_PGM_RSRC2:TIDIG_COMP_CNT: 0
	.section	.text._ZN7rocprim17ROCPRIM_400000_NS6detail17trampoline_kernelINS0_14default_configENS1_38merge_sort_block_merge_config_selectorIlNS0_10empty_typeEEEZZNS1_27merge_sort_block_merge_implIS3_PlPS5_jNS1_19radix_merge_compareILb1ELb0ElNS0_19identity_decomposerEEEEE10hipError_tT0_T1_T2_jT3_P12ihipStream_tbPNSt15iterator_traitsISE_E10value_typeEPNSK_ISF_E10value_typeEPSG_NS1_7vsmem_tEENKUlT_SE_SF_SG_E_clIS8_S8_S9_S9_EESD_ST_SE_SF_SG_EUlST_E_NS1_11comp_targetILNS1_3genE4ELNS1_11target_archE910ELNS1_3gpuE8ELNS1_3repE0EEENS1_48merge_mergepath_partition_config_static_selectorELNS0_4arch9wavefront6targetE0EEEvSF_,"axG",@progbits,_ZN7rocprim17ROCPRIM_400000_NS6detail17trampoline_kernelINS0_14default_configENS1_38merge_sort_block_merge_config_selectorIlNS0_10empty_typeEEEZZNS1_27merge_sort_block_merge_implIS3_PlPS5_jNS1_19radix_merge_compareILb1ELb0ElNS0_19identity_decomposerEEEEE10hipError_tT0_T1_T2_jT3_P12ihipStream_tbPNSt15iterator_traitsISE_E10value_typeEPNSK_ISF_E10value_typeEPSG_NS1_7vsmem_tEENKUlT_SE_SF_SG_E_clIS8_S8_S9_S9_EESD_ST_SE_SF_SG_EUlST_E_NS1_11comp_targetILNS1_3genE4ELNS1_11target_archE910ELNS1_3gpuE8ELNS1_3repE0EEENS1_48merge_mergepath_partition_config_static_selectorELNS0_4arch9wavefront6targetE0EEEvSF_,comdat
	.protected	_ZN7rocprim17ROCPRIM_400000_NS6detail17trampoline_kernelINS0_14default_configENS1_38merge_sort_block_merge_config_selectorIlNS0_10empty_typeEEEZZNS1_27merge_sort_block_merge_implIS3_PlPS5_jNS1_19radix_merge_compareILb1ELb0ElNS0_19identity_decomposerEEEEE10hipError_tT0_T1_T2_jT3_P12ihipStream_tbPNSt15iterator_traitsISE_E10value_typeEPNSK_ISF_E10value_typeEPSG_NS1_7vsmem_tEENKUlT_SE_SF_SG_E_clIS8_S8_S9_S9_EESD_ST_SE_SF_SG_EUlST_E_NS1_11comp_targetILNS1_3genE4ELNS1_11target_archE910ELNS1_3gpuE8ELNS1_3repE0EEENS1_48merge_mergepath_partition_config_static_selectorELNS0_4arch9wavefront6targetE0EEEvSF_ ; -- Begin function _ZN7rocprim17ROCPRIM_400000_NS6detail17trampoline_kernelINS0_14default_configENS1_38merge_sort_block_merge_config_selectorIlNS0_10empty_typeEEEZZNS1_27merge_sort_block_merge_implIS3_PlPS5_jNS1_19radix_merge_compareILb1ELb0ElNS0_19identity_decomposerEEEEE10hipError_tT0_T1_T2_jT3_P12ihipStream_tbPNSt15iterator_traitsISE_E10value_typeEPNSK_ISF_E10value_typeEPSG_NS1_7vsmem_tEENKUlT_SE_SF_SG_E_clIS8_S8_S9_S9_EESD_ST_SE_SF_SG_EUlST_E_NS1_11comp_targetILNS1_3genE4ELNS1_11target_archE910ELNS1_3gpuE8ELNS1_3repE0EEENS1_48merge_mergepath_partition_config_static_selectorELNS0_4arch9wavefront6targetE0EEEvSF_
	.globl	_ZN7rocprim17ROCPRIM_400000_NS6detail17trampoline_kernelINS0_14default_configENS1_38merge_sort_block_merge_config_selectorIlNS0_10empty_typeEEEZZNS1_27merge_sort_block_merge_implIS3_PlPS5_jNS1_19radix_merge_compareILb1ELb0ElNS0_19identity_decomposerEEEEE10hipError_tT0_T1_T2_jT3_P12ihipStream_tbPNSt15iterator_traitsISE_E10value_typeEPNSK_ISF_E10value_typeEPSG_NS1_7vsmem_tEENKUlT_SE_SF_SG_E_clIS8_S8_S9_S9_EESD_ST_SE_SF_SG_EUlST_E_NS1_11comp_targetILNS1_3genE4ELNS1_11target_archE910ELNS1_3gpuE8ELNS1_3repE0EEENS1_48merge_mergepath_partition_config_static_selectorELNS0_4arch9wavefront6targetE0EEEvSF_
	.p2align	8
	.type	_ZN7rocprim17ROCPRIM_400000_NS6detail17trampoline_kernelINS0_14default_configENS1_38merge_sort_block_merge_config_selectorIlNS0_10empty_typeEEEZZNS1_27merge_sort_block_merge_implIS3_PlPS5_jNS1_19radix_merge_compareILb1ELb0ElNS0_19identity_decomposerEEEEE10hipError_tT0_T1_T2_jT3_P12ihipStream_tbPNSt15iterator_traitsISE_E10value_typeEPNSK_ISF_E10value_typeEPSG_NS1_7vsmem_tEENKUlT_SE_SF_SG_E_clIS8_S8_S9_S9_EESD_ST_SE_SF_SG_EUlST_E_NS1_11comp_targetILNS1_3genE4ELNS1_11target_archE910ELNS1_3gpuE8ELNS1_3repE0EEENS1_48merge_mergepath_partition_config_static_selectorELNS0_4arch9wavefront6targetE0EEEvSF_,@function
_ZN7rocprim17ROCPRIM_400000_NS6detail17trampoline_kernelINS0_14default_configENS1_38merge_sort_block_merge_config_selectorIlNS0_10empty_typeEEEZZNS1_27merge_sort_block_merge_implIS3_PlPS5_jNS1_19radix_merge_compareILb1ELb0ElNS0_19identity_decomposerEEEEE10hipError_tT0_T1_T2_jT3_P12ihipStream_tbPNSt15iterator_traitsISE_E10value_typeEPNSK_ISF_E10value_typeEPSG_NS1_7vsmem_tEENKUlT_SE_SF_SG_E_clIS8_S8_S9_S9_EESD_ST_SE_SF_SG_EUlST_E_NS1_11comp_targetILNS1_3genE4ELNS1_11target_archE910ELNS1_3gpuE8ELNS1_3repE0EEENS1_48merge_mergepath_partition_config_static_selectorELNS0_4arch9wavefront6targetE0EEEvSF_: ; @_ZN7rocprim17ROCPRIM_400000_NS6detail17trampoline_kernelINS0_14default_configENS1_38merge_sort_block_merge_config_selectorIlNS0_10empty_typeEEEZZNS1_27merge_sort_block_merge_implIS3_PlPS5_jNS1_19radix_merge_compareILb1ELb0ElNS0_19identity_decomposerEEEEE10hipError_tT0_T1_T2_jT3_P12ihipStream_tbPNSt15iterator_traitsISE_E10value_typeEPNSK_ISF_E10value_typeEPSG_NS1_7vsmem_tEENKUlT_SE_SF_SG_E_clIS8_S8_S9_S9_EESD_ST_SE_SF_SG_EUlST_E_NS1_11comp_targetILNS1_3genE4ELNS1_11target_archE910ELNS1_3gpuE8ELNS1_3repE0EEENS1_48merge_mergepath_partition_config_static_selectorELNS0_4arch9wavefront6targetE0EEEvSF_
; %bb.0:
	.section	.rodata,"a",@progbits
	.p2align	6, 0x0
	.amdhsa_kernel _ZN7rocprim17ROCPRIM_400000_NS6detail17trampoline_kernelINS0_14default_configENS1_38merge_sort_block_merge_config_selectorIlNS0_10empty_typeEEEZZNS1_27merge_sort_block_merge_implIS3_PlPS5_jNS1_19radix_merge_compareILb1ELb0ElNS0_19identity_decomposerEEEEE10hipError_tT0_T1_T2_jT3_P12ihipStream_tbPNSt15iterator_traitsISE_E10value_typeEPNSK_ISF_E10value_typeEPSG_NS1_7vsmem_tEENKUlT_SE_SF_SG_E_clIS8_S8_S9_S9_EESD_ST_SE_SF_SG_EUlST_E_NS1_11comp_targetILNS1_3genE4ELNS1_11target_archE910ELNS1_3gpuE8ELNS1_3repE0EEENS1_48merge_mergepath_partition_config_static_selectorELNS0_4arch9wavefront6targetE0EEEvSF_
		.amdhsa_group_segment_fixed_size 0
		.amdhsa_private_segment_fixed_size 0
		.amdhsa_kernarg_size 40
		.amdhsa_user_sgpr_count 2
		.amdhsa_user_sgpr_dispatch_ptr 0
		.amdhsa_user_sgpr_queue_ptr 0
		.amdhsa_user_sgpr_kernarg_segment_ptr 1
		.amdhsa_user_sgpr_dispatch_id 0
		.amdhsa_user_sgpr_kernarg_preload_length 0
		.amdhsa_user_sgpr_kernarg_preload_offset 0
		.amdhsa_user_sgpr_private_segment_size 0
		.amdhsa_wavefront_size32 1
		.amdhsa_uses_dynamic_stack 0
		.amdhsa_enable_private_segment 0
		.amdhsa_system_sgpr_workgroup_id_x 1
		.amdhsa_system_sgpr_workgroup_id_y 0
		.amdhsa_system_sgpr_workgroup_id_z 0
		.amdhsa_system_sgpr_workgroup_info 0
		.amdhsa_system_vgpr_workitem_id 0
		.amdhsa_next_free_vgpr 1
		.amdhsa_next_free_sgpr 1
		.amdhsa_named_barrier_count 0
		.amdhsa_reserve_vcc 0
		.amdhsa_float_round_mode_32 0
		.amdhsa_float_round_mode_16_64 0
		.amdhsa_float_denorm_mode_32 3
		.amdhsa_float_denorm_mode_16_64 3
		.amdhsa_fp16_overflow 0
		.amdhsa_memory_ordered 1
		.amdhsa_forward_progress 1
		.amdhsa_inst_pref_size 0
		.amdhsa_round_robin_scheduling 0
		.amdhsa_exception_fp_ieee_invalid_op 0
		.amdhsa_exception_fp_denorm_src 0
		.amdhsa_exception_fp_ieee_div_zero 0
		.amdhsa_exception_fp_ieee_overflow 0
		.amdhsa_exception_fp_ieee_underflow 0
		.amdhsa_exception_fp_ieee_inexact 0
		.amdhsa_exception_int_div_zero 0
	.end_amdhsa_kernel
	.section	.text._ZN7rocprim17ROCPRIM_400000_NS6detail17trampoline_kernelINS0_14default_configENS1_38merge_sort_block_merge_config_selectorIlNS0_10empty_typeEEEZZNS1_27merge_sort_block_merge_implIS3_PlPS5_jNS1_19radix_merge_compareILb1ELb0ElNS0_19identity_decomposerEEEEE10hipError_tT0_T1_T2_jT3_P12ihipStream_tbPNSt15iterator_traitsISE_E10value_typeEPNSK_ISF_E10value_typeEPSG_NS1_7vsmem_tEENKUlT_SE_SF_SG_E_clIS8_S8_S9_S9_EESD_ST_SE_SF_SG_EUlST_E_NS1_11comp_targetILNS1_3genE4ELNS1_11target_archE910ELNS1_3gpuE8ELNS1_3repE0EEENS1_48merge_mergepath_partition_config_static_selectorELNS0_4arch9wavefront6targetE0EEEvSF_,"axG",@progbits,_ZN7rocprim17ROCPRIM_400000_NS6detail17trampoline_kernelINS0_14default_configENS1_38merge_sort_block_merge_config_selectorIlNS0_10empty_typeEEEZZNS1_27merge_sort_block_merge_implIS3_PlPS5_jNS1_19radix_merge_compareILb1ELb0ElNS0_19identity_decomposerEEEEE10hipError_tT0_T1_T2_jT3_P12ihipStream_tbPNSt15iterator_traitsISE_E10value_typeEPNSK_ISF_E10value_typeEPSG_NS1_7vsmem_tEENKUlT_SE_SF_SG_E_clIS8_S8_S9_S9_EESD_ST_SE_SF_SG_EUlST_E_NS1_11comp_targetILNS1_3genE4ELNS1_11target_archE910ELNS1_3gpuE8ELNS1_3repE0EEENS1_48merge_mergepath_partition_config_static_selectorELNS0_4arch9wavefront6targetE0EEEvSF_,comdat
.Lfunc_end1017:
	.size	_ZN7rocprim17ROCPRIM_400000_NS6detail17trampoline_kernelINS0_14default_configENS1_38merge_sort_block_merge_config_selectorIlNS0_10empty_typeEEEZZNS1_27merge_sort_block_merge_implIS3_PlPS5_jNS1_19radix_merge_compareILb1ELb0ElNS0_19identity_decomposerEEEEE10hipError_tT0_T1_T2_jT3_P12ihipStream_tbPNSt15iterator_traitsISE_E10value_typeEPNSK_ISF_E10value_typeEPSG_NS1_7vsmem_tEENKUlT_SE_SF_SG_E_clIS8_S8_S9_S9_EESD_ST_SE_SF_SG_EUlST_E_NS1_11comp_targetILNS1_3genE4ELNS1_11target_archE910ELNS1_3gpuE8ELNS1_3repE0EEENS1_48merge_mergepath_partition_config_static_selectorELNS0_4arch9wavefront6targetE0EEEvSF_, .Lfunc_end1017-_ZN7rocprim17ROCPRIM_400000_NS6detail17trampoline_kernelINS0_14default_configENS1_38merge_sort_block_merge_config_selectorIlNS0_10empty_typeEEEZZNS1_27merge_sort_block_merge_implIS3_PlPS5_jNS1_19radix_merge_compareILb1ELb0ElNS0_19identity_decomposerEEEEE10hipError_tT0_T1_T2_jT3_P12ihipStream_tbPNSt15iterator_traitsISE_E10value_typeEPNSK_ISF_E10value_typeEPSG_NS1_7vsmem_tEENKUlT_SE_SF_SG_E_clIS8_S8_S9_S9_EESD_ST_SE_SF_SG_EUlST_E_NS1_11comp_targetILNS1_3genE4ELNS1_11target_archE910ELNS1_3gpuE8ELNS1_3repE0EEENS1_48merge_mergepath_partition_config_static_selectorELNS0_4arch9wavefront6targetE0EEEvSF_
                                        ; -- End function
	.set _ZN7rocprim17ROCPRIM_400000_NS6detail17trampoline_kernelINS0_14default_configENS1_38merge_sort_block_merge_config_selectorIlNS0_10empty_typeEEEZZNS1_27merge_sort_block_merge_implIS3_PlPS5_jNS1_19radix_merge_compareILb1ELb0ElNS0_19identity_decomposerEEEEE10hipError_tT0_T1_T2_jT3_P12ihipStream_tbPNSt15iterator_traitsISE_E10value_typeEPNSK_ISF_E10value_typeEPSG_NS1_7vsmem_tEENKUlT_SE_SF_SG_E_clIS8_S8_S9_S9_EESD_ST_SE_SF_SG_EUlST_E_NS1_11comp_targetILNS1_3genE4ELNS1_11target_archE910ELNS1_3gpuE8ELNS1_3repE0EEENS1_48merge_mergepath_partition_config_static_selectorELNS0_4arch9wavefront6targetE0EEEvSF_.num_vgpr, 0
	.set _ZN7rocprim17ROCPRIM_400000_NS6detail17trampoline_kernelINS0_14default_configENS1_38merge_sort_block_merge_config_selectorIlNS0_10empty_typeEEEZZNS1_27merge_sort_block_merge_implIS3_PlPS5_jNS1_19radix_merge_compareILb1ELb0ElNS0_19identity_decomposerEEEEE10hipError_tT0_T1_T2_jT3_P12ihipStream_tbPNSt15iterator_traitsISE_E10value_typeEPNSK_ISF_E10value_typeEPSG_NS1_7vsmem_tEENKUlT_SE_SF_SG_E_clIS8_S8_S9_S9_EESD_ST_SE_SF_SG_EUlST_E_NS1_11comp_targetILNS1_3genE4ELNS1_11target_archE910ELNS1_3gpuE8ELNS1_3repE0EEENS1_48merge_mergepath_partition_config_static_selectorELNS0_4arch9wavefront6targetE0EEEvSF_.num_agpr, 0
	.set _ZN7rocprim17ROCPRIM_400000_NS6detail17trampoline_kernelINS0_14default_configENS1_38merge_sort_block_merge_config_selectorIlNS0_10empty_typeEEEZZNS1_27merge_sort_block_merge_implIS3_PlPS5_jNS1_19radix_merge_compareILb1ELb0ElNS0_19identity_decomposerEEEEE10hipError_tT0_T1_T2_jT3_P12ihipStream_tbPNSt15iterator_traitsISE_E10value_typeEPNSK_ISF_E10value_typeEPSG_NS1_7vsmem_tEENKUlT_SE_SF_SG_E_clIS8_S8_S9_S9_EESD_ST_SE_SF_SG_EUlST_E_NS1_11comp_targetILNS1_3genE4ELNS1_11target_archE910ELNS1_3gpuE8ELNS1_3repE0EEENS1_48merge_mergepath_partition_config_static_selectorELNS0_4arch9wavefront6targetE0EEEvSF_.numbered_sgpr, 0
	.set _ZN7rocprim17ROCPRIM_400000_NS6detail17trampoline_kernelINS0_14default_configENS1_38merge_sort_block_merge_config_selectorIlNS0_10empty_typeEEEZZNS1_27merge_sort_block_merge_implIS3_PlPS5_jNS1_19radix_merge_compareILb1ELb0ElNS0_19identity_decomposerEEEEE10hipError_tT0_T1_T2_jT3_P12ihipStream_tbPNSt15iterator_traitsISE_E10value_typeEPNSK_ISF_E10value_typeEPSG_NS1_7vsmem_tEENKUlT_SE_SF_SG_E_clIS8_S8_S9_S9_EESD_ST_SE_SF_SG_EUlST_E_NS1_11comp_targetILNS1_3genE4ELNS1_11target_archE910ELNS1_3gpuE8ELNS1_3repE0EEENS1_48merge_mergepath_partition_config_static_selectorELNS0_4arch9wavefront6targetE0EEEvSF_.num_named_barrier, 0
	.set _ZN7rocprim17ROCPRIM_400000_NS6detail17trampoline_kernelINS0_14default_configENS1_38merge_sort_block_merge_config_selectorIlNS0_10empty_typeEEEZZNS1_27merge_sort_block_merge_implIS3_PlPS5_jNS1_19radix_merge_compareILb1ELb0ElNS0_19identity_decomposerEEEEE10hipError_tT0_T1_T2_jT3_P12ihipStream_tbPNSt15iterator_traitsISE_E10value_typeEPNSK_ISF_E10value_typeEPSG_NS1_7vsmem_tEENKUlT_SE_SF_SG_E_clIS8_S8_S9_S9_EESD_ST_SE_SF_SG_EUlST_E_NS1_11comp_targetILNS1_3genE4ELNS1_11target_archE910ELNS1_3gpuE8ELNS1_3repE0EEENS1_48merge_mergepath_partition_config_static_selectorELNS0_4arch9wavefront6targetE0EEEvSF_.private_seg_size, 0
	.set _ZN7rocprim17ROCPRIM_400000_NS6detail17trampoline_kernelINS0_14default_configENS1_38merge_sort_block_merge_config_selectorIlNS0_10empty_typeEEEZZNS1_27merge_sort_block_merge_implIS3_PlPS5_jNS1_19radix_merge_compareILb1ELb0ElNS0_19identity_decomposerEEEEE10hipError_tT0_T1_T2_jT3_P12ihipStream_tbPNSt15iterator_traitsISE_E10value_typeEPNSK_ISF_E10value_typeEPSG_NS1_7vsmem_tEENKUlT_SE_SF_SG_E_clIS8_S8_S9_S9_EESD_ST_SE_SF_SG_EUlST_E_NS1_11comp_targetILNS1_3genE4ELNS1_11target_archE910ELNS1_3gpuE8ELNS1_3repE0EEENS1_48merge_mergepath_partition_config_static_selectorELNS0_4arch9wavefront6targetE0EEEvSF_.uses_vcc, 0
	.set _ZN7rocprim17ROCPRIM_400000_NS6detail17trampoline_kernelINS0_14default_configENS1_38merge_sort_block_merge_config_selectorIlNS0_10empty_typeEEEZZNS1_27merge_sort_block_merge_implIS3_PlPS5_jNS1_19radix_merge_compareILb1ELb0ElNS0_19identity_decomposerEEEEE10hipError_tT0_T1_T2_jT3_P12ihipStream_tbPNSt15iterator_traitsISE_E10value_typeEPNSK_ISF_E10value_typeEPSG_NS1_7vsmem_tEENKUlT_SE_SF_SG_E_clIS8_S8_S9_S9_EESD_ST_SE_SF_SG_EUlST_E_NS1_11comp_targetILNS1_3genE4ELNS1_11target_archE910ELNS1_3gpuE8ELNS1_3repE0EEENS1_48merge_mergepath_partition_config_static_selectorELNS0_4arch9wavefront6targetE0EEEvSF_.uses_flat_scratch, 0
	.set _ZN7rocprim17ROCPRIM_400000_NS6detail17trampoline_kernelINS0_14default_configENS1_38merge_sort_block_merge_config_selectorIlNS0_10empty_typeEEEZZNS1_27merge_sort_block_merge_implIS3_PlPS5_jNS1_19radix_merge_compareILb1ELb0ElNS0_19identity_decomposerEEEEE10hipError_tT0_T1_T2_jT3_P12ihipStream_tbPNSt15iterator_traitsISE_E10value_typeEPNSK_ISF_E10value_typeEPSG_NS1_7vsmem_tEENKUlT_SE_SF_SG_E_clIS8_S8_S9_S9_EESD_ST_SE_SF_SG_EUlST_E_NS1_11comp_targetILNS1_3genE4ELNS1_11target_archE910ELNS1_3gpuE8ELNS1_3repE0EEENS1_48merge_mergepath_partition_config_static_selectorELNS0_4arch9wavefront6targetE0EEEvSF_.has_dyn_sized_stack, 0
	.set _ZN7rocprim17ROCPRIM_400000_NS6detail17trampoline_kernelINS0_14default_configENS1_38merge_sort_block_merge_config_selectorIlNS0_10empty_typeEEEZZNS1_27merge_sort_block_merge_implIS3_PlPS5_jNS1_19radix_merge_compareILb1ELb0ElNS0_19identity_decomposerEEEEE10hipError_tT0_T1_T2_jT3_P12ihipStream_tbPNSt15iterator_traitsISE_E10value_typeEPNSK_ISF_E10value_typeEPSG_NS1_7vsmem_tEENKUlT_SE_SF_SG_E_clIS8_S8_S9_S9_EESD_ST_SE_SF_SG_EUlST_E_NS1_11comp_targetILNS1_3genE4ELNS1_11target_archE910ELNS1_3gpuE8ELNS1_3repE0EEENS1_48merge_mergepath_partition_config_static_selectorELNS0_4arch9wavefront6targetE0EEEvSF_.has_recursion, 0
	.set _ZN7rocprim17ROCPRIM_400000_NS6detail17trampoline_kernelINS0_14default_configENS1_38merge_sort_block_merge_config_selectorIlNS0_10empty_typeEEEZZNS1_27merge_sort_block_merge_implIS3_PlPS5_jNS1_19radix_merge_compareILb1ELb0ElNS0_19identity_decomposerEEEEE10hipError_tT0_T1_T2_jT3_P12ihipStream_tbPNSt15iterator_traitsISE_E10value_typeEPNSK_ISF_E10value_typeEPSG_NS1_7vsmem_tEENKUlT_SE_SF_SG_E_clIS8_S8_S9_S9_EESD_ST_SE_SF_SG_EUlST_E_NS1_11comp_targetILNS1_3genE4ELNS1_11target_archE910ELNS1_3gpuE8ELNS1_3repE0EEENS1_48merge_mergepath_partition_config_static_selectorELNS0_4arch9wavefront6targetE0EEEvSF_.has_indirect_call, 0
	.section	.AMDGPU.csdata,"",@progbits
; Kernel info:
; codeLenInByte = 0
; TotalNumSgprs: 0
; NumVgprs: 0
; ScratchSize: 0
; MemoryBound: 0
; FloatMode: 240
; IeeeMode: 1
; LDSByteSize: 0 bytes/workgroup (compile time only)
; SGPRBlocks: 0
; VGPRBlocks: 0
; NumSGPRsForWavesPerEU: 1
; NumVGPRsForWavesPerEU: 1
; NamedBarCnt: 0
; Occupancy: 16
; WaveLimiterHint : 0
; COMPUTE_PGM_RSRC2:SCRATCH_EN: 0
; COMPUTE_PGM_RSRC2:USER_SGPR: 2
; COMPUTE_PGM_RSRC2:TRAP_HANDLER: 0
; COMPUTE_PGM_RSRC2:TGID_X_EN: 1
; COMPUTE_PGM_RSRC2:TGID_Y_EN: 0
; COMPUTE_PGM_RSRC2:TGID_Z_EN: 0
; COMPUTE_PGM_RSRC2:TIDIG_COMP_CNT: 0
	.section	.text._ZN7rocprim17ROCPRIM_400000_NS6detail17trampoline_kernelINS0_14default_configENS1_38merge_sort_block_merge_config_selectorIlNS0_10empty_typeEEEZZNS1_27merge_sort_block_merge_implIS3_PlPS5_jNS1_19radix_merge_compareILb1ELb0ElNS0_19identity_decomposerEEEEE10hipError_tT0_T1_T2_jT3_P12ihipStream_tbPNSt15iterator_traitsISE_E10value_typeEPNSK_ISF_E10value_typeEPSG_NS1_7vsmem_tEENKUlT_SE_SF_SG_E_clIS8_S8_S9_S9_EESD_ST_SE_SF_SG_EUlST_E_NS1_11comp_targetILNS1_3genE3ELNS1_11target_archE908ELNS1_3gpuE7ELNS1_3repE0EEENS1_48merge_mergepath_partition_config_static_selectorELNS0_4arch9wavefront6targetE0EEEvSF_,"axG",@progbits,_ZN7rocprim17ROCPRIM_400000_NS6detail17trampoline_kernelINS0_14default_configENS1_38merge_sort_block_merge_config_selectorIlNS0_10empty_typeEEEZZNS1_27merge_sort_block_merge_implIS3_PlPS5_jNS1_19radix_merge_compareILb1ELb0ElNS0_19identity_decomposerEEEEE10hipError_tT0_T1_T2_jT3_P12ihipStream_tbPNSt15iterator_traitsISE_E10value_typeEPNSK_ISF_E10value_typeEPSG_NS1_7vsmem_tEENKUlT_SE_SF_SG_E_clIS8_S8_S9_S9_EESD_ST_SE_SF_SG_EUlST_E_NS1_11comp_targetILNS1_3genE3ELNS1_11target_archE908ELNS1_3gpuE7ELNS1_3repE0EEENS1_48merge_mergepath_partition_config_static_selectorELNS0_4arch9wavefront6targetE0EEEvSF_,comdat
	.protected	_ZN7rocprim17ROCPRIM_400000_NS6detail17trampoline_kernelINS0_14default_configENS1_38merge_sort_block_merge_config_selectorIlNS0_10empty_typeEEEZZNS1_27merge_sort_block_merge_implIS3_PlPS5_jNS1_19radix_merge_compareILb1ELb0ElNS0_19identity_decomposerEEEEE10hipError_tT0_T1_T2_jT3_P12ihipStream_tbPNSt15iterator_traitsISE_E10value_typeEPNSK_ISF_E10value_typeEPSG_NS1_7vsmem_tEENKUlT_SE_SF_SG_E_clIS8_S8_S9_S9_EESD_ST_SE_SF_SG_EUlST_E_NS1_11comp_targetILNS1_3genE3ELNS1_11target_archE908ELNS1_3gpuE7ELNS1_3repE0EEENS1_48merge_mergepath_partition_config_static_selectorELNS0_4arch9wavefront6targetE0EEEvSF_ ; -- Begin function _ZN7rocprim17ROCPRIM_400000_NS6detail17trampoline_kernelINS0_14default_configENS1_38merge_sort_block_merge_config_selectorIlNS0_10empty_typeEEEZZNS1_27merge_sort_block_merge_implIS3_PlPS5_jNS1_19radix_merge_compareILb1ELb0ElNS0_19identity_decomposerEEEEE10hipError_tT0_T1_T2_jT3_P12ihipStream_tbPNSt15iterator_traitsISE_E10value_typeEPNSK_ISF_E10value_typeEPSG_NS1_7vsmem_tEENKUlT_SE_SF_SG_E_clIS8_S8_S9_S9_EESD_ST_SE_SF_SG_EUlST_E_NS1_11comp_targetILNS1_3genE3ELNS1_11target_archE908ELNS1_3gpuE7ELNS1_3repE0EEENS1_48merge_mergepath_partition_config_static_selectorELNS0_4arch9wavefront6targetE0EEEvSF_
	.globl	_ZN7rocprim17ROCPRIM_400000_NS6detail17trampoline_kernelINS0_14default_configENS1_38merge_sort_block_merge_config_selectorIlNS0_10empty_typeEEEZZNS1_27merge_sort_block_merge_implIS3_PlPS5_jNS1_19radix_merge_compareILb1ELb0ElNS0_19identity_decomposerEEEEE10hipError_tT0_T1_T2_jT3_P12ihipStream_tbPNSt15iterator_traitsISE_E10value_typeEPNSK_ISF_E10value_typeEPSG_NS1_7vsmem_tEENKUlT_SE_SF_SG_E_clIS8_S8_S9_S9_EESD_ST_SE_SF_SG_EUlST_E_NS1_11comp_targetILNS1_3genE3ELNS1_11target_archE908ELNS1_3gpuE7ELNS1_3repE0EEENS1_48merge_mergepath_partition_config_static_selectorELNS0_4arch9wavefront6targetE0EEEvSF_
	.p2align	8
	.type	_ZN7rocprim17ROCPRIM_400000_NS6detail17trampoline_kernelINS0_14default_configENS1_38merge_sort_block_merge_config_selectorIlNS0_10empty_typeEEEZZNS1_27merge_sort_block_merge_implIS3_PlPS5_jNS1_19radix_merge_compareILb1ELb0ElNS0_19identity_decomposerEEEEE10hipError_tT0_T1_T2_jT3_P12ihipStream_tbPNSt15iterator_traitsISE_E10value_typeEPNSK_ISF_E10value_typeEPSG_NS1_7vsmem_tEENKUlT_SE_SF_SG_E_clIS8_S8_S9_S9_EESD_ST_SE_SF_SG_EUlST_E_NS1_11comp_targetILNS1_3genE3ELNS1_11target_archE908ELNS1_3gpuE7ELNS1_3repE0EEENS1_48merge_mergepath_partition_config_static_selectorELNS0_4arch9wavefront6targetE0EEEvSF_,@function
_ZN7rocprim17ROCPRIM_400000_NS6detail17trampoline_kernelINS0_14default_configENS1_38merge_sort_block_merge_config_selectorIlNS0_10empty_typeEEEZZNS1_27merge_sort_block_merge_implIS3_PlPS5_jNS1_19radix_merge_compareILb1ELb0ElNS0_19identity_decomposerEEEEE10hipError_tT0_T1_T2_jT3_P12ihipStream_tbPNSt15iterator_traitsISE_E10value_typeEPNSK_ISF_E10value_typeEPSG_NS1_7vsmem_tEENKUlT_SE_SF_SG_E_clIS8_S8_S9_S9_EESD_ST_SE_SF_SG_EUlST_E_NS1_11comp_targetILNS1_3genE3ELNS1_11target_archE908ELNS1_3gpuE7ELNS1_3repE0EEENS1_48merge_mergepath_partition_config_static_selectorELNS0_4arch9wavefront6targetE0EEEvSF_: ; @_ZN7rocprim17ROCPRIM_400000_NS6detail17trampoline_kernelINS0_14default_configENS1_38merge_sort_block_merge_config_selectorIlNS0_10empty_typeEEEZZNS1_27merge_sort_block_merge_implIS3_PlPS5_jNS1_19radix_merge_compareILb1ELb0ElNS0_19identity_decomposerEEEEE10hipError_tT0_T1_T2_jT3_P12ihipStream_tbPNSt15iterator_traitsISE_E10value_typeEPNSK_ISF_E10value_typeEPSG_NS1_7vsmem_tEENKUlT_SE_SF_SG_E_clIS8_S8_S9_S9_EESD_ST_SE_SF_SG_EUlST_E_NS1_11comp_targetILNS1_3genE3ELNS1_11target_archE908ELNS1_3gpuE7ELNS1_3repE0EEENS1_48merge_mergepath_partition_config_static_selectorELNS0_4arch9wavefront6targetE0EEEvSF_
; %bb.0:
	.section	.rodata,"a",@progbits
	.p2align	6, 0x0
	.amdhsa_kernel _ZN7rocprim17ROCPRIM_400000_NS6detail17trampoline_kernelINS0_14default_configENS1_38merge_sort_block_merge_config_selectorIlNS0_10empty_typeEEEZZNS1_27merge_sort_block_merge_implIS3_PlPS5_jNS1_19radix_merge_compareILb1ELb0ElNS0_19identity_decomposerEEEEE10hipError_tT0_T1_T2_jT3_P12ihipStream_tbPNSt15iterator_traitsISE_E10value_typeEPNSK_ISF_E10value_typeEPSG_NS1_7vsmem_tEENKUlT_SE_SF_SG_E_clIS8_S8_S9_S9_EESD_ST_SE_SF_SG_EUlST_E_NS1_11comp_targetILNS1_3genE3ELNS1_11target_archE908ELNS1_3gpuE7ELNS1_3repE0EEENS1_48merge_mergepath_partition_config_static_selectorELNS0_4arch9wavefront6targetE0EEEvSF_
		.amdhsa_group_segment_fixed_size 0
		.amdhsa_private_segment_fixed_size 0
		.amdhsa_kernarg_size 40
		.amdhsa_user_sgpr_count 2
		.amdhsa_user_sgpr_dispatch_ptr 0
		.amdhsa_user_sgpr_queue_ptr 0
		.amdhsa_user_sgpr_kernarg_segment_ptr 1
		.amdhsa_user_sgpr_dispatch_id 0
		.amdhsa_user_sgpr_kernarg_preload_length 0
		.amdhsa_user_sgpr_kernarg_preload_offset 0
		.amdhsa_user_sgpr_private_segment_size 0
		.amdhsa_wavefront_size32 1
		.amdhsa_uses_dynamic_stack 0
		.amdhsa_enable_private_segment 0
		.amdhsa_system_sgpr_workgroup_id_x 1
		.amdhsa_system_sgpr_workgroup_id_y 0
		.amdhsa_system_sgpr_workgroup_id_z 0
		.amdhsa_system_sgpr_workgroup_info 0
		.amdhsa_system_vgpr_workitem_id 0
		.amdhsa_next_free_vgpr 1
		.amdhsa_next_free_sgpr 1
		.amdhsa_named_barrier_count 0
		.amdhsa_reserve_vcc 0
		.amdhsa_float_round_mode_32 0
		.amdhsa_float_round_mode_16_64 0
		.amdhsa_float_denorm_mode_32 3
		.amdhsa_float_denorm_mode_16_64 3
		.amdhsa_fp16_overflow 0
		.amdhsa_memory_ordered 1
		.amdhsa_forward_progress 1
		.amdhsa_inst_pref_size 0
		.amdhsa_round_robin_scheduling 0
		.amdhsa_exception_fp_ieee_invalid_op 0
		.amdhsa_exception_fp_denorm_src 0
		.amdhsa_exception_fp_ieee_div_zero 0
		.amdhsa_exception_fp_ieee_overflow 0
		.amdhsa_exception_fp_ieee_underflow 0
		.amdhsa_exception_fp_ieee_inexact 0
		.amdhsa_exception_int_div_zero 0
	.end_amdhsa_kernel
	.section	.text._ZN7rocprim17ROCPRIM_400000_NS6detail17trampoline_kernelINS0_14default_configENS1_38merge_sort_block_merge_config_selectorIlNS0_10empty_typeEEEZZNS1_27merge_sort_block_merge_implIS3_PlPS5_jNS1_19radix_merge_compareILb1ELb0ElNS0_19identity_decomposerEEEEE10hipError_tT0_T1_T2_jT3_P12ihipStream_tbPNSt15iterator_traitsISE_E10value_typeEPNSK_ISF_E10value_typeEPSG_NS1_7vsmem_tEENKUlT_SE_SF_SG_E_clIS8_S8_S9_S9_EESD_ST_SE_SF_SG_EUlST_E_NS1_11comp_targetILNS1_3genE3ELNS1_11target_archE908ELNS1_3gpuE7ELNS1_3repE0EEENS1_48merge_mergepath_partition_config_static_selectorELNS0_4arch9wavefront6targetE0EEEvSF_,"axG",@progbits,_ZN7rocprim17ROCPRIM_400000_NS6detail17trampoline_kernelINS0_14default_configENS1_38merge_sort_block_merge_config_selectorIlNS0_10empty_typeEEEZZNS1_27merge_sort_block_merge_implIS3_PlPS5_jNS1_19radix_merge_compareILb1ELb0ElNS0_19identity_decomposerEEEEE10hipError_tT0_T1_T2_jT3_P12ihipStream_tbPNSt15iterator_traitsISE_E10value_typeEPNSK_ISF_E10value_typeEPSG_NS1_7vsmem_tEENKUlT_SE_SF_SG_E_clIS8_S8_S9_S9_EESD_ST_SE_SF_SG_EUlST_E_NS1_11comp_targetILNS1_3genE3ELNS1_11target_archE908ELNS1_3gpuE7ELNS1_3repE0EEENS1_48merge_mergepath_partition_config_static_selectorELNS0_4arch9wavefront6targetE0EEEvSF_,comdat
.Lfunc_end1018:
	.size	_ZN7rocprim17ROCPRIM_400000_NS6detail17trampoline_kernelINS0_14default_configENS1_38merge_sort_block_merge_config_selectorIlNS0_10empty_typeEEEZZNS1_27merge_sort_block_merge_implIS3_PlPS5_jNS1_19radix_merge_compareILb1ELb0ElNS0_19identity_decomposerEEEEE10hipError_tT0_T1_T2_jT3_P12ihipStream_tbPNSt15iterator_traitsISE_E10value_typeEPNSK_ISF_E10value_typeEPSG_NS1_7vsmem_tEENKUlT_SE_SF_SG_E_clIS8_S8_S9_S9_EESD_ST_SE_SF_SG_EUlST_E_NS1_11comp_targetILNS1_3genE3ELNS1_11target_archE908ELNS1_3gpuE7ELNS1_3repE0EEENS1_48merge_mergepath_partition_config_static_selectorELNS0_4arch9wavefront6targetE0EEEvSF_, .Lfunc_end1018-_ZN7rocprim17ROCPRIM_400000_NS6detail17trampoline_kernelINS0_14default_configENS1_38merge_sort_block_merge_config_selectorIlNS0_10empty_typeEEEZZNS1_27merge_sort_block_merge_implIS3_PlPS5_jNS1_19radix_merge_compareILb1ELb0ElNS0_19identity_decomposerEEEEE10hipError_tT0_T1_T2_jT3_P12ihipStream_tbPNSt15iterator_traitsISE_E10value_typeEPNSK_ISF_E10value_typeEPSG_NS1_7vsmem_tEENKUlT_SE_SF_SG_E_clIS8_S8_S9_S9_EESD_ST_SE_SF_SG_EUlST_E_NS1_11comp_targetILNS1_3genE3ELNS1_11target_archE908ELNS1_3gpuE7ELNS1_3repE0EEENS1_48merge_mergepath_partition_config_static_selectorELNS0_4arch9wavefront6targetE0EEEvSF_
                                        ; -- End function
	.set _ZN7rocprim17ROCPRIM_400000_NS6detail17trampoline_kernelINS0_14default_configENS1_38merge_sort_block_merge_config_selectorIlNS0_10empty_typeEEEZZNS1_27merge_sort_block_merge_implIS3_PlPS5_jNS1_19radix_merge_compareILb1ELb0ElNS0_19identity_decomposerEEEEE10hipError_tT0_T1_T2_jT3_P12ihipStream_tbPNSt15iterator_traitsISE_E10value_typeEPNSK_ISF_E10value_typeEPSG_NS1_7vsmem_tEENKUlT_SE_SF_SG_E_clIS8_S8_S9_S9_EESD_ST_SE_SF_SG_EUlST_E_NS1_11comp_targetILNS1_3genE3ELNS1_11target_archE908ELNS1_3gpuE7ELNS1_3repE0EEENS1_48merge_mergepath_partition_config_static_selectorELNS0_4arch9wavefront6targetE0EEEvSF_.num_vgpr, 0
	.set _ZN7rocprim17ROCPRIM_400000_NS6detail17trampoline_kernelINS0_14default_configENS1_38merge_sort_block_merge_config_selectorIlNS0_10empty_typeEEEZZNS1_27merge_sort_block_merge_implIS3_PlPS5_jNS1_19radix_merge_compareILb1ELb0ElNS0_19identity_decomposerEEEEE10hipError_tT0_T1_T2_jT3_P12ihipStream_tbPNSt15iterator_traitsISE_E10value_typeEPNSK_ISF_E10value_typeEPSG_NS1_7vsmem_tEENKUlT_SE_SF_SG_E_clIS8_S8_S9_S9_EESD_ST_SE_SF_SG_EUlST_E_NS1_11comp_targetILNS1_3genE3ELNS1_11target_archE908ELNS1_3gpuE7ELNS1_3repE0EEENS1_48merge_mergepath_partition_config_static_selectorELNS0_4arch9wavefront6targetE0EEEvSF_.num_agpr, 0
	.set _ZN7rocprim17ROCPRIM_400000_NS6detail17trampoline_kernelINS0_14default_configENS1_38merge_sort_block_merge_config_selectorIlNS0_10empty_typeEEEZZNS1_27merge_sort_block_merge_implIS3_PlPS5_jNS1_19radix_merge_compareILb1ELb0ElNS0_19identity_decomposerEEEEE10hipError_tT0_T1_T2_jT3_P12ihipStream_tbPNSt15iterator_traitsISE_E10value_typeEPNSK_ISF_E10value_typeEPSG_NS1_7vsmem_tEENKUlT_SE_SF_SG_E_clIS8_S8_S9_S9_EESD_ST_SE_SF_SG_EUlST_E_NS1_11comp_targetILNS1_3genE3ELNS1_11target_archE908ELNS1_3gpuE7ELNS1_3repE0EEENS1_48merge_mergepath_partition_config_static_selectorELNS0_4arch9wavefront6targetE0EEEvSF_.numbered_sgpr, 0
	.set _ZN7rocprim17ROCPRIM_400000_NS6detail17trampoline_kernelINS0_14default_configENS1_38merge_sort_block_merge_config_selectorIlNS0_10empty_typeEEEZZNS1_27merge_sort_block_merge_implIS3_PlPS5_jNS1_19radix_merge_compareILb1ELb0ElNS0_19identity_decomposerEEEEE10hipError_tT0_T1_T2_jT3_P12ihipStream_tbPNSt15iterator_traitsISE_E10value_typeEPNSK_ISF_E10value_typeEPSG_NS1_7vsmem_tEENKUlT_SE_SF_SG_E_clIS8_S8_S9_S9_EESD_ST_SE_SF_SG_EUlST_E_NS1_11comp_targetILNS1_3genE3ELNS1_11target_archE908ELNS1_3gpuE7ELNS1_3repE0EEENS1_48merge_mergepath_partition_config_static_selectorELNS0_4arch9wavefront6targetE0EEEvSF_.num_named_barrier, 0
	.set _ZN7rocprim17ROCPRIM_400000_NS6detail17trampoline_kernelINS0_14default_configENS1_38merge_sort_block_merge_config_selectorIlNS0_10empty_typeEEEZZNS1_27merge_sort_block_merge_implIS3_PlPS5_jNS1_19radix_merge_compareILb1ELb0ElNS0_19identity_decomposerEEEEE10hipError_tT0_T1_T2_jT3_P12ihipStream_tbPNSt15iterator_traitsISE_E10value_typeEPNSK_ISF_E10value_typeEPSG_NS1_7vsmem_tEENKUlT_SE_SF_SG_E_clIS8_S8_S9_S9_EESD_ST_SE_SF_SG_EUlST_E_NS1_11comp_targetILNS1_3genE3ELNS1_11target_archE908ELNS1_3gpuE7ELNS1_3repE0EEENS1_48merge_mergepath_partition_config_static_selectorELNS0_4arch9wavefront6targetE0EEEvSF_.private_seg_size, 0
	.set _ZN7rocprim17ROCPRIM_400000_NS6detail17trampoline_kernelINS0_14default_configENS1_38merge_sort_block_merge_config_selectorIlNS0_10empty_typeEEEZZNS1_27merge_sort_block_merge_implIS3_PlPS5_jNS1_19radix_merge_compareILb1ELb0ElNS0_19identity_decomposerEEEEE10hipError_tT0_T1_T2_jT3_P12ihipStream_tbPNSt15iterator_traitsISE_E10value_typeEPNSK_ISF_E10value_typeEPSG_NS1_7vsmem_tEENKUlT_SE_SF_SG_E_clIS8_S8_S9_S9_EESD_ST_SE_SF_SG_EUlST_E_NS1_11comp_targetILNS1_3genE3ELNS1_11target_archE908ELNS1_3gpuE7ELNS1_3repE0EEENS1_48merge_mergepath_partition_config_static_selectorELNS0_4arch9wavefront6targetE0EEEvSF_.uses_vcc, 0
	.set _ZN7rocprim17ROCPRIM_400000_NS6detail17trampoline_kernelINS0_14default_configENS1_38merge_sort_block_merge_config_selectorIlNS0_10empty_typeEEEZZNS1_27merge_sort_block_merge_implIS3_PlPS5_jNS1_19radix_merge_compareILb1ELb0ElNS0_19identity_decomposerEEEEE10hipError_tT0_T1_T2_jT3_P12ihipStream_tbPNSt15iterator_traitsISE_E10value_typeEPNSK_ISF_E10value_typeEPSG_NS1_7vsmem_tEENKUlT_SE_SF_SG_E_clIS8_S8_S9_S9_EESD_ST_SE_SF_SG_EUlST_E_NS1_11comp_targetILNS1_3genE3ELNS1_11target_archE908ELNS1_3gpuE7ELNS1_3repE0EEENS1_48merge_mergepath_partition_config_static_selectorELNS0_4arch9wavefront6targetE0EEEvSF_.uses_flat_scratch, 0
	.set _ZN7rocprim17ROCPRIM_400000_NS6detail17trampoline_kernelINS0_14default_configENS1_38merge_sort_block_merge_config_selectorIlNS0_10empty_typeEEEZZNS1_27merge_sort_block_merge_implIS3_PlPS5_jNS1_19radix_merge_compareILb1ELb0ElNS0_19identity_decomposerEEEEE10hipError_tT0_T1_T2_jT3_P12ihipStream_tbPNSt15iterator_traitsISE_E10value_typeEPNSK_ISF_E10value_typeEPSG_NS1_7vsmem_tEENKUlT_SE_SF_SG_E_clIS8_S8_S9_S9_EESD_ST_SE_SF_SG_EUlST_E_NS1_11comp_targetILNS1_3genE3ELNS1_11target_archE908ELNS1_3gpuE7ELNS1_3repE0EEENS1_48merge_mergepath_partition_config_static_selectorELNS0_4arch9wavefront6targetE0EEEvSF_.has_dyn_sized_stack, 0
	.set _ZN7rocprim17ROCPRIM_400000_NS6detail17trampoline_kernelINS0_14default_configENS1_38merge_sort_block_merge_config_selectorIlNS0_10empty_typeEEEZZNS1_27merge_sort_block_merge_implIS3_PlPS5_jNS1_19radix_merge_compareILb1ELb0ElNS0_19identity_decomposerEEEEE10hipError_tT0_T1_T2_jT3_P12ihipStream_tbPNSt15iterator_traitsISE_E10value_typeEPNSK_ISF_E10value_typeEPSG_NS1_7vsmem_tEENKUlT_SE_SF_SG_E_clIS8_S8_S9_S9_EESD_ST_SE_SF_SG_EUlST_E_NS1_11comp_targetILNS1_3genE3ELNS1_11target_archE908ELNS1_3gpuE7ELNS1_3repE0EEENS1_48merge_mergepath_partition_config_static_selectorELNS0_4arch9wavefront6targetE0EEEvSF_.has_recursion, 0
	.set _ZN7rocprim17ROCPRIM_400000_NS6detail17trampoline_kernelINS0_14default_configENS1_38merge_sort_block_merge_config_selectorIlNS0_10empty_typeEEEZZNS1_27merge_sort_block_merge_implIS3_PlPS5_jNS1_19radix_merge_compareILb1ELb0ElNS0_19identity_decomposerEEEEE10hipError_tT0_T1_T2_jT3_P12ihipStream_tbPNSt15iterator_traitsISE_E10value_typeEPNSK_ISF_E10value_typeEPSG_NS1_7vsmem_tEENKUlT_SE_SF_SG_E_clIS8_S8_S9_S9_EESD_ST_SE_SF_SG_EUlST_E_NS1_11comp_targetILNS1_3genE3ELNS1_11target_archE908ELNS1_3gpuE7ELNS1_3repE0EEENS1_48merge_mergepath_partition_config_static_selectorELNS0_4arch9wavefront6targetE0EEEvSF_.has_indirect_call, 0
	.section	.AMDGPU.csdata,"",@progbits
; Kernel info:
; codeLenInByte = 0
; TotalNumSgprs: 0
; NumVgprs: 0
; ScratchSize: 0
; MemoryBound: 0
; FloatMode: 240
; IeeeMode: 1
; LDSByteSize: 0 bytes/workgroup (compile time only)
; SGPRBlocks: 0
; VGPRBlocks: 0
; NumSGPRsForWavesPerEU: 1
; NumVGPRsForWavesPerEU: 1
; NamedBarCnt: 0
; Occupancy: 16
; WaveLimiterHint : 0
; COMPUTE_PGM_RSRC2:SCRATCH_EN: 0
; COMPUTE_PGM_RSRC2:USER_SGPR: 2
; COMPUTE_PGM_RSRC2:TRAP_HANDLER: 0
; COMPUTE_PGM_RSRC2:TGID_X_EN: 1
; COMPUTE_PGM_RSRC2:TGID_Y_EN: 0
; COMPUTE_PGM_RSRC2:TGID_Z_EN: 0
; COMPUTE_PGM_RSRC2:TIDIG_COMP_CNT: 0
	.section	.text._ZN7rocprim17ROCPRIM_400000_NS6detail17trampoline_kernelINS0_14default_configENS1_38merge_sort_block_merge_config_selectorIlNS0_10empty_typeEEEZZNS1_27merge_sort_block_merge_implIS3_PlPS5_jNS1_19radix_merge_compareILb1ELb0ElNS0_19identity_decomposerEEEEE10hipError_tT0_T1_T2_jT3_P12ihipStream_tbPNSt15iterator_traitsISE_E10value_typeEPNSK_ISF_E10value_typeEPSG_NS1_7vsmem_tEENKUlT_SE_SF_SG_E_clIS8_S8_S9_S9_EESD_ST_SE_SF_SG_EUlST_E_NS1_11comp_targetILNS1_3genE2ELNS1_11target_archE906ELNS1_3gpuE6ELNS1_3repE0EEENS1_48merge_mergepath_partition_config_static_selectorELNS0_4arch9wavefront6targetE0EEEvSF_,"axG",@progbits,_ZN7rocprim17ROCPRIM_400000_NS6detail17trampoline_kernelINS0_14default_configENS1_38merge_sort_block_merge_config_selectorIlNS0_10empty_typeEEEZZNS1_27merge_sort_block_merge_implIS3_PlPS5_jNS1_19radix_merge_compareILb1ELb0ElNS0_19identity_decomposerEEEEE10hipError_tT0_T1_T2_jT3_P12ihipStream_tbPNSt15iterator_traitsISE_E10value_typeEPNSK_ISF_E10value_typeEPSG_NS1_7vsmem_tEENKUlT_SE_SF_SG_E_clIS8_S8_S9_S9_EESD_ST_SE_SF_SG_EUlST_E_NS1_11comp_targetILNS1_3genE2ELNS1_11target_archE906ELNS1_3gpuE6ELNS1_3repE0EEENS1_48merge_mergepath_partition_config_static_selectorELNS0_4arch9wavefront6targetE0EEEvSF_,comdat
	.protected	_ZN7rocprim17ROCPRIM_400000_NS6detail17trampoline_kernelINS0_14default_configENS1_38merge_sort_block_merge_config_selectorIlNS0_10empty_typeEEEZZNS1_27merge_sort_block_merge_implIS3_PlPS5_jNS1_19radix_merge_compareILb1ELb0ElNS0_19identity_decomposerEEEEE10hipError_tT0_T1_T2_jT3_P12ihipStream_tbPNSt15iterator_traitsISE_E10value_typeEPNSK_ISF_E10value_typeEPSG_NS1_7vsmem_tEENKUlT_SE_SF_SG_E_clIS8_S8_S9_S9_EESD_ST_SE_SF_SG_EUlST_E_NS1_11comp_targetILNS1_3genE2ELNS1_11target_archE906ELNS1_3gpuE6ELNS1_3repE0EEENS1_48merge_mergepath_partition_config_static_selectorELNS0_4arch9wavefront6targetE0EEEvSF_ ; -- Begin function _ZN7rocprim17ROCPRIM_400000_NS6detail17trampoline_kernelINS0_14default_configENS1_38merge_sort_block_merge_config_selectorIlNS0_10empty_typeEEEZZNS1_27merge_sort_block_merge_implIS3_PlPS5_jNS1_19radix_merge_compareILb1ELb0ElNS0_19identity_decomposerEEEEE10hipError_tT0_T1_T2_jT3_P12ihipStream_tbPNSt15iterator_traitsISE_E10value_typeEPNSK_ISF_E10value_typeEPSG_NS1_7vsmem_tEENKUlT_SE_SF_SG_E_clIS8_S8_S9_S9_EESD_ST_SE_SF_SG_EUlST_E_NS1_11comp_targetILNS1_3genE2ELNS1_11target_archE906ELNS1_3gpuE6ELNS1_3repE0EEENS1_48merge_mergepath_partition_config_static_selectorELNS0_4arch9wavefront6targetE0EEEvSF_
	.globl	_ZN7rocprim17ROCPRIM_400000_NS6detail17trampoline_kernelINS0_14default_configENS1_38merge_sort_block_merge_config_selectorIlNS0_10empty_typeEEEZZNS1_27merge_sort_block_merge_implIS3_PlPS5_jNS1_19radix_merge_compareILb1ELb0ElNS0_19identity_decomposerEEEEE10hipError_tT0_T1_T2_jT3_P12ihipStream_tbPNSt15iterator_traitsISE_E10value_typeEPNSK_ISF_E10value_typeEPSG_NS1_7vsmem_tEENKUlT_SE_SF_SG_E_clIS8_S8_S9_S9_EESD_ST_SE_SF_SG_EUlST_E_NS1_11comp_targetILNS1_3genE2ELNS1_11target_archE906ELNS1_3gpuE6ELNS1_3repE0EEENS1_48merge_mergepath_partition_config_static_selectorELNS0_4arch9wavefront6targetE0EEEvSF_
	.p2align	8
	.type	_ZN7rocprim17ROCPRIM_400000_NS6detail17trampoline_kernelINS0_14default_configENS1_38merge_sort_block_merge_config_selectorIlNS0_10empty_typeEEEZZNS1_27merge_sort_block_merge_implIS3_PlPS5_jNS1_19radix_merge_compareILb1ELb0ElNS0_19identity_decomposerEEEEE10hipError_tT0_T1_T2_jT3_P12ihipStream_tbPNSt15iterator_traitsISE_E10value_typeEPNSK_ISF_E10value_typeEPSG_NS1_7vsmem_tEENKUlT_SE_SF_SG_E_clIS8_S8_S9_S9_EESD_ST_SE_SF_SG_EUlST_E_NS1_11comp_targetILNS1_3genE2ELNS1_11target_archE906ELNS1_3gpuE6ELNS1_3repE0EEENS1_48merge_mergepath_partition_config_static_selectorELNS0_4arch9wavefront6targetE0EEEvSF_,@function
_ZN7rocprim17ROCPRIM_400000_NS6detail17trampoline_kernelINS0_14default_configENS1_38merge_sort_block_merge_config_selectorIlNS0_10empty_typeEEEZZNS1_27merge_sort_block_merge_implIS3_PlPS5_jNS1_19radix_merge_compareILb1ELb0ElNS0_19identity_decomposerEEEEE10hipError_tT0_T1_T2_jT3_P12ihipStream_tbPNSt15iterator_traitsISE_E10value_typeEPNSK_ISF_E10value_typeEPSG_NS1_7vsmem_tEENKUlT_SE_SF_SG_E_clIS8_S8_S9_S9_EESD_ST_SE_SF_SG_EUlST_E_NS1_11comp_targetILNS1_3genE2ELNS1_11target_archE906ELNS1_3gpuE6ELNS1_3repE0EEENS1_48merge_mergepath_partition_config_static_selectorELNS0_4arch9wavefront6targetE0EEEvSF_: ; @_ZN7rocprim17ROCPRIM_400000_NS6detail17trampoline_kernelINS0_14default_configENS1_38merge_sort_block_merge_config_selectorIlNS0_10empty_typeEEEZZNS1_27merge_sort_block_merge_implIS3_PlPS5_jNS1_19radix_merge_compareILb1ELb0ElNS0_19identity_decomposerEEEEE10hipError_tT0_T1_T2_jT3_P12ihipStream_tbPNSt15iterator_traitsISE_E10value_typeEPNSK_ISF_E10value_typeEPSG_NS1_7vsmem_tEENKUlT_SE_SF_SG_E_clIS8_S8_S9_S9_EESD_ST_SE_SF_SG_EUlST_E_NS1_11comp_targetILNS1_3genE2ELNS1_11target_archE906ELNS1_3gpuE6ELNS1_3repE0EEENS1_48merge_mergepath_partition_config_static_selectorELNS0_4arch9wavefront6targetE0EEEvSF_
; %bb.0:
	.section	.rodata,"a",@progbits
	.p2align	6, 0x0
	.amdhsa_kernel _ZN7rocprim17ROCPRIM_400000_NS6detail17trampoline_kernelINS0_14default_configENS1_38merge_sort_block_merge_config_selectorIlNS0_10empty_typeEEEZZNS1_27merge_sort_block_merge_implIS3_PlPS5_jNS1_19radix_merge_compareILb1ELb0ElNS0_19identity_decomposerEEEEE10hipError_tT0_T1_T2_jT3_P12ihipStream_tbPNSt15iterator_traitsISE_E10value_typeEPNSK_ISF_E10value_typeEPSG_NS1_7vsmem_tEENKUlT_SE_SF_SG_E_clIS8_S8_S9_S9_EESD_ST_SE_SF_SG_EUlST_E_NS1_11comp_targetILNS1_3genE2ELNS1_11target_archE906ELNS1_3gpuE6ELNS1_3repE0EEENS1_48merge_mergepath_partition_config_static_selectorELNS0_4arch9wavefront6targetE0EEEvSF_
		.amdhsa_group_segment_fixed_size 0
		.amdhsa_private_segment_fixed_size 0
		.amdhsa_kernarg_size 40
		.amdhsa_user_sgpr_count 2
		.amdhsa_user_sgpr_dispatch_ptr 0
		.amdhsa_user_sgpr_queue_ptr 0
		.amdhsa_user_sgpr_kernarg_segment_ptr 1
		.amdhsa_user_sgpr_dispatch_id 0
		.amdhsa_user_sgpr_kernarg_preload_length 0
		.amdhsa_user_sgpr_kernarg_preload_offset 0
		.amdhsa_user_sgpr_private_segment_size 0
		.amdhsa_wavefront_size32 1
		.amdhsa_uses_dynamic_stack 0
		.amdhsa_enable_private_segment 0
		.amdhsa_system_sgpr_workgroup_id_x 1
		.amdhsa_system_sgpr_workgroup_id_y 0
		.amdhsa_system_sgpr_workgroup_id_z 0
		.amdhsa_system_sgpr_workgroup_info 0
		.amdhsa_system_vgpr_workitem_id 0
		.amdhsa_next_free_vgpr 1
		.amdhsa_next_free_sgpr 1
		.amdhsa_named_barrier_count 0
		.amdhsa_reserve_vcc 0
		.amdhsa_float_round_mode_32 0
		.amdhsa_float_round_mode_16_64 0
		.amdhsa_float_denorm_mode_32 3
		.amdhsa_float_denorm_mode_16_64 3
		.amdhsa_fp16_overflow 0
		.amdhsa_memory_ordered 1
		.amdhsa_forward_progress 1
		.amdhsa_inst_pref_size 0
		.amdhsa_round_robin_scheduling 0
		.amdhsa_exception_fp_ieee_invalid_op 0
		.amdhsa_exception_fp_denorm_src 0
		.amdhsa_exception_fp_ieee_div_zero 0
		.amdhsa_exception_fp_ieee_overflow 0
		.amdhsa_exception_fp_ieee_underflow 0
		.amdhsa_exception_fp_ieee_inexact 0
		.amdhsa_exception_int_div_zero 0
	.end_amdhsa_kernel
	.section	.text._ZN7rocprim17ROCPRIM_400000_NS6detail17trampoline_kernelINS0_14default_configENS1_38merge_sort_block_merge_config_selectorIlNS0_10empty_typeEEEZZNS1_27merge_sort_block_merge_implIS3_PlPS5_jNS1_19radix_merge_compareILb1ELb0ElNS0_19identity_decomposerEEEEE10hipError_tT0_T1_T2_jT3_P12ihipStream_tbPNSt15iterator_traitsISE_E10value_typeEPNSK_ISF_E10value_typeEPSG_NS1_7vsmem_tEENKUlT_SE_SF_SG_E_clIS8_S8_S9_S9_EESD_ST_SE_SF_SG_EUlST_E_NS1_11comp_targetILNS1_3genE2ELNS1_11target_archE906ELNS1_3gpuE6ELNS1_3repE0EEENS1_48merge_mergepath_partition_config_static_selectorELNS0_4arch9wavefront6targetE0EEEvSF_,"axG",@progbits,_ZN7rocprim17ROCPRIM_400000_NS6detail17trampoline_kernelINS0_14default_configENS1_38merge_sort_block_merge_config_selectorIlNS0_10empty_typeEEEZZNS1_27merge_sort_block_merge_implIS3_PlPS5_jNS1_19radix_merge_compareILb1ELb0ElNS0_19identity_decomposerEEEEE10hipError_tT0_T1_T2_jT3_P12ihipStream_tbPNSt15iterator_traitsISE_E10value_typeEPNSK_ISF_E10value_typeEPSG_NS1_7vsmem_tEENKUlT_SE_SF_SG_E_clIS8_S8_S9_S9_EESD_ST_SE_SF_SG_EUlST_E_NS1_11comp_targetILNS1_3genE2ELNS1_11target_archE906ELNS1_3gpuE6ELNS1_3repE0EEENS1_48merge_mergepath_partition_config_static_selectorELNS0_4arch9wavefront6targetE0EEEvSF_,comdat
.Lfunc_end1019:
	.size	_ZN7rocprim17ROCPRIM_400000_NS6detail17trampoline_kernelINS0_14default_configENS1_38merge_sort_block_merge_config_selectorIlNS0_10empty_typeEEEZZNS1_27merge_sort_block_merge_implIS3_PlPS5_jNS1_19radix_merge_compareILb1ELb0ElNS0_19identity_decomposerEEEEE10hipError_tT0_T1_T2_jT3_P12ihipStream_tbPNSt15iterator_traitsISE_E10value_typeEPNSK_ISF_E10value_typeEPSG_NS1_7vsmem_tEENKUlT_SE_SF_SG_E_clIS8_S8_S9_S9_EESD_ST_SE_SF_SG_EUlST_E_NS1_11comp_targetILNS1_3genE2ELNS1_11target_archE906ELNS1_3gpuE6ELNS1_3repE0EEENS1_48merge_mergepath_partition_config_static_selectorELNS0_4arch9wavefront6targetE0EEEvSF_, .Lfunc_end1019-_ZN7rocprim17ROCPRIM_400000_NS6detail17trampoline_kernelINS0_14default_configENS1_38merge_sort_block_merge_config_selectorIlNS0_10empty_typeEEEZZNS1_27merge_sort_block_merge_implIS3_PlPS5_jNS1_19radix_merge_compareILb1ELb0ElNS0_19identity_decomposerEEEEE10hipError_tT0_T1_T2_jT3_P12ihipStream_tbPNSt15iterator_traitsISE_E10value_typeEPNSK_ISF_E10value_typeEPSG_NS1_7vsmem_tEENKUlT_SE_SF_SG_E_clIS8_S8_S9_S9_EESD_ST_SE_SF_SG_EUlST_E_NS1_11comp_targetILNS1_3genE2ELNS1_11target_archE906ELNS1_3gpuE6ELNS1_3repE0EEENS1_48merge_mergepath_partition_config_static_selectorELNS0_4arch9wavefront6targetE0EEEvSF_
                                        ; -- End function
	.set _ZN7rocprim17ROCPRIM_400000_NS6detail17trampoline_kernelINS0_14default_configENS1_38merge_sort_block_merge_config_selectorIlNS0_10empty_typeEEEZZNS1_27merge_sort_block_merge_implIS3_PlPS5_jNS1_19radix_merge_compareILb1ELb0ElNS0_19identity_decomposerEEEEE10hipError_tT0_T1_T2_jT3_P12ihipStream_tbPNSt15iterator_traitsISE_E10value_typeEPNSK_ISF_E10value_typeEPSG_NS1_7vsmem_tEENKUlT_SE_SF_SG_E_clIS8_S8_S9_S9_EESD_ST_SE_SF_SG_EUlST_E_NS1_11comp_targetILNS1_3genE2ELNS1_11target_archE906ELNS1_3gpuE6ELNS1_3repE0EEENS1_48merge_mergepath_partition_config_static_selectorELNS0_4arch9wavefront6targetE0EEEvSF_.num_vgpr, 0
	.set _ZN7rocprim17ROCPRIM_400000_NS6detail17trampoline_kernelINS0_14default_configENS1_38merge_sort_block_merge_config_selectorIlNS0_10empty_typeEEEZZNS1_27merge_sort_block_merge_implIS3_PlPS5_jNS1_19radix_merge_compareILb1ELb0ElNS0_19identity_decomposerEEEEE10hipError_tT0_T1_T2_jT3_P12ihipStream_tbPNSt15iterator_traitsISE_E10value_typeEPNSK_ISF_E10value_typeEPSG_NS1_7vsmem_tEENKUlT_SE_SF_SG_E_clIS8_S8_S9_S9_EESD_ST_SE_SF_SG_EUlST_E_NS1_11comp_targetILNS1_3genE2ELNS1_11target_archE906ELNS1_3gpuE6ELNS1_3repE0EEENS1_48merge_mergepath_partition_config_static_selectorELNS0_4arch9wavefront6targetE0EEEvSF_.num_agpr, 0
	.set _ZN7rocprim17ROCPRIM_400000_NS6detail17trampoline_kernelINS0_14default_configENS1_38merge_sort_block_merge_config_selectorIlNS0_10empty_typeEEEZZNS1_27merge_sort_block_merge_implIS3_PlPS5_jNS1_19radix_merge_compareILb1ELb0ElNS0_19identity_decomposerEEEEE10hipError_tT0_T1_T2_jT3_P12ihipStream_tbPNSt15iterator_traitsISE_E10value_typeEPNSK_ISF_E10value_typeEPSG_NS1_7vsmem_tEENKUlT_SE_SF_SG_E_clIS8_S8_S9_S9_EESD_ST_SE_SF_SG_EUlST_E_NS1_11comp_targetILNS1_3genE2ELNS1_11target_archE906ELNS1_3gpuE6ELNS1_3repE0EEENS1_48merge_mergepath_partition_config_static_selectorELNS0_4arch9wavefront6targetE0EEEvSF_.numbered_sgpr, 0
	.set _ZN7rocprim17ROCPRIM_400000_NS6detail17trampoline_kernelINS0_14default_configENS1_38merge_sort_block_merge_config_selectorIlNS0_10empty_typeEEEZZNS1_27merge_sort_block_merge_implIS3_PlPS5_jNS1_19radix_merge_compareILb1ELb0ElNS0_19identity_decomposerEEEEE10hipError_tT0_T1_T2_jT3_P12ihipStream_tbPNSt15iterator_traitsISE_E10value_typeEPNSK_ISF_E10value_typeEPSG_NS1_7vsmem_tEENKUlT_SE_SF_SG_E_clIS8_S8_S9_S9_EESD_ST_SE_SF_SG_EUlST_E_NS1_11comp_targetILNS1_3genE2ELNS1_11target_archE906ELNS1_3gpuE6ELNS1_3repE0EEENS1_48merge_mergepath_partition_config_static_selectorELNS0_4arch9wavefront6targetE0EEEvSF_.num_named_barrier, 0
	.set _ZN7rocprim17ROCPRIM_400000_NS6detail17trampoline_kernelINS0_14default_configENS1_38merge_sort_block_merge_config_selectorIlNS0_10empty_typeEEEZZNS1_27merge_sort_block_merge_implIS3_PlPS5_jNS1_19radix_merge_compareILb1ELb0ElNS0_19identity_decomposerEEEEE10hipError_tT0_T1_T2_jT3_P12ihipStream_tbPNSt15iterator_traitsISE_E10value_typeEPNSK_ISF_E10value_typeEPSG_NS1_7vsmem_tEENKUlT_SE_SF_SG_E_clIS8_S8_S9_S9_EESD_ST_SE_SF_SG_EUlST_E_NS1_11comp_targetILNS1_3genE2ELNS1_11target_archE906ELNS1_3gpuE6ELNS1_3repE0EEENS1_48merge_mergepath_partition_config_static_selectorELNS0_4arch9wavefront6targetE0EEEvSF_.private_seg_size, 0
	.set _ZN7rocprim17ROCPRIM_400000_NS6detail17trampoline_kernelINS0_14default_configENS1_38merge_sort_block_merge_config_selectorIlNS0_10empty_typeEEEZZNS1_27merge_sort_block_merge_implIS3_PlPS5_jNS1_19radix_merge_compareILb1ELb0ElNS0_19identity_decomposerEEEEE10hipError_tT0_T1_T2_jT3_P12ihipStream_tbPNSt15iterator_traitsISE_E10value_typeEPNSK_ISF_E10value_typeEPSG_NS1_7vsmem_tEENKUlT_SE_SF_SG_E_clIS8_S8_S9_S9_EESD_ST_SE_SF_SG_EUlST_E_NS1_11comp_targetILNS1_3genE2ELNS1_11target_archE906ELNS1_3gpuE6ELNS1_3repE0EEENS1_48merge_mergepath_partition_config_static_selectorELNS0_4arch9wavefront6targetE0EEEvSF_.uses_vcc, 0
	.set _ZN7rocprim17ROCPRIM_400000_NS6detail17trampoline_kernelINS0_14default_configENS1_38merge_sort_block_merge_config_selectorIlNS0_10empty_typeEEEZZNS1_27merge_sort_block_merge_implIS3_PlPS5_jNS1_19radix_merge_compareILb1ELb0ElNS0_19identity_decomposerEEEEE10hipError_tT0_T1_T2_jT3_P12ihipStream_tbPNSt15iterator_traitsISE_E10value_typeEPNSK_ISF_E10value_typeEPSG_NS1_7vsmem_tEENKUlT_SE_SF_SG_E_clIS8_S8_S9_S9_EESD_ST_SE_SF_SG_EUlST_E_NS1_11comp_targetILNS1_3genE2ELNS1_11target_archE906ELNS1_3gpuE6ELNS1_3repE0EEENS1_48merge_mergepath_partition_config_static_selectorELNS0_4arch9wavefront6targetE0EEEvSF_.uses_flat_scratch, 0
	.set _ZN7rocprim17ROCPRIM_400000_NS6detail17trampoline_kernelINS0_14default_configENS1_38merge_sort_block_merge_config_selectorIlNS0_10empty_typeEEEZZNS1_27merge_sort_block_merge_implIS3_PlPS5_jNS1_19radix_merge_compareILb1ELb0ElNS0_19identity_decomposerEEEEE10hipError_tT0_T1_T2_jT3_P12ihipStream_tbPNSt15iterator_traitsISE_E10value_typeEPNSK_ISF_E10value_typeEPSG_NS1_7vsmem_tEENKUlT_SE_SF_SG_E_clIS8_S8_S9_S9_EESD_ST_SE_SF_SG_EUlST_E_NS1_11comp_targetILNS1_3genE2ELNS1_11target_archE906ELNS1_3gpuE6ELNS1_3repE0EEENS1_48merge_mergepath_partition_config_static_selectorELNS0_4arch9wavefront6targetE0EEEvSF_.has_dyn_sized_stack, 0
	.set _ZN7rocprim17ROCPRIM_400000_NS6detail17trampoline_kernelINS0_14default_configENS1_38merge_sort_block_merge_config_selectorIlNS0_10empty_typeEEEZZNS1_27merge_sort_block_merge_implIS3_PlPS5_jNS1_19radix_merge_compareILb1ELb0ElNS0_19identity_decomposerEEEEE10hipError_tT0_T1_T2_jT3_P12ihipStream_tbPNSt15iterator_traitsISE_E10value_typeEPNSK_ISF_E10value_typeEPSG_NS1_7vsmem_tEENKUlT_SE_SF_SG_E_clIS8_S8_S9_S9_EESD_ST_SE_SF_SG_EUlST_E_NS1_11comp_targetILNS1_3genE2ELNS1_11target_archE906ELNS1_3gpuE6ELNS1_3repE0EEENS1_48merge_mergepath_partition_config_static_selectorELNS0_4arch9wavefront6targetE0EEEvSF_.has_recursion, 0
	.set _ZN7rocprim17ROCPRIM_400000_NS6detail17trampoline_kernelINS0_14default_configENS1_38merge_sort_block_merge_config_selectorIlNS0_10empty_typeEEEZZNS1_27merge_sort_block_merge_implIS3_PlPS5_jNS1_19radix_merge_compareILb1ELb0ElNS0_19identity_decomposerEEEEE10hipError_tT0_T1_T2_jT3_P12ihipStream_tbPNSt15iterator_traitsISE_E10value_typeEPNSK_ISF_E10value_typeEPSG_NS1_7vsmem_tEENKUlT_SE_SF_SG_E_clIS8_S8_S9_S9_EESD_ST_SE_SF_SG_EUlST_E_NS1_11comp_targetILNS1_3genE2ELNS1_11target_archE906ELNS1_3gpuE6ELNS1_3repE0EEENS1_48merge_mergepath_partition_config_static_selectorELNS0_4arch9wavefront6targetE0EEEvSF_.has_indirect_call, 0
	.section	.AMDGPU.csdata,"",@progbits
; Kernel info:
; codeLenInByte = 0
; TotalNumSgprs: 0
; NumVgprs: 0
; ScratchSize: 0
; MemoryBound: 0
; FloatMode: 240
; IeeeMode: 1
; LDSByteSize: 0 bytes/workgroup (compile time only)
; SGPRBlocks: 0
; VGPRBlocks: 0
; NumSGPRsForWavesPerEU: 1
; NumVGPRsForWavesPerEU: 1
; NamedBarCnt: 0
; Occupancy: 16
; WaveLimiterHint : 0
; COMPUTE_PGM_RSRC2:SCRATCH_EN: 0
; COMPUTE_PGM_RSRC2:USER_SGPR: 2
; COMPUTE_PGM_RSRC2:TRAP_HANDLER: 0
; COMPUTE_PGM_RSRC2:TGID_X_EN: 1
; COMPUTE_PGM_RSRC2:TGID_Y_EN: 0
; COMPUTE_PGM_RSRC2:TGID_Z_EN: 0
; COMPUTE_PGM_RSRC2:TIDIG_COMP_CNT: 0
	.section	.text._ZN7rocprim17ROCPRIM_400000_NS6detail17trampoline_kernelINS0_14default_configENS1_38merge_sort_block_merge_config_selectorIlNS0_10empty_typeEEEZZNS1_27merge_sort_block_merge_implIS3_PlPS5_jNS1_19radix_merge_compareILb1ELb0ElNS0_19identity_decomposerEEEEE10hipError_tT0_T1_T2_jT3_P12ihipStream_tbPNSt15iterator_traitsISE_E10value_typeEPNSK_ISF_E10value_typeEPSG_NS1_7vsmem_tEENKUlT_SE_SF_SG_E_clIS8_S8_S9_S9_EESD_ST_SE_SF_SG_EUlST_E_NS1_11comp_targetILNS1_3genE9ELNS1_11target_archE1100ELNS1_3gpuE3ELNS1_3repE0EEENS1_48merge_mergepath_partition_config_static_selectorELNS0_4arch9wavefront6targetE0EEEvSF_,"axG",@progbits,_ZN7rocprim17ROCPRIM_400000_NS6detail17trampoline_kernelINS0_14default_configENS1_38merge_sort_block_merge_config_selectorIlNS0_10empty_typeEEEZZNS1_27merge_sort_block_merge_implIS3_PlPS5_jNS1_19radix_merge_compareILb1ELb0ElNS0_19identity_decomposerEEEEE10hipError_tT0_T1_T2_jT3_P12ihipStream_tbPNSt15iterator_traitsISE_E10value_typeEPNSK_ISF_E10value_typeEPSG_NS1_7vsmem_tEENKUlT_SE_SF_SG_E_clIS8_S8_S9_S9_EESD_ST_SE_SF_SG_EUlST_E_NS1_11comp_targetILNS1_3genE9ELNS1_11target_archE1100ELNS1_3gpuE3ELNS1_3repE0EEENS1_48merge_mergepath_partition_config_static_selectorELNS0_4arch9wavefront6targetE0EEEvSF_,comdat
	.protected	_ZN7rocprim17ROCPRIM_400000_NS6detail17trampoline_kernelINS0_14default_configENS1_38merge_sort_block_merge_config_selectorIlNS0_10empty_typeEEEZZNS1_27merge_sort_block_merge_implIS3_PlPS5_jNS1_19radix_merge_compareILb1ELb0ElNS0_19identity_decomposerEEEEE10hipError_tT0_T1_T2_jT3_P12ihipStream_tbPNSt15iterator_traitsISE_E10value_typeEPNSK_ISF_E10value_typeEPSG_NS1_7vsmem_tEENKUlT_SE_SF_SG_E_clIS8_S8_S9_S9_EESD_ST_SE_SF_SG_EUlST_E_NS1_11comp_targetILNS1_3genE9ELNS1_11target_archE1100ELNS1_3gpuE3ELNS1_3repE0EEENS1_48merge_mergepath_partition_config_static_selectorELNS0_4arch9wavefront6targetE0EEEvSF_ ; -- Begin function _ZN7rocprim17ROCPRIM_400000_NS6detail17trampoline_kernelINS0_14default_configENS1_38merge_sort_block_merge_config_selectorIlNS0_10empty_typeEEEZZNS1_27merge_sort_block_merge_implIS3_PlPS5_jNS1_19radix_merge_compareILb1ELb0ElNS0_19identity_decomposerEEEEE10hipError_tT0_T1_T2_jT3_P12ihipStream_tbPNSt15iterator_traitsISE_E10value_typeEPNSK_ISF_E10value_typeEPSG_NS1_7vsmem_tEENKUlT_SE_SF_SG_E_clIS8_S8_S9_S9_EESD_ST_SE_SF_SG_EUlST_E_NS1_11comp_targetILNS1_3genE9ELNS1_11target_archE1100ELNS1_3gpuE3ELNS1_3repE0EEENS1_48merge_mergepath_partition_config_static_selectorELNS0_4arch9wavefront6targetE0EEEvSF_
	.globl	_ZN7rocprim17ROCPRIM_400000_NS6detail17trampoline_kernelINS0_14default_configENS1_38merge_sort_block_merge_config_selectorIlNS0_10empty_typeEEEZZNS1_27merge_sort_block_merge_implIS3_PlPS5_jNS1_19radix_merge_compareILb1ELb0ElNS0_19identity_decomposerEEEEE10hipError_tT0_T1_T2_jT3_P12ihipStream_tbPNSt15iterator_traitsISE_E10value_typeEPNSK_ISF_E10value_typeEPSG_NS1_7vsmem_tEENKUlT_SE_SF_SG_E_clIS8_S8_S9_S9_EESD_ST_SE_SF_SG_EUlST_E_NS1_11comp_targetILNS1_3genE9ELNS1_11target_archE1100ELNS1_3gpuE3ELNS1_3repE0EEENS1_48merge_mergepath_partition_config_static_selectorELNS0_4arch9wavefront6targetE0EEEvSF_
	.p2align	8
	.type	_ZN7rocprim17ROCPRIM_400000_NS6detail17trampoline_kernelINS0_14default_configENS1_38merge_sort_block_merge_config_selectorIlNS0_10empty_typeEEEZZNS1_27merge_sort_block_merge_implIS3_PlPS5_jNS1_19radix_merge_compareILb1ELb0ElNS0_19identity_decomposerEEEEE10hipError_tT0_T1_T2_jT3_P12ihipStream_tbPNSt15iterator_traitsISE_E10value_typeEPNSK_ISF_E10value_typeEPSG_NS1_7vsmem_tEENKUlT_SE_SF_SG_E_clIS8_S8_S9_S9_EESD_ST_SE_SF_SG_EUlST_E_NS1_11comp_targetILNS1_3genE9ELNS1_11target_archE1100ELNS1_3gpuE3ELNS1_3repE0EEENS1_48merge_mergepath_partition_config_static_selectorELNS0_4arch9wavefront6targetE0EEEvSF_,@function
_ZN7rocprim17ROCPRIM_400000_NS6detail17trampoline_kernelINS0_14default_configENS1_38merge_sort_block_merge_config_selectorIlNS0_10empty_typeEEEZZNS1_27merge_sort_block_merge_implIS3_PlPS5_jNS1_19radix_merge_compareILb1ELb0ElNS0_19identity_decomposerEEEEE10hipError_tT0_T1_T2_jT3_P12ihipStream_tbPNSt15iterator_traitsISE_E10value_typeEPNSK_ISF_E10value_typeEPSG_NS1_7vsmem_tEENKUlT_SE_SF_SG_E_clIS8_S8_S9_S9_EESD_ST_SE_SF_SG_EUlST_E_NS1_11comp_targetILNS1_3genE9ELNS1_11target_archE1100ELNS1_3gpuE3ELNS1_3repE0EEENS1_48merge_mergepath_partition_config_static_selectorELNS0_4arch9wavefront6targetE0EEEvSF_: ; @_ZN7rocprim17ROCPRIM_400000_NS6detail17trampoline_kernelINS0_14default_configENS1_38merge_sort_block_merge_config_selectorIlNS0_10empty_typeEEEZZNS1_27merge_sort_block_merge_implIS3_PlPS5_jNS1_19radix_merge_compareILb1ELb0ElNS0_19identity_decomposerEEEEE10hipError_tT0_T1_T2_jT3_P12ihipStream_tbPNSt15iterator_traitsISE_E10value_typeEPNSK_ISF_E10value_typeEPSG_NS1_7vsmem_tEENKUlT_SE_SF_SG_E_clIS8_S8_S9_S9_EESD_ST_SE_SF_SG_EUlST_E_NS1_11comp_targetILNS1_3genE9ELNS1_11target_archE1100ELNS1_3gpuE3ELNS1_3repE0EEENS1_48merge_mergepath_partition_config_static_selectorELNS0_4arch9wavefront6targetE0EEEvSF_
; %bb.0:
	.section	.rodata,"a",@progbits
	.p2align	6, 0x0
	.amdhsa_kernel _ZN7rocprim17ROCPRIM_400000_NS6detail17trampoline_kernelINS0_14default_configENS1_38merge_sort_block_merge_config_selectorIlNS0_10empty_typeEEEZZNS1_27merge_sort_block_merge_implIS3_PlPS5_jNS1_19radix_merge_compareILb1ELb0ElNS0_19identity_decomposerEEEEE10hipError_tT0_T1_T2_jT3_P12ihipStream_tbPNSt15iterator_traitsISE_E10value_typeEPNSK_ISF_E10value_typeEPSG_NS1_7vsmem_tEENKUlT_SE_SF_SG_E_clIS8_S8_S9_S9_EESD_ST_SE_SF_SG_EUlST_E_NS1_11comp_targetILNS1_3genE9ELNS1_11target_archE1100ELNS1_3gpuE3ELNS1_3repE0EEENS1_48merge_mergepath_partition_config_static_selectorELNS0_4arch9wavefront6targetE0EEEvSF_
		.amdhsa_group_segment_fixed_size 0
		.amdhsa_private_segment_fixed_size 0
		.amdhsa_kernarg_size 40
		.amdhsa_user_sgpr_count 2
		.amdhsa_user_sgpr_dispatch_ptr 0
		.amdhsa_user_sgpr_queue_ptr 0
		.amdhsa_user_sgpr_kernarg_segment_ptr 1
		.amdhsa_user_sgpr_dispatch_id 0
		.amdhsa_user_sgpr_kernarg_preload_length 0
		.amdhsa_user_sgpr_kernarg_preload_offset 0
		.amdhsa_user_sgpr_private_segment_size 0
		.amdhsa_wavefront_size32 1
		.amdhsa_uses_dynamic_stack 0
		.amdhsa_enable_private_segment 0
		.amdhsa_system_sgpr_workgroup_id_x 1
		.amdhsa_system_sgpr_workgroup_id_y 0
		.amdhsa_system_sgpr_workgroup_id_z 0
		.amdhsa_system_sgpr_workgroup_info 0
		.amdhsa_system_vgpr_workitem_id 0
		.amdhsa_next_free_vgpr 1
		.amdhsa_next_free_sgpr 1
		.amdhsa_named_barrier_count 0
		.amdhsa_reserve_vcc 0
		.amdhsa_float_round_mode_32 0
		.amdhsa_float_round_mode_16_64 0
		.amdhsa_float_denorm_mode_32 3
		.amdhsa_float_denorm_mode_16_64 3
		.amdhsa_fp16_overflow 0
		.amdhsa_memory_ordered 1
		.amdhsa_forward_progress 1
		.amdhsa_inst_pref_size 0
		.amdhsa_round_robin_scheduling 0
		.amdhsa_exception_fp_ieee_invalid_op 0
		.amdhsa_exception_fp_denorm_src 0
		.amdhsa_exception_fp_ieee_div_zero 0
		.amdhsa_exception_fp_ieee_overflow 0
		.amdhsa_exception_fp_ieee_underflow 0
		.amdhsa_exception_fp_ieee_inexact 0
		.amdhsa_exception_int_div_zero 0
	.end_amdhsa_kernel
	.section	.text._ZN7rocprim17ROCPRIM_400000_NS6detail17trampoline_kernelINS0_14default_configENS1_38merge_sort_block_merge_config_selectorIlNS0_10empty_typeEEEZZNS1_27merge_sort_block_merge_implIS3_PlPS5_jNS1_19radix_merge_compareILb1ELb0ElNS0_19identity_decomposerEEEEE10hipError_tT0_T1_T2_jT3_P12ihipStream_tbPNSt15iterator_traitsISE_E10value_typeEPNSK_ISF_E10value_typeEPSG_NS1_7vsmem_tEENKUlT_SE_SF_SG_E_clIS8_S8_S9_S9_EESD_ST_SE_SF_SG_EUlST_E_NS1_11comp_targetILNS1_3genE9ELNS1_11target_archE1100ELNS1_3gpuE3ELNS1_3repE0EEENS1_48merge_mergepath_partition_config_static_selectorELNS0_4arch9wavefront6targetE0EEEvSF_,"axG",@progbits,_ZN7rocprim17ROCPRIM_400000_NS6detail17trampoline_kernelINS0_14default_configENS1_38merge_sort_block_merge_config_selectorIlNS0_10empty_typeEEEZZNS1_27merge_sort_block_merge_implIS3_PlPS5_jNS1_19radix_merge_compareILb1ELb0ElNS0_19identity_decomposerEEEEE10hipError_tT0_T1_T2_jT3_P12ihipStream_tbPNSt15iterator_traitsISE_E10value_typeEPNSK_ISF_E10value_typeEPSG_NS1_7vsmem_tEENKUlT_SE_SF_SG_E_clIS8_S8_S9_S9_EESD_ST_SE_SF_SG_EUlST_E_NS1_11comp_targetILNS1_3genE9ELNS1_11target_archE1100ELNS1_3gpuE3ELNS1_3repE0EEENS1_48merge_mergepath_partition_config_static_selectorELNS0_4arch9wavefront6targetE0EEEvSF_,comdat
.Lfunc_end1020:
	.size	_ZN7rocprim17ROCPRIM_400000_NS6detail17trampoline_kernelINS0_14default_configENS1_38merge_sort_block_merge_config_selectorIlNS0_10empty_typeEEEZZNS1_27merge_sort_block_merge_implIS3_PlPS5_jNS1_19radix_merge_compareILb1ELb0ElNS0_19identity_decomposerEEEEE10hipError_tT0_T1_T2_jT3_P12ihipStream_tbPNSt15iterator_traitsISE_E10value_typeEPNSK_ISF_E10value_typeEPSG_NS1_7vsmem_tEENKUlT_SE_SF_SG_E_clIS8_S8_S9_S9_EESD_ST_SE_SF_SG_EUlST_E_NS1_11comp_targetILNS1_3genE9ELNS1_11target_archE1100ELNS1_3gpuE3ELNS1_3repE0EEENS1_48merge_mergepath_partition_config_static_selectorELNS0_4arch9wavefront6targetE0EEEvSF_, .Lfunc_end1020-_ZN7rocprim17ROCPRIM_400000_NS6detail17trampoline_kernelINS0_14default_configENS1_38merge_sort_block_merge_config_selectorIlNS0_10empty_typeEEEZZNS1_27merge_sort_block_merge_implIS3_PlPS5_jNS1_19radix_merge_compareILb1ELb0ElNS0_19identity_decomposerEEEEE10hipError_tT0_T1_T2_jT3_P12ihipStream_tbPNSt15iterator_traitsISE_E10value_typeEPNSK_ISF_E10value_typeEPSG_NS1_7vsmem_tEENKUlT_SE_SF_SG_E_clIS8_S8_S9_S9_EESD_ST_SE_SF_SG_EUlST_E_NS1_11comp_targetILNS1_3genE9ELNS1_11target_archE1100ELNS1_3gpuE3ELNS1_3repE0EEENS1_48merge_mergepath_partition_config_static_selectorELNS0_4arch9wavefront6targetE0EEEvSF_
                                        ; -- End function
	.set _ZN7rocprim17ROCPRIM_400000_NS6detail17trampoline_kernelINS0_14default_configENS1_38merge_sort_block_merge_config_selectorIlNS0_10empty_typeEEEZZNS1_27merge_sort_block_merge_implIS3_PlPS5_jNS1_19radix_merge_compareILb1ELb0ElNS0_19identity_decomposerEEEEE10hipError_tT0_T1_T2_jT3_P12ihipStream_tbPNSt15iterator_traitsISE_E10value_typeEPNSK_ISF_E10value_typeEPSG_NS1_7vsmem_tEENKUlT_SE_SF_SG_E_clIS8_S8_S9_S9_EESD_ST_SE_SF_SG_EUlST_E_NS1_11comp_targetILNS1_3genE9ELNS1_11target_archE1100ELNS1_3gpuE3ELNS1_3repE0EEENS1_48merge_mergepath_partition_config_static_selectorELNS0_4arch9wavefront6targetE0EEEvSF_.num_vgpr, 0
	.set _ZN7rocprim17ROCPRIM_400000_NS6detail17trampoline_kernelINS0_14default_configENS1_38merge_sort_block_merge_config_selectorIlNS0_10empty_typeEEEZZNS1_27merge_sort_block_merge_implIS3_PlPS5_jNS1_19radix_merge_compareILb1ELb0ElNS0_19identity_decomposerEEEEE10hipError_tT0_T1_T2_jT3_P12ihipStream_tbPNSt15iterator_traitsISE_E10value_typeEPNSK_ISF_E10value_typeEPSG_NS1_7vsmem_tEENKUlT_SE_SF_SG_E_clIS8_S8_S9_S9_EESD_ST_SE_SF_SG_EUlST_E_NS1_11comp_targetILNS1_3genE9ELNS1_11target_archE1100ELNS1_3gpuE3ELNS1_3repE0EEENS1_48merge_mergepath_partition_config_static_selectorELNS0_4arch9wavefront6targetE0EEEvSF_.num_agpr, 0
	.set _ZN7rocprim17ROCPRIM_400000_NS6detail17trampoline_kernelINS0_14default_configENS1_38merge_sort_block_merge_config_selectorIlNS0_10empty_typeEEEZZNS1_27merge_sort_block_merge_implIS3_PlPS5_jNS1_19radix_merge_compareILb1ELb0ElNS0_19identity_decomposerEEEEE10hipError_tT0_T1_T2_jT3_P12ihipStream_tbPNSt15iterator_traitsISE_E10value_typeEPNSK_ISF_E10value_typeEPSG_NS1_7vsmem_tEENKUlT_SE_SF_SG_E_clIS8_S8_S9_S9_EESD_ST_SE_SF_SG_EUlST_E_NS1_11comp_targetILNS1_3genE9ELNS1_11target_archE1100ELNS1_3gpuE3ELNS1_3repE0EEENS1_48merge_mergepath_partition_config_static_selectorELNS0_4arch9wavefront6targetE0EEEvSF_.numbered_sgpr, 0
	.set _ZN7rocprim17ROCPRIM_400000_NS6detail17trampoline_kernelINS0_14default_configENS1_38merge_sort_block_merge_config_selectorIlNS0_10empty_typeEEEZZNS1_27merge_sort_block_merge_implIS3_PlPS5_jNS1_19radix_merge_compareILb1ELb0ElNS0_19identity_decomposerEEEEE10hipError_tT0_T1_T2_jT3_P12ihipStream_tbPNSt15iterator_traitsISE_E10value_typeEPNSK_ISF_E10value_typeEPSG_NS1_7vsmem_tEENKUlT_SE_SF_SG_E_clIS8_S8_S9_S9_EESD_ST_SE_SF_SG_EUlST_E_NS1_11comp_targetILNS1_3genE9ELNS1_11target_archE1100ELNS1_3gpuE3ELNS1_3repE0EEENS1_48merge_mergepath_partition_config_static_selectorELNS0_4arch9wavefront6targetE0EEEvSF_.num_named_barrier, 0
	.set _ZN7rocprim17ROCPRIM_400000_NS6detail17trampoline_kernelINS0_14default_configENS1_38merge_sort_block_merge_config_selectorIlNS0_10empty_typeEEEZZNS1_27merge_sort_block_merge_implIS3_PlPS5_jNS1_19radix_merge_compareILb1ELb0ElNS0_19identity_decomposerEEEEE10hipError_tT0_T1_T2_jT3_P12ihipStream_tbPNSt15iterator_traitsISE_E10value_typeEPNSK_ISF_E10value_typeEPSG_NS1_7vsmem_tEENKUlT_SE_SF_SG_E_clIS8_S8_S9_S9_EESD_ST_SE_SF_SG_EUlST_E_NS1_11comp_targetILNS1_3genE9ELNS1_11target_archE1100ELNS1_3gpuE3ELNS1_3repE0EEENS1_48merge_mergepath_partition_config_static_selectorELNS0_4arch9wavefront6targetE0EEEvSF_.private_seg_size, 0
	.set _ZN7rocprim17ROCPRIM_400000_NS6detail17trampoline_kernelINS0_14default_configENS1_38merge_sort_block_merge_config_selectorIlNS0_10empty_typeEEEZZNS1_27merge_sort_block_merge_implIS3_PlPS5_jNS1_19radix_merge_compareILb1ELb0ElNS0_19identity_decomposerEEEEE10hipError_tT0_T1_T2_jT3_P12ihipStream_tbPNSt15iterator_traitsISE_E10value_typeEPNSK_ISF_E10value_typeEPSG_NS1_7vsmem_tEENKUlT_SE_SF_SG_E_clIS8_S8_S9_S9_EESD_ST_SE_SF_SG_EUlST_E_NS1_11comp_targetILNS1_3genE9ELNS1_11target_archE1100ELNS1_3gpuE3ELNS1_3repE0EEENS1_48merge_mergepath_partition_config_static_selectorELNS0_4arch9wavefront6targetE0EEEvSF_.uses_vcc, 0
	.set _ZN7rocprim17ROCPRIM_400000_NS6detail17trampoline_kernelINS0_14default_configENS1_38merge_sort_block_merge_config_selectorIlNS0_10empty_typeEEEZZNS1_27merge_sort_block_merge_implIS3_PlPS5_jNS1_19radix_merge_compareILb1ELb0ElNS0_19identity_decomposerEEEEE10hipError_tT0_T1_T2_jT3_P12ihipStream_tbPNSt15iterator_traitsISE_E10value_typeEPNSK_ISF_E10value_typeEPSG_NS1_7vsmem_tEENKUlT_SE_SF_SG_E_clIS8_S8_S9_S9_EESD_ST_SE_SF_SG_EUlST_E_NS1_11comp_targetILNS1_3genE9ELNS1_11target_archE1100ELNS1_3gpuE3ELNS1_3repE0EEENS1_48merge_mergepath_partition_config_static_selectorELNS0_4arch9wavefront6targetE0EEEvSF_.uses_flat_scratch, 0
	.set _ZN7rocprim17ROCPRIM_400000_NS6detail17trampoline_kernelINS0_14default_configENS1_38merge_sort_block_merge_config_selectorIlNS0_10empty_typeEEEZZNS1_27merge_sort_block_merge_implIS3_PlPS5_jNS1_19radix_merge_compareILb1ELb0ElNS0_19identity_decomposerEEEEE10hipError_tT0_T1_T2_jT3_P12ihipStream_tbPNSt15iterator_traitsISE_E10value_typeEPNSK_ISF_E10value_typeEPSG_NS1_7vsmem_tEENKUlT_SE_SF_SG_E_clIS8_S8_S9_S9_EESD_ST_SE_SF_SG_EUlST_E_NS1_11comp_targetILNS1_3genE9ELNS1_11target_archE1100ELNS1_3gpuE3ELNS1_3repE0EEENS1_48merge_mergepath_partition_config_static_selectorELNS0_4arch9wavefront6targetE0EEEvSF_.has_dyn_sized_stack, 0
	.set _ZN7rocprim17ROCPRIM_400000_NS6detail17trampoline_kernelINS0_14default_configENS1_38merge_sort_block_merge_config_selectorIlNS0_10empty_typeEEEZZNS1_27merge_sort_block_merge_implIS3_PlPS5_jNS1_19radix_merge_compareILb1ELb0ElNS0_19identity_decomposerEEEEE10hipError_tT0_T1_T2_jT3_P12ihipStream_tbPNSt15iterator_traitsISE_E10value_typeEPNSK_ISF_E10value_typeEPSG_NS1_7vsmem_tEENKUlT_SE_SF_SG_E_clIS8_S8_S9_S9_EESD_ST_SE_SF_SG_EUlST_E_NS1_11comp_targetILNS1_3genE9ELNS1_11target_archE1100ELNS1_3gpuE3ELNS1_3repE0EEENS1_48merge_mergepath_partition_config_static_selectorELNS0_4arch9wavefront6targetE0EEEvSF_.has_recursion, 0
	.set _ZN7rocprim17ROCPRIM_400000_NS6detail17trampoline_kernelINS0_14default_configENS1_38merge_sort_block_merge_config_selectorIlNS0_10empty_typeEEEZZNS1_27merge_sort_block_merge_implIS3_PlPS5_jNS1_19radix_merge_compareILb1ELb0ElNS0_19identity_decomposerEEEEE10hipError_tT0_T1_T2_jT3_P12ihipStream_tbPNSt15iterator_traitsISE_E10value_typeEPNSK_ISF_E10value_typeEPSG_NS1_7vsmem_tEENKUlT_SE_SF_SG_E_clIS8_S8_S9_S9_EESD_ST_SE_SF_SG_EUlST_E_NS1_11comp_targetILNS1_3genE9ELNS1_11target_archE1100ELNS1_3gpuE3ELNS1_3repE0EEENS1_48merge_mergepath_partition_config_static_selectorELNS0_4arch9wavefront6targetE0EEEvSF_.has_indirect_call, 0
	.section	.AMDGPU.csdata,"",@progbits
; Kernel info:
; codeLenInByte = 0
; TotalNumSgprs: 0
; NumVgprs: 0
; ScratchSize: 0
; MemoryBound: 0
; FloatMode: 240
; IeeeMode: 1
; LDSByteSize: 0 bytes/workgroup (compile time only)
; SGPRBlocks: 0
; VGPRBlocks: 0
; NumSGPRsForWavesPerEU: 1
; NumVGPRsForWavesPerEU: 1
; NamedBarCnt: 0
; Occupancy: 16
; WaveLimiterHint : 0
; COMPUTE_PGM_RSRC2:SCRATCH_EN: 0
; COMPUTE_PGM_RSRC2:USER_SGPR: 2
; COMPUTE_PGM_RSRC2:TRAP_HANDLER: 0
; COMPUTE_PGM_RSRC2:TGID_X_EN: 1
; COMPUTE_PGM_RSRC2:TGID_Y_EN: 0
; COMPUTE_PGM_RSRC2:TGID_Z_EN: 0
; COMPUTE_PGM_RSRC2:TIDIG_COMP_CNT: 0
	.section	.text._ZN7rocprim17ROCPRIM_400000_NS6detail17trampoline_kernelINS0_14default_configENS1_38merge_sort_block_merge_config_selectorIlNS0_10empty_typeEEEZZNS1_27merge_sort_block_merge_implIS3_PlPS5_jNS1_19radix_merge_compareILb1ELb0ElNS0_19identity_decomposerEEEEE10hipError_tT0_T1_T2_jT3_P12ihipStream_tbPNSt15iterator_traitsISE_E10value_typeEPNSK_ISF_E10value_typeEPSG_NS1_7vsmem_tEENKUlT_SE_SF_SG_E_clIS8_S8_S9_S9_EESD_ST_SE_SF_SG_EUlST_E_NS1_11comp_targetILNS1_3genE8ELNS1_11target_archE1030ELNS1_3gpuE2ELNS1_3repE0EEENS1_48merge_mergepath_partition_config_static_selectorELNS0_4arch9wavefront6targetE0EEEvSF_,"axG",@progbits,_ZN7rocprim17ROCPRIM_400000_NS6detail17trampoline_kernelINS0_14default_configENS1_38merge_sort_block_merge_config_selectorIlNS0_10empty_typeEEEZZNS1_27merge_sort_block_merge_implIS3_PlPS5_jNS1_19radix_merge_compareILb1ELb0ElNS0_19identity_decomposerEEEEE10hipError_tT0_T1_T2_jT3_P12ihipStream_tbPNSt15iterator_traitsISE_E10value_typeEPNSK_ISF_E10value_typeEPSG_NS1_7vsmem_tEENKUlT_SE_SF_SG_E_clIS8_S8_S9_S9_EESD_ST_SE_SF_SG_EUlST_E_NS1_11comp_targetILNS1_3genE8ELNS1_11target_archE1030ELNS1_3gpuE2ELNS1_3repE0EEENS1_48merge_mergepath_partition_config_static_selectorELNS0_4arch9wavefront6targetE0EEEvSF_,comdat
	.protected	_ZN7rocprim17ROCPRIM_400000_NS6detail17trampoline_kernelINS0_14default_configENS1_38merge_sort_block_merge_config_selectorIlNS0_10empty_typeEEEZZNS1_27merge_sort_block_merge_implIS3_PlPS5_jNS1_19radix_merge_compareILb1ELb0ElNS0_19identity_decomposerEEEEE10hipError_tT0_T1_T2_jT3_P12ihipStream_tbPNSt15iterator_traitsISE_E10value_typeEPNSK_ISF_E10value_typeEPSG_NS1_7vsmem_tEENKUlT_SE_SF_SG_E_clIS8_S8_S9_S9_EESD_ST_SE_SF_SG_EUlST_E_NS1_11comp_targetILNS1_3genE8ELNS1_11target_archE1030ELNS1_3gpuE2ELNS1_3repE0EEENS1_48merge_mergepath_partition_config_static_selectorELNS0_4arch9wavefront6targetE0EEEvSF_ ; -- Begin function _ZN7rocprim17ROCPRIM_400000_NS6detail17trampoline_kernelINS0_14default_configENS1_38merge_sort_block_merge_config_selectorIlNS0_10empty_typeEEEZZNS1_27merge_sort_block_merge_implIS3_PlPS5_jNS1_19radix_merge_compareILb1ELb0ElNS0_19identity_decomposerEEEEE10hipError_tT0_T1_T2_jT3_P12ihipStream_tbPNSt15iterator_traitsISE_E10value_typeEPNSK_ISF_E10value_typeEPSG_NS1_7vsmem_tEENKUlT_SE_SF_SG_E_clIS8_S8_S9_S9_EESD_ST_SE_SF_SG_EUlST_E_NS1_11comp_targetILNS1_3genE8ELNS1_11target_archE1030ELNS1_3gpuE2ELNS1_3repE0EEENS1_48merge_mergepath_partition_config_static_selectorELNS0_4arch9wavefront6targetE0EEEvSF_
	.globl	_ZN7rocprim17ROCPRIM_400000_NS6detail17trampoline_kernelINS0_14default_configENS1_38merge_sort_block_merge_config_selectorIlNS0_10empty_typeEEEZZNS1_27merge_sort_block_merge_implIS3_PlPS5_jNS1_19radix_merge_compareILb1ELb0ElNS0_19identity_decomposerEEEEE10hipError_tT0_T1_T2_jT3_P12ihipStream_tbPNSt15iterator_traitsISE_E10value_typeEPNSK_ISF_E10value_typeEPSG_NS1_7vsmem_tEENKUlT_SE_SF_SG_E_clIS8_S8_S9_S9_EESD_ST_SE_SF_SG_EUlST_E_NS1_11comp_targetILNS1_3genE8ELNS1_11target_archE1030ELNS1_3gpuE2ELNS1_3repE0EEENS1_48merge_mergepath_partition_config_static_selectorELNS0_4arch9wavefront6targetE0EEEvSF_
	.p2align	8
	.type	_ZN7rocprim17ROCPRIM_400000_NS6detail17trampoline_kernelINS0_14default_configENS1_38merge_sort_block_merge_config_selectorIlNS0_10empty_typeEEEZZNS1_27merge_sort_block_merge_implIS3_PlPS5_jNS1_19radix_merge_compareILb1ELb0ElNS0_19identity_decomposerEEEEE10hipError_tT0_T1_T2_jT3_P12ihipStream_tbPNSt15iterator_traitsISE_E10value_typeEPNSK_ISF_E10value_typeEPSG_NS1_7vsmem_tEENKUlT_SE_SF_SG_E_clIS8_S8_S9_S9_EESD_ST_SE_SF_SG_EUlST_E_NS1_11comp_targetILNS1_3genE8ELNS1_11target_archE1030ELNS1_3gpuE2ELNS1_3repE0EEENS1_48merge_mergepath_partition_config_static_selectorELNS0_4arch9wavefront6targetE0EEEvSF_,@function
_ZN7rocprim17ROCPRIM_400000_NS6detail17trampoline_kernelINS0_14default_configENS1_38merge_sort_block_merge_config_selectorIlNS0_10empty_typeEEEZZNS1_27merge_sort_block_merge_implIS3_PlPS5_jNS1_19radix_merge_compareILb1ELb0ElNS0_19identity_decomposerEEEEE10hipError_tT0_T1_T2_jT3_P12ihipStream_tbPNSt15iterator_traitsISE_E10value_typeEPNSK_ISF_E10value_typeEPSG_NS1_7vsmem_tEENKUlT_SE_SF_SG_E_clIS8_S8_S9_S9_EESD_ST_SE_SF_SG_EUlST_E_NS1_11comp_targetILNS1_3genE8ELNS1_11target_archE1030ELNS1_3gpuE2ELNS1_3repE0EEENS1_48merge_mergepath_partition_config_static_selectorELNS0_4arch9wavefront6targetE0EEEvSF_: ; @_ZN7rocprim17ROCPRIM_400000_NS6detail17trampoline_kernelINS0_14default_configENS1_38merge_sort_block_merge_config_selectorIlNS0_10empty_typeEEEZZNS1_27merge_sort_block_merge_implIS3_PlPS5_jNS1_19radix_merge_compareILb1ELb0ElNS0_19identity_decomposerEEEEE10hipError_tT0_T1_T2_jT3_P12ihipStream_tbPNSt15iterator_traitsISE_E10value_typeEPNSK_ISF_E10value_typeEPSG_NS1_7vsmem_tEENKUlT_SE_SF_SG_E_clIS8_S8_S9_S9_EESD_ST_SE_SF_SG_EUlST_E_NS1_11comp_targetILNS1_3genE8ELNS1_11target_archE1030ELNS1_3gpuE2ELNS1_3repE0EEENS1_48merge_mergepath_partition_config_static_selectorELNS0_4arch9wavefront6targetE0EEEvSF_
; %bb.0:
	.section	.rodata,"a",@progbits
	.p2align	6, 0x0
	.amdhsa_kernel _ZN7rocprim17ROCPRIM_400000_NS6detail17trampoline_kernelINS0_14default_configENS1_38merge_sort_block_merge_config_selectorIlNS0_10empty_typeEEEZZNS1_27merge_sort_block_merge_implIS3_PlPS5_jNS1_19radix_merge_compareILb1ELb0ElNS0_19identity_decomposerEEEEE10hipError_tT0_T1_T2_jT3_P12ihipStream_tbPNSt15iterator_traitsISE_E10value_typeEPNSK_ISF_E10value_typeEPSG_NS1_7vsmem_tEENKUlT_SE_SF_SG_E_clIS8_S8_S9_S9_EESD_ST_SE_SF_SG_EUlST_E_NS1_11comp_targetILNS1_3genE8ELNS1_11target_archE1030ELNS1_3gpuE2ELNS1_3repE0EEENS1_48merge_mergepath_partition_config_static_selectorELNS0_4arch9wavefront6targetE0EEEvSF_
		.amdhsa_group_segment_fixed_size 0
		.amdhsa_private_segment_fixed_size 0
		.amdhsa_kernarg_size 40
		.amdhsa_user_sgpr_count 2
		.amdhsa_user_sgpr_dispatch_ptr 0
		.amdhsa_user_sgpr_queue_ptr 0
		.amdhsa_user_sgpr_kernarg_segment_ptr 1
		.amdhsa_user_sgpr_dispatch_id 0
		.amdhsa_user_sgpr_kernarg_preload_length 0
		.amdhsa_user_sgpr_kernarg_preload_offset 0
		.amdhsa_user_sgpr_private_segment_size 0
		.amdhsa_wavefront_size32 1
		.amdhsa_uses_dynamic_stack 0
		.amdhsa_enable_private_segment 0
		.amdhsa_system_sgpr_workgroup_id_x 1
		.amdhsa_system_sgpr_workgroup_id_y 0
		.amdhsa_system_sgpr_workgroup_id_z 0
		.amdhsa_system_sgpr_workgroup_info 0
		.amdhsa_system_vgpr_workitem_id 0
		.amdhsa_next_free_vgpr 1
		.amdhsa_next_free_sgpr 1
		.amdhsa_named_barrier_count 0
		.amdhsa_reserve_vcc 0
		.amdhsa_float_round_mode_32 0
		.amdhsa_float_round_mode_16_64 0
		.amdhsa_float_denorm_mode_32 3
		.amdhsa_float_denorm_mode_16_64 3
		.amdhsa_fp16_overflow 0
		.amdhsa_memory_ordered 1
		.amdhsa_forward_progress 1
		.amdhsa_inst_pref_size 0
		.amdhsa_round_robin_scheduling 0
		.amdhsa_exception_fp_ieee_invalid_op 0
		.amdhsa_exception_fp_denorm_src 0
		.amdhsa_exception_fp_ieee_div_zero 0
		.amdhsa_exception_fp_ieee_overflow 0
		.amdhsa_exception_fp_ieee_underflow 0
		.amdhsa_exception_fp_ieee_inexact 0
		.amdhsa_exception_int_div_zero 0
	.end_amdhsa_kernel
	.section	.text._ZN7rocprim17ROCPRIM_400000_NS6detail17trampoline_kernelINS0_14default_configENS1_38merge_sort_block_merge_config_selectorIlNS0_10empty_typeEEEZZNS1_27merge_sort_block_merge_implIS3_PlPS5_jNS1_19radix_merge_compareILb1ELb0ElNS0_19identity_decomposerEEEEE10hipError_tT0_T1_T2_jT3_P12ihipStream_tbPNSt15iterator_traitsISE_E10value_typeEPNSK_ISF_E10value_typeEPSG_NS1_7vsmem_tEENKUlT_SE_SF_SG_E_clIS8_S8_S9_S9_EESD_ST_SE_SF_SG_EUlST_E_NS1_11comp_targetILNS1_3genE8ELNS1_11target_archE1030ELNS1_3gpuE2ELNS1_3repE0EEENS1_48merge_mergepath_partition_config_static_selectorELNS0_4arch9wavefront6targetE0EEEvSF_,"axG",@progbits,_ZN7rocprim17ROCPRIM_400000_NS6detail17trampoline_kernelINS0_14default_configENS1_38merge_sort_block_merge_config_selectorIlNS0_10empty_typeEEEZZNS1_27merge_sort_block_merge_implIS3_PlPS5_jNS1_19radix_merge_compareILb1ELb0ElNS0_19identity_decomposerEEEEE10hipError_tT0_T1_T2_jT3_P12ihipStream_tbPNSt15iterator_traitsISE_E10value_typeEPNSK_ISF_E10value_typeEPSG_NS1_7vsmem_tEENKUlT_SE_SF_SG_E_clIS8_S8_S9_S9_EESD_ST_SE_SF_SG_EUlST_E_NS1_11comp_targetILNS1_3genE8ELNS1_11target_archE1030ELNS1_3gpuE2ELNS1_3repE0EEENS1_48merge_mergepath_partition_config_static_selectorELNS0_4arch9wavefront6targetE0EEEvSF_,comdat
.Lfunc_end1021:
	.size	_ZN7rocprim17ROCPRIM_400000_NS6detail17trampoline_kernelINS0_14default_configENS1_38merge_sort_block_merge_config_selectorIlNS0_10empty_typeEEEZZNS1_27merge_sort_block_merge_implIS3_PlPS5_jNS1_19radix_merge_compareILb1ELb0ElNS0_19identity_decomposerEEEEE10hipError_tT0_T1_T2_jT3_P12ihipStream_tbPNSt15iterator_traitsISE_E10value_typeEPNSK_ISF_E10value_typeEPSG_NS1_7vsmem_tEENKUlT_SE_SF_SG_E_clIS8_S8_S9_S9_EESD_ST_SE_SF_SG_EUlST_E_NS1_11comp_targetILNS1_3genE8ELNS1_11target_archE1030ELNS1_3gpuE2ELNS1_3repE0EEENS1_48merge_mergepath_partition_config_static_selectorELNS0_4arch9wavefront6targetE0EEEvSF_, .Lfunc_end1021-_ZN7rocprim17ROCPRIM_400000_NS6detail17trampoline_kernelINS0_14default_configENS1_38merge_sort_block_merge_config_selectorIlNS0_10empty_typeEEEZZNS1_27merge_sort_block_merge_implIS3_PlPS5_jNS1_19radix_merge_compareILb1ELb0ElNS0_19identity_decomposerEEEEE10hipError_tT0_T1_T2_jT3_P12ihipStream_tbPNSt15iterator_traitsISE_E10value_typeEPNSK_ISF_E10value_typeEPSG_NS1_7vsmem_tEENKUlT_SE_SF_SG_E_clIS8_S8_S9_S9_EESD_ST_SE_SF_SG_EUlST_E_NS1_11comp_targetILNS1_3genE8ELNS1_11target_archE1030ELNS1_3gpuE2ELNS1_3repE0EEENS1_48merge_mergepath_partition_config_static_selectorELNS0_4arch9wavefront6targetE0EEEvSF_
                                        ; -- End function
	.set _ZN7rocprim17ROCPRIM_400000_NS6detail17trampoline_kernelINS0_14default_configENS1_38merge_sort_block_merge_config_selectorIlNS0_10empty_typeEEEZZNS1_27merge_sort_block_merge_implIS3_PlPS5_jNS1_19radix_merge_compareILb1ELb0ElNS0_19identity_decomposerEEEEE10hipError_tT0_T1_T2_jT3_P12ihipStream_tbPNSt15iterator_traitsISE_E10value_typeEPNSK_ISF_E10value_typeEPSG_NS1_7vsmem_tEENKUlT_SE_SF_SG_E_clIS8_S8_S9_S9_EESD_ST_SE_SF_SG_EUlST_E_NS1_11comp_targetILNS1_3genE8ELNS1_11target_archE1030ELNS1_3gpuE2ELNS1_3repE0EEENS1_48merge_mergepath_partition_config_static_selectorELNS0_4arch9wavefront6targetE0EEEvSF_.num_vgpr, 0
	.set _ZN7rocprim17ROCPRIM_400000_NS6detail17trampoline_kernelINS0_14default_configENS1_38merge_sort_block_merge_config_selectorIlNS0_10empty_typeEEEZZNS1_27merge_sort_block_merge_implIS3_PlPS5_jNS1_19radix_merge_compareILb1ELb0ElNS0_19identity_decomposerEEEEE10hipError_tT0_T1_T2_jT3_P12ihipStream_tbPNSt15iterator_traitsISE_E10value_typeEPNSK_ISF_E10value_typeEPSG_NS1_7vsmem_tEENKUlT_SE_SF_SG_E_clIS8_S8_S9_S9_EESD_ST_SE_SF_SG_EUlST_E_NS1_11comp_targetILNS1_3genE8ELNS1_11target_archE1030ELNS1_3gpuE2ELNS1_3repE0EEENS1_48merge_mergepath_partition_config_static_selectorELNS0_4arch9wavefront6targetE0EEEvSF_.num_agpr, 0
	.set _ZN7rocprim17ROCPRIM_400000_NS6detail17trampoline_kernelINS0_14default_configENS1_38merge_sort_block_merge_config_selectorIlNS0_10empty_typeEEEZZNS1_27merge_sort_block_merge_implIS3_PlPS5_jNS1_19radix_merge_compareILb1ELb0ElNS0_19identity_decomposerEEEEE10hipError_tT0_T1_T2_jT3_P12ihipStream_tbPNSt15iterator_traitsISE_E10value_typeEPNSK_ISF_E10value_typeEPSG_NS1_7vsmem_tEENKUlT_SE_SF_SG_E_clIS8_S8_S9_S9_EESD_ST_SE_SF_SG_EUlST_E_NS1_11comp_targetILNS1_3genE8ELNS1_11target_archE1030ELNS1_3gpuE2ELNS1_3repE0EEENS1_48merge_mergepath_partition_config_static_selectorELNS0_4arch9wavefront6targetE0EEEvSF_.numbered_sgpr, 0
	.set _ZN7rocprim17ROCPRIM_400000_NS6detail17trampoline_kernelINS0_14default_configENS1_38merge_sort_block_merge_config_selectorIlNS0_10empty_typeEEEZZNS1_27merge_sort_block_merge_implIS3_PlPS5_jNS1_19radix_merge_compareILb1ELb0ElNS0_19identity_decomposerEEEEE10hipError_tT0_T1_T2_jT3_P12ihipStream_tbPNSt15iterator_traitsISE_E10value_typeEPNSK_ISF_E10value_typeEPSG_NS1_7vsmem_tEENKUlT_SE_SF_SG_E_clIS8_S8_S9_S9_EESD_ST_SE_SF_SG_EUlST_E_NS1_11comp_targetILNS1_3genE8ELNS1_11target_archE1030ELNS1_3gpuE2ELNS1_3repE0EEENS1_48merge_mergepath_partition_config_static_selectorELNS0_4arch9wavefront6targetE0EEEvSF_.num_named_barrier, 0
	.set _ZN7rocprim17ROCPRIM_400000_NS6detail17trampoline_kernelINS0_14default_configENS1_38merge_sort_block_merge_config_selectorIlNS0_10empty_typeEEEZZNS1_27merge_sort_block_merge_implIS3_PlPS5_jNS1_19radix_merge_compareILb1ELb0ElNS0_19identity_decomposerEEEEE10hipError_tT0_T1_T2_jT3_P12ihipStream_tbPNSt15iterator_traitsISE_E10value_typeEPNSK_ISF_E10value_typeEPSG_NS1_7vsmem_tEENKUlT_SE_SF_SG_E_clIS8_S8_S9_S9_EESD_ST_SE_SF_SG_EUlST_E_NS1_11comp_targetILNS1_3genE8ELNS1_11target_archE1030ELNS1_3gpuE2ELNS1_3repE0EEENS1_48merge_mergepath_partition_config_static_selectorELNS0_4arch9wavefront6targetE0EEEvSF_.private_seg_size, 0
	.set _ZN7rocprim17ROCPRIM_400000_NS6detail17trampoline_kernelINS0_14default_configENS1_38merge_sort_block_merge_config_selectorIlNS0_10empty_typeEEEZZNS1_27merge_sort_block_merge_implIS3_PlPS5_jNS1_19radix_merge_compareILb1ELb0ElNS0_19identity_decomposerEEEEE10hipError_tT0_T1_T2_jT3_P12ihipStream_tbPNSt15iterator_traitsISE_E10value_typeEPNSK_ISF_E10value_typeEPSG_NS1_7vsmem_tEENKUlT_SE_SF_SG_E_clIS8_S8_S9_S9_EESD_ST_SE_SF_SG_EUlST_E_NS1_11comp_targetILNS1_3genE8ELNS1_11target_archE1030ELNS1_3gpuE2ELNS1_3repE0EEENS1_48merge_mergepath_partition_config_static_selectorELNS0_4arch9wavefront6targetE0EEEvSF_.uses_vcc, 0
	.set _ZN7rocprim17ROCPRIM_400000_NS6detail17trampoline_kernelINS0_14default_configENS1_38merge_sort_block_merge_config_selectorIlNS0_10empty_typeEEEZZNS1_27merge_sort_block_merge_implIS3_PlPS5_jNS1_19radix_merge_compareILb1ELb0ElNS0_19identity_decomposerEEEEE10hipError_tT0_T1_T2_jT3_P12ihipStream_tbPNSt15iterator_traitsISE_E10value_typeEPNSK_ISF_E10value_typeEPSG_NS1_7vsmem_tEENKUlT_SE_SF_SG_E_clIS8_S8_S9_S9_EESD_ST_SE_SF_SG_EUlST_E_NS1_11comp_targetILNS1_3genE8ELNS1_11target_archE1030ELNS1_3gpuE2ELNS1_3repE0EEENS1_48merge_mergepath_partition_config_static_selectorELNS0_4arch9wavefront6targetE0EEEvSF_.uses_flat_scratch, 0
	.set _ZN7rocprim17ROCPRIM_400000_NS6detail17trampoline_kernelINS0_14default_configENS1_38merge_sort_block_merge_config_selectorIlNS0_10empty_typeEEEZZNS1_27merge_sort_block_merge_implIS3_PlPS5_jNS1_19radix_merge_compareILb1ELb0ElNS0_19identity_decomposerEEEEE10hipError_tT0_T1_T2_jT3_P12ihipStream_tbPNSt15iterator_traitsISE_E10value_typeEPNSK_ISF_E10value_typeEPSG_NS1_7vsmem_tEENKUlT_SE_SF_SG_E_clIS8_S8_S9_S9_EESD_ST_SE_SF_SG_EUlST_E_NS1_11comp_targetILNS1_3genE8ELNS1_11target_archE1030ELNS1_3gpuE2ELNS1_3repE0EEENS1_48merge_mergepath_partition_config_static_selectorELNS0_4arch9wavefront6targetE0EEEvSF_.has_dyn_sized_stack, 0
	.set _ZN7rocprim17ROCPRIM_400000_NS6detail17trampoline_kernelINS0_14default_configENS1_38merge_sort_block_merge_config_selectorIlNS0_10empty_typeEEEZZNS1_27merge_sort_block_merge_implIS3_PlPS5_jNS1_19radix_merge_compareILb1ELb0ElNS0_19identity_decomposerEEEEE10hipError_tT0_T1_T2_jT3_P12ihipStream_tbPNSt15iterator_traitsISE_E10value_typeEPNSK_ISF_E10value_typeEPSG_NS1_7vsmem_tEENKUlT_SE_SF_SG_E_clIS8_S8_S9_S9_EESD_ST_SE_SF_SG_EUlST_E_NS1_11comp_targetILNS1_3genE8ELNS1_11target_archE1030ELNS1_3gpuE2ELNS1_3repE0EEENS1_48merge_mergepath_partition_config_static_selectorELNS0_4arch9wavefront6targetE0EEEvSF_.has_recursion, 0
	.set _ZN7rocprim17ROCPRIM_400000_NS6detail17trampoline_kernelINS0_14default_configENS1_38merge_sort_block_merge_config_selectorIlNS0_10empty_typeEEEZZNS1_27merge_sort_block_merge_implIS3_PlPS5_jNS1_19radix_merge_compareILb1ELb0ElNS0_19identity_decomposerEEEEE10hipError_tT0_T1_T2_jT3_P12ihipStream_tbPNSt15iterator_traitsISE_E10value_typeEPNSK_ISF_E10value_typeEPSG_NS1_7vsmem_tEENKUlT_SE_SF_SG_E_clIS8_S8_S9_S9_EESD_ST_SE_SF_SG_EUlST_E_NS1_11comp_targetILNS1_3genE8ELNS1_11target_archE1030ELNS1_3gpuE2ELNS1_3repE0EEENS1_48merge_mergepath_partition_config_static_selectorELNS0_4arch9wavefront6targetE0EEEvSF_.has_indirect_call, 0
	.section	.AMDGPU.csdata,"",@progbits
; Kernel info:
; codeLenInByte = 0
; TotalNumSgprs: 0
; NumVgprs: 0
; ScratchSize: 0
; MemoryBound: 0
; FloatMode: 240
; IeeeMode: 1
; LDSByteSize: 0 bytes/workgroup (compile time only)
; SGPRBlocks: 0
; VGPRBlocks: 0
; NumSGPRsForWavesPerEU: 1
; NumVGPRsForWavesPerEU: 1
; NamedBarCnt: 0
; Occupancy: 16
; WaveLimiterHint : 0
; COMPUTE_PGM_RSRC2:SCRATCH_EN: 0
; COMPUTE_PGM_RSRC2:USER_SGPR: 2
; COMPUTE_PGM_RSRC2:TRAP_HANDLER: 0
; COMPUTE_PGM_RSRC2:TGID_X_EN: 1
; COMPUTE_PGM_RSRC2:TGID_Y_EN: 0
; COMPUTE_PGM_RSRC2:TGID_Z_EN: 0
; COMPUTE_PGM_RSRC2:TIDIG_COMP_CNT: 0
	.section	.text._ZN7rocprim17ROCPRIM_400000_NS6detail17trampoline_kernelINS0_14default_configENS1_38merge_sort_block_merge_config_selectorIlNS0_10empty_typeEEEZZNS1_27merge_sort_block_merge_implIS3_PlPS5_jNS1_19radix_merge_compareILb1ELb0ElNS0_19identity_decomposerEEEEE10hipError_tT0_T1_T2_jT3_P12ihipStream_tbPNSt15iterator_traitsISE_E10value_typeEPNSK_ISF_E10value_typeEPSG_NS1_7vsmem_tEENKUlT_SE_SF_SG_E_clIS8_S8_S9_S9_EESD_ST_SE_SF_SG_EUlST_E0_NS1_11comp_targetILNS1_3genE0ELNS1_11target_archE4294967295ELNS1_3gpuE0ELNS1_3repE0EEENS1_38merge_mergepath_config_static_selectorELNS0_4arch9wavefront6targetE0EEEvSF_,"axG",@progbits,_ZN7rocprim17ROCPRIM_400000_NS6detail17trampoline_kernelINS0_14default_configENS1_38merge_sort_block_merge_config_selectorIlNS0_10empty_typeEEEZZNS1_27merge_sort_block_merge_implIS3_PlPS5_jNS1_19radix_merge_compareILb1ELb0ElNS0_19identity_decomposerEEEEE10hipError_tT0_T1_T2_jT3_P12ihipStream_tbPNSt15iterator_traitsISE_E10value_typeEPNSK_ISF_E10value_typeEPSG_NS1_7vsmem_tEENKUlT_SE_SF_SG_E_clIS8_S8_S9_S9_EESD_ST_SE_SF_SG_EUlST_E0_NS1_11comp_targetILNS1_3genE0ELNS1_11target_archE4294967295ELNS1_3gpuE0ELNS1_3repE0EEENS1_38merge_mergepath_config_static_selectorELNS0_4arch9wavefront6targetE0EEEvSF_,comdat
	.protected	_ZN7rocprim17ROCPRIM_400000_NS6detail17trampoline_kernelINS0_14default_configENS1_38merge_sort_block_merge_config_selectorIlNS0_10empty_typeEEEZZNS1_27merge_sort_block_merge_implIS3_PlPS5_jNS1_19radix_merge_compareILb1ELb0ElNS0_19identity_decomposerEEEEE10hipError_tT0_T1_T2_jT3_P12ihipStream_tbPNSt15iterator_traitsISE_E10value_typeEPNSK_ISF_E10value_typeEPSG_NS1_7vsmem_tEENKUlT_SE_SF_SG_E_clIS8_S8_S9_S9_EESD_ST_SE_SF_SG_EUlST_E0_NS1_11comp_targetILNS1_3genE0ELNS1_11target_archE4294967295ELNS1_3gpuE0ELNS1_3repE0EEENS1_38merge_mergepath_config_static_selectorELNS0_4arch9wavefront6targetE0EEEvSF_ ; -- Begin function _ZN7rocprim17ROCPRIM_400000_NS6detail17trampoline_kernelINS0_14default_configENS1_38merge_sort_block_merge_config_selectorIlNS0_10empty_typeEEEZZNS1_27merge_sort_block_merge_implIS3_PlPS5_jNS1_19radix_merge_compareILb1ELb0ElNS0_19identity_decomposerEEEEE10hipError_tT0_T1_T2_jT3_P12ihipStream_tbPNSt15iterator_traitsISE_E10value_typeEPNSK_ISF_E10value_typeEPSG_NS1_7vsmem_tEENKUlT_SE_SF_SG_E_clIS8_S8_S9_S9_EESD_ST_SE_SF_SG_EUlST_E0_NS1_11comp_targetILNS1_3genE0ELNS1_11target_archE4294967295ELNS1_3gpuE0ELNS1_3repE0EEENS1_38merge_mergepath_config_static_selectorELNS0_4arch9wavefront6targetE0EEEvSF_
	.globl	_ZN7rocprim17ROCPRIM_400000_NS6detail17trampoline_kernelINS0_14default_configENS1_38merge_sort_block_merge_config_selectorIlNS0_10empty_typeEEEZZNS1_27merge_sort_block_merge_implIS3_PlPS5_jNS1_19radix_merge_compareILb1ELb0ElNS0_19identity_decomposerEEEEE10hipError_tT0_T1_T2_jT3_P12ihipStream_tbPNSt15iterator_traitsISE_E10value_typeEPNSK_ISF_E10value_typeEPSG_NS1_7vsmem_tEENKUlT_SE_SF_SG_E_clIS8_S8_S9_S9_EESD_ST_SE_SF_SG_EUlST_E0_NS1_11comp_targetILNS1_3genE0ELNS1_11target_archE4294967295ELNS1_3gpuE0ELNS1_3repE0EEENS1_38merge_mergepath_config_static_selectorELNS0_4arch9wavefront6targetE0EEEvSF_
	.p2align	8
	.type	_ZN7rocprim17ROCPRIM_400000_NS6detail17trampoline_kernelINS0_14default_configENS1_38merge_sort_block_merge_config_selectorIlNS0_10empty_typeEEEZZNS1_27merge_sort_block_merge_implIS3_PlPS5_jNS1_19radix_merge_compareILb1ELb0ElNS0_19identity_decomposerEEEEE10hipError_tT0_T1_T2_jT3_P12ihipStream_tbPNSt15iterator_traitsISE_E10value_typeEPNSK_ISF_E10value_typeEPSG_NS1_7vsmem_tEENKUlT_SE_SF_SG_E_clIS8_S8_S9_S9_EESD_ST_SE_SF_SG_EUlST_E0_NS1_11comp_targetILNS1_3genE0ELNS1_11target_archE4294967295ELNS1_3gpuE0ELNS1_3repE0EEENS1_38merge_mergepath_config_static_selectorELNS0_4arch9wavefront6targetE0EEEvSF_,@function
_ZN7rocprim17ROCPRIM_400000_NS6detail17trampoline_kernelINS0_14default_configENS1_38merge_sort_block_merge_config_selectorIlNS0_10empty_typeEEEZZNS1_27merge_sort_block_merge_implIS3_PlPS5_jNS1_19radix_merge_compareILb1ELb0ElNS0_19identity_decomposerEEEEE10hipError_tT0_T1_T2_jT3_P12ihipStream_tbPNSt15iterator_traitsISE_E10value_typeEPNSK_ISF_E10value_typeEPSG_NS1_7vsmem_tEENKUlT_SE_SF_SG_E_clIS8_S8_S9_S9_EESD_ST_SE_SF_SG_EUlST_E0_NS1_11comp_targetILNS1_3genE0ELNS1_11target_archE4294967295ELNS1_3gpuE0ELNS1_3repE0EEENS1_38merge_mergepath_config_static_selectorELNS0_4arch9wavefront6targetE0EEEvSF_: ; @_ZN7rocprim17ROCPRIM_400000_NS6detail17trampoline_kernelINS0_14default_configENS1_38merge_sort_block_merge_config_selectorIlNS0_10empty_typeEEEZZNS1_27merge_sort_block_merge_implIS3_PlPS5_jNS1_19radix_merge_compareILb1ELb0ElNS0_19identity_decomposerEEEEE10hipError_tT0_T1_T2_jT3_P12ihipStream_tbPNSt15iterator_traitsISE_E10value_typeEPNSK_ISF_E10value_typeEPSG_NS1_7vsmem_tEENKUlT_SE_SF_SG_E_clIS8_S8_S9_S9_EESD_ST_SE_SF_SG_EUlST_E0_NS1_11comp_targetILNS1_3genE0ELNS1_11target_archE4294967295ELNS1_3gpuE0ELNS1_3repE0EEENS1_38merge_mergepath_config_static_selectorELNS0_4arch9wavefront6targetE0EEEvSF_
; %bb.0:
	s_bfe_u32 s2, ttmp6, 0x40010
	s_and_b32 s4, ttmp7, 0xffff
	s_add_co_i32 s5, s2, 1
	s_clause 0x1
	s_load_b32 s6, s[0:1], 0x30
	s_load_b64 s[2:3], s[0:1], 0x40
	s_bfe_u32 s8, ttmp6, 0x4000c
	s_mul_i32 s5, s4, s5
	s_bfe_u32 s7, ttmp6, 0x40004
	s_add_co_i32 s8, s8, 1
	s_bfe_u32 s9, ttmp6, 0x40014
	s_add_co_i32 s7, s7, s5
	s_and_b32 s5, ttmp6, 15
	s_mul_i32 s8, ttmp9, s8
	s_lshr_b32 s10, ttmp7, 16
	s_add_co_i32 s9, s9, 1
	s_add_co_i32 s5, s5, s8
	s_mul_i32 s8, s10, s9
	s_bfe_u32 s9, ttmp6, 0x40008
	s_getreg_b32 s11, hwreg(HW_REG_IB_STS2, 6, 4)
	s_add_co_i32 s9, s9, s8
	s_cmp_eq_u32 s11, 0
	s_cselect_b32 s8, s10, s9
	s_cselect_b32 s4, s4, s7
	s_wait_kmcnt 0x0
	s_mul_i32 s8, s3, s8
	s_cselect_b32 s3, ttmp9, s5
	s_add_co_i32 s4, s8, s4
	s_mov_b32 s5, 0
	s_mul_i32 s4, s4, s2
	s_delay_alu instid0(SALU_CYCLE_1) | instskip(NEXT) | instid1(SALU_CYCLE_1)
	s_add_co_i32 s4, s4, s3
	s_cmp_ge_u32 s4, s6
	s_cbranch_scc1 .LBB1022_43
; %bb.1:
	v_mov_b32_e32 v21, 0
	s_add_nc_u64 s[6:7], s[0:1], 64
	v_lshlrev_b32_e32 v20, 3, v0
	global_load_b32 v1, v21, s[6:7] offset:14
	s_clause 0x2
	s_load_b64 s[8:9], s[0:1], 0x28
	s_load_b64 s[10:11], s[0:1], 0x38
	;; [unrolled: 1-line block ×3, first 2 shown]
	s_wait_kmcnt 0x0
	s_lshr_b32 s22, s8, 10
	s_delay_alu instid0(SALU_CYCLE_1) | instskip(SKIP_2) | instid1(SALU_CYCLE_1)
	s_cmp_lg_u32 s4, s22
	s_cselect_b32 s14, -1, 0
	s_lshl_b64 s[12:13], s[4:5], 2
	s_add_nc_u64 s[10:11], s[10:11], s[12:13]
	s_load_b64 s[12:13], s[10:11], 0x0
	s_wait_xcnt 0x0
	s_lshr_b32 s10, s9, 9
	s_delay_alu instid0(SALU_CYCLE_1) | instskip(NEXT) | instid1(SALU_CYCLE_1)
	s_and_b32 s10, s10, 0x7ffffe
	s_sub_co_i32 s11, 0, s10
	s_lshl_b32 s10, s4, 10
	s_and_b32 s15, s4, s11
	s_or_b32 s11, s4, s11
	s_lshl_b32 s18, s15, 11
	s_lshl_b32 s15, s15, 10
	s_add_co_i32 s18, s18, s9
	s_sub_co_i32 s19, s10, s15
	s_sub_co_i32 s15, s18, s15
	s_add_co_i32 s18, s18, s19
	s_min_u32 s20, s8, s15
	s_add_co_i32 s15, s15, s9
	s_wait_kmcnt 0x0
	s_sub_co_i32 s9, s18, s12
	s_sub_co_i32 s19, s18, s13
	s_min_u32 s18, s8, s9
	s_add_co_i32 s9, s19, 0x400
	s_cmp_eq_u32 s11, -1
	s_mov_b32 s19, s5
	s_cselect_b32 s9, s15, s9
	s_cselect_b32 s11, s20, s13
	s_mov_b32 s13, s5
	s_min_u32 s15, s9, s8
	s_lshl_b64 s[20:21], s[18:19], 3
	s_sub_co_i32 s9, s11, s12
	s_lshl_b64 s[12:13], s[12:13], 3
	s_sub_co_i32 s15, s15, s18
	s_cmp_lt_u32 s3, s2
	s_mov_b32 s3, s5
	s_cselect_b32 s2, 12, 18
	s_add_nc_u64 s[12:13], s[16:17], s[12:13]
	s_add_nc_u64 s[2:3], s[6:7], s[2:3]
	s_cmp_eq_u32 s4, s22
	s_load_u16 s2, s[2:3], 0x0
	s_add_nc_u64 s[6:7], s[16:17], s[20:21]
	s_wait_loadcnt 0x0
	v_lshrrev_b32_e32 v2, 16, v1
	v_and_b32_e32 v1, 0xffff, v1
	s_delay_alu instid0(VALU_DEP_1) | instskip(SKIP_1) | instid1(VALU_DEP_1)
	v_mul_lo_u32 v1, v1, v2
	s_wait_kmcnt 0x0
	v_mul_lo_u32 v1, v1, s2
	s_mov_b32 s2, -1
	s_delay_alu instid0(VALU_DEP_1) | instskip(NEXT) | instid1(VALU_DEP_1)
	v_add_nc_u32_e32 v24, v1, v0
	v_add_nc_u32_e32 v22, v24, v1
	s_cbranch_scc1 .LBB1022_3
; %bb.2:
	v_sub_co_u32 v4, vcc_lo, v0, s9
	v_dual_mov_b32 v5, v21 :: v_dual_mov_b32 v25, v21
	v_add_nc_u64_e32 v[2:3], s[12:13], v[20:21]
	v_sub_co_u32 v8, s2, v24, s9
	s_delay_alu instid0(VALU_DEP_3) | instskip(SKIP_3) | instid1(VALU_DEP_4)
	v_lshl_add_u64 v[4:5], v[4:5], 3, s[6:7]
	v_dual_mov_b32 v9, v21 :: v_dual_mov_b32 v23, v21
	v_lshl_add_u64 v[6:7], v[24:25], 3, s[12:13]
	v_dual_mov_b32 v11, v21 :: v_dual_add_nc_u32 v12, v22, v1
	v_dual_cndmask_b32 v3, v5, v3 :: v_dual_cndmask_b32 v2, v4, v2
	s_delay_alu instid0(VALU_DEP_4) | instskip(SKIP_3) | instid1(VALU_DEP_4)
	v_lshl_add_u64 v[4:5], v[8:9], 3, s[6:7]
	v_sub_co_u32 v10, vcc_lo, v22, s9
	v_mov_b32_e32 v13, v21
	v_lshl_add_u64 v[8:9], v[22:23], 3, s[12:13]
	v_dual_cndmask_b32 v5, v5, v7, s2 :: v_dual_cndmask_b32 v4, v4, v6, s2
	s_delay_alu instid0(VALU_DEP_4) | instskip(NEXT) | instid1(VALU_DEP_4)
	v_lshl_add_u64 v[6:7], v[10:11], 3, s[6:7]
	v_lshl_add_u64 v[10:11], v[12:13], 3, s[12:13]
	v_sub_co_u32 v14, s2, v12, s9
	s_delay_alu instid0(VALU_DEP_3) | instskip(NEXT) | instid1(VALU_DEP_4)
	v_dual_mov_b32 v15, v21 :: v_dual_cndmask_b32 v7, v7, v9, vcc_lo
	v_dual_add_nc_u32 v12, v12, v1 :: v_dual_cndmask_b32 v6, v6, v8, vcc_lo
	v_mov_b32_e32 v17, v21
	s_delay_alu instid0(VALU_DEP_3) | instskip(SKIP_1) | instid1(VALU_DEP_4)
	v_lshl_add_u64 v[8:9], v[14:15], 3, s[6:7]
	v_mov_b32_e32 v27, v21
	v_lshl_add_u64 v[14:15], v[12:13], 3, s[12:13]
	v_sub_co_u32 v16, vcc_lo, v12, s9
	s_delay_alu instid0(VALU_DEP_4) | instskip(SKIP_1) | instid1(VALU_DEP_3)
	v_dual_add_nc_u32 v12, v12, v1 :: v_dual_cndmask_b32 v19, v9, v11, s2
	v_cndmask_b32_e64 v18, v8, v10, s2
	v_lshl_add_u64 v[8:9], v[16:17], 3, s[6:7]
	global_load_b64 v[2:3], v[2:3], off
	v_lshl_add_u64 v[10:11], v[12:13], 3, s[12:13]
	v_add_nc_u32_e32 v16, v12, v1
	v_sub_co_u32 v12, s2, v12, s9
	v_cndmask_b32_e32 v33, v9, v15, vcc_lo
	global_load_b64 v[4:5], v[4:5], off
	v_lshl_add_u64 v[28:29], v[16:17], 3, s[12:13]
	v_lshl_add_u64 v[12:13], v[12:13], 3, s[6:7]
	v_add_nc_u32_e32 v26, v16, v1
	v_sub_co_u32 v16, s3, v16, s9
	global_load_b64 v[6:7], v[6:7], off
	s_add_co_i32 s11, s15, s9
	v_lshl_add_u64 v[30:31], v[26:27], 3, s[12:13]
	v_sub_co_u32 v26, s4, v26, s9
	v_lshl_add_u64 v[16:17], v[16:17], 3, s[6:7]
	v_cndmask_b32_e32 v32, v8, v14, vcc_lo
	s_delay_alu instid0(VALU_DEP_3) | instskip(SKIP_1) | instid1(VALU_DEP_4)
	v_lshl_add_u64 v[8:9], v[26:27], 3, s[6:7]
	v_dual_cndmask_b32 v27, v13, v11, s2 :: v_dual_cndmask_b32 v26, v12, v10, s2
	v_dual_cndmask_b32 v29, v17, v29, s3 :: v_dual_cndmask_b32 v28, v16, v28, s3
	s_delay_alu instid0(VALU_DEP_3)
	v_dual_cndmask_b32 v31, v9, v31, s4 :: v_dual_cndmask_b32 v30, v8, v30, s4
	global_load_b64 v[8:9], v[18:19], off
	global_load_b64 v[10:11], v[32:33], off
	;; [unrolled: 1-line block ×5, first 2 shown]
	s_cbranch_execz .LBB1022_4
	s_branch .LBB1022_19
.LBB1022_3:
                                        ; implicit-def: $vgpr2_vgpr3_vgpr4_vgpr5_vgpr6_vgpr7_vgpr8_vgpr9_vgpr10_vgpr11_vgpr12_vgpr13_vgpr14_vgpr15_vgpr16_vgpr17
                                        ; implicit-def: $sgpr11
	s_and_not1_b32 vcc_lo, exec_lo, s2
	s_cbranch_vccnz .LBB1022_19
.LBB1022_4:
	s_wait_loadcnt 0x7
	s_wait_xcnt 0x7
	v_mov_b32_e32 v2, 0
	s_add_co_i32 s11, s15, s9
	s_mov_b32 s2, exec_lo
	s_wait_loadcnt 0x6
	s_wait_xcnt 0x6
	v_dual_mov_b32 v3, v2 :: v_dual_mov_b32 v4, v2
	s_wait_loadcnt 0x5
	s_wait_xcnt 0x5
	v_dual_mov_b32 v5, v2 :: v_dual_mov_b32 v6, v2
	s_wait_loadcnt 0x4
	v_dual_mov_b32 v7, v2 :: v_dual_mov_b32 v8, v2
	s_wait_loadcnt 0x3
	;; [unrolled: 2-line block ×5, first 2 shown]
	v_dual_mov_b32 v15, v2 :: v_dual_mov_b32 v16, v2
	v_mov_b32_e32 v17, v2
	v_cmpx_gt_u32_e64 s11, v0
	s_cbranch_execnz .LBB1022_44
; %bb.5:
	s_or_b32 exec_lo, exec_lo, s2
	s_delay_alu instid0(SALU_CYCLE_1)
	s_mov_b32 s2, exec_lo
	v_cmpx_gt_u32_e64 s11, v24
	s_cbranch_execnz .LBB1022_45
.LBB1022_6:
	s_or_b32 exec_lo, exec_lo, s2
	s_delay_alu instid0(SALU_CYCLE_1)
	s_mov_b32 s2, exec_lo
	v_cmpx_gt_u32_e64 s11, v22
	s_cbranch_execz .LBB1022_8
.LBB1022_7:
	v_sub_co_u32 v18, vcc_lo, v22, s9
	v_mov_b32_e32 v23, 0
	s_delay_alu instid0(VALU_DEP_1) | instskip(SKIP_1) | instid1(VALU_DEP_1)
	v_lshl_add_u64 v[6:7], v[22:23], 3, s[12:13]
	v_mov_b32_e32 v19, v23
	v_lshl_add_u64 v[18:19], v[18:19], 3, s[6:7]
	s_delay_alu instid0(VALU_DEP_1)
	v_dual_cndmask_b32 v7, v19, v7 :: v_dual_cndmask_b32 v6, v18, v6
	global_load_b64 v[6:7], v[6:7], off
.LBB1022_8:
	s_wait_xcnt 0x0
	s_or_b32 exec_lo, exec_lo, s2
	v_add_nc_u32_e32 v18, v22, v1
	s_mov_b32 s2, exec_lo
	s_delay_alu instid0(VALU_DEP_1)
	v_cmpx_gt_u32_e64 s11, v18
	s_cbranch_execz .LBB1022_10
; %bb.9:
	v_sub_co_u32 v22, vcc_lo, v18, s9
	v_mov_b32_e32 v19, 0
	s_delay_alu instid0(VALU_DEP_1) | instskip(SKIP_1) | instid1(VALU_DEP_1)
	v_lshl_add_u64 v[8:9], v[18:19], 3, s[12:13]
	v_mov_b32_e32 v23, v19
	v_lshl_add_u64 v[22:23], v[22:23], 3, s[6:7]
	s_delay_alu instid0(VALU_DEP_1)
	v_dual_cndmask_b32 v9, v23, v9 :: v_dual_cndmask_b32 v8, v22, v8
	global_load_b64 v[8:9], v[8:9], off
.LBB1022_10:
	s_wait_xcnt 0x0
	s_or_b32 exec_lo, exec_lo, s2
	v_add_nc_u32_e32 v18, v18, v1
	s_mov_b32 s2, exec_lo
	s_delay_alu instid0(VALU_DEP_1)
	v_cmpx_gt_u32_e64 s11, v18
	s_cbranch_execz .LBB1022_12
; %bb.11:
	v_sub_co_u32 v22, vcc_lo, v18, s9
	v_mov_b32_e32 v19, 0
	s_delay_alu instid0(VALU_DEP_1) | instskip(SKIP_1) | instid1(VALU_DEP_1)
	v_lshl_add_u64 v[10:11], v[18:19], 3, s[12:13]
	v_mov_b32_e32 v23, v19
	v_lshl_add_u64 v[22:23], v[22:23], 3, s[6:7]
	s_delay_alu instid0(VALU_DEP_1)
	v_dual_cndmask_b32 v11, v23, v11 :: v_dual_cndmask_b32 v10, v22, v10
	global_load_b64 v[10:11], v[10:11], off
.LBB1022_12:
	s_wait_xcnt 0x0
	s_or_b32 exec_lo, exec_lo, s2
	v_add_nc_u32_e32 v18, v18, v1
	s_mov_b32 s2, exec_lo
	s_delay_alu instid0(VALU_DEP_1)
	v_cmpx_gt_u32_e64 s11, v18
	s_cbranch_execz .LBB1022_14
; %bb.13:
	v_sub_co_u32 v22, vcc_lo, v18, s9
	v_mov_b32_e32 v19, 0
	s_delay_alu instid0(VALU_DEP_1) | instskip(SKIP_1) | instid1(VALU_DEP_1)
	v_lshl_add_u64 v[12:13], v[18:19], 3, s[12:13]
	v_mov_b32_e32 v23, v19
	v_lshl_add_u64 v[22:23], v[22:23], 3, s[6:7]
	s_delay_alu instid0(VALU_DEP_1)
	v_dual_cndmask_b32 v13, v23, v13 :: v_dual_cndmask_b32 v12, v22, v12
	global_load_b64 v[12:13], v[12:13], off
.LBB1022_14:
	s_wait_xcnt 0x0
	s_or_b32 exec_lo, exec_lo, s2
	v_add_nc_u32_e32 v18, v18, v1
	s_mov_b32 s2, exec_lo
	s_delay_alu instid0(VALU_DEP_1)
	v_cmpx_gt_u32_e64 s11, v18
	s_cbranch_execz .LBB1022_16
; %bb.15:
	v_sub_co_u32 v22, vcc_lo, v18, s9
	v_mov_b32_e32 v19, 0
	s_delay_alu instid0(VALU_DEP_1) | instskip(SKIP_1) | instid1(VALU_DEP_1)
	v_lshl_add_u64 v[14:15], v[18:19], 3, s[12:13]
	v_mov_b32_e32 v23, v19
	v_lshl_add_u64 v[22:23], v[22:23], 3, s[6:7]
	s_delay_alu instid0(VALU_DEP_1)
	v_dual_cndmask_b32 v15, v23, v15 :: v_dual_cndmask_b32 v14, v22, v14
	global_load_b64 v[14:15], v[14:15], off
.LBB1022_16:
	s_wait_xcnt 0x0
	s_or_b32 exec_lo, exec_lo, s2
	v_add_nc_u32_e32 v18, v18, v1
	s_mov_b32 s2, exec_lo
	s_delay_alu instid0(VALU_DEP_1)
	v_cmpx_gt_u32_e64 s11, v18
	s_cbranch_execz .LBB1022_18
; %bb.17:
	v_mov_b32_e32 v19, 0
	s_delay_alu instid0(VALU_DEP_1) | instskip(SKIP_1) | instid1(VALU_DEP_1)
	v_lshl_add_u64 v[16:17], v[18:19], 3, s[12:13]
	v_sub_co_u32 v18, vcc_lo, v18, s9
	v_lshl_add_u64 v[18:19], v[18:19], 3, s[6:7]
	s_delay_alu instid0(VALU_DEP_1)
	v_dual_cndmask_b32 v17, v19, v17 :: v_dual_cndmask_b32 v16, v18, v16
	global_load_b64 v[16:17], v[16:17], off
.LBB1022_18:
	s_wait_xcnt 0x0
	s_or_b32 exec_lo, exec_lo, s2
.LBB1022_19:
	s_load_b64 s[12:13], s[0:1], 0x10
	v_min_u32_e32 v18, s11, v20
	s_wait_xcnt 0x0
	s_mov_b32 s0, exec_lo
	s_wait_loadcnt 0x0
	ds_store_2addr_stride64_b64 v20, v[2:3], v[4:5] offset1:2
	ds_store_2addr_stride64_b64 v20, v[6:7], v[8:9] offset0:4 offset1:6
	ds_store_2addr_stride64_b64 v20, v[10:11], v[12:13] offset0:8 offset1:10
	ds_store_2addr_stride64_b64 v20, v[14:15], v[16:17] offset0:12 offset1:14
	s_wait_dscnt 0x0
	s_barrier_signal -1
	v_sub_nc_u32_e64 v1, v18, s15 clamp
	v_min_u32_e32 v19, s9, v18
	s_barrier_wait -1
	s_delay_alu instid0(VALU_DEP_1)
	v_cmpx_lt_u32_e64 v1, v19
	s_cbranch_execz .LBB1022_23
; %bb.20:
	v_lshlrev_b32_e32 v21, 3, v18
	s_mov_b32 s1, 0
	s_delay_alu instid0(VALU_DEP_1)
	v_lshl_add_u32 v21, s9, 3, v21
.LBB1022_21:                            ; =>This Inner Loop Header: Depth=1
	v_add_nc_u32_e32 v22, v19, v1
	s_delay_alu instid0(VALU_DEP_1) | instskip(NEXT) | instid1(VALU_DEP_1)
	v_lshrrev_b32_e32 v26, 1, v22
	v_not_b32_e32 v22, v26
	v_lshlrev_b32_e32 v23, 3, v26
	s_delay_alu instid0(VALU_DEP_2)
	v_lshl_add_u32 v24, v22, 3, v21
	ds_load_b64 v[22:23], v23
	ds_load_b64 v[24:25], v24
	s_wait_dscnt 0x0
	v_cmp_gt_i64_e32 vcc_lo, v[24:25], v[22:23]
	v_add_nc_u32_e32 v22, 1, v26
	s_delay_alu instid0(VALU_DEP_1) | instskip(NEXT) | instid1(VALU_DEP_1)
	v_dual_cndmask_b32 v1, v22, v1, vcc_lo :: v_dual_cndmask_b32 v19, v19, v26, vcc_lo
	v_cmp_ge_u32_e32 vcc_lo, v1, v19
	s_or_b32 s1, vcc_lo, s1
	s_delay_alu instid0(SALU_CYCLE_1)
	s_and_not1_b32 exec_lo, exec_lo, s1
	s_cbranch_execnz .LBB1022_21
; %bb.22:
	s_or_b32 exec_lo, exec_lo, s1
.LBB1022_23:
	s_delay_alu instid0(SALU_CYCLE_1) | instskip(SKIP_2) | instid1(VALU_DEP_2)
	s_or_b32 exec_lo, exec_lo, s0
	v_sub_nc_u32_e32 v18, v18, v1
	v_cmp_ge_u32_e32 vcc_lo, s9, v1
	v_add_nc_u32_e32 v18, s9, v18
	s_delay_alu instid0(VALU_DEP_1) | instskip(SKIP_1) | instid1(SALU_CYCLE_1)
	v_cmp_ge_u32_e64 s0, s11, v18
	s_or_b32 s0, vcc_lo, s0
	s_and_saveexec_b32 s15, s0
	s_cbranch_execz .LBB1022_29
; %bb.24:
	v_cmp_gt_u32_e32 vcc_lo, s9, v1
                                        ; implicit-def: $vgpr2_vgpr3
	s_and_saveexec_b32 s0, vcc_lo
; %bb.25:
	v_lshlrev_b32_e32 v2, 3, v1
	ds_load_b64 v[2:3], v2
; %bb.26:
	s_or_b32 exec_lo, exec_lo, s0
	v_cmp_le_u32_e64 s0, s11, v18
	s_mov_b32 s2, exec_lo
                                        ; implicit-def: $vgpr4_vgpr5
	v_cmpx_gt_u32_e64 s11, v18
; %bb.27:
	v_lshlrev_b32_e32 v4, 3, v18
	ds_load_b64 v[4:5], v4
; %bb.28:
	s_or_b32 exec_lo, exec_lo, s2
	s_wait_dscnt 0x0
	v_cmp_le_i64_e64 s1, v[4:5], v[2:3]
	s_and_b32 s1, vcc_lo, s1
	s_delay_alu instid0(SALU_CYCLE_1) | instskip(SKIP_1) | instid1(VALU_DEP_1)
	s_or_b32 vcc_lo, s0, s1
	v_dual_mov_b32 v21, s9 :: v_dual_cndmask_b32 v6, v18, v1
	v_dual_cndmask_b32 v7, s11, v21 :: v_dual_add_nc_u32 v10, 1, v6
	s_delay_alu instid0(VALU_DEP_1) | instskip(SKIP_1) | instid1(VALU_DEP_2)
	v_add_min_u32_e64 v6, v7, -1, v10
	v_cndmask_b32_e32 v1, v1, v10, vcc_lo
	v_lshlrev_b32_e32 v6, 3, v6
	s_delay_alu instid0(VALU_DEP_2)
	v_cmp_gt_u32_e64 s1, s9, v1
	ds_load_b64 v[6:7], v6
	s_wait_dscnt 0x0
	v_dual_cndmask_b32 v9, v7, v5 :: v_dual_cndmask_b32 v8, v6, v4
	v_dual_cndmask_b32 v7, v3, v7 :: v_dual_cndmask_b32 v6, v2, v6
	;; [unrolled: 1-line block ×3, first 2 shown]
	v_cndmask_b32_e32 v2, v4, v2, vcc_lo
	s_delay_alu instid0(VALU_DEP_3) | instskip(NEXT) | instid1(VALU_DEP_3)
	v_cmp_le_i64_e64 s0, v[8:9], v[6:7]
	v_cmp_le_u32_e64 s2, s11, v14
	s_and_b32 s0, s1, s0
	s_delay_alu instid0(SALU_CYCLE_1) | instskip(NEXT) | instid1(SALU_CYCLE_1)
	s_or_b32 s0, s2, s0
	v_cndmask_b32_e64 v10, v14, v1, s0
	s_delay_alu instid0(VALU_DEP_1) | instskip(NEXT) | instid1(VALU_DEP_1)
	v_dual_cndmask_b32 v11, s11, v21, s0 :: v_dual_add_nc_u32 v15, 1, v10
	v_add_min_u32_e64 v10, v11, -1, v15
	s_delay_alu instid0(VALU_DEP_1) | instskip(NEXT) | instid1(VALU_DEP_1)
	v_dual_cndmask_b32 v1, v1, v15, s0 :: v_dual_lshlrev_b32 v10, 3, v10
	v_cmp_gt_u32_e64 s2, s9, v1
	ds_load_b64 v[10:11], v10
	s_wait_dscnt 0x0
	v_dual_cndmask_b32 v13, v11, v9, s0 :: v_dual_cndmask_b32 v12, v10, v8, s0
	v_dual_cndmask_b32 v11, v7, v11, s0 :: v_dual_cndmask_b32 v10, v6, v10, s0
	;; [unrolled: 1-line block ×3, first 2 shown]
	v_cndmask_b32_e64 v4, v8, v6, s0
	s_delay_alu instid0(VALU_DEP_3) | instskip(NEXT) | instid1(VALU_DEP_3)
	v_cmp_le_i64_e64 s1, v[12:13], v[10:11]
	v_cmp_le_u32_e64 s3, s11, v18
	s_and_b32 s1, s2, s1
	s_delay_alu instid0(SALU_CYCLE_1) | instskip(NEXT) | instid1(SALU_CYCLE_1)
	s_or_b32 s1, s3, s1
	v_cndmask_b32_e64 v14, v18, v1, s1
	v_cndmask_b32_e64 v15, s11, v21, s1
	v_dual_cndmask_b32 v7, v13, v11, s1 :: v_dual_cndmask_b32 v6, v12, v10, s1
	s_delay_alu instid0(VALU_DEP_3) | instskip(NEXT) | instid1(VALU_DEP_1)
	v_add_nc_u32_e32 v19, 1, v14
	v_add_min_u32_e64 v14, v15, -1, v19
	v_dual_cndmask_b32 v1, v1, v19, s1 :: v_dual_cndmask_b32 v24, v19, v18, s1
	s_delay_alu instid0(VALU_DEP_2) | instskip(NEXT) | instid1(VALU_DEP_2)
	v_lshlrev_b32_e32 v14, 3, v14
	v_cmp_gt_u32_e64 s3, s9, v1
	s_delay_alu instid0(VALU_DEP_3) | instskip(SKIP_4) | instid1(VALU_DEP_1)
	v_cmp_le_u32_e64 s4, s11, v24
	ds_load_b64 v[14:15], v14
	s_wait_dscnt 0x0
	v_dual_cndmask_b32 v17, v15, v13, s1 :: v_dual_cndmask_b32 v16, v14, v12, s1
	v_dual_cndmask_b32 v15, v11, v15, s1 :: v_dual_cndmask_b32 v14, v10, v14, s1
	v_cmp_le_i64_e64 s2, v[16:17], v[14:15]
	s_and_b32 s2, s3, s2
	s_delay_alu instid0(SALU_CYCLE_1) | instskip(NEXT) | instid1(SALU_CYCLE_1)
	s_or_b32 s2, s4, s2
	v_cndmask_b32_e64 v18, v24, v1, s2
	v_cndmask_b32_e64 v19, s11, v21, s2
	;; [unrolled: 1-line block ×3, first 2 shown]
	s_delay_alu instid0(VALU_DEP_3) | instskip(NEXT) | instid1(VALU_DEP_1)
	v_add_nc_u32_e32 v25, 1, v18
	v_add_min_u32_e64 v18, v19, -1, v25
	v_cndmask_b32_e64 v1, v1, v25, s2
	s_delay_alu instid0(VALU_DEP_2) | instskip(NEXT) | instid1(VALU_DEP_2)
	v_dual_cndmask_b32 v28, v25, v24, s2 :: v_dual_lshlrev_b32 v18, 3, v18
	v_cmp_gt_u32_e64 s4, s9, v1
	s_delay_alu instid0(VALU_DEP_2) | instskip(SKIP_4) | instid1(VALU_DEP_1)
	v_cmp_le_u32_e64 s5, s11, v28
	ds_load_b64 v[18:19], v18
	s_wait_dscnt 0x0
	v_dual_cndmask_b32 v23, v19, v17, s2 :: v_dual_cndmask_b32 v22, v18, v16, s2
	v_dual_cndmask_b32 v19, v15, v19, s2 :: v_dual_cndmask_b32 v18, v14, v18, s2
	v_cmp_le_i64_e64 s3, v[22:23], v[18:19]
	s_and_b32 s3, s4, s3
	s_delay_alu instid0(SALU_CYCLE_1) | instskip(NEXT) | instid1(SALU_CYCLE_1)
	s_or_b32 s3, s5, s3
	v_cndmask_b32_e64 v24, v28, v1, s3
	v_cndmask_b32_e64 v25, s11, v21, s3
	v_dual_cndmask_b32 v11, v23, v19, s3 :: v_dual_cndmask_b32 v10, v22, v18, s3
	s_delay_alu instid0(VALU_DEP_3) | instskip(NEXT) | instid1(VALU_DEP_1)
	v_add_nc_u32_e32 v29, 1, v24
	v_add_min_u32_e64 v24, v25, -1, v29
	v_cndmask_b32_e64 v1, v1, v29, s3
	v_cndmask_b32_e64 v32, v29, v28, s3
	s_delay_alu instid0(VALU_DEP_3) | instskip(NEXT) | instid1(VALU_DEP_3)
	v_lshlrev_b32_e32 v24, 3, v24
	v_cmp_gt_u32_e64 s5, s9, v1
	s_delay_alu instid0(VALU_DEP_3) | instskip(SKIP_4) | instid1(VALU_DEP_1)
	v_cmp_le_u32_e64 s6, s11, v32
	ds_load_b64 v[24:25], v24
	s_wait_dscnt 0x0
	v_dual_cndmask_b32 v27, v25, v23, s3 :: v_dual_cndmask_b32 v26, v24, v22, s3
	v_dual_cndmask_b32 v25, v19, v25, s3 :: v_dual_cndmask_b32 v24, v18, v24, s3
	v_cmp_le_i64_e64 s4, v[26:27], v[24:25]
	s_and_b32 s4, s5, s4
	s_delay_alu instid0(SALU_CYCLE_1) | instskip(NEXT) | instid1(SALU_CYCLE_1)
	s_or_b32 s4, s6, s4
	v_cndmask_b32_e64 v28, v32, v1, s4
	v_cndmask_b32_e64 v29, s11, v21, s4
	s_delay_alu instid0(VALU_DEP_2) | instskip(NEXT) | instid1(VALU_DEP_1)
	v_dual_cndmask_b32 v13, v27, v25, s4 :: v_dual_add_nc_u32 v33, 1, v28
	v_add_min_u32_e64 v28, v29, -1, v33
	v_cndmask_b32_e64 v1, v1, v33, s4
	v_cndmask_b32_e64 v36, v33, v32, s4
	s_delay_alu instid0(VALU_DEP_3) | instskip(NEXT) | instid1(VALU_DEP_3)
	v_lshlrev_b32_e32 v28, 3, v28
	v_cmp_gt_u32_e64 s6, s9, v1
	s_delay_alu instid0(VALU_DEP_3) | instskip(SKIP_4) | instid1(VALU_DEP_1)
	v_cmp_le_u32_e64 s7, s11, v36
	ds_load_b64 v[28:29], v28
	s_wait_dscnt 0x0
	v_dual_cndmask_b32 v31, v29, v27, s4 :: v_dual_cndmask_b32 v30, v28, v26, s4
	v_dual_cndmask_b32 v29, v25, v29, s4 :: v_dual_cndmask_b32 v28, v24, v28, s4
	v_cmp_le_i64_e64 s5, v[30:31], v[28:29]
	s_and_b32 s5, s6, s5
	s_delay_alu instid0(SALU_CYCLE_1) | instskip(NEXT) | instid1(SALU_CYCLE_1)
	s_or_b32 s5, s7, s5
	v_cndmask_b32_e64 v32, v36, v1, s5
	v_cndmask_b32_e64 v21, s11, v21, s5
	;; [unrolled: 1-line block ×3, first 2 shown]
	s_delay_alu instid0(VALU_DEP_3) | instskip(NEXT) | instid1(VALU_DEP_1)
	v_add_nc_u32_e32 v37, 1, v32
	v_add_min_u32_e64 v21, v21, -1, v37
	v_cndmask_b32_e64 v1, v1, v37, s5
	s_delay_alu instid0(VALU_DEP_2) | instskip(NEXT) | instid1(VALU_DEP_2)
	v_dual_cndmask_b32 v12, v37, v36, s5 :: v_dual_lshlrev_b32 v21, 3, v21
	v_cmp_gt_u32_e64 s0, s9, v1
	s_delay_alu instid0(VALU_DEP_2)
	v_cmp_le_u32_e64 s1, s11, v12
	v_cndmask_b32_e64 v12, v26, v24, s4
	ds_load_b64 v[32:33], v21
	v_dual_cndmask_b32 v9, v17, v15, s2 :: v_dual_cndmask_b32 v15, v31, v29, s5
	s_wait_dscnt 0x0
	v_dual_cndmask_b32 v35, v33, v31, s5 :: v_dual_cndmask_b32 v34, v32, v30, s5
	v_dual_cndmask_b32 v33, v29, v33, s5 :: v_dual_cndmask_b32 v32, v28, v32, s5
	s_delay_alu instid0(VALU_DEP_1) | instskip(SKIP_1) | instid1(SALU_CYCLE_1)
	v_cmp_le_i64_e32 vcc_lo, v[34:35], v[32:33]
	s_and_b32 s0, s0, vcc_lo
	s_or_b32 vcc_lo, s1, s0
	v_dual_cndmask_b32 v17, v35, v33 :: v_dual_cndmask_b32 v16, v34, v32
.LBB1022_29:
	s_or_b32 exec_lo, exec_lo, s15
	v_or_b32_e32 v25, 0x80, v0
	v_lshrrev_b32_e32 v1, 2, v0
	v_or_b32_e32 v22, 0x100, v0
	v_lshlrev_b32_e32 v18, 3, v20
	s_delay_alu instid0(VALU_DEP_4) | instskip(SKIP_1) | instid1(VALU_DEP_3)
	v_lshrrev_b32_e32 v19, 2, v25
	s_barrier_signal -1
	v_lshrrev_b32_e32 v21, 2, v22
	s_delay_alu instid0(VALU_DEP_3)
	v_lshl_add_u32 v18, v1, 3, v18
	s_barrier_wait -1
	s_barrier_signal -1
	s_barrier_wait -1
	ds_store_2addr_b64 v18, v[2:3], v[4:5] offset1:1
	ds_store_2addr_b64 v18, v[6:7], v[8:9] offset0:2 offset1:3
	v_and_b32_e32 v2, 56, v19
	v_and_b32_e32 v1, 24, v1
	v_or_b32_e32 v24, 0x180, v0
	v_and_b32_e32 v3, 0x58, v21
	v_or_b32_e32 v23, 0x200, v0
	s_delay_alu instid0(VALU_DEP_4) | instskip(NEXT) | instid1(VALU_DEP_4)
	v_dual_add_nc_u32 v6, v2, v20 :: v_dual_add_nc_u32 v26, v1, v20
	v_lshrrev_b32_e32 v1, 2, v24
	ds_store_2addr_b64 v18, v[10:11], v[12:13] offset0:4 offset1:5
	ds_store_2addr_b64 v18, v[14:15], v[16:17] offset0:6 offset1:7
	v_or_b32_e32 v19, 0x280, v0
	v_add_nc_u32_e32 v7, v3, v20
	v_or_b32_e32 v18, 0x300, v0
	v_lshrrev_b32_e32 v3, 2, v23
	v_and_b32_e32 v2, 0x78, v1
	v_or_b32_e32 v1, 0x380, v0
	s_delay_alu instid0(VALU_DEP_4) | instskip(SKIP_1) | instid1(VALU_DEP_2)
	v_dual_lshrrev_b32 v4, 2, v19 :: v_dual_lshrrev_b32 v5, 2, v18
	s_mov_b32 s11, 0
	v_dual_add_nc_u32 v8, v2, v20 :: v_dual_lshrrev_b32 v2, 2, v1
	v_mov_b32_e32 v21, 0
	v_and_b32_e32 v3, 0x98, v3
	s_lshl_b64 s[0:1], s[10:11], 3
	v_and_b32_e32 v4, 0xb8, v4
	v_and_b32_e32 v5, 0xd8, v5
	;; [unrolled: 1-line block ×3, first 2 shown]
	s_wait_kmcnt 0x0
	s_add_nc_u64 s[0:1], s[12:13], s[0:1]
	v_dual_add_nc_u32 v9, v3, v20 :: v_dual_add_nc_u32 v27, v4, v20
	v_add_nc_u64_e32 v[2:3], s[0:1], v[20:21]
	v_dual_add_nc_u32 v28, v5, v20 :: v_dual_add_nc_u32 v20, v10, v20
	s_and_b32 vcc_lo, exec_lo, s14
	s_wait_dscnt 0x0
	s_cbranch_vccz .LBB1022_31
; %bb.30:
	s_barrier_signal -1
	s_barrier_wait -1
	ds_load_b64 v[10:11], v26
	ds_load_b64 v[12:13], v6 offset:1024
	ds_load_b64 v[14:15], v7 offset:2048
	;; [unrolled: 1-line block ×7, first 2 shown]
	s_mov_b32 s11, -1
	s_wait_dscnt 0x7
	global_store_b64 v[2:3], v[10:11], off
	s_wait_dscnt 0x6
	global_store_b64 v[2:3], v[12:13], off offset:1024
	s_wait_dscnt 0x5
	global_store_b64 v[2:3], v[14:15], off offset:2048
	;; [unrolled: 2-line block ×6, first 2 shown]
	s_cbranch_execz .LBB1022_32
	s_branch .LBB1022_41
.LBB1022_31:
                                        ; implicit-def: $vgpr4_vgpr5
.LBB1022_32:
	s_barrier_signal -1
	s_barrier_wait -1
	s_wait_storecnt_dscnt 0x0
	s_wait_xcnt 0x3
	ds_load_b64 v[16:17], v6 offset:1024
	ds_load_b64 v[14:15], v7 offset:2048
	;; [unrolled: 1-line block ×7, first 2 shown]
	s_sub_co_i32 s0, s8, s10
	s_mov_b32 s1, exec_lo
	s_wait_xcnt 0x0
	v_cmpx_gt_u32_e64 s0, v0
	s_cbranch_execnz .LBB1022_46
; %bb.33:
	s_or_b32 exec_lo, exec_lo, s1
	s_delay_alu instid0(SALU_CYCLE_1)
	s_mov_b32 s1, exec_lo
	v_cmpx_gt_u32_e64 s0, v25
	s_cbranch_execnz .LBB1022_47
.LBB1022_34:
	s_or_b32 exec_lo, exec_lo, s1
	s_delay_alu instid0(SALU_CYCLE_1)
	s_mov_b32 s1, exec_lo
	v_cmpx_gt_u32_e64 s0, v22
	s_cbranch_execnz .LBB1022_48
.LBB1022_35:
	s_or_b32 exec_lo, exec_lo, s1
	s_delay_alu instid0(SALU_CYCLE_1)
	s_mov_b32 s1, exec_lo
	v_cmpx_gt_u32_e64 s0, v24
	s_cbranch_execnz .LBB1022_49
.LBB1022_36:
	s_or_b32 exec_lo, exec_lo, s1
	s_delay_alu instid0(SALU_CYCLE_1)
	s_mov_b32 s1, exec_lo
	v_cmpx_gt_u32_e64 s0, v23
	s_cbranch_execnz .LBB1022_50
.LBB1022_37:
	s_or_b32 exec_lo, exec_lo, s1
	s_delay_alu instid0(SALU_CYCLE_1)
	s_mov_b32 s1, exec_lo
	v_cmpx_gt_u32_e64 s0, v19
	s_cbranch_execnz .LBB1022_51
.LBB1022_38:
	s_or_b32 exec_lo, exec_lo, s1
	s_delay_alu instid0(SALU_CYCLE_1)
	s_mov_b32 s1, exec_lo
	v_cmpx_gt_u32_e64 s0, v18
	s_cbranch_execz .LBB1022_40
.LBB1022_39:
	s_wait_dscnt 0x1
	global_store_b64 v[2:3], v[6:7], off offset:6144
.LBB1022_40:
	s_wait_xcnt 0x0
	s_or_b32 exec_lo, exec_lo, s1
	v_cmp_gt_u32_e64 s11, s0, v1
.LBB1022_41:
	s_wait_xcnt 0x0
	s_delay_alu instid0(VALU_DEP_1)
	s_and_saveexec_b32 s0, s11
	s_cbranch_execz .LBB1022_43
; %bb.42:
	s_wait_dscnt 0x0
	global_store_b64 v[2:3], v[4:5], off offset:7168
.LBB1022_43:
	s_endpgm
.LBB1022_44:
	v_dual_mov_b32 v21, v2 :: v_dual_mov_b32 v5, v2
	v_sub_co_u32 v4, vcc_lo, v0, s9
	v_dual_mov_b32 v18, v2 :: v_dual_mov_b32 v19, v2
	s_delay_alu instid0(VALU_DEP_3) | instskip(NEXT) | instid1(VALU_DEP_3)
	v_add_nc_u64_e32 v[6:7], s[12:13], v[20:21]
	v_lshl_add_u64 v[4:5], v[4:5], 3, s[6:7]
	v_dual_mov_b32 v8, v2 :: v_dual_mov_b32 v9, v2
	v_dual_mov_b32 v10, v2 :: v_dual_mov_b32 v11, v2
	;; [unrolled: 1-line block ×3, first 2 shown]
	s_delay_alu instid0(VALU_DEP_4)
	v_dual_cndmask_b32 v5, v5, v7 :: v_dual_cndmask_b32 v4, v4, v6
	v_dual_mov_b32 v6, v2 :: v_dual_mov_b32 v7, v2
	v_dual_mov_b32 v14, v2 :: v_dual_mov_b32 v15, v2
	global_load_b64 v[4:5], v[4:5], off
	v_dual_mov_b32 v16, v2 :: v_dual_mov_b32 v17, v2
	s_wait_loadcnt 0x0
	v_mov_b64_e32 v[2:3], v[4:5]
	v_mov_b64_e32 v[4:5], v[6:7]
	;; [unrolled: 1-line block ×8, first 2 shown]
	s_or_b32 exec_lo, exec_lo, s2
	s_delay_alu instid0(SALU_CYCLE_1)
	s_mov_b32 s2, exec_lo
	v_cmpx_gt_u32_e64 s11, v24
	s_cbranch_execz .LBB1022_6
.LBB1022_45:
	v_mov_b32_e32 v25, 0
	s_delay_alu instid0(VALU_DEP_1) | instskip(SKIP_1) | instid1(VALU_DEP_1)
	v_lshl_add_u64 v[4:5], v[24:25], 3, s[12:13]
	v_sub_co_u32 v24, vcc_lo, v24, s9
	v_lshl_add_u64 v[18:19], v[24:25], 3, s[6:7]
	s_delay_alu instid0(VALU_DEP_1) | instskip(SKIP_3) | instid1(SALU_CYCLE_1)
	v_dual_cndmask_b32 v5, v19, v5 :: v_dual_cndmask_b32 v4, v18, v4
	global_load_b64 v[4:5], v[4:5], off
	s_wait_xcnt 0x0
	s_or_b32 exec_lo, exec_lo, s2
	s_mov_b32 s2, exec_lo
	v_cmpx_gt_u32_e64 s11, v22
	s_cbranch_execnz .LBB1022_7
	s_branch .LBB1022_8
.LBB1022_46:
	ds_load_b64 v[20:21], v26
	s_wait_dscnt 0x0
	global_store_b64 v[2:3], v[20:21], off
	s_wait_xcnt 0x0
	s_or_b32 exec_lo, exec_lo, s1
	s_delay_alu instid0(SALU_CYCLE_1)
	s_mov_b32 s1, exec_lo
	v_cmpx_gt_u32_e64 s0, v25
	s_cbranch_execz .LBB1022_34
.LBB1022_47:
	s_wait_dscnt 0x6
	global_store_b64 v[2:3], v[16:17], off offset:1024
	s_wait_xcnt 0x0
	s_or_b32 exec_lo, exec_lo, s1
	s_delay_alu instid0(SALU_CYCLE_1)
	s_mov_b32 s1, exec_lo
	v_cmpx_gt_u32_e64 s0, v22
	s_cbranch_execz .LBB1022_35
.LBB1022_48:
	s_wait_dscnt 0x5
	global_store_b64 v[2:3], v[14:15], off offset:2048
	s_wait_xcnt 0x0
	s_or_b32 exec_lo, exec_lo, s1
	s_delay_alu instid0(SALU_CYCLE_1)
	s_mov_b32 s1, exec_lo
	v_cmpx_gt_u32_e64 s0, v24
	s_cbranch_execz .LBB1022_36
.LBB1022_49:
	s_wait_dscnt 0x4
	global_store_b64 v[2:3], v[12:13], off offset:3072
	s_wait_xcnt 0x0
	s_or_b32 exec_lo, exec_lo, s1
	s_delay_alu instid0(SALU_CYCLE_1)
	s_mov_b32 s1, exec_lo
	v_cmpx_gt_u32_e64 s0, v23
	s_cbranch_execz .LBB1022_37
.LBB1022_50:
	s_wait_dscnt 0x3
	global_store_b64 v[2:3], v[10:11], off offset:4096
	s_wait_xcnt 0x0
	s_or_b32 exec_lo, exec_lo, s1
	s_delay_alu instid0(SALU_CYCLE_1)
	s_mov_b32 s1, exec_lo
	v_cmpx_gt_u32_e64 s0, v19
	s_cbranch_execz .LBB1022_38
.LBB1022_51:
	s_wait_dscnt 0x2
	global_store_b64 v[2:3], v[8:9], off offset:5120
	s_wait_xcnt 0x0
	s_or_b32 exec_lo, exec_lo, s1
	s_delay_alu instid0(SALU_CYCLE_1)
	s_mov_b32 s1, exec_lo
	v_cmpx_gt_u32_e64 s0, v18
	s_cbranch_execnz .LBB1022_39
	s_branch .LBB1022_40
	.section	.rodata,"a",@progbits
	.p2align	6, 0x0
	.amdhsa_kernel _ZN7rocprim17ROCPRIM_400000_NS6detail17trampoline_kernelINS0_14default_configENS1_38merge_sort_block_merge_config_selectorIlNS0_10empty_typeEEEZZNS1_27merge_sort_block_merge_implIS3_PlPS5_jNS1_19radix_merge_compareILb1ELb0ElNS0_19identity_decomposerEEEEE10hipError_tT0_T1_T2_jT3_P12ihipStream_tbPNSt15iterator_traitsISE_E10value_typeEPNSK_ISF_E10value_typeEPSG_NS1_7vsmem_tEENKUlT_SE_SF_SG_E_clIS8_S8_S9_S9_EESD_ST_SE_SF_SG_EUlST_E0_NS1_11comp_targetILNS1_3genE0ELNS1_11target_archE4294967295ELNS1_3gpuE0ELNS1_3repE0EEENS1_38merge_mergepath_config_static_selectorELNS0_4arch9wavefront6targetE0EEEvSF_
		.amdhsa_group_segment_fixed_size 8448
		.amdhsa_private_segment_fixed_size 0
		.amdhsa_kernarg_size 320
		.amdhsa_user_sgpr_count 2
		.amdhsa_user_sgpr_dispatch_ptr 0
		.amdhsa_user_sgpr_queue_ptr 0
		.amdhsa_user_sgpr_kernarg_segment_ptr 1
		.amdhsa_user_sgpr_dispatch_id 0
		.amdhsa_user_sgpr_kernarg_preload_length 0
		.amdhsa_user_sgpr_kernarg_preload_offset 0
		.amdhsa_user_sgpr_private_segment_size 0
		.amdhsa_wavefront_size32 1
		.amdhsa_uses_dynamic_stack 0
		.amdhsa_enable_private_segment 0
		.amdhsa_system_sgpr_workgroup_id_x 1
		.amdhsa_system_sgpr_workgroup_id_y 1
		.amdhsa_system_sgpr_workgroup_id_z 1
		.amdhsa_system_sgpr_workgroup_info 0
		.amdhsa_system_vgpr_workitem_id 0
		.amdhsa_next_free_vgpr 38
		.amdhsa_next_free_sgpr 23
		.amdhsa_named_barrier_count 0
		.amdhsa_reserve_vcc 1
		.amdhsa_float_round_mode_32 0
		.amdhsa_float_round_mode_16_64 0
		.amdhsa_float_denorm_mode_32 3
		.amdhsa_float_denorm_mode_16_64 3
		.amdhsa_fp16_overflow 0
		.amdhsa_memory_ordered 1
		.amdhsa_forward_progress 1
		.amdhsa_inst_pref_size 35
		.amdhsa_round_robin_scheduling 0
		.amdhsa_exception_fp_ieee_invalid_op 0
		.amdhsa_exception_fp_denorm_src 0
		.amdhsa_exception_fp_ieee_div_zero 0
		.amdhsa_exception_fp_ieee_overflow 0
		.amdhsa_exception_fp_ieee_underflow 0
		.amdhsa_exception_fp_ieee_inexact 0
		.amdhsa_exception_int_div_zero 0
	.end_amdhsa_kernel
	.section	.text._ZN7rocprim17ROCPRIM_400000_NS6detail17trampoline_kernelINS0_14default_configENS1_38merge_sort_block_merge_config_selectorIlNS0_10empty_typeEEEZZNS1_27merge_sort_block_merge_implIS3_PlPS5_jNS1_19radix_merge_compareILb1ELb0ElNS0_19identity_decomposerEEEEE10hipError_tT0_T1_T2_jT3_P12ihipStream_tbPNSt15iterator_traitsISE_E10value_typeEPNSK_ISF_E10value_typeEPSG_NS1_7vsmem_tEENKUlT_SE_SF_SG_E_clIS8_S8_S9_S9_EESD_ST_SE_SF_SG_EUlST_E0_NS1_11comp_targetILNS1_3genE0ELNS1_11target_archE4294967295ELNS1_3gpuE0ELNS1_3repE0EEENS1_38merge_mergepath_config_static_selectorELNS0_4arch9wavefront6targetE0EEEvSF_,"axG",@progbits,_ZN7rocprim17ROCPRIM_400000_NS6detail17trampoline_kernelINS0_14default_configENS1_38merge_sort_block_merge_config_selectorIlNS0_10empty_typeEEEZZNS1_27merge_sort_block_merge_implIS3_PlPS5_jNS1_19radix_merge_compareILb1ELb0ElNS0_19identity_decomposerEEEEE10hipError_tT0_T1_T2_jT3_P12ihipStream_tbPNSt15iterator_traitsISE_E10value_typeEPNSK_ISF_E10value_typeEPSG_NS1_7vsmem_tEENKUlT_SE_SF_SG_E_clIS8_S8_S9_S9_EESD_ST_SE_SF_SG_EUlST_E0_NS1_11comp_targetILNS1_3genE0ELNS1_11target_archE4294967295ELNS1_3gpuE0ELNS1_3repE0EEENS1_38merge_mergepath_config_static_selectorELNS0_4arch9wavefront6targetE0EEEvSF_,comdat
.Lfunc_end1022:
	.size	_ZN7rocprim17ROCPRIM_400000_NS6detail17trampoline_kernelINS0_14default_configENS1_38merge_sort_block_merge_config_selectorIlNS0_10empty_typeEEEZZNS1_27merge_sort_block_merge_implIS3_PlPS5_jNS1_19radix_merge_compareILb1ELb0ElNS0_19identity_decomposerEEEEE10hipError_tT0_T1_T2_jT3_P12ihipStream_tbPNSt15iterator_traitsISE_E10value_typeEPNSK_ISF_E10value_typeEPSG_NS1_7vsmem_tEENKUlT_SE_SF_SG_E_clIS8_S8_S9_S9_EESD_ST_SE_SF_SG_EUlST_E0_NS1_11comp_targetILNS1_3genE0ELNS1_11target_archE4294967295ELNS1_3gpuE0ELNS1_3repE0EEENS1_38merge_mergepath_config_static_selectorELNS0_4arch9wavefront6targetE0EEEvSF_, .Lfunc_end1022-_ZN7rocprim17ROCPRIM_400000_NS6detail17trampoline_kernelINS0_14default_configENS1_38merge_sort_block_merge_config_selectorIlNS0_10empty_typeEEEZZNS1_27merge_sort_block_merge_implIS3_PlPS5_jNS1_19radix_merge_compareILb1ELb0ElNS0_19identity_decomposerEEEEE10hipError_tT0_T1_T2_jT3_P12ihipStream_tbPNSt15iterator_traitsISE_E10value_typeEPNSK_ISF_E10value_typeEPSG_NS1_7vsmem_tEENKUlT_SE_SF_SG_E_clIS8_S8_S9_S9_EESD_ST_SE_SF_SG_EUlST_E0_NS1_11comp_targetILNS1_3genE0ELNS1_11target_archE4294967295ELNS1_3gpuE0ELNS1_3repE0EEENS1_38merge_mergepath_config_static_selectorELNS0_4arch9wavefront6targetE0EEEvSF_
                                        ; -- End function
	.set _ZN7rocprim17ROCPRIM_400000_NS6detail17trampoline_kernelINS0_14default_configENS1_38merge_sort_block_merge_config_selectorIlNS0_10empty_typeEEEZZNS1_27merge_sort_block_merge_implIS3_PlPS5_jNS1_19radix_merge_compareILb1ELb0ElNS0_19identity_decomposerEEEEE10hipError_tT0_T1_T2_jT3_P12ihipStream_tbPNSt15iterator_traitsISE_E10value_typeEPNSK_ISF_E10value_typeEPSG_NS1_7vsmem_tEENKUlT_SE_SF_SG_E_clIS8_S8_S9_S9_EESD_ST_SE_SF_SG_EUlST_E0_NS1_11comp_targetILNS1_3genE0ELNS1_11target_archE4294967295ELNS1_3gpuE0ELNS1_3repE0EEENS1_38merge_mergepath_config_static_selectorELNS0_4arch9wavefront6targetE0EEEvSF_.num_vgpr, 38
	.set _ZN7rocprim17ROCPRIM_400000_NS6detail17trampoline_kernelINS0_14default_configENS1_38merge_sort_block_merge_config_selectorIlNS0_10empty_typeEEEZZNS1_27merge_sort_block_merge_implIS3_PlPS5_jNS1_19radix_merge_compareILb1ELb0ElNS0_19identity_decomposerEEEEE10hipError_tT0_T1_T2_jT3_P12ihipStream_tbPNSt15iterator_traitsISE_E10value_typeEPNSK_ISF_E10value_typeEPSG_NS1_7vsmem_tEENKUlT_SE_SF_SG_E_clIS8_S8_S9_S9_EESD_ST_SE_SF_SG_EUlST_E0_NS1_11comp_targetILNS1_3genE0ELNS1_11target_archE4294967295ELNS1_3gpuE0ELNS1_3repE0EEENS1_38merge_mergepath_config_static_selectorELNS0_4arch9wavefront6targetE0EEEvSF_.num_agpr, 0
	.set _ZN7rocprim17ROCPRIM_400000_NS6detail17trampoline_kernelINS0_14default_configENS1_38merge_sort_block_merge_config_selectorIlNS0_10empty_typeEEEZZNS1_27merge_sort_block_merge_implIS3_PlPS5_jNS1_19radix_merge_compareILb1ELb0ElNS0_19identity_decomposerEEEEE10hipError_tT0_T1_T2_jT3_P12ihipStream_tbPNSt15iterator_traitsISE_E10value_typeEPNSK_ISF_E10value_typeEPSG_NS1_7vsmem_tEENKUlT_SE_SF_SG_E_clIS8_S8_S9_S9_EESD_ST_SE_SF_SG_EUlST_E0_NS1_11comp_targetILNS1_3genE0ELNS1_11target_archE4294967295ELNS1_3gpuE0ELNS1_3repE0EEENS1_38merge_mergepath_config_static_selectorELNS0_4arch9wavefront6targetE0EEEvSF_.numbered_sgpr, 23
	.set _ZN7rocprim17ROCPRIM_400000_NS6detail17trampoline_kernelINS0_14default_configENS1_38merge_sort_block_merge_config_selectorIlNS0_10empty_typeEEEZZNS1_27merge_sort_block_merge_implIS3_PlPS5_jNS1_19radix_merge_compareILb1ELb0ElNS0_19identity_decomposerEEEEE10hipError_tT0_T1_T2_jT3_P12ihipStream_tbPNSt15iterator_traitsISE_E10value_typeEPNSK_ISF_E10value_typeEPSG_NS1_7vsmem_tEENKUlT_SE_SF_SG_E_clIS8_S8_S9_S9_EESD_ST_SE_SF_SG_EUlST_E0_NS1_11comp_targetILNS1_3genE0ELNS1_11target_archE4294967295ELNS1_3gpuE0ELNS1_3repE0EEENS1_38merge_mergepath_config_static_selectorELNS0_4arch9wavefront6targetE0EEEvSF_.num_named_barrier, 0
	.set _ZN7rocprim17ROCPRIM_400000_NS6detail17trampoline_kernelINS0_14default_configENS1_38merge_sort_block_merge_config_selectorIlNS0_10empty_typeEEEZZNS1_27merge_sort_block_merge_implIS3_PlPS5_jNS1_19radix_merge_compareILb1ELb0ElNS0_19identity_decomposerEEEEE10hipError_tT0_T1_T2_jT3_P12ihipStream_tbPNSt15iterator_traitsISE_E10value_typeEPNSK_ISF_E10value_typeEPSG_NS1_7vsmem_tEENKUlT_SE_SF_SG_E_clIS8_S8_S9_S9_EESD_ST_SE_SF_SG_EUlST_E0_NS1_11comp_targetILNS1_3genE0ELNS1_11target_archE4294967295ELNS1_3gpuE0ELNS1_3repE0EEENS1_38merge_mergepath_config_static_selectorELNS0_4arch9wavefront6targetE0EEEvSF_.private_seg_size, 0
	.set _ZN7rocprim17ROCPRIM_400000_NS6detail17trampoline_kernelINS0_14default_configENS1_38merge_sort_block_merge_config_selectorIlNS0_10empty_typeEEEZZNS1_27merge_sort_block_merge_implIS3_PlPS5_jNS1_19radix_merge_compareILb1ELb0ElNS0_19identity_decomposerEEEEE10hipError_tT0_T1_T2_jT3_P12ihipStream_tbPNSt15iterator_traitsISE_E10value_typeEPNSK_ISF_E10value_typeEPSG_NS1_7vsmem_tEENKUlT_SE_SF_SG_E_clIS8_S8_S9_S9_EESD_ST_SE_SF_SG_EUlST_E0_NS1_11comp_targetILNS1_3genE0ELNS1_11target_archE4294967295ELNS1_3gpuE0ELNS1_3repE0EEENS1_38merge_mergepath_config_static_selectorELNS0_4arch9wavefront6targetE0EEEvSF_.uses_vcc, 1
	.set _ZN7rocprim17ROCPRIM_400000_NS6detail17trampoline_kernelINS0_14default_configENS1_38merge_sort_block_merge_config_selectorIlNS0_10empty_typeEEEZZNS1_27merge_sort_block_merge_implIS3_PlPS5_jNS1_19radix_merge_compareILb1ELb0ElNS0_19identity_decomposerEEEEE10hipError_tT0_T1_T2_jT3_P12ihipStream_tbPNSt15iterator_traitsISE_E10value_typeEPNSK_ISF_E10value_typeEPSG_NS1_7vsmem_tEENKUlT_SE_SF_SG_E_clIS8_S8_S9_S9_EESD_ST_SE_SF_SG_EUlST_E0_NS1_11comp_targetILNS1_3genE0ELNS1_11target_archE4294967295ELNS1_3gpuE0ELNS1_3repE0EEENS1_38merge_mergepath_config_static_selectorELNS0_4arch9wavefront6targetE0EEEvSF_.uses_flat_scratch, 0
	.set _ZN7rocprim17ROCPRIM_400000_NS6detail17trampoline_kernelINS0_14default_configENS1_38merge_sort_block_merge_config_selectorIlNS0_10empty_typeEEEZZNS1_27merge_sort_block_merge_implIS3_PlPS5_jNS1_19radix_merge_compareILb1ELb0ElNS0_19identity_decomposerEEEEE10hipError_tT0_T1_T2_jT3_P12ihipStream_tbPNSt15iterator_traitsISE_E10value_typeEPNSK_ISF_E10value_typeEPSG_NS1_7vsmem_tEENKUlT_SE_SF_SG_E_clIS8_S8_S9_S9_EESD_ST_SE_SF_SG_EUlST_E0_NS1_11comp_targetILNS1_3genE0ELNS1_11target_archE4294967295ELNS1_3gpuE0ELNS1_3repE0EEENS1_38merge_mergepath_config_static_selectorELNS0_4arch9wavefront6targetE0EEEvSF_.has_dyn_sized_stack, 0
	.set _ZN7rocprim17ROCPRIM_400000_NS6detail17trampoline_kernelINS0_14default_configENS1_38merge_sort_block_merge_config_selectorIlNS0_10empty_typeEEEZZNS1_27merge_sort_block_merge_implIS3_PlPS5_jNS1_19radix_merge_compareILb1ELb0ElNS0_19identity_decomposerEEEEE10hipError_tT0_T1_T2_jT3_P12ihipStream_tbPNSt15iterator_traitsISE_E10value_typeEPNSK_ISF_E10value_typeEPSG_NS1_7vsmem_tEENKUlT_SE_SF_SG_E_clIS8_S8_S9_S9_EESD_ST_SE_SF_SG_EUlST_E0_NS1_11comp_targetILNS1_3genE0ELNS1_11target_archE4294967295ELNS1_3gpuE0ELNS1_3repE0EEENS1_38merge_mergepath_config_static_selectorELNS0_4arch9wavefront6targetE0EEEvSF_.has_recursion, 0
	.set _ZN7rocprim17ROCPRIM_400000_NS6detail17trampoline_kernelINS0_14default_configENS1_38merge_sort_block_merge_config_selectorIlNS0_10empty_typeEEEZZNS1_27merge_sort_block_merge_implIS3_PlPS5_jNS1_19radix_merge_compareILb1ELb0ElNS0_19identity_decomposerEEEEE10hipError_tT0_T1_T2_jT3_P12ihipStream_tbPNSt15iterator_traitsISE_E10value_typeEPNSK_ISF_E10value_typeEPSG_NS1_7vsmem_tEENKUlT_SE_SF_SG_E_clIS8_S8_S9_S9_EESD_ST_SE_SF_SG_EUlST_E0_NS1_11comp_targetILNS1_3genE0ELNS1_11target_archE4294967295ELNS1_3gpuE0ELNS1_3repE0EEENS1_38merge_mergepath_config_static_selectorELNS0_4arch9wavefront6targetE0EEEvSF_.has_indirect_call, 0
	.section	.AMDGPU.csdata,"",@progbits
; Kernel info:
; codeLenInByte = 4368
; TotalNumSgprs: 25
; NumVgprs: 38
; ScratchSize: 0
; MemoryBound: 0
; FloatMode: 240
; IeeeMode: 1
; LDSByteSize: 8448 bytes/workgroup (compile time only)
; SGPRBlocks: 0
; VGPRBlocks: 2
; NumSGPRsForWavesPerEU: 25
; NumVGPRsForWavesPerEU: 38
; NamedBarCnt: 0
; Occupancy: 16
; WaveLimiterHint : 1
; COMPUTE_PGM_RSRC2:SCRATCH_EN: 0
; COMPUTE_PGM_RSRC2:USER_SGPR: 2
; COMPUTE_PGM_RSRC2:TRAP_HANDLER: 0
; COMPUTE_PGM_RSRC2:TGID_X_EN: 1
; COMPUTE_PGM_RSRC2:TGID_Y_EN: 1
; COMPUTE_PGM_RSRC2:TGID_Z_EN: 1
; COMPUTE_PGM_RSRC2:TIDIG_COMP_CNT: 0
	.section	.text._ZN7rocprim17ROCPRIM_400000_NS6detail17trampoline_kernelINS0_14default_configENS1_38merge_sort_block_merge_config_selectorIlNS0_10empty_typeEEEZZNS1_27merge_sort_block_merge_implIS3_PlPS5_jNS1_19radix_merge_compareILb1ELb0ElNS0_19identity_decomposerEEEEE10hipError_tT0_T1_T2_jT3_P12ihipStream_tbPNSt15iterator_traitsISE_E10value_typeEPNSK_ISF_E10value_typeEPSG_NS1_7vsmem_tEENKUlT_SE_SF_SG_E_clIS8_S8_S9_S9_EESD_ST_SE_SF_SG_EUlST_E0_NS1_11comp_targetILNS1_3genE10ELNS1_11target_archE1201ELNS1_3gpuE5ELNS1_3repE0EEENS1_38merge_mergepath_config_static_selectorELNS0_4arch9wavefront6targetE0EEEvSF_,"axG",@progbits,_ZN7rocprim17ROCPRIM_400000_NS6detail17trampoline_kernelINS0_14default_configENS1_38merge_sort_block_merge_config_selectorIlNS0_10empty_typeEEEZZNS1_27merge_sort_block_merge_implIS3_PlPS5_jNS1_19radix_merge_compareILb1ELb0ElNS0_19identity_decomposerEEEEE10hipError_tT0_T1_T2_jT3_P12ihipStream_tbPNSt15iterator_traitsISE_E10value_typeEPNSK_ISF_E10value_typeEPSG_NS1_7vsmem_tEENKUlT_SE_SF_SG_E_clIS8_S8_S9_S9_EESD_ST_SE_SF_SG_EUlST_E0_NS1_11comp_targetILNS1_3genE10ELNS1_11target_archE1201ELNS1_3gpuE5ELNS1_3repE0EEENS1_38merge_mergepath_config_static_selectorELNS0_4arch9wavefront6targetE0EEEvSF_,comdat
	.protected	_ZN7rocprim17ROCPRIM_400000_NS6detail17trampoline_kernelINS0_14default_configENS1_38merge_sort_block_merge_config_selectorIlNS0_10empty_typeEEEZZNS1_27merge_sort_block_merge_implIS3_PlPS5_jNS1_19radix_merge_compareILb1ELb0ElNS0_19identity_decomposerEEEEE10hipError_tT0_T1_T2_jT3_P12ihipStream_tbPNSt15iterator_traitsISE_E10value_typeEPNSK_ISF_E10value_typeEPSG_NS1_7vsmem_tEENKUlT_SE_SF_SG_E_clIS8_S8_S9_S9_EESD_ST_SE_SF_SG_EUlST_E0_NS1_11comp_targetILNS1_3genE10ELNS1_11target_archE1201ELNS1_3gpuE5ELNS1_3repE0EEENS1_38merge_mergepath_config_static_selectorELNS0_4arch9wavefront6targetE0EEEvSF_ ; -- Begin function _ZN7rocprim17ROCPRIM_400000_NS6detail17trampoline_kernelINS0_14default_configENS1_38merge_sort_block_merge_config_selectorIlNS0_10empty_typeEEEZZNS1_27merge_sort_block_merge_implIS3_PlPS5_jNS1_19radix_merge_compareILb1ELb0ElNS0_19identity_decomposerEEEEE10hipError_tT0_T1_T2_jT3_P12ihipStream_tbPNSt15iterator_traitsISE_E10value_typeEPNSK_ISF_E10value_typeEPSG_NS1_7vsmem_tEENKUlT_SE_SF_SG_E_clIS8_S8_S9_S9_EESD_ST_SE_SF_SG_EUlST_E0_NS1_11comp_targetILNS1_3genE10ELNS1_11target_archE1201ELNS1_3gpuE5ELNS1_3repE0EEENS1_38merge_mergepath_config_static_selectorELNS0_4arch9wavefront6targetE0EEEvSF_
	.globl	_ZN7rocprim17ROCPRIM_400000_NS6detail17trampoline_kernelINS0_14default_configENS1_38merge_sort_block_merge_config_selectorIlNS0_10empty_typeEEEZZNS1_27merge_sort_block_merge_implIS3_PlPS5_jNS1_19radix_merge_compareILb1ELb0ElNS0_19identity_decomposerEEEEE10hipError_tT0_T1_T2_jT3_P12ihipStream_tbPNSt15iterator_traitsISE_E10value_typeEPNSK_ISF_E10value_typeEPSG_NS1_7vsmem_tEENKUlT_SE_SF_SG_E_clIS8_S8_S9_S9_EESD_ST_SE_SF_SG_EUlST_E0_NS1_11comp_targetILNS1_3genE10ELNS1_11target_archE1201ELNS1_3gpuE5ELNS1_3repE0EEENS1_38merge_mergepath_config_static_selectorELNS0_4arch9wavefront6targetE0EEEvSF_
	.p2align	8
	.type	_ZN7rocprim17ROCPRIM_400000_NS6detail17trampoline_kernelINS0_14default_configENS1_38merge_sort_block_merge_config_selectorIlNS0_10empty_typeEEEZZNS1_27merge_sort_block_merge_implIS3_PlPS5_jNS1_19radix_merge_compareILb1ELb0ElNS0_19identity_decomposerEEEEE10hipError_tT0_T1_T2_jT3_P12ihipStream_tbPNSt15iterator_traitsISE_E10value_typeEPNSK_ISF_E10value_typeEPSG_NS1_7vsmem_tEENKUlT_SE_SF_SG_E_clIS8_S8_S9_S9_EESD_ST_SE_SF_SG_EUlST_E0_NS1_11comp_targetILNS1_3genE10ELNS1_11target_archE1201ELNS1_3gpuE5ELNS1_3repE0EEENS1_38merge_mergepath_config_static_selectorELNS0_4arch9wavefront6targetE0EEEvSF_,@function
_ZN7rocprim17ROCPRIM_400000_NS6detail17trampoline_kernelINS0_14default_configENS1_38merge_sort_block_merge_config_selectorIlNS0_10empty_typeEEEZZNS1_27merge_sort_block_merge_implIS3_PlPS5_jNS1_19radix_merge_compareILb1ELb0ElNS0_19identity_decomposerEEEEE10hipError_tT0_T1_T2_jT3_P12ihipStream_tbPNSt15iterator_traitsISE_E10value_typeEPNSK_ISF_E10value_typeEPSG_NS1_7vsmem_tEENKUlT_SE_SF_SG_E_clIS8_S8_S9_S9_EESD_ST_SE_SF_SG_EUlST_E0_NS1_11comp_targetILNS1_3genE10ELNS1_11target_archE1201ELNS1_3gpuE5ELNS1_3repE0EEENS1_38merge_mergepath_config_static_selectorELNS0_4arch9wavefront6targetE0EEEvSF_: ; @_ZN7rocprim17ROCPRIM_400000_NS6detail17trampoline_kernelINS0_14default_configENS1_38merge_sort_block_merge_config_selectorIlNS0_10empty_typeEEEZZNS1_27merge_sort_block_merge_implIS3_PlPS5_jNS1_19radix_merge_compareILb1ELb0ElNS0_19identity_decomposerEEEEE10hipError_tT0_T1_T2_jT3_P12ihipStream_tbPNSt15iterator_traitsISE_E10value_typeEPNSK_ISF_E10value_typeEPSG_NS1_7vsmem_tEENKUlT_SE_SF_SG_E_clIS8_S8_S9_S9_EESD_ST_SE_SF_SG_EUlST_E0_NS1_11comp_targetILNS1_3genE10ELNS1_11target_archE1201ELNS1_3gpuE5ELNS1_3repE0EEENS1_38merge_mergepath_config_static_selectorELNS0_4arch9wavefront6targetE0EEEvSF_
; %bb.0:
	.section	.rodata,"a",@progbits
	.p2align	6, 0x0
	.amdhsa_kernel _ZN7rocprim17ROCPRIM_400000_NS6detail17trampoline_kernelINS0_14default_configENS1_38merge_sort_block_merge_config_selectorIlNS0_10empty_typeEEEZZNS1_27merge_sort_block_merge_implIS3_PlPS5_jNS1_19radix_merge_compareILb1ELb0ElNS0_19identity_decomposerEEEEE10hipError_tT0_T1_T2_jT3_P12ihipStream_tbPNSt15iterator_traitsISE_E10value_typeEPNSK_ISF_E10value_typeEPSG_NS1_7vsmem_tEENKUlT_SE_SF_SG_E_clIS8_S8_S9_S9_EESD_ST_SE_SF_SG_EUlST_E0_NS1_11comp_targetILNS1_3genE10ELNS1_11target_archE1201ELNS1_3gpuE5ELNS1_3repE0EEENS1_38merge_mergepath_config_static_selectorELNS0_4arch9wavefront6targetE0EEEvSF_
		.amdhsa_group_segment_fixed_size 0
		.amdhsa_private_segment_fixed_size 0
		.amdhsa_kernarg_size 64
		.amdhsa_user_sgpr_count 2
		.amdhsa_user_sgpr_dispatch_ptr 0
		.amdhsa_user_sgpr_queue_ptr 0
		.amdhsa_user_sgpr_kernarg_segment_ptr 1
		.amdhsa_user_sgpr_dispatch_id 0
		.amdhsa_user_sgpr_kernarg_preload_length 0
		.amdhsa_user_sgpr_kernarg_preload_offset 0
		.amdhsa_user_sgpr_private_segment_size 0
		.amdhsa_wavefront_size32 1
		.amdhsa_uses_dynamic_stack 0
		.amdhsa_enable_private_segment 0
		.amdhsa_system_sgpr_workgroup_id_x 1
		.amdhsa_system_sgpr_workgroup_id_y 0
		.amdhsa_system_sgpr_workgroup_id_z 0
		.amdhsa_system_sgpr_workgroup_info 0
		.amdhsa_system_vgpr_workitem_id 0
		.amdhsa_next_free_vgpr 1
		.amdhsa_next_free_sgpr 1
		.amdhsa_named_barrier_count 0
		.amdhsa_reserve_vcc 0
		.amdhsa_float_round_mode_32 0
		.amdhsa_float_round_mode_16_64 0
		.amdhsa_float_denorm_mode_32 3
		.amdhsa_float_denorm_mode_16_64 3
		.amdhsa_fp16_overflow 0
		.amdhsa_memory_ordered 1
		.amdhsa_forward_progress 1
		.amdhsa_inst_pref_size 0
		.amdhsa_round_robin_scheduling 0
		.amdhsa_exception_fp_ieee_invalid_op 0
		.amdhsa_exception_fp_denorm_src 0
		.amdhsa_exception_fp_ieee_div_zero 0
		.amdhsa_exception_fp_ieee_overflow 0
		.amdhsa_exception_fp_ieee_underflow 0
		.amdhsa_exception_fp_ieee_inexact 0
		.amdhsa_exception_int_div_zero 0
	.end_amdhsa_kernel
	.section	.text._ZN7rocprim17ROCPRIM_400000_NS6detail17trampoline_kernelINS0_14default_configENS1_38merge_sort_block_merge_config_selectorIlNS0_10empty_typeEEEZZNS1_27merge_sort_block_merge_implIS3_PlPS5_jNS1_19radix_merge_compareILb1ELb0ElNS0_19identity_decomposerEEEEE10hipError_tT0_T1_T2_jT3_P12ihipStream_tbPNSt15iterator_traitsISE_E10value_typeEPNSK_ISF_E10value_typeEPSG_NS1_7vsmem_tEENKUlT_SE_SF_SG_E_clIS8_S8_S9_S9_EESD_ST_SE_SF_SG_EUlST_E0_NS1_11comp_targetILNS1_3genE10ELNS1_11target_archE1201ELNS1_3gpuE5ELNS1_3repE0EEENS1_38merge_mergepath_config_static_selectorELNS0_4arch9wavefront6targetE0EEEvSF_,"axG",@progbits,_ZN7rocprim17ROCPRIM_400000_NS6detail17trampoline_kernelINS0_14default_configENS1_38merge_sort_block_merge_config_selectorIlNS0_10empty_typeEEEZZNS1_27merge_sort_block_merge_implIS3_PlPS5_jNS1_19radix_merge_compareILb1ELb0ElNS0_19identity_decomposerEEEEE10hipError_tT0_T1_T2_jT3_P12ihipStream_tbPNSt15iterator_traitsISE_E10value_typeEPNSK_ISF_E10value_typeEPSG_NS1_7vsmem_tEENKUlT_SE_SF_SG_E_clIS8_S8_S9_S9_EESD_ST_SE_SF_SG_EUlST_E0_NS1_11comp_targetILNS1_3genE10ELNS1_11target_archE1201ELNS1_3gpuE5ELNS1_3repE0EEENS1_38merge_mergepath_config_static_selectorELNS0_4arch9wavefront6targetE0EEEvSF_,comdat
.Lfunc_end1023:
	.size	_ZN7rocprim17ROCPRIM_400000_NS6detail17trampoline_kernelINS0_14default_configENS1_38merge_sort_block_merge_config_selectorIlNS0_10empty_typeEEEZZNS1_27merge_sort_block_merge_implIS3_PlPS5_jNS1_19radix_merge_compareILb1ELb0ElNS0_19identity_decomposerEEEEE10hipError_tT0_T1_T2_jT3_P12ihipStream_tbPNSt15iterator_traitsISE_E10value_typeEPNSK_ISF_E10value_typeEPSG_NS1_7vsmem_tEENKUlT_SE_SF_SG_E_clIS8_S8_S9_S9_EESD_ST_SE_SF_SG_EUlST_E0_NS1_11comp_targetILNS1_3genE10ELNS1_11target_archE1201ELNS1_3gpuE5ELNS1_3repE0EEENS1_38merge_mergepath_config_static_selectorELNS0_4arch9wavefront6targetE0EEEvSF_, .Lfunc_end1023-_ZN7rocprim17ROCPRIM_400000_NS6detail17trampoline_kernelINS0_14default_configENS1_38merge_sort_block_merge_config_selectorIlNS0_10empty_typeEEEZZNS1_27merge_sort_block_merge_implIS3_PlPS5_jNS1_19radix_merge_compareILb1ELb0ElNS0_19identity_decomposerEEEEE10hipError_tT0_T1_T2_jT3_P12ihipStream_tbPNSt15iterator_traitsISE_E10value_typeEPNSK_ISF_E10value_typeEPSG_NS1_7vsmem_tEENKUlT_SE_SF_SG_E_clIS8_S8_S9_S9_EESD_ST_SE_SF_SG_EUlST_E0_NS1_11comp_targetILNS1_3genE10ELNS1_11target_archE1201ELNS1_3gpuE5ELNS1_3repE0EEENS1_38merge_mergepath_config_static_selectorELNS0_4arch9wavefront6targetE0EEEvSF_
                                        ; -- End function
	.set _ZN7rocprim17ROCPRIM_400000_NS6detail17trampoline_kernelINS0_14default_configENS1_38merge_sort_block_merge_config_selectorIlNS0_10empty_typeEEEZZNS1_27merge_sort_block_merge_implIS3_PlPS5_jNS1_19radix_merge_compareILb1ELb0ElNS0_19identity_decomposerEEEEE10hipError_tT0_T1_T2_jT3_P12ihipStream_tbPNSt15iterator_traitsISE_E10value_typeEPNSK_ISF_E10value_typeEPSG_NS1_7vsmem_tEENKUlT_SE_SF_SG_E_clIS8_S8_S9_S9_EESD_ST_SE_SF_SG_EUlST_E0_NS1_11comp_targetILNS1_3genE10ELNS1_11target_archE1201ELNS1_3gpuE5ELNS1_3repE0EEENS1_38merge_mergepath_config_static_selectorELNS0_4arch9wavefront6targetE0EEEvSF_.num_vgpr, 0
	.set _ZN7rocprim17ROCPRIM_400000_NS6detail17trampoline_kernelINS0_14default_configENS1_38merge_sort_block_merge_config_selectorIlNS0_10empty_typeEEEZZNS1_27merge_sort_block_merge_implIS3_PlPS5_jNS1_19radix_merge_compareILb1ELb0ElNS0_19identity_decomposerEEEEE10hipError_tT0_T1_T2_jT3_P12ihipStream_tbPNSt15iterator_traitsISE_E10value_typeEPNSK_ISF_E10value_typeEPSG_NS1_7vsmem_tEENKUlT_SE_SF_SG_E_clIS8_S8_S9_S9_EESD_ST_SE_SF_SG_EUlST_E0_NS1_11comp_targetILNS1_3genE10ELNS1_11target_archE1201ELNS1_3gpuE5ELNS1_3repE0EEENS1_38merge_mergepath_config_static_selectorELNS0_4arch9wavefront6targetE0EEEvSF_.num_agpr, 0
	.set _ZN7rocprim17ROCPRIM_400000_NS6detail17trampoline_kernelINS0_14default_configENS1_38merge_sort_block_merge_config_selectorIlNS0_10empty_typeEEEZZNS1_27merge_sort_block_merge_implIS3_PlPS5_jNS1_19radix_merge_compareILb1ELb0ElNS0_19identity_decomposerEEEEE10hipError_tT0_T1_T2_jT3_P12ihipStream_tbPNSt15iterator_traitsISE_E10value_typeEPNSK_ISF_E10value_typeEPSG_NS1_7vsmem_tEENKUlT_SE_SF_SG_E_clIS8_S8_S9_S9_EESD_ST_SE_SF_SG_EUlST_E0_NS1_11comp_targetILNS1_3genE10ELNS1_11target_archE1201ELNS1_3gpuE5ELNS1_3repE0EEENS1_38merge_mergepath_config_static_selectorELNS0_4arch9wavefront6targetE0EEEvSF_.numbered_sgpr, 0
	.set _ZN7rocprim17ROCPRIM_400000_NS6detail17trampoline_kernelINS0_14default_configENS1_38merge_sort_block_merge_config_selectorIlNS0_10empty_typeEEEZZNS1_27merge_sort_block_merge_implIS3_PlPS5_jNS1_19radix_merge_compareILb1ELb0ElNS0_19identity_decomposerEEEEE10hipError_tT0_T1_T2_jT3_P12ihipStream_tbPNSt15iterator_traitsISE_E10value_typeEPNSK_ISF_E10value_typeEPSG_NS1_7vsmem_tEENKUlT_SE_SF_SG_E_clIS8_S8_S9_S9_EESD_ST_SE_SF_SG_EUlST_E0_NS1_11comp_targetILNS1_3genE10ELNS1_11target_archE1201ELNS1_3gpuE5ELNS1_3repE0EEENS1_38merge_mergepath_config_static_selectorELNS0_4arch9wavefront6targetE0EEEvSF_.num_named_barrier, 0
	.set _ZN7rocprim17ROCPRIM_400000_NS6detail17trampoline_kernelINS0_14default_configENS1_38merge_sort_block_merge_config_selectorIlNS0_10empty_typeEEEZZNS1_27merge_sort_block_merge_implIS3_PlPS5_jNS1_19radix_merge_compareILb1ELb0ElNS0_19identity_decomposerEEEEE10hipError_tT0_T1_T2_jT3_P12ihipStream_tbPNSt15iterator_traitsISE_E10value_typeEPNSK_ISF_E10value_typeEPSG_NS1_7vsmem_tEENKUlT_SE_SF_SG_E_clIS8_S8_S9_S9_EESD_ST_SE_SF_SG_EUlST_E0_NS1_11comp_targetILNS1_3genE10ELNS1_11target_archE1201ELNS1_3gpuE5ELNS1_3repE0EEENS1_38merge_mergepath_config_static_selectorELNS0_4arch9wavefront6targetE0EEEvSF_.private_seg_size, 0
	.set _ZN7rocprim17ROCPRIM_400000_NS6detail17trampoline_kernelINS0_14default_configENS1_38merge_sort_block_merge_config_selectorIlNS0_10empty_typeEEEZZNS1_27merge_sort_block_merge_implIS3_PlPS5_jNS1_19radix_merge_compareILb1ELb0ElNS0_19identity_decomposerEEEEE10hipError_tT0_T1_T2_jT3_P12ihipStream_tbPNSt15iterator_traitsISE_E10value_typeEPNSK_ISF_E10value_typeEPSG_NS1_7vsmem_tEENKUlT_SE_SF_SG_E_clIS8_S8_S9_S9_EESD_ST_SE_SF_SG_EUlST_E0_NS1_11comp_targetILNS1_3genE10ELNS1_11target_archE1201ELNS1_3gpuE5ELNS1_3repE0EEENS1_38merge_mergepath_config_static_selectorELNS0_4arch9wavefront6targetE0EEEvSF_.uses_vcc, 0
	.set _ZN7rocprim17ROCPRIM_400000_NS6detail17trampoline_kernelINS0_14default_configENS1_38merge_sort_block_merge_config_selectorIlNS0_10empty_typeEEEZZNS1_27merge_sort_block_merge_implIS3_PlPS5_jNS1_19radix_merge_compareILb1ELb0ElNS0_19identity_decomposerEEEEE10hipError_tT0_T1_T2_jT3_P12ihipStream_tbPNSt15iterator_traitsISE_E10value_typeEPNSK_ISF_E10value_typeEPSG_NS1_7vsmem_tEENKUlT_SE_SF_SG_E_clIS8_S8_S9_S9_EESD_ST_SE_SF_SG_EUlST_E0_NS1_11comp_targetILNS1_3genE10ELNS1_11target_archE1201ELNS1_3gpuE5ELNS1_3repE0EEENS1_38merge_mergepath_config_static_selectorELNS0_4arch9wavefront6targetE0EEEvSF_.uses_flat_scratch, 0
	.set _ZN7rocprim17ROCPRIM_400000_NS6detail17trampoline_kernelINS0_14default_configENS1_38merge_sort_block_merge_config_selectorIlNS0_10empty_typeEEEZZNS1_27merge_sort_block_merge_implIS3_PlPS5_jNS1_19radix_merge_compareILb1ELb0ElNS0_19identity_decomposerEEEEE10hipError_tT0_T1_T2_jT3_P12ihipStream_tbPNSt15iterator_traitsISE_E10value_typeEPNSK_ISF_E10value_typeEPSG_NS1_7vsmem_tEENKUlT_SE_SF_SG_E_clIS8_S8_S9_S9_EESD_ST_SE_SF_SG_EUlST_E0_NS1_11comp_targetILNS1_3genE10ELNS1_11target_archE1201ELNS1_3gpuE5ELNS1_3repE0EEENS1_38merge_mergepath_config_static_selectorELNS0_4arch9wavefront6targetE0EEEvSF_.has_dyn_sized_stack, 0
	.set _ZN7rocprim17ROCPRIM_400000_NS6detail17trampoline_kernelINS0_14default_configENS1_38merge_sort_block_merge_config_selectorIlNS0_10empty_typeEEEZZNS1_27merge_sort_block_merge_implIS3_PlPS5_jNS1_19radix_merge_compareILb1ELb0ElNS0_19identity_decomposerEEEEE10hipError_tT0_T1_T2_jT3_P12ihipStream_tbPNSt15iterator_traitsISE_E10value_typeEPNSK_ISF_E10value_typeEPSG_NS1_7vsmem_tEENKUlT_SE_SF_SG_E_clIS8_S8_S9_S9_EESD_ST_SE_SF_SG_EUlST_E0_NS1_11comp_targetILNS1_3genE10ELNS1_11target_archE1201ELNS1_3gpuE5ELNS1_3repE0EEENS1_38merge_mergepath_config_static_selectorELNS0_4arch9wavefront6targetE0EEEvSF_.has_recursion, 0
	.set _ZN7rocprim17ROCPRIM_400000_NS6detail17trampoline_kernelINS0_14default_configENS1_38merge_sort_block_merge_config_selectorIlNS0_10empty_typeEEEZZNS1_27merge_sort_block_merge_implIS3_PlPS5_jNS1_19radix_merge_compareILb1ELb0ElNS0_19identity_decomposerEEEEE10hipError_tT0_T1_T2_jT3_P12ihipStream_tbPNSt15iterator_traitsISE_E10value_typeEPNSK_ISF_E10value_typeEPSG_NS1_7vsmem_tEENKUlT_SE_SF_SG_E_clIS8_S8_S9_S9_EESD_ST_SE_SF_SG_EUlST_E0_NS1_11comp_targetILNS1_3genE10ELNS1_11target_archE1201ELNS1_3gpuE5ELNS1_3repE0EEENS1_38merge_mergepath_config_static_selectorELNS0_4arch9wavefront6targetE0EEEvSF_.has_indirect_call, 0
	.section	.AMDGPU.csdata,"",@progbits
; Kernel info:
; codeLenInByte = 0
; TotalNumSgprs: 0
; NumVgprs: 0
; ScratchSize: 0
; MemoryBound: 0
; FloatMode: 240
; IeeeMode: 1
; LDSByteSize: 0 bytes/workgroup (compile time only)
; SGPRBlocks: 0
; VGPRBlocks: 0
; NumSGPRsForWavesPerEU: 1
; NumVGPRsForWavesPerEU: 1
; NamedBarCnt: 0
; Occupancy: 16
; WaveLimiterHint : 0
; COMPUTE_PGM_RSRC2:SCRATCH_EN: 0
; COMPUTE_PGM_RSRC2:USER_SGPR: 2
; COMPUTE_PGM_RSRC2:TRAP_HANDLER: 0
; COMPUTE_PGM_RSRC2:TGID_X_EN: 1
; COMPUTE_PGM_RSRC2:TGID_Y_EN: 0
; COMPUTE_PGM_RSRC2:TGID_Z_EN: 0
; COMPUTE_PGM_RSRC2:TIDIG_COMP_CNT: 0
	.section	.text._ZN7rocprim17ROCPRIM_400000_NS6detail17trampoline_kernelINS0_14default_configENS1_38merge_sort_block_merge_config_selectorIlNS0_10empty_typeEEEZZNS1_27merge_sort_block_merge_implIS3_PlPS5_jNS1_19radix_merge_compareILb1ELb0ElNS0_19identity_decomposerEEEEE10hipError_tT0_T1_T2_jT3_P12ihipStream_tbPNSt15iterator_traitsISE_E10value_typeEPNSK_ISF_E10value_typeEPSG_NS1_7vsmem_tEENKUlT_SE_SF_SG_E_clIS8_S8_S9_S9_EESD_ST_SE_SF_SG_EUlST_E0_NS1_11comp_targetILNS1_3genE5ELNS1_11target_archE942ELNS1_3gpuE9ELNS1_3repE0EEENS1_38merge_mergepath_config_static_selectorELNS0_4arch9wavefront6targetE0EEEvSF_,"axG",@progbits,_ZN7rocprim17ROCPRIM_400000_NS6detail17trampoline_kernelINS0_14default_configENS1_38merge_sort_block_merge_config_selectorIlNS0_10empty_typeEEEZZNS1_27merge_sort_block_merge_implIS3_PlPS5_jNS1_19radix_merge_compareILb1ELb0ElNS0_19identity_decomposerEEEEE10hipError_tT0_T1_T2_jT3_P12ihipStream_tbPNSt15iterator_traitsISE_E10value_typeEPNSK_ISF_E10value_typeEPSG_NS1_7vsmem_tEENKUlT_SE_SF_SG_E_clIS8_S8_S9_S9_EESD_ST_SE_SF_SG_EUlST_E0_NS1_11comp_targetILNS1_3genE5ELNS1_11target_archE942ELNS1_3gpuE9ELNS1_3repE0EEENS1_38merge_mergepath_config_static_selectorELNS0_4arch9wavefront6targetE0EEEvSF_,comdat
	.protected	_ZN7rocprim17ROCPRIM_400000_NS6detail17trampoline_kernelINS0_14default_configENS1_38merge_sort_block_merge_config_selectorIlNS0_10empty_typeEEEZZNS1_27merge_sort_block_merge_implIS3_PlPS5_jNS1_19radix_merge_compareILb1ELb0ElNS0_19identity_decomposerEEEEE10hipError_tT0_T1_T2_jT3_P12ihipStream_tbPNSt15iterator_traitsISE_E10value_typeEPNSK_ISF_E10value_typeEPSG_NS1_7vsmem_tEENKUlT_SE_SF_SG_E_clIS8_S8_S9_S9_EESD_ST_SE_SF_SG_EUlST_E0_NS1_11comp_targetILNS1_3genE5ELNS1_11target_archE942ELNS1_3gpuE9ELNS1_3repE0EEENS1_38merge_mergepath_config_static_selectorELNS0_4arch9wavefront6targetE0EEEvSF_ ; -- Begin function _ZN7rocprim17ROCPRIM_400000_NS6detail17trampoline_kernelINS0_14default_configENS1_38merge_sort_block_merge_config_selectorIlNS0_10empty_typeEEEZZNS1_27merge_sort_block_merge_implIS3_PlPS5_jNS1_19radix_merge_compareILb1ELb0ElNS0_19identity_decomposerEEEEE10hipError_tT0_T1_T2_jT3_P12ihipStream_tbPNSt15iterator_traitsISE_E10value_typeEPNSK_ISF_E10value_typeEPSG_NS1_7vsmem_tEENKUlT_SE_SF_SG_E_clIS8_S8_S9_S9_EESD_ST_SE_SF_SG_EUlST_E0_NS1_11comp_targetILNS1_3genE5ELNS1_11target_archE942ELNS1_3gpuE9ELNS1_3repE0EEENS1_38merge_mergepath_config_static_selectorELNS0_4arch9wavefront6targetE0EEEvSF_
	.globl	_ZN7rocprim17ROCPRIM_400000_NS6detail17trampoline_kernelINS0_14default_configENS1_38merge_sort_block_merge_config_selectorIlNS0_10empty_typeEEEZZNS1_27merge_sort_block_merge_implIS3_PlPS5_jNS1_19radix_merge_compareILb1ELb0ElNS0_19identity_decomposerEEEEE10hipError_tT0_T1_T2_jT3_P12ihipStream_tbPNSt15iterator_traitsISE_E10value_typeEPNSK_ISF_E10value_typeEPSG_NS1_7vsmem_tEENKUlT_SE_SF_SG_E_clIS8_S8_S9_S9_EESD_ST_SE_SF_SG_EUlST_E0_NS1_11comp_targetILNS1_3genE5ELNS1_11target_archE942ELNS1_3gpuE9ELNS1_3repE0EEENS1_38merge_mergepath_config_static_selectorELNS0_4arch9wavefront6targetE0EEEvSF_
	.p2align	8
	.type	_ZN7rocprim17ROCPRIM_400000_NS6detail17trampoline_kernelINS0_14default_configENS1_38merge_sort_block_merge_config_selectorIlNS0_10empty_typeEEEZZNS1_27merge_sort_block_merge_implIS3_PlPS5_jNS1_19radix_merge_compareILb1ELb0ElNS0_19identity_decomposerEEEEE10hipError_tT0_T1_T2_jT3_P12ihipStream_tbPNSt15iterator_traitsISE_E10value_typeEPNSK_ISF_E10value_typeEPSG_NS1_7vsmem_tEENKUlT_SE_SF_SG_E_clIS8_S8_S9_S9_EESD_ST_SE_SF_SG_EUlST_E0_NS1_11comp_targetILNS1_3genE5ELNS1_11target_archE942ELNS1_3gpuE9ELNS1_3repE0EEENS1_38merge_mergepath_config_static_selectorELNS0_4arch9wavefront6targetE0EEEvSF_,@function
_ZN7rocprim17ROCPRIM_400000_NS6detail17trampoline_kernelINS0_14default_configENS1_38merge_sort_block_merge_config_selectorIlNS0_10empty_typeEEEZZNS1_27merge_sort_block_merge_implIS3_PlPS5_jNS1_19radix_merge_compareILb1ELb0ElNS0_19identity_decomposerEEEEE10hipError_tT0_T1_T2_jT3_P12ihipStream_tbPNSt15iterator_traitsISE_E10value_typeEPNSK_ISF_E10value_typeEPSG_NS1_7vsmem_tEENKUlT_SE_SF_SG_E_clIS8_S8_S9_S9_EESD_ST_SE_SF_SG_EUlST_E0_NS1_11comp_targetILNS1_3genE5ELNS1_11target_archE942ELNS1_3gpuE9ELNS1_3repE0EEENS1_38merge_mergepath_config_static_selectorELNS0_4arch9wavefront6targetE0EEEvSF_: ; @_ZN7rocprim17ROCPRIM_400000_NS6detail17trampoline_kernelINS0_14default_configENS1_38merge_sort_block_merge_config_selectorIlNS0_10empty_typeEEEZZNS1_27merge_sort_block_merge_implIS3_PlPS5_jNS1_19radix_merge_compareILb1ELb0ElNS0_19identity_decomposerEEEEE10hipError_tT0_T1_T2_jT3_P12ihipStream_tbPNSt15iterator_traitsISE_E10value_typeEPNSK_ISF_E10value_typeEPSG_NS1_7vsmem_tEENKUlT_SE_SF_SG_E_clIS8_S8_S9_S9_EESD_ST_SE_SF_SG_EUlST_E0_NS1_11comp_targetILNS1_3genE5ELNS1_11target_archE942ELNS1_3gpuE9ELNS1_3repE0EEENS1_38merge_mergepath_config_static_selectorELNS0_4arch9wavefront6targetE0EEEvSF_
; %bb.0:
	.section	.rodata,"a",@progbits
	.p2align	6, 0x0
	.amdhsa_kernel _ZN7rocprim17ROCPRIM_400000_NS6detail17trampoline_kernelINS0_14default_configENS1_38merge_sort_block_merge_config_selectorIlNS0_10empty_typeEEEZZNS1_27merge_sort_block_merge_implIS3_PlPS5_jNS1_19radix_merge_compareILb1ELb0ElNS0_19identity_decomposerEEEEE10hipError_tT0_T1_T2_jT3_P12ihipStream_tbPNSt15iterator_traitsISE_E10value_typeEPNSK_ISF_E10value_typeEPSG_NS1_7vsmem_tEENKUlT_SE_SF_SG_E_clIS8_S8_S9_S9_EESD_ST_SE_SF_SG_EUlST_E0_NS1_11comp_targetILNS1_3genE5ELNS1_11target_archE942ELNS1_3gpuE9ELNS1_3repE0EEENS1_38merge_mergepath_config_static_selectorELNS0_4arch9wavefront6targetE0EEEvSF_
		.amdhsa_group_segment_fixed_size 0
		.amdhsa_private_segment_fixed_size 0
		.amdhsa_kernarg_size 64
		.amdhsa_user_sgpr_count 2
		.amdhsa_user_sgpr_dispatch_ptr 0
		.amdhsa_user_sgpr_queue_ptr 0
		.amdhsa_user_sgpr_kernarg_segment_ptr 1
		.amdhsa_user_sgpr_dispatch_id 0
		.amdhsa_user_sgpr_kernarg_preload_length 0
		.amdhsa_user_sgpr_kernarg_preload_offset 0
		.amdhsa_user_sgpr_private_segment_size 0
		.amdhsa_wavefront_size32 1
		.amdhsa_uses_dynamic_stack 0
		.amdhsa_enable_private_segment 0
		.amdhsa_system_sgpr_workgroup_id_x 1
		.amdhsa_system_sgpr_workgroup_id_y 0
		.amdhsa_system_sgpr_workgroup_id_z 0
		.amdhsa_system_sgpr_workgroup_info 0
		.amdhsa_system_vgpr_workitem_id 0
		.amdhsa_next_free_vgpr 1
		.amdhsa_next_free_sgpr 1
		.amdhsa_named_barrier_count 0
		.amdhsa_reserve_vcc 0
		.amdhsa_float_round_mode_32 0
		.amdhsa_float_round_mode_16_64 0
		.amdhsa_float_denorm_mode_32 3
		.amdhsa_float_denorm_mode_16_64 3
		.amdhsa_fp16_overflow 0
		.amdhsa_memory_ordered 1
		.amdhsa_forward_progress 1
		.amdhsa_inst_pref_size 0
		.amdhsa_round_robin_scheduling 0
		.amdhsa_exception_fp_ieee_invalid_op 0
		.amdhsa_exception_fp_denorm_src 0
		.amdhsa_exception_fp_ieee_div_zero 0
		.amdhsa_exception_fp_ieee_overflow 0
		.amdhsa_exception_fp_ieee_underflow 0
		.amdhsa_exception_fp_ieee_inexact 0
		.amdhsa_exception_int_div_zero 0
	.end_amdhsa_kernel
	.section	.text._ZN7rocprim17ROCPRIM_400000_NS6detail17trampoline_kernelINS0_14default_configENS1_38merge_sort_block_merge_config_selectorIlNS0_10empty_typeEEEZZNS1_27merge_sort_block_merge_implIS3_PlPS5_jNS1_19radix_merge_compareILb1ELb0ElNS0_19identity_decomposerEEEEE10hipError_tT0_T1_T2_jT3_P12ihipStream_tbPNSt15iterator_traitsISE_E10value_typeEPNSK_ISF_E10value_typeEPSG_NS1_7vsmem_tEENKUlT_SE_SF_SG_E_clIS8_S8_S9_S9_EESD_ST_SE_SF_SG_EUlST_E0_NS1_11comp_targetILNS1_3genE5ELNS1_11target_archE942ELNS1_3gpuE9ELNS1_3repE0EEENS1_38merge_mergepath_config_static_selectorELNS0_4arch9wavefront6targetE0EEEvSF_,"axG",@progbits,_ZN7rocprim17ROCPRIM_400000_NS6detail17trampoline_kernelINS0_14default_configENS1_38merge_sort_block_merge_config_selectorIlNS0_10empty_typeEEEZZNS1_27merge_sort_block_merge_implIS3_PlPS5_jNS1_19radix_merge_compareILb1ELb0ElNS0_19identity_decomposerEEEEE10hipError_tT0_T1_T2_jT3_P12ihipStream_tbPNSt15iterator_traitsISE_E10value_typeEPNSK_ISF_E10value_typeEPSG_NS1_7vsmem_tEENKUlT_SE_SF_SG_E_clIS8_S8_S9_S9_EESD_ST_SE_SF_SG_EUlST_E0_NS1_11comp_targetILNS1_3genE5ELNS1_11target_archE942ELNS1_3gpuE9ELNS1_3repE0EEENS1_38merge_mergepath_config_static_selectorELNS0_4arch9wavefront6targetE0EEEvSF_,comdat
.Lfunc_end1024:
	.size	_ZN7rocprim17ROCPRIM_400000_NS6detail17trampoline_kernelINS0_14default_configENS1_38merge_sort_block_merge_config_selectorIlNS0_10empty_typeEEEZZNS1_27merge_sort_block_merge_implIS3_PlPS5_jNS1_19radix_merge_compareILb1ELb0ElNS0_19identity_decomposerEEEEE10hipError_tT0_T1_T2_jT3_P12ihipStream_tbPNSt15iterator_traitsISE_E10value_typeEPNSK_ISF_E10value_typeEPSG_NS1_7vsmem_tEENKUlT_SE_SF_SG_E_clIS8_S8_S9_S9_EESD_ST_SE_SF_SG_EUlST_E0_NS1_11comp_targetILNS1_3genE5ELNS1_11target_archE942ELNS1_3gpuE9ELNS1_3repE0EEENS1_38merge_mergepath_config_static_selectorELNS0_4arch9wavefront6targetE0EEEvSF_, .Lfunc_end1024-_ZN7rocprim17ROCPRIM_400000_NS6detail17trampoline_kernelINS0_14default_configENS1_38merge_sort_block_merge_config_selectorIlNS0_10empty_typeEEEZZNS1_27merge_sort_block_merge_implIS3_PlPS5_jNS1_19radix_merge_compareILb1ELb0ElNS0_19identity_decomposerEEEEE10hipError_tT0_T1_T2_jT3_P12ihipStream_tbPNSt15iterator_traitsISE_E10value_typeEPNSK_ISF_E10value_typeEPSG_NS1_7vsmem_tEENKUlT_SE_SF_SG_E_clIS8_S8_S9_S9_EESD_ST_SE_SF_SG_EUlST_E0_NS1_11comp_targetILNS1_3genE5ELNS1_11target_archE942ELNS1_3gpuE9ELNS1_3repE0EEENS1_38merge_mergepath_config_static_selectorELNS0_4arch9wavefront6targetE0EEEvSF_
                                        ; -- End function
	.set _ZN7rocprim17ROCPRIM_400000_NS6detail17trampoline_kernelINS0_14default_configENS1_38merge_sort_block_merge_config_selectorIlNS0_10empty_typeEEEZZNS1_27merge_sort_block_merge_implIS3_PlPS5_jNS1_19radix_merge_compareILb1ELb0ElNS0_19identity_decomposerEEEEE10hipError_tT0_T1_T2_jT3_P12ihipStream_tbPNSt15iterator_traitsISE_E10value_typeEPNSK_ISF_E10value_typeEPSG_NS1_7vsmem_tEENKUlT_SE_SF_SG_E_clIS8_S8_S9_S9_EESD_ST_SE_SF_SG_EUlST_E0_NS1_11comp_targetILNS1_3genE5ELNS1_11target_archE942ELNS1_3gpuE9ELNS1_3repE0EEENS1_38merge_mergepath_config_static_selectorELNS0_4arch9wavefront6targetE0EEEvSF_.num_vgpr, 0
	.set _ZN7rocprim17ROCPRIM_400000_NS6detail17trampoline_kernelINS0_14default_configENS1_38merge_sort_block_merge_config_selectorIlNS0_10empty_typeEEEZZNS1_27merge_sort_block_merge_implIS3_PlPS5_jNS1_19radix_merge_compareILb1ELb0ElNS0_19identity_decomposerEEEEE10hipError_tT0_T1_T2_jT3_P12ihipStream_tbPNSt15iterator_traitsISE_E10value_typeEPNSK_ISF_E10value_typeEPSG_NS1_7vsmem_tEENKUlT_SE_SF_SG_E_clIS8_S8_S9_S9_EESD_ST_SE_SF_SG_EUlST_E0_NS1_11comp_targetILNS1_3genE5ELNS1_11target_archE942ELNS1_3gpuE9ELNS1_3repE0EEENS1_38merge_mergepath_config_static_selectorELNS0_4arch9wavefront6targetE0EEEvSF_.num_agpr, 0
	.set _ZN7rocprim17ROCPRIM_400000_NS6detail17trampoline_kernelINS0_14default_configENS1_38merge_sort_block_merge_config_selectorIlNS0_10empty_typeEEEZZNS1_27merge_sort_block_merge_implIS3_PlPS5_jNS1_19radix_merge_compareILb1ELb0ElNS0_19identity_decomposerEEEEE10hipError_tT0_T1_T2_jT3_P12ihipStream_tbPNSt15iterator_traitsISE_E10value_typeEPNSK_ISF_E10value_typeEPSG_NS1_7vsmem_tEENKUlT_SE_SF_SG_E_clIS8_S8_S9_S9_EESD_ST_SE_SF_SG_EUlST_E0_NS1_11comp_targetILNS1_3genE5ELNS1_11target_archE942ELNS1_3gpuE9ELNS1_3repE0EEENS1_38merge_mergepath_config_static_selectorELNS0_4arch9wavefront6targetE0EEEvSF_.numbered_sgpr, 0
	.set _ZN7rocprim17ROCPRIM_400000_NS6detail17trampoline_kernelINS0_14default_configENS1_38merge_sort_block_merge_config_selectorIlNS0_10empty_typeEEEZZNS1_27merge_sort_block_merge_implIS3_PlPS5_jNS1_19radix_merge_compareILb1ELb0ElNS0_19identity_decomposerEEEEE10hipError_tT0_T1_T2_jT3_P12ihipStream_tbPNSt15iterator_traitsISE_E10value_typeEPNSK_ISF_E10value_typeEPSG_NS1_7vsmem_tEENKUlT_SE_SF_SG_E_clIS8_S8_S9_S9_EESD_ST_SE_SF_SG_EUlST_E0_NS1_11comp_targetILNS1_3genE5ELNS1_11target_archE942ELNS1_3gpuE9ELNS1_3repE0EEENS1_38merge_mergepath_config_static_selectorELNS0_4arch9wavefront6targetE0EEEvSF_.num_named_barrier, 0
	.set _ZN7rocprim17ROCPRIM_400000_NS6detail17trampoline_kernelINS0_14default_configENS1_38merge_sort_block_merge_config_selectorIlNS0_10empty_typeEEEZZNS1_27merge_sort_block_merge_implIS3_PlPS5_jNS1_19radix_merge_compareILb1ELb0ElNS0_19identity_decomposerEEEEE10hipError_tT0_T1_T2_jT3_P12ihipStream_tbPNSt15iterator_traitsISE_E10value_typeEPNSK_ISF_E10value_typeEPSG_NS1_7vsmem_tEENKUlT_SE_SF_SG_E_clIS8_S8_S9_S9_EESD_ST_SE_SF_SG_EUlST_E0_NS1_11comp_targetILNS1_3genE5ELNS1_11target_archE942ELNS1_3gpuE9ELNS1_3repE0EEENS1_38merge_mergepath_config_static_selectorELNS0_4arch9wavefront6targetE0EEEvSF_.private_seg_size, 0
	.set _ZN7rocprim17ROCPRIM_400000_NS6detail17trampoline_kernelINS0_14default_configENS1_38merge_sort_block_merge_config_selectorIlNS0_10empty_typeEEEZZNS1_27merge_sort_block_merge_implIS3_PlPS5_jNS1_19radix_merge_compareILb1ELb0ElNS0_19identity_decomposerEEEEE10hipError_tT0_T1_T2_jT3_P12ihipStream_tbPNSt15iterator_traitsISE_E10value_typeEPNSK_ISF_E10value_typeEPSG_NS1_7vsmem_tEENKUlT_SE_SF_SG_E_clIS8_S8_S9_S9_EESD_ST_SE_SF_SG_EUlST_E0_NS1_11comp_targetILNS1_3genE5ELNS1_11target_archE942ELNS1_3gpuE9ELNS1_3repE0EEENS1_38merge_mergepath_config_static_selectorELNS0_4arch9wavefront6targetE0EEEvSF_.uses_vcc, 0
	.set _ZN7rocprim17ROCPRIM_400000_NS6detail17trampoline_kernelINS0_14default_configENS1_38merge_sort_block_merge_config_selectorIlNS0_10empty_typeEEEZZNS1_27merge_sort_block_merge_implIS3_PlPS5_jNS1_19radix_merge_compareILb1ELb0ElNS0_19identity_decomposerEEEEE10hipError_tT0_T1_T2_jT3_P12ihipStream_tbPNSt15iterator_traitsISE_E10value_typeEPNSK_ISF_E10value_typeEPSG_NS1_7vsmem_tEENKUlT_SE_SF_SG_E_clIS8_S8_S9_S9_EESD_ST_SE_SF_SG_EUlST_E0_NS1_11comp_targetILNS1_3genE5ELNS1_11target_archE942ELNS1_3gpuE9ELNS1_3repE0EEENS1_38merge_mergepath_config_static_selectorELNS0_4arch9wavefront6targetE0EEEvSF_.uses_flat_scratch, 0
	.set _ZN7rocprim17ROCPRIM_400000_NS6detail17trampoline_kernelINS0_14default_configENS1_38merge_sort_block_merge_config_selectorIlNS0_10empty_typeEEEZZNS1_27merge_sort_block_merge_implIS3_PlPS5_jNS1_19radix_merge_compareILb1ELb0ElNS0_19identity_decomposerEEEEE10hipError_tT0_T1_T2_jT3_P12ihipStream_tbPNSt15iterator_traitsISE_E10value_typeEPNSK_ISF_E10value_typeEPSG_NS1_7vsmem_tEENKUlT_SE_SF_SG_E_clIS8_S8_S9_S9_EESD_ST_SE_SF_SG_EUlST_E0_NS1_11comp_targetILNS1_3genE5ELNS1_11target_archE942ELNS1_3gpuE9ELNS1_3repE0EEENS1_38merge_mergepath_config_static_selectorELNS0_4arch9wavefront6targetE0EEEvSF_.has_dyn_sized_stack, 0
	.set _ZN7rocprim17ROCPRIM_400000_NS6detail17trampoline_kernelINS0_14default_configENS1_38merge_sort_block_merge_config_selectorIlNS0_10empty_typeEEEZZNS1_27merge_sort_block_merge_implIS3_PlPS5_jNS1_19radix_merge_compareILb1ELb0ElNS0_19identity_decomposerEEEEE10hipError_tT0_T1_T2_jT3_P12ihipStream_tbPNSt15iterator_traitsISE_E10value_typeEPNSK_ISF_E10value_typeEPSG_NS1_7vsmem_tEENKUlT_SE_SF_SG_E_clIS8_S8_S9_S9_EESD_ST_SE_SF_SG_EUlST_E0_NS1_11comp_targetILNS1_3genE5ELNS1_11target_archE942ELNS1_3gpuE9ELNS1_3repE0EEENS1_38merge_mergepath_config_static_selectorELNS0_4arch9wavefront6targetE0EEEvSF_.has_recursion, 0
	.set _ZN7rocprim17ROCPRIM_400000_NS6detail17trampoline_kernelINS0_14default_configENS1_38merge_sort_block_merge_config_selectorIlNS0_10empty_typeEEEZZNS1_27merge_sort_block_merge_implIS3_PlPS5_jNS1_19radix_merge_compareILb1ELb0ElNS0_19identity_decomposerEEEEE10hipError_tT0_T1_T2_jT3_P12ihipStream_tbPNSt15iterator_traitsISE_E10value_typeEPNSK_ISF_E10value_typeEPSG_NS1_7vsmem_tEENKUlT_SE_SF_SG_E_clIS8_S8_S9_S9_EESD_ST_SE_SF_SG_EUlST_E0_NS1_11comp_targetILNS1_3genE5ELNS1_11target_archE942ELNS1_3gpuE9ELNS1_3repE0EEENS1_38merge_mergepath_config_static_selectorELNS0_4arch9wavefront6targetE0EEEvSF_.has_indirect_call, 0
	.section	.AMDGPU.csdata,"",@progbits
; Kernel info:
; codeLenInByte = 0
; TotalNumSgprs: 0
; NumVgprs: 0
; ScratchSize: 0
; MemoryBound: 0
; FloatMode: 240
; IeeeMode: 1
; LDSByteSize: 0 bytes/workgroup (compile time only)
; SGPRBlocks: 0
; VGPRBlocks: 0
; NumSGPRsForWavesPerEU: 1
; NumVGPRsForWavesPerEU: 1
; NamedBarCnt: 0
; Occupancy: 16
; WaveLimiterHint : 0
; COMPUTE_PGM_RSRC2:SCRATCH_EN: 0
; COMPUTE_PGM_RSRC2:USER_SGPR: 2
; COMPUTE_PGM_RSRC2:TRAP_HANDLER: 0
; COMPUTE_PGM_RSRC2:TGID_X_EN: 1
; COMPUTE_PGM_RSRC2:TGID_Y_EN: 0
; COMPUTE_PGM_RSRC2:TGID_Z_EN: 0
; COMPUTE_PGM_RSRC2:TIDIG_COMP_CNT: 0
	.section	.text._ZN7rocprim17ROCPRIM_400000_NS6detail17trampoline_kernelINS0_14default_configENS1_38merge_sort_block_merge_config_selectorIlNS0_10empty_typeEEEZZNS1_27merge_sort_block_merge_implIS3_PlPS5_jNS1_19radix_merge_compareILb1ELb0ElNS0_19identity_decomposerEEEEE10hipError_tT0_T1_T2_jT3_P12ihipStream_tbPNSt15iterator_traitsISE_E10value_typeEPNSK_ISF_E10value_typeEPSG_NS1_7vsmem_tEENKUlT_SE_SF_SG_E_clIS8_S8_S9_S9_EESD_ST_SE_SF_SG_EUlST_E0_NS1_11comp_targetILNS1_3genE4ELNS1_11target_archE910ELNS1_3gpuE8ELNS1_3repE0EEENS1_38merge_mergepath_config_static_selectorELNS0_4arch9wavefront6targetE0EEEvSF_,"axG",@progbits,_ZN7rocprim17ROCPRIM_400000_NS6detail17trampoline_kernelINS0_14default_configENS1_38merge_sort_block_merge_config_selectorIlNS0_10empty_typeEEEZZNS1_27merge_sort_block_merge_implIS3_PlPS5_jNS1_19radix_merge_compareILb1ELb0ElNS0_19identity_decomposerEEEEE10hipError_tT0_T1_T2_jT3_P12ihipStream_tbPNSt15iterator_traitsISE_E10value_typeEPNSK_ISF_E10value_typeEPSG_NS1_7vsmem_tEENKUlT_SE_SF_SG_E_clIS8_S8_S9_S9_EESD_ST_SE_SF_SG_EUlST_E0_NS1_11comp_targetILNS1_3genE4ELNS1_11target_archE910ELNS1_3gpuE8ELNS1_3repE0EEENS1_38merge_mergepath_config_static_selectorELNS0_4arch9wavefront6targetE0EEEvSF_,comdat
	.protected	_ZN7rocprim17ROCPRIM_400000_NS6detail17trampoline_kernelINS0_14default_configENS1_38merge_sort_block_merge_config_selectorIlNS0_10empty_typeEEEZZNS1_27merge_sort_block_merge_implIS3_PlPS5_jNS1_19radix_merge_compareILb1ELb0ElNS0_19identity_decomposerEEEEE10hipError_tT0_T1_T2_jT3_P12ihipStream_tbPNSt15iterator_traitsISE_E10value_typeEPNSK_ISF_E10value_typeEPSG_NS1_7vsmem_tEENKUlT_SE_SF_SG_E_clIS8_S8_S9_S9_EESD_ST_SE_SF_SG_EUlST_E0_NS1_11comp_targetILNS1_3genE4ELNS1_11target_archE910ELNS1_3gpuE8ELNS1_3repE0EEENS1_38merge_mergepath_config_static_selectorELNS0_4arch9wavefront6targetE0EEEvSF_ ; -- Begin function _ZN7rocprim17ROCPRIM_400000_NS6detail17trampoline_kernelINS0_14default_configENS1_38merge_sort_block_merge_config_selectorIlNS0_10empty_typeEEEZZNS1_27merge_sort_block_merge_implIS3_PlPS5_jNS1_19radix_merge_compareILb1ELb0ElNS0_19identity_decomposerEEEEE10hipError_tT0_T1_T2_jT3_P12ihipStream_tbPNSt15iterator_traitsISE_E10value_typeEPNSK_ISF_E10value_typeEPSG_NS1_7vsmem_tEENKUlT_SE_SF_SG_E_clIS8_S8_S9_S9_EESD_ST_SE_SF_SG_EUlST_E0_NS1_11comp_targetILNS1_3genE4ELNS1_11target_archE910ELNS1_3gpuE8ELNS1_3repE0EEENS1_38merge_mergepath_config_static_selectorELNS0_4arch9wavefront6targetE0EEEvSF_
	.globl	_ZN7rocprim17ROCPRIM_400000_NS6detail17trampoline_kernelINS0_14default_configENS1_38merge_sort_block_merge_config_selectorIlNS0_10empty_typeEEEZZNS1_27merge_sort_block_merge_implIS3_PlPS5_jNS1_19radix_merge_compareILb1ELb0ElNS0_19identity_decomposerEEEEE10hipError_tT0_T1_T2_jT3_P12ihipStream_tbPNSt15iterator_traitsISE_E10value_typeEPNSK_ISF_E10value_typeEPSG_NS1_7vsmem_tEENKUlT_SE_SF_SG_E_clIS8_S8_S9_S9_EESD_ST_SE_SF_SG_EUlST_E0_NS1_11comp_targetILNS1_3genE4ELNS1_11target_archE910ELNS1_3gpuE8ELNS1_3repE0EEENS1_38merge_mergepath_config_static_selectorELNS0_4arch9wavefront6targetE0EEEvSF_
	.p2align	8
	.type	_ZN7rocprim17ROCPRIM_400000_NS6detail17trampoline_kernelINS0_14default_configENS1_38merge_sort_block_merge_config_selectorIlNS0_10empty_typeEEEZZNS1_27merge_sort_block_merge_implIS3_PlPS5_jNS1_19radix_merge_compareILb1ELb0ElNS0_19identity_decomposerEEEEE10hipError_tT0_T1_T2_jT3_P12ihipStream_tbPNSt15iterator_traitsISE_E10value_typeEPNSK_ISF_E10value_typeEPSG_NS1_7vsmem_tEENKUlT_SE_SF_SG_E_clIS8_S8_S9_S9_EESD_ST_SE_SF_SG_EUlST_E0_NS1_11comp_targetILNS1_3genE4ELNS1_11target_archE910ELNS1_3gpuE8ELNS1_3repE0EEENS1_38merge_mergepath_config_static_selectorELNS0_4arch9wavefront6targetE0EEEvSF_,@function
_ZN7rocprim17ROCPRIM_400000_NS6detail17trampoline_kernelINS0_14default_configENS1_38merge_sort_block_merge_config_selectorIlNS0_10empty_typeEEEZZNS1_27merge_sort_block_merge_implIS3_PlPS5_jNS1_19radix_merge_compareILb1ELb0ElNS0_19identity_decomposerEEEEE10hipError_tT0_T1_T2_jT3_P12ihipStream_tbPNSt15iterator_traitsISE_E10value_typeEPNSK_ISF_E10value_typeEPSG_NS1_7vsmem_tEENKUlT_SE_SF_SG_E_clIS8_S8_S9_S9_EESD_ST_SE_SF_SG_EUlST_E0_NS1_11comp_targetILNS1_3genE4ELNS1_11target_archE910ELNS1_3gpuE8ELNS1_3repE0EEENS1_38merge_mergepath_config_static_selectorELNS0_4arch9wavefront6targetE0EEEvSF_: ; @_ZN7rocprim17ROCPRIM_400000_NS6detail17trampoline_kernelINS0_14default_configENS1_38merge_sort_block_merge_config_selectorIlNS0_10empty_typeEEEZZNS1_27merge_sort_block_merge_implIS3_PlPS5_jNS1_19radix_merge_compareILb1ELb0ElNS0_19identity_decomposerEEEEE10hipError_tT0_T1_T2_jT3_P12ihipStream_tbPNSt15iterator_traitsISE_E10value_typeEPNSK_ISF_E10value_typeEPSG_NS1_7vsmem_tEENKUlT_SE_SF_SG_E_clIS8_S8_S9_S9_EESD_ST_SE_SF_SG_EUlST_E0_NS1_11comp_targetILNS1_3genE4ELNS1_11target_archE910ELNS1_3gpuE8ELNS1_3repE0EEENS1_38merge_mergepath_config_static_selectorELNS0_4arch9wavefront6targetE0EEEvSF_
; %bb.0:
	.section	.rodata,"a",@progbits
	.p2align	6, 0x0
	.amdhsa_kernel _ZN7rocprim17ROCPRIM_400000_NS6detail17trampoline_kernelINS0_14default_configENS1_38merge_sort_block_merge_config_selectorIlNS0_10empty_typeEEEZZNS1_27merge_sort_block_merge_implIS3_PlPS5_jNS1_19radix_merge_compareILb1ELb0ElNS0_19identity_decomposerEEEEE10hipError_tT0_T1_T2_jT3_P12ihipStream_tbPNSt15iterator_traitsISE_E10value_typeEPNSK_ISF_E10value_typeEPSG_NS1_7vsmem_tEENKUlT_SE_SF_SG_E_clIS8_S8_S9_S9_EESD_ST_SE_SF_SG_EUlST_E0_NS1_11comp_targetILNS1_3genE4ELNS1_11target_archE910ELNS1_3gpuE8ELNS1_3repE0EEENS1_38merge_mergepath_config_static_selectorELNS0_4arch9wavefront6targetE0EEEvSF_
		.amdhsa_group_segment_fixed_size 0
		.amdhsa_private_segment_fixed_size 0
		.amdhsa_kernarg_size 64
		.amdhsa_user_sgpr_count 2
		.amdhsa_user_sgpr_dispatch_ptr 0
		.amdhsa_user_sgpr_queue_ptr 0
		.amdhsa_user_sgpr_kernarg_segment_ptr 1
		.amdhsa_user_sgpr_dispatch_id 0
		.amdhsa_user_sgpr_kernarg_preload_length 0
		.amdhsa_user_sgpr_kernarg_preload_offset 0
		.amdhsa_user_sgpr_private_segment_size 0
		.amdhsa_wavefront_size32 1
		.amdhsa_uses_dynamic_stack 0
		.amdhsa_enable_private_segment 0
		.amdhsa_system_sgpr_workgroup_id_x 1
		.amdhsa_system_sgpr_workgroup_id_y 0
		.amdhsa_system_sgpr_workgroup_id_z 0
		.amdhsa_system_sgpr_workgroup_info 0
		.amdhsa_system_vgpr_workitem_id 0
		.amdhsa_next_free_vgpr 1
		.amdhsa_next_free_sgpr 1
		.amdhsa_named_barrier_count 0
		.amdhsa_reserve_vcc 0
		.amdhsa_float_round_mode_32 0
		.amdhsa_float_round_mode_16_64 0
		.amdhsa_float_denorm_mode_32 3
		.amdhsa_float_denorm_mode_16_64 3
		.amdhsa_fp16_overflow 0
		.amdhsa_memory_ordered 1
		.amdhsa_forward_progress 1
		.amdhsa_inst_pref_size 0
		.amdhsa_round_robin_scheduling 0
		.amdhsa_exception_fp_ieee_invalid_op 0
		.amdhsa_exception_fp_denorm_src 0
		.amdhsa_exception_fp_ieee_div_zero 0
		.amdhsa_exception_fp_ieee_overflow 0
		.amdhsa_exception_fp_ieee_underflow 0
		.amdhsa_exception_fp_ieee_inexact 0
		.amdhsa_exception_int_div_zero 0
	.end_amdhsa_kernel
	.section	.text._ZN7rocprim17ROCPRIM_400000_NS6detail17trampoline_kernelINS0_14default_configENS1_38merge_sort_block_merge_config_selectorIlNS0_10empty_typeEEEZZNS1_27merge_sort_block_merge_implIS3_PlPS5_jNS1_19radix_merge_compareILb1ELb0ElNS0_19identity_decomposerEEEEE10hipError_tT0_T1_T2_jT3_P12ihipStream_tbPNSt15iterator_traitsISE_E10value_typeEPNSK_ISF_E10value_typeEPSG_NS1_7vsmem_tEENKUlT_SE_SF_SG_E_clIS8_S8_S9_S9_EESD_ST_SE_SF_SG_EUlST_E0_NS1_11comp_targetILNS1_3genE4ELNS1_11target_archE910ELNS1_3gpuE8ELNS1_3repE0EEENS1_38merge_mergepath_config_static_selectorELNS0_4arch9wavefront6targetE0EEEvSF_,"axG",@progbits,_ZN7rocprim17ROCPRIM_400000_NS6detail17trampoline_kernelINS0_14default_configENS1_38merge_sort_block_merge_config_selectorIlNS0_10empty_typeEEEZZNS1_27merge_sort_block_merge_implIS3_PlPS5_jNS1_19radix_merge_compareILb1ELb0ElNS0_19identity_decomposerEEEEE10hipError_tT0_T1_T2_jT3_P12ihipStream_tbPNSt15iterator_traitsISE_E10value_typeEPNSK_ISF_E10value_typeEPSG_NS1_7vsmem_tEENKUlT_SE_SF_SG_E_clIS8_S8_S9_S9_EESD_ST_SE_SF_SG_EUlST_E0_NS1_11comp_targetILNS1_3genE4ELNS1_11target_archE910ELNS1_3gpuE8ELNS1_3repE0EEENS1_38merge_mergepath_config_static_selectorELNS0_4arch9wavefront6targetE0EEEvSF_,comdat
.Lfunc_end1025:
	.size	_ZN7rocprim17ROCPRIM_400000_NS6detail17trampoline_kernelINS0_14default_configENS1_38merge_sort_block_merge_config_selectorIlNS0_10empty_typeEEEZZNS1_27merge_sort_block_merge_implIS3_PlPS5_jNS1_19radix_merge_compareILb1ELb0ElNS0_19identity_decomposerEEEEE10hipError_tT0_T1_T2_jT3_P12ihipStream_tbPNSt15iterator_traitsISE_E10value_typeEPNSK_ISF_E10value_typeEPSG_NS1_7vsmem_tEENKUlT_SE_SF_SG_E_clIS8_S8_S9_S9_EESD_ST_SE_SF_SG_EUlST_E0_NS1_11comp_targetILNS1_3genE4ELNS1_11target_archE910ELNS1_3gpuE8ELNS1_3repE0EEENS1_38merge_mergepath_config_static_selectorELNS0_4arch9wavefront6targetE0EEEvSF_, .Lfunc_end1025-_ZN7rocprim17ROCPRIM_400000_NS6detail17trampoline_kernelINS0_14default_configENS1_38merge_sort_block_merge_config_selectorIlNS0_10empty_typeEEEZZNS1_27merge_sort_block_merge_implIS3_PlPS5_jNS1_19radix_merge_compareILb1ELb0ElNS0_19identity_decomposerEEEEE10hipError_tT0_T1_T2_jT3_P12ihipStream_tbPNSt15iterator_traitsISE_E10value_typeEPNSK_ISF_E10value_typeEPSG_NS1_7vsmem_tEENKUlT_SE_SF_SG_E_clIS8_S8_S9_S9_EESD_ST_SE_SF_SG_EUlST_E0_NS1_11comp_targetILNS1_3genE4ELNS1_11target_archE910ELNS1_3gpuE8ELNS1_3repE0EEENS1_38merge_mergepath_config_static_selectorELNS0_4arch9wavefront6targetE0EEEvSF_
                                        ; -- End function
	.set _ZN7rocprim17ROCPRIM_400000_NS6detail17trampoline_kernelINS0_14default_configENS1_38merge_sort_block_merge_config_selectorIlNS0_10empty_typeEEEZZNS1_27merge_sort_block_merge_implIS3_PlPS5_jNS1_19radix_merge_compareILb1ELb0ElNS0_19identity_decomposerEEEEE10hipError_tT0_T1_T2_jT3_P12ihipStream_tbPNSt15iterator_traitsISE_E10value_typeEPNSK_ISF_E10value_typeEPSG_NS1_7vsmem_tEENKUlT_SE_SF_SG_E_clIS8_S8_S9_S9_EESD_ST_SE_SF_SG_EUlST_E0_NS1_11comp_targetILNS1_3genE4ELNS1_11target_archE910ELNS1_3gpuE8ELNS1_3repE0EEENS1_38merge_mergepath_config_static_selectorELNS0_4arch9wavefront6targetE0EEEvSF_.num_vgpr, 0
	.set _ZN7rocprim17ROCPRIM_400000_NS6detail17trampoline_kernelINS0_14default_configENS1_38merge_sort_block_merge_config_selectorIlNS0_10empty_typeEEEZZNS1_27merge_sort_block_merge_implIS3_PlPS5_jNS1_19radix_merge_compareILb1ELb0ElNS0_19identity_decomposerEEEEE10hipError_tT0_T1_T2_jT3_P12ihipStream_tbPNSt15iterator_traitsISE_E10value_typeEPNSK_ISF_E10value_typeEPSG_NS1_7vsmem_tEENKUlT_SE_SF_SG_E_clIS8_S8_S9_S9_EESD_ST_SE_SF_SG_EUlST_E0_NS1_11comp_targetILNS1_3genE4ELNS1_11target_archE910ELNS1_3gpuE8ELNS1_3repE0EEENS1_38merge_mergepath_config_static_selectorELNS0_4arch9wavefront6targetE0EEEvSF_.num_agpr, 0
	.set _ZN7rocprim17ROCPRIM_400000_NS6detail17trampoline_kernelINS0_14default_configENS1_38merge_sort_block_merge_config_selectorIlNS0_10empty_typeEEEZZNS1_27merge_sort_block_merge_implIS3_PlPS5_jNS1_19radix_merge_compareILb1ELb0ElNS0_19identity_decomposerEEEEE10hipError_tT0_T1_T2_jT3_P12ihipStream_tbPNSt15iterator_traitsISE_E10value_typeEPNSK_ISF_E10value_typeEPSG_NS1_7vsmem_tEENKUlT_SE_SF_SG_E_clIS8_S8_S9_S9_EESD_ST_SE_SF_SG_EUlST_E0_NS1_11comp_targetILNS1_3genE4ELNS1_11target_archE910ELNS1_3gpuE8ELNS1_3repE0EEENS1_38merge_mergepath_config_static_selectorELNS0_4arch9wavefront6targetE0EEEvSF_.numbered_sgpr, 0
	.set _ZN7rocprim17ROCPRIM_400000_NS6detail17trampoline_kernelINS0_14default_configENS1_38merge_sort_block_merge_config_selectorIlNS0_10empty_typeEEEZZNS1_27merge_sort_block_merge_implIS3_PlPS5_jNS1_19radix_merge_compareILb1ELb0ElNS0_19identity_decomposerEEEEE10hipError_tT0_T1_T2_jT3_P12ihipStream_tbPNSt15iterator_traitsISE_E10value_typeEPNSK_ISF_E10value_typeEPSG_NS1_7vsmem_tEENKUlT_SE_SF_SG_E_clIS8_S8_S9_S9_EESD_ST_SE_SF_SG_EUlST_E0_NS1_11comp_targetILNS1_3genE4ELNS1_11target_archE910ELNS1_3gpuE8ELNS1_3repE0EEENS1_38merge_mergepath_config_static_selectorELNS0_4arch9wavefront6targetE0EEEvSF_.num_named_barrier, 0
	.set _ZN7rocprim17ROCPRIM_400000_NS6detail17trampoline_kernelINS0_14default_configENS1_38merge_sort_block_merge_config_selectorIlNS0_10empty_typeEEEZZNS1_27merge_sort_block_merge_implIS3_PlPS5_jNS1_19radix_merge_compareILb1ELb0ElNS0_19identity_decomposerEEEEE10hipError_tT0_T1_T2_jT3_P12ihipStream_tbPNSt15iterator_traitsISE_E10value_typeEPNSK_ISF_E10value_typeEPSG_NS1_7vsmem_tEENKUlT_SE_SF_SG_E_clIS8_S8_S9_S9_EESD_ST_SE_SF_SG_EUlST_E0_NS1_11comp_targetILNS1_3genE4ELNS1_11target_archE910ELNS1_3gpuE8ELNS1_3repE0EEENS1_38merge_mergepath_config_static_selectorELNS0_4arch9wavefront6targetE0EEEvSF_.private_seg_size, 0
	.set _ZN7rocprim17ROCPRIM_400000_NS6detail17trampoline_kernelINS0_14default_configENS1_38merge_sort_block_merge_config_selectorIlNS0_10empty_typeEEEZZNS1_27merge_sort_block_merge_implIS3_PlPS5_jNS1_19radix_merge_compareILb1ELb0ElNS0_19identity_decomposerEEEEE10hipError_tT0_T1_T2_jT3_P12ihipStream_tbPNSt15iterator_traitsISE_E10value_typeEPNSK_ISF_E10value_typeEPSG_NS1_7vsmem_tEENKUlT_SE_SF_SG_E_clIS8_S8_S9_S9_EESD_ST_SE_SF_SG_EUlST_E0_NS1_11comp_targetILNS1_3genE4ELNS1_11target_archE910ELNS1_3gpuE8ELNS1_3repE0EEENS1_38merge_mergepath_config_static_selectorELNS0_4arch9wavefront6targetE0EEEvSF_.uses_vcc, 0
	.set _ZN7rocprim17ROCPRIM_400000_NS6detail17trampoline_kernelINS0_14default_configENS1_38merge_sort_block_merge_config_selectorIlNS0_10empty_typeEEEZZNS1_27merge_sort_block_merge_implIS3_PlPS5_jNS1_19radix_merge_compareILb1ELb0ElNS0_19identity_decomposerEEEEE10hipError_tT0_T1_T2_jT3_P12ihipStream_tbPNSt15iterator_traitsISE_E10value_typeEPNSK_ISF_E10value_typeEPSG_NS1_7vsmem_tEENKUlT_SE_SF_SG_E_clIS8_S8_S9_S9_EESD_ST_SE_SF_SG_EUlST_E0_NS1_11comp_targetILNS1_3genE4ELNS1_11target_archE910ELNS1_3gpuE8ELNS1_3repE0EEENS1_38merge_mergepath_config_static_selectorELNS0_4arch9wavefront6targetE0EEEvSF_.uses_flat_scratch, 0
	.set _ZN7rocprim17ROCPRIM_400000_NS6detail17trampoline_kernelINS0_14default_configENS1_38merge_sort_block_merge_config_selectorIlNS0_10empty_typeEEEZZNS1_27merge_sort_block_merge_implIS3_PlPS5_jNS1_19radix_merge_compareILb1ELb0ElNS0_19identity_decomposerEEEEE10hipError_tT0_T1_T2_jT3_P12ihipStream_tbPNSt15iterator_traitsISE_E10value_typeEPNSK_ISF_E10value_typeEPSG_NS1_7vsmem_tEENKUlT_SE_SF_SG_E_clIS8_S8_S9_S9_EESD_ST_SE_SF_SG_EUlST_E0_NS1_11comp_targetILNS1_3genE4ELNS1_11target_archE910ELNS1_3gpuE8ELNS1_3repE0EEENS1_38merge_mergepath_config_static_selectorELNS0_4arch9wavefront6targetE0EEEvSF_.has_dyn_sized_stack, 0
	.set _ZN7rocprim17ROCPRIM_400000_NS6detail17trampoline_kernelINS0_14default_configENS1_38merge_sort_block_merge_config_selectorIlNS0_10empty_typeEEEZZNS1_27merge_sort_block_merge_implIS3_PlPS5_jNS1_19radix_merge_compareILb1ELb0ElNS0_19identity_decomposerEEEEE10hipError_tT0_T1_T2_jT3_P12ihipStream_tbPNSt15iterator_traitsISE_E10value_typeEPNSK_ISF_E10value_typeEPSG_NS1_7vsmem_tEENKUlT_SE_SF_SG_E_clIS8_S8_S9_S9_EESD_ST_SE_SF_SG_EUlST_E0_NS1_11comp_targetILNS1_3genE4ELNS1_11target_archE910ELNS1_3gpuE8ELNS1_3repE0EEENS1_38merge_mergepath_config_static_selectorELNS0_4arch9wavefront6targetE0EEEvSF_.has_recursion, 0
	.set _ZN7rocprim17ROCPRIM_400000_NS6detail17trampoline_kernelINS0_14default_configENS1_38merge_sort_block_merge_config_selectorIlNS0_10empty_typeEEEZZNS1_27merge_sort_block_merge_implIS3_PlPS5_jNS1_19radix_merge_compareILb1ELb0ElNS0_19identity_decomposerEEEEE10hipError_tT0_T1_T2_jT3_P12ihipStream_tbPNSt15iterator_traitsISE_E10value_typeEPNSK_ISF_E10value_typeEPSG_NS1_7vsmem_tEENKUlT_SE_SF_SG_E_clIS8_S8_S9_S9_EESD_ST_SE_SF_SG_EUlST_E0_NS1_11comp_targetILNS1_3genE4ELNS1_11target_archE910ELNS1_3gpuE8ELNS1_3repE0EEENS1_38merge_mergepath_config_static_selectorELNS0_4arch9wavefront6targetE0EEEvSF_.has_indirect_call, 0
	.section	.AMDGPU.csdata,"",@progbits
; Kernel info:
; codeLenInByte = 0
; TotalNumSgprs: 0
; NumVgprs: 0
; ScratchSize: 0
; MemoryBound: 0
; FloatMode: 240
; IeeeMode: 1
; LDSByteSize: 0 bytes/workgroup (compile time only)
; SGPRBlocks: 0
; VGPRBlocks: 0
; NumSGPRsForWavesPerEU: 1
; NumVGPRsForWavesPerEU: 1
; NamedBarCnt: 0
; Occupancy: 16
; WaveLimiterHint : 0
; COMPUTE_PGM_RSRC2:SCRATCH_EN: 0
; COMPUTE_PGM_RSRC2:USER_SGPR: 2
; COMPUTE_PGM_RSRC2:TRAP_HANDLER: 0
; COMPUTE_PGM_RSRC2:TGID_X_EN: 1
; COMPUTE_PGM_RSRC2:TGID_Y_EN: 0
; COMPUTE_PGM_RSRC2:TGID_Z_EN: 0
; COMPUTE_PGM_RSRC2:TIDIG_COMP_CNT: 0
	.section	.text._ZN7rocprim17ROCPRIM_400000_NS6detail17trampoline_kernelINS0_14default_configENS1_38merge_sort_block_merge_config_selectorIlNS0_10empty_typeEEEZZNS1_27merge_sort_block_merge_implIS3_PlPS5_jNS1_19radix_merge_compareILb1ELb0ElNS0_19identity_decomposerEEEEE10hipError_tT0_T1_T2_jT3_P12ihipStream_tbPNSt15iterator_traitsISE_E10value_typeEPNSK_ISF_E10value_typeEPSG_NS1_7vsmem_tEENKUlT_SE_SF_SG_E_clIS8_S8_S9_S9_EESD_ST_SE_SF_SG_EUlST_E0_NS1_11comp_targetILNS1_3genE3ELNS1_11target_archE908ELNS1_3gpuE7ELNS1_3repE0EEENS1_38merge_mergepath_config_static_selectorELNS0_4arch9wavefront6targetE0EEEvSF_,"axG",@progbits,_ZN7rocprim17ROCPRIM_400000_NS6detail17trampoline_kernelINS0_14default_configENS1_38merge_sort_block_merge_config_selectorIlNS0_10empty_typeEEEZZNS1_27merge_sort_block_merge_implIS3_PlPS5_jNS1_19radix_merge_compareILb1ELb0ElNS0_19identity_decomposerEEEEE10hipError_tT0_T1_T2_jT3_P12ihipStream_tbPNSt15iterator_traitsISE_E10value_typeEPNSK_ISF_E10value_typeEPSG_NS1_7vsmem_tEENKUlT_SE_SF_SG_E_clIS8_S8_S9_S9_EESD_ST_SE_SF_SG_EUlST_E0_NS1_11comp_targetILNS1_3genE3ELNS1_11target_archE908ELNS1_3gpuE7ELNS1_3repE0EEENS1_38merge_mergepath_config_static_selectorELNS0_4arch9wavefront6targetE0EEEvSF_,comdat
	.protected	_ZN7rocprim17ROCPRIM_400000_NS6detail17trampoline_kernelINS0_14default_configENS1_38merge_sort_block_merge_config_selectorIlNS0_10empty_typeEEEZZNS1_27merge_sort_block_merge_implIS3_PlPS5_jNS1_19radix_merge_compareILb1ELb0ElNS0_19identity_decomposerEEEEE10hipError_tT0_T1_T2_jT3_P12ihipStream_tbPNSt15iterator_traitsISE_E10value_typeEPNSK_ISF_E10value_typeEPSG_NS1_7vsmem_tEENKUlT_SE_SF_SG_E_clIS8_S8_S9_S9_EESD_ST_SE_SF_SG_EUlST_E0_NS1_11comp_targetILNS1_3genE3ELNS1_11target_archE908ELNS1_3gpuE7ELNS1_3repE0EEENS1_38merge_mergepath_config_static_selectorELNS0_4arch9wavefront6targetE0EEEvSF_ ; -- Begin function _ZN7rocprim17ROCPRIM_400000_NS6detail17trampoline_kernelINS0_14default_configENS1_38merge_sort_block_merge_config_selectorIlNS0_10empty_typeEEEZZNS1_27merge_sort_block_merge_implIS3_PlPS5_jNS1_19radix_merge_compareILb1ELb0ElNS0_19identity_decomposerEEEEE10hipError_tT0_T1_T2_jT3_P12ihipStream_tbPNSt15iterator_traitsISE_E10value_typeEPNSK_ISF_E10value_typeEPSG_NS1_7vsmem_tEENKUlT_SE_SF_SG_E_clIS8_S8_S9_S9_EESD_ST_SE_SF_SG_EUlST_E0_NS1_11comp_targetILNS1_3genE3ELNS1_11target_archE908ELNS1_3gpuE7ELNS1_3repE0EEENS1_38merge_mergepath_config_static_selectorELNS0_4arch9wavefront6targetE0EEEvSF_
	.globl	_ZN7rocprim17ROCPRIM_400000_NS6detail17trampoline_kernelINS0_14default_configENS1_38merge_sort_block_merge_config_selectorIlNS0_10empty_typeEEEZZNS1_27merge_sort_block_merge_implIS3_PlPS5_jNS1_19radix_merge_compareILb1ELb0ElNS0_19identity_decomposerEEEEE10hipError_tT0_T1_T2_jT3_P12ihipStream_tbPNSt15iterator_traitsISE_E10value_typeEPNSK_ISF_E10value_typeEPSG_NS1_7vsmem_tEENKUlT_SE_SF_SG_E_clIS8_S8_S9_S9_EESD_ST_SE_SF_SG_EUlST_E0_NS1_11comp_targetILNS1_3genE3ELNS1_11target_archE908ELNS1_3gpuE7ELNS1_3repE0EEENS1_38merge_mergepath_config_static_selectorELNS0_4arch9wavefront6targetE0EEEvSF_
	.p2align	8
	.type	_ZN7rocprim17ROCPRIM_400000_NS6detail17trampoline_kernelINS0_14default_configENS1_38merge_sort_block_merge_config_selectorIlNS0_10empty_typeEEEZZNS1_27merge_sort_block_merge_implIS3_PlPS5_jNS1_19radix_merge_compareILb1ELb0ElNS0_19identity_decomposerEEEEE10hipError_tT0_T1_T2_jT3_P12ihipStream_tbPNSt15iterator_traitsISE_E10value_typeEPNSK_ISF_E10value_typeEPSG_NS1_7vsmem_tEENKUlT_SE_SF_SG_E_clIS8_S8_S9_S9_EESD_ST_SE_SF_SG_EUlST_E0_NS1_11comp_targetILNS1_3genE3ELNS1_11target_archE908ELNS1_3gpuE7ELNS1_3repE0EEENS1_38merge_mergepath_config_static_selectorELNS0_4arch9wavefront6targetE0EEEvSF_,@function
_ZN7rocprim17ROCPRIM_400000_NS6detail17trampoline_kernelINS0_14default_configENS1_38merge_sort_block_merge_config_selectorIlNS0_10empty_typeEEEZZNS1_27merge_sort_block_merge_implIS3_PlPS5_jNS1_19radix_merge_compareILb1ELb0ElNS0_19identity_decomposerEEEEE10hipError_tT0_T1_T2_jT3_P12ihipStream_tbPNSt15iterator_traitsISE_E10value_typeEPNSK_ISF_E10value_typeEPSG_NS1_7vsmem_tEENKUlT_SE_SF_SG_E_clIS8_S8_S9_S9_EESD_ST_SE_SF_SG_EUlST_E0_NS1_11comp_targetILNS1_3genE3ELNS1_11target_archE908ELNS1_3gpuE7ELNS1_3repE0EEENS1_38merge_mergepath_config_static_selectorELNS0_4arch9wavefront6targetE0EEEvSF_: ; @_ZN7rocprim17ROCPRIM_400000_NS6detail17trampoline_kernelINS0_14default_configENS1_38merge_sort_block_merge_config_selectorIlNS0_10empty_typeEEEZZNS1_27merge_sort_block_merge_implIS3_PlPS5_jNS1_19radix_merge_compareILb1ELb0ElNS0_19identity_decomposerEEEEE10hipError_tT0_T1_T2_jT3_P12ihipStream_tbPNSt15iterator_traitsISE_E10value_typeEPNSK_ISF_E10value_typeEPSG_NS1_7vsmem_tEENKUlT_SE_SF_SG_E_clIS8_S8_S9_S9_EESD_ST_SE_SF_SG_EUlST_E0_NS1_11comp_targetILNS1_3genE3ELNS1_11target_archE908ELNS1_3gpuE7ELNS1_3repE0EEENS1_38merge_mergepath_config_static_selectorELNS0_4arch9wavefront6targetE0EEEvSF_
; %bb.0:
	.section	.rodata,"a",@progbits
	.p2align	6, 0x0
	.amdhsa_kernel _ZN7rocprim17ROCPRIM_400000_NS6detail17trampoline_kernelINS0_14default_configENS1_38merge_sort_block_merge_config_selectorIlNS0_10empty_typeEEEZZNS1_27merge_sort_block_merge_implIS3_PlPS5_jNS1_19radix_merge_compareILb1ELb0ElNS0_19identity_decomposerEEEEE10hipError_tT0_T1_T2_jT3_P12ihipStream_tbPNSt15iterator_traitsISE_E10value_typeEPNSK_ISF_E10value_typeEPSG_NS1_7vsmem_tEENKUlT_SE_SF_SG_E_clIS8_S8_S9_S9_EESD_ST_SE_SF_SG_EUlST_E0_NS1_11comp_targetILNS1_3genE3ELNS1_11target_archE908ELNS1_3gpuE7ELNS1_3repE0EEENS1_38merge_mergepath_config_static_selectorELNS0_4arch9wavefront6targetE0EEEvSF_
		.amdhsa_group_segment_fixed_size 0
		.amdhsa_private_segment_fixed_size 0
		.amdhsa_kernarg_size 64
		.amdhsa_user_sgpr_count 2
		.amdhsa_user_sgpr_dispatch_ptr 0
		.amdhsa_user_sgpr_queue_ptr 0
		.amdhsa_user_sgpr_kernarg_segment_ptr 1
		.amdhsa_user_sgpr_dispatch_id 0
		.amdhsa_user_sgpr_kernarg_preload_length 0
		.amdhsa_user_sgpr_kernarg_preload_offset 0
		.amdhsa_user_sgpr_private_segment_size 0
		.amdhsa_wavefront_size32 1
		.amdhsa_uses_dynamic_stack 0
		.amdhsa_enable_private_segment 0
		.amdhsa_system_sgpr_workgroup_id_x 1
		.amdhsa_system_sgpr_workgroup_id_y 0
		.amdhsa_system_sgpr_workgroup_id_z 0
		.amdhsa_system_sgpr_workgroup_info 0
		.amdhsa_system_vgpr_workitem_id 0
		.amdhsa_next_free_vgpr 1
		.amdhsa_next_free_sgpr 1
		.amdhsa_named_barrier_count 0
		.amdhsa_reserve_vcc 0
		.amdhsa_float_round_mode_32 0
		.amdhsa_float_round_mode_16_64 0
		.amdhsa_float_denorm_mode_32 3
		.amdhsa_float_denorm_mode_16_64 3
		.amdhsa_fp16_overflow 0
		.amdhsa_memory_ordered 1
		.amdhsa_forward_progress 1
		.amdhsa_inst_pref_size 0
		.amdhsa_round_robin_scheduling 0
		.amdhsa_exception_fp_ieee_invalid_op 0
		.amdhsa_exception_fp_denorm_src 0
		.amdhsa_exception_fp_ieee_div_zero 0
		.amdhsa_exception_fp_ieee_overflow 0
		.amdhsa_exception_fp_ieee_underflow 0
		.amdhsa_exception_fp_ieee_inexact 0
		.amdhsa_exception_int_div_zero 0
	.end_amdhsa_kernel
	.section	.text._ZN7rocprim17ROCPRIM_400000_NS6detail17trampoline_kernelINS0_14default_configENS1_38merge_sort_block_merge_config_selectorIlNS0_10empty_typeEEEZZNS1_27merge_sort_block_merge_implIS3_PlPS5_jNS1_19radix_merge_compareILb1ELb0ElNS0_19identity_decomposerEEEEE10hipError_tT0_T1_T2_jT3_P12ihipStream_tbPNSt15iterator_traitsISE_E10value_typeEPNSK_ISF_E10value_typeEPSG_NS1_7vsmem_tEENKUlT_SE_SF_SG_E_clIS8_S8_S9_S9_EESD_ST_SE_SF_SG_EUlST_E0_NS1_11comp_targetILNS1_3genE3ELNS1_11target_archE908ELNS1_3gpuE7ELNS1_3repE0EEENS1_38merge_mergepath_config_static_selectorELNS0_4arch9wavefront6targetE0EEEvSF_,"axG",@progbits,_ZN7rocprim17ROCPRIM_400000_NS6detail17trampoline_kernelINS0_14default_configENS1_38merge_sort_block_merge_config_selectorIlNS0_10empty_typeEEEZZNS1_27merge_sort_block_merge_implIS3_PlPS5_jNS1_19radix_merge_compareILb1ELb0ElNS0_19identity_decomposerEEEEE10hipError_tT0_T1_T2_jT3_P12ihipStream_tbPNSt15iterator_traitsISE_E10value_typeEPNSK_ISF_E10value_typeEPSG_NS1_7vsmem_tEENKUlT_SE_SF_SG_E_clIS8_S8_S9_S9_EESD_ST_SE_SF_SG_EUlST_E0_NS1_11comp_targetILNS1_3genE3ELNS1_11target_archE908ELNS1_3gpuE7ELNS1_3repE0EEENS1_38merge_mergepath_config_static_selectorELNS0_4arch9wavefront6targetE0EEEvSF_,comdat
.Lfunc_end1026:
	.size	_ZN7rocprim17ROCPRIM_400000_NS6detail17trampoline_kernelINS0_14default_configENS1_38merge_sort_block_merge_config_selectorIlNS0_10empty_typeEEEZZNS1_27merge_sort_block_merge_implIS3_PlPS5_jNS1_19radix_merge_compareILb1ELb0ElNS0_19identity_decomposerEEEEE10hipError_tT0_T1_T2_jT3_P12ihipStream_tbPNSt15iterator_traitsISE_E10value_typeEPNSK_ISF_E10value_typeEPSG_NS1_7vsmem_tEENKUlT_SE_SF_SG_E_clIS8_S8_S9_S9_EESD_ST_SE_SF_SG_EUlST_E0_NS1_11comp_targetILNS1_3genE3ELNS1_11target_archE908ELNS1_3gpuE7ELNS1_3repE0EEENS1_38merge_mergepath_config_static_selectorELNS0_4arch9wavefront6targetE0EEEvSF_, .Lfunc_end1026-_ZN7rocprim17ROCPRIM_400000_NS6detail17trampoline_kernelINS0_14default_configENS1_38merge_sort_block_merge_config_selectorIlNS0_10empty_typeEEEZZNS1_27merge_sort_block_merge_implIS3_PlPS5_jNS1_19radix_merge_compareILb1ELb0ElNS0_19identity_decomposerEEEEE10hipError_tT0_T1_T2_jT3_P12ihipStream_tbPNSt15iterator_traitsISE_E10value_typeEPNSK_ISF_E10value_typeEPSG_NS1_7vsmem_tEENKUlT_SE_SF_SG_E_clIS8_S8_S9_S9_EESD_ST_SE_SF_SG_EUlST_E0_NS1_11comp_targetILNS1_3genE3ELNS1_11target_archE908ELNS1_3gpuE7ELNS1_3repE0EEENS1_38merge_mergepath_config_static_selectorELNS0_4arch9wavefront6targetE0EEEvSF_
                                        ; -- End function
	.set _ZN7rocprim17ROCPRIM_400000_NS6detail17trampoline_kernelINS0_14default_configENS1_38merge_sort_block_merge_config_selectorIlNS0_10empty_typeEEEZZNS1_27merge_sort_block_merge_implIS3_PlPS5_jNS1_19radix_merge_compareILb1ELb0ElNS0_19identity_decomposerEEEEE10hipError_tT0_T1_T2_jT3_P12ihipStream_tbPNSt15iterator_traitsISE_E10value_typeEPNSK_ISF_E10value_typeEPSG_NS1_7vsmem_tEENKUlT_SE_SF_SG_E_clIS8_S8_S9_S9_EESD_ST_SE_SF_SG_EUlST_E0_NS1_11comp_targetILNS1_3genE3ELNS1_11target_archE908ELNS1_3gpuE7ELNS1_3repE0EEENS1_38merge_mergepath_config_static_selectorELNS0_4arch9wavefront6targetE0EEEvSF_.num_vgpr, 0
	.set _ZN7rocprim17ROCPRIM_400000_NS6detail17trampoline_kernelINS0_14default_configENS1_38merge_sort_block_merge_config_selectorIlNS0_10empty_typeEEEZZNS1_27merge_sort_block_merge_implIS3_PlPS5_jNS1_19radix_merge_compareILb1ELb0ElNS0_19identity_decomposerEEEEE10hipError_tT0_T1_T2_jT3_P12ihipStream_tbPNSt15iterator_traitsISE_E10value_typeEPNSK_ISF_E10value_typeEPSG_NS1_7vsmem_tEENKUlT_SE_SF_SG_E_clIS8_S8_S9_S9_EESD_ST_SE_SF_SG_EUlST_E0_NS1_11comp_targetILNS1_3genE3ELNS1_11target_archE908ELNS1_3gpuE7ELNS1_3repE0EEENS1_38merge_mergepath_config_static_selectorELNS0_4arch9wavefront6targetE0EEEvSF_.num_agpr, 0
	.set _ZN7rocprim17ROCPRIM_400000_NS6detail17trampoline_kernelINS0_14default_configENS1_38merge_sort_block_merge_config_selectorIlNS0_10empty_typeEEEZZNS1_27merge_sort_block_merge_implIS3_PlPS5_jNS1_19radix_merge_compareILb1ELb0ElNS0_19identity_decomposerEEEEE10hipError_tT0_T1_T2_jT3_P12ihipStream_tbPNSt15iterator_traitsISE_E10value_typeEPNSK_ISF_E10value_typeEPSG_NS1_7vsmem_tEENKUlT_SE_SF_SG_E_clIS8_S8_S9_S9_EESD_ST_SE_SF_SG_EUlST_E0_NS1_11comp_targetILNS1_3genE3ELNS1_11target_archE908ELNS1_3gpuE7ELNS1_3repE0EEENS1_38merge_mergepath_config_static_selectorELNS0_4arch9wavefront6targetE0EEEvSF_.numbered_sgpr, 0
	.set _ZN7rocprim17ROCPRIM_400000_NS6detail17trampoline_kernelINS0_14default_configENS1_38merge_sort_block_merge_config_selectorIlNS0_10empty_typeEEEZZNS1_27merge_sort_block_merge_implIS3_PlPS5_jNS1_19radix_merge_compareILb1ELb0ElNS0_19identity_decomposerEEEEE10hipError_tT0_T1_T2_jT3_P12ihipStream_tbPNSt15iterator_traitsISE_E10value_typeEPNSK_ISF_E10value_typeEPSG_NS1_7vsmem_tEENKUlT_SE_SF_SG_E_clIS8_S8_S9_S9_EESD_ST_SE_SF_SG_EUlST_E0_NS1_11comp_targetILNS1_3genE3ELNS1_11target_archE908ELNS1_3gpuE7ELNS1_3repE0EEENS1_38merge_mergepath_config_static_selectorELNS0_4arch9wavefront6targetE0EEEvSF_.num_named_barrier, 0
	.set _ZN7rocprim17ROCPRIM_400000_NS6detail17trampoline_kernelINS0_14default_configENS1_38merge_sort_block_merge_config_selectorIlNS0_10empty_typeEEEZZNS1_27merge_sort_block_merge_implIS3_PlPS5_jNS1_19radix_merge_compareILb1ELb0ElNS0_19identity_decomposerEEEEE10hipError_tT0_T1_T2_jT3_P12ihipStream_tbPNSt15iterator_traitsISE_E10value_typeEPNSK_ISF_E10value_typeEPSG_NS1_7vsmem_tEENKUlT_SE_SF_SG_E_clIS8_S8_S9_S9_EESD_ST_SE_SF_SG_EUlST_E0_NS1_11comp_targetILNS1_3genE3ELNS1_11target_archE908ELNS1_3gpuE7ELNS1_3repE0EEENS1_38merge_mergepath_config_static_selectorELNS0_4arch9wavefront6targetE0EEEvSF_.private_seg_size, 0
	.set _ZN7rocprim17ROCPRIM_400000_NS6detail17trampoline_kernelINS0_14default_configENS1_38merge_sort_block_merge_config_selectorIlNS0_10empty_typeEEEZZNS1_27merge_sort_block_merge_implIS3_PlPS5_jNS1_19radix_merge_compareILb1ELb0ElNS0_19identity_decomposerEEEEE10hipError_tT0_T1_T2_jT3_P12ihipStream_tbPNSt15iterator_traitsISE_E10value_typeEPNSK_ISF_E10value_typeEPSG_NS1_7vsmem_tEENKUlT_SE_SF_SG_E_clIS8_S8_S9_S9_EESD_ST_SE_SF_SG_EUlST_E0_NS1_11comp_targetILNS1_3genE3ELNS1_11target_archE908ELNS1_3gpuE7ELNS1_3repE0EEENS1_38merge_mergepath_config_static_selectorELNS0_4arch9wavefront6targetE0EEEvSF_.uses_vcc, 0
	.set _ZN7rocprim17ROCPRIM_400000_NS6detail17trampoline_kernelINS0_14default_configENS1_38merge_sort_block_merge_config_selectorIlNS0_10empty_typeEEEZZNS1_27merge_sort_block_merge_implIS3_PlPS5_jNS1_19radix_merge_compareILb1ELb0ElNS0_19identity_decomposerEEEEE10hipError_tT0_T1_T2_jT3_P12ihipStream_tbPNSt15iterator_traitsISE_E10value_typeEPNSK_ISF_E10value_typeEPSG_NS1_7vsmem_tEENKUlT_SE_SF_SG_E_clIS8_S8_S9_S9_EESD_ST_SE_SF_SG_EUlST_E0_NS1_11comp_targetILNS1_3genE3ELNS1_11target_archE908ELNS1_3gpuE7ELNS1_3repE0EEENS1_38merge_mergepath_config_static_selectorELNS0_4arch9wavefront6targetE0EEEvSF_.uses_flat_scratch, 0
	.set _ZN7rocprim17ROCPRIM_400000_NS6detail17trampoline_kernelINS0_14default_configENS1_38merge_sort_block_merge_config_selectorIlNS0_10empty_typeEEEZZNS1_27merge_sort_block_merge_implIS3_PlPS5_jNS1_19radix_merge_compareILb1ELb0ElNS0_19identity_decomposerEEEEE10hipError_tT0_T1_T2_jT3_P12ihipStream_tbPNSt15iterator_traitsISE_E10value_typeEPNSK_ISF_E10value_typeEPSG_NS1_7vsmem_tEENKUlT_SE_SF_SG_E_clIS8_S8_S9_S9_EESD_ST_SE_SF_SG_EUlST_E0_NS1_11comp_targetILNS1_3genE3ELNS1_11target_archE908ELNS1_3gpuE7ELNS1_3repE0EEENS1_38merge_mergepath_config_static_selectorELNS0_4arch9wavefront6targetE0EEEvSF_.has_dyn_sized_stack, 0
	.set _ZN7rocprim17ROCPRIM_400000_NS6detail17trampoline_kernelINS0_14default_configENS1_38merge_sort_block_merge_config_selectorIlNS0_10empty_typeEEEZZNS1_27merge_sort_block_merge_implIS3_PlPS5_jNS1_19radix_merge_compareILb1ELb0ElNS0_19identity_decomposerEEEEE10hipError_tT0_T1_T2_jT3_P12ihipStream_tbPNSt15iterator_traitsISE_E10value_typeEPNSK_ISF_E10value_typeEPSG_NS1_7vsmem_tEENKUlT_SE_SF_SG_E_clIS8_S8_S9_S9_EESD_ST_SE_SF_SG_EUlST_E0_NS1_11comp_targetILNS1_3genE3ELNS1_11target_archE908ELNS1_3gpuE7ELNS1_3repE0EEENS1_38merge_mergepath_config_static_selectorELNS0_4arch9wavefront6targetE0EEEvSF_.has_recursion, 0
	.set _ZN7rocprim17ROCPRIM_400000_NS6detail17trampoline_kernelINS0_14default_configENS1_38merge_sort_block_merge_config_selectorIlNS0_10empty_typeEEEZZNS1_27merge_sort_block_merge_implIS3_PlPS5_jNS1_19radix_merge_compareILb1ELb0ElNS0_19identity_decomposerEEEEE10hipError_tT0_T1_T2_jT3_P12ihipStream_tbPNSt15iterator_traitsISE_E10value_typeEPNSK_ISF_E10value_typeEPSG_NS1_7vsmem_tEENKUlT_SE_SF_SG_E_clIS8_S8_S9_S9_EESD_ST_SE_SF_SG_EUlST_E0_NS1_11comp_targetILNS1_3genE3ELNS1_11target_archE908ELNS1_3gpuE7ELNS1_3repE0EEENS1_38merge_mergepath_config_static_selectorELNS0_4arch9wavefront6targetE0EEEvSF_.has_indirect_call, 0
	.section	.AMDGPU.csdata,"",@progbits
; Kernel info:
; codeLenInByte = 0
; TotalNumSgprs: 0
; NumVgprs: 0
; ScratchSize: 0
; MemoryBound: 0
; FloatMode: 240
; IeeeMode: 1
; LDSByteSize: 0 bytes/workgroup (compile time only)
; SGPRBlocks: 0
; VGPRBlocks: 0
; NumSGPRsForWavesPerEU: 1
; NumVGPRsForWavesPerEU: 1
; NamedBarCnt: 0
; Occupancy: 16
; WaveLimiterHint : 0
; COMPUTE_PGM_RSRC2:SCRATCH_EN: 0
; COMPUTE_PGM_RSRC2:USER_SGPR: 2
; COMPUTE_PGM_RSRC2:TRAP_HANDLER: 0
; COMPUTE_PGM_RSRC2:TGID_X_EN: 1
; COMPUTE_PGM_RSRC2:TGID_Y_EN: 0
; COMPUTE_PGM_RSRC2:TGID_Z_EN: 0
; COMPUTE_PGM_RSRC2:TIDIG_COMP_CNT: 0
	.section	.text._ZN7rocprim17ROCPRIM_400000_NS6detail17trampoline_kernelINS0_14default_configENS1_38merge_sort_block_merge_config_selectorIlNS0_10empty_typeEEEZZNS1_27merge_sort_block_merge_implIS3_PlPS5_jNS1_19radix_merge_compareILb1ELb0ElNS0_19identity_decomposerEEEEE10hipError_tT0_T1_T2_jT3_P12ihipStream_tbPNSt15iterator_traitsISE_E10value_typeEPNSK_ISF_E10value_typeEPSG_NS1_7vsmem_tEENKUlT_SE_SF_SG_E_clIS8_S8_S9_S9_EESD_ST_SE_SF_SG_EUlST_E0_NS1_11comp_targetILNS1_3genE2ELNS1_11target_archE906ELNS1_3gpuE6ELNS1_3repE0EEENS1_38merge_mergepath_config_static_selectorELNS0_4arch9wavefront6targetE0EEEvSF_,"axG",@progbits,_ZN7rocprim17ROCPRIM_400000_NS6detail17trampoline_kernelINS0_14default_configENS1_38merge_sort_block_merge_config_selectorIlNS0_10empty_typeEEEZZNS1_27merge_sort_block_merge_implIS3_PlPS5_jNS1_19radix_merge_compareILb1ELb0ElNS0_19identity_decomposerEEEEE10hipError_tT0_T1_T2_jT3_P12ihipStream_tbPNSt15iterator_traitsISE_E10value_typeEPNSK_ISF_E10value_typeEPSG_NS1_7vsmem_tEENKUlT_SE_SF_SG_E_clIS8_S8_S9_S9_EESD_ST_SE_SF_SG_EUlST_E0_NS1_11comp_targetILNS1_3genE2ELNS1_11target_archE906ELNS1_3gpuE6ELNS1_3repE0EEENS1_38merge_mergepath_config_static_selectorELNS0_4arch9wavefront6targetE0EEEvSF_,comdat
	.protected	_ZN7rocprim17ROCPRIM_400000_NS6detail17trampoline_kernelINS0_14default_configENS1_38merge_sort_block_merge_config_selectorIlNS0_10empty_typeEEEZZNS1_27merge_sort_block_merge_implIS3_PlPS5_jNS1_19radix_merge_compareILb1ELb0ElNS0_19identity_decomposerEEEEE10hipError_tT0_T1_T2_jT3_P12ihipStream_tbPNSt15iterator_traitsISE_E10value_typeEPNSK_ISF_E10value_typeEPSG_NS1_7vsmem_tEENKUlT_SE_SF_SG_E_clIS8_S8_S9_S9_EESD_ST_SE_SF_SG_EUlST_E0_NS1_11comp_targetILNS1_3genE2ELNS1_11target_archE906ELNS1_3gpuE6ELNS1_3repE0EEENS1_38merge_mergepath_config_static_selectorELNS0_4arch9wavefront6targetE0EEEvSF_ ; -- Begin function _ZN7rocprim17ROCPRIM_400000_NS6detail17trampoline_kernelINS0_14default_configENS1_38merge_sort_block_merge_config_selectorIlNS0_10empty_typeEEEZZNS1_27merge_sort_block_merge_implIS3_PlPS5_jNS1_19radix_merge_compareILb1ELb0ElNS0_19identity_decomposerEEEEE10hipError_tT0_T1_T2_jT3_P12ihipStream_tbPNSt15iterator_traitsISE_E10value_typeEPNSK_ISF_E10value_typeEPSG_NS1_7vsmem_tEENKUlT_SE_SF_SG_E_clIS8_S8_S9_S9_EESD_ST_SE_SF_SG_EUlST_E0_NS1_11comp_targetILNS1_3genE2ELNS1_11target_archE906ELNS1_3gpuE6ELNS1_3repE0EEENS1_38merge_mergepath_config_static_selectorELNS0_4arch9wavefront6targetE0EEEvSF_
	.globl	_ZN7rocprim17ROCPRIM_400000_NS6detail17trampoline_kernelINS0_14default_configENS1_38merge_sort_block_merge_config_selectorIlNS0_10empty_typeEEEZZNS1_27merge_sort_block_merge_implIS3_PlPS5_jNS1_19radix_merge_compareILb1ELb0ElNS0_19identity_decomposerEEEEE10hipError_tT0_T1_T2_jT3_P12ihipStream_tbPNSt15iterator_traitsISE_E10value_typeEPNSK_ISF_E10value_typeEPSG_NS1_7vsmem_tEENKUlT_SE_SF_SG_E_clIS8_S8_S9_S9_EESD_ST_SE_SF_SG_EUlST_E0_NS1_11comp_targetILNS1_3genE2ELNS1_11target_archE906ELNS1_3gpuE6ELNS1_3repE0EEENS1_38merge_mergepath_config_static_selectorELNS0_4arch9wavefront6targetE0EEEvSF_
	.p2align	8
	.type	_ZN7rocprim17ROCPRIM_400000_NS6detail17trampoline_kernelINS0_14default_configENS1_38merge_sort_block_merge_config_selectorIlNS0_10empty_typeEEEZZNS1_27merge_sort_block_merge_implIS3_PlPS5_jNS1_19radix_merge_compareILb1ELb0ElNS0_19identity_decomposerEEEEE10hipError_tT0_T1_T2_jT3_P12ihipStream_tbPNSt15iterator_traitsISE_E10value_typeEPNSK_ISF_E10value_typeEPSG_NS1_7vsmem_tEENKUlT_SE_SF_SG_E_clIS8_S8_S9_S9_EESD_ST_SE_SF_SG_EUlST_E0_NS1_11comp_targetILNS1_3genE2ELNS1_11target_archE906ELNS1_3gpuE6ELNS1_3repE0EEENS1_38merge_mergepath_config_static_selectorELNS0_4arch9wavefront6targetE0EEEvSF_,@function
_ZN7rocprim17ROCPRIM_400000_NS6detail17trampoline_kernelINS0_14default_configENS1_38merge_sort_block_merge_config_selectorIlNS0_10empty_typeEEEZZNS1_27merge_sort_block_merge_implIS3_PlPS5_jNS1_19radix_merge_compareILb1ELb0ElNS0_19identity_decomposerEEEEE10hipError_tT0_T1_T2_jT3_P12ihipStream_tbPNSt15iterator_traitsISE_E10value_typeEPNSK_ISF_E10value_typeEPSG_NS1_7vsmem_tEENKUlT_SE_SF_SG_E_clIS8_S8_S9_S9_EESD_ST_SE_SF_SG_EUlST_E0_NS1_11comp_targetILNS1_3genE2ELNS1_11target_archE906ELNS1_3gpuE6ELNS1_3repE0EEENS1_38merge_mergepath_config_static_selectorELNS0_4arch9wavefront6targetE0EEEvSF_: ; @_ZN7rocprim17ROCPRIM_400000_NS6detail17trampoline_kernelINS0_14default_configENS1_38merge_sort_block_merge_config_selectorIlNS0_10empty_typeEEEZZNS1_27merge_sort_block_merge_implIS3_PlPS5_jNS1_19radix_merge_compareILb1ELb0ElNS0_19identity_decomposerEEEEE10hipError_tT0_T1_T2_jT3_P12ihipStream_tbPNSt15iterator_traitsISE_E10value_typeEPNSK_ISF_E10value_typeEPSG_NS1_7vsmem_tEENKUlT_SE_SF_SG_E_clIS8_S8_S9_S9_EESD_ST_SE_SF_SG_EUlST_E0_NS1_11comp_targetILNS1_3genE2ELNS1_11target_archE906ELNS1_3gpuE6ELNS1_3repE0EEENS1_38merge_mergepath_config_static_selectorELNS0_4arch9wavefront6targetE0EEEvSF_
; %bb.0:
	.section	.rodata,"a",@progbits
	.p2align	6, 0x0
	.amdhsa_kernel _ZN7rocprim17ROCPRIM_400000_NS6detail17trampoline_kernelINS0_14default_configENS1_38merge_sort_block_merge_config_selectorIlNS0_10empty_typeEEEZZNS1_27merge_sort_block_merge_implIS3_PlPS5_jNS1_19radix_merge_compareILb1ELb0ElNS0_19identity_decomposerEEEEE10hipError_tT0_T1_T2_jT3_P12ihipStream_tbPNSt15iterator_traitsISE_E10value_typeEPNSK_ISF_E10value_typeEPSG_NS1_7vsmem_tEENKUlT_SE_SF_SG_E_clIS8_S8_S9_S9_EESD_ST_SE_SF_SG_EUlST_E0_NS1_11comp_targetILNS1_3genE2ELNS1_11target_archE906ELNS1_3gpuE6ELNS1_3repE0EEENS1_38merge_mergepath_config_static_selectorELNS0_4arch9wavefront6targetE0EEEvSF_
		.amdhsa_group_segment_fixed_size 0
		.amdhsa_private_segment_fixed_size 0
		.amdhsa_kernarg_size 64
		.amdhsa_user_sgpr_count 2
		.amdhsa_user_sgpr_dispatch_ptr 0
		.amdhsa_user_sgpr_queue_ptr 0
		.amdhsa_user_sgpr_kernarg_segment_ptr 1
		.amdhsa_user_sgpr_dispatch_id 0
		.amdhsa_user_sgpr_kernarg_preload_length 0
		.amdhsa_user_sgpr_kernarg_preload_offset 0
		.amdhsa_user_sgpr_private_segment_size 0
		.amdhsa_wavefront_size32 1
		.amdhsa_uses_dynamic_stack 0
		.amdhsa_enable_private_segment 0
		.amdhsa_system_sgpr_workgroup_id_x 1
		.amdhsa_system_sgpr_workgroup_id_y 0
		.amdhsa_system_sgpr_workgroup_id_z 0
		.amdhsa_system_sgpr_workgroup_info 0
		.amdhsa_system_vgpr_workitem_id 0
		.amdhsa_next_free_vgpr 1
		.amdhsa_next_free_sgpr 1
		.amdhsa_named_barrier_count 0
		.amdhsa_reserve_vcc 0
		.amdhsa_float_round_mode_32 0
		.amdhsa_float_round_mode_16_64 0
		.amdhsa_float_denorm_mode_32 3
		.amdhsa_float_denorm_mode_16_64 3
		.amdhsa_fp16_overflow 0
		.amdhsa_memory_ordered 1
		.amdhsa_forward_progress 1
		.amdhsa_inst_pref_size 0
		.amdhsa_round_robin_scheduling 0
		.amdhsa_exception_fp_ieee_invalid_op 0
		.amdhsa_exception_fp_denorm_src 0
		.amdhsa_exception_fp_ieee_div_zero 0
		.amdhsa_exception_fp_ieee_overflow 0
		.amdhsa_exception_fp_ieee_underflow 0
		.amdhsa_exception_fp_ieee_inexact 0
		.amdhsa_exception_int_div_zero 0
	.end_amdhsa_kernel
	.section	.text._ZN7rocprim17ROCPRIM_400000_NS6detail17trampoline_kernelINS0_14default_configENS1_38merge_sort_block_merge_config_selectorIlNS0_10empty_typeEEEZZNS1_27merge_sort_block_merge_implIS3_PlPS5_jNS1_19radix_merge_compareILb1ELb0ElNS0_19identity_decomposerEEEEE10hipError_tT0_T1_T2_jT3_P12ihipStream_tbPNSt15iterator_traitsISE_E10value_typeEPNSK_ISF_E10value_typeEPSG_NS1_7vsmem_tEENKUlT_SE_SF_SG_E_clIS8_S8_S9_S9_EESD_ST_SE_SF_SG_EUlST_E0_NS1_11comp_targetILNS1_3genE2ELNS1_11target_archE906ELNS1_3gpuE6ELNS1_3repE0EEENS1_38merge_mergepath_config_static_selectorELNS0_4arch9wavefront6targetE0EEEvSF_,"axG",@progbits,_ZN7rocprim17ROCPRIM_400000_NS6detail17trampoline_kernelINS0_14default_configENS1_38merge_sort_block_merge_config_selectorIlNS0_10empty_typeEEEZZNS1_27merge_sort_block_merge_implIS3_PlPS5_jNS1_19radix_merge_compareILb1ELb0ElNS0_19identity_decomposerEEEEE10hipError_tT0_T1_T2_jT3_P12ihipStream_tbPNSt15iterator_traitsISE_E10value_typeEPNSK_ISF_E10value_typeEPSG_NS1_7vsmem_tEENKUlT_SE_SF_SG_E_clIS8_S8_S9_S9_EESD_ST_SE_SF_SG_EUlST_E0_NS1_11comp_targetILNS1_3genE2ELNS1_11target_archE906ELNS1_3gpuE6ELNS1_3repE0EEENS1_38merge_mergepath_config_static_selectorELNS0_4arch9wavefront6targetE0EEEvSF_,comdat
.Lfunc_end1027:
	.size	_ZN7rocprim17ROCPRIM_400000_NS6detail17trampoline_kernelINS0_14default_configENS1_38merge_sort_block_merge_config_selectorIlNS0_10empty_typeEEEZZNS1_27merge_sort_block_merge_implIS3_PlPS5_jNS1_19radix_merge_compareILb1ELb0ElNS0_19identity_decomposerEEEEE10hipError_tT0_T1_T2_jT3_P12ihipStream_tbPNSt15iterator_traitsISE_E10value_typeEPNSK_ISF_E10value_typeEPSG_NS1_7vsmem_tEENKUlT_SE_SF_SG_E_clIS8_S8_S9_S9_EESD_ST_SE_SF_SG_EUlST_E0_NS1_11comp_targetILNS1_3genE2ELNS1_11target_archE906ELNS1_3gpuE6ELNS1_3repE0EEENS1_38merge_mergepath_config_static_selectorELNS0_4arch9wavefront6targetE0EEEvSF_, .Lfunc_end1027-_ZN7rocprim17ROCPRIM_400000_NS6detail17trampoline_kernelINS0_14default_configENS1_38merge_sort_block_merge_config_selectorIlNS0_10empty_typeEEEZZNS1_27merge_sort_block_merge_implIS3_PlPS5_jNS1_19radix_merge_compareILb1ELb0ElNS0_19identity_decomposerEEEEE10hipError_tT0_T1_T2_jT3_P12ihipStream_tbPNSt15iterator_traitsISE_E10value_typeEPNSK_ISF_E10value_typeEPSG_NS1_7vsmem_tEENKUlT_SE_SF_SG_E_clIS8_S8_S9_S9_EESD_ST_SE_SF_SG_EUlST_E0_NS1_11comp_targetILNS1_3genE2ELNS1_11target_archE906ELNS1_3gpuE6ELNS1_3repE0EEENS1_38merge_mergepath_config_static_selectorELNS0_4arch9wavefront6targetE0EEEvSF_
                                        ; -- End function
	.set _ZN7rocprim17ROCPRIM_400000_NS6detail17trampoline_kernelINS0_14default_configENS1_38merge_sort_block_merge_config_selectorIlNS0_10empty_typeEEEZZNS1_27merge_sort_block_merge_implIS3_PlPS5_jNS1_19radix_merge_compareILb1ELb0ElNS0_19identity_decomposerEEEEE10hipError_tT0_T1_T2_jT3_P12ihipStream_tbPNSt15iterator_traitsISE_E10value_typeEPNSK_ISF_E10value_typeEPSG_NS1_7vsmem_tEENKUlT_SE_SF_SG_E_clIS8_S8_S9_S9_EESD_ST_SE_SF_SG_EUlST_E0_NS1_11comp_targetILNS1_3genE2ELNS1_11target_archE906ELNS1_3gpuE6ELNS1_3repE0EEENS1_38merge_mergepath_config_static_selectorELNS0_4arch9wavefront6targetE0EEEvSF_.num_vgpr, 0
	.set _ZN7rocprim17ROCPRIM_400000_NS6detail17trampoline_kernelINS0_14default_configENS1_38merge_sort_block_merge_config_selectorIlNS0_10empty_typeEEEZZNS1_27merge_sort_block_merge_implIS3_PlPS5_jNS1_19radix_merge_compareILb1ELb0ElNS0_19identity_decomposerEEEEE10hipError_tT0_T1_T2_jT3_P12ihipStream_tbPNSt15iterator_traitsISE_E10value_typeEPNSK_ISF_E10value_typeEPSG_NS1_7vsmem_tEENKUlT_SE_SF_SG_E_clIS8_S8_S9_S9_EESD_ST_SE_SF_SG_EUlST_E0_NS1_11comp_targetILNS1_3genE2ELNS1_11target_archE906ELNS1_3gpuE6ELNS1_3repE0EEENS1_38merge_mergepath_config_static_selectorELNS0_4arch9wavefront6targetE0EEEvSF_.num_agpr, 0
	.set _ZN7rocprim17ROCPRIM_400000_NS6detail17trampoline_kernelINS0_14default_configENS1_38merge_sort_block_merge_config_selectorIlNS0_10empty_typeEEEZZNS1_27merge_sort_block_merge_implIS3_PlPS5_jNS1_19radix_merge_compareILb1ELb0ElNS0_19identity_decomposerEEEEE10hipError_tT0_T1_T2_jT3_P12ihipStream_tbPNSt15iterator_traitsISE_E10value_typeEPNSK_ISF_E10value_typeEPSG_NS1_7vsmem_tEENKUlT_SE_SF_SG_E_clIS8_S8_S9_S9_EESD_ST_SE_SF_SG_EUlST_E0_NS1_11comp_targetILNS1_3genE2ELNS1_11target_archE906ELNS1_3gpuE6ELNS1_3repE0EEENS1_38merge_mergepath_config_static_selectorELNS0_4arch9wavefront6targetE0EEEvSF_.numbered_sgpr, 0
	.set _ZN7rocprim17ROCPRIM_400000_NS6detail17trampoline_kernelINS0_14default_configENS1_38merge_sort_block_merge_config_selectorIlNS0_10empty_typeEEEZZNS1_27merge_sort_block_merge_implIS3_PlPS5_jNS1_19radix_merge_compareILb1ELb0ElNS0_19identity_decomposerEEEEE10hipError_tT0_T1_T2_jT3_P12ihipStream_tbPNSt15iterator_traitsISE_E10value_typeEPNSK_ISF_E10value_typeEPSG_NS1_7vsmem_tEENKUlT_SE_SF_SG_E_clIS8_S8_S9_S9_EESD_ST_SE_SF_SG_EUlST_E0_NS1_11comp_targetILNS1_3genE2ELNS1_11target_archE906ELNS1_3gpuE6ELNS1_3repE0EEENS1_38merge_mergepath_config_static_selectorELNS0_4arch9wavefront6targetE0EEEvSF_.num_named_barrier, 0
	.set _ZN7rocprim17ROCPRIM_400000_NS6detail17trampoline_kernelINS0_14default_configENS1_38merge_sort_block_merge_config_selectorIlNS0_10empty_typeEEEZZNS1_27merge_sort_block_merge_implIS3_PlPS5_jNS1_19radix_merge_compareILb1ELb0ElNS0_19identity_decomposerEEEEE10hipError_tT0_T1_T2_jT3_P12ihipStream_tbPNSt15iterator_traitsISE_E10value_typeEPNSK_ISF_E10value_typeEPSG_NS1_7vsmem_tEENKUlT_SE_SF_SG_E_clIS8_S8_S9_S9_EESD_ST_SE_SF_SG_EUlST_E0_NS1_11comp_targetILNS1_3genE2ELNS1_11target_archE906ELNS1_3gpuE6ELNS1_3repE0EEENS1_38merge_mergepath_config_static_selectorELNS0_4arch9wavefront6targetE0EEEvSF_.private_seg_size, 0
	.set _ZN7rocprim17ROCPRIM_400000_NS6detail17trampoline_kernelINS0_14default_configENS1_38merge_sort_block_merge_config_selectorIlNS0_10empty_typeEEEZZNS1_27merge_sort_block_merge_implIS3_PlPS5_jNS1_19radix_merge_compareILb1ELb0ElNS0_19identity_decomposerEEEEE10hipError_tT0_T1_T2_jT3_P12ihipStream_tbPNSt15iterator_traitsISE_E10value_typeEPNSK_ISF_E10value_typeEPSG_NS1_7vsmem_tEENKUlT_SE_SF_SG_E_clIS8_S8_S9_S9_EESD_ST_SE_SF_SG_EUlST_E0_NS1_11comp_targetILNS1_3genE2ELNS1_11target_archE906ELNS1_3gpuE6ELNS1_3repE0EEENS1_38merge_mergepath_config_static_selectorELNS0_4arch9wavefront6targetE0EEEvSF_.uses_vcc, 0
	.set _ZN7rocprim17ROCPRIM_400000_NS6detail17trampoline_kernelINS0_14default_configENS1_38merge_sort_block_merge_config_selectorIlNS0_10empty_typeEEEZZNS1_27merge_sort_block_merge_implIS3_PlPS5_jNS1_19radix_merge_compareILb1ELb0ElNS0_19identity_decomposerEEEEE10hipError_tT0_T1_T2_jT3_P12ihipStream_tbPNSt15iterator_traitsISE_E10value_typeEPNSK_ISF_E10value_typeEPSG_NS1_7vsmem_tEENKUlT_SE_SF_SG_E_clIS8_S8_S9_S9_EESD_ST_SE_SF_SG_EUlST_E0_NS1_11comp_targetILNS1_3genE2ELNS1_11target_archE906ELNS1_3gpuE6ELNS1_3repE0EEENS1_38merge_mergepath_config_static_selectorELNS0_4arch9wavefront6targetE0EEEvSF_.uses_flat_scratch, 0
	.set _ZN7rocprim17ROCPRIM_400000_NS6detail17trampoline_kernelINS0_14default_configENS1_38merge_sort_block_merge_config_selectorIlNS0_10empty_typeEEEZZNS1_27merge_sort_block_merge_implIS3_PlPS5_jNS1_19radix_merge_compareILb1ELb0ElNS0_19identity_decomposerEEEEE10hipError_tT0_T1_T2_jT3_P12ihipStream_tbPNSt15iterator_traitsISE_E10value_typeEPNSK_ISF_E10value_typeEPSG_NS1_7vsmem_tEENKUlT_SE_SF_SG_E_clIS8_S8_S9_S9_EESD_ST_SE_SF_SG_EUlST_E0_NS1_11comp_targetILNS1_3genE2ELNS1_11target_archE906ELNS1_3gpuE6ELNS1_3repE0EEENS1_38merge_mergepath_config_static_selectorELNS0_4arch9wavefront6targetE0EEEvSF_.has_dyn_sized_stack, 0
	.set _ZN7rocprim17ROCPRIM_400000_NS6detail17trampoline_kernelINS0_14default_configENS1_38merge_sort_block_merge_config_selectorIlNS0_10empty_typeEEEZZNS1_27merge_sort_block_merge_implIS3_PlPS5_jNS1_19radix_merge_compareILb1ELb0ElNS0_19identity_decomposerEEEEE10hipError_tT0_T1_T2_jT3_P12ihipStream_tbPNSt15iterator_traitsISE_E10value_typeEPNSK_ISF_E10value_typeEPSG_NS1_7vsmem_tEENKUlT_SE_SF_SG_E_clIS8_S8_S9_S9_EESD_ST_SE_SF_SG_EUlST_E0_NS1_11comp_targetILNS1_3genE2ELNS1_11target_archE906ELNS1_3gpuE6ELNS1_3repE0EEENS1_38merge_mergepath_config_static_selectorELNS0_4arch9wavefront6targetE0EEEvSF_.has_recursion, 0
	.set _ZN7rocprim17ROCPRIM_400000_NS6detail17trampoline_kernelINS0_14default_configENS1_38merge_sort_block_merge_config_selectorIlNS0_10empty_typeEEEZZNS1_27merge_sort_block_merge_implIS3_PlPS5_jNS1_19radix_merge_compareILb1ELb0ElNS0_19identity_decomposerEEEEE10hipError_tT0_T1_T2_jT3_P12ihipStream_tbPNSt15iterator_traitsISE_E10value_typeEPNSK_ISF_E10value_typeEPSG_NS1_7vsmem_tEENKUlT_SE_SF_SG_E_clIS8_S8_S9_S9_EESD_ST_SE_SF_SG_EUlST_E0_NS1_11comp_targetILNS1_3genE2ELNS1_11target_archE906ELNS1_3gpuE6ELNS1_3repE0EEENS1_38merge_mergepath_config_static_selectorELNS0_4arch9wavefront6targetE0EEEvSF_.has_indirect_call, 0
	.section	.AMDGPU.csdata,"",@progbits
; Kernel info:
; codeLenInByte = 0
; TotalNumSgprs: 0
; NumVgprs: 0
; ScratchSize: 0
; MemoryBound: 0
; FloatMode: 240
; IeeeMode: 1
; LDSByteSize: 0 bytes/workgroup (compile time only)
; SGPRBlocks: 0
; VGPRBlocks: 0
; NumSGPRsForWavesPerEU: 1
; NumVGPRsForWavesPerEU: 1
; NamedBarCnt: 0
; Occupancy: 16
; WaveLimiterHint : 0
; COMPUTE_PGM_RSRC2:SCRATCH_EN: 0
; COMPUTE_PGM_RSRC2:USER_SGPR: 2
; COMPUTE_PGM_RSRC2:TRAP_HANDLER: 0
; COMPUTE_PGM_RSRC2:TGID_X_EN: 1
; COMPUTE_PGM_RSRC2:TGID_Y_EN: 0
; COMPUTE_PGM_RSRC2:TGID_Z_EN: 0
; COMPUTE_PGM_RSRC2:TIDIG_COMP_CNT: 0
	.section	.text._ZN7rocprim17ROCPRIM_400000_NS6detail17trampoline_kernelINS0_14default_configENS1_38merge_sort_block_merge_config_selectorIlNS0_10empty_typeEEEZZNS1_27merge_sort_block_merge_implIS3_PlPS5_jNS1_19radix_merge_compareILb1ELb0ElNS0_19identity_decomposerEEEEE10hipError_tT0_T1_T2_jT3_P12ihipStream_tbPNSt15iterator_traitsISE_E10value_typeEPNSK_ISF_E10value_typeEPSG_NS1_7vsmem_tEENKUlT_SE_SF_SG_E_clIS8_S8_S9_S9_EESD_ST_SE_SF_SG_EUlST_E0_NS1_11comp_targetILNS1_3genE9ELNS1_11target_archE1100ELNS1_3gpuE3ELNS1_3repE0EEENS1_38merge_mergepath_config_static_selectorELNS0_4arch9wavefront6targetE0EEEvSF_,"axG",@progbits,_ZN7rocprim17ROCPRIM_400000_NS6detail17trampoline_kernelINS0_14default_configENS1_38merge_sort_block_merge_config_selectorIlNS0_10empty_typeEEEZZNS1_27merge_sort_block_merge_implIS3_PlPS5_jNS1_19radix_merge_compareILb1ELb0ElNS0_19identity_decomposerEEEEE10hipError_tT0_T1_T2_jT3_P12ihipStream_tbPNSt15iterator_traitsISE_E10value_typeEPNSK_ISF_E10value_typeEPSG_NS1_7vsmem_tEENKUlT_SE_SF_SG_E_clIS8_S8_S9_S9_EESD_ST_SE_SF_SG_EUlST_E0_NS1_11comp_targetILNS1_3genE9ELNS1_11target_archE1100ELNS1_3gpuE3ELNS1_3repE0EEENS1_38merge_mergepath_config_static_selectorELNS0_4arch9wavefront6targetE0EEEvSF_,comdat
	.protected	_ZN7rocprim17ROCPRIM_400000_NS6detail17trampoline_kernelINS0_14default_configENS1_38merge_sort_block_merge_config_selectorIlNS0_10empty_typeEEEZZNS1_27merge_sort_block_merge_implIS3_PlPS5_jNS1_19radix_merge_compareILb1ELb0ElNS0_19identity_decomposerEEEEE10hipError_tT0_T1_T2_jT3_P12ihipStream_tbPNSt15iterator_traitsISE_E10value_typeEPNSK_ISF_E10value_typeEPSG_NS1_7vsmem_tEENKUlT_SE_SF_SG_E_clIS8_S8_S9_S9_EESD_ST_SE_SF_SG_EUlST_E0_NS1_11comp_targetILNS1_3genE9ELNS1_11target_archE1100ELNS1_3gpuE3ELNS1_3repE0EEENS1_38merge_mergepath_config_static_selectorELNS0_4arch9wavefront6targetE0EEEvSF_ ; -- Begin function _ZN7rocprim17ROCPRIM_400000_NS6detail17trampoline_kernelINS0_14default_configENS1_38merge_sort_block_merge_config_selectorIlNS0_10empty_typeEEEZZNS1_27merge_sort_block_merge_implIS3_PlPS5_jNS1_19radix_merge_compareILb1ELb0ElNS0_19identity_decomposerEEEEE10hipError_tT0_T1_T2_jT3_P12ihipStream_tbPNSt15iterator_traitsISE_E10value_typeEPNSK_ISF_E10value_typeEPSG_NS1_7vsmem_tEENKUlT_SE_SF_SG_E_clIS8_S8_S9_S9_EESD_ST_SE_SF_SG_EUlST_E0_NS1_11comp_targetILNS1_3genE9ELNS1_11target_archE1100ELNS1_3gpuE3ELNS1_3repE0EEENS1_38merge_mergepath_config_static_selectorELNS0_4arch9wavefront6targetE0EEEvSF_
	.globl	_ZN7rocprim17ROCPRIM_400000_NS6detail17trampoline_kernelINS0_14default_configENS1_38merge_sort_block_merge_config_selectorIlNS0_10empty_typeEEEZZNS1_27merge_sort_block_merge_implIS3_PlPS5_jNS1_19radix_merge_compareILb1ELb0ElNS0_19identity_decomposerEEEEE10hipError_tT0_T1_T2_jT3_P12ihipStream_tbPNSt15iterator_traitsISE_E10value_typeEPNSK_ISF_E10value_typeEPSG_NS1_7vsmem_tEENKUlT_SE_SF_SG_E_clIS8_S8_S9_S9_EESD_ST_SE_SF_SG_EUlST_E0_NS1_11comp_targetILNS1_3genE9ELNS1_11target_archE1100ELNS1_3gpuE3ELNS1_3repE0EEENS1_38merge_mergepath_config_static_selectorELNS0_4arch9wavefront6targetE0EEEvSF_
	.p2align	8
	.type	_ZN7rocprim17ROCPRIM_400000_NS6detail17trampoline_kernelINS0_14default_configENS1_38merge_sort_block_merge_config_selectorIlNS0_10empty_typeEEEZZNS1_27merge_sort_block_merge_implIS3_PlPS5_jNS1_19radix_merge_compareILb1ELb0ElNS0_19identity_decomposerEEEEE10hipError_tT0_T1_T2_jT3_P12ihipStream_tbPNSt15iterator_traitsISE_E10value_typeEPNSK_ISF_E10value_typeEPSG_NS1_7vsmem_tEENKUlT_SE_SF_SG_E_clIS8_S8_S9_S9_EESD_ST_SE_SF_SG_EUlST_E0_NS1_11comp_targetILNS1_3genE9ELNS1_11target_archE1100ELNS1_3gpuE3ELNS1_3repE0EEENS1_38merge_mergepath_config_static_selectorELNS0_4arch9wavefront6targetE0EEEvSF_,@function
_ZN7rocprim17ROCPRIM_400000_NS6detail17trampoline_kernelINS0_14default_configENS1_38merge_sort_block_merge_config_selectorIlNS0_10empty_typeEEEZZNS1_27merge_sort_block_merge_implIS3_PlPS5_jNS1_19radix_merge_compareILb1ELb0ElNS0_19identity_decomposerEEEEE10hipError_tT0_T1_T2_jT3_P12ihipStream_tbPNSt15iterator_traitsISE_E10value_typeEPNSK_ISF_E10value_typeEPSG_NS1_7vsmem_tEENKUlT_SE_SF_SG_E_clIS8_S8_S9_S9_EESD_ST_SE_SF_SG_EUlST_E0_NS1_11comp_targetILNS1_3genE9ELNS1_11target_archE1100ELNS1_3gpuE3ELNS1_3repE0EEENS1_38merge_mergepath_config_static_selectorELNS0_4arch9wavefront6targetE0EEEvSF_: ; @_ZN7rocprim17ROCPRIM_400000_NS6detail17trampoline_kernelINS0_14default_configENS1_38merge_sort_block_merge_config_selectorIlNS0_10empty_typeEEEZZNS1_27merge_sort_block_merge_implIS3_PlPS5_jNS1_19radix_merge_compareILb1ELb0ElNS0_19identity_decomposerEEEEE10hipError_tT0_T1_T2_jT3_P12ihipStream_tbPNSt15iterator_traitsISE_E10value_typeEPNSK_ISF_E10value_typeEPSG_NS1_7vsmem_tEENKUlT_SE_SF_SG_E_clIS8_S8_S9_S9_EESD_ST_SE_SF_SG_EUlST_E0_NS1_11comp_targetILNS1_3genE9ELNS1_11target_archE1100ELNS1_3gpuE3ELNS1_3repE0EEENS1_38merge_mergepath_config_static_selectorELNS0_4arch9wavefront6targetE0EEEvSF_
; %bb.0:
	.section	.rodata,"a",@progbits
	.p2align	6, 0x0
	.amdhsa_kernel _ZN7rocprim17ROCPRIM_400000_NS6detail17trampoline_kernelINS0_14default_configENS1_38merge_sort_block_merge_config_selectorIlNS0_10empty_typeEEEZZNS1_27merge_sort_block_merge_implIS3_PlPS5_jNS1_19radix_merge_compareILb1ELb0ElNS0_19identity_decomposerEEEEE10hipError_tT0_T1_T2_jT3_P12ihipStream_tbPNSt15iterator_traitsISE_E10value_typeEPNSK_ISF_E10value_typeEPSG_NS1_7vsmem_tEENKUlT_SE_SF_SG_E_clIS8_S8_S9_S9_EESD_ST_SE_SF_SG_EUlST_E0_NS1_11comp_targetILNS1_3genE9ELNS1_11target_archE1100ELNS1_3gpuE3ELNS1_3repE0EEENS1_38merge_mergepath_config_static_selectorELNS0_4arch9wavefront6targetE0EEEvSF_
		.amdhsa_group_segment_fixed_size 0
		.amdhsa_private_segment_fixed_size 0
		.amdhsa_kernarg_size 64
		.amdhsa_user_sgpr_count 2
		.amdhsa_user_sgpr_dispatch_ptr 0
		.amdhsa_user_sgpr_queue_ptr 0
		.amdhsa_user_sgpr_kernarg_segment_ptr 1
		.amdhsa_user_sgpr_dispatch_id 0
		.amdhsa_user_sgpr_kernarg_preload_length 0
		.amdhsa_user_sgpr_kernarg_preload_offset 0
		.amdhsa_user_sgpr_private_segment_size 0
		.amdhsa_wavefront_size32 1
		.amdhsa_uses_dynamic_stack 0
		.amdhsa_enable_private_segment 0
		.amdhsa_system_sgpr_workgroup_id_x 1
		.amdhsa_system_sgpr_workgroup_id_y 0
		.amdhsa_system_sgpr_workgroup_id_z 0
		.amdhsa_system_sgpr_workgroup_info 0
		.amdhsa_system_vgpr_workitem_id 0
		.amdhsa_next_free_vgpr 1
		.amdhsa_next_free_sgpr 1
		.amdhsa_named_barrier_count 0
		.amdhsa_reserve_vcc 0
		.amdhsa_float_round_mode_32 0
		.amdhsa_float_round_mode_16_64 0
		.amdhsa_float_denorm_mode_32 3
		.amdhsa_float_denorm_mode_16_64 3
		.amdhsa_fp16_overflow 0
		.amdhsa_memory_ordered 1
		.amdhsa_forward_progress 1
		.amdhsa_inst_pref_size 0
		.amdhsa_round_robin_scheduling 0
		.amdhsa_exception_fp_ieee_invalid_op 0
		.amdhsa_exception_fp_denorm_src 0
		.amdhsa_exception_fp_ieee_div_zero 0
		.amdhsa_exception_fp_ieee_overflow 0
		.amdhsa_exception_fp_ieee_underflow 0
		.amdhsa_exception_fp_ieee_inexact 0
		.amdhsa_exception_int_div_zero 0
	.end_amdhsa_kernel
	.section	.text._ZN7rocprim17ROCPRIM_400000_NS6detail17trampoline_kernelINS0_14default_configENS1_38merge_sort_block_merge_config_selectorIlNS0_10empty_typeEEEZZNS1_27merge_sort_block_merge_implIS3_PlPS5_jNS1_19radix_merge_compareILb1ELb0ElNS0_19identity_decomposerEEEEE10hipError_tT0_T1_T2_jT3_P12ihipStream_tbPNSt15iterator_traitsISE_E10value_typeEPNSK_ISF_E10value_typeEPSG_NS1_7vsmem_tEENKUlT_SE_SF_SG_E_clIS8_S8_S9_S9_EESD_ST_SE_SF_SG_EUlST_E0_NS1_11comp_targetILNS1_3genE9ELNS1_11target_archE1100ELNS1_3gpuE3ELNS1_3repE0EEENS1_38merge_mergepath_config_static_selectorELNS0_4arch9wavefront6targetE0EEEvSF_,"axG",@progbits,_ZN7rocprim17ROCPRIM_400000_NS6detail17trampoline_kernelINS0_14default_configENS1_38merge_sort_block_merge_config_selectorIlNS0_10empty_typeEEEZZNS1_27merge_sort_block_merge_implIS3_PlPS5_jNS1_19radix_merge_compareILb1ELb0ElNS0_19identity_decomposerEEEEE10hipError_tT0_T1_T2_jT3_P12ihipStream_tbPNSt15iterator_traitsISE_E10value_typeEPNSK_ISF_E10value_typeEPSG_NS1_7vsmem_tEENKUlT_SE_SF_SG_E_clIS8_S8_S9_S9_EESD_ST_SE_SF_SG_EUlST_E0_NS1_11comp_targetILNS1_3genE9ELNS1_11target_archE1100ELNS1_3gpuE3ELNS1_3repE0EEENS1_38merge_mergepath_config_static_selectorELNS0_4arch9wavefront6targetE0EEEvSF_,comdat
.Lfunc_end1028:
	.size	_ZN7rocprim17ROCPRIM_400000_NS6detail17trampoline_kernelINS0_14default_configENS1_38merge_sort_block_merge_config_selectorIlNS0_10empty_typeEEEZZNS1_27merge_sort_block_merge_implIS3_PlPS5_jNS1_19radix_merge_compareILb1ELb0ElNS0_19identity_decomposerEEEEE10hipError_tT0_T1_T2_jT3_P12ihipStream_tbPNSt15iterator_traitsISE_E10value_typeEPNSK_ISF_E10value_typeEPSG_NS1_7vsmem_tEENKUlT_SE_SF_SG_E_clIS8_S8_S9_S9_EESD_ST_SE_SF_SG_EUlST_E0_NS1_11comp_targetILNS1_3genE9ELNS1_11target_archE1100ELNS1_3gpuE3ELNS1_3repE0EEENS1_38merge_mergepath_config_static_selectorELNS0_4arch9wavefront6targetE0EEEvSF_, .Lfunc_end1028-_ZN7rocprim17ROCPRIM_400000_NS6detail17trampoline_kernelINS0_14default_configENS1_38merge_sort_block_merge_config_selectorIlNS0_10empty_typeEEEZZNS1_27merge_sort_block_merge_implIS3_PlPS5_jNS1_19radix_merge_compareILb1ELb0ElNS0_19identity_decomposerEEEEE10hipError_tT0_T1_T2_jT3_P12ihipStream_tbPNSt15iterator_traitsISE_E10value_typeEPNSK_ISF_E10value_typeEPSG_NS1_7vsmem_tEENKUlT_SE_SF_SG_E_clIS8_S8_S9_S9_EESD_ST_SE_SF_SG_EUlST_E0_NS1_11comp_targetILNS1_3genE9ELNS1_11target_archE1100ELNS1_3gpuE3ELNS1_3repE0EEENS1_38merge_mergepath_config_static_selectorELNS0_4arch9wavefront6targetE0EEEvSF_
                                        ; -- End function
	.set _ZN7rocprim17ROCPRIM_400000_NS6detail17trampoline_kernelINS0_14default_configENS1_38merge_sort_block_merge_config_selectorIlNS0_10empty_typeEEEZZNS1_27merge_sort_block_merge_implIS3_PlPS5_jNS1_19radix_merge_compareILb1ELb0ElNS0_19identity_decomposerEEEEE10hipError_tT0_T1_T2_jT3_P12ihipStream_tbPNSt15iterator_traitsISE_E10value_typeEPNSK_ISF_E10value_typeEPSG_NS1_7vsmem_tEENKUlT_SE_SF_SG_E_clIS8_S8_S9_S9_EESD_ST_SE_SF_SG_EUlST_E0_NS1_11comp_targetILNS1_3genE9ELNS1_11target_archE1100ELNS1_3gpuE3ELNS1_3repE0EEENS1_38merge_mergepath_config_static_selectorELNS0_4arch9wavefront6targetE0EEEvSF_.num_vgpr, 0
	.set _ZN7rocprim17ROCPRIM_400000_NS6detail17trampoline_kernelINS0_14default_configENS1_38merge_sort_block_merge_config_selectorIlNS0_10empty_typeEEEZZNS1_27merge_sort_block_merge_implIS3_PlPS5_jNS1_19radix_merge_compareILb1ELb0ElNS0_19identity_decomposerEEEEE10hipError_tT0_T1_T2_jT3_P12ihipStream_tbPNSt15iterator_traitsISE_E10value_typeEPNSK_ISF_E10value_typeEPSG_NS1_7vsmem_tEENKUlT_SE_SF_SG_E_clIS8_S8_S9_S9_EESD_ST_SE_SF_SG_EUlST_E0_NS1_11comp_targetILNS1_3genE9ELNS1_11target_archE1100ELNS1_3gpuE3ELNS1_3repE0EEENS1_38merge_mergepath_config_static_selectorELNS0_4arch9wavefront6targetE0EEEvSF_.num_agpr, 0
	.set _ZN7rocprim17ROCPRIM_400000_NS6detail17trampoline_kernelINS0_14default_configENS1_38merge_sort_block_merge_config_selectorIlNS0_10empty_typeEEEZZNS1_27merge_sort_block_merge_implIS3_PlPS5_jNS1_19radix_merge_compareILb1ELb0ElNS0_19identity_decomposerEEEEE10hipError_tT0_T1_T2_jT3_P12ihipStream_tbPNSt15iterator_traitsISE_E10value_typeEPNSK_ISF_E10value_typeEPSG_NS1_7vsmem_tEENKUlT_SE_SF_SG_E_clIS8_S8_S9_S9_EESD_ST_SE_SF_SG_EUlST_E0_NS1_11comp_targetILNS1_3genE9ELNS1_11target_archE1100ELNS1_3gpuE3ELNS1_3repE0EEENS1_38merge_mergepath_config_static_selectorELNS0_4arch9wavefront6targetE0EEEvSF_.numbered_sgpr, 0
	.set _ZN7rocprim17ROCPRIM_400000_NS6detail17trampoline_kernelINS0_14default_configENS1_38merge_sort_block_merge_config_selectorIlNS0_10empty_typeEEEZZNS1_27merge_sort_block_merge_implIS3_PlPS5_jNS1_19radix_merge_compareILb1ELb0ElNS0_19identity_decomposerEEEEE10hipError_tT0_T1_T2_jT3_P12ihipStream_tbPNSt15iterator_traitsISE_E10value_typeEPNSK_ISF_E10value_typeEPSG_NS1_7vsmem_tEENKUlT_SE_SF_SG_E_clIS8_S8_S9_S9_EESD_ST_SE_SF_SG_EUlST_E0_NS1_11comp_targetILNS1_3genE9ELNS1_11target_archE1100ELNS1_3gpuE3ELNS1_3repE0EEENS1_38merge_mergepath_config_static_selectorELNS0_4arch9wavefront6targetE0EEEvSF_.num_named_barrier, 0
	.set _ZN7rocprim17ROCPRIM_400000_NS6detail17trampoline_kernelINS0_14default_configENS1_38merge_sort_block_merge_config_selectorIlNS0_10empty_typeEEEZZNS1_27merge_sort_block_merge_implIS3_PlPS5_jNS1_19radix_merge_compareILb1ELb0ElNS0_19identity_decomposerEEEEE10hipError_tT0_T1_T2_jT3_P12ihipStream_tbPNSt15iterator_traitsISE_E10value_typeEPNSK_ISF_E10value_typeEPSG_NS1_7vsmem_tEENKUlT_SE_SF_SG_E_clIS8_S8_S9_S9_EESD_ST_SE_SF_SG_EUlST_E0_NS1_11comp_targetILNS1_3genE9ELNS1_11target_archE1100ELNS1_3gpuE3ELNS1_3repE0EEENS1_38merge_mergepath_config_static_selectorELNS0_4arch9wavefront6targetE0EEEvSF_.private_seg_size, 0
	.set _ZN7rocprim17ROCPRIM_400000_NS6detail17trampoline_kernelINS0_14default_configENS1_38merge_sort_block_merge_config_selectorIlNS0_10empty_typeEEEZZNS1_27merge_sort_block_merge_implIS3_PlPS5_jNS1_19radix_merge_compareILb1ELb0ElNS0_19identity_decomposerEEEEE10hipError_tT0_T1_T2_jT3_P12ihipStream_tbPNSt15iterator_traitsISE_E10value_typeEPNSK_ISF_E10value_typeEPSG_NS1_7vsmem_tEENKUlT_SE_SF_SG_E_clIS8_S8_S9_S9_EESD_ST_SE_SF_SG_EUlST_E0_NS1_11comp_targetILNS1_3genE9ELNS1_11target_archE1100ELNS1_3gpuE3ELNS1_3repE0EEENS1_38merge_mergepath_config_static_selectorELNS0_4arch9wavefront6targetE0EEEvSF_.uses_vcc, 0
	.set _ZN7rocprim17ROCPRIM_400000_NS6detail17trampoline_kernelINS0_14default_configENS1_38merge_sort_block_merge_config_selectorIlNS0_10empty_typeEEEZZNS1_27merge_sort_block_merge_implIS3_PlPS5_jNS1_19radix_merge_compareILb1ELb0ElNS0_19identity_decomposerEEEEE10hipError_tT0_T1_T2_jT3_P12ihipStream_tbPNSt15iterator_traitsISE_E10value_typeEPNSK_ISF_E10value_typeEPSG_NS1_7vsmem_tEENKUlT_SE_SF_SG_E_clIS8_S8_S9_S9_EESD_ST_SE_SF_SG_EUlST_E0_NS1_11comp_targetILNS1_3genE9ELNS1_11target_archE1100ELNS1_3gpuE3ELNS1_3repE0EEENS1_38merge_mergepath_config_static_selectorELNS0_4arch9wavefront6targetE0EEEvSF_.uses_flat_scratch, 0
	.set _ZN7rocprim17ROCPRIM_400000_NS6detail17trampoline_kernelINS0_14default_configENS1_38merge_sort_block_merge_config_selectorIlNS0_10empty_typeEEEZZNS1_27merge_sort_block_merge_implIS3_PlPS5_jNS1_19radix_merge_compareILb1ELb0ElNS0_19identity_decomposerEEEEE10hipError_tT0_T1_T2_jT3_P12ihipStream_tbPNSt15iterator_traitsISE_E10value_typeEPNSK_ISF_E10value_typeEPSG_NS1_7vsmem_tEENKUlT_SE_SF_SG_E_clIS8_S8_S9_S9_EESD_ST_SE_SF_SG_EUlST_E0_NS1_11comp_targetILNS1_3genE9ELNS1_11target_archE1100ELNS1_3gpuE3ELNS1_3repE0EEENS1_38merge_mergepath_config_static_selectorELNS0_4arch9wavefront6targetE0EEEvSF_.has_dyn_sized_stack, 0
	.set _ZN7rocprim17ROCPRIM_400000_NS6detail17trampoline_kernelINS0_14default_configENS1_38merge_sort_block_merge_config_selectorIlNS0_10empty_typeEEEZZNS1_27merge_sort_block_merge_implIS3_PlPS5_jNS1_19radix_merge_compareILb1ELb0ElNS0_19identity_decomposerEEEEE10hipError_tT0_T1_T2_jT3_P12ihipStream_tbPNSt15iterator_traitsISE_E10value_typeEPNSK_ISF_E10value_typeEPSG_NS1_7vsmem_tEENKUlT_SE_SF_SG_E_clIS8_S8_S9_S9_EESD_ST_SE_SF_SG_EUlST_E0_NS1_11comp_targetILNS1_3genE9ELNS1_11target_archE1100ELNS1_3gpuE3ELNS1_3repE0EEENS1_38merge_mergepath_config_static_selectorELNS0_4arch9wavefront6targetE0EEEvSF_.has_recursion, 0
	.set _ZN7rocprim17ROCPRIM_400000_NS6detail17trampoline_kernelINS0_14default_configENS1_38merge_sort_block_merge_config_selectorIlNS0_10empty_typeEEEZZNS1_27merge_sort_block_merge_implIS3_PlPS5_jNS1_19radix_merge_compareILb1ELb0ElNS0_19identity_decomposerEEEEE10hipError_tT0_T1_T2_jT3_P12ihipStream_tbPNSt15iterator_traitsISE_E10value_typeEPNSK_ISF_E10value_typeEPSG_NS1_7vsmem_tEENKUlT_SE_SF_SG_E_clIS8_S8_S9_S9_EESD_ST_SE_SF_SG_EUlST_E0_NS1_11comp_targetILNS1_3genE9ELNS1_11target_archE1100ELNS1_3gpuE3ELNS1_3repE0EEENS1_38merge_mergepath_config_static_selectorELNS0_4arch9wavefront6targetE0EEEvSF_.has_indirect_call, 0
	.section	.AMDGPU.csdata,"",@progbits
; Kernel info:
; codeLenInByte = 0
; TotalNumSgprs: 0
; NumVgprs: 0
; ScratchSize: 0
; MemoryBound: 0
; FloatMode: 240
; IeeeMode: 1
; LDSByteSize: 0 bytes/workgroup (compile time only)
; SGPRBlocks: 0
; VGPRBlocks: 0
; NumSGPRsForWavesPerEU: 1
; NumVGPRsForWavesPerEU: 1
; NamedBarCnt: 0
; Occupancy: 16
; WaveLimiterHint : 0
; COMPUTE_PGM_RSRC2:SCRATCH_EN: 0
; COMPUTE_PGM_RSRC2:USER_SGPR: 2
; COMPUTE_PGM_RSRC2:TRAP_HANDLER: 0
; COMPUTE_PGM_RSRC2:TGID_X_EN: 1
; COMPUTE_PGM_RSRC2:TGID_Y_EN: 0
; COMPUTE_PGM_RSRC2:TGID_Z_EN: 0
; COMPUTE_PGM_RSRC2:TIDIG_COMP_CNT: 0
	.section	.text._ZN7rocprim17ROCPRIM_400000_NS6detail17trampoline_kernelINS0_14default_configENS1_38merge_sort_block_merge_config_selectorIlNS0_10empty_typeEEEZZNS1_27merge_sort_block_merge_implIS3_PlPS5_jNS1_19radix_merge_compareILb1ELb0ElNS0_19identity_decomposerEEEEE10hipError_tT0_T1_T2_jT3_P12ihipStream_tbPNSt15iterator_traitsISE_E10value_typeEPNSK_ISF_E10value_typeEPSG_NS1_7vsmem_tEENKUlT_SE_SF_SG_E_clIS8_S8_S9_S9_EESD_ST_SE_SF_SG_EUlST_E0_NS1_11comp_targetILNS1_3genE8ELNS1_11target_archE1030ELNS1_3gpuE2ELNS1_3repE0EEENS1_38merge_mergepath_config_static_selectorELNS0_4arch9wavefront6targetE0EEEvSF_,"axG",@progbits,_ZN7rocprim17ROCPRIM_400000_NS6detail17trampoline_kernelINS0_14default_configENS1_38merge_sort_block_merge_config_selectorIlNS0_10empty_typeEEEZZNS1_27merge_sort_block_merge_implIS3_PlPS5_jNS1_19radix_merge_compareILb1ELb0ElNS0_19identity_decomposerEEEEE10hipError_tT0_T1_T2_jT3_P12ihipStream_tbPNSt15iterator_traitsISE_E10value_typeEPNSK_ISF_E10value_typeEPSG_NS1_7vsmem_tEENKUlT_SE_SF_SG_E_clIS8_S8_S9_S9_EESD_ST_SE_SF_SG_EUlST_E0_NS1_11comp_targetILNS1_3genE8ELNS1_11target_archE1030ELNS1_3gpuE2ELNS1_3repE0EEENS1_38merge_mergepath_config_static_selectorELNS0_4arch9wavefront6targetE0EEEvSF_,comdat
	.protected	_ZN7rocprim17ROCPRIM_400000_NS6detail17trampoline_kernelINS0_14default_configENS1_38merge_sort_block_merge_config_selectorIlNS0_10empty_typeEEEZZNS1_27merge_sort_block_merge_implIS3_PlPS5_jNS1_19radix_merge_compareILb1ELb0ElNS0_19identity_decomposerEEEEE10hipError_tT0_T1_T2_jT3_P12ihipStream_tbPNSt15iterator_traitsISE_E10value_typeEPNSK_ISF_E10value_typeEPSG_NS1_7vsmem_tEENKUlT_SE_SF_SG_E_clIS8_S8_S9_S9_EESD_ST_SE_SF_SG_EUlST_E0_NS1_11comp_targetILNS1_3genE8ELNS1_11target_archE1030ELNS1_3gpuE2ELNS1_3repE0EEENS1_38merge_mergepath_config_static_selectorELNS0_4arch9wavefront6targetE0EEEvSF_ ; -- Begin function _ZN7rocprim17ROCPRIM_400000_NS6detail17trampoline_kernelINS0_14default_configENS1_38merge_sort_block_merge_config_selectorIlNS0_10empty_typeEEEZZNS1_27merge_sort_block_merge_implIS3_PlPS5_jNS1_19radix_merge_compareILb1ELb0ElNS0_19identity_decomposerEEEEE10hipError_tT0_T1_T2_jT3_P12ihipStream_tbPNSt15iterator_traitsISE_E10value_typeEPNSK_ISF_E10value_typeEPSG_NS1_7vsmem_tEENKUlT_SE_SF_SG_E_clIS8_S8_S9_S9_EESD_ST_SE_SF_SG_EUlST_E0_NS1_11comp_targetILNS1_3genE8ELNS1_11target_archE1030ELNS1_3gpuE2ELNS1_3repE0EEENS1_38merge_mergepath_config_static_selectorELNS0_4arch9wavefront6targetE0EEEvSF_
	.globl	_ZN7rocprim17ROCPRIM_400000_NS6detail17trampoline_kernelINS0_14default_configENS1_38merge_sort_block_merge_config_selectorIlNS0_10empty_typeEEEZZNS1_27merge_sort_block_merge_implIS3_PlPS5_jNS1_19radix_merge_compareILb1ELb0ElNS0_19identity_decomposerEEEEE10hipError_tT0_T1_T2_jT3_P12ihipStream_tbPNSt15iterator_traitsISE_E10value_typeEPNSK_ISF_E10value_typeEPSG_NS1_7vsmem_tEENKUlT_SE_SF_SG_E_clIS8_S8_S9_S9_EESD_ST_SE_SF_SG_EUlST_E0_NS1_11comp_targetILNS1_3genE8ELNS1_11target_archE1030ELNS1_3gpuE2ELNS1_3repE0EEENS1_38merge_mergepath_config_static_selectorELNS0_4arch9wavefront6targetE0EEEvSF_
	.p2align	8
	.type	_ZN7rocprim17ROCPRIM_400000_NS6detail17trampoline_kernelINS0_14default_configENS1_38merge_sort_block_merge_config_selectorIlNS0_10empty_typeEEEZZNS1_27merge_sort_block_merge_implIS3_PlPS5_jNS1_19radix_merge_compareILb1ELb0ElNS0_19identity_decomposerEEEEE10hipError_tT0_T1_T2_jT3_P12ihipStream_tbPNSt15iterator_traitsISE_E10value_typeEPNSK_ISF_E10value_typeEPSG_NS1_7vsmem_tEENKUlT_SE_SF_SG_E_clIS8_S8_S9_S9_EESD_ST_SE_SF_SG_EUlST_E0_NS1_11comp_targetILNS1_3genE8ELNS1_11target_archE1030ELNS1_3gpuE2ELNS1_3repE0EEENS1_38merge_mergepath_config_static_selectorELNS0_4arch9wavefront6targetE0EEEvSF_,@function
_ZN7rocprim17ROCPRIM_400000_NS6detail17trampoline_kernelINS0_14default_configENS1_38merge_sort_block_merge_config_selectorIlNS0_10empty_typeEEEZZNS1_27merge_sort_block_merge_implIS3_PlPS5_jNS1_19radix_merge_compareILb1ELb0ElNS0_19identity_decomposerEEEEE10hipError_tT0_T1_T2_jT3_P12ihipStream_tbPNSt15iterator_traitsISE_E10value_typeEPNSK_ISF_E10value_typeEPSG_NS1_7vsmem_tEENKUlT_SE_SF_SG_E_clIS8_S8_S9_S9_EESD_ST_SE_SF_SG_EUlST_E0_NS1_11comp_targetILNS1_3genE8ELNS1_11target_archE1030ELNS1_3gpuE2ELNS1_3repE0EEENS1_38merge_mergepath_config_static_selectorELNS0_4arch9wavefront6targetE0EEEvSF_: ; @_ZN7rocprim17ROCPRIM_400000_NS6detail17trampoline_kernelINS0_14default_configENS1_38merge_sort_block_merge_config_selectorIlNS0_10empty_typeEEEZZNS1_27merge_sort_block_merge_implIS3_PlPS5_jNS1_19radix_merge_compareILb1ELb0ElNS0_19identity_decomposerEEEEE10hipError_tT0_T1_T2_jT3_P12ihipStream_tbPNSt15iterator_traitsISE_E10value_typeEPNSK_ISF_E10value_typeEPSG_NS1_7vsmem_tEENKUlT_SE_SF_SG_E_clIS8_S8_S9_S9_EESD_ST_SE_SF_SG_EUlST_E0_NS1_11comp_targetILNS1_3genE8ELNS1_11target_archE1030ELNS1_3gpuE2ELNS1_3repE0EEENS1_38merge_mergepath_config_static_selectorELNS0_4arch9wavefront6targetE0EEEvSF_
; %bb.0:
	.section	.rodata,"a",@progbits
	.p2align	6, 0x0
	.amdhsa_kernel _ZN7rocprim17ROCPRIM_400000_NS6detail17trampoline_kernelINS0_14default_configENS1_38merge_sort_block_merge_config_selectorIlNS0_10empty_typeEEEZZNS1_27merge_sort_block_merge_implIS3_PlPS5_jNS1_19radix_merge_compareILb1ELb0ElNS0_19identity_decomposerEEEEE10hipError_tT0_T1_T2_jT3_P12ihipStream_tbPNSt15iterator_traitsISE_E10value_typeEPNSK_ISF_E10value_typeEPSG_NS1_7vsmem_tEENKUlT_SE_SF_SG_E_clIS8_S8_S9_S9_EESD_ST_SE_SF_SG_EUlST_E0_NS1_11comp_targetILNS1_3genE8ELNS1_11target_archE1030ELNS1_3gpuE2ELNS1_3repE0EEENS1_38merge_mergepath_config_static_selectorELNS0_4arch9wavefront6targetE0EEEvSF_
		.amdhsa_group_segment_fixed_size 0
		.amdhsa_private_segment_fixed_size 0
		.amdhsa_kernarg_size 64
		.amdhsa_user_sgpr_count 2
		.amdhsa_user_sgpr_dispatch_ptr 0
		.amdhsa_user_sgpr_queue_ptr 0
		.amdhsa_user_sgpr_kernarg_segment_ptr 1
		.amdhsa_user_sgpr_dispatch_id 0
		.amdhsa_user_sgpr_kernarg_preload_length 0
		.amdhsa_user_sgpr_kernarg_preload_offset 0
		.amdhsa_user_sgpr_private_segment_size 0
		.amdhsa_wavefront_size32 1
		.amdhsa_uses_dynamic_stack 0
		.amdhsa_enable_private_segment 0
		.amdhsa_system_sgpr_workgroup_id_x 1
		.amdhsa_system_sgpr_workgroup_id_y 0
		.amdhsa_system_sgpr_workgroup_id_z 0
		.amdhsa_system_sgpr_workgroup_info 0
		.amdhsa_system_vgpr_workitem_id 0
		.amdhsa_next_free_vgpr 1
		.amdhsa_next_free_sgpr 1
		.amdhsa_named_barrier_count 0
		.amdhsa_reserve_vcc 0
		.amdhsa_float_round_mode_32 0
		.amdhsa_float_round_mode_16_64 0
		.amdhsa_float_denorm_mode_32 3
		.amdhsa_float_denorm_mode_16_64 3
		.amdhsa_fp16_overflow 0
		.amdhsa_memory_ordered 1
		.amdhsa_forward_progress 1
		.amdhsa_inst_pref_size 0
		.amdhsa_round_robin_scheduling 0
		.amdhsa_exception_fp_ieee_invalid_op 0
		.amdhsa_exception_fp_denorm_src 0
		.amdhsa_exception_fp_ieee_div_zero 0
		.amdhsa_exception_fp_ieee_overflow 0
		.amdhsa_exception_fp_ieee_underflow 0
		.amdhsa_exception_fp_ieee_inexact 0
		.amdhsa_exception_int_div_zero 0
	.end_amdhsa_kernel
	.section	.text._ZN7rocprim17ROCPRIM_400000_NS6detail17trampoline_kernelINS0_14default_configENS1_38merge_sort_block_merge_config_selectorIlNS0_10empty_typeEEEZZNS1_27merge_sort_block_merge_implIS3_PlPS5_jNS1_19radix_merge_compareILb1ELb0ElNS0_19identity_decomposerEEEEE10hipError_tT0_T1_T2_jT3_P12ihipStream_tbPNSt15iterator_traitsISE_E10value_typeEPNSK_ISF_E10value_typeEPSG_NS1_7vsmem_tEENKUlT_SE_SF_SG_E_clIS8_S8_S9_S9_EESD_ST_SE_SF_SG_EUlST_E0_NS1_11comp_targetILNS1_3genE8ELNS1_11target_archE1030ELNS1_3gpuE2ELNS1_3repE0EEENS1_38merge_mergepath_config_static_selectorELNS0_4arch9wavefront6targetE0EEEvSF_,"axG",@progbits,_ZN7rocprim17ROCPRIM_400000_NS6detail17trampoline_kernelINS0_14default_configENS1_38merge_sort_block_merge_config_selectorIlNS0_10empty_typeEEEZZNS1_27merge_sort_block_merge_implIS3_PlPS5_jNS1_19radix_merge_compareILb1ELb0ElNS0_19identity_decomposerEEEEE10hipError_tT0_T1_T2_jT3_P12ihipStream_tbPNSt15iterator_traitsISE_E10value_typeEPNSK_ISF_E10value_typeEPSG_NS1_7vsmem_tEENKUlT_SE_SF_SG_E_clIS8_S8_S9_S9_EESD_ST_SE_SF_SG_EUlST_E0_NS1_11comp_targetILNS1_3genE8ELNS1_11target_archE1030ELNS1_3gpuE2ELNS1_3repE0EEENS1_38merge_mergepath_config_static_selectorELNS0_4arch9wavefront6targetE0EEEvSF_,comdat
.Lfunc_end1029:
	.size	_ZN7rocprim17ROCPRIM_400000_NS6detail17trampoline_kernelINS0_14default_configENS1_38merge_sort_block_merge_config_selectorIlNS0_10empty_typeEEEZZNS1_27merge_sort_block_merge_implIS3_PlPS5_jNS1_19radix_merge_compareILb1ELb0ElNS0_19identity_decomposerEEEEE10hipError_tT0_T1_T2_jT3_P12ihipStream_tbPNSt15iterator_traitsISE_E10value_typeEPNSK_ISF_E10value_typeEPSG_NS1_7vsmem_tEENKUlT_SE_SF_SG_E_clIS8_S8_S9_S9_EESD_ST_SE_SF_SG_EUlST_E0_NS1_11comp_targetILNS1_3genE8ELNS1_11target_archE1030ELNS1_3gpuE2ELNS1_3repE0EEENS1_38merge_mergepath_config_static_selectorELNS0_4arch9wavefront6targetE0EEEvSF_, .Lfunc_end1029-_ZN7rocprim17ROCPRIM_400000_NS6detail17trampoline_kernelINS0_14default_configENS1_38merge_sort_block_merge_config_selectorIlNS0_10empty_typeEEEZZNS1_27merge_sort_block_merge_implIS3_PlPS5_jNS1_19radix_merge_compareILb1ELb0ElNS0_19identity_decomposerEEEEE10hipError_tT0_T1_T2_jT3_P12ihipStream_tbPNSt15iterator_traitsISE_E10value_typeEPNSK_ISF_E10value_typeEPSG_NS1_7vsmem_tEENKUlT_SE_SF_SG_E_clIS8_S8_S9_S9_EESD_ST_SE_SF_SG_EUlST_E0_NS1_11comp_targetILNS1_3genE8ELNS1_11target_archE1030ELNS1_3gpuE2ELNS1_3repE0EEENS1_38merge_mergepath_config_static_selectorELNS0_4arch9wavefront6targetE0EEEvSF_
                                        ; -- End function
	.set _ZN7rocprim17ROCPRIM_400000_NS6detail17trampoline_kernelINS0_14default_configENS1_38merge_sort_block_merge_config_selectorIlNS0_10empty_typeEEEZZNS1_27merge_sort_block_merge_implIS3_PlPS5_jNS1_19radix_merge_compareILb1ELb0ElNS0_19identity_decomposerEEEEE10hipError_tT0_T1_T2_jT3_P12ihipStream_tbPNSt15iterator_traitsISE_E10value_typeEPNSK_ISF_E10value_typeEPSG_NS1_7vsmem_tEENKUlT_SE_SF_SG_E_clIS8_S8_S9_S9_EESD_ST_SE_SF_SG_EUlST_E0_NS1_11comp_targetILNS1_3genE8ELNS1_11target_archE1030ELNS1_3gpuE2ELNS1_3repE0EEENS1_38merge_mergepath_config_static_selectorELNS0_4arch9wavefront6targetE0EEEvSF_.num_vgpr, 0
	.set _ZN7rocprim17ROCPRIM_400000_NS6detail17trampoline_kernelINS0_14default_configENS1_38merge_sort_block_merge_config_selectorIlNS0_10empty_typeEEEZZNS1_27merge_sort_block_merge_implIS3_PlPS5_jNS1_19radix_merge_compareILb1ELb0ElNS0_19identity_decomposerEEEEE10hipError_tT0_T1_T2_jT3_P12ihipStream_tbPNSt15iterator_traitsISE_E10value_typeEPNSK_ISF_E10value_typeEPSG_NS1_7vsmem_tEENKUlT_SE_SF_SG_E_clIS8_S8_S9_S9_EESD_ST_SE_SF_SG_EUlST_E0_NS1_11comp_targetILNS1_3genE8ELNS1_11target_archE1030ELNS1_3gpuE2ELNS1_3repE0EEENS1_38merge_mergepath_config_static_selectorELNS0_4arch9wavefront6targetE0EEEvSF_.num_agpr, 0
	.set _ZN7rocprim17ROCPRIM_400000_NS6detail17trampoline_kernelINS0_14default_configENS1_38merge_sort_block_merge_config_selectorIlNS0_10empty_typeEEEZZNS1_27merge_sort_block_merge_implIS3_PlPS5_jNS1_19radix_merge_compareILb1ELb0ElNS0_19identity_decomposerEEEEE10hipError_tT0_T1_T2_jT3_P12ihipStream_tbPNSt15iterator_traitsISE_E10value_typeEPNSK_ISF_E10value_typeEPSG_NS1_7vsmem_tEENKUlT_SE_SF_SG_E_clIS8_S8_S9_S9_EESD_ST_SE_SF_SG_EUlST_E0_NS1_11comp_targetILNS1_3genE8ELNS1_11target_archE1030ELNS1_3gpuE2ELNS1_3repE0EEENS1_38merge_mergepath_config_static_selectorELNS0_4arch9wavefront6targetE0EEEvSF_.numbered_sgpr, 0
	.set _ZN7rocprim17ROCPRIM_400000_NS6detail17trampoline_kernelINS0_14default_configENS1_38merge_sort_block_merge_config_selectorIlNS0_10empty_typeEEEZZNS1_27merge_sort_block_merge_implIS3_PlPS5_jNS1_19radix_merge_compareILb1ELb0ElNS0_19identity_decomposerEEEEE10hipError_tT0_T1_T2_jT3_P12ihipStream_tbPNSt15iterator_traitsISE_E10value_typeEPNSK_ISF_E10value_typeEPSG_NS1_7vsmem_tEENKUlT_SE_SF_SG_E_clIS8_S8_S9_S9_EESD_ST_SE_SF_SG_EUlST_E0_NS1_11comp_targetILNS1_3genE8ELNS1_11target_archE1030ELNS1_3gpuE2ELNS1_3repE0EEENS1_38merge_mergepath_config_static_selectorELNS0_4arch9wavefront6targetE0EEEvSF_.num_named_barrier, 0
	.set _ZN7rocprim17ROCPRIM_400000_NS6detail17trampoline_kernelINS0_14default_configENS1_38merge_sort_block_merge_config_selectorIlNS0_10empty_typeEEEZZNS1_27merge_sort_block_merge_implIS3_PlPS5_jNS1_19radix_merge_compareILb1ELb0ElNS0_19identity_decomposerEEEEE10hipError_tT0_T1_T2_jT3_P12ihipStream_tbPNSt15iterator_traitsISE_E10value_typeEPNSK_ISF_E10value_typeEPSG_NS1_7vsmem_tEENKUlT_SE_SF_SG_E_clIS8_S8_S9_S9_EESD_ST_SE_SF_SG_EUlST_E0_NS1_11comp_targetILNS1_3genE8ELNS1_11target_archE1030ELNS1_3gpuE2ELNS1_3repE0EEENS1_38merge_mergepath_config_static_selectorELNS0_4arch9wavefront6targetE0EEEvSF_.private_seg_size, 0
	.set _ZN7rocprim17ROCPRIM_400000_NS6detail17trampoline_kernelINS0_14default_configENS1_38merge_sort_block_merge_config_selectorIlNS0_10empty_typeEEEZZNS1_27merge_sort_block_merge_implIS3_PlPS5_jNS1_19radix_merge_compareILb1ELb0ElNS0_19identity_decomposerEEEEE10hipError_tT0_T1_T2_jT3_P12ihipStream_tbPNSt15iterator_traitsISE_E10value_typeEPNSK_ISF_E10value_typeEPSG_NS1_7vsmem_tEENKUlT_SE_SF_SG_E_clIS8_S8_S9_S9_EESD_ST_SE_SF_SG_EUlST_E0_NS1_11comp_targetILNS1_3genE8ELNS1_11target_archE1030ELNS1_3gpuE2ELNS1_3repE0EEENS1_38merge_mergepath_config_static_selectorELNS0_4arch9wavefront6targetE0EEEvSF_.uses_vcc, 0
	.set _ZN7rocprim17ROCPRIM_400000_NS6detail17trampoline_kernelINS0_14default_configENS1_38merge_sort_block_merge_config_selectorIlNS0_10empty_typeEEEZZNS1_27merge_sort_block_merge_implIS3_PlPS5_jNS1_19radix_merge_compareILb1ELb0ElNS0_19identity_decomposerEEEEE10hipError_tT0_T1_T2_jT3_P12ihipStream_tbPNSt15iterator_traitsISE_E10value_typeEPNSK_ISF_E10value_typeEPSG_NS1_7vsmem_tEENKUlT_SE_SF_SG_E_clIS8_S8_S9_S9_EESD_ST_SE_SF_SG_EUlST_E0_NS1_11comp_targetILNS1_3genE8ELNS1_11target_archE1030ELNS1_3gpuE2ELNS1_3repE0EEENS1_38merge_mergepath_config_static_selectorELNS0_4arch9wavefront6targetE0EEEvSF_.uses_flat_scratch, 0
	.set _ZN7rocprim17ROCPRIM_400000_NS6detail17trampoline_kernelINS0_14default_configENS1_38merge_sort_block_merge_config_selectorIlNS0_10empty_typeEEEZZNS1_27merge_sort_block_merge_implIS3_PlPS5_jNS1_19radix_merge_compareILb1ELb0ElNS0_19identity_decomposerEEEEE10hipError_tT0_T1_T2_jT3_P12ihipStream_tbPNSt15iterator_traitsISE_E10value_typeEPNSK_ISF_E10value_typeEPSG_NS1_7vsmem_tEENKUlT_SE_SF_SG_E_clIS8_S8_S9_S9_EESD_ST_SE_SF_SG_EUlST_E0_NS1_11comp_targetILNS1_3genE8ELNS1_11target_archE1030ELNS1_3gpuE2ELNS1_3repE0EEENS1_38merge_mergepath_config_static_selectorELNS0_4arch9wavefront6targetE0EEEvSF_.has_dyn_sized_stack, 0
	.set _ZN7rocprim17ROCPRIM_400000_NS6detail17trampoline_kernelINS0_14default_configENS1_38merge_sort_block_merge_config_selectorIlNS0_10empty_typeEEEZZNS1_27merge_sort_block_merge_implIS3_PlPS5_jNS1_19radix_merge_compareILb1ELb0ElNS0_19identity_decomposerEEEEE10hipError_tT0_T1_T2_jT3_P12ihipStream_tbPNSt15iterator_traitsISE_E10value_typeEPNSK_ISF_E10value_typeEPSG_NS1_7vsmem_tEENKUlT_SE_SF_SG_E_clIS8_S8_S9_S9_EESD_ST_SE_SF_SG_EUlST_E0_NS1_11comp_targetILNS1_3genE8ELNS1_11target_archE1030ELNS1_3gpuE2ELNS1_3repE0EEENS1_38merge_mergepath_config_static_selectorELNS0_4arch9wavefront6targetE0EEEvSF_.has_recursion, 0
	.set _ZN7rocprim17ROCPRIM_400000_NS6detail17trampoline_kernelINS0_14default_configENS1_38merge_sort_block_merge_config_selectorIlNS0_10empty_typeEEEZZNS1_27merge_sort_block_merge_implIS3_PlPS5_jNS1_19radix_merge_compareILb1ELb0ElNS0_19identity_decomposerEEEEE10hipError_tT0_T1_T2_jT3_P12ihipStream_tbPNSt15iterator_traitsISE_E10value_typeEPNSK_ISF_E10value_typeEPSG_NS1_7vsmem_tEENKUlT_SE_SF_SG_E_clIS8_S8_S9_S9_EESD_ST_SE_SF_SG_EUlST_E0_NS1_11comp_targetILNS1_3genE8ELNS1_11target_archE1030ELNS1_3gpuE2ELNS1_3repE0EEENS1_38merge_mergepath_config_static_selectorELNS0_4arch9wavefront6targetE0EEEvSF_.has_indirect_call, 0
	.section	.AMDGPU.csdata,"",@progbits
; Kernel info:
; codeLenInByte = 0
; TotalNumSgprs: 0
; NumVgprs: 0
; ScratchSize: 0
; MemoryBound: 0
; FloatMode: 240
; IeeeMode: 1
; LDSByteSize: 0 bytes/workgroup (compile time only)
; SGPRBlocks: 0
; VGPRBlocks: 0
; NumSGPRsForWavesPerEU: 1
; NumVGPRsForWavesPerEU: 1
; NamedBarCnt: 0
; Occupancy: 16
; WaveLimiterHint : 0
; COMPUTE_PGM_RSRC2:SCRATCH_EN: 0
; COMPUTE_PGM_RSRC2:USER_SGPR: 2
; COMPUTE_PGM_RSRC2:TRAP_HANDLER: 0
; COMPUTE_PGM_RSRC2:TGID_X_EN: 1
; COMPUTE_PGM_RSRC2:TGID_Y_EN: 0
; COMPUTE_PGM_RSRC2:TGID_Z_EN: 0
; COMPUTE_PGM_RSRC2:TIDIG_COMP_CNT: 0
	.section	.text._ZN7rocprim17ROCPRIM_400000_NS6detail17trampoline_kernelINS0_14default_configENS1_38merge_sort_block_merge_config_selectorIlNS0_10empty_typeEEEZZNS1_27merge_sort_block_merge_implIS3_PlPS5_jNS1_19radix_merge_compareILb1ELb0ElNS0_19identity_decomposerEEEEE10hipError_tT0_T1_T2_jT3_P12ihipStream_tbPNSt15iterator_traitsISE_E10value_typeEPNSK_ISF_E10value_typeEPSG_NS1_7vsmem_tEENKUlT_SE_SF_SG_E_clIS8_S8_S9_S9_EESD_ST_SE_SF_SG_EUlST_E1_NS1_11comp_targetILNS1_3genE0ELNS1_11target_archE4294967295ELNS1_3gpuE0ELNS1_3repE0EEENS1_36merge_oddeven_config_static_selectorELNS0_4arch9wavefront6targetE0EEEvSF_,"axG",@progbits,_ZN7rocprim17ROCPRIM_400000_NS6detail17trampoline_kernelINS0_14default_configENS1_38merge_sort_block_merge_config_selectorIlNS0_10empty_typeEEEZZNS1_27merge_sort_block_merge_implIS3_PlPS5_jNS1_19radix_merge_compareILb1ELb0ElNS0_19identity_decomposerEEEEE10hipError_tT0_T1_T2_jT3_P12ihipStream_tbPNSt15iterator_traitsISE_E10value_typeEPNSK_ISF_E10value_typeEPSG_NS1_7vsmem_tEENKUlT_SE_SF_SG_E_clIS8_S8_S9_S9_EESD_ST_SE_SF_SG_EUlST_E1_NS1_11comp_targetILNS1_3genE0ELNS1_11target_archE4294967295ELNS1_3gpuE0ELNS1_3repE0EEENS1_36merge_oddeven_config_static_selectorELNS0_4arch9wavefront6targetE0EEEvSF_,comdat
	.protected	_ZN7rocprim17ROCPRIM_400000_NS6detail17trampoline_kernelINS0_14default_configENS1_38merge_sort_block_merge_config_selectorIlNS0_10empty_typeEEEZZNS1_27merge_sort_block_merge_implIS3_PlPS5_jNS1_19radix_merge_compareILb1ELb0ElNS0_19identity_decomposerEEEEE10hipError_tT0_T1_T2_jT3_P12ihipStream_tbPNSt15iterator_traitsISE_E10value_typeEPNSK_ISF_E10value_typeEPSG_NS1_7vsmem_tEENKUlT_SE_SF_SG_E_clIS8_S8_S9_S9_EESD_ST_SE_SF_SG_EUlST_E1_NS1_11comp_targetILNS1_3genE0ELNS1_11target_archE4294967295ELNS1_3gpuE0ELNS1_3repE0EEENS1_36merge_oddeven_config_static_selectorELNS0_4arch9wavefront6targetE0EEEvSF_ ; -- Begin function _ZN7rocprim17ROCPRIM_400000_NS6detail17trampoline_kernelINS0_14default_configENS1_38merge_sort_block_merge_config_selectorIlNS0_10empty_typeEEEZZNS1_27merge_sort_block_merge_implIS3_PlPS5_jNS1_19radix_merge_compareILb1ELb0ElNS0_19identity_decomposerEEEEE10hipError_tT0_T1_T2_jT3_P12ihipStream_tbPNSt15iterator_traitsISE_E10value_typeEPNSK_ISF_E10value_typeEPSG_NS1_7vsmem_tEENKUlT_SE_SF_SG_E_clIS8_S8_S9_S9_EESD_ST_SE_SF_SG_EUlST_E1_NS1_11comp_targetILNS1_3genE0ELNS1_11target_archE4294967295ELNS1_3gpuE0ELNS1_3repE0EEENS1_36merge_oddeven_config_static_selectorELNS0_4arch9wavefront6targetE0EEEvSF_
	.globl	_ZN7rocprim17ROCPRIM_400000_NS6detail17trampoline_kernelINS0_14default_configENS1_38merge_sort_block_merge_config_selectorIlNS0_10empty_typeEEEZZNS1_27merge_sort_block_merge_implIS3_PlPS5_jNS1_19radix_merge_compareILb1ELb0ElNS0_19identity_decomposerEEEEE10hipError_tT0_T1_T2_jT3_P12ihipStream_tbPNSt15iterator_traitsISE_E10value_typeEPNSK_ISF_E10value_typeEPSG_NS1_7vsmem_tEENKUlT_SE_SF_SG_E_clIS8_S8_S9_S9_EESD_ST_SE_SF_SG_EUlST_E1_NS1_11comp_targetILNS1_3genE0ELNS1_11target_archE4294967295ELNS1_3gpuE0ELNS1_3repE0EEENS1_36merge_oddeven_config_static_selectorELNS0_4arch9wavefront6targetE0EEEvSF_
	.p2align	8
	.type	_ZN7rocprim17ROCPRIM_400000_NS6detail17trampoline_kernelINS0_14default_configENS1_38merge_sort_block_merge_config_selectorIlNS0_10empty_typeEEEZZNS1_27merge_sort_block_merge_implIS3_PlPS5_jNS1_19radix_merge_compareILb1ELb0ElNS0_19identity_decomposerEEEEE10hipError_tT0_T1_T2_jT3_P12ihipStream_tbPNSt15iterator_traitsISE_E10value_typeEPNSK_ISF_E10value_typeEPSG_NS1_7vsmem_tEENKUlT_SE_SF_SG_E_clIS8_S8_S9_S9_EESD_ST_SE_SF_SG_EUlST_E1_NS1_11comp_targetILNS1_3genE0ELNS1_11target_archE4294967295ELNS1_3gpuE0ELNS1_3repE0EEENS1_36merge_oddeven_config_static_selectorELNS0_4arch9wavefront6targetE0EEEvSF_,@function
_ZN7rocprim17ROCPRIM_400000_NS6detail17trampoline_kernelINS0_14default_configENS1_38merge_sort_block_merge_config_selectorIlNS0_10empty_typeEEEZZNS1_27merge_sort_block_merge_implIS3_PlPS5_jNS1_19radix_merge_compareILb1ELb0ElNS0_19identity_decomposerEEEEE10hipError_tT0_T1_T2_jT3_P12ihipStream_tbPNSt15iterator_traitsISE_E10value_typeEPNSK_ISF_E10value_typeEPSG_NS1_7vsmem_tEENKUlT_SE_SF_SG_E_clIS8_S8_S9_S9_EESD_ST_SE_SF_SG_EUlST_E1_NS1_11comp_targetILNS1_3genE0ELNS1_11target_archE4294967295ELNS1_3gpuE0ELNS1_3repE0EEENS1_36merge_oddeven_config_static_selectorELNS0_4arch9wavefront6targetE0EEEvSF_: ; @_ZN7rocprim17ROCPRIM_400000_NS6detail17trampoline_kernelINS0_14default_configENS1_38merge_sort_block_merge_config_selectorIlNS0_10empty_typeEEEZZNS1_27merge_sort_block_merge_implIS3_PlPS5_jNS1_19radix_merge_compareILb1ELb0ElNS0_19identity_decomposerEEEEE10hipError_tT0_T1_T2_jT3_P12ihipStream_tbPNSt15iterator_traitsISE_E10value_typeEPNSK_ISF_E10value_typeEPSG_NS1_7vsmem_tEENKUlT_SE_SF_SG_E_clIS8_S8_S9_S9_EESD_ST_SE_SF_SG_EUlST_E1_NS1_11comp_targetILNS1_3genE0ELNS1_11target_archE4294967295ELNS1_3gpuE0ELNS1_3repE0EEENS1_36merge_oddeven_config_static_selectorELNS0_4arch9wavefront6targetE0EEEvSF_
; %bb.0:
	s_load_b32 s10, s[0:1], 0x20
	s_bfe_u32 s2, ttmp6, 0x4000c
	s_and_b32 s3, ttmp6, 15
	s_add_co_i32 s2, s2, 1
	s_getreg_b32 s4, hwreg(HW_REG_IB_STS2, 6, 4)
	s_mul_i32 s2, ttmp9, s2
	s_mov_b32 s9, 0
	s_add_co_i32 s3, s3, s2
	s_cmp_eq_u32 s4, 0
	s_cselect_b32 s13, ttmp9, s3
	s_wait_kmcnt 0x0
	s_lshr_b32 s2, s10, 8
	s_delay_alu instid0(SALU_CYCLE_1) | instskip(SKIP_4) | instid1(SALU_CYCLE_1)
	s_cmp_lg_u32 s13, s2
	s_cselect_b32 s3, -1, 0
	s_cmp_eq_u32 s13, s2
	s_cselect_b32 s11, -1, 0
	s_lshl_b32 s8, s13, 8
	s_sub_co_i32 s2, s10, s8
	s_delay_alu instid0(SALU_CYCLE_1) | instskip(SKIP_1) | instid1(SALU_CYCLE_1)
	v_cmp_gt_u32_e64 s2, s2, v0
	s_or_b32 s4, s3, s2
	s_and_saveexec_b32 s5, s4
	s_cbranch_execz .LBB1030_20
; %bb.1:
	s_clause 0x1
	s_load_b128 s[4:7], s[0:1], 0x0
	s_load_b32 s12, s[0:1], 0x24
	s_lshl_b64 s[14:15], s[8:9], 3
	v_add_nc_u32_e32 v1, s8, v0
	s_wait_kmcnt 0x0
	s_add_nc_u64 s[0:1], s[4:5], s[14:15]
	global_load_b64 v[2:3], v0, s[0:1] scale_offset
	s_wait_xcnt 0x0
	s_lshr_b32 s0, s12, 8
	s_delay_alu instid0(SALU_CYCLE_1) | instskip(NEXT) | instid1(SALU_CYCLE_1)
	s_sub_co_i32 s1, 0, s0
	s_and_b32 s1, s13, s1
	s_delay_alu instid0(SALU_CYCLE_1) | instskip(SKIP_4) | instid1(SALU_CYCLE_1)
	s_and_b32 s0, s1, s0
	s_lshl_b32 s13, s1, 8
	s_sub_co_i32 s1, 0, s12
	s_cmp_eq_u32 s0, 0
	s_cselect_b32 s0, -1, 0
	s_and_b32 s14, s0, exec_lo
	s_cselect_b32 s1, s12, s1
	s_delay_alu instid0(SALU_CYCLE_1) | instskip(NEXT) | instid1(SALU_CYCLE_1)
	s_add_co_i32 s1, s1, s13
	s_cmp_gt_u32 s10, s1
	s_cbranch_scc1 .LBB1030_3
; %bb.2:
	v_cmp_gt_u32_e32 vcc_lo, s10, v1
	s_or_b32 s8, vcc_lo, s3
	s_delay_alu instid0(SALU_CYCLE_1)
	s_and_b32 s9, s8, exec_lo
	s_cbranch_execz .LBB1030_4
	s_branch .LBB1030_18
.LBB1030_3:
.LBB1030_4:
	s_min_u32 s3, s1, s10
	s_and_b32 vcc_lo, exec_lo, s11
	s_add_co_i32 s8, s13, s3
	s_add_co_i32 s12, s3, s12
	v_subrev_nc_u32_e32 v0, s8, v1
	s_min_u32 s8, s13, s3
	s_delay_alu instid0(VALU_DEP_1) | instid1(SALU_CYCLE_1)
	v_add_nc_u32_e32 v0, s8, v0
	s_min_u32 s8, s12, s10
	s_cbranch_vccz .LBB1030_12
; %bb.5:
                                        ; implicit-def: $vgpr1
	s_and_saveexec_b32 s10, s2
	s_cbranch_execz .LBB1030_11
; %bb.6:
	v_mov_b32_e32 v1, s3
	s_cmp_ge_u32 s1, s8
	s_cbranch_scc1 .LBB1030_10
; %bb.7:
	v_dual_mov_b32 v4, s8 :: v_dual_mov_b32 v1, s3
	s_mov_b32 s2, 0
.LBB1030_8:                             ; =>This Inner Loop Header: Depth=1
	s_delay_alu instid0(VALU_DEP_1) | instskip(NEXT) | instid1(VALU_DEP_1)
	v_add_nc_u32_e32 v5, v1, v4
	v_lshrrev_b32_e32 v5, 1, v5
	global_load_b64 v[6:7], v5, s[4:5] scale_offset
	s_wait_loadcnt 0x0
	v_cmp_gt_i64_e32 vcc_lo, v[6:7], v[2:3]
	v_cndmask_b32_e64 v8, 0, 1, vcc_lo
	v_cmp_le_i64_e32 vcc_lo, v[2:3], v[6:7]
	v_cndmask_b32_e64 v6, 0, 1, vcc_lo
	s_delay_alu instid0(VALU_DEP_1) | instskip(NEXT) | instid1(VALU_DEP_1)
	v_cndmask_b32_e64 v6, v6, v8, s0
	v_and_b32_e32 v6, 1, v6
	s_delay_alu instid0(VALU_DEP_1) | instskip(SKIP_1) | instid1(VALU_DEP_1)
	v_cmp_eq_u32_e32 vcc_lo, 1, v6
	v_dual_cndmask_b32 v4, v5, v4 :: v_dual_add_nc_u32 v7, 1, v5
	v_cndmask_b32_e32 v1, v1, v7, vcc_lo
	s_delay_alu instid0(VALU_DEP_1) | instskip(SKIP_1) | instid1(SALU_CYCLE_1)
	v_cmp_ge_u32_e32 vcc_lo, v1, v4
	s_or_b32 s2, vcc_lo, s2
	s_and_not1_b32 exec_lo, exec_lo, s2
	s_cbranch_execnz .LBB1030_8
; %bb.9:
	s_or_b32 exec_lo, exec_lo, s2
.LBB1030_10:
	s_delay_alu instid0(VALU_DEP_1)
	v_add_nc_u32_e32 v1, v1, v0
	s_or_b32 s9, s9, exec_lo
.LBB1030_11:
	s_or_b32 exec_lo, exec_lo, s10
	s_branch .LBB1030_18
.LBB1030_12:
                                        ; implicit-def: $vgpr1
	s_cbranch_execz .LBB1030_18
; %bb.13:
	v_mov_b32_e32 v1, s3
	s_cmp_ge_u32 s1, s8
	s_cbranch_scc1 .LBB1030_17
; %bb.14:
	v_dual_mov_b32 v4, s8 :: v_dual_mov_b32 v1, s3
	s_mov_b32 s1, 0
.LBB1030_15:                            ; =>This Inner Loop Header: Depth=1
	s_delay_alu instid0(VALU_DEP_1) | instskip(NEXT) | instid1(VALU_DEP_1)
	v_add_nc_u32_e32 v5, v1, v4
	v_lshrrev_b32_e32 v5, 1, v5
	global_load_b64 v[6:7], v5, s[4:5] scale_offset
	s_wait_loadcnt 0x0
	v_cmp_gt_i64_e32 vcc_lo, v[6:7], v[2:3]
	v_cndmask_b32_e64 v8, 0, 1, vcc_lo
	v_cmp_le_i64_e32 vcc_lo, v[2:3], v[6:7]
	v_cndmask_b32_e64 v6, 0, 1, vcc_lo
	s_delay_alu instid0(VALU_DEP_1) | instskip(NEXT) | instid1(VALU_DEP_1)
	v_cndmask_b32_e64 v6, v6, v8, s0
	v_and_b32_e32 v6, 1, v6
	s_delay_alu instid0(VALU_DEP_1) | instskip(SKIP_1) | instid1(VALU_DEP_1)
	v_cmp_eq_u32_e32 vcc_lo, 1, v6
	v_dual_cndmask_b32 v4, v5, v4 :: v_dual_add_nc_u32 v7, 1, v5
	v_cndmask_b32_e32 v1, v1, v7, vcc_lo
	s_delay_alu instid0(VALU_DEP_1) | instskip(SKIP_1) | instid1(SALU_CYCLE_1)
	v_cmp_ge_u32_e32 vcc_lo, v1, v4
	s_or_b32 s1, vcc_lo, s1
	s_and_not1_b32 exec_lo, exec_lo, s1
	s_cbranch_execnz .LBB1030_15
; %bb.16:
	s_or_b32 exec_lo, exec_lo, s1
.LBB1030_17:
	s_delay_alu instid0(VALU_DEP_1)
	v_add_nc_u32_e32 v1, v1, v0
	s_mov_b32 s9, -1
.LBB1030_18:
	s_delay_alu instid0(SALU_CYCLE_1)
	s_and_b32 exec_lo, exec_lo, s9
	s_cbranch_execz .LBB1030_20
; %bb.19:
	s_wait_loadcnt 0x0
	global_store_b64 v1, v[2:3], s[6:7] scale_offset
.LBB1030_20:
	s_endpgm
	.section	.rodata,"a",@progbits
	.p2align	6, 0x0
	.amdhsa_kernel _ZN7rocprim17ROCPRIM_400000_NS6detail17trampoline_kernelINS0_14default_configENS1_38merge_sort_block_merge_config_selectorIlNS0_10empty_typeEEEZZNS1_27merge_sort_block_merge_implIS3_PlPS5_jNS1_19radix_merge_compareILb1ELb0ElNS0_19identity_decomposerEEEEE10hipError_tT0_T1_T2_jT3_P12ihipStream_tbPNSt15iterator_traitsISE_E10value_typeEPNSK_ISF_E10value_typeEPSG_NS1_7vsmem_tEENKUlT_SE_SF_SG_E_clIS8_S8_S9_S9_EESD_ST_SE_SF_SG_EUlST_E1_NS1_11comp_targetILNS1_3genE0ELNS1_11target_archE4294967295ELNS1_3gpuE0ELNS1_3repE0EEENS1_36merge_oddeven_config_static_selectorELNS0_4arch9wavefront6targetE0EEEvSF_
		.amdhsa_group_segment_fixed_size 0
		.amdhsa_private_segment_fixed_size 0
		.amdhsa_kernarg_size 48
		.amdhsa_user_sgpr_count 2
		.amdhsa_user_sgpr_dispatch_ptr 0
		.amdhsa_user_sgpr_queue_ptr 0
		.amdhsa_user_sgpr_kernarg_segment_ptr 1
		.amdhsa_user_sgpr_dispatch_id 0
		.amdhsa_user_sgpr_kernarg_preload_length 0
		.amdhsa_user_sgpr_kernarg_preload_offset 0
		.amdhsa_user_sgpr_private_segment_size 0
		.amdhsa_wavefront_size32 1
		.amdhsa_uses_dynamic_stack 0
		.amdhsa_enable_private_segment 0
		.amdhsa_system_sgpr_workgroup_id_x 1
		.amdhsa_system_sgpr_workgroup_id_y 0
		.amdhsa_system_sgpr_workgroup_id_z 0
		.amdhsa_system_sgpr_workgroup_info 0
		.amdhsa_system_vgpr_workitem_id 0
		.amdhsa_next_free_vgpr 9
		.amdhsa_next_free_sgpr 16
		.amdhsa_named_barrier_count 0
		.amdhsa_reserve_vcc 1
		.amdhsa_float_round_mode_32 0
		.amdhsa_float_round_mode_16_64 0
		.amdhsa_float_denorm_mode_32 3
		.amdhsa_float_denorm_mode_16_64 3
		.amdhsa_fp16_overflow 0
		.amdhsa_memory_ordered 1
		.amdhsa_forward_progress 1
		.amdhsa_inst_pref_size 5
		.amdhsa_round_robin_scheduling 0
		.amdhsa_exception_fp_ieee_invalid_op 0
		.amdhsa_exception_fp_denorm_src 0
		.amdhsa_exception_fp_ieee_div_zero 0
		.amdhsa_exception_fp_ieee_overflow 0
		.amdhsa_exception_fp_ieee_underflow 0
		.amdhsa_exception_fp_ieee_inexact 0
		.amdhsa_exception_int_div_zero 0
	.end_amdhsa_kernel
	.section	.text._ZN7rocprim17ROCPRIM_400000_NS6detail17trampoline_kernelINS0_14default_configENS1_38merge_sort_block_merge_config_selectorIlNS0_10empty_typeEEEZZNS1_27merge_sort_block_merge_implIS3_PlPS5_jNS1_19radix_merge_compareILb1ELb0ElNS0_19identity_decomposerEEEEE10hipError_tT0_T1_T2_jT3_P12ihipStream_tbPNSt15iterator_traitsISE_E10value_typeEPNSK_ISF_E10value_typeEPSG_NS1_7vsmem_tEENKUlT_SE_SF_SG_E_clIS8_S8_S9_S9_EESD_ST_SE_SF_SG_EUlST_E1_NS1_11comp_targetILNS1_3genE0ELNS1_11target_archE4294967295ELNS1_3gpuE0ELNS1_3repE0EEENS1_36merge_oddeven_config_static_selectorELNS0_4arch9wavefront6targetE0EEEvSF_,"axG",@progbits,_ZN7rocprim17ROCPRIM_400000_NS6detail17trampoline_kernelINS0_14default_configENS1_38merge_sort_block_merge_config_selectorIlNS0_10empty_typeEEEZZNS1_27merge_sort_block_merge_implIS3_PlPS5_jNS1_19radix_merge_compareILb1ELb0ElNS0_19identity_decomposerEEEEE10hipError_tT0_T1_T2_jT3_P12ihipStream_tbPNSt15iterator_traitsISE_E10value_typeEPNSK_ISF_E10value_typeEPSG_NS1_7vsmem_tEENKUlT_SE_SF_SG_E_clIS8_S8_S9_S9_EESD_ST_SE_SF_SG_EUlST_E1_NS1_11comp_targetILNS1_3genE0ELNS1_11target_archE4294967295ELNS1_3gpuE0ELNS1_3repE0EEENS1_36merge_oddeven_config_static_selectorELNS0_4arch9wavefront6targetE0EEEvSF_,comdat
.Lfunc_end1030:
	.size	_ZN7rocprim17ROCPRIM_400000_NS6detail17trampoline_kernelINS0_14default_configENS1_38merge_sort_block_merge_config_selectorIlNS0_10empty_typeEEEZZNS1_27merge_sort_block_merge_implIS3_PlPS5_jNS1_19radix_merge_compareILb1ELb0ElNS0_19identity_decomposerEEEEE10hipError_tT0_T1_T2_jT3_P12ihipStream_tbPNSt15iterator_traitsISE_E10value_typeEPNSK_ISF_E10value_typeEPSG_NS1_7vsmem_tEENKUlT_SE_SF_SG_E_clIS8_S8_S9_S9_EESD_ST_SE_SF_SG_EUlST_E1_NS1_11comp_targetILNS1_3genE0ELNS1_11target_archE4294967295ELNS1_3gpuE0ELNS1_3repE0EEENS1_36merge_oddeven_config_static_selectorELNS0_4arch9wavefront6targetE0EEEvSF_, .Lfunc_end1030-_ZN7rocprim17ROCPRIM_400000_NS6detail17trampoline_kernelINS0_14default_configENS1_38merge_sort_block_merge_config_selectorIlNS0_10empty_typeEEEZZNS1_27merge_sort_block_merge_implIS3_PlPS5_jNS1_19radix_merge_compareILb1ELb0ElNS0_19identity_decomposerEEEEE10hipError_tT0_T1_T2_jT3_P12ihipStream_tbPNSt15iterator_traitsISE_E10value_typeEPNSK_ISF_E10value_typeEPSG_NS1_7vsmem_tEENKUlT_SE_SF_SG_E_clIS8_S8_S9_S9_EESD_ST_SE_SF_SG_EUlST_E1_NS1_11comp_targetILNS1_3genE0ELNS1_11target_archE4294967295ELNS1_3gpuE0ELNS1_3repE0EEENS1_36merge_oddeven_config_static_selectorELNS0_4arch9wavefront6targetE0EEEvSF_
                                        ; -- End function
	.set _ZN7rocprim17ROCPRIM_400000_NS6detail17trampoline_kernelINS0_14default_configENS1_38merge_sort_block_merge_config_selectorIlNS0_10empty_typeEEEZZNS1_27merge_sort_block_merge_implIS3_PlPS5_jNS1_19radix_merge_compareILb1ELb0ElNS0_19identity_decomposerEEEEE10hipError_tT0_T1_T2_jT3_P12ihipStream_tbPNSt15iterator_traitsISE_E10value_typeEPNSK_ISF_E10value_typeEPSG_NS1_7vsmem_tEENKUlT_SE_SF_SG_E_clIS8_S8_S9_S9_EESD_ST_SE_SF_SG_EUlST_E1_NS1_11comp_targetILNS1_3genE0ELNS1_11target_archE4294967295ELNS1_3gpuE0ELNS1_3repE0EEENS1_36merge_oddeven_config_static_selectorELNS0_4arch9wavefront6targetE0EEEvSF_.num_vgpr, 9
	.set _ZN7rocprim17ROCPRIM_400000_NS6detail17trampoline_kernelINS0_14default_configENS1_38merge_sort_block_merge_config_selectorIlNS0_10empty_typeEEEZZNS1_27merge_sort_block_merge_implIS3_PlPS5_jNS1_19radix_merge_compareILb1ELb0ElNS0_19identity_decomposerEEEEE10hipError_tT0_T1_T2_jT3_P12ihipStream_tbPNSt15iterator_traitsISE_E10value_typeEPNSK_ISF_E10value_typeEPSG_NS1_7vsmem_tEENKUlT_SE_SF_SG_E_clIS8_S8_S9_S9_EESD_ST_SE_SF_SG_EUlST_E1_NS1_11comp_targetILNS1_3genE0ELNS1_11target_archE4294967295ELNS1_3gpuE0ELNS1_3repE0EEENS1_36merge_oddeven_config_static_selectorELNS0_4arch9wavefront6targetE0EEEvSF_.num_agpr, 0
	.set _ZN7rocprim17ROCPRIM_400000_NS6detail17trampoline_kernelINS0_14default_configENS1_38merge_sort_block_merge_config_selectorIlNS0_10empty_typeEEEZZNS1_27merge_sort_block_merge_implIS3_PlPS5_jNS1_19radix_merge_compareILb1ELb0ElNS0_19identity_decomposerEEEEE10hipError_tT0_T1_T2_jT3_P12ihipStream_tbPNSt15iterator_traitsISE_E10value_typeEPNSK_ISF_E10value_typeEPSG_NS1_7vsmem_tEENKUlT_SE_SF_SG_E_clIS8_S8_S9_S9_EESD_ST_SE_SF_SG_EUlST_E1_NS1_11comp_targetILNS1_3genE0ELNS1_11target_archE4294967295ELNS1_3gpuE0ELNS1_3repE0EEENS1_36merge_oddeven_config_static_selectorELNS0_4arch9wavefront6targetE0EEEvSF_.numbered_sgpr, 16
	.set _ZN7rocprim17ROCPRIM_400000_NS6detail17trampoline_kernelINS0_14default_configENS1_38merge_sort_block_merge_config_selectorIlNS0_10empty_typeEEEZZNS1_27merge_sort_block_merge_implIS3_PlPS5_jNS1_19radix_merge_compareILb1ELb0ElNS0_19identity_decomposerEEEEE10hipError_tT0_T1_T2_jT3_P12ihipStream_tbPNSt15iterator_traitsISE_E10value_typeEPNSK_ISF_E10value_typeEPSG_NS1_7vsmem_tEENKUlT_SE_SF_SG_E_clIS8_S8_S9_S9_EESD_ST_SE_SF_SG_EUlST_E1_NS1_11comp_targetILNS1_3genE0ELNS1_11target_archE4294967295ELNS1_3gpuE0ELNS1_3repE0EEENS1_36merge_oddeven_config_static_selectorELNS0_4arch9wavefront6targetE0EEEvSF_.num_named_barrier, 0
	.set _ZN7rocprim17ROCPRIM_400000_NS6detail17trampoline_kernelINS0_14default_configENS1_38merge_sort_block_merge_config_selectorIlNS0_10empty_typeEEEZZNS1_27merge_sort_block_merge_implIS3_PlPS5_jNS1_19radix_merge_compareILb1ELb0ElNS0_19identity_decomposerEEEEE10hipError_tT0_T1_T2_jT3_P12ihipStream_tbPNSt15iterator_traitsISE_E10value_typeEPNSK_ISF_E10value_typeEPSG_NS1_7vsmem_tEENKUlT_SE_SF_SG_E_clIS8_S8_S9_S9_EESD_ST_SE_SF_SG_EUlST_E1_NS1_11comp_targetILNS1_3genE0ELNS1_11target_archE4294967295ELNS1_3gpuE0ELNS1_3repE0EEENS1_36merge_oddeven_config_static_selectorELNS0_4arch9wavefront6targetE0EEEvSF_.private_seg_size, 0
	.set _ZN7rocprim17ROCPRIM_400000_NS6detail17trampoline_kernelINS0_14default_configENS1_38merge_sort_block_merge_config_selectorIlNS0_10empty_typeEEEZZNS1_27merge_sort_block_merge_implIS3_PlPS5_jNS1_19radix_merge_compareILb1ELb0ElNS0_19identity_decomposerEEEEE10hipError_tT0_T1_T2_jT3_P12ihipStream_tbPNSt15iterator_traitsISE_E10value_typeEPNSK_ISF_E10value_typeEPSG_NS1_7vsmem_tEENKUlT_SE_SF_SG_E_clIS8_S8_S9_S9_EESD_ST_SE_SF_SG_EUlST_E1_NS1_11comp_targetILNS1_3genE0ELNS1_11target_archE4294967295ELNS1_3gpuE0ELNS1_3repE0EEENS1_36merge_oddeven_config_static_selectorELNS0_4arch9wavefront6targetE0EEEvSF_.uses_vcc, 1
	.set _ZN7rocprim17ROCPRIM_400000_NS6detail17trampoline_kernelINS0_14default_configENS1_38merge_sort_block_merge_config_selectorIlNS0_10empty_typeEEEZZNS1_27merge_sort_block_merge_implIS3_PlPS5_jNS1_19radix_merge_compareILb1ELb0ElNS0_19identity_decomposerEEEEE10hipError_tT0_T1_T2_jT3_P12ihipStream_tbPNSt15iterator_traitsISE_E10value_typeEPNSK_ISF_E10value_typeEPSG_NS1_7vsmem_tEENKUlT_SE_SF_SG_E_clIS8_S8_S9_S9_EESD_ST_SE_SF_SG_EUlST_E1_NS1_11comp_targetILNS1_3genE0ELNS1_11target_archE4294967295ELNS1_3gpuE0ELNS1_3repE0EEENS1_36merge_oddeven_config_static_selectorELNS0_4arch9wavefront6targetE0EEEvSF_.uses_flat_scratch, 0
	.set _ZN7rocprim17ROCPRIM_400000_NS6detail17trampoline_kernelINS0_14default_configENS1_38merge_sort_block_merge_config_selectorIlNS0_10empty_typeEEEZZNS1_27merge_sort_block_merge_implIS3_PlPS5_jNS1_19radix_merge_compareILb1ELb0ElNS0_19identity_decomposerEEEEE10hipError_tT0_T1_T2_jT3_P12ihipStream_tbPNSt15iterator_traitsISE_E10value_typeEPNSK_ISF_E10value_typeEPSG_NS1_7vsmem_tEENKUlT_SE_SF_SG_E_clIS8_S8_S9_S9_EESD_ST_SE_SF_SG_EUlST_E1_NS1_11comp_targetILNS1_3genE0ELNS1_11target_archE4294967295ELNS1_3gpuE0ELNS1_3repE0EEENS1_36merge_oddeven_config_static_selectorELNS0_4arch9wavefront6targetE0EEEvSF_.has_dyn_sized_stack, 0
	.set _ZN7rocprim17ROCPRIM_400000_NS6detail17trampoline_kernelINS0_14default_configENS1_38merge_sort_block_merge_config_selectorIlNS0_10empty_typeEEEZZNS1_27merge_sort_block_merge_implIS3_PlPS5_jNS1_19radix_merge_compareILb1ELb0ElNS0_19identity_decomposerEEEEE10hipError_tT0_T1_T2_jT3_P12ihipStream_tbPNSt15iterator_traitsISE_E10value_typeEPNSK_ISF_E10value_typeEPSG_NS1_7vsmem_tEENKUlT_SE_SF_SG_E_clIS8_S8_S9_S9_EESD_ST_SE_SF_SG_EUlST_E1_NS1_11comp_targetILNS1_3genE0ELNS1_11target_archE4294967295ELNS1_3gpuE0ELNS1_3repE0EEENS1_36merge_oddeven_config_static_selectorELNS0_4arch9wavefront6targetE0EEEvSF_.has_recursion, 0
	.set _ZN7rocprim17ROCPRIM_400000_NS6detail17trampoline_kernelINS0_14default_configENS1_38merge_sort_block_merge_config_selectorIlNS0_10empty_typeEEEZZNS1_27merge_sort_block_merge_implIS3_PlPS5_jNS1_19radix_merge_compareILb1ELb0ElNS0_19identity_decomposerEEEEE10hipError_tT0_T1_T2_jT3_P12ihipStream_tbPNSt15iterator_traitsISE_E10value_typeEPNSK_ISF_E10value_typeEPSG_NS1_7vsmem_tEENKUlT_SE_SF_SG_E_clIS8_S8_S9_S9_EESD_ST_SE_SF_SG_EUlST_E1_NS1_11comp_targetILNS1_3genE0ELNS1_11target_archE4294967295ELNS1_3gpuE0ELNS1_3repE0EEENS1_36merge_oddeven_config_static_selectorELNS0_4arch9wavefront6targetE0EEEvSF_.has_indirect_call, 0
	.section	.AMDGPU.csdata,"",@progbits
; Kernel info:
; codeLenInByte = 636
; TotalNumSgprs: 18
; NumVgprs: 9
; ScratchSize: 0
; MemoryBound: 0
; FloatMode: 240
; IeeeMode: 1
; LDSByteSize: 0 bytes/workgroup (compile time only)
; SGPRBlocks: 0
; VGPRBlocks: 0
; NumSGPRsForWavesPerEU: 18
; NumVGPRsForWavesPerEU: 9
; NamedBarCnt: 0
; Occupancy: 16
; WaveLimiterHint : 0
; COMPUTE_PGM_RSRC2:SCRATCH_EN: 0
; COMPUTE_PGM_RSRC2:USER_SGPR: 2
; COMPUTE_PGM_RSRC2:TRAP_HANDLER: 0
; COMPUTE_PGM_RSRC2:TGID_X_EN: 1
; COMPUTE_PGM_RSRC2:TGID_Y_EN: 0
; COMPUTE_PGM_RSRC2:TGID_Z_EN: 0
; COMPUTE_PGM_RSRC2:TIDIG_COMP_CNT: 0
	.section	.text._ZN7rocprim17ROCPRIM_400000_NS6detail17trampoline_kernelINS0_14default_configENS1_38merge_sort_block_merge_config_selectorIlNS0_10empty_typeEEEZZNS1_27merge_sort_block_merge_implIS3_PlPS5_jNS1_19radix_merge_compareILb1ELb0ElNS0_19identity_decomposerEEEEE10hipError_tT0_T1_T2_jT3_P12ihipStream_tbPNSt15iterator_traitsISE_E10value_typeEPNSK_ISF_E10value_typeEPSG_NS1_7vsmem_tEENKUlT_SE_SF_SG_E_clIS8_S8_S9_S9_EESD_ST_SE_SF_SG_EUlST_E1_NS1_11comp_targetILNS1_3genE10ELNS1_11target_archE1201ELNS1_3gpuE5ELNS1_3repE0EEENS1_36merge_oddeven_config_static_selectorELNS0_4arch9wavefront6targetE0EEEvSF_,"axG",@progbits,_ZN7rocprim17ROCPRIM_400000_NS6detail17trampoline_kernelINS0_14default_configENS1_38merge_sort_block_merge_config_selectorIlNS0_10empty_typeEEEZZNS1_27merge_sort_block_merge_implIS3_PlPS5_jNS1_19radix_merge_compareILb1ELb0ElNS0_19identity_decomposerEEEEE10hipError_tT0_T1_T2_jT3_P12ihipStream_tbPNSt15iterator_traitsISE_E10value_typeEPNSK_ISF_E10value_typeEPSG_NS1_7vsmem_tEENKUlT_SE_SF_SG_E_clIS8_S8_S9_S9_EESD_ST_SE_SF_SG_EUlST_E1_NS1_11comp_targetILNS1_3genE10ELNS1_11target_archE1201ELNS1_3gpuE5ELNS1_3repE0EEENS1_36merge_oddeven_config_static_selectorELNS0_4arch9wavefront6targetE0EEEvSF_,comdat
	.protected	_ZN7rocprim17ROCPRIM_400000_NS6detail17trampoline_kernelINS0_14default_configENS1_38merge_sort_block_merge_config_selectorIlNS0_10empty_typeEEEZZNS1_27merge_sort_block_merge_implIS3_PlPS5_jNS1_19radix_merge_compareILb1ELb0ElNS0_19identity_decomposerEEEEE10hipError_tT0_T1_T2_jT3_P12ihipStream_tbPNSt15iterator_traitsISE_E10value_typeEPNSK_ISF_E10value_typeEPSG_NS1_7vsmem_tEENKUlT_SE_SF_SG_E_clIS8_S8_S9_S9_EESD_ST_SE_SF_SG_EUlST_E1_NS1_11comp_targetILNS1_3genE10ELNS1_11target_archE1201ELNS1_3gpuE5ELNS1_3repE0EEENS1_36merge_oddeven_config_static_selectorELNS0_4arch9wavefront6targetE0EEEvSF_ ; -- Begin function _ZN7rocprim17ROCPRIM_400000_NS6detail17trampoline_kernelINS0_14default_configENS1_38merge_sort_block_merge_config_selectorIlNS0_10empty_typeEEEZZNS1_27merge_sort_block_merge_implIS3_PlPS5_jNS1_19radix_merge_compareILb1ELb0ElNS0_19identity_decomposerEEEEE10hipError_tT0_T1_T2_jT3_P12ihipStream_tbPNSt15iterator_traitsISE_E10value_typeEPNSK_ISF_E10value_typeEPSG_NS1_7vsmem_tEENKUlT_SE_SF_SG_E_clIS8_S8_S9_S9_EESD_ST_SE_SF_SG_EUlST_E1_NS1_11comp_targetILNS1_3genE10ELNS1_11target_archE1201ELNS1_3gpuE5ELNS1_3repE0EEENS1_36merge_oddeven_config_static_selectorELNS0_4arch9wavefront6targetE0EEEvSF_
	.globl	_ZN7rocprim17ROCPRIM_400000_NS6detail17trampoline_kernelINS0_14default_configENS1_38merge_sort_block_merge_config_selectorIlNS0_10empty_typeEEEZZNS1_27merge_sort_block_merge_implIS3_PlPS5_jNS1_19radix_merge_compareILb1ELb0ElNS0_19identity_decomposerEEEEE10hipError_tT0_T1_T2_jT3_P12ihipStream_tbPNSt15iterator_traitsISE_E10value_typeEPNSK_ISF_E10value_typeEPSG_NS1_7vsmem_tEENKUlT_SE_SF_SG_E_clIS8_S8_S9_S9_EESD_ST_SE_SF_SG_EUlST_E1_NS1_11comp_targetILNS1_3genE10ELNS1_11target_archE1201ELNS1_3gpuE5ELNS1_3repE0EEENS1_36merge_oddeven_config_static_selectorELNS0_4arch9wavefront6targetE0EEEvSF_
	.p2align	8
	.type	_ZN7rocprim17ROCPRIM_400000_NS6detail17trampoline_kernelINS0_14default_configENS1_38merge_sort_block_merge_config_selectorIlNS0_10empty_typeEEEZZNS1_27merge_sort_block_merge_implIS3_PlPS5_jNS1_19radix_merge_compareILb1ELb0ElNS0_19identity_decomposerEEEEE10hipError_tT0_T1_T2_jT3_P12ihipStream_tbPNSt15iterator_traitsISE_E10value_typeEPNSK_ISF_E10value_typeEPSG_NS1_7vsmem_tEENKUlT_SE_SF_SG_E_clIS8_S8_S9_S9_EESD_ST_SE_SF_SG_EUlST_E1_NS1_11comp_targetILNS1_3genE10ELNS1_11target_archE1201ELNS1_3gpuE5ELNS1_3repE0EEENS1_36merge_oddeven_config_static_selectorELNS0_4arch9wavefront6targetE0EEEvSF_,@function
_ZN7rocprim17ROCPRIM_400000_NS6detail17trampoline_kernelINS0_14default_configENS1_38merge_sort_block_merge_config_selectorIlNS0_10empty_typeEEEZZNS1_27merge_sort_block_merge_implIS3_PlPS5_jNS1_19radix_merge_compareILb1ELb0ElNS0_19identity_decomposerEEEEE10hipError_tT0_T1_T2_jT3_P12ihipStream_tbPNSt15iterator_traitsISE_E10value_typeEPNSK_ISF_E10value_typeEPSG_NS1_7vsmem_tEENKUlT_SE_SF_SG_E_clIS8_S8_S9_S9_EESD_ST_SE_SF_SG_EUlST_E1_NS1_11comp_targetILNS1_3genE10ELNS1_11target_archE1201ELNS1_3gpuE5ELNS1_3repE0EEENS1_36merge_oddeven_config_static_selectorELNS0_4arch9wavefront6targetE0EEEvSF_: ; @_ZN7rocprim17ROCPRIM_400000_NS6detail17trampoline_kernelINS0_14default_configENS1_38merge_sort_block_merge_config_selectorIlNS0_10empty_typeEEEZZNS1_27merge_sort_block_merge_implIS3_PlPS5_jNS1_19radix_merge_compareILb1ELb0ElNS0_19identity_decomposerEEEEE10hipError_tT0_T1_T2_jT3_P12ihipStream_tbPNSt15iterator_traitsISE_E10value_typeEPNSK_ISF_E10value_typeEPSG_NS1_7vsmem_tEENKUlT_SE_SF_SG_E_clIS8_S8_S9_S9_EESD_ST_SE_SF_SG_EUlST_E1_NS1_11comp_targetILNS1_3genE10ELNS1_11target_archE1201ELNS1_3gpuE5ELNS1_3repE0EEENS1_36merge_oddeven_config_static_selectorELNS0_4arch9wavefront6targetE0EEEvSF_
; %bb.0:
	.section	.rodata,"a",@progbits
	.p2align	6, 0x0
	.amdhsa_kernel _ZN7rocprim17ROCPRIM_400000_NS6detail17trampoline_kernelINS0_14default_configENS1_38merge_sort_block_merge_config_selectorIlNS0_10empty_typeEEEZZNS1_27merge_sort_block_merge_implIS3_PlPS5_jNS1_19radix_merge_compareILb1ELb0ElNS0_19identity_decomposerEEEEE10hipError_tT0_T1_T2_jT3_P12ihipStream_tbPNSt15iterator_traitsISE_E10value_typeEPNSK_ISF_E10value_typeEPSG_NS1_7vsmem_tEENKUlT_SE_SF_SG_E_clIS8_S8_S9_S9_EESD_ST_SE_SF_SG_EUlST_E1_NS1_11comp_targetILNS1_3genE10ELNS1_11target_archE1201ELNS1_3gpuE5ELNS1_3repE0EEENS1_36merge_oddeven_config_static_selectorELNS0_4arch9wavefront6targetE0EEEvSF_
		.amdhsa_group_segment_fixed_size 0
		.amdhsa_private_segment_fixed_size 0
		.amdhsa_kernarg_size 48
		.amdhsa_user_sgpr_count 2
		.amdhsa_user_sgpr_dispatch_ptr 0
		.amdhsa_user_sgpr_queue_ptr 0
		.amdhsa_user_sgpr_kernarg_segment_ptr 1
		.amdhsa_user_sgpr_dispatch_id 0
		.amdhsa_user_sgpr_kernarg_preload_length 0
		.amdhsa_user_sgpr_kernarg_preload_offset 0
		.amdhsa_user_sgpr_private_segment_size 0
		.amdhsa_wavefront_size32 1
		.amdhsa_uses_dynamic_stack 0
		.amdhsa_enable_private_segment 0
		.amdhsa_system_sgpr_workgroup_id_x 1
		.amdhsa_system_sgpr_workgroup_id_y 0
		.amdhsa_system_sgpr_workgroup_id_z 0
		.amdhsa_system_sgpr_workgroup_info 0
		.amdhsa_system_vgpr_workitem_id 0
		.amdhsa_next_free_vgpr 1
		.amdhsa_next_free_sgpr 1
		.amdhsa_named_barrier_count 0
		.amdhsa_reserve_vcc 0
		.amdhsa_float_round_mode_32 0
		.amdhsa_float_round_mode_16_64 0
		.amdhsa_float_denorm_mode_32 3
		.amdhsa_float_denorm_mode_16_64 3
		.amdhsa_fp16_overflow 0
		.amdhsa_memory_ordered 1
		.amdhsa_forward_progress 1
		.amdhsa_inst_pref_size 0
		.amdhsa_round_robin_scheduling 0
		.amdhsa_exception_fp_ieee_invalid_op 0
		.amdhsa_exception_fp_denorm_src 0
		.amdhsa_exception_fp_ieee_div_zero 0
		.amdhsa_exception_fp_ieee_overflow 0
		.amdhsa_exception_fp_ieee_underflow 0
		.amdhsa_exception_fp_ieee_inexact 0
		.amdhsa_exception_int_div_zero 0
	.end_amdhsa_kernel
	.section	.text._ZN7rocprim17ROCPRIM_400000_NS6detail17trampoline_kernelINS0_14default_configENS1_38merge_sort_block_merge_config_selectorIlNS0_10empty_typeEEEZZNS1_27merge_sort_block_merge_implIS3_PlPS5_jNS1_19radix_merge_compareILb1ELb0ElNS0_19identity_decomposerEEEEE10hipError_tT0_T1_T2_jT3_P12ihipStream_tbPNSt15iterator_traitsISE_E10value_typeEPNSK_ISF_E10value_typeEPSG_NS1_7vsmem_tEENKUlT_SE_SF_SG_E_clIS8_S8_S9_S9_EESD_ST_SE_SF_SG_EUlST_E1_NS1_11comp_targetILNS1_3genE10ELNS1_11target_archE1201ELNS1_3gpuE5ELNS1_3repE0EEENS1_36merge_oddeven_config_static_selectorELNS0_4arch9wavefront6targetE0EEEvSF_,"axG",@progbits,_ZN7rocprim17ROCPRIM_400000_NS6detail17trampoline_kernelINS0_14default_configENS1_38merge_sort_block_merge_config_selectorIlNS0_10empty_typeEEEZZNS1_27merge_sort_block_merge_implIS3_PlPS5_jNS1_19radix_merge_compareILb1ELb0ElNS0_19identity_decomposerEEEEE10hipError_tT0_T1_T2_jT3_P12ihipStream_tbPNSt15iterator_traitsISE_E10value_typeEPNSK_ISF_E10value_typeEPSG_NS1_7vsmem_tEENKUlT_SE_SF_SG_E_clIS8_S8_S9_S9_EESD_ST_SE_SF_SG_EUlST_E1_NS1_11comp_targetILNS1_3genE10ELNS1_11target_archE1201ELNS1_3gpuE5ELNS1_3repE0EEENS1_36merge_oddeven_config_static_selectorELNS0_4arch9wavefront6targetE0EEEvSF_,comdat
.Lfunc_end1031:
	.size	_ZN7rocprim17ROCPRIM_400000_NS6detail17trampoline_kernelINS0_14default_configENS1_38merge_sort_block_merge_config_selectorIlNS0_10empty_typeEEEZZNS1_27merge_sort_block_merge_implIS3_PlPS5_jNS1_19radix_merge_compareILb1ELb0ElNS0_19identity_decomposerEEEEE10hipError_tT0_T1_T2_jT3_P12ihipStream_tbPNSt15iterator_traitsISE_E10value_typeEPNSK_ISF_E10value_typeEPSG_NS1_7vsmem_tEENKUlT_SE_SF_SG_E_clIS8_S8_S9_S9_EESD_ST_SE_SF_SG_EUlST_E1_NS1_11comp_targetILNS1_3genE10ELNS1_11target_archE1201ELNS1_3gpuE5ELNS1_3repE0EEENS1_36merge_oddeven_config_static_selectorELNS0_4arch9wavefront6targetE0EEEvSF_, .Lfunc_end1031-_ZN7rocprim17ROCPRIM_400000_NS6detail17trampoline_kernelINS0_14default_configENS1_38merge_sort_block_merge_config_selectorIlNS0_10empty_typeEEEZZNS1_27merge_sort_block_merge_implIS3_PlPS5_jNS1_19radix_merge_compareILb1ELb0ElNS0_19identity_decomposerEEEEE10hipError_tT0_T1_T2_jT3_P12ihipStream_tbPNSt15iterator_traitsISE_E10value_typeEPNSK_ISF_E10value_typeEPSG_NS1_7vsmem_tEENKUlT_SE_SF_SG_E_clIS8_S8_S9_S9_EESD_ST_SE_SF_SG_EUlST_E1_NS1_11comp_targetILNS1_3genE10ELNS1_11target_archE1201ELNS1_3gpuE5ELNS1_3repE0EEENS1_36merge_oddeven_config_static_selectorELNS0_4arch9wavefront6targetE0EEEvSF_
                                        ; -- End function
	.set _ZN7rocprim17ROCPRIM_400000_NS6detail17trampoline_kernelINS0_14default_configENS1_38merge_sort_block_merge_config_selectorIlNS0_10empty_typeEEEZZNS1_27merge_sort_block_merge_implIS3_PlPS5_jNS1_19radix_merge_compareILb1ELb0ElNS0_19identity_decomposerEEEEE10hipError_tT0_T1_T2_jT3_P12ihipStream_tbPNSt15iterator_traitsISE_E10value_typeEPNSK_ISF_E10value_typeEPSG_NS1_7vsmem_tEENKUlT_SE_SF_SG_E_clIS8_S8_S9_S9_EESD_ST_SE_SF_SG_EUlST_E1_NS1_11comp_targetILNS1_3genE10ELNS1_11target_archE1201ELNS1_3gpuE5ELNS1_3repE0EEENS1_36merge_oddeven_config_static_selectorELNS0_4arch9wavefront6targetE0EEEvSF_.num_vgpr, 0
	.set _ZN7rocprim17ROCPRIM_400000_NS6detail17trampoline_kernelINS0_14default_configENS1_38merge_sort_block_merge_config_selectorIlNS0_10empty_typeEEEZZNS1_27merge_sort_block_merge_implIS3_PlPS5_jNS1_19radix_merge_compareILb1ELb0ElNS0_19identity_decomposerEEEEE10hipError_tT0_T1_T2_jT3_P12ihipStream_tbPNSt15iterator_traitsISE_E10value_typeEPNSK_ISF_E10value_typeEPSG_NS1_7vsmem_tEENKUlT_SE_SF_SG_E_clIS8_S8_S9_S9_EESD_ST_SE_SF_SG_EUlST_E1_NS1_11comp_targetILNS1_3genE10ELNS1_11target_archE1201ELNS1_3gpuE5ELNS1_3repE0EEENS1_36merge_oddeven_config_static_selectorELNS0_4arch9wavefront6targetE0EEEvSF_.num_agpr, 0
	.set _ZN7rocprim17ROCPRIM_400000_NS6detail17trampoline_kernelINS0_14default_configENS1_38merge_sort_block_merge_config_selectorIlNS0_10empty_typeEEEZZNS1_27merge_sort_block_merge_implIS3_PlPS5_jNS1_19radix_merge_compareILb1ELb0ElNS0_19identity_decomposerEEEEE10hipError_tT0_T1_T2_jT3_P12ihipStream_tbPNSt15iterator_traitsISE_E10value_typeEPNSK_ISF_E10value_typeEPSG_NS1_7vsmem_tEENKUlT_SE_SF_SG_E_clIS8_S8_S9_S9_EESD_ST_SE_SF_SG_EUlST_E1_NS1_11comp_targetILNS1_3genE10ELNS1_11target_archE1201ELNS1_3gpuE5ELNS1_3repE0EEENS1_36merge_oddeven_config_static_selectorELNS0_4arch9wavefront6targetE0EEEvSF_.numbered_sgpr, 0
	.set _ZN7rocprim17ROCPRIM_400000_NS6detail17trampoline_kernelINS0_14default_configENS1_38merge_sort_block_merge_config_selectorIlNS0_10empty_typeEEEZZNS1_27merge_sort_block_merge_implIS3_PlPS5_jNS1_19radix_merge_compareILb1ELb0ElNS0_19identity_decomposerEEEEE10hipError_tT0_T1_T2_jT3_P12ihipStream_tbPNSt15iterator_traitsISE_E10value_typeEPNSK_ISF_E10value_typeEPSG_NS1_7vsmem_tEENKUlT_SE_SF_SG_E_clIS8_S8_S9_S9_EESD_ST_SE_SF_SG_EUlST_E1_NS1_11comp_targetILNS1_3genE10ELNS1_11target_archE1201ELNS1_3gpuE5ELNS1_3repE0EEENS1_36merge_oddeven_config_static_selectorELNS0_4arch9wavefront6targetE0EEEvSF_.num_named_barrier, 0
	.set _ZN7rocprim17ROCPRIM_400000_NS6detail17trampoline_kernelINS0_14default_configENS1_38merge_sort_block_merge_config_selectorIlNS0_10empty_typeEEEZZNS1_27merge_sort_block_merge_implIS3_PlPS5_jNS1_19radix_merge_compareILb1ELb0ElNS0_19identity_decomposerEEEEE10hipError_tT0_T1_T2_jT3_P12ihipStream_tbPNSt15iterator_traitsISE_E10value_typeEPNSK_ISF_E10value_typeEPSG_NS1_7vsmem_tEENKUlT_SE_SF_SG_E_clIS8_S8_S9_S9_EESD_ST_SE_SF_SG_EUlST_E1_NS1_11comp_targetILNS1_3genE10ELNS1_11target_archE1201ELNS1_3gpuE5ELNS1_3repE0EEENS1_36merge_oddeven_config_static_selectorELNS0_4arch9wavefront6targetE0EEEvSF_.private_seg_size, 0
	.set _ZN7rocprim17ROCPRIM_400000_NS6detail17trampoline_kernelINS0_14default_configENS1_38merge_sort_block_merge_config_selectorIlNS0_10empty_typeEEEZZNS1_27merge_sort_block_merge_implIS3_PlPS5_jNS1_19radix_merge_compareILb1ELb0ElNS0_19identity_decomposerEEEEE10hipError_tT0_T1_T2_jT3_P12ihipStream_tbPNSt15iterator_traitsISE_E10value_typeEPNSK_ISF_E10value_typeEPSG_NS1_7vsmem_tEENKUlT_SE_SF_SG_E_clIS8_S8_S9_S9_EESD_ST_SE_SF_SG_EUlST_E1_NS1_11comp_targetILNS1_3genE10ELNS1_11target_archE1201ELNS1_3gpuE5ELNS1_3repE0EEENS1_36merge_oddeven_config_static_selectorELNS0_4arch9wavefront6targetE0EEEvSF_.uses_vcc, 0
	.set _ZN7rocprim17ROCPRIM_400000_NS6detail17trampoline_kernelINS0_14default_configENS1_38merge_sort_block_merge_config_selectorIlNS0_10empty_typeEEEZZNS1_27merge_sort_block_merge_implIS3_PlPS5_jNS1_19radix_merge_compareILb1ELb0ElNS0_19identity_decomposerEEEEE10hipError_tT0_T1_T2_jT3_P12ihipStream_tbPNSt15iterator_traitsISE_E10value_typeEPNSK_ISF_E10value_typeEPSG_NS1_7vsmem_tEENKUlT_SE_SF_SG_E_clIS8_S8_S9_S9_EESD_ST_SE_SF_SG_EUlST_E1_NS1_11comp_targetILNS1_3genE10ELNS1_11target_archE1201ELNS1_3gpuE5ELNS1_3repE0EEENS1_36merge_oddeven_config_static_selectorELNS0_4arch9wavefront6targetE0EEEvSF_.uses_flat_scratch, 0
	.set _ZN7rocprim17ROCPRIM_400000_NS6detail17trampoline_kernelINS0_14default_configENS1_38merge_sort_block_merge_config_selectorIlNS0_10empty_typeEEEZZNS1_27merge_sort_block_merge_implIS3_PlPS5_jNS1_19radix_merge_compareILb1ELb0ElNS0_19identity_decomposerEEEEE10hipError_tT0_T1_T2_jT3_P12ihipStream_tbPNSt15iterator_traitsISE_E10value_typeEPNSK_ISF_E10value_typeEPSG_NS1_7vsmem_tEENKUlT_SE_SF_SG_E_clIS8_S8_S9_S9_EESD_ST_SE_SF_SG_EUlST_E1_NS1_11comp_targetILNS1_3genE10ELNS1_11target_archE1201ELNS1_3gpuE5ELNS1_3repE0EEENS1_36merge_oddeven_config_static_selectorELNS0_4arch9wavefront6targetE0EEEvSF_.has_dyn_sized_stack, 0
	.set _ZN7rocprim17ROCPRIM_400000_NS6detail17trampoline_kernelINS0_14default_configENS1_38merge_sort_block_merge_config_selectorIlNS0_10empty_typeEEEZZNS1_27merge_sort_block_merge_implIS3_PlPS5_jNS1_19radix_merge_compareILb1ELb0ElNS0_19identity_decomposerEEEEE10hipError_tT0_T1_T2_jT3_P12ihipStream_tbPNSt15iterator_traitsISE_E10value_typeEPNSK_ISF_E10value_typeEPSG_NS1_7vsmem_tEENKUlT_SE_SF_SG_E_clIS8_S8_S9_S9_EESD_ST_SE_SF_SG_EUlST_E1_NS1_11comp_targetILNS1_3genE10ELNS1_11target_archE1201ELNS1_3gpuE5ELNS1_3repE0EEENS1_36merge_oddeven_config_static_selectorELNS0_4arch9wavefront6targetE0EEEvSF_.has_recursion, 0
	.set _ZN7rocprim17ROCPRIM_400000_NS6detail17trampoline_kernelINS0_14default_configENS1_38merge_sort_block_merge_config_selectorIlNS0_10empty_typeEEEZZNS1_27merge_sort_block_merge_implIS3_PlPS5_jNS1_19radix_merge_compareILb1ELb0ElNS0_19identity_decomposerEEEEE10hipError_tT0_T1_T2_jT3_P12ihipStream_tbPNSt15iterator_traitsISE_E10value_typeEPNSK_ISF_E10value_typeEPSG_NS1_7vsmem_tEENKUlT_SE_SF_SG_E_clIS8_S8_S9_S9_EESD_ST_SE_SF_SG_EUlST_E1_NS1_11comp_targetILNS1_3genE10ELNS1_11target_archE1201ELNS1_3gpuE5ELNS1_3repE0EEENS1_36merge_oddeven_config_static_selectorELNS0_4arch9wavefront6targetE0EEEvSF_.has_indirect_call, 0
	.section	.AMDGPU.csdata,"",@progbits
; Kernel info:
; codeLenInByte = 0
; TotalNumSgprs: 0
; NumVgprs: 0
; ScratchSize: 0
; MemoryBound: 0
; FloatMode: 240
; IeeeMode: 1
; LDSByteSize: 0 bytes/workgroup (compile time only)
; SGPRBlocks: 0
; VGPRBlocks: 0
; NumSGPRsForWavesPerEU: 1
; NumVGPRsForWavesPerEU: 1
; NamedBarCnt: 0
; Occupancy: 16
; WaveLimiterHint : 0
; COMPUTE_PGM_RSRC2:SCRATCH_EN: 0
; COMPUTE_PGM_RSRC2:USER_SGPR: 2
; COMPUTE_PGM_RSRC2:TRAP_HANDLER: 0
; COMPUTE_PGM_RSRC2:TGID_X_EN: 1
; COMPUTE_PGM_RSRC2:TGID_Y_EN: 0
; COMPUTE_PGM_RSRC2:TGID_Z_EN: 0
; COMPUTE_PGM_RSRC2:TIDIG_COMP_CNT: 0
	.section	.text._ZN7rocprim17ROCPRIM_400000_NS6detail17trampoline_kernelINS0_14default_configENS1_38merge_sort_block_merge_config_selectorIlNS0_10empty_typeEEEZZNS1_27merge_sort_block_merge_implIS3_PlPS5_jNS1_19radix_merge_compareILb1ELb0ElNS0_19identity_decomposerEEEEE10hipError_tT0_T1_T2_jT3_P12ihipStream_tbPNSt15iterator_traitsISE_E10value_typeEPNSK_ISF_E10value_typeEPSG_NS1_7vsmem_tEENKUlT_SE_SF_SG_E_clIS8_S8_S9_S9_EESD_ST_SE_SF_SG_EUlST_E1_NS1_11comp_targetILNS1_3genE5ELNS1_11target_archE942ELNS1_3gpuE9ELNS1_3repE0EEENS1_36merge_oddeven_config_static_selectorELNS0_4arch9wavefront6targetE0EEEvSF_,"axG",@progbits,_ZN7rocprim17ROCPRIM_400000_NS6detail17trampoline_kernelINS0_14default_configENS1_38merge_sort_block_merge_config_selectorIlNS0_10empty_typeEEEZZNS1_27merge_sort_block_merge_implIS3_PlPS5_jNS1_19radix_merge_compareILb1ELb0ElNS0_19identity_decomposerEEEEE10hipError_tT0_T1_T2_jT3_P12ihipStream_tbPNSt15iterator_traitsISE_E10value_typeEPNSK_ISF_E10value_typeEPSG_NS1_7vsmem_tEENKUlT_SE_SF_SG_E_clIS8_S8_S9_S9_EESD_ST_SE_SF_SG_EUlST_E1_NS1_11comp_targetILNS1_3genE5ELNS1_11target_archE942ELNS1_3gpuE9ELNS1_3repE0EEENS1_36merge_oddeven_config_static_selectorELNS0_4arch9wavefront6targetE0EEEvSF_,comdat
	.protected	_ZN7rocprim17ROCPRIM_400000_NS6detail17trampoline_kernelINS0_14default_configENS1_38merge_sort_block_merge_config_selectorIlNS0_10empty_typeEEEZZNS1_27merge_sort_block_merge_implIS3_PlPS5_jNS1_19radix_merge_compareILb1ELb0ElNS0_19identity_decomposerEEEEE10hipError_tT0_T1_T2_jT3_P12ihipStream_tbPNSt15iterator_traitsISE_E10value_typeEPNSK_ISF_E10value_typeEPSG_NS1_7vsmem_tEENKUlT_SE_SF_SG_E_clIS8_S8_S9_S9_EESD_ST_SE_SF_SG_EUlST_E1_NS1_11comp_targetILNS1_3genE5ELNS1_11target_archE942ELNS1_3gpuE9ELNS1_3repE0EEENS1_36merge_oddeven_config_static_selectorELNS0_4arch9wavefront6targetE0EEEvSF_ ; -- Begin function _ZN7rocprim17ROCPRIM_400000_NS6detail17trampoline_kernelINS0_14default_configENS1_38merge_sort_block_merge_config_selectorIlNS0_10empty_typeEEEZZNS1_27merge_sort_block_merge_implIS3_PlPS5_jNS1_19radix_merge_compareILb1ELb0ElNS0_19identity_decomposerEEEEE10hipError_tT0_T1_T2_jT3_P12ihipStream_tbPNSt15iterator_traitsISE_E10value_typeEPNSK_ISF_E10value_typeEPSG_NS1_7vsmem_tEENKUlT_SE_SF_SG_E_clIS8_S8_S9_S9_EESD_ST_SE_SF_SG_EUlST_E1_NS1_11comp_targetILNS1_3genE5ELNS1_11target_archE942ELNS1_3gpuE9ELNS1_3repE0EEENS1_36merge_oddeven_config_static_selectorELNS0_4arch9wavefront6targetE0EEEvSF_
	.globl	_ZN7rocprim17ROCPRIM_400000_NS6detail17trampoline_kernelINS0_14default_configENS1_38merge_sort_block_merge_config_selectorIlNS0_10empty_typeEEEZZNS1_27merge_sort_block_merge_implIS3_PlPS5_jNS1_19radix_merge_compareILb1ELb0ElNS0_19identity_decomposerEEEEE10hipError_tT0_T1_T2_jT3_P12ihipStream_tbPNSt15iterator_traitsISE_E10value_typeEPNSK_ISF_E10value_typeEPSG_NS1_7vsmem_tEENKUlT_SE_SF_SG_E_clIS8_S8_S9_S9_EESD_ST_SE_SF_SG_EUlST_E1_NS1_11comp_targetILNS1_3genE5ELNS1_11target_archE942ELNS1_3gpuE9ELNS1_3repE0EEENS1_36merge_oddeven_config_static_selectorELNS0_4arch9wavefront6targetE0EEEvSF_
	.p2align	8
	.type	_ZN7rocprim17ROCPRIM_400000_NS6detail17trampoline_kernelINS0_14default_configENS1_38merge_sort_block_merge_config_selectorIlNS0_10empty_typeEEEZZNS1_27merge_sort_block_merge_implIS3_PlPS5_jNS1_19radix_merge_compareILb1ELb0ElNS0_19identity_decomposerEEEEE10hipError_tT0_T1_T2_jT3_P12ihipStream_tbPNSt15iterator_traitsISE_E10value_typeEPNSK_ISF_E10value_typeEPSG_NS1_7vsmem_tEENKUlT_SE_SF_SG_E_clIS8_S8_S9_S9_EESD_ST_SE_SF_SG_EUlST_E1_NS1_11comp_targetILNS1_3genE5ELNS1_11target_archE942ELNS1_3gpuE9ELNS1_3repE0EEENS1_36merge_oddeven_config_static_selectorELNS0_4arch9wavefront6targetE0EEEvSF_,@function
_ZN7rocprim17ROCPRIM_400000_NS6detail17trampoline_kernelINS0_14default_configENS1_38merge_sort_block_merge_config_selectorIlNS0_10empty_typeEEEZZNS1_27merge_sort_block_merge_implIS3_PlPS5_jNS1_19radix_merge_compareILb1ELb0ElNS0_19identity_decomposerEEEEE10hipError_tT0_T1_T2_jT3_P12ihipStream_tbPNSt15iterator_traitsISE_E10value_typeEPNSK_ISF_E10value_typeEPSG_NS1_7vsmem_tEENKUlT_SE_SF_SG_E_clIS8_S8_S9_S9_EESD_ST_SE_SF_SG_EUlST_E1_NS1_11comp_targetILNS1_3genE5ELNS1_11target_archE942ELNS1_3gpuE9ELNS1_3repE0EEENS1_36merge_oddeven_config_static_selectorELNS0_4arch9wavefront6targetE0EEEvSF_: ; @_ZN7rocprim17ROCPRIM_400000_NS6detail17trampoline_kernelINS0_14default_configENS1_38merge_sort_block_merge_config_selectorIlNS0_10empty_typeEEEZZNS1_27merge_sort_block_merge_implIS3_PlPS5_jNS1_19radix_merge_compareILb1ELb0ElNS0_19identity_decomposerEEEEE10hipError_tT0_T1_T2_jT3_P12ihipStream_tbPNSt15iterator_traitsISE_E10value_typeEPNSK_ISF_E10value_typeEPSG_NS1_7vsmem_tEENKUlT_SE_SF_SG_E_clIS8_S8_S9_S9_EESD_ST_SE_SF_SG_EUlST_E1_NS1_11comp_targetILNS1_3genE5ELNS1_11target_archE942ELNS1_3gpuE9ELNS1_3repE0EEENS1_36merge_oddeven_config_static_selectorELNS0_4arch9wavefront6targetE0EEEvSF_
; %bb.0:
	.section	.rodata,"a",@progbits
	.p2align	6, 0x0
	.amdhsa_kernel _ZN7rocprim17ROCPRIM_400000_NS6detail17trampoline_kernelINS0_14default_configENS1_38merge_sort_block_merge_config_selectorIlNS0_10empty_typeEEEZZNS1_27merge_sort_block_merge_implIS3_PlPS5_jNS1_19radix_merge_compareILb1ELb0ElNS0_19identity_decomposerEEEEE10hipError_tT0_T1_T2_jT3_P12ihipStream_tbPNSt15iterator_traitsISE_E10value_typeEPNSK_ISF_E10value_typeEPSG_NS1_7vsmem_tEENKUlT_SE_SF_SG_E_clIS8_S8_S9_S9_EESD_ST_SE_SF_SG_EUlST_E1_NS1_11comp_targetILNS1_3genE5ELNS1_11target_archE942ELNS1_3gpuE9ELNS1_3repE0EEENS1_36merge_oddeven_config_static_selectorELNS0_4arch9wavefront6targetE0EEEvSF_
		.amdhsa_group_segment_fixed_size 0
		.amdhsa_private_segment_fixed_size 0
		.amdhsa_kernarg_size 48
		.amdhsa_user_sgpr_count 2
		.amdhsa_user_sgpr_dispatch_ptr 0
		.amdhsa_user_sgpr_queue_ptr 0
		.amdhsa_user_sgpr_kernarg_segment_ptr 1
		.amdhsa_user_sgpr_dispatch_id 0
		.amdhsa_user_sgpr_kernarg_preload_length 0
		.amdhsa_user_sgpr_kernarg_preload_offset 0
		.amdhsa_user_sgpr_private_segment_size 0
		.amdhsa_wavefront_size32 1
		.amdhsa_uses_dynamic_stack 0
		.amdhsa_enable_private_segment 0
		.amdhsa_system_sgpr_workgroup_id_x 1
		.amdhsa_system_sgpr_workgroup_id_y 0
		.amdhsa_system_sgpr_workgroup_id_z 0
		.amdhsa_system_sgpr_workgroup_info 0
		.amdhsa_system_vgpr_workitem_id 0
		.amdhsa_next_free_vgpr 1
		.amdhsa_next_free_sgpr 1
		.amdhsa_named_barrier_count 0
		.amdhsa_reserve_vcc 0
		.amdhsa_float_round_mode_32 0
		.amdhsa_float_round_mode_16_64 0
		.amdhsa_float_denorm_mode_32 3
		.amdhsa_float_denorm_mode_16_64 3
		.amdhsa_fp16_overflow 0
		.amdhsa_memory_ordered 1
		.amdhsa_forward_progress 1
		.amdhsa_inst_pref_size 0
		.amdhsa_round_robin_scheduling 0
		.amdhsa_exception_fp_ieee_invalid_op 0
		.amdhsa_exception_fp_denorm_src 0
		.amdhsa_exception_fp_ieee_div_zero 0
		.amdhsa_exception_fp_ieee_overflow 0
		.amdhsa_exception_fp_ieee_underflow 0
		.amdhsa_exception_fp_ieee_inexact 0
		.amdhsa_exception_int_div_zero 0
	.end_amdhsa_kernel
	.section	.text._ZN7rocprim17ROCPRIM_400000_NS6detail17trampoline_kernelINS0_14default_configENS1_38merge_sort_block_merge_config_selectorIlNS0_10empty_typeEEEZZNS1_27merge_sort_block_merge_implIS3_PlPS5_jNS1_19radix_merge_compareILb1ELb0ElNS0_19identity_decomposerEEEEE10hipError_tT0_T1_T2_jT3_P12ihipStream_tbPNSt15iterator_traitsISE_E10value_typeEPNSK_ISF_E10value_typeEPSG_NS1_7vsmem_tEENKUlT_SE_SF_SG_E_clIS8_S8_S9_S9_EESD_ST_SE_SF_SG_EUlST_E1_NS1_11comp_targetILNS1_3genE5ELNS1_11target_archE942ELNS1_3gpuE9ELNS1_3repE0EEENS1_36merge_oddeven_config_static_selectorELNS0_4arch9wavefront6targetE0EEEvSF_,"axG",@progbits,_ZN7rocprim17ROCPRIM_400000_NS6detail17trampoline_kernelINS0_14default_configENS1_38merge_sort_block_merge_config_selectorIlNS0_10empty_typeEEEZZNS1_27merge_sort_block_merge_implIS3_PlPS5_jNS1_19radix_merge_compareILb1ELb0ElNS0_19identity_decomposerEEEEE10hipError_tT0_T1_T2_jT3_P12ihipStream_tbPNSt15iterator_traitsISE_E10value_typeEPNSK_ISF_E10value_typeEPSG_NS1_7vsmem_tEENKUlT_SE_SF_SG_E_clIS8_S8_S9_S9_EESD_ST_SE_SF_SG_EUlST_E1_NS1_11comp_targetILNS1_3genE5ELNS1_11target_archE942ELNS1_3gpuE9ELNS1_3repE0EEENS1_36merge_oddeven_config_static_selectorELNS0_4arch9wavefront6targetE0EEEvSF_,comdat
.Lfunc_end1032:
	.size	_ZN7rocprim17ROCPRIM_400000_NS6detail17trampoline_kernelINS0_14default_configENS1_38merge_sort_block_merge_config_selectorIlNS0_10empty_typeEEEZZNS1_27merge_sort_block_merge_implIS3_PlPS5_jNS1_19radix_merge_compareILb1ELb0ElNS0_19identity_decomposerEEEEE10hipError_tT0_T1_T2_jT3_P12ihipStream_tbPNSt15iterator_traitsISE_E10value_typeEPNSK_ISF_E10value_typeEPSG_NS1_7vsmem_tEENKUlT_SE_SF_SG_E_clIS8_S8_S9_S9_EESD_ST_SE_SF_SG_EUlST_E1_NS1_11comp_targetILNS1_3genE5ELNS1_11target_archE942ELNS1_3gpuE9ELNS1_3repE0EEENS1_36merge_oddeven_config_static_selectorELNS0_4arch9wavefront6targetE0EEEvSF_, .Lfunc_end1032-_ZN7rocprim17ROCPRIM_400000_NS6detail17trampoline_kernelINS0_14default_configENS1_38merge_sort_block_merge_config_selectorIlNS0_10empty_typeEEEZZNS1_27merge_sort_block_merge_implIS3_PlPS5_jNS1_19radix_merge_compareILb1ELb0ElNS0_19identity_decomposerEEEEE10hipError_tT0_T1_T2_jT3_P12ihipStream_tbPNSt15iterator_traitsISE_E10value_typeEPNSK_ISF_E10value_typeEPSG_NS1_7vsmem_tEENKUlT_SE_SF_SG_E_clIS8_S8_S9_S9_EESD_ST_SE_SF_SG_EUlST_E1_NS1_11comp_targetILNS1_3genE5ELNS1_11target_archE942ELNS1_3gpuE9ELNS1_3repE0EEENS1_36merge_oddeven_config_static_selectorELNS0_4arch9wavefront6targetE0EEEvSF_
                                        ; -- End function
	.set _ZN7rocprim17ROCPRIM_400000_NS6detail17trampoline_kernelINS0_14default_configENS1_38merge_sort_block_merge_config_selectorIlNS0_10empty_typeEEEZZNS1_27merge_sort_block_merge_implIS3_PlPS5_jNS1_19radix_merge_compareILb1ELb0ElNS0_19identity_decomposerEEEEE10hipError_tT0_T1_T2_jT3_P12ihipStream_tbPNSt15iterator_traitsISE_E10value_typeEPNSK_ISF_E10value_typeEPSG_NS1_7vsmem_tEENKUlT_SE_SF_SG_E_clIS8_S8_S9_S9_EESD_ST_SE_SF_SG_EUlST_E1_NS1_11comp_targetILNS1_3genE5ELNS1_11target_archE942ELNS1_3gpuE9ELNS1_3repE0EEENS1_36merge_oddeven_config_static_selectorELNS0_4arch9wavefront6targetE0EEEvSF_.num_vgpr, 0
	.set _ZN7rocprim17ROCPRIM_400000_NS6detail17trampoline_kernelINS0_14default_configENS1_38merge_sort_block_merge_config_selectorIlNS0_10empty_typeEEEZZNS1_27merge_sort_block_merge_implIS3_PlPS5_jNS1_19radix_merge_compareILb1ELb0ElNS0_19identity_decomposerEEEEE10hipError_tT0_T1_T2_jT3_P12ihipStream_tbPNSt15iterator_traitsISE_E10value_typeEPNSK_ISF_E10value_typeEPSG_NS1_7vsmem_tEENKUlT_SE_SF_SG_E_clIS8_S8_S9_S9_EESD_ST_SE_SF_SG_EUlST_E1_NS1_11comp_targetILNS1_3genE5ELNS1_11target_archE942ELNS1_3gpuE9ELNS1_3repE0EEENS1_36merge_oddeven_config_static_selectorELNS0_4arch9wavefront6targetE0EEEvSF_.num_agpr, 0
	.set _ZN7rocprim17ROCPRIM_400000_NS6detail17trampoline_kernelINS0_14default_configENS1_38merge_sort_block_merge_config_selectorIlNS0_10empty_typeEEEZZNS1_27merge_sort_block_merge_implIS3_PlPS5_jNS1_19radix_merge_compareILb1ELb0ElNS0_19identity_decomposerEEEEE10hipError_tT0_T1_T2_jT3_P12ihipStream_tbPNSt15iterator_traitsISE_E10value_typeEPNSK_ISF_E10value_typeEPSG_NS1_7vsmem_tEENKUlT_SE_SF_SG_E_clIS8_S8_S9_S9_EESD_ST_SE_SF_SG_EUlST_E1_NS1_11comp_targetILNS1_3genE5ELNS1_11target_archE942ELNS1_3gpuE9ELNS1_3repE0EEENS1_36merge_oddeven_config_static_selectorELNS0_4arch9wavefront6targetE0EEEvSF_.numbered_sgpr, 0
	.set _ZN7rocprim17ROCPRIM_400000_NS6detail17trampoline_kernelINS0_14default_configENS1_38merge_sort_block_merge_config_selectorIlNS0_10empty_typeEEEZZNS1_27merge_sort_block_merge_implIS3_PlPS5_jNS1_19radix_merge_compareILb1ELb0ElNS0_19identity_decomposerEEEEE10hipError_tT0_T1_T2_jT3_P12ihipStream_tbPNSt15iterator_traitsISE_E10value_typeEPNSK_ISF_E10value_typeEPSG_NS1_7vsmem_tEENKUlT_SE_SF_SG_E_clIS8_S8_S9_S9_EESD_ST_SE_SF_SG_EUlST_E1_NS1_11comp_targetILNS1_3genE5ELNS1_11target_archE942ELNS1_3gpuE9ELNS1_3repE0EEENS1_36merge_oddeven_config_static_selectorELNS0_4arch9wavefront6targetE0EEEvSF_.num_named_barrier, 0
	.set _ZN7rocprim17ROCPRIM_400000_NS6detail17trampoline_kernelINS0_14default_configENS1_38merge_sort_block_merge_config_selectorIlNS0_10empty_typeEEEZZNS1_27merge_sort_block_merge_implIS3_PlPS5_jNS1_19radix_merge_compareILb1ELb0ElNS0_19identity_decomposerEEEEE10hipError_tT0_T1_T2_jT3_P12ihipStream_tbPNSt15iterator_traitsISE_E10value_typeEPNSK_ISF_E10value_typeEPSG_NS1_7vsmem_tEENKUlT_SE_SF_SG_E_clIS8_S8_S9_S9_EESD_ST_SE_SF_SG_EUlST_E1_NS1_11comp_targetILNS1_3genE5ELNS1_11target_archE942ELNS1_3gpuE9ELNS1_3repE0EEENS1_36merge_oddeven_config_static_selectorELNS0_4arch9wavefront6targetE0EEEvSF_.private_seg_size, 0
	.set _ZN7rocprim17ROCPRIM_400000_NS6detail17trampoline_kernelINS0_14default_configENS1_38merge_sort_block_merge_config_selectorIlNS0_10empty_typeEEEZZNS1_27merge_sort_block_merge_implIS3_PlPS5_jNS1_19radix_merge_compareILb1ELb0ElNS0_19identity_decomposerEEEEE10hipError_tT0_T1_T2_jT3_P12ihipStream_tbPNSt15iterator_traitsISE_E10value_typeEPNSK_ISF_E10value_typeEPSG_NS1_7vsmem_tEENKUlT_SE_SF_SG_E_clIS8_S8_S9_S9_EESD_ST_SE_SF_SG_EUlST_E1_NS1_11comp_targetILNS1_3genE5ELNS1_11target_archE942ELNS1_3gpuE9ELNS1_3repE0EEENS1_36merge_oddeven_config_static_selectorELNS0_4arch9wavefront6targetE0EEEvSF_.uses_vcc, 0
	.set _ZN7rocprim17ROCPRIM_400000_NS6detail17trampoline_kernelINS0_14default_configENS1_38merge_sort_block_merge_config_selectorIlNS0_10empty_typeEEEZZNS1_27merge_sort_block_merge_implIS3_PlPS5_jNS1_19radix_merge_compareILb1ELb0ElNS0_19identity_decomposerEEEEE10hipError_tT0_T1_T2_jT3_P12ihipStream_tbPNSt15iterator_traitsISE_E10value_typeEPNSK_ISF_E10value_typeEPSG_NS1_7vsmem_tEENKUlT_SE_SF_SG_E_clIS8_S8_S9_S9_EESD_ST_SE_SF_SG_EUlST_E1_NS1_11comp_targetILNS1_3genE5ELNS1_11target_archE942ELNS1_3gpuE9ELNS1_3repE0EEENS1_36merge_oddeven_config_static_selectorELNS0_4arch9wavefront6targetE0EEEvSF_.uses_flat_scratch, 0
	.set _ZN7rocprim17ROCPRIM_400000_NS6detail17trampoline_kernelINS0_14default_configENS1_38merge_sort_block_merge_config_selectorIlNS0_10empty_typeEEEZZNS1_27merge_sort_block_merge_implIS3_PlPS5_jNS1_19radix_merge_compareILb1ELb0ElNS0_19identity_decomposerEEEEE10hipError_tT0_T1_T2_jT3_P12ihipStream_tbPNSt15iterator_traitsISE_E10value_typeEPNSK_ISF_E10value_typeEPSG_NS1_7vsmem_tEENKUlT_SE_SF_SG_E_clIS8_S8_S9_S9_EESD_ST_SE_SF_SG_EUlST_E1_NS1_11comp_targetILNS1_3genE5ELNS1_11target_archE942ELNS1_3gpuE9ELNS1_3repE0EEENS1_36merge_oddeven_config_static_selectorELNS0_4arch9wavefront6targetE0EEEvSF_.has_dyn_sized_stack, 0
	.set _ZN7rocprim17ROCPRIM_400000_NS6detail17trampoline_kernelINS0_14default_configENS1_38merge_sort_block_merge_config_selectorIlNS0_10empty_typeEEEZZNS1_27merge_sort_block_merge_implIS3_PlPS5_jNS1_19radix_merge_compareILb1ELb0ElNS0_19identity_decomposerEEEEE10hipError_tT0_T1_T2_jT3_P12ihipStream_tbPNSt15iterator_traitsISE_E10value_typeEPNSK_ISF_E10value_typeEPSG_NS1_7vsmem_tEENKUlT_SE_SF_SG_E_clIS8_S8_S9_S9_EESD_ST_SE_SF_SG_EUlST_E1_NS1_11comp_targetILNS1_3genE5ELNS1_11target_archE942ELNS1_3gpuE9ELNS1_3repE0EEENS1_36merge_oddeven_config_static_selectorELNS0_4arch9wavefront6targetE0EEEvSF_.has_recursion, 0
	.set _ZN7rocprim17ROCPRIM_400000_NS6detail17trampoline_kernelINS0_14default_configENS1_38merge_sort_block_merge_config_selectorIlNS0_10empty_typeEEEZZNS1_27merge_sort_block_merge_implIS3_PlPS5_jNS1_19radix_merge_compareILb1ELb0ElNS0_19identity_decomposerEEEEE10hipError_tT0_T1_T2_jT3_P12ihipStream_tbPNSt15iterator_traitsISE_E10value_typeEPNSK_ISF_E10value_typeEPSG_NS1_7vsmem_tEENKUlT_SE_SF_SG_E_clIS8_S8_S9_S9_EESD_ST_SE_SF_SG_EUlST_E1_NS1_11comp_targetILNS1_3genE5ELNS1_11target_archE942ELNS1_3gpuE9ELNS1_3repE0EEENS1_36merge_oddeven_config_static_selectorELNS0_4arch9wavefront6targetE0EEEvSF_.has_indirect_call, 0
	.section	.AMDGPU.csdata,"",@progbits
; Kernel info:
; codeLenInByte = 0
; TotalNumSgprs: 0
; NumVgprs: 0
; ScratchSize: 0
; MemoryBound: 0
; FloatMode: 240
; IeeeMode: 1
; LDSByteSize: 0 bytes/workgroup (compile time only)
; SGPRBlocks: 0
; VGPRBlocks: 0
; NumSGPRsForWavesPerEU: 1
; NumVGPRsForWavesPerEU: 1
; NamedBarCnt: 0
; Occupancy: 16
; WaveLimiterHint : 0
; COMPUTE_PGM_RSRC2:SCRATCH_EN: 0
; COMPUTE_PGM_RSRC2:USER_SGPR: 2
; COMPUTE_PGM_RSRC2:TRAP_HANDLER: 0
; COMPUTE_PGM_RSRC2:TGID_X_EN: 1
; COMPUTE_PGM_RSRC2:TGID_Y_EN: 0
; COMPUTE_PGM_RSRC2:TGID_Z_EN: 0
; COMPUTE_PGM_RSRC2:TIDIG_COMP_CNT: 0
	.section	.text._ZN7rocprim17ROCPRIM_400000_NS6detail17trampoline_kernelINS0_14default_configENS1_38merge_sort_block_merge_config_selectorIlNS0_10empty_typeEEEZZNS1_27merge_sort_block_merge_implIS3_PlPS5_jNS1_19radix_merge_compareILb1ELb0ElNS0_19identity_decomposerEEEEE10hipError_tT0_T1_T2_jT3_P12ihipStream_tbPNSt15iterator_traitsISE_E10value_typeEPNSK_ISF_E10value_typeEPSG_NS1_7vsmem_tEENKUlT_SE_SF_SG_E_clIS8_S8_S9_S9_EESD_ST_SE_SF_SG_EUlST_E1_NS1_11comp_targetILNS1_3genE4ELNS1_11target_archE910ELNS1_3gpuE8ELNS1_3repE0EEENS1_36merge_oddeven_config_static_selectorELNS0_4arch9wavefront6targetE0EEEvSF_,"axG",@progbits,_ZN7rocprim17ROCPRIM_400000_NS6detail17trampoline_kernelINS0_14default_configENS1_38merge_sort_block_merge_config_selectorIlNS0_10empty_typeEEEZZNS1_27merge_sort_block_merge_implIS3_PlPS5_jNS1_19radix_merge_compareILb1ELb0ElNS0_19identity_decomposerEEEEE10hipError_tT0_T1_T2_jT3_P12ihipStream_tbPNSt15iterator_traitsISE_E10value_typeEPNSK_ISF_E10value_typeEPSG_NS1_7vsmem_tEENKUlT_SE_SF_SG_E_clIS8_S8_S9_S9_EESD_ST_SE_SF_SG_EUlST_E1_NS1_11comp_targetILNS1_3genE4ELNS1_11target_archE910ELNS1_3gpuE8ELNS1_3repE0EEENS1_36merge_oddeven_config_static_selectorELNS0_4arch9wavefront6targetE0EEEvSF_,comdat
	.protected	_ZN7rocprim17ROCPRIM_400000_NS6detail17trampoline_kernelINS0_14default_configENS1_38merge_sort_block_merge_config_selectorIlNS0_10empty_typeEEEZZNS1_27merge_sort_block_merge_implIS3_PlPS5_jNS1_19radix_merge_compareILb1ELb0ElNS0_19identity_decomposerEEEEE10hipError_tT0_T1_T2_jT3_P12ihipStream_tbPNSt15iterator_traitsISE_E10value_typeEPNSK_ISF_E10value_typeEPSG_NS1_7vsmem_tEENKUlT_SE_SF_SG_E_clIS8_S8_S9_S9_EESD_ST_SE_SF_SG_EUlST_E1_NS1_11comp_targetILNS1_3genE4ELNS1_11target_archE910ELNS1_3gpuE8ELNS1_3repE0EEENS1_36merge_oddeven_config_static_selectorELNS0_4arch9wavefront6targetE0EEEvSF_ ; -- Begin function _ZN7rocprim17ROCPRIM_400000_NS6detail17trampoline_kernelINS0_14default_configENS1_38merge_sort_block_merge_config_selectorIlNS0_10empty_typeEEEZZNS1_27merge_sort_block_merge_implIS3_PlPS5_jNS1_19radix_merge_compareILb1ELb0ElNS0_19identity_decomposerEEEEE10hipError_tT0_T1_T2_jT3_P12ihipStream_tbPNSt15iterator_traitsISE_E10value_typeEPNSK_ISF_E10value_typeEPSG_NS1_7vsmem_tEENKUlT_SE_SF_SG_E_clIS8_S8_S9_S9_EESD_ST_SE_SF_SG_EUlST_E1_NS1_11comp_targetILNS1_3genE4ELNS1_11target_archE910ELNS1_3gpuE8ELNS1_3repE0EEENS1_36merge_oddeven_config_static_selectorELNS0_4arch9wavefront6targetE0EEEvSF_
	.globl	_ZN7rocprim17ROCPRIM_400000_NS6detail17trampoline_kernelINS0_14default_configENS1_38merge_sort_block_merge_config_selectorIlNS0_10empty_typeEEEZZNS1_27merge_sort_block_merge_implIS3_PlPS5_jNS1_19radix_merge_compareILb1ELb0ElNS0_19identity_decomposerEEEEE10hipError_tT0_T1_T2_jT3_P12ihipStream_tbPNSt15iterator_traitsISE_E10value_typeEPNSK_ISF_E10value_typeEPSG_NS1_7vsmem_tEENKUlT_SE_SF_SG_E_clIS8_S8_S9_S9_EESD_ST_SE_SF_SG_EUlST_E1_NS1_11comp_targetILNS1_3genE4ELNS1_11target_archE910ELNS1_3gpuE8ELNS1_3repE0EEENS1_36merge_oddeven_config_static_selectorELNS0_4arch9wavefront6targetE0EEEvSF_
	.p2align	8
	.type	_ZN7rocprim17ROCPRIM_400000_NS6detail17trampoline_kernelINS0_14default_configENS1_38merge_sort_block_merge_config_selectorIlNS0_10empty_typeEEEZZNS1_27merge_sort_block_merge_implIS3_PlPS5_jNS1_19radix_merge_compareILb1ELb0ElNS0_19identity_decomposerEEEEE10hipError_tT0_T1_T2_jT3_P12ihipStream_tbPNSt15iterator_traitsISE_E10value_typeEPNSK_ISF_E10value_typeEPSG_NS1_7vsmem_tEENKUlT_SE_SF_SG_E_clIS8_S8_S9_S9_EESD_ST_SE_SF_SG_EUlST_E1_NS1_11comp_targetILNS1_3genE4ELNS1_11target_archE910ELNS1_3gpuE8ELNS1_3repE0EEENS1_36merge_oddeven_config_static_selectorELNS0_4arch9wavefront6targetE0EEEvSF_,@function
_ZN7rocprim17ROCPRIM_400000_NS6detail17trampoline_kernelINS0_14default_configENS1_38merge_sort_block_merge_config_selectorIlNS0_10empty_typeEEEZZNS1_27merge_sort_block_merge_implIS3_PlPS5_jNS1_19radix_merge_compareILb1ELb0ElNS0_19identity_decomposerEEEEE10hipError_tT0_T1_T2_jT3_P12ihipStream_tbPNSt15iterator_traitsISE_E10value_typeEPNSK_ISF_E10value_typeEPSG_NS1_7vsmem_tEENKUlT_SE_SF_SG_E_clIS8_S8_S9_S9_EESD_ST_SE_SF_SG_EUlST_E1_NS1_11comp_targetILNS1_3genE4ELNS1_11target_archE910ELNS1_3gpuE8ELNS1_3repE0EEENS1_36merge_oddeven_config_static_selectorELNS0_4arch9wavefront6targetE0EEEvSF_: ; @_ZN7rocprim17ROCPRIM_400000_NS6detail17trampoline_kernelINS0_14default_configENS1_38merge_sort_block_merge_config_selectorIlNS0_10empty_typeEEEZZNS1_27merge_sort_block_merge_implIS3_PlPS5_jNS1_19radix_merge_compareILb1ELb0ElNS0_19identity_decomposerEEEEE10hipError_tT0_T1_T2_jT3_P12ihipStream_tbPNSt15iterator_traitsISE_E10value_typeEPNSK_ISF_E10value_typeEPSG_NS1_7vsmem_tEENKUlT_SE_SF_SG_E_clIS8_S8_S9_S9_EESD_ST_SE_SF_SG_EUlST_E1_NS1_11comp_targetILNS1_3genE4ELNS1_11target_archE910ELNS1_3gpuE8ELNS1_3repE0EEENS1_36merge_oddeven_config_static_selectorELNS0_4arch9wavefront6targetE0EEEvSF_
; %bb.0:
	.section	.rodata,"a",@progbits
	.p2align	6, 0x0
	.amdhsa_kernel _ZN7rocprim17ROCPRIM_400000_NS6detail17trampoline_kernelINS0_14default_configENS1_38merge_sort_block_merge_config_selectorIlNS0_10empty_typeEEEZZNS1_27merge_sort_block_merge_implIS3_PlPS5_jNS1_19radix_merge_compareILb1ELb0ElNS0_19identity_decomposerEEEEE10hipError_tT0_T1_T2_jT3_P12ihipStream_tbPNSt15iterator_traitsISE_E10value_typeEPNSK_ISF_E10value_typeEPSG_NS1_7vsmem_tEENKUlT_SE_SF_SG_E_clIS8_S8_S9_S9_EESD_ST_SE_SF_SG_EUlST_E1_NS1_11comp_targetILNS1_3genE4ELNS1_11target_archE910ELNS1_3gpuE8ELNS1_3repE0EEENS1_36merge_oddeven_config_static_selectorELNS0_4arch9wavefront6targetE0EEEvSF_
		.amdhsa_group_segment_fixed_size 0
		.amdhsa_private_segment_fixed_size 0
		.amdhsa_kernarg_size 48
		.amdhsa_user_sgpr_count 2
		.amdhsa_user_sgpr_dispatch_ptr 0
		.amdhsa_user_sgpr_queue_ptr 0
		.amdhsa_user_sgpr_kernarg_segment_ptr 1
		.amdhsa_user_sgpr_dispatch_id 0
		.amdhsa_user_sgpr_kernarg_preload_length 0
		.amdhsa_user_sgpr_kernarg_preload_offset 0
		.amdhsa_user_sgpr_private_segment_size 0
		.amdhsa_wavefront_size32 1
		.amdhsa_uses_dynamic_stack 0
		.amdhsa_enable_private_segment 0
		.amdhsa_system_sgpr_workgroup_id_x 1
		.amdhsa_system_sgpr_workgroup_id_y 0
		.amdhsa_system_sgpr_workgroup_id_z 0
		.amdhsa_system_sgpr_workgroup_info 0
		.amdhsa_system_vgpr_workitem_id 0
		.amdhsa_next_free_vgpr 1
		.amdhsa_next_free_sgpr 1
		.amdhsa_named_barrier_count 0
		.amdhsa_reserve_vcc 0
		.amdhsa_float_round_mode_32 0
		.amdhsa_float_round_mode_16_64 0
		.amdhsa_float_denorm_mode_32 3
		.amdhsa_float_denorm_mode_16_64 3
		.amdhsa_fp16_overflow 0
		.amdhsa_memory_ordered 1
		.amdhsa_forward_progress 1
		.amdhsa_inst_pref_size 0
		.amdhsa_round_robin_scheduling 0
		.amdhsa_exception_fp_ieee_invalid_op 0
		.amdhsa_exception_fp_denorm_src 0
		.amdhsa_exception_fp_ieee_div_zero 0
		.amdhsa_exception_fp_ieee_overflow 0
		.amdhsa_exception_fp_ieee_underflow 0
		.amdhsa_exception_fp_ieee_inexact 0
		.amdhsa_exception_int_div_zero 0
	.end_amdhsa_kernel
	.section	.text._ZN7rocprim17ROCPRIM_400000_NS6detail17trampoline_kernelINS0_14default_configENS1_38merge_sort_block_merge_config_selectorIlNS0_10empty_typeEEEZZNS1_27merge_sort_block_merge_implIS3_PlPS5_jNS1_19radix_merge_compareILb1ELb0ElNS0_19identity_decomposerEEEEE10hipError_tT0_T1_T2_jT3_P12ihipStream_tbPNSt15iterator_traitsISE_E10value_typeEPNSK_ISF_E10value_typeEPSG_NS1_7vsmem_tEENKUlT_SE_SF_SG_E_clIS8_S8_S9_S9_EESD_ST_SE_SF_SG_EUlST_E1_NS1_11comp_targetILNS1_3genE4ELNS1_11target_archE910ELNS1_3gpuE8ELNS1_3repE0EEENS1_36merge_oddeven_config_static_selectorELNS0_4arch9wavefront6targetE0EEEvSF_,"axG",@progbits,_ZN7rocprim17ROCPRIM_400000_NS6detail17trampoline_kernelINS0_14default_configENS1_38merge_sort_block_merge_config_selectorIlNS0_10empty_typeEEEZZNS1_27merge_sort_block_merge_implIS3_PlPS5_jNS1_19radix_merge_compareILb1ELb0ElNS0_19identity_decomposerEEEEE10hipError_tT0_T1_T2_jT3_P12ihipStream_tbPNSt15iterator_traitsISE_E10value_typeEPNSK_ISF_E10value_typeEPSG_NS1_7vsmem_tEENKUlT_SE_SF_SG_E_clIS8_S8_S9_S9_EESD_ST_SE_SF_SG_EUlST_E1_NS1_11comp_targetILNS1_3genE4ELNS1_11target_archE910ELNS1_3gpuE8ELNS1_3repE0EEENS1_36merge_oddeven_config_static_selectorELNS0_4arch9wavefront6targetE0EEEvSF_,comdat
.Lfunc_end1033:
	.size	_ZN7rocprim17ROCPRIM_400000_NS6detail17trampoline_kernelINS0_14default_configENS1_38merge_sort_block_merge_config_selectorIlNS0_10empty_typeEEEZZNS1_27merge_sort_block_merge_implIS3_PlPS5_jNS1_19radix_merge_compareILb1ELb0ElNS0_19identity_decomposerEEEEE10hipError_tT0_T1_T2_jT3_P12ihipStream_tbPNSt15iterator_traitsISE_E10value_typeEPNSK_ISF_E10value_typeEPSG_NS1_7vsmem_tEENKUlT_SE_SF_SG_E_clIS8_S8_S9_S9_EESD_ST_SE_SF_SG_EUlST_E1_NS1_11comp_targetILNS1_3genE4ELNS1_11target_archE910ELNS1_3gpuE8ELNS1_3repE0EEENS1_36merge_oddeven_config_static_selectorELNS0_4arch9wavefront6targetE0EEEvSF_, .Lfunc_end1033-_ZN7rocprim17ROCPRIM_400000_NS6detail17trampoline_kernelINS0_14default_configENS1_38merge_sort_block_merge_config_selectorIlNS0_10empty_typeEEEZZNS1_27merge_sort_block_merge_implIS3_PlPS5_jNS1_19radix_merge_compareILb1ELb0ElNS0_19identity_decomposerEEEEE10hipError_tT0_T1_T2_jT3_P12ihipStream_tbPNSt15iterator_traitsISE_E10value_typeEPNSK_ISF_E10value_typeEPSG_NS1_7vsmem_tEENKUlT_SE_SF_SG_E_clIS8_S8_S9_S9_EESD_ST_SE_SF_SG_EUlST_E1_NS1_11comp_targetILNS1_3genE4ELNS1_11target_archE910ELNS1_3gpuE8ELNS1_3repE0EEENS1_36merge_oddeven_config_static_selectorELNS0_4arch9wavefront6targetE0EEEvSF_
                                        ; -- End function
	.set _ZN7rocprim17ROCPRIM_400000_NS6detail17trampoline_kernelINS0_14default_configENS1_38merge_sort_block_merge_config_selectorIlNS0_10empty_typeEEEZZNS1_27merge_sort_block_merge_implIS3_PlPS5_jNS1_19radix_merge_compareILb1ELb0ElNS0_19identity_decomposerEEEEE10hipError_tT0_T1_T2_jT3_P12ihipStream_tbPNSt15iterator_traitsISE_E10value_typeEPNSK_ISF_E10value_typeEPSG_NS1_7vsmem_tEENKUlT_SE_SF_SG_E_clIS8_S8_S9_S9_EESD_ST_SE_SF_SG_EUlST_E1_NS1_11comp_targetILNS1_3genE4ELNS1_11target_archE910ELNS1_3gpuE8ELNS1_3repE0EEENS1_36merge_oddeven_config_static_selectorELNS0_4arch9wavefront6targetE0EEEvSF_.num_vgpr, 0
	.set _ZN7rocprim17ROCPRIM_400000_NS6detail17trampoline_kernelINS0_14default_configENS1_38merge_sort_block_merge_config_selectorIlNS0_10empty_typeEEEZZNS1_27merge_sort_block_merge_implIS3_PlPS5_jNS1_19radix_merge_compareILb1ELb0ElNS0_19identity_decomposerEEEEE10hipError_tT0_T1_T2_jT3_P12ihipStream_tbPNSt15iterator_traitsISE_E10value_typeEPNSK_ISF_E10value_typeEPSG_NS1_7vsmem_tEENKUlT_SE_SF_SG_E_clIS8_S8_S9_S9_EESD_ST_SE_SF_SG_EUlST_E1_NS1_11comp_targetILNS1_3genE4ELNS1_11target_archE910ELNS1_3gpuE8ELNS1_3repE0EEENS1_36merge_oddeven_config_static_selectorELNS0_4arch9wavefront6targetE0EEEvSF_.num_agpr, 0
	.set _ZN7rocprim17ROCPRIM_400000_NS6detail17trampoline_kernelINS0_14default_configENS1_38merge_sort_block_merge_config_selectorIlNS0_10empty_typeEEEZZNS1_27merge_sort_block_merge_implIS3_PlPS5_jNS1_19radix_merge_compareILb1ELb0ElNS0_19identity_decomposerEEEEE10hipError_tT0_T1_T2_jT3_P12ihipStream_tbPNSt15iterator_traitsISE_E10value_typeEPNSK_ISF_E10value_typeEPSG_NS1_7vsmem_tEENKUlT_SE_SF_SG_E_clIS8_S8_S9_S9_EESD_ST_SE_SF_SG_EUlST_E1_NS1_11comp_targetILNS1_3genE4ELNS1_11target_archE910ELNS1_3gpuE8ELNS1_3repE0EEENS1_36merge_oddeven_config_static_selectorELNS0_4arch9wavefront6targetE0EEEvSF_.numbered_sgpr, 0
	.set _ZN7rocprim17ROCPRIM_400000_NS6detail17trampoline_kernelINS0_14default_configENS1_38merge_sort_block_merge_config_selectorIlNS0_10empty_typeEEEZZNS1_27merge_sort_block_merge_implIS3_PlPS5_jNS1_19radix_merge_compareILb1ELb0ElNS0_19identity_decomposerEEEEE10hipError_tT0_T1_T2_jT3_P12ihipStream_tbPNSt15iterator_traitsISE_E10value_typeEPNSK_ISF_E10value_typeEPSG_NS1_7vsmem_tEENKUlT_SE_SF_SG_E_clIS8_S8_S9_S9_EESD_ST_SE_SF_SG_EUlST_E1_NS1_11comp_targetILNS1_3genE4ELNS1_11target_archE910ELNS1_3gpuE8ELNS1_3repE0EEENS1_36merge_oddeven_config_static_selectorELNS0_4arch9wavefront6targetE0EEEvSF_.num_named_barrier, 0
	.set _ZN7rocprim17ROCPRIM_400000_NS6detail17trampoline_kernelINS0_14default_configENS1_38merge_sort_block_merge_config_selectorIlNS0_10empty_typeEEEZZNS1_27merge_sort_block_merge_implIS3_PlPS5_jNS1_19radix_merge_compareILb1ELb0ElNS0_19identity_decomposerEEEEE10hipError_tT0_T1_T2_jT3_P12ihipStream_tbPNSt15iterator_traitsISE_E10value_typeEPNSK_ISF_E10value_typeEPSG_NS1_7vsmem_tEENKUlT_SE_SF_SG_E_clIS8_S8_S9_S9_EESD_ST_SE_SF_SG_EUlST_E1_NS1_11comp_targetILNS1_3genE4ELNS1_11target_archE910ELNS1_3gpuE8ELNS1_3repE0EEENS1_36merge_oddeven_config_static_selectorELNS0_4arch9wavefront6targetE0EEEvSF_.private_seg_size, 0
	.set _ZN7rocprim17ROCPRIM_400000_NS6detail17trampoline_kernelINS0_14default_configENS1_38merge_sort_block_merge_config_selectorIlNS0_10empty_typeEEEZZNS1_27merge_sort_block_merge_implIS3_PlPS5_jNS1_19radix_merge_compareILb1ELb0ElNS0_19identity_decomposerEEEEE10hipError_tT0_T1_T2_jT3_P12ihipStream_tbPNSt15iterator_traitsISE_E10value_typeEPNSK_ISF_E10value_typeEPSG_NS1_7vsmem_tEENKUlT_SE_SF_SG_E_clIS8_S8_S9_S9_EESD_ST_SE_SF_SG_EUlST_E1_NS1_11comp_targetILNS1_3genE4ELNS1_11target_archE910ELNS1_3gpuE8ELNS1_3repE0EEENS1_36merge_oddeven_config_static_selectorELNS0_4arch9wavefront6targetE0EEEvSF_.uses_vcc, 0
	.set _ZN7rocprim17ROCPRIM_400000_NS6detail17trampoline_kernelINS0_14default_configENS1_38merge_sort_block_merge_config_selectorIlNS0_10empty_typeEEEZZNS1_27merge_sort_block_merge_implIS3_PlPS5_jNS1_19radix_merge_compareILb1ELb0ElNS0_19identity_decomposerEEEEE10hipError_tT0_T1_T2_jT3_P12ihipStream_tbPNSt15iterator_traitsISE_E10value_typeEPNSK_ISF_E10value_typeEPSG_NS1_7vsmem_tEENKUlT_SE_SF_SG_E_clIS8_S8_S9_S9_EESD_ST_SE_SF_SG_EUlST_E1_NS1_11comp_targetILNS1_3genE4ELNS1_11target_archE910ELNS1_3gpuE8ELNS1_3repE0EEENS1_36merge_oddeven_config_static_selectorELNS0_4arch9wavefront6targetE0EEEvSF_.uses_flat_scratch, 0
	.set _ZN7rocprim17ROCPRIM_400000_NS6detail17trampoline_kernelINS0_14default_configENS1_38merge_sort_block_merge_config_selectorIlNS0_10empty_typeEEEZZNS1_27merge_sort_block_merge_implIS3_PlPS5_jNS1_19radix_merge_compareILb1ELb0ElNS0_19identity_decomposerEEEEE10hipError_tT0_T1_T2_jT3_P12ihipStream_tbPNSt15iterator_traitsISE_E10value_typeEPNSK_ISF_E10value_typeEPSG_NS1_7vsmem_tEENKUlT_SE_SF_SG_E_clIS8_S8_S9_S9_EESD_ST_SE_SF_SG_EUlST_E1_NS1_11comp_targetILNS1_3genE4ELNS1_11target_archE910ELNS1_3gpuE8ELNS1_3repE0EEENS1_36merge_oddeven_config_static_selectorELNS0_4arch9wavefront6targetE0EEEvSF_.has_dyn_sized_stack, 0
	.set _ZN7rocprim17ROCPRIM_400000_NS6detail17trampoline_kernelINS0_14default_configENS1_38merge_sort_block_merge_config_selectorIlNS0_10empty_typeEEEZZNS1_27merge_sort_block_merge_implIS3_PlPS5_jNS1_19radix_merge_compareILb1ELb0ElNS0_19identity_decomposerEEEEE10hipError_tT0_T1_T2_jT3_P12ihipStream_tbPNSt15iterator_traitsISE_E10value_typeEPNSK_ISF_E10value_typeEPSG_NS1_7vsmem_tEENKUlT_SE_SF_SG_E_clIS8_S8_S9_S9_EESD_ST_SE_SF_SG_EUlST_E1_NS1_11comp_targetILNS1_3genE4ELNS1_11target_archE910ELNS1_3gpuE8ELNS1_3repE0EEENS1_36merge_oddeven_config_static_selectorELNS0_4arch9wavefront6targetE0EEEvSF_.has_recursion, 0
	.set _ZN7rocprim17ROCPRIM_400000_NS6detail17trampoline_kernelINS0_14default_configENS1_38merge_sort_block_merge_config_selectorIlNS0_10empty_typeEEEZZNS1_27merge_sort_block_merge_implIS3_PlPS5_jNS1_19radix_merge_compareILb1ELb0ElNS0_19identity_decomposerEEEEE10hipError_tT0_T1_T2_jT3_P12ihipStream_tbPNSt15iterator_traitsISE_E10value_typeEPNSK_ISF_E10value_typeEPSG_NS1_7vsmem_tEENKUlT_SE_SF_SG_E_clIS8_S8_S9_S9_EESD_ST_SE_SF_SG_EUlST_E1_NS1_11comp_targetILNS1_3genE4ELNS1_11target_archE910ELNS1_3gpuE8ELNS1_3repE0EEENS1_36merge_oddeven_config_static_selectorELNS0_4arch9wavefront6targetE0EEEvSF_.has_indirect_call, 0
	.section	.AMDGPU.csdata,"",@progbits
; Kernel info:
; codeLenInByte = 0
; TotalNumSgprs: 0
; NumVgprs: 0
; ScratchSize: 0
; MemoryBound: 0
; FloatMode: 240
; IeeeMode: 1
; LDSByteSize: 0 bytes/workgroup (compile time only)
; SGPRBlocks: 0
; VGPRBlocks: 0
; NumSGPRsForWavesPerEU: 1
; NumVGPRsForWavesPerEU: 1
; NamedBarCnt: 0
; Occupancy: 16
; WaveLimiterHint : 0
; COMPUTE_PGM_RSRC2:SCRATCH_EN: 0
; COMPUTE_PGM_RSRC2:USER_SGPR: 2
; COMPUTE_PGM_RSRC2:TRAP_HANDLER: 0
; COMPUTE_PGM_RSRC2:TGID_X_EN: 1
; COMPUTE_PGM_RSRC2:TGID_Y_EN: 0
; COMPUTE_PGM_RSRC2:TGID_Z_EN: 0
; COMPUTE_PGM_RSRC2:TIDIG_COMP_CNT: 0
	.section	.text._ZN7rocprim17ROCPRIM_400000_NS6detail17trampoline_kernelINS0_14default_configENS1_38merge_sort_block_merge_config_selectorIlNS0_10empty_typeEEEZZNS1_27merge_sort_block_merge_implIS3_PlPS5_jNS1_19radix_merge_compareILb1ELb0ElNS0_19identity_decomposerEEEEE10hipError_tT0_T1_T2_jT3_P12ihipStream_tbPNSt15iterator_traitsISE_E10value_typeEPNSK_ISF_E10value_typeEPSG_NS1_7vsmem_tEENKUlT_SE_SF_SG_E_clIS8_S8_S9_S9_EESD_ST_SE_SF_SG_EUlST_E1_NS1_11comp_targetILNS1_3genE3ELNS1_11target_archE908ELNS1_3gpuE7ELNS1_3repE0EEENS1_36merge_oddeven_config_static_selectorELNS0_4arch9wavefront6targetE0EEEvSF_,"axG",@progbits,_ZN7rocprim17ROCPRIM_400000_NS6detail17trampoline_kernelINS0_14default_configENS1_38merge_sort_block_merge_config_selectorIlNS0_10empty_typeEEEZZNS1_27merge_sort_block_merge_implIS3_PlPS5_jNS1_19radix_merge_compareILb1ELb0ElNS0_19identity_decomposerEEEEE10hipError_tT0_T1_T2_jT3_P12ihipStream_tbPNSt15iterator_traitsISE_E10value_typeEPNSK_ISF_E10value_typeEPSG_NS1_7vsmem_tEENKUlT_SE_SF_SG_E_clIS8_S8_S9_S9_EESD_ST_SE_SF_SG_EUlST_E1_NS1_11comp_targetILNS1_3genE3ELNS1_11target_archE908ELNS1_3gpuE7ELNS1_3repE0EEENS1_36merge_oddeven_config_static_selectorELNS0_4arch9wavefront6targetE0EEEvSF_,comdat
	.protected	_ZN7rocprim17ROCPRIM_400000_NS6detail17trampoline_kernelINS0_14default_configENS1_38merge_sort_block_merge_config_selectorIlNS0_10empty_typeEEEZZNS1_27merge_sort_block_merge_implIS3_PlPS5_jNS1_19radix_merge_compareILb1ELb0ElNS0_19identity_decomposerEEEEE10hipError_tT0_T1_T2_jT3_P12ihipStream_tbPNSt15iterator_traitsISE_E10value_typeEPNSK_ISF_E10value_typeEPSG_NS1_7vsmem_tEENKUlT_SE_SF_SG_E_clIS8_S8_S9_S9_EESD_ST_SE_SF_SG_EUlST_E1_NS1_11comp_targetILNS1_3genE3ELNS1_11target_archE908ELNS1_3gpuE7ELNS1_3repE0EEENS1_36merge_oddeven_config_static_selectorELNS0_4arch9wavefront6targetE0EEEvSF_ ; -- Begin function _ZN7rocprim17ROCPRIM_400000_NS6detail17trampoline_kernelINS0_14default_configENS1_38merge_sort_block_merge_config_selectorIlNS0_10empty_typeEEEZZNS1_27merge_sort_block_merge_implIS3_PlPS5_jNS1_19radix_merge_compareILb1ELb0ElNS0_19identity_decomposerEEEEE10hipError_tT0_T1_T2_jT3_P12ihipStream_tbPNSt15iterator_traitsISE_E10value_typeEPNSK_ISF_E10value_typeEPSG_NS1_7vsmem_tEENKUlT_SE_SF_SG_E_clIS8_S8_S9_S9_EESD_ST_SE_SF_SG_EUlST_E1_NS1_11comp_targetILNS1_3genE3ELNS1_11target_archE908ELNS1_3gpuE7ELNS1_3repE0EEENS1_36merge_oddeven_config_static_selectorELNS0_4arch9wavefront6targetE0EEEvSF_
	.globl	_ZN7rocprim17ROCPRIM_400000_NS6detail17trampoline_kernelINS0_14default_configENS1_38merge_sort_block_merge_config_selectorIlNS0_10empty_typeEEEZZNS1_27merge_sort_block_merge_implIS3_PlPS5_jNS1_19radix_merge_compareILb1ELb0ElNS0_19identity_decomposerEEEEE10hipError_tT0_T1_T2_jT3_P12ihipStream_tbPNSt15iterator_traitsISE_E10value_typeEPNSK_ISF_E10value_typeEPSG_NS1_7vsmem_tEENKUlT_SE_SF_SG_E_clIS8_S8_S9_S9_EESD_ST_SE_SF_SG_EUlST_E1_NS1_11comp_targetILNS1_3genE3ELNS1_11target_archE908ELNS1_3gpuE7ELNS1_3repE0EEENS1_36merge_oddeven_config_static_selectorELNS0_4arch9wavefront6targetE0EEEvSF_
	.p2align	8
	.type	_ZN7rocprim17ROCPRIM_400000_NS6detail17trampoline_kernelINS0_14default_configENS1_38merge_sort_block_merge_config_selectorIlNS0_10empty_typeEEEZZNS1_27merge_sort_block_merge_implIS3_PlPS5_jNS1_19radix_merge_compareILb1ELb0ElNS0_19identity_decomposerEEEEE10hipError_tT0_T1_T2_jT3_P12ihipStream_tbPNSt15iterator_traitsISE_E10value_typeEPNSK_ISF_E10value_typeEPSG_NS1_7vsmem_tEENKUlT_SE_SF_SG_E_clIS8_S8_S9_S9_EESD_ST_SE_SF_SG_EUlST_E1_NS1_11comp_targetILNS1_3genE3ELNS1_11target_archE908ELNS1_3gpuE7ELNS1_3repE0EEENS1_36merge_oddeven_config_static_selectorELNS0_4arch9wavefront6targetE0EEEvSF_,@function
_ZN7rocprim17ROCPRIM_400000_NS6detail17trampoline_kernelINS0_14default_configENS1_38merge_sort_block_merge_config_selectorIlNS0_10empty_typeEEEZZNS1_27merge_sort_block_merge_implIS3_PlPS5_jNS1_19radix_merge_compareILb1ELb0ElNS0_19identity_decomposerEEEEE10hipError_tT0_T1_T2_jT3_P12ihipStream_tbPNSt15iterator_traitsISE_E10value_typeEPNSK_ISF_E10value_typeEPSG_NS1_7vsmem_tEENKUlT_SE_SF_SG_E_clIS8_S8_S9_S9_EESD_ST_SE_SF_SG_EUlST_E1_NS1_11comp_targetILNS1_3genE3ELNS1_11target_archE908ELNS1_3gpuE7ELNS1_3repE0EEENS1_36merge_oddeven_config_static_selectorELNS0_4arch9wavefront6targetE0EEEvSF_: ; @_ZN7rocprim17ROCPRIM_400000_NS6detail17trampoline_kernelINS0_14default_configENS1_38merge_sort_block_merge_config_selectorIlNS0_10empty_typeEEEZZNS1_27merge_sort_block_merge_implIS3_PlPS5_jNS1_19radix_merge_compareILb1ELb0ElNS0_19identity_decomposerEEEEE10hipError_tT0_T1_T2_jT3_P12ihipStream_tbPNSt15iterator_traitsISE_E10value_typeEPNSK_ISF_E10value_typeEPSG_NS1_7vsmem_tEENKUlT_SE_SF_SG_E_clIS8_S8_S9_S9_EESD_ST_SE_SF_SG_EUlST_E1_NS1_11comp_targetILNS1_3genE3ELNS1_11target_archE908ELNS1_3gpuE7ELNS1_3repE0EEENS1_36merge_oddeven_config_static_selectorELNS0_4arch9wavefront6targetE0EEEvSF_
; %bb.0:
	.section	.rodata,"a",@progbits
	.p2align	6, 0x0
	.amdhsa_kernel _ZN7rocprim17ROCPRIM_400000_NS6detail17trampoline_kernelINS0_14default_configENS1_38merge_sort_block_merge_config_selectorIlNS0_10empty_typeEEEZZNS1_27merge_sort_block_merge_implIS3_PlPS5_jNS1_19radix_merge_compareILb1ELb0ElNS0_19identity_decomposerEEEEE10hipError_tT0_T1_T2_jT3_P12ihipStream_tbPNSt15iterator_traitsISE_E10value_typeEPNSK_ISF_E10value_typeEPSG_NS1_7vsmem_tEENKUlT_SE_SF_SG_E_clIS8_S8_S9_S9_EESD_ST_SE_SF_SG_EUlST_E1_NS1_11comp_targetILNS1_3genE3ELNS1_11target_archE908ELNS1_3gpuE7ELNS1_3repE0EEENS1_36merge_oddeven_config_static_selectorELNS0_4arch9wavefront6targetE0EEEvSF_
		.amdhsa_group_segment_fixed_size 0
		.amdhsa_private_segment_fixed_size 0
		.amdhsa_kernarg_size 48
		.amdhsa_user_sgpr_count 2
		.amdhsa_user_sgpr_dispatch_ptr 0
		.amdhsa_user_sgpr_queue_ptr 0
		.amdhsa_user_sgpr_kernarg_segment_ptr 1
		.amdhsa_user_sgpr_dispatch_id 0
		.amdhsa_user_sgpr_kernarg_preload_length 0
		.amdhsa_user_sgpr_kernarg_preload_offset 0
		.amdhsa_user_sgpr_private_segment_size 0
		.amdhsa_wavefront_size32 1
		.amdhsa_uses_dynamic_stack 0
		.amdhsa_enable_private_segment 0
		.amdhsa_system_sgpr_workgroup_id_x 1
		.amdhsa_system_sgpr_workgroup_id_y 0
		.amdhsa_system_sgpr_workgroup_id_z 0
		.amdhsa_system_sgpr_workgroup_info 0
		.amdhsa_system_vgpr_workitem_id 0
		.amdhsa_next_free_vgpr 1
		.amdhsa_next_free_sgpr 1
		.amdhsa_named_barrier_count 0
		.amdhsa_reserve_vcc 0
		.amdhsa_float_round_mode_32 0
		.amdhsa_float_round_mode_16_64 0
		.amdhsa_float_denorm_mode_32 3
		.amdhsa_float_denorm_mode_16_64 3
		.amdhsa_fp16_overflow 0
		.amdhsa_memory_ordered 1
		.amdhsa_forward_progress 1
		.amdhsa_inst_pref_size 0
		.amdhsa_round_robin_scheduling 0
		.amdhsa_exception_fp_ieee_invalid_op 0
		.amdhsa_exception_fp_denorm_src 0
		.amdhsa_exception_fp_ieee_div_zero 0
		.amdhsa_exception_fp_ieee_overflow 0
		.amdhsa_exception_fp_ieee_underflow 0
		.amdhsa_exception_fp_ieee_inexact 0
		.amdhsa_exception_int_div_zero 0
	.end_amdhsa_kernel
	.section	.text._ZN7rocprim17ROCPRIM_400000_NS6detail17trampoline_kernelINS0_14default_configENS1_38merge_sort_block_merge_config_selectorIlNS0_10empty_typeEEEZZNS1_27merge_sort_block_merge_implIS3_PlPS5_jNS1_19radix_merge_compareILb1ELb0ElNS0_19identity_decomposerEEEEE10hipError_tT0_T1_T2_jT3_P12ihipStream_tbPNSt15iterator_traitsISE_E10value_typeEPNSK_ISF_E10value_typeEPSG_NS1_7vsmem_tEENKUlT_SE_SF_SG_E_clIS8_S8_S9_S9_EESD_ST_SE_SF_SG_EUlST_E1_NS1_11comp_targetILNS1_3genE3ELNS1_11target_archE908ELNS1_3gpuE7ELNS1_3repE0EEENS1_36merge_oddeven_config_static_selectorELNS0_4arch9wavefront6targetE0EEEvSF_,"axG",@progbits,_ZN7rocprim17ROCPRIM_400000_NS6detail17trampoline_kernelINS0_14default_configENS1_38merge_sort_block_merge_config_selectorIlNS0_10empty_typeEEEZZNS1_27merge_sort_block_merge_implIS3_PlPS5_jNS1_19radix_merge_compareILb1ELb0ElNS0_19identity_decomposerEEEEE10hipError_tT0_T1_T2_jT3_P12ihipStream_tbPNSt15iterator_traitsISE_E10value_typeEPNSK_ISF_E10value_typeEPSG_NS1_7vsmem_tEENKUlT_SE_SF_SG_E_clIS8_S8_S9_S9_EESD_ST_SE_SF_SG_EUlST_E1_NS1_11comp_targetILNS1_3genE3ELNS1_11target_archE908ELNS1_3gpuE7ELNS1_3repE0EEENS1_36merge_oddeven_config_static_selectorELNS0_4arch9wavefront6targetE0EEEvSF_,comdat
.Lfunc_end1034:
	.size	_ZN7rocprim17ROCPRIM_400000_NS6detail17trampoline_kernelINS0_14default_configENS1_38merge_sort_block_merge_config_selectorIlNS0_10empty_typeEEEZZNS1_27merge_sort_block_merge_implIS3_PlPS5_jNS1_19radix_merge_compareILb1ELb0ElNS0_19identity_decomposerEEEEE10hipError_tT0_T1_T2_jT3_P12ihipStream_tbPNSt15iterator_traitsISE_E10value_typeEPNSK_ISF_E10value_typeEPSG_NS1_7vsmem_tEENKUlT_SE_SF_SG_E_clIS8_S8_S9_S9_EESD_ST_SE_SF_SG_EUlST_E1_NS1_11comp_targetILNS1_3genE3ELNS1_11target_archE908ELNS1_3gpuE7ELNS1_3repE0EEENS1_36merge_oddeven_config_static_selectorELNS0_4arch9wavefront6targetE0EEEvSF_, .Lfunc_end1034-_ZN7rocprim17ROCPRIM_400000_NS6detail17trampoline_kernelINS0_14default_configENS1_38merge_sort_block_merge_config_selectorIlNS0_10empty_typeEEEZZNS1_27merge_sort_block_merge_implIS3_PlPS5_jNS1_19radix_merge_compareILb1ELb0ElNS0_19identity_decomposerEEEEE10hipError_tT0_T1_T2_jT3_P12ihipStream_tbPNSt15iterator_traitsISE_E10value_typeEPNSK_ISF_E10value_typeEPSG_NS1_7vsmem_tEENKUlT_SE_SF_SG_E_clIS8_S8_S9_S9_EESD_ST_SE_SF_SG_EUlST_E1_NS1_11comp_targetILNS1_3genE3ELNS1_11target_archE908ELNS1_3gpuE7ELNS1_3repE0EEENS1_36merge_oddeven_config_static_selectorELNS0_4arch9wavefront6targetE0EEEvSF_
                                        ; -- End function
	.set _ZN7rocprim17ROCPRIM_400000_NS6detail17trampoline_kernelINS0_14default_configENS1_38merge_sort_block_merge_config_selectorIlNS0_10empty_typeEEEZZNS1_27merge_sort_block_merge_implIS3_PlPS5_jNS1_19radix_merge_compareILb1ELb0ElNS0_19identity_decomposerEEEEE10hipError_tT0_T1_T2_jT3_P12ihipStream_tbPNSt15iterator_traitsISE_E10value_typeEPNSK_ISF_E10value_typeEPSG_NS1_7vsmem_tEENKUlT_SE_SF_SG_E_clIS8_S8_S9_S9_EESD_ST_SE_SF_SG_EUlST_E1_NS1_11comp_targetILNS1_3genE3ELNS1_11target_archE908ELNS1_3gpuE7ELNS1_3repE0EEENS1_36merge_oddeven_config_static_selectorELNS0_4arch9wavefront6targetE0EEEvSF_.num_vgpr, 0
	.set _ZN7rocprim17ROCPRIM_400000_NS6detail17trampoline_kernelINS0_14default_configENS1_38merge_sort_block_merge_config_selectorIlNS0_10empty_typeEEEZZNS1_27merge_sort_block_merge_implIS3_PlPS5_jNS1_19radix_merge_compareILb1ELb0ElNS0_19identity_decomposerEEEEE10hipError_tT0_T1_T2_jT3_P12ihipStream_tbPNSt15iterator_traitsISE_E10value_typeEPNSK_ISF_E10value_typeEPSG_NS1_7vsmem_tEENKUlT_SE_SF_SG_E_clIS8_S8_S9_S9_EESD_ST_SE_SF_SG_EUlST_E1_NS1_11comp_targetILNS1_3genE3ELNS1_11target_archE908ELNS1_3gpuE7ELNS1_3repE0EEENS1_36merge_oddeven_config_static_selectorELNS0_4arch9wavefront6targetE0EEEvSF_.num_agpr, 0
	.set _ZN7rocprim17ROCPRIM_400000_NS6detail17trampoline_kernelINS0_14default_configENS1_38merge_sort_block_merge_config_selectorIlNS0_10empty_typeEEEZZNS1_27merge_sort_block_merge_implIS3_PlPS5_jNS1_19radix_merge_compareILb1ELb0ElNS0_19identity_decomposerEEEEE10hipError_tT0_T1_T2_jT3_P12ihipStream_tbPNSt15iterator_traitsISE_E10value_typeEPNSK_ISF_E10value_typeEPSG_NS1_7vsmem_tEENKUlT_SE_SF_SG_E_clIS8_S8_S9_S9_EESD_ST_SE_SF_SG_EUlST_E1_NS1_11comp_targetILNS1_3genE3ELNS1_11target_archE908ELNS1_3gpuE7ELNS1_3repE0EEENS1_36merge_oddeven_config_static_selectorELNS0_4arch9wavefront6targetE0EEEvSF_.numbered_sgpr, 0
	.set _ZN7rocprim17ROCPRIM_400000_NS6detail17trampoline_kernelINS0_14default_configENS1_38merge_sort_block_merge_config_selectorIlNS0_10empty_typeEEEZZNS1_27merge_sort_block_merge_implIS3_PlPS5_jNS1_19radix_merge_compareILb1ELb0ElNS0_19identity_decomposerEEEEE10hipError_tT0_T1_T2_jT3_P12ihipStream_tbPNSt15iterator_traitsISE_E10value_typeEPNSK_ISF_E10value_typeEPSG_NS1_7vsmem_tEENKUlT_SE_SF_SG_E_clIS8_S8_S9_S9_EESD_ST_SE_SF_SG_EUlST_E1_NS1_11comp_targetILNS1_3genE3ELNS1_11target_archE908ELNS1_3gpuE7ELNS1_3repE0EEENS1_36merge_oddeven_config_static_selectorELNS0_4arch9wavefront6targetE0EEEvSF_.num_named_barrier, 0
	.set _ZN7rocprim17ROCPRIM_400000_NS6detail17trampoline_kernelINS0_14default_configENS1_38merge_sort_block_merge_config_selectorIlNS0_10empty_typeEEEZZNS1_27merge_sort_block_merge_implIS3_PlPS5_jNS1_19radix_merge_compareILb1ELb0ElNS0_19identity_decomposerEEEEE10hipError_tT0_T1_T2_jT3_P12ihipStream_tbPNSt15iterator_traitsISE_E10value_typeEPNSK_ISF_E10value_typeEPSG_NS1_7vsmem_tEENKUlT_SE_SF_SG_E_clIS8_S8_S9_S9_EESD_ST_SE_SF_SG_EUlST_E1_NS1_11comp_targetILNS1_3genE3ELNS1_11target_archE908ELNS1_3gpuE7ELNS1_3repE0EEENS1_36merge_oddeven_config_static_selectorELNS0_4arch9wavefront6targetE0EEEvSF_.private_seg_size, 0
	.set _ZN7rocprim17ROCPRIM_400000_NS6detail17trampoline_kernelINS0_14default_configENS1_38merge_sort_block_merge_config_selectorIlNS0_10empty_typeEEEZZNS1_27merge_sort_block_merge_implIS3_PlPS5_jNS1_19radix_merge_compareILb1ELb0ElNS0_19identity_decomposerEEEEE10hipError_tT0_T1_T2_jT3_P12ihipStream_tbPNSt15iterator_traitsISE_E10value_typeEPNSK_ISF_E10value_typeEPSG_NS1_7vsmem_tEENKUlT_SE_SF_SG_E_clIS8_S8_S9_S9_EESD_ST_SE_SF_SG_EUlST_E1_NS1_11comp_targetILNS1_3genE3ELNS1_11target_archE908ELNS1_3gpuE7ELNS1_3repE0EEENS1_36merge_oddeven_config_static_selectorELNS0_4arch9wavefront6targetE0EEEvSF_.uses_vcc, 0
	.set _ZN7rocprim17ROCPRIM_400000_NS6detail17trampoline_kernelINS0_14default_configENS1_38merge_sort_block_merge_config_selectorIlNS0_10empty_typeEEEZZNS1_27merge_sort_block_merge_implIS3_PlPS5_jNS1_19radix_merge_compareILb1ELb0ElNS0_19identity_decomposerEEEEE10hipError_tT0_T1_T2_jT3_P12ihipStream_tbPNSt15iterator_traitsISE_E10value_typeEPNSK_ISF_E10value_typeEPSG_NS1_7vsmem_tEENKUlT_SE_SF_SG_E_clIS8_S8_S9_S9_EESD_ST_SE_SF_SG_EUlST_E1_NS1_11comp_targetILNS1_3genE3ELNS1_11target_archE908ELNS1_3gpuE7ELNS1_3repE0EEENS1_36merge_oddeven_config_static_selectorELNS0_4arch9wavefront6targetE0EEEvSF_.uses_flat_scratch, 0
	.set _ZN7rocprim17ROCPRIM_400000_NS6detail17trampoline_kernelINS0_14default_configENS1_38merge_sort_block_merge_config_selectorIlNS0_10empty_typeEEEZZNS1_27merge_sort_block_merge_implIS3_PlPS5_jNS1_19radix_merge_compareILb1ELb0ElNS0_19identity_decomposerEEEEE10hipError_tT0_T1_T2_jT3_P12ihipStream_tbPNSt15iterator_traitsISE_E10value_typeEPNSK_ISF_E10value_typeEPSG_NS1_7vsmem_tEENKUlT_SE_SF_SG_E_clIS8_S8_S9_S9_EESD_ST_SE_SF_SG_EUlST_E1_NS1_11comp_targetILNS1_3genE3ELNS1_11target_archE908ELNS1_3gpuE7ELNS1_3repE0EEENS1_36merge_oddeven_config_static_selectorELNS0_4arch9wavefront6targetE0EEEvSF_.has_dyn_sized_stack, 0
	.set _ZN7rocprim17ROCPRIM_400000_NS6detail17trampoline_kernelINS0_14default_configENS1_38merge_sort_block_merge_config_selectorIlNS0_10empty_typeEEEZZNS1_27merge_sort_block_merge_implIS3_PlPS5_jNS1_19radix_merge_compareILb1ELb0ElNS0_19identity_decomposerEEEEE10hipError_tT0_T1_T2_jT3_P12ihipStream_tbPNSt15iterator_traitsISE_E10value_typeEPNSK_ISF_E10value_typeEPSG_NS1_7vsmem_tEENKUlT_SE_SF_SG_E_clIS8_S8_S9_S9_EESD_ST_SE_SF_SG_EUlST_E1_NS1_11comp_targetILNS1_3genE3ELNS1_11target_archE908ELNS1_3gpuE7ELNS1_3repE0EEENS1_36merge_oddeven_config_static_selectorELNS0_4arch9wavefront6targetE0EEEvSF_.has_recursion, 0
	.set _ZN7rocprim17ROCPRIM_400000_NS6detail17trampoline_kernelINS0_14default_configENS1_38merge_sort_block_merge_config_selectorIlNS0_10empty_typeEEEZZNS1_27merge_sort_block_merge_implIS3_PlPS5_jNS1_19radix_merge_compareILb1ELb0ElNS0_19identity_decomposerEEEEE10hipError_tT0_T1_T2_jT3_P12ihipStream_tbPNSt15iterator_traitsISE_E10value_typeEPNSK_ISF_E10value_typeEPSG_NS1_7vsmem_tEENKUlT_SE_SF_SG_E_clIS8_S8_S9_S9_EESD_ST_SE_SF_SG_EUlST_E1_NS1_11comp_targetILNS1_3genE3ELNS1_11target_archE908ELNS1_3gpuE7ELNS1_3repE0EEENS1_36merge_oddeven_config_static_selectorELNS0_4arch9wavefront6targetE0EEEvSF_.has_indirect_call, 0
	.section	.AMDGPU.csdata,"",@progbits
; Kernel info:
; codeLenInByte = 0
; TotalNumSgprs: 0
; NumVgprs: 0
; ScratchSize: 0
; MemoryBound: 0
; FloatMode: 240
; IeeeMode: 1
; LDSByteSize: 0 bytes/workgroup (compile time only)
; SGPRBlocks: 0
; VGPRBlocks: 0
; NumSGPRsForWavesPerEU: 1
; NumVGPRsForWavesPerEU: 1
; NamedBarCnt: 0
; Occupancy: 16
; WaveLimiterHint : 0
; COMPUTE_PGM_RSRC2:SCRATCH_EN: 0
; COMPUTE_PGM_RSRC2:USER_SGPR: 2
; COMPUTE_PGM_RSRC2:TRAP_HANDLER: 0
; COMPUTE_PGM_RSRC2:TGID_X_EN: 1
; COMPUTE_PGM_RSRC2:TGID_Y_EN: 0
; COMPUTE_PGM_RSRC2:TGID_Z_EN: 0
; COMPUTE_PGM_RSRC2:TIDIG_COMP_CNT: 0
	.section	.text._ZN7rocprim17ROCPRIM_400000_NS6detail17trampoline_kernelINS0_14default_configENS1_38merge_sort_block_merge_config_selectorIlNS0_10empty_typeEEEZZNS1_27merge_sort_block_merge_implIS3_PlPS5_jNS1_19radix_merge_compareILb1ELb0ElNS0_19identity_decomposerEEEEE10hipError_tT0_T1_T2_jT3_P12ihipStream_tbPNSt15iterator_traitsISE_E10value_typeEPNSK_ISF_E10value_typeEPSG_NS1_7vsmem_tEENKUlT_SE_SF_SG_E_clIS8_S8_S9_S9_EESD_ST_SE_SF_SG_EUlST_E1_NS1_11comp_targetILNS1_3genE2ELNS1_11target_archE906ELNS1_3gpuE6ELNS1_3repE0EEENS1_36merge_oddeven_config_static_selectorELNS0_4arch9wavefront6targetE0EEEvSF_,"axG",@progbits,_ZN7rocprim17ROCPRIM_400000_NS6detail17trampoline_kernelINS0_14default_configENS1_38merge_sort_block_merge_config_selectorIlNS0_10empty_typeEEEZZNS1_27merge_sort_block_merge_implIS3_PlPS5_jNS1_19radix_merge_compareILb1ELb0ElNS0_19identity_decomposerEEEEE10hipError_tT0_T1_T2_jT3_P12ihipStream_tbPNSt15iterator_traitsISE_E10value_typeEPNSK_ISF_E10value_typeEPSG_NS1_7vsmem_tEENKUlT_SE_SF_SG_E_clIS8_S8_S9_S9_EESD_ST_SE_SF_SG_EUlST_E1_NS1_11comp_targetILNS1_3genE2ELNS1_11target_archE906ELNS1_3gpuE6ELNS1_3repE0EEENS1_36merge_oddeven_config_static_selectorELNS0_4arch9wavefront6targetE0EEEvSF_,comdat
	.protected	_ZN7rocprim17ROCPRIM_400000_NS6detail17trampoline_kernelINS0_14default_configENS1_38merge_sort_block_merge_config_selectorIlNS0_10empty_typeEEEZZNS1_27merge_sort_block_merge_implIS3_PlPS5_jNS1_19radix_merge_compareILb1ELb0ElNS0_19identity_decomposerEEEEE10hipError_tT0_T1_T2_jT3_P12ihipStream_tbPNSt15iterator_traitsISE_E10value_typeEPNSK_ISF_E10value_typeEPSG_NS1_7vsmem_tEENKUlT_SE_SF_SG_E_clIS8_S8_S9_S9_EESD_ST_SE_SF_SG_EUlST_E1_NS1_11comp_targetILNS1_3genE2ELNS1_11target_archE906ELNS1_3gpuE6ELNS1_3repE0EEENS1_36merge_oddeven_config_static_selectorELNS0_4arch9wavefront6targetE0EEEvSF_ ; -- Begin function _ZN7rocprim17ROCPRIM_400000_NS6detail17trampoline_kernelINS0_14default_configENS1_38merge_sort_block_merge_config_selectorIlNS0_10empty_typeEEEZZNS1_27merge_sort_block_merge_implIS3_PlPS5_jNS1_19radix_merge_compareILb1ELb0ElNS0_19identity_decomposerEEEEE10hipError_tT0_T1_T2_jT3_P12ihipStream_tbPNSt15iterator_traitsISE_E10value_typeEPNSK_ISF_E10value_typeEPSG_NS1_7vsmem_tEENKUlT_SE_SF_SG_E_clIS8_S8_S9_S9_EESD_ST_SE_SF_SG_EUlST_E1_NS1_11comp_targetILNS1_3genE2ELNS1_11target_archE906ELNS1_3gpuE6ELNS1_3repE0EEENS1_36merge_oddeven_config_static_selectorELNS0_4arch9wavefront6targetE0EEEvSF_
	.globl	_ZN7rocprim17ROCPRIM_400000_NS6detail17trampoline_kernelINS0_14default_configENS1_38merge_sort_block_merge_config_selectorIlNS0_10empty_typeEEEZZNS1_27merge_sort_block_merge_implIS3_PlPS5_jNS1_19radix_merge_compareILb1ELb0ElNS0_19identity_decomposerEEEEE10hipError_tT0_T1_T2_jT3_P12ihipStream_tbPNSt15iterator_traitsISE_E10value_typeEPNSK_ISF_E10value_typeEPSG_NS1_7vsmem_tEENKUlT_SE_SF_SG_E_clIS8_S8_S9_S9_EESD_ST_SE_SF_SG_EUlST_E1_NS1_11comp_targetILNS1_3genE2ELNS1_11target_archE906ELNS1_3gpuE6ELNS1_3repE0EEENS1_36merge_oddeven_config_static_selectorELNS0_4arch9wavefront6targetE0EEEvSF_
	.p2align	8
	.type	_ZN7rocprim17ROCPRIM_400000_NS6detail17trampoline_kernelINS0_14default_configENS1_38merge_sort_block_merge_config_selectorIlNS0_10empty_typeEEEZZNS1_27merge_sort_block_merge_implIS3_PlPS5_jNS1_19radix_merge_compareILb1ELb0ElNS0_19identity_decomposerEEEEE10hipError_tT0_T1_T2_jT3_P12ihipStream_tbPNSt15iterator_traitsISE_E10value_typeEPNSK_ISF_E10value_typeEPSG_NS1_7vsmem_tEENKUlT_SE_SF_SG_E_clIS8_S8_S9_S9_EESD_ST_SE_SF_SG_EUlST_E1_NS1_11comp_targetILNS1_3genE2ELNS1_11target_archE906ELNS1_3gpuE6ELNS1_3repE0EEENS1_36merge_oddeven_config_static_selectorELNS0_4arch9wavefront6targetE0EEEvSF_,@function
_ZN7rocprim17ROCPRIM_400000_NS6detail17trampoline_kernelINS0_14default_configENS1_38merge_sort_block_merge_config_selectorIlNS0_10empty_typeEEEZZNS1_27merge_sort_block_merge_implIS3_PlPS5_jNS1_19radix_merge_compareILb1ELb0ElNS0_19identity_decomposerEEEEE10hipError_tT0_T1_T2_jT3_P12ihipStream_tbPNSt15iterator_traitsISE_E10value_typeEPNSK_ISF_E10value_typeEPSG_NS1_7vsmem_tEENKUlT_SE_SF_SG_E_clIS8_S8_S9_S9_EESD_ST_SE_SF_SG_EUlST_E1_NS1_11comp_targetILNS1_3genE2ELNS1_11target_archE906ELNS1_3gpuE6ELNS1_3repE0EEENS1_36merge_oddeven_config_static_selectorELNS0_4arch9wavefront6targetE0EEEvSF_: ; @_ZN7rocprim17ROCPRIM_400000_NS6detail17trampoline_kernelINS0_14default_configENS1_38merge_sort_block_merge_config_selectorIlNS0_10empty_typeEEEZZNS1_27merge_sort_block_merge_implIS3_PlPS5_jNS1_19radix_merge_compareILb1ELb0ElNS0_19identity_decomposerEEEEE10hipError_tT0_T1_T2_jT3_P12ihipStream_tbPNSt15iterator_traitsISE_E10value_typeEPNSK_ISF_E10value_typeEPSG_NS1_7vsmem_tEENKUlT_SE_SF_SG_E_clIS8_S8_S9_S9_EESD_ST_SE_SF_SG_EUlST_E1_NS1_11comp_targetILNS1_3genE2ELNS1_11target_archE906ELNS1_3gpuE6ELNS1_3repE0EEENS1_36merge_oddeven_config_static_selectorELNS0_4arch9wavefront6targetE0EEEvSF_
; %bb.0:
	.section	.rodata,"a",@progbits
	.p2align	6, 0x0
	.amdhsa_kernel _ZN7rocprim17ROCPRIM_400000_NS6detail17trampoline_kernelINS0_14default_configENS1_38merge_sort_block_merge_config_selectorIlNS0_10empty_typeEEEZZNS1_27merge_sort_block_merge_implIS3_PlPS5_jNS1_19radix_merge_compareILb1ELb0ElNS0_19identity_decomposerEEEEE10hipError_tT0_T1_T2_jT3_P12ihipStream_tbPNSt15iterator_traitsISE_E10value_typeEPNSK_ISF_E10value_typeEPSG_NS1_7vsmem_tEENKUlT_SE_SF_SG_E_clIS8_S8_S9_S9_EESD_ST_SE_SF_SG_EUlST_E1_NS1_11comp_targetILNS1_3genE2ELNS1_11target_archE906ELNS1_3gpuE6ELNS1_3repE0EEENS1_36merge_oddeven_config_static_selectorELNS0_4arch9wavefront6targetE0EEEvSF_
		.amdhsa_group_segment_fixed_size 0
		.amdhsa_private_segment_fixed_size 0
		.amdhsa_kernarg_size 48
		.amdhsa_user_sgpr_count 2
		.amdhsa_user_sgpr_dispatch_ptr 0
		.amdhsa_user_sgpr_queue_ptr 0
		.amdhsa_user_sgpr_kernarg_segment_ptr 1
		.amdhsa_user_sgpr_dispatch_id 0
		.amdhsa_user_sgpr_kernarg_preload_length 0
		.amdhsa_user_sgpr_kernarg_preload_offset 0
		.amdhsa_user_sgpr_private_segment_size 0
		.amdhsa_wavefront_size32 1
		.amdhsa_uses_dynamic_stack 0
		.amdhsa_enable_private_segment 0
		.amdhsa_system_sgpr_workgroup_id_x 1
		.amdhsa_system_sgpr_workgroup_id_y 0
		.amdhsa_system_sgpr_workgroup_id_z 0
		.amdhsa_system_sgpr_workgroup_info 0
		.amdhsa_system_vgpr_workitem_id 0
		.amdhsa_next_free_vgpr 1
		.amdhsa_next_free_sgpr 1
		.amdhsa_named_barrier_count 0
		.amdhsa_reserve_vcc 0
		.amdhsa_float_round_mode_32 0
		.amdhsa_float_round_mode_16_64 0
		.amdhsa_float_denorm_mode_32 3
		.amdhsa_float_denorm_mode_16_64 3
		.amdhsa_fp16_overflow 0
		.amdhsa_memory_ordered 1
		.amdhsa_forward_progress 1
		.amdhsa_inst_pref_size 0
		.amdhsa_round_robin_scheduling 0
		.amdhsa_exception_fp_ieee_invalid_op 0
		.amdhsa_exception_fp_denorm_src 0
		.amdhsa_exception_fp_ieee_div_zero 0
		.amdhsa_exception_fp_ieee_overflow 0
		.amdhsa_exception_fp_ieee_underflow 0
		.amdhsa_exception_fp_ieee_inexact 0
		.amdhsa_exception_int_div_zero 0
	.end_amdhsa_kernel
	.section	.text._ZN7rocprim17ROCPRIM_400000_NS6detail17trampoline_kernelINS0_14default_configENS1_38merge_sort_block_merge_config_selectorIlNS0_10empty_typeEEEZZNS1_27merge_sort_block_merge_implIS3_PlPS5_jNS1_19radix_merge_compareILb1ELb0ElNS0_19identity_decomposerEEEEE10hipError_tT0_T1_T2_jT3_P12ihipStream_tbPNSt15iterator_traitsISE_E10value_typeEPNSK_ISF_E10value_typeEPSG_NS1_7vsmem_tEENKUlT_SE_SF_SG_E_clIS8_S8_S9_S9_EESD_ST_SE_SF_SG_EUlST_E1_NS1_11comp_targetILNS1_3genE2ELNS1_11target_archE906ELNS1_3gpuE6ELNS1_3repE0EEENS1_36merge_oddeven_config_static_selectorELNS0_4arch9wavefront6targetE0EEEvSF_,"axG",@progbits,_ZN7rocprim17ROCPRIM_400000_NS6detail17trampoline_kernelINS0_14default_configENS1_38merge_sort_block_merge_config_selectorIlNS0_10empty_typeEEEZZNS1_27merge_sort_block_merge_implIS3_PlPS5_jNS1_19radix_merge_compareILb1ELb0ElNS0_19identity_decomposerEEEEE10hipError_tT0_T1_T2_jT3_P12ihipStream_tbPNSt15iterator_traitsISE_E10value_typeEPNSK_ISF_E10value_typeEPSG_NS1_7vsmem_tEENKUlT_SE_SF_SG_E_clIS8_S8_S9_S9_EESD_ST_SE_SF_SG_EUlST_E1_NS1_11comp_targetILNS1_3genE2ELNS1_11target_archE906ELNS1_3gpuE6ELNS1_3repE0EEENS1_36merge_oddeven_config_static_selectorELNS0_4arch9wavefront6targetE0EEEvSF_,comdat
.Lfunc_end1035:
	.size	_ZN7rocprim17ROCPRIM_400000_NS6detail17trampoline_kernelINS0_14default_configENS1_38merge_sort_block_merge_config_selectorIlNS0_10empty_typeEEEZZNS1_27merge_sort_block_merge_implIS3_PlPS5_jNS1_19radix_merge_compareILb1ELb0ElNS0_19identity_decomposerEEEEE10hipError_tT0_T1_T2_jT3_P12ihipStream_tbPNSt15iterator_traitsISE_E10value_typeEPNSK_ISF_E10value_typeEPSG_NS1_7vsmem_tEENKUlT_SE_SF_SG_E_clIS8_S8_S9_S9_EESD_ST_SE_SF_SG_EUlST_E1_NS1_11comp_targetILNS1_3genE2ELNS1_11target_archE906ELNS1_3gpuE6ELNS1_3repE0EEENS1_36merge_oddeven_config_static_selectorELNS0_4arch9wavefront6targetE0EEEvSF_, .Lfunc_end1035-_ZN7rocprim17ROCPRIM_400000_NS6detail17trampoline_kernelINS0_14default_configENS1_38merge_sort_block_merge_config_selectorIlNS0_10empty_typeEEEZZNS1_27merge_sort_block_merge_implIS3_PlPS5_jNS1_19radix_merge_compareILb1ELb0ElNS0_19identity_decomposerEEEEE10hipError_tT0_T1_T2_jT3_P12ihipStream_tbPNSt15iterator_traitsISE_E10value_typeEPNSK_ISF_E10value_typeEPSG_NS1_7vsmem_tEENKUlT_SE_SF_SG_E_clIS8_S8_S9_S9_EESD_ST_SE_SF_SG_EUlST_E1_NS1_11comp_targetILNS1_3genE2ELNS1_11target_archE906ELNS1_3gpuE6ELNS1_3repE0EEENS1_36merge_oddeven_config_static_selectorELNS0_4arch9wavefront6targetE0EEEvSF_
                                        ; -- End function
	.set _ZN7rocprim17ROCPRIM_400000_NS6detail17trampoline_kernelINS0_14default_configENS1_38merge_sort_block_merge_config_selectorIlNS0_10empty_typeEEEZZNS1_27merge_sort_block_merge_implIS3_PlPS5_jNS1_19radix_merge_compareILb1ELb0ElNS0_19identity_decomposerEEEEE10hipError_tT0_T1_T2_jT3_P12ihipStream_tbPNSt15iterator_traitsISE_E10value_typeEPNSK_ISF_E10value_typeEPSG_NS1_7vsmem_tEENKUlT_SE_SF_SG_E_clIS8_S8_S9_S9_EESD_ST_SE_SF_SG_EUlST_E1_NS1_11comp_targetILNS1_3genE2ELNS1_11target_archE906ELNS1_3gpuE6ELNS1_3repE0EEENS1_36merge_oddeven_config_static_selectorELNS0_4arch9wavefront6targetE0EEEvSF_.num_vgpr, 0
	.set _ZN7rocprim17ROCPRIM_400000_NS6detail17trampoline_kernelINS0_14default_configENS1_38merge_sort_block_merge_config_selectorIlNS0_10empty_typeEEEZZNS1_27merge_sort_block_merge_implIS3_PlPS5_jNS1_19radix_merge_compareILb1ELb0ElNS0_19identity_decomposerEEEEE10hipError_tT0_T1_T2_jT3_P12ihipStream_tbPNSt15iterator_traitsISE_E10value_typeEPNSK_ISF_E10value_typeEPSG_NS1_7vsmem_tEENKUlT_SE_SF_SG_E_clIS8_S8_S9_S9_EESD_ST_SE_SF_SG_EUlST_E1_NS1_11comp_targetILNS1_3genE2ELNS1_11target_archE906ELNS1_3gpuE6ELNS1_3repE0EEENS1_36merge_oddeven_config_static_selectorELNS0_4arch9wavefront6targetE0EEEvSF_.num_agpr, 0
	.set _ZN7rocprim17ROCPRIM_400000_NS6detail17trampoline_kernelINS0_14default_configENS1_38merge_sort_block_merge_config_selectorIlNS0_10empty_typeEEEZZNS1_27merge_sort_block_merge_implIS3_PlPS5_jNS1_19radix_merge_compareILb1ELb0ElNS0_19identity_decomposerEEEEE10hipError_tT0_T1_T2_jT3_P12ihipStream_tbPNSt15iterator_traitsISE_E10value_typeEPNSK_ISF_E10value_typeEPSG_NS1_7vsmem_tEENKUlT_SE_SF_SG_E_clIS8_S8_S9_S9_EESD_ST_SE_SF_SG_EUlST_E1_NS1_11comp_targetILNS1_3genE2ELNS1_11target_archE906ELNS1_3gpuE6ELNS1_3repE0EEENS1_36merge_oddeven_config_static_selectorELNS0_4arch9wavefront6targetE0EEEvSF_.numbered_sgpr, 0
	.set _ZN7rocprim17ROCPRIM_400000_NS6detail17trampoline_kernelINS0_14default_configENS1_38merge_sort_block_merge_config_selectorIlNS0_10empty_typeEEEZZNS1_27merge_sort_block_merge_implIS3_PlPS5_jNS1_19radix_merge_compareILb1ELb0ElNS0_19identity_decomposerEEEEE10hipError_tT0_T1_T2_jT3_P12ihipStream_tbPNSt15iterator_traitsISE_E10value_typeEPNSK_ISF_E10value_typeEPSG_NS1_7vsmem_tEENKUlT_SE_SF_SG_E_clIS8_S8_S9_S9_EESD_ST_SE_SF_SG_EUlST_E1_NS1_11comp_targetILNS1_3genE2ELNS1_11target_archE906ELNS1_3gpuE6ELNS1_3repE0EEENS1_36merge_oddeven_config_static_selectorELNS0_4arch9wavefront6targetE0EEEvSF_.num_named_barrier, 0
	.set _ZN7rocprim17ROCPRIM_400000_NS6detail17trampoline_kernelINS0_14default_configENS1_38merge_sort_block_merge_config_selectorIlNS0_10empty_typeEEEZZNS1_27merge_sort_block_merge_implIS3_PlPS5_jNS1_19radix_merge_compareILb1ELb0ElNS0_19identity_decomposerEEEEE10hipError_tT0_T1_T2_jT3_P12ihipStream_tbPNSt15iterator_traitsISE_E10value_typeEPNSK_ISF_E10value_typeEPSG_NS1_7vsmem_tEENKUlT_SE_SF_SG_E_clIS8_S8_S9_S9_EESD_ST_SE_SF_SG_EUlST_E1_NS1_11comp_targetILNS1_3genE2ELNS1_11target_archE906ELNS1_3gpuE6ELNS1_3repE0EEENS1_36merge_oddeven_config_static_selectorELNS0_4arch9wavefront6targetE0EEEvSF_.private_seg_size, 0
	.set _ZN7rocprim17ROCPRIM_400000_NS6detail17trampoline_kernelINS0_14default_configENS1_38merge_sort_block_merge_config_selectorIlNS0_10empty_typeEEEZZNS1_27merge_sort_block_merge_implIS3_PlPS5_jNS1_19radix_merge_compareILb1ELb0ElNS0_19identity_decomposerEEEEE10hipError_tT0_T1_T2_jT3_P12ihipStream_tbPNSt15iterator_traitsISE_E10value_typeEPNSK_ISF_E10value_typeEPSG_NS1_7vsmem_tEENKUlT_SE_SF_SG_E_clIS8_S8_S9_S9_EESD_ST_SE_SF_SG_EUlST_E1_NS1_11comp_targetILNS1_3genE2ELNS1_11target_archE906ELNS1_3gpuE6ELNS1_3repE0EEENS1_36merge_oddeven_config_static_selectorELNS0_4arch9wavefront6targetE0EEEvSF_.uses_vcc, 0
	.set _ZN7rocprim17ROCPRIM_400000_NS6detail17trampoline_kernelINS0_14default_configENS1_38merge_sort_block_merge_config_selectorIlNS0_10empty_typeEEEZZNS1_27merge_sort_block_merge_implIS3_PlPS5_jNS1_19radix_merge_compareILb1ELb0ElNS0_19identity_decomposerEEEEE10hipError_tT0_T1_T2_jT3_P12ihipStream_tbPNSt15iterator_traitsISE_E10value_typeEPNSK_ISF_E10value_typeEPSG_NS1_7vsmem_tEENKUlT_SE_SF_SG_E_clIS8_S8_S9_S9_EESD_ST_SE_SF_SG_EUlST_E1_NS1_11comp_targetILNS1_3genE2ELNS1_11target_archE906ELNS1_3gpuE6ELNS1_3repE0EEENS1_36merge_oddeven_config_static_selectorELNS0_4arch9wavefront6targetE0EEEvSF_.uses_flat_scratch, 0
	.set _ZN7rocprim17ROCPRIM_400000_NS6detail17trampoline_kernelINS0_14default_configENS1_38merge_sort_block_merge_config_selectorIlNS0_10empty_typeEEEZZNS1_27merge_sort_block_merge_implIS3_PlPS5_jNS1_19radix_merge_compareILb1ELb0ElNS0_19identity_decomposerEEEEE10hipError_tT0_T1_T2_jT3_P12ihipStream_tbPNSt15iterator_traitsISE_E10value_typeEPNSK_ISF_E10value_typeEPSG_NS1_7vsmem_tEENKUlT_SE_SF_SG_E_clIS8_S8_S9_S9_EESD_ST_SE_SF_SG_EUlST_E1_NS1_11comp_targetILNS1_3genE2ELNS1_11target_archE906ELNS1_3gpuE6ELNS1_3repE0EEENS1_36merge_oddeven_config_static_selectorELNS0_4arch9wavefront6targetE0EEEvSF_.has_dyn_sized_stack, 0
	.set _ZN7rocprim17ROCPRIM_400000_NS6detail17trampoline_kernelINS0_14default_configENS1_38merge_sort_block_merge_config_selectorIlNS0_10empty_typeEEEZZNS1_27merge_sort_block_merge_implIS3_PlPS5_jNS1_19radix_merge_compareILb1ELb0ElNS0_19identity_decomposerEEEEE10hipError_tT0_T1_T2_jT3_P12ihipStream_tbPNSt15iterator_traitsISE_E10value_typeEPNSK_ISF_E10value_typeEPSG_NS1_7vsmem_tEENKUlT_SE_SF_SG_E_clIS8_S8_S9_S9_EESD_ST_SE_SF_SG_EUlST_E1_NS1_11comp_targetILNS1_3genE2ELNS1_11target_archE906ELNS1_3gpuE6ELNS1_3repE0EEENS1_36merge_oddeven_config_static_selectorELNS0_4arch9wavefront6targetE0EEEvSF_.has_recursion, 0
	.set _ZN7rocprim17ROCPRIM_400000_NS6detail17trampoline_kernelINS0_14default_configENS1_38merge_sort_block_merge_config_selectorIlNS0_10empty_typeEEEZZNS1_27merge_sort_block_merge_implIS3_PlPS5_jNS1_19radix_merge_compareILb1ELb0ElNS0_19identity_decomposerEEEEE10hipError_tT0_T1_T2_jT3_P12ihipStream_tbPNSt15iterator_traitsISE_E10value_typeEPNSK_ISF_E10value_typeEPSG_NS1_7vsmem_tEENKUlT_SE_SF_SG_E_clIS8_S8_S9_S9_EESD_ST_SE_SF_SG_EUlST_E1_NS1_11comp_targetILNS1_3genE2ELNS1_11target_archE906ELNS1_3gpuE6ELNS1_3repE0EEENS1_36merge_oddeven_config_static_selectorELNS0_4arch9wavefront6targetE0EEEvSF_.has_indirect_call, 0
	.section	.AMDGPU.csdata,"",@progbits
; Kernel info:
; codeLenInByte = 0
; TotalNumSgprs: 0
; NumVgprs: 0
; ScratchSize: 0
; MemoryBound: 0
; FloatMode: 240
; IeeeMode: 1
; LDSByteSize: 0 bytes/workgroup (compile time only)
; SGPRBlocks: 0
; VGPRBlocks: 0
; NumSGPRsForWavesPerEU: 1
; NumVGPRsForWavesPerEU: 1
; NamedBarCnt: 0
; Occupancy: 16
; WaveLimiterHint : 0
; COMPUTE_PGM_RSRC2:SCRATCH_EN: 0
; COMPUTE_PGM_RSRC2:USER_SGPR: 2
; COMPUTE_PGM_RSRC2:TRAP_HANDLER: 0
; COMPUTE_PGM_RSRC2:TGID_X_EN: 1
; COMPUTE_PGM_RSRC2:TGID_Y_EN: 0
; COMPUTE_PGM_RSRC2:TGID_Z_EN: 0
; COMPUTE_PGM_RSRC2:TIDIG_COMP_CNT: 0
	.section	.text._ZN7rocprim17ROCPRIM_400000_NS6detail17trampoline_kernelINS0_14default_configENS1_38merge_sort_block_merge_config_selectorIlNS0_10empty_typeEEEZZNS1_27merge_sort_block_merge_implIS3_PlPS5_jNS1_19radix_merge_compareILb1ELb0ElNS0_19identity_decomposerEEEEE10hipError_tT0_T1_T2_jT3_P12ihipStream_tbPNSt15iterator_traitsISE_E10value_typeEPNSK_ISF_E10value_typeEPSG_NS1_7vsmem_tEENKUlT_SE_SF_SG_E_clIS8_S8_S9_S9_EESD_ST_SE_SF_SG_EUlST_E1_NS1_11comp_targetILNS1_3genE9ELNS1_11target_archE1100ELNS1_3gpuE3ELNS1_3repE0EEENS1_36merge_oddeven_config_static_selectorELNS0_4arch9wavefront6targetE0EEEvSF_,"axG",@progbits,_ZN7rocprim17ROCPRIM_400000_NS6detail17trampoline_kernelINS0_14default_configENS1_38merge_sort_block_merge_config_selectorIlNS0_10empty_typeEEEZZNS1_27merge_sort_block_merge_implIS3_PlPS5_jNS1_19radix_merge_compareILb1ELb0ElNS0_19identity_decomposerEEEEE10hipError_tT0_T1_T2_jT3_P12ihipStream_tbPNSt15iterator_traitsISE_E10value_typeEPNSK_ISF_E10value_typeEPSG_NS1_7vsmem_tEENKUlT_SE_SF_SG_E_clIS8_S8_S9_S9_EESD_ST_SE_SF_SG_EUlST_E1_NS1_11comp_targetILNS1_3genE9ELNS1_11target_archE1100ELNS1_3gpuE3ELNS1_3repE0EEENS1_36merge_oddeven_config_static_selectorELNS0_4arch9wavefront6targetE0EEEvSF_,comdat
	.protected	_ZN7rocprim17ROCPRIM_400000_NS6detail17trampoline_kernelINS0_14default_configENS1_38merge_sort_block_merge_config_selectorIlNS0_10empty_typeEEEZZNS1_27merge_sort_block_merge_implIS3_PlPS5_jNS1_19radix_merge_compareILb1ELb0ElNS0_19identity_decomposerEEEEE10hipError_tT0_T1_T2_jT3_P12ihipStream_tbPNSt15iterator_traitsISE_E10value_typeEPNSK_ISF_E10value_typeEPSG_NS1_7vsmem_tEENKUlT_SE_SF_SG_E_clIS8_S8_S9_S9_EESD_ST_SE_SF_SG_EUlST_E1_NS1_11comp_targetILNS1_3genE9ELNS1_11target_archE1100ELNS1_3gpuE3ELNS1_3repE0EEENS1_36merge_oddeven_config_static_selectorELNS0_4arch9wavefront6targetE0EEEvSF_ ; -- Begin function _ZN7rocprim17ROCPRIM_400000_NS6detail17trampoline_kernelINS0_14default_configENS1_38merge_sort_block_merge_config_selectorIlNS0_10empty_typeEEEZZNS1_27merge_sort_block_merge_implIS3_PlPS5_jNS1_19radix_merge_compareILb1ELb0ElNS0_19identity_decomposerEEEEE10hipError_tT0_T1_T2_jT3_P12ihipStream_tbPNSt15iterator_traitsISE_E10value_typeEPNSK_ISF_E10value_typeEPSG_NS1_7vsmem_tEENKUlT_SE_SF_SG_E_clIS8_S8_S9_S9_EESD_ST_SE_SF_SG_EUlST_E1_NS1_11comp_targetILNS1_3genE9ELNS1_11target_archE1100ELNS1_3gpuE3ELNS1_3repE0EEENS1_36merge_oddeven_config_static_selectorELNS0_4arch9wavefront6targetE0EEEvSF_
	.globl	_ZN7rocprim17ROCPRIM_400000_NS6detail17trampoline_kernelINS0_14default_configENS1_38merge_sort_block_merge_config_selectorIlNS0_10empty_typeEEEZZNS1_27merge_sort_block_merge_implIS3_PlPS5_jNS1_19radix_merge_compareILb1ELb0ElNS0_19identity_decomposerEEEEE10hipError_tT0_T1_T2_jT3_P12ihipStream_tbPNSt15iterator_traitsISE_E10value_typeEPNSK_ISF_E10value_typeEPSG_NS1_7vsmem_tEENKUlT_SE_SF_SG_E_clIS8_S8_S9_S9_EESD_ST_SE_SF_SG_EUlST_E1_NS1_11comp_targetILNS1_3genE9ELNS1_11target_archE1100ELNS1_3gpuE3ELNS1_3repE0EEENS1_36merge_oddeven_config_static_selectorELNS0_4arch9wavefront6targetE0EEEvSF_
	.p2align	8
	.type	_ZN7rocprim17ROCPRIM_400000_NS6detail17trampoline_kernelINS0_14default_configENS1_38merge_sort_block_merge_config_selectorIlNS0_10empty_typeEEEZZNS1_27merge_sort_block_merge_implIS3_PlPS5_jNS1_19radix_merge_compareILb1ELb0ElNS0_19identity_decomposerEEEEE10hipError_tT0_T1_T2_jT3_P12ihipStream_tbPNSt15iterator_traitsISE_E10value_typeEPNSK_ISF_E10value_typeEPSG_NS1_7vsmem_tEENKUlT_SE_SF_SG_E_clIS8_S8_S9_S9_EESD_ST_SE_SF_SG_EUlST_E1_NS1_11comp_targetILNS1_3genE9ELNS1_11target_archE1100ELNS1_3gpuE3ELNS1_3repE0EEENS1_36merge_oddeven_config_static_selectorELNS0_4arch9wavefront6targetE0EEEvSF_,@function
_ZN7rocprim17ROCPRIM_400000_NS6detail17trampoline_kernelINS0_14default_configENS1_38merge_sort_block_merge_config_selectorIlNS0_10empty_typeEEEZZNS1_27merge_sort_block_merge_implIS3_PlPS5_jNS1_19radix_merge_compareILb1ELb0ElNS0_19identity_decomposerEEEEE10hipError_tT0_T1_T2_jT3_P12ihipStream_tbPNSt15iterator_traitsISE_E10value_typeEPNSK_ISF_E10value_typeEPSG_NS1_7vsmem_tEENKUlT_SE_SF_SG_E_clIS8_S8_S9_S9_EESD_ST_SE_SF_SG_EUlST_E1_NS1_11comp_targetILNS1_3genE9ELNS1_11target_archE1100ELNS1_3gpuE3ELNS1_3repE0EEENS1_36merge_oddeven_config_static_selectorELNS0_4arch9wavefront6targetE0EEEvSF_: ; @_ZN7rocprim17ROCPRIM_400000_NS6detail17trampoline_kernelINS0_14default_configENS1_38merge_sort_block_merge_config_selectorIlNS0_10empty_typeEEEZZNS1_27merge_sort_block_merge_implIS3_PlPS5_jNS1_19radix_merge_compareILb1ELb0ElNS0_19identity_decomposerEEEEE10hipError_tT0_T1_T2_jT3_P12ihipStream_tbPNSt15iterator_traitsISE_E10value_typeEPNSK_ISF_E10value_typeEPSG_NS1_7vsmem_tEENKUlT_SE_SF_SG_E_clIS8_S8_S9_S9_EESD_ST_SE_SF_SG_EUlST_E1_NS1_11comp_targetILNS1_3genE9ELNS1_11target_archE1100ELNS1_3gpuE3ELNS1_3repE0EEENS1_36merge_oddeven_config_static_selectorELNS0_4arch9wavefront6targetE0EEEvSF_
; %bb.0:
	.section	.rodata,"a",@progbits
	.p2align	6, 0x0
	.amdhsa_kernel _ZN7rocprim17ROCPRIM_400000_NS6detail17trampoline_kernelINS0_14default_configENS1_38merge_sort_block_merge_config_selectorIlNS0_10empty_typeEEEZZNS1_27merge_sort_block_merge_implIS3_PlPS5_jNS1_19radix_merge_compareILb1ELb0ElNS0_19identity_decomposerEEEEE10hipError_tT0_T1_T2_jT3_P12ihipStream_tbPNSt15iterator_traitsISE_E10value_typeEPNSK_ISF_E10value_typeEPSG_NS1_7vsmem_tEENKUlT_SE_SF_SG_E_clIS8_S8_S9_S9_EESD_ST_SE_SF_SG_EUlST_E1_NS1_11comp_targetILNS1_3genE9ELNS1_11target_archE1100ELNS1_3gpuE3ELNS1_3repE0EEENS1_36merge_oddeven_config_static_selectorELNS0_4arch9wavefront6targetE0EEEvSF_
		.amdhsa_group_segment_fixed_size 0
		.amdhsa_private_segment_fixed_size 0
		.amdhsa_kernarg_size 48
		.amdhsa_user_sgpr_count 2
		.amdhsa_user_sgpr_dispatch_ptr 0
		.amdhsa_user_sgpr_queue_ptr 0
		.amdhsa_user_sgpr_kernarg_segment_ptr 1
		.amdhsa_user_sgpr_dispatch_id 0
		.amdhsa_user_sgpr_kernarg_preload_length 0
		.amdhsa_user_sgpr_kernarg_preload_offset 0
		.amdhsa_user_sgpr_private_segment_size 0
		.amdhsa_wavefront_size32 1
		.amdhsa_uses_dynamic_stack 0
		.amdhsa_enable_private_segment 0
		.amdhsa_system_sgpr_workgroup_id_x 1
		.amdhsa_system_sgpr_workgroup_id_y 0
		.amdhsa_system_sgpr_workgroup_id_z 0
		.amdhsa_system_sgpr_workgroup_info 0
		.amdhsa_system_vgpr_workitem_id 0
		.amdhsa_next_free_vgpr 1
		.amdhsa_next_free_sgpr 1
		.amdhsa_named_barrier_count 0
		.amdhsa_reserve_vcc 0
		.amdhsa_float_round_mode_32 0
		.amdhsa_float_round_mode_16_64 0
		.amdhsa_float_denorm_mode_32 3
		.amdhsa_float_denorm_mode_16_64 3
		.amdhsa_fp16_overflow 0
		.amdhsa_memory_ordered 1
		.amdhsa_forward_progress 1
		.amdhsa_inst_pref_size 0
		.amdhsa_round_robin_scheduling 0
		.amdhsa_exception_fp_ieee_invalid_op 0
		.amdhsa_exception_fp_denorm_src 0
		.amdhsa_exception_fp_ieee_div_zero 0
		.amdhsa_exception_fp_ieee_overflow 0
		.amdhsa_exception_fp_ieee_underflow 0
		.amdhsa_exception_fp_ieee_inexact 0
		.amdhsa_exception_int_div_zero 0
	.end_amdhsa_kernel
	.section	.text._ZN7rocprim17ROCPRIM_400000_NS6detail17trampoline_kernelINS0_14default_configENS1_38merge_sort_block_merge_config_selectorIlNS0_10empty_typeEEEZZNS1_27merge_sort_block_merge_implIS3_PlPS5_jNS1_19radix_merge_compareILb1ELb0ElNS0_19identity_decomposerEEEEE10hipError_tT0_T1_T2_jT3_P12ihipStream_tbPNSt15iterator_traitsISE_E10value_typeEPNSK_ISF_E10value_typeEPSG_NS1_7vsmem_tEENKUlT_SE_SF_SG_E_clIS8_S8_S9_S9_EESD_ST_SE_SF_SG_EUlST_E1_NS1_11comp_targetILNS1_3genE9ELNS1_11target_archE1100ELNS1_3gpuE3ELNS1_3repE0EEENS1_36merge_oddeven_config_static_selectorELNS0_4arch9wavefront6targetE0EEEvSF_,"axG",@progbits,_ZN7rocprim17ROCPRIM_400000_NS6detail17trampoline_kernelINS0_14default_configENS1_38merge_sort_block_merge_config_selectorIlNS0_10empty_typeEEEZZNS1_27merge_sort_block_merge_implIS3_PlPS5_jNS1_19radix_merge_compareILb1ELb0ElNS0_19identity_decomposerEEEEE10hipError_tT0_T1_T2_jT3_P12ihipStream_tbPNSt15iterator_traitsISE_E10value_typeEPNSK_ISF_E10value_typeEPSG_NS1_7vsmem_tEENKUlT_SE_SF_SG_E_clIS8_S8_S9_S9_EESD_ST_SE_SF_SG_EUlST_E1_NS1_11comp_targetILNS1_3genE9ELNS1_11target_archE1100ELNS1_3gpuE3ELNS1_3repE0EEENS1_36merge_oddeven_config_static_selectorELNS0_4arch9wavefront6targetE0EEEvSF_,comdat
.Lfunc_end1036:
	.size	_ZN7rocprim17ROCPRIM_400000_NS6detail17trampoline_kernelINS0_14default_configENS1_38merge_sort_block_merge_config_selectorIlNS0_10empty_typeEEEZZNS1_27merge_sort_block_merge_implIS3_PlPS5_jNS1_19radix_merge_compareILb1ELb0ElNS0_19identity_decomposerEEEEE10hipError_tT0_T1_T2_jT3_P12ihipStream_tbPNSt15iterator_traitsISE_E10value_typeEPNSK_ISF_E10value_typeEPSG_NS1_7vsmem_tEENKUlT_SE_SF_SG_E_clIS8_S8_S9_S9_EESD_ST_SE_SF_SG_EUlST_E1_NS1_11comp_targetILNS1_3genE9ELNS1_11target_archE1100ELNS1_3gpuE3ELNS1_3repE0EEENS1_36merge_oddeven_config_static_selectorELNS0_4arch9wavefront6targetE0EEEvSF_, .Lfunc_end1036-_ZN7rocprim17ROCPRIM_400000_NS6detail17trampoline_kernelINS0_14default_configENS1_38merge_sort_block_merge_config_selectorIlNS0_10empty_typeEEEZZNS1_27merge_sort_block_merge_implIS3_PlPS5_jNS1_19radix_merge_compareILb1ELb0ElNS0_19identity_decomposerEEEEE10hipError_tT0_T1_T2_jT3_P12ihipStream_tbPNSt15iterator_traitsISE_E10value_typeEPNSK_ISF_E10value_typeEPSG_NS1_7vsmem_tEENKUlT_SE_SF_SG_E_clIS8_S8_S9_S9_EESD_ST_SE_SF_SG_EUlST_E1_NS1_11comp_targetILNS1_3genE9ELNS1_11target_archE1100ELNS1_3gpuE3ELNS1_3repE0EEENS1_36merge_oddeven_config_static_selectorELNS0_4arch9wavefront6targetE0EEEvSF_
                                        ; -- End function
	.set _ZN7rocprim17ROCPRIM_400000_NS6detail17trampoline_kernelINS0_14default_configENS1_38merge_sort_block_merge_config_selectorIlNS0_10empty_typeEEEZZNS1_27merge_sort_block_merge_implIS3_PlPS5_jNS1_19radix_merge_compareILb1ELb0ElNS0_19identity_decomposerEEEEE10hipError_tT0_T1_T2_jT3_P12ihipStream_tbPNSt15iterator_traitsISE_E10value_typeEPNSK_ISF_E10value_typeEPSG_NS1_7vsmem_tEENKUlT_SE_SF_SG_E_clIS8_S8_S9_S9_EESD_ST_SE_SF_SG_EUlST_E1_NS1_11comp_targetILNS1_3genE9ELNS1_11target_archE1100ELNS1_3gpuE3ELNS1_3repE0EEENS1_36merge_oddeven_config_static_selectorELNS0_4arch9wavefront6targetE0EEEvSF_.num_vgpr, 0
	.set _ZN7rocprim17ROCPRIM_400000_NS6detail17trampoline_kernelINS0_14default_configENS1_38merge_sort_block_merge_config_selectorIlNS0_10empty_typeEEEZZNS1_27merge_sort_block_merge_implIS3_PlPS5_jNS1_19radix_merge_compareILb1ELb0ElNS0_19identity_decomposerEEEEE10hipError_tT0_T1_T2_jT3_P12ihipStream_tbPNSt15iterator_traitsISE_E10value_typeEPNSK_ISF_E10value_typeEPSG_NS1_7vsmem_tEENKUlT_SE_SF_SG_E_clIS8_S8_S9_S9_EESD_ST_SE_SF_SG_EUlST_E1_NS1_11comp_targetILNS1_3genE9ELNS1_11target_archE1100ELNS1_3gpuE3ELNS1_3repE0EEENS1_36merge_oddeven_config_static_selectorELNS0_4arch9wavefront6targetE0EEEvSF_.num_agpr, 0
	.set _ZN7rocprim17ROCPRIM_400000_NS6detail17trampoline_kernelINS0_14default_configENS1_38merge_sort_block_merge_config_selectorIlNS0_10empty_typeEEEZZNS1_27merge_sort_block_merge_implIS3_PlPS5_jNS1_19radix_merge_compareILb1ELb0ElNS0_19identity_decomposerEEEEE10hipError_tT0_T1_T2_jT3_P12ihipStream_tbPNSt15iterator_traitsISE_E10value_typeEPNSK_ISF_E10value_typeEPSG_NS1_7vsmem_tEENKUlT_SE_SF_SG_E_clIS8_S8_S9_S9_EESD_ST_SE_SF_SG_EUlST_E1_NS1_11comp_targetILNS1_3genE9ELNS1_11target_archE1100ELNS1_3gpuE3ELNS1_3repE0EEENS1_36merge_oddeven_config_static_selectorELNS0_4arch9wavefront6targetE0EEEvSF_.numbered_sgpr, 0
	.set _ZN7rocprim17ROCPRIM_400000_NS6detail17trampoline_kernelINS0_14default_configENS1_38merge_sort_block_merge_config_selectorIlNS0_10empty_typeEEEZZNS1_27merge_sort_block_merge_implIS3_PlPS5_jNS1_19radix_merge_compareILb1ELb0ElNS0_19identity_decomposerEEEEE10hipError_tT0_T1_T2_jT3_P12ihipStream_tbPNSt15iterator_traitsISE_E10value_typeEPNSK_ISF_E10value_typeEPSG_NS1_7vsmem_tEENKUlT_SE_SF_SG_E_clIS8_S8_S9_S9_EESD_ST_SE_SF_SG_EUlST_E1_NS1_11comp_targetILNS1_3genE9ELNS1_11target_archE1100ELNS1_3gpuE3ELNS1_3repE0EEENS1_36merge_oddeven_config_static_selectorELNS0_4arch9wavefront6targetE0EEEvSF_.num_named_barrier, 0
	.set _ZN7rocprim17ROCPRIM_400000_NS6detail17trampoline_kernelINS0_14default_configENS1_38merge_sort_block_merge_config_selectorIlNS0_10empty_typeEEEZZNS1_27merge_sort_block_merge_implIS3_PlPS5_jNS1_19radix_merge_compareILb1ELb0ElNS0_19identity_decomposerEEEEE10hipError_tT0_T1_T2_jT3_P12ihipStream_tbPNSt15iterator_traitsISE_E10value_typeEPNSK_ISF_E10value_typeEPSG_NS1_7vsmem_tEENKUlT_SE_SF_SG_E_clIS8_S8_S9_S9_EESD_ST_SE_SF_SG_EUlST_E1_NS1_11comp_targetILNS1_3genE9ELNS1_11target_archE1100ELNS1_3gpuE3ELNS1_3repE0EEENS1_36merge_oddeven_config_static_selectorELNS0_4arch9wavefront6targetE0EEEvSF_.private_seg_size, 0
	.set _ZN7rocprim17ROCPRIM_400000_NS6detail17trampoline_kernelINS0_14default_configENS1_38merge_sort_block_merge_config_selectorIlNS0_10empty_typeEEEZZNS1_27merge_sort_block_merge_implIS3_PlPS5_jNS1_19radix_merge_compareILb1ELb0ElNS0_19identity_decomposerEEEEE10hipError_tT0_T1_T2_jT3_P12ihipStream_tbPNSt15iterator_traitsISE_E10value_typeEPNSK_ISF_E10value_typeEPSG_NS1_7vsmem_tEENKUlT_SE_SF_SG_E_clIS8_S8_S9_S9_EESD_ST_SE_SF_SG_EUlST_E1_NS1_11comp_targetILNS1_3genE9ELNS1_11target_archE1100ELNS1_3gpuE3ELNS1_3repE0EEENS1_36merge_oddeven_config_static_selectorELNS0_4arch9wavefront6targetE0EEEvSF_.uses_vcc, 0
	.set _ZN7rocprim17ROCPRIM_400000_NS6detail17trampoline_kernelINS0_14default_configENS1_38merge_sort_block_merge_config_selectorIlNS0_10empty_typeEEEZZNS1_27merge_sort_block_merge_implIS3_PlPS5_jNS1_19radix_merge_compareILb1ELb0ElNS0_19identity_decomposerEEEEE10hipError_tT0_T1_T2_jT3_P12ihipStream_tbPNSt15iterator_traitsISE_E10value_typeEPNSK_ISF_E10value_typeEPSG_NS1_7vsmem_tEENKUlT_SE_SF_SG_E_clIS8_S8_S9_S9_EESD_ST_SE_SF_SG_EUlST_E1_NS1_11comp_targetILNS1_3genE9ELNS1_11target_archE1100ELNS1_3gpuE3ELNS1_3repE0EEENS1_36merge_oddeven_config_static_selectorELNS0_4arch9wavefront6targetE0EEEvSF_.uses_flat_scratch, 0
	.set _ZN7rocprim17ROCPRIM_400000_NS6detail17trampoline_kernelINS0_14default_configENS1_38merge_sort_block_merge_config_selectorIlNS0_10empty_typeEEEZZNS1_27merge_sort_block_merge_implIS3_PlPS5_jNS1_19radix_merge_compareILb1ELb0ElNS0_19identity_decomposerEEEEE10hipError_tT0_T1_T2_jT3_P12ihipStream_tbPNSt15iterator_traitsISE_E10value_typeEPNSK_ISF_E10value_typeEPSG_NS1_7vsmem_tEENKUlT_SE_SF_SG_E_clIS8_S8_S9_S9_EESD_ST_SE_SF_SG_EUlST_E1_NS1_11comp_targetILNS1_3genE9ELNS1_11target_archE1100ELNS1_3gpuE3ELNS1_3repE0EEENS1_36merge_oddeven_config_static_selectorELNS0_4arch9wavefront6targetE0EEEvSF_.has_dyn_sized_stack, 0
	.set _ZN7rocprim17ROCPRIM_400000_NS6detail17trampoline_kernelINS0_14default_configENS1_38merge_sort_block_merge_config_selectorIlNS0_10empty_typeEEEZZNS1_27merge_sort_block_merge_implIS3_PlPS5_jNS1_19radix_merge_compareILb1ELb0ElNS0_19identity_decomposerEEEEE10hipError_tT0_T1_T2_jT3_P12ihipStream_tbPNSt15iterator_traitsISE_E10value_typeEPNSK_ISF_E10value_typeEPSG_NS1_7vsmem_tEENKUlT_SE_SF_SG_E_clIS8_S8_S9_S9_EESD_ST_SE_SF_SG_EUlST_E1_NS1_11comp_targetILNS1_3genE9ELNS1_11target_archE1100ELNS1_3gpuE3ELNS1_3repE0EEENS1_36merge_oddeven_config_static_selectorELNS0_4arch9wavefront6targetE0EEEvSF_.has_recursion, 0
	.set _ZN7rocprim17ROCPRIM_400000_NS6detail17trampoline_kernelINS0_14default_configENS1_38merge_sort_block_merge_config_selectorIlNS0_10empty_typeEEEZZNS1_27merge_sort_block_merge_implIS3_PlPS5_jNS1_19radix_merge_compareILb1ELb0ElNS0_19identity_decomposerEEEEE10hipError_tT0_T1_T2_jT3_P12ihipStream_tbPNSt15iterator_traitsISE_E10value_typeEPNSK_ISF_E10value_typeEPSG_NS1_7vsmem_tEENKUlT_SE_SF_SG_E_clIS8_S8_S9_S9_EESD_ST_SE_SF_SG_EUlST_E1_NS1_11comp_targetILNS1_3genE9ELNS1_11target_archE1100ELNS1_3gpuE3ELNS1_3repE0EEENS1_36merge_oddeven_config_static_selectorELNS0_4arch9wavefront6targetE0EEEvSF_.has_indirect_call, 0
	.section	.AMDGPU.csdata,"",@progbits
; Kernel info:
; codeLenInByte = 0
; TotalNumSgprs: 0
; NumVgprs: 0
; ScratchSize: 0
; MemoryBound: 0
; FloatMode: 240
; IeeeMode: 1
; LDSByteSize: 0 bytes/workgroup (compile time only)
; SGPRBlocks: 0
; VGPRBlocks: 0
; NumSGPRsForWavesPerEU: 1
; NumVGPRsForWavesPerEU: 1
; NamedBarCnt: 0
; Occupancy: 16
; WaveLimiterHint : 0
; COMPUTE_PGM_RSRC2:SCRATCH_EN: 0
; COMPUTE_PGM_RSRC2:USER_SGPR: 2
; COMPUTE_PGM_RSRC2:TRAP_HANDLER: 0
; COMPUTE_PGM_RSRC2:TGID_X_EN: 1
; COMPUTE_PGM_RSRC2:TGID_Y_EN: 0
; COMPUTE_PGM_RSRC2:TGID_Z_EN: 0
; COMPUTE_PGM_RSRC2:TIDIG_COMP_CNT: 0
	.section	.text._ZN7rocprim17ROCPRIM_400000_NS6detail17trampoline_kernelINS0_14default_configENS1_38merge_sort_block_merge_config_selectorIlNS0_10empty_typeEEEZZNS1_27merge_sort_block_merge_implIS3_PlPS5_jNS1_19radix_merge_compareILb1ELb0ElNS0_19identity_decomposerEEEEE10hipError_tT0_T1_T2_jT3_P12ihipStream_tbPNSt15iterator_traitsISE_E10value_typeEPNSK_ISF_E10value_typeEPSG_NS1_7vsmem_tEENKUlT_SE_SF_SG_E_clIS8_S8_S9_S9_EESD_ST_SE_SF_SG_EUlST_E1_NS1_11comp_targetILNS1_3genE8ELNS1_11target_archE1030ELNS1_3gpuE2ELNS1_3repE0EEENS1_36merge_oddeven_config_static_selectorELNS0_4arch9wavefront6targetE0EEEvSF_,"axG",@progbits,_ZN7rocprim17ROCPRIM_400000_NS6detail17trampoline_kernelINS0_14default_configENS1_38merge_sort_block_merge_config_selectorIlNS0_10empty_typeEEEZZNS1_27merge_sort_block_merge_implIS3_PlPS5_jNS1_19radix_merge_compareILb1ELb0ElNS0_19identity_decomposerEEEEE10hipError_tT0_T1_T2_jT3_P12ihipStream_tbPNSt15iterator_traitsISE_E10value_typeEPNSK_ISF_E10value_typeEPSG_NS1_7vsmem_tEENKUlT_SE_SF_SG_E_clIS8_S8_S9_S9_EESD_ST_SE_SF_SG_EUlST_E1_NS1_11comp_targetILNS1_3genE8ELNS1_11target_archE1030ELNS1_3gpuE2ELNS1_3repE0EEENS1_36merge_oddeven_config_static_selectorELNS0_4arch9wavefront6targetE0EEEvSF_,comdat
	.protected	_ZN7rocprim17ROCPRIM_400000_NS6detail17trampoline_kernelINS0_14default_configENS1_38merge_sort_block_merge_config_selectorIlNS0_10empty_typeEEEZZNS1_27merge_sort_block_merge_implIS3_PlPS5_jNS1_19radix_merge_compareILb1ELb0ElNS0_19identity_decomposerEEEEE10hipError_tT0_T1_T2_jT3_P12ihipStream_tbPNSt15iterator_traitsISE_E10value_typeEPNSK_ISF_E10value_typeEPSG_NS1_7vsmem_tEENKUlT_SE_SF_SG_E_clIS8_S8_S9_S9_EESD_ST_SE_SF_SG_EUlST_E1_NS1_11comp_targetILNS1_3genE8ELNS1_11target_archE1030ELNS1_3gpuE2ELNS1_3repE0EEENS1_36merge_oddeven_config_static_selectorELNS0_4arch9wavefront6targetE0EEEvSF_ ; -- Begin function _ZN7rocprim17ROCPRIM_400000_NS6detail17trampoline_kernelINS0_14default_configENS1_38merge_sort_block_merge_config_selectorIlNS0_10empty_typeEEEZZNS1_27merge_sort_block_merge_implIS3_PlPS5_jNS1_19radix_merge_compareILb1ELb0ElNS0_19identity_decomposerEEEEE10hipError_tT0_T1_T2_jT3_P12ihipStream_tbPNSt15iterator_traitsISE_E10value_typeEPNSK_ISF_E10value_typeEPSG_NS1_7vsmem_tEENKUlT_SE_SF_SG_E_clIS8_S8_S9_S9_EESD_ST_SE_SF_SG_EUlST_E1_NS1_11comp_targetILNS1_3genE8ELNS1_11target_archE1030ELNS1_3gpuE2ELNS1_3repE0EEENS1_36merge_oddeven_config_static_selectorELNS0_4arch9wavefront6targetE0EEEvSF_
	.globl	_ZN7rocprim17ROCPRIM_400000_NS6detail17trampoline_kernelINS0_14default_configENS1_38merge_sort_block_merge_config_selectorIlNS0_10empty_typeEEEZZNS1_27merge_sort_block_merge_implIS3_PlPS5_jNS1_19radix_merge_compareILb1ELb0ElNS0_19identity_decomposerEEEEE10hipError_tT0_T1_T2_jT3_P12ihipStream_tbPNSt15iterator_traitsISE_E10value_typeEPNSK_ISF_E10value_typeEPSG_NS1_7vsmem_tEENKUlT_SE_SF_SG_E_clIS8_S8_S9_S9_EESD_ST_SE_SF_SG_EUlST_E1_NS1_11comp_targetILNS1_3genE8ELNS1_11target_archE1030ELNS1_3gpuE2ELNS1_3repE0EEENS1_36merge_oddeven_config_static_selectorELNS0_4arch9wavefront6targetE0EEEvSF_
	.p2align	8
	.type	_ZN7rocprim17ROCPRIM_400000_NS6detail17trampoline_kernelINS0_14default_configENS1_38merge_sort_block_merge_config_selectorIlNS0_10empty_typeEEEZZNS1_27merge_sort_block_merge_implIS3_PlPS5_jNS1_19radix_merge_compareILb1ELb0ElNS0_19identity_decomposerEEEEE10hipError_tT0_T1_T2_jT3_P12ihipStream_tbPNSt15iterator_traitsISE_E10value_typeEPNSK_ISF_E10value_typeEPSG_NS1_7vsmem_tEENKUlT_SE_SF_SG_E_clIS8_S8_S9_S9_EESD_ST_SE_SF_SG_EUlST_E1_NS1_11comp_targetILNS1_3genE8ELNS1_11target_archE1030ELNS1_3gpuE2ELNS1_3repE0EEENS1_36merge_oddeven_config_static_selectorELNS0_4arch9wavefront6targetE0EEEvSF_,@function
_ZN7rocprim17ROCPRIM_400000_NS6detail17trampoline_kernelINS0_14default_configENS1_38merge_sort_block_merge_config_selectorIlNS0_10empty_typeEEEZZNS1_27merge_sort_block_merge_implIS3_PlPS5_jNS1_19radix_merge_compareILb1ELb0ElNS0_19identity_decomposerEEEEE10hipError_tT0_T1_T2_jT3_P12ihipStream_tbPNSt15iterator_traitsISE_E10value_typeEPNSK_ISF_E10value_typeEPSG_NS1_7vsmem_tEENKUlT_SE_SF_SG_E_clIS8_S8_S9_S9_EESD_ST_SE_SF_SG_EUlST_E1_NS1_11comp_targetILNS1_3genE8ELNS1_11target_archE1030ELNS1_3gpuE2ELNS1_3repE0EEENS1_36merge_oddeven_config_static_selectorELNS0_4arch9wavefront6targetE0EEEvSF_: ; @_ZN7rocprim17ROCPRIM_400000_NS6detail17trampoline_kernelINS0_14default_configENS1_38merge_sort_block_merge_config_selectorIlNS0_10empty_typeEEEZZNS1_27merge_sort_block_merge_implIS3_PlPS5_jNS1_19radix_merge_compareILb1ELb0ElNS0_19identity_decomposerEEEEE10hipError_tT0_T1_T2_jT3_P12ihipStream_tbPNSt15iterator_traitsISE_E10value_typeEPNSK_ISF_E10value_typeEPSG_NS1_7vsmem_tEENKUlT_SE_SF_SG_E_clIS8_S8_S9_S9_EESD_ST_SE_SF_SG_EUlST_E1_NS1_11comp_targetILNS1_3genE8ELNS1_11target_archE1030ELNS1_3gpuE2ELNS1_3repE0EEENS1_36merge_oddeven_config_static_selectorELNS0_4arch9wavefront6targetE0EEEvSF_
; %bb.0:
	.section	.rodata,"a",@progbits
	.p2align	6, 0x0
	.amdhsa_kernel _ZN7rocprim17ROCPRIM_400000_NS6detail17trampoline_kernelINS0_14default_configENS1_38merge_sort_block_merge_config_selectorIlNS0_10empty_typeEEEZZNS1_27merge_sort_block_merge_implIS3_PlPS5_jNS1_19radix_merge_compareILb1ELb0ElNS0_19identity_decomposerEEEEE10hipError_tT0_T1_T2_jT3_P12ihipStream_tbPNSt15iterator_traitsISE_E10value_typeEPNSK_ISF_E10value_typeEPSG_NS1_7vsmem_tEENKUlT_SE_SF_SG_E_clIS8_S8_S9_S9_EESD_ST_SE_SF_SG_EUlST_E1_NS1_11comp_targetILNS1_3genE8ELNS1_11target_archE1030ELNS1_3gpuE2ELNS1_3repE0EEENS1_36merge_oddeven_config_static_selectorELNS0_4arch9wavefront6targetE0EEEvSF_
		.amdhsa_group_segment_fixed_size 0
		.amdhsa_private_segment_fixed_size 0
		.amdhsa_kernarg_size 48
		.amdhsa_user_sgpr_count 2
		.amdhsa_user_sgpr_dispatch_ptr 0
		.amdhsa_user_sgpr_queue_ptr 0
		.amdhsa_user_sgpr_kernarg_segment_ptr 1
		.amdhsa_user_sgpr_dispatch_id 0
		.amdhsa_user_sgpr_kernarg_preload_length 0
		.amdhsa_user_sgpr_kernarg_preload_offset 0
		.amdhsa_user_sgpr_private_segment_size 0
		.amdhsa_wavefront_size32 1
		.amdhsa_uses_dynamic_stack 0
		.amdhsa_enable_private_segment 0
		.amdhsa_system_sgpr_workgroup_id_x 1
		.amdhsa_system_sgpr_workgroup_id_y 0
		.amdhsa_system_sgpr_workgroup_id_z 0
		.amdhsa_system_sgpr_workgroup_info 0
		.amdhsa_system_vgpr_workitem_id 0
		.amdhsa_next_free_vgpr 1
		.amdhsa_next_free_sgpr 1
		.amdhsa_named_barrier_count 0
		.amdhsa_reserve_vcc 0
		.amdhsa_float_round_mode_32 0
		.amdhsa_float_round_mode_16_64 0
		.amdhsa_float_denorm_mode_32 3
		.amdhsa_float_denorm_mode_16_64 3
		.amdhsa_fp16_overflow 0
		.amdhsa_memory_ordered 1
		.amdhsa_forward_progress 1
		.amdhsa_inst_pref_size 0
		.amdhsa_round_robin_scheduling 0
		.amdhsa_exception_fp_ieee_invalid_op 0
		.amdhsa_exception_fp_denorm_src 0
		.amdhsa_exception_fp_ieee_div_zero 0
		.amdhsa_exception_fp_ieee_overflow 0
		.amdhsa_exception_fp_ieee_underflow 0
		.amdhsa_exception_fp_ieee_inexact 0
		.amdhsa_exception_int_div_zero 0
	.end_amdhsa_kernel
	.section	.text._ZN7rocprim17ROCPRIM_400000_NS6detail17trampoline_kernelINS0_14default_configENS1_38merge_sort_block_merge_config_selectorIlNS0_10empty_typeEEEZZNS1_27merge_sort_block_merge_implIS3_PlPS5_jNS1_19radix_merge_compareILb1ELb0ElNS0_19identity_decomposerEEEEE10hipError_tT0_T1_T2_jT3_P12ihipStream_tbPNSt15iterator_traitsISE_E10value_typeEPNSK_ISF_E10value_typeEPSG_NS1_7vsmem_tEENKUlT_SE_SF_SG_E_clIS8_S8_S9_S9_EESD_ST_SE_SF_SG_EUlST_E1_NS1_11comp_targetILNS1_3genE8ELNS1_11target_archE1030ELNS1_3gpuE2ELNS1_3repE0EEENS1_36merge_oddeven_config_static_selectorELNS0_4arch9wavefront6targetE0EEEvSF_,"axG",@progbits,_ZN7rocprim17ROCPRIM_400000_NS6detail17trampoline_kernelINS0_14default_configENS1_38merge_sort_block_merge_config_selectorIlNS0_10empty_typeEEEZZNS1_27merge_sort_block_merge_implIS3_PlPS5_jNS1_19radix_merge_compareILb1ELb0ElNS0_19identity_decomposerEEEEE10hipError_tT0_T1_T2_jT3_P12ihipStream_tbPNSt15iterator_traitsISE_E10value_typeEPNSK_ISF_E10value_typeEPSG_NS1_7vsmem_tEENKUlT_SE_SF_SG_E_clIS8_S8_S9_S9_EESD_ST_SE_SF_SG_EUlST_E1_NS1_11comp_targetILNS1_3genE8ELNS1_11target_archE1030ELNS1_3gpuE2ELNS1_3repE0EEENS1_36merge_oddeven_config_static_selectorELNS0_4arch9wavefront6targetE0EEEvSF_,comdat
.Lfunc_end1037:
	.size	_ZN7rocprim17ROCPRIM_400000_NS6detail17trampoline_kernelINS0_14default_configENS1_38merge_sort_block_merge_config_selectorIlNS0_10empty_typeEEEZZNS1_27merge_sort_block_merge_implIS3_PlPS5_jNS1_19radix_merge_compareILb1ELb0ElNS0_19identity_decomposerEEEEE10hipError_tT0_T1_T2_jT3_P12ihipStream_tbPNSt15iterator_traitsISE_E10value_typeEPNSK_ISF_E10value_typeEPSG_NS1_7vsmem_tEENKUlT_SE_SF_SG_E_clIS8_S8_S9_S9_EESD_ST_SE_SF_SG_EUlST_E1_NS1_11comp_targetILNS1_3genE8ELNS1_11target_archE1030ELNS1_3gpuE2ELNS1_3repE0EEENS1_36merge_oddeven_config_static_selectorELNS0_4arch9wavefront6targetE0EEEvSF_, .Lfunc_end1037-_ZN7rocprim17ROCPRIM_400000_NS6detail17trampoline_kernelINS0_14default_configENS1_38merge_sort_block_merge_config_selectorIlNS0_10empty_typeEEEZZNS1_27merge_sort_block_merge_implIS3_PlPS5_jNS1_19radix_merge_compareILb1ELb0ElNS0_19identity_decomposerEEEEE10hipError_tT0_T1_T2_jT3_P12ihipStream_tbPNSt15iterator_traitsISE_E10value_typeEPNSK_ISF_E10value_typeEPSG_NS1_7vsmem_tEENKUlT_SE_SF_SG_E_clIS8_S8_S9_S9_EESD_ST_SE_SF_SG_EUlST_E1_NS1_11comp_targetILNS1_3genE8ELNS1_11target_archE1030ELNS1_3gpuE2ELNS1_3repE0EEENS1_36merge_oddeven_config_static_selectorELNS0_4arch9wavefront6targetE0EEEvSF_
                                        ; -- End function
	.set _ZN7rocprim17ROCPRIM_400000_NS6detail17trampoline_kernelINS0_14default_configENS1_38merge_sort_block_merge_config_selectorIlNS0_10empty_typeEEEZZNS1_27merge_sort_block_merge_implIS3_PlPS5_jNS1_19radix_merge_compareILb1ELb0ElNS0_19identity_decomposerEEEEE10hipError_tT0_T1_T2_jT3_P12ihipStream_tbPNSt15iterator_traitsISE_E10value_typeEPNSK_ISF_E10value_typeEPSG_NS1_7vsmem_tEENKUlT_SE_SF_SG_E_clIS8_S8_S9_S9_EESD_ST_SE_SF_SG_EUlST_E1_NS1_11comp_targetILNS1_3genE8ELNS1_11target_archE1030ELNS1_3gpuE2ELNS1_3repE0EEENS1_36merge_oddeven_config_static_selectorELNS0_4arch9wavefront6targetE0EEEvSF_.num_vgpr, 0
	.set _ZN7rocprim17ROCPRIM_400000_NS6detail17trampoline_kernelINS0_14default_configENS1_38merge_sort_block_merge_config_selectorIlNS0_10empty_typeEEEZZNS1_27merge_sort_block_merge_implIS3_PlPS5_jNS1_19radix_merge_compareILb1ELb0ElNS0_19identity_decomposerEEEEE10hipError_tT0_T1_T2_jT3_P12ihipStream_tbPNSt15iterator_traitsISE_E10value_typeEPNSK_ISF_E10value_typeEPSG_NS1_7vsmem_tEENKUlT_SE_SF_SG_E_clIS8_S8_S9_S9_EESD_ST_SE_SF_SG_EUlST_E1_NS1_11comp_targetILNS1_3genE8ELNS1_11target_archE1030ELNS1_3gpuE2ELNS1_3repE0EEENS1_36merge_oddeven_config_static_selectorELNS0_4arch9wavefront6targetE0EEEvSF_.num_agpr, 0
	.set _ZN7rocprim17ROCPRIM_400000_NS6detail17trampoline_kernelINS0_14default_configENS1_38merge_sort_block_merge_config_selectorIlNS0_10empty_typeEEEZZNS1_27merge_sort_block_merge_implIS3_PlPS5_jNS1_19radix_merge_compareILb1ELb0ElNS0_19identity_decomposerEEEEE10hipError_tT0_T1_T2_jT3_P12ihipStream_tbPNSt15iterator_traitsISE_E10value_typeEPNSK_ISF_E10value_typeEPSG_NS1_7vsmem_tEENKUlT_SE_SF_SG_E_clIS8_S8_S9_S9_EESD_ST_SE_SF_SG_EUlST_E1_NS1_11comp_targetILNS1_3genE8ELNS1_11target_archE1030ELNS1_3gpuE2ELNS1_3repE0EEENS1_36merge_oddeven_config_static_selectorELNS0_4arch9wavefront6targetE0EEEvSF_.numbered_sgpr, 0
	.set _ZN7rocprim17ROCPRIM_400000_NS6detail17trampoline_kernelINS0_14default_configENS1_38merge_sort_block_merge_config_selectorIlNS0_10empty_typeEEEZZNS1_27merge_sort_block_merge_implIS3_PlPS5_jNS1_19radix_merge_compareILb1ELb0ElNS0_19identity_decomposerEEEEE10hipError_tT0_T1_T2_jT3_P12ihipStream_tbPNSt15iterator_traitsISE_E10value_typeEPNSK_ISF_E10value_typeEPSG_NS1_7vsmem_tEENKUlT_SE_SF_SG_E_clIS8_S8_S9_S9_EESD_ST_SE_SF_SG_EUlST_E1_NS1_11comp_targetILNS1_3genE8ELNS1_11target_archE1030ELNS1_3gpuE2ELNS1_3repE0EEENS1_36merge_oddeven_config_static_selectorELNS0_4arch9wavefront6targetE0EEEvSF_.num_named_barrier, 0
	.set _ZN7rocprim17ROCPRIM_400000_NS6detail17trampoline_kernelINS0_14default_configENS1_38merge_sort_block_merge_config_selectorIlNS0_10empty_typeEEEZZNS1_27merge_sort_block_merge_implIS3_PlPS5_jNS1_19radix_merge_compareILb1ELb0ElNS0_19identity_decomposerEEEEE10hipError_tT0_T1_T2_jT3_P12ihipStream_tbPNSt15iterator_traitsISE_E10value_typeEPNSK_ISF_E10value_typeEPSG_NS1_7vsmem_tEENKUlT_SE_SF_SG_E_clIS8_S8_S9_S9_EESD_ST_SE_SF_SG_EUlST_E1_NS1_11comp_targetILNS1_3genE8ELNS1_11target_archE1030ELNS1_3gpuE2ELNS1_3repE0EEENS1_36merge_oddeven_config_static_selectorELNS0_4arch9wavefront6targetE0EEEvSF_.private_seg_size, 0
	.set _ZN7rocprim17ROCPRIM_400000_NS6detail17trampoline_kernelINS0_14default_configENS1_38merge_sort_block_merge_config_selectorIlNS0_10empty_typeEEEZZNS1_27merge_sort_block_merge_implIS3_PlPS5_jNS1_19radix_merge_compareILb1ELb0ElNS0_19identity_decomposerEEEEE10hipError_tT0_T1_T2_jT3_P12ihipStream_tbPNSt15iterator_traitsISE_E10value_typeEPNSK_ISF_E10value_typeEPSG_NS1_7vsmem_tEENKUlT_SE_SF_SG_E_clIS8_S8_S9_S9_EESD_ST_SE_SF_SG_EUlST_E1_NS1_11comp_targetILNS1_3genE8ELNS1_11target_archE1030ELNS1_3gpuE2ELNS1_3repE0EEENS1_36merge_oddeven_config_static_selectorELNS0_4arch9wavefront6targetE0EEEvSF_.uses_vcc, 0
	.set _ZN7rocprim17ROCPRIM_400000_NS6detail17trampoline_kernelINS0_14default_configENS1_38merge_sort_block_merge_config_selectorIlNS0_10empty_typeEEEZZNS1_27merge_sort_block_merge_implIS3_PlPS5_jNS1_19radix_merge_compareILb1ELb0ElNS0_19identity_decomposerEEEEE10hipError_tT0_T1_T2_jT3_P12ihipStream_tbPNSt15iterator_traitsISE_E10value_typeEPNSK_ISF_E10value_typeEPSG_NS1_7vsmem_tEENKUlT_SE_SF_SG_E_clIS8_S8_S9_S9_EESD_ST_SE_SF_SG_EUlST_E1_NS1_11comp_targetILNS1_3genE8ELNS1_11target_archE1030ELNS1_3gpuE2ELNS1_3repE0EEENS1_36merge_oddeven_config_static_selectorELNS0_4arch9wavefront6targetE0EEEvSF_.uses_flat_scratch, 0
	.set _ZN7rocprim17ROCPRIM_400000_NS6detail17trampoline_kernelINS0_14default_configENS1_38merge_sort_block_merge_config_selectorIlNS0_10empty_typeEEEZZNS1_27merge_sort_block_merge_implIS3_PlPS5_jNS1_19radix_merge_compareILb1ELb0ElNS0_19identity_decomposerEEEEE10hipError_tT0_T1_T2_jT3_P12ihipStream_tbPNSt15iterator_traitsISE_E10value_typeEPNSK_ISF_E10value_typeEPSG_NS1_7vsmem_tEENKUlT_SE_SF_SG_E_clIS8_S8_S9_S9_EESD_ST_SE_SF_SG_EUlST_E1_NS1_11comp_targetILNS1_3genE8ELNS1_11target_archE1030ELNS1_3gpuE2ELNS1_3repE0EEENS1_36merge_oddeven_config_static_selectorELNS0_4arch9wavefront6targetE0EEEvSF_.has_dyn_sized_stack, 0
	.set _ZN7rocprim17ROCPRIM_400000_NS6detail17trampoline_kernelINS0_14default_configENS1_38merge_sort_block_merge_config_selectorIlNS0_10empty_typeEEEZZNS1_27merge_sort_block_merge_implIS3_PlPS5_jNS1_19radix_merge_compareILb1ELb0ElNS0_19identity_decomposerEEEEE10hipError_tT0_T1_T2_jT3_P12ihipStream_tbPNSt15iterator_traitsISE_E10value_typeEPNSK_ISF_E10value_typeEPSG_NS1_7vsmem_tEENKUlT_SE_SF_SG_E_clIS8_S8_S9_S9_EESD_ST_SE_SF_SG_EUlST_E1_NS1_11comp_targetILNS1_3genE8ELNS1_11target_archE1030ELNS1_3gpuE2ELNS1_3repE0EEENS1_36merge_oddeven_config_static_selectorELNS0_4arch9wavefront6targetE0EEEvSF_.has_recursion, 0
	.set _ZN7rocprim17ROCPRIM_400000_NS6detail17trampoline_kernelINS0_14default_configENS1_38merge_sort_block_merge_config_selectorIlNS0_10empty_typeEEEZZNS1_27merge_sort_block_merge_implIS3_PlPS5_jNS1_19radix_merge_compareILb1ELb0ElNS0_19identity_decomposerEEEEE10hipError_tT0_T1_T2_jT3_P12ihipStream_tbPNSt15iterator_traitsISE_E10value_typeEPNSK_ISF_E10value_typeEPSG_NS1_7vsmem_tEENKUlT_SE_SF_SG_E_clIS8_S8_S9_S9_EESD_ST_SE_SF_SG_EUlST_E1_NS1_11comp_targetILNS1_3genE8ELNS1_11target_archE1030ELNS1_3gpuE2ELNS1_3repE0EEENS1_36merge_oddeven_config_static_selectorELNS0_4arch9wavefront6targetE0EEEvSF_.has_indirect_call, 0
	.section	.AMDGPU.csdata,"",@progbits
; Kernel info:
; codeLenInByte = 0
; TotalNumSgprs: 0
; NumVgprs: 0
; ScratchSize: 0
; MemoryBound: 0
; FloatMode: 240
; IeeeMode: 1
; LDSByteSize: 0 bytes/workgroup (compile time only)
; SGPRBlocks: 0
; VGPRBlocks: 0
; NumSGPRsForWavesPerEU: 1
; NumVGPRsForWavesPerEU: 1
; NamedBarCnt: 0
; Occupancy: 16
; WaveLimiterHint : 0
; COMPUTE_PGM_RSRC2:SCRATCH_EN: 0
; COMPUTE_PGM_RSRC2:USER_SGPR: 2
; COMPUTE_PGM_RSRC2:TRAP_HANDLER: 0
; COMPUTE_PGM_RSRC2:TGID_X_EN: 1
; COMPUTE_PGM_RSRC2:TGID_Y_EN: 0
; COMPUTE_PGM_RSRC2:TGID_Z_EN: 0
; COMPUTE_PGM_RSRC2:TIDIG_COMP_CNT: 0
	.section	.text._ZN7rocprim17ROCPRIM_400000_NS6detail17trampoline_kernelINS0_14default_configENS1_25transform_config_selectorIlLb1EEEZNS1_14transform_implILb1ES3_S5_PlS7_NS0_8identityIlEEEE10hipError_tT2_T3_mT4_P12ihipStream_tbEUlT_E_NS1_11comp_targetILNS1_3genE0ELNS1_11target_archE4294967295ELNS1_3gpuE0ELNS1_3repE0EEENS1_30default_config_static_selectorELNS0_4arch9wavefront6targetE0EEEvT1_,"axG",@progbits,_ZN7rocprim17ROCPRIM_400000_NS6detail17trampoline_kernelINS0_14default_configENS1_25transform_config_selectorIlLb1EEEZNS1_14transform_implILb1ES3_S5_PlS7_NS0_8identityIlEEEE10hipError_tT2_T3_mT4_P12ihipStream_tbEUlT_E_NS1_11comp_targetILNS1_3genE0ELNS1_11target_archE4294967295ELNS1_3gpuE0ELNS1_3repE0EEENS1_30default_config_static_selectorELNS0_4arch9wavefront6targetE0EEEvT1_,comdat
	.protected	_ZN7rocprim17ROCPRIM_400000_NS6detail17trampoline_kernelINS0_14default_configENS1_25transform_config_selectorIlLb1EEEZNS1_14transform_implILb1ES3_S5_PlS7_NS0_8identityIlEEEE10hipError_tT2_T3_mT4_P12ihipStream_tbEUlT_E_NS1_11comp_targetILNS1_3genE0ELNS1_11target_archE4294967295ELNS1_3gpuE0ELNS1_3repE0EEENS1_30default_config_static_selectorELNS0_4arch9wavefront6targetE0EEEvT1_ ; -- Begin function _ZN7rocprim17ROCPRIM_400000_NS6detail17trampoline_kernelINS0_14default_configENS1_25transform_config_selectorIlLb1EEEZNS1_14transform_implILb1ES3_S5_PlS7_NS0_8identityIlEEEE10hipError_tT2_T3_mT4_P12ihipStream_tbEUlT_E_NS1_11comp_targetILNS1_3genE0ELNS1_11target_archE4294967295ELNS1_3gpuE0ELNS1_3repE0EEENS1_30default_config_static_selectorELNS0_4arch9wavefront6targetE0EEEvT1_
	.globl	_ZN7rocprim17ROCPRIM_400000_NS6detail17trampoline_kernelINS0_14default_configENS1_25transform_config_selectorIlLb1EEEZNS1_14transform_implILb1ES3_S5_PlS7_NS0_8identityIlEEEE10hipError_tT2_T3_mT4_P12ihipStream_tbEUlT_E_NS1_11comp_targetILNS1_3genE0ELNS1_11target_archE4294967295ELNS1_3gpuE0ELNS1_3repE0EEENS1_30default_config_static_selectorELNS0_4arch9wavefront6targetE0EEEvT1_
	.p2align	8
	.type	_ZN7rocprim17ROCPRIM_400000_NS6detail17trampoline_kernelINS0_14default_configENS1_25transform_config_selectorIlLb1EEEZNS1_14transform_implILb1ES3_S5_PlS7_NS0_8identityIlEEEE10hipError_tT2_T3_mT4_P12ihipStream_tbEUlT_E_NS1_11comp_targetILNS1_3genE0ELNS1_11target_archE4294967295ELNS1_3gpuE0ELNS1_3repE0EEENS1_30default_config_static_selectorELNS0_4arch9wavefront6targetE0EEEvT1_,@function
_ZN7rocprim17ROCPRIM_400000_NS6detail17trampoline_kernelINS0_14default_configENS1_25transform_config_selectorIlLb1EEEZNS1_14transform_implILb1ES3_S5_PlS7_NS0_8identityIlEEEE10hipError_tT2_T3_mT4_P12ihipStream_tbEUlT_E_NS1_11comp_targetILNS1_3genE0ELNS1_11target_archE4294967295ELNS1_3gpuE0ELNS1_3repE0EEENS1_30default_config_static_selectorELNS0_4arch9wavefront6targetE0EEEvT1_: ; @_ZN7rocprim17ROCPRIM_400000_NS6detail17trampoline_kernelINS0_14default_configENS1_25transform_config_selectorIlLb1EEEZNS1_14transform_implILb1ES3_S5_PlS7_NS0_8identityIlEEEE10hipError_tT2_T3_mT4_P12ihipStream_tbEUlT_E_NS1_11comp_targetILNS1_3genE0ELNS1_11target_archE4294967295ELNS1_3gpuE0ELNS1_3repE0EEENS1_30default_config_static_selectorELNS0_4arch9wavefront6targetE0EEEvT1_
; %bb.0:
	s_clause 0x1
	s_load_b32 s2, s[0:1], 0x28
	s_load_b32 s3, s[0:1], 0x10
	s_bfe_u32 s4, ttmp6, 0x4000c
	s_and_b32 s5, ttmp6, 15
	s_add_co_i32 s4, s4, 1
	s_getreg_b32 s6, hwreg(HW_REG_IB_STS2, 6, 4)
	s_mul_i32 s4, ttmp9, s4
	s_delay_alu instid0(SALU_CYCLE_1)
	s_add_co_i32 s5, s5, s4
	s_cmp_eq_u32 s6, 0
	s_cselect_b32 s4, ttmp9, s5
	s_wait_kmcnt 0x0
	s_add_co_i32 s5, s2, -1
	s_lshl_b32 s2, s4, 7
	s_cmp_lg_u32 s4, s5
	s_cselect_b32 s4, -1, 0
	s_sub_co_i32 s3, s3, s2
	s_delay_alu instid0(SALU_CYCLE_1) | instskip(SKIP_2) | instid1(SALU_CYCLE_1)
	v_cmp_gt_u32_e32 vcc_lo, s3, v0
	s_mov_b32 s3, 0
	s_or_b32 s4, vcc_lo, s4
	s_and_saveexec_b32 s5, s4
	s_cbranch_execz .LBB1038_2
; %bb.1:
	s_clause 0x1
	s_load_b128 s[4:7], s[0:1], 0x0
	s_load_b64 s[8:9], s[0:1], 0x18
	s_lshl_b64 s[2:3], s[2:3], 3
	s_wait_kmcnt 0x0
	s_lshl_b64 s[0:1], s[6:7], 3
	s_delay_alu instid0(SALU_CYCLE_1)
	s_add_nc_u64 s[4:5], s[4:5], s[0:1]
	s_add_nc_u64 s[0:1], s[8:9], s[0:1]
	;; [unrolled: 1-line block ×4, first 2 shown]
	global_load_b64 v[2:3], v0, s[4:5] scale_offset
	s_wait_loadcnt 0x0
	global_store_b64 v0, v[2:3], s[0:1] scale_offset
.LBB1038_2:
	s_endpgm
	.section	.rodata,"a",@progbits
	.p2align	6, 0x0
	.amdhsa_kernel _ZN7rocprim17ROCPRIM_400000_NS6detail17trampoline_kernelINS0_14default_configENS1_25transform_config_selectorIlLb1EEEZNS1_14transform_implILb1ES3_S5_PlS7_NS0_8identityIlEEEE10hipError_tT2_T3_mT4_P12ihipStream_tbEUlT_E_NS1_11comp_targetILNS1_3genE0ELNS1_11target_archE4294967295ELNS1_3gpuE0ELNS1_3repE0EEENS1_30default_config_static_selectorELNS0_4arch9wavefront6targetE0EEEvT1_
		.amdhsa_group_segment_fixed_size 0
		.amdhsa_private_segment_fixed_size 0
		.amdhsa_kernarg_size 296
		.amdhsa_user_sgpr_count 2
		.amdhsa_user_sgpr_dispatch_ptr 0
		.amdhsa_user_sgpr_queue_ptr 0
		.amdhsa_user_sgpr_kernarg_segment_ptr 1
		.amdhsa_user_sgpr_dispatch_id 0
		.amdhsa_user_sgpr_kernarg_preload_length 0
		.amdhsa_user_sgpr_kernarg_preload_offset 0
		.amdhsa_user_sgpr_private_segment_size 0
		.amdhsa_wavefront_size32 1
		.amdhsa_uses_dynamic_stack 0
		.amdhsa_enable_private_segment 0
		.amdhsa_system_sgpr_workgroup_id_x 1
		.amdhsa_system_sgpr_workgroup_id_y 0
		.amdhsa_system_sgpr_workgroup_id_z 0
		.amdhsa_system_sgpr_workgroup_info 0
		.amdhsa_system_vgpr_workitem_id 0
		.amdhsa_next_free_vgpr 4
		.amdhsa_next_free_sgpr 10
		.amdhsa_named_barrier_count 0
		.amdhsa_reserve_vcc 1
		.amdhsa_float_round_mode_32 0
		.amdhsa_float_round_mode_16_64 0
		.amdhsa_float_denorm_mode_32 3
		.amdhsa_float_denorm_mode_16_64 3
		.amdhsa_fp16_overflow 0
		.amdhsa_memory_ordered 1
		.amdhsa_forward_progress 1
		.amdhsa_inst_pref_size 2
		.amdhsa_round_robin_scheduling 0
		.amdhsa_exception_fp_ieee_invalid_op 0
		.amdhsa_exception_fp_denorm_src 0
		.amdhsa_exception_fp_ieee_div_zero 0
		.amdhsa_exception_fp_ieee_overflow 0
		.amdhsa_exception_fp_ieee_underflow 0
		.amdhsa_exception_fp_ieee_inexact 0
		.amdhsa_exception_int_div_zero 0
	.end_amdhsa_kernel
	.section	.text._ZN7rocprim17ROCPRIM_400000_NS6detail17trampoline_kernelINS0_14default_configENS1_25transform_config_selectorIlLb1EEEZNS1_14transform_implILb1ES3_S5_PlS7_NS0_8identityIlEEEE10hipError_tT2_T3_mT4_P12ihipStream_tbEUlT_E_NS1_11comp_targetILNS1_3genE0ELNS1_11target_archE4294967295ELNS1_3gpuE0ELNS1_3repE0EEENS1_30default_config_static_selectorELNS0_4arch9wavefront6targetE0EEEvT1_,"axG",@progbits,_ZN7rocprim17ROCPRIM_400000_NS6detail17trampoline_kernelINS0_14default_configENS1_25transform_config_selectorIlLb1EEEZNS1_14transform_implILb1ES3_S5_PlS7_NS0_8identityIlEEEE10hipError_tT2_T3_mT4_P12ihipStream_tbEUlT_E_NS1_11comp_targetILNS1_3genE0ELNS1_11target_archE4294967295ELNS1_3gpuE0ELNS1_3repE0EEENS1_30default_config_static_selectorELNS0_4arch9wavefront6targetE0EEEvT1_,comdat
.Lfunc_end1038:
	.size	_ZN7rocprim17ROCPRIM_400000_NS6detail17trampoline_kernelINS0_14default_configENS1_25transform_config_selectorIlLb1EEEZNS1_14transform_implILb1ES3_S5_PlS7_NS0_8identityIlEEEE10hipError_tT2_T3_mT4_P12ihipStream_tbEUlT_E_NS1_11comp_targetILNS1_3genE0ELNS1_11target_archE4294967295ELNS1_3gpuE0ELNS1_3repE0EEENS1_30default_config_static_selectorELNS0_4arch9wavefront6targetE0EEEvT1_, .Lfunc_end1038-_ZN7rocprim17ROCPRIM_400000_NS6detail17trampoline_kernelINS0_14default_configENS1_25transform_config_selectorIlLb1EEEZNS1_14transform_implILb1ES3_S5_PlS7_NS0_8identityIlEEEE10hipError_tT2_T3_mT4_P12ihipStream_tbEUlT_E_NS1_11comp_targetILNS1_3genE0ELNS1_11target_archE4294967295ELNS1_3gpuE0ELNS1_3repE0EEENS1_30default_config_static_selectorELNS0_4arch9wavefront6targetE0EEEvT1_
                                        ; -- End function
	.set _ZN7rocprim17ROCPRIM_400000_NS6detail17trampoline_kernelINS0_14default_configENS1_25transform_config_selectorIlLb1EEEZNS1_14transform_implILb1ES3_S5_PlS7_NS0_8identityIlEEEE10hipError_tT2_T3_mT4_P12ihipStream_tbEUlT_E_NS1_11comp_targetILNS1_3genE0ELNS1_11target_archE4294967295ELNS1_3gpuE0ELNS1_3repE0EEENS1_30default_config_static_selectorELNS0_4arch9wavefront6targetE0EEEvT1_.num_vgpr, 4
	.set _ZN7rocprim17ROCPRIM_400000_NS6detail17trampoline_kernelINS0_14default_configENS1_25transform_config_selectorIlLb1EEEZNS1_14transform_implILb1ES3_S5_PlS7_NS0_8identityIlEEEE10hipError_tT2_T3_mT4_P12ihipStream_tbEUlT_E_NS1_11comp_targetILNS1_3genE0ELNS1_11target_archE4294967295ELNS1_3gpuE0ELNS1_3repE0EEENS1_30default_config_static_selectorELNS0_4arch9wavefront6targetE0EEEvT1_.num_agpr, 0
	.set _ZN7rocprim17ROCPRIM_400000_NS6detail17trampoline_kernelINS0_14default_configENS1_25transform_config_selectorIlLb1EEEZNS1_14transform_implILb1ES3_S5_PlS7_NS0_8identityIlEEEE10hipError_tT2_T3_mT4_P12ihipStream_tbEUlT_E_NS1_11comp_targetILNS1_3genE0ELNS1_11target_archE4294967295ELNS1_3gpuE0ELNS1_3repE0EEENS1_30default_config_static_selectorELNS0_4arch9wavefront6targetE0EEEvT1_.numbered_sgpr, 10
	.set _ZN7rocprim17ROCPRIM_400000_NS6detail17trampoline_kernelINS0_14default_configENS1_25transform_config_selectorIlLb1EEEZNS1_14transform_implILb1ES3_S5_PlS7_NS0_8identityIlEEEE10hipError_tT2_T3_mT4_P12ihipStream_tbEUlT_E_NS1_11comp_targetILNS1_3genE0ELNS1_11target_archE4294967295ELNS1_3gpuE0ELNS1_3repE0EEENS1_30default_config_static_selectorELNS0_4arch9wavefront6targetE0EEEvT1_.num_named_barrier, 0
	.set _ZN7rocprim17ROCPRIM_400000_NS6detail17trampoline_kernelINS0_14default_configENS1_25transform_config_selectorIlLb1EEEZNS1_14transform_implILb1ES3_S5_PlS7_NS0_8identityIlEEEE10hipError_tT2_T3_mT4_P12ihipStream_tbEUlT_E_NS1_11comp_targetILNS1_3genE0ELNS1_11target_archE4294967295ELNS1_3gpuE0ELNS1_3repE0EEENS1_30default_config_static_selectorELNS0_4arch9wavefront6targetE0EEEvT1_.private_seg_size, 0
	.set _ZN7rocprim17ROCPRIM_400000_NS6detail17trampoline_kernelINS0_14default_configENS1_25transform_config_selectorIlLb1EEEZNS1_14transform_implILb1ES3_S5_PlS7_NS0_8identityIlEEEE10hipError_tT2_T3_mT4_P12ihipStream_tbEUlT_E_NS1_11comp_targetILNS1_3genE0ELNS1_11target_archE4294967295ELNS1_3gpuE0ELNS1_3repE0EEENS1_30default_config_static_selectorELNS0_4arch9wavefront6targetE0EEEvT1_.uses_vcc, 1
	.set _ZN7rocprim17ROCPRIM_400000_NS6detail17trampoline_kernelINS0_14default_configENS1_25transform_config_selectorIlLb1EEEZNS1_14transform_implILb1ES3_S5_PlS7_NS0_8identityIlEEEE10hipError_tT2_T3_mT4_P12ihipStream_tbEUlT_E_NS1_11comp_targetILNS1_3genE0ELNS1_11target_archE4294967295ELNS1_3gpuE0ELNS1_3repE0EEENS1_30default_config_static_selectorELNS0_4arch9wavefront6targetE0EEEvT1_.uses_flat_scratch, 0
	.set _ZN7rocprim17ROCPRIM_400000_NS6detail17trampoline_kernelINS0_14default_configENS1_25transform_config_selectorIlLb1EEEZNS1_14transform_implILb1ES3_S5_PlS7_NS0_8identityIlEEEE10hipError_tT2_T3_mT4_P12ihipStream_tbEUlT_E_NS1_11comp_targetILNS1_3genE0ELNS1_11target_archE4294967295ELNS1_3gpuE0ELNS1_3repE0EEENS1_30default_config_static_selectorELNS0_4arch9wavefront6targetE0EEEvT1_.has_dyn_sized_stack, 0
	.set _ZN7rocprim17ROCPRIM_400000_NS6detail17trampoline_kernelINS0_14default_configENS1_25transform_config_selectorIlLb1EEEZNS1_14transform_implILb1ES3_S5_PlS7_NS0_8identityIlEEEE10hipError_tT2_T3_mT4_P12ihipStream_tbEUlT_E_NS1_11comp_targetILNS1_3genE0ELNS1_11target_archE4294967295ELNS1_3gpuE0ELNS1_3repE0EEENS1_30default_config_static_selectorELNS0_4arch9wavefront6targetE0EEEvT1_.has_recursion, 0
	.set _ZN7rocprim17ROCPRIM_400000_NS6detail17trampoline_kernelINS0_14default_configENS1_25transform_config_selectorIlLb1EEEZNS1_14transform_implILb1ES3_S5_PlS7_NS0_8identityIlEEEE10hipError_tT2_T3_mT4_P12ihipStream_tbEUlT_E_NS1_11comp_targetILNS1_3genE0ELNS1_11target_archE4294967295ELNS1_3gpuE0ELNS1_3repE0EEENS1_30default_config_static_selectorELNS0_4arch9wavefront6targetE0EEEvT1_.has_indirect_call, 0
	.section	.AMDGPU.csdata,"",@progbits
; Kernel info:
; codeLenInByte = 192
; TotalNumSgprs: 12
; NumVgprs: 4
; ScratchSize: 0
; MemoryBound: 0
; FloatMode: 240
; IeeeMode: 1
; LDSByteSize: 0 bytes/workgroup (compile time only)
; SGPRBlocks: 0
; VGPRBlocks: 0
; NumSGPRsForWavesPerEU: 12
; NumVGPRsForWavesPerEU: 4
; NamedBarCnt: 0
; Occupancy: 16
; WaveLimiterHint : 0
; COMPUTE_PGM_RSRC2:SCRATCH_EN: 0
; COMPUTE_PGM_RSRC2:USER_SGPR: 2
; COMPUTE_PGM_RSRC2:TRAP_HANDLER: 0
; COMPUTE_PGM_RSRC2:TGID_X_EN: 1
; COMPUTE_PGM_RSRC2:TGID_Y_EN: 0
; COMPUTE_PGM_RSRC2:TGID_Z_EN: 0
; COMPUTE_PGM_RSRC2:TIDIG_COMP_CNT: 0
	.section	.text._ZN7rocprim17ROCPRIM_400000_NS6detail17trampoline_kernelINS0_14default_configENS1_25transform_config_selectorIlLb1EEEZNS1_14transform_implILb1ES3_S5_PlS7_NS0_8identityIlEEEE10hipError_tT2_T3_mT4_P12ihipStream_tbEUlT_E_NS1_11comp_targetILNS1_3genE10ELNS1_11target_archE1201ELNS1_3gpuE5ELNS1_3repE0EEENS1_30default_config_static_selectorELNS0_4arch9wavefront6targetE0EEEvT1_,"axG",@progbits,_ZN7rocprim17ROCPRIM_400000_NS6detail17trampoline_kernelINS0_14default_configENS1_25transform_config_selectorIlLb1EEEZNS1_14transform_implILb1ES3_S5_PlS7_NS0_8identityIlEEEE10hipError_tT2_T3_mT4_P12ihipStream_tbEUlT_E_NS1_11comp_targetILNS1_3genE10ELNS1_11target_archE1201ELNS1_3gpuE5ELNS1_3repE0EEENS1_30default_config_static_selectorELNS0_4arch9wavefront6targetE0EEEvT1_,comdat
	.protected	_ZN7rocprim17ROCPRIM_400000_NS6detail17trampoline_kernelINS0_14default_configENS1_25transform_config_selectorIlLb1EEEZNS1_14transform_implILb1ES3_S5_PlS7_NS0_8identityIlEEEE10hipError_tT2_T3_mT4_P12ihipStream_tbEUlT_E_NS1_11comp_targetILNS1_3genE10ELNS1_11target_archE1201ELNS1_3gpuE5ELNS1_3repE0EEENS1_30default_config_static_selectorELNS0_4arch9wavefront6targetE0EEEvT1_ ; -- Begin function _ZN7rocprim17ROCPRIM_400000_NS6detail17trampoline_kernelINS0_14default_configENS1_25transform_config_selectorIlLb1EEEZNS1_14transform_implILb1ES3_S5_PlS7_NS0_8identityIlEEEE10hipError_tT2_T3_mT4_P12ihipStream_tbEUlT_E_NS1_11comp_targetILNS1_3genE10ELNS1_11target_archE1201ELNS1_3gpuE5ELNS1_3repE0EEENS1_30default_config_static_selectorELNS0_4arch9wavefront6targetE0EEEvT1_
	.globl	_ZN7rocprim17ROCPRIM_400000_NS6detail17trampoline_kernelINS0_14default_configENS1_25transform_config_selectorIlLb1EEEZNS1_14transform_implILb1ES3_S5_PlS7_NS0_8identityIlEEEE10hipError_tT2_T3_mT4_P12ihipStream_tbEUlT_E_NS1_11comp_targetILNS1_3genE10ELNS1_11target_archE1201ELNS1_3gpuE5ELNS1_3repE0EEENS1_30default_config_static_selectorELNS0_4arch9wavefront6targetE0EEEvT1_
	.p2align	8
	.type	_ZN7rocprim17ROCPRIM_400000_NS6detail17trampoline_kernelINS0_14default_configENS1_25transform_config_selectorIlLb1EEEZNS1_14transform_implILb1ES3_S5_PlS7_NS0_8identityIlEEEE10hipError_tT2_T3_mT4_P12ihipStream_tbEUlT_E_NS1_11comp_targetILNS1_3genE10ELNS1_11target_archE1201ELNS1_3gpuE5ELNS1_3repE0EEENS1_30default_config_static_selectorELNS0_4arch9wavefront6targetE0EEEvT1_,@function
_ZN7rocprim17ROCPRIM_400000_NS6detail17trampoline_kernelINS0_14default_configENS1_25transform_config_selectorIlLb1EEEZNS1_14transform_implILb1ES3_S5_PlS7_NS0_8identityIlEEEE10hipError_tT2_T3_mT4_P12ihipStream_tbEUlT_E_NS1_11comp_targetILNS1_3genE10ELNS1_11target_archE1201ELNS1_3gpuE5ELNS1_3repE0EEENS1_30default_config_static_selectorELNS0_4arch9wavefront6targetE0EEEvT1_: ; @_ZN7rocprim17ROCPRIM_400000_NS6detail17trampoline_kernelINS0_14default_configENS1_25transform_config_selectorIlLb1EEEZNS1_14transform_implILb1ES3_S5_PlS7_NS0_8identityIlEEEE10hipError_tT2_T3_mT4_P12ihipStream_tbEUlT_E_NS1_11comp_targetILNS1_3genE10ELNS1_11target_archE1201ELNS1_3gpuE5ELNS1_3repE0EEENS1_30default_config_static_selectorELNS0_4arch9wavefront6targetE0EEEvT1_
; %bb.0:
	.section	.rodata,"a",@progbits
	.p2align	6, 0x0
	.amdhsa_kernel _ZN7rocprim17ROCPRIM_400000_NS6detail17trampoline_kernelINS0_14default_configENS1_25transform_config_selectorIlLb1EEEZNS1_14transform_implILb1ES3_S5_PlS7_NS0_8identityIlEEEE10hipError_tT2_T3_mT4_P12ihipStream_tbEUlT_E_NS1_11comp_targetILNS1_3genE10ELNS1_11target_archE1201ELNS1_3gpuE5ELNS1_3repE0EEENS1_30default_config_static_selectorELNS0_4arch9wavefront6targetE0EEEvT1_
		.amdhsa_group_segment_fixed_size 0
		.amdhsa_private_segment_fixed_size 0
		.amdhsa_kernarg_size 40
		.amdhsa_user_sgpr_count 2
		.amdhsa_user_sgpr_dispatch_ptr 0
		.amdhsa_user_sgpr_queue_ptr 0
		.amdhsa_user_sgpr_kernarg_segment_ptr 1
		.amdhsa_user_sgpr_dispatch_id 0
		.amdhsa_user_sgpr_kernarg_preload_length 0
		.amdhsa_user_sgpr_kernarg_preload_offset 0
		.amdhsa_user_sgpr_private_segment_size 0
		.amdhsa_wavefront_size32 1
		.amdhsa_uses_dynamic_stack 0
		.amdhsa_enable_private_segment 0
		.amdhsa_system_sgpr_workgroup_id_x 1
		.amdhsa_system_sgpr_workgroup_id_y 0
		.amdhsa_system_sgpr_workgroup_id_z 0
		.amdhsa_system_sgpr_workgroup_info 0
		.amdhsa_system_vgpr_workitem_id 0
		.amdhsa_next_free_vgpr 1
		.amdhsa_next_free_sgpr 1
		.amdhsa_named_barrier_count 0
		.amdhsa_reserve_vcc 0
		.amdhsa_float_round_mode_32 0
		.amdhsa_float_round_mode_16_64 0
		.amdhsa_float_denorm_mode_32 3
		.amdhsa_float_denorm_mode_16_64 3
		.amdhsa_fp16_overflow 0
		.amdhsa_memory_ordered 1
		.amdhsa_forward_progress 1
		.amdhsa_inst_pref_size 0
		.amdhsa_round_robin_scheduling 0
		.amdhsa_exception_fp_ieee_invalid_op 0
		.amdhsa_exception_fp_denorm_src 0
		.amdhsa_exception_fp_ieee_div_zero 0
		.amdhsa_exception_fp_ieee_overflow 0
		.amdhsa_exception_fp_ieee_underflow 0
		.amdhsa_exception_fp_ieee_inexact 0
		.amdhsa_exception_int_div_zero 0
	.end_amdhsa_kernel
	.section	.text._ZN7rocprim17ROCPRIM_400000_NS6detail17trampoline_kernelINS0_14default_configENS1_25transform_config_selectorIlLb1EEEZNS1_14transform_implILb1ES3_S5_PlS7_NS0_8identityIlEEEE10hipError_tT2_T3_mT4_P12ihipStream_tbEUlT_E_NS1_11comp_targetILNS1_3genE10ELNS1_11target_archE1201ELNS1_3gpuE5ELNS1_3repE0EEENS1_30default_config_static_selectorELNS0_4arch9wavefront6targetE0EEEvT1_,"axG",@progbits,_ZN7rocprim17ROCPRIM_400000_NS6detail17trampoline_kernelINS0_14default_configENS1_25transform_config_selectorIlLb1EEEZNS1_14transform_implILb1ES3_S5_PlS7_NS0_8identityIlEEEE10hipError_tT2_T3_mT4_P12ihipStream_tbEUlT_E_NS1_11comp_targetILNS1_3genE10ELNS1_11target_archE1201ELNS1_3gpuE5ELNS1_3repE0EEENS1_30default_config_static_selectorELNS0_4arch9wavefront6targetE0EEEvT1_,comdat
.Lfunc_end1039:
	.size	_ZN7rocprim17ROCPRIM_400000_NS6detail17trampoline_kernelINS0_14default_configENS1_25transform_config_selectorIlLb1EEEZNS1_14transform_implILb1ES3_S5_PlS7_NS0_8identityIlEEEE10hipError_tT2_T3_mT4_P12ihipStream_tbEUlT_E_NS1_11comp_targetILNS1_3genE10ELNS1_11target_archE1201ELNS1_3gpuE5ELNS1_3repE0EEENS1_30default_config_static_selectorELNS0_4arch9wavefront6targetE0EEEvT1_, .Lfunc_end1039-_ZN7rocprim17ROCPRIM_400000_NS6detail17trampoline_kernelINS0_14default_configENS1_25transform_config_selectorIlLb1EEEZNS1_14transform_implILb1ES3_S5_PlS7_NS0_8identityIlEEEE10hipError_tT2_T3_mT4_P12ihipStream_tbEUlT_E_NS1_11comp_targetILNS1_3genE10ELNS1_11target_archE1201ELNS1_3gpuE5ELNS1_3repE0EEENS1_30default_config_static_selectorELNS0_4arch9wavefront6targetE0EEEvT1_
                                        ; -- End function
	.set _ZN7rocprim17ROCPRIM_400000_NS6detail17trampoline_kernelINS0_14default_configENS1_25transform_config_selectorIlLb1EEEZNS1_14transform_implILb1ES3_S5_PlS7_NS0_8identityIlEEEE10hipError_tT2_T3_mT4_P12ihipStream_tbEUlT_E_NS1_11comp_targetILNS1_3genE10ELNS1_11target_archE1201ELNS1_3gpuE5ELNS1_3repE0EEENS1_30default_config_static_selectorELNS0_4arch9wavefront6targetE0EEEvT1_.num_vgpr, 0
	.set _ZN7rocprim17ROCPRIM_400000_NS6detail17trampoline_kernelINS0_14default_configENS1_25transform_config_selectorIlLb1EEEZNS1_14transform_implILb1ES3_S5_PlS7_NS0_8identityIlEEEE10hipError_tT2_T3_mT4_P12ihipStream_tbEUlT_E_NS1_11comp_targetILNS1_3genE10ELNS1_11target_archE1201ELNS1_3gpuE5ELNS1_3repE0EEENS1_30default_config_static_selectorELNS0_4arch9wavefront6targetE0EEEvT1_.num_agpr, 0
	.set _ZN7rocprim17ROCPRIM_400000_NS6detail17trampoline_kernelINS0_14default_configENS1_25transform_config_selectorIlLb1EEEZNS1_14transform_implILb1ES3_S5_PlS7_NS0_8identityIlEEEE10hipError_tT2_T3_mT4_P12ihipStream_tbEUlT_E_NS1_11comp_targetILNS1_3genE10ELNS1_11target_archE1201ELNS1_3gpuE5ELNS1_3repE0EEENS1_30default_config_static_selectorELNS0_4arch9wavefront6targetE0EEEvT1_.numbered_sgpr, 0
	.set _ZN7rocprim17ROCPRIM_400000_NS6detail17trampoline_kernelINS0_14default_configENS1_25transform_config_selectorIlLb1EEEZNS1_14transform_implILb1ES3_S5_PlS7_NS0_8identityIlEEEE10hipError_tT2_T3_mT4_P12ihipStream_tbEUlT_E_NS1_11comp_targetILNS1_3genE10ELNS1_11target_archE1201ELNS1_3gpuE5ELNS1_3repE0EEENS1_30default_config_static_selectorELNS0_4arch9wavefront6targetE0EEEvT1_.num_named_barrier, 0
	.set _ZN7rocprim17ROCPRIM_400000_NS6detail17trampoline_kernelINS0_14default_configENS1_25transform_config_selectorIlLb1EEEZNS1_14transform_implILb1ES3_S5_PlS7_NS0_8identityIlEEEE10hipError_tT2_T3_mT4_P12ihipStream_tbEUlT_E_NS1_11comp_targetILNS1_3genE10ELNS1_11target_archE1201ELNS1_3gpuE5ELNS1_3repE0EEENS1_30default_config_static_selectorELNS0_4arch9wavefront6targetE0EEEvT1_.private_seg_size, 0
	.set _ZN7rocprim17ROCPRIM_400000_NS6detail17trampoline_kernelINS0_14default_configENS1_25transform_config_selectorIlLb1EEEZNS1_14transform_implILb1ES3_S5_PlS7_NS0_8identityIlEEEE10hipError_tT2_T3_mT4_P12ihipStream_tbEUlT_E_NS1_11comp_targetILNS1_3genE10ELNS1_11target_archE1201ELNS1_3gpuE5ELNS1_3repE0EEENS1_30default_config_static_selectorELNS0_4arch9wavefront6targetE0EEEvT1_.uses_vcc, 0
	.set _ZN7rocprim17ROCPRIM_400000_NS6detail17trampoline_kernelINS0_14default_configENS1_25transform_config_selectorIlLb1EEEZNS1_14transform_implILb1ES3_S5_PlS7_NS0_8identityIlEEEE10hipError_tT2_T3_mT4_P12ihipStream_tbEUlT_E_NS1_11comp_targetILNS1_3genE10ELNS1_11target_archE1201ELNS1_3gpuE5ELNS1_3repE0EEENS1_30default_config_static_selectorELNS0_4arch9wavefront6targetE0EEEvT1_.uses_flat_scratch, 0
	.set _ZN7rocprim17ROCPRIM_400000_NS6detail17trampoline_kernelINS0_14default_configENS1_25transform_config_selectorIlLb1EEEZNS1_14transform_implILb1ES3_S5_PlS7_NS0_8identityIlEEEE10hipError_tT2_T3_mT4_P12ihipStream_tbEUlT_E_NS1_11comp_targetILNS1_3genE10ELNS1_11target_archE1201ELNS1_3gpuE5ELNS1_3repE0EEENS1_30default_config_static_selectorELNS0_4arch9wavefront6targetE0EEEvT1_.has_dyn_sized_stack, 0
	.set _ZN7rocprim17ROCPRIM_400000_NS6detail17trampoline_kernelINS0_14default_configENS1_25transform_config_selectorIlLb1EEEZNS1_14transform_implILb1ES3_S5_PlS7_NS0_8identityIlEEEE10hipError_tT2_T3_mT4_P12ihipStream_tbEUlT_E_NS1_11comp_targetILNS1_3genE10ELNS1_11target_archE1201ELNS1_3gpuE5ELNS1_3repE0EEENS1_30default_config_static_selectorELNS0_4arch9wavefront6targetE0EEEvT1_.has_recursion, 0
	.set _ZN7rocprim17ROCPRIM_400000_NS6detail17trampoline_kernelINS0_14default_configENS1_25transform_config_selectorIlLb1EEEZNS1_14transform_implILb1ES3_S5_PlS7_NS0_8identityIlEEEE10hipError_tT2_T3_mT4_P12ihipStream_tbEUlT_E_NS1_11comp_targetILNS1_3genE10ELNS1_11target_archE1201ELNS1_3gpuE5ELNS1_3repE0EEENS1_30default_config_static_selectorELNS0_4arch9wavefront6targetE0EEEvT1_.has_indirect_call, 0
	.section	.AMDGPU.csdata,"",@progbits
; Kernel info:
; codeLenInByte = 0
; TotalNumSgprs: 0
; NumVgprs: 0
; ScratchSize: 0
; MemoryBound: 0
; FloatMode: 240
; IeeeMode: 1
; LDSByteSize: 0 bytes/workgroup (compile time only)
; SGPRBlocks: 0
; VGPRBlocks: 0
; NumSGPRsForWavesPerEU: 1
; NumVGPRsForWavesPerEU: 1
; NamedBarCnt: 0
; Occupancy: 16
; WaveLimiterHint : 0
; COMPUTE_PGM_RSRC2:SCRATCH_EN: 0
; COMPUTE_PGM_RSRC2:USER_SGPR: 2
; COMPUTE_PGM_RSRC2:TRAP_HANDLER: 0
; COMPUTE_PGM_RSRC2:TGID_X_EN: 1
; COMPUTE_PGM_RSRC2:TGID_Y_EN: 0
; COMPUTE_PGM_RSRC2:TGID_Z_EN: 0
; COMPUTE_PGM_RSRC2:TIDIG_COMP_CNT: 0
	.section	.text._ZN7rocprim17ROCPRIM_400000_NS6detail17trampoline_kernelINS0_14default_configENS1_25transform_config_selectorIlLb1EEEZNS1_14transform_implILb1ES3_S5_PlS7_NS0_8identityIlEEEE10hipError_tT2_T3_mT4_P12ihipStream_tbEUlT_E_NS1_11comp_targetILNS1_3genE5ELNS1_11target_archE942ELNS1_3gpuE9ELNS1_3repE0EEENS1_30default_config_static_selectorELNS0_4arch9wavefront6targetE0EEEvT1_,"axG",@progbits,_ZN7rocprim17ROCPRIM_400000_NS6detail17trampoline_kernelINS0_14default_configENS1_25transform_config_selectorIlLb1EEEZNS1_14transform_implILb1ES3_S5_PlS7_NS0_8identityIlEEEE10hipError_tT2_T3_mT4_P12ihipStream_tbEUlT_E_NS1_11comp_targetILNS1_3genE5ELNS1_11target_archE942ELNS1_3gpuE9ELNS1_3repE0EEENS1_30default_config_static_selectorELNS0_4arch9wavefront6targetE0EEEvT1_,comdat
	.protected	_ZN7rocprim17ROCPRIM_400000_NS6detail17trampoline_kernelINS0_14default_configENS1_25transform_config_selectorIlLb1EEEZNS1_14transform_implILb1ES3_S5_PlS7_NS0_8identityIlEEEE10hipError_tT2_T3_mT4_P12ihipStream_tbEUlT_E_NS1_11comp_targetILNS1_3genE5ELNS1_11target_archE942ELNS1_3gpuE9ELNS1_3repE0EEENS1_30default_config_static_selectorELNS0_4arch9wavefront6targetE0EEEvT1_ ; -- Begin function _ZN7rocprim17ROCPRIM_400000_NS6detail17trampoline_kernelINS0_14default_configENS1_25transform_config_selectorIlLb1EEEZNS1_14transform_implILb1ES3_S5_PlS7_NS0_8identityIlEEEE10hipError_tT2_T3_mT4_P12ihipStream_tbEUlT_E_NS1_11comp_targetILNS1_3genE5ELNS1_11target_archE942ELNS1_3gpuE9ELNS1_3repE0EEENS1_30default_config_static_selectorELNS0_4arch9wavefront6targetE0EEEvT1_
	.globl	_ZN7rocprim17ROCPRIM_400000_NS6detail17trampoline_kernelINS0_14default_configENS1_25transform_config_selectorIlLb1EEEZNS1_14transform_implILb1ES3_S5_PlS7_NS0_8identityIlEEEE10hipError_tT2_T3_mT4_P12ihipStream_tbEUlT_E_NS1_11comp_targetILNS1_3genE5ELNS1_11target_archE942ELNS1_3gpuE9ELNS1_3repE0EEENS1_30default_config_static_selectorELNS0_4arch9wavefront6targetE0EEEvT1_
	.p2align	8
	.type	_ZN7rocprim17ROCPRIM_400000_NS6detail17trampoline_kernelINS0_14default_configENS1_25transform_config_selectorIlLb1EEEZNS1_14transform_implILb1ES3_S5_PlS7_NS0_8identityIlEEEE10hipError_tT2_T3_mT4_P12ihipStream_tbEUlT_E_NS1_11comp_targetILNS1_3genE5ELNS1_11target_archE942ELNS1_3gpuE9ELNS1_3repE0EEENS1_30default_config_static_selectorELNS0_4arch9wavefront6targetE0EEEvT1_,@function
_ZN7rocprim17ROCPRIM_400000_NS6detail17trampoline_kernelINS0_14default_configENS1_25transform_config_selectorIlLb1EEEZNS1_14transform_implILb1ES3_S5_PlS7_NS0_8identityIlEEEE10hipError_tT2_T3_mT4_P12ihipStream_tbEUlT_E_NS1_11comp_targetILNS1_3genE5ELNS1_11target_archE942ELNS1_3gpuE9ELNS1_3repE0EEENS1_30default_config_static_selectorELNS0_4arch9wavefront6targetE0EEEvT1_: ; @_ZN7rocprim17ROCPRIM_400000_NS6detail17trampoline_kernelINS0_14default_configENS1_25transform_config_selectorIlLb1EEEZNS1_14transform_implILb1ES3_S5_PlS7_NS0_8identityIlEEEE10hipError_tT2_T3_mT4_P12ihipStream_tbEUlT_E_NS1_11comp_targetILNS1_3genE5ELNS1_11target_archE942ELNS1_3gpuE9ELNS1_3repE0EEENS1_30default_config_static_selectorELNS0_4arch9wavefront6targetE0EEEvT1_
; %bb.0:
	.section	.rodata,"a",@progbits
	.p2align	6, 0x0
	.amdhsa_kernel _ZN7rocprim17ROCPRIM_400000_NS6detail17trampoline_kernelINS0_14default_configENS1_25transform_config_selectorIlLb1EEEZNS1_14transform_implILb1ES3_S5_PlS7_NS0_8identityIlEEEE10hipError_tT2_T3_mT4_P12ihipStream_tbEUlT_E_NS1_11comp_targetILNS1_3genE5ELNS1_11target_archE942ELNS1_3gpuE9ELNS1_3repE0EEENS1_30default_config_static_selectorELNS0_4arch9wavefront6targetE0EEEvT1_
		.amdhsa_group_segment_fixed_size 0
		.amdhsa_private_segment_fixed_size 0
		.amdhsa_kernarg_size 40
		.amdhsa_user_sgpr_count 2
		.amdhsa_user_sgpr_dispatch_ptr 0
		.amdhsa_user_sgpr_queue_ptr 0
		.amdhsa_user_sgpr_kernarg_segment_ptr 1
		.amdhsa_user_sgpr_dispatch_id 0
		.amdhsa_user_sgpr_kernarg_preload_length 0
		.amdhsa_user_sgpr_kernarg_preload_offset 0
		.amdhsa_user_sgpr_private_segment_size 0
		.amdhsa_wavefront_size32 1
		.amdhsa_uses_dynamic_stack 0
		.amdhsa_enable_private_segment 0
		.amdhsa_system_sgpr_workgroup_id_x 1
		.amdhsa_system_sgpr_workgroup_id_y 0
		.amdhsa_system_sgpr_workgroup_id_z 0
		.amdhsa_system_sgpr_workgroup_info 0
		.amdhsa_system_vgpr_workitem_id 0
		.amdhsa_next_free_vgpr 1
		.amdhsa_next_free_sgpr 1
		.amdhsa_named_barrier_count 0
		.amdhsa_reserve_vcc 0
		.amdhsa_float_round_mode_32 0
		.amdhsa_float_round_mode_16_64 0
		.amdhsa_float_denorm_mode_32 3
		.amdhsa_float_denorm_mode_16_64 3
		.amdhsa_fp16_overflow 0
		.amdhsa_memory_ordered 1
		.amdhsa_forward_progress 1
		.amdhsa_inst_pref_size 0
		.amdhsa_round_robin_scheduling 0
		.amdhsa_exception_fp_ieee_invalid_op 0
		.amdhsa_exception_fp_denorm_src 0
		.amdhsa_exception_fp_ieee_div_zero 0
		.amdhsa_exception_fp_ieee_overflow 0
		.amdhsa_exception_fp_ieee_underflow 0
		.amdhsa_exception_fp_ieee_inexact 0
		.amdhsa_exception_int_div_zero 0
	.end_amdhsa_kernel
	.section	.text._ZN7rocprim17ROCPRIM_400000_NS6detail17trampoline_kernelINS0_14default_configENS1_25transform_config_selectorIlLb1EEEZNS1_14transform_implILb1ES3_S5_PlS7_NS0_8identityIlEEEE10hipError_tT2_T3_mT4_P12ihipStream_tbEUlT_E_NS1_11comp_targetILNS1_3genE5ELNS1_11target_archE942ELNS1_3gpuE9ELNS1_3repE0EEENS1_30default_config_static_selectorELNS0_4arch9wavefront6targetE0EEEvT1_,"axG",@progbits,_ZN7rocprim17ROCPRIM_400000_NS6detail17trampoline_kernelINS0_14default_configENS1_25transform_config_selectorIlLb1EEEZNS1_14transform_implILb1ES3_S5_PlS7_NS0_8identityIlEEEE10hipError_tT2_T3_mT4_P12ihipStream_tbEUlT_E_NS1_11comp_targetILNS1_3genE5ELNS1_11target_archE942ELNS1_3gpuE9ELNS1_3repE0EEENS1_30default_config_static_selectorELNS0_4arch9wavefront6targetE0EEEvT1_,comdat
.Lfunc_end1040:
	.size	_ZN7rocprim17ROCPRIM_400000_NS6detail17trampoline_kernelINS0_14default_configENS1_25transform_config_selectorIlLb1EEEZNS1_14transform_implILb1ES3_S5_PlS7_NS0_8identityIlEEEE10hipError_tT2_T3_mT4_P12ihipStream_tbEUlT_E_NS1_11comp_targetILNS1_3genE5ELNS1_11target_archE942ELNS1_3gpuE9ELNS1_3repE0EEENS1_30default_config_static_selectorELNS0_4arch9wavefront6targetE0EEEvT1_, .Lfunc_end1040-_ZN7rocprim17ROCPRIM_400000_NS6detail17trampoline_kernelINS0_14default_configENS1_25transform_config_selectorIlLb1EEEZNS1_14transform_implILb1ES3_S5_PlS7_NS0_8identityIlEEEE10hipError_tT2_T3_mT4_P12ihipStream_tbEUlT_E_NS1_11comp_targetILNS1_3genE5ELNS1_11target_archE942ELNS1_3gpuE9ELNS1_3repE0EEENS1_30default_config_static_selectorELNS0_4arch9wavefront6targetE0EEEvT1_
                                        ; -- End function
	.set _ZN7rocprim17ROCPRIM_400000_NS6detail17trampoline_kernelINS0_14default_configENS1_25transform_config_selectorIlLb1EEEZNS1_14transform_implILb1ES3_S5_PlS7_NS0_8identityIlEEEE10hipError_tT2_T3_mT4_P12ihipStream_tbEUlT_E_NS1_11comp_targetILNS1_3genE5ELNS1_11target_archE942ELNS1_3gpuE9ELNS1_3repE0EEENS1_30default_config_static_selectorELNS0_4arch9wavefront6targetE0EEEvT1_.num_vgpr, 0
	.set _ZN7rocprim17ROCPRIM_400000_NS6detail17trampoline_kernelINS0_14default_configENS1_25transform_config_selectorIlLb1EEEZNS1_14transform_implILb1ES3_S5_PlS7_NS0_8identityIlEEEE10hipError_tT2_T3_mT4_P12ihipStream_tbEUlT_E_NS1_11comp_targetILNS1_3genE5ELNS1_11target_archE942ELNS1_3gpuE9ELNS1_3repE0EEENS1_30default_config_static_selectorELNS0_4arch9wavefront6targetE0EEEvT1_.num_agpr, 0
	.set _ZN7rocprim17ROCPRIM_400000_NS6detail17trampoline_kernelINS0_14default_configENS1_25transform_config_selectorIlLb1EEEZNS1_14transform_implILb1ES3_S5_PlS7_NS0_8identityIlEEEE10hipError_tT2_T3_mT4_P12ihipStream_tbEUlT_E_NS1_11comp_targetILNS1_3genE5ELNS1_11target_archE942ELNS1_3gpuE9ELNS1_3repE0EEENS1_30default_config_static_selectorELNS0_4arch9wavefront6targetE0EEEvT1_.numbered_sgpr, 0
	.set _ZN7rocprim17ROCPRIM_400000_NS6detail17trampoline_kernelINS0_14default_configENS1_25transform_config_selectorIlLb1EEEZNS1_14transform_implILb1ES3_S5_PlS7_NS0_8identityIlEEEE10hipError_tT2_T3_mT4_P12ihipStream_tbEUlT_E_NS1_11comp_targetILNS1_3genE5ELNS1_11target_archE942ELNS1_3gpuE9ELNS1_3repE0EEENS1_30default_config_static_selectorELNS0_4arch9wavefront6targetE0EEEvT1_.num_named_barrier, 0
	.set _ZN7rocprim17ROCPRIM_400000_NS6detail17trampoline_kernelINS0_14default_configENS1_25transform_config_selectorIlLb1EEEZNS1_14transform_implILb1ES3_S5_PlS7_NS0_8identityIlEEEE10hipError_tT2_T3_mT4_P12ihipStream_tbEUlT_E_NS1_11comp_targetILNS1_3genE5ELNS1_11target_archE942ELNS1_3gpuE9ELNS1_3repE0EEENS1_30default_config_static_selectorELNS0_4arch9wavefront6targetE0EEEvT1_.private_seg_size, 0
	.set _ZN7rocprim17ROCPRIM_400000_NS6detail17trampoline_kernelINS0_14default_configENS1_25transform_config_selectorIlLb1EEEZNS1_14transform_implILb1ES3_S5_PlS7_NS0_8identityIlEEEE10hipError_tT2_T3_mT4_P12ihipStream_tbEUlT_E_NS1_11comp_targetILNS1_3genE5ELNS1_11target_archE942ELNS1_3gpuE9ELNS1_3repE0EEENS1_30default_config_static_selectorELNS0_4arch9wavefront6targetE0EEEvT1_.uses_vcc, 0
	.set _ZN7rocprim17ROCPRIM_400000_NS6detail17trampoline_kernelINS0_14default_configENS1_25transform_config_selectorIlLb1EEEZNS1_14transform_implILb1ES3_S5_PlS7_NS0_8identityIlEEEE10hipError_tT2_T3_mT4_P12ihipStream_tbEUlT_E_NS1_11comp_targetILNS1_3genE5ELNS1_11target_archE942ELNS1_3gpuE9ELNS1_3repE0EEENS1_30default_config_static_selectorELNS0_4arch9wavefront6targetE0EEEvT1_.uses_flat_scratch, 0
	.set _ZN7rocprim17ROCPRIM_400000_NS6detail17trampoline_kernelINS0_14default_configENS1_25transform_config_selectorIlLb1EEEZNS1_14transform_implILb1ES3_S5_PlS7_NS0_8identityIlEEEE10hipError_tT2_T3_mT4_P12ihipStream_tbEUlT_E_NS1_11comp_targetILNS1_3genE5ELNS1_11target_archE942ELNS1_3gpuE9ELNS1_3repE0EEENS1_30default_config_static_selectorELNS0_4arch9wavefront6targetE0EEEvT1_.has_dyn_sized_stack, 0
	.set _ZN7rocprim17ROCPRIM_400000_NS6detail17trampoline_kernelINS0_14default_configENS1_25transform_config_selectorIlLb1EEEZNS1_14transform_implILb1ES3_S5_PlS7_NS0_8identityIlEEEE10hipError_tT2_T3_mT4_P12ihipStream_tbEUlT_E_NS1_11comp_targetILNS1_3genE5ELNS1_11target_archE942ELNS1_3gpuE9ELNS1_3repE0EEENS1_30default_config_static_selectorELNS0_4arch9wavefront6targetE0EEEvT1_.has_recursion, 0
	.set _ZN7rocprim17ROCPRIM_400000_NS6detail17trampoline_kernelINS0_14default_configENS1_25transform_config_selectorIlLb1EEEZNS1_14transform_implILb1ES3_S5_PlS7_NS0_8identityIlEEEE10hipError_tT2_T3_mT4_P12ihipStream_tbEUlT_E_NS1_11comp_targetILNS1_3genE5ELNS1_11target_archE942ELNS1_3gpuE9ELNS1_3repE0EEENS1_30default_config_static_selectorELNS0_4arch9wavefront6targetE0EEEvT1_.has_indirect_call, 0
	.section	.AMDGPU.csdata,"",@progbits
; Kernel info:
; codeLenInByte = 0
; TotalNumSgprs: 0
; NumVgprs: 0
; ScratchSize: 0
; MemoryBound: 0
; FloatMode: 240
; IeeeMode: 1
; LDSByteSize: 0 bytes/workgroup (compile time only)
; SGPRBlocks: 0
; VGPRBlocks: 0
; NumSGPRsForWavesPerEU: 1
; NumVGPRsForWavesPerEU: 1
; NamedBarCnt: 0
; Occupancy: 16
; WaveLimiterHint : 0
; COMPUTE_PGM_RSRC2:SCRATCH_EN: 0
; COMPUTE_PGM_RSRC2:USER_SGPR: 2
; COMPUTE_PGM_RSRC2:TRAP_HANDLER: 0
; COMPUTE_PGM_RSRC2:TGID_X_EN: 1
; COMPUTE_PGM_RSRC2:TGID_Y_EN: 0
; COMPUTE_PGM_RSRC2:TGID_Z_EN: 0
; COMPUTE_PGM_RSRC2:TIDIG_COMP_CNT: 0
	.section	.text._ZN7rocprim17ROCPRIM_400000_NS6detail17trampoline_kernelINS0_14default_configENS1_25transform_config_selectorIlLb1EEEZNS1_14transform_implILb1ES3_S5_PlS7_NS0_8identityIlEEEE10hipError_tT2_T3_mT4_P12ihipStream_tbEUlT_E_NS1_11comp_targetILNS1_3genE4ELNS1_11target_archE910ELNS1_3gpuE8ELNS1_3repE0EEENS1_30default_config_static_selectorELNS0_4arch9wavefront6targetE0EEEvT1_,"axG",@progbits,_ZN7rocprim17ROCPRIM_400000_NS6detail17trampoline_kernelINS0_14default_configENS1_25transform_config_selectorIlLb1EEEZNS1_14transform_implILb1ES3_S5_PlS7_NS0_8identityIlEEEE10hipError_tT2_T3_mT4_P12ihipStream_tbEUlT_E_NS1_11comp_targetILNS1_3genE4ELNS1_11target_archE910ELNS1_3gpuE8ELNS1_3repE0EEENS1_30default_config_static_selectorELNS0_4arch9wavefront6targetE0EEEvT1_,comdat
	.protected	_ZN7rocprim17ROCPRIM_400000_NS6detail17trampoline_kernelINS0_14default_configENS1_25transform_config_selectorIlLb1EEEZNS1_14transform_implILb1ES3_S5_PlS7_NS0_8identityIlEEEE10hipError_tT2_T3_mT4_P12ihipStream_tbEUlT_E_NS1_11comp_targetILNS1_3genE4ELNS1_11target_archE910ELNS1_3gpuE8ELNS1_3repE0EEENS1_30default_config_static_selectorELNS0_4arch9wavefront6targetE0EEEvT1_ ; -- Begin function _ZN7rocprim17ROCPRIM_400000_NS6detail17trampoline_kernelINS0_14default_configENS1_25transform_config_selectorIlLb1EEEZNS1_14transform_implILb1ES3_S5_PlS7_NS0_8identityIlEEEE10hipError_tT2_T3_mT4_P12ihipStream_tbEUlT_E_NS1_11comp_targetILNS1_3genE4ELNS1_11target_archE910ELNS1_3gpuE8ELNS1_3repE0EEENS1_30default_config_static_selectorELNS0_4arch9wavefront6targetE0EEEvT1_
	.globl	_ZN7rocprim17ROCPRIM_400000_NS6detail17trampoline_kernelINS0_14default_configENS1_25transform_config_selectorIlLb1EEEZNS1_14transform_implILb1ES3_S5_PlS7_NS0_8identityIlEEEE10hipError_tT2_T3_mT4_P12ihipStream_tbEUlT_E_NS1_11comp_targetILNS1_3genE4ELNS1_11target_archE910ELNS1_3gpuE8ELNS1_3repE0EEENS1_30default_config_static_selectorELNS0_4arch9wavefront6targetE0EEEvT1_
	.p2align	8
	.type	_ZN7rocprim17ROCPRIM_400000_NS6detail17trampoline_kernelINS0_14default_configENS1_25transform_config_selectorIlLb1EEEZNS1_14transform_implILb1ES3_S5_PlS7_NS0_8identityIlEEEE10hipError_tT2_T3_mT4_P12ihipStream_tbEUlT_E_NS1_11comp_targetILNS1_3genE4ELNS1_11target_archE910ELNS1_3gpuE8ELNS1_3repE0EEENS1_30default_config_static_selectorELNS0_4arch9wavefront6targetE0EEEvT1_,@function
_ZN7rocprim17ROCPRIM_400000_NS6detail17trampoline_kernelINS0_14default_configENS1_25transform_config_selectorIlLb1EEEZNS1_14transform_implILb1ES3_S5_PlS7_NS0_8identityIlEEEE10hipError_tT2_T3_mT4_P12ihipStream_tbEUlT_E_NS1_11comp_targetILNS1_3genE4ELNS1_11target_archE910ELNS1_3gpuE8ELNS1_3repE0EEENS1_30default_config_static_selectorELNS0_4arch9wavefront6targetE0EEEvT1_: ; @_ZN7rocprim17ROCPRIM_400000_NS6detail17trampoline_kernelINS0_14default_configENS1_25transform_config_selectorIlLb1EEEZNS1_14transform_implILb1ES3_S5_PlS7_NS0_8identityIlEEEE10hipError_tT2_T3_mT4_P12ihipStream_tbEUlT_E_NS1_11comp_targetILNS1_3genE4ELNS1_11target_archE910ELNS1_3gpuE8ELNS1_3repE0EEENS1_30default_config_static_selectorELNS0_4arch9wavefront6targetE0EEEvT1_
; %bb.0:
	.section	.rodata,"a",@progbits
	.p2align	6, 0x0
	.amdhsa_kernel _ZN7rocprim17ROCPRIM_400000_NS6detail17trampoline_kernelINS0_14default_configENS1_25transform_config_selectorIlLb1EEEZNS1_14transform_implILb1ES3_S5_PlS7_NS0_8identityIlEEEE10hipError_tT2_T3_mT4_P12ihipStream_tbEUlT_E_NS1_11comp_targetILNS1_3genE4ELNS1_11target_archE910ELNS1_3gpuE8ELNS1_3repE0EEENS1_30default_config_static_selectorELNS0_4arch9wavefront6targetE0EEEvT1_
		.amdhsa_group_segment_fixed_size 0
		.amdhsa_private_segment_fixed_size 0
		.amdhsa_kernarg_size 40
		.amdhsa_user_sgpr_count 2
		.amdhsa_user_sgpr_dispatch_ptr 0
		.amdhsa_user_sgpr_queue_ptr 0
		.amdhsa_user_sgpr_kernarg_segment_ptr 1
		.amdhsa_user_sgpr_dispatch_id 0
		.amdhsa_user_sgpr_kernarg_preload_length 0
		.amdhsa_user_sgpr_kernarg_preload_offset 0
		.amdhsa_user_sgpr_private_segment_size 0
		.amdhsa_wavefront_size32 1
		.amdhsa_uses_dynamic_stack 0
		.amdhsa_enable_private_segment 0
		.amdhsa_system_sgpr_workgroup_id_x 1
		.amdhsa_system_sgpr_workgroup_id_y 0
		.amdhsa_system_sgpr_workgroup_id_z 0
		.amdhsa_system_sgpr_workgroup_info 0
		.amdhsa_system_vgpr_workitem_id 0
		.amdhsa_next_free_vgpr 1
		.amdhsa_next_free_sgpr 1
		.amdhsa_named_barrier_count 0
		.amdhsa_reserve_vcc 0
		.amdhsa_float_round_mode_32 0
		.amdhsa_float_round_mode_16_64 0
		.amdhsa_float_denorm_mode_32 3
		.amdhsa_float_denorm_mode_16_64 3
		.amdhsa_fp16_overflow 0
		.amdhsa_memory_ordered 1
		.amdhsa_forward_progress 1
		.amdhsa_inst_pref_size 0
		.amdhsa_round_robin_scheduling 0
		.amdhsa_exception_fp_ieee_invalid_op 0
		.amdhsa_exception_fp_denorm_src 0
		.amdhsa_exception_fp_ieee_div_zero 0
		.amdhsa_exception_fp_ieee_overflow 0
		.amdhsa_exception_fp_ieee_underflow 0
		.amdhsa_exception_fp_ieee_inexact 0
		.amdhsa_exception_int_div_zero 0
	.end_amdhsa_kernel
	.section	.text._ZN7rocprim17ROCPRIM_400000_NS6detail17trampoline_kernelINS0_14default_configENS1_25transform_config_selectorIlLb1EEEZNS1_14transform_implILb1ES3_S5_PlS7_NS0_8identityIlEEEE10hipError_tT2_T3_mT4_P12ihipStream_tbEUlT_E_NS1_11comp_targetILNS1_3genE4ELNS1_11target_archE910ELNS1_3gpuE8ELNS1_3repE0EEENS1_30default_config_static_selectorELNS0_4arch9wavefront6targetE0EEEvT1_,"axG",@progbits,_ZN7rocprim17ROCPRIM_400000_NS6detail17trampoline_kernelINS0_14default_configENS1_25transform_config_selectorIlLb1EEEZNS1_14transform_implILb1ES3_S5_PlS7_NS0_8identityIlEEEE10hipError_tT2_T3_mT4_P12ihipStream_tbEUlT_E_NS1_11comp_targetILNS1_3genE4ELNS1_11target_archE910ELNS1_3gpuE8ELNS1_3repE0EEENS1_30default_config_static_selectorELNS0_4arch9wavefront6targetE0EEEvT1_,comdat
.Lfunc_end1041:
	.size	_ZN7rocprim17ROCPRIM_400000_NS6detail17trampoline_kernelINS0_14default_configENS1_25transform_config_selectorIlLb1EEEZNS1_14transform_implILb1ES3_S5_PlS7_NS0_8identityIlEEEE10hipError_tT2_T3_mT4_P12ihipStream_tbEUlT_E_NS1_11comp_targetILNS1_3genE4ELNS1_11target_archE910ELNS1_3gpuE8ELNS1_3repE0EEENS1_30default_config_static_selectorELNS0_4arch9wavefront6targetE0EEEvT1_, .Lfunc_end1041-_ZN7rocprim17ROCPRIM_400000_NS6detail17trampoline_kernelINS0_14default_configENS1_25transform_config_selectorIlLb1EEEZNS1_14transform_implILb1ES3_S5_PlS7_NS0_8identityIlEEEE10hipError_tT2_T3_mT4_P12ihipStream_tbEUlT_E_NS1_11comp_targetILNS1_3genE4ELNS1_11target_archE910ELNS1_3gpuE8ELNS1_3repE0EEENS1_30default_config_static_selectorELNS0_4arch9wavefront6targetE0EEEvT1_
                                        ; -- End function
	.set _ZN7rocprim17ROCPRIM_400000_NS6detail17trampoline_kernelINS0_14default_configENS1_25transform_config_selectorIlLb1EEEZNS1_14transform_implILb1ES3_S5_PlS7_NS0_8identityIlEEEE10hipError_tT2_T3_mT4_P12ihipStream_tbEUlT_E_NS1_11comp_targetILNS1_3genE4ELNS1_11target_archE910ELNS1_3gpuE8ELNS1_3repE0EEENS1_30default_config_static_selectorELNS0_4arch9wavefront6targetE0EEEvT1_.num_vgpr, 0
	.set _ZN7rocprim17ROCPRIM_400000_NS6detail17trampoline_kernelINS0_14default_configENS1_25transform_config_selectorIlLb1EEEZNS1_14transform_implILb1ES3_S5_PlS7_NS0_8identityIlEEEE10hipError_tT2_T3_mT4_P12ihipStream_tbEUlT_E_NS1_11comp_targetILNS1_3genE4ELNS1_11target_archE910ELNS1_3gpuE8ELNS1_3repE0EEENS1_30default_config_static_selectorELNS0_4arch9wavefront6targetE0EEEvT1_.num_agpr, 0
	.set _ZN7rocprim17ROCPRIM_400000_NS6detail17trampoline_kernelINS0_14default_configENS1_25transform_config_selectorIlLb1EEEZNS1_14transform_implILb1ES3_S5_PlS7_NS0_8identityIlEEEE10hipError_tT2_T3_mT4_P12ihipStream_tbEUlT_E_NS1_11comp_targetILNS1_3genE4ELNS1_11target_archE910ELNS1_3gpuE8ELNS1_3repE0EEENS1_30default_config_static_selectorELNS0_4arch9wavefront6targetE0EEEvT1_.numbered_sgpr, 0
	.set _ZN7rocprim17ROCPRIM_400000_NS6detail17trampoline_kernelINS0_14default_configENS1_25transform_config_selectorIlLb1EEEZNS1_14transform_implILb1ES3_S5_PlS7_NS0_8identityIlEEEE10hipError_tT2_T3_mT4_P12ihipStream_tbEUlT_E_NS1_11comp_targetILNS1_3genE4ELNS1_11target_archE910ELNS1_3gpuE8ELNS1_3repE0EEENS1_30default_config_static_selectorELNS0_4arch9wavefront6targetE0EEEvT1_.num_named_barrier, 0
	.set _ZN7rocprim17ROCPRIM_400000_NS6detail17trampoline_kernelINS0_14default_configENS1_25transform_config_selectorIlLb1EEEZNS1_14transform_implILb1ES3_S5_PlS7_NS0_8identityIlEEEE10hipError_tT2_T3_mT4_P12ihipStream_tbEUlT_E_NS1_11comp_targetILNS1_3genE4ELNS1_11target_archE910ELNS1_3gpuE8ELNS1_3repE0EEENS1_30default_config_static_selectorELNS0_4arch9wavefront6targetE0EEEvT1_.private_seg_size, 0
	.set _ZN7rocprim17ROCPRIM_400000_NS6detail17trampoline_kernelINS0_14default_configENS1_25transform_config_selectorIlLb1EEEZNS1_14transform_implILb1ES3_S5_PlS7_NS0_8identityIlEEEE10hipError_tT2_T3_mT4_P12ihipStream_tbEUlT_E_NS1_11comp_targetILNS1_3genE4ELNS1_11target_archE910ELNS1_3gpuE8ELNS1_3repE0EEENS1_30default_config_static_selectorELNS0_4arch9wavefront6targetE0EEEvT1_.uses_vcc, 0
	.set _ZN7rocprim17ROCPRIM_400000_NS6detail17trampoline_kernelINS0_14default_configENS1_25transform_config_selectorIlLb1EEEZNS1_14transform_implILb1ES3_S5_PlS7_NS0_8identityIlEEEE10hipError_tT2_T3_mT4_P12ihipStream_tbEUlT_E_NS1_11comp_targetILNS1_3genE4ELNS1_11target_archE910ELNS1_3gpuE8ELNS1_3repE0EEENS1_30default_config_static_selectorELNS0_4arch9wavefront6targetE0EEEvT1_.uses_flat_scratch, 0
	.set _ZN7rocprim17ROCPRIM_400000_NS6detail17trampoline_kernelINS0_14default_configENS1_25transform_config_selectorIlLb1EEEZNS1_14transform_implILb1ES3_S5_PlS7_NS0_8identityIlEEEE10hipError_tT2_T3_mT4_P12ihipStream_tbEUlT_E_NS1_11comp_targetILNS1_3genE4ELNS1_11target_archE910ELNS1_3gpuE8ELNS1_3repE0EEENS1_30default_config_static_selectorELNS0_4arch9wavefront6targetE0EEEvT1_.has_dyn_sized_stack, 0
	.set _ZN7rocprim17ROCPRIM_400000_NS6detail17trampoline_kernelINS0_14default_configENS1_25transform_config_selectorIlLb1EEEZNS1_14transform_implILb1ES3_S5_PlS7_NS0_8identityIlEEEE10hipError_tT2_T3_mT4_P12ihipStream_tbEUlT_E_NS1_11comp_targetILNS1_3genE4ELNS1_11target_archE910ELNS1_3gpuE8ELNS1_3repE0EEENS1_30default_config_static_selectorELNS0_4arch9wavefront6targetE0EEEvT1_.has_recursion, 0
	.set _ZN7rocprim17ROCPRIM_400000_NS6detail17trampoline_kernelINS0_14default_configENS1_25transform_config_selectorIlLb1EEEZNS1_14transform_implILb1ES3_S5_PlS7_NS0_8identityIlEEEE10hipError_tT2_T3_mT4_P12ihipStream_tbEUlT_E_NS1_11comp_targetILNS1_3genE4ELNS1_11target_archE910ELNS1_3gpuE8ELNS1_3repE0EEENS1_30default_config_static_selectorELNS0_4arch9wavefront6targetE0EEEvT1_.has_indirect_call, 0
	.section	.AMDGPU.csdata,"",@progbits
; Kernel info:
; codeLenInByte = 0
; TotalNumSgprs: 0
; NumVgprs: 0
; ScratchSize: 0
; MemoryBound: 0
; FloatMode: 240
; IeeeMode: 1
; LDSByteSize: 0 bytes/workgroup (compile time only)
; SGPRBlocks: 0
; VGPRBlocks: 0
; NumSGPRsForWavesPerEU: 1
; NumVGPRsForWavesPerEU: 1
; NamedBarCnt: 0
; Occupancy: 16
; WaveLimiterHint : 0
; COMPUTE_PGM_RSRC2:SCRATCH_EN: 0
; COMPUTE_PGM_RSRC2:USER_SGPR: 2
; COMPUTE_PGM_RSRC2:TRAP_HANDLER: 0
; COMPUTE_PGM_RSRC2:TGID_X_EN: 1
; COMPUTE_PGM_RSRC2:TGID_Y_EN: 0
; COMPUTE_PGM_RSRC2:TGID_Z_EN: 0
; COMPUTE_PGM_RSRC2:TIDIG_COMP_CNT: 0
	.section	.text._ZN7rocprim17ROCPRIM_400000_NS6detail17trampoline_kernelINS0_14default_configENS1_25transform_config_selectorIlLb1EEEZNS1_14transform_implILb1ES3_S5_PlS7_NS0_8identityIlEEEE10hipError_tT2_T3_mT4_P12ihipStream_tbEUlT_E_NS1_11comp_targetILNS1_3genE3ELNS1_11target_archE908ELNS1_3gpuE7ELNS1_3repE0EEENS1_30default_config_static_selectorELNS0_4arch9wavefront6targetE0EEEvT1_,"axG",@progbits,_ZN7rocprim17ROCPRIM_400000_NS6detail17trampoline_kernelINS0_14default_configENS1_25transform_config_selectorIlLb1EEEZNS1_14transform_implILb1ES3_S5_PlS7_NS0_8identityIlEEEE10hipError_tT2_T3_mT4_P12ihipStream_tbEUlT_E_NS1_11comp_targetILNS1_3genE3ELNS1_11target_archE908ELNS1_3gpuE7ELNS1_3repE0EEENS1_30default_config_static_selectorELNS0_4arch9wavefront6targetE0EEEvT1_,comdat
	.protected	_ZN7rocprim17ROCPRIM_400000_NS6detail17trampoline_kernelINS0_14default_configENS1_25transform_config_selectorIlLb1EEEZNS1_14transform_implILb1ES3_S5_PlS7_NS0_8identityIlEEEE10hipError_tT2_T3_mT4_P12ihipStream_tbEUlT_E_NS1_11comp_targetILNS1_3genE3ELNS1_11target_archE908ELNS1_3gpuE7ELNS1_3repE0EEENS1_30default_config_static_selectorELNS0_4arch9wavefront6targetE0EEEvT1_ ; -- Begin function _ZN7rocprim17ROCPRIM_400000_NS6detail17trampoline_kernelINS0_14default_configENS1_25transform_config_selectorIlLb1EEEZNS1_14transform_implILb1ES3_S5_PlS7_NS0_8identityIlEEEE10hipError_tT2_T3_mT4_P12ihipStream_tbEUlT_E_NS1_11comp_targetILNS1_3genE3ELNS1_11target_archE908ELNS1_3gpuE7ELNS1_3repE0EEENS1_30default_config_static_selectorELNS0_4arch9wavefront6targetE0EEEvT1_
	.globl	_ZN7rocprim17ROCPRIM_400000_NS6detail17trampoline_kernelINS0_14default_configENS1_25transform_config_selectorIlLb1EEEZNS1_14transform_implILb1ES3_S5_PlS7_NS0_8identityIlEEEE10hipError_tT2_T3_mT4_P12ihipStream_tbEUlT_E_NS1_11comp_targetILNS1_3genE3ELNS1_11target_archE908ELNS1_3gpuE7ELNS1_3repE0EEENS1_30default_config_static_selectorELNS0_4arch9wavefront6targetE0EEEvT1_
	.p2align	8
	.type	_ZN7rocprim17ROCPRIM_400000_NS6detail17trampoline_kernelINS0_14default_configENS1_25transform_config_selectorIlLb1EEEZNS1_14transform_implILb1ES3_S5_PlS7_NS0_8identityIlEEEE10hipError_tT2_T3_mT4_P12ihipStream_tbEUlT_E_NS1_11comp_targetILNS1_3genE3ELNS1_11target_archE908ELNS1_3gpuE7ELNS1_3repE0EEENS1_30default_config_static_selectorELNS0_4arch9wavefront6targetE0EEEvT1_,@function
_ZN7rocprim17ROCPRIM_400000_NS6detail17trampoline_kernelINS0_14default_configENS1_25transform_config_selectorIlLb1EEEZNS1_14transform_implILb1ES3_S5_PlS7_NS0_8identityIlEEEE10hipError_tT2_T3_mT4_P12ihipStream_tbEUlT_E_NS1_11comp_targetILNS1_3genE3ELNS1_11target_archE908ELNS1_3gpuE7ELNS1_3repE0EEENS1_30default_config_static_selectorELNS0_4arch9wavefront6targetE0EEEvT1_: ; @_ZN7rocprim17ROCPRIM_400000_NS6detail17trampoline_kernelINS0_14default_configENS1_25transform_config_selectorIlLb1EEEZNS1_14transform_implILb1ES3_S5_PlS7_NS0_8identityIlEEEE10hipError_tT2_T3_mT4_P12ihipStream_tbEUlT_E_NS1_11comp_targetILNS1_3genE3ELNS1_11target_archE908ELNS1_3gpuE7ELNS1_3repE0EEENS1_30default_config_static_selectorELNS0_4arch9wavefront6targetE0EEEvT1_
; %bb.0:
	.section	.rodata,"a",@progbits
	.p2align	6, 0x0
	.amdhsa_kernel _ZN7rocprim17ROCPRIM_400000_NS6detail17trampoline_kernelINS0_14default_configENS1_25transform_config_selectorIlLb1EEEZNS1_14transform_implILb1ES3_S5_PlS7_NS0_8identityIlEEEE10hipError_tT2_T3_mT4_P12ihipStream_tbEUlT_E_NS1_11comp_targetILNS1_3genE3ELNS1_11target_archE908ELNS1_3gpuE7ELNS1_3repE0EEENS1_30default_config_static_selectorELNS0_4arch9wavefront6targetE0EEEvT1_
		.amdhsa_group_segment_fixed_size 0
		.amdhsa_private_segment_fixed_size 0
		.amdhsa_kernarg_size 40
		.amdhsa_user_sgpr_count 2
		.amdhsa_user_sgpr_dispatch_ptr 0
		.amdhsa_user_sgpr_queue_ptr 0
		.amdhsa_user_sgpr_kernarg_segment_ptr 1
		.amdhsa_user_sgpr_dispatch_id 0
		.amdhsa_user_sgpr_kernarg_preload_length 0
		.amdhsa_user_sgpr_kernarg_preload_offset 0
		.amdhsa_user_sgpr_private_segment_size 0
		.amdhsa_wavefront_size32 1
		.amdhsa_uses_dynamic_stack 0
		.amdhsa_enable_private_segment 0
		.amdhsa_system_sgpr_workgroup_id_x 1
		.amdhsa_system_sgpr_workgroup_id_y 0
		.amdhsa_system_sgpr_workgroup_id_z 0
		.amdhsa_system_sgpr_workgroup_info 0
		.amdhsa_system_vgpr_workitem_id 0
		.amdhsa_next_free_vgpr 1
		.amdhsa_next_free_sgpr 1
		.amdhsa_named_barrier_count 0
		.amdhsa_reserve_vcc 0
		.amdhsa_float_round_mode_32 0
		.amdhsa_float_round_mode_16_64 0
		.amdhsa_float_denorm_mode_32 3
		.amdhsa_float_denorm_mode_16_64 3
		.amdhsa_fp16_overflow 0
		.amdhsa_memory_ordered 1
		.amdhsa_forward_progress 1
		.amdhsa_inst_pref_size 0
		.amdhsa_round_robin_scheduling 0
		.amdhsa_exception_fp_ieee_invalid_op 0
		.amdhsa_exception_fp_denorm_src 0
		.amdhsa_exception_fp_ieee_div_zero 0
		.amdhsa_exception_fp_ieee_overflow 0
		.amdhsa_exception_fp_ieee_underflow 0
		.amdhsa_exception_fp_ieee_inexact 0
		.amdhsa_exception_int_div_zero 0
	.end_amdhsa_kernel
	.section	.text._ZN7rocprim17ROCPRIM_400000_NS6detail17trampoline_kernelINS0_14default_configENS1_25transform_config_selectorIlLb1EEEZNS1_14transform_implILb1ES3_S5_PlS7_NS0_8identityIlEEEE10hipError_tT2_T3_mT4_P12ihipStream_tbEUlT_E_NS1_11comp_targetILNS1_3genE3ELNS1_11target_archE908ELNS1_3gpuE7ELNS1_3repE0EEENS1_30default_config_static_selectorELNS0_4arch9wavefront6targetE0EEEvT1_,"axG",@progbits,_ZN7rocprim17ROCPRIM_400000_NS6detail17trampoline_kernelINS0_14default_configENS1_25transform_config_selectorIlLb1EEEZNS1_14transform_implILb1ES3_S5_PlS7_NS0_8identityIlEEEE10hipError_tT2_T3_mT4_P12ihipStream_tbEUlT_E_NS1_11comp_targetILNS1_3genE3ELNS1_11target_archE908ELNS1_3gpuE7ELNS1_3repE0EEENS1_30default_config_static_selectorELNS0_4arch9wavefront6targetE0EEEvT1_,comdat
.Lfunc_end1042:
	.size	_ZN7rocprim17ROCPRIM_400000_NS6detail17trampoline_kernelINS0_14default_configENS1_25transform_config_selectorIlLb1EEEZNS1_14transform_implILb1ES3_S5_PlS7_NS0_8identityIlEEEE10hipError_tT2_T3_mT4_P12ihipStream_tbEUlT_E_NS1_11comp_targetILNS1_3genE3ELNS1_11target_archE908ELNS1_3gpuE7ELNS1_3repE0EEENS1_30default_config_static_selectorELNS0_4arch9wavefront6targetE0EEEvT1_, .Lfunc_end1042-_ZN7rocprim17ROCPRIM_400000_NS6detail17trampoline_kernelINS0_14default_configENS1_25transform_config_selectorIlLb1EEEZNS1_14transform_implILb1ES3_S5_PlS7_NS0_8identityIlEEEE10hipError_tT2_T3_mT4_P12ihipStream_tbEUlT_E_NS1_11comp_targetILNS1_3genE3ELNS1_11target_archE908ELNS1_3gpuE7ELNS1_3repE0EEENS1_30default_config_static_selectorELNS0_4arch9wavefront6targetE0EEEvT1_
                                        ; -- End function
	.set _ZN7rocprim17ROCPRIM_400000_NS6detail17trampoline_kernelINS0_14default_configENS1_25transform_config_selectorIlLb1EEEZNS1_14transform_implILb1ES3_S5_PlS7_NS0_8identityIlEEEE10hipError_tT2_T3_mT4_P12ihipStream_tbEUlT_E_NS1_11comp_targetILNS1_3genE3ELNS1_11target_archE908ELNS1_3gpuE7ELNS1_3repE0EEENS1_30default_config_static_selectorELNS0_4arch9wavefront6targetE0EEEvT1_.num_vgpr, 0
	.set _ZN7rocprim17ROCPRIM_400000_NS6detail17trampoline_kernelINS0_14default_configENS1_25transform_config_selectorIlLb1EEEZNS1_14transform_implILb1ES3_S5_PlS7_NS0_8identityIlEEEE10hipError_tT2_T3_mT4_P12ihipStream_tbEUlT_E_NS1_11comp_targetILNS1_3genE3ELNS1_11target_archE908ELNS1_3gpuE7ELNS1_3repE0EEENS1_30default_config_static_selectorELNS0_4arch9wavefront6targetE0EEEvT1_.num_agpr, 0
	.set _ZN7rocprim17ROCPRIM_400000_NS6detail17trampoline_kernelINS0_14default_configENS1_25transform_config_selectorIlLb1EEEZNS1_14transform_implILb1ES3_S5_PlS7_NS0_8identityIlEEEE10hipError_tT2_T3_mT4_P12ihipStream_tbEUlT_E_NS1_11comp_targetILNS1_3genE3ELNS1_11target_archE908ELNS1_3gpuE7ELNS1_3repE0EEENS1_30default_config_static_selectorELNS0_4arch9wavefront6targetE0EEEvT1_.numbered_sgpr, 0
	.set _ZN7rocprim17ROCPRIM_400000_NS6detail17trampoline_kernelINS0_14default_configENS1_25transform_config_selectorIlLb1EEEZNS1_14transform_implILb1ES3_S5_PlS7_NS0_8identityIlEEEE10hipError_tT2_T3_mT4_P12ihipStream_tbEUlT_E_NS1_11comp_targetILNS1_3genE3ELNS1_11target_archE908ELNS1_3gpuE7ELNS1_3repE0EEENS1_30default_config_static_selectorELNS0_4arch9wavefront6targetE0EEEvT1_.num_named_barrier, 0
	.set _ZN7rocprim17ROCPRIM_400000_NS6detail17trampoline_kernelINS0_14default_configENS1_25transform_config_selectorIlLb1EEEZNS1_14transform_implILb1ES3_S5_PlS7_NS0_8identityIlEEEE10hipError_tT2_T3_mT4_P12ihipStream_tbEUlT_E_NS1_11comp_targetILNS1_3genE3ELNS1_11target_archE908ELNS1_3gpuE7ELNS1_3repE0EEENS1_30default_config_static_selectorELNS0_4arch9wavefront6targetE0EEEvT1_.private_seg_size, 0
	.set _ZN7rocprim17ROCPRIM_400000_NS6detail17trampoline_kernelINS0_14default_configENS1_25transform_config_selectorIlLb1EEEZNS1_14transform_implILb1ES3_S5_PlS7_NS0_8identityIlEEEE10hipError_tT2_T3_mT4_P12ihipStream_tbEUlT_E_NS1_11comp_targetILNS1_3genE3ELNS1_11target_archE908ELNS1_3gpuE7ELNS1_3repE0EEENS1_30default_config_static_selectorELNS0_4arch9wavefront6targetE0EEEvT1_.uses_vcc, 0
	.set _ZN7rocprim17ROCPRIM_400000_NS6detail17trampoline_kernelINS0_14default_configENS1_25transform_config_selectorIlLb1EEEZNS1_14transform_implILb1ES3_S5_PlS7_NS0_8identityIlEEEE10hipError_tT2_T3_mT4_P12ihipStream_tbEUlT_E_NS1_11comp_targetILNS1_3genE3ELNS1_11target_archE908ELNS1_3gpuE7ELNS1_3repE0EEENS1_30default_config_static_selectorELNS0_4arch9wavefront6targetE0EEEvT1_.uses_flat_scratch, 0
	.set _ZN7rocprim17ROCPRIM_400000_NS6detail17trampoline_kernelINS0_14default_configENS1_25transform_config_selectorIlLb1EEEZNS1_14transform_implILb1ES3_S5_PlS7_NS0_8identityIlEEEE10hipError_tT2_T3_mT4_P12ihipStream_tbEUlT_E_NS1_11comp_targetILNS1_3genE3ELNS1_11target_archE908ELNS1_3gpuE7ELNS1_3repE0EEENS1_30default_config_static_selectorELNS0_4arch9wavefront6targetE0EEEvT1_.has_dyn_sized_stack, 0
	.set _ZN7rocprim17ROCPRIM_400000_NS6detail17trampoline_kernelINS0_14default_configENS1_25transform_config_selectorIlLb1EEEZNS1_14transform_implILb1ES3_S5_PlS7_NS0_8identityIlEEEE10hipError_tT2_T3_mT4_P12ihipStream_tbEUlT_E_NS1_11comp_targetILNS1_3genE3ELNS1_11target_archE908ELNS1_3gpuE7ELNS1_3repE0EEENS1_30default_config_static_selectorELNS0_4arch9wavefront6targetE0EEEvT1_.has_recursion, 0
	.set _ZN7rocprim17ROCPRIM_400000_NS6detail17trampoline_kernelINS0_14default_configENS1_25transform_config_selectorIlLb1EEEZNS1_14transform_implILb1ES3_S5_PlS7_NS0_8identityIlEEEE10hipError_tT2_T3_mT4_P12ihipStream_tbEUlT_E_NS1_11comp_targetILNS1_3genE3ELNS1_11target_archE908ELNS1_3gpuE7ELNS1_3repE0EEENS1_30default_config_static_selectorELNS0_4arch9wavefront6targetE0EEEvT1_.has_indirect_call, 0
	.section	.AMDGPU.csdata,"",@progbits
; Kernel info:
; codeLenInByte = 0
; TotalNumSgprs: 0
; NumVgprs: 0
; ScratchSize: 0
; MemoryBound: 0
; FloatMode: 240
; IeeeMode: 1
; LDSByteSize: 0 bytes/workgroup (compile time only)
; SGPRBlocks: 0
; VGPRBlocks: 0
; NumSGPRsForWavesPerEU: 1
; NumVGPRsForWavesPerEU: 1
; NamedBarCnt: 0
; Occupancy: 16
; WaveLimiterHint : 0
; COMPUTE_PGM_RSRC2:SCRATCH_EN: 0
; COMPUTE_PGM_RSRC2:USER_SGPR: 2
; COMPUTE_PGM_RSRC2:TRAP_HANDLER: 0
; COMPUTE_PGM_RSRC2:TGID_X_EN: 1
; COMPUTE_PGM_RSRC2:TGID_Y_EN: 0
; COMPUTE_PGM_RSRC2:TGID_Z_EN: 0
; COMPUTE_PGM_RSRC2:TIDIG_COMP_CNT: 0
	.section	.text._ZN7rocprim17ROCPRIM_400000_NS6detail17trampoline_kernelINS0_14default_configENS1_25transform_config_selectorIlLb1EEEZNS1_14transform_implILb1ES3_S5_PlS7_NS0_8identityIlEEEE10hipError_tT2_T3_mT4_P12ihipStream_tbEUlT_E_NS1_11comp_targetILNS1_3genE2ELNS1_11target_archE906ELNS1_3gpuE6ELNS1_3repE0EEENS1_30default_config_static_selectorELNS0_4arch9wavefront6targetE0EEEvT1_,"axG",@progbits,_ZN7rocprim17ROCPRIM_400000_NS6detail17trampoline_kernelINS0_14default_configENS1_25transform_config_selectorIlLb1EEEZNS1_14transform_implILb1ES3_S5_PlS7_NS0_8identityIlEEEE10hipError_tT2_T3_mT4_P12ihipStream_tbEUlT_E_NS1_11comp_targetILNS1_3genE2ELNS1_11target_archE906ELNS1_3gpuE6ELNS1_3repE0EEENS1_30default_config_static_selectorELNS0_4arch9wavefront6targetE0EEEvT1_,comdat
	.protected	_ZN7rocprim17ROCPRIM_400000_NS6detail17trampoline_kernelINS0_14default_configENS1_25transform_config_selectorIlLb1EEEZNS1_14transform_implILb1ES3_S5_PlS7_NS0_8identityIlEEEE10hipError_tT2_T3_mT4_P12ihipStream_tbEUlT_E_NS1_11comp_targetILNS1_3genE2ELNS1_11target_archE906ELNS1_3gpuE6ELNS1_3repE0EEENS1_30default_config_static_selectorELNS0_4arch9wavefront6targetE0EEEvT1_ ; -- Begin function _ZN7rocprim17ROCPRIM_400000_NS6detail17trampoline_kernelINS0_14default_configENS1_25transform_config_selectorIlLb1EEEZNS1_14transform_implILb1ES3_S5_PlS7_NS0_8identityIlEEEE10hipError_tT2_T3_mT4_P12ihipStream_tbEUlT_E_NS1_11comp_targetILNS1_3genE2ELNS1_11target_archE906ELNS1_3gpuE6ELNS1_3repE0EEENS1_30default_config_static_selectorELNS0_4arch9wavefront6targetE0EEEvT1_
	.globl	_ZN7rocprim17ROCPRIM_400000_NS6detail17trampoline_kernelINS0_14default_configENS1_25transform_config_selectorIlLb1EEEZNS1_14transform_implILb1ES3_S5_PlS7_NS0_8identityIlEEEE10hipError_tT2_T3_mT4_P12ihipStream_tbEUlT_E_NS1_11comp_targetILNS1_3genE2ELNS1_11target_archE906ELNS1_3gpuE6ELNS1_3repE0EEENS1_30default_config_static_selectorELNS0_4arch9wavefront6targetE0EEEvT1_
	.p2align	8
	.type	_ZN7rocprim17ROCPRIM_400000_NS6detail17trampoline_kernelINS0_14default_configENS1_25transform_config_selectorIlLb1EEEZNS1_14transform_implILb1ES3_S5_PlS7_NS0_8identityIlEEEE10hipError_tT2_T3_mT4_P12ihipStream_tbEUlT_E_NS1_11comp_targetILNS1_3genE2ELNS1_11target_archE906ELNS1_3gpuE6ELNS1_3repE0EEENS1_30default_config_static_selectorELNS0_4arch9wavefront6targetE0EEEvT1_,@function
_ZN7rocprim17ROCPRIM_400000_NS6detail17trampoline_kernelINS0_14default_configENS1_25transform_config_selectorIlLb1EEEZNS1_14transform_implILb1ES3_S5_PlS7_NS0_8identityIlEEEE10hipError_tT2_T3_mT4_P12ihipStream_tbEUlT_E_NS1_11comp_targetILNS1_3genE2ELNS1_11target_archE906ELNS1_3gpuE6ELNS1_3repE0EEENS1_30default_config_static_selectorELNS0_4arch9wavefront6targetE0EEEvT1_: ; @_ZN7rocprim17ROCPRIM_400000_NS6detail17trampoline_kernelINS0_14default_configENS1_25transform_config_selectorIlLb1EEEZNS1_14transform_implILb1ES3_S5_PlS7_NS0_8identityIlEEEE10hipError_tT2_T3_mT4_P12ihipStream_tbEUlT_E_NS1_11comp_targetILNS1_3genE2ELNS1_11target_archE906ELNS1_3gpuE6ELNS1_3repE0EEENS1_30default_config_static_selectorELNS0_4arch9wavefront6targetE0EEEvT1_
; %bb.0:
	.section	.rodata,"a",@progbits
	.p2align	6, 0x0
	.amdhsa_kernel _ZN7rocprim17ROCPRIM_400000_NS6detail17trampoline_kernelINS0_14default_configENS1_25transform_config_selectorIlLb1EEEZNS1_14transform_implILb1ES3_S5_PlS7_NS0_8identityIlEEEE10hipError_tT2_T3_mT4_P12ihipStream_tbEUlT_E_NS1_11comp_targetILNS1_3genE2ELNS1_11target_archE906ELNS1_3gpuE6ELNS1_3repE0EEENS1_30default_config_static_selectorELNS0_4arch9wavefront6targetE0EEEvT1_
		.amdhsa_group_segment_fixed_size 0
		.amdhsa_private_segment_fixed_size 0
		.amdhsa_kernarg_size 40
		.amdhsa_user_sgpr_count 2
		.amdhsa_user_sgpr_dispatch_ptr 0
		.amdhsa_user_sgpr_queue_ptr 0
		.amdhsa_user_sgpr_kernarg_segment_ptr 1
		.amdhsa_user_sgpr_dispatch_id 0
		.amdhsa_user_sgpr_kernarg_preload_length 0
		.amdhsa_user_sgpr_kernarg_preload_offset 0
		.amdhsa_user_sgpr_private_segment_size 0
		.amdhsa_wavefront_size32 1
		.amdhsa_uses_dynamic_stack 0
		.amdhsa_enable_private_segment 0
		.amdhsa_system_sgpr_workgroup_id_x 1
		.amdhsa_system_sgpr_workgroup_id_y 0
		.amdhsa_system_sgpr_workgroup_id_z 0
		.amdhsa_system_sgpr_workgroup_info 0
		.amdhsa_system_vgpr_workitem_id 0
		.amdhsa_next_free_vgpr 1
		.amdhsa_next_free_sgpr 1
		.amdhsa_named_barrier_count 0
		.amdhsa_reserve_vcc 0
		.amdhsa_float_round_mode_32 0
		.amdhsa_float_round_mode_16_64 0
		.amdhsa_float_denorm_mode_32 3
		.amdhsa_float_denorm_mode_16_64 3
		.amdhsa_fp16_overflow 0
		.amdhsa_memory_ordered 1
		.amdhsa_forward_progress 1
		.amdhsa_inst_pref_size 0
		.amdhsa_round_robin_scheduling 0
		.amdhsa_exception_fp_ieee_invalid_op 0
		.amdhsa_exception_fp_denorm_src 0
		.amdhsa_exception_fp_ieee_div_zero 0
		.amdhsa_exception_fp_ieee_overflow 0
		.amdhsa_exception_fp_ieee_underflow 0
		.amdhsa_exception_fp_ieee_inexact 0
		.amdhsa_exception_int_div_zero 0
	.end_amdhsa_kernel
	.section	.text._ZN7rocprim17ROCPRIM_400000_NS6detail17trampoline_kernelINS0_14default_configENS1_25transform_config_selectorIlLb1EEEZNS1_14transform_implILb1ES3_S5_PlS7_NS0_8identityIlEEEE10hipError_tT2_T3_mT4_P12ihipStream_tbEUlT_E_NS1_11comp_targetILNS1_3genE2ELNS1_11target_archE906ELNS1_3gpuE6ELNS1_3repE0EEENS1_30default_config_static_selectorELNS0_4arch9wavefront6targetE0EEEvT1_,"axG",@progbits,_ZN7rocprim17ROCPRIM_400000_NS6detail17trampoline_kernelINS0_14default_configENS1_25transform_config_selectorIlLb1EEEZNS1_14transform_implILb1ES3_S5_PlS7_NS0_8identityIlEEEE10hipError_tT2_T3_mT4_P12ihipStream_tbEUlT_E_NS1_11comp_targetILNS1_3genE2ELNS1_11target_archE906ELNS1_3gpuE6ELNS1_3repE0EEENS1_30default_config_static_selectorELNS0_4arch9wavefront6targetE0EEEvT1_,comdat
.Lfunc_end1043:
	.size	_ZN7rocprim17ROCPRIM_400000_NS6detail17trampoline_kernelINS0_14default_configENS1_25transform_config_selectorIlLb1EEEZNS1_14transform_implILb1ES3_S5_PlS7_NS0_8identityIlEEEE10hipError_tT2_T3_mT4_P12ihipStream_tbEUlT_E_NS1_11comp_targetILNS1_3genE2ELNS1_11target_archE906ELNS1_3gpuE6ELNS1_3repE0EEENS1_30default_config_static_selectorELNS0_4arch9wavefront6targetE0EEEvT1_, .Lfunc_end1043-_ZN7rocprim17ROCPRIM_400000_NS6detail17trampoline_kernelINS0_14default_configENS1_25transform_config_selectorIlLb1EEEZNS1_14transform_implILb1ES3_S5_PlS7_NS0_8identityIlEEEE10hipError_tT2_T3_mT4_P12ihipStream_tbEUlT_E_NS1_11comp_targetILNS1_3genE2ELNS1_11target_archE906ELNS1_3gpuE6ELNS1_3repE0EEENS1_30default_config_static_selectorELNS0_4arch9wavefront6targetE0EEEvT1_
                                        ; -- End function
	.set _ZN7rocprim17ROCPRIM_400000_NS6detail17trampoline_kernelINS0_14default_configENS1_25transform_config_selectorIlLb1EEEZNS1_14transform_implILb1ES3_S5_PlS7_NS0_8identityIlEEEE10hipError_tT2_T3_mT4_P12ihipStream_tbEUlT_E_NS1_11comp_targetILNS1_3genE2ELNS1_11target_archE906ELNS1_3gpuE6ELNS1_3repE0EEENS1_30default_config_static_selectorELNS0_4arch9wavefront6targetE0EEEvT1_.num_vgpr, 0
	.set _ZN7rocprim17ROCPRIM_400000_NS6detail17trampoline_kernelINS0_14default_configENS1_25transform_config_selectorIlLb1EEEZNS1_14transform_implILb1ES3_S5_PlS7_NS0_8identityIlEEEE10hipError_tT2_T3_mT4_P12ihipStream_tbEUlT_E_NS1_11comp_targetILNS1_3genE2ELNS1_11target_archE906ELNS1_3gpuE6ELNS1_3repE0EEENS1_30default_config_static_selectorELNS0_4arch9wavefront6targetE0EEEvT1_.num_agpr, 0
	.set _ZN7rocprim17ROCPRIM_400000_NS6detail17trampoline_kernelINS0_14default_configENS1_25transform_config_selectorIlLb1EEEZNS1_14transform_implILb1ES3_S5_PlS7_NS0_8identityIlEEEE10hipError_tT2_T3_mT4_P12ihipStream_tbEUlT_E_NS1_11comp_targetILNS1_3genE2ELNS1_11target_archE906ELNS1_3gpuE6ELNS1_3repE0EEENS1_30default_config_static_selectorELNS0_4arch9wavefront6targetE0EEEvT1_.numbered_sgpr, 0
	.set _ZN7rocprim17ROCPRIM_400000_NS6detail17trampoline_kernelINS0_14default_configENS1_25transform_config_selectorIlLb1EEEZNS1_14transform_implILb1ES3_S5_PlS7_NS0_8identityIlEEEE10hipError_tT2_T3_mT4_P12ihipStream_tbEUlT_E_NS1_11comp_targetILNS1_3genE2ELNS1_11target_archE906ELNS1_3gpuE6ELNS1_3repE0EEENS1_30default_config_static_selectorELNS0_4arch9wavefront6targetE0EEEvT1_.num_named_barrier, 0
	.set _ZN7rocprim17ROCPRIM_400000_NS6detail17trampoline_kernelINS0_14default_configENS1_25transform_config_selectorIlLb1EEEZNS1_14transform_implILb1ES3_S5_PlS7_NS0_8identityIlEEEE10hipError_tT2_T3_mT4_P12ihipStream_tbEUlT_E_NS1_11comp_targetILNS1_3genE2ELNS1_11target_archE906ELNS1_3gpuE6ELNS1_3repE0EEENS1_30default_config_static_selectorELNS0_4arch9wavefront6targetE0EEEvT1_.private_seg_size, 0
	.set _ZN7rocprim17ROCPRIM_400000_NS6detail17trampoline_kernelINS0_14default_configENS1_25transform_config_selectorIlLb1EEEZNS1_14transform_implILb1ES3_S5_PlS7_NS0_8identityIlEEEE10hipError_tT2_T3_mT4_P12ihipStream_tbEUlT_E_NS1_11comp_targetILNS1_3genE2ELNS1_11target_archE906ELNS1_3gpuE6ELNS1_3repE0EEENS1_30default_config_static_selectorELNS0_4arch9wavefront6targetE0EEEvT1_.uses_vcc, 0
	.set _ZN7rocprim17ROCPRIM_400000_NS6detail17trampoline_kernelINS0_14default_configENS1_25transform_config_selectorIlLb1EEEZNS1_14transform_implILb1ES3_S5_PlS7_NS0_8identityIlEEEE10hipError_tT2_T3_mT4_P12ihipStream_tbEUlT_E_NS1_11comp_targetILNS1_3genE2ELNS1_11target_archE906ELNS1_3gpuE6ELNS1_3repE0EEENS1_30default_config_static_selectorELNS0_4arch9wavefront6targetE0EEEvT1_.uses_flat_scratch, 0
	.set _ZN7rocprim17ROCPRIM_400000_NS6detail17trampoline_kernelINS0_14default_configENS1_25transform_config_selectorIlLb1EEEZNS1_14transform_implILb1ES3_S5_PlS7_NS0_8identityIlEEEE10hipError_tT2_T3_mT4_P12ihipStream_tbEUlT_E_NS1_11comp_targetILNS1_3genE2ELNS1_11target_archE906ELNS1_3gpuE6ELNS1_3repE0EEENS1_30default_config_static_selectorELNS0_4arch9wavefront6targetE0EEEvT1_.has_dyn_sized_stack, 0
	.set _ZN7rocprim17ROCPRIM_400000_NS6detail17trampoline_kernelINS0_14default_configENS1_25transform_config_selectorIlLb1EEEZNS1_14transform_implILb1ES3_S5_PlS7_NS0_8identityIlEEEE10hipError_tT2_T3_mT4_P12ihipStream_tbEUlT_E_NS1_11comp_targetILNS1_3genE2ELNS1_11target_archE906ELNS1_3gpuE6ELNS1_3repE0EEENS1_30default_config_static_selectorELNS0_4arch9wavefront6targetE0EEEvT1_.has_recursion, 0
	.set _ZN7rocprim17ROCPRIM_400000_NS6detail17trampoline_kernelINS0_14default_configENS1_25transform_config_selectorIlLb1EEEZNS1_14transform_implILb1ES3_S5_PlS7_NS0_8identityIlEEEE10hipError_tT2_T3_mT4_P12ihipStream_tbEUlT_E_NS1_11comp_targetILNS1_3genE2ELNS1_11target_archE906ELNS1_3gpuE6ELNS1_3repE0EEENS1_30default_config_static_selectorELNS0_4arch9wavefront6targetE0EEEvT1_.has_indirect_call, 0
	.section	.AMDGPU.csdata,"",@progbits
; Kernel info:
; codeLenInByte = 0
; TotalNumSgprs: 0
; NumVgprs: 0
; ScratchSize: 0
; MemoryBound: 0
; FloatMode: 240
; IeeeMode: 1
; LDSByteSize: 0 bytes/workgroup (compile time only)
; SGPRBlocks: 0
; VGPRBlocks: 0
; NumSGPRsForWavesPerEU: 1
; NumVGPRsForWavesPerEU: 1
; NamedBarCnt: 0
; Occupancy: 16
; WaveLimiterHint : 0
; COMPUTE_PGM_RSRC2:SCRATCH_EN: 0
; COMPUTE_PGM_RSRC2:USER_SGPR: 2
; COMPUTE_PGM_RSRC2:TRAP_HANDLER: 0
; COMPUTE_PGM_RSRC2:TGID_X_EN: 1
; COMPUTE_PGM_RSRC2:TGID_Y_EN: 0
; COMPUTE_PGM_RSRC2:TGID_Z_EN: 0
; COMPUTE_PGM_RSRC2:TIDIG_COMP_CNT: 0
	.section	.text._ZN7rocprim17ROCPRIM_400000_NS6detail17trampoline_kernelINS0_14default_configENS1_25transform_config_selectorIlLb1EEEZNS1_14transform_implILb1ES3_S5_PlS7_NS0_8identityIlEEEE10hipError_tT2_T3_mT4_P12ihipStream_tbEUlT_E_NS1_11comp_targetILNS1_3genE9ELNS1_11target_archE1100ELNS1_3gpuE3ELNS1_3repE0EEENS1_30default_config_static_selectorELNS0_4arch9wavefront6targetE0EEEvT1_,"axG",@progbits,_ZN7rocprim17ROCPRIM_400000_NS6detail17trampoline_kernelINS0_14default_configENS1_25transform_config_selectorIlLb1EEEZNS1_14transform_implILb1ES3_S5_PlS7_NS0_8identityIlEEEE10hipError_tT2_T3_mT4_P12ihipStream_tbEUlT_E_NS1_11comp_targetILNS1_3genE9ELNS1_11target_archE1100ELNS1_3gpuE3ELNS1_3repE0EEENS1_30default_config_static_selectorELNS0_4arch9wavefront6targetE0EEEvT1_,comdat
	.protected	_ZN7rocprim17ROCPRIM_400000_NS6detail17trampoline_kernelINS0_14default_configENS1_25transform_config_selectorIlLb1EEEZNS1_14transform_implILb1ES3_S5_PlS7_NS0_8identityIlEEEE10hipError_tT2_T3_mT4_P12ihipStream_tbEUlT_E_NS1_11comp_targetILNS1_3genE9ELNS1_11target_archE1100ELNS1_3gpuE3ELNS1_3repE0EEENS1_30default_config_static_selectorELNS0_4arch9wavefront6targetE0EEEvT1_ ; -- Begin function _ZN7rocprim17ROCPRIM_400000_NS6detail17trampoline_kernelINS0_14default_configENS1_25transform_config_selectorIlLb1EEEZNS1_14transform_implILb1ES3_S5_PlS7_NS0_8identityIlEEEE10hipError_tT2_T3_mT4_P12ihipStream_tbEUlT_E_NS1_11comp_targetILNS1_3genE9ELNS1_11target_archE1100ELNS1_3gpuE3ELNS1_3repE0EEENS1_30default_config_static_selectorELNS0_4arch9wavefront6targetE0EEEvT1_
	.globl	_ZN7rocprim17ROCPRIM_400000_NS6detail17trampoline_kernelINS0_14default_configENS1_25transform_config_selectorIlLb1EEEZNS1_14transform_implILb1ES3_S5_PlS7_NS0_8identityIlEEEE10hipError_tT2_T3_mT4_P12ihipStream_tbEUlT_E_NS1_11comp_targetILNS1_3genE9ELNS1_11target_archE1100ELNS1_3gpuE3ELNS1_3repE0EEENS1_30default_config_static_selectorELNS0_4arch9wavefront6targetE0EEEvT1_
	.p2align	8
	.type	_ZN7rocprim17ROCPRIM_400000_NS6detail17trampoline_kernelINS0_14default_configENS1_25transform_config_selectorIlLb1EEEZNS1_14transform_implILb1ES3_S5_PlS7_NS0_8identityIlEEEE10hipError_tT2_T3_mT4_P12ihipStream_tbEUlT_E_NS1_11comp_targetILNS1_3genE9ELNS1_11target_archE1100ELNS1_3gpuE3ELNS1_3repE0EEENS1_30default_config_static_selectorELNS0_4arch9wavefront6targetE0EEEvT1_,@function
_ZN7rocprim17ROCPRIM_400000_NS6detail17trampoline_kernelINS0_14default_configENS1_25transform_config_selectorIlLb1EEEZNS1_14transform_implILb1ES3_S5_PlS7_NS0_8identityIlEEEE10hipError_tT2_T3_mT4_P12ihipStream_tbEUlT_E_NS1_11comp_targetILNS1_3genE9ELNS1_11target_archE1100ELNS1_3gpuE3ELNS1_3repE0EEENS1_30default_config_static_selectorELNS0_4arch9wavefront6targetE0EEEvT1_: ; @_ZN7rocprim17ROCPRIM_400000_NS6detail17trampoline_kernelINS0_14default_configENS1_25transform_config_selectorIlLb1EEEZNS1_14transform_implILb1ES3_S5_PlS7_NS0_8identityIlEEEE10hipError_tT2_T3_mT4_P12ihipStream_tbEUlT_E_NS1_11comp_targetILNS1_3genE9ELNS1_11target_archE1100ELNS1_3gpuE3ELNS1_3repE0EEENS1_30default_config_static_selectorELNS0_4arch9wavefront6targetE0EEEvT1_
; %bb.0:
	.section	.rodata,"a",@progbits
	.p2align	6, 0x0
	.amdhsa_kernel _ZN7rocprim17ROCPRIM_400000_NS6detail17trampoline_kernelINS0_14default_configENS1_25transform_config_selectorIlLb1EEEZNS1_14transform_implILb1ES3_S5_PlS7_NS0_8identityIlEEEE10hipError_tT2_T3_mT4_P12ihipStream_tbEUlT_E_NS1_11comp_targetILNS1_3genE9ELNS1_11target_archE1100ELNS1_3gpuE3ELNS1_3repE0EEENS1_30default_config_static_selectorELNS0_4arch9wavefront6targetE0EEEvT1_
		.amdhsa_group_segment_fixed_size 0
		.amdhsa_private_segment_fixed_size 0
		.amdhsa_kernarg_size 40
		.amdhsa_user_sgpr_count 2
		.amdhsa_user_sgpr_dispatch_ptr 0
		.amdhsa_user_sgpr_queue_ptr 0
		.amdhsa_user_sgpr_kernarg_segment_ptr 1
		.amdhsa_user_sgpr_dispatch_id 0
		.amdhsa_user_sgpr_kernarg_preload_length 0
		.amdhsa_user_sgpr_kernarg_preload_offset 0
		.amdhsa_user_sgpr_private_segment_size 0
		.amdhsa_wavefront_size32 1
		.amdhsa_uses_dynamic_stack 0
		.amdhsa_enable_private_segment 0
		.amdhsa_system_sgpr_workgroup_id_x 1
		.amdhsa_system_sgpr_workgroup_id_y 0
		.amdhsa_system_sgpr_workgroup_id_z 0
		.amdhsa_system_sgpr_workgroup_info 0
		.amdhsa_system_vgpr_workitem_id 0
		.amdhsa_next_free_vgpr 1
		.amdhsa_next_free_sgpr 1
		.amdhsa_named_barrier_count 0
		.amdhsa_reserve_vcc 0
		.amdhsa_float_round_mode_32 0
		.amdhsa_float_round_mode_16_64 0
		.amdhsa_float_denorm_mode_32 3
		.amdhsa_float_denorm_mode_16_64 3
		.amdhsa_fp16_overflow 0
		.amdhsa_memory_ordered 1
		.amdhsa_forward_progress 1
		.amdhsa_inst_pref_size 0
		.amdhsa_round_robin_scheduling 0
		.amdhsa_exception_fp_ieee_invalid_op 0
		.amdhsa_exception_fp_denorm_src 0
		.amdhsa_exception_fp_ieee_div_zero 0
		.amdhsa_exception_fp_ieee_overflow 0
		.amdhsa_exception_fp_ieee_underflow 0
		.amdhsa_exception_fp_ieee_inexact 0
		.amdhsa_exception_int_div_zero 0
	.end_amdhsa_kernel
	.section	.text._ZN7rocprim17ROCPRIM_400000_NS6detail17trampoline_kernelINS0_14default_configENS1_25transform_config_selectorIlLb1EEEZNS1_14transform_implILb1ES3_S5_PlS7_NS0_8identityIlEEEE10hipError_tT2_T3_mT4_P12ihipStream_tbEUlT_E_NS1_11comp_targetILNS1_3genE9ELNS1_11target_archE1100ELNS1_3gpuE3ELNS1_3repE0EEENS1_30default_config_static_selectorELNS0_4arch9wavefront6targetE0EEEvT1_,"axG",@progbits,_ZN7rocprim17ROCPRIM_400000_NS6detail17trampoline_kernelINS0_14default_configENS1_25transform_config_selectorIlLb1EEEZNS1_14transform_implILb1ES3_S5_PlS7_NS0_8identityIlEEEE10hipError_tT2_T3_mT4_P12ihipStream_tbEUlT_E_NS1_11comp_targetILNS1_3genE9ELNS1_11target_archE1100ELNS1_3gpuE3ELNS1_3repE0EEENS1_30default_config_static_selectorELNS0_4arch9wavefront6targetE0EEEvT1_,comdat
.Lfunc_end1044:
	.size	_ZN7rocprim17ROCPRIM_400000_NS6detail17trampoline_kernelINS0_14default_configENS1_25transform_config_selectorIlLb1EEEZNS1_14transform_implILb1ES3_S5_PlS7_NS0_8identityIlEEEE10hipError_tT2_T3_mT4_P12ihipStream_tbEUlT_E_NS1_11comp_targetILNS1_3genE9ELNS1_11target_archE1100ELNS1_3gpuE3ELNS1_3repE0EEENS1_30default_config_static_selectorELNS0_4arch9wavefront6targetE0EEEvT1_, .Lfunc_end1044-_ZN7rocprim17ROCPRIM_400000_NS6detail17trampoline_kernelINS0_14default_configENS1_25transform_config_selectorIlLb1EEEZNS1_14transform_implILb1ES3_S5_PlS7_NS0_8identityIlEEEE10hipError_tT2_T3_mT4_P12ihipStream_tbEUlT_E_NS1_11comp_targetILNS1_3genE9ELNS1_11target_archE1100ELNS1_3gpuE3ELNS1_3repE0EEENS1_30default_config_static_selectorELNS0_4arch9wavefront6targetE0EEEvT1_
                                        ; -- End function
	.set _ZN7rocprim17ROCPRIM_400000_NS6detail17trampoline_kernelINS0_14default_configENS1_25transform_config_selectorIlLb1EEEZNS1_14transform_implILb1ES3_S5_PlS7_NS0_8identityIlEEEE10hipError_tT2_T3_mT4_P12ihipStream_tbEUlT_E_NS1_11comp_targetILNS1_3genE9ELNS1_11target_archE1100ELNS1_3gpuE3ELNS1_3repE0EEENS1_30default_config_static_selectorELNS0_4arch9wavefront6targetE0EEEvT1_.num_vgpr, 0
	.set _ZN7rocprim17ROCPRIM_400000_NS6detail17trampoline_kernelINS0_14default_configENS1_25transform_config_selectorIlLb1EEEZNS1_14transform_implILb1ES3_S5_PlS7_NS0_8identityIlEEEE10hipError_tT2_T3_mT4_P12ihipStream_tbEUlT_E_NS1_11comp_targetILNS1_3genE9ELNS1_11target_archE1100ELNS1_3gpuE3ELNS1_3repE0EEENS1_30default_config_static_selectorELNS0_4arch9wavefront6targetE0EEEvT1_.num_agpr, 0
	.set _ZN7rocprim17ROCPRIM_400000_NS6detail17trampoline_kernelINS0_14default_configENS1_25transform_config_selectorIlLb1EEEZNS1_14transform_implILb1ES3_S5_PlS7_NS0_8identityIlEEEE10hipError_tT2_T3_mT4_P12ihipStream_tbEUlT_E_NS1_11comp_targetILNS1_3genE9ELNS1_11target_archE1100ELNS1_3gpuE3ELNS1_3repE0EEENS1_30default_config_static_selectorELNS0_4arch9wavefront6targetE0EEEvT1_.numbered_sgpr, 0
	.set _ZN7rocprim17ROCPRIM_400000_NS6detail17trampoline_kernelINS0_14default_configENS1_25transform_config_selectorIlLb1EEEZNS1_14transform_implILb1ES3_S5_PlS7_NS0_8identityIlEEEE10hipError_tT2_T3_mT4_P12ihipStream_tbEUlT_E_NS1_11comp_targetILNS1_3genE9ELNS1_11target_archE1100ELNS1_3gpuE3ELNS1_3repE0EEENS1_30default_config_static_selectorELNS0_4arch9wavefront6targetE0EEEvT1_.num_named_barrier, 0
	.set _ZN7rocprim17ROCPRIM_400000_NS6detail17trampoline_kernelINS0_14default_configENS1_25transform_config_selectorIlLb1EEEZNS1_14transform_implILb1ES3_S5_PlS7_NS0_8identityIlEEEE10hipError_tT2_T3_mT4_P12ihipStream_tbEUlT_E_NS1_11comp_targetILNS1_3genE9ELNS1_11target_archE1100ELNS1_3gpuE3ELNS1_3repE0EEENS1_30default_config_static_selectorELNS0_4arch9wavefront6targetE0EEEvT1_.private_seg_size, 0
	.set _ZN7rocprim17ROCPRIM_400000_NS6detail17trampoline_kernelINS0_14default_configENS1_25transform_config_selectorIlLb1EEEZNS1_14transform_implILb1ES3_S5_PlS7_NS0_8identityIlEEEE10hipError_tT2_T3_mT4_P12ihipStream_tbEUlT_E_NS1_11comp_targetILNS1_3genE9ELNS1_11target_archE1100ELNS1_3gpuE3ELNS1_3repE0EEENS1_30default_config_static_selectorELNS0_4arch9wavefront6targetE0EEEvT1_.uses_vcc, 0
	.set _ZN7rocprim17ROCPRIM_400000_NS6detail17trampoline_kernelINS0_14default_configENS1_25transform_config_selectorIlLb1EEEZNS1_14transform_implILb1ES3_S5_PlS7_NS0_8identityIlEEEE10hipError_tT2_T3_mT4_P12ihipStream_tbEUlT_E_NS1_11comp_targetILNS1_3genE9ELNS1_11target_archE1100ELNS1_3gpuE3ELNS1_3repE0EEENS1_30default_config_static_selectorELNS0_4arch9wavefront6targetE0EEEvT1_.uses_flat_scratch, 0
	.set _ZN7rocprim17ROCPRIM_400000_NS6detail17trampoline_kernelINS0_14default_configENS1_25transform_config_selectorIlLb1EEEZNS1_14transform_implILb1ES3_S5_PlS7_NS0_8identityIlEEEE10hipError_tT2_T3_mT4_P12ihipStream_tbEUlT_E_NS1_11comp_targetILNS1_3genE9ELNS1_11target_archE1100ELNS1_3gpuE3ELNS1_3repE0EEENS1_30default_config_static_selectorELNS0_4arch9wavefront6targetE0EEEvT1_.has_dyn_sized_stack, 0
	.set _ZN7rocprim17ROCPRIM_400000_NS6detail17trampoline_kernelINS0_14default_configENS1_25transform_config_selectorIlLb1EEEZNS1_14transform_implILb1ES3_S5_PlS7_NS0_8identityIlEEEE10hipError_tT2_T3_mT4_P12ihipStream_tbEUlT_E_NS1_11comp_targetILNS1_3genE9ELNS1_11target_archE1100ELNS1_3gpuE3ELNS1_3repE0EEENS1_30default_config_static_selectorELNS0_4arch9wavefront6targetE0EEEvT1_.has_recursion, 0
	.set _ZN7rocprim17ROCPRIM_400000_NS6detail17trampoline_kernelINS0_14default_configENS1_25transform_config_selectorIlLb1EEEZNS1_14transform_implILb1ES3_S5_PlS7_NS0_8identityIlEEEE10hipError_tT2_T3_mT4_P12ihipStream_tbEUlT_E_NS1_11comp_targetILNS1_3genE9ELNS1_11target_archE1100ELNS1_3gpuE3ELNS1_3repE0EEENS1_30default_config_static_selectorELNS0_4arch9wavefront6targetE0EEEvT1_.has_indirect_call, 0
	.section	.AMDGPU.csdata,"",@progbits
; Kernel info:
; codeLenInByte = 0
; TotalNumSgprs: 0
; NumVgprs: 0
; ScratchSize: 0
; MemoryBound: 0
; FloatMode: 240
; IeeeMode: 1
; LDSByteSize: 0 bytes/workgroup (compile time only)
; SGPRBlocks: 0
; VGPRBlocks: 0
; NumSGPRsForWavesPerEU: 1
; NumVGPRsForWavesPerEU: 1
; NamedBarCnt: 0
; Occupancy: 16
; WaveLimiterHint : 0
; COMPUTE_PGM_RSRC2:SCRATCH_EN: 0
; COMPUTE_PGM_RSRC2:USER_SGPR: 2
; COMPUTE_PGM_RSRC2:TRAP_HANDLER: 0
; COMPUTE_PGM_RSRC2:TGID_X_EN: 1
; COMPUTE_PGM_RSRC2:TGID_Y_EN: 0
; COMPUTE_PGM_RSRC2:TGID_Z_EN: 0
; COMPUTE_PGM_RSRC2:TIDIG_COMP_CNT: 0
	.section	.text._ZN7rocprim17ROCPRIM_400000_NS6detail17trampoline_kernelINS0_14default_configENS1_25transform_config_selectorIlLb1EEEZNS1_14transform_implILb1ES3_S5_PlS7_NS0_8identityIlEEEE10hipError_tT2_T3_mT4_P12ihipStream_tbEUlT_E_NS1_11comp_targetILNS1_3genE8ELNS1_11target_archE1030ELNS1_3gpuE2ELNS1_3repE0EEENS1_30default_config_static_selectorELNS0_4arch9wavefront6targetE0EEEvT1_,"axG",@progbits,_ZN7rocprim17ROCPRIM_400000_NS6detail17trampoline_kernelINS0_14default_configENS1_25transform_config_selectorIlLb1EEEZNS1_14transform_implILb1ES3_S5_PlS7_NS0_8identityIlEEEE10hipError_tT2_T3_mT4_P12ihipStream_tbEUlT_E_NS1_11comp_targetILNS1_3genE8ELNS1_11target_archE1030ELNS1_3gpuE2ELNS1_3repE0EEENS1_30default_config_static_selectorELNS0_4arch9wavefront6targetE0EEEvT1_,comdat
	.protected	_ZN7rocprim17ROCPRIM_400000_NS6detail17trampoline_kernelINS0_14default_configENS1_25transform_config_selectorIlLb1EEEZNS1_14transform_implILb1ES3_S5_PlS7_NS0_8identityIlEEEE10hipError_tT2_T3_mT4_P12ihipStream_tbEUlT_E_NS1_11comp_targetILNS1_3genE8ELNS1_11target_archE1030ELNS1_3gpuE2ELNS1_3repE0EEENS1_30default_config_static_selectorELNS0_4arch9wavefront6targetE0EEEvT1_ ; -- Begin function _ZN7rocprim17ROCPRIM_400000_NS6detail17trampoline_kernelINS0_14default_configENS1_25transform_config_selectorIlLb1EEEZNS1_14transform_implILb1ES3_S5_PlS7_NS0_8identityIlEEEE10hipError_tT2_T3_mT4_P12ihipStream_tbEUlT_E_NS1_11comp_targetILNS1_3genE8ELNS1_11target_archE1030ELNS1_3gpuE2ELNS1_3repE0EEENS1_30default_config_static_selectorELNS0_4arch9wavefront6targetE0EEEvT1_
	.globl	_ZN7rocprim17ROCPRIM_400000_NS6detail17trampoline_kernelINS0_14default_configENS1_25transform_config_selectorIlLb1EEEZNS1_14transform_implILb1ES3_S5_PlS7_NS0_8identityIlEEEE10hipError_tT2_T3_mT4_P12ihipStream_tbEUlT_E_NS1_11comp_targetILNS1_3genE8ELNS1_11target_archE1030ELNS1_3gpuE2ELNS1_3repE0EEENS1_30default_config_static_selectorELNS0_4arch9wavefront6targetE0EEEvT1_
	.p2align	8
	.type	_ZN7rocprim17ROCPRIM_400000_NS6detail17trampoline_kernelINS0_14default_configENS1_25transform_config_selectorIlLb1EEEZNS1_14transform_implILb1ES3_S5_PlS7_NS0_8identityIlEEEE10hipError_tT2_T3_mT4_P12ihipStream_tbEUlT_E_NS1_11comp_targetILNS1_3genE8ELNS1_11target_archE1030ELNS1_3gpuE2ELNS1_3repE0EEENS1_30default_config_static_selectorELNS0_4arch9wavefront6targetE0EEEvT1_,@function
_ZN7rocprim17ROCPRIM_400000_NS6detail17trampoline_kernelINS0_14default_configENS1_25transform_config_selectorIlLb1EEEZNS1_14transform_implILb1ES3_S5_PlS7_NS0_8identityIlEEEE10hipError_tT2_T3_mT4_P12ihipStream_tbEUlT_E_NS1_11comp_targetILNS1_3genE8ELNS1_11target_archE1030ELNS1_3gpuE2ELNS1_3repE0EEENS1_30default_config_static_selectorELNS0_4arch9wavefront6targetE0EEEvT1_: ; @_ZN7rocprim17ROCPRIM_400000_NS6detail17trampoline_kernelINS0_14default_configENS1_25transform_config_selectorIlLb1EEEZNS1_14transform_implILb1ES3_S5_PlS7_NS0_8identityIlEEEE10hipError_tT2_T3_mT4_P12ihipStream_tbEUlT_E_NS1_11comp_targetILNS1_3genE8ELNS1_11target_archE1030ELNS1_3gpuE2ELNS1_3repE0EEENS1_30default_config_static_selectorELNS0_4arch9wavefront6targetE0EEEvT1_
; %bb.0:
	.section	.rodata,"a",@progbits
	.p2align	6, 0x0
	.amdhsa_kernel _ZN7rocprim17ROCPRIM_400000_NS6detail17trampoline_kernelINS0_14default_configENS1_25transform_config_selectorIlLb1EEEZNS1_14transform_implILb1ES3_S5_PlS7_NS0_8identityIlEEEE10hipError_tT2_T3_mT4_P12ihipStream_tbEUlT_E_NS1_11comp_targetILNS1_3genE8ELNS1_11target_archE1030ELNS1_3gpuE2ELNS1_3repE0EEENS1_30default_config_static_selectorELNS0_4arch9wavefront6targetE0EEEvT1_
		.amdhsa_group_segment_fixed_size 0
		.amdhsa_private_segment_fixed_size 0
		.amdhsa_kernarg_size 40
		.amdhsa_user_sgpr_count 2
		.amdhsa_user_sgpr_dispatch_ptr 0
		.amdhsa_user_sgpr_queue_ptr 0
		.amdhsa_user_sgpr_kernarg_segment_ptr 1
		.amdhsa_user_sgpr_dispatch_id 0
		.amdhsa_user_sgpr_kernarg_preload_length 0
		.amdhsa_user_sgpr_kernarg_preload_offset 0
		.amdhsa_user_sgpr_private_segment_size 0
		.amdhsa_wavefront_size32 1
		.amdhsa_uses_dynamic_stack 0
		.amdhsa_enable_private_segment 0
		.amdhsa_system_sgpr_workgroup_id_x 1
		.amdhsa_system_sgpr_workgroup_id_y 0
		.amdhsa_system_sgpr_workgroup_id_z 0
		.amdhsa_system_sgpr_workgroup_info 0
		.amdhsa_system_vgpr_workitem_id 0
		.amdhsa_next_free_vgpr 1
		.amdhsa_next_free_sgpr 1
		.amdhsa_named_barrier_count 0
		.amdhsa_reserve_vcc 0
		.amdhsa_float_round_mode_32 0
		.amdhsa_float_round_mode_16_64 0
		.amdhsa_float_denorm_mode_32 3
		.amdhsa_float_denorm_mode_16_64 3
		.amdhsa_fp16_overflow 0
		.amdhsa_memory_ordered 1
		.amdhsa_forward_progress 1
		.amdhsa_inst_pref_size 0
		.amdhsa_round_robin_scheduling 0
		.amdhsa_exception_fp_ieee_invalid_op 0
		.amdhsa_exception_fp_denorm_src 0
		.amdhsa_exception_fp_ieee_div_zero 0
		.amdhsa_exception_fp_ieee_overflow 0
		.amdhsa_exception_fp_ieee_underflow 0
		.amdhsa_exception_fp_ieee_inexact 0
		.amdhsa_exception_int_div_zero 0
	.end_amdhsa_kernel
	.section	.text._ZN7rocprim17ROCPRIM_400000_NS6detail17trampoline_kernelINS0_14default_configENS1_25transform_config_selectorIlLb1EEEZNS1_14transform_implILb1ES3_S5_PlS7_NS0_8identityIlEEEE10hipError_tT2_T3_mT4_P12ihipStream_tbEUlT_E_NS1_11comp_targetILNS1_3genE8ELNS1_11target_archE1030ELNS1_3gpuE2ELNS1_3repE0EEENS1_30default_config_static_selectorELNS0_4arch9wavefront6targetE0EEEvT1_,"axG",@progbits,_ZN7rocprim17ROCPRIM_400000_NS6detail17trampoline_kernelINS0_14default_configENS1_25transform_config_selectorIlLb1EEEZNS1_14transform_implILb1ES3_S5_PlS7_NS0_8identityIlEEEE10hipError_tT2_T3_mT4_P12ihipStream_tbEUlT_E_NS1_11comp_targetILNS1_3genE8ELNS1_11target_archE1030ELNS1_3gpuE2ELNS1_3repE0EEENS1_30default_config_static_selectorELNS0_4arch9wavefront6targetE0EEEvT1_,comdat
.Lfunc_end1045:
	.size	_ZN7rocprim17ROCPRIM_400000_NS6detail17trampoline_kernelINS0_14default_configENS1_25transform_config_selectorIlLb1EEEZNS1_14transform_implILb1ES3_S5_PlS7_NS0_8identityIlEEEE10hipError_tT2_T3_mT4_P12ihipStream_tbEUlT_E_NS1_11comp_targetILNS1_3genE8ELNS1_11target_archE1030ELNS1_3gpuE2ELNS1_3repE0EEENS1_30default_config_static_selectorELNS0_4arch9wavefront6targetE0EEEvT1_, .Lfunc_end1045-_ZN7rocprim17ROCPRIM_400000_NS6detail17trampoline_kernelINS0_14default_configENS1_25transform_config_selectorIlLb1EEEZNS1_14transform_implILb1ES3_S5_PlS7_NS0_8identityIlEEEE10hipError_tT2_T3_mT4_P12ihipStream_tbEUlT_E_NS1_11comp_targetILNS1_3genE8ELNS1_11target_archE1030ELNS1_3gpuE2ELNS1_3repE0EEENS1_30default_config_static_selectorELNS0_4arch9wavefront6targetE0EEEvT1_
                                        ; -- End function
	.set _ZN7rocprim17ROCPRIM_400000_NS6detail17trampoline_kernelINS0_14default_configENS1_25transform_config_selectorIlLb1EEEZNS1_14transform_implILb1ES3_S5_PlS7_NS0_8identityIlEEEE10hipError_tT2_T3_mT4_P12ihipStream_tbEUlT_E_NS1_11comp_targetILNS1_3genE8ELNS1_11target_archE1030ELNS1_3gpuE2ELNS1_3repE0EEENS1_30default_config_static_selectorELNS0_4arch9wavefront6targetE0EEEvT1_.num_vgpr, 0
	.set _ZN7rocprim17ROCPRIM_400000_NS6detail17trampoline_kernelINS0_14default_configENS1_25transform_config_selectorIlLb1EEEZNS1_14transform_implILb1ES3_S5_PlS7_NS0_8identityIlEEEE10hipError_tT2_T3_mT4_P12ihipStream_tbEUlT_E_NS1_11comp_targetILNS1_3genE8ELNS1_11target_archE1030ELNS1_3gpuE2ELNS1_3repE0EEENS1_30default_config_static_selectorELNS0_4arch9wavefront6targetE0EEEvT1_.num_agpr, 0
	.set _ZN7rocprim17ROCPRIM_400000_NS6detail17trampoline_kernelINS0_14default_configENS1_25transform_config_selectorIlLb1EEEZNS1_14transform_implILb1ES3_S5_PlS7_NS0_8identityIlEEEE10hipError_tT2_T3_mT4_P12ihipStream_tbEUlT_E_NS1_11comp_targetILNS1_3genE8ELNS1_11target_archE1030ELNS1_3gpuE2ELNS1_3repE0EEENS1_30default_config_static_selectorELNS0_4arch9wavefront6targetE0EEEvT1_.numbered_sgpr, 0
	.set _ZN7rocprim17ROCPRIM_400000_NS6detail17trampoline_kernelINS0_14default_configENS1_25transform_config_selectorIlLb1EEEZNS1_14transform_implILb1ES3_S5_PlS7_NS0_8identityIlEEEE10hipError_tT2_T3_mT4_P12ihipStream_tbEUlT_E_NS1_11comp_targetILNS1_3genE8ELNS1_11target_archE1030ELNS1_3gpuE2ELNS1_3repE0EEENS1_30default_config_static_selectorELNS0_4arch9wavefront6targetE0EEEvT1_.num_named_barrier, 0
	.set _ZN7rocprim17ROCPRIM_400000_NS6detail17trampoline_kernelINS0_14default_configENS1_25transform_config_selectorIlLb1EEEZNS1_14transform_implILb1ES3_S5_PlS7_NS0_8identityIlEEEE10hipError_tT2_T3_mT4_P12ihipStream_tbEUlT_E_NS1_11comp_targetILNS1_3genE8ELNS1_11target_archE1030ELNS1_3gpuE2ELNS1_3repE0EEENS1_30default_config_static_selectorELNS0_4arch9wavefront6targetE0EEEvT1_.private_seg_size, 0
	.set _ZN7rocprim17ROCPRIM_400000_NS6detail17trampoline_kernelINS0_14default_configENS1_25transform_config_selectorIlLb1EEEZNS1_14transform_implILb1ES3_S5_PlS7_NS0_8identityIlEEEE10hipError_tT2_T3_mT4_P12ihipStream_tbEUlT_E_NS1_11comp_targetILNS1_3genE8ELNS1_11target_archE1030ELNS1_3gpuE2ELNS1_3repE0EEENS1_30default_config_static_selectorELNS0_4arch9wavefront6targetE0EEEvT1_.uses_vcc, 0
	.set _ZN7rocprim17ROCPRIM_400000_NS6detail17trampoline_kernelINS0_14default_configENS1_25transform_config_selectorIlLb1EEEZNS1_14transform_implILb1ES3_S5_PlS7_NS0_8identityIlEEEE10hipError_tT2_T3_mT4_P12ihipStream_tbEUlT_E_NS1_11comp_targetILNS1_3genE8ELNS1_11target_archE1030ELNS1_3gpuE2ELNS1_3repE0EEENS1_30default_config_static_selectorELNS0_4arch9wavefront6targetE0EEEvT1_.uses_flat_scratch, 0
	.set _ZN7rocprim17ROCPRIM_400000_NS6detail17trampoline_kernelINS0_14default_configENS1_25transform_config_selectorIlLb1EEEZNS1_14transform_implILb1ES3_S5_PlS7_NS0_8identityIlEEEE10hipError_tT2_T3_mT4_P12ihipStream_tbEUlT_E_NS1_11comp_targetILNS1_3genE8ELNS1_11target_archE1030ELNS1_3gpuE2ELNS1_3repE0EEENS1_30default_config_static_selectorELNS0_4arch9wavefront6targetE0EEEvT1_.has_dyn_sized_stack, 0
	.set _ZN7rocprim17ROCPRIM_400000_NS6detail17trampoline_kernelINS0_14default_configENS1_25transform_config_selectorIlLb1EEEZNS1_14transform_implILb1ES3_S5_PlS7_NS0_8identityIlEEEE10hipError_tT2_T3_mT4_P12ihipStream_tbEUlT_E_NS1_11comp_targetILNS1_3genE8ELNS1_11target_archE1030ELNS1_3gpuE2ELNS1_3repE0EEENS1_30default_config_static_selectorELNS0_4arch9wavefront6targetE0EEEvT1_.has_recursion, 0
	.set _ZN7rocprim17ROCPRIM_400000_NS6detail17trampoline_kernelINS0_14default_configENS1_25transform_config_selectorIlLb1EEEZNS1_14transform_implILb1ES3_S5_PlS7_NS0_8identityIlEEEE10hipError_tT2_T3_mT4_P12ihipStream_tbEUlT_E_NS1_11comp_targetILNS1_3genE8ELNS1_11target_archE1030ELNS1_3gpuE2ELNS1_3repE0EEENS1_30default_config_static_selectorELNS0_4arch9wavefront6targetE0EEEvT1_.has_indirect_call, 0
	.section	.AMDGPU.csdata,"",@progbits
; Kernel info:
; codeLenInByte = 0
; TotalNumSgprs: 0
; NumVgprs: 0
; ScratchSize: 0
; MemoryBound: 0
; FloatMode: 240
; IeeeMode: 1
; LDSByteSize: 0 bytes/workgroup (compile time only)
; SGPRBlocks: 0
; VGPRBlocks: 0
; NumSGPRsForWavesPerEU: 1
; NumVGPRsForWavesPerEU: 1
; NamedBarCnt: 0
; Occupancy: 16
; WaveLimiterHint : 0
; COMPUTE_PGM_RSRC2:SCRATCH_EN: 0
; COMPUTE_PGM_RSRC2:USER_SGPR: 2
; COMPUTE_PGM_RSRC2:TRAP_HANDLER: 0
; COMPUTE_PGM_RSRC2:TGID_X_EN: 1
; COMPUTE_PGM_RSRC2:TGID_Y_EN: 0
; COMPUTE_PGM_RSRC2:TGID_Z_EN: 0
; COMPUTE_PGM_RSRC2:TIDIG_COMP_CNT: 0
	.section	.text._ZN7rocprim17ROCPRIM_400000_NS6detail17trampoline_kernelINS0_14default_configENS1_38merge_sort_block_merge_config_selectorIlNS0_10empty_typeEEEZZNS1_27merge_sort_block_merge_implIS3_PlPS5_jNS1_19radix_merge_compareILb1ELb1ElNS0_19identity_decomposerEEEEE10hipError_tT0_T1_T2_jT3_P12ihipStream_tbPNSt15iterator_traitsISE_E10value_typeEPNSK_ISF_E10value_typeEPSG_NS1_7vsmem_tEENKUlT_SE_SF_SG_E_clIS8_S8_S9_S9_EESD_ST_SE_SF_SG_EUlST_E_NS1_11comp_targetILNS1_3genE0ELNS1_11target_archE4294967295ELNS1_3gpuE0ELNS1_3repE0EEENS1_48merge_mergepath_partition_config_static_selectorELNS0_4arch9wavefront6targetE0EEEvSF_,"axG",@progbits,_ZN7rocprim17ROCPRIM_400000_NS6detail17trampoline_kernelINS0_14default_configENS1_38merge_sort_block_merge_config_selectorIlNS0_10empty_typeEEEZZNS1_27merge_sort_block_merge_implIS3_PlPS5_jNS1_19radix_merge_compareILb1ELb1ElNS0_19identity_decomposerEEEEE10hipError_tT0_T1_T2_jT3_P12ihipStream_tbPNSt15iterator_traitsISE_E10value_typeEPNSK_ISF_E10value_typeEPSG_NS1_7vsmem_tEENKUlT_SE_SF_SG_E_clIS8_S8_S9_S9_EESD_ST_SE_SF_SG_EUlST_E_NS1_11comp_targetILNS1_3genE0ELNS1_11target_archE4294967295ELNS1_3gpuE0ELNS1_3repE0EEENS1_48merge_mergepath_partition_config_static_selectorELNS0_4arch9wavefront6targetE0EEEvSF_,comdat
	.protected	_ZN7rocprim17ROCPRIM_400000_NS6detail17trampoline_kernelINS0_14default_configENS1_38merge_sort_block_merge_config_selectorIlNS0_10empty_typeEEEZZNS1_27merge_sort_block_merge_implIS3_PlPS5_jNS1_19radix_merge_compareILb1ELb1ElNS0_19identity_decomposerEEEEE10hipError_tT0_T1_T2_jT3_P12ihipStream_tbPNSt15iterator_traitsISE_E10value_typeEPNSK_ISF_E10value_typeEPSG_NS1_7vsmem_tEENKUlT_SE_SF_SG_E_clIS8_S8_S9_S9_EESD_ST_SE_SF_SG_EUlST_E_NS1_11comp_targetILNS1_3genE0ELNS1_11target_archE4294967295ELNS1_3gpuE0ELNS1_3repE0EEENS1_48merge_mergepath_partition_config_static_selectorELNS0_4arch9wavefront6targetE0EEEvSF_ ; -- Begin function _ZN7rocprim17ROCPRIM_400000_NS6detail17trampoline_kernelINS0_14default_configENS1_38merge_sort_block_merge_config_selectorIlNS0_10empty_typeEEEZZNS1_27merge_sort_block_merge_implIS3_PlPS5_jNS1_19radix_merge_compareILb1ELb1ElNS0_19identity_decomposerEEEEE10hipError_tT0_T1_T2_jT3_P12ihipStream_tbPNSt15iterator_traitsISE_E10value_typeEPNSK_ISF_E10value_typeEPSG_NS1_7vsmem_tEENKUlT_SE_SF_SG_E_clIS8_S8_S9_S9_EESD_ST_SE_SF_SG_EUlST_E_NS1_11comp_targetILNS1_3genE0ELNS1_11target_archE4294967295ELNS1_3gpuE0ELNS1_3repE0EEENS1_48merge_mergepath_partition_config_static_selectorELNS0_4arch9wavefront6targetE0EEEvSF_
	.globl	_ZN7rocprim17ROCPRIM_400000_NS6detail17trampoline_kernelINS0_14default_configENS1_38merge_sort_block_merge_config_selectorIlNS0_10empty_typeEEEZZNS1_27merge_sort_block_merge_implIS3_PlPS5_jNS1_19radix_merge_compareILb1ELb1ElNS0_19identity_decomposerEEEEE10hipError_tT0_T1_T2_jT3_P12ihipStream_tbPNSt15iterator_traitsISE_E10value_typeEPNSK_ISF_E10value_typeEPSG_NS1_7vsmem_tEENKUlT_SE_SF_SG_E_clIS8_S8_S9_S9_EESD_ST_SE_SF_SG_EUlST_E_NS1_11comp_targetILNS1_3genE0ELNS1_11target_archE4294967295ELNS1_3gpuE0ELNS1_3repE0EEENS1_48merge_mergepath_partition_config_static_selectorELNS0_4arch9wavefront6targetE0EEEvSF_
	.p2align	8
	.type	_ZN7rocprim17ROCPRIM_400000_NS6detail17trampoline_kernelINS0_14default_configENS1_38merge_sort_block_merge_config_selectorIlNS0_10empty_typeEEEZZNS1_27merge_sort_block_merge_implIS3_PlPS5_jNS1_19radix_merge_compareILb1ELb1ElNS0_19identity_decomposerEEEEE10hipError_tT0_T1_T2_jT3_P12ihipStream_tbPNSt15iterator_traitsISE_E10value_typeEPNSK_ISF_E10value_typeEPSG_NS1_7vsmem_tEENKUlT_SE_SF_SG_E_clIS8_S8_S9_S9_EESD_ST_SE_SF_SG_EUlST_E_NS1_11comp_targetILNS1_3genE0ELNS1_11target_archE4294967295ELNS1_3gpuE0ELNS1_3repE0EEENS1_48merge_mergepath_partition_config_static_selectorELNS0_4arch9wavefront6targetE0EEEvSF_,@function
_ZN7rocprim17ROCPRIM_400000_NS6detail17trampoline_kernelINS0_14default_configENS1_38merge_sort_block_merge_config_selectorIlNS0_10empty_typeEEEZZNS1_27merge_sort_block_merge_implIS3_PlPS5_jNS1_19radix_merge_compareILb1ELb1ElNS0_19identity_decomposerEEEEE10hipError_tT0_T1_T2_jT3_P12ihipStream_tbPNSt15iterator_traitsISE_E10value_typeEPNSK_ISF_E10value_typeEPSG_NS1_7vsmem_tEENKUlT_SE_SF_SG_E_clIS8_S8_S9_S9_EESD_ST_SE_SF_SG_EUlST_E_NS1_11comp_targetILNS1_3genE0ELNS1_11target_archE4294967295ELNS1_3gpuE0ELNS1_3repE0EEENS1_48merge_mergepath_partition_config_static_selectorELNS0_4arch9wavefront6targetE0EEEvSF_: ; @_ZN7rocprim17ROCPRIM_400000_NS6detail17trampoline_kernelINS0_14default_configENS1_38merge_sort_block_merge_config_selectorIlNS0_10empty_typeEEEZZNS1_27merge_sort_block_merge_implIS3_PlPS5_jNS1_19radix_merge_compareILb1ELb1ElNS0_19identity_decomposerEEEEE10hipError_tT0_T1_T2_jT3_P12ihipStream_tbPNSt15iterator_traitsISE_E10value_typeEPNSK_ISF_E10value_typeEPSG_NS1_7vsmem_tEENKUlT_SE_SF_SG_E_clIS8_S8_S9_S9_EESD_ST_SE_SF_SG_EUlST_E_NS1_11comp_targetILNS1_3genE0ELNS1_11target_archE4294967295ELNS1_3gpuE0ELNS1_3repE0EEENS1_48merge_mergepath_partition_config_static_selectorELNS0_4arch9wavefront6targetE0EEEvSF_
; %bb.0:
	s_load_b32 s2, s[0:1], 0x0
	s_bfe_u32 s3, ttmp6, 0x4000c
	s_and_b32 s4, ttmp6, 15
	s_add_co_i32 s3, s3, 1
	s_getreg_b32 s5, hwreg(HW_REG_IB_STS2, 6, 4)
	s_mul_i32 s3, ttmp9, s3
	s_delay_alu instid0(SALU_CYCLE_1) | instskip(SKIP_2) | instid1(SALU_CYCLE_1)
	s_add_co_i32 s4, s4, s3
	s_cmp_eq_u32 s5, 0
	s_cselect_b32 s3, ttmp9, s4
	v_lshl_or_b32 v8, s3, 7, v0
	s_wait_kmcnt 0x0
	s_delay_alu instid0(VALU_DEP_1)
	v_cmp_gt_u32_e32 vcc_lo, s2, v8
	s_and_saveexec_b32 s2, vcc_lo
	s_cbranch_execz .LBB1046_6
; %bb.1:
	s_load_b64 s[2:3], s[0:1], 0x4
	s_wait_kmcnt 0x0
	s_lshr_b32 s4, s2, 9
	s_delay_alu instid0(SALU_CYCLE_1) | instskip(NEXT) | instid1(SALU_CYCLE_1)
	s_and_b32 s4, s4, 0x7ffffe
	s_sub_co_i32 s5, 0, s4
	s_add_co_i32 s4, s4, -1
	s_delay_alu instid0(SALU_CYCLE_1) | instskip(SKIP_2) | instid1(VALU_DEP_1)
	v_and_b32_e32 v1, s4, v8
	v_and_b32_e32 v0, s5, v8
	s_load_b128 s[4:7], s[0:1], 0x18
	v_dual_lshlrev_b32 v1, 10, v1 :: v_dual_lshlrev_b32 v0, 10, v0
	s_delay_alu instid0(VALU_DEP_1) | instskip(SKIP_1) | instid1(VALU_DEP_2)
	v_add_min_u32_e64 v2, v0, s2, s3
	v_min_u32_e32 v0, s3, v0
	v_add_min_u32_e64 v3, v2, s2, s3
	s_mov_b32 s2, exec_lo
	s_delay_alu instid0(VALU_DEP_1) | instskip(NEXT) | instid1(VALU_DEP_1)
	v_dual_sub_nc_u32 v4, v3, v0 :: v_dual_sub_nc_u32 v3, v3, v2
	v_min_u32_e32 v10, v4, v1
	v_sub_nc_u32_e32 v1, v2, v0
	s_delay_alu instid0(VALU_DEP_2) | instskip(NEXT) | instid1(VALU_DEP_2)
	v_sub_nc_u32_e64 v9, v10, v3 clamp
	v_min_u32_e32 v11, v10, v1
	s_delay_alu instid0(VALU_DEP_1)
	v_cmpx_lt_u32_e64 v9, v11
	s_cbranch_execz .LBB1046_5
; %bb.2:
	s_wait_xcnt 0x0
	s_load_b64 s[0:1], s[0:1], 0x10
	v_mov_b32_e32 v3, 0
	s_delay_alu instid0(VALU_DEP_1) | instskip(SKIP_1) | instid1(VALU_DEP_1)
	v_mov_b32_e32 v1, v3
	s_wait_kmcnt 0x0
	v_lshl_add_u64 v[4:5], v[0:1], 3, s[0:1]
	v_lshl_add_u64 v[6:7], v[2:3], 3, s[0:1]
	s_mov_b32 s0, 0
.LBB1046_3:                             ; =>This Inner Loop Header: Depth=1
	v_add_nc_u32_e32 v1, v11, v9
	s_delay_alu instid0(VALU_DEP_1) | instskip(NEXT) | instid1(VALU_DEP_1)
	v_dual_mov_b32 v13, v3 :: v_dual_lshrrev_b32 v2, 1, v1
	v_xad_u32 v12, v2, -1, v10
	v_lshl_add_u64 v[14:15], v[2:3], 3, v[4:5]
	v_add_nc_u32_e32 v1, 1, v2
	s_delay_alu instid0(VALU_DEP_3)
	v_lshl_add_u64 v[12:13], v[12:13], 3, v[6:7]
	s_clause 0x1
	global_load_b64 v[16:17], v[14:15], off
	global_load_b64 v[18:19], v[12:13], off
	s_wait_loadcnt 0x1
	s_wait_xcnt 0x0
	v_and_b32_e32 v13, s5, v17
	v_and_b32_e32 v12, s4, v16
	s_wait_loadcnt 0x0
	v_and_b32_e32 v15, s5, v19
	v_and_b32_e32 v14, s4, v18
	s_delay_alu instid0(VALU_DEP_1) | instskip(SKIP_1) | instid1(VALU_DEP_1)
	v_cmp_gt_i64_e32 vcc_lo, v[14:15], v[12:13]
	v_dual_cndmask_b32 v11, v11, v2, vcc_lo :: v_dual_cndmask_b32 v9, v1, v9, vcc_lo
	v_cmp_ge_u32_e32 vcc_lo, v9, v11
	s_or_b32 s0, vcc_lo, s0
	s_delay_alu instid0(SALU_CYCLE_1)
	s_and_not1_b32 exec_lo, exec_lo, s0
	s_cbranch_execnz .LBB1046_3
; %bb.4:
	s_or_b32 exec_lo, exec_lo, s0
.LBB1046_5:
	s_delay_alu instid0(SALU_CYCLE_1)
	s_or_b32 exec_lo, exec_lo, s2
	v_add_nc_u32_e32 v0, v9, v0
	s_wait_kmcnt 0x0
	global_store_b32 v8, v0, s[6:7] scale_offset
.LBB1046_6:
	s_endpgm
	.section	.rodata,"a",@progbits
	.p2align	6, 0x0
	.amdhsa_kernel _ZN7rocprim17ROCPRIM_400000_NS6detail17trampoline_kernelINS0_14default_configENS1_38merge_sort_block_merge_config_selectorIlNS0_10empty_typeEEEZZNS1_27merge_sort_block_merge_implIS3_PlPS5_jNS1_19radix_merge_compareILb1ELb1ElNS0_19identity_decomposerEEEEE10hipError_tT0_T1_T2_jT3_P12ihipStream_tbPNSt15iterator_traitsISE_E10value_typeEPNSK_ISF_E10value_typeEPSG_NS1_7vsmem_tEENKUlT_SE_SF_SG_E_clIS8_S8_S9_S9_EESD_ST_SE_SF_SG_EUlST_E_NS1_11comp_targetILNS1_3genE0ELNS1_11target_archE4294967295ELNS1_3gpuE0ELNS1_3repE0EEENS1_48merge_mergepath_partition_config_static_selectorELNS0_4arch9wavefront6targetE0EEEvSF_
		.amdhsa_group_segment_fixed_size 0
		.amdhsa_private_segment_fixed_size 0
		.amdhsa_kernarg_size 40
		.amdhsa_user_sgpr_count 2
		.amdhsa_user_sgpr_dispatch_ptr 0
		.amdhsa_user_sgpr_queue_ptr 0
		.amdhsa_user_sgpr_kernarg_segment_ptr 1
		.amdhsa_user_sgpr_dispatch_id 0
		.amdhsa_user_sgpr_kernarg_preload_length 0
		.amdhsa_user_sgpr_kernarg_preload_offset 0
		.amdhsa_user_sgpr_private_segment_size 0
		.amdhsa_wavefront_size32 1
		.amdhsa_uses_dynamic_stack 0
		.amdhsa_enable_private_segment 0
		.amdhsa_system_sgpr_workgroup_id_x 1
		.amdhsa_system_sgpr_workgroup_id_y 0
		.amdhsa_system_sgpr_workgroup_id_z 0
		.amdhsa_system_sgpr_workgroup_info 0
		.amdhsa_system_vgpr_workitem_id 0
		.amdhsa_next_free_vgpr 20
		.amdhsa_next_free_sgpr 8
		.amdhsa_named_barrier_count 0
		.amdhsa_reserve_vcc 1
		.amdhsa_float_round_mode_32 0
		.amdhsa_float_round_mode_16_64 0
		.amdhsa_float_denorm_mode_32 3
		.amdhsa_float_denorm_mode_16_64 3
		.amdhsa_fp16_overflow 0
		.amdhsa_memory_ordered 1
		.amdhsa_forward_progress 1
		.amdhsa_inst_pref_size 4
		.amdhsa_round_robin_scheduling 0
		.amdhsa_exception_fp_ieee_invalid_op 0
		.amdhsa_exception_fp_denorm_src 0
		.amdhsa_exception_fp_ieee_div_zero 0
		.amdhsa_exception_fp_ieee_overflow 0
		.amdhsa_exception_fp_ieee_underflow 0
		.amdhsa_exception_fp_ieee_inexact 0
		.amdhsa_exception_int_div_zero 0
	.end_amdhsa_kernel
	.section	.text._ZN7rocprim17ROCPRIM_400000_NS6detail17trampoline_kernelINS0_14default_configENS1_38merge_sort_block_merge_config_selectorIlNS0_10empty_typeEEEZZNS1_27merge_sort_block_merge_implIS3_PlPS5_jNS1_19radix_merge_compareILb1ELb1ElNS0_19identity_decomposerEEEEE10hipError_tT0_T1_T2_jT3_P12ihipStream_tbPNSt15iterator_traitsISE_E10value_typeEPNSK_ISF_E10value_typeEPSG_NS1_7vsmem_tEENKUlT_SE_SF_SG_E_clIS8_S8_S9_S9_EESD_ST_SE_SF_SG_EUlST_E_NS1_11comp_targetILNS1_3genE0ELNS1_11target_archE4294967295ELNS1_3gpuE0ELNS1_3repE0EEENS1_48merge_mergepath_partition_config_static_selectorELNS0_4arch9wavefront6targetE0EEEvSF_,"axG",@progbits,_ZN7rocprim17ROCPRIM_400000_NS6detail17trampoline_kernelINS0_14default_configENS1_38merge_sort_block_merge_config_selectorIlNS0_10empty_typeEEEZZNS1_27merge_sort_block_merge_implIS3_PlPS5_jNS1_19radix_merge_compareILb1ELb1ElNS0_19identity_decomposerEEEEE10hipError_tT0_T1_T2_jT3_P12ihipStream_tbPNSt15iterator_traitsISE_E10value_typeEPNSK_ISF_E10value_typeEPSG_NS1_7vsmem_tEENKUlT_SE_SF_SG_E_clIS8_S8_S9_S9_EESD_ST_SE_SF_SG_EUlST_E_NS1_11comp_targetILNS1_3genE0ELNS1_11target_archE4294967295ELNS1_3gpuE0ELNS1_3repE0EEENS1_48merge_mergepath_partition_config_static_selectorELNS0_4arch9wavefront6targetE0EEEvSF_,comdat
.Lfunc_end1046:
	.size	_ZN7rocprim17ROCPRIM_400000_NS6detail17trampoline_kernelINS0_14default_configENS1_38merge_sort_block_merge_config_selectorIlNS0_10empty_typeEEEZZNS1_27merge_sort_block_merge_implIS3_PlPS5_jNS1_19radix_merge_compareILb1ELb1ElNS0_19identity_decomposerEEEEE10hipError_tT0_T1_T2_jT3_P12ihipStream_tbPNSt15iterator_traitsISE_E10value_typeEPNSK_ISF_E10value_typeEPSG_NS1_7vsmem_tEENKUlT_SE_SF_SG_E_clIS8_S8_S9_S9_EESD_ST_SE_SF_SG_EUlST_E_NS1_11comp_targetILNS1_3genE0ELNS1_11target_archE4294967295ELNS1_3gpuE0ELNS1_3repE0EEENS1_48merge_mergepath_partition_config_static_selectorELNS0_4arch9wavefront6targetE0EEEvSF_, .Lfunc_end1046-_ZN7rocprim17ROCPRIM_400000_NS6detail17trampoline_kernelINS0_14default_configENS1_38merge_sort_block_merge_config_selectorIlNS0_10empty_typeEEEZZNS1_27merge_sort_block_merge_implIS3_PlPS5_jNS1_19radix_merge_compareILb1ELb1ElNS0_19identity_decomposerEEEEE10hipError_tT0_T1_T2_jT3_P12ihipStream_tbPNSt15iterator_traitsISE_E10value_typeEPNSK_ISF_E10value_typeEPSG_NS1_7vsmem_tEENKUlT_SE_SF_SG_E_clIS8_S8_S9_S9_EESD_ST_SE_SF_SG_EUlST_E_NS1_11comp_targetILNS1_3genE0ELNS1_11target_archE4294967295ELNS1_3gpuE0ELNS1_3repE0EEENS1_48merge_mergepath_partition_config_static_selectorELNS0_4arch9wavefront6targetE0EEEvSF_
                                        ; -- End function
	.set _ZN7rocprim17ROCPRIM_400000_NS6detail17trampoline_kernelINS0_14default_configENS1_38merge_sort_block_merge_config_selectorIlNS0_10empty_typeEEEZZNS1_27merge_sort_block_merge_implIS3_PlPS5_jNS1_19radix_merge_compareILb1ELb1ElNS0_19identity_decomposerEEEEE10hipError_tT0_T1_T2_jT3_P12ihipStream_tbPNSt15iterator_traitsISE_E10value_typeEPNSK_ISF_E10value_typeEPSG_NS1_7vsmem_tEENKUlT_SE_SF_SG_E_clIS8_S8_S9_S9_EESD_ST_SE_SF_SG_EUlST_E_NS1_11comp_targetILNS1_3genE0ELNS1_11target_archE4294967295ELNS1_3gpuE0ELNS1_3repE0EEENS1_48merge_mergepath_partition_config_static_selectorELNS0_4arch9wavefront6targetE0EEEvSF_.num_vgpr, 20
	.set _ZN7rocprim17ROCPRIM_400000_NS6detail17trampoline_kernelINS0_14default_configENS1_38merge_sort_block_merge_config_selectorIlNS0_10empty_typeEEEZZNS1_27merge_sort_block_merge_implIS3_PlPS5_jNS1_19radix_merge_compareILb1ELb1ElNS0_19identity_decomposerEEEEE10hipError_tT0_T1_T2_jT3_P12ihipStream_tbPNSt15iterator_traitsISE_E10value_typeEPNSK_ISF_E10value_typeEPSG_NS1_7vsmem_tEENKUlT_SE_SF_SG_E_clIS8_S8_S9_S9_EESD_ST_SE_SF_SG_EUlST_E_NS1_11comp_targetILNS1_3genE0ELNS1_11target_archE4294967295ELNS1_3gpuE0ELNS1_3repE0EEENS1_48merge_mergepath_partition_config_static_selectorELNS0_4arch9wavefront6targetE0EEEvSF_.num_agpr, 0
	.set _ZN7rocprim17ROCPRIM_400000_NS6detail17trampoline_kernelINS0_14default_configENS1_38merge_sort_block_merge_config_selectorIlNS0_10empty_typeEEEZZNS1_27merge_sort_block_merge_implIS3_PlPS5_jNS1_19radix_merge_compareILb1ELb1ElNS0_19identity_decomposerEEEEE10hipError_tT0_T1_T2_jT3_P12ihipStream_tbPNSt15iterator_traitsISE_E10value_typeEPNSK_ISF_E10value_typeEPSG_NS1_7vsmem_tEENKUlT_SE_SF_SG_E_clIS8_S8_S9_S9_EESD_ST_SE_SF_SG_EUlST_E_NS1_11comp_targetILNS1_3genE0ELNS1_11target_archE4294967295ELNS1_3gpuE0ELNS1_3repE0EEENS1_48merge_mergepath_partition_config_static_selectorELNS0_4arch9wavefront6targetE0EEEvSF_.numbered_sgpr, 8
	.set _ZN7rocprim17ROCPRIM_400000_NS6detail17trampoline_kernelINS0_14default_configENS1_38merge_sort_block_merge_config_selectorIlNS0_10empty_typeEEEZZNS1_27merge_sort_block_merge_implIS3_PlPS5_jNS1_19radix_merge_compareILb1ELb1ElNS0_19identity_decomposerEEEEE10hipError_tT0_T1_T2_jT3_P12ihipStream_tbPNSt15iterator_traitsISE_E10value_typeEPNSK_ISF_E10value_typeEPSG_NS1_7vsmem_tEENKUlT_SE_SF_SG_E_clIS8_S8_S9_S9_EESD_ST_SE_SF_SG_EUlST_E_NS1_11comp_targetILNS1_3genE0ELNS1_11target_archE4294967295ELNS1_3gpuE0ELNS1_3repE0EEENS1_48merge_mergepath_partition_config_static_selectorELNS0_4arch9wavefront6targetE0EEEvSF_.num_named_barrier, 0
	.set _ZN7rocprim17ROCPRIM_400000_NS6detail17trampoline_kernelINS0_14default_configENS1_38merge_sort_block_merge_config_selectorIlNS0_10empty_typeEEEZZNS1_27merge_sort_block_merge_implIS3_PlPS5_jNS1_19radix_merge_compareILb1ELb1ElNS0_19identity_decomposerEEEEE10hipError_tT0_T1_T2_jT3_P12ihipStream_tbPNSt15iterator_traitsISE_E10value_typeEPNSK_ISF_E10value_typeEPSG_NS1_7vsmem_tEENKUlT_SE_SF_SG_E_clIS8_S8_S9_S9_EESD_ST_SE_SF_SG_EUlST_E_NS1_11comp_targetILNS1_3genE0ELNS1_11target_archE4294967295ELNS1_3gpuE0ELNS1_3repE0EEENS1_48merge_mergepath_partition_config_static_selectorELNS0_4arch9wavefront6targetE0EEEvSF_.private_seg_size, 0
	.set _ZN7rocprim17ROCPRIM_400000_NS6detail17trampoline_kernelINS0_14default_configENS1_38merge_sort_block_merge_config_selectorIlNS0_10empty_typeEEEZZNS1_27merge_sort_block_merge_implIS3_PlPS5_jNS1_19radix_merge_compareILb1ELb1ElNS0_19identity_decomposerEEEEE10hipError_tT0_T1_T2_jT3_P12ihipStream_tbPNSt15iterator_traitsISE_E10value_typeEPNSK_ISF_E10value_typeEPSG_NS1_7vsmem_tEENKUlT_SE_SF_SG_E_clIS8_S8_S9_S9_EESD_ST_SE_SF_SG_EUlST_E_NS1_11comp_targetILNS1_3genE0ELNS1_11target_archE4294967295ELNS1_3gpuE0ELNS1_3repE0EEENS1_48merge_mergepath_partition_config_static_selectorELNS0_4arch9wavefront6targetE0EEEvSF_.uses_vcc, 1
	.set _ZN7rocprim17ROCPRIM_400000_NS6detail17trampoline_kernelINS0_14default_configENS1_38merge_sort_block_merge_config_selectorIlNS0_10empty_typeEEEZZNS1_27merge_sort_block_merge_implIS3_PlPS5_jNS1_19radix_merge_compareILb1ELb1ElNS0_19identity_decomposerEEEEE10hipError_tT0_T1_T2_jT3_P12ihipStream_tbPNSt15iterator_traitsISE_E10value_typeEPNSK_ISF_E10value_typeEPSG_NS1_7vsmem_tEENKUlT_SE_SF_SG_E_clIS8_S8_S9_S9_EESD_ST_SE_SF_SG_EUlST_E_NS1_11comp_targetILNS1_3genE0ELNS1_11target_archE4294967295ELNS1_3gpuE0ELNS1_3repE0EEENS1_48merge_mergepath_partition_config_static_selectorELNS0_4arch9wavefront6targetE0EEEvSF_.uses_flat_scratch, 0
	.set _ZN7rocprim17ROCPRIM_400000_NS6detail17trampoline_kernelINS0_14default_configENS1_38merge_sort_block_merge_config_selectorIlNS0_10empty_typeEEEZZNS1_27merge_sort_block_merge_implIS3_PlPS5_jNS1_19radix_merge_compareILb1ELb1ElNS0_19identity_decomposerEEEEE10hipError_tT0_T1_T2_jT3_P12ihipStream_tbPNSt15iterator_traitsISE_E10value_typeEPNSK_ISF_E10value_typeEPSG_NS1_7vsmem_tEENKUlT_SE_SF_SG_E_clIS8_S8_S9_S9_EESD_ST_SE_SF_SG_EUlST_E_NS1_11comp_targetILNS1_3genE0ELNS1_11target_archE4294967295ELNS1_3gpuE0ELNS1_3repE0EEENS1_48merge_mergepath_partition_config_static_selectorELNS0_4arch9wavefront6targetE0EEEvSF_.has_dyn_sized_stack, 0
	.set _ZN7rocprim17ROCPRIM_400000_NS6detail17trampoline_kernelINS0_14default_configENS1_38merge_sort_block_merge_config_selectorIlNS0_10empty_typeEEEZZNS1_27merge_sort_block_merge_implIS3_PlPS5_jNS1_19radix_merge_compareILb1ELb1ElNS0_19identity_decomposerEEEEE10hipError_tT0_T1_T2_jT3_P12ihipStream_tbPNSt15iterator_traitsISE_E10value_typeEPNSK_ISF_E10value_typeEPSG_NS1_7vsmem_tEENKUlT_SE_SF_SG_E_clIS8_S8_S9_S9_EESD_ST_SE_SF_SG_EUlST_E_NS1_11comp_targetILNS1_3genE0ELNS1_11target_archE4294967295ELNS1_3gpuE0ELNS1_3repE0EEENS1_48merge_mergepath_partition_config_static_selectorELNS0_4arch9wavefront6targetE0EEEvSF_.has_recursion, 0
	.set _ZN7rocprim17ROCPRIM_400000_NS6detail17trampoline_kernelINS0_14default_configENS1_38merge_sort_block_merge_config_selectorIlNS0_10empty_typeEEEZZNS1_27merge_sort_block_merge_implIS3_PlPS5_jNS1_19radix_merge_compareILb1ELb1ElNS0_19identity_decomposerEEEEE10hipError_tT0_T1_T2_jT3_P12ihipStream_tbPNSt15iterator_traitsISE_E10value_typeEPNSK_ISF_E10value_typeEPSG_NS1_7vsmem_tEENKUlT_SE_SF_SG_E_clIS8_S8_S9_S9_EESD_ST_SE_SF_SG_EUlST_E_NS1_11comp_targetILNS1_3genE0ELNS1_11target_archE4294967295ELNS1_3gpuE0ELNS1_3repE0EEENS1_48merge_mergepath_partition_config_static_selectorELNS0_4arch9wavefront6targetE0EEEvSF_.has_indirect_call, 0
	.section	.AMDGPU.csdata,"",@progbits
; Kernel info:
; codeLenInByte = 456
; TotalNumSgprs: 10
; NumVgprs: 20
; ScratchSize: 0
; MemoryBound: 0
; FloatMode: 240
; IeeeMode: 1
; LDSByteSize: 0 bytes/workgroup (compile time only)
; SGPRBlocks: 0
; VGPRBlocks: 1
; NumSGPRsForWavesPerEU: 10
; NumVGPRsForWavesPerEU: 20
; NamedBarCnt: 0
; Occupancy: 16
; WaveLimiterHint : 0
; COMPUTE_PGM_RSRC2:SCRATCH_EN: 0
; COMPUTE_PGM_RSRC2:USER_SGPR: 2
; COMPUTE_PGM_RSRC2:TRAP_HANDLER: 0
; COMPUTE_PGM_RSRC2:TGID_X_EN: 1
; COMPUTE_PGM_RSRC2:TGID_Y_EN: 0
; COMPUTE_PGM_RSRC2:TGID_Z_EN: 0
; COMPUTE_PGM_RSRC2:TIDIG_COMP_CNT: 0
	.section	.text._ZN7rocprim17ROCPRIM_400000_NS6detail17trampoline_kernelINS0_14default_configENS1_38merge_sort_block_merge_config_selectorIlNS0_10empty_typeEEEZZNS1_27merge_sort_block_merge_implIS3_PlPS5_jNS1_19radix_merge_compareILb1ELb1ElNS0_19identity_decomposerEEEEE10hipError_tT0_T1_T2_jT3_P12ihipStream_tbPNSt15iterator_traitsISE_E10value_typeEPNSK_ISF_E10value_typeEPSG_NS1_7vsmem_tEENKUlT_SE_SF_SG_E_clIS8_S8_S9_S9_EESD_ST_SE_SF_SG_EUlST_E_NS1_11comp_targetILNS1_3genE10ELNS1_11target_archE1201ELNS1_3gpuE5ELNS1_3repE0EEENS1_48merge_mergepath_partition_config_static_selectorELNS0_4arch9wavefront6targetE0EEEvSF_,"axG",@progbits,_ZN7rocprim17ROCPRIM_400000_NS6detail17trampoline_kernelINS0_14default_configENS1_38merge_sort_block_merge_config_selectorIlNS0_10empty_typeEEEZZNS1_27merge_sort_block_merge_implIS3_PlPS5_jNS1_19radix_merge_compareILb1ELb1ElNS0_19identity_decomposerEEEEE10hipError_tT0_T1_T2_jT3_P12ihipStream_tbPNSt15iterator_traitsISE_E10value_typeEPNSK_ISF_E10value_typeEPSG_NS1_7vsmem_tEENKUlT_SE_SF_SG_E_clIS8_S8_S9_S9_EESD_ST_SE_SF_SG_EUlST_E_NS1_11comp_targetILNS1_3genE10ELNS1_11target_archE1201ELNS1_3gpuE5ELNS1_3repE0EEENS1_48merge_mergepath_partition_config_static_selectorELNS0_4arch9wavefront6targetE0EEEvSF_,comdat
	.protected	_ZN7rocprim17ROCPRIM_400000_NS6detail17trampoline_kernelINS0_14default_configENS1_38merge_sort_block_merge_config_selectorIlNS0_10empty_typeEEEZZNS1_27merge_sort_block_merge_implIS3_PlPS5_jNS1_19radix_merge_compareILb1ELb1ElNS0_19identity_decomposerEEEEE10hipError_tT0_T1_T2_jT3_P12ihipStream_tbPNSt15iterator_traitsISE_E10value_typeEPNSK_ISF_E10value_typeEPSG_NS1_7vsmem_tEENKUlT_SE_SF_SG_E_clIS8_S8_S9_S9_EESD_ST_SE_SF_SG_EUlST_E_NS1_11comp_targetILNS1_3genE10ELNS1_11target_archE1201ELNS1_3gpuE5ELNS1_3repE0EEENS1_48merge_mergepath_partition_config_static_selectorELNS0_4arch9wavefront6targetE0EEEvSF_ ; -- Begin function _ZN7rocprim17ROCPRIM_400000_NS6detail17trampoline_kernelINS0_14default_configENS1_38merge_sort_block_merge_config_selectorIlNS0_10empty_typeEEEZZNS1_27merge_sort_block_merge_implIS3_PlPS5_jNS1_19radix_merge_compareILb1ELb1ElNS0_19identity_decomposerEEEEE10hipError_tT0_T1_T2_jT3_P12ihipStream_tbPNSt15iterator_traitsISE_E10value_typeEPNSK_ISF_E10value_typeEPSG_NS1_7vsmem_tEENKUlT_SE_SF_SG_E_clIS8_S8_S9_S9_EESD_ST_SE_SF_SG_EUlST_E_NS1_11comp_targetILNS1_3genE10ELNS1_11target_archE1201ELNS1_3gpuE5ELNS1_3repE0EEENS1_48merge_mergepath_partition_config_static_selectorELNS0_4arch9wavefront6targetE0EEEvSF_
	.globl	_ZN7rocprim17ROCPRIM_400000_NS6detail17trampoline_kernelINS0_14default_configENS1_38merge_sort_block_merge_config_selectorIlNS0_10empty_typeEEEZZNS1_27merge_sort_block_merge_implIS3_PlPS5_jNS1_19radix_merge_compareILb1ELb1ElNS0_19identity_decomposerEEEEE10hipError_tT0_T1_T2_jT3_P12ihipStream_tbPNSt15iterator_traitsISE_E10value_typeEPNSK_ISF_E10value_typeEPSG_NS1_7vsmem_tEENKUlT_SE_SF_SG_E_clIS8_S8_S9_S9_EESD_ST_SE_SF_SG_EUlST_E_NS1_11comp_targetILNS1_3genE10ELNS1_11target_archE1201ELNS1_3gpuE5ELNS1_3repE0EEENS1_48merge_mergepath_partition_config_static_selectorELNS0_4arch9wavefront6targetE0EEEvSF_
	.p2align	8
	.type	_ZN7rocprim17ROCPRIM_400000_NS6detail17trampoline_kernelINS0_14default_configENS1_38merge_sort_block_merge_config_selectorIlNS0_10empty_typeEEEZZNS1_27merge_sort_block_merge_implIS3_PlPS5_jNS1_19radix_merge_compareILb1ELb1ElNS0_19identity_decomposerEEEEE10hipError_tT0_T1_T2_jT3_P12ihipStream_tbPNSt15iterator_traitsISE_E10value_typeEPNSK_ISF_E10value_typeEPSG_NS1_7vsmem_tEENKUlT_SE_SF_SG_E_clIS8_S8_S9_S9_EESD_ST_SE_SF_SG_EUlST_E_NS1_11comp_targetILNS1_3genE10ELNS1_11target_archE1201ELNS1_3gpuE5ELNS1_3repE0EEENS1_48merge_mergepath_partition_config_static_selectorELNS0_4arch9wavefront6targetE0EEEvSF_,@function
_ZN7rocprim17ROCPRIM_400000_NS6detail17trampoline_kernelINS0_14default_configENS1_38merge_sort_block_merge_config_selectorIlNS0_10empty_typeEEEZZNS1_27merge_sort_block_merge_implIS3_PlPS5_jNS1_19radix_merge_compareILb1ELb1ElNS0_19identity_decomposerEEEEE10hipError_tT0_T1_T2_jT3_P12ihipStream_tbPNSt15iterator_traitsISE_E10value_typeEPNSK_ISF_E10value_typeEPSG_NS1_7vsmem_tEENKUlT_SE_SF_SG_E_clIS8_S8_S9_S9_EESD_ST_SE_SF_SG_EUlST_E_NS1_11comp_targetILNS1_3genE10ELNS1_11target_archE1201ELNS1_3gpuE5ELNS1_3repE0EEENS1_48merge_mergepath_partition_config_static_selectorELNS0_4arch9wavefront6targetE0EEEvSF_: ; @_ZN7rocprim17ROCPRIM_400000_NS6detail17trampoline_kernelINS0_14default_configENS1_38merge_sort_block_merge_config_selectorIlNS0_10empty_typeEEEZZNS1_27merge_sort_block_merge_implIS3_PlPS5_jNS1_19radix_merge_compareILb1ELb1ElNS0_19identity_decomposerEEEEE10hipError_tT0_T1_T2_jT3_P12ihipStream_tbPNSt15iterator_traitsISE_E10value_typeEPNSK_ISF_E10value_typeEPSG_NS1_7vsmem_tEENKUlT_SE_SF_SG_E_clIS8_S8_S9_S9_EESD_ST_SE_SF_SG_EUlST_E_NS1_11comp_targetILNS1_3genE10ELNS1_11target_archE1201ELNS1_3gpuE5ELNS1_3repE0EEENS1_48merge_mergepath_partition_config_static_selectorELNS0_4arch9wavefront6targetE0EEEvSF_
; %bb.0:
	.section	.rodata,"a",@progbits
	.p2align	6, 0x0
	.amdhsa_kernel _ZN7rocprim17ROCPRIM_400000_NS6detail17trampoline_kernelINS0_14default_configENS1_38merge_sort_block_merge_config_selectorIlNS0_10empty_typeEEEZZNS1_27merge_sort_block_merge_implIS3_PlPS5_jNS1_19radix_merge_compareILb1ELb1ElNS0_19identity_decomposerEEEEE10hipError_tT0_T1_T2_jT3_P12ihipStream_tbPNSt15iterator_traitsISE_E10value_typeEPNSK_ISF_E10value_typeEPSG_NS1_7vsmem_tEENKUlT_SE_SF_SG_E_clIS8_S8_S9_S9_EESD_ST_SE_SF_SG_EUlST_E_NS1_11comp_targetILNS1_3genE10ELNS1_11target_archE1201ELNS1_3gpuE5ELNS1_3repE0EEENS1_48merge_mergepath_partition_config_static_selectorELNS0_4arch9wavefront6targetE0EEEvSF_
		.amdhsa_group_segment_fixed_size 0
		.amdhsa_private_segment_fixed_size 0
		.amdhsa_kernarg_size 40
		.amdhsa_user_sgpr_count 2
		.amdhsa_user_sgpr_dispatch_ptr 0
		.amdhsa_user_sgpr_queue_ptr 0
		.amdhsa_user_sgpr_kernarg_segment_ptr 1
		.amdhsa_user_sgpr_dispatch_id 0
		.amdhsa_user_sgpr_kernarg_preload_length 0
		.amdhsa_user_sgpr_kernarg_preload_offset 0
		.amdhsa_user_sgpr_private_segment_size 0
		.amdhsa_wavefront_size32 1
		.amdhsa_uses_dynamic_stack 0
		.amdhsa_enable_private_segment 0
		.amdhsa_system_sgpr_workgroup_id_x 1
		.amdhsa_system_sgpr_workgroup_id_y 0
		.amdhsa_system_sgpr_workgroup_id_z 0
		.amdhsa_system_sgpr_workgroup_info 0
		.amdhsa_system_vgpr_workitem_id 0
		.amdhsa_next_free_vgpr 1
		.amdhsa_next_free_sgpr 1
		.amdhsa_named_barrier_count 0
		.amdhsa_reserve_vcc 0
		.amdhsa_float_round_mode_32 0
		.amdhsa_float_round_mode_16_64 0
		.amdhsa_float_denorm_mode_32 3
		.amdhsa_float_denorm_mode_16_64 3
		.amdhsa_fp16_overflow 0
		.amdhsa_memory_ordered 1
		.amdhsa_forward_progress 1
		.amdhsa_inst_pref_size 0
		.amdhsa_round_robin_scheduling 0
		.amdhsa_exception_fp_ieee_invalid_op 0
		.amdhsa_exception_fp_denorm_src 0
		.amdhsa_exception_fp_ieee_div_zero 0
		.amdhsa_exception_fp_ieee_overflow 0
		.amdhsa_exception_fp_ieee_underflow 0
		.amdhsa_exception_fp_ieee_inexact 0
		.amdhsa_exception_int_div_zero 0
	.end_amdhsa_kernel
	.section	.text._ZN7rocprim17ROCPRIM_400000_NS6detail17trampoline_kernelINS0_14default_configENS1_38merge_sort_block_merge_config_selectorIlNS0_10empty_typeEEEZZNS1_27merge_sort_block_merge_implIS3_PlPS5_jNS1_19radix_merge_compareILb1ELb1ElNS0_19identity_decomposerEEEEE10hipError_tT0_T1_T2_jT3_P12ihipStream_tbPNSt15iterator_traitsISE_E10value_typeEPNSK_ISF_E10value_typeEPSG_NS1_7vsmem_tEENKUlT_SE_SF_SG_E_clIS8_S8_S9_S9_EESD_ST_SE_SF_SG_EUlST_E_NS1_11comp_targetILNS1_3genE10ELNS1_11target_archE1201ELNS1_3gpuE5ELNS1_3repE0EEENS1_48merge_mergepath_partition_config_static_selectorELNS0_4arch9wavefront6targetE0EEEvSF_,"axG",@progbits,_ZN7rocprim17ROCPRIM_400000_NS6detail17trampoline_kernelINS0_14default_configENS1_38merge_sort_block_merge_config_selectorIlNS0_10empty_typeEEEZZNS1_27merge_sort_block_merge_implIS3_PlPS5_jNS1_19radix_merge_compareILb1ELb1ElNS0_19identity_decomposerEEEEE10hipError_tT0_T1_T2_jT3_P12ihipStream_tbPNSt15iterator_traitsISE_E10value_typeEPNSK_ISF_E10value_typeEPSG_NS1_7vsmem_tEENKUlT_SE_SF_SG_E_clIS8_S8_S9_S9_EESD_ST_SE_SF_SG_EUlST_E_NS1_11comp_targetILNS1_3genE10ELNS1_11target_archE1201ELNS1_3gpuE5ELNS1_3repE0EEENS1_48merge_mergepath_partition_config_static_selectorELNS0_4arch9wavefront6targetE0EEEvSF_,comdat
.Lfunc_end1047:
	.size	_ZN7rocprim17ROCPRIM_400000_NS6detail17trampoline_kernelINS0_14default_configENS1_38merge_sort_block_merge_config_selectorIlNS0_10empty_typeEEEZZNS1_27merge_sort_block_merge_implIS3_PlPS5_jNS1_19radix_merge_compareILb1ELb1ElNS0_19identity_decomposerEEEEE10hipError_tT0_T1_T2_jT3_P12ihipStream_tbPNSt15iterator_traitsISE_E10value_typeEPNSK_ISF_E10value_typeEPSG_NS1_7vsmem_tEENKUlT_SE_SF_SG_E_clIS8_S8_S9_S9_EESD_ST_SE_SF_SG_EUlST_E_NS1_11comp_targetILNS1_3genE10ELNS1_11target_archE1201ELNS1_3gpuE5ELNS1_3repE0EEENS1_48merge_mergepath_partition_config_static_selectorELNS0_4arch9wavefront6targetE0EEEvSF_, .Lfunc_end1047-_ZN7rocprim17ROCPRIM_400000_NS6detail17trampoline_kernelINS0_14default_configENS1_38merge_sort_block_merge_config_selectorIlNS0_10empty_typeEEEZZNS1_27merge_sort_block_merge_implIS3_PlPS5_jNS1_19radix_merge_compareILb1ELb1ElNS0_19identity_decomposerEEEEE10hipError_tT0_T1_T2_jT3_P12ihipStream_tbPNSt15iterator_traitsISE_E10value_typeEPNSK_ISF_E10value_typeEPSG_NS1_7vsmem_tEENKUlT_SE_SF_SG_E_clIS8_S8_S9_S9_EESD_ST_SE_SF_SG_EUlST_E_NS1_11comp_targetILNS1_3genE10ELNS1_11target_archE1201ELNS1_3gpuE5ELNS1_3repE0EEENS1_48merge_mergepath_partition_config_static_selectorELNS0_4arch9wavefront6targetE0EEEvSF_
                                        ; -- End function
	.set _ZN7rocprim17ROCPRIM_400000_NS6detail17trampoline_kernelINS0_14default_configENS1_38merge_sort_block_merge_config_selectorIlNS0_10empty_typeEEEZZNS1_27merge_sort_block_merge_implIS3_PlPS5_jNS1_19radix_merge_compareILb1ELb1ElNS0_19identity_decomposerEEEEE10hipError_tT0_T1_T2_jT3_P12ihipStream_tbPNSt15iterator_traitsISE_E10value_typeEPNSK_ISF_E10value_typeEPSG_NS1_7vsmem_tEENKUlT_SE_SF_SG_E_clIS8_S8_S9_S9_EESD_ST_SE_SF_SG_EUlST_E_NS1_11comp_targetILNS1_3genE10ELNS1_11target_archE1201ELNS1_3gpuE5ELNS1_3repE0EEENS1_48merge_mergepath_partition_config_static_selectorELNS0_4arch9wavefront6targetE0EEEvSF_.num_vgpr, 0
	.set _ZN7rocprim17ROCPRIM_400000_NS6detail17trampoline_kernelINS0_14default_configENS1_38merge_sort_block_merge_config_selectorIlNS0_10empty_typeEEEZZNS1_27merge_sort_block_merge_implIS3_PlPS5_jNS1_19radix_merge_compareILb1ELb1ElNS0_19identity_decomposerEEEEE10hipError_tT0_T1_T2_jT3_P12ihipStream_tbPNSt15iterator_traitsISE_E10value_typeEPNSK_ISF_E10value_typeEPSG_NS1_7vsmem_tEENKUlT_SE_SF_SG_E_clIS8_S8_S9_S9_EESD_ST_SE_SF_SG_EUlST_E_NS1_11comp_targetILNS1_3genE10ELNS1_11target_archE1201ELNS1_3gpuE5ELNS1_3repE0EEENS1_48merge_mergepath_partition_config_static_selectorELNS0_4arch9wavefront6targetE0EEEvSF_.num_agpr, 0
	.set _ZN7rocprim17ROCPRIM_400000_NS6detail17trampoline_kernelINS0_14default_configENS1_38merge_sort_block_merge_config_selectorIlNS0_10empty_typeEEEZZNS1_27merge_sort_block_merge_implIS3_PlPS5_jNS1_19radix_merge_compareILb1ELb1ElNS0_19identity_decomposerEEEEE10hipError_tT0_T1_T2_jT3_P12ihipStream_tbPNSt15iterator_traitsISE_E10value_typeEPNSK_ISF_E10value_typeEPSG_NS1_7vsmem_tEENKUlT_SE_SF_SG_E_clIS8_S8_S9_S9_EESD_ST_SE_SF_SG_EUlST_E_NS1_11comp_targetILNS1_3genE10ELNS1_11target_archE1201ELNS1_3gpuE5ELNS1_3repE0EEENS1_48merge_mergepath_partition_config_static_selectorELNS0_4arch9wavefront6targetE0EEEvSF_.numbered_sgpr, 0
	.set _ZN7rocprim17ROCPRIM_400000_NS6detail17trampoline_kernelINS0_14default_configENS1_38merge_sort_block_merge_config_selectorIlNS0_10empty_typeEEEZZNS1_27merge_sort_block_merge_implIS3_PlPS5_jNS1_19radix_merge_compareILb1ELb1ElNS0_19identity_decomposerEEEEE10hipError_tT0_T1_T2_jT3_P12ihipStream_tbPNSt15iterator_traitsISE_E10value_typeEPNSK_ISF_E10value_typeEPSG_NS1_7vsmem_tEENKUlT_SE_SF_SG_E_clIS8_S8_S9_S9_EESD_ST_SE_SF_SG_EUlST_E_NS1_11comp_targetILNS1_3genE10ELNS1_11target_archE1201ELNS1_3gpuE5ELNS1_3repE0EEENS1_48merge_mergepath_partition_config_static_selectorELNS0_4arch9wavefront6targetE0EEEvSF_.num_named_barrier, 0
	.set _ZN7rocprim17ROCPRIM_400000_NS6detail17trampoline_kernelINS0_14default_configENS1_38merge_sort_block_merge_config_selectorIlNS0_10empty_typeEEEZZNS1_27merge_sort_block_merge_implIS3_PlPS5_jNS1_19radix_merge_compareILb1ELb1ElNS0_19identity_decomposerEEEEE10hipError_tT0_T1_T2_jT3_P12ihipStream_tbPNSt15iterator_traitsISE_E10value_typeEPNSK_ISF_E10value_typeEPSG_NS1_7vsmem_tEENKUlT_SE_SF_SG_E_clIS8_S8_S9_S9_EESD_ST_SE_SF_SG_EUlST_E_NS1_11comp_targetILNS1_3genE10ELNS1_11target_archE1201ELNS1_3gpuE5ELNS1_3repE0EEENS1_48merge_mergepath_partition_config_static_selectorELNS0_4arch9wavefront6targetE0EEEvSF_.private_seg_size, 0
	.set _ZN7rocprim17ROCPRIM_400000_NS6detail17trampoline_kernelINS0_14default_configENS1_38merge_sort_block_merge_config_selectorIlNS0_10empty_typeEEEZZNS1_27merge_sort_block_merge_implIS3_PlPS5_jNS1_19radix_merge_compareILb1ELb1ElNS0_19identity_decomposerEEEEE10hipError_tT0_T1_T2_jT3_P12ihipStream_tbPNSt15iterator_traitsISE_E10value_typeEPNSK_ISF_E10value_typeEPSG_NS1_7vsmem_tEENKUlT_SE_SF_SG_E_clIS8_S8_S9_S9_EESD_ST_SE_SF_SG_EUlST_E_NS1_11comp_targetILNS1_3genE10ELNS1_11target_archE1201ELNS1_3gpuE5ELNS1_3repE0EEENS1_48merge_mergepath_partition_config_static_selectorELNS0_4arch9wavefront6targetE0EEEvSF_.uses_vcc, 0
	.set _ZN7rocprim17ROCPRIM_400000_NS6detail17trampoline_kernelINS0_14default_configENS1_38merge_sort_block_merge_config_selectorIlNS0_10empty_typeEEEZZNS1_27merge_sort_block_merge_implIS3_PlPS5_jNS1_19radix_merge_compareILb1ELb1ElNS0_19identity_decomposerEEEEE10hipError_tT0_T1_T2_jT3_P12ihipStream_tbPNSt15iterator_traitsISE_E10value_typeEPNSK_ISF_E10value_typeEPSG_NS1_7vsmem_tEENKUlT_SE_SF_SG_E_clIS8_S8_S9_S9_EESD_ST_SE_SF_SG_EUlST_E_NS1_11comp_targetILNS1_3genE10ELNS1_11target_archE1201ELNS1_3gpuE5ELNS1_3repE0EEENS1_48merge_mergepath_partition_config_static_selectorELNS0_4arch9wavefront6targetE0EEEvSF_.uses_flat_scratch, 0
	.set _ZN7rocprim17ROCPRIM_400000_NS6detail17trampoline_kernelINS0_14default_configENS1_38merge_sort_block_merge_config_selectorIlNS0_10empty_typeEEEZZNS1_27merge_sort_block_merge_implIS3_PlPS5_jNS1_19radix_merge_compareILb1ELb1ElNS0_19identity_decomposerEEEEE10hipError_tT0_T1_T2_jT3_P12ihipStream_tbPNSt15iterator_traitsISE_E10value_typeEPNSK_ISF_E10value_typeEPSG_NS1_7vsmem_tEENKUlT_SE_SF_SG_E_clIS8_S8_S9_S9_EESD_ST_SE_SF_SG_EUlST_E_NS1_11comp_targetILNS1_3genE10ELNS1_11target_archE1201ELNS1_3gpuE5ELNS1_3repE0EEENS1_48merge_mergepath_partition_config_static_selectorELNS0_4arch9wavefront6targetE0EEEvSF_.has_dyn_sized_stack, 0
	.set _ZN7rocprim17ROCPRIM_400000_NS6detail17trampoline_kernelINS0_14default_configENS1_38merge_sort_block_merge_config_selectorIlNS0_10empty_typeEEEZZNS1_27merge_sort_block_merge_implIS3_PlPS5_jNS1_19radix_merge_compareILb1ELb1ElNS0_19identity_decomposerEEEEE10hipError_tT0_T1_T2_jT3_P12ihipStream_tbPNSt15iterator_traitsISE_E10value_typeEPNSK_ISF_E10value_typeEPSG_NS1_7vsmem_tEENKUlT_SE_SF_SG_E_clIS8_S8_S9_S9_EESD_ST_SE_SF_SG_EUlST_E_NS1_11comp_targetILNS1_3genE10ELNS1_11target_archE1201ELNS1_3gpuE5ELNS1_3repE0EEENS1_48merge_mergepath_partition_config_static_selectorELNS0_4arch9wavefront6targetE0EEEvSF_.has_recursion, 0
	.set _ZN7rocprim17ROCPRIM_400000_NS6detail17trampoline_kernelINS0_14default_configENS1_38merge_sort_block_merge_config_selectorIlNS0_10empty_typeEEEZZNS1_27merge_sort_block_merge_implIS3_PlPS5_jNS1_19radix_merge_compareILb1ELb1ElNS0_19identity_decomposerEEEEE10hipError_tT0_T1_T2_jT3_P12ihipStream_tbPNSt15iterator_traitsISE_E10value_typeEPNSK_ISF_E10value_typeEPSG_NS1_7vsmem_tEENKUlT_SE_SF_SG_E_clIS8_S8_S9_S9_EESD_ST_SE_SF_SG_EUlST_E_NS1_11comp_targetILNS1_3genE10ELNS1_11target_archE1201ELNS1_3gpuE5ELNS1_3repE0EEENS1_48merge_mergepath_partition_config_static_selectorELNS0_4arch9wavefront6targetE0EEEvSF_.has_indirect_call, 0
	.section	.AMDGPU.csdata,"",@progbits
; Kernel info:
; codeLenInByte = 0
; TotalNumSgprs: 0
; NumVgprs: 0
; ScratchSize: 0
; MemoryBound: 0
; FloatMode: 240
; IeeeMode: 1
; LDSByteSize: 0 bytes/workgroup (compile time only)
; SGPRBlocks: 0
; VGPRBlocks: 0
; NumSGPRsForWavesPerEU: 1
; NumVGPRsForWavesPerEU: 1
; NamedBarCnt: 0
; Occupancy: 16
; WaveLimiterHint : 0
; COMPUTE_PGM_RSRC2:SCRATCH_EN: 0
; COMPUTE_PGM_RSRC2:USER_SGPR: 2
; COMPUTE_PGM_RSRC2:TRAP_HANDLER: 0
; COMPUTE_PGM_RSRC2:TGID_X_EN: 1
; COMPUTE_PGM_RSRC2:TGID_Y_EN: 0
; COMPUTE_PGM_RSRC2:TGID_Z_EN: 0
; COMPUTE_PGM_RSRC2:TIDIG_COMP_CNT: 0
	.section	.text._ZN7rocprim17ROCPRIM_400000_NS6detail17trampoline_kernelINS0_14default_configENS1_38merge_sort_block_merge_config_selectorIlNS0_10empty_typeEEEZZNS1_27merge_sort_block_merge_implIS3_PlPS5_jNS1_19radix_merge_compareILb1ELb1ElNS0_19identity_decomposerEEEEE10hipError_tT0_T1_T2_jT3_P12ihipStream_tbPNSt15iterator_traitsISE_E10value_typeEPNSK_ISF_E10value_typeEPSG_NS1_7vsmem_tEENKUlT_SE_SF_SG_E_clIS8_S8_S9_S9_EESD_ST_SE_SF_SG_EUlST_E_NS1_11comp_targetILNS1_3genE5ELNS1_11target_archE942ELNS1_3gpuE9ELNS1_3repE0EEENS1_48merge_mergepath_partition_config_static_selectorELNS0_4arch9wavefront6targetE0EEEvSF_,"axG",@progbits,_ZN7rocprim17ROCPRIM_400000_NS6detail17trampoline_kernelINS0_14default_configENS1_38merge_sort_block_merge_config_selectorIlNS0_10empty_typeEEEZZNS1_27merge_sort_block_merge_implIS3_PlPS5_jNS1_19radix_merge_compareILb1ELb1ElNS0_19identity_decomposerEEEEE10hipError_tT0_T1_T2_jT3_P12ihipStream_tbPNSt15iterator_traitsISE_E10value_typeEPNSK_ISF_E10value_typeEPSG_NS1_7vsmem_tEENKUlT_SE_SF_SG_E_clIS8_S8_S9_S9_EESD_ST_SE_SF_SG_EUlST_E_NS1_11comp_targetILNS1_3genE5ELNS1_11target_archE942ELNS1_3gpuE9ELNS1_3repE0EEENS1_48merge_mergepath_partition_config_static_selectorELNS0_4arch9wavefront6targetE0EEEvSF_,comdat
	.protected	_ZN7rocprim17ROCPRIM_400000_NS6detail17trampoline_kernelINS0_14default_configENS1_38merge_sort_block_merge_config_selectorIlNS0_10empty_typeEEEZZNS1_27merge_sort_block_merge_implIS3_PlPS5_jNS1_19radix_merge_compareILb1ELb1ElNS0_19identity_decomposerEEEEE10hipError_tT0_T1_T2_jT3_P12ihipStream_tbPNSt15iterator_traitsISE_E10value_typeEPNSK_ISF_E10value_typeEPSG_NS1_7vsmem_tEENKUlT_SE_SF_SG_E_clIS8_S8_S9_S9_EESD_ST_SE_SF_SG_EUlST_E_NS1_11comp_targetILNS1_3genE5ELNS1_11target_archE942ELNS1_3gpuE9ELNS1_3repE0EEENS1_48merge_mergepath_partition_config_static_selectorELNS0_4arch9wavefront6targetE0EEEvSF_ ; -- Begin function _ZN7rocprim17ROCPRIM_400000_NS6detail17trampoline_kernelINS0_14default_configENS1_38merge_sort_block_merge_config_selectorIlNS0_10empty_typeEEEZZNS1_27merge_sort_block_merge_implIS3_PlPS5_jNS1_19radix_merge_compareILb1ELb1ElNS0_19identity_decomposerEEEEE10hipError_tT0_T1_T2_jT3_P12ihipStream_tbPNSt15iterator_traitsISE_E10value_typeEPNSK_ISF_E10value_typeEPSG_NS1_7vsmem_tEENKUlT_SE_SF_SG_E_clIS8_S8_S9_S9_EESD_ST_SE_SF_SG_EUlST_E_NS1_11comp_targetILNS1_3genE5ELNS1_11target_archE942ELNS1_3gpuE9ELNS1_3repE0EEENS1_48merge_mergepath_partition_config_static_selectorELNS0_4arch9wavefront6targetE0EEEvSF_
	.globl	_ZN7rocprim17ROCPRIM_400000_NS6detail17trampoline_kernelINS0_14default_configENS1_38merge_sort_block_merge_config_selectorIlNS0_10empty_typeEEEZZNS1_27merge_sort_block_merge_implIS3_PlPS5_jNS1_19radix_merge_compareILb1ELb1ElNS0_19identity_decomposerEEEEE10hipError_tT0_T1_T2_jT3_P12ihipStream_tbPNSt15iterator_traitsISE_E10value_typeEPNSK_ISF_E10value_typeEPSG_NS1_7vsmem_tEENKUlT_SE_SF_SG_E_clIS8_S8_S9_S9_EESD_ST_SE_SF_SG_EUlST_E_NS1_11comp_targetILNS1_3genE5ELNS1_11target_archE942ELNS1_3gpuE9ELNS1_3repE0EEENS1_48merge_mergepath_partition_config_static_selectorELNS0_4arch9wavefront6targetE0EEEvSF_
	.p2align	8
	.type	_ZN7rocprim17ROCPRIM_400000_NS6detail17trampoline_kernelINS0_14default_configENS1_38merge_sort_block_merge_config_selectorIlNS0_10empty_typeEEEZZNS1_27merge_sort_block_merge_implIS3_PlPS5_jNS1_19radix_merge_compareILb1ELb1ElNS0_19identity_decomposerEEEEE10hipError_tT0_T1_T2_jT3_P12ihipStream_tbPNSt15iterator_traitsISE_E10value_typeEPNSK_ISF_E10value_typeEPSG_NS1_7vsmem_tEENKUlT_SE_SF_SG_E_clIS8_S8_S9_S9_EESD_ST_SE_SF_SG_EUlST_E_NS1_11comp_targetILNS1_3genE5ELNS1_11target_archE942ELNS1_3gpuE9ELNS1_3repE0EEENS1_48merge_mergepath_partition_config_static_selectorELNS0_4arch9wavefront6targetE0EEEvSF_,@function
_ZN7rocprim17ROCPRIM_400000_NS6detail17trampoline_kernelINS0_14default_configENS1_38merge_sort_block_merge_config_selectorIlNS0_10empty_typeEEEZZNS1_27merge_sort_block_merge_implIS3_PlPS5_jNS1_19radix_merge_compareILb1ELb1ElNS0_19identity_decomposerEEEEE10hipError_tT0_T1_T2_jT3_P12ihipStream_tbPNSt15iterator_traitsISE_E10value_typeEPNSK_ISF_E10value_typeEPSG_NS1_7vsmem_tEENKUlT_SE_SF_SG_E_clIS8_S8_S9_S9_EESD_ST_SE_SF_SG_EUlST_E_NS1_11comp_targetILNS1_3genE5ELNS1_11target_archE942ELNS1_3gpuE9ELNS1_3repE0EEENS1_48merge_mergepath_partition_config_static_selectorELNS0_4arch9wavefront6targetE0EEEvSF_: ; @_ZN7rocprim17ROCPRIM_400000_NS6detail17trampoline_kernelINS0_14default_configENS1_38merge_sort_block_merge_config_selectorIlNS0_10empty_typeEEEZZNS1_27merge_sort_block_merge_implIS3_PlPS5_jNS1_19radix_merge_compareILb1ELb1ElNS0_19identity_decomposerEEEEE10hipError_tT0_T1_T2_jT3_P12ihipStream_tbPNSt15iterator_traitsISE_E10value_typeEPNSK_ISF_E10value_typeEPSG_NS1_7vsmem_tEENKUlT_SE_SF_SG_E_clIS8_S8_S9_S9_EESD_ST_SE_SF_SG_EUlST_E_NS1_11comp_targetILNS1_3genE5ELNS1_11target_archE942ELNS1_3gpuE9ELNS1_3repE0EEENS1_48merge_mergepath_partition_config_static_selectorELNS0_4arch9wavefront6targetE0EEEvSF_
; %bb.0:
	.section	.rodata,"a",@progbits
	.p2align	6, 0x0
	.amdhsa_kernel _ZN7rocprim17ROCPRIM_400000_NS6detail17trampoline_kernelINS0_14default_configENS1_38merge_sort_block_merge_config_selectorIlNS0_10empty_typeEEEZZNS1_27merge_sort_block_merge_implIS3_PlPS5_jNS1_19radix_merge_compareILb1ELb1ElNS0_19identity_decomposerEEEEE10hipError_tT0_T1_T2_jT3_P12ihipStream_tbPNSt15iterator_traitsISE_E10value_typeEPNSK_ISF_E10value_typeEPSG_NS1_7vsmem_tEENKUlT_SE_SF_SG_E_clIS8_S8_S9_S9_EESD_ST_SE_SF_SG_EUlST_E_NS1_11comp_targetILNS1_3genE5ELNS1_11target_archE942ELNS1_3gpuE9ELNS1_3repE0EEENS1_48merge_mergepath_partition_config_static_selectorELNS0_4arch9wavefront6targetE0EEEvSF_
		.amdhsa_group_segment_fixed_size 0
		.amdhsa_private_segment_fixed_size 0
		.amdhsa_kernarg_size 40
		.amdhsa_user_sgpr_count 2
		.amdhsa_user_sgpr_dispatch_ptr 0
		.amdhsa_user_sgpr_queue_ptr 0
		.amdhsa_user_sgpr_kernarg_segment_ptr 1
		.amdhsa_user_sgpr_dispatch_id 0
		.amdhsa_user_sgpr_kernarg_preload_length 0
		.amdhsa_user_sgpr_kernarg_preload_offset 0
		.amdhsa_user_sgpr_private_segment_size 0
		.amdhsa_wavefront_size32 1
		.amdhsa_uses_dynamic_stack 0
		.amdhsa_enable_private_segment 0
		.amdhsa_system_sgpr_workgroup_id_x 1
		.amdhsa_system_sgpr_workgroup_id_y 0
		.amdhsa_system_sgpr_workgroup_id_z 0
		.amdhsa_system_sgpr_workgroup_info 0
		.amdhsa_system_vgpr_workitem_id 0
		.amdhsa_next_free_vgpr 1
		.amdhsa_next_free_sgpr 1
		.amdhsa_named_barrier_count 0
		.amdhsa_reserve_vcc 0
		.amdhsa_float_round_mode_32 0
		.amdhsa_float_round_mode_16_64 0
		.amdhsa_float_denorm_mode_32 3
		.amdhsa_float_denorm_mode_16_64 3
		.amdhsa_fp16_overflow 0
		.amdhsa_memory_ordered 1
		.amdhsa_forward_progress 1
		.amdhsa_inst_pref_size 0
		.amdhsa_round_robin_scheduling 0
		.amdhsa_exception_fp_ieee_invalid_op 0
		.amdhsa_exception_fp_denorm_src 0
		.amdhsa_exception_fp_ieee_div_zero 0
		.amdhsa_exception_fp_ieee_overflow 0
		.amdhsa_exception_fp_ieee_underflow 0
		.amdhsa_exception_fp_ieee_inexact 0
		.amdhsa_exception_int_div_zero 0
	.end_amdhsa_kernel
	.section	.text._ZN7rocprim17ROCPRIM_400000_NS6detail17trampoline_kernelINS0_14default_configENS1_38merge_sort_block_merge_config_selectorIlNS0_10empty_typeEEEZZNS1_27merge_sort_block_merge_implIS3_PlPS5_jNS1_19radix_merge_compareILb1ELb1ElNS0_19identity_decomposerEEEEE10hipError_tT0_T1_T2_jT3_P12ihipStream_tbPNSt15iterator_traitsISE_E10value_typeEPNSK_ISF_E10value_typeEPSG_NS1_7vsmem_tEENKUlT_SE_SF_SG_E_clIS8_S8_S9_S9_EESD_ST_SE_SF_SG_EUlST_E_NS1_11comp_targetILNS1_3genE5ELNS1_11target_archE942ELNS1_3gpuE9ELNS1_3repE0EEENS1_48merge_mergepath_partition_config_static_selectorELNS0_4arch9wavefront6targetE0EEEvSF_,"axG",@progbits,_ZN7rocprim17ROCPRIM_400000_NS6detail17trampoline_kernelINS0_14default_configENS1_38merge_sort_block_merge_config_selectorIlNS0_10empty_typeEEEZZNS1_27merge_sort_block_merge_implIS3_PlPS5_jNS1_19radix_merge_compareILb1ELb1ElNS0_19identity_decomposerEEEEE10hipError_tT0_T1_T2_jT3_P12ihipStream_tbPNSt15iterator_traitsISE_E10value_typeEPNSK_ISF_E10value_typeEPSG_NS1_7vsmem_tEENKUlT_SE_SF_SG_E_clIS8_S8_S9_S9_EESD_ST_SE_SF_SG_EUlST_E_NS1_11comp_targetILNS1_3genE5ELNS1_11target_archE942ELNS1_3gpuE9ELNS1_3repE0EEENS1_48merge_mergepath_partition_config_static_selectorELNS0_4arch9wavefront6targetE0EEEvSF_,comdat
.Lfunc_end1048:
	.size	_ZN7rocprim17ROCPRIM_400000_NS6detail17trampoline_kernelINS0_14default_configENS1_38merge_sort_block_merge_config_selectorIlNS0_10empty_typeEEEZZNS1_27merge_sort_block_merge_implIS3_PlPS5_jNS1_19radix_merge_compareILb1ELb1ElNS0_19identity_decomposerEEEEE10hipError_tT0_T1_T2_jT3_P12ihipStream_tbPNSt15iterator_traitsISE_E10value_typeEPNSK_ISF_E10value_typeEPSG_NS1_7vsmem_tEENKUlT_SE_SF_SG_E_clIS8_S8_S9_S9_EESD_ST_SE_SF_SG_EUlST_E_NS1_11comp_targetILNS1_3genE5ELNS1_11target_archE942ELNS1_3gpuE9ELNS1_3repE0EEENS1_48merge_mergepath_partition_config_static_selectorELNS0_4arch9wavefront6targetE0EEEvSF_, .Lfunc_end1048-_ZN7rocprim17ROCPRIM_400000_NS6detail17trampoline_kernelINS0_14default_configENS1_38merge_sort_block_merge_config_selectorIlNS0_10empty_typeEEEZZNS1_27merge_sort_block_merge_implIS3_PlPS5_jNS1_19radix_merge_compareILb1ELb1ElNS0_19identity_decomposerEEEEE10hipError_tT0_T1_T2_jT3_P12ihipStream_tbPNSt15iterator_traitsISE_E10value_typeEPNSK_ISF_E10value_typeEPSG_NS1_7vsmem_tEENKUlT_SE_SF_SG_E_clIS8_S8_S9_S9_EESD_ST_SE_SF_SG_EUlST_E_NS1_11comp_targetILNS1_3genE5ELNS1_11target_archE942ELNS1_3gpuE9ELNS1_3repE0EEENS1_48merge_mergepath_partition_config_static_selectorELNS0_4arch9wavefront6targetE0EEEvSF_
                                        ; -- End function
	.set _ZN7rocprim17ROCPRIM_400000_NS6detail17trampoline_kernelINS0_14default_configENS1_38merge_sort_block_merge_config_selectorIlNS0_10empty_typeEEEZZNS1_27merge_sort_block_merge_implIS3_PlPS5_jNS1_19radix_merge_compareILb1ELb1ElNS0_19identity_decomposerEEEEE10hipError_tT0_T1_T2_jT3_P12ihipStream_tbPNSt15iterator_traitsISE_E10value_typeEPNSK_ISF_E10value_typeEPSG_NS1_7vsmem_tEENKUlT_SE_SF_SG_E_clIS8_S8_S9_S9_EESD_ST_SE_SF_SG_EUlST_E_NS1_11comp_targetILNS1_3genE5ELNS1_11target_archE942ELNS1_3gpuE9ELNS1_3repE0EEENS1_48merge_mergepath_partition_config_static_selectorELNS0_4arch9wavefront6targetE0EEEvSF_.num_vgpr, 0
	.set _ZN7rocprim17ROCPRIM_400000_NS6detail17trampoline_kernelINS0_14default_configENS1_38merge_sort_block_merge_config_selectorIlNS0_10empty_typeEEEZZNS1_27merge_sort_block_merge_implIS3_PlPS5_jNS1_19radix_merge_compareILb1ELb1ElNS0_19identity_decomposerEEEEE10hipError_tT0_T1_T2_jT3_P12ihipStream_tbPNSt15iterator_traitsISE_E10value_typeEPNSK_ISF_E10value_typeEPSG_NS1_7vsmem_tEENKUlT_SE_SF_SG_E_clIS8_S8_S9_S9_EESD_ST_SE_SF_SG_EUlST_E_NS1_11comp_targetILNS1_3genE5ELNS1_11target_archE942ELNS1_3gpuE9ELNS1_3repE0EEENS1_48merge_mergepath_partition_config_static_selectorELNS0_4arch9wavefront6targetE0EEEvSF_.num_agpr, 0
	.set _ZN7rocprim17ROCPRIM_400000_NS6detail17trampoline_kernelINS0_14default_configENS1_38merge_sort_block_merge_config_selectorIlNS0_10empty_typeEEEZZNS1_27merge_sort_block_merge_implIS3_PlPS5_jNS1_19radix_merge_compareILb1ELb1ElNS0_19identity_decomposerEEEEE10hipError_tT0_T1_T2_jT3_P12ihipStream_tbPNSt15iterator_traitsISE_E10value_typeEPNSK_ISF_E10value_typeEPSG_NS1_7vsmem_tEENKUlT_SE_SF_SG_E_clIS8_S8_S9_S9_EESD_ST_SE_SF_SG_EUlST_E_NS1_11comp_targetILNS1_3genE5ELNS1_11target_archE942ELNS1_3gpuE9ELNS1_3repE0EEENS1_48merge_mergepath_partition_config_static_selectorELNS0_4arch9wavefront6targetE0EEEvSF_.numbered_sgpr, 0
	.set _ZN7rocprim17ROCPRIM_400000_NS6detail17trampoline_kernelINS0_14default_configENS1_38merge_sort_block_merge_config_selectorIlNS0_10empty_typeEEEZZNS1_27merge_sort_block_merge_implIS3_PlPS5_jNS1_19radix_merge_compareILb1ELb1ElNS0_19identity_decomposerEEEEE10hipError_tT0_T1_T2_jT3_P12ihipStream_tbPNSt15iterator_traitsISE_E10value_typeEPNSK_ISF_E10value_typeEPSG_NS1_7vsmem_tEENKUlT_SE_SF_SG_E_clIS8_S8_S9_S9_EESD_ST_SE_SF_SG_EUlST_E_NS1_11comp_targetILNS1_3genE5ELNS1_11target_archE942ELNS1_3gpuE9ELNS1_3repE0EEENS1_48merge_mergepath_partition_config_static_selectorELNS0_4arch9wavefront6targetE0EEEvSF_.num_named_barrier, 0
	.set _ZN7rocprim17ROCPRIM_400000_NS6detail17trampoline_kernelINS0_14default_configENS1_38merge_sort_block_merge_config_selectorIlNS0_10empty_typeEEEZZNS1_27merge_sort_block_merge_implIS3_PlPS5_jNS1_19radix_merge_compareILb1ELb1ElNS0_19identity_decomposerEEEEE10hipError_tT0_T1_T2_jT3_P12ihipStream_tbPNSt15iterator_traitsISE_E10value_typeEPNSK_ISF_E10value_typeEPSG_NS1_7vsmem_tEENKUlT_SE_SF_SG_E_clIS8_S8_S9_S9_EESD_ST_SE_SF_SG_EUlST_E_NS1_11comp_targetILNS1_3genE5ELNS1_11target_archE942ELNS1_3gpuE9ELNS1_3repE0EEENS1_48merge_mergepath_partition_config_static_selectorELNS0_4arch9wavefront6targetE0EEEvSF_.private_seg_size, 0
	.set _ZN7rocprim17ROCPRIM_400000_NS6detail17trampoline_kernelINS0_14default_configENS1_38merge_sort_block_merge_config_selectorIlNS0_10empty_typeEEEZZNS1_27merge_sort_block_merge_implIS3_PlPS5_jNS1_19radix_merge_compareILb1ELb1ElNS0_19identity_decomposerEEEEE10hipError_tT0_T1_T2_jT3_P12ihipStream_tbPNSt15iterator_traitsISE_E10value_typeEPNSK_ISF_E10value_typeEPSG_NS1_7vsmem_tEENKUlT_SE_SF_SG_E_clIS8_S8_S9_S9_EESD_ST_SE_SF_SG_EUlST_E_NS1_11comp_targetILNS1_3genE5ELNS1_11target_archE942ELNS1_3gpuE9ELNS1_3repE0EEENS1_48merge_mergepath_partition_config_static_selectorELNS0_4arch9wavefront6targetE0EEEvSF_.uses_vcc, 0
	.set _ZN7rocprim17ROCPRIM_400000_NS6detail17trampoline_kernelINS0_14default_configENS1_38merge_sort_block_merge_config_selectorIlNS0_10empty_typeEEEZZNS1_27merge_sort_block_merge_implIS3_PlPS5_jNS1_19radix_merge_compareILb1ELb1ElNS0_19identity_decomposerEEEEE10hipError_tT0_T1_T2_jT3_P12ihipStream_tbPNSt15iterator_traitsISE_E10value_typeEPNSK_ISF_E10value_typeEPSG_NS1_7vsmem_tEENKUlT_SE_SF_SG_E_clIS8_S8_S9_S9_EESD_ST_SE_SF_SG_EUlST_E_NS1_11comp_targetILNS1_3genE5ELNS1_11target_archE942ELNS1_3gpuE9ELNS1_3repE0EEENS1_48merge_mergepath_partition_config_static_selectorELNS0_4arch9wavefront6targetE0EEEvSF_.uses_flat_scratch, 0
	.set _ZN7rocprim17ROCPRIM_400000_NS6detail17trampoline_kernelINS0_14default_configENS1_38merge_sort_block_merge_config_selectorIlNS0_10empty_typeEEEZZNS1_27merge_sort_block_merge_implIS3_PlPS5_jNS1_19radix_merge_compareILb1ELb1ElNS0_19identity_decomposerEEEEE10hipError_tT0_T1_T2_jT3_P12ihipStream_tbPNSt15iterator_traitsISE_E10value_typeEPNSK_ISF_E10value_typeEPSG_NS1_7vsmem_tEENKUlT_SE_SF_SG_E_clIS8_S8_S9_S9_EESD_ST_SE_SF_SG_EUlST_E_NS1_11comp_targetILNS1_3genE5ELNS1_11target_archE942ELNS1_3gpuE9ELNS1_3repE0EEENS1_48merge_mergepath_partition_config_static_selectorELNS0_4arch9wavefront6targetE0EEEvSF_.has_dyn_sized_stack, 0
	.set _ZN7rocprim17ROCPRIM_400000_NS6detail17trampoline_kernelINS0_14default_configENS1_38merge_sort_block_merge_config_selectorIlNS0_10empty_typeEEEZZNS1_27merge_sort_block_merge_implIS3_PlPS5_jNS1_19radix_merge_compareILb1ELb1ElNS0_19identity_decomposerEEEEE10hipError_tT0_T1_T2_jT3_P12ihipStream_tbPNSt15iterator_traitsISE_E10value_typeEPNSK_ISF_E10value_typeEPSG_NS1_7vsmem_tEENKUlT_SE_SF_SG_E_clIS8_S8_S9_S9_EESD_ST_SE_SF_SG_EUlST_E_NS1_11comp_targetILNS1_3genE5ELNS1_11target_archE942ELNS1_3gpuE9ELNS1_3repE0EEENS1_48merge_mergepath_partition_config_static_selectorELNS0_4arch9wavefront6targetE0EEEvSF_.has_recursion, 0
	.set _ZN7rocprim17ROCPRIM_400000_NS6detail17trampoline_kernelINS0_14default_configENS1_38merge_sort_block_merge_config_selectorIlNS0_10empty_typeEEEZZNS1_27merge_sort_block_merge_implIS3_PlPS5_jNS1_19radix_merge_compareILb1ELb1ElNS0_19identity_decomposerEEEEE10hipError_tT0_T1_T2_jT3_P12ihipStream_tbPNSt15iterator_traitsISE_E10value_typeEPNSK_ISF_E10value_typeEPSG_NS1_7vsmem_tEENKUlT_SE_SF_SG_E_clIS8_S8_S9_S9_EESD_ST_SE_SF_SG_EUlST_E_NS1_11comp_targetILNS1_3genE5ELNS1_11target_archE942ELNS1_3gpuE9ELNS1_3repE0EEENS1_48merge_mergepath_partition_config_static_selectorELNS0_4arch9wavefront6targetE0EEEvSF_.has_indirect_call, 0
	.section	.AMDGPU.csdata,"",@progbits
; Kernel info:
; codeLenInByte = 0
; TotalNumSgprs: 0
; NumVgprs: 0
; ScratchSize: 0
; MemoryBound: 0
; FloatMode: 240
; IeeeMode: 1
; LDSByteSize: 0 bytes/workgroup (compile time only)
; SGPRBlocks: 0
; VGPRBlocks: 0
; NumSGPRsForWavesPerEU: 1
; NumVGPRsForWavesPerEU: 1
; NamedBarCnt: 0
; Occupancy: 16
; WaveLimiterHint : 0
; COMPUTE_PGM_RSRC2:SCRATCH_EN: 0
; COMPUTE_PGM_RSRC2:USER_SGPR: 2
; COMPUTE_PGM_RSRC2:TRAP_HANDLER: 0
; COMPUTE_PGM_RSRC2:TGID_X_EN: 1
; COMPUTE_PGM_RSRC2:TGID_Y_EN: 0
; COMPUTE_PGM_RSRC2:TGID_Z_EN: 0
; COMPUTE_PGM_RSRC2:TIDIG_COMP_CNT: 0
	.section	.text._ZN7rocprim17ROCPRIM_400000_NS6detail17trampoline_kernelINS0_14default_configENS1_38merge_sort_block_merge_config_selectorIlNS0_10empty_typeEEEZZNS1_27merge_sort_block_merge_implIS3_PlPS5_jNS1_19radix_merge_compareILb1ELb1ElNS0_19identity_decomposerEEEEE10hipError_tT0_T1_T2_jT3_P12ihipStream_tbPNSt15iterator_traitsISE_E10value_typeEPNSK_ISF_E10value_typeEPSG_NS1_7vsmem_tEENKUlT_SE_SF_SG_E_clIS8_S8_S9_S9_EESD_ST_SE_SF_SG_EUlST_E_NS1_11comp_targetILNS1_3genE4ELNS1_11target_archE910ELNS1_3gpuE8ELNS1_3repE0EEENS1_48merge_mergepath_partition_config_static_selectorELNS0_4arch9wavefront6targetE0EEEvSF_,"axG",@progbits,_ZN7rocprim17ROCPRIM_400000_NS6detail17trampoline_kernelINS0_14default_configENS1_38merge_sort_block_merge_config_selectorIlNS0_10empty_typeEEEZZNS1_27merge_sort_block_merge_implIS3_PlPS5_jNS1_19radix_merge_compareILb1ELb1ElNS0_19identity_decomposerEEEEE10hipError_tT0_T1_T2_jT3_P12ihipStream_tbPNSt15iterator_traitsISE_E10value_typeEPNSK_ISF_E10value_typeEPSG_NS1_7vsmem_tEENKUlT_SE_SF_SG_E_clIS8_S8_S9_S9_EESD_ST_SE_SF_SG_EUlST_E_NS1_11comp_targetILNS1_3genE4ELNS1_11target_archE910ELNS1_3gpuE8ELNS1_3repE0EEENS1_48merge_mergepath_partition_config_static_selectorELNS0_4arch9wavefront6targetE0EEEvSF_,comdat
	.protected	_ZN7rocprim17ROCPRIM_400000_NS6detail17trampoline_kernelINS0_14default_configENS1_38merge_sort_block_merge_config_selectorIlNS0_10empty_typeEEEZZNS1_27merge_sort_block_merge_implIS3_PlPS5_jNS1_19radix_merge_compareILb1ELb1ElNS0_19identity_decomposerEEEEE10hipError_tT0_T1_T2_jT3_P12ihipStream_tbPNSt15iterator_traitsISE_E10value_typeEPNSK_ISF_E10value_typeEPSG_NS1_7vsmem_tEENKUlT_SE_SF_SG_E_clIS8_S8_S9_S9_EESD_ST_SE_SF_SG_EUlST_E_NS1_11comp_targetILNS1_3genE4ELNS1_11target_archE910ELNS1_3gpuE8ELNS1_3repE0EEENS1_48merge_mergepath_partition_config_static_selectorELNS0_4arch9wavefront6targetE0EEEvSF_ ; -- Begin function _ZN7rocprim17ROCPRIM_400000_NS6detail17trampoline_kernelINS0_14default_configENS1_38merge_sort_block_merge_config_selectorIlNS0_10empty_typeEEEZZNS1_27merge_sort_block_merge_implIS3_PlPS5_jNS1_19radix_merge_compareILb1ELb1ElNS0_19identity_decomposerEEEEE10hipError_tT0_T1_T2_jT3_P12ihipStream_tbPNSt15iterator_traitsISE_E10value_typeEPNSK_ISF_E10value_typeEPSG_NS1_7vsmem_tEENKUlT_SE_SF_SG_E_clIS8_S8_S9_S9_EESD_ST_SE_SF_SG_EUlST_E_NS1_11comp_targetILNS1_3genE4ELNS1_11target_archE910ELNS1_3gpuE8ELNS1_3repE0EEENS1_48merge_mergepath_partition_config_static_selectorELNS0_4arch9wavefront6targetE0EEEvSF_
	.globl	_ZN7rocprim17ROCPRIM_400000_NS6detail17trampoline_kernelINS0_14default_configENS1_38merge_sort_block_merge_config_selectorIlNS0_10empty_typeEEEZZNS1_27merge_sort_block_merge_implIS3_PlPS5_jNS1_19radix_merge_compareILb1ELb1ElNS0_19identity_decomposerEEEEE10hipError_tT0_T1_T2_jT3_P12ihipStream_tbPNSt15iterator_traitsISE_E10value_typeEPNSK_ISF_E10value_typeEPSG_NS1_7vsmem_tEENKUlT_SE_SF_SG_E_clIS8_S8_S9_S9_EESD_ST_SE_SF_SG_EUlST_E_NS1_11comp_targetILNS1_3genE4ELNS1_11target_archE910ELNS1_3gpuE8ELNS1_3repE0EEENS1_48merge_mergepath_partition_config_static_selectorELNS0_4arch9wavefront6targetE0EEEvSF_
	.p2align	8
	.type	_ZN7rocprim17ROCPRIM_400000_NS6detail17trampoline_kernelINS0_14default_configENS1_38merge_sort_block_merge_config_selectorIlNS0_10empty_typeEEEZZNS1_27merge_sort_block_merge_implIS3_PlPS5_jNS1_19radix_merge_compareILb1ELb1ElNS0_19identity_decomposerEEEEE10hipError_tT0_T1_T2_jT3_P12ihipStream_tbPNSt15iterator_traitsISE_E10value_typeEPNSK_ISF_E10value_typeEPSG_NS1_7vsmem_tEENKUlT_SE_SF_SG_E_clIS8_S8_S9_S9_EESD_ST_SE_SF_SG_EUlST_E_NS1_11comp_targetILNS1_3genE4ELNS1_11target_archE910ELNS1_3gpuE8ELNS1_3repE0EEENS1_48merge_mergepath_partition_config_static_selectorELNS0_4arch9wavefront6targetE0EEEvSF_,@function
_ZN7rocprim17ROCPRIM_400000_NS6detail17trampoline_kernelINS0_14default_configENS1_38merge_sort_block_merge_config_selectorIlNS0_10empty_typeEEEZZNS1_27merge_sort_block_merge_implIS3_PlPS5_jNS1_19radix_merge_compareILb1ELb1ElNS0_19identity_decomposerEEEEE10hipError_tT0_T1_T2_jT3_P12ihipStream_tbPNSt15iterator_traitsISE_E10value_typeEPNSK_ISF_E10value_typeEPSG_NS1_7vsmem_tEENKUlT_SE_SF_SG_E_clIS8_S8_S9_S9_EESD_ST_SE_SF_SG_EUlST_E_NS1_11comp_targetILNS1_3genE4ELNS1_11target_archE910ELNS1_3gpuE8ELNS1_3repE0EEENS1_48merge_mergepath_partition_config_static_selectorELNS0_4arch9wavefront6targetE0EEEvSF_: ; @_ZN7rocprim17ROCPRIM_400000_NS6detail17trampoline_kernelINS0_14default_configENS1_38merge_sort_block_merge_config_selectorIlNS0_10empty_typeEEEZZNS1_27merge_sort_block_merge_implIS3_PlPS5_jNS1_19radix_merge_compareILb1ELb1ElNS0_19identity_decomposerEEEEE10hipError_tT0_T1_T2_jT3_P12ihipStream_tbPNSt15iterator_traitsISE_E10value_typeEPNSK_ISF_E10value_typeEPSG_NS1_7vsmem_tEENKUlT_SE_SF_SG_E_clIS8_S8_S9_S9_EESD_ST_SE_SF_SG_EUlST_E_NS1_11comp_targetILNS1_3genE4ELNS1_11target_archE910ELNS1_3gpuE8ELNS1_3repE0EEENS1_48merge_mergepath_partition_config_static_selectorELNS0_4arch9wavefront6targetE0EEEvSF_
; %bb.0:
	.section	.rodata,"a",@progbits
	.p2align	6, 0x0
	.amdhsa_kernel _ZN7rocprim17ROCPRIM_400000_NS6detail17trampoline_kernelINS0_14default_configENS1_38merge_sort_block_merge_config_selectorIlNS0_10empty_typeEEEZZNS1_27merge_sort_block_merge_implIS3_PlPS5_jNS1_19radix_merge_compareILb1ELb1ElNS0_19identity_decomposerEEEEE10hipError_tT0_T1_T2_jT3_P12ihipStream_tbPNSt15iterator_traitsISE_E10value_typeEPNSK_ISF_E10value_typeEPSG_NS1_7vsmem_tEENKUlT_SE_SF_SG_E_clIS8_S8_S9_S9_EESD_ST_SE_SF_SG_EUlST_E_NS1_11comp_targetILNS1_3genE4ELNS1_11target_archE910ELNS1_3gpuE8ELNS1_3repE0EEENS1_48merge_mergepath_partition_config_static_selectorELNS0_4arch9wavefront6targetE0EEEvSF_
		.amdhsa_group_segment_fixed_size 0
		.amdhsa_private_segment_fixed_size 0
		.amdhsa_kernarg_size 40
		.amdhsa_user_sgpr_count 2
		.amdhsa_user_sgpr_dispatch_ptr 0
		.amdhsa_user_sgpr_queue_ptr 0
		.amdhsa_user_sgpr_kernarg_segment_ptr 1
		.amdhsa_user_sgpr_dispatch_id 0
		.amdhsa_user_sgpr_kernarg_preload_length 0
		.amdhsa_user_sgpr_kernarg_preload_offset 0
		.amdhsa_user_sgpr_private_segment_size 0
		.amdhsa_wavefront_size32 1
		.amdhsa_uses_dynamic_stack 0
		.amdhsa_enable_private_segment 0
		.amdhsa_system_sgpr_workgroup_id_x 1
		.amdhsa_system_sgpr_workgroup_id_y 0
		.amdhsa_system_sgpr_workgroup_id_z 0
		.amdhsa_system_sgpr_workgroup_info 0
		.amdhsa_system_vgpr_workitem_id 0
		.amdhsa_next_free_vgpr 1
		.amdhsa_next_free_sgpr 1
		.amdhsa_named_barrier_count 0
		.amdhsa_reserve_vcc 0
		.amdhsa_float_round_mode_32 0
		.amdhsa_float_round_mode_16_64 0
		.amdhsa_float_denorm_mode_32 3
		.amdhsa_float_denorm_mode_16_64 3
		.amdhsa_fp16_overflow 0
		.amdhsa_memory_ordered 1
		.amdhsa_forward_progress 1
		.amdhsa_inst_pref_size 0
		.amdhsa_round_robin_scheduling 0
		.amdhsa_exception_fp_ieee_invalid_op 0
		.amdhsa_exception_fp_denorm_src 0
		.amdhsa_exception_fp_ieee_div_zero 0
		.amdhsa_exception_fp_ieee_overflow 0
		.amdhsa_exception_fp_ieee_underflow 0
		.amdhsa_exception_fp_ieee_inexact 0
		.amdhsa_exception_int_div_zero 0
	.end_amdhsa_kernel
	.section	.text._ZN7rocprim17ROCPRIM_400000_NS6detail17trampoline_kernelINS0_14default_configENS1_38merge_sort_block_merge_config_selectorIlNS0_10empty_typeEEEZZNS1_27merge_sort_block_merge_implIS3_PlPS5_jNS1_19radix_merge_compareILb1ELb1ElNS0_19identity_decomposerEEEEE10hipError_tT0_T1_T2_jT3_P12ihipStream_tbPNSt15iterator_traitsISE_E10value_typeEPNSK_ISF_E10value_typeEPSG_NS1_7vsmem_tEENKUlT_SE_SF_SG_E_clIS8_S8_S9_S9_EESD_ST_SE_SF_SG_EUlST_E_NS1_11comp_targetILNS1_3genE4ELNS1_11target_archE910ELNS1_3gpuE8ELNS1_3repE0EEENS1_48merge_mergepath_partition_config_static_selectorELNS0_4arch9wavefront6targetE0EEEvSF_,"axG",@progbits,_ZN7rocprim17ROCPRIM_400000_NS6detail17trampoline_kernelINS0_14default_configENS1_38merge_sort_block_merge_config_selectorIlNS0_10empty_typeEEEZZNS1_27merge_sort_block_merge_implIS3_PlPS5_jNS1_19radix_merge_compareILb1ELb1ElNS0_19identity_decomposerEEEEE10hipError_tT0_T1_T2_jT3_P12ihipStream_tbPNSt15iterator_traitsISE_E10value_typeEPNSK_ISF_E10value_typeEPSG_NS1_7vsmem_tEENKUlT_SE_SF_SG_E_clIS8_S8_S9_S9_EESD_ST_SE_SF_SG_EUlST_E_NS1_11comp_targetILNS1_3genE4ELNS1_11target_archE910ELNS1_3gpuE8ELNS1_3repE0EEENS1_48merge_mergepath_partition_config_static_selectorELNS0_4arch9wavefront6targetE0EEEvSF_,comdat
.Lfunc_end1049:
	.size	_ZN7rocprim17ROCPRIM_400000_NS6detail17trampoline_kernelINS0_14default_configENS1_38merge_sort_block_merge_config_selectorIlNS0_10empty_typeEEEZZNS1_27merge_sort_block_merge_implIS3_PlPS5_jNS1_19radix_merge_compareILb1ELb1ElNS0_19identity_decomposerEEEEE10hipError_tT0_T1_T2_jT3_P12ihipStream_tbPNSt15iterator_traitsISE_E10value_typeEPNSK_ISF_E10value_typeEPSG_NS1_7vsmem_tEENKUlT_SE_SF_SG_E_clIS8_S8_S9_S9_EESD_ST_SE_SF_SG_EUlST_E_NS1_11comp_targetILNS1_3genE4ELNS1_11target_archE910ELNS1_3gpuE8ELNS1_3repE0EEENS1_48merge_mergepath_partition_config_static_selectorELNS0_4arch9wavefront6targetE0EEEvSF_, .Lfunc_end1049-_ZN7rocprim17ROCPRIM_400000_NS6detail17trampoline_kernelINS0_14default_configENS1_38merge_sort_block_merge_config_selectorIlNS0_10empty_typeEEEZZNS1_27merge_sort_block_merge_implIS3_PlPS5_jNS1_19radix_merge_compareILb1ELb1ElNS0_19identity_decomposerEEEEE10hipError_tT0_T1_T2_jT3_P12ihipStream_tbPNSt15iterator_traitsISE_E10value_typeEPNSK_ISF_E10value_typeEPSG_NS1_7vsmem_tEENKUlT_SE_SF_SG_E_clIS8_S8_S9_S9_EESD_ST_SE_SF_SG_EUlST_E_NS1_11comp_targetILNS1_3genE4ELNS1_11target_archE910ELNS1_3gpuE8ELNS1_3repE0EEENS1_48merge_mergepath_partition_config_static_selectorELNS0_4arch9wavefront6targetE0EEEvSF_
                                        ; -- End function
	.set _ZN7rocprim17ROCPRIM_400000_NS6detail17trampoline_kernelINS0_14default_configENS1_38merge_sort_block_merge_config_selectorIlNS0_10empty_typeEEEZZNS1_27merge_sort_block_merge_implIS3_PlPS5_jNS1_19radix_merge_compareILb1ELb1ElNS0_19identity_decomposerEEEEE10hipError_tT0_T1_T2_jT3_P12ihipStream_tbPNSt15iterator_traitsISE_E10value_typeEPNSK_ISF_E10value_typeEPSG_NS1_7vsmem_tEENKUlT_SE_SF_SG_E_clIS8_S8_S9_S9_EESD_ST_SE_SF_SG_EUlST_E_NS1_11comp_targetILNS1_3genE4ELNS1_11target_archE910ELNS1_3gpuE8ELNS1_3repE0EEENS1_48merge_mergepath_partition_config_static_selectorELNS0_4arch9wavefront6targetE0EEEvSF_.num_vgpr, 0
	.set _ZN7rocprim17ROCPRIM_400000_NS6detail17trampoline_kernelINS0_14default_configENS1_38merge_sort_block_merge_config_selectorIlNS0_10empty_typeEEEZZNS1_27merge_sort_block_merge_implIS3_PlPS5_jNS1_19radix_merge_compareILb1ELb1ElNS0_19identity_decomposerEEEEE10hipError_tT0_T1_T2_jT3_P12ihipStream_tbPNSt15iterator_traitsISE_E10value_typeEPNSK_ISF_E10value_typeEPSG_NS1_7vsmem_tEENKUlT_SE_SF_SG_E_clIS8_S8_S9_S9_EESD_ST_SE_SF_SG_EUlST_E_NS1_11comp_targetILNS1_3genE4ELNS1_11target_archE910ELNS1_3gpuE8ELNS1_3repE0EEENS1_48merge_mergepath_partition_config_static_selectorELNS0_4arch9wavefront6targetE0EEEvSF_.num_agpr, 0
	.set _ZN7rocprim17ROCPRIM_400000_NS6detail17trampoline_kernelINS0_14default_configENS1_38merge_sort_block_merge_config_selectorIlNS0_10empty_typeEEEZZNS1_27merge_sort_block_merge_implIS3_PlPS5_jNS1_19radix_merge_compareILb1ELb1ElNS0_19identity_decomposerEEEEE10hipError_tT0_T1_T2_jT3_P12ihipStream_tbPNSt15iterator_traitsISE_E10value_typeEPNSK_ISF_E10value_typeEPSG_NS1_7vsmem_tEENKUlT_SE_SF_SG_E_clIS8_S8_S9_S9_EESD_ST_SE_SF_SG_EUlST_E_NS1_11comp_targetILNS1_3genE4ELNS1_11target_archE910ELNS1_3gpuE8ELNS1_3repE0EEENS1_48merge_mergepath_partition_config_static_selectorELNS0_4arch9wavefront6targetE0EEEvSF_.numbered_sgpr, 0
	.set _ZN7rocprim17ROCPRIM_400000_NS6detail17trampoline_kernelINS0_14default_configENS1_38merge_sort_block_merge_config_selectorIlNS0_10empty_typeEEEZZNS1_27merge_sort_block_merge_implIS3_PlPS5_jNS1_19radix_merge_compareILb1ELb1ElNS0_19identity_decomposerEEEEE10hipError_tT0_T1_T2_jT3_P12ihipStream_tbPNSt15iterator_traitsISE_E10value_typeEPNSK_ISF_E10value_typeEPSG_NS1_7vsmem_tEENKUlT_SE_SF_SG_E_clIS8_S8_S9_S9_EESD_ST_SE_SF_SG_EUlST_E_NS1_11comp_targetILNS1_3genE4ELNS1_11target_archE910ELNS1_3gpuE8ELNS1_3repE0EEENS1_48merge_mergepath_partition_config_static_selectorELNS0_4arch9wavefront6targetE0EEEvSF_.num_named_barrier, 0
	.set _ZN7rocprim17ROCPRIM_400000_NS6detail17trampoline_kernelINS0_14default_configENS1_38merge_sort_block_merge_config_selectorIlNS0_10empty_typeEEEZZNS1_27merge_sort_block_merge_implIS3_PlPS5_jNS1_19radix_merge_compareILb1ELb1ElNS0_19identity_decomposerEEEEE10hipError_tT0_T1_T2_jT3_P12ihipStream_tbPNSt15iterator_traitsISE_E10value_typeEPNSK_ISF_E10value_typeEPSG_NS1_7vsmem_tEENKUlT_SE_SF_SG_E_clIS8_S8_S9_S9_EESD_ST_SE_SF_SG_EUlST_E_NS1_11comp_targetILNS1_3genE4ELNS1_11target_archE910ELNS1_3gpuE8ELNS1_3repE0EEENS1_48merge_mergepath_partition_config_static_selectorELNS0_4arch9wavefront6targetE0EEEvSF_.private_seg_size, 0
	.set _ZN7rocprim17ROCPRIM_400000_NS6detail17trampoline_kernelINS0_14default_configENS1_38merge_sort_block_merge_config_selectorIlNS0_10empty_typeEEEZZNS1_27merge_sort_block_merge_implIS3_PlPS5_jNS1_19radix_merge_compareILb1ELb1ElNS0_19identity_decomposerEEEEE10hipError_tT0_T1_T2_jT3_P12ihipStream_tbPNSt15iterator_traitsISE_E10value_typeEPNSK_ISF_E10value_typeEPSG_NS1_7vsmem_tEENKUlT_SE_SF_SG_E_clIS8_S8_S9_S9_EESD_ST_SE_SF_SG_EUlST_E_NS1_11comp_targetILNS1_3genE4ELNS1_11target_archE910ELNS1_3gpuE8ELNS1_3repE0EEENS1_48merge_mergepath_partition_config_static_selectorELNS0_4arch9wavefront6targetE0EEEvSF_.uses_vcc, 0
	.set _ZN7rocprim17ROCPRIM_400000_NS6detail17trampoline_kernelINS0_14default_configENS1_38merge_sort_block_merge_config_selectorIlNS0_10empty_typeEEEZZNS1_27merge_sort_block_merge_implIS3_PlPS5_jNS1_19radix_merge_compareILb1ELb1ElNS0_19identity_decomposerEEEEE10hipError_tT0_T1_T2_jT3_P12ihipStream_tbPNSt15iterator_traitsISE_E10value_typeEPNSK_ISF_E10value_typeEPSG_NS1_7vsmem_tEENKUlT_SE_SF_SG_E_clIS8_S8_S9_S9_EESD_ST_SE_SF_SG_EUlST_E_NS1_11comp_targetILNS1_3genE4ELNS1_11target_archE910ELNS1_3gpuE8ELNS1_3repE0EEENS1_48merge_mergepath_partition_config_static_selectorELNS0_4arch9wavefront6targetE0EEEvSF_.uses_flat_scratch, 0
	.set _ZN7rocprim17ROCPRIM_400000_NS6detail17trampoline_kernelINS0_14default_configENS1_38merge_sort_block_merge_config_selectorIlNS0_10empty_typeEEEZZNS1_27merge_sort_block_merge_implIS3_PlPS5_jNS1_19radix_merge_compareILb1ELb1ElNS0_19identity_decomposerEEEEE10hipError_tT0_T1_T2_jT3_P12ihipStream_tbPNSt15iterator_traitsISE_E10value_typeEPNSK_ISF_E10value_typeEPSG_NS1_7vsmem_tEENKUlT_SE_SF_SG_E_clIS8_S8_S9_S9_EESD_ST_SE_SF_SG_EUlST_E_NS1_11comp_targetILNS1_3genE4ELNS1_11target_archE910ELNS1_3gpuE8ELNS1_3repE0EEENS1_48merge_mergepath_partition_config_static_selectorELNS0_4arch9wavefront6targetE0EEEvSF_.has_dyn_sized_stack, 0
	.set _ZN7rocprim17ROCPRIM_400000_NS6detail17trampoline_kernelINS0_14default_configENS1_38merge_sort_block_merge_config_selectorIlNS0_10empty_typeEEEZZNS1_27merge_sort_block_merge_implIS3_PlPS5_jNS1_19radix_merge_compareILb1ELb1ElNS0_19identity_decomposerEEEEE10hipError_tT0_T1_T2_jT3_P12ihipStream_tbPNSt15iterator_traitsISE_E10value_typeEPNSK_ISF_E10value_typeEPSG_NS1_7vsmem_tEENKUlT_SE_SF_SG_E_clIS8_S8_S9_S9_EESD_ST_SE_SF_SG_EUlST_E_NS1_11comp_targetILNS1_3genE4ELNS1_11target_archE910ELNS1_3gpuE8ELNS1_3repE0EEENS1_48merge_mergepath_partition_config_static_selectorELNS0_4arch9wavefront6targetE0EEEvSF_.has_recursion, 0
	.set _ZN7rocprim17ROCPRIM_400000_NS6detail17trampoline_kernelINS0_14default_configENS1_38merge_sort_block_merge_config_selectorIlNS0_10empty_typeEEEZZNS1_27merge_sort_block_merge_implIS3_PlPS5_jNS1_19radix_merge_compareILb1ELb1ElNS0_19identity_decomposerEEEEE10hipError_tT0_T1_T2_jT3_P12ihipStream_tbPNSt15iterator_traitsISE_E10value_typeEPNSK_ISF_E10value_typeEPSG_NS1_7vsmem_tEENKUlT_SE_SF_SG_E_clIS8_S8_S9_S9_EESD_ST_SE_SF_SG_EUlST_E_NS1_11comp_targetILNS1_3genE4ELNS1_11target_archE910ELNS1_3gpuE8ELNS1_3repE0EEENS1_48merge_mergepath_partition_config_static_selectorELNS0_4arch9wavefront6targetE0EEEvSF_.has_indirect_call, 0
	.section	.AMDGPU.csdata,"",@progbits
; Kernel info:
; codeLenInByte = 0
; TotalNumSgprs: 0
; NumVgprs: 0
; ScratchSize: 0
; MemoryBound: 0
; FloatMode: 240
; IeeeMode: 1
; LDSByteSize: 0 bytes/workgroup (compile time only)
; SGPRBlocks: 0
; VGPRBlocks: 0
; NumSGPRsForWavesPerEU: 1
; NumVGPRsForWavesPerEU: 1
; NamedBarCnt: 0
; Occupancy: 16
; WaveLimiterHint : 0
; COMPUTE_PGM_RSRC2:SCRATCH_EN: 0
; COMPUTE_PGM_RSRC2:USER_SGPR: 2
; COMPUTE_PGM_RSRC2:TRAP_HANDLER: 0
; COMPUTE_PGM_RSRC2:TGID_X_EN: 1
; COMPUTE_PGM_RSRC2:TGID_Y_EN: 0
; COMPUTE_PGM_RSRC2:TGID_Z_EN: 0
; COMPUTE_PGM_RSRC2:TIDIG_COMP_CNT: 0
	.section	.text._ZN7rocprim17ROCPRIM_400000_NS6detail17trampoline_kernelINS0_14default_configENS1_38merge_sort_block_merge_config_selectorIlNS0_10empty_typeEEEZZNS1_27merge_sort_block_merge_implIS3_PlPS5_jNS1_19radix_merge_compareILb1ELb1ElNS0_19identity_decomposerEEEEE10hipError_tT0_T1_T2_jT3_P12ihipStream_tbPNSt15iterator_traitsISE_E10value_typeEPNSK_ISF_E10value_typeEPSG_NS1_7vsmem_tEENKUlT_SE_SF_SG_E_clIS8_S8_S9_S9_EESD_ST_SE_SF_SG_EUlST_E_NS1_11comp_targetILNS1_3genE3ELNS1_11target_archE908ELNS1_3gpuE7ELNS1_3repE0EEENS1_48merge_mergepath_partition_config_static_selectorELNS0_4arch9wavefront6targetE0EEEvSF_,"axG",@progbits,_ZN7rocprim17ROCPRIM_400000_NS6detail17trampoline_kernelINS0_14default_configENS1_38merge_sort_block_merge_config_selectorIlNS0_10empty_typeEEEZZNS1_27merge_sort_block_merge_implIS3_PlPS5_jNS1_19radix_merge_compareILb1ELb1ElNS0_19identity_decomposerEEEEE10hipError_tT0_T1_T2_jT3_P12ihipStream_tbPNSt15iterator_traitsISE_E10value_typeEPNSK_ISF_E10value_typeEPSG_NS1_7vsmem_tEENKUlT_SE_SF_SG_E_clIS8_S8_S9_S9_EESD_ST_SE_SF_SG_EUlST_E_NS1_11comp_targetILNS1_3genE3ELNS1_11target_archE908ELNS1_3gpuE7ELNS1_3repE0EEENS1_48merge_mergepath_partition_config_static_selectorELNS0_4arch9wavefront6targetE0EEEvSF_,comdat
	.protected	_ZN7rocprim17ROCPRIM_400000_NS6detail17trampoline_kernelINS0_14default_configENS1_38merge_sort_block_merge_config_selectorIlNS0_10empty_typeEEEZZNS1_27merge_sort_block_merge_implIS3_PlPS5_jNS1_19radix_merge_compareILb1ELb1ElNS0_19identity_decomposerEEEEE10hipError_tT0_T1_T2_jT3_P12ihipStream_tbPNSt15iterator_traitsISE_E10value_typeEPNSK_ISF_E10value_typeEPSG_NS1_7vsmem_tEENKUlT_SE_SF_SG_E_clIS8_S8_S9_S9_EESD_ST_SE_SF_SG_EUlST_E_NS1_11comp_targetILNS1_3genE3ELNS1_11target_archE908ELNS1_3gpuE7ELNS1_3repE0EEENS1_48merge_mergepath_partition_config_static_selectorELNS0_4arch9wavefront6targetE0EEEvSF_ ; -- Begin function _ZN7rocprim17ROCPRIM_400000_NS6detail17trampoline_kernelINS0_14default_configENS1_38merge_sort_block_merge_config_selectorIlNS0_10empty_typeEEEZZNS1_27merge_sort_block_merge_implIS3_PlPS5_jNS1_19radix_merge_compareILb1ELb1ElNS0_19identity_decomposerEEEEE10hipError_tT0_T1_T2_jT3_P12ihipStream_tbPNSt15iterator_traitsISE_E10value_typeEPNSK_ISF_E10value_typeEPSG_NS1_7vsmem_tEENKUlT_SE_SF_SG_E_clIS8_S8_S9_S9_EESD_ST_SE_SF_SG_EUlST_E_NS1_11comp_targetILNS1_3genE3ELNS1_11target_archE908ELNS1_3gpuE7ELNS1_3repE0EEENS1_48merge_mergepath_partition_config_static_selectorELNS0_4arch9wavefront6targetE0EEEvSF_
	.globl	_ZN7rocprim17ROCPRIM_400000_NS6detail17trampoline_kernelINS0_14default_configENS1_38merge_sort_block_merge_config_selectorIlNS0_10empty_typeEEEZZNS1_27merge_sort_block_merge_implIS3_PlPS5_jNS1_19radix_merge_compareILb1ELb1ElNS0_19identity_decomposerEEEEE10hipError_tT0_T1_T2_jT3_P12ihipStream_tbPNSt15iterator_traitsISE_E10value_typeEPNSK_ISF_E10value_typeEPSG_NS1_7vsmem_tEENKUlT_SE_SF_SG_E_clIS8_S8_S9_S9_EESD_ST_SE_SF_SG_EUlST_E_NS1_11comp_targetILNS1_3genE3ELNS1_11target_archE908ELNS1_3gpuE7ELNS1_3repE0EEENS1_48merge_mergepath_partition_config_static_selectorELNS0_4arch9wavefront6targetE0EEEvSF_
	.p2align	8
	.type	_ZN7rocprim17ROCPRIM_400000_NS6detail17trampoline_kernelINS0_14default_configENS1_38merge_sort_block_merge_config_selectorIlNS0_10empty_typeEEEZZNS1_27merge_sort_block_merge_implIS3_PlPS5_jNS1_19radix_merge_compareILb1ELb1ElNS0_19identity_decomposerEEEEE10hipError_tT0_T1_T2_jT3_P12ihipStream_tbPNSt15iterator_traitsISE_E10value_typeEPNSK_ISF_E10value_typeEPSG_NS1_7vsmem_tEENKUlT_SE_SF_SG_E_clIS8_S8_S9_S9_EESD_ST_SE_SF_SG_EUlST_E_NS1_11comp_targetILNS1_3genE3ELNS1_11target_archE908ELNS1_3gpuE7ELNS1_3repE0EEENS1_48merge_mergepath_partition_config_static_selectorELNS0_4arch9wavefront6targetE0EEEvSF_,@function
_ZN7rocprim17ROCPRIM_400000_NS6detail17trampoline_kernelINS0_14default_configENS1_38merge_sort_block_merge_config_selectorIlNS0_10empty_typeEEEZZNS1_27merge_sort_block_merge_implIS3_PlPS5_jNS1_19radix_merge_compareILb1ELb1ElNS0_19identity_decomposerEEEEE10hipError_tT0_T1_T2_jT3_P12ihipStream_tbPNSt15iterator_traitsISE_E10value_typeEPNSK_ISF_E10value_typeEPSG_NS1_7vsmem_tEENKUlT_SE_SF_SG_E_clIS8_S8_S9_S9_EESD_ST_SE_SF_SG_EUlST_E_NS1_11comp_targetILNS1_3genE3ELNS1_11target_archE908ELNS1_3gpuE7ELNS1_3repE0EEENS1_48merge_mergepath_partition_config_static_selectorELNS0_4arch9wavefront6targetE0EEEvSF_: ; @_ZN7rocprim17ROCPRIM_400000_NS6detail17trampoline_kernelINS0_14default_configENS1_38merge_sort_block_merge_config_selectorIlNS0_10empty_typeEEEZZNS1_27merge_sort_block_merge_implIS3_PlPS5_jNS1_19radix_merge_compareILb1ELb1ElNS0_19identity_decomposerEEEEE10hipError_tT0_T1_T2_jT3_P12ihipStream_tbPNSt15iterator_traitsISE_E10value_typeEPNSK_ISF_E10value_typeEPSG_NS1_7vsmem_tEENKUlT_SE_SF_SG_E_clIS8_S8_S9_S9_EESD_ST_SE_SF_SG_EUlST_E_NS1_11comp_targetILNS1_3genE3ELNS1_11target_archE908ELNS1_3gpuE7ELNS1_3repE0EEENS1_48merge_mergepath_partition_config_static_selectorELNS0_4arch9wavefront6targetE0EEEvSF_
; %bb.0:
	.section	.rodata,"a",@progbits
	.p2align	6, 0x0
	.amdhsa_kernel _ZN7rocprim17ROCPRIM_400000_NS6detail17trampoline_kernelINS0_14default_configENS1_38merge_sort_block_merge_config_selectorIlNS0_10empty_typeEEEZZNS1_27merge_sort_block_merge_implIS3_PlPS5_jNS1_19radix_merge_compareILb1ELb1ElNS0_19identity_decomposerEEEEE10hipError_tT0_T1_T2_jT3_P12ihipStream_tbPNSt15iterator_traitsISE_E10value_typeEPNSK_ISF_E10value_typeEPSG_NS1_7vsmem_tEENKUlT_SE_SF_SG_E_clIS8_S8_S9_S9_EESD_ST_SE_SF_SG_EUlST_E_NS1_11comp_targetILNS1_3genE3ELNS1_11target_archE908ELNS1_3gpuE7ELNS1_3repE0EEENS1_48merge_mergepath_partition_config_static_selectorELNS0_4arch9wavefront6targetE0EEEvSF_
		.amdhsa_group_segment_fixed_size 0
		.amdhsa_private_segment_fixed_size 0
		.amdhsa_kernarg_size 40
		.amdhsa_user_sgpr_count 2
		.amdhsa_user_sgpr_dispatch_ptr 0
		.amdhsa_user_sgpr_queue_ptr 0
		.amdhsa_user_sgpr_kernarg_segment_ptr 1
		.amdhsa_user_sgpr_dispatch_id 0
		.amdhsa_user_sgpr_kernarg_preload_length 0
		.amdhsa_user_sgpr_kernarg_preload_offset 0
		.amdhsa_user_sgpr_private_segment_size 0
		.amdhsa_wavefront_size32 1
		.amdhsa_uses_dynamic_stack 0
		.amdhsa_enable_private_segment 0
		.amdhsa_system_sgpr_workgroup_id_x 1
		.amdhsa_system_sgpr_workgroup_id_y 0
		.amdhsa_system_sgpr_workgroup_id_z 0
		.amdhsa_system_sgpr_workgroup_info 0
		.amdhsa_system_vgpr_workitem_id 0
		.amdhsa_next_free_vgpr 1
		.amdhsa_next_free_sgpr 1
		.amdhsa_named_barrier_count 0
		.amdhsa_reserve_vcc 0
		.amdhsa_float_round_mode_32 0
		.amdhsa_float_round_mode_16_64 0
		.amdhsa_float_denorm_mode_32 3
		.amdhsa_float_denorm_mode_16_64 3
		.amdhsa_fp16_overflow 0
		.amdhsa_memory_ordered 1
		.amdhsa_forward_progress 1
		.amdhsa_inst_pref_size 0
		.amdhsa_round_robin_scheduling 0
		.amdhsa_exception_fp_ieee_invalid_op 0
		.amdhsa_exception_fp_denorm_src 0
		.amdhsa_exception_fp_ieee_div_zero 0
		.amdhsa_exception_fp_ieee_overflow 0
		.amdhsa_exception_fp_ieee_underflow 0
		.amdhsa_exception_fp_ieee_inexact 0
		.amdhsa_exception_int_div_zero 0
	.end_amdhsa_kernel
	.section	.text._ZN7rocprim17ROCPRIM_400000_NS6detail17trampoline_kernelINS0_14default_configENS1_38merge_sort_block_merge_config_selectorIlNS0_10empty_typeEEEZZNS1_27merge_sort_block_merge_implIS3_PlPS5_jNS1_19radix_merge_compareILb1ELb1ElNS0_19identity_decomposerEEEEE10hipError_tT0_T1_T2_jT3_P12ihipStream_tbPNSt15iterator_traitsISE_E10value_typeEPNSK_ISF_E10value_typeEPSG_NS1_7vsmem_tEENKUlT_SE_SF_SG_E_clIS8_S8_S9_S9_EESD_ST_SE_SF_SG_EUlST_E_NS1_11comp_targetILNS1_3genE3ELNS1_11target_archE908ELNS1_3gpuE7ELNS1_3repE0EEENS1_48merge_mergepath_partition_config_static_selectorELNS0_4arch9wavefront6targetE0EEEvSF_,"axG",@progbits,_ZN7rocprim17ROCPRIM_400000_NS6detail17trampoline_kernelINS0_14default_configENS1_38merge_sort_block_merge_config_selectorIlNS0_10empty_typeEEEZZNS1_27merge_sort_block_merge_implIS3_PlPS5_jNS1_19radix_merge_compareILb1ELb1ElNS0_19identity_decomposerEEEEE10hipError_tT0_T1_T2_jT3_P12ihipStream_tbPNSt15iterator_traitsISE_E10value_typeEPNSK_ISF_E10value_typeEPSG_NS1_7vsmem_tEENKUlT_SE_SF_SG_E_clIS8_S8_S9_S9_EESD_ST_SE_SF_SG_EUlST_E_NS1_11comp_targetILNS1_3genE3ELNS1_11target_archE908ELNS1_3gpuE7ELNS1_3repE0EEENS1_48merge_mergepath_partition_config_static_selectorELNS0_4arch9wavefront6targetE0EEEvSF_,comdat
.Lfunc_end1050:
	.size	_ZN7rocprim17ROCPRIM_400000_NS6detail17trampoline_kernelINS0_14default_configENS1_38merge_sort_block_merge_config_selectorIlNS0_10empty_typeEEEZZNS1_27merge_sort_block_merge_implIS3_PlPS5_jNS1_19radix_merge_compareILb1ELb1ElNS0_19identity_decomposerEEEEE10hipError_tT0_T1_T2_jT3_P12ihipStream_tbPNSt15iterator_traitsISE_E10value_typeEPNSK_ISF_E10value_typeEPSG_NS1_7vsmem_tEENKUlT_SE_SF_SG_E_clIS8_S8_S9_S9_EESD_ST_SE_SF_SG_EUlST_E_NS1_11comp_targetILNS1_3genE3ELNS1_11target_archE908ELNS1_3gpuE7ELNS1_3repE0EEENS1_48merge_mergepath_partition_config_static_selectorELNS0_4arch9wavefront6targetE0EEEvSF_, .Lfunc_end1050-_ZN7rocprim17ROCPRIM_400000_NS6detail17trampoline_kernelINS0_14default_configENS1_38merge_sort_block_merge_config_selectorIlNS0_10empty_typeEEEZZNS1_27merge_sort_block_merge_implIS3_PlPS5_jNS1_19radix_merge_compareILb1ELb1ElNS0_19identity_decomposerEEEEE10hipError_tT0_T1_T2_jT3_P12ihipStream_tbPNSt15iterator_traitsISE_E10value_typeEPNSK_ISF_E10value_typeEPSG_NS1_7vsmem_tEENKUlT_SE_SF_SG_E_clIS8_S8_S9_S9_EESD_ST_SE_SF_SG_EUlST_E_NS1_11comp_targetILNS1_3genE3ELNS1_11target_archE908ELNS1_3gpuE7ELNS1_3repE0EEENS1_48merge_mergepath_partition_config_static_selectorELNS0_4arch9wavefront6targetE0EEEvSF_
                                        ; -- End function
	.set _ZN7rocprim17ROCPRIM_400000_NS6detail17trampoline_kernelINS0_14default_configENS1_38merge_sort_block_merge_config_selectorIlNS0_10empty_typeEEEZZNS1_27merge_sort_block_merge_implIS3_PlPS5_jNS1_19radix_merge_compareILb1ELb1ElNS0_19identity_decomposerEEEEE10hipError_tT0_T1_T2_jT3_P12ihipStream_tbPNSt15iterator_traitsISE_E10value_typeEPNSK_ISF_E10value_typeEPSG_NS1_7vsmem_tEENKUlT_SE_SF_SG_E_clIS8_S8_S9_S9_EESD_ST_SE_SF_SG_EUlST_E_NS1_11comp_targetILNS1_3genE3ELNS1_11target_archE908ELNS1_3gpuE7ELNS1_3repE0EEENS1_48merge_mergepath_partition_config_static_selectorELNS0_4arch9wavefront6targetE0EEEvSF_.num_vgpr, 0
	.set _ZN7rocprim17ROCPRIM_400000_NS6detail17trampoline_kernelINS0_14default_configENS1_38merge_sort_block_merge_config_selectorIlNS0_10empty_typeEEEZZNS1_27merge_sort_block_merge_implIS3_PlPS5_jNS1_19radix_merge_compareILb1ELb1ElNS0_19identity_decomposerEEEEE10hipError_tT0_T1_T2_jT3_P12ihipStream_tbPNSt15iterator_traitsISE_E10value_typeEPNSK_ISF_E10value_typeEPSG_NS1_7vsmem_tEENKUlT_SE_SF_SG_E_clIS8_S8_S9_S9_EESD_ST_SE_SF_SG_EUlST_E_NS1_11comp_targetILNS1_3genE3ELNS1_11target_archE908ELNS1_3gpuE7ELNS1_3repE0EEENS1_48merge_mergepath_partition_config_static_selectorELNS0_4arch9wavefront6targetE0EEEvSF_.num_agpr, 0
	.set _ZN7rocprim17ROCPRIM_400000_NS6detail17trampoline_kernelINS0_14default_configENS1_38merge_sort_block_merge_config_selectorIlNS0_10empty_typeEEEZZNS1_27merge_sort_block_merge_implIS3_PlPS5_jNS1_19radix_merge_compareILb1ELb1ElNS0_19identity_decomposerEEEEE10hipError_tT0_T1_T2_jT3_P12ihipStream_tbPNSt15iterator_traitsISE_E10value_typeEPNSK_ISF_E10value_typeEPSG_NS1_7vsmem_tEENKUlT_SE_SF_SG_E_clIS8_S8_S9_S9_EESD_ST_SE_SF_SG_EUlST_E_NS1_11comp_targetILNS1_3genE3ELNS1_11target_archE908ELNS1_3gpuE7ELNS1_3repE0EEENS1_48merge_mergepath_partition_config_static_selectorELNS0_4arch9wavefront6targetE0EEEvSF_.numbered_sgpr, 0
	.set _ZN7rocprim17ROCPRIM_400000_NS6detail17trampoline_kernelINS0_14default_configENS1_38merge_sort_block_merge_config_selectorIlNS0_10empty_typeEEEZZNS1_27merge_sort_block_merge_implIS3_PlPS5_jNS1_19radix_merge_compareILb1ELb1ElNS0_19identity_decomposerEEEEE10hipError_tT0_T1_T2_jT3_P12ihipStream_tbPNSt15iterator_traitsISE_E10value_typeEPNSK_ISF_E10value_typeEPSG_NS1_7vsmem_tEENKUlT_SE_SF_SG_E_clIS8_S8_S9_S9_EESD_ST_SE_SF_SG_EUlST_E_NS1_11comp_targetILNS1_3genE3ELNS1_11target_archE908ELNS1_3gpuE7ELNS1_3repE0EEENS1_48merge_mergepath_partition_config_static_selectorELNS0_4arch9wavefront6targetE0EEEvSF_.num_named_barrier, 0
	.set _ZN7rocprim17ROCPRIM_400000_NS6detail17trampoline_kernelINS0_14default_configENS1_38merge_sort_block_merge_config_selectorIlNS0_10empty_typeEEEZZNS1_27merge_sort_block_merge_implIS3_PlPS5_jNS1_19radix_merge_compareILb1ELb1ElNS0_19identity_decomposerEEEEE10hipError_tT0_T1_T2_jT3_P12ihipStream_tbPNSt15iterator_traitsISE_E10value_typeEPNSK_ISF_E10value_typeEPSG_NS1_7vsmem_tEENKUlT_SE_SF_SG_E_clIS8_S8_S9_S9_EESD_ST_SE_SF_SG_EUlST_E_NS1_11comp_targetILNS1_3genE3ELNS1_11target_archE908ELNS1_3gpuE7ELNS1_3repE0EEENS1_48merge_mergepath_partition_config_static_selectorELNS0_4arch9wavefront6targetE0EEEvSF_.private_seg_size, 0
	.set _ZN7rocprim17ROCPRIM_400000_NS6detail17trampoline_kernelINS0_14default_configENS1_38merge_sort_block_merge_config_selectorIlNS0_10empty_typeEEEZZNS1_27merge_sort_block_merge_implIS3_PlPS5_jNS1_19radix_merge_compareILb1ELb1ElNS0_19identity_decomposerEEEEE10hipError_tT0_T1_T2_jT3_P12ihipStream_tbPNSt15iterator_traitsISE_E10value_typeEPNSK_ISF_E10value_typeEPSG_NS1_7vsmem_tEENKUlT_SE_SF_SG_E_clIS8_S8_S9_S9_EESD_ST_SE_SF_SG_EUlST_E_NS1_11comp_targetILNS1_3genE3ELNS1_11target_archE908ELNS1_3gpuE7ELNS1_3repE0EEENS1_48merge_mergepath_partition_config_static_selectorELNS0_4arch9wavefront6targetE0EEEvSF_.uses_vcc, 0
	.set _ZN7rocprim17ROCPRIM_400000_NS6detail17trampoline_kernelINS0_14default_configENS1_38merge_sort_block_merge_config_selectorIlNS0_10empty_typeEEEZZNS1_27merge_sort_block_merge_implIS3_PlPS5_jNS1_19radix_merge_compareILb1ELb1ElNS0_19identity_decomposerEEEEE10hipError_tT0_T1_T2_jT3_P12ihipStream_tbPNSt15iterator_traitsISE_E10value_typeEPNSK_ISF_E10value_typeEPSG_NS1_7vsmem_tEENKUlT_SE_SF_SG_E_clIS8_S8_S9_S9_EESD_ST_SE_SF_SG_EUlST_E_NS1_11comp_targetILNS1_3genE3ELNS1_11target_archE908ELNS1_3gpuE7ELNS1_3repE0EEENS1_48merge_mergepath_partition_config_static_selectorELNS0_4arch9wavefront6targetE0EEEvSF_.uses_flat_scratch, 0
	.set _ZN7rocprim17ROCPRIM_400000_NS6detail17trampoline_kernelINS0_14default_configENS1_38merge_sort_block_merge_config_selectorIlNS0_10empty_typeEEEZZNS1_27merge_sort_block_merge_implIS3_PlPS5_jNS1_19radix_merge_compareILb1ELb1ElNS0_19identity_decomposerEEEEE10hipError_tT0_T1_T2_jT3_P12ihipStream_tbPNSt15iterator_traitsISE_E10value_typeEPNSK_ISF_E10value_typeEPSG_NS1_7vsmem_tEENKUlT_SE_SF_SG_E_clIS8_S8_S9_S9_EESD_ST_SE_SF_SG_EUlST_E_NS1_11comp_targetILNS1_3genE3ELNS1_11target_archE908ELNS1_3gpuE7ELNS1_3repE0EEENS1_48merge_mergepath_partition_config_static_selectorELNS0_4arch9wavefront6targetE0EEEvSF_.has_dyn_sized_stack, 0
	.set _ZN7rocprim17ROCPRIM_400000_NS6detail17trampoline_kernelINS0_14default_configENS1_38merge_sort_block_merge_config_selectorIlNS0_10empty_typeEEEZZNS1_27merge_sort_block_merge_implIS3_PlPS5_jNS1_19radix_merge_compareILb1ELb1ElNS0_19identity_decomposerEEEEE10hipError_tT0_T1_T2_jT3_P12ihipStream_tbPNSt15iterator_traitsISE_E10value_typeEPNSK_ISF_E10value_typeEPSG_NS1_7vsmem_tEENKUlT_SE_SF_SG_E_clIS8_S8_S9_S9_EESD_ST_SE_SF_SG_EUlST_E_NS1_11comp_targetILNS1_3genE3ELNS1_11target_archE908ELNS1_3gpuE7ELNS1_3repE0EEENS1_48merge_mergepath_partition_config_static_selectorELNS0_4arch9wavefront6targetE0EEEvSF_.has_recursion, 0
	.set _ZN7rocprim17ROCPRIM_400000_NS6detail17trampoline_kernelINS0_14default_configENS1_38merge_sort_block_merge_config_selectorIlNS0_10empty_typeEEEZZNS1_27merge_sort_block_merge_implIS3_PlPS5_jNS1_19radix_merge_compareILb1ELb1ElNS0_19identity_decomposerEEEEE10hipError_tT0_T1_T2_jT3_P12ihipStream_tbPNSt15iterator_traitsISE_E10value_typeEPNSK_ISF_E10value_typeEPSG_NS1_7vsmem_tEENKUlT_SE_SF_SG_E_clIS8_S8_S9_S9_EESD_ST_SE_SF_SG_EUlST_E_NS1_11comp_targetILNS1_3genE3ELNS1_11target_archE908ELNS1_3gpuE7ELNS1_3repE0EEENS1_48merge_mergepath_partition_config_static_selectorELNS0_4arch9wavefront6targetE0EEEvSF_.has_indirect_call, 0
	.section	.AMDGPU.csdata,"",@progbits
; Kernel info:
; codeLenInByte = 0
; TotalNumSgprs: 0
; NumVgprs: 0
; ScratchSize: 0
; MemoryBound: 0
; FloatMode: 240
; IeeeMode: 1
; LDSByteSize: 0 bytes/workgroup (compile time only)
; SGPRBlocks: 0
; VGPRBlocks: 0
; NumSGPRsForWavesPerEU: 1
; NumVGPRsForWavesPerEU: 1
; NamedBarCnt: 0
; Occupancy: 16
; WaveLimiterHint : 0
; COMPUTE_PGM_RSRC2:SCRATCH_EN: 0
; COMPUTE_PGM_RSRC2:USER_SGPR: 2
; COMPUTE_PGM_RSRC2:TRAP_HANDLER: 0
; COMPUTE_PGM_RSRC2:TGID_X_EN: 1
; COMPUTE_PGM_RSRC2:TGID_Y_EN: 0
; COMPUTE_PGM_RSRC2:TGID_Z_EN: 0
; COMPUTE_PGM_RSRC2:TIDIG_COMP_CNT: 0
	.section	.text._ZN7rocprim17ROCPRIM_400000_NS6detail17trampoline_kernelINS0_14default_configENS1_38merge_sort_block_merge_config_selectorIlNS0_10empty_typeEEEZZNS1_27merge_sort_block_merge_implIS3_PlPS5_jNS1_19radix_merge_compareILb1ELb1ElNS0_19identity_decomposerEEEEE10hipError_tT0_T1_T2_jT3_P12ihipStream_tbPNSt15iterator_traitsISE_E10value_typeEPNSK_ISF_E10value_typeEPSG_NS1_7vsmem_tEENKUlT_SE_SF_SG_E_clIS8_S8_S9_S9_EESD_ST_SE_SF_SG_EUlST_E_NS1_11comp_targetILNS1_3genE2ELNS1_11target_archE906ELNS1_3gpuE6ELNS1_3repE0EEENS1_48merge_mergepath_partition_config_static_selectorELNS0_4arch9wavefront6targetE0EEEvSF_,"axG",@progbits,_ZN7rocprim17ROCPRIM_400000_NS6detail17trampoline_kernelINS0_14default_configENS1_38merge_sort_block_merge_config_selectorIlNS0_10empty_typeEEEZZNS1_27merge_sort_block_merge_implIS3_PlPS5_jNS1_19radix_merge_compareILb1ELb1ElNS0_19identity_decomposerEEEEE10hipError_tT0_T1_T2_jT3_P12ihipStream_tbPNSt15iterator_traitsISE_E10value_typeEPNSK_ISF_E10value_typeEPSG_NS1_7vsmem_tEENKUlT_SE_SF_SG_E_clIS8_S8_S9_S9_EESD_ST_SE_SF_SG_EUlST_E_NS1_11comp_targetILNS1_3genE2ELNS1_11target_archE906ELNS1_3gpuE6ELNS1_3repE0EEENS1_48merge_mergepath_partition_config_static_selectorELNS0_4arch9wavefront6targetE0EEEvSF_,comdat
	.protected	_ZN7rocprim17ROCPRIM_400000_NS6detail17trampoline_kernelINS0_14default_configENS1_38merge_sort_block_merge_config_selectorIlNS0_10empty_typeEEEZZNS1_27merge_sort_block_merge_implIS3_PlPS5_jNS1_19radix_merge_compareILb1ELb1ElNS0_19identity_decomposerEEEEE10hipError_tT0_T1_T2_jT3_P12ihipStream_tbPNSt15iterator_traitsISE_E10value_typeEPNSK_ISF_E10value_typeEPSG_NS1_7vsmem_tEENKUlT_SE_SF_SG_E_clIS8_S8_S9_S9_EESD_ST_SE_SF_SG_EUlST_E_NS1_11comp_targetILNS1_3genE2ELNS1_11target_archE906ELNS1_3gpuE6ELNS1_3repE0EEENS1_48merge_mergepath_partition_config_static_selectorELNS0_4arch9wavefront6targetE0EEEvSF_ ; -- Begin function _ZN7rocprim17ROCPRIM_400000_NS6detail17trampoline_kernelINS0_14default_configENS1_38merge_sort_block_merge_config_selectorIlNS0_10empty_typeEEEZZNS1_27merge_sort_block_merge_implIS3_PlPS5_jNS1_19radix_merge_compareILb1ELb1ElNS0_19identity_decomposerEEEEE10hipError_tT0_T1_T2_jT3_P12ihipStream_tbPNSt15iterator_traitsISE_E10value_typeEPNSK_ISF_E10value_typeEPSG_NS1_7vsmem_tEENKUlT_SE_SF_SG_E_clIS8_S8_S9_S9_EESD_ST_SE_SF_SG_EUlST_E_NS1_11comp_targetILNS1_3genE2ELNS1_11target_archE906ELNS1_3gpuE6ELNS1_3repE0EEENS1_48merge_mergepath_partition_config_static_selectorELNS0_4arch9wavefront6targetE0EEEvSF_
	.globl	_ZN7rocprim17ROCPRIM_400000_NS6detail17trampoline_kernelINS0_14default_configENS1_38merge_sort_block_merge_config_selectorIlNS0_10empty_typeEEEZZNS1_27merge_sort_block_merge_implIS3_PlPS5_jNS1_19radix_merge_compareILb1ELb1ElNS0_19identity_decomposerEEEEE10hipError_tT0_T1_T2_jT3_P12ihipStream_tbPNSt15iterator_traitsISE_E10value_typeEPNSK_ISF_E10value_typeEPSG_NS1_7vsmem_tEENKUlT_SE_SF_SG_E_clIS8_S8_S9_S9_EESD_ST_SE_SF_SG_EUlST_E_NS1_11comp_targetILNS1_3genE2ELNS1_11target_archE906ELNS1_3gpuE6ELNS1_3repE0EEENS1_48merge_mergepath_partition_config_static_selectorELNS0_4arch9wavefront6targetE0EEEvSF_
	.p2align	8
	.type	_ZN7rocprim17ROCPRIM_400000_NS6detail17trampoline_kernelINS0_14default_configENS1_38merge_sort_block_merge_config_selectorIlNS0_10empty_typeEEEZZNS1_27merge_sort_block_merge_implIS3_PlPS5_jNS1_19radix_merge_compareILb1ELb1ElNS0_19identity_decomposerEEEEE10hipError_tT0_T1_T2_jT3_P12ihipStream_tbPNSt15iterator_traitsISE_E10value_typeEPNSK_ISF_E10value_typeEPSG_NS1_7vsmem_tEENKUlT_SE_SF_SG_E_clIS8_S8_S9_S9_EESD_ST_SE_SF_SG_EUlST_E_NS1_11comp_targetILNS1_3genE2ELNS1_11target_archE906ELNS1_3gpuE6ELNS1_3repE0EEENS1_48merge_mergepath_partition_config_static_selectorELNS0_4arch9wavefront6targetE0EEEvSF_,@function
_ZN7rocprim17ROCPRIM_400000_NS6detail17trampoline_kernelINS0_14default_configENS1_38merge_sort_block_merge_config_selectorIlNS0_10empty_typeEEEZZNS1_27merge_sort_block_merge_implIS3_PlPS5_jNS1_19radix_merge_compareILb1ELb1ElNS0_19identity_decomposerEEEEE10hipError_tT0_T1_T2_jT3_P12ihipStream_tbPNSt15iterator_traitsISE_E10value_typeEPNSK_ISF_E10value_typeEPSG_NS1_7vsmem_tEENKUlT_SE_SF_SG_E_clIS8_S8_S9_S9_EESD_ST_SE_SF_SG_EUlST_E_NS1_11comp_targetILNS1_3genE2ELNS1_11target_archE906ELNS1_3gpuE6ELNS1_3repE0EEENS1_48merge_mergepath_partition_config_static_selectorELNS0_4arch9wavefront6targetE0EEEvSF_: ; @_ZN7rocprim17ROCPRIM_400000_NS6detail17trampoline_kernelINS0_14default_configENS1_38merge_sort_block_merge_config_selectorIlNS0_10empty_typeEEEZZNS1_27merge_sort_block_merge_implIS3_PlPS5_jNS1_19radix_merge_compareILb1ELb1ElNS0_19identity_decomposerEEEEE10hipError_tT0_T1_T2_jT3_P12ihipStream_tbPNSt15iterator_traitsISE_E10value_typeEPNSK_ISF_E10value_typeEPSG_NS1_7vsmem_tEENKUlT_SE_SF_SG_E_clIS8_S8_S9_S9_EESD_ST_SE_SF_SG_EUlST_E_NS1_11comp_targetILNS1_3genE2ELNS1_11target_archE906ELNS1_3gpuE6ELNS1_3repE0EEENS1_48merge_mergepath_partition_config_static_selectorELNS0_4arch9wavefront6targetE0EEEvSF_
; %bb.0:
	.section	.rodata,"a",@progbits
	.p2align	6, 0x0
	.amdhsa_kernel _ZN7rocprim17ROCPRIM_400000_NS6detail17trampoline_kernelINS0_14default_configENS1_38merge_sort_block_merge_config_selectorIlNS0_10empty_typeEEEZZNS1_27merge_sort_block_merge_implIS3_PlPS5_jNS1_19radix_merge_compareILb1ELb1ElNS0_19identity_decomposerEEEEE10hipError_tT0_T1_T2_jT3_P12ihipStream_tbPNSt15iterator_traitsISE_E10value_typeEPNSK_ISF_E10value_typeEPSG_NS1_7vsmem_tEENKUlT_SE_SF_SG_E_clIS8_S8_S9_S9_EESD_ST_SE_SF_SG_EUlST_E_NS1_11comp_targetILNS1_3genE2ELNS1_11target_archE906ELNS1_3gpuE6ELNS1_3repE0EEENS1_48merge_mergepath_partition_config_static_selectorELNS0_4arch9wavefront6targetE0EEEvSF_
		.amdhsa_group_segment_fixed_size 0
		.amdhsa_private_segment_fixed_size 0
		.amdhsa_kernarg_size 40
		.amdhsa_user_sgpr_count 2
		.amdhsa_user_sgpr_dispatch_ptr 0
		.amdhsa_user_sgpr_queue_ptr 0
		.amdhsa_user_sgpr_kernarg_segment_ptr 1
		.amdhsa_user_sgpr_dispatch_id 0
		.amdhsa_user_sgpr_kernarg_preload_length 0
		.amdhsa_user_sgpr_kernarg_preload_offset 0
		.amdhsa_user_sgpr_private_segment_size 0
		.amdhsa_wavefront_size32 1
		.amdhsa_uses_dynamic_stack 0
		.amdhsa_enable_private_segment 0
		.amdhsa_system_sgpr_workgroup_id_x 1
		.amdhsa_system_sgpr_workgroup_id_y 0
		.amdhsa_system_sgpr_workgroup_id_z 0
		.amdhsa_system_sgpr_workgroup_info 0
		.amdhsa_system_vgpr_workitem_id 0
		.amdhsa_next_free_vgpr 1
		.amdhsa_next_free_sgpr 1
		.amdhsa_named_barrier_count 0
		.amdhsa_reserve_vcc 0
		.amdhsa_float_round_mode_32 0
		.amdhsa_float_round_mode_16_64 0
		.amdhsa_float_denorm_mode_32 3
		.amdhsa_float_denorm_mode_16_64 3
		.amdhsa_fp16_overflow 0
		.amdhsa_memory_ordered 1
		.amdhsa_forward_progress 1
		.amdhsa_inst_pref_size 0
		.amdhsa_round_robin_scheduling 0
		.amdhsa_exception_fp_ieee_invalid_op 0
		.amdhsa_exception_fp_denorm_src 0
		.amdhsa_exception_fp_ieee_div_zero 0
		.amdhsa_exception_fp_ieee_overflow 0
		.amdhsa_exception_fp_ieee_underflow 0
		.amdhsa_exception_fp_ieee_inexact 0
		.amdhsa_exception_int_div_zero 0
	.end_amdhsa_kernel
	.section	.text._ZN7rocprim17ROCPRIM_400000_NS6detail17trampoline_kernelINS0_14default_configENS1_38merge_sort_block_merge_config_selectorIlNS0_10empty_typeEEEZZNS1_27merge_sort_block_merge_implIS3_PlPS5_jNS1_19radix_merge_compareILb1ELb1ElNS0_19identity_decomposerEEEEE10hipError_tT0_T1_T2_jT3_P12ihipStream_tbPNSt15iterator_traitsISE_E10value_typeEPNSK_ISF_E10value_typeEPSG_NS1_7vsmem_tEENKUlT_SE_SF_SG_E_clIS8_S8_S9_S9_EESD_ST_SE_SF_SG_EUlST_E_NS1_11comp_targetILNS1_3genE2ELNS1_11target_archE906ELNS1_3gpuE6ELNS1_3repE0EEENS1_48merge_mergepath_partition_config_static_selectorELNS0_4arch9wavefront6targetE0EEEvSF_,"axG",@progbits,_ZN7rocprim17ROCPRIM_400000_NS6detail17trampoline_kernelINS0_14default_configENS1_38merge_sort_block_merge_config_selectorIlNS0_10empty_typeEEEZZNS1_27merge_sort_block_merge_implIS3_PlPS5_jNS1_19radix_merge_compareILb1ELb1ElNS0_19identity_decomposerEEEEE10hipError_tT0_T1_T2_jT3_P12ihipStream_tbPNSt15iterator_traitsISE_E10value_typeEPNSK_ISF_E10value_typeEPSG_NS1_7vsmem_tEENKUlT_SE_SF_SG_E_clIS8_S8_S9_S9_EESD_ST_SE_SF_SG_EUlST_E_NS1_11comp_targetILNS1_3genE2ELNS1_11target_archE906ELNS1_3gpuE6ELNS1_3repE0EEENS1_48merge_mergepath_partition_config_static_selectorELNS0_4arch9wavefront6targetE0EEEvSF_,comdat
.Lfunc_end1051:
	.size	_ZN7rocprim17ROCPRIM_400000_NS6detail17trampoline_kernelINS0_14default_configENS1_38merge_sort_block_merge_config_selectorIlNS0_10empty_typeEEEZZNS1_27merge_sort_block_merge_implIS3_PlPS5_jNS1_19radix_merge_compareILb1ELb1ElNS0_19identity_decomposerEEEEE10hipError_tT0_T1_T2_jT3_P12ihipStream_tbPNSt15iterator_traitsISE_E10value_typeEPNSK_ISF_E10value_typeEPSG_NS1_7vsmem_tEENKUlT_SE_SF_SG_E_clIS8_S8_S9_S9_EESD_ST_SE_SF_SG_EUlST_E_NS1_11comp_targetILNS1_3genE2ELNS1_11target_archE906ELNS1_3gpuE6ELNS1_3repE0EEENS1_48merge_mergepath_partition_config_static_selectorELNS0_4arch9wavefront6targetE0EEEvSF_, .Lfunc_end1051-_ZN7rocprim17ROCPRIM_400000_NS6detail17trampoline_kernelINS0_14default_configENS1_38merge_sort_block_merge_config_selectorIlNS0_10empty_typeEEEZZNS1_27merge_sort_block_merge_implIS3_PlPS5_jNS1_19radix_merge_compareILb1ELb1ElNS0_19identity_decomposerEEEEE10hipError_tT0_T1_T2_jT3_P12ihipStream_tbPNSt15iterator_traitsISE_E10value_typeEPNSK_ISF_E10value_typeEPSG_NS1_7vsmem_tEENKUlT_SE_SF_SG_E_clIS8_S8_S9_S9_EESD_ST_SE_SF_SG_EUlST_E_NS1_11comp_targetILNS1_3genE2ELNS1_11target_archE906ELNS1_3gpuE6ELNS1_3repE0EEENS1_48merge_mergepath_partition_config_static_selectorELNS0_4arch9wavefront6targetE0EEEvSF_
                                        ; -- End function
	.set _ZN7rocprim17ROCPRIM_400000_NS6detail17trampoline_kernelINS0_14default_configENS1_38merge_sort_block_merge_config_selectorIlNS0_10empty_typeEEEZZNS1_27merge_sort_block_merge_implIS3_PlPS5_jNS1_19radix_merge_compareILb1ELb1ElNS0_19identity_decomposerEEEEE10hipError_tT0_T1_T2_jT3_P12ihipStream_tbPNSt15iterator_traitsISE_E10value_typeEPNSK_ISF_E10value_typeEPSG_NS1_7vsmem_tEENKUlT_SE_SF_SG_E_clIS8_S8_S9_S9_EESD_ST_SE_SF_SG_EUlST_E_NS1_11comp_targetILNS1_3genE2ELNS1_11target_archE906ELNS1_3gpuE6ELNS1_3repE0EEENS1_48merge_mergepath_partition_config_static_selectorELNS0_4arch9wavefront6targetE0EEEvSF_.num_vgpr, 0
	.set _ZN7rocprim17ROCPRIM_400000_NS6detail17trampoline_kernelINS0_14default_configENS1_38merge_sort_block_merge_config_selectorIlNS0_10empty_typeEEEZZNS1_27merge_sort_block_merge_implIS3_PlPS5_jNS1_19radix_merge_compareILb1ELb1ElNS0_19identity_decomposerEEEEE10hipError_tT0_T1_T2_jT3_P12ihipStream_tbPNSt15iterator_traitsISE_E10value_typeEPNSK_ISF_E10value_typeEPSG_NS1_7vsmem_tEENKUlT_SE_SF_SG_E_clIS8_S8_S9_S9_EESD_ST_SE_SF_SG_EUlST_E_NS1_11comp_targetILNS1_3genE2ELNS1_11target_archE906ELNS1_3gpuE6ELNS1_3repE0EEENS1_48merge_mergepath_partition_config_static_selectorELNS0_4arch9wavefront6targetE0EEEvSF_.num_agpr, 0
	.set _ZN7rocprim17ROCPRIM_400000_NS6detail17trampoline_kernelINS0_14default_configENS1_38merge_sort_block_merge_config_selectorIlNS0_10empty_typeEEEZZNS1_27merge_sort_block_merge_implIS3_PlPS5_jNS1_19radix_merge_compareILb1ELb1ElNS0_19identity_decomposerEEEEE10hipError_tT0_T1_T2_jT3_P12ihipStream_tbPNSt15iterator_traitsISE_E10value_typeEPNSK_ISF_E10value_typeEPSG_NS1_7vsmem_tEENKUlT_SE_SF_SG_E_clIS8_S8_S9_S9_EESD_ST_SE_SF_SG_EUlST_E_NS1_11comp_targetILNS1_3genE2ELNS1_11target_archE906ELNS1_3gpuE6ELNS1_3repE0EEENS1_48merge_mergepath_partition_config_static_selectorELNS0_4arch9wavefront6targetE0EEEvSF_.numbered_sgpr, 0
	.set _ZN7rocprim17ROCPRIM_400000_NS6detail17trampoline_kernelINS0_14default_configENS1_38merge_sort_block_merge_config_selectorIlNS0_10empty_typeEEEZZNS1_27merge_sort_block_merge_implIS3_PlPS5_jNS1_19radix_merge_compareILb1ELb1ElNS0_19identity_decomposerEEEEE10hipError_tT0_T1_T2_jT3_P12ihipStream_tbPNSt15iterator_traitsISE_E10value_typeEPNSK_ISF_E10value_typeEPSG_NS1_7vsmem_tEENKUlT_SE_SF_SG_E_clIS8_S8_S9_S9_EESD_ST_SE_SF_SG_EUlST_E_NS1_11comp_targetILNS1_3genE2ELNS1_11target_archE906ELNS1_3gpuE6ELNS1_3repE0EEENS1_48merge_mergepath_partition_config_static_selectorELNS0_4arch9wavefront6targetE0EEEvSF_.num_named_barrier, 0
	.set _ZN7rocprim17ROCPRIM_400000_NS6detail17trampoline_kernelINS0_14default_configENS1_38merge_sort_block_merge_config_selectorIlNS0_10empty_typeEEEZZNS1_27merge_sort_block_merge_implIS3_PlPS5_jNS1_19radix_merge_compareILb1ELb1ElNS0_19identity_decomposerEEEEE10hipError_tT0_T1_T2_jT3_P12ihipStream_tbPNSt15iterator_traitsISE_E10value_typeEPNSK_ISF_E10value_typeEPSG_NS1_7vsmem_tEENKUlT_SE_SF_SG_E_clIS8_S8_S9_S9_EESD_ST_SE_SF_SG_EUlST_E_NS1_11comp_targetILNS1_3genE2ELNS1_11target_archE906ELNS1_3gpuE6ELNS1_3repE0EEENS1_48merge_mergepath_partition_config_static_selectorELNS0_4arch9wavefront6targetE0EEEvSF_.private_seg_size, 0
	.set _ZN7rocprim17ROCPRIM_400000_NS6detail17trampoline_kernelINS0_14default_configENS1_38merge_sort_block_merge_config_selectorIlNS0_10empty_typeEEEZZNS1_27merge_sort_block_merge_implIS3_PlPS5_jNS1_19radix_merge_compareILb1ELb1ElNS0_19identity_decomposerEEEEE10hipError_tT0_T1_T2_jT3_P12ihipStream_tbPNSt15iterator_traitsISE_E10value_typeEPNSK_ISF_E10value_typeEPSG_NS1_7vsmem_tEENKUlT_SE_SF_SG_E_clIS8_S8_S9_S9_EESD_ST_SE_SF_SG_EUlST_E_NS1_11comp_targetILNS1_3genE2ELNS1_11target_archE906ELNS1_3gpuE6ELNS1_3repE0EEENS1_48merge_mergepath_partition_config_static_selectorELNS0_4arch9wavefront6targetE0EEEvSF_.uses_vcc, 0
	.set _ZN7rocprim17ROCPRIM_400000_NS6detail17trampoline_kernelINS0_14default_configENS1_38merge_sort_block_merge_config_selectorIlNS0_10empty_typeEEEZZNS1_27merge_sort_block_merge_implIS3_PlPS5_jNS1_19radix_merge_compareILb1ELb1ElNS0_19identity_decomposerEEEEE10hipError_tT0_T1_T2_jT3_P12ihipStream_tbPNSt15iterator_traitsISE_E10value_typeEPNSK_ISF_E10value_typeEPSG_NS1_7vsmem_tEENKUlT_SE_SF_SG_E_clIS8_S8_S9_S9_EESD_ST_SE_SF_SG_EUlST_E_NS1_11comp_targetILNS1_3genE2ELNS1_11target_archE906ELNS1_3gpuE6ELNS1_3repE0EEENS1_48merge_mergepath_partition_config_static_selectorELNS0_4arch9wavefront6targetE0EEEvSF_.uses_flat_scratch, 0
	.set _ZN7rocprim17ROCPRIM_400000_NS6detail17trampoline_kernelINS0_14default_configENS1_38merge_sort_block_merge_config_selectorIlNS0_10empty_typeEEEZZNS1_27merge_sort_block_merge_implIS3_PlPS5_jNS1_19radix_merge_compareILb1ELb1ElNS0_19identity_decomposerEEEEE10hipError_tT0_T1_T2_jT3_P12ihipStream_tbPNSt15iterator_traitsISE_E10value_typeEPNSK_ISF_E10value_typeEPSG_NS1_7vsmem_tEENKUlT_SE_SF_SG_E_clIS8_S8_S9_S9_EESD_ST_SE_SF_SG_EUlST_E_NS1_11comp_targetILNS1_3genE2ELNS1_11target_archE906ELNS1_3gpuE6ELNS1_3repE0EEENS1_48merge_mergepath_partition_config_static_selectorELNS0_4arch9wavefront6targetE0EEEvSF_.has_dyn_sized_stack, 0
	.set _ZN7rocprim17ROCPRIM_400000_NS6detail17trampoline_kernelINS0_14default_configENS1_38merge_sort_block_merge_config_selectorIlNS0_10empty_typeEEEZZNS1_27merge_sort_block_merge_implIS3_PlPS5_jNS1_19radix_merge_compareILb1ELb1ElNS0_19identity_decomposerEEEEE10hipError_tT0_T1_T2_jT3_P12ihipStream_tbPNSt15iterator_traitsISE_E10value_typeEPNSK_ISF_E10value_typeEPSG_NS1_7vsmem_tEENKUlT_SE_SF_SG_E_clIS8_S8_S9_S9_EESD_ST_SE_SF_SG_EUlST_E_NS1_11comp_targetILNS1_3genE2ELNS1_11target_archE906ELNS1_3gpuE6ELNS1_3repE0EEENS1_48merge_mergepath_partition_config_static_selectorELNS0_4arch9wavefront6targetE0EEEvSF_.has_recursion, 0
	.set _ZN7rocprim17ROCPRIM_400000_NS6detail17trampoline_kernelINS0_14default_configENS1_38merge_sort_block_merge_config_selectorIlNS0_10empty_typeEEEZZNS1_27merge_sort_block_merge_implIS3_PlPS5_jNS1_19radix_merge_compareILb1ELb1ElNS0_19identity_decomposerEEEEE10hipError_tT0_T1_T2_jT3_P12ihipStream_tbPNSt15iterator_traitsISE_E10value_typeEPNSK_ISF_E10value_typeEPSG_NS1_7vsmem_tEENKUlT_SE_SF_SG_E_clIS8_S8_S9_S9_EESD_ST_SE_SF_SG_EUlST_E_NS1_11comp_targetILNS1_3genE2ELNS1_11target_archE906ELNS1_3gpuE6ELNS1_3repE0EEENS1_48merge_mergepath_partition_config_static_selectorELNS0_4arch9wavefront6targetE0EEEvSF_.has_indirect_call, 0
	.section	.AMDGPU.csdata,"",@progbits
; Kernel info:
; codeLenInByte = 0
; TotalNumSgprs: 0
; NumVgprs: 0
; ScratchSize: 0
; MemoryBound: 0
; FloatMode: 240
; IeeeMode: 1
; LDSByteSize: 0 bytes/workgroup (compile time only)
; SGPRBlocks: 0
; VGPRBlocks: 0
; NumSGPRsForWavesPerEU: 1
; NumVGPRsForWavesPerEU: 1
; NamedBarCnt: 0
; Occupancy: 16
; WaveLimiterHint : 0
; COMPUTE_PGM_RSRC2:SCRATCH_EN: 0
; COMPUTE_PGM_RSRC2:USER_SGPR: 2
; COMPUTE_PGM_RSRC2:TRAP_HANDLER: 0
; COMPUTE_PGM_RSRC2:TGID_X_EN: 1
; COMPUTE_PGM_RSRC2:TGID_Y_EN: 0
; COMPUTE_PGM_RSRC2:TGID_Z_EN: 0
; COMPUTE_PGM_RSRC2:TIDIG_COMP_CNT: 0
	.section	.text._ZN7rocprim17ROCPRIM_400000_NS6detail17trampoline_kernelINS0_14default_configENS1_38merge_sort_block_merge_config_selectorIlNS0_10empty_typeEEEZZNS1_27merge_sort_block_merge_implIS3_PlPS5_jNS1_19radix_merge_compareILb1ELb1ElNS0_19identity_decomposerEEEEE10hipError_tT0_T1_T2_jT3_P12ihipStream_tbPNSt15iterator_traitsISE_E10value_typeEPNSK_ISF_E10value_typeEPSG_NS1_7vsmem_tEENKUlT_SE_SF_SG_E_clIS8_S8_S9_S9_EESD_ST_SE_SF_SG_EUlST_E_NS1_11comp_targetILNS1_3genE9ELNS1_11target_archE1100ELNS1_3gpuE3ELNS1_3repE0EEENS1_48merge_mergepath_partition_config_static_selectorELNS0_4arch9wavefront6targetE0EEEvSF_,"axG",@progbits,_ZN7rocprim17ROCPRIM_400000_NS6detail17trampoline_kernelINS0_14default_configENS1_38merge_sort_block_merge_config_selectorIlNS0_10empty_typeEEEZZNS1_27merge_sort_block_merge_implIS3_PlPS5_jNS1_19radix_merge_compareILb1ELb1ElNS0_19identity_decomposerEEEEE10hipError_tT0_T1_T2_jT3_P12ihipStream_tbPNSt15iterator_traitsISE_E10value_typeEPNSK_ISF_E10value_typeEPSG_NS1_7vsmem_tEENKUlT_SE_SF_SG_E_clIS8_S8_S9_S9_EESD_ST_SE_SF_SG_EUlST_E_NS1_11comp_targetILNS1_3genE9ELNS1_11target_archE1100ELNS1_3gpuE3ELNS1_3repE0EEENS1_48merge_mergepath_partition_config_static_selectorELNS0_4arch9wavefront6targetE0EEEvSF_,comdat
	.protected	_ZN7rocprim17ROCPRIM_400000_NS6detail17trampoline_kernelINS0_14default_configENS1_38merge_sort_block_merge_config_selectorIlNS0_10empty_typeEEEZZNS1_27merge_sort_block_merge_implIS3_PlPS5_jNS1_19radix_merge_compareILb1ELb1ElNS0_19identity_decomposerEEEEE10hipError_tT0_T1_T2_jT3_P12ihipStream_tbPNSt15iterator_traitsISE_E10value_typeEPNSK_ISF_E10value_typeEPSG_NS1_7vsmem_tEENKUlT_SE_SF_SG_E_clIS8_S8_S9_S9_EESD_ST_SE_SF_SG_EUlST_E_NS1_11comp_targetILNS1_3genE9ELNS1_11target_archE1100ELNS1_3gpuE3ELNS1_3repE0EEENS1_48merge_mergepath_partition_config_static_selectorELNS0_4arch9wavefront6targetE0EEEvSF_ ; -- Begin function _ZN7rocprim17ROCPRIM_400000_NS6detail17trampoline_kernelINS0_14default_configENS1_38merge_sort_block_merge_config_selectorIlNS0_10empty_typeEEEZZNS1_27merge_sort_block_merge_implIS3_PlPS5_jNS1_19radix_merge_compareILb1ELb1ElNS0_19identity_decomposerEEEEE10hipError_tT0_T1_T2_jT3_P12ihipStream_tbPNSt15iterator_traitsISE_E10value_typeEPNSK_ISF_E10value_typeEPSG_NS1_7vsmem_tEENKUlT_SE_SF_SG_E_clIS8_S8_S9_S9_EESD_ST_SE_SF_SG_EUlST_E_NS1_11comp_targetILNS1_3genE9ELNS1_11target_archE1100ELNS1_3gpuE3ELNS1_3repE0EEENS1_48merge_mergepath_partition_config_static_selectorELNS0_4arch9wavefront6targetE0EEEvSF_
	.globl	_ZN7rocprim17ROCPRIM_400000_NS6detail17trampoline_kernelINS0_14default_configENS1_38merge_sort_block_merge_config_selectorIlNS0_10empty_typeEEEZZNS1_27merge_sort_block_merge_implIS3_PlPS5_jNS1_19radix_merge_compareILb1ELb1ElNS0_19identity_decomposerEEEEE10hipError_tT0_T1_T2_jT3_P12ihipStream_tbPNSt15iterator_traitsISE_E10value_typeEPNSK_ISF_E10value_typeEPSG_NS1_7vsmem_tEENKUlT_SE_SF_SG_E_clIS8_S8_S9_S9_EESD_ST_SE_SF_SG_EUlST_E_NS1_11comp_targetILNS1_3genE9ELNS1_11target_archE1100ELNS1_3gpuE3ELNS1_3repE0EEENS1_48merge_mergepath_partition_config_static_selectorELNS0_4arch9wavefront6targetE0EEEvSF_
	.p2align	8
	.type	_ZN7rocprim17ROCPRIM_400000_NS6detail17trampoline_kernelINS0_14default_configENS1_38merge_sort_block_merge_config_selectorIlNS0_10empty_typeEEEZZNS1_27merge_sort_block_merge_implIS3_PlPS5_jNS1_19radix_merge_compareILb1ELb1ElNS0_19identity_decomposerEEEEE10hipError_tT0_T1_T2_jT3_P12ihipStream_tbPNSt15iterator_traitsISE_E10value_typeEPNSK_ISF_E10value_typeEPSG_NS1_7vsmem_tEENKUlT_SE_SF_SG_E_clIS8_S8_S9_S9_EESD_ST_SE_SF_SG_EUlST_E_NS1_11comp_targetILNS1_3genE9ELNS1_11target_archE1100ELNS1_3gpuE3ELNS1_3repE0EEENS1_48merge_mergepath_partition_config_static_selectorELNS0_4arch9wavefront6targetE0EEEvSF_,@function
_ZN7rocprim17ROCPRIM_400000_NS6detail17trampoline_kernelINS0_14default_configENS1_38merge_sort_block_merge_config_selectorIlNS0_10empty_typeEEEZZNS1_27merge_sort_block_merge_implIS3_PlPS5_jNS1_19radix_merge_compareILb1ELb1ElNS0_19identity_decomposerEEEEE10hipError_tT0_T1_T2_jT3_P12ihipStream_tbPNSt15iterator_traitsISE_E10value_typeEPNSK_ISF_E10value_typeEPSG_NS1_7vsmem_tEENKUlT_SE_SF_SG_E_clIS8_S8_S9_S9_EESD_ST_SE_SF_SG_EUlST_E_NS1_11comp_targetILNS1_3genE9ELNS1_11target_archE1100ELNS1_3gpuE3ELNS1_3repE0EEENS1_48merge_mergepath_partition_config_static_selectorELNS0_4arch9wavefront6targetE0EEEvSF_: ; @_ZN7rocprim17ROCPRIM_400000_NS6detail17trampoline_kernelINS0_14default_configENS1_38merge_sort_block_merge_config_selectorIlNS0_10empty_typeEEEZZNS1_27merge_sort_block_merge_implIS3_PlPS5_jNS1_19radix_merge_compareILb1ELb1ElNS0_19identity_decomposerEEEEE10hipError_tT0_T1_T2_jT3_P12ihipStream_tbPNSt15iterator_traitsISE_E10value_typeEPNSK_ISF_E10value_typeEPSG_NS1_7vsmem_tEENKUlT_SE_SF_SG_E_clIS8_S8_S9_S9_EESD_ST_SE_SF_SG_EUlST_E_NS1_11comp_targetILNS1_3genE9ELNS1_11target_archE1100ELNS1_3gpuE3ELNS1_3repE0EEENS1_48merge_mergepath_partition_config_static_selectorELNS0_4arch9wavefront6targetE0EEEvSF_
; %bb.0:
	.section	.rodata,"a",@progbits
	.p2align	6, 0x0
	.amdhsa_kernel _ZN7rocprim17ROCPRIM_400000_NS6detail17trampoline_kernelINS0_14default_configENS1_38merge_sort_block_merge_config_selectorIlNS0_10empty_typeEEEZZNS1_27merge_sort_block_merge_implIS3_PlPS5_jNS1_19radix_merge_compareILb1ELb1ElNS0_19identity_decomposerEEEEE10hipError_tT0_T1_T2_jT3_P12ihipStream_tbPNSt15iterator_traitsISE_E10value_typeEPNSK_ISF_E10value_typeEPSG_NS1_7vsmem_tEENKUlT_SE_SF_SG_E_clIS8_S8_S9_S9_EESD_ST_SE_SF_SG_EUlST_E_NS1_11comp_targetILNS1_3genE9ELNS1_11target_archE1100ELNS1_3gpuE3ELNS1_3repE0EEENS1_48merge_mergepath_partition_config_static_selectorELNS0_4arch9wavefront6targetE0EEEvSF_
		.amdhsa_group_segment_fixed_size 0
		.amdhsa_private_segment_fixed_size 0
		.amdhsa_kernarg_size 40
		.amdhsa_user_sgpr_count 2
		.amdhsa_user_sgpr_dispatch_ptr 0
		.amdhsa_user_sgpr_queue_ptr 0
		.amdhsa_user_sgpr_kernarg_segment_ptr 1
		.amdhsa_user_sgpr_dispatch_id 0
		.amdhsa_user_sgpr_kernarg_preload_length 0
		.amdhsa_user_sgpr_kernarg_preload_offset 0
		.amdhsa_user_sgpr_private_segment_size 0
		.amdhsa_wavefront_size32 1
		.amdhsa_uses_dynamic_stack 0
		.amdhsa_enable_private_segment 0
		.amdhsa_system_sgpr_workgroup_id_x 1
		.amdhsa_system_sgpr_workgroup_id_y 0
		.amdhsa_system_sgpr_workgroup_id_z 0
		.amdhsa_system_sgpr_workgroup_info 0
		.amdhsa_system_vgpr_workitem_id 0
		.amdhsa_next_free_vgpr 1
		.amdhsa_next_free_sgpr 1
		.amdhsa_named_barrier_count 0
		.amdhsa_reserve_vcc 0
		.amdhsa_float_round_mode_32 0
		.amdhsa_float_round_mode_16_64 0
		.amdhsa_float_denorm_mode_32 3
		.amdhsa_float_denorm_mode_16_64 3
		.amdhsa_fp16_overflow 0
		.amdhsa_memory_ordered 1
		.amdhsa_forward_progress 1
		.amdhsa_inst_pref_size 0
		.amdhsa_round_robin_scheduling 0
		.amdhsa_exception_fp_ieee_invalid_op 0
		.amdhsa_exception_fp_denorm_src 0
		.amdhsa_exception_fp_ieee_div_zero 0
		.amdhsa_exception_fp_ieee_overflow 0
		.amdhsa_exception_fp_ieee_underflow 0
		.amdhsa_exception_fp_ieee_inexact 0
		.amdhsa_exception_int_div_zero 0
	.end_amdhsa_kernel
	.section	.text._ZN7rocprim17ROCPRIM_400000_NS6detail17trampoline_kernelINS0_14default_configENS1_38merge_sort_block_merge_config_selectorIlNS0_10empty_typeEEEZZNS1_27merge_sort_block_merge_implIS3_PlPS5_jNS1_19radix_merge_compareILb1ELb1ElNS0_19identity_decomposerEEEEE10hipError_tT0_T1_T2_jT3_P12ihipStream_tbPNSt15iterator_traitsISE_E10value_typeEPNSK_ISF_E10value_typeEPSG_NS1_7vsmem_tEENKUlT_SE_SF_SG_E_clIS8_S8_S9_S9_EESD_ST_SE_SF_SG_EUlST_E_NS1_11comp_targetILNS1_3genE9ELNS1_11target_archE1100ELNS1_3gpuE3ELNS1_3repE0EEENS1_48merge_mergepath_partition_config_static_selectorELNS0_4arch9wavefront6targetE0EEEvSF_,"axG",@progbits,_ZN7rocprim17ROCPRIM_400000_NS6detail17trampoline_kernelINS0_14default_configENS1_38merge_sort_block_merge_config_selectorIlNS0_10empty_typeEEEZZNS1_27merge_sort_block_merge_implIS3_PlPS5_jNS1_19radix_merge_compareILb1ELb1ElNS0_19identity_decomposerEEEEE10hipError_tT0_T1_T2_jT3_P12ihipStream_tbPNSt15iterator_traitsISE_E10value_typeEPNSK_ISF_E10value_typeEPSG_NS1_7vsmem_tEENKUlT_SE_SF_SG_E_clIS8_S8_S9_S9_EESD_ST_SE_SF_SG_EUlST_E_NS1_11comp_targetILNS1_3genE9ELNS1_11target_archE1100ELNS1_3gpuE3ELNS1_3repE0EEENS1_48merge_mergepath_partition_config_static_selectorELNS0_4arch9wavefront6targetE0EEEvSF_,comdat
.Lfunc_end1052:
	.size	_ZN7rocprim17ROCPRIM_400000_NS6detail17trampoline_kernelINS0_14default_configENS1_38merge_sort_block_merge_config_selectorIlNS0_10empty_typeEEEZZNS1_27merge_sort_block_merge_implIS3_PlPS5_jNS1_19radix_merge_compareILb1ELb1ElNS0_19identity_decomposerEEEEE10hipError_tT0_T1_T2_jT3_P12ihipStream_tbPNSt15iterator_traitsISE_E10value_typeEPNSK_ISF_E10value_typeEPSG_NS1_7vsmem_tEENKUlT_SE_SF_SG_E_clIS8_S8_S9_S9_EESD_ST_SE_SF_SG_EUlST_E_NS1_11comp_targetILNS1_3genE9ELNS1_11target_archE1100ELNS1_3gpuE3ELNS1_3repE0EEENS1_48merge_mergepath_partition_config_static_selectorELNS0_4arch9wavefront6targetE0EEEvSF_, .Lfunc_end1052-_ZN7rocprim17ROCPRIM_400000_NS6detail17trampoline_kernelINS0_14default_configENS1_38merge_sort_block_merge_config_selectorIlNS0_10empty_typeEEEZZNS1_27merge_sort_block_merge_implIS3_PlPS5_jNS1_19radix_merge_compareILb1ELb1ElNS0_19identity_decomposerEEEEE10hipError_tT0_T1_T2_jT3_P12ihipStream_tbPNSt15iterator_traitsISE_E10value_typeEPNSK_ISF_E10value_typeEPSG_NS1_7vsmem_tEENKUlT_SE_SF_SG_E_clIS8_S8_S9_S9_EESD_ST_SE_SF_SG_EUlST_E_NS1_11comp_targetILNS1_3genE9ELNS1_11target_archE1100ELNS1_3gpuE3ELNS1_3repE0EEENS1_48merge_mergepath_partition_config_static_selectorELNS0_4arch9wavefront6targetE0EEEvSF_
                                        ; -- End function
	.set _ZN7rocprim17ROCPRIM_400000_NS6detail17trampoline_kernelINS0_14default_configENS1_38merge_sort_block_merge_config_selectorIlNS0_10empty_typeEEEZZNS1_27merge_sort_block_merge_implIS3_PlPS5_jNS1_19radix_merge_compareILb1ELb1ElNS0_19identity_decomposerEEEEE10hipError_tT0_T1_T2_jT3_P12ihipStream_tbPNSt15iterator_traitsISE_E10value_typeEPNSK_ISF_E10value_typeEPSG_NS1_7vsmem_tEENKUlT_SE_SF_SG_E_clIS8_S8_S9_S9_EESD_ST_SE_SF_SG_EUlST_E_NS1_11comp_targetILNS1_3genE9ELNS1_11target_archE1100ELNS1_3gpuE3ELNS1_3repE0EEENS1_48merge_mergepath_partition_config_static_selectorELNS0_4arch9wavefront6targetE0EEEvSF_.num_vgpr, 0
	.set _ZN7rocprim17ROCPRIM_400000_NS6detail17trampoline_kernelINS0_14default_configENS1_38merge_sort_block_merge_config_selectorIlNS0_10empty_typeEEEZZNS1_27merge_sort_block_merge_implIS3_PlPS5_jNS1_19radix_merge_compareILb1ELb1ElNS0_19identity_decomposerEEEEE10hipError_tT0_T1_T2_jT3_P12ihipStream_tbPNSt15iterator_traitsISE_E10value_typeEPNSK_ISF_E10value_typeEPSG_NS1_7vsmem_tEENKUlT_SE_SF_SG_E_clIS8_S8_S9_S9_EESD_ST_SE_SF_SG_EUlST_E_NS1_11comp_targetILNS1_3genE9ELNS1_11target_archE1100ELNS1_3gpuE3ELNS1_3repE0EEENS1_48merge_mergepath_partition_config_static_selectorELNS0_4arch9wavefront6targetE0EEEvSF_.num_agpr, 0
	.set _ZN7rocprim17ROCPRIM_400000_NS6detail17trampoline_kernelINS0_14default_configENS1_38merge_sort_block_merge_config_selectorIlNS0_10empty_typeEEEZZNS1_27merge_sort_block_merge_implIS3_PlPS5_jNS1_19radix_merge_compareILb1ELb1ElNS0_19identity_decomposerEEEEE10hipError_tT0_T1_T2_jT3_P12ihipStream_tbPNSt15iterator_traitsISE_E10value_typeEPNSK_ISF_E10value_typeEPSG_NS1_7vsmem_tEENKUlT_SE_SF_SG_E_clIS8_S8_S9_S9_EESD_ST_SE_SF_SG_EUlST_E_NS1_11comp_targetILNS1_3genE9ELNS1_11target_archE1100ELNS1_3gpuE3ELNS1_3repE0EEENS1_48merge_mergepath_partition_config_static_selectorELNS0_4arch9wavefront6targetE0EEEvSF_.numbered_sgpr, 0
	.set _ZN7rocprim17ROCPRIM_400000_NS6detail17trampoline_kernelINS0_14default_configENS1_38merge_sort_block_merge_config_selectorIlNS0_10empty_typeEEEZZNS1_27merge_sort_block_merge_implIS3_PlPS5_jNS1_19radix_merge_compareILb1ELb1ElNS0_19identity_decomposerEEEEE10hipError_tT0_T1_T2_jT3_P12ihipStream_tbPNSt15iterator_traitsISE_E10value_typeEPNSK_ISF_E10value_typeEPSG_NS1_7vsmem_tEENKUlT_SE_SF_SG_E_clIS8_S8_S9_S9_EESD_ST_SE_SF_SG_EUlST_E_NS1_11comp_targetILNS1_3genE9ELNS1_11target_archE1100ELNS1_3gpuE3ELNS1_3repE0EEENS1_48merge_mergepath_partition_config_static_selectorELNS0_4arch9wavefront6targetE0EEEvSF_.num_named_barrier, 0
	.set _ZN7rocprim17ROCPRIM_400000_NS6detail17trampoline_kernelINS0_14default_configENS1_38merge_sort_block_merge_config_selectorIlNS0_10empty_typeEEEZZNS1_27merge_sort_block_merge_implIS3_PlPS5_jNS1_19radix_merge_compareILb1ELb1ElNS0_19identity_decomposerEEEEE10hipError_tT0_T1_T2_jT3_P12ihipStream_tbPNSt15iterator_traitsISE_E10value_typeEPNSK_ISF_E10value_typeEPSG_NS1_7vsmem_tEENKUlT_SE_SF_SG_E_clIS8_S8_S9_S9_EESD_ST_SE_SF_SG_EUlST_E_NS1_11comp_targetILNS1_3genE9ELNS1_11target_archE1100ELNS1_3gpuE3ELNS1_3repE0EEENS1_48merge_mergepath_partition_config_static_selectorELNS0_4arch9wavefront6targetE0EEEvSF_.private_seg_size, 0
	.set _ZN7rocprim17ROCPRIM_400000_NS6detail17trampoline_kernelINS0_14default_configENS1_38merge_sort_block_merge_config_selectorIlNS0_10empty_typeEEEZZNS1_27merge_sort_block_merge_implIS3_PlPS5_jNS1_19radix_merge_compareILb1ELb1ElNS0_19identity_decomposerEEEEE10hipError_tT0_T1_T2_jT3_P12ihipStream_tbPNSt15iterator_traitsISE_E10value_typeEPNSK_ISF_E10value_typeEPSG_NS1_7vsmem_tEENKUlT_SE_SF_SG_E_clIS8_S8_S9_S9_EESD_ST_SE_SF_SG_EUlST_E_NS1_11comp_targetILNS1_3genE9ELNS1_11target_archE1100ELNS1_3gpuE3ELNS1_3repE0EEENS1_48merge_mergepath_partition_config_static_selectorELNS0_4arch9wavefront6targetE0EEEvSF_.uses_vcc, 0
	.set _ZN7rocprim17ROCPRIM_400000_NS6detail17trampoline_kernelINS0_14default_configENS1_38merge_sort_block_merge_config_selectorIlNS0_10empty_typeEEEZZNS1_27merge_sort_block_merge_implIS3_PlPS5_jNS1_19radix_merge_compareILb1ELb1ElNS0_19identity_decomposerEEEEE10hipError_tT0_T1_T2_jT3_P12ihipStream_tbPNSt15iterator_traitsISE_E10value_typeEPNSK_ISF_E10value_typeEPSG_NS1_7vsmem_tEENKUlT_SE_SF_SG_E_clIS8_S8_S9_S9_EESD_ST_SE_SF_SG_EUlST_E_NS1_11comp_targetILNS1_3genE9ELNS1_11target_archE1100ELNS1_3gpuE3ELNS1_3repE0EEENS1_48merge_mergepath_partition_config_static_selectorELNS0_4arch9wavefront6targetE0EEEvSF_.uses_flat_scratch, 0
	.set _ZN7rocprim17ROCPRIM_400000_NS6detail17trampoline_kernelINS0_14default_configENS1_38merge_sort_block_merge_config_selectorIlNS0_10empty_typeEEEZZNS1_27merge_sort_block_merge_implIS3_PlPS5_jNS1_19radix_merge_compareILb1ELb1ElNS0_19identity_decomposerEEEEE10hipError_tT0_T1_T2_jT3_P12ihipStream_tbPNSt15iterator_traitsISE_E10value_typeEPNSK_ISF_E10value_typeEPSG_NS1_7vsmem_tEENKUlT_SE_SF_SG_E_clIS8_S8_S9_S9_EESD_ST_SE_SF_SG_EUlST_E_NS1_11comp_targetILNS1_3genE9ELNS1_11target_archE1100ELNS1_3gpuE3ELNS1_3repE0EEENS1_48merge_mergepath_partition_config_static_selectorELNS0_4arch9wavefront6targetE0EEEvSF_.has_dyn_sized_stack, 0
	.set _ZN7rocprim17ROCPRIM_400000_NS6detail17trampoline_kernelINS0_14default_configENS1_38merge_sort_block_merge_config_selectorIlNS0_10empty_typeEEEZZNS1_27merge_sort_block_merge_implIS3_PlPS5_jNS1_19radix_merge_compareILb1ELb1ElNS0_19identity_decomposerEEEEE10hipError_tT0_T1_T2_jT3_P12ihipStream_tbPNSt15iterator_traitsISE_E10value_typeEPNSK_ISF_E10value_typeEPSG_NS1_7vsmem_tEENKUlT_SE_SF_SG_E_clIS8_S8_S9_S9_EESD_ST_SE_SF_SG_EUlST_E_NS1_11comp_targetILNS1_3genE9ELNS1_11target_archE1100ELNS1_3gpuE3ELNS1_3repE0EEENS1_48merge_mergepath_partition_config_static_selectorELNS0_4arch9wavefront6targetE0EEEvSF_.has_recursion, 0
	.set _ZN7rocprim17ROCPRIM_400000_NS6detail17trampoline_kernelINS0_14default_configENS1_38merge_sort_block_merge_config_selectorIlNS0_10empty_typeEEEZZNS1_27merge_sort_block_merge_implIS3_PlPS5_jNS1_19radix_merge_compareILb1ELb1ElNS0_19identity_decomposerEEEEE10hipError_tT0_T1_T2_jT3_P12ihipStream_tbPNSt15iterator_traitsISE_E10value_typeEPNSK_ISF_E10value_typeEPSG_NS1_7vsmem_tEENKUlT_SE_SF_SG_E_clIS8_S8_S9_S9_EESD_ST_SE_SF_SG_EUlST_E_NS1_11comp_targetILNS1_3genE9ELNS1_11target_archE1100ELNS1_3gpuE3ELNS1_3repE0EEENS1_48merge_mergepath_partition_config_static_selectorELNS0_4arch9wavefront6targetE0EEEvSF_.has_indirect_call, 0
	.section	.AMDGPU.csdata,"",@progbits
; Kernel info:
; codeLenInByte = 0
; TotalNumSgprs: 0
; NumVgprs: 0
; ScratchSize: 0
; MemoryBound: 0
; FloatMode: 240
; IeeeMode: 1
; LDSByteSize: 0 bytes/workgroup (compile time only)
; SGPRBlocks: 0
; VGPRBlocks: 0
; NumSGPRsForWavesPerEU: 1
; NumVGPRsForWavesPerEU: 1
; NamedBarCnt: 0
; Occupancy: 16
; WaveLimiterHint : 0
; COMPUTE_PGM_RSRC2:SCRATCH_EN: 0
; COMPUTE_PGM_RSRC2:USER_SGPR: 2
; COMPUTE_PGM_RSRC2:TRAP_HANDLER: 0
; COMPUTE_PGM_RSRC2:TGID_X_EN: 1
; COMPUTE_PGM_RSRC2:TGID_Y_EN: 0
; COMPUTE_PGM_RSRC2:TGID_Z_EN: 0
; COMPUTE_PGM_RSRC2:TIDIG_COMP_CNT: 0
	.section	.text._ZN7rocprim17ROCPRIM_400000_NS6detail17trampoline_kernelINS0_14default_configENS1_38merge_sort_block_merge_config_selectorIlNS0_10empty_typeEEEZZNS1_27merge_sort_block_merge_implIS3_PlPS5_jNS1_19radix_merge_compareILb1ELb1ElNS0_19identity_decomposerEEEEE10hipError_tT0_T1_T2_jT3_P12ihipStream_tbPNSt15iterator_traitsISE_E10value_typeEPNSK_ISF_E10value_typeEPSG_NS1_7vsmem_tEENKUlT_SE_SF_SG_E_clIS8_S8_S9_S9_EESD_ST_SE_SF_SG_EUlST_E_NS1_11comp_targetILNS1_3genE8ELNS1_11target_archE1030ELNS1_3gpuE2ELNS1_3repE0EEENS1_48merge_mergepath_partition_config_static_selectorELNS0_4arch9wavefront6targetE0EEEvSF_,"axG",@progbits,_ZN7rocprim17ROCPRIM_400000_NS6detail17trampoline_kernelINS0_14default_configENS1_38merge_sort_block_merge_config_selectorIlNS0_10empty_typeEEEZZNS1_27merge_sort_block_merge_implIS3_PlPS5_jNS1_19radix_merge_compareILb1ELb1ElNS0_19identity_decomposerEEEEE10hipError_tT0_T1_T2_jT3_P12ihipStream_tbPNSt15iterator_traitsISE_E10value_typeEPNSK_ISF_E10value_typeEPSG_NS1_7vsmem_tEENKUlT_SE_SF_SG_E_clIS8_S8_S9_S9_EESD_ST_SE_SF_SG_EUlST_E_NS1_11comp_targetILNS1_3genE8ELNS1_11target_archE1030ELNS1_3gpuE2ELNS1_3repE0EEENS1_48merge_mergepath_partition_config_static_selectorELNS0_4arch9wavefront6targetE0EEEvSF_,comdat
	.protected	_ZN7rocprim17ROCPRIM_400000_NS6detail17trampoline_kernelINS0_14default_configENS1_38merge_sort_block_merge_config_selectorIlNS0_10empty_typeEEEZZNS1_27merge_sort_block_merge_implIS3_PlPS5_jNS1_19radix_merge_compareILb1ELb1ElNS0_19identity_decomposerEEEEE10hipError_tT0_T1_T2_jT3_P12ihipStream_tbPNSt15iterator_traitsISE_E10value_typeEPNSK_ISF_E10value_typeEPSG_NS1_7vsmem_tEENKUlT_SE_SF_SG_E_clIS8_S8_S9_S9_EESD_ST_SE_SF_SG_EUlST_E_NS1_11comp_targetILNS1_3genE8ELNS1_11target_archE1030ELNS1_3gpuE2ELNS1_3repE0EEENS1_48merge_mergepath_partition_config_static_selectorELNS0_4arch9wavefront6targetE0EEEvSF_ ; -- Begin function _ZN7rocprim17ROCPRIM_400000_NS6detail17trampoline_kernelINS0_14default_configENS1_38merge_sort_block_merge_config_selectorIlNS0_10empty_typeEEEZZNS1_27merge_sort_block_merge_implIS3_PlPS5_jNS1_19radix_merge_compareILb1ELb1ElNS0_19identity_decomposerEEEEE10hipError_tT0_T1_T2_jT3_P12ihipStream_tbPNSt15iterator_traitsISE_E10value_typeEPNSK_ISF_E10value_typeEPSG_NS1_7vsmem_tEENKUlT_SE_SF_SG_E_clIS8_S8_S9_S9_EESD_ST_SE_SF_SG_EUlST_E_NS1_11comp_targetILNS1_3genE8ELNS1_11target_archE1030ELNS1_3gpuE2ELNS1_3repE0EEENS1_48merge_mergepath_partition_config_static_selectorELNS0_4arch9wavefront6targetE0EEEvSF_
	.globl	_ZN7rocprim17ROCPRIM_400000_NS6detail17trampoline_kernelINS0_14default_configENS1_38merge_sort_block_merge_config_selectorIlNS0_10empty_typeEEEZZNS1_27merge_sort_block_merge_implIS3_PlPS5_jNS1_19radix_merge_compareILb1ELb1ElNS0_19identity_decomposerEEEEE10hipError_tT0_T1_T2_jT3_P12ihipStream_tbPNSt15iterator_traitsISE_E10value_typeEPNSK_ISF_E10value_typeEPSG_NS1_7vsmem_tEENKUlT_SE_SF_SG_E_clIS8_S8_S9_S9_EESD_ST_SE_SF_SG_EUlST_E_NS1_11comp_targetILNS1_3genE8ELNS1_11target_archE1030ELNS1_3gpuE2ELNS1_3repE0EEENS1_48merge_mergepath_partition_config_static_selectorELNS0_4arch9wavefront6targetE0EEEvSF_
	.p2align	8
	.type	_ZN7rocprim17ROCPRIM_400000_NS6detail17trampoline_kernelINS0_14default_configENS1_38merge_sort_block_merge_config_selectorIlNS0_10empty_typeEEEZZNS1_27merge_sort_block_merge_implIS3_PlPS5_jNS1_19radix_merge_compareILb1ELb1ElNS0_19identity_decomposerEEEEE10hipError_tT0_T1_T2_jT3_P12ihipStream_tbPNSt15iterator_traitsISE_E10value_typeEPNSK_ISF_E10value_typeEPSG_NS1_7vsmem_tEENKUlT_SE_SF_SG_E_clIS8_S8_S9_S9_EESD_ST_SE_SF_SG_EUlST_E_NS1_11comp_targetILNS1_3genE8ELNS1_11target_archE1030ELNS1_3gpuE2ELNS1_3repE0EEENS1_48merge_mergepath_partition_config_static_selectorELNS0_4arch9wavefront6targetE0EEEvSF_,@function
_ZN7rocprim17ROCPRIM_400000_NS6detail17trampoline_kernelINS0_14default_configENS1_38merge_sort_block_merge_config_selectorIlNS0_10empty_typeEEEZZNS1_27merge_sort_block_merge_implIS3_PlPS5_jNS1_19radix_merge_compareILb1ELb1ElNS0_19identity_decomposerEEEEE10hipError_tT0_T1_T2_jT3_P12ihipStream_tbPNSt15iterator_traitsISE_E10value_typeEPNSK_ISF_E10value_typeEPSG_NS1_7vsmem_tEENKUlT_SE_SF_SG_E_clIS8_S8_S9_S9_EESD_ST_SE_SF_SG_EUlST_E_NS1_11comp_targetILNS1_3genE8ELNS1_11target_archE1030ELNS1_3gpuE2ELNS1_3repE0EEENS1_48merge_mergepath_partition_config_static_selectorELNS0_4arch9wavefront6targetE0EEEvSF_: ; @_ZN7rocprim17ROCPRIM_400000_NS6detail17trampoline_kernelINS0_14default_configENS1_38merge_sort_block_merge_config_selectorIlNS0_10empty_typeEEEZZNS1_27merge_sort_block_merge_implIS3_PlPS5_jNS1_19radix_merge_compareILb1ELb1ElNS0_19identity_decomposerEEEEE10hipError_tT0_T1_T2_jT3_P12ihipStream_tbPNSt15iterator_traitsISE_E10value_typeEPNSK_ISF_E10value_typeEPSG_NS1_7vsmem_tEENKUlT_SE_SF_SG_E_clIS8_S8_S9_S9_EESD_ST_SE_SF_SG_EUlST_E_NS1_11comp_targetILNS1_3genE8ELNS1_11target_archE1030ELNS1_3gpuE2ELNS1_3repE0EEENS1_48merge_mergepath_partition_config_static_selectorELNS0_4arch9wavefront6targetE0EEEvSF_
; %bb.0:
	.section	.rodata,"a",@progbits
	.p2align	6, 0x0
	.amdhsa_kernel _ZN7rocprim17ROCPRIM_400000_NS6detail17trampoline_kernelINS0_14default_configENS1_38merge_sort_block_merge_config_selectorIlNS0_10empty_typeEEEZZNS1_27merge_sort_block_merge_implIS3_PlPS5_jNS1_19radix_merge_compareILb1ELb1ElNS0_19identity_decomposerEEEEE10hipError_tT0_T1_T2_jT3_P12ihipStream_tbPNSt15iterator_traitsISE_E10value_typeEPNSK_ISF_E10value_typeEPSG_NS1_7vsmem_tEENKUlT_SE_SF_SG_E_clIS8_S8_S9_S9_EESD_ST_SE_SF_SG_EUlST_E_NS1_11comp_targetILNS1_3genE8ELNS1_11target_archE1030ELNS1_3gpuE2ELNS1_3repE0EEENS1_48merge_mergepath_partition_config_static_selectorELNS0_4arch9wavefront6targetE0EEEvSF_
		.amdhsa_group_segment_fixed_size 0
		.amdhsa_private_segment_fixed_size 0
		.amdhsa_kernarg_size 40
		.amdhsa_user_sgpr_count 2
		.amdhsa_user_sgpr_dispatch_ptr 0
		.amdhsa_user_sgpr_queue_ptr 0
		.amdhsa_user_sgpr_kernarg_segment_ptr 1
		.amdhsa_user_sgpr_dispatch_id 0
		.amdhsa_user_sgpr_kernarg_preload_length 0
		.amdhsa_user_sgpr_kernarg_preload_offset 0
		.amdhsa_user_sgpr_private_segment_size 0
		.amdhsa_wavefront_size32 1
		.amdhsa_uses_dynamic_stack 0
		.amdhsa_enable_private_segment 0
		.amdhsa_system_sgpr_workgroup_id_x 1
		.amdhsa_system_sgpr_workgroup_id_y 0
		.amdhsa_system_sgpr_workgroup_id_z 0
		.amdhsa_system_sgpr_workgroup_info 0
		.amdhsa_system_vgpr_workitem_id 0
		.amdhsa_next_free_vgpr 1
		.amdhsa_next_free_sgpr 1
		.amdhsa_named_barrier_count 0
		.amdhsa_reserve_vcc 0
		.amdhsa_float_round_mode_32 0
		.amdhsa_float_round_mode_16_64 0
		.amdhsa_float_denorm_mode_32 3
		.amdhsa_float_denorm_mode_16_64 3
		.amdhsa_fp16_overflow 0
		.amdhsa_memory_ordered 1
		.amdhsa_forward_progress 1
		.amdhsa_inst_pref_size 0
		.amdhsa_round_robin_scheduling 0
		.amdhsa_exception_fp_ieee_invalid_op 0
		.amdhsa_exception_fp_denorm_src 0
		.amdhsa_exception_fp_ieee_div_zero 0
		.amdhsa_exception_fp_ieee_overflow 0
		.amdhsa_exception_fp_ieee_underflow 0
		.amdhsa_exception_fp_ieee_inexact 0
		.amdhsa_exception_int_div_zero 0
	.end_amdhsa_kernel
	.section	.text._ZN7rocprim17ROCPRIM_400000_NS6detail17trampoline_kernelINS0_14default_configENS1_38merge_sort_block_merge_config_selectorIlNS0_10empty_typeEEEZZNS1_27merge_sort_block_merge_implIS3_PlPS5_jNS1_19radix_merge_compareILb1ELb1ElNS0_19identity_decomposerEEEEE10hipError_tT0_T1_T2_jT3_P12ihipStream_tbPNSt15iterator_traitsISE_E10value_typeEPNSK_ISF_E10value_typeEPSG_NS1_7vsmem_tEENKUlT_SE_SF_SG_E_clIS8_S8_S9_S9_EESD_ST_SE_SF_SG_EUlST_E_NS1_11comp_targetILNS1_3genE8ELNS1_11target_archE1030ELNS1_3gpuE2ELNS1_3repE0EEENS1_48merge_mergepath_partition_config_static_selectorELNS0_4arch9wavefront6targetE0EEEvSF_,"axG",@progbits,_ZN7rocprim17ROCPRIM_400000_NS6detail17trampoline_kernelINS0_14default_configENS1_38merge_sort_block_merge_config_selectorIlNS0_10empty_typeEEEZZNS1_27merge_sort_block_merge_implIS3_PlPS5_jNS1_19radix_merge_compareILb1ELb1ElNS0_19identity_decomposerEEEEE10hipError_tT0_T1_T2_jT3_P12ihipStream_tbPNSt15iterator_traitsISE_E10value_typeEPNSK_ISF_E10value_typeEPSG_NS1_7vsmem_tEENKUlT_SE_SF_SG_E_clIS8_S8_S9_S9_EESD_ST_SE_SF_SG_EUlST_E_NS1_11comp_targetILNS1_3genE8ELNS1_11target_archE1030ELNS1_3gpuE2ELNS1_3repE0EEENS1_48merge_mergepath_partition_config_static_selectorELNS0_4arch9wavefront6targetE0EEEvSF_,comdat
.Lfunc_end1053:
	.size	_ZN7rocprim17ROCPRIM_400000_NS6detail17trampoline_kernelINS0_14default_configENS1_38merge_sort_block_merge_config_selectorIlNS0_10empty_typeEEEZZNS1_27merge_sort_block_merge_implIS3_PlPS5_jNS1_19radix_merge_compareILb1ELb1ElNS0_19identity_decomposerEEEEE10hipError_tT0_T1_T2_jT3_P12ihipStream_tbPNSt15iterator_traitsISE_E10value_typeEPNSK_ISF_E10value_typeEPSG_NS1_7vsmem_tEENKUlT_SE_SF_SG_E_clIS8_S8_S9_S9_EESD_ST_SE_SF_SG_EUlST_E_NS1_11comp_targetILNS1_3genE8ELNS1_11target_archE1030ELNS1_3gpuE2ELNS1_3repE0EEENS1_48merge_mergepath_partition_config_static_selectorELNS0_4arch9wavefront6targetE0EEEvSF_, .Lfunc_end1053-_ZN7rocprim17ROCPRIM_400000_NS6detail17trampoline_kernelINS0_14default_configENS1_38merge_sort_block_merge_config_selectorIlNS0_10empty_typeEEEZZNS1_27merge_sort_block_merge_implIS3_PlPS5_jNS1_19radix_merge_compareILb1ELb1ElNS0_19identity_decomposerEEEEE10hipError_tT0_T1_T2_jT3_P12ihipStream_tbPNSt15iterator_traitsISE_E10value_typeEPNSK_ISF_E10value_typeEPSG_NS1_7vsmem_tEENKUlT_SE_SF_SG_E_clIS8_S8_S9_S9_EESD_ST_SE_SF_SG_EUlST_E_NS1_11comp_targetILNS1_3genE8ELNS1_11target_archE1030ELNS1_3gpuE2ELNS1_3repE0EEENS1_48merge_mergepath_partition_config_static_selectorELNS0_4arch9wavefront6targetE0EEEvSF_
                                        ; -- End function
	.set _ZN7rocprim17ROCPRIM_400000_NS6detail17trampoline_kernelINS0_14default_configENS1_38merge_sort_block_merge_config_selectorIlNS0_10empty_typeEEEZZNS1_27merge_sort_block_merge_implIS3_PlPS5_jNS1_19radix_merge_compareILb1ELb1ElNS0_19identity_decomposerEEEEE10hipError_tT0_T1_T2_jT3_P12ihipStream_tbPNSt15iterator_traitsISE_E10value_typeEPNSK_ISF_E10value_typeEPSG_NS1_7vsmem_tEENKUlT_SE_SF_SG_E_clIS8_S8_S9_S9_EESD_ST_SE_SF_SG_EUlST_E_NS1_11comp_targetILNS1_3genE8ELNS1_11target_archE1030ELNS1_3gpuE2ELNS1_3repE0EEENS1_48merge_mergepath_partition_config_static_selectorELNS0_4arch9wavefront6targetE0EEEvSF_.num_vgpr, 0
	.set _ZN7rocprim17ROCPRIM_400000_NS6detail17trampoline_kernelINS0_14default_configENS1_38merge_sort_block_merge_config_selectorIlNS0_10empty_typeEEEZZNS1_27merge_sort_block_merge_implIS3_PlPS5_jNS1_19radix_merge_compareILb1ELb1ElNS0_19identity_decomposerEEEEE10hipError_tT0_T1_T2_jT3_P12ihipStream_tbPNSt15iterator_traitsISE_E10value_typeEPNSK_ISF_E10value_typeEPSG_NS1_7vsmem_tEENKUlT_SE_SF_SG_E_clIS8_S8_S9_S9_EESD_ST_SE_SF_SG_EUlST_E_NS1_11comp_targetILNS1_3genE8ELNS1_11target_archE1030ELNS1_3gpuE2ELNS1_3repE0EEENS1_48merge_mergepath_partition_config_static_selectorELNS0_4arch9wavefront6targetE0EEEvSF_.num_agpr, 0
	.set _ZN7rocprim17ROCPRIM_400000_NS6detail17trampoline_kernelINS0_14default_configENS1_38merge_sort_block_merge_config_selectorIlNS0_10empty_typeEEEZZNS1_27merge_sort_block_merge_implIS3_PlPS5_jNS1_19radix_merge_compareILb1ELb1ElNS0_19identity_decomposerEEEEE10hipError_tT0_T1_T2_jT3_P12ihipStream_tbPNSt15iterator_traitsISE_E10value_typeEPNSK_ISF_E10value_typeEPSG_NS1_7vsmem_tEENKUlT_SE_SF_SG_E_clIS8_S8_S9_S9_EESD_ST_SE_SF_SG_EUlST_E_NS1_11comp_targetILNS1_3genE8ELNS1_11target_archE1030ELNS1_3gpuE2ELNS1_3repE0EEENS1_48merge_mergepath_partition_config_static_selectorELNS0_4arch9wavefront6targetE0EEEvSF_.numbered_sgpr, 0
	.set _ZN7rocprim17ROCPRIM_400000_NS6detail17trampoline_kernelINS0_14default_configENS1_38merge_sort_block_merge_config_selectorIlNS0_10empty_typeEEEZZNS1_27merge_sort_block_merge_implIS3_PlPS5_jNS1_19radix_merge_compareILb1ELb1ElNS0_19identity_decomposerEEEEE10hipError_tT0_T1_T2_jT3_P12ihipStream_tbPNSt15iterator_traitsISE_E10value_typeEPNSK_ISF_E10value_typeEPSG_NS1_7vsmem_tEENKUlT_SE_SF_SG_E_clIS8_S8_S9_S9_EESD_ST_SE_SF_SG_EUlST_E_NS1_11comp_targetILNS1_3genE8ELNS1_11target_archE1030ELNS1_3gpuE2ELNS1_3repE0EEENS1_48merge_mergepath_partition_config_static_selectorELNS0_4arch9wavefront6targetE0EEEvSF_.num_named_barrier, 0
	.set _ZN7rocprim17ROCPRIM_400000_NS6detail17trampoline_kernelINS0_14default_configENS1_38merge_sort_block_merge_config_selectorIlNS0_10empty_typeEEEZZNS1_27merge_sort_block_merge_implIS3_PlPS5_jNS1_19radix_merge_compareILb1ELb1ElNS0_19identity_decomposerEEEEE10hipError_tT0_T1_T2_jT3_P12ihipStream_tbPNSt15iterator_traitsISE_E10value_typeEPNSK_ISF_E10value_typeEPSG_NS1_7vsmem_tEENKUlT_SE_SF_SG_E_clIS8_S8_S9_S9_EESD_ST_SE_SF_SG_EUlST_E_NS1_11comp_targetILNS1_3genE8ELNS1_11target_archE1030ELNS1_3gpuE2ELNS1_3repE0EEENS1_48merge_mergepath_partition_config_static_selectorELNS0_4arch9wavefront6targetE0EEEvSF_.private_seg_size, 0
	.set _ZN7rocprim17ROCPRIM_400000_NS6detail17trampoline_kernelINS0_14default_configENS1_38merge_sort_block_merge_config_selectorIlNS0_10empty_typeEEEZZNS1_27merge_sort_block_merge_implIS3_PlPS5_jNS1_19radix_merge_compareILb1ELb1ElNS0_19identity_decomposerEEEEE10hipError_tT0_T1_T2_jT3_P12ihipStream_tbPNSt15iterator_traitsISE_E10value_typeEPNSK_ISF_E10value_typeEPSG_NS1_7vsmem_tEENKUlT_SE_SF_SG_E_clIS8_S8_S9_S9_EESD_ST_SE_SF_SG_EUlST_E_NS1_11comp_targetILNS1_3genE8ELNS1_11target_archE1030ELNS1_3gpuE2ELNS1_3repE0EEENS1_48merge_mergepath_partition_config_static_selectorELNS0_4arch9wavefront6targetE0EEEvSF_.uses_vcc, 0
	.set _ZN7rocprim17ROCPRIM_400000_NS6detail17trampoline_kernelINS0_14default_configENS1_38merge_sort_block_merge_config_selectorIlNS0_10empty_typeEEEZZNS1_27merge_sort_block_merge_implIS3_PlPS5_jNS1_19radix_merge_compareILb1ELb1ElNS0_19identity_decomposerEEEEE10hipError_tT0_T1_T2_jT3_P12ihipStream_tbPNSt15iterator_traitsISE_E10value_typeEPNSK_ISF_E10value_typeEPSG_NS1_7vsmem_tEENKUlT_SE_SF_SG_E_clIS8_S8_S9_S9_EESD_ST_SE_SF_SG_EUlST_E_NS1_11comp_targetILNS1_3genE8ELNS1_11target_archE1030ELNS1_3gpuE2ELNS1_3repE0EEENS1_48merge_mergepath_partition_config_static_selectorELNS0_4arch9wavefront6targetE0EEEvSF_.uses_flat_scratch, 0
	.set _ZN7rocprim17ROCPRIM_400000_NS6detail17trampoline_kernelINS0_14default_configENS1_38merge_sort_block_merge_config_selectorIlNS0_10empty_typeEEEZZNS1_27merge_sort_block_merge_implIS3_PlPS5_jNS1_19radix_merge_compareILb1ELb1ElNS0_19identity_decomposerEEEEE10hipError_tT0_T1_T2_jT3_P12ihipStream_tbPNSt15iterator_traitsISE_E10value_typeEPNSK_ISF_E10value_typeEPSG_NS1_7vsmem_tEENKUlT_SE_SF_SG_E_clIS8_S8_S9_S9_EESD_ST_SE_SF_SG_EUlST_E_NS1_11comp_targetILNS1_3genE8ELNS1_11target_archE1030ELNS1_3gpuE2ELNS1_3repE0EEENS1_48merge_mergepath_partition_config_static_selectorELNS0_4arch9wavefront6targetE0EEEvSF_.has_dyn_sized_stack, 0
	.set _ZN7rocprim17ROCPRIM_400000_NS6detail17trampoline_kernelINS0_14default_configENS1_38merge_sort_block_merge_config_selectorIlNS0_10empty_typeEEEZZNS1_27merge_sort_block_merge_implIS3_PlPS5_jNS1_19radix_merge_compareILb1ELb1ElNS0_19identity_decomposerEEEEE10hipError_tT0_T1_T2_jT3_P12ihipStream_tbPNSt15iterator_traitsISE_E10value_typeEPNSK_ISF_E10value_typeEPSG_NS1_7vsmem_tEENKUlT_SE_SF_SG_E_clIS8_S8_S9_S9_EESD_ST_SE_SF_SG_EUlST_E_NS1_11comp_targetILNS1_3genE8ELNS1_11target_archE1030ELNS1_3gpuE2ELNS1_3repE0EEENS1_48merge_mergepath_partition_config_static_selectorELNS0_4arch9wavefront6targetE0EEEvSF_.has_recursion, 0
	.set _ZN7rocprim17ROCPRIM_400000_NS6detail17trampoline_kernelINS0_14default_configENS1_38merge_sort_block_merge_config_selectorIlNS0_10empty_typeEEEZZNS1_27merge_sort_block_merge_implIS3_PlPS5_jNS1_19radix_merge_compareILb1ELb1ElNS0_19identity_decomposerEEEEE10hipError_tT0_T1_T2_jT3_P12ihipStream_tbPNSt15iterator_traitsISE_E10value_typeEPNSK_ISF_E10value_typeEPSG_NS1_7vsmem_tEENKUlT_SE_SF_SG_E_clIS8_S8_S9_S9_EESD_ST_SE_SF_SG_EUlST_E_NS1_11comp_targetILNS1_3genE8ELNS1_11target_archE1030ELNS1_3gpuE2ELNS1_3repE0EEENS1_48merge_mergepath_partition_config_static_selectorELNS0_4arch9wavefront6targetE0EEEvSF_.has_indirect_call, 0
	.section	.AMDGPU.csdata,"",@progbits
; Kernel info:
; codeLenInByte = 0
; TotalNumSgprs: 0
; NumVgprs: 0
; ScratchSize: 0
; MemoryBound: 0
; FloatMode: 240
; IeeeMode: 1
; LDSByteSize: 0 bytes/workgroup (compile time only)
; SGPRBlocks: 0
; VGPRBlocks: 0
; NumSGPRsForWavesPerEU: 1
; NumVGPRsForWavesPerEU: 1
; NamedBarCnt: 0
; Occupancy: 16
; WaveLimiterHint : 0
; COMPUTE_PGM_RSRC2:SCRATCH_EN: 0
; COMPUTE_PGM_RSRC2:USER_SGPR: 2
; COMPUTE_PGM_RSRC2:TRAP_HANDLER: 0
; COMPUTE_PGM_RSRC2:TGID_X_EN: 1
; COMPUTE_PGM_RSRC2:TGID_Y_EN: 0
; COMPUTE_PGM_RSRC2:TGID_Z_EN: 0
; COMPUTE_PGM_RSRC2:TIDIG_COMP_CNT: 0
	.section	.text._ZN7rocprim17ROCPRIM_400000_NS6detail17trampoline_kernelINS0_14default_configENS1_38merge_sort_block_merge_config_selectorIlNS0_10empty_typeEEEZZNS1_27merge_sort_block_merge_implIS3_PlPS5_jNS1_19radix_merge_compareILb1ELb1ElNS0_19identity_decomposerEEEEE10hipError_tT0_T1_T2_jT3_P12ihipStream_tbPNSt15iterator_traitsISE_E10value_typeEPNSK_ISF_E10value_typeEPSG_NS1_7vsmem_tEENKUlT_SE_SF_SG_E_clIS8_S8_S9_S9_EESD_ST_SE_SF_SG_EUlST_E0_NS1_11comp_targetILNS1_3genE0ELNS1_11target_archE4294967295ELNS1_3gpuE0ELNS1_3repE0EEENS1_38merge_mergepath_config_static_selectorELNS0_4arch9wavefront6targetE0EEEvSF_,"axG",@progbits,_ZN7rocprim17ROCPRIM_400000_NS6detail17trampoline_kernelINS0_14default_configENS1_38merge_sort_block_merge_config_selectorIlNS0_10empty_typeEEEZZNS1_27merge_sort_block_merge_implIS3_PlPS5_jNS1_19radix_merge_compareILb1ELb1ElNS0_19identity_decomposerEEEEE10hipError_tT0_T1_T2_jT3_P12ihipStream_tbPNSt15iterator_traitsISE_E10value_typeEPNSK_ISF_E10value_typeEPSG_NS1_7vsmem_tEENKUlT_SE_SF_SG_E_clIS8_S8_S9_S9_EESD_ST_SE_SF_SG_EUlST_E0_NS1_11comp_targetILNS1_3genE0ELNS1_11target_archE4294967295ELNS1_3gpuE0ELNS1_3repE0EEENS1_38merge_mergepath_config_static_selectorELNS0_4arch9wavefront6targetE0EEEvSF_,comdat
	.protected	_ZN7rocprim17ROCPRIM_400000_NS6detail17trampoline_kernelINS0_14default_configENS1_38merge_sort_block_merge_config_selectorIlNS0_10empty_typeEEEZZNS1_27merge_sort_block_merge_implIS3_PlPS5_jNS1_19radix_merge_compareILb1ELb1ElNS0_19identity_decomposerEEEEE10hipError_tT0_T1_T2_jT3_P12ihipStream_tbPNSt15iterator_traitsISE_E10value_typeEPNSK_ISF_E10value_typeEPSG_NS1_7vsmem_tEENKUlT_SE_SF_SG_E_clIS8_S8_S9_S9_EESD_ST_SE_SF_SG_EUlST_E0_NS1_11comp_targetILNS1_3genE0ELNS1_11target_archE4294967295ELNS1_3gpuE0ELNS1_3repE0EEENS1_38merge_mergepath_config_static_selectorELNS0_4arch9wavefront6targetE0EEEvSF_ ; -- Begin function _ZN7rocprim17ROCPRIM_400000_NS6detail17trampoline_kernelINS0_14default_configENS1_38merge_sort_block_merge_config_selectorIlNS0_10empty_typeEEEZZNS1_27merge_sort_block_merge_implIS3_PlPS5_jNS1_19radix_merge_compareILb1ELb1ElNS0_19identity_decomposerEEEEE10hipError_tT0_T1_T2_jT3_P12ihipStream_tbPNSt15iterator_traitsISE_E10value_typeEPNSK_ISF_E10value_typeEPSG_NS1_7vsmem_tEENKUlT_SE_SF_SG_E_clIS8_S8_S9_S9_EESD_ST_SE_SF_SG_EUlST_E0_NS1_11comp_targetILNS1_3genE0ELNS1_11target_archE4294967295ELNS1_3gpuE0ELNS1_3repE0EEENS1_38merge_mergepath_config_static_selectorELNS0_4arch9wavefront6targetE0EEEvSF_
	.globl	_ZN7rocprim17ROCPRIM_400000_NS6detail17trampoline_kernelINS0_14default_configENS1_38merge_sort_block_merge_config_selectorIlNS0_10empty_typeEEEZZNS1_27merge_sort_block_merge_implIS3_PlPS5_jNS1_19radix_merge_compareILb1ELb1ElNS0_19identity_decomposerEEEEE10hipError_tT0_T1_T2_jT3_P12ihipStream_tbPNSt15iterator_traitsISE_E10value_typeEPNSK_ISF_E10value_typeEPSG_NS1_7vsmem_tEENKUlT_SE_SF_SG_E_clIS8_S8_S9_S9_EESD_ST_SE_SF_SG_EUlST_E0_NS1_11comp_targetILNS1_3genE0ELNS1_11target_archE4294967295ELNS1_3gpuE0ELNS1_3repE0EEENS1_38merge_mergepath_config_static_selectorELNS0_4arch9wavefront6targetE0EEEvSF_
	.p2align	8
	.type	_ZN7rocprim17ROCPRIM_400000_NS6detail17trampoline_kernelINS0_14default_configENS1_38merge_sort_block_merge_config_selectorIlNS0_10empty_typeEEEZZNS1_27merge_sort_block_merge_implIS3_PlPS5_jNS1_19radix_merge_compareILb1ELb1ElNS0_19identity_decomposerEEEEE10hipError_tT0_T1_T2_jT3_P12ihipStream_tbPNSt15iterator_traitsISE_E10value_typeEPNSK_ISF_E10value_typeEPSG_NS1_7vsmem_tEENKUlT_SE_SF_SG_E_clIS8_S8_S9_S9_EESD_ST_SE_SF_SG_EUlST_E0_NS1_11comp_targetILNS1_3genE0ELNS1_11target_archE4294967295ELNS1_3gpuE0ELNS1_3repE0EEENS1_38merge_mergepath_config_static_selectorELNS0_4arch9wavefront6targetE0EEEvSF_,@function
_ZN7rocprim17ROCPRIM_400000_NS6detail17trampoline_kernelINS0_14default_configENS1_38merge_sort_block_merge_config_selectorIlNS0_10empty_typeEEEZZNS1_27merge_sort_block_merge_implIS3_PlPS5_jNS1_19radix_merge_compareILb1ELb1ElNS0_19identity_decomposerEEEEE10hipError_tT0_T1_T2_jT3_P12ihipStream_tbPNSt15iterator_traitsISE_E10value_typeEPNSK_ISF_E10value_typeEPSG_NS1_7vsmem_tEENKUlT_SE_SF_SG_E_clIS8_S8_S9_S9_EESD_ST_SE_SF_SG_EUlST_E0_NS1_11comp_targetILNS1_3genE0ELNS1_11target_archE4294967295ELNS1_3gpuE0ELNS1_3repE0EEENS1_38merge_mergepath_config_static_selectorELNS0_4arch9wavefront6targetE0EEEvSF_: ; @_ZN7rocprim17ROCPRIM_400000_NS6detail17trampoline_kernelINS0_14default_configENS1_38merge_sort_block_merge_config_selectorIlNS0_10empty_typeEEEZZNS1_27merge_sort_block_merge_implIS3_PlPS5_jNS1_19radix_merge_compareILb1ELb1ElNS0_19identity_decomposerEEEEE10hipError_tT0_T1_T2_jT3_P12ihipStream_tbPNSt15iterator_traitsISE_E10value_typeEPNSK_ISF_E10value_typeEPSG_NS1_7vsmem_tEENKUlT_SE_SF_SG_E_clIS8_S8_S9_S9_EESD_ST_SE_SF_SG_EUlST_E0_NS1_11comp_targetILNS1_3genE0ELNS1_11target_archE4294967295ELNS1_3gpuE0ELNS1_3repE0EEENS1_38merge_mergepath_config_static_selectorELNS0_4arch9wavefront6targetE0EEEvSF_
; %bb.0:
	s_bfe_u32 s2, ttmp6, 0x40010
	s_and_b32 s4, ttmp7, 0xffff
	s_add_co_i32 s5, s2, 1
	s_clause 0x1
	s_load_b32 s6, s[0:1], 0x30
	s_load_b64 s[2:3], s[0:1], 0x48
	s_bfe_u32 s8, ttmp6, 0x4000c
	s_mul_i32 s5, s4, s5
	s_bfe_u32 s7, ttmp6, 0x40004
	s_add_co_i32 s8, s8, 1
	s_bfe_u32 s9, ttmp6, 0x40014
	s_add_co_i32 s7, s7, s5
	s_and_b32 s5, ttmp6, 15
	s_mul_i32 s8, ttmp9, s8
	s_lshr_b32 s10, ttmp7, 16
	s_add_co_i32 s9, s9, 1
	s_add_co_i32 s5, s5, s8
	s_mul_i32 s8, s10, s9
	s_bfe_u32 s9, ttmp6, 0x40008
	s_getreg_b32 s11, hwreg(HW_REG_IB_STS2, 6, 4)
	s_add_co_i32 s9, s9, s8
	s_cmp_eq_u32 s11, 0
	s_cselect_b32 s8, s10, s9
	s_cselect_b32 s4, s4, s7
	s_wait_kmcnt 0x0
	s_mul_i32 s8, s3, s8
	s_cselect_b32 s3, ttmp9, s5
	s_add_co_i32 s4, s8, s4
	s_mov_b32 s5, 0
	s_mul_i32 s4, s4, s2
	s_delay_alu instid0(SALU_CYCLE_1) | instskip(NEXT) | instid1(SALU_CYCLE_1)
	s_add_co_i32 s4, s4, s3
	s_cmp_ge_u32 s4, s6
	s_cbranch_scc1 .LBB1054_43
; %bb.1:
	v_mov_b32_e32 v21, 0
	s_add_nc_u64 s[6:7], s[0:1], 0x48
	v_lshlrev_b32_e32 v20, 3, v0
	global_load_b32 v1, v21, s[6:7] offset:14
	s_clause 0x2
	s_load_b64 s[8:9], s[0:1], 0x28
	s_load_b64 s[10:11], s[0:1], 0x40
	;; [unrolled: 1-line block ×3, first 2 shown]
	s_wait_kmcnt 0x0
	s_lshr_b32 s22, s8, 10
	s_delay_alu instid0(SALU_CYCLE_1) | instskip(SKIP_2) | instid1(SALU_CYCLE_1)
	s_cmp_lg_u32 s4, s22
	s_cselect_b32 s16, -1, 0
	s_lshl_b64 s[14:15], s[4:5], 2
	s_add_nc_u64 s[10:11], s[10:11], s[14:15]
	s_load_b64 s[14:15], s[10:11], 0x0
	s_wait_xcnt 0x0
	s_lshr_b32 s10, s9, 9
	s_delay_alu instid0(SALU_CYCLE_1) | instskip(NEXT) | instid1(SALU_CYCLE_1)
	s_and_b32 s10, s10, 0x7ffffe
	s_sub_co_i32 s11, 0, s10
	s_lshl_b32 s10, s4, 10
	s_and_b32 s17, s4, s11
	s_or_b32 s11, s4, s11
	s_lshl_b32 s18, s17, 11
	s_lshl_b32 s17, s17, 10
	s_add_co_i32 s18, s18, s9
	s_sub_co_i32 s19, s10, s17
	s_sub_co_i32 s17, s18, s17
	s_add_co_i32 s18, s18, s19
	s_min_u32 s20, s8, s17
	s_add_co_i32 s17, s17, s9
	s_wait_kmcnt 0x0
	s_sub_co_i32 s9, s18, s14
	s_sub_co_i32 s19, s18, s15
	s_min_u32 s18, s8, s9
	s_add_co_i32 s9, s19, 0x400
	s_cmp_eq_u32 s11, -1
	s_mov_b32 s19, s5
	s_cselect_b32 s9, s17, s9
	s_cselect_b32 s11, s20, s15
	s_mov_b32 s15, s5
	s_min_u32 s17, s9, s8
	s_lshl_b64 s[20:21], s[18:19], 3
	s_sub_co_i32 s9, s11, s14
	s_lshl_b64 s[14:15], s[14:15], 3
	s_sub_co_i32 s17, s17, s18
	s_cmp_lt_u32 s3, s2
	s_mov_b32 s3, s5
	s_cselect_b32 s2, 12, 18
	s_add_nc_u64 s[14:15], s[12:13], s[14:15]
	s_add_nc_u64 s[2:3], s[6:7], s[2:3]
	s_cmp_eq_u32 s4, s22
	s_load_u16 s2, s[2:3], 0x0
	s_add_nc_u64 s[6:7], s[12:13], s[20:21]
	s_wait_loadcnt 0x0
	v_lshrrev_b32_e32 v2, 16, v1
	v_and_b32_e32 v1, 0xffff, v1
	s_delay_alu instid0(VALU_DEP_1) | instskip(SKIP_1) | instid1(VALU_DEP_1)
	v_mul_lo_u32 v1, v1, v2
	s_wait_kmcnt 0x0
	v_mul_lo_u32 v1, v1, s2
	s_mov_b32 s2, -1
	s_delay_alu instid0(VALU_DEP_1) | instskip(NEXT) | instid1(VALU_DEP_1)
	v_add_nc_u32_e32 v24, v1, v0
	v_add_nc_u32_e32 v22, v24, v1
	s_cbranch_scc1 .LBB1054_3
; %bb.2:
	v_sub_co_u32 v4, vcc_lo, v0, s9
	v_dual_mov_b32 v5, v21 :: v_dual_mov_b32 v25, v21
	v_add_nc_u64_e32 v[2:3], s[14:15], v[20:21]
	v_sub_co_u32 v8, s2, v24, s9
	s_delay_alu instid0(VALU_DEP_3) | instskip(SKIP_3) | instid1(VALU_DEP_4)
	v_lshl_add_u64 v[4:5], v[4:5], 3, s[6:7]
	v_dual_mov_b32 v9, v21 :: v_dual_mov_b32 v23, v21
	v_lshl_add_u64 v[6:7], v[24:25], 3, s[14:15]
	v_dual_mov_b32 v11, v21 :: v_dual_add_nc_u32 v12, v22, v1
	v_dual_cndmask_b32 v3, v5, v3 :: v_dual_cndmask_b32 v2, v4, v2
	s_delay_alu instid0(VALU_DEP_4) | instskip(SKIP_3) | instid1(VALU_DEP_4)
	v_lshl_add_u64 v[4:5], v[8:9], 3, s[6:7]
	v_sub_co_u32 v10, vcc_lo, v22, s9
	v_mov_b32_e32 v13, v21
	v_lshl_add_u64 v[8:9], v[22:23], 3, s[14:15]
	v_dual_cndmask_b32 v5, v5, v7, s2 :: v_dual_cndmask_b32 v4, v4, v6, s2
	s_delay_alu instid0(VALU_DEP_4) | instskip(NEXT) | instid1(VALU_DEP_4)
	v_lshl_add_u64 v[6:7], v[10:11], 3, s[6:7]
	v_lshl_add_u64 v[10:11], v[12:13], 3, s[14:15]
	v_sub_co_u32 v14, s2, v12, s9
	s_delay_alu instid0(VALU_DEP_3) | instskip(NEXT) | instid1(VALU_DEP_4)
	v_dual_mov_b32 v15, v21 :: v_dual_cndmask_b32 v7, v7, v9, vcc_lo
	v_dual_add_nc_u32 v12, v12, v1 :: v_dual_cndmask_b32 v6, v6, v8, vcc_lo
	v_mov_b32_e32 v17, v21
	s_delay_alu instid0(VALU_DEP_3) | instskip(SKIP_1) | instid1(VALU_DEP_4)
	v_lshl_add_u64 v[8:9], v[14:15], 3, s[6:7]
	v_mov_b32_e32 v27, v21
	v_lshl_add_u64 v[14:15], v[12:13], 3, s[14:15]
	v_sub_co_u32 v16, vcc_lo, v12, s9
	s_delay_alu instid0(VALU_DEP_4) | instskip(SKIP_1) | instid1(VALU_DEP_3)
	v_dual_add_nc_u32 v12, v12, v1 :: v_dual_cndmask_b32 v19, v9, v11, s2
	v_cndmask_b32_e64 v18, v8, v10, s2
	v_lshl_add_u64 v[8:9], v[16:17], 3, s[6:7]
	global_load_b64 v[2:3], v[2:3], off
	v_lshl_add_u64 v[10:11], v[12:13], 3, s[14:15]
	v_add_nc_u32_e32 v16, v12, v1
	v_sub_co_u32 v12, s2, v12, s9
	v_cndmask_b32_e32 v33, v9, v15, vcc_lo
	global_load_b64 v[4:5], v[4:5], off
	v_lshl_add_u64 v[28:29], v[16:17], 3, s[14:15]
	v_lshl_add_u64 v[12:13], v[12:13], 3, s[6:7]
	v_add_nc_u32_e32 v26, v16, v1
	v_sub_co_u32 v16, s3, v16, s9
	global_load_b64 v[6:7], v[6:7], off
	s_add_co_i32 s11, s17, s9
	v_lshl_add_u64 v[30:31], v[26:27], 3, s[14:15]
	v_sub_co_u32 v26, s4, v26, s9
	v_lshl_add_u64 v[16:17], v[16:17], 3, s[6:7]
	v_cndmask_b32_e32 v32, v8, v14, vcc_lo
	s_delay_alu instid0(VALU_DEP_3) | instskip(SKIP_1) | instid1(VALU_DEP_4)
	v_lshl_add_u64 v[8:9], v[26:27], 3, s[6:7]
	v_dual_cndmask_b32 v27, v13, v11, s2 :: v_dual_cndmask_b32 v26, v12, v10, s2
	v_dual_cndmask_b32 v29, v17, v29, s3 :: v_dual_cndmask_b32 v28, v16, v28, s3
	s_delay_alu instid0(VALU_DEP_3)
	v_dual_cndmask_b32 v31, v9, v31, s4 :: v_dual_cndmask_b32 v30, v8, v30, s4
	global_load_b64 v[8:9], v[18:19], off
	global_load_b64 v[10:11], v[32:33], off
	;; [unrolled: 1-line block ×5, first 2 shown]
	s_load_b64 s[12:13], s[0:1], 0x38
	s_cbranch_execz .LBB1054_4
	s_branch .LBB1054_19
.LBB1054_3:
                                        ; implicit-def: $vgpr2_vgpr3_vgpr4_vgpr5_vgpr6_vgpr7_vgpr8_vgpr9_vgpr10_vgpr11_vgpr12_vgpr13_vgpr14_vgpr15_vgpr16_vgpr17
                                        ; implicit-def: $sgpr11
	s_load_b64 s[12:13], s[0:1], 0x38
	s_and_not1_b32 vcc_lo, exec_lo, s2
	s_cbranch_vccnz .LBB1054_19
.LBB1054_4:
	s_wait_loadcnt 0x7
	v_mov_b32_e32 v2, 0
	s_add_co_i32 s11, s17, s9
	s_mov_b32 s2, exec_lo
	s_wait_loadcnt 0x6
	s_delay_alu instid0(VALU_DEP_1)
	v_dual_mov_b32 v3, v2 :: v_dual_mov_b32 v4, v2
	s_wait_loadcnt 0x5
	v_dual_mov_b32 v5, v2 :: v_dual_mov_b32 v6, v2
	s_wait_loadcnt 0x4
	;; [unrolled: 2-line block ×6, first 2 shown]
	v_dual_mov_b32 v15, v2 :: v_dual_mov_b32 v16, v2
	v_mov_b32_e32 v17, v2
	v_cmpx_gt_u32_e64 s11, v0
	s_cbranch_execnz .LBB1054_44
; %bb.5:
	s_or_b32 exec_lo, exec_lo, s2
	s_delay_alu instid0(SALU_CYCLE_1)
	s_mov_b32 s2, exec_lo
	v_cmpx_gt_u32_e64 s11, v24
	s_cbranch_execnz .LBB1054_45
.LBB1054_6:
	s_or_b32 exec_lo, exec_lo, s2
	s_delay_alu instid0(SALU_CYCLE_1)
	s_mov_b32 s2, exec_lo
	v_cmpx_gt_u32_e64 s11, v22
	s_cbranch_execz .LBB1054_8
.LBB1054_7:
	v_sub_co_u32 v18, vcc_lo, v22, s9
	v_mov_b32_e32 v23, 0
	s_delay_alu instid0(VALU_DEP_1) | instskip(SKIP_1) | instid1(VALU_DEP_1)
	v_lshl_add_u64 v[6:7], v[22:23], 3, s[14:15]
	v_mov_b32_e32 v19, v23
	v_lshl_add_u64 v[18:19], v[18:19], 3, s[6:7]
	s_delay_alu instid0(VALU_DEP_1)
	v_dual_cndmask_b32 v7, v19, v7 :: v_dual_cndmask_b32 v6, v18, v6
	global_load_b64 v[6:7], v[6:7], off
.LBB1054_8:
	s_wait_xcnt 0x0
	s_or_b32 exec_lo, exec_lo, s2
	v_add_nc_u32_e32 v18, v22, v1
	s_mov_b32 s2, exec_lo
	s_delay_alu instid0(VALU_DEP_1)
	v_cmpx_gt_u32_e64 s11, v18
	s_cbranch_execz .LBB1054_10
; %bb.9:
	v_sub_co_u32 v22, vcc_lo, v18, s9
	v_mov_b32_e32 v19, 0
	s_delay_alu instid0(VALU_DEP_1) | instskip(SKIP_1) | instid1(VALU_DEP_1)
	v_lshl_add_u64 v[8:9], v[18:19], 3, s[14:15]
	v_mov_b32_e32 v23, v19
	v_lshl_add_u64 v[22:23], v[22:23], 3, s[6:7]
	s_delay_alu instid0(VALU_DEP_1)
	v_dual_cndmask_b32 v9, v23, v9 :: v_dual_cndmask_b32 v8, v22, v8
	global_load_b64 v[8:9], v[8:9], off
.LBB1054_10:
	s_wait_xcnt 0x0
	s_or_b32 exec_lo, exec_lo, s2
	v_add_nc_u32_e32 v18, v18, v1
	s_mov_b32 s2, exec_lo
	s_delay_alu instid0(VALU_DEP_1)
	v_cmpx_gt_u32_e64 s11, v18
	s_cbranch_execz .LBB1054_12
; %bb.11:
	v_sub_co_u32 v22, vcc_lo, v18, s9
	v_mov_b32_e32 v19, 0
	s_delay_alu instid0(VALU_DEP_1) | instskip(SKIP_1) | instid1(VALU_DEP_1)
	v_lshl_add_u64 v[10:11], v[18:19], 3, s[14:15]
	v_mov_b32_e32 v23, v19
	v_lshl_add_u64 v[22:23], v[22:23], 3, s[6:7]
	s_delay_alu instid0(VALU_DEP_1)
	v_dual_cndmask_b32 v11, v23, v11 :: v_dual_cndmask_b32 v10, v22, v10
	global_load_b64 v[10:11], v[10:11], off
.LBB1054_12:
	;; [unrolled: 18-line block ×4, first 2 shown]
	s_wait_xcnt 0x0
	s_or_b32 exec_lo, exec_lo, s2
	v_add_nc_u32_e32 v18, v18, v1
	s_mov_b32 s2, exec_lo
	s_delay_alu instid0(VALU_DEP_1)
	v_cmpx_gt_u32_e64 s11, v18
	s_cbranch_execz .LBB1054_18
; %bb.17:
	v_mov_b32_e32 v19, 0
	s_delay_alu instid0(VALU_DEP_1) | instskip(SKIP_1) | instid1(VALU_DEP_1)
	v_lshl_add_u64 v[16:17], v[18:19], 3, s[14:15]
	v_sub_co_u32 v18, vcc_lo, v18, s9
	v_lshl_add_u64 v[18:19], v[18:19], 3, s[6:7]
	s_delay_alu instid0(VALU_DEP_1)
	v_dual_cndmask_b32 v17, v19, v17 :: v_dual_cndmask_b32 v16, v18, v16
	global_load_b64 v[16:17], v[16:17], off
.LBB1054_18:
	s_wait_xcnt 0x0
	s_or_b32 exec_lo, exec_lo, s2
.LBB1054_19:
	s_load_b64 s[14:15], s[0:1], 0x10
	v_min_u32_e32 v18, s11, v20
	s_wait_xcnt 0x0
	s_mov_b32 s0, exec_lo
	s_wait_loadcnt 0x0
	ds_store_2addr_stride64_b64 v20, v[2:3], v[4:5] offset1:2
	ds_store_2addr_stride64_b64 v20, v[6:7], v[8:9] offset0:4 offset1:6
	ds_store_2addr_stride64_b64 v20, v[10:11], v[12:13] offset0:8 offset1:10
	;; [unrolled: 1-line block ×3, first 2 shown]
	s_wait_dscnt 0x0
	s_barrier_signal -1
	v_sub_nc_u32_e64 v1, v18, s17 clamp
	v_min_u32_e32 v19, s9, v18
	s_barrier_wait -1
	s_delay_alu instid0(VALU_DEP_1)
	v_cmpx_lt_u32_e64 v1, v19
	s_cbranch_execz .LBB1054_23
; %bb.20:
	v_lshlrev_b32_e32 v21, 3, v18
	s_mov_b32 s1, 0
	s_delay_alu instid0(VALU_DEP_1)
	v_lshl_add_u32 v21, s9, 3, v21
.LBB1054_21:                            ; =>This Inner Loop Header: Depth=1
	v_add_nc_u32_e32 v22, v19, v1
	s_delay_alu instid0(VALU_DEP_1) | instskip(NEXT) | instid1(VALU_DEP_1)
	v_lshrrev_b32_e32 v26, 1, v22
	v_not_b32_e32 v22, v26
	v_lshlrev_b32_e32 v23, 3, v26
	s_delay_alu instid0(VALU_DEP_2)
	v_lshl_add_u32 v24, v22, 3, v21
	ds_load_b64 v[22:23], v23
	ds_load_b64 v[24:25], v24
	s_wait_dscnt 0x1
	s_wait_kmcnt 0x0
	v_and_b32_e32 v23, s13, v23
	v_and_b32_e32 v22, s12, v22
	s_wait_dscnt 0x0
	v_and_b32_e32 v25, s13, v25
	v_and_b32_e32 v24, s12, v24
	s_delay_alu instid0(VALU_DEP_1) | instskip(SKIP_1) | instid1(VALU_DEP_1)
	v_cmp_gt_i64_e32 vcc_lo, v[24:25], v[22:23]
	v_dual_cndmask_b32 v19, v19, v26 :: v_dual_add_nc_u32 v22, 1, v26
	v_cndmask_b32_e32 v1, v22, v1, vcc_lo
	s_delay_alu instid0(VALU_DEP_1) | instskip(SKIP_1) | instid1(SALU_CYCLE_1)
	v_cmp_ge_u32_e32 vcc_lo, v1, v19
	s_or_b32 s1, vcc_lo, s1
	s_and_not1_b32 exec_lo, exec_lo, s1
	s_cbranch_execnz .LBB1054_21
; %bb.22:
	s_or_b32 exec_lo, exec_lo, s1
.LBB1054_23:
	s_delay_alu instid0(SALU_CYCLE_1) | instskip(SKIP_2) | instid1(VALU_DEP_2)
	s_or_b32 exec_lo, exec_lo, s0
	v_sub_nc_u32_e32 v18, v18, v1
	v_cmp_ge_u32_e32 vcc_lo, s9, v1
	v_add_nc_u32_e32 v18, s9, v18
	s_delay_alu instid0(VALU_DEP_1) | instskip(SKIP_1) | instid1(SALU_CYCLE_1)
	v_cmp_ge_u32_e64 s0, s11, v18
	s_or_b32 s0, vcc_lo, s0
	s_and_saveexec_b32 s17, s0
	s_cbranch_execz .LBB1054_29
; %bb.24:
	v_cmp_gt_u32_e32 vcc_lo, s9, v1
                                        ; implicit-def: $vgpr2_vgpr3
	s_and_saveexec_b32 s0, vcc_lo
; %bb.25:
	v_lshlrev_b32_e32 v2, 3, v1
	ds_load_b64 v[2:3], v2
; %bb.26:
	s_or_b32 exec_lo, exec_lo, s0
	v_cmp_le_u32_e64 s0, s11, v18
	s_mov_b32 s2, exec_lo
                                        ; implicit-def: $vgpr4_vgpr5
	v_cmpx_gt_u32_e64 s11, v18
; %bb.27:
	v_lshlrev_b32_e32 v4, 3, v18
	ds_load_b64 v[4:5], v4
; %bb.28:
	s_or_b32 exec_lo, exec_lo, s2
	s_wait_dscnt 0x0
	s_wait_kmcnt 0x0
	v_dual_mov_b32 v10, s9 :: v_dual_bitop2_b32 v7, s13, v5 bitop3:0x40
	v_and_b32_e32 v6, s12, v4
	v_and_b32_e32 v9, s13, v3
	;; [unrolled: 1-line block ×3, first 2 shown]
	s_delay_alu instid0(VALU_DEP_1) | instskip(SKIP_1) | instid1(SALU_CYCLE_1)
	v_cmp_le_i64_e64 s1, v[6:7], v[8:9]
	s_and_b32 s1, vcc_lo, s1
	s_or_b32 vcc_lo, s0, s1
	v_cndmask_b32_e32 v6, v18, v1, vcc_lo
	v_cndmask_b32_e32 v7, s11, v10, vcc_lo
	s_delay_alu instid0(VALU_DEP_2) | instskip(NEXT) | instid1(VALU_DEP_1)
	v_add_nc_u32_e32 v11, 1, v6
	v_add_min_u32_e64 v6, v7, -1, v11
	s_delay_alu instid0(VALU_DEP_1)
	v_dual_cndmask_b32 v1, v1, v11 :: v_dual_lshlrev_b32 v6, 3, v6
	v_cndmask_b32_e32 v11, v11, v18, vcc_lo
	ds_load_b64 v[6:7], v6
	v_cmp_gt_u32_e64 s1, s9, v1
	v_cmp_le_u32_e64 s2, s11, v11
	s_wait_dscnt 0x0
	v_dual_cndmask_b32 v12, v7, v5 :: v_dual_cndmask_b32 v13, v6, v4
	v_dual_cndmask_b32 v14, v3, v7 :: v_dual_cndmask_b32 v15, v2, v6
	s_delay_alu instid0(VALU_DEP_2) | instskip(NEXT) | instid1(VALU_DEP_3)
	v_dual_cndmask_b32 v2, v4, v2, vcc_lo :: v_dual_bitop2_b32 v7, s13, v12 bitop3:0x40
	v_and_b32_e32 v6, s12, v13
	s_delay_alu instid0(VALU_DEP_3) | instskip(NEXT) | instid1(VALU_DEP_4)
	v_and_b32_e32 v9, s13, v14
	v_and_b32_e32 v8, s12, v15
	v_cndmask_b32_e32 v3, v5, v3, vcc_lo
	s_delay_alu instid0(VALU_DEP_2) | instskip(SKIP_1) | instid1(SALU_CYCLE_1)
	v_cmp_le_i64_e64 s0, v[6:7], v[8:9]
	s_and_b32 s0, s1, s0
	s_or_b32 s0, s2, s0
	s_delay_alu instid0(SALU_CYCLE_1) | instskip(SKIP_2) | instid1(VALU_DEP_3)
	v_cndmask_b32_e64 v6, v11, v1, s0
	v_cndmask_b32_e64 v7, s11, v10, s0
	v_dual_cndmask_b32 v5, v12, v14, s0 :: v_dual_cndmask_b32 v4, v13, v15, s0
	v_add_nc_u32_e32 v16, 1, v6
	s_delay_alu instid0(VALU_DEP_1) | instskip(SKIP_1) | instid1(VALU_DEP_2)
	v_add_min_u32_e64 v6, v7, -1, v16
	v_dual_cndmask_b32 v1, v1, v16, s0 :: v_dual_cndmask_b32 v11, v16, v11, s0
	v_lshlrev_b32_e32 v6, 3, v6
	s_delay_alu instid0(VALU_DEP_2) | instskip(NEXT) | instid1(VALU_DEP_3)
	v_cmp_gt_u32_e64 s2, s9, v1
	v_cmp_le_u32_e64 s3, s11, v11
	ds_load_b64 v[6:7], v6
	s_wait_dscnt 0x0
	v_dual_cndmask_b32 v17, v7, v12, s0 :: v_dual_cndmask_b32 v18, v6, v13, s0
	v_dual_cndmask_b32 v21, v15, v6, s0 :: v_dual_cndmask_b32 v19, v14, v7, s0
	s_delay_alu instid0(VALU_DEP_2) | instskip(NEXT) | instid1(VALU_DEP_3)
	v_and_b32_e32 v7, s13, v17
	v_and_b32_e32 v6, s12, v18
	s_delay_alu instid0(VALU_DEP_3) | instskip(NEXT) | instid1(VALU_DEP_4)
	v_and_b32_e32 v8, s12, v21
	v_and_b32_e32 v9, s13, v19
	s_delay_alu instid0(VALU_DEP_1) | instskip(SKIP_1) | instid1(SALU_CYCLE_1)
	v_cmp_le_i64_e64 s1, v[6:7], v[8:9]
	s_and_b32 s1, s2, s1
	s_or_b32 s1, s3, s1
	s_delay_alu instid0(SALU_CYCLE_1) | instskip(SKIP_1) | instid1(VALU_DEP_2)
	v_cndmask_b32_e64 v6, v11, v1, s1
	v_cndmask_b32_e64 v7, s11, v10, s1
	v_add_nc_u32_e32 v16, 1, v6
	s_delay_alu instid0(VALU_DEP_1) | instskip(NEXT) | instid1(VALU_DEP_1)
	v_add_min_u32_e64 v6, v7, -1, v16
	v_dual_lshlrev_b32 v6, 3, v6 :: v_dual_cndmask_b32 v1, v1, v16, s1
	v_cndmask_b32_e64 v11, v16, v11, s1
	ds_load_b64 v[6:7], v6
	v_cmp_gt_u32_e64 s3, s9, v1
	v_cmp_le_u32_e64 s4, s11, v11
	s_wait_dscnt 0x0
	v_dual_cndmask_b32 v22, v7, v17, s1 :: v_dual_cndmask_b32 v23, v6, v18, s1
	v_dual_cndmask_b32 v24, v19, v7, s1 :: v_dual_cndmask_b32 v25, v21, v6, s1
	s_delay_alu instid0(VALU_DEP_2) | instskip(NEXT) | instid1(VALU_DEP_3)
	v_and_b32_e32 v7, s13, v22
	v_and_b32_e32 v6, s12, v23
	s_delay_alu instid0(VALU_DEP_3) | instskip(NEXT) | instid1(VALU_DEP_4)
	v_and_b32_e32 v9, s13, v24
	v_and_b32_e32 v8, s12, v25
	s_delay_alu instid0(VALU_DEP_1) | instskip(SKIP_1) | instid1(SALU_CYCLE_1)
	v_cmp_le_i64_e64 s2, v[6:7], v[8:9]
	s_and_b32 s2, s3, s2
	s_or_b32 s2, s4, s2
	s_delay_alu instid0(SALU_CYCLE_1) | instskip(SKIP_1) | instid1(VALU_DEP_2)
	v_cndmask_b32_e64 v6, v11, v1, s2
	v_cndmask_b32_e64 v7, s11, v10, s2
	v_add_nc_u32_e32 v16, 1, v6
	s_delay_alu instid0(VALU_DEP_1) | instskip(SKIP_1) | instid1(VALU_DEP_2)
	v_add_min_u32_e64 v6, v7, -1, v16
	v_dual_cndmask_b32 v1, v1, v16, s2 :: v_dual_cndmask_b32 v11, v16, v11, s2
	v_lshlrev_b32_e32 v6, 3, v6
	s_delay_alu instid0(VALU_DEP_2) | instskip(NEXT) | instid1(VALU_DEP_3)
	v_cmp_gt_u32_e64 s4, s9, v1
	v_cmp_le_u32_e64 s5, s11, v11
	ds_load_b64 v[6:7], v6
	s_wait_dscnt 0x0
	v_dual_cndmask_b32 v26, v7, v22, s2 :: v_dual_cndmask_b32 v27, v6, v23, s2
	v_dual_cndmask_b32 v29, v25, v6, s2 :: v_dual_cndmask_b32 v28, v24, v7, s2
	s_delay_alu instid0(VALU_DEP_2) | instskip(NEXT) | instid1(VALU_DEP_3)
	v_and_b32_e32 v7, s13, v26
	v_and_b32_e32 v6, s12, v27
	s_delay_alu instid0(VALU_DEP_3) | instskip(NEXT) | instid1(VALU_DEP_4)
	v_and_b32_e32 v8, s12, v29
	v_and_b32_e32 v9, s13, v28
	s_delay_alu instid0(VALU_DEP_1) | instskip(SKIP_1) | instid1(SALU_CYCLE_1)
	v_cmp_le_i64_e64 s3, v[6:7], v[8:9]
	s_and_b32 s3, s4, s3
	s_or_b32 s3, s5, s3
	s_delay_alu instid0(SALU_CYCLE_1) | instskip(SKIP_1) | instid1(VALU_DEP_2)
	v_cndmask_b32_e64 v6, v11, v1, s3
	v_cndmask_b32_e64 v7, s11, v10, s3
	v_add_nc_u32_e32 v16, 1, v6
	s_delay_alu instid0(VALU_DEP_1) | instskip(NEXT) | instid1(VALU_DEP_1)
	v_add_min_u32_e64 v6, v7, -1, v16
	v_dual_lshlrev_b32 v6, 3, v6 :: v_dual_cndmask_b32 v1, v1, v16, s3
	v_cndmask_b32_e64 v11, v16, v11, s3
	ds_load_b64 v[6:7], v6
	v_cmp_gt_u32_e64 s5, s9, v1
	v_cmp_le_u32_e64 s6, s11, v11
	s_wait_dscnt 0x0
	v_dual_cndmask_b32 v30, v7, v26, s3 :: v_dual_cndmask_b32 v31, v6, v27, s3
	v_dual_cndmask_b32 v33, v29, v6, s3 :: v_dual_cndmask_b32 v32, v28, v7, s3
	s_delay_alu instid0(VALU_DEP_2) | instskip(NEXT) | instid1(VALU_DEP_3)
	v_and_b32_e32 v7, s13, v30
	v_and_b32_e32 v6, s12, v31
	s_delay_alu instid0(VALU_DEP_3) | instskip(NEXT) | instid1(VALU_DEP_4)
	v_and_b32_e32 v8, s12, v33
	v_and_b32_e32 v9, s13, v32
	s_delay_alu instid0(VALU_DEP_1) | instskip(SKIP_1) | instid1(SALU_CYCLE_1)
	v_cmp_le_i64_e64 s4, v[6:7], v[8:9]
	s_and_b32 s4, s5, s4
	s_or_b32 s4, s6, s4
	s_delay_alu instid0(SALU_CYCLE_1) | instskip(SKIP_1) | instid1(VALU_DEP_2)
	v_cndmask_b32_e64 v6, v11, v1, s4
	v_cndmask_b32_e64 v7, s11, v10, s4
	v_add_nc_u32_e32 v16, 1, v6
	s_delay_alu instid0(VALU_DEP_1) | instskip(SKIP_1) | instid1(VALU_DEP_2)
	v_add_min_u32_e64 v6, v7, -1, v16
	v_dual_cndmask_b32 v1, v1, v16, s4 :: v_dual_cndmask_b32 v16, v16, v11, s4
	v_dual_cndmask_b32 v11, v26, v28, s3 :: v_dual_lshlrev_b32 v6, 3, v6
	s_delay_alu instid0(VALU_DEP_2) | instskip(NEXT) | instid1(VALU_DEP_3)
	v_cmp_gt_u32_e64 s6, s9, v1
	v_cmp_le_u32_e64 s7, s11, v16
	ds_load_b64 v[6:7], v6
	s_wait_dscnt 0x0
	v_dual_cndmask_b32 v34, v7, v30, s4 :: v_dual_cndmask_b32 v35, v6, v31, s4
	v_dual_cndmask_b32 v37, v33, v6, s4 :: v_dual_cndmask_b32 v36, v32, v7, s4
	s_delay_alu instid0(VALU_DEP_2) | instskip(NEXT) | instid1(VALU_DEP_3)
	v_and_b32_e32 v7, s13, v34
	v_and_b32_e32 v6, s12, v35
	s_delay_alu instid0(VALU_DEP_3) | instskip(NEXT) | instid1(VALU_DEP_4)
	v_and_b32_e32 v8, s12, v37
	v_and_b32_e32 v9, s13, v36
	s_delay_alu instid0(VALU_DEP_1) | instskip(SKIP_1) | instid1(SALU_CYCLE_1)
	v_cmp_le_i64_e64 s5, v[6:7], v[8:9]
	s_and_b32 s5, s6, s5
	s_or_b32 s5, s7, s5
	s_delay_alu instid0(SALU_CYCLE_1) | instskip(SKIP_1) | instid1(VALU_DEP_2)
	v_cndmask_b32_e64 v6, v16, v1, s5
	v_cndmask_b32_e64 v7, s11, v10, s5
	v_add_nc_u32_e32 v10, 1, v6
	s_delay_alu instid0(VALU_DEP_1) | instskip(NEXT) | instid1(VALU_DEP_1)
	v_add_min_u32_e64 v6, v7, -1, v10
	v_dual_cndmask_b32 v7, v17, v19, s1 :: v_dual_lshlrev_b32 v6, 3, v6
	v_dual_cndmask_b32 v1, v1, v10, s5 :: v_dual_cndmask_b32 v16, v10, v16, s5
	v_cndmask_b32_e64 v10, v27, v29, s3
	ds_load_b64 v[8:9], v6
	v_cndmask_b32_e64 v6, v18, v21, s1
	v_cmp_le_u32_e64 s1, s11, v16
	v_cmp_gt_u32_e64 s0, s9, v1
	s_wait_dscnt 0x0
	v_dual_cndmask_b32 v17, v9, v34, s5 :: v_dual_cndmask_b32 v18, v8, v35, s5
	v_dual_cndmask_b32 v19, v36, v9, s5 :: v_dual_cndmask_b32 v21, v37, v8, s5
	s_delay_alu instid0(VALU_DEP_2) | instskip(NEXT) | instid1(VALU_DEP_3)
	v_dual_cndmask_b32 v9, v22, v24, s2 :: v_dual_bitop2_b32 v13, s13, v17 bitop3:0x40
	v_dual_cndmask_b32 v8, v23, v25, s2 :: v_dual_bitop2_b32 v12, s12, v18 bitop3:0x40
	s_delay_alu instid0(VALU_DEP_3) | instskip(NEXT) | instid1(VALU_DEP_4)
	v_and_b32_e32 v15, s13, v19
	v_and_b32_e32 v14, s12, v21
	s_delay_alu instid0(VALU_DEP_1) | instskip(SKIP_3) | instid1(SALU_CYCLE_1)
	v_cmp_le_i64_e32 vcc_lo, v[12:13], v[14:15]
	v_dual_cndmask_b32 v13, v30, v32, s4 :: v_dual_cndmask_b32 v12, v31, v33, s4
	v_dual_cndmask_b32 v15, v34, v36, s5 :: v_dual_cndmask_b32 v14, v35, v37, s5
	s_and_b32 s0, s0, vcc_lo
	s_or_b32 vcc_lo, s1, s0
	v_dual_cndmask_b32 v17, v17, v19 :: v_dual_cndmask_b32 v16, v18, v21
.LBB1054_29:
	s_or_b32 exec_lo, exec_lo, s17
	v_or_b32_e32 v25, 0x80, v0
	v_lshrrev_b32_e32 v1, 2, v0
	v_or_b32_e32 v22, 0x100, v0
	v_lshlrev_b32_e32 v18, 3, v20
	s_delay_alu instid0(VALU_DEP_4) | instskip(SKIP_1) | instid1(VALU_DEP_3)
	v_lshrrev_b32_e32 v19, 2, v25
	s_barrier_signal -1
	v_lshrrev_b32_e32 v21, 2, v22
	s_delay_alu instid0(VALU_DEP_3)
	v_lshl_add_u32 v18, v1, 3, v18
	s_barrier_wait -1
	s_barrier_signal -1
	s_barrier_wait -1
	ds_store_2addr_b64 v18, v[2:3], v[4:5] offset1:1
	ds_store_2addr_b64 v18, v[6:7], v[8:9] offset0:2 offset1:3
	v_and_b32_e32 v2, 56, v19
	v_and_b32_e32 v1, 24, v1
	v_or_b32_e32 v24, 0x180, v0
	v_and_b32_e32 v3, 0x58, v21
	v_or_b32_e32 v23, 0x200, v0
	s_delay_alu instid0(VALU_DEP_4) | instskip(NEXT) | instid1(VALU_DEP_4)
	v_dual_add_nc_u32 v6, v2, v20 :: v_dual_add_nc_u32 v26, v1, v20
	v_lshrrev_b32_e32 v1, 2, v24
	ds_store_2addr_b64 v18, v[10:11], v[12:13] offset0:4 offset1:5
	ds_store_2addr_b64 v18, v[14:15], v[16:17] offset0:6 offset1:7
	v_or_b32_e32 v19, 0x280, v0
	v_add_nc_u32_e32 v7, v3, v20
	v_or_b32_e32 v18, 0x300, v0
	v_lshrrev_b32_e32 v3, 2, v23
	v_and_b32_e32 v2, 0x78, v1
	v_or_b32_e32 v1, 0x380, v0
	s_delay_alu instid0(VALU_DEP_4) | instskip(SKIP_1) | instid1(VALU_DEP_2)
	v_dual_lshrrev_b32 v4, 2, v19 :: v_dual_lshrrev_b32 v5, 2, v18
	s_mov_b32 s11, 0
	v_dual_add_nc_u32 v8, v2, v20 :: v_dual_lshrrev_b32 v2, 2, v1
	v_mov_b32_e32 v21, 0
	v_and_b32_e32 v3, 0x98, v3
	s_lshl_b64 s[0:1], s[10:11], 3
	v_and_b32_e32 v4, 0xb8, v4
	v_and_b32_e32 v5, 0xd8, v5
	;; [unrolled: 1-line block ×3, first 2 shown]
	s_wait_kmcnt 0x0
	s_add_nc_u64 s[0:1], s[14:15], s[0:1]
	v_dual_add_nc_u32 v9, v3, v20 :: v_dual_add_nc_u32 v27, v4, v20
	v_add_nc_u64_e32 v[2:3], s[0:1], v[20:21]
	v_dual_add_nc_u32 v28, v5, v20 :: v_dual_add_nc_u32 v20, v10, v20
	s_and_b32 vcc_lo, exec_lo, s16
	s_wait_dscnt 0x0
	s_cbranch_vccz .LBB1054_31
; %bb.30:
	s_barrier_signal -1
	s_barrier_wait -1
	ds_load_b64 v[10:11], v26
	ds_load_b64 v[12:13], v6 offset:1024
	ds_load_b64 v[14:15], v7 offset:2048
	;; [unrolled: 1-line block ×7, first 2 shown]
	s_mov_b32 s11, -1
	s_wait_dscnt 0x7
	global_store_b64 v[2:3], v[10:11], off
	s_wait_dscnt 0x6
	global_store_b64 v[2:3], v[12:13], off offset:1024
	s_wait_dscnt 0x5
	global_store_b64 v[2:3], v[14:15], off offset:2048
	;; [unrolled: 2-line block ×6, first 2 shown]
	s_cbranch_execz .LBB1054_32
	s_branch .LBB1054_41
.LBB1054_31:
                                        ; implicit-def: $vgpr4_vgpr5
.LBB1054_32:
	s_barrier_signal -1
	s_barrier_wait -1
	s_wait_storecnt_dscnt 0x0
	s_wait_xcnt 0x3
	ds_load_b64 v[16:17], v6 offset:1024
	ds_load_b64 v[14:15], v7 offset:2048
	;; [unrolled: 1-line block ×7, first 2 shown]
	s_sub_co_i32 s0, s8, s10
	s_mov_b32 s1, exec_lo
	s_wait_xcnt 0x0
	v_cmpx_gt_u32_e64 s0, v0
	s_cbranch_execnz .LBB1054_46
; %bb.33:
	s_or_b32 exec_lo, exec_lo, s1
	s_delay_alu instid0(SALU_CYCLE_1)
	s_mov_b32 s1, exec_lo
	v_cmpx_gt_u32_e64 s0, v25
	s_cbranch_execnz .LBB1054_47
.LBB1054_34:
	s_or_b32 exec_lo, exec_lo, s1
	s_delay_alu instid0(SALU_CYCLE_1)
	s_mov_b32 s1, exec_lo
	v_cmpx_gt_u32_e64 s0, v22
	s_cbranch_execnz .LBB1054_48
.LBB1054_35:
	s_or_b32 exec_lo, exec_lo, s1
	s_delay_alu instid0(SALU_CYCLE_1)
	s_mov_b32 s1, exec_lo
	v_cmpx_gt_u32_e64 s0, v24
	s_cbranch_execnz .LBB1054_49
.LBB1054_36:
	s_or_b32 exec_lo, exec_lo, s1
	s_delay_alu instid0(SALU_CYCLE_1)
	s_mov_b32 s1, exec_lo
	v_cmpx_gt_u32_e64 s0, v23
	s_cbranch_execnz .LBB1054_50
.LBB1054_37:
	s_or_b32 exec_lo, exec_lo, s1
	s_delay_alu instid0(SALU_CYCLE_1)
	s_mov_b32 s1, exec_lo
	v_cmpx_gt_u32_e64 s0, v19
	s_cbranch_execnz .LBB1054_51
.LBB1054_38:
	s_or_b32 exec_lo, exec_lo, s1
	s_delay_alu instid0(SALU_CYCLE_1)
	s_mov_b32 s1, exec_lo
	v_cmpx_gt_u32_e64 s0, v18
	s_cbranch_execz .LBB1054_40
.LBB1054_39:
	s_wait_dscnt 0x1
	global_store_b64 v[2:3], v[6:7], off offset:6144
.LBB1054_40:
	s_wait_xcnt 0x0
	s_or_b32 exec_lo, exec_lo, s1
	v_cmp_gt_u32_e64 s11, s0, v1
.LBB1054_41:
	s_wait_xcnt 0x0
	s_delay_alu instid0(VALU_DEP_1)
	s_and_saveexec_b32 s0, s11
	s_cbranch_execz .LBB1054_43
; %bb.42:
	s_wait_dscnt 0x0
	global_store_b64 v[2:3], v[4:5], off offset:7168
.LBB1054_43:
	s_endpgm
.LBB1054_44:
	v_dual_mov_b32 v21, v2 :: v_dual_mov_b32 v5, v2
	v_sub_co_u32 v4, vcc_lo, v0, s9
	v_dual_mov_b32 v18, v2 :: v_dual_mov_b32 v19, v2
	s_delay_alu instid0(VALU_DEP_3) | instskip(NEXT) | instid1(VALU_DEP_3)
	v_add_nc_u64_e32 v[6:7], s[14:15], v[20:21]
	v_lshl_add_u64 v[4:5], v[4:5], 3, s[6:7]
	v_dual_mov_b32 v8, v2 :: v_dual_mov_b32 v9, v2
	v_dual_mov_b32 v10, v2 :: v_dual_mov_b32 v11, v2
	;; [unrolled: 1-line block ×3, first 2 shown]
	s_delay_alu instid0(VALU_DEP_4)
	v_dual_cndmask_b32 v5, v5, v7 :: v_dual_cndmask_b32 v4, v4, v6
	v_dual_mov_b32 v6, v2 :: v_dual_mov_b32 v7, v2
	v_dual_mov_b32 v14, v2 :: v_dual_mov_b32 v15, v2
	global_load_b64 v[4:5], v[4:5], off
	v_dual_mov_b32 v16, v2 :: v_dual_mov_b32 v17, v2
	s_wait_loadcnt 0x0
	v_mov_b64_e32 v[2:3], v[4:5]
	v_mov_b64_e32 v[4:5], v[6:7]
	v_mov_b64_e32 v[6:7], v[8:9]
	v_mov_b64_e32 v[8:9], v[10:11]
	v_mov_b64_e32 v[10:11], v[12:13]
	v_mov_b64_e32 v[12:13], v[14:15]
	v_mov_b64_e32 v[14:15], v[16:17]
	v_mov_b64_e32 v[16:17], v[18:19]
	s_or_b32 exec_lo, exec_lo, s2
	s_delay_alu instid0(SALU_CYCLE_1)
	s_mov_b32 s2, exec_lo
	v_cmpx_gt_u32_e64 s11, v24
	s_cbranch_execz .LBB1054_6
.LBB1054_45:
	v_mov_b32_e32 v25, 0
	s_delay_alu instid0(VALU_DEP_1) | instskip(SKIP_1) | instid1(VALU_DEP_1)
	v_lshl_add_u64 v[4:5], v[24:25], 3, s[14:15]
	v_sub_co_u32 v24, vcc_lo, v24, s9
	v_lshl_add_u64 v[18:19], v[24:25], 3, s[6:7]
	s_delay_alu instid0(VALU_DEP_1) | instskip(SKIP_3) | instid1(SALU_CYCLE_1)
	v_dual_cndmask_b32 v5, v19, v5 :: v_dual_cndmask_b32 v4, v18, v4
	global_load_b64 v[4:5], v[4:5], off
	s_wait_xcnt 0x0
	s_or_b32 exec_lo, exec_lo, s2
	s_mov_b32 s2, exec_lo
	v_cmpx_gt_u32_e64 s11, v22
	s_cbranch_execnz .LBB1054_7
	s_branch .LBB1054_8
.LBB1054_46:
	ds_load_b64 v[20:21], v26
	s_wait_dscnt 0x0
	global_store_b64 v[2:3], v[20:21], off
	s_wait_xcnt 0x0
	s_or_b32 exec_lo, exec_lo, s1
	s_delay_alu instid0(SALU_CYCLE_1)
	s_mov_b32 s1, exec_lo
	v_cmpx_gt_u32_e64 s0, v25
	s_cbranch_execz .LBB1054_34
.LBB1054_47:
	s_wait_dscnt 0x6
	global_store_b64 v[2:3], v[16:17], off offset:1024
	s_wait_xcnt 0x0
	s_or_b32 exec_lo, exec_lo, s1
	s_delay_alu instid0(SALU_CYCLE_1)
	s_mov_b32 s1, exec_lo
	v_cmpx_gt_u32_e64 s0, v22
	s_cbranch_execz .LBB1054_35
.LBB1054_48:
	s_wait_dscnt 0x5
	global_store_b64 v[2:3], v[14:15], off offset:2048
	s_wait_xcnt 0x0
	s_or_b32 exec_lo, exec_lo, s1
	s_delay_alu instid0(SALU_CYCLE_1)
	s_mov_b32 s1, exec_lo
	v_cmpx_gt_u32_e64 s0, v24
	s_cbranch_execz .LBB1054_36
.LBB1054_49:
	s_wait_dscnt 0x4
	global_store_b64 v[2:3], v[12:13], off offset:3072
	s_wait_xcnt 0x0
	s_or_b32 exec_lo, exec_lo, s1
	s_delay_alu instid0(SALU_CYCLE_1)
	s_mov_b32 s1, exec_lo
	v_cmpx_gt_u32_e64 s0, v23
	s_cbranch_execz .LBB1054_37
.LBB1054_50:
	s_wait_dscnt 0x3
	global_store_b64 v[2:3], v[10:11], off offset:4096
	s_wait_xcnt 0x0
	s_or_b32 exec_lo, exec_lo, s1
	s_delay_alu instid0(SALU_CYCLE_1)
	s_mov_b32 s1, exec_lo
	v_cmpx_gt_u32_e64 s0, v19
	s_cbranch_execz .LBB1054_38
.LBB1054_51:
	s_wait_dscnt 0x2
	global_store_b64 v[2:3], v[8:9], off offset:5120
	s_wait_xcnt 0x0
	s_or_b32 exec_lo, exec_lo, s1
	s_delay_alu instid0(SALU_CYCLE_1)
	s_mov_b32 s1, exec_lo
	v_cmpx_gt_u32_e64 s0, v18
	s_cbranch_execnz .LBB1054_39
	s_branch .LBB1054_40
	.section	.rodata,"a",@progbits
	.p2align	6, 0x0
	.amdhsa_kernel _ZN7rocprim17ROCPRIM_400000_NS6detail17trampoline_kernelINS0_14default_configENS1_38merge_sort_block_merge_config_selectorIlNS0_10empty_typeEEEZZNS1_27merge_sort_block_merge_implIS3_PlPS5_jNS1_19radix_merge_compareILb1ELb1ElNS0_19identity_decomposerEEEEE10hipError_tT0_T1_T2_jT3_P12ihipStream_tbPNSt15iterator_traitsISE_E10value_typeEPNSK_ISF_E10value_typeEPSG_NS1_7vsmem_tEENKUlT_SE_SF_SG_E_clIS8_S8_S9_S9_EESD_ST_SE_SF_SG_EUlST_E0_NS1_11comp_targetILNS1_3genE0ELNS1_11target_archE4294967295ELNS1_3gpuE0ELNS1_3repE0EEENS1_38merge_mergepath_config_static_selectorELNS0_4arch9wavefront6targetE0EEEvSF_
		.amdhsa_group_segment_fixed_size 8448
		.amdhsa_private_segment_fixed_size 0
		.amdhsa_kernarg_size 328
		.amdhsa_user_sgpr_count 2
		.amdhsa_user_sgpr_dispatch_ptr 0
		.amdhsa_user_sgpr_queue_ptr 0
		.amdhsa_user_sgpr_kernarg_segment_ptr 1
		.amdhsa_user_sgpr_dispatch_id 0
		.amdhsa_user_sgpr_kernarg_preload_length 0
		.amdhsa_user_sgpr_kernarg_preload_offset 0
		.amdhsa_user_sgpr_private_segment_size 0
		.amdhsa_wavefront_size32 1
		.amdhsa_uses_dynamic_stack 0
		.amdhsa_enable_private_segment 0
		.amdhsa_system_sgpr_workgroup_id_x 1
		.amdhsa_system_sgpr_workgroup_id_y 1
		.amdhsa_system_sgpr_workgroup_id_z 1
		.amdhsa_system_sgpr_workgroup_info 0
		.amdhsa_system_vgpr_workitem_id 0
		.amdhsa_next_free_vgpr 38
		.amdhsa_next_free_sgpr 23
		.amdhsa_named_barrier_count 0
		.amdhsa_reserve_vcc 1
		.amdhsa_float_round_mode_32 0
		.amdhsa_float_round_mode_16_64 0
		.amdhsa_float_denorm_mode_32 3
		.amdhsa_float_denorm_mode_16_64 3
		.amdhsa_fp16_overflow 0
		.amdhsa_memory_ordered 1
		.amdhsa_forward_progress 1
		.amdhsa_inst_pref_size 36
		.amdhsa_round_robin_scheduling 0
		.amdhsa_exception_fp_ieee_invalid_op 0
		.amdhsa_exception_fp_denorm_src 0
		.amdhsa_exception_fp_ieee_div_zero 0
		.amdhsa_exception_fp_ieee_overflow 0
		.amdhsa_exception_fp_ieee_underflow 0
		.amdhsa_exception_fp_ieee_inexact 0
		.amdhsa_exception_int_div_zero 0
	.end_amdhsa_kernel
	.section	.text._ZN7rocprim17ROCPRIM_400000_NS6detail17trampoline_kernelINS0_14default_configENS1_38merge_sort_block_merge_config_selectorIlNS0_10empty_typeEEEZZNS1_27merge_sort_block_merge_implIS3_PlPS5_jNS1_19radix_merge_compareILb1ELb1ElNS0_19identity_decomposerEEEEE10hipError_tT0_T1_T2_jT3_P12ihipStream_tbPNSt15iterator_traitsISE_E10value_typeEPNSK_ISF_E10value_typeEPSG_NS1_7vsmem_tEENKUlT_SE_SF_SG_E_clIS8_S8_S9_S9_EESD_ST_SE_SF_SG_EUlST_E0_NS1_11comp_targetILNS1_3genE0ELNS1_11target_archE4294967295ELNS1_3gpuE0ELNS1_3repE0EEENS1_38merge_mergepath_config_static_selectorELNS0_4arch9wavefront6targetE0EEEvSF_,"axG",@progbits,_ZN7rocprim17ROCPRIM_400000_NS6detail17trampoline_kernelINS0_14default_configENS1_38merge_sort_block_merge_config_selectorIlNS0_10empty_typeEEEZZNS1_27merge_sort_block_merge_implIS3_PlPS5_jNS1_19radix_merge_compareILb1ELb1ElNS0_19identity_decomposerEEEEE10hipError_tT0_T1_T2_jT3_P12ihipStream_tbPNSt15iterator_traitsISE_E10value_typeEPNSK_ISF_E10value_typeEPSG_NS1_7vsmem_tEENKUlT_SE_SF_SG_E_clIS8_S8_S9_S9_EESD_ST_SE_SF_SG_EUlST_E0_NS1_11comp_targetILNS1_3genE0ELNS1_11target_archE4294967295ELNS1_3gpuE0ELNS1_3repE0EEENS1_38merge_mergepath_config_static_selectorELNS0_4arch9wavefront6targetE0EEEvSF_,comdat
.Lfunc_end1054:
	.size	_ZN7rocprim17ROCPRIM_400000_NS6detail17trampoline_kernelINS0_14default_configENS1_38merge_sort_block_merge_config_selectorIlNS0_10empty_typeEEEZZNS1_27merge_sort_block_merge_implIS3_PlPS5_jNS1_19radix_merge_compareILb1ELb1ElNS0_19identity_decomposerEEEEE10hipError_tT0_T1_T2_jT3_P12ihipStream_tbPNSt15iterator_traitsISE_E10value_typeEPNSK_ISF_E10value_typeEPSG_NS1_7vsmem_tEENKUlT_SE_SF_SG_E_clIS8_S8_S9_S9_EESD_ST_SE_SF_SG_EUlST_E0_NS1_11comp_targetILNS1_3genE0ELNS1_11target_archE4294967295ELNS1_3gpuE0ELNS1_3repE0EEENS1_38merge_mergepath_config_static_selectorELNS0_4arch9wavefront6targetE0EEEvSF_, .Lfunc_end1054-_ZN7rocprim17ROCPRIM_400000_NS6detail17trampoline_kernelINS0_14default_configENS1_38merge_sort_block_merge_config_selectorIlNS0_10empty_typeEEEZZNS1_27merge_sort_block_merge_implIS3_PlPS5_jNS1_19radix_merge_compareILb1ELb1ElNS0_19identity_decomposerEEEEE10hipError_tT0_T1_T2_jT3_P12ihipStream_tbPNSt15iterator_traitsISE_E10value_typeEPNSK_ISF_E10value_typeEPSG_NS1_7vsmem_tEENKUlT_SE_SF_SG_E_clIS8_S8_S9_S9_EESD_ST_SE_SF_SG_EUlST_E0_NS1_11comp_targetILNS1_3genE0ELNS1_11target_archE4294967295ELNS1_3gpuE0ELNS1_3repE0EEENS1_38merge_mergepath_config_static_selectorELNS0_4arch9wavefront6targetE0EEEvSF_
                                        ; -- End function
	.set _ZN7rocprim17ROCPRIM_400000_NS6detail17trampoline_kernelINS0_14default_configENS1_38merge_sort_block_merge_config_selectorIlNS0_10empty_typeEEEZZNS1_27merge_sort_block_merge_implIS3_PlPS5_jNS1_19radix_merge_compareILb1ELb1ElNS0_19identity_decomposerEEEEE10hipError_tT0_T1_T2_jT3_P12ihipStream_tbPNSt15iterator_traitsISE_E10value_typeEPNSK_ISF_E10value_typeEPSG_NS1_7vsmem_tEENKUlT_SE_SF_SG_E_clIS8_S8_S9_S9_EESD_ST_SE_SF_SG_EUlST_E0_NS1_11comp_targetILNS1_3genE0ELNS1_11target_archE4294967295ELNS1_3gpuE0ELNS1_3repE0EEENS1_38merge_mergepath_config_static_selectorELNS0_4arch9wavefront6targetE0EEEvSF_.num_vgpr, 38
	.set _ZN7rocprim17ROCPRIM_400000_NS6detail17trampoline_kernelINS0_14default_configENS1_38merge_sort_block_merge_config_selectorIlNS0_10empty_typeEEEZZNS1_27merge_sort_block_merge_implIS3_PlPS5_jNS1_19radix_merge_compareILb1ELb1ElNS0_19identity_decomposerEEEEE10hipError_tT0_T1_T2_jT3_P12ihipStream_tbPNSt15iterator_traitsISE_E10value_typeEPNSK_ISF_E10value_typeEPSG_NS1_7vsmem_tEENKUlT_SE_SF_SG_E_clIS8_S8_S9_S9_EESD_ST_SE_SF_SG_EUlST_E0_NS1_11comp_targetILNS1_3genE0ELNS1_11target_archE4294967295ELNS1_3gpuE0ELNS1_3repE0EEENS1_38merge_mergepath_config_static_selectorELNS0_4arch9wavefront6targetE0EEEvSF_.num_agpr, 0
	.set _ZN7rocprim17ROCPRIM_400000_NS6detail17trampoline_kernelINS0_14default_configENS1_38merge_sort_block_merge_config_selectorIlNS0_10empty_typeEEEZZNS1_27merge_sort_block_merge_implIS3_PlPS5_jNS1_19radix_merge_compareILb1ELb1ElNS0_19identity_decomposerEEEEE10hipError_tT0_T1_T2_jT3_P12ihipStream_tbPNSt15iterator_traitsISE_E10value_typeEPNSK_ISF_E10value_typeEPSG_NS1_7vsmem_tEENKUlT_SE_SF_SG_E_clIS8_S8_S9_S9_EESD_ST_SE_SF_SG_EUlST_E0_NS1_11comp_targetILNS1_3genE0ELNS1_11target_archE4294967295ELNS1_3gpuE0ELNS1_3repE0EEENS1_38merge_mergepath_config_static_selectorELNS0_4arch9wavefront6targetE0EEEvSF_.numbered_sgpr, 23
	.set _ZN7rocprim17ROCPRIM_400000_NS6detail17trampoline_kernelINS0_14default_configENS1_38merge_sort_block_merge_config_selectorIlNS0_10empty_typeEEEZZNS1_27merge_sort_block_merge_implIS3_PlPS5_jNS1_19radix_merge_compareILb1ELb1ElNS0_19identity_decomposerEEEEE10hipError_tT0_T1_T2_jT3_P12ihipStream_tbPNSt15iterator_traitsISE_E10value_typeEPNSK_ISF_E10value_typeEPSG_NS1_7vsmem_tEENKUlT_SE_SF_SG_E_clIS8_S8_S9_S9_EESD_ST_SE_SF_SG_EUlST_E0_NS1_11comp_targetILNS1_3genE0ELNS1_11target_archE4294967295ELNS1_3gpuE0ELNS1_3repE0EEENS1_38merge_mergepath_config_static_selectorELNS0_4arch9wavefront6targetE0EEEvSF_.num_named_barrier, 0
	.set _ZN7rocprim17ROCPRIM_400000_NS6detail17trampoline_kernelINS0_14default_configENS1_38merge_sort_block_merge_config_selectorIlNS0_10empty_typeEEEZZNS1_27merge_sort_block_merge_implIS3_PlPS5_jNS1_19radix_merge_compareILb1ELb1ElNS0_19identity_decomposerEEEEE10hipError_tT0_T1_T2_jT3_P12ihipStream_tbPNSt15iterator_traitsISE_E10value_typeEPNSK_ISF_E10value_typeEPSG_NS1_7vsmem_tEENKUlT_SE_SF_SG_E_clIS8_S8_S9_S9_EESD_ST_SE_SF_SG_EUlST_E0_NS1_11comp_targetILNS1_3genE0ELNS1_11target_archE4294967295ELNS1_3gpuE0ELNS1_3repE0EEENS1_38merge_mergepath_config_static_selectorELNS0_4arch9wavefront6targetE0EEEvSF_.private_seg_size, 0
	.set _ZN7rocprim17ROCPRIM_400000_NS6detail17trampoline_kernelINS0_14default_configENS1_38merge_sort_block_merge_config_selectorIlNS0_10empty_typeEEEZZNS1_27merge_sort_block_merge_implIS3_PlPS5_jNS1_19radix_merge_compareILb1ELb1ElNS0_19identity_decomposerEEEEE10hipError_tT0_T1_T2_jT3_P12ihipStream_tbPNSt15iterator_traitsISE_E10value_typeEPNSK_ISF_E10value_typeEPSG_NS1_7vsmem_tEENKUlT_SE_SF_SG_E_clIS8_S8_S9_S9_EESD_ST_SE_SF_SG_EUlST_E0_NS1_11comp_targetILNS1_3genE0ELNS1_11target_archE4294967295ELNS1_3gpuE0ELNS1_3repE0EEENS1_38merge_mergepath_config_static_selectorELNS0_4arch9wavefront6targetE0EEEvSF_.uses_vcc, 1
	.set _ZN7rocprim17ROCPRIM_400000_NS6detail17trampoline_kernelINS0_14default_configENS1_38merge_sort_block_merge_config_selectorIlNS0_10empty_typeEEEZZNS1_27merge_sort_block_merge_implIS3_PlPS5_jNS1_19radix_merge_compareILb1ELb1ElNS0_19identity_decomposerEEEEE10hipError_tT0_T1_T2_jT3_P12ihipStream_tbPNSt15iterator_traitsISE_E10value_typeEPNSK_ISF_E10value_typeEPSG_NS1_7vsmem_tEENKUlT_SE_SF_SG_E_clIS8_S8_S9_S9_EESD_ST_SE_SF_SG_EUlST_E0_NS1_11comp_targetILNS1_3genE0ELNS1_11target_archE4294967295ELNS1_3gpuE0ELNS1_3repE0EEENS1_38merge_mergepath_config_static_selectorELNS0_4arch9wavefront6targetE0EEEvSF_.uses_flat_scratch, 0
	.set _ZN7rocprim17ROCPRIM_400000_NS6detail17trampoline_kernelINS0_14default_configENS1_38merge_sort_block_merge_config_selectorIlNS0_10empty_typeEEEZZNS1_27merge_sort_block_merge_implIS3_PlPS5_jNS1_19radix_merge_compareILb1ELb1ElNS0_19identity_decomposerEEEEE10hipError_tT0_T1_T2_jT3_P12ihipStream_tbPNSt15iterator_traitsISE_E10value_typeEPNSK_ISF_E10value_typeEPSG_NS1_7vsmem_tEENKUlT_SE_SF_SG_E_clIS8_S8_S9_S9_EESD_ST_SE_SF_SG_EUlST_E0_NS1_11comp_targetILNS1_3genE0ELNS1_11target_archE4294967295ELNS1_3gpuE0ELNS1_3repE0EEENS1_38merge_mergepath_config_static_selectorELNS0_4arch9wavefront6targetE0EEEvSF_.has_dyn_sized_stack, 0
	.set _ZN7rocprim17ROCPRIM_400000_NS6detail17trampoline_kernelINS0_14default_configENS1_38merge_sort_block_merge_config_selectorIlNS0_10empty_typeEEEZZNS1_27merge_sort_block_merge_implIS3_PlPS5_jNS1_19radix_merge_compareILb1ELb1ElNS0_19identity_decomposerEEEEE10hipError_tT0_T1_T2_jT3_P12ihipStream_tbPNSt15iterator_traitsISE_E10value_typeEPNSK_ISF_E10value_typeEPSG_NS1_7vsmem_tEENKUlT_SE_SF_SG_E_clIS8_S8_S9_S9_EESD_ST_SE_SF_SG_EUlST_E0_NS1_11comp_targetILNS1_3genE0ELNS1_11target_archE4294967295ELNS1_3gpuE0ELNS1_3repE0EEENS1_38merge_mergepath_config_static_selectorELNS0_4arch9wavefront6targetE0EEEvSF_.has_recursion, 0
	.set _ZN7rocprim17ROCPRIM_400000_NS6detail17trampoline_kernelINS0_14default_configENS1_38merge_sort_block_merge_config_selectorIlNS0_10empty_typeEEEZZNS1_27merge_sort_block_merge_implIS3_PlPS5_jNS1_19radix_merge_compareILb1ELb1ElNS0_19identity_decomposerEEEEE10hipError_tT0_T1_T2_jT3_P12ihipStream_tbPNSt15iterator_traitsISE_E10value_typeEPNSK_ISF_E10value_typeEPSG_NS1_7vsmem_tEENKUlT_SE_SF_SG_E_clIS8_S8_S9_S9_EESD_ST_SE_SF_SG_EUlST_E0_NS1_11comp_targetILNS1_3genE0ELNS1_11target_archE4294967295ELNS1_3gpuE0ELNS1_3repE0EEENS1_38merge_mergepath_config_static_selectorELNS0_4arch9wavefront6targetE0EEEvSF_.has_indirect_call, 0
	.section	.AMDGPU.csdata,"",@progbits
; Kernel info:
; codeLenInByte = 4572
; TotalNumSgprs: 25
; NumVgprs: 38
; ScratchSize: 0
; MemoryBound: 0
; FloatMode: 240
; IeeeMode: 1
; LDSByteSize: 8448 bytes/workgroup (compile time only)
; SGPRBlocks: 0
; VGPRBlocks: 2
; NumSGPRsForWavesPerEU: 25
; NumVGPRsForWavesPerEU: 38
; NamedBarCnt: 0
; Occupancy: 16
; WaveLimiterHint : 1
; COMPUTE_PGM_RSRC2:SCRATCH_EN: 0
; COMPUTE_PGM_RSRC2:USER_SGPR: 2
; COMPUTE_PGM_RSRC2:TRAP_HANDLER: 0
; COMPUTE_PGM_RSRC2:TGID_X_EN: 1
; COMPUTE_PGM_RSRC2:TGID_Y_EN: 1
; COMPUTE_PGM_RSRC2:TGID_Z_EN: 1
; COMPUTE_PGM_RSRC2:TIDIG_COMP_CNT: 0
	.section	.text._ZN7rocprim17ROCPRIM_400000_NS6detail17trampoline_kernelINS0_14default_configENS1_38merge_sort_block_merge_config_selectorIlNS0_10empty_typeEEEZZNS1_27merge_sort_block_merge_implIS3_PlPS5_jNS1_19radix_merge_compareILb1ELb1ElNS0_19identity_decomposerEEEEE10hipError_tT0_T1_T2_jT3_P12ihipStream_tbPNSt15iterator_traitsISE_E10value_typeEPNSK_ISF_E10value_typeEPSG_NS1_7vsmem_tEENKUlT_SE_SF_SG_E_clIS8_S8_S9_S9_EESD_ST_SE_SF_SG_EUlST_E0_NS1_11comp_targetILNS1_3genE10ELNS1_11target_archE1201ELNS1_3gpuE5ELNS1_3repE0EEENS1_38merge_mergepath_config_static_selectorELNS0_4arch9wavefront6targetE0EEEvSF_,"axG",@progbits,_ZN7rocprim17ROCPRIM_400000_NS6detail17trampoline_kernelINS0_14default_configENS1_38merge_sort_block_merge_config_selectorIlNS0_10empty_typeEEEZZNS1_27merge_sort_block_merge_implIS3_PlPS5_jNS1_19radix_merge_compareILb1ELb1ElNS0_19identity_decomposerEEEEE10hipError_tT0_T1_T2_jT3_P12ihipStream_tbPNSt15iterator_traitsISE_E10value_typeEPNSK_ISF_E10value_typeEPSG_NS1_7vsmem_tEENKUlT_SE_SF_SG_E_clIS8_S8_S9_S9_EESD_ST_SE_SF_SG_EUlST_E0_NS1_11comp_targetILNS1_3genE10ELNS1_11target_archE1201ELNS1_3gpuE5ELNS1_3repE0EEENS1_38merge_mergepath_config_static_selectorELNS0_4arch9wavefront6targetE0EEEvSF_,comdat
	.protected	_ZN7rocprim17ROCPRIM_400000_NS6detail17trampoline_kernelINS0_14default_configENS1_38merge_sort_block_merge_config_selectorIlNS0_10empty_typeEEEZZNS1_27merge_sort_block_merge_implIS3_PlPS5_jNS1_19radix_merge_compareILb1ELb1ElNS0_19identity_decomposerEEEEE10hipError_tT0_T1_T2_jT3_P12ihipStream_tbPNSt15iterator_traitsISE_E10value_typeEPNSK_ISF_E10value_typeEPSG_NS1_7vsmem_tEENKUlT_SE_SF_SG_E_clIS8_S8_S9_S9_EESD_ST_SE_SF_SG_EUlST_E0_NS1_11comp_targetILNS1_3genE10ELNS1_11target_archE1201ELNS1_3gpuE5ELNS1_3repE0EEENS1_38merge_mergepath_config_static_selectorELNS0_4arch9wavefront6targetE0EEEvSF_ ; -- Begin function _ZN7rocprim17ROCPRIM_400000_NS6detail17trampoline_kernelINS0_14default_configENS1_38merge_sort_block_merge_config_selectorIlNS0_10empty_typeEEEZZNS1_27merge_sort_block_merge_implIS3_PlPS5_jNS1_19radix_merge_compareILb1ELb1ElNS0_19identity_decomposerEEEEE10hipError_tT0_T1_T2_jT3_P12ihipStream_tbPNSt15iterator_traitsISE_E10value_typeEPNSK_ISF_E10value_typeEPSG_NS1_7vsmem_tEENKUlT_SE_SF_SG_E_clIS8_S8_S9_S9_EESD_ST_SE_SF_SG_EUlST_E0_NS1_11comp_targetILNS1_3genE10ELNS1_11target_archE1201ELNS1_3gpuE5ELNS1_3repE0EEENS1_38merge_mergepath_config_static_selectorELNS0_4arch9wavefront6targetE0EEEvSF_
	.globl	_ZN7rocprim17ROCPRIM_400000_NS6detail17trampoline_kernelINS0_14default_configENS1_38merge_sort_block_merge_config_selectorIlNS0_10empty_typeEEEZZNS1_27merge_sort_block_merge_implIS3_PlPS5_jNS1_19radix_merge_compareILb1ELb1ElNS0_19identity_decomposerEEEEE10hipError_tT0_T1_T2_jT3_P12ihipStream_tbPNSt15iterator_traitsISE_E10value_typeEPNSK_ISF_E10value_typeEPSG_NS1_7vsmem_tEENKUlT_SE_SF_SG_E_clIS8_S8_S9_S9_EESD_ST_SE_SF_SG_EUlST_E0_NS1_11comp_targetILNS1_3genE10ELNS1_11target_archE1201ELNS1_3gpuE5ELNS1_3repE0EEENS1_38merge_mergepath_config_static_selectorELNS0_4arch9wavefront6targetE0EEEvSF_
	.p2align	8
	.type	_ZN7rocprim17ROCPRIM_400000_NS6detail17trampoline_kernelINS0_14default_configENS1_38merge_sort_block_merge_config_selectorIlNS0_10empty_typeEEEZZNS1_27merge_sort_block_merge_implIS3_PlPS5_jNS1_19radix_merge_compareILb1ELb1ElNS0_19identity_decomposerEEEEE10hipError_tT0_T1_T2_jT3_P12ihipStream_tbPNSt15iterator_traitsISE_E10value_typeEPNSK_ISF_E10value_typeEPSG_NS1_7vsmem_tEENKUlT_SE_SF_SG_E_clIS8_S8_S9_S9_EESD_ST_SE_SF_SG_EUlST_E0_NS1_11comp_targetILNS1_3genE10ELNS1_11target_archE1201ELNS1_3gpuE5ELNS1_3repE0EEENS1_38merge_mergepath_config_static_selectorELNS0_4arch9wavefront6targetE0EEEvSF_,@function
_ZN7rocprim17ROCPRIM_400000_NS6detail17trampoline_kernelINS0_14default_configENS1_38merge_sort_block_merge_config_selectorIlNS0_10empty_typeEEEZZNS1_27merge_sort_block_merge_implIS3_PlPS5_jNS1_19radix_merge_compareILb1ELb1ElNS0_19identity_decomposerEEEEE10hipError_tT0_T1_T2_jT3_P12ihipStream_tbPNSt15iterator_traitsISE_E10value_typeEPNSK_ISF_E10value_typeEPSG_NS1_7vsmem_tEENKUlT_SE_SF_SG_E_clIS8_S8_S9_S9_EESD_ST_SE_SF_SG_EUlST_E0_NS1_11comp_targetILNS1_3genE10ELNS1_11target_archE1201ELNS1_3gpuE5ELNS1_3repE0EEENS1_38merge_mergepath_config_static_selectorELNS0_4arch9wavefront6targetE0EEEvSF_: ; @_ZN7rocprim17ROCPRIM_400000_NS6detail17trampoline_kernelINS0_14default_configENS1_38merge_sort_block_merge_config_selectorIlNS0_10empty_typeEEEZZNS1_27merge_sort_block_merge_implIS3_PlPS5_jNS1_19radix_merge_compareILb1ELb1ElNS0_19identity_decomposerEEEEE10hipError_tT0_T1_T2_jT3_P12ihipStream_tbPNSt15iterator_traitsISE_E10value_typeEPNSK_ISF_E10value_typeEPSG_NS1_7vsmem_tEENKUlT_SE_SF_SG_E_clIS8_S8_S9_S9_EESD_ST_SE_SF_SG_EUlST_E0_NS1_11comp_targetILNS1_3genE10ELNS1_11target_archE1201ELNS1_3gpuE5ELNS1_3repE0EEENS1_38merge_mergepath_config_static_selectorELNS0_4arch9wavefront6targetE0EEEvSF_
; %bb.0:
	.section	.rodata,"a",@progbits
	.p2align	6, 0x0
	.amdhsa_kernel _ZN7rocprim17ROCPRIM_400000_NS6detail17trampoline_kernelINS0_14default_configENS1_38merge_sort_block_merge_config_selectorIlNS0_10empty_typeEEEZZNS1_27merge_sort_block_merge_implIS3_PlPS5_jNS1_19radix_merge_compareILb1ELb1ElNS0_19identity_decomposerEEEEE10hipError_tT0_T1_T2_jT3_P12ihipStream_tbPNSt15iterator_traitsISE_E10value_typeEPNSK_ISF_E10value_typeEPSG_NS1_7vsmem_tEENKUlT_SE_SF_SG_E_clIS8_S8_S9_S9_EESD_ST_SE_SF_SG_EUlST_E0_NS1_11comp_targetILNS1_3genE10ELNS1_11target_archE1201ELNS1_3gpuE5ELNS1_3repE0EEENS1_38merge_mergepath_config_static_selectorELNS0_4arch9wavefront6targetE0EEEvSF_
		.amdhsa_group_segment_fixed_size 0
		.amdhsa_private_segment_fixed_size 0
		.amdhsa_kernarg_size 72
		.amdhsa_user_sgpr_count 2
		.amdhsa_user_sgpr_dispatch_ptr 0
		.amdhsa_user_sgpr_queue_ptr 0
		.amdhsa_user_sgpr_kernarg_segment_ptr 1
		.amdhsa_user_sgpr_dispatch_id 0
		.amdhsa_user_sgpr_kernarg_preload_length 0
		.amdhsa_user_sgpr_kernarg_preload_offset 0
		.amdhsa_user_sgpr_private_segment_size 0
		.amdhsa_wavefront_size32 1
		.amdhsa_uses_dynamic_stack 0
		.amdhsa_enable_private_segment 0
		.amdhsa_system_sgpr_workgroup_id_x 1
		.amdhsa_system_sgpr_workgroup_id_y 0
		.amdhsa_system_sgpr_workgroup_id_z 0
		.amdhsa_system_sgpr_workgroup_info 0
		.amdhsa_system_vgpr_workitem_id 0
		.amdhsa_next_free_vgpr 1
		.amdhsa_next_free_sgpr 1
		.amdhsa_named_barrier_count 0
		.amdhsa_reserve_vcc 0
		.amdhsa_float_round_mode_32 0
		.amdhsa_float_round_mode_16_64 0
		.amdhsa_float_denorm_mode_32 3
		.amdhsa_float_denorm_mode_16_64 3
		.amdhsa_fp16_overflow 0
		.amdhsa_memory_ordered 1
		.amdhsa_forward_progress 1
		.amdhsa_inst_pref_size 0
		.amdhsa_round_robin_scheduling 0
		.amdhsa_exception_fp_ieee_invalid_op 0
		.amdhsa_exception_fp_denorm_src 0
		.amdhsa_exception_fp_ieee_div_zero 0
		.amdhsa_exception_fp_ieee_overflow 0
		.amdhsa_exception_fp_ieee_underflow 0
		.amdhsa_exception_fp_ieee_inexact 0
		.amdhsa_exception_int_div_zero 0
	.end_amdhsa_kernel
	.section	.text._ZN7rocprim17ROCPRIM_400000_NS6detail17trampoline_kernelINS0_14default_configENS1_38merge_sort_block_merge_config_selectorIlNS0_10empty_typeEEEZZNS1_27merge_sort_block_merge_implIS3_PlPS5_jNS1_19radix_merge_compareILb1ELb1ElNS0_19identity_decomposerEEEEE10hipError_tT0_T1_T2_jT3_P12ihipStream_tbPNSt15iterator_traitsISE_E10value_typeEPNSK_ISF_E10value_typeEPSG_NS1_7vsmem_tEENKUlT_SE_SF_SG_E_clIS8_S8_S9_S9_EESD_ST_SE_SF_SG_EUlST_E0_NS1_11comp_targetILNS1_3genE10ELNS1_11target_archE1201ELNS1_3gpuE5ELNS1_3repE0EEENS1_38merge_mergepath_config_static_selectorELNS0_4arch9wavefront6targetE0EEEvSF_,"axG",@progbits,_ZN7rocprim17ROCPRIM_400000_NS6detail17trampoline_kernelINS0_14default_configENS1_38merge_sort_block_merge_config_selectorIlNS0_10empty_typeEEEZZNS1_27merge_sort_block_merge_implIS3_PlPS5_jNS1_19radix_merge_compareILb1ELb1ElNS0_19identity_decomposerEEEEE10hipError_tT0_T1_T2_jT3_P12ihipStream_tbPNSt15iterator_traitsISE_E10value_typeEPNSK_ISF_E10value_typeEPSG_NS1_7vsmem_tEENKUlT_SE_SF_SG_E_clIS8_S8_S9_S9_EESD_ST_SE_SF_SG_EUlST_E0_NS1_11comp_targetILNS1_3genE10ELNS1_11target_archE1201ELNS1_3gpuE5ELNS1_3repE0EEENS1_38merge_mergepath_config_static_selectorELNS0_4arch9wavefront6targetE0EEEvSF_,comdat
.Lfunc_end1055:
	.size	_ZN7rocprim17ROCPRIM_400000_NS6detail17trampoline_kernelINS0_14default_configENS1_38merge_sort_block_merge_config_selectorIlNS0_10empty_typeEEEZZNS1_27merge_sort_block_merge_implIS3_PlPS5_jNS1_19radix_merge_compareILb1ELb1ElNS0_19identity_decomposerEEEEE10hipError_tT0_T1_T2_jT3_P12ihipStream_tbPNSt15iterator_traitsISE_E10value_typeEPNSK_ISF_E10value_typeEPSG_NS1_7vsmem_tEENKUlT_SE_SF_SG_E_clIS8_S8_S9_S9_EESD_ST_SE_SF_SG_EUlST_E0_NS1_11comp_targetILNS1_3genE10ELNS1_11target_archE1201ELNS1_3gpuE5ELNS1_3repE0EEENS1_38merge_mergepath_config_static_selectorELNS0_4arch9wavefront6targetE0EEEvSF_, .Lfunc_end1055-_ZN7rocprim17ROCPRIM_400000_NS6detail17trampoline_kernelINS0_14default_configENS1_38merge_sort_block_merge_config_selectorIlNS0_10empty_typeEEEZZNS1_27merge_sort_block_merge_implIS3_PlPS5_jNS1_19radix_merge_compareILb1ELb1ElNS0_19identity_decomposerEEEEE10hipError_tT0_T1_T2_jT3_P12ihipStream_tbPNSt15iterator_traitsISE_E10value_typeEPNSK_ISF_E10value_typeEPSG_NS1_7vsmem_tEENKUlT_SE_SF_SG_E_clIS8_S8_S9_S9_EESD_ST_SE_SF_SG_EUlST_E0_NS1_11comp_targetILNS1_3genE10ELNS1_11target_archE1201ELNS1_3gpuE5ELNS1_3repE0EEENS1_38merge_mergepath_config_static_selectorELNS0_4arch9wavefront6targetE0EEEvSF_
                                        ; -- End function
	.set _ZN7rocprim17ROCPRIM_400000_NS6detail17trampoline_kernelINS0_14default_configENS1_38merge_sort_block_merge_config_selectorIlNS0_10empty_typeEEEZZNS1_27merge_sort_block_merge_implIS3_PlPS5_jNS1_19radix_merge_compareILb1ELb1ElNS0_19identity_decomposerEEEEE10hipError_tT0_T1_T2_jT3_P12ihipStream_tbPNSt15iterator_traitsISE_E10value_typeEPNSK_ISF_E10value_typeEPSG_NS1_7vsmem_tEENKUlT_SE_SF_SG_E_clIS8_S8_S9_S9_EESD_ST_SE_SF_SG_EUlST_E0_NS1_11comp_targetILNS1_3genE10ELNS1_11target_archE1201ELNS1_3gpuE5ELNS1_3repE0EEENS1_38merge_mergepath_config_static_selectorELNS0_4arch9wavefront6targetE0EEEvSF_.num_vgpr, 0
	.set _ZN7rocprim17ROCPRIM_400000_NS6detail17trampoline_kernelINS0_14default_configENS1_38merge_sort_block_merge_config_selectorIlNS0_10empty_typeEEEZZNS1_27merge_sort_block_merge_implIS3_PlPS5_jNS1_19radix_merge_compareILb1ELb1ElNS0_19identity_decomposerEEEEE10hipError_tT0_T1_T2_jT3_P12ihipStream_tbPNSt15iterator_traitsISE_E10value_typeEPNSK_ISF_E10value_typeEPSG_NS1_7vsmem_tEENKUlT_SE_SF_SG_E_clIS8_S8_S9_S9_EESD_ST_SE_SF_SG_EUlST_E0_NS1_11comp_targetILNS1_3genE10ELNS1_11target_archE1201ELNS1_3gpuE5ELNS1_3repE0EEENS1_38merge_mergepath_config_static_selectorELNS0_4arch9wavefront6targetE0EEEvSF_.num_agpr, 0
	.set _ZN7rocprim17ROCPRIM_400000_NS6detail17trampoline_kernelINS0_14default_configENS1_38merge_sort_block_merge_config_selectorIlNS0_10empty_typeEEEZZNS1_27merge_sort_block_merge_implIS3_PlPS5_jNS1_19radix_merge_compareILb1ELb1ElNS0_19identity_decomposerEEEEE10hipError_tT0_T1_T2_jT3_P12ihipStream_tbPNSt15iterator_traitsISE_E10value_typeEPNSK_ISF_E10value_typeEPSG_NS1_7vsmem_tEENKUlT_SE_SF_SG_E_clIS8_S8_S9_S9_EESD_ST_SE_SF_SG_EUlST_E0_NS1_11comp_targetILNS1_3genE10ELNS1_11target_archE1201ELNS1_3gpuE5ELNS1_3repE0EEENS1_38merge_mergepath_config_static_selectorELNS0_4arch9wavefront6targetE0EEEvSF_.numbered_sgpr, 0
	.set _ZN7rocprim17ROCPRIM_400000_NS6detail17trampoline_kernelINS0_14default_configENS1_38merge_sort_block_merge_config_selectorIlNS0_10empty_typeEEEZZNS1_27merge_sort_block_merge_implIS3_PlPS5_jNS1_19radix_merge_compareILb1ELb1ElNS0_19identity_decomposerEEEEE10hipError_tT0_T1_T2_jT3_P12ihipStream_tbPNSt15iterator_traitsISE_E10value_typeEPNSK_ISF_E10value_typeEPSG_NS1_7vsmem_tEENKUlT_SE_SF_SG_E_clIS8_S8_S9_S9_EESD_ST_SE_SF_SG_EUlST_E0_NS1_11comp_targetILNS1_3genE10ELNS1_11target_archE1201ELNS1_3gpuE5ELNS1_3repE0EEENS1_38merge_mergepath_config_static_selectorELNS0_4arch9wavefront6targetE0EEEvSF_.num_named_barrier, 0
	.set _ZN7rocprim17ROCPRIM_400000_NS6detail17trampoline_kernelINS0_14default_configENS1_38merge_sort_block_merge_config_selectorIlNS0_10empty_typeEEEZZNS1_27merge_sort_block_merge_implIS3_PlPS5_jNS1_19radix_merge_compareILb1ELb1ElNS0_19identity_decomposerEEEEE10hipError_tT0_T1_T2_jT3_P12ihipStream_tbPNSt15iterator_traitsISE_E10value_typeEPNSK_ISF_E10value_typeEPSG_NS1_7vsmem_tEENKUlT_SE_SF_SG_E_clIS8_S8_S9_S9_EESD_ST_SE_SF_SG_EUlST_E0_NS1_11comp_targetILNS1_3genE10ELNS1_11target_archE1201ELNS1_3gpuE5ELNS1_3repE0EEENS1_38merge_mergepath_config_static_selectorELNS0_4arch9wavefront6targetE0EEEvSF_.private_seg_size, 0
	.set _ZN7rocprim17ROCPRIM_400000_NS6detail17trampoline_kernelINS0_14default_configENS1_38merge_sort_block_merge_config_selectorIlNS0_10empty_typeEEEZZNS1_27merge_sort_block_merge_implIS3_PlPS5_jNS1_19radix_merge_compareILb1ELb1ElNS0_19identity_decomposerEEEEE10hipError_tT0_T1_T2_jT3_P12ihipStream_tbPNSt15iterator_traitsISE_E10value_typeEPNSK_ISF_E10value_typeEPSG_NS1_7vsmem_tEENKUlT_SE_SF_SG_E_clIS8_S8_S9_S9_EESD_ST_SE_SF_SG_EUlST_E0_NS1_11comp_targetILNS1_3genE10ELNS1_11target_archE1201ELNS1_3gpuE5ELNS1_3repE0EEENS1_38merge_mergepath_config_static_selectorELNS0_4arch9wavefront6targetE0EEEvSF_.uses_vcc, 0
	.set _ZN7rocprim17ROCPRIM_400000_NS6detail17trampoline_kernelINS0_14default_configENS1_38merge_sort_block_merge_config_selectorIlNS0_10empty_typeEEEZZNS1_27merge_sort_block_merge_implIS3_PlPS5_jNS1_19radix_merge_compareILb1ELb1ElNS0_19identity_decomposerEEEEE10hipError_tT0_T1_T2_jT3_P12ihipStream_tbPNSt15iterator_traitsISE_E10value_typeEPNSK_ISF_E10value_typeEPSG_NS1_7vsmem_tEENKUlT_SE_SF_SG_E_clIS8_S8_S9_S9_EESD_ST_SE_SF_SG_EUlST_E0_NS1_11comp_targetILNS1_3genE10ELNS1_11target_archE1201ELNS1_3gpuE5ELNS1_3repE0EEENS1_38merge_mergepath_config_static_selectorELNS0_4arch9wavefront6targetE0EEEvSF_.uses_flat_scratch, 0
	.set _ZN7rocprim17ROCPRIM_400000_NS6detail17trampoline_kernelINS0_14default_configENS1_38merge_sort_block_merge_config_selectorIlNS0_10empty_typeEEEZZNS1_27merge_sort_block_merge_implIS3_PlPS5_jNS1_19radix_merge_compareILb1ELb1ElNS0_19identity_decomposerEEEEE10hipError_tT0_T1_T2_jT3_P12ihipStream_tbPNSt15iterator_traitsISE_E10value_typeEPNSK_ISF_E10value_typeEPSG_NS1_7vsmem_tEENKUlT_SE_SF_SG_E_clIS8_S8_S9_S9_EESD_ST_SE_SF_SG_EUlST_E0_NS1_11comp_targetILNS1_3genE10ELNS1_11target_archE1201ELNS1_3gpuE5ELNS1_3repE0EEENS1_38merge_mergepath_config_static_selectorELNS0_4arch9wavefront6targetE0EEEvSF_.has_dyn_sized_stack, 0
	.set _ZN7rocprim17ROCPRIM_400000_NS6detail17trampoline_kernelINS0_14default_configENS1_38merge_sort_block_merge_config_selectorIlNS0_10empty_typeEEEZZNS1_27merge_sort_block_merge_implIS3_PlPS5_jNS1_19radix_merge_compareILb1ELb1ElNS0_19identity_decomposerEEEEE10hipError_tT0_T1_T2_jT3_P12ihipStream_tbPNSt15iterator_traitsISE_E10value_typeEPNSK_ISF_E10value_typeEPSG_NS1_7vsmem_tEENKUlT_SE_SF_SG_E_clIS8_S8_S9_S9_EESD_ST_SE_SF_SG_EUlST_E0_NS1_11comp_targetILNS1_3genE10ELNS1_11target_archE1201ELNS1_3gpuE5ELNS1_3repE0EEENS1_38merge_mergepath_config_static_selectorELNS0_4arch9wavefront6targetE0EEEvSF_.has_recursion, 0
	.set _ZN7rocprim17ROCPRIM_400000_NS6detail17trampoline_kernelINS0_14default_configENS1_38merge_sort_block_merge_config_selectorIlNS0_10empty_typeEEEZZNS1_27merge_sort_block_merge_implIS3_PlPS5_jNS1_19radix_merge_compareILb1ELb1ElNS0_19identity_decomposerEEEEE10hipError_tT0_T1_T2_jT3_P12ihipStream_tbPNSt15iterator_traitsISE_E10value_typeEPNSK_ISF_E10value_typeEPSG_NS1_7vsmem_tEENKUlT_SE_SF_SG_E_clIS8_S8_S9_S9_EESD_ST_SE_SF_SG_EUlST_E0_NS1_11comp_targetILNS1_3genE10ELNS1_11target_archE1201ELNS1_3gpuE5ELNS1_3repE0EEENS1_38merge_mergepath_config_static_selectorELNS0_4arch9wavefront6targetE0EEEvSF_.has_indirect_call, 0
	.section	.AMDGPU.csdata,"",@progbits
; Kernel info:
; codeLenInByte = 0
; TotalNumSgprs: 0
; NumVgprs: 0
; ScratchSize: 0
; MemoryBound: 0
; FloatMode: 240
; IeeeMode: 1
; LDSByteSize: 0 bytes/workgroup (compile time only)
; SGPRBlocks: 0
; VGPRBlocks: 0
; NumSGPRsForWavesPerEU: 1
; NumVGPRsForWavesPerEU: 1
; NamedBarCnt: 0
; Occupancy: 16
; WaveLimiterHint : 0
; COMPUTE_PGM_RSRC2:SCRATCH_EN: 0
; COMPUTE_PGM_RSRC2:USER_SGPR: 2
; COMPUTE_PGM_RSRC2:TRAP_HANDLER: 0
; COMPUTE_PGM_RSRC2:TGID_X_EN: 1
; COMPUTE_PGM_RSRC2:TGID_Y_EN: 0
; COMPUTE_PGM_RSRC2:TGID_Z_EN: 0
; COMPUTE_PGM_RSRC2:TIDIG_COMP_CNT: 0
	.section	.text._ZN7rocprim17ROCPRIM_400000_NS6detail17trampoline_kernelINS0_14default_configENS1_38merge_sort_block_merge_config_selectorIlNS0_10empty_typeEEEZZNS1_27merge_sort_block_merge_implIS3_PlPS5_jNS1_19radix_merge_compareILb1ELb1ElNS0_19identity_decomposerEEEEE10hipError_tT0_T1_T2_jT3_P12ihipStream_tbPNSt15iterator_traitsISE_E10value_typeEPNSK_ISF_E10value_typeEPSG_NS1_7vsmem_tEENKUlT_SE_SF_SG_E_clIS8_S8_S9_S9_EESD_ST_SE_SF_SG_EUlST_E0_NS1_11comp_targetILNS1_3genE5ELNS1_11target_archE942ELNS1_3gpuE9ELNS1_3repE0EEENS1_38merge_mergepath_config_static_selectorELNS0_4arch9wavefront6targetE0EEEvSF_,"axG",@progbits,_ZN7rocprim17ROCPRIM_400000_NS6detail17trampoline_kernelINS0_14default_configENS1_38merge_sort_block_merge_config_selectorIlNS0_10empty_typeEEEZZNS1_27merge_sort_block_merge_implIS3_PlPS5_jNS1_19radix_merge_compareILb1ELb1ElNS0_19identity_decomposerEEEEE10hipError_tT0_T1_T2_jT3_P12ihipStream_tbPNSt15iterator_traitsISE_E10value_typeEPNSK_ISF_E10value_typeEPSG_NS1_7vsmem_tEENKUlT_SE_SF_SG_E_clIS8_S8_S9_S9_EESD_ST_SE_SF_SG_EUlST_E0_NS1_11comp_targetILNS1_3genE5ELNS1_11target_archE942ELNS1_3gpuE9ELNS1_3repE0EEENS1_38merge_mergepath_config_static_selectorELNS0_4arch9wavefront6targetE0EEEvSF_,comdat
	.protected	_ZN7rocprim17ROCPRIM_400000_NS6detail17trampoline_kernelINS0_14default_configENS1_38merge_sort_block_merge_config_selectorIlNS0_10empty_typeEEEZZNS1_27merge_sort_block_merge_implIS3_PlPS5_jNS1_19radix_merge_compareILb1ELb1ElNS0_19identity_decomposerEEEEE10hipError_tT0_T1_T2_jT3_P12ihipStream_tbPNSt15iterator_traitsISE_E10value_typeEPNSK_ISF_E10value_typeEPSG_NS1_7vsmem_tEENKUlT_SE_SF_SG_E_clIS8_S8_S9_S9_EESD_ST_SE_SF_SG_EUlST_E0_NS1_11comp_targetILNS1_3genE5ELNS1_11target_archE942ELNS1_3gpuE9ELNS1_3repE0EEENS1_38merge_mergepath_config_static_selectorELNS0_4arch9wavefront6targetE0EEEvSF_ ; -- Begin function _ZN7rocprim17ROCPRIM_400000_NS6detail17trampoline_kernelINS0_14default_configENS1_38merge_sort_block_merge_config_selectorIlNS0_10empty_typeEEEZZNS1_27merge_sort_block_merge_implIS3_PlPS5_jNS1_19radix_merge_compareILb1ELb1ElNS0_19identity_decomposerEEEEE10hipError_tT0_T1_T2_jT3_P12ihipStream_tbPNSt15iterator_traitsISE_E10value_typeEPNSK_ISF_E10value_typeEPSG_NS1_7vsmem_tEENKUlT_SE_SF_SG_E_clIS8_S8_S9_S9_EESD_ST_SE_SF_SG_EUlST_E0_NS1_11comp_targetILNS1_3genE5ELNS1_11target_archE942ELNS1_3gpuE9ELNS1_3repE0EEENS1_38merge_mergepath_config_static_selectorELNS0_4arch9wavefront6targetE0EEEvSF_
	.globl	_ZN7rocprim17ROCPRIM_400000_NS6detail17trampoline_kernelINS0_14default_configENS1_38merge_sort_block_merge_config_selectorIlNS0_10empty_typeEEEZZNS1_27merge_sort_block_merge_implIS3_PlPS5_jNS1_19radix_merge_compareILb1ELb1ElNS0_19identity_decomposerEEEEE10hipError_tT0_T1_T2_jT3_P12ihipStream_tbPNSt15iterator_traitsISE_E10value_typeEPNSK_ISF_E10value_typeEPSG_NS1_7vsmem_tEENKUlT_SE_SF_SG_E_clIS8_S8_S9_S9_EESD_ST_SE_SF_SG_EUlST_E0_NS1_11comp_targetILNS1_3genE5ELNS1_11target_archE942ELNS1_3gpuE9ELNS1_3repE0EEENS1_38merge_mergepath_config_static_selectorELNS0_4arch9wavefront6targetE0EEEvSF_
	.p2align	8
	.type	_ZN7rocprim17ROCPRIM_400000_NS6detail17trampoline_kernelINS0_14default_configENS1_38merge_sort_block_merge_config_selectorIlNS0_10empty_typeEEEZZNS1_27merge_sort_block_merge_implIS3_PlPS5_jNS1_19radix_merge_compareILb1ELb1ElNS0_19identity_decomposerEEEEE10hipError_tT0_T1_T2_jT3_P12ihipStream_tbPNSt15iterator_traitsISE_E10value_typeEPNSK_ISF_E10value_typeEPSG_NS1_7vsmem_tEENKUlT_SE_SF_SG_E_clIS8_S8_S9_S9_EESD_ST_SE_SF_SG_EUlST_E0_NS1_11comp_targetILNS1_3genE5ELNS1_11target_archE942ELNS1_3gpuE9ELNS1_3repE0EEENS1_38merge_mergepath_config_static_selectorELNS0_4arch9wavefront6targetE0EEEvSF_,@function
_ZN7rocprim17ROCPRIM_400000_NS6detail17trampoline_kernelINS0_14default_configENS1_38merge_sort_block_merge_config_selectorIlNS0_10empty_typeEEEZZNS1_27merge_sort_block_merge_implIS3_PlPS5_jNS1_19radix_merge_compareILb1ELb1ElNS0_19identity_decomposerEEEEE10hipError_tT0_T1_T2_jT3_P12ihipStream_tbPNSt15iterator_traitsISE_E10value_typeEPNSK_ISF_E10value_typeEPSG_NS1_7vsmem_tEENKUlT_SE_SF_SG_E_clIS8_S8_S9_S9_EESD_ST_SE_SF_SG_EUlST_E0_NS1_11comp_targetILNS1_3genE5ELNS1_11target_archE942ELNS1_3gpuE9ELNS1_3repE0EEENS1_38merge_mergepath_config_static_selectorELNS0_4arch9wavefront6targetE0EEEvSF_: ; @_ZN7rocprim17ROCPRIM_400000_NS6detail17trampoline_kernelINS0_14default_configENS1_38merge_sort_block_merge_config_selectorIlNS0_10empty_typeEEEZZNS1_27merge_sort_block_merge_implIS3_PlPS5_jNS1_19radix_merge_compareILb1ELb1ElNS0_19identity_decomposerEEEEE10hipError_tT0_T1_T2_jT3_P12ihipStream_tbPNSt15iterator_traitsISE_E10value_typeEPNSK_ISF_E10value_typeEPSG_NS1_7vsmem_tEENKUlT_SE_SF_SG_E_clIS8_S8_S9_S9_EESD_ST_SE_SF_SG_EUlST_E0_NS1_11comp_targetILNS1_3genE5ELNS1_11target_archE942ELNS1_3gpuE9ELNS1_3repE0EEENS1_38merge_mergepath_config_static_selectorELNS0_4arch9wavefront6targetE0EEEvSF_
; %bb.0:
	.section	.rodata,"a",@progbits
	.p2align	6, 0x0
	.amdhsa_kernel _ZN7rocprim17ROCPRIM_400000_NS6detail17trampoline_kernelINS0_14default_configENS1_38merge_sort_block_merge_config_selectorIlNS0_10empty_typeEEEZZNS1_27merge_sort_block_merge_implIS3_PlPS5_jNS1_19radix_merge_compareILb1ELb1ElNS0_19identity_decomposerEEEEE10hipError_tT0_T1_T2_jT3_P12ihipStream_tbPNSt15iterator_traitsISE_E10value_typeEPNSK_ISF_E10value_typeEPSG_NS1_7vsmem_tEENKUlT_SE_SF_SG_E_clIS8_S8_S9_S9_EESD_ST_SE_SF_SG_EUlST_E0_NS1_11comp_targetILNS1_3genE5ELNS1_11target_archE942ELNS1_3gpuE9ELNS1_3repE0EEENS1_38merge_mergepath_config_static_selectorELNS0_4arch9wavefront6targetE0EEEvSF_
		.amdhsa_group_segment_fixed_size 0
		.amdhsa_private_segment_fixed_size 0
		.amdhsa_kernarg_size 72
		.amdhsa_user_sgpr_count 2
		.amdhsa_user_sgpr_dispatch_ptr 0
		.amdhsa_user_sgpr_queue_ptr 0
		.amdhsa_user_sgpr_kernarg_segment_ptr 1
		.amdhsa_user_sgpr_dispatch_id 0
		.amdhsa_user_sgpr_kernarg_preload_length 0
		.amdhsa_user_sgpr_kernarg_preload_offset 0
		.amdhsa_user_sgpr_private_segment_size 0
		.amdhsa_wavefront_size32 1
		.amdhsa_uses_dynamic_stack 0
		.amdhsa_enable_private_segment 0
		.amdhsa_system_sgpr_workgroup_id_x 1
		.amdhsa_system_sgpr_workgroup_id_y 0
		.amdhsa_system_sgpr_workgroup_id_z 0
		.amdhsa_system_sgpr_workgroup_info 0
		.amdhsa_system_vgpr_workitem_id 0
		.amdhsa_next_free_vgpr 1
		.amdhsa_next_free_sgpr 1
		.amdhsa_named_barrier_count 0
		.amdhsa_reserve_vcc 0
		.amdhsa_float_round_mode_32 0
		.amdhsa_float_round_mode_16_64 0
		.amdhsa_float_denorm_mode_32 3
		.amdhsa_float_denorm_mode_16_64 3
		.amdhsa_fp16_overflow 0
		.amdhsa_memory_ordered 1
		.amdhsa_forward_progress 1
		.amdhsa_inst_pref_size 0
		.amdhsa_round_robin_scheduling 0
		.amdhsa_exception_fp_ieee_invalid_op 0
		.amdhsa_exception_fp_denorm_src 0
		.amdhsa_exception_fp_ieee_div_zero 0
		.amdhsa_exception_fp_ieee_overflow 0
		.amdhsa_exception_fp_ieee_underflow 0
		.amdhsa_exception_fp_ieee_inexact 0
		.amdhsa_exception_int_div_zero 0
	.end_amdhsa_kernel
	.section	.text._ZN7rocprim17ROCPRIM_400000_NS6detail17trampoline_kernelINS0_14default_configENS1_38merge_sort_block_merge_config_selectorIlNS0_10empty_typeEEEZZNS1_27merge_sort_block_merge_implIS3_PlPS5_jNS1_19radix_merge_compareILb1ELb1ElNS0_19identity_decomposerEEEEE10hipError_tT0_T1_T2_jT3_P12ihipStream_tbPNSt15iterator_traitsISE_E10value_typeEPNSK_ISF_E10value_typeEPSG_NS1_7vsmem_tEENKUlT_SE_SF_SG_E_clIS8_S8_S9_S9_EESD_ST_SE_SF_SG_EUlST_E0_NS1_11comp_targetILNS1_3genE5ELNS1_11target_archE942ELNS1_3gpuE9ELNS1_3repE0EEENS1_38merge_mergepath_config_static_selectorELNS0_4arch9wavefront6targetE0EEEvSF_,"axG",@progbits,_ZN7rocprim17ROCPRIM_400000_NS6detail17trampoline_kernelINS0_14default_configENS1_38merge_sort_block_merge_config_selectorIlNS0_10empty_typeEEEZZNS1_27merge_sort_block_merge_implIS3_PlPS5_jNS1_19radix_merge_compareILb1ELb1ElNS0_19identity_decomposerEEEEE10hipError_tT0_T1_T2_jT3_P12ihipStream_tbPNSt15iterator_traitsISE_E10value_typeEPNSK_ISF_E10value_typeEPSG_NS1_7vsmem_tEENKUlT_SE_SF_SG_E_clIS8_S8_S9_S9_EESD_ST_SE_SF_SG_EUlST_E0_NS1_11comp_targetILNS1_3genE5ELNS1_11target_archE942ELNS1_3gpuE9ELNS1_3repE0EEENS1_38merge_mergepath_config_static_selectorELNS0_4arch9wavefront6targetE0EEEvSF_,comdat
.Lfunc_end1056:
	.size	_ZN7rocprim17ROCPRIM_400000_NS6detail17trampoline_kernelINS0_14default_configENS1_38merge_sort_block_merge_config_selectorIlNS0_10empty_typeEEEZZNS1_27merge_sort_block_merge_implIS3_PlPS5_jNS1_19radix_merge_compareILb1ELb1ElNS0_19identity_decomposerEEEEE10hipError_tT0_T1_T2_jT3_P12ihipStream_tbPNSt15iterator_traitsISE_E10value_typeEPNSK_ISF_E10value_typeEPSG_NS1_7vsmem_tEENKUlT_SE_SF_SG_E_clIS8_S8_S9_S9_EESD_ST_SE_SF_SG_EUlST_E0_NS1_11comp_targetILNS1_3genE5ELNS1_11target_archE942ELNS1_3gpuE9ELNS1_3repE0EEENS1_38merge_mergepath_config_static_selectorELNS0_4arch9wavefront6targetE0EEEvSF_, .Lfunc_end1056-_ZN7rocprim17ROCPRIM_400000_NS6detail17trampoline_kernelINS0_14default_configENS1_38merge_sort_block_merge_config_selectorIlNS0_10empty_typeEEEZZNS1_27merge_sort_block_merge_implIS3_PlPS5_jNS1_19radix_merge_compareILb1ELb1ElNS0_19identity_decomposerEEEEE10hipError_tT0_T1_T2_jT3_P12ihipStream_tbPNSt15iterator_traitsISE_E10value_typeEPNSK_ISF_E10value_typeEPSG_NS1_7vsmem_tEENKUlT_SE_SF_SG_E_clIS8_S8_S9_S9_EESD_ST_SE_SF_SG_EUlST_E0_NS1_11comp_targetILNS1_3genE5ELNS1_11target_archE942ELNS1_3gpuE9ELNS1_3repE0EEENS1_38merge_mergepath_config_static_selectorELNS0_4arch9wavefront6targetE0EEEvSF_
                                        ; -- End function
	.set _ZN7rocprim17ROCPRIM_400000_NS6detail17trampoline_kernelINS0_14default_configENS1_38merge_sort_block_merge_config_selectorIlNS0_10empty_typeEEEZZNS1_27merge_sort_block_merge_implIS3_PlPS5_jNS1_19radix_merge_compareILb1ELb1ElNS0_19identity_decomposerEEEEE10hipError_tT0_T1_T2_jT3_P12ihipStream_tbPNSt15iterator_traitsISE_E10value_typeEPNSK_ISF_E10value_typeEPSG_NS1_7vsmem_tEENKUlT_SE_SF_SG_E_clIS8_S8_S9_S9_EESD_ST_SE_SF_SG_EUlST_E0_NS1_11comp_targetILNS1_3genE5ELNS1_11target_archE942ELNS1_3gpuE9ELNS1_3repE0EEENS1_38merge_mergepath_config_static_selectorELNS0_4arch9wavefront6targetE0EEEvSF_.num_vgpr, 0
	.set _ZN7rocprim17ROCPRIM_400000_NS6detail17trampoline_kernelINS0_14default_configENS1_38merge_sort_block_merge_config_selectorIlNS0_10empty_typeEEEZZNS1_27merge_sort_block_merge_implIS3_PlPS5_jNS1_19radix_merge_compareILb1ELb1ElNS0_19identity_decomposerEEEEE10hipError_tT0_T1_T2_jT3_P12ihipStream_tbPNSt15iterator_traitsISE_E10value_typeEPNSK_ISF_E10value_typeEPSG_NS1_7vsmem_tEENKUlT_SE_SF_SG_E_clIS8_S8_S9_S9_EESD_ST_SE_SF_SG_EUlST_E0_NS1_11comp_targetILNS1_3genE5ELNS1_11target_archE942ELNS1_3gpuE9ELNS1_3repE0EEENS1_38merge_mergepath_config_static_selectorELNS0_4arch9wavefront6targetE0EEEvSF_.num_agpr, 0
	.set _ZN7rocprim17ROCPRIM_400000_NS6detail17trampoline_kernelINS0_14default_configENS1_38merge_sort_block_merge_config_selectorIlNS0_10empty_typeEEEZZNS1_27merge_sort_block_merge_implIS3_PlPS5_jNS1_19radix_merge_compareILb1ELb1ElNS0_19identity_decomposerEEEEE10hipError_tT0_T1_T2_jT3_P12ihipStream_tbPNSt15iterator_traitsISE_E10value_typeEPNSK_ISF_E10value_typeEPSG_NS1_7vsmem_tEENKUlT_SE_SF_SG_E_clIS8_S8_S9_S9_EESD_ST_SE_SF_SG_EUlST_E0_NS1_11comp_targetILNS1_3genE5ELNS1_11target_archE942ELNS1_3gpuE9ELNS1_3repE0EEENS1_38merge_mergepath_config_static_selectorELNS0_4arch9wavefront6targetE0EEEvSF_.numbered_sgpr, 0
	.set _ZN7rocprim17ROCPRIM_400000_NS6detail17trampoline_kernelINS0_14default_configENS1_38merge_sort_block_merge_config_selectorIlNS0_10empty_typeEEEZZNS1_27merge_sort_block_merge_implIS3_PlPS5_jNS1_19radix_merge_compareILb1ELb1ElNS0_19identity_decomposerEEEEE10hipError_tT0_T1_T2_jT3_P12ihipStream_tbPNSt15iterator_traitsISE_E10value_typeEPNSK_ISF_E10value_typeEPSG_NS1_7vsmem_tEENKUlT_SE_SF_SG_E_clIS8_S8_S9_S9_EESD_ST_SE_SF_SG_EUlST_E0_NS1_11comp_targetILNS1_3genE5ELNS1_11target_archE942ELNS1_3gpuE9ELNS1_3repE0EEENS1_38merge_mergepath_config_static_selectorELNS0_4arch9wavefront6targetE0EEEvSF_.num_named_barrier, 0
	.set _ZN7rocprim17ROCPRIM_400000_NS6detail17trampoline_kernelINS0_14default_configENS1_38merge_sort_block_merge_config_selectorIlNS0_10empty_typeEEEZZNS1_27merge_sort_block_merge_implIS3_PlPS5_jNS1_19radix_merge_compareILb1ELb1ElNS0_19identity_decomposerEEEEE10hipError_tT0_T1_T2_jT3_P12ihipStream_tbPNSt15iterator_traitsISE_E10value_typeEPNSK_ISF_E10value_typeEPSG_NS1_7vsmem_tEENKUlT_SE_SF_SG_E_clIS8_S8_S9_S9_EESD_ST_SE_SF_SG_EUlST_E0_NS1_11comp_targetILNS1_3genE5ELNS1_11target_archE942ELNS1_3gpuE9ELNS1_3repE0EEENS1_38merge_mergepath_config_static_selectorELNS0_4arch9wavefront6targetE0EEEvSF_.private_seg_size, 0
	.set _ZN7rocprim17ROCPRIM_400000_NS6detail17trampoline_kernelINS0_14default_configENS1_38merge_sort_block_merge_config_selectorIlNS0_10empty_typeEEEZZNS1_27merge_sort_block_merge_implIS3_PlPS5_jNS1_19radix_merge_compareILb1ELb1ElNS0_19identity_decomposerEEEEE10hipError_tT0_T1_T2_jT3_P12ihipStream_tbPNSt15iterator_traitsISE_E10value_typeEPNSK_ISF_E10value_typeEPSG_NS1_7vsmem_tEENKUlT_SE_SF_SG_E_clIS8_S8_S9_S9_EESD_ST_SE_SF_SG_EUlST_E0_NS1_11comp_targetILNS1_3genE5ELNS1_11target_archE942ELNS1_3gpuE9ELNS1_3repE0EEENS1_38merge_mergepath_config_static_selectorELNS0_4arch9wavefront6targetE0EEEvSF_.uses_vcc, 0
	.set _ZN7rocprim17ROCPRIM_400000_NS6detail17trampoline_kernelINS0_14default_configENS1_38merge_sort_block_merge_config_selectorIlNS0_10empty_typeEEEZZNS1_27merge_sort_block_merge_implIS3_PlPS5_jNS1_19radix_merge_compareILb1ELb1ElNS0_19identity_decomposerEEEEE10hipError_tT0_T1_T2_jT3_P12ihipStream_tbPNSt15iterator_traitsISE_E10value_typeEPNSK_ISF_E10value_typeEPSG_NS1_7vsmem_tEENKUlT_SE_SF_SG_E_clIS8_S8_S9_S9_EESD_ST_SE_SF_SG_EUlST_E0_NS1_11comp_targetILNS1_3genE5ELNS1_11target_archE942ELNS1_3gpuE9ELNS1_3repE0EEENS1_38merge_mergepath_config_static_selectorELNS0_4arch9wavefront6targetE0EEEvSF_.uses_flat_scratch, 0
	.set _ZN7rocprim17ROCPRIM_400000_NS6detail17trampoline_kernelINS0_14default_configENS1_38merge_sort_block_merge_config_selectorIlNS0_10empty_typeEEEZZNS1_27merge_sort_block_merge_implIS3_PlPS5_jNS1_19radix_merge_compareILb1ELb1ElNS0_19identity_decomposerEEEEE10hipError_tT0_T1_T2_jT3_P12ihipStream_tbPNSt15iterator_traitsISE_E10value_typeEPNSK_ISF_E10value_typeEPSG_NS1_7vsmem_tEENKUlT_SE_SF_SG_E_clIS8_S8_S9_S9_EESD_ST_SE_SF_SG_EUlST_E0_NS1_11comp_targetILNS1_3genE5ELNS1_11target_archE942ELNS1_3gpuE9ELNS1_3repE0EEENS1_38merge_mergepath_config_static_selectorELNS0_4arch9wavefront6targetE0EEEvSF_.has_dyn_sized_stack, 0
	.set _ZN7rocprim17ROCPRIM_400000_NS6detail17trampoline_kernelINS0_14default_configENS1_38merge_sort_block_merge_config_selectorIlNS0_10empty_typeEEEZZNS1_27merge_sort_block_merge_implIS3_PlPS5_jNS1_19radix_merge_compareILb1ELb1ElNS0_19identity_decomposerEEEEE10hipError_tT0_T1_T2_jT3_P12ihipStream_tbPNSt15iterator_traitsISE_E10value_typeEPNSK_ISF_E10value_typeEPSG_NS1_7vsmem_tEENKUlT_SE_SF_SG_E_clIS8_S8_S9_S9_EESD_ST_SE_SF_SG_EUlST_E0_NS1_11comp_targetILNS1_3genE5ELNS1_11target_archE942ELNS1_3gpuE9ELNS1_3repE0EEENS1_38merge_mergepath_config_static_selectorELNS0_4arch9wavefront6targetE0EEEvSF_.has_recursion, 0
	.set _ZN7rocprim17ROCPRIM_400000_NS6detail17trampoline_kernelINS0_14default_configENS1_38merge_sort_block_merge_config_selectorIlNS0_10empty_typeEEEZZNS1_27merge_sort_block_merge_implIS3_PlPS5_jNS1_19radix_merge_compareILb1ELb1ElNS0_19identity_decomposerEEEEE10hipError_tT0_T1_T2_jT3_P12ihipStream_tbPNSt15iterator_traitsISE_E10value_typeEPNSK_ISF_E10value_typeEPSG_NS1_7vsmem_tEENKUlT_SE_SF_SG_E_clIS8_S8_S9_S9_EESD_ST_SE_SF_SG_EUlST_E0_NS1_11comp_targetILNS1_3genE5ELNS1_11target_archE942ELNS1_3gpuE9ELNS1_3repE0EEENS1_38merge_mergepath_config_static_selectorELNS0_4arch9wavefront6targetE0EEEvSF_.has_indirect_call, 0
	.section	.AMDGPU.csdata,"",@progbits
; Kernel info:
; codeLenInByte = 0
; TotalNumSgprs: 0
; NumVgprs: 0
; ScratchSize: 0
; MemoryBound: 0
; FloatMode: 240
; IeeeMode: 1
; LDSByteSize: 0 bytes/workgroup (compile time only)
; SGPRBlocks: 0
; VGPRBlocks: 0
; NumSGPRsForWavesPerEU: 1
; NumVGPRsForWavesPerEU: 1
; NamedBarCnt: 0
; Occupancy: 16
; WaveLimiterHint : 0
; COMPUTE_PGM_RSRC2:SCRATCH_EN: 0
; COMPUTE_PGM_RSRC2:USER_SGPR: 2
; COMPUTE_PGM_RSRC2:TRAP_HANDLER: 0
; COMPUTE_PGM_RSRC2:TGID_X_EN: 1
; COMPUTE_PGM_RSRC2:TGID_Y_EN: 0
; COMPUTE_PGM_RSRC2:TGID_Z_EN: 0
; COMPUTE_PGM_RSRC2:TIDIG_COMP_CNT: 0
	.section	.text._ZN7rocprim17ROCPRIM_400000_NS6detail17trampoline_kernelINS0_14default_configENS1_38merge_sort_block_merge_config_selectorIlNS0_10empty_typeEEEZZNS1_27merge_sort_block_merge_implIS3_PlPS5_jNS1_19radix_merge_compareILb1ELb1ElNS0_19identity_decomposerEEEEE10hipError_tT0_T1_T2_jT3_P12ihipStream_tbPNSt15iterator_traitsISE_E10value_typeEPNSK_ISF_E10value_typeEPSG_NS1_7vsmem_tEENKUlT_SE_SF_SG_E_clIS8_S8_S9_S9_EESD_ST_SE_SF_SG_EUlST_E0_NS1_11comp_targetILNS1_3genE4ELNS1_11target_archE910ELNS1_3gpuE8ELNS1_3repE0EEENS1_38merge_mergepath_config_static_selectorELNS0_4arch9wavefront6targetE0EEEvSF_,"axG",@progbits,_ZN7rocprim17ROCPRIM_400000_NS6detail17trampoline_kernelINS0_14default_configENS1_38merge_sort_block_merge_config_selectorIlNS0_10empty_typeEEEZZNS1_27merge_sort_block_merge_implIS3_PlPS5_jNS1_19radix_merge_compareILb1ELb1ElNS0_19identity_decomposerEEEEE10hipError_tT0_T1_T2_jT3_P12ihipStream_tbPNSt15iterator_traitsISE_E10value_typeEPNSK_ISF_E10value_typeEPSG_NS1_7vsmem_tEENKUlT_SE_SF_SG_E_clIS8_S8_S9_S9_EESD_ST_SE_SF_SG_EUlST_E0_NS1_11comp_targetILNS1_3genE4ELNS1_11target_archE910ELNS1_3gpuE8ELNS1_3repE0EEENS1_38merge_mergepath_config_static_selectorELNS0_4arch9wavefront6targetE0EEEvSF_,comdat
	.protected	_ZN7rocprim17ROCPRIM_400000_NS6detail17trampoline_kernelINS0_14default_configENS1_38merge_sort_block_merge_config_selectorIlNS0_10empty_typeEEEZZNS1_27merge_sort_block_merge_implIS3_PlPS5_jNS1_19radix_merge_compareILb1ELb1ElNS0_19identity_decomposerEEEEE10hipError_tT0_T1_T2_jT3_P12ihipStream_tbPNSt15iterator_traitsISE_E10value_typeEPNSK_ISF_E10value_typeEPSG_NS1_7vsmem_tEENKUlT_SE_SF_SG_E_clIS8_S8_S9_S9_EESD_ST_SE_SF_SG_EUlST_E0_NS1_11comp_targetILNS1_3genE4ELNS1_11target_archE910ELNS1_3gpuE8ELNS1_3repE0EEENS1_38merge_mergepath_config_static_selectorELNS0_4arch9wavefront6targetE0EEEvSF_ ; -- Begin function _ZN7rocprim17ROCPRIM_400000_NS6detail17trampoline_kernelINS0_14default_configENS1_38merge_sort_block_merge_config_selectorIlNS0_10empty_typeEEEZZNS1_27merge_sort_block_merge_implIS3_PlPS5_jNS1_19radix_merge_compareILb1ELb1ElNS0_19identity_decomposerEEEEE10hipError_tT0_T1_T2_jT3_P12ihipStream_tbPNSt15iterator_traitsISE_E10value_typeEPNSK_ISF_E10value_typeEPSG_NS1_7vsmem_tEENKUlT_SE_SF_SG_E_clIS8_S8_S9_S9_EESD_ST_SE_SF_SG_EUlST_E0_NS1_11comp_targetILNS1_3genE4ELNS1_11target_archE910ELNS1_3gpuE8ELNS1_3repE0EEENS1_38merge_mergepath_config_static_selectorELNS0_4arch9wavefront6targetE0EEEvSF_
	.globl	_ZN7rocprim17ROCPRIM_400000_NS6detail17trampoline_kernelINS0_14default_configENS1_38merge_sort_block_merge_config_selectorIlNS0_10empty_typeEEEZZNS1_27merge_sort_block_merge_implIS3_PlPS5_jNS1_19radix_merge_compareILb1ELb1ElNS0_19identity_decomposerEEEEE10hipError_tT0_T1_T2_jT3_P12ihipStream_tbPNSt15iterator_traitsISE_E10value_typeEPNSK_ISF_E10value_typeEPSG_NS1_7vsmem_tEENKUlT_SE_SF_SG_E_clIS8_S8_S9_S9_EESD_ST_SE_SF_SG_EUlST_E0_NS1_11comp_targetILNS1_3genE4ELNS1_11target_archE910ELNS1_3gpuE8ELNS1_3repE0EEENS1_38merge_mergepath_config_static_selectorELNS0_4arch9wavefront6targetE0EEEvSF_
	.p2align	8
	.type	_ZN7rocprim17ROCPRIM_400000_NS6detail17trampoline_kernelINS0_14default_configENS1_38merge_sort_block_merge_config_selectorIlNS0_10empty_typeEEEZZNS1_27merge_sort_block_merge_implIS3_PlPS5_jNS1_19radix_merge_compareILb1ELb1ElNS0_19identity_decomposerEEEEE10hipError_tT0_T1_T2_jT3_P12ihipStream_tbPNSt15iterator_traitsISE_E10value_typeEPNSK_ISF_E10value_typeEPSG_NS1_7vsmem_tEENKUlT_SE_SF_SG_E_clIS8_S8_S9_S9_EESD_ST_SE_SF_SG_EUlST_E0_NS1_11comp_targetILNS1_3genE4ELNS1_11target_archE910ELNS1_3gpuE8ELNS1_3repE0EEENS1_38merge_mergepath_config_static_selectorELNS0_4arch9wavefront6targetE0EEEvSF_,@function
_ZN7rocprim17ROCPRIM_400000_NS6detail17trampoline_kernelINS0_14default_configENS1_38merge_sort_block_merge_config_selectorIlNS0_10empty_typeEEEZZNS1_27merge_sort_block_merge_implIS3_PlPS5_jNS1_19radix_merge_compareILb1ELb1ElNS0_19identity_decomposerEEEEE10hipError_tT0_T1_T2_jT3_P12ihipStream_tbPNSt15iterator_traitsISE_E10value_typeEPNSK_ISF_E10value_typeEPSG_NS1_7vsmem_tEENKUlT_SE_SF_SG_E_clIS8_S8_S9_S9_EESD_ST_SE_SF_SG_EUlST_E0_NS1_11comp_targetILNS1_3genE4ELNS1_11target_archE910ELNS1_3gpuE8ELNS1_3repE0EEENS1_38merge_mergepath_config_static_selectorELNS0_4arch9wavefront6targetE0EEEvSF_: ; @_ZN7rocprim17ROCPRIM_400000_NS6detail17trampoline_kernelINS0_14default_configENS1_38merge_sort_block_merge_config_selectorIlNS0_10empty_typeEEEZZNS1_27merge_sort_block_merge_implIS3_PlPS5_jNS1_19radix_merge_compareILb1ELb1ElNS0_19identity_decomposerEEEEE10hipError_tT0_T1_T2_jT3_P12ihipStream_tbPNSt15iterator_traitsISE_E10value_typeEPNSK_ISF_E10value_typeEPSG_NS1_7vsmem_tEENKUlT_SE_SF_SG_E_clIS8_S8_S9_S9_EESD_ST_SE_SF_SG_EUlST_E0_NS1_11comp_targetILNS1_3genE4ELNS1_11target_archE910ELNS1_3gpuE8ELNS1_3repE0EEENS1_38merge_mergepath_config_static_selectorELNS0_4arch9wavefront6targetE0EEEvSF_
; %bb.0:
	.section	.rodata,"a",@progbits
	.p2align	6, 0x0
	.amdhsa_kernel _ZN7rocprim17ROCPRIM_400000_NS6detail17trampoline_kernelINS0_14default_configENS1_38merge_sort_block_merge_config_selectorIlNS0_10empty_typeEEEZZNS1_27merge_sort_block_merge_implIS3_PlPS5_jNS1_19radix_merge_compareILb1ELb1ElNS0_19identity_decomposerEEEEE10hipError_tT0_T1_T2_jT3_P12ihipStream_tbPNSt15iterator_traitsISE_E10value_typeEPNSK_ISF_E10value_typeEPSG_NS1_7vsmem_tEENKUlT_SE_SF_SG_E_clIS8_S8_S9_S9_EESD_ST_SE_SF_SG_EUlST_E0_NS1_11comp_targetILNS1_3genE4ELNS1_11target_archE910ELNS1_3gpuE8ELNS1_3repE0EEENS1_38merge_mergepath_config_static_selectorELNS0_4arch9wavefront6targetE0EEEvSF_
		.amdhsa_group_segment_fixed_size 0
		.amdhsa_private_segment_fixed_size 0
		.amdhsa_kernarg_size 72
		.amdhsa_user_sgpr_count 2
		.amdhsa_user_sgpr_dispatch_ptr 0
		.amdhsa_user_sgpr_queue_ptr 0
		.amdhsa_user_sgpr_kernarg_segment_ptr 1
		.amdhsa_user_sgpr_dispatch_id 0
		.amdhsa_user_sgpr_kernarg_preload_length 0
		.amdhsa_user_sgpr_kernarg_preload_offset 0
		.amdhsa_user_sgpr_private_segment_size 0
		.amdhsa_wavefront_size32 1
		.amdhsa_uses_dynamic_stack 0
		.amdhsa_enable_private_segment 0
		.amdhsa_system_sgpr_workgroup_id_x 1
		.amdhsa_system_sgpr_workgroup_id_y 0
		.amdhsa_system_sgpr_workgroup_id_z 0
		.amdhsa_system_sgpr_workgroup_info 0
		.amdhsa_system_vgpr_workitem_id 0
		.amdhsa_next_free_vgpr 1
		.amdhsa_next_free_sgpr 1
		.amdhsa_named_barrier_count 0
		.amdhsa_reserve_vcc 0
		.amdhsa_float_round_mode_32 0
		.amdhsa_float_round_mode_16_64 0
		.amdhsa_float_denorm_mode_32 3
		.amdhsa_float_denorm_mode_16_64 3
		.amdhsa_fp16_overflow 0
		.amdhsa_memory_ordered 1
		.amdhsa_forward_progress 1
		.amdhsa_inst_pref_size 0
		.amdhsa_round_robin_scheduling 0
		.amdhsa_exception_fp_ieee_invalid_op 0
		.amdhsa_exception_fp_denorm_src 0
		.amdhsa_exception_fp_ieee_div_zero 0
		.amdhsa_exception_fp_ieee_overflow 0
		.amdhsa_exception_fp_ieee_underflow 0
		.amdhsa_exception_fp_ieee_inexact 0
		.amdhsa_exception_int_div_zero 0
	.end_amdhsa_kernel
	.section	.text._ZN7rocprim17ROCPRIM_400000_NS6detail17trampoline_kernelINS0_14default_configENS1_38merge_sort_block_merge_config_selectorIlNS0_10empty_typeEEEZZNS1_27merge_sort_block_merge_implIS3_PlPS5_jNS1_19radix_merge_compareILb1ELb1ElNS0_19identity_decomposerEEEEE10hipError_tT0_T1_T2_jT3_P12ihipStream_tbPNSt15iterator_traitsISE_E10value_typeEPNSK_ISF_E10value_typeEPSG_NS1_7vsmem_tEENKUlT_SE_SF_SG_E_clIS8_S8_S9_S9_EESD_ST_SE_SF_SG_EUlST_E0_NS1_11comp_targetILNS1_3genE4ELNS1_11target_archE910ELNS1_3gpuE8ELNS1_3repE0EEENS1_38merge_mergepath_config_static_selectorELNS0_4arch9wavefront6targetE0EEEvSF_,"axG",@progbits,_ZN7rocprim17ROCPRIM_400000_NS6detail17trampoline_kernelINS0_14default_configENS1_38merge_sort_block_merge_config_selectorIlNS0_10empty_typeEEEZZNS1_27merge_sort_block_merge_implIS3_PlPS5_jNS1_19radix_merge_compareILb1ELb1ElNS0_19identity_decomposerEEEEE10hipError_tT0_T1_T2_jT3_P12ihipStream_tbPNSt15iterator_traitsISE_E10value_typeEPNSK_ISF_E10value_typeEPSG_NS1_7vsmem_tEENKUlT_SE_SF_SG_E_clIS8_S8_S9_S9_EESD_ST_SE_SF_SG_EUlST_E0_NS1_11comp_targetILNS1_3genE4ELNS1_11target_archE910ELNS1_3gpuE8ELNS1_3repE0EEENS1_38merge_mergepath_config_static_selectorELNS0_4arch9wavefront6targetE0EEEvSF_,comdat
.Lfunc_end1057:
	.size	_ZN7rocprim17ROCPRIM_400000_NS6detail17trampoline_kernelINS0_14default_configENS1_38merge_sort_block_merge_config_selectorIlNS0_10empty_typeEEEZZNS1_27merge_sort_block_merge_implIS3_PlPS5_jNS1_19radix_merge_compareILb1ELb1ElNS0_19identity_decomposerEEEEE10hipError_tT0_T1_T2_jT3_P12ihipStream_tbPNSt15iterator_traitsISE_E10value_typeEPNSK_ISF_E10value_typeEPSG_NS1_7vsmem_tEENKUlT_SE_SF_SG_E_clIS8_S8_S9_S9_EESD_ST_SE_SF_SG_EUlST_E0_NS1_11comp_targetILNS1_3genE4ELNS1_11target_archE910ELNS1_3gpuE8ELNS1_3repE0EEENS1_38merge_mergepath_config_static_selectorELNS0_4arch9wavefront6targetE0EEEvSF_, .Lfunc_end1057-_ZN7rocprim17ROCPRIM_400000_NS6detail17trampoline_kernelINS0_14default_configENS1_38merge_sort_block_merge_config_selectorIlNS0_10empty_typeEEEZZNS1_27merge_sort_block_merge_implIS3_PlPS5_jNS1_19radix_merge_compareILb1ELb1ElNS0_19identity_decomposerEEEEE10hipError_tT0_T1_T2_jT3_P12ihipStream_tbPNSt15iterator_traitsISE_E10value_typeEPNSK_ISF_E10value_typeEPSG_NS1_7vsmem_tEENKUlT_SE_SF_SG_E_clIS8_S8_S9_S9_EESD_ST_SE_SF_SG_EUlST_E0_NS1_11comp_targetILNS1_3genE4ELNS1_11target_archE910ELNS1_3gpuE8ELNS1_3repE0EEENS1_38merge_mergepath_config_static_selectorELNS0_4arch9wavefront6targetE0EEEvSF_
                                        ; -- End function
	.set _ZN7rocprim17ROCPRIM_400000_NS6detail17trampoline_kernelINS0_14default_configENS1_38merge_sort_block_merge_config_selectorIlNS0_10empty_typeEEEZZNS1_27merge_sort_block_merge_implIS3_PlPS5_jNS1_19radix_merge_compareILb1ELb1ElNS0_19identity_decomposerEEEEE10hipError_tT0_T1_T2_jT3_P12ihipStream_tbPNSt15iterator_traitsISE_E10value_typeEPNSK_ISF_E10value_typeEPSG_NS1_7vsmem_tEENKUlT_SE_SF_SG_E_clIS8_S8_S9_S9_EESD_ST_SE_SF_SG_EUlST_E0_NS1_11comp_targetILNS1_3genE4ELNS1_11target_archE910ELNS1_3gpuE8ELNS1_3repE0EEENS1_38merge_mergepath_config_static_selectorELNS0_4arch9wavefront6targetE0EEEvSF_.num_vgpr, 0
	.set _ZN7rocprim17ROCPRIM_400000_NS6detail17trampoline_kernelINS0_14default_configENS1_38merge_sort_block_merge_config_selectorIlNS0_10empty_typeEEEZZNS1_27merge_sort_block_merge_implIS3_PlPS5_jNS1_19radix_merge_compareILb1ELb1ElNS0_19identity_decomposerEEEEE10hipError_tT0_T1_T2_jT3_P12ihipStream_tbPNSt15iterator_traitsISE_E10value_typeEPNSK_ISF_E10value_typeEPSG_NS1_7vsmem_tEENKUlT_SE_SF_SG_E_clIS8_S8_S9_S9_EESD_ST_SE_SF_SG_EUlST_E0_NS1_11comp_targetILNS1_3genE4ELNS1_11target_archE910ELNS1_3gpuE8ELNS1_3repE0EEENS1_38merge_mergepath_config_static_selectorELNS0_4arch9wavefront6targetE0EEEvSF_.num_agpr, 0
	.set _ZN7rocprim17ROCPRIM_400000_NS6detail17trampoline_kernelINS0_14default_configENS1_38merge_sort_block_merge_config_selectorIlNS0_10empty_typeEEEZZNS1_27merge_sort_block_merge_implIS3_PlPS5_jNS1_19radix_merge_compareILb1ELb1ElNS0_19identity_decomposerEEEEE10hipError_tT0_T1_T2_jT3_P12ihipStream_tbPNSt15iterator_traitsISE_E10value_typeEPNSK_ISF_E10value_typeEPSG_NS1_7vsmem_tEENKUlT_SE_SF_SG_E_clIS8_S8_S9_S9_EESD_ST_SE_SF_SG_EUlST_E0_NS1_11comp_targetILNS1_3genE4ELNS1_11target_archE910ELNS1_3gpuE8ELNS1_3repE0EEENS1_38merge_mergepath_config_static_selectorELNS0_4arch9wavefront6targetE0EEEvSF_.numbered_sgpr, 0
	.set _ZN7rocprim17ROCPRIM_400000_NS6detail17trampoline_kernelINS0_14default_configENS1_38merge_sort_block_merge_config_selectorIlNS0_10empty_typeEEEZZNS1_27merge_sort_block_merge_implIS3_PlPS5_jNS1_19radix_merge_compareILb1ELb1ElNS0_19identity_decomposerEEEEE10hipError_tT0_T1_T2_jT3_P12ihipStream_tbPNSt15iterator_traitsISE_E10value_typeEPNSK_ISF_E10value_typeEPSG_NS1_7vsmem_tEENKUlT_SE_SF_SG_E_clIS8_S8_S9_S9_EESD_ST_SE_SF_SG_EUlST_E0_NS1_11comp_targetILNS1_3genE4ELNS1_11target_archE910ELNS1_3gpuE8ELNS1_3repE0EEENS1_38merge_mergepath_config_static_selectorELNS0_4arch9wavefront6targetE0EEEvSF_.num_named_barrier, 0
	.set _ZN7rocprim17ROCPRIM_400000_NS6detail17trampoline_kernelINS0_14default_configENS1_38merge_sort_block_merge_config_selectorIlNS0_10empty_typeEEEZZNS1_27merge_sort_block_merge_implIS3_PlPS5_jNS1_19radix_merge_compareILb1ELb1ElNS0_19identity_decomposerEEEEE10hipError_tT0_T1_T2_jT3_P12ihipStream_tbPNSt15iterator_traitsISE_E10value_typeEPNSK_ISF_E10value_typeEPSG_NS1_7vsmem_tEENKUlT_SE_SF_SG_E_clIS8_S8_S9_S9_EESD_ST_SE_SF_SG_EUlST_E0_NS1_11comp_targetILNS1_3genE4ELNS1_11target_archE910ELNS1_3gpuE8ELNS1_3repE0EEENS1_38merge_mergepath_config_static_selectorELNS0_4arch9wavefront6targetE0EEEvSF_.private_seg_size, 0
	.set _ZN7rocprim17ROCPRIM_400000_NS6detail17trampoline_kernelINS0_14default_configENS1_38merge_sort_block_merge_config_selectorIlNS0_10empty_typeEEEZZNS1_27merge_sort_block_merge_implIS3_PlPS5_jNS1_19radix_merge_compareILb1ELb1ElNS0_19identity_decomposerEEEEE10hipError_tT0_T1_T2_jT3_P12ihipStream_tbPNSt15iterator_traitsISE_E10value_typeEPNSK_ISF_E10value_typeEPSG_NS1_7vsmem_tEENKUlT_SE_SF_SG_E_clIS8_S8_S9_S9_EESD_ST_SE_SF_SG_EUlST_E0_NS1_11comp_targetILNS1_3genE4ELNS1_11target_archE910ELNS1_3gpuE8ELNS1_3repE0EEENS1_38merge_mergepath_config_static_selectorELNS0_4arch9wavefront6targetE0EEEvSF_.uses_vcc, 0
	.set _ZN7rocprim17ROCPRIM_400000_NS6detail17trampoline_kernelINS0_14default_configENS1_38merge_sort_block_merge_config_selectorIlNS0_10empty_typeEEEZZNS1_27merge_sort_block_merge_implIS3_PlPS5_jNS1_19radix_merge_compareILb1ELb1ElNS0_19identity_decomposerEEEEE10hipError_tT0_T1_T2_jT3_P12ihipStream_tbPNSt15iterator_traitsISE_E10value_typeEPNSK_ISF_E10value_typeEPSG_NS1_7vsmem_tEENKUlT_SE_SF_SG_E_clIS8_S8_S9_S9_EESD_ST_SE_SF_SG_EUlST_E0_NS1_11comp_targetILNS1_3genE4ELNS1_11target_archE910ELNS1_3gpuE8ELNS1_3repE0EEENS1_38merge_mergepath_config_static_selectorELNS0_4arch9wavefront6targetE0EEEvSF_.uses_flat_scratch, 0
	.set _ZN7rocprim17ROCPRIM_400000_NS6detail17trampoline_kernelINS0_14default_configENS1_38merge_sort_block_merge_config_selectorIlNS0_10empty_typeEEEZZNS1_27merge_sort_block_merge_implIS3_PlPS5_jNS1_19radix_merge_compareILb1ELb1ElNS0_19identity_decomposerEEEEE10hipError_tT0_T1_T2_jT3_P12ihipStream_tbPNSt15iterator_traitsISE_E10value_typeEPNSK_ISF_E10value_typeEPSG_NS1_7vsmem_tEENKUlT_SE_SF_SG_E_clIS8_S8_S9_S9_EESD_ST_SE_SF_SG_EUlST_E0_NS1_11comp_targetILNS1_3genE4ELNS1_11target_archE910ELNS1_3gpuE8ELNS1_3repE0EEENS1_38merge_mergepath_config_static_selectorELNS0_4arch9wavefront6targetE0EEEvSF_.has_dyn_sized_stack, 0
	.set _ZN7rocprim17ROCPRIM_400000_NS6detail17trampoline_kernelINS0_14default_configENS1_38merge_sort_block_merge_config_selectorIlNS0_10empty_typeEEEZZNS1_27merge_sort_block_merge_implIS3_PlPS5_jNS1_19radix_merge_compareILb1ELb1ElNS0_19identity_decomposerEEEEE10hipError_tT0_T1_T2_jT3_P12ihipStream_tbPNSt15iterator_traitsISE_E10value_typeEPNSK_ISF_E10value_typeEPSG_NS1_7vsmem_tEENKUlT_SE_SF_SG_E_clIS8_S8_S9_S9_EESD_ST_SE_SF_SG_EUlST_E0_NS1_11comp_targetILNS1_3genE4ELNS1_11target_archE910ELNS1_3gpuE8ELNS1_3repE0EEENS1_38merge_mergepath_config_static_selectorELNS0_4arch9wavefront6targetE0EEEvSF_.has_recursion, 0
	.set _ZN7rocprim17ROCPRIM_400000_NS6detail17trampoline_kernelINS0_14default_configENS1_38merge_sort_block_merge_config_selectorIlNS0_10empty_typeEEEZZNS1_27merge_sort_block_merge_implIS3_PlPS5_jNS1_19radix_merge_compareILb1ELb1ElNS0_19identity_decomposerEEEEE10hipError_tT0_T1_T2_jT3_P12ihipStream_tbPNSt15iterator_traitsISE_E10value_typeEPNSK_ISF_E10value_typeEPSG_NS1_7vsmem_tEENKUlT_SE_SF_SG_E_clIS8_S8_S9_S9_EESD_ST_SE_SF_SG_EUlST_E0_NS1_11comp_targetILNS1_3genE4ELNS1_11target_archE910ELNS1_3gpuE8ELNS1_3repE0EEENS1_38merge_mergepath_config_static_selectorELNS0_4arch9wavefront6targetE0EEEvSF_.has_indirect_call, 0
	.section	.AMDGPU.csdata,"",@progbits
; Kernel info:
; codeLenInByte = 0
; TotalNumSgprs: 0
; NumVgprs: 0
; ScratchSize: 0
; MemoryBound: 0
; FloatMode: 240
; IeeeMode: 1
; LDSByteSize: 0 bytes/workgroup (compile time only)
; SGPRBlocks: 0
; VGPRBlocks: 0
; NumSGPRsForWavesPerEU: 1
; NumVGPRsForWavesPerEU: 1
; NamedBarCnt: 0
; Occupancy: 16
; WaveLimiterHint : 0
; COMPUTE_PGM_RSRC2:SCRATCH_EN: 0
; COMPUTE_PGM_RSRC2:USER_SGPR: 2
; COMPUTE_PGM_RSRC2:TRAP_HANDLER: 0
; COMPUTE_PGM_RSRC2:TGID_X_EN: 1
; COMPUTE_PGM_RSRC2:TGID_Y_EN: 0
; COMPUTE_PGM_RSRC2:TGID_Z_EN: 0
; COMPUTE_PGM_RSRC2:TIDIG_COMP_CNT: 0
	.section	.text._ZN7rocprim17ROCPRIM_400000_NS6detail17trampoline_kernelINS0_14default_configENS1_38merge_sort_block_merge_config_selectorIlNS0_10empty_typeEEEZZNS1_27merge_sort_block_merge_implIS3_PlPS5_jNS1_19radix_merge_compareILb1ELb1ElNS0_19identity_decomposerEEEEE10hipError_tT0_T1_T2_jT3_P12ihipStream_tbPNSt15iterator_traitsISE_E10value_typeEPNSK_ISF_E10value_typeEPSG_NS1_7vsmem_tEENKUlT_SE_SF_SG_E_clIS8_S8_S9_S9_EESD_ST_SE_SF_SG_EUlST_E0_NS1_11comp_targetILNS1_3genE3ELNS1_11target_archE908ELNS1_3gpuE7ELNS1_3repE0EEENS1_38merge_mergepath_config_static_selectorELNS0_4arch9wavefront6targetE0EEEvSF_,"axG",@progbits,_ZN7rocprim17ROCPRIM_400000_NS6detail17trampoline_kernelINS0_14default_configENS1_38merge_sort_block_merge_config_selectorIlNS0_10empty_typeEEEZZNS1_27merge_sort_block_merge_implIS3_PlPS5_jNS1_19radix_merge_compareILb1ELb1ElNS0_19identity_decomposerEEEEE10hipError_tT0_T1_T2_jT3_P12ihipStream_tbPNSt15iterator_traitsISE_E10value_typeEPNSK_ISF_E10value_typeEPSG_NS1_7vsmem_tEENKUlT_SE_SF_SG_E_clIS8_S8_S9_S9_EESD_ST_SE_SF_SG_EUlST_E0_NS1_11comp_targetILNS1_3genE3ELNS1_11target_archE908ELNS1_3gpuE7ELNS1_3repE0EEENS1_38merge_mergepath_config_static_selectorELNS0_4arch9wavefront6targetE0EEEvSF_,comdat
	.protected	_ZN7rocprim17ROCPRIM_400000_NS6detail17trampoline_kernelINS0_14default_configENS1_38merge_sort_block_merge_config_selectorIlNS0_10empty_typeEEEZZNS1_27merge_sort_block_merge_implIS3_PlPS5_jNS1_19radix_merge_compareILb1ELb1ElNS0_19identity_decomposerEEEEE10hipError_tT0_T1_T2_jT3_P12ihipStream_tbPNSt15iterator_traitsISE_E10value_typeEPNSK_ISF_E10value_typeEPSG_NS1_7vsmem_tEENKUlT_SE_SF_SG_E_clIS8_S8_S9_S9_EESD_ST_SE_SF_SG_EUlST_E0_NS1_11comp_targetILNS1_3genE3ELNS1_11target_archE908ELNS1_3gpuE7ELNS1_3repE0EEENS1_38merge_mergepath_config_static_selectorELNS0_4arch9wavefront6targetE0EEEvSF_ ; -- Begin function _ZN7rocprim17ROCPRIM_400000_NS6detail17trampoline_kernelINS0_14default_configENS1_38merge_sort_block_merge_config_selectorIlNS0_10empty_typeEEEZZNS1_27merge_sort_block_merge_implIS3_PlPS5_jNS1_19radix_merge_compareILb1ELb1ElNS0_19identity_decomposerEEEEE10hipError_tT0_T1_T2_jT3_P12ihipStream_tbPNSt15iterator_traitsISE_E10value_typeEPNSK_ISF_E10value_typeEPSG_NS1_7vsmem_tEENKUlT_SE_SF_SG_E_clIS8_S8_S9_S9_EESD_ST_SE_SF_SG_EUlST_E0_NS1_11comp_targetILNS1_3genE3ELNS1_11target_archE908ELNS1_3gpuE7ELNS1_3repE0EEENS1_38merge_mergepath_config_static_selectorELNS0_4arch9wavefront6targetE0EEEvSF_
	.globl	_ZN7rocprim17ROCPRIM_400000_NS6detail17trampoline_kernelINS0_14default_configENS1_38merge_sort_block_merge_config_selectorIlNS0_10empty_typeEEEZZNS1_27merge_sort_block_merge_implIS3_PlPS5_jNS1_19radix_merge_compareILb1ELb1ElNS0_19identity_decomposerEEEEE10hipError_tT0_T1_T2_jT3_P12ihipStream_tbPNSt15iterator_traitsISE_E10value_typeEPNSK_ISF_E10value_typeEPSG_NS1_7vsmem_tEENKUlT_SE_SF_SG_E_clIS8_S8_S9_S9_EESD_ST_SE_SF_SG_EUlST_E0_NS1_11comp_targetILNS1_3genE3ELNS1_11target_archE908ELNS1_3gpuE7ELNS1_3repE0EEENS1_38merge_mergepath_config_static_selectorELNS0_4arch9wavefront6targetE0EEEvSF_
	.p2align	8
	.type	_ZN7rocprim17ROCPRIM_400000_NS6detail17trampoline_kernelINS0_14default_configENS1_38merge_sort_block_merge_config_selectorIlNS0_10empty_typeEEEZZNS1_27merge_sort_block_merge_implIS3_PlPS5_jNS1_19radix_merge_compareILb1ELb1ElNS0_19identity_decomposerEEEEE10hipError_tT0_T1_T2_jT3_P12ihipStream_tbPNSt15iterator_traitsISE_E10value_typeEPNSK_ISF_E10value_typeEPSG_NS1_7vsmem_tEENKUlT_SE_SF_SG_E_clIS8_S8_S9_S9_EESD_ST_SE_SF_SG_EUlST_E0_NS1_11comp_targetILNS1_3genE3ELNS1_11target_archE908ELNS1_3gpuE7ELNS1_3repE0EEENS1_38merge_mergepath_config_static_selectorELNS0_4arch9wavefront6targetE0EEEvSF_,@function
_ZN7rocprim17ROCPRIM_400000_NS6detail17trampoline_kernelINS0_14default_configENS1_38merge_sort_block_merge_config_selectorIlNS0_10empty_typeEEEZZNS1_27merge_sort_block_merge_implIS3_PlPS5_jNS1_19radix_merge_compareILb1ELb1ElNS0_19identity_decomposerEEEEE10hipError_tT0_T1_T2_jT3_P12ihipStream_tbPNSt15iterator_traitsISE_E10value_typeEPNSK_ISF_E10value_typeEPSG_NS1_7vsmem_tEENKUlT_SE_SF_SG_E_clIS8_S8_S9_S9_EESD_ST_SE_SF_SG_EUlST_E0_NS1_11comp_targetILNS1_3genE3ELNS1_11target_archE908ELNS1_3gpuE7ELNS1_3repE0EEENS1_38merge_mergepath_config_static_selectorELNS0_4arch9wavefront6targetE0EEEvSF_: ; @_ZN7rocprim17ROCPRIM_400000_NS6detail17trampoline_kernelINS0_14default_configENS1_38merge_sort_block_merge_config_selectorIlNS0_10empty_typeEEEZZNS1_27merge_sort_block_merge_implIS3_PlPS5_jNS1_19radix_merge_compareILb1ELb1ElNS0_19identity_decomposerEEEEE10hipError_tT0_T1_T2_jT3_P12ihipStream_tbPNSt15iterator_traitsISE_E10value_typeEPNSK_ISF_E10value_typeEPSG_NS1_7vsmem_tEENKUlT_SE_SF_SG_E_clIS8_S8_S9_S9_EESD_ST_SE_SF_SG_EUlST_E0_NS1_11comp_targetILNS1_3genE3ELNS1_11target_archE908ELNS1_3gpuE7ELNS1_3repE0EEENS1_38merge_mergepath_config_static_selectorELNS0_4arch9wavefront6targetE0EEEvSF_
; %bb.0:
	.section	.rodata,"a",@progbits
	.p2align	6, 0x0
	.amdhsa_kernel _ZN7rocprim17ROCPRIM_400000_NS6detail17trampoline_kernelINS0_14default_configENS1_38merge_sort_block_merge_config_selectorIlNS0_10empty_typeEEEZZNS1_27merge_sort_block_merge_implIS3_PlPS5_jNS1_19radix_merge_compareILb1ELb1ElNS0_19identity_decomposerEEEEE10hipError_tT0_T1_T2_jT3_P12ihipStream_tbPNSt15iterator_traitsISE_E10value_typeEPNSK_ISF_E10value_typeEPSG_NS1_7vsmem_tEENKUlT_SE_SF_SG_E_clIS8_S8_S9_S9_EESD_ST_SE_SF_SG_EUlST_E0_NS1_11comp_targetILNS1_3genE3ELNS1_11target_archE908ELNS1_3gpuE7ELNS1_3repE0EEENS1_38merge_mergepath_config_static_selectorELNS0_4arch9wavefront6targetE0EEEvSF_
		.amdhsa_group_segment_fixed_size 0
		.amdhsa_private_segment_fixed_size 0
		.amdhsa_kernarg_size 72
		.amdhsa_user_sgpr_count 2
		.amdhsa_user_sgpr_dispatch_ptr 0
		.amdhsa_user_sgpr_queue_ptr 0
		.amdhsa_user_sgpr_kernarg_segment_ptr 1
		.amdhsa_user_sgpr_dispatch_id 0
		.amdhsa_user_sgpr_kernarg_preload_length 0
		.amdhsa_user_sgpr_kernarg_preload_offset 0
		.amdhsa_user_sgpr_private_segment_size 0
		.amdhsa_wavefront_size32 1
		.amdhsa_uses_dynamic_stack 0
		.amdhsa_enable_private_segment 0
		.amdhsa_system_sgpr_workgroup_id_x 1
		.amdhsa_system_sgpr_workgroup_id_y 0
		.amdhsa_system_sgpr_workgroup_id_z 0
		.amdhsa_system_sgpr_workgroup_info 0
		.amdhsa_system_vgpr_workitem_id 0
		.amdhsa_next_free_vgpr 1
		.amdhsa_next_free_sgpr 1
		.amdhsa_named_barrier_count 0
		.amdhsa_reserve_vcc 0
		.amdhsa_float_round_mode_32 0
		.amdhsa_float_round_mode_16_64 0
		.amdhsa_float_denorm_mode_32 3
		.amdhsa_float_denorm_mode_16_64 3
		.amdhsa_fp16_overflow 0
		.amdhsa_memory_ordered 1
		.amdhsa_forward_progress 1
		.amdhsa_inst_pref_size 0
		.amdhsa_round_robin_scheduling 0
		.amdhsa_exception_fp_ieee_invalid_op 0
		.amdhsa_exception_fp_denorm_src 0
		.amdhsa_exception_fp_ieee_div_zero 0
		.amdhsa_exception_fp_ieee_overflow 0
		.amdhsa_exception_fp_ieee_underflow 0
		.amdhsa_exception_fp_ieee_inexact 0
		.amdhsa_exception_int_div_zero 0
	.end_amdhsa_kernel
	.section	.text._ZN7rocprim17ROCPRIM_400000_NS6detail17trampoline_kernelINS0_14default_configENS1_38merge_sort_block_merge_config_selectorIlNS0_10empty_typeEEEZZNS1_27merge_sort_block_merge_implIS3_PlPS5_jNS1_19radix_merge_compareILb1ELb1ElNS0_19identity_decomposerEEEEE10hipError_tT0_T1_T2_jT3_P12ihipStream_tbPNSt15iterator_traitsISE_E10value_typeEPNSK_ISF_E10value_typeEPSG_NS1_7vsmem_tEENKUlT_SE_SF_SG_E_clIS8_S8_S9_S9_EESD_ST_SE_SF_SG_EUlST_E0_NS1_11comp_targetILNS1_3genE3ELNS1_11target_archE908ELNS1_3gpuE7ELNS1_3repE0EEENS1_38merge_mergepath_config_static_selectorELNS0_4arch9wavefront6targetE0EEEvSF_,"axG",@progbits,_ZN7rocprim17ROCPRIM_400000_NS6detail17trampoline_kernelINS0_14default_configENS1_38merge_sort_block_merge_config_selectorIlNS0_10empty_typeEEEZZNS1_27merge_sort_block_merge_implIS3_PlPS5_jNS1_19radix_merge_compareILb1ELb1ElNS0_19identity_decomposerEEEEE10hipError_tT0_T1_T2_jT3_P12ihipStream_tbPNSt15iterator_traitsISE_E10value_typeEPNSK_ISF_E10value_typeEPSG_NS1_7vsmem_tEENKUlT_SE_SF_SG_E_clIS8_S8_S9_S9_EESD_ST_SE_SF_SG_EUlST_E0_NS1_11comp_targetILNS1_3genE3ELNS1_11target_archE908ELNS1_3gpuE7ELNS1_3repE0EEENS1_38merge_mergepath_config_static_selectorELNS0_4arch9wavefront6targetE0EEEvSF_,comdat
.Lfunc_end1058:
	.size	_ZN7rocprim17ROCPRIM_400000_NS6detail17trampoline_kernelINS0_14default_configENS1_38merge_sort_block_merge_config_selectorIlNS0_10empty_typeEEEZZNS1_27merge_sort_block_merge_implIS3_PlPS5_jNS1_19radix_merge_compareILb1ELb1ElNS0_19identity_decomposerEEEEE10hipError_tT0_T1_T2_jT3_P12ihipStream_tbPNSt15iterator_traitsISE_E10value_typeEPNSK_ISF_E10value_typeEPSG_NS1_7vsmem_tEENKUlT_SE_SF_SG_E_clIS8_S8_S9_S9_EESD_ST_SE_SF_SG_EUlST_E0_NS1_11comp_targetILNS1_3genE3ELNS1_11target_archE908ELNS1_3gpuE7ELNS1_3repE0EEENS1_38merge_mergepath_config_static_selectorELNS0_4arch9wavefront6targetE0EEEvSF_, .Lfunc_end1058-_ZN7rocprim17ROCPRIM_400000_NS6detail17trampoline_kernelINS0_14default_configENS1_38merge_sort_block_merge_config_selectorIlNS0_10empty_typeEEEZZNS1_27merge_sort_block_merge_implIS3_PlPS5_jNS1_19radix_merge_compareILb1ELb1ElNS0_19identity_decomposerEEEEE10hipError_tT0_T1_T2_jT3_P12ihipStream_tbPNSt15iterator_traitsISE_E10value_typeEPNSK_ISF_E10value_typeEPSG_NS1_7vsmem_tEENKUlT_SE_SF_SG_E_clIS8_S8_S9_S9_EESD_ST_SE_SF_SG_EUlST_E0_NS1_11comp_targetILNS1_3genE3ELNS1_11target_archE908ELNS1_3gpuE7ELNS1_3repE0EEENS1_38merge_mergepath_config_static_selectorELNS0_4arch9wavefront6targetE0EEEvSF_
                                        ; -- End function
	.set _ZN7rocprim17ROCPRIM_400000_NS6detail17trampoline_kernelINS0_14default_configENS1_38merge_sort_block_merge_config_selectorIlNS0_10empty_typeEEEZZNS1_27merge_sort_block_merge_implIS3_PlPS5_jNS1_19radix_merge_compareILb1ELb1ElNS0_19identity_decomposerEEEEE10hipError_tT0_T1_T2_jT3_P12ihipStream_tbPNSt15iterator_traitsISE_E10value_typeEPNSK_ISF_E10value_typeEPSG_NS1_7vsmem_tEENKUlT_SE_SF_SG_E_clIS8_S8_S9_S9_EESD_ST_SE_SF_SG_EUlST_E0_NS1_11comp_targetILNS1_3genE3ELNS1_11target_archE908ELNS1_3gpuE7ELNS1_3repE0EEENS1_38merge_mergepath_config_static_selectorELNS0_4arch9wavefront6targetE0EEEvSF_.num_vgpr, 0
	.set _ZN7rocprim17ROCPRIM_400000_NS6detail17trampoline_kernelINS0_14default_configENS1_38merge_sort_block_merge_config_selectorIlNS0_10empty_typeEEEZZNS1_27merge_sort_block_merge_implIS3_PlPS5_jNS1_19radix_merge_compareILb1ELb1ElNS0_19identity_decomposerEEEEE10hipError_tT0_T1_T2_jT3_P12ihipStream_tbPNSt15iterator_traitsISE_E10value_typeEPNSK_ISF_E10value_typeEPSG_NS1_7vsmem_tEENKUlT_SE_SF_SG_E_clIS8_S8_S9_S9_EESD_ST_SE_SF_SG_EUlST_E0_NS1_11comp_targetILNS1_3genE3ELNS1_11target_archE908ELNS1_3gpuE7ELNS1_3repE0EEENS1_38merge_mergepath_config_static_selectorELNS0_4arch9wavefront6targetE0EEEvSF_.num_agpr, 0
	.set _ZN7rocprim17ROCPRIM_400000_NS6detail17trampoline_kernelINS0_14default_configENS1_38merge_sort_block_merge_config_selectorIlNS0_10empty_typeEEEZZNS1_27merge_sort_block_merge_implIS3_PlPS5_jNS1_19radix_merge_compareILb1ELb1ElNS0_19identity_decomposerEEEEE10hipError_tT0_T1_T2_jT3_P12ihipStream_tbPNSt15iterator_traitsISE_E10value_typeEPNSK_ISF_E10value_typeEPSG_NS1_7vsmem_tEENKUlT_SE_SF_SG_E_clIS8_S8_S9_S9_EESD_ST_SE_SF_SG_EUlST_E0_NS1_11comp_targetILNS1_3genE3ELNS1_11target_archE908ELNS1_3gpuE7ELNS1_3repE0EEENS1_38merge_mergepath_config_static_selectorELNS0_4arch9wavefront6targetE0EEEvSF_.numbered_sgpr, 0
	.set _ZN7rocprim17ROCPRIM_400000_NS6detail17trampoline_kernelINS0_14default_configENS1_38merge_sort_block_merge_config_selectorIlNS0_10empty_typeEEEZZNS1_27merge_sort_block_merge_implIS3_PlPS5_jNS1_19radix_merge_compareILb1ELb1ElNS0_19identity_decomposerEEEEE10hipError_tT0_T1_T2_jT3_P12ihipStream_tbPNSt15iterator_traitsISE_E10value_typeEPNSK_ISF_E10value_typeEPSG_NS1_7vsmem_tEENKUlT_SE_SF_SG_E_clIS8_S8_S9_S9_EESD_ST_SE_SF_SG_EUlST_E0_NS1_11comp_targetILNS1_3genE3ELNS1_11target_archE908ELNS1_3gpuE7ELNS1_3repE0EEENS1_38merge_mergepath_config_static_selectorELNS0_4arch9wavefront6targetE0EEEvSF_.num_named_barrier, 0
	.set _ZN7rocprim17ROCPRIM_400000_NS6detail17trampoline_kernelINS0_14default_configENS1_38merge_sort_block_merge_config_selectorIlNS0_10empty_typeEEEZZNS1_27merge_sort_block_merge_implIS3_PlPS5_jNS1_19radix_merge_compareILb1ELb1ElNS0_19identity_decomposerEEEEE10hipError_tT0_T1_T2_jT3_P12ihipStream_tbPNSt15iterator_traitsISE_E10value_typeEPNSK_ISF_E10value_typeEPSG_NS1_7vsmem_tEENKUlT_SE_SF_SG_E_clIS8_S8_S9_S9_EESD_ST_SE_SF_SG_EUlST_E0_NS1_11comp_targetILNS1_3genE3ELNS1_11target_archE908ELNS1_3gpuE7ELNS1_3repE0EEENS1_38merge_mergepath_config_static_selectorELNS0_4arch9wavefront6targetE0EEEvSF_.private_seg_size, 0
	.set _ZN7rocprim17ROCPRIM_400000_NS6detail17trampoline_kernelINS0_14default_configENS1_38merge_sort_block_merge_config_selectorIlNS0_10empty_typeEEEZZNS1_27merge_sort_block_merge_implIS3_PlPS5_jNS1_19radix_merge_compareILb1ELb1ElNS0_19identity_decomposerEEEEE10hipError_tT0_T1_T2_jT3_P12ihipStream_tbPNSt15iterator_traitsISE_E10value_typeEPNSK_ISF_E10value_typeEPSG_NS1_7vsmem_tEENKUlT_SE_SF_SG_E_clIS8_S8_S9_S9_EESD_ST_SE_SF_SG_EUlST_E0_NS1_11comp_targetILNS1_3genE3ELNS1_11target_archE908ELNS1_3gpuE7ELNS1_3repE0EEENS1_38merge_mergepath_config_static_selectorELNS0_4arch9wavefront6targetE0EEEvSF_.uses_vcc, 0
	.set _ZN7rocprim17ROCPRIM_400000_NS6detail17trampoline_kernelINS0_14default_configENS1_38merge_sort_block_merge_config_selectorIlNS0_10empty_typeEEEZZNS1_27merge_sort_block_merge_implIS3_PlPS5_jNS1_19radix_merge_compareILb1ELb1ElNS0_19identity_decomposerEEEEE10hipError_tT0_T1_T2_jT3_P12ihipStream_tbPNSt15iterator_traitsISE_E10value_typeEPNSK_ISF_E10value_typeEPSG_NS1_7vsmem_tEENKUlT_SE_SF_SG_E_clIS8_S8_S9_S9_EESD_ST_SE_SF_SG_EUlST_E0_NS1_11comp_targetILNS1_3genE3ELNS1_11target_archE908ELNS1_3gpuE7ELNS1_3repE0EEENS1_38merge_mergepath_config_static_selectorELNS0_4arch9wavefront6targetE0EEEvSF_.uses_flat_scratch, 0
	.set _ZN7rocprim17ROCPRIM_400000_NS6detail17trampoline_kernelINS0_14default_configENS1_38merge_sort_block_merge_config_selectorIlNS0_10empty_typeEEEZZNS1_27merge_sort_block_merge_implIS3_PlPS5_jNS1_19radix_merge_compareILb1ELb1ElNS0_19identity_decomposerEEEEE10hipError_tT0_T1_T2_jT3_P12ihipStream_tbPNSt15iterator_traitsISE_E10value_typeEPNSK_ISF_E10value_typeEPSG_NS1_7vsmem_tEENKUlT_SE_SF_SG_E_clIS8_S8_S9_S9_EESD_ST_SE_SF_SG_EUlST_E0_NS1_11comp_targetILNS1_3genE3ELNS1_11target_archE908ELNS1_3gpuE7ELNS1_3repE0EEENS1_38merge_mergepath_config_static_selectorELNS0_4arch9wavefront6targetE0EEEvSF_.has_dyn_sized_stack, 0
	.set _ZN7rocprim17ROCPRIM_400000_NS6detail17trampoline_kernelINS0_14default_configENS1_38merge_sort_block_merge_config_selectorIlNS0_10empty_typeEEEZZNS1_27merge_sort_block_merge_implIS3_PlPS5_jNS1_19radix_merge_compareILb1ELb1ElNS0_19identity_decomposerEEEEE10hipError_tT0_T1_T2_jT3_P12ihipStream_tbPNSt15iterator_traitsISE_E10value_typeEPNSK_ISF_E10value_typeEPSG_NS1_7vsmem_tEENKUlT_SE_SF_SG_E_clIS8_S8_S9_S9_EESD_ST_SE_SF_SG_EUlST_E0_NS1_11comp_targetILNS1_3genE3ELNS1_11target_archE908ELNS1_3gpuE7ELNS1_3repE0EEENS1_38merge_mergepath_config_static_selectorELNS0_4arch9wavefront6targetE0EEEvSF_.has_recursion, 0
	.set _ZN7rocprim17ROCPRIM_400000_NS6detail17trampoline_kernelINS0_14default_configENS1_38merge_sort_block_merge_config_selectorIlNS0_10empty_typeEEEZZNS1_27merge_sort_block_merge_implIS3_PlPS5_jNS1_19radix_merge_compareILb1ELb1ElNS0_19identity_decomposerEEEEE10hipError_tT0_T1_T2_jT3_P12ihipStream_tbPNSt15iterator_traitsISE_E10value_typeEPNSK_ISF_E10value_typeEPSG_NS1_7vsmem_tEENKUlT_SE_SF_SG_E_clIS8_S8_S9_S9_EESD_ST_SE_SF_SG_EUlST_E0_NS1_11comp_targetILNS1_3genE3ELNS1_11target_archE908ELNS1_3gpuE7ELNS1_3repE0EEENS1_38merge_mergepath_config_static_selectorELNS0_4arch9wavefront6targetE0EEEvSF_.has_indirect_call, 0
	.section	.AMDGPU.csdata,"",@progbits
; Kernel info:
; codeLenInByte = 0
; TotalNumSgprs: 0
; NumVgprs: 0
; ScratchSize: 0
; MemoryBound: 0
; FloatMode: 240
; IeeeMode: 1
; LDSByteSize: 0 bytes/workgroup (compile time only)
; SGPRBlocks: 0
; VGPRBlocks: 0
; NumSGPRsForWavesPerEU: 1
; NumVGPRsForWavesPerEU: 1
; NamedBarCnt: 0
; Occupancy: 16
; WaveLimiterHint : 0
; COMPUTE_PGM_RSRC2:SCRATCH_EN: 0
; COMPUTE_PGM_RSRC2:USER_SGPR: 2
; COMPUTE_PGM_RSRC2:TRAP_HANDLER: 0
; COMPUTE_PGM_RSRC2:TGID_X_EN: 1
; COMPUTE_PGM_RSRC2:TGID_Y_EN: 0
; COMPUTE_PGM_RSRC2:TGID_Z_EN: 0
; COMPUTE_PGM_RSRC2:TIDIG_COMP_CNT: 0
	.section	.text._ZN7rocprim17ROCPRIM_400000_NS6detail17trampoline_kernelINS0_14default_configENS1_38merge_sort_block_merge_config_selectorIlNS0_10empty_typeEEEZZNS1_27merge_sort_block_merge_implIS3_PlPS5_jNS1_19radix_merge_compareILb1ELb1ElNS0_19identity_decomposerEEEEE10hipError_tT0_T1_T2_jT3_P12ihipStream_tbPNSt15iterator_traitsISE_E10value_typeEPNSK_ISF_E10value_typeEPSG_NS1_7vsmem_tEENKUlT_SE_SF_SG_E_clIS8_S8_S9_S9_EESD_ST_SE_SF_SG_EUlST_E0_NS1_11comp_targetILNS1_3genE2ELNS1_11target_archE906ELNS1_3gpuE6ELNS1_3repE0EEENS1_38merge_mergepath_config_static_selectorELNS0_4arch9wavefront6targetE0EEEvSF_,"axG",@progbits,_ZN7rocprim17ROCPRIM_400000_NS6detail17trampoline_kernelINS0_14default_configENS1_38merge_sort_block_merge_config_selectorIlNS0_10empty_typeEEEZZNS1_27merge_sort_block_merge_implIS3_PlPS5_jNS1_19radix_merge_compareILb1ELb1ElNS0_19identity_decomposerEEEEE10hipError_tT0_T1_T2_jT3_P12ihipStream_tbPNSt15iterator_traitsISE_E10value_typeEPNSK_ISF_E10value_typeEPSG_NS1_7vsmem_tEENKUlT_SE_SF_SG_E_clIS8_S8_S9_S9_EESD_ST_SE_SF_SG_EUlST_E0_NS1_11comp_targetILNS1_3genE2ELNS1_11target_archE906ELNS1_3gpuE6ELNS1_3repE0EEENS1_38merge_mergepath_config_static_selectorELNS0_4arch9wavefront6targetE0EEEvSF_,comdat
	.protected	_ZN7rocprim17ROCPRIM_400000_NS6detail17trampoline_kernelINS0_14default_configENS1_38merge_sort_block_merge_config_selectorIlNS0_10empty_typeEEEZZNS1_27merge_sort_block_merge_implIS3_PlPS5_jNS1_19radix_merge_compareILb1ELb1ElNS0_19identity_decomposerEEEEE10hipError_tT0_T1_T2_jT3_P12ihipStream_tbPNSt15iterator_traitsISE_E10value_typeEPNSK_ISF_E10value_typeEPSG_NS1_7vsmem_tEENKUlT_SE_SF_SG_E_clIS8_S8_S9_S9_EESD_ST_SE_SF_SG_EUlST_E0_NS1_11comp_targetILNS1_3genE2ELNS1_11target_archE906ELNS1_3gpuE6ELNS1_3repE0EEENS1_38merge_mergepath_config_static_selectorELNS0_4arch9wavefront6targetE0EEEvSF_ ; -- Begin function _ZN7rocprim17ROCPRIM_400000_NS6detail17trampoline_kernelINS0_14default_configENS1_38merge_sort_block_merge_config_selectorIlNS0_10empty_typeEEEZZNS1_27merge_sort_block_merge_implIS3_PlPS5_jNS1_19radix_merge_compareILb1ELb1ElNS0_19identity_decomposerEEEEE10hipError_tT0_T1_T2_jT3_P12ihipStream_tbPNSt15iterator_traitsISE_E10value_typeEPNSK_ISF_E10value_typeEPSG_NS1_7vsmem_tEENKUlT_SE_SF_SG_E_clIS8_S8_S9_S9_EESD_ST_SE_SF_SG_EUlST_E0_NS1_11comp_targetILNS1_3genE2ELNS1_11target_archE906ELNS1_3gpuE6ELNS1_3repE0EEENS1_38merge_mergepath_config_static_selectorELNS0_4arch9wavefront6targetE0EEEvSF_
	.globl	_ZN7rocprim17ROCPRIM_400000_NS6detail17trampoline_kernelINS0_14default_configENS1_38merge_sort_block_merge_config_selectorIlNS0_10empty_typeEEEZZNS1_27merge_sort_block_merge_implIS3_PlPS5_jNS1_19radix_merge_compareILb1ELb1ElNS0_19identity_decomposerEEEEE10hipError_tT0_T1_T2_jT3_P12ihipStream_tbPNSt15iterator_traitsISE_E10value_typeEPNSK_ISF_E10value_typeEPSG_NS1_7vsmem_tEENKUlT_SE_SF_SG_E_clIS8_S8_S9_S9_EESD_ST_SE_SF_SG_EUlST_E0_NS1_11comp_targetILNS1_3genE2ELNS1_11target_archE906ELNS1_3gpuE6ELNS1_3repE0EEENS1_38merge_mergepath_config_static_selectorELNS0_4arch9wavefront6targetE0EEEvSF_
	.p2align	8
	.type	_ZN7rocprim17ROCPRIM_400000_NS6detail17trampoline_kernelINS0_14default_configENS1_38merge_sort_block_merge_config_selectorIlNS0_10empty_typeEEEZZNS1_27merge_sort_block_merge_implIS3_PlPS5_jNS1_19radix_merge_compareILb1ELb1ElNS0_19identity_decomposerEEEEE10hipError_tT0_T1_T2_jT3_P12ihipStream_tbPNSt15iterator_traitsISE_E10value_typeEPNSK_ISF_E10value_typeEPSG_NS1_7vsmem_tEENKUlT_SE_SF_SG_E_clIS8_S8_S9_S9_EESD_ST_SE_SF_SG_EUlST_E0_NS1_11comp_targetILNS1_3genE2ELNS1_11target_archE906ELNS1_3gpuE6ELNS1_3repE0EEENS1_38merge_mergepath_config_static_selectorELNS0_4arch9wavefront6targetE0EEEvSF_,@function
_ZN7rocprim17ROCPRIM_400000_NS6detail17trampoline_kernelINS0_14default_configENS1_38merge_sort_block_merge_config_selectorIlNS0_10empty_typeEEEZZNS1_27merge_sort_block_merge_implIS3_PlPS5_jNS1_19radix_merge_compareILb1ELb1ElNS0_19identity_decomposerEEEEE10hipError_tT0_T1_T2_jT3_P12ihipStream_tbPNSt15iterator_traitsISE_E10value_typeEPNSK_ISF_E10value_typeEPSG_NS1_7vsmem_tEENKUlT_SE_SF_SG_E_clIS8_S8_S9_S9_EESD_ST_SE_SF_SG_EUlST_E0_NS1_11comp_targetILNS1_3genE2ELNS1_11target_archE906ELNS1_3gpuE6ELNS1_3repE0EEENS1_38merge_mergepath_config_static_selectorELNS0_4arch9wavefront6targetE0EEEvSF_: ; @_ZN7rocprim17ROCPRIM_400000_NS6detail17trampoline_kernelINS0_14default_configENS1_38merge_sort_block_merge_config_selectorIlNS0_10empty_typeEEEZZNS1_27merge_sort_block_merge_implIS3_PlPS5_jNS1_19radix_merge_compareILb1ELb1ElNS0_19identity_decomposerEEEEE10hipError_tT0_T1_T2_jT3_P12ihipStream_tbPNSt15iterator_traitsISE_E10value_typeEPNSK_ISF_E10value_typeEPSG_NS1_7vsmem_tEENKUlT_SE_SF_SG_E_clIS8_S8_S9_S9_EESD_ST_SE_SF_SG_EUlST_E0_NS1_11comp_targetILNS1_3genE2ELNS1_11target_archE906ELNS1_3gpuE6ELNS1_3repE0EEENS1_38merge_mergepath_config_static_selectorELNS0_4arch9wavefront6targetE0EEEvSF_
; %bb.0:
	.section	.rodata,"a",@progbits
	.p2align	6, 0x0
	.amdhsa_kernel _ZN7rocprim17ROCPRIM_400000_NS6detail17trampoline_kernelINS0_14default_configENS1_38merge_sort_block_merge_config_selectorIlNS0_10empty_typeEEEZZNS1_27merge_sort_block_merge_implIS3_PlPS5_jNS1_19radix_merge_compareILb1ELb1ElNS0_19identity_decomposerEEEEE10hipError_tT0_T1_T2_jT3_P12ihipStream_tbPNSt15iterator_traitsISE_E10value_typeEPNSK_ISF_E10value_typeEPSG_NS1_7vsmem_tEENKUlT_SE_SF_SG_E_clIS8_S8_S9_S9_EESD_ST_SE_SF_SG_EUlST_E0_NS1_11comp_targetILNS1_3genE2ELNS1_11target_archE906ELNS1_3gpuE6ELNS1_3repE0EEENS1_38merge_mergepath_config_static_selectorELNS0_4arch9wavefront6targetE0EEEvSF_
		.amdhsa_group_segment_fixed_size 0
		.amdhsa_private_segment_fixed_size 0
		.amdhsa_kernarg_size 72
		.amdhsa_user_sgpr_count 2
		.amdhsa_user_sgpr_dispatch_ptr 0
		.amdhsa_user_sgpr_queue_ptr 0
		.amdhsa_user_sgpr_kernarg_segment_ptr 1
		.amdhsa_user_sgpr_dispatch_id 0
		.amdhsa_user_sgpr_kernarg_preload_length 0
		.amdhsa_user_sgpr_kernarg_preload_offset 0
		.amdhsa_user_sgpr_private_segment_size 0
		.amdhsa_wavefront_size32 1
		.amdhsa_uses_dynamic_stack 0
		.amdhsa_enable_private_segment 0
		.amdhsa_system_sgpr_workgroup_id_x 1
		.amdhsa_system_sgpr_workgroup_id_y 0
		.amdhsa_system_sgpr_workgroup_id_z 0
		.amdhsa_system_sgpr_workgroup_info 0
		.amdhsa_system_vgpr_workitem_id 0
		.amdhsa_next_free_vgpr 1
		.amdhsa_next_free_sgpr 1
		.amdhsa_named_barrier_count 0
		.amdhsa_reserve_vcc 0
		.amdhsa_float_round_mode_32 0
		.amdhsa_float_round_mode_16_64 0
		.amdhsa_float_denorm_mode_32 3
		.amdhsa_float_denorm_mode_16_64 3
		.amdhsa_fp16_overflow 0
		.amdhsa_memory_ordered 1
		.amdhsa_forward_progress 1
		.amdhsa_inst_pref_size 0
		.amdhsa_round_robin_scheduling 0
		.amdhsa_exception_fp_ieee_invalid_op 0
		.amdhsa_exception_fp_denorm_src 0
		.amdhsa_exception_fp_ieee_div_zero 0
		.amdhsa_exception_fp_ieee_overflow 0
		.amdhsa_exception_fp_ieee_underflow 0
		.amdhsa_exception_fp_ieee_inexact 0
		.amdhsa_exception_int_div_zero 0
	.end_amdhsa_kernel
	.section	.text._ZN7rocprim17ROCPRIM_400000_NS6detail17trampoline_kernelINS0_14default_configENS1_38merge_sort_block_merge_config_selectorIlNS0_10empty_typeEEEZZNS1_27merge_sort_block_merge_implIS3_PlPS5_jNS1_19radix_merge_compareILb1ELb1ElNS0_19identity_decomposerEEEEE10hipError_tT0_T1_T2_jT3_P12ihipStream_tbPNSt15iterator_traitsISE_E10value_typeEPNSK_ISF_E10value_typeEPSG_NS1_7vsmem_tEENKUlT_SE_SF_SG_E_clIS8_S8_S9_S9_EESD_ST_SE_SF_SG_EUlST_E0_NS1_11comp_targetILNS1_3genE2ELNS1_11target_archE906ELNS1_3gpuE6ELNS1_3repE0EEENS1_38merge_mergepath_config_static_selectorELNS0_4arch9wavefront6targetE0EEEvSF_,"axG",@progbits,_ZN7rocprim17ROCPRIM_400000_NS6detail17trampoline_kernelINS0_14default_configENS1_38merge_sort_block_merge_config_selectorIlNS0_10empty_typeEEEZZNS1_27merge_sort_block_merge_implIS3_PlPS5_jNS1_19radix_merge_compareILb1ELb1ElNS0_19identity_decomposerEEEEE10hipError_tT0_T1_T2_jT3_P12ihipStream_tbPNSt15iterator_traitsISE_E10value_typeEPNSK_ISF_E10value_typeEPSG_NS1_7vsmem_tEENKUlT_SE_SF_SG_E_clIS8_S8_S9_S9_EESD_ST_SE_SF_SG_EUlST_E0_NS1_11comp_targetILNS1_3genE2ELNS1_11target_archE906ELNS1_3gpuE6ELNS1_3repE0EEENS1_38merge_mergepath_config_static_selectorELNS0_4arch9wavefront6targetE0EEEvSF_,comdat
.Lfunc_end1059:
	.size	_ZN7rocprim17ROCPRIM_400000_NS6detail17trampoline_kernelINS0_14default_configENS1_38merge_sort_block_merge_config_selectorIlNS0_10empty_typeEEEZZNS1_27merge_sort_block_merge_implIS3_PlPS5_jNS1_19radix_merge_compareILb1ELb1ElNS0_19identity_decomposerEEEEE10hipError_tT0_T1_T2_jT3_P12ihipStream_tbPNSt15iterator_traitsISE_E10value_typeEPNSK_ISF_E10value_typeEPSG_NS1_7vsmem_tEENKUlT_SE_SF_SG_E_clIS8_S8_S9_S9_EESD_ST_SE_SF_SG_EUlST_E0_NS1_11comp_targetILNS1_3genE2ELNS1_11target_archE906ELNS1_3gpuE6ELNS1_3repE0EEENS1_38merge_mergepath_config_static_selectorELNS0_4arch9wavefront6targetE0EEEvSF_, .Lfunc_end1059-_ZN7rocprim17ROCPRIM_400000_NS6detail17trampoline_kernelINS0_14default_configENS1_38merge_sort_block_merge_config_selectorIlNS0_10empty_typeEEEZZNS1_27merge_sort_block_merge_implIS3_PlPS5_jNS1_19radix_merge_compareILb1ELb1ElNS0_19identity_decomposerEEEEE10hipError_tT0_T1_T2_jT3_P12ihipStream_tbPNSt15iterator_traitsISE_E10value_typeEPNSK_ISF_E10value_typeEPSG_NS1_7vsmem_tEENKUlT_SE_SF_SG_E_clIS8_S8_S9_S9_EESD_ST_SE_SF_SG_EUlST_E0_NS1_11comp_targetILNS1_3genE2ELNS1_11target_archE906ELNS1_3gpuE6ELNS1_3repE0EEENS1_38merge_mergepath_config_static_selectorELNS0_4arch9wavefront6targetE0EEEvSF_
                                        ; -- End function
	.set _ZN7rocprim17ROCPRIM_400000_NS6detail17trampoline_kernelINS0_14default_configENS1_38merge_sort_block_merge_config_selectorIlNS0_10empty_typeEEEZZNS1_27merge_sort_block_merge_implIS3_PlPS5_jNS1_19radix_merge_compareILb1ELb1ElNS0_19identity_decomposerEEEEE10hipError_tT0_T1_T2_jT3_P12ihipStream_tbPNSt15iterator_traitsISE_E10value_typeEPNSK_ISF_E10value_typeEPSG_NS1_7vsmem_tEENKUlT_SE_SF_SG_E_clIS8_S8_S9_S9_EESD_ST_SE_SF_SG_EUlST_E0_NS1_11comp_targetILNS1_3genE2ELNS1_11target_archE906ELNS1_3gpuE6ELNS1_3repE0EEENS1_38merge_mergepath_config_static_selectorELNS0_4arch9wavefront6targetE0EEEvSF_.num_vgpr, 0
	.set _ZN7rocprim17ROCPRIM_400000_NS6detail17trampoline_kernelINS0_14default_configENS1_38merge_sort_block_merge_config_selectorIlNS0_10empty_typeEEEZZNS1_27merge_sort_block_merge_implIS3_PlPS5_jNS1_19radix_merge_compareILb1ELb1ElNS0_19identity_decomposerEEEEE10hipError_tT0_T1_T2_jT3_P12ihipStream_tbPNSt15iterator_traitsISE_E10value_typeEPNSK_ISF_E10value_typeEPSG_NS1_7vsmem_tEENKUlT_SE_SF_SG_E_clIS8_S8_S9_S9_EESD_ST_SE_SF_SG_EUlST_E0_NS1_11comp_targetILNS1_3genE2ELNS1_11target_archE906ELNS1_3gpuE6ELNS1_3repE0EEENS1_38merge_mergepath_config_static_selectorELNS0_4arch9wavefront6targetE0EEEvSF_.num_agpr, 0
	.set _ZN7rocprim17ROCPRIM_400000_NS6detail17trampoline_kernelINS0_14default_configENS1_38merge_sort_block_merge_config_selectorIlNS0_10empty_typeEEEZZNS1_27merge_sort_block_merge_implIS3_PlPS5_jNS1_19radix_merge_compareILb1ELb1ElNS0_19identity_decomposerEEEEE10hipError_tT0_T1_T2_jT3_P12ihipStream_tbPNSt15iterator_traitsISE_E10value_typeEPNSK_ISF_E10value_typeEPSG_NS1_7vsmem_tEENKUlT_SE_SF_SG_E_clIS8_S8_S9_S9_EESD_ST_SE_SF_SG_EUlST_E0_NS1_11comp_targetILNS1_3genE2ELNS1_11target_archE906ELNS1_3gpuE6ELNS1_3repE0EEENS1_38merge_mergepath_config_static_selectorELNS0_4arch9wavefront6targetE0EEEvSF_.numbered_sgpr, 0
	.set _ZN7rocprim17ROCPRIM_400000_NS6detail17trampoline_kernelINS0_14default_configENS1_38merge_sort_block_merge_config_selectorIlNS0_10empty_typeEEEZZNS1_27merge_sort_block_merge_implIS3_PlPS5_jNS1_19radix_merge_compareILb1ELb1ElNS0_19identity_decomposerEEEEE10hipError_tT0_T1_T2_jT3_P12ihipStream_tbPNSt15iterator_traitsISE_E10value_typeEPNSK_ISF_E10value_typeEPSG_NS1_7vsmem_tEENKUlT_SE_SF_SG_E_clIS8_S8_S9_S9_EESD_ST_SE_SF_SG_EUlST_E0_NS1_11comp_targetILNS1_3genE2ELNS1_11target_archE906ELNS1_3gpuE6ELNS1_3repE0EEENS1_38merge_mergepath_config_static_selectorELNS0_4arch9wavefront6targetE0EEEvSF_.num_named_barrier, 0
	.set _ZN7rocprim17ROCPRIM_400000_NS6detail17trampoline_kernelINS0_14default_configENS1_38merge_sort_block_merge_config_selectorIlNS0_10empty_typeEEEZZNS1_27merge_sort_block_merge_implIS3_PlPS5_jNS1_19radix_merge_compareILb1ELb1ElNS0_19identity_decomposerEEEEE10hipError_tT0_T1_T2_jT3_P12ihipStream_tbPNSt15iterator_traitsISE_E10value_typeEPNSK_ISF_E10value_typeEPSG_NS1_7vsmem_tEENKUlT_SE_SF_SG_E_clIS8_S8_S9_S9_EESD_ST_SE_SF_SG_EUlST_E0_NS1_11comp_targetILNS1_3genE2ELNS1_11target_archE906ELNS1_3gpuE6ELNS1_3repE0EEENS1_38merge_mergepath_config_static_selectorELNS0_4arch9wavefront6targetE0EEEvSF_.private_seg_size, 0
	.set _ZN7rocprim17ROCPRIM_400000_NS6detail17trampoline_kernelINS0_14default_configENS1_38merge_sort_block_merge_config_selectorIlNS0_10empty_typeEEEZZNS1_27merge_sort_block_merge_implIS3_PlPS5_jNS1_19radix_merge_compareILb1ELb1ElNS0_19identity_decomposerEEEEE10hipError_tT0_T1_T2_jT3_P12ihipStream_tbPNSt15iterator_traitsISE_E10value_typeEPNSK_ISF_E10value_typeEPSG_NS1_7vsmem_tEENKUlT_SE_SF_SG_E_clIS8_S8_S9_S9_EESD_ST_SE_SF_SG_EUlST_E0_NS1_11comp_targetILNS1_3genE2ELNS1_11target_archE906ELNS1_3gpuE6ELNS1_3repE0EEENS1_38merge_mergepath_config_static_selectorELNS0_4arch9wavefront6targetE0EEEvSF_.uses_vcc, 0
	.set _ZN7rocprim17ROCPRIM_400000_NS6detail17trampoline_kernelINS0_14default_configENS1_38merge_sort_block_merge_config_selectorIlNS0_10empty_typeEEEZZNS1_27merge_sort_block_merge_implIS3_PlPS5_jNS1_19radix_merge_compareILb1ELb1ElNS0_19identity_decomposerEEEEE10hipError_tT0_T1_T2_jT3_P12ihipStream_tbPNSt15iterator_traitsISE_E10value_typeEPNSK_ISF_E10value_typeEPSG_NS1_7vsmem_tEENKUlT_SE_SF_SG_E_clIS8_S8_S9_S9_EESD_ST_SE_SF_SG_EUlST_E0_NS1_11comp_targetILNS1_3genE2ELNS1_11target_archE906ELNS1_3gpuE6ELNS1_3repE0EEENS1_38merge_mergepath_config_static_selectorELNS0_4arch9wavefront6targetE0EEEvSF_.uses_flat_scratch, 0
	.set _ZN7rocprim17ROCPRIM_400000_NS6detail17trampoline_kernelINS0_14default_configENS1_38merge_sort_block_merge_config_selectorIlNS0_10empty_typeEEEZZNS1_27merge_sort_block_merge_implIS3_PlPS5_jNS1_19radix_merge_compareILb1ELb1ElNS0_19identity_decomposerEEEEE10hipError_tT0_T1_T2_jT3_P12ihipStream_tbPNSt15iterator_traitsISE_E10value_typeEPNSK_ISF_E10value_typeEPSG_NS1_7vsmem_tEENKUlT_SE_SF_SG_E_clIS8_S8_S9_S9_EESD_ST_SE_SF_SG_EUlST_E0_NS1_11comp_targetILNS1_3genE2ELNS1_11target_archE906ELNS1_3gpuE6ELNS1_3repE0EEENS1_38merge_mergepath_config_static_selectorELNS0_4arch9wavefront6targetE0EEEvSF_.has_dyn_sized_stack, 0
	.set _ZN7rocprim17ROCPRIM_400000_NS6detail17trampoline_kernelINS0_14default_configENS1_38merge_sort_block_merge_config_selectorIlNS0_10empty_typeEEEZZNS1_27merge_sort_block_merge_implIS3_PlPS5_jNS1_19radix_merge_compareILb1ELb1ElNS0_19identity_decomposerEEEEE10hipError_tT0_T1_T2_jT3_P12ihipStream_tbPNSt15iterator_traitsISE_E10value_typeEPNSK_ISF_E10value_typeEPSG_NS1_7vsmem_tEENKUlT_SE_SF_SG_E_clIS8_S8_S9_S9_EESD_ST_SE_SF_SG_EUlST_E0_NS1_11comp_targetILNS1_3genE2ELNS1_11target_archE906ELNS1_3gpuE6ELNS1_3repE0EEENS1_38merge_mergepath_config_static_selectorELNS0_4arch9wavefront6targetE0EEEvSF_.has_recursion, 0
	.set _ZN7rocprim17ROCPRIM_400000_NS6detail17trampoline_kernelINS0_14default_configENS1_38merge_sort_block_merge_config_selectorIlNS0_10empty_typeEEEZZNS1_27merge_sort_block_merge_implIS3_PlPS5_jNS1_19radix_merge_compareILb1ELb1ElNS0_19identity_decomposerEEEEE10hipError_tT0_T1_T2_jT3_P12ihipStream_tbPNSt15iterator_traitsISE_E10value_typeEPNSK_ISF_E10value_typeEPSG_NS1_7vsmem_tEENKUlT_SE_SF_SG_E_clIS8_S8_S9_S9_EESD_ST_SE_SF_SG_EUlST_E0_NS1_11comp_targetILNS1_3genE2ELNS1_11target_archE906ELNS1_3gpuE6ELNS1_3repE0EEENS1_38merge_mergepath_config_static_selectorELNS0_4arch9wavefront6targetE0EEEvSF_.has_indirect_call, 0
	.section	.AMDGPU.csdata,"",@progbits
; Kernel info:
; codeLenInByte = 0
; TotalNumSgprs: 0
; NumVgprs: 0
; ScratchSize: 0
; MemoryBound: 0
; FloatMode: 240
; IeeeMode: 1
; LDSByteSize: 0 bytes/workgroup (compile time only)
; SGPRBlocks: 0
; VGPRBlocks: 0
; NumSGPRsForWavesPerEU: 1
; NumVGPRsForWavesPerEU: 1
; NamedBarCnt: 0
; Occupancy: 16
; WaveLimiterHint : 0
; COMPUTE_PGM_RSRC2:SCRATCH_EN: 0
; COMPUTE_PGM_RSRC2:USER_SGPR: 2
; COMPUTE_PGM_RSRC2:TRAP_HANDLER: 0
; COMPUTE_PGM_RSRC2:TGID_X_EN: 1
; COMPUTE_PGM_RSRC2:TGID_Y_EN: 0
; COMPUTE_PGM_RSRC2:TGID_Z_EN: 0
; COMPUTE_PGM_RSRC2:TIDIG_COMP_CNT: 0
	.section	.text._ZN7rocprim17ROCPRIM_400000_NS6detail17trampoline_kernelINS0_14default_configENS1_38merge_sort_block_merge_config_selectorIlNS0_10empty_typeEEEZZNS1_27merge_sort_block_merge_implIS3_PlPS5_jNS1_19radix_merge_compareILb1ELb1ElNS0_19identity_decomposerEEEEE10hipError_tT0_T1_T2_jT3_P12ihipStream_tbPNSt15iterator_traitsISE_E10value_typeEPNSK_ISF_E10value_typeEPSG_NS1_7vsmem_tEENKUlT_SE_SF_SG_E_clIS8_S8_S9_S9_EESD_ST_SE_SF_SG_EUlST_E0_NS1_11comp_targetILNS1_3genE9ELNS1_11target_archE1100ELNS1_3gpuE3ELNS1_3repE0EEENS1_38merge_mergepath_config_static_selectorELNS0_4arch9wavefront6targetE0EEEvSF_,"axG",@progbits,_ZN7rocprim17ROCPRIM_400000_NS6detail17trampoline_kernelINS0_14default_configENS1_38merge_sort_block_merge_config_selectorIlNS0_10empty_typeEEEZZNS1_27merge_sort_block_merge_implIS3_PlPS5_jNS1_19radix_merge_compareILb1ELb1ElNS0_19identity_decomposerEEEEE10hipError_tT0_T1_T2_jT3_P12ihipStream_tbPNSt15iterator_traitsISE_E10value_typeEPNSK_ISF_E10value_typeEPSG_NS1_7vsmem_tEENKUlT_SE_SF_SG_E_clIS8_S8_S9_S9_EESD_ST_SE_SF_SG_EUlST_E0_NS1_11comp_targetILNS1_3genE9ELNS1_11target_archE1100ELNS1_3gpuE3ELNS1_3repE0EEENS1_38merge_mergepath_config_static_selectorELNS0_4arch9wavefront6targetE0EEEvSF_,comdat
	.protected	_ZN7rocprim17ROCPRIM_400000_NS6detail17trampoline_kernelINS0_14default_configENS1_38merge_sort_block_merge_config_selectorIlNS0_10empty_typeEEEZZNS1_27merge_sort_block_merge_implIS3_PlPS5_jNS1_19radix_merge_compareILb1ELb1ElNS0_19identity_decomposerEEEEE10hipError_tT0_T1_T2_jT3_P12ihipStream_tbPNSt15iterator_traitsISE_E10value_typeEPNSK_ISF_E10value_typeEPSG_NS1_7vsmem_tEENKUlT_SE_SF_SG_E_clIS8_S8_S9_S9_EESD_ST_SE_SF_SG_EUlST_E0_NS1_11comp_targetILNS1_3genE9ELNS1_11target_archE1100ELNS1_3gpuE3ELNS1_3repE0EEENS1_38merge_mergepath_config_static_selectorELNS0_4arch9wavefront6targetE0EEEvSF_ ; -- Begin function _ZN7rocprim17ROCPRIM_400000_NS6detail17trampoline_kernelINS0_14default_configENS1_38merge_sort_block_merge_config_selectorIlNS0_10empty_typeEEEZZNS1_27merge_sort_block_merge_implIS3_PlPS5_jNS1_19radix_merge_compareILb1ELb1ElNS0_19identity_decomposerEEEEE10hipError_tT0_T1_T2_jT3_P12ihipStream_tbPNSt15iterator_traitsISE_E10value_typeEPNSK_ISF_E10value_typeEPSG_NS1_7vsmem_tEENKUlT_SE_SF_SG_E_clIS8_S8_S9_S9_EESD_ST_SE_SF_SG_EUlST_E0_NS1_11comp_targetILNS1_3genE9ELNS1_11target_archE1100ELNS1_3gpuE3ELNS1_3repE0EEENS1_38merge_mergepath_config_static_selectorELNS0_4arch9wavefront6targetE0EEEvSF_
	.globl	_ZN7rocprim17ROCPRIM_400000_NS6detail17trampoline_kernelINS0_14default_configENS1_38merge_sort_block_merge_config_selectorIlNS0_10empty_typeEEEZZNS1_27merge_sort_block_merge_implIS3_PlPS5_jNS1_19radix_merge_compareILb1ELb1ElNS0_19identity_decomposerEEEEE10hipError_tT0_T1_T2_jT3_P12ihipStream_tbPNSt15iterator_traitsISE_E10value_typeEPNSK_ISF_E10value_typeEPSG_NS1_7vsmem_tEENKUlT_SE_SF_SG_E_clIS8_S8_S9_S9_EESD_ST_SE_SF_SG_EUlST_E0_NS1_11comp_targetILNS1_3genE9ELNS1_11target_archE1100ELNS1_3gpuE3ELNS1_3repE0EEENS1_38merge_mergepath_config_static_selectorELNS0_4arch9wavefront6targetE0EEEvSF_
	.p2align	8
	.type	_ZN7rocprim17ROCPRIM_400000_NS6detail17trampoline_kernelINS0_14default_configENS1_38merge_sort_block_merge_config_selectorIlNS0_10empty_typeEEEZZNS1_27merge_sort_block_merge_implIS3_PlPS5_jNS1_19radix_merge_compareILb1ELb1ElNS0_19identity_decomposerEEEEE10hipError_tT0_T1_T2_jT3_P12ihipStream_tbPNSt15iterator_traitsISE_E10value_typeEPNSK_ISF_E10value_typeEPSG_NS1_7vsmem_tEENKUlT_SE_SF_SG_E_clIS8_S8_S9_S9_EESD_ST_SE_SF_SG_EUlST_E0_NS1_11comp_targetILNS1_3genE9ELNS1_11target_archE1100ELNS1_3gpuE3ELNS1_3repE0EEENS1_38merge_mergepath_config_static_selectorELNS0_4arch9wavefront6targetE0EEEvSF_,@function
_ZN7rocprim17ROCPRIM_400000_NS6detail17trampoline_kernelINS0_14default_configENS1_38merge_sort_block_merge_config_selectorIlNS0_10empty_typeEEEZZNS1_27merge_sort_block_merge_implIS3_PlPS5_jNS1_19radix_merge_compareILb1ELb1ElNS0_19identity_decomposerEEEEE10hipError_tT0_T1_T2_jT3_P12ihipStream_tbPNSt15iterator_traitsISE_E10value_typeEPNSK_ISF_E10value_typeEPSG_NS1_7vsmem_tEENKUlT_SE_SF_SG_E_clIS8_S8_S9_S9_EESD_ST_SE_SF_SG_EUlST_E0_NS1_11comp_targetILNS1_3genE9ELNS1_11target_archE1100ELNS1_3gpuE3ELNS1_3repE0EEENS1_38merge_mergepath_config_static_selectorELNS0_4arch9wavefront6targetE0EEEvSF_: ; @_ZN7rocprim17ROCPRIM_400000_NS6detail17trampoline_kernelINS0_14default_configENS1_38merge_sort_block_merge_config_selectorIlNS0_10empty_typeEEEZZNS1_27merge_sort_block_merge_implIS3_PlPS5_jNS1_19radix_merge_compareILb1ELb1ElNS0_19identity_decomposerEEEEE10hipError_tT0_T1_T2_jT3_P12ihipStream_tbPNSt15iterator_traitsISE_E10value_typeEPNSK_ISF_E10value_typeEPSG_NS1_7vsmem_tEENKUlT_SE_SF_SG_E_clIS8_S8_S9_S9_EESD_ST_SE_SF_SG_EUlST_E0_NS1_11comp_targetILNS1_3genE9ELNS1_11target_archE1100ELNS1_3gpuE3ELNS1_3repE0EEENS1_38merge_mergepath_config_static_selectorELNS0_4arch9wavefront6targetE0EEEvSF_
; %bb.0:
	.section	.rodata,"a",@progbits
	.p2align	6, 0x0
	.amdhsa_kernel _ZN7rocprim17ROCPRIM_400000_NS6detail17trampoline_kernelINS0_14default_configENS1_38merge_sort_block_merge_config_selectorIlNS0_10empty_typeEEEZZNS1_27merge_sort_block_merge_implIS3_PlPS5_jNS1_19radix_merge_compareILb1ELb1ElNS0_19identity_decomposerEEEEE10hipError_tT0_T1_T2_jT3_P12ihipStream_tbPNSt15iterator_traitsISE_E10value_typeEPNSK_ISF_E10value_typeEPSG_NS1_7vsmem_tEENKUlT_SE_SF_SG_E_clIS8_S8_S9_S9_EESD_ST_SE_SF_SG_EUlST_E0_NS1_11comp_targetILNS1_3genE9ELNS1_11target_archE1100ELNS1_3gpuE3ELNS1_3repE0EEENS1_38merge_mergepath_config_static_selectorELNS0_4arch9wavefront6targetE0EEEvSF_
		.amdhsa_group_segment_fixed_size 0
		.amdhsa_private_segment_fixed_size 0
		.amdhsa_kernarg_size 72
		.amdhsa_user_sgpr_count 2
		.amdhsa_user_sgpr_dispatch_ptr 0
		.amdhsa_user_sgpr_queue_ptr 0
		.amdhsa_user_sgpr_kernarg_segment_ptr 1
		.amdhsa_user_sgpr_dispatch_id 0
		.amdhsa_user_sgpr_kernarg_preload_length 0
		.amdhsa_user_sgpr_kernarg_preload_offset 0
		.amdhsa_user_sgpr_private_segment_size 0
		.amdhsa_wavefront_size32 1
		.amdhsa_uses_dynamic_stack 0
		.amdhsa_enable_private_segment 0
		.amdhsa_system_sgpr_workgroup_id_x 1
		.amdhsa_system_sgpr_workgroup_id_y 0
		.amdhsa_system_sgpr_workgroup_id_z 0
		.amdhsa_system_sgpr_workgroup_info 0
		.amdhsa_system_vgpr_workitem_id 0
		.amdhsa_next_free_vgpr 1
		.amdhsa_next_free_sgpr 1
		.amdhsa_named_barrier_count 0
		.amdhsa_reserve_vcc 0
		.amdhsa_float_round_mode_32 0
		.amdhsa_float_round_mode_16_64 0
		.amdhsa_float_denorm_mode_32 3
		.amdhsa_float_denorm_mode_16_64 3
		.amdhsa_fp16_overflow 0
		.amdhsa_memory_ordered 1
		.amdhsa_forward_progress 1
		.amdhsa_inst_pref_size 0
		.amdhsa_round_robin_scheduling 0
		.amdhsa_exception_fp_ieee_invalid_op 0
		.amdhsa_exception_fp_denorm_src 0
		.amdhsa_exception_fp_ieee_div_zero 0
		.amdhsa_exception_fp_ieee_overflow 0
		.amdhsa_exception_fp_ieee_underflow 0
		.amdhsa_exception_fp_ieee_inexact 0
		.amdhsa_exception_int_div_zero 0
	.end_amdhsa_kernel
	.section	.text._ZN7rocprim17ROCPRIM_400000_NS6detail17trampoline_kernelINS0_14default_configENS1_38merge_sort_block_merge_config_selectorIlNS0_10empty_typeEEEZZNS1_27merge_sort_block_merge_implIS3_PlPS5_jNS1_19radix_merge_compareILb1ELb1ElNS0_19identity_decomposerEEEEE10hipError_tT0_T1_T2_jT3_P12ihipStream_tbPNSt15iterator_traitsISE_E10value_typeEPNSK_ISF_E10value_typeEPSG_NS1_7vsmem_tEENKUlT_SE_SF_SG_E_clIS8_S8_S9_S9_EESD_ST_SE_SF_SG_EUlST_E0_NS1_11comp_targetILNS1_3genE9ELNS1_11target_archE1100ELNS1_3gpuE3ELNS1_3repE0EEENS1_38merge_mergepath_config_static_selectorELNS0_4arch9wavefront6targetE0EEEvSF_,"axG",@progbits,_ZN7rocprim17ROCPRIM_400000_NS6detail17trampoline_kernelINS0_14default_configENS1_38merge_sort_block_merge_config_selectorIlNS0_10empty_typeEEEZZNS1_27merge_sort_block_merge_implIS3_PlPS5_jNS1_19radix_merge_compareILb1ELb1ElNS0_19identity_decomposerEEEEE10hipError_tT0_T1_T2_jT3_P12ihipStream_tbPNSt15iterator_traitsISE_E10value_typeEPNSK_ISF_E10value_typeEPSG_NS1_7vsmem_tEENKUlT_SE_SF_SG_E_clIS8_S8_S9_S9_EESD_ST_SE_SF_SG_EUlST_E0_NS1_11comp_targetILNS1_3genE9ELNS1_11target_archE1100ELNS1_3gpuE3ELNS1_3repE0EEENS1_38merge_mergepath_config_static_selectorELNS0_4arch9wavefront6targetE0EEEvSF_,comdat
.Lfunc_end1060:
	.size	_ZN7rocprim17ROCPRIM_400000_NS6detail17trampoline_kernelINS0_14default_configENS1_38merge_sort_block_merge_config_selectorIlNS0_10empty_typeEEEZZNS1_27merge_sort_block_merge_implIS3_PlPS5_jNS1_19radix_merge_compareILb1ELb1ElNS0_19identity_decomposerEEEEE10hipError_tT0_T1_T2_jT3_P12ihipStream_tbPNSt15iterator_traitsISE_E10value_typeEPNSK_ISF_E10value_typeEPSG_NS1_7vsmem_tEENKUlT_SE_SF_SG_E_clIS8_S8_S9_S9_EESD_ST_SE_SF_SG_EUlST_E0_NS1_11comp_targetILNS1_3genE9ELNS1_11target_archE1100ELNS1_3gpuE3ELNS1_3repE0EEENS1_38merge_mergepath_config_static_selectorELNS0_4arch9wavefront6targetE0EEEvSF_, .Lfunc_end1060-_ZN7rocprim17ROCPRIM_400000_NS6detail17trampoline_kernelINS0_14default_configENS1_38merge_sort_block_merge_config_selectorIlNS0_10empty_typeEEEZZNS1_27merge_sort_block_merge_implIS3_PlPS5_jNS1_19radix_merge_compareILb1ELb1ElNS0_19identity_decomposerEEEEE10hipError_tT0_T1_T2_jT3_P12ihipStream_tbPNSt15iterator_traitsISE_E10value_typeEPNSK_ISF_E10value_typeEPSG_NS1_7vsmem_tEENKUlT_SE_SF_SG_E_clIS8_S8_S9_S9_EESD_ST_SE_SF_SG_EUlST_E0_NS1_11comp_targetILNS1_3genE9ELNS1_11target_archE1100ELNS1_3gpuE3ELNS1_3repE0EEENS1_38merge_mergepath_config_static_selectorELNS0_4arch9wavefront6targetE0EEEvSF_
                                        ; -- End function
	.set _ZN7rocprim17ROCPRIM_400000_NS6detail17trampoline_kernelINS0_14default_configENS1_38merge_sort_block_merge_config_selectorIlNS0_10empty_typeEEEZZNS1_27merge_sort_block_merge_implIS3_PlPS5_jNS1_19radix_merge_compareILb1ELb1ElNS0_19identity_decomposerEEEEE10hipError_tT0_T1_T2_jT3_P12ihipStream_tbPNSt15iterator_traitsISE_E10value_typeEPNSK_ISF_E10value_typeEPSG_NS1_7vsmem_tEENKUlT_SE_SF_SG_E_clIS8_S8_S9_S9_EESD_ST_SE_SF_SG_EUlST_E0_NS1_11comp_targetILNS1_3genE9ELNS1_11target_archE1100ELNS1_3gpuE3ELNS1_3repE0EEENS1_38merge_mergepath_config_static_selectorELNS0_4arch9wavefront6targetE0EEEvSF_.num_vgpr, 0
	.set _ZN7rocprim17ROCPRIM_400000_NS6detail17trampoline_kernelINS0_14default_configENS1_38merge_sort_block_merge_config_selectorIlNS0_10empty_typeEEEZZNS1_27merge_sort_block_merge_implIS3_PlPS5_jNS1_19radix_merge_compareILb1ELb1ElNS0_19identity_decomposerEEEEE10hipError_tT0_T1_T2_jT3_P12ihipStream_tbPNSt15iterator_traitsISE_E10value_typeEPNSK_ISF_E10value_typeEPSG_NS1_7vsmem_tEENKUlT_SE_SF_SG_E_clIS8_S8_S9_S9_EESD_ST_SE_SF_SG_EUlST_E0_NS1_11comp_targetILNS1_3genE9ELNS1_11target_archE1100ELNS1_3gpuE3ELNS1_3repE0EEENS1_38merge_mergepath_config_static_selectorELNS0_4arch9wavefront6targetE0EEEvSF_.num_agpr, 0
	.set _ZN7rocprim17ROCPRIM_400000_NS6detail17trampoline_kernelINS0_14default_configENS1_38merge_sort_block_merge_config_selectorIlNS0_10empty_typeEEEZZNS1_27merge_sort_block_merge_implIS3_PlPS5_jNS1_19radix_merge_compareILb1ELb1ElNS0_19identity_decomposerEEEEE10hipError_tT0_T1_T2_jT3_P12ihipStream_tbPNSt15iterator_traitsISE_E10value_typeEPNSK_ISF_E10value_typeEPSG_NS1_7vsmem_tEENKUlT_SE_SF_SG_E_clIS8_S8_S9_S9_EESD_ST_SE_SF_SG_EUlST_E0_NS1_11comp_targetILNS1_3genE9ELNS1_11target_archE1100ELNS1_3gpuE3ELNS1_3repE0EEENS1_38merge_mergepath_config_static_selectorELNS0_4arch9wavefront6targetE0EEEvSF_.numbered_sgpr, 0
	.set _ZN7rocprim17ROCPRIM_400000_NS6detail17trampoline_kernelINS0_14default_configENS1_38merge_sort_block_merge_config_selectorIlNS0_10empty_typeEEEZZNS1_27merge_sort_block_merge_implIS3_PlPS5_jNS1_19radix_merge_compareILb1ELb1ElNS0_19identity_decomposerEEEEE10hipError_tT0_T1_T2_jT3_P12ihipStream_tbPNSt15iterator_traitsISE_E10value_typeEPNSK_ISF_E10value_typeEPSG_NS1_7vsmem_tEENKUlT_SE_SF_SG_E_clIS8_S8_S9_S9_EESD_ST_SE_SF_SG_EUlST_E0_NS1_11comp_targetILNS1_3genE9ELNS1_11target_archE1100ELNS1_3gpuE3ELNS1_3repE0EEENS1_38merge_mergepath_config_static_selectorELNS0_4arch9wavefront6targetE0EEEvSF_.num_named_barrier, 0
	.set _ZN7rocprim17ROCPRIM_400000_NS6detail17trampoline_kernelINS0_14default_configENS1_38merge_sort_block_merge_config_selectorIlNS0_10empty_typeEEEZZNS1_27merge_sort_block_merge_implIS3_PlPS5_jNS1_19radix_merge_compareILb1ELb1ElNS0_19identity_decomposerEEEEE10hipError_tT0_T1_T2_jT3_P12ihipStream_tbPNSt15iterator_traitsISE_E10value_typeEPNSK_ISF_E10value_typeEPSG_NS1_7vsmem_tEENKUlT_SE_SF_SG_E_clIS8_S8_S9_S9_EESD_ST_SE_SF_SG_EUlST_E0_NS1_11comp_targetILNS1_3genE9ELNS1_11target_archE1100ELNS1_3gpuE3ELNS1_3repE0EEENS1_38merge_mergepath_config_static_selectorELNS0_4arch9wavefront6targetE0EEEvSF_.private_seg_size, 0
	.set _ZN7rocprim17ROCPRIM_400000_NS6detail17trampoline_kernelINS0_14default_configENS1_38merge_sort_block_merge_config_selectorIlNS0_10empty_typeEEEZZNS1_27merge_sort_block_merge_implIS3_PlPS5_jNS1_19radix_merge_compareILb1ELb1ElNS0_19identity_decomposerEEEEE10hipError_tT0_T1_T2_jT3_P12ihipStream_tbPNSt15iterator_traitsISE_E10value_typeEPNSK_ISF_E10value_typeEPSG_NS1_7vsmem_tEENKUlT_SE_SF_SG_E_clIS8_S8_S9_S9_EESD_ST_SE_SF_SG_EUlST_E0_NS1_11comp_targetILNS1_3genE9ELNS1_11target_archE1100ELNS1_3gpuE3ELNS1_3repE0EEENS1_38merge_mergepath_config_static_selectorELNS0_4arch9wavefront6targetE0EEEvSF_.uses_vcc, 0
	.set _ZN7rocprim17ROCPRIM_400000_NS6detail17trampoline_kernelINS0_14default_configENS1_38merge_sort_block_merge_config_selectorIlNS0_10empty_typeEEEZZNS1_27merge_sort_block_merge_implIS3_PlPS5_jNS1_19radix_merge_compareILb1ELb1ElNS0_19identity_decomposerEEEEE10hipError_tT0_T1_T2_jT3_P12ihipStream_tbPNSt15iterator_traitsISE_E10value_typeEPNSK_ISF_E10value_typeEPSG_NS1_7vsmem_tEENKUlT_SE_SF_SG_E_clIS8_S8_S9_S9_EESD_ST_SE_SF_SG_EUlST_E0_NS1_11comp_targetILNS1_3genE9ELNS1_11target_archE1100ELNS1_3gpuE3ELNS1_3repE0EEENS1_38merge_mergepath_config_static_selectorELNS0_4arch9wavefront6targetE0EEEvSF_.uses_flat_scratch, 0
	.set _ZN7rocprim17ROCPRIM_400000_NS6detail17trampoline_kernelINS0_14default_configENS1_38merge_sort_block_merge_config_selectorIlNS0_10empty_typeEEEZZNS1_27merge_sort_block_merge_implIS3_PlPS5_jNS1_19radix_merge_compareILb1ELb1ElNS0_19identity_decomposerEEEEE10hipError_tT0_T1_T2_jT3_P12ihipStream_tbPNSt15iterator_traitsISE_E10value_typeEPNSK_ISF_E10value_typeEPSG_NS1_7vsmem_tEENKUlT_SE_SF_SG_E_clIS8_S8_S9_S9_EESD_ST_SE_SF_SG_EUlST_E0_NS1_11comp_targetILNS1_3genE9ELNS1_11target_archE1100ELNS1_3gpuE3ELNS1_3repE0EEENS1_38merge_mergepath_config_static_selectorELNS0_4arch9wavefront6targetE0EEEvSF_.has_dyn_sized_stack, 0
	.set _ZN7rocprim17ROCPRIM_400000_NS6detail17trampoline_kernelINS0_14default_configENS1_38merge_sort_block_merge_config_selectorIlNS0_10empty_typeEEEZZNS1_27merge_sort_block_merge_implIS3_PlPS5_jNS1_19radix_merge_compareILb1ELb1ElNS0_19identity_decomposerEEEEE10hipError_tT0_T1_T2_jT3_P12ihipStream_tbPNSt15iterator_traitsISE_E10value_typeEPNSK_ISF_E10value_typeEPSG_NS1_7vsmem_tEENKUlT_SE_SF_SG_E_clIS8_S8_S9_S9_EESD_ST_SE_SF_SG_EUlST_E0_NS1_11comp_targetILNS1_3genE9ELNS1_11target_archE1100ELNS1_3gpuE3ELNS1_3repE0EEENS1_38merge_mergepath_config_static_selectorELNS0_4arch9wavefront6targetE0EEEvSF_.has_recursion, 0
	.set _ZN7rocprim17ROCPRIM_400000_NS6detail17trampoline_kernelINS0_14default_configENS1_38merge_sort_block_merge_config_selectorIlNS0_10empty_typeEEEZZNS1_27merge_sort_block_merge_implIS3_PlPS5_jNS1_19radix_merge_compareILb1ELb1ElNS0_19identity_decomposerEEEEE10hipError_tT0_T1_T2_jT3_P12ihipStream_tbPNSt15iterator_traitsISE_E10value_typeEPNSK_ISF_E10value_typeEPSG_NS1_7vsmem_tEENKUlT_SE_SF_SG_E_clIS8_S8_S9_S9_EESD_ST_SE_SF_SG_EUlST_E0_NS1_11comp_targetILNS1_3genE9ELNS1_11target_archE1100ELNS1_3gpuE3ELNS1_3repE0EEENS1_38merge_mergepath_config_static_selectorELNS0_4arch9wavefront6targetE0EEEvSF_.has_indirect_call, 0
	.section	.AMDGPU.csdata,"",@progbits
; Kernel info:
; codeLenInByte = 0
; TotalNumSgprs: 0
; NumVgprs: 0
; ScratchSize: 0
; MemoryBound: 0
; FloatMode: 240
; IeeeMode: 1
; LDSByteSize: 0 bytes/workgroup (compile time only)
; SGPRBlocks: 0
; VGPRBlocks: 0
; NumSGPRsForWavesPerEU: 1
; NumVGPRsForWavesPerEU: 1
; NamedBarCnt: 0
; Occupancy: 16
; WaveLimiterHint : 0
; COMPUTE_PGM_RSRC2:SCRATCH_EN: 0
; COMPUTE_PGM_RSRC2:USER_SGPR: 2
; COMPUTE_PGM_RSRC2:TRAP_HANDLER: 0
; COMPUTE_PGM_RSRC2:TGID_X_EN: 1
; COMPUTE_PGM_RSRC2:TGID_Y_EN: 0
; COMPUTE_PGM_RSRC2:TGID_Z_EN: 0
; COMPUTE_PGM_RSRC2:TIDIG_COMP_CNT: 0
	.section	.text._ZN7rocprim17ROCPRIM_400000_NS6detail17trampoline_kernelINS0_14default_configENS1_38merge_sort_block_merge_config_selectorIlNS0_10empty_typeEEEZZNS1_27merge_sort_block_merge_implIS3_PlPS5_jNS1_19radix_merge_compareILb1ELb1ElNS0_19identity_decomposerEEEEE10hipError_tT0_T1_T2_jT3_P12ihipStream_tbPNSt15iterator_traitsISE_E10value_typeEPNSK_ISF_E10value_typeEPSG_NS1_7vsmem_tEENKUlT_SE_SF_SG_E_clIS8_S8_S9_S9_EESD_ST_SE_SF_SG_EUlST_E0_NS1_11comp_targetILNS1_3genE8ELNS1_11target_archE1030ELNS1_3gpuE2ELNS1_3repE0EEENS1_38merge_mergepath_config_static_selectorELNS0_4arch9wavefront6targetE0EEEvSF_,"axG",@progbits,_ZN7rocprim17ROCPRIM_400000_NS6detail17trampoline_kernelINS0_14default_configENS1_38merge_sort_block_merge_config_selectorIlNS0_10empty_typeEEEZZNS1_27merge_sort_block_merge_implIS3_PlPS5_jNS1_19radix_merge_compareILb1ELb1ElNS0_19identity_decomposerEEEEE10hipError_tT0_T1_T2_jT3_P12ihipStream_tbPNSt15iterator_traitsISE_E10value_typeEPNSK_ISF_E10value_typeEPSG_NS1_7vsmem_tEENKUlT_SE_SF_SG_E_clIS8_S8_S9_S9_EESD_ST_SE_SF_SG_EUlST_E0_NS1_11comp_targetILNS1_3genE8ELNS1_11target_archE1030ELNS1_3gpuE2ELNS1_3repE0EEENS1_38merge_mergepath_config_static_selectorELNS0_4arch9wavefront6targetE0EEEvSF_,comdat
	.protected	_ZN7rocprim17ROCPRIM_400000_NS6detail17trampoline_kernelINS0_14default_configENS1_38merge_sort_block_merge_config_selectorIlNS0_10empty_typeEEEZZNS1_27merge_sort_block_merge_implIS3_PlPS5_jNS1_19radix_merge_compareILb1ELb1ElNS0_19identity_decomposerEEEEE10hipError_tT0_T1_T2_jT3_P12ihipStream_tbPNSt15iterator_traitsISE_E10value_typeEPNSK_ISF_E10value_typeEPSG_NS1_7vsmem_tEENKUlT_SE_SF_SG_E_clIS8_S8_S9_S9_EESD_ST_SE_SF_SG_EUlST_E0_NS1_11comp_targetILNS1_3genE8ELNS1_11target_archE1030ELNS1_3gpuE2ELNS1_3repE0EEENS1_38merge_mergepath_config_static_selectorELNS0_4arch9wavefront6targetE0EEEvSF_ ; -- Begin function _ZN7rocprim17ROCPRIM_400000_NS6detail17trampoline_kernelINS0_14default_configENS1_38merge_sort_block_merge_config_selectorIlNS0_10empty_typeEEEZZNS1_27merge_sort_block_merge_implIS3_PlPS5_jNS1_19radix_merge_compareILb1ELb1ElNS0_19identity_decomposerEEEEE10hipError_tT0_T1_T2_jT3_P12ihipStream_tbPNSt15iterator_traitsISE_E10value_typeEPNSK_ISF_E10value_typeEPSG_NS1_7vsmem_tEENKUlT_SE_SF_SG_E_clIS8_S8_S9_S9_EESD_ST_SE_SF_SG_EUlST_E0_NS1_11comp_targetILNS1_3genE8ELNS1_11target_archE1030ELNS1_3gpuE2ELNS1_3repE0EEENS1_38merge_mergepath_config_static_selectorELNS0_4arch9wavefront6targetE0EEEvSF_
	.globl	_ZN7rocprim17ROCPRIM_400000_NS6detail17trampoline_kernelINS0_14default_configENS1_38merge_sort_block_merge_config_selectorIlNS0_10empty_typeEEEZZNS1_27merge_sort_block_merge_implIS3_PlPS5_jNS1_19radix_merge_compareILb1ELb1ElNS0_19identity_decomposerEEEEE10hipError_tT0_T1_T2_jT3_P12ihipStream_tbPNSt15iterator_traitsISE_E10value_typeEPNSK_ISF_E10value_typeEPSG_NS1_7vsmem_tEENKUlT_SE_SF_SG_E_clIS8_S8_S9_S9_EESD_ST_SE_SF_SG_EUlST_E0_NS1_11comp_targetILNS1_3genE8ELNS1_11target_archE1030ELNS1_3gpuE2ELNS1_3repE0EEENS1_38merge_mergepath_config_static_selectorELNS0_4arch9wavefront6targetE0EEEvSF_
	.p2align	8
	.type	_ZN7rocprim17ROCPRIM_400000_NS6detail17trampoline_kernelINS0_14default_configENS1_38merge_sort_block_merge_config_selectorIlNS0_10empty_typeEEEZZNS1_27merge_sort_block_merge_implIS3_PlPS5_jNS1_19radix_merge_compareILb1ELb1ElNS0_19identity_decomposerEEEEE10hipError_tT0_T1_T2_jT3_P12ihipStream_tbPNSt15iterator_traitsISE_E10value_typeEPNSK_ISF_E10value_typeEPSG_NS1_7vsmem_tEENKUlT_SE_SF_SG_E_clIS8_S8_S9_S9_EESD_ST_SE_SF_SG_EUlST_E0_NS1_11comp_targetILNS1_3genE8ELNS1_11target_archE1030ELNS1_3gpuE2ELNS1_3repE0EEENS1_38merge_mergepath_config_static_selectorELNS0_4arch9wavefront6targetE0EEEvSF_,@function
_ZN7rocprim17ROCPRIM_400000_NS6detail17trampoline_kernelINS0_14default_configENS1_38merge_sort_block_merge_config_selectorIlNS0_10empty_typeEEEZZNS1_27merge_sort_block_merge_implIS3_PlPS5_jNS1_19radix_merge_compareILb1ELb1ElNS0_19identity_decomposerEEEEE10hipError_tT0_T1_T2_jT3_P12ihipStream_tbPNSt15iterator_traitsISE_E10value_typeEPNSK_ISF_E10value_typeEPSG_NS1_7vsmem_tEENKUlT_SE_SF_SG_E_clIS8_S8_S9_S9_EESD_ST_SE_SF_SG_EUlST_E0_NS1_11comp_targetILNS1_3genE8ELNS1_11target_archE1030ELNS1_3gpuE2ELNS1_3repE0EEENS1_38merge_mergepath_config_static_selectorELNS0_4arch9wavefront6targetE0EEEvSF_: ; @_ZN7rocprim17ROCPRIM_400000_NS6detail17trampoline_kernelINS0_14default_configENS1_38merge_sort_block_merge_config_selectorIlNS0_10empty_typeEEEZZNS1_27merge_sort_block_merge_implIS3_PlPS5_jNS1_19radix_merge_compareILb1ELb1ElNS0_19identity_decomposerEEEEE10hipError_tT0_T1_T2_jT3_P12ihipStream_tbPNSt15iterator_traitsISE_E10value_typeEPNSK_ISF_E10value_typeEPSG_NS1_7vsmem_tEENKUlT_SE_SF_SG_E_clIS8_S8_S9_S9_EESD_ST_SE_SF_SG_EUlST_E0_NS1_11comp_targetILNS1_3genE8ELNS1_11target_archE1030ELNS1_3gpuE2ELNS1_3repE0EEENS1_38merge_mergepath_config_static_selectorELNS0_4arch9wavefront6targetE0EEEvSF_
; %bb.0:
	.section	.rodata,"a",@progbits
	.p2align	6, 0x0
	.amdhsa_kernel _ZN7rocprim17ROCPRIM_400000_NS6detail17trampoline_kernelINS0_14default_configENS1_38merge_sort_block_merge_config_selectorIlNS0_10empty_typeEEEZZNS1_27merge_sort_block_merge_implIS3_PlPS5_jNS1_19radix_merge_compareILb1ELb1ElNS0_19identity_decomposerEEEEE10hipError_tT0_T1_T2_jT3_P12ihipStream_tbPNSt15iterator_traitsISE_E10value_typeEPNSK_ISF_E10value_typeEPSG_NS1_7vsmem_tEENKUlT_SE_SF_SG_E_clIS8_S8_S9_S9_EESD_ST_SE_SF_SG_EUlST_E0_NS1_11comp_targetILNS1_3genE8ELNS1_11target_archE1030ELNS1_3gpuE2ELNS1_3repE0EEENS1_38merge_mergepath_config_static_selectorELNS0_4arch9wavefront6targetE0EEEvSF_
		.amdhsa_group_segment_fixed_size 0
		.amdhsa_private_segment_fixed_size 0
		.amdhsa_kernarg_size 72
		.amdhsa_user_sgpr_count 2
		.amdhsa_user_sgpr_dispatch_ptr 0
		.amdhsa_user_sgpr_queue_ptr 0
		.amdhsa_user_sgpr_kernarg_segment_ptr 1
		.amdhsa_user_sgpr_dispatch_id 0
		.amdhsa_user_sgpr_kernarg_preload_length 0
		.amdhsa_user_sgpr_kernarg_preload_offset 0
		.amdhsa_user_sgpr_private_segment_size 0
		.amdhsa_wavefront_size32 1
		.amdhsa_uses_dynamic_stack 0
		.amdhsa_enable_private_segment 0
		.amdhsa_system_sgpr_workgroup_id_x 1
		.amdhsa_system_sgpr_workgroup_id_y 0
		.amdhsa_system_sgpr_workgroup_id_z 0
		.amdhsa_system_sgpr_workgroup_info 0
		.amdhsa_system_vgpr_workitem_id 0
		.amdhsa_next_free_vgpr 1
		.amdhsa_next_free_sgpr 1
		.amdhsa_named_barrier_count 0
		.amdhsa_reserve_vcc 0
		.amdhsa_float_round_mode_32 0
		.amdhsa_float_round_mode_16_64 0
		.amdhsa_float_denorm_mode_32 3
		.amdhsa_float_denorm_mode_16_64 3
		.amdhsa_fp16_overflow 0
		.amdhsa_memory_ordered 1
		.amdhsa_forward_progress 1
		.amdhsa_inst_pref_size 0
		.amdhsa_round_robin_scheduling 0
		.amdhsa_exception_fp_ieee_invalid_op 0
		.amdhsa_exception_fp_denorm_src 0
		.amdhsa_exception_fp_ieee_div_zero 0
		.amdhsa_exception_fp_ieee_overflow 0
		.amdhsa_exception_fp_ieee_underflow 0
		.amdhsa_exception_fp_ieee_inexact 0
		.amdhsa_exception_int_div_zero 0
	.end_amdhsa_kernel
	.section	.text._ZN7rocprim17ROCPRIM_400000_NS6detail17trampoline_kernelINS0_14default_configENS1_38merge_sort_block_merge_config_selectorIlNS0_10empty_typeEEEZZNS1_27merge_sort_block_merge_implIS3_PlPS5_jNS1_19radix_merge_compareILb1ELb1ElNS0_19identity_decomposerEEEEE10hipError_tT0_T1_T2_jT3_P12ihipStream_tbPNSt15iterator_traitsISE_E10value_typeEPNSK_ISF_E10value_typeEPSG_NS1_7vsmem_tEENKUlT_SE_SF_SG_E_clIS8_S8_S9_S9_EESD_ST_SE_SF_SG_EUlST_E0_NS1_11comp_targetILNS1_3genE8ELNS1_11target_archE1030ELNS1_3gpuE2ELNS1_3repE0EEENS1_38merge_mergepath_config_static_selectorELNS0_4arch9wavefront6targetE0EEEvSF_,"axG",@progbits,_ZN7rocprim17ROCPRIM_400000_NS6detail17trampoline_kernelINS0_14default_configENS1_38merge_sort_block_merge_config_selectorIlNS0_10empty_typeEEEZZNS1_27merge_sort_block_merge_implIS3_PlPS5_jNS1_19radix_merge_compareILb1ELb1ElNS0_19identity_decomposerEEEEE10hipError_tT0_T1_T2_jT3_P12ihipStream_tbPNSt15iterator_traitsISE_E10value_typeEPNSK_ISF_E10value_typeEPSG_NS1_7vsmem_tEENKUlT_SE_SF_SG_E_clIS8_S8_S9_S9_EESD_ST_SE_SF_SG_EUlST_E0_NS1_11comp_targetILNS1_3genE8ELNS1_11target_archE1030ELNS1_3gpuE2ELNS1_3repE0EEENS1_38merge_mergepath_config_static_selectorELNS0_4arch9wavefront6targetE0EEEvSF_,comdat
.Lfunc_end1061:
	.size	_ZN7rocprim17ROCPRIM_400000_NS6detail17trampoline_kernelINS0_14default_configENS1_38merge_sort_block_merge_config_selectorIlNS0_10empty_typeEEEZZNS1_27merge_sort_block_merge_implIS3_PlPS5_jNS1_19radix_merge_compareILb1ELb1ElNS0_19identity_decomposerEEEEE10hipError_tT0_T1_T2_jT3_P12ihipStream_tbPNSt15iterator_traitsISE_E10value_typeEPNSK_ISF_E10value_typeEPSG_NS1_7vsmem_tEENKUlT_SE_SF_SG_E_clIS8_S8_S9_S9_EESD_ST_SE_SF_SG_EUlST_E0_NS1_11comp_targetILNS1_3genE8ELNS1_11target_archE1030ELNS1_3gpuE2ELNS1_3repE0EEENS1_38merge_mergepath_config_static_selectorELNS0_4arch9wavefront6targetE0EEEvSF_, .Lfunc_end1061-_ZN7rocprim17ROCPRIM_400000_NS6detail17trampoline_kernelINS0_14default_configENS1_38merge_sort_block_merge_config_selectorIlNS0_10empty_typeEEEZZNS1_27merge_sort_block_merge_implIS3_PlPS5_jNS1_19radix_merge_compareILb1ELb1ElNS0_19identity_decomposerEEEEE10hipError_tT0_T1_T2_jT3_P12ihipStream_tbPNSt15iterator_traitsISE_E10value_typeEPNSK_ISF_E10value_typeEPSG_NS1_7vsmem_tEENKUlT_SE_SF_SG_E_clIS8_S8_S9_S9_EESD_ST_SE_SF_SG_EUlST_E0_NS1_11comp_targetILNS1_3genE8ELNS1_11target_archE1030ELNS1_3gpuE2ELNS1_3repE0EEENS1_38merge_mergepath_config_static_selectorELNS0_4arch9wavefront6targetE0EEEvSF_
                                        ; -- End function
	.set _ZN7rocprim17ROCPRIM_400000_NS6detail17trampoline_kernelINS0_14default_configENS1_38merge_sort_block_merge_config_selectorIlNS0_10empty_typeEEEZZNS1_27merge_sort_block_merge_implIS3_PlPS5_jNS1_19radix_merge_compareILb1ELb1ElNS0_19identity_decomposerEEEEE10hipError_tT0_T1_T2_jT3_P12ihipStream_tbPNSt15iterator_traitsISE_E10value_typeEPNSK_ISF_E10value_typeEPSG_NS1_7vsmem_tEENKUlT_SE_SF_SG_E_clIS8_S8_S9_S9_EESD_ST_SE_SF_SG_EUlST_E0_NS1_11comp_targetILNS1_3genE8ELNS1_11target_archE1030ELNS1_3gpuE2ELNS1_3repE0EEENS1_38merge_mergepath_config_static_selectorELNS0_4arch9wavefront6targetE0EEEvSF_.num_vgpr, 0
	.set _ZN7rocprim17ROCPRIM_400000_NS6detail17trampoline_kernelINS0_14default_configENS1_38merge_sort_block_merge_config_selectorIlNS0_10empty_typeEEEZZNS1_27merge_sort_block_merge_implIS3_PlPS5_jNS1_19radix_merge_compareILb1ELb1ElNS0_19identity_decomposerEEEEE10hipError_tT0_T1_T2_jT3_P12ihipStream_tbPNSt15iterator_traitsISE_E10value_typeEPNSK_ISF_E10value_typeEPSG_NS1_7vsmem_tEENKUlT_SE_SF_SG_E_clIS8_S8_S9_S9_EESD_ST_SE_SF_SG_EUlST_E0_NS1_11comp_targetILNS1_3genE8ELNS1_11target_archE1030ELNS1_3gpuE2ELNS1_3repE0EEENS1_38merge_mergepath_config_static_selectorELNS0_4arch9wavefront6targetE0EEEvSF_.num_agpr, 0
	.set _ZN7rocprim17ROCPRIM_400000_NS6detail17trampoline_kernelINS0_14default_configENS1_38merge_sort_block_merge_config_selectorIlNS0_10empty_typeEEEZZNS1_27merge_sort_block_merge_implIS3_PlPS5_jNS1_19radix_merge_compareILb1ELb1ElNS0_19identity_decomposerEEEEE10hipError_tT0_T1_T2_jT3_P12ihipStream_tbPNSt15iterator_traitsISE_E10value_typeEPNSK_ISF_E10value_typeEPSG_NS1_7vsmem_tEENKUlT_SE_SF_SG_E_clIS8_S8_S9_S9_EESD_ST_SE_SF_SG_EUlST_E0_NS1_11comp_targetILNS1_3genE8ELNS1_11target_archE1030ELNS1_3gpuE2ELNS1_3repE0EEENS1_38merge_mergepath_config_static_selectorELNS0_4arch9wavefront6targetE0EEEvSF_.numbered_sgpr, 0
	.set _ZN7rocprim17ROCPRIM_400000_NS6detail17trampoline_kernelINS0_14default_configENS1_38merge_sort_block_merge_config_selectorIlNS0_10empty_typeEEEZZNS1_27merge_sort_block_merge_implIS3_PlPS5_jNS1_19radix_merge_compareILb1ELb1ElNS0_19identity_decomposerEEEEE10hipError_tT0_T1_T2_jT3_P12ihipStream_tbPNSt15iterator_traitsISE_E10value_typeEPNSK_ISF_E10value_typeEPSG_NS1_7vsmem_tEENKUlT_SE_SF_SG_E_clIS8_S8_S9_S9_EESD_ST_SE_SF_SG_EUlST_E0_NS1_11comp_targetILNS1_3genE8ELNS1_11target_archE1030ELNS1_3gpuE2ELNS1_3repE0EEENS1_38merge_mergepath_config_static_selectorELNS0_4arch9wavefront6targetE0EEEvSF_.num_named_barrier, 0
	.set _ZN7rocprim17ROCPRIM_400000_NS6detail17trampoline_kernelINS0_14default_configENS1_38merge_sort_block_merge_config_selectorIlNS0_10empty_typeEEEZZNS1_27merge_sort_block_merge_implIS3_PlPS5_jNS1_19radix_merge_compareILb1ELb1ElNS0_19identity_decomposerEEEEE10hipError_tT0_T1_T2_jT3_P12ihipStream_tbPNSt15iterator_traitsISE_E10value_typeEPNSK_ISF_E10value_typeEPSG_NS1_7vsmem_tEENKUlT_SE_SF_SG_E_clIS8_S8_S9_S9_EESD_ST_SE_SF_SG_EUlST_E0_NS1_11comp_targetILNS1_3genE8ELNS1_11target_archE1030ELNS1_3gpuE2ELNS1_3repE0EEENS1_38merge_mergepath_config_static_selectorELNS0_4arch9wavefront6targetE0EEEvSF_.private_seg_size, 0
	.set _ZN7rocprim17ROCPRIM_400000_NS6detail17trampoline_kernelINS0_14default_configENS1_38merge_sort_block_merge_config_selectorIlNS0_10empty_typeEEEZZNS1_27merge_sort_block_merge_implIS3_PlPS5_jNS1_19radix_merge_compareILb1ELb1ElNS0_19identity_decomposerEEEEE10hipError_tT0_T1_T2_jT3_P12ihipStream_tbPNSt15iterator_traitsISE_E10value_typeEPNSK_ISF_E10value_typeEPSG_NS1_7vsmem_tEENKUlT_SE_SF_SG_E_clIS8_S8_S9_S9_EESD_ST_SE_SF_SG_EUlST_E0_NS1_11comp_targetILNS1_3genE8ELNS1_11target_archE1030ELNS1_3gpuE2ELNS1_3repE0EEENS1_38merge_mergepath_config_static_selectorELNS0_4arch9wavefront6targetE0EEEvSF_.uses_vcc, 0
	.set _ZN7rocprim17ROCPRIM_400000_NS6detail17trampoline_kernelINS0_14default_configENS1_38merge_sort_block_merge_config_selectorIlNS0_10empty_typeEEEZZNS1_27merge_sort_block_merge_implIS3_PlPS5_jNS1_19radix_merge_compareILb1ELb1ElNS0_19identity_decomposerEEEEE10hipError_tT0_T1_T2_jT3_P12ihipStream_tbPNSt15iterator_traitsISE_E10value_typeEPNSK_ISF_E10value_typeEPSG_NS1_7vsmem_tEENKUlT_SE_SF_SG_E_clIS8_S8_S9_S9_EESD_ST_SE_SF_SG_EUlST_E0_NS1_11comp_targetILNS1_3genE8ELNS1_11target_archE1030ELNS1_3gpuE2ELNS1_3repE0EEENS1_38merge_mergepath_config_static_selectorELNS0_4arch9wavefront6targetE0EEEvSF_.uses_flat_scratch, 0
	.set _ZN7rocprim17ROCPRIM_400000_NS6detail17trampoline_kernelINS0_14default_configENS1_38merge_sort_block_merge_config_selectorIlNS0_10empty_typeEEEZZNS1_27merge_sort_block_merge_implIS3_PlPS5_jNS1_19radix_merge_compareILb1ELb1ElNS0_19identity_decomposerEEEEE10hipError_tT0_T1_T2_jT3_P12ihipStream_tbPNSt15iterator_traitsISE_E10value_typeEPNSK_ISF_E10value_typeEPSG_NS1_7vsmem_tEENKUlT_SE_SF_SG_E_clIS8_S8_S9_S9_EESD_ST_SE_SF_SG_EUlST_E0_NS1_11comp_targetILNS1_3genE8ELNS1_11target_archE1030ELNS1_3gpuE2ELNS1_3repE0EEENS1_38merge_mergepath_config_static_selectorELNS0_4arch9wavefront6targetE0EEEvSF_.has_dyn_sized_stack, 0
	.set _ZN7rocprim17ROCPRIM_400000_NS6detail17trampoline_kernelINS0_14default_configENS1_38merge_sort_block_merge_config_selectorIlNS0_10empty_typeEEEZZNS1_27merge_sort_block_merge_implIS3_PlPS5_jNS1_19radix_merge_compareILb1ELb1ElNS0_19identity_decomposerEEEEE10hipError_tT0_T1_T2_jT3_P12ihipStream_tbPNSt15iterator_traitsISE_E10value_typeEPNSK_ISF_E10value_typeEPSG_NS1_7vsmem_tEENKUlT_SE_SF_SG_E_clIS8_S8_S9_S9_EESD_ST_SE_SF_SG_EUlST_E0_NS1_11comp_targetILNS1_3genE8ELNS1_11target_archE1030ELNS1_3gpuE2ELNS1_3repE0EEENS1_38merge_mergepath_config_static_selectorELNS0_4arch9wavefront6targetE0EEEvSF_.has_recursion, 0
	.set _ZN7rocprim17ROCPRIM_400000_NS6detail17trampoline_kernelINS0_14default_configENS1_38merge_sort_block_merge_config_selectorIlNS0_10empty_typeEEEZZNS1_27merge_sort_block_merge_implIS3_PlPS5_jNS1_19radix_merge_compareILb1ELb1ElNS0_19identity_decomposerEEEEE10hipError_tT0_T1_T2_jT3_P12ihipStream_tbPNSt15iterator_traitsISE_E10value_typeEPNSK_ISF_E10value_typeEPSG_NS1_7vsmem_tEENKUlT_SE_SF_SG_E_clIS8_S8_S9_S9_EESD_ST_SE_SF_SG_EUlST_E0_NS1_11comp_targetILNS1_3genE8ELNS1_11target_archE1030ELNS1_3gpuE2ELNS1_3repE0EEENS1_38merge_mergepath_config_static_selectorELNS0_4arch9wavefront6targetE0EEEvSF_.has_indirect_call, 0
	.section	.AMDGPU.csdata,"",@progbits
; Kernel info:
; codeLenInByte = 0
; TotalNumSgprs: 0
; NumVgprs: 0
; ScratchSize: 0
; MemoryBound: 0
; FloatMode: 240
; IeeeMode: 1
; LDSByteSize: 0 bytes/workgroup (compile time only)
; SGPRBlocks: 0
; VGPRBlocks: 0
; NumSGPRsForWavesPerEU: 1
; NumVGPRsForWavesPerEU: 1
; NamedBarCnt: 0
; Occupancy: 16
; WaveLimiterHint : 0
; COMPUTE_PGM_RSRC2:SCRATCH_EN: 0
; COMPUTE_PGM_RSRC2:USER_SGPR: 2
; COMPUTE_PGM_RSRC2:TRAP_HANDLER: 0
; COMPUTE_PGM_RSRC2:TGID_X_EN: 1
; COMPUTE_PGM_RSRC2:TGID_Y_EN: 0
; COMPUTE_PGM_RSRC2:TGID_Z_EN: 0
; COMPUTE_PGM_RSRC2:TIDIG_COMP_CNT: 0
	.section	.text._ZN7rocprim17ROCPRIM_400000_NS6detail17trampoline_kernelINS0_14default_configENS1_38merge_sort_block_merge_config_selectorIlNS0_10empty_typeEEEZZNS1_27merge_sort_block_merge_implIS3_PlPS5_jNS1_19radix_merge_compareILb1ELb1ElNS0_19identity_decomposerEEEEE10hipError_tT0_T1_T2_jT3_P12ihipStream_tbPNSt15iterator_traitsISE_E10value_typeEPNSK_ISF_E10value_typeEPSG_NS1_7vsmem_tEENKUlT_SE_SF_SG_E_clIS8_S8_S9_S9_EESD_ST_SE_SF_SG_EUlST_E1_NS1_11comp_targetILNS1_3genE0ELNS1_11target_archE4294967295ELNS1_3gpuE0ELNS1_3repE0EEENS1_36merge_oddeven_config_static_selectorELNS0_4arch9wavefront6targetE0EEEvSF_,"axG",@progbits,_ZN7rocprim17ROCPRIM_400000_NS6detail17trampoline_kernelINS0_14default_configENS1_38merge_sort_block_merge_config_selectorIlNS0_10empty_typeEEEZZNS1_27merge_sort_block_merge_implIS3_PlPS5_jNS1_19radix_merge_compareILb1ELb1ElNS0_19identity_decomposerEEEEE10hipError_tT0_T1_T2_jT3_P12ihipStream_tbPNSt15iterator_traitsISE_E10value_typeEPNSK_ISF_E10value_typeEPSG_NS1_7vsmem_tEENKUlT_SE_SF_SG_E_clIS8_S8_S9_S9_EESD_ST_SE_SF_SG_EUlST_E1_NS1_11comp_targetILNS1_3genE0ELNS1_11target_archE4294967295ELNS1_3gpuE0ELNS1_3repE0EEENS1_36merge_oddeven_config_static_selectorELNS0_4arch9wavefront6targetE0EEEvSF_,comdat
	.protected	_ZN7rocprim17ROCPRIM_400000_NS6detail17trampoline_kernelINS0_14default_configENS1_38merge_sort_block_merge_config_selectorIlNS0_10empty_typeEEEZZNS1_27merge_sort_block_merge_implIS3_PlPS5_jNS1_19radix_merge_compareILb1ELb1ElNS0_19identity_decomposerEEEEE10hipError_tT0_T1_T2_jT3_P12ihipStream_tbPNSt15iterator_traitsISE_E10value_typeEPNSK_ISF_E10value_typeEPSG_NS1_7vsmem_tEENKUlT_SE_SF_SG_E_clIS8_S8_S9_S9_EESD_ST_SE_SF_SG_EUlST_E1_NS1_11comp_targetILNS1_3genE0ELNS1_11target_archE4294967295ELNS1_3gpuE0ELNS1_3repE0EEENS1_36merge_oddeven_config_static_selectorELNS0_4arch9wavefront6targetE0EEEvSF_ ; -- Begin function _ZN7rocprim17ROCPRIM_400000_NS6detail17trampoline_kernelINS0_14default_configENS1_38merge_sort_block_merge_config_selectorIlNS0_10empty_typeEEEZZNS1_27merge_sort_block_merge_implIS3_PlPS5_jNS1_19radix_merge_compareILb1ELb1ElNS0_19identity_decomposerEEEEE10hipError_tT0_T1_T2_jT3_P12ihipStream_tbPNSt15iterator_traitsISE_E10value_typeEPNSK_ISF_E10value_typeEPSG_NS1_7vsmem_tEENKUlT_SE_SF_SG_E_clIS8_S8_S9_S9_EESD_ST_SE_SF_SG_EUlST_E1_NS1_11comp_targetILNS1_3genE0ELNS1_11target_archE4294967295ELNS1_3gpuE0ELNS1_3repE0EEENS1_36merge_oddeven_config_static_selectorELNS0_4arch9wavefront6targetE0EEEvSF_
	.globl	_ZN7rocprim17ROCPRIM_400000_NS6detail17trampoline_kernelINS0_14default_configENS1_38merge_sort_block_merge_config_selectorIlNS0_10empty_typeEEEZZNS1_27merge_sort_block_merge_implIS3_PlPS5_jNS1_19radix_merge_compareILb1ELb1ElNS0_19identity_decomposerEEEEE10hipError_tT0_T1_T2_jT3_P12ihipStream_tbPNSt15iterator_traitsISE_E10value_typeEPNSK_ISF_E10value_typeEPSG_NS1_7vsmem_tEENKUlT_SE_SF_SG_E_clIS8_S8_S9_S9_EESD_ST_SE_SF_SG_EUlST_E1_NS1_11comp_targetILNS1_3genE0ELNS1_11target_archE4294967295ELNS1_3gpuE0ELNS1_3repE0EEENS1_36merge_oddeven_config_static_selectorELNS0_4arch9wavefront6targetE0EEEvSF_
	.p2align	8
	.type	_ZN7rocprim17ROCPRIM_400000_NS6detail17trampoline_kernelINS0_14default_configENS1_38merge_sort_block_merge_config_selectorIlNS0_10empty_typeEEEZZNS1_27merge_sort_block_merge_implIS3_PlPS5_jNS1_19radix_merge_compareILb1ELb1ElNS0_19identity_decomposerEEEEE10hipError_tT0_T1_T2_jT3_P12ihipStream_tbPNSt15iterator_traitsISE_E10value_typeEPNSK_ISF_E10value_typeEPSG_NS1_7vsmem_tEENKUlT_SE_SF_SG_E_clIS8_S8_S9_S9_EESD_ST_SE_SF_SG_EUlST_E1_NS1_11comp_targetILNS1_3genE0ELNS1_11target_archE4294967295ELNS1_3gpuE0ELNS1_3repE0EEENS1_36merge_oddeven_config_static_selectorELNS0_4arch9wavefront6targetE0EEEvSF_,@function
_ZN7rocprim17ROCPRIM_400000_NS6detail17trampoline_kernelINS0_14default_configENS1_38merge_sort_block_merge_config_selectorIlNS0_10empty_typeEEEZZNS1_27merge_sort_block_merge_implIS3_PlPS5_jNS1_19radix_merge_compareILb1ELb1ElNS0_19identity_decomposerEEEEE10hipError_tT0_T1_T2_jT3_P12ihipStream_tbPNSt15iterator_traitsISE_E10value_typeEPNSK_ISF_E10value_typeEPSG_NS1_7vsmem_tEENKUlT_SE_SF_SG_E_clIS8_S8_S9_S9_EESD_ST_SE_SF_SG_EUlST_E1_NS1_11comp_targetILNS1_3genE0ELNS1_11target_archE4294967295ELNS1_3gpuE0ELNS1_3repE0EEENS1_36merge_oddeven_config_static_selectorELNS0_4arch9wavefront6targetE0EEEvSF_: ; @_ZN7rocprim17ROCPRIM_400000_NS6detail17trampoline_kernelINS0_14default_configENS1_38merge_sort_block_merge_config_selectorIlNS0_10empty_typeEEEZZNS1_27merge_sort_block_merge_implIS3_PlPS5_jNS1_19radix_merge_compareILb1ELb1ElNS0_19identity_decomposerEEEEE10hipError_tT0_T1_T2_jT3_P12ihipStream_tbPNSt15iterator_traitsISE_E10value_typeEPNSK_ISF_E10value_typeEPSG_NS1_7vsmem_tEENKUlT_SE_SF_SG_E_clIS8_S8_S9_S9_EESD_ST_SE_SF_SG_EUlST_E1_NS1_11comp_targetILNS1_3genE0ELNS1_11target_archE4294967295ELNS1_3gpuE0ELNS1_3repE0EEENS1_36merge_oddeven_config_static_selectorELNS0_4arch9wavefront6targetE0EEEvSF_
; %bb.0:
	s_load_b32 s11, s[0:1], 0x20
	s_bfe_u32 s2, ttmp6, 0x4000c
	s_and_b32 s3, ttmp6, 15
	s_add_co_i32 s2, s2, 1
	s_getreg_b32 s4, hwreg(HW_REG_IB_STS2, 6, 4)
	s_mul_i32 s2, ttmp9, s2
	s_mov_b32 s9, 0
	s_add_co_i32 s3, s3, s2
	s_cmp_eq_u32 s4, 0
	s_cselect_b32 s2, ttmp9, s3
	s_wait_kmcnt 0x0
	s_lshr_b32 s3, s11, 8
	s_delay_alu instid0(SALU_CYCLE_1) | instskip(SKIP_4) | instid1(SALU_CYCLE_1)
	s_cmp_lg_u32 s2, s3
	s_cselect_b32 s15, -1, 0
	s_cmp_eq_u32 s2, s3
	s_cselect_b32 s12, -1, 0
	s_lshl_b32 s8, s2, 8
	s_sub_co_i32 s3, s11, s8
	s_delay_alu instid0(SALU_CYCLE_1) | instskip(SKIP_1) | instid1(SALU_CYCLE_1)
	v_cmp_gt_u32_e64 s3, s3, v0
	s_or_b32 s4, s15, s3
	s_and_saveexec_b32 s5, s4
	s_cbranch_execz .LBB1062_20
; %bb.1:
	s_clause 0x1
	s_load_b128 s[4:7], s[0:1], 0x0
	s_load_b32 s13, s[0:1], 0x24
	s_lshl_b64 s[16:17], s[8:9], 3
	v_add_nc_u32_e32 v5, s8, v0
	s_wait_kmcnt 0x0
	s_add_nc_u64 s[16:17], s[4:5], s[16:17]
	s_lshr_b32 s10, s13, 8
	global_load_b64 v[2:3], v0, s[16:17] scale_offset
	s_sub_co_i32 s14, 0, s10
	s_wait_xcnt 0x0
	s_sub_co_i32 s16, 0, s13
	s_and_b32 s2, s2, s14
	s_delay_alu instid0(SALU_CYCLE_1) | instskip(SKIP_3) | instid1(SALU_CYCLE_1)
	s_and_b32 s10, s2, s10
	s_lshl_b32 s14, s2, 8
	s_cmp_eq_u32 s10, 0
	s_cselect_b32 s2, -1, 0
	s_and_b32 s10, s2, exec_lo
	s_cselect_b32 s10, s13, s16
	s_delay_alu instid0(SALU_CYCLE_1) | instskip(NEXT) | instid1(SALU_CYCLE_1)
	s_add_co_i32 s10, s10, s14
	s_cmp_gt_u32 s11, s10
	s_cbranch_scc1 .LBB1062_3
; %bb.2:
	v_cmp_gt_u32_e32 vcc_lo, s11, v5
	s_or_b32 s9, vcc_lo, s15
	s_delay_alu instid0(SALU_CYCLE_1)
	s_and_b32 s9, s9, exec_lo
	s_cbranch_execz .LBB1062_4
	s_branch .LBB1062_18
.LBB1062_3:
.LBB1062_4:
	s_load_b64 s[0:1], s[0:1], 0x28
	s_min_u32 s8, s10, s11
	s_and_b32 vcc_lo, exec_lo, s12
	s_add_co_i32 s15, s14, s8
	s_min_u32 s14, s14, s8
	v_subrev_nc_u32_e32 v0, s15, v5
	s_add_co_i32 s13, s8, s13
	s_delay_alu instid0(SALU_CYCLE_1)
	s_min_u32 s11, s13, s11
	s_wait_loadcnt 0x0
	s_wait_kmcnt 0x0
	v_dual_add_nc_u32 v4, s14, v0 :: v_dual_bitop2_b32 v1, s1, v3 bitop3:0x40
	v_and_b32_e32 v0, s0, v2
	s_cbranch_vccz .LBB1062_12
; %bb.5:
                                        ; implicit-def: $vgpr5
	s_and_saveexec_b32 s12, s3
	s_cbranch_execz .LBB1062_11
; %bb.6:
	v_mov_b32_e32 v5, s8
	s_cmp_ge_u32 s10, s11
	s_cbranch_scc1 .LBB1062_10
; %bb.7:
	v_dual_mov_b32 v6, s11 :: v_dual_mov_b32 v5, s8
	s_mov_b32 s3, 0
.LBB1062_8:                             ; =>This Inner Loop Header: Depth=1
	s_delay_alu instid0(VALU_DEP_1) | instskip(NEXT) | instid1(VALU_DEP_1)
	v_add_nc_u32_e32 v7, v5, v6
	v_lshrrev_b32_e32 v7, 1, v7
	global_load_b64 v[8:9], v7, s[4:5] scale_offset
	s_wait_loadcnt 0x0
	v_and_b32_e32 v9, s1, v9
	v_and_b32_e32 v8, s0, v8
	s_delay_alu instid0(VALU_DEP_1) | instskip(SKIP_4) | instid1(VALU_DEP_1)
	v_cmp_gt_i64_e32 vcc_lo, v[8:9], v[0:1]
	v_cndmask_b32_e64 v10, 0, 1, vcc_lo
	v_cmp_le_i64_e32 vcc_lo, v[0:1], v[8:9]
	v_add_nc_u32_e32 v9, 1, v7
	v_cndmask_b32_e64 v8, 0, 1, vcc_lo
	v_cndmask_b32_e64 v8, v8, v10, s2
	s_delay_alu instid0(VALU_DEP_1) | instskip(NEXT) | instid1(VALU_DEP_1)
	v_and_b32_e32 v8, 1, v8
	v_cmp_eq_u32_e32 vcc_lo, 1, v8
	v_dual_cndmask_b32 v6, v7, v6 :: v_dual_cndmask_b32 v5, v5, v9
	s_delay_alu instid0(VALU_DEP_1) | instskip(SKIP_1) | instid1(SALU_CYCLE_1)
	v_cmp_ge_u32_e32 vcc_lo, v5, v6
	s_or_b32 s3, vcc_lo, s3
	s_and_not1_b32 exec_lo, exec_lo, s3
	s_cbranch_execnz .LBB1062_8
; %bb.9:
	s_or_b32 exec_lo, exec_lo, s3
.LBB1062_10:
	s_delay_alu instid0(VALU_DEP_1)
	v_add_nc_u32_e32 v5, v5, v4
	s_or_b32 s9, s9, exec_lo
.LBB1062_11:
	s_or_b32 exec_lo, exec_lo, s12
	s_branch .LBB1062_18
.LBB1062_12:
                                        ; implicit-def: $vgpr5
	s_cbranch_execz .LBB1062_18
; %bb.13:
	v_mov_b32_e32 v5, s8
	s_cmp_ge_u32 s10, s11
	s_cbranch_scc1 .LBB1062_17
; %bb.14:
	v_dual_mov_b32 v6, s11 :: v_dual_mov_b32 v5, s8
	s_mov_b32 s3, 0
.LBB1062_15:                            ; =>This Inner Loop Header: Depth=1
	s_delay_alu instid0(VALU_DEP_1) | instskip(NEXT) | instid1(VALU_DEP_1)
	v_add_nc_u32_e32 v7, v5, v6
	v_lshrrev_b32_e32 v7, 1, v7
	global_load_b64 v[8:9], v7, s[4:5] scale_offset
	s_wait_loadcnt 0x0
	v_and_b32_e32 v9, s1, v9
	v_and_b32_e32 v8, s0, v8
	s_delay_alu instid0(VALU_DEP_1) | instskip(SKIP_4) | instid1(VALU_DEP_1)
	v_cmp_gt_i64_e32 vcc_lo, v[8:9], v[0:1]
	v_cndmask_b32_e64 v10, 0, 1, vcc_lo
	v_cmp_le_i64_e32 vcc_lo, v[0:1], v[8:9]
	v_add_nc_u32_e32 v9, 1, v7
	v_cndmask_b32_e64 v8, 0, 1, vcc_lo
	v_cndmask_b32_e64 v8, v8, v10, s2
	s_delay_alu instid0(VALU_DEP_1) | instskip(NEXT) | instid1(VALU_DEP_1)
	v_and_b32_e32 v8, 1, v8
	v_cmp_eq_u32_e32 vcc_lo, 1, v8
	v_dual_cndmask_b32 v6, v7, v6 :: v_dual_cndmask_b32 v5, v5, v9
	s_delay_alu instid0(VALU_DEP_1) | instskip(SKIP_1) | instid1(SALU_CYCLE_1)
	v_cmp_ge_u32_e32 vcc_lo, v5, v6
	s_or_b32 s3, vcc_lo, s3
	s_and_not1_b32 exec_lo, exec_lo, s3
	s_cbranch_execnz .LBB1062_15
; %bb.16:
	s_or_b32 exec_lo, exec_lo, s3
.LBB1062_17:
	s_delay_alu instid0(VALU_DEP_1)
	v_add_nc_u32_e32 v5, v5, v4
	s_mov_b32 s9, -1
.LBB1062_18:
	s_delay_alu instid0(SALU_CYCLE_1)
	s_and_b32 exec_lo, exec_lo, s9
	s_cbranch_execz .LBB1062_20
; %bb.19:
	s_wait_loadcnt 0x0
	global_store_b64 v5, v[2:3], s[6:7] scale_offset
.LBB1062_20:
	s_endpgm
	.section	.rodata,"a",@progbits
	.p2align	6, 0x0
	.amdhsa_kernel _ZN7rocprim17ROCPRIM_400000_NS6detail17trampoline_kernelINS0_14default_configENS1_38merge_sort_block_merge_config_selectorIlNS0_10empty_typeEEEZZNS1_27merge_sort_block_merge_implIS3_PlPS5_jNS1_19radix_merge_compareILb1ELb1ElNS0_19identity_decomposerEEEEE10hipError_tT0_T1_T2_jT3_P12ihipStream_tbPNSt15iterator_traitsISE_E10value_typeEPNSK_ISF_E10value_typeEPSG_NS1_7vsmem_tEENKUlT_SE_SF_SG_E_clIS8_S8_S9_S9_EESD_ST_SE_SF_SG_EUlST_E1_NS1_11comp_targetILNS1_3genE0ELNS1_11target_archE4294967295ELNS1_3gpuE0ELNS1_3repE0EEENS1_36merge_oddeven_config_static_selectorELNS0_4arch9wavefront6targetE0EEEvSF_
		.amdhsa_group_segment_fixed_size 0
		.amdhsa_private_segment_fixed_size 0
		.amdhsa_kernarg_size 48
		.amdhsa_user_sgpr_count 2
		.amdhsa_user_sgpr_dispatch_ptr 0
		.amdhsa_user_sgpr_queue_ptr 0
		.amdhsa_user_sgpr_kernarg_segment_ptr 1
		.amdhsa_user_sgpr_dispatch_id 0
		.amdhsa_user_sgpr_kernarg_preload_length 0
		.amdhsa_user_sgpr_kernarg_preload_offset 0
		.amdhsa_user_sgpr_private_segment_size 0
		.amdhsa_wavefront_size32 1
		.amdhsa_uses_dynamic_stack 0
		.amdhsa_enable_private_segment 0
		.amdhsa_system_sgpr_workgroup_id_x 1
		.amdhsa_system_sgpr_workgroup_id_y 0
		.amdhsa_system_sgpr_workgroup_id_z 0
		.amdhsa_system_sgpr_workgroup_info 0
		.amdhsa_system_vgpr_workitem_id 0
		.amdhsa_next_free_vgpr 11
		.amdhsa_next_free_sgpr 18
		.amdhsa_named_barrier_count 0
		.amdhsa_reserve_vcc 1
		.amdhsa_float_round_mode_32 0
		.amdhsa_float_round_mode_16_64 0
		.amdhsa_float_denorm_mode_32 3
		.amdhsa_float_denorm_mode_16_64 3
		.amdhsa_fp16_overflow 0
		.amdhsa_memory_ordered 1
		.amdhsa_forward_progress 1
		.amdhsa_inst_pref_size 6
		.amdhsa_round_robin_scheduling 0
		.amdhsa_exception_fp_ieee_invalid_op 0
		.amdhsa_exception_fp_denorm_src 0
		.amdhsa_exception_fp_ieee_div_zero 0
		.amdhsa_exception_fp_ieee_overflow 0
		.amdhsa_exception_fp_ieee_underflow 0
		.amdhsa_exception_fp_ieee_inexact 0
		.amdhsa_exception_int_div_zero 0
	.end_amdhsa_kernel
	.section	.text._ZN7rocprim17ROCPRIM_400000_NS6detail17trampoline_kernelINS0_14default_configENS1_38merge_sort_block_merge_config_selectorIlNS0_10empty_typeEEEZZNS1_27merge_sort_block_merge_implIS3_PlPS5_jNS1_19radix_merge_compareILb1ELb1ElNS0_19identity_decomposerEEEEE10hipError_tT0_T1_T2_jT3_P12ihipStream_tbPNSt15iterator_traitsISE_E10value_typeEPNSK_ISF_E10value_typeEPSG_NS1_7vsmem_tEENKUlT_SE_SF_SG_E_clIS8_S8_S9_S9_EESD_ST_SE_SF_SG_EUlST_E1_NS1_11comp_targetILNS1_3genE0ELNS1_11target_archE4294967295ELNS1_3gpuE0ELNS1_3repE0EEENS1_36merge_oddeven_config_static_selectorELNS0_4arch9wavefront6targetE0EEEvSF_,"axG",@progbits,_ZN7rocprim17ROCPRIM_400000_NS6detail17trampoline_kernelINS0_14default_configENS1_38merge_sort_block_merge_config_selectorIlNS0_10empty_typeEEEZZNS1_27merge_sort_block_merge_implIS3_PlPS5_jNS1_19radix_merge_compareILb1ELb1ElNS0_19identity_decomposerEEEEE10hipError_tT0_T1_T2_jT3_P12ihipStream_tbPNSt15iterator_traitsISE_E10value_typeEPNSK_ISF_E10value_typeEPSG_NS1_7vsmem_tEENKUlT_SE_SF_SG_E_clIS8_S8_S9_S9_EESD_ST_SE_SF_SG_EUlST_E1_NS1_11comp_targetILNS1_3genE0ELNS1_11target_archE4294967295ELNS1_3gpuE0ELNS1_3repE0EEENS1_36merge_oddeven_config_static_selectorELNS0_4arch9wavefront6targetE0EEEvSF_,comdat
.Lfunc_end1062:
	.size	_ZN7rocprim17ROCPRIM_400000_NS6detail17trampoline_kernelINS0_14default_configENS1_38merge_sort_block_merge_config_selectorIlNS0_10empty_typeEEEZZNS1_27merge_sort_block_merge_implIS3_PlPS5_jNS1_19radix_merge_compareILb1ELb1ElNS0_19identity_decomposerEEEEE10hipError_tT0_T1_T2_jT3_P12ihipStream_tbPNSt15iterator_traitsISE_E10value_typeEPNSK_ISF_E10value_typeEPSG_NS1_7vsmem_tEENKUlT_SE_SF_SG_E_clIS8_S8_S9_S9_EESD_ST_SE_SF_SG_EUlST_E1_NS1_11comp_targetILNS1_3genE0ELNS1_11target_archE4294967295ELNS1_3gpuE0ELNS1_3repE0EEENS1_36merge_oddeven_config_static_selectorELNS0_4arch9wavefront6targetE0EEEvSF_, .Lfunc_end1062-_ZN7rocprim17ROCPRIM_400000_NS6detail17trampoline_kernelINS0_14default_configENS1_38merge_sort_block_merge_config_selectorIlNS0_10empty_typeEEEZZNS1_27merge_sort_block_merge_implIS3_PlPS5_jNS1_19radix_merge_compareILb1ELb1ElNS0_19identity_decomposerEEEEE10hipError_tT0_T1_T2_jT3_P12ihipStream_tbPNSt15iterator_traitsISE_E10value_typeEPNSK_ISF_E10value_typeEPSG_NS1_7vsmem_tEENKUlT_SE_SF_SG_E_clIS8_S8_S9_S9_EESD_ST_SE_SF_SG_EUlST_E1_NS1_11comp_targetILNS1_3genE0ELNS1_11target_archE4294967295ELNS1_3gpuE0ELNS1_3repE0EEENS1_36merge_oddeven_config_static_selectorELNS0_4arch9wavefront6targetE0EEEvSF_
                                        ; -- End function
	.set _ZN7rocprim17ROCPRIM_400000_NS6detail17trampoline_kernelINS0_14default_configENS1_38merge_sort_block_merge_config_selectorIlNS0_10empty_typeEEEZZNS1_27merge_sort_block_merge_implIS3_PlPS5_jNS1_19radix_merge_compareILb1ELb1ElNS0_19identity_decomposerEEEEE10hipError_tT0_T1_T2_jT3_P12ihipStream_tbPNSt15iterator_traitsISE_E10value_typeEPNSK_ISF_E10value_typeEPSG_NS1_7vsmem_tEENKUlT_SE_SF_SG_E_clIS8_S8_S9_S9_EESD_ST_SE_SF_SG_EUlST_E1_NS1_11comp_targetILNS1_3genE0ELNS1_11target_archE4294967295ELNS1_3gpuE0ELNS1_3repE0EEENS1_36merge_oddeven_config_static_selectorELNS0_4arch9wavefront6targetE0EEEvSF_.num_vgpr, 11
	.set _ZN7rocprim17ROCPRIM_400000_NS6detail17trampoline_kernelINS0_14default_configENS1_38merge_sort_block_merge_config_selectorIlNS0_10empty_typeEEEZZNS1_27merge_sort_block_merge_implIS3_PlPS5_jNS1_19radix_merge_compareILb1ELb1ElNS0_19identity_decomposerEEEEE10hipError_tT0_T1_T2_jT3_P12ihipStream_tbPNSt15iterator_traitsISE_E10value_typeEPNSK_ISF_E10value_typeEPSG_NS1_7vsmem_tEENKUlT_SE_SF_SG_E_clIS8_S8_S9_S9_EESD_ST_SE_SF_SG_EUlST_E1_NS1_11comp_targetILNS1_3genE0ELNS1_11target_archE4294967295ELNS1_3gpuE0ELNS1_3repE0EEENS1_36merge_oddeven_config_static_selectorELNS0_4arch9wavefront6targetE0EEEvSF_.num_agpr, 0
	.set _ZN7rocprim17ROCPRIM_400000_NS6detail17trampoline_kernelINS0_14default_configENS1_38merge_sort_block_merge_config_selectorIlNS0_10empty_typeEEEZZNS1_27merge_sort_block_merge_implIS3_PlPS5_jNS1_19radix_merge_compareILb1ELb1ElNS0_19identity_decomposerEEEEE10hipError_tT0_T1_T2_jT3_P12ihipStream_tbPNSt15iterator_traitsISE_E10value_typeEPNSK_ISF_E10value_typeEPSG_NS1_7vsmem_tEENKUlT_SE_SF_SG_E_clIS8_S8_S9_S9_EESD_ST_SE_SF_SG_EUlST_E1_NS1_11comp_targetILNS1_3genE0ELNS1_11target_archE4294967295ELNS1_3gpuE0ELNS1_3repE0EEENS1_36merge_oddeven_config_static_selectorELNS0_4arch9wavefront6targetE0EEEvSF_.numbered_sgpr, 18
	.set _ZN7rocprim17ROCPRIM_400000_NS6detail17trampoline_kernelINS0_14default_configENS1_38merge_sort_block_merge_config_selectorIlNS0_10empty_typeEEEZZNS1_27merge_sort_block_merge_implIS3_PlPS5_jNS1_19radix_merge_compareILb1ELb1ElNS0_19identity_decomposerEEEEE10hipError_tT0_T1_T2_jT3_P12ihipStream_tbPNSt15iterator_traitsISE_E10value_typeEPNSK_ISF_E10value_typeEPSG_NS1_7vsmem_tEENKUlT_SE_SF_SG_E_clIS8_S8_S9_S9_EESD_ST_SE_SF_SG_EUlST_E1_NS1_11comp_targetILNS1_3genE0ELNS1_11target_archE4294967295ELNS1_3gpuE0ELNS1_3repE0EEENS1_36merge_oddeven_config_static_selectorELNS0_4arch9wavefront6targetE0EEEvSF_.num_named_barrier, 0
	.set _ZN7rocprim17ROCPRIM_400000_NS6detail17trampoline_kernelINS0_14default_configENS1_38merge_sort_block_merge_config_selectorIlNS0_10empty_typeEEEZZNS1_27merge_sort_block_merge_implIS3_PlPS5_jNS1_19radix_merge_compareILb1ELb1ElNS0_19identity_decomposerEEEEE10hipError_tT0_T1_T2_jT3_P12ihipStream_tbPNSt15iterator_traitsISE_E10value_typeEPNSK_ISF_E10value_typeEPSG_NS1_7vsmem_tEENKUlT_SE_SF_SG_E_clIS8_S8_S9_S9_EESD_ST_SE_SF_SG_EUlST_E1_NS1_11comp_targetILNS1_3genE0ELNS1_11target_archE4294967295ELNS1_3gpuE0ELNS1_3repE0EEENS1_36merge_oddeven_config_static_selectorELNS0_4arch9wavefront6targetE0EEEvSF_.private_seg_size, 0
	.set _ZN7rocprim17ROCPRIM_400000_NS6detail17trampoline_kernelINS0_14default_configENS1_38merge_sort_block_merge_config_selectorIlNS0_10empty_typeEEEZZNS1_27merge_sort_block_merge_implIS3_PlPS5_jNS1_19radix_merge_compareILb1ELb1ElNS0_19identity_decomposerEEEEE10hipError_tT0_T1_T2_jT3_P12ihipStream_tbPNSt15iterator_traitsISE_E10value_typeEPNSK_ISF_E10value_typeEPSG_NS1_7vsmem_tEENKUlT_SE_SF_SG_E_clIS8_S8_S9_S9_EESD_ST_SE_SF_SG_EUlST_E1_NS1_11comp_targetILNS1_3genE0ELNS1_11target_archE4294967295ELNS1_3gpuE0ELNS1_3repE0EEENS1_36merge_oddeven_config_static_selectorELNS0_4arch9wavefront6targetE0EEEvSF_.uses_vcc, 1
	.set _ZN7rocprim17ROCPRIM_400000_NS6detail17trampoline_kernelINS0_14default_configENS1_38merge_sort_block_merge_config_selectorIlNS0_10empty_typeEEEZZNS1_27merge_sort_block_merge_implIS3_PlPS5_jNS1_19radix_merge_compareILb1ELb1ElNS0_19identity_decomposerEEEEE10hipError_tT0_T1_T2_jT3_P12ihipStream_tbPNSt15iterator_traitsISE_E10value_typeEPNSK_ISF_E10value_typeEPSG_NS1_7vsmem_tEENKUlT_SE_SF_SG_E_clIS8_S8_S9_S9_EESD_ST_SE_SF_SG_EUlST_E1_NS1_11comp_targetILNS1_3genE0ELNS1_11target_archE4294967295ELNS1_3gpuE0ELNS1_3repE0EEENS1_36merge_oddeven_config_static_selectorELNS0_4arch9wavefront6targetE0EEEvSF_.uses_flat_scratch, 0
	.set _ZN7rocprim17ROCPRIM_400000_NS6detail17trampoline_kernelINS0_14default_configENS1_38merge_sort_block_merge_config_selectorIlNS0_10empty_typeEEEZZNS1_27merge_sort_block_merge_implIS3_PlPS5_jNS1_19radix_merge_compareILb1ELb1ElNS0_19identity_decomposerEEEEE10hipError_tT0_T1_T2_jT3_P12ihipStream_tbPNSt15iterator_traitsISE_E10value_typeEPNSK_ISF_E10value_typeEPSG_NS1_7vsmem_tEENKUlT_SE_SF_SG_E_clIS8_S8_S9_S9_EESD_ST_SE_SF_SG_EUlST_E1_NS1_11comp_targetILNS1_3genE0ELNS1_11target_archE4294967295ELNS1_3gpuE0ELNS1_3repE0EEENS1_36merge_oddeven_config_static_selectorELNS0_4arch9wavefront6targetE0EEEvSF_.has_dyn_sized_stack, 0
	.set _ZN7rocprim17ROCPRIM_400000_NS6detail17trampoline_kernelINS0_14default_configENS1_38merge_sort_block_merge_config_selectorIlNS0_10empty_typeEEEZZNS1_27merge_sort_block_merge_implIS3_PlPS5_jNS1_19radix_merge_compareILb1ELb1ElNS0_19identity_decomposerEEEEE10hipError_tT0_T1_T2_jT3_P12ihipStream_tbPNSt15iterator_traitsISE_E10value_typeEPNSK_ISF_E10value_typeEPSG_NS1_7vsmem_tEENKUlT_SE_SF_SG_E_clIS8_S8_S9_S9_EESD_ST_SE_SF_SG_EUlST_E1_NS1_11comp_targetILNS1_3genE0ELNS1_11target_archE4294967295ELNS1_3gpuE0ELNS1_3repE0EEENS1_36merge_oddeven_config_static_selectorELNS0_4arch9wavefront6targetE0EEEvSF_.has_recursion, 0
	.set _ZN7rocprim17ROCPRIM_400000_NS6detail17trampoline_kernelINS0_14default_configENS1_38merge_sort_block_merge_config_selectorIlNS0_10empty_typeEEEZZNS1_27merge_sort_block_merge_implIS3_PlPS5_jNS1_19radix_merge_compareILb1ELb1ElNS0_19identity_decomposerEEEEE10hipError_tT0_T1_T2_jT3_P12ihipStream_tbPNSt15iterator_traitsISE_E10value_typeEPNSK_ISF_E10value_typeEPSG_NS1_7vsmem_tEENKUlT_SE_SF_SG_E_clIS8_S8_S9_S9_EESD_ST_SE_SF_SG_EUlST_E1_NS1_11comp_targetILNS1_3genE0ELNS1_11target_archE4294967295ELNS1_3gpuE0ELNS1_3repE0EEENS1_36merge_oddeven_config_static_selectorELNS0_4arch9wavefront6targetE0EEEvSF_.has_indirect_call, 0
	.section	.AMDGPU.csdata,"",@progbits
; Kernel info:
; codeLenInByte = 676
; TotalNumSgprs: 20
; NumVgprs: 11
; ScratchSize: 0
; MemoryBound: 0
; FloatMode: 240
; IeeeMode: 1
; LDSByteSize: 0 bytes/workgroup (compile time only)
; SGPRBlocks: 0
; VGPRBlocks: 0
; NumSGPRsForWavesPerEU: 20
; NumVGPRsForWavesPerEU: 11
; NamedBarCnt: 0
; Occupancy: 16
; WaveLimiterHint : 0
; COMPUTE_PGM_RSRC2:SCRATCH_EN: 0
; COMPUTE_PGM_RSRC2:USER_SGPR: 2
; COMPUTE_PGM_RSRC2:TRAP_HANDLER: 0
; COMPUTE_PGM_RSRC2:TGID_X_EN: 1
; COMPUTE_PGM_RSRC2:TGID_Y_EN: 0
; COMPUTE_PGM_RSRC2:TGID_Z_EN: 0
; COMPUTE_PGM_RSRC2:TIDIG_COMP_CNT: 0
	.section	.text._ZN7rocprim17ROCPRIM_400000_NS6detail17trampoline_kernelINS0_14default_configENS1_38merge_sort_block_merge_config_selectorIlNS0_10empty_typeEEEZZNS1_27merge_sort_block_merge_implIS3_PlPS5_jNS1_19radix_merge_compareILb1ELb1ElNS0_19identity_decomposerEEEEE10hipError_tT0_T1_T2_jT3_P12ihipStream_tbPNSt15iterator_traitsISE_E10value_typeEPNSK_ISF_E10value_typeEPSG_NS1_7vsmem_tEENKUlT_SE_SF_SG_E_clIS8_S8_S9_S9_EESD_ST_SE_SF_SG_EUlST_E1_NS1_11comp_targetILNS1_3genE10ELNS1_11target_archE1201ELNS1_3gpuE5ELNS1_3repE0EEENS1_36merge_oddeven_config_static_selectorELNS0_4arch9wavefront6targetE0EEEvSF_,"axG",@progbits,_ZN7rocprim17ROCPRIM_400000_NS6detail17trampoline_kernelINS0_14default_configENS1_38merge_sort_block_merge_config_selectorIlNS0_10empty_typeEEEZZNS1_27merge_sort_block_merge_implIS3_PlPS5_jNS1_19radix_merge_compareILb1ELb1ElNS0_19identity_decomposerEEEEE10hipError_tT0_T1_T2_jT3_P12ihipStream_tbPNSt15iterator_traitsISE_E10value_typeEPNSK_ISF_E10value_typeEPSG_NS1_7vsmem_tEENKUlT_SE_SF_SG_E_clIS8_S8_S9_S9_EESD_ST_SE_SF_SG_EUlST_E1_NS1_11comp_targetILNS1_3genE10ELNS1_11target_archE1201ELNS1_3gpuE5ELNS1_3repE0EEENS1_36merge_oddeven_config_static_selectorELNS0_4arch9wavefront6targetE0EEEvSF_,comdat
	.protected	_ZN7rocprim17ROCPRIM_400000_NS6detail17trampoline_kernelINS0_14default_configENS1_38merge_sort_block_merge_config_selectorIlNS0_10empty_typeEEEZZNS1_27merge_sort_block_merge_implIS3_PlPS5_jNS1_19radix_merge_compareILb1ELb1ElNS0_19identity_decomposerEEEEE10hipError_tT0_T1_T2_jT3_P12ihipStream_tbPNSt15iterator_traitsISE_E10value_typeEPNSK_ISF_E10value_typeEPSG_NS1_7vsmem_tEENKUlT_SE_SF_SG_E_clIS8_S8_S9_S9_EESD_ST_SE_SF_SG_EUlST_E1_NS1_11comp_targetILNS1_3genE10ELNS1_11target_archE1201ELNS1_3gpuE5ELNS1_3repE0EEENS1_36merge_oddeven_config_static_selectorELNS0_4arch9wavefront6targetE0EEEvSF_ ; -- Begin function _ZN7rocprim17ROCPRIM_400000_NS6detail17trampoline_kernelINS0_14default_configENS1_38merge_sort_block_merge_config_selectorIlNS0_10empty_typeEEEZZNS1_27merge_sort_block_merge_implIS3_PlPS5_jNS1_19radix_merge_compareILb1ELb1ElNS0_19identity_decomposerEEEEE10hipError_tT0_T1_T2_jT3_P12ihipStream_tbPNSt15iterator_traitsISE_E10value_typeEPNSK_ISF_E10value_typeEPSG_NS1_7vsmem_tEENKUlT_SE_SF_SG_E_clIS8_S8_S9_S9_EESD_ST_SE_SF_SG_EUlST_E1_NS1_11comp_targetILNS1_3genE10ELNS1_11target_archE1201ELNS1_3gpuE5ELNS1_3repE0EEENS1_36merge_oddeven_config_static_selectorELNS0_4arch9wavefront6targetE0EEEvSF_
	.globl	_ZN7rocprim17ROCPRIM_400000_NS6detail17trampoline_kernelINS0_14default_configENS1_38merge_sort_block_merge_config_selectorIlNS0_10empty_typeEEEZZNS1_27merge_sort_block_merge_implIS3_PlPS5_jNS1_19radix_merge_compareILb1ELb1ElNS0_19identity_decomposerEEEEE10hipError_tT0_T1_T2_jT3_P12ihipStream_tbPNSt15iterator_traitsISE_E10value_typeEPNSK_ISF_E10value_typeEPSG_NS1_7vsmem_tEENKUlT_SE_SF_SG_E_clIS8_S8_S9_S9_EESD_ST_SE_SF_SG_EUlST_E1_NS1_11comp_targetILNS1_3genE10ELNS1_11target_archE1201ELNS1_3gpuE5ELNS1_3repE0EEENS1_36merge_oddeven_config_static_selectorELNS0_4arch9wavefront6targetE0EEEvSF_
	.p2align	8
	.type	_ZN7rocprim17ROCPRIM_400000_NS6detail17trampoline_kernelINS0_14default_configENS1_38merge_sort_block_merge_config_selectorIlNS0_10empty_typeEEEZZNS1_27merge_sort_block_merge_implIS3_PlPS5_jNS1_19radix_merge_compareILb1ELb1ElNS0_19identity_decomposerEEEEE10hipError_tT0_T1_T2_jT3_P12ihipStream_tbPNSt15iterator_traitsISE_E10value_typeEPNSK_ISF_E10value_typeEPSG_NS1_7vsmem_tEENKUlT_SE_SF_SG_E_clIS8_S8_S9_S9_EESD_ST_SE_SF_SG_EUlST_E1_NS1_11comp_targetILNS1_3genE10ELNS1_11target_archE1201ELNS1_3gpuE5ELNS1_3repE0EEENS1_36merge_oddeven_config_static_selectorELNS0_4arch9wavefront6targetE0EEEvSF_,@function
_ZN7rocprim17ROCPRIM_400000_NS6detail17trampoline_kernelINS0_14default_configENS1_38merge_sort_block_merge_config_selectorIlNS0_10empty_typeEEEZZNS1_27merge_sort_block_merge_implIS3_PlPS5_jNS1_19radix_merge_compareILb1ELb1ElNS0_19identity_decomposerEEEEE10hipError_tT0_T1_T2_jT3_P12ihipStream_tbPNSt15iterator_traitsISE_E10value_typeEPNSK_ISF_E10value_typeEPSG_NS1_7vsmem_tEENKUlT_SE_SF_SG_E_clIS8_S8_S9_S9_EESD_ST_SE_SF_SG_EUlST_E1_NS1_11comp_targetILNS1_3genE10ELNS1_11target_archE1201ELNS1_3gpuE5ELNS1_3repE0EEENS1_36merge_oddeven_config_static_selectorELNS0_4arch9wavefront6targetE0EEEvSF_: ; @_ZN7rocprim17ROCPRIM_400000_NS6detail17trampoline_kernelINS0_14default_configENS1_38merge_sort_block_merge_config_selectorIlNS0_10empty_typeEEEZZNS1_27merge_sort_block_merge_implIS3_PlPS5_jNS1_19radix_merge_compareILb1ELb1ElNS0_19identity_decomposerEEEEE10hipError_tT0_T1_T2_jT3_P12ihipStream_tbPNSt15iterator_traitsISE_E10value_typeEPNSK_ISF_E10value_typeEPSG_NS1_7vsmem_tEENKUlT_SE_SF_SG_E_clIS8_S8_S9_S9_EESD_ST_SE_SF_SG_EUlST_E1_NS1_11comp_targetILNS1_3genE10ELNS1_11target_archE1201ELNS1_3gpuE5ELNS1_3repE0EEENS1_36merge_oddeven_config_static_selectorELNS0_4arch9wavefront6targetE0EEEvSF_
; %bb.0:
	.section	.rodata,"a",@progbits
	.p2align	6, 0x0
	.amdhsa_kernel _ZN7rocprim17ROCPRIM_400000_NS6detail17trampoline_kernelINS0_14default_configENS1_38merge_sort_block_merge_config_selectorIlNS0_10empty_typeEEEZZNS1_27merge_sort_block_merge_implIS3_PlPS5_jNS1_19radix_merge_compareILb1ELb1ElNS0_19identity_decomposerEEEEE10hipError_tT0_T1_T2_jT3_P12ihipStream_tbPNSt15iterator_traitsISE_E10value_typeEPNSK_ISF_E10value_typeEPSG_NS1_7vsmem_tEENKUlT_SE_SF_SG_E_clIS8_S8_S9_S9_EESD_ST_SE_SF_SG_EUlST_E1_NS1_11comp_targetILNS1_3genE10ELNS1_11target_archE1201ELNS1_3gpuE5ELNS1_3repE0EEENS1_36merge_oddeven_config_static_selectorELNS0_4arch9wavefront6targetE0EEEvSF_
		.amdhsa_group_segment_fixed_size 0
		.amdhsa_private_segment_fixed_size 0
		.amdhsa_kernarg_size 48
		.amdhsa_user_sgpr_count 2
		.amdhsa_user_sgpr_dispatch_ptr 0
		.amdhsa_user_sgpr_queue_ptr 0
		.amdhsa_user_sgpr_kernarg_segment_ptr 1
		.amdhsa_user_sgpr_dispatch_id 0
		.amdhsa_user_sgpr_kernarg_preload_length 0
		.amdhsa_user_sgpr_kernarg_preload_offset 0
		.amdhsa_user_sgpr_private_segment_size 0
		.amdhsa_wavefront_size32 1
		.amdhsa_uses_dynamic_stack 0
		.amdhsa_enable_private_segment 0
		.amdhsa_system_sgpr_workgroup_id_x 1
		.amdhsa_system_sgpr_workgroup_id_y 0
		.amdhsa_system_sgpr_workgroup_id_z 0
		.amdhsa_system_sgpr_workgroup_info 0
		.amdhsa_system_vgpr_workitem_id 0
		.amdhsa_next_free_vgpr 1
		.amdhsa_next_free_sgpr 1
		.amdhsa_named_barrier_count 0
		.amdhsa_reserve_vcc 0
		.amdhsa_float_round_mode_32 0
		.amdhsa_float_round_mode_16_64 0
		.amdhsa_float_denorm_mode_32 3
		.amdhsa_float_denorm_mode_16_64 3
		.amdhsa_fp16_overflow 0
		.amdhsa_memory_ordered 1
		.amdhsa_forward_progress 1
		.amdhsa_inst_pref_size 0
		.amdhsa_round_robin_scheduling 0
		.amdhsa_exception_fp_ieee_invalid_op 0
		.amdhsa_exception_fp_denorm_src 0
		.amdhsa_exception_fp_ieee_div_zero 0
		.amdhsa_exception_fp_ieee_overflow 0
		.amdhsa_exception_fp_ieee_underflow 0
		.amdhsa_exception_fp_ieee_inexact 0
		.amdhsa_exception_int_div_zero 0
	.end_amdhsa_kernel
	.section	.text._ZN7rocprim17ROCPRIM_400000_NS6detail17trampoline_kernelINS0_14default_configENS1_38merge_sort_block_merge_config_selectorIlNS0_10empty_typeEEEZZNS1_27merge_sort_block_merge_implIS3_PlPS5_jNS1_19radix_merge_compareILb1ELb1ElNS0_19identity_decomposerEEEEE10hipError_tT0_T1_T2_jT3_P12ihipStream_tbPNSt15iterator_traitsISE_E10value_typeEPNSK_ISF_E10value_typeEPSG_NS1_7vsmem_tEENKUlT_SE_SF_SG_E_clIS8_S8_S9_S9_EESD_ST_SE_SF_SG_EUlST_E1_NS1_11comp_targetILNS1_3genE10ELNS1_11target_archE1201ELNS1_3gpuE5ELNS1_3repE0EEENS1_36merge_oddeven_config_static_selectorELNS0_4arch9wavefront6targetE0EEEvSF_,"axG",@progbits,_ZN7rocprim17ROCPRIM_400000_NS6detail17trampoline_kernelINS0_14default_configENS1_38merge_sort_block_merge_config_selectorIlNS0_10empty_typeEEEZZNS1_27merge_sort_block_merge_implIS3_PlPS5_jNS1_19radix_merge_compareILb1ELb1ElNS0_19identity_decomposerEEEEE10hipError_tT0_T1_T2_jT3_P12ihipStream_tbPNSt15iterator_traitsISE_E10value_typeEPNSK_ISF_E10value_typeEPSG_NS1_7vsmem_tEENKUlT_SE_SF_SG_E_clIS8_S8_S9_S9_EESD_ST_SE_SF_SG_EUlST_E1_NS1_11comp_targetILNS1_3genE10ELNS1_11target_archE1201ELNS1_3gpuE5ELNS1_3repE0EEENS1_36merge_oddeven_config_static_selectorELNS0_4arch9wavefront6targetE0EEEvSF_,comdat
.Lfunc_end1063:
	.size	_ZN7rocprim17ROCPRIM_400000_NS6detail17trampoline_kernelINS0_14default_configENS1_38merge_sort_block_merge_config_selectorIlNS0_10empty_typeEEEZZNS1_27merge_sort_block_merge_implIS3_PlPS5_jNS1_19radix_merge_compareILb1ELb1ElNS0_19identity_decomposerEEEEE10hipError_tT0_T1_T2_jT3_P12ihipStream_tbPNSt15iterator_traitsISE_E10value_typeEPNSK_ISF_E10value_typeEPSG_NS1_7vsmem_tEENKUlT_SE_SF_SG_E_clIS8_S8_S9_S9_EESD_ST_SE_SF_SG_EUlST_E1_NS1_11comp_targetILNS1_3genE10ELNS1_11target_archE1201ELNS1_3gpuE5ELNS1_3repE0EEENS1_36merge_oddeven_config_static_selectorELNS0_4arch9wavefront6targetE0EEEvSF_, .Lfunc_end1063-_ZN7rocprim17ROCPRIM_400000_NS6detail17trampoline_kernelINS0_14default_configENS1_38merge_sort_block_merge_config_selectorIlNS0_10empty_typeEEEZZNS1_27merge_sort_block_merge_implIS3_PlPS5_jNS1_19radix_merge_compareILb1ELb1ElNS0_19identity_decomposerEEEEE10hipError_tT0_T1_T2_jT3_P12ihipStream_tbPNSt15iterator_traitsISE_E10value_typeEPNSK_ISF_E10value_typeEPSG_NS1_7vsmem_tEENKUlT_SE_SF_SG_E_clIS8_S8_S9_S9_EESD_ST_SE_SF_SG_EUlST_E1_NS1_11comp_targetILNS1_3genE10ELNS1_11target_archE1201ELNS1_3gpuE5ELNS1_3repE0EEENS1_36merge_oddeven_config_static_selectorELNS0_4arch9wavefront6targetE0EEEvSF_
                                        ; -- End function
	.set _ZN7rocprim17ROCPRIM_400000_NS6detail17trampoline_kernelINS0_14default_configENS1_38merge_sort_block_merge_config_selectorIlNS0_10empty_typeEEEZZNS1_27merge_sort_block_merge_implIS3_PlPS5_jNS1_19radix_merge_compareILb1ELb1ElNS0_19identity_decomposerEEEEE10hipError_tT0_T1_T2_jT3_P12ihipStream_tbPNSt15iterator_traitsISE_E10value_typeEPNSK_ISF_E10value_typeEPSG_NS1_7vsmem_tEENKUlT_SE_SF_SG_E_clIS8_S8_S9_S9_EESD_ST_SE_SF_SG_EUlST_E1_NS1_11comp_targetILNS1_3genE10ELNS1_11target_archE1201ELNS1_3gpuE5ELNS1_3repE0EEENS1_36merge_oddeven_config_static_selectorELNS0_4arch9wavefront6targetE0EEEvSF_.num_vgpr, 0
	.set _ZN7rocprim17ROCPRIM_400000_NS6detail17trampoline_kernelINS0_14default_configENS1_38merge_sort_block_merge_config_selectorIlNS0_10empty_typeEEEZZNS1_27merge_sort_block_merge_implIS3_PlPS5_jNS1_19radix_merge_compareILb1ELb1ElNS0_19identity_decomposerEEEEE10hipError_tT0_T1_T2_jT3_P12ihipStream_tbPNSt15iterator_traitsISE_E10value_typeEPNSK_ISF_E10value_typeEPSG_NS1_7vsmem_tEENKUlT_SE_SF_SG_E_clIS8_S8_S9_S9_EESD_ST_SE_SF_SG_EUlST_E1_NS1_11comp_targetILNS1_3genE10ELNS1_11target_archE1201ELNS1_3gpuE5ELNS1_3repE0EEENS1_36merge_oddeven_config_static_selectorELNS0_4arch9wavefront6targetE0EEEvSF_.num_agpr, 0
	.set _ZN7rocprim17ROCPRIM_400000_NS6detail17trampoline_kernelINS0_14default_configENS1_38merge_sort_block_merge_config_selectorIlNS0_10empty_typeEEEZZNS1_27merge_sort_block_merge_implIS3_PlPS5_jNS1_19radix_merge_compareILb1ELb1ElNS0_19identity_decomposerEEEEE10hipError_tT0_T1_T2_jT3_P12ihipStream_tbPNSt15iterator_traitsISE_E10value_typeEPNSK_ISF_E10value_typeEPSG_NS1_7vsmem_tEENKUlT_SE_SF_SG_E_clIS8_S8_S9_S9_EESD_ST_SE_SF_SG_EUlST_E1_NS1_11comp_targetILNS1_3genE10ELNS1_11target_archE1201ELNS1_3gpuE5ELNS1_3repE0EEENS1_36merge_oddeven_config_static_selectorELNS0_4arch9wavefront6targetE0EEEvSF_.numbered_sgpr, 0
	.set _ZN7rocprim17ROCPRIM_400000_NS6detail17trampoline_kernelINS0_14default_configENS1_38merge_sort_block_merge_config_selectorIlNS0_10empty_typeEEEZZNS1_27merge_sort_block_merge_implIS3_PlPS5_jNS1_19radix_merge_compareILb1ELb1ElNS0_19identity_decomposerEEEEE10hipError_tT0_T1_T2_jT3_P12ihipStream_tbPNSt15iterator_traitsISE_E10value_typeEPNSK_ISF_E10value_typeEPSG_NS1_7vsmem_tEENKUlT_SE_SF_SG_E_clIS8_S8_S9_S9_EESD_ST_SE_SF_SG_EUlST_E1_NS1_11comp_targetILNS1_3genE10ELNS1_11target_archE1201ELNS1_3gpuE5ELNS1_3repE0EEENS1_36merge_oddeven_config_static_selectorELNS0_4arch9wavefront6targetE0EEEvSF_.num_named_barrier, 0
	.set _ZN7rocprim17ROCPRIM_400000_NS6detail17trampoline_kernelINS0_14default_configENS1_38merge_sort_block_merge_config_selectorIlNS0_10empty_typeEEEZZNS1_27merge_sort_block_merge_implIS3_PlPS5_jNS1_19radix_merge_compareILb1ELb1ElNS0_19identity_decomposerEEEEE10hipError_tT0_T1_T2_jT3_P12ihipStream_tbPNSt15iterator_traitsISE_E10value_typeEPNSK_ISF_E10value_typeEPSG_NS1_7vsmem_tEENKUlT_SE_SF_SG_E_clIS8_S8_S9_S9_EESD_ST_SE_SF_SG_EUlST_E1_NS1_11comp_targetILNS1_3genE10ELNS1_11target_archE1201ELNS1_3gpuE5ELNS1_3repE0EEENS1_36merge_oddeven_config_static_selectorELNS0_4arch9wavefront6targetE0EEEvSF_.private_seg_size, 0
	.set _ZN7rocprim17ROCPRIM_400000_NS6detail17trampoline_kernelINS0_14default_configENS1_38merge_sort_block_merge_config_selectorIlNS0_10empty_typeEEEZZNS1_27merge_sort_block_merge_implIS3_PlPS5_jNS1_19radix_merge_compareILb1ELb1ElNS0_19identity_decomposerEEEEE10hipError_tT0_T1_T2_jT3_P12ihipStream_tbPNSt15iterator_traitsISE_E10value_typeEPNSK_ISF_E10value_typeEPSG_NS1_7vsmem_tEENKUlT_SE_SF_SG_E_clIS8_S8_S9_S9_EESD_ST_SE_SF_SG_EUlST_E1_NS1_11comp_targetILNS1_3genE10ELNS1_11target_archE1201ELNS1_3gpuE5ELNS1_3repE0EEENS1_36merge_oddeven_config_static_selectorELNS0_4arch9wavefront6targetE0EEEvSF_.uses_vcc, 0
	.set _ZN7rocprim17ROCPRIM_400000_NS6detail17trampoline_kernelINS0_14default_configENS1_38merge_sort_block_merge_config_selectorIlNS0_10empty_typeEEEZZNS1_27merge_sort_block_merge_implIS3_PlPS5_jNS1_19radix_merge_compareILb1ELb1ElNS0_19identity_decomposerEEEEE10hipError_tT0_T1_T2_jT3_P12ihipStream_tbPNSt15iterator_traitsISE_E10value_typeEPNSK_ISF_E10value_typeEPSG_NS1_7vsmem_tEENKUlT_SE_SF_SG_E_clIS8_S8_S9_S9_EESD_ST_SE_SF_SG_EUlST_E1_NS1_11comp_targetILNS1_3genE10ELNS1_11target_archE1201ELNS1_3gpuE5ELNS1_3repE0EEENS1_36merge_oddeven_config_static_selectorELNS0_4arch9wavefront6targetE0EEEvSF_.uses_flat_scratch, 0
	.set _ZN7rocprim17ROCPRIM_400000_NS6detail17trampoline_kernelINS0_14default_configENS1_38merge_sort_block_merge_config_selectorIlNS0_10empty_typeEEEZZNS1_27merge_sort_block_merge_implIS3_PlPS5_jNS1_19radix_merge_compareILb1ELb1ElNS0_19identity_decomposerEEEEE10hipError_tT0_T1_T2_jT3_P12ihipStream_tbPNSt15iterator_traitsISE_E10value_typeEPNSK_ISF_E10value_typeEPSG_NS1_7vsmem_tEENKUlT_SE_SF_SG_E_clIS8_S8_S9_S9_EESD_ST_SE_SF_SG_EUlST_E1_NS1_11comp_targetILNS1_3genE10ELNS1_11target_archE1201ELNS1_3gpuE5ELNS1_3repE0EEENS1_36merge_oddeven_config_static_selectorELNS0_4arch9wavefront6targetE0EEEvSF_.has_dyn_sized_stack, 0
	.set _ZN7rocprim17ROCPRIM_400000_NS6detail17trampoline_kernelINS0_14default_configENS1_38merge_sort_block_merge_config_selectorIlNS0_10empty_typeEEEZZNS1_27merge_sort_block_merge_implIS3_PlPS5_jNS1_19radix_merge_compareILb1ELb1ElNS0_19identity_decomposerEEEEE10hipError_tT0_T1_T2_jT3_P12ihipStream_tbPNSt15iterator_traitsISE_E10value_typeEPNSK_ISF_E10value_typeEPSG_NS1_7vsmem_tEENKUlT_SE_SF_SG_E_clIS8_S8_S9_S9_EESD_ST_SE_SF_SG_EUlST_E1_NS1_11comp_targetILNS1_3genE10ELNS1_11target_archE1201ELNS1_3gpuE5ELNS1_3repE0EEENS1_36merge_oddeven_config_static_selectorELNS0_4arch9wavefront6targetE0EEEvSF_.has_recursion, 0
	.set _ZN7rocprim17ROCPRIM_400000_NS6detail17trampoline_kernelINS0_14default_configENS1_38merge_sort_block_merge_config_selectorIlNS0_10empty_typeEEEZZNS1_27merge_sort_block_merge_implIS3_PlPS5_jNS1_19radix_merge_compareILb1ELb1ElNS0_19identity_decomposerEEEEE10hipError_tT0_T1_T2_jT3_P12ihipStream_tbPNSt15iterator_traitsISE_E10value_typeEPNSK_ISF_E10value_typeEPSG_NS1_7vsmem_tEENKUlT_SE_SF_SG_E_clIS8_S8_S9_S9_EESD_ST_SE_SF_SG_EUlST_E1_NS1_11comp_targetILNS1_3genE10ELNS1_11target_archE1201ELNS1_3gpuE5ELNS1_3repE0EEENS1_36merge_oddeven_config_static_selectorELNS0_4arch9wavefront6targetE0EEEvSF_.has_indirect_call, 0
	.section	.AMDGPU.csdata,"",@progbits
; Kernel info:
; codeLenInByte = 0
; TotalNumSgprs: 0
; NumVgprs: 0
; ScratchSize: 0
; MemoryBound: 0
; FloatMode: 240
; IeeeMode: 1
; LDSByteSize: 0 bytes/workgroup (compile time only)
; SGPRBlocks: 0
; VGPRBlocks: 0
; NumSGPRsForWavesPerEU: 1
; NumVGPRsForWavesPerEU: 1
; NamedBarCnt: 0
; Occupancy: 16
; WaveLimiterHint : 0
; COMPUTE_PGM_RSRC2:SCRATCH_EN: 0
; COMPUTE_PGM_RSRC2:USER_SGPR: 2
; COMPUTE_PGM_RSRC2:TRAP_HANDLER: 0
; COMPUTE_PGM_RSRC2:TGID_X_EN: 1
; COMPUTE_PGM_RSRC2:TGID_Y_EN: 0
; COMPUTE_PGM_RSRC2:TGID_Z_EN: 0
; COMPUTE_PGM_RSRC2:TIDIG_COMP_CNT: 0
	.section	.text._ZN7rocprim17ROCPRIM_400000_NS6detail17trampoline_kernelINS0_14default_configENS1_38merge_sort_block_merge_config_selectorIlNS0_10empty_typeEEEZZNS1_27merge_sort_block_merge_implIS3_PlPS5_jNS1_19radix_merge_compareILb1ELb1ElNS0_19identity_decomposerEEEEE10hipError_tT0_T1_T2_jT3_P12ihipStream_tbPNSt15iterator_traitsISE_E10value_typeEPNSK_ISF_E10value_typeEPSG_NS1_7vsmem_tEENKUlT_SE_SF_SG_E_clIS8_S8_S9_S9_EESD_ST_SE_SF_SG_EUlST_E1_NS1_11comp_targetILNS1_3genE5ELNS1_11target_archE942ELNS1_3gpuE9ELNS1_3repE0EEENS1_36merge_oddeven_config_static_selectorELNS0_4arch9wavefront6targetE0EEEvSF_,"axG",@progbits,_ZN7rocprim17ROCPRIM_400000_NS6detail17trampoline_kernelINS0_14default_configENS1_38merge_sort_block_merge_config_selectorIlNS0_10empty_typeEEEZZNS1_27merge_sort_block_merge_implIS3_PlPS5_jNS1_19radix_merge_compareILb1ELb1ElNS0_19identity_decomposerEEEEE10hipError_tT0_T1_T2_jT3_P12ihipStream_tbPNSt15iterator_traitsISE_E10value_typeEPNSK_ISF_E10value_typeEPSG_NS1_7vsmem_tEENKUlT_SE_SF_SG_E_clIS8_S8_S9_S9_EESD_ST_SE_SF_SG_EUlST_E1_NS1_11comp_targetILNS1_3genE5ELNS1_11target_archE942ELNS1_3gpuE9ELNS1_3repE0EEENS1_36merge_oddeven_config_static_selectorELNS0_4arch9wavefront6targetE0EEEvSF_,comdat
	.protected	_ZN7rocprim17ROCPRIM_400000_NS6detail17trampoline_kernelINS0_14default_configENS1_38merge_sort_block_merge_config_selectorIlNS0_10empty_typeEEEZZNS1_27merge_sort_block_merge_implIS3_PlPS5_jNS1_19radix_merge_compareILb1ELb1ElNS0_19identity_decomposerEEEEE10hipError_tT0_T1_T2_jT3_P12ihipStream_tbPNSt15iterator_traitsISE_E10value_typeEPNSK_ISF_E10value_typeEPSG_NS1_7vsmem_tEENKUlT_SE_SF_SG_E_clIS8_S8_S9_S9_EESD_ST_SE_SF_SG_EUlST_E1_NS1_11comp_targetILNS1_3genE5ELNS1_11target_archE942ELNS1_3gpuE9ELNS1_3repE0EEENS1_36merge_oddeven_config_static_selectorELNS0_4arch9wavefront6targetE0EEEvSF_ ; -- Begin function _ZN7rocprim17ROCPRIM_400000_NS6detail17trampoline_kernelINS0_14default_configENS1_38merge_sort_block_merge_config_selectorIlNS0_10empty_typeEEEZZNS1_27merge_sort_block_merge_implIS3_PlPS5_jNS1_19radix_merge_compareILb1ELb1ElNS0_19identity_decomposerEEEEE10hipError_tT0_T1_T2_jT3_P12ihipStream_tbPNSt15iterator_traitsISE_E10value_typeEPNSK_ISF_E10value_typeEPSG_NS1_7vsmem_tEENKUlT_SE_SF_SG_E_clIS8_S8_S9_S9_EESD_ST_SE_SF_SG_EUlST_E1_NS1_11comp_targetILNS1_3genE5ELNS1_11target_archE942ELNS1_3gpuE9ELNS1_3repE0EEENS1_36merge_oddeven_config_static_selectorELNS0_4arch9wavefront6targetE0EEEvSF_
	.globl	_ZN7rocprim17ROCPRIM_400000_NS6detail17trampoline_kernelINS0_14default_configENS1_38merge_sort_block_merge_config_selectorIlNS0_10empty_typeEEEZZNS1_27merge_sort_block_merge_implIS3_PlPS5_jNS1_19radix_merge_compareILb1ELb1ElNS0_19identity_decomposerEEEEE10hipError_tT0_T1_T2_jT3_P12ihipStream_tbPNSt15iterator_traitsISE_E10value_typeEPNSK_ISF_E10value_typeEPSG_NS1_7vsmem_tEENKUlT_SE_SF_SG_E_clIS8_S8_S9_S9_EESD_ST_SE_SF_SG_EUlST_E1_NS1_11comp_targetILNS1_3genE5ELNS1_11target_archE942ELNS1_3gpuE9ELNS1_3repE0EEENS1_36merge_oddeven_config_static_selectorELNS0_4arch9wavefront6targetE0EEEvSF_
	.p2align	8
	.type	_ZN7rocprim17ROCPRIM_400000_NS6detail17trampoline_kernelINS0_14default_configENS1_38merge_sort_block_merge_config_selectorIlNS0_10empty_typeEEEZZNS1_27merge_sort_block_merge_implIS3_PlPS5_jNS1_19radix_merge_compareILb1ELb1ElNS0_19identity_decomposerEEEEE10hipError_tT0_T1_T2_jT3_P12ihipStream_tbPNSt15iterator_traitsISE_E10value_typeEPNSK_ISF_E10value_typeEPSG_NS1_7vsmem_tEENKUlT_SE_SF_SG_E_clIS8_S8_S9_S9_EESD_ST_SE_SF_SG_EUlST_E1_NS1_11comp_targetILNS1_3genE5ELNS1_11target_archE942ELNS1_3gpuE9ELNS1_3repE0EEENS1_36merge_oddeven_config_static_selectorELNS0_4arch9wavefront6targetE0EEEvSF_,@function
_ZN7rocprim17ROCPRIM_400000_NS6detail17trampoline_kernelINS0_14default_configENS1_38merge_sort_block_merge_config_selectorIlNS0_10empty_typeEEEZZNS1_27merge_sort_block_merge_implIS3_PlPS5_jNS1_19radix_merge_compareILb1ELb1ElNS0_19identity_decomposerEEEEE10hipError_tT0_T1_T2_jT3_P12ihipStream_tbPNSt15iterator_traitsISE_E10value_typeEPNSK_ISF_E10value_typeEPSG_NS1_7vsmem_tEENKUlT_SE_SF_SG_E_clIS8_S8_S9_S9_EESD_ST_SE_SF_SG_EUlST_E1_NS1_11comp_targetILNS1_3genE5ELNS1_11target_archE942ELNS1_3gpuE9ELNS1_3repE0EEENS1_36merge_oddeven_config_static_selectorELNS0_4arch9wavefront6targetE0EEEvSF_: ; @_ZN7rocprim17ROCPRIM_400000_NS6detail17trampoline_kernelINS0_14default_configENS1_38merge_sort_block_merge_config_selectorIlNS0_10empty_typeEEEZZNS1_27merge_sort_block_merge_implIS3_PlPS5_jNS1_19radix_merge_compareILb1ELb1ElNS0_19identity_decomposerEEEEE10hipError_tT0_T1_T2_jT3_P12ihipStream_tbPNSt15iterator_traitsISE_E10value_typeEPNSK_ISF_E10value_typeEPSG_NS1_7vsmem_tEENKUlT_SE_SF_SG_E_clIS8_S8_S9_S9_EESD_ST_SE_SF_SG_EUlST_E1_NS1_11comp_targetILNS1_3genE5ELNS1_11target_archE942ELNS1_3gpuE9ELNS1_3repE0EEENS1_36merge_oddeven_config_static_selectorELNS0_4arch9wavefront6targetE0EEEvSF_
; %bb.0:
	.section	.rodata,"a",@progbits
	.p2align	6, 0x0
	.amdhsa_kernel _ZN7rocprim17ROCPRIM_400000_NS6detail17trampoline_kernelINS0_14default_configENS1_38merge_sort_block_merge_config_selectorIlNS0_10empty_typeEEEZZNS1_27merge_sort_block_merge_implIS3_PlPS5_jNS1_19radix_merge_compareILb1ELb1ElNS0_19identity_decomposerEEEEE10hipError_tT0_T1_T2_jT3_P12ihipStream_tbPNSt15iterator_traitsISE_E10value_typeEPNSK_ISF_E10value_typeEPSG_NS1_7vsmem_tEENKUlT_SE_SF_SG_E_clIS8_S8_S9_S9_EESD_ST_SE_SF_SG_EUlST_E1_NS1_11comp_targetILNS1_3genE5ELNS1_11target_archE942ELNS1_3gpuE9ELNS1_3repE0EEENS1_36merge_oddeven_config_static_selectorELNS0_4arch9wavefront6targetE0EEEvSF_
		.amdhsa_group_segment_fixed_size 0
		.amdhsa_private_segment_fixed_size 0
		.amdhsa_kernarg_size 48
		.amdhsa_user_sgpr_count 2
		.amdhsa_user_sgpr_dispatch_ptr 0
		.amdhsa_user_sgpr_queue_ptr 0
		.amdhsa_user_sgpr_kernarg_segment_ptr 1
		.amdhsa_user_sgpr_dispatch_id 0
		.amdhsa_user_sgpr_kernarg_preload_length 0
		.amdhsa_user_sgpr_kernarg_preload_offset 0
		.amdhsa_user_sgpr_private_segment_size 0
		.amdhsa_wavefront_size32 1
		.amdhsa_uses_dynamic_stack 0
		.amdhsa_enable_private_segment 0
		.amdhsa_system_sgpr_workgroup_id_x 1
		.amdhsa_system_sgpr_workgroup_id_y 0
		.amdhsa_system_sgpr_workgroup_id_z 0
		.amdhsa_system_sgpr_workgroup_info 0
		.amdhsa_system_vgpr_workitem_id 0
		.amdhsa_next_free_vgpr 1
		.amdhsa_next_free_sgpr 1
		.amdhsa_named_barrier_count 0
		.amdhsa_reserve_vcc 0
		.amdhsa_float_round_mode_32 0
		.amdhsa_float_round_mode_16_64 0
		.amdhsa_float_denorm_mode_32 3
		.amdhsa_float_denorm_mode_16_64 3
		.amdhsa_fp16_overflow 0
		.amdhsa_memory_ordered 1
		.amdhsa_forward_progress 1
		.amdhsa_inst_pref_size 0
		.amdhsa_round_robin_scheduling 0
		.amdhsa_exception_fp_ieee_invalid_op 0
		.amdhsa_exception_fp_denorm_src 0
		.amdhsa_exception_fp_ieee_div_zero 0
		.amdhsa_exception_fp_ieee_overflow 0
		.amdhsa_exception_fp_ieee_underflow 0
		.amdhsa_exception_fp_ieee_inexact 0
		.amdhsa_exception_int_div_zero 0
	.end_amdhsa_kernel
	.section	.text._ZN7rocprim17ROCPRIM_400000_NS6detail17trampoline_kernelINS0_14default_configENS1_38merge_sort_block_merge_config_selectorIlNS0_10empty_typeEEEZZNS1_27merge_sort_block_merge_implIS3_PlPS5_jNS1_19radix_merge_compareILb1ELb1ElNS0_19identity_decomposerEEEEE10hipError_tT0_T1_T2_jT3_P12ihipStream_tbPNSt15iterator_traitsISE_E10value_typeEPNSK_ISF_E10value_typeEPSG_NS1_7vsmem_tEENKUlT_SE_SF_SG_E_clIS8_S8_S9_S9_EESD_ST_SE_SF_SG_EUlST_E1_NS1_11comp_targetILNS1_3genE5ELNS1_11target_archE942ELNS1_3gpuE9ELNS1_3repE0EEENS1_36merge_oddeven_config_static_selectorELNS0_4arch9wavefront6targetE0EEEvSF_,"axG",@progbits,_ZN7rocprim17ROCPRIM_400000_NS6detail17trampoline_kernelINS0_14default_configENS1_38merge_sort_block_merge_config_selectorIlNS0_10empty_typeEEEZZNS1_27merge_sort_block_merge_implIS3_PlPS5_jNS1_19radix_merge_compareILb1ELb1ElNS0_19identity_decomposerEEEEE10hipError_tT0_T1_T2_jT3_P12ihipStream_tbPNSt15iterator_traitsISE_E10value_typeEPNSK_ISF_E10value_typeEPSG_NS1_7vsmem_tEENKUlT_SE_SF_SG_E_clIS8_S8_S9_S9_EESD_ST_SE_SF_SG_EUlST_E1_NS1_11comp_targetILNS1_3genE5ELNS1_11target_archE942ELNS1_3gpuE9ELNS1_3repE0EEENS1_36merge_oddeven_config_static_selectorELNS0_4arch9wavefront6targetE0EEEvSF_,comdat
.Lfunc_end1064:
	.size	_ZN7rocprim17ROCPRIM_400000_NS6detail17trampoline_kernelINS0_14default_configENS1_38merge_sort_block_merge_config_selectorIlNS0_10empty_typeEEEZZNS1_27merge_sort_block_merge_implIS3_PlPS5_jNS1_19radix_merge_compareILb1ELb1ElNS0_19identity_decomposerEEEEE10hipError_tT0_T1_T2_jT3_P12ihipStream_tbPNSt15iterator_traitsISE_E10value_typeEPNSK_ISF_E10value_typeEPSG_NS1_7vsmem_tEENKUlT_SE_SF_SG_E_clIS8_S8_S9_S9_EESD_ST_SE_SF_SG_EUlST_E1_NS1_11comp_targetILNS1_3genE5ELNS1_11target_archE942ELNS1_3gpuE9ELNS1_3repE0EEENS1_36merge_oddeven_config_static_selectorELNS0_4arch9wavefront6targetE0EEEvSF_, .Lfunc_end1064-_ZN7rocprim17ROCPRIM_400000_NS6detail17trampoline_kernelINS0_14default_configENS1_38merge_sort_block_merge_config_selectorIlNS0_10empty_typeEEEZZNS1_27merge_sort_block_merge_implIS3_PlPS5_jNS1_19radix_merge_compareILb1ELb1ElNS0_19identity_decomposerEEEEE10hipError_tT0_T1_T2_jT3_P12ihipStream_tbPNSt15iterator_traitsISE_E10value_typeEPNSK_ISF_E10value_typeEPSG_NS1_7vsmem_tEENKUlT_SE_SF_SG_E_clIS8_S8_S9_S9_EESD_ST_SE_SF_SG_EUlST_E1_NS1_11comp_targetILNS1_3genE5ELNS1_11target_archE942ELNS1_3gpuE9ELNS1_3repE0EEENS1_36merge_oddeven_config_static_selectorELNS0_4arch9wavefront6targetE0EEEvSF_
                                        ; -- End function
	.set _ZN7rocprim17ROCPRIM_400000_NS6detail17trampoline_kernelINS0_14default_configENS1_38merge_sort_block_merge_config_selectorIlNS0_10empty_typeEEEZZNS1_27merge_sort_block_merge_implIS3_PlPS5_jNS1_19radix_merge_compareILb1ELb1ElNS0_19identity_decomposerEEEEE10hipError_tT0_T1_T2_jT3_P12ihipStream_tbPNSt15iterator_traitsISE_E10value_typeEPNSK_ISF_E10value_typeEPSG_NS1_7vsmem_tEENKUlT_SE_SF_SG_E_clIS8_S8_S9_S9_EESD_ST_SE_SF_SG_EUlST_E1_NS1_11comp_targetILNS1_3genE5ELNS1_11target_archE942ELNS1_3gpuE9ELNS1_3repE0EEENS1_36merge_oddeven_config_static_selectorELNS0_4arch9wavefront6targetE0EEEvSF_.num_vgpr, 0
	.set _ZN7rocprim17ROCPRIM_400000_NS6detail17trampoline_kernelINS0_14default_configENS1_38merge_sort_block_merge_config_selectorIlNS0_10empty_typeEEEZZNS1_27merge_sort_block_merge_implIS3_PlPS5_jNS1_19radix_merge_compareILb1ELb1ElNS0_19identity_decomposerEEEEE10hipError_tT0_T1_T2_jT3_P12ihipStream_tbPNSt15iterator_traitsISE_E10value_typeEPNSK_ISF_E10value_typeEPSG_NS1_7vsmem_tEENKUlT_SE_SF_SG_E_clIS8_S8_S9_S9_EESD_ST_SE_SF_SG_EUlST_E1_NS1_11comp_targetILNS1_3genE5ELNS1_11target_archE942ELNS1_3gpuE9ELNS1_3repE0EEENS1_36merge_oddeven_config_static_selectorELNS0_4arch9wavefront6targetE0EEEvSF_.num_agpr, 0
	.set _ZN7rocprim17ROCPRIM_400000_NS6detail17trampoline_kernelINS0_14default_configENS1_38merge_sort_block_merge_config_selectorIlNS0_10empty_typeEEEZZNS1_27merge_sort_block_merge_implIS3_PlPS5_jNS1_19radix_merge_compareILb1ELb1ElNS0_19identity_decomposerEEEEE10hipError_tT0_T1_T2_jT3_P12ihipStream_tbPNSt15iterator_traitsISE_E10value_typeEPNSK_ISF_E10value_typeEPSG_NS1_7vsmem_tEENKUlT_SE_SF_SG_E_clIS8_S8_S9_S9_EESD_ST_SE_SF_SG_EUlST_E1_NS1_11comp_targetILNS1_3genE5ELNS1_11target_archE942ELNS1_3gpuE9ELNS1_3repE0EEENS1_36merge_oddeven_config_static_selectorELNS0_4arch9wavefront6targetE0EEEvSF_.numbered_sgpr, 0
	.set _ZN7rocprim17ROCPRIM_400000_NS6detail17trampoline_kernelINS0_14default_configENS1_38merge_sort_block_merge_config_selectorIlNS0_10empty_typeEEEZZNS1_27merge_sort_block_merge_implIS3_PlPS5_jNS1_19radix_merge_compareILb1ELb1ElNS0_19identity_decomposerEEEEE10hipError_tT0_T1_T2_jT3_P12ihipStream_tbPNSt15iterator_traitsISE_E10value_typeEPNSK_ISF_E10value_typeEPSG_NS1_7vsmem_tEENKUlT_SE_SF_SG_E_clIS8_S8_S9_S9_EESD_ST_SE_SF_SG_EUlST_E1_NS1_11comp_targetILNS1_3genE5ELNS1_11target_archE942ELNS1_3gpuE9ELNS1_3repE0EEENS1_36merge_oddeven_config_static_selectorELNS0_4arch9wavefront6targetE0EEEvSF_.num_named_barrier, 0
	.set _ZN7rocprim17ROCPRIM_400000_NS6detail17trampoline_kernelINS0_14default_configENS1_38merge_sort_block_merge_config_selectorIlNS0_10empty_typeEEEZZNS1_27merge_sort_block_merge_implIS3_PlPS5_jNS1_19radix_merge_compareILb1ELb1ElNS0_19identity_decomposerEEEEE10hipError_tT0_T1_T2_jT3_P12ihipStream_tbPNSt15iterator_traitsISE_E10value_typeEPNSK_ISF_E10value_typeEPSG_NS1_7vsmem_tEENKUlT_SE_SF_SG_E_clIS8_S8_S9_S9_EESD_ST_SE_SF_SG_EUlST_E1_NS1_11comp_targetILNS1_3genE5ELNS1_11target_archE942ELNS1_3gpuE9ELNS1_3repE0EEENS1_36merge_oddeven_config_static_selectorELNS0_4arch9wavefront6targetE0EEEvSF_.private_seg_size, 0
	.set _ZN7rocprim17ROCPRIM_400000_NS6detail17trampoline_kernelINS0_14default_configENS1_38merge_sort_block_merge_config_selectorIlNS0_10empty_typeEEEZZNS1_27merge_sort_block_merge_implIS3_PlPS5_jNS1_19radix_merge_compareILb1ELb1ElNS0_19identity_decomposerEEEEE10hipError_tT0_T1_T2_jT3_P12ihipStream_tbPNSt15iterator_traitsISE_E10value_typeEPNSK_ISF_E10value_typeEPSG_NS1_7vsmem_tEENKUlT_SE_SF_SG_E_clIS8_S8_S9_S9_EESD_ST_SE_SF_SG_EUlST_E1_NS1_11comp_targetILNS1_3genE5ELNS1_11target_archE942ELNS1_3gpuE9ELNS1_3repE0EEENS1_36merge_oddeven_config_static_selectorELNS0_4arch9wavefront6targetE0EEEvSF_.uses_vcc, 0
	.set _ZN7rocprim17ROCPRIM_400000_NS6detail17trampoline_kernelINS0_14default_configENS1_38merge_sort_block_merge_config_selectorIlNS0_10empty_typeEEEZZNS1_27merge_sort_block_merge_implIS3_PlPS5_jNS1_19radix_merge_compareILb1ELb1ElNS0_19identity_decomposerEEEEE10hipError_tT0_T1_T2_jT3_P12ihipStream_tbPNSt15iterator_traitsISE_E10value_typeEPNSK_ISF_E10value_typeEPSG_NS1_7vsmem_tEENKUlT_SE_SF_SG_E_clIS8_S8_S9_S9_EESD_ST_SE_SF_SG_EUlST_E1_NS1_11comp_targetILNS1_3genE5ELNS1_11target_archE942ELNS1_3gpuE9ELNS1_3repE0EEENS1_36merge_oddeven_config_static_selectorELNS0_4arch9wavefront6targetE0EEEvSF_.uses_flat_scratch, 0
	.set _ZN7rocprim17ROCPRIM_400000_NS6detail17trampoline_kernelINS0_14default_configENS1_38merge_sort_block_merge_config_selectorIlNS0_10empty_typeEEEZZNS1_27merge_sort_block_merge_implIS3_PlPS5_jNS1_19radix_merge_compareILb1ELb1ElNS0_19identity_decomposerEEEEE10hipError_tT0_T1_T2_jT3_P12ihipStream_tbPNSt15iterator_traitsISE_E10value_typeEPNSK_ISF_E10value_typeEPSG_NS1_7vsmem_tEENKUlT_SE_SF_SG_E_clIS8_S8_S9_S9_EESD_ST_SE_SF_SG_EUlST_E1_NS1_11comp_targetILNS1_3genE5ELNS1_11target_archE942ELNS1_3gpuE9ELNS1_3repE0EEENS1_36merge_oddeven_config_static_selectorELNS0_4arch9wavefront6targetE0EEEvSF_.has_dyn_sized_stack, 0
	.set _ZN7rocprim17ROCPRIM_400000_NS6detail17trampoline_kernelINS0_14default_configENS1_38merge_sort_block_merge_config_selectorIlNS0_10empty_typeEEEZZNS1_27merge_sort_block_merge_implIS3_PlPS5_jNS1_19radix_merge_compareILb1ELb1ElNS0_19identity_decomposerEEEEE10hipError_tT0_T1_T2_jT3_P12ihipStream_tbPNSt15iterator_traitsISE_E10value_typeEPNSK_ISF_E10value_typeEPSG_NS1_7vsmem_tEENKUlT_SE_SF_SG_E_clIS8_S8_S9_S9_EESD_ST_SE_SF_SG_EUlST_E1_NS1_11comp_targetILNS1_3genE5ELNS1_11target_archE942ELNS1_3gpuE9ELNS1_3repE0EEENS1_36merge_oddeven_config_static_selectorELNS0_4arch9wavefront6targetE0EEEvSF_.has_recursion, 0
	.set _ZN7rocprim17ROCPRIM_400000_NS6detail17trampoline_kernelINS0_14default_configENS1_38merge_sort_block_merge_config_selectorIlNS0_10empty_typeEEEZZNS1_27merge_sort_block_merge_implIS3_PlPS5_jNS1_19radix_merge_compareILb1ELb1ElNS0_19identity_decomposerEEEEE10hipError_tT0_T1_T2_jT3_P12ihipStream_tbPNSt15iterator_traitsISE_E10value_typeEPNSK_ISF_E10value_typeEPSG_NS1_7vsmem_tEENKUlT_SE_SF_SG_E_clIS8_S8_S9_S9_EESD_ST_SE_SF_SG_EUlST_E1_NS1_11comp_targetILNS1_3genE5ELNS1_11target_archE942ELNS1_3gpuE9ELNS1_3repE0EEENS1_36merge_oddeven_config_static_selectorELNS0_4arch9wavefront6targetE0EEEvSF_.has_indirect_call, 0
	.section	.AMDGPU.csdata,"",@progbits
; Kernel info:
; codeLenInByte = 0
; TotalNumSgprs: 0
; NumVgprs: 0
; ScratchSize: 0
; MemoryBound: 0
; FloatMode: 240
; IeeeMode: 1
; LDSByteSize: 0 bytes/workgroup (compile time only)
; SGPRBlocks: 0
; VGPRBlocks: 0
; NumSGPRsForWavesPerEU: 1
; NumVGPRsForWavesPerEU: 1
; NamedBarCnt: 0
; Occupancy: 16
; WaveLimiterHint : 0
; COMPUTE_PGM_RSRC2:SCRATCH_EN: 0
; COMPUTE_PGM_RSRC2:USER_SGPR: 2
; COMPUTE_PGM_RSRC2:TRAP_HANDLER: 0
; COMPUTE_PGM_RSRC2:TGID_X_EN: 1
; COMPUTE_PGM_RSRC2:TGID_Y_EN: 0
; COMPUTE_PGM_RSRC2:TGID_Z_EN: 0
; COMPUTE_PGM_RSRC2:TIDIG_COMP_CNT: 0
	.section	.text._ZN7rocprim17ROCPRIM_400000_NS6detail17trampoline_kernelINS0_14default_configENS1_38merge_sort_block_merge_config_selectorIlNS0_10empty_typeEEEZZNS1_27merge_sort_block_merge_implIS3_PlPS5_jNS1_19radix_merge_compareILb1ELb1ElNS0_19identity_decomposerEEEEE10hipError_tT0_T1_T2_jT3_P12ihipStream_tbPNSt15iterator_traitsISE_E10value_typeEPNSK_ISF_E10value_typeEPSG_NS1_7vsmem_tEENKUlT_SE_SF_SG_E_clIS8_S8_S9_S9_EESD_ST_SE_SF_SG_EUlST_E1_NS1_11comp_targetILNS1_3genE4ELNS1_11target_archE910ELNS1_3gpuE8ELNS1_3repE0EEENS1_36merge_oddeven_config_static_selectorELNS0_4arch9wavefront6targetE0EEEvSF_,"axG",@progbits,_ZN7rocprim17ROCPRIM_400000_NS6detail17trampoline_kernelINS0_14default_configENS1_38merge_sort_block_merge_config_selectorIlNS0_10empty_typeEEEZZNS1_27merge_sort_block_merge_implIS3_PlPS5_jNS1_19radix_merge_compareILb1ELb1ElNS0_19identity_decomposerEEEEE10hipError_tT0_T1_T2_jT3_P12ihipStream_tbPNSt15iterator_traitsISE_E10value_typeEPNSK_ISF_E10value_typeEPSG_NS1_7vsmem_tEENKUlT_SE_SF_SG_E_clIS8_S8_S9_S9_EESD_ST_SE_SF_SG_EUlST_E1_NS1_11comp_targetILNS1_3genE4ELNS1_11target_archE910ELNS1_3gpuE8ELNS1_3repE0EEENS1_36merge_oddeven_config_static_selectorELNS0_4arch9wavefront6targetE0EEEvSF_,comdat
	.protected	_ZN7rocprim17ROCPRIM_400000_NS6detail17trampoline_kernelINS0_14default_configENS1_38merge_sort_block_merge_config_selectorIlNS0_10empty_typeEEEZZNS1_27merge_sort_block_merge_implIS3_PlPS5_jNS1_19radix_merge_compareILb1ELb1ElNS0_19identity_decomposerEEEEE10hipError_tT0_T1_T2_jT3_P12ihipStream_tbPNSt15iterator_traitsISE_E10value_typeEPNSK_ISF_E10value_typeEPSG_NS1_7vsmem_tEENKUlT_SE_SF_SG_E_clIS8_S8_S9_S9_EESD_ST_SE_SF_SG_EUlST_E1_NS1_11comp_targetILNS1_3genE4ELNS1_11target_archE910ELNS1_3gpuE8ELNS1_3repE0EEENS1_36merge_oddeven_config_static_selectorELNS0_4arch9wavefront6targetE0EEEvSF_ ; -- Begin function _ZN7rocprim17ROCPRIM_400000_NS6detail17trampoline_kernelINS0_14default_configENS1_38merge_sort_block_merge_config_selectorIlNS0_10empty_typeEEEZZNS1_27merge_sort_block_merge_implIS3_PlPS5_jNS1_19radix_merge_compareILb1ELb1ElNS0_19identity_decomposerEEEEE10hipError_tT0_T1_T2_jT3_P12ihipStream_tbPNSt15iterator_traitsISE_E10value_typeEPNSK_ISF_E10value_typeEPSG_NS1_7vsmem_tEENKUlT_SE_SF_SG_E_clIS8_S8_S9_S9_EESD_ST_SE_SF_SG_EUlST_E1_NS1_11comp_targetILNS1_3genE4ELNS1_11target_archE910ELNS1_3gpuE8ELNS1_3repE0EEENS1_36merge_oddeven_config_static_selectorELNS0_4arch9wavefront6targetE0EEEvSF_
	.globl	_ZN7rocprim17ROCPRIM_400000_NS6detail17trampoline_kernelINS0_14default_configENS1_38merge_sort_block_merge_config_selectorIlNS0_10empty_typeEEEZZNS1_27merge_sort_block_merge_implIS3_PlPS5_jNS1_19radix_merge_compareILb1ELb1ElNS0_19identity_decomposerEEEEE10hipError_tT0_T1_T2_jT3_P12ihipStream_tbPNSt15iterator_traitsISE_E10value_typeEPNSK_ISF_E10value_typeEPSG_NS1_7vsmem_tEENKUlT_SE_SF_SG_E_clIS8_S8_S9_S9_EESD_ST_SE_SF_SG_EUlST_E1_NS1_11comp_targetILNS1_3genE4ELNS1_11target_archE910ELNS1_3gpuE8ELNS1_3repE0EEENS1_36merge_oddeven_config_static_selectorELNS0_4arch9wavefront6targetE0EEEvSF_
	.p2align	8
	.type	_ZN7rocprim17ROCPRIM_400000_NS6detail17trampoline_kernelINS0_14default_configENS1_38merge_sort_block_merge_config_selectorIlNS0_10empty_typeEEEZZNS1_27merge_sort_block_merge_implIS3_PlPS5_jNS1_19radix_merge_compareILb1ELb1ElNS0_19identity_decomposerEEEEE10hipError_tT0_T1_T2_jT3_P12ihipStream_tbPNSt15iterator_traitsISE_E10value_typeEPNSK_ISF_E10value_typeEPSG_NS1_7vsmem_tEENKUlT_SE_SF_SG_E_clIS8_S8_S9_S9_EESD_ST_SE_SF_SG_EUlST_E1_NS1_11comp_targetILNS1_3genE4ELNS1_11target_archE910ELNS1_3gpuE8ELNS1_3repE0EEENS1_36merge_oddeven_config_static_selectorELNS0_4arch9wavefront6targetE0EEEvSF_,@function
_ZN7rocprim17ROCPRIM_400000_NS6detail17trampoline_kernelINS0_14default_configENS1_38merge_sort_block_merge_config_selectorIlNS0_10empty_typeEEEZZNS1_27merge_sort_block_merge_implIS3_PlPS5_jNS1_19radix_merge_compareILb1ELb1ElNS0_19identity_decomposerEEEEE10hipError_tT0_T1_T2_jT3_P12ihipStream_tbPNSt15iterator_traitsISE_E10value_typeEPNSK_ISF_E10value_typeEPSG_NS1_7vsmem_tEENKUlT_SE_SF_SG_E_clIS8_S8_S9_S9_EESD_ST_SE_SF_SG_EUlST_E1_NS1_11comp_targetILNS1_3genE4ELNS1_11target_archE910ELNS1_3gpuE8ELNS1_3repE0EEENS1_36merge_oddeven_config_static_selectorELNS0_4arch9wavefront6targetE0EEEvSF_: ; @_ZN7rocprim17ROCPRIM_400000_NS6detail17trampoline_kernelINS0_14default_configENS1_38merge_sort_block_merge_config_selectorIlNS0_10empty_typeEEEZZNS1_27merge_sort_block_merge_implIS3_PlPS5_jNS1_19radix_merge_compareILb1ELb1ElNS0_19identity_decomposerEEEEE10hipError_tT0_T1_T2_jT3_P12ihipStream_tbPNSt15iterator_traitsISE_E10value_typeEPNSK_ISF_E10value_typeEPSG_NS1_7vsmem_tEENKUlT_SE_SF_SG_E_clIS8_S8_S9_S9_EESD_ST_SE_SF_SG_EUlST_E1_NS1_11comp_targetILNS1_3genE4ELNS1_11target_archE910ELNS1_3gpuE8ELNS1_3repE0EEENS1_36merge_oddeven_config_static_selectorELNS0_4arch9wavefront6targetE0EEEvSF_
; %bb.0:
	.section	.rodata,"a",@progbits
	.p2align	6, 0x0
	.amdhsa_kernel _ZN7rocprim17ROCPRIM_400000_NS6detail17trampoline_kernelINS0_14default_configENS1_38merge_sort_block_merge_config_selectorIlNS0_10empty_typeEEEZZNS1_27merge_sort_block_merge_implIS3_PlPS5_jNS1_19radix_merge_compareILb1ELb1ElNS0_19identity_decomposerEEEEE10hipError_tT0_T1_T2_jT3_P12ihipStream_tbPNSt15iterator_traitsISE_E10value_typeEPNSK_ISF_E10value_typeEPSG_NS1_7vsmem_tEENKUlT_SE_SF_SG_E_clIS8_S8_S9_S9_EESD_ST_SE_SF_SG_EUlST_E1_NS1_11comp_targetILNS1_3genE4ELNS1_11target_archE910ELNS1_3gpuE8ELNS1_3repE0EEENS1_36merge_oddeven_config_static_selectorELNS0_4arch9wavefront6targetE0EEEvSF_
		.amdhsa_group_segment_fixed_size 0
		.amdhsa_private_segment_fixed_size 0
		.amdhsa_kernarg_size 48
		.amdhsa_user_sgpr_count 2
		.amdhsa_user_sgpr_dispatch_ptr 0
		.amdhsa_user_sgpr_queue_ptr 0
		.amdhsa_user_sgpr_kernarg_segment_ptr 1
		.amdhsa_user_sgpr_dispatch_id 0
		.amdhsa_user_sgpr_kernarg_preload_length 0
		.amdhsa_user_sgpr_kernarg_preload_offset 0
		.amdhsa_user_sgpr_private_segment_size 0
		.amdhsa_wavefront_size32 1
		.amdhsa_uses_dynamic_stack 0
		.amdhsa_enable_private_segment 0
		.amdhsa_system_sgpr_workgroup_id_x 1
		.amdhsa_system_sgpr_workgroup_id_y 0
		.amdhsa_system_sgpr_workgroup_id_z 0
		.amdhsa_system_sgpr_workgroup_info 0
		.amdhsa_system_vgpr_workitem_id 0
		.amdhsa_next_free_vgpr 1
		.amdhsa_next_free_sgpr 1
		.amdhsa_named_barrier_count 0
		.amdhsa_reserve_vcc 0
		.amdhsa_float_round_mode_32 0
		.amdhsa_float_round_mode_16_64 0
		.amdhsa_float_denorm_mode_32 3
		.amdhsa_float_denorm_mode_16_64 3
		.amdhsa_fp16_overflow 0
		.amdhsa_memory_ordered 1
		.amdhsa_forward_progress 1
		.amdhsa_inst_pref_size 0
		.amdhsa_round_robin_scheduling 0
		.amdhsa_exception_fp_ieee_invalid_op 0
		.amdhsa_exception_fp_denorm_src 0
		.amdhsa_exception_fp_ieee_div_zero 0
		.amdhsa_exception_fp_ieee_overflow 0
		.amdhsa_exception_fp_ieee_underflow 0
		.amdhsa_exception_fp_ieee_inexact 0
		.amdhsa_exception_int_div_zero 0
	.end_amdhsa_kernel
	.section	.text._ZN7rocprim17ROCPRIM_400000_NS6detail17trampoline_kernelINS0_14default_configENS1_38merge_sort_block_merge_config_selectorIlNS0_10empty_typeEEEZZNS1_27merge_sort_block_merge_implIS3_PlPS5_jNS1_19radix_merge_compareILb1ELb1ElNS0_19identity_decomposerEEEEE10hipError_tT0_T1_T2_jT3_P12ihipStream_tbPNSt15iterator_traitsISE_E10value_typeEPNSK_ISF_E10value_typeEPSG_NS1_7vsmem_tEENKUlT_SE_SF_SG_E_clIS8_S8_S9_S9_EESD_ST_SE_SF_SG_EUlST_E1_NS1_11comp_targetILNS1_3genE4ELNS1_11target_archE910ELNS1_3gpuE8ELNS1_3repE0EEENS1_36merge_oddeven_config_static_selectorELNS0_4arch9wavefront6targetE0EEEvSF_,"axG",@progbits,_ZN7rocprim17ROCPRIM_400000_NS6detail17trampoline_kernelINS0_14default_configENS1_38merge_sort_block_merge_config_selectorIlNS0_10empty_typeEEEZZNS1_27merge_sort_block_merge_implIS3_PlPS5_jNS1_19radix_merge_compareILb1ELb1ElNS0_19identity_decomposerEEEEE10hipError_tT0_T1_T2_jT3_P12ihipStream_tbPNSt15iterator_traitsISE_E10value_typeEPNSK_ISF_E10value_typeEPSG_NS1_7vsmem_tEENKUlT_SE_SF_SG_E_clIS8_S8_S9_S9_EESD_ST_SE_SF_SG_EUlST_E1_NS1_11comp_targetILNS1_3genE4ELNS1_11target_archE910ELNS1_3gpuE8ELNS1_3repE0EEENS1_36merge_oddeven_config_static_selectorELNS0_4arch9wavefront6targetE0EEEvSF_,comdat
.Lfunc_end1065:
	.size	_ZN7rocprim17ROCPRIM_400000_NS6detail17trampoline_kernelINS0_14default_configENS1_38merge_sort_block_merge_config_selectorIlNS0_10empty_typeEEEZZNS1_27merge_sort_block_merge_implIS3_PlPS5_jNS1_19radix_merge_compareILb1ELb1ElNS0_19identity_decomposerEEEEE10hipError_tT0_T1_T2_jT3_P12ihipStream_tbPNSt15iterator_traitsISE_E10value_typeEPNSK_ISF_E10value_typeEPSG_NS1_7vsmem_tEENKUlT_SE_SF_SG_E_clIS8_S8_S9_S9_EESD_ST_SE_SF_SG_EUlST_E1_NS1_11comp_targetILNS1_3genE4ELNS1_11target_archE910ELNS1_3gpuE8ELNS1_3repE0EEENS1_36merge_oddeven_config_static_selectorELNS0_4arch9wavefront6targetE0EEEvSF_, .Lfunc_end1065-_ZN7rocprim17ROCPRIM_400000_NS6detail17trampoline_kernelINS0_14default_configENS1_38merge_sort_block_merge_config_selectorIlNS0_10empty_typeEEEZZNS1_27merge_sort_block_merge_implIS3_PlPS5_jNS1_19radix_merge_compareILb1ELb1ElNS0_19identity_decomposerEEEEE10hipError_tT0_T1_T2_jT3_P12ihipStream_tbPNSt15iterator_traitsISE_E10value_typeEPNSK_ISF_E10value_typeEPSG_NS1_7vsmem_tEENKUlT_SE_SF_SG_E_clIS8_S8_S9_S9_EESD_ST_SE_SF_SG_EUlST_E1_NS1_11comp_targetILNS1_3genE4ELNS1_11target_archE910ELNS1_3gpuE8ELNS1_3repE0EEENS1_36merge_oddeven_config_static_selectorELNS0_4arch9wavefront6targetE0EEEvSF_
                                        ; -- End function
	.set _ZN7rocprim17ROCPRIM_400000_NS6detail17trampoline_kernelINS0_14default_configENS1_38merge_sort_block_merge_config_selectorIlNS0_10empty_typeEEEZZNS1_27merge_sort_block_merge_implIS3_PlPS5_jNS1_19radix_merge_compareILb1ELb1ElNS0_19identity_decomposerEEEEE10hipError_tT0_T1_T2_jT3_P12ihipStream_tbPNSt15iterator_traitsISE_E10value_typeEPNSK_ISF_E10value_typeEPSG_NS1_7vsmem_tEENKUlT_SE_SF_SG_E_clIS8_S8_S9_S9_EESD_ST_SE_SF_SG_EUlST_E1_NS1_11comp_targetILNS1_3genE4ELNS1_11target_archE910ELNS1_3gpuE8ELNS1_3repE0EEENS1_36merge_oddeven_config_static_selectorELNS0_4arch9wavefront6targetE0EEEvSF_.num_vgpr, 0
	.set _ZN7rocprim17ROCPRIM_400000_NS6detail17trampoline_kernelINS0_14default_configENS1_38merge_sort_block_merge_config_selectorIlNS0_10empty_typeEEEZZNS1_27merge_sort_block_merge_implIS3_PlPS5_jNS1_19radix_merge_compareILb1ELb1ElNS0_19identity_decomposerEEEEE10hipError_tT0_T1_T2_jT3_P12ihipStream_tbPNSt15iterator_traitsISE_E10value_typeEPNSK_ISF_E10value_typeEPSG_NS1_7vsmem_tEENKUlT_SE_SF_SG_E_clIS8_S8_S9_S9_EESD_ST_SE_SF_SG_EUlST_E1_NS1_11comp_targetILNS1_3genE4ELNS1_11target_archE910ELNS1_3gpuE8ELNS1_3repE0EEENS1_36merge_oddeven_config_static_selectorELNS0_4arch9wavefront6targetE0EEEvSF_.num_agpr, 0
	.set _ZN7rocprim17ROCPRIM_400000_NS6detail17trampoline_kernelINS0_14default_configENS1_38merge_sort_block_merge_config_selectorIlNS0_10empty_typeEEEZZNS1_27merge_sort_block_merge_implIS3_PlPS5_jNS1_19radix_merge_compareILb1ELb1ElNS0_19identity_decomposerEEEEE10hipError_tT0_T1_T2_jT3_P12ihipStream_tbPNSt15iterator_traitsISE_E10value_typeEPNSK_ISF_E10value_typeEPSG_NS1_7vsmem_tEENKUlT_SE_SF_SG_E_clIS8_S8_S9_S9_EESD_ST_SE_SF_SG_EUlST_E1_NS1_11comp_targetILNS1_3genE4ELNS1_11target_archE910ELNS1_3gpuE8ELNS1_3repE0EEENS1_36merge_oddeven_config_static_selectorELNS0_4arch9wavefront6targetE0EEEvSF_.numbered_sgpr, 0
	.set _ZN7rocprim17ROCPRIM_400000_NS6detail17trampoline_kernelINS0_14default_configENS1_38merge_sort_block_merge_config_selectorIlNS0_10empty_typeEEEZZNS1_27merge_sort_block_merge_implIS3_PlPS5_jNS1_19radix_merge_compareILb1ELb1ElNS0_19identity_decomposerEEEEE10hipError_tT0_T1_T2_jT3_P12ihipStream_tbPNSt15iterator_traitsISE_E10value_typeEPNSK_ISF_E10value_typeEPSG_NS1_7vsmem_tEENKUlT_SE_SF_SG_E_clIS8_S8_S9_S9_EESD_ST_SE_SF_SG_EUlST_E1_NS1_11comp_targetILNS1_3genE4ELNS1_11target_archE910ELNS1_3gpuE8ELNS1_3repE0EEENS1_36merge_oddeven_config_static_selectorELNS0_4arch9wavefront6targetE0EEEvSF_.num_named_barrier, 0
	.set _ZN7rocprim17ROCPRIM_400000_NS6detail17trampoline_kernelINS0_14default_configENS1_38merge_sort_block_merge_config_selectorIlNS0_10empty_typeEEEZZNS1_27merge_sort_block_merge_implIS3_PlPS5_jNS1_19radix_merge_compareILb1ELb1ElNS0_19identity_decomposerEEEEE10hipError_tT0_T1_T2_jT3_P12ihipStream_tbPNSt15iterator_traitsISE_E10value_typeEPNSK_ISF_E10value_typeEPSG_NS1_7vsmem_tEENKUlT_SE_SF_SG_E_clIS8_S8_S9_S9_EESD_ST_SE_SF_SG_EUlST_E1_NS1_11comp_targetILNS1_3genE4ELNS1_11target_archE910ELNS1_3gpuE8ELNS1_3repE0EEENS1_36merge_oddeven_config_static_selectorELNS0_4arch9wavefront6targetE0EEEvSF_.private_seg_size, 0
	.set _ZN7rocprim17ROCPRIM_400000_NS6detail17trampoline_kernelINS0_14default_configENS1_38merge_sort_block_merge_config_selectorIlNS0_10empty_typeEEEZZNS1_27merge_sort_block_merge_implIS3_PlPS5_jNS1_19radix_merge_compareILb1ELb1ElNS0_19identity_decomposerEEEEE10hipError_tT0_T1_T2_jT3_P12ihipStream_tbPNSt15iterator_traitsISE_E10value_typeEPNSK_ISF_E10value_typeEPSG_NS1_7vsmem_tEENKUlT_SE_SF_SG_E_clIS8_S8_S9_S9_EESD_ST_SE_SF_SG_EUlST_E1_NS1_11comp_targetILNS1_3genE4ELNS1_11target_archE910ELNS1_3gpuE8ELNS1_3repE0EEENS1_36merge_oddeven_config_static_selectorELNS0_4arch9wavefront6targetE0EEEvSF_.uses_vcc, 0
	.set _ZN7rocprim17ROCPRIM_400000_NS6detail17trampoline_kernelINS0_14default_configENS1_38merge_sort_block_merge_config_selectorIlNS0_10empty_typeEEEZZNS1_27merge_sort_block_merge_implIS3_PlPS5_jNS1_19radix_merge_compareILb1ELb1ElNS0_19identity_decomposerEEEEE10hipError_tT0_T1_T2_jT3_P12ihipStream_tbPNSt15iterator_traitsISE_E10value_typeEPNSK_ISF_E10value_typeEPSG_NS1_7vsmem_tEENKUlT_SE_SF_SG_E_clIS8_S8_S9_S9_EESD_ST_SE_SF_SG_EUlST_E1_NS1_11comp_targetILNS1_3genE4ELNS1_11target_archE910ELNS1_3gpuE8ELNS1_3repE0EEENS1_36merge_oddeven_config_static_selectorELNS0_4arch9wavefront6targetE0EEEvSF_.uses_flat_scratch, 0
	.set _ZN7rocprim17ROCPRIM_400000_NS6detail17trampoline_kernelINS0_14default_configENS1_38merge_sort_block_merge_config_selectorIlNS0_10empty_typeEEEZZNS1_27merge_sort_block_merge_implIS3_PlPS5_jNS1_19radix_merge_compareILb1ELb1ElNS0_19identity_decomposerEEEEE10hipError_tT0_T1_T2_jT3_P12ihipStream_tbPNSt15iterator_traitsISE_E10value_typeEPNSK_ISF_E10value_typeEPSG_NS1_7vsmem_tEENKUlT_SE_SF_SG_E_clIS8_S8_S9_S9_EESD_ST_SE_SF_SG_EUlST_E1_NS1_11comp_targetILNS1_3genE4ELNS1_11target_archE910ELNS1_3gpuE8ELNS1_3repE0EEENS1_36merge_oddeven_config_static_selectorELNS0_4arch9wavefront6targetE0EEEvSF_.has_dyn_sized_stack, 0
	.set _ZN7rocprim17ROCPRIM_400000_NS6detail17trampoline_kernelINS0_14default_configENS1_38merge_sort_block_merge_config_selectorIlNS0_10empty_typeEEEZZNS1_27merge_sort_block_merge_implIS3_PlPS5_jNS1_19radix_merge_compareILb1ELb1ElNS0_19identity_decomposerEEEEE10hipError_tT0_T1_T2_jT3_P12ihipStream_tbPNSt15iterator_traitsISE_E10value_typeEPNSK_ISF_E10value_typeEPSG_NS1_7vsmem_tEENKUlT_SE_SF_SG_E_clIS8_S8_S9_S9_EESD_ST_SE_SF_SG_EUlST_E1_NS1_11comp_targetILNS1_3genE4ELNS1_11target_archE910ELNS1_3gpuE8ELNS1_3repE0EEENS1_36merge_oddeven_config_static_selectorELNS0_4arch9wavefront6targetE0EEEvSF_.has_recursion, 0
	.set _ZN7rocprim17ROCPRIM_400000_NS6detail17trampoline_kernelINS0_14default_configENS1_38merge_sort_block_merge_config_selectorIlNS0_10empty_typeEEEZZNS1_27merge_sort_block_merge_implIS3_PlPS5_jNS1_19radix_merge_compareILb1ELb1ElNS0_19identity_decomposerEEEEE10hipError_tT0_T1_T2_jT3_P12ihipStream_tbPNSt15iterator_traitsISE_E10value_typeEPNSK_ISF_E10value_typeEPSG_NS1_7vsmem_tEENKUlT_SE_SF_SG_E_clIS8_S8_S9_S9_EESD_ST_SE_SF_SG_EUlST_E1_NS1_11comp_targetILNS1_3genE4ELNS1_11target_archE910ELNS1_3gpuE8ELNS1_3repE0EEENS1_36merge_oddeven_config_static_selectorELNS0_4arch9wavefront6targetE0EEEvSF_.has_indirect_call, 0
	.section	.AMDGPU.csdata,"",@progbits
; Kernel info:
; codeLenInByte = 0
; TotalNumSgprs: 0
; NumVgprs: 0
; ScratchSize: 0
; MemoryBound: 0
; FloatMode: 240
; IeeeMode: 1
; LDSByteSize: 0 bytes/workgroup (compile time only)
; SGPRBlocks: 0
; VGPRBlocks: 0
; NumSGPRsForWavesPerEU: 1
; NumVGPRsForWavesPerEU: 1
; NamedBarCnt: 0
; Occupancy: 16
; WaveLimiterHint : 0
; COMPUTE_PGM_RSRC2:SCRATCH_EN: 0
; COMPUTE_PGM_RSRC2:USER_SGPR: 2
; COMPUTE_PGM_RSRC2:TRAP_HANDLER: 0
; COMPUTE_PGM_RSRC2:TGID_X_EN: 1
; COMPUTE_PGM_RSRC2:TGID_Y_EN: 0
; COMPUTE_PGM_RSRC2:TGID_Z_EN: 0
; COMPUTE_PGM_RSRC2:TIDIG_COMP_CNT: 0
	.section	.text._ZN7rocprim17ROCPRIM_400000_NS6detail17trampoline_kernelINS0_14default_configENS1_38merge_sort_block_merge_config_selectorIlNS0_10empty_typeEEEZZNS1_27merge_sort_block_merge_implIS3_PlPS5_jNS1_19radix_merge_compareILb1ELb1ElNS0_19identity_decomposerEEEEE10hipError_tT0_T1_T2_jT3_P12ihipStream_tbPNSt15iterator_traitsISE_E10value_typeEPNSK_ISF_E10value_typeEPSG_NS1_7vsmem_tEENKUlT_SE_SF_SG_E_clIS8_S8_S9_S9_EESD_ST_SE_SF_SG_EUlST_E1_NS1_11comp_targetILNS1_3genE3ELNS1_11target_archE908ELNS1_3gpuE7ELNS1_3repE0EEENS1_36merge_oddeven_config_static_selectorELNS0_4arch9wavefront6targetE0EEEvSF_,"axG",@progbits,_ZN7rocprim17ROCPRIM_400000_NS6detail17trampoline_kernelINS0_14default_configENS1_38merge_sort_block_merge_config_selectorIlNS0_10empty_typeEEEZZNS1_27merge_sort_block_merge_implIS3_PlPS5_jNS1_19radix_merge_compareILb1ELb1ElNS0_19identity_decomposerEEEEE10hipError_tT0_T1_T2_jT3_P12ihipStream_tbPNSt15iterator_traitsISE_E10value_typeEPNSK_ISF_E10value_typeEPSG_NS1_7vsmem_tEENKUlT_SE_SF_SG_E_clIS8_S8_S9_S9_EESD_ST_SE_SF_SG_EUlST_E1_NS1_11comp_targetILNS1_3genE3ELNS1_11target_archE908ELNS1_3gpuE7ELNS1_3repE0EEENS1_36merge_oddeven_config_static_selectorELNS0_4arch9wavefront6targetE0EEEvSF_,comdat
	.protected	_ZN7rocprim17ROCPRIM_400000_NS6detail17trampoline_kernelINS0_14default_configENS1_38merge_sort_block_merge_config_selectorIlNS0_10empty_typeEEEZZNS1_27merge_sort_block_merge_implIS3_PlPS5_jNS1_19radix_merge_compareILb1ELb1ElNS0_19identity_decomposerEEEEE10hipError_tT0_T1_T2_jT3_P12ihipStream_tbPNSt15iterator_traitsISE_E10value_typeEPNSK_ISF_E10value_typeEPSG_NS1_7vsmem_tEENKUlT_SE_SF_SG_E_clIS8_S8_S9_S9_EESD_ST_SE_SF_SG_EUlST_E1_NS1_11comp_targetILNS1_3genE3ELNS1_11target_archE908ELNS1_3gpuE7ELNS1_3repE0EEENS1_36merge_oddeven_config_static_selectorELNS0_4arch9wavefront6targetE0EEEvSF_ ; -- Begin function _ZN7rocprim17ROCPRIM_400000_NS6detail17trampoline_kernelINS0_14default_configENS1_38merge_sort_block_merge_config_selectorIlNS0_10empty_typeEEEZZNS1_27merge_sort_block_merge_implIS3_PlPS5_jNS1_19radix_merge_compareILb1ELb1ElNS0_19identity_decomposerEEEEE10hipError_tT0_T1_T2_jT3_P12ihipStream_tbPNSt15iterator_traitsISE_E10value_typeEPNSK_ISF_E10value_typeEPSG_NS1_7vsmem_tEENKUlT_SE_SF_SG_E_clIS8_S8_S9_S9_EESD_ST_SE_SF_SG_EUlST_E1_NS1_11comp_targetILNS1_3genE3ELNS1_11target_archE908ELNS1_3gpuE7ELNS1_3repE0EEENS1_36merge_oddeven_config_static_selectorELNS0_4arch9wavefront6targetE0EEEvSF_
	.globl	_ZN7rocprim17ROCPRIM_400000_NS6detail17trampoline_kernelINS0_14default_configENS1_38merge_sort_block_merge_config_selectorIlNS0_10empty_typeEEEZZNS1_27merge_sort_block_merge_implIS3_PlPS5_jNS1_19radix_merge_compareILb1ELb1ElNS0_19identity_decomposerEEEEE10hipError_tT0_T1_T2_jT3_P12ihipStream_tbPNSt15iterator_traitsISE_E10value_typeEPNSK_ISF_E10value_typeEPSG_NS1_7vsmem_tEENKUlT_SE_SF_SG_E_clIS8_S8_S9_S9_EESD_ST_SE_SF_SG_EUlST_E1_NS1_11comp_targetILNS1_3genE3ELNS1_11target_archE908ELNS1_3gpuE7ELNS1_3repE0EEENS1_36merge_oddeven_config_static_selectorELNS0_4arch9wavefront6targetE0EEEvSF_
	.p2align	8
	.type	_ZN7rocprim17ROCPRIM_400000_NS6detail17trampoline_kernelINS0_14default_configENS1_38merge_sort_block_merge_config_selectorIlNS0_10empty_typeEEEZZNS1_27merge_sort_block_merge_implIS3_PlPS5_jNS1_19radix_merge_compareILb1ELb1ElNS0_19identity_decomposerEEEEE10hipError_tT0_T1_T2_jT3_P12ihipStream_tbPNSt15iterator_traitsISE_E10value_typeEPNSK_ISF_E10value_typeEPSG_NS1_7vsmem_tEENKUlT_SE_SF_SG_E_clIS8_S8_S9_S9_EESD_ST_SE_SF_SG_EUlST_E1_NS1_11comp_targetILNS1_3genE3ELNS1_11target_archE908ELNS1_3gpuE7ELNS1_3repE0EEENS1_36merge_oddeven_config_static_selectorELNS0_4arch9wavefront6targetE0EEEvSF_,@function
_ZN7rocprim17ROCPRIM_400000_NS6detail17trampoline_kernelINS0_14default_configENS1_38merge_sort_block_merge_config_selectorIlNS0_10empty_typeEEEZZNS1_27merge_sort_block_merge_implIS3_PlPS5_jNS1_19radix_merge_compareILb1ELb1ElNS0_19identity_decomposerEEEEE10hipError_tT0_T1_T2_jT3_P12ihipStream_tbPNSt15iterator_traitsISE_E10value_typeEPNSK_ISF_E10value_typeEPSG_NS1_7vsmem_tEENKUlT_SE_SF_SG_E_clIS8_S8_S9_S9_EESD_ST_SE_SF_SG_EUlST_E1_NS1_11comp_targetILNS1_3genE3ELNS1_11target_archE908ELNS1_3gpuE7ELNS1_3repE0EEENS1_36merge_oddeven_config_static_selectorELNS0_4arch9wavefront6targetE0EEEvSF_: ; @_ZN7rocprim17ROCPRIM_400000_NS6detail17trampoline_kernelINS0_14default_configENS1_38merge_sort_block_merge_config_selectorIlNS0_10empty_typeEEEZZNS1_27merge_sort_block_merge_implIS3_PlPS5_jNS1_19radix_merge_compareILb1ELb1ElNS0_19identity_decomposerEEEEE10hipError_tT0_T1_T2_jT3_P12ihipStream_tbPNSt15iterator_traitsISE_E10value_typeEPNSK_ISF_E10value_typeEPSG_NS1_7vsmem_tEENKUlT_SE_SF_SG_E_clIS8_S8_S9_S9_EESD_ST_SE_SF_SG_EUlST_E1_NS1_11comp_targetILNS1_3genE3ELNS1_11target_archE908ELNS1_3gpuE7ELNS1_3repE0EEENS1_36merge_oddeven_config_static_selectorELNS0_4arch9wavefront6targetE0EEEvSF_
; %bb.0:
	.section	.rodata,"a",@progbits
	.p2align	6, 0x0
	.amdhsa_kernel _ZN7rocprim17ROCPRIM_400000_NS6detail17trampoline_kernelINS0_14default_configENS1_38merge_sort_block_merge_config_selectorIlNS0_10empty_typeEEEZZNS1_27merge_sort_block_merge_implIS3_PlPS5_jNS1_19radix_merge_compareILb1ELb1ElNS0_19identity_decomposerEEEEE10hipError_tT0_T1_T2_jT3_P12ihipStream_tbPNSt15iterator_traitsISE_E10value_typeEPNSK_ISF_E10value_typeEPSG_NS1_7vsmem_tEENKUlT_SE_SF_SG_E_clIS8_S8_S9_S9_EESD_ST_SE_SF_SG_EUlST_E1_NS1_11comp_targetILNS1_3genE3ELNS1_11target_archE908ELNS1_3gpuE7ELNS1_3repE0EEENS1_36merge_oddeven_config_static_selectorELNS0_4arch9wavefront6targetE0EEEvSF_
		.amdhsa_group_segment_fixed_size 0
		.amdhsa_private_segment_fixed_size 0
		.amdhsa_kernarg_size 48
		.amdhsa_user_sgpr_count 2
		.amdhsa_user_sgpr_dispatch_ptr 0
		.amdhsa_user_sgpr_queue_ptr 0
		.amdhsa_user_sgpr_kernarg_segment_ptr 1
		.amdhsa_user_sgpr_dispatch_id 0
		.amdhsa_user_sgpr_kernarg_preload_length 0
		.amdhsa_user_sgpr_kernarg_preload_offset 0
		.amdhsa_user_sgpr_private_segment_size 0
		.amdhsa_wavefront_size32 1
		.amdhsa_uses_dynamic_stack 0
		.amdhsa_enable_private_segment 0
		.amdhsa_system_sgpr_workgroup_id_x 1
		.amdhsa_system_sgpr_workgroup_id_y 0
		.amdhsa_system_sgpr_workgroup_id_z 0
		.amdhsa_system_sgpr_workgroup_info 0
		.amdhsa_system_vgpr_workitem_id 0
		.amdhsa_next_free_vgpr 1
		.amdhsa_next_free_sgpr 1
		.amdhsa_named_barrier_count 0
		.amdhsa_reserve_vcc 0
		.amdhsa_float_round_mode_32 0
		.amdhsa_float_round_mode_16_64 0
		.amdhsa_float_denorm_mode_32 3
		.amdhsa_float_denorm_mode_16_64 3
		.amdhsa_fp16_overflow 0
		.amdhsa_memory_ordered 1
		.amdhsa_forward_progress 1
		.amdhsa_inst_pref_size 0
		.amdhsa_round_robin_scheduling 0
		.amdhsa_exception_fp_ieee_invalid_op 0
		.amdhsa_exception_fp_denorm_src 0
		.amdhsa_exception_fp_ieee_div_zero 0
		.amdhsa_exception_fp_ieee_overflow 0
		.amdhsa_exception_fp_ieee_underflow 0
		.amdhsa_exception_fp_ieee_inexact 0
		.amdhsa_exception_int_div_zero 0
	.end_amdhsa_kernel
	.section	.text._ZN7rocprim17ROCPRIM_400000_NS6detail17trampoline_kernelINS0_14default_configENS1_38merge_sort_block_merge_config_selectorIlNS0_10empty_typeEEEZZNS1_27merge_sort_block_merge_implIS3_PlPS5_jNS1_19radix_merge_compareILb1ELb1ElNS0_19identity_decomposerEEEEE10hipError_tT0_T1_T2_jT3_P12ihipStream_tbPNSt15iterator_traitsISE_E10value_typeEPNSK_ISF_E10value_typeEPSG_NS1_7vsmem_tEENKUlT_SE_SF_SG_E_clIS8_S8_S9_S9_EESD_ST_SE_SF_SG_EUlST_E1_NS1_11comp_targetILNS1_3genE3ELNS1_11target_archE908ELNS1_3gpuE7ELNS1_3repE0EEENS1_36merge_oddeven_config_static_selectorELNS0_4arch9wavefront6targetE0EEEvSF_,"axG",@progbits,_ZN7rocprim17ROCPRIM_400000_NS6detail17trampoline_kernelINS0_14default_configENS1_38merge_sort_block_merge_config_selectorIlNS0_10empty_typeEEEZZNS1_27merge_sort_block_merge_implIS3_PlPS5_jNS1_19radix_merge_compareILb1ELb1ElNS0_19identity_decomposerEEEEE10hipError_tT0_T1_T2_jT3_P12ihipStream_tbPNSt15iterator_traitsISE_E10value_typeEPNSK_ISF_E10value_typeEPSG_NS1_7vsmem_tEENKUlT_SE_SF_SG_E_clIS8_S8_S9_S9_EESD_ST_SE_SF_SG_EUlST_E1_NS1_11comp_targetILNS1_3genE3ELNS1_11target_archE908ELNS1_3gpuE7ELNS1_3repE0EEENS1_36merge_oddeven_config_static_selectorELNS0_4arch9wavefront6targetE0EEEvSF_,comdat
.Lfunc_end1066:
	.size	_ZN7rocprim17ROCPRIM_400000_NS6detail17trampoline_kernelINS0_14default_configENS1_38merge_sort_block_merge_config_selectorIlNS0_10empty_typeEEEZZNS1_27merge_sort_block_merge_implIS3_PlPS5_jNS1_19radix_merge_compareILb1ELb1ElNS0_19identity_decomposerEEEEE10hipError_tT0_T1_T2_jT3_P12ihipStream_tbPNSt15iterator_traitsISE_E10value_typeEPNSK_ISF_E10value_typeEPSG_NS1_7vsmem_tEENKUlT_SE_SF_SG_E_clIS8_S8_S9_S9_EESD_ST_SE_SF_SG_EUlST_E1_NS1_11comp_targetILNS1_3genE3ELNS1_11target_archE908ELNS1_3gpuE7ELNS1_3repE0EEENS1_36merge_oddeven_config_static_selectorELNS0_4arch9wavefront6targetE0EEEvSF_, .Lfunc_end1066-_ZN7rocprim17ROCPRIM_400000_NS6detail17trampoline_kernelINS0_14default_configENS1_38merge_sort_block_merge_config_selectorIlNS0_10empty_typeEEEZZNS1_27merge_sort_block_merge_implIS3_PlPS5_jNS1_19radix_merge_compareILb1ELb1ElNS0_19identity_decomposerEEEEE10hipError_tT0_T1_T2_jT3_P12ihipStream_tbPNSt15iterator_traitsISE_E10value_typeEPNSK_ISF_E10value_typeEPSG_NS1_7vsmem_tEENKUlT_SE_SF_SG_E_clIS8_S8_S9_S9_EESD_ST_SE_SF_SG_EUlST_E1_NS1_11comp_targetILNS1_3genE3ELNS1_11target_archE908ELNS1_3gpuE7ELNS1_3repE0EEENS1_36merge_oddeven_config_static_selectorELNS0_4arch9wavefront6targetE0EEEvSF_
                                        ; -- End function
	.set _ZN7rocprim17ROCPRIM_400000_NS6detail17trampoline_kernelINS0_14default_configENS1_38merge_sort_block_merge_config_selectorIlNS0_10empty_typeEEEZZNS1_27merge_sort_block_merge_implIS3_PlPS5_jNS1_19radix_merge_compareILb1ELb1ElNS0_19identity_decomposerEEEEE10hipError_tT0_T1_T2_jT3_P12ihipStream_tbPNSt15iterator_traitsISE_E10value_typeEPNSK_ISF_E10value_typeEPSG_NS1_7vsmem_tEENKUlT_SE_SF_SG_E_clIS8_S8_S9_S9_EESD_ST_SE_SF_SG_EUlST_E1_NS1_11comp_targetILNS1_3genE3ELNS1_11target_archE908ELNS1_3gpuE7ELNS1_3repE0EEENS1_36merge_oddeven_config_static_selectorELNS0_4arch9wavefront6targetE0EEEvSF_.num_vgpr, 0
	.set _ZN7rocprim17ROCPRIM_400000_NS6detail17trampoline_kernelINS0_14default_configENS1_38merge_sort_block_merge_config_selectorIlNS0_10empty_typeEEEZZNS1_27merge_sort_block_merge_implIS3_PlPS5_jNS1_19radix_merge_compareILb1ELb1ElNS0_19identity_decomposerEEEEE10hipError_tT0_T1_T2_jT3_P12ihipStream_tbPNSt15iterator_traitsISE_E10value_typeEPNSK_ISF_E10value_typeEPSG_NS1_7vsmem_tEENKUlT_SE_SF_SG_E_clIS8_S8_S9_S9_EESD_ST_SE_SF_SG_EUlST_E1_NS1_11comp_targetILNS1_3genE3ELNS1_11target_archE908ELNS1_3gpuE7ELNS1_3repE0EEENS1_36merge_oddeven_config_static_selectorELNS0_4arch9wavefront6targetE0EEEvSF_.num_agpr, 0
	.set _ZN7rocprim17ROCPRIM_400000_NS6detail17trampoline_kernelINS0_14default_configENS1_38merge_sort_block_merge_config_selectorIlNS0_10empty_typeEEEZZNS1_27merge_sort_block_merge_implIS3_PlPS5_jNS1_19radix_merge_compareILb1ELb1ElNS0_19identity_decomposerEEEEE10hipError_tT0_T1_T2_jT3_P12ihipStream_tbPNSt15iterator_traitsISE_E10value_typeEPNSK_ISF_E10value_typeEPSG_NS1_7vsmem_tEENKUlT_SE_SF_SG_E_clIS8_S8_S9_S9_EESD_ST_SE_SF_SG_EUlST_E1_NS1_11comp_targetILNS1_3genE3ELNS1_11target_archE908ELNS1_3gpuE7ELNS1_3repE0EEENS1_36merge_oddeven_config_static_selectorELNS0_4arch9wavefront6targetE0EEEvSF_.numbered_sgpr, 0
	.set _ZN7rocprim17ROCPRIM_400000_NS6detail17trampoline_kernelINS0_14default_configENS1_38merge_sort_block_merge_config_selectorIlNS0_10empty_typeEEEZZNS1_27merge_sort_block_merge_implIS3_PlPS5_jNS1_19radix_merge_compareILb1ELb1ElNS0_19identity_decomposerEEEEE10hipError_tT0_T1_T2_jT3_P12ihipStream_tbPNSt15iterator_traitsISE_E10value_typeEPNSK_ISF_E10value_typeEPSG_NS1_7vsmem_tEENKUlT_SE_SF_SG_E_clIS8_S8_S9_S9_EESD_ST_SE_SF_SG_EUlST_E1_NS1_11comp_targetILNS1_3genE3ELNS1_11target_archE908ELNS1_3gpuE7ELNS1_3repE0EEENS1_36merge_oddeven_config_static_selectorELNS0_4arch9wavefront6targetE0EEEvSF_.num_named_barrier, 0
	.set _ZN7rocprim17ROCPRIM_400000_NS6detail17trampoline_kernelINS0_14default_configENS1_38merge_sort_block_merge_config_selectorIlNS0_10empty_typeEEEZZNS1_27merge_sort_block_merge_implIS3_PlPS5_jNS1_19radix_merge_compareILb1ELb1ElNS0_19identity_decomposerEEEEE10hipError_tT0_T1_T2_jT3_P12ihipStream_tbPNSt15iterator_traitsISE_E10value_typeEPNSK_ISF_E10value_typeEPSG_NS1_7vsmem_tEENKUlT_SE_SF_SG_E_clIS8_S8_S9_S9_EESD_ST_SE_SF_SG_EUlST_E1_NS1_11comp_targetILNS1_3genE3ELNS1_11target_archE908ELNS1_3gpuE7ELNS1_3repE0EEENS1_36merge_oddeven_config_static_selectorELNS0_4arch9wavefront6targetE0EEEvSF_.private_seg_size, 0
	.set _ZN7rocprim17ROCPRIM_400000_NS6detail17trampoline_kernelINS0_14default_configENS1_38merge_sort_block_merge_config_selectorIlNS0_10empty_typeEEEZZNS1_27merge_sort_block_merge_implIS3_PlPS5_jNS1_19radix_merge_compareILb1ELb1ElNS0_19identity_decomposerEEEEE10hipError_tT0_T1_T2_jT3_P12ihipStream_tbPNSt15iterator_traitsISE_E10value_typeEPNSK_ISF_E10value_typeEPSG_NS1_7vsmem_tEENKUlT_SE_SF_SG_E_clIS8_S8_S9_S9_EESD_ST_SE_SF_SG_EUlST_E1_NS1_11comp_targetILNS1_3genE3ELNS1_11target_archE908ELNS1_3gpuE7ELNS1_3repE0EEENS1_36merge_oddeven_config_static_selectorELNS0_4arch9wavefront6targetE0EEEvSF_.uses_vcc, 0
	.set _ZN7rocprim17ROCPRIM_400000_NS6detail17trampoline_kernelINS0_14default_configENS1_38merge_sort_block_merge_config_selectorIlNS0_10empty_typeEEEZZNS1_27merge_sort_block_merge_implIS3_PlPS5_jNS1_19radix_merge_compareILb1ELb1ElNS0_19identity_decomposerEEEEE10hipError_tT0_T1_T2_jT3_P12ihipStream_tbPNSt15iterator_traitsISE_E10value_typeEPNSK_ISF_E10value_typeEPSG_NS1_7vsmem_tEENKUlT_SE_SF_SG_E_clIS8_S8_S9_S9_EESD_ST_SE_SF_SG_EUlST_E1_NS1_11comp_targetILNS1_3genE3ELNS1_11target_archE908ELNS1_3gpuE7ELNS1_3repE0EEENS1_36merge_oddeven_config_static_selectorELNS0_4arch9wavefront6targetE0EEEvSF_.uses_flat_scratch, 0
	.set _ZN7rocprim17ROCPRIM_400000_NS6detail17trampoline_kernelINS0_14default_configENS1_38merge_sort_block_merge_config_selectorIlNS0_10empty_typeEEEZZNS1_27merge_sort_block_merge_implIS3_PlPS5_jNS1_19radix_merge_compareILb1ELb1ElNS0_19identity_decomposerEEEEE10hipError_tT0_T1_T2_jT3_P12ihipStream_tbPNSt15iterator_traitsISE_E10value_typeEPNSK_ISF_E10value_typeEPSG_NS1_7vsmem_tEENKUlT_SE_SF_SG_E_clIS8_S8_S9_S9_EESD_ST_SE_SF_SG_EUlST_E1_NS1_11comp_targetILNS1_3genE3ELNS1_11target_archE908ELNS1_3gpuE7ELNS1_3repE0EEENS1_36merge_oddeven_config_static_selectorELNS0_4arch9wavefront6targetE0EEEvSF_.has_dyn_sized_stack, 0
	.set _ZN7rocprim17ROCPRIM_400000_NS6detail17trampoline_kernelINS0_14default_configENS1_38merge_sort_block_merge_config_selectorIlNS0_10empty_typeEEEZZNS1_27merge_sort_block_merge_implIS3_PlPS5_jNS1_19radix_merge_compareILb1ELb1ElNS0_19identity_decomposerEEEEE10hipError_tT0_T1_T2_jT3_P12ihipStream_tbPNSt15iterator_traitsISE_E10value_typeEPNSK_ISF_E10value_typeEPSG_NS1_7vsmem_tEENKUlT_SE_SF_SG_E_clIS8_S8_S9_S9_EESD_ST_SE_SF_SG_EUlST_E1_NS1_11comp_targetILNS1_3genE3ELNS1_11target_archE908ELNS1_3gpuE7ELNS1_3repE0EEENS1_36merge_oddeven_config_static_selectorELNS0_4arch9wavefront6targetE0EEEvSF_.has_recursion, 0
	.set _ZN7rocprim17ROCPRIM_400000_NS6detail17trampoline_kernelINS0_14default_configENS1_38merge_sort_block_merge_config_selectorIlNS0_10empty_typeEEEZZNS1_27merge_sort_block_merge_implIS3_PlPS5_jNS1_19radix_merge_compareILb1ELb1ElNS0_19identity_decomposerEEEEE10hipError_tT0_T1_T2_jT3_P12ihipStream_tbPNSt15iterator_traitsISE_E10value_typeEPNSK_ISF_E10value_typeEPSG_NS1_7vsmem_tEENKUlT_SE_SF_SG_E_clIS8_S8_S9_S9_EESD_ST_SE_SF_SG_EUlST_E1_NS1_11comp_targetILNS1_3genE3ELNS1_11target_archE908ELNS1_3gpuE7ELNS1_3repE0EEENS1_36merge_oddeven_config_static_selectorELNS0_4arch9wavefront6targetE0EEEvSF_.has_indirect_call, 0
	.section	.AMDGPU.csdata,"",@progbits
; Kernel info:
; codeLenInByte = 0
; TotalNumSgprs: 0
; NumVgprs: 0
; ScratchSize: 0
; MemoryBound: 0
; FloatMode: 240
; IeeeMode: 1
; LDSByteSize: 0 bytes/workgroup (compile time only)
; SGPRBlocks: 0
; VGPRBlocks: 0
; NumSGPRsForWavesPerEU: 1
; NumVGPRsForWavesPerEU: 1
; NamedBarCnt: 0
; Occupancy: 16
; WaveLimiterHint : 0
; COMPUTE_PGM_RSRC2:SCRATCH_EN: 0
; COMPUTE_PGM_RSRC2:USER_SGPR: 2
; COMPUTE_PGM_RSRC2:TRAP_HANDLER: 0
; COMPUTE_PGM_RSRC2:TGID_X_EN: 1
; COMPUTE_PGM_RSRC2:TGID_Y_EN: 0
; COMPUTE_PGM_RSRC2:TGID_Z_EN: 0
; COMPUTE_PGM_RSRC2:TIDIG_COMP_CNT: 0
	.section	.text._ZN7rocprim17ROCPRIM_400000_NS6detail17trampoline_kernelINS0_14default_configENS1_38merge_sort_block_merge_config_selectorIlNS0_10empty_typeEEEZZNS1_27merge_sort_block_merge_implIS3_PlPS5_jNS1_19radix_merge_compareILb1ELb1ElNS0_19identity_decomposerEEEEE10hipError_tT0_T1_T2_jT3_P12ihipStream_tbPNSt15iterator_traitsISE_E10value_typeEPNSK_ISF_E10value_typeEPSG_NS1_7vsmem_tEENKUlT_SE_SF_SG_E_clIS8_S8_S9_S9_EESD_ST_SE_SF_SG_EUlST_E1_NS1_11comp_targetILNS1_3genE2ELNS1_11target_archE906ELNS1_3gpuE6ELNS1_3repE0EEENS1_36merge_oddeven_config_static_selectorELNS0_4arch9wavefront6targetE0EEEvSF_,"axG",@progbits,_ZN7rocprim17ROCPRIM_400000_NS6detail17trampoline_kernelINS0_14default_configENS1_38merge_sort_block_merge_config_selectorIlNS0_10empty_typeEEEZZNS1_27merge_sort_block_merge_implIS3_PlPS5_jNS1_19radix_merge_compareILb1ELb1ElNS0_19identity_decomposerEEEEE10hipError_tT0_T1_T2_jT3_P12ihipStream_tbPNSt15iterator_traitsISE_E10value_typeEPNSK_ISF_E10value_typeEPSG_NS1_7vsmem_tEENKUlT_SE_SF_SG_E_clIS8_S8_S9_S9_EESD_ST_SE_SF_SG_EUlST_E1_NS1_11comp_targetILNS1_3genE2ELNS1_11target_archE906ELNS1_3gpuE6ELNS1_3repE0EEENS1_36merge_oddeven_config_static_selectorELNS0_4arch9wavefront6targetE0EEEvSF_,comdat
	.protected	_ZN7rocprim17ROCPRIM_400000_NS6detail17trampoline_kernelINS0_14default_configENS1_38merge_sort_block_merge_config_selectorIlNS0_10empty_typeEEEZZNS1_27merge_sort_block_merge_implIS3_PlPS5_jNS1_19radix_merge_compareILb1ELb1ElNS0_19identity_decomposerEEEEE10hipError_tT0_T1_T2_jT3_P12ihipStream_tbPNSt15iterator_traitsISE_E10value_typeEPNSK_ISF_E10value_typeEPSG_NS1_7vsmem_tEENKUlT_SE_SF_SG_E_clIS8_S8_S9_S9_EESD_ST_SE_SF_SG_EUlST_E1_NS1_11comp_targetILNS1_3genE2ELNS1_11target_archE906ELNS1_3gpuE6ELNS1_3repE0EEENS1_36merge_oddeven_config_static_selectorELNS0_4arch9wavefront6targetE0EEEvSF_ ; -- Begin function _ZN7rocprim17ROCPRIM_400000_NS6detail17trampoline_kernelINS0_14default_configENS1_38merge_sort_block_merge_config_selectorIlNS0_10empty_typeEEEZZNS1_27merge_sort_block_merge_implIS3_PlPS5_jNS1_19radix_merge_compareILb1ELb1ElNS0_19identity_decomposerEEEEE10hipError_tT0_T1_T2_jT3_P12ihipStream_tbPNSt15iterator_traitsISE_E10value_typeEPNSK_ISF_E10value_typeEPSG_NS1_7vsmem_tEENKUlT_SE_SF_SG_E_clIS8_S8_S9_S9_EESD_ST_SE_SF_SG_EUlST_E1_NS1_11comp_targetILNS1_3genE2ELNS1_11target_archE906ELNS1_3gpuE6ELNS1_3repE0EEENS1_36merge_oddeven_config_static_selectorELNS0_4arch9wavefront6targetE0EEEvSF_
	.globl	_ZN7rocprim17ROCPRIM_400000_NS6detail17trampoline_kernelINS0_14default_configENS1_38merge_sort_block_merge_config_selectorIlNS0_10empty_typeEEEZZNS1_27merge_sort_block_merge_implIS3_PlPS5_jNS1_19radix_merge_compareILb1ELb1ElNS0_19identity_decomposerEEEEE10hipError_tT0_T1_T2_jT3_P12ihipStream_tbPNSt15iterator_traitsISE_E10value_typeEPNSK_ISF_E10value_typeEPSG_NS1_7vsmem_tEENKUlT_SE_SF_SG_E_clIS8_S8_S9_S9_EESD_ST_SE_SF_SG_EUlST_E1_NS1_11comp_targetILNS1_3genE2ELNS1_11target_archE906ELNS1_3gpuE6ELNS1_3repE0EEENS1_36merge_oddeven_config_static_selectorELNS0_4arch9wavefront6targetE0EEEvSF_
	.p2align	8
	.type	_ZN7rocprim17ROCPRIM_400000_NS6detail17trampoline_kernelINS0_14default_configENS1_38merge_sort_block_merge_config_selectorIlNS0_10empty_typeEEEZZNS1_27merge_sort_block_merge_implIS3_PlPS5_jNS1_19radix_merge_compareILb1ELb1ElNS0_19identity_decomposerEEEEE10hipError_tT0_T1_T2_jT3_P12ihipStream_tbPNSt15iterator_traitsISE_E10value_typeEPNSK_ISF_E10value_typeEPSG_NS1_7vsmem_tEENKUlT_SE_SF_SG_E_clIS8_S8_S9_S9_EESD_ST_SE_SF_SG_EUlST_E1_NS1_11comp_targetILNS1_3genE2ELNS1_11target_archE906ELNS1_3gpuE6ELNS1_3repE0EEENS1_36merge_oddeven_config_static_selectorELNS0_4arch9wavefront6targetE0EEEvSF_,@function
_ZN7rocprim17ROCPRIM_400000_NS6detail17trampoline_kernelINS0_14default_configENS1_38merge_sort_block_merge_config_selectorIlNS0_10empty_typeEEEZZNS1_27merge_sort_block_merge_implIS3_PlPS5_jNS1_19radix_merge_compareILb1ELb1ElNS0_19identity_decomposerEEEEE10hipError_tT0_T1_T2_jT3_P12ihipStream_tbPNSt15iterator_traitsISE_E10value_typeEPNSK_ISF_E10value_typeEPSG_NS1_7vsmem_tEENKUlT_SE_SF_SG_E_clIS8_S8_S9_S9_EESD_ST_SE_SF_SG_EUlST_E1_NS1_11comp_targetILNS1_3genE2ELNS1_11target_archE906ELNS1_3gpuE6ELNS1_3repE0EEENS1_36merge_oddeven_config_static_selectorELNS0_4arch9wavefront6targetE0EEEvSF_: ; @_ZN7rocprim17ROCPRIM_400000_NS6detail17trampoline_kernelINS0_14default_configENS1_38merge_sort_block_merge_config_selectorIlNS0_10empty_typeEEEZZNS1_27merge_sort_block_merge_implIS3_PlPS5_jNS1_19radix_merge_compareILb1ELb1ElNS0_19identity_decomposerEEEEE10hipError_tT0_T1_T2_jT3_P12ihipStream_tbPNSt15iterator_traitsISE_E10value_typeEPNSK_ISF_E10value_typeEPSG_NS1_7vsmem_tEENKUlT_SE_SF_SG_E_clIS8_S8_S9_S9_EESD_ST_SE_SF_SG_EUlST_E1_NS1_11comp_targetILNS1_3genE2ELNS1_11target_archE906ELNS1_3gpuE6ELNS1_3repE0EEENS1_36merge_oddeven_config_static_selectorELNS0_4arch9wavefront6targetE0EEEvSF_
; %bb.0:
	.section	.rodata,"a",@progbits
	.p2align	6, 0x0
	.amdhsa_kernel _ZN7rocprim17ROCPRIM_400000_NS6detail17trampoline_kernelINS0_14default_configENS1_38merge_sort_block_merge_config_selectorIlNS0_10empty_typeEEEZZNS1_27merge_sort_block_merge_implIS3_PlPS5_jNS1_19radix_merge_compareILb1ELb1ElNS0_19identity_decomposerEEEEE10hipError_tT0_T1_T2_jT3_P12ihipStream_tbPNSt15iterator_traitsISE_E10value_typeEPNSK_ISF_E10value_typeEPSG_NS1_7vsmem_tEENKUlT_SE_SF_SG_E_clIS8_S8_S9_S9_EESD_ST_SE_SF_SG_EUlST_E1_NS1_11comp_targetILNS1_3genE2ELNS1_11target_archE906ELNS1_3gpuE6ELNS1_3repE0EEENS1_36merge_oddeven_config_static_selectorELNS0_4arch9wavefront6targetE0EEEvSF_
		.amdhsa_group_segment_fixed_size 0
		.amdhsa_private_segment_fixed_size 0
		.amdhsa_kernarg_size 48
		.amdhsa_user_sgpr_count 2
		.amdhsa_user_sgpr_dispatch_ptr 0
		.amdhsa_user_sgpr_queue_ptr 0
		.amdhsa_user_sgpr_kernarg_segment_ptr 1
		.amdhsa_user_sgpr_dispatch_id 0
		.amdhsa_user_sgpr_kernarg_preload_length 0
		.amdhsa_user_sgpr_kernarg_preload_offset 0
		.amdhsa_user_sgpr_private_segment_size 0
		.amdhsa_wavefront_size32 1
		.amdhsa_uses_dynamic_stack 0
		.amdhsa_enable_private_segment 0
		.amdhsa_system_sgpr_workgroup_id_x 1
		.amdhsa_system_sgpr_workgroup_id_y 0
		.amdhsa_system_sgpr_workgroup_id_z 0
		.amdhsa_system_sgpr_workgroup_info 0
		.amdhsa_system_vgpr_workitem_id 0
		.amdhsa_next_free_vgpr 1
		.amdhsa_next_free_sgpr 1
		.amdhsa_named_barrier_count 0
		.amdhsa_reserve_vcc 0
		.amdhsa_float_round_mode_32 0
		.amdhsa_float_round_mode_16_64 0
		.amdhsa_float_denorm_mode_32 3
		.amdhsa_float_denorm_mode_16_64 3
		.amdhsa_fp16_overflow 0
		.amdhsa_memory_ordered 1
		.amdhsa_forward_progress 1
		.amdhsa_inst_pref_size 0
		.amdhsa_round_robin_scheduling 0
		.amdhsa_exception_fp_ieee_invalid_op 0
		.amdhsa_exception_fp_denorm_src 0
		.amdhsa_exception_fp_ieee_div_zero 0
		.amdhsa_exception_fp_ieee_overflow 0
		.amdhsa_exception_fp_ieee_underflow 0
		.amdhsa_exception_fp_ieee_inexact 0
		.amdhsa_exception_int_div_zero 0
	.end_amdhsa_kernel
	.section	.text._ZN7rocprim17ROCPRIM_400000_NS6detail17trampoline_kernelINS0_14default_configENS1_38merge_sort_block_merge_config_selectorIlNS0_10empty_typeEEEZZNS1_27merge_sort_block_merge_implIS3_PlPS5_jNS1_19radix_merge_compareILb1ELb1ElNS0_19identity_decomposerEEEEE10hipError_tT0_T1_T2_jT3_P12ihipStream_tbPNSt15iterator_traitsISE_E10value_typeEPNSK_ISF_E10value_typeEPSG_NS1_7vsmem_tEENKUlT_SE_SF_SG_E_clIS8_S8_S9_S9_EESD_ST_SE_SF_SG_EUlST_E1_NS1_11comp_targetILNS1_3genE2ELNS1_11target_archE906ELNS1_3gpuE6ELNS1_3repE0EEENS1_36merge_oddeven_config_static_selectorELNS0_4arch9wavefront6targetE0EEEvSF_,"axG",@progbits,_ZN7rocprim17ROCPRIM_400000_NS6detail17trampoline_kernelINS0_14default_configENS1_38merge_sort_block_merge_config_selectorIlNS0_10empty_typeEEEZZNS1_27merge_sort_block_merge_implIS3_PlPS5_jNS1_19radix_merge_compareILb1ELb1ElNS0_19identity_decomposerEEEEE10hipError_tT0_T1_T2_jT3_P12ihipStream_tbPNSt15iterator_traitsISE_E10value_typeEPNSK_ISF_E10value_typeEPSG_NS1_7vsmem_tEENKUlT_SE_SF_SG_E_clIS8_S8_S9_S9_EESD_ST_SE_SF_SG_EUlST_E1_NS1_11comp_targetILNS1_3genE2ELNS1_11target_archE906ELNS1_3gpuE6ELNS1_3repE0EEENS1_36merge_oddeven_config_static_selectorELNS0_4arch9wavefront6targetE0EEEvSF_,comdat
.Lfunc_end1067:
	.size	_ZN7rocprim17ROCPRIM_400000_NS6detail17trampoline_kernelINS0_14default_configENS1_38merge_sort_block_merge_config_selectorIlNS0_10empty_typeEEEZZNS1_27merge_sort_block_merge_implIS3_PlPS5_jNS1_19radix_merge_compareILb1ELb1ElNS0_19identity_decomposerEEEEE10hipError_tT0_T1_T2_jT3_P12ihipStream_tbPNSt15iterator_traitsISE_E10value_typeEPNSK_ISF_E10value_typeEPSG_NS1_7vsmem_tEENKUlT_SE_SF_SG_E_clIS8_S8_S9_S9_EESD_ST_SE_SF_SG_EUlST_E1_NS1_11comp_targetILNS1_3genE2ELNS1_11target_archE906ELNS1_3gpuE6ELNS1_3repE0EEENS1_36merge_oddeven_config_static_selectorELNS0_4arch9wavefront6targetE0EEEvSF_, .Lfunc_end1067-_ZN7rocprim17ROCPRIM_400000_NS6detail17trampoline_kernelINS0_14default_configENS1_38merge_sort_block_merge_config_selectorIlNS0_10empty_typeEEEZZNS1_27merge_sort_block_merge_implIS3_PlPS5_jNS1_19radix_merge_compareILb1ELb1ElNS0_19identity_decomposerEEEEE10hipError_tT0_T1_T2_jT3_P12ihipStream_tbPNSt15iterator_traitsISE_E10value_typeEPNSK_ISF_E10value_typeEPSG_NS1_7vsmem_tEENKUlT_SE_SF_SG_E_clIS8_S8_S9_S9_EESD_ST_SE_SF_SG_EUlST_E1_NS1_11comp_targetILNS1_3genE2ELNS1_11target_archE906ELNS1_3gpuE6ELNS1_3repE0EEENS1_36merge_oddeven_config_static_selectorELNS0_4arch9wavefront6targetE0EEEvSF_
                                        ; -- End function
	.set _ZN7rocprim17ROCPRIM_400000_NS6detail17trampoline_kernelINS0_14default_configENS1_38merge_sort_block_merge_config_selectorIlNS0_10empty_typeEEEZZNS1_27merge_sort_block_merge_implIS3_PlPS5_jNS1_19radix_merge_compareILb1ELb1ElNS0_19identity_decomposerEEEEE10hipError_tT0_T1_T2_jT3_P12ihipStream_tbPNSt15iterator_traitsISE_E10value_typeEPNSK_ISF_E10value_typeEPSG_NS1_7vsmem_tEENKUlT_SE_SF_SG_E_clIS8_S8_S9_S9_EESD_ST_SE_SF_SG_EUlST_E1_NS1_11comp_targetILNS1_3genE2ELNS1_11target_archE906ELNS1_3gpuE6ELNS1_3repE0EEENS1_36merge_oddeven_config_static_selectorELNS0_4arch9wavefront6targetE0EEEvSF_.num_vgpr, 0
	.set _ZN7rocprim17ROCPRIM_400000_NS6detail17trampoline_kernelINS0_14default_configENS1_38merge_sort_block_merge_config_selectorIlNS0_10empty_typeEEEZZNS1_27merge_sort_block_merge_implIS3_PlPS5_jNS1_19radix_merge_compareILb1ELb1ElNS0_19identity_decomposerEEEEE10hipError_tT0_T1_T2_jT3_P12ihipStream_tbPNSt15iterator_traitsISE_E10value_typeEPNSK_ISF_E10value_typeEPSG_NS1_7vsmem_tEENKUlT_SE_SF_SG_E_clIS8_S8_S9_S9_EESD_ST_SE_SF_SG_EUlST_E1_NS1_11comp_targetILNS1_3genE2ELNS1_11target_archE906ELNS1_3gpuE6ELNS1_3repE0EEENS1_36merge_oddeven_config_static_selectorELNS0_4arch9wavefront6targetE0EEEvSF_.num_agpr, 0
	.set _ZN7rocprim17ROCPRIM_400000_NS6detail17trampoline_kernelINS0_14default_configENS1_38merge_sort_block_merge_config_selectorIlNS0_10empty_typeEEEZZNS1_27merge_sort_block_merge_implIS3_PlPS5_jNS1_19radix_merge_compareILb1ELb1ElNS0_19identity_decomposerEEEEE10hipError_tT0_T1_T2_jT3_P12ihipStream_tbPNSt15iterator_traitsISE_E10value_typeEPNSK_ISF_E10value_typeEPSG_NS1_7vsmem_tEENKUlT_SE_SF_SG_E_clIS8_S8_S9_S9_EESD_ST_SE_SF_SG_EUlST_E1_NS1_11comp_targetILNS1_3genE2ELNS1_11target_archE906ELNS1_3gpuE6ELNS1_3repE0EEENS1_36merge_oddeven_config_static_selectorELNS0_4arch9wavefront6targetE0EEEvSF_.numbered_sgpr, 0
	.set _ZN7rocprim17ROCPRIM_400000_NS6detail17trampoline_kernelINS0_14default_configENS1_38merge_sort_block_merge_config_selectorIlNS0_10empty_typeEEEZZNS1_27merge_sort_block_merge_implIS3_PlPS5_jNS1_19radix_merge_compareILb1ELb1ElNS0_19identity_decomposerEEEEE10hipError_tT0_T1_T2_jT3_P12ihipStream_tbPNSt15iterator_traitsISE_E10value_typeEPNSK_ISF_E10value_typeEPSG_NS1_7vsmem_tEENKUlT_SE_SF_SG_E_clIS8_S8_S9_S9_EESD_ST_SE_SF_SG_EUlST_E1_NS1_11comp_targetILNS1_3genE2ELNS1_11target_archE906ELNS1_3gpuE6ELNS1_3repE0EEENS1_36merge_oddeven_config_static_selectorELNS0_4arch9wavefront6targetE0EEEvSF_.num_named_barrier, 0
	.set _ZN7rocprim17ROCPRIM_400000_NS6detail17trampoline_kernelINS0_14default_configENS1_38merge_sort_block_merge_config_selectorIlNS0_10empty_typeEEEZZNS1_27merge_sort_block_merge_implIS3_PlPS5_jNS1_19radix_merge_compareILb1ELb1ElNS0_19identity_decomposerEEEEE10hipError_tT0_T1_T2_jT3_P12ihipStream_tbPNSt15iterator_traitsISE_E10value_typeEPNSK_ISF_E10value_typeEPSG_NS1_7vsmem_tEENKUlT_SE_SF_SG_E_clIS8_S8_S9_S9_EESD_ST_SE_SF_SG_EUlST_E1_NS1_11comp_targetILNS1_3genE2ELNS1_11target_archE906ELNS1_3gpuE6ELNS1_3repE0EEENS1_36merge_oddeven_config_static_selectorELNS0_4arch9wavefront6targetE0EEEvSF_.private_seg_size, 0
	.set _ZN7rocprim17ROCPRIM_400000_NS6detail17trampoline_kernelINS0_14default_configENS1_38merge_sort_block_merge_config_selectorIlNS0_10empty_typeEEEZZNS1_27merge_sort_block_merge_implIS3_PlPS5_jNS1_19radix_merge_compareILb1ELb1ElNS0_19identity_decomposerEEEEE10hipError_tT0_T1_T2_jT3_P12ihipStream_tbPNSt15iterator_traitsISE_E10value_typeEPNSK_ISF_E10value_typeEPSG_NS1_7vsmem_tEENKUlT_SE_SF_SG_E_clIS8_S8_S9_S9_EESD_ST_SE_SF_SG_EUlST_E1_NS1_11comp_targetILNS1_3genE2ELNS1_11target_archE906ELNS1_3gpuE6ELNS1_3repE0EEENS1_36merge_oddeven_config_static_selectorELNS0_4arch9wavefront6targetE0EEEvSF_.uses_vcc, 0
	.set _ZN7rocprim17ROCPRIM_400000_NS6detail17trampoline_kernelINS0_14default_configENS1_38merge_sort_block_merge_config_selectorIlNS0_10empty_typeEEEZZNS1_27merge_sort_block_merge_implIS3_PlPS5_jNS1_19radix_merge_compareILb1ELb1ElNS0_19identity_decomposerEEEEE10hipError_tT0_T1_T2_jT3_P12ihipStream_tbPNSt15iterator_traitsISE_E10value_typeEPNSK_ISF_E10value_typeEPSG_NS1_7vsmem_tEENKUlT_SE_SF_SG_E_clIS8_S8_S9_S9_EESD_ST_SE_SF_SG_EUlST_E1_NS1_11comp_targetILNS1_3genE2ELNS1_11target_archE906ELNS1_3gpuE6ELNS1_3repE0EEENS1_36merge_oddeven_config_static_selectorELNS0_4arch9wavefront6targetE0EEEvSF_.uses_flat_scratch, 0
	.set _ZN7rocprim17ROCPRIM_400000_NS6detail17trampoline_kernelINS0_14default_configENS1_38merge_sort_block_merge_config_selectorIlNS0_10empty_typeEEEZZNS1_27merge_sort_block_merge_implIS3_PlPS5_jNS1_19radix_merge_compareILb1ELb1ElNS0_19identity_decomposerEEEEE10hipError_tT0_T1_T2_jT3_P12ihipStream_tbPNSt15iterator_traitsISE_E10value_typeEPNSK_ISF_E10value_typeEPSG_NS1_7vsmem_tEENKUlT_SE_SF_SG_E_clIS8_S8_S9_S9_EESD_ST_SE_SF_SG_EUlST_E1_NS1_11comp_targetILNS1_3genE2ELNS1_11target_archE906ELNS1_3gpuE6ELNS1_3repE0EEENS1_36merge_oddeven_config_static_selectorELNS0_4arch9wavefront6targetE0EEEvSF_.has_dyn_sized_stack, 0
	.set _ZN7rocprim17ROCPRIM_400000_NS6detail17trampoline_kernelINS0_14default_configENS1_38merge_sort_block_merge_config_selectorIlNS0_10empty_typeEEEZZNS1_27merge_sort_block_merge_implIS3_PlPS5_jNS1_19radix_merge_compareILb1ELb1ElNS0_19identity_decomposerEEEEE10hipError_tT0_T1_T2_jT3_P12ihipStream_tbPNSt15iterator_traitsISE_E10value_typeEPNSK_ISF_E10value_typeEPSG_NS1_7vsmem_tEENKUlT_SE_SF_SG_E_clIS8_S8_S9_S9_EESD_ST_SE_SF_SG_EUlST_E1_NS1_11comp_targetILNS1_3genE2ELNS1_11target_archE906ELNS1_3gpuE6ELNS1_3repE0EEENS1_36merge_oddeven_config_static_selectorELNS0_4arch9wavefront6targetE0EEEvSF_.has_recursion, 0
	.set _ZN7rocprim17ROCPRIM_400000_NS6detail17trampoline_kernelINS0_14default_configENS1_38merge_sort_block_merge_config_selectorIlNS0_10empty_typeEEEZZNS1_27merge_sort_block_merge_implIS3_PlPS5_jNS1_19radix_merge_compareILb1ELb1ElNS0_19identity_decomposerEEEEE10hipError_tT0_T1_T2_jT3_P12ihipStream_tbPNSt15iterator_traitsISE_E10value_typeEPNSK_ISF_E10value_typeEPSG_NS1_7vsmem_tEENKUlT_SE_SF_SG_E_clIS8_S8_S9_S9_EESD_ST_SE_SF_SG_EUlST_E1_NS1_11comp_targetILNS1_3genE2ELNS1_11target_archE906ELNS1_3gpuE6ELNS1_3repE0EEENS1_36merge_oddeven_config_static_selectorELNS0_4arch9wavefront6targetE0EEEvSF_.has_indirect_call, 0
	.section	.AMDGPU.csdata,"",@progbits
; Kernel info:
; codeLenInByte = 0
; TotalNumSgprs: 0
; NumVgprs: 0
; ScratchSize: 0
; MemoryBound: 0
; FloatMode: 240
; IeeeMode: 1
; LDSByteSize: 0 bytes/workgroup (compile time only)
; SGPRBlocks: 0
; VGPRBlocks: 0
; NumSGPRsForWavesPerEU: 1
; NumVGPRsForWavesPerEU: 1
; NamedBarCnt: 0
; Occupancy: 16
; WaveLimiterHint : 0
; COMPUTE_PGM_RSRC2:SCRATCH_EN: 0
; COMPUTE_PGM_RSRC2:USER_SGPR: 2
; COMPUTE_PGM_RSRC2:TRAP_HANDLER: 0
; COMPUTE_PGM_RSRC2:TGID_X_EN: 1
; COMPUTE_PGM_RSRC2:TGID_Y_EN: 0
; COMPUTE_PGM_RSRC2:TGID_Z_EN: 0
; COMPUTE_PGM_RSRC2:TIDIG_COMP_CNT: 0
	.section	.text._ZN7rocprim17ROCPRIM_400000_NS6detail17trampoline_kernelINS0_14default_configENS1_38merge_sort_block_merge_config_selectorIlNS0_10empty_typeEEEZZNS1_27merge_sort_block_merge_implIS3_PlPS5_jNS1_19radix_merge_compareILb1ELb1ElNS0_19identity_decomposerEEEEE10hipError_tT0_T1_T2_jT3_P12ihipStream_tbPNSt15iterator_traitsISE_E10value_typeEPNSK_ISF_E10value_typeEPSG_NS1_7vsmem_tEENKUlT_SE_SF_SG_E_clIS8_S8_S9_S9_EESD_ST_SE_SF_SG_EUlST_E1_NS1_11comp_targetILNS1_3genE9ELNS1_11target_archE1100ELNS1_3gpuE3ELNS1_3repE0EEENS1_36merge_oddeven_config_static_selectorELNS0_4arch9wavefront6targetE0EEEvSF_,"axG",@progbits,_ZN7rocprim17ROCPRIM_400000_NS6detail17trampoline_kernelINS0_14default_configENS1_38merge_sort_block_merge_config_selectorIlNS0_10empty_typeEEEZZNS1_27merge_sort_block_merge_implIS3_PlPS5_jNS1_19radix_merge_compareILb1ELb1ElNS0_19identity_decomposerEEEEE10hipError_tT0_T1_T2_jT3_P12ihipStream_tbPNSt15iterator_traitsISE_E10value_typeEPNSK_ISF_E10value_typeEPSG_NS1_7vsmem_tEENKUlT_SE_SF_SG_E_clIS8_S8_S9_S9_EESD_ST_SE_SF_SG_EUlST_E1_NS1_11comp_targetILNS1_3genE9ELNS1_11target_archE1100ELNS1_3gpuE3ELNS1_3repE0EEENS1_36merge_oddeven_config_static_selectorELNS0_4arch9wavefront6targetE0EEEvSF_,comdat
	.protected	_ZN7rocprim17ROCPRIM_400000_NS6detail17trampoline_kernelINS0_14default_configENS1_38merge_sort_block_merge_config_selectorIlNS0_10empty_typeEEEZZNS1_27merge_sort_block_merge_implIS3_PlPS5_jNS1_19radix_merge_compareILb1ELb1ElNS0_19identity_decomposerEEEEE10hipError_tT0_T1_T2_jT3_P12ihipStream_tbPNSt15iterator_traitsISE_E10value_typeEPNSK_ISF_E10value_typeEPSG_NS1_7vsmem_tEENKUlT_SE_SF_SG_E_clIS8_S8_S9_S9_EESD_ST_SE_SF_SG_EUlST_E1_NS1_11comp_targetILNS1_3genE9ELNS1_11target_archE1100ELNS1_3gpuE3ELNS1_3repE0EEENS1_36merge_oddeven_config_static_selectorELNS0_4arch9wavefront6targetE0EEEvSF_ ; -- Begin function _ZN7rocprim17ROCPRIM_400000_NS6detail17trampoline_kernelINS0_14default_configENS1_38merge_sort_block_merge_config_selectorIlNS0_10empty_typeEEEZZNS1_27merge_sort_block_merge_implIS3_PlPS5_jNS1_19radix_merge_compareILb1ELb1ElNS0_19identity_decomposerEEEEE10hipError_tT0_T1_T2_jT3_P12ihipStream_tbPNSt15iterator_traitsISE_E10value_typeEPNSK_ISF_E10value_typeEPSG_NS1_7vsmem_tEENKUlT_SE_SF_SG_E_clIS8_S8_S9_S9_EESD_ST_SE_SF_SG_EUlST_E1_NS1_11comp_targetILNS1_3genE9ELNS1_11target_archE1100ELNS1_3gpuE3ELNS1_3repE0EEENS1_36merge_oddeven_config_static_selectorELNS0_4arch9wavefront6targetE0EEEvSF_
	.globl	_ZN7rocprim17ROCPRIM_400000_NS6detail17trampoline_kernelINS0_14default_configENS1_38merge_sort_block_merge_config_selectorIlNS0_10empty_typeEEEZZNS1_27merge_sort_block_merge_implIS3_PlPS5_jNS1_19radix_merge_compareILb1ELb1ElNS0_19identity_decomposerEEEEE10hipError_tT0_T1_T2_jT3_P12ihipStream_tbPNSt15iterator_traitsISE_E10value_typeEPNSK_ISF_E10value_typeEPSG_NS1_7vsmem_tEENKUlT_SE_SF_SG_E_clIS8_S8_S9_S9_EESD_ST_SE_SF_SG_EUlST_E1_NS1_11comp_targetILNS1_3genE9ELNS1_11target_archE1100ELNS1_3gpuE3ELNS1_3repE0EEENS1_36merge_oddeven_config_static_selectorELNS0_4arch9wavefront6targetE0EEEvSF_
	.p2align	8
	.type	_ZN7rocprim17ROCPRIM_400000_NS6detail17trampoline_kernelINS0_14default_configENS1_38merge_sort_block_merge_config_selectorIlNS0_10empty_typeEEEZZNS1_27merge_sort_block_merge_implIS3_PlPS5_jNS1_19radix_merge_compareILb1ELb1ElNS0_19identity_decomposerEEEEE10hipError_tT0_T1_T2_jT3_P12ihipStream_tbPNSt15iterator_traitsISE_E10value_typeEPNSK_ISF_E10value_typeEPSG_NS1_7vsmem_tEENKUlT_SE_SF_SG_E_clIS8_S8_S9_S9_EESD_ST_SE_SF_SG_EUlST_E1_NS1_11comp_targetILNS1_3genE9ELNS1_11target_archE1100ELNS1_3gpuE3ELNS1_3repE0EEENS1_36merge_oddeven_config_static_selectorELNS0_4arch9wavefront6targetE0EEEvSF_,@function
_ZN7rocprim17ROCPRIM_400000_NS6detail17trampoline_kernelINS0_14default_configENS1_38merge_sort_block_merge_config_selectorIlNS0_10empty_typeEEEZZNS1_27merge_sort_block_merge_implIS3_PlPS5_jNS1_19radix_merge_compareILb1ELb1ElNS0_19identity_decomposerEEEEE10hipError_tT0_T1_T2_jT3_P12ihipStream_tbPNSt15iterator_traitsISE_E10value_typeEPNSK_ISF_E10value_typeEPSG_NS1_7vsmem_tEENKUlT_SE_SF_SG_E_clIS8_S8_S9_S9_EESD_ST_SE_SF_SG_EUlST_E1_NS1_11comp_targetILNS1_3genE9ELNS1_11target_archE1100ELNS1_3gpuE3ELNS1_3repE0EEENS1_36merge_oddeven_config_static_selectorELNS0_4arch9wavefront6targetE0EEEvSF_: ; @_ZN7rocprim17ROCPRIM_400000_NS6detail17trampoline_kernelINS0_14default_configENS1_38merge_sort_block_merge_config_selectorIlNS0_10empty_typeEEEZZNS1_27merge_sort_block_merge_implIS3_PlPS5_jNS1_19radix_merge_compareILb1ELb1ElNS0_19identity_decomposerEEEEE10hipError_tT0_T1_T2_jT3_P12ihipStream_tbPNSt15iterator_traitsISE_E10value_typeEPNSK_ISF_E10value_typeEPSG_NS1_7vsmem_tEENKUlT_SE_SF_SG_E_clIS8_S8_S9_S9_EESD_ST_SE_SF_SG_EUlST_E1_NS1_11comp_targetILNS1_3genE9ELNS1_11target_archE1100ELNS1_3gpuE3ELNS1_3repE0EEENS1_36merge_oddeven_config_static_selectorELNS0_4arch9wavefront6targetE0EEEvSF_
; %bb.0:
	.section	.rodata,"a",@progbits
	.p2align	6, 0x0
	.amdhsa_kernel _ZN7rocprim17ROCPRIM_400000_NS6detail17trampoline_kernelINS0_14default_configENS1_38merge_sort_block_merge_config_selectorIlNS0_10empty_typeEEEZZNS1_27merge_sort_block_merge_implIS3_PlPS5_jNS1_19radix_merge_compareILb1ELb1ElNS0_19identity_decomposerEEEEE10hipError_tT0_T1_T2_jT3_P12ihipStream_tbPNSt15iterator_traitsISE_E10value_typeEPNSK_ISF_E10value_typeEPSG_NS1_7vsmem_tEENKUlT_SE_SF_SG_E_clIS8_S8_S9_S9_EESD_ST_SE_SF_SG_EUlST_E1_NS1_11comp_targetILNS1_3genE9ELNS1_11target_archE1100ELNS1_3gpuE3ELNS1_3repE0EEENS1_36merge_oddeven_config_static_selectorELNS0_4arch9wavefront6targetE0EEEvSF_
		.amdhsa_group_segment_fixed_size 0
		.amdhsa_private_segment_fixed_size 0
		.amdhsa_kernarg_size 48
		.amdhsa_user_sgpr_count 2
		.amdhsa_user_sgpr_dispatch_ptr 0
		.amdhsa_user_sgpr_queue_ptr 0
		.amdhsa_user_sgpr_kernarg_segment_ptr 1
		.amdhsa_user_sgpr_dispatch_id 0
		.amdhsa_user_sgpr_kernarg_preload_length 0
		.amdhsa_user_sgpr_kernarg_preload_offset 0
		.amdhsa_user_sgpr_private_segment_size 0
		.amdhsa_wavefront_size32 1
		.amdhsa_uses_dynamic_stack 0
		.amdhsa_enable_private_segment 0
		.amdhsa_system_sgpr_workgroup_id_x 1
		.amdhsa_system_sgpr_workgroup_id_y 0
		.amdhsa_system_sgpr_workgroup_id_z 0
		.amdhsa_system_sgpr_workgroup_info 0
		.amdhsa_system_vgpr_workitem_id 0
		.amdhsa_next_free_vgpr 1
		.amdhsa_next_free_sgpr 1
		.amdhsa_named_barrier_count 0
		.amdhsa_reserve_vcc 0
		.amdhsa_float_round_mode_32 0
		.amdhsa_float_round_mode_16_64 0
		.amdhsa_float_denorm_mode_32 3
		.amdhsa_float_denorm_mode_16_64 3
		.amdhsa_fp16_overflow 0
		.amdhsa_memory_ordered 1
		.amdhsa_forward_progress 1
		.amdhsa_inst_pref_size 0
		.amdhsa_round_robin_scheduling 0
		.amdhsa_exception_fp_ieee_invalid_op 0
		.amdhsa_exception_fp_denorm_src 0
		.amdhsa_exception_fp_ieee_div_zero 0
		.amdhsa_exception_fp_ieee_overflow 0
		.amdhsa_exception_fp_ieee_underflow 0
		.amdhsa_exception_fp_ieee_inexact 0
		.amdhsa_exception_int_div_zero 0
	.end_amdhsa_kernel
	.section	.text._ZN7rocprim17ROCPRIM_400000_NS6detail17trampoline_kernelINS0_14default_configENS1_38merge_sort_block_merge_config_selectorIlNS0_10empty_typeEEEZZNS1_27merge_sort_block_merge_implIS3_PlPS5_jNS1_19radix_merge_compareILb1ELb1ElNS0_19identity_decomposerEEEEE10hipError_tT0_T1_T2_jT3_P12ihipStream_tbPNSt15iterator_traitsISE_E10value_typeEPNSK_ISF_E10value_typeEPSG_NS1_7vsmem_tEENKUlT_SE_SF_SG_E_clIS8_S8_S9_S9_EESD_ST_SE_SF_SG_EUlST_E1_NS1_11comp_targetILNS1_3genE9ELNS1_11target_archE1100ELNS1_3gpuE3ELNS1_3repE0EEENS1_36merge_oddeven_config_static_selectorELNS0_4arch9wavefront6targetE0EEEvSF_,"axG",@progbits,_ZN7rocprim17ROCPRIM_400000_NS6detail17trampoline_kernelINS0_14default_configENS1_38merge_sort_block_merge_config_selectorIlNS0_10empty_typeEEEZZNS1_27merge_sort_block_merge_implIS3_PlPS5_jNS1_19radix_merge_compareILb1ELb1ElNS0_19identity_decomposerEEEEE10hipError_tT0_T1_T2_jT3_P12ihipStream_tbPNSt15iterator_traitsISE_E10value_typeEPNSK_ISF_E10value_typeEPSG_NS1_7vsmem_tEENKUlT_SE_SF_SG_E_clIS8_S8_S9_S9_EESD_ST_SE_SF_SG_EUlST_E1_NS1_11comp_targetILNS1_3genE9ELNS1_11target_archE1100ELNS1_3gpuE3ELNS1_3repE0EEENS1_36merge_oddeven_config_static_selectorELNS0_4arch9wavefront6targetE0EEEvSF_,comdat
.Lfunc_end1068:
	.size	_ZN7rocprim17ROCPRIM_400000_NS6detail17trampoline_kernelINS0_14default_configENS1_38merge_sort_block_merge_config_selectorIlNS0_10empty_typeEEEZZNS1_27merge_sort_block_merge_implIS3_PlPS5_jNS1_19radix_merge_compareILb1ELb1ElNS0_19identity_decomposerEEEEE10hipError_tT0_T1_T2_jT3_P12ihipStream_tbPNSt15iterator_traitsISE_E10value_typeEPNSK_ISF_E10value_typeEPSG_NS1_7vsmem_tEENKUlT_SE_SF_SG_E_clIS8_S8_S9_S9_EESD_ST_SE_SF_SG_EUlST_E1_NS1_11comp_targetILNS1_3genE9ELNS1_11target_archE1100ELNS1_3gpuE3ELNS1_3repE0EEENS1_36merge_oddeven_config_static_selectorELNS0_4arch9wavefront6targetE0EEEvSF_, .Lfunc_end1068-_ZN7rocprim17ROCPRIM_400000_NS6detail17trampoline_kernelINS0_14default_configENS1_38merge_sort_block_merge_config_selectorIlNS0_10empty_typeEEEZZNS1_27merge_sort_block_merge_implIS3_PlPS5_jNS1_19radix_merge_compareILb1ELb1ElNS0_19identity_decomposerEEEEE10hipError_tT0_T1_T2_jT3_P12ihipStream_tbPNSt15iterator_traitsISE_E10value_typeEPNSK_ISF_E10value_typeEPSG_NS1_7vsmem_tEENKUlT_SE_SF_SG_E_clIS8_S8_S9_S9_EESD_ST_SE_SF_SG_EUlST_E1_NS1_11comp_targetILNS1_3genE9ELNS1_11target_archE1100ELNS1_3gpuE3ELNS1_3repE0EEENS1_36merge_oddeven_config_static_selectorELNS0_4arch9wavefront6targetE0EEEvSF_
                                        ; -- End function
	.set _ZN7rocprim17ROCPRIM_400000_NS6detail17trampoline_kernelINS0_14default_configENS1_38merge_sort_block_merge_config_selectorIlNS0_10empty_typeEEEZZNS1_27merge_sort_block_merge_implIS3_PlPS5_jNS1_19radix_merge_compareILb1ELb1ElNS0_19identity_decomposerEEEEE10hipError_tT0_T1_T2_jT3_P12ihipStream_tbPNSt15iterator_traitsISE_E10value_typeEPNSK_ISF_E10value_typeEPSG_NS1_7vsmem_tEENKUlT_SE_SF_SG_E_clIS8_S8_S9_S9_EESD_ST_SE_SF_SG_EUlST_E1_NS1_11comp_targetILNS1_3genE9ELNS1_11target_archE1100ELNS1_3gpuE3ELNS1_3repE0EEENS1_36merge_oddeven_config_static_selectorELNS0_4arch9wavefront6targetE0EEEvSF_.num_vgpr, 0
	.set _ZN7rocprim17ROCPRIM_400000_NS6detail17trampoline_kernelINS0_14default_configENS1_38merge_sort_block_merge_config_selectorIlNS0_10empty_typeEEEZZNS1_27merge_sort_block_merge_implIS3_PlPS5_jNS1_19radix_merge_compareILb1ELb1ElNS0_19identity_decomposerEEEEE10hipError_tT0_T1_T2_jT3_P12ihipStream_tbPNSt15iterator_traitsISE_E10value_typeEPNSK_ISF_E10value_typeEPSG_NS1_7vsmem_tEENKUlT_SE_SF_SG_E_clIS8_S8_S9_S9_EESD_ST_SE_SF_SG_EUlST_E1_NS1_11comp_targetILNS1_3genE9ELNS1_11target_archE1100ELNS1_3gpuE3ELNS1_3repE0EEENS1_36merge_oddeven_config_static_selectorELNS0_4arch9wavefront6targetE0EEEvSF_.num_agpr, 0
	.set _ZN7rocprim17ROCPRIM_400000_NS6detail17trampoline_kernelINS0_14default_configENS1_38merge_sort_block_merge_config_selectorIlNS0_10empty_typeEEEZZNS1_27merge_sort_block_merge_implIS3_PlPS5_jNS1_19radix_merge_compareILb1ELb1ElNS0_19identity_decomposerEEEEE10hipError_tT0_T1_T2_jT3_P12ihipStream_tbPNSt15iterator_traitsISE_E10value_typeEPNSK_ISF_E10value_typeEPSG_NS1_7vsmem_tEENKUlT_SE_SF_SG_E_clIS8_S8_S9_S9_EESD_ST_SE_SF_SG_EUlST_E1_NS1_11comp_targetILNS1_3genE9ELNS1_11target_archE1100ELNS1_3gpuE3ELNS1_3repE0EEENS1_36merge_oddeven_config_static_selectorELNS0_4arch9wavefront6targetE0EEEvSF_.numbered_sgpr, 0
	.set _ZN7rocprim17ROCPRIM_400000_NS6detail17trampoline_kernelINS0_14default_configENS1_38merge_sort_block_merge_config_selectorIlNS0_10empty_typeEEEZZNS1_27merge_sort_block_merge_implIS3_PlPS5_jNS1_19radix_merge_compareILb1ELb1ElNS0_19identity_decomposerEEEEE10hipError_tT0_T1_T2_jT3_P12ihipStream_tbPNSt15iterator_traitsISE_E10value_typeEPNSK_ISF_E10value_typeEPSG_NS1_7vsmem_tEENKUlT_SE_SF_SG_E_clIS8_S8_S9_S9_EESD_ST_SE_SF_SG_EUlST_E1_NS1_11comp_targetILNS1_3genE9ELNS1_11target_archE1100ELNS1_3gpuE3ELNS1_3repE0EEENS1_36merge_oddeven_config_static_selectorELNS0_4arch9wavefront6targetE0EEEvSF_.num_named_barrier, 0
	.set _ZN7rocprim17ROCPRIM_400000_NS6detail17trampoline_kernelINS0_14default_configENS1_38merge_sort_block_merge_config_selectorIlNS0_10empty_typeEEEZZNS1_27merge_sort_block_merge_implIS3_PlPS5_jNS1_19radix_merge_compareILb1ELb1ElNS0_19identity_decomposerEEEEE10hipError_tT0_T1_T2_jT3_P12ihipStream_tbPNSt15iterator_traitsISE_E10value_typeEPNSK_ISF_E10value_typeEPSG_NS1_7vsmem_tEENKUlT_SE_SF_SG_E_clIS8_S8_S9_S9_EESD_ST_SE_SF_SG_EUlST_E1_NS1_11comp_targetILNS1_3genE9ELNS1_11target_archE1100ELNS1_3gpuE3ELNS1_3repE0EEENS1_36merge_oddeven_config_static_selectorELNS0_4arch9wavefront6targetE0EEEvSF_.private_seg_size, 0
	.set _ZN7rocprim17ROCPRIM_400000_NS6detail17trampoline_kernelINS0_14default_configENS1_38merge_sort_block_merge_config_selectorIlNS0_10empty_typeEEEZZNS1_27merge_sort_block_merge_implIS3_PlPS5_jNS1_19radix_merge_compareILb1ELb1ElNS0_19identity_decomposerEEEEE10hipError_tT0_T1_T2_jT3_P12ihipStream_tbPNSt15iterator_traitsISE_E10value_typeEPNSK_ISF_E10value_typeEPSG_NS1_7vsmem_tEENKUlT_SE_SF_SG_E_clIS8_S8_S9_S9_EESD_ST_SE_SF_SG_EUlST_E1_NS1_11comp_targetILNS1_3genE9ELNS1_11target_archE1100ELNS1_3gpuE3ELNS1_3repE0EEENS1_36merge_oddeven_config_static_selectorELNS0_4arch9wavefront6targetE0EEEvSF_.uses_vcc, 0
	.set _ZN7rocprim17ROCPRIM_400000_NS6detail17trampoline_kernelINS0_14default_configENS1_38merge_sort_block_merge_config_selectorIlNS0_10empty_typeEEEZZNS1_27merge_sort_block_merge_implIS3_PlPS5_jNS1_19radix_merge_compareILb1ELb1ElNS0_19identity_decomposerEEEEE10hipError_tT0_T1_T2_jT3_P12ihipStream_tbPNSt15iterator_traitsISE_E10value_typeEPNSK_ISF_E10value_typeEPSG_NS1_7vsmem_tEENKUlT_SE_SF_SG_E_clIS8_S8_S9_S9_EESD_ST_SE_SF_SG_EUlST_E1_NS1_11comp_targetILNS1_3genE9ELNS1_11target_archE1100ELNS1_3gpuE3ELNS1_3repE0EEENS1_36merge_oddeven_config_static_selectorELNS0_4arch9wavefront6targetE0EEEvSF_.uses_flat_scratch, 0
	.set _ZN7rocprim17ROCPRIM_400000_NS6detail17trampoline_kernelINS0_14default_configENS1_38merge_sort_block_merge_config_selectorIlNS0_10empty_typeEEEZZNS1_27merge_sort_block_merge_implIS3_PlPS5_jNS1_19radix_merge_compareILb1ELb1ElNS0_19identity_decomposerEEEEE10hipError_tT0_T1_T2_jT3_P12ihipStream_tbPNSt15iterator_traitsISE_E10value_typeEPNSK_ISF_E10value_typeEPSG_NS1_7vsmem_tEENKUlT_SE_SF_SG_E_clIS8_S8_S9_S9_EESD_ST_SE_SF_SG_EUlST_E1_NS1_11comp_targetILNS1_3genE9ELNS1_11target_archE1100ELNS1_3gpuE3ELNS1_3repE0EEENS1_36merge_oddeven_config_static_selectorELNS0_4arch9wavefront6targetE0EEEvSF_.has_dyn_sized_stack, 0
	.set _ZN7rocprim17ROCPRIM_400000_NS6detail17trampoline_kernelINS0_14default_configENS1_38merge_sort_block_merge_config_selectorIlNS0_10empty_typeEEEZZNS1_27merge_sort_block_merge_implIS3_PlPS5_jNS1_19radix_merge_compareILb1ELb1ElNS0_19identity_decomposerEEEEE10hipError_tT0_T1_T2_jT3_P12ihipStream_tbPNSt15iterator_traitsISE_E10value_typeEPNSK_ISF_E10value_typeEPSG_NS1_7vsmem_tEENKUlT_SE_SF_SG_E_clIS8_S8_S9_S9_EESD_ST_SE_SF_SG_EUlST_E1_NS1_11comp_targetILNS1_3genE9ELNS1_11target_archE1100ELNS1_3gpuE3ELNS1_3repE0EEENS1_36merge_oddeven_config_static_selectorELNS0_4arch9wavefront6targetE0EEEvSF_.has_recursion, 0
	.set _ZN7rocprim17ROCPRIM_400000_NS6detail17trampoline_kernelINS0_14default_configENS1_38merge_sort_block_merge_config_selectorIlNS0_10empty_typeEEEZZNS1_27merge_sort_block_merge_implIS3_PlPS5_jNS1_19radix_merge_compareILb1ELb1ElNS0_19identity_decomposerEEEEE10hipError_tT0_T1_T2_jT3_P12ihipStream_tbPNSt15iterator_traitsISE_E10value_typeEPNSK_ISF_E10value_typeEPSG_NS1_7vsmem_tEENKUlT_SE_SF_SG_E_clIS8_S8_S9_S9_EESD_ST_SE_SF_SG_EUlST_E1_NS1_11comp_targetILNS1_3genE9ELNS1_11target_archE1100ELNS1_3gpuE3ELNS1_3repE0EEENS1_36merge_oddeven_config_static_selectorELNS0_4arch9wavefront6targetE0EEEvSF_.has_indirect_call, 0
	.section	.AMDGPU.csdata,"",@progbits
; Kernel info:
; codeLenInByte = 0
; TotalNumSgprs: 0
; NumVgprs: 0
; ScratchSize: 0
; MemoryBound: 0
; FloatMode: 240
; IeeeMode: 1
; LDSByteSize: 0 bytes/workgroup (compile time only)
; SGPRBlocks: 0
; VGPRBlocks: 0
; NumSGPRsForWavesPerEU: 1
; NumVGPRsForWavesPerEU: 1
; NamedBarCnt: 0
; Occupancy: 16
; WaveLimiterHint : 0
; COMPUTE_PGM_RSRC2:SCRATCH_EN: 0
; COMPUTE_PGM_RSRC2:USER_SGPR: 2
; COMPUTE_PGM_RSRC2:TRAP_HANDLER: 0
; COMPUTE_PGM_RSRC2:TGID_X_EN: 1
; COMPUTE_PGM_RSRC2:TGID_Y_EN: 0
; COMPUTE_PGM_RSRC2:TGID_Z_EN: 0
; COMPUTE_PGM_RSRC2:TIDIG_COMP_CNT: 0
	.section	.text._ZN7rocprim17ROCPRIM_400000_NS6detail17trampoline_kernelINS0_14default_configENS1_38merge_sort_block_merge_config_selectorIlNS0_10empty_typeEEEZZNS1_27merge_sort_block_merge_implIS3_PlPS5_jNS1_19radix_merge_compareILb1ELb1ElNS0_19identity_decomposerEEEEE10hipError_tT0_T1_T2_jT3_P12ihipStream_tbPNSt15iterator_traitsISE_E10value_typeEPNSK_ISF_E10value_typeEPSG_NS1_7vsmem_tEENKUlT_SE_SF_SG_E_clIS8_S8_S9_S9_EESD_ST_SE_SF_SG_EUlST_E1_NS1_11comp_targetILNS1_3genE8ELNS1_11target_archE1030ELNS1_3gpuE2ELNS1_3repE0EEENS1_36merge_oddeven_config_static_selectorELNS0_4arch9wavefront6targetE0EEEvSF_,"axG",@progbits,_ZN7rocprim17ROCPRIM_400000_NS6detail17trampoline_kernelINS0_14default_configENS1_38merge_sort_block_merge_config_selectorIlNS0_10empty_typeEEEZZNS1_27merge_sort_block_merge_implIS3_PlPS5_jNS1_19radix_merge_compareILb1ELb1ElNS0_19identity_decomposerEEEEE10hipError_tT0_T1_T2_jT3_P12ihipStream_tbPNSt15iterator_traitsISE_E10value_typeEPNSK_ISF_E10value_typeEPSG_NS1_7vsmem_tEENKUlT_SE_SF_SG_E_clIS8_S8_S9_S9_EESD_ST_SE_SF_SG_EUlST_E1_NS1_11comp_targetILNS1_3genE8ELNS1_11target_archE1030ELNS1_3gpuE2ELNS1_3repE0EEENS1_36merge_oddeven_config_static_selectorELNS0_4arch9wavefront6targetE0EEEvSF_,comdat
	.protected	_ZN7rocprim17ROCPRIM_400000_NS6detail17trampoline_kernelINS0_14default_configENS1_38merge_sort_block_merge_config_selectorIlNS0_10empty_typeEEEZZNS1_27merge_sort_block_merge_implIS3_PlPS5_jNS1_19radix_merge_compareILb1ELb1ElNS0_19identity_decomposerEEEEE10hipError_tT0_T1_T2_jT3_P12ihipStream_tbPNSt15iterator_traitsISE_E10value_typeEPNSK_ISF_E10value_typeEPSG_NS1_7vsmem_tEENKUlT_SE_SF_SG_E_clIS8_S8_S9_S9_EESD_ST_SE_SF_SG_EUlST_E1_NS1_11comp_targetILNS1_3genE8ELNS1_11target_archE1030ELNS1_3gpuE2ELNS1_3repE0EEENS1_36merge_oddeven_config_static_selectorELNS0_4arch9wavefront6targetE0EEEvSF_ ; -- Begin function _ZN7rocprim17ROCPRIM_400000_NS6detail17trampoline_kernelINS0_14default_configENS1_38merge_sort_block_merge_config_selectorIlNS0_10empty_typeEEEZZNS1_27merge_sort_block_merge_implIS3_PlPS5_jNS1_19radix_merge_compareILb1ELb1ElNS0_19identity_decomposerEEEEE10hipError_tT0_T1_T2_jT3_P12ihipStream_tbPNSt15iterator_traitsISE_E10value_typeEPNSK_ISF_E10value_typeEPSG_NS1_7vsmem_tEENKUlT_SE_SF_SG_E_clIS8_S8_S9_S9_EESD_ST_SE_SF_SG_EUlST_E1_NS1_11comp_targetILNS1_3genE8ELNS1_11target_archE1030ELNS1_3gpuE2ELNS1_3repE0EEENS1_36merge_oddeven_config_static_selectorELNS0_4arch9wavefront6targetE0EEEvSF_
	.globl	_ZN7rocprim17ROCPRIM_400000_NS6detail17trampoline_kernelINS0_14default_configENS1_38merge_sort_block_merge_config_selectorIlNS0_10empty_typeEEEZZNS1_27merge_sort_block_merge_implIS3_PlPS5_jNS1_19radix_merge_compareILb1ELb1ElNS0_19identity_decomposerEEEEE10hipError_tT0_T1_T2_jT3_P12ihipStream_tbPNSt15iterator_traitsISE_E10value_typeEPNSK_ISF_E10value_typeEPSG_NS1_7vsmem_tEENKUlT_SE_SF_SG_E_clIS8_S8_S9_S9_EESD_ST_SE_SF_SG_EUlST_E1_NS1_11comp_targetILNS1_3genE8ELNS1_11target_archE1030ELNS1_3gpuE2ELNS1_3repE0EEENS1_36merge_oddeven_config_static_selectorELNS0_4arch9wavefront6targetE0EEEvSF_
	.p2align	8
	.type	_ZN7rocprim17ROCPRIM_400000_NS6detail17trampoline_kernelINS0_14default_configENS1_38merge_sort_block_merge_config_selectorIlNS0_10empty_typeEEEZZNS1_27merge_sort_block_merge_implIS3_PlPS5_jNS1_19radix_merge_compareILb1ELb1ElNS0_19identity_decomposerEEEEE10hipError_tT0_T1_T2_jT3_P12ihipStream_tbPNSt15iterator_traitsISE_E10value_typeEPNSK_ISF_E10value_typeEPSG_NS1_7vsmem_tEENKUlT_SE_SF_SG_E_clIS8_S8_S9_S9_EESD_ST_SE_SF_SG_EUlST_E1_NS1_11comp_targetILNS1_3genE8ELNS1_11target_archE1030ELNS1_3gpuE2ELNS1_3repE0EEENS1_36merge_oddeven_config_static_selectorELNS0_4arch9wavefront6targetE0EEEvSF_,@function
_ZN7rocprim17ROCPRIM_400000_NS6detail17trampoline_kernelINS0_14default_configENS1_38merge_sort_block_merge_config_selectorIlNS0_10empty_typeEEEZZNS1_27merge_sort_block_merge_implIS3_PlPS5_jNS1_19radix_merge_compareILb1ELb1ElNS0_19identity_decomposerEEEEE10hipError_tT0_T1_T2_jT3_P12ihipStream_tbPNSt15iterator_traitsISE_E10value_typeEPNSK_ISF_E10value_typeEPSG_NS1_7vsmem_tEENKUlT_SE_SF_SG_E_clIS8_S8_S9_S9_EESD_ST_SE_SF_SG_EUlST_E1_NS1_11comp_targetILNS1_3genE8ELNS1_11target_archE1030ELNS1_3gpuE2ELNS1_3repE0EEENS1_36merge_oddeven_config_static_selectorELNS0_4arch9wavefront6targetE0EEEvSF_: ; @_ZN7rocprim17ROCPRIM_400000_NS6detail17trampoline_kernelINS0_14default_configENS1_38merge_sort_block_merge_config_selectorIlNS0_10empty_typeEEEZZNS1_27merge_sort_block_merge_implIS3_PlPS5_jNS1_19radix_merge_compareILb1ELb1ElNS0_19identity_decomposerEEEEE10hipError_tT0_T1_T2_jT3_P12ihipStream_tbPNSt15iterator_traitsISE_E10value_typeEPNSK_ISF_E10value_typeEPSG_NS1_7vsmem_tEENKUlT_SE_SF_SG_E_clIS8_S8_S9_S9_EESD_ST_SE_SF_SG_EUlST_E1_NS1_11comp_targetILNS1_3genE8ELNS1_11target_archE1030ELNS1_3gpuE2ELNS1_3repE0EEENS1_36merge_oddeven_config_static_selectorELNS0_4arch9wavefront6targetE0EEEvSF_
; %bb.0:
	.section	.rodata,"a",@progbits
	.p2align	6, 0x0
	.amdhsa_kernel _ZN7rocprim17ROCPRIM_400000_NS6detail17trampoline_kernelINS0_14default_configENS1_38merge_sort_block_merge_config_selectorIlNS0_10empty_typeEEEZZNS1_27merge_sort_block_merge_implIS3_PlPS5_jNS1_19radix_merge_compareILb1ELb1ElNS0_19identity_decomposerEEEEE10hipError_tT0_T1_T2_jT3_P12ihipStream_tbPNSt15iterator_traitsISE_E10value_typeEPNSK_ISF_E10value_typeEPSG_NS1_7vsmem_tEENKUlT_SE_SF_SG_E_clIS8_S8_S9_S9_EESD_ST_SE_SF_SG_EUlST_E1_NS1_11comp_targetILNS1_3genE8ELNS1_11target_archE1030ELNS1_3gpuE2ELNS1_3repE0EEENS1_36merge_oddeven_config_static_selectorELNS0_4arch9wavefront6targetE0EEEvSF_
		.amdhsa_group_segment_fixed_size 0
		.amdhsa_private_segment_fixed_size 0
		.amdhsa_kernarg_size 48
		.amdhsa_user_sgpr_count 2
		.amdhsa_user_sgpr_dispatch_ptr 0
		.amdhsa_user_sgpr_queue_ptr 0
		.amdhsa_user_sgpr_kernarg_segment_ptr 1
		.amdhsa_user_sgpr_dispatch_id 0
		.amdhsa_user_sgpr_kernarg_preload_length 0
		.amdhsa_user_sgpr_kernarg_preload_offset 0
		.amdhsa_user_sgpr_private_segment_size 0
		.amdhsa_wavefront_size32 1
		.amdhsa_uses_dynamic_stack 0
		.amdhsa_enable_private_segment 0
		.amdhsa_system_sgpr_workgroup_id_x 1
		.amdhsa_system_sgpr_workgroup_id_y 0
		.amdhsa_system_sgpr_workgroup_id_z 0
		.amdhsa_system_sgpr_workgroup_info 0
		.amdhsa_system_vgpr_workitem_id 0
		.amdhsa_next_free_vgpr 1
		.amdhsa_next_free_sgpr 1
		.amdhsa_named_barrier_count 0
		.amdhsa_reserve_vcc 0
		.amdhsa_float_round_mode_32 0
		.amdhsa_float_round_mode_16_64 0
		.amdhsa_float_denorm_mode_32 3
		.amdhsa_float_denorm_mode_16_64 3
		.amdhsa_fp16_overflow 0
		.amdhsa_memory_ordered 1
		.amdhsa_forward_progress 1
		.amdhsa_inst_pref_size 0
		.amdhsa_round_robin_scheduling 0
		.amdhsa_exception_fp_ieee_invalid_op 0
		.amdhsa_exception_fp_denorm_src 0
		.amdhsa_exception_fp_ieee_div_zero 0
		.amdhsa_exception_fp_ieee_overflow 0
		.amdhsa_exception_fp_ieee_underflow 0
		.amdhsa_exception_fp_ieee_inexact 0
		.amdhsa_exception_int_div_zero 0
	.end_amdhsa_kernel
	.section	.text._ZN7rocprim17ROCPRIM_400000_NS6detail17trampoline_kernelINS0_14default_configENS1_38merge_sort_block_merge_config_selectorIlNS0_10empty_typeEEEZZNS1_27merge_sort_block_merge_implIS3_PlPS5_jNS1_19radix_merge_compareILb1ELb1ElNS0_19identity_decomposerEEEEE10hipError_tT0_T1_T2_jT3_P12ihipStream_tbPNSt15iterator_traitsISE_E10value_typeEPNSK_ISF_E10value_typeEPSG_NS1_7vsmem_tEENKUlT_SE_SF_SG_E_clIS8_S8_S9_S9_EESD_ST_SE_SF_SG_EUlST_E1_NS1_11comp_targetILNS1_3genE8ELNS1_11target_archE1030ELNS1_3gpuE2ELNS1_3repE0EEENS1_36merge_oddeven_config_static_selectorELNS0_4arch9wavefront6targetE0EEEvSF_,"axG",@progbits,_ZN7rocprim17ROCPRIM_400000_NS6detail17trampoline_kernelINS0_14default_configENS1_38merge_sort_block_merge_config_selectorIlNS0_10empty_typeEEEZZNS1_27merge_sort_block_merge_implIS3_PlPS5_jNS1_19radix_merge_compareILb1ELb1ElNS0_19identity_decomposerEEEEE10hipError_tT0_T1_T2_jT3_P12ihipStream_tbPNSt15iterator_traitsISE_E10value_typeEPNSK_ISF_E10value_typeEPSG_NS1_7vsmem_tEENKUlT_SE_SF_SG_E_clIS8_S8_S9_S9_EESD_ST_SE_SF_SG_EUlST_E1_NS1_11comp_targetILNS1_3genE8ELNS1_11target_archE1030ELNS1_3gpuE2ELNS1_3repE0EEENS1_36merge_oddeven_config_static_selectorELNS0_4arch9wavefront6targetE0EEEvSF_,comdat
.Lfunc_end1069:
	.size	_ZN7rocprim17ROCPRIM_400000_NS6detail17trampoline_kernelINS0_14default_configENS1_38merge_sort_block_merge_config_selectorIlNS0_10empty_typeEEEZZNS1_27merge_sort_block_merge_implIS3_PlPS5_jNS1_19radix_merge_compareILb1ELb1ElNS0_19identity_decomposerEEEEE10hipError_tT0_T1_T2_jT3_P12ihipStream_tbPNSt15iterator_traitsISE_E10value_typeEPNSK_ISF_E10value_typeEPSG_NS1_7vsmem_tEENKUlT_SE_SF_SG_E_clIS8_S8_S9_S9_EESD_ST_SE_SF_SG_EUlST_E1_NS1_11comp_targetILNS1_3genE8ELNS1_11target_archE1030ELNS1_3gpuE2ELNS1_3repE0EEENS1_36merge_oddeven_config_static_selectorELNS0_4arch9wavefront6targetE0EEEvSF_, .Lfunc_end1069-_ZN7rocprim17ROCPRIM_400000_NS6detail17trampoline_kernelINS0_14default_configENS1_38merge_sort_block_merge_config_selectorIlNS0_10empty_typeEEEZZNS1_27merge_sort_block_merge_implIS3_PlPS5_jNS1_19radix_merge_compareILb1ELb1ElNS0_19identity_decomposerEEEEE10hipError_tT0_T1_T2_jT3_P12ihipStream_tbPNSt15iterator_traitsISE_E10value_typeEPNSK_ISF_E10value_typeEPSG_NS1_7vsmem_tEENKUlT_SE_SF_SG_E_clIS8_S8_S9_S9_EESD_ST_SE_SF_SG_EUlST_E1_NS1_11comp_targetILNS1_3genE8ELNS1_11target_archE1030ELNS1_3gpuE2ELNS1_3repE0EEENS1_36merge_oddeven_config_static_selectorELNS0_4arch9wavefront6targetE0EEEvSF_
                                        ; -- End function
	.set _ZN7rocprim17ROCPRIM_400000_NS6detail17trampoline_kernelINS0_14default_configENS1_38merge_sort_block_merge_config_selectorIlNS0_10empty_typeEEEZZNS1_27merge_sort_block_merge_implIS3_PlPS5_jNS1_19radix_merge_compareILb1ELb1ElNS0_19identity_decomposerEEEEE10hipError_tT0_T1_T2_jT3_P12ihipStream_tbPNSt15iterator_traitsISE_E10value_typeEPNSK_ISF_E10value_typeEPSG_NS1_7vsmem_tEENKUlT_SE_SF_SG_E_clIS8_S8_S9_S9_EESD_ST_SE_SF_SG_EUlST_E1_NS1_11comp_targetILNS1_3genE8ELNS1_11target_archE1030ELNS1_3gpuE2ELNS1_3repE0EEENS1_36merge_oddeven_config_static_selectorELNS0_4arch9wavefront6targetE0EEEvSF_.num_vgpr, 0
	.set _ZN7rocprim17ROCPRIM_400000_NS6detail17trampoline_kernelINS0_14default_configENS1_38merge_sort_block_merge_config_selectorIlNS0_10empty_typeEEEZZNS1_27merge_sort_block_merge_implIS3_PlPS5_jNS1_19radix_merge_compareILb1ELb1ElNS0_19identity_decomposerEEEEE10hipError_tT0_T1_T2_jT3_P12ihipStream_tbPNSt15iterator_traitsISE_E10value_typeEPNSK_ISF_E10value_typeEPSG_NS1_7vsmem_tEENKUlT_SE_SF_SG_E_clIS8_S8_S9_S9_EESD_ST_SE_SF_SG_EUlST_E1_NS1_11comp_targetILNS1_3genE8ELNS1_11target_archE1030ELNS1_3gpuE2ELNS1_3repE0EEENS1_36merge_oddeven_config_static_selectorELNS0_4arch9wavefront6targetE0EEEvSF_.num_agpr, 0
	.set _ZN7rocprim17ROCPRIM_400000_NS6detail17trampoline_kernelINS0_14default_configENS1_38merge_sort_block_merge_config_selectorIlNS0_10empty_typeEEEZZNS1_27merge_sort_block_merge_implIS3_PlPS5_jNS1_19radix_merge_compareILb1ELb1ElNS0_19identity_decomposerEEEEE10hipError_tT0_T1_T2_jT3_P12ihipStream_tbPNSt15iterator_traitsISE_E10value_typeEPNSK_ISF_E10value_typeEPSG_NS1_7vsmem_tEENKUlT_SE_SF_SG_E_clIS8_S8_S9_S9_EESD_ST_SE_SF_SG_EUlST_E1_NS1_11comp_targetILNS1_3genE8ELNS1_11target_archE1030ELNS1_3gpuE2ELNS1_3repE0EEENS1_36merge_oddeven_config_static_selectorELNS0_4arch9wavefront6targetE0EEEvSF_.numbered_sgpr, 0
	.set _ZN7rocprim17ROCPRIM_400000_NS6detail17trampoline_kernelINS0_14default_configENS1_38merge_sort_block_merge_config_selectorIlNS0_10empty_typeEEEZZNS1_27merge_sort_block_merge_implIS3_PlPS5_jNS1_19radix_merge_compareILb1ELb1ElNS0_19identity_decomposerEEEEE10hipError_tT0_T1_T2_jT3_P12ihipStream_tbPNSt15iterator_traitsISE_E10value_typeEPNSK_ISF_E10value_typeEPSG_NS1_7vsmem_tEENKUlT_SE_SF_SG_E_clIS8_S8_S9_S9_EESD_ST_SE_SF_SG_EUlST_E1_NS1_11comp_targetILNS1_3genE8ELNS1_11target_archE1030ELNS1_3gpuE2ELNS1_3repE0EEENS1_36merge_oddeven_config_static_selectorELNS0_4arch9wavefront6targetE0EEEvSF_.num_named_barrier, 0
	.set _ZN7rocprim17ROCPRIM_400000_NS6detail17trampoline_kernelINS0_14default_configENS1_38merge_sort_block_merge_config_selectorIlNS0_10empty_typeEEEZZNS1_27merge_sort_block_merge_implIS3_PlPS5_jNS1_19radix_merge_compareILb1ELb1ElNS0_19identity_decomposerEEEEE10hipError_tT0_T1_T2_jT3_P12ihipStream_tbPNSt15iterator_traitsISE_E10value_typeEPNSK_ISF_E10value_typeEPSG_NS1_7vsmem_tEENKUlT_SE_SF_SG_E_clIS8_S8_S9_S9_EESD_ST_SE_SF_SG_EUlST_E1_NS1_11comp_targetILNS1_3genE8ELNS1_11target_archE1030ELNS1_3gpuE2ELNS1_3repE0EEENS1_36merge_oddeven_config_static_selectorELNS0_4arch9wavefront6targetE0EEEvSF_.private_seg_size, 0
	.set _ZN7rocprim17ROCPRIM_400000_NS6detail17trampoline_kernelINS0_14default_configENS1_38merge_sort_block_merge_config_selectorIlNS0_10empty_typeEEEZZNS1_27merge_sort_block_merge_implIS3_PlPS5_jNS1_19radix_merge_compareILb1ELb1ElNS0_19identity_decomposerEEEEE10hipError_tT0_T1_T2_jT3_P12ihipStream_tbPNSt15iterator_traitsISE_E10value_typeEPNSK_ISF_E10value_typeEPSG_NS1_7vsmem_tEENKUlT_SE_SF_SG_E_clIS8_S8_S9_S9_EESD_ST_SE_SF_SG_EUlST_E1_NS1_11comp_targetILNS1_3genE8ELNS1_11target_archE1030ELNS1_3gpuE2ELNS1_3repE0EEENS1_36merge_oddeven_config_static_selectorELNS0_4arch9wavefront6targetE0EEEvSF_.uses_vcc, 0
	.set _ZN7rocprim17ROCPRIM_400000_NS6detail17trampoline_kernelINS0_14default_configENS1_38merge_sort_block_merge_config_selectorIlNS0_10empty_typeEEEZZNS1_27merge_sort_block_merge_implIS3_PlPS5_jNS1_19radix_merge_compareILb1ELb1ElNS0_19identity_decomposerEEEEE10hipError_tT0_T1_T2_jT3_P12ihipStream_tbPNSt15iterator_traitsISE_E10value_typeEPNSK_ISF_E10value_typeEPSG_NS1_7vsmem_tEENKUlT_SE_SF_SG_E_clIS8_S8_S9_S9_EESD_ST_SE_SF_SG_EUlST_E1_NS1_11comp_targetILNS1_3genE8ELNS1_11target_archE1030ELNS1_3gpuE2ELNS1_3repE0EEENS1_36merge_oddeven_config_static_selectorELNS0_4arch9wavefront6targetE0EEEvSF_.uses_flat_scratch, 0
	.set _ZN7rocprim17ROCPRIM_400000_NS6detail17trampoline_kernelINS0_14default_configENS1_38merge_sort_block_merge_config_selectorIlNS0_10empty_typeEEEZZNS1_27merge_sort_block_merge_implIS3_PlPS5_jNS1_19radix_merge_compareILb1ELb1ElNS0_19identity_decomposerEEEEE10hipError_tT0_T1_T2_jT3_P12ihipStream_tbPNSt15iterator_traitsISE_E10value_typeEPNSK_ISF_E10value_typeEPSG_NS1_7vsmem_tEENKUlT_SE_SF_SG_E_clIS8_S8_S9_S9_EESD_ST_SE_SF_SG_EUlST_E1_NS1_11comp_targetILNS1_3genE8ELNS1_11target_archE1030ELNS1_3gpuE2ELNS1_3repE0EEENS1_36merge_oddeven_config_static_selectorELNS0_4arch9wavefront6targetE0EEEvSF_.has_dyn_sized_stack, 0
	.set _ZN7rocprim17ROCPRIM_400000_NS6detail17trampoline_kernelINS0_14default_configENS1_38merge_sort_block_merge_config_selectorIlNS0_10empty_typeEEEZZNS1_27merge_sort_block_merge_implIS3_PlPS5_jNS1_19radix_merge_compareILb1ELb1ElNS0_19identity_decomposerEEEEE10hipError_tT0_T1_T2_jT3_P12ihipStream_tbPNSt15iterator_traitsISE_E10value_typeEPNSK_ISF_E10value_typeEPSG_NS1_7vsmem_tEENKUlT_SE_SF_SG_E_clIS8_S8_S9_S9_EESD_ST_SE_SF_SG_EUlST_E1_NS1_11comp_targetILNS1_3genE8ELNS1_11target_archE1030ELNS1_3gpuE2ELNS1_3repE0EEENS1_36merge_oddeven_config_static_selectorELNS0_4arch9wavefront6targetE0EEEvSF_.has_recursion, 0
	.set _ZN7rocprim17ROCPRIM_400000_NS6detail17trampoline_kernelINS0_14default_configENS1_38merge_sort_block_merge_config_selectorIlNS0_10empty_typeEEEZZNS1_27merge_sort_block_merge_implIS3_PlPS5_jNS1_19radix_merge_compareILb1ELb1ElNS0_19identity_decomposerEEEEE10hipError_tT0_T1_T2_jT3_P12ihipStream_tbPNSt15iterator_traitsISE_E10value_typeEPNSK_ISF_E10value_typeEPSG_NS1_7vsmem_tEENKUlT_SE_SF_SG_E_clIS8_S8_S9_S9_EESD_ST_SE_SF_SG_EUlST_E1_NS1_11comp_targetILNS1_3genE8ELNS1_11target_archE1030ELNS1_3gpuE2ELNS1_3repE0EEENS1_36merge_oddeven_config_static_selectorELNS0_4arch9wavefront6targetE0EEEvSF_.has_indirect_call, 0
	.section	.AMDGPU.csdata,"",@progbits
; Kernel info:
; codeLenInByte = 0
; TotalNumSgprs: 0
; NumVgprs: 0
; ScratchSize: 0
; MemoryBound: 0
; FloatMode: 240
; IeeeMode: 1
; LDSByteSize: 0 bytes/workgroup (compile time only)
; SGPRBlocks: 0
; VGPRBlocks: 0
; NumSGPRsForWavesPerEU: 1
; NumVGPRsForWavesPerEU: 1
; NamedBarCnt: 0
; Occupancy: 16
; WaveLimiterHint : 0
; COMPUTE_PGM_RSRC2:SCRATCH_EN: 0
; COMPUTE_PGM_RSRC2:USER_SGPR: 2
; COMPUTE_PGM_RSRC2:TRAP_HANDLER: 0
; COMPUTE_PGM_RSRC2:TGID_X_EN: 1
; COMPUTE_PGM_RSRC2:TGID_Y_EN: 0
; COMPUTE_PGM_RSRC2:TGID_Z_EN: 0
; COMPUTE_PGM_RSRC2:TIDIG_COMP_CNT: 0
	.section	.text._ZN7rocprim17ROCPRIM_400000_NS6detail17trampoline_kernelINS0_14default_configENS1_35radix_sort_onesweep_config_selectorIlNS0_10empty_typeEEEZNS1_34radix_sort_onesweep_global_offsetsIS3_Lb1EPKlPS5_mNS0_19identity_decomposerEEE10hipError_tT1_T2_PT3_SF_jT4_jjP12ihipStream_tbEUlT_E_NS1_11comp_targetILNS1_3genE0ELNS1_11target_archE4294967295ELNS1_3gpuE0ELNS1_3repE0EEENS1_52radix_sort_onesweep_histogram_config_static_selectorELNS0_4arch9wavefront6targetE0EEEvSD_,"axG",@progbits,_ZN7rocprim17ROCPRIM_400000_NS6detail17trampoline_kernelINS0_14default_configENS1_35radix_sort_onesweep_config_selectorIlNS0_10empty_typeEEEZNS1_34radix_sort_onesweep_global_offsetsIS3_Lb1EPKlPS5_mNS0_19identity_decomposerEEE10hipError_tT1_T2_PT3_SF_jT4_jjP12ihipStream_tbEUlT_E_NS1_11comp_targetILNS1_3genE0ELNS1_11target_archE4294967295ELNS1_3gpuE0ELNS1_3repE0EEENS1_52radix_sort_onesweep_histogram_config_static_selectorELNS0_4arch9wavefront6targetE0EEEvSD_,comdat
	.protected	_ZN7rocprim17ROCPRIM_400000_NS6detail17trampoline_kernelINS0_14default_configENS1_35radix_sort_onesweep_config_selectorIlNS0_10empty_typeEEEZNS1_34radix_sort_onesweep_global_offsetsIS3_Lb1EPKlPS5_mNS0_19identity_decomposerEEE10hipError_tT1_T2_PT3_SF_jT4_jjP12ihipStream_tbEUlT_E_NS1_11comp_targetILNS1_3genE0ELNS1_11target_archE4294967295ELNS1_3gpuE0ELNS1_3repE0EEENS1_52radix_sort_onesweep_histogram_config_static_selectorELNS0_4arch9wavefront6targetE0EEEvSD_ ; -- Begin function _ZN7rocprim17ROCPRIM_400000_NS6detail17trampoline_kernelINS0_14default_configENS1_35radix_sort_onesweep_config_selectorIlNS0_10empty_typeEEEZNS1_34radix_sort_onesweep_global_offsetsIS3_Lb1EPKlPS5_mNS0_19identity_decomposerEEE10hipError_tT1_T2_PT3_SF_jT4_jjP12ihipStream_tbEUlT_E_NS1_11comp_targetILNS1_3genE0ELNS1_11target_archE4294967295ELNS1_3gpuE0ELNS1_3repE0EEENS1_52radix_sort_onesweep_histogram_config_static_selectorELNS0_4arch9wavefront6targetE0EEEvSD_
	.globl	_ZN7rocprim17ROCPRIM_400000_NS6detail17trampoline_kernelINS0_14default_configENS1_35radix_sort_onesweep_config_selectorIlNS0_10empty_typeEEEZNS1_34radix_sort_onesweep_global_offsetsIS3_Lb1EPKlPS5_mNS0_19identity_decomposerEEE10hipError_tT1_T2_PT3_SF_jT4_jjP12ihipStream_tbEUlT_E_NS1_11comp_targetILNS1_3genE0ELNS1_11target_archE4294967295ELNS1_3gpuE0ELNS1_3repE0EEENS1_52radix_sort_onesweep_histogram_config_static_selectorELNS0_4arch9wavefront6targetE0EEEvSD_
	.p2align	8
	.type	_ZN7rocprim17ROCPRIM_400000_NS6detail17trampoline_kernelINS0_14default_configENS1_35radix_sort_onesweep_config_selectorIlNS0_10empty_typeEEEZNS1_34radix_sort_onesweep_global_offsetsIS3_Lb1EPKlPS5_mNS0_19identity_decomposerEEE10hipError_tT1_T2_PT3_SF_jT4_jjP12ihipStream_tbEUlT_E_NS1_11comp_targetILNS1_3genE0ELNS1_11target_archE4294967295ELNS1_3gpuE0ELNS1_3repE0EEENS1_52radix_sort_onesweep_histogram_config_static_selectorELNS0_4arch9wavefront6targetE0EEEvSD_,@function
_ZN7rocprim17ROCPRIM_400000_NS6detail17trampoline_kernelINS0_14default_configENS1_35radix_sort_onesweep_config_selectorIlNS0_10empty_typeEEEZNS1_34radix_sort_onesweep_global_offsetsIS3_Lb1EPKlPS5_mNS0_19identity_decomposerEEE10hipError_tT1_T2_PT3_SF_jT4_jjP12ihipStream_tbEUlT_E_NS1_11comp_targetILNS1_3genE0ELNS1_11target_archE4294967295ELNS1_3gpuE0ELNS1_3repE0EEENS1_52radix_sort_onesweep_histogram_config_static_selectorELNS0_4arch9wavefront6targetE0EEEvSD_: ; @_ZN7rocprim17ROCPRIM_400000_NS6detail17trampoline_kernelINS0_14default_configENS1_35radix_sort_onesweep_config_selectorIlNS0_10empty_typeEEEZNS1_34radix_sort_onesweep_global_offsetsIS3_Lb1EPKlPS5_mNS0_19identity_decomposerEEE10hipError_tT1_T2_PT3_SF_jT4_jjP12ihipStream_tbEUlT_E_NS1_11comp_targetILNS1_3genE0ELNS1_11target_archE4294967295ELNS1_3gpuE0ELNS1_3repE0EEENS1_52radix_sort_onesweep_histogram_config_static_selectorELNS0_4arch9wavefront6targetE0EEEvSD_
; %bb.0:
	s_clause 0x1
	s_load_b64 s[8:9], s[0:1], 0x18
	s_load_b128 s[4:7], s[0:1], 0x0
	s_bfe_u32 s10, ttmp6, 0x4000c
	s_load_b64 s[2:3], s[0:1], 0x24
	s_add_co_i32 s10, s10, 1
	s_and_b32 s11, ttmp6, 15
	s_mul_i32 s10, ttmp9, s10
	s_getreg_b32 s12, hwreg(HW_REG_IB_STS2, 6, 4)
	s_add_co_i32 s10, s11, s10
	s_cmp_eq_u32 s12, 0
	s_mov_b32 s11, 0
	s_cselect_b32 s10, ttmp9, s10
	s_wait_kmcnt 0x0
	v_cmp_le_u64_e64 s9, s[8:9], s[10:11]
	s_lshl_b64 s[10:11], s[10:11], 15
	s_delay_alu instid0(SALU_CYCLE_1)
	s_add_nc_u64 s[4:5], s[4:5], s[10:11]
	s_and_b32 vcc_lo, exec_lo, s9
	s_mov_b32 s9, -1
	s_cbranch_vccz .LBB1070_321
; %bb.1:
	s_load_b32 s0, s[0:1], 0x10
	s_wait_xcnt 0x0
	s_lshl_b32 s1, s8, 12
                                        ; implicit-def: $vgpr16_vgpr17
	s_wait_kmcnt 0x0
	s_sub_co_i32 s1, s0, s1
	s_mov_b32 s0, exec_lo
	v_cmpx_gt_u32_e64 s1, v0
	s_cbranch_execz .LBB1070_3
; %bb.2:
	global_load_b64 v[2:3], v0, s[4:5] scale_offset
	s_wait_loadcnt 0x0
	v_xor_b32_e32 v17, 0x7fffffff, v3
	v_not_b32_e32 v16, v2
.LBB1070_3:
	s_or_b32 exec_lo, exec_lo, s0
	v_or_b32_e32 v24, 0x200, v0
	s_mov_b32 s0, exec_lo
                                        ; implicit-def: $vgpr14_vgpr15
	s_delay_alu instid0(VALU_DEP_1)
	v_cmpx_gt_u32_e64 s1, v24
	s_cbranch_execz .LBB1070_5
; %bb.4:
	global_load_b64 v[2:3], v0, s[4:5] offset:4096 scale_offset
	s_wait_loadcnt 0x0
	v_xor_b32_e32 v15, 0x7fffffff, v3
	v_not_b32_e32 v14, v2
.LBB1070_5:
	s_or_b32 exec_lo, exec_lo, s0
	v_or_b32_e32 v23, 0x400, v0
	s_mov_b32 s0, exec_lo
                                        ; implicit-def: $vgpr12_vgpr13
	s_delay_alu instid0(VALU_DEP_1)
	v_cmpx_gt_u32_e64 s1, v23
	s_cbranch_execz .LBB1070_7
; %bb.6:
	global_load_b64 v[2:3], v0, s[4:5] offset:8192 scale_offset
	s_wait_loadcnt 0x0
	v_xor_b32_e32 v13, 0x7fffffff, v3
	v_not_b32_e32 v12, v2
.LBB1070_7:
	s_or_b32 exec_lo, exec_lo, s0
	v_or_b32_e32 v22, 0x600, v0
	s_mov_b32 s0, exec_lo
                                        ; implicit-def: $vgpr10_vgpr11
	s_delay_alu instid0(VALU_DEP_1)
	v_cmpx_gt_u32_e64 s1, v22
	s_cbranch_execz .LBB1070_9
; %bb.8:
	global_load_b64 v[2:3], v0, s[4:5] offset:12288 scale_offset
	s_wait_loadcnt 0x0
	v_xor_b32_e32 v11, 0x7fffffff, v3
	v_not_b32_e32 v10, v2
.LBB1070_9:
	s_or_b32 exec_lo, exec_lo, s0
	v_or_b32_e32 v21, 0x800, v0
	s_mov_b32 s0, exec_lo
                                        ; implicit-def: $vgpr8_vgpr9
	s_delay_alu instid0(VALU_DEP_1)
	v_cmpx_gt_u32_e64 s1, v21
	s_cbranch_execz .LBB1070_11
; %bb.10:
	global_load_b64 v[2:3], v0, s[4:5] offset:16384 scale_offset
	s_wait_loadcnt 0x0
	v_xor_b32_e32 v9, 0x7fffffff, v3
	v_not_b32_e32 v8, v2
.LBB1070_11:
	s_or_b32 exec_lo, exec_lo, s0
	v_or_b32_e32 v20, 0xa00, v0
	s_mov_b32 s0, exec_lo
                                        ; implicit-def: $vgpr6_vgpr7
	s_delay_alu instid0(VALU_DEP_1)
	v_cmpx_gt_u32_e64 s1, v20
	s_cbranch_execz .LBB1070_13
; %bb.12:
	global_load_b64 v[2:3], v0, s[4:5] offset:20480 scale_offset
	s_wait_loadcnt 0x0
	v_xor_b32_e32 v7, 0x7fffffff, v3
	v_not_b32_e32 v6, v2
.LBB1070_13:
	s_or_b32 exec_lo, exec_lo, s0
	v_or_b32_e32 v19, 0xc00, v0
	s_mov_b32 s0, exec_lo
                                        ; implicit-def: $vgpr4_vgpr5
	s_delay_alu instid0(VALU_DEP_1)
	v_cmpx_gt_u32_e64 s1, v19
	s_cbranch_execz .LBB1070_15
; %bb.14:
	global_load_b64 v[2:3], v0, s[4:5] offset:24576 scale_offset
	s_wait_loadcnt 0x0
	v_xor_b32_e32 v5, 0x7fffffff, v3
	v_not_b32_e32 v4, v2
.LBB1070_15:
	s_or_b32 exec_lo, exec_lo, s0
	v_or_b32_e32 v18, 0xe00, v0
	s_mov_b32 s0, exec_lo
                                        ; implicit-def: $vgpr2_vgpr3
	s_delay_alu instid0(VALU_DEP_1)
	v_cmpx_gt_u32_e64 s1, v18
	s_cbranch_execz .LBB1070_17
; %bb.16:
	global_load_b64 v[2:3], v0, s[4:5] offset:28672 scale_offset
	s_wait_loadcnt 0x0
	v_xor_b32_e32 v3, 0x7fffffff, v3
	v_not_b32_e32 v2, v2
.LBB1070_17:
	s_or_b32 exec_lo, exec_lo, s0
	v_or_b32_e32 v1, 0xfffffe00, v0
	v_dual_mov_b32 v26, 0 :: v_dual_lshlrev_b32 v25, 2, v0
	s_mov_b32 s0, 0
.LBB1070_18:                            ; =>This Inner Loop Header: Depth=1
	s_delay_alu instid0(VALU_DEP_2) | instskip(SKIP_4) | instid1(SALU_CYCLE_1)
	v_add_nc_u32_e32 v1, 0x200, v1
	ds_store_b32 v25, v26
	v_add_nc_u32_e32 v25, 0x800, v25
	v_cmp_lt_u32_e32 vcc_lo, 0x1dff, v1
	s_or_b32 s0, vcc_lo, s0
	s_and_not1_b32 exec_lo, exec_lo, s0
	s_cbranch_execnz .LBB1070_18
; %bb.19:
	s_or_b32 exec_lo, exec_lo, s0
	s_cmp_le_u32 s3, s2
	v_cmp_le_u32_e32 vcc_lo, s1, v0
	s_cselect_b32 s8, -1, 0
	s_wait_dscnt 0x0
	s_and_b32 s0, s8, exec_lo
	s_cselect_b32 s9, 8, 10
	s_delay_alu instid0(SALU_CYCLE_1)
	v_dual_mov_b32 v25, s9 :: v_dual_bitop2_b32 v1, 3, v0 bitop3:0x40
	s_nor_b32 s10, s8, vcc_lo
	s_barrier_signal -1
	s_barrier_wait -1
	s_and_saveexec_b32 s0, s10
	s_cbranch_execz .LBB1070_21
; %bb.20:
	v_lshrrev_b64 v[26:27], s2, v[16:17]
	s_sub_co_i32 s10, s3, s2
	v_lshlrev_b32_e32 v25, 2, v1
	s_min_u32 s10, s10, 8
	s_delay_alu instid0(VALU_DEP_2) | instid1(SALU_CYCLE_1)
	v_bfe_u32 v26, v26, 0, s10
	s_delay_alu instid0(VALU_DEP_1)
	v_lshl_or_b32 v25, v26, 4, v25
	v_mov_b32_e32 v26, 1
	ds_add_u32 v25, v26
	v_mov_b32_e32 v25, 0
.LBB1070_21:
	s_or_b32 exec_lo, exec_lo, s0
	s_mov_b32 s11, -1
	s_mov_b32 s10, exec_lo
	s_delay_alu instid0(VALU_DEP_1)
	v_cmpx_gt_i32_e32 10, v25
; %bb.22:
	v_cmp_eq_u32_e64 s0, 0, v25
	s_or_not1_b32 s11, s0, exec_lo
; %bb.23:
	s_or_b32 exec_lo, exec_lo, s10
	s_and_saveexec_b32 s10, s11
	s_cbranch_execz .LBB1070_56
; %bb.24:
	s_add_co_i32 s11, s2, 8
	s_delay_alu instid0(SALU_CYCLE_1) | instskip(SKIP_1) | instid1(SALU_CYCLE_1)
	s_cmp_le_u32 s3, s11
	s_cselect_b32 s0, -1, 0
	s_and_b32 s12, s0, exec_lo
	s_cselect_b32 s12, 8, 10
	s_delay_alu instid0(SALU_CYCLE_1) | instskip(SKIP_1) | instid1(SALU_CYCLE_1)
	v_mov_b32_e32 v25, s12
	s_nor_b32 s12, s0, vcc_lo
	s_and_saveexec_b32 s0, s12
	s_cbranch_execz .LBB1070_26
; %bb.25:
	v_lshrrev_b64 v[26:27], s11, v[16:17]
	s_sub_co_i32 s11, s3, s11
	v_lshlrev_b32_e32 v25, 2, v1
	s_min_u32 s11, s11, 8
	s_delay_alu instid0(VALU_DEP_2) | instid1(SALU_CYCLE_1)
	v_bfe_u32 v26, v26, 0, s11
	s_delay_alu instid0(VALU_DEP_1)
	v_lshl_or_b32 v25, v26, 4, v25
	v_mov_b32_e32 v26, 1
	ds_add_u32 v25, v26 offset:4096
	v_mov_b32_e32 v25, 0
.LBB1070_26:
	s_or_b32 exec_lo, exec_lo, s0
	s_mov_b32 s11, -1
	s_mov_b32 s12, exec_lo
	s_delay_alu instid0(VALU_DEP_1)
	v_cmpx_gt_i32_e32 10, v25
; %bb.27:
	v_cmp_eq_u32_e64 s0, 0, v25
	s_or_not1_b32 s11, s0, exec_lo
; %bb.28:
	s_or_b32 exec_lo, exec_lo, s12
	s_delay_alu instid0(SALU_CYCLE_1)
	s_and_b32 exec_lo, exec_lo, s11
	s_cbranch_execz .LBB1070_56
; %bb.29:
	s_add_co_i32 s11, s2, 16
	s_delay_alu instid0(SALU_CYCLE_1) | instskip(SKIP_1) | instid1(SALU_CYCLE_1)
	s_cmp_le_u32 s3, s11
	s_cselect_b32 s0, -1, 0
	s_and_b32 s12, s0, exec_lo
	s_cselect_b32 s12, 8, 10
	s_delay_alu instid0(SALU_CYCLE_1) | instskip(SKIP_1) | instid1(SALU_CYCLE_1)
	v_mov_b32_e32 v25, s12
	s_nor_b32 s12, s0, vcc_lo
	s_and_saveexec_b32 s0, s12
	s_cbranch_execz .LBB1070_31
; %bb.30:
	v_lshrrev_b64 v[26:27], s11, v[16:17]
	s_sub_co_i32 s11, s3, s11
	v_lshlrev_b32_e32 v25, 2, v1
	s_min_u32 s11, s11, 8
	s_delay_alu instid0(VALU_DEP_2) | instid1(SALU_CYCLE_1)
	v_bfe_u32 v26, v26, 0, s11
	s_delay_alu instid0(VALU_DEP_1)
	v_lshl_or_b32 v25, v26, 4, v25
	v_mov_b32_e32 v26, 1
	ds_add_u32 v25, v26 offset:8192
	v_mov_b32_e32 v25, 0
.LBB1070_31:
	s_or_b32 exec_lo, exec_lo, s0
	s_mov_b32 s11, -1
	s_mov_b32 s12, exec_lo
	s_delay_alu instid0(VALU_DEP_1)
	v_cmpx_gt_i32_e32 10, v25
; %bb.32:
	v_cmp_eq_u32_e64 s0, 0, v25
	s_or_not1_b32 s11, s0, exec_lo
; %bb.33:
	s_or_b32 exec_lo, exec_lo, s12
	s_delay_alu instid0(SALU_CYCLE_1)
	s_and_b32 exec_lo, exec_lo, s11
	;; [unrolled: 38-line block ×6, first 2 shown]
	s_cbranch_execz .LBB1070_56
; %bb.54:
	s_add_co_i32 s0, s2, 56
	s_delay_alu instid0(SALU_CYCLE_1) | instskip(SKIP_2) | instid1(SALU_CYCLE_1)
	s_cmp_gt_u32 s3, s0
	s_cselect_b32 s11, -1, 0
	s_xor_b32 s12, vcc_lo, -1
	s_and_b32 s11, s11, s12
	s_delay_alu instid0(SALU_CYCLE_1)
	s_and_b32 exec_lo, exec_lo, s11
	s_cbranch_execz .LBB1070_56
; %bb.55:
	v_lshrrev_b64 v[16:17], s0, v[16:17]
	s_sub_co_i32 s0, s3, s0
	v_lshlrev_b32_e32 v17, 2, v1
	s_min_u32 s0, s0, 8
	s_delay_alu instid0(VALU_DEP_2) | instid1(SALU_CYCLE_1)
	v_bfe_u32 v16, v16, 0, s0
	s_delay_alu instid0(VALU_DEP_1)
	v_lshl_or_b32 v16, v16, 4, v17
	v_mov_b32_e32 v17, 1
	ds_add_u32 v16, v17 offset:28672
.LBB1070_56:
	s_or_b32 exec_lo, exec_lo, s10
	v_cmp_le_u32_e32 vcc_lo, s1, v24
	v_mov_b32_e32 v16, s9
	s_nor_b32 s10, s8, vcc_lo
	s_delay_alu instid0(SALU_CYCLE_1)
	s_and_saveexec_b32 s0, s10
	s_cbranch_execz .LBB1070_58
; %bb.57:
	v_lshrrev_b64 v[16:17], s2, v[14:15]
	s_sub_co_i32 s10, s3, s2
	v_lshlrev_b32_e32 v17, 2, v1
	s_min_u32 s10, s10, 8
	s_delay_alu instid0(VALU_DEP_2) | instid1(SALU_CYCLE_1)
	v_bfe_u32 v16, v16, 0, s10
	s_delay_alu instid0(VALU_DEP_1)
	v_lshl_or_b32 v16, v16, 4, v17
	v_mov_b32_e32 v17, 1
	ds_add_u32 v16, v17
	v_mov_b32_e32 v16, 0
.LBB1070_58:
	s_or_b32 exec_lo, exec_lo, s0
	s_mov_b32 s11, -1
	s_mov_b32 s10, exec_lo
	s_delay_alu instid0(VALU_DEP_1)
	v_cmpx_gt_i32_e32 10, v16
; %bb.59:
	v_cmp_eq_u32_e64 s0, 0, v16
	s_or_not1_b32 s11, s0, exec_lo
; %bb.60:
	s_or_b32 exec_lo, exec_lo, s10
	s_and_saveexec_b32 s10, s11
	s_cbranch_execz .LBB1070_93
; %bb.61:
	s_add_co_i32 s11, s2, 8
	s_delay_alu instid0(SALU_CYCLE_1) | instskip(SKIP_1) | instid1(SALU_CYCLE_1)
	s_cmp_le_u32 s3, s11
	s_cselect_b32 s0, -1, 0
	s_and_b32 s12, s0, exec_lo
	s_cselect_b32 s12, 8, 10
	s_delay_alu instid0(SALU_CYCLE_1) | instskip(SKIP_1) | instid1(SALU_CYCLE_1)
	v_mov_b32_e32 v16, s12
	s_nor_b32 s12, s0, vcc_lo
	s_and_saveexec_b32 s0, s12
	s_cbranch_execz .LBB1070_63
; %bb.62:
	v_lshrrev_b64 v[16:17], s11, v[14:15]
	s_sub_co_i32 s11, s3, s11
	v_lshlrev_b32_e32 v17, 2, v1
	s_min_u32 s11, s11, 8
	s_delay_alu instid0(VALU_DEP_2) | instid1(SALU_CYCLE_1)
	v_bfe_u32 v16, v16, 0, s11
	s_delay_alu instid0(VALU_DEP_1)
	v_lshl_or_b32 v16, v16, 4, v17
	v_mov_b32_e32 v17, 1
	ds_add_u32 v16, v17 offset:4096
	v_mov_b32_e32 v16, 0
.LBB1070_63:
	s_or_b32 exec_lo, exec_lo, s0
	s_mov_b32 s11, -1
	s_mov_b32 s12, exec_lo
	s_delay_alu instid0(VALU_DEP_1)
	v_cmpx_gt_i32_e32 10, v16
; %bb.64:
	v_cmp_eq_u32_e64 s0, 0, v16
	s_or_not1_b32 s11, s0, exec_lo
; %bb.65:
	s_or_b32 exec_lo, exec_lo, s12
	s_delay_alu instid0(SALU_CYCLE_1)
	s_and_b32 exec_lo, exec_lo, s11
	s_cbranch_execz .LBB1070_93
; %bb.66:
	s_add_co_i32 s11, s2, 16
	s_delay_alu instid0(SALU_CYCLE_1) | instskip(SKIP_1) | instid1(SALU_CYCLE_1)
	s_cmp_le_u32 s3, s11
	s_cselect_b32 s0, -1, 0
	s_and_b32 s12, s0, exec_lo
	s_cselect_b32 s12, 8, 10
	s_delay_alu instid0(SALU_CYCLE_1) | instskip(SKIP_1) | instid1(SALU_CYCLE_1)
	v_mov_b32_e32 v16, s12
	s_nor_b32 s12, s0, vcc_lo
	s_and_saveexec_b32 s0, s12
	s_cbranch_execz .LBB1070_68
; %bb.67:
	v_lshrrev_b64 v[16:17], s11, v[14:15]
	s_sub_co_i32 s11, s3, s11
	v_lshlrev_b32_e32 v17, 2, v1
	s_min_u32 s11, s11, 8
	s_delay_alu instid0(VALU_DEP_2) | instid1(SALU_CYCLE_1)
	v_bfe_u32 v16, v16, 0, s11
	s_delay_alu instid0(VALU_DEP_1)
	v_lshl_or_b32 v16, v16, 4, v17
	v_mov_b32_e32 v17, 1
	ds_add_u32 v16, v17 offset:8192
	v_mov_b32_e32 v16, 0
.LBB1070_68:
	s_or_b32 exec_lo, exec_lo, s0
	s_mov_b32 s11, -1
	s_mov_b32 s12, exec_lo
	s_delay_alu instid0(VALU_DEP_1)
	v_cmpx_gt_i32_e32 10, v16
; %bb.69:
	v_cmp_eq_u32_e64 s0, 0, v16
	s_or_not1_b32 s11, s0, exec_lo
; %bb.70:
	s_or_b32 exec_lo, exec_lo, s12
	s_delay_alu instid0(SALU_CYCLE_1)
	s_and_b32 exec_lo, exec_lo, s11
	;; [unrolled: 38-line block ×6, first 2 shown]
	s_cbranch_execz .LBB1070_93
; %bb.91:
	s_add_co_i32 s0, s2, 56
	s_delay_alu instid0(SALU_CYCLE_1) | instskip(SKIP_2) | instid1(SALU_CYCLE_1)
	s_cmp_gt_u32 s3, s0
	s_cselect_b32 s11, -1, 0
	s_xor_b32 s12, vcc_lo, -1
	s_and_b32 s11, s11, s12
	s_delay_alu instid0(SALU_CYCLE_1)
	s_and_b32 exec_lo, exec_lo, s11
	s_cbranch_execz .LBB1070_93
; %bb.92:
	v_lshrrev_b64 v[14:15], s0, v[14:15]
	s_sub_co_i32 s0, s3, s0
	v_lshlrev_b32_e32 v15, 2, v1
	s_min_u32 s0, s0, 8
	s_delay_alu instid0(VALU_DEP_2) | instid1(SALU_CYCLE_1)
	v_bfe_u32 v14, v14, 0, s0
	s_delay_alu instid0(VALU_DEP_1)
	v_lshl_or_b32 v14, v14, 4, v15
	v_mov_b32_e32 v15, 1
	ds_add_u32 v14, v15 offset:28672
.LBB1070_93:
	s_or_b32 exec_lo, exec_lo, s10
	v_cmp_le_u32_e32 vcc_lo, s1, v23
	v_mov_b32_e32 v14, s9
	s_nor_b32 s10, s8, vcc_lo
	s_delay_alu instid0(SALU_CYCLE_1)
	s_and_saveexec_b32 s0, s10
	s_cbranch_execz .LBB1070_95
; %bb.94:
	v_lshrrev_b64 v[14:15], s2, v[12:13]
	s_sub_co_i32 s10, s3, s2
	v_lshlrev_b32_e32 v15, 2, v1
	s_min_u32 s10, s10, 8
	s_delay_alu instid0(VALU_DEP_2) | instid1(SALU_CYCLE_1)
	v_bfe_u32 v14, v14, 0, s10
	s_delay_alu instid0(VALU_DEP_1)
	v_lshl_or_b32 v14, v14, 4, v15
	v_mov_b32_e32 v15, 1
	ds_add_u32 v14, v15
	v_mov_b32_e32 v14, 0
.LBB1070_95:
	s_or_b32 exec_lo, exec_lo, s0
	s_mov_b32 s11, -1
	s_mov_b32 s10, exec_lo
	s_delay_alu instid0(VALU_DEP_1)
	v_cmpx_gt_i32_e32 10, v14
; %bb.96:
	v_cmp_eq_u32_e64 s0, 0, v14
	s_or_not1_b32 s11, s0, exec_lo
; %bb.97:
	s_or_b32 exec_lo, exec_lo, s10
	s_and_saveexec_b32 s10, s11
	s_cbranch_execz .LBB1070_130
; %bb.98:
	s_add_co_i32 s11, s2, 8
	s_delay_alu instid0(SALU_CYCLE_1) | instskip(SKIP_1) | instid1(SALU_CYCLE_1)
	s_cmp_le_u32 s3, s11
	s_cselect_b32 s0, -1, 0
	s_and_b32 s12, s0, exec_lo
	s_cselect_b32 s12, 8, 10
	s_delay_alu instid0(SALU_CYCLE_1) | instskip(SKIP_1) | instid1(SALU_CYCLE_1)
	v_mov_b32_e32 v14, s12
	s_nor_b32 s12, s0, vcc_lo
	s_and_saveexec_b32 s0, s12
	s_cbranch_execz .LBB1070_100
; %bb.99:
	v_lshrrev_b64 v[14:15], s11, v[12:13]
	s_sub_co_i32 s11, s3, s11
	v_lshlrev_b32_e32 v15, 2, v1
	s_min_u32 s11, s11, 8
	s_delay_alu instid0(VALU_DEP_2) | instid1(SALU_CYCLE_1)
	v_bfe_u32 v14, v14, 0, s11
	s_delay_alu instid0(VALU_DEP_1)
	v_lshl_or_b32 v14, v14, 4, v15
	v_mov_b32_e32 v15, 1
	ds_add_u32 v14, v15 offset:4096
	v_mov_b32_e32 v14, 0
.LBB1070_100:
	s_or_b32 exec_lo, exec_lo, s0
	s_mov_b32 s11, -1
	s_mov_b32 s12, exec_lo
	s_delay_alu instid0(VALU_DEP_1)
	v_cmpx_gt_i32_e32 10, v14
; %bb.101:
	v_cmp_eq_u32_e64 s0, 0, v14
	s_or_not1_b32 s11, s0, exec_lo
; %bb.102:
	s_or_b32 exec_lo, exec_lo, s12
	s_delay_alu instid0(SALU_CYCLE_1)
	s_and_b32 exec_lo, exec_lo, s11
	s_cbranch_execz .LBB1070_130
; %bb.103:
	s_add_co_i32 s11, s2, 16
	s_delay_alu instid0(SALU_CYCLE_1) | instskip(SKIP_1) | instid1(SALU_CYCLE_1)
	s_cmp_le_u32 s3, s11
	s_cselect_b32 s0, -1, 0
	s_and_b32 s12, s0, exec_lo
	s_cselect_b32 s12, 8, 10
	s_delay_alu instid0(SALU_CYCLE_1) | instskip(SKIP_1) | instid1(SALU_CYCLE_1)
	v_mov_b32_e32 v14, s12
	s_nor_b32 s12, s0, vcc_lo
	s_and_saveexec_b32 s0, s12
	s_cbranch_execz .LBB1070_105
; %bb.104:
	v_lshrrev_b64 v[14:15], s11, v[12:13]
	s_sub_co_i32 s11, s3, s11
	v_lshlrev_b32_e32 v15, 2, v1
	s_min_u32 s11, s11, 8
	s_delay_alu instid0(VALU_DEP_2) | instid1(SALU_CYCLE_1)
	v_bfe_u32 v14, v14, 0, s11
	s_delay_alu instid0(VALU_DEP_1)
	v_lshl_or_b32 v14, v14, 4, v15
	v_mov_b32_e32 v15, 1
	ds_add_u32 v14, v15 offset:8192
	v_mov_b32_e32 v14, 0
.LBB1070_105:
	s_or_b32 exec_lo, exec_lo, s0
	s_mov_b32 s11, -1
	s_mov_b32 s12, exec_lo
	s_delay_alu instid0(VALU_DEP_1)
	v_cmpx_gt_i32_e32 10, v14
; %bb.106:
	v_cmp_eq_u32_e64 s0, 0, v14
	s_or_not1_b32 s11, s0, exec_lo
; %bb.107:
	s_or_b32 exec_lo, exec_lo, s12
	s_delay_alu instid0(SALU_CYCLE_1)
	s_and_b32 exec_lo, exec_lo, s11
	;; [unrolled: 38-line block ×6, first 2 shown]
	s_cbranch_execz .LBB1070_130
; %bb.128:
	s_add_co_i32 s0, s2, 56
	s_delay_alu instid0(SALU_CYCLE_1) | instskip(SKIP_2) | instid1(SALU_CYCLE_1)
	s_cmp_gt_u32 s3, s0
	s_cselect_b32 s11, -1, 0
	s_xor_b32 s12, vcc_lo, -1
	s_and_b32 s11, s11, s12
	s_delay_alu instid0(SALU_CYCLE_1)
	s_and_b32 exec_lo, exec_lo, s11
	s_cbranch_execz .LBB1070_130
; %bb.129:
	v_lshrrev_b64 v[12:13], s0, v[12:13]
	s_sub_co_i32 s0, s3, s0
	v_lshlrev_b32_e32 v13, 2, v1
	s_min_u32 s0, s0, 8
	s_delay_alu instid0(VALU_DEP_2) | instid1(SALU_CYCLE_1)
	v_bfe_u32 v12, v12, 0, s0
	s_delay_alu instid0(VALU_DEP_1)
	v_lshl_or_b32 v12, v12, 4, v13
	v_mov_b32_e32 v13, 1
	ds_add_u32 v12, v13 offset:28672
.LBB1070_130:
	s_or_b32 exec_lo, exec_lo, s10
	v_cmp_le_u32_e32 vcc_lo, s1, v22
	v_mov_b32_e32 v12, s9
	s_nor_b32 s10, s8, vcc_lo
	s_delay_alu instid0(SALU_CYCLE_1)
	s_and_saveexec_b32 s0, s10
	s_cbranch_execz .LBB1070_132
; %bb.131:
	v_lshrrev_b64 v[12:13], s2, v[10:11]
	s_sub_co_i32 s10, s3, s2
	v_lshlrev_b32_e32 v13, 2, v1
	s_min_u32 s10, s10, 8
	s_delay_alu instid0(VALU_DEP_2) | instid1(SALU_CYCLE_1)
	v_bfe_u32 v12, v12, 0, s10
	s_delay_alu instid0(VALU_DEP_1)
	v_lshl_or_b32 v12, v12, 4, v13
	v_mov_b32_e32 v13, 1
	ds_add_u32 v12, v13
	v_mov_b32_e32 v12, 0
.LBB1070_132:
	s_or_b32 exec_lo, exec_lo, s0
	s_mov_b32 s11, -1
	s_mov_b32 s10, exec_lo
	s_delay_alu instid0(VALU_DEP_1)
	v_cmpx_gt_i32_e32 10, v12
; %bb.133:
	v_cmp_eq_u32_e64 s0, 0, v12
	s_or_not1_b32 s11, s0, exec_lo
; %bb.134:
	s_or_b32 exec_lo, exec_lo, s10
	s_and_saveexec_b32 s10, s11
	s_cbranch_execz .LBB1070_167
; %bb.135:
	s_add_co_i32 s11, s2, 8
	s_delay_alu instid0(SALU_CYCLE_1) | instskip(SKIP_1) | instid1(SALU_CYCLE_1)
	s_cmp_le_u32 s3, s11
	s_cselect_b32 s0, -1, 0
	s_and_b32 s12, s0, exec_lo
	s_cselect_b32 s12, 8, 10
	s_delay_alu instid0(SALU_CYCLE_1) | instskip(SKIP_1) | instid1(SALU_CYCLE_1)
	v_mov_b32_e32 v12, s12
	s_nor_b32 s12, s0, vcc_lo
	s_and_saveexec_b32 s0, s12
	s_cbranch_execz .LBB1070_137
; %bb.136:
	v_lshrrev_b64 v[12:13], s11, v[10:11]
	s_sub_co_i32 s11, s3, s11
	v_lshlrev_b32_e32 v13, 2, v1
	s_min_u32 s11, s11, 8
	s_delay_alu instid0(VALU_DEP_2) | instid1(SALU_CYCLE_1)
	v_bfe_u32 v12, v12, 0, s11
	s_delay_alu instid0(VALU_DEP_1)
	v_lshl_or_b32 v12, v12, 4, v13
	v_mov_b32_e32 v13, 1
	ds_add_u32 v12, v13 offset:4096
	v_mov_b32_e32 v12, 0
.LBB1070_137:
	s_or_b32 exec_lo, exec_lo, s0
	s_mov_b32 s11, -1
	s_mov_b32 s12, exec_lo
	s_delay_alu instid0(VALU_DEP_1)
	v_cmpx_gt_i32_e32 10, v12
; %bb.138:
	v_cmp_eq_u32_e64 s0, 0, v12
	s_or_not1_b32 s11, s0, exec_lo
; %bb.139:
	s_or_b32 exec_lo, exec_lo, s12
	s_delay_alu instid0(SALU_CYCLE_1)
	s_and_b32 exec_lo, exec_lo, s11
	s_cbranch_execz .LBB1070_167
; %bb.140:
	s_add_co_i32 s11, s2, 16
	s_delay_alu instid0(SALU_CYCLE_1) | instskip(SKIP_1) | instid1(SALU_CYCLE_1)
	s_cmp_le_u32 s3, s11
	s_cselect_b32 s0, -1, 0
	s_and_b32 s12, s0, exec_lo
	s_cselect_b32 s12, 8, 10
	s_delay_alu instid0(SALU_CYCLE_1) | instskip(SKIP_1) | instid1(SALU_CYCLE_1)
	v_mov_b32_e32 v12, s12
	s_nor_b32 s12, s0, vcc_lo
	s_and_saveexec_b32 s0, s12
	s_cbranch_execz .LBB1070_142
; %bb.141:
	v_lshrrev_b64 v[12:13], s11, v[10:11]
	s_sub_co_i32 s11, s3, s11
	v_lshlrev_b32_e32 v13, 2, v1
	s_min_u32 s11, s11, 8
	s_delay_alu instid0(VALU_DEP_2) | instid1(SALU_CYCLE_1)
	v_bfe_u32 v12, v12, 0, s11
	s_delay_alu instid0(VALU_DEP_1)
	v_lshl_or_b32 v12, v12, 4, v13
	v_mov_b32_e32 v13, 1
	ds_add_u32 v12, v13 offset:8192
	v_mov_b32_e32 v12, 0
.LBB1070_142:
	s_or_b32 exec_lo, exec_lo, s0
	s_mov_b32 s11, -1
	s_mov_b32 s12, exec_lo
	s_delay_alu instid0(VALU_DEP_1)
	v_cmpx_gt_i32_e32 10, v12
; %bb.143:
	v_cmp_eq_u32_e64 s0, 0, v12
	s_or_not1_b32 s11, s0, exec_lo
; %bb.144:
	s_or_b32 exec_lo, exec_lo, s12
	s_delay_alu instid0(SALU_CYCLE_1)
	s_and_b32 exec_lo, exec_lo, s11
	;; [unrolled: 38-line block ×6, first 2 shown]
	s_cbranch_execz .LBB1070_167
; %bb.165:
	s_add_co_i32 s0, s2, 56
	s_delay_alu instid0(SALU_CYCLE_1) | instskip(SKIP_2) | instid1(SALU_CYCLE_1)
	s_cmp_gt_u32 s3, s0
	s_cselect_b32 s11, -1, 0
	s_xor_b32 s12, vcc_lo, -1
	s_and_b32 s11, s11, s12
	s_delay_alu instid0(SALU_CYCLE_1)
	s_and_b32 exec_lo, exec_lo, s11
	s_cbranch_execz .LBB1070_167
; %bb.166:
	v_lshrrev_b64 v[10:11], s0, v[10:11]
	s_sub_co_i32 s0, s3, s0
	v_lshlrev_b32_e32 v11, 2, v1
	s_min_u32 s0, s0, 8
	s_delay_alu instid0(VALU_DEP_2) | instid1(SALU_CYCLE_1)
	v_bfe_u32 v10, v10, 0, s0
	s_delay_alu instid0(VALU_DEP_1)
	v_lshl_or_b32 v10, v10, 4, v11
	v_mov_b32_e32 v11, 1
	ds_add_u32 v10, v11 offset:28672
.LBB1070_167:
	s_or_b32 exec_lo, exec_lo, s10
	v_cmp_le_u32_e32 vcc_lo, s1, v21
	v_mov_b32_e32 v10, s9
	s_nor_b32 s10, s8, vcc_lo
	s_delay_alu instid0(SALU_CYCLE_1)
	s_and_saveexec_b32 s0, s10
	s_cbranch_execz .LBB1070_169
; %bb.168:
	v_lshrrev_b64 v[10:11], s2, v[8:9]
	s_sub_co_i32 s10, s3, s2
	v_lshlrev_b32_e32 v11, 2, v1
	s_min_u32 s10, s10, 8
	s_delay_alu instid0(VALU_DEP_2) | instid1(SALU_CYCLE_1)
	v_bfe_u32 v10, v10, 0, s10
	s_delay_alu instid0(VALU_DEP_1)
	v_lshl_or_b32 v10, v10, 4, v11
	v_mov_b32_e32 v11, 1
	ds_add_u32 v10, v11
	v_mov_b32_e32 v10, 0
.LBB1070_169:
	s_or_b32 exec_lo, exec_lo, s0
	s_mov_b32 s11, -1
	s_mov_b32 s10, exec_lo
	s_delay_alu instid0(VALU_DEP_1)
	v_cmpx_gt_i32_e32 10, v10
; %bb.170:
	v_cmp_eq_u32_e64 s0, 0, v10
	s_or_not1_b32 s11, s0, exec_lo
; %bb.171:
	s_or_b32 exec_lo, exec_lo, s10
	s_and_saveexec_b32 s10, s11
	s_cbranch_execz .LBB1070_204
; %bb.172:
	s_add_co_i32 s11, s2, 8
	s_delay_alu instid0(SALU_CYCLE_1) | instskip(SKIP_1) | instid1(SALU_CYCLE_1)
	s_cmp_le_u32 s3, s11
	s_cselect_b32 s0, -1, 0
	s_and_b32 s12, s0, exec_lo
	s_cselect_b32 s12, 8, 10
	s_delay_alu instid0(SALU_CYCLE_1) | instskip(SKIP_1) | instid1(SALU_CYCLE_1)
	v_mov_b32_e32 v10, s12
	s_nor_b32 s12, s0, vcc_lo
	s_and_saveexec_b32 s0, s12
	s_cbranch_execz .LBB1070_174
; %bb.173:
	v_lshrrev_b64 v[10:11], s11, v[8:9]
	s_sub_co_i32 s11, s3, s11
	v_lshlrev_b32_e32 v11, 2, v1
	s_min_u32 s11, s11, 8
	s_delay_alu instid0(VALU_DEP_2) | instid1(SALU_CYCLE_1)
	v_bfe_u32 v10, v10, 0, s11
	s_delay_alu instid0(VALU_DEP_1)
	v_lshl_or_b32 v10, v10, 4, v11
	v_mov_b32_e32 v11, 1
	ds_add_u32 v10, v11 offset:4096
	v_mov_b32_e32 v10, 0
.LBB1070_174:
	s_or_b32 exec_lo, exec_lo, s0
	s_mov_b32 s11, -1
	s_mov_b32 s12, exec_lo
	s_delay_alu instid0(VALU_DEP_1)
	v_cmpx_gt_i32_e32 10, v10
; %bb.175:
	v_cmp_eq_u32_e64 s0, 0, v10
	s_or_not1_b32 s11, s0, exec_lo
; %bb.176:
	s_or_b32 exec_lo, exec_lo, s12
	s_delay_alu instid0(SALU_CYCLE_1)
	s_and_b32 exec_lo, exec_lo, s11
	s_cbranch_execz .LBB1070_204
; %bb.177:
	s_add_co_i32 s11, s2, 16
	s_delay_alu instid0(SALU_CYCLE_1) | instskip(SKIP_1) | instid1(SALU_CYCLE_1)
	s_cmp_le_u32 s3, s11
	s_cselect_b32 s0, -1, 0
	s_and_b32 s12, s0, exec_lo
	s_cselect_b32 s12, 8, 10
	s_delay_alu instid0(SALU_CYCLE_1) | instskip(SKIP_1) | instid1(SALU_CYCLE_1)
	v_mov_b32_e32 v10, s12
	s_nor_b32 s12, s0, vcc_lo
	s_and_saveexec_b32 s0, s12
	s_cbranch_execz .LBB1070_179
; %bb.178:
	v_lshrrev_b64 v[10:11], s11, v[8:9]
	s_sub_co_i32 s11, s3, s11
	v_lshlrev_b32_e32 v11, 2, v1
	s_min_u32 s11, s11, 8
	s_delay_alu instid0(VALU_DEP_2) | instid1(SALU_CYCLE_1)
	v_bfe_u32 v10, v10, 0, s11
	s_delay_alu instid0(VALU_DEP_1)
	v_lshl_or_b32 v10, v10, 4, v11
	v_mov_b32_e32 v11, 1
	ds_add_u32 v10, v11 offset:8192
	v_mov_b32_e32 v10, 0
.LBB1070_179:
	s_or_b32 exec_lo, exec_lo, s0
	s_mov_b32 s11, -1
	s_mov_b32 s12, exec_lo
	s_delay_alu instid0(VALU_DEP_1)
	v_cmpx_gt_i32_e32 10, v10
; %bb.180:
	v_cmp_eq_u32_e64 s0, 0, v10
	s_or_not1_b32 s11, s0, exec_lo
; %bb.181:
	s_or_b32 exec_lo, exec_lo, s12
	s_delay_alu instid0(SALU_CYCLE_1)
	s_and_b32 exec_lo, exec_lo, s11
	s_cbranch_execz .LBB1070_204
; %bb.182:
	s_add_co_i32 s11, s2, 24
	s_delay_alu instid0(SALU_CYCLE_1) | instskip(SKIP_1) | instid1(SALU_CYCLE_1)
	s_cmp_le_u32 s3, s11
	s_cselect_b32 s0, -1, 0
	s_and_b32 s12, s0, exec_lo
	s_cselect_b32 s12, 8, 10
	s_delay_alu instid0(SALU_CYCLE_1) | instskip(SKIP_1) | instid1(SALU_CYCLE_1)
	v_mov_b32_e32 v10, s12
	s_nor_b32 s12, s0, vcc_lo
	s_and_saveexec_b32 s0, s12
	s_cbranch_execz .LBB1070_184
; %bb.183:
	v_lshrrev_b64 v[10:11], s11, v[8:9]
	s_sub_co_i32 s11, s3, s11
	v_lshlrev_b32_e32 v11, 2, v1
	s_min_u32 s11, s11, 8
	s_delay_alu instid0(VALU_DEP_2) | instid1(SALU_CYCLE_1)
	v_bfe_u32 v10, v10, 0, s11
	s_delay_alu instid0(VALU_DEP_1)
	v_lshl_or_b32 v10, v10, 4, v11
	v_mov_b32_e32 v11, 1
	ds_add_u32 v10, v11 offset:12288
	v_mov_b32_e32 v10, 0
.LBB1070_184:
	s_or_b32 exec_lo, exec_lo, s0
	s_mov_b32 s11, -1
	s_mov_b32 s12, exec_lo
	s_delay_alu instid0(VALU_DEP_1)
	v_cmpx_gt_i32_e32 10, v10
; %bb.185:
	v_cmp_eq_u32_e64 s0, 0, v10
	s_or_not1_b32 s11, s0, exec_lo
; %bb.186:
	s_or_b32 exec_lo, exec_lo, s12
	s_delay_alu instid0(SALU_CYCLE_1)
	s_and_b32 exec_lo, exec_lo, s11
	s_cbranch_execz .LBB1070_204
; %bb.187:
	s_add_co_i32 s11, s2, 32
	s_delay_alu instid0(SALU_CYCLE_1) | instskip(SKIP_1) | instid1(SALU_CYCLE_1)
	s_cmp_le_u32 s3, s11
	s_cselect_b32 s0, -1, 0
	s_and_b32 s12, s0, exec_lo
	s_cselect_b32 s12, 8, 10
	s_delay_alu instid0(SALU_CYCLE_1) | instskip(SKIP_1) | instid1(SALU_CYCLE_1)
	v_mov_b32_e32 v10, s12
	s_nor_b32 s12, s0, vcc_lo
	s_and_saveexec_b32 s0, s12
	s_cbranch_execz .LBB1070_189
; %bb.188:
	v_lshrrev_b64 v[10:11], s11, v[8:9]
	s_sub_co_i32 s11, s3, s11
	v_lshlrev_b32_e32 v11, 2, v1
	s_min_u32 s11, s11, 8
	s_delay_alu instid0(VALU_DEP_2) | instid1(SALU_CYCLE_1)
	v_bfe_u32 v10, v10, 0, s11
	s_delay_alu instid0(VALU_DEP_1)
	v_lshl_or_b32 v10, v10, 4, v11
	v_mov_b32_e32 v11, 1
	ds_add_u32 v10, v11 offset:16384
	v_mov_b32_e32 v10, 0
.LBB1070_189:
	s_or_b32 exec_lo, exec_lo, s0
	s_mov_b32 s11, -1
	s_mov_b32 s12, exec_lo
	s_delay_alu instid0(VALU_DEP_1)
	v_cmpx_gt_i32_e32 10, v10
; %bb.190:
	v_cmp_eq_u32_e64 s0, 0, v10
	s_or_not1_b32 s11, s0, exec_lo
; %bb.191:
	s_or_b32 exec_lo, exec_lo, s12
	s_delay_alu instid0(SALU_CYCLE_1)
	s_and_b32 exec_lo, exec_lo, s11
	s_cbranch_execz .LBB1070_204
; %bb.192:
	s_add_co_i32 s11, s2, 40
	s_delay_alu instid0(SALU_CYCLE_1) | instskip(SKIP_1) | instid1(SALU_CYCLE_1)
	s_cmp_le_u32 s3, s11
	s_cselect_b32 s0, -1, 0
	s_and_b32 s12, s0, exec_lo
	s_cselect_b32 s12, 8, 10
	s_delay_alu instid0(SALU_CYCLE_1) | instskip(SKIP_1) | instid1(SALU_CYCLE_1)
	v_mov_b32_e32 v10, s12
	s_nor_b32 s12, s0, vcc_lo
	s_and_saveexec_b32 s0, s12
	s_cbranch_execz .LBB1070_194
; %bb.193:
	v_lshrrev_b64 v[10:11], s11, v[8:9]
	s_sub_co_i32 s11, s3, s11
	v_lshlrev_b32_e32 v11, 2, v1
	s_min_u32 s11, s11, 8
	s_delay_alu instid0(VALU_DEP_2) | instid1(SALU_CYCLE_1)
	v_bfe_u32 v10, v10, 0, s11
	s_delay_alu instid0(VALU_DEP_1)
	v_lshl_or_b32 v10, v10, 4, v11
	v_mov_b32_e32 v11, 1
	ds_add_u32 v10, v11 offset:20480
	v_mov_b32_e32 v10, 0
.LBB1070_194:
	s_or_b32 exec_lo, exec_lo, s0
	s_mov_b32 s11, -1
	s_mov_b32 s12, exec_lo
	s_delay_alu instid0(VALU_DEP_1)
	v_cmpx_gt_i32_e32 10, v10
; %bb.195:
	v_cmp_eq_u32_e64 s0, 0, v10
	s_or_not1_b32 s11, s0, exec_lo
; %bb.196:
	s_or_b32 exec_lo, exec_lo, s12
	s_delay_alu instid0(SALU_CYCLE_1)
	s_and_b32 exec_lo, exec_lo, s11
	s_cbranch_execz .LBB1070_204
; %bb.197:
	s_add_co_i32 s11, s2, 48
	s_delay_alu instid0(SALU_CYCLE_1) | instskip(SKIP_1) | instid1(SALU_CYCLE_1)
	s_cmp_le_u32 s3, s11
	s_cselect_b32 s0, -1, 0
	s_and_b32 s12, s0, exec_lo
	s_cselect_b32 s12, 8, 10
	s_delay_alu instid0(SALU_CYCLE_1) | instskip(SKIP_1) | instid1(SALU_CYCLE_1)
	v_mov_b32_e32 v10, s12
	s_nor_b32 s12, s0, vcc_lo
	s_and_saveexec_b32 s0, s12
	s_cbranch_execz .LBB1070_199
; %bb.198:
	v_lshrrev_b64 v[10:11], s11, v[8:9]
	s_sub_co_i32 s11, s3, s11
	v_lshlrev_b32_e32 v11, 2, v1
	s_min_u32 s11, s11, 8
	s_delay_alu instid0(VALU_DEP_2) | instid1(SALU_CYCLE_1)
	v_bfe_u32 v10, v10, 0, s11
	s_delay_alu instid0(VALU_DEP_1)
	v_lshl_or_b32 v10, v10, 4, v11
	v_mov_b32_e32 v11, 1
	ds_add_u32 v10, v11 offset:24576
	v_mov_b32_e32 v10, 0
.LBB1070_199:
	s_or_b32 exec_lo, exec_lo, s0
	s_mov_b32 s11, -1
	s_mov_b32 s12, exec_lo
	s_delay_alu instid0(VALU_DEP_1)
	v_cmpx_gt_i32_e32 10, v10
; %bb.200:
	v_cmp_eq_u32_e64 s0, 0, v10
	s_or_not1_b32 s11, s0, exec_lo
; %bb.201:
	s_or_b32 exec_lo, exec_lo, s12
	s_delay_alu instid0(SALU_CYCLE_1)
	s_and_b32 exec_lo, exec_lo, s11
	s_cbranch_execz .LBB1070_204
; %bb.202:
	s_add_co_i32 s0, s2, 56
	s_delay_alu instid0(SALU_CYCLE_1) | instskip(SKIP_2) | instid1(SALU_CYCLE_1)
	s_cmp_gt_u32 s3, s0
	s_cselect_b32 s11, -1, 0
	s_xor_b32 s12, vcc_lo, -1
	s_and_b32 s11, s11, s12
	s_delay_alu instid0(SALU_CYCLE_1)
	s_and_b32 exec_lo, exec_lo, s11
	s_cbranch_execz .LBB1070_204
; %bb.203:
	v_lshrrev_b64 v[8:9], s0, v[8:9]
	s_sub_co_i32 s0, s3, s0
	v_lshlrev_b32_e32 v9, 2, v1
	s_min_u32 s0, s0, 8
	s_delay_alu instid0(VALU_DEP_2) | instid1(SALU_CYCLE_1)
	v_bfe_u32 v8, v8, 0, s0
	s_delay_alu instid0(VALU_DEP_1)
	v_lshl_or_b32 v8, v8, 4, v9
	v_mov_b32_e32 v9, 1
	ds_add_u32 v8, v9 offset:28672
.LBB1070_204:
	s_or_b32 exec_lo, exec_lo, s10
	v_cmp_le_u32_e32 vcc_lo, s1, v20
	v_mov_b32_e32 v8, s9
	s_nor_b32 s10, s8, vcc_lo
	s_delay_alu instid0(SALU_CYCLE_1)
	s_and_saveexec_b32 s0, s10
	s_cbranch_execz .LBB1070_206
; %bb.205:
	v_lshrrev_b64 v[8:9], s2, v[6:7]
	s_sub_co_i32 s10, s3, s2
	v_lshlrev_b32_e32 v9, 2, v1
	s_min_u32 s10, s10, 8
	s_delay_alu instid0(VALU_DEP_2) | instid1(SALU_CYCLE_1)
	v_bfe_u32 v8, v8, 0, s10
	s_delay_alu instid0(VALU_DEP_1)
	v_lshl_or_b32 v8, v8, 4, v9
	v_mov_b32_e32 v9, 1
	ds_add_u32 v8, v9
	v_mov_b32_e32 v8, 0
.LBB1070_206:
	s_or_b32 exec_lo, exec_lo, s0
	s_mov_b32 s11, -1
	s_mov_b32 s10, exec_lo
	s_delay_alu instid0(VALU_DEP_1)
	v_cmpx_gt_i32_e32 10, v8
; %bb.207:
	v_cmp_eq_u32_e64 s0, 0, v8
	s_or_not1_b32 s11, s0, exec_lo
; %bb.208:
	s_or_b32 exec_lo, exec_lo, s10
	s_and_saveexec_b32 s10, s11
	s_cbranch_execz .LBB1070_241
; %bb.209:
	s_add_co_i32 s11, s2, 8
	s_delay_alu instid0(SALU_CYCLE_1) | instskip(SKIP_1) | instid1(SALU_CYCLE_1)
	s_cmp_le_u32 s3, s11
	s_cselect_b32 s0, -1, 0
	s_and_b32 s12, s0, exec_lo
	s_cselect_b32 s12, 8, 10
	s_delay_alu instid0(SALU_CYCLE_1) | instskip(SKIP_1) | instid1(SALU_CYCLE_1)
	v_mov_b32_e32 v8, s12
	s_nor_b32 s12, s0, vcc_lo
	s_and_saveexec_b32 s0, s12
	s_cbranch_execz .LBB1070_211
; %bb.210:
	v_lshrrev_b64 v[8:9], s11, v[6:7]
	s_sub_co_i32 s11, s3, s11
	v_lshlrev_b32_e32 v9, 2, v1
	s_min_u32 s11, s11, 8
	s_delay_alu instid0(VALU_DEP_2) | instid1(SALU_CYCLE_1)
	v_bfe_u32 v8, v8, 0, s11
	s_delay_alu instid0(VALU_DEP_1)
	v_lshl_or_b32 v8, v8, 4, v9
	v_mov_b32_e32 v9, 1
	ds_add_u32 v8, v9 offset:4096
	v_mov_b32_e32 v8, 0
.LBB1070_211:
	s_or_b32 exec_lo, exec_lo, s0
	s_mov_b32 s11, -1
	s_mov_b32 s12, exec_lo
	s_delay_alu instid0(VALU_DEP_1)
	v_cmpx_gt_i32_e32 10, v8
; %bb.212:
	v_cmp_eq_u32_e64 s0, 0, v8
	s_or_not1_b32 s11, s0, exec_lo
; %bb.213:
	s_or_b32 exec_lo, exec_lo, s12
	s_delay_alu instid0(SALU_CYCLE_1)
	s_and_b32 exec_lo, exec_lo, s11
	s_cbranch_execz .LBB1070_241
; %bb.214:
	s_add_co_i32 s11, s2, 16
	s_delay_alu instid0(SALU_CYCLE_1) | instskip(SKIP_1) | instid1(SALU_CYCLE_1)
	s_cmp_le_u32 s3, s11
	s_cselect_b32 s0, -1, 0
	s_and_b32 s12, s0, exec_lo
	s_cselect_b32 s12, 8, 10
	s_delay_alu instid0(SALU_CYCLE_1) | instskip(SKIP_1) | instid1(SALU_CYCLE_1)
	v_mov_b32_e32 v8, s12
	s_nor_b32 s12, s0, vcc_lo
	s_and_saveexec_b32 s0, s12
	s_cbranch_execz .LBB1070_216
; %bb.215:
	v_lshrrev_b64 v[8:9], s11, v[6:7]
	s_sub_co_i32 s11, s3, s11
	v_lshlrev_b32_e32 v9, 2, v1
	s_min_u32 s11, s11, 8
	s_delay_alu instid0(VALU_DEP_2) | instid1(SALU_CYCLE_1)
	v_bfe_u32 v8, v8, 0, s11
	s_delay_alu instid0(VALU_DEP_1)
	v_lshl_or_b32 v8, v8, 4, v9
	v_mov_b32_e32 v9, 1
	ds_add_u32 v8, v9 offset:8192
	v_mov_b32_e32 v8, 0
.LBB1070_216:
	s_or_b32 exec_lo, exec_lo, s0
	s_mov_b32 s11, -1
	s_mov_b32 s12, exec_lo
	s_delay_alu instid0(VALU_DEP_1)
	v_cmpx_gt_i32_e32 10, v8
; %bb.217:
	v_cmp_eq_u32_e64 s0, 0, v8
	s_or_not1_b32 s11, s0, exec_lo
; %bb.218:
	s_or_b32 exec_lo, exec_lo, s12
	s_delay_alu instid0(SALU_CYCLE_1)
	s_and_b32 exec_lo, exec_lo, s11
	;; [unrolled: 38-line block ×6, first 2 shown]
	s_cbranch_execz .LBB1070_241
; %bb.239:
	s_add_co_i32 s0, s2, 56
	s_delay_alu instid0(SALU_CYCLE_1) | instskip(SKIP_2) | instid1(SALU_CYCLE_1)
	s_cmp_gt_u32 s3, s0
	s_cselect_b32 s11, -1, 0
	s_xor_b32 s12, vcc_lo, -1
	s_and_b32 s11, s11, s12
	s_delay_alu instid0(SALU_CYCLE_1)
	s_and_b32 exec_lo, exec_lo, s11
	s_cbranch_execz .LBB1070_241
; %bb.240:
	v_lshrrev_b64 v[6:7], s0, v[6:7]
	s_sub_co_i32 s0, s3, s0
	v_lshlrev_b32_e32 v7, 2, v1
	s_min_u32 s0, s0, 8
	s_delay_alu instid0(VALU_DEP_2) | instid1(SALU_CYCLE_1)
	v_bfe_u32 v6, v6, 0, s0
	s_delay_alu instid0(VALU_DEP_1)
	v_lshl_or_b32 v6, v6, 4, v7
	v_mov_b32_e32 v7, 1
	ds_add_u32 v6, v7 offset:28672
.LBB1070_241:
	s_or_b32 exec_lo, exec_lo, s10
	v_cmp_le_u32_e32 vcc_lo, s1, v19
	v_mov_b32_e32 v6, s9
	s_nor_b32 s10, s8, vcc_lo
	s_delay_alu instid0(SALU_CYCLE_1)
	s_and_saveexec_b32 s0, s10
	s_cbranch_execz .LBB1070_243
; %bb.242:
	v_lshrrev_b64 v[6:7], s2, v[4:5]
	s_sub_co_i32 s10, s3, s2
	v_lshlrev_b32_e32 v7, 2, v1
	s_min_u32 s10, s10, 8
	s_delay_alu instid0(VALU_DEP_2) | instid1(SALU_CYCLE_1)
	v_bfe_u32 v6, v6, 0, s10
	s_delay_alu instid0(VALU_DEP_1)
	v_lshl_or_b32 v6, v6, 4, v7
	v_mov_b32_e32 v7, 1
	ds_add_u32 v6, v7
	v_mov_b32_e32 v6, 0
.LBB1070_243:
	s_or_b32 exec_lo, exec_lo, s0
	s_mov_b32 s11, -1
	s_mov_b32 s10, exec_lo
	s_delay_alu instid0(VALU_DEP_1)
	v_cmpx_gt_i32_e32 10, v6
; %bb.244:
	v_cmp_eq_u32_e64 s0, 0, v6
	s_or_not1_b32 s11, s0, exec_lo
; %bb.245:
	s_or_b32 exec_lo, exec_lo, s10
	s_and_saveexec_b32 s10, s11
	s_cbranch_execz .LBB1070_278
; %bb.246:
	s_add_co_i32 s11, s2, 8
	s_delay_alu instid0(SALU_CYCLE_1) | instskip(SKIP_1) | instid1(SALU_CYCLE_1)
	s_cmp_le_u32 s3, s11
	s_cselect_b32 s0, -1, 0
	s_and_b32 s12, s0, exec_lo
	s_cselect_b32 s12, 8, 10
	s_delay_alu instid0(SALU_CYCLE_1) | instskip(SKIP_1) | instid1(SALU_CYCLE_1)
	v_mov_b32_e32 v6, s12
	s_nor_b32 s12, s0, vcc_lo
	s_and_saveexec_b32 s0, s12
	s_cbranch_execz .LBB1070_248
; %bb.247:
	v_lshrrev_b64 v[6:7], s11, v[4:5]
	s_sub_co_i32 s11, s3, s11
	v_lshlrev_b32_e32 v7, 2, v1
	s_min_u32 s11, s11, 8
	s_delay_alu instid0(VALU_DEP_2) | instid1(SALU_CYCLE_1)
	v_bfe_u32 v6, v6, 0, s11
	s_delay_alu instid0(VALU_DEP_1)
	v_lshl_or_b32 v6, v6, 4, v7
	v_mov_b32_e32 v7, 1
	ds_add_u32 v6, v7 offset:4096
	v_mov_b32_e32 v6, 0
.LBB1070_248:
	s_or_b32 exec_lo, exec_lo, s0
	s_mov_b32 s11, -1
	s_mov_b32 s12, exec_lo
	s_delay_alu instid0(VALU_DEP_1)
	v_cmpx_gt_i32_e32 10, v6
; %bb.249:
	v_cmp_eq_u32_e64 s0, 0, v6
	s_or_not1_b32 s11, s0, exec_lo
; %bb.250:
	s_or_b32 exec_lo, exec_lo, s12
	s_delay_alu instid0(SALU_CYCLE_1)
	s_and_b32 exec_lo, exec_lo, s11
	s_cbranch_execz .LBB1070_278
; %bb.251:
	s_add_co_i32 s11, s2, 16
	s_delay_alu instid0(SALU_CYCLE_1) | instskip(SKIP_1) | instid1(SALU_CYCLE_1)
	s_cmp_le_u32 s3, s11
	s_cselect_b32 s0, -1, 0
	s_and_b32 s12, s0, exec_lo
	s_cselect_b32 s12, 8, 10
	s_delay_alu instid0(SALU_CYCLE_1) | instskip(SKIP_1) | instid1(SALU_CYCLE_1)
	v_mov_b32_e32 v6, s12
	s_nor_b32 s12, s0, vcc_lo
	s_and_saveexec_b32 s0, s12
	s_cbranch_execz .LBB1070_253
; %bb.252:
	v_lshrrev_b64 v[6:7], s11, v[4:5]
	s_sub_co_i32 s11, s3, s11
	v_lshlrev_b32_e32 v7, 2, v1
	s_min_u32 s11, s11, 8
	s_delay_alu instid0(VALU_DEP_2) | instid1(SALU_CYCLE_1)
	v_bfe_u32 v6, v6, 0, s11
	s_delay_alu instid0(VALU_DEP_1)
	v_lshl_or_b32 v6, v6, 4, v7
	v_mov_b32_e32 v7, 1
	ds_add_u32 v6, v7 offset:8192
	v_mov_b32_e32 v6, 0
.LBB1070_253:
	s_or_b32 exec_lo, exec_lo, s0
	s_mov_b32 s11, -1
	s_mov_b32 s12, exec_lo
	s_delay_alu instid0(VALU_DEP_1)
	v_cmpx_gt_i32_e32 10, v6
; %bb.254:
	v_cmp_eq_u32_e64 s0, 0, v6
	s_or_not1_b32 s11, s0, exec_lo
; %bb.255:
	s_or_b32 exec_lo, exec_lo, s12
	s_delay_alu instid0(SALU_CYCLE_1)
	s_and_b32 exec_lo, exec_lo, s11
	;; [unrolled: 38-line block ×6, first 2 shown]
	s_cbranch_execz .LBB1070_278
; %bb.276:
	s_add_co_i32 s0, s2, 56
	s_delay_alu instid0(SALU_CYCLE_1) | instskip(SKIP_2) | instid1(SALU_CYCLE_1)
	s_cmp_gt_u32 s3, s0
	s_cselect_b32 s11, -1, 0
	s_xor_b32 s12, vcc_lo, -1
	s_and_b32 s11, s11, s12
	s_delay_alu instid0(SALU_CYCLE_1)
	s_and_b32 exec_lo, exec_lo, s11
	s_cbranch_execz .LBB1070_278
; %bb.277:
	v_lshrrev_b64 v[4:5], s0, v[4:5]
	s_sub_co_i32 s0, s3, s0
	v_lshlrev_b32_e32 v5, 2, v1
	s_min_u32 s0, s0, 8
	s_delay_alu instid0(VALU_DEP_2) | instid1(SALU_CYCLE_1)
	v_bfe_u32 v4, v4, 0, s0
	s_delay_alu instid0(VALU_DEP_1)
	v_lshl_or_b32 v4, v4, 4, v5
	v_mov_b32_e32 v5, 1
	ds_add_u32 v4, v5 offset:28672
.LBB1070_278:
	s_or_b32 exec_lo, exec_lo, s10
	v_cmp_le_u32_e32 vcc_lo, s1, v18
	v_mov_b32_e32 v4, s9
	s_nor_b32 s1, s8, vcc_lo
	s_delay_alu instid0(SALU_CYCLE_1)
	s_and_saveexec_b32 s0, s1
	s_cbranch_execz .LBB1070_280
; %bb.279:
	v_lshrrev_b64 v[4:5], s2, v[2:3]
	s_sub_co_i32 s1, s3, s2
	v_lshlrev_b32_e32 v5, 2, v1
	s_min_u32 s1, s1, 8
	s_delay_alu instid0(VALU_DEP_2) | instid1(SALU_CYCLE_1)
	v_bfe_u32 v4, v4, 0, s1
	s_delay_alu instid0(VALU_DEP_1)
	v_lshl_or_b32 v4, v4, 4, v5
	v_mov_b32_e32 v5, 1
	ds_add_u32 v4, v5
	v_mov_b32_e32 v4, 0
.LBB1070_280:
	s_or_b32 exec_lo, exec_lo, s0
	s_mov_b32 s8, -1
	s_mov_b32 s1, exec_lo
	s_delay_alu instid0(VALU_DEP_1)
	v_cmpx_gt_i32_e32 10, v4
; %bb.281:
	v_cmp_eq_u32_e64 s0, 0, v4
	s_or_not1_b32 s8, s0, exec_lo
; %bb.282:
	s_or_b32 exec_lo, exec_lo, s1
	s_and_saveexec_b32 s1, s8
	s_cbranch_execz .LBB1070_315
; %bb.283:
	s_add_co_i32 s8, s2, 8
	s_delay_alu instid0(SALU_CYCLE_1) | instskip(SKIP_1) | instid1(SALU_CYCLE_1)
	s_cmp_le_u32 s3, s8
	s_cselect_b32 s0, -1, 0
	s_and_b32 s9, s0, exec_lo
	s_cselect_b32 s9, 8, 10
	s_delay_alu instid0(SALU_CYCLE_1) | instskip(SKIP_1) | instid1(SALU_CYCLE_1)
	v_mov_b32_e32 v4, s9
	s_nor_b32 s9, s0, vcc_lo
	s_and_saveexec_b32 s0, s9
	s_cbranch_execz .LBB1070_285
; %bb.284:
	v_lshrrev_b64 v[4:5], s8, v[2:3]
	s_sub_co_i32 s8, s3, s8
	v_lshlrev_b32_e32 v5, 2, v1
	s_min_u32 s8, s8, 8
	s_delay_alu instid0(VALU_DEP_2) | instid1(SALU_CYCLE_1)
	v_bfe_u32 v4, v4, 0, s8
	s_delay_alu instid0(VALU_DEP_1)
	v_lshl_or_b32 v4, v4, 4, v5
	v_mov_b32_e32 v5, 1
	ds_add_u32 v4, v5 offset:4096
	v_mov_b32_e32 v4, 0
.LBB1070_285:
	s_or_b32 exec_lo, exec_lo, s0
	s_mov_b32 s8, -1
	s_mov_b32 s9, exec_lo
	s_delay_alu instid0(VALU_DEP_1)
	v_cmpx_gt_i32_e32 10, v4
; %bb.286:
	v_cmp_eq_u32_e64 s0, 0, v4
	s_or_not1_b32 s8, s0, exec_lo
; %bb.287:
	s_or_b32 exec_lo, exec_lo, s9
	s_delay_alu instid0(SALU_CYCLE_1)
	s_and_b32 exec_lo, exec_lo, s8
	s_cbranch_execz .LBB1070_315
; %bb.288:
	s_add_co_i32 s8, s2, 16
	s_delay_alu instid0(SALU_CYCLE_1) | instskip(SKIP_1) | instid1(SALU_CYCLE_1)
	s_cmp_le_u32 s3, s8
	s_cselect_b32 s0, -1, 0
	s_and_b32 s9, s0, exec_lo
	s_cselect_b32 s9, 8, 10
	s_delay_alu instid0(SALU_CYCLE_1) | instskip(SKIP_1) | instid1(SALU_CYCLE_1)
	v_mov_b32_e32 v4, s9
	s_nor_b32 s9, s0, vcc_lo
	s_and_saveexec_b32 s0, s9
	s_cbranch_execz .LBB1070_290
; %bb.289:
	v_lshrrev_b64 v[4:5], s8, v[2:3]
	s_sub_co_i32 s8, s3, s8
	v_lshlrev_b32_e32 v5, 2, v1
	s_min_u32 s8, s8, 8
	s_delay_alu instid0(VALU_DEP_2) | instid1(SALU_CYCLE_1)
	v_bfe_u32 v4, v4, 0, s8
	s_delay_alu instid0(VALU_DEP_1)
	v_lshl_or_b32 v4, v4, 4, v5
	v_mov_b32_e32 v5, 1
	ds_add_u32 v4, v5 offset:8192
	v_mov_b32_e32 v4, 0
.LBB1070_290:
	s_or_b32 exec_lo, exec_lo, s0
	s_mov_b32 s8, -1
	s_mov_b32 s9, exec_lo
	s_delay_alu instid0(VALU_DEP_1)
	v_cmpx_gt_i32_e32 10, v4
; %bb.291:
	v_cmp_eq_u32_e64 s0, 0, v4
	s_or_not1_b32 s8, s0, exec_lo
; %bb.292:
	s_or_b32 exec_lo, exec_lo, s9
	s_delay_alu instid0(SALU_CYCLE_1)
	s_and_b32 exec_lo, exec_lo, s8
	;; [unrolled: 38-line block ×6, first 2 shown]
	s_cbranch_execz .LBB1070_315
; %bb.313:
	s_add_co_i32 s0, s2, 56
	s_delay_alu instid0(SALU_CYCLE_1) | instskip(SKIP_2) | instid1(SALU_CYCLE_1)
	s_cmp_gt_u32 s3, s0
	s_cselect_b32 s8, -1, 0
	s_xor_b32 s9, vcc_lo, -1
	s_and_b32 s8, s8, s9
	s_delay_alu instid0(SALU_CYCLE_1)
	s_and_b32 exec_lo, exec_lo, s8
	s_cbranch_execz .LBB1070_315
; %bb.314:
	v_lshrrev_b64 v[2:3], s0, v[2:3]
	s_sub_co_i32 s0, s3, s0
	v_lshlrev_b32_e32 v1, 2, v1
	s_min_u32 s0, s0, 8
	s_delay_alu instid0(VALU_DEP_2) | instid1(SALU_CYCLE_1)
	v_bfe_u32 v2, v2, 0, s0
	s_delay_alu instid0(VALU_DEP_1)
	v_lshl_or_b32 v1, v2, 4, v1
	v_mov_b32_e32 v2, 1
	ds_add_u32 v1, v2 offset:28672
.LBB1070_315:
	s_or_b32 exec_lo, exec_lo, s1
	s_cmp_gt_u32 s3, s2
	s_wait_dscnt 0x0
	s_barrier_signal -1
	s_barrier_wait -1
	s_cbranch_scc0 .LBB1070_320
; %bb.316:
	v_dual_lshlrev_b32 v1, 4, v0 :: v_dual_mov_b32 v3, 0
	v_mov_b32_e32 v4, v0
	s_mov_b32 s0, s2
	v_cmp_gt_u32_e32 vcc_lo, 0x100, v0
	s_branch .LBB1070_318
.LBB1070_317:                           ;   in Loop: Header=BB1070_318 Depth=1
	s_wait_xcnt 0x0
	s_or_b32 exec_lo, exec_lo, s1
	v_add_nc_u32_e32 v4, 0x100, v4
	v_add_nc_u32_e32 v1, 0x1000, v1
	s_add_co_i32 s0, s0, 8
	s_delay_alu instid0(SALU_CYCLE_1)
	s_cmp_lt_u32 s0, s3
	s_cbranch_scc0 .LBB1070_320
.LBB1070_318:                           ; =>This Inner Loop Header: Depth=1
	s_and_saveexec_b32 s1, vcc_lo
	s_cbranch_execz .LBB1070_317
; %bb.319:                              ;   in Loop: Header=BB1070_318 Depth=1
	ds_load_2addr_b32 v[6:7], v1 offset1:1
	ds_load_2addr_b32 v[8:9], v1 offset0:2 offset1:3
	s_wait_dscnt 0x1
	v_add_nc_u32_e32 v2, v7, v6
	s_wait_dscnt 0x0
	s_delay_alu instid0(VALU_DEP_1)
	v_add3_u32 v2, v2, v8, v9
	global_atomic_add_u64 v4, v[2:3], s[6:7] scale_offset scope:SCOPE_DEV
	s_branch .LBB1070_317
.LBB1070_320:
	s_mov_b32 s9, 0
.LBB1070_321:
	s_delay_alu instid0(SALU_CYCLE_1)
	s_and_b32 vcc_lo, exec_lo, s9
	s_cbranch_vccz .LBB1070_417
; %bb.322:
	s_clause 0x7
	global_load_b64 v[16:17], v0, s[4:5] scale_offset
	global_load_b64 v[14:15], v0, s[4:5] offset:4096 scale_offset
	global_load_b64 v[12:13], v0, s[4:5] offset:8192 scale_offset
	;; [unrolled: 1-line block ×7, first 2 shown]
	s_cmp_eq_u32 s2, 0
	v_dual_mov_b32 v18, 0 :: v_dual_lshlrev_b32 v24, 2, v0
	s_cselect_b32 s1, -1, 0
	s_cmp_eq_u32 s3, 64
	v_or_b32_e32 v1, 0xfffffe00, v0
	s_wait_xcnt 0x0
	s_cselect_b32 s4, -1, 0
	s_mov_b32 s0, 0
	s_and_b32 s1, s1, s4
	s_delay_alu instid0(SALU_CYCLE_1)
	s_and_b32 vcc_lo, exec_lo, s1
	s_mov_b32 s1, -1
	s_cbranch_vccnz .LBB1070_412
; %bb.323:
	v_or_b32_e32 v19, 0xfffffe00, v0
	v_lshlrev_b32_e32 v20, 2, v0
.LBB1070_324:                           ; =>This Inner Loop Header: Depth=1
	s_delay_alu instid0(VALU_DEP_2) | instskip(SKIP_4) | instid1(SALU_CYCLE_1)
	v_add_nc_u32_e32 v19, 0x200, v19
	ds_store_b32 v20, v18
	v_add_nc_u32_e32 v20, 0x800, v20
	v_cmp_lt_u32_e32 vcc_lo, 0x1dff, v19
	s_or_b32 s0, vcc_lo, s0
	s_and_not1_b32 exec_lo, exec_lo, s0
	s_cbranch_execnz .LBB1070_324
; %bb.325:
	s_or_b32 exec_lo, exec_lo, s0
	s_cmp_gt_u32 s3, s2
	s_wait_storecnt 0x0
	s_wait_loadcnt_dscnt 0x0
	s_cselect_b32 s0, -1, 0
	s_barrier_signal -1
	s_and_b32 vcc_lo, exec_lo, s0
	s_barrier_wait -1
	s_cbranch_vccz .LBB1070_406
; %bb.326:
	v_xor_b32_e32 v21, 0x7fffffff, v17
	v_and_b32_e32 v25, 3, v0
	v_xor_b32_e32 v20, -1, v16
	s_sub_co_i32 s1, s3, s2
	s_add_co_i32 s4, s2, 8
	s_min_u32 s1, s1, 8
	v_lshlrev_b32_e32 v26, 2, v25
	v_lshrrev_b64 v[18:19], s2, v[20:21]
	s_lshl_b32 s1, -1, s1
	v_mov_b32_e32 v19, 1
	s_mov_b32 s9, -1
	s_mov_b32 s8, 0
	s_delay_alu instid0(VALU_DEP_2) | instskip(SKIP_3) | instid1(VALU_DEP_1)
	v_bitop3_b32 v18, v18, s1, v18 bitop3:0x30
	s_not_b32 s1, s1
	s_cmp_le_u32 s3, s4
	s_cselect_b32 s5, -1, 0
	v_lshl_or_b32 v18, v18, 4, v26
	s_and_b32 vcc_lo, exec_lo, s5
	ds_add_u32 v18, v19
	v_xor_b32_e32 v19, 0x7fffffff, v15
	v_xor_b32_e32 v18, -1, v14
	s_delay_alu instid0(VALU_DEP_1)
	v_lshrrev_b64 v[22:23], s2, v[18:19]
                                        ; implicit-def: $vgpr23
	s_cbranch_vccz .LBB1070_328
; %bb.327:
	s_delay_alu instid0(VALU_DEP_1) | instskip(SKIP_2) | instid1(VALU_DEP_1)
	v_and_b32_e32 v23, s1, v22
	s_mov_b32 s9, 0
	s_mov_b32 s8, -1
	v_lshlrev_b32_e32 v23, 4, v23
.LBB1070_328:
	s_and_not1_b32 vcc_lo, exec_lo, s9
	s_cbranch_vccnz .LBB1070_344
; %bb.329:
	v_lshrrev_b64 v[28:29], s4, v[20:21]
	s_sub_co_i32 s9, s3, s4
	s_delay_alu instid0(SALU_CYCLE_1) | instskip(NEXT) | instid1(SALU_CYCLE_1)
	s_min_u32 s9, s9, 8
	s_lshl_b32 s10, -1, s9
	s_add_co_i32 s9, s2, 16
	s_delay_alu instid0(VALU_DEP_1) | instskip(SKIP_3) | instid1(VALU_DEP_1)
	v_bitop3_b32 v23, v28, s10, v28 bitop3:0x30
	s_not_b32 s11, s10
	s_cmp_gt_u32 s3, s9
	s_cselect_b32 s10, -1, 0
	v_lshl_or_b32 v27, v23, 4, v26
	v_mov_b32_e32 v23, 1
	s_cmp_le_u32 s3, s9
	ds_add_u32 v27, v23 offset:4096
	s_cbranch_scc1 .LBB1070_336
; %bb.330:
	v_lshrrev_b64 v[28:29], s9, v[20:21]
	s_sub_co_i32 s12, s3, s9
	s_delay_alu instid0(SALU_CYCLE_1)
	s_min_u32 s12, s12, 8
	s_delay_alu instid0(VALU_DEP_1) | instid1(SALU_CYCLE_1)
	v_bfe_u32 v27, v28, 0, s12
	s_add_co_i32 s12, s2, 24
	s_delay_alu instid0(SALU_CYCLE_1) | instskip(NEXT) | instid1(VALU_DEP_1)
	s_cmp_le_u32 s3, s12
	v_lshl_or_b32 v27, v27, 4, v26
	ds_add_u32 v27, v23 offset:8192
	s_cbranch_scc1 .LBB1070_336
; %bb.331:
	v_lshrrev_b64 v[28:29], s12, v[20:21]
	s_sub_co_i32 s12, s3, s12
	s_delay_alu instid0(SALU_CYCLE_1)
	s_min_u32 s12, s12, 8
	s_delay_alu instid0(VALU_DEP_1) | instid1(SALU_CYCLE_1)
	v_bfe_u32 v27, v28, 0, s12
	s_add_co_i32 s12, s2, 32
	s_delay_alu instid0(SALU_CYCLE_1) | instskip(NEXT) | instid1(VALU_DEP_1)
	s_cmp_le_u32 s3, s12
	v_lshl_or_b32 v28, v27, 4, v26
	v_mov_b32_e32 v27, 1
	ds_add_u32 v28, v27 offset:12288
	s_cbranch_scc1 .LBB1070_336
; %bb.332:
	v_lshrrev_b64 v[28:29], s12, v[20:21]
	s_sub_co_i32 s12, s3, s12
	s_delay_alu instid0(SALU_CYCLE_1)
	s_min_u32 s12, s12, 8
	s_delay_alu instid0(VALU_DEP_1) | instid1(SALU_CYCLE_1)
	v_bfe_u32 v28, v28, 0, s12
	s_add_co_i32 s12, s2, 40
	s_delay_alu instid0(SALU_CYCLE_1) | instskip(NEXT) | instid1(VALU_DEP_1)
	s_cmp_le_u32 s3, s12
	v_lshl_or_b32 v28, v28, 4, v26
	ds_add_u32 v28, v27 offset:16384
	s_cbranch_scc1 .LBB1070_336
; %bb.333:
	v_lshrrev_b64 v[28:29], s12, v[20:21]
	s_sub_co_i32 s12, s3, s12
	s_delay_alu instid0(SALU_CYCLE_1)
	s_min_u32 s12, s12, 8
	s_delay_alu instid0(VALU_DEP_1) | instid1(SALU_CYCLE_1)
	v_bfe_u32 v27, v28, 0, s12
	s_add_co_i32 s12, s2, 48
	s_delay_alu instid0(SALU_CYCLE_1) | instskip(NEXT) | instid1(VALU_DEP_1)
	s_cmp_le_u32 s3, s12
	v_lshl_or_b32 v28, v27, 4, v26
	v_mov_b32_e32 v27, 1
	ds_add_u32 v28, v27 offset:20480
	s_cbranch_scc1 .LBB1070_336
; %bb.334:
	v_lshrrev_b64 v[28:29], s12, v[20:21]
	s_sub_co_i32 s12, s3, s12
	s_delay_alu instid0(SALU_CYCLE_1)
	s_min_u32 s12, s12, 8
	s_delay_alu instid0(VALU_DEP_1) | instid1(SALU_CYCLE_1)
	v_bfe_u32 v28, v28, 0, s12
	s_add_co_i32 s12, s2, 56
	s_delay_alu instid0(SALU_CYCLE_1) | instskip(NEXT) | instid1(VALU_DEP_1)
	s_cmp_le_u32 s3, s12
	v_lshl_or_b32 v28, v28, 4, v26
	ds_add_u32 v28, v27 offset:24576
	s_cbranch_scc1 .LBB1070_336
; %bb.335:
	v_lshrrev_b64 v[20:21], s12, v[20:21]
	s_sub_co_i32 s12, s3, s12
	v_mov_b32_e32 v21, 1
	s_min_u32 s12, s12, 8
	s_delay_alu instid0(VALU_DEP_2) | instid1(SALU_CYCLE_1)
	v_bfe_u32 v20, v20, 0, s12
	s_delay_alu instid0(VALU_DEP_1)
	v_lshl_or_b32 v20, v20, 4, v26
	ds_add_u32 v20, v21 offset:28672
.LBB1070_336:
	v_lshrrev_b64 v[20:21], s4, v[18:19]
	v_and_b32_e32 v21, s1, v22
	s_and_not1_b32 vcc_lo, exec_lo, s10
	s_delay_alu instid0(VALU_DEP_1) | instskip(NEXT) | instid1(VALU_DEP_3)
	v_lshl_or_b32 v21, v21, 4, v26
	v_and_b32_e32 v20, s11, v20
	s_delay_alu instid0(VALU_DEP_1)
	v_lshl_or_b32 v20, v20, 4, v26
	ds_add_u32 v21, v23
	ds_add_u32 v20, v23 offset:4096
	s_cbranch_vccnz .LBB1070_343
; %bb.337:
	v_lshrrev_b64 v[20:21], s9, v[18:19]
	s_sub_co_i32 s9, s3, s9
	s_delay_alu instid0(SALU_CYCLE_1)
	s_min_u32 s9, s9, 8
	s_delay_alu instid0(VALU_DEP_1) | instid1(SALU_CYCLE_1)
	v_bfe_u32 v20, v20, 0, s9
	s_add_co_i32 s9, s2, 24
	s_delay_alu instid0(SALU_CYCLE_1) | instskip(NEXT) | instid1(VALU_DEP_1)
	s_cmp_gt_u32 s3, s9
	v_lshl_or_b32 v21, v20, 4, v26
	v_mov_b32_e32 v20, 1
	ds_add_u32 v21, v20 offset:8192
	s_cbranch_scc0 .LBB1070_343
; %bb.338:
	v_lshrrev_b64 v[22:23], s9, v[18:19]
	s_sub_co_i32 s9, s3, s9
	s_delay_alu instid0(SALU_CYCLE_1)
	s_min_u32 s9, s9, 8
	s_delay_alu instid0(VALU_DEP_1) | instid1(SALU_CYCLE_1)
	v_bfe_u32 v21, v22, 0, s9
	s_add_co_i32 s9, s2, 32
	s_delay_alu instid0(SALU_CYCLE_1) | instskip(NEXT) | instid1(VALU_DEP_1)
	s_cmp_gt_u32 s3, s9
	v_lshl_or_b32 v21, v21, 4, v26
	ds_add_u32 v21, v20 offset:12288
	s_cbranch_scc0 .LBB1070_343
; %bb.339:
	v_lshrrev_b64 v[20:21], s9, v[18:19]
	s_sub_co_i32 s9, s3, s9
	s_delay_alu instid0(SALU_CYCLE_1)
	s_min_u32 s9, s9, 8
	s_delay_alu instid0(VALU_DEP_1) | instid1(SALU_CYCLE_1)
	v_bfe_u32 v20, v20, 0, s9
	s_add_co_i32 s9, s2, 40
	s_delay_alu instid0(SALU_CYCLE_1) | instskip(NEXT) | instid1(VALU_DEP_1)
	s_cmp_gt_u32 s3, s9
	v_lshl_or_b32 v21, v20, 4, v26
	v_mov_b32_e32 v20, 1
	ds_add_u32 v21, v20 offset:16384
	s_cbranch_scc0 .LBB1070_343
; %bb.340:
	v_lshrrev_b64 v[22:23], s9, v[18:19]
	s_sub_co_i32 s9, s3, s9
	s_delay_alu instid0(SALU_CYCLE_1)
	s_min_u32 s9, s9, 8
	s_delay_alu instid0(VALU_DEP_1) | instid1(SALU_CYCLE_1)
	v_bfe_u32 v21, v22, 0, s9
	s_add_co_i32 s9, s2, 48
	s_delay_alu instid0(SALU_CYCLE_1) | instskip(NEXT) | instid1(VALU_DEP_1)
	s_cmp_gt_u32 s3, s9
	v_lshl_or_b32 v21, v21, 4, v26
	ds_add_u32 v21, v20 offset:20480
	s_cbranch_scc0 .LBB1070_343
; %bb.341:
	v_lshrrev_b64 v[20:21], s9, v[18:19]
	s_sub_co_i32 s9, s3, s9
	v_mov_b32_e32 v21, 1
	s_min_u32 s9, s9, 8
                                        ; implicit-def: $vgpr23
	s_delay_alu instid0(VALU_DEP_2) | instid1(SALU_CYCLE_1)
	v_bfe_u32 v20, v20, 0, s9
	s_add_co_i32 s9, s2, 56
	s_delay_alu instid0(SALU_CYCLE_1) | instskip(NEXT) | instid1(VALU_DEP_1)
	s_cmp_gt_u32 s3, s9
	v_lshl_or_b32 v20, v20, 4, v26
	ds_add_u32 v20, v21 offset:24576
	s_cbranch_scc0 .LBB1070_344
; %bb.342:
	v_lshrrev_b64 v[18:19], s9, v[18:19]
	s_sub_co_i32 s8, s3, s9
	s_delay_alu instid0(SALU_CYCLE_1)
	s_min_u32 s8, s8, 8
	s_delay_alu instid0(VALU_DEP_1) | instid1(SALU_CYCLE_1)
	v_bfe_u32 v18, v18, 0, s8
	s_mov_b32 s8, -1
	s_delay_alu instid0(VALU_DEP_1)
	v_lshl_add_u32 v23, v18, 4, 0x7000
	s_branch .LBB1070_344
.LBB1070_343:
                                        ; implicit-def: $vgpr23
.LBB1070_344:
	s_and_b32 vcc_lo, exec_lo, s8
	s_cbranch_vccz .LBB1070_346
; %bb.345:
	s_delay_alu instid0(VALU_DEP_1)
	v_lshl_add_u32 v18, v25, 2, v23
	v_mov_b32_e32 v19, 1
	ds_add_u32 v18, v19
.LBB1070_346:
	v_xor_b32_e32 v21, 0x7fffffff, v13
	v_xor_b32_e32 v20, -1, v12
	s_and_b32 vcc_lo, exec_lo, s5
	s_delay_alu instid0(VALU_DEP_1) | instskip(NEXT) | instid1(VALU_DEP_1)
	v_lshrrev_b64 v[18:19], s2, v[20:21]
	v_dual_mov_b32 v19, 1 :: v_dual_bitop2_b32 v18, s1, v18 bitop3:0x40
	s_delay_alu instid0(VALU_DEP_1) | instskip(SKIP_3) | instid1(VALU_DEP_1)
	v_lshl_or_b32 v18, v18, 4, v26
	ds_add_u32 v18, v19
	v_xor_b32_e32 v19, 0x7fffffff, v11
	v_xor_b32_e32 v18, -1, v10
	v_lshrrev_b64 v[22:23], s2, v[18:19]
	s_cbranch_vccz .LBB1070_348
; %bb.347:
	s_delay_alu instid0(VALU_DEP_1) | instskip(SKIP_1) | instid1(VALU_DEP_1)
	v_and_b32_e32 v23, s1, v22
	s_mov_b32 s8, -1
	v_lshlrev_b32_e32 v23, 4, v23
	s_cbranch_execz .LBB1070_349
	s_branch .LBB1070_364
.LBB1070_348:
	s_mov_b32 s8, 0
                                        ; implicit-def: $vgpr23
.LBB1070_349:
	v_lshrrev_b64 v[28:29], s4, v[20:21]
	s_sub_co_i32 s9, s3, s4
	s_delay_alu instid0(SALU_CYCLE_1) | instskip(NEXT) | instid1(SALU_CYCLE_1)
	s_min_u32 s9, s9, 8
	s_lshl_b32 s10, -1, s9
	s_add_co_i32 s9, s2, 16
	s_delay_alu instid0(VALU_DEP_1) | instskip(SKIP_3) | instid1(VALU_DEP_1)
	v_bitop3_b32 v23, v28, s10, v28 bitop3:0x30
	s_not_b32 s11, s10
	s_cmp_gt_u32 s3, s9
	s_cselect_b32 s10, -1, 0
	v_lshl_or_b32 v27, v23, 4, v26
	v_mov_b32_e32 v23, 1
	s_cmp_le_u32 s3, s9
	ds_add_u32 v27, v23 offset:4096
	s_cbranch_scc1 .LBB1070_356
; %bb.350:
	v_lshrrev_b64 v[28:29], s9, v[20:21]
	s_sub_co_i32 s12, s3, s9
	s_delay_alu instid0(SALU_CYCLE_1)
	s_min_u32 s12, s12, 8
	s_delay_alu instid0(VALU_DEP_1) | instid1(SALU_CYCLE_1)
	v_bfe_u32 v27, v28, 0, s12
	s_add_co_i32 s12, s2, 24
	s_delay_alu instid0(SALU_CYCLE_1) | instskip(NEXT) | instid1(VALU_DEP_1)
	s_cmp_le_u32 s3, s12
	v_lshl_or_b32 v27, v27, 4, v26
	ds_add_u32 v27, v23 offset:8192
	s_cbranch_scc1 .LBB1070_356
; %bb.351:
	v_lshrrev_b64 v[28:29], s12, v[20:21]
	s_sub_co_i32 s12, s3, s12
	s_delay_alu instid0(SALU_CYCLE_1)
	s_min_u32 s12, s12, 8
	s_delay_alu instid0(VALU_DEP_1) | instid1(SALU_CYCLE_1)
	v_bfe_u32 v27, v28, 0, s12
	s_add_co_i32 s12, s2, 32
	s_delay_alu instid0(SALU_CYCLE_1) | instskip(NEXT) | instid1(VALU_DEP_1)
	s_cmp_le_u32 s3, s12
	v_lshl_or_b32 v28, v27, 4, v26
	v_mov_b32_e32 v27, 1
	ds_add_u32 v28, v27 offset:12288
	s_cbranch_scc1 .LBB1070_356
; %bb.352:
	v_lshrrev_b64 v[28:29], s12, v[20:21]
	s_sub_co_i32 s12, s3, s12
	s_delay_alu instid0(SALU_CYCLE_1)
	s_min_u32 s12, s12, 8
	s_delay_alu instid0(VALU_DEP_1) | instid1(SALU_CYCLE_1)
	v_bfe_u32 v28, v28, 0, s12
	s_add_co_i32 s12, s2, 40
	s_delay_alu instid0(SALU_CYCLE_1) | instskip(NEXT) | instid1(VALU_DEP_1)
	s_cmp_le_u32 s3, s12
	v_lshl_or_b32 v28, v28, 4, v26
	ds_add_u32 v28, v27 offset:16384
	s_cbranch_scc1 .LBB1070_356
; %bb.353:
	v_lshrrev_b64 v[28:29], s12, v[20:21]
	s_sub_co_i32 s12, s3, s12
	s_delay_alu instid0(SALU_CYCLE_1)
	s_min_u32 s12, s12, 8
	s_delay_alu instid0(VALU_DEP_1) | instid1(SALU_CYCLE_1)
	v_bfe_u32 v27, v28, 0, s12
	s_add_co_i32 s12, s2, 48
	s_delay_alu instid0(SALU_CYCLE_1) | instskip(NEXT) | instid1(VALU_DEP_1)
	s_cmp_le_u32 s3, s12
	v_lshl_or_b32 v28, v27, 4, v26
	v_mov_b32_e32 v27, 1
	ds_add_u32 v28, v27 offset:20480
	s_cbranch_scc1 .LBB1070_356
; %bb.354:
	v_lshrrev_b64 v[28:29], s12, v[20:21]
	s_sub_co_i32 s12, s3, s12
	s_delay_alu instid0(SALU_CYCLE_1)
	s_min_u32 s12, s12, 8
	s_delay_alu instid0(VALU_DEP_1) | instid1(SALU_CYCLE_1)
	v_bfe_u32 v28, v28, 0, s12
	s_add_co_i32 s12, s2, 56
	s_delay_alu instid0(SALU_CYCLE_1) | instskip(NEXT) | instid1(VALU_DEP_1)
	s_cmp_le_u32 s3, s12
	v_lshl_or_b32 v28, v28, 4, v26
	ds_add_u32 v28, v27 offset:24576
	s_cbranch_scc1 .LBB1070_356
; %bb.355:
	v_lshrrev_b64 v[20:21], s12, v[20:21]
	s_sub_co_i32 s12, s3, s12
	v_mov_b32_e32 v21, 1
	s_min_u32 s12, s12, 8
	s_delay_alu instid0(VALU_DEP_2) | instid1(SALU_CYCLE_1)
	v_bfe_u32 v20, v20, 0, s12
	s_delay_alu instid0(VALU_DEP_1)
	v_lshl_or_b32 v20, v20, 4, v26
	ds_add_u32 v20, v21 offset:28672
.LBB1070_356:
	v_lshrrev_b64 v[20:21], s4, v[18:19]
	v_and_b32_e32 v21, s1, v22
	s_and_not1_b32 vcc_lo, exec_lo, s10
	s_delay_alu instid0(VALU_DEP_1) | instskip(NEXT) | instid1(VALU_DEP_3)
	v_lshl_or_b32 v21, v21, 4, v26
	v_and_b32_e32 v20, s11, v20
	s_delay_alu instid0(VALU_DEP_1)
	v_lshl_or_b32 v20, v20, 4, v26
	ds_add_u32 v21, v23
	ds_add_u32 v20, v23 offset:4096
	s_cbranch_vccnz .LBB1070_363
; %bb.357:
	v_lshrrev_b64 v[20:21], s9, v[18:19]
	s_sub_co_i32 s9, s3, s9
	s_delay_alu instid0(SALU_CYCLE_1)
	s_min_u32 s9, s9, 8
	s_delay_alu instid0(VALU_DEP_1) | instid1(SALU_CYCLE_1)
	v_bfe_u32 v20, v20, 0, s9
	s_add_co_i32 s9, s2, 24
	s_delay_alu instid0(SALU_CYCLE_1) | instskip(NEXT) | instid1(VALU_DEP_1)
	s_cmp_gt_u32 s3, s9
	v_lshl_or_b32 v21, v20, 4, v26
	v_mov_b32_e32 v20, 1
	ds_add_u32 v21, v20 offset:8192
	s_cbranch_scc0 .LBB1070_363
; %bb.358:
	v_lshrrev_b64 v[22:23], s9, v[18:19]
	s_sub_co_i32 s9, s3, s9
	s_delay_alu instid0(SALU_CYCLE_1)
	s_min_u32 s9, s9, 8
	s_delay_alu instid0(VALU_DEP_1) | instid1(SALU_CYCLE_1)
	v_bfe_u32 v21, v22, 0, s9
	s_add_co_i32 s9, s2, 32
	s_delay_alu instid0(SALU_CYCLE_1) | instskip(NEXT) | instid1(VALU_DEP_1)
	s_cmp_gt_u32 s3, s9
	v_lshl_or_b32 v21, v21, 4, v26
	ds_add_u32 v21, v20 offset:12288
	s_cbranch_scc0 .LBB1070_363
; %bb.359:
	v_lshrrev_b64 v[20:21], s9, v[18:19]
	s_sub_co_i32 s9, s3, s9
	s_delay_alu instid0(SALU_CYCLE_1)
	s_min_u32 s9, s9, 8
	s_delay_alu instid0(VALU_DEP_1) | instid1(SALU_CYCLE_1)
	v_bfe_u32 v20, v20, 0, s9
	s_add_co_i32 s9, s2, 40
	s_delay_alu instid0(SALU_CYCLE_1) | instskip(NEXT) | instid1(VALU_DEP_1)
	s_cmp_gt_u32 s3, s9
	v_lshl_or_b32 v21, v20, 4, v26
	v_mov_b32_e32 v20, 1
	ds_add_u32 v21, v20 offset:16384
	s_cbranch_scc0 .LBB1070_363
; %bb.360:
	v_lshrrev_b64 v[22:23], s9, v[18:19]
	s_sub_co_i32 s9, s3, s9
	s_delay_alu instid0(SALU_CYCLE_1)
	s_min_u32 s9, s9, 8
	s_delay_alu instid0(VALU_DEP_1) | instid1(SALU_CYCLE_1)
	v_bfe_u32 v21, v22, 0, s9
	s_add_co_i32 s9, s2, 48
	s_delay_alu instid0(SALU_CYCLE_1) | instskip(NEXT) | instid1(VALU_DEP_1)
	s_cmp_gt_u32 s3, s9
	v_lshl_or_b32 v21, v21, 4, v26
	ds_add_u32 v21, v20 offset:20480
	s_cbranch_scc0 .LBB1070_363
; %bb.361:
	v_lshrrev_b64 v[20:21], s9, v[18:19]
	s_sub_co_i32 s9, s3, s9
	v_mov_b32_e32 v21, 1
	s_min_u32 s9, s9, 8
                                        ; implicit-def: $vgpr23
	s_delay_alu instid0(VALU_DEP_2) | instid1(SALU_CYCLE_1)
	v_bfe_u32 v20, v20, 0, s9
	s_add_co_i32 s9, s2, 56
	s_delay_alu instid0(SALU_CYCLE_1) | instskip(NEXT) | instid1(VALU_DEP_1)
	s_cmp_gt_u32 s3, s9
	v_lshl_or_b32 v20, v20, 4, v26
	ds_add_u32 v20, v21 offset:24576
	s_cbranch_scc0 .LBB1070_364
; %bb.362:
	v_lshrrev_b64 v[18:19], s9, v[18:19]
	s_sub_co_i32 s8, s3, s9
	s_delay_alu instid0(SALU_CYCLE_1)
	s_min_u32 s8, s8, 8
	s_delay_alu instid0(VALU_DEP_1) | instid1(SALU_CYCLE_1)
	v_bfe_u32 v18, v18, 0, s8
	s_mov_b32 s8, -1
	s_delay_alu instid0(VALU_DEP_1)
	v_lshl_add_u32 v23, v18, 4, 0x7000
	s_branch .LBB1070_364
.LBB1070_363:
                                        ; implicit-def: $vgpr23
.LBB1070_364:
	s_and_b32 vcc_lo, exec_lo, s8
	s_cbranch_vccz .LBB1070_366
; %bb.365:
	s_delay_alu instid0(VALU_DEP_1)
	v_lshl_add_u32 v18, v25, 2, v23
	v_mov_b32_e32 v19, 1
	ds_add_u32 v18, v19
.LBB1070_366:
	v_xor_b32_e32 v21, 0x7fffffff, v9
	v_xor_b32_e32 v20, -1, v8
	s_and_b32 vcc_lo, exec_lo, s5
	s_delay_alu instid0(VALU_DEP_1) | instskip(NEXT) | instid1(VALU_DEP_1)
	v_lshrrev_b64 v[18:19], s2, v[20:21]
	v_dual_mov_b32 v19, 1 :: v_dual_bitop2_b32 v18, s1, v18 bitop3:0x40
	s_delay_alu instid0(VALU_DEP_1) | instskip(SKIP_3) | instid1(VALU_DEP_1)
	v_lshl_or_b32 v18, v18, 4, v26
	ds_add_u32 v18, v19
	v_xor_b32_e32 v19, 0x7fffffff, v7
	v_xor_b32_e32 v18, -1, v6
	v_lshrrev_b64 v[22:23], s2, v[18:19]
	s_cbranch_vccz .LBB1070_368
; %bb.367:
	s_delay_alu instid0(VALU_DEP_1) | instskip(SKIP_1) | instid1(VALU_DEP_1)
	v_and_b32_e32 v23, s1, v22
	s_mov_b32 s8, -1
	v_lshlrev_b32_e32 v23, 4, v23
	s_cbranch_execz .LBB1070_369
	s_branch .LBB1070_384
.LBB1070_368:
	s_mov_b32 s8, 0
                                        ; implicit-def: $vgpr23
.LBB1070_369:
	v_lshrrev_b64 v[28:29], s4, v[20:21]
	s_sub_co_i32 s9, s3, s4
	s_delay_alu instid0(SALU_CYCLE_1) | instskip(NEXT) | instid1(SALU_CYCLE_1)
	s_min_u32 s9, s9, 8
	s_lshl_b32 s10, -1, s9
	s_add_co_i32 s9, s2, 16
	s_delay_alu instid0(VALU_DEP_1) | instskip(SKIP_3) | instid1(VALU_DEP_1)
	v_bitop3_b32 v23, v28, s10, v28 bitop3:0x30
	s_not_b32 s11, s10
	s_cmp_gt_u32 s3, s9
	s_cselect_b32 s10, -1, 0
	v_lshl_or_b32 v27, v23, 4, v26
	v_mov_b32_e32 v23, 1
	s_cmp_le_u32 s3, s9
	ds_add_u32 v27, v23 offset:4096
	s_cbranch_scc1 .LBB1070_376
; %bb.370:
	v_lshrrev_b64 v[28:29], s9, v[20:21]
	s_sub_co_i32 s12, s3, s9
	s_delay_alu instid0(SALU_CYCLE_1)
	s_min_u32 s12, s12, 8
	s_delay_alu instid0(VALU_DEP_1) | instid1(SALU_CYCLE_1)
	v_bfe_u32 v27, v28, 0, s12
	s_add_co_i32 s12, s2, 24
	s_delay_alu instid0(SALU_CYCLE_1) | instskip(NEXT) | instid1(VALU_DEP_1)
	s_cmp_le_u32 s3, s12
	v_lshl_or_b32 v27, v27, 4, v26
	ds_add_u32 v27, v23 offset:8192
	s_cbranch_scc1 .LBB1070_376
; %bb.371:
	v_lshrrev_b64 v[28:29], s12, v[20:21]
	s_sub_co_i32 s12, s3, s12
	s_delay_alu instid0(SALU_CYCLE_1)
	s_min_u32 s12, s12, 8
	s_delay_alu instid0(VALU_DEP_1) | instid1(SALU_CYCLE_1)
	v_bfe_u32 v27, v28, 0, s12
	s_add_co_i32 s12, s2, 32
	s_delay_alu instid0(SALU_CYCLE_1) | instskip(NEXT) | instid1(VALU_DEP_1)
	s_cmp_le_u32 s3, s12
	v_lshl_or_b32 v28, v27, 4, v26
	v_mov_b32_e32 v27, 1
	ds_add_u32 v28, v27 offset:12288
	s_cbranch_scc1 .LBB1070_376
; %bb.372:
	v_lshrrev_b64 v[28:29], s12, v[20:21]
	s_sub_co_i32 s12, s3, s12
	s_delay_alu instid0(SALU_CYCLE_1)
	s_min_u32 s12, s12, 8
	s_delay_alu instid0(VALU_DEP_1) | instid1(SALU_CYCLE_1)
	v_bfe_u32 v28, v28, 0, s12
	s_add_co_i32 s12, s2, 40
	s_delay_alu instid0(SALU_CYCLE_1) | instskip(NEXT) | instid1(VALU_DEP_1)
	s_cmp_le_u32 s3, s12
	v_lshl_or_b32 v28, v28, 4, v26
	ds_add_u32 v28, v27 offset:16384
	s_cbranch_scc1 .LBB1070_376
; %bb.373:
	v_lshrrev_b64 v[28:29], s12, v[20:21]
	s_sub_co_i32 s12, s3, s12
	s_delay_alu instid0(SALU_CYCLE_1)
	s_min_u32 s12, s12, 8
	s_delay_alu instid0(VALU_DEP_1) | instid1(SALU_CYCLE_1)
	v_bfe_u32 v27, v28, 0, s12
	s_add_co_i32 s12, s2, 48
	s_delay_alu instid0(SALU_CYCLE_1) | instskip(NEXT) | instid1(VALU_DEP_1)
	s_cmp_le_u32 s3, s12
	v_lshl_or_b32 v28, v27, 4, v26
	v_mov_b32_e32 v27, 1
	ds_add_u32 v28, v27 offset:20480
	s_cbranch_scc1 .LBB1070_376
; %bb.374:
	v_lshrrev_b64 v[28:29], s12, v[20:21]
	s_sub_co_i32 s12, s3, s12
	s_delay_alu instid0(SALU_CYCLE_1)
	s_min_u32 s12, s12, 8
	s_delay_alu instid0(VALU_DEP_1) | instid1(SALU_CYCLE_1)
	v_bfe_u32 v28, v28, 0, s12
	s_add_co_i32 s12, s2, 56
	s_delay_alu instid0(SALU_CYCLE_1) | instskip(NEXT) | instid1(VALU_DEP_1)
	s_cmp_le_u32 s3, s12
	v_lshl_or_b32 v28, v28, 4, v26
	ds_add_u32 v28, v27 offset:24576
	s_cbranch_scc1 .LBB1070_376
; %bb.375:
	v_lshrrev_b64 v[20:21], s12, v[20:21]
	s_sub_co_i32 s12, s3, s12
	v_mov_b32_e32 v21, 1
	s_min_u32 s12, s12, 8
	s_delay_alu instid0(VALU_DEP_2) | instid1(SALU_CYCLE_1)
	v_bfe_u32 v20, v20, 0, s12
	s_delay_alu instid0(VALU_DEP_1)
	v_lshl_or_b32 v20, v20, 4, v26
	ds_add_u32 v20, v21 offset:28672
.LBB1070_376:
	v_lshrrev_b64 v[20:21], s4, v[18:19]
	v_and_b32_e32 v21, s1, v22
	s_and_not1_b32 vcc_lo, exec_lo, s10
	s_delay_alu instid0(VALU_DEP_1) | instskip(NEXT) | instid1(VALU_DEP_3)
	v_lshl_or_b32 v21, v21, 4, v26
	v_and_b32_e32 v20, s11, v20
	s_delay_alu instid0(VALU_DEP_1)
	v_lshl_or_b32 v20, v20, 4, v26
	ds_add_u32 v21, v23
	ds_add_u32 v20, v23 offset:4096
	s_cbranch_vccnz .LBB1070_383
; %bb.377:
	v_lshrrev_b64 v[20:21], s9, v[18:19]
	s_sub_co_i32 s9, s3, s9
	s_delay_alu instid0(SALU_CYCLE_1)
	s_min_u32 s9, s9, 8
	s_delay_alu instid0(VALU_DEP_1) | instid1(SALU_CYCLE_1)
	v_bfe_u32 v20, v20, 0, s9
	s_add_co_i32 s9, s2, 24
	s_delay_alu instid0(SALU_CYCLE_1) | instskip(NEXT) | instid1(VALU_DEP_1)
	s_cmp_gt_u32 s3, s9
	v_lshl_or_b32 v21, v20, 4, v26
	v_mov_b32_e32 v20, 1
	ds_add_u32 v21, v20 offset:8192
	s_cbranch_scc0 .LBB1070_383
; %bb.378:
	v_lshrrev_b64 v[22:23], s9, v[18:19]
	s_sub_co_i32 s9, s3, s9
	s_delay_alu instid0(SALU_CYCLE_1)
	s_min_u32 s9, s9, 8
	s_delay_alu instid0(VALU_DEP_1) | instid1(SALU_CYCLE_1)
	v_bfe_u32 v21, v22, 0, s9
	s_add_co_i32 s9, s2, 32
	s_delay_alu instid0(SALU_CYCLE_1) | instskip(NEXT) | instid1(VALU_DEP_1)
	s_cmp_gt_u32 s3, s9
	v_lshl_or_b32 v21, v21, 4, v26
	ds_add_u32 v21, v20 offset:12288
	s_cbranch_scc0 .LBB1070_383
; %bb.379:
	v_lshrrev_b64 v[20:21], s9, v[18:19]
	s_sub_co_i32 s9, s3, s9
	s_delay_alu instid0(SALU_CYCLE_1)
	s_min_u32 s9, s9, 8
	s_delay_alu instid0(VALU_DEP_1) | instid1(SALU_CYCLE_1)
	v_bfe_u32 v20, v20, 0, s9
	s_add_co_i32 s9, s2, 40
	s_delay_alu instid0(SALU_CYCLE_1) | instskip(NEXT) | instid1(VALU_DEP_1)
	s_cmp_gt_u32 s3, s9
	v_lshl_or_b32 v21, v20, 4, v26
	v_mov_b32_e32 v20, 1
	ds_add_u32 v21, v20 offset:16384
	s_cbranch_scc0 .LBB1070_383
; %bb.380:
	v_lshrrev_b64 v[22:23], s9, v[18:19]
	s_sub_co_i32 s9, s3, s9
	s_delay_alu instid0(SALU_CYCLE_1)
	s_min_u32 s9, s9, 8
	s_delay_alu instid0(VALU_DEP_1) | instid1(SALU_CYCLE_1)
	v_bfe_u32 v21, v22, 0, s9
	s_add_co_i32 s9, s2, 48
	s_delay_alu instid0(SALU_CYCLE_1) | instskip(NEXT) | instid1(VALU_DEP_1)
	s_cmp_gt_u32 s3, s9
	v_lshl_or_b32 v21, v21, 4, v26
	ds_add_u32 v21, v20 offset:20480
	s_cbranch_scc0 .LBB1070_383
; %bb.381:
	v_lshrrev_b64 v[20:21], s9, v[18:19]
	s_sub_co_i32 s9, s3, s9
	v_mov_b32_e32 v21, 1
	s_min_u32 s9, s9, 8
                                        ; implicit-def: $vgpr23
	s_delay_alu instid0(VALU_DEP_2) | instid1(SALU_CYCLE_1)
	v_bfe_u32 v20, v20, 0, s9
	s_add_co_i32 s9, s2, 56
	s_delay_alu instid0(SALU_CYCLE_1) | instskip(NEXT) | instid1(VALU_DEP_1)
	s_cmp_gt_u32 s3, s9
	v_lshl_or_b32 v20, v20, 4, v26
	ds_add_u32 v20, v21 offset:24576
	s_cbranch_scc0 .LBB1070_384
; %bb.382:
	v_lshrrev_b64 v[18:19], s9, v[18:19]
	s_sub_co_i32 s8, s3, s9
	s_delay_alu instid0(SALU_CYCLE_1)
	s_min_u32 s8, s8, 8
	s_delay_alu instid0(VALU_DEP_1) | instid1(SALU_CYCLE_1)
	v_bfe_u32 v18, v18, 0, s8
	s_mov_b32 s8, -1
	s_delay_alu instid0(VALU_DEP_1)
	v_lshl_add_u32 v23, v18, 4, 0x7000
	s_branch .LBB1070_384
.LBB1070_383:
                                        ; implicit-def: $vgpr23
.LBB1070_384:
	s_and_b32 vcc_lo, exec_lo, s8
	s_cbranch_vccz .LBB1070_386
; %bb.385:
	s_delay_alu instid0(VALU_DEP_1)
	v_lshl_add_u32 v18, v25, 2, v23
	v_mov_b32_e32 v19, 1
	ds_add_u32 v18, v19
.LBB1070_386:
	v_xor_b32_e32 v21, 0x7fffffff, v5
	v_xor_b32_e32 v20, -1, v4
	s_and_b32 vcc_lo, exec_lo, s5
	s_delay_alu instid0(VALU_DEP_1) | instskip(NEXT) | instid1(VALU_DEP_1)
	v_lshrrev_b64 v[18:19], s2, v[20:21]
	v_dual_mov_b32 v19, 1 :: v_dual_bitop2_b32 v18, s1, v18 bitop3:0x40
	s_delay_alu instid0(VALU_DEP_1) | instskip(SKIP_3) | instid1(VALU_DEP_1)
	v_lshl_or_b32 v18, v18, 4, v26
	ds_add_u32 v18, v19
	v_xor_b32_e32 v19, 0x7fffffff, v3
	v_xor_b32_e32 v18, -1, v2
	v_lshrrev_b64 v[22:23], s2, v[18:19]
	s_cbranch_vccz .LBB1070_388
; %bb.387:
	s_delay_alu instid0(VALU_DEP_1) | instskip(SKIP_1) | instid1(VALU_DEP_1)
	v_and_b32_e32 v23, s1, v22
	s_mov_b32 s5, -1
	v_lshlrev_b32_e32 v23, 4, v23
	s_cbranch_execz .LBB1070_389
	s_branch .LBB1070_404
.LBB1070_388:
	s_mov_b32 s5, 0
                                        ; implicit-def: $vgpr23
.LBB1070_389:
	v_lshrrev_b64 v[28:29], s4, v[20:21]
	s_sub_co_i32 s8, s3, s4
	s_delay_alu instid0(SALU_CYCLE_1) | instskip(NEXT) | instid1(SALU_CYCLE_1)
	s_min_u32 s8, s8, 8
	s_lshl_b32 s9, -1, s8
	s_add_co_i32 s8, s2, 16
	s_delay_alu instid0(VALU_DEP_1) | instskip(SKIP_3) | instid1(VALU_DEP_1)
	v_bitop3_b32 v23, v28, s9, v28 bitop3:0x30
	s_not_b32 s10, s9
	s_cmp_gt_u32 s3, s8
	s_cselect_b32 s9, -1, 0
	v_lshl_or_b32 v27, v23, 4, v26
	v_mov_b32_e32 v23, 1
	s_cmp_le_u32 s3, s8
	ds_add_u32 v27, v23 offset:4096
	s_cbranch_scc1 .LBB1070_396
; %bb.390:
	v_lshrrev_b64 v[28:29], s8, v[20:21]
	s_sub_co_i32 s11, s3, s8
	s_delay_alu instid0(SALU_CYCLE_1)
	s_min_u32 s11, s11, 8
	s_delay_alu instid0(VALU_DEP_1) | instid1(SALU_CYCLE_1)
	v_bfe_u32 v27, v28, 0, s11
	s_add_co_i32 s11, s2, 24
	s_delay_alu instid0(SALU_CYCLE_1) | instskip(NEXT) | instid1(VALU_DEP_1)
	s_cmp_le_u32 s3, s11
	v_lshl_or_b32 v27, v27, 4, v26
	ds_add_u32 v27, v23 offset:8192
	s_cbranch_scc1 .LBB1070_396
; %bb.391:
	v_lshrrev_b64 v[28:29], s11, v[20:21]
	s_sub_co_i32 s11, s3, s11
	s_delay_alu instid0(SALU_CYCLE_1)
	s_min_u32 s11, s11, 8
	s_delay_alu instid0(VALU_DEP_1) | instid1(SALU_CYCLE_1)
	v_bfe_u32 v27, v28, 0, s11
	s_add_co_i32 s11, s2, 32
	s_delay_alu instid0(SALU_CYCLE_1) | instskip(NEXT) | instid1(VALU_DEP_1)
	s_cmp_le_u32 s3, s11
	v_lshl_or_b32 v28, v27, 4, v26
	v_mov_b32_e32 v27, 1
	ds_add_u32 v28, v27 offset:12288
	s_cbranch_scc1 .LBB1070_396
; %bb.392:
	v_lshrrev_b64 v[28:29], s11, v[20:21]
	s_sub_co_i32 s11, s3, s11
	s_delay_alu instid0(SALU_CYCLE_1)
	s_min_u32 s11, s11, 8
	s_delay_alu instid0(VALU_DEP_1) | instid1(SALU_CYCLE_1)
	v_bfe_u32 v28, v28, 0, s11
	s_add_co_i32 s11, s2, 40
	s_delay_alu instid0(SALU_CYCLE_1) | instskip(NEXT) | instid1(VALU_DEP_1)
	s_cmp_le_u32 s3, s11
	v_lshl_or_b32 v28, v28, 4, v26
	ds_add_u32 v28, v27 offset:16384
	s_cbranch_scc1 .LBB1070_396
; %bb.393:
	v_lshrrev_b64 v[28:29], s11, v[20:21]
	s_sub_co_i32 s11, s3, s11
	s_delay_alu instid0(SALU_CYCLE_1)
	s_min_u32 s11, s11, 8
	s_delay_alu instid0(VALU_DEP_1) | instid1(SALU_CYCLE_1)
	v_bfe_u32 v27, v28, 0, s11
	s_add_co_i32 s11, s2, 48
	s_delay_alu instid0(SALU_CYCLE_1) | instskip(NEXT) | instid1(VALU_DEP_1)
	s_cmp_le_u32 s3, s11
	v_lshl_or_b32 v28, v27, 4, v26
	v_mov_b32_e32 v27, 1
	ds_add_u32 v28, v27 offset:20480
	s_cbranch_scc1 .LBB1070_396
; %bb.394:
	v_lshrrev_b64 v[28:29], s11, v[20:21]
	s_sub_co_i32 s11, s3, s11
	s_delay_alu instid0(SALU_CYCLE_1)
	s_min_u32 s11, s11, 8
	s_delay_alu instid0(VALU_DEP_1) | instid1(SALU_CYCLE_1)
	v_bfe_u32 v28, v28, 0, s11
	s_add_co_i32 s11, s2, 56
	s_delay_alu instid0(SALU_CYCLE_1) | instskip(NEXT) | instid1(VALU_DEP_1)
	s_cmp_le_u32 s3, s11
	v_lshl_or_b32 v28, v28, 4, v26
	ds_add_u32 v28, v27 offset:24576
	s_cbranch_scc1 .LBB1070_396
; %bb.395:
	v_lshrrev_b64 v[20:21], s11, v[20:21]
	s_sub_co_i32 s11, s3, s11
	v_mov_b32_e32 v21, 1
	s_min_u32 s11, s11, 8
	s_delay_alu instid0(VALU_DEP_2) | instid1(SALU_CYCLE_1)
	v_bfe_u32 v20, v20, 0, s11
	s_delay_alu instid0(VALU_DEP_1)
	v_lshl_or_b32 v20, v20, 4, v26
	ds_add_u32 v20, v21 offset:28672
.LBB1070_396:
	v_lshrrev_b64 v[20:21], s4, v[18:19]
	v_and_b32_e32 v21, s1, v22
	s_and_not1_b32 vcc_lo, exec_lo, s9
	s_delay_alu instid0(VALU_DEP_1) | instskip(NEXT) | instid1(VALU_DEP_3)
	v_lshl_or_b32 v21, v21, 4, v26
	v_and_b32_e32 v20, s10, v20
	s_delay_alu instid0(VALU_DEP_1)
	v_lshl_or_b32 v20, v20, 4, v26
	ds_add_u32 v21, v23
	ds_add_u32 v20, v23 offset:4096
	s_cbranch_vccnz .LBB1070_403
; %bb.397:
	v_lshrrev_b64 v[20:21], s8, v[18:19]
	s_sub_co_i32 s1, s3, s8
	s_delay_alu instid0(SALU_CYCLE_1)
	s_min_u32 s1, s1, 8
	s_delay_alu instid0(VALU_DEP_1) | instid1(SALU_CYCLE_1)
	v_bfe_u32 v20, v20, 0, s1
	s_add_co_i32 s1, s2, 24
	s_delay_alu instid0(SALU_CYCLE_1) | instskip(NEXT) | instid1(VALU_DEP_1)
	s_cmp_gt_u32 s3, s1
	v_lshl_or_b32 v21, v20, 4, v26
	v_mov_b32_e32 v20, 1
	ds_add_u32 v21, v20 offset:8192
	s_cbranch_scc0 .LBB1070_403
; %bb.398:
	v_lshrrev_b64 v[22:23], s1, v[18:19]
	s_sub_co_i32 s1, s3, s1
	s_delay_alu instid0(SALU_CYCLE_1)
	s_min_u32 s1, s1, 8
	s_delay_alu instid0(VALU_DEP_1) | instid1(SALU_CYCLE_1)
	v_bfe_u32 v21, v22, 0, s1
	s_add_co_i32 s1, s2, 32
	s_delay_alu instid0(SALU_CYCLE_1) | instskip(NEXT) | instid1(VALU_DEP_1)
	s_cmp_gt_u32 s3, s1
	v_lshl_or_b32 v21, v21, 4, v26
	ds_add_u32 v21, v20 offset:12288
	s_cbranch_scc0 .LBB1070_403
; %bb.399:
	v_lshrrev_b64 v[20:21], s1, v[18:19]
	s_sub_co_i32 s1, s3, s1
	s_delay_alu instid0(SALU_CYCLE_1)
	s_min_u32 s1, s1, 8
	s_delay_alu instid0(VALU_DEP_1) | instid1(SALU_CYCLE_1)
	v_bfe_u32 v20, v20, 0, s1
	s_add_co_i32 s1, s2, 40
	s_delay_alu instid0(SALU_CYCLE_1) | instskip(NEXT) | instid1(VALU_DEP_1)
	s_cmp_gt_u32 s3, s1
	v_lshl_or_b32 v21, v20, 4, v26
	v_mov_b32_e32 v20, 1
	ds_add_u32 v21, v20 offset:16384
	s_cbranch_scc0 .LBB1070_403
; %bb.400:
	v_lshrrev_b64 v[22:23], s1, v[18:19]
	s_sub_co_i32 s1, s3, s1
	s_delay_alu instid0(SALU_CYCLE_1)
	s_min_u32 s1, s1, 8
	s_delay_alu instid0(VALU_DEP_1) | instid1(SALU_CYCLE_1)
	v_bfe_u32 v21, v22, 0, s1
	s_add_co_i32 s1, s2, 48
	s_delay_alu instid0(SALU_CYCLE_1) | instskip(NEXT) | instid1(VALU_DEP_1)
	s_cmp_gt_u32 s3, s1
	v_lshl_or_b32 v21, v21, 4, v26
	ds_add_u32 v21, v20 offset:20480
	s_cbranch_scc0 .LBB1070_403
; %bb.401:
	v_lshrrev_b64 v[20:21], s1, v[18:19]
	s_sub_co_i32 s1, s3, s1
	v_mov_b32_e32 v21, 1
	s_min_u32 s1, s1, 8
                                        ; implicit-def: $vgpr23
	s_delay_alu instid0(VALU_DEP_2) | instid1(SALU_CYCLE_1)
	v_bfe_u32 v20, v20, 0, s1
	s_add_co_i32 s1, s2, 56
	s_delay_alu instid0(SALU_CYCLE_1) | instskip(NEXT) | instid1(VALU_DEP_1)
	s_cmp_gt_u32 s3, s1
	v_lshl_or_b32 v20, v20, 4, v26
	ds_add_u32 v20, v21 offset:24576
	s_cbranch_scc0 .LBB1070_404
; %bb.402:
	v_lshrrev_b64 v[18:19], s1, v[18:19]
	s_sub_co_i32 s1, s3, s1
	s_mov_b32 s5, -1
	s_min_u32 s1, s1, 8
	s_delay_alu instid0(VALU_DEP_1) | instid1(SALU_CYCLE_1)
	v_bfe_u32 v18, v18, 0, s1
	s_delay_alu instid0(VALU_DEP_1)
	v_lshl_add_u32 v23, v18, 4, 0x7000
	s_branch .LBB1070_404
.LBB1070_403:
                                        ; implicit-def: $vgpr23
.LBB1070_404:
	s_and_b32 vcc_lo, exec_lo, s5
	s_cbranch_vccz .LBB1070_406
; %bb.405:
	s_delay_alu instid0(VALU_DEP_1)
	v_lshl_add_u32 v18, v25, 2, v23
	v_mov_b32_e32 v19, 1
	ds_add_u32 v18, v19
.LBB1070_406:
	s_and_b32 vcc_lo, exec_lo, s0
	s_wait_dscnt 0x0
	s_barrier_signal -1
	s_barrier_wait -1
	s_cbranch_vccz .LBB1070_411
; %bb.407:
	v_dual_mov_b32 v19, 0 :: v_dual_lshlrev_b32 v20, 4, v0
	v_mov_b32_e32 v21, v0
	v_cmp_gt_u32_e32 vcc_lo, 0x100, v0
	s_branch .LBB1070_409
.LBB1070_408:                           ;   in Loop: Header=BB1070_409 Depth=1
	s_wait_xcnt 0x0
	s_or_b32 exec_lo, exec_lo, s0
	v_add_nc_u32_e32 v21, 0x100, v21
	v_add_nc_u32_e32 v20, 0x1000, v20
	s_add_co_i32 s2, s2, 8
	s_delay_alu instid0(SALU_CYCLE_1)
	s_cmp_ge_u32 s2, s3
	s_cbranch_scc1 .LBB1070_411
.LBB1070_409:                           ; =>This Inner Loop Header: Depth=1
	s_and_saveexec_b32 s0, vcc_lo
	s_cbranch_execz .LBB1070_408
; %bb.410:                              ;   in Loop: Header=BB1070_409 Depth=1
	ds_load_2addr_b32 v[22:23], v20 offset1:1
	ds_load_2addr_b32 v[26:27], v20 offset0:2 offset1:3
	s_wait_dscnt 0x1
	v_add_nc_u32_e32 v18, v23, v22
	s_wait_dscnt 0x0
	s_delay_alu instid0(VALU_DEP_1)
	v_add3_u32 v18, v18, v26, v27
	global_atomic_add_u64 v21, v[18:19], s[6:7] scale_offset scope:SCOPE_DEV
	s_branch .LBB1070_408
.LBB1070_411:
	s_mov_b32 s1, 0
.LBB1070_412:
	s_delay_alu instid0(SALU_CYCLE_1)
	s_and_b32 vcc_lo, exec_lo, s1
	s_cbranch_vccz .LBB1070_417
; %bb.413:
	v_mov_b32_e32 v18, 0
	s_mov_b32 s0, 0
.LBB1070_414:                           ; =>This Inner Loop Header: Depth=1
	v_add_nc_u32_e32 v1, 0x200, v1
	ds_store_b32 v24, v18
	v_add_nc_u32_e32 v24, 0x800, v24
	v_cmp_lt_u32_e32 vcc_lo, 0x1dff, v1
	s_or_b32 s0, vcc_lo, s0
	s_delay_alu instid0(SALU_CYCLE_1)
	s_and_not1_b32 exec_lo, exec_lo, s0
	s_cbranch_execnz .LBB1070_414
; %bb.415:
	s_or_b32 exec_lo, exec_lo, s0
	s_wait_loadcnt 0x7
	v_xor_b32_e32 v1, 0x7fffffff, v17
	v_and_b32_e32 v17, 3, v0
	s_wait_loadcnt 0x5
	v_dual_mov_b32 v19, 1 :: v_dual_bitop2_b32 v12, -1, v12 bitop3:0x14
	s_wait_storecnt 0x0
	s_wait_loadcnt_dscnt 0x0
	v_dual_lshrrev_b32 v22, 6, v1 :: v_dual_bitop2_b32 v16, -1, v16 bitop3:0x14
	v_dual_lshlrev_b32 v17, 2, v17 :: v_dual_bitop2_b32 v14, -1, v14 bitop3:0x14
	v_xor_b32_e32 v10, -1, v10
	s_delay_alu instid0(VALU_DEP_3) | instskip(SKIP_3) | instid1(VALU_DEP_1)
	v_dual_lshrrev_b32 v21, 12, v16 :: v_dual_bitop2_b32 v6, -1, v6 bitop3:0x14
	v_dual_lshlrev_b32 v18, 4, v16 :: v_dual_lshrrev_b32 v20, 4, v16
	s_barrier_signal -1
	s_barrier_wait -1
	v_and_or_b32 v18, 0xff0, v18, v17
	v_xor_b32_e32 v2, -1, v2
	v_xor_b32_e32 v8, -1, v8
	;; [unrolled: 1-line block ×3, first 2 shown]
	v_xor_b32_e32 v15, 0x7fffffff, v15
	ds_add_u32 v18, v19
	v_and_or_b32 v18, 0xff0, v20, v17
	v_and_or_b32 v20, 0xff0, v21, v17
	v_lshrrev_b32_e32 v21, 20, v16
	v_alignbit_b32 v16, v1, v16, 30
	ds_add_u32 v18, v19 offset:4096
	ds_add_u32 v20, v19 offset:8192
	v_and_b32_e32 v20, 0x3fc, v22
	v_and_or_b32 v18, 0xff0, v21, v17
	v_and_b32_e32 v16, 0x3fc, v16
	v_dual_lshrrev_b32 v21, 14, v1 :: v_dual_lshrrev_b32 v1, 22, v1
	v_xor_b32_e32 v13, 0x7fffffff, v13
	ds_add_u32 v18, v19 offset:12288
	v_lshl_or_b32 v16, v16, 2, v17
	v_lshl_or_b32 v18, v20, 2, v17
	v_and_b32_e32 v20, 0x3fc, v21
	v_and_b32_e32 v1, 0x3fc, v1
	v_lshlrev_b32_e32 v21, 4, v14
	ds_add_u32 v16, v19 offset:16384
	ds_add_u32 v18, v19 offset:20480
	v_xor_b32_e32 v11, 0x7fffffff, v11
	v_lshl_or_b32 v16, v20, 2, v17
	v_lshrrev_b32_e32 v20, 4, v14
	v_lshl_or_b32 v1, v1, 2, v17
	v_and_or_b32 v18, 0xff0, v21, v17
	v_lshrrev_b32_e32 v21, 12, v14
	ds_add_u32 v16, v19 offset:24576
	ds_add_u32 v1, v19 offset:28672
	ds_add_u32 v18, v19
	v_and_or_b32 v1, 0xff0, v20, v17
	v_lshrrev_b32_e32 v18, 20, v14
	v_alignbit_b32 v14, v15, v14, 30
	v_lshrrev_b32_e32 v20, 6, v15
	v_and_or_b32 v16, 0xff0, v21, v17
	ds_add_u32 v1, v19 offset:4096
	ds_add_u32 v16, v19 offset:8192
	v_and_or_b32 v1, 0xff0, v18, v17
	v_and_b32_e32 v14, 0x3fc, v14
	v_lshrrev_b32_e32 v18, 14, v15
	v_and_b32_e32 v16, 0x3fc, v20
	v_lshrrev_b32_e32 v15, 22, v15
	ds_add_u32 v1, v19 offset:12288
	v_lshl_or_b32 v1, v14, 2, v17
	v_xor_b32_e32 v9, 0x7fffffff, v9
	v_lshl_or_b32 v14, v16, 2, v17
	v_and_b32_e32 v16, 0x3fc, v18
	v_lshlrev_b32_e32 v18, 4, v12
	v_and_b32_e32 v15, 0x3fc, v15
	ds_add_u32 v1, v19 offset:16384
	ds_add_u32 v14, v19 offset:20480
	v_xor_b32_e32 v7, 0x7fffffff, v7
	v_lshl_or_b32 v1, v16, 2, v17
	v_lshrrev_b32_e32 v16, 4, v12
	v_lshl_or_b32 v14, v15, 2, v17
	v_and_or_b32 v15, 0xff0, v18, v17
	v_lshrrev_b32_e32 v18, 12, v12
	ds_add_u32 v1, v19 offset:24576
	ds_add_u32 v14, v19 offset:28672
	ds_add_u32 v15, v19
	v_and_or_b32 v1, 0xff0, v16, v17
	v_alignbit_b32 v15, v13, v12, 30
	v_and_or_b32 v14, 0xff0, v18, v17
	v_dual_lshrrev_b32 v16, 6, v13 :: v_dual_lshrrev_b32 v12, 20, v12
	ds_add_u32 v1, v19 offset:4096
	ds_add_u32 v14, v19 offset:8192
	v_and_b32_e32 v1, 0x3fc, v15
	v_and_b32_e32 v14, 0x3fc, v16
	v_and_or_b32 v12, 0xff0, v12, v17
	v_dual_lshrrev_b32 v15, 14, v13 :: v_dual_lshrrev_b32 v13, 22, v13
	s_delay_alu instid0(VALU_DEP_4) | instskip(NEXT) | instid1(VALU_DEP_4)
	v_lshl_or_b32 v1, v1, 2, v17
	v_lshl_or_b32 v14, v14, 2, v17
	ds_add_u32 v12, v19 offset:12288
	v_and_b32_e32 v12, 0x3fc, v15
	v_and_b32_e32 v13, 0x3fc, v13
	ds_add_u32 v1, v19 offset:16384
	ds_add_u32 v14, v19 offset:20480
	v_dual_lshlrev_b32 v1, 4, v10 :: v_dual_lshrrev_b32 v14, 4, v10
	v_lshl_or_b32 v12, v12, 2, v17
	v_lshl_or_b32 v13, v13, 2, v17
	v_lshrrev_b32_e32 v15, 12, v10
	s_delay_alu instid0(VALU_DEP_4)
	v_and_or_b32 v1, 0xff0, v1, v17
	ds_add_u32 v12, v19 offset:24576
	ds_add_u32 v13, v19 offset:28672
	v_and_or_b32 v12, 0xff0, v14, v17
	v_xor_b32_e32 v5, 0x7fffffff, v5
	ds_add_u32 v1, v19
	v_lshrrev_b32_e32 v1, 20, v10
	v_and_or_b32 v13, 0xff0, v15, v17
	v_alignbit_b32 v10, v11, v10, 30
	ds_add_u32 v12, v19 offset:4096
	ds_add_u32 v13, v19 offset:8192
	v_dual_lshrrev_b32 v12, 6, v11 :: v_dual_lshrrev_b32 v13, 14, v11
	v_and_or_b32 v1, 0xff0, v1, v17
	v_and_b32_e32 v10, 0x3fc, v10
	v_lshrrev_b32_e32 v11, 22, v11
	s_delay_alu instid0(VALU_DEP_4)
	v_and_b32_e32 v12, 0x3fc, v12
	v_xor_b32_e32 v3, 0x7fffffff, v3
	ds_add_u32 v1, v19 offset:12288
	v_lshl_or_b32 v1, v10, 2, v17
	v_and_b32_e32 v10, 0x3fc, v13
	v_lshlrev_b32_e32 v13, 4, v8
	v_and_b32_e32 v11, 0x3fc, v11
	v_lshl_or_b32 v12, v12, 2, v17
	ds_add_u32 v1, v19 offset:16384
	v_lshl_or_b32 v1, v10, 2, v17
	s_mov_b32 s0, exec_lo
	v_lshl_or_b32 v10, v11, 2, v17
	ds_add_u32 v12, v19 offset:20480
	v_lshrrev_b32_e32 v12, 4, v8
	v_and_or_b32 v11, 0xff0, v13, v17
	ds_add_u32 v1, v19 offset:24576
	ds_add_u32 v10, v19 offset:28672
	v_lshrrev_b32_e32 v1, 12, v8
	v_and_or_b32 v10, 0xff0, v12, v17
	ds_add_u32 v11, v19
	v_alignbit_b32 v11, v9, v8, 30
	v_dual_lshrrev_b32 v12, 6, v9 :: v_dual_lshrrev_b32 v8, 20, v8
	v_and_or_b32 v1, 0xff0, v1, v17
	ds_add_u32 v10, v19 offset:4096
	v_and_b32_e32 v10, 0x3fc, v11
	v_and_b32_e32 v11, 0x3fc, v12
	ds_add_u32 v1, v19 offset:8192
	v_and_or_b32 v1, 0xff0, v8, v17
	v_dual_lshrrev_b32 v8, 14, v9 :: v_dual_lshrrev_b32 v9, 22, v9
	v_lshl_or_b32 v10, v10, 2, v17
	v_lshl_or_b32 v11, v11, 2, v17
	ds_add_u32 v1, v19 offset:12288
	v_and_b32_e32 v1, 0x3fc, v8
	v_and_b32_e32 v8, 0x3fc, v9
	v_lshlrev_b32_e32 v9, 4, v6
	ds_add_u32 v10, v19 offset:16384
	ds_add_u32 v11, v19 offset:20480
	v_lshrrev_b32_e32 v10, 4, v6
	v_lshl_or_b32 v1, v1, 2, v17
	v_lshrrev_b32_e32 v11, 12, v6
	v_lshl_or_b32 v8, v8, 2, v17
	v_and_or_b32 v9, 0xff0, v9, v17
	ds_add_u32 v1, v19 offset:24576
	v_and_or_b32 v1, 0xff0, v10, v17
	ds_add_u32 v8, v19 offset:28672
	ds_add_u32 v9, v19
	v_lshrrev_b32_e32 v8, 20, v6
	v_and_or_b32 v10, 0xff0, v11, v17
	ds_add_u32 v1, v19 offset:4096
	ds_add_u32 v10, v19 offset:8192
	v_alignbit_b32 v1, v7, v6, 30
	v_dual_lshrrev_b32 v6, 6, v7 :: v_dual_lshrrev_b32 v9, 14, v7
	v_and_or_b32 v8, 0xff0, v8, v17
	v_lshrrev_b32_e32 v7, 22, v7
	s_delay_alu instid0(VALU_DEP_4) | instskip(NEXT) | instid1(VALU_DEP_4)
	v_and_b32_e32 v1, 0x3fc, v1
	v_and_b32_e32 v6, 0x3fc, v6
	ds_add_u32 v8, v19 offset:12288
	v_and_b32_e32 v8, 0x3fc, v9
	v_lshl_or_b32 v1, v1, 2, v17
	v_lshlrev_b32_e32 v9, 4, v4
	v_and_b32_e32 v7, 0x3fc, v7
	v_lshl_or_b32 v6, v6, 2, v17
	v_lshl_or_b32 v8, v8, 2, v17
	ds_add_u32 v1, v19 offset:16384
	ds_add_u32 v6, v19 offset:20480
	v_lshl_or_b32 v7, v7, 2, v17
	v_and_or_b32 v1, 0xff0, v9, v17
	ds_add_u32 v8, v19 offset:24576
	ds_add_u32 v7, v19 offset:28672
	v_dual_lshrrev_b32 v6, 4, v4 :: v_dual_lshrrev_b32 v7, 12, v4
	ds_add_u32 v1, v19
	v_alignbit_b32 v1, v5, v4, 30
	v_dual_lshrrev_b32 v8, 6, v5 :: v_dual_lshrrev_b32 v4, 20, v4
	v_and_or_b32 v6, 0xff0, v6, v17
	v_and_or_b32 v7, 0xff0, v7, v17
	s_delay_alu instid0(VALU_DEP_4) | instskip(NEXT) | instid1(VALU_DEP_4)
	v_and_b32_e32 v1, 0x3fc, v1
	v_and_b32_e32 v8, 0x3fc, v8
	ds_add_u32 v6, v19 offset:4096
	ds_add_u32 v7, v19 offset:8192
	v_and_or_b32 v4, 0xff0, v4, v17
	v_dual_lshrrev_b32 v7, 14, v5 :: v_dual_lshrrev_b32 v5, 22, v5
	v_lshl_or_b32 v1, v1, 2, v17
	v_lshl_or_b32 v6, v8, 2, v17
	ds_add_u32 v4, v19 offset:12288
	ds_add_u32 v1, v19 offset:16384
	ds_add_u32 v6, v19 offset:20480
	v_and_b32_e32 v1, 0x3fc, v7
	v_and_b32_e32 v4, 0x3fc, v5
	v_dual_lshlrev_b32 v5, 4, v2 :: v_dual_lshrrev_b32 v6, 4, v2
	v_lshrrev_b32_e32 v7, 12, v2
	s_delay_alu instid0(VALU_DEP_4) | instskip(NEXT) | instid1(VALU_DEP_4)
	v_lshl_or_b32 v1, v1, 2, v17
	v_lshl_or_b32 v4, v4, 2, v17
	s_delay_alu instid0(VALU_DEP_4)
	v_and_or_b32 v5, 0xff0, v5, v17
	v_and_or_b32 v6, 0xff0, v6, v17
	;; [unrolled: 1-line block ×3, first 2 shown]
	ds_add_u32 v1, v19 offset:24576
	ds_add_u32 v4, v19 offset:28672
	ds_add_u32 v5, v19
	ds_add_u32 v6, v19 offset:4096
	ds_add_u32 v7, v19 offset:8192
	v_alignbit_b32 v1, v3, v2, 30
	v_dual_lshrrev_b32 v4, 6, v3 :: v_dual_lshrrev_b32 v5, 14, v3
	v_dual_lshrrev_b32 v3, 22, v3 :: v_dual_lshrrev_b32 v2, 20, v2
	s_delay_alu instid0(VALU_DEP_3) | instskip(NEXT) | instid1(VALU_DEP_3)
	v_and_b32_e32 v1, 0x3fc, v1
	v_and_b32_e32 v4, 0x3fc, v4
	s_delay_alu instid0(VALU_DEP_4) | instskip(NEXT) | instid1(VALU_DEP_4)
	v_and_b32_e32 v5, 0x3fc, v5
	v_and_b32_e32 v3, 0x3fc, v3
	v_and_or_b32 v2, 0xff0, v2, v17
	v_lshl_or_b32 v1, v1, 2, v17
	v_lshl_or_b32 v4, v4, 2, v17
	v_lshl_or_b32 v5, v5, 2, v17
	v_lshl_or_b32 v3, v3, 2, v17
	ds_add_u32 v2, v19 offset:12288
	ds_add_u32 v1, v19 offset:16384
	;; [unrolled: 1-line block ×5, first 2 shown]
	s_wait_dscnt 0x0
	s_barrier_signal -1
	s_barrier_wait -1
	v_cmpx_gt_u32_e32 0x100, v0
	s_cbranch_execz .LBB1070_417
; %bb.416:
	v_lshlrev_b32_e32 v1, 4, v0
	ds_load_2addr_b32 v[2:3], v1 offset1:1
	ds_load_2addr_b32 v[4:5], v1 offset0:2 offset1:3
	s_wait_dscnt 0x1
	v_dual_mov_b32 v3, 0 :: v_dual_add_nc_u32 v2, v3, v2
	v_add_nc_u32_e32 v6, 0x1008, v1
	s_wait_dscnt 0x0
	s_delay_alu instid0(VALU_DEP_2)
	v_add3_u32 v2, v2, v4, v5
	v_add_nc_u32_e32 v4, 0x1000, v1
	global_atomic_add_u64 v0, v[2:3], s[6:7] scale_offset scope:SCOPE_DEV
	ds_load_2addr_b32 v[4:5], v4 offset1:1
	ds_load_2addr_b32 v[6:7], v6 offset1:1
	s_wait_dscnt 0x1
	s_wait_xcnt 0x0
	v_add_nc_u32_e32 v2, v5, v4
	v_or_b32_e32 v4, 0x2000, v1
	s_wait_dscnt 0x0
	s_delay_alu instid0(VALU_DEP_2)
	v_add3_u32 v2, v2, v6, v7
	v_or_b32_e32 v6, 0x2008, v1
	global_atomic_add_u64 v0, v[2:3], s[6:7] offset:2048 scale_offset scope:SCOPE_DEV
	ds_load_2addr_b32 v[4:5], v4 offset1:1
	ds_load_2addr_b32 v[6:7], v6 offset1:1
	s_wait_dscnt 0x1
	s_wait_xcnt 0x0
	v_add_nc_u32_e32 v2, v5, v4
	v_add_nc_u32_e32 v4, 0x3000, v1
	s_wait_dscnt 0x0
	s_delay_alu instid0(VALU_DEP_2)
	v_add3_u32 v2, v2, v6, v7
	v_add_nc_u32_e32 v6, 0x3008, v1
	global_atomic_add_u64 v0, v[2:3], s[6:7] offset:4096 scale_offset scope:SCOPE_DEV
	ds_load_2addr_b32 v[4:5], v4 offset1:1
	ds_load_2addr_b32 v[6:7], v6 offset1:1
	s_wait_dscnt 0x1
	s_wait_xcnt 0x0
	v_add_nc_u32_e32 v2, v5, v4
	v_or_b32_e32 v4, 0x4000, v1
	s_wait_dscnt 0x0
	s_delay_alu instid0(VALU_DEP_2)
	v_add3_u32 v2, v2, v6, v7
	v_or_b32_e32 v6, 0x4008, v1
	global_atomic_add_u64 v0, v[2:3], s[6:7] offset:6144 scale_offset scope:SCOPE_DEV
	ds_load_2addr_b32 v[4:5], v4 offset1:1
	ds_load_2addr_b32 v[6:7], v6 offset1:1
	s_wait_dscnt 0x1
	s_wait_xcnt 0x0
	v_add_nc_u32_e32 v2, v5, v4
	v_add_nc_u32_e32 v4, 0x5000, v1
	s_wait_dscnt 0x0
	s_delay_alu instid0(VALU_DEP_2)
	v_add3_u32 v2, v2, v6, v7
	v_add_nc_u32_e32 v6, 0x5008, v1
	global_atomic_add_u64 v0, v[2:3], s[6:7] offset:8192 scale_offset scope:SCOPE_DEV
	ds_load_2addr_b32 v[4:5], v4 offset1:1
	ds_load_2addr_b32 v[6:7], v6 offset1:1
	s_wait_dscnt 0x1
	s_wait_xcnt 0x0
	v_add_nc_u32_e32 v2, v5, v4
	v_or_b32_e32 v4, 0x6000, v1
	s_wait_dscnt 0x0
	s_delay_alu instid0(VALU_DEP_2)
	v_add3_u32 v2, v2, v6, v7
	v_or_b32_e32 v6, 0x6008, v1
	global_atomic_add_u64 v0, v[2:3], s[6:7] offset:10240 scale_offset scope:SCOPE_DEV
	ds_load_2addr_b32 v[4:5], v4 offset1:1
	ds_load_2addr_b32 v[6:7], v6 offset1:1
	s_wait_dscnt 0x1
	s_wait_xcnt 0x0
	v_add_nc_u32_e32 v2, v5, v4
	v_add_nc_u32_e32 v4, 0x7000, v1
	;; [unrolled: 1-line block ×3, first 2 shown]
	s_wait_dscnt 0x0
	s_delay_alu instid0(VALU_DEP_3)
	v_add3_u32 v2, v2, v6, v7
	global_atomic_add_u64 v0, v[2:3], s[6:7] offset:12288 scale_offset scope:SCOPE_DEV
	ds_load_2addr_b32 v[4:5], v4 offset1:1
	ds_load_2addr_b32 v[6:7], v1 offset1:1
	s_wait_dscnt 0x1
	v_add_nc_u32_e32 v1, v5, v4
	s_wait_dscnt 0x0
	s_wait_xcnt 0x0
	s_delay_alu instid0(VALU_DEP_1)
	v_add3_u32 v2, v1, v6, v7
	global_atomic_add_u64 v0, v[2:3], s[6:7] offset:14336 scale_offset scope:SCOPE_DEV
.LBB1070_417:
	s_endpgm
	.section	.rodata,"a",@progbits
	.p2align	6, 0x0
	.amdhsa_kernel _ZN7rocprim17ROCPRIM_400000_NS6detail17trampoline_kernelINS0_14default_configENS1_35radix_sort_onesweep_config_selectorIlNS0_10empty_typeEEEZNS1_34radix_sort_onesweep_global_offsetsIS3_Lb1EPKlPS5_mNS0_19identity_decomposerEEE10hipError_tT1_T2_PT3_SF_jT4_jjP12ihipStream_tbEUlT_E_NS1_11comp_targetILNS1_3genE0ELNS1_11target_archE4294967295ELNS1_3gpuE0ELNS1_3repE0EEENS1_52radix_sort_onesweep_histogram_config_static_selectorELNS0_4arch9wavefront6targetE0EEEvSD_
		.amdhsa_group_segment_fixed_size 32768
		.amdhsa_private_segment_fixed_size 0
		.amdhsa_kernarg_size 48
		.amdhsa_user_sgpr_count 2
		.amdhsa_user_sgpr_dispatch_ptr 0
		.amdhsa_user_sgpr_queue_ptr 0
		.amdhsa_user_sgpr_kernarg_segment_ptr 1
		.amdhsa_user_sgpr_dispatch_id 0
		.amdhsa_user_sgpr_kernarg_preload_length 0
		.amdhsa_user_sgpr_kernarg_preload_offset 0
		.amdhsa_user_sgpr_private_segment_size 0
		.amdhsa_wavefront_size32 1
		.amdhsa_uses_dynamic_stack 0
		.amdhsa_enable_private_segment 0
		.amdhsa_system_sgpr_workgroup_id_x 1
		.amdhsa_system_sgpr_workgroup_id_y 0
		.amdhsa_system_sgpr_workgroup_id_z 0
		.amdhsa_system_sgpr_workgroup_info 0
		.amdhsa_system_vgpr_workitem_id 0
		.amdhsa_next_free_vgpr 30
		.amdhsa_next_free_sgpr 13
		.amdhsa_named_barrier_count 0
		.amdhsa_reserve_vcc 1
		.amdhsa_float_round_mode_32 0
		.amdhsa_float_round_mode_16_64 0
		.amdhsa_float_denorm_mode_32 3
		.amdhsa_float_denorm_mode_16_64 3
		.amdhsa_fp16_overflow 0
		.amdhsa_memory_ordered 1
		.amdhsa_forward_progress 1
		.amdhsa_inst_pref_size 135
		.amdhsa_round_robin_scheduling 0
		.amdhsa_exception_fp_ieee_invalid_op 0
		.amdhsa_exception_fp_denorm_src 0
		.amdhsa_exception_fp_ieee_div_zero 0
		.amdhsa_exception_fp_ieee_overflow 0
		.amdhsa_exception_fp_ieee_underflow 0
		.amdhsa_exception_fp_ieee_inexact 0
		.amdhsa_exception_int_div_zero 0
	.end_amdhsa_kernel
	.section	.text._ZN7rocprim17ROCPRIM_400000_NS6detail17trampoline_kernelINS0_14default_configENS1_35radix_sort_onesweep_config_selectorIlNS0_10empty_typeEEEZNS1_34radix_sort_onesweep_global_offsetsIS3_Lb1EPKlPS5_mNS0_19identity_decomposerEEE10hipError_tT1_T2_PT3_SF_jT4_jjP12ihipStream_tbEUlT_E_NS1_11comp_targetILNS1_3genE0ELNS1_11target_archE4294967295ELNS1_3gpuE0ELNS1_3repE0EEENS1_52radix_sort_onesweep_histogram_config_static_selectorELNS0_4arch9wavefront6targetE0EEEvSD_,"axG",@progbits,_ZN7rocprim17ROCPRIM_400000_NS6detail17trampoline_kernelINS0_14default_configENS1_35radix_sort_onesweep_config_selectorIlNS0_10empty_typeEEEZNS1_34radix_sort_onesweep_global_offsetsIS3_Lb1EPKlPS5_mNS0_19identity_decomposerEEE10hipError_tT1_T2_PT3_SF_jT4_jjP12ihipStream_tbEUlT_E_NS1_11comp_targetILNS1_3genE0ELNS1_11target_archE4294967295ELNS1_3gpuE0ELNS1_3repE0EEENS1_52radix_sort_onesweep_histogram_config_static_selectorELNS0_4arch9wavefront6targetE0EEEvSD_,comdat
.Lfunc_end1070:
	.size	_ZN7rocprim17ROCPRIM_400000_NS6detail17trampoline_kernelINS0_14default_configENS1_35radix_sort_onesweep_config_selectorIlNS0_10empty_typeEEEZNS1_34radix_sort_onesweep_global_offsetsIS3_Lb1EPKlPS5_mNS0_19identity_decomposerEEE10hipError_tT1_T2_PT3_SF_jT4_jjP12ihipStream_tbEUlT_E_NS1_11comp_targetILNS1_3genE0ELNS1_11target_archE4294967295ELNS1_3gpuE0ELNS1_3repE0EEENS1_52radix_sort_onesweep_histogram_config_static_selectorELNS0_4arch9wavefront6targetE0EEEvSD_, .Lfunc_end1070-_ZN7rocprim17ROCPRIM_400000_NS6detail17trampoline_kernelINS0_14default_configENS1_35radix_sort_onesweep_config_selectorIlNS0_10empty_typeEEEZNS1_34radix_sort_onesweep_global_offsetsIS3_Lb1EPKlPS5_mNS0_19identity_decomposerEEE10hipError_tT1_T2_PT3_SF_jT4_jjP12ihipStream_tbEUlT_E_NS1_11comp_targetILNS1_3genE0ELNS1_11target_archE4294967295ELNS1_3gpuE0ELNS1_3repE0EEENS1_52radix_sort_onesweep_histogram_config_static_selectorELNS0_4arch9wavefront6targetE0EEEvSD_
                                        ; -- End function
	.set _ZN7rocprim17ROCPRIM_400000_NS6detail17trampoline_kernelINS0_14default_configENS1_35radix_sort_onesweep_config_selectorIlNS0_10empty_typeEEEZNS1_34radix_sort_onesweep_global_offsetsIS3_Lb1EPKlPS5_mNS0_19identity_decomposerEEE10hipError_tT1_T2_PT3_SF_jT4_jjP12ihipStream_tbEUlT_E_NS1_11comp_targetILNS1_3genE0ELNS1_11target_archE4294967295ELNS1_3gpuE0ELNS1_3repE0EEENS1_52radix_sort_onesweep_histogram_config_static_selectorELNS0_4arch9wavefront6targetE0EEEvSD_.num_vgpr, 30
	.set _ZN7rocprim17ROCPRIM_400000_NS6detail17trampoline_kernelINS0_14default_configENS1_35radix_sort_onesweep_config_selectorIlNS0_10empty_typeEEEZNS1_34radix_sort_onesweep_global_offsetsIS3_Lb1EPKlPS5_mNS0_19identity_decomposerEEE10hipError_tT1_T2_PT3_SF_jT4_jjP12ihipStream_tbEUlT_E_NS1_11comp_targetILNS1_3genE0ELNS1_11target_archE4294967295ELNS1_3gpuE0ELNS1_3repE0EEENS1_52radix_sort_onesweep_histogram_config_static_selectorELNS0_4arch9wavefront6targetE0EEEvSD_.num_agpr, 0
	.set _ZN7rocprim17ROCPRIM_400000_NS6detail17trampoline_kernelINS0_14default_configENS1_35radix_sort_onesweep_config_selectorIlNS0_10empty_typeEEEZNS1_34radix_sort_onesweep_global_offsetsIS3_Lb1EPKlPS5_mNS0_19identity_decomposerEEE10hipError_tT1_T2_PT3_SF_jT4_jjP12ihipStream_tbEUlT_E_NS1_11comp_targetILNS1_3genE0ELNS1_11target_archE4294967295ELNS1_3gpuE0ELNS1_3repE0EEENS1_52radix_sort_onesweep_histogram_config_static_selectorELNS0_4arch9wavefront6targetE0EEEvSD_.numbered_sgpr, 13
	.set _ZN7rocprim17ROCPRIM_400000_NS6detail17trampoline_kernelINS0_14default_configENS1_35radix_sort_onesweep_config_selectorIlNS0_10empty_typeEEEZNS1_34radix_sort_onesweep_global_offsetsIS3_Lb1EPKlPS5_mNS0_19identity_decomposerEEE10hipError_tT1_T2_PT3_SF_jT4_jjP12ihipStream_tbEUlT_E_NS1_11comp_targetILNS1_3genE0ELNS1_11target_archE4294967295ELNS1_3gpuE0ELNS1_3repE0EEENS1_52radix_sort_onesweep_histogram_config_static_selectorELNS0_4arch9wavefront6targetE0EEEvSD_.num_named_barrier, 0
	.set _ZN7rocprim17ROCPRIM_400000_NS6detail17trampoline_kernelINS0_14default_configENS1_35radix_sort_onesweep_config_selectorIlNS0_10empty_typeEEEZNS1_34radix_sort_onesweep_global_offsetsIS3_Lb1EPKlPS5_mNS0_19identity_decomposerEEE10hipError_tT1_T2_PT3_SF_jT4_jjP12ihipStream_tbEUlT_E_NS1_11comp_targetILNS1_3genE0ELNS1_11target_archE4294967295ELNS1_3gpuE0ELNS1_3repE0EEENS1_52radix_sort_onesweep_histogram_config_static_selectorELNS0_4arch9wavefront6targetE0EEEvSD_.private_seg_size, 0
	.set _ZN7rocprim17ROCPRIM_400000_NS6detail17trampoline_kernelINS0_14default_configENS1_35radix_sort_onesweep_config_selectorIlNS0_10empty_typeEEEZNS1_34radix_sort_onesweep_global_offsetsIS3_Lb1EPKlPS5_mNS0_19identity_decomposerEEE10hipError_tT1_T2_PT3_SF_jT4_jjP12ihipStream_tbEUlT_E_NS1_11comp_targetILNS1_3genE0ELNS1_11target_archE4294967295ELNS1_3gpuE0ELNS1_3repE0EEENS1_52radix_sort_onesweep_histogram_config_static_selectorELNS0_4arch9wavefront6targetE0EEEvSD_.uses_vcc, 1
	.set _ZN7rocprim17ROCPRIM_400000_NS6detail17trampoline_kernelINS0_14default_configENS1_35radix_sort_onesweep_config_selectorIlNS0_10empty_typeEEEZNS1_34radix_sort_onesweep_global_offsetsIS3_Lb1EPKlPS5_mNS0_19identity_decomposerEEE10hipError_tT1_T2_PT3_SF_jT4_jjP12ihipStream_tbEUlT_E_NS1_11comp_targetILNS1_3genE0ELNS1_11target_archE4294967295ELNS1_3gpuE0ELNS1_3repE0EEENS1_52radix_sort_onesweep_histogram_config_static_selectorELNS0_4arch9wavefront6targetE0EEEvSD_.uses_flat_scratch, 0
	.set _ZN7rocprim17ROCPRIM_400000_NS6detail17trampoline_kernelINS0_14default_configENS1_35radix_sort_onesweep_config_selectorIlNS0_10empty_typeEEEZNS1_34radix_sort_onesweep_global_offsetsIS3_Lb1EPKlPS5_mNS0_19identity_decomposerEEE10hipError_tT1_T2_PT3_SF_jT4_jjP12ihipStream_tbEUlT_E_NS1_11comp_targetILNS1_3genE0ELNS1_11target_archE4294967295ELNS1_3gpuE0ELNS1_3repE0EEENS1_52radix_sort_onesweep_histogram_config_static_selectorELNS0_4arch9wavefront6targetE0EEEvSD_.has_dyn_sized_stack, 0
	.set _ZN7rocprim17ROCPRIM_400000_NS6detail17trampoline_kernelINS0_14default_configENS1_35radix_sort_onesweep_config_selectorIlNS0_10empty_typeEEEZNS1_34radix_sort_onesweep_global_offsetsIS3_Lb1EPKlPS5_mNS0_19identity_decomposerEEE10hipError_tT1_T2_PT3_SF_jT4_jjP12ihipStream_tbEUlT_E_NS1_11comp_targetILNS1_3genE0ELNS1_11target_archE4294967295ELNS1_3gpuE0ELNS1_3repE0EEENS1_52radix_sort_onesweep_histogram_config_static_selectorELNS0_4arch9wavefront6targetE0EEEvSD_.has_recursion, 0
	.set _ZN7rocprim17ROCPRIM_400000_NS6detail17trampoline_kernelINS0_14default_configENS1_35radix_sort_onesweep_config_selectorIlNS0_10empty_typeEEEZNS1_34radix_sort_onesweep_global_offsetsIS3_Lb1EPKlPS5_mNS0_19identity_decomposerEEE10hipError_tT1_T2_PT3_SF_jT4_jjP12ihipStream_tbEUlT_E_NS1_11comp_targetILNS1_3genE0ELNS1_11target_archE4294967295ELNS1_3gpuE0ELNS1_3repE0EEENS1_52radix_sort_onesweep_histogram_config_static_selectorELNS0_4arch9wavefront6targetE0EEEvSD_.has_indirect_call, 0
	.section	.AMDGPU.csdata,"",@progbits
; Kernel info:
; codeLenInByte = 17236
; TotalNumSgprs: 15
; NumVgprs: 30
; ScratchSize: 0
; MemoryBound: 0
; FloatMode: 240
; IeeeMode: 1
; LDSByteSize: 32768 bytes/workgroup (compile time only)
; SGPRBlocks: 0
; VGPRBlocks: 1
; NumSGPRsForWavesPerEU: 15
; NumVGPRsForWavesPerEU: 30
; NamedBarCnt: 0
; Occupancy: 16
; WaveLimiterHint : 1
; COMPUTE_PGM_RSRC2:SCRATCH_EN: 0
; COMPUTE_PGM_RSRC2:USER_SGPR: 2
; COMPUTE_PGM_RSRC2:TRAP_HANDLER: 0
; COMPUTE_PGM_RSRC2:TGID_X_EN: 1
; COMPUTE_PGM_RSRC2:TGID_Y_EN: 0
; COMPUTE_PGM_RSRC2:TGID_Z_EN: 0
; COMPUTE_PGM_RSRC2:TIDIG_COMP_CNT: 0
	.section	.text._ZN7rocprim17ROCPRIM_400000_NS6detail17trampoline_kernelINS0_14default_configENS1_35radix_sort_onesweep_config_selectorIlNS0_10empty_typeEEEZNS1_34radix_sort_onesweep_global_offsetsIS3_Lb1EPKlPS5_mNS0_19identity_decomposerEEE10hipError_tT1_T2_PT3_SF_jT4_jjP12ihipStream_tbEUlT_E_NS1_11comp_targetILNS1_3genE6ELNS1_11target_archE950ELNS1_3gpuE13ELNS1_3repE0EEENS1_52radix_sort_onesweep_histogram_config_static_selectorELNS0_4arch9wavefront6targetE0EEEvSD_,"axG",@progbits,_ZN7rocprim17ROCPRIM_400000_NS6detail17trampoline_kernelINS0_14default_configENS1_35radix_sort_onesweep_config_selectorIlNS0_10empty_typeEEEZNS1_34radix_sort_onesweep_global_offsetsIS3_Lb1EPKlPS5_mNS0_19identity_decomposerEEE10hipError_tT1_T2_PT3_SF_jT4_jjP12ihipStream_tbEUlT_E_NS1_11comp_targetILNS1_3genE6ELNS1_11target_archE950ELNS1_3gpuE13ELNS1_3repE0EEENS1_52radix_sort_onesweep_histogram_config_static_selectorELNS0_4arch9wavefront6targetE0EEEvSD_,comdat
	.protected	_ZN7rocprim17ROCPRIM_400000_NS6detail17trampoline_kernelINS0_14default_configENS1_35radix_sort_onesweep_config_selectorIlNS0_10empty_typeEEEZNS1_34radix_sort_onesweep_global_offsetsIS3_Lb1EPKlPS5_mNS0_19identity_decomposerEEE10hipError_tT1_T2_PT3_SF_jT4_jjP12ihipStream_tbEUlT_E_NS1_11comp_targetILNS1_3genE6ELNS1_11target_archE950ELNS1_3gpuE13ELNS1_3repE0EEENS1_52radix_sort_onesweep_histogram_config_static_selectorELNS0_4arch9wavefront6targetE0EEEvSD_ ; -- Begin function _ZN7rocprim17ROCPRIM_400000_NS6detail17trampoline_kernelINS0_14default_configENS1_35radix_sort_onesweep_config_selectorIlNS0_10empty_typeEEEZNS1_34radix_sort_onesweep_global_offsetsIS3_Lb1EPKlPS5_mNS0_19identity_decomposerEEE10hipError_tT1_T2_PT3_SF_jT4_jjP12ihipStream_tbEUlT_E_NS1_11comp_targetILNS1_3genE6ELNS1_11target_archE950ELNS1_3gpuE13ELNS1_3repE0EEENS1_52radix_sort_onesweep_histogram_config_static_selectorELNS0_4arch9wavefront6targetE0EEEvSD_
	.globl	_ZN7rocprim17ROCPRIM_400000_NS6detail17trampoline_kernelINS0_14default_configENS1_35radix_sort_onesweep_config_selectorIlNS0_10empty_typeEEEZNS1_34radix_sort_onesweep_global_offsetsIS3_Lb1EPKlPS5_mNS0_19identity_decomposerEEE10hipError_tT1_T2_PT3_SF_jT4_jjP12ihipStream_tbEUlT_E_NS1_11comp_targetILNS1_3genE6ELNS1_11target_archE950ELNS1_3gpuE13ELNS1_3repE0EEENS1_52radix_sort_onesweep_histogram_config_static_selectorELNS0_4arch9wavefront6targetE0EEEvSD_
	.p2align	8
	.type	_ZN7rocprim17ROCPRIM_400000_NS6detail17trampoline_kernelINS0_14default_configENS1_35radix_sort_onesweep_config_selectorIlNS0_10empty_typeEEEZNS1_34radix_sort_onesweep_global_offsetsIS3_Lb1EPKlPS5_mNS0_19identity_decomposerEEE10hipError_tT1_T2_PT3_SF_jT4_jjP12ihipStream_tbEUlT_E_NS1_11comp_targetILNS1_3genE6ELNS1_11target_archE950ELNS1_3gpuE13ELNS1_3repE0EEENS1_52radix_sort_onesweep_histogram_config_static_selectorELNS0_4arch9wavefront6targetE0EEEvSD_,@function
_ZN7rocprim17ROCPRIM_400000_NS6detail17trampoline_kernelINS0_14default_configENS1_35radix_sort_onesweep_config_selectorIlNS0_10empty_typeEEEZNS1_34radix_sort_onesweep_global_offsetsIS3_Lb1EPKlPS5_mNS0_19identity_decomposerEEE10hipError_tT1_T2_PT3_SF_jT4_jjP12ihipStream_tbEUlT_E_NS1_11comp_targetILNS1_3genE6ELNS1_11target_archE950ELNS1_3gpuE13ELNS1_3repE0EEENS1_52radix_sort_onesweep_histogram_config_static_selectorELNS0_4arch9wavefront6targetE0EEEvSD_: ; @_ZN7rocprim17ROCPRIM_400000_NS6detail17trampoline_kernelINS0_14default_configENS1_35radix_sort_onesweep_config_selectorIlNS0_10empty_typeEEEZNS1_34radix_sort_onesweep_global_offsetsIS3_Lb1EPKlPS5_mNS0_19identity_decomposerEEE10hipError_tT1_T2_PT3_SF_jT4_jjP12ihipStream_tbEUlT_E_NS1_11comp_targetILNS1_3genE6ELNS1_11target_archE950ELNS1_3gpuE13ELNS1_3repE0EEENS1_52radix_sort_onesweep_histogram_config_static_selectorELNS0_4arch9wavefront6targetE0EEEvSD_
; %bb.0:
	.section	.rodata,"a",@progbits
	.p2align	6, 0x0
	.amdhsa_kernel _ZN7rocprim17ROCPRIM_400000_NS6detail17trampoline_kernelINS0_14default_configENS1_35radix_sort_onesweep_config_selectorIlNS0_10empty_typeEEEZNS1_34radix_sort_onesweep_global_offsetsIS3_Lb1EPKlPS5_mNS0_19identity_decomposerEEE10hipError_tT1_T2_PT3_SF_jT4_jjP12ihipStream_tbEUlT_E_NS1_11comp_targetILNS1_3genE6ELNS1_11target_archE950ELNS1_3gpuE13ELNS1_3repE0EEENS1_52radix_sort_onesweep_histogram_config_static_selectorELNS0_4arch9wavefront6targetE0EEEvSD_
		.amdhsa_group_segment_fixed_size 0
		.amdhsa_private_segment_fixed_size 0
		.amdhsa_kernarg_size 48
		.amdhsa_user_sgpr_count 2
		.amdhsa_user_sgpr_dispatch_ptr 0
		.amdhsa_user_sgpr_queue_ptr 0
		.amdhsa_user_sgpr_kernarg_segment_ptr 1
		.amdhsa_user_sgpr_dispatch_id 0
		.amdhsa_user_sgpr_kernarg_preload_length 0
		.amdhsa_user_sgpr_kernarg_preload_offset 0
		.amdhsa_user_sgpr_private_segment_size 0
		.amdhsa_wavefront_size32 1
		.amdhsa_uses_dynamic_stack 0
		.amdhsa_enable_private_segment 0
		.amdhsa_system_sgpr_workgroup_id_x 1
		.amdhsa_system_sgpr_workgroup_id_y 0
		.amdhsa_system_sgpr_workgroup_id_z 0
		.amdhsa_system_sgpr_workgroup_info 0
		.amdhsa_system_vgpr_workitem_id 0
		.amdhsa_next_free_vgpr 1
		.amdhsa_next_free_sgpr 1
		.amdhsa_named_barrier_count 0
		.amdhsa_reserve_vcc 0
		.amdhsa_float_round_mode_32 0
		.amdhsa_float_round_mode_16_64 0
		.amdhsa_float_denorm_mode_32 3
		.amdhsa_float_denorm_mode_16_64 3
		.amdhsa_fp16_overflow 0
		.amdhsa_memory_ordered 1
		.amdhsa_forward_progress 1
		.amdhsa_inst_pref_size 0
		.amdhsa_round_robin_scheduling 0
		.amdhsa_exception_fp_ieee_invalid_op 0
		.amdhsa_exception_fp_denorm_src 0
		.amdhsa_exception_fp_ieee_div_zero 0
		.amdhsa_exception_fp_ieee_overflow 0
		.amdhsa_exception_fp_ieee_underflow 0
		.amdhsa_exception_fp_ieee_inexact 0
		.amdhsa_exception_int_div_zero 0
	.end_amdhsa_kernel
	.section	.text._ZN7rocprim17ROCPRIM_400000_NS6detail17trampoline_kernelINS0_14default_configENS1_35radix_sort_onesweep_config_selectorIlNS0_10empty_typeEEEZNS1_34radix_sort_onesweep_global_offsetsIS3_Lb1EPKlPS5_mNS0_19identity_decomposerEEE10hipError_tT1_T2_PT3_SF_jT4_jjP12ihipStream_tbEUlT_E_NS1_11comp_targetILNS1_3genE6ELNS1_11target_archE950ELNS1_3gpuE13ELNS1_3repE0EEENS1_52radix_sort_onesweep_histogram_config_static_selectorELNS0_4arch9wavefront6targetE0EEEvSD_,"axG",@progbits,_ZN7rocprim17ROCPRIM_400000_NS6detail17trampoline_kernelINS0_14default_configENS1_35radix_sort_onesweep_config_selectorIlNS0_10empty_typeEEEZNS1_34radix_sort_onesweep_global_offsetsIS3_Lb1EPKlPS5_mNS0_19identity_decomposerEEE10hipError_tT1_T2_PT3_SF_jT4_jjP12ihipStream_tbEUlT_E_NS1_11comp_targetILNS1_3genE6ELNS1_11target_archE950ELNS1_3gpuE13ELNS1_3repE0EEENS1_52radix_sort_onesweep_histogram_config_static_selectorELNS0_4arch9wavefront6targetE0EEEvSD_,comdat
.Lfunc_end1071:
	.size	_ZN7rocprim17ROCPRIM_400000_NS6detail17trampoline_kernelINS0_14default_configENS1_35radix_sort_onesweep_config_selectorIlNS0_10empty_typeEEEZNS1_34radix_sort_onesweep_global_offsetsIS3_Lb1EPKlPS5_mNS0_19identity_decomposerEEE10hipError_tT1_T2_PT3_SF_jT4_jjP12ihipStream_tbEUlT_E_NS1_11comp_targetILNS1_3genE6ELNS1_11target_archE950ELNS1_3gpuE13ELNS1_3repE0EEENS1_52radix_sort_onesweep_histogram_config_static_selectorELNS0_4arch9wavefront6targetE0EEEvSD_, .Lfunc_end1071-_ZN7rocprim17ROCPRIM_400000_NS6detail17trampoline_kernelINS0_14default_configENS1_35radix_sort_onesweep_config_selectorIlNS0_10empty_typeEEEZNS1_34radix_sort_onesweep_global_offsetsIS3_Lb1EPKlPS5_mNS0_19identity_decomposerEEE10hipError_tT1_T2_PT3_SF_jT4_jjP12ihipStream_tbEUlT_E_NS1_11comp_targetILNS1_3genE6ELNS1_11target_archE950ELNS1_3gpuE13ELNS1_3repE0EEENS1_52radix_sort_onesweep_histogram_config_static_selectorELNS0_4arch9wavefront6targetE0EEEvSD_
                                        ; -- End function
	.set _ZN7rocprim17ROCPRIM_400000_NS6detail17trampoline_kernelINS0_14default_configENS1_35radix_sort_onesweep_config_selectorIlNS0_10empty_typeEEEZNS1_34radix_sort_onesweep_global_offsetsIS3_Lb1EPKlPS5_mNS0_19identity_decomposerEEE10hipError_tT1_T2_PT3_SF_jT4_jjP12ihipStream_tbEUlT_E_NS1_11comp_targetILNS1_3genE6ELNS1_11target_archE950ELNS1_3gpuE13ELNS1_3repE0EEENS1_52radix_sort_onesweep_histogram_config_static_selectorELNS0_4arch9wavefront6targetE0EEEvSD_.num_vgpr, 0
	.set _ZN7rocprim17ROCPRIM_400000_NS6detail17trampoline_kernelINS0_14default_configENS1_35radix_sort_onesweep_config_selectorIlNS0_10empty_typeEEEZNS1_34radix_sort_onesweep_global_offsetsIS3_Lb1EPKlPS5_mNS0_19identity_decomposerEEE10hipError_tT1_T2_PT3_SF_jT4_jjP12ihipStream_tbEUlT_E_NS1_11comp_targetILNS1_3genE6ELNS1_11target_archE950ELNS1_3gpuE13ELNS1_3repE0EEENS1_52radix_sort_onesweep_histogram_config_static_selectorELNS0_4arch9wavefront6targetE0EEEvSD_.num_agpr, 0
	.set _ZN7rocprim17ROCPRIM_400000_NS6detail17trampoline_kernelINS0_14default_configENS1_35radix_sort_onesweep_config_selectorIlNS0_10empty_typeEEEZNS1_34radix_sort_onesweep_global_offsetsIS3_Lb1EPKlPS5_mNS0_19identity_decomposerEEE10hipError_tT1_T2_PT3_SF_jT4_jjP12ihipStream_tbEUlT_E_NS1_11comp_targetILNS1_3genE6ELNS1_11target_archE950ELNS1_3gpuE13ELNS1_3repE0EEENS1_52radix_sort_onesweep_histogram_config_static_selectorELNS0_4arch9wavefront6targetE0EEEvSD_.numbered_sgpr, 0
	.set _ZN7rocprim17ROCPRIM_400000_NS6detail17trampoline_kernelINS0_14default_configENS1_35radix_sort_onesweep_config_selectorIlNS0_10empty_typeEEEZNS1_34radix_sort_onesweep_global_offsetsIS3_Lb1EPKlPS5_mNS0_19identity_decomposerEEE10hipError_tT1_T2_PT3_SF_jT4_jjP12ihipStream_tbEUlT_E_NS1_11comp_targetILNS1_3genE6ELNS1_11target_archE950ELNS1_3gpuE13ELNS1_3repE0EEENS1_52radix_sort_onesweep_histogram_config_static_selectorELNS0_4arch9wavefront6targetE0EEEvSD_.num_named_barrier, 0
	.set _ZN7rocprim17ROCPRIM_400000_NS6detail17trampoline_kernelINS0_14default_configENS1_35radix_sort_onesweep_config_selectorIlNS0_10empty_typeEEEZNS1_34radix_sort_onesweep_global_offsetsIS3_Lb1EPKlPS5_mNS0_19identity_decomposerEEE10hipError_tT1_T2_PT3_SF_jT4_jjP12ihipStream_tbEUlT_E_NS1_11comp_targetILNS1_3genE6ELNS1_11target_archE950ELNS1_3gpuE13ELNS1_3repE0EEENS1_52radix_sort_onesweep_histogram_config_static_selectorELNS0_4arch9wavefront6targetE0EEEvSD_.private_seg_size, 0
	.set _ZN7rocprim17ROCPRIM_400000_NS6detail17trampoline_kernelINS0_14default_configENS1_35radix_sort_onesweep_config_selectorIlNS0_10empty_typeEEEZNS1_34radix_sort_onesweep_global_offsetsIS3_Lb1EPKlPS5_mNS0_19identity_decomposerEEE10hipError_tT1_T2_PT3_SF_jT4_jjP12ihipStream_tbEUlT_E_NS1_11comp_targetILNS1_3genE6ELNS1_11target_archE950ELNS1_3gpuE13ELNS1_3repE0EEENS1_52radix_sort_onesweep_histogram_config_static_selectorELNS0_4arch9wavefront6targetE0EEEvSD_.uses_vcc, 0
	.set _ZN7rocprim17ROCPRIM_400000_NS6detail17trampoline_kernelINS0_14default_configENS1_35radix_sort_onesweep_config_selectorIlNS0_10empty_typeEEEZNS1_34radix_sort_onesweep_global_offsetsIS3_Lb1EPKlPS5_mNS0_19identity_decomposerEEE10hipError_tT1_T2_PT3_SF_jT4_jjP12ihipStream_tbEUlT_E_NS1_11comp_targetILNS1_3genE6ELNS1_11target_archE950ELNS1_3gpuE13ELNS1_3repE0EEENS1_52radix_sort_onesweep_histogram_config_static_selectorELNS0_4arch9wavefront6targetE0EEEvSD_.uses_flat_scratch, 0
	.set _ZN7rocprim17ROCPRIM_400000_NS6detail17trampoline_kernelINS0_14default_configENS1_35radix_sort_onesweep_config_selectorIlNS0_10empty_typeEEEZNS1_34radix_sort_onesweep_global_offsetsIS3_Lb1EPKlPS5_mNS0_19identity_decomposerEEE10hipError_tT1_T2_PT3_SF_jT4_jjP12ihipStream_tbEUlT_E_NS1_11comp_targetILNS1_3genE6ELNS1_11target_archE950ELNS1_3gpuE13ELNS1_3repE0EEENS1_52radix_sort_onesweep_histogram_config_static_selectorELNS0_4arch9wavefront6targetE0EEEvSD_.has_dyn_sized_stack, 0
	.set _ZN7rocprim17ROCPRIM_400000_NS6detail17trampoline_kernelINS0_14default_configENS1_35radix_sort_onesweep_config_selectorIlNS0_10empty_typeEEEZNS1_34radix_sort_onesweep_global_offsetsIS3_Lb1EPKlPS5_mNS0_19identity_decomposerEEE10hipError_tT1_T2_PT3_SF_jT4_jjP12ihipStream_tbEUlT_E_NS1_11comp_targetILNS1_3genE6ELNS1_11target_archE950ELNS1_3gpuE13ELNS1_3repE0EEENS1_52radix_sort_onesweep_histogram_config_static_selectorELNS0_4arch9wavefront6targetE0EEEvSD_.has_recursion, 0
	.set _ZN7rocprim17ROCPRIM_400000_NS6detail17trampoline_kernelINS0_14default_configENS1_35radix_sort_onesweep_config_selectorIlNS0_10empty_typeEEEZNS1_34radix_sort_onesweep_global_offsetsIS3_Lb1EPKlPS5_mNS0_19identity_decomposerEEE10hipError_tT1_T2_PT3_SF_jT4_jjP12ihipStream_tbEUlT_E_NS1_11comp_targetILNS1_3genE6ELNS1_11target_archE950ELNS1_3gpuE13ELNS1_3repE0EEENS1_52radix_sort_onesweep_histogram_config_static_selectorELNS0_4arch9wavefront6targetE0EEEvSD_.has_indirect_call, 0
	.section	.AMDGPU.csdata,"",@progbits
; Kernel info:
; codeLenInByte = 0
; TotalNumSgprs: 0
; NumVgprs: 0
; ScratchSize: 0
; MemoryBound: 0
; FloatMode: 240
; IeeeMode: 1
; LDSByteSize: 0 bytes/workgroup (compile time only)
; SGPRBlocks: 0
; VGPRBlocks: 0
; NumSGPRsForWavesPerEU: 1
; NumVGPRsForWavesPerEU: 1
; NamedBarCnt: 0
; Occupancy: 16
; WaveLimiterHint : 0
; COMPUTE_PGM_RSRC2:SCRATCH_EN: 0
; COMPUTE_PGM_RSRC2:USER_SGPR: 2
; COMPUTE_PGM_RSRC2:TRAP_HANDLER: 0
; COMPUTE_PGM_RSRC2:TGID_X_EN: 1
; COMPUTE_PGM_RSRC2:TGID_Y_EN: 0
; COMPUTE_PGM_RSRC2:TGID_Z_EN: 0
; COMPUTE_PGM_RSRC2:TIDIG_COMP_CNT: 0
	.section	.text._ZN7rocprim17ROCPRIM_400000_NS6detail17trampoline_kernelINS0_14default_configENS1_35radix_sort_onesweep_config_selectorIlNS0_10empty_typeEEEZNS1_34radix_sort_onesweep_global_offsetsIS3_Lb1EPKlPS5_mNS0_19identity_decomposerEEE10hipError_tT1_T2_PT3_SF_jT4_jjP12ihipStream_tbEUlT_E_NS1_11comp_targetILNS1_3genE5ELNS1_11target_archE942ELNS1_3gpuE9ELNS1_3repE0EEENS1_52radix_sort_onesweep_histogram_config_static_selectorELNS0_4arch9wavefront6targetE0EEEvSD_,"axG",@progbits,_ZN7rocprim17ROCPRIM_400000_NS6detail17trampoline_kernelINS0_14default_configENS1_35radix_sort_onesweep_config_selectorIlNS0_10empty_typeEEEZNS1_34radix_sort_onesweep_global_offsetsIS3_Lb1EPKlPS5_mNS0_19identity_decomposerEEE10hipError_tT1_T2_PT3_SF_jT4_jjP12ihipStream_tbEUlT_E_NS1_11comp_targetILNS1_3genE5ELNS1_11target_archE942ELNS1_3gpuE9ELNS1_3repE0EEENS1_52radix_sort_onesweep_histogram_config_static_selectorELNS0_4arch9wavefront6targetE0EEEvSD_,comdat
	.protected	_ZN7rocprim17ROCPRIM_400000_NS6detail17trampoline_kernelINS0_14default_configENS1_35radix_sort_onesweep_config_selectorIlNS0_10empty_typeEEEZNS1_34radix_sort_onesweep_global_offsetsIS3_Lb1EPKlPS5_mNS0_19identity_decomposerEEE10hipError_tT1_T2_PT3_SF_jT4_jjP12ihipStream_tbEUlT_E_NS1_11comp_targetILNS1_3genE5ELNS1_11target_archE942ELNS1_3gpuE9ELNS1_3repE0EEENS1_52radix_sort_onesweep_histogram_config_static_selectorELNS0_4arch9wavefront6targetE0EEEvSD_ ; -- Begin function _ZN7rocprim17ROCPRIM_400000_NS6detail17trampoline_kernelINS0_14default_configENS1_35radix_sort_onesweep_config_selectorIlNS0_10empty_typeEEEZNS1_34radix_sort_onesweep_global_offsetsIS3_Lb1EPKlPS5_mNS0_19identity_decomposerEEE10hipError_tT1_T2_PT3_SF_jT4_jjP12ihipStream_tbEUlT_E_NS1_11comp_targetILNS1_3genE5ELNS1_11target_archE942ELNS1_3gpuE9ELNS1_3repE0EEENS1_52radix_sort_onesweep_histogram_config_static_selectorELNS0_4arch9wavefront6targetE0EEEvSD_
	.globl	_ZN7rocprim17ROCPRIM_400000_NS6detail17trampoline_kernelINS0_14default_configENS1_35radix_sort_onesweep_config_selectorIlNS0_10empty_typeEEEZNS1_34radix_sort_onesweep_global_offsetsIS3_Lb1EPKlPS5_mNS0_19identity_decomposerEEE10hipError_tT1_T2_PT3_SF_jT4_jjP12ihipStream_tbEUlT_E_NS1_11comp_targetILNS1_3genE5ELNS1_11target_archE942ELNS1_3gpuE9ELNS1_3repE0EEENS1_52radix_sort_onesweep_histogram_config_static_selectorELNS0_4arch9wavefront6targetE0EEEvSD_
	.p2align	8
	.type	_ZN7rocprim17ROCPRIM_400000_NS6detail17trampoline_kernelINS0_14default_configENS1_35radix_sort_onesweep_config_selectorIlNS0_10empty_typeEEEZNS1_34radix_sort_onesweep_global_offsetsIS3_Lb1EPKlPS5_mNS0_19identity_decomposerEEE10hipError_tT1_T2_PT3_SF_jT4_jjP12ihipStream_tbEUlT_E_NS1_11comp_targetILNS1_3genE5ELNS1_11target_archE942ELNS1_3gpuE9ELNS1_3repE0EEENS1_52radix_sort_onesweep_histogram_config_static_selectorELNS0_4arch9wavefront6targetE0EEEvSD_,@function
_ZN7rocprim17ROCPRIM_400000_NS6detail17trampoline_kernelINS0_14default_configENS1_35radix_sort_onesweep_config_selectorIlNS0_10empty_typeEEEZNS1_34radix_sort_onesweep_global_offsetsIS3_Lb1EPKlPS5_mNS0_19identity_decomposerEEE10hipError_tT1_T2_PT3_SF_jT4_jjP12ihipStream_tbEUlT_E_NS1_11comp_targetILNS1_3genE5ELNS1_11target_archE942ELNS1_3gpuE9ELNS1_3repE0EEENS1_52radix_sort_onesweep_histogram_config_static_selectorELNS0_4arch9wavefront6targetE0EEEvSD_: ; @_ZN7rocprim17ROCPRIM_400000_NS6detail17trampoline_kernelINS0_14default_configENS1_35radix_sort_onesweep_config_selectorIlNS0_10empty_typeEEEZNS1_34radix_sort_onesweep_global_offsetsIS3_Lb1EPKlPS5_mNS0_19identity_decomposerEEE10hipError_tT1_T2_PT3_SF_jT4_jjP12ihipStream_tbEUlT_E_NS1_11comp_targetILNS1_3genE5ELNS1_11target_archE942ELNS1_3gpuE9ELNS1_3repE0EEENS1_52radix_sort_onesweep_histogram_config_static_selectorELNS0_4arch9wavefront6targetE0EEEvSD_
; %bb.0:
	.section	.rodata,"a",@progbits
	.p2align	6, 0x0
	.amdhsa_kernel _ZN7rocprim17ROCPRIM_400000_NS6detail17trampoline_kernelINS0_14default_configENS1_35radix_sort_onesweep_config_selectorIlNS0_10empty_typeEEEZNS1_34radix_sort_onesweep_global_offsetsIS3_Lb1EPKlPS5_mNS0_19identity_decomposerEEE10hipError_tT1_T2_PT3_SF_jT4_jjP12ihipStream_tbEUlT_E_NS1_11comp_targetILNS1_3genE5ELNS1_11target_archE942ELNS1_3gpuE9ELNS1_3repE0EEENS1_52radix_sort_onesweep_histogram_config_static_selectorELNS0_4arch9wavefront6targetE0EEEvSD_
		.amdhsa_group_segment_fixed_size 0
		.amdhsa_private_segment_fixed_size 0
		.amdhsa_kernarg_size 48
		.amdhsa_user_sgpr_count 2
		.amdhsa_user_sgpr_dispatch_ptr 0
		.amdhsa_user_sgpr_queue_ptr 0
		.amdhsa_user_sgpr_kernarg_segment_ptr 1
		.amdhsa_user_sgpr_dispatch_id 0
		.amdhsa_user_sgpr_kernarg_preload_length 0
		.amdhsa_user_sgpr_kernarg_preload_offset 0
		.amdhsa_user_sgpr_private_segment_size 0
		.amdhsa_wavefront_size32 1
		.amdhsa_uses_dynamic_stack 0
		.amdhsa_enable_private_segment 0
		.amdhsa_system_sgpr_workgroup_id_x 1
		.amdhsa_system_sgpr_workgroup_id_y 0
		.amdhsa_system_sgpr_workgroup_id_z 0
		.amdhsa_system_sgpr_workgroup_info 0
		.amdhsa_system_vgpr_workitem_id 0
		.amdhsa_next_free_vgpr 1
		.amdhsa_next_free_sgpr 1
		.amdhsa_named_barrier_count 0
		.amdhsa_reserve_vcc 0
		.amdhsa_float_round_mode_32 0
		.amdhsa_float_round_mode_16_64 0
		.amdhsa_float_denorm_mode_32 3
		.amdhsa_float_denorm_mode_16_64 3
		.amdhsa_fp16_overflow 0
		.amdhsa_memory_ordered 1
		.amdhsa_forward_progress 1
		.amdhsa_inst_pref_size 0
		.amdhsa_round_robin_scheduling 0
		.amdhsa_exception_fp_ieee_invalid_op 0
		.amdhsa_exception_fp_denorm_src 0
		.amdhsa_exception_fp_ieee_div_zero 0
		.amdhsa_exception_fp_ieee_overflow 0
		.amdhsa_exception_fp_ieee_underflow 0
		.amdhsa_exception_fp_ieee_inexact 0
		.amdhsa_exception_int_div_zero 0
	.end_amdhsa_kernel
	.section	.text._ZN7rocprim17ROCPRIM_400000_NS6detail17trampoline_kernelINS0_14default_configENS1_35radix_sort_onesweep_config_selectorIlNS0_10empty_typeEEEZNS1_34radix_sort_onesweep_global_offsetsIS3_Lb1EPKlPS5_mNS0_19identity_decomposerEEE10hipError_tT1_T2_PT3_SF_jT4_jjP12ihipStream_tbEUlT_E_NS1_11comp_targetILNS1_3genE5ELNS1_11target_archE942ELNS1_3gpuE9ELNS1_3repE0EEENS1_52radix_sort_onesweep_histogram_config_static_selectorELNS0_4arch9wavefront6targetE0EEEvSD_,"axG",@progbits,_ZN7rocprim17ROCPRIM_400000_NS6detail17trampoline_kernelINS0_14default_configENS1_35radix_sort_onesweep_config_selectorIlNS0_10empty_typeEEEZNS1_34radix_sort_onesweep_global_offsetsIS3_Lb1EPKlPS5_mNS0_19identity_decomposerEEE10hipError_tT1_T2_PT3_SF_jT4_jjP12ihipStream_tbEUlT_E_NS1_11comp_targetILNS1_3genE5ELNS1_11target_archE942ELNS1_3gpuE9ELNS1_3repE0EEENS1_52radix_sort_onesweep_histogram_config_static_selectorELNS0_4arch9wavefront6targetE0EEEvSD_,comdat
.Lfunc_end1072:
	.size	_ZN7rocprim17ROCPRIM_400000_NS6detail17trampoline_kernelINS0_14default_configENS1_35radix_sort_onesweep_config_selectorIlNS0_10empty_typeEEEZNS1_34radix_sort_onesweep_global_offsetsIS3_Lb1EPKlPS5_mNS0_19identity_decomposerEEE10hipError_tT1_T2_PT3_SF_jT4_jjP12ihipStream_tbEUlT_E_NS1_11comp_targetILNS1_3genE5ELNS1_11target_archE942ELNS1_3gpuE9ELNS1_3repE0EEENS1_52radix_sort_onesweep_histogram_config_static_selectorELNS0_4arch9wavefront6targetE0EEEvSD_, .Lfunc_end1072-_ZN7rocprim17ROCPRIM_400000_NS6detail17trampoline_kernelINS0_14default_configENS1_35radix_sort_onesweep_config_selectorIlNS0_10empty_typeEEEZNS1_34radix_sort_onesweep_global_offsetsIS3_Lb1EPKlPS5_mNS0_19identity_decomposerEEE10hipError_tT1_T2_PT3_SF_jT4_jjP12ihipStream_tbEUlT_E_NS1_11comp_targetILNS1_3genE5ELNS1_11target_archE942ELNS1_3gpuE9ELNS1_3repE0EEENS1_52radix_sort_onesweep_histogram_config_static_selectorELNS0_4arch9wavefront6targetE0EEEvSD_
                                        ; -- End function
	.set _ZN7rocprim17ROCPRIM_400000_NS6detail17trampoline_kernelINS0_14default_configENS1_35radix_sort_onesweep_config_selectorIlNS0_10empty_typeEEEZNS1_34radix_sort_onesweep_global_offsetsIS3_Lb1EPKlPS5_mNS0_19identity_decomposerEEE10hipError_tT1_T2_PT3_SF_jT4_jjP12ihipStream_tbEUlT_E_NS1_11comp_targetILNS1_3genE5ELNS1_11target_archE942ELNS1_3gpuE9ELNS1_3repE0EEENS1_52radix_sort_onesweep_histogram_config_static_selectorELNS0_4arch9wavefront6targetE0EEEvSD_.num_vgpr, 0
	.set _ZN7rocprim17ROCPRIM_400000_NS6detail17trampoline_kernelINS0_14default_configENS1_35radix_sort_onesweep_config_selectorIlNS0_10empty_typeEEEZNS1_34radix_sort_onesweep_global_offsetsIS3_Lb1EPKlPS5_mNS0_19identity_decomposerEEE10hipError_tT1_T2_PT3_SF_jT4_jjP12ihipStream_tbEUlT_E_NS1_11comp_targetILNS1_3genE5ELNS1_11target_archE942ELNS1_3gpuE9ELNS1_3repE0EEENS1_52radix_sort_onesweep_histogram_config_static_selectorELNS0_4arch9wavefront6targetE0EEEvSD_.num_agpr, 0
	.set _ZN7rocprim17ROCPRIM_400000_NS6detail17trampoline_kernelINS0_14default_configENS1_35radix_sort_onesweep_config_selectorIlNS0_10empty_typeEEEZNS1_34radix_sort_onesweep_global_offsetsIS3_Lb1EPKlPS5_mNS0_19identity_decomposerEEE10hipError_tT1_T2_PT3_SF_jT4_jjP12ihipStream_tbEUlT_E_NS1_11comp_targetILNS1_3genE5ELNS1_11target_archE942ELNS1_3gpuE9ELNS1_3repE0EEENS1_52radix_sort_onesweep_histogram_config_static_selectorELNS0_4arch9wavefront6targetE0EEEvSD_.numbered_sgpr, 0
	.set _ZN7rocprim17ROCPRIM_400000_NS6detail17trampoline_kernelINS0_14default_configENS1_35radix_sort_onesweep_config_selectorIlNS0_10empty_typeEEEZNS1_34radix_sort_onesweep_global_offsetsIS3_Lb1EPKlPS5_mNS0_19identity_decomposerEEE10hipError_tT1_T2_PT3_SF_jT4_jjP12ihipStream_tbEUlT_E_NS1_11comp_targetILNS1_3genE5ELNS1_11target_archE942ELNS1_3gpuE9ELNS1_3repE0EEENS1_52radix_sort_onesweep_histogram_config_static_selectorELNS0_4arch9wavefront6targetE0EEEvSD_.num_named_barrier, 0
	.set _ZN7rocprim17ROCPRIM_400000_NS6detail17trampoline_kernelINS0_14default_configENS1_35radix_sort_onesweep_config_selectorIlNS0_10empty_typeEEEZNS1_34radix_sort_onesweep_global_offsetsIS3_Lb1EPKlPS5_mNS0_19identity_decomposerEEE10hipError_tT1_T2_PT3_SF_jT4_jjP12ihipStream_tbEUlT_E_NS1_11comp_targetILNS1_3genE5ELNS1_11target_archE942ELNS1_3gpuE9ELNS1_3repE0EEENS1_52radix_sort_onesweep_histogram_config_static_selectorELNS0_4arch9wavefront6targetE0EEEvSD_.private_seg_size, 0
	.set _ZN7rocprim17ROCPRIM_400000_NS6detail17trampoline_kernelINS0_14default_configENS1_35radix_sort_onesweep_config_selectorIlNS0_10empty_typeEEEZNS1_34radix_sort_onesweep_global_offsetsIS3_Lb1EPKlPS5_mNS0_19identity_decomposerEEE10hipError_tT1_T2_PT3_SF_jT4_jjP12ihipStream_tbEUlT_E_NS1_11comp_targetILNS1_3genE5ELNS1_11target_archE942ELNS1_3gpuE9ELNS1_3repE0EEENS1_52radix_sort_onesweep_histogram_config_static_selectorELNS0_4arch9wavefront6targetE0EEEvSD_.uses_vcc, 0
	.set _ZN7rocprim17ROCPRIM_400000_NS6detail17trampoline_kernelINS0_14default_configENS1_35radix_sort_onesweep_config_selectorIlNS0_10empty_typeEEEZNS1_34radix_sort_onesweep_global_offsetsIS3_Lb1EPKlPS5_mNS0_19identity_decomposerEEE10hipError_tT1_T2_PT3_SF_jT4_jjP12ihipStream_tbEUlT_E_NS1_11comp_targetILNS1_3genE5ELNS1_11target_archE942ELNS1_3gpuE9ELNS1_3repE0EEENS1_52radix_sort_onesweep_histogram_config_static_selectorELNS0_4arch9wavefront6targetE0EEEvSD_.uses_flat_scratch, 0
	.set _ZN7rocprim17ROCPRIM_400000_NS6detail17trampoline_kernelINS0_14default_configENS1_35radix_sort_onesweep_config_selectorIlNS0_10empty_typeEEEZNS1_34radix_sort_onesweep_global_offsetsIS3_Lb1EPKlPS5_mNS0_19identity_decomposerEEE10hipError_tT1_T2_PT3_SF_jT4_jjP12ihipStream_tbEUlT_E_NS1_11comp_targetILNS1_3genE5ELNS1_11target_archE942ELNS1_3gpuE9ELNS1_3repE0EEENS1_52radix_sort_onesweep_histogram_config_static_selectorELNS0_4arch9wavefront6targetE0EEEvSD_.has_dyn_sized_stack, 0
	.set _ZN7rocprim17ROCPRIM_400000_NS6detail17trampoline_kernelINS0_14default_configENS1_35radix_sort_onesweep_config_selectorIlNS0_10empty_typeEEEZNS1_34radix_sort_onesweep_global_offsetsIS3_Lb1EPKlPS5_mNS0_19identity_decomposerEEE10hipError_tT1_T2_PT3_SF_jT4_jjP12ihipStream_tbEUlT_E_NS1_11comp_targetILNS1_3genE5ELNS1_11target_archE942ELNS1_3gpuE9ELNS1_3repE0EEENS1_52radix_sort_onesweep_histogram_config_static_selectorELNS0_4arch9wavefront6targetE0EEEvSD_.has_recursion, 0
	.set _ZN7rocprim17ROCPRIM_400000_NS6detail17trampoline_kernelINS0_14default_configENS1_35radix_sort_onesweep_config_selectorIlNS0_10empty_typeEEEZNS1_34radix_sort_onesweep_global_offsetsIS3_Lb1EPKlPS5_mNS0_19identity_decomposerEEE10hipError_tT1_T2_PT3_SF_jT4_jjP12ihipStream_tbEUlT_E_NS1_11comp_targetILNS1_3genE5ELNS1_11target_archE942ELNS1_3gpuE9ELNS1_3repE0EEENS1_52radix_sort_onesweep_histogram_config_static_selectorELNS0_4arch9wavefront6targetE0EEEvSD_.has_indirect_call, 0
	.section	.AMDGPU.csdata,"",@progbits
; Kernel info:
; codeLenInByte = 0
; TotalNumSgprs: 0
; NumVgprs: 0
; ScratchSize: 0
; MemoryBound: 0
; FloatMode: 240
; IeeeMode: 1
; LDSByteSize: 0 bytes/workgroup (compile time only)
; SGPRBlocks: 0
; VGPRBlocks: 0
; NumSGPRsForWavesPerEU: 1
; NumVGPRsForWavesPerEU: 1
; NamedBarCnt: 0
; Occupancy: 16
; WaveLimiterHint : 0
; COMPUTE_PGM_RSRC2:SCRATCH_EN: 0
; COMPUTE_PGM_RSRC2:USER_SGPR: 2
; COMPUTE_PGM_RSRC2:TRAP_HANDLER: 0
; COMPUTE_PGM_RSRC2:TGID_X_EN: 1
; COMPUTE_PGM_RSRC2:TGID_Y_EN: 0
; COMPUTE_PGM_RSRC2:TGID_Z_EN: 0
; COMPUTE_PGM_RSRC2:TIDIG_COMP_CNT: 0
	.section	.text._ZN7rocprim17ROCPRIM_400000_NS6detail17trampoline_kernelINS0_14default_configENS1_35radix_sort_onesweep_config_selectorIlNS0_10empty_typeEEEZNS1_34radix_sort_onesweep_global_offsetsIS3_Lb1EPKlPS5_mNS0_19identity_decomposerEEE10hipError_tT1_T2_PT3_SF_jT4_jjP12ihipStream_tbEUlT_E_NS1_11comp_targetILNS1_3genE2ELNS1_11target_archE906ELNS1_3gpuE6ELNS1_3repE0EEENS1_52radix_sort_onesweep_histogram_config_static_selectorELNS0_4arch9wavefront6targetE0EEEvSD_,"axG",@progbits,_ZN7rocprim17ROCPRIM_400000_NS6detail17trampoline_kernelINS0_14default_configENS1_35radix_sort_onesweep_config_selectorIlNS0_10empty_typeEEEZNS1_34radix_sort_onesweep_global_offsetsIS3_Lb1EPKlPS5_mNS0_19identity_decomposerEEE10hipError_tT1_T2_PT3_SF_jT4_jjP12ihipStream_tbEUlT_E_NS1_11comp_targetILNS1_3genE2ELNS1_11target_archE906ELNS1_3gpuE6ELNS1_3repE0EEENS1_52radix_sort_onesweep_histogram_config_static_selectorELNS0_4arch9wavefront6targetE0EEEvSD_,comdat
	.protected	_ZN7rocprim17ROCPRIM_400000_NS6detail17trampoline_kernelINS0_14default_configENS1_35radix_sort_onesweep_config_selectorIlNS0_10empty_typeEEEZNS1_34radix_sort_onesweep_global_offsetsIS3_Lb1EPKlPS5_mNS0_19identity_decomposerEEE10hipError_tT1_T2_PT3_SF_jT4_jjP12ihipStream_tbEUlT_E_NS1_11comp_targetILNS1_3genE2ELNS1_11target_archE906ELNS1_3gpuE6ELNS1_3repE0EEENS1_52radix_sort_onesweep_histogram_config_static_selectorELNS0_4arch9wavefront6targetE0EEEvSD_ ; -- Begin function _ZN7rocprim17ROCPRIM_400000_NS6detail17trampoline_kernelINS0_14default_configENS1_35radix_sort_onesweep_config_selectorIlNS0_10empty_typeEEEZNS1_34radix_sort_onesweep_global_offsetsIS3_Lb1EPKlPS5_mNS0_19identity_decomposerEEE10hipError_tT1_T2_PT3_SF_jT4_jjP12ihipStream_tbEUlT_E_NS1_11comp_targetILNS1_3genE2ELNS1_11target_archE906ELNS1_3gpuE6ELNS1_3repE0EEENS1_52radix_sort_onesweep_histogram_config_static_selectorELNS0_4arch9wavefront6targetE0EEEvSD_
	.globl	_ZN7rocprim17ROCPRIM_400000_NS6detail17trampoline_kernelINS0_14default_configENS1_35radix_sort_onesweep_config_selectorIlNS0_10empty_typeEEEZNS1_34radix_sort_onesweep_global_offsetsIS3_Lb1EPKlPS5_mNS0_19identity_decomposerEEE10hipError_tT1_T2_PT3_SF_jT4_jjP12ihipStream_tbEUlT_E_NS1_11comp_targetILNS1_3genE2ELNS1_11target_archE906ELNS1_3gpuE6ELNS1_3repE0EEENS1_52radix_sort_onesweep_histogram_config_static_selectorELNS0_4arch9wavefront6targetE0EEEvSD_
	.p2align	8
	.type	_ZN7rocprim17ROCPRIM_400000_NS6detail17trampoline_kernelINS0_14default_configENS1_35radix_sort_onesweep_config_selectorIlNS0_10empty_typeEEEZNS1_34radix_sort_onesweep_global_offsetsIS3_Lb1EPKlPS5_mNS0_19identity_decomposerEEE10hipError_tT1_T2_PT3_SF_jT4_jjP12ihipStream_tbEUlT_E_NS1_11comp_targetILNS1_3genE2ELNS1_11target_archE906ELNS1_3gpuE6ELNS1_3repE0EEENS1_52radix_sort_onesweep_histogram_config_static_selectorELNS0_4arch9wavefront6targetE0EEEvSD_,@function
_ZN7rocprim17ROCPRIM_400000_NS6detail17trampoline_kernelINS0_14default_configENS1_35radix_sort_onesweep_config_selectorIlNS0_10empty_typeEEEZNS1_34radix_sort_onesweep_global_offsetsIS3_Lb1EPKlPS5_mNS0_19identity_decomposerEEE10hipError_tT1_T2_PT3_SF_jT4_jjP12ihipStream_tbEUlT_E_NS1_11comp_targetILNS1_3genE2ELNS1_11target_archE906ELNS1_3gpuE6ELNS1_3repE0EEENS1_52radix_sort_onesweep_histogram_config_static_selectorELNS0_4arch9wavefront6targetE0EEEvSD_: ; @_ZN7rocprim17ROCPRIM_400000_NS6detail17trampoline_kernelINS0_14default_configENS1_35radix_sort_onesweep_config_selectorIlNS0_10empty_typeEEEZNS1_34radix_sort_onesweep_global_offsetsIS3_Lb1EPKlPS5_mNS0_19identity_decomposerEEE10hipError_tT1_T2_PT3_SF_jT4_jjP12ihipStream_tbEUlT_E_NS1_11comp_targetILNS1_3genE2ELNS1_11target_archE906ELNS1_3gpuE6ELNS1_3repE0EEENS1_52radix_sort_onesweep_histogram_config_static_selectorELNS0_4arch9wavefront6targetE0EEEvSD_
; %bb.0:
	.section	.rodata,"a",@progbits
	.p2align	6, 0x0
	.amdhsa_kernel _ZN7rocprim17ROCPRIM_400000_NS6detail17trampoline_kernelINS0_14default_configENS1_35radix_sort_onesweep_config_selectorIlNS0_10empty_typeEEEZNS1_34radix_sort_onesweep_global_offsetsIS3_Lb1EPKlPS5_mNS0_19identity_decomposerEEE10hipError_tT1_T2_PT3_SF_jT4_jjP12ihipStream_tbEUlT_E_NS1_11comp_targetILNS1_3genE2ELNS1_11target_archE906ELNS1_3gpuE6ELNS1_3repE0EEENS1_52radix_sort_onesweep_histogram_config_static_selectorELNS0_4arch9wavefront6targetE0EEEvSD_
		.amdhsa_group_segment_fixed_size 0
		.amdhsa_private_segment_fixed_size 0
		.amdhsa_kernarg_size 48
		.amdhsa_user_sgpr_count 2
		.amdhsa_user_sgpr_dispatch_ptr 0
		.amdhsa_user_sgpr_queue_ptr 0
		.amdhsa_user_sgpr_kernarg_segment_ptr 1
		.amdhsa_user_sgpr_dispatch_id 0
		.amdhsa_user_sgpr_kernarg_preload_length 0
		.amdhsa_user_sgpr_kernarg_preload_offset 0
		.amdhsa_user_sgpr_private_segment_size 0
		.amdhsa_wavefront_size32 1
		.amdhsa_uses_dynamic_stack 0
		.amdhsa_enable_private_segment 0
		.amdhsa_system_sgpr_workgroup_id_x 1
		.amdhsa_system_sgpr_workgroup_id_y 0
		.amdhsa_system_sgpr_workgroup_id_z 0
		.amdhsa_system_sgpr_workgroup_info 0
		.amdhsa_system_vgpr_workitem_id 0
		.amdhsa_next_free_vgpr 1
		.amdhsa_next_free_sgpr 1
		.amdhsa_named_barrier_count 0
		.amdhsa_reserve_vcc 0
		.amdhsa_float_round_mode_32 0
		.amdhsa_float_round_mode_16_64 0
		.amdhsa_float_denorm_mode_32 3
		.amdhsa_float_denorm_mode_16_64 3
		.amdhsa_fp16_overflow 0
		.amdhsa_memory_ordered 1
		.amdhsa_forward_progress 1
		.amdhsa_inst_pref_size 0
		.amdhsa_round_robin_scheduling 0
		.amdhsa_exception_fp_ieee_invalid_op 0
		.amdhsa_exception_fp_denorm_src 0
		.amdhsa_exception_fp_ieee_div_zero 0
		.amdhsa_exception_fp_ieee_overflow 0
		.amdhsa_exception_fp_ieee_underflow 0
		.amdhsa_exception_fp_ieee_inexact 0
		.amdhsa_exception_int_div_zero 0
	.end_amdhsa_kernel
	.section	.text._ZN7rocprim17ROCPRIM_400000_NS6detail17trampoline_kernelINS0_14default_configENS1_35radix_sort_onesweep_config_selectorIlNS0_10empty_typeEEEZNS1_34radix_sort_onesweep_global_offsetsIS3_Lb1EPKlPS5_mNS0_19identity_decomposerEEE10hipError_tT1_T2_PT3_SF_jT4_jjP12ihipStream_tbEUlT_E_NS1_11comp_targetILNS1_3genE2ELNS1_11target_archE906ELNS1_3gpuE6ELNS1_3repE0EEENS1_52radix_sort_onesweep_histogram_config_static_selectorELNS0_4arch9wavefront6targetE0EEEvSD_,"axG",@progbits,_ZN7rocprim17ROCPRIM_400000_NS6detail17trampoline_kernelINS0_14default_configENS1_35radix_sort_onesweep_config_selectorIlNS0_10empty_typeEEEZNS1_34radix_sort_onesweep_global_offsetsIS3_Lb1EPKlPS5_mNS0_19identity_decomposerEEE10hipError_tT1_T2_PT3_SF_jT4_jjP12ihipStream_tbEUlT_E_NS1_11comp_targetILNS1_3genE2ELNS1_11target_archE906ELNS1_3gpuE6ELNS1_3repE0EEENS1_52radix_sort_onesweep_histogram_config_static_selectorELNS0_4arch9wavefront6targetE0EEEvSD_,comdat
.Lfunc_end1073:
	.size	_ZN7rocprim17ROCPRIM_400000_NS6detail17trampoline_kernelINS0_14default_configENS1_35radix_sort_onesweep_config_selectorIlNS0_10empty_typeEEEZNS1_34radix_sort_onesweep_global_offsetsIS3_Lb1EPKlPS5_mNS0_19identity_decomposerEEE10hipError_tT1_T2_PT3_SF_jT4_jjP12ihipStream_tbEUlT_E_NS1_11comp_targetILNS1_3genE2ELNS1_11target_archE906ELNS1_3gpuE6ELNS1_3repE0EEENS1_52radix_sort_onesweep_histogram_config_static_selectorELNS0_4arch9wavefront6targetE0EEEvSD_, .Lfunc_end1073-_ZN7rocprim17ROCPRIM_400000_NS6detail17trampoline_kernelINS0_14default_configENS1_35radix_sort_onesweep_config_selectorIlNS0_10empty_typeEEEZNS1_34radix_sort_onesweep_global_offsetsIS3_Lb1EPKlPS5_mNS0_19identity_decomposerEEE10hipError_tT1_T2_PT3_SF_jT4_jjP12ihipStream_tbEUlT_E_NS1_11comp_targetILNS1_3genE2ELNS1_11target_archE906ELNS1_3gpuE6ELNS1_3repE0EEENS1_52radix_sort_onesweep_histogram_config_static_selectorELNS0_4arch9wavefront6targetE0EEEvSD_
                                        ; -- End function
	.set _ZN7rocprim17ROCPRIM_400000_NS6detail17trampoline_kernelINS0_14default_configENS1_35radix_sort_onesweep_config_selectorIlNS0_10empty_typeEEEZNS1_34radix_sort_onesweep_global_offsetsIS3_Lb1EPKlPS5_mNS0_19identity_decomposerEEE10hipError_tT1_T2_PT3_SF_jT4_jjP12ihipStream_tbEUlT_E_NS1_11comp_targetILNS1_3genE2ELNS1_11target_archE906ELNS1_3gpuE6ELNS1_3repE0EEENS1_52radix_sort_onesweep_histogram_config_static_selectorELNS0_4arch9wavefront6targetE0EEEvSD_.num_vgpr, 0
	.set _ZN7rocprim17ROCPRIM_400000_NS6detail17trampoline_kernelINS0_14default_configENS1_35radix_sort_onesweep_config_selectorIlNS0_10empty_typeEEEZNS1_34radix_sort_onesweep_global_offsetsIS3_Lb1EPKlPS5_mNS0_19identity_decomposerEEE10hipError_tT1_T2_PT3_SF_jT4_jjP12ihipStream_tbEUlT_E_NS1_11comp_targetILNS1_3genE2ELNS1_11target_archE906ELNS1_3gpuE6ELNS1_3repE0EEENS1_52radix_sort_onesweep_histogram_config_static_selectorELNS0_4arch9wavefront6targetE0EEEvSD_.num_agpr, 0
	.set _ZN7rocprim17ROCPRIM_400000_NS6detail17trampoline_kernelINS0_14default_configENS1_35radix_sort_onesweep_config_selectorIlNS0_10empty_typeEEEZNS1_34radix_sort_onesweep_global_offsetsIS3_Lb1EPKlPS5_mNS0_19identity_decomposerEEE10hipError_tT1_T2_PT3_SF_jT4_jjP12ihipStream_tbEUlT_E_NS1_11comp_targetILNS1_3genE2ELNS1_11target_archE906ELNS1_3gpuE6ELNS1_3repE0EEENS1_52radix_sort_onesweep_histogram_config_static_selectorELNS0_4arch9wavefront6targetE0EEEvSD_.numbered_sgpr, 0
	.set _ZN7rocprim17ROCPRIM_400000_NS6detail17trampoline_kernelINS0_14default_configENS1_35radix_sort_onesweep_config_selectorIlNS0_10empty_typeEEEZNS1_34radix_sort_onesweep_global_offsetsIS3_Lb1EPKlPS5_mNS0_19identity_decomposerEEE10hipError_tT1_T2_PT3_SF_jT4_jjP12ihipStream_tbEUlT_E_NS1_11comp_targetILNS1_3genE2ELNS1_11target_archE906ELNS1_3gpuE6ELNS1_3repE0EEENS1_52radix_sort_onesweep_histogram_config_static_selectorELNS0_4arch9wavefront6targetE0EEEvSD_.num_named_barrier, 0
	.set _ZN7rocprim17ROCPRIM_400000_NS6detail17trampoline_kernelINS0_14default_configENS1_35radix_sort_onesweep_config_selectorIlNS0_10empty_typeEEEZNS1_34radix_sort_onesweep_global_offsetsIS3_Lb1EPKlPS5_mNS0_19identity_decomposerEEE10hipError_tT1_T2_PT3_SF_jT4_jjP12ihipStream_tbEUlT_E_NS1_11comp_targetILNS1_3genE2ELNS1_11target_archE906ELNS1_3gpuE6ELNS1_3repE0EEENS1_52radix_sort_onesweep_histogram_config_static_selectorELNS0_4arch9wavefront6targetE0EEEvSD_.private_seg_size, 0
	.set _ZN7rocprim17ROCPRIM_400000_NS6detail17trampoline_kernelINS0_14default_configENS1_35radix_sort_onesweep_config_selectorIlNS0_10empty_typeEEEZNS1_34radix_sort_onesweep_global_offsetsIS3_Lb1EPKlPS5_mNS0_19identity_decomposerEEE10hipError_tT1_T2_PT3_SF_jT4_jjP12ihipStream_tbEUlT_E_NS1_11comp_targetILNS1_3genE2ELNS1_11target_archE906ELNS1_3gpuE6ELNS1_3repE0EEENS1_52radix_sort_onesweep_histogram_config_static_selectorELNS0_4arch9wavefront6targetE0EEEvSD_.uses_vcc, 0
	.set _ZN7rocprim17ROCPRIM_400000_NS6detail17trampoline_kernelINS0_14default_configENS1_35radix_sort_onesweep_config_selectorIlNS0_10empty_typeEEEZNS1_34radix_sort_onesweep_global_offsetsIS3_Lb1EPKlPS5_mNS0_19identity_decomposerEEE10hipError_tT1_T2_PT3_SF_jT4_jjP12ihipStream_tbEUlT_E_NS1_11comp_targetILNS1_3genE2ELNS1_11target_archE906ELNS1_3gpuE6ELNS1_3repE0EEENS1_52radix_sort_onesweep_histogram_config_static_selectorELNS0_4arch9wavefront6targetE0EEEvSD_.uses_flat_scratch, 0
	.set _ZN7rocprim17ROCPRIM_400000_NS6detail17trampoline_kernelINS0_14default_configENS1_35radix_sort_onesweep_config_selectorIlNS0_10empty_typeEEEZNS1_34radix_sort_onesweep_global_offsetsIS3_Lb1EPKlPS5_mNS0_19identity_decomposerEEE10hipError_tT1_T2_PT3_SF_jT4_jjP12ihipStream_tbEUlT_E_NS1_11comp_targetILNS1_3genE2ELNS1_11target_archE906ELNS1_3gpuE6ELNS1_3repE0EEENS1_52radix_sort_onesweep_histogram_config_static_selectorELNS0_4arch9wavefront6targetE0EEEvSD_.has_dyn_sized_stack, 0
	.set _ZN7rocprim17ROCPRIM_400000_NS6detail17trampoline_kernelINS0_14default_configENS1_35radix_sort_onesweep_config_selectorIlNS0_10empty_typeEEEZNS1_34radix_sort_onesweep_global_offsetsIS3_Lb1EPKlPS5_mNS0_19identity_decomposerEEE10hipError_tT1_T2_PT3_SF_jT4_jjP12ihipStream_tbEUlT_E_NS1_11comp_targetILNS1_3genE2ELNS1_11target_archE906ELNS1_3gpuE6ELNS1_3repE0EEENS1_52radix_sort_onesweep_histogram_config_static_selectorELNS0_4arch9wavefront6targetE0EEEvSD_.has_recursion, 0
	.set _ZN7rocprim17ROCPRIM_400000_NS6detail17trampoline_kernelINS0_14default_configENS1_35radix_sort_onesweep_config_selectorIlNS0_10empty_typeEEEZNS1_34radix_sort_onesweep_global_offsetsIS3_Lb1EPKlPS5_mNS0_19identity_decomposerEEE10hipError_tT1_T2_PT3_SF_jT4_jjP12ihipStream_tbEUlT_E_NS1_11comp_targetILNS1_3genE2ELNS1_11target_archE906ELNS1_3gpuE6ELNS1_3repE0EEENS1_52radix_sort_onesweep_histogram_config_static_selectorELNS0_4arch9wavefront6targetE0EEEvSD_.has_indirect_call, 0
	.section	.AMDGPU.csdata,"",@progbits
; Kernel info:
; codeLenInByte = 0
; TotalNumSgprs: 0
; NumVgprs: 0
; ScratchSize: 0
; MemoryBound: 0
; FloatMode: 240
; IeeeMode: 1
; LDSByteSize: 0 bytes/workgroup (compile time only)
; SGPRBlocks: 0
; VGPRBlocks: 0
; NumSGPRsForWavesPerEU: 1
; NumVGPRsForWavesPerEU: 1
; NamedBarCnt: 0
; Occupancy: 16
; WaveLimiterHint : 0
; COMPUTE_PGM_RSRC2:SCRATCH_EN: 0
; COMPUTE_PGM_RSRC2:USER_SGPR: 2
; COMPUTE_PGM_RSRC2:TRAP_HANDLER: 0
; COMPUTE_PGM_RSRC2:TGID_X_EN: 1
; COMPUTE_PGM_RSRC2:TGID_Y_EN: 0
; COMPUTE_PGM_RSRC2:TGID_Z_EN: 0
; COMPUTE_PGM_RSRC2:TIDIG_COMP_CNT: 0
	.section	.text._ZN7rocprim17ROCPRIM_400000_NS6detail17trampoline_kernelINS0_14default_configENS1_35radix_sort_onesweep_config_selectorIlNS0_10empty_typeEEEZNS1_34radix_sort_onesweep_global_offsetsIS3_Lb1EPKlPS5_mNS0_19identity_decomposerEEE10hipError_tT1_T2_PT3_SF_jT4_jjP12ihipStream_tbEUlT_E_NS1_11comp_targetILNS1_3genE4ELNS1_11target_archE910ELNS1_3gpuE8ELNS1_3repE0EEENS1_52radix_sort_onesweep_histogram_config_static_selectorELNS0_4arch9wavefront6targetE0EEEvSD_,"axG",@progbits,_ZN7rocprim17ROCPRIM_400000_NS6detail17trampoline_kernelINS0_14default_configENS1_35radix_sort_onesweep_config_selectorIlNS0_10empty_typeEEEZNS1_34radix_sort_onesweep_global_offsetsIS3_Lb1EPKlPS5_mNS0_19identity_decomposerEEE10hipError_tT1_T2_PT3_SF_jT4_jjP12ihipStream_tbEUlT_E_NS1_11comp_targetILNS1_3genE4ELNS1_11target_archE910ELNS1_3gpuE8ELNS1_3repE0EEENS1_52radix_sort_onesweep_histogram_config_static_selectorELNS0_4arch9wavefront6targetE0EEEvSD_,comdat
	.protected	_ZN7rocprim17ROCPRIM_400000_NS6detail17trampoline_kernelINS0_14default_configENS1_35radix_sort_onesweep_config_selectorIlNS0_10empty_typeEEEZNS1_34radix_sort_onesweep_global_offsetsIS3_Lb1EPKlPS5_mNS0_19identity_decomposerEEE10hipError_tT1_T2_PT3_SF_jT4_jjP12ihipStream_tbEUlT_E_NS1_11comp_targetILNS1_3genE4ELNS1_11target_archE910ELNS1_3gpuE8ELNS1_3repE0EEENS1_52radix_sort_onesweep_histogram_config_static_selectorELNS0_4arch9wavefront6targetE0EEEvSD_ ; -- Begin function _ZN7rocprim17ROCPRIM_400000_NS6detail17trampoline_kernelINS0_14default_configENS1_35radix_sort_onesweep_config_selectorIlNS0_10empty_typeEEEZNS1_34radix_sort_onesweep_global_offsetsIS3_Lb1EPKlPS5_mNS0_19identity_decomposerEEE10hipError_tT1_T2_PT3_SF_jT4_jjP12ihipStream_tbEUlT_E_NS1_11comp_targetILNS1_3genE4ELNS1_11target_archE910ELNS1_3gpuE8ELNS1_3repE0EEENS1_52radix_sort_onesweep_histogram_config_static_selectorELNS0_4arch9wavefront6targetE0EEEvSD_
	.globl	_ZN7rocprim17ROCPRIM_400000_NS6detail17trampoline_kernelINS0_14default_configENS1_35radix_sort_onesweep_config_selectorIlNS0_10empty_typeEEEZNS1_34radix_sort_onesweep_global_offsetsIS3_Lb1EPKlPS5_mNS0_19identity_decomposerEEE10hipError_tT1_T2_PT3_SF_jT4_jjP12ihipStream_tbEUlT_E_NS1_11comp_targetILNS1_3genE4ELNS1_11target_archE910ELNS1_3gpuE8ELNS1_3repE0EEENS1_52radix_sort_onesweep_histogram_config_static_selectorELNS0_4arch9wavefront6targetE0EEEvSD_
	.p2align	8
	.type	_ZN7rocprim17ROCPRIM_400000_NS6detail17trampoline_kernelINS0_14default_configENS1_35radix_sort_onesweep_config_selectorIlNS0_10empty_typeEEEZNS1_34radix_sort_onesweep_global_offsetsIS3_Lb1EPKlPS5_mNS0_19identity_decomposerEEE10hipError_tT1_T2_PT3_SF_jT4_jjP12ihipStream_tbEUlT_E_NS1_11comp_targetILNS1_3genE4ELNS1_11target_archE910ELNS1_3gpuE8ELNS1_3repE0EEENS1_52radix_sort_onesweep_histogram_config_static_selectorELNS0_4arch9wavefront6targetE0EEEvSD_,@function
_ZN7rocprim17ROCPRIM_400000_NS6detail17trampoline_kernelINS0_14default_configENS1_35radix_sort_onesweep_config_selectorIlNS0_10empty_typeEEEZNS1_34radix_sort_onesweep_global_offsetsIS3_Lb1EPKlPS5_mNS0_19identity_decomposerEEE10hipError_tT1_T2_PT3_SF_jT4_jjP12ihipStream_tbEUlT_E_NS1_11comp_targetILNS1_3genE4ELNS1_11target_archE910ELNS1_3gpuE8ELNS1_3repE0EEENS1_52radix_sort_onesweep_histogram_config_static_selectorELNS0_4arch9wavefront6targetE0EEEvSD_: ; @_ZN7rocprim17ROCPRIM_400000_NS6detail17trampoline_kernelINS0_14default_configENS1_35radix_sort_onesweep_config_selectorIlNS0_10empty_typeEEEZNS1_34radix_sort_onesweep_global_offsetsIS3_Lb1EPKlPS5_mNS0_19identity_decomposerEEE10hipError_tT1_T2_PT3_SF_jT4_jjP12ihipStream_tbEUlT_E_NS1_11comp_targetILNS1_3genE4ELNS1_11target_archE910ELNS1_3gpuE8ELNS1_3repE0EEENS1_52radix_sort_onesweep_histogram_config_static_selectorELNS0_4arch9wavefront6targetE0EEEvSD_
; %bb.0:
	.section	.rodata,"a",@progbits
	.p2align	6, 0x0
	.amdhsa_kernel _ZN7rocprim17ROCPRIM_400000_NS6detail17trampoline_kernelINS0_14default_configENS1_35radix_sort_onesweep_config_selectorIlNS0_10empty_typeEEEZNS1_34radix_sort_onesweep_global_offsetsIS3_Lb1EPKlPS5_mNS0_19identity_decomposerEEE10hipError_tT1_T2_PT3_SF_jT4_jjP12ihipStream_tbEUlT_E_NS1_11comp_targetILNS1_3genE4ELNS1_11target_archE910ELNS1_3gpuE8ELNS1_3repE0EEENS1_52radix_sort_onesweep_histogram_config_static_selectorELNS0_4arch9wavefront6targetE0EEEvSD_
		.amdhsa_group_segment_fixed_size 0
		.amdhsa_private_segment_fixed_size 0
		.amdhsa_kernarg_size 48
		.amdhsa_user_sgpr_count 2
		.amdhsa_user_sgpr_dispatch_ptr 0
		.amdhsa_user_sgpr_queue_ptr 0
		.amdhsa_user_sgpr_kernarg_segment_ptr 1
		.amdhsa_user_sgpr_dispatch_id 0
		.amdhsa_user_sgpr_kernarg_preload_length 0
		.amdhsa_user_sgpr_kernarg_preload_offset 0
		.amdhsa_user_sgpr_private_segment_size 0
		.amdhsa_wavefront_size32 1
		.amdhsa_uses_dynamic_stack 0
		.amdhsa_enable_private_segment 0
		.amdhsa_system_sgpr_workgroup_id_x 1
		.amdhsa_system_sgpr_workgroup_id_y 0
		.amdhsa_system_sgpr_workgroup_id_z 0
		.amdhsa_system_sgpr_workgroup_info 0
		.amdhsa_system_vgpr_workitem_id 0
		.amdhsa_next_free_vgpr 1
		.amdhsa_next_free_sgpr 1
		.amdhsa_named_barrier_count 0
		.amdhsa_reserve_vcc 0
		.amdhsa_float_round_mode_32 0
		.amdhsa_float_round_mode_16_64 0
		.amdhsa_float_denorm_mode_32 3
		.amdhsa_float_denorm_mode_16_64 3
		.amdhsa_fp16_overflow 0
		.amdhsa_memory_ordered 1
		.amdhsa_forward_progress 1
		.amdhsa_inst_pref_size 0
		.amdhsa_round_robin_scheduling 0
		.amdhsa_exception_fp_ieee_invalid_op 0
		.amdhsa_exception_fp_denorm_src 0
		.amdhsa_exception_fp_ieee_div_zero 0
		.amdhsa_exception_fp_ieee_overflow 0
		.amdhsa_exception_fp_ieee_underflow 0
		.amdhsa_exception_fp_ieee_inexact 0
		.amdhsa_exception_int_div_zero 0
	.end_amdhsa_kernel
	.section	.text._ZN7rocprim17ROCPRIM_400000_NS6detail17trampoline_kernelINS0_14default_configENS1_35radix_sort_onesweep_config_selectorIlNS0_10empty_typeEEEZNS1_34radix_sort_onesweep_global_offsetsIS3_Lb1EPKlPS5_mNS0_19identity_decomposerEEE10hipError_tT1_T2_PT3_SF_jT4_jjP12ihipStream_tbEUlT_E_NS1_11comp_targetILNS1_3genE4ELNS1_11target_archE910ELNS1_3gpuE8ELNS1_3repE0EEENS1_52radix_sort_onesweep_histogram_config_static_selectorELNS0_4arch9wavefront6targetE0EEEvSD_,"axG",@progbits,_ZN7rocprim17ROCPRIM_400000_NS6detail17trampoline_kernelINS0_14default_configENS1_35radix_sort_onesweep_config_selectorIlNS0_10empty_typeEEEZNS1_34radix_sort_onesweep_global_offsetsIS3_Lb1EPKlPS5_mNS0_19identity_decomposerEEE10hipError_tT1_T2_PT3_SF_jT4_jjP12ihipStream_tbEUlT_E_NS1_11comp_targetILNS1_3genE4ELNS1_11target_archE910ELNS1_3gpuE8ELNS1_3repE0EEENS1_52radix_sort_onesweep_histogram_config_static_selectorELNS0_4arch9wavefront6targetE0EEEvSD_,comdat
.Lfunc_end1074:
	.size	_ZN7rocprim17ROCPRIM_400000_NS6detail17trampoline_kernelINS0_14default_configENS1_35radix_sort_onesweep_config_selectorIlNS0_10empty_typeEEEZNS1_34radix_sort_onesweep_global_offsetsIS3_Lb1EPKlPS5_mNS0_19identity_decomposerEEE10hipError_tT1_T2_PT3_SF_jT4_jjP12ihipStream_tbEUlT_E_NS1_11comp_targetILNS1_3genE4ELNS1_11target_archE910ELNS1_3gpuE8ELNS1_3repE0EEENS1_52radix_sort_onesweep_histogram_config_static_selectorELNS0_4arch9wavefront6targetE0EEEvSD_, .Lfunc_end1074-_ZN7rocprim17ROCPRIM_400000_NS6detail17trampoline_kernelINS0_14default_configENS1_35radix_sort_onesweep_config_selectorIlNS0_10empty_typeEEEZNS1_34radix_sort_onesweep_global_offsetsIS3_Lb1EPKlPS5_mNS0_19identity_decomposerEEE10hipError_tT1_T2_PT3_SF_jT4_jjP12ihipStream_tbEUlT_E_NS1_11comp_targetILNS1_3genE4ELNS1_11target_archE910ELNS1_3gpuE8ELNS1_3repE0EEENS1_52radix_sort_onesweep_histogram_config_static_selectorELNS0_4arch9wavefront6targetE0EEEvSD_
                                        ; -- End function
	.set _ZN7rocprim17ROCPRIM_400000_NS6detail17trampoline_kernelINS0_14default_configENS1_35radix_sort_onesweep_config_selectorIlNS0_10empty_typeEEEZNS1_34radix_sort_onesweep_global_offsetsIS3_Lb1EPKlPS5_mNS0_19identity_decomposerEEE10hipError_tT1_T2_PT3_SF_jT4_jjP12ihipStream_tbEUlT_E_NS1_11comp_targetILNS1_3genE4ELNS1_11target_archE910ELNS1_3gpuE8ELNS1_3repE0EEENS1_52radix_sort_onesweep_histogram_config_static_selectorELNS0_4arch9wavefront6targetE0EEEvSD_.num_vgpr, 0
	.set _ZN7rocprim17ROCPRIM_400000_NS6detail17trampoline_kernelINS0_14default_configENS1_35radix_sort_onesweep_config_selectorIlNS0_10empty_typeEEEZNS1_34radix_sort_onesweep_global_offsetsIS3_Lb1EPKlPS5_mNS0_19identity_decomposerEEE10hipError_tT1_T2_PT3_SF_jT4_jjP12ihipStream_tbEUlT_E_NS1_11comp_targetILNS1_3genE4ELNS1_11target_archE910ELNS1_3gpuE8ELNS1_3repE0EEENS1_52radix_sort_onesweep_histogram_config_static_selectorELNS0_4arch9wavefront6targetE0EEEvSD_.num_agpr, 0
	.set _ZN7rocprim17ROCPRIM_400000_NS6detail17trampoline_kernelINS0_14default_configENS1_35radix_sort_onesweep_config_selectorIlNS0_10empty_typeEEEZNS1_34radix_sort_onesweep_global_offsetsIS3_Lb1EPKlPS5_mNS0_19identity_decomposerEEE10hipError_tT1_T2_PT3_SF_jT4_jjP12ihipStream_tbEUlT_E_NS1_11comp_targetILNS1_3genE4ELNS1_11target_archE910ELNS1_3gpuE8ELNS1_3repE0EEENS1_52radix_sort_onesweep_histogram_config_static_selectorELNS0_4arch9wavefront6targetE0EEEvSD_.numbered_sgpr, 0
	.set _ZN7rocprim17ROCPRIM_400000_NS6detail17trampoline_kernelINS0_14default_configENS1_35radix_sort_onesweep_config_selectorIlNS0_10empty_typeEEEZNS1_34radix_sort_onesweep_global_offsetsIS3_Lb1EPKlPS5_mNS0_19identity_decomposerEEE10hipError_tT1_T2_PT3_SF_jT4_jjP12ihipStream_tbEUlT_E_NS1_11comp_targetILNS1_3genE4ELNS1_11target_archE910ELNS1_3gpuE8ELNS1_3repE0EEENS1_52radix_sort_onesweep_histogram_config_static_selectorELNS0_4arch9wavefront6targetE0EEEvSD_.num_named_barrier, 0
	.set _ZN7rocprim17ROCPRIM_400000_NS6detail17trampoline_kernelINS0_14default_configENS1_35radix_sort_onesweep_config_selectorIlNS0_10empty_typeEEEZNS1_34radix_sort_onesweep_global_offsetsIS3_Lb1EPKlPS5_mNS0_19identity_decomposerEEE10hipError_tT1_T2_PT3_SF_jT4_jjP12ihipStream_tbEUlT_E_NS1_11comp_targetILNS1_3genE4ELNS1_11target_archE910ELNS1_3gpuE8ELNS1_3repE0EEENS1_52radix_sort_onesweep_histogram_config_static_selectorELNS0_4arch9wavefront6targetE0EEEvSD_.private_seg_size, 0
	.set _ZN7rocprim17ROCPRIM_400000_NS6detail17trampoline_kernelINS0_14default_configENS1_35radix_sort_onesweep_config_selectorIlNS0_10empty_typeEEEZNS1_34radix_sort_onesweep_global_offsetsIS3_Lb1EPKlPS5_mNS0_19identity_decomposerEEE10hipError_tT1_T2_PT3_SF_jT4_jjP12ihipStream_tbEUlT_E_NS1_11comp_targetILNS1_3genE4ELNS1_11target_archE910ELNS1_3gpuE8ELNS1_3repE0EEENS1_52radix_sort_onesweep_histogram_config_static_selectorELNS0_4arch9wavefront6targetE0EEEvSD_.uses_vcc, 0
	.set _ZN7rocprim17ROCPRIM_400000_NS6detail17trampoline_kernelINS0_14default_configENS1_35radix_sort_onesweep_config_selectorIlNS0_10empty_typeEEEZNS1_34radix_sort_onesweep_global_offsetsIS3_Lb1EPKlPS5_mNS0_19identity_decomposerEEE10hipError_tT1_T2_PT3_SF_jT4_jjP12ihipStream_tbEUlT_E_NS1_11comp_targetILNS1_3genE4ELNS1_11target_archE910ELNS1_3gpuE8ELNS1_3repE0EEENS1_52radix_sort_onesweep_histogram_config_static_selectorELNS0_4arch9wavefront6targetE0EEEvSD_.uses_flat_scratch, 0
	.set _ZN7rocprim17ROCPRIM_400000_NS6detail17trampoline_kernelINS0_14default_configENS1_35radix_sort_onesweep_config_selectorIlNS0_10empty_typeEEEZNS1_34radix_sort_onesweep_global_offsetsIS3_Lb1EPKlPS5_mNS0_19identity_decomposerEEE10hipError_tT1_T2_PT3_SF_jT4_jjP12ihipStream_tbEUlT_E_NS1_11comp_targetILNS1_3genE4ELNS1_11target_archE910ELNS1_3gpuE8ELNS1_3repE0EEENS1_52radix_sort_onesweep_histogram_config_static_selectorELNS0_4arch9wavefront6targetE0EEEvSD_.has_dyn_sized_stack, 0
	.set _ZN7rocprim17ROCPRIM_400000_NS6detail17trampoline_kernelINS0_14default_configENS1_35radix_sort_onesweep_config_selectorIlNS0_10empty_typeEEEZNS1_34radix_sort_onesweep_global_offsetsIS3_Lb1EPKlPS5_mNS0_19identity_decomposerEEE10hipError_tT1_T2_PT3_SF_jT4_jjP12ihipStream_tbEUlT_E_NS1_11comp_targetILNS1_3genE4ELNS1_11target_archE910ELNS1_3gpuE8ELNS1_3repE0EEENS1_52radix_sort_onesweep_histogram_config_static_selectorELNS0_4arch9wavefront6targetE0EEEvSD_.has_recursion, 0
	.set _ZN7rocprim17ROCPRIM_400000_NS6detail17trampoline_kernelINS0_14default_configENS1_35radix_sort_onesweep_config_selectorIlNS0_10empty_typeEEEZNS1_34radix_sort_onesweep_global_offsetsIS3_Lb1EPKlPS5_mNS0_19identity_decomposerEEE10hipError_tT1_T2_PT3_SF_jT4_jjP12ihipStream_tbEUlT_E_NS1_11comp_targetILNS1_3genE4ELNS1_11target_archE910ELNS1_3gpuE8ELNS1_3repE0EEENS1_52radix_sort_onesweep_histogram_config_static_selectorELNS0_4arch9wavefront6targetE0EEEvSD_.has_indirect_call, 0
	.section	.AMDGPU.csdata,"",@progbits
; Kernel info:
; codeLenInByte = 0
; TotalNumSgprs: 0
; NumVgprs: 0
; ScratchSize: 0
; MemoryBound: 0
; FloatMode: 240
; IeeeMode: 1
; LDSByteSize: 0 bytes/workgroup (compile time only)
; SGPRBlocks: 0
; VGPRBlocks: 0
; NumSGPRsForWavesPerEU: 1
; NumVGPRsForWavesPerEU: 1
; NamedBarCnt: 0
; Occupancy: 16
; WaveLimiterHint : 0
; COMPUTE_PGM_RSRC2:SCRATCH_EN: 0
; COMPUTE_PGM_RSRC2:USER_SGPR: 2
; COMPUTE_PGM_RSRC2:TRAP_HANDLER: 0
; COMPUTE_PGM_RSRC2:TGID_X_EN: 1
; COMPUTE_PGM_RSRC2:TGID_Y_EN: 0
; COMPUTE_PGM_RSRC2:TGID_Z_EN: 0
; COMPUTE_PGM_RSRC2:TIDIG_COMP_CNT: 0
	.section	.text._ZN7rocprim17ROCPRIM_400000_NS6detail17trampoline_kernelINS0_14default_configENS1_35radix_sort_onesweep_config_selectorIlNS0_10empty_typeEEEZNS1_34radix_sort_onesweep_global_offsetsIS3_Lb1EPKlPS5_mNS0_19identity_decomposerEEE10hipError_tT1_T2_PT3_SF_jT4_jjP12ihipStream_tbEUlT_E_NS1_11comp_targetILNS1_3genE3ELNS1_11target_archE908ELNS1_3gpuE7ELNS1_3repE0EEENS1_52radix_sort_onesweep_histogram_config_static_selectorELNS0_4arch9wavefront6targetE0EEEvSD_,"axG",@progbits,_ZN7rocprim17ROCPRIM_400000_NS6detail17trampoline_kernelINS0_14default_configENS1_35radix_sort_onesweep_config_selectorIlNS0_10empty_typeEEEZNS1_34radix_sort_onesweep_global_offsetsIS3_Lb1EPKlPS5_mNS0_19identity_decomposerEEE10hipError_tT1_T2_PT3_SF_jT4_jjP12ihipStream_tbEUlT_E_NS1_11comp_targetILNS1_3genE3ELNS1_11target_archE908ELNS1_3gpuE7ELNS1_3repE0EEENS1_52radix_sort_onesweep_histogram_config_static_selectorELNS0_4arch9wavefront6targetE0EEEvSD_,comdat
	.protected	_ZN7rocprim17ROCPRIM_400000_NS6detail17trampoline_kernelINS0_14default_configENS1_35radix_sort_onesweep_config_selectorIlNS0_10empty_typeEEEZNS1_34radix_sort_onesweep_global_offsetsIS3_Lb1EPKlPS5_mNS0_19identity_decomposerEEE10hipError_tT1_T2_PT3_SF_jT4_jjP12ihipStream_tbEUlT_E_NS1_11comp_targetILNS1_3genE3ELNS1_11target_archE908ELNS1_3gpuE7ELNS1_3repE0EEENS1_52radix_sort_onesweep_histogram_config_static_selectorELNS0_4arch9wavefront6targetE0EEEvSD_ ; -- Begin function _ZN7rocprim17ROCPRIM_400000_NS6detail17trampoline_kernelINS0_14default_configENS1_35radix_sort_onesweep_config_selectorIlNS0_10empty_typeEEEZNS1_34radix_sort_onesweep_global_offsetsIS3_Lb1EPKlPS5_mNS0_19identity_decomposerEEE10hipError_tT1_T2_PT3_SF_jT4_jjP12ihipStream_tbEUlT_E_NS1_11comp_targetILNS1_3genE3ELNS1_11target_archE908ELNS1_3gpuE7ELNS1_3repE0EEENS1_52radix_sort_onesweep_histogram_config_static_selectorELNS0_4arch9wavefront6targetE0EEEvSD_
	.globl	_ZN7rocprim17ROCPRIM_400000_NS6detail17trampoline_kernelINS0_14default_configENS1_35radix_sort_onesweep_config_selectorIlNS0_10empty_typeEEEZNS1_34radix_sort_onesweep_global_offsetsIS3_Lb1EPKlPS5_mNS0_19identity_decomposerEEE10hipError_tT1_T2_PT3_SF_jT4_jjP12ihipStream_tbEUlT_E_NS1_11comp_targetILNS1_3genE3ELNS1_11target_archE908ELNS1_3gpuE7ELNS1_3repE0EEENS1_52radix_sort_onesweep_histogram_config_static_selectorELNS0_4arch9wavefront6targetE0EEEvSD_
	.p2align	8
	.type	_ZN7rocprim17ROCPRIM_400000_NS6detail17trampoline_kernelINS0_14default_configENS1_35radix_sort_onesweep_config_selectorIlNS0_10empty_typeEEEZNS1_34radix_sort_onesweep_global_offsetsIS3_Lb1EPKlPS5_mNS0_19identity_decomposerEEE10hipError_tT1_T2_PT3_SF_jT4_jjP12ihipStream_tbEUlT_E_NS1_11comp_targetILNS1_3genE3ELNS1_11target_archE908ELNS1_3gpuE7ELNS1_3repE0EEENS1_52radix_sort_onesweep_histogram_config_static_selectorELNS0_4arch9wavefront6targetE0EEEvSD_,@function
_ZN7rocprim17ROCPRIM_400000_NS6detail17trampoline_kernelINS0_14default_configENS1_35radix_sort_onesweep_config_selectorIlNS0_10empty_typeEEEZNS1_34radix_sort_onesweep_global_offsetsIS3_Lb1EPKlPS5_mNS0_19identity_decomposerEEE10hipError_tT1_T2_PT3_SF_jT4_jjP12ihipStream_tbEUlT_E_NS1_11comp_targetILNS1_3genE3ELNS1_11target_archE908ELNS1_3gpuE7ELNS1_3repE0EEENS1_52radix_sort_onesweep_histogram_config_static_selectorELNS0_4arch9wavefront6targetE0EEEvSD_: ; @_ZN7rocprim17ROCPRIM_400000_NS6detail17trampoline_kernelINS0_14default_configENS1_35radix_sort_onesweep_config_selectorIlNS0_10empty_typeEEEZNS1_34radix_sort_onesweep_global_offsetsIS3_Lb1EPKlPS5_mNS0_19identity_decomposerEEE10hipError_tT1_T2_PT3_SF_jT4_jjP12ihipStream_tbEUlT_E_NS1_11comp_targetILNS1_3genE3ELNS1_11target_archE908ELNS1_3gpuE7ELNS1_3repE0EEENS1_52radix_sort_onesweep_histogram_config_static_selectorELNS0_4arch9wavefront6targetE0EEEvSD_
; %bb.0:
	.section	.rodata,"a",@progbits
	.p2align	6, 0x0
	.amdhsa_kernel _ZN7rocprim17ROCPRIM_400000_NS6detail17trampoline_kernelINS0_14default_configENS1_35radix_sort_onesweep_config_selectorIlNS0_10empty_typeEEEZNS1_34radix_sort_onesweep_global_offsetsIS3_Lb1EPKlPS5_mNS0_19identity_decomposerEEE10hipError_tT1_T2_PT3_SF_jT4_jjP12ihipStream_tbEUlT_E_NS1_11comp_targetILNS1_3genE3ELNS1_11target_archE908ELNS1_3gpuE7ELNS1_3repE0EEENS1_52radix_sort_onesweep_histogram_config_static_selectorELNS0_4arch9wavefront6targetE0EEEvSD_
		.amdhsa_group_segment_fixed_size 0
		.amdhsa_private_segment_fixed_size 0
		.amdhsa_kernarg_size 48
		.amdhsa_user_sgpr_count 2
		.amdhsa_user_sgpr_dispatch_ptr 0
		.amdhsa_user_sgpr_queue_ptr 0
		.amdhsa_user_sgpr_kernarg_segment_ptr 1
		.amdhsa_user_sgpr_dispatch_id 0
		.amdhsa_user_sgpr_kernarg_preload_length 0
		.amdhsa_user_sgpr_kernarg_preload_offset 0
		.amdhsa_user_sgpr_private_segment_size 0
		.amdhsa_wavefront_size32 1
		.amdhsa_uses_dynamic_stack 0
		.amdhsa_enable_private_segment 0
		.amdhsa_system_sgpr_workgroup_id_x 1
		.amdhsa_system_sgpr_workgroup_id_y 0
		.amdhsa_system_sgpr_workgroup_id_z 0
		.amdhsa_system_sgpr_workgroup_info 0
		.amdhsa_system_vgpr_workitem_id 0
		.amdhsa_next_free_vgpr 1
		.amdhsa_next_free_sgpr 1
		.amdhsa_named_barrier_count 0
		.amdhsa_reserve_vcc 0
		.amdhsa_float_round_mode_32 0
		.amdhsa_float_round_mode_16_64 0
		.amdhsa_float_denorm_mode_32 3
		.amdhsa_float_denorm_mode_16_64 3
		.amdhsa_fp16_overflow 0
		.amdhsa_memory_ordered 1
		.amdhsa_forward_progress 1
		.amdhsa_inst_pref_size 0
		.amdhsa_round_robin_scheduling 0
		.amdhsa_exception_fp_ieee_invalid_op 0
		.amdhsa_exception_fp_denorm_src 0
		.amdhsa_exception_fp_ieee_div_zero 0
		.amdhsa_exception_fp_ieee_overflow 0
		.amdhsa_exception_fp_ieee_underflow 0
		.amdhsa_exception_fp_ieee_inexact 0
		.amdhsa_exception_int_div_zero 0
	.end_amdhsa_kernel
	.section	.text._ZN7rocprim17ROCPRIM_400000_NS6detail17trampoline_kernelINS0_14default_configENS1_35radix_sort_onesweep_config_selectorIlNS0_10empty_typeEEEZNS1_34radix_sort_onesweep_global_offsetsIS3_Lb1EPKlPS5_mNS0_19identity_decomposerEEE10hipError_tT1_T2_PT3_SF_jT4_jjP12ihipStream_tbEUlT_E_NS1_11comp_targetILNS1_3genE3ELNS1_11target_archE908ELNS1_3gpuE7ELNS1_3repE0EEENS1_52radix_sort_onesweep_histogram_config_static_selectorELNS0_4arch9wavefront6targetE0EEEvSD_,"axG",@progbits,_ZN7rocprim17ROCPRIM_400000_NS6detail17trampoline_kernelINS0_14default_configENS1_35radix_sort_onesweep_config_selectorIlNS0_10empty_typeEEEZNS1_34radix_sort_onesweep_global_offsetsIS3_Lb1EPKlPS5_mNS0_19identity_decomposerEEE10hipError_tT1_T2_PT3_SF_jT4_jjP12ihipStream_tbEUlT_E_NS1_11comp_targetILNS1_3genE3ELNS1_11target_archE908ELNS1_3gpuE7ELNS1_3repE0EEENS1_52radix_sort_onesweep_histogram_config_static_selectorELNS0_4arch9wavefront6targetE0EEEvSD_,comdat
.Lfunc_end1075:
	.size	_ZN7rocprim17ROCPRIM_400000_NS6detail17trampoline_kernelINS0_14default_configENS1_35radix_sort_onesweep_config_selectorIlNS0_10empty_typeEEEZNS1_34radix_sort_onesweep_global_offsetsIS3_Lb1EPKlPS5_mNS0_19identity_decomposerEEE10hipError_tT1_T2_PT3_SF_jT4_jjP12ihipStream_tbEUlT_E_NS1_11comp_targetILNS1_3genE3ELNS1_11target_archE908ELNS1_3gpuE7ELNS1_3repE0EEENS1_52radix_sort_onesweep_histogram_config_static_selectorELNS0_4arch9wavefront6targetE0EEEvSD_, .Lfunc_end1075-_ZN7rocprim17ROCPRIM_400000_NS6detail17trampoline_kernelINS0_14default_configENS1_35radix_sort_onesweep_config_selectorIlNS0_10empty_typeEEEZNS1_34radix_sort_onesweep_global_offsetsIS3_Lb1EPKlPS5_mNS0_19identity_decomposerEEE10hipError_tT1_T2_PT3_SF_jT4_jjP12ihipStream_tbEUlT_E_NS1_11comp_targetILNS1_3genE3ELNS1_11target_archE908ELNS1_3gpuE7ELNS1_3repE0EEENS1_52radix_sort_onesweep_histogram_config_static_selectorELNS0_4arch9wavefront6targetE0EEEvSD_
                                        ; -- End function
	.set _ZN7rocprim17ROCPRIM_400000_NS6detail17trampoline_kernelINS0_14default_configENS1_35radix_sort_onesweep_config_selectorIlNS0_10empty_typeEEEZNS1_34radix_sort_onesweep_global_offsetsIS3_Lb1EPKlPS5_mNS0_19identity_decomposerEEE10hipError_tT1_T2_PT3_SF_jT4_jjP12ihipStream_tbEUlT_E_NS1_11comp_targetILNS1_3genE3ELNS1_11target_archE908ELNS1_3gpuE7ELNS1_3repE0EEENS1_52radix_sort_onesweep_histogram_config_static_selectorELNS0_4arch9wavefront6targetE0EEEvSD_.num_vgpr, 0
	.set _ZN7rocprim17ROCPRIM_400000_NS6detail17trampoline_kernelINS0_14default_configENS1_35radix_sort_onesweep_config_selectorIlNS0_10empty_typeEEEZNS1_34radix_sort_onesweep_global_offsetsIS3_Lb1EPKlPS5_mNS0_19identity_decomposerEEE10hipError_tT1_T2_PT3_SF_jT4_jjP12ihipStream_tbEUlT_E_NS1_11comp_targetILNS1_3genE3ELNS1_11target_archE908ELNS1_3gpuE7ELNS1_3repE0EEENS1_52radix_sort_onesweep_histogram_config_static_selectorELNS0_4arch9wavefront6targetE0EEEvSD_.num_agpr, 0
	.set _ZN7rocprim17ROCPRIM_400000_NS6detail17trampoline_kernelINS0_14default_configENS1_35radix_sort_onesweep_config_selectorIlNS0_10empty_typeEEEZNS1_34radix_sort_onesweep_global_offsetsIS3_Lb1EPKlPS5_mNS0_19identity_decomposerEEE10hipError_tT1_T2_PT3_SF_jT4_jjP12ihipStream_tbEUlT_E_NS1_11comp_targetILNS1_3genE3ELNS1_11target_archE908ELNS1_3gpuE7ELNS1_3repE0EEENS1_52radix_sort_onesweep_histogram_config_static_selectorELNS0_4arch9wavefront6targetE0EEEvSD_.numbered_sgpr, 0
	.set _ZN7rocprim17ROCPRIM_400000_NS6detail17trampoline_kernelINS0_14default_configENS1_35radix_sort_onesweep_config_selectorIlNS0_10empty_typeEEEZNS1_34radix_sort_onesweep_global_offsetsIS3_Lb1EPKlPS5_mNS0_19identity_decomposerEEE10hipError_tT1_T2_PT3_SF_jT4_jjP12ihipStream_tbEUlT_E_NS1_11comp_targetILNS1_3genE3ELNS1_11target_archE908ELNS1_3gpuE7ELNS1_3repE0EEENS1_52radix_sort_onesweep_histogram_config_static_selectorELNS0_4arch9wavefront6targetE0EEEvSD_.num_named_barrier, 0
	.set _ZN7rocprim17ROCPRIM_400000_NS6detail17trampoline_kernelINS0_14default_configENS1_35radix_sort_onesweep_config_selectorIlNS0_10empty_typeEEEZNS1_34radix_sort_onesweep_global_offsetsIS3_Lb1EPKlPS5_mNS0_19identity_decomposerEEE10hipError_tT1_T2_PT3_SF_jT4_jjP12ihipStream_tbEUlT_E_NS1_11comp_targetILNS1_3genE3ELNS1_11target_archE908ELNS1_3gpuE7ELNS1_3repE0EEENS1_52radix_sort_onesweep_histogram_config_static_selectorELNS0_4arch9wavefront6targetE0EEEvSD_.private_seg_size, 0
	.set _ZN7rocprim17ROCPRIM_400000_NS6detail17trampoline_kernelINS0_14default_configENS1_35radix_sort_onesweep_config_selectorIlNS0_10empty_typeEEEZNS1_34radix_sort_onesweep_global_offsetsIS3_Lb1EPKlPS5_mNS0_19identity_decomposerEEE10hipError_tT1_T2_PT3_SF_jT4_jjP12ihipStream_tbEUlT_E_NS1_11comp_targetILNS1_3genE3ELNS1_11target_archE908ELNS1_3gpuE7ELNS1_3repE0EEENS1_52radix_sort_onesweep_histogram_config_static_selectorELNS0_4arch9wavefront6targetE0EEEvSD_.uses_vcc, 0
	.set _ZN7rocprim17ROCPRIM_400000_NS6detail17trampoline_kernelINS0_14default_configENS1_35radix_sort_onesweep_config_selectorIlNS0_10empty_typeEEEZNS1_34radix_sort_onesweep_global_offsetsIS3_Lb1EPKlPS5_mNS0_19identity_decomposerEEE10hipError_tT1_T2_PT3_SF_jT4_jjP12ihipStream_tbEUlT_E_NS1_11comp_targetILNS1_3genE3ELNS1_11target_archE908ELNS1_3gpuE7ELNS1_3repE0EEENS1_52radix_sort_onesweep_histogram_config_static_selectorELNS0_4arch9wavefront6targetE0EEEvSD_.uses_flat_scratch, 0
	.set _ZN7rocprim17ROCPRIM_400000_NS6detail17trampoline_kernelINS0_14default_configENS1_35radix_sort_onesweep_config_selectorIlNS0_10empty_typeEEEZNS1_34radix_sort_onesweep_global_offsetsIS3_Lb1EPKlPS5_mNS0_19identity_decomposerEEE10hipError_tT1_T2_PT3_SF_jT4_jjP12ihipStream_tbEUlT_E_NS1_11comp_targetILNS1_3genE3ELNS1_11target_archE908ELNS1_3gpuE7ELNS1_3repE0EEENS1_52radix_sort_onesweep_histogram_config_static_selectorELNS0_4arch9wavefront6targetE0EEEvSD_.has_dyn_sized_stack, 0
	.set _ZN7rocprim17ROCPRIM_400000_NS6detail17trampoline_kernelINS0_14default_configENS1_35radix_sort_onesweep_config_selectorIlNS0_10empty_typeEEEZNS1_34radix_sort_onesweep_global_offsetsIS3_Lb1EPKlPS5_mNS0_19identity_decomposerEEE10hipError_tT1_T2_PT3_SF_jT4_jjP12ihipStream_tbEUlT_E_NS1_11comp_targetILNS1_3genE3ELNS1_11target_archE908ELNS1_3gpuE7ELNS1_3repE0EEENS1_52radix_sort_onesweep_histogram_config_static_selectorELNS0_4arch9wavefront6targetE0EEEvSD_.has_recursion, 0
	.set _ZN7rocprim17ROCPRIM_400000_NS6detail17trampoline_kernelINS0_14default_configENS1_35radix_sort_onesweep_config_selectorIlNS0_10empty_typeEEEZNS1_34radix_sort_onesweep_global_offsetsIS3_Lb1EPKlPS5_mNS0_19identity_decomposerEEE10hipError_tT1_T2_PT3_SF_jT4_jjP12ihipStream_tbEUlT_E_NS1_11comp_targetILNS1_3genE3ELNS1_11target_archE908ELNS1_3gpuE7ELNS1_3repE0EEENS1_52radix_sort_onesweep_histogram_config_static_selectorELNS0_4arch9wavefront6targetE0EEEvSD_.has_indirect_call, 0
	.section	.AMDGPU.csdata,"",@progbits
; Kernel info:
; codeLenInByte = 0
; TotalNumSgprs: 0
; NumVgprs: 0
; ScratchSize: 0
; MemoryBound: 0
; FloatMode: 240
; IeeeMode: 1
; LDSByteSize: 0 bytes/workgroup (compile time only)
; SGPRBlocks: 0
; VGPRBlocks: 0
; NumSGPRsForWavesPerEU: 1
; NumVGPRsForWavesPerEU: 1
; NamedBarCnt: 0
; Occupancy: 16
; WaveLimiterHint : 0
; COMPUTE_PGM_RSRC2:SCRATCH_EN: 0
; COMPUTE_PGM_RSRC2:USER_SGPR: 2
; COMPUTE_PGM_RSRC2:TRAP_HANDLER: 0
; COMPUTE_PGM_RSRC2:TGID_X_EN: 1
; COMPUTE_PGM_RSRC2:TGID_Y_EN: 0
; COMPUTE_PGM_RSRC2:TGID_Z_EN: 0
; COMPUTE_PGM_RSRC2:TIDIG_COMP_CNT: 0
	.section	.text._ZN7rocprim17ROCPRIM_400000_NS6detail17trampoline_kernelINS0_14default_configENS1_35radix_sort_onesweep_config_selectorIlNS0_10empty_typeEEEZNS1_34radix_sort_onesweep_global_offsetsIS3_Lb1EPKlPS5_mNS0_19identity_decomposerEEE10hipError_tT1_T2_PT3_SF_jT4_jjP12ihipStream_tbEUlT_E_NS1_11comp_targetILNS1_3genE10ELNS1_11target_archE1201ELNS1_3gpuE5ELNS1_3repE0EEENS1_52radix_sort_onesweep_histogram_config_static_selectorELNS0_4arch9wavefront6targetE0EEEvSD_,"axG",@progbits,_ZN7rocprim17ROCPRIM_400000_NS6detail17trampoline_kernelINS0_14default_configENS1_35radix_sort_onesweep_config_selectorIlNS0_10empty_typeEEEZNS1_34radix_sort_onesweep_global_offsetsIS3_Lb1EPKlPS5_mNS0_19identity_decomposerEEE10hipError_tT1_T2_PT3_SF_jT4_jjP12ihipStream_tbEUlT_E_NS1_11comp_targetILNS1_3genE10ELNS1_11target_archE1201ELNS1_3gpuE5ELNS1_3repE0EEENS1_52radix_sort_onesweep_histogram_config_static_selectorELNS0_4arch9wavefront6targetE0EEEvSD_,comdat
	.protected	_ZN7rocprim17ROCPRIM_400000_NS6detail17trampoline_kernelINS0_14default_configENS1_35radix_sort_onesweep_config_selectorIlNS0_10empty_typeEEEZNS1_34radix_sort_onesweep_global_offsetsIS3_Lb1EPKlPS5_mNS0_19identity_decomposerEEE10hipError_tT1_T2_PT3_SF_jT4_jjP12ihipStream_tbEUlT_E_NS1_11comp_targetILNS1_3genE10ELNS1_11target_archE1201ELNS1_3gpuE5ELNS1_3repE0EEENS1_52radix_sort_onesweep_histogram_config_static_selectorELNS0_4arch9wavefront6targetE0EEEvSD_ ; -- Begin function _ZN7rocprim17ROCPRIM_400000_NS6detail17trampoline_kernelINS0_14default_configENS1_35radix_sort_onesweep_config_selectorIlNS0_10empty_typeEEEZNS1_34radix_sort_onesweep_global_offsetsIS3_Lb1EPKlPS5_mNS0_19identity_decomposerEEE10hipError_tT1_T2_PT3_SF_jT4_jjP12ihipStream_tbEUlT_E_NS1_11comp_targetILNS1_3genE10ELNS1_11target_archE1201ELNS1_3gpuE5ELNS1_3repE0EEENS1_52radix_sort_onesweep_histogram_config_static_selectorELNS0_4arch9wavefront6targetE0EEEvSD_
	.globl	_ZN7rocprim17ROCPRIM_400000_NS6detail17trampoline_kernelINS0_14default_configENS1_35radix_sort_onesweep_config_selectorIlNS0_10empty_typeEEEZNS1_34radix_sort_onesweep_global_offsetsIS3_Lb1EPKlPS5_mNS0_19identity_decomposerEEE10hipError_tT1_T2_PT3_SF_jT4_jjP12ihipStream_tbEUlT_E_NS1_11comp_targetILNS1_3genE10ELNS1_11target_archE1201ELNS1_3gpuE5ELNS1_3repE0EEENS1_52radix_sort_onesweep_histogram_config_static_selectorELNS0_4arch9wavefront6targetE0EEEvSD_
	.p2align	8
	.type	_ZN7rocprim17ROCPRIM_400000_NS6detail17trampoline_kernelINS0_14default_configENS1_35radix_sort_onesweep_config_selectorIlNS0_10empty_typeEEEZNS1_34radix_sort_onesweep_global_offsetsIS3_Lb1EPKlPS5_mNS0_19identity_decomposerEEE10hipError_tT1_T2_PT3_SF_jT4_jjP12ihipStream_tbEUlT_E_NS1_11comp_targetILNS1_3genE10ELNS1_11target_archE1201ELNS1_3gpuE5ELNS1_3repE0EEENS1_52radix_sort_onesweep_histogram_config_static_selectorELNS0_4arch9wavefront6targetE0EEEvSD_,@function
_ZN7rocprim17ROCPRIM_400000_NS6detail17trampoline_kernelINS0_14default_configENS1_35radix_sort_onesweep_config_selectorIlNS0_10empty_typeEEEZNS1_34radix_sort_onesweep_global_offsetsIS3_Lb1EPKlPS5_mNS0_19identity_decomposerEEE10hipError_tT1_T2_PT3_SF_jT4_jjP12ihipStream_tbEUlT_E_NS1_11comp_targetILNS1_3genE10ELNS1_11target_archE1201ELNS1_3gpuE5ELNS1_3repE0EEENS1_52radix_sort_onesweep_histogram_config_static_selectorELNS0_4arch9wavefront6targetE0EEEvSD_: ; @_ZN7rocprim17ROCPRIM_400000_NS6detail17trampoline_kernelINS0_14default_configENS1_35radix_sort_onesweep_config_selectorIlNS0_10empty_typeEEEZNS1_34radix_sort_onesweep_global_offsetsIS3_Lb1EPKlPS5_mNS0_19identity_decomposerEEE10hipError_tT1_T2_PT3_SF_jT4_jjP12ihipStream_tbEUlT_E_NS1_11comp_targetILNS1_3genE10ELNS1_11target_archE1201ELNS1_3gpuE5ELNS1_3repE0EEENS1_52radix_sort_onesweep_histogram_config_static_selectorELNS0_4arch9wavefront6targetE0EEEvSD_
; %bb.0:
	.section	.rodata,"a",@progbits
	.p2align	6, 0x0
	.amdhsa_kernel _ZN7rocprim17ROCPRIM_400000_NS6detail17trampoline_kernelINS0_14default_configENS1_35radix_sort_onesweep_config_selectorIlNS0_10empty_typeEEEZNS1_34radix_sort_onesweep_global_offsetsIS3_Lb1EPKlPS5_mNS0_19identity_decomposerEEE10hipError_tT1_T2_PT3_SF_jT4_jjP12ihipStream_tbEUlT_E_NS1_11comp_targetILNS1_3genE10ELNS1_11target_archE1201ELNS1_3gpuE5ELNS1_3repE0EEENS1_52radix_sort_onesweep_histogram_config_static_selectorELNS0_4arch9wavefront6targetE0EEEvSD_
		.amdhsa_group_segment_fixed_size 0
		.amdhsa_private_segment_fixed_size 0
		.amdhsa_kernarg_size 48
		.amdhsa_user_sgpr_count 2
		.amdhsa_user_sgpr_dispatch_ptr 0
		.amdhsa_user_sgpr_queue_ptr 0
		.amdhsa_user_sgpr_kernarg_segment_ptr 1
		.amdhsa_user_sgpr_dispatch_id 0
		.amdhsa_user_sgpr_kernarg_preload_length 0
		.amdhsa_user_sgpr_kernarg_preload_offset 0
		.amdhsa_user_sgpr_private_segment_size 0
		.amdhsa_wavefront_size32 1
		.amdhsa_uses_dynamic_stack 0
		.amdhsa_enable_private_segment 0
		.amdhsa_system_sgpr_workgroup_id_x 1
		.amdhsa_system_sgpr_workgroup_id_y 0
		.amdhsa_system_sgpr_workgroup_id_z 0
		.amdhsa_system_sgpr_workgroup_info 0
		.amdhsa_system_vgpr_workitem_id 0
		.amdhsa_next_free_vgpr 1
		.amdhsa_next_free_sgpr 1
		.amdhsa_named_barrier_count 0
		.amdhsa_reserve_vcc 0
		.amdhsa_float_round_mode_32 0
		.amdhsa_float_round_mode_16_64 0
		.amdhsa_float_denorm_mode_32 3
		.amdhsa_float_denorm_mode_16_64 3
		.amdhsa_fp16_overflow 0
		.amdhsa_memory_ordered 1
		.amdhsa_forward_progress 1
		.amdhsa_inst_pref_size 0
		.amdhsa_round_robin_scheduling 0
		.amdhsa_exception_fp_ieee_invalid_op 0
		.amdhsa_exception_fp_denorm_src 0
		.amdhsa_exception_fp_ieee_div_zero 0
		.amdhsa_exception_fp_ieee_overflow 0
		.amdhsa_exception_fp_ieee_underflow 0
		.amdhsa_exception_fp_ieee_inexact 0
		.amdhsa_exception_int_div_zero 0
	.end_amdhsa_kernel
	.section	.text._ZN7rocprim17ROCPRIM_400000_NS6detail17trampoline_kernelINS0_14default_configENS1_35radix_sort_onesweep_config_selectorIlNS0_10empty_typeEEEZNS1_34radix_sort_onesweep_global_offsetsIS3_Lb1EPKlPS5_mNS0_19identity_decomposerEEE10hipError_tT1_T2_PT3_SF_jT4_jjP12ihipStream_tbEUlT_E_NS1_11comp_targetILNS1_3genE10ELNS1_11target_archE1201ELNS1_3gpuE5ELNS1_3repE0EEENS1_52radix_sort_onesweep_histogram_config_static_selectorELNS0_4arch9wavefront6targetE0EEEvSD_,"axG",@progbits,_ZN7rocprim17ROCPRIM_400000_NS6detail17trampoline_kernelINS0_14default_configENS1_35radix_sort_onesweep_config_selectorIlNS0_10empty_typeEEEZNS1_34radix_sort_onesweep_global_offsetsIS3_Lb1EPKlPS5_mNS0_19identity_decomposerEEE10hipError_tT1_T2_PT3_SF_jT4_jjP12ihipStream_tbEUlT_E_NS1_11comp_targetILNS1_3genE10ELNS1_11target_archE1201ELNS1_3gpuE5ELNS1_3repE0EEENS1_52radix_sort_onesweep_histogram_config_static_selectorELNS0_4arch9wavefront6targetE0EEEvSD_,comdat
.Lfunc_end1076:
	.size	_ZN7rocprim17ROCPRIM_400000_NS6detail17trampoline_kernelINS0_14default_configENS1_35radix_sort_onesweep_config_selectorIlNS0_10empty_typeEEEZNS1_34radix_sort_onesweep_global_offsetsIS3_Lb1EPKlPS5_mNS0_19identity_decomposerEEE10hipError_tT1_T2_PT3_SF_jT4_jjP12ihipStream_tbEUlT_E_NS1_11comp_targetILNS1_3genE10ELNS1_11target_archE1201ELNS1_3gpuE5ELNS1_3repE0EEENS1_52radix_sort_onesweep_histogram_config_static_selectorELNS0_4arch9wavefront6targetE0EEEvSD_, .Lfunc_end1076-_ZN7rocprim17ROCPRIM_400000_NS6detail17trampoline_kernelINS0_14default_configENS1_35radix_sort_onesweep_config_selectorIlNS0_10empty_typeEEEZNS1_34radix_sort_onesweep_global_offsetsIS3_Lb1EPKlPS5_mNS0_19identity_decomposerEEE10hipError_tT1_T2_PT3_SF_jT4_jjP12ihipStream_tbEUlT_E_NS1_11comp_targetILNS1_3genE10ELNS1_11target_archE1201ELNS1_3gpuE5ELNS1_3repE0EEENS1_52radix_sort_onesweep_histogram_config_static_selectorELNS0_4arch9wavefront6targetE0EEEvSD_
                                        ; -- End function
	.set _ZN7rocprim17ROCPRIM_400000_NS6detail17trampoline_kernelINS0_14default_configENS1_35radix_sort_onesweep_config_selectorIlNS0_10empty_typeEEEZNS1_34radix_sort_onesweep_global_offsetsIS3_Lb1EPKlPS5_mNS0_19identity_decomposerEEE10hipError_tT1_T2_PT3_SF_jT4_jjP12ihipStream_tbEUlT_E_NS1_11comp_targetILNS1_3genE10ELNS1_11target_archE1201ELNS1_3gpuE5ELNS1_3repE0EEENS1_52radix_sort_onesweep_histogram_config_static_selectorELNS0_4arch9wavefront6targetE0EEEvSD_.num_vgpr, 0
	.set _ZN7rocprim17ROCPRIM_400000_NS6detail17trampoline_kernelINS0_14default_configENS1_35radix_sort_onesweep_config_selectorIlNS0_10empty_typeEEEZNS1_34radix_sort_onesweep_global_offsetsIS3_Lb1EPKlPS5_mNS0_19identity_decomposerEEE10hipError_tT1_T2_PT3_SF_jT4_jjP12ihipStream_tbEUlT_E_NS1_11comp_targetILNS1_3genE10ELNS1_11target_archE1201ELNS1_3gpuE5ELNS1_3repE0EEENS1_52radix_sort_onesweep_histogram_config_static_selectorELNS0_4arch9wavefront6targetE0EEEvSD_.num_agpr, 0
	.set _ZN7rocprim17ROCPRIM_400000_NS6detail17trampoline_kernelINS0_14default_configENS1_35radix_sort_onesweep_config_selectorIlNS0_10empty_typeEEEZNS1_34radix_sort_onesweep_global_offsetsIS3_Lb1EPKlPS5_mNS0_19identity_decomposerEEE10hipError_tT1_T2_PT3_SF_jT4_jjP12ihipStream_tbEUlT_E_NS1_11comp_targetILNS1_3genE10ELNS1_11target_archE1201ELNS1_3gpuE5ELNS1_3repE0EEENS1_52radix_sort_onesweep_histogram_config_static_selectorELNS0_4arch9wavefront6targetE0EEEvSD_.numbered_sgpr, 0
	.set _ZN7rocprim17ROCPRIM_400000_NS6detail17trampoline_kernelINS0_14default_configENS1_35radix_sort_onesweep_config_selectorIlNS0_10empty_typeEEEZNS1_34radix_sort_onesweep_global_offsetsIS3_Lb1EPKlPS5_mNS0_19identity_decomposerEEE10hipError_tT1_T2_PT3_SF_jT4_jjP12ihipStream_tbEUlT_E_NS1_11comp_targetILNS1_3genE10ELNS1_11target_archE1201ELNS1_3gpuE5ELNS1_3repE0EEENS1_52radix_sort_onesweep_histogram_config_static_selectorELNS0_4arch9wavefront6targetE0EEEvSD_.num_named_barrier, 0
	.set _ZN7rocprim17ROCPRIM_400000_NS6detail17trampoline_kernelINS0_14default_configENS1_35radix_sort_onesweep_config_selectorIlNS0_10empty_typeEEEZNS1_34radix_sort_onesweep_global_offsetsIS3_Lb1EPKlPS5_mNS0_19identity_decomposerEEE10hipError_tT1_T2_PT3_SF_jT4_jjP12ihipStream_tbEUlT_E_NS1_11comp_targetILNS1_3genE10ELNS1_11target_archE1201ELNS1_3gpuE5ELNS1_3repE0EEENS1_52radix_sort_onesweep_histogram_config_static_selectorELNS0_4arch9wavefront6targetE0EEEvSD_.private_seg_size, 0
	.set _ZN7rocprim17ROCPRIM_400000_NS6detail17trampoline_kernelINS0_14default_configENS1_35radix_sort_onesweep_config_selectorIlNS0_10empty_typeEEEZNS1_34radix_sort_onesweep_global_offsetsIS3_Lb1EPKlPS5_mNS0_19identity_decomposerEEE10hipError_tT1_T2_PT3_SF_jT4_jjP12ihipStream_tbEUlT_E_NS1_11comp_targetILNS1_3genE10ELNS1_11target_archE1201ELNS1_3gpuE5ELNS1_3repE0EEENS1_52radix_sort_onesweep_histogram_config_static_selectorELNS0_4arch9wavefront6targetE0EEEvSD_.uses_vcc, 0
	.set _ZN7rocprim17ROCPRIM_400000_NS6detail17trampoline_kernelINS0_14default_configENS1_35radix_sort_onesweep_config_selectorIlNS0_10empty_typeEEEZNS1_34radix_sort_onesweep_global_offsetsIS3_Lb1EPKlPS5_mNS0_19identity_decomposerEEE10hipError_tT1_T2_PT3_SF_jT4_jjP12ihipStream_tbEUlT_E_NS1_11comp_targetILNS1_3genE10ELNS1_11target_archE1201ELNS1_3gpuE5ELNS1_3repE0EEENS1_52radix_sort_onesweep_histogram_config_static_selectorELNS0_4arch9wavefront6targetE0EEEvSD_.uses_flat_scratch, 0
	.set _ZN7rocprim17ROCPRIM_400000_NS6detail17trampoline_kernelINS0_14default_configENS1_35radix_sort_onesweep_config_selectorIlNS0_10empty_typeEEEZNS1_34radix_sort_onesweep_global_offsetsIS3_Lb1EPKlPS5_mNS0_19identity_decomposerEEE10hipError_tT1_T2_PT3_SF_jT4_jjP12ihipStream_tbEUlT_E_NS1_11comp_targetILNS1_3genE10ELNS1_11target_archE1201ELNS1_3gpuE5ELNS1_3repE0EEENS1_52radix_sort_onesweep_histogram_config_static_selectorELNS0_4arch9wavefront6targetE0EEEvSD_.has_dyn_sized_stack, 0
	.set _ZN7rocprim17ROCPRIM_400000_NS6detail17trampoline_kernelINS0_14default_configENS1_35radix_sort_onesweep_config_selectorIlNS0_10empty_typeEEEZNS1_34radix_sort_onesweep_global_offsetsIS3_Lb1EPKlPS5_mNS0_19identity_decomposerEEE10hipError_tT1_T2_PT3_SF_jT4_jjP12ihipStream_tbEUlT_E_NS1_11comp_targetILNS1_3genE10ELNS1_11target_archE1201ELNS1_3gpuE5ELNS1_3repE0EEENS1_52radix_sort_onesweep_histogram_config_static_selectorELNS0_4arch9wavefront6targetE0EEEvSD_.has_recursion, 0
	.set _ZN7rocprim17ROCPRIM_400000_NS6detail17trampoline_kernelINS0_14default_configENS1_35radix_sort_onesweep_config_selectorIlNS0_10empty_typeEEEZNS1_34radix_sort_onesweep_global_offsetsIS3_Lb1EPKlPS5_mNS0_19identity_decomposerEEE10hipError_tT1_T2_PT3_SF_jT4_jjP12ihipStream_tbEUlT_E_NS1_11comp_targetILNS1_3genE10ELNS1_11target_archE1201ELNS1_3gpuE5ELNS1_3repE0EEENS1_52radix_sort_onesweep_histogram_config_static_selectorELNS0_4arch9wavefront6targetE0EEEvSD_.has_indirect_call, 0
	.section	.AMDGPU.csdata,"",@progbits
; Kernel info:
; codeLenInByte = 0
; TotalNumSgprs: 0
; NumVgprs: 0
; ScratchSize: 0
; MemoryBound: 0
; FloatMode: 240
; IeeeMode: 1
; LDSByteSize: 0 bytes/workgroup (compile time only)
; SGPRBlocks: 0
; VGPRBlocks: 0
; NumSGPRsForWavesPerEU: 1
; NumVGPRsForWavesPerEU: 1
; NamedBarCnt: 0
; Occupancy: 16
; WaveLimiterHint : 0
; COMPUTE_PGM_RSRC2:SCRATCH_EN: 0
; COMPUTE_PGM_RSRC2:USER_SGPR: 2
; COMPUTE_PGM_RSRC2:TRAP_HANDLER: 0
; COMPUTE_PGM_RSRC2:TGID_X_EN: 1
; COMPUTE_PGM_RSRC2:TGID_Y_EN: 0
; COMPUTE_PGM_RSRC2:TGID_Z_EN: 0
; COMPUTE_PGM_RSRC2:TIDIG_COMP_CNT: 0
	.section	.text._ZN7rocprim17ROCPRIM_400000_NS6detail17trampoline_kernelINS0_14default_configENS1_35radix_sort_onesweep_config_selectorIlNS0_10empty_typeEEEZNS1_34radix_sort_onesweep_global_offsetsIS3_Lb1EPKlPS5_mNS0_19identity_decomposerEEE10hipError_tT1_T2_PT3_SF_jT4_jjP12ihipStream_tbEUlT_E_NS1_11comp_targetILNS1_3genE9ELNS1_11target_archE1100ELNS1_3gpuE3ELNS1_3repE0EEENS1_52radix_sort_onesweep_histogram_config_static_selectorELNS0_4arch9wavefront6targetE0EEEvSD_,"axG",@progbits,_ZN7rocprim17ROCPRIM_400000_NS6detail17trampoline_kernelINS0_14default_configENS1_35radix_sort_onesweep_config_selectorIlNS0_10empty_typeEEEZNS1_34radix_sort_onesweep_global_offsetsIS3_Lb1EPKlPS5_mNS0_19identity_decomposerEEE10hipError_tT1_T2_PT3_SF_jT4_jjP12ihipStream_tbEUlT_E_NS1_11comp_targetILNS1_3genE9ELNS1_11target_archE1100ELNS1_3gpuE3ELNS1_3repE0EEENS1_52radix_sort_onesweep_histogram_config_static_selectorELNS0_4arch9wavefront6targetE0EEEvSD_,comdat
	.protected	_ZN7rocprim17ROCPRIM_400000_NS6detail17trampoline_kernelINS0_14default_configENS1_35radix_sort_onesweep_config_selectorIlNS0_10empty_typeEEEZNS1_34radix_sort_onesweep_global_offsetsIS3_Lb1EPKlPS5_mNS0_19identity_decomposerEEE10hipError_tT1_T2_PT3_SF_jT4_jjP12ihipStream_tbEUlT_E_NS1_11comp_targetILNS1_3genE9ELNS1_11target_archE1100ELNS1_3gpuE3ELNS1_3repE0EEENS1_52radix_sort_onesweep_histogram_config_static_selectorELNS0_4arch9wavefront6targetE0EEEvSD_ ; -- Begin function _ZN7rocprim17ROCPRIM_400000_NS6detail17trampoline_kernelINS0_14default_configENS1_35radix_sort_onesweep_config_selectorIlNS0_10empty_typeEEEZNS1_34radix_sort_onesweep_global_offsetsIS3_Lb1EPKlPS5_mNS0_19identity_decomposerEEE10hipError_tT1_T2_PT3_SF_jT4_jjP12ihipStream_tbEUlT_E_NS1_11comp_targetILNS1_3genE9ELNS1_11target_archE1100ELNS1_3gpuE3ELNS1_3repE0EEENS1_52radix_sort_onesweep_histogram_config_static_selectorELNS0_4arch9wavefront6targetE0EEEvSD_
	.globl	_ZN7rocprim17ROCPRIM_400000_NS6detail17trampoline_kernelINS0_14default_configENS1_35radix_sort_onesweep_config_selectorIlNS0_10empty_typeEEEZNS1_34radix_sort_onesweep_global_offsetsIS3_Lb1EPKlPS5_mNS0_19identity_decomposerEEE10hipError_tT1_T2_PT3_SF_jT4_jjP12ihipStream_tbEUlT_E_NS1_11comp_targetILNS1_3genE9ELNS1_11target_archE1100ELNS1_3gpuE3ELNS1_3repE0EEENS1_52radix_sort_onesweep_histogram_config_static_selectorELNS0_4arch9wavefront6targetE0EEEvSD_
	.p2align	8
	.type	_ZN7rocprim17ROCPRIM_400000_NS6detail17trampoline_kernelINS0_14default_configENS1_35radix_sort_onesweep_config_selectorIlNS0_10empty_typeEEEZNS1_34radix_sort_onesweep_global_offsetsIS3_Lb1EPKlPS5_mNS0_19identity_decomposerEEE10hipError_tT1_T2_PT3_SF_jT4_jjP12ihipStream_tbEUlT_E_NS1_11comp_targetILNS1_3genE9ELNS1_11target_archE1100ELNS1_3gpuE3ELNS1_3repE0EEENS1_52radix_sort_onesweep_histogram_config_static_selectorELNS0_4arch9wavefront6targetE0EEEvSD_,@function
_ZN7rocprim17ROCPRIM_400000_NS6detail17trampoline_kernelINS0_14default_configENS1_35radix_sort_onesweep_config_selectorIlNS0_10empty_typeEEEZNS1_34radix_sort_onesweep_global_offsetsIS3_Lb1EPKlPS5_mNS0_19identity_decomposerEEE10hipError_tT1_T2_PT3_SF_jT4_jjP12ihipStream_tbEUlT_E_NS1_11comp_targetILNS1_3genE9ELNS1_11target_archE1100ELNS1_3gpuE3ELNS1_3repE0EEENS1_52radix_sort_onesweep_histogram_config_static_selectorELNS0_4arch9wavefront6targetE0EEEvSD_: ; @_ZN7rocprim17ROCPRIM_400000_NS6detail17trampoline_kernelINS0_14default_configENS1_35radix_sort_onesweep_config_selectorIlNS0_10empty_typeEEEZNS1_34radix_sort_onesweep_global_offsetsIS3_Lb1EPKlPS5_mNS0_19identity_decomposerEEE10hipError_tT1_T2_PT3_SF_jT4_jjP12ihipStream_tbEUlT_E_NS1_11comp_targetILNS1_3genE9ELNS1_11target_archE1100ELNS1_3gpuE3ELNS1_3repE0EEENS1_52radix_sort_onesweep_histogram_config_static_selectorELNS0_4arch9wavefront6targetE0EEEvSD_
; %bb.0:
	.section	.rodata,"a",@progbits
	.p2align	6, 0x0
	.amdhsa_kernel _ZN7rocprim17ROCPRIM_400000_NS6detail17trampoline_kernelINS0_14default_configENS1_35radix_sort_onesweep_config_selectorIlNS0_10empty_typeEEEZNS1_34radix_sort_onesweep_global_offsetsIS3_Lb1EPKlPS5_mNS0_19identity_decomposerEEE10hipError_tT1_T2_PT3_SF_jT4_jjP12ihipStream_tbEUlT_E_NS1_11comp_targetILNS1_3genE9ELNS1_11target_archE1100ELNS1_3gpuE3ELNS1_3repE0EEENS1_52radix_sort_onesweep_histogram_config_static_selectorELNS0_4arch9wavefront6targetE0EEEvSD_
		.amdhsa_group_segment_fixed_size 0
		.amdhsa_private_segment_fixed_size 0
		.amdhsa_kernarg_size 48
		.amdhsa_user_sgpr_count 2
		.amdhsa_user_sgpr_dispatch_ptr 0
		.amdhsa_user_sgpr_queue_ptr 0
		.amdhsa_user_sgpr_kernarg_segment_ptr 1
		.amdhsa_user_sgpr_dispatch_id 0
		.amdhsa_user_sgpr_kernarg_preload_length 0
		.amdhsa_user_sgpr_kernarg_preload_offset 0
		.amdhsa_user_sgpr_private_segment_size 0
		.amdhsa_wavefront_size32 1
		.amdhsa_uses_dynamic_stack 0
		.amdhsa_enable_private_segment 0
		.amdhsa_system_sgpr_workgroup_id_x 1
		.amdhsa_system_sgpr_workgroup_id_y 0
		.amdhsa_system_sgpr_workgroup_id_z 0
		.amdhsa_system_sgpr_workgroup_info 0
		.amdhsa_system_vgpr_workitem_id 0
		.amdhsa_next_free_vgpr 1
		.amdhsa_next_free_sgpr 1
		.amdhsa_named_barrier_count 0
		.amdhsa_reserve_vcc 0
		.amdhsa_float_round_mode_32 0
		.amdhsa_float_round_mode_16_64 0
		.amdhsa_float_denorm_mode_32 3
		.amdhsa_float_denorm_mode_16_64 3
		.amdhsa_fp16_overflow 0
		.amdhsa_memory_ordered 1
		.amdhsa_forward_progress 1
		.amdhsa_inst_pref_size 0
		.amdhsa_round_robin_scheduling 0
		.amdhsa_exception_fp_ieee_invalid_op 0
		.amdhsa_exception_fp_denorm_src 0
		.amdhsa_exception_fp_ieee_div_zero 0
		.amdhsa_exception_fp_ieee_overflow 0
		.amdhsa_exception_fp_ieee_underflow 0
		.amdhsa_exception_fp_ieee_inexact 0
		.amdhsa_exception_int_div_zero 0
	.end_amdhsa_kernel
	.section	.text._ZN7rocprim17ROCPRIM_400000_NS6detail17trampoline_kernelINS0_14default_configENS1_35radix_sort_onesweep_config_selectorIlNS0_10empty_typeEEEZNS1_34radix_sort_onesweep_global_offsetsIS3_Lb1EPKlPS5_mNS0_19identity_decomposerEEE10hipError_tT1_T2_PT3_SF_jT4_jjP12ihipStream_tbEUlT_E_NS1_11comp_targetILNS1_3genE9ELNS1_11target_archE1100ELNS1_3gpuE3ELNS1_3repE0EEENS1_52radix_sort_onesweep_histogram_config_static_selectorELNS0_4arch9wavefront6targetE0EEEvSD_,"axG",@progbits,_ZN7rocprim17ROCPRIM_400000_NS6detail17trampoline_kernelINS0_14default_configENS1_35radix_sort_onesweep_config_selectorIlNS0_10empty_typeEEEZNS1_34radix_sort_onesweep_global_offsetsIS3_Lb1EPKlPS5_mNS0_19identity_decomposerEEE10hipError_tT1_T2_PT3_SF_jT4_jjP12ihipStream_tbEUlT_E_NS1_11comp_targetILNS1_3genE9ELNS1_11target_archE1100ELNS1_3gpuE3ELNS1_3repE0EEENS1_52radix_sort_onesweep_histogram_config_static_selectorELNS0_4arch9wavefront6targetE0EEEvSD_,comdat
.Lfunc_end1077:
	.size	_ZN7rocprim17ROCPRIM_400000_NS6detail17trampoline_kernelINS0_14default_configENS1_35radix_sort_onesweep_config_selectorIlNS0_10empty_typeEEEZNS1_34radix_sort_onesweep_global_offsetsIS3_Lb1EPKlPS5_mNS0_19identity_decomposerEEE10hipError_tT1_T2_PT3_SF_jT4_jjP12ihipStream_tbEUlT_E_NS1_11comp_targetILNS1_3genE9ELNS1_11target_archE1100ELNS1_3gpuE3ELNS1_3repE0EEENS1_52radix_sort_onesweep_histogram_config_static_selectorELNS0_4arch9wavefront6targetE0EEEvSD_, .Lfunc_end1077-_ZN7rocprim17ROCPRIM_400000_NS6detail17trampoline_kernelINS0_14default_configENS1_35radix_sort_onesweep_config_selectorIlNS0_10empty_typeEEEZNS1_34radix_sort_onesweep_global_offsetsIS3_Lb1EPKlPS5_mNS0_19identity_decomposerEEE10hipError_tT1_T2_PT3_SF_jT4_jjP12ihipStream_tbEUlT_E_NS1_11comp_targetILNS1_3genE9ELNS1_11target_archE1100ELNS1_3gpuE3ELNS1_3repE0EEENS1_52radix_sort_onesweep_histogram_config_static_selectorELNS0_4arch9wavefront6targetE0EEEvSD_
                                        ; -- End function
	.set _ZN7rocprim17ROCPRIM_400000_NS6detail17trampoline_kernelINS0_14default_configENS1_35radix_sort_onesweep_config_selectorIlNS0_10empty_typeEEEZNS1_34radix_sort_onesweep_global_offsetsIS3_Lb1EPKlPS5_mNS0_19identity_decomposerEEE10hipError_tT1_T2_PT3_SF_jT4_jjP12ihipStream_tbEUlT_E_NS1_11comp_targetILNS1_3genE9ELNS1_11target_archE1100ELNS1_3gpuE3ELNS1_3repE0EEENS1_52radix_sort_onesweep_histogram_config_static_selectorELNS0_4arch9wavefront6targetE0EEEvSD_.num_vgpr, 0
	.set _ZN7rocprim17ROCPRIM_400000_NS6detail17trampoline_kernelINS0_14default_configENS1_35radix_sort_onesweep_config_selectorIlNS0_10empty_typeEEEZNS1_34radix_sort_onesweep_global_offsetsIS3_Lb1EPKlPS5_mNS0_19identity_decomposerEEE10hipError_tT1_T2_PT3_SF_jT4_jjP12ihipStream_tbEUlT_E_NS1_11comp_targetILNS1_3genE9ELNS1_11target_archE1100ELNS1_3gpuE3ELNS1_3repE0EEENS1_52radix_sort_onesweep_histogram_config_static_selectorELNS0_4arch9wavefront6targetE0EEEvSD_.num_agpr, 0
	.set _ZN7rocprim17ROCPRIM_400000_NS6detail17trampoline_kernelINS0_14default_configENS1_35radix_sort_onesweep_config_selectorIlNS0_10empty_typeEEEZNS1_34radix_sort_onesweep_global_offsetsIS3_Lb1EPKlPS5_mNS0_19identity_decomposerEEE10hipError_tT1_T2_PT3_SF_jT4_jjP12ihipStream_tbEUlT_E_NS1_11comp_targetILNS1_3genE9ELNS1_11target_archE1100ELNS1_3gpuE3ELNS1_3repE0EEENS1_52radix_sort_onesweep_histogram_config_static_selectorELNS0_4arch9wavefront6targetE0EEEvSD_.numbered_sgpr, 0
	.set _ZN7rocprim17ROCPRIM_400000_NS6detail17trampoline_kernelINS0_14default_configENS1_35radix_sort_onesweep_config_selectorIlNS0_10empty_typeEEEZNS1_34radix_sort_onesweep_global_offsetsIS3_Lb1EPKlPS5_mNS0_19identity_decomposerEEE10hipError_tT1_T2_PT3_SF_jT4_jjP12ihipStream_tbEUlT_E_NS1_11comp_targetILNS1_3genE9ELNS1_11target_archE1100ELNS1_3gpuE3ELNS1_3repE0EEENS1_52radix_sort_onesweep_histogram_config_static_selectorELNS0_4arch9wavefront6targetE0EEEvSD_.num_named_barrier, 0
	.set _ZN7rocprim17ROCPRIM_400000_NS6detail17trampoline_kernelINS0_14default_configENS1_35radix_sort_onesweep_config_selectorIlNS0_10empty_typeEEEZNS1_34radix_sort_onesweep_global_offsetsIS3_Lb1EPKlPS5_mNS0_19identity_decomposerEEE10hipError_tT1_T2_PT3_SF_jT4_jjP12ihipStream_tbEUlT_E_NS1_11comp_targetILNS1_3genE9ELNS1_11target_archE1100ELNS1_3gpuE3ELNS1_3repE0EEENS1_52radix_sort_onesweep_histogram_config_static_selectorELNS0_4arch9wavefront6targetE0EEEvSD_.private_seg_size, 0
	.set _ZN7rocprim17ROCPRIM_400000_NS6detail17trampoline_kernelINS0_14default_configENS1_35radix_sort_onesweep_config_selectorIlNS0_10empty_typeEEEZNS1_34radix_sort_onesweep_global_offsetsIS3_Lb1EPKlPS5_mNS0_19identity_decomposerEEE10hipError_tT1_T2_PT3_SF_jT4_jjP12ihipStream_tbEUlT_E_NS1_11comp_targetILNS1_3genE9ELNS1_11target_archE1100ELNS1_3gpuE3ELNS1_3repE0EEENS1_52radix_sort_onesweep_histogram_config_static_selectorELNS0_4arch9wavefront6targetE0EEEvSD_.uses_vcc, 0
	.set _ZN7rocprim17ROCPRIM_400000_NS6detail17trampoline_kernelINS0_14default_configENS1_35radix_sort_onesweep_config_selectorIlNS0_10empty_typeEEEZNS1_34radix_sort_onesweep_global_offsetsIS3_Lb1EPKlPS5_mNS0_19identity_decomposerEEE10hipError_tT1_T2_PT3_SF_jT4_jjP12ihipStream_tbEUlT_E_NS1_11comp_targetILNS1_3genE9ELNS1_11target_archE1100ELNS1_3gpuE3ELNS1_3repE0EEENS1_52radix_sort_onesweep_histogram_config_static_selectorELNS0_4arch9wavefront6targetE0EEEvSD_.uses_flat_scratch, 0
	.set _ZN7rocprim17ROCPRIM_400000_NS6detail17trampoline_kernelINS0_14default_configENS1_35radix_sort_onesweep_config_selectorIlNS0_10empty_typeEEEZNS1_34radix_sort_onesweep_global_offsetsIS3_Lb1EPKlPS5_mNS0_19identity_decomposerEEE10hipError_tT1_T2_PT3_SF_jT4_jjP12ihipStream_tbEUlT_E_NS1_11comp_targetILNS1_3genE9ELNS1_11target_archE1100ELNS1_3gpuE3ELNS1_3repE0EEENS1_52radix_sort_onesweep_histogram_config_static_selectorELNS0_4arch9wavefront6targetE0EEEvSD_.has_dyn_sized_stack, 0
	.set _ZN7rocprim17ROCPRIM_400000_NS6detail17trampoline_kernelINS0_14default_configENS1_35radix_sort_onesweep_config_selectorIlNS0_10empty_typeEEEZNS1_34radix_sort_onesweep_global_offsetsIS3_Lb1EPKlPS5_mNS0_19identity_decomposerEEE10hipError_tT1_T2_PT3_SF_jT4_jjP12ihipStream_tbEUlT_E_NS1_11comp_targetILNS1_3genE9ELNS1_11target_archE1100ELNS1_3gpuE3ELNS1_3repE0EEENS1_52radix_sort_onesweep_histogram_config_static_selectorELNS0_4arch9wavefront6targetE0EEEvSD_.has_recursion, 0
	.set _ZN7rocprim17ROCPRIM_400000_NS6detail17trampoline_kernelINS0_14default_configENS1_35radix_sort_onesweep_config_selectorIlNS0_10empty_typeEEEZNS1_34radix_sort_onesweep_global_offsetsIS3_Lb1EPKlPS5_mNS0_19identity_decomposerEEE10hipError_tT1_T2_PT3_SF_jT4_jjP12ihipStream_tbEUlT_E_NS1_11comp_targetILNS1_3genE9ELNS1_11target_archE1100ELNS1_3gpuE3ELNS1_3repE0EEENS1_52radix_sort_onesweep_histogram_config_static_selectorELNS0_4arch9wavefront6targetE0EEEvSD_.has_indirect_call, 0
	.section	.AMDGPU.csdata,"",@progbits
; Kernel info:
; codeLenInByte = 0
; TotalNumSgprs: 0
; NumVgprs: 0
; ScratchSize: 0
; MemoryBound: 0
; FloatMode: 240
; IeeeMode: 1
; LDSByteSize: 0 bytes/workgroup (compile time only)
; SGPRBlocks: 0
; VGPRBlocks: 0
; NumSGPRsForWavesPerEU: 1
; NumVGPRsForWavesPerEU: 1
; NamedBarCnt: 0
; Occupancy: 16
; WaveLimiterHint : 0
; COMPUTE_PGM_RSRC2:SCRATCH_EN: 0
; COMPUTE_PGM_RSRC2:USER_SGPR: 2
; COMPUTE_PGM_RSRC2:TRAP_HANDLER: 0
; COMPUTE_PGM_RSRC2:TGID_X_EN: 1
; COMPUTE_PGM_RSRC2:TGID_Y_EN: 0
; COMPUTE_PGM_RSRC2:TGID_Z_EN: 0
; COMPUTE_PGM_RSRC2:TIDIG_COMP_CNT: 0
	.section	.text._ZN7rocprim17ROCPRIM_400000_NS6detail17trampoline_kernelINS0_14default_configENS1_35radix_sort_onesweep_config_selectorIlNS0_10empty_typeEEEZNS1_34radix_sort_onesweep_global_offsetsIS3_Lb1EPKlPS5_mNS0_19identity_decomposerEEE10hipError_tT1_T2_PT3_SF_jT4_jjP12ihipStream_tbEUlT_E_NS1_11comp_targetILNS1_3genE8ELNS1_11target_archE1030ELNS1_3gpuE2ELNS1_3repE0EEENS1_52radix_sort_onesweep_histogram_config_static_selectorELNS0_4arch9wavefront6targetE0EEEvSD_,"axG",@progbits,_ZN7rocprim17ROCPRIM_400000_NS6detail17trampoline_kernelINS0_14default_configENS1_35radix_sort_onesweep_config_selectorIlNS0_10empty_typeEEEZNS1_34radix_sort_onesweep_global_offsetsIS3_Lb1EPKlPS5_mNS0_19identity_decomposerEEE10hipError_tT1_T2_PT3_SF_jT4_jjP12ihipStream_tbEUlT_E_NS1_11comp_targetILNS1_3genE8ELNS1_11target_archE1030ELNS1_3gpuE2ELNS1_3repE0EEENS1_52radix_sort_onesweep_histogram_config_static_selectorELNS0_4arch9wavefront6targetE0EEEvSD_,comdat
	.protected	_ZN7rocprim17ROCPRIM_400000_NS6detail17trampoline_kernelINS0_14default_configENS1_35radix_sort_onesweep_config_selectorIlNS0_10empty_typeEEEZNS1_34radix_sort_onesweep_global_offsetsIS3_Lb1EPKlPS5_mNS0_19identity_decomposerEEE10hipError_tT1_T2_PT3_SF_jT4_jjP12ihipStream_tbEUlT_E_NS1_11comp_targetILNS1_3genE8ELNS1_11target_archE1030ELNS1_3gpuE2ELNS1_3repE0EEENS1_52radix_sort_onesweep_histogram_config_static_selectorELNS0_4arch9wavefront6targetE0EEEvSD_ ; -- Begin function _ZN7rocprim17ROCPRIM_400000_NS6detail17trampoline_kernelINS0_14default_configENS1_35radix_sort_onesweep_config_selectorIlNS0_10empty_typeEEEZNS1_34radix_sort_onesweep_global_offsetsIS3_Lb1EPKlPS5_mNS0_19identity_decomposerEEE10hipError_tT1_T2_PT3_SF_jT4_jjP12ihipStream_tbEUlT_E_NS1_11comp_targetILNS1_3genE8ELNS1_11target_archE1030ELNS1_3gpuE2ELNS1_3repE0EEENS1_52radix_sort_onesweep_histogram_config_static_selectorELNS0_4arch9wavefront6targetE0EEEvSD_
	.globl	_ZN7rocprim17ROCPRIM_400000_NS6detail17trampoline_kernelINS0_14default_configENS1_35radix_sort_onesweep_config_selectorIlNS0_10empty_typeEEEZNS1_34radix_sort_onesweep_global_offsetsIS3_Lb1EPKlPS5_mNS0_19identity_decomposerEEE10hipError_tT1_T2_PT3_SF_jT4_jjP12ihipStream_tbEUlT_E_NS1_11comp_targetILNS1_3genE8ELNS1_11target_archE1030ELNS1_3gpuE2ELNS1_3repE0EEENS1_52radix_sort_onesweep_histogram_config_static_selectorELNS0_4arch9wavefront6targetE0EEEvSD_
	.p2align	8
	.type	_ZN7rocprim17ROCPRIM_400000_NS6detail17trampoline_kernelINS0_14default_configENS1_35radix_sort_onesweep_config_selectorIlNS0_10empty_typeEEEZNS1_34radix_sort_onesweep_global_offsetsIS3_Lb1EPKlPS5_mNS0_19identity_decomposerEEE10hipError_tT1_T2_PT3_SF_jT4_jjP12ihipStream_tbEUlT_E_NS1_11comp_targetILNS1_3genE8ELNS1_11target_archE1030ELNS1_3gpuE2ELNS1_3repE0EEENS1_52radix_sort_onesweep_histogram_config_static_selectorELNS0_4arch9wavefront6targetE0EEEvSD_,@function
_ZN7rocprim17ROCPRIM_400000_NS6detail17trampoline_kernelINS0_14default_configENS1_35radix_sort_onesweep_config_selectorIlNS0_10empty_typeEEEZNS1_34radix_sort_onesweep_global_offsetsIS3_Lb1EPKlPS5_mNS0_19identity_decomposerEEE10hipError_tT1_T2_PT3_SF_jT4_jjP12ihipStream_tbEUlT_E_NS1_11comp_targetILNS1_3genE8ELNS1_11target_archE1030ELNS1_3gpuE2ELNS1_3repE0EEENS1_52radix_sort_onesweep_histogram_config_static_selectorELNS0_4arch9wavefront6targetE0EEEvSD_: ; @_ZN7rocprim17ROCPRIM_400000_NS6detail17trampoline_kernelINS0_14default_configENS1_35radix_sort_onesweep_config_selectorIlNS0_10empty_typeEEEZNS1_34radix_sort_onesweep_global_offsetsIS3_Lb1EPKlPS5_mNS0_19identity_decomposerEEE10hipError_tT1_T2_PT3_SF_jT4_jjP12ihipStream_tbEUlT_E_NS1_11comp_targetILNS1_3genE8ELNS1_11target_archE1030ELNS1_3gpuE2ELNS1_3repE0EEENS1_52radix_sort_onesweep_histogram_config_static_selectorELNS0_4arch9wavefront6targetE0EEEvSD_
; %bb.0:
	.section	.rodata,"a",@progbits
	.p2align	6, 0x0
	.amdhsa_kernel _ZN7rocprim17ROCPRIM_400000_NS6detail17trampoline_kernelINS0_14default_configENS1_35radix_sort_onesweep_config_selectorIlNS0_10empty_typeEEEZNS1_34radix_sort_onesweep_global_offsetsIS3_Lb1EPKlPS5_mNS0_19identity_decomposerEEE10hipError_tT1_T2_PT3_SF_jT4_jjP12ihipStream_tbEUlT_E_NS1_11comp_targetILNS1_3genE8ELNS1_11target_archE1030ELNS1_3gpuE2ELNS1_3repE0EEENS1_52radix_sort_onesweep_histogram_config_static_selectorELNS0_4arch9wavefront6targetE0EEEvSD_
		.amdhsa_group_segment_fixed_size 0
		.amdhsa_private_segment_fixed_size 0
		.amdhsa_kernarg_size 48
		.amdhsa_user_sgpr_count 2
		.amdhsa_user_sgpr_dispatch_ptr 0
		.amdhsa_user_sgpr_queue_ptr 0
		.amdhsa_user_sgpr_kernarg_segment_ptr 1
		.amdhsa_user_sgpr_dispatch_id 0
		.amdhsa_user_sgpr_kernarg_preload_length 0
		.amdhsa_user_sgpr_kernarg_preload_offset 0
		.amdhsa_user_sgpr_private_segment_size 0
		.amdhsa_wavefront_size32 1
		.amdhsa_uses_dynamic_stack 0
		.amdhsa_enable_private_segment 0
		.amdhsa_system_sgpr_workgroup_id_x 1
		.amdhsa_system_sgpr_workgroup_id_y 0
		.amdhsa_system_sgpr_workgroup_id_z 0
		.amdhsa_system_sgpr_workgroup_info 0
		.amdhsa_system_vgpr_workitem_id 0
		.amdhsa_next_free_vgpr 1
		.amdhsa_next_free_sgpr 1
		.amdhsa_named_barrier_count 0
		.amdhsa_reserve_vcc 0
		.amdhsa_float_round_mode_32 0
		.amdhsa_float_round_mode_16_64 0
		.amdhsa_float_denorm_mode_32 3
		.amdhsa_float_denorm_mode_16_64 3
		.amdhsa_fp16_overflow 0
		.amdhsa_memory_ordered 1
		.amdhsa_forward_progress 1
		.amdhsa_inst_pref_size 0
		.amdhsa_round_robin_scheduling 0
		.amdhsa_exception_fp_ieee_invalid_op 0
		.amdhsa_exception_fp_denorm_src 0
		.amdhsa_exception_fp_ieee_div_zero 0
		.amdhsa_exception_fp_ieee_overflow 0
		.amdhsa_exception_fp_ieee_underflow 0
		.amdhsa_exception_fp_ieee_inexact 0
		.amdhsa_exception_int_div_zero 0
	.end_amdhsa_kernel
	.section	.text._ZN7rocprim17ROCPRIM_400000_NS6detail17trampoline_kernelINS0_14default_configENS1_35radix_sort_onesweep_config_selectorIlNS0_10empty_typeEEEZNS1_34radix_sort_onesweep_global_offsetsIS3_Lb1EPKlPS5_mNS0_19identity_decomposerEEE10hipError_tT1_T2_PT3_SF_jT4_jjP12ihipStream_tbEUlT_E_NS1_11comp_targetILNS1_3genE8ELNS1_11target_archE1030ELNS1_3gpuE2ELNS1_3repE0EEENS1_52radix_sort_onesweep_histogram_config_static_selectorELNS0_4arch9wavefront6targetE0EEEvSD_,"axG",@progbits,_ZN7rocprim17ROCPRIM_400000_NS6detail17trampoline_kernelINS0_14default_configENS1_35radix_sort_onesweep_config_selectorIlNS0_10empty_typeEEEZNS1_34radix_sort_onesweep_global_offsetsIS3_Lb1EPKlPS5_mNS0_19identity_decomposerEEE10hipError_tT1_T2_PT3_SF_jT4_jjP12ihipStream_tbEUlT_E_NS1_11comp_targetILNS1_3genE8ELNS1_11target_archE1030ELNS1_3gpuE2ELNS1_3repE0EEENS1_52radix_sort_onesweep_histogram_config_static_selectorELNS0_4arch9wavefront6targetE0EEEvSD_,comdat
.Lfunc_end1078:
	.size	_ZN7rocprim17ROCPRIM_400000_NS6detail17trampoline_kernelINS0_14default_configENS1_35radix_sort_onesweep_config_selectorIlNS0_10empty_typeEEEZNS1_34radix_sort_onesweep_global_offsetsIS3_Lb1EPKlPS5_mNS0_19identity_decomposerEEE10hipError_tT1_T2_PT3_SF_jT4_jjP12ihipStream_tbEUlT_E_NS1_11comp_targetILNS1_3genE8ELNS1_11target_archE1030ELNS1_3gpuE2ELNS1_3repE0EEENS1_52radix_sort_onesweep_histogram_config_static_selectorELNS0_4arch9wavefront6targetE0EEEvSD_, .Lfunc_end1078-_ZN7rocprim17ROCPRIM_400000_NS6detail17trampoline_kernelINS0_14default_configENS1_35radix_sort_onesweep_config_selectorIlNS0_10empty_typeEEEZNS1_34radix_sort_onesweep_global_offsetsIS3_Lb1EPKlPS5_mNS0_19identity_decomposerEEE10hipError_tT1_T2_PT3_SF_jT4_jjP12ihipStream_tbEUlT_E_NS1_11comp_targetILNS1_3genE8ELNS1_11target_archE1030ELNS1_3gpuE2ELNS1_3repE0EEENS1_52radix_sort_onesweep_histogram_config_static_selectorELNS0_4arch9wavefront6targetE0EEEvSD_
                                        ; -- End function
	.set _ZN7rocprim17ROCPRIM_400000_NS6detail17trampoline_kernelINS0_14default_configENS1_35radix_sort_onesweep_config_selectorIlNS0_10empty_typeEEEZNS1_34radix_sort_onesweep_global_offsetsIS3_Lb1EPKlPS5_mNS0_19identity_decomposerEEE10hipError_tT1_T2_PT3_SF_jT4_jjP12ihipStream_tbEUlT_E_NS1_11comp_targetILNS1_3genE8ELNS1_11target_archE1030ELNS1_3gpuE2ELNS1_3repE0EEENS1_52radix_sort_onesweep_histogram_config_static_selectorELNS0_4arch9wavefront6targetE0EEEvSD_.num_vgpr, 0
	.set _ZN7rocprim17ROCPRIM_400000_NS6detail17trampoline_kernelINS0_14default_configENS1_35radix_sort_onesweep_config_selectorIlNS0_10empty_typeEEEZNS1_34radix_sort_onesweep_global_offsetsIS3_Lb1EPKlPS5_mNS0_19identity_decomposerEEE10hipError_tT1_T2_PT3_SF_jT4_jjP12ihipStream_tbEUlT_E_NS1_11comp_targetILNS1_3genE8ELNS1_11target_archE1030ELNS1_3gpuE2ELNS1_3repE0EEENS1_52radix_sort_onesweep_histogram_config_static_selectorELNS0_4arch9wavefront6targetE0EEEvSD_.num_agpr, 0
	.set _ZN7rocprim17ROCPRIM_400000_NS6detail17trampoline_kernelINS0_14default_configENS1_35radix_sort_onesweep_config_selectorIlNS0_10empty_typeEEEZNS1_34radix_sort_onesweep_global_offsetsIS3_Lb1EPKlPS5_mNS0_19identity_decomposerEEE10hipError_tT1_T2_PT3_SF_jT4_jjP12ihipStream_tbEUlT_E_NS1_11comp_targetILNS1_3genE8ELNS1_11target_archE1030ELNS1_3gpuE2ELNS1_3repE0EEENS1_52radix_sort_onesweep_histogram_config_static_selectorELNS0_4arch9wavefront6targetE0EEEvSD_.numbered_sgpr, 0
	.set _ZN7rocprim17ROCPRIM_400000_NS6detail17trampoline_kernelINS0_14default_configENS1_35radix_sort_onesweep_config_selectorIlNS0_10empty_typeEEEZNS1_34radix_sort_onesweep_global_offsetsIS3_Lb1EPKlPS5_mNS0_19identity_decomposerEEE10hipError_tT1_T2_PT3_SF_jT4_jjP12ihipStream_tbEUlT_E_NS1_11comp_targetILNS1_3genE8ELNS1_11target_archE1030ELNS1_3gpuE2ELNS1_3repE0EEENS1_52radix_sort_onesweep_histogram_config_static_selectorELNS0_4arch9wavefront6targetE0EEEvSD_.num_named_barrier, 0
	.set _ZN7rocprim17ROCPRIM_400000_NS6detail17trampoline_kernelINS0_14default_configENS1_35radix_sort_onesweep_config_selectorIlNS0_10empty_typeEEEZNS1_34radix_sort_onesweep_global_offsetsIS3_Lb1EPKlPS5_mNS0_19identity_decomposerEEE10hipError_tT1_T2_PT3_SF_jT4_jjP12ihipStream_tbEUlT_E_NS1_11comp_targetILNS1_3genE8ELNS1_11target_archE1030ELNS1_3gpuE2ELNS1_3repE0EEENS1_52radix_sort_onesweep_histogram_config_static_selectorELNS0_4arch9wavefront6targetE0EEEvSD_.private_seg_size, 0
	.set _ZN7rocprim17ROCPRIM_400000_NS6detail17trampoline_kernelINS0_14default_configENS1_35radix_sort_onesweep_config_selectorIlNS0_10empty_typeEEEZNS1_34radix_sort_onesweep_global_offsetsIS3_Lb1EPKlPS5_mNS0_19identity_decomposerEEE10hipError_tT1_T2_PT3_SF_jT4_jjP12ihipStream_tbEUlT_E_NS1_11comp_targetILNS1_3genE8ELNS1_11target_archE1030ELNS1_3gpuE2ELNS1_3repE0EEENS1_52radix_sort_onesweep_histogram_config_static_selectorELNS0_4arch9wavefront6targetE0EEEvSD_.uses_vcc, 0
	.set _ZN7rocprim17ROCPRIM_400000_NS6detail17trampoline_kernelINS0_14default_configENS1_35radix_sort_onesweep_config_selectorIlNS0_10empty_typeEEEZNS1_34radix_sort_onesweep_global_offsetsIS3_Lb1EPKlPS5_mNS0_19identity_decomposerEEE10hipError_tT1_T2_PT3_SF_jT4_jjP12ihipStream_tbEUlT_E_NS1_11comp_targetILNS1_3genE8ELNS1_11target_archE1030ELNS1_3gpuE2ELNS1_3repE0EEENS1_52radix_sort_onesweep_histogram_config_static_selectorELNS0_4arch9wavefront6targetE0EEEvSD_.uses_flat_scratch, 0
	.set _ZN7rocprim17ROCPRIM_400000_NS6detail17trampoline_kernelINS0_14default_configENS1_35radix_sort_onesweep_config_selectorIlNS0_10empty_typeEEEZNS1_34radix_sort_onesweep_global_offsetsIS3_Lb1EPKlPS5_mNS0_19identity_decomposerEEE10hipError_tT1_T2_PT3_SF_jT4_jjP12ihipStream_tbEUlT_E_NS1_11comp_targetILNS1_3genE8ELNS1_11target_archE1030ELNS1_3gpuE2ELNS1_3repE0EEENS1_52radix_sort_onesweep_histogram_config_static_selectorELNS0_4arch9wavefront6targetE0EEEvSD_.has_dyn_sized_stack, 0
	.set _ZN7rocprim17ROCPRIM_400000_NS6detail17trampoline_kernelINS0_14default_configENS1_35radix_sort_onesweep_config_selectorIlNS0_10empty_typeEEEZNS1_34radix_sort_onesweep_global_offsetsIS3_Lb1EPKlPS5_mNS0_19identity_decomposerEEE10hipError_tT1_T2_PT3_SF_jT4_jjP12ihipStream_tbEUlT_E_NS1_11comp_targetILNS1_3genE8ELNS1_11target_archE1030ELNS1_3gpuE2ELNS1_3repE0EEENS1_52radix_sort_onesweep_histogram_config_static_selectorELNS0_4arch9wavefront6targetE0EEEvSD_.has_recursion, 0
	.set _ZN7rocprim17ROCPRIM_400000_NS6detail17trampoline_kernelINS0_14default_configENS1_35radix_sort_onesweep_config_selectorIlNS0_10empty_typeEEEZNS1_34radix_sort_onesweep_global_offsetsIS3_Lb1EPKlPS5_mNS0_19identity_decomposerEEE10hipError_tT1_T2_PT3_SF_jT4_jjP12ihipStream_tbEUlT_E_NS1_11comp_targetILNS1_3genE8ELNS1_11target_archE1030ELNS1_3gpuE2ELNS1_3repE0EEENS1_52radix_sort_onesweep_histogram_config_static_selectorELNS0_4arch9wavefront6targetE0EEEvSD_.has_indirect_call, 0
	.section	.AMDGPU.csdata,"",@progbits
; Kernel info:
; codeLenInByte = 0
; TotalNumSgprs: 0
; NumVgprs: 0
; ScratchSize: 0
; MemoryBound: 0
; FloatMode: 240
; IeeeMode: 1
; LDSByteSize: 0 bytes/workgroup (compile time only)
; SGPRBlocks: 0
; VGPRBlocks: 0
; NumSGPRsForWavesPerEU: 1
; NumVGPRsForWavesPerEU: 1
; NamedBarCnt: 0
; Occupancy: 16
; WaveLimiterHint : 0
; COMPUTE_PGM_RSRC2:SCRATCH_EN: 0
; COMPUTE_PGM_RSRC2:USER_SGPR: 2
; COMPUTE_PGM_RSRC2:TRAP_HANDLER: 0
; COMPUTE_PGM_RSRC2:TGID_X_EN: 1
; COMPUTE_PGM_RSRC2:TGID_Y_EN: 0
; COMPUTE_PGM_RSRC2:TGID_Z_EN: 0
; COMPUTE_PGM_RSRC2:TIDIG_COMP_CNT: 0
	.section	.text._ZN7rocprim17ROCPRIM_400000_NS6detail17trampoline_kernelINS0_14default_configENS1_35radix_sort_onesweep_config_selectorIlNS0_10empty_typeEEEZNS1_34radix_sort_onesweep_global_offsetsIS3_Lb1EPKlPS5_mNS0_19identity_decomposerEEE10hipError_tT1_T2_PT3_SF_jT4_jjP12ihipStream_tbEUlT_E0_NS1_11comp_targetILNS1_3genE0ELNS1_11target_archE4294967295ELNS1_3gpuE0ELNS1_3repE0EEENS1_52radix_sort_onesweep_histogram_config_static_selectorELNS0_4arch9wavefront6targetE0EEEvSD_,"axG",@progbits,_ZN7rocprim17ROCPRIM_400000_NS6detail17trampoline_kernelINS0_14default_configENS1_35radix_sort_onesweep_config_selectorIlNS0_10empty_typeEEEZNS1_34radix_sort_onesweep_global_offsetsIS3_Lb1EPKlPS5_mNS0_19identity_decomposerEEE10hipError_tT1_T2_PT3_SF_jT4_jjP12ihipStream_tbEUlT_E0_NS1_11comp_targetILNS1_3genE0ELNS1_11target_archE4294967295ELNS1_3gpuE0ELNS1_3repE0EEENS1_52radix_sort_onesweep_histogram_config_static_selectorELNS0_4arch9wavefront6targetE0EEEvSD_,comdat
	.protected	_ZN7rocprim17ROCPRIM_400000_NS6detail17trampoline_kernelINS0_14default_configENS1_35radix_sort_onesweep_config_selectorIlNS0_10empty_typeEEEZNS1_34radix_sort_onesweep_global_offsetsIS3_Lb1EPKlPS5_mNS0_19identity_decomposerEEE10hipError_tT1_T2_PT3_SF_jT4_jjP12ihipStream_tbEUlT_E0_NS1_11comp_targetILNS1_3genE0ELNS1_11target_archE4294967295ELNS1_3gpuE0ELNS1_3repE0EEENS1_52radix_sort_onesweep_histogram_config_static_selectorELNS0_4arch9wavefront6targetE0EEEvSD_ ; -- Begin function _ZN7rocprim17ROCPRIM_400000_NS6detail17trampoline_kernelINS0_14default_configENS1_35radix_sort_onesweep_config_selectorIlNS0_10empty_typeEEEZNS1_34radix_sort_onesweep_global_offsetsIS3_Lb1EPKlPS5_mNS0_19identity_decomposerEEE10hipError_tT1_T2_PT3_SF_jT4_jjP12ihipStream_tbEUlT_E0_NS1_11comp_targetILNS1_3genE0ELNS1_11target_archE4294967295ELNS1_3gpuE0ELNS1_3repE0EEENS1_52radix_sort_onesweep_histogram_config_static_selectorELNS0_4arch9wavefront6targetE0EEEvSD_
	.globl	_ZN7rocprim17ROCPRIM_400000_NS6detail17trampoline_kernelINS0_14default_configENS1_35radix_sort_onesweep_config_selectorIlNS0_10empty_typeEEEZNS1_34radix_sort_onesweep_global_offsetsIS3_Lb1EPKlPS5_mNS0_19identity_decomposerEEE10hipError_tT1_T2_PT3_SF_jT4_jjP12ihipStream_tbEUlT_E0_NS1_11comp_targetILNS1_3genE0ELNS1_11target_archE4294967295ELNS1_3gpuE0ELNS1_3repE0EEENS1_52radix_sort_onesweep_histogram_config_static_selectorELNS0_4arch9wavefront6targetE0EEEvSD_
	.p2align	8
	.type	_ZN7rocprim17ROCPRIM_400000_NS6detail17trampoline_kernelINS0_14default_configENS1_35radix_sort_onesweep_config_selectorIlNS0_10empty_typeEEEZNS1_34radix_sort_onesweep_global_offsetsIS3_Lb1EPKlPS5_mNS0_19identity_decomposerEEE10hipError_tT1_T2_PT3_SF_jT4_jjP12ihipStream_tbEUlT_E0_NS1_11comp_targetILNS1_3genE0ELNS1_11target_archE4294967295ELNS1_3gpuE0ELNS1_3repE0EEENS1_52radix_sort_onesweep_histogram_config_static_selectorELNS0_4arch9wavefront6targetE0EEEvSD_,@function
_ZN7rocprim17ROCPRIM_400000_NS6detail17trampoline_kernelINS0_14default_configENS1_35radix_sort_onesweep_config_selectorIlNS0_10empty_typeEEEZNS1_34radix_sort_onesweep_global_offsetsIS3_Lb1EPKlPS5_mNS0_19identity_decomposerEEE10hipError_tT1_T2_PT3_SF_jT4_jjP12ihipStream_tbEUlT_E0_NS1_11comp_targetILNS1_3genE0ELNS1_11target_archE4294967295ELNS1_3gpuE0ELNS1_3repE0EEENS1_52radix_sort_onesweep_histogram_config_static_selectorELNS0_4arch9wavefront6targetE0EEEvSD_: ; @_ZN7rocprim17ROCPRIM_400000_NS6detail17trampoline_kernelINS0_14default_configENS1_35radix_sort_onesweep_config_selectorIlNS0_10empty_typeEEEZNS1_34radix_sort_onesweep_global_offsetsIS3_Lb1EPKlPS5_mNS0_19identity_decomposerEEE10hipError_tT1_T2_PT3_SF_jT4_jjP12ihipStream_tbEUlT_E0_NS1_11comp_targetILNS1_3genE0ELNS1_11target_archE4294967295ELNS1_3gpuE0ELNS1_3repE0EEENS1_52radix_sort_onesweep_histogram_config_static_selectorELNS0_4arch9wavefront6targetE0EEEvSD_
; %bb.0:
	s_load_b64 s[0:1], s[0:1], 0x0
	s_bfe_u32 s2, ttmp6, 0x4000c
	s_and_b32 s3, ttmp6, 15
	s_add_co_i32 s2, s2, 1
	s_getreg_b32 s4, hwreg(HW_REG_IB_STS2, 6, 4)
	s_mul_i32 s2, ttmp9, s2
	v_cmp_gt_u32_e32 vcc_lo, 0x100, v0
	s_add_co_i32 s3, s3, s2
	s_cmp_eq_u32 s4, 0
                                        ; implicit-def: $vgpr2_vgpr3
	s_cselect_b32 s2, ttmp9, s3
	s_mov_b32 s3, 0
	s_lshl_b32 s2, s2, 8
	s_delay_alu instid0(SALU_CYCLE_1)
	s_lshl_b64 s[2:3], s[2:3], 3
	s_wait_kmcnt 0x0
	s_add_nc_u64 s[6:7], s[0:1], s[2:3]
	s_and_saveexec_b32 s0, vcc_lo
	s_cbranch_execz .LBB1079_2
; %bb.1:
	global_load_b64 v[2:3], v0, s[6:7] scale_offset
.LBB1079_2:
	s_wait_xcnt 0x0
	s_or_b32 exec_lo, exec_lo, s0
	v_mbcnt_lo_u32_b32 v1, -1, 0
	s_wait_loadcnt 0x0
	v_mov_b32_dpp v6, v2 row_shr:1 row_mask:0xf bank_mask:0xf
	v_mov_b32_dpp v9, v3 row_shr:1 row_mask:0xf bank_mask:0xf
	s_delay_alu instid0(VALU_DEP_3) | instskip(NEXT) | instid1(VALU_DEP_1)
	v_dual_mov_b32 v4, v2 :: v_dual_bitop2_b32 v10, 15, v1 bitop3:0x40
	v_cmp_ne_u32_e64 s0, 0, v10
	s_and_saveexec_b32 s1, s0
; %bb.3:
	v_mov_b32_e32 v8, 0
	s_delay_alu instid0(VALU_DEP_1) | instskip(NEXT) | instid1(VALU_DEP_1)
	v_mov_b32_e32 v7, v8
	v_add_nc_u64_e32 v[4:5], v[2:3], v[6:7]
	s_delay_alu instid0(VALU_DEP_1)
	v_add_nc_u64_e32 v[2:3], v[8:9], v[4:5]
; %bb.4:
	s_or_b32 exec_lo, exec_lo, s1
	v_mov_b32_dpp v6, v4 row_shr:2 row_mask:0xf bank_mask:0xf
	s_delay_alu instid0(VALU_DEP_2)
	v_mov_b32_dpp v9, v3 row_shr:2 row_mask:0xf bank_mask:0xf
	v_cmp_lt_u32_e64 s1, 1, v10
	s_and_saveexec_b32 s2, s1
; %bb.5:
	v_mov_b32_e32 v8, 0
	s_delay_alu instid0(VALU_DEP_1) | instskip(NEXT) | instid1(VALU_DEP_1)
	v_mov_b32_e32 v7, v8
	v_add_nc_u64_e32 v[4:5], v[2:3], v[6:7]
	s_delay_alu instid0(VALU_DEP_1)
	v_add_nc_u64_e32 v[2:3], v[8:9], v[4:5]
; %bb.6:
	s_or_b32 exec_lo, exec_lo, s2
	v_mov_b32_dpp v6, v4 row_shr:4 row_mask:0xf bank_mask:0xf
	s_delay_alu instid0(VALU_DEP_2)
	v_mov_b32_dpp v9, v3 row_shr:4 row_mask:0xf bank_mask:0xf
	v_cmp_lt_u32_e64 s2, 3, v10
	;; [unrolled: 14-line block ×3, first 2 shown]
	s_and_saveexec_b32 s4, s3
; %bb.9:
	v_mov_b32_e32 v8, 0
	s_delay_alu instid0(VALU_DEP_1) | instskip(NEXT) | instid1(VALU_DEP_1)
	v_mov_b32_e32 v7, v8
	v_add_nc_u64_e32 v[4:5], v[2:3], v[6:7]
	s_delay_alu instid0(VALU_DEP_1)
	v_add_nc_u64_e32 v[2:3], v[8:9], v[4:5]
; %bb.10:
	s_or_b32 exec_lo, exec_lo, s4
	ds_swizzle_b32 v4, v4 offset:swizzle(BROADCAST,32,15)
	ds_swizzle_b32 v7, v3 offset:swizzle(BROADCAST,32,15)
	v_and_b32_e32 v5, 16, v1
	s_mov_b32 s5, exec_lo
	s_delay_alu instid0(VALU_DEP_1)
	v_cmpx_ne_u32_e32 0, v5
	s_cbranch_execz .LBB1079_12
; %bb.11:
	v_mov_b32_e32 v6, 0
	s_delay_alu instid0(VALU_DEP_1) | instskip(SKIP_1) | instid1(VALU_DEP_1)
	v_mov_b32_e32 v5, v6
	s_wait_dscnt 0x1
	v_add_nc_u64_e32 v[2:3], v[2:3], v[4:5]
	s_wait_dscnt 0x0
	s_delay_alu instid0(VALU_DEP_1)
	v_add_nc_u64_e32 v[2:3], v[2:3], v[6:7]
.LBB1079_12:
	s_or_b32 exec_lo, exec_lo, s5
	s_wait_dscnt 0x1
	v_dual_lshrrev_b32 v12, 5, v0 :: v_dual_bitop2_b32 v4, 31, v0 bitop3:0x54
	s_mov_b32 s5, exec_lo
	s_delay_alu instid0(VALU_DEP_1)
	v_cmpx_eq_u32_e64 v0, v4
; %bb.13:
	s_delay_alu instid0(VALU_DEP_2)
	v_lshlrev_b32_e32 v4, 3, v12
	ds_store_b64 v4, v[2:3]
; %bb.14:
	s_or_b32 exec_lo, exec_lo, s5
	s_delay_alu instid0(SALU_CYCLE_1)
	s_mov_b32 s5, exec_lo
	s_wait_dscnt 0x0
	s_barrier_signal -1
	s_barrier_wait -1
	v_cmpx_gt_u32_e32 16, v0
	s_cbranch_execz .LBB1079_24
; %bb.15:
	v_lshlrev_b32_e32 v13, 3, v0
	ds_load_b64 v[4:5], v13
	s_wait_dscnt 0x0
	v_mov_b32_dpp v8, v4 row_shr:1 row_mask:0xf bank_mask:0xf
	v_mov_b32_dpp v11, v5 row_shr:1 row_mask:0xf bank_mask:0xf
	v_mov_b32_e32 v6, v4
	s_and_saveexec_b32 s4, s0
; %bb.16:
	v_mov_b32_e32 v10, 0
	s_delay_alu instid0(VALU_DEP_1) | instskip(NEXT) | instid1(VALU_DEP_1)
	v_mov_b32_e32 v9, v10
	v_add_nc_u64_e32 v[6:7], v[4:5], v[8:9]
	s_delay_alu instid0(VALU_DEP_1)
	v_add_nc_u64_e32 v[4:5], v[10:11], v[6:7]
; %bb.17:
	s_or_b32 exec_lo, exec_lo, s4
	v_mov_b32_dpp v8, v6 row_shr:2 row_mask:0xf bank_mask:0xf
	s_delay_alu instid0(VALU_DEP_2)
	v_mov_b32_dpp v11, v5 row_shr:2 row_mask:0xf bank_mask:0xf
	s_and_saveexec_b32 s0, s1
; %bb.18:
	v_mov_b32_e32 v10, 0
	s_delay_alu instid0(VALU_DEP_1) | instskip(NEXT) | instid1(VALU_DEP_1)
	v_mov_b32_e32 v9, v10
	v_add_nc_u64_e32 v[6:7], v[4:5], v[8:9]
	s_delay_alu instid0(VALU_DEP_1)
	v_add_nc_u64_e32 v[4:5], v[10:11], v[6:7]
; %bb.19:
	s_or_b32 exec_lo, exec_lo, s0
	v_mov_b32_dpp v8, v6 row_shr:4 row_mask:0xf bank_mask:0xf
	s_delay_alu instid0(VALU_DEP_2)
	v_mov_b32_dpp v11, v5 row_shr:4 row_mask:0xf bank_mask:0xf
	;; [unrolled: 13-line block ×3, first 2 shown]
	s_and_saveexec_b32 s0, s3
; %bb.22:
	v_mov_b32_e32 v8, 0
	s_delay_alu instid0(VALU_DEP_1) | instskip(NEXT) | instid1(VALU_DEP_1)
	v_mov_b32_e32 v7, v8
	v_add_nc_u64_e32 v[4:5], v[4:5], v[6:7]
	s_delay_alu instid0(VALU_DEP_1)
	v_add_nc_u64_e32 v[4:5], v[4:5], v[8:9]
; %bb.23:
	s_or_b32 exec_lo, exec_lo, s0
	ds_store_b64 v13, v[4:5]
.LBB1079_24:
	s_or_b32 exec_lo, exec_lo, s5
	v_mov_b64_e32 v[4:5], 0
	s_mov_b32 s1, exec_lo
	s_wait_dscnt 0x0
	s_barrier_signal -1
	s_barrier_wait -1
	v_cmpx_lt_u32_e32 31, v0
; %bb.25:
	v_lshl_add_u32 v4, v12, 3, -8
	ds_load_b64 v[4:5], v4
; %bb.26:
	s_or_b32 exec_lo, exec_lo, s1
	v_add_nc_u32_e32 v6, -1, v1
	s_wait_dscnt 0x0
	v_add_nc_u64_e32 v[2:3], v[4:5], v[2:3]
	s_delay_alu instid0(VALU_DEP_2) | instskip(NEXT) | instid1(VALU_DEP_1)
	v_cmp_gt_i32_e64 s0, 0, v6
	v_cndmask_b32_e64 v6, v6, v1, s0
	s_delay_alu instid0(VALU_DEP_1)
	v_lshlrev_b32_e32 v6, 2, v6
	ds_bpermute_b32 v2, v6, v2
	ds_bpermute_b32 v3, v6, v3
	s_and_saveexec_b32 s0, vcc_lo
	s_cbranch_execz .LBB1079_28
; %bb.27:
	v_cmp_eq_u32_e32 vcc_lo, 0, v1
	s_wait_dscnt 0x0
	v_dual_cndmask_b32 v3, v3, v5 :: v_dual_cndmask_b32 v2, v2, v4
	global_store_b64 v0, v[2:3], s[6:7] scale_offset
.LBB1079_28:
	s_endpgm
	.section	.rodata,"a",@progbits
	.p2align	6, 0x0
	.amdhsa_kernel _ZN7rocprim17ROCPRIM_400000_NS6detail17trampoline_kernelINS0_14default_configENS1_35radix_sort_onesweep_config_selectorIlNS0_10empty_typeEEEZNS1_34radix_sort_onesweep_global_offsetsIS3_Lb1EPKlPS5_mNS0_19identity_decomposerEEE10hipError_tT1_T2_PT3_SF_jT4_jjP12ihipStream_tbEUlT_E0_NS1_11comp_targetILNS1_3genE0ELNS1_11target_archE4294967295ELNS1_3gpuE0ELNS1_3repE0EEENS1_52radix_sort_onesweep_histogram_config_static_selectorELNS0_4arch9wavefront6targetE0EEEvSD_
		.amdhsa_group_segment_fixed_size 128
		.amdhsa_private_segment_fixed_size 0
		.amdhsa_kernarg_size 8
		.amdhsa_user_sgpr_count 2
		.amdhsa_user_sgpr_dispatch_ptr 0
		.amdhsa_user_sgpr_queue_ptr 0
		.amdhsa_user_sgpr_kernarg_segment_ptr 1
		.amdhsa_user_sgpr_dispatch_id 0
		.amdhsa_user_sgpr_kernarg_preload_length 0
		.amdhsa_user_sgpr_kernarg_preload_offset 0
		.amdhsa_user_sgpr_private_segment_size 0
		.amdhsa_wavefront_size32 1
		.amdhsa_uses_dynamic_stack 0
		.amdhsa_enable_private_segment 0
		.amdhsa_system_sgpr_workgroup_id_x 1
		.amdhsa_system_sgpr_workgroup_id_y 0
		.amdhsa_system_sgpr_workgroup_id_z 0
		.amdhsa_system_sgpr_workgroup_info 0
		.amdhsa_system_vgpr_workitem_id 0
		.amdhsa_next_free_vgpr 14
		.amdhsa_next_free_sgpr 8
		.amdhsa_named_barrier_count 0
		.amdhsa_reserve_vcc 1
		.amdhsa_float_round_mode_32 0
		.amdhsa_float_round_mode_16_64 0
		.amdhsa_float_denorm_mode_32 3
		.amdhsa_float_denorm_mode_16_64 3
		.amdhsa_fp16_overflow 0
		.amdhsa_memory_ordered 1
		.amdhsa_forward_progress 1
		.amdhsa_inst_pref_size 7
		.amdhsa_round_robin_scheduling 0
		.amdhsa_exception_fp_ieee_invalid_op 0
		.amdhsa_exception_fp_denorm_src 0
		.amdhsa_exception_fp_ieee_div_zero 0
		.amdhsa_exception_fp_ieee_overflow 0
		.amdhsa_exception_fp_ieee_underflow 0
		.amdhsa_exception_fp_ieee_inexact 0
		.amdhsa_exception_int_div_zero 0
	.end_amdhsa_kernel
	.section	.text._ZN7rocprim17ROCPRIM_400000_NS6detail17trampoline_kernelINS0_14default_configENS1_35radix_sort_onesweep_config_selectorIlNS0_10empty_typeEEEZNS1_34radix_sort_onesweep_global_offsetsIS3_Lb1EPKlPS5_mNS0_19identity_decomposerEEE10hipError_tT1_T2_PT3_SF_jT4_jjP12ihipStream_tbEUlT_E0_NS1_11comp_targetILNS1_3genE0ELNS1_11target_archE4294967295ELNS1_3gpuE0ELNS1_3repE0EEENS1_52radix_sort_onesweep_histogram_config_static_selectorELNS0_4arch9wavefront6targetE0EEEvSD_,"axG",@progbits,_ZN7rocprim17ROCPRIM_400000_NS6detail17trampoline_kernelINS0_14default_configENS1_35radix_sort_onesweep_config_selectorIlNS0_10empty_typeEEEZNS1_34radix_sort_onesweep_global_offsetsIS3_Lb1EPKlPS5_mNS0_19identity_decomposerEEE10hipError_tT1_T2_PT3_SF_jT4_jjP12ihipStream_tbEUlT_E0_NS1_11comp_targetILNS1_3genE0ELNS1_11target_archE4294967295ELNS1_3gpuE0ELNS1_3repE0EEENS1_52radix_sort_onesweep_histogram_config_static_selectorELNS0_4arch9wavefront6targetE0EEEvSD_,comdat
.Lfunc_end1079:
	.size	_ZN7rocprim17ROCPRIM_400000_NS6detail17trampoline_kernelINS0_14default_configENS1_35radix_sort_onesweep_config_selectorIlNS0_10empty_typeEEEZNS1_34radix_sort_onesweep_global_offsetsIS3_Lb1EPKlPS5_mNS0_19identity_decomposerEEE10hipError_tT1_T2_PT3_SF_jT4_jjP12ihipStream_tbEUlT_E0_NS1_11comp_targetILNS1_3genE0ELNS1_11target_archE4294967295ELNS1_3gpuE0ELNS1_3repE0EEENS1_52radix_sort_onesweep_histogram_config_static_selectorELNS0_4arch9wavefront6targetE0EEEvSD_, .Lfunc_end1079-_ZN7rocprim17ROCPRIM_400000_NS6detail17trampoline_kernelINS0_14default_configENS1_35radix_sort_onesweep_config_selectorIlNS0_10empty_typeEEEZNS1_34radix_sort_onesweep_global_offsetsIS3_Lb1EPKlPS5_mNS0_19identity_decomposerEEE10hipError_tT1_T2_PT3_SF_jT4_jjP12ihipStream_tbEUlT_E0_NS1_11comp_targetILNS1_3genE0ELNS1_11target_archE4294967295ELNS1_3gpuE0ELNS1_3repE0EEENS1_52radix_sort_onesweep_histogram_config_static_selectorELNS0_4arch9wavefront6targetE0EEEvSD_
                                        ; -- End function
	.set _ZN7rocprim17ROCPRIM_400000_NS6detail17trampoline_kernelINS0_14default_configENS1_35radix_sort_onesweep_config_selectorIlNS0_10empty_typeEEEZNS1_34radix_sort_onesweep_global_offsetsIS3_Lb1EPKlPS5_mNS0_19identity_decomposerEEE10hipError_tT1_T2_PT3_SF_jT4_jjP12ihipStream_tbEUlT_E0_NS1_11comp_targetILNS1_3genE0ELNS1_11target_archE4294967295ELNS1_3gpuE0ELNS1_3repE0EEENS1_52radix_sort_onesweep_histogram_config_static_selectorELNS0_4arch9wavefront6targetE0EEEvSD_.num_vgpr, 14
	.set _ZN7rocprim17ROCPRIM_400000_NS6detail17trampoline_kernelINS0_14default_configENS1_35radix_sort_onesweep_config_selectorIlNS0_10empty_typeEEEZNS1_34radix_sort_onesweep_global_offsetsIS3_Lb1EPKlPS5_mNS0_19identity_decomposerEEE10hipError_tT1_T2_PT3_SF_jT4_jjP12ihipStream_tbEUlT_E0_NS1_11comp_targetILNS1_3genE0ELNS1_11target_archE4294967295ELNS1_3gpuE0ELNS1_3repE0EEENS1_52radix_sort_onesweep_histogram_config_static_selectorELNS0_4arch9wavefront6targetE0EEEvSD_.num_agpr, 0
	.set _ZN7rocprim17ROCPRIM_400000_NS6detail17trampoline_kernelINS0_14default_configENS1_35radix_sort_onesweep_config_selectorIlNS0_10empty_typeEEEZNS1_34radix_sort_onesweep_global_offsetsIS3_Lb1EPKlPS5_mNS0_19identity_decomposerEEE10hipError_tT1_T2_PT3_SF_jT4_jjP12ihipStream_tbEUlT_E0_NS1_11comp_targetILNS1_3genE0ELNS1_11target_archE4294967295ELNS1_3gpuE0ELNS1_3repE0EEENS1_52radix_sort_onesweep_histogram_config_static_selectorELNS0_4arch9wavefront6targetE0EEEvSD_.numbered_sgpr, 8
	.set _ZN7rocprim17ROCPRIM_400000_NS6detail17trampoline_kernelINS0_14default_configENS1_35radix_sort_onesweep_config_selectorIlNS0_10empty_typeEEEZNS1_34radix_sort_onesweep_global_offsetsIS3_Lb1EPKlPS5_mNS0_19identity_decomposerEEE10hipError_tT1_T2_PT3_SF_jT4_jjP12ihipStream_tbEUlT_E0_NS1_11comp_targetILNS1_3genE0ELNS1_11target_archE4294967295ELNS1_3gpuE0ELNS1_3repE0EEENS1_52radix_sort_onesweep_histogram_config_static_selectorELNS0_4arch9wavefront6targetE0EEEvSD_.num_named_barrier, 0
	.set _ZN7rocprim17ROCPRIM_400000_NS6detail17trampoline_kernelINS0_14default_configENS1_35radix_sort_onesweep_config_selectorIlNS0_10empty_typeEEEZNS1_34radix_sort_onesweep_global_offsetsIS3_Lb1EPKlPS5_mNS0_19identity_decomposerEEE10hipError_tT1_T2_PT3_SF_jT4_jjP12ihipStream_tbEUlT_E0_NS1_11comp_targetILNS1_3genE0ELNS1_11target_archE4294967295ELNS1_3gpuE0ELNS1_3repE0EEENS1_52radix_sort_onesweep_histogram_config_static_selectorELNS0_4arch9wavefront6targetE0EEEvSD_.private_seg_size, 0
	.set _ZN7rocprim17ROCPRIM_400000_NS6detail17trampoline_kernelINS0_14default_configENS1_35radix_sort_onesweep_config_selectorIlNS0_10empty_typeEEEZNS1_34radix_sort_onesweep_global_offsetsIS3_Lb1EPKlPS5_mNS0_19identity_decomposerEEE10hipError_tT1_T2_PT3_SF_jT4_jjP12ihipStream_tbEUlT_E0_NS1_11comp_targetILNS1_3genE0ELNS1_11target_archE4294967295ELNS1_3gpuE0ELNS1_3repE0EEENS1_52radix_sort_onesweep_histogram_config_static_selectorELNS0_4arch9wavefront6targetE0EEEvSD_.uses_vcc, 1
	.set _ZN7rocprim17ROCPRIM_400000_NS6detail17trampoline_kernelINS0_14default_configENS1_35radix_sort_onesweep_config_selectorIlNS0_10empty_typeEEEZNS1_34radix_sort_onesweep_global_offsetsIS3_Lb1EPKlPS5_mNS0_19identity_decomposerEEE10hipError_tT1_T2_PT3_SF_jT4_jjP12ihipStream_tbEUlT_E0_NS1_11comp_targetILNS1_3genE0ELNS1_11target_archE4294967295ELNS1_3gpuE0ELNS1_3repE0EEENS1_52radix_sort_onesweep_histogram_config_static_selectorELNS0_4arch9wavefront6targetE0EEEvSD_.uses_flat_scratch, 0
	.set _ZN7rocprim17ROCPRIM_400000_NS6detail17trampoline_kernelINS0_14default_configENS1_35radix_sort_onesweep_config_selectorIlNS0_10empty_typeEEEZNS1_34radix_sort_onesweep_global_offsetsIS3_Lb1EPKlPS5_mNS0_19identity_decomposerEEE10hipError_tT1_T2_PT3_SF_jT4_jjP12ihipStream_tbEUlT_E0_NS1_11comp_targetILNS1_3genE0ELNS1_11target_archE4294967295ELNS1_3gpuE0ELNS1_3repE0EEENS1_52radix_sort_onesweep_histogram_config_static_selectorELNS0_4arch9wavefront6targetE0EEEvSD_.has_dyn_sized_stack, 0
	.set _ZN7rocprim17ROCPRIM_400000_NS6detail17trampoline_kernelINS0_14default_configENS1_35radix_sort_onesweep_config_selectorIlNS0_10empty_typeEEEZNS1_34radix_sort_onesweep_global_offsetsIS3_Lb1EPKlPS5_mNS0_19identity_decomposerEEE10hipError_tT1_T2_PT3_SF_jT4_jjP12ihipStream_tbEUlT_E0_NS1_11comp_targetILNS1_3genE0ELNS1_11target_archE4294967295ELNS1_3gpuE0ELNS1_3repE0EEENS1_52radix_sort_onesweep_histogram_config_static_selectorELNS0_4arch9wavefront6targetE0EEEvSD_.has_recursion, 0
	.set _ZN7rocprim17ROCPRIM_400000_NS6detail17trampoline_kernelINS0_14default_configENS1_35radix_sort_onesweep_config_selectorIlNS0_10empty_typeEEEZNS1_34radix_sort_onesweep_global_offsetsIS3_Lb1EPKlPS5_mNS0_19identity_decomposerEEE10hipError_tT1_T2_PT3_SF_jT4_jjP12ihipStream_tbEUlT_E0_NS1_11comp_targetILNS1_3genE0ELNS1_11target_archE4294967295ELNS1_3gpuE0ELNS1_3repE0EEENS1_52radix_sort_onesweep_histogram_config_static_selectorELNS0_4arch9wavefront6targetE0EEEvSD_.has_indirect_call, 0
	.section	.AMDGPU.csdata,"",@progbits
; Kernel info:
; codeLenInByte = 896
; TotalNumSgprs: 10
; NumVgprs: 14
; ScratchSize: 0
; MemoryBound: 0
; FloatMode: 240
; IeeeMode: 1
; LDSByteSize: 128 bytes/workgroup (compile time only)
; SGPRBlocks: 0
; VGPRBlocks: 0
; NumSGPRsForWavesPerEU: 10
; NumVGPRsForWavesPerEU: 14
; NamedBarCnt: 0
; Occupancy: 16
; WaveLimiterHint : 0
; COMPUTE_PGM_RSRC2:SCRATCH_EN: 0
; COMPUTE_PGM_RSRC2:USER_SGPR: 2
; COMPUTE_PGM_RSRC2:TRAP_HANDLER: 0
; COMPUTE_PGM_RSRC2:TGID_X_EN: 1
; COMPUTE_PGM_RSRC2:TGID_Y_EN: 0
; COMPUTE_PGM_RSRC2:TGID_Z_EN: 0
; COMPUTE_PGM_RSRC2:TIDIG_COMP_CNT: 0
	.section	.text._ZN7rocprim17ROCPRIM_400000_NS6detail17trampoline_kernelINS0_14default_configENS1_35radix_sort_onesweep_config_selectorIlNS0_10empty_typeEEEZNS1_34radix_sort_onesweep_global_offsetsIS3_Lb1EPKlPS5_mNS0_19identity_decomposerEEE10hipError_tT1_T2_PT3_SF_jT4_jjP12ihipStream_tbEUlT_E0_NS1_11comp_targetILNS1_3genE6ELNS1_11target_archE950ELNS1_3gpuE13ELNS1_3repE0EEENS1_52radix_sort_onesweep_histogram_config_static_selectorELNS0_4arch9wavefront6targetE0EEEvSD_,"axG",@progbits,_ZN7rocprim17ROCPRIM_400000_NS6detail17trampoline_kernelINS0_14default_configENS1_35radix_sort_onesweep_config_selectorIlNS0_10empty_typeEEEZNS1_34radix_sort_onesweep_global_offsetsIS3_Lb1EPKlPS5_mNS0_19identity_decomposerEEE10hipError_tT1_T2_PT3_SF_jT4_jjP12ihipStream_tbEUlT_E0_NS1_11comp_targetILNS1_3genE6ELNS1_11target_archE950ELNS1_3gpuE13ELNS1_3repE0EEENS1_52radix_sort_onesweep_histogram_config_static_selectorELNS0_4arch9wavefront6targetE0EEEvSD_,comdat
	.protected	_ZN7rocprim17ROCPRIM_400000_NS6detail17trampoline_kernelINS0_14default_configENS1_35radix_sort_onesweep_config_selectorIlNS0_10empty_typeEEEZNS1_34radix_sort_onesweep_global_offsetsIS3_Lb1EPKlPS5_mNS0_19identity_decomposerEEE10hipError_tT1_T2_PT3_SF_jT4_jjP12ihipStream_tbEUlT_E0_NS1_11comp_targetILNS1_3genE6ELNS1_11target_archE950ELNS1_3gpuE13ELNS1_3repE0EEENS1_52radix_sort_onesweep_histogram_config_static_selectorELNS0_4arch9wavefront6targetE0EEEvSD_ ; -- Begin function _ZN7rocprim17ROCPRIM_400000_NS6detail17trampoline_kernelINS0_14default_configENS1_35radix_sort_onesweep_config_selectorIlNS0_10empty_typeEEEZNS1_34radix_sort_onesweep_global_offsetsIS3_Lb1EPKlPS5_mNS0_19identity_decomposerEEE10hipError_tT1_T2_PT3_SF_jT4_jjP12ihipStream_tbEUlT_E0_NS1_11comp_targetILNS1_3genE6ELNS1_11target_archE950ELNS1_3gpuE13ELNS1_3repE0EEENS1_52radix_sort_onesweep_histogram_config_static_selectorELNS0_4arch9wavefront6targetE0EEEvSD_
	.globl	_ZN7rocprim17ROCPRIM_400000_NS6detail17trampoline_kernelINS0_14default_configENS1_35radix_sort_onesweep_config_selectorIlNS0_10empty_typeEEEZNS1_34radix_sort_onesweep_global_offsetsIS3_Lb1EPKlPS5_mNS0_19identity_decomposerEEE10hipError_tT1_T2_PT3_SF_jT4_jjP12ihipStream_tbEUlT_E0_NS1_11comp_targetILNS1_3genE6ELNS1_11target_archE950ELNS1_3gpuE13ELNS1_3repE0EEENS1_52radix_sort_onesweep_histogram_config_static_selectorELNS0_4arch9wavefront6targetE0EEEvSD_
	.p2align	8
	.type	_ZN7rocprim17ROCPRIM_400000_NS6detail17trampoline_kernelINS0_14default_configENS1_35radix_sort_onesweep_config_selectorIlNS0_10empty_typeEEEZNS1_34radix_sort_onesweep_global_offsetsIS3_Lb1EPKlPS5_mNS0_19identity_decomposerEEE10hipError_tT1_T2_PT3_SF_jT4_jjP12ihipStream_tbEUlT_E0_NS1_11comp_targetILNS1_3genE6ELNS1_11target_archE950ELNS1_3gpuE13ELNS1_3repE0EEENS1_52radix_sort_onesweep_histogram_config_static_selectorELNS0_4arch9wavefront6targetE0EEEvSD_,@function
_ZN7rocprim17ROCPRIM_400000_NS6detail17trampoline_kernelINS0_14default_configENS1_35radix_sort_onesweep_config_selectorIlNS0_10empty_typeEEEZNS1_34radix_sort_onesweep_global_offsetsIS3_Lb1EPKlPS5_mNS0_19identity_decomposerEEE10hipError_tT1_T2_PT3_SF_jT4_jjP12ihipStream_tbEUlT_E0_NS1_11comp_targetILNS1_3genE6ELNS1_11target_archE950ELNS1_3gpuE13ELNS1_3repE0EEENS1_52radix_sort_onesweep_histogram_config_static_selectorELNS0_4arch9wavefront6targetE0EEEvSD_: ; @_ZN7rocprim17ROCPRIM_400000_NS6detail17trampoline_kernelINS0_14default_configENS1_35radix_sort_onesweep_config_selectorIlNS0_10empty_typeEEEZNS1_34radix_sort_onesweep_global_offsetsIS3_Lb1EPKlPS5_mNS0_19identity_decomposerEEE10hipError_tT1_T2_PT3_SF_jT4_jjP12ihipStream_tbEUlT_E0_NS1_11comp_targetILNS1_3genE6ELNS1_11target_archE950ELNS1_3gpuE13ELNS1_3repE0EEENS1_52radix_sort_onesweep_histogram_config_static_selectorELNS0_4arch9wavefront6targetE0EEEvSD_
; %bb.0:
	.section	.rodata,"a",@progbits
	.p2align	6, 0x0
	.amdhsa_kernel _ZN7rocprim17ROCPRIM_400000_NS6detail17trampoline_kernelINS0_14default_configENS1_35radix_sort_onesweep_config_selectorIlNS0_10empty_typeEEEZNS1_34radix_sort_onesweep_global_offsetsIS3_Lb1EPKlPS5_mNS0_19identity_decomposerEEE10hipError_tT1_T2_PT3_SF_jT4_jjP12ihipStream_tbEUlT_E0_NS1_11comp_targetILNS1_3genE6ELNS1_11target_archE950ELNS1_3gpuE13ELNS1_3repE0EEENS1_52radix_sort_onesweep_histogram_config_static_selectorELNS0_4arch9wavefront6targetE0EEEvSD_
		.amdhsa_group_segment_fixed_size 0
		.amdhsa_private_segment_fixed_size 0
		.amdhsa_kernarg_size 8
		.amdhsa_user_sgpr_count 2
		.amdhsa_user_sgpr_dispatch_ptr 0
		.amdhsa_user_sgpr_queue_ptr 0
		.amdhsa_user_sgpr_kernarg_segment_ptr 1
		.amdhsa_user_sgpr_dispatch_id 0
		.amdhsa_user_sgpr_kernarg_preload_length 0
		.amdhsa_user_sgpr_kernarg_preload_offset 0
		.amdhsa_user_sgpr_private_segment_size 0
		.amdhsa_wavefront_size32 1
		.amdhsa_uses_dynamic_stack 0
		.amdhsa_enable_private_segment 0
		.amdhsa_system_sgpr_workgroup_id_x 1
		.amdhsa_system_sgpr_workgroup_id_y 0
		.amdhsa_system_sgpr_workgroup_id_z 0
		.amdhsa_system_sgpr_workgroup_info 0
		.amdhsa_system_vgpr_workitem_id 0
		.amdhsa_next_free_vgpr 1
		.amdhsa_next_free_sgpr 1
		.amdhsa_named_barrier_count 0
		.amdhsa_reserve_vcc 0
		.amdhsa_float_round_mode_32 0
		.amdhsa_float_round_mode_16_64 0
		.amdhsa_float_denorm_mode_32 3
		.amdhsa_float_denorm_mode_16_64 3
		.amdhsa_fp16_overflow 0
		.amdhsa_memory_ordered 1
		.amdhsa_forward_progress 1
		.amdhsa_inst_pref_size 0
		.amdhsa_round_robin_scheduling 0
		.amdhsa_exception_fp_ieee_invalid_op 0
		.amdhsa_exception_fp_denorm_src 0
		.amdhsa_exception_fp_ieee_div_zero 0
		.amdhsa_exception_fp_ieee_overflow 0
		.amdhsa_exception_fp_ieee_underflow 0
		.amdhsa_exception_fp_ieee_inexact 0
		.amdhsa_exception_int_div_zero 0
	.end_amdhsa_kernel
	.section	.text._ZN7rocprim17ROCPRIM_400000_NS6detail17trampoline_kernelINS0_14default_configENS1_35radix_sort_onesweep_config_selectorIlNS0_10empty_typeEEEZNS1_34radix_sort_onesweep_global_offsetsIS3_Lb1EPKlPS5_mNS0_19identity_decomposerEEE10hipError_tT1_T2_PT3_SF_jT4_jjP12ihipStream_tbEUlT_E0_NS1_11comp_targetILNS1_3genE6ELNS1_11target_archE950ELNS1_3gpuE13ELNS1_3repE0EEENS1_52radix_sort_onesweep_histogram_config_static_selectorELNS0_4arch9wavefront6targetE0EEEvSD_,"axG",@progbits,_ZN7rocprim17ROCPRIM_400000_NS6detail17trampoline_kernelINS0_14default_configENS1_35radix_sort_onesweep_config_selectorIlNS0_10empty_typeEEEZNS1_34radix_sort_onesweep_global_offsetsIS3_Lb1EPKlPS5_mNS0_19identity_decomposerEEE10hipError_tT1_T2_PT3_SF_jT4_jjP12ihipStream_tbEUlT_E0_NS1_11comp_targetILNS1_3genE6ELNS1_11target_archE950ELNS1_3gpuE13ELNS1_3repE0EEENS1_52radix_sort_onesweep_histogram_config_static_selectorELNS0_4arch9wavefront6targetE0EEEvSD_,comdat
.Lfunc_end1080:
	.size	_ZN7rocprim17ROCPRIM_400000_NS6detail17trampoline_kernelINS0_14default_configENS1_35radix_sort_onesweep_config_selectorIlNS0_10empty_typeEEEZNS1_34radix_sort_onesweep_global_offsetsIS3_Lb1EPKlPS5_mNS0_19identity_decomposerEEE10hipError_tT1_T2_PT3_SF_jT4_jjP12ihipStream_tbEUlT_E0_NS1_11comp_targetILNS1_3genE6ELNS1_11target_archE950ELNS1_3gpuE13ELNS1_3repE0EEENS1_52radix_sort_onesweep_histogram_config_static_selectorELNS0_4arch9wavefront6targetE0EEEvSD_, .Lfunc_end1080-_ZN7rocprim17ROCPRIM_400000_NS6detail17trampoline_kernelINS0_14default_configENS1_35radix_sort_onesweep_config_selectorIlNS0_10empty_typeEEEZNS1_34radix_sort_onesweep_global_offsetsIS3_Lb1EPKlPS5_mNS0_19identity_decomposerEEE10hipError_tT1_T2_PT3_SF_jT4_jjP12ihipStream_tbEUlT_E0_NS1_11comp_targetILNS1_3genE6ELNS1_11target_archE950ELNS1_3gpuE13ELNS1_3repE0EEENS1_52radix_sort_onesweep_histogram_config_static_selectorELNS0_4arch9wavefront6targetE0EEEvSD_
                                        ; -- End function
	.set _ZN7rocprim17ROCPRIM_400000_NS6detail17trampoline_kernelINS0_14default_configENS1_35radix_sort_onesweep_config_selectorIlNS0_10empty_typeEEEZNS1_34radix_sort_onesweep_global_offsetsIS3_Lb1EPKlPS5_mNS0_19identity_decomposerEEE10hipError_tT1_T2_PT3_SF_jT4_jjP12ihipStream_tbEUlT_E0_NS1_11comp_targetILNS1_3genE6ELNS1_11target_archE950ELNS1_3gpuE13ELNS1_3repE0EEENS1_52radix_sort_onesweep_histogram_config_static_selectorELNS0_4arch9wavefront6targetE0EEEvSD_.num_vgpr, 0
	.set _ZN7rocprim17ROCPRIM_400000_NS6detail17trampoline_kernelINS0_14default_configENS1_35radix_sort_onesweep_config_selectorIlNS0_10empty_typeEEEZNS1_34radix_sort_onesweep_global_offsetsIS3_Lb1EPKlPS5_mNS0_19identity_decomposerEEE10hipError_tT1_T2_PT3_SF_jT4_jjP12ihipStream_tbEUlT_E0_NS1_11comp_targetILNS1_3genE6ELNS1_11target_archE950ELNS1_3gpuE13ELNS1_3repE0EEENS1_52radix_sort_onesweep_histogram_config_static_selectorELNS0_4arch9wavefront6targetE0EEEvSD_.num_agpr, 0
	.set _ZN7rocprim17ROCPRIM_400000_NS6detail17trampoline_kernelINS0_14default_configENS1_35radix_sort_onesweep_config_selectorIlNS0_10empty_typeEEEZNS1_34radix_sort_onesweep_global_offsetsIS3_Lb1EPKlPS5_mNS0_19identity_decomposerEEE10hipError_tT1_T2_PT3_SF_jT4_jjP12ihipStream_tbEUlT_E0_NS1_11comp_targetILNS1_3genE6ELNS1_11target_archE950ELNS1_3gpuE13ELNS1_3repE0EEENS1_52radix_sort_onesweep_histogram_config_static_selectorELNS0_4arch9wavefront6targetE0EEEvSD_.numbered_sgpr, 0
	.set _ZN7rocprim17ROCPRIM_400000_NS6detail17trampoline_kernelINS0_14default_configENS1_35radix_sort_onesweep_config_selectorIlNS0_10empty_typeEEEZNS1_34radix_sort_onesweep_global_offsetsIS3_Lb1EPKlPS5_mNS0_19identity_decomposerEEE10hipError_tT1_T2_PT3_SF_jT4_jjP12ihipStream_tbEUlT_E0_NS1_11comp_targetILNS1_3genE6ELNS1_11target_archE950ELNS1_3gpuE13ELNS1_3repE0EEENS1_52radix_sort_onesweep_histogram_config_static_selectorELNS0_4arch9wavefront6targetE0EEEvSD_.num_named_barrier, 0
	.set _ZN7rocprim17ROCPRIM_400000_NS6detail17trampoline_kernelINS0_14default_configENS1_35radix_sort_onesweep_config_selectorIlNS0_10empty_typeEEEZNS1_34radix_sort_onesweep_global_offsetsIS3_Lb1EPKlPS5_mNS0_19identity_decomposerEEE10hipError_tT1_T2_PT3_SF_jT4_jjP12ihipStream_tbEUlT_E0_NS1_11comp_targetILNS1_3genE6ELNS1_11target_archE950ELNS1_3gpuE13ELNS1_3repE0EEENS1_52radix_sort_onesweep_histogram_config_static_selectorELNS0_4arch9wavefront6targetE0EEEvSD_.private_seg_size, 0
	.set _ZN7rocprim17ROCPRIM_400000_NS6detail17trampoline_kernelINS0_14default_configENS1_35radix_sort_onesweep_config_selectorIlNS0_10empty_typeEEEZNS1_34radix_sort_onesweep_global_offsetsIS3_Lb1EPKlPS5_mNS0_19identity_decomposerEEE10hipError_tT1_T2_PT3_SF_jT4_jjP12ihipStream_tbEUlT_E0_NS1_11comp_targetILNS1_3genE6ELNS1_11target_archE950ELNS1_3gpuE13ELNS1_3repE0EEENS1_52radix_sort_onesweep_histogram_config_static_selectorELNS0_4arch9wavefront6targetE0EEEvSD_.uses_vcc, 0
	.set _ZN7rocprim17ROCPRIM_400000_NS6detail17trampoline_kernelINS0_14default_configENS1_35radix_sort_onesweep_config_selectorIlNS0_10empty_typeEEEZNS1_34radix_sort_onesweep_global_offsetsIS3_Lb1EPKlPS5_mNS0_19identity_decomposerEEE10hipError_tT1_T2_PT3_SF_jT4_jjP12ihipStream_tbEUlT_E0_NS1_11comp_targetILNS1_3genE6ELNS1_11target_archE950ELNS1_3gpuE13ELNS1_3repE0EEENS1_52radix_sort_onesweep_histogram_config_static_selectorELNS0_4arch9wavefront6targetE0EEEvSD_.uses_flat_scratch, 0
	.set _ZN7rocprim17ROCPRIM_400000_NS6detail17trampoline_kernelINS0_14default_configENS1_35radix_sort_onesweep_config_selectorIlNS0_10empty_typeEEEZNS1_34radix_sort_onesweep_global_offsetsIS3_Lb1EPKlPS5_mNS0_19identity_decomposerEEE10hipError_tT1_T2_PT3_SF_jT4_jjP12ihipStream_tbEUlT_E0_NS1_11comp_targetILNS1_3genE6ELNS1_11target_archE950ELNS1_3gpuE13ELNS1_3repE0EEENS1_52radix_sort_onesweep_histogram_config_static_selectorELNS0_4arch9wavefront6targetE0EEEvSD_.has_dyn_sized_stack, 0
	.set _ZN7rocprim17ROCPRIM_400000_NS6detail17trampoline_kernelINS0_14default_configENS1_35radix_sort_onesweep_config_selectorIlNS0_10empty_typeEEEZNS1_34radix_sort_onesweep_global_offsetsIS3_Lb1EPKlPS5_mNS0_19identity_decomposerEEE10hipError_tT1_T2_PT3_SF_jT4_jjP12ihipStream_tbEUlT_E0_NS1_11comp_targetILNS1_3genE6ELNS1_11target_archE950ELNS1_3gpuE13ELNS1_3repE0EEENS1_52radix_sort_onesweep_histogram_config_static_selectorELNS0_4arch9wavefront6targetE0EEEvSD_.has_recursion, 0
	.set _ZN7rocprim17ROCPRIM_400000_NS6detail17trampoline_kernelINS0_14default_configENS1_35radix_sort_onesweep_config_selectorIlNS0_10empty_typeEEEZNS1_34radix_sort_onesweep_global_offsetsIS3_Lb1EPKlPS5_mNS0_19identity_decomposerEEE10hipError_tT1_T2_PT3_SF_jT4_jjP12ihipStream_tbEUlT_E0_NS1_11comp_targetILNS1_3genE6ELNS1_11target_archE950ELNS1_3gpuE13ELNS1_3repE0EEENS1_52radix_sort_onesweep_histogram_config_static_selectorELNS0_4arch9wavefront6targetE0EEEvSD_.has_indirect_call, 0
	.section	.AMDGPU.csdata,"",@progbits
; Kernel info:
; codeLenInByte = 0
; TotalNumSgprs: 0
; NumVgprs: 0
; ScratchSize: 0
; MemoryBound: 0
; FloatMode: 240
; IeeeMode: 1
; LDSByteSize: 0 bytes/workgroup (compile time only)
; SGPRBlocks: 0
; VGPRBlocks: 0
; NumSGPRsForWavesPerEU: 1
; NumVGPRsForWavesPerEU: 1
; NamedBarCnt: 0
; Occupancy: 16
; WaveLimiterHint : 0
; COMPUTE_PGM_RSRC2:SCRATCH_EN: 0
; COMPUTE_PGM_RSRC2:USER_SGPR: 2
; COMPUTE_PGM_RSRC2:TRAP_HANDLER: 0
; COMPUTE_PGM_RSRC2:TGID_X_EN: 1
; COMPUTE_PGM_RSRC2:TGID_Y_EN: 0
; COMPUTE_PGM_RSRC2:TGID_Z_EN: 0
; COMPUTE_PGM_RSRC2:TIDIG_COMP_CNT: 0
	.section	.text._ZN7rocprim17ROCPRIM_400000_NS6detail17trampoline_kernelINS0_14default_configENS1_35radix_sort_onesweep_config_selectorIlNS0_10empty_typeEEEZNS1_34radix_sort_onesweep_global_offsetsIS3_Lb1EPKlPS5_mNS0_19identity_decomposerEEE10hipError_tT1_T2_PT3_SF_jT4_jjP12ihipStream_tbEUlT_E0_NS1_11comp_targetILNS1_3genE5ELNS1_11target_archE942ELNS1_3gpuE9ELNS1_3repE0EEENS1_52radix_sort_onesweep_histogram_config_static_selectorELNS0_4arch9wavefront6targetE0EEEvSD_,"axG",@progbits,_ZN7rocprim17ROCPRIM_400000_NS6detail17trampoline_kernelINS0_14default_configENS1_35radix_sort_onesweep_config_selectorIlNS0_10empty_typeEEEZNS1_34radix_sort_onesweep_global_offsetsIS3_Lb1EPKlPS5_mNS0_19identity_decomposerEEE10hipError_tT1_T2_PT3_SF_jT4_jjP12ihipStream_tbEUlT_E0_NS1_11comp_targetILNS1_3genE5ELNS1_11target_archE942ELNS1_3gpuE9ELNS1_3repE0EEENS1_52radix_sort_onesweep_histogram_config_static_selectorELNS0_4arch9wavefront6targetE0EEEvSD_,comdat
	.protected	_ZN7rocprim17ROCPRIM_400000_NS6detail17trampoline_kernelINS0_14default_configENS1_35radix_sort_onesweep_config_selectorIlNS0_10empty_typeEEEZNS1_34radix_sort_onesweep_global_offsetsIS3_Lb1EPKlPS5_mNS0_19identity_decomposerEEE10hipError_tT1_T2_PT3_SF_jT4_jjP12ihipStream_tbEUlT_E0_NS1_11comp_targetILNS1_3genE5ELNS1_11target_archE942ELNS1_3gpuE9ELNS1_3repE0EEENS1_52radix_sort_onesweep_histogram_config_static_selectorELNS0_4arch9wavefront6targetE0EEEvSD_ ; -- Begin function _ZN7rocprim17ROCPRIM_400000_NS6detail17trampoline_kernelINS0_14default_configENS1_35radix_sort_onesweep_config_selectorIlNS0_10empty_typeEEEZNS1_34radix_sort_onesweep_global_offsetsIS3_Lb1EPKlPS5_mNS0_19identity_decomposerEEE10hipError_tT1_T2_PT3_SF_jT4_jjP12ihipStream_tbEUlT_E0_NS1_11comp_targetILNS1_3genE5ELNS1_11target_archE942ELNS1_3gpuE9ELNS1_3repE0EEENS1_52radix_sort_onesweep_histogram_config_static_selectorELNS0_4arch9wavefront6targetE0EEEvSD_
	.globl	_ZN7rocprim17ROCPRIM_400000_NS6detail17trampoline_kernelINS0_14default_configENS1_35radix_sort_onesweep_config_selectorIlNS0_10empty_typeEEEZNS1_34radix_sort_onesweep_global_offsetsIS3_Lb1EPKlPS5_mNS0_19identity_decomposerEEE10hipError_tT1_T2_PT3_SF_jT4_jjP12ihipStream_tbEUlT_E0_NS1_11comp_targetILNS1_3genE5ELNS1_11target_archE942ELNS1_3gpuE9ELNS1_3repE0EEENS1_52radix_sort_onesweep_histogram_config_static_selectorELNS0_4arch9wavefront6targetE0EEEvSD_
	.p2align	8
	.type	_ZN7rocprim17ROCPRIM_400000_NS6detail17trampoline_kernelINS0_14default_configENS1_35radix_sort_onesweep_config_selectorIlNS0_10empty_typeEEEZNS1_34radix_sort_onesweep_global_offsetsIS3_Lb1EPKlPS5_mNS0_19identity_decomposerEEE10hipError_tT1_T2_PT3_SF_jT4_jjP12ihipStream_tbEUlT_E0_NS1_11comp_targetILNS1_3genE5ELNS1_11target_archE942ELNS1_3gpuE9ELNS1_3repE0EEENS1_52radix_sort_onesweep_histogram_config_static_selectorELNS0_4arch9wavefront6targetE0EEEvSD_,@function
_ZN7rocprim17ROCPRIM_400000_NS6detail17trampoline_kernelINS0_14default_configENS1_35radix_sort_onesweep_config_selectorIlNS0_10empty_typeEEEZNS1_34radix_sort_onesweep_global_offsetsIS3_Lb1EPKlPS5_mNS0_19identity_decomposerEEE10hipError_tT1_T2_PT3_SF_jT4_jjP12ihipStream_tbEUlT_E0_NS1_11comp_targetILNS1_3genE5ELNS1_11target_archE942ELNS1_3gpuE9ELNS1_3repE0EEENS1_52radix_sort_onesweep_histogram_config_static_selectorELNS0_4arch9wavefront6targetE0EEEvSD_: ; @_ZN7rocprim17ROCPRIM_400000_NS6detail17trampoline_kernelINS0_14default_configENS1_35radix_sort_onesweep_config_selectorIlNS0_10empty_typeEEEZNS1_34radix_sort_onesweep_global_offsetsIS3_Lb1EPKlPS5_mNS0_19identity_decomposerEEE10hipError_tT1_T2_PT3_SF_jT4_jjP12ihipStream_tbEUlT_E0_NS1_11comp_targetILNS1_3genE5ELNS1_11target_archE942ELNS1_3gpuE9ELNS1_3repE0EEENS1_52radix_sort_onesweep_histogram_config_static_selectorELNS0_4arch9wavefront6targetE0EEEvSD_
; %bb.0:
	.section	.rodata,"a",@progbits
	.p2align	6, 0x0
	.amdhsa_kernel _ZN7rocprim17ROCPRIM_400000_NS6detail17trampoline_kernelINS0_14default_configENS1_35radix_sort_onesweep_config_selectorIlNS0_10empty_typeEEEZNS1_34radix_sort_onesweep_global_offsetsIS3_Lb1EPKlPS5_mNS0_19identity_decomposerEEE10hipError_tT1_T2_PT3_SF_jT4_jjP12ihipStream_tbEUlT_E0_NS1_11comp_targetILNS1_3genE5ELNS1_11target_archE942ELNS1_3gpuE9ELNS1_3repE0EEENS1_52radix_sort_onesweep_histogram_config_static_selectorELNS0_4arch9wavefront6targetE0EEEvSD_
		.amdhsa_group_segment_fixed_size 0
		.amdhsa_private_segment_fixed_size 0
		.amdhsa_kernarg_size 8
		.amdhsa_user_sgpr_count 2
		.amdhsa_user_sgpr_dispatch_ptr 0
		.amdhsa_user_sgpr_queue_ptr 0
		.amdhsa_user_sgpr_kernarg_segment_ptr 1
		.amdhsa_user_sgpr_dispatch_id 0
		.amdhsa_user_sgpr_kernarg_preload_length 0
		.amdhsa_user_sgpr_kernarg_preload_offset 0
		.amdhsa_user_sgpr_private_segment_size 0
		.amdhsa_wavefront_size32 1
		.amdhsa_uses_dynamic_stack 0
		.amdhsa_enable_private_segment 0
		.amdhsa_system_sgpr_workgroup_id_x 1
		.amdhsa_system_sgpr_workgroup_id_y 0
		.amdhsa_system_sgpr_workgroup_id_z 0
		.amdhsa_system_sgpr_workgroup_info 0
		.amdhsa_system_vgpr_workitem_id 0
		.amdhsa_next_free_vgpr 1
		.amdhsa_next_free_sgpr 1
		.amdhsa_named_barrier_count 0
		.amdhsa_reserve_vcc 0
		.amdhsa_float_round_mode_32 0
		.amdhsa_float_round_mode_16_64 0
		.amdhsa_float_denorm_mode_32 3
		.amdhsa_float_denorm_mode_16_64 3
		.amdhsa_fp16_overflow 0
		.amdhsa_memory_ordered 1
		.amdhsa_forward_progress 1
		.amdhsa_inst_pref_size 0
		.amdhsa_round_robin_scheduling 0
		.amdhsa_exception_fp_ieee_invalid_op 0
		.amdhsa_exception_fp_denorm_src 0
		.amdhsa_exception_fp_ieee_div_zero 0
		.amdhsa_exception_fp_ieee_overflow 0
		.amdhsa_exception_fp_ieee_underflow 0
		.amdhsa_exception_fp_ieee_inexact 0
		.amdhsa_exception_int_div_zero 0
	.end_amdhsa_kernel
	.section	.text._ZN7rocprim17ROCPRIM_400000_NS6detail17trampoline_kernelINS0_14default_configENS1_35radix_sort_onesweep_config_selectorIlNS0_10empty_typeEEEZNS1_34radix_sort_onesweep_global_offsetsIS3_Lb1EPKlPS5_mNS0_19identity_decomposerEEE10hipError_tT1_T2_PT3_SF_jT4_jjP12ihipStream_tbEUlT_E0_NS1_11comp_targetILNS1_3genE5ELNS1_11target_archE942ELNS1_3gpuE9ELNS1_3repE0EEENS1_52radix_sort_onesweep_histogram_config_static_selectorELNS0_4arch9wavefront6targetE0EEEvSD_,"axG",@progbits,_ZN7rocprim17ROCPRIM_400000_NS6detail17trampoline_kernelINS0_14default_configENS1_35radix_sort_onesweep_config_selectorIlNS0_10empty_typeEEEZNS1_34radix_sort_onesweep_global_offsetsIS3_Lb1EPKlPS5_mNS0_19identity_decomposerEEE10hipError_tT1_T2_PT3_SF_jT4_jjP12ihipStream_tbEUlT_E0_NS1_11comp_targetILNS1_3genE5ELNS1_11target_archE942ELNS1_3gpuE9ELNS1_3repE0EEENS1_52radix_sort_onesweep_histogram_config_static_selectorELNS0_4arch9wavefront6targetE0EEEvSD_,comdat
.Lfunc_end1081:
	.size	_ZN7rocprim17ROCPRIM_400000_NS6detail17trampoline_kernelINS0_14default_configENS1_35radix_sort_onesweep_config_selectorIlNS0_10empty_typeEEEZNS1_34radix_sort_onesweep_global_offsetsIS3_Lb1EPKlPS5_mNS0_19identity_decomposerEEE10hipError_tT1_T2_PT3_SF_jT4_jjP12ihipStream_tbEUlT_E0_NS1_11comp_targetILNS1_3genE5ELNS1_11target_archE942ELNS1_3gpuE9ELNS1_3repE0EEENS1_52radix_sort_onesweep_histogram_config_static_selectorELNS0_4arch9wavefront6targetE0EEEvSD_, .Lfunc_end1081-_ZN7rocprim17ROCPRIM_400000_NS6detail17trampoline_kernelINS0_14default_configENS1_35radix_sort_onesweep_config_selectorIlNS0_10empty_typeEEEZNS1_34radix_sort_onesweep_global_offsetsIS3_Lb1EPKlPS5_mNS0_19identity_decomposerEEE10hipError_tT1_T2_PT3_SF_jT4_jjP12ihipStream_tbEUlT_E0_NS1_11comp_targetILNS1_3genE5ELNS1_11target_archE942ELNS1_3gpuE9ELNS1_3repE0EEENS1_52radix_sort_onesweep_histogram_config_static_selectorELNS0_4arch9wavefront6targetE0EEEvSD_
                                        ; -- End function
	.set _ZN7rocprim17ROCPRIM_400000_NS6detail17trampoline_kernelINS0_14default_configENS1_35radix_sort_onesweep_config_selectorIlNS0_10empty_typeEEEZNS1_34radix_sort_onesweep_global_offsetsIS3_Lb1EPKlPS5_mNS0_19identity_decomposerEEE10hipError_tT1_T2_PT3_SF_jT4_jjP12ihipStream_tbEUlT_E0_NS1_11comp_targetILNS1_3genE5ELNS1_11target_archE942ELNS1_3gpuE9ELNS1_3repE0EEENS1_52radix_sort_onesweep_histogram_config_static_selectorELNS0_4arch9wavefront6targetE0EEEvSD_.num_vgpr, 0
	.set _ZN7rocprim17ROCPRIM_400000_NS6detail17trampoline_kernelINS0_14default_configENS1_35radix_sort_onesweep_config_selectorIlNS0_10empty_typeEEEZNS1_34radix_sort_onesweep_global_offsetsIS3_Lb1EPKlPS5_mNS0_19identity_decomposerEEE10hipError_tT1_T2_PT3_SF_jT4_jjP12ihipStream_tbEUlT_E0_NS1_11comp_targetILNS1_3genE5ELNS1_11target_archE942ELNS1_3gpuE9ELNS1_3repE0EEENS1_52radix_sort_onesweep_histogram_config_static_selectorELNS0_4arch9wavefront6targetE0EEEvSD_.num_agpr, 0
	.set _ZN7rocprim17ROCPRIM_400000_NS6detail17trampoline_kernelINS0_14default_configENS1_35radix_sort_onesweep_config_selectorIlNS0_10empty_typeEEEZNS1_34radix_sort_onesweep_global_offsetsIS3_Lb1EPKlPS5_mNS0_19identity_decomposerEEE10hipError_tT1_T2_PT3_SF_jT4_jjP12ihipStream_tbEUlT_E0_NS1_11comp_targetILNS1_3genE5ELNS1_11target_archE942ELNS1_3gpuE9ELNS1_3repE0EEENS1_52radix_sort_onesweep_histogram_config_static_selectorELNS0_4arch9wavefront6targetE0EEEvSD_.numbered_sgpr, 0
	.set _ZN7rocprim17ROCPRIM_400000_NS6detail17trampoline_kernelINS0_14default_configENS1_35radix_sort_onesweep_config_selectorIlNS0_10empty_typeEEEZNS1_34radix_sort_onesweep_global_offsetsIS3_Lb1EPKlPS5_mNS0_19identity_decomposerEEE10hipError_tT1_T2_PT3_SF_jT4_jjP12ihipStream_tbEUlT_E0_NS1_11comp_targetILNS1_3genE5ELNS1_11target_archE942ELNS1_3gpuE9ELNS1_3repE0EEENS1_52radix_sort_onesweep_histogram_config_static_selectorELNS0_4arch9wavefront6targetE0EEEvSD_.num_named_barrier, 0
	.set _ZN7rocprim17ROCPRIM_400000_NS6detail17trampoline_kernelINS0_14default_configENS1_35radix_sort_onesweep_config_selectorIlNS0_10empty_typeEEEZNS1_34radix_sort_onesweep_global_offsetsIS3_Lb1EPKlPS5_mNS0_19identity_decomposerEEE10hipError_tT1_T2_PT3_SF_jT4_jjP12ihipStream_tbEUlT_E0_NS1_11comp_targetILNS1_3genE5ELNS1_11target_archE942ELNS1_3gpuE9ELNS1_3repE0EEENS1_52radix_sort_onesweep_histogram_config_static_selectorELNS0_4arch9wavefront6targetE0EEEvSD_.private_seg_size, 0
	.set _ZN7rocprim17ROCPRIM_400000_NS6detail17trampoline_kernelINS0_14default_configENS1_35radix_sort_onesweep_config_selectorIlNS0_10empty_typeEEEZNS1_34radix_sort_onesweep_global_offsetsIS3_Lb1EPKlPS5_mNS0_19identity_decomposerEEE10hipError_tT1_T2_PT3_SF_jT4_jjP12ihipStream_tbEUlT_E0_NS1_11comp_targetILNS1_3genE5ELNS1_11target_archE942ELNS1_3gpuE9ELNS1_3repE0EEENS1_52radix_sort_onesweep_histogram_config_static_selectorELNS0_4arch9wavefront6targetE0EEEvSD_.uses_vcc, 0
	.set _ZN7rocprim17ROCPRIM_400000_NS6detail17trampoline_kernelINS0_14default_configENS1_35radix_sort_onesweep_config_selectorIlNS0_10empty_typeEEEZNS1_34radix_sort_onesweep_global_offsetsIS3_Lb1EPKlPS5_mNS0_19identity_decomposerEEE10hipError_tT1_T2_PT3_SF_jT4_jjP12ihipStream_tbEUlT_E0_NS1_11comp_targetILNS1_3genE5ELNS1_11target_archE942ELNS1_3gpuE9ELNS1_3repE0EEENS1_52radix_sort_onesweep_histogram_config_static_selectorELNS0_4arch9wavefront6targetE0EEEvSD_.uses_flat_scratch, 0
	.set _ZN7rocprim17ROCPRIM_400000_NS6detail17trampoline_kernelINS0_14default_configENS1_35radix_sort_onesweep_config_selectorIlNS0_10empty_typeEEEZNS1_34radix_sort_onesweep_global_offsetsIS3_Lb1EPKlPS5_mNS0_19identity_decomposerEEE10hipError_tT1_T2_PT3_SF_jT4_jjP12ihipStream_tbEUlT_E0_NS1_11comp_targetILNS1_3genE5ELNS1_11target_archE942ELNS1_3gpuE9ELNS1_3repE0EEENS1_52radix_sort_onesweep_histogram_config_static_selectorELNS0_4arch9wavefront6targetE0EEEvSD_.has_dyn_sized_stack, 0
	.set _ZN7rocprim17ROCPRIM_400000_NS6detail17trampoline_kernelINS0_14default_configENS1_35radix_sort_onesweep_config_selectorIlNS0_10empty_typeEEEZNS1_34radix_sort_onesweep_global_offsetsIS3_Lb1EPKlPS5_mNS0_19identity_decomposerEEE10hipError_tT1_T2_PT3_SF_jT4_jjP12ihipStream_tbEUlT_E0_NS1_11comp_targetILNS1_3genE5ELNS1_11target_archE942ELNS1_3gpuE9ELNS1_3repE0EEENS1_52radix_sort_onesweep_histogram_config_static_selectorELNS0_4arch9wavefront6targetE0EEEvSD_.has_recursion, 0
	.set _ZN7rocprim17ROCPRIM_400000_NS6detail17trampoline_kernelINS0_14default_configENS1_35radix_sort_onesweep_config_selectorIlNS0_10empty_typeEEEZNS1_34radix_sort_onesweep_global_offsetsIS3_Lb1EPKlPS5_mNS0_19identity_decomposerEEE10hipError_tT1_T2_PT3_SF_jT4_jjP12ihipStream_tbEUlT_E0_NS1_11comp_targetILNS1_3genE5ELNS1_11target_archE942ELNS1_3gpuE9ELNS1_3repE0EEENS1_52radix_sort_onesweep_histogram_config_static_selectorELNS0_4arch9wavefront6targetE0EEEvSD_.has_indirect_call, 0
	.section	.AMDGPU.csdata,"",@progbits
; Kernel info:
; codeLenInByte = 0
; TotalNumSgprs: 0
; NumVgprs: 0
; ScratchSize: 0
; MemoryBound: 0
; FloatMode: 240
; IeeeMode: 1
; LDSByteSize: 0 bytes/workgroup (compile time only)
; SGPRBlocks: 0
; VGPRBlocks: 0
; NumSGPRsForWavesPerEU: 1
; NumVGPRsForWavesPerEU: 1
; NamedBarCnt: 0
; Occupancy: 16
; WaveLimiterHint : 0
; COMPUTE_PGM_RSRC2:SCRATCH_EN: 0
; COMPUTE_PGM_RSRC2:USER_SGPR: 2
; COMPUTE_PGM_RSRC2:TRAP_HANDLER: 0
; COMPUTE_PGM_RSRC2:TGID_X_EN: 1
; COMPUTE_PGM_RSRC2:TGID_Y_EN: 0
; COMPUTE_PGM_RSRC2:TGID_Z_EN: 0
; COMPUTE_PGM_RSRC2:TIDIG_COMP_CNT: 0
	.section	.text._ZN7rocprim17ROCPRIM_400000_NS6detail17trampoline_kernelINS0_14default_configENS1_35radix_sort_onesweep_config_selectorIlNS0_10empty_typeEEEZNS1_34radix_sort_onesweep_global_offsetsIS3_Lb1EPKlPS5_mNS0_19identity_decomposerEEE10hipError_tT1_T2_PT3_SF_jT4_jjP12ihipStream_tbEUlT_E0_NS1_11comp_targetILNS1_3genE2ELNS1_11target_archE906ELNS1_3gpuE6ELNS1_3repE0EEENS1_52radix_sort_onesweep_histogram_config_static_selectorELNS0_4arch9wavefront6targetE0EEEvSD_,"axG",@progbits,_ZN7rocprim17ROCPRIM_400000_NS6detail17trampoline_kernelINS0_14default_configENS1_35radix_sort_onesweep_config_selectorIlNS0_10empty_typeEEEZNS1_34radix_sort_onesweep_global_offsetsIS3_Lb1EPKlPS5_mNS0_19identity_decomposerEEE10hipError_tT1_T2_PT3_SF_jT4_jjP12ihipStream_tbEUlT_E0_NS1_11comp_targetILNS1_3genE2ELNS1_11target_archE906ELNS1_3gpuE6ELNS1_3repE0EEENS1_52radix_sort_onesweep_histogram_config_static_selectorELNS0_4arch9wavefront6targetE0EEEvSD_,comdat
	.protected	_ZN7rocprim17ROCPRIM_400000_NS6detail17trampoline_kernelINS0_14default_configENS1_35radix_sort_onesweep_config_selectorIlNS0_10empty_typeEEEZNS1_34radix_sort_onesweep_global_offsetsIS3_Lb1EPKlPS5_mNS0_19identity_decomposerEEE10hipError_tT1_T2_PT3_SF_jT4_jjP12ihipStream_tbEUlT_E0_NS1_11comp_targetILNS1_3genE2ELNS1_11target_archE906ELNS1_3gpuE6ELNS1_3repE0EEENS1_52radix_sort_onesweep_histogram_config_static_selectorELNS0_4arch9wavefront6targetE0EEEvSD_ ; -- Begin function _ZN7rocprim17ROCPRIM_400000_NS6detail17trampoline_kernelINS0_14default_configENS1_35radix_sort_onesweep_config_selectorIlNS0_10empty_typeEEEZNS1_34radix_sort_onesweep_global_offsetsIS3_Lb1EPKlPS5_mNS0_19identity_decomposerEEE10hipError_tT1_T2_PT3_SF_jT4_jjP12ihipStream_tbEUlT_E0_NS1_11comp_targetILNS1_3genE2ELNS1_11target_archE906ELNS1_3gpuE6ELNS1_3repE0EEENS1_52radix_sort_onesweep_histogram_config_static_selectorELNS0_4arch9wavefront6targetE0EEEvSD_
	.globl	_ZN7rocprim17ROCPRIM_400000_NS6detail17trampoline_kernelINS0_14default_configENS1_35radix_sort_onesweep_config_selectorIlNS0_10empty_typeEEEZNS1_34radix_sort_onesweep_global_offsetsIS3_Lb1EPKlPS5_mNS0_19identity_decomposerEEE10hipError_tT1_T2_PT3_SF_jT4_jjP12ihipStream_tbEUlT_E0_NS1_11comp_targetILNS1_3genE2ELNS1_11target_archE906ELNS1_3gpuE6ELNS1_3repE0EEENS1_52radix_sort_onesweep_histogram_config_static_selectorELNS0_4arch9wavefront6targetE0EEEvSD_
	.p2align	8
	.type	_ZN7rocprim17ROCPRIM_400000_NS6detail17trampoline_kernelINS0_14default_configENS1_35radix_sort_onesweep_config_selectorIlNS0_10empty_typeEEEZNS1_34radix_sort_onesweep_global_offsetsIS3_Lb1EPKlPS5_mNS0_19identity_decomposerEEE10hipError_tT1_T2_PT3_SF_jT4_jjP12ihipStream_tbEUlT_E0_NS1_11comp_targetILNS1_3genE2ELNS1_11target_archE906ELNS1_3gpuE6ELNS1_3repE0EEENS1_52radix_sort_onesweep_histogram_config_static_selectorELNS0_4arch9wavefront6targetE0EEEvSD_,@function
_ZN7rocprim17ROCPRIM_400000_NS6detail17trampoline_kernelINS0_14default_configENS1_35radix_sort_onesweep_config_selectorIlNS0_10empty_typeEEEZNS1_34radix_sort_onesweep_global_offsetsIS3_Lb1EPKlPS5_mNS0_19identity_decomposerEEE10hipError_tT1_T2_PT3_SF_jT4_jjP12ihipStream_tbEUlT_E0_NS1_11comp_targetILNS1_3genE2ELNS1_11target_archE906ELNS1_3gpuE6ELNS1_3repE0EEENS1_52radix_sort_onesweep_histogram_config_static_selectorELNS0_4arch9wavefront6targetE0EEEvSD_: ; @_ZN7rocprim17ROCPRIM_400000_NS6detail17trampoline_kernelINS0_14default_configENS1_35radix_sort_onesweep_config_selectorIlNS0_10empty_typeEEEZNS1_34radix_sort_onesweep_global_offsetsIS3_Lb1EPKlPS5_mNS0_19identity_decomposerEEE10hipError_tT1_T2_PT3_SF_jT4_jjP12ihipStream_tbEUlT_E0_NS1_11comp_targetILNS1_3genE2ELNS1_11target_archE906ELNS1_3gpuE6ELNS1_3repE0EEENS1_52radix_sort_onesweep_histogram_config_static_selectorELNS0_4arch9wavefront6targetE0EEEvSD_
; %bb.0:
	.section	.rodata,"a",@progbits
	.p2align	6, 0x0
	.amdhsa_kernel _ZN7rocprim17ROCPRIM_400000_NS6detail17trampoline_kernelINS0_14default_configENS1_35radix_sort_onesweep_config_selectorIlNS0_10empty_typeEEEZNS1_34radix_sort_onesweep_global_offsetsIS3_Lb1EPKlPS5_mNS0_19identity_decomposerEEE10hipError_tT1_T2_PT3_SF_jT4_jjP12ihipStream_tbEUlT_E0_NS1_11comp_targetILNS1_3genE2ELNS1_11target_archE906ELNS1_3gpuE6ELNS1_3repE0EEENS1_52radix_sort_onesweep_histogram_config_static_selectorELNS0_4arch9wavefront6targetE0EEEvSD_
		.amdhsa_group_segment_fixed_size 0
		.amdhsa_private_segment_fixed_size 0
		.amdhsa_kernarg_size 8
		.amdhsa_user_sgpr_count 2
		.amdhsa_user_sgpr_dispatch_ptr 0
		.amdhsa_user_sgpr_queue_ptr 0
		.amdhsa_user_sgpr_kernarg_segment_ptr 1
		.amdhsa_user_sgpr_dispatch_id 0
		.amdhsa_user_sgpr_kernarg_preload_length 0
		.amdhsa_user_sgpr_kernarg_preload_offset 0
		.amdhsa_user_sgpr_private_segment_size 0
		.amdhsa_wavefront_size32 1
		.amdhsa_uses_dynamic_stack 0
		.amdhsa_enable_private_segment 0
		.amdhsa_system_sgpr_workgroup_id_x 1
		.amdhsa_system_sgpr_workgroup_id_y 0
		.amdhsa_system_sgpr_workgroup_id_z 0
		.amdhsa_system_sgpr_workgroup_info 0
		.amdhsa_system_vgpr_workitem_id 0
		.amdhsa_next_free_vgpr 1
		.amdhsa_next_free_sgpr 1
		.amdhsa_named_barrier_count 0
		.amdhsa_reserve_vcc 0
		.amdhsa_float_round_mode_32 0
		.amdhsa_float_round_mode_16_64 0
		.amdhsa_float_denorm_mode_32 3
		.amdhsa_float_denorm_mode_16_64 3
		.amdhsa_fp16_overflow 0
		.amdhsa_memory_ordered 1
		.amdhsa_forward_progress 1
		.amdhsa_inst_pref_size 0
		.amdhsa_round_robin_scheduling 0
		.amdhsa_exception_fp_ieee_invalid_op 0
		.amdhsa_exception_fp_denorm_src 0
		.amdhsa_exception_fp_ieee_div_zero 0
		.amdhsa_exception_fp_ieee_overflow 0
		.amdhsa_exception_fp_ieee_underflow 0
		.amdhsa_exception_fp_ieee_inexact 0
		.amdhsa_exception_int_div_zero 0
	.end_amdhsa_kernel
	.section	.text._ZN7rocprim17ROCPRIM_400000_NS6detail17trampoline_kernelINS0_14default_configENS1_35radix_sort_onesweep_config_selectorIlNS0_10empty_typeEEEZNS1_34radix_sort_onesweep_global_offsetsIS3_Lb1EPKlPS5_mNS0_19identity_decomposerEEE10hipError_tT1_T2_PT3_SF_jT4_jjP12ihipStream_tbEUlT_E0_NS1_11comp_targetILNS1_3genE2ELNS1_11target_archE906ELNS1_3gpuE6ELNS1_3repE0EEENS1_52radix_sort_onesweep_histogram_config_static_selectorELNS0_4arch9wavefront6targetE0EEEvSD_,"axG",@progbits,_ZN7rocprim17ROCPRIM_400000_NS6detail17trampoline_kernelINS0_14default_configENS1_35radix_sort_onesweep_config_selectorIlNS0_10empty_typeEEEZNS1_34radix_sort_onesweep_global_offsetsIS3_Lb1EPKlPS5_mNS0_19identity_decomposerEEE10hipError_tT1_T2_PT3_SF_jT4_jjP12ihipStream_tbEUlT_E0_NS1_11comp_targetILNS1_3genE2ELNS1_11target_archE906ELNS1_3gpuE6ELNS1_3repE0EEENS1_52radix_sort_onesweep_histogram_config_static_selectorELNS0_4arch9wavefront6targetE0EEEvSD_,comdat
.Lfunc_end1082:
	.size	_ZN7rocprim17ROCPRIM_400000_NS6detail17trampoline_kernelINS0_14default_configENS1_35radix_sort_onesweep_config_selectorIlNS0_10empty_typeEEEZNS1_34radix_sort_onesweep_global_offsetsIS3_Lb1EPKlPS5_mNS0_19identity_decomposerEEE10hipError_tT1_T2_PT3_SF_jT4_jjP12ihipStream_tbEUlT_E0_NS1_11comp_targetILNS1_3genE2ELNS1_11target_archE906ELNS1_3gpuE6ELNS1_3repE0EEENS1_52radix_sort_onesweep_histogram_config_static_selectorELNS0_4arch9wavefront6targetE0EEEvSD_, .Lfunc_end1082-_ZN7rocprim17ROCPRIM_400000_NS6detail17trampoline_kernelINS0_14default_configENS1_35radix_sort_onesweep_config_selectorIlNS0_10empty_typeEEEZNS1_34radix_sort_onesweep_global_offsetsIS3_Lb1EPKlPS5_mNS0_19identity_decomposerEEE10hipError_tT1_T2_PT3_SF_jT4_jjP12ihipStream_tbEUlT_E0_NS1_11comp_targetILNS1_3genE2ELNS1_11target_archE906ELNS1_3gpuE6ELNS1_3repE0EEENS1_52radix_sort_onesweep_histogram_config_static_selectorELNS0_4arch9wavefront6targetE0EEEvSD_
                                        ; -- End function
	.set _ZN7rocprim17ROCPRIM_400000_NS6detail17trampoline_kernelINS0_14default_configENS1_35radix_sort_onesweep_config_selectorIlNS0_10empty_typeEEEZNS1_34radix_sort_onesweep_global_offsetsIS3_Lb1EPKlPS5_mNS0_19identity_decomposerEEE10hipError_tT1_T2_PT3_SF_jT4_jjP12ihipStream_tbEUlT_E0_NS1_11comp_targetILNS1_3genE2ELNS1_11target_archE906ELNS1_3gpuE6ELNS1_3repE0EEENS1_52radix_sort_onesweep_histogram_config_static_selectorELNS0_4arch9wavefront6targetE0EEEvSD_.num_vgpr, 0
	.set _ZN7rocprim17ROCPRIM_400000_NS6detail17trampoline_kernelINS0_14default_configENS1_35radix_sort_onesweep_config_selectorIlNS0_10empty_typeEEEZNS1_34radix_sort_onesweep_global_offsetsIS3_Lb1EPKlPS5_mNS0_19identity_decomposerEEE10hipError_tT1_T2_PT3_SF_jT4_jjP12ihipStream_tbEUlT_E0_NS1_11comp_targetILNS1_3genE2ELNS1_11target_archE906ELNS1_3gpuE6ELNS1_3repE0EEENS1_52radix_sort_onesweep_histogram_config_static_selectorELNS0_4arch9wavefront6targetE0EEEvSD_.num_agpr, 0
	.set _ZN7rocprim17ROCPRIM_400000_NS6detail17trampoline_kernelINS0_14default_configENS1_35radix_sort_onesweep_config_selectorIlNS0_10empty_typeEEEZNS1_34radix_sort_onesweep_global_offsetsIS3_Lb1EPKlPS5_mNS0_19identity_decomposerEEE10hipError_tT1_T2_PT3_SF_jT4_jjP12ihipStream_tbEUlT_E0_NS1_11comp_targetILNS1_3genE2ELNS1_11target_archE906ELNS1_3gpuE6ELNS1_3repE0EEENS1_52radix_sort_onesweep_histogram_config_static_selectorELNS0_4arch9wavefront6targetE0EEEvSD_.numbered_sgpr, 0
	.set _ZN7rocprim17ROCPRIM_400000_NS6detail17trampoline_kernelINS0_14default_configENS1_35radix_sort_onesweep_config_selectorIlNS0_10empty_typeEEEZNS1_34radix_sort_onesweep_global_offsetsIS3_Lb1EPKlPS5_mNS0_19identity_decomposerEEE10hipError_tT1_T2_PT3_SF_jT4_jjP12ihipStream_tbEUlT_E0_NS1_11comp_targetILNS1_3genE2ELNS1_11target_archE906ELNS1_3gpuE6ELNS1_3repE0EEENS1_52radix_sort_onesweep_histogram_config_static_selectorELNS0_4arch9wavefront6targetE0EEEvSD_.num_named_barrier, 0
	.set _ZN7rocprim17ROCPRIM_400000_NS6detail17trampoline_kernelINS0_14default_configENS1_35radix_sort_onesweep_config_selectorIlNS0_10empty_typeEEEZNS1_34radix_sort_onesweep_global_offsetsIS3_Lb1EPKlPS5_mNS0_19identity_decomposerEEE10hipError_tT1_T2_PT3_SF_jT4_jjP12ihipStream_tbEUlT_E0_NS1_11comp_targetILNS1_3genE2ELNS1_11target_archE906ELNS1_3gpuE6ELNS1_3repE0EEENS1_52radix_sort_onesweep_histogram_config_static_selectorELNS0_4arch9wavefront6targetE0EEEvSD_.private_seg_size, 0
	.set _ZN7rocprim17ROCPRIM_400000_NS6detail17trampoline_kernelINS0_14default_configENS1_35radix_sort_onesweep_config_selectorIlNS0_10empty_typeEEEZNS1_34radix_sort_onesweep_global_offsetsIS3_Lb1EPKlPS5_mNS0_19identity_decomposerEEE10hipError_tT1_T2_PT3_SF_jT4_jjP12ihipStream_tbEUlT_E0_NS1_11comp_targetILNS1_3genE2ELNS1_11target_archE906ELNS1_3gpuE6ELNS1_3repE0EEENS1_52radix_sort_onesweep_histogram_config_static_selectorELNS0_4arch9wavefront6targetE0EEEvSD_.uses_vcc, 0
	.set _ZN7rocprim17ROCPRIM_400000_NS6detail17trampoline_kernelINS0_14default_configENS1_35radix_sort_onesweep_config_selectorIlNS0_10empty_typeEEEZNS1_34radix_sort_onesweep_global_offsetsIS3_Lb1EPKlPS5_mNS0_19identity_decomposerEEE10hipError_tT1_T2_PT3_SF_jT4_jjP12ihipStream_tbEUlT_E0_NS1_11comp_targetILNS1_3genE2ELNS1_11target_archE906ELNS1_3gpuE6ELNS1_3repE0EEENS1_52radix_sort_onesweep_histogram_config_static_selectorELNS0_4arch9wavefront6targetE0EEEvSD_.uses_flat_scratch, 0
	.set _ZN7rocprim17ROCPRIM_400000_NS6detail17trampoline_kernelINS0_14default_configENS1_35radix_sort_onesweep_config_selectorIlNS0_10empty_typeEEEZNS1_34radix_sort_onesweep_global_offsetsIS3_Lb1EPKlPS5_mNS0_19identity_decomposerEEE10hipError_tT1_T2_PT3_SF_jT4_jjP12ihipStream_tbEUlT_E0_NS1_11comp_targetILNS1_3genE2ELNS1_11target_archE906ELNS1_3gpuE6ELNS1_3repE0EEENS1_52radix_sort_onesweep_histogram_config_static_selectorELNS0_4arch9wavefront6targetE0EEEvSD_.has_dyn_sized_stack, 0
	.set _ZN7rocprim17ROCPRIM_400000_NS6detail17trampoline_kernelINS0_14default_configENS1_35radix_sort_onesweep_config_selectorIlNS0_10empty_typeEEEZNS1_34radix_sort_onesweep_global_offsetsIS3_Lb1EPKlPS5_mNS0_19identity_decomposerEEE10hipError_tT1_T2_PT3_SF_jT4_jjP12ihipStream_tbEUlT_E0_NS1_11comp_targetILNS1_3genE2ELNS1_11target_archE906ELNS1_3gpuE6ELNS1_3repE0EEENS1_52radix_sort_onesweep_histogram_config_static_selectorELNS0_4arch9wavefront6targetE0EEEvSD_.has_recursion, 0
	.set _ZN7rocprim17ROCPRIM_400000_NS6detail17trampoline_kernelINS0_14default_configENS1_35radix_sort_onesweep_config_selectorIlNS0_10empty_typeEEEZNS1_34radix_sort_onesweep_global_offsetsIS3_Lb1EPKlPS5_mNS0_19identity_decomposerEEE10hipError_tT1_T2_PT3_SF_jT4_jjP12ihipStream_tbEUlT_E0_NS1_11comp_targetILNS1_3genE2ELNS1_11target_archE906ELNS1_3gpuE6ELNS1_3repE0EEENS1_52radix_sort_onesweep_histogram_config_static_selectorELNS0_4arch9wavefront6targetE0EEEvSD_.has_indirect_call, 0
	.section	.AMDGPU.csdata,"",@progbits
; Kernel info:
; codeLenInByte = 0
; TotalNumSgprs: 0
; NumVgprs: 0
; ScratchSize: 0
; MemoryBound: 0
; FloatMode: 240
; IeeeMode: 1
; LDSByteSize: 0 bytes/workgroup (compile time only)
; SGPRBlocks: 0
; VGPRBlocks: 0
; NumSGPRsForWavesPerEU: 1
; NumVGPRsForWavesPerEU: 1
; NamedBarCnt: 0
; Occupancy: 16
; WaveLimiterHint : 0
; COMPUTE_PGM_RSRC2:SCRATCH_EN: 0
; COMPUTE_PGM_RSRC2:USER_SGPR: 2
; COMPUTE_PGM_RSRC2:TRAP_HANDLER: 0
; COMPUTE_PGM_RSRC2:TGID_X_EN: 1
; COMPUTE_PGM_RSRC2:TGID_Y_EN: 0
; COMPUTE_PGM_RSRC2:TGID_Z_EN: 0
; COMPUTE_PGM_RSRC2:TIDIG_COMP_CNT: 0
	.section	.text._ZN7rocprim17ROCPRIM_400000_NS6detail17trampoline_kernelINS0_14default_configENS1_35radix_sort_onesweep_config_selectorIlNS0_10empty_typeEEEZNS1_34radix_sort_onesweep_global_offsetsIS3_Lb1EPKlPS5_mNS0_19identity_decomposerEEE10hipError_tT1_T2_PT3_SF_jT4_jjP12ihipStream_tbEUlT_E0_NS1_11comp_targetILNS1_3genE4ELNS1_11target_archE910ELNS1_3gpuE8ELNS1_3repE0EEENS1_52radix_sort_onesweep_histogram_config_static_selectorELNS0_4arch9wavefront6targetE0EEEvSD_,"axG",@progbits,_ZN7rocprim17ROCPRIM_400000_NS6detail17trampoline_kernelINS0_14default_configENS1_35radix_sort_onesweep_config_selectorIlNS0_10empty_typeEEEZNS1_34radix_sort_onesweep_global_offsetsIS3_Lb1EPKlPS5_mNS0_19identity_decomposerEEE10hipError_tT1_T2_PT3_SF_jT4_jjP12ihipStream_tbEUlT_E0_NS1_11comp_targetILNS1_3genE4ELNS1_11target_archE910ELNS1_3gpuE8ELNS1_3repE0EEENS1_52radix_sort_onesweep_histogram_config_static_selectorELNS0_4arch9wavefront6targetE0EEEvSD_,comdat
	.protected	_ZN7rocprim17ROCPRIM_400000_NS6detail17trampoline_kernelINS0_14default_configENS1_35radix_sort_onesweep_config_selectorIlNS0_10empty_typeEEEZNS1_34radix_sort_onesweep_global_offsetsIS3_Lb1EPKlPS5_mNS0_19identity_decomposerEEE10hipError_tT1_T2_PT3_SF_jT4_jjP12ihipStream_tbEUlT_E0_NS1_11comp_targetILNS1_3genE4ELNS1_11target_archE910ELNS1_3gpuE8ELNS1_3repE0EEENS1_52radix_sort_onesweep_histogram_config_static_selectorELNS0_4arch9wavefront6targetE0EEEvSD_ ; -- Begin function _ZN7rocprim17ROCPRIM_400000_NS6detail17trampoline_kernelINS0_14default_configENS1_35radix_sort_onesweep_config_selectorIlNS0_10empty_typeEEEZNS1_34radix_sort_onesweep_global_offsetsIS3_Lb1EPKlPS5_mNS0_19identity_decomposerEEE10hipError_tT1_T2_PT3_SF_jT4_jjP12ihipStream_tbEUlT_E0_NS1_11comp_targetILNS1_3genE4ELNS1_11target_archE910ELNS1_3gpuE8ELNS1_3repE0EEENS1_52radix_sort_onesweep_histogram_config_static_selectorELNS0_4arch9wavefront6targetE0EEEvSD_
	.globl	_ZN7rocprim17ROCPRIM_400000_NS6detail17trampoline_kernelINS0_14default_configENS1_35radix_sort_onesweep_config_selectorIlNS0_10empty_typeEEEZNS1_34radix_sort_onesweep_global_offsetsIS3_Lb1EPKlPS5_mNS0_19identity_decomposerEEE10hipError_tT1_T2_PT3_SF_jT4_jjP12ihipStream_tbEUlT_E0_NS1_11comp_targetILNS1_3genE4ELNS1_11target_archE910ELNS1_3gpuE8ELNS1_3repE0EEENS1_52radix_sort_onesweep_histogram_config_static_selectorELNS0_4arch9wavefront6targetE0EEEvSD_
	.p2align	8
	.type	_ZN7rocprim17ROCPRIM_400000_NS6detail17trampoline_kernelINS0_14default_configENS1_35radix_sort_onesweep_config_selectorIlNS0_10empty_typeEEEZNS1_34radix_sort_onesweep_global_offsetsIS3_Lb1EPKlPS5_mNS0_19identity_decomposerEEE10hipError_tT1_T2_PT3_SF_jT4_jjP12ihipStream_tbEUlT_E0_NS1_11comp_targetILNS1_3genE4ELNS1_11target_archE910ELNS1_3gpuE8ELNS1_3repE0EEENS1_52radix_sort_onesweep_histogram_config_static_selectorELNS0_4arch9wavefront6targetE0EEEvSD_,@function
_ZN7rocprim17ROCPRIM_400000_NS6detail17trampoline_kernelINS0_14default_configENS1_35radix_sort_onesweep_config_selectorIlNS0_10empty_typeEEEZNS1_34radix_sort_onesweep_global_offsetsIS3_Lb1EPKlPS5_mNS0_19identity_decomposerEEE10hipError_tT1_T2_PT3_SF_jT4_jjP12ihipStream_tbEUlT_E0_NS1_11comp_targetILNS1_3genE4ELNS1_11target_archE910ELNS1_3gpuE8ELNS1_3repE0EEENS1_52radix_sort_onesweep_histogram_config_static_selectorELNS0_4arch9wavefront6targetE0EEEvSD_: ; @_ZN7rocprim17ROCPRIM_400000_NS6detail17trampoline_kernelINS0_14default_configENS1_35radix_sort_onesweep_config_selectorIlNS0_10empty_typeEEEZNS1_34radix_sort_onesweep_global_offsetsIS3_Lb1EPKlPS5_mNS0_19identity_decomposerEEE10hipError_tT1_T2_PT3_SF_jT4_jjP12ihipStream_tbEUlT_E0_NS1_11comp_targetILNS1_3genE4ELNS1_11target_archE910ELNS1_3gpuE8ELNS1_3repE0EEENS1_52radix_sort_onesweep_histogram_config_static_selectorELNS0_4arch9wavefront6targetE0EEEvSD_
; %bb.0:
	.section	.rodata,"a",@progbits
	.p2align	6, 0x0
	.amdhsa_kernel _ZN7rocprim17ROCPRIM_400000_NS6detail17trampoline_kernelINS0_14default_configENS1_35radix_sort_onesweep_config_selectorIlNS0_10empty_typeEEEZNS1_34radix_sort_onesweep_global_offsetsIS3_Lb1EPKlPS5_mNS0_19identity_decomposerEEE10hipError_tT1_T2_PT3_SF_jT4_jjP12ihipStream_tbEUlT_E0_NS1_11comp_targetILNS1_3genE4ELNS1_11target_archE910ELNS1_3gpuE8ELNS1_3repE0EEENS1_52radix_sort_onesweep_histogram_config_static_selectorELNS0_4arch9wavefront6targetE0EEEvSD_
		.amdhsa_group_segment_fixed_size 0
		.amdhsa_private_segment_fixed_size 0
		.amdhsa_kernarg_size 8
		.amdhsa_user_sgpr_count 2
		.amdhsa_user_sgpr_dispatch_ptr 0
		.amdhsa_user_sgpr_queue_ptr 0
		.amdhsa_user_sgpr_kernarg_segment_ptr 1
		.amdhsa_user_sgpr_dispatch_id 0
		.amdhsa_user_sgpr_kernarg_preload_length 0
		.amdhsa_user_sgpr_kernarg_preload_offset 0
		.amdhsa_user_sgpr_private_segment_size 0
		.amdhsa_wavefront_size32 1
		.amdhsa_uses_dynamic_stack 0
		.amdhsa_enable_private_segment 0
		.amdhsa_system_sgpr_workgroup_id_x 1
		.amdhsa_system_sgpr_workgroup_id_y 0
		.amdhsa_system_sgpr_workgroup_id_z 0
		.amdhsa_system_sgpr_workgroup_info 0
		.amdhsa_system_vgpr_workitem_id 0
		.amdhsa_next_free_vgpr 1
		.amdhsa_next_free_sgpr 1
		.amdhsa_named_barrier_count 0
		.amdhsa_reserve_vcc 0
		.amdhsa_float_round_mode_32 0
		.amdhsa_float_round_mode_16_64 0
		.amdhsa_float_denorm_mode_32 3
		.amdhsa_float_denorm_mode_16_64 3
		.amdhsa_fp16_overflow 0
		.amdhsa_memory_ordered 1
		.amdhsa_forward_progress 1
		.amdhsa_inst_pref_size 0
		.amdhsa_round_robin_scheduling 0
		.amdhsa_exception_fp_ieee_invalid_op 0
		.amdhsa_exception_fp_denorm_src 0
		.amdhsa_exception_fp_ieee_div_zero 0
		.amdhsa_exception_fp_ieee_overflow 0
		.amdhsa_exception_fp_ieee_underflow 0
		.amdhsa_exception_fp_ieee_inexact 0
		.amdhsa_exception_int_div_zero 0
	.end_amdhsa_kernel
	.section	.text._ZN7rocprim17ROCPRIM_400000_NS6detail17trampoline_kernelINS0_14default_configENS1_35radix_sort_onesweep_config_selectorIlNS0_10empty_typeEEEZNS1_34radix_sort_onesweep_global_offsetsIS3_Lb1EPKlPS5_mNS0_19identity_decomposerEEE10hipError_tT1_T2_PT3_SF_jT4_jjP12ihipStream_tbEUlT_E0_NS1_11comp_targetILNS1_3genE4ELNS1_11target_archE910ELNS1_3gpuE8ELNS1_3repE0EEENS1_52radix_sort_onesweep_histogram_config_static_selectorELNS0_4arch9wavefront6targetE0EEEvSD_,"axG",@progbits,_ZN7rocprim17ROCPRIM_400000_NS6detail17trampoline_kernelINS0_14default_configENS1_35radix_sort_onesweep_config_selectorIlNS0_10empty_typeEEEZNS1_34radix_sort_onesweep_global_offsetsIS3_Lb1EPKlPS5_mNS0_19identity_decomposerEEE10hipError_tT1_T2_PT3_SF_jT4_jjP12ihipStream_tbEUlT_E0_NS1_11comp_targetILNS1_3genE4ELNS1_11target_archE910ELNS1_3gpuE8ELNS1_3repE0EEENS1_52radix_sort_onesweep_histogram_config_static_selectorELNS0_4arch9wavefront6targetE0EEEvSD_,comdat
.Lfunc_end1083:
	.size	_ZN7rocprim17ROCPRIM_400000_NS6detail17trampoline_kernelINS0_14default_configENS1_35radix_sort_onesweep_config_selectorIlNS0_10empty_typeEEEZNS1_34radix_sort_onesweep_global_offsetsIS3_Lb1EPKlPS5_mNS0_19identity_decomposerEEE10hipError_tT1_T2_PT3_SF_jT4_jjP12ihipStream_tbEUlT_E0_NS1_11comp_targetILNS1_3genE4ELNS1_11target_archE910ELNS1_3gpuE8ELNS1_3repE0EEENS1_52radix_sort_onesweep_histogram_config_static_selectorELNS0_4arch9wavefront6targetE0EEEvSD_, .Lfunc_end1083-_ZN7rocprim17ROCPRIM_400000_NS6detail17trampoline_kernelINS0_14default_configENS1_35radix_sort_onesweep_config_selectorIlNS0_10empty_typeEEEZNS1_34radix_sort_onesweep_global_offsetsIS3_Lb1EPKlPS5_mNS0_19identity_decomposerEEE10hipError_tT1_T2_PT3_SF_jT4_jjP12ihipStream_tbEUlT_E0_NS1_11comp_targetILNS1_3genE4ELNS1_11target_archE910ELNS1_3gpuE8ELNS1_3repE0EEENS1_52radix_sort_onesweep_histogram_config_static_selectorELNS0_4arch9wavefront6targetE0EEEvSD_
                                        ; -- End function
	.set _ZN7rocprim17ROCPRIM_400000_NS6detail17trampoline_kernelINS0_14default_configENS1_35radix_sort_onesweep_config_selectorIlNS0_10empty_typeEEEZNS1_34radix_sort_onesweep_global_offsetsIS3_Lb1EPKlPS5_mNS0_19identity_decomposerEEE10hipError_tT1_T2_PT3_SF_jT4_jjP12ihipStream_tbEUlT_E0_NS1_11comp_targetILNS1_3genE4ELNS1_11target_archE910ELNS1_3gpuE8ELNS1_3repE0EEENS1_52radix_sort_onesweep_histogram_config_static_selectorELNS0_4arch9wavefront6targetE0EEEvSD_.num_vgpr, 0
	.set _ZN7rocprim17ROCPRIM_400000_NS6detail17trampoline_kernelINS0_14default_configENS1_35radix_sort_onesweep_config_selectorIlNS0_10empty_typeEEEZNS1_34radix_sort_onesweep_global_offsetsIS3_Lb1EPKlPS5_mNS0_19identity_decomposerEEE10hipError_tT1_T2_PT3_SF_jT4_jjP12ihipStream_tbEUlT_E0_NS1_11comp_targetILNS1_3genE4ELNS1_11target_archE910ELNS1_3gpuE8ELNS1_3repE0EEENS1_52radix_sort_onesweep_histogram_config_static_selectorELNS0_4arch9wavefront6targetE0EEEvSD_.num_agpr, 0
	.set _ZN7rocprim17ROCPRIM_400000_NS6detail17trampoline_kernelINS0_14default_configENS1_35radix_sort_onesweep_config_selectorIlNS0_10empty_typeEEEZNS1_34radix_sort_onesweep_global_offsetsIS3_Lb1EPKlPS5_mNS0_19identity_decomposerEEE10hipError_tT1_T2_PT3_SF_jT4_jjP12ihipStream_tbEUlT_E0_NS1_11comp_targetILNS1_3genE4ELNS1_11target_archE910ELNS1_3gpuE8ELNS1_3repE0EEENS1_52radix_sort_onesweep_histogram_config_static_selectorELNS0_4arch9wavefront6targetE0EEEvSD_.numbered_sgpr, 0
	.set _ZN7rocprim17ROCPRIM_400000_NS6detail17trampoline_kernelINS0_14default_configENS1_35radix_sort_onesweep_config_selectorIlNS0_10empty_typeEEEZNS1_34radix_sort_onesweep_global_offsetsIS3_Lb1EPKlPS5_mNS0_19identity_decomposerEEE10hipError_tT1_T2_PT3_SF_jT4_jjP12ihipStream_tbEUlT_E0_NS1_11comp_targetILNS1_3genE4ELNS1_11target_archE910ELNS1_3gpuE8ELNS1_3repE0EEENS1_52radix_sort_onesweep_histogram_config_static_selectorELNS0_4arch9wavefront6targetE0EEEvSD_.num_named_barrier, 0
	.set _ZN7rocprim17ROCPRIM_400000_NS6detail17trampoline_kernelINS0_14default_configENS1_35radix_sort_onesweep_config_selectorIlNS0_10empty_typeEEEZNS1_34radix_sort_onesweep_global_offsetsIS3_Lb1EPKlPS5_mNS0_19identity_decomposerEEE10hipError_tT1_T2_PT3_SF_jT4_jjP12ihipStream_tbEUlT_E0_NS1_11comp_targetILNS1_3genE4ELNS1_11target_archE910ELNS1_3gpuE8ELNS1_3repE0EEENS1_52radix_sort_onesweep_histogram_config_static_selectorELNS0_4arch9wavefront6targetE0EEEvSD_.private_seg_size, 0
	.set _ZN7rocprim17ROCPRIM_400000_NS6detail17trampoline_kernelINS0_14default_configENS1_35radix_sort_onesweep_config_selectorIlNS0_10empty_typeEEEZNS1_34radix_sort_onesweep_global_offsetsIS3_Lb1EPKlPS5_mNS0_19identity_decomposerEEE10hipError_tT1_T2_PT3_SF_jT4_jjP12ihipStream_tbEUlT_E0_NS1_11comp_targetILNS1_3genE4ELNS1_11target_archE910ELNS1_3gpuE8ELNS1_3repE0EEENS1_52radix_sort_onesweep_histogram_config_static_selectorELNS0_4arch9wavefront6targetE0EEEvSD_.uses_vcc, 0
	.set _ZN7rocprim17ROCPRIM_400000_NS6detail17trampoline_kernelINS0_14default_configENS1_35radix_sort_onesweep_config_selectorIlNS0_10empty_typeEEEZNS1_34radix_sort_onesweep_global_offsetsIS3_Lb1EPKlPS5_mNS0_19identity_decomposerEEE10hipError_tT1_T2_PT3_SF_jT4_jjP12ihipStream_tbEUlT_E0_NS1_11comp_targetILNS1_3genE4ELNS1_11target_archE910ELNS1_3gpuE8ELNS1_3repE0EEENS1_52radix_sort_onesweep_histogram_config_static_selectorELNS0_4arch9wavefront6targetE0EEEvSD_.uses_flat_scratch, 0
	.set _ZN7rocprim17ROCPRIM_400000_NS6detail17trampoline_kernelINS0_14default_configENS1_35radix_sort_onesweep_config_selectorIlNS0_10empty_typeEEEZNS1_34radix_sort_onesweep_global_offsetsIS3_Lb1EPKlPS5_mNS0_19identity_decomposerEEE10hipError_tT1_T2_PT3_SF_jT4_jjP12ihipStream_tbEUlT_E0_NS1_11comp_targetILNS1_3genE4ELNS1_11target_archE910ELNS1_3gpuE8ELNS1_3repE0EEENS1_52radix_sort_onesweep_histogram_config_static_selectorELNS0_4arch9wavefront6targetE0EEEvSD_.has_dyn_sized_stack, 0
	.set _ZN7rocprim17ROCPRIM_400000_NS6detail17trampoline_kernelINS0_14default_configENS1_35radix_sort_onesweep_config_selectorIlNS0_10empty_typeEEEZNS1_34radix_sort_onesweep_global_offsetsIS3_Lb1EPKlPS5_mNS0_19identity_decomposerEEE10hipError_tT1_T2_PT3_SF_jT4_jjP12ihipStream_tbEUlT_E0_NS1_11comp_targetILNS1_3genE4ELNS1_11target_archE910ELNS1_3gpuE8ELNS1_3repE0EEENS1_52radix_sort_onesweep_histogram_config_static_selectorELNS0_4arch9wavefront6targetE0EEEvSD_.has_recursion, 0
	.set _ZN7rocprim17ROCPRIM_400000_NS6detail17trampoline_kernelINS0_14default_configENS1_35radix_sort_onesweep_config_selectorIlNS0_10empty_typeEEEZNS1_34radix_sort_onesweep_global_offsetsIS3_Lb1EPKlPS5_mNS0_19identity_decomposerEEE10hipError_tT1_T2_PT3_SF_jT4_jjP12ihipStream_tbEUlT_E0_NS1_11comp_targetILNS1_3genE4ELNS1_11target_archE910ELNS1_3gpuE8ELNS1_3repE0EEENS1_52radix_sort_onesweep_histogram_config_static_selectorELNS0_4arch9wavefront6targetE0EEEvSD_.has_indirect_call, 0
	.section	.AMDGPU.csdata,"",@progbits
; Kernel info:
; codeLenInByte = 0
; TotalNumSgprs: 0
; NumVgprs: 0
; ScratchSize: 0
; MemoryBound: 0
; FloatMode: 240
; IeeeMode: 1
; LDSByteSize: 0 bytes/workgroup (compile time only)
; SGPRBlocks: 0
; VGPRBlocks: 0
; NumSGPRsForWavesPerEU: 1
; NumVGPRsForWavesPerEU: 1
; NamedBarCnt: 0
; Occupancy: 16
; WaveLimiterHint : 0
; COMPUTE_PGM_RSRC2:SCRATCH_EN: 0
; COMPUTE_PGM_RSRC2:USER_SGPR: 2
; COMPUTE_PGM_RSRC2:TRAP_HANDLER: 0
; COMPUTE_PGM_RSRC2:TGID_X_EN: 1
; COMPUTE_PGM_RSRC2:TGID_Y_EN: 0
; COMPUTE_PGM_RSRC2:TGID_Z_EN: 0
; COMPUTE_PGM_RSRC2:TIDIG_COMP_CNT: 0
	.section	.text._ZN7rocprim17ROCPRIM_400000_NS6detail17trampoline_kernelINS0_14default_configENS1_35radix_sort_onesweep_config_selectorIlNS0_10empty_typeEEEZNS1_34radix_sort_onesweep_global_offsetsIS3_Lb1EPKlPS5_mNS0_19identity_decomposerEEE10hipError_tT1_T2_PT3_SF_jT4_jjP12ihipStream_tbEUlT_E0_NS1_11comp_targetILNS1_3genE3ELNS1_11target_archE908ELNS1_3gpuE7ELNS1_3repE0EEENS1_52radix_sort_onesweep_histogram_config_static_selectorELNS0_4arch9wavefront6targetE0EEEvSD_,"axG",@progbits,_ZN7rocprim17ROCPRIM_400000_NS6detail17trampoline_kernelINS0_14default_configENS1_35radix_sort_onesweep_config_selectorIlNS0_10empty_typeEEEZNS1_34radix_sort_onesweep_global_offsetsIS3_Lb1EPKlPS5_mNS0_19identity_decomposerEEE10hipError_tT1_T2_PT3_SF_jT4_jjP12ihipStream_tbEUlT_E0_NS1_11comp_targetILNS1_3genE3ELNS1_11target_archE908ELNS1_3gpuE7ELNS1_3repE0EEENS1_52radix_sort_onesweep_histogram_config_static_selectorELNS0_4arch9wavefront6targetE0EEEvSD_,comdat
	.protected	_ZN7rocprim17ROCPRIM_400000_NS6detail17trampoline_kernelINS0_14default_configENS1_35radix_sort_onesweep_config_selectorIlNS0_10empty_typeEEEZNS1_34radix_sort_onesweep_global_offsetsIS3_Lb1EPKlPS5_mNS0_19identity_decomposerEEE10hipError_tT1_T2_PT3_SF_jT4_jjP12ihipStream_tbEUlT_E0_NS1_11comp_targetILNS1_3genE3ELNS1_11target_archE908ELNS1_3gpuE7ELNS1_3repE0EEENS1_52radix_sort_onesweep_histogram_config_static_selectorELNS0_4arch9wavefront6targetE0EEEvSD_ ; -- Begin function _ZN7rocprim17ROCPRIM_400000_NS6detail17trampoline_kernelINS0_14default_configENS1_35radix_sort_onesweep_config_selectorIlNS0_10empty_typeEEEZNS1_34radix_sort_onesweep_global_offsetsIS3_Lb1EPKlPS5_mNS0_19identity_decomposerEEE10hipError_tT1_T2_PT3_SF_jT4_jjP12ihipStream_tbEUlT_E0_NS1_11comp_targetILNS1_3genE3ELNS1_11target_archE908ELNS1_3gpuE7ELNS1_3repE0EEENS1_52radix_sort_onesweep_histogram_config_static_selectorELNS0_4arch9wavefront6targetE0EEEvSD_
	.globl	_ZN7rocprim17ROCPRIM_400000_NS6detail17trampoline_kernelINS0_14default_configENS1_35radix_sort_onesweep_config_selectorIlNS0_10empty_typeEEEZNS1_34radix_sort_onesweep_global_offsetsIS3_Lb1EPKlPS5_mNS0_19identity_decomposerEEE10hipError_tT1_T2_PT3_SF_jT4_jjP12ihipStream_tbEUlT_E0_NS1_11comp_targetILNS1_3genE3ELNS1_11target_archE908ELNS1_3gpuE7ELNS1_3repE0EEENS1_52radix_sort_onesweep_histogram_config_static_selectorELNS0_4arch9wavefront6targetE0EEEvSD_
	.p2align	8
	.type	_ZN7rocprim17ROCPRIM_400000_NS6detail17trampoline_kernelINS0_14default_configENS1_35radix_sort_onesweep_config_selectorIlNS0_10empty_typeEEEZNS1_34radix_sort_onesweep_global_offsetsIS3_Lb1EPKlPS5_mNS0_19identity_decomposerEEE10hipError_tT1_T2_PT3_SF_jT4_jjP12ihipStream_tbEUlT_E0_NS1_11comp_targetILNS1_3genE3ELNS1_11target_archE908ELNS1_3gpuE7ELNS1_3repE0EEENS1_52radix_sort_onesweep_histogram_config_static_selectorELNS0_4arch9wavefront6targetE0EEEvSD_,@function
_ZN7rocprim17ROCPRIM_400000_NS6detail17trampoline_kernelINS0_14default_configENS1_35radix_sort_onesweep_config_selectorIlNS0_10empty_typeEEEZNS1_34radix_sort_onesweep_global_offsetsIS3_Lb1EPKlPS5_mNS0_19identity_decomposerEEE10hipError_tT1_T2_PT3_SF_jT4_jjP12ihipStream_tbEUlT_E0_NS1_11comp_targetILNS1_3genE3ELNS1_11target_archE908ELNS1_3gpuE7ELNS1_3repE0EEENS1_52radix_sort_onesweep_histogram_config_static_selectorELNS0_4arch9wavefront6targetE0EEEvSD_: ; @_ZN7rocprim17ROCPRIM_400000_NS6detail17trampoline_kernelINS0_14default_configENS1_35radix_sort_onesweep_config_selectorIlNS0_10empty_typeEEEZNS1_34radix_sort_onesweep_global_offsetsIS3_Lb1EPKlPS5_mNS0_19identity_decomposerEEE10hipError_tT1_T2_PT3_SF_jT4_jjP12ihipStream_tbEUlT_E0_NS1_11comp_targetILNS1_3genE3ELNS1_11target_archE908ELNS1_3gpuE7ELNS1_3repE0EEENS1_52radix_sort_onesweep_histogram_config_static_selectorELNS0_4arch9wavefront6targetE0EEEvSD_
; %bb.0:
	.section	.rodata,"a",@progbits
	.p2align	6, 0x0
	.amdhsa_kernel _ZN7rocprim17ROCPRIM_400000_NS6detail17trampoline_kernelINS0_14default_configENS1_35radix_sort_onesweep_config_selectorIlNS0_10empty_typeEEEZNS1_34radix_sort_onesweep_global_offsetsIS3_Lb1EPKlPS5_mNS0_19identity_decomposerEEE10hipError_tT1_T2_PT3_SF_jT4_jjP12ihipStream_tbEUlT_E0_NS1_11comp_targetILNS1_3genE3ELNS1_11target_archE908ELNS1_3gpuE7ELNS1_3repE0EEENS1_52radix_sort_onesweep_histogram_config_static_selectorELNS0_4arch9wavefront6targetE0EEEvSD_
		.amdhsa_group_segment_fixed_size 0
		.amdhsa_private_segment_fixed_size 0
		.amdhsa_kernarg_size 8
		.amdhsa_user_sgpr_count 2
		.amdhsa_user_sgpr_dispatch_ptr 0
		.amdhsa_user_sgpr_queue_ptr 0
		.amdhsa_user_sgpr_kernarg_segment_ptr 1
		.amdhsa_user_sgpr_dispatch_id 0
		.amdhsa_user_sgpr_kernarg_preload_length 0
		.amdhsa_user_sgpr_kernarg_preload_offset 0
		.amdhsa_user_sgpr_private_segment_size 0
		.amdhsa_wavefront_size32 1
		.amdhsa_uses_dynamic_stack 0
		.amdhsa_enable_private_segment 0
		.amdhsa_system_sgpr_workgroup_id_x 1
		.amdhsa_system_sgpr_workgroup_id_y 0
		.amdhsa_system_sgpr_workgroup_id_z 0
		.amdhsa_system_sgpr_workgroup_info 0
		.amdhsa_system_vgpr_workitem_id 0
		.amdhsa_next_free_vgpr 1
		.amdhsa_next_free_sgpr 1
		.amdhsa_named_barrier_count 0
		.amdhsa_reserve_vcc 0
		.amdhsa_float_round_mode_32 0
		.amdhsa_float_round_mode_16_64 0
		.amdhsa_float_denorm_mode_32 3
		.amdhsa_float_denorm_mode_16_64 3
		.amdhsa_fp16_overflow 0
		.amdhsa_memory_ordered 1
		.amdhsa_forward_progress 1
		.amdhsa_inst_pref_size 0
		.amdhsa_round_robin_scheduling 0
		.amdhsa_exception_fp_ieee_invalid_op 0
		.amdhsa_exception_fp_denorm_src 0
		.amdhsa_exception_fp_ieee_div_zero 0
		.amdhsa_exception_fp_ieee_overflow 0
		.amdhsa_exception_fp_ieee_underflow 0
		.amdhsa_exception_fp_ieee_inexact 0
		.amdhsa_exception_int_div_zero 0
	.end_amdhsa_kernel
	.section	.text._ZN7rocprim17ROCPRIM_400000_NS6detail17trampoline_kernelINS0_14default_configENS1_35radix_sort_onesweep_config_selectorIlNS0_10empty_typeEEEZNS1_34radix_sort_onesweep_global_offsetsIS3_Lb1EPKlPS5_mNS0_19identity_decomposerEEE10hipError_tT1_T2_PT3_SF_jT4_jjP12ihipStream_tbEUlT_E0_NS1_11comp_targetILNS1_3genE3ELNS1_11target_archE908ELNS1_3gpuE7ELNS1_3repE0EEENS1_52radix_sort_onesweep_histogram_config_static_selectorELNS0_4arch9wavefront6targetE0EEEvSD_,"axG",@progbits,_ZN7rocprim17ROCPRIM_400000_NS6detail17trampoline_kernelINS0_14default_configENS1_35radix_sort_onesweep_config_selectorIlNS0_10empty_typeEEEZNS1_34radix_sort_onesweep_global_offsetsIS3_Lb1EPKlPS5_mNS0_19identity_decomposerEEE10hipError_tT1_T2_PT3_SF_jT4_jjP12ihipStream_tbEUlT_E0_NS1_11comp_targetILNS1_3genE3ELNS1_11target_archE908ELNS1_3gpuE7ELNS1_3repE0EEENS1_52radix_sort_onesweep_histogram_config_static_selectorELNS0_4arch9wavefront6targetE0EEEvSD_,comdat
.Lfunc_end1084:
	.size	_ZN7rocprim17ROCPRIM_400000_NS6detail17trampoline_kernelINS0_14default_configENS1_35radix_sort_onesweep_config_selectorIlNS0_10empty_typeEEEZNS1_34radix_sort_onesweep_global_offsetsIS3_Lb1EPKlPS5_mNS0_19identity_decomposerEEE10hipError_tT1_T2_PT3_SF_jT4_jjP12ihipStream_tbEUlT_E0_NS1_11comp_targetILNS1_3genE3ELNS1_11target_archE908ELNS1_3gpuE7ELNS1_3repE0EEENS1_52radix_sort_onesweep_histogram_config_static_selectorELNS0_4arch9wavefront6targetE0EEEvSD_, .Lfunc_end1084-_ZN7rocprim17ROCPRIM_400000_NS6detail17trampoline_kernelINS0_14default_configENS1_35radix_sort_onesweep_config_selectorIlNS0_10empty_typeEEEZNS1_34radix_sort_onesweep_global_offsetsIS3_Lb1EPKlPS5_mNS0_19identity_decomposerEEE10hipError_tT1_T2_PT3_SF_jT4_jjP12ihipStream_tbEUlT_E0_NS1_11comp_targetILNS1_3genE3ELNS1_11target_archE908ELNS1_3gpuE7ELNS1_3repE0EEENS1_52radix_sort_onesweep_histogram_config_static_selectorELNS0_4arch9wavefront6targetE0EEEvSD_
                                        ; -- End function
	.set _ZN7rocprim17ROCPRIM_400000_NS6detail17trampoline_kernelINS0_14default_configENS1_35radix_sort_onesweep_config_selectorIlNS0_10empty_typeEEEZNS1_34radix_sort_onesweep_global_offsetsIS3_Lb1EPKlPS5_mNS0_19identity_decomposerEEE10hipError_tT1_T2_PT3_SF_jT4_jjP12ihipStream_tbEUlT_E0_NS1_11comp_targetILNS1_3genE3ELNS1_11target_archE908ELNS1_3gpuE7ELNS1_3repE0EEENS1_52radix_sort_onesweep_histogram_config_static_selectorELNS0_4arch9wavefront6targetE0EEEvSD_.num_vgpr, 0
	.set _ZN7rocprim17ROCPRIM_400000_NS6detail17trampoline_kernelINS0_14default_configENS1_35radix_sort_onesweep_config_selectorIlNS0_10empty_typeEEEZNS1_34radix_sort_onesweep_global_offsetsIS3_Lb1EPKlPS5_mNS0_19identity_decomposerEEE10hipError_tT1_T2_PT3_SF_jT4_jjP12ihipStream_tbEUlT_E0_NS1_11comp_targetILNS1_3genE3ELNS1_11target_archE908ELNS1_3gpuE7ELNS1_3repE0EEENS1_52radix_sort_onesweep_histogram_config_static_selectorELNS0_4arch9wavefront6targetE0EEEvSD_.num_agpr, 0
	.set _ZN7rocprim17ROCPRIM_400000_NS6detail17trampoline_kernelINS0_14default_configENS1_35radix_sort_onesweep_config_selectorIlNS0_10empty_typeEEEZNS1_34radix_sort_onesweep_global_offsetsIS3_Lb1EPKlPS5_mNS0_19identity_decomposerEEE10hipError_tT1_T2_PT3_SF_jT4_jjP12ihipStream_tbEUlT_E0_NS1_11comp_targetILNS1_3genE3ELNS1_11target_archE908ELNS1_3gpuE7ELNS1_3repE0EEENS1_52radix_sort_onesweep_histogram_config_static_selectorELNS0_4arch9wavefront6targetE0EEEvSD_.numbered_sgpr, 0
	.set _ZN7rocprim17ROCPRIM_400000_NS6detail17trampoline_kernelINS0_14default_configENS1_35radix_sort_onesweep_config_selectorIlNS0_10empty_typeEEEZNS1_34radix_sort_onesweep_global_offsetsIS3_Lb1EPKlPS5_mNS0_19identity_decomposerEEE10hipError_tT1_T2_PT3_SF_jT4_jjP12ihipStream_tbEUlT_E0_NS1_11comp_targetILNS1_3genE3ELNS1_11target_archE908ELNS1_3gpuE7ELNS1_3repE0EEENS1_52radix_sort_onesweep_histogram_config_static_selectorELNS0_4arch9wavefront6targetE0EEEvSD_.num_named_barrier, 0
	.set _ZN7rocprim17ROCPRIM_400000_NS6detail17trampoline_kernelINS0_14default_configENS1_35radix_sort_onesweep_config_selectorIlNS0_10empty_typeEEEZNS1_34radix_sort_onesweep_global_offsetsIS3_Lb1EPKlPS5_mNS0_19identity_decomposerEEE10hipError_tT1_T2_PT3_SF_jT4_jjP12ihipStream_tbEUlT_E0_NS1_11comp_targetILNS1_3genE3ELNS1_11target_archE908ELNS1_3gpuE7ELNS1_3repE0EEENS1_52radix_sort_onesweep_histogram_config_static_selectorELNS0_4arch9wavefront6targetE0EEEvSD_.private_seg_size, 0
	.set _ZN7rocprim17ROCPRIM_400000_NS6detail17trampoline_kernelINS0_14default_configENS1_35radix_sort_onesweep_config_selectorIlNS0_10empty_typeEEEZNS1_34radix_sort_onesweep_global_offsetsIS3_Lb1EPKlPS5_mNS0_19identity_decomposerEEE10hipError_tT1_T2_PT3_SF_jT4_jjP12ihipStream_tbEUlT_E0_NS1_11comp_targetILNS1_3genE3ELNS1_11target_archE908ELNS1_3gpuE7ELNS1_3repE0EEENS1_52radix_sort_onesweep_histogram_config_static_selectorELNS0_4arch9wavefront6targetE0EEEvSD_.uses_vcc, 0
	.set _ZN7rocprim17ROCPRIM_400000_NS6detail17trampoline_kernelINS0_14default_configENS1_35radix_sort_onesweep_config_selectorIlNS0_10empty_typeEEEZNS1_34radix_sort_onesweep_global_offsetsIS3_Lb1EPKlPS5_mNS0_19identity_decomposerEEE10hipError_tT1_T2_PT3_SF_jT4_jjP12ihipStream_tbEUlT_E0_NS1_11comp_targetILNS1_3genE3ELNS1_11target_archE908ELNS1_3gpuE7ELNS1_3repE0EEENS1_52radix_sort_onesweep_histogram_config_static_selectorELNS0_4arch9wavefront6targetE0EEEvSD_.uses_flat_scratch, 0
	.set _ZN7rocprim17ROCPRIM_400000_NS6detail17trampoline_kernelINS0_14default_configENS1_35radix_sort_onesweep_config_selectorIlNS0_10empty_typeEEEZNS1_34radix_sort_onesweep_global_offsetsIS3_Lb1EPKlPS5_mNS0_19identity_decomposerEEE10hipError_tT1_T2_PT3_SF_jT4_jjP12ihipStream_tbEUlT_E0_NS1_11comp_targetILNS1_3genE3ELNS1_11target_archE908ELNS1_3gpuE7ELNS1_3repE0EEENS1_52radix_sort_onesweep_histogram_config_static_selectorELNS0_4arch9wavefront6targetE0EEEvSD_.has_dyn_sized_stack, 0
	.set _ZN7rocprim17ROCPRIM_400000_NS6detail17trampoline_kernelINS0_14default_configENS1_35radix_sort_onesweep_config_selectorIlNS0_10empty_typeEEEZNS1_34radix_sort_onesweep_global_offsetsIS3_Lb1EPKlPS5_mNS0_19identity_decomposerEEE10hipError_tT1_T2_PT3_SF_jT4_jjP12ihipStream_tbEUlT_E0_NS1_11comp_targetILNS1_3genE3ELNS1_11target_archE908ELNS1_3gpuE7ELNS1_3repE0EEENS1_52radix_sort_onesweep_histogram_config_static_selectorELNS0_4arch9wavefront6targetE0EEEvSD_.has_recursion, 0
	.set _ZN7rocprim17ROCPRIM_400000_NS6detail17trampoline_kernelINS0_14default_configENS1_35radix_sort_onesweep_config_selectorIlNS0_10empty_typeEEEZNS1_34radix_sort_onesweep_global_offsetsIS3_Lb1EPKlPS5_mNS0_19identity_decomposerEEE10hipError_tT1_T2_PT3_SF_jT4_jjP12ihipStream_tbEUlT_E0_NS1_11comp_targetILNS1_3genE3ELNS1_11target_archE908ELNS1_3gpuE7ELNS1_3repE0EEENS1_52radix_sort_onesweep_histogram_config_static_selectorELNS0_4arch9wavefront6targetE0EEEvSD_.has_indirect_call, 0
	.section	.AMDGPU.csdata,"",@progbits
; Kernel info:
; codeLenInByte = 0
; TotalNumSgprs: 0
; NumVgprs: 0
; ScratchSize: 0
; MemoryBound: 0
; FloatMode: 240
; IeeeMode: 1
; LDSByteSize: 0 bytes/workgroup (compile time only)
; SGPRBlocks: 0
; VGPRBlocks: 0
; NumSGPRsForWavesPerEU: 1
; NumVGPRsForWavesPerEU: 1
; NamedBarCnt: 0
; Occupancy: 16
; WaveLimiterHint : 0
; COMPUTE_PGM_RSRC2:SCRATCH_EN: 0
; COMPUTE_PGM_RSRC2:USER_SGPR: 2
; COMPUTE_PGM_RSRC2:TRAP_HANDLER: 0
; COMPUTE_PGM_RSRC2:TGID_X_EN: 1
; COMPUTE_PGM_RSRC2:TGID_Y_EN: 0
; COMPUTE_PGM_RSRC2:TGID_Z_EN: 0
; COMPUTE_PGM_RSRC2:TIDIG_COMP_CNT: 0
	.section	.text._ZN7rocprim17ROCPRIM_400000_NS6detail17trampoline_kernelINS0_14default_configENS1_35radix_sort_onesweep_config_selectorIlNS0_10empty_typeEEEZNS1_34radix_sort_onesweep_global_offsetsIS3_Lb1EPKlPS5_mNS0_19identity_decomposerEEE10hipError_tT1_T2_PT3_SF_jT4_jjP12ihipStream_tbEUlT_E0_NS1_11comp_targetILNS1_3genE10ELNS1_11target_archE1201ELNS1_3gpuE5ELNS1_3repE0EEENS1_52radix_sort_onesweep_histogram_config_static_selectorELNS0_4arch9wavefront6targetE0EEEvSD_,"axG",@progbits,_ZN7rocprim17ROCPRIM_400000_NS6detail17trampoline_kernelINS0_14default_configENS1_35radix_sort_onesweep_config_selectorIlNS0_10empty_typeEEEZNS1_34radix_sort_onesweep_global_offsetsIS3_Lb1EPKlPS5_mNS0_19identity_decomposerEEE10hipError_tT1_T2_PT3_SF_jT4_jjP12ihipStream_tbEUlT_E0_NS1_11comp_targetILNS1_3genE10ELNS1_11target_archE1201ELNS1_3gpuE5ELNS1_3repE0EEENS1_52radix_sort_onesweep_histogram_config_static_selectorELNS0_4arch9wavefront6targetE0EEEvSD_,comdat
	.protected	_ZN7rocprim17ROCPRIM_400000_NS6detail17trampoline_kernelINS0_14default_configENS1_35radix_sort_onesweep_config_selectorIlNS0_10empty_typeEEEZNS1_34radix_sort_onesweep_global_offsetsIS3_Lb1EPKlPS5_mNS0_19identity_decomposerEEE10hipError_tT1_T2_PT3_SF_jT4_jjP12ihipStream_tbEUlT_E0_NS1_11comp_targetILNS1_3genE10ELNS1_11target_archE1201ELNS1_3gpuE5ELNS1_3repE0EEENS1_52radix_sort_onesweep_histogram_config_static_selectorELNS0_4arch9wavefront6targetE0EEEvSD_ ; -- Begin function _ZN7rocprim17ROCPRIM_400000_NS6detail17trampoline_kernelINS0_14default_configENS1_35radix_sort_onesweep_config_selectorIlNS0_10empty_typeEEEZNS1_34radix_sort_onesweep_global_offsetsIS3_Lb1EPKlPS5_mNS0_19identity_decomposerEEE10hipError_tT1_T2_PT3_SF_jT4_jjP12ihipStream_tbEUlT_E0_NS1_11comp_targetILNS1_3genE10ELNS1_11target_archE1201ELNS1_3gpuE5ELNS1_3repE0EEENS1_52radix_sort_onesweep_histogram_config_static_selectorELNS0_4arch9wavefront6targetE0EEEvSD_
	.globl	_ZN7rocprim17ROCPRIM_400000_NS6detail17trampoline_kernelINS0_14default_configENS1_35radix_sort_onesweep_config_selectorIlNS0_10empty_typeEEEZNS1_34radix_sort_onesweep_global_offsetsIS3_Lb1EPKlPS5_mNS0_19identity_decomposerEEE10hipError_tT1_T2_PT3_SF_jT4_jjP12ihipStream_tbEUlT_E0_NS1_11comp_targetILNS1_3genE10ELNS1_11target_archE1201ELNS1_3gpuE5ELNS1_3repE0EEENS1_52radix_sort_onesweep_histogram_config_static_selectorELNS0_4arch9wavefront6targetE0EEEvSD_
	.p2align	8
	.type	_ZN7rocprim17ROCPRIM_400000_NS6detail17trampoline_kernelINS0_14default_configENS1_35radix_sort_onesweep_config_selectorIlNS0_10empty_typeEEEZNS1_34radix_sort_onesweep_global_offsetsIS3_Lb1EPKlPS5_mNS0_19identity_decomposerEEE10hipError_tT1_T2_PT3_SF_jT4_jjP12ihipStream_tbEUlT_E0_NS1_11comp_targetILNS1_3genE10ELNS1_11target_archE1201ELNS1_3gpuE5ELNS1_3repE0EEENS1_52radix_sort_onesweep_histogram_config_static_selectorELNS0_4arch9wavefront6targetE0EEEvSD_,@function
_ZN7rocprim17ROCPRIM_400000_NS6detail17trampoline_kernelINS0_14default_configENS1_35radix_sort_onesweep_config_selectorIlNS0_10empty_typeEEEZNS1_34radix_sort_onesweep_global_offsetsIS3_Lb1EPKlPS5_mNS0_19identity_decomposerEEE10hipError_tT1_T2_PT3_SF_jT4_jjP12ihipStream_tbEUlT_E0_NS1_11comp_targetILNS1_3genE10ELNS1_11target_archE1201ELNS1_3gpuE5ELNS1_3repE0EEENS1_52radix_sort_onesweep_histogram_config_static_selectorELNS0_4arch9wavefront6targetE0EEEvSD_: ; @_ZN7rocprim17ROCPRIM_400000_NS6detail17trampoline_kernelINS0_14default_configENS1_35radix_sort_onesweep_config_selectorIlNS0_10empty_typeEEEZNS1_34radix_sort_onesweep_global_offsetsIS3_Lb1EPKlPS5_mNS0_19identity_decomposerEEE10hipError_tT1_T2_PT3_SF_jT4_jjP12ihipStream_tbEUlT_E0_NS1_11comp_targetILNS1_3genE10ELNS1_11target_archE1201ELNS1_3gpuE5ELNS1_3repE0EEENS1_52radix_sort_onesweep_histogram_config_static_selectorELNS0_4arch9wavefront6targetE0EEEvSD_
; %bb.0:
	.section	.rodata,"a",@progbits
	.p2align	6, 0x0
	.amdhsa_kernel _ZN7rocprim17ROCPRIM_400000_NS6detail17trampoline_kernelINS0_14default_configENS1_35radix_sort_onesweep_config_selectorIlNS0_10empty_typeEEEZNS1_34radix_sort_onesweep_global_offsetsIS3_Lb1EPKlPS5_mNS0_19identity_decomposerEEE10hipError_tT1_T2_PT3_SF_jT4_jjP12ihipStream_tbEUlT_E0_NS1_11comp_targetILNS1_3genE10ELNS1_11target_archE1201ELNS1_3gpuE5ELNS1_3repE0EEENS1_52radix_sort_onesweep_histogram_config_static_selectorELNS0_4arch9wavefront6targetE0EEEvSD_
		.amdhsa_group_segment_fixed_size 0
		.amdhsa_private_segment_fixed_size 0
		.amdhsa_kernarg_size 8
		.amdhsa_user_sgpr_count 2
		.amdhsa_user_sgpr_dispatch_ptr 0
		.amdhsa_user_sgpr_queue_ptr 0
		.amdhsa_user_sgpr_kernarg_segment_ptr 1
		.amdhsa_user_sgpr_dispatch_id 0
		.amdhsa_user_sgpr_kernarg_preload_length 0
		.amdhsa_user_sgpr_kernarg_preload_offset 0
		.amdhsa_user_sgpr_private_segment_size 0
		.amdhsa_wavefront_size32 1
		.amdhsa_uses_dynamic_stack 0
		.amdhsa_enable_private_segment 0
		.amdhsa_system_sgpr_workgroup_id_x 1
		.amdhsa_system_sgpr_workgroup_id_y 0
		.amdhsa_system_sgpr_workgroup_id_z 0
		.amdhsa_system_sgpr_workgroup_info 0
		.amdhsa_system_vgpr_workitem_id 0
		.amdhsa_next_free_vgpr 1
		.amdhsa_next_free_sgpr 1
		.amdhsa_named_barrier_count 0
		.amdhsa_reserve_vcc 0
		.amdhsa_float_round_mode_32 0
		.amdhsa_float_round_mode_16_64 0
		.amdhsa_float_denorm_mode_32 3
		.amdhsa_float_denorm_mode_16_64 3
		.amdhsa_fp16_overflow 0
		.amdhsa_memory_ordered 1
		.amdhsa_forward_progress 1
		.amdhsa_inst_pref_size 0
		.amdhsa_round_robin_scheduling 0
		.amdhsa_exception_fp_ieee_invalid_op 0
		.amdhsa_exception_fp_denorm_src 0
		.amdhsa_exception_fp_ieee_div_zero 0
		.amdhsa_exception_fp_ieee_overflow 0
		.amdhsa_exception_fp_ieee_underflow 0
		.amdhsa_exception_fp_ieee_inexact 0
		.amdhsa_exception_int_div_zero 0
	.end_amdhsa_kernel
	.section	.text._ZN7rocprim17ROCPRIM_400000_NS6detail17trampoline_kernelINS0_14default_configENS1_35radix_sort_onesweep_config_selectorIlNS0_10empty_typeEEEZNS1_34radix_sort_onesweep_global_offsetsIS3_Lb1EPKlPS5_mNS0_19identity_decomposerEEE10hipError_tT1_T2_PT3_SF_jT4_jjP12ihipStream_tbEUlT_E0_NS1_11comp_targetILNS1_3genE10ELNS1_11target_archE1201ELNS1_3gpuE5ELNS1_3repE0EEENS1_52radix_sort_onesweep_histogram_config_static_selectorELNS0_4arch9wavefront6targetE0EEEvSD_,"axG",@progbits,_ZN7rocprim17ROCPRIM_400000_NS6detail17trampoline_kernelINS0_14default_configENS1_35radix_sort_onesweep_config_selectorIlNS0_10empty_typeEEEZNS1_34radix_sort_onesweep_global_offsetsIS3_Lb1EPKlPS5_mNS0_19identity_decomposerEEE10hipError_tT1_T2_PT3_SF_jT4_jjP12ihipStream_tbEUlT_E0_NS1_11comp_targetILNS1_3genE10ELNS1_11target_archE1201ELNS1_3gpuE5ELNS1_3repE0EEENS1_52radix_sort_onesweep_histogram_config_static_selectorELNS0_4arch9wavefront6targetE0EEEvSD_,comdat
.Lfunc_end1085:
	.size	_ZN7rocprim17ROCPRIM_400000_NS6detail17trampoline_kernelINS0_14default_configENS1_35radix_sort_onesweep_config_selectorIlNS0_10empty_typeEEEZNS1_34radix_sort_onesweep_global_offsetsIS3_Lb1EPKlPS5_mNS0_19identity_decomposerEEE10hipError_tT1_T2_PT3_SF_jT4_jjP12ihipStream_tbEUlT_E0_NS1_11comp_targetILNS1_3genE10ELNS1_11target_archE1201ELNS1_3gpuE5ELNS1_3repE0EEENS1_52radix_sort_onesweep_histogram_config_static_selectorELNS0_4arch9wavefront6targetE0EEEvSD_, .Lfunc_end1085-_ZN7rocprim17ROCPRIM_400000_NS6detail17trampoline_kernelINS0_14default_configENS1_35radix_sort_onesweep_config_selectorIlNS0_10empty_typeEEEZNS1_34radix_sort_onesweep_global_offsetsIS3_Lb1EPKlPS5_mNS0_19identity_decomposerEEE10hipError_tT1_T2_PT3_SF_jT4_jjP12ihipStream_tbEUlT_E0_NS1_11comp_targetILNS1_3genE10ELNS1_11target_archE1201ELNS1_3gpuE5ELNS1_3repE0EEENS1_52radix_sort_onesweep_histogram_config_static_selectorELNS0_4arch9wavefront6targetE0EEEvSD_
                                        ; -- End function
	.set _ZN7rocprim17ROCPRIM_400000_NS6detail17trampoline_kernelINS0_14default_configENS1_35radix_sort_onesweep_config_selectorIlNS0_10empty_typeEEEZNS1_34radix_sort_onesweep_global_offsetsIS3_Lb1EPKlPS5_mNS0_19identity_decomposerEEE10hipError_tT1_T2_PT3_SF_jT4_jjP12ihipStream_tbEUlT_E0_NS1_11comp_targetILNS1_3genE10ELNS1_11target_archE1201ELNS1_3gpuE5ELNS1_3repE0EEENS1_52radix_sort_onesweep_histogram_config_static_selectorELNS0_4arch9wavefront6targetE0EEEvSD_.num_vgpr, 0
	.set _ZN7rocprim17ROCPRIM_400000_NS6detail17trampoline_kernelINS0_14default_configENS1_35radix_sort_onesweep_config_selectorIlNS0_10empty_typeEEEZNS1_34radix_sort_onesweep_global_offsetsIS3_Lb1EPKlPS5_mNS0_19identity_decomposerEEE10hipError_tT1_T2_PT3_SF_jT4_jjP12ihipStream_tbEUlT_E0_NS1_11comp_targetILNS1_3genE10ELNS1_11target_archE1201ELNS1_3gpuE5ELNS1_3repE0EEENS1_52radix_sort_onesweep_histogram_config_static_selectorELNS0_4arch9wavefront6targetE0EEEvSD_.num_agpr, 0
	.set _ZN7rocprim17ROCPRIM_400000_NS6detail17trampoline_kernelINS0_14default_configENS1_35radix_sort_onesweep_config_selectorIlNS0_10empty_typeEEEZNS1_34radix_sort_onesweep_global_offsetsIS3_Lb1EPKlPS5_mNS0_19identity_decomposerEEE10hipError_tT1_T2_PT3_SF_jT4_jjP12ihipStream_tbEUlT_E0_NS1_11comp_targetILNS1_3genE10ELNS1_11target_archE1201ELNS1_3gpuE5ELNS1_3repE0EEENS1_52radix_sort_onesweep_histogram_config_static_selectorELNS0_4arch9wavefront6targetE0EEEvSD_.numbered_sgpr, 0
	.set _ZN7rocprim17ROCPRIM_400000_NS6detail17trampoline_kernelINS0_14default_configENS1_35radix_sort_onesweep_config_selectorIlNS0_10empty_typeEEEZNS1_34radix_sort_onesweep_global_offsetsIS3_Lb1EPKlPS5_mNS0_19identity_decomposerEEE10hipError_tT1_T2_PT3_SF_jT4_jjP12ihipStream_tbEUlT_E0_NS1_11comp_targetILNS1_3genE10ELNS1_11target_archE1201ELNS1_3gpuE5ELNS1_3repE0EEENS1_52radix_sort_onesweep_histogram_config_static_selectorELNS0_4arch9wavefront6targetE0EEEvSD_.num_named_barrier, 0
	.set _ZN7rocprim17ROCPRIM_400000_NS6detail17trampoline_kernelINS0_14default_configENS1_35radix_sort_onesweep_config_selectorIlNS0_10empty_typeEEEZNS1_34radix_sort_onesweep_global_offsetsIS3_Lb1EPKlPS5_mNS0_19identity_decomposerEEE10hipError_tT1_T2_PT3_SF_jT4_jjP12ihipStream_tbEUlT_E0_NS1_11comp_targetILNS1_3genE10ELNS1_11target_archE1201ELNS1_3gpuE5ELNS1_3repE0EEENS1_52radix_sort_onesweep_histogram_config_static_selectorELNS0_4arch9wavefront6targetE0EEEvSD_.private_seg_size, 0
	.set _ZN7rocprim17ROCPRIM_400000_NS6detail17trampoline_kernelINS0_14default_configENS1_35radix_sort_onesweep_config_selectorIlNS0_10empty_typeEEEZNS1_34radix_sort_onesweep_global_offsetsIS3_Lb1EPKlPS5_mNS0_19identity_decomposerEEE10hipError_tT1_T2_PT3_SF_jT4_jjP12ihipStream_tbEUlT_E0_NS1_11comp_targetILNS1_3genE10ELNS1_11target_archE1201ELNS1_3gpuE5ELNS1_3repE0EEENS1_52radix_sort_onesweep_histogram_config_static_selectorELNS0_4arch9wavefront6targetE0EEEvSD_.uses_vcc, 0
	.set _ZN7rocprim17ROCPRIM_400000_NS6detail17trampoline_kernelINS0_14default_configENS1_35radix_sort_onesweep_config_selectorIlNS0_10empty_typeEEEZNS1_34radix_sort_onesweep_global_offsetsIS3_Lb1EPKlPS5_mNS0_19identity_decomposerEEE10hipError_tT1_T2_PT3_SF_jT4_jjP12ihipStream_tbEUlT_E0_NS1_11comp_targetILNS1_3genE10ELNS1_11target_archE1201ELNS1_3gpuE5ELNS1_3repE0EEENS1_52radix_sort_onesweep_histogram_config_static_selectorELNS0_4arch9wavefront6targetE0EEEvSD_.uses_flat_scratch, 0
	.set _ZN7rocprim17ROCPRIM_400000_NS6detail17trampoline_kernelINS0_14default_configENS1_35radix_sort_onesweep_config_selectorIlNS0_10empty_typeEEEZNS1_34radix_sort_onesweep_global_offsetsIS3_Lb1EPKlPS5_mNS0_19identity_decomposerEEE10hipError_tT1_T2_PT3_SF_jT4_jjP12ihipStream_tbEUlT_E0_NS1_11comp_targetILNS1_3genE10ELNS1_11target_archE1201ELNS1_3gpuE5ELNS1_3repE0EEENS1_52radix_sort_onesweep_histogram_config_static_selectorELNS0_4arch9wavefront6targetE0EEEvSD_.has_dyn_sized_stack, 0
	.set _ZN7rocprim17ROCPRIM_400000_NS6detail17trampoline_kernelINS0_14default_configENS1_35radix_sort_onesweep_config_selectorIlNS0_10empty_typeEEEZNS1_34radix_sort_onesweep_global_offsetsIS3_Lb1EPKlPS5_mNS0_19identity_decomposerEEE10hipError_tT1_T2_PT3_SF_jT4_jjP12ihipStream_tbEUlT_E0_NS1_11comp_targetILNS1_3genE10ELNS1_11target_archE1201ELNS1_3gpuE5ELNS1_3repE0EEENS1_52radix_sort_onesweep_histogram_config_static_selectorELNS0_4arch9wavefront6targetE0EEEvSD_.has_recursion, 0
	.set _ZN7rocprim17ROCPRIM_400000_NS6detail17trampoline_kernelINS0_14default_configENS1_35radix_sort_onesweep_config_selectorIlNS0_10empty_typeEEEZNS1_34radix_sort_onesweep_global_offsetsIS3_Lb1EPKlPS5_mNS0_19identity_decomposerEEE10hipError_tT1_T2_PT3_SF_jT4_jjP12ihipStream_tbEUlT_E0_NS1_11comp_targetILNS1_3genE10ELNS1_11target_archE1201ELNS1_3gpuE5ELNS1_3repE0EEENS1_52radix_sort_onesweep_histogram_config_static_selectorELNS0_4arch9wavefront6targetE0EEEvSD_.has_indirect_call, 0
	.section	.AMDGPU.csdata,"",@progbits
; Kernel info:
; codeLenInByte = 0
; TotalNumSgprs: 0
; NumVgprs: 0
; ScratchSize: 0
; MemoryBound: 0
; FloatMode: 240
; IeeeMode: 1
; LDSByteSize: 0 bytes/workgroup (compile time only)
; SGPRBlocks: 0
; VGPRBlocks: 0
; NumSGPRsForWavesPerEU: 1
; NumVGPRsForWavesPerEU: 1
; NamedBarCnt: 0
; Occupancy: 16
; WaveLimiterHint : 0
; COMPUTE_PGM_RSRC2:SCRATCH_EN: 0
; COMPUTE_PGM_RSRC2:USER_SGPR: 2
; COMPUTE_PGM_RSRC2:TRAP_HANDLER: 0
; COMPUTE_PGM_RSRC2:TGID_X_EN: 1
; COMPUTE_PGM_RSRC2:TGID_Y_EN: 0
; COMPUTE_PGM_RSRC2:TGID_Z_EN: 0
; COMPUTE_PGM_RSRC2:TIDIG_COMP_CNT: 0
	.section	.text._ZN7rocprim17ROCPRIM_400000_NS6detail17trampoline_kernelINS0_14default_configENS1_35radix_sort_onesweep_config_selectorIlNS0_10empty_typeEEEZNS1_34radix_sort_onesweep_global_offsetsIS3_Lb1EPKlPS5_mNS0_19identity_decomposerEEE10hipError_tT1_T2_PT3_SF_jT4_jjP12ihipStream_tbEUlT_E0_NS1_11comp_targetILNS1_3genE9ELNS1_11target_archE1100ELNS1_3gpuE3ELNS1_3repE0EEENS1_52radix_sort_onesweep_histogram_config_static_selectorELNS0_4arch9wavefront6targetE0EEEvSD_,"axG",@progbits,_ZN7rocprim17ROCPRIM_400000_NS6detail17trampoline_kernelINS0_14default_configENS1_35radix_sort_onesweep_config_selectorIlNS0_10empty_typeEEEZNS1_34radix_sort_onesweep_global_offsetsIS3_Lb1EPKlPS5_mNS0_19identity_decomposerEEE10hipError_tT1_T2_PT3_SF_jT4_jjP12ihipStream_tbEUlT_E0_NS1_11comp_targetILNS1_3genE9ELNS1_11target_archE1100ELNS1_3gpuE3ELNS1_3repE0EEENS1_52radix_sort_onesweep_histogram_config_static_selectorELNS0_4arch9wavefront6targetE0EEEvSD_,comdat
	.protected	_ZN7rocprim17ROCPRIM_400000_NS6detail17trampoline_kernelINS0_14default_configENS1_35radix_sort_onesweep_config_selectorIlNS0_10empty_typeEEEZNS1_34radix_sort_onesweep_global_offsetsIS3_Lb1EPKlPS5_mNS0_19identity_decomposerEEE10hipError_tT1_T2_PT3_SF_jT4_jjP12ihipStream_tbEUlT_E0_NS1_11comp_targetILNS1_3genE9ELNS1_11target_archE1100ELNS1_3gpuE3ELNS1_3repE0EEENS1_52radix_sort_onesweep_histogram_config_static_selectorELNS0_4arch9wavefront6targetE0EEEvSD_ ; -- Begin function _ZN7rocprim17ROCPRIM_400000_NS6detail17trampoline_kernelINS0_14default_configENS1_35radix_sort_onesweep_config_selectorIlNS0_10empty_typeEEEZNS1_34radix_sort_onesweep_global_offsetsIS3_Lb1EPKlPS5_mNS0_19identity_decomposerEEE10hipError_tT1_T2_PT3_SF_jT4_jjP12ihipStream_tbEUlT_E0_NS1_11comp_targetILNS1_3genE9ELNS1_11target_archE1100ELNS1_3gpuE3ELNS1_3repE0EEENS1_52radix_sort_onesweep_histogram_config_static_selectorELNS0_4arch9wavefront6targetE0EEEvSD_
	.globl	_ZN7rocprim17ROCPRIM_400000_NS6detail17trampoline_kernelINS0_14default_configENS1_35radix_sort_onesweep_config_selectorIlNS0_10empty_typeEEEZNS1_34radix_sort_onesweep_global_offsetsIS3_Lb1EPKlPS5_mNS0_19identity_decomposerEEE10hipError_tT1_T2_PT3_SF_jT4_jjP12ihipStream_tbEUlT_E0_NS1_11comp_targetILNS1_3genE9ELNS1_11target_archE1100ELNS1_3gpuE3ELNS1_3repE0EEENS1_52radix_sort_onesweep_histogram_config_static_selectorELNS0_4arch9wavefront6targetE0EEEvSD_
	.p2align	8
	.type	_ZN7rocprim17ROCPRIM_400000_NS6detail17trampoline_kernelINS0_14default_configENS1_35radix_sort_onesweep_config_selectorIlNS0_10empty_typeEEEZNS1_34radix_sort_onesweep_global_offsetsIS3_Lb1EPKlPS5_mNS0_19identity_decomposerEEE10hipError_tT1_T2_PT3_SF_jT4_jjP12ihipStream_tbEUlT_E0_NS1_11comp_targetILNS1_3genE9ELNS1_11target_archE1100ELNS1_3gpuE3ELNS1_3repE0EEENS1_52radix_sort_onesweep_histogram_config_static_selectorELNS0_4arch9wavefront6targetE0EEEvSD_,@function
_ZN7rocprim17ROCPRIM_400000_NS6detail17trampoline_kernelINS0_14default_configENS1_35radix_sort_onesweep_config_selectorIlNS0_10empty_typeEEEZNS1_34radix_sort_onesweep_global_offsetsIS3_Lb1EPKlPS5_mNS0_19identity_decomposerEEE10hipError_tT1_T2_PT3_SF_jT4_jjP12ihipStream_tbEUlT_E0_NS1_11comp_targetILNS1_3genE9ELNS1_11target_archE1100ELNS1_3gpuE3ELNS1_3repE0EEENS1_52radix_sort_onesweep_histogram_config_static_selectorELNS0_4arch9wavefront6targetE0EEEvSD_: ; @_ZN7rocprim17ROCPRIM_400000_NS6detail17trampoline_kernelINS0_14default_configENS1_35radix_sort_onesweep_config_selectorIlNS0_10empty_typeEEEZNS1_34radix_sort_onesweep_global_offsetsIS3_Lb1EPKlPS5_mNS0_19identity_decomposerEEE10hipError_tT1_T2_PT3_SF_jT4_jjP12ihipStream_tbEUlT_E0_NS1_11comp_targetILNS1_3genE9ELNS1_11target_archE1100ELNS1_3gpuE3ELNS1_3repE0EEENS1_52radix_sort_onesweep_histogram_config_static_selectorELNS0_4arch9wavefront6targetE0EEEvSD_
; %bb.0:
	.section	.rodata,"a",@progbits
	.p2align	6, 0x0
	.amdhsa_kernel _ZN7rocprim17ROCPRIM_400000_NS6detail17trampoline_kernelINS0_14default_configENS1_35radix_sort_onesweep_config_selectorIlNS0_10empty_typeEEEZNS1_34radix_sort_onesweep_global_offsetsIS3_Lb1EPKlPS5_mNS0_19identity_decomposerEEE10hipError_tT1_T2_PT3_SF_jT4_jjP12ihipStream_tbEUlT_E0_NS1_11comp_targetILNS1_3genE9ELNS1_11target_archE1100ELNS1_3gpuE3ELNS1_3repE0EEENS1_52radix_sort_onesweep_histogram_config_static_selectorELNS0_4arch9wavefront6targetE0EEEvSD_
		.amdhsa_group_segment_fixed_size 0
		.amdhsa_private_segment_fixed_size 0
		.amdhsa_kernarg_size 8
		.amdhsa_user_sgpr_count 2
		.amdhsa_user_sgpr_dispatch_ptr 0
		.amdhsa_user_sgpr_queue_ptr 0
		.amdhsa_user_sgpr_kernarg_segment_ptr 1
		.amdhsa_user_sgpr_dispatch_id 0
		.amdhsa_user_sgpr_kernarg_preload_length 0
		.amdhsa_user_sgpr_kernarg_preload_offset 0
		.amdhsa_user_sgpr_private_segment_size 0
		.amdhsa_wavefront_size32 1
		.amdhsa_uses_dynamic_stack 0
		.amdhsa_enable_private_segment 0
		.amdhsa_system_sgpr_workgroup_id_x 1
		.amdhsa_system_sgpr_workgroup_id_y 0
		.amdhsa_system_sgpr_workgroup_id_z 0
		.amdhsa_system_sgpr_workgroup_info 0
		.amdhsa_system_vgpr_workitem_id 0
		.amdhsa_next_free_vgpr 1
		.amdhsa_next_free_sgpr 1
		.amdhsa_named_barrier_count 0
		.amdhsa_reserve_vcc 0
		.amdhsa_float_round_mode_32 0
		.amdhsa_float_round_mode_16_64 0
		.amdhsa_float_denorm_mode_32 3
		.amdhsa_float_denorm_mode_16_64 3
		.amdhsa_fp16_overflow 0
		.amdhsa_memory_ordered 1
		.amdhsa_forward_progress 1
		.amdhsa_inst_pref_size 0
		.amdhsa_round_robin_scheduling 0
		.amdhsa_exception_fp_ieee_invalid_op 0
		.amdhsa_exception_fp_denorm_src 0
		.amdhsa_exception_fp_ieee_div_zero 0
		.amdhsa_exception_fp_ieee_overflow 0
		.amdhsa_exception_fp_ieee_underflow 0
		.amdhsa_exception_fp_ieee_inexact 0
		.amdhsa_exception_int_div_zero 0
	.end_amdhsa_kernel
	.section	.text._ZN7rocprim17ROCPRIM_400000_NS6detail17trampoline_kernelINS0_14default_configENS1_35radix_sort_onesweep_config_selectorIlNS0_10empty_typeEEEZNS1_34radix_sort_onesweep_global_offsetsIS3_Lb1EPKlPS5_mNS0_19identity_decomposerEEE10hipError_tT1_T2_PT3_SF_jT4_jjP12ihipStream_tbEUlT_E0_NS1_11comp_targetILNS1_3genE9ELNS1_11target_archE1100ELNS1_3gpuE3ELNS1_3repE0EEENS1_52radix_sort_onesweep_histogram_config_static_selectorELNS0_4arch9wavefront6targetE0EEEvSD_,"axG",@progbits,_ZN7rocprim17ROCPRIM_400000_NS6detail17trampoline_kernelINS0_14default_configENS1_35radix_sort_onesweep_config_selectorIlNS0_10empty_typeEEEZNS1_34radix_sort_onesweep_global_offsetsIS3_Lb1EPKlPS5_mNS0_19identity_decomposerEEE10hipError_tT1_T2_PT3_SF_jT4_jjP12ihipStream_tbEUlT_E0_NS1_11comp_targetILNS1_3genE9ELNS1_11target_archE1100ELNS1_3gpuE3ELNS1_3repE0EEENS1_52radix_sort_onesweep_histogram_config_static_selectorELNS0_4arch9wavefront6targetE0EEEvSD_,comdat
.Lfunc_end1086:
	.size	_ZN7rocprim17ROCPRIM_400000_NS6detail17trampoline_kernelINS0_14default_configENS1_35radix_sort_onesweep_config_selectorIlNS0_10empty_typeEEEZNS1_34radix_sort_onesweep_global_offsetsIS3_Lb1EPKlPS5_mNS0_19identity_decomposerEEE10hipError_tT1_T2_PT3_SF_jT4_jjP12ihipStream_tbEUlT_E0_NS1_11comp_targetILNS1_3genE9ELNS1_11target_archE1100ELNS1_3gpuE3ELNS1_3repE0EEENS1_52radix_sort_onesweep_histogram_config_static_selectorELNS0_4arch9wavefront6targetE0EEEvSD_, .Lfunc_end1086-_ZN7rocprim17ROCPRIM_400000_NS6detail17trampoline_kernelINS0_14default_configENS1_35radix_sort_onesweep_config_selectorIlNS0_10empty_typeEEEZNS1_34radix_sort_onesweep_global_offsetsIS3_Lb1EPKlPS5_mNS0_19identity_decomposerEEE10hipError_tT1_T2_PT3_SF_jT4_jjP12ihipStream_tbEUlT_E0_NS1_11comp_targetILNS1_3genE9ELNS1_11target_archE1100ELNS1_3gpuE3ELNS1_3repE0EEENS1_52radix_sort_onesweep_histogram_config_static_selectorELNS0_4arch9wavefront6targetE0EEEvSD_
                                        ; -- End function
	.set _ZN7rocprim17ROCPRIM_400000_NS6detail17trampoline_kernelINS0_14default_configENS1_35radix_sort_onesweep_config_selectorIlNS0_10empty_typeEEEZNS1_34radix_sort_onesweep_global_offsetsIS3_Lb1EPKlPS5_mNS0_19identity_decomposerEEE10hipError_tT1_T2_PT3_SF_jT4_jjP12ihipStream_tbEUlT_E0_NS1_11comp_targetILNS1_3genE9ELNS1_11target_archE1100ELNS1_3gpuE3ELNS1_3repE0EEENS1_52radix_sort_onesweep_histogram_config_static_selectorELNS0_4arch9wavefront6targetE0EEEvSD_.num_vgpr, 0
	.set _ZN7rocprim17ROCPRIM_400000_NS6detail17trampoline_kernelINS0_14default_configENS1_35radix_sort_onesweep_config_selectorIlNS0_10empty_typeEEEZNS1_34radix_sort_onesweep_global_offsetsIS3_Lb1EPKlPS5_mNS0_19identity_decomposerEEE10hipError_tT1_T2_PT3_SF_jT4_jjP12ihipStream_tbEUlT_E0_NS1_11comp_targetILNS1_3genE9ELNS1_11target_archE1100ELNS1_3gpuE3ELNS1_3repE0EEENS1_52radix_sort_onesweep_histogram_config_static_selectorELNS0_4arch9wavefront6targetE0EEEvSD_.num_agpr, 0
	.set _ZN7rocprim17ROCPRIM_400000_NS6detail17trampoline_kernelINS0_14default_configENS1_35radix_sort_onesweep_config_selectorIlNS0_10empty_typeEEEZNS1_34radix_sort_onesweep_global_offsetsIS3_Lb1EPKlPS5_mNS0_19identity_decomposerEEE10hipError_tT1_T2_PT3_SF_jT4_jjP12ihipStream_tbEUlT_E0_NS1_11comp_targetILNS1_3genE9ELNS1_11target_archE1100ELNS1_3gpuE3ELNS1_3repE0EEENS1_52radix_sort_onesweep_histogram_config_static_selectorELNS0_4arch9wavefront6targetE0EEEvSD_.numbered_sgpr, 0
	.set _ZN7rocprim17ROCPRIM_400000_NS6detail17trampoline_kernelINS0_14default_configENS1_35radix_sort_onesweep_config_selectorIlNS0_10empty_typeEEEZNS1_34radix_sort_onesweep_global_offsetsIS3_Lb1EPKlPS5_mNS0_19identity_decomposerEEE10hipError_tT1_T2_PT3_SF_jT4_jjP12ihipStream_tbEUlT_E0_NS1_11comp_targetILNS1_3genE9ELNS1_11target_archE1100ELNS1_3gpuE3ELNS1_3repE0EEENS1_52radix_sort_onesweep_histogram_config_static_selectorELNS0_4arch9wavefront6targetE0EEEvSD_.num_named_barrier, 0
	.set _ZN7rocprim17ROCPRIM_400000_NS6detail17trampoline_kernelINS0_14default_configENS1_35radix_sort_onesweep_config_selectorIlNS0_10empty_typeEEEZNS1_34radix_sort_onesweep_global_offsetsIS3_Lb1EPKlPS5_mNS0_19identity_decomposerEEE10hipError_tT1_T2_PT3_SF_jT4_jjP12ihipStream_tbEUlT_E0_NS1_11comp_targetILNS1_3genE9ELNS1_11target_archE1100ELNS1_3gpuE3ELNS1_3repE0EEENS1_52radix_sort_onesweep_histogram_config_static_selectorELNS0_4arch9wavefront6targetE0EEEvSD_.private_seg_size, 0
	.set _ZN7rocprim17ROCPRIM_400000_NS6detail17trampoline_kernelINS0_14default_configENS1_35radix_sort_onesweep_config_selectorIlNS0_10empty_typeEEEZNS1_34radix_sort_onesweep_global_offsetsIS3_Lb1EPKlPS5_mNS0_19identity_decomposerEEE10hipError_tT1_T2_PT3_SF_jT4_jjP12ihipStream_tbEUlT_E0_NS1_11comp_targetILNS1_3genE9ELNS1_11target_archE1100ELNS1_3gpuE3ELNS1_3repE0EEENS1_52radix_sort_onesweep_histogram_config_static_selectorELNS0_4arch9wavefront6targetE0EEEvSD_.uses_vcc, 0
	.set _ZN7rocprim17ROCPRIM_400000_NS6detail17trampoline_kernelINS0_14default_configENS1_35radix_sort_onesweep_config_selectorIlNS0_10empty_typeEEEZNS1_34radix_sort_onesweep_global_offsetsIS3_Lb1EPKlPS5_mNS0_19identity_decomposerEEE10hipError_tT1_T2_PT3_SF_jT4_jjP12ihipStream_tbEUlT_E0_NS1_11comp_targetILNS1_3genE9ELNS1_11target_archE1100ELNS1_3gpuE3ELNS1_3repE0EEENS1_52radix_sort_onesweep_histogram_config_static_selectorELNS0_4arch9wavefront6targetE0EEEvSD_.uses_flat_scratch, 0
	.set _ZN7rocprim17ROCPRIM_400000_NS6detail17trampoline_kernelINS0_14default_configENS1_35radix_sort_onesweep_config_selectorIlNS0_10empty_typeEEEZNS1_34radix_sort_onesweep_global_offsetsIS3_Lb1EPKlPS5_mNS0_19identity_decomposerEEE10hipError_tT1_T2_PT3_SF_jT4_jjP12ihipStream_tbEUlT_E0_NS1_11comp_targetILNS1_3genE9ELNS1_11target_archE1100ELNS1_3gpuE3ELNS1_3repE0EEENS1_52radix_sort_onesweep_histogram_config_static_selectorELNS0_4arch9wavefront6targetE0EEEvSD_.has_dyn_sized_stack, 0
	.set _ZN7rocprim17ROCPRIM_400000_NS6detail17trampoline_kernelINS0_14default_configENS1_35radix_sort_onesweep_config_selectorIlNS0_10empty_typeEEEZNS1_34radix_sort_onesweep_global_offsetsIS3_Lb1EPKlPS5_mNS0_19identity_decomposerEEE10hipError_tT1_T2_PT3_SF_jT4_jjP12ihipStream_tbEUlT_E0_NS1_11comp_targetILNS1_3genE9ELNS1_11target_archE1100ELNS1_3gpuE3ELNS1_3repE0EEENS1_52radix_sort_onesweep_histogram_config_static_selectorELNS0_4arch9wavefront6targetE0EEEvSD_.has_recursion, 0
	.set _ZN7rocprim17ROCPRIM_400000_NS6detail17trampoline_kernelINS0_14default_configENS1_35radix_sort_onesweep_config_selectorIlNS0_10empty_typeEEEZNS1_34radix_sort_onesweep_global_offsetsIS3_Lb1EPKlPS5_mNS0_19identity_decomposerEEE10hipError_tT1_T2_PT3_SF_jT4_jjP12ihipStream_tbEUlT_E0_NS1_11comp_targetILNS1_3genE9ELNS1_11target_archE1100ELNS1_3gpuE3ELNS1_3repE0EEENS1_52radix_sort_onesweep_histogram_config_static_selectorELNS0_4arch9wavefront6targetE0EEEvSD_.has_indirect_call, 0
	.section	.AMDGPU.csdata,"",@progbits
; Kernel info:
; codeLenInByte = 0
; TotalNumSgprs: 0
; NumVgprs: 0
; ScratchSize: 0
; MemoryBound: 0
; FloatMode: 240
; IeeeMode: 1
; LDSByteSize: 0 bytes/workgroup (compile time only)
; SGPRBlocks: 0
; VGPRBlocks: 0
; NumSGPRsForWavesPerEU: 1
; NumVGPRsForWavesPerEU: 1
; NamedBarCnt: 0
; Occupancy: 16
; WaveLimiterHint : 0
; COMPUTE_PGM_RSRC2:SCRATCH_EN: 0
; COMPUTE_PGM_RSRC2:USER_SGPR: 2
; COMPUTE_PGM_RSRC2:TRAP_HANDLER: 0
; COMPUTE_PGM_RSRC2:TGID_X_EN: 1
; COMPUTE_PGM_RSRC2:TGID_Y_EN: 0
; COMPUTE_PGM_RSRC2:TGID_Z_EN: 0
; COMPUTE_PGM_RSRC2:TIDIG_COMP_CNT: 0
	.section	.text._ZN7rocprim17ROCPRIM_400000_NS6detail17trampoline_kernelINS0_14default_configENS1_35radix_sort_onesweep_config_selectorIlNS0_10empty_typeEEEZNS1_34radix_sort_onesweep_global_offsetsIS3_Lb1EPKlPS5_mNS0_19identity_decomposerEEE10hipError_tT1_T2_PT3_SF_jT4_jjP12ihipStream_tbEUlT_E0_NS1_11comp_targetILNS1_3genE8ELNS1_11target_archE1030ELNS1_3gpuE2ELNS1_3repE0EEENS1_52radix_sort_onesweep_histogram_config_static_selectorELNS0_4arch9wavefront6targetE0EEEvSD_,"axG",@progbits,_ZN7rocprim17ROCPRIM_400000_NS6detail17trampoline_kernelINS0_14default_configENS1_35radix_sort_onesweep_config_selectorIlNS0_10empty_typeEEEZNS1_34radix_sort_onesweep_global_offsetsIS3_Lb1EPKlPS5_mNS0_19identity_decomposerEEE10hipError_tT1_T2_PT3_SF_jT4_jjP12ihipStream_tbEUlT_E0_NS1_11comp_targetILNS1_3genE8ELNS1_11target_archE1030ELNS1_3gpuE2ELNS1_3repE0EEENS1_52radix_sort_onesweep_histogram_config_static_selectorELNS0_4arch9wavefront6targetE0EEEvSD_,comdat
	.protected	_ZN7rocprim17ROCPRIM_400000_NS6detail17trampoline_kernelINS0_14default_configENS1_35radix_sort_onesweep_config_selectorIlNS0_10empty_typeEEEZNS1_34radix_sort_onesweep_global_offsetsIS3_Lb1EPKlPS5_mNS0_19identity_decomposerEEE10hipError_tT1_T2_PT3_SF_jT4_jjP12ihipStream_tbEUlT_E0_NS1_11comp_targetILNS1_3genE8ELNS1_11target_archE1030ELNS1_3gpuE2ELNS1_3repE0EEENS1_52radix_sort_onesweep_histogram_config_static_selectorELNS0_4arch9wavefront6targetE0EEEvSD_ ; -- Begin function _ZN7rocprim17ROCPRIM_400000_NS6detail17trampoline_kernelINS0_14default_configENS1_35radix_sort_onesweep_config_selectorIlNS0_10empty_typeEEEZNS1_34radix_sort_onesweep_global_offsetsIS3_Lb1EPKlPS5_mNS0_19identity_decomposerEEE10hipError_tT1_T2_PT3_SF_jT4_jjP12ihipStream_tbEUlT_E0_NS1_11comp_targetILNS1_3genE8ELNS1_11target_archE1030ELNS1_3gpuE2ELNS1_3repE0EEENS1_52radix_sort_onesweep_histogram_config_static_selectorELNS0_4arch9wavefront6targetE0EEEvSD_
	.globl	_ZN7rocprim17ROCPRIM_400000_NS6detail17trampoline_kernelINS0_14default_configENS1_35radix_sort_onesweep_config_selectorIlNS0_10empty_typeEEEZNS1_34radix_sort_onesweep_global_offsetsIS3_Lb1EPKlPS5_mNS0_19identity_decomposerEEE10hipError_tT1_T2_PT3_SF_jT4_jjP12ihipStream_tbEUlT_E0_NS1_11comp_targetILNS1_3genE8ELNS1_11target_archE1030ELNS1_3gpuE2ELNS1_3repE0EEENS1_52radix_sort_onesweep_histogram_config_static_selectorELNS0_4arch9wavefront6targetE0EEEvSD_
	.p2align	8
	.type	_ZN7rocprim17ROCPRIM_400000_NS6detail17trampoline_kernelINS0_14default_configENS1_35radix_sort_onesweep_config_selectorIlNS0_10empty_typeEEEZNS1_34radix_sort_onesweep_global_offsetsIS3_Lb1EPKlPS5_mNS0_19identity_decomposerEEE10hipError_tT1_T2_PT3_SF_jT4_jjP12ihipStream_tbEUlT_E0_NS1_11comp_targetILNS1_3genE8ELNS1_11target_archE1030ELNS1_3gpuE2ELNS1_3repE0EEENS1_52radix_sort_onesweep_histogram_config_static_selectorELNS0_4arch9wavefront6targetE0EEEvSD_,@function
_ZN7rocprim17ROCPRIM_400000_NS6detail17trampoline_kernelINS0_14default_configENS1_35radix_sort_onesweep_config_selectorIlNS0_10empty_typeEEEZNS1_34radix_sort_onesweep_global_offsetsIS3_Lb1EPKlPS5_mNS0_19identity_decomposerEEE10hipError_tT1_T2_PT3_SF_jT4_jjP12ihipStream_tbEUlT_E0_NS1_11comp_targetILNS1_3genE8ELNS1_11target_archE1030ELNS1_3gpuE2ELNS1_3repE0EEENS1_52radix_sort_onesweep_histogram_config_static_selectorELNS0_4arch9wavefront6targetE0EEEvSD_: ; @_ZN7rocprim17ROCPRIM_400000_NS6detail17trampoline_kernelINS0_14default_configENS1_35radix_sort_onesweep_config_selectorIlNS0_10empty_typeEEEZNS1_34radix_sort_onesweep_global_offsetsIS3_Lb1EPKlPS5_mNS0_19identity_decomposerEEE10hipError_tT1_T2_PT3_SF_jT4_jjP12ihipStream_tbEUlT_E0_NS1_11comp_targetILNS1_3genE8ELNS1_11target_archE1030ELNS1_3gpuE2ELNS1_3repE0EEENS1_52radix_sort_onesweep_histogram_config_static_selectorELNS0_4arch9wavefront6targetE0EEEvSD_
; %bb.0:
	.section	.rodata,"a",@progbits
	.p2align	6, 0x0
	.amdhsa_kernel _ZN7rocprim17ROCPRIM_400000_NS6detail17trampoline_kernelINS0_14default_configENS1_35radix_sort_onesweep_config_selectorIlNS0_10empty_typeEEEZNS1_34radix_sort_onesweep_global_offsetsIS3_Lb1EPKlPS5_mNS0_19identity_decomposerEEE10hipError_tT1_T2_PT3_SF_jT4_jjP12ihipStream_tbEUlT_E0_NS1_11comp_targetILNS1_3genE8ELNS1_11target_archE1030ELNS1_3gpuE2ELNS1_3repE0EEENS1_52radix_sort_onesweep_histogram_config_static_selectorELNS0_4arch9wavefront6targetE0EEEvSD_
		.amdhsa_group_segment_fixed_size 0
		.amdhsa_private_segment_fixed_size 0
		.amdhsa_kernarg_size 8
		.amdhsa_user_sgpr_count 2
		.amdhsa_user_sgpr_dispatch_ptr 0
		.amdhsa_user_sgpr_queue_ptr 0
		.amdhsa_user_sgpr_kernarg_segment_ptr 1
		.amdhsa_user_sgpr_dispatch_id 0
		.amdhsa_user_sgpr_kernarg_preload_length 0
		.amdhsa_user_sgpr_kernarg_preload_offset 0
		.amdhsa_user_sgpr_private_segment_size 0
		.amdhsa_wavefront_size32 1
		.amdhsa_uses_dynamic_stack 0
		.amdhsa_enable_private_segment 0
		.amdhsa_system_sgpr_workgroup_id_x 1
		.amdhsa_system_sgpr_workgroup_id_y 0
		.amdhsa_system_sgpr_workgroup_id_z 0
		.amdhsa_system_sgpr_workgroup_info 0
		.amdhsa_system_vgpr_workitem_id 0
		.amdhsa_next_free_vgpr 1
		.amdhsa_next_free_sgpr 1
		.amdhsa_named_barrier_count 0
		.amdhsa_reserve_vcc 0
		.amdhsa_float_round_mode_32 0
		.amdhsa_float_round_mode_16_64 0
		.amdhsa_float_denorm_mode_32 3
		.amdhsa_float_denorm_mode_16_64 3
		.amdhsa_fp16_overflow 0
		.amdhsa_memory_ordered 1
		.amdhsa_forward_progress 1
		.amdhsa_inst_pref_size 0
		.amdhsa_round_robin_scheduling 0
		.amdhsa_exception_fp_ieee_invalid_op 0
		.amdhsa_exception_fp_denorm_src 0
		.amdhsa_exception_fp_ieee_div_zero 0
		.amdhsa_exception_fp_ieee_overflow 0
		.amdhsa_exception_fp_ieee_underflow 0
		.amdhsa_exception_fp_ieee_inexact 0
		.amdhsa_exception_int_div_zero 0
	.end_amdhsa_kernel
	.section	.text._ZN7rocprim17ROCPRIM_400000_NS6detail17trampoline_kernelINS0_14default_configENS1_35radix_sort_onesweep_config_selectorIlNS0_10empty_typeEEEZNS1_34radix_sort_onesweep_global_offsetsIS3_Lb1EPKlPS5_mNS0_19identity_decomposerEEE10hipError_tT1_T2_PT3_SF_jT4_jjP12ihipStream_tbEUlT_E0_NS1_11comp_targetILNS1_3genE8ELNS1_11target_archE1030ELNS1_3gpuE2ELNS1_3repE0EEENS1_52radix_sort_onesweep_histogram_config_static_selectorELNS0_4arch9wavefront6targetE0EEEvSD_,"axG",@progbits,_ZN7rocprim17ROCPRIM_400000_NS6detail17trampoline_kernelINS0_14default_configENS1_35radix_sort_onesweep_config_selectorIlNS0_10empty_typeEEEZNS1_34radix_sort_onesweep_global_offsetsIS3_Lb1EPKlPS5_mNS0_19identity_decomposerEEE10hipError_tT1_T2_PT3_SF_jT4_jjP12ihipStream_tbEUlT_E0_NS1_11comp_targetILNS1_3genE8ELNS1_11target_archE1030ELNS1_3gpuE2ELNS1_3repE0EEENS1_52radix_sort_onesweep_histogram_config_static_selectorELNS0_4arch9wavefront6targetE0EEEvSD_,comdat
.Lfunc_end1087:
	.size	_ZN7rocprim17ROCPRIM_400000_NS6detail17trampoline_kernelINS0_14default_configENS1_35radix_sort_onesweep_config_selectorIlNS0_10empty_typeEEEZNS1_34radix_sort_onesweep_global_offsetsIS3_Lb1EPKlPS5_mNS0_19identity_decomposerEEE10hipError_tT1_T2_PT3_SF_jT4_jjP12ihipStream_tbEUlT_E0_NS1_11comp_targetILNS1_3genE8ELNS1_11target_archE1030ELNS1_3gpuE2ELNS1_3repE0EEENS1_52radix_sort_onesweep_histogram_config_static_selectorELNS0_4arch9wavefront6targetE0EEEvSD_, .Lfunc_end1087-_ZN7rocprim17ROCPRIM_400000_NS6detail17trampoline_kernelINS0_14default_configENS1_35radix_sort_onesweep_config_selectorIlNS0_10empty_typeEEEZNS1_34radix_sort_onesweep_global_offsetsIS3_Lb1EPKlPS5_mNS0_19identity_decomposerEEE10hipError_tT1_T2_PT3_SF_jT4_jjP12ihipStream_tbEUlT_E0_NS1_11comp_targetILNS1_3genE8ELNS1_11target_archE1030ELNS1_3gpuE2ELNS1_3repE0EEENS1_52radix_sort_onesweep_histogram_config_static_selectorELNS0_4arch9wavefront6targetE0EEEvSD_
                                        ; -- End function
	.set _ZN7rocprim17ROCPRIM_400000_NS6detail17trampoline_kernelINS0_14default_configENS1_35radix_sort_onesweep_config_selectorIlNS0_10empty_typeEEEZNS1_34radix_sort_onesweep_global_offsetsIS3_Lb1EPKlPS5_mNS0_19identity_decomposerEEE10hipError_tT1_T2_PT3_SF_jT4_jjP12ihipStream_tbEUlT_E0_NS1_11comp_targetILNS1_3genE8ELNS1_11target_archE1030ELNS1_3gpuE2ELNS1_3repE0EEENS1_52radix_sort_onesweep_histogram_config_static_selectorELNS0_4arch9wavefront6targetE0EEEvSD_.num_vgpr, 0
	.set _ZN7rocprim17ROCPRIM_400000_NS6detail17trampoline_kernelINS0_14default_configENS1_35radix_sort_onesweep_config_selectorIlNS0_10empty_typeEEEZNS1_34radix_sort_onesweep_global_offsetsIS3_Lb1EPKlPS5_mNS0_19identity_decomposerEEE10hipError_tT1_T2_PT3_SF_jT4_jjP12ihipStream_tbEUlT_E0_NS1_11comp_targetILNS1_3genE8ELNS1_11target_archE1030ELNS1_3gpuE2ELNS1_3repE0EEENS1_52radix_sort_onesweep_histogram_config_static_selectorELNS0_4arch9wavefront6targetE0EEEvSD_.num_agpr, 0
	.set _ZN7rocprim17ROCPRIM_400000_NS6detail17trampoline_kernelINS0_14default_configENS1_35radix_sort_onesweep_config_selectorIlNS0_10empty_typeEEEZNS1_34radix_sort_onesweep_global_offsetsIS3_Lb1EPKlPS5_mNS0_19identity_decomposerEEE10hipError_tT1_T2_PT3_SF_jT4_jjP12ihipStream_tbEUlT_E0_NS1_11comp_targetILNS1_3genE8ELNS1_11target_archE1030ELNS1_3gpuE2ELNS1_3repE0EEENS1_52radix_sort_onesweep_histogram_config_static_selectorELNS0_4arch9wavefront6targetE0EEEvSD_.numbered_sgpr, 0
	.set _ZN7rocprim17ROCPRIM_400000_NS6detail17trampoline_kernelINS0_14default_configENS1_35radix_sort_onesweep_config_selectorIlNS0_10empty_typeEEEZNS1_34radix_sort_onesweep_global_offsetsIS3_Lb1EPKlPS5_mNS0_19identity_decomposerEEE10hipError_tT1_T2_PT3_SF_jT4_jjP12ihipStream_tbEUlT_E0_NS1_11comp_targetILNS1_3genE8ELNS1_11target_archE1030ELNS1_3gpuE2ELNS1_3repE0EEENS1_52radix_sort_onesweep_histogram_config_static_selectorELNS0_4arch9wavefront6targetE0EEEvSD_.num_named_barrier, 0
	.set _ZN7rocprim17ROCPRIM_400000_NS6detail17trampoline_kernelINS0_14default_configENS1_35radix_sort_onesweep_config_selectorIlNS0_10empty_typeEEEZNS1_34radix_sort_onesweep_global_offsetsIS3_Lb1EPKlPS5_mNS0_19identity_decomposerEEE10hipError_tT1_T2_PT3_SF_jT4_jjP12ihipStream_tbEUlT_E0_NS1_11comp_targetILNS1_3genE8ELNS1_11target_archE1030ELNS1_3gpuE2ELNS1_3repE0EEENS1_52radix_sort_onesweep_histogram_config_static_selectorELNS0_4arch9wavefront6targetE0EEEvSD_.private_seg_size, 0
	.set _ZN7rocprim17ROCPRIM_400000_NS6detail17trampoline_kernelINS0_14default_configENS1_35radix_sort_onesweep_config_selectorIlNS0_10empty_typeEEEZNS1_34radix_sort_onesweep_global_offsetsIS3_Lb1EPKlPS5_mNS0_19identity_decomposerEEE10hipError_tT1_T2_PT3_SF_jT4_jjP12ihipStream_tbEUlT_E0_NS1_11comp_targetILNS1_3genE8ELNS1_11target_archE1030ELNS1_3gpuE2ELNS1_3repE0EEENS1_52radix_sort_onesweep_histogram_config_static_selectorELNS0_4arch9wavefront6targetE0EEEvSD_.uses_vcc, 0
	.set _ZN7rocprim17ROCPRIM_400000_NS6detail17trampoline_kernelINS0_14default_configENS1_35radix_sort_onesweep_config_selectorIlNS0_10empty_typeEEEZNS1_34radix_sort_onesweep_global_offsetsIS3_Lb1EPKlPS5_mNS0_19identity_decomposerEEE10hipError_tT1_T2_PT3_SF_jT4_jjP12ihipStream_tbEUlT_E0_NS1_11comp_targetILNS1_3genE8ELNS1_11target_archE1030ELNS1_3gpuE2ELNS1_3repE0EEENS1_52radix_sort_onesweep_histogram_config_static_selectorELNS0_4arch9wavefront6targetE0EEEvSD_.uses_flat_scratch, 0
	.set _ZN7rocprim17ROCPRIM_400000_NS6detail17trampoline_kernelINS0_14default_configENS1_35radix_sort_onesweep_config_selectorIlNS0_10empty_typeEEEZNS1_34radix_sort_onesweep_global_offsetsIS3_Lb1EPKlPS5_mNS0_19identity_decomposerEEE10hipError_tT1_T2_PT3_SF_jT4_jjP12ihipStream_tbEUlT_E0_NS1_11comp_targetILNS1_3genE8ELNS1_11target_archE1030ELNS1_3gpuE2ELNS1_3repE0EEENS1_52radix_sort_onesweep_histogram_config_static_selectorELNS0_4arch9wavefront6targetE0EEEvSD_.has_dyn_sized_stack, 0
	.set _ZN7rocprim17ROCPRIM_400000_NS6detail17trampoline_kernelINS0_14default_configENS1_35radix_sort_onesweep_config_selectorIlNS0_10empty_typeEEEZNS1_34radix_sort_onesweep_global_offsetsIS3_Lb1EPKlPS5_mNS0_19identity_decomposerEEE10hipError_tT1_T2_PT3_SF_jT4_jjP12ihipStream_tbEUlT_E0_NS1_11comp_targetILNS1_3genE8ELNS1_11target_archE1030ELNS1_3gpuE2ELNS1_3repE0EEENS1_52radix_sort_onesweep_histogram_config_static_selectorELNS0_4arch9wavefront6targetE0EEEvSD_.has_recursion, 0
	.set _ZN7rocprim17ROCPRIM_400000_NS6detail17trampoline_kernelINS0_14default_configENS1_35radix_sort_onesweep_config_selectorIlNS0_10empty_typeEEEZNS1_34radix_sort_onesweep_global_offsetsIS3_Lb1EPKlPS5_mNS0_19identity_decomposerEEE10hipError_tT1_T2_PT3_SF_jT4_jjP12ihipStream_tbEUlT_E0_NS1_11comp_targetILNS1_3genE8ELNS1_11target_archE1030ELNS1_3gpuE2ELNS1_3repE0EEENS1_52radix_sort_onesweep_histogram_config_static_selectorELNS0_4arch9wavefront6targetE0EEEvSD_.has_indirect_call, 0
	.section	.AMDGPU.csdata,"",@progbits
; Kernel info:
; codeLenInByte = 0
; TotalNumSgprs: 0
; NumVgprs: 0
; ScratchSize: 0
; MemoryBound: 0
; FloatMode: 240
; IeeeMode: 1
; LDSByteSize: 0 bytes/workgroup (compile time only)
; SGPRBlocks: 0
; VGPRBlocks: 0
; NumSGPRsForWavesPerEU: 1
; NumVGPRsForWavesPerEU: 1
; NamedBarCnt: 0
; Occupancy: 16
; WaveLimiterHint : 0
; COMPUTE_PGM_RSRC2:SCRATCH_EN: 0
; COMPUTE_PGM_RSRC2:USER_SGPR: 2
; COMPUTE_PGM_RSRC2:TRAP_HANDLER: 0
; COMPUTE_PGM_RSRC2:TGID_X_EN: 1
; COMPUTE_PGM_RSRC2:TGID_Y_EN: 0
; COMPUTE_PGM_RSRC2:TGID_Z_EN: 0
; COMPUTE_PGM_RSRC2:TIDIG_COMP_CNT: 0
	.section	.text._ZN7rocprim17ROCPRIM_400000_NS6detail17trampoline_kernelINS0_14default_configENS1_25transform_config_selectorIlLb1EEEZNS1_14transform_implILb1ES3_S5_PKlPlNS0_8identityIlEEEE10hipError_tT2_T3_mT4_P12ihipStream_tbEUlT_E_NS1_11comp_targetILNS1_3genE0ELNS1_11target_archE4294967295ELNS1_3gpuE0ELNS1_3repE0EEENS1_30default_config_static_selectorELNS0_4arch9wavefront6targetE0EEEvT1_,"axG",@progbits,_ZN7rocprim17ROCPRIM_400000_NS6detail17trampoline_kernelINS0_14default_configENS1_25transform_config_selectorIlLb1EEEZNS1_14transform_implILb1ES3_S5_PKlPlNS0_8identityIlEEEE10hipError_tT2_T3_mT4_P12ihipStream_tbEUlT_E_NS1_11comp_targetILNS1_3genE0ELNS1_11target_archE4294967295ELNS1_3gpuE0ELNS1_3repE0EEENS1_30default_config_static_selectorELNS0_4arch9wavefront6targetE0EEEvT1_,comdat
	.protected	_ZN7rocprim17ROCPRIM_400000_NS6detail17trampoline_kernelINS0_14default_configENS1_25transform_config_selectorIlLb1EEEZNS1_14transform_implILb1ES3_S5_PKlPlNS0_8identityIlEEEE10hipError_tT2_T3_mT4_P12ihipStream_tbEUlT_E_NS1_11comp_targetILNS1_3genE0ELNS1_11target_archE4294967295ELNS1_3gpuE0ELNS1_3repE0EEENS1_30default_config_static_selectorELNS0_4arch9wavefront6targetE0EEEvT1_ ; -- Begin function _ZN7rocprim17ROCPRIM_400000_NS6detail17trampoline_kernelINS0_14default_configENS1_25transform_config_selectorIlLb1EEEZNS1_14transform_implILb1ES3_S5_PKlPlNS0_8identityIlEEEE10hipError_tT2_T3_mT4_P12ihipStream_tbEUlT_E_NS1_11comp_targetILNS1_3genE0ELNS1_11target_archE4294967295ELNS1_3gpuE0ELNS1_3repE0EEENS1_30default_config_static_selectorELNS0_4arch9wavefront6targetE0EEEvT1_
	.globl	_ZN7rocprim17ROCPRIM_400000_NS6detail17trampoline_kernelINS0_14default_configENS1_25transform_config_selectorIlLb1EEEZNS1_14transform_implILb1ES3_S5_PKlPlNS0_8identityIlEEEE10hipError_tT2_T3_mT4_P12ihipStream_tbEUlT_E_NS1_11comp_targetILNS1_3genE0ELNS1_11target_archE4294967295ELNS1_3gpuE0ELNS1_3repE0EEENS1_30default_config_static_selectorELNS0_4arch9wavefront6targetE0EEEvT1_
	.p2align	8
	.type	_ZN7rocprim17ROCPRIM_400000_NS6detail17trampoline_kernelINS0_14default_configENS1_25transform_config_selectorIlLb1EEEZNS1_14transform_implILb1ES3_S5_PKlPlNS0_8identityIlEEEE10hipError_tT2_T3_mT4_P12ihipStream_tbEUlT_E_NS1_11comp_targetILNS1_3genE0ELNS1_11target_archE4294967295ELNS1_3gpuE0ELNS1_3repE0EEENS1_30default_config_static_selectorELNS0_4arch9wavefront6targetE0EEEvT1_,@function
_ZN7rocprim17ROCPRIM_400000_NS6detail17trampoline_kernelINS0_14default_configENS1_25transform_config_selectorIlLb1EEEZNS1_14transform_implILb1ES3_S5_PKlPlNS0_8identityIlEEEE10hipError_tT2_T3_mT4_P12ihipStream_tbEUlT_E_NS1_11comp_targetILNS1_3genE0ELNS1_11target_archE4294967295ELNS1_3gpuE0ELNS1_3repE0EEENS1_30default_config_static_selectorELNS0_4arch9wavefront6targetE0EEEvT1_: ; @_ZN7rocprim17ROCPRIM_400000_NS6detail17trampoline_kernelINS0_14default_configENS1_25transform_config_selectorIlLb1EEEZNS1_14transform_implILb1ES3_S5_PKlPlNS0_8identityIlEEEE10hipError_tT2_T3_mT4_P12ihipStream_tbEUlT_E_NS1_11comp_targetILNS1_3genE0ELNS1_11target_archE4294967295ELNS1_3gpuE0ELNS1_3repE0EEENS1_30default_config_static_selectorELNS0_4arch9wavefront6targetE0EEEvT1_
; %bb.0:
	s_clause 0x1
	s_load_b32 s2, s[0:1], 0x28
	s_load_b32 s3, s[0:1], 0x10
	s_bfe_u32 s4, ttmp6, 0x4000c
	s_and_b32 s5, ttmp6, 15
	s_add_co_i32 s4, s4, 1
	s_getreg_b32 s6, hwreg(HW_REG_IB_STS2, 6, 4)
	s_mul_i32 s4, ttmp9, s4
	s_delay_alu instid0(SALU_CYCLE_1)
	s_add_co_i32 s5, s5, s4
	s_cmp_eq_u32 s6, 0
	s_cselect_b32 s4, ttmp9, s5
	s_wait_kmcnt 0x0
	s_add_co_i32 s5, s2, -1
	s_lshl_b32 s2, s4, 7
	s_cmp_lg_u32 s4, s5
	s_cselect_b32 s4, -1, 0
	s_sub_co_i32 s3, s3, s2
	s_delay_alu instid0(SALU_CYCLE_1) | instskip(SKIP_2) | instid1(SALU_CYCLE_1)
	v_cmp_gt_u32_e32 vcc_lo, s3, v0
	s_mov_b32 s3, 0
	s_or_b32 s4, vcc_lo, s4
	s_and_saveexec_b32 s5, s4
	s_cbranch_execz .LBB1088_2
; %bb.1:
	s_clause 0x1
	s_load_b128 s[4:7], s[0:1], 0x0
	s_load_b64 s[8:9], s[0:1], 0x18
	s_lshl_b64 s[2:3], s[2:3], 3
	s_wait_kmcnt 0x0
	s_lshl_b64 s[0:1], s[6:7], 3
	s_delay_alu instid0(SALU_CYCLE_1)
	s_add_nc_u64 s[4:5], s[4:5], s[0:1]
	s_add_nc_u64 s[0:1], s[8:9], s[0:1]
	;; [unrolled: 1-line block ×4, first 2 shown]
	global_load_b64 v[2:3], v0, s[4:5] scale_offset
	s_wait_loadcnt 0x0
	global_store_b64 v0, v[2:3], s[0:1] scale_offset
.LBB1088_2:
	s_endpgm
	.section	.rodata,"a",@progbits
	.p2align	6, 0x0
	.amdhsa_kernel _ZN7rocprim17ROCPRIM_400000_NS6detail17trampoline_kernelINS0_14default_configENS1_25transform_config_selectorIlLb1EEEZNS1_14transform_implILb1ES3_S5_PKlPlNS0_8identityIlEEEE10hipError_tT2_T3_mT4_P12ihipStream_tbEUlT_E_NS1_11comp_targetILNS1_3genE0ELNS1_11target_archE4294967295ELNS1_3gpuE0ELNS1_3repE0EEENS1_30default_config_static_selectorELNS0_4arch9wavefront6targetE0EEEvT1_
		.amdhsa_group_segment_fixed_size 0
		.amdhsa_private_segment_fixed_size 0
		.amdhsa_kernarg_size 296
		.amdhsa_user_sgpr_count 2
		.amdhsa_user_sgpr_dispatch_ptr 0
		.amdhsa_user_sgpr_queue_ptr 0
		.amdhsa_user_sgpr_kernarg_segment_ptr 1
		.amdhsa_user_sgpr_dispatch_id 0
		.amdhsa_user_sgpr_kernarg_preload_length 0
		.amdhsa_user_sgpr_kernarg_preload_offset 0
		.amdhsa_user_sgpr_private_segment_size 0
		.amdhsa_wavefront_size32 1
		.amdhsa_uses_dynamic_stack 0
		.amdhsa_enable_private_segment 0
		.amdhsa_system_sgpr_workgroup_id_x 1
		.amdhsa_system_sgpr_workgroup_id_y 0
		.amdhsa_system_sgpr_workgroup_id_z 0
		.amdhsa_system_sgpr_workgroup_info 0
		.amdhsa_system_vgpr_workitem_id 0
		.amdhsa_next_free_vgpr 4
		.amdhsa_next_free_sgpr 10
		.amdhsa_named_barrier_count 0
		.amdhsa_reserve_vcc 1
		.amdhsa_float_round_mode_32 0
		.amdhsa_float_round_mode_16_64 0
		.amdhsa_float_denorm_mode_32 3
		.amdhsa_float_denorm_mode_16_64 3
		.amdhsa_fp16_overflow 0
		.amdhsa_memory_ordered 1
		.amdhsa_forward_progress 1
		.amdhsa_inst_pref_size 2
		.amdhsa_round_robin_scheduling 0
		.amdhsa_exception_fp_ieee_invalid_op 0
		.amdhsa_exception_fp_denorm_src 0
		.amdhsa_exception_fp_ieee_div_zero 0
		.amdhsa_exception_fp_ieee_overflow 0
		.amdhsa_exception_fp_ieee_underflow 0
		.amdhsa_exception_fp_ieee_inexact 0
		.amdhsa_exception_int_div_zero 0
	.end_amdhsa_kernel
	.section	.text._ZN7rocprim17ROCPRIM_400000_NS6detail17trampoline_kernelINS0_14default_configENS1_25transform_config_selectorIlLb1EEEZNS1_14transform_implILb1ES3_S5_PKlPlNS0_8identityIlEEEE10hipError_tT2_T3_mT4_P12ihipStream_tbEUlT_E_NS1_11comp_targetILNS1_3genE0ELNS1_11target_archE4294967295ELNS1_3gpuE0ELNS1_3repE0EEENS1_30default_config_static_selectorELNS0_4arch9wavefront6targetE0EEEvT1_,"axG",@progbits,_ZN7rocprim17ROCPRIM_400000_NS6detail17trampoline_kernelINS0_14default_configENS1_25transform_config_selectorIlLb1EEEZNS1_14transform_implILb1ES3_S5_PKlPlNS0_8identityIlEEEE10hipError_tT2_T3_mT4_P12ihipStream_tbEUlT_E_NS1_11comp_targetILNS1_3genE0ELNS1_11target_archE4294967295ELNS1_3gpuE0ELNS1_3repE0EEENS1_30default_config_static_selectorELNS0_4arch9wavefront6targetE0EEEvT1_,comdat
.Lfunc_end1088:
	.size	_ZN7rocprim17ROCPRIM_400000_NS6detail17trampoline_kernelINS0_14default_configENS1_25transform_config_selectorIlLb1EEEZNS1_14transform_implILb1ES3_S5_PKlPlNS0_8identityIlEEEE10hipError_tT2_T3_mT4_P12ihipStream_tbEUlT_E_NS1_11comp_targetILNS1_3genE0ELNS1_11target_archE4294967295ELNS1_3gpuE0ELNS1_3repE0EEENS1_30default_config_static_selectorELNS0_4arch9wavefront6targetE0EEEvT1_, .Lfunc_end1088-_ZN7rocprim17ROCPRIM_400000_NS6detail17trampoline_kernelINS0_14default_configENS1_25transform_config_selectorIlLb1EEEZNS1_14transform_implILb1ES3_S5_PKlPlNS0_8identityIlEEEE10hipError_tT2_T3_mT4_P12ihipStream_tbEUlT_E_NS1_11comp_targetILNS1_3genE0ELNS1_11target_archE4294967295ELNS1_3gpuE0ELNS1_3repE0EEENS1_30default_config_static_selectorELNS0_4arch9wavefront6targetE0EEEvT1_
                                        ; -- End function
	.set _ZN7rocprim17ROCPRIM_400000_NS6detail17trampoline_kernelINS0_14default_configENS1_25transform_config_selectorIlLb1EEEZNS1_14transform_implILb1ES3_S5_PKlPlNS0_8identityIlEEEE10hipError_tT2_T3_mT4_P12ihipStream_tbEUlT_E_NS1_11comp_targetILNS1_3genE0ELNS1_11target_archE4294967295ELNS1_3gpuE0ELNS1_3repE0EEENS1_30default_config_static_selectorELNS0_4arch9wavefront6targetE0EEEvT1_.num_vgpr, 4
	.set _ZN7rocprim17ROCPRIM_400000_NS6detail17trampoline_kernelINS0_14default_configENS1_25transform_config_selectorIlLb1EEEZNS1_14transform_implILb1ES3_S5_PKlPlNS0_8identityIlEEEE10hipError_tT2_T3_mT4_P12ihipStream_tbEUlT_E_NS1_11comp_targetILNS1_3genE0ELNS1_11target_archE4294967295ELNS1_3gpuE0ELNS1_3repE0EEENS1_30default_config_static_selectorELNS0_4arch9wavefront6targetE0EEEvT1_.num_agpr, 0
	.set _ZN7rocprim17ROCPRIM_400000_NS6detail17trampoline_kernelINS0_14default_configENS1_25transform_config_selectorIlLb1EEEZNS1_14transform_implILb1ES3_S5_PKlPlNS0_8identityIlEEEE10hipError_tT2_T3_mT4_P12ihipStream_tbEUlT_E_NS1_11comp_targetILNS1_3genE0ELNS1_11target_archE4294967295ELNS1_3gpuE0ELNS1_3repE0EEENS1_30default_config_static_selectorELNS0_4arch9wavefront6targetE0EEEvT1_.numbered_sgpr, 10
	.set _ZN7rocprim17ROCPRIM_400000_NS6detail17trampoline_kernelINS0_14default_configENS1_25transform_config_selectorIlLb1EEEZNS1_14transform_implILb1ES3_S5_PKlPlNS0_8identityIlEEEE10hipError_tT2_T3_mT4_P12ihipStream_tbEUlT_E_NS1_11comp_targetILNS1_3genE0ELNS1_11target_archE4294967295ELNS1_3gpuE0ELNS1_3repE0EEENS1_30default_config_static_selectorELNS0_4arch9wavefront6targetE0EEEvT1_.num_named_barrier, 0
	.set _ZN7rocprim17ROCPRIM_400000_NS6detail17trampoline_kernelINS0_14default_configENS1_25transform_config_selectorIlLb1EEEZNS1_14transform_implILb1ES3_S5_PKlPlNS0_8identityIlEEEE10hipError_tT2_T3_mT4_P12ihipStream_tbEUlT_E_NS1_11comp_targetILNS1_3genE0ELNS1_11target_archE4294967295ELNS1_3gpuE0ELNS1_3repE0EEENS1_30default_config_static_selectorELNS0_4arch9wavefront6targetE0EEEvT1_.private_seg_size, 0
	.set _ZN7rocprim17ROCPRIM_400000_NS6detail17trampoline_kernelINS0_14default_configENS1_25transform_config_selectorIlLb1EEEZNS1_14transform_implILb1ES3_S5_PKlPlNS0_8identityIlEEEE10hipError_tT2_T3_mT4_P12ihipStream_tbEUlT_E_NS1_11comp_targetILNS1_3genE0ELNS1_11target_archE4294967295ELNS1_3gpuE0ELNS1_3repE0EEENS1_30default_config_static_selectorELNS0_4arch9wavefront6targetE0EEEvT1_.uses_vcc, 1
	.set _ZN7rocprim17ROCPRIM_400000_NS6detail17trampoline_kernelINS0_14default_configENS1_25transform_config_selectorIlLb1EEEZNS1_14transform_implILb1ES3_S5_PKlPlNS0_8identityIlEEEE10hipError_tT2_T3_mT4_P12ihipStream_tbEUlT_E_NS1_11comp_targetILNS1_3genE0ELNS1_11target_archE4294967295ELNS1_3gpuE0ELNS1_3repE0EEENS1_30default_config_static_selectorELNS0_4arch9wavefront6targetE0EEEvT1_.uses_flat_scratch, 0
	.set _ZN7rocprim17ROCPRIM_400000_NS6detail17trampoline_kernelINS0_14default_configENS1_25transform_config_selectorIlLb1EEEZNS1_14transform_implILb1ES3_S5_PKlPlNS0_8identityIlEEEE10hipError_tT2_T3_mT4_P12ihipStream_tbEUlT_E_NS1_11comp_targetILNS1_3genE0ELNS1_11target_archE4294967295ELNS1_3gpuE0ELNS1_3repE0EEENS1_30default_config_static_selectorELNS0_4arch9wavefront6targetE0EEEvT1_.has_dyn_sized_stack, 0
	.set _ZN7rocprim17ROCPRIM_400000_NS6detail17trampoline_kernelINS0_14default_configENS1_25transform_config_selectorIlLb1EEEZNS1_14transform_implILb1ES3_S5_PKlPlNS0_8identityIlEEEE10hipError_tT2_T3_mT4_P12ihipStream_tbEUlT_E_NS1_11comp_targetILNS1_3genE0ELNS1_11target_archE4294967295ELNS1_3gpuE0ELNS1_3repE0EEENS1_30default_config_static_selectorELNS0_4arch9wavefront6targetE0EEEvT1_.has_recursion, 0
	.set _ZN7rocprim17ROCPRIM_400000_NS6detail17trampoline_kernelINS0_14default_configENS1_25transform_config_selectorIlLb1EEEZNS1_14transform_implILb1ES3_S5_PKlPlNS0_8identityIlEEEE10hipError_tT2_T3_mT4_P12ihipStream_tbEUlT_E_NS1_11comp_targetILNS1_3genE0ELNS1_11target_archE4294967295ELNS1_3gpuE0ELNS1_3repE0EEENS1_30default_config_static_selectorELNS0_4arch9wavefront6targetE0EEEvT1_.has_indirect_call, 0
	.section	.AMDGPU.csdata,"",@progbits
; Kernel info:
; codeLenInByte = 192
; TotalNumSgprs: 12
; NumVgprs: 4
; ScratchSize: 0
; MemoryBound: 0
; FloatMode: 240
; IeeeMode: 1
; LDSByteSize: 0 bytes/workgroup (compile time only)
; SGPRBlocks: 0
; VGPRBlocks: 0
; NumSGPRsForWavesPerEU: 12
; NumVGPRsForWavesPerEU: 4
; NamedBarCnt: 0
; Occupancy: 16
; WaveLimiterHint : 0
; COMPUTE_PGM_RSRC2:SCRATCH_EN: 0
; COMPUTE_PGM_RSRC2:USER_SGPR: 2
; COMPUTE_PGM_RSRC2:TRAP_HANDLER: 0
; COMPUTE_PGM_RSRC2:TGID_X_EN: 1
; COMPUTE_PGM_RSRC2:TGID_Y_EN: 0
; COMPUTE_PGM_RSRC2:TGID_Z_EN: 0
; COMPUTE_PGM_RSRC2:TIDIG_COMP_CNT: 0
	.section	.text._ZN7rocprim17ROCPRIM_400000_NS6detail17trampoline_kernelINS0_14default_configENS1_25transform_config_selectorIlLb1EEEZNS1_14transform_implILb1ES3_S5_PKlPlNS0_8identityIlEEEE10hipError_tT2_T3_mT4_P12ihipStream_tbEUlT_E_NS1_11comp_targetILNS1_3genE10ELNS1_11target_archE1201ELNS1_3gpuE5ELNS1_3repE0EEENS1_30default_config_static_selectorELNS0_4arch9wavefront6targetE0EEEvT1_,"axG",@progbits,_ZN7rocprim17ROCPRIM_400000_NS6detail17trampoline_kernelINS0_14default_configENS1_25transform_config_selectorIlLb1EEEZNS1_14transform_implILb1ES3_S5_PKlPlNS0_8identityIlEEEE10hipError_tT2_T3_mT4_P12ihipStream_tbEUlT_E_NS1_11comp_targetILNS1_3genE10ELNS1_11target_archE1201ELNS1_3gpuE5ELNS1_3repE0EEENS1_30default_config_static_selectorELNS0_4arch9wavefront6targetE0EEEvT1_,comdat
	.protected	_ZN7rocprim17ROCPRIM_400000_NS6detail17trampoline_kernelINS0_14default_configENS1_25transform_config_selectorIlLb1EEEZNS1_14transform_implILb1ES3_S5_PKlPlNS0_8identityIlEEEE10hipError_tT2_T3_mT4_P12ihipStream_tbEUlT_E_NS1_11comp_targetILNS1_3genE10ELNS1_11target_archE1201ELNS1_3gpuE5ELNS1_3repE0EEENS1_30default_config_static_selectorELNS0_4arch9wavefront6targetE0EEEvT1_ ; -- Begin function _ZN7rocprim17ROCPRIM_400000_NS6detail17trampoline_kernelINS0_14default_configENS1_25transform_config_selectorIlLb1EEEZNS1_14transform_implILb1ES3_S5_PKlPlNS0_8identityIlEEEE10hipError_tT2_T3_mT4_P12ihipStream_tbEUlT_E_NS1_11comp_targetILNS1_3genE10ELNS1_11target_archE1201ELNS1_3gpuE5ELNS1_3repE0EEENS1_30default_config_static_selectorELNS0_4arch9wavefront6targetE0EEEvT1_
	.globl	_ZN7rocprim17ROCPRIM_400000_NS6detail17trampoline_kernelINS0_14default_configENS1_25transform_config_selectorIlLb1EEEZNS1_14transform_implILb1ES3_S5_PKlPlNS0_8identityIlEEEE10hipError_tT2_T3_mT4_P12ihipStream_tbEUlT_E_NS1_11comp_targetILNS1_3genE10ELNS1_11target_archE1201ELNS1_3gpuE5ELNS1_3repE0EEENS1_30default_config_static_selectorELNS0_4arch9wavefront6targetE0EEEvT1_
	.p2align	8
	.type	_ZN7rocprim17ROCPRIM_400000_NS6detail17trampoline_kernelINS0_14default_configENS1_25transform_config_selectorIlLb1EEEZNS1_14transform_implILb1ES3_S5_PKlPlNS0_8identityIlEEEE10hipError_tT2_T3_mT4_P12ihipStream_tbEUlT_E_NS1_11comp_targetILNS1_3genE10ELNS1_11target_archE1201ELNS1_3gpuE5ELNS1_3repE0EEENS1_30default_config_static_selectorELNS0_4arch9wavefront6targetE0EEEvT1_,@function
_ZN7rocprim17ROCPRIM_400000_NS6detail17trampoline_kernelINS0_14default_configENS1_25transform_config_selectorIlLb1EEEZNS1_14transform_implILb1ES3_S5_PKlPlNS0_8identityIlEEEE10hipError_tT2_T3_mT4_P12ihipStream_tbEUlT_E_NS1_11comp_targetILNS1_3genE10ELNS1_11target_archE1201ELNS1_3gpuE5ELNS1_3repE0EEENS1_30default_config_static_selectorELNS0_4arch9wavefront6targetE0EEEvT1_: ; @_ZN7rocprim17ROCPRIM_400000_NS6detail17trampoline_kernelINS0_14default_configENS1_25transform_config_selectorIlLb1EEEZNS1_14transform_implILb1ES3_S5_PKlPlNS0_8identityIlEEEE10hipError_tT2_T3_mT4_P12ihipStream_tbEUlT_E_NS1_11comp_targetILNS1_3genE10ELNS1_11target_archE1201ELNS1_3gpuE5ELNS1_3repE0EEENS1_30default_config_static_selectorELNS0_4arch9wavefront6targetE0EEEvT1_
; %bb.0:
	.section	.rodata,"a",@progbits
	.p2align	6, 0x0
	.amdhsa_kernel _ZN7rocprim17ROCPRIM_400000_NS6detail17trampoline_kernelINS0_14default_configENS1_25transform_config_selectorIlLb1EEEZNS1_14transform_implILb1ES3_S5_PKlPlNS0_8identityIlEEEE10hipError_tT2_T3_mT4_P12ihipStream_tbEUlT_E_NS1_11comp_targetILNS1_3genE10ELNS1_11target_archE1201ELNS1_3gpuE5ELNS1_3repE0EEENS1_30default_config_static_selectorELNS0_4arch9wavefront6targetE0EEEvT1_
		.amdhsa_group_segment_fixed_size 0
		.amdhsa_private_segment_fixed_size 0
		.amdhsa_kernarg_size 40
		.amdhsa_user_sgpr_count 2
		.amdhsa_user_sgpr_dispatch_ptr 0
		.amdhsa_user_sgpr_queue_ptr 0
		.amdhsa_user_sgpr_kernarg_segment_ptr 1
		.amdhsa_user_sgpr_dispatch_id 0
		.amdhsa_user_sgpr_kernarg_preload_length 0
		.amdhsa_user_sgpr_kernarg_preload_offset 0
		.amdhsa_user_sgpr_private_segment_size 0
		.amdhsa_wavefront_size32 1
		.amdhsa_uses_dynamic_stack 0
		.amdhsa_enable_private_segment 0
		.amdhsa_system_sgpr_workgroup_id_x 1
		.amdhsa_system_sgpr_workgroup_id_y 0
		.amdhsa_system_sgpr_workgroup_id_z 0
		.amdhsa_system_sgpr_workgroup_info 0
		.amdhsa_system_vgpr_workitem_id 0
		.amdhsa_next_free_vgpr 1
		.amdhsa_next_free_sgpr 1
		.amdhsa_named_barrier_count 0
		.amdhsa_reserve_vcc 0
		.amdhsa_float_round_mode_32 0
		.amdhsa_float_round_mode_16_64 0
		.amdhsa_float_denorm_mode_32 3
		.amdhsa_float_denorm_mode_16_64 3
		.amdhsa_fp16_overflow 0
		.amdhsa_memory_ordered 1
		.amdhsa_forward_progress 1
		.amdhsa_inst_pref_size 0
		.amdhsa_round_robin_scheduling 0
		.amdhsa_exception_fp_ieee_invalid_op 0
		.amdhsa_exception_fp_denorm_src 0
		.amdhsa_exception_fp_ieee_div_zero 0
		.amdhsa_exception_fp_ieee_overflow 0
		.amdhsa_exception_fp_ieee_underflow 0
		.amdhsa_exception_fp_ieee_inexact 0
		.amdhsa_exception_int_div_zero 0
	.end_amdhsa_kernel
	.section	.text._ZN7rocprim17ROCPRIM_400000_NS6detail17trampoline_kernelINS0_14default_configENS1_25transform_config_selectorIlLb1EEEZNS1_14transform_implILb1ES3_S5_PKlPlNS0_8identityIlEEEE10hipError_tT2_T3_mT4_P12ihipStream_tbEUlT_E_NS1_11comp_targetILNS1_3genE10ELNS1_11target_archE1201ELNS1_3gpuE5ELNS1_3repE0EEENS1_30default_config_static_selectorELNS0_4arch9wavefront6targetE0EEEvT1_,"axG",@progbits,_ZN7rocprim17ROCPRIM_400000_NS6detail17trampoline_kernelINS0_14default_configENS1_25transform_config_selectorIlLb1EEEZNS1_14transform_implILb1ES3_S5_PKlPlNS0_8identityIlEEEE10hipError_tT2_T3_mT4_P12ihipStream_tbEUlT_E_NS1_11comp_targetILNS1_3genE10ELNS1_11target_archE1201ELNS1_3gpuE5ELNS1_3repE0EEENS1_30default_config_static_selectorELNS0_4arch9wavefront6targetE0EEEvT1_,comdat
.Lfunc_end1089:
	.size	_ZN7rocprim17ROCPRIM_400000_NS6detail17trampoline_kernelINS0_14default_configENS1_25transform_config_selectorIlLb1EEEZNS1_14transform_implILb1ES3_S5_PKlPlNS0_8identityIlEEEE10hipError_tT2_T3_mT4_P12ihipStream_tbEUlT_E_NS1_11comp_targetILNS1_3genE10ELNS1_11target_archE1201ELNS1_3gpuE5ELNS1_3repE0EEENS1_30default_config_static_selectorELNS0_4arch9wavefront6targetE0EEEvT1_, .Lfunc_end1089-_ZN7rocprim17ROCPRIM_400000_NS6detail17trampoline_kernelINS0_14default_configENS1_25transform_config_selectorIlLb1EEEZNS1_14transform_implILb1ES3_S5_PKlPlNS0_8identityIlEEEE10hipError_tT2_T3_mT4_P12ihipStream_tbEUlT_E_NS1_11comp_targetILNS1_3genE10ELNS1_11target_archE1201ELNS1_3gpuE5ELNS1_3repE0EEENS1_30default_config_static_selectorELNS0_4arch9wavefront6targetE0EEEvT1_
                                        ; -- End function
	.set _ZN7rocprim17ROCPRIM_400000_NS6detail17trampoline_kernelINS0_14default_configENS1_25transform_config_selectorIlLb1EEEZNS1_14transform_implILb1ES3_S5_PKlPlNS0_8identityIlEEEE10hipError_tT2_T3_mT4_P12ihipStream_tbEUlT_E_NS1_11comp_targetILNS1_3genE10ELNS1_11target_archE1201ELNS1_3gpuE5ELNS1_3repE0EEENS1_30default_config_static_selectorELNS0_4arch9wavefront6targetE0EEEvT1_.num_vgpr, 0
	.set _ZN7rocprim17ROCPRIM_400000_NS6detail17trampoline_kernelINS0_14default_configENS1_25transform_config_selectorIlLb1EEEZNS1_14transform_implILb1ES3_S5_PKlPlNS0_8identityIlEEEE10hipError_tT2_T3_mT4_P12ihipStream_tbEUlT_E_NS1_11comp_targetILNS1_3genE10ELNS1_11target_archE1201ELNS1_3gpuE5ELNS1_3repE0EEENS1_30default_config_static_selectorELNS0_4arch9wavefront6targetE0EEEvT1_.num_agpr, 0
	.set _ZN7rocprim17ROCPRIM_400000_NS6detail17trampoline_kernelINS0_14default_configENS1_25transform_config_selectorIlLb1EEEZNS1_14transform_implILb1ES3_S5_PKlPlNS0_8identityIlEEEE10hipError_tT2_T3_mT4_P12ihipStream_tbEUlT_E_NS1_11comp_targetILNS1_3genE10ELNS1_11target_archE1201ELNS1_3gpuE5ELNS1_3repE0EEENS1_30default_config_static_selectorELNS0_4arch9wavefront6targetE0EEEvT1_.numbered_sgpr, 0
	.set _ZN7rocprim17ROCPRIM_400000_NS6detail17trampoline_kernelINS0_14default_configENS1_25transform_config_selectorIlLb1EEEZNS1_14transform_implILb1ES3_S5_PKlPlNS0_8identityIlEEEE10hipError_tT2_T3_mT4_P12ihipStream_tbEUlT_E_NS1_11comp_targetILNS1_3genE10ELNS1_11target_archE1201ELNS1_3gpuE5ELNS1_3repE0EEENS1_30default_config_static_selectorELNS0_4arch9wavefront6targetE0EEEvT1_.num_named_barrier, 0
	.set _ZN7rocprim17ROCPRIM_400000_NS6detail17trampoline_kernelINS0_14default_configENS1_25transform_config_selectorIlLb1EEEZNS1_14transform_implILb1ES3_S5_PKlPlNS0_8identityIlEEEE10hipError_tT2_T3_mT4_P12ihipStream_tbEUlT_E_NS1_11comp_targetILNS1_3genE10ELNS1_11target_archE1201ELNS1_3gpuE5ELNS1_3repE0EEENS1_30default_config_static_selectorELNS0_4arch9wavefront6targetE0EEEvT1_.private_seg_size, 0
	.set _ZN7rocprim17ROCPRIM_400000_NS6detail17trampoline_kernelINS0_14default_configENS1_25transform_config_selectorIlLb1EEEZNS1_14transform_implILb1ES3_S5_PKlPlNS0_8identityIlEEEE10hipError_tT2_T3_mT4_P12ihipStream_tbEUlT_E_NS1_11comp_targetILNS1_3genE10ELNS1_11target_archE1201ELNS1_3gpuE5ELNS1_3repE0EEENS1_30default_config_static_selectorELNS0_4arch9wavefront6targetE0EEEvT1_.uses_vcc, 0
	.set _ZN7rocprim17ROCPRIM_400000_NS6detail17trampoline_kernelINS0_14default_configENS1_25transform_config_selectorIlLb1EEEZNS1_14transform_implILb1ES3_S5_PKlPlNS0_8identityIlEEEE10hipError_tT2_T3_mT4_P12ihipStream_tbEUlT_E_NS1_11comp_targetILNS1_3genE10ELNS1_11target_archE1201ELNS1_3gpuE5ELNS1_3repE0EEENS1_30default_config_static_selectorELNS0_4arch9wavefront6targetE0EEEvT1_.uses_flat_scratch, 0
	.set _ZN7rocprim17ROCPRIM_400000_NS6detail17trampoline_kernelINS0_14default_configENS1_25transform_config_selectorIlLb1EEEZNS1_14transform_implILb1ES3_S5_PKlPlNS0_8identityIlEEEE10hipError_tT2_T3_mT4_P12ihipStream_tbEUlT_E_NS1_11comp_targetILNS1_3genE10ELNS1_11target_archE1201ELNS1_3gpuE5ELNS1_3repE0EEENS1_30default_config_static_selectorELNS0_4arch9wavefront6targetE0EEEvT1_.has_dyn_sized_stack, 0
	.set _ZN7rocprim17ROCPRIM_400000_NS6detail17trampoline_kernelINS0_14default_configENS1_25transform_config_selectorIlLb1EEEZNS1_14transform_implILb1ES3_S5_PKlPlNS0_8identityIlEEEE10hipError_tT2_T3_mT4_P12ihipStream_tbEUlT_E_NS1_11comp_targetILNS1_3genE10ELNS1_11target_archE1201ELNS1_3gpuE5ELNS1_3repE0EEENS1_30default_config_static_selectorELNS0_4arch9wavefront6targetE0EEEvT1_.has_recursion, 0
	.set _ZN7rocprim17ROCPRIM_400000_NS6detail17trampoline_kernelINS0_14default_configENS1_25transform_config_selectorIlLb1EEEZNS1_14transform_implILb1ES3_S5_PKlPlNS0_8identityIlEEEE10hipError_tT2_T3_mT4_P12ihipStream_tbEUlT_E_NS1_11comp_targetILNS1_3genE10ELNS1_11target_archE1201ELNS1_3gpuE5ELNS1_3repE0EEENS1_30default_config_static_selectorELNS0_4arch9wavefront6targetE0EEEvT1_.has_indirect_call, 0
	.section	.AMDGPU.csdata,"",@progbits
; Kernel info:
; codeLenInByte = 0
; TotalNumSgprs: 0
; NumVgprs: 0
; ScratchSize: 0
; MemoryBound: 0
; FloatMode: 240
; IeeeMode: 1
; LDSByteSize: 0 bytes/workgroup (compile time only)
; SGPRBlocks: 0
; VGPRBlocks: 0
; NumSGPRsForWavesPerEU: 1
; NumVGPRsForWavesPerEU: 1
; NamedBarCnt: 0
; Occupancy: 16
; WaveLimiterHint : 0
; COMPUTE_PGM_RSRC2:SCRATCH_EN: 0
; COMPUTE_PGM_RSRC2:USER_SGPR: 2
; COMPUTE_PGM_RSRC2:TRAP_HANDLER: 0
; COMPUTE_PGM_RSRC2:TGID_X_EN: 1
; COMPUTE_PGM_RSRC2:TGID_Y_EN: 0
; COMPUTE_PGM_RSRC2:TGID_Z_EN: 0
; COMPUTE_PGM_RSRC2:TIDIG_COMP_CNT: 0
	.section	.text._ZN7rocprim17ROCPRIM_400000_NS6detail17trampoline_kernelINS0_14default_configENS1_25transform_config_selectorIlLb1EEEZNS1_14transform_implILb1ES3_S5_PKlPlNS0_8identityIlEEEE10hipError_tT2_T3_mT4_P12ihipStream_tbEUlT_E_NS1_11comp_targetILNS1_3genE5ELNS1_11target_archE942ELNS1_3gpuE9ELNS1_3repE0EEENS1_30default_config_static_selectorELNS0_4arch9wavefront6targetE0EEEvT1_,"axG",@progbits,_ZN7rocprim17ROCPRIM_400000_NS6detail17trampoline_kernelINS0_14default_configENS1_25transform_config_selectorIlLb1EEEZNS1_14transform_implILb1ES3_S5_PKlPlNS0_8identityIlEEEE10hipError_tT2_T3_mT4_P12ihipStream_tbEUlT_E_NS1_11comp_targetILNS1_3genE5ELNS1_11target_archE942ELNS1_3gpuE9ELNS1_3repE0EEENS1_30default_config_static_selectorELNS0_4arch9wavefront6targetE0EEEvT1_,comdat
	.protected	_ZN7rocprim17ROCPRIM_400000_NS6detail17trampoline_kernelINS0_14default_configENS1_25transform_config_selectorIlLb1EEEZNS1_14transform_implILb1ES3_S5_PKlPlNS0_8identityIlEEEE10hipError_tT2_T3_mT4_P12ihipStream_tbEUlT_E_NS1_11comp_targetILNS1_3genE5ELNS1_11target_archE942ELNS1_3gpuE9ELNS1_3repE0EEENS1_30default_config_static_selectorELNS0_4arch9wavefront6targetE0EEEvT1_ ; -- Begin function _ZN7rocprim17ROCPRIM_400000_NS6detail17trampoline_kernelINS0_14default_configENS1_25transform_config_selectorIlLb1EEEZNS1_14transform_implILb1ES3_S5_PKlPlNS0_8identityIlEEEE10hipError_tT2_T3_mT4_P12ihipStream_tbEUlT_E_NS1_11comp_targetILNS1_3genE5ELNS1_11target_archE942ELNS1_3gpuE9ELNS1_3repE0EEENS1_30default_config_static_selectorELNS0_4arch9wavefront6targetE0EEEvT1_
	.globl	_ZN7rocprim17ROCPRIM_400000_NS6detail17trampoline_kernelINS0_14default_configENS1_25transform_config_selectorIlLb1EEEZNS1_14transform_implILb1ES3_S5_PKlPlNS0_8identityIlEEEE10hipError_tT2_T3_mT4_P12ihipStream_tbEUlT_E_NS1_11comp_targetILNS1_3genE5ELNS1_11target_archE942ELNS1_3gpuE9ELNS1_3repE0EEENS1_30default_config_static_selectorELNS0_4arch9wavefront6targetE0EEEvT1_
	.p2align	8
	.type	_ZN7rocprim17ROCPRIM_400000_NS6detail17trampoline_kernelINS0_14default_configENS1_25transform_config_selectorIlLb1EEEZNS1_14transform_implILb1ES3_S5_PKlPlNS0_8identityIlEEEE10hipError_tT2_T3_mT4_P12ihipStream_tbEUlT_E_NS1_11comp_targetILNS1_3genE5ELNS1_11target_archE942ELNS1_3gpuE9ELNS1_3repE0EEENS1_30default_config_static_selectorELNS0_4arch9wavefront6targetE0EEEvT1_,@function
_ZN7rocprim17ROCPRIM_400000_NS6detail17trampoline_kernelINS0_14default_configENS1_25transform_config_selectorIlLb1EEEZNS1_14transform_implILb1ES3_S5_PKlPlNS0_8identityIlEEEE10hipError_tT2_T3_mT4_P12ihipStream_tbEUlT_E_NS1_11comp_targetILNS1_3genE5ELNS1_11target_archE942ELNS1_3gpuE9ELNS1_3repE0EEENS1_30default_config_static_selectorELNS0_4arch9wavefront6targetE0EEEvT1_: ; @_ZN7rocprim17ROCPRIM_400000_NS6detail17trampoline_kernelINS0_14default_configENS1_25transform_config_selectorIlLb1EEEZNS1_14transform_implILb1ES3_S5_PKlPlNS0_8identityIlEEEE10hipError_tT2_T3_mT4_P12ihipStream_tbEUlT_E_NS1_11comp_targetILNS1_3genE5ELNS1_11target_archE942ELNS1_3gpuE9ELNS1_3repE0EEENS1_30default_config_static_selectorELNS0_4arch9wavefront6targetE0EEEvT1_
; %bb.0:
	.section	.rodata,"a",@progbits
	.p2align	6, 0x0
	.amdhsa_kernel _ZN7rocprim17ROCPRIM_400000_NS6detail17trampoline_kernelINS0_14default_configENS1_25transform_config_selectorIlLb1EEEZNS1_14transform_implILb1ES3_S5_PKlPlNS0_8identityIlEEEE10hipError_tT2_T3_mT4_P12ihipStream_tbEUlT_E_NS1_11comp_targetILNS1_3genE5ELNS1_11target_archE942ELNS1_3gpuE9ELNS1_3repE0EEENS1_30default_config_static_selectorELNS0_4arch9wavefront6targetE0EEEvT1_
		.amdhsa_group_segment_fixed_size 0
		.amdhsa_private_segment_fixed_size 0
		.amdhsa_kernarg_size 40
		.amdhsa_user_sgpr_count 2
		.amdhsa_user_sgpr_dispatch_ptr 0
		.amdhsa_user_sgpr_queue_ptr 0
		.amdhsa_user_sgpr_kernarg_segment_ptr 1
		.amdhsa_user_sgpr_dispatch_id 0
		.amdhsa_user_sgpr_kernarg_preload_length 0
		.amdhsa_user_sgpr_kernarg_preload_offset 0
		.amdhsa_user_sgpr_private_segment_size 0
		.amdhsa_wavefront_size32 1
		.amdhsa_uses_dynamic_stack 0
		.amdhsa_enable_private_segment 0
		.amdhsa_system_sgpr_workgroup_id_x 1
		.amdhsa_system_sgpr_workgroup_id_y 0
		.amdhsa_system_sgpr_workgroup_id_z 0
		.amdhsa_system_sgpr_workgroup_info 0
		.amdhsa_system_vgpr_workitem_id 0
		.amdhsa_next_free_vgpr 1
		.amdhsa_next_free_sgpr 1
		.amdhsa_named_barrier_count 0
		.amdhsa_reserve_vcc 0
		.amdhsa_float_round_mode_32 0
		.amdhsa_float_round_mode_16_64 0
		.amdhsa_float_denorm_mode_32 3
		.amdhsa_float_denorm_mode_16_64 3
		.amdhsa_fp16_overflow 0
		.amdhsa_memory_ordered 1
		.amdhsa_forward_progress 1
		.amdhsa_inst_pref_size 0
		.amdhsa_round_robin_scheduling 0
		.amdhsa_exception_fp_ieee_invalid_op 0
		.amdhsa_exception_fp_denorm_src 0
		.amdhsa_exception_fp_ieee_div_zero 0
		.amdhsa_exception_fp_ieee_overflow 0
		.amdhsa_exception_fp_ieee_underflow 0
		.amdhsa_exception_fp_ieee_inexact 0
		.amdhsa_exception_int_div_zero 0
	.end_amdhsa_kernel
	.section	.text._ZN7rocprim17ROCPRIM_400000_NS6detail17trampoline_kernelINS0_14default_configENS1_25transform_config_selectorIlLb1EEEZNS1_14transform_implILb1ES3_S5_PKlPlNS0_8identityIlEEEE10hipError_tT2_T3_mT4_P12ihipStream_tbEUlT_E_NS1_11comp_targetILNS1_3genE5ELNS1_11target_archE942ELNS1_3gpuE9ELNS1_3repE0EEENS1_30default_config_static_selectorELNS0_4arch9wavefront6targetE0EEEvT1_,"axG",@progbits,_ZN7rocprim17ROCPRIM_400000_NS6detail17trampoline_kernelINS0_14default_configENS1_25transform_config_selectorIlLb1EEEZNS1_14transform_implILb1ES3_S5_PKlPlNS0_8identityIlEEEE10hipError_tT2_T3_mT4_P12ihipStream_tbEUlT_E_NS1_11comp_targetILNS1_3genE5ELNS1_11target_archE942ELNS1_3gpuE9ELNS1_3repE0EEENS1_30default_config_static_selectorELNS0_4arch9wavefront6targetE0EEEvT1_,comdat
.Lfunc_end1090:
	.size	_ZN7rocprim17ROCPRIM_400000_NS6detail17trampoline_kernelINS0_14default_configENS1_25transform_config_selectorIlLb1EEEZNS1_14transform_implILb1ES3_S5_PKlPlNS0_8identityIlEEEE10hipError_tT2_T3_mT4_P12ihipStream_tbEUlT_E_NS1_11comp_targetILNS1_3genE5ELNS1_11target_archE942ELNS1_3gpuE9ELNS1_3repE0EEENS1_30default_config_static_selectorELNS0_4arch9wavefront6targetE0EEEvT1_, .Lfunc_end1090-_ZN7rocprim17ROCPRIM_400000_NS6detail17trampoline_kernelINS0_14default_configENS1_25transform_config_selectorIlLb1EEEZNS1_14transform_implILb1ES3_S5_PKlPlNS0_8identityIlEEEE10hipError_tT2_T3_mT4_P12ihipStream_tbEUlT_E_NS1_11comp_targetILNS1_3genE5ELNS1_11target_archE942ELNS1_3gpuE9ELNS1_3repE0EEENS1_30default_config_static_selectorELNS0_4arch9wavefront6targetE0EEEvT1_
                                        ; -- End function
	.set _ZN7rocprim17ROCPRIM_400000_NS6detail17trampoline_kernelINS0_14default_configENS1_25transform_config_selectorIlLb1EEEZNS1_14transform_implILb1ES3_S5_PKlPlNS0_8identityIlEEEE10hipError_tT2_T3_mT4_P12ihipStream_tbEUlT_E_NS1_11comp_targetILNS1_3genE5ELNS1_11target_archE942ELNS1_3gpuE9ELNS1_3repE0EEENS1_30default_config_static_selectorELNS0_4arch9wavefront6targetE0EEEvT1_.num_vgpr, 0
	.set _ZN7rocprim17ROCPRIM_400000_NS6detail17trampoline_kernelINS0_14default_configENS1_25transform_config_selectorIlLb1EEEZNS1_14transform_implILb1ES3_S5_PKlPlNS0_8identityIlEEEE10hipError_tT2_T3_mT4_P12ihipStream_tbEUlT_E_NS1_11comp_targetILNS1_3genE5ELNS1_11target_archE942ELNS1_3gpuE9ELNS1_3repE0EEENS1_30default_config_static_selectorELNS0_4arch9wavefront6targetE0EEEvT1_.num_agpr, 0
	.set _ZN7rocprim17ROCPRIM_400000_NS6detail17trampoline_kernelINS0_14default_configENS1_25transform_config_selectorIlLb1EEEZNS1_14transform_implILb1ES3_S5_PKlPlNS0_8identityIlEEEE10hipError_tT2_T3_mT4_P12ihipStream_tbEUlT_E_NS1_11comp_targetILNS1_3genE5ELNS1_11target_archE942ELNS1_3gpuE9ELNS1_3repE0EEENS1_30default_config_static_selectorELNS0_4arch9wavefront6targetE0EEEvT1_.numbered_sgpr, 0
	.set _ZN7rocprim17ROCPRIM_400000_NS6detail17trampoline_kernelINS0_14default_configENS1_25transform_config_selectorIlLb1EEEZNS1_14transform_implILb1ES3_S5_PKlPlNS0_8identityIlEEEE10hipError_tT2_T3_mT4_P12ihipStream_tbEUlT_E_NS1_11comp_targetILNS1_3genE5ELNS1_11target_archE942ELNS1_3gpuE9ELNS1_3repE0EEENS1_30default_config_static_selectorELNS0_4arch9wavefront6targetE0EEEvT1_.num_named_barrier, 0
	.set _ZN7rocprim17ROCPRIM_400000_NS6detail17trampoline_kernelINS0_14default_configENS1_25transform_config_selectorIlLb1EEEZNS1_14transform_implILb1ES3_S5_PKlPlNS0_8identityIlEEEE10hipError_tT2_T3_mT4_P12ihipStream_tbEUlT_E_NS1_11comp_targetILNS1_3genE5ELNS1_11target_archE942ELNS1_3gpuE9ELNS1_3repE0EEENS1_30default_config_static_selectorELNS0_4arch9wavefront6targetE0EEEvT1_.private_seg_size, 0
	.set _ZN7rocprim17ROCPRIM_400000_NS6detail17trampoline_kernelINS0_14default_configENS1_25transform_config_selectorIlLb1EEEZNS1_14transform_implILb1ES3_S5_PKlPlNS0_8identityIlEEEE10hipError_tT2_T3_mT4_P12ihipStream_tbEUlT_E_NS1_11comp_targetILNS1_3genE5ELNS1_11target_archE942ELNS1_3gpuE9ELNS1_3repE0EEENS1_30default_config_static_selectorELNS0_4arch9wavefront6targetE0EEEvT1_.uses_vcc, 0
	.set _ZN7rocprim17ROCPRIM_400000_NS6detail17trampoline_kernelINS0_14default_configENS1_25transform_config_selectorIlLb1EEEZNS1_14transform_implILb1ES3_S5_PKlPlNS0_8identityIlEEEE10hipError_tT2_T3_mT4_P12ihipStream_tbEUlT_E_NS1_11comp_targetILNS1_3genE5ELNS1_11target_archE942ELNS1_3gpuE9ELNS1_3repE0EEENS1_30default_config_static_selectorELNS0_4arch9wavefront6targetE0EEEvT1_.uses_flat_scratch, 0
	.set _ZN7rocprim17ROCPRIM_400000_NS6detail17trampoline_kernelINS0_14default_configENS1_25transform_config_selectorIlLb1EEEZNS1_14transform_implILb1ES3_S5_PKlPlNS0_8identityIlEEEE10hipError_tT2_T3_mT4_P12ihipStream_tbEUlT_E_NS1_11comp_targetILNS1_3genE5ELNS1_11target_archE942ELNS1_3gpuE9ELNS1_3repE0EEENS1_30default_config_static_selectorELNS0_4arch9wavefront6targetE0EEEvT1_.has_dyn_sized_stack, 0
	.set _ZN7rocprim17ROCPRIM_400000_NS6detail17trampoline_kernelINS0_14default_configENS1_25transform_config_selectorIlLb1EEEZNS1_14transform_implILb1ES3_S5_PKlPlNS0_8identityIlEEEE10hipError_tT2_T3_mT4_P12ihipStream_tbEUlT_E_NS1_11comp_targetILNS1_3genE5ELNS1_11target_archE942ELNS1_3gpuE9ELNS1_3repE0EEENS1_30default_config_static_selectorELNS0_4arch9wavefront6targetE0EEEvT1_.has_recursion, 0
	.set _ZN7rocprim17ROCPRIM_400000_NS6detail17trampoline_kernelINS0_14default_configENS1_25transform_config_selectorIlLb1EEEZNS1_14transform_implILb1ES3_S5_PKlPlNS0_8identityIlEEEE10hipError_tT2_T3_mT4_P12ihipStream_tbEUlT_E_NS1_11comp_targetILNS1_3genE5ELNS1_11target_archE942ELNS1_3gpuE9ELNS1_3repE0EEENS1_30default_config_static_selectorELNS0_4arch9wavefront6targetE0EEEvT1_.has_indirect_call, 0
	.section	.AMDGPU.csdata,"",@progbits
; Kernel info:
; codeLenInByte = 0
; TotalNumSgprs: 0
; NumVgprs: 0
; ScratchSize: 0
; MemoryBound: 0
; FloatMode: 240
; IeeeMode: 1
; LDSByteSize: 0 bytes/workgroup (compile time only)
; SGPRBlocks: 0
; VGPRBlocks: 0
; NumSGPRsForWavesPerEU: 1
; NumVGPRsForWavesPerEU: 1
; NamedBarCnt: 0
; Occupancy: 16
; WaveLimiterHint : 0
; COMPUTE_PGM_RSRC2:SCRATCH_EN: 0
; COMPUTE_PGM_RSRC2:USER_SGPR: 2
; COMPUTE_PGM_RSRC2:TRAP_HANDLER: 0
; COMPUTE_PGM_RSRC2:TGID_X_EN: 1
; COMPUTE_PGM_RSRC2:TGID_Y_EN: 0
; COMPUTE_PGM_RSRC2:TGID_Z_EN: 0
; COMPUTE_PGM_RSRC2:TIDIG_COMP_CNT: 0
	.section	.text._ZN7rocprim17ROCPRIM_400000_NS6detail17trampoline_kernelINS0_14default_configENS1_25transform_config_selectorIlLb1EEEZNS1_14transform_implILb1ES3_S5_PKlPlNS0_8identityIlEEEE10hipError_tT2_T3_mT4_P12ihipStream_tbEUlT_E_NS1_11comp_targetILNS1_3genE4ELNS1_11target_archE910ELNS1_3gpuE8ELNS1_3repE0EEENS1_30default_config_static_selectorELNS0_4arch9wavefront6targetE0EEEvT1_,"axG",@progbits,_ZN7rocprim17ROCPRIM_400000_NS6detail17trampoline_kernelINS0_14default_configENS1_25transform_config_selectorIlLb1EEEZNS1_14transform_implILb1ES3_S5_PKlPlNS0_8identityIlEEEE10hipError_tT2_T3_mT4_P12ihipStream_tbEUlT_E_NS1_11comp_targetILNS1_3genE4ELNS1_11target_archE910ELNS1_3gpuE8ELNS1_3repE0EEENS1_30default_config_static_selectorELNS0_4arch9wavefront6targetE0EEEvT1_,comdat
	.protected	_ZN7rocprim17ROCPRIM_400000_NS6detail17trampoline_kernelINS0_14default_configENS1_25transform_config_selectorIlLb1EEEZNS1_14transform_implILb1ES3_S5_PKlPlNS0_8identityIlEEEE10hipError_tT2_T3_mT4_P12ihipStream_tbEUlT_E_NS1_11comp_targetILNS1_3genE4ELNS1_11target_archE910ELNS1_3gpuE8ELNS1_3repE0EEENS1_30default_config_static_selectorELNS0_4arch9wavefront6targetE0EEEvT1_ ; -- Begin function _ZN7rocprim17ROCPRIM_400000_NS6detail17trampoline_kernelINS0_14default_configENS1_25transform_config_selectorIlLb1EEEZNS1_14transform_implILb1ES3_S5_PKlPlNS0_8identityIlEEEE10hipError_tT2_T3_mT4_P12ihipStream_tbEUlT_E_NS1_11comp_targetILNS1_3genE4ELNS1_11target_archE910ELNS1_3gpuE8ELNS1_3repE0EEENS1_30default_config_static_selectorELNS0_4arch9wavefront6targetE0EEEvT1_
	.globl	_ZN7rocprim17ROCPRIM_400000_NS6detail17trampoline_kernelINS0_14default_configENS1_25transform_config_selectorIlLb1EEEZNS1_14transform_implILb1ES3_S5_PKlPlNS0_8identityIlEEEE10hipError_tT2_T3_mT4_P12ihipStream_tbEUlT_E_NS1_11comp_targetILNS1_3genE4ELNS1_11target_archE910ELNS1_3gpuE8ELNS1_3repE0EEENS1_30default_config_static_selectorELNS0_4arch9wavefront6targetE0EEEvT1_
	.p2align	8
	.type	_ZN7rocprim17ROCPRIM_400000_NS6detail17trampoline_kernelINS0_14default_configENS1_25transform_config_selectorIlLb1EEEZNS1_14transform_implILb1ES3_S5_PKlPlNS0_8identityIlEEEE10hipError_tT2_T3_mT4_P12ihipStream_tbEUlT_E_NS1_11comp_targetILNS1_3genE4ELNS1_11target_archE910ELNS1_3gpuE8ELNS1_3repE0EEENS1_30default_config_static_selectorELNS0_4arch9wavefront6targetE0EEEvT1_,@function
_ZN7rocprim17ROCPRIM_400000_NS6detail17trampoline_kernelINS0_14default_configENS1_25transform_config_selectorIlLb1EEEZNS1_14transform_implILb1ES3_S5_PKlPlNS0_8identityIlEEEE10hipError_tT2_T3_mT4_P12ihipStream_tbEUlT_E_NS1_11comp_targetILNS1_3genE4ELNS1_11target_archE910ELNS1_3gpuE8ELNS1_3repE0EEENS1_30default_config_static_selectorELNS0_4arch9wavefront6targetE0EEEvT1_: ; @_ZN7rocprim17ROCPRIM_400000_NS6detail17trampoline_kernelINS0_14default_configENS1_25transform_config_selectorIlLb1EEEZNS1_14transform_implILb1ES3_S5_PKlPlNS0_8identityIlEEEE10hipError_tT2_T3_mT4_P12ihipStream_tbEUlT_E_NS1_11comp_targetILNS1_3genE4ELNS1_11target_archE910ELNS1_3gpuE8ELNS1_3repE0EEENS1_30default_config_static_selectorELNS0_4arch9wavefront6targetE0EEEvT1_
; %bb.0:
	.section	.rodata,"a",@progbits
	.p2align	6, 0x0
	.amdhsa_kernel _ZN7rocprim17ROCPRIM_400000_NS6detail17trampoline_kernelINS0_14default_configENS1_25transform_config_selectorIlLb1EEEZNS1_14transform_implILb1ES3_S5_PKlPlNS0_8identityIlEEEE10hipError_tT2_T3_mT4_P12ihipStream_tbEUlT_E_NS1_11comp_targetILNS1_3genE4ELNS1_11target_archE910ELNS1_3gpuE8ELNS1_3repE0EEENS1_30default_config_static_selectorELNS0_4arch9wavefront6targetE0EEEvT1_
		.amdhsa_group_segment_fixed_size 0
		.amdhsa_private_segment_fixed_size 0
		.amdhsa_kernarg_size 40
		.amdhsa_user_sgpr_count 2
		.amdhsa_user_sgpr_dispatch_ptr 0
		.amdhsa_user_sgpr_queue_ptr 0
		.amdhsa_user_sgpr_kernarg_segment_ptr 1
		.amdhsa_user_sgpr_dispatch_id 0
		.amdhsa_user_sgpr_kernarg_preload_length 0
		.amdhsa_user_sgpr_kernarg_preload_offset 0
		.amdhsa_user_sgpr_private_segment_size 0
		.amdhsa_wavefront_size32 1
		.amdhsa_uses_dynamic_stack 0
		.amdhsa_enable_private_segment 0
		.amdhsa_system_sgpr_workgroup_id_x 1
		.amdhsa_system_sgpr_workgroup_id_y 0
		.amdhsa_system_sgpr_workgroup_id_z 0
		.amdhsa_system_sgpr_workgroup_info 0
		.amdhsa_system_vgpr_workitem_id 0
		.amdhsa_next_free_vgpr 1
		.amdhsa_next_free_sgpr 1
		.amdhsa_named_barrier_count 0
		.amdhsa_reserve_vcc 0
		.amdhsa_float_round_mode_32 0
		.amdhsa_float_round_mode_16_64 0
		.amdhsa_float_denorm_mode_32 3
		.amdhsa_float_denorm_mode_16_64 3
		.amdhsa_fp16_overflow 0
		.amdhsa_memory_ordered 1
		.amdhsa_forward_progress 1
		.amdhsa_inst_pref_size 0
		.amdhsa_round_robin_scheduling 0
		.amdhsa_exception_fp_ieee_invalid_op 0
		.amdhsa_exception_fp_denorm_src 0
		.amdhsa_exception_fp_ieee_div_zero 0
		.amdhsa_exception_fp_ieee_overflow 0
		.amdhsa_exception_fp_ieee_underflow 0
		.amdhsa_exception_fp_ieee_inexact 0
		.amdhsa_exception_int_div_zero 0
	.end_amdhsa_kernel
	.section	.text._ZN7rocprim17ROCPRIM_400000_NS6detail17trampoline_kernelINS0_14default_configENS1_25transform_config_selectorIlLb1EEEZNS1_14transform_implILb1ES3_S5_PKlPlNS0_8identityIlEEEE10hipError_tT2_T3_mT4_P12ihipStream_tbEUlT_E_NS1_11comp_targetILNS1_3genE4ELNS1_11target_archE910ELNS1_3gpuE8ELNS1_3repE0EEENS1_30default_config_static_selectorELNS0_4arch9wavefront6targetE0EEEvT1_,"axG",@progbits,_ZN7rocprim17ROCPRIM_400000_NS6detail17trampoline_kernelINS0_14default_configENS1_25transform_config_selectorIlLb1EEEZNS1_14transform_implILb1ES3_S5_PKlPlNS0_8identityIlEEEE10hipError_tT2_T3_mT4_P12ihipStream_tbEUlT_E_NS1_11comp_targetILNS1_3genE4ELNS1_11target_archE910ELNS1_3gpuE8ELNS1_3repE0EEENS1_30default_config_static_selectorELNS0_4arch9wavefront6targetE0EEEvT1_,comdat
.Lfunc_end1091:
	.size	_ZN7rocprim17ROCPRIM_400000_NS6detail17trampoline_kernelINS0_14default_configENS1_25transform_config_selectorIlLb1EEEZNS1_14transform_implILb1ES3_S5_PKlPlNS0_8identityIlEEEE10hipError_tT2_T3_mT4_P12ihipStream_tbEUlT_E_NS1_11comp_targetILNS1_3genE4ELNS1_11target_archE910ELNS1_3gpuE8ELNS1_3repE0EEENS1_30default_config_static_selectorELNS0_4arch9wavefront6targetE0EEEvT1_, .Lfunc_end1091-_ZN7rocprim17ROCPRIM_400000_NS6detail17trampoline_kernelINS0_14default_configENS1_25transform_config_selectorIlLb1EEEZNS1_14transform_implILb1ES3_S5_PKlPlNS0_8identityIlEEEE10hipError_tT2_T3_mT4_P12ihipStream_tbEUlT_E_NS1_11comp_targetILNS1_3genE4ELNS1_11target_archE910ELNS1_3gpuE8ELNS1_3repE0EEENS1_30default_config_static_selectorELNS0_4arch9wavefront6targetE0EEEvT1_
                                        ; -- End function
	.set _ZN7rocprim17ROCPRIM_400000_NS6detail17trampoline_kernelINS0_14default_configENS1_25transform_config_selectorIlLb1EEEZNS1_14transform_implILb1ES3_S5_PKlPlNS0_8identityIlEEEE10hipError_tT2_T3_mT4_P12ihipStream_tbEUlT_E_NS1_11comp_targetILNS1_3genE4ELNS1_11target_archE910ELNS1_3gpuE8ELNS1_3repE0EEENS1_30default_config_static_selectorELNS0_4arch9wavefront6targetE0EEEvT1_.num_vgpr, 0
	.set _ZN7rocprim17ROCPRIM_400000_NS6detail17trampoline_kernelINS0_14default_configENS1_25transform_config_selectorIlLb1EEEZNS1_14transform_implILb1ES3_S5_PKlPlNS0_8identityIlEEEE10hipError_tT2_T3_mT4_P12ihipStream_tbEUlT_E_NS1_11comp_targetILNS1_3genE4ELNS1_11target_archE910ELNS1_3gpuE8ELNS1_3repE0EEENS1_30default_config_static_selectorELNS0_4arch9wavefront6targetE0EEEvT1_.num_agpr, 0
	.set _ZN7rocprim17ROCPRIM_400000_NS6detail17trampoline_kernelINS0_14default_configENS1_25transform_config_selectorIlLb1EEEZNS1_14transform_implILb1ES3_S5_PKlPlNS0_8identityIlEEEE10hipError_tT2_T3_mT4_P12ihipStream_tbEUlT_E_NS1_11comp_targetILNS1_3genE4ELNS1_11target_archE910ELNS1_3gpuE8ELNS1_3repE0EEENS1_30default_config_static_selectorELNS0_4arch9wavefront6targetE0EEEvT1_.numbered_sgpr, 0
	.set _ZN7rocprim17ROCPRIM_400000_NS6detail17trampoline_kernelINS0_14default_configENS1_25transform_config_selectorIlLb1EEEZNS1_14transform_implILb1ES3_S5_PKlPlNS0_8identityIlEEEE10hipError_tT2_T3_mT4_P12ihipStream_tbEUlT_E_NS1_11comp_targetILNS1_3genE4ELNS1_11target_archE910ELNS1_3gpuE8ELNS1_3repE0EEENS1_30default_config_static_selectorELNS0_4arch9wavefront6targetE0EEEvT1_.num_named_barrier, 0
	.set _ZN7rocprim17ROCPRIM_400000_NS6detail17trampoline_kernelINS0_14default_configENS1_25transform_config_selectorIlLb1EEEZNS1_14transform_implILb1ES3_S5_PKlPlNS0_8identityIlEEEE10hipError_tT2_T3_mT4_P12ihipStream_tbEUlT_E_NS1_11comp_targetILNS1_3genE4ELNS1_11target_archE910ELNS1_3gpuE8ELNS1_3repE0EEENS1_30default_config_static_selectorELNS0_4arch9wavefront6targetE0EEEvT1_.private_seg_size, 0
	.set _ZN7rocprim17ROCPRIM_400000_NS6detail17trampoline_kernelINS0_14default_configENS1_25transform_config_selectorIlLb1EEEZNS1_14transform_implILb1ES3_S5_PKlPlNS0_8identityIlEEEE10hipError_tT2_T3_mT4_P12ihipStream_tbEUlT_E_NS1_11comp_targetILNS1_3genE4ELNS1_11target_archE910ELNS1_3gpuE8ELNS1_3repE0EEENS1_30default_config_static_selectorELNS0_4arch9wavefront6targetE0EEEvT1_.uses_vcc, 0
	.set _ZN7rocprim17ROCPRIM_400000_NS6detail17trampoline_kernelINS0_14default_configENS1_25transform_config_selectorIlLb1EEEZNS1_14transform_implILb1ES3_S5_PKlPlNS0_8identityIlEEEE10hipError_tT2_T3_mT4_P12ihipStream_tbEUlT_E_NS1_11comp_targetILNS1_3genE4ELNS1_11target_archE910ELNS1_3gpuE8ELNS1_3repE0EEENS1_30default_config_static_selectorELNS0_4arch9wavefront6targetE0EEEvT1_.uses_flat_scratch, 0
	.set _ZN7rocprim17ROCPRIM_400000_NS6detail17trampoline_kernelINS0_14default_configENS1_25transform_config_selectorIlLb1EEEZNS1_14transform_implILb1ES3_S5_PKlPlNS0_8identityIlEEEE10hipError_tT2_T3_mT4_P12ihipStream_tbEUlT_E_NS1_11comp_targetILNS1_3genE4ELNS1_11target_archE910ELNS1_3gpuE8ELNS1_3repE0EEENS1_30default_config_static_selectorELNS0_4arch9wavefront6targetE0EEEvT1_.has_dyn_sized_stack, 0
	.set _ZN7rocprim17ROCPRIM_400000_NS6detail17trampoline_kernelINS0_14default_configENS1_25transform_config_selectorIlLb1EEEZNS1_14transform_implILb1ES3_S5_PKlPlNS0_8identityIlEEEE10hipError_tT2_T3_mT4_P12ihipStream_tbEUlT_E_NS1_11comp_targetILNS1_3genE4ELNS1_11target_archE910ELNS1_3gpuE8ELNS1_3repE0EEENS1_30default_config_static_selectorELNS0_4arch9wavefront6targetE0EEEvT1_.has_recursion, 0
	.set _ZN7rocprim17ROCPRIM_400000_NS6detail17trampoline_kernelINS0_14default_configENS1_25transform_config_selectorIlLb1EEEZNS1_14transform_implILb1ES3_S5_PKlPlNS0_8identityIlEEEE10hipError_tT2_T3_mT4_P12ihipStream_tbEUlT_E_NS1_11comp_targetILNS1_3genE4ELNS1_11target_archE910ELNS1_3gpuE8ELNS1_3repE0EEENS1_30default_config_static_selectorELNS0_4arch9wavefront6targetE0EEEvT1_.has_indirect_call, 0
	.section	.AMDGPU.csdata,"",@progbits
; Kernel info:
; codeLenInByte = 0
; TotalNumSgprs: 0
; NumVgprs: 0
; ScratchSize: 0
; MemoryBound: 0
; FloatMode: 240
; IeeeMode: 1
; LDSByteSize: 0 bytes/workgroup (compile time only)
; SGPRBlocks: 0
; VGPRBlocks: 0
; NumSGPRsForWavesPerEU: 1
; NumVGPRsForWavesPerEU: 1
; NamedBarCnt: 0
; Occupancy: 16
; WaveLimiterHint : 0
; COMPUTE_PGM_RSRC2:SCRATCH_EN: 0
; COMPUTE_PGM_RSRC2:USER_SGPR: 2
; COMPUTE_PGM_RSRC2:TRAP_HANDLER: 0
; COMPUTE_PGM_RSRC2:TGID_X_EN: 1
; COMPUTE_PGM_RSRC2:TGID_Y_EN: 0
; COMPUTE_PGM_RSRC2:TGID_Z_EN: 0
; COMPUTE_PGM_RSRC2:TIDIG_COMP_CNT: 0
	.section	.text._ZN7rocprim17ROCPRIM_400000_NS6detail17trampoline_kernelINS0_14default_configENS1_25transform_config_selectorIlLb1EEEZNS1_14transform_implILb1ES3_S5_PKlPlNS0_8identityIlEEEE10hipError_tT2_T3_mT4_P12ihipStream_tbEUlT_E_NS1_11comp_targetILNS1_3genE3ELNS1_11target_archE908ELNS1_3gpuE7ELNS1_3repE0EEENS1_30default_config_static_selectorELNS0_4arch9wavefront6targetE0EEEvT1_,"axG",@progbits,_ZN7rocprim17ROCPRIM_400000_NS6detail17trampoline_kernelINS0_14default_configENS1_25transform_config_selectorIlLb1EEEZNS1_14transform_implILb1ES3_S5_PKlPlNS0_8identityIlEEEE10hipError_tT2_T3_mT4_P12ihipStream_tbEUlT_E_NS1_11comp_targetILNS1_3genE3ELNS1_11target_archE908ELNS1_3gpuE7ELNS1_3repE0EEENS1_30default_config_static_selectorELNS0_4arch9wavefront6targetE0EEEvT1_,comdat
	.protected	_ZN7rocprim17ROCPRIM_400000_NS6detail17trampoline_kernelINS0_14default_configENS1_25transform_config_selectorIlLb1EEEZNS1_14transform_implILb1ES3_S5_PKlPlNS0_8identityIlEEEE10hipError_tT2_T3_mT4_P12ihipStream_tbEUlT_E_NS1_11comp_targetILNS1_3genE3ELNS1_11target_archE908ELNS1_3gpuE7ELNS1_3repE0EEENS1_30default_config_static_selectorELNS0_4arch9wavefront6targetE0EEEvT1_ ; -- Begin function _ZN7rocprim17ROCPRIM_400000_NS6detail17trampoline_kernelINS0_14default_configENS1_25transform_config_selectorIlLb1EEEZNS1_14transform_implILb1ES3_S5_PKlPlNS0_8identityIlEEEE10hipError_tT2_T3_mT4_P12ihipStream_tbEUlT_E_NS1_11comp_targetILNS1_3genE3ELNS1_11target_archE908ELNS1_3gpuE7ELNS1_3repE0EEENS1_30default_config_static_selectorELNS0_4arch9wavefront6targetE0EEEvT1_
	.globl	_ZN7rocprim17ROCPRIM_400000_NS6detail17trampoline_kernelINS0_14default_configENS1_25transform_config_selectorIlLb1EEEZNS1_14transform_implILb1ES3_S5_PKlPlNS0_8identityIlEEEE10hipError_tT2_T3_mT4_P12ihipStream_tbEUlT_E_NS1_11comp_targetILNS1_3genE3ELNS1_11target_archE908ELNS1_3gpuE7ELNS1_3repE0EEENS1_30default_config_static_selectorELNS0_4arch9wavefront6targetE0EEEvT1_
	.p2align	8
	.type	_ZN7rocprim17ROCPRIM_400000_NS6detail17trampoline_kernelINS0_14default_configENS1_25transform_config_selectorIlLb1EEEZNS1_14transform_implILb1ES3_S5_PKlPlNS0_8identityIlEEEE10hipError_tT2_T3_mT4_P12ihipStream_tbEUlT_E_NS1_11comp_targetILNS1_3genE3ELNS1_11target_archE908ELNS1_3gpuE7ELNS1_3repE0EEENS1_30default_config_static_selectorELNS0_4arch9wavefront6targetE0EEEvT1_,@function
_ZN7rocprim17ROCPRIM_400000_NS6detail17trampoline_kernelINS0_14default_configENS1_25transform_config_selectorIlLb1EEEZNS1_14transform_implILb1ES3_S5_PKlPlNS0_8identityIlEEEE10hipError_tT2_T3_mT4_P12ihipStream_tbEUlT_E_NS1_11comp_targetILNS1_3genE3ELNS1_11target_archE908ELNS1_3gpuE7ELNS1_3repE0EEENS1_30default_config_static_selectorELNS0_4arch9wavefront6targetE0EEEvT1_: ; @_ZN7rocprim17ROCPRIM_400000_NS6detail17trampoline_kernelINS0_14default_configENS1_25transform_config_selectorIlLb1EEEZNS1_14transform_implILb1ES3_S5_PKlPlNS0_8identityIlEEEE10hipError_tT2_T3_mT4_P12ihipStream_tbEUlT_E_NS1_11comp_targetILNS1_3genE3ELNS1_11target_archE908ELNS1_3gpuE7ELNS1_3repE0EEENS1_30default_config_static_selectorELNS0_4arch9wavefront6targetE0EEEvT1_
; %bb.0:
	.section	.rodata,"a",@progbits
	.p2align	6, 0x0
	.amdhsa_kernel _ZN7rocprim17ROCPRIM_400000_NS6detail17trampoline_kernelINS0_14default_configENS1_25transform_config_selectorIlLb1EEEZNS1_14transform_implILb1ES3_S5_PKlPlNS0_8identityIlEEEE10hipError_tT2_T3_mT4_P12ihipStream_tbEUlT_E_NS1_11comp_targetILNS1_3genE3ELNS1_11target_archE908ELNS1_3gpuE7ELNS1_3repE0EEENS1_30default_config_static_selectorELNS0_4arch9wavefront6targetE0EEEvT1_
		.amdhsa_group_segment_fixed_size 0
		.amdhsa_private_segment_fixed_size 0
		.amdhsa_kernarg_size 40
		.amdhsa_user_sgpr_count 2
		.amdhsa_user_sgpr_dispatch_ptr 0
		.amdhsa_user_sgpr_queue_ptr 0
		.amdhsa_user_sgpr_kernarg_segment_ptr 1
		.amdhsa_user_sgpr_dispatch_id 0
		.amdhsa_user_sgpr_kernarg_preload_length 0
		.amdhsa_user_sgpr_kernarg_preload_offset 0
		.amdhsa_user_sgpr_private_segment_size 0
		.amdhsa_wavefront_size32 1
		.amdhsa_uses_dynamic_stack 0
		.amdhsa_enable_private_segment 0
		.amdhsa_system_sgpr_workgroup_id_x 1
		.amdhsa_system_sgpr_workgroup_id_y 0
		.amdhsa_system_sgpr_workgroup_id_z 0
		.amdhsa_system_sgpr_workgroup_info 0
		.amdhsa_system_vgpr_workitem_id 0
		.amdhsa_next_free_vgpr 1
		.amdhsa_next_free_sgpr 1
		.amdhsa_named_barrier_count 0
		.amdhsa_reserve_vcc 0
		.amdhsa_float_round_mode_32 0
		.amdhsa_float_round_mode_16_64 0
		.amdhsa_float_denorm_mode_32 3
		.amdhsa_float_denorm_mode_16_64 3
		.amdhsa_fp16_overflow 0
		.amdhsa_memory_ordered 1
		.amdhsa_forward_progress 1
		.amdhsa_inst_pref_size 0
		.amdhsa_round_robin_scheduling 0
		.amdhsa_exception_fp_ieee_invalid_op 0
		.amdhsa_exception_fp_denorm_src 0
		.amdhsa_exception_fp_ieee_div_zero 0
		.amdhsa_exception_fp_ieee_overflow 0
		.amdhsa_exception_fp_ieee_underflow 0
		.amdhsa_exception_fp_ieee_inexact 0
		.amdhsa_exception_int_div_zero 0
	.end_amdhsa_kernel
	.section	.text._ZN7rocprim17ROCPRIM_400000_NS6detail17trampoline_kernelINS0_14default_configENS1_25transform_config_selectorIlLb1EEEZNS1_14transform_implILb1ES3_S5_PKlPlNS0_8identityIlEEEE10hipError_tT2_T3_mT4_P12ihipStream_tbEUlT_E_NS1_11comp_targetILNS1_3genE3ELNS1_11target_archE908ELNS1_3gpuE7ELNS1_3repE0EEENS1_30default_config_static_selectorELNS0_4arch9wavefront6targetE0EEEvT1_,"axG",@progbits,_ZN7rocprim17ROCPRIM_400000_NS6detail17trampoline_kernelINS0_14default_configENS1_25transform_config_selectorIlLb1EEEZNS1_14transform_implILb1ES3_S5_PKlPlNS0_8identityIlEEEE10hipError_tT2_T3_mT4_P12ihipStream_tbEUlT_E_NS1_11comp_targetILNS1_3genE3ELNS1_11target_archE908ELNS1_3gpuE7ELNS1_3repE0EEENS1_30default_config_static_selectorELNS0_4arch9wavefront6targetE0EEEvT1_,comdat
.Lfunc_end1092:
	.size	_ZN7rocprim17ROCPRIM_400000_NS6detail17trampoline_kernelINS0_14default_configENS1_25transform_config_selectorIlLb1EEEZNS1_14transform_implILb1ES3_S5_PKlPlNS0_8identityIlEEEE10hipError_tT2_T3_mT4_P12ihipStream_tbEUlT_E_NS1_11comp_targetILNS1_3genE3ELNS1_11target_archE908ELNS1_3gpuE7ELNS1_3repE0EEENS1_30default_config_static_selectorELNS0_4arch9wavefront6targetE0EEEvT1_, .Lfunc_end1092-_ZN7rocprim17ROCPRIM_400000_NS6detail17trampoline_kernelINS0_14default_configENS1_25transform_config_selectorIlLb1EEEZNS1_14transform_implILb1ES3_S5_PKlPlNS0_8identityIlEEEE10hipError_tT2_T3_mT4_P12ihipStream_tbEUlT_E_NS1_11comp_targetILNS1_3genE3ELNS1_11target_archE908ELNS1_3gpuE7ELNS1_3repE0EEENS1_30default_config_static_selectorELNS0_4arch9wavefront6targetE0EEEvT1_
                                        ; -- End function
	.set _ZN7rocprim17ROCPRIM_400000_NS6detail17trampoline_kernelINS0_14default_configENS1_25transform_config_selectorIlLb1EEEZNS1_14transform_implILb1ES3_S5_PKlPlNS0_8identityIlEEEE10hipError_tT2_T3_mT4_P12ihipStream_tbEUlT_E_NS1_11comp_targetILNS1_3genE3ELNS1_11target_archE908ELNS1_3gpuE7ELNS1_3repE0EEENS1_30default_config_static_selectorELNS0_4arch9wavefront6targetE0EEEvT1_.num_vgpr, 0
	.set _ZN7rocprim17ROCPRIM_400000_NS6detail17trampoline_kernelINS0_14default_configENS1_25transform_config_selectorIlLb1EEEZNS1_14transform_implILb1ES3_S5_PKlPlNS0_8identityIlEEEE10hipError_tT2_T3_mT4_P12ihipStream_tbEUlT_E_NS1_11comp_targetILNS1_3genE3ELNS1_11target_archE908ELNS1_3gpuE7ELNS1_3repE0EEENS1_30default_config_static_selectorELNS0_4arch9wavefront6targetE0EEEvT1_.num_agpr, 0
	.set _ZN7rocprim17ROCPRIM_400000_NS6detail17trampoline_kernelINS0_14default_configENS1_25transform_config_selectorIlLb1EEEZNS1_14transform_implILb1ES3_S5_PKlPlNS0_8identityIlEEEE10hipError_tT2_T3_mT4_P12ihipStream_tbEUlT_E_NS1_11comp_targetILNS1_3genE3ELNS1_11target_archE908ELNS1_3gpuE7ELNS1_3repE0EEENS1_30default_config_static_selectorELNS0_4arch9wavefront6targetE0EEEvT1_.numbered_sgpr, 0
	.set _ZN7rocprim17ROCPRIM_400000_NS6detail17trampoline_kernelINS0_14default_configENS1_25transform_config_selectorIlLb1EEEZNS1_14transform_implILb1ES3_S5_PKlPlNS0_8identityIlEEEE10hipError_tT2_T3_mT4_P12ihipStream_tbEUlT_E_NS1_11comp_targetILNS1_3genE3ELNS1_11target_archE908ELNS1_3gpuE7ELNS1_3repE0EEENS1_30default_config_static_selectorELNS0_4arch9wavefront6targetE0EEEvT1_.num_named_barrier, 0
	.set _ZN7rocprim17ROCPRIM_400000_NS6detail17trampoline_kernelINS0_14default_configENS1_25transform_config_selectorIlLb1EEEZNS1_14transform_implILb1ES3_S5_PKlPlNS0_8identityIlEEEE10hipError_tT2_T3_mT4_P12ihipStream_tbEUlT_E_NS1_11comp_targetILNS1_3genE3ELNS1_11target_archE908ELNS1_3gpuE7ELNS1_3repE0EEENS1_30default_config_static_selectorELNS0_4arch9wavefront6targetE0EEEvT1_.private_seg_size, 0
	.set _ZN7rocprim17ROCPRIM_400000_NS6detail17trampoline_kernelINS0_14default_configENS1_25transform_config_selectorIlLb1EEEZNS1_14transform_implILb1ES3_S5_PKlPlNS0_8identityIlEEEE10hipError_tT2_T3_mT4_P12ihipStream_tbEUlT_E_NS1_11comp_targetILNS1_3genE3ELNS1_11target_archE908ELNS1_3gpuE7ELNS1_3repE0EEENS1_30default_config_static_selectorELNS0_4arch9wavefront6targetE0EEEvT1_.uses_vcc, 0
	.set _ZN7rocprim17ROCPRIM_400000_NS6detail17trampoline_kernelINS0_14default_configENS1_25transform_config_selectorIlLb1EEEZNS1_14transform_implILb1ES3_S5_PKlPlNS0_8identityIlEEEE10hipError_tT2_T3_mT4_P12ihipStream_tbEUlT_E_NS1_11comp_targetILNS1_3genE3ELNS1_11target_archE908ELNS1_3gpuE7ELNS1_3repE0EEENS1_30default_config_static_selectorELNS0_4arch9wavefront6targetE0EEEvT1_.uses_flat_scratch, 0
	.set _ZN7rocprim17ROCPRIM_400000_NS6detail17trampoline_kernelINS0_14default_configENS1_25transform_config_selectorIlLb1EEEZNS1_14transform_implILb1ES3_S5_PKlPlNS0_8identityIlEEEE10hipError_tT2_T3_mT4_P12ihipStream_tbEUlT_E_NS1_11comp_targetILNS1_3genE3ELNS1_11target_archE908ELNS1_3gpuE7ELNS1_3repE0EEENS1_30default_config_static_selectorELNS0_4arch9wavefront6targetE0EEEvT1_.has_dyn_sized_stack, 0
	.set _ZN7rocprim17ROCPRIM_400000_NS6detail17trampoline_kernelINS0_14default_configENS1_25transform_config_selectorIlLb1EEEZNS1_14transform_implILb1ES3_S5_PKlPlNS0_8identityIlEEEE10hipError_tT2_T3_mT4_P12ihipStream_tbEUlT_E_NS1_11comp_targetILNS1_3genE3ELNS1_11target_archE908ELNS1_3gpuE7ELNS1_3repE0EEENS1_30default_config_static_selectorELNS0_4arch9wavefront6targetE0EEEvT1_.has_recursion, 0
	.set _ZN7rocprim17ROCPRIM_400000_NS6detail17trampoline_kernelINS0_14default_configENS1_25transform_config_selectorIlLb1EEEZNS1_14transform_implILb1ES3_S5_PKlPlNS0_8identityIlEEEE10hipError_tT2_T3_mT4_P12ihipStream_tbEUlT_E_NS1_11comp_targetILNS1_3genE3ELNS1_11target_archE908ELNS1_3gpuE7ELNS1_3repE0EEENS1_30default_config_static_selectorELNS0_4arch9wavefront6targetE0EEEvT1_.has_indirect_call, 0
	.section	.AMDGPU.csdata,"",@progbits
; Kernel info:
; codeLenInByte = 0
; TotalNumSgprs: 0
; NumVgprs: 0
; ScratchSize: 0
; MemoryBound: 0
; FloatMode: 240
; IeeeMode: 1
; LDSByteSize: 0 bytes/workgroup (compile time only)
; SGPRBlocks: 0
; VGPRBlocks: 0
; NumSGPRsForWavesPerEU: 1
; NumVGPRsForWavesPerEU: 1
; NamedBarCnt: 0
; Occupancy: 16
; WaveLimiterHint : 0
; COMPUTE_PGM_RSRC2:SCRATCH_EN: 0
; COMPUTE_PGM_RSRC2:USER_SGPR: 2
; COMPUTE_PGM_RSRC2:TRAP_HANDLER: 0
; COMPUTE_PGM_RSRC2:TGID_X_EN: 1
; COMPUTE_PGM_RSRC2:TGID_Y_EN: 0
; COMPUTE_PGM_RSRC2:TGID_Z_EN: 0
; COMPUTE_PGM_RSRC2:TIDIG_COMP_CNT: 0
	.section	.text._ZN7rocprim17ROCPRIM_400000_NS6detail17trampoline_kernelINS0_14default_configENS1_25transform_config_selectorIlLb1EEEZNS1_14transform_implILb1ES3_S5_PKlPlNS0_8identityIlEEEE10hipError_tT2_T3_mT4_P12ihipStream_tbEUlT_E_NS1_11comp_targetILNS1_3genE2ELNS1_11target_archE906ELNS1_3gpuE6ELNS1_3repE0EEENS1_30default_config_static_selectorELNS0_4arch9wavefront6targetE0EEEvT1_,"axG",@progbits,_ZN7rocprim17ROCPRIM_400000_NS6detail17trampoline_kernelINS0_14default_configENS1_25transform_config_selectorIlLb1EEEZNS1_14transform_implILb1ES3_S5_PKlPlNS0_8identityIlEEEE10hipError_tT2_T3_mT4_P12ihipStream_tbEUlT_E_NS1_11comp_targetILNS1_3genE2ELNS1_11target_archE906ELNS1_3gpuE6ELNS1_3repE0EEENS1_30default_config_static_selectorELNS0_4arch9wavefront6targetE0EEEvT1_,comdat
	.protected	_ZN7rocprim17ROCPRIM_400000_NS6detail17trampoline_kernelINS0_14default_configENS1_25transform_config_selectorIlLb1EEEZNS1_14transform_implILb1ES3_S5_PKlPlNS0_8identityIlEEEE10hipError_tT2_T3_mT4_P12ihipStream_tbEUlT_E_NS1_11comp_targetILNS1_3genE2ELNS1_11target_archE906ELNS1_3gpuE6ELNS1_3repE0EEENS1_30default_config_static_selectorELNS0_4arch9wavefront6targetE0EEEvT1_ ; -- Begin function _ZN7rocprim17ROCPRIM_400000_NS6detail17trampoline_kernelINS0_14default_configENS1_25transform_config_selectorIlLb1EEEZNS1_14transform_implILb1ES3_S5_PKlPlNS0_8identityIlEEEE10hipError_tT2_T3_mT4_P12ihipStream_tbEUlT_E_NS1_11comp_targetILNS1_3genE2ELNS1_11target_archE906ELNS1_3gpuE6ELNS1_3repE0EEENS1_30default_config_static_selectorELNS0_4arch9wavefront6targetE0EEEvT1_
	.globl	_ZN7rocprim17ROCPRIM_400000_NS6detail17trampoline_kernelINS0_14default_configENS1_25transform_config_selectorIlLb1EEEZNS1_14transform_implILb1ES3_S5_PKlPlNS0_8identityIlEEEE10hipError_tT2_T3_mT4_P12ihipStream_tbEUlT_E_NS1_11comp_targetILNS1_3genE2ELNS1_11target_archE906ELNS1_3gpuE6ELNS1_3repE0EEENS1_30default_config_static_selectorELNS0_4arch9wavefront6targetE0EEEvT1_
	.p2align	8
	.type	_ZN7rocprim17ROCPRIM_400000_NS6detail17trampoline_kernelINS0_14default_configENS1_25transform_config_selectorIlLb1EEEZNS1_14transform_implILb1ES3_S5_PKlPlNS0_8identityIlEEEE10hipError_tT2_T3_mT4_P12ihipStream_tbEUlT_E_NS1_11comp_targetILNS1_3genE2ELNS1_11target_archE906ELNS1_3gpuE6ELNS1_3repE0EEENS1_30default_config_static_selectorELNS0_4arch9wavefront6targetE0EEEvT1_,@function
_ZN7rocprim17ROCPRIM_400000_NS6detail17trampoline_kernelINS0_14default_configENS1_25transform_config_selectorIlLb1EEEZNS1_14transform_implILb1ES3_S5_PKlPlNS0_8identityIlEEEE10hipError_tT2_T3_mT4_P12ihipStream_tbEUlT_E_NS1_11comp_targetILNS1_3genE2ELNS1_11target_archE906ELNS1_3gpuE6ELNS1_3repE0EEENS1_30default_config_static_selectorELNS0_4arch9wavefront6targetE0EEEvT1_: ; @_ZN7rocprim17ROCPRIM_400000_NS6detail17trampoline_kernelINS0_14default_configENS1_25transform_config_selectorIlLb1EEEZNS1_14transform_implILb1ES3_S5_PKlPlNS0_8identityIlEEEE10hipError_tT2_T3_mT4_P12ihipStream_tbEUlT_E_NS1_11comp_targetILNS1_3genE2ELNS1_11target_archE906ELNS1_3gpuE6ELNS1_3repE0EEENS1_30default_config_static_selectorELNS0_4arch9wavefront6targetE0EEEvT1_
; %bb.0:
	.section	.rodata,"a",@progbits
	.p2align	6, 0x0
	.amdhsa_kernel _ZN7rocprim17ROCPRIM_400000_NS6detail17trampoline_kernelINS0_14default_configENS1_25transform_config_selectorIlLb1EEEZNS1_14transform_implILb1ES3_S5_PKlPlNS0_8identityIlEEEE10hipError_tT2_T3_mT4_P12ihipStream_tbEUlT_E_NS1_11comp_targetILNS1_3genE2ELNS1_11target_archE906ELNS1_3gpuE6ELNS1_3repE0EEENS1_30default_config_static_selectorELNS0_4arch9wavefront6targetE0EEEvT1_
		.amdhsa_group_segment_fixed_size 0
		.amdhsa_private_segment_fixed_size 0
		.amdhsa_kernarg_size 40
		.amdhsa_user_sgpr_count 2
		.amdhsa_user_sgpr_dispatch_ptr 0
		.amdhsa_user_sgpr_queue_ptr 0
		.amdhsa_user_sgpr_kernarg_segment_ptr 1
		.amdhsa_user_sgpr_dispatch_id 0
		.amdhsa_user_sgpr_kernarg_preload_length 0
		.amdhsa_user_sgpr_kernarg_preload_offset 0
		.amdhsa_user_sgpr_private_segment_size 0
		.amdhsa_wavefront_size32 1
		.amdhsa_uses_dynamic_stack 0
		.amdhsa_enable_private_segment 0
		.amdhsa_system_sgpr_workgroup_id_x 1
		.amdhsa_system_sgpr_workgroup_id_y 0
		.amdhsa_system_sgpr_workgroup_id_z 0
		.amdhsa_system_sgpr_workgroup_info 0
		.amdhsa_system_vgpr_workitem_id 0
		.amdhsa_next_free_vgpr 1
		.amdhsa_next_free_sgpr 1
		.amdhsa_named_barrier_count 0
		.amdhsa_reserve_vcc 0
		.amdhsa_float_round_mode_32 0
		.amdhsa_float_round_mode_16_64 0
		.amdhsa_float_denorm_mode_32 3
		.amdhsa_float_denorm_mode_16_64 3
		.amdhsa_fp16_overflow 0
		.amdhsa_memory_ordered 1
		.amdhsa_forward_progress 1
		.amdhsa_inst_pref_size 0
		.amdhsa_round_robin_scheduling 0
		.amdhsa_exception_fp_ieee_invalid_op 0
		.amdhsa_exception_fp_denorm_src 0
		.amdhsa_exception_fp_ieee_div_zero 0
		.amdhsa_exception_fp_ieee_overflow 0
		.amdhsa_exception_fp_ieee_underflow 0
		.amdhsa_exception_fp_ieee_inexact 0
		.amdhsa_exception_int_div_zero 0
	.end_amdhsa_kernel
	.section	.text._ZN7rocprim17ROCPRIM_400000_NS6detail17trampoline_kernelINS0_14default_configENS1_25transform_config_selectorIlLb1EEEZNS1_14transform_implILb1ES3_S5_PKlPlNS0_8identityIlEEEE10hipError_tT2_T3_mT4_P12ihipStream_tbEUlT_E_NS1_11comp_targetILNS1_3genE2ELNS1_11target_archE906ELNS1_3gpuE6ELNS1_3repE0EEENS1_30default_config_static_selectorELNS0_4arch9wavefront6targetE0EEEvT1_,"axG",@progbits,_ZN7rocprim17ROCPRIM_400000_NS6detail17trampoline_kernelINS0_14default_configENS1_25transform_config_selectorIlLb1EEEZNS1_14transform_implILb1ES3_S5_PKlPlNS0_8identityIlEEEE10hipError_tT2_T3_mT4_P12ihipStream_tbEUlT_E_NS1_11comp_targetILNS1_3genE2ELNS1_11target_archE906ELNS1_3gpuE6ELNS1_3repE0EEENS1_30default_config_static_selectorELNS0_4arch9wavefront6targetE0EEEvT1_,comdat
.Lfunc_end1093:
	.size	_ZN7rocprim17ROCPRIM_400000_NS6detail17trampoline_kernelINS0_14default_configENS1_25transform_config_selectorIlLb1EEEZNS1_14transform_implILb1ES3_S5_PKlPlNS0_8identityIlEEEE10hipError_tT2_T3_mT4_P12ihipStream_tbEUlT_E_NS1_11comp_targetILNS1_3genE2ELNS1_11target_archE906ELNS1_3gpuE6ELNS1_3repE0EEENS1_30default_config_static_selectorELNS0_4arch9wavefront6targetE0EEEvT1_, .Lfunc_end1093-_ZN7rocprim17ROCPRIM_400000_NS6detail17trampoline_kernelINS0_14default_configENS1_25transform_config_selectorIlLb1EEEZNS1_14transform_implILb1ES3_S5_PKlPlNS0_8identityIlEEEE10hipError_tT2_T3_mT4_P12ihipStream_tbEUlT_E_NS1_11comp_targetILNS1_3genE2ELNS1_11target_archE906ELNS1_3gpuE6ELNS1_3repE0EEENS1_30default_config_static_selectorELNS0_4arch9wavefront6targetE0EEEvT1_
                                        ; -- End function
	.set _ZN7rocprim17ROCPRIM_400000_NS6detail17trampoline_kernelINS0_14default_configENS1_25transform_config_selectorIlLb1EEEZNS1_14transform_implILb1ES3_S5_PKlPlNS0_8identityIlEEEE10hipError_tT2_T3_mT4_P12ihipStream_tbEUlT_E_NS1_11comp_targetILNS1_3genE2ELNS1_11target_archE906ELNS1_3gpuE6ELNS1_3repE0EEENS1_30default_config_static_selectorELNS0_4arch9wavefront6targetE0EEEvT1_.num_vgpr, 0
	.set _ZN7rocprim17ROCPRIM_400000_NS6detail17trampoline_kernelINS0_14default_configENS1_25transform_config_selectorIlLb1EEEZNS1_14transform_implILb1ES3_S5_PKlPlNS0_8identityIlEEEE10hipError_tT2_T3_mT4_P12ihipStream_tbEUlT_E_NS1_11comp_targetILNS1_3genE2ELNS1_11target_archE906ELNS1_3gpuE6ELNS1_3repE0EEENS1_30default_config_static_selectorELNS0_4arch9wavefront6targetE0EEEvT1_.num_agpr, 0
	.set _ZN7rocprim17ROCPRIM_400000_NS6detail17trampoline_kernelINS0_14default_configENS1_25transform_config_selectorIlLb1EEEZNS1_14transform_implILb1ES3_S5_PKlPlNS0_8identityIlEEEE10hipError_tT2_T3_mT4_P12ihipStream_tbEUlT_E_NS1_11comp_targetILNS1_3genE2ELNS1_11target_archE906ELNS1_3gpuE6ELNS1_3repE0EEENS1_30default_config_static_selectorELNS0_4arch9wavefront6targetE0EEEvT1_.numbered_sgpr, 0
	.set _ZN7rocprim17ROCPRIM_400000_NS6detail17trampoline_kernelINS0_14default_configENS1_25transform_config_selectorIlLb1EEEZNS1_14transform_implILb1ES3_S5_PKlPlNS0_8identityIlEEEE10hipError_tT2_T3_mT4_P12ihipStream_tbEUlT_E_NS1_11comp_targetILNS1_3genE2ELNS1_11target_archE906ELNS1_3gpuE6ELNS1_3repE0EEENS1_30default_config_static_selectorELNS0_4arch9wavefront6targetE0EEEvT1_.num_named_barrier, 0
	.set _ZN7rocprim17ROCPRIM_400000_NS6detail17trampoline_kernelINS0_14default_configENS1_25transform_config_selectorIlLb1EEEZNS1_14transform_implILb1ES3_S5_PKlPlNS0_8identityIlEEEE10hipError_tT2_T3_mT4_P12ihipStream_tbEUlT_E_NS1_11comp_targetILNS1_3genE2ELNS1_11target_archE906ELNS1_3gpuE6ELNS1_3repE0EEENS1_30default_config_static_selectorELNS0_4arch9wavefront6targetE0EEEvT1_.private_seg_size, 0
	.set _ZN7rocprim17ROCPRIM_400000_NS6detail17trampoline_kernelINS0_14default_configENS1_25transform_config_selectorIlLb1EEEZNS1_14transform_implILb1ES3_S5_PKlPlNS0_8identityIlEEEE10hipError_tT2_T3_mT4_P12ihipStream_tbEUlT_E_NS1_11comp_targetILNS1_3genE2ELNS1_11target_archE906ELNS1_3gpuE6ELNS1_3repE0EEENS1_30default_config_static_selectorELNS0_4arch9wavefront6targetE0EEEvT1_.uses_vcc, 0
	.set _ZN7rocprim17ROCPRIM_400000_NS6detail17trampoline_kernelINS0_14default_configENS1_25transform_config_selectorIlLb1EEEZNS1_14transform_implILb1ES3_S5_PKlPlNS0_8identityIlEEEE10hipError_tT2_T3_mT4_P12ihipStream_tbEUlT_E_NS1_11comp_targetILNS1_3genE2ELNS1_11target_archE906ELNS1_3gpuE6ELNS1_3repE0EEENS1_30default_config_static_selectorELNS0_4arch9wavefront6targetE0EEEvT1_.uses_flat_scratch, 0
	.set _ZN7rocprim17ROCPRIM_400000_NS6detail17trampoline_kernelINS0_14default_configENS1_25transform_config_selectorIlLb1EEEZNS1_14transform_implILb1ES3_S5_PKlPlNS0_8identityIlEEEE10hipError_tT2_T3_mT4_P12ihipStream_tbEUlT_E_NS1_11comp_targetILNS1_3genE2ELNS1_11target_archE906ELNS1_3gpuE6ELNS1_3repE0EEENS1_30default_config_static_selectorELNS0_4arch9wavefront6targetE0EEEvT1_.has_dyn_sized_stack, 0
	.set _ZN7rocprim17ROCPRIM_400000_NS6detail17trampoline_kernelINS0_14default_configENS1_25transform_config_selectorIlLb1EEEZNS1_14transform_implILb1ES3_S5_PKlPlNS0_8identityIlEEEE10hipError_tT2_T3_mT4_P12ihipStream_tbEUlT_E_NS1_11comp_targetILNS1_3genE2ELNS1_11target_archE906ELNS1_3gpuE6ELNS1_3repE0EEENS1_30default_config_static_selectorELNS0_4arch9wavefront6targetE0EEEvT1_.has_recursion, 0
	.set _ZN7rocprim17ROCPRIM_400000_NS6detail17trampoline_kernelINS0_14default_configENS1_25transform_config_selectorIlLb1EEEZNS1_14transform_implILb1ES3_S5_PKlPlNS0_8identityIlEEEE10hipError_tT2_T3_mT4_P12ihipStream_tbEUlT_E_NS1_11comp_targetILNS1_3genE2ELNS1_11target_archE906ELNS1_3gpuE6ELNS1_3repE0EEENS1_30default_config_static_selectorELNS0_4arch9wavefront6targetE0EEEvT1_.has_indirect_call, 0
	.section	.AMDGPU.csdata,"",@progbits
; Kernel info:
; codeLenInByte = 0
; TotalNumSgprs: 0
; NumVgprs: 0
; ScratchSize: 0
; MemoryBound: 0
; FloatMode: 240
; IeeeMode: 1
; LDSByteSize: 0 bytes/workgroup (compile time only)
; SGPRBlocks: 0
; VGPRBlocks: 0
; NumSGPRsForWavesPerEU: 1
; NumVGPRsForWavesPerEU: 1
; NamedBarCnt: 0
; Occupancy: 16
; WaveLimiterHint : 0
; COMPUTE_PGM_RSRC2:SCRATCH_EN: 0
; COMPUTE_PGM_RSRC2:USER_SGPR: 2
; COMPUTE_PGM_RSRC2:TRAP_HANDLER: 0
; COMPUTE_PGM_RSRC2:TGID_X_EN: 1
; COMPUTE_PGM_RSRC2:TGID_Y_EN: 0
; COMPUTE_PGM_RSRC2:TGID_Z_EN: 0
; COMPUTE_PGM_RSRC2:TIDIG_COMP_CNT: 0
	.section	.text._ZN7rocprim17ROCPRIM_400000_NS6detail17trampoline_kernelINS0_14default_configENS1_25transform_config_selectorIlLb1EEEZNS1_14transform_implILb1ES3_S5_PKlPlNS0_8identityIlEEEE10hipError_tT2_T3_mT4_P12ihipStream_tbEUlT_E_NS1_11comp_targetILNS1_3genE9ELNS1_11target_archE1100ELNS1_3gpuE3ELNS1_3repE0EEENS1_30default_config_static_selectorELNS0_4arch9wavefront6targetE0EEEvT1_,"axG",@progbits,_ZN7rocprim17ROCPRIM_400000_NS6detail17trampoline_kernelINS0_14default_configENS1_25transform_config_selectorIlLb1EEEZNS1_14transform_implILb1ES3_S5_PKlPlNS0_8identityIlEEEE10hipError_tT2_T3_mT4_P12ihipStream_tbEUlT_E_NS1_11comp_targetILNS1_3genE9ELNS1_11target_archE1100ELNS1_3gpuE3ELNS1_3repE0EEENS1_30default_config_static_selectorELNS0_4arch9wavefront6targetE0EEEvT1_,comdat
	.protected	_ZN7rocprim17ROCPRIM_400000_NS6detail17trampoline_kernelINS0_14default_configENS1_25transform_config_selectorIlLb1EEEZNS1_14transform_implILb1ES3_S5_PKlPlNS0_8identityIlEEEE10hipError_tT2_T3_mT4_P12ihipStream_tbEUlT_E_NS1_11comp_targetILNS1_3genE9ELNS1_11target_archE1100ELNS1_3gpuE3ELNS1_3repE0EEENS1_30default_config_static_selectorELNS0_4arch9wavefront6targetE0EEEvT1_ ; -- Begin function _ZN7rocprim17ROCPRIM_400000_NS6detail17trampoline_kernelINS0_14default_configENS1_25transform_config_selectorIlLb1EEEZNS1_14transform_implILb1ES3_S5_PKlPlNS0_8identityIlEEEE10hipError_tT2_T3_mT4_P12ihipStream_tbEUlT_E_NS1_11comp_targetILNS1_3genE9ELNS1_11target_archE1100ELNS1_3gpuE3ELNS1_3repE0EEENS1_30default_config_static_selectorELNS0_4arch9wavefront6targetE0EEEvT1_
	.globl	_ZN7rocprim17ROCPRIM_400000_NS6detail17trampoline_kernelINS0_14default_configENS1_25transform_config_selectorIlLb1EEEZNS1_14transform_implILb1ES3_S5_PKlPlNS0_8identityIlEEEE10hipError_tT2_T3_mT4_P12ihipStream_tbEUlT_E_NS1_11comp_targetILNS1_3genE9ELNS1_11target_archE1100ELNS1_3gpuE3ELNS1_3repE0EEENS1_30default_config_static_selectorELNS0_4arch9wavefront6targetE0EEEvT1_
	.p2align	8
	.type	_ZN7rocprim17ROCPRIM_400000_NS6detail17trampoline_kernelINS0_14default_configENS1_25transform_config_selectorIlLb1EEEZNS1_14transform_implILb1ES3_S5_PKlPlNS0_8identityIlEEEE10hipError_tT2_T3_mT4_P12ihipStream_tbEUlT_E_NS1_11comp_targetILNS1_3genE9ELNS1_11target_archE1100ELNS1_3gpuE3ELNS1_3repE0EEENS1_30default_config_static_selectorELNS0_4arch9wavefront6targetE0EEEvT1_,@function
_ZN7rocprim17ROCPRIM_400000_NS6detail17trampoline_kernelINS0_14default_configENS1_25transform_config_selectorIlLb1EEEZNS1_14transform_implILb1ES3_S5_PKlPlNS0_8identityIlEEEE10hipError_tT2_T3_mT4_P12ihipStream_tbEUlT_E_NS1_11comp_targetILNS1_3genE9ELNS1_11target_archE1100ELNS1_3gpuE3ELNS1_3repE0EEENS1_30default_config_static_selectorELNS0_4arch9wavefront6targetE0EEEvT1_: ; @_ZN7rocprim17ROCPRIM_400000_NS6detail17trampoline_kernelINS0_14default_configENS1_25transform_config_selectorIlLb1EEEZNS1_14transform_implILb1ES3_S5_PKlPlNS0_8identityIlEEEE10hipError_tT2_T3_mT4_P12ihipStream_tbEUlT_E_NS1_11comp_targetILNS1_3genE9ELNS1_11target_archE1100ELNS1_3gpuE3ELNS1_3repE0EEENS1_30default_config_static_selectorELNS0_4arch9wavefront6targetE0EEEvT1_
; %bb.0:
	.section	.rodata,"a",@progbits
	.p2align	6, 0x0
	.amdhsa_kernel _ZN7rocprim17ROCPRIM_400000_NS6detail17trampoline_kernelINS0_14default_configENS1_25transform_config_selectorIlLb1EEEZNS1_14transform_implILb1ES3_S5_PKlPlNS0_8identityIlEEEE10hipError_tT2_T3_mT4_P12ihipStream_tbEUlT_E_NS1_11comp_targetILNS1_3genE9ELNS1_11target_archE1100ELNS1_3gpuE3ELNS1_3repE0EEENS1_30default_config_static_selectorELNS0_4arch9wavefront6targetE0EEEvT1_
		.amdhsa_group_segment_fixed_size 0
		.amdhsa_private_segment_fixed_size 0
		.amdhsa_kernarg_size 40
		.amdhsa_user_sgpr_count 2
		.amdhsa_user_sgpr_dispatch_ptr 0
		.amdhsa_user_sgpr_queue_ptr 0
		.amdhsa_user_sgpr_kernarg_segment_ptr 1
		.amdhsa_user_sgpr_dispatch_id 0
		.amdhsa_user_sgpr_kernarg_preload_length 0
		.amdhsa_user_sgpr_kernarg_preload_offset 0
		.amdhsa_user_sgpr_private_segment_size 0
		.amdhsa_wavefront_size32 1
		.amdhsa_uses_dynamic_stack 0
		.amdhsa_enable_private_segment 0
		.amdhsa_system_sgpr_workgroup_id_x 1
		.amdhsa_system_sgpr_workgroup_id_y 0
		.amdhsa_system_sgpr_workgroup_id_z 0
		.amdhsa_system_sgpr_workgroup_info 0
		.amdhsa_system_vgpr_workitem_id 0
		.amdhsa_next_free_vgpr 1
		.amdhsa_next_free_sgpr 1
		.amdhsa_named_barrier_count 0
		.amdhsa_reserve_vcc 0
		.amdhsa_float_round_mode_32 0
		.amdhsa_float_round_mode_16_64 0
		.amdhsa_float_denorm_mode_32 3
		.amdhsa_float_denorm_mode_16_64 3
		.amdhsa_fp16_overflow 0
		.amdhsa_memory_ordered 1
		.amdhsa_forward_progress 1
		.amdhsa_inst_pref_size 0
		.amdhsa_round_robin_scheduling 0
		.amdhsa_exception_fp_ieee_invalid_op 0
		.amdhsa_exception_fp_denorm_src 0
		.amdhsa_exception_fp_ieee_div_zero 0
		.amdhsa_exception_fp_ieee_overflow 0
		.amdhsa_exception_fp_ieee_underflow 0
		.amdhsa_exception_fp_ieee_inexact 0
		.amdhsa_exception_int_div_zero 0
	.end_amdhsa_kernel
	.section	.text._ZN7rocprim17ROCPRIM_400000_NS6detail17trampoline_kernelINS0_14default_configENS1_25transform_config_selectorIlLb1EEEZNS1_14transform_implILb1ES3_S5_PKlPlNS0_8identityIlEEEE10hipError_tT2_T3_mT4_P12ihipStream_tbEUlT_E_NS1_11comp_targetILNS1_3genE9ELNS1_11target_archE1100ELNS1_3gpuE3ELNS1_3repE0EEENS1_30default_config_static_selectorELNS0_4arch9wavefront6targetE0EEEvT1_,"axG",@progbits,_ZN7rocprim17ROCPRIM_400000_NS6detail17trampoline_kernelINS0_14default_configENS1_25transform_config_selectorIlLb1EEEZNS1_14transform_implILb1ES3_S5_PKlPlNS0_8identityIlEEEE10hipError_tT2_T3_mT4_P12ihipStream_tbEUlT_E_NS1_11comp_targetILNS1_3genE9ELNS1_11target_archE1100ELNS1_3gpuE3ELNS1_3repE0EEENS1_30default_config_static_selectorELNS0_4arch9wavefront6targetE0EEEvT1_,comdat
.Lfunc_end1094:
	.size	_ZN7rocprim17ROCPRIM_400000_NS6detail17trampoline_kernelINS0_14default_configENS1_25transform_config_selectorIlLb1EEEZNS1_14transform_implILb1ES3_S5_PKlPlNS0_8identityIlEEEE10hipError_tT2_T3_mT4_P12ihipStream_tbEUlT_E_NS1_11comp_targetILNS1_3genE9ELNS1_11target_archE1100ELNS1_3gpuE3ELNS1_3repE0EEENS1_30default_config_static_selectorELNS0_4arch9wavefront6targetE0EEEvT1_, .Lfunc_end1094-_ZN7rocprim17ROCPRIM_400000_NS6detail17trampoline_kernelINS0_14default_configENS1_25transform_config_selectorIlLb1EEEZNS1_14transform_implILb1ES3_S5_PKlPlNS0_8identityIlEEEE10hipError_tT2_T3_mT4_P12ihipStream_tbEUlT_E_NS1_11comp_targetILNS1_3genE9ELNS1_11target_archE1100ELNS1_3gpuE3ELNS1_3repE0EEENS1_30default_config_static_selectorELNS0_4arch9wavefront6targetE0EEEvT1_
                                        ; -- End function
	.set _ZN7rocprim17ROCPRIM_400000_NS6detail17trampoline_kernelINS0_14default_configENS1_25transform_config_selectorIlLb1EEEZNS1_14transform_implILb1ES3_S5_PKlPlNS0_8identityIlEEEE10hipError_tT2_T3_mT4_P12ihipStream_tbEUlT_E_NS1_11comp_targetILNS1_3genE9ELNS1_11target_archE1100ELNS1_3gpuE3ELNS1_3repE0EEENS1_30default_config_static_selectorELNS0_4arch9wavefront6targetE0EEEvT1_.num_vgpr, 0
	.set _ZN7rocprim17ROCPRIM_400000_NS6detail17trampoline_kernelINS0_14default_configENS1_25transform_config_selectorIlLb1EEEZNS1_14transform_implILb1ES3_S5_PKlPlNS0_8identityIlEEEE10hipError_tT2_T3_mT4_P12ihipStream_tbEUlT_E_NS1_11comp_targetILNS1_3genE9ELNS1_11target_archE1100ELNS1_3gpuE3ELNS1_3repE0EEENS1_30default_config_static_selectorELNS0_4arch9wavefront6targetE0EEEvT1_.num_agpr, 0
	.set _ZN7rocprim17ROCPRIM_400000_NS6detail17trampoline_kernelINS0_14default_configENS1_25transform_config_selectorIlLb1EEEZNS1_14transform_implILb1ES3_S5_PKlPlNS0_8identityIlEEEE10hipError_tT2_T3_mT4_P12ihipStream_tbEUlT_E_NS1_11comp_targetILNS1_3genE9ELNS1_11target_archE1100ELNS1_3gpuE3ELNS1_3repE0EEENS1_30default_config_static_selectorELNS0_4arch9wavefront6targetE0EEEvT1_.numbered_sgpr, 0
	.set _ZN7rocprim17ROCPRIM_400000_NS6detail17trampoline_kernelINS0_14default_configENS1_25transform_config_selectorIlLb1EEEZNS1_14transform_implILb1ES3_S5_PKlPlNS0_8identityIlEEEE10hipError_tT2_T3_mT4_P12ihipStream_tbEUlT_E_NS1_11comp_targetILNS1_3genE9ELNS1_11target_archE1100ELNS1_3gpuE3ELNS1_3repE0EEENS1_30default_config_static_selectorELNS0_4arch9wavefront6targetE0EEEvT1_.num_named_barrier, 0
	.set _ZN7rocprim17ROCPRIM_400000_NS6detail17trampoline_kernelINS0_14default_configENS1_25transform_config_selectorIlLb1EEEZNS1_14transform_implILb1ES3_S5_PKlPlNS0_8identityIlEEEE10hipError_tT2_T3_mT4_P12ihipStream_tbEUlT_E_NS1_11comp_targetILNS1_3genE9ELNS1_11target_archE1100ELNS1_3gpuE3ELNS1_3repE0EEENS1_30default_config_static_selectorELNS0_4arch9wavefront6targetE0EEEvT1_.private_seg_size, 0
	.set _ZN7rocprim17ROCPRIM_400000_NS6detail17trampoline_kernelINS0_14default_configENS1_25transform_config_selectorIlLb1EEEZNS1_14transform_implILb1ES3_S5_PKlPlNS0_8identityIlEEEE10hipError_tT2_T3_mT4_P12ihipStream_tbEUlT_E_NS1_11comp_targetILNS1_3genE9ELNS1_11target_archE1100ELNS1_3gpuE3ELNS1_3repE0EEENS1_30default_config_static_selectorELNS0_4arch9wavefront6targetE0EEEvT1_.uses_vcc, 0
	.set _ZN7rocprim17ROCPRIM_400000_NS6detail17trampoline_kernelINS0_14default_configENS1_25transform_config_selectorIlLb1EEEZNS1_14transform_implILb1ES3_S5_PKlPlNS0_8identityIlEEEE10hipError_tT2_T3_mT4_P12ihipStream_tbEUlT_E_NS1_11comp_targetILNS1_3genE9ELNS1_11target_archE1100ELNS1_3gpuE3ELNS1_3repE0EEENS1_30default_config_static_selectorELNS0_4arch9wavefront6targetE0EEEvT1_.uses_flat_scratch, 0
	.set _ZN7rocprim17ROCPRIM_400000_NS6detail17trampoline_kernelINS0_14default_configENS1_25transform_config_selectorIlLb1EEEZNS1_14transform_implILb1ES3_S5_PKlPlNS0_8identityIlEEEE10hipError_tT2_T3_mT4_P12ihipStream_tbEUlT_E_NS1_11comp_targetILNS1_3genE9ELNS1_11target_archE1100ELNS1_3gpuE3ELNS1_3repE0EEENS1_30default_config_static_selectorELNS0_4arch9wavefront6targetE0EEEvT1_.has_dyn_sized_stack, 0
	.set _ZN7rocprim17ROCPRIM_400000_NS6detail17trampoline_kernelINS0_14default_configENS1_25transform_config_selectorIlLb1EEEZNS1_14transform_implILb1ES3_S5_PKlPlNS0_8identityIlEEEE10hipError_tT2_T3_mT4_P12ihipStream_tbEUlT_E_NS1_11comp_targetILNS1_3genE9ELNS1_11target_archE1100ELNS1_3gpuE3ELNS1_3repE0EEENS1_30default_config_static_selectorELNS0_4arch9wavefront6targetE0EEEvT1_.has_recursion, 0
	.set _ZN7rocprim17ROCPRIM_400000_NS6detail17trampoline_kernelINS0_14default_configENS1_25transform_config_selectorIlLb1EEEZNS1_14transform_implILb1ES3_S5_PKlPlNS0_8identityIlEEEE10hipError_tT2_T3_mT4_P12ihipStream_tbEUlT_E_NS1_11comp_targetILNS1_3genE9ELNS1_11target_archE1100ELNS1_3gpuE3ELNS1_3repE0EEENS1_30default_config_static_selectorELNS0_4arch9wavefront6targetE0EEEvT1_.has_indirect_call, 0
	.section	.AMDGPU.csdata,"",@progbits
; Kernel info:
; codeLenInByte = 0
; TotalNumSgprs: 0
; NumVgprs: 0
; ScratchSize: 0
; MemoryBound: 0
; FloatMode: 240
; IeeeMode: 1
; LDSByteSize: 0 bytes/workgroup (compile time only)
; SGPRBlocks: 0
; VGPRBlocks: 0
; NumSGPRsForWavesPerEU: 1
; NumVGPRsForWavesPerEU: 1
; NamedBarCnt: 0
; Occupancy: 16
; WaveLimiterHint : 0
; COMPUTE_PGM_RSRC2:SCRATCH_EN: 0
; COMPUTE_PGM_RSRC2:USER_SGPR: 2
; COMPUTE_PGM_RSRC2:TRAP_HANDLER: 0
; COMPUTE_PGM_RSRC2:TGID_X_EN: 1
; COMPUTE_PGM_RSRC2:TGID_Y_EN: 0
; COMPUTE_PGM_RSRC2:TGID_Z_EN: 0
; COMPUTE_PGM_RSRC2:TIDIG_COMP_CNT: 0
	.section	.text._ZN7rocprim17ROCPRIM_400000_NS6detail17trampoline_kernelINS0_14default_configENS1_25transform_config_selectorIlLb1EEEZNS1_14transform_implILb1ES3_S5_PKlPlNS0_8identityIlEEEE10hipError_tT2_T3_mT4_P12ihipStream_tbEUlT_E_NS1_11comp_targetILNS1_3genE8ELNS1_11target_archE1030ELNS1_3gpuE2ELNS1_3repE0EEENS1_30default_config_static_selectorELNS0_4arch9wavefront6targetE0EEEvT1_,"axG",@progbits,_ZN7rocprim17ROCPRIM_400000_NS6detail17trampoline_kernelINS0_14default_configENS1_25transform_config_selectorIlLb1EEEZNS1_14transform_implILb1ES3_S5_PKlPlNS0_8identityIlEEEE10hipError_tT2_T3_mT4_P12ihipStream_tbEUlT_E_NS1_11comp_targetILNS1_3genE8ELNS1_11target_archE1030ELNS1_3gpuE2ELNS1_3repE0EEENS1_30default_config_static_selectorELNS0_4arch9wavefront6targetE0EEEvT1_,comdat
	.protected	_ZN7rocprim17ROCPRIM_400000_NS6detail17trampoline_kernelINS0_14default_configENS1_25transform_config_selectorIlLb1EEEZNS1_14transform_implILb1ES3_S5_PKlPlNS0_8identityIlEEEE10hipError_tT2_T3_mT4_P12ihipStream_tbEUlT_E_NS1_11comp_targetILNS1_3genE8ELNS1_11target_archE1030ELNS1_3gpuE2ELNS1_3repE0EEENS1_30default_config_static_selectorELNS0_4arch9wavefront6targetE0EEEvT1_ ; -- Begin function _ZN7rocprim17ROCPRIM_400000_NS6detail17trampoline_kernelINS0_14default_configENS1_25transform_config_selectorIlLb1EEEZNS1_14transform_implILb1ES3_S5_PKlPlNS0_8identityIlEEEE10hipError_tT2_T3_mT4_P12ihipStream_tbEUlT_E_NS1_11comp_targetILNS1_3genE8ELNS1_11target_archE1030ELNS1_3gpuE2ELNS1_3repE0EEENS1_30default_config_static_selectorELNS0_4arch9wavefront6targetE0EEEvT1_
	.globl	_ZN7rocprim17ROCPRIM_400000_NS6detail17trampoline_kernelINS0_14default_configENS1_25transform_config_selectorIlLb1EEEZNS1_14transform_implILb1ES3_S5_PKlPlNS0_8identityIlEEEE10hipError_tT2_T3_mT4_P12ihipStream_tbEUlT_E_NS1_11comp_targetILNS1_3genE8ELNS1_11target_archE1030ELNS1_3gpuE2ELNS1_3repE0EEENS1_30default_config_static_selectorELNS0_4arch9wavefront6targetE0EEEvT1_
	.p2align	8
	.type	_ZN7rocprim17ROCPRIM_400000_NS6detail17trampoline_kernelINS0_14default_configENS1_25transform_config_selectorIlLb1EEEZNS1_14transform_implILb1ES3_S5_PKlPlNS0_8identityIlEEEE10hipError_tT2_T3_mT4_P12ihipStream_tbEUlT_E_NS1_11comp_targetILNS1_3genE8ELNS1_11target_archE1030ELNS1_3gpuE2ELNS1_3repE0EEENS1_30default_config_static_selectorELNS0_4arch9wavefront6targetE0EEEvT1_,@function
_ZN7rocprim17ROCPRIM_400000_NS6detail17trampoline_kernelINS0_14default_configENS1_25transform_config_selectorIlLb1EEEZNS1_14transform_implILb1ES3_S5_PKlPlNS0_8identityIlEEEE10hipError_tT2_T3_mT4_P12ihipStream_tbEUlT_E_NS1_11comp_targetILNS1_3genE8ELNS1_11target_archE1030ELNS1_3gpuE2ELNS1_3repE0EEENS1_30default_config_static_selectorELNS0_4arch9wavefront6targetE0EEEvT1_: ; @_ZN7rocprim17ROCPRIM_400000_NS6detail17trampoline_kernelINS0_14default_configENS1_25transform_config_selectorIlLb1EEEZNS1_14transform_implILb1ES3_S5_PKlPlNS0_8identityIlEEEE10hipError_tT2_T3_mT4_P12ihipStream_tbEUlT_E_NS1_11comp_targetILNS1_3genE8ELNS1_11target_archE1030ELNS1_3gpuE2ELNS1_3repE0EEENS1_30default_config_static_selectorELNS0_4arch9wavefront6targetE0EEEvT1_
; %bb.0:
	.section	.rodata,"a",@progbits
	.p2align	6, 0x0
	.amdhsa_kernel _ZN7rocprim17ROCPRIM_400000_NS6detail17trampoline_kernelINS0_14default_configENS1_25transform_config_selectorIlLb1EEEZNS1_14transform_implILb1ES3_S5_PKlPlNS0_8identityIlEEEE10hipError_tT2_T3_mT4_P12ihipStream_tbEUlT_E_NS1_11comp_targetILNS1_3genE8ELNS1_11target_archE1030ELNS1_3gpuE2ELNS1_3repE0EEENS1_30default_config_static_selectorELNS0_4arch9wavefront6targetE0EEEvT1_
		.amdhsa_group_segment_fixed_size 0
		.amdhsa_private_segment_fixed_size 0
		.amdhsa_kernarg_size 40
		.amdhsa_user_sgpr_count 2
		.amdhsa_user_sgpr_dispatch_ptr 0
		.amdhsa_user_sgpr_queue_ptr 0
		.amdhsa_user_sgpr_kernarg_segment_ptr 1
		.amdhsa_user_sgpr_dispatch_id 0
		.amdhsa_user_sgpr_kernarg_preload_length 0
		.amdhsa_user_sgpr_kernarg_preload_offset 0
		.amdhsa_user_sgpr_private_segment_size 0
		.amdhsa_wavefront_size32 1
		.amdhsa_uses_dynamic_stack 0
		.amdhsa_enable_private_segment 0
		.amdhsa_system_sgpr_workgroup_id_x 1
		.amdhsa_system_sgpr_workgroup_id_y 0
		.amdhsa_system_sgpr_workgroup_id_z 0
		.amdhsa_system_sgpr_workgroup_info 0
		.amdhsa_system_vgpr_workitem_id 0
		.amdhsa_next_free_vgpr 1
		.amdhsa_next_free_sgpr 1
		.amdhsa_named_barrier_count 0
		.amdhsa_reserve_vcc 0
		.amdhsa_float_round_mode_32 0
		.amdhsa_float_round_mode_16_64 0
		.amdhsa_float_denorm_mode_32 3
		.amdhsa_float_denorm_mode_16_64 3
		.amdhsa_fp16_overflow 0
		.amdhsa_memory_ordered 1
		.amdhsa_forward_progress 1
		.amdhsa_inst_pref_size 0
		.amdhsa_round_robin_scheduling 0
		.amdhsa_exception_fp_ieee_invalid_op 0
		.amdhsa_exception_fp_denorm_src 0
		.amdhsa_exception_fp_ieee_div_zero 0
		.amdhsa_exception_fp_ieee_overflow 0
		.amdhsa_exception_fp_ieee_underflow 0
		.amdhsa_exception_fp_ieee_inexact 0
		.amdhsa_exception_int_div_zero 0
	.end_amdhsa_kernel
	.section	.text._ZN7rocprim17ROCPRIM_400000_NS6detail17trampoline_kernelINS0_14default_configENS1_25transform_config_selectorIlLb1EEEZNS1_14transform_implILb1ES3_S5_PKlPlNS0_8identityIlEEEE10hipError_tT2_T3_mT4_P12ihipStream_tbEUlT_E_NS1_11comp_targetILNS1_3genE8ELNS1_11target_archE1030ELNS1_3gpuE2ELNS1_3repE0EEENS1_30default_config_static_selectorELNS0_4arch9wavefront6targetE0EEEvT1_,"axG",@progbits,_ZN7rocprim17ROCPRIM_400000_NS6detail17trampoline_kernelINS0_14default_configENS1_25transform_config_selectorIlLb1EEEZNS1_14transform_implILb1ES3_S5_PKlPlNS0_8identityIlEEEE10hipError_tT2_T3_mT4_P12ihipStream_tbEUlT_E_NS1_11comp_targetILNS1_3genE8ELNS1_11target_archE1030ELNS1_3gpuE2ELNS1_3repE0EEENS1_30default_config_static_selectorELNS0_4arch9wavefront6targetE0EEEvT1_,comdat
.Lfunc_end1095:
	.size	_ZN7rocprim17ROCPRIM_400000_NS6detail17trampoline_kernelINS0_14default_configENS1_25transform_config_selectorIlLb1EEEZNS1_14transform_implILb1ES3_S5_PKlPlNS0_8identityIlEEEE10hipError_tT2_T3_mT4_P12ihipStream_tbEUlT_E_NS1_11comp_targetILNS1_3genE8ELNS1_11target_archE1030ELNS1_3gpuE2ELNS1_3repE0EEENS1_30default_config_static_selectorELNS0_4arch9wavefront6targetE0EEEvT1_, .Lfunc_end1095-_ZN7rocprim17ROCPRIM_400000_NS6detail17trampoline_kernelINS0_14default_configENS1_25transform_config_selectorIlLb1EEEZNS1_14transform_implILb1ES3_S5_PKlPlNS0_8identityIlEEEE10hipError_tT2_T3_mT4_P12ihipStream_tbEUlT_E_NS1_11comp_targetILNS1_3genE8ELNS1_11target_archE1030ELNS1_3gpuE2ELNS1_3repE0EEENS1_30default_config_static_selectorELNS0_4arch9wavefront6targetE0EEEvT1_
                                        ; -- End function
	.set _ZN7rocprim17ROCPRIM_400000_NS6detail17trampoline_kernelINS0_14default_configENS1_25transform_config_selectorIlLb1EEEZNS1_14transform_implILb1ES3_S5_PKlPlNS0_8identityIlEEEE10hipError_tT2_T3_mT4_P12ihipStream_tbEUlT_E_NS1_11comp_targetILNS1_3genE8ELNS1_11target_archE1030ELNS1_3gpuE2ELNS1_3repE0EEENS1_30default_config_static_selectorELNS0_4arch9wavefront6targetE0EEEvT1_.num_vgpr, 0
	.set _ZN7rocprim17ROCPRIM_400000_NS6detail17trampoline_kernelINS0_14default_configENS1_25transform_config_selectorIlLb1EEEZNS1_14transform_implILb1ES3_S5_PKlPlNS0_8identityIlEEEE10hipError_tT2_T3_mT4_P12ihipStream_tbEUlT_E_NS1_11comp_targetILNS1_3genE8ELNS1_11target_archE1030ELNS1_3gpuE2ELNS1_3repE0EEENS1_30default_config_static_selectorELNS0_4arch9wavefront6targetE0EEEvT1_.num_agpr, 0
	.set _ZN7rocprim17ROCPRIM_400000_NS6detail17trampoline_kernelINS0_14default_configENS1_25transform_config_selectorIlLb1EEEZNS1_14transform_implILb1ES3_S5_PKlPlNS0_8identityIlEEEE10hipError_tT2_T3_mT4_P12ihipStream_tbEUlT_E_NS1_11comp_targetILNS1_3genE8ELNS1_11target_archE1030ELNS1_3gpuE2ELNS1_3repE0EEENS1_30default_config_static_selectorELNS0_4arch9wavefront6targetE0EEEvT1_.numbered_sgpr, 0
	.set _ZN7rocprim17ROCPRIM_400000_NS6detail17trampoline_kernelINS0_14default_configENS1_25transform_config_selectorIlLb1EEEZNS1_14transform_implILb1ES3_S5_PKlPlNS0_8identityIlEEEE10hipError_tT2_T3_mT4_P12ihipStream_tbEUlT_E_NS1_11comp_targetILNS1_3genE8ELNS1_11target_archE1030ELNS1_3gpuE2ELNS1_3repE0EEENS1_30default_config_static_selectorELNS0_4arch9wavefront6targetE0EEEvT1_.num_named_barrier, 0
	.set _ZN7rocprim17ROCPRIM_400000_NS6detail17trampoline_kernelINS0_14default_configENS1_25transform_config_selectorIlLb1EEEZNS1_14transform_implILb1ES3_S5_PKlPlNS0_8identityIlEEEE10hipError_tT2_T3_mT4_P12ihipStream_tbEUlT_E_NS1_11comp_targetILNS1_3genE8ELNS1_11target_archE1030ELNS1_3gpuE2ELNS1_3repE0EEENS1_30default_config_static_selectorELNS0_4arch9wavefront6targetE0EEEvT1_.private_seg_size, 0
	.set _ZN7rocprim17ROCPRIM_400000_NS6detail17trampoline_kernelINS0_14default_configENS1_25transform_config_selectorIlLb1EEEZNS1_14transform_implILb1ES3_S5_PKlPlNS0_8identityIlEEEE10hipError_tT2_T3_mT4_P12ihipStream_tbEUlT_E_NS1_11comp_targetILNS1_3genE8ELNS1_11target_archE1030ELNS1_3gpuE2ELNS1_3repE0EEENS1_30default_config_static_selectorELNS0_4arch9wavefront6targetE0EEEvT1_.uses_vcc, 0
	.set _ZN7rocprim17ROCPRIM_400000_NS6detail17trampoline_kernelINS0_14default_configENS1_25transform_config_selectorIlLb1EEEZNS1_14transform_implILb1ES3_S5_PKlPlNS0_8identityIlEEEE10hipError_tT2_T3_mT4_P12ihipStream_tbEUlT_E_NS1_11comp_targetILNS1_3genE8ELNS1_11target_archE1030ELNS1_3gpuE2ELNS1_3repE0EEENS1_30default_config_static_selectorELNS0_4arch9wavefront6targetE0EEEvT1_.uses_flat_scratch, 0
	.set _ZN7rocprim17ROCPRIM_400000_NS6detail17trampoline_kernelINS0_14default_configENS1_25transform_config_selectorIlLb1EEEZNS1_14transform_implILb1ES3_S5_PKlPlNS0_8identityIlEEEE10hipError_tT2_T3_mT4_P12ihipStream_tbEUlT_E_NS1_11comp_targetILNS1_3genE8ELNS1_11target_archE1030ELNS1_3gpuE2ELNS1_3repE0EEENS1_30default_config_static_selectorELNS0_4arch9wavefront6targetE0EEEvT1_.has_dyn_sized_stack, 0
	.set _ZN7rocprim17ROCPRIM_400000_NS6detail17trampoline_kernelINS0_14default_configENS1_25transform_config_selectorIlLb1EEEZNS1_14transform_implILb1ES3_S5_PKlPlNS0_8identityIlEEEE10hipError_tT2_T3_mT4_P12ihipStream_tbEUlT_E_NS1_11comp_targetILNS1_3genE8ELNS1_11target_archE1030ELNS1_3gpuE2ELNS1_3repE0EEENS1_30default_config_static_selectorELNS0_4arch9wavefront6targetE0EEEvT1_.has_recursion, 0
	.set _ZN7rocprim17ROCPRIM_400000_NS6detail17trampoline_kernelINS0_14default_configENS1_25transform_config_selectorIlLb1EEEZNS1_14transform_implILb1ES3_S5_PKlPlNS0_8identityIlEEEE10hipError_tT2_T3_mT4_P12ihipStream_tbEUlT_E_NS1_11comp_targetILNS1_3genE8ELNS1_11target_archE1030ELNS1_3gpuE2ELNS1_3repE0EEENS1_30default_config_static_selectorELNS0_4arch9wavefront6targetE0EEEvT1_.has_indirect_call, 0
	.section	.AMDGPU.csdata,"",@progbits
; Kernel info:
; codeLenInByte = 0
; TotalNumSgprs: 0
; NumVgprs: 0
; ScratchSize: 0
; MemoryBound: 0
; FloatMode: 240
; IeeeMode: 1
; LDSByteSize: 0 bytes/workgroup (compile time only)
; SGPRBlocks: 0
; VGPRBlocks: 0
; NumSGPRsForWavesPerEU: 1
; NumVGPRsForWavesPerEU: 1
; NamedBarCnt: 0
; Occupancy: 16
; WaveLimiterHint : 0
; COMPUTE_PGM_RSRC2:SCRATCH_EN: 0
; COMPUTE_PGM_RSRC2:USER_SGPR: 2
; COMPUTE_PGM_RSRC2:TRAP_HANDLER: 0
; COMPUTE_PGM_RSRC2:TGID_X_EN: 1
; COMPUTE_PGM_RSRC2:TGID_Y_EN: 0
; COMPUTE_PGM_RSRC2:TGID_Z_EN: 0
; COMPUTE_PGM_RSRC2:TIDIG_COMP_CNT: 0
	.section	.text._ZN7rocprim17ROCPRIM_400000_NS6detail17trampoline_kernelINS0_14default_configENS1_35radix_sort_onesweep_config_selectorIlNS0_10empty_typeEEEZZNS1_29radix_sort_onesweep_iterationIS3_Lb1EPKlPlPS5_SB_mNS0_19identity_decomposerENS1_16block_id_wrapperIjLb1EEEEE10hipError_tT1_PNSt15iterator_traitsISG_E10value_typeET2_T3_PNSH_ISM_E10value_typeET4_T5_PSR_SS_PNS1_23onesweep_lookback_stateEbbT6_jjT7_P12ihipStream_tbENKUlT_T0_SG_SL_E_clIS9_SA_SB_SB_EEDaSZ_S10_SG_SL_EUlSZ_E_NS1_11comp_targetILNS1_3genE0ELNS1_11target_archE4294967295ELNS1_3gpuE0ELNS1_3repE0EEENS1_47radix_sort_onesweep_sort_config_static_selectorELNS0_4arch9wavefront6targetE0EEEvSG_,"axG",@progbits,_ZN7rocprim17ROCPRIM_400000_NS6detail17trampoline_kernelINS0_14default_configENS1_35radix_sort_onesweep_config_selectorIlNS0_10empty_typeEEEZZNS1_29radix_sort_onesweep_iterationIS3_Lb1EPKlPlPS5_SB_mNS0_19identity_decomposerENS1_16block_id_wrapperIjLb1EEEEE10hipError_tT1_PNSt15iterator_traitsISG_E10value_typeET2_T3_PNSH_ISM_E10value_typeET4_T5_PSR_SS_PNS1_23onesweep_lookback_stateEbbT6_jjT7_P12ihipStream_tbENKUlT_T0_SG_SL_E_clIS9_SA_SB_SB_EEDaSZ_S10_SG_SL_EUlSZ_E_NS1_11comp_targetILNS1_3genE0ELNS1_11target_archE4294967295ELNS1_3gpuE0ELNS1_3repE0EEENS1_47radix_sort_onesweep_sort_config_static_selectorELNS0_4arch9wavefront6targetE0EEEvSG_,comdat
	.protected	_ZN7rocprim17ROCPRIM_400000_NS6detail17trampoline_kernelINS0_14default_configENS1_35radix_sort_onesweep_config_selectorIlNS0_10empty_typeEEEZZNS1_29radix_sort_onesweep_iterationIS3_Lb1EPKlPlPS5_SB_mNS0_19identity_decomposerENS1_16block_id_wrapperIjLb1EEEEE10hipError_tT1_PNSt15iterator_traitsISG_E10value_typeET2_T3_PNSH_ISM_E10value_typeET4_T5_PSR_SS_PNS1_23onesweep_lookback_stateEbbT6_jjT7_P12ihipStream_tbENKUlT_T0_SG_SL_E_clIS9_SA_SB_SB_EEDaSZ_S10_SG_SL_EUlSZ_E_NS1_11comp_targetILNS1_3genE0ELNS1_11target_archE4294967295ELNS1_3gpuE0ELNS1_3repE0EEENS1_47radix_sort_onesweep_sort_config_static_selectorELNS0_4arch9wavefront6targetE0EEEvSG_ ; -- Begin function _ZN7rocprim17ROCPRIM_400000_NS6detail17trampoline_kernelINS0_14default_configENS1_35radix_sort_onesweep_config_selectorIlNS0_10empty_typeEEEZZNS1_29radix_sort_onesweep_iterationIS3_Lb1EPKlPlPS5_SB_mNS0_19identity_decomposerENS1_16block_id_wrapperIjLb1EEEEE10hipError_tT1_PNSt15iterator_traitsISG_E10value_typeET2_T3_PNSH_ISM_E10value_typeET4_T5_PSR_SS_PNS1_23onesweep_lookback_stateEbbT6_jjT7_P12ihipStream_tbENKUlT_T0_SG_SL_E_clIS9_SA_SB_SB_EEDaSZ_S10_SG_SL_EUlSZ_E_NS1_11comp_targetILNS1_3genE0ELNS1_11target_archE4294967295ELNS1_3gpuE0ELNS1_3repE0EEENS1_47radix_sort_onesweep_sort_config_static_selectorELNS0_4arch9wavefront6targetE0EEEvSG_
	.globl	_ZN7rocprim17ROCPRIM_400000_NS6detail17trampoline_kernelINS0_14default_configENS1_35radix_sort_onesweep_config_selectorIlNS0_10empty_typeEEEZZNS1_29radix_sort_onesweep_iterationIS3_Lb1EPKlPlPS5_SB_mNS0_19identity_decomposerENS1_16block_id_wrapperIjLb1EEEEE10hipError_tT1_PNSt15iterator_traitsISG_E10value_typeET2_T3_PNSH_ISM_E10value_typeET4_T5_PSR_SS_PNS1_23onesweep_lookback_stateEbbT6_jjT7_P12ihipStream_tbENKUlT_T0_SG_SL_E_clIS9_SA_SB_SB_EEDaSZ_S10_SG_SL_EUlSZ_E_NS1_11comp_targetILNS1_3genE0ELNS1_11target_archE4294967295ELNS1_3gpuE0ELNS1_3repE0EEENS1_47radix_sort_onesweep_sort_config_static_selectorELNS0_4arch9wavefront6targetE0EEEvSG_
	.p2align	8
	.type	_ZN7rocprim17ROCPRIM_400000_NS6detail17trampoline_kernelINS0_14default_configENS1_35radix_sort_onesweep_config_selectorIlNS0_10empty_typeEEEZZNS1_29radix_sort_onesweep_iterationIS3_Lb1EPKlPlPS5_SB_mNS0_19identity_decomposerENS1_16block_id_wrapperIjLb1EEEEE10hipError_tT1_PNSt15iterator_traitsISG_E10value_typeET2_T3_PNSH_ISM_E10value_typeET4_T5_PSR_SS_PNS1_23onesweep_lookback_stateEbbT6_jjT7_P12ihipStream_tbENKUlT_T0_SG_SL_E_clIS9_SA_SB_SB_EEDaSZ_S10_SG_SL_EUlSZ_E_NS1_11comp_targetILNS1_3genE0ELNS1_11target_archE4294967295ELNS1_3gpuE0ELNS1_3repE0EEENS1_47radix_sort_onesweep_sort_config_static_selectorELNS0_4arch9wavefront6targetE0EEEvSG_,@function
_ZN7rocprim17ROCPRIM_400000_NS6detail17trampoline_kernelINS0_14default_configENS1_35radix_sort_onesweep_config_selectorIlNS0_10empty_typeEEEZZNS1_29radix_sort_onesweep_iterationIS3_Lb1EPKlPlPS5_SB_mNS0_19identity_decomposerENS1_16block_id_wrapperIjLb1EEEEE10hipError_tT1_PNSt15iterator_traitsISG_E10value_typeET2_T3_PNSH_ISM_E10value_typeET4_T5_PSR_SS_PNS1_23onesweep_lookback_stateEbbT6_jjT7_P12ihipStream_tbENKUlT_T0_SG_SL_E_clIS9_SA_SB_SB_EEDaSZ_S10_SG_SL_EUlSZ_E_NS1_11comp_targetILNS1_3genE0ELNS1_11target_archE4294967295ELNS1_3gpuE0ELNS1_3repE0EEENS1_47radix_sort_onesweep_sort_config_static_selectorELNS0_4arch9wavefront6targetE0EEEvSG_: ; @_ZN7rocprim17ROCPRIM_400000_NS6detail17trampoline_kernelINS0_14default_configENS1_35radix_sort_onesweep_config_selectorIlNS0_10empty_typeEEEZZNS1_29radix_sort_onesweep_iterationIS3_Lb1EPKlPlPS5_SB_mNS0_19identity_decomposerENS1_16block_id_wrapperIjLb1EEEEE10hipError_tT1_PNSt15iterator_traitsISG_E10value_typeET2_T3_PNSH_ISM_E10value_typeET4_T5_PSR_SS_PNS1_23onesweep_lookback_stateEbbT6_jjT7_P12ihipStream_tbENKUlT_T0_SG_SL_E_clIS9_SA_SB_SB_EEDaSZ_S10_SG_SL_EUlSZ_E_NS1_11comp_targetILNS1_3genE0ELNS1_11target_archE4294967295ELNS1_3gpuE0ELNS1_3repE0EEENS1_47radix_sort_onesweep_sort_config_static_selectorELNS0_4arch9wavefront6targetE0EEEvSG_
; %bb.0:
	s_clause 0x1
	s_load_b128 s[8:11], s[0:1], 0x28
	s_load_b64 s[20:21], s[0:1], 0x38
	v_and_b32_e32 v32, 0x3ff, v0
	s_delay_alu instid0(VALU_DEP_1)
	v_cmp_eq_u32_e64 s2, 0, v32
	s_and_saveexec_b32 s3, s2
	s_cbranch_execz .LBB1096_4
; %bb.1:
	s_mov_b32 s5, exec_lo
	s_mov_b32 s4, exec_lo
	v_mbcnt_lo_u32_b32 v1, s5, 0
                                        ; implicit-def: $vgpr2
	s_delay_alu instid0(VALU_DEP_1)
	v_cmpx_eq_u32_e32 0, v1
	s_cbranch_execz .LBB1096_3
; %bb.2:
	s_load_b64 s[6:7], s[0:1], 0x50
	s_bcnt1_i32_b32 s5, s5
	s_delay_alu instid0(SALU_CYCLE_1)
	v_dual_mov_b32 v2, 0 :: v_dual_mov_b32 v3, s5
	s_wait_xcnt 0x0
	s_wait_kmcnt 0x0
	global_atomic_add_u32 v2, v2, v3, s[6:7] th:TH_ATOMIC_RETURN scope:SCOPE_DEV
.LBB1096_3:
	s_wait_xcnt 0x0
	s_or_b32 exec_lo, exec_lo, s4
	s_wait_loadcnt 0x0
	v_readfirstlane_b32 s4, v2
	s_delay_alu instid0(VALU_DEP_1)
	v_dual_mov_b32 v2, 0 :: v_dual_add_nc_u32 v1, s4, v1
	ds_store_b32 v2, v1 offset:18496
.LBB1096_4:
	s_or_b32 exec_lo, exec_lo, s3
	v_dual_mov_b32 v7, 0 :: v_dual_lshlrev_b32 v2, 3, v32
	s_clause 0x2
	s_load_b128 s[12:15], s[0:1], 0x0
	s_load_b32 s3, s[0:1], 0x20
	s_load_b96 s[16:18], s[0:1], 0x44
	s_wait_dscnt 0x0
	s_barrier_signal -1
	s_barrier_wait -1
	ds_load_b32 v1, v7 offset:18496
	v_mbcnt_lo_u32_b32 v33, -1, 0
	s_mov_b32 s4, -1
	s_add_nc_u64 s[22:23], s[0:1], 0x58
	s_getreg_b32 s7, hwreg(HW_REG_IB_STS2, 6, 4)
	s_wait_dscnt 0x0
	s_barrier_signal -1
	s_barrier_wait -1
	s_wait_kmcnt 0x0
	v_cmp_le_u32_e32 vcc_lo, s18, v1
	v_readfirstlane_b32 s19, v1
	s_cbranch_vccz .LBB1096_70
; %bb.5:
	s_lshl_b32 s4, s19, 12
	s_mov_b32 s5, 0
	v_lshlrev_b32_e32 v6, 3, v33
	s_lshl_b64 s[4:5], s[4:5], 3
	v_and_b32_e32 v1, 0x1f00, v2
	s_add_nc_u64 s[4:5], s[12:13], s[4:5]
	v_mov_b64_e32 v[4:5], -1
	v_add_nc_u64_e32 v[8:9], s[4:5], v[6:7]
	s_lshl_b32 s4, s18, 12
	v_dual_lshlrev_b32 v6, 3, v1 :: v_dual_bitop2_b32 v1, v33, v1 bitop3:0x54
	s_sub_co_i32 s18, s3, s4
	s_mov_b32 s3, exec_lo
	s_delay_alu instid0(VALU_DEP_1)
	v_add_nc_u64_e32 v[20:21], v[8:9], v[6:7]
	v_mov_b64_e32 v[6:7], -1
	v_cmpx_gt_u32_e64 s18, v1
	s_cbranch_execz .LBB1096_7
; %bb.6:
	global_load_b64 v[6:7], v[20:21], off
	s_wait_loadcnt 0x0
	v_xor_b32_e32 v7, 0x7fffffff, v7
	v_not_b32_e32 v6, v6
.LBB1096_7:
	s_or_b32 exec_lo, exec_lo, s3
	v_or_b32_e32 v3, 32, v1
	s_mov_b32 s3, exec_lo
	s_delay_alu instid0(VALU_DEP_1)
	v_cmpx_gt_u32_e64 s18, v3
	s_cbranch_execz .LBB1096_9
; %bb.8:
	global_load_b64 v[4:5], v[20:21], off offset:256
	s_wait_loadcnt 0x0
	v_xor_b32_e32 v5, 0x7fffffff, v5
	v_not_b32_e32 v4, v4
.LBB1096_9:
	s_or_b32 exec_lo, exec_lo, s3
	v_mov_b64_e32 v[8:9], -1
	v_mov_b64_e32 v[10:11], -1
	v_or_b32_e32 v3, 64, v1
	s_mov_b32 s3, exec_lo
	s_delay_alu instid0(VALU_DEP_1)
	v_cmpx_gt_u32_e64 s18, v3
	s_cbranch_execz .LBB1096_11
; %bb.10:
	global_load_b64 v[10:11], v[20:21], off offset:512
	s_wait_loadcnt 0x0
	v_xor_b32_e32 v11, 0x7fffffff, v11
	v_not_b32_e32 v10, v10
.LBB1096_11:
	s_or_b32 exec_lo, exec_lo, s3
	v_or_b32_e32 v3, 0x60, v1
	s_mov_b32 s3, exec_lo
	s_delay_alu instid0(VALU_DEP_1)
	v_cmpx_gt_u32_e64 s18, v3
	s_cbranch_execz .LBB1096_13
; %bb.12:
	global_load_b64 v[8:9], v[20:21], off offset:768
	s_wait_loadcnt 0x0
	v_xor_b32_e32 v9, 0x7fffffff, v9
	v_not_b32_e32 v8, v8
.LBB1096_13:
	s_or_b32 exec_lo, exec_lo, s3
	v_mov_b64_e32 v[12:13], -1
	v_mov_b64_e32 v[14:15], -1
	v_or_b32_e32 v3, 0x80, v1
	s_mov_b32 s3, exec_lo
	s_delay_alu instid0(VALU_DEP_1)
	v_cmpx_gt_u32_e64 s18, v3
	s_cbranch_execz .LBB1096_15
; %bb.14:
	global_load_b64 v[14:15], v[20:21], off offset:1024
	s_wait_loadcnt 0x0
	v_xor_b32_e32 v15, 0x7fffffff, v15
	v_not_b32_e32 v14, v14
.LBB1096_15:
	s_or_b32 exec_lo, exec_lo, s3
	v_or_b32_e32 v3, 0xa0, v1
	s_mov_b32 s3, exec_lo
	s_delay_alu instid0(VALU_DEP_1)
	v_cmpx_gt_u32_e64 s18, v3
	s_cbranch_execz .LBB1096_17
; %bb.16:
	global_load_b64 v[12:13], v[20:21], off offset:1280
	s_wait_loadcnt 0x0
	v_xor_b32_e32 v13, 0x7fffffff, v13
	v_not_b32_e32 v12, v12
.LBB1096_17:
	s_or_b32 exec_lo, exec_lo, s3
	v_mov_b64_e32 v[16:17], -1
	v_mov_b64_e32 v[18:19], -1
	v_or_b32_e32 v3, 0xc0, v1
	s_mov_b32 s3, exec_lo
	s_delay_alu instid0(VALU_DEP_1)
	v_cmpx_gt_u32_e64 s18, v3
	s_cbranch_execz .LBB1096_19
; %bb.18:
	global_load_b64 v[18:19], v[20:21], off offset:1536
	s_wait_loadcnt 0x0
	v_xor_b32_e32 v19, 0x7fffffff, v19
	v_not_b32_e32 v18, v18
.LBB1096_19:
	s_or_b32 exec_lo, exec_lo, s3
	v_or_b32_e32 v1, 0xe0, v1
	s_mov_b32 s3, exec_lo
	s_delay_alu instid0(VALU_DEP_1)
	v_cmpx_gt_u32_e64 s18, v1
	s_cbranch_execz .LBB1096_21
; %bb.20:
	global_load_b64 v[16:17], v[20:21], off offset:1792
	s_wait_loadcnt 0x0
	v_xor_b32_e32 v17, 0x7fffffff, v17
	v_not_b32_e32 v16, v16
.LBB1096_21:
	s_or_b32 exec_lo, exec_lo, s3
	s_clause 0x1
	s_load_b32 s24, s[0:1], 0x58
	s_load_u16 s3, s[0:1], 0x66
	s_bfe_u32 s4, ttmp6, 0x4000c
	s_and_b32 s5, ttmp6, 15
	s_add_co_i32 s4, s4, 1
	v_lshrrev_b64 v[20:21], s16, v[6:7]
	s_mul_i32 s4, ttmp9, s4
	v_bfe_u32 v1, v0, 10, 10
	s_add_co_i32 s5, s5, s4
	s_cmp_eq_u32 s7, 0
	v_bfe_u32 v3, v0, 20, 10
	s_cselect_b32 s4, ttmp9, s5
	s_mov_b32 s5, 0
	s_wait_kmcnt 0x0
	s_cmp_lt_u32 s4, s24
	v_mad_u32_u24 v1, v3, s3, v1
	s_cselect_b32 s4, 12, 18
	s_lshl_b32 s25, -1, s17
	s_add_nc_u64 s[4:5], s[22:23], s[4:5]
	v_bitop3_b32 v3, v20, 1, s25 bitop3:0x40
	v_bitop3_b32 v22, v20, s25, v20 bitop3:0x30
	s_load_u16 s26, s[4:5], 0x0
	s_not_b32 s25, s25
	s_delay_alu instid0(VALU_DEP_2) | instskip(NEXT) | instid1(VALU_DEP_1)
	v_add_co_u32 v3, s3, v3, -1
	v_cndmask_b32_e64 v20, 0, 1, s3
	v_dual_lshlrev_b32 v21, 30, v22 :: v_dual_lshlrev_b32 v23, 29, v22
	v_dual_lshlrev_b32 v24, 28, v22 :: v_dual_lshlrev_b32 v25, 27, v22
	s_delay_alu instid0(VALU_DEP_3) | instskip(NEXT) | instid1(VALU_DEP_3)
	v_cmp_ne_u32_e32 vcc_lo, 0, v20
	v_not_b32_e32 v20, v21
	v_lshlrev_b32_e32 v28, 24, v22
	v_cmp_gt_i32_e64 s3, 0, v21
	s_wait_xcnt 0x0
	v_cmp_gt_i32_e64 s4, 0, v23
	v_not_b32_e32 v21, v23
	v_not_b32_e32 v23, v24
	v_dual_ashrrev_i32 v20, 31, v20 :: v_dual_lshlrev_b32 v26, 26, v22
	v_lshlrev_b32_e32 v27, 25, v22
	v_cmp_gt_i32_e64 s5, 0, v24
	v_dual_ashrrev_i32 v21, 31, v21 :: v_dual_bitop2_b32 v3, vcc_lo, v3 bitop3:0x14
	s_delay_alu instid0(VALU_DEP_4)
	v_dual_ashrrev_i32 v23, 31, v23 :: v_dual_bitop2_b32 v20, s3, v20 bitop3:0x14
	v_cmp_gt_i32_e64 s6, 0, v25
	v_not_b32_e32 v24, v25
	v_not_b32_e32 v25, v26
	v_xor_b32_e32 v21, s4, v21
	v_xor_b32_e32 v23, s5, v23
	v_bitop3_b32 v3, v3, v20, exec_lo bitop3:0x80
	s_wait_kmcnt 0x0
	v_mad_u32 v1, v1, s26, v32
	v_cmp_gt_i32_e32 vcc_lo, 0, v26
	v_dual_ashrrev_i32 v20, 31, v24 :: v_dual_ashrrev_i32 v24, 31, v25
	v_not_b32_e32 v25, v27
	v_bitop3_b32 v21, v3, v23, v21 bitop3:0x80
	v_not_b32_e32 v3, v28
	s_delay_alu instid0(VALU_DEP_4)
	v_xor_b32_e32 v20, s6, v20
	v_xor_b32_e32 v23, vcc_lo, v24
	v_cmp_gt_i32_e32 vcc_lo, 0, v27
	v_ashrrev_i32_e32 v24, 31, v25
	v_cmp_gt_i32_e64 s3, 0, v28
	v_dual_ashrrev_i32 v25, 31, v3 :: v_dual_lshrrev_b32 v1, 5, v1
	v_bitop3_b32 v21, v21, v23, v20 bitop3:0x80
	s_delay_alu instid0(VALU_DEP_4) | instskip(SKIP_1) | instid1(VALU_DEP_4)
	v_xor_b32_e32 v23, vcc_lo, v24
	v_mul_u32_u24_e32 v3, 36, v32
	v_dual_mov_b32 v25, 0 :: v_dual_bitop2_b32 v24, s3, v25 bitop3:0x14
	v_lshlrev_b32_e32 v20, 2, v1
	ds_store_2addr_b32 v3, v25, v25 offset0:16 offset1:17
	ds_store_2addr_b32 v3, v25, v25 offset0:18 offset1:19
	;; [unrolled: 1-line block ×4, first 2 shown]
	v_bitop3_b32 v21, v21, v24, v23 bitop3:0x80
	v_mad_u32 v28, 0x44, v22, v20
	ds_store_b32 v3, v25 offset:96
	s_wait_dscnt 0x0
	s_barrier_signal -1
	v_mbcnt_lo_u32_b32 v1, v21, 0
	v_cmp_ne_u32_e64 s3, 0, v21
	s_barrier_wait -1
	s_delay_alu instid0(VALU_DEP_2) | instskip(SKIP_1) | instid1(SALU_CYCLE_1)
	v_cmp_eq_u32_e32 vcc_lo, 0, v1
	; wave barrier
	s_and_b32 s4, s3, vcc_lo
	s_and_saveexec_b32 s3, s4
; %bb.22:
	v_bcnt_u32_b32 v21, v21, 0
	ds_store_b32 v28, v21 offset:64
; %bb.23:
	s_or_b32 exec_lo, exec_lo, s3
	v_lshrrev_b64 v[22:23], s16, v[4:5]
	; wave barrier
	s_delay_alu instid0(VALU_DEP_1) | instskip(SKIP_1) | instid1(VALU_DEP_2)
	v_and_b32_e32 v21, s25, v22
	v_bitop3_b32 v22, v22, 1, s25 bitop3:0x80
	v_lshlrev_b32_e32 v24, 30, v21
	s_delay_alu instid0(VALU_DEP_2) | instskip(NEXT) | instid1(VALU_DEP_1)
	v_add_co_u32 v22, s3, v22, -1
	v_cndmask_b32_e64 v23, 0, 1, s3
	s_delay_alu instid0(VALU_DEP_1) | instskip(NEXT) | instid1(VALU_DEP_4)
	v_cmp_ne_u32_e32 vcc_lo, 0, v23
	v_not_b32_e32 v23, v24
	s_delay_alu instid0(VALU_DEP_1) | instskip(SKIP_4) | instid1(VALU_DEP_4)
	v_dual_ashrrev_i32 v23, 31, v23 :: v_dual_bitop2_b32 v22, vcc_lo, v22 bitop3:0x14
	v_dual_lshlrev_b32 v25, 29, v21 :: v_dual_lshlrev_b32 v26, 28, v21
	v_lshlrev_b32_e32 v27, 27, v21
	v_cmp_gt_i32_e64 s3, 0, v24
	v_mad_u32 v29, 0x44, v21, v20
	v_cmp_gt_i32_e64 s4, 0, v25
	v_not_b32_e32 v24, v25
	v_not_b32_e32 v25, v26
	v_dual_lshlrev_b32 v30, 26, v21 :: v_dual_lshlrev_b32 v31, 25, v21
	v_lshlrev_b32_e32 v21, 24, v21
	v_cmp_gt_i32_e64 s5, 0, v26
	v_not_b32_e32 v26, v27
	v_dual_ashrrev_i32 v24, 31, v24 :: v_dual_ashrrev_i32 v25, 31, v25
	v_xor_b32_e32 v23, s3, v23
	v_cmp_gt_i32_e64 s6, 0, v27
	v_not_b32_e32 v27, v30
	s_delay_alu instid0(VALU_DEP_4)
	v_dual_ashrrev_i32 v26, 31, v26 :: v_dual_bitop2_b32 v24, s4, v24 bitop3:0x14
	v_xor_b32_e32 v25, s5, v25
	v_bitop3_b32 v22, v22, v23, exec_lo bitop3:0x80
	v_cmp_gt_i32_e32 vcc_lo, 0, v30
	v_ashrrev_i32_e32 v23, 31, v27
	v_not_b32_e32 v27, v31
	v_xor_b32_e32 v26, s6, v26
	v_bitop3_b32 v22, v22, v25, v24 bitop3:0x80
	v_not_b32_e32 v24, v21
	v_xor_b32_e32 v23, vcc_lo, v23
	v_cmp_gt_i32_e32 vcc_lo, 0, v31
	v_ashrrev_i32_e32 v25, 31, v27
	v_cmp_gt_i32_e64 s3, 0, v21
	v_ashrrev_i32_e32 v21, 31, v24
	v_bitop3_b32 v22, v22, v23, v26 bitop3:0x80
	ds_load_b32 v34, v29 offset:64
	v_xor_b32_e32 v23, vcc_lo, v25
	v_xor_b32_e32 v21, s3, v21
	; wave barrier
	s_delay_alu instid0(VALU_DEP_1) | instskip(NEXT) | instid1(VALU_DEP_1)
	v_bitop3_b32 v21, v22, v21, v23 bitop3:0x80
	v_mbcnt_lo_u32_b32 v35, v21, 0
	v_cmp_ne_u32_e64 s3, 0, v21
	s_delay_alu instid0(VALU_DEP_2) | instskip(SKIP_1) | instid1(SALU_CYCLE_1)
	v_cmp_eq_u32_e32 vcc_lo, 0, v35
	s_and_b32 s4, s3, vcc_lo
	s_and_saveexec_b32 s3, s4
	s_cbranch_execz .LBB1096_25
; %bb.24:
	s_wait_dscnt 0x0
	v_bcnt_u32_b32 v21, v21, v34
	ds_store_b32 v29, v21 offset:64
.LBB1096_25:
	s_or_b32 exec_lo, exec_lo, s3
	v_lshrrev_b64 v[22:23], s16, v[10:11]
	; wave barrier
	s_delay_alu instid0(VALU_DEP_1) | instskip(SKIP_1) | instid1(VALU_DEP_2)
	v_and_b32_e32 v21, s25, v22
	v_bitop3_b32 v22, v22, 1, s25 bitop3:0x80
	v_lshlrev_b32_e32 v24, 30, v21
	s_delay_alu instid0(VALU_DEP_2) | instskip(NEXT) | instid1(VALU_DEP_1)
	v_add_co_u32 v22, s3, v22, -1
	v_cndmask_b32_e64 v23, 0, 1, s3
	s_delay_alu instid0(VALU_DEP_1) | instskip(NEXT) | instid1(VALU_DEP_4)
	v_cmp_ne_u32_e32 vcc_lo, 0, v23
	v_not_b32_e32 v23, v24
	s_delay_alu instid0(VALU_DEP_1) | instskip(SKIP_4) | instid1(VALU_DEP_4)
	v_dual_ashrrev_i32 v23, 31, v23 :: v_dual_bitop2_b32 v22, vcc_lo, v22 bitop3:0x14
	v_dual_lshlrev_b32 v25, 29, v21 :: v_dual_lshlrev_b32 v26, 28, v21
	v_lshlrev_b32_e32 v27, 27, v21
	v_cmp_gt_i32_e64 s3, 0, v24
	v_mad_u32 v30, 0x44, v21, v20
	v_cmp_gt_i32_e64 s4, 0, v25
	v_not_b32_e32 v24, v25
	v_not_b32_e32 v25, v26
	v_dual_lshlrev_b32 v31, 26, v21 :: v_dual_lshlrev_b32 v36, 25, v21
	v_lshlrev_b32_e32 v21, 24, v21
	v_cmp_gt_i32_e64 s5, 0, v26
	v_not_b32_e32 v26, v27
	v_dual_ashrrev_i32 v24, 31, v24 :: v_dual_ashrrev_i32 v25, 31, v25
	v_xor_b32_e32 v23, s3, v23
	v_cmp_gt_i32_e64 s6, 0, v27
	v_not_b32_e32 v27, v31
	s_delay_alu instid0(VALU_DEP_4)
	v_dual_ashrrev_i32 v26, 31, v26 :: v_dual_bitop2_b32 v24, s4, v24 bitop3:0x14
	v_xor_b32_e32 v25, s5, v25
	v_bitop3_b32 v22, v22, v23, exec_lo bitop3:0x80
	v_cmp_gt_i32_e32 vcc_lo, 0, v31
	v_ashrrev_i32_e32 v23, 31, v27
	v_not_b32_e32 v27, v36
	v_xor_b32_e32 v26, s6, v26
	v_bitop3_b32 v22, v22, v25, v24 bitop3:0x80
	v_not_b32_e32 v24, v21
	v_xor_b32_e32 v23, vcc_lo, v23
	v_cmp_gt_i32_e32 vcc_lo, 0, v36
	v_ashrrev_i32_e32 v25, 31, v27
	v_cmp_gt_i32_e64 s3, 0, v21
	v_ashrrev_i32_e32 v21, 31, v24
	v_bitop3_b32 v22, v22, v23, v26 bitop3:0x80
	ds_load_b32 v36, v30 offset:64
	v_xor_b32_e32 v23, vcc_lo, v25
	v_xor_b32_e32 v21, s3, v21
	; wave barrier
	s_delay_alu instid0(VALU_DEP_1) | instskip(NEXT) | instid1(VALU_DEP_1)
	v_bitop3_b32 v21, v22, v21, v23 bitop3:0x80
	v_mbcnt_lo_u32_b32 v37, v21, 0
	v_cmp_ne_u32_e64 s3, 0, v21
	s_delay_alu instid0(VALU_DEP_2) | instskip(SKIP_1) | instid1(SALU_CYCLE_1)
	v_cmp_eq_u32_e32 vcc_lo, 0, v37
	s_and_b32 s4, s3, vcc_lo
	s_and_saveexec_b32 s3, s4
	s_cbranch_execz .LBB1096_27
; %bb.26:
	s_wait_dscnt 0x0
	v_bcnt_u32_b32 v21, v21, v36
	ds_store_b32 v30, v21 offset:64
.LBB1096_27:
	;; [unrolled: 64-line block ×6, first 2 shown]
	s_or_b32 exec_lo, exec_lo, s3
	v_lshrrev_b64 v[22:23], s16, v[16:17]
	; wave barrier
	s_delay_alu instid0(VALU_DEP_1) | instskip(SKIP_1) | instid1(VALU_DEP_2)
	v_and_b32_e32 v21, s25, v22
	v_bitop3_b32 v22, v22, 1, s25 bitop3:0x80
	v_mad_u32 v51, 0x44, v21, v20
	s_delay_alu instid0(VALU_DEP_2) | instskip(NEXT) | instid1(VALU_DEP_1)
	v_add_co_u32 v20, s3, v22, -1
	v_cndmask_b32_e64 v22, 0, 1, s3
	v_lshlrev_b32_e32 v23, 30, v21
	s_delay_alu instid0(VALU_DEP_2) | instskip(NEXT) | instid1(VALU_DEP_2)
	v_cmp_ne_u32_e32 vcc_lo, 0, v22
	v_not_b32_e32 v22, v23
	s_delay_alu instid0(VALU_DEP_1) | instskip(SKIP_4) | instid1(VALU_DEP_4)
	v_dual_ashrrev_i32 v22, 31, v22 :: v_dual_bitop2_b32 v20, vcc_lo, v20 bitop3:0x14
	v_dual_lshlrev_b32 v24, 29, v21 :: v_dual_lshlrev_b32 v25, 28, v21
	v_lshlrev_b32_e32 v26, 27, v21
	v_cmp_gt_i32_e64 s3, 0, v23
	v_dual_lshlrev_b32 v27, 26, v21 :: v_dual_lshlrev_b32 v49, 25, v21
	v_cmp_gt_i32_e64 s4, 0, v24
	v_not_b32_e32 v23, v24
	v_not_b32_e32 v24, v25
	v_lshlrev_b32_e32 v21, 24, v21
	v_cmp_gt_i32_e64 s5, 0, v25
	v_not_b32_e32 v25, v26
	s_delay_alu instid0(VALU_DEP_4) | instskip(SKIP_3) | instid1(VALU_DEP_4)
	v_dual_ashrrev_i32 v23, 31, v23 :: v_dual_ashrrev_i32 v24, 31, v24
	v_xor_b32_e32 v22, s3, v22
	v_cmp_gt_i32_e64 s6, 0, v26
	v_not_b32_e32 v26, v27
	v_dual_ashrrev_i32 v25, 31, v25 :: v_dual_bitop2_b32 v23, s4, v23 bitop3:0x14
	v_xor_b32_e32 v24, s5, v24
	v_bitop3_b32 v20, v20, v22, exec_lo bitop3:0x80
	v_cmp_gt_i32_e32 vcc_lo, 0, v27
	v_ashrrev_i32_e32 v22, 31, v26
	v_not_b32_e32 v26, v49
	v_xor_b32_e32 v25, s6, v25
	v_bitop3_b32 v20, v20, v24, v23 bitop3:0x80
	v_not_b32_e32 v23, v21
	v_xor_b32_e32 v22, vcc_lo, v22
	v_cmp_gt_i32_e32 vcc_lo, 0, v49
	v_ashrrev_i32_e32 v24, 31, v26
	v_cmp_gt_i32_e64 s3, 0, v21
	v_ashrrev_i32_e32 v21, 31, v23
	v_bitop3_b32 v20, v20, v22, v25 bitop3:0x80
	ds_load_b32 v49, v51 offset:64
	v_xor_b32_e32 v22, vcc_lo, v24
	v_xor_b32_e32 v21, s3, v21
	; wave barrier
	s_delay_alu instid0(VALU_DEP_1) | instskip(NEXT) | instid1(VALU_DEP_1)
	v_bitop3_b32 v20, v20, v21, v22 bitop3:0x80
	v_mbcnt_lo_u32_b32 v50, v20, 0
	v_cmp_ne_u32_e64 s3, 0, v20
	s_delay_alu instid0(VALU_DEP_2) | instskip(SKIP_1) | instid1(SALU_CYCLE_1)
	v_cmp_eq_u32_e32 vcc_lo, 0, v50
	s_and_b32 s4, s3, vcc_lo
	s_and_saveexec_b32 s3, s4
	s_cbranch_execz .LBB1096_37
; %bb.36:
	s_wait_dscnt 0x0
	v_bcnt_u32_b32 v20, v20, v49
	ds_store_b32 v51, v20 offset:64
.LBB1096_37:
	s_or_b32 exec_lo, exec_lo, s3
	; wave barrier
	s_wait_dscnt 0x0
	s_barrier_signal -1
	s_barrier_wait -1
	ds_load_2addr_b32 v[26:27], v3 offset0:16 offset1:17
	ds_load_2addr_b32 v[24:25], v3 offset0:18 offset1:19
	ds_load_2addr_b32 v[22:23], v3 offset0:20 offset1:21
	ds_load_2addr_b32 v[20:21], v3 offset0:22 offset1:23
	ds_load_b32 v52, v3 offset:96
	v_bfe_i32 v55, v33, 4, 1
	s_mov_b32 s26, exec_lo
	s_wait_dscnt 0x3
	v_add3_u32 v53, v27, v26, v24
	s_wait_dscnt 0x2
	s_delay_alu instid0(VALU_DEP_1) | instskip(SKIP_1) | instid1(VALU_DEP_1)
	v_add3_u32 v53, v53, v25, v22
	s_wait_dscnt 0x1
	v_add3_u32 v53, v53, v23, v20
	s_wait_dscnt 0x0
	s_delay_alu instid0(VALU_DEP_1) | instskip(SKIP_1) | instid1(VALU_DEP_2)
	v_add3_u32 v52, v53, v21, v52
	v_and_b32_e32 v53, 15, v33
	v_mov_b32_dpp v54, v52 row_shr:1 row_mask:0xf bank_mask:0xf
	s_delay_alu instid0(VALU_DEP_2) | instskip(NEXT) | instid1(VALU_DEP_2)
	v_cmp_eq_u32_e32 vcc_lo, 0, v53
	v_cndmask_b32_e64 v54, v54, 0, vcc_lo
	s_delay_alu instid0(VALU_DEP_1) | instskip(SKIP_3) | instid1(VALU_DEP_4)
	v_add_nc_u32_e32 v52, v54, v52
	v_cmp_lt_u32_e64 s3, 1, v53
	v_cmp_lt_u32_e64 s4, 3, v53
	;; [unrolled: 1-line block ×3, first 2 shown]
	v_mov_b32_dpp v54, v52 row_shr:2 row_mask:0xf bank_mask:0xf
	s_delay_alu instid0(VALU_DEP_1) | instskip(NEXT) | instid1(VALU_DEP_1)
	v_cndmask_b32_e64 v54, 0, v54, s3
	v_add_nc_u32_e32 v52, v52, v54
	s_delay_alu instid0(VALU_DEP_1) | instskip(NEXT) | instid1(VALU_DEP_1)
	v_mov_b32_dpp v54, v52 row_shr:4 row_mask:0xf bank_mask:0xf
	v_cndmask_b32_e64 v54, 0, v54, s4
	s_delay_alu instid0(VALU_DEP_1) | instskip(NEXT) | instid1(VALU_DEP_1)
	v_add_nc_u32_e32 v52, v52, v54
	v_mov_b32_dpp v54, v52 row_shr:8 row_mask:0xf bank_mask:0xf
	s_delay_alu instid0(VALU_DEP_1) | instskip(SKIP_1) | instid1(VALU_DEP_2)
	v_cndmask_b32_e64 v53, 0, v54, s5
	v_and_b32_e32 v54, 0x3e0, v32
	v_add_nc_u32_e32 v52, v52, v53
	s_delay_alu instid0(VALU_DEP_2) | instskip(SKIP_3) | instid1(VALU_DEP_1)
	v_min_u32_e32 v54, 0x1e0, v54
	ds_swizzle_b32 v53, v52 offset:swizzle(BROADCAST,32,15)
	s_wait_dscnt 0x0
	v_dual_lshrrev_b32 v53, 5, v32 :: v_dual_bitop2_b32 v55, v55, v53 bitop3:0x40
	v_dual_add_nc_u32 v52, v52, v55 :: v_dual_bitop2_b32 v54, 31, v54 bitop3:0x54
	s_delay_alu instid0(VALU_DEP_1)
	v_cmpx_eq_u32_e64 v32, v54
; %bb.38:
	s_delay_alu instid0(VALU_DEP_3)
	v_lshlrev_b32_e32 v54, 2, v53
	ds_store_b32 v54, v52
; %bb.39:
	s_or_b32 exec_lo, exec_lo, s26
	s_delay_alu instid0(SALU_CYCLE_1)
	s_mov_b32 s26, exec_lo
	s_wait_dscnt 0x0
	s_barrier_signal -1
	s_barrier_wait -1
	v_cmpx_gt_u32_e32 16, v32
	s_cbranch_execz .LBB1096_41
; %bb.40:
	v_lshlrev_b32_e32 v54, 2, v32
	ds_load_b32 v55, v54
	s_wait_dscnt 0x0
	v_mov_b32_dpp v56, v55 row_shr:1 row_mask:0xf bank_mask:0xf
	s_delay_alu instid0(VALU_DEP_1) | instskip(NEXT) | instid1(VALU_DEP_1)
	v_cndmask_b32_e64 v56, v56, 0, vcc_lo
	v_add_nc_u32_e32 v55, v56, v55
	s_delay_alu instid0(VALU_DEP_1) | instskip(NEXT) | instid1(VALU_DEP_1)
	v_mov_b32_dpp v56, v55 row_shr:2 row_mask:0xf bank_mask:0xf
	v_cndmask_b32_e64 v56, 0, v56, s3
	s_delay_alu instid0(VALU_DEP_1) | instskip(NEXT) | instid1(VALU_DEP_1)
	v_add_nc_u32_e32 v55, v55, v56
	v_mov_b32_dpp v56, v55 row_shr:4 row_mask:0xf bank_mask:0xf
	s_delay_alu instid0(VALU_DEP_1) | instskip(NEXT) | instid1(VALU_DEP_1)
	v_cndmask_b32_e64 v56, 0, v56, s4
	v_add_nc_u32_e32 v55, v55, v56
	s_delay_alu instid0(VALU_DEP_1) | instskip(NEXT) | instid1(VALU_DEP_1)
	v_mov_b32_dpp v56, v55 row_shr:8 row_mask:0xf bank_mask:0xf
	v_cndmask_b32_e64 v56, 0, v56, s5
	s_delay_alu instid0(VALU_DEP_1)
	v_add_nc_u32_e32 v55, v55, v56
	ds_store_b32 v54, v55
.LBB1096_41:
	s_or_b32 exec_lo, exec_lo, s26
	v_mov_b32_e32 v54, 0
	s_mov_b32 s3, exec_lo
	s_wait_dscnt 0x0
	s_barrier_signal -1
	s_barrier_wait -1
	v_cmpx_lt_u32_e32 31, v32
; %bb.42:
	v_lshl_add_u32 v53, v53, 2, -4
	ds_load_b32 v54, v53
; %bb.43:
	s_or_b32 exec_lo, exec_lo, s3
	v_sub_co_u32 v53, vcc_lo, v33, 1
	s_wait_dscnt 0x0
	v_add_nc_u32_e32 v52, v54, v52
	s_delay_alu instid0(VALU_DEP_2) | instskip(NEXT) | instid1(VALU_DEP_1)
	v_cmp_gt_i32_e64 s3, 0, v53
	v_cndmask_b32_e64 v53, v53, v33, s3
	v_cmp_lt_u32_e64 s3, 0xff, v32
	s_delay_alu instid0(VALU_DEP_2) | instskip(SKIP_4) | instid1(VALU_DEP_2)
	v_lshlrev_b32_e32 v53, 2, v53
	ds_bpermute_b32 v52, v53, v52
	s_wait_dscnt 0x0
	v_cndmask_b32_e32 v52, v52, v54, vcc_lo
	v_cmp_gt_u32_e32 vcc_lo, 0x100, v32
	v_cndmask_b32_e64 v52, v52, 0, s2
	s_delay_alu instid0(VALU_DEP_1) | instskip(NEXT) | instid1(VALU_DEP_1)
	v_add_nc_u32_e32 v26, v52, v26
	v_add_nc_u32_e32 v27, v26, v27
	s_delay_alu instid0(VALU_DEP_1) | instskip(NEXT) | instid1(VALU_DEP_1)
	v_add_nc_u32_e32 v24, v27, v24
	v_add_nc_u32_e32 v25, v24, v25
	;; [unrolled: 3-line block ×4, first 2 shown]
	ds_store_2addr_b32 v3, v52, v26 offset0:16 offset1:17
	ds_store_2addr_b32 v3, v27, v24 offset0:18 offset1:19
	;; [unrolled: 1-line block ×4, first 2 shown]
	ds_store_b32 v3, v21 offset:96
	s_wait_dscnt 0x0
	s_barrier_signal -1
	s_barrier_wait -1
	ds_load_b32 v54, v28 offset:64
	ds_load_b32 v23, v29 offset:64
	;; [unrolled: 1-line block ×8, first 2 shown]
	v_mov_b64_e32 v[20:21], 0
                                        ; implicit-def: $vgpr22
	s_and_saveexec_b32 s5, vcc_lo
	s_cbranch_execz .LBB1096_47
; %bb.44:
	v_mul_u32_u24_e32 v3, 0x44, v32
	v_add_nc_u32_e32 v21, 1, v32
	s_mov_b32 s6, exec_lo
	ds_load_b32 v20, v3 offset:64
	v_mov_b32_e32 v3, 0x1000
	v_cmpx_ne_u32_e32 0x100, v21
; %bb.45:
	v_mul_u32_u24_e32 v3, 0x44, v21
	ds_load_b32 v3, v3 offset:64
; %bb.46:
	s_or_b32 exec_lo, exec_lo, s6
	s_wait_dscnt 0x0
	v_dual_mov_b32 v21, 0 :: v_dual_sub_nc_u32 v22, v3, v20
.LBB1096_47:
	s_or_b32 exec_lo, exec_lo, s5
	v_mov_b32_e32 v25, 0
	s_wait_dscnt 0x0
	s_barrier_signal -1
	s_barrier_wait -1
	s_and_saveexec_b32 s4, vcc_lo
	s_cbranch_execz .LBB1096_57
; %bb.48:
	v_lshl_add_u32 v24, s19, 8, v32
	v_dual_mov_b32 v28, 0 :: v_dual_bitop2_b32 v3, 2.0, v22 bitop3:0x54
	s_mov_b32 s5, 0
	s_mov_b32 s6, s19
	s_delay_alu instid0(VALU_DEP_2)
	v_lshl_add_u64 v[26:27], v[24:25], 2, s[20:21]
	global_store_b32 v24, v3, s[20:21] scale_offset scope:SCOPE_DEV
                                        ; implicit-def: $sgpr26
	s_branch .LBB1096_51
.LBB1096_49:                            ;   in Loop: Header=BB1096_51 Depth=1
	s_or_b32 exec_lo, exec_lo, s27
.LBB1096_50:                            ;   in Loop: Header=BB1096_51 Depth=1
	s_delay_alu instid0(SALU_CYCLE_1) | instskip(SKIP_2) | instid1(VALU_DEP_2)
	s_or_b32 exec_lo, exec_lo, s26
	v_and_b32_e32 v24, 0x3fffffff, v3
	v_cmp_gt_i32_e64 s26, -2.0, v3
	v_add_nc_u32_e32 v28, v24, v28
	s_and_b32 s27, exec_lo, s26
	s_delay_alu instid0(SALU_CYCLE_1) | instskip(NEXT) | instid1(SALU_CYCLE_1)
	s_or_b32 s5, s27, s5
	s_and_not1_b32 exec_lo, exec_lo, s5
	s_cbranch_execz .LBB1096_56
.LBB1096_51:                            ; =>This Loop Header: Depth=1
                                        ;     Child Loop BB1096_54 Depth 2
	s_or_b32 s26, s26, exec_lo
	s_cmp_eq_u32 s6, 0
	s_cbranch_scc1 .LBB1096_55
; %bb.52:                               ;   in Loop: Header=BB1096_51 Depth=1
	s_add_co_i32 s6, s6, -1
	s_mov_b32 s26, exec_lo
	s_wait_xcnt 0x0
	v_lshl_or_b32 v24, s6, 8, v32
	global_load_b32 v3, v24, s[20:21] scale_offset scope:SCOPE_DEV
	s_wait_loadcnt 0x0
	v_cmpx_gt_u32_e32 2.0, v3
	s_cbranch_execz .LBB1096_50
; %bb.53:                               ;   in Loop: Header=BB1096_51 Depth=1
	v_lshl_add_u64 v[30:31], v[24:25], 2, s[20:21]
	s_mov_b32 s27, 0
.LBB1096_54:                            ;   Parent Loop BB1096_51 Depth=1
                                        ; =>  This Inner Loop Header: Depth=2
	global_load_b32 v3, v[30:31], off scope:SCOPE_DEV
	s_wait_loadcnt 0x0
	v_cmp_lt_u32_e32 vcc_lo, 0x3fffffff, v3
	s_or_b32 s27, vcc_lo, s27
	s_wait_xcnt 0x0
	s_and_not1_b32 exec_lo, exec_lo, s27
	s_cbranch_execnz .LBB1096_54
	s_branch .LBB1096_49
.LBB1096_55:                            ;   in Loop: Header=BB1096_51 Depth=1
                                        ; implicit-def: $sgpr6
	s_and_b32 s27, exec_lo, s26
	s_delay_alu instid0(SALU_CYCLE_1)
	s_or_b32 s5, s27, s5
	s_wait_xcnt 0x0
	s_and_not1_b32 exec_lo, exec_lo, s5
	s_cbranch_execnz .LBB1096_51
.LBB1096_56:
	s_or_b32 exec_lo, exec_lo, s5
	v_dual_add_nc_u32 v3, v28, v22 :: v_dual_mov_b32 v29, 0
	s_delay_alu instid0(VALU_DEP_1)
	v_or_b32_e32 v3, 0x80000000, v3
	global_store_b32 v[26:27], v3, off scope:SCOPE_DEV
	global_load_b64 v[24:25], v32, s[8:9] scale_offset
	s_wait_xcnt 0x1
	v_sub_nc_u64_e32 v[26:27], v[28:29], v[20:21]
	s_wait_loadcnt 0x0
	s_delay_alu instid0(VALU_DEP_1)
	v_add_nc_u64_e32 v[24:25], v[26:27], v[24:25]
	ds_store_b64 v2, v[24:25]
.LBB1096_57:
	s_wait_xcnt 0x0
	s_or_b32 exec_lo, exec_lo, s4
	v_dual_mov_b32 v3, 0 :: v_dual_add_nc_u32 v1, v54, v1
	v_add3_u32 v26, v47, v48, v46
	v_add3_u32 v27, v44, v45, v42
	;; [unrolled: 1-line block ×3, first 2 shown]
	s_delay_alu instid0(VALU_DEP_4)
	v_add_nc_u64_e32 v[24:25], s[14:15], v[2:3]
	v_add3_u32 v3, v50, v51, v49
	v_add3_u32 v29, v39, v53, v38
	;; [unrolled: 1-line block ×4, first 2 shown]
	v_mov_b32_e32 v31, v32
	s_mov_b32 s5, -1
	v_add_nc_u64_e32 v[24:25], 0x3000, v[24:25]
	s_mov_b32 s4, 0
	s_branch .LBB1096_59
.LBB1096_58:                            ;   in Loop: Header=BB1096_59 Depth=1
	s_wait_xcnt 0x0
	s_or_b32 exec_lo, exec_lo, s6
	v_add_nc_u64_e32 v[24:25], 0x4000, v[24:25]
	v_add_nc_u32_e32 v31, 0x800, v31
	s_xor_b32 s5, s5, -1
	s_addk_co_i32 s4, 0xf800
	s_and_b32 vcc_lo, exec_lo, s5
	s_mov_b32 s5, 0
	s_wait_storecnt 0x0
	s_barrier_signal -1
	s_barrier_wait -1
	s_cbranch_vccnz .LBB1096_67
.LBB1096_59:                            ; =>This Inner Loop Header: Depth=1
	v_add_min_u32_e64 v34, v1, s4, 0x800
	v_add_min_u32_e64 v35, v23, s4, 0x800
	;; [unrolled: 1-line block ×5, first 2 shown]
	s_delay_alu instid0(VALU_DEP_4) | instskip(NEXT) | instid1(VALU_DEP_3)
	v_dual_lshlrev_b32 v34, 3, v34 :: v_dual_lshlrev_b32 v35, 3, v35
	v_dual_lshlrev_b32 v36, 3, v36 :: v_dual_lshlrev_b32 v37, 3, v37
	s_mov_b32 s6, exec_lo
	ds_store_b64 v34, v[6:7] offset:2048
	ds_store_b64 v35, v[4:5] offset:2048
	;; [unrolled: 1-line block ×3, first 2 shown]
	v_add_min_u32_e64 v34, v27, s4, 0x800
	v_add_min_u32_e64 v35, v26, s4, 0x800
	;; [unrolled: 1-line block ×3, first 2 shown]
	v_lshlrev_b32_e32 v38, 3, v38
	s_delay_alu instid0(VALU_DEP_3) | instskip(NEXT) | instid1(VALU_DEP_3)
	v_dual_lshlrev_b32 v34, 3, v34 :: v_dual_lshlrev_b32 v35, 3, v35
	v_lshlrev_b32_e32 v36, 3, v36
	ds_store_b64 v37, v[8:9] offset:2048
	ds_store_b64 v38, v[14:15] offset:2048
	;; [unrolled: 1-line block ×5, first 2 shown]
	s_wait_storecnt_dscnt 0x0
	s_barrier_signal -1
	s_barrier_wait -1
	v_cmpx_gt_u32_e64 s18, v31
	s_cbranch_execz .LBB1096_61
; %bb.60:                               ;   in Loop: Header=BB1096_59 Depth=1
	ds_load_b64 v[34:35], v2 offset:2048
	s_wait_dscnt 0x0
	v_lshrrev_b64 v[36:37], s16, v[34:35]
	v_xor_b32_e32 v35, 0x7fffffff, v35
	v_not_b32_e32 v34, v34
	s_delay_alu instid0(VALU_DEP_3) | instskip(NEXT) | instid1(VALU_DEP_1)
	v_and_b32_e32 v36, s25, v36
	v_lshlrev_b32_e32 v36, 3, v36
	ds_load_b64 v[36:37], v36
	s_wait_dscnt 0x0
	v_lshl_add_u64 v[36:37], v[36:37], 3, v[24:25]
	global_store_b64 v[36:37], v[34:35], off offset:-12288
.LBB1096_61:                            ;   in Loop: Header=BB1096_59 Depth=1
	s_wait_xcnt 0x0
	s_or_b32 exec_lo, exec_lo, s6
	v_add_nc_u32_e32 v34, 0x200, v31
	s_mov_b32 s6, exec_lo
	s_delay_alu instid0(VALU_DEP_1)
	v_cmpx_gt_u32_e64 s18, v34
	s_cbranch_execz .LBB1096_63
; %bb.62:                               ;   in Loop: Header=BB1096_59 Depth=1
	ds_load_b64 v[34:35], v2 offset:6144
	s_wait_dscnt 0x0
	v_lshrrev_b64 v[36:37], s16, v[34:35]
	v_xor_b32_e32 v35, 0x7fffffff, v35
	v_not_b32_e32 v34, v34
	s_delay_alu instid0(VALU_DEP_3) | instskip(NEXT) | instid1(VALU_DEP_1)
	v_and_b32_e32 v36, s25, v36
	v_lshlrev_b32_e32 v36, 3, v36
	ds_load_b64 v[36:37], v36
	s_wait_dscnt 0x0
	v_lshl_add_u64 v[36:37], v[36:37], 3, v[24:25]
	global_store_b64 v[36:37], v[34:35], off offset:-8192
.LBB1096_63:                            ;   in Loop: Header=BB1096_59 Depth=1
	s_wait_xcnt 0x0
	s_or_b32 exec_lo, exec_lo, s6
	v_add_nc_u32_e32 v34, 0x400, v31
	s_mov_b32 s6, exec_lo
	s_delay_alu instid0(VALU_DEP_1)
	;; [unrolled: 21-line block ×3, first 2 shown]
	v_cmpx_gt_u32_e64 s18, v34
	s_cbranch_execz .LBB1096_58
; %bb.66:                               ;   in Loop: Header=BB1096_59 Depth=1
	ds_load_b64 v[34:35], v2 offset:14336
	s_wait_dscnt 0x0
	v_lshrrev_b64 v[36:37], s16, v[34:35]
	v_xor_b32_e32 v35, 0x7fffffff, v35
	v_not_b32_e32 v34, v34
	s_delay_alu instid0(VALU_DEP_3) | instskip(NEXT) | instid1(VALU_DEP_1)
	v_and_b32_e32 v36, s25, v36
	v_lshlrev_b32_e32 v36, 3, v36
	ds_load_b64 v[36:37], v36
	s_wait_dscnt 0x0
	v_lshl_add_u64 v[36:37], v[36:37], 3, v[24:25]
	global_store_b64 v[36:37], v[34:35], off
	s_branch .LBB1096_58
.LBB1096_67:
	s_add_co_i32 s24, s24, -1
	s_delay_alu instid0(SALU_CYCLE_1) | instskip(SKIP_2) | instid1(SALU_CYCLE_1)
	s_cmp_eq_u32 s19, s24
	s_cselect_b32 s4, -1, 0
	s_xor_b32 s3, s3, -1
	s_and_b32 s4, s3, s4
	s_delay_alu instid0(SALU_CYCLE_1)
	s_and_saveexec_b32 s3, s4
	s_cbranch_execz .LBB1096_69
; %bb.68:
	ds_load_b64 v[4:5], v2
	v_mov_b32_e32 v23, 0
	s_delay_alu instid0(VALU_DEP_1) | instskip(SKIP_1) | instid1(VALU_DEP_1)
	v_add_nc_u64_e32 v[6:7], v[20:21], v[22:23]
	s_wait_dscnt 0x0
	v_add_nc_u64_e32 v[4:5], v[6:7], v[4:5]
	global_store_b64 v32, v[4:5], s[10:11] scale_offset
.LBB1096_69:
	s_wait_xcnt 0x0
	s_or_b32 exec_lo, exec_lo, s3
	s_mov_b32 s4, 0
.LBB1096_70:
	s_delay_alu instid0(SALU_CYCLE_1)
	s_and_b32 vcc_lo, exec_lo, s4
	s_cbranch_vccz .LBB1096_111
; %bb.71:
	s_lshl_b32 s4, s19, 12
	s_mov_b32 s5, 0
	v_dual_mov_b32 v21, 0 :: v_dual_lshlrev_b32 v20, 3, v33
	s_lshl_b64 s[24:25], s[4:5], 3
	v_lshlrev_b32_e32 v1, 6, v32
	s_add_nc_u64 s[12:13], s[12:13], s[24:25]
	s_bfe_u32 s3, ttmp6, 0x4000c
	v_add_nc_u64_e32 v[4:5], s[12:13], v[20:21]
	s_add_co_i32 s3, s3, 1
	v_and_b32_e32 v20, 0xf800, v1
	s_and_b32 s4, ttmp6, 15
	s_mul_i32 s3, ttmp9, s3
	v_bfe_u32 v3, v0, 10, 10
	s_add_co_i32 s4, s4, s3
	v_add_nc_u64_e32 v[4:5], v[4:5], v[20:21]
	s_cmp_eq_u32 s7, 0
	v_bfe_u32 v20, v0, 20, 10
	s_cselect_b32 s3, ttmp9, s4
	s_clause 0x7
	global_load_b64 v[22:23], v[4:5], off
	global_load_b64 v[18:19], v[4:5], off offset:256
	global_load_b64 v[6:7], v[4:5], off offset:512
	;; [unrolled: 1-line block ×7, first 2 shown]
	s_clause 0x1
	s_load_b32 s12, s[0:1], 0x58
	s_load_u16 s6, s[0:1], 0x66
	s_wait_kmcnt 0x0
	s_cmp_lt_u32 s3, s12
	s_cselect_b32 s4, 12, 18
	s_lshl_b32 s13, -1, s17
	s_add_nc_u64 s[0:1], s[22:23], s[4:5]
	s_load_u16 s0, s[0:1], 0x0
	s_wait_loadcnt 0x7
	v_xor_b32_e32 v5, 0x7fffffff, v23
	v_not_b32_e32 v4, v22
	s_delay_alu instid0(VALU_DEP_1) | instskip(SKIP_1) | instid1(VALU_DEP_2)
	v_lshrrev_b64 v[0:1], s16, v[4:5]
	v_mad_u32_u24 v1, v20, s6, v3
	v_bitop3_b32 v3, v0, 1, s13 bitop3:0x40
	v_bitop3_b32 v22, v0, s13, v0 bitop3:0x30
	s_wait_kmcnt 0x0
	s_delay_alu instid0(VALU_DEP_3) | instskip(NEXT) | instid1(VALU_DEP_3)
	v_mad_u32 v0, v1, s0, v32
	v_add_co_u32 v1, s0, v3, -1
	s_delay_alu instid0(VALU_DEP_1) | instskip(SKIP_3) | instid1(VALU_DEP_4)
	v_cndmask_b32_e64 v3, 0, 1, s0
	v_dual_lshlrev_b32 v20, 30, v22 :: v_dual_lshlrev_b32 v23, 29, v22
	v_dual_lshlrev_b32 v24, 28, v22 :: v_dual_lshlrev_b32 v25, 27, v22
	v_lshlrev_b32_e32 v26, 26, v22
	v_cmp_ne_u32_e32 vcc_lo, 0, v3
	s_delay_alu instid0(VALU_DEP_4)
	v_not_b32_e32 v3, v20
	v_cmp_gt_i32_e64 s0, 0, v20
	v_cmp_gt_i32_e64 s1, 0, v23
	v_not_b32_e32 v20, v23
	v_not_b32_e32 v23, v24
	v_dual_ashrrev_i32 v3, 31, v3 :: v_dual_bitop2_b32 v1, vcc_lo, v1 bitop3:0x14
	v_dual_lshlrev_b32 v27, 25, v22 :: v_dual_lshlrev_b32 v28, 24, v22
	v_cmp_gt_i32_e64 s3, 0, v24
	v_cmp_gt_i32_e64 s4, 0, v25
	v_not_b32_e32 v24, v25
	v_not_b32_e32 v25, v26
	v_dual_ashrrev_i32 v20, 31, v20 :: v_dual_ashrrev_i32 v23, 31, v23
	s_delay_alu instid0(VALU_DEP_3)
	v_dual_ashrrev_i32 v24, 31, v24 :: v_dual_bitop2_b32 v3, s0, v3 bitop3:0x14
	v_cmp_gt_i32_e64 s5, 0, v26
	v_cmp_gt_i32_e64 s6, 0, v27
	v_not_b32_e32 v26, v27
	v_not_b32_e32 v27, v28
	v_dual_ashrrev_i32 v25, 31, v25 :: v_dual_bitop2_b32 v20, s1, v20 bitop3:0x14
	v_xor_b32_e32 v23, s3, v23
	v_bitop3_b32 v1, v1, v3, exec_lo bitop3:0x80
	v_cmp_gt_i32_e64 s7, 0, v28
	v_dual_ashrrev_i32 v3, 31, v26 :: v_dual_ashrrev_i32 v26, 31, v27
	v_xor_b32_e32 v24, s4, v24
	v_dual_lshrrev_b32 v0, 5, v0 :: v_dual_bitop2_b32 v25, s5, v25 bitop3:0x14
	v_bitop3_b32 v1, v1, v23, v20 bitop3:0x80
	s_delay_alu instid0(VALU_DEP_4)
	v_xor_b32_e32 v3, s6, v3
	v_xor_b32_e32 v23, s7, v26
	v_mul_u32_u24_e32 v26, 36, v32
	v_lshlrev_b32_e32 v20, 2, v0
	v_bitop3_b32 v1, v1, v25, v24 bitop3:0x80
	s_not_b32 s7, s13
	ds_store_2addr_b32 v26, v21, v21 offset0:16 offset1:17
	ds_store_2addr_b32 v26, v21, v21 offset0:18 offset1:19
	;; [unrolled: 1-line block ×4, first 2 shown]
	v_mad_u32 v27, 0x44, v22, v20
	v_bitop3_b32 v0, v1, v23, v3 bitop3:0x80
	ds_store_b32 v26, v21 offset:96
	s_wait_storecnt 0x0
	s_wait_loadcnt_dscnt 0x0
	s_barrier_signal -1
	s_barrier_wait -1
	v_mbcnt_lo_u32_b32 v3, v0, 0
	v_cmp_ne_u32_e64 s0, 0, v0
	; wave barrier
	s_delay_alu instid0(VALU_DEP_2) | instskip(SKIP_1) | instid1(SALU_CYCLE_1)
	v_cmp_eq_u32_e32 vcc_lo, 0, v3
	s_and_b32 s1, s0, vcc_lo
	s_and_saveexec_b32 s0, s1
; %bb.72:
	v_bcnt_u32_b32 v0, v0, 0
	ds_store_b32 v27, v0 offset:64
; %bb.73:
	s_or_b32 exec_lo, exec_lo, s0
	v_xor_b32_e32 v1, 0x7fffffff, v19
	v_not_b32_e32 v0, v18
	; wave barrier
	s_delay_alu instid0(VALU_DEP_1) | instskip(NEXT) | instid1(VALU_DEP_1)
	v_lshrrev_b64 v[18:19], s16, v[0:1]
	v_and_b32_e32 v19, s7, v18
	v_bitop3_b32 v18, v18, 1, s7 bitop3:0x80
	s_delay_alu instid0(VALU_DEP_2) | instskip(NEXT) | instid1(VALU_DEP_2)
	v_lshlrev_b32_e32 v22, 30, v19
	v_add_co_u32 v18, s0, v18, -1
	s_delay_alu instid0(VALU_DEP_1) | instskip(NEXT) | instid1(VALU_DEP_1)
	v_cndmask_b32_e64 v21, 0, 1, s0
	v_cmp_ne_u32_e32 vcc_lo, 0, v21
	s_delay_alu instid0(VALU_DEP_4) | instskip(NEXT) | instid1(VALU_DEP_1)
	v_not_b32_e32 v21, v22
	v_dual_ashrrev_i32 v21, 31, v21 :: v_dual_bitop2_b32 v18, vcc_lo, v18 bitop3:0x14
	v_dual_lshlrev_b32 v23, 29, v19 :: v_dual_lshlrev_b32 v24, 28, v19
	v_dual_lshlrev_b32 v25, 27, v19 :: v_dual_lshlrev_b32 v29, 26, v19
	v_lshlrev_b32_e32 v30, 25, v19
	v_cmp_gt_i32_e64 s0, 0, v22
	s_delay_alu instid0(VALU_DEP_4)
	v_cmp_gt_i32_e64 s1, 0, v23
	v_not_b32_e32 v22, v23
	v_not_b32_e32 v23, v24
	v_mad_u32 v28, 0x44, v19, v20
	v_lshlrev_b32_e32 v19, 24, v19
	v_cmp_gt_i32_e64 s3, 0, v24
	v_cmp_gt_i32_e64 s4, 0, v25
	v_not_b32_e32 v24, v25
	v_not_b32_e32 v25, v29
	v_dual_ashrrev_i32 v22, 31, v22 :: v_dual_ashrrev_i32 v23, 31, v23
	s_delay_alu instid0(VALU_DEP_3) | instskip(SKIP_1) | instid1(VALU_DEP_3)
	v_dual_ashrrev_i32 v24, 31, v24 :: v_dual_bitop2_b32 v21, s0, v21 bitop3:0x14
	v_cmp_gt_i32_e64 s5, 0, v29
	v_dual_ashrrev_i32 v25, 31, v25 :: v_dual_bitop2_b32 v22, s1, v22 bitop3:0x14
	s_delay_alu instid0(VALU_DEP_3)
	v_bitop3_b32 v18, v18, v21, exec_lo bitop3:0x80
	v_not_b32_e32 v21, v30
	v_xor_b32_e32 v23, s3, v23
	v_not_b32_e32 v29, v19
	v_cmp_gt_i32_e64 s6, 0, v30
	v_xor_b32_e32 v24, s4, v24
	v_xor_b32_e32 v25, s5, v25
	v_ashrrev_i32_e32 v21, 31, v21
	v_bitop3_b32 v18, v18, v23, v22 bitop3:0x80
	v_cmp_gt_i32_e32 vcc_lo, 0, v19
	v_ashrrev_i32_e32 v19, 31, v29
	ds_load_b32 v30, v28 offset:64
	v_xor_b32_e32 v21, s6, v21
	v_bitop3_b32 v18, v18, v25, v24 bitop3:0x80
	v_xor_b32_e32 v19, vcc_lo, v19
	; wave barrier
	s_delay_alu instid0(VALU_DEP_1) | instskip(NEXT) | instid1(VALU_DEP_1)
	v_bitop3_b32 v18, v18, v19, v21 bitop3:0x80
	v_mbcnt_lo_u32_b32 v31, v18, 0
	v_cmp_ne_u32_e64 s0, 0, v18
	s_delay_alu instid0(VALU_DEP_2) | instskip(SKIP_1) | instid1(SALU_CYCLE_1)
	v_cmp_eq_u32_e32 vcc_lo, 0, v31
	s_and_b32 s1, s0, vcc_lo
	s_and_saveexec_b32 s0, s1
	s_cbranch_execz .LBB1096_75
; %bb.74:
	s_wait_dscnt 0x0
	v_bcnt_u32_b32 v18, v18, v30
	ds_store_b32 v28, v18 offset:64
.LBB1096_75:
	s_or_b32 exec_lo, exec_lo, s0
	v_xor_b32_e32 v7, 0x7fffffff, v7
	v_not_b32_e32 v6, v6
	; wave barrier
	s_delay_alu instid0(VALU_DEP_1) | instskip(NEXT) | instid1(VALU_DEP_1)
	v_lshrrev_b64 v[18:19], s16, v[6:7]
	v_and_b32_e32 v19, s7, v18
	v_bitop3_b32 v18, v18, 1, s7 bitop3:0x80
	s_delay_alu instid0(VALU_DEP_2) | instskip(NEXT) | instid1(VALU_DEP_2)
	v_lshlrev_b32_e32 v22, 30, v19
	v_add_co_u32 v18, s0, v18, -1
	s_delay_alu instid0(VALU_DEP_1) | instskip(NEXT) | instid1(VALU_DEP_1)
	v_cndmask_b32_e64 v21, 0, 1, s0
	v_cmp_ne_u32_e32 vcc_lo, 0, v21
	s_delay_alu instid0(VALU_DEP_4) | instskip(NEXT) | instid1(VALU_DEP_1)
	v_not_b32_e32 v21, v22
	v_dual_ashrrev_i32 v21, 31, v21 :: v_dual_bitop2_b32 v18, vcc_lo, v18 bitop3:0x14
	v_dual_lshlrev_b32 v23, 29, v19 :: v_dual_lshlrev_b32 v24, 28, v19
	v_dual_lshlrev_b32 v25, 27, v19 :: v_dual_lshlrev_b32 v34, 26, v19
	v_lshlrev_b32_e32 v35, 25, v19
	v_cmp_gt_i32_e64 s0, 0, v22
	s_delay_alu instid0(VALU_DEP_4)
	v_cmp_gt_i32_e64 s1, 0, v23
	v_not_b32_e32 v22, v23
	v_not_b32_e32 v23, v24
	v_mad_u32 v29, 0x44, v19, v20
	v_lshlrev_b32_e32 v19, 24, v19
	v_cmp_gt_i32_e64 s3, 0, v24
	v_cmp_gt_i32_e64 s4, 0, v25
	v_not_b32_e32 v24, v25
	v_not_b32_e32 v25, v34
	v_dual_ashrrev_i32 v22, 31, v22 :: v_dual_ashrrev_i32 v23, 31, v23
	s_delay_alu instid0(VALU_DEP_3) | instskip(SKIP_1) | instid1(VALU_DEP_3)
	v_dual_ashrrev_i32 v24, 31, v24 :: v_dual_bitop2_b32 v21, s0, v21 bitop3:0x14
	v_cmp_gt_i32_e64 s5, 0, v34
	v_dual_ashrrev_i32 v25, 31, v25 :: v_dual_bitop2_b32 v22, s1, v22 bitop3:0x14
	s_delay_alu instid0(VALU_DEP_3)
	v_bitop3_b32 v18, v18, v21, exec_lo bitop3:0x80
	v_not_b32_e32 v21, v35
	v_xor_b32_e32 v23, s3, v23
	v_not_b32_e32 v34, v19
	v_cmp_gt_i32_e64 s6, 0, v35
	v_xor_b32_e32 v24, s4, v24
	v_xor_b32_e32 v25, s5, v25
	v_ashrrev_i32_e32 v21, 31, v21
	v_bitop3_b32 v18, v18, v23, v22 bitop3:0x80
	v_cmp_gt_i32_e32 vcc_lo, 0, v19
	v_ashrrev_i32_e32 v19, 31, v34
	ds_load_b32 v34, v29 offset:64
	v_xor_b32_e32 v21, s6, v21
	v_bitop3_b32 v18, v18, v25, v24 bitop3:0x80
	v_xor_b32_e32 v19, vcc_lo, v19
	; wave barrier
	s_delay_alu instid0(VALU_DEP_1) | instskip(NEXT) | instid1(VALU_DEP_1)
	v_bitop3_b32 v18, v18, v19, v21 bitop3:0x80
	v_mbcnt_lo_u32_b32 v35, v18, 0
	v_cmp_ne_u32_e64 s0, 0, v18
	s_delay_alu instid0(VALU_DEP_2) | instskip(SKIP_1) | instid1(SALU_CYCLE_1)
	v_cmp_eq_u32_e32 vcc_lo, 0, v35
	s_and_b32 s1, s0, vcc_lo
	s_and_saveexec_b32 s0, s1
	s_cbranch_execz .LBB1096_77
; %bb.76:
	s_wait_dscnt 0x0
	v_bcnt_u32_b32 v18, v18, v34
	ds_store_b32 v29, v18 offset:64
.LBB1096_77:
	s_or_b32 exec_lo, exec_lo, s0
	v_xor_b32_e32 v9, 0x7fffffff, v9
	v_not_b32_e32 v8, v8
	; wave barrier
	s_delay_alu instid0(VALU_DEP_1) | instskip(NEXT) | instid1(VALU_DEP_1)
	v_lshrrev_b64 v[18:19], s16, v[8:9]
	v_and_b32_e32 v19, s7, v18
	v_bitop3_b32 v18, v18, 1, s7 bitop3:0x80
	s_delay_alu instid0(VALU_DEP_2) | instskip(NEXT) | instid1(VALU_DEP_2)
	v_lshlrev_b32_e32 v22, 30, v19
	v_add_co_u32 v18, s0, v18, -1
	s_delay_alu instid0(VALU_DEP_1) | instskip(NEXT) | instid1(VALU_DEP_1)
	v_cndmask_b32_e64 v21, 0, 1, s0
	v_cmp_ne_u32_e32 vcc_lo, 0, v21
	s_delay_alu instid0(VALU_DEP_4) | instskip(NEXT) | instid1(VALU_DEP_1)
	v_not_b32_e32 v21, v22
	v_dual_ashrrev_i32 v21, 31, v21 :: v_dual_bitop2_b32 v18, vcc_lo, v18 bitop3:0x14
	v_dual_lshlrev_b32 v23, 29, v19 :: v_dual_lshlrev_b32 v24, 28, v19
	v_dual_lshlrev_b32 v25, 27, v19 :: v_dual_lshlrev_b32 v36, 26, v19
	v_lshlrev_b32_e32 v37, 25, v19
	v_cmp_gt_i32_e64 s0, 0, v22
	s_delay_alu instid0(VALU_DEP_4)
	v_cmp_gt_i32_e64 s1, 0, v23
	v_not_b32_e32 v22, v23
	v_not_b32_e32 v23, v24
	v_mad_u32 v38, 0x44, v19, v20
	v_lshlrev_b32_e32 v19, 24, v19
	v_cmp_gt_i32_e64 s3, 0, v24
	v_cmp_gt_i32_e64 s4, 0, v25
	v_not_b32_e32 v24, v25
	v_not_b32_e32 v25, v36
	v_dual_ashrrev_i32 v22, 31, v22 :: v_dual_ashrrev_i32 v23, 31, v23
	s_delay_alu instid0(VALU_DEP_3) | instskip(SKIP_1) | instid1(VALU_DEP_3)
	v_dual_ashrrev_i32 v24, 31, v24 :: v_dual_bitop2_b32 v21, s0, v21 bitop3:0x14
	v_cmp_gt_i32_e64 s5, 0, v36
	v_dual_ashrrev_i32 v25, 31, v25 :: v_dual_bitop2_b32 v22, s1, v22 bitop3:0x14
	s_delay_alu instid0(VALU_DEP_3)
	v_bitop3_b32 v18, v18, v21, exec_lo bitop3:0x80
	v_not_b32_e32 v21, v37
	v_xor_b32_e32 v23, s3, v23
	v_not_b32_e32 v36, v19
	v_cmp_gt_i32_e64 s6, 0, v37
	v_xor_b32_e32 v24, s4, v24
	v_xor_b32_e32 v25, s5, v25
	v_ashrrev_i32_e32 v21, 31, v21
	v_bitop3_b32 v18, v18, v23, v22 bitop3:0x80
	v_cmp_gt_i32_e32 vcc_lo, 0, v19
	v_ashrrev_i32_e32 v19, 31, v36
	ds_load_b32 v36, v38 offset:64
	v_xor_b32_e32 v21, s6, v21
	v_bitop3_b32 v18, v18, v25, v24 bitop3:0x80
	v_xor_b32_e32 v19, vcc_lo, v19
	; wave barrier
	s_delay_alu instid0(VALU_DEP_1) | instskip(NEXT) | instid1(VALU_DEP_1)
	v_bitop3_b32 v18, v18, v19, v21 bitop3:0x80
	v_mbcnt_lo_u32_b32 v37, v18, 0
	v_cmp_ne_u32_e64 s0, 0, v18
	s_delay_alu instid0(VALU_DEP_2) | instskip(SKIP_1) | instid1(SALU_CYCLE_1)
	v_cmp_eq_u32_e32 vcc_lo, 0, v37
	s_and_b32 s1, s0, vcc_lo
	s_and_saveexec_b32 s0, s1
	s_cbranch_execz .LBB1096_79
; %bb.78:
	s_wait_dscnt 0x0
	v_bcnt_u32_b32 v18, v18, v36
	ds_store_b32 v38, v18 offset:64
.LBB1096_79:
	s_or_b32 exec_lo, exec_lo, s0
	v_xor_b32_e32 v11, 0x7fffffff, v11
	v_not_b32_e32 v10, v10
	; wave barrier
	s_delay_alu instid0(VALU_DEP_1) | instskip(NEXT) | instid1(VALU_DEP_1)
	v_lshrrev_b64 v[18:19], s16, v[10:11]
	v_and_b32_e32 v19, s7, v18
	v_bitop3_b32 v18, v18, 1, s7 bitop3:0x80
	s_delay_alu instid0(VALU_DEP_2) | instskip(NEXT) | instid1(VALU_DEP_2)
	v_lshlrev_b32_e32 v22, 30, v19
	v_add_co_u32 v18, s0, v18, -1
	s_delay_alu instid0(VALU_DEP_1) | instskip(NEXT) | instid1(VALU_DEP_1)
	v_cndmask_b32_e64 v21, 0, 1, s0
	v_cmp_ne_u32_e32 vcc_lo, 0, v21
	s_delay_alu instid0(VALU_DEP_4) | instskip(NEXT) | instid1(VALU_DEP_1)
	v_not_b32_e32 v21, v22
	v_dual_ashrrev_i32 v21, 31, v21 :: v_dual_bitop2_b32 v18, vcc_lo, v18 bitop3:0x14
	v_dual_lshlrev_b32 v23, 29, v19 :: v_dual_lshlrev_b32 v24, 28, v19
	v_dual_lshlrev_b32 v25, 27, v19 :: v_dual_lshlrev_b32 v39, 26, v19
	v_lshlrev_b32_e32 v40, 25, v19
	v_cmp_gt_i32_e64 s0, 0, v22
	s_delay_alu instid0(VALU_DEP_4)
	v_cmp_gt_i32_e64 s1, 0, v23
	v_not_b32_e32 v22, v23
	v_not_b32_e32 v23, v24
	v_mad_u32 v41, 0x44, v19, v20
	v_lshlrev_b32_e32 v19, 24, v19
	v_cmp_gt_i32_e64 s3, 0, v24
	v_cmp_gt_i32_e64 s4, 0, v25
	v_not_b32_e32 v24, v25
	v_not_b32_e32 v25, v39
	v_dual_ashrrev_i32 v22, 31, v22 :: v_dual_ashrrev_i32 v23, 31, v23
	s_delay_alu instid0(VALU_DEP_3) | instskip(SKIP_1) | instid1(VALU_DEP_3)
	v_dual_ashrrev_i32 v24, 31, v24 :: v_dual_bitop2_b32 v21, s0, v21 bitop3:0x14
	v_cmp_gt_i32_e64 s5, 0, v39
	v_dual_ashrrev_i32 v25, 31, v25 :: v_dual_bitop2_b32 v22, s1, v22 bitop3:0x14
	s_delay_alu instid0(VALU_DEP_3)
	v_bitop3_b32 v18, v18, v21, exec_lo bitop3:0x80
	v_not_b32_e32 v21, v40
	v_xor_b32_e32 v23, s3, v23
	v_not_b32_e32 v39, v19
	v_cmp_gt_i32_e64 s6, 0, v40
	v_xor_b32_e32 v24, s4, v24
	v_xor_b32_e32 v25, s5, v25
	v_ashrrev_i32_e32 v21, 31, v21
	v_bitop3_b32 v18, v18, v23, v22 bitop3:0x80
	v_cmp_gt_i32_e32 vcc_lo, 0, v19
	v_ashrrev_i32_e32 v19, 31, v39
	ds_load_b32 v39, v41 offset:64
	v_xor_b32_e32 v21, s6, v21
	v_bitop3_b32 v18, v18, v25, v24 bitop3:0x80
	v_xor_b32_e32 v19, vcc_lo, v19
	; wave barrier
	s_delay_alu instid0(VALU_DEP_1) | instskip(NEXT) | instid1(VALU_DEP_1)
	v_bitop3_b32 v18, v18, v19, v21 bitop3:0x80
	v_mbcnt_lo_u32_b32 v40, v18, 0
	v_cmp_ne_u32_e64 s0, 0, v18
	s_delay_alu instid0(VALU_DEP_2) | instskip(SKIP_1) | instid1(SALU_CYCLE_1)
	v_cmp_eq_u32_e32 vcc_lo, 0, v40
	s_and_b32 s1, s0, vcc_lo
	s_and_saveexec_b32 s0, s1
	s_cbranch_execz .LBB1096_81
; %bb.80:
	s_wait_dscnt 0x0
	v_bcnt_u32_b32 v18, v18, v39
	ds_store_b32 v41, v18 offset:64
.LBB1096_81:
	s_or_b32 exec_lo, exec_lo, s0
	v_xor_b32_e32 v15, 0x7fffffff, v15
	v_not_b32_e32 v14, v14
	; wave barrier
	s_delay_alu instid0(VALU_DEP_1) | instskip(NEXT) | instid1(VALU_DEP_1)
	v_lshrrev_b64 v[18:19], s16, v[14:15]
	v_and_b32_e32 v19, s7, v18
	v_bitop3_b32 v18, v18, 1, s7 bitop3:0x80
	s_delay_alu instid0(VALU_DEP_2) | instskip(NEXT) | instid1(VALU_DEP_2)
	v_lshlrev_b32_e32 v22, 30, v19
	v_add_co_u32 v18, s0, v18, -1
	s_delay_alu instid0(VALU_DEP_1) | instskip(NEXT) | instid1(VALU_DEP_1)
	v_cndmask_b32_e64 v21, 0, 1, s0
	v_cmp_ne_u32_e32 vcc_lo, 0, v21
	s_delay_alu instid0(VALU_DEP_4) | instskip(NEXT) | instid1(VALU_DEP_1)
	v_not_b32_e32 v21, v22
	v_dual_ashrrev_i32 v21, 31, v21 :: v_dual_bitop2_b32 v18, vcc_lo, v18 bitop3:0x14
	v_dual_lshlrev_b32 v23, 29, v19 :: v_dual_lshlrev_b32 v24, 28, v19
	v_dual_lshlrev_b32 v25, 27, v19 :: v_dual_lshlrev_b32 v42, 26, v19
	v_lshlrev_b32_e32 v43, 25, v19
	v_cmp_gt_i32_e64 s0, 0, v22
	s_delay_alu instid0(VALU_DEP_4)
	v_cmp_gt_i32_e64 s1, 0, v23
	v_not_b32_e32 v22, v23
	v_not_b32_e32 v23, v24
	v_mad_u32 v44, 0x44, v19, v20
	v_lshlrev_b32_e32 v19, 24, v19
	v_cmp_gt_i32_e64 s3, 0, v24
	v_cmp_gt_i32_e64 s4, 0, v25
	v_not_b32_e32 v24, v25
	v_not_b32_e32 v25, v42
	v_dual_ashrrev_i32 v22, 31, v22 :: v_dual_ashrrev_i32 v23, 31, v23
	s_delay_alu instid0(VALU_DEP_3) | instskip(SKIP_1) | instid1(VALU_DEP_3)
	v_dual_ashrrev_i32 v24, 31, v24 :: v_dual_bitop2_b32 v21, s0, v21 bitop3:0x14
	v_cmp_gt_i32_e64 s5, 0, v42
	v_dual_ashrrev_i32 v25, 31, v25 :: v_dual_bitop2_b32 v22, s1, v22 bitop3:0x14
	s_delay_alu instid0(VALU_DEP_3)
	v_bitop3_b32 v18, v18, v21, exec_lo bitop3:0x80
	v_not_b32_e32 v21, v43
	v_xor_b32_e32 v23, s3, v23
	v_not_b32_e32 v42, v19
	v_cmp_gt_i32_e64 s6, 0, v43
	v_xor_b32_e32 v24, s4, v24
	v_xor_b32_e32 v25, s5, v25
	v_ashrrev_i32_e32 v21, 31, v21
	v_bitop3_b32 v18, v18, v23, v22 bitop3:0x80
	v_cmp_gt_i32_e32 vcc_lo, 0, v19
	v_ashrrev_i32_e32 v19, 31, v42
	ds_load_b32 v42, v44 offset:64
	v_xor_b32_e32 v21, s6, v21
	v_bitop3_b32 v18, v18, v25, v24 bitop3:0x80
	v_xor_b32_e32 v19, vcc_lo, v19
	; wave barrier
	s_delay_alu instid0(VALU_DEP_1) | instskip(NEXT) | instid1(VALU_DEP_1)
	v_bitop3_b32 v18, v18, v19, v21 bitop3:0x80
	v_mbcnt_lo_u32_b32 v43, v18, 0
	v_cmp_ne_u32_e64 s0, 0, v18
	s_delay_alu instid0(VALU_DEP_2) | instskip(SKIP_1) | instid1(SALU_CYCLE_1)
	v_cmp_eq_u32_e32 vcc_lo, 0, v43
	s_and_b32 s1, s0, vcc_lo
	s_and_saveexec_b32 s0, s1
	s_cbranch_execz .LBB1096_83
; %bb.82:
	s_wait_dscnt 0x0
	v_bcnt_u32_b32 v18, v18, v42
	ds_store_b32 v44, v18 offset:64
.LBB1096_83:
	s_or_b32 exec_lo, exec_lo, s0
	v_xor_b32_e32 v17, 0x7fffffff, v17
	v_not_b32_e32 v16, v16
	; wave barrier
	s_delay_alu instid0(VALU_DEP_1) | instskip(NEXT) | instid1(VALU_DEP_1)
	v_lshrrev_b64 v[18:19], s16, v[16:17]
	v_and_b32_e32 v19, s7, v18
	v_bitop3_b32 v18, v18, 1, s7 bitop3:0x80
	s_delay_alu instid0(VALU_DEP_2) | instskip(NEXT) | instid1(VALU_DEP_2)
	v_lshlrev_b32_e32 v22, 30, v19
	v_add_co_u32 v18, s0, v18, -1
	s_delay_alu instid0(VALU_DEP_1) | instskip(NEXT) | instid1(VALU_DEP_1)
	v_cndmask_b32_e64 v21, 0, 1, s0
	v_cmp_ne_u32_e32 vcc_lo, 0, v21
	s_delay_alu instid0(VALU_DEP_4) | instskip(NEXT) | instid1(VALU_DEP_1)
	v_not_b32_e32 v21, v22
	v_dual_ashrrev_i32 v21, 31, v21 :: v_dual_bitop2_b32 v18, vcc_lo, v18 bitop3:0x14
	v_dual_lshlrev_b32 v23, 29, v19 :: v_dual_lshlrev_b32 v24, 28, v19
	v_dual_lshlrev_b32 v25, 27, v19 :: v_dual_lshlrev_b32 v45, 26, v19
	v_lshlrev_b32_e32 v46, 25, v19
	v_cmp_gt_i32_e64 s0, 0, v22
	s_delay_alu instid0(VALU_DEP_4)
	v_cmp_gt_i32_e64 s1, 0, v23
	v_not_b32_e32 v22, v23
	v_not_b32_e32 v23, v24
	v_mad_u32 v47, 0x44, v19, v20
	v_lshlrev_b32_e32 v19, 24, v19
	v_cmp_gt_i32_e64 s3, 0, v24
	v_cmp_gt_i32_e64 s4, 0, v25
	v_not_b32_e32 v24, v25
	v_not_b32_e32 v25, v45
	v_dual_ashrrev_i32 v22, 31, v22 :: v_dual_ashrrev_i32 v23, 31, v23
	s_delay_alu instid0(VALU_DEP_3) | instskip(SKIP_1) | instid1(VALU_DEP_3)
	v_dual_ashrrev_i32 v24, 31, v24 :: v_dual_bitop2_b32 v21, s0, v21 bitop3:0x14
	v_cmp_gt_i32_e64 s5, 0, v45
	v_dual_ashrrev_i32 v25, 31, v25 :: v_dual_bitop2_b32 v22, s1, v22 bitop3:0x14
	s_delay_alu instid0(VALU_DEP_3)
	v_bitop3_b32 v18, v18, v21, exec_lo bitop3:0x80
	v_not_b32_e32 v21, v46
	v_xor_b32_e32 v23, s3, v23
	v_not_b32_e32 v45, v19
	v_cmp_gt_i32_e64 s6, 0, v46
	v_xor_b32_e32 v24, s4, v24
	v_xor_b32_e32 v25, s5, v25
	v_ashrrev_i32_e32 v21, 31, v21
	v_bitop3_b32 v18, v18, v23, v22 bitop3:0x80
	v_cmp_gt_i32_e32 vcc_lo, 0, v19
	v_ashrrev_i32_e32 v19, 31, v45
	ds_load_b32 v45, v47 offset:64
	v_xor_b32_e32 v21, s6, v21
	v_bitop3_b32 v18, v18, v25, v24 bitop3:0x80
	v_xor_b32_e32 v19, vcc_lo, v19
	; wave barrier
	s_delay_alu instid0(VALU_DEP_1) | instskip(NEXT) | instid1(VALU_DEP_1)
	v_bitop3_b32 v18, v18, v19, v21 bitop3:0x80
	v_mbcnt_lo_u32_b32 v46, v18, 0
	v_cmp_ne_u32_e64 s0, 0, v18
	s_delay_alu instid0(VALU_DEP_2) | instskip(SKIP_1) | instid1(SALU_CYCLE_1)
	v_cmp_eq_u32_e32 vcc_lo, 0, v46
	s_and_b32 s1, s0, vcc_lo
	s_and_saveexec_b32 s0, s1
	s_cbranch_execz .LBB1096_85
; %bb.84:
	s_wait_dscnt 0x0
	v_bcnt_u32_b32 v18, v18, v45
	ds_store_b32 v47, v18 offset:64
.LBB1096_85:
	s_or_b32 exec_lo, exec_lo, s0
	v_xor_b32_e32 v13, 0x7fffffff, v13
	v_not_b32_e32 v12, v12
	; wave barrier
	s_delay_alu instid0(VALU_DEP_1) | instskip(NEXT) | instid1(VALU_DEP_1)
	v_lshrrev_b64 v[18:19], s16, v[12:13]
	v_and_b32_e32 v19, s7, v18
	v_bitop3_b32 v18, v18, 1, s7 bitop3:0x80
	s_delay_alu instid0(VALU_DEP_2) | instskip(NEXT) | instid1(VALU_DEP_2)
	v_mad_u32 v50, 0x44, v19, v20
	v_add_co_u32 v18, s0, v18, -1
	s_delay_alu instid0(VALU_DEP_1) | instskip(SKIP_1) | instid1(VALU_DEP_2)
	v_cndmask_b32_e64 v20, 0, 1, s0
	v_lshlrev_b32_e32 v21, 30, v19
	v_cmp_ne_u32_e32 vcc_lo, 0, v20
	s_delay_alu instid0(VALU_DEP_2) | instskip(NEXT) | instid1(VALU_DEP_1)
	v_not_b32_e32 v20, v21
	v_dual_ashrrev_i32 v20, 31, v20 :: v_dual_bitop2_b32 v18, vcc_lo, v18 bitop3:0x14
	v_dual_lshlrev_b32 v22, 29, v19 :: v_dual_lshlrev_b32 v23, 28, v19
	v_dual_lshlrev_b32 v24, 27, v19 :: v_dual_lshlrev_b32 v25, 26, v19
	v_lshlrev_b32_e32 v48, 25, v19
	v_cmp_gt_i32_e64 s0, 0, v21
	s_delay_alu instid0(VALU_DEP_4)
	v_cmp_gt_i32_e64 s1, 0, v22
	v_not_b32_e32 v21, v22
	v_not_b32_e32 v22, v23
	v_lshlrev_b32_e32 v19, 24, v19
	v_cmp_gt_i32_e64 s3, 0, v23
	v_cmp_gt_i32_e64 s4, 0, v24
	v_not_b32_e32 v23, v24
	v_not_b32_e32 v24, v25
	v_dual_ashrrev_i32 v21, 31, v21 :: v_dual_ashrrev_i32 v22, 31, v22
	s_delay_alu instid0(VALU_DEP_3) | instskip(SKIP_1) | instid1(VALU_DEP_3)
	v_dual_ashrrev_i32 v23, 31, v23 :: v_dual_bitop2_b32 v20, s0, v20 bitop3:0x14
	v_cmp_gt_i32_e64 s5, 0, v25
	v_dual_ashrrev_i32 v24, 31, v24 :: v_dual_bitop2_b32 v21, s1, v21 bitop3:0x14
	s_delay_alu instid0(VALU_DEP_3)
	v_bitop3_b32 v18, v18, v20, exec_lo bitop3:0x80
	v_not_b32_e32 v20, v48
	v_xor_b32_e32 v22, s3, v22
	v_not_b32_e32 v25, v19
	v_cmp_gt_i32_e64 s6, 0, v48
	v_xor_b32_e32 v23, s4, v23
	v_xor_b32_e32 v24, s5, v24
	v_ashrrev_i32_e32 v20, 31, v20
	v_bitop3_b32 v18, v18, v22, v21 bitop3:0x80
	v_cmp_gt_i32_e32 vcc_lo, 0, v19
	v_ashrrev_i32_e32 v19, 31, v25
	ds_load_b32 v48, v50 offset:64
	v_xor_b32_e32 v20, s6, v20
	v_bitop3_b32 v18, v18, v24, v23 bitop3:0x80
	v_xor_b32_e32 v19, vcc_lo, v19
	; wave barrier
	s_delay_alu instid0(VALU_DEP_1) | instskip(NEXT) | instid1(VALU_DEP_1)
	v_bitop3_b32 v18, v18, v19, v20 bitop3:0x80
	v_mbcnt_lo_u32_b32 v49, v18, 0
	v_cmp_ne_u32_e64 s0, 0, v18
	s_delay_alu instid0(VALU_DEP_2) | instskip(SKIP_1) | instid1(SALU_CYCLE_1)
	v_cmp_eq_u32_e32 vcc_lo, 0, v49
	s_and_b32 s1, s0, vcc_lo
	s_and_saveexec_b32 s0, s1
	s_cbranch_execz .LBB1096_87
; %bb.86:
	s_wait_dscnt 0x0
	v_bcnt_u32_b32 v18, v18, v48
	ds_store_b32 v50, v18 offset:64
.LBB1096_87:
	s_or_b32 exec_lo, exec_lo, s0
	; wave barrier
	s_wait_dscnt 0x0
	s_barrier_signal -1
	s_barrier_wait -1
	ds_load_2addr_b32 v[24:25], v26 offset0:16 offset1:17
	ds_load_2addr_b32 v[22:23], v26 offset0:18 offset1:19
	;; [unrolled: 1-line block ×4, first 2 shown]
	ds_load_b32 v51, v26 offset:96
	v_bfe_i32 v54, v33, 4, 1
	s_mov_b32 s5, exec_lo
	s_wait_dscnt 0x3
	v_add3_u32 v52, v25, v24, v22
	s_wait_dscnt 0x2
	s_delay_alu instid0(VALU_DEP_1) | instskip(SKIP_1) | instid1(VALU_DEP_1)
	v_add3_u32 v52, v52, v23, v20
	s_wait_dscnt 0x1
	v_add3_u32 v52, v52, v21, v18
	s_wait_dscnt 0x0
	s_delay_alu instid0(VALU_DEP_1) | instskip(SKIP_1) | instid1(VALU_DEP_2)
	v_add3_u32 v51, v52, v19, v51
	v_and_b32_e32 v52, 15, v33
	v_mov_b32_dpp v53, v51 row_shr:1 row_mask:0xf bank_mask:0xf
	s_delay_alu instid0(VALU_DEP_2) | instskip(NEXT) | instid1(VALU_DEP_2)
	v_cmp_eq_u32_e32 vcc_lo, 0, v52
	v_cndmask_b32_e64 v53, v53, 0, vcc_lo
	s_delay_alu instid0(VALU_DEP_1) | instskip(SKIP_3) | instid1(VALU_DEP_4)
	v_add_nc_u32_e32 v51, v53, v51
	v_cmp_lt_u32_e64 s0, 1, v52
	v_cmp_lt_u32_e64 s1, 3, v52
	;; [unrolled: 1-line block ×3, first 2 shown]
	v_mov_b32_dpp v53, v51 row_shr:2 row_mask:0xf bank_mask:0xf
	s_delay_alu instid0(VALU_DEP_1) | instskip(NEXT) | instid1(VALU_DEP_1)
	v_cndmask_b32_e64 v53, 0, v53, s0
	v_add_nc_u32_e32 v51, v51, v53
	s_delay_alu instid0(VALU_DEP_1) | instskip(NEXT) | instid1(VALU_DEP_1)
	v_mov_b32_dpp v53, v51 row_shr:4 row_mask:0xf bank_mask:0xf
	v_cndmask_b32_e64 v53, 0, v53, s1
	s_delay_alu instid0(VALU_DEP_1) | instskip(NEXT) | instid1(VALU_DEP_1)
	v_add_nc_u32_e32 v51, v51, v53
	v_mov_b32_dpp v53, v51 row_shr:8 row_mask:0xf bank_mask:0xf
	s_delay_alu instid0(VALU_DEP_1) | instskip(SKIP_1) | instid1(VALU_DEP_2)
	v_cndmask_b32_e64 v52, 0, v53, s3
	v_and_b32_e32 v53, 0x3e0, v32
	v_add_nc_u32_e32 v51, v51, v52
	s_delay_alu instid0(VALU_DEP_2) | instskip(SKIP_4) | instid1(VALU_DEP_1)
	v_min_u32_e32 v53, 0x1e0, v53
	ds_swizzle_b32 v52, v51 offset:swizzle(BROADCAST,32,15)
	v_or_b32_e32 v53, 31, v53
	s_wait_dscnt 0x0
	v_and_b32_e32 v54, v54, v52
	v_dual_lshrrev_b32 v52, 5, v32 :: v_dual_add_nc_u32 v51, v51, v54
	s_delay_alu instid0(VALU_DEP_3)
	v_cmpx_eq_u32_e64 v32, v53
; %bb.88:
	s_delay_alu instid0(VALU_DEP_2)
	v_lshlrev_b32_e32 v53, 2, v52
	ds_store_b32 v53, v51
; %bb.89:
	s_or_b32 exec_lo, exec_lo, s5
	s_delay_alu instid0(SALU_CYCLE_1)
	s_mov_b32 s5, exec_lo
	s_wait_dscnt 0x0
	s_barrier_signal -1
	s_barrier_wait -1
	v_cmpx_gt_u32_e32 16, v32
	s_cbranch_execz .LBB1096_91
; %bb.90:
	v_lshlrev_b32_e32 v53, 2, v32
	ds_load_b32 v54, v53
	s_wait_dscnt 0x0
	v_mov_b32_dpp v55, v54 row_shr:1 row_mask:0xf bank_mask:0xf
	s_delay_alu instid0(VALU_DEP_1) | instskip(NEXT) | instid1(VALU_DEP_1)
	v_cndmask_b32_e64 v55, v55, 0, vcc_lo
	v_add_nc_u32_e32 v54, v55, v54
	s_delay_alu instid0(VALU_DEP_1) | instskip(NEXT) | instid1(VALU_DEP_1)
	v_mov_b32_dpp v55, v54 row_shr:2 row_mask:0xf bank_mask:0xf
	v_cndmask_b32_e64 v55, 0, v55, s0
	s_delay_alu instid0(VALU_DEP_1) | instskip(NEXT) | instid1(VALU_DEP_1)
	v_add_nc_u32_e32 v54, v54, v55
	v_mov_b32_dpp v55, v54 row_shr:4 row_mask:0xf bank_mask:0xf
	s_delay_alu instid0(VALU_DEP_1) | instskip(NEXT) | instid1(VALU_DEP_1)
	v_cndmask_b32_e64 v55, 0, v55, s1
	v_add_nc_u32_e32 v54, v54, v55
	s_delay_alu instid0(VALU_DEP_1) | instskip(NEXT) | instid1(VALU_DEP_1)
	v_mov_b32_dpp v55, v54 row_shr:8 row_mask:0xf bank_mask:0xf
	v_cndmask_b32_e64 v55, 0, v55, s3
	s_delay_alu instid0(VALU_DEP_1)
	v_add_nc_u32_e32 v54, v54, v55
	ds_store_b32 v53, v54
.LBB1096_91:
	s_or_b32 exec_lo, exec_lo, s5
	v_mov_b32_e32 v53, 0
	s_mov_b32 s0, exec_lo
	s_wait_dscnt 0x0
	s_barrier_signal -1
	s_barrier_wait -1
	v_cmpx_lt_u32_e32 31, v32
; %bb.92:
	v_lshl_add_u32 v52, v52, 2, -4
	ds_load_b32 v53, v52
; %bb.93:
	s_or_b32 exec_lo, exec_lo, s0
	v_sub_co_u32 v52, vcc_lo, v33, 1
	s_wait_dscnt 0x0
	v_add_nc_u32_e32 v51, v53, v51
	s_delay_alu instid0(VALU_DEP_2) | instskip(NEXT) | instid1(VALU_DEP_1)
	v_cmp_gt_i32_e64 s0, 0, v52
	v_cndmask_b32_e64 v33, v52, v33, s0
	v_cmp_lt_u32_e64 s0, 0xff, v32
	s_delay_alu instid0(VALU_DEP_2) | instskip(SKIP_4) | instid1(VALU_DEP_2)
	v_lshlrev_b32_e32 v33, 2, v33
	ds_bpermute_b32 v33, v33, v51
	s_wait_dscnt 0x0
	v_cndmask_b32_e32 v33, v33, v53, vcc_lo
	v_cmp_gt_u32_e32 vcc_lo, 0x100, v32
	v_cndmask_b32_e64 v33, v33, 0, s2
	s_delay_alu instid0(VALU_DEP_1) | instskip(NEXT) | instid1(VALU_DEP_1)
	v_add_nc_u32_e32 v24, v33, v24
	v_add_nc_u32_e32 v25, v24, v25
	s_delay_alu instid0(VALU_DEP_1) | instskip(NEXT) | instid1(VALU_DEP_1)
	v_add_nc_u32_e32 v22, v25, v22
	v_add_nc_u32_e32 v23, v22, v23
	;; [unrolled: 3-line block ×4, first 2 shown]
	ds_store_2addr_b32 v26, v33, v24 offset0:16 offset1:17
	ds_store_2addr_b32 v26, v25, v22 offset0:18 offset1:19
	;; [unrolled: 1-line block ×4, first 2 shown]
	ds_store_b32 v26, v19 offset:96
	s_wait_dscnt 0x0
	s_barrier_signal -1
	s_barrier_wait -1
	ds_load_b32 v51, v27 offset:64
	ds_load_b32 v21, v28 offset:64
	;; [unrolled: 1-line block ×8, first 2 shown]
	v_mov_b64_e32 v[18:19], 0
                                        ; implicit-def: $vgpr20
	s_and_saveexec_b32 s2, vcc_lo
	s_cbranch_execz .LBB1096_97
; %bb.94:
	v_mul_u32_u24_e32 v18, 0x44, v32
	v_dual_mov_b32 v19, 0x1000 :: v_dual_add_nc_u32 v20, 1, v32
	s_mov_b32 s3, exec_lo
	ds_load_b32 v18, v18 offset:64
	v_cmpx_ne_u32_e32 0x100, v20
; %bb.95:
	v_mul_u32_u24_e32 v19, 0x44, v20
	ds_load_b32 v19, v19 offset:64
; %bb.96:
	s_or_b32 exec_lo, exec_lo, s3
	s_wait_dscnt 0x0
	v_dual_mov_b32 v19, 0 :: v_dual_sub_nc_u32 v20, v19, v18
.LBB1096_97:
	s_or_b32 exec_lo, exec_lo, s2
	v_mov_b32_e32 v23, 0
	s_wait_dscnt 0x0
	s_barrier_signal -1
	s_barrier_wait -1
	s_and_saveexec_b32 s1, vcc_lo
	s_cbranch_execz .LBB1096_107
; %bb.98:
	v_lshl_add_u32 v22, s19, 8, v32
	v_dual_mov_b32 v26, 0 :: v_dual_bitop2_b32 v27, 2.0, v20 bitop3:0x54
	s_mov_b32 s2, 0
	s_mov_b32 s3, s19
	s_delay_alu instid0(VALU_DEP_2)
	v_lshl_add_u64 v[24:25], v[22:23], 2, s[20:21]
	global_store_b32 v22, v27, s[20:21] scale_offset scope:SCOPE_DEV
                                        ; implicit-def: $sgpr4
	s_branch .LBB1096_101
.LBB1096_99:                            ;   in Loop: Header=BB1096_101 Depth=1
	s_or_b32 exec_lo, exec_lo, s5
.LBB1096_100:                           ;   in Loop: Header=BB1096_101 Depth=1
	s_delay_alu instid0(SALU_CYCLE_1) | instskip(SKIP_2) | instid1(VALU_DEP_2)
	s_or_b32 exec_lo, exec_lo, s4
	v_and_b32_e32 v22, 0x3fffffff, v27
	v_cmp_gt_i32_e64 s4, -2.0, v27
	v_add_nc_u32_e32 v26, v22, v26
	s_and_b32 s5, exec_lo, s4
	s_delay_alu instid0(SALU_CYCLE_1) | instskip(NEXT) | instid1(SALU_CYCLE_1)
	s_or_b32 s2, s5, s2
	s_and_not1_b32 exec_lo, exec_lo, s2
	s_cbranch_execz .LBB1096_106
.LBB1096_101:                           ; =>This Loop Header: Depth=1
                                        ;     Child Loop BB1096_104 Depth 2
	s_or_b32 s4, s4, exec_lo
	s_cmp_eq_u32 s3, 0
	s_cbranch_scc1 .LBB1096_105
; %bb.102:                              ;   in Loop: Header=BB1096_101 Depth=1
	s_add_co_i32 s3, s3, -1
	s_mov_b32 s4, exec_lo
	s_wait_xcnt 0x0
	v_lshl_or_b32 v22, s3, 8, v32
	global_load_b32 v27, v22, s[20:21] scale_offset scope:SCOPE_DEV
	s_wait_loadcnt 0x0
	v_cmpx_gt_u32_e32 2.0, v27
	s_cbranch_execz .LBB1096_100
; %bb.103:                              ;   in Loop: Header=BB1096_101 Depth=1
	v_lshl_add_u64 v[28:29], v[22:23], 2, s[20:21]
	s_mov_b32 s5, 0
.LBB1096_104:                           ;   Parent Loop BB1096_101 Depth=1
                                        ; =>  This Inner Loop Header: Depth=2
	global_load_b32 v27, v[28:29], off scope:SCOPE_DEV
	s_wait_loadcnt 0x0
	v_cmp_lt_u32_e32 vcc_lo, 0x3fffffff, v27
	s_or_b32 s5, vcc_lo, s5
	s_wait_xcnt 0x0
	s_and_not1_b32 exec_lo, exec_lo, s5
	s_cbranch_execnz .LBB1096_104
	s_branch .LBB1096_99
.LBB1096_105:                           ;   in Loop: Header=BB1096_101 Depth=1
                                        ; implicit-def: $sgpr3
	s_and_b32 s5, exec_lo, s4
	s_delay_alu instid0(SALU_CYCLE_1)
	s_or_b32 s2, s5, s2
	s_wait_xcnt 0x0
	s_and_not1_b32 exec_lo, exec_lo, s2
	s_cbranch_execnz .LBB1096_101
.LBB1096_106:
	s_or_b32 exec_lo, exec_lo, s2
	v_dual_mov_b32 v27, 0 :: v_dual_add_nc_u32 v22, v26, v20
	s_delay_alu instid0(VALU_DEP_1) | instskip(SKIP_4) | instid1(VALU_DEP_1)
	v_or_b32_e32 v22, 0x80000000, v22
	global_store_b32 v[24:25], v22, off scope:SCOPE_DEV
	global_load_b64 v[22:23], v32, s[8:9] scale_offset
	v_sub_nc_u64_e32 v[24:25], v[26:27], v[18:19]
	s_wait_loadcnt 0x0
	v_add_nc_u64_e32 v[22:23], v[24:25], v[22:23]
	ds_store_b64 v2, v[22:23]
.LBB1096_107:
	s_wait_xcnt 0x0
	s_or_b32 exec_lo, exec_lo, s1
	v_dual_mov_b32 v3, 0 :: v_dual_add_nc_u32 v24, v51, v3
	v_add3_u32 v25, v49, v50, v48
	v_add3_u32 v26, v46, v47, v45
	;; [unrolled: 1-line block ×4, first 2 shown]
	v_add_nc_u64_e32 v[22:23], s[14:15], v[2:3]
	v_add3_u32 v29, v37, v38, v36
	v_add3_u32 v3, v35, v33, v34
	;; [unrolled: 1-line block ×3, first 2 shown]
	s_mov_b32 s2, -1
	s_mov_b32 s1, 0
.LBB1096_108:                           ; =>This Inner Loop Header: Depth=1
	s_wait_xcnt 0x3
	v_add_min_u32_e64 v30, v24, s1, 0x800
	v_add_min_u32_e64 v31, v21, s1, 0x800
	v_add_min_u32_e64 v33, v3, s1, 0x800
	v_add_min_u32_e64 v34, v29, s1, 0x800
	v_add_min_u32_e64 v35, v28, s1, 0x800
	s_wait_xcnt 0x2
	v_add_min_u32_e64 v36, v27, s1, 0x800
	v_add_min_u32_e64 v37, v26, s1, 0x800
	s_wait_xcnt 0x1
	v_add_min_u32_e64 v38, v25, s1, 0x800
	v_dual_lshlrev_b32 v30, 3, v30 :: v_dual_lshlrev_b32 v31, 3, v31
	v_dual_lshlrev_b32 v33, 3, v33 :: v_dual_lshlrev_b32 v34, 3, v34
	;; [unrolled: 1-line block ×3, first 2 shown]
	s_delay_alu instid0(VALU_DEP_4)
	v_dual_lshlrev_b32 v37, 3, v37 :: v_dual_lshlrev_b32 v38, 3, v38
	ds_store_b64 v30, v[4:5] offset:2048
	ds_store_b64 v31, v[0:1] offset:2048
	;; [unrolled: 1-line block ×8, first 2 shown]
	s_wait_storecnt_dscnt 0x0
	s_barrier_signal -1
	s_barrier_wait -1
	ds_load_2addr_stride64_b64 v[34:37], v2 offset0:4 offset1:12
	s_wait_xcnt 0x0
	ds_load_2addr_stride64_b64 v[38:41], v2 offset0:20 offset1:28
	s_addk_co_i32 s1, 0xf800
	s_and_b32 vcc_lo, exec_lo, s2
	s_mov_b32 s2, 0
	s_wait_dscnt 0x1
	v_lshrrev_b64 v[30:31], s16, v[34:35]
	s_wait_dscnt 0x0
	v_lshrrev_b64 v[44:45], s16, v[38:39]
	v_lshrrev_b64 v[42:43], s16, v[36:37]
	;; [unrolled: 1-line block ×3, first 2 shown]
	v_xor_b32_e32 v36, -1, v36
	v_xor_b32_e32 v35, 0x7fffffff, v35
	v_xor_b32_e32 v34, -1, v34
	v_xor_b32_e32 v37, 0x7fffffff, v37
	v_and_b32_e32 v33, s7, v44
	v_and_b32_e32 v31, s7, v42
	;; [unrolled: 1-line block ×3, first 2 shown]
	v_xor_b32_e32 v39, 0x7fffffff, v39
	s_delay_alu instid0(VALU_DEP_4) | instskip(NEXT) | instid1(VALU_DEP_4)
	v_dual_lshlrev_b32 v33, 3, v33 :: v_dual_bitop2_b32 v38, -1, v38 bitop3:0x14
	v_dual_lshlrev_b32 v43, 3, v31 :: v_dual_bitop2_b32 v30, s7, v30 bitop3:0x40
	s_delay_alu instid0(VALU_DEP_4) | instskip(SKIP_1) | instid1(VALU_DEP_3)
	v_lshlrev_b32_e32 v46, 3, v42
	v_xor_b32_e32 v41, 0x7fffffff, v41
	v_dual_lshlrev_b32 v30, 3, v30 :: v_dual_bitop2_b32 v40, -1, v40 bitop3:0x14
	ds_load_b64 v[30:31], v30
	ds_load_b64 v[42:43], v43
	;; [unrolled: 1-line block ×4, first 2 shown]
	s_wait_dscnt 0x3
	v_lshl_add_u64 v[30:31], v[30:31], 3, v[22:23]
	s_wait_dscnt 0x2
	v_lshl_add_u64 v[42:43], v[42:43], 3, v[22:23]
	;; [unrolled: 2-line block ×4, first 2 shown]
	v_add_nc_u64_e32 v[22:23], 0x4000, v[22:23]
	s_clause 0x3
	global_store_b64 v[30:31], v[34:35], off
	global_store_b64 v[42:43], v[36:37], off offset:4096
	global_store_b64 v[44:45], v[38:39], off offset:8192
	;; [unrolled: 1-line block ×3, first 2 shown]
	s_wait_storecnt 0x0
	s_barrier_signal -1
	s_barrier_wait -1
	s_cbranch_vccnz .LBB1096_108
; %bb.109:
	s_add_co_i32 s12, s12, -1
	s_delay_alu instid0(SALU_CYCLE_1) | instskip(SKIP_2) | instid1(SALU_CYCLE_1)
	s_cmp_eq_u32 s19, s12
	s_cselect_b32 s1, -1, 0
	s_xor_b32 s0, s0, -1
	s_and_b32 s0, s0, s1
	s_wait_xcnt 0x0
	s_and_saveexec_b32 s1, s0
	s_cbranch_execz .LBB1096_111
; %bb.110:
	ds_load_b64 v[0:1], v2
	v_mov_b32_e32 v21, 0
	s_delay_alu instid0(VALU_DEP_1) | instskip(SKIP_1) | instid1(VALU_DEP_1)
	v_add_nc_u64_e32 v[2:3], v[18:19], v[20:21]
	s_wait_dscnt 0x0
	v_add_nc_u64_e32 v[0:1], v[2:3], v[0:1]
	global_store_b64 v32, v[0:1], s[10:11] scale_offset
.LBB1096_111:
	s_endpgm
	.section	.rodata,"a",@progbits
	.p2align	6, 0x0
	.amdhsa_kernel _ZN7rocprim17ROCPRIM_400000_NS6detail17trampoline_kernelINS0_14default_configENS1_35radix_sort_onesweep_config_selectorIlNS0_10empty_typeEEEZZNS1_29radix_sort_onesweep_iterationIS3_Lb1EPKlPlPS5_SB_mNS0_19identity_decomposerENS1_16block_id_wrapperIjLb1EEEEE10hipError_tT1_PNSt15iterator_traitsISG_E10value_typeET2_T3_PNSH_ISM_E10value_typeET4_T5_PSR_SS_PNS1_23onesweep_lookback_stateEbbT6_jjT7_P12ihipStream_tbENKUlT_T0_SG_SL_E_clIS9_SA_SB_SB_EEDaSZ_S10_SG_SL_EUlSZ_E_NS1_11comp_targetILNS1_3genE0ELNS1_11target_archE4294967295ELNS1_3gpuE0ELNS1_3repE0EEENS1_47radix_sort_onesweep_sort_config_static_selectorELNS0_4arch9wavefront6targetE0EEEvSG_
		.amdhsa_group_segment_fixed_size 18504
		.amdhsa_private_segment_fixed_size 0
		.amdhsa_kernarg_size 344
		.amdhsa_user_sgpr_count 2
		.amdhsa_user_sgpr_dispatch_ptr 0
		.amdhsa_user_sgpr_queue_ptr 0
		.amdhsa_user_sgpr_kernarg_segment_ptr 1
		.amdhsa_user_sgpr_dispatch_id 0
		.amdhsa_user_sgpr_kernarg_preload_length 0
		.amdhsa_user_sgpr_kernarg_preload_offset 0
		.amdhsa_user_sgpr_private_segment_size 0
		.amdhsa_wavefront_size32 1
		.amdhsa_uses_dynamic_stack 0
		.amdhsa_enable_private_segment 0
		.amdhsa_system_sgpr_workgroup_id_x 1
		.amdhsa_system_sgpr_workgroup_id_y 0
		.amdhsa_system_sgpr_workgroup_id_z 0
		.amdhsa_system_sgpr_workgroup_info 0
		.amdhsa_system_vgpr_workitem_id 2
		.amdhsa_next_free_vgpr 57
		.amdhsa_next_free_sgpr 28
		.amdhsa_named_barrier_count 0
		.amdhsa_reserve_vcc 1
		.amdhsa_float_round_mode_32 0
		.amdhsa_float_round_mode_16_64 0
		.amdhsa_float_denorm_mode_32 3
		.amdhsa_float_denorm_mode_16_64 3
		.amdhsa_fp16_overflow 0
		.amdhsa_memory_ordered 1
		.amdhsa_forward_progress 1
		.amdhsa_inst_pref_size 90
		.amdhsa_round_robin_scheduling 0
		.amdhsa_exception_fp_ieee_invalid_op 0
		.amdhsa_exception_fp_denorm_src 0
		.amdhsa_exception_fp_ieee_div_zero 0
		.amdhsa_exception_fp_ieee_overflow 0
		.amdhsa_exception_fp_ieee_underflow 0
		.amdhsa_exception_fp_ieee_inexact 0
		.amdhsa_exception_int_div_zero 0
	.end_amdhsa_kernel
	.section	.text._ZN7rocprim17ROCPRIM_400000_NS6detail17trampoline_kernelINS0_14default_configENS1_35radix_sort_onesweep_config_selectorIlNS0_10empty_typeEEEZZNS1_29radix_sort_onesweep_iterationIS3_Lb1EPKlPlPS5_SB_mNS0_19identity_decomposerENS1_16block_id_wrapperIjLb1EEEEE10hipError_tT1_PNSt15iterator_traitsISG_E10value_typeET2_T3_PNSH_ISM_E10value_typeET4_T5_PSR_SS_PNS1_23onesweep_lookback_stateEbbT6_jjT7_P12ihipStream_tbENKUlT_T0_SG_SL_E_clIS9_SA_SB_SB_EEDaSZ_S10_SG_SL_EUlSZ_E_NS1_11comp_targetILNS1_3genE0ELNS1_11target_archE4294967295ELNS1_3gpuE0ELNS1_3repE0EEENS1_47radix_sort_onesweep_sort_config_static_selectorELNS0_4arch9wavefront6targetE0EEEvSG_,"axG",@progbits,_ZN7rocprim17ROCPRIM_400000_NS6detail17trampoline_kernelINS0_14default_configENS1_35radix_sort_onesweep_config_selectorIlNS0_10empty_typeEEEZZNS1_29radix_sort_onesweep_iterationIS3_Lb1EPKlPlPS5_SB_mNS0_19identity_decomposerENS1_16block_id_wrapperIjLb1EEEEE10hipError_tT1_PNSt15iterator_traitsISG_E10value_typeET2_T3_PNSH_ISM_E10value_typeET4_T5_PSR_SS_PNS1_23onesweep_lookback_stateEbbT6_jjT7_P12ihipStream_tbENKUlT_T0_SG_SL_E_clIS9_SA_SB_SB_EEDaSZ_S10_SG_SL_EUlSZ_E_NS1_11comp_targetILNS1_3genE0ELNS1_11target_archE4294967295ELNS1_3gpuE0ELNS1_3repE0EEENS1_47radix_sort_onesweep_sort_config_static_selectorELNS0_4arch9wavefront6targetE0EEEvSG_,comdat
.Lfunc_end1096:
	.size	_ZN7rocprim17ROCPRIM_400000_NS6detail17trampoline_kernelINS0_14default_configENS1_35radix_sort_onesweep_config_selectorIlNS0_10empty_typeEEEZZNS1_29radix_sort_onesweep_iterationIS3_Lb1EPKlPlPS5_SB_mNS0_19identity_decomposerENS1_16block_id_wrapperIjLb1EEEEE10hipError_tT1_PNSt15iterator_traitsISG_E10value_typeET2_T3_PNSH_ISM_E10value_typeET4_T5_PSR_SS_PNS1_23onesweep_lookback_stateEbbT6_jjT7_P12ihipStream_tbENKUlT_T0_SG_SL_E_clIS9_SA_SB_SB_EEDaSZ_S10_SG_SL_EUlSZ_E_NS1_11comp_targetILNS1_3genE0ELNS1_11target_archE4294967295ELNS1_3gpuE0ELNS1_3repE0EEENS1_47radix_sort_onesweep_sort_config_static_selectorELNS0_4arch9wavefront6targetE0EEEvSG_, .Lfunc_end1096-_ZN7rocprim17ROCPRIM_400000_NS6detail17trampoline_kernelINS0_14default_configENS1_35radix_sort_onesweep_config_selectorIlNS0_10empty_typeEEEZZNS1_29radix_sort_onesweep_iterationIS3_Lb1EPKlPlPS5_SB_mNS0_19identity_decomposerENS1_16block_id_wrapperIjLb1EEEEE10hipError_tT1_PNSt15iterator_traitsISG_E10value_typeET2_T3_PNSH_ISM_E10value_typeET4_T5_PSR_SS_PNS1_23onesweep_lookback_stateEbbT6_jjT7_P12ihipStream_tbENKUlT_T0_SG_SL_E_clIS9_SA_SB_SB_EEDaSZ_S10_SG_SL_EUlSZ_E_NS1_11comp_targetILNS1_3genE0ELNS1_11target_archE4294967295ELNS1_3gpuE0ELNS1_3repE0EEENS1_47radix_sort_onesweep_sort_config_static_selectorELNS0_4arch9wavefront6targetE0EEEvSG_
                                        ; -- End function
	.set _ZN7rocprim17ROCPRIM_400000_NS6detail17trampoline_kernelINS0_14default_configENS1_35radix_sort_onesweep_config_selectorIlNS0_10empty_typeEEEZZNS1_29radix_sort_onesweep_iterationIS3_Lb1EPKlPlPS5_SB_mNS0_19identity_decomposerENS1_16block_id_wrapperIjLb1EEEEE10hipError_tT1_PNSt15iterator_traitsISG_E10value_typeET2_T3_PNSH_ISM_E10value_typeET4_T5_PSR_SS_PNS1_23onesweep_lookback_stateEbbT6_jjT7_P12ihipStream_tbENKUlT_T0_SG_SL_E_clIS9_SA_SB_SB_EEDaSZ_S10_SG_SL_EUlSZ_E_NS1_11comp_targetILNS1_3genE0ELNS1_11target_archE4294967295ELNS1_3gpuE0ELNS1_3repE0EEENS1_47radix_sort_onesweep_sort_config_static_selectorELNS0_4arch9wavefront6targetE0EEEvSG_.num_vgpr, 57
	.set _ZN7rocprim17ROCPRIM_400000_NS6detail17trampoline_kernelINS0_14default_configENS1_35radix_sort_onesweep_config_selectorIlNS0_10empty_typeEEEZZNS1_29radix_sort_onesweep_iterationIS3_Lb1EPKlPlPS5_SB_mNS0_19identity_decomposerENS1_16block_id_wrapperIjLb1EEEEE10hipError_tT1_PNSt15iterator_traitsISG_E10value_typeET2_T3_PNSH_ISM_E10value_typeET4_T5_PSR_SS_PNS1_23onesweep_lookback_stateEbbT6_jjT7_P12ihipStream_tbENKUlT_T0_SG_SL_E_clIS9_SA_SB_SB_EEDaSZ_S10_SG_SL_EUlSZ_E_NS1_11comp_targetILNS1_3genE0ELNS1_11target_archE4294967295ELNS1_3gpuE0ELNS1_3repE0EEENS1_47radix_sort_onesweep_sort_config_static_selectorELNS0_4arch9wavefront6targetE0EEEvSG_.num_agpr, 0
	.set _ZN7rocprim17ROCPRIM_400000_NS6detail17trampoline_kernelINS0_14default_configENS1_35radix_sort_onesweep_config_selectorIlNS0_10empty_typeEEEZZNS1_29radix_sort_onesweep_iterationIS3_Lb1EPKlPlPS5_SB_mNS0_19identity_decomposerENS1_16block_id_wrapperIjLb1EEEEE10hipError_tT1_PNSt15iterator_traitsISG_E10value_typeET2_T3_PNSH_ISM_E10value_typeET4_T5_PSR_SS_PNS1_23onesweep_lookback_stateEbbT6_jjT7_P12ihipStream_tbENKUlT_T0_SG_SL_E_clIS9_SA_SB_SB_EEDaSZ_S10_SG_SL_EUlSZ_E_NS1_11comp_targetILNS1_3genE0ELNS1_11target_archE4294967295ELNS1_3gpuE0ELNS1_3repE0EEENS1_47radix_sort_onesweep_sort_config_static_selectorELNS0_4arch9wavefront6targetE0EEEvSG_.numbered_sgpr, 28
	.set _ZN7rocprim17ROCPRIM_400000_NS6detail17trampoline_kernelINS0_14default_configENS1_35radix_sort_onesweep_config_selectorIlNS0_10empty_typeEEEZZNS1_29radix_sort_onesweep_iterationIS3_Lb1EPKlPlPS5_SB_mNS0_19identity_decomposerENS1_16block_id_wrapperIjLb1EEEEE10hipError_tT1_PNSt15iterator_traitsISG_E10value_typeET2_T3_PNSH_ISM_E10value_typeET4_T5_PSR_SS_PNS1_23onesweep_lookback_stateEbbT6_jjT7_P12ihipStream_tbENKUlT_T0_SG_SL_E_clIS9_SA_SB_SB_EEDaSZ_S10_SG_SL_EUlSZ_E_NS1_11comp_targetILNS1_3genE0ELNS1_11target_archE4294967295ELNS1_3gpuE0ELNS1_3repE0EEENS1_47radix_sort_onesweep_sort_config_static_selectorELNS0_4arch9wavefront6targetE0EEEvSG_.num_named_barrier, 0
	.set _ZN7rocprim17ROCPRIM_400000_NS6detail17trampoline_kernelINS0_14default_configENS1_35radix_sort_onesweep_config_selectorIlNS0_10empty_typeEEEZZNS1_29radix_sort_onesweep_iterationIS3_Lb1EPKlPlPS5_SB_mNS0_19identity_decomposerENS1_16block_id_wrapperIjLb1EEEEE10hipError_tT1_PNSt15iterator_traitsISG_E10value_typeET2_T3_PNSH_ISM_E10value_typeET4_T5_PSR_SS_PNS1_23onesweep_lookback_stateEbbT6_jjT7_P12ihipStream_tbENKUlT_T0_SG_SL_E_clIS9_SA_SB_SB_EEDaSZ_S10_SG_SL_EUlSZ_E_NS1_11comp_targetILNS1_3genE0ELNS1_11target_archE4294967295ELNS1_3gpuE0ELNS1_3repE0EEENS1_47radix_sort_onesweep_sort_config_static_selectorELNS0_4arch9wavefront6targetE0EEEvSG_.private_seg_size, 0
	.set _ZN7rocprim17ROCPRIM_400000_NS6detail17trampoline_kernelINS0_14default_configENS1_35radix_sort_onesweep_config_selectorIlNS0_10empty_typeEEEZZNS1_29radix_sort_onesweep_iterationIS3_Lb1EPKlPlPS5_SB_mNS0_19identity_decomposerENS1_16block_id_wrapperIjLb1EEEEE10hipError_tT1_PNSt15iterator_traitsISG_E10value_typeET2_T3_PNSH_ISM_E10value_typeET4_T5_PSR_SS_PNS1_23onesweep_lookback_stateEbbT6_jjT7_P12ihipStream_tbENKUlT_T0_SG_SL_E_clIS9_SA_SB_SB_EEDaSZ_S10_SG_SL_EUlSZ_E_NS1_11comp_targetILNS1_3genE0ELNS1_11target_archE4294967295ELNS1_3gpuE0ELNS1_3repE0EEENS1_47radix_sort_onesweep_sort_config_static_selectorELNS0_4arch9wavefront6targetE0EEEvSG_.uses_vcc, 1
	.set _ZN7rocprim17ROCPRIM_400000_NS6detail17trampoline_kernelINS0_14default_configENS1_35radix_sort_onesweep_config_selectorIlNS0_10empty_typeEEEZZNS1_29radix_sort_onesweep_iterationIS3_Lb1EPKlPlPS5_SB_mNS0_19identity_decomposerENS1_16block_id_wrapperIjLb1EEEEE10hipError_tT1_PNSt15iterator_traitsISG_E10value_typeET2_T3_PNSH_ISM_E10value_typeET4_T5_PSR_SS_PNS1_23onesweep_lookback_stateEbbT6_jjT7_P12ihipStream_tbENKUlT_T0_SG_SL_E_clIS9_SA_SB_SB_EEDaSZ_S10_SG_SL_EUlSZ_E_NS1_11comp_targetILNS1_3genE0ELNS1_11target_archE4294967295ELNS1_3gpuE0ELNS1_3repE0EEENS1_47radix_sort_onesweep_sort_config_static_selectorELNS0_4arch9wavefront6targetE0EEEvSG_.uses_flat_scratch, 0
	.set _ZN7rocprim17ROCPRIM_400000_NS6detail17trampoline_kernelINS0_14default_configENS1_35radix_sort_onesweep_config_selectorIlNS0_10empty_typeEEEZZNS1_29radix_sort_onesweep_iterationIS3_Lb1EPKlPlPS5_SB_mNS0_19identity_decomposerENS1_16block_id_wrapperIjLb1EEEEE10hipError_tT1_PNSt15iterator_traitsISG_E10value_typeET2_T3_PNSH_ISM_E10value_typeET4_T5_PSR_SS_PNS1_23onesweep_lookback_stateEbbT6_jjT7_P12ihipStream_tbENKUlT_T0_SG_SL_E_clIS9_SA_SB_SB_EEDaSZ_S10_SG_SL_EUlSZ_E_NS1_11comp_targetILNS1_3genE0ELNS1_11target_archE4294967295ELNS1_3gpuE0ELNS1_3repE0EEENS1_47radix_sort_onesweep_sort_config_static_selectorELNS0_4arch9wavefront6targetE0EEEvSG_.has_dyn_sized_stack, 0
	.set _ZN7rocprim17ROCPRIM_400000_NS6detail17trampoline_kernelINS0_14default_configENS1_35radix_sort_onesweep_config_selectorIlNS0_10empty_typeEEEZZNS1_29radix_sort_onesweep_iterationIS3_Lb1EPKlPlPS5_SB_mNS0_19identity_decomposerENS1_16block_id_wrapperIjLb1EEEEE10hipError_tT1_PNSt15iterator_traitsISG_E10value_typeET2_T3_PNSH_ISM_E10value_typeET4_T5_PSR_SS_PNS1_23onesweep_lookback_stateEbbT6_jjT7_P12ihipStream_tbENKUlT_T0_SG_SL_E_clIS9_SA_SB_SB_EEDaSZ_S10_SG_SL_EUlSZ_E_NS1_11comp_targetILNS1_3genE0ELNS1_11target_archE4294967295ELNS1_3gpuE0ELNS1_3repE0EEENS1_47radix_sort_onesweep_sort_config_static_selectorELNS0_4arch9wavefront6targetE0EEEvSG_.has_recursion, 0
	.set _ZN7rocprim17ROCPRIM_400000_NS6detail17trampoline_kernelINS0_14default_configENS1_35radix_sort_onesweep_config_selectorIlNS0_10empty_typeEEEZZNS1_29radix_sort_onesweep_iterationIS3_Lb1EPKlPlPS5_SB_mNS0_19identity_decomposerENS1_16block_id_wrapperIjLb1EEEEE10hipError_tT1_PNSt15iterator_traitsISG_E10value_typeET2_T3_PNSH_ISM_E10value_typeET4_T5_PSR_SS_PNS1_23onesweep_lookback_stateEbbT6_jjT7_P12ihipStream_tbENKUlT_T0_SG_SL_E_clIS9_SA_SB_SB_EEDaSZ_S10_SG_SL_EUlSZ_E_NS1_11comp_targetILNS1_3genE0ELNS1_11target_archE4294967295ELNS1_3gpuE0ELNS1_3repE0EEENS1_47radix_sort_onesweep_sort_config_static_selectorELNS0_4arch9wavefront6targetE0EEEvSG_.has_indirect_call, 0
	.section	.AMDGPU.csdata,"",@progbits
; Kernel info:
; codeLenInByte = 11432
; TotalNumSgprs: 30
; NumVgprs: 57
; ScratchSize: 0
; MemoryBound: 1
; FloatMode: 240
; IeeeMode: 1
; LDSByteSize: 18504 bytes/workgroup (compile time only)
; SGPRBlocks: 0
; VGPRBlocks: 3
; NumSGPRsForWavesPerEU: 30
; NumVGPRsForWavesPerEU: 57
; NamedBarCnt: 0
; Occupancy: 16
; WaveLimiterHint : 1
; COMPUTE_PGM_RSRC2:SCRATCH_EN: 0
; COMPUTE_PGM_RSRC2:USER_SGPR: 2
; COMPUTE_PGM_RSRC2:TRAP_HANDLER: 0
; COMPUTE_PGM_RSRC2:TGID_X_EN: 1
; COMPUTE_PGM_RSRC2:TGID_Y_EN: 0
; COMPUTE_PGM_RSRC2:TGID_Z_EN: 0
; COMPUTE_PGM_RSRC2:TIDIG_COMP_CNT: 2
	.section	.text._ZN7rocprim17ROCPRIM_400000_NS6detail17trampoline_kernelINS0_14default_configENS1_35radix_sort_onesweep_config_selectorIlNS0_10empty_typeEEEZZNS1_29radix_sort_onesweep_iterationIS3_Lb1EPKlPlPS5_SB_mNS0_19identity_decomposerENS1_16block_id_wrapperIjLb1EEEEE10hipError_tT1_PNSt15iterator_traitsISG_E10value_typeET2_T3_PNSH_ISM_E10value_typeET4_T5_PSR_SS_PNS1_23onesweep_lookback_stateEbbT6_jjT7_P12ihipStream_tbENKUlT_T0_SG_SL_E_clIS9_SA_SB_SB_EEDaSZ_S10_SG_SL_EUlSZ_E_NS1_11comp_targetILNS1_3genE6ELNS1_11target_archE950ELNS1_3gpuE13ELNS1_3repE0EEENS1_47radix_sort_onesweep_sort_config_static_selectorELNS0_4arch9wavefront6targetE0EEEvSG_,"axG",@progbits,_ZN7rocprim17ROCPRIM_400000_NS6detail17trampoline_kernelINS0_14default_configENS1_35radix_sort_onesweep_config_selectorIlNS0_10empty_typeEEEZZNS1_29radix_sort_onesweep_iterationIS3_Lb1EPKlPlPS5_SB_mNS0_19identity_decomposerENS1_16block_id_wrapperIjLb1EEEEE10hipError_tT1_PNSt15iterator_traitsISG_E10value_typeET2_T3_PNSH_ISM_E10value_typeET4_T5_PSR_SS_PNS1_23onesweep_lookback_stateEbbT6_jjT7_P12ihipStream_tbENKUlT_T0_SG_SL_E_clIS9_SA_SB_SB_EEDaSZ_S10_SG_SL_EUlSZ_E_NS1_11comp_targetILNS1_3genE6ELNS1_11target_archE950ELNS1_3gpuE13ELNS1_3repE0EEENS1_47radix_sort_onesweep_sort_config_static_selectorELNS0_4arch9wavefront6targetE0EEEvSG_,comdat
	.protected	_ZN7rocprim17ROCPRIM_400000_NS6detail17trampoline_kernelINS0_14default_configENS1_35radix_sort_onesweep_config_selectorIlNS0_10empty_typeEEEZZNS1_29radix_sort_onesweep_iterationIS3_Lb1EPKlPlPS5_SB_mNS0_19identity_decomposerENS1_16block_id_wrapperIjLb1EEEEE10hipError_tT1_PNSt15iterator_traitsISG_E10value_typeET2_T3_PNSH_ISM_E10value_typeET4_T5_PSR_SS_PNS1_23onesweep_lookback_stateEbbT6_jjT7_P12ihipStream_tbENKUlT_T0_SG_SL_E_clIS9_SA_SB_SB_EEDaSZ_S10_SG_SL_EUlSZ_E_NS1_11comp_targetILNS1_3genE6ELNS1_11target_archE950ELNS1_3gpuE13ELNS1_3repE0EEENS1_47radix_sort_onesweep_sort_config_static_selectorELNS0_4arch9wavefront6targetE0EEEvSG_ ; -- Begin function _ZN7rocprim17ROCPRIM_400000_NS6detail17trampoline_kernelINS0_14default_configENS1_35radix_sort_onesweep_config_selectorIlNS0_10empty_typeEEEZZNS1_29radix_sort_onesweep_iterationIS3_Lb1EPKlPlPS5_SB_mNS0_19identity_decomposerENS1_16block_id_wrapperIjLb1EEEEE10hipError_tT1_PNSt15iterator_traitsISG_E10value_typeET2_T3_PNSH_ISM_E10value_typeET4_T5_PSR_SS_PNS1_23onesweep_lookback_stateEbbT6_jjT7_P12ihipStream_tbENKUlT_T0_SG_SL_E_clIS9_SA_SB_SB_EEDaSZ_S10_SG_SL_EUlSZ_E_NS1_11comp_targetILNS1_3genE6ELNS1_11target_archE950ELNS1_3gpuE13ELNS1_3repE0EEENS1_47radix_sort_onesweep_sort_config_static_selectorELNS0_4arch9wavefront6targetE0EEEvSG_
	.globl	_ZN7rocprim17ROCPRIM_400000_NS6detail17trampoline_kernelINS0_14default_configENS1_35radix_sort_onesweep_config_selectorIlNS0_10empty_typeEEEZZNS1_29radix_sort_onesweep_iterationIS3_Lb1EPKlPlPS5_SB_mNS0_19identity_decomposerENS1_16block_id_wrapperIjLb1EEEEE10hipError_tT1_PNSt15iterator_traitsISG_E10value_typeET2_T3_PNSH_ISM_E10value_typeET4_T5_PSR_SS_PNS1_23onesweep_lookback_stateEbbT6_jjT7_P12ihipStream_tbENKUlT_T0_SG_SL_E_clIS9_SA_SB_SB_EEDaSZ_S10_SG_SL_EUlSZ_E_NS1_11comp_targetILNS1_3genE6ELNS1_11target_archE950ELNS1_3gpuE13ELNS1_3repE0EEENS1_47radix_sort_onesweep_sort_config_static_selectorELNS0_4arch9wavefront6targetE0EEEvSG_
	.p2align	8
	.type	_ZN7rocprim17ROCPRIM_400000_NS6detail17trampoline_kernelINS0_14default_configENS1_35radix_sort_onesweep_config_selectorIlNS0_10empty_typeEEEZZNS1_29radix_sort_onesweep_iterationIS3_Lb1EPKlPlPS5_SB_mNS0_19identity_decomposerENS1_16block_id_wrapperIjLb1EEEEE10hipError_tT1_PNSt15iterator_traitsISG_E10value_typeET2_T3_PNSH_ISM_E10value_typeET4_T5_PSR_SS_PNS1_23onesweep_lookback_stateEbbT6_jjT7_P12ihipStream_tbENKUlT_T0_SG_SL_E_clIS9_SA_SB_SB_EEDaSZ_S10_SG_SL_EUlSZ_E_NS1_11comp_targetILNS1_3genE6ELNS1_11target_archE950ELNS1_3gpuE13ELNS1_3repE0EEENS1_47radix_sort_onesweep_sort_config_static_selectorELNS0_4arch9wavefront6targetE0EEEvSG_,@function
_ZN7rocprim17ROCPRIM_400000_NS6detail17trampoline_kernelINS0_14default_configENS1_35radix_sort_onesweep_config_selectorIlNS0_10empty_typeEEEZZNS1_29radix_sort_onesweep_iterationIS3_Lb1EPKlPlPS5_SB_mNS0_19identity_decomposerENS1_16block_id_wrapperIjLb1EEEEE10hipError_tT1_PNSt15iterator_traitsISG_E10value_typeET2_T3_PNSH_ISM_E10value_typeET4_T5_PSR_SS_PNS1_23onesweep_lookback_stateEbbT6_jjT7_P12ihipStream_tbENKUlT_T0_SG_SL_E_clIS9_SA_SB_SB_EEDaSZ_S10_SG_SL_EUlSZ_E_NS1_11comp_targetILNS1_3genE6ELNS1_11target_archE950ELNS1_3gpuE13ELNS1_3repE0EEENS1_47radix_sort_onesweep_sort_config_static_selectorELNS0_4arch9wavefront6targetE0EEEvSG_: ; @_ZN7rocprim17ROCPRIM_400000_NS6detail17trampoline_kernelINS0_14default_configENS1_35radix_sort_onesweep_config_selectorIlNS0_10empty_typeEEEZZNS1_29radix_sort_onesweep_iterationIS3_Lb1EPKlPlPS5_SB_mNS0_19identity_decomposerENS1_16block_id_wrapperIjLb1EEEEE10hipError_tT1_PNSt15iterator_traitsISG_E10value_typeET2_T3_PNSH_ISM_E10value_typeET4_T5_PSR_SS_PNS1_23onesweep_lookback_stateEbbT6_jjT7_P12ihipStream_tbENKUlT_T0_SG_SL_E_clIS9_SA_SB_SB_EEDaSZ_S10_SG_SL_EUlSZ_E_NS1_11comp_targetILNS1_3genE6ELNS1_11target_archE950ELNS1_3gpuE13ELNS1_3repE0EEENS1_47radix_sort_onesweep_sort_config_static_selectorELNS0_4arch9wavefront6targetE0EEEvSG_
; %bb.0:
	.section	.rodata,"a",@progbits
	.p2align	6, 0x0
	.amdhsa_kernel _ZN7rocprim17ROCPRIM_400000_NS6detail17trampoline_kernelINS0_14default_configENS1_35radix_sort_onesweep_config_selectorIlNS0_10empty_typeEEEZZNS1_29radix_sort_onesweep_iterationIS3_Lb1EPKlPlPS5_SB_mNS0_19identity_decomposerENS1_16block_id_wrapperIjLb1EEEEE10hipError_tT1_PNSt15iterator_traitsISG_E10value_typeET2_T3_PNSH_ISM_E10value_typeET4_T5_PSR_SS_PNS1_23onesweep_lookback_stateEbbT6_jjT7_P12ihipStream_tbENKUlT_T0_SG_SL_E_clIS9_SA_SB_SB_EEDaSZ_S10_SG_SL_EUlSZ_E_NS1_11comp_targetILNS1_3genE6ELNS1_11target_archE950ELNS1_3gpuE13ELNS1_3repE0EEENS1_47radix_sort_onesweep_sort_config_static_selectorELNS0_4arch9wavefront6targetE0EEEvSG_
		.amdhsa_group_segment_fixed_size 0
		.amdhsa_private_segment_fixed_size 0
		.amdhsa_kernarg_size 88
		.amdhsa_user_sgpr_count 2
		.amdhsa_user_sgpr_dispatch_ptr 0
		.amdhsa_user_sgpr_queue_ptr 0
		.amdhsa_user_sgpr_kernarg_segment_ptr 1
		.amdhsa_user_sgpr_dispatch_id 0
		.amdhsa_user_sgpr_kernarg_preload_length 0
		.amdhsa_user_sgpr_kernarg_preload_offset 0
		.amdhsa_user_sgpr_private_segment_size 0
		.amdhsa_wavefront_size32 1
		.amdhsa_uses_dynamic_stack 0
		.amdhsa_enable_private_segment 0
		.amdhsa_system_sgpr_workgroup_id_x 1
		.amdhsa_system_sgpr_workgroup_id_y 0
		.amdhsa_system_sgpr_workgroup_id_z 0
		.amdhsa_system_sgpr_workgroup_info 0
		.amdhsa_system_vgpr_workitem_id 0
		.amdhsa_next_free_vgpr 1
		.amdhsa_next_free_sgpr 1
		.amdhsa_named_barrier_count 0
		.amdhsa_reserve_vcc 0
		.amdhsa_float_round_mode_32 0
		.amdhsa_float_round_mode_16_64 0
		.amdhsa_float_denorm_mode_32 3
		.amdhsa_float_denorm_mode_16_64 3
		.amdhsa_fp16_overflow 0
		.amdhsa_memory_ordered 1
		.amdhsa_forward_progress 1
		.amdhsa_inst_pref_size 0
		.amdhsa_round_robin_scheduling 0
		.amdhsa_exception_fp_ieee_invalid_op 0
		.amdhsa_exception_fp_denorm_src 0
		.amdhsa_exception_fp_ieee_div_zero 0
		.amdhsa_exception_fp_ieee_overflow 0
		.amdhsa_exception_fp_ieee_underflow 0
		.amdhsa_exception_fp_ieee_inexact 0
		.amdhsa_exception_int_div_zero 0
	.end_amdhsa_kernel
	.section	.text._ZN7rocprim17ROCPRIM_400000_NS6detail17trampoline_kernelINS0_14default_configENS1_35radix_sort_onesweep_config_selectorIlNS0_10empty_typeEEEZZNS1_29radix_sort_onesweep_iterationIS3_Lb1EPKlPlPS5_SB_mNS0_19identity_decomposerENS1_16block_id_wrapperIjLb1EEEEE10hipError_tT1_PNSt15iterator_traitsISG_E10value_typeET2_T3_PNSH_ISM_E10value_typeET4_T5_PSR_SS_PNS1_23onesweep_lookback_stateEbbT6_jjT7_P12ihipStream_tbENKUlT_T0_SG_SL_E_clIS9_SA_SB_SB_EEDaSZ_S10_SG_SL_EUlSZ_E_NS1_11comp_targetILNS1_3genE6ELNS1_11target_archE950ELNS1_3gpuE13ELNS1_3repE0EEENS1_47radix_sort_onesweep_sort_config_static_selectorELNS0_4arch9wavefront6targetE0EEEvSG_,"axG",@progbits,_ZN7rocprim17ROCPRIM_400000_NS6detail17trampoline_kernelINS0_14default_configENS1_35radix_sort_onesweep_config_selectorIlNS0_10empty_typeEEEZZNS1_29radix_sort_onesweep_iterationIS3_Lb1EPKlPlPS5_SB_mNS0_19identity_decomposerENS1_16block_id_wrapperIjLb1EEEEE10hipError_tT1_PNSt15iterator_traitsISG_E10value_typeET2_T3_PNSH_ISM_E10value_typeET4_T5_PSR_SS_PNS1_23onesweep_lookback_stateEbbT6_jjT7_P12ihipStream_tbENKUlT_T0_SG_SL_E_clIS9_SA_SB_SB_EEDaSZ_S10_SG_SL_EUlSZ_E_NS1_11comp_targetILNS1_3genE6ELNS1_11target_archE950ELNS1_3gpuE13ELNS1_3repE0EEENS1_47radix_sort_onesweep_sort_config_static_selectorELNS0_4arch9wavefront6targetE0EEEvSG_,comdat
.Lfunc_end1097:
	.size	_ZN7rocprim17ROCPRIM_400000_NS6detail17trampoline_kernelINS0_14default_configENS1_35radix_sort_onesweep_config_selectorIlNS0_10empty_typeEEEZZNS1_29radix_sort_onesweep_iterationIS3_Lb1EPKlPlPS5_SB_mNS0_19identity_decomposerENS1_16block_id_wrapperIjLb1EEEEE10hipError_tT1_PNSt15iterator_traitsISG_E10value_typeET2_T3_PNSH_ISM_E10value_typeET4_T5_PSR_SS_PNS1_23onesweep_lookback_stateEbbT6_jjT7_P12ihipStream_tbENKUlT_T0_SG_SL_E_clIS9_SA_SB_SB_EEDaSZ_S10_SG_SL_EUlSZ_E_NS1_11comp_targetILNS1_3genE6ELNS1_11target_archE950ELNS1_3gpuE13ELNS1_3repE0EEENS1_47radix_sort_onesweep_sort_config_static_selectorELNS0_4arch9wavefront6targetE0EEEvSG_, .Lfunc_end1097-_ZN7rocprim17ROCPRIM_400000_NS6detail17trampoline_kernelINS0_14default_configENS1_35radix_sort_onesweep_config_selectorIlNS0_10empty_typeEEEZZNS1_29radix_sort_onesweep_iterationIS3_Lb1EPKlPlPS5_SB_mNS0_19identity_decomposerENS1_16block_id_wrapperIjLb1EEEEE10hipError_tT1_PNSt15iterator_traitsISG_E10value_typeET2_T3_PNSH_ISM_E10value_typeET4_T5_PSR_SS_PNS1_23onesweep_lookback_stateEbbT6_jjT7_P12ihipStream_tbENKUlT_T0_SG_SL_E_clIS9_SA_SB_SB_EEDaSZ_S10_SG_SL_EUlSZ_E_NS1_11comp_targetILNS1_3genE6ELNS1_11target_archE950ELNS1_3gpuE13ELNS1_3repE0EEENS1_47radix_sort_onesweep_sort_config_static_selectorELNS0_4arch9wavefront6targetE0EEEvSG_
                                        ; -- End function
	.set _ZN7rocprim17ROCPRIM_400000_NS6detail17trampoline_kernelINS0_14default_configENS1_35radix_sort_onesweep_config_selectorIlNS0_10empty_typeEEEZZNS1_29radix_sort_onesweep_iterationIS3_Lb1EPKlPlPS5_SB_mNS0_19identity_decomposerENS1_16block_id_wrapperIjLb1EEEEE10hipError_tT1_PNSt15iterator_traitsISG_E10value_typeET2_T3_PNSH_ISM_E10value_typeET4_T5_PSR_SS_PNS1_23onesweep_lookback_stateEbbT6_jjT7_P12ihipStream_tbENKUlT_T0_SG_SL_E_clIS9_SA_SB_SB_EEDaSZ_S10_SG_SL_EUlSZ_E_NS1_11comp_targetILNS1_3genE6ELNS1_11target_archE950ELNS1_3gpuE13ELNS1_3repE0EEENS1_47radix_sort_onesweep_sort_config_static_selectorELNS0_4arch9wavefront6targetE0EEEvSG_.num_vgpr, 0
	.set _ZN7rocprim17ROCPRIM_400000_NS6detail17trampoline_kernelINS0_14default_configENS1_35radix_sort_onesweep_config_selectorIlNS0_10empty_typeEEEZZNS1_29radix_sort_onesweep_iterationIS3_Lb1EPKlPlPS5_SB_mNS0_19identity_decomposerENS1_16block_id_wrapperIjLb1EEEEE10hipError_tT1_PNSt15iterator_traitsISG_E10value_typeET2_T3_PNSH_ISM_E10value_typeET4_T5_PSR_SS_PNS1_23onesweep_lookback_stateEbbT6_jjT7_P12ihipStream_tbENKUlT_T0_SG_SL_E_clIS9_SA_SB_SB_EEDaSZ_S10_SG_SL_EUlSZ_E_NS1_11comp_targetILNS1_3genE6ELNS1_11target_archE950ELNS1_3gpuE13ELNS1_3repE0EEENS1_47radix_sort_onesweep_sort_config_static_selectorELNS0_4arch9wavefront6targetE0EEEvSG_.num_agpr, 0
	.set _ZN7rocprim17ROCPRIM_400000_NS6detail17trampoline_kernelINS0_14default_configENS1_35radix_sort_onesweep_config_selectorIlNS0_10empty_typeEEEZZNS1_29radix_sort_onesweep_iterationIS3_Lb1EPKlPlPS5_SB_mNS0_19identity_decomposerENS1_16block_id_wrapperIjLb1EEEEE10hipError_tT1_PNSt15iterator_traitsISG_E10value_typeET2_T3_PNSH_ISM_E10value_typeET4_T5_PSR_SS_PNS1_23onesweep_lookback_stateEbbT6_jjT7_P12ihipStream_tbENKUlT_T0_SG_SL_E_clIS9_SA_SB_SB_EEDaSZ_S10_SG_SL_EUlSZ_E_NS1_11comp_targetILNS1_3genE6ELNS1_11target_archE950ELNS1_3gpuE13ELNS1_3repE0EEENS1_47radix_sort_onesweep_sort_config_static_selectorELNS0_4arch9wavefront6targetE0EEEvSG_.numbered_sgpr, 0
	.set _ZN7rocprim17ROCPRIM_400000_NS6detail17trampoline_kernelINS0_14default_configENS1_35radix_sort_onesweep_config_selectorIlNS0_10empty_typeEEEZZNS1_29radix_sort_onesweep_iterationIS3_Lb1EPKlPlPS5_SB_mNS0_19identity_decomposerENS1_16block_id_wrapperIjLb1EEEEE10hipError_tT1_PNSt15iterator_traitsISG_E10value_typeET2_T3_PNSH_ISM_E10value_typeET4_T5_PSR_SS_PNS1_23onesweep_lookback_stateEbbT6_jjT7_P12ihipStream_tbENKUlT_T0_SG_SL_E_clIS9_SA_SB_SB_EEDaSZ_S10_SG_SL_EUlSZ_E_NS1_11comp_targetILNS1_3genE6ELNS1_11target_archE950ELNS1_3gpuE13ELNS1_3repE0EEENS1_47radix_sort_onesweep_sort_config_static_selectorELNS0_4arch9wavefront6targetE0EEEvSG_.num_named_barrier, 0
	.set _ZN7rocprim17ROCPRIM_400000_NS6detail17trampoline_kernelINS0_14default_configENS1_35radix_sort_onesweep_config_selectorIlNS0_10empty_typeEEEZZNS1_29radix_sort_onesweep_iterationIS3_Lb1EPKlPlPS5_SB_mNS0_19identity_decomposerENS1_16block_id_wrapperIjLb1EEEEE10hipError_tT1_PNSt15iterator_traitsISG_E10value_typeET2_T3_PNSH_ISM_E10value_typeET4_T5_PSR_SS_PNS1_23onesweep_lookback_stateEbbT6_jjT7_P12ihipStream_tbENKUlT_T0_SG_SL_E_clIS9_SA_SB_SB_EEDaSZ_S10_SG_SL_EUlSZ_E_NS1_11comp_targetILNS1_3genE6ELNS1_11target_archE950ELNS1_3gpuE13ELNS1_3repE0EEENS1_47radix_sort_onesweep_sort_config_static_selectorELNS0_4arch9wavefront6targetE0EEEvSG_.private_seg_size, 0
	.set _ZN7rocprim17ROCPRIM_400000_NS6detail17trampoline_kernelINS0_14default_configENS1_35radix_sort_onesweep_config_selectorIlNS0_10empty_typeEEEZZNS1_29radix_sort_onesweep_iterationIS3_Lb1EPKlPlPS5_SB_mNS0_19identity_decomposerENS1_16block_id_wrapperIjLb1EEEEE10hipError_tT1_PNSt15iterator_traitsISG_E10value_typeET2_T3_PNSH_ISM_E10value_typeET4_T5_PSR_SS_PNS1_23onesweep_lookback_stateEbbT6_jjT7_P12ihipStream_tbENKUlT_T0_SG_SL_E_clIS9_SA_SB_SB_EEDaSZ_S10_SG_SL_EUlSZ_E_NS1_11comp_targetILNS1_3genE6ELNS1_11target_archE950ELNS1_3gpuE13ELNS1_3repE0EEENS1_47radix_sort_onesweep_sort_config_static_selectorELNS0_4arch9wavefront6targetE0EEEvSG_.uses_vcc, 0
	.set _ZN7rocprim17ROCPRIM_400000_NS6detail17trampoline_kernelINS0_14default_configENS1_35radix_sort_onesweep_config_selectorIlNS0_10empty_typeEEEZZNS1_29radix_sort_onesweep_iterationIS3_Lb1EPKlPlPS5_SB_mNS0_19identity_decomposerENS1_16block_id_wrapperIjLb1EEEEE10hipError_tT1_PNSt15iterator_traitsISG_E10value_typeET2_T3_PNSH_ISM_E10value_typeET4_T5_PSR_SS_PNS1_23onesweep_lookback_stateEbbT6_jjT7_P12ihipStream_tbENKUlT_T0_SG_SL_E_clIS9_SA_SB_SB_EEDaSZ_S10_SG_SL_EUlSZ_E_NS1_11comp_targetILNS1_3genE6ELNS1_11target_archE950ELNS1_3gpuE13ELNS1_3repE0EEENS1_47radix_sort_onesweep_sort_config_static_selectorELNS0_4arch9wavefront6targetE0EEEvSG_.uses_flat_scratch, 0
	.set _ZN7rocprim17ROCPRIM_400000_NS6detail17trampoline_kernelINS0_14default_configENS1_35radix_sort_onesweep_config_selectorIlNS0_10empty_typeEEEZZNS1_29radix_sort_onesweep_iterationIS3_Lb1EPKlPlPS5_SB_mNS0_19identity_decomposerENS1_16block_id_wrapperIjLb1EEEEE10hipError_tT1_PNSt15iterator_traitsISG_E10value_typeET2_T3_PNSH_ISM_E10value_typeET4_T5_PSR_SS_PNS1_23onesweep_lookback_stateEbbT6_jjT7_P12ihipStream_tbENKUlT_T0_SG_SL_E_clIS9_SA_SB_SB_EEDaSZ_S10_SG_SL_EUlSZ_E_NS1_11comp_targetILNS1_3genE6ELNS1_11target_archE950ELNS1_3gpuE13ELNS1_3repE0EEENS1_47radix_sort_onesweep_sort_config_static_selectorELNS0_4arch9wavefront6targetE0EEEvSG_.has_dyn_sized_stack, 0
	.set _ZN7rocprim17ROCPRIM_400000_NS6detail17trampoline_kernelINS0_14default_configENS1_35radix_sort_onesweep_config_selectorIlNS0_10empty_typeEEEZZNS1_29radix_sort_onesweep_iterationIS3_Lb1EPKlPlPS5_SB_mNS0_19identity_decomposerENS1_16block_id_wrapperIjLb1EEEEE10hipError_tT1_PNSt15iterator_traitsISG_E10value_typeET2_T3_PNSH_ISM_E10value_typeET4_T5_PSR_SS_PNS1_23onesweep_lookback_stateEbbT6_jjT7_P12ihipStream_tbENKUlT_T0_SG_SL_E_clIS9_SA_SB_SB_EEDaSZ_S10_SG_SL_EUlSZ_E_NS1_11comp_targetILNS1_3genE6ELNS1_11target_archE950ELNS1_3gpuE13ELNS1_3repE0EEENS1_47radix_sort_onesweep_sort_config_static_selectorELNS0_4arch9wavefront6targetE0EEEvSG_.has_recursion, 0
	.set _ZN7rocprim17ROCPRIM_400000_NS6detail17trampoline_kernelINS0_14default_configENS1_35radix_sort_onesweep_config_selectorIlNS0_10empty_typeEEEZZNS1_29radix_sort_onesweep_iterationIS3_Lb1EPKlPlPS5_SB_mNS0_19identity_decomposerENS1_16block_id_wrapperIjLb1EEEEE10hipError_tT1_PNSt15iterator_traitsISG_E10value_typeET2_T3_PNSH_ISM_E10value_typeET4_T5_PSR_SS_PNS1_23onesweep_lookback_stateEbbT6_jjT7_P12ihipStream_tbENKUlT_T0_SG_SL_E_clIS9_SA_SB_SB_EEDaSZ_S10_SG_SL_EUlSZ_E_NS1_11comp_targetILNS1_3genE6ELNS1_11target_archE950ELNS1_3gpuE13ELNS1_3repE0EEENS1_47radix_sort_onesweep_sort_config_static_selectorELNS0_4arch9wavefront6targetE0EEEvSG_.has_indirect_call, 0
	.section	.AMDGPU.csdata,"",@progbits
; Kernel info:
; codeLenInByte = 0
; TotalNumSgprs: 0
; NumVgprs: 0
; ScratchSize: 0
; MemoryBound: 0
; FloatMode: 240
; IeeeMode: 1
; LDSByteSize: 0 bytes/workgroup (compile time only)
; SGPRBlocks: 0
; VGPRBlocks: 0
; NumSGPRsForWavesPerEU: 1
; NumVGPRsForWavesPerEU: 1
; NamedBarCnt: 0
; Occupancy: 16
; WaveLimiterHint : 0
; COMPUTE_PGM_RSRC2:SCRATCH_EN: 0
; COMPUTE_PGM_RSRC2:USER_SGPR: 2
; COMPUTE_PGM_RSRC2:TRAP_HANDLER: 0
; COMPUTE_PGM_RSRC2:TGID_X_EN: 1
; COMPUTE_PGM_RSRC2:TGID_Y_EN: 0
; COMPUTE_PGM_RSRC2:TGID_Z_EN: 0
; COMPUTE_PGM_RSRC2:TIDIG_COMP_CNT: 0
	.section	.text._ZN7rocprim17ROCPRIM_400000_NS6detail17trampoline_kernelINS0_14default_configENS1_35radix_sort_onesweep_config_selectorIlNS0_10empty_typeEEEZZNS1_29radix_sort_onesweep_iterationIS3_Lb1EPKlPlPS5_SB_mNS0_19identity_decomposerENS1_16block_id_wrapperIjLb1EEEEE10hipError_tT1_PNSt15iterator_traitsISG_E10value_typeET2_T3_PNSH_ISM_E10value_typeET4_T5_PSR_SS_PNS1_23onesweep_lookback_stateEbbT6_jjT7_P12ihipStream_tbENKUlT_T0_SG_SL_E_clIS9_SA_SB_SB_EEDaSZ_S10_SG_SL_EUlSZ_E_NS1_11comp_targetILNS1_3genE5ELNS1_11target_archE942ELNS1_3gpuE9ELNS1_3repE0EEENS1_47radix_sort_onesweep_sort_config_static_selectorELNS0_4arch9wavefront6targetE0EEEvSG_,"axG",@progbits,_ZN7rocprim17ROCPRIM_400000_NS6detail17trampoline_kernelINS0_14default_configENS1_35radix_sort_onesweep_config_selectorIlNS0_10empty_typeEEEZZNS1_29radix_sort_onesweep_iterationIS3_Lb1EPKlPlPS5_SB_mNS0_19identity_decomposerENS1_16block_id_wrapperIjLb1EEEEE10hipError_tT1_PNSt15iterator_traitsISG_E10value_typeET2_T3_PNSH_ISM_E10value_typeET4_T5_PSR_SS_PNS1_23onesweep_lookback_stateEbbT6_jjT7_P12ihipStream_tbENKUlT_T0_SG_SL_E_clIS9_SA_SB_SB_EEDaSZ_S10_SG_SL_EUlSZ_E_NS1_11comp_targetILNS1_3genE5ELNS1_11target_archE942ELNS1_3gpuE9ELNS1_3repE0EEENS1_47radix_sort_onesweep_sort_config_static_selectorELNS0_4arch9wavefront6targetE0EEEvSG_,comdat
	.protected	_ZN7rocprim17ROCPRIM_400000_NS6detail17trampoline_kernelINS0_14default_configENS1_35radix_sort_onesweep_config_selectorIlNS0_10empty_typeEEEZZNS1_29radix_sort_onesweep_iterationIS3_Lb1EPKlPlPS5_SB_mNS0_19identity_decomposerENS1_16block_id_wrapperIjLb1EEEEE10hipError_tT1_PNSt15iterator_traitsISG_E10value_typeET2_T3_PNSH_ISM_E10value_typeET4_T5_PSR_SS_PNS1_23onesweep_lookback_stateEbbT6_jjT7_P12ihipStream_tbENKUlT_T0_SG_SL_E_clIS9_SA_SB_SB_EEDaSZ_S10_SG_SL_EUlSZ_E_NS1_11comp_targetILNS1_3genE5ELNS1_11target_archE942ELNS1_3gpuE9ELNS1_3repE0EEENS1_47radix_sort_onesweep_sort_config_static_selectorELNS0_4arch9wavefront6targetE0EEEvSG_ ; -- Begin function _ZN7rocprim17ROCPRIM_400000_NS6detail17trampoline_kernelINS0_14default_configENS1_35radix_sort_onesweep_config_selectorIlNS0_10empty_typeEEEZZNS1_29radix_sort_onesweep_iterationIS3_Lb1EPKlPlPS5_SB_mNS0_19identity_decomposerENS1_16block_id_wrapperIjLb1EEEEE10hipError_tT1_PNSt15iterator_traitsISG_E10value_typeET2_T3_PNSH_ISM_E10value_typeET4_T5_PSR_SS_PNS1_23onesweep_lookback_stateEbbT6_jjT7_P12ihipStream_tbENKUlT_T0_SG_SL_E_clIS9_SA_SB_SB_EEDaSZ_S10_SG_SL_EUlSZ_E_NS1_11comp_targetILNS1_3genE5ELNS1_11target_archE942ELNS1_3gpuE9ELNS1_3repE0EEENS1_47radix_sort_onesweep_sort_config_static_selectorELNS0_4arch9wavefront6targetE0EEEvSG_
	.globl	_ZN7rocprim17ROCPRIM_400000_NS6detail17trampoline_kernelINS0_14default_configENS1_35radix_sort_onesweep_config_selectorIlNS0_10empty_typeEEEZZNS1_29radix_sort_onesweep_iterationIS3_Lb1EPKlPlPS5_SB_mNS0_19identity_decomposerENS1_16block_id_wrapperIjLb1EEEEE10hipError_tT1_PNSt15iterator_traitsISG_E10value_typeET2_T3_PNSH_ISM_E10value_typeET4_T5_PSR_SS_PNS1_23onesweep_lookback_stateEbbT6_jjT7_P12ihipStream_tbENKUlT_T0_SG_SL_E_clIS9_SA_SB_SB_EEDaSZ_S10_SG_SL_EUlSZ_E_NS1_11comp_targetILNS1_3genE5ELNS1_11target_archE942ELNS1_3gpuE9ELNS1_3repE0EEENS1_47radix_sort_onesweep_sort_config_static_selectorELNS0_4arch9wavefront6targetE0EEEvSG_
	.p2align	8
	.type	_ZN7rocprim17ROCPRIM_400000_NS6detail17trampoline_kernelINS0_14default_configENS1_35radix_sort_onesweep_config_selectorIlNS0_10empty_typeEEEZZNS1_29radix_sort_onesweep_iterationIS3_Lb1EPKlPlPS5_SB_mNS0_19identity_decomposerENS1_16block_id_wrapperIjLb1EEEEE10hipError_tT1_PNSt15iterator_traitsISG_E10value_typeET2_T3_PNSH_ISM_E10value_typeET4_T5_PSR_SS_PNS1_23onesweep_lookback_stateEbbT6_jjT7_P12ihipStream_tbENKUlT_T0_SG_SL_E_clIS9_SA_SB_SB_EEDaSZ_S10_SG_SL_EUlSZ_E_NS1_11comp_targetILNS1_3genE5ELNS1_11target_archE942ELNS1_3gpuE9ELNS1_3repE0EEENS1_47radix_sort_onesweep_sort_config_static_selectorELNS0_4arch9wavefront6targetE0EEEvSG_,@function
_ZN7rocprim17ROCPRIM_400000_NS6detail17trampoline_kernelINS0_14default_configENS1_35radix_sort_onesweep_config_selectorIlNS0_10empty_typeEEEZZNS1_29radix_sort_onesweep_iterationIS3_Lb1EPKlPlPS5_SB_mNS0_19identity_decomposerENS1_16block_id_wrapperIjLb1EEEEE10hipError_tT1_PNSt15iterator_traitsISG_E10value_typeET2_T3_PNSH_ISM_E10value_typeET4_T5_PSR_SS_PNS1_23onesweep_lookback_stateEbbT6_jjT7_P12ihipStream_tbENKUlT_T0_SG_SL_E_clIS9_SA_SB_SB_EEDaSZ_S10_SG_SL_EUlSZ_E_NS1_11comp_targetILNS1_3genE5ELNS1_11target_archE942ELNS1_3gpuE9ELNS1_3repE0EEENS1_47radix_sort_onesweep_sort_config_static_selectorELNS0_4arch9wavefront6targetE0EEEvSG_: ; @_ZN7rocprim17ROCPRIM_400000_NS6detail17trampoline_kernelINS0_14default_configENS1_35radix_sort_onesweep_config_selectorIlNS0_10empty_typeEEEZZNS1_29radix_sort_onesweep_iterationIS3_Lb1EPKlPlPS5_SB_mNS0_19identity_decomposerENS1_16block_id_wrapperIjLb1EEEEE10hipError_tT1_PNSt15iterator_traitsISG_E10value_typeET2_T3_PNSH_ISM_E10value_typeET4_T5_PSR_SS_PNS1_23onesweep_lookback_stateEbbT6_jjT7_P12ihipStream_tbENKUlT_T0_SG_SL_E_clIS9_SA_SB_SB_EEDaSZ_S10_SG_SL_EUlSZ_E_NS1_11comp_targetILNS1_3genE5ELNS1_11target_archE942ELNS1_3gpuE9ELNS1_3repE0EEENS1_47radix_sort_onesweep_sort_config_static_selectorELNS0_4arch9wavefront6targetE0EEEvSG_
; %bb.0:
	.section	.rodata,"a",@progbits
	.p2align	6, 0x0
	.amdhsa_kernel _ZN7rocprim17ROCPRIM_400000_NS6detail17trampoline_kernelINS0_14default_configENS1_35radix_sort_onesweep_config_selectorIlNS0_10empty_typeEEEZZNS1_29radix_sort_onesweep_iterationIS3_Lb1EPKlPlPS5_SB_mNS0_19identity_decomposerENS1_16block_id_wrapperIjLb1EEEEE10hipError_tT1_PNSt15iterator_traitsISG_E10value_typeET2_T3_PNSH_ISM_E10value_typeET4_T5_PSR_SS_PNS1_23onesweep_lookback_stateEbbT6_jjT7_P12ihipStream_tbENKUlT_T0_SG_SL_E_clIS9_SA_SB_SB_EEDaSZ_S10_SG_SL_EUlSZ_E_NS1_11comp_targetILNS1_3genE5ELNS1_11target_archE942ELNS1_3gpuE9ELNS1_3repE0EEENS1_47radix_sort_onesweep_sort_config_static_selectorELNS0_4arch9wavefront6targetE0EEEvSG_
		.amdhsa_group_segment_fixed_size 0
		.amdhsa_private_segment_fixed_size 0
		.amdhsa_kernarg_size 88
		.amdhsa_user_sgpr_count 2
		.amdhsa_user_sgpr_dispatch_ptr 0
		.amdhsa_user_sgpr_queue_ptr 0
		.amdhsa_user_sgpr_kernarg_segment_ptr 1
		.amdhsa_user_sgpr_dispatch_id 0
		.amdhsa_user_sgpr_kernarg_preload_length 0
		.amdhsa_user_sgpr_kernarg_preload_offset 0
		.amdhsa_user_sgpr_private_segment_size 0
		.amdhsa_wavefront_size32 1
		.amdhsa_uses_dynamic_stack 0
		.amdhsa_enable_private_segment 0
		.amdhsa_system_sgpr_workgroup_id_x 1
		.amdhsa_system_sgpr_workgroup_id_y 0
		.amdhsa_system_sgpr_workgroup_id_z 0
		.amdhsa_system_sgpr_workgroup_info 0
		.amdhsa_system_vgpr_workitem_id 0
		.amdhsa_next_free_vgpr 1
		.amdhsa_next_free_sgpr 1
		.amdhsa_named_barrier_count 0
		.amdhsa_reserve_vcc 0
		.amdhsa_float_round_mode_32 0
		.amdhsa_float_round_mode_16_64 0
		.amdhsa_float_denorm_mode_32 3
		.amdhsa_float_denorm_mode_16_64 3
		.amdhsa_fp16_overflow 0
		.amdhsa_memory_ordered 1
		.amdhsa_forward_progress 1
		.amdhsa_inst_pref_size 0
		.amdhsa_round_robin_scheduling 0
		.amdhsa_exception_fp_ieee_invalid_op 0
		.amdhsa_exception_fp_denorm_src 0
		.amdhsa_exception_fp_ieee_div_zero 0
		.amdhsa_exception_fp_ieee_overflow 0
		.amdhsa_exception_fp_ieee_underflow 0
		.amdhsa_exception_fp_ieee_inexact 0
		.amdhsa_exception_int_div_zero 0
	.end_amdhsa_kernel
	.section	.text._ZN7rocprim17ROCPRIM_400000_NS6detail17trampoline_kernelINS0_14default_configENS1_35radix_sort_onesweep_config_selectorIlNS0_10empty_typeEEEZZNS1_29radix_sort_onesweep_iterationIS3_Lb1EPKlPlPS5_SB_mNS0_19identity_decomposerENS1_16block_id_wrapperIjLb1EEEEE10hipError_tT1_PNSt15iterator_traitsISG_E10value_typeET2_T3_PNSH_ISM_E10value_typeET4_T5_PSR_SS_PNS1_23onesweep_lookback_stateEbbT6_jjT7_P12ihipStream_tbENKUlT_T0_SG_SL_E_clIS9_SA_SB_SB_EEDaSZ_S10_SG_SL_EUlSZ_E_NS1_11comp_targetILNS1_3genE5ELNS1_11target_archE942ELNS1_3gpuE9ELNS1_3repE0EEENS1_47radix_sort_onesweep_sort_config_static_selectorELNS0_4arch9wavefront6targetE0EEEvSG_,"axG",@progbits,_ZN7rocprim17ROCPRIM_400000_NS6detail17trampoline_kernelINS0_14default_configENS1_35radix_sort_onesweep_config_selectorIlNS0_10empty_typeEEEZZNS1_29radix_sort_onesweep_iterationIS3_Lb1EPKlPlPS5_SB_mNS0_19identity_decomposerENS1_16block_id_wrapperIjLb1EEEEE10hipError_tT1_PNSt15iterator_traitsISG_E10value_typeET2_T3_PNSH_ISM_E10value_typeET4_T5_PSR_SS_PNS1_23onesweep_lookback_stateEbbT6_jjT7_P12ihipStream_tbENKUlT_T0_SG_SL_E_clIS9_SA_SB_SB_EEDaSZ_S10_SG_SL_EUlSZ_E_NS1_11comp_targetILNS1_3genE5ELNS1_11target_archE942ELNS1_3gpuE9ELNS1_3repE0EEENS1_47radix_sort_onesweep_sort_config_static_selectorELNS0_4arch9wavefront6targetE0EEEvSG_,comdat
.Lfunc_end1098:
	.size	_ZN7rocprim17ROCPRIM_400000_NS6detail17trampoline_kernelINS0_14default_configENS1_35radix_sort_onesweep_config_selectorIlNS0_10empty_typeEEEZZNS1_29radix_sort_onesweep_iterationIS3_Lb1EPKlPlPS5_SB_mNS0_19identity_decomposerENS1_16block_id_wrapperIjLb1EEEEE10hipError_tT1_PNSt15iterator_traitsISG_E10value_typeET2_T3_PNSH_ISM_E10value_typeET4_T5_PSR_SS_PNS1_23onesweep_lookback_stateEbbT6_jjT7_P12ihipStream_tbENKUlT_T0_SG_SL_E_clIS9_SA_SB_SB_EEDaSZ_S10_SG_SL_EUlSZ_E_NS1_11comp_targetILNS1_3genE5ELNS1_11target_archE942ELNS1_3gpuE9ELNS1_3repE0EEENS1_47radix_sort_onesweep_sort_config_static_selectorELNS0_4arch9wavefront6targetE0EEEvSG_, .Lfunc_end1098-_ZN7rocprim17ROCPRIM_400000_NS6detail17trampoline_kernelINS0_14default_configENS1_35radix_sort_onesweep_config_selectorIlNS0_10empty_typeEEEZZNS1_29radix_sort_onesweep_iterationIS3_Lb1EPKlPlPS5_SB_mNS0_19identity_decomposerENS1_16block_id_wrapperIjLb1EEEEE10hipError_tT1_PNSt15iterator_traitsISG_E10value_typeET2_T3_PNSH_ISM_E10value_typeET4_T5_PSR_SS_PNS1_23onesweep_lookback_stateEbbT6_jjT7_P12ihipStream_tbENKUlT_T0_SG_SL_E_clIS9_SA_SB_SB_EEDaSZ_S10_SG_SL_EUlSZ_E_NS1_11comp_targetILNS1_3genE5ELNS1_11target_archE942ELNS1_3gpuE9ELNS1_3repE0EEENS1_47radix_sort_onesweep_sort_config_static_selectorELNS0_4arch9wavefront6targetE0EEEvSG_
                                        ; -- End function
	.set _ZN7rocprim17ROCPRIM_400000_NS6detail17trampoline_kernelINS0_14default_configENS1_35radix_sort_onesweep_config_selectorIlNS0_10empty_typeEEEZZNS1_29radix_sort_onesweep_iterationIS3_Lb1EPKlPlPS5_SB_mNS0_19identity_decomposerENS1_16block_id_wrapperIjLb1EEEEE10hipError_tT1_PNSt15iterator_traitsISG_E10value_typeET2_T3_PNSH_ISM_E10value_typeET4_T5_PSR_SS_PNS1_23onesweep_lookback_stateEbbT6_jjT7_P12ihipStream_tbENKUlT_T0_SG_SL_E_clIS9_SA_SB_SB_EEDaSZ_S10_SG_SL_EUlSZ_E_NS1_11comp_targetILNS1_3genE5ELNS1_11target_archE942ELNS1_3gpuE9ELNS1_3repE0EEENS1_47radix_sort_onesweep_sort_config_static_selectorELNS0_4arch9wavefront6targetE0EEEvSG_.num_vgpr, 0
	.set _ZN7rocprim17ROCPRIM_400000_NS6detail17trampoline_kernelINS0_14default_configENS1_35radix_sort_onesweep_config_selectorIlNS0_10empty_typeEEEZZNS1_29radix_sort_onesweep_iterationIS3_Lb1EPKlPlPS5_SB_mNS0_19identity_decomposerENS1_16block_id_wrapperIjLb1EEEEE10hipError_tT1_PNSt15iterator_traitsISG_E10value_typeET2_T3_PNSH_ISM_E10value_typeET4_T5_PSR_SS_PNS1_23onesweep_lookback_stateEbbT6_jjT7_P12ihipStream_tbENKUlT_T0_SG_SL_E_clIS9_SA_SB_SB_EEDaSZ_S10_SG_SL_EUlSZ_E_NS1_11comp_targetILNS1_3genE5ELNS1_11target_archE942ELNS1_3gpuE9ELNS1_3repE0EEENS1_47radix_sort_onesweep_sort_config_static_selectorELNS0_4arch9wavefront6targetE0EEEvSG_.num_agpr, 0
	.set _ZN7rocprim17ROCPRIM_400000_NS6detail17trampoline_kernelINS0_14default_configENS1_35radix_sort_onesweep_config_selectorIlNS0_10empty_typeEEEZZNS1_29radix_sort_onesweep_iterationIS3_Lb1EPKlPlPS5_SB_mNS0_19identity_decomposerENS1_16block_id_wrapperIjLb1EEEEE10hipError_tT1_PNSt15iterator_traitsISG_E10value_typeET2_T3_PNSH_ISM_E10value_typeET4_T5_PSR_SS_PNS1_23onesweep_lookback_stateEbbT6_jjT7_P12ihipStream_tbENKUlT_T0_SG_SL_E_clIS9_SA_SB_SB_EEDaSZ_S10_SG_SL_EUlSZ_E_NS1_11comp_targetILNS1_3genE5ELNS1_11target_archE942ELNS1_3gpuE9ELNS1_3repE0EEENS1_47radix_sort_onesweep_sort_config_static_selectorELNS0_4arch9wavefront6targetE0EEEvSG_.numbered_sgpr, 0
	.set _ZN7rocprim17ROCPRIM_400000_NS6detail17trampoline_kernelINS0_14default_configENS1_35radix_sort_onesweep_config_selectorIlNS0_10empty_typeEEEZZNS1_29radix_sort_onesweep_iterationIS3_Lb1EPKlPlPS5_SB_mNS0_19identity_decomposerENS1_16block_id_wrapperIjLb1EEEEE10hipError_tT1_PNSt15iterator_traitsISG_E10value_typeET2_T3_PNSH_ISM_E10value_typeET4_T5_PSR_SS_PNS1_23onesweep_lookback_stateEbbT6_jjT7_P12ihipStream_tbENKUlT_T0_SG_SL_E_clIS9_SA_SB_SB_EEDaSZ_S10_SG_SL_EUlSZ_E_NS1_11comp_targetILNS1_3genE5ELNS1_11target_archE942ELNS1_3gpuE9ELNS1_3repE0EEENS1_47radix_sort_onesweep_sort_config_static_selectorELNS0_4arch9wavefront6targetE0EEEvSG_.num_named_barrier, 0
	.set _ZN7rocprim17ROCPRIM_400000_NS6detail17trampoline_kernelINS0_14default_configENS1_35radix_sort_onesweep_config_selectorIlNS0_10empty_typeEEEZZNS1_29radix_sort_onesweep_iterationIS3_Lb1EPKlPlPS5_SB_mNS0_19identity_decomposerENS1_16block_id_wrapperIjLb1EEEEE10hipError_tT1_PNSt15iterator_traitsISG_E10value_typeET2_T3_PNSH_ISM_E10value_typeET4_T5_PSR_SS_PNS1_23onesweep_lookback_stateEbbT6_jjT7_P12ihipStream_tbENKUlT_T0_SG_SL_E_clIS9_SA_SB_SB_EEDaSZ_S10_SG_SL_EUlSZ_E_NS1_11comp_targetILNS1_3genE5ELNS1_11target_archE942ELNS1_3gpuE9ELNS1_3repE0EEENS1_47radix_sort_onesweep_sort_config_static_selectorELNS0_4arch9wavefront6targetE0EEEvSG_.private_seg_size, 0
	.set _ZN7rocprim17ROCPRIM_400000_NS6detail17trampoline_kernelINS0_14default_configENS1_35radix_sort_onesweep_config_selectorIlNS0_10empty_typeEEEZZNS1_29radix_sort_onesweep_iterationIS3_Lb1EPKlPlPS5_SB_mNS0_19identity_decomposerENS1_16block_id_wrapperIjLb1EEEEE10hipError_tT1_PNSt15iterator_traitsISG_E10value_typeET2_T3_PNSH_ISM_E10value_typeET4_T5_PSR_SS_PNS1_23onesweep_lookback_stateEbbT6_jjT7_P12ihipStream_tbENKUlT_T0_SG_SL_E_clIS9_SA_SB_SB_EEDaSZ_S10_SG_SL_EUlSZ_E_NS1_11comp_targetILNS1_3genE5ELNS1_11target_archE942ELNS1_3gpuE9ELNS1_3repE0EEENS1_47radix_sort_onesweep_sort_config_static_selectorELNS0_4arch9wavefront6targetE0EEEvSG_.uses_vcc, 0
	.set _ZN7rocprim17ROCPRIM_400000_NS6detail17trampoline_kernelINS0_14default_configENS1_35radix_sort_onesweep_config_selectorIlNS0_10empty_typeEEEZZNS1_29radix_sort_onesweep_iterationIS3_Lb1EPKlPlPS5_SB_mNS0_19identity_decomposerENS1_16block_id_wrapperIjLb1EEEEE10hipError_tT1_PNSt15iterator_traitsISG_E10value_typeET2_T3_PNSH_ISM_E10value_typeET4_T5_PSR_SS_PNS1_23onesweep_lookback_stateEbbT6_jjT7_P12ihipStream_tbENKUlT_T0_SG_SL_E_clIS9_SA_SB_SB_EEDaSZ_S10_SG_SL_EUlSZ_E_NS1_11comp_targetILNS1_3genE5ELNS1_11target_archE942ELNS1_3gpuE9ELNS1_3repE0EEENS1_47radix_sort_onesweep_sort_config_static_selectorELNS0_4arch9wavefront6targetE0EEEvSG_.uses_flat_scratch, 0
	.set _ZN7rocprim17ROCPRIM_400000_NS6detail17trampoline_kernelINS0_14default_configENS1_35radix_sort_onesweep_config_selectorIlNS0_10empty_typeEEEZZNS1_29radix_sort_onesweep_iterationIS3_Lb1EPKlPlPS5_SB_mNS0_19identity_decomposerENS1_16block_id_wrapperIjLb1EEEEE10hipError_tT1_PNSt15iterator_traitsISG_E10value_typeET2_T3_PNSH_ISM_E10value_typeET4_T5_PSR_SS_PNS1_23onesweep_lookback_stateEbbT6_jjT7_P12ihipStream_tbENKUlT_T0_SG_SL_E_clIS9_SA_SB_SB_EEDaSZ_S10_SG_SL_EUlSZ_E_NS1_11comp_targetILNS1_3genE5ELNS1_11target_archE942ELNS1_3gpuE9ELNS1_3repE0EEENS1_47radix_sort_onesweep_sort_config_static_selectorELNS0_4arch9wavefront6targetE0EEEvSG_.has_dyn_sized_stack, 0
	.set _ZN7rocprim17ROCPRIM_400000_NS6detail17trampoline_kernelINS0_14default_configENS1_35radix_sort_onesweep_config_selectorIlNS0_10empty_typeEEEZZNS1_29radix_sort_onesweep_iterationIS3_Lb1EPKlPlPS5_SB_mNS0_19identity_decomposerENS1_16block_id_wrapperIjLb1EEEEE10hipError_tT1_PNSt15iterator_traitsISG_E10value_typeET2_T3_PNSH_ISM_E10value_typeET4_T5_PSR_SS_PNS1_23onesweep_lookback_stateEbbT6_jjT7_P12ihipStream_tbENKUlT_T0_SG_SL_E_clIS9_SA_SB_SB_EEDaSZ_S10_SG_SL_EUlSZ_E_NS1_11comp_targetILNS1_3genE5ELNS1_11target_archE942ELNS1_3gpuE9ELNS1_3repE0EEENS1_47radix_sort_onesweep_sort_config_static_selectorELNS0_4arch9wavefront6targetE0EEEvSG_.has_recursion, 0
	.set _ZN7rocprim17ROCPRIM_400000_NS6detail17trampoline_kernelINS0_14default_configENS1_35radix_sort_onesweep_config_selectorIlNS0_10empty_typeEEEZZNS1_29radix_sort_onesweep_iterationIS3_Lb1EPKlPlPS5_SB_mNS0_19identity_decomposerENS1_16block_id_wrapperIjLb1EEEEE10hipError_tT1_PNSt15iterator_traitsISG_E10value_typeET2_T3_PNSH_ISM_E10value_typeET4_T5_PSR_SS_PNS1_23onesweep_lookback_stateEbbT6_jjT7_P12ihipStream_tbENKUlT_T0_SG_SL_E_clIS9_SA_SB_SB_EEDaSZ_S10_SG_SL_EUlSZ_E_NS1_11comp_targetILNS1_3genE5ELNS1_11target_archE942ELNS1_3gpuE9ELNS1_3repE0EEENS1_47radix_sort_onesweep_sort_config_static_selectorELNS0_4arch9wavefront6targetE0EEEvSG_.has_indirect_call, 0
	.section	.AMDGPU.csdata,"",@progbits
; Kernel info:
; codeLenInByte = 0
; TotalNumSgprs: 0
; NumVgprs: 0
; ScratchSize: 0
; MemoryBound: 0
; FloatMode: 240
; IeeeMode: 1
; LDSByteSize: 0 bytes/workgroup (compile time only)
; SGPRBlocks: 0
; VGPRBlocks: 0
; NumSGPRsForWavesPerEU: 1
; NumVGPRsForWavesPerEU: 1
; NamedBarCnt: 0
; Occupancy: 16
; WaveLimiterHint : 0
; COMPUTE_PGM_RSRC2:SCRATCH_EN: 0
; COMPUTE_PGM_RSRC2:USER_SGPR: 2
; COMPUTE_PGM_RSRC2:TRAP_HANDLER: 0
; COMPUTE_PGM_RSRC2:TGID_X_EN: 1
; COMPUTE_PGM_RSRC2:TGID_Y_EN: 0
; COMPUTE_PGM_RSRC2:TGID_Z_EN: 0
; COMPUTE_PGM_RSRC2:TIDIG_COMP_CNT: 0
	.section	.text._ZN7rocprim17ROCPRIM_400000_NS6detail17trampoline_kernelINS0_14default_configENS1_35radix_sort_onesweep_config_selectorIlNS0_10empty_typeEEEZZNS1_29radix_sort_onesweep_iterationIS3_Lb1EPKlPlPS5_SB_mNS0_19identity_decomposerENS1_16block_id_wrapperIjLb1EEEEE10hipError_tT1_PNSt15iterator_traitsISG_E10value_typeET2_T3_PNSH_ISM_E10value_typeET4_T5_PSR_SS_PNS1_23onesweep_lookback_stateEbbT6_jjT7_P12ihipStream_tbENKUlT_T0_SG_SL_E_clIS9_SA_SB_SB_EEDaSZ_S10_SG_SL_EUlSZ_E_NS1_11comp_targetILNS1_3genE2ELNS1_11target_archE906ELNS1_3gpuE6ELNS1_3repE0EEENS1_47radix_sort_onesweep_sort_config_static_selectorELNS0_4arch9wavefront6targetE0EEEvSG_,"axG",@progbits,_ZN7rocprim17ROCPRIM_400000_NS6detail17trampoline_kernelINS0_14default_configENS1_35radix_sort_onesweep_config_selectorIlNS0_10empty_typeEEEZZNS1_29radix_sort_onesweep_iterationIS3_Lb1EPKlPlPS5_SB_mNS0_19identity_decomposerENS1_16block_id_wrapperIjLb1EEEEE10hipError_tT1_PNSt15iterator_traitsISG_E10value_typeET2_T3_PNSH_ISM_E10value_typeET4_T5_PSR_SS_PNS1_23onesweep_lookback_stateEbbT6_jjT7_P12ihipStream_tbENKUlT_T0_SG_SL_E_clIS9_SA_SB_SB_EEDaSZ_S10_SG_SL_EUlSZ_E_NS1_11comp_targetILNS1_3genE2ELNS1_11target_archE906ELNS1_3gpuE6ELNS1_3repE0EEENS1_47radix_sort_onesweep_sort_config_static_selectorELNS0_4arch9wavefront6targetE0EEEvSG_,comdat
	.protected	_ZN7rocprim17ROCPRIM_400000_NS6detail17trampoline_kernelINS0_14default_configENS1_35radix_sort_onesweep_config_selectorIlNS0_10empty_typeEEEZZNS1_29radix_sort_onesweep_iterationIS3_Lb1EPKlPlPS5_SB_mNS0_19identity_decomposerENS1_16block_id_wrapperIjLb1EEEEE10hipError_tT1_PNSt15iterator_traitsISG_E10value_typeET2_T3_PNSH_ISM_E10value_typeET4_T5_PSR_SS_PNS1_23onesweep_lookback_stateEbbT6_jjT7_P12ihipStream_tbENKUlT_T0_SG_SL_E_clIS9_SA_SB_SB_EEDaSZ_S10_SG_SL_EUlSZ_E_NS1_11comp_targetILNS1_3genE2ELNS1_11target_archE906ELNS1_3gpuE6ELNS1_3repE0EEENS1_47radix_sort_onesweep_sort_config_static_selectorELNS0_4arch9wavefront6targetE0EEEvSG_ ; -- Begin function _ZN7rocprim17ROCPRIM_400000_NS6detail17trampoline_kernelINS0_14default_configENS1_35radix_sort_onesweep_config_selectorIlNS0_10empty_typeEEEZZNS1_29radix_sort_onesweep_iterationIS3_Lb1EPKlPlPS5_SB_mNS0_19identity_decomposerENS1_16block_id_wrapperIjLb1EEEEE10hipError_tT1_PNSt15iterator_traitsISG_E10value_typeET2_T3_PNSH_ISM_E10value_typeET4_T5_PSR_SS_PNS1_23onesweep_lookback_stateEbbT6_jjT7_P12ihipStream_tbENKUlT_T0_SG_SL_E_clIS9_SA_SB_SB_EEDaSZ_S10_SG_SL_EUlSZ_E_NS1_11comp_targetILNS1_3genE2ELNS1_11target_archE906ELNS1_3gpuE6ELNS1_3repE0EEENS1_47radix_sort_onesweep_sort_config_static_selectorELNS0_4arch9wavefront6targetE0EEEvSG_
	.globl	_ZN7rocprim17ROCPRIM_400000_NS6detail17trampoline_kernelINS0_14default_configENS1_35radix_sort_onesweep_config_selectorIlNS0_10empty_typeEEEZZNS1_29radix_sort_onesweep_iterationIS3_Lb1EPKlPlPS5_SB_mNS0_19identity_decomposerENS1_16block_id_wrapperIjLb1EEEEE10hipError_tT1_PNSt15iterator_traitsISG_E10value_typeET2_T3_PNSH_ISM_E10value_typeET4_T5_PSR_SS_PNS1_23onesweep_lookback_stateEbbT6_jjT7_P12ihipStream_tbENKUlT_T0_SG_SL_E_clIS9_SA_SB_SB_EEDaSZ_S10_SG_SL_EUlSZ_E_NS1_11comp_targetILNS1_3genE2ELNS1_11target_archE906ELNS1_3gpuE6ELNS1_3repE0EEENS1_47radix_sort_onesweep_sort_config_static_selectorELNS0_4arch9wavefront6targetE0EEEvSG_
	.p2align	8
	.type	_ZN7rocprim17ROCPRIM_400000_NS6detail17trampoline_kernelINS0_14default_configENS1_35radix_sort_onesweep_config_selectorIlNS0_10empty_typeEEEZZNS1_29radix_sort_onesweep_iterationIS3_Lb1EPKlPlPS5_SB_mNS0_19identity_decomposerENS1_16block_id_wrapperIjLb1EEEEE10hipError_tT1_PNSt15iterator_traitsISG_E10value_typeET2_T3_PNSH_ISM_E10value_typeET4_T5_PSR_SS_PNS1_23onesweep_lookback_stateEbbT6_jjT7_P12ihipStream_tbENKUlT_T0_SG_SL_E_clIS9_SA_SB_SB_EEDaSZ_S10_SG_SL_EUlSZ_E_NS1_11comp_targetILNS1_3genE2ELNS1_11target_archE906ELNS1_3gpuE6ELNS1_3repE0EEENS1_47radix_sort_onesweep_sort_config_static_selectorELNS0_4arch9wavefront6targetE0EEEvSG_,@function
_ZN7rocprim17ROCPRIM_400000_NS6detail17trampoline_kernelINS0_14default_configENS1_35radix_sort_onesweep_config_selectorIlNS0_10empty_typeEEEZZNS1_29radix_sort_onesweep_iterationIS3_Lb1EPKlPlPS5_SB_mNS0_19identity_decomposerENS1_16block_id_wrapperIjLb1EEEEE10hipError_tT1_PNSt15iterator_traitsISG_E10value_typeET2_T3_PNSH_ISM_E10value_typeET4_T5_PSR_SS_PNS1_23onesweep_lookback_stateEbbT6_jjT7_P12ihipStream_tbENKUlT_T0_SG_SL_E_clIS9_SA_SB_SB_EEDaSZ_S10_SG_SL_EUlSZ_E_NS1_11comp_targetILNS1_3genE2ELNS1_11target_archE906ELNS1_3gpuE6ELNS1_3repE0EEENS1_47radix_sort_onesweep_sort_config_static_selectorELNS0_4arch9wavefront6targetE0EEEvSG_: ; @_ZN7rocprim17ROCPRIM_400000_NS6detail17trampoline_kernelINS0_14default_configENS1_35radix_sort_onesweep_config_selectorIlNS0_10empty_typeEEEZZNS1_29radix_sort_onesweep_iterationIS3_Lb1EPKlPlPS5_SB_mNS0_19identity_decomposerENS1_16block_id_wrapperIjLb1EEEEE10hipError_tT1_PNSt15iterator_traitsISG_E10value_typeET2_T3_PNSH_ISM_E10value_typeET4_T5_PSR_SS_PNS1_23onesweep_lookback_stateEbbT6_jjT7_P12ihipStream_tbENKUlT_T0_SG_SL_E_clIS9_SA_SB_SB_EEDaSZ_S10_SG_SL_EUlSZ_E_NS1_11comp_targetILNS1_3genE2ELNS1_11target_archE906ELNS1_3gpuE6ELNS1_3repE0EEENS1_47radix_sort_onesweep_sort_config_static_selectorELNS0_4arch9wavefront6targetE0EEEvSG_
; %bb.0:
	.section	.rodata,"a",@progbits
	.p2align	6, 0x0
	.amdhsa_kernel _ZN7rocprim17ROCPRIM_400000_NS6detail17trampoline_kernelINS0_14default_configENS1_35radix_sort_onesweep_config_selectorIlNS0_10empty_typeEEEZZNS1_29radix_sort_onesweep_iterationIS3_Lb1EPKlPlPS5_SB_mNS0_19identity_decomposerENS1_16block_id_wrapperIjLb1EEEEE10hipError_tT1_PNSt15iterator_traitsISG_E10value_typeET2_T3_PNSH_ISM_E10value_typeET4_T5_PSR_SS_PNS1_23onesweep_lookback_stateEbbT6_jjT7_P12ihipStream_tbENKUlT_T0_SG_SL_E_clIS9_SA_SB_SB_EEDaSZ_S10_SG_SL_EUlSZ_E_NS1_11comp_targetILNS1_3genE2ELNS1_11target_archE906ELNS1_3gpuE6ELNS1_3repE0EEENS1_47radix_sort_onesweep_sort_config_static_selectorELNS0_4arch9wavefront6targetE0EEEvSG_
		.amdhsa_group_segment_fixed_size 0
		.amdhsa_private_segment_fixed_size 0
		.amdhsa_kernarg_size 88
		.amdhsa_user_sgpr_count 2
		.amdhsa_user_sgpr_dispatch_ptr 0
		.amdhsa_user_sgpr_queue_ptr 0
		.amdhsa_user_sgpr_kernarg_segment_ptr 1
		.amdhsa_user_sgpr_dispatch_id 0
		.amdhsa_user_sgpr_kernarg_preload_length 0
		.amdhsa_user_sgpr_kernarg_preload_offset 0
		.amdhsa_user_sgpr_private_segment_size 0
		.amdhsa_wavefront_size32 1
		.amdhsa_uses_dynamic_stack 0
		.amdhsa_enable_private_segment 0
		.amdhsa_system_sgpr_workgroup_id_x 1
		.amdhsa_system_sgpr_workgroup_id_y 0
		.amdhsa_system_sgpr_workgroup_id_z 0
		.amdhsa_system_sgpr_workgroup_info 0
		.amdhsa_system_vgpr_workitem_id 0
		.amdhsa_next_free_vgpr 1
		.amdhsa_next_free_sgpr 1
		.amdhsa_named_barrier_count 0
		.amdhsa_reserve_vcc 0
		.amdhsa_float_round_mode_32 0
		.amdhsa_float_round_mode_16_64 0
		.amdhsa_float_denorm_mode_32 3
		.amdhsa_float_denorm_mode_16_64 3
		.amdhsa_fp16_overflow 0
		.amdhsa_memory_ordered 1
		.amdhsa_forward_progress 1
		.amdhsa_inst_pref_size 0
		.amdhsa_round_robin_scheduling 0
		.amdhsa_exception_fp_ieee_invalid_op 0
		.amdhsa_exception_fp_denorm_src 0
		.amdhsa_exception_fp_ieee_div_zero 0
		.amdhsa_exception_fp_ieee_overflow 0
		.amdhsa_exception_fp_ieee_underflow 0
		.amdhsa_exception_fp_ieee_inexact 0
		.amdhsa_exception_int_div_zero 0
	.end_amdhsa_kernel
	.section	.text._ZN7rocprim17ROCPRIM_400000_NS6detail17trampoline_kernelINS0_14default_configENS1_35radix_sort_onesweep_config_selectorIlNS0_10empty_typeEEEZZNS1_29radix_sort_onesweep_iterationIS3_Lb1EPKlPlPS5_SB_mNS0_19identity_decomposerENS1_16block_id_wrapperIjLb1EEEEE10hipError_tT1_PNSt15iterator_traitsISG_E10value_typeET2_T3_PNSH_ISM_E10value_typeET4_T5_PSR_SS_PNS1_23onesweep_lookback_stateEbbT6_jjT7_P12ihipStream_tbENKUlT_T0_SG_SL_E_clIS9_SA_SB_SB_EEDaSZ_S10_SG_SL_EUlSZ_E_NS1_11comp_targetILNS1_3genE2ELNS1_11target_archE906ELNS1_3gpuE6ELNS1_3repE0EEENS1_47radix_sort_onesweep_sort_config_static_selectorELNS0_4arch9wavefront6targetE0EEEvSG_,"axG",@progbits,_ZN7rocprim17ROCPRIM_400000_NS6detail17trampoline_kernelINS0_14default_configENS1_35radix_sort_onesweep_config_selectorIlNS0_10empty_typeEEEZZNS1_29radix_sort_onesweep_iterationIS3_Lb1EPKlPlPS5_SB_mNS0_19identity_decomposerENS1_16block_id_wrapperIjLb1EEEEE10hipError_tT1_PNSt15iterator_traitsISG_E10value_typeET2_T3_PNSH_ISM_E10value_typeET4_T5_PSR_SS_PNS1_23onesweep_lookback_stateEbbT6_jjT7_P12ihipStream_tbENKUlT_T0_SG_SL_E_clIS9_SA_SB_SB_EEDaSZ_S10_SG_SL_EUlSZ_E_NS1_11comp_targetILNS1_3genE2ELNS1_11target_archE906ELNS1_3gpuE6ELNS1_3repE0EEENS1_47radix_sort_onesweep_sort_config_static_selectorELNS0_4arch9wavefront6targetE0EEEvSG_,comdat
.Lfunc_end1099:
	.size	_ZN7rocprim17ROCPRIM_400000_NS6detail17trampoline_kernelINS0_14default_configENS1_35radix_sort_onesweep_config_selectorIlNS0_10empty_typeEEEZZNS1_29radix_sort_onesweep_iterationIS3_Lb1EPKlPlPS5_SB_mNS0_19identity_decomposerENS1_16block_id_wrapperIjLb1EEEEE10hipError_tT1_PNSt15iterator_traitsISG_E10value_typeET2_T3_PNSH_ISM_E10value_typeET4_T5_PSR_SS_PNS1_23onesweep_lookback_stateEbbT6_jjT7_P12ihipStream_tbENKUlT_T0_SG_SL_E_clIS9_SA_SB_SB_EEDaSZ_S10_SG_SL_EUlSZ_E_NS1_11comp_targetILNS1_3genE2ELNS1_11target_archE906ELNS1_3gpuE6ELNS1_3repE0EEENS1_47radix_sort_onesweep_sort_config_static_selectorELNS0_4arch9wavefront6targetE0EEEvSG_, .Lfunc_end1099-_ZN7rocprim17ROCPRIM_400000_NS6detail17trampoline_kernelINS0_14default_configENS1_35radix_sort_onesweep_config_selectorIlNS0_10empty_typeEEEZZNS1_29radix_sort_onesweep_iterationIS3_Lb1EPKlPlPS5_SB_mNS0_19identity_decomposerENS1_16block_id_wrapperIjLb1EEEEE10hipError_tT1_PNSt15iterator_traitsISG_E10value_typeET2_T3_PNSH_ISM_E10value_typeET4_T5_PSR_SS_PNS1_23onesweep_lookback_stateEbbT6_jjT7_P12ihipStream_tbENKUlT_T0_SG_SL_E_clIS9_SA_SB_SB_EEDaSZ_S10_SG_SL_EUlSZ_E_NS1_11comp_targetILNS1_3genE2ELNS1_11target_archE906ELNS1_3gpuE6ELNS1_3repE0EEENS1_47radix_sort_onesweep_sort_config_static_selectorELNS0_4arch9wavefront6targetE0EEEvSG_
                                        ; -- End function
	.set _ZN7rocprim17ROCPRIM_400000_NS6detail17trampoline_kernelINS0_14default_configENS1_35radix_sort_onesweep_config_selectorIlNS0_10empty_typeEEEZZNS1_29radix_sort_onesweep_iterationIS3_Lb1EPKlPlPS5_SB_mNS0_19identity_decomposerENS1_16block_id_wrapperIjLb1EEEEE10hipError_tT1_PNSt15iterator_traitsISG_E10value_typeET2_T3_PNSH_ISM_E10value_typeET4_T5_PSR_SS_PNS1_23onesweep_lookback_stateEbbT6_jjT7_P12ihipStream_tbENKUlT_T0_SG_SL_E_clIS9_SA_SB_SB_EEDaSZ_S10_SG_SL_EUlSZ_E_NS1_11comp_targetILNS1_3genE2ELNS1_11target_archE906ELNS1_3gpuE6ELNS1_3repE0EEENS1_47radix_sort_onesweep_sort_config_static_selectorELNS0_4arch9wavefront6targetE0EEEvSG_.num_vgpr, 0
	.set _ZN7rocprim17ROCPRIM_400000_NS6detail17trampoline_kernelINS0_14default_configENS1_35radix_sort_onesweep_config_selectorIlNS0_10empty_typeEEEZZNS1_29radix_sort_onesweep_iterationIS3_Lb1EPKlPlPS5_SB_mNS0_19identity_decomposerENS1_16block_id_wrapperIjLb1EEEEE10hipError_tT1_PNSt15iterator_traitsISG_E10value_typeET2_T3_PNSH_ISM_E10value_typeET4_T5_PSR_SS_PNS1_23onesweep_lookback_stateEbbT6_jjT7_P12ihipStream_tbENKUlT_T0_SG_SL_E_clIS9_SA_SB_SB_EEDaSZ_S10_SG_SL_EUlSZ_E_NS1_11comp_targetILNS1_3genE2ELNS1_11target_archE906ELNS1_3gpuE6ELNS1_3repE0EEENS1_47radix_sort_onesweep_sort_config_static_selectorELNS0_4arch9wavefront6targetE0EEEvSG_.num_agpr, 0
	.set _ZN7rocprim17ROCPRIM_400000_NS6detail17trampoline_kernelINS0_14default_configENS1_35radix_sort_onesweep_config_selectorIlNS0_10empty_typeEEEZZNS1_29radix_sort_onesweep_iterationIS3_Lb1EPKlPlPS5_SB_mNS0_19identity_decomposerENS1_16block_id_wrapperIjLb1EEEEE10hipError_tT1_PNSt15iterator_traitsISG_E10value_typeET2_T3_PNSH_ISM_E10value_typeET4_T5_PSR_SS_PNS1_23onesweep_lookback_stateEbbT6_jjT7_P12ihipStream_tbENKUlT_T0_SG_SL_E_clIS9_SA_SB_SB_EEDaSZ_S10_SG_SL_EUlSZ_E_NS1_11comp_targetILNS1_3genE2ELNS1_11target_archE906ELNS1_3gpuE6ELNS1_3repE0EEENS1_47radix_sort_onesweep_sort_config_static_selectorELNS0_4arch9wavefront6targetE0EEEvSG_.numbered_sgpr, 0
	.set _ZN7rocprim17ROCPRIM_400000_NS6detail17trampoline_kernelINS0_14default_configENS1_35radix_sort_onesweep_config_selectorIlNS0_10empty_typeEEEZZNS1_29radix_sort_onesweep_iterationIS3_Lb1EPKlPlPS5_SB_mNS0_19identity_decomposerENS1_16block_id_wrapperIjLb1EEEEE10hipError_tT1_PNSt15iterator_traitsISG_E10value_typeET2_T3_PNSH_ISM_E10value_typeET4_T5_PSR_SS_PNS1_23onesweep_lookback_stateEbbT6_jjT7_P12ihipStream_tbENKUlT_T0_SG_SL_E_clIS9_SA_SB_SB_EEDaSZ_S10_SG_SL_EUlSZ_E_NS1_11comp_targetILNS1_3genE2ELNS1_11target_archE906ELNS1_3gpuE6ELNS1_3repE0EEENS1_47radix_sort_onesweep_sort_config_static_selectorELNS0_4arch9wavefront6targetE0EEEvSG_.num_named_barrier, 0
	.set _ZN7rocprim17ROCPRIM_400000_NS6detail17trampoline_kernelINS0_14default_configENS1_35radix_sort_onesweep_config_selectorIlNS0_10empty_typeEEEZZNS1_29radix_sort_onesweep_iterationIS3_Lb1EPKlPlPS5_SB_mNS0_19identity_decomposerENS1_16block_id_wrapperIjLb1EEEEE10hipError_tT1_PNSt15iterator_traitsISG_E10value_typeET2_T3_PNSH_ISM_E10value_typeET4_T5_PSR_SS_PNS1_23onesweep_lookback_stateEbbT6_jjT7_P12ihipStream_tbENKUlT_T0_SG_SL_E_clIS9_SA_SB_SB_EEDaSZ_S10_SG_SL_EUlSZ_E_NS1_11comp_targetILNS1_3genE2ELNS1_11target_archE906ELNS1_3gpuE6ELNS1_3repE0EEENS1_47radix_sort_onesweep_sort_config_static_selectorELNS0_4arch9wavefront6targetE0EEEvSG_.private_seg_size, 0
	.set _ZN7rocprim17ROCPRIM_400000_NS6detail17trampoline_kernelINS0_14default_configENS1_35radix_sort_onesweep_config_selectorIlNS0_10empty_typeEEEZZNS1_29radix_sort_onesweep_iterationIS3_Lb1EPKlPlPS5_SB_mNS0_19identity_decomposerENS1_16block_id_wrapperIjLb1EEEEE10hipError_tT1_PNSt15iterator_traitsISG_E10value_typeET2_T3_PNSH_ISM_E10value_typeET4_T5_PSR_SS_PNS1_23onesweep_lookback_stateEbbT6_jjT7_P12ihipStream_tbENKUlT_T0_SG_SL_E_clIS9_SA_SB_SB_EEDaSZ_S10_SG_SL_EUlSZ_E_NS1_11comp_targetILNS1_3genE2ELNS1_11target_archE906ELNS1_3gpuE6ELNS1_3repE0EEENS1_47radix_sort_onesweep_sort_config_static_selectorELNS0_4arch9wavefront6targetE0EEEvSG_.uses_vcc, 0
	.set _ZN7rocprim17ROCPRIM_400000_NS6detail17trampoline_kernelINS0_14default_configENS1_35radix_sort_onesweep_config_selectorIlNS0_10empty_typeEEEZZNS1_29radix_sort_onesweep_iterationIS3_Lb1EPKlPlPS5_SB_mNS0_19identity_decomposerENS1_16block_id_wrapperIjLb1EEEEE10hipError_tT1_PNSt15iterator_traitsISG_E10value_typeET2_T3_PNSH_ISM_E10value_typeET4_T5_PSR_SS_PNS1_23onesweep_lookback_stateEbbT6_jjT7_P12ihipStream_tbENKUlT_T0_SG_SL_E_clIS9_SA_SB_SB_EEDaSZ_S10_SG_SL_EUlSZ_E_NS1_11comp_targetILNS1_3genE2ELNS1_11target_archE906ELNS1_3gpuE6ELNS1_3repE0EEENS1_47radix_sort_onesweep_sort_config_static_selectorELNS0_4arch9wavefront6targetE0EEEvSG_.uses_flat_scratch, 0
	.set _ZN7rocprim17ROCPRIM_400000_NS6detail17trampoline_kernelINS0_14default_configENS1_35radix_sort_onesweep_config_selectorIlNS0_10empty_typeEEEZZNS1_29radix_sort_onesweep_iterationIS3_Lb1EPKlPlPS5_SB_mNS0_19identity_decomposerENS1_16block_id_wrapperIjLb1EEEEE10hipError_tT1_PNSt15iterator_traitsISG_E10value_typeET2_T3_PNSH_ISM_E10value_typeET4_T5_PSR_SS_PNS1_23onesweep_lookback_stateEbbT6_jjT7_P12ihipStream_tbENKUlT_T0_SG_SL_E_clIS9_SA_SB_SB_EEDaSZ_S10_SG_SL_EUlSZ_E_NS1_11comp_targetILNS1_3genE2ELNS1_11target_archE906ELNS1_3gpuE6ELNS1_3repE0EEENS1_47radix_sort_onesweep_sort_config_static_selectorELNS0_4arch9wavefront6targetE0EEEvSG_.has_dyn_sized_stack, 0
	.set _ZN7rocprim17ROCPRIM_400000_NS6detail17trampoline_kernelINS0_14default_configENS1_35radix_sort_onesweep_config_selectorIlNS0_10empty_typeEEEZZNS1_29radix_sort_onesweep_iterationIS3_Lb1EPKlPlPS5_SB_mNS0_19identity_decomposerENS1_16block_id_wrapperIjLb1EEEEE10hipError_tT1_PNSt15iterator_traitsISG_E10value_typeET2_T3_PNSH_ISM_E10value_typeET4_T5_PSR_SS_PNS1_23onesweep_lookback_stateEbbT6_jjT7_P12ihipStream_tbENKUlT_T0_SG_SL_E_clIS9_SA_SB_SB_EEDaSZ_S10_SG_SL_EUlSZ_E_NS1_11comp_targetILNS1_3genE2ELNS1_11target_archE906ELNS1_3gpuE6ELNS1_3repE0EEENS1_47radix_sort_onesweep_sort_config_static_selectorELNS0_4arch9wavefront6targetE0EEEvSG_.has_recursion, 0
	.set _ZN7rocprim17ROCPRIM_400000_NS6detail17trampoline_kernelINS0_14default_configENS1_35radix_sort_onesweep_config_selectorIlNS0_10empty_typeEEEZZNS1_29radix_sort_onesweep_iterationIS3_Lb1EPKlPlPS5_SB_mNS0_19identity_decomposerENS1_16block_id_wrapperIjLb1EEEEE10hipError_tT1_PNSt15iterator_traitsISG_E10value_typeET2_T3_PNSH_ISM_E10value_typeET4_T5_PSR_SS_PNS1_23onesweep_lookback_stateEbbT6_jjT7_P12ihipStream_tbENKUlT_T0_SG_SL_E_clIS9_SA_SB_SB_EEDaSZ_S10_SG_SL_EUlSZ_E_NS1_11comp_targetILNS1_3genE2ELNS1_11target_archE906ELNS1_3gpuE6ELNS1_3repE0EEENS1_47radix_sort_onesweep_sort_config_static_selectorELNS0_4arch9wavefront6targetE0EEEvSG_.has_indirect_call, 0
	.section	.AMDGPU.csdata,"",@progbits
; Kernel info:
; codeLenInByte = 0
; TotalNumSgprs: 0
; NumVgprs: 0
; ScratchSize: 0
; MemoryBound: 0
; FloatMode: 240
; IeeeMode: 1
; LDSByteSize: 0 bytes/workgroup (compile time only)
; SGPRBlocks: 0
; VGPRBlocks: 0
; NumSGPRsForWavesPerEU: 1
; NumVGPRsForWavesPerEU: 1
; NamedBarCnt: 0
; Occupancy: 16
; WaveLimiterHint : 0
; COMPUTE_PGM_RSRC2:SCRATCH_EN: 0
; COMPUTE_PGM_RSRC2:USER_SGPR: 2
; COMPUTE_PGM_RSRC2:TRAP_HANDLER: 0
; COMPUTE_PGM_RSRC2:TGID_X_EN: 1
; COMPUTE_PGM_RSRC2:TGID_Y_EN: 0
; COMPUTE_PGM_RSRC2:TGID_Z_EN: 0
; COMPUTE_PGM_RSRC2:TIDIG_COMP_CNT: 0
	.section	.text._ZN7rocprim17ROCPRIM_400000_NS6detail17trampoline_kernelINS0_14default_configENS1_35radix_sort_onesweep_config_selectorIlNS0_10empty_typeEEEZZNS1_29radix_sort_onesweep_iterationIS3_Lb1EPKlPlPS5_SB_mNS0_19identity_decomposerENS1_16block_id_wrapperIjLb1EEEEE10hipError_tT1_PNSt15iterator_traitsISG_E10value_typeET2_T3_PNSH_ISM_E10value_typeET4_T5_PSR_SS_PNS1_23onesweep_lookback_stateEbbT6_jjT7_P12ihipStream_tbENKUlT_T0_SG_SL_E_clIS9_SA_SB_SB_EEDaSZ_S10_SG_SL_EUlSZ_E_NS1_11comp_targetILNS1_3genE4ELNS1_11target_archE910ELNS1_3gpuE8ELNS1_3repE0EEENS1_47radix_sort_onesweep_sort_config_static_selectorELNS0_4arch9wavefront6targetE0EEEvSG_,"axG",@progbits,_ZN7rocprim17ROCPRIM_400000_NS6detail17trampoline_kernelINS0_14default_configENS1_35radix_sort_onesweep_config_selectorIlNS0_10empty_typeEEEZZNS1_29radix_sort_onesweep_iterationIS3_Lb1EPKlPlPS5_SB_mNS0_19identity_decomposerENS1_16block_id_wrapperIjLb1EEEEE10hipError_tT1_PNSt15iterator_traitsISG_E10value_typeET2_T3_PNSH_ISM_E10value_typeET4_T5_PSR_SS_PNS1_23onesweep_lookback_stateEbbT6_jjT7_P12ihipStream_tbENKUlT_T0_SG_SL_E_clIS9_SA_SB_SB_EEDaSZ_S10_SG_SL_EUlSZ_E_NS1_11comp_targetILNS1_3genE4ELNS1_11target_archE910ELNS1_3gpuE8ELNS1_3repE0EEENS1_47radix_sort_onesweep_sort_config_static_selectorELNS0_4arch9wavefront6targetE0EEEvSG_,comdat
	.protected	_ZN7rocprim17ROCPRIM_400000_NS6detail17trampoline_kernelINS0_14default_configENS1_35radix_sort_onesweep_config_selectorIlNS0_10empty_typeEEEZZNS1_29radix_sort_onesweep_iterationIS3_Lb1EPKlPlPS5_SB_mNS0_19identity_decomposerENS1_16block_id_wrapperIjLb1EEEEE10hipError_tT1_PNSt15iterator_traitsISG_E10value_typeET2_T3_PNSH_ISM_E10value_typeET4_T5_PSR_SS_PNS1_23onesweep_lookback_stateEbbT6_jjT7_P12ihipStream_tbENKUlT_T0_SG_SL_E_clIS9_SA_SB_SB_EEDaSZ_S10_SG_SL_EUlSZ_E_NS1_11comp_targetILNS1_3genE4ELNS1_11target_archE910ELNS1_3gpuE8ELNS1_3repE0EEENS1_47radix_sort_onesweep_sort_config_static_selectorELNS0_4arch9wavefront6targetE0EEEvSG_ ; -- Begin function _ZN7rocprim17ROCPRIM_400000_NS6detail17trampoline_kernelINS0_14default_configENS1_35radix_sort_onesweep_config_selectorIlNS0_10empty_typeEEEZZNS1_29radix_sort_onesweep_iterationIS3_Lb1EPKlPlPS5_SB_mNS0_19identity_decomposerENS1_16block_id_wrapperIjLb1EEEEE10hipError_tT1_PNSt15iterator_traitsISG_E10value_typeET2_T3_PNSH_ISM_E10value_typeET4_T5_PSR_SS_PNS1_23onesweep_lookback_stateEbbT6_jjT7_P12ihipStream_tbENKUlT_T0_SG_SL_E_clIS9_SA_SB_SB_EEDaSZ_S10_SG_SL_EUlSZ_E_NS1_11comp_targetILNS1_3genE4ELNS1_11target_archE910ELNS1_3gpuE8ELNS1_3repE0EEENS1_47radix_sort_onesweep_sort_config_static_selectorELNS0_4arch9wavefront6targetE0EEEvSG_
	.globl	_ZN7rocprim17ROCPRIM_400000_NS6detail17trampoline_kernelINS0_14default_configENS1_35radix_sort_onesweep_config_selectorIlNS0_10empty_typeEEEZZNS1_29radix_sort_onesweep_iterationIS3_Lb1EPKlPlPS5_SB_mNS0_19identity_decomposerENS1_16block_id_wrapperIjLb1EEEEE10hipError_tT1_PNSt15iterator_traitsISG_E10value_typeET2_T3_PNSH_ISM_E10value_typeET4_T5_PSR_SS_PNS1_23onesweep_lookback_stateEbbT6_jjT7_P12ihipStream_tbENKUlT_T0_SG_SL_E_clIS9_SA_SB_SB_EEDaSZ_S10_SG_SL_EUlSZ_E_NS1_11comp_targetILNS1_3genE4ELNS1_11target_archE910ELNS1_3gpuE8ELNS1_3repE0EEENS1_47radix_sort_onesweep_sort_config_static_selectorELNS0_4arch9wavefront6targetE0EEEvSG_
	.p2align	8
	.type	_ZN7rocprim17ROCPRIM_400000_NS6detail17trampoline_kernelINS0_14default_configENS1_35radix_sort_onesweep_config_selectorIlNS0_10empty_typeEEEZZNS1_29radix_sort_onesweep_iterationIS3_Lb1EPKlPlPS5_SB_mNS0_19identity_decomposerENS1_16block_id_wrapperIjLb1EEEEE10hipError_tT1_PNSt15iterator_traitsISG_E10value_typeET2_T3_PNSH_ISM_E10value_typeET4_T5_PSR_SS_PNS1_23onesweep_lookback_stateEbbT6_jjT7_P12ihipStream_tbENKUlT_T0_SG_SL_E_clIS9_SA_SB_SB_EEDaSZ_S10_SG_SL_EUlSZ_E_NS1_11comp_targetILNS1_3genE4ELNS1_11target_archE910ELNS1_3gpuE8ELNS1_3repE0EEENS1_47radix_sort_onesweep_sort_config_static_selectorELNS0_4arch9wavefront6targetE0EEEvSG_,@function
_ZN7rocprim17ROCPRIM_400000_NS6detail17trampoline_kernelINS0_14default_configENS1_35radix_sort_onesweep_config_selectorIlNS0_10empty_typeEEEZZNS1_29radix_sort_onesweep_iterationIS3_Lb1EPKlPlPS5_SB_mNS0_19identity_decomposerENS1_16block_id_wrapperIjLb1EEEEE10hipError_tT1_PNSt15iterator_traitsISG_E10value_typeET2_T3_PNSH_ISM_E10value_typeET4_T5_PSR_SS_PNS1_23onesweep_lookback_stateEbbT6_jjT7_P12ihipStream_tbENKUlT_T0_SG_SL_E_clIS9_SA_SB_SB_EEDaSZ_S10_SG_SL_EUlSZ_E_NS1_11comp_targetILNS1_3genE4ELNS1_11target_archE910ELNS1_3gpuE8ELNS1_3repE0EEENS1_47radix_sort_onesweep_sort_config_static_selectorELNS0_4arch9wavefront6targetE0EEEvSG_: ; @_ZN7rocprim17ROCPRIM_400000_NS6detail17trampoline_kernelINS0_14default_configENS1_35radix_sort_onesweep_config_selectorIlNS0_10empty_typeEEEZZNS1_29radix_sort_onesweep_iterationIS3_Lb1EPKlPlPS5_SB_mNS0_19identity_decomposerENS1_16block_id_wrapperIjLb1EEEEE10hipError_tT1_PNSt15iterator_traitsISG_E10value_typeET2_T3_PNSH_ISM_E10value_typeET4_T5_PSR_SS_PNS1_23onesweep_lookback_stateEbbT6_jjT7_P12ihipStream_tbENKUlT_T0_SG_SL_E_clIS9_SA_SB_SB_EEDaSZ_S10_SG_SL_EUlSZ_E_NS1_11comp_targetILNS1_3genE4ELNS1_11target_archE910ELNS1_3gpuE8ELNS1_3repE0EEENS1_47radix_sort_onesweep_sort_config_static_selectorELNS0_4arch9wavefront6targetE0EEEvSG_
; %bb.0:
	.section	.rodata,"a",@progbits
	.p2align	6, 0x0
	.amdhsa_kernel _ZN7rocprim17ROCPRIM_400000_NS6detail17trampoline_kernelINS0_14default_configENS1_35radix_sort_onesweep_config_selectorIlNS0_10empty_typeEEEZZNS1_29radix_sort_onesweep_iterationIS3_Lb1EPKlPlPS5_SB_mNS0_19identity_decomposerENS1_16block_id_wrapperIjLb1EEEEE10hipError_tT1_PNSt15iterator_traitsISG_E10value_typeET2_T3_PNSH_ISM_E10value_typeET4_T5_PSR_SS_PNS1_23onesweep_lookback_stateEbbT6_jjT7_P12ihipStream_tbENKUlT_T0_SG_SL_E_clIS9_SA_SB_SB_EEDaSZ_S10_SG_SL_EUlSZ_E_NS1_11comp_targetILNS1_3genE4ELNS1_11target_archE910ELNS1_3gpuE8ELNS1_3repE0EEENS1_47radix_sort_onesweep_sort_config_static_selectorELNS0_4arch9wavefront6targetE0EEEvSG_
		.amdhsa_group_segment_fixed_size 0
		.amdhsa_private_segment_fixed_size 0
		.amdhsa_kernarg_size 88
		.amdhsa_user_sgpr_count 2
		.amdhsa_user_sgpr_dispatch_ptr 0
		.amdhsa_user_sgpr_queue_ptr 0
		.amdhsa_user_sgpr_kernarg_segment_ptr 1
		.amdhsa_user_sgpr_dispatch_id 0
		.amdhsa_user_sgpr_kernarg_preload_length 0
		.amdhsa_user_sgpr_kernarg_preload_offset 0
		.amdhsa_user_sgpr_private_segment_size 0
		.amdhsa_wavefront_size32 1
		.amdhsa_uses_dynamic_stack 0
		.amdhsa_enable_private_segment 0
		.amdhsa_system_sgpr_workgroup_id_x 1
		.amdhsa_system_sgpr_workgroup_id_y 0
		.amdhsa_system_sgpr_workgroup_id_z 0
		.amdhsa_system_sgpr_workgroup_info 0
		.amdhsa_system_vgpr_workitem_id 0
		.amdhsa_next_free_vgpr 1
		.amdhsa_next_free_sgpr 1
		.amdhsa_named_barrier_count 0
		.amdhsa_reserve_vcc 0
		.amdhsa_float_round_mode_32 0
		.amdhsa_float_round_mode_16_64 0
		.amdhsa_float_denorm_mode_32 3
		.amdhsa_float_denorm_mode_16_64 3
		.amdhsa_fp16_overflow 0
		.amdhsa_memory_ordered 1
		.amdhsa_forward_progress 1
		.amdhsa_inst_pref_size 0
		.amdhsa_round_robin_scheduling 0
		.amdhsa_exception_fp_ieee_invalid_op 0
		.amdhsa_exception_fp_denorm_src 0
		.amdhsa_exception_fp_ieee_div_zero 0
		.amdhsa_exception_fp_ieee_overflow 0
		.amdhsa_exception_fp_ieee_underflow 0
		.amdhsa_exception_fp_ieee_inexact 0
		.amdhsa_exception_int_div_zero 0
	.end_amdhsa_kernel
	.section	.text._ZN7rocprim17ROCPRIM_400000_NS6detail17trampoline_kernelINS0_14default_configENS1_35radix_sort_onesweep_config_selectorIlNS0_10empty_typeEEEZZNS1_29radix_sort_onesweep_iterationIS3_Lb1EPKlPlPS5_SB_mNS0_19identity_decomposerENS1_16block_id_wrapperIjLb1EEEEE10hipError_tT1_PNSt15iterator_traitsISG_E10value_typeET2_T3_PNSH_ISM_E10value_typeET4_T5_PSR_SS_PNS1_23onesweep_lookback_stateEbbT6_jjT7_P12ihipStream_tbENKUlT_T0_SG_SL_E_clIS9_SA_SB_SB_EEDaSZ_S10_SG_SL_EUlSZ_E_NS1_11comp_targetILNS1_3genE4ELNS1_11target_archE910ELNS1_3gpuE8ELNS1_3repE0EEENS1_47radix_sort_onesweep_sort_config_static_selectorELNS0_4arch9wavefront6targetE0EEEvSG_,"axG",@progbits,_ZN7rocprim17ROCPRIM_400000_NS6detail17trampoline_kernelINS0_14default_configENS1_35radix_sort_onesweep_config_selectorIlNS0_10empty_typeEEEZZNS1_29radix_sort_onesweep_iterationIS3_Lb1EPKlPlPS5_SB_mNS0_19identity_decomposerENS1_16block_id_wrapperIjLb1EEEEE10hipError_tT1_PNSt15iterator_traitsISG_E10value_typeET2_T3_PNSH_ISM_E10value_typeET4_T5_PSR_SS_PNS1_23onesweep_lookback_stateEbbT6_jjT7_P12ihipStream_tbENKUlT_T0_SG_SL_E_clIS9_SA_SB_SB_EEDaSZ_S10_SG_SL_EUlSZ_E_NS1_11comp_targetILNS1_3genE4ELNS1_11target_archE910ELNS1_3gpuE8ELNS1_3repE0EEENS1_47radix_sort_onesweep_sort_config_static_selectorELNS0_4arch9wavefront6targetE0EEEvSG_,comdat
.Lfunc_end1100:
	.size	_ZN7rocprim17ROCPRIM_400000_NS6detail17trampoline_kernelINS0_14default_configENS1_35radix_sort_onesweep_config_selectorIlNS0_10empty_typeEEEZZNS1_29radix_sort_onesweep_iterationIS3_Lb1EPKlPlPS5_SB_mNS0_19identity_decomposerENS1_16block_id_wrapperIjLb1EEEEE10hipError_tT1_PNSt15iterator_traitsISG_E10value_typeET2_T3_PNSH_ISM_E10value_typeET4_T5_PSR_SS_PNS1_23onesweep_lookback_stateEbbT6_jjT7_P12ihipStream_tbENKUlT_T0_SG_SL_E_clIS9_SA_SB_SB_EEDaSZ_S10_SG_SL_EUlSZ_E_NS1_11comp_targetILNS1_3genE4ELNS1_11target_archE910ELNS1_3gpuE8ELNS1_3repE0EEENS1_47radix_sort_onesweep_sort_config_static_selectorELNS0_4arch9wavefront6targetE0EEEvSG_, .Lfunc_end1100-_ZN7rocprim17ROCPRIM_400000_NS6detail17trampoline_kernelINS0_14default_configENS1_35radix_sort_onesweep_config_selectorIlNS0_10empty_typeEEEZZNS1_29radix_sort_onesweep_iterationIS3_Lb1EPKlPlPS5_SB_mNS0_19identity_decomposerENS1_16block_id_wrapperIjLb1EEEEE10hipError_tT1_PNSt15iterator_traitsISG_E10value_typeET2_T3_PNSH_ISM_E10value_typeET4_T5_PSR_SS_PNS1_23onesweep_lookback_stateEbbT6_jjT7_P12ihipStream_tbENKUlT_T0_SG_SL_E_clIS9_SA_SB_SB_EEDaSZ_S10_SG_SL_EUlSZ_E_NS1_11comp_targetILNS1_3genE4ELNS1_11target_archE910ELNS1_3gpuE8ELNS1_3repE0EEENS1_47radix_sort_onesweep_sort_config_static_selectorELNS0_4arch9wavefront6targetE0EEEvSG_
                                        ; -- End function
	.set _ZN7rocprim17ROCPRIM_400000_NS6detail17trampoline_kernelINS0_14default_configENS1_35radix_sort_onesweep_config_selectorIlNS0_10empty_typeEEEZZNS1_29radix_sort_onesweep_iterationIS3_Lb1EPKlPlPS5_SB_mNS0_19identity_decomposerENS1_16block_id_wrapperIjLb1EEEEE10hipError_tT1_PNSt15iterator_traitsISG_E10value_typeET2_T3_PNSH_ISM_E10value_typeET4_T5_PSR_SS_PNS1_23onesweep_lookback_stateEbbT6_jjT7_P12ihipStream_tbENKUlT_T0_SG_SL_E_clIS9_SA_SB_SB_EEDaSZ_S10_SG_SL_EUlSZ_E_NS1_11comp_targetILNS1_3genE4ELNS1_11target_archE910ELNS1_3gpuE8ELNS1_3repE0EEENS1_47radix_sort_onesweep_sort_config_static_selectorELNS0_4arch9wavefront6targetE0EEEvSG_.num_vgpr, 0
	.set _ZN7rocprim17ROCPRIM_400000_NS6detail17trampoline_kernelINS0_14default_configENS1_35radix_sort_onesweep_config_selectorIlNS0_10empty_typeEEEZZNS1_29radix_sort_onesweep_iterationIS3_Lb1EPKlPlPS5_SB_mNS0_19identity_decomposerENS1_16block_id_wrapperIjLb1EEEEE10hipError_tT1_PNSt15iterator_traitsISG_E10value_typeET2_T3_PNSH_ISM_E10value_typeET4_T5_PSR_SS_PNS1_23onesweep_lookback_stateEbbT6_jjT7_P12ihipStream_tbENKUlT_T0_SG_SL_E_clIS9_SA_SB_SB_EEDaSZ_S10_SG_SL_EUlSZ_E_NS1_11comp_targetILNS1_3genE4ELNS1_11target_archE910ELNS1_3gpuE8ELNS1_3repE0EEENS1_47radix_sort_onesweep_sort_config_static_selectorELNS0_4arch9wavefront6targetE0EEEvSG_.num_agpr, 0
	.set _ZN7rocprim17ROCPRIM_400000_NS6detail17trampoline_kernelINS0_14default_configENS1_35radix_sort_onesweep_config_selectorIlNS0_10empty_typeEEEZZNS1_29radix_sort_onesweep_iterationIS3_Lb1EPKlPlPS5_SB_mNS0_19identity_decomposerENS1_16block_id_wrapperIjLb1EEEEE10hipError_tT1_PNSt15iterator_traitsISG_E10value_typeET2_T3_PNSH_ISM_E10value_typeET4_T5_PSR_SS_PNS1_23onesweep_lookback_stateEbbT6_jjT7_P12ihipStream_tbENKUlT_T0_SG_SL_E_clIS9_SA_SB_SB_EEDaSZ_S10_SG_SL_EUlSZ_E_NS1_11comp_targetILNS1_3genE4ELNS1_11target_archE910ELNS1_3gpuE8ELNS1_3repE0EEENS1_47radix_sort_onesweep_sort_config_static_selectorELNS0_4arch9wavefront6targetE0EEEvSG_.numbered_sgpr, 0
	.set _ZN7rocprim17ROCPRIM_400000_NS6detail17trampoline_kernelINS0_14default_configENS1_35radix_sort_onesweep_config_selectorIlNS0_10empty_typeEEEZZNS1_29radix_sort_onesweep_iterationIS3_Lb1EPKlPlPS5_SB_mNS0_19identity_decomposerENS1_16block_id_wrapperIjLb1EEEEE10hipError_tT1_PNSt15iterator_traitsISG_E10value_typeET2_T3_PNSH_ISM_E10value_typeET4_T5_PSR_SS_PNS1_23onesweep_lookback_stateEbbT6_jjT7_P12ihipStream_tbENKUlT_T0_SG_SL_E_clIS9_SA_SB_SB_EEDaSZ_S10_SG_SL_EUlSZ_E_NS1_11comp_targetILNS1_3genE4ELNS1_11target_archE910ELNS1_3gpuE8ELNS1_3repE0EEENS1_47radix_sort_onesweep_sort_config_static_selectorELNS0_4arch9wavefront6targetE0EEEvSG_.num_named_barrier, 0
	.set _ZN7rocprim17ROCPRIM_400000_NS6detail17trampoline_kernelINS0_14default_configENS1_35radix_sort_onesweep_config_selectorIlNS0_10empty_typeEEEZZNS1_29radix_sort_onesweep_iterationIS3_Lb1EPKlPlPS5_SB_mNS0_19identity_decomposerENS1_16block_id_wrapperIjLb1EEEEE10hipError_tT1_PNSt15iterator_traitsISG_E10value_typeET2_T3_PNSH_ISM_E10value_typeET4_T5_PSR_SS_PNS1_23onesweep_lookback_stateEbbT6_jjT7_P12ihipStream_tbENKUlT_T0_SG_SL_E_clIS9_SA_SB_SB_EEDaSZ_S10_SG_SL_EUlSZ_E_NS1_11comp_targetILNS1_3genE4ELNS1_11target_archE910ELNS1_3gpuE8ELNS1_3repE0EEENS1_47radix_sort_onesweep_sort_config_static_selectorELNS0_4arch9wavefront6targetE0EEEvSG_.private_seg_size, 0
	.set _ZN7rocprim17ROCPRIM_400000_NS6detail17trampoline_kernelINS0_14default_configENS1_35radix_sort_onesweep_config_selectorIlNS0_10empty_typeEEEZZNS1_29radix_sort_onesweep_iterationIS3_Lb1EPKlPlPS5_SB_mNS0_19identity_decomposerENS1_16block_id_wrapperIjLb1EEEEE10hipError_tT1_PNSt15iterator_traitsISG_E10value_typeET2_T3_PNSH_ISM_E10value_typeET4_T5_PSR_SS_PNS1_23onesweep_lookback_stateEbbT6_jjT7_P12ihipStream_tbENKUlT_T0_SG_SL_E_clIS9_SA_SB_SB_EEDaSZ_S10_SG_SL_EUlSZ_E_NS1_11comp_targetILNS1_3genE4ELNS1_11target_archE910ELNS1_3gpuE8ELNS1_3repE0EEENS1_47radix_sort_onesweep_sort_config_static_selectorELNS0_4arch9wavefront6targetE0EEEvSG_.uses_vcc, 0
	.set _ZN7rocprim17ROCPRIM_400000_NS6detail17trampoline_kernelINS0_14default_configENS1_35radix_sort_onesweep_config_selectorIlNS0_10empty_typeEEEZZNS1_29radix_sort_onesweep_iterationIS3_Lb1EPKlPlPS5_SB_mNS0_19identity_decomposerENS1_16block_id_wrapperIjLb1EEEEE10hipError_tT1_PNSt15iterator_traitsISG_E10value_typeET2_T3_PNSH_ISM_E10value_typeET4_T5_PSR_SS_PNS1_23onesweep_lookback_stateEbbT6_jjT7_P12ihipStream_tbENKUlT_T0_SG_SL_E_clIS9_SA_SB_SB_EEDaSZ_S10_SG_SL_EUlSZ_E_NS1_11comp_targetILNS1_3genE4ELNS1_11target_archE910ELNS1_3gpuE8ELNS1_3repE0EEENS1_47radix_sort_onesweep_sort_config_static_selectorELNS0_4arch9wavefront6targetE0EEEvSG_.uses_flat_scratch, 0
	.set _ZN7rocprim17ROCPRIM_400000_NS6detail17trampoline_kernelINS0_14default_configENS1_35radix_sort_onesweep_config_selectorIlNS0_10empty_typeEEEZZNS1_29radix_sort_onesweep_iterationIS3_Lb1EPKlPlPS5_SB_mNS0_19identity_decomposerENS1_16block_id_wrapperIjLb1EEEEE10hipError_tT1_PNSt15iterator_traitsISG_E10value_typeET2_T3_PNSH_ISM_E10value_typeET4_T5_PSR_SS_PNS1_23onesweep_lookback_stateEbbT6_jjT7_P12ihipStream_tbENKUlT_T0_SG_SL_E_clIS9_SA_SB_SB_EEDaSZ_S10_SG_SL_EUlSZ_E_NS1_11comp_targetILNS1_3genE4ELNS1_11target_archE910ELNS1_3gpuE8ELNS1_3repE0EEENS1_47radix_sort_onesweep_sort_config_static_selectorELNS0_4arch9wavefront6targetE0EEEvSG_.has_dyn_sized_stack, 0
	.set _ZN7rocprim17ROCPRIM_400000_NS6detail17trampoline_kernelINS0_14default_configENS1_35radix_sort_onesweep_config_selectorIlNS0_10empty_typeEEEZZNS1_29radix_sort_onesweep_iterationIS3_Lb1EPKlPlPS5_SB_mNS0_19identity_decomposerENS1_16block_id_wrapperIjLb1EEEEE10hipError_tT1_PNSt15iterator_traitsISG_E10value_typeET2_T3_PNSH_ISM_E10value_typeET4_T5_PSR_SS_PNS1_23onesweep_lookback_stateEbbT6_jjT7_P12ihipStream_tbENKUlT_T0_SG_SL_E_clIS9_SA_SB_SB_EEDaSZ_S10_SG_SL_EUlSZ_E_NS1_11comp_targetILNS1_3genE4ELNS1_11target_archE910ELNS1_3gpuE8ELNS1_3repE0EEENS1_47radix_sort_onesweep_sort_config_static_selectorELNS0_4arch9wavefront6targetE0EEEvSG_.has_recursion, 0
	.set _ZN7rocprim17ROCPRIM_400000_NS6detail17trampoline_kernelINS0_14default_configENS1_35radix_sort_onesweep_config_selectorIlNS0_10empty_typeEEEZZNS1_29radix_sort_onesweep_iterationIS3_Lb1EPKlPlPS5_SB_mNS0_19identity_decomposerENS1_16block_id_wrapperIjLb1EEEEE10hipError_tT1_PNSt15iterator_traitsISG_E10value_typeET2_T3_PNSH_ISM_E10value_typeET4_T5_PSR_SS_PNS1_23onesweep_lookback_stateEbbT6_jjT7_P12ihipStream_tbENKUlT_T0_SG_SL_E_clIS9_SA_SB_SB_EEDaSZ_S10_SG_SL_EUlSZ_E_NS1_11comp_targetILNS1_3genE4ELNS1_11target_archE910ELNS1_3gpuE8ELNS1_3repE0EEENS1_47radix_sort_onesweep_sort_config_static_selectorELNS0_4arch9wavefront6targetE0EEEvSG_.has_indirect_call, 0
	.section	.AMDGPU.csdata,"",@progbits
; Kernel info:
; codeLenInByte = 0
; TotalNumSgprs: 0
; NumVgprs: 0
; ScratchSize: 0
; MemoryBound: 0
; FloatMode: 240
; IeeeMode: 1
; LDSByteSize: 0 bytes/workgroup (compile time only)
; SGPRBlocks: 0
; VGPRBlocks: 0
; NumSGPRsForWavesPerEU: 1
; NumVGPRsForWavesPerEU: 1
; NamedBarCnt: 0
; Occupancy: 16
; WaveLimiterHint : 0
; COMPUTE_PGM_RSRC2:SCRATCH_EN: 0
; COMPUTE_PGM_RSRC2:USER_SGPR: 2
; COMPUTE_PGM_RSRC2:TRAP_HANDLER: 0
; COMPUTE_PGM_RSRC2:TGID_X_EN: 1
; COMPUTE_PGM_RSRC2:TGID_Y_EN: 0
; COMPUTE_PGM_RSRC2:TGID_Z_EN: 0
; COMPUTE_PGM_RSRC2:TIDIG_COMP_CNT: 0
	.section	.text._ZN7rocprim17ROCPRIM_400000_NS6detail17trampoline_kernelINS0_14default_configENS1_35radix_sort_onesweep_config_selectorIlNS0_10empty_typeEEEZZNS1_29radix_sort_onesweep_iterationIS3_Lb1EPKlPlPS5_SB_mNS0_19identity_decomposerENS1_16block_id_wrapperIjLb1EEEEE10hipError_tT1_PNSt15iterator_traitsISG_E10value_typeET2_T3_PNSH_ISM_E10value_typeET4_T5_PSR_SS_PNS1_23onesweep_lookback_stateEbbT6_jjT7_P12ihipStream_tbENKUlT_T0_SG_SL_E_clIS9_SA_SB_SB_EEDaSZ_S10_SG_SL_EUlSZ_E_NS1_11comp_targetILNS1_3genE3ELNS1_11target_archE908ELNS1_3gpuE7ELNS1_3repE0EEENS1_47radix_sort_onesweep_sort_config_static_selectorELNS0_4arch9wavefront6targetE0EEEvSG_,"axG",@progbits,_ZN7rocprim17ROCPRIM_400000_NS6detail17trampoline_kernelINS0_14default_configENS1_35radix_sort_onesweep_config_selectorIlNS0_10empty_typeEEEZZNS1_29radix_sort_onesweep_iterationIS3_Lb1EPKlPlPS5_SB_mNS0_19identity_decomposerENS1_16block_id_wrapperIjLb1EEEEE10hipError_tT1_PNSt15iterator_traitsISG_E10value_typeET2_T3_PNSH_ISM_E10value_typeET4_T5_PSR_SS_PNS1_23onesweep_lookback_stateEbbT6_jjT7_P12ihipStream_tbENKUlT_T0_SG_SL_E_clIS9_SA_SB_SB_EEDaSZ_S10_SG_SL_EUlSZ_E_NS1_11comp_targetILNS1_3genE3ELNS1_11target_archE908ELNS1_3gpuE7ELNS1_3repE0EEENS1_47radix_sort_onesweep_sort_config_static_selectorELNS0_4arch9wavefront6targetE0EEEvSG_,comdat
	.protected	_ZN7rocprim17ROCPRIM_400000_NS6detail17trampoline_kernelINS0_14default_configENS1_35radix_sort_onesweep_config_selectorIlNS0_10empty_typeEEEZZNS1_29radix_sort_onesweep_iterationIS3_Lb1EPKlPlPS5_SB_mNS0_19identity_decomposerENS1_16block_id_wrapperIjLb1EEEEE10hipError_tT1_PNSt15iterator_traitsISG_E10value_typeET2_T3_PNSH_ISM_E10value_typeET4_T5_PSR_SS_PNS1_23onesweep_lookback_stateEbbT6_jjT7_P12ihipStream_tbENKUlT_T0_SG_SL_E_clIS9_SA_SB_SB_EEDaSZ_S10_SG_SL_EUlSZ_E_NS1_11comp_targetILNS1_3genE3ELNS1_11target_archE908ELNS1_3gpuE7ELNS1_3repE0EEENS1_47radix_sort_onesweep_sort_config_static_selectorELNS0_4arch9wavefront6targetE0EEEvSG_ ; -- Begin function _ZN7rocprim17ROCPRIM_400000_NS6detail17trampoline_kernelINS0_14default_configENS1_35radix_sort_onesweep_config_selectorIlNS0_10empty_typeEEEZZNS1_29radix_sort_onesweep_iterationIS3_Lb1EPKlPlPS5_SB_mNS0_19identity_decomposerENS1_16block_id_wrapperIjLb1EEEEE10hipError_tT1_PNSt15iterator_traitsISG_E10value_typeET2_T3_PNSH_ISM_E10value_typeET4_T5_PSR_SS_PNS1_23onesweep_lookback_stateEbbT6_jjT7_P12ihipStream_tbENKUlT_T0_SG_SL_E_clIS9_SA_SB_SB_EEDaSZ_S10_SG_SL_EUlSZ_E_NS1_11comp_targetILNS1_3genE3ELNS1_11target_archE908ELNS1_3gpuE7ELNS1_3repE0EEENS1_47radix_sort_onesweep_sort_config_static_selectorELNS0_4arch9wavefront6targetE0EEEvSG_
	.globl	_ZN7rocprim17ROCPRIM_400000_NS6detail17trampoline_kernelINS0_14default_configENS1_35radix_sort_onesweep_config_selectorIlNS0_10empty_typeEEEZZNS1_29radix_sort_onesweep_iterationIS3_Lb1EPKlPlPS5_SB_mNS0_19identity_decomposerENS1_16block_id_wrapperIjLb1EEEEE10hipError_tT1_PNSt15iterator_traitsISG_E10value_typeET2_T3_PNSH_ISM_E10value_typeET4_T5_PSR_SS_PNS1_23onesweep_lookback_stateEbbT6_jjT7_P12ihipStream_tbENKUlT_T0_SG_SL_E_clIS9_SA_SB_SB_EEDaSZ_S10_SG_SL_EUlSZ_E_NS1_11comp_targetILNS1_3genE3ELNS1_11target_archE908ELNS1_3gpuE7ELNS1_3repE0EEENS1_47radix_sort_onesweep_sort_config_static_selectorELNS0_4arch9wavefront6targetE0EEEvSG_
	.p2align	8
	.type	_ZN7rocprim17ROCPRIM_400000_NS6detail17trampoline_kernelINS0_14default_configENS1_35radix_sort_onesweep_config_selectorIlNS0_10empty_typeEEEZZNS1_29radix_sort_onesweep_iterationIS3_Lb1EPKlPlPS5_SB_mNS0_19identity_decomposerENS1_16block_id_wrapperIjLb1EEEEE10hipError_tT1_PNSt15iterator_traitsISG_E10value_typeET2_T3_PNSH_ISM_E10value_typeET4_T5_PSR_SS_PNS1_23onesweep_lookback_stateEbbT6_jjT7_P12ihipStream_tbENKUlT_T0_SG_SL_E_clIS9_SA_SB_SB_EEDaSZ_S10_SG_SL_EUlSZ_E_NS1_11comp_targetILNS1_3genE3ELNS1_11target_archE908ELNS1_3gpuE7ELNS1_3repE0EEENS1_47radix_sort_onesweep_sort_config_static_selectorELNS0_4arch9wavefront6targetE0EEEvSG_,@function
_ZN7rocprim17ROCPRIM_400000_NS6detail17trampoline_kernelINS0_14default_configENS1_35radix_sort_onesweep_config_selectorIlNS0_10empty_typeEEEZZNS1_29radix_sort_onesweep_iterationIS3_Lb1EPKlPlPS5_SB_mNS0_19identity_decomposerENS1_16block_id_wrapperIjLb1EEEEE10hipError_tT1_PNSt15iterator_traitsISG_E10value_typeET2_T3_PNSH_ISM_E10value_typeET4_T5_PSR_SS_PNS1_23onesweep_lookback_stateEbbT6_jjT7_P12ihipStream_tbENKUlT_T0_SG_SL_E_clIS9_SA_SB_SB_EEDaSZ_S10_SG_SL_EUlSZ_E_NS1_11comp_targetILNS1_3genE3ELNS1_11target_archE908ELNS1_3gpuE7ELNS1_3repE0EEENS1_47radix_sort_onesweep_sort_config_static_selectorELNS0_4arch9wavefront6targetE0EEEvSG_: ; @_ZN7rocprim17ROCPRIM_400000_NS6detail17trampoline_kernelINS0_14default_configENS1_35radix_sort_onesweep_config_selectorIlNS0_10empty_typeEEEZZNS1_29radix_sort_onesweep_iterationIS3_Lb1EPKlPlPS5_SB_mNS0_19identity_decomposerENS1_16block_id_wrapperIjLb1EEEEE10hipError_tT1_PNSt15iterator_traitsISG_E10value_typeET2_T3_PNSH_ISM_E10value_typeET4_T5_PSR_SS_PNS1_23onesweep_lookback_stateEbbT6_jjT7_P12ihipStream_tbENKUlT_T0_SG_SL_E_clIS9_SA_SB_SB_EEDaSZ_S10_SG_SL_EUlSZ_E_NS1_11comp_targetILNS1_3genE3ELNS1_11target_archE908ELNS1_3gpuE7ELNS1_3repE0EEENS1_47radix_sort_onesweep_sort_config_static_selectorELNS0_4arch9wavefront6targetE0EEEvSG_
; %bb.0:
	.section	.rodata,"a",@progbits
	.p2align	6, 0x0
	.amdhsa_kernel _ZN7rocprim17ROCPRIM_400000_NS6detail17trampoline_kernelINS0_14default_configENS1_35radix_sort_onesweep_config_selectorIlNS0_10empty_typeEEEZZNS1_29radix_sort_onesweep_iterationIS3_Lb1EPKlPlPS5_SB_mNS0_19identity_decomposerENS1_16block_id_wrapperIjLb1EEEEE10hipError_tT1_PNSt15iterator_traitsISG_E10value_typeET2_T3_PNSH_ISM_E10value_typeET4_T5_PSR_SS_PNS1_23onesweep_lookback_stateEbbT6_jjT7_P12ihipStream_tbENKUlT_T0_SG_SL_E_clIS9_SA_SB_SB_EEDaSZ_S10_SG_SL_EUlSZ_E_NS1_11comp_targetILNS1_3genE3ELNS1_11target_archE908ELNS1_3gpuE7ELNS1_3repE0EEENS1_47radix_sort_onesweep_sort_config_static_selectorELNS0_4arch9wavefront6targetE0EEEvSG_
		.amdhsa_group_segment_fixed_size 0
		.amdhsa_private_segment_fixed_size 0
		.amdhsa_kernarg_size 88
		.amdhsa_user_sgpr_count 2
		.amdhsa_user_sgpr_dispatch_ptr 0
		.amdhsa_user_sgpr_queue_ptr 0
		.amdhsa_user_sgpr_kernarg_segment_ptr 1
		.amdhsa_user_sgpr_dispatch_id 0
		.amdhsa_user_sgpr_kernarg_preload_length 0
		.amdhsa_user_sgpr_kernarg_preload_offset 0
		.amdhsa_user_sgpr_private_segment_size 0
		.amdhsa_wavefront_size32 1
		.amdhsa_uses_dynamic_stack 0
		.amdhsa_enable_private_segment 0
		.amdhsa_system_sgpr_workgroup_id_x 1
		.amdhsa_system_sgpr_workgroup_id_y 0
		.amdhsa_system_sgpr_workgroup_id_z 0
		.amdhsa_system_sgpr_workgroup_info 0
		.amdhsa_system_vgpr_workitem_id 0
		.amdhsa_next_free_vgpr 1
		.amdhsa_next_free_sgpr 1
		.amdhsa_named_barrier_count 0
		.amdhsa_reserve_vcc 0
		.amdhsa_float_round_mode_32 0
		.amdhsa_float_round_mode_16_64 0
		.amdhsa_float_denorm_mode_32 3
		.amdhsa_float_denorm_mode_16_64 3
		.amdhsa_fp16_overflow 0
		.amdhsa_memory_ordered 1
		.amdhsa_forward_progress 1
		.amdhsa_inst_pref_size 0
		.amdhsa_round_robin_scheduling 0
		.amdhsa_exception_fp_ieee_invalid_op 0
		.amdhsa_exception_fp_denorm_src 0
		.amdhsa_exception_fp_ieee_div_zero 0
		.amdhsa_exception_fp_ieee_overflow 0
		.amdhsa_exception_fp_ieee_underflow 0
		.amdhsa_exception_fp_ieee_inexact 0
		.amdhsa_exception_int_div_zero 0
	.end_amdhsa_kernel
	.section	.text._ZN7rocprim17ROCPRIM_400000_NS6detail17trampoline_kernelINS0_14default_configENS1_35radix_sort_onesweep_config_selectorIlNS0_10empty_typeEEEZZNS1_29radix_sort_onesweep_iterationIS3_Lb1EPKlPlPS5_SB_mNS0_19identity_decomposerENS1_16block_id_wrapperIjLb1EEEEE10hipError_tT1_PNSt15iterator_traitsISG_E10value_typeET2_T3_PNSH_ISM_E10value_typeET4_T5_PSR_SS_PNS1_23onesweep_lookback_stateEbbT6_jjT7_P12ihipStream_tbENKUlT_T0_SG_SL_E_clIS9_SA_SB_SB_EEDaSZ_S10_SG_SL_EUlSZ_E_NS1_11comp_targetILNS1_3genE3ELNS1_11target_archE908ELNS1_3gpuE7ELNS1_3repE0EEENS1_47radix_sort_onesweep_sort_config_static_selectorELNS0_4arch9wavefront6targetE0EEEvSG_,"axG",@progbits,_ZN7rocprim17ROCPRIM_400000_NS6detail17trampoline_kernelINS0_14default_configENS1_35radix_sort_onesweep_config_selectorIlNS0_10empty_typeEEEZZNS1_29radix_sort_onesweep_iterationIS3_Lb1EPKlPlPS5_SB_mNS0_19identity_decomposerENS1_16block_id_wrapperIjLb1EEEEE10hipError_tT1_PNSt15iterator_traitsISG_E10value_typeET2_T3_PNSH_ISM_E10value_typeET4_T5_PSR_SS_PNS1_23onesweep_lookback_stateEbbT6_jjT7_P12ihipStream_tbENKUlT_T0_SG_SL_E_clIS9_SA_SB_SB_EEDaSZ_S10_SG_SL_EUlSZ_E_NS1_11comp_targetILNS1_3genE3ELNS1_11target_archE908ELNS1_3gpuE7ELNS1_3repE0EEENS1_47radix_sort_onesweep_sort_config_static_selectorELNS0_4arch9wavefront6targetE0EEEvSG_,comdat
.Lfunc_end1101:
	.size	_ZN7rocprim17ROCPRIM_400000_NS6detail17trampoline_kernelINS0_14default_configENS1_35radix_sort_onesweep_config_selectorIlNS0_10empty_typeEEEZZNS1_29radix_sort_onesweep_iterationIS3_Lb1EPKlPlPS5_SB_mNS0_19identity_decomposerENS1_16block_id_wrapperIjLb1EEEEE10hipError_tT1_PNSt15iterator_traitsISG_E10value_typeET2_T3_PNSH_ISM_E10value_typeET4_T5_PSR_SS_PNS1_23onesweep_lookback_stateEbbT6_jjT7_P12ihipStream_tbENKUlT_T0_SG_SL_E_clIS9_SA_SB_SB_EEDaSZ_S10_SG_SL_EUlSZ_E_NS1_11comp_targetILNS1_3genE3ELNS1_11target_archE908ELNS1_3gpuE7ELNS1_3repE0EEENS1_47radix_sort_onesweep_sort_config_static_selectorELNS0_4arch9wavefront6targetE0EEEvSG_, .Lfunc_end1101-_ZN7rocprim17ROCPRIM_400000_NS6detail17trampoline_kernelINS0_14default_configENS1_35radix_sort_onesweep_config_selectorIlNS0_10empty_typeEEEZZNS1_29radix_sort_onesweep_iterationIS3_Lb1EPKlPlPS5_SB_mNS0_19identity_decomposerENS1_16block_id_wrapperIjLb1EEEEE10hipError_tT1_PNSt15iterator_traitsISG_E10value_typeET2_T3_PNSH_ISM_E10value_typeET4_T5_PSR_SS_PNS1_23onesweep_lookback_stateEbbT6_jjT7_P12ihipStream_tbENKUlT_T0_SG_SL_E_clIS9_SA_SB_SB_EEDaSZ_S10_SG_SL_EUlSZ_E_NS1_11comp_targetILNS1_3genE3ELNS1_11target_archE908ELNS1_3gpuE7ELNS1_3repE0EEENS1_47radix_sort_onesweep_sort_config_static_selectorELNS0_4arch9wavefront6targetE0EEEvSG_
                                        ; -- End function
	.set _ZN7rocprim17ROCPRIM_400000_NS6detail17trampoline_kernelINS0_14default_configENS1_35radix_sort_onesweep_config_selectorIlNS0_10empty_typeEEEZZNS1_29radix_sort_onesweep_iterationIS3_Lb1EPKlPlPS5_SB_mNS0_19identity_decomposerENS1_16block_id_wrapperIjLb1EEEEE10hipError_tT1_PNSt15iterator_traitsISG_E10value_typeET2_T3_PNSH_ISM_E10value_typeET4_T5_PSR_SS_PNS1_23onesweep_lookback_stateEbbT6_jjT7_P12ihipStream_tbENKUlT_T0_SG_SL_E_clIS9_SA_SB_SB_EEDaSZ_S10_SG_SL_EUlSZ_E_NS1_11comp_targetILNS1_3genE3ELNS1_11target_archE908ELNS1_3gpuE7ELNS1_3repE0EEENS1_47radix_sort_onesweep_sort_config_static_selectorELNS0_4arch9wavefront6targetE0EEEvSG_.num_vgpr, 0
	.set _ZN7rocprim17ROCPRIM_400000_NS6detail17trampoline_kernelINS0_14default_configENS1_35radix_sort_onesweep_config_selectorIlNS0_10empty_typeEEEZZNS1_29radix_sort_onesweep_iterationIS3_Lb1EPKlPlPS5_SB_mNS0_19identity_decomposerENS1_16block_id_wrapperIjLb1EEEEE10hipError_tT1_PNSt15iterator_traitsISG_E10value_typeET2_T3_PNSH_ISM_E10value_typeET4_T5_PSR_SS_PNS1_23onesweep_lookback_stateEbbT6_jjT7_P12ihipStream_tbENKUlT_T0_SG_SL_E_clIS9_SA_SB_SB_EEDaSZ_S10_SG_SL_EUlSZ_E_NS1_11comp_targetILNS1_3genE3ELNS1_11target_archE908ELNS1_3gpuE7ELNS1_3repE0EEENS1_47radix_sort_onesweep_sort_config_static_selectorELNS0_4arch9wavefront6targetE0EEEvSG_.num_agpr, 0
	.set _ZN7rocprim17ROCPRIM_400000_NS6detail17trampoline_kernelINS0_14default_configENS1_35radix_sort_onesweep_config_selectorIlNS0_10empty_typeEEEZZNS1_29radix_sort_onesweep_iterationIS3_Lb1EPKlPlPS5_SB_mNS0_19identity_decomposerENS1_16block_id_wrapperIjLb1EEEEE10hipError_tT1_PNSt15iterator_traitsISG_E10value_typeET2_T3_PNSH_ISM_E10value_typeET4_T5_PSR_SS_PNS1_23onesweep_lookback_stateEbbT6_jjT7_P12ihipStream_tbENKUlT_T0_SG_SL_E_clIS9_SA_SB_SB_EEDaSZ_S10_SG_SL_EUlSZ_E_NS1_11comp_targetILNS1_3genE3ELNS1_11target_archE908ELNS1_3gpuE7ELNS1_3repE0EEENS1_47radix_sort_onesweep_sort_config_static_selectorELNS0_4arch9wavefront6targetE0EEEvSG_.numbered_sgpr, 0
	.set _ZN7rocprim17ROCPRIM_400000_NS6detail17trampoline_kernelINS0_14default_configENS1_35radix_sort_onesweep_config_selectorIlNS0_10empty_typeEEEZZNS1_29radix_sort_onesweep_iterationIS3_Lb1EPKlPlPS5_SB_mNS0_19identity_decomposerENS1_16block_id_wrapperIjLb1EEEEE10hipError_tT1_PNSt15iterator_traitsISG_E10value_typeET2_T3_PNSH_ISM_E10value_typeET4_T5_PSR_SS_PNS1_23onesweep_lookback_stateEbbT6_jjT7_P12ihipStream_tbENKUlT_T0_SG_SL_E_clIS9_SA_SB_SB_EEDaSZ_S10_SG_SL_EUlSZ_E_NS1_11comp_targetILNS1_3genE3ELNS1_11target_archE908ELNS1_3gpuE7ELNS1_3repE0EEENS1_47radix_sort_onesweep_sort_config_static_selectorELNS0_4arch9wavefront6targetE0EEEvSG_.num_named_barrier, 0
	.set _ZN7rocprim17ROCPRIM_400000_NS6detail17trampoline_kernelINS0_14default_configENS1_35radix_sort_onesweep_config_selectorIlNS0_10empty_typeEEEZZNS1_29radix_sort_onesweep_iterationIS3_Lb1EPKlPlPS5_SB_mNS0_19identity_decomposerENS1_16block_id_wrapperIjLb1EEEEE10hipError_tT1_PNSt15iterator_traitsISG_E10value_typeET2_T3_PNSH_ISM_E10value_typeET4_T5_PSR_SS_PNS1_23onesweep_lookback_stateEbbT6_jjT7_P12ihipStream_tbENKUlT_T0_SG_SL_E_clIS9_SA_SB_SB_EEDaSZ_S10_SG_SL_EUlSZ_E_NS1_11comp_targetILNS1_3genE3ELNS1_11target_archE908ELNS1_3gpuE7ELNS1_3repE0EEENS1_47radix_sort_onesweep_sort_config_static_selectorELNS0_4arch9wavefront6targetE0EEEvSG_.private_seg_size, 0
	.set _ZN7rocprim17ROCPRIM_400000_NS6detail17trampoline_kernelINS0_14default_configENS1_35radix_sort_onesweep_config_selectorIlNS0_10empty_typeEEEZZNS1_29radix_sort_onesweep_iterationIS3_Lb1EPKlPlPS5_SB_mNS0_19identity_decomposerENS1_16block_id_wrapperIjLb1EEEEE10hipError_tT1_PNSt15iterator_traitsISG_E10value_typeET2_T3_PNSH_ISM_E10value_typeET4_T5_PSR_SS_PNS1_23onesweep_lookback_stateEbbT6_jjT7_P12ihipStream_tbENKUlT_T0_SG_SL_E_clIS9_SA_SB_SB_EEDaSZ_S10_SG_SL_EUlSZ_E_NS1_11comp_targetILNS1_3genE3ELNS1_11target_archE908ELNS1_3gpuE7ELNS1_3repE0EEENS1_47radix_sort_onesweep_sort_config_static_selectorELNS0_4arch9wavefront6targetE0EEEvSG_.uses_vcc, 0
	.set _ZN7rocprim17ROCPRIM_400000_NS6detail17trampoline_kernelINS0_14default_configENS1_35radix_sort_onesweep_config_selectorIlNS0_10empty_typeEEEZZNS1_29radix_sort_onesweep_iterationIS3_Lb1EPKlPlPS5_SB_mNS0_19identity_decomposerENS1_16block_id_wrapperIjLb1EEEEE10hipError_tT1_PNSt15iterator_traitsISG_E10value_typeET2_T3_PNSH_ISM_E10value_typeET4_T5_PSR_SS_PNS1_23onesweep_lookback_stateEbbT6_jjT7_P12ihipStream_tbENKUlT_T0_SG_SL_E_clIS9_SA_SB_SB_EEDaSZ_S10_SG_SL_EUlSZ_E_NS1_11comp_targetILNS1_3genE3ELNS1_11target_archE908ELNS1_3gpuE7ELNS1_3repE0EEENS1_47radix_sort_onesweep_sort_config_static_selectorELNS0_4arch9wavefront6targetE0EEEvSG_.uses_flat_scratch, 0
	.set _ZN7rocprim17ROCPRIM_400000_NS6detail17trampoline_kernelINS0_14default_configENS1_35radix_sort_onesweep_config_selectorIlNS0_10empty_typeEEEZZNS1_29radix_sort_onesweep_iterationIS3_Lb1EPKlPlPS5_SB_mNS0_19identity_decomposerENS1_16block_id_wrapperIjLb1EEEEE10hipError_tT1_PNSt15iterator_traitsISG_E10value_typeET2_T3_PNSH_ISM_E10value_typeET4_T5_PSR_SS_PNS1_23onesweep_lookback_stateEbbT6_jjT7_P12ihipStream_tbENKUlT_T0_SG_SL_E_clIS9_SA_SB_SB_EEDaSZ_S10_SG_SL_EUlSZ_E_NS1_11comp_targetILNS1_3genE3ELNS1_11target_archE908ELNS1_3gpuE7ELNS1_3repE0EEENS1_47radix_sort_onesweep_sort_config_static_selectorELNS0_4arch9wavefront6targetE0EEEvSG_.has_dyn_sized_stack, 0
	.set _ZN7rocprim17ROCPRIM_400000_NS6detail17trampoline_kernelINS0_14default_configENS1_35radix_sort_onesweep_config_selectorIlNS0_10empty_typeEEEZZNS1_29radix_sort_onesweep_iterationIS3_Lb1EPKlPlPS5_SB_mNS0_19identity_decomposerENS1_16block_id_wrapperIjLb1EEEEE10hipError_tT1_PNSt15iterator_traitsISG_E10value_typeET2_T3_PNSH_ISM_E10value_typeET4_T5_PSR_SS_PNS1_23onesweep_lookback_stateEbbT6_jjT7_P12ihipStream_tbENKUlT_T0_SG_SL_E_clIS9_SA_SB_SB_EEDaSZ_S10_SG_SL_EUlSZ_E_NS1_11comp_targetILNS1_3genE3ELNS1_11target_archE908ELNS1_3gpuE7ELNS1_3repE0EEENS1_47radix_sort_onesweep_sort_config_static_selectorELNS0_4arch9wavefront6targetE0EEEvSG_.has_recursion, 0
	.set _ZN7rocprim17ROCPRIM_400000_NS6detail17trampoline_kernelINS0_14default_configENS1_35radix_sort_onesweep_config_selectorIlNS0_10empty_typeEEEZZNS1_29radix_sort_onesweep_iterationIS3_Lb1EPKlPlPS5_SB_mNS0_19identity_decomposerENS1_16block_id_wrapperIjLb1EEEEE10hipError_tT1_PNSt15iterator_traitsISG_E10value_typeET2_T3_PNSH_ISM_E10value_typeET4_T5_PSR_SS_PNS1_23onesweep_lookback_stateEbbT6_jjT7_P12ihipStream_tbENKUlT_T0_SG_SL_E_clIS9_SA_SB_SB_EEDaSZ_S10_SG_SL_EUlSZ_E_NS1_11comp_targetILNS1_3genE3ELNS1_11target_archE908ELNS1_3gpuE7ELNS1_3repE0EEENS1_47radix_sort_onesweep_sort_config_static_selectorELNS0_4arch9wavefront6targetE0EEEvSG_.has_indirect_call, 0
	.section	.AMDGPU.csdata,"",@progbits
; Kernel info:
; codeLenInByte = 0
; TotalNumSgprs: 0
; NumVgprs: 0
; ScratchSize: 0
; MemoryBound: 0
; FloatMode: 240
; IeeeMode: 1
; LDSByteSize: 0 bytes/workgroup (compile time only)
; SGPRBlocks: 0
; VGPRBlocks: 0
; NumSGPRsForWavesPerEU: 1
; NumVGPRsForWavesPerEU: 1
; NamedBarCnt: 0
; Occupancy: 16
; WaveLimiterHint : 0
; COMPUTE_PGM_RSRC2:SCRATCH_EN: 0
; COMPUTE_PGM_RSRC2:USER_SGPR: 2
; COMPUTE_PGM_RSRC2:TRAP_HANDLER: 0
; COMPUTE_PGM_RSRC2:TGID_X_EN: 1
; COMPUTE_PGM_RSRC2:TGID_Y_EN: 0
; COMPUTE_PGM_RSRC2:TGID_Z_EN: 0
; COMPUTE_PGM_RSRC2:TIDIG_COMP_CNT: 0
	.section	.text._ZN7rocprim17ROCPRIM_400000_NS6detail17trampoline_kernelINS0_14default_configENS1_35radix_sort_onesweep_config_selectorIlNS0_10empty_typeEEEZZNS1_29radix_sort_onesweep_iterationIS3_Lb1EPKlPlPS5_SB_mNS0_19identity_decomposerENS1_16block_id_wrapperIjLb1EEEEE10hipError_tT1_PNSt15iterator_traitsISG_E10value_typeET2_T3_PNSH_ISM_E10value_typeET4_T5_PSR_SS_PNS1_23onesweep_lookback_stateEbbT6_jjT7_P12ihipStream_tbENKUlT_T0_SG_SL_E_clIS9_SA_SB_SB_EEDaSZ_S10_SG_SL_EUlSZ_E_NS1_11comp_targetILNS1_3genE10ELNS1_11target_archE1201ELNS1_3gpuE5ELNS1_3repE0EEENS1_47radix_sort_onesweep_sort_config_static_selectorELNS0_4arch9wavefront6targetE0EEEvSG_,"axG",@progbits,_ZN7rocprim17ROCPRIM_400000_NS6detail17trampoline_kernelINS0_14default_configENS1_35radix_sort_onesweep_config_selectorIlNS0_10empty_typeEEEZZNS1_29radix_sort_onesweep_iterationIS3_Lb1EPKlPlPS5_SB_mNS0_19identity_decomposerENS1_16block_id_wrapperIjLb1EEEEE10hipError_tT1_PNSt15iterator_traitsISG_E10value_typeET2_T3_PNSH_ISM_E10value_typeET4_T5_PSR_SS_PNS1_23onesweep_lookback_stateEbbT6_jjT7_P12ihipStream_tbENKUlT_T0_SG_SL_E_clIS9_SA_SB_SB_EEDaSZ_S10_SG_SL_EUlSZ_E_NS1_11comp_targetILNS1_3genE10ELNS1_11target_archE1201ELNS1_3gpuE5ELNS1_3repE0EEENS1_47radix_sort_onesweep_sort_config_static_selectorELNS0_4arch9wavefront6targetE0EEEvSG_,comdat
	.protected	_ZN7rocprim17ROCPRIM_400000_NS6detail17trampoline_kernelINS0_14default_configENS1_35radix_sort_onesweep_config_selectorIlNS0_10empty_typeEEEZZNS1_29radix_sort_onesweep_iterationIS3_Lb1EPKlPlPS5_SB_mNS0_19identity_decomposerENS1_16block_id_wrapperIjLb1EEEEE10hipError_tT1_PNSt15iterator_traitsISG_E10value_typeET2_T3_PNSH_ISM_E10value_typeET4_T5_PSR_SS_PNS1_23onesweep_lookback_stateEbbT6_jjT7_P12ihipStream_tbENKUlT_T0_SG_SL_E_clIS9_SA_SB_SB_EEDaSZ_S10_SG_SL_EUlSZ_E_NS1_11comp_targetILNS1_3genE10ELNS1_11target_archE1201ELNS1_3gpuE5ELNS1_3repE0EEENS1_47radix_sort_onesweep_sort_config_static_selectorELNS0_4arch9wavefront6targetE0EEEvSG_ ; -- Begin function _ZN7rocprim17ROCPRIM_400000_NS6detail17trampoline_kernelINS0_14default_configENS1_35radix_sort_onesweep_config_selectorIlNS0_10empty_typeEEEZZNS1_29radix_sort_onesweep_iterationIS3_Lb1EPKlPlPS5_SB_mNS0_19identity_decomposerENS1_16block_id_wrapperIjLb1EEEEE10hipError_tT1_PNSt15iterator_traitsISG_E10value_typeET2_T3_PNSH_ISM_E10value_typeET4_T5_PSR_SS_PNS1_23onesweep_lookback_stateEbbT6_jjT7_P12ihipStream_tbENKUlT_T0_SG_SL_E_clIS9_SA_SB_SB_EEDaSZ_S10_SG_SL_EUlSZ_E_NS1_11comp_targetILNS1_3genE10ELNS1_11target_archE1201ELNS1_3gpuE5ELNS1_3repE0EEENS1_47radix_sort_onesweep_sort_config_static_selectorELNS0_4arch9wavefront6targetE0EEEvSG_
	.globl	_ZN7rocprim17ROCPRIM_400000_NS6detail17trampoline_kernelINS0_14default_configENS1_35radix_sort_onesweep_config_selectorIlNS0_10empty_typeEEEZZNS1_29radix_sort_onesweep_iterationIS3_Lb1EPKlPlPS5_SB_mNS0_19identity_decomposerENS1_16block_id_wrapperIjLb1EEEEE10hipError_tT1_PNSt15iterator_traitsISG_E10value_typeET2_T3_PNSH_ISM_E10value_typeET4_T5_PSR_SS_PNS1_23onesweep_lookback_stateEbbT6_jjT7_P12ihipStream_tbENKUlT_T0_SG_SL_E_clIS9_SA_SB_SB_EEDaSZ_S10_SG_SL_EUlSZ_E_NS1_11comp_targetILNS1_3genE10ELNS1_11target_archE1201ELNS1_3gpuE5ELNS1_3repE0EEENS1_47radix_sort_onesweep_sort_config_static_selectorELNS0_4arch9wavefront6targetE0EEEvSG_
	.p2align	8
	.type	_ZN7rocprim17ROCPRIM_400000_NS6detail17trampoline_kernelINS0_14default_configENS1_35radix_sort_onesweep_config_selectorIlNS0_10empty_typeEEEZZNS1_29radix_sort_onesweep_iterationIS3_Lb1EPKlPlPS5_SB_mNS0_19identity_decomposerENS1_16block_id_wrapperIjLb1EEEEE10hipError_tT1_PNSt15iterator_traitsISG_E10value_typeET2_T3_PNSH_ISM_E10value_typeET4_T5_PSR_SS_PNS1_23onesweep_lookback_stateEbbT6_jjT7_P12ihipStream_tbENKUlT_T0_SG_SL_E_clIS9_SA_SB_SB_EEDaSZ_S10_SG_SL_EUlSZ_E_NS1_11comp_targetILNS1_3genE10ELNS1_11target_archE1201ELNS1_3gpuE5ELNS1_3repE0EEENS1_47radix_sort_onesweep_sort_config_static_selectorELNS0_4arch9wavefront6targetE0EEEvSG_,@function
_ZN7rocprim17ROCPRIM_400000_NS6detail17trampoline_kernelINS0_14default_configENS1_35radix_sort_onesweep_config_selectorIlNS0_10empty_typeEEEZZNS1_29radix_sort_onesweep_iterationIS3_Lb1EPKlPlPS5_SB_mNS0_19identity_decomposerENS1_16block_id_wrapperIjLb1EEEEE10hipError_tT1_PNSt15iterator_traitsISG_E10value_typeET2_T3_PNSH_ISM_E10value_typeET4_T5_PSR_SS_PNS1_23onesweep_lookback_stateEbbT6_jjT7_P12ihipStream_tbENKUlT_T0_SG_SL_E_clIS9_SA_SB_SB_EEDaSZ_S10_SG_SL_EUlSZ_E_NS1_11comp_targetILNS1_3genE10ELNS1_11target_archE1201ELNS1_3gpuE5ELNS1_3repE0EEENS1_47radix_sort_onesweep_sort_config_static_selectorELNS0_4arch9wavefront6targetE0EEEvSG_: ; @_ZN7rocprim17ROCPRIM_400000_NS6detail17trampoline_kernelINS0_14default_configENS1_35radix_sort_onesweep_config_selectorIlNS0_10empty_typeEEEZZNS1_29radix_sort_onesweep_iterationIS3_Lb1EPKlPlPS5_SB_mNS0_19identity_decomposerENS1_16block_id_wrapperIjLb1EEEEE10hipError_tT1_PNSt15iterator_traitsISG_E10value_typeET2_T3_PNSH_ISM_E10value_typeET4_T5_PSR_SS_PNS1_23onesweep_lookback_stateEbbT6_jjT7_P12ihipStream_tbENKUlT_T0_SG_SL_E_clIS9_SA_SB_SB_EEDaSZ_S10_SG_SL_EUlSZ_E_NS1_11comp_targetILNS1_3genE10ELNS1_11target_archE1201ELNS1_3gpuE5ELNS1_3repE0EEENS1_47radix_sort_onesweep_sort_config_static_selectorELNS0_4arch9wavefront6targetE0EEEvSG_
; %bb.0:
	.section	.rodata,"a",@progbits
	.p2align	6, 0x0
	.amdhsa_kernel _ZN7rocprim17ROCPRIM_400000_NS6detail17trampoline_kernelINS0_14default_configENS1_35radix_sort_onesweep_config_selectorIlNS0_10empty_typeEEEZZNS1_29radix_sort_onesweep_iterationIS3_Lb1EPKlPlPS5_SB_mNS0_19identity_decomposerENS1_16block_id_wrapperIjLb1EEEEE10hipError_tT1_PNSt15iterator_traitsISG_E10value_typeET2_T3_PNSH_ISM_E10value_typeET4_T5_PSR_SS_PNS1_23onesweep_lookback_stateEbbT6_jjT7_P12ihipStream_tbENKUlT_T0_SG_SL_E_clIS9_SA_SB_SB_EEDaSZ_S10_SG_SL_EUlSZ_E_NS1_11comp_targetILNS1_3genE10ELNS1_11target_archE1201ELNS1_3gpuE5ELNS1_3repE0EEENS1_47radix_sort_onesweep_sort_config_static_selectorELNS0_4arch9wavefront6targetE0EEEvSG_
		.amdhsa_group_segment_fixed_size 0
		.amdhsa_private_segment_fixed_size 0
		.amdhsa_kernarg_size 88
		.amdhsa_user_sgpr_count 2
		.amdhsa_user_sgpr_dispatch_ptr 0
		.amdhsa_user_sgpr_queue_ptr 0
		.amdhsa_user_sgpr_kernarg_segment_ptr 1
		.amdhsa_user_sgpr_dispatch_id 0
		.amdhsa_user_sgpr_kernarg_preload_length 0
		.amdhsa_user_sgpr_kernarg_preload_offset 0
		.amdhsa_user_sgpr_private_segment_size 0
		.amdhsa_wavefront_size32 1
		.amdhsa_uses_dynamic_stack 0
		.amdhsa_enable_private_segment 0
		.amdhsa_system_sgpr_workgroup_id_x 1
		.amdhsa_system_sgpr_workgroup_id_y 0
		.amdhsa_system_sgpr_workgroup_id_z 0
		.amdhsa_system_sgpr_workgroup_info 0
		.amdhsa_system_vgpr_workitem_id 0
		.amdhsa_next_free_vgpr 1
		.amdhsa_next_free_sgpr 1
		.amdhsa_named_barrier_count 0
		.amdhsa_reserve_vcc 0
		.amdhsa_float_round_mode_32 0
		.amdhsa_float_round_mode_16_64 0
		.amdhsa_float_denorm_mode_32 3
		.amdhsa_float_denorm_mode_16_64 3
		.amdhsa_fp16_overflow 0
		.amdhsa_memory_ordered 1
		.amdhsa_forward_progress 1
		.amdhsa_inst_pref_size 0
		.amdhsa_round_robin_scheduling 0
		.amdhsa_exception_fp_ieee_invalid_op 0
		.amdhsa_exception_fp_denorm_src 0
		.amdhsa_exception_fp_ieee_div_zero 0
		.amdhsa_exception_fp_ieee_overflow 0
		.amdhsa_exception_fp_ieee_underflow 0
		.amdhsa_exception_fp_ieee_inexact 0
		.amdhsa_exception_int_div_zero 0
	.end_amdhsa_kernel
	.section	.text._ZN7rocprim17ROCPRIM_400000_NS6detail17trampoline_kernelINS0_14default_configENS1_35radix_sort_onesweep_config_selectorIlNS0_10empty_typeEEEZZNS1_29radix_sort_onesweep_iterationIS3_Lb1EPKlPlPS5_SB_mNS0_19identity_decomposerENS1_16block_id_wrapperIjLb1EEEEE10hipError_tT1_PNSt15iterator_traitsISG_E10value_typeET2_T3_PNSH_ISM_E10value_typeET4_T5_PSR_SS_PNS1_23onesweep_lookback_stateEbbT6_jjT7_P12ihipStream_tbENKUlT_T0_SG_SL_E_clIS9_SA_SB_SB_EEDaSZ_S10_SG_SL_EUlSZ_E_NS1_11comp_targetILNS1_3genE10ELNS1_11target_archE1201ELNS1_3gpuE5ELNS1_3repE0EEENS1_47radix_sort_onesweep_sort_config_static_selectorELNS0_4arch9wavefront6targetE0EEEvSG_,"axG",@progbits,_ZN7rocprim17ROCPRIM_400000_NS6detail17trampoline_kernelINS0_14default_configENS1_35radix_sort_onesweep_config_selectorIlNS0_10empty_typeEEEZZNS1_29radix_sort_onesweep_iterationIS3_Lb1EPKlPlPS5_SB_mNS0_19identity_decomposerENS1_16block_id_wrapperIjLb1EEEEE10hipError_tT1_PNSt15iterator_traitsISG_E10value_typeET2_T3_PNSH_ISM_E10value_typeET4_T5_PSR_SS_PNS1_23onesweep_lookback_stateEbbT6_jjT7_P12ihipStream_tbENKUlT_T0_SG_SL_E_clIS9_SA_SB_SB_EEDaSZ_S10_SG_SL_EUlSZ_E_NS1_11comp_targetILNS1_3genE10ELNS1_11target_archE1201ELNS1_3gpuE5ELNS1_3repE0EEENS1_47radix_sort_onesweep_sort_config_static_selectorELNS0_4arch9wavefront6targetE0EEEvSG_,comdat
.Lfunc_end1102:
	.size	_ZN7rocprim17ROCPRIM_400000_NS6detail17trampoline_kernelINS0_14default_configENS1_35radix_sort_onesweep_config_selectorIlNS0_10empty_typeEEEZZNS1_29radix_sort_onesweep_iterationIS3_Lb1EPKlPlPS5_SB_mNS0_19identity_decomposerENS1_16block_id_wrapperIjLb1EEEEE10hipError_tT1_PNSt15iterator_traitsISG_E10value_typeET2_T3_PNSH_ISM_E10value_typeET4_T5_PSR_SS_PNS1_23onesweep_lookback_stateEbbT6_jjT7_P12ihipStream_tbENKUlT_T0_SG_SL_E_clIS9_SA_SB_SB_EEDaSZ_S10_SG_SL_EUlSZ_E_NS1_11comp_targetILNS1_3genE10ELNS1_11target_archE1201ELNS1_3gpuE5ELNS1_3repE0EEENS1_47radix_sort_onesweep_sort_config_static_selectorELNS0_4arch9wavefront6targetE0EEEvSG_, .Lfunc_end1102-_ZN7rocprim17ROCPRIM_400000_NS6detail17trampoline_kernelINS0_14default_configENS1_35radix_sort_onesweep_config_selectorIlNS0_10empty_typeEEEZZNS1_29radix_sort_onesweep_iterationIS3_Lb1EPKlPlPS5_SB_mNS0_19identity_decomposerENS1_16block_id_wrapperIjLb1EEEEE10hipError_tT1_PNSt15iterator_traitsISG_E10value_typeET2_T3_PNSH_ISM_E10value_typeET4_T5_PSR_SS_PNS1_23onesweep_lookback_stateEbbT6_jjT7_P12ihipStream_tbENKUlT_T0_SG_SL_E_clIS9_SA_SB_SB_EEDaSZ_S10_SG_SL_EUlSZ_E_NS1_11comp_targetILNS1_3genE10ELNS1_11target_archE1201ELNS1_3gpuE5ELNS1_3repE0EEENS1_47radix_sort_onesweep_sort_config_static_selectorELNS0_4arch9wavefront6targetE0EEEvSG_
                                        ; -- End function
	.set _ZN7rocprim17ROCPRIM_400000_NS6detail17trampoline_kernelINS0_14default_configENS1_35radix_sort_onesweep_config_selectorIlNS0_10empty_typeEEEZZNS1_29radix_sort_onesweep_iterationIS3_Lb1EPKlPlPS5_SB_mNS0_19identity_decomposerENS1_16block_id_wrapperIjLb1EEEEE10hipError_tT1_PNSt15iterator_traitsISG_E10value_typeET2_T3_PNSH_ISM_E10value_typeET4_T5_PSR_SS_PNS1_23onesweep_lookback_stateEbbT6_jjT7_P12ihipStream_tbENKUlT_T0_SG_SL_E_clIS9_SA_SB_SB_EEDaSZ_S10_SG_SL_EUlSZ_E_NS1_11comp_targetILNS1_3genE10ELNS1_11target_archE1201ELNS1_3gpuE5ELNS1_3repE0EEENS1_47radix_sort_onesweep_sort_config_static_selectorELNS0_4arch9wavefront6targetE0EEEvSG_.num_vgpr, 0
	.set _ZN7rocprim17ROCPRIM_400000_NS6detail17trampoline_kernelINS0_14default_configENS1_35radix_sort_onesweep_config_selectorIlNS0_10empty_typeEEEZZNS1_29radix_sort_onesweep_iterationIS3_Lb1EPKlPlPS5_SB_mNS0_19identity_decomposerENS1_16block_id_wrapperIjLb1EEEEE10hipError_tT1_PNSt15iterator_traitsISG_E10value_typeET2_T3_PNSH_ISM_E10value_typeET4_T5_PSR_SS_PNS1_23onesweep_lookback_stateEbbT6_jjT7_P12ihipStream_tbENKUlT_T0_SG_SL_E_clIS9_SA_SB_SB_EEDaSZ_S10_SG_SL_EUlSZ_E_NS1_11comp_targetILNS1_3genE10ELNS1_11target_archE1201ELNS1_3gpuE5ELNS1_3repE0EEENS1_47radix_sort_onesweep_sort_config_static_selectorELNS0_4arch9wavefront6targetE0EEEvSG_.num_agpr, 0
	.set _ZN7rocprim17ROCPRIM_400000_NS6detail17trampoline_kernelINS0_14default_configENS1_35radix_sort_onesweep_config_selectorIlNS0_10empty_typeEEEZZNS1_29radix_sort_onesweep_iterationIS3_Lb1EPKlPlPS5_SB_mNS0_19identity_decomposerENS1_16block_id_wrapperIjLb1EEEEE10hipError_tT1_PNSt15iterator_traitsISG_E10value_typeET2_T3_PNSH_ISM_E10value_typeET4_T5_PSR_SS_PNS1_23onesweep_lookback_stateEbbT6_jjT7_P12ihipStream_tbENKUlT_T0_SG_SL_E_clIS9_SA_SB_SB_EEDaSZ_S10_SG_SL_EUlSZ_E_NS1_11comp_targetILNS1_3genE10ELNS1_11target_archE1201ELNS1_3gpuE5ELNS1_3repE0EEENS1_47radix_sort_onesweep_sort_config_static_selectorELNS0_4arch9wavefront6targetE0EEEvSG_.numbered_sgpr, 0
	.set _ZN7rocprim17ROCPRIM_400000_NS6detail17trampoline_kernelINS0_14default_configENS1_35radix_sort_onesweep_config_selectorIlNS0_10empty_typeEEEZZNS1_29radix_sort_onesweep_iterationIS3_Lb1EPKlPlPS5_SB_mNS0_19identity_decomposerENS1_16block_id_wrapperIjLb1EEEEE10hipError_tT1_PNSt15iterator_traitsISG_E10value_typeET2_T3_PNSH_ISM_E10value_typeET4_T5_PSR_SS_PNS1_23onesweep_lookback_stateEbbT6_jjT7_P12ihipStream_tbENKUlT_T0_SG_SL_E_clIS9_SA_SB_SB_EEDaSZ_S10_SG_SL_EUlSZ_E_NS1_11comp_targetILNS1_3genE10ELNS1_11target_archE1201ELNS1_3gpuE5ELNS1_3repE0EEENS1_47radix_sort_onesweep_sort_config_static_selectorELNS0_4arch9wavefront6targetE0EEEvSG_.num_named_barrier, 0
	.set _ZN7rocprim17ROCPRIM_400000_NS6detail17trampoline_kernelINS0_14default_configENS1_35radix_sort_onesweep_config_selectorIlNS0_10empty_typeEEEZZNS1_29radix_sort_onesweep_iterationIS3_Lb1EPKlPlPS5_SB_mNS0_19identity_decomposerENS1_16block_id_wrapperIjLb1EEEEE10hipError_tT1_PNSt15iterator_traitsISG_E10value_typeET2_T3_PNSH_ISM_E10value_typeET4_T5_PSR_SS_PNS1_23onesweep_lookback_stateEbbT6_jjT7_P12ihipStream_tbENKUlT_T0_SG_SL_E_clIS9_SA_SB_SB_EEDaSZ_S10_SG_SL_EUlSZ_E_NS1_11comp_targetILNS1_3genE10ELNS1_11target_archE1201ELNS1_3gpuE5ELNS1_3repE0EEENS1_47radix_sort_onesweep_sort_config_static_selectorELNS0_4arch9wavefront6targetE0EEEvSG_.private_seg_size, 0
	.set _ZN7rocprim17ROCPRIM_400000_NS6detail17trampoline_kernelINS0_14default_configENS1_35radix_sort_onesweep_config_selectorIlNS0_10empty_typeEEEZZNS1_29radix_sort_onesweep_iterationIS3_Lb1EPKlPlPS5_SB_mNS0_19identity_decomposerENS1_16block_id_wrapperIjLb1EEEEE10hipError_tT1_PNSt15iterator_traitsISG_E10value_typeET2_T3_PNSH_ISM_E10value_typeET4_T5_PSR_SS_PNS1_23onesweep_lookback_stateEbbT6_jjT7_P12ihipStream_tbENKUlT_T0_SG_SL_E_clIS9_SA_SB_SB_EEDaSZ_S10_SG_SL_EUlSZ_E_NS1_11comp_targetILNS1_3genE10ELNS1_11target_archE1201ELNS1_3gpuE5ELNS1_3repE0EEENS1_47radix_sort_onesweep_sort_config_static_selectorELNS0_4arch9wavefront6targetE0EEEvSG_.uses_vcc, 0
	.set _ZN7rocprim17ROCPRIM_400000_NS6detail17trampoline_kernelINS0_14default_configENS1_35radix_sort_onesweep_config_selectorIlNS0_10empty_typeEEEZZNS1_29radix_sort_onesweep_iterationIS3_Lb1EPKlPlPS5_SB_mNS0_19identity_decomposerENS1_16block_id_wrapperIjLb1EEEEE10hipError_tT1_PNSt15iterator_traitsISG_E10value_typeET2_T3_PNSH_ISM_E10value_typeET4_T5_PSR_SS_PNS1_23onesweep_lookback_stateEbbT6_jjT7_P12ihipStream_tbENKUlT_T0_SG_SL_E_clIS9_SA_SB_SB_EEDaSZ_S10_SG_SL_EUlSZ_E_NS1_11comp_targetILNS1_3genE10ELNS1_11target_archE1201ELNS1_3gpuE5ELNS1_3repE0EEENS1_47radix_sort_onesweep_sort_config_static_selectorELNS0_4arch9wavefront6targetE0EEEvSG_.uses_flat_scratch, 0
	.set _ZN7rocprim17ROCPRIM_400000_NS6detail17trampoline_kernelINS0_14default_configENS1_35radix_sort_onesweep_config_selectorIlNS0_10empty_typeEEEZZNS1_29radix_sort_onesweep_iterationIS3_Lb1EPKlPlPS5_SB_mNS0_19identity_decomposerENS1_16block_id_wrapperIjLb1EEEEE10hipError_tT1_PNSt15iterator_traitsISG_E10value_typeET2_T3_PNSH_ISM_E10value_typeET4_T5_PSR_SS_PNS1_23onesweep_lookback_stateEbbT6_jjT7_P12ihipStream_tbENKUlT_T0_SG_SL_E_clIS9_SA_SB_SB_EEDaSZ_S10_SG_SL_EUlSZ_E_NS1_11comp_targetILNS1_3genE10ELNS1_11target_archE1201ELNS1_3gpuE5ELNS1_3repE0EEENS1_47radix_sort_onesweep_sort_config_static_selectorELNS0_4arch9wavefront6targetE0EEEvSG_.has_dyn_sized_stack, 0
	.set _ZN7rocprim17ROCPRIM_400000_NS6detail17trampoline_kernelINS0_14default_configENS1_35radix_sort_onesweep_config_selectorIlNS0_10empty_typeEEEZZNS1_29radix_sort_onesweep_iterationIS3_Lb1EPKlPlPS5_SB_mNS0_19identity_decomposerENS1_16block_id_wrapperIjLb1EEEEE10hipError_tT1_PNSt15iterator_traitsISG_E10value_typeET2_T3_PNSH_ISM_E10value_typeET4_T5_PSR_SS_PNS1_23onesweep_lookback_stateEbbT6_jjT7_P12ihipStream_tbENKUlT_T0_SG_SL_E_clIS9_SA_SB_SB_EEDaSZ_S10_SG_SL_EUlSZ_E_NS1_11comp_targetILNS1_3genE10ELNS1_11target_archE1201ELNS1_3gpuE5ELNS1_3repE0EEENS1_47radix_sort_onesweep_sort_config_static_selectorELNS0_4arch9wavefront6targetE0EEEvSG_.has_recursion, 0
	.set _ZN7rocprim17ROCPRIM_400000_NS6detail17trampoline_kernelINS0_14default_configENS1_35radix_sort_onesweep_config_selectorIlNS0_10empty_typeEEEZZNS1_29radix_sort_onesweep_iterationIS3_Lb1EPKlPlPS5_SB_mNS0_19identity_decomposerENS1_16block_id_wrapperIjLb1EEEEE10hipError_tT1_PNSt15iterator_traitsISG_E10value_typeET2_T3_PNSH_ISM_E10value_typeET4_T5_PSR_SS_PNS1_23onesweep_lookback_stateEbbT6_jjT7_P12ihipStream_tbENKUlT_T0_SG_SL_E_clIS9_SA_SB_SB_EEDaSZ_S10_SG_SL_EUlSZ_E_NS1_11comp_targetILNS1_3genE10ELNS1_11target_archE1201ELNS1_3gpuE5ELNS1_3repE0EEENS1_47radix_sort_onesweep_sort_config_static_selectorELNS0_4arch9wavefront6targetE0EEEvSG_.has_indirect_call, 0
	.section	.AMDGPU.csdata,"",@progbits
; Kernel info:
; codeLenInByte = 0
; TotalNumSgprs: 0
; NumVgprs: 0
; ScratchSize: 0
; MemoryBound: 0
; FloatMode: 240
; IeeeMode: 1
; LDSByteSize: 0 bytes/workgroup (compile time only)
; SGPRBlocks: 0
; VGPRBlocks: 0
; NumSGPRsForWavesPerEU: 1
; NumVGPRsForWavesPerEU: 1
; NamedBarCnt: 0
; Occupancy: 16
; WaveLimiterHint : 0
; COMPUTE_PGM_RSRC2:SCRATCH_EN: 0
; COMPUTE_PGM_RSRC2:USER_SGPR: 2
; COMPUTE_PGM_RSRC2:TRAP_HANDLER: 0
; COMPUTE_PGM_RSRC2:TGID_X_EN: 1
; COMPUTE_PGM_RSRC2:TGID_Y_EN: 0
; COMPUTE_PGM_RSRC2:TGID_Z_EN: 0
; COMPUTE_PGM_RSRC2:TIDIG_COMP_CNT: 0
	.section	.text._ZN7rocprim17ROCPRIM_400000_NS6detail17trampoline_kernelINS0_14default_configENS1_35radix_sort_onesweep_config_selectorIlNS0_10empty_typeEEEZZNS1_29radix_sort_onesweep_iterationIS3_Lb1EPKlPlPS5_SB_mNS0_19identity_decomposerENS1_16block_id_wrapperIjLb1EEEEE10hipError_tT1_PNSt15iterator_traitsISG_E10value_typeET2_T3_PNSH_ISM_E10value_typeET4_T5_PSR_SS_PNS1_23onesweep_lookback_stateEbbT6_jjT7_P12ihipStream_tbENKUlT_T0_SG_SL_E_clIS9_SA_SB_SB_EEDaSZ_S10_SG_SL_EUlSZ_E_NS1_11comp_targetILNS1_3genE9ELNS1_11target_archE1100ELNS1_3gpuE3ELNS1_3repE0EEENS1_47radix_sort_onesweep_sort_config_static_selectorELNS0_4arch9wavefront6targetE0EEEvSG_,"axG",@progbits,_ZN7rocprim17ROCPRIM_400000_NS6detail17trampoline_kernelINS0_14default_configENS1_35radix_sort_onesweep_config_selectorIlNS0_10empty_typeEEEZZNS1_29radix_sort_onesweep_iterationIS3_Lb1EPKlPlPS5_SB_mNS0_19identity_decomposerENS1_16block_id_wrapperIjLb1EEEEE10hipError_tT1_PNSt15iterator_traitsISG_E10value_typeET2_T3_PNSH_ISM_E10value_typeET4_T5_PSR_SS_PNS1_23onesweep_lookback_stateEbbT6_jjT7_P12ihipStream_tbENKUlT_T0_SG_SL_E_clIS9_SA_SB_SB_EEDaSZ_S10_SG_SL_EUlSZ_E_NS1_11comp_targetILNS1_3genE9ELNS1_11target_archE1100ELNS1_3gpuE3ELNS1_3repE0EEENS1_47radix_sort_onesweep_sort_config_static_selectorELNS0_4arch9wavefront6targetE0EEEvSG_,comdat
	.protected	_ZN7rocprim17ROCPRIM_400000_NS6detail17trampoline_kernelINS0_14default_configENS1_35radix_sort_onesweep_config_selectorIlNS0_10empty_typeEEEZZNS1_29radix_sort_onesweep_iterationIS3_Lb1EPKlPlPS5_SB_mNS0_19identity_decomposerENS1_16block_id_wrapperIjLb1EEEEE10hipError_tT1_PNSt15iterator_traitsISG_E10value_typeET2_T3_PNSH_ISM_E10value_typeET4_T5_PSR_SS_PNS1_23onesweep_lookback_stateEbbT6_jjT7_P12ihipStream_tbENKUlT_T0_SG_SL_E_clIS9_SA_SB_SB_EEDaSZ_S10_SG_SL_EUlSZ_E_NS1_11comp_targetILNS1_3genE9ELNS1_11target_archE1100ELNS1_3gpuE3ELNS1_3repE0EEENS1_47radix_sort_onesweep_sort_config_static_selectorELNS0_4arch9wavefront6targetE0EEEvSG_ ; -- Begin function _ZN7rocprim17ROCPRIM_400000_NS6detail17trampoline_kernelINS0_14default_configENS1_35radix_sort_onesweep_config_selectorIlNS0_10empty_typeEEEZZNS1_29radix_sort_onesweep_iterationIS3_Lb1EPKlPlPS5_SB_mNS0_19identity_decomposerENS1_16block_id_wrapperIjLb1EEEEE10hipError_tT1_PNSt15iterator_traitsISG_E10value_typeET2_T3_PNSH_ISM_E10value_typeET4_T5_PSR_SS_PNS1_23onesweep_lookback_stateEbbT6_jjT7_P12ihipStream_tbENKUlT_T0_SG_SL_E_clIS9_SA_SB_SB_EEDaSZ_S10_SG_SL_EUlSZ_E_NS1_11comp_targetILNS1_3genE9ELNS1_11target_archE1100ELNS1_3gpuE3ELNS1_3repE0EEENS1_47radix_sort_onesweep_sort_config_static_selectorELNS0_4arch9wavefront6targetE0EEEvSG_
	.globl	_ZN7rocprim17ROCPRIM_400000_NS6detail17trampoline_kernelINS0_14default_configENS1_35radix_sort_onesweep_config_selectorIlNS0_10empty_typeEEEZZNS1_29radix_sort_onesweep_iterationIS3_Lb1EPKlPlPS5_SB_mNS0_19identity_decomposerENS1_16block_id_wrapperIjLb1EEEEE10hipError_tT1_PNSt15iterator_traitsISG_E10value_typeET2_T3_PNSH_ISM_E10value_typeET4_T5_PSR_SS_PNS1_23onesweep_lookback_stateEbbT6_jjT7_P12ihipStream_tbENKUlT_T0_SG_SL_E_clIS9_SA_SB_SB_EEDaSZ_S10_SG_SL_EUlSZ_E_NS1_11comp_targetILNS1_3genE9ELNS1_11target_archE1100ELNS1_3gpuE3ELNS1_3repE0EEENS1_47radix_sort_onesweep_sort_config_static_selectorELNS0_4arch9wavefront6targetE0EEEvSG_
	.p2align	8
	.type	_ZN7rocprim17ROCPRIM_400000_NS6detail17trampoline_kernelINS0_14default_configENS1_35radix_sort_onesweep_config_selectorIlNS0_10empty_typeEEEZZNS1_29radix_sort_onesweep_iterationIS3_Lb1EPKlPlPS5_SB_mNS0_19identity_decomposerENS1_16block_id_wrapperIjLb1EEEEE10hipError_tT1_PNSt15iterator_traitsISG_E10value_typeET2_T3_PNSH_ISM_E10value_typeET4_T5_PSR_SS_PNS1_23onesweep_lookback_stateEbbT6_jjT7_P12ihipStream_tbENKUlT_T0_SG_SL_E_clIS9_SA_SB_SB_EEDaSZ_S10_SG_SL_EUlSZ_E_NS1_11comp_targetILNS1_3genE9ELNS1_11target_archE1100ELNS1_3gpuE3ELNS1_3repE0EEENS1_47radix_sort_onesweep_sort_config_static_selectorELNS0_4arch9wavefront6targetE0EEEvSG_,@function
_ZN7rocprim17ROCPRIM_400000_NS6detail17trampoline_kernelINS0_14default_configENS1_35radix_sort_onesweep_config_selectorIlNS0_10empty_typeEEEZZNS1_29radix_sort_onesweep_iterationIS3_Lb1EPKlPlPS5_SB_mNS0_19identity_decomposerENS1_16block_id_wrapperIjLb1EEEEE10hipError_tT1_PNSt15iterator_traitsISG_E10value_typeET2_T3_PNSH_ISM_E10value_typeET4_T5_PSR_SS_PNS1_23onesweep_lookback_stateEbbT6_jjT7_P12ihipStream_tbENKUlT_T0_SG_SL_E_clIS9_SA_SB_SB_EEDaSZ_S10_SG_SL_EUlSZ_E_NS1_11comp_targetILNS1_3genE9ELNS1_11target_archE1100ELNS1_3gpuE3ELNS1_3repE0EEENS1_47radix_sort_onesweep_sort_config_static_selectorELNS0_4arch9wavefront6targetE0EEEvSG_: ; @_ZN7rocprim17ROCPRIM_400000_NS6detail17trampoline_kernelINS0_14default_configENS1_35radix_sort_onesweep_config_selectorIlNS0_10empty_typeEEEZZNS1_29radix_sort_onesweep_iterationIS3_Lb1EPKlPlPS5_SB_mNS0_19identity_decomposerENS1_16block_id_wrapperIjLb1EEEEE10hipError_tT1_PNSt15iterator_traitsISG_E10value_typeET2_T3_PNSH_ISM_E10value_typeET4_T5_PSR_SS_PNS1_23onesweep_lookback_stateEbbT6_jjT7_P12ihipStream_tbENKUlT_T0_SG_SL_E_clIS9_SA_SB_SB_EEDaSZ_S10_SG_SL_EUlSZ_E_NS1_11comp_targetILNS1_3genE9ELNS1_11target_archE1100ELNS1_3gpuE3ELNS1_3repE0EEENS1_47radix_sort_onesweep_sort_config_static_selectorELNS0_4arch9wavefront6targetE0EEEvSG_
; %bb.0:
	.section	.rodata,"a",@progbits
	.p2align	6, 0x0
	.amdhsa_kernel _ZN7rocprim17ROCPRIM_400000_NS6detail17trampoline_kernelINS0_14default_configENS1_35radix_sort_onesweep_config_selectorIlNS0_10empty_typeEEEZZNS1_29radix_sort_onesweep_iterationIS3_Lb1EPKlPlPS5_SB_mNS0_19identity_decomposerENS1_16block_id_wrapperIjLb1EEEEE10hipError_tT1_PNSt15iterator_traitsISG_E10value_typeET2_T3_PNSH_ISM_E10value_typeET4_T5_PSR_SS_PNS1_23onesweep_lookback_stateEbbT6_jjT7_P12ihipStream_tbENKUlT_T0_SG_SL_E_clIS9_SA_SB_SB_EEDaSZ_S10_SG_SL_EUlSZ_E_NS1_11comp_targetILNS1_3genE9ELNS1_11target_archE1100ELNS1_3gpuE3ELNS1_3repE0EEENS1_47radix_sort_onesweep_sort_config_static_selectorELNS0_4arch9wavefront6targetE0EEEvSG_
		.amdhsa_group_segment_fixed_size 0
		.amdhsa_private_segment_fixed_size 0
		.amdhsa_kernarg_size 88
		.amdhsa_user_sgpr_count 2
		.amdhsa_user_sgpr_dispatch_ptr 0
		.amdhsa_user_sgpr_queue_ptr 0
		.amdhsa_user_sgpr_kernarg_segment_ptr 1
		.amdhsa_user_sgpr_dispatch_id 0
		.amdhsa_user_sgpr_kernarg_preload_length 0
		.amdhsa_user_sgpr_kernarg_preload_offset 0
		.amdhsa_user_sgpr_private_segment_size 0
		.amdhsa_wavefront_size32 1
		.amdhsa_uses_dynamic_stack 0
		.amdhsa_enable_private_segment 0
		.amdhsa_system_sgpr_workgroup_id_x 1
		.amdhsa_system_sgpr_workgroup_id_y 0
		.amdhsa_system_sgpr_workgroup_id_z 0
		.amdhsa_system_sgpr_workgroup_info 0
		.amdhsa_system_vgpr_workitem_id 0
		.amdhsa_next_free_vgpr 1
		.amdhsa_next_free_sgpr 1
		.amdhsa_named_barrier_count 0
		.amdhsa_reserve_vcc 0
		.amdhsa_float_round_mode_32 0
		.amdhsa_float_round_mode_16_64 0
		.amdhsa_float_denorm_mode_32 3
		.amdhsa_float_denorm_mode_16_64 3
		.amdhsa_fp16_overflow 0
		.amdhsa_memory_ordered 1
		.amdhsa_forward_progress 1
		.amdhsa_inst_pref_size 0
		.amdhsa_round_robin_scheduling 0
		.amdhsa_exception_fp_ieee_invalid_op 0
		.amdhsa_exception_fp_denorm_src 0
		.amdhsa_exception_fp_ieee_div_zero 0
		.amdhsa_exception_fp_ieee_overflow 0
		.amdhsa_exception_fp_ieee_underflow 0
		.amdhsa_exception_fp_ieee_inexact 0
		.amdhsa_exception_int_div_zero 0
	.end_amdhsa_kernel
	.section	.text._ZN7rocprim17ROCPRIM_400000_NS6detail17trampoline_kernelINS0_14default_configENS1_35radix_sort_onesweep_config_selectorIlNS0_10empty_typeEEEZZNS1_29radix_sort_onesweep_iterationIS3_Lb1EPKlPlPS5_SB_mNS0_19identity_decomposerENS1_16block_id_wrapperIjLb1EEEEE10hipError_tT1_PNSt15iterator_traitsISG_E10value_typeET2_T3_PNSH_ISM_E10value_typeET4_T5_PSR_SS_PNS1_23onesweep_lookback_stateEbbT6_jjT7_P12ihipStream_tbENKUlT_T0_SG_SL_E_clIS9_SA_SB_SB_EEDaSZ_S10_SG_SL_EUlSZ_E_NS1_11comp_targetILNS1_3genE9ELNS1_11target_archE1100ELNS1_3gpuE3ELNS1_3repE0EEENS1_47radix_sort_onesweep_sort_config_static_selectorELNS0_4arch9wavefront6targetE0EEEvSG_,"axG",@progbits,_ZN7rocprim17ROCPRIM_400000_NS6detail17trampoline_kernelINS0_14default_configENS1_35radix_sort_onesweep_config_selectorIlNS0_10empty_typeEEEZZNS1_29radix_sort_onesweep_iterationIS3_Lb1EPKlPlPS5_SB_mNS0_19identity_decomposerENS1_16block_id_wrapperIjLb1EEEEE10hipError_tT1_PNSt15iterator_traitsISG_E10value_typeET2_T3_PNSH_ISM_E10value_typeET4_T5_PSR_SS_PNS1_23onesweep_lookback_stateEbbT6_jjT7_P12ihipStream_tbENKUlT_T0_SG_SL_E_clIS9_SA_SB_SB_EEDaSZ_S10_SG_SL_EUlSZ_E_NS1_11comp_targetILNS1_3genE9ELNS1_11target_archE1100ELNS1_3gpuE3ELNS1_3repE0EEENS1_47radix_sort_onesweep_sort_config_static_selectorELNS0_4arch9wavefront6targetE0EEEvSG_,comdat
.Lfunc_end1103:
	.size	_ZN7rocprim17ROCPRIM_400000_NS6detail17trampoline_kernelINS0_14default_configENS1_35radix_sort_onesweep_config_selectorIlNS0_10empty_typeEEEZZNS1_29radix_sort_onesweep_iterationIS3_Lb1EPKlPlPS5_SB_mNS0_19identity_decomposerENS1_16block_id_wrapperIjLb1EEEEE10hipError_tT1_PNSt15iterator_traitsISG_E10value_typeET2_T3_PNSH_ISM_E10value_typeET4_T5_PSR_SS_PNS1_23onesweep_lookback_stateEbbT6_jjT7_P12ihipStream_tbENKUlT_T0_SG_SL_E_clIS9_SA_SB_SB_EEDaSZ_S10_SG_SL_EUlSZ_E_NS1_11comp_targetILNS1_3genE9ELNS1_11target_archE1100ELNS1_3gpuE3ELNS1_3repE0EEENS1_47radix_sort_onesweep_sort_config_static_selectorELNS0_4arch9wavefront6targetE0EEEvSG_, .Lfunc_end1103-_ZN7rocprim17ROCPRIM_400000_NS6detail17trampoline_kernelINS0_14default_configENS1_35radix_sort_onesweep_config_selectorIlNS0_10empty_typeEEEZZNS1_29radix_sort_onesweep_iterationIS3_Lb1EPKlPlPS5_SB_mNS0_19identity_decomposerENS1_16block_id_wrapperIjLb1EEEEE10hipError_tT1_PNSt15iterator_traitsISG_E10value_typeET2_T3_PNSH_ISM_E10value_typeET4_T5_PSR_SS_PNS1_23onesweep_lookback_stateEbbT6_jjT7_P12ihipStream_tbENKUlT_T0_SG_SL_E_clIS9_SA_SB_SB_EEDaSZ_S10_SG_SL_EUlSZ_E_NS1_11comp_targetILNS1_3genE9ELNS1_11target_archE1100ELNS1_3gpuE3ELNS1_3repE0EEENS1_47radix_sort_onesweep_sort_config_static_selectorELNS0_4arch9wavefront6targetE0EEEvSG_
                                        ; -- End function
	.set _ZN7rocprim17ROCPRIM_400000_NS6detail17trampoline_kernelINS0_14default_configENS1_35radix_sort_onesweep_config_selectorIlNS0_10empty_typeEEEZZNS1_29radix_sort_onesweep_iterationIS3_Lb1EPKlPlPS5_SB_mNS0_19identity_decomposerENS1_16block_id_wrapperIjLb1EEEEE10hipError_tT1_PNSt15iterator_traitsISG_E10value_typeET2_T3_PNSH_ISM_E10value_typeET4_T5_PSR_SS_PNS1_23onesweep_lookback_stateEbbT6_jjT7_P12ihipStream_tbENKUlT_T0_SG_SL_E_clIS9_SA_SB_SB_EEDaSZ_S10_SG_SL_EUlSZ_E_NS1_11comp_targetILNS1_3genE9ELNS1_11target_archE1100ELNS1_3gpuE3ELNS1_3repE0EEENS1_47radix_sort_onesweep_sort_config_static_selectorELNS0_4arch9wavefront6targetE0EEEvSG_.num_vgpr, 0
	.set _ZN7rocprim17ROCPRIM_400000_NS6detail17trampoline_kernelINS0_14default_configENS1_35radix_sort_onesweep_config_selectorIlNS0_10empty_typeEEEZZNS1_29radix_sort_onesweep_iterationIS3_Lb1EPKlPlPS5_SB_mNS0_19identity_decomposerENS1_16block_id_wrapperIjLb1EEEEE10hipError_tT1_PNSt15iterator_traitsISG_E10value_typeET2_T3_PNSH_ISM_E10value_typeET4_T5_PSR_SS_PNS1_23onesweep_lookback_stateEbbT6_jjT7_P12ihipStream_tbENKUlT_T0_SG_SL_E_clIS9_SA_SB_SB_EEDaSZ_S10_SG_SL_EUlSZ_E_NS1_11comp_targetILNS1_3genE9ELNS1_11target_archE1100ELNS1_3gpuE3ELNS1_3repE0EEENS1_47radix_sort_onesweep_sort_config_static_selectorELNS0_4arch9wavefront6targetE0EEEvSG_.num_agpr, 0
	.set _ZN7rocprim17ROCPRIM_400000_NS6detail17trampoline_kernelINS0_14default_configENS1_35radix_sort_onesweep_config_selectorIlNS0_10empty_typeEEEZZNS1_29radix_sort_onesweep_iterationIS3_Lb1EPKlPlPS5_SB_mNS0_19identity_decomposerENS1_16block_id_wrapperIjLb1EEEEE10hipError_tT1_PNSt15iterator_traitsISG_E10value_typeET2_T3_PNSH_ISM_E10value_typeET4_T5_PSR_SS_PNS1_23onesweep_lookback_stateEbbT6_jjT7_P12ihipStream_tbENKUlT_T0_SG_SL_E_clIS9_SA_SB_SB_EEDaSZ_S10_SG_SL_EUlSZ_E_NS1_11comp_targetILNS1_3genE9ELNS1_11target_archE1100ELNS1_3gpuE3ELNS1_3repE0EEENS1_47radix_sort_onesweep_sort_config_static_selectorELNS0_4arch9wavefront6targetE0EEEvSG_.numbered_sgpr, 0
	.set _ZN7rocprim17ROCPRIM_400000_NS6detail17trampoline_kernelINS0_14default_configENS1_35radix_sort_onesweep_config_selectorIlNS0_10empty_typeEEEZZNS1_29radix_sort_onesweep_iterationIS3_Lb1EPKlPlPS5_SB_mNS0_19identity_decomposerENS1_16block_id_wrapperIjLb1EEEEE10hipError_tT1_PNSt15iterator_traitsISG_E10value_typeET2_T3_PNSH_ISM_E10value_typeET4_T5_PSR_SS_PNS1_23onesweep_lookback_stateEbbT6_jjT7_P12ihipStream_tbENKUlT_T0_SG_SL_E_clIS9_SA_SB_SB_EEDaSZ_S10_SG_SL_EUlSZ_E_NS1_11comp_targetILNS1_3genE9ELNS1_11target_archE1100ELNS1_3gpuE3ELNS1_3repE0EEENS1_47radix_sort_onesweep_sort_config_static_selectorELNS0_4arch9wavefront6targetE0EEEvSG_.num_named_barrier, 0
	.set _ZN7rocprim17ROCPRIM_400000_NS6detail17trampoline_kernelINS0_14default_configENS1_35radix_sort_onesweep_config_selectorIlNS0_10empty_typeEEEZZNS1_29radix_sort_onesweep_iterationIS3_Lb1EPKlPlPS5_SB_mNS0_19identity_decomposerENS1_16block_id_wrapperIjLb1EEEEE10hipError_tT1_PNSt15iterator_traitsISG_E10value_typeET2_T3_PNSH_ISM_E10value_typeET4_T5_PSR_SS_PNS1_23onesweep_lookback_stateEbbT6_jjT7_P12ihipStream_tbENKUlT_T0_SG_SL_E_clIS9_SA_SB_SB_EEDaSZ_S10_SG_SL_EUlSZ_E_NS1_11comp_targetILNS1_3genE9ELNS1_11target_archE1100ELNS1_3gpuE3ELNS1_3repE0EEENS1_47radix_sort_onesweep_sort_config_static_selectorELNS0_4arch9wavefront6targetE0EEEvSG_.private_seg_size, 0
	.set _ZN7rocprim17ROCPRIM_400000_NS6detail17trampoline_kernelINS0_14default_configENS1_35radix_sort_onesweep_config_selectorIlNS0_10empty_typeEEEZZNS1_29radix_sort_onesweep_iterationIS3_Lb1EPKlPlPS5_SB_mNS0_19identity_decomposerENS1_16block_id_wrapperIjLb1EEEEE10hipError_tT1_PNSt15iterator_traitsISG_E10value_typeET2_T3_PNSH_ISM_E10value_typeET4_T5_PSR_SS_PNS1_23onesweep_lookback_stateEbbT6_jjT7_P12ihipStream_tbENKUlT_T0_SG_SL_E_clIS9_SA_SB_SB_EEDaSZ_S10_SG_SL_EUlSZ_E_NS1_11comp_targetILNS1_3genE9ELNS1_11target_archE1100ELNS1_3gpuE3ELNS1_3repE0EEENS1_47radix_sort_onesweep_sort_config_static_selectorELNS0_4arch9wavefront6targetE0EEEvSG_.uses_vcc, 0
	.set _ZN7rocprim17ROCPRIM_400000_NS6detail17trampoline_kernelINS0_14default_configENS1_35radix_sort_onesweep_config_selectorIlNS0_10empty_typeEEEZZNS1_29radix_sort_onesweep_iterationIS3_Lb1EPKlPlPS5_SB_mNS0_19identity_decomposerENS1_16block_id_wrapperIjLb1EEEEE10hipError_tT1_PNSt15iterator_traitsISG_E10value_typeET2_T3_PNSH_ISM_E10value_typeET4_T5_PSR_SS_PNS1_23onesweep_lookback_stateEbbT6_jjT7_P12ihipStream_tbENKUlT_T0_SG_SL_E_clIS9_SA_SB_SB_EEDaSZ_S10_SG_SL_EUlSZ_E_NS1_11comp_targetILNS1_3genE9ELNS1_11target_archE1100ELNS1_3gpuE3ELNS1_3repE0EEENS1_47radix_sort_onesweep_sort_config_static_selectorELNS0_4arch9wavefront6targetE0EEEvSG_.uses_flat_scratch, 0
	.set _ZN7rocprim17ROCPRIM_400000_NS6detail17trampoline_kernelINS0_14default_configENS1_35radix_sort_onesweep_config_selectorIlNS0_10empty_typeEEEZZNS1_29radix_sort_onesweep_iterationIS3_Lb1EPKlPlPS5_SB_mNS0_19identity_decomposerENS1_16block_id_wrapperIjLb1EEEEE10hipError_tT1_PNSt15iterator_traitsISG_E10value_typeET2_T3_PNSH_ISM_E10value_typeET4_T5_PSR_SS_PNS1_23onesweep_lookback_stateEbbT6_jjT7_P12ihipStream_tbENKUlT_T0_SG_SL_E_clIS9_SA_SB_SB_EEDaSZ_S10_SG_SL_EUlSZ_E_NS1_11comp_targetILNS1_3genE9ELNS1_11target_archE1100ELNS1_3gpuE3ELNS1_3repE0EEENS1_47radix_sort_onesweep_sort_config_static_selectorELNS0_4arch9wavefront6targetE0EEEvSG_.has_dyn_sized_stack, 0
	.set _ZN7rocprim17ROCPRIM_400000_NS6detail17trampoline_kernelINS0_14default_configENS1_35radix_sort_onesweep_config_selectorIlNS0_10empty_typeEEEZZNS1_29radix_sort_onesweep_iterationIS3_Lb1EPKlPlPS5_SB_mNS0_19identity_decomposerENS1_16block_id_wrapperIjLb1EEEEE10hipError_tT1_PNSt15iterator_traitsISG_E10value_typeET2_T3_PNSH_ISM_E10value_typeET4_T5_PSR_SS_PNS1_23onesweep_lookback_stateEbbT6_jjT7_P12ihipStream_tbENKUlT_T0_SG_SL_E_clIS9_SA_SB_SB_EEDaSZ_S10_SG_SL_EUlSZ_E_NS1_11comp_targetILNS1_3genE9ELNS1_11target_archE1100ELNS1_3gpuE3ELNS1_3repE0EEENS1_47radix_sort_onesweep_sort_config_static_selectorELNS0_4arch9wavefront6targetE0EEEvSG_.has_recursion, 0
	.set _ZN7rocprim17ROCPRIM_400000_NS6detail17trampoline_kernelINS0_14default_configENS1_35radix_sort_onesweep_config_selectorIlNS0_10empty_typeEEEZZNS1_29radix_sort_onesweep_iterationIS3_Lb1EPKlPlPS5_SB_mNS0_19identity_decomposerENS1_16block_id_wrapperIjLb1EEEEE10hipError_tT1_PNSt15iterator_traitsISG_E10value_typeET2_T3_PNSH_ISM_E10value_typeET4_T5_PSR_SS_PNS1_23onesweep_lookback_stateEbbT6_jjT7_P12ihipStream_tbENKUlT_T0_SG_SL_E_clIS9_SA_SB_SB_EEDaSZ_S10_SG_SL_EUlSZ_E_NS1_11comp_targetILNS1_3genE9ELNS1_11target_archE1100ELNS1_3gpuE3ELNS1_3repE0EEENS1_47radix_sort_onesweep_sort_config_static_selectorELNS0_4arch9wavefront6targetE0EEEvSG_.has_indirect_call, 0
	.section	.AMDGPU.csdata,"",@progbits
; Kernel info:
; codeLenInByte = 0
; TotalNumSgprs: 0
; NumVgprs: 0
; ScratchSize: 0
; MemoryBound: 0
; FloatMode: 240
; IeeeMode: 1
; LDSByteSize: 0 bytes/workgroup (compile time only)
; SGPRBlocks: 0
; VGPRBlocks: 0
; NumSGPRsForWavesPerEU: 1
; NumVGPRsForWavesPerEU: 1
; NamedBarCnt: 0
; Occupancy: 16
; WaveLimiterHint : 0
; COMPUTE_PGM_RSRC2:SCRATCH_EN: 0
; COMPUTE_PGM_RSRC2:USER_SGPR: 2
; COMPUTE_PGM_RSRC2:TRAP_HANDLER: 0
; COMPUTE_PGM_RSRC2:TGID_X_EN: 1
; COMPUTE_PGM_RSRC2:TGID_Y_EN: 0
; COMPUTE_PGM_RSRC2:TGID_Z_EN: 0
; COMPUTE_PGM_RSRC2:TIDIG_COMP_CNT: 0
	.section	.text._ZN7rocprim17ROCPRIM_400000_NS6detail17trampoline_kernelINS0_14default_configENS1_35radix_sort_onesweep_config_selectorIlNS0_10empty_typeEEEZZNS1_29radix_sort_onesweep_iterationIS3_Lb1EPKlPlPS5_SB_mNS0_19identity_decomposerENS1_16block_id_wrapperIjLb1EEEEE10hipError_tT1_PNSt15iterator_traitsISG_E10value_typeET2_T3_PNSH_ISM_E10value_typeET4_T5_PSR_SS_PNS1_23onesweep_lookback_stateEbbT6_jjT7_P12ihipStream_tbENKUlT_T0_SG_SL_E_clIS9_SA_SB_SB_EEDaSZ_S10_SG_SL_EUlSZ_E_NS1_11comp_targetILNS1_3genE8ELNS1_11target_archE1030ELNS1_3gpuE2ELNS1_3repE0EEENS1_47radix_sort_onesweep_sort_config_static_selectorELNS0_4arch9wavefront6targetE0EEEvSG_,"axG",@progbits,_ZN7rocprim17ROCPRIM_400000_NS6detail17trampoline_kernelINS0_14default_configENS1_35radix_sort_onesweep_config_selectorIlNS0_10empty_typeEEEZZNS1_29radix_sort_onesweep_iterationIS3_Lb1EPKlPlPS5_SB_mNS0_19identity_decomposerENS1_16block_id_wrapperIjLb1EEEEE10hipError_tT1_PNSt15iterator_traitsISG_E10value_typeET2_T3_PNSH_ISM_E10value_typeET4_T5_PSR_SS_PNS1_23onesweep_lookback_stateEbbT6_jjT7_P12ihipStream_tbENKUlT_T0_SG_SL_E_clIS9_SA_SB_SB_EEDaSZ_S10_SG_SL_EUlSZ_E_NS1_11comp_targetILNS1_3genE8ELNS1_11target_archE1030ELNS1_3gpuE2ELNS1_3repE0EEENS1_47radix_sort_onesweep_sort_config_static_selectorELNS0_4arch9wavefront6targetE0EEEvSG_,comdat
	.protected	_ZN7rocprim17ROCPRIM_400000_NS6detail17trampoline_kernelINS0_14default_configENS1_35radix_sort_onesweep_config_selectorIlNS0_10empty_typeEEEZZNS1_29radix_sort_onesweep_iterationIS3_Lb1EPKlPlPS5_SB_mNS0_19identity_decomposerENS1_16block_id_wrapperIjLb1EEEEE10hipError_tT1_PNSt15iterator_traitsISG_E10value_typeET2_T3_PNSH_ISM_E10value_typeET4_T5_PSR_SS_PNS1_23onesweep_lookback_stateEbbT6_jjT7_P12ihipStream_tbENKUlT_T0_SG_SL_E_clIS9_SA_SB_SB_EEDaSZ_S10_SG_SL_EUlSZ_E_NS1_11comp_targetILNS1_3genE8ELNS1_11target_archE1030ELNS1_3gpuE2ELNS1_3repE0EEENS1_47radix_sort_onesweep_sort_config_static_selectorELNS0_4arch9wavefront6targetE0EEEvSG_ ; -- Begin function _ZN7rocprim17ROCPRIM_400000_NS6detail17trampoline_kernelINS0_14default_configENS1_35radix_sort_onesweep_config_selectorIlNS0_10empty_typeEEEZZNS1_29radix_sort_onesweep_iterationIS3_Lb1EPKlPlPS5_SB_mNS0_19identity_decomposerENS1_16block_id_wrapperIjLb1EEEEE10hipError_tT1_PNSt15iterator_traitsISG_E10value_typeET2_T3_PNSH_ISM_E10value_typeET4_T5_PSR_SS_PNS1_23onesweep_lookback_stateEbbT6_jjT7_P12ihipStream_tbENKUlT_T0_SG_SL_E_clIS9_SA_SB_SB_EEDaSZ_S10_SG_SL_EUlSZ_E_NS1_11comp_targetILNS1_3genE8ELNS1_11target_archE1030ELNS1_3gpuE2ELNS1_3repE0EEENS1_47radix_sort_onesweep_sort_config_static_selectorELNS0_4arch9wavefront6targetE0EEEvSG_
	.globl	_ZN7rocprim17ROCPRIM_400000_NS6detail17trampoline_kernelINS0_14default_configENS1_35radix_sort_onesweep_config_selectorIlNS0_10empty_typeEEEZZNS1_29radix_sort_onesweep_iterationIS3_Lb1EPKlPlPS5_SB_mNS0_19identity_decomposerENS1_16block_id_wrapperIjLb1EEEEE10hipError_tT1_PNSt15iterator_traitsISG_E10value_typeET2_T3_PNSH_ISM_E10value_typeET4_T5_PSR_SS_PNS1_23onesweep_lookback_stateEbbT6_jjT7_P12ihipStream_tbENKUlT_T0_SG_SL_E_clIS9_SA_SB_SB_EEDaSZ_S10_SG_SL_EUlSZ_E_NS1_11comp_targetILNS1_3genE8ELNS1_11target_archE1030ELNS1_3gpuE2ELNS1_3repE0EEENS1_47radix_sort_onesweep_sort_config_static_selectorELNS0_4arch9wavefront6targetE0EEEvSG_
	.p2align	8
	.type	_ZN7rocprim17ROCPRIM_400000_NS6detail17trampoline_kernelINS0_14default_configENS1_35radix_sort_onesweep_config_selectorIlNS0_10empty_typeEEEZZNS1_29radix_sort_onesweep_iterationIS3_Lb1EPKlPlPS5_SB_mNS0_19identity_decomposerENS1_16block_id_wrapperIjLb1EEEEE10hipError_tT1_PNSt15iterator_traitsISG_E10value_typeET2_T3_PNSH_ISM_E10value_typeET4_T5_PSR_SS_PNS1_23onesweep_lookback_stateEbbT6_jjT7_P12ihipStream_tbENKUlT_T0_SG_SL_E_clIS9_SA_SB_SB_EEDaSZ_S10_SG_SL_EUlSZ_E_NS1_11comp_targetILNS1_3genE8ELNS1_11target_archE1030ELNS1_3gpuE2ELNS1_3repE0EEENS1_47radix_sort_onesweep_sort_config_static_selectorELNS0_4arch9wavefront6targetE0EEEvSG_,@function
_ZN7rocprim17ROCPRIM_400000_NS6detail17trampoline_kernelINS0_14default_configENS1_35radix_sort_onesweep_config_selectorIlNS0_10empty_typeEEEZZNS1_29radix_sort_onesweep_iterationIS3_Lb1EPKlPlPS5_SB_mNS0_19identity_decomposerENS1_16block_id_wrapperIjLb1EEEEE10hipError_tT1_PNSt15iterator_traitsISG_E10value_typeET2_T3_PNSH_ISM_E10value_typeET4_T5_PSR_SS_PNS1_23onesweep_lookback_stateEbbT6_jjT7_P12ihipStream_tbENKUlT_T0_SG_SL_E_clIS9_SA_SB_SB_EEDaSZ_S10_SG_SL_EUlSZ_E_NS1_11comp_targetILNS1_3genE8ELNS1_11target_archE1030ELNS1_3gpuE2ELNS1_3repE0EEENS1_47radix_sort_onesweep_sort_config_static_selectorELNS0_4arch9wavefront6targetE0EEEvSG_: ; @_ZN7rocprim17ROCPRIM_400000_NS6detail17trampoline_kernelINS0_14default_configENS1_35radix_sort_onesweep_config_selectorIlNS0_10empty_typeEEEZZNS1_29radix_sort_onesweep_iterationIS3_Lb1EPKlPlPS5_SB_mNS0_19identity_decomposerENS1_16block_id_wrapperIjLb1EEEEE10hipError_tT1_PNSt15iterator_traitsISG_E10value_typeET2_T3_PNSH_ISM_E10value_typeET4_T5_PSR_SS_PNS1_23onesweep_lookback_stateEbbT6_jjT7_P12ihipStream_tbENKUlT_T0_SG_SL_E_clIS9_SA_SB_SB_EEDaSZ_S10_SG_SL_EUlSZ_E_NS1_11comp_targetILNS1_3genE8ELNS1_11target_archE1030ELNS1_3gpuE2ELNS1_3repE0EEENS1_47radix_sort_onesweep_sort_config_static_selectorELNS0_4arch9wavefront6targetE0EEEvSG_
; %bb.0:
	.section	.rodata,"a",@progbits
	.p2align	6, 0x0
	.amdhsa_kernel _ZN7rocprim17ROCPRIM_400000_NS6detail17trampoline_kernelINS0_14default_configENS1_35radix_sort_onesweep_config_selectorIlNS0_10empty_typeEEEZZNS1_29radix_sort_onesweep_iterationIS3_Lb1EPKlPlPS5_SB_mNS0_19identity_decomposerENS1_16block_id_wrapperIjLb1EEEEE10hipError_tT1_PNSt15iterator_traitsISG_E10value_typeET2_T3_PNSH_ISM_E10value_typeET4_T5_PSR_SS_PNS1_23onesweep_lookback_stateEbbT6_jjT7_P12ihipStream_tbENKUlT_T0_SG_SL_E_clIS9_SA_SB_SB_EEDaSZ_S10_SG_SL_EUlSZ_E_NS1_11comp_targetILNS1_3genE8ELNS1_11target_archE1030ELNS1_3gpuE2ELNS1_3repE0EEENS1_47radix_sort_onesweep_sort_config_static_selectorELNS0_4arch9wavefront6targetE0EEEvSG_
		.amdhsa_group_segment_fixed_size 0
		.amdhsa_private_segment_fixed_size 0
		.amdhsa_kernarg_size 88
		.amdhsa_user_sgpr_count 2
		.amdhsa_user_sgpr_dispatch_ptr 0
		.amdhsa_user_sgpr_queue_ptr 0
		.amdhsa_user_sgpr_kernarg_segment_ptr 1
		.amdhsa_user_sgpr_dispatch_id 0
		.amdhsa_user_sgpr_kernarg_preload_length 0
		.amdhsa_user_sgpr_kernarg_preload_offset 0
		.amdhsa_user_sgpr_private_segment_size 0
		.amdhsa_wavefront_size32 1
		.amdhsa_uses_dynamic_stack 0
		.amdhsa_enable_private_segment 0
		.amdhsa_system_sgpr_workgroup_id_x 1
		.amdhsa_system_sgpr_workgroup_id_y 0
		.amdhsa_system_sgpr_workgroup_id_z 0
		.amdhsa_system_sgpr_workgroup_info 0
		.amdhsa_system_vgpr_workitem_id 0
		.amdhsa_next_free_vgpr 1
		.amdhsa_next_free_sgpr 1
		.amdhsa_named_barrier_count 0
		.amdhsa_reserve_vcc 0
		.amdhsa_float_round_mode_32 0
		.amdhsa_float_round_mode_16_64 0
		.amdhsa_float_denorm_mode_32 3
		.amdhsa_float_denorm_mode_16_64 3
		.amdhsa_fp16_overflow 0
		.amdhsa_memory_ordered 1
		.amdhsa_forward_progress 1
		.amdhsa_inst_pref_size 0
		.amdhsa_round_robin_scheduling 0
		.amdhsa_exception_fp_ieee_invalid_op 0
		.amdhsa_exception_fp_denorm_src 0
		.amdhsa_exception_fp_ieee_div_zero 0
		.amdhsa_exception_fp_ieee_overflow 0
		.amdhsa_exception_fp_ieee_underflow 0
		.amdhsa_exception_fp_ieee_inexact 0
		.amdhsa_exception_int_div_zero 0
	.end_amdhsa_kernel
	.section	.text._ZN7rocprim17ROCPRIM_400000_NS6detail17trampoline_kernelINS0_14default_configENS1_35radix_sort_onesweep_config_selectorIlNS0_10empty_typeEEEZZNS1_29radix_sort_onesweep_iterationIS3_Lb1EPKlPlPS5_SB_mNS0_19identity_decomposerENS1_16block_id_wrapperIjLb1EEEEE10hipError_tT1_PNSt15iterator_traitsISG_E10value_typeET2_T3_PNSH_ISM_E10value_typeET4_T5_PSR_SS_PNS1_23onesweep_lookback_stateEbbT6_jjT7_P12ihipStream_tbENKUlT_T0_SG_SL_E_clIS9_SA_SB_SB_EEDaSZ_S10_SG_SL_EUlSZ_E_NS1_11comp_targetILNS1_3genE8ELNS1_11target_archE1030ELNS1_3gpuE2ELNS1_3repE0EEENS1_47radix_sort_onesweep_sort_config_static_selectorELNS0_4arch9wavefront6targetE0EEEvSG_,"axG",@progbits,_ZN7rocprim17ROCPRIM_400000_NS6detail17trampoline_kernelINS0_14default_configENS1_35radix_sort_onesweep_config_selectorIlNS0_10empty_typeEEEZZNS1_29radix_sort_onesweep_iterationIS3_Lb1EPKlPlPS5_SB_mNS0_19identity_decomposerENS1_16block_id_wrapperIjLb1EEEEE10hipError_tT1_PNSt15iterator_traitsISG_E10value_typeET2_T3_PNSH_ISM_E10value_typeET4_T5_PSR_SS_PNS1_23onesweep_lookback_stateEbbT6_jjT7_P12ihipStream_tbENKUlT_T0_SG_SL_E_clIS9_SA_SB_SB_EEDaSZ_S10_SG_SL_EUlSZ_E_NS1_11comp_targetILNS1_3genE8ELNS1_11target_archE1030ELNS1_3gpuE2ELNS1_3repE0EEENS1_47radix_sort_onesweep_sort_config_static_selectorELNS0_4arch9wavefront6targetE0EEEvSG_,comdat
.Lfunc_end1104:
	.size	_ZN7rocprim17ROCPRIM_400000_NS6detail17trampoline_kernelINS0_14default_configENS1_35radix_sort_onesweep_config_selectorIlNS0_10empty_typeEEEZZNS1_29radix_sort_onesweep_iterationIS3_Lb1EPKlPlPS5_SB_mNS0_19identity_decomposerENS1_16block_id_wrapperIjLb1EEEEE10hipError_tT1_PNSt15iterator_traitsISG_E10value_typeET2_T3_PNSH_ISM_E10value_typeET4_T5_PSR_SS_PNS1_23onesweep_lookback_stateEbbT6_jjT7_P12ihipStream_tbENKUlT_T0_SG_SL_E_clIS9_SA_SB_SB_EEDaSZ_S10_SG_SL_EUlSZ_E_NS1_11comp_targetILNS1_3genE8ELNS1_11target_archE1030ELNS1_3gpuE2ELNS1_3repE0EEENS1_47radix_sort_onesweep_sort_config_static_selectorELNS0_4arch9wavefront6targetE0EEEvSG_, .Lfunc_end1104-_ZN7rocprim17ROCPRIM_400000_NS6detail17trampoline_kernelINS0_14default_configENS1_35radix_sort_onesweep_config_selectorIlNS0_10empty_typeEEEZZNS1_29radix_sort_onesweep_iterationIS3_Lb1EPKlPlPS5_SB_mNS0_19identity_decomposerENS1_16block_id_wrapperIjLb1EEEEE10hipError_tT1_PNSt15iterator_traitsISG_E10value_typeET2_T3_PNSH_ISM_E10value_typeET4_T5_PSR_SS_PNS1_23onesweep_lookback_stateEbbT6_jjT7_P12ihipStream_tbENKUlT_T0_SG_SL_E_clIS9_SA_SB_SB_EEDaSZ_S10_SG_SL_EUlSZ_E_NS1_11comp_targetILNS1_3genE8ELNS1_11target_archE1030ELNS1_3gpuE2ELNS1_3repE0EEENS1_47radix_sort_onesweep_sort_config_static_selectorELNS0_4arch9wavefront6targetE0EEEvSG_
                                        ; -- End function
	.set _ZN7rocprim17ROCPRIM_400000_NS6detail17trampoline_kernelINS0_14default_configENS1_35radix_sort_onesweep_config_selectorIlNS0_10empty_typeEEEZZNS1_29radix_sort_onesweep_iterationIS3_Lb1EPKlPlPS5_SB_mNS0_19identity_decomposerENS1_16block_id_wrapperIjLb1EEEEE10hipError_tT1_PNSt15iterator_traitsISG_E10value_typeET2_T3_PNSH_ISM_E10value_typeET4_T5_PSR_SS_PNS1_23onesweep_lookback_stateEbbT6_jjT7_P12ihipStream_tbENKUlT_T0_SG_SL_E_clIS9_SA_SB_SB_EEDaSZ_S10_SG_SL_EUlSZ_E_NS1_11comp_targetILNS1_3genE8ELNS1_11target_archE1030ELNS1_3gpuE2ELNS1_3repE0EEENS1_47radix_sort_onesweep_sort_config_static_selectorELNS0_4arch9wavefront6targetE0EEEvSG_.num_vgpr, 0
	.set _ZN7rocprim17ROCPRIM_400000_NS6detail17trampoline_kernelINS0_14default_configENS1_35radix_sort_onesweep_config_selectorIlNS0_10empty_typeEEEZZNS1_29radix_sort_onesweep_iterationIS3_Lb1EPKlPlPS5_SB_mNS0_19identity_decomposerENS1_16block_id_wrapperIjLb1EEEEE10hipError_tT1_PNSt15iterator_traitsISG_E10value_typeET2_T3_PNSH_ISM_E10value_typeET4_T5_PSR_SS_PNS1_23onesweep_lookback_stateEbbT6_jjT7_P12ihipStream_tbENKUlT_T0_SG_SL_E_clIS9_SA_SB_SB_EEDaSZ_S10_SG_SL_EUlSZ_E_NS1_11comp_targetILNS1_3genE8ELNS1_11target_archE1030ELNS1_3gpuE2ELNS1_3repE0EEENS1_47radix_sort_onesweep_sort_config_static_selectorELNS0_4arch9wavefront6targetE0EEEvSG_.num_agpr, 0
	.set _ZN7rocprim17ROCPRIM_400000_NS6detail17trampoline_kernelINS0_14default_configENS1_35radix_sort_onesweep_config_selectorIlNS0_10empty_typeEEEZZNS1_29radix_sort_onesweep_iterationIS3_Lb1EPKlPlPS5_SB_mNS0_19identity_decomposerENS1_16block_id_wrapperIjLb1EEEEE10hipError_tT1_PNSt15iterator_traitsISG_E10value_typeET2_T3_PNSH_ISM_E10value_typeET4_T5_PSR_SS_PNS1_23onesweep_lookback_stateEbbT6_jjT7_P12ihipStream_tbENKUlT_T0_SG_SL_E_clIS9_SA_SB_SB_EEDaSZ_S10_SG_SL_EUlSZ_E_NS1_11comp_targetILNS1_3genE8ELNS1_11target_archE1030ELNS1_3gpuE2ELNS1_3repE0EEENS1_47radix_sort_onesweep_sort_config_static_selectorELNS0_4arch9wavefront6targetE0EEEvSG_.numbered_sgpr, 0
	.set _ZN7rocprim17ROCPRIM_400000_NS6detail17trampoline_kernelINS0_14default_configENS1_35radix_sort_onesweep_config_selectorIlNS0_10empty_typeEEEZZNS1_29radix_sort_onesweep_iterationIS3_Lb1EPKlPlPS5_SB_mNS0_19identity_decomposerENS1_16block_id_wrapperIjLb1EEEEE10hipError_tT1_PNSt15iterator_traitsISG_E10value_typeET2_T3_PNSH_ISM_E10value_typeET4_T5_PSR_SS_PNS1_23onesweep_lookback_stateEbbT6_jjT7_P12ihipStream_tbENKUlT_T0_SG_SL_E_clIS9_SA_SB_SB_EEDaSZ_S10_SG_SL_EUlSZ_E_NS1_11comp_targetILNS1_3genE8ELNS1_11target_archE1030ELNS1_3gpuE2ELNS1_3repE0EEENS1_47radix_sort_onesweep_sort_config_static_selectorELNS0_4arch9wavefront6targetE0EEEvSG_.num_named_barrier, 0
	.set _ZN7rocprim17ROCPRIM_400000_NS6detail17trampoline_kernelINS0_14default_configENS1_35radix_sort_onesweep_config_selectorIlNS0_10empty_typeEEEZZNS1_29radix_sort_onesweep_iterationIS3_Lb1EPKlPlPS5_SB_mNS0_19identity_decomposerENS1_16block_id_wrapperIjLb1EEEEE10hipError_tT1_PNSt15iterator_traitsISG_E10value_typeET2_T3_PNSH_ISM_E10value_typeET4_T5_PSR_SS_PNS1_23onesweep_lookback_stateEbbT6_jjT7_P12ihipStream_tbENKUlT_T0_SG_SL_E_clIS9_SA_SB_SB_EEDaSZ_S10_SG_SL_EUlSZ_E_NS1_11comp_targetILNS1_3genE8ELNS1_11target_archE1030ELNS1_3gpuE2ELNS1_3repE0EEENS1_47radix_sort_onesweep_sort_config_static_selectorELNS0_4arch9wavefront6targetE0EEEvSG_.private_seg_size, 0
	.set _ZN7rocprim17ROCPRIM_400000_NS6detail17trampoline_kernelINS0_14default_configENS1_35radix_sort_onesweep_config_selectorIlNS0_10empty_typeEEEZZNS1_29radix_sort_onesweep_iterationIS3_Lb1EPKlPlPS5_SB_mNS0_19identity_decomposerENS1_16block_id_wrapperIjLb1EEEEE10hipError_tT1_PNSt15iterator_traitsISG_E10value_typeET2_T3_PNSH_ISM_E10value_typeET4_T5_PSR_SS_PNS1_23onesweep_lookback_stateEbbT6_jjT7_P12ihipStream_tbENKUlT_T0_SG_SL_E_clIS9_SA_SB_SB_EEDaSZ_S10_SG_SL_EUlSZ_E_NS1_11comp_targetILNS1_3genE8ELNS1_11target_archE1030ELNS1_3gpuE2ELNS1_3repE0EEENS1_47radix_sort_onesweep_sort_config_static_selectorELNS0_4arch9wavefront6targetE0EEEvSG_.uses_vcc, 0
	.set _ZN7rocprim17ROCPRIM_400000_NS6detail17trampoline_kernelINS0_14default_configENS1_35radix_sort_onesweep_config_selectorIlNS0_10empty_typeEEEZZNS1_29radix_sort_onesweep_iterationIS3_Lb1EPKlPlPS5_SB_mNS0_19identity_decomposerENS1_16block_id_wrapperIjLb1EEEEE10hipError_tT1_PNSt15iterator_traitsISG_E10value_typeET2_T3_PNSH_ISM_E10value_typeET4_T5_PSR_SS_PNS1_23onesweep_lookback_stateEbbT6_jjT7_P12ihipStream_tbENKUlT_T0_SG_SL_E_clIS9_SA_SB_SB_EEDaSZ_S10_SG_SL_EUlSZ_E_NS1_11comp_targetILNS1_3genE8ELNS1_11target_archE1030ELNS1_3gpuE2ELNS1_3repE0EEENS1_47radix_sort_onesweep_sort_config_static_selectorELNS0_4arch9wavefront6targetE0EEEvSG_.uses_flat_scratch, 0
	.set _ZN7rocprim17ROCPRIM_400000_NS6detail17trampoline_kernelINS0_14default_configENS1_35radix_sort_onesweep_config_selectorIlNS0_10empty_typeEEEZZNS1_29radix_sort_onesweep_iterationIS3_Lb1EPKlPlPS5_SB_mNS0_19identity_decomposerENS1_16block_id_wrapperIjLb1EEEEE10hipError_tT1_PNSt15iterator_traitsISG_E10value_typeET2_T3_PNSH_ISM_E10value_typeET4_T5_PSR_SS_PNS1_23onesweep_lookback_stateEbbT6_jjT7_P12ihipStream_tbENKUlT_T0_SG_SL_E_clIS9_SA_SB_SB_EEDaSZ_S10_SG_SL_EUlSZ_E_NS1_11comp_targetILNS1_3genE8ELNS1_11target_archE1030ELNS1_3gpuE2ELNS1_3repE0EEENS1_47radix_sort_onesweep_sort_config_static_selectorELNS0_4arch9wavefront6targetE0EEEvSG_.has_dyn_sized_stack, 0
	.set _ZN7rocprim17ROCPRIM_400000_NS6detail17trampoline_kernelINS0_14default_configENS1_35radix_sort_onesweep_config_selectorIlNS0_10empty_typeEEEZZNS1_29radix_sort_onesweep_iterationIS3_Lb1EPKlPlPS5_SB_mNS0_19identity_decomposerENS1_16block_id_wrapperIjLb1EEEEE10hipError_tT1_PNSt15iterator_traitsISG_E10value_typeET2_T3_PNSH_ISM_E10value_typeET4_T5_PSR_SS_PNS1_23onesweep_lookback_stateEbbT6_jjT7_P12ihipStream_tbENKUlT_T0_SG_SL_E_clIS9_SA_SB_SB_EEDaSZ_S10_SG_SL_EUlSZ_E_NS1_11comp_targetILNS1_3genE8ELNS1_11target_archE1030ELNS1_3gpuE2ELNS1_3repE0EEENS1_47radix_sort_onesweep_sort_config_static_selectorELNS0_4arch9wavefront6targetE0EEEvSG_.has_recursion, 0
	.set _ZN7rocprim17ROCPRIM_400000_NS6detail17trampoline_kernelINS0_14default_configENS1_35radix_sort_onesweep_config_selectorIlNS0_10empty_typeEEEZZNS1_29radix_sort_onesweep_iterationIS3_Lb1EPKlPlPS5_SB_mNS0_19identity_decomposerENS1_16block_id_wrapperIjLb1EEEEE10hipError_tT1_PNSt15iterator_traitsISG_E10value_typeET2_T3_PNSH_ISM_E10value_typeET4_T5_PSR_SS_PNS1_23onesweep_lookback_stateEbbT6_jjT7_P12ihipStream_tbENKUlT_T0_SG_SL_E_clIS9_SA_SB_SB_EEDaSZ_S10_SG_SL_EUlSZ_E_NS1_11comp_targetILNS1_3genE8ELNS1_11target_archE1030ELNS1_3gpuE2ELNS1_3repE0EEENS1_47radix_sort_onesweep_sort_config_static_selectorELNS0_4arch9wavefront6targetE0EEEvSG_.has_indirect_call, 0
	.section	.AMDGPU.csdata,"",@progbits
; Kernel info:
; codeLenInByte = 0
; TotalNumSgprs: 0
; NumVgprs: 0
; ScratchSize: 0
; MemoryBound: 0
; FloatMode: 240
; IeeeMode: 1
; LDSByteSize: 0 bytes/workgroup (compile time only)
; SGPRBlocks: 0
; VGPRBlocks: 0
; NumSGPRsForWavesPerEU: 1
; NumVGPRsForWavesPerEU: 1
; NamedBarCnt: 0
; Occupancy: 16
; WaveLimiterHint : 0
; COMPUTE_PGM_RSRC2:SCRATCH_EN: 0
; COMPUTE_PGM_RSRC2:USER_SGPR: 2
; COMPUTE_PGM_RSRC2:TRAP_HANDLER: 0
; COMPUTE_PGM_RSRC2:TGID_X_EN: 1
; COMPUTE_PGM_RSRC2:TGID_Y_EN: 0
; COMPUTE_PGM_RSRC2:TGID_Z_EN: 0
; COMPUTE_PGM_RSRC2:TIDIG_COMP_CNT: 0
	.section	.text._ZN7rocprim17ROCPRIM_400000_NS6detail17trampoline_kernelINS0_14default_configENS1_35radix_sort_onesweep_config_selectorIlNS0_10empty_typeEEEZZNS1_29radix_sort_onesweep_iterationIS3_Lb1EPKlPlPS5_SB_mNS0_19identity_decomposerENS1_16block_id_wrapperIjLb1EEEEE10hipError_tT1_PNSt15iterator_traitsISG_E10value_typeET2_T3_PNSH_ISM_E10value_typeET4_T5_PSR_SS_PNS1_23onesweep_lookback_stateEbbT6_jjT7_P12ihipStream_tbENKUlT_T0_SG_SL_E_clISA_SA_SB_SB_EEDaSZ_S10_SG_SL_EUlSZ_E_NS1_11comp_targetILNS1_3genE0ELNS1_11target_archE4294967295ELNS1_3gpuE0ELNS1_3repE0EEENS1_47radix_sort_onesweep_sort_config_static_selectorELNS0_4arch9wavefront6targetE0EEEvSG_,"axG",@progbits,_ZN7rocprim17ROCPRIM_400000_NS6detail17trampoline_kernelINS0_14default_configENS1_35radix_sort_onesweep_config_selectorIlNS0_10empty_typeEEEZZNS1_29radix_sort_onesweep_iterationIS3_Lb1EPKlPlPS5_SB_mNS0_19identity_decomposerENS1_16block_id_wrapperIjLb1EEEEE10hipError_tT1_PNSt15iterator_traitsISG_E10value_typeET2_T3_PNSH_ISM_E10value_typeET4_T5_PSR_SS_PNS1_23onesweep_lookback_stateEbbT6_jjT7_P12ihipStream_tbENKUlT_T0_SG_SL_E_clISA_SA_SB_SB_EEDaSZ_S10_SG_SL_EUlSZ_E_NS1_11comp_targetILNS1_3genE0ELNS1_11target_archE4294967295ELNS1_3gpuE0ELNS1_3repE0EEENS1_47radix_sort_onesweep_sort_config_static_selectorELNS0_4arch9wavefront6targetE0EEEvSG_,comdat
	.protected	_ZN7rocprim17ROCPRIM_400000_NS6detail17trampoline_kernelINS0_14default_configENS1_35radix_sort_onesweep_config_selectorIlNS0_10empty_typeEEEZZNS1_29radix_sort_onesweep_iterationIS3_Lb1EPKlPlPS5_SB_mNS0_19identity_decomposerENS1_16block_id_wrapperIjLb1EEEEE10hipError_tT1_PNSt15iterator_traitsISG_E10value_typeET2_T3_PNSH_ISM_E10value_typeET4_T5_PSR_SS_PNS1_23onesweep_lookback_stateEbbT6_jjT7_P12ihipStream_tbENKUlT_T0_SG_SL_E_clISA_SA_SB_SB_EEDaSZ_S10_SG_SL_EUlSZ_E_NS1_11comp_targetILNS1_3genE0ELNS1_11target_archE4294967295ELNS1_3gpuE0ELNS1_3repE0EEENS1_47radix_sort_onesweep_sort_config_static_selectorELNS0_4arch9wavefront6targetE0EEEvSG_ ; -- Begin function _ZN7rocprim17ROCPRIM_400000_NS6detail17trampoline_kernelINS0_14default_configENS1_35radix_sort_onesweep_config_selectorIlNS0_10empty_typeEEEZZNS1_29radix_sort_onesweep_iterationIS3_Lb1EPKlPlPS5_SB_mNS0_19identity_decomposerENS1_16block_id_wrapperIjLb1EEEEE10hipError_tT1_PNSt15iterator_traitsISG_E10value_typeET2_T3_PNSH_ISM_E10value_typeET4_T5_PSR_SS_PNS1_23onesweep_lookback_stateEbbT6_jjT7_P12ihipStream_tbENKUlT_T0_SG_SL_E_clISA_SA_SB_SB_EEDaSZ_S10_SG_SL_EUlSZ_E_NS1_11comp_targetILNS1_3genE0ELNS1_11target_archE4294967295ELNS1_3gpuE0ELNS1_3repE0EEENS1_47radix_sort_onesweep_sort_config_static_selectorELNS0_4arch9wavefront6targetE0EEEvSG_
	.globl	_ZN7rocprim17ROCPRIM_400000_NS6detail17trampoline_kernelINS0_14default_configENS1_35radix_sort_onesweep_config_selectorIlNS0_10empty_typeEEEZZNS1_29radix_sort_onesweep_iterationIS3_Lb1EPKlPlPS5_SB_mNS0_19identity_decomposerENS1_16block_id_wrapperIjLb1EEEEE10hipError_tT1_PNSt15iterator_traitsISG_E10value_typeET2_T3_PNSH_ISM_E10value_typeET4_T5_PSR_SS_PNS1_23onesweep_lookback_stateEbbT6_jjT7_P12ihipStream_tbENKUlT_T0_SG_SL_E_clISA_SA_SB_SB_EEDaSZ_S10_SG_SL_EUlSZ_E_NS1_11comp_targetILNS1_3genE0ELNS1_11target_archE4294967295ELNS1_3gpuE0ELNS1_3repE0EEENS1_47radix_sort_onesweep_sort_config_static_selectorELNS0_4arch9wavefront6targetE0EEEvSG_
	.p2align	8
	.type	_ZN7rocprim17ROCPRIM_400000_NS6detail17trampoline_kernelINS0_14default_configENS1_35radix_sort_onesweep_config_selectorIlNS0_10empty_typeEEEZZNS1_29radix_sort_onesweep_iterationIS3_Lb1EPKlPlPS5_SB_mNS0_19identity_decomposerENS1_16block_id_wrapperIjLb1EEEEE10hipError_tT1_PNSt15iterator_traitsISG_E10value_typeET2_T3_PNSH_ISM_E10value_typeET4_T5_PSR_SS_PNS1_23onesweep_lookback_stateEbbT6_jjT7_P12ihipStream_tbENKUlT_T0_SG_SL_E_clISA_SA_SB_SB_EEDaSZ_S10_SG_SL_EUlSZ_E_NS1_11comp_targetILNS1_3genE0ELNS1_11target_archE4294967295ELNS1_3gpuE0ELNS1_3repE0EEENS1_47radix_sort_onesweep_sort_config_static_selectorELNS0_4arch9wavefront6targetE0EEEvSG_,@function
_ZN7rocprim17ROCPRIM_400000_NS6detail17trampoline_kernelINS0_14default_configENS1_35radix_sort_onesweep_config_selectorIlNS0_10empty_typeEEEZZNS1_29radix_sort_onesweep_iterationIS3_Lb1EPKlPlPS5_SB_mNS0_19identity_decomposerENS1_16block_id_wrapperIjLb1EEEEE10hipError_tT1_PNSt15iterator_traitsISG_E10value_typeET2_T3_PNSH_ISM_E10value_typeET4_T5_PSR_SS_PNS1_23onesweep_lookback_stateEbbT6_jjT7_P12ihipStream_tbENKUlT_T0_SG_SL_E_clISA_SA_SB_SB_EEDaSZ_S10_SG_SL_EUlSZ_E_NS1_11comp_targetILNS1_3genE0ELNS1_11target_archE4294967295ELNS1_3gpuE0ELNS1_3repE0EEENS1_47radix_sort_onesweep_sort_config_static_selectorELNS0_4arch9wavefront6targetE0EEEvSG_: ; @_ZN7rocprim17ROCPRIM_400000_NS6detail17trampoline_kernelINS0_14default_configENS1_35radix_sort_onesweep_config_selectorIlNS0_10empty_typeEEEZZNS1_29radix_sort_onesweep_iterationIS3_Lb1EPKlPlPS5_SB_mNS0_19identity_decomposerENS1_16block_id_wrapperIjLb1EEEEE10hipError_tT1_PNSt15iterator_traitsISG_E10value_typeET2_T3_PNSH_ISM_E10value_typeET4_T5_PSR_SS_PNS1_23onesweep_lookback_stateEbbT6_jjT7_P12ihipStream_tbENKUlT_T0_SG_SL_E_clISA_SA_SB_SB_EEDaSZ_S10_SG_SL_EUlSZ_E_NS1_11comp_targetILNS1_3genE0ELNS1_11target_archE4294967295ELNS1_3gpuE0ELNS1_3repE0EEENS1_47radix_sort_onesweep_sort_config_static_selectorELNS0_4arch9wavefront6targetE0EEEvSG_
; %bb.0:
	s_clause 0x1
	s_load_b128 s[8:11], s[0:1], 0x28
	s_load_b64 s[20:21], s[0:1], 0x38
	v_and_b32_e32 v32, 0x3ff, v0
	s_delay_alu instid0(VALU_DEP_1)
	v_cmp_eq_u32_e64 s2, 0, v32
	s_and_saveexec_b32 s3, s2
	s_cbranch_execz .LBB1105_4
; %bb.1:
	s_mov_b32 s5, exec_lo
	s_mov_b32 s4, exec_lo
	v_mbcnt_lo_u32_b32 v1, s5, 0
                                        ; implicit-def: $vgpr2
	s_delay_alu instid0(VALU_DEP_1)
	v_cmpx_eq_u32_e32 0, v1
	s_cbranch_execz .LBB1105_3
; %bb.2:
	s_load_b64 s[6:7], s[0:1], 0x50
	s_bcnt1_i32_b32 s5, s5
	s_delay_alu instid0(SALU_CYCLE_1)
	v_dual_mov_b32 v2, 0 :: v_dual_mov_b32 v3, s5
	s_wait_xcnt 0x0
	s_wait_kmcnt 0x0
	global_atomic_add_u32 v2, v2, v3, s[6:7] th:TH_ATOMIC_RETURN scope:SCOPE_DEV
.LBB1105_3:
	s_wait_xcnt 0x0
	s_or_b32 exec_lo, exec_lo, s4
	s_wait_loadcnt 0x0
	v_readfirstlane_b32 s4, v2
	s_delay_alu instid0(VALU_DEP_1)
	v_dual_mov_b32 v2, 0 :: v_dual_add_nc_u32 v1, s4, v1
	ds_store_b32 v2, v1 offset:18496
.LBB1105_4:
	s_or_b32 exec_lo, exec_lo, s3
	v_dual_mov_b32 v7, 0 :: v_dual_lshlrev_b32 v2, 3, v32
	s_clause 0x2
	s_load_b128 s[12:15], s[0:1], 0x0
	s_load_b32 s3, s[0:1], 0x20
	s_load_b96 s[16:18], s[0:1], 0x44
	s_wait_dscnt 0x0
	s_barrier_signal -1
	s_barrier_wait -1
	ds_load_b32 v1, v7 offset:18496
	v_mbcnt_lo_u32_b32 v33, -1, 0
	s_mov_b32 s4, -1
	s_add_nc_u64 s[22:23], s[0:1], 0x58
	s_getreg_b32 s7, hwreg(HW_REG_IB_STS2, 6, 4)
	s_wait_dscnt 0x0
	s_barrier_signal -1
	s_barrier_wait -1
	s_wait_kmcnt 0x0
	v_cmp_le_u32_e32 vcc_lo, s18, v1
	v_readfirstlane_b32 s19, v1
	s_cbranch_vccz .LBB1105_70
; %bb.5:
	s_lshl_b32 s4, s19, 12
	s_mov_b32 s5, 0
	v_lshlrev_b32_e32 v6, 3, v33
	s_lshl_b64 s[4:5], s[4:5], 3
	v_and_b32_e32 v1, 0x1f00, v2
	s_add_nc_u64 s[4:5], s[12:13], s[4:5]
	v_mov_b64_e32 v[4:5], -1
	v_add_nc_u64_e32 v[8:9], s[4:5], v[6:7]
	s_lshl_b32 s4, s18, 12
	v_dual_lshlrev_b32 v6, 3, v1 :: v_dual_bitop2_b32 v1, v33, v1 bitop3:0x54
	s_sub_co_i32 s18, s3, s4
	s_mov_b32 s3, exec_lo
	s_delay_alu instid0(VALU_DEP_1)
	v_add_nc_u64_e32 v[20:21], v[8:9], v[6:7]
	v_mov_b64_e32 v[6:7], -1
	v_cmpx_gt_u32_e64 s18, v1
	s_cbranch_execz .LBB1105_7
; %bb.6:
	global_load_b64 v[6:7], v[20:21], off
	s_wait_loadcnt 0x0
	v_xor_b32_e32 v7, 0x7fffffff, v7
	v_not_b32_e32 v6, v6
.LBB1105_7:
	s_or_b32 exec_lo, exec_lo, s3
	v_or_b32_e32 v3, 32, v1
	s_mov_b32 s3, exec_lo
	s_delay_alu instid0(VALU_DEP_1)
	v_cmpx_gt_u32_e64 s18, v3
	s_cbranch_execz .LBB1105_9
; %bb.8:
	global_load_b64 v[4:5], v[20:21], off offset:256
	s_wait_loadcnt 0x0
	v_xor_b32_e32 v5, 0x7fffffff, v5
	v_not_b32_e32 v4, v4
.LBB1105_9:
	s_or_b32 exec_lo, exec_lo, s3
	v_mov_b64_e32 v[8:9], -1
	v_mov_b64_e32 v[10:11], -1
	v_or_b32_e32 v3, 64, v1
	s_mov_b32 s3, exec_lo
	s_delay_alu instid0(VALU_DEP_1)
	v_cmpx_gt_u32_e64 s18, v3
	s_cbranch_execz .LBB1105_11
; %bb.10:
	global_load_b64 v[10:11], v[20:21], off offset:512
	s_wait_loadcnt 0x0
	v_xor_b32_e32 v11, 0x7fffffff, v11
	v_not_b32_e32 v10, v10
.LBB1105_11:
	s_or_b32 exec_lo, exec_lo, s3
	v_or_b32_e32 v3, 0x60, v1
	s_mov_b32 s3, exec_lo
	s_delay_alu instid0(VALU_DEP_1)
	v_cmpx_gt_u32_e64 s18, v3
	s_cbranch_execz .LBB1105_13
; %bb.12:
	global_load_b64 v[8:9], v[20:21], off offset:768
	s_wait_loadcnt 0x0
	v_xor_b32_e32 v9, 0x7fffffff, v9
	v_not_b32_e32 v8, v8
.LBB1105_13:
	s_or_b32 exec_lo, exec_lo, s3
	v_mov_b64_e32 v[12:13], -1
	v_mov_b64_e32 v[14:15], -1
	v_or_b32_e32 v3, 0x80, v1
	s_mov_b32 s3, exec_lo
	s_delay_alu instid0(VALU_DEP_1)
	v_cmpx_gt_u32_e64 s18, v3
	s_cbranch_execz .LBB1105_15
; %bb.14:
	global_load_b64 v[14:15], v[20:21], off offset:1024
	s_wait_loadcnt 0x0
	v_xor_b32_e32 v15, 0x7fffffff, v15
	v_not_b32_e32 v14, v14
.LBB1105_15:
	s_or_b32 exec_lo, exec_lo, s3
	v_or_b32_e32 v3, 0xa0, v1
	s_mov_b32 s3, exec_lo
	s_delay_alu instid0(VALU_DEP_1)
	v_cmpx_gt_u32_e64 s18, v3
	s_cbranch_execz .LBB1105_17
; %bb.16:
	global_load_b64 v[12:13], v[20:21], off offset:1280
	s_wait_loadcnt 0x0
	v_xor_b32_e32 v13, 0x7fffffff, v13
	v_not_b32_e32 v12, v12
.LBB1105_17:
	s_or_b32 exec_lo, exec_lo, s3
	v_mov_b64_e32 v[16:17], -1
	v_mov_b64_e32 v[18:19], -1
	v_or_b32_e32 v3, 0xc0, v1
	s_mov_b32 s3, exec_lo
	s_delay_alu instid0(VALU_DEP_1)
	v_cmpx_gt_u32_e64 s18, v3
	s_cbranch_execz .LBB1105_19
; %bb.18:
	global_load_b64 v[18:19], v[20:21], off offset:1536
	s_wait_loadcnt 0x0
	v_xor_b32_e32 v19, 0x7fffffff, v19
	v_not_b32_e32 v18, v18
.LBB1105_19:
	s_or_b32 exec_lo, exec_lo, s3
	v_or_b32_e32 v1, 0xe0, v1
	s_mov_b32 s3, exec_lo
	s_delay_alu instid0(VALU_DEP_1)
	v_cmpx_gt_u32_e64 s18, v1
	s_cbranch_execz .LBB1105_21
; %bb.20:
	global_load_b64 v[16:17], v[20:21], off offset:1792
	s_wait_loadcnt 0x0
	v_xor_b32_e32 v17, 0x7fffffff, v17
	v_not_b32_e32 v16, v16
.LBB1105_21:
	s_or_b32 exec_lo, exec_lo, s3
	s_clause 0x1
	s_load_b32 s24, s[0:1], 0x58
	s_load_u16 s3, s[0:1], 0x66
	s_bfe_u32 s4, ttmp6, 0x4000c
	s_and_b32 s5, ttmp6, 15
	s_add_co_i32 s4, s4, 1
	v_lshrrev_b64 v[20:21], s16, v[6:7]
	s_mul_i32 s4, ttmp9, s4
	v_bfe_u32 v1, v0, 10, 10
	s_add_co_i32 s5, s5, s4
	s_cmp_eq_u32 s7, 0
	v_bfe_u32 v3, v0, 20, 10
	s_cselect_b32 s4, ttmp9, s5
	s_mov_b32 s5, 0
	s_wait_kmcnt 0x0
	s_cmp_lt_u32 s4, s24
	v_mad_u32_u24 v1, v3, s3, v1
	s_cselect_b32 s4, 12, 18
	s_lshl_b32 s25, -1, s17
	s_add_nc_u64 s[4:5], s[22:23], s[4:5]
	v_bitop3_b32 v3, v20, 1, s25 bitop3:0x40
	v_bitop3_b32 v22, v20, s25, v20 bitop3:0x30
	s_load_u16 s26, s[4:5], 0x0
	s_not_b32 s25, s25
	s_delay_alu instid0(VALU_DEP_2) | instskip(NEXT) | instid1(VALU_DEP_1)
	v_add_co_u32 v3, s3, v3, -1
	v_cndmask_b32_e64 v20, 0, 1, s3
	v_dual_lshlrev_b32 v21, 30, v22 :: v_dual_lshlrev_b32 v23, 29, v22
	v_dual_lshlrev_b32 v24, 28, v22 :: v_dual_lshlrev_b32 v25, 27, v22
	s_delay_alu instid0(VALU_DEP_3) | instskip(NEXT) | instid1(VALU_DEP_3)
	v_cmp_ne_u32_e32 vcc_lo, 0, v20
	v_not_b32_e32 v20, v21
	v_lshlrev_b32_e32 v28, 24, v22
	v_cmp_gt_i32_e64 s3, 0, v21
	s_wait_xcnt 0x0
	v_cmp_gt_i32_e64 s4, 0, v23
	v_not_b32_e32 v21, v23
	v_not_b32_e32 v23, v24
	v_dual_ashrrev_i32 v20, 31, v20 :: v_dual_lshlrev_b32 v26, 26, v22
	v_lshlrev_b32_e32 v27, 25, v22
	v_cmp_gt_i32_e64 s5, 0, v24
	v_dual_ashrrev_i32 v21, 31, v21 :: v_dual_bitop2_b32 v3, vcc_lo, v3 bitop3:0x14
	s_delay_alu instid0(VALU_DEP_4)
	v_dual_ashrrev_i32 v23, 31, v23 :: v_dual_bitop2_b32 v20, s3, v20 bitop3:0x14
	v_cmp_gt_i32_e64 s6, 0, v25
	v_not_b32_e32 v24, v25
	v_not_b32_e32 v25, v26
	v_xor_b32_e32 v21, s4, v21
	v_xor_b32_e32 v23, s5, v23
	v_bitop3_b32 v3, v3, v20, exec_lo bitop3:0x80
	s_wait_kmcnt 0x0
	v_mad_u32 v1, v1, s26, v32
	v_cmp_gt_i32_e32 vcc_lo, 0, v26
	v_dual_ashrrev_i32 v20, 31, v24 :: v_dual_ashrrev_i32 v24, 31, v25
	v_not_b32_e32 v25, v27
	v_bitop3_b32 v21, v3, v23, v21 bitop3:0x80
	v_not_b32_e32 v3, v28
	s_delay_alu instid0(VALU_DEP_4)
	v_xor_b32_e32 v20, s6, v20
	v_xor_b32_e32 v23, vcc_lo, v24
	v_cmp_gt_i32_e32 vcc_lo, 0, v27
	v_ashrrev_i32_e32 v24, 31, v25
	v_cmp_gt_i32_e64 s3, 0, v28
	v_dual_ashrrev_i32 v25, 31, v3 :: v_dual_lshrrev_b32 v1, 5, v1
	v_bitop3_b32 v21, v21, v23, v20 bitop3:0x80
	s_delay_alu instid0(VALU_DEP_4) | instskip(SKIP_1) | instid1(VALU_DEP_4)
	v_xor_b32_e32 v23, vcc_lo, v24
	v_mul_u32_u24_e32 v3, 36, v32
	v_dual_mov_b32 v25, 0 :: v_dual_bitop2_b32 v24, s3, v25 bitop3:0x14
	v_lshlrev_b32_e32 v20, 2, v1
	ds_store_2addr_b32 v3, v25, v25 offset0:16 offset1:17
	ds_store_2addr_b32 v3, v25, v25 offset0:18 offset1:19
	;; [unrolled: 1-line block ×4, first 2 shown]
	v_bitop3_b32 v21, v21, v24, v23 bitop3:0x80
	v_mad_u32 v28, 0x44, v22, v20
	ds_store_b32 v3, v25 offset:96
	s_wait_dscnt 0x0
	s_barrier_signal -1
	v_mbcnt_lo_u32_b32 v1, v21, 0
	v_cmp_ne_u32_e64 s3, 0, v21
	s_barrier_wait -1
	s_delay_alu instid0(VALU_DEP_2) | instskip(SKIP_1) | instid1(SALU_CYCLE_1)
	v_cmp_eq_u32_e32 vcc_lo, 0, v1
	; wave barrier
	s_and_b32 s4, s3, vcc_lo
	s_and_saveexec_b32 s3, s4
; %bb.22:
	v_bcnt_u32_b32 v21, v21, 0
	ds_store_b32 v28, v21 offset:64
; %bb.23:
	s_or_b32 exec_lo, exec_lo, s3
	v_lshrrev_b64 v[22:23], s16, v[4:5]
	; wave barrier
	s_delay_alu instid0(VALU_DEP_1) | instskip(SKIP_1) | instid1(VALU_DEP_2)
	v_and_b32_e32 v21, s25, v22
	v_bitop3_b32 v22, v22, 1, s25 bitop3:0x80
	v_lshlrev_b32_e32 v24, 30, v21
	s_delay_alu instid0(VALU_DEP_2) | instskip(NEXT) | instid1(VALU_DEP_1)
	v_add_co_u32 v22, s3, v22, -1
	v_cndmask_b32_e64 v23, 0, 1, s3
	s_delay_alu instid0(VALU_DEP_1) | instskip(NEXT) | instid1(VALU_DEP_4)
	v_cmp_ne_u32_e32 vcc_lo, 0, v23
	v_not_b32_e32 v23, v24
	s_delay_alu instid0(VALU_DEP_1) | instskip(SKIP_4) | instid1(VALU_DEP_4)
	v_dual_ashrrev_i32 v23, 31, v23 :: v_dual_bitop2_b32 v22, vcc_lo, v22 bitop3:0x14
	v_dual_lshlrev_b32 v25, 29, v21 :: v_dual_lshlrev_b32 v26, 28, v21
	v_lshlrev_b32_e32 v27, 27, v21
	v_cmp_gt_i32_e64 s3, 0, v24
	v_mad_u32 v29, 0x44, v21, v20
	v_cmp_gt_i32_e64 s4, 0, v25
	v_not_b32_e32 v24, v25
	v_not_b32_e32 v25, v26
	v_dual_lshlrev_b32 v30, 26, v21 :: v_dual_lshlrev_b32 v31, 25, v21
	v_lshlrev_b32_e32 v21, 24, v21
	v_cmp_gt_i32_e64 s5, 0, v26
	v_not_b32_e32 v26, v27
	v_dual_ashrrev_i32 v24, 31, v24 :: v_dual_ashrrev_i32 v25, 31, v25
	v_xor_b32_e32 v23, s3, v23
	v_cmp_gt_i32_e64 s6, 0, v27
	v_not_b32_e32 v27, v30
	s_delay_alu instid0(VALU_DEP_4)
	v_dual_ashrrev_i32 v26, 31, v26 :: v_dual_bitop2_b32 v24, s4, v24 bitop3:0x14
	v_xor_b32_e32 v25, s5, v25
	v_bitop3_b32 v22, v22, v23, exec_lo bitop3:0x80
	v_cmp_gt_i32_e32 vcc_lo, 0, v30
	v_ashrrev_i32_e32 v23, 31, v27
	v_not_b32_e32 v27, v31
	v_xor_b32_e32 v26, s6, v26
	v_bitop3_b32 v22, v22, v25, v24 bitop3:0x80
	v_not_b32_e32 v24, v21
	v_xor_b32_e32 v23, vcc_lo, v23
	v_cmp_gt_i32_e32 vcc_lo, 0, v31
	v_ashrrev_i32_e32 v25, 31, v27
	v_cmp_gt_i32_e64 s3, 0, v21
	v_ashrrev_i32_e32 v21, 31, v24
	v_bitop3_b32 v22, v22, v23, v26 bitop3:0x80
	ds_load_b32 v34, v29 offset:64
	v_xor_b32_e32 v23, vcc_lo, v25
	v_xor_b32_e32 v21, s3, v21
	; wave barrier
	s_delay_alu instid0(VALU_DEP_1) | instskip(NEXT) | instid1(VALU_DEP_1)
	v_bitop3_b32 v21, v22, v21, v23 bitop3:0x80
	v_mbcnt_lo_u32_b32 v35, v21, 0
	v_cmp_ne_u32_e64 s3, 0, v21
	s_delay_alu instid0(VALU_DEP_2) | instskip(SKIP_1) | instid1(SALU_CYCLE_1)
	v_cmp_eq_u32_e32 vcc_lo, 0, v35
	s_and_b32 s4, s3, vcc_lo
	s_and_saveexec_b32 s3, s4
	s_cbranch_execz .LBB1105_25
; %bb.24:
	s_wait_dscnt 0x0
	v_bcnt_u32_b32 v21, v21, v34
	ds_store_b32 v29, v21 offset:64
.LBB1105_25:
	s_or_b32 exec_lo, exec_lo, s3
	v_lshrrev_b64 v[22:23], s16, v[10:11]
	; wave barrier
	s_delay_alu instid0(VALU_DEP_1) | instskip(SKIP_1) | instid1(VALU_DEP_2)
	v_and_b32_e32 v21, s25, v22
	v_bitop3_b32 v22, v22, 1, s25 bitop3:0x80
	v_lshlrev_b32_e32 v24, 30, v21
	s_delay_alu instid0(VALU_DEP_2) | instskip(NEXT) | instid1(VALU_DEP_1)
	v_add_co_u32 v22, s3, v22, -1
	v_cndmask_b32_e64 v23, 0, 1, s3
	s_delay_alu instid0(VALU_DEP_1) | instskip(NEXT) | instid1(VALU_DEP_4)
	v_cmp_ne_u32_e32 vcc_lo, 0, v23
	v_not_b32_e32 v23, v24
	s_delay_alu instid0(VALU_DEP_1) | instskip(SKIP_4) | instid1(VALU_DEP_4)
	v_dual_ashrrev_i32 v23, 31, v23 :: v_dual_bitop2_b32 v22, vcc_lo, v22 bitop3:0x14
	v_dual_lshlrev_b32 v25, 29, v21 :: v_dual_lshlrev_b32 v26, 28, v21
	v_lshlrev_b32_e32 v27, 27, v21
	v_cmp_gt_i32_e64 s3, 0, v24
	v_mad_u32 v30, 0x44, v21, v20
	v_cmp_gt_i32_e64 s4, 0, v25
	v_not_b32_e32 v24, v25
	v_not_b32_e32 v25, v26
	v_dual_lshlrev_b32 v31, 26, v21 :: v_dual_lshlrev_b32 v36, 25, v21
	v_lshlrev_b32_e32 v21, 24, v21
	v_cmp_gt_i32_e64 s5, 0, v26
	v_not_b32_e32 v26, v27
	v_dual_ashrrev_i32 v24, 31, v24 :: v_dual_ashrrev_i32 v25, 31, v25
	v_xor_b32_e32 v23, s3, v23
	v_cmp_gt_i32_e64 s6, 0, v27
	v_not_b32_e32 v27, v31
	s_delay_alu instid0(VALU_DEP_4)
	v_dual_ashrrev_i32 v26, 31, v26 :: v_dual_bitop2_b32 v24, s4, v24 bitop3:0x14
	v_xor_b32_e32 v25, s5, v25
	v_bitop3_b32 v22, v22, v23, exec_lo bitop3:0x80
	v_cmp_gt_i32_e32 vcc_lo, 0, v31
	v_ashrrev_i32_e32 v23, 31, v27
	v_not_b32_e32 v27, v36
	v_xor_b32_e32 v26, s6, v26
	v_bitop3_b32 v22, v22, v25, v24 bitop3:0x80
	v_not_b32_e32 v24, v21
	v_xor_b32_e32 v23, vcc_lo, v23
	v_cmp_gt_i32_e32 vcc_lo, 0, v36
	v_ashrrev_i32_e32 v25, 31, v27
	v_cmp_gt_i32_e64 s3, 0, v21
	v_ashrrev_i32_e32 v21, 31, v24
	v_bitop3_b32 v22, v22, v23, v26 bitop3:0x80
	ds_load_b32 v36, v30 offset:64
	v_xor_b32_e32 v23, vcc_lo, v25
	v_xor_b32_e32 v21, s3, v21
	; wave barrier
	s_delay_alu instid0(VALU_DEP_1) | instskip(NEXT) | instid1(VALU_DEP_1)
	v_bitop3_b32 v21, v22, v21, v23 bitop3:0x80
	v_mbcnt_lo_u32_b32 v37, v21, 0
	v_cmp_ne_u32_e64 s3, 0, v21
	s_delay_alu instid0(VALU_DEP_2) | instskip(SKIP_1) | instid1(SALU_CYCLE_1)
	v_cmp_eq_u32_e32 vcc_lo, 0, v37
	s_and_b32 s4, s3, vcc_lo
	s_and_saveexec_b32 s3, s4
	s_cbranch_execz .LBB1105_27
; %bb.26:
	s_wait_dscnt 0x0
	v_bcnt_u32_b32 v21, v21, v36
	ds_store_b32 v30, v21 offset:64
.LBB1105_27:
	;; [unrolled: 64-line block ×6, first 2 shown]
	s_or_b32 exec_lo, exec_lo, s3
	v_lshrrev_b64 v[22:23], s16, v[16:17]
	; wave barrier
	s_delay_alu instid0(VALU_DEP_1) | instskip(SKIP_1) | instid1(VALU_DEP_2)
	v_and_b32_e32 v21, s25, v22
	v_bitop3_b32 v22, v22, 1, s25 bitop3:0x80
	v_mad_u32 v51, 0x44, v21, v20
	s_delay_alu instid0(VALU_DEP_2) | instskip(NEXT) | instid1(VALU_DEP_1)
	v_add_co_u32 v20, s3, v22, -1
	v_cndmask_b32_e64 v22, 0, 1, s3
	v_lshlrev_b32_e32 v23, 30, v21
	s_delay_alu instid0(VALU_DEP_2) | instskip(NEXT) | instid1(VALU_DEP_2)
	v_cmp_ne_u32_e32 vcc_lo, 0, v22
	v_not_b32_e32 v22, v23
	s_delay_alu instid0(VALU_DEP_1) | instskip(SKIP_4) | instid1(VALU_DEP_4)
	v_dual_ashrrev_i32 v22, 31, v22 :: v_dual_bitop2_b32 v20, vcc_lo, v20 bitop3:0x14
	v_dual_lshlrev_b32 v24, 29, v21 :: v_dual_lshlrev_b32 v25, 28, v21
	v_lshlrev_b32_e32 v26, 27, v21
	v_cmp_gt_i32_e64 s3, 0, v23
	v_dual_lshlrev_b32 v27, 26, v21 :: v_dual_lshlrev_b32 v49, 25, v21
	v_cmp_gt_i32_e64 s4, 0, v24
	v_not_b32_e32 v23, v24
	v_not_b32_e32 v24, v25
	v_lshlrev_b32_e32 v21, 24, v21
	v_cmp_gt_i32_e64 s5, 0, v25
	v_not_b32_e32 v25, v26
	s_delay_alu instid0(VALU_DEP_4) | instskip(SKIP_3) | instid1(VALU_DEP_4)
	v_dual_ashrrev_i32 v23, 31, v23 :: v_dual_ashrrev_i32 v24, 31, v24
	v_xor_b32_e32 v22, s3, v22
	v_cmp_gt_i32_e64 s6, 0, v26
	v_not_b32_e32 v26, v27
	v_dual_ashrrev_i32 v25, 31, v25 :: v_dual_bitop2_b32 v23, s4, v23 bitop3:0x14
	v_xor_b32_e32 v24, s5, v24
	v_bitop3_b32 v20, v20, v22, exec_lo bitop3:0x80
	v_cmp_gt_i32_e32 vcc_lo, 0, v27
	v_ashrrev_i32_e32 v22, 31, v26
	v_not_b32_e32 v26, v49
	v_xor_b32_e32 v25, s6, v25
	v_bitop3_b32 v20, v20, v24, v23 bitop3:0x80
	v_not_b32_e32 v23, v21
	v_xor_b32_e32 v22, vcc_lo, v22
	v_cmp_gt_i32_e32 vcc_lo, 0, v49
	v_ashrrev_i32_e32 v24, 31, v26
	v_cmp_gt_i32_e64 s3, 0, v21
	v_ashrrev_i32_e32 v21, 31, v23
	v_bitop3_b32 v20, v20, v22, v25 bitop3:0x80
	ds_load_b32 v49, v51 offset:64
	v_xor_b32_e32 v22, vcc_lo, v24
	v_xor_b32_e32 v21, s3, v21
	; wave barrier
	s_delay_alu instid0(VALU_DEP_1) | instskip(NEXT) | instid1(VALU_DEP_1)
	v_bitop3_b32 v20, v20, v21, v22 bitop3:0x80
	v_mbcnt_lo_u32_b32 v50, v20, 0
	v_cmp_ne_u32_e64 s3, 0, v20
	s_delay_alu instid0(VALU_DEP_2) | instskip(SKIP_1) | instid1(SALU_CYCLE_1)
	v_cmp_eq_u32_e32 vcc_lo, 0, v50
	s_and_b32 s4, s3, vcc_lo
	s_and_saveexec_b32 s3, s4
	s_cbranch_execz .LBB1105_37
; %bb.36:
	s_wait_dscnt 0x0
	v_bcnt_u32_b32 v20, v20, v49
	ds_store_b32 v51, v20 offset:64
.LBB1105_37:
	s_or_b32 exec_lo, exec_lo, s3
	; wave barrier
	s_wait_dscnt 0x0
	s_barrier_signal -1
	s_barrier_wait -1
	ds_load_2addr_b32 v[26:27], v3 offset0:16 offset1:17
	ds_load_2addr_b32 v[24:25], v3 offset0:18 offset1:19
	;; [unrolled: 1-line block ×4, first 2 shown]
	ds_load_b32 v52, v3 offset:96
	v_bfe_i32 v55, v33, 4, 1
	s_mov_b32 s26, exec_lo
	s_wait_dscnt 0x3
	v_add3_u32 v53, v27, v26, v24
	s_wait_dscnt 0x2
	s_delay_alu instid0(VALU_DEP_1) | instskip(SKIP_1) | instid1(VALU_DEP_1)
	v_add3_u32 v53, v53, v25, v22
	s_wait_dscnt 0x1
	v_add3_u32 v53, v53, v23, v20
	s_wait_dscnt 0x0
	s_delay_alu instid0(VALU_DEP_1) | instskip(SKIP_1) | instid1(VALU_DEP_2)
	v_add3_u32 v52, v53, v21, v52
	v_and_b32_e32 v53, 15, v33
	v_mov_b32_dpp v54, v52 row_shr:1 row_mask:0xf bank_mask:0xf
	s_delay_alu instid0(VALU_DEP_2) | instskip(NEXT) | instid1(VALU_DEP_2)
	v_cmp_eq_u32_e32 vcc_lo, 0, v53
	v_cndmask_b32_e64 v54, v54, 0, vcc_lo
	s_delay_alu instid0(VALU_DEP_1) | instskip(SKIP_3) | instid1(VALU_DEP_4)
	v_add_nc_u32_e32 v52, v54, v52
	v_cmp_lt_u32_e64 s3, 1, v53
	v_cmp_lt_u32_e64 s4, 3, v53
	;; [unrolled: 1-line block ×3, first 2 shown]
	v_mov_b32_dpp v54, v52 row_shr:2 row_mask:0xf bank_mask:0xf
	s_delay_alu instid0(VALU_DEP_1) | instskip(NEXT) | instid1(VALU_DEP_1)
	v_cndmask_b32_e64 v54, 0, v54, s3
	v_add_nc_u32_e32 v52, v52, v54
	s_delay_alu instid0(VALU_DEP_1) | instskip(NEXT) | instid1(VALU_DEP_1)
	v_mov_b32_dpp v54, v52 row_shr:4 row_mask:0xf bank_mask:0xf
	v_cndmask_b32_e64 v54, 0, v54, s4
	s_delay_alu instid0(VALU_DEP_1) | instskip(NEXT) | instid1(VALU_DEP_1)
	v_add_nc_u32_e32 v52, v52, v54
	v_mov_b32_dpp v54, v52 row_shr:8 row_mask:0xf bank_mask:0xf
	s_delay_alu instid0(VALU_DEP_1) | instskip(SKIP_1) | instid1(VALU_DEP_2)
	v_cndmask_b32_e64 v53, 0, v54, s5
	v_and_b32_e32 v54, 0x3e0, v32
	v_add_nc_u32_e32 v52, v52, v53
	s_delay_alu instid0(VALU_DEP_2) | instskip(SKIP_3) | instid1(VALU_DEP_1)
	v_min_u32_e32 v54, 0x1e0, v54
	ds_swizzle_b32 v53, v52 offset:swizzle(BROADCAST,32,15)
	s_wait_dscnt 0x0
	v_dual_lshrrev_b32 v53, 5, v32 :: v_dual_bitop2_b32 v55, v55, v53 bitop3:0x40
	v_dual_add_nc_u32 v52, v52, v55 :: v_dual_bitop2_b32 v54, 31, v54 bitop3:0x54
	s_delay_alu instid0(VALU_DEP_1)
	v_cmpx_eq_u32_e64 v32, v54
; %bb.38:
	s_delay_alu instid0(VALU_DEP_3)
	v_lshlrev_b32_e32 v54, 2, v53
	ds_store_b32 v54, v52
; %bb.39:
	s_or_b32 exec_lo, exec_lo, s26
	s_delay_alu instid0(SALU_CYCLE_1)
	s_mov_b32 s26, exec_lo
	s_wait_dscnt 0x0
	s_barrier_signal -1
	s_barrier_wait -1
	v_cmpx_gt_u32_e32 16, v32
	s_cbranch_execz .LBB1105_41
; %bb.40:
	v_lshlrev_b32_e32 v54, 2, v32
	ds_load_b32 v55, v54
	s_wait_dscnt 0x0
	v_mov_b32_dpp v56, v55 row_shr:1 row_mask:0xf bank_mask:0xf
	s_delay_alu instid0(VALU_DEP_1) | instskip(NEXT) | instid1(VALU_DEP_1)
	v_cndmask_b32_e64 v56, v56, 0, vcc_lo
	v_add_nc_u32_e32 v55, v56, v55
	s_delay_alu instid0(VALU_DEP_1) | instskip(NEXT) | instid1(VALU_DEP_1)
	v_mov_b32_dpp v56, v55 row_shr:2 row_mask:0xf bank_mask:0xf
	v_cndmask_b32_e64 v56, 0, v56, s3
	s_delay_alu instid0(VALU_DEP_1) | instskip(NEXT) | instid1(VALU_DEP_1)
	v_add_nc_u32_e32 v55, v55, v56
	v_mov_b32_dpp v56, v55 row_shr:4 row_mask:0xf bank_mask:0xf
	s_delay_alu instid0(VALU_DEP_1) | instskip(NEXT) | instid1(VALU_DEP_1)
	v_cndmask_b32_e64 v56, 0, v56, s4
	v_add_nc_u32_e32 v55, v55, v56
	s_delay_alu instid0(VALU_DEP_1) | instskip(NEXT) | instid1(VALU_DEP_1)
	v_mov_b32_dpp v56, v55 row_shr:8 row_mask:0xf bank_mask:0xf
	v_cndmask_b32_e64 v56, 0, v56, s5
	s_delay_alu instid0(VALU_DEP_1)
	v_add_nc_u32_e32 v55, v55, v56
	ds_store_b32 v54, v55
.LBB1105_41:
	s_or_b32 exec_lo, exec_lo, s26
	v_mov_b32_e32 v54, 0
	s_mov_b32 s3, exec_lo
	s_wait_dscnt 0x0
	s_barrier_signal -1
	s_barrier_wait -1
	v_cmpx_lt_u32_e32 31, v32
; %bb.42:
	v_lshl_add_u32 v53, v53, 2, -4
	ds_load_b32 v54, v53
; %bb.43:
	s_or_b32 exec_lo, exec_lo, s3
	v_sub_co_u32 v53, vcc_lo, v33, 1
	s_wait_dscnt 0x0
	v_add_nc_u32_e32 v52, v54, v52
	s_delay_alu instid0(VALU_DEP_2) | instskip(NEXT) | instid1(VALU_DEP_1)
	v_cmp_gt_i32_e64 s3, 0, v53
	v_cndmask_b32_e64 v53, v53, v33, s3
	v_cmp_lt_u32_e64 s3, 0xff, v32
	s_delay_alu instid0(VALU_DEP_2) | instskip(SKIP_4) | instid1(VALU_DEP_2)
	v_lshlrev_b32_e32 v53, 2, v53
	ds_bpermute_b32 v52, v53, v52
	s_wait_dscnt 0x0
	v_cndmask_b32_e32 v52, v52, v54, vcc_lo
	v_cmp_gt_u32_e32 vcc_lo, 0x100, v32
	v_cndmask_b32_e64 v52, v52, 0, s2
	s_delay_alu instid0(VALU_DEP_1) | instskip(NEXT) | instid1(VALU_DEP_1)
	v_add_nc_u32_e32 v26, v52, v26
	v_add_nc_u32_e32 v27, v26, v27
	s_delay_alu instid0(VALU_DEP_1) | instskip(NEXT) | instid1(VALU_DEP_1)
	v_add_nc_u32_e32 v24, v27, v24
	v_add_nc_u32_e32 v25, v24, v25
	;; [unrolled: 3-line block ×4, first 2 shown]
	ds_store_2addr_b32 v3, v52, v26 offset0:16 offset1:17
	ds_store_2addr_b32 v3, v27, v24 offset0:18 offset1:19
	;; [unrolled: 1-line block ×4, first 2 shown]
	ds_store_b32 v3, v21 offset:96
	s_wait_dscnt 0x0
	s_barrier_signal -1
	s_barrier_wait -1
	ds_load_b32 v54, v28 offset:64
	ds_load_b32 v23, v29 offset:64
	;; [unrolled: 1-line block ×8, first 2 shown]
	v_mov_b64_e32 v[20:21], 0
                                        ; implicit-def: $vgpr22
	s_and_saveexec_b32 s5, vcc_lo
	s_cbranch_execz .LBB1105_47
; %bb.44:
	v_mul_u32_u24_e32 v3, 0x44, v32
	v_add_nc_u32_e32 v21, 1, v32
	s_mov_b32 s6, exec_lo
	ds_load_b32 v20, v3 offset:64
	v_mov_b32_e32 v3, 0x1000
	v_cmpx_ne_u32_e32 0x100, v21
; %bb.45:
	v_mul_u32_u24_e32 v3, 0x44, v21
	ds_load_b32 v3, v3 offset:64
; %bb.46:
	s_or_b32 exec_lo, exec_lo, s6
	s_wait_dscnt 0x0
	v_dual_mov_b32 v21, 0 :: v_dual_sub_nc_u32 v22, v3, v20
.LBB1105_47:
	s_or_b32 exec_lo, exec_lo, s5
	v_mov_b32_e32 v25, 0
	s_wait_dscnt 0x0
	s_barrier_signal -1
	s_barrier_wait -1
	s_and_saveexec_b32 s4, vcc_lo
	s_cbranch_execz .LBB1105_57
; %bb.48:
	v_lshl_add_u32 v24, s19, 8, v32
	v_dual_mov_b32 v28, 0 :: v_dual_bitop2_b32 v3, 2.0, v22 bitop3:0x54
	s_mov_b32 s5, 0
	s_mov_b32 s6, s19
	s_delay_alu instid0(VALU_DEP_2)
	v_lshl_add_u64 v[26:27], v[24:25], 2, s[20:21]
	global_store_b32 v24, v3, s[20:21] scale_offset scope:SCOPE_DEV
                                        ; implicit-def: $sgpr26
	s_branch .LBB1105_51
.LBB1105_49:                            ;   in Loop: Header=BB1105_51 Depth=1
	s_or_b32 exec_lo, exec_lo, s27
.LBB1105_50:                            ;   in Loop: Header=BB1105_51 Depth=1
	s_delay_alu instid0(SALU_CYCLE_1) | instskip(SKIP_2) | instid1(VALU_DEP_2)
	s_or_b32 exec_lo, exec_lo, s26
	v_and_b32_e32 v24, 0x3fffffff, v3
	v_cmp_gt_i32_e64 s26, -2.0, v3
	v_add_nc_u32_e32 v28, v24, v28
	s_and_b32 s27, exec_lo, s26
	s_delay_alu instid0(SALU_CYCLE_1) | instskip(NEXT) | instid1(SALU_CYCLE_1)
	s_or_b32 s5, s27, s5
	s_and_not1_b32 exec_lo, exec_lo, s5
	s_cbranch_execz .LBB1105_56
.LBB1105_51:                            ; =>This Loop Header: Depth=1
                                        ;     Child Loop BB1105_54 Depth 2
	s_or_b32 s26, s26, exec_lo
	s_cmp_eq_u32 s6, 0
	s_cbranch_scc1 .LBB1105_55
; %bb.52:                               ;   in Loop: Header=BB1105_51 Depth=1
	s_add_co_i32 s6, s6, -1
	s_mov_b32 s26, exec_lo
	s_wait_xcnt 0x0
	v_lshl_or_b32 v24, s6, 8, v32
	global_load_b32 v3, v24, s[20:21] scale_offset scope:SCOPE_DEV
	s_wait_loadcnt 0x0
	v_cmpx_gt_u32_e32 2.0, v3
	s_cbranch_execz .LBB1105_50
; %bb.53:                               ;   in Loop: Header=BB1105_51 Depth=1
	v_lshl_add_u64 v[30:31], v[24:25], 2, s[20:21]
	s_mov_b32 s27, 0
.LBB1105_54:                            ;   Parent Loop BB1105_51 Depth=1
                                        ; =>  This Inner Loop Header: Depth=2
	global_load_b32 v3, v[30:31], off scope:SCOPE_DEV
	s_wait_loadcnt 0x0
	v_cmp_lt_u32_e32 vcc_lo, 0x3fffffff, v3
	s_or_b32 s27, vcc_lo, s27
	s_wait_xcnt 0x0
	s_and_not1_b32 exec_lo, exec_lo, s27
	s_cbranch_execnz .LBB1105_54
	s_branch .LBB1105_49
.LBB1105_55:                            ;   in Loop: Header=BB1105_51 Depth=1
                                        ; implicit-def: $sgpr6
	s_and_b32 s27, exec_lo, s26
	s_delay_alu instid0(SALU_CYCLE_1)
	s_or_b32 s5, s27, s5
	s_wait_xcnt 0x0
	s_and_not1_b32 exec_lo, exec_lo, s5
	s_cbranch_execnz .LBB1105_51
.LBB1105_56:
	s_or_b32 exec_lo, exec_lo, s5
	v_dual_add_nc_u32 v3, v28, v22 :: v_dual_mov_b32 v29, 0
	s_delay_alu instid0(VALU_DEP_1)
	v_or_b32_e32 v3, 0x80000000, v3
	global_store_b32 v[26:27], v3, off scope:SCOPE_DEV
	global_load_b64 v[24:25], v32, s[8:9] scale_offset
	s_wait_xcnt 0x1
	v_sub_nc_u64_e32 v[26:27], v[28:29], v[20:21]
	s_wait_loadcnt 0x0
	s_delay_alu instid0(VALU_DEP_1)
	v_add_nc_u64_e32 v[24:25], v[26:27], v[24:25]
	ds_store_b64 v2, v[24:25]
.LBB1105_57:
	s_wait_xcnt 0x0
	s_or_b32 exec_lo, exec_lo, s4
	v_dual_mov_b32 v3, 0 :: v_dual_add_nc_u32 v1, v54, v1
	v_add3_u32 v26, v47, v48, v46
	v_add3_u32 v27, v44, v45, v42
	;; [unrolled: 1-line block ×3, first 2 shown]
	s_delay_alu instid0(VALU_DEP_4)
	v_add_nc_u64_e32 v[24:25], s[14:15], v[2:3]
	v_add3_u32 v3, v50, v51, v49
	v_add3_u32 v29, v39, v53, v38
	;; [unrolled: 1-line block ×4, first 2 shown]
	v_mov_b32_e32 v31, v32
	s_mov_b32 s5, -1
	v_add_nc_u64_e32 v[24:25], 0x3000, v[24:25]
	s_mov_b32 s4, 0
	s_branch .LBB1105_59
.LBB1105_58:                            ;   in Loop: Header=BB1105_59 Depth=1
	s_wait_xcnt 0x0
	s_or_b32 exec_lo, exec_lo, s6
	v_add_nc_u64_e32 v[24:25], 0x4000, v[24:25]
	v_add_nc_u32_e32 v31, 0x800, v31
	s_xor_b32 s5, s5, -1
	s_addk_co_i32 s4, 0xf800
	s_and_b32 vcc_lo, exec_lo, s5
	s_mov_b32 s5, 0
	s_wait_storecnt 0x0
	s_barrier_signal -1
	s_barrier_wait -1
	s_cbranch_vccnz .LBB1105_67
.LBB1105_59:                            ; =>This Inner Loop Header: Depth=1
	v_add_min_u32_e64 v34, v1, s4, 0x800
	v_add_min_u32_e64 v35, v23, s4, 0x800
	;; [unrolled: 1-line block ×5, first 2 shown]
	s_delay_alu instid0(VALU_DEP_4) | instskip(NEXT) | instid1(VALU_DEP_3)
	v_dual_lshlrev_b32 v34, 3, v34 :: v_dual_lshlrev_b32 v35, 3, v35
	v_dual_lshlrev_b32 v36, 3, v36 :: v_dual_lshlrev_b32 v37, 3, v37
	s_mov_b32 s6, exec_lo
	ds_store_b64 v34, v[6:7] offset:2048
	ds_store_b64 v35, v[4:5] offset:2048
	;; [unrolled: 1-line block ×3, first 2 shown]
	v_add_min_u32_e64 v34, v27, s4, 0x800
	v_add_min_u32_e64 v35, v26, s4, 0x800
	;; [unrolled: 1-line block ×3, first 2 shown]
	v_lshlrev_b32_e32 v38, 3, v38
	s_delay_alu instid0(VALU_DEP_3) | instskip(NEXT) | instid1(VALU_DEP_3)
	v_dual_lshlrev_b32 v34, 3, v34 :: v_dual_lshlrev_b32 v35, 3, v35
	v_lshlrev_b32_e32 v36, 3, v36
	ds_store_b64 v37, v[8:9] offset:2048
	ds_store_b64 v38, v[14:15] offset:2048
	ds_store_b64 v34, v[12:13] offset:2048
	ds_store_b64 v35, v[18:19] offset:2048
	ds_store_b64 v36, v[16:17] offset:2048
	s_wait_storecnt_dscnt 0x0
	s_barrier_signal -1
	s_barrier_wait -1
	v_cmpx_gt_u32_e64 s18, v31
	s_cbranch_execz .LBB1105_61
; %bb.60:                               ;   in Loop: Header=BB1105_59 Depth=1
	ds_load_b64 v[34:35], v2 offset:2048
	s_wait_dscnt 0x0
	v_lshrrev_b64 v[36:37], s16, v[34:35]
	v_xor_b32_e32 v35, 0x7fffffff, v35
	v_not_b32_e32 v34, v34
	s_delay_alu instid0(VALU_DEP_3) | instskip(NEXT) | instid1(VALU_DEP_1)
	v_and_b32_e32 v36, s25, v36
	v_lshlrev_b32_e32 v36, 3, v36
	ds_load_b64 v[36:37], v36
	s_wait_dscnt 0x0
	v_lshl_add_u64 v[36:37], v[36:37], 3, v[24:25]
	global_store_b64 v[36:37], v[34:35], off offset:-12288
.LBB1105_61:                            ;   in Loop: Header=BB1105_59 Depth=1
	s_wait_xcnt 0x0
	s_or_b32 exec_lo, exec_lo, s6
	v_add_nc_u32_e32 v34, 0x200, v31
	s_mov_b32 s6, exec_lo
	s_delay_alu instid0(VALU_DEP_1)
	v_cmpx_gt_u32_e64 s18, v34
	s_cbranch_execz .LBB1105_63
; %bb.62:                               ;   in Loop: Header=BB1105_59 Depth=1
	ds_load_b64 v[34:35], v2 offset:6144
	s_wait_dscnt 0x0
	v_lshrrev_b64 v[36:37], s16, v[34:35]
	v_xor_b32_e32 v35, 0x7fffffff, v35
	v_not_b32_e32 v34, v34
	s_delay_alu instid0(VALU_DEP_3) | instskip(NEXT) | instid1(VALU_DEP_1)
	v_and_b32_e32 v36, s25, v36
	v_lshlrev_b32_e32 v36, 3, v36
	ds_load_b64 v[36:37], v36
	s_wait_dscnt 0x0
	v_lshl_add_u64 v[36:37], v[36:37], 3, v[24:25]
	global_store_b64 v[36:37], v[34:35], off offset:-8192
.LBB1105_63:                            ;   in Loop: Header=BB1105_59 Depth=1
	s_wait_xcnt 0x0
	s_or_b32 exec_lo, exec_lo, s6
	v_add_nc_u32_e32 v34, 0x400, v31
	s_mov_b32 s6, exec_lo
	s_delay_alu instid0(VALU_DEP_1)
	;; [unrolled: 21-line block ×3, first 2 shown]
	v_cmpx_gt_u32_e64 s18, v34
	s_cbranch_execz .LBB1105_58
; %bb.66:                               ;   in Loop: Header=BB1105_59 Depth=1
	ds_load_b64 v[34:35], v2 offset:14336
	s_wait_dscnt 0x0
	v_lshrrev_b64 v[36:37], s16, v[34:35]
	v_xor_b32_e32 v35, 0x7fffffff, v35
	v_not_b32_e32 v34, v34
	s_delay_alu instid0(VALU_DEP_3) | instskip(NEXT) | instid1(VALU_DEP_1)
	v_and_b32_e32 v36, s25, v36
	v_lshlrev_b32_e32 v36, 3, v36
	ds_load_b64 v[36:37], v36
	s_wait_dscnt 0x0
	v_lshl_add_u64 v[36:37], v[36:37], 3, v[24:25]
	global_store_b64 v[36:37], v[34:35], off
	s_branch .LBB1105_58
.LBB1105_67:
	s_add_co_i32 s24, s24, -1
	s_delay_alu instid0(SALU_CYCLE_1) | instskip(SKIP_2) | instid1(SALU_CYCLE_1)
	s_cmp_eq_u32 s19, s24
	s_cselect_b32 s4, -1, 0
	s_xor_b32 s3, s3, -1
	s_and_b32 s4, s3, s4
	s_delay_alu instid0(SALU_CYCLE_1)
	s_and_saveexec_b32 s3, s4
	s_cbranch_execz .LBB1105_69
; %bb.68:
	ds_load_b64 v[4:5], v2
	v_mov_b32_e32 v23, 0
	s_delay_alu instid0(VALU_DEP_1) | instskip(SKIP_1) | instid1(VALU_DEP_1)
	v_add_nc_u64_e32 v[6:7], v[20:21], v[22:23]
	s_wait_dscnt 0x0
	v_add_nc_u64_e32 v[4:5], v[6:7], v[4:5]
	global_store_b64 v32, v[4:5], s[10:11] scale_offset
.LBB1105_69:
	s_wait_xcnt 0x0
	s_or_b32 exec_lo, exec_lo, s3
	s_mov_b32 s4, 0
.LBB1105_70:
	s_delay_alu instid0(SALU_CYCLE_1)
	s_and_b32 vcc_lo, exec_lo, s4
	s_cbranch_vccz .LBB1105_111
; %bb.71:
	s_lshl_b32 s4, s19, 12
	s_mov_b32 s5, 0
	v_dual_mov_b32 v21, 0 :: v_dual_lshlrev_b32 v20, 3, v33
	s_lshl_b64 s[24:25], s[4:5], 3
	v_lshlrev_b32_e32 v1, 6, v32
	s_add_nc_u64 s[12:13], s[12:13], s[24:25]
	s_bfe_u32 s3, ttmp6, 0x4000c
	v_add_nc_u64_e32 v[4:5], s[12:13], v[20:21]
	s_add_co_i32 s3, s3, 1
	v_and_b32_e32 v20, 0xf800, v1
	s_and_b32 s4, ttmp6, 15
	s_mul_i32 s3, ttmp9, s3
	v_bfe_u32 v3, v0, 10, 10
	s_add_co_i32 s4, s4, s3
	v_add_nc_u64_e32 v[4:5], v[4:5], v[20:21]
	s_cmp_eq_u32 s7, 0
	v_bfe_u32 v20, v0, 20, 10
	s_cselect_b32 s3, ttmp9, s4
	s_clause 0x7
	global_load_b64 v[22:23], v[4:5], off
	global_load_b64 v[18:19], v[4:5], off offset:256
	global_load_b64 v[6:7], v[4:5], off offset:512
	;; [unrolled: 1-line block ×7, first 2 shown]
	s_clause 0x1
	s_load_b32 s12, s[0:1], 0x58
	s_load_u16 s6, s[0:1], 0x66
	s_wait_kmcnt 0x0
	s_cmp_lt_u32 s3, s12
	s_cselect_b32 s4, 12, 18
	s_lshl_b32 s13, -1, s17
	s_add_nc_u64 s[0:1], s[22:23], s[4:5]
	s_load_u16 s0, s[0:1], 0x0
	s_wait_loadcnt 0x7
	v_xor_b32_e32 v5, 0x7fffffff, v23
	v_not_b32_e32 v4, v22
	s_delay_alu instid0(VALU_DEP_1) | instskip(SKIP_1) | instid1(VALU_DEP_2)
	v_lshrrev_b64 v[0:1], s16, v[4:5]
	v_mad_u32_u24 v1, v20, s6, v3
	v_bitop3_b32 v3, v0, 1, s13 bitop3:0x40
	v_bitop3_b32 v22, v0, s13, v0 bitop3:0x30
	s_wait_kmcnt 0x0
	s_delay_alu instid0(VALU_DEP_3) | instskip(NEXT) | instid1(VALU_DEP_3)
	v_mad_u32 v0, v1, s0, v32
	v_add_co_u32 v1, s0, v3, -1
	s_delay_alu instid0(VALU_DEP_1) | instskip(SKIP_3) | instid1(VALU_DEP_4)
	v_cndmask_b32_e64 v3, 0, 1, s0
	v_dual_lshlrev_b32 v20, 30, v22 :: v_dual_lshlrev_b32 v23, 29, v22
	v_dual_lshlrev_b32 v24, 28, v22 :: v_dual_lshlrev_b32 v25, 27, v22
	v_lshlrev_b32_e32 v26, 26, v22
	v_cmp_ne_u32_e32 vcc_lo, 0, v3
	s_delay_alu instid0(VALU_DEP_4)
	v_not_b32_e32 v3, v20
	v_cmp_gt_i32_e64 s0, 0, v20
	v_cmp_gt_i32_e64 s1, 0, v23
	v_not_b32_e32 v20, v23
	v_not_b32_e32 v23, v24
	v_dual_ashrrev_i32 v3, 31, v3 :: v_dual_bitop2_b32 v1, vcc_lo, v1 bitop3:0x14
	v_dual_lshlrev_b32 v27, 25, v22 :: v_dual_lshlrev_b32 v28, 24, v22
	v_cmp_gt_i32_e64 s3, 0, v24
	v_cmp_gt_i32_e64 s4, 0, v25
	v_not_b32_e32 v24, v25
	v_not_b32_e32 v25, v26
	v_dual_ashrrev_i32 v20, 31, v20 :: v_dual_ashrrev_i32 v23, 31, v23
	s_delay_alu instid0(VALU_DEP_3)
	v_dual_ashrrev_i32 v24, 31, v24 :: v_dual_bitop2_b32 v3, s0, v3 bitop3:0x14
	v_cmp_gt_i32_e64 s5, 0, v26
	v_cmp_gt_i32_e64 s6, 0, v27
	v_not_b32_e32 v26, v27
	v_not_b32_e32 v27, v28
	v_dual_ashrrev_i32 v25, 31, v25 :: v_dual_bitop2_b32 v20, s1, v20 bitop3:0x14
	v_xor_b32_e32 v23, s3, v23
	v_bitop3_b32 v1, v1, v3, exec_lo bitop3:0x80
	v_cmp_gt_i32_e64 s7, 0, v28
	v_dual_ashrrev_i32 v3, 31, v26 :: v_dual_ashrrev_i32 v26, 31, v27
	v_xor_b32_e32 v24, s4, v24
	v_dual_lshrrev_b32 v0, 5, v0 :: v_dual_bitop2_b32 v25, s5, v25 bitop3:0x14
	v_bitop3_b32 v1, v1, v23, v20 bitop3:0x80
	s_delay_alu instid0(VALU_DEP_4)
	v_xor_b32_e32 v3, s6, v3
	v_xor_b32_e32 v23, s7, v26
	v_mul_u32_u24_e32 v26, 36, v32
	v_lshlrev_b32_e32 v20, 2, v0
	v_bitop3_b32 v1, v1, v25, v24 bitop3:0x80
	s_not_b32 s7, s13
	ds_store_2addr_b32 v26, v21, v21 offset0:16 offset1:17
	ds_store_2addr_b32 v26, v21, v21 offset0:18 offset1:19
	;; [unrolled: 1-line block ×4, first 2 shown]
	v_mad_u32 v27, 0x44, v22, v20
	v_bitop3_b32 v0, v1, v23, v3 bitop3:0x80
	ds_store_b32 v26, v21 offset:96
	s_wait_storecnt 0x0
	s_wait_loadcnt_dscnt 0x0
	s_barrier_signal -1
	s_barrier_wait -1
	v_mbcnt_lo_u32_b32 v3, v0, 0
	v_cmp_ne_u32_e64 s0, 0, v0
	; wave barrier
	s_delay_alu instid0(VALU_DEP_2) | instskip(SKIP_1) | instid1(SALU_CYCLE_1)
	v_cmp_eq_u32_e32 vcc_lo, 0, v3
	s_and_b32 s1, s0, vcc_lo
	s_and_saveexec_b32 s0, s1
; %bb.72:
	v_bcnt_u32_b32 v0, v0, 0
	ds_store_b32 v27, v0 offset:64
; %bb.73:
	s_or_b32 exec_lo, exec_lo, s0
	v_xor_b32_e32 v1, 0x7fffffff, v19
	v_not_b32_e32 v0, v18
	; wave barrier
	s_delay_alu instid0(VALU_DEP_1) | instskip(NEXT) | instid1(VALU_DEP_1)
	v_lshrrev_b64 v[18:19], s16, v[0:1]
	v_and_b32_e32 v19, s7, v18
	v_bitop3_b32 v18, v18, 1, s7 bitop3:0x80
	s_delay_alu instid0(VALU_DEP_2) | instskip(NEXT) | instid1(VALU_DEP_2)
	v_lshlrev_b32_e32 v22, 30, v19
	v_add_co_u32 v18, s0, v18, -1
	s_delay_alu instid0(VALU_DEP_1) | instskip(NEXT) | instid1(VALU_DEP_1)
	v_cndmask_b32_e64 v21, 0, 1, s0
	v_cmp_ne_u32_e32 vcc_lo, 0, v21
	s_delay_alu instid0(VALU_DEP_4) | instskip(NEXT) | instid1(VALU_DEP_1)
	v_not_b32_e32 v21, v22
	v_dual_ashrrev_i32 v21, 31, v21 :: v_dual_bitop2_b32 v18, vcc_lo, v18 bitop3:0x14
	v_dual_lshlrev_b32 v23, 29, v19 :: v_dual_lshlrev_b32 v24, 28, v19
	v_dual_lshlrev_b32 v25, 27, v19 :: v_dual_lshlrev_b32 v29, 26, v19
	v_lshlrev_b32_e32 v30, 25, v19
	v_cmp_gt_i32_e64 s0, 0, v22
	s_delay_alu instid0(VALU_DEP_4)
	v_cmp_gt_i32_e64 s1, 0, v23
	v_not_b32_e32 v22, v23
	v_not_b32_e32 v23, v24
	v_mad_u32 v28, 0x44, v19, v20
	v_lshlrev_b32_e32 v19, 24, v19
	v_cmp_gt_i32_e64 s3, 0, v24
	v_cmp_gt_i32_e64 s4, 0, v25
	v_not_b32_e32 v24, v25
	v_not_b32_e32 v25, v29
	v_dual_ashrrev_i32 v22, 31, v22 :: v_dual_ashrrev_i32 v23, 31, v23
	s_delay_alu instid0(VALU_DEP_3) | instskip(SKIP_1) | instid1(VALU_DEP_3)
	v_dual_ashrrev_i32 v24, 31, v24 :: v_dual_bitop2_b32 v21, s0, v21 bitop3:0x14
	v_cmp_gt_i32_e64 s5, 0, v29
	v_dual_ashrrev_i32 v25, 31, v25 :: v_dual_bitop2_b32 v22, s1, v22 bitop3:0x14
	s_delay_alu instid0(VALU_DEP_3)
	v_bitop3_b32 v18, v18, v21, exec_lo bitop3:0x80
	v_not_b32_e32 v21, v30
	v_xor_b32_e32 v23, s3, v23
	v_not_b32_e32 v29, v19
	v_cmp_gt_i32_e64 s6, 0, v30
	v_xor_b32_e32 v24, s4, v24
	v_xor_b32_e32 v25, s5, v25
	v_ashrrev_i32_e32 v21, 31, v21
	v_bitop3_b32 v18, v18, v23, v22 bitop3:0x80
	v_cmp_gt_i32_e32 vcc_lo, 0, v19
	v_ashrrev_i32_e32 v19, 31, v29
	ds_load_b32 v30, v28 offset:64
	v_xor_b32_e32 v21, s6, v21
	v_bitop3_b32 v18, v18, v25, v24 bitop3:0x80
	v_xor_b32_e32 v19, vcc_lo, v19
	; wave barrier
	s_delay_alu instid0(VALU_DEP_1) | instskip(NEXT) | instid1(VALU_DEP_1)
	v_bitop3_b32 v18, v18, v19, v21 bitop3:0x80
	v_mbcnt_lo_u32_b32 v31, v18, 0
	v_cmp_ne_u32_e64 s0, 0, v18
	s_delay_alu instid0(VALU_DEP_2) | instskip(SKIP_1) | instid1(SALU_CYCLE_1)
	v_cmp_eq_u32_e32 vcc_lo, 0, v31
	s_and_b32 s1, s0, vcc_lo
	s_and_saveexec_b32 s0, s1
	s_cbranch_execz .LBB1105_75
; %bb.74:
	s_wait_dscnt 0x0
	v_bcnt_u32_b32 v18, v18, v30
	ds_store_b32 v28, v18 offset:64
.LBB1105_75:
	s_or_b32 exec_lo, exec_lo, s0
	v_xor_b32_e32 v7, 0x7fffffff, v7
	v_not_b32_e32 v6, v6
	; wave barrier
	s_delay_alu instid0(VALU_DEP_1) | instskip(NEXT) | instid1(VALU_DEP_1)
	v_lshrrev_b64 v[18:19], s16, v[6:7]
	v_and_b32_e32 v19, s7, v18
	v_bitop3_b32 v18, v18, 1, s7 bitop3:0x80
	s_delay_alu instid0(VALU_DEP_2) | instskip(NEXT) | instid1(VALU_DEP_2)
	v_lshlrev_b32_e32 v22, 30, v19
	v_add_co_u32 v18, s0, v18, -1
	s_delay_alu instid0(VALU_DEP_1) | instskip(NEXT) | instid1(VALU_DEP_1)
	v_cndmask_b32_e64 v21, 0, 1, s0
	v_cmp_ne_u32_e32 vcc_lo, 0, v21
	s_delay_alu instid0(VALU_DEP_4) | instskip(NEXT) | instid1(VALU_DEP_1)
	v_not_b32_e32 v21, v22
	v_dual_ashrrev_i32 v21, 31, v21 :: v_dual_bitop2_b32 v18, vcc_lo, v18 bitop3:0x14
	v_dual_lshlrev_b32 v23, 29, v19 :: v_dual_lshlrev_b32 v24, 28, v19
	v_dual_lshlrev_b32 v25, 27, v19 :: v_dual_lshlrev_b32 v34, 26, v19
	v_lshlrev_b32_e32 v35, 25, v19
	v_cmp_gt_i32_e64 s0, 0, v22
	s_delay_alu instid0(VALU_DEP_4)
	v_cmp_gt_i32_e64 s1, 0, v23
	v_not_b32_e32 v22, v23
	v_not_b32_e32 v23, v24
	v_mad_u32 v29, 0x44, v19, v20
	v_lshlrev_b32_e32 v19, 24, v19
	v_cmp_gt_i32_e64 s3, 0, v24
	v_cmp_gt_i32_e64 s4, 0, v25
	v_not_b32_e32 v24, v25
	v_not_b32_e32 v25, v34
	v_dual_ashrrev_i32 v22, 31, v22 :: v_dual_ashrrev_i32 v23, 31, v23
	s_delay_alu instid0(VALU_DEP_3) | instskip(SKIP_1) | instid1(VALU_DEP_3)
	v_dual_ashrrev_i32 v24, 31, v24 :: v_dual_bitop2_b32 v21, s0, v21 bitop3:0x14
	v_cmp_gt_i32_e64 s5, 0, v34
	v_dual_ashrrev_i32 v25, 31, v25 :: v_dual_bitop2_b32 v22, s1, v22 bitop3:0x14
	s_delay_alu instid0(VALU_DEP_3)
	v_bitop3_b32 v18, v18, v21, exec_lo bitop3:0x80
	v_not_b32_e32 v21, v35
	v_xor_b32_e32 v23, s3, v23
	v_not_b32_e32 v34, v19
	v_cmp_gt_i32_e64 s6, 0, v35
	v_xor_b32_e32 v24, s4, v24
	v_xor_b32_e32 v25, s5, v25
	v_ashrrev_i32_e32 v21, 31, v21
	v_bitop3_b32 v18, v18, v23, v22 bitop3:0x80
	v_cmp_gt_i32_e32 vcc_lo, 0, v19
	v_ashrrev_i32_e32 v19, 31, v34
	ds_load_b32 v34, v29 offset:64
	v_xor_b32_e32 v21, s6, v21
	v_bitop3_b32 v18, v18, v25, v24 bitop3:0x80
	v_xor_b32_e32 v19, vcc_lo, v19
	; wave barrier
	s_delay_alu instid0(VALU_DEP_1) | instskip(NEXT) | instid1(VALU_DEP_1)
	v_bitop3_b32 v18, v18, v19, v21 bitop3:0x80
	v_mbcnt_lo_u32_b32 v35, v18, 0
	v_cmp_ne_u32_e64 s0, 0, v18
	s_delay_alu instid0(VALU_DEP_2) | instskip(SKIP_1) | instid1(SALU_CYCLE_1)
	v_cmp_eq_u32_e32 vcc_lo, 0, v35
	s_and_b32 s1, s0, vcc_lo
	s_and_saveexec_b32 s0, s1
	s_cbranch_execz .LBB1105_77
; %bb.76:
	s_wait_dscnt 0x0
	v_bcnt_u32_b32 v18, v18, v34
	ds_store_b32 v29, v18 offset:64
.LBB1105_77:
	s_or_b32 exec_lo, exec_lo, s0
	v_xor_b32_e32 v9, 0x7fffffff, v9
	v_not_b32_e32 v8, v8
	; wave barrier
	s_delay_alu instid0(VALU_DEP_1) | instskip(NEXT) | instid1(VALU_DEP_1)
	v_lshrrev_b64 v[18:19], s16, v[8:9]
	v_and_b32_e32 v19, s7, v18
	v_bitop3_b32 v18, v18, 1, s7 bitop3:0x80
	s_delay_alu instid0(VALU_DEP_2) | instskip(NEXT) | instid1(VALU_DEP_2)
	v_lshlrev_b32_e32 v22, 30, v19
	v_add_co_u32 v18, s0, v18, -1
	s_delay_alu instid0(VALU_DEP_1) | instskip(NEXT) | instid1(VALU_DEP_1)
	v_cndmask_b32_e64 v21, 0, 1, s0
	v_cmp_ne_u32_e32 vcc_lo, 0, v21
	s_delay_alu instid0(VALU_DEP_4) | instskip(NEXT) | instid1(VALU_DEP_1)
	v_not_b32_e32 v21, v22
	v_dual_ashrrev_i32 v21, 31, v21 :: v_dual_bitop2_b32 v18, vcc_lo, v18 bitop3:0x14
	v_dual_lshlrev_b32 v23, 29, v19 :: v_dual_lshlrev_b32 v24, 28, v19
	v_dual_lshlrev_b32 v25, 27, v19 :: v_dual_lshlrev_b32 v36, 26, v19
	v_lshlrev_b32_e32 v37, 25, v19
	v_cmp_gt_i32_e64 s0, 0, v22
	s_delay_alu instid0(VALU_DEP_4)
	v_cmp_gt_i32_e64 s1, 0, v23
	v_not_b32_e32 v22, v23
	v_not_b32_e32 v23, v24
	v_mad_u32 v38, 0x44, v19, v20
	v_lshlrev_b32_e32 v19, 24, v19
	v_cmp_gt_i32_e64 s3, 0, v24
	v_cmp_gt_i32_e64 s4, 0, v25
	v_not_b32_e32 v24, v25
	v_not_b32_e32 v25, v36
	v_dual_ashrrev_i32 v22, 31, v22 :: v_dual_ashrrev_i32 v23, 31, v23
	s_delay_alu instid0(VALU_DEP_3) | instskip(SKIP_1) | instid1(VALU_DEP_3)
	v_dual_ashrrev_i32 v24, 31, v24 :: v_dual_bitop2_b32 v21, s0, v21 bitop3:0x14
	v_cmp_gt_i32_e64 s5, 0, v36
	v_dual_ashrrev_i32 v25, 31, v25 :: v_dual_bitop2_b32 v22, s1, v22 bitop3:0x14
	s_delay_alu instid0(VALU_DEP_3)
	v_bitop3_b32 v18, v18, v21, exec_lo bitop3:0x80
	v_not_b32_e32 v21, v37
	v_xor_b32_e32 v23, s3, v23
	v_not_b32_e32 v36, v19
	v_cmp_gt_i32_e64 s6, 0, v37
	v_xor_b32_e32 v24, s4, v24
	v_xor_b32_e32 v25, s5, v25
	v_ashrrev_i32_e32 v21, 31, v21
	v_bitop3_b32 v18, v18, v23, v22 bitop3:0x80
	v_cmp_gt_i32_e32 vcc_lo, 0, v19
	v_ashrrev_i32_e32 v19, 31, v36
	ds_load_b32 v36, v38 offset:64
	v_xor_b32_e32 v21, s6, v21
	v_bitop3_b32 v18, v18, v25, v24 bitop3:0x80
	v_xor_b32_e32 v19, vcc_lo, v19
	; wave barrier
	s_delay_alu instid0(VALU_DEP_1) | instskip(NEXT) | instid1(VALU_DEP_1)
	v_bitop3_b32 v18, v18, v19, v21 bitop3:0x80
	v_mbcnt_lo_u32_b32 v37, v18, 0
	v_cmp_ne_u32_e64 s0, 0, v18
	s_delay_alu instid0(VALU_DEP_2) | instskip(SKIP_1) | instid1(SALU_CYCLE_1)
	v_cmp_eq_u32_e32 vcc_lo, 0, v37
	s_and_b32 s1, s0, vcc_lo
	s_and_saveexec_b32 s0, s1
	s_cbranch_execz .LBB1105_79
; %bb.78:
	s_wait_dscnt 0x0
	v_bcnt_u32_b32 v18, v18, v36
	ds_store_b32 v38, v18 offset:64
.LBB1105_79:
	s_or_b32 exec_lo, exec_lo, s0
	v_xor_b32_e32 v11, 0x7fffffff, v11
	v_not_b32_e32 v10, v10
	; wave barrier
	s_delay_alu instid0(VALU_DEP_1) | instskip(NEXT) | instid1(VALU_DEP_1)
	v_lshrrev_b64 v[18:19], s16, v[10:11]
	v_and_b32_e32 v19, s7, v18
	v_bitop3_b32 v18, v18, 1, s7 bitop3:0x80
	s_delay_alu instid0(VALU_DEP_2) | instskip(NEXT) | instid1(VALU_DEP_2)
	v_lshlrev_b32_e32 v22, 30, v19
	v_add_co_u32 v18, s0, v18, -1
	s_delay_alu instid0(VALU_DEP_1) | instskip(NEXT) | instid1(VALU_DEP_1)
	v_cndmask_b32_e64 v21, 0, 1, s0
	v_cmp_ne_u32_e32 vcc_lo, 0, v21
	s_delay_alu instid0(VALU_DEP_4) | instskip(NEXT) | instid1(VALU_DEP_1)
	v_not_b32_e32 v21, v22
	v_dual_ashrrev_i32 v21, 31, v21 :: v_dual_bitop2_b32 v18, vcc_lo, v18 bitop3:0x14
	v_dual_lshlrev_b32 v23, 29, v19 :: v_dual_lshlrev_b32 v24, 28, v19
	v_dual_lshlrev_b32 v25, 27, v19 :: v_dual_lshlrev_b32 v39, 26, v19
	v_lshlrev_b32_e32 v40, 25, v19
	v_cmp_gt_i32_e64 s0, 0, v22
	s_delay_alu instid0(VALU_DEP_4)
	v_cmp_gt_i32_e64 s1, 0, v23
	v_not_b32_e32 v22, v23
	v_not_b32_e32 v23, v24
	v_mad_u32 v41, 0x44, v19, v20
	v_lshlrev_b32_e32 v19, 24, v19
	v_cmp_gt_i32_e64 s3, 0, v24
	v_cmp_gt_i32_e64 s4, 0, v25
	v_not_b32_e32 v24, v25
	v_not_b32_e32 v25, v39
	v_dual_ashrrev_i32 v22, 31, v22 :: v_dual_ashrrev_i32 v23, 31, v23
	s_delay_alu instid0(VALU_DEP_3) | instskip(SKIP_1) | instid1(VALU_DEP_3)
	v_dual_ashrrev_i32 v24, 31, v24 :: v_dual_bitop2_b32 v21, s0, v21 bitop3:0x14
	v_cmp_gt_i32_e64 s5, 0, v39
	v_dual_ashrrev_i32 v25, 31, v25 :: v_dual_bitop2_b32 v22, s1, v22 bitop3:0x14
	s_delay_alu instid0(VALU_DEP_3)
	v_bitop3_b32 v18, v18, v21, exec_lo bitop3:0x80
	v_not_b32_e32 v21, v40
	v_xor_b32_e32 v23, s3, v23
	v_not_b32_e32 v39, v19
	v_cmp_gt_i32_e64 s6, 0, v40
	v_xor_b32_e32 v24, s4, v24
	v_xor_b32_e32 v25, s5, v25
	v_ashrrev_i32_e32 v21, 31, v21
	v_bitop3_b32 v18, v18, v23, v22 bitop3:0x80
	v_cmp_gt_i32_e32 vcc_lo, 0, v19
	v_ashrrev_i32_e32 v19, 31, v39
	ds_load_b32 v39, v41 offset:64
	v_xor_b32_e32 v21, s6, v21
	v_bitop3_b32 v18, v18, v25, v24 bitop3:0x80
	v_xor_b32_e32 v19, vcc_lo, v19
	; wave barrier
	s_delay_alu instid0(VALU_DEP_1) | instskip(NEXT) | instid1(VALU_DEP_1)
	v_bitop3_b32 v18, v18, v19, v21 bitop3:0x80
	v_mbcnt_lo_u32_b32 v40, v18, 0
	v_cmp_ne_u32_e64 s0, 0, v18
	s_delay_alu instid0(VALU_DEP_2) | instskip(SKIP_1) | instid1(SALU_CYCLE_1)
	v_cmp_eq_u32_e32 vcc_lo, 0, v40
	s_and_b32 s1, s0, vcc_lo
	s_and_saveexec_b32 s0, s1
	s_cbranch_execz .LBB1105_81
; %bb.80:
	s_wait_dscnt 0x0
	v_bcnt_u32_b32 v18, v18, v39
	ds_store_b32 v41, v18 offset:64
.LBB1105_81:
	s_or_b32 exec_lo, exec_lo, s0
	v_xor_b32_e32 v15, 0x7fffffff, v15
	v_not_b32_e32 v14, v14
	; wave barrier
	s_delay_alu instid0(VALU_DEP_1) | instskip(NEXT) | instid1(VALU_DEP_1)
	v_lshrrev_b64 v[18:19], s16, v[14:15]
	v_and_b32_e32 v19, s7, v18
	v_bitop3_b32 v18, v18, 1, s7 bitop3:0x80
	s_delay_alu instid0(VALU_DEP_2) | instskip(NEXT) | instid1(VALU_DEP_2)
	v_lshlrev_b32_e32 v22, 30, v19
	v_add_co_u32 v18, s0, v18, -1
	s_delay_alu instid0(VALU_DEP_1) | instskip(NEXT) | instid1(VALU_DEP_1)
	v_cndmask_b32_e64 v21, 0, 1, s0
	v_cmp_ne_u32_e32 vcc_lo, 0, v21
	s_delay_alu instid0(VALU_DEP_4) | instskip(NEXT) | instid1(VALU_DEP_1)
	v_not_b32_e32 v21, v22
	v_dual_ashrrev_i32 v21, 31, v21 :: v_dual_bitop2_b32 v18, vcc_lo, v18 bitop3:0x14
	v_dual_lshlrev_b32 v23, 29, v19 :: v_dual_lshlrev_b32 v24, 28, v19
	v_dual_lshlrev_b32 v25, 27, v19 :: v_dual_lshlrev_b32 v42, 26, v19
	v_lshlrev_b32_e32 v43, 25, v19
	v_cmp_gt_i32_e64 s0, 0, v22
	s_delay_alu instid0(VALU_DEP_4)
	v_cmp_gt_i32_e64 s1, 0, v23
	v_not_b32_e32 v22, v23
	v_not_b32_e32 v23, v24
	v_mad_u32 v44, 0x44, v19, v20
	v_lshlrev_b32_e32 v19, 24, v19
	v_cmp_gt_i32_e64 s3, 0, v24
	v_cmp_gt_i32_e64 s4, 0, v25
	v_not_b32_e32 v24, v25
	v_not_b32_e32 v25, v42
	v_dual_ashrrev_i32 v22, 31, v22 :: v_dual_ashrrev_i32 v23, 31, v23
	s_delay_alu instid0(VALU_DEP_3) | instskip(SKIP_1) | instid1(VALU_DEP_3)
	v_dual_ashrrev_i32 v24, 31, v24 :: v_dual_bitop2_b32 v21, s0, v21 bitop3:0x14
	v_cmp_gt_i32_e64 s5, 0, v42
	v_dual_ashrrev_i32 v25, 31, v25 :: v_dual_bitop2_b32 v22, s1, v22 bitop3:0x14
	s_delay_alu instid0(VALU_DEP_3)
	v_bitop3_b32 v18, v18, v21, exec_lo bitop3:0x80
	v_not_b32_e32 v21, v43
	v_xor_b32_e32 v23, s3, v23
	v_not_b32_e32 v42, v19
	v_cmp_gt_i32_e64 s6, 0, v43
	v_xor_b32_e32 v24, s4, v24
	v_xor_b32_e32 v25, s5, v25
	v_ashrrev_i32_e32 v21, 31, v21
	v_bitop3_b32 v18, v18, v23, v22 bitop3:0x80
	v_cmp_gt_i32_e32 vcc_lo, 0, v19
	v_ashrrev_i32_e32 v19, 31, v42
	ds_load_b32 v42, v44 offset:64
	v_xor_b32_e32 v21, s6, v21
	v_bitop3_b32 v18, v18, v25, v24 bitop3:0x80
	v_xor_b32_e32 v19, vcc_lo, v19
	; wave barrier
	s_delay_alu instid0(VALU_DEP_1) | instskip(NEXT) | instid1(VALU_DEP_1)
	v_bitop3_b32 v18, v18, v19, v21 bitop3:0x80
	v_mbcnt_lo_u32_b32 v43, v18, 0
	v_cmp_ne_u32_e64 s0, 0, v18
	s_delay_alu instid0(VALU_DEP_2) | instskip(SKIP_1) | instid1(SALU_CYCLE_1)
	v_cmp_eq_u32_e32 vcc_lo, 0, v43
	s_and_b32 s1, s0, vcc_lo
	s_and_saveexec_b32 s0, s1
	s_cbranch_execz .LBB1105_83
; %bb.82:
	s_wait_dscnt 0x0
	v_bcnt_u32_b32 v18, v18, v42
	ds_store_b32 v44, v18 offset:64
.LBB1105_83:
	s_or_b32 exec_lo, exec_lo, s0
	v_xor_b32_e32 v17, 0x7fffffff, v17
	v_not_b32_e32 v16, v16
	; wave barrier
	s_delay_alu instid0(VALU_DEP_1) | instskip(NEXT) | instid1(VALU_DEP_1)
	v_lshrrev_b64 v[18:19], s16, v[16:17]
	v_and_b32_e32 v19, s7, v18
	v_bitop3_b32 v18, v18, 1, s7 bitop3:0x80
	s_delay_alu instid0(VALU_DEP_2) | instskip(NEXT) | instid1(VALU_DEP_2)
	v_lshlrev_b32_e32 v22, 30, v19
	v_add_co_u32 v18, s0, v18, -1
	s_delay_alu instid0(VALU_DEP_1) | instskip(NEXT) | instid1(VALU_DEP_1)
	v_cndmask_b32_e64 v21, 0, 1, s0
	v_cmp_ne_u32_e32 vcc_lo, 0, v21
	s_delay_alu instid0(VALU_DEP_4) | instskip(NEXT) | instid1(VALU_DEP_1)
	v_not_b32_e32 v21, v22
	v_dual_ashrrev_i32 v21, 31, v21 :: v_dual_bitop2_b32 v18, vcc_lo, v18 bitop3:0x14
	v_dual_lshlrev_b32 v23, 29, v19 :: v_dual_lshlrev_b32 v24, 28, v19
	v_dual_lshlrev_b32 v25, 27, v19 :: v_dual_lshlrev_b32 v45, 26, v19
	v_lshlrev_b32_e32 v46, 25, v19
	v_cmp_gt_i32_e64 s0, 0, v22
	s_delay_alu instid0(VALU_DEP_4)
	v_cmp_gt_i32_e64 s1, 0, v23
	v_not_b32_e32 v22, v23
	v_not_b32_e32 v23, v24
	v_mad_u32 v47, 0x44, v19, v20
	v_lshlrev_b32_e32 v19, 24, v19
	v_cmp_gt_i32_e64 s3, 0, v24
	v_cmp_gt_i32_e64 s4, 0, v25
	v_not_b32_e32 v24, v25
	v_not_b32_e32 v25, v45
	v_dual_ashrrev_i32 v22, 31, v22 :: v_dual_ashrrev_i32 v23, 31, v23
	s_delay_alu instid0(VALU_DEP_3) | instskip(SKIP_1) | instid1(VALU_DEP_3)
	v_dual_ashrrev_i32 v24, 31, v24 :: v_dual_bitop2_b32 v21, s0, v21 bitop3:0x14
	v_cmp_gt_i32_e64 s5, 0, v45
	v_dual_ashrrev_i32 v25, 31, v25 :: v_dual_bitop2_b32 v22, s1, v22 bitop3:0x14
	s_delay_alu instid0(VALU_DEP_3)
	v_bitop3_b32 v18, v18, v21, exec_lo bitop3:0x80
	v_not_b32_e32 v21, v46
	v_xor_b32_e32 v23, s3, v23
	v_not_b32_e32 v45, v19
	v_cmp_gt_i32_e64 s6, 0, v46
	v_xor_b32_e32 v24, s4, v24
	v_xor_b32_e32 v25, s5, v25
	v_ashrrev_i32_e32 v21, 31, v21
	v_bitop3_b32 v18, v18, v23, v22 bitop3:0x80
	v_cmp_gt_i32_e32 vcc_lo, 0, v19
	v_ashrrev_i32_e32 v19, 31, v45
	ds_load_b32 v45, v47 offset:64
	v_xor_b32_e32 v21, s6, v21
	v_bitop3_b32 v18, v18, v25, v24 bitop3:0x80
	v_xor_b32_e32 v19, vcc_lo, v19
	; wave barrier
	s_delay_alu instid0(VALU_DEP_1) | instskip(NEXT) | instid1(VALU_DEP_1)
	v_bitop3_b32 v18, v18, v19, v21 bitop3:0x80
	v_mbcnt_lo_u32_b32 v46, v18, 0
	v_cmp_ne_u32_e64 s0, 0, v18
	s_delay_alu instid0(VALU_DEP_2) | instskip(SKIP_1) | instid1(SALU_CYCLE_1)
	v_cmp_eq_u32_e32 vcc_lo, 0, v46
	s_and_b32 s1, s0, vcc_lo
	s_and_saveexec_b32 s0, s1
	s_cbranch_execz .LBB1105_85
; %bb.84:
	s_wait_dscnt 0x0
	v_bcnt_u32_b32 v18, v18, v45
	ds_store_b32 v47, v18 offset:64
.LBB1105_85:
	s_or_b32 exec_lo, exec_lo, s0
	v_xor_b32_e32 v13, 0x7fffffff, v13
	v_not_b32_e32 v12, v12
	; wave barrier
	s_delay_alu instid0(VALU_DEP_1) | instskip(NEXT) | instid1(VALU_DEP_1)
	v_lshrrev_b64 v[18:19], s16, v[12:13]
	v_and_b32_e32 v19, s7, v18
	v_bitop3_b32 v18, v18, 1, s7 bitop3:0x80
	s_delay_alu instid0(VALU_DEP_2) | instskip(NEXT) | instid1(VALU_DEP_2)
	v_mad_u32 v50, 0x44, v19, v20
	v_add_co_u32 v18, s0, v18, -1
	s_delay_alu instid0(VALU_DEP_1) | instskip(SKIP_1) | instid1(VALU_DEP_2)
	v_cndmask_b32_e64 v20, 0, 1, s0
	v_lshlrev_b32_e32 v21, 30, v19
	v_cmp_ne_u32_e32 vcc_lo, 0, v20
	s_delay_alu instid0(VALU_DEP_2) | instskip(NEXT) | instid1(VALU_DEP_1)
	v_not_b32_e32 v20, v21
	v_dual_ashrrev_i32 v20, 31, v20 :: v_dual_bitop2_b32 v18, vcc_lo, v18 bitop3:0x14
	v_dual_lshlrev_b32 v22, 29, v19 :: v_dual_lshlrev_b32 v23, 28, v19
	v_dual_lshlrev_b32 v24, 27, v19 :: v_dual_lshlrev_b32 v25, 26, v19
	v_lshlrev_b32_e32 v48, 25, v19
	v_cmp_gt_i32_e64 s0, 0, v21
	s_delay_alu instid0(VALU_DEP_4)
	v_cmp_gt_i32_e64 s1, 0, v22
	v_not_b32_e32 v21, v22
	v_not_b32_e32 v22, v23
	v_lshlrev_b32_e32 v19, 24, v19
	v_cmp_gt_i32_e64 s3, 0, v23
	v_cmp_gt_i32_e64 s4, 0, v24
	v_not_b32_e32 v23, v24
	v_not_b32_e32 v24, v25
	v_dual_ashrrev_i32 v21, 31, v21 :: v_dual_ashrrev_i32 v22, 31, v22
	s_delay_alu instid0(VALU_DEP_3) | instskip(SKIP_1) | instid1(VALU_DEP_3)
	v_dual_ashrrev_i32 v23, 31, v23 :: v_dual_bitop2_b32 v20, s0, v20 bitop3:0x14
	v_cmp_gt_i32_e64 s5, 0, v25
	v_dual_ashrrev_i32 v24, 31, v24 :: v_dual_bitop2_b32 v21, s1, v21 bitop3:0x14
	s_delay_alu instid0(VALU_DEP_3)
	v_bitop3_b32 v18, v18, v20, exec_lo bitop3:0x80
	v_not_b32_e32 v20, v48
	v_xor_b32_e32 v22, s3, v22
	v_not_b32_e32 v25, v19
	v_cmp_gt_i32_e64 s6, 0, v48
	v_xor_b32_e32 v23, s4, v23
	v_xor_b32_e32 v24, s5, v24
	v_ashrrev_i32_e32 v20, 31, v20
	v_bitop3_b32 v18, v18, v22, v21 bitop3:0x80
	v_cmp_gt_i32_e32 vcc_lo, 0, v19
	v_ashrrev_i32_e32 v19, 31, v25
	ds_load_b32 v48, v50 offset:64
	v_xor_b32_e32 v20, s6, v20
	v_bitop3_b32 v18, v18, v24, v23 bitop3:0x80
	v_xor_b32_e32 v19, vcc_lo, v19
	; wave barrier
	s_delay_alu instid0(VALU_DEP_1) | instskip(NEXT) | instid1(VALU_DEP_1)
	v_bitop3_b32 v18, v18, v19, v20 bitop3:0x80
	v_mbcnt_lo_u32_b32 v49, v18, 0
	v_cmp_ne_u32_e64 s0, 0, v18
	s_delay_alu instid0(VALU_DEP_2) | instskip(SKIP_1) | instid1(SALU_CYCLE_1)
	v_cmp_eq_u32_e32 vcc_lo, 0, v49
	s_and_b32 s1, s0, vcc_lo
	s_and_saveexec_b32 s0, s1
	s_cbranch_execz .LBB1105_87
; %bb.86:
	s_wait_dscnt 0x0
	v_bcnt_u32_b32 v18, v18, v48
	ds_store_b32 v50, v18 offset:64
.LBB1105_87:
	s_or_b32 exec_lo, exec_lo, s0
	; wave barrier
	s_wait_dscnt 0x0
	s_barrier_signal -1
	s_barrier_wait -1
	ds_load_2addr_b32 v[24:25], v26 offset0:16 offset1:17
	ds_load_2addr_b32 v[22:23], v26 offset0:18 offset1:19
	ds_load_2addr_b32 v[20:21], v26 offset0:20 offset1:21
	ds_load_2addr_b32 v[18:19], v26 offset0:22 offset1:23
	ds_load_b32 v51, v26 offset:96
	v_bfe_i32 v54, v33, 4, 1
	s_mov_b32 s5, exec_lo
	s_wait_dscnt 0x3
	v_add3_u32 v52, v25, v24, v22
	s_wait_dscnt 0x2
	s_delay_alu instid0(VALU_DEP_1) | instskip(SKIP_1) | instid1(VALU_DEP_1)
	v_add3_u32 v52, v52, v23, v20
	s_wait_dscnt 0x1
	v_add3_u32 v52, v52, v21, v18
	s_wait_dscnt 0x0
	s_delay_alu instid0(VALU_DEP_1) | instskip(SKIP_1) | instid1(VALU_DEP_2)
	v_add3_u32 v51, v52, v19, v51
	v_and_b32_e32 v52, 15, v33
	v_mov_b32_dpp v53, v51 row_shr:1 row_mask:0xf bank_mask:0xf
	s_delay_alu instid0(VALU_DEP_2) | instskip(NEXT) | instid1(VALU_DEP_2)
	v_cmp_eq_u32_e32 vcc_lo, 0, v52
	v_cndmask_b32_e64 v53, v53, 0, vcc_lo
	s_delay_alu instid0(VALU_DEP_1) | instskip(SKIP_3) | instid1(VALU_DEP_4)
	v_add_nc_u32_e32 v51, v53, v51
	v_cmp_lt_u32_e64 s0, 1, v52
	v_cmp_lt_u32_e64 s1, 3, v52
	v_cmp_lt_u32_e64 s3, 7, v52
	v_mov_b32_dpp v53, v51 row_shr:2 row_mask:0xf bank_mask:0xf
	s_delay_alu instid0(VALU_DEP_1) | instskip(NEXT) | instid1(VALU_DEP_1)
	v_cndmask_b32_e64 v53, 0, v53, s0
	v_add_nc_u32_e32 v51, v51, v53
	s_delay_alu instid0(VALU_DEP_1) | instskip(NEXT) | instid1(VALU_DEP_1)
	v_mov_b32_dpp v53, v51 row_shr:4 row_mask:0xf bank_mask:0xf
	v_cndmask_b32_e64 v53, 0, v53, s1
	s_delay_alu instid0(VALU_DEP_1) | instskip(NEXT) | instid1(VALU_DEP_1)
	v_add_nc_u32_e32 v51, v51, v53
	v_mov_b32_dpp v53, v51 row_shr:8 row_mask:0xf bank_mask:0xf
	s_delay_alu instid0(VALU_DEP_1) | instskip(SKIP_1) | instid1(VALU_DEP_2)
	v_cndmask_b32_e64 v52, 0, v53, s3
	v_and_b32_e32 v53, 0x3e0, v32
	v_add_nc_u32_e32 v51, v51, v52
	s_delay_alu instid0(VALU_DEP_2) | instskip(SKIP_4) | instid1(VALU_DEP_1)
	v_min_u32_e32 v53, 0x1e0, v53
	ds_swizzle_b32 v52, v51 offset:swizzle(BROADCAST,32,15)
	v_or_b32_e32 v53, 31, v53
	s_wait_dscnt 0x0
	v_and_b32_e32 v54, v54, v52
	v_dual_lshrrev_b32 v52, 5, v32 :: v_dual_add_nc_u32 v51, v51, v54
	s_delay_alu instid0(VALU_DEP_3)
	v_cmpx_eq_u32_e64 v32, v53
; %bb.88:
	s_delay_alu instid0(VALU_DEP_2)
	v_lshlrev_b32_e32 v53, 2, v52
	ds_store_b32 v53, v51
; %bb.89:
	s_or_b32 exec_lo, exec_lo, s5
	s_delay_alu instid0(SALU_CYCLE_1)
	s_mov_b32 s5, exec_lo
	s_wait_dscnt 0x0
	s_barrier_signal -1
	s_barrier_wait -1
	v_cmpx_gt_u32_e32 16, v32
	s_cbranch_execz .LBB1105_91
; %bb.90:
	v_lshlrev_b32_e32 v53, 2, v32
	ds_load_b32 v54, v53
	s_wait_dscnt 0x0
	v_mov_b32_dpp v55, v54 row_shr:1 row_mask:0xf bank_mask:0xf
	s_delay_alu instid0(VALU_DEP_1) | instskip(NEXT) | instid1(VALU_DEP_1)
	v_cndmask_b32_e64 v55, v55, 0, vcc_lo
	v_add_nc_u32_e32 v54, v55, v54
	s_delay_alu instid0(VALU_DEP_1) | instskip(NEXT) | instid1(VALU_DEP_1)
	v_mov_b32_dpp v55, v54 row_shr:2 row_mask:0xf bank_mask:0xf
	v_cndmask_b32_e64 v55, 0, v55, s0
	s_delay_alu instid0(VALU_DEP_1) | instskip(NEXT) | instid1(VALU_DEP_1)
	v_add_nc_u32_e32 v54, v54, v55
	v_mov_b32_dpp v55, v54 row_shr:4 row_mask:0xf bank_mask:0xf
	s_delay_alu instid0(VALU_DEP_1) | instskip(NEXT) | instid1(VALU_DEP_1)
	v_cndmask_b32_e64 v55, 0, v55, s1
	v_add_nc_u32_e32 v54, v54, v55
	s_delay_alu instid0(VALU_DEP_1) | instskip(NEXT) | instid1(VALU_DEP_1)
	v_mov_b32_dpp v55, v54 row_shr:8 row_mask:0xf bank_mask:0xf
	v_cndmask_b32_e64 v55, 0, v55, s3
	s_delay_alu instid0(VALU_DEP_1)
	v_add_nc_u32_e32 v54, v54, v55
	ds_store_b32 v53, v54
.LBB1105_91:
	s_or_b32 exec_lo, exec_lo, s5
	v_mov_b32_e32 v53, 0
	s_mov_b32 s0, exec_lo
	s_wait_dscnt 0x0
	s_barrier_signal -1
	s_barrier_wait -1
	v_cmpx_lt_u32_e32 31, v32
; %bb.92:
	v_lshl_add_u32 v52, v52, 2, -4
	ds_load_b32 v53, v52
; %bb.93:
	s_or_b32 exec_lo, exec_lo, s0
	v_sub_co_u32 v52, vcc_lo, v33, 1
	s_wait_dscnt 0x0
	v_add_nc_u32_e32 v51, v53, v51
	s_delay_alu instid0(VALU_DEP_2) | instskip(NEXT) | instid1(VALU_DEP_1)
	v_cmp_gt_i32_e64 s0, 0, v52
	v_cndmask_b32_e64 v33, v52, v33, s0
	v_cmp_lt_u32_e64 s0, 0xff, v32
	s_delay_alu instid0(VALU_DEP_2) | instskip(SKIP_4) | instid1(VALU_DEP_2)
	v_lshlrev_b32_e32 v33, 2, v33
	ds_bpermute_b32 v33, v33, v51
	s_wait_dscnt 0x0
	v_cndmask_b32_e32 v33, v33, v53, vcc_lo
	v_cmp_gt_u32_e32 vcc_lo, 0x100, v32
	v_cndmask_b32_e64 v33, v33, 0, s2
	s_delay_alu instid0(VALU_DEP_1) | instskip(NEXT) | instid1(VALU_DEP_1)
	v_add_nc_u32_e32 v24, v33, v24
	v_add_nc_u32_e32 v25, v24, v25
	s_delay_alu instid0(VALU_DEP_1) | instskip(NEXT) | instid1(VALU_DEP_1)
	v_add_nc_u32_e32 v22, v25, v22
	v_add_nc_u32_e32 v23, v22, v23
	;; [unrolled: 3-line block ×4, first 2 shown]
	ds_store_2addr_b32 v26, v33, v24 offset0:16 offset1:17
	ds_store_2addr_b32 v26, v25, v22 offset0:18 offset1:19
	;; [unrolled: 1-line block ×4, first 2 shown]
	ds_store_b32 v26, v19 offset:96
	s_wait_dscnt 0x0
	s_barrier_signal -1
	s_barrier_wait -1
	ds_load_b32 v51, v27 offset:64
	ds_load_b32 v21, v28 offset:64
	;; [unrolled: 1-line block ×8, first 2 shown]
	v_mov_b64_e32 v[18:19], 0
                                        ; implicit-def: $vgpr20
	s_and_saveexec_b32 s2, vcc_lo
	s_cbranch_execz .LBB1105_97
; %bb.94:
	v_mul_u32_u24_e32 v18, 0x44, v32
	v_dual_mov_b32 v19, 0x1000 :: v_dual_add_nc_u32 v20, 1, v32
	s_mov_b32 s3, exec_lo
	ds_load_b32 v18, v18 offset:64
	v_cmpx_ne_u32_e32 0x100, v20
; %bb.95:
	v_mul_u32_u24_e32 v19, 0x44, v20
	ds_load_b32 v19, v19 offset:64
; %bb.96:
	s_or_b32 exec_lo, exec_lo, s3
	s_wait_dscnt 0x0
	v_dual_mov_b32 v19, 0 :: v_dual_sub_nc_u32 v20, v19, v18
.LBB1105_97:
	s_or_b32 exec_lo, exec_lo, s2
	v_mov_b32_e32 v23, 0
	s_wait_dscnt 0x0
	s_barrier_signal -1
	s_barrier_wait -1
	s_and_saveexec_b32 s1, vcc_lo
	s_cbranch_execz .LBB1105_107
; %bb.98:
	v_lshl_add_u32 v22, s19, 8, v32
	v_dual_mov_b32 v26, 0 :: v_dual_bitop2_b32 v27, 2.0, v20 bitop3:0x54
	s_mov_b32 s2, 0
	s_mov_b32 s3, s19
	s_delay_alu instid0(VALU_DEP_2)
	v_lshl_add_u64 v[24:25], v[22:23], 2, s[20:21]
	global_store_b32 v22, v27, s[20:21] scale_offset scope:SCOPE_DEV
                                        ; implicit-def: $sgpr4
	s_branch .LBB1105_101
.LBB1105_99:                            ;   in Loop: Header=BB1105_101 Depth=1
	s_or_b32 exec_lo, exec_lo, s5
.LBB1105_100:                           ;   in Loop: Header=BB1105_101 Depth=1
	s_delay_alu instid0(SALU_CYCLE_1) | instskip(SKIP_2) | instid1(VALU_DEP_2)
	s_or_b32 exec_lo, exec_lo, s4
	v_and_b32_e32 v22, 0x3fffffff, v27
	v_cmp_gt_i32_e64 s4, -2.0, v27
	v_add_nc_u32_e32 v26, v22, v26
	s_and_b32 s5, exec_lo, s4
	s_delay_alu instid0(SALU_CYCLE_1) | instskip(NEXT) | instid1(SALU_CYCLE_1)
	s_or_b32 s2, s5, s2
	s_and_not1_b32 exec_lo, exec_lo, s2
	s_cbranch_execz .LBB1105_106
.LBB1105_101:                           ; =>This Loop Header: Depth=1
                                        ;     Child Loop BB1105_104 Depth 2
	s_or_b32 s4, s4, exec_lo
	s_cmp_eq_u32 s3, 0
	s_cbranch_scc1 .LBB1105_105
; %bb.102:                              ;   in Loop: Header=BB1105_101 Depth=1
	s_add_co_i32 s3, s3, -1
	s_mov_b32 s4, exec_lo
	s_wait_xcnt 0x0
	v_lshl_or_b32 v22, s3, 8, v32
	global_load_b32 v27, v22, s[20:21] scale_offset scope:SCOPE_DEV
	s_wait_loadcnt 0x0
	v_cmpx_gt_u32_e32 2.0, v27
	s_cbranch_execz .LBB1105_100
; %bb.103:                              ;   in Loop: Header=BB1105_101 Depth=1
	v_lshl_add_u64 v[28:29], v[22:23], 2, s[20:21]
	s_mov_b32 s5, 0
.LBB1105_104:                           ;   Parent Loop BB1105_101 Depth=1
                                        ; =>  This Inner Loop Header: Depth=2
	global_load_b32 v27, v[28:29], off scope:SCOPE_DEV
	s_wait_loadcnt 0x0
	v_cmp_lt_u32_e32 vcc_lo, 0x3fffffff, v27
	s_or_b32 s5, vcc_lo, s5
	s_wait_xcnt 0x0
	s_and_not1_b32 exec_lo, exec_lo, s5
	s_cbranch_execnz .LBB1105_104
	s_branch .LBB1105_99
.LBB1105_105:                           ;   in Loop: Header=BB1105_101 Depth=1
                                        ; implicit-def: $sgpr3
	s_and_b32 s5, exec_lo, s4
	s_delay_alu instid0(SALU_CYCLE_1)
	s_or_b32 s2, s5, s2
	s_wait_xcnt 0x0
	s_and_not1_b32 exec_lo, exec_lo, s2
	s_cbranch_execnz .LBB1105_101
.LBB1105_106:
	s_or_b32 exec_lo, exec_lo, s2
	v_dual_mov_b32 v27, 0 :: v_dual_add_nc_u32 v22, v26, v20
	s_delay_alu instid0(VALU_DEP_1) | instskip(SKIP_4) | instid1(VALU_DEP_1)
	v_or_b32_e32 v22, 0x80000000, v22
	global_store_b32 v[24:25], v22, off scope:SCOPE_DEV
	global_load_b64 v[22:23], v32, s[8:9] scale_offset
	v_sub_nc_u64_e32 v[24:25], v[26:27], v[18:19]
	s_wait_loadcnt 0x0
	v_add_nc_u64_e32 v[22:23], v[24:25], v[22:23]
	ds_store_b64 v2, v[22:23]
.LBB1105_107:
	s_wait_xcnt 0x0
	s_or_b32 exec_lo, exec_lo, s1
	v_dual_mov_b32 v3, 0 :: v_dual_add_nc_u32 v24, v51, v3
	v_add3_u32 v25, v49, v50, v48
	v_add3_u32 v26, v46, v47, v45
	v_add3_u32 v27, v43, v44, v42
	v_add3_u32 v28, v40, v41, v39
	v_add_nc_u64_e32 v[22:23], s[14:15], v[2:3]
	v_add3_u32 v29, v37, v38, v36
	v_add3_u32 v3, v35, v33, v34
	;; [unrolled: 1-line block ×3, first 2 shown]
	s_mov_b32 s2, -1
	s_mov_b32 s1, 0
.LBB1105_108:                           ; =>This Inner Loop Header: Depth=1
	s_wait_xcnt 0x3
	v_add_min_u32_e64 v30, v24, s1, 0x800
	v_add_min_u32_e64 v31, v21, s1, 0x800
	;; [unrolled: 1-line block ×5, first 2 shown]
	s_wait_xcnt 0x2
	v_add_min_u32_e64 v36, v27, s1, 0x800
	v_add_min_u32_e64 v37, v26, s1, 0x800
	s_wait_xcnt 0x1
	v_add_min_u32_e64 v38, v25, s1, 0x800
	v_dual_lshlrev_b32 v30, 3, v30 :: v_dual_lshlrev_b32 v31, 3, v31
	v_dual_lshlrev_b32 v33, 3, v33 :: v_dual_lshlrev_b32 v34, 3, v34
	;; [unrolled: 1-line block ×3, first 2 shown]
	s_delay_alu instid0(VALU_DEP_4)
	v_dual_lshlrev_b32 v37, 3, v37 :: v_dual_lshlrev_b32 v38, 3, v38
	ds_store_b64 v30, v[4:5] offset:2048
	ds_store_b64 v31, v[0:1] offset:2048
	;; [unrolled: 1-line block ×8, first 2 shown]
	s_wait_storecnt_dscnt 0x0
	s_barrier_signal -1
	s_barrier_wait -1
	ds_load_2addr_stride64_b64 v[34:37], v2 offset0:4 offset1:12
	s_wait_xcnt 0x0
	ds_load_2addr_stride64_b64 v[38:41], v2 offset0:20 offset1:28
	s_addk_co_i32 s1, 0xf800
	s_and_b32 vcc_lo, exec_lo, s2
	s_mov_b32 s2, 0
	s_wait_dscnt 0x1
	v_lshrrev_b64 v[30:31], s16, v[34:35]
	s_wait_dscnt 0x0
	v_lshrrev_b64 v[44:45], s16, v[38:39]
	v_lshrrev_b64 v[42:43], s16, v[36:37]
	;; [unrolled: 1-line block ×3, first 2 shown]
	v_xor_b32_e32 v36, -1, v36
	v_xor_b32_e32 v35, 0x7fffffff, v35
	v_xor_b32_e32 v34, -1, v34
	v_xor_b32_e32 v37, 0x7fffffff, v37
	v_and_b32_e32 v33, s7, v44
	v_and_b32_e32 v31, s7, v42
	;; [unrolled: 1-line block ×3, first 2 shown]
	v_xor_b32_e32 v39, 0x7fffffff, v39
	s_delay_alu instid0(VALU_DEP_4) | instskip(NEXT) | instid1(VALU_DEP_4)
	v_dual_lshlrev_b32 v33, 3, v33 :: v_dual_bitop2_b32 v38, -1, v38 bitop3:0x14
	v_dual_lshlrev_b32 v43, 3, v31 :: v_dual_bitop2_b32 v30, s7, v30 bitop3:0x40
	s_delay_alu instid0(VALU_DEP_4) | instskip(SKIP_1) | instid1(VALU_DEP_3)
	v_lshlrev_b32_e32 v46, 3, v42
	v_xor_b32_e32 v41, 0x7fffffff, v41
	v_dual_lshlrev_b32 v30, 3, v30 :: v_dual_bitop2_b32 v40, -1, v40 bitop3:0x14
	ds_load_b64 v[30:31], v30
	ds_load_b64 v[42:43], v43
	;; [unrolled: 1-line block ×4, first 2 shown]
	s_wait_dscnt 0x3
	v_lshl_add_u64 v[30:31], v[30:31], 3, v[22:23]
	s_wait_dscnt 0x2
	v_lshl_add_u64 v[42:43], v[42:43], 3, v[22:23]
	;; [unrolled: 2-line block ×4, first 2 shown]
	v_add_nc_u64_e32 v[22:23], 0x4000, v[22:23]
	s_clause 0x3
	global_store_b64 v[30:31], v[34:35], off
	global_store_b64 v[42:43], v[36:37], off offset:4096
	global_store_b64 v[44:45], v[38:39], off offset:8192
	;; [unrolled: 1-line block ×3, first 2 shown]
	s_wait_storecnt 0x0
	s_barrier_signal -1
	s_barrier_wait -1
	s_cbranch_vccnz .LBB1105_108
; %bb.109:
	s_add_co_i32 s12, s12, -1
	s_delay_alu instid0(SALU_CYCLE_1) | instskip(SKIP_2) | instid1(SALU_CYCLE_1)
	s_cmp_eq_u32 s19, s12
	s_cselect_b32 s1, -1, 0
	s_xor_b32 s0, s0, -1
	s_and_b32 s0, s0, s1
	s_wait_xcnt 0x0
	s_and_saveexec_b32 s1, s0
	s_cbranch_execz .LBB1105_111
; %bb.110:
	ds_load_b64 v[0:1], v2
	v_mov_b32_e32 v21, 0
	s_delay_alu instid0(VALU_DEP_1) | instskip(SKIP_1) | instid1(VALU_DEP_1)
	v_add_nc_u64_e32 v[2:3], v[18:19], v[20:21]
	s_wait_dscnt 0x0
	v_add_nc_u64_e32 v[0:1], v[2:3], v[0:1]
	global_store_b64 v32, v[0:1], s[10:11] scale_offset
.LBB1105_111:
	s_endpgm
	.section	.rodata,"a",@progbits
	.p2align	6, 0x0
	.amdhsa_kernel _ZN7rocprim17ROCPRIM_400000_NS6detail17trampoline_kernelINS0_14default_configENS1_35radix_sort_onesweep_config_selectorIlNS0_10empty_typeEEEZZNS1_29radix_sort_onesweep_iterationIS3_Lb1EPKlPlPS5_SB_mNS0_19identity_decomposerENS1_16block_id_wrapperIjLb1EEEEE10hipError_tT1_PNSt15iterator_traitsISG_E10value_typeET2_T3_PNSH_ISM_E10value_typeET4_T5_PSR_SS_PNS1_23onesweep_lookback_stateEbbT6_jjT7_P12ihipStream_tbENKUlT_T0_SG_SL_E_clISA_SA_SB_SB_EEDaSZ_S10_SG_SL_EUlSZ_E_NS1_11comp_targetILNS1_3genE0ELNS1_11target_archE4294967295ELNS1_3gpuE0ELNS1_3repE0EEENS1_47radix_sort_onesweep_sort_config_static_selectorELNS0_4arch9wavefront6targetE0EEEvSG_
		.amdhsa_group_segment_fixed_size 18504
		.amdhsa_private_segment_fixed_size 0
		.amdhsa_kernarg_size 344
		.amdhsa_user_sgpr_count 2
		.amdhsa_user_sgpr_dispatch_ptr 0
		.amdhsa_user_sgpr_queue_ptr 0
		.amdhsa_user_sgpr_kernarg_segment_ptr 1
		.amdhsa_user_sgpr_dispatch_id 0
		.amdhsa_user_sgpr_kernarg_preload_length 0
		.amdhsa_user_sgpr_kernarg_preload_offset 0
		.amdhsa_user_sgpr_private_segment_size 0
		.amdhsa_wavefront_size32 1
		.amdhsa_uses_dynamic_stack 0
		.amdhsa_enable_private_segment 0
		.amdhsa_system_sgpr_workgroup_id_x 1
		.amdhsa_system_sgpr_workgroup_id_y 0
		.amdhsa_system_sgpr_workgroup_id_z 0
		.amdhsa_system_sgpr_workgroup_info 0
		.amdhsa_system_vgpr_workitem_id 2
		.amdhsa_next_free_vgpr 57
		.amdhsa_next_free_sgpr 28
		.amdhsa_named_barrier_count 0
		.amdhsa_reserve_vcc 1
		.amdhsa_float_round_mode_32 0
		.amdhsa_float_round_mode_16_64 0
		.amdhsa_float_denorm_mode_32 3
		.amdhsa_float_denorm_mode_16_64 3
		.amdhsa_fp16_overflow 0
		.amdhsa_memory_ordered 1
		.amdhsa_forward_progress 1
		.amdhsa_inst_pref_size 90
		.amdhsa_round_robin_scheduling 0
		.amdhsa_exception_fp_ieee_invalid_op 0
		.amdhsa_exception_fp_denorm_src 0
		.amdhsa_exception_fp_ieee_div_zero 0
		.amdhsa_exception_fp_ieee_overflow 0
		.amdhsa_exception_fp_ieee_underflow 0
		.amdhsa_exception_fp_ieee_inexact 0
		.amdhsa_exception_int_div_zero 0
	.end_amdhsa_kernel
	.section	.text._ZN7rocprim17ROCPRIM_400000_NS6detail17trampoline_kernelINS0_14default_configENS1_35radix_sort_onesweep_config_selectorIlNS0_10empty_typeEEEZZNS1_29radix_sort_onesweep_iterationIS3_Lb1EPKlPlPS5_SB_mNS0_19identity_decomposerENS1_16block_id_wrapperIjLb1EEEEE10hipError_tT1_PNSt15iterator_traitsISG_E10value_typeET2_T3_PNSH_ISM_E10value_typeET4_T5_PSR_SS_PNS1_23onesweep_lookback_stateEbbT6_jjT7_P12ihipStream_tbENKUlT_T0_SG_SL_E_clISA_SA_SB_SB_EEDaSZ_S10_SG_SL_EUlSZ_E_NS1_11comp_targetILNS1_3genE0ELNS1_11target_archE4294967295ELNS1_3gpuE0ELNS1_3repE0EEENS1_47radix_sort_onesweep_sort_config_static_selectorELNS0_4arch9wavefront6targetE0EEEvSG_,"axG",@progbits,_ZN7rocprim17ROCPRIM_400000_NS6detail17trampoline_kernelINS0_14default_configENS1_35radix_sort_onesweep_config_selectorIlNS0_10empty_typeEEEZZNS1_29radix_sort_onesweep_iterationIS3_Lb1EPKlPlPS5_SB_mNS0_19identity_decomposerENS1_16block_id_wrapperIjLb1EEEEE10hipError_tT1_PNSt15iterator_traitsISG_E10value_typeET2_T3_PNSH_ISM_E10value_typeET4_T5_PSR_SS_PNS1_23onesweep_lookback_stateEbbT6_jjT7_P12ihipStream_tbENKUlT_T0_SG_SL_E_clISA_SA_SB_SB_EEDaSZ_S10_SG_SL_EUlSZ_E_NS1_11comp_targetILNS1_3genE0ELNS1_11target_archE4294967295ELNS1_3gpuE0ELNS1_3repE0EEENS1_47radix_sort_onesweep_sort_config_static_selectorELNS0_4arch9wavefront6targetE0EEEvSG_,comdat
.Lfunc_end1105:
	.size	_ZN7rocprim17ROCPRIM_400000_NS6detail17trampoline_kernelINS0_14default_configENS1_35radix_sort_onesweep_config_selectorIlNS0_10empty_typeEEEZZNS1_29radix_sort_onesweep_iterationIS3_Lb1EPKlPlPS5_SB_mNS0_19identity_decomposerENS1_16block_id_wrapperIjLb1EEEEE10hipError_tT1_PNSt15iterator_traitsISG_E10value_typeET2_T3_PNSH_ISM_E10value_typeET4_T5_PSR_SS_PNS1_23onesweep_lookback_stateEbbT6_jjT7_P12ihipStream_tbENKUlT_T0_SG_SL_E_clISA_SA_SB_SB_EEDaSZ_S10_SG_SL_EUlSZ_E_NS1_11comp_targetILNS1_3genE0ELNS1_11target_archE4294967295ELNS1_3gpuE0ELNS1_3repE0EEENS1_47radix_sort_onesweep_sort_config_static_selectorELNS0_4arch9wavefront6targetE0EEEvSG_, .Lfunc_end1105-_ZN7rocprim17ROCPRIM_400000_NS6detail17trampoline_kernelINS0_14default_configENS1_35radix_sort_onesweep_config_selectorIlNS0_10empty_typeEEEZZNS1_29radix_sort_onesweep_iterationIS3_Lb1EPKlPlPS5_SB_mNS0_19identity_decomposerENS1_16block_id_wrapperIjLb1EEEEE10hipError_tT1_PNSt15iterator_traitsISG_E10value_typeET2_T3_PNSH_ISM_E10value_typeET4_T5_PSR_SS_PNS1_23onesweep_lookback_stateEbbT6_jjT7_P12ihipStream_tbENKUlT_T0_SG_SL_E_clISA_SA_SB_SB_EEDaSZ_S10_SG_SL_EUlSZ_E_NS1_11comp_targetILNS1_3genE0ELNS1_11target_archE4294967295ELNS1_3gpuE0ELNS1_3repE0EEENS1_47radix_sort_onesweep_sort_config_static_selectorELNS0_4arch9wavefront6targetE0EEEvSG_
                                        ; -- End function
	.set _ZN7rocprim17ROCPRIM_400000_NS6detail17trampoline_kernelINS0_14default_configENS1_35radix_sort_onesweep_config_selectorIlNS0_10empty_typeEEEZZNS1_29radix_sort_onesweep_iterationIS3_Lb1EPKlPlPS5_SB_mNS0_19identity_decomposerENS1_16block_id_wrapperIjLb1EEEEE10hipError_tT1_PNSt15iterator_traitsISG_E10value_typeET2_T3_PNSH_ISM_E10value_typeET4_T5_PSR_SS_PNS1_23onesweep_lookback_stateEbbT6_jjT7_P12ihipStream_tbENKUlT_T0_SG_SL_E_clISA_SA_SB_SB_EEDaSZ_S10_SG_SL_EUlSZ_E_NS1_11comp_targetILNS1_3genE0ELNS1_11target_archE4294967295ELNS1_3gpuE0ELNS1_3repE0EEENS1_47radix_sort_onesweep_sort_config_static_selectorELNS0_4arch9wavefront6targetE0EEEvSG_.num_vgpr, 57
	.set _ZN7rocprim17ROCPRIM_400000_NS6detail17trampoline_kernelINS0_14default_configENS1_35radix_sort_onesweep_config_selectorIlNS0_10empty_typeEEEZZNS1_29radix_sort_onesweep_iterationIS3_Lb1EPKlPlPS5_SB_mNS0_19identity_decomposerENS1_16block_id_wrapperIjLb1EEEEE10hipError_tT1_PNSt15iterator_traitsISG_E10value_typeET2_T3_PNSH_ISM_E10value_typeET4_T5_PSR_SS_PNS1_23onesweep_lookback_stateEbbT6_jjT7_P12ihipStream_tbENKUlT_T0_SG_SL_E_clISA_SA_SB_SB_EEDaSZ_S10_SG_SL_EUlSZ_E_NS1_11comp_targetILNS1_3genE0ELNS1_11target_archE4294967295ELNS1_3gpuE0ELNS1_3repE0EEENS1_47radix_sort_onesweep_sort_config_static_selectorELNS0_4arch9wavefront6targetE0EEEvSG_.num_agpr, 0
	.set _ZN7rocprim17ROCPRIM_400000_NS6detail17trampoline_kernelINS0_14default_configENS1_35radix_sort_onesweep_config_selectorIlNS0_10empty_typeEEEZZNS1_29radix_sort_onesweep_iterationIS3_Lb1EPKlPlPS5_SB_mNS0_19identity_decomposerENS1_16block_id_wrapperIjLb1EEEEE10hipError_tT1_PNSt15iterator_traitsISG_E10value_typeET2_T3_PNSH_ISM_E10value_typeET4_T5_PSR_SS_PNS1_23onesweep_lookback_stateEbbT6_jjT7_P12ihipStream_tbENKUlT_T0_SG_SL_E_clISA_SA_SB_SB_EEDaSZ_S10_SG_SL_EUlSZ_E_NS1_11comp_targetILNS1_3genE0ELNS1_11target_archE4294967295ELNS1_3gpuE0ELNS1_3repE0EEENS1_47radix_sort_onesweep_sort_config_static_selectorELNS0_4arch9wavefront6targetE0EEEvSG_.numbered_sgpr, 28
	.set _ZN7rocprim17ROCPRIM_400000_NS6detail17trampoline_kernelINS0_14default_configENS1_35radix_sort_onesweep_config_selectorIlNS0_10empty_typeEEEZZNS1_29radix_sort_onesweep_iterationIS3_Lb1EPKlPlPS5_SB_mNS0_19identity_decomposerENS1_16block_id_wrapperIjLb1EEEEE10hipError_tT1_PNSt15iterator_traitsISG_E10value_typeET2_T3_PNSH_ISM_E10value_typeET4_T5_PSR_SS_PNS1_23onesweep_lookback_stateEbbT6_jjT7_P12ihipStream_tbENKUlT_T0_SG_SL_E_clISA_SA_SB_SB_EEDaSZ_S10_SG_SL_EUlSZ_E_NS1_11comp_targetILNS1_3genE0ELNS1_11target_archE4294967295ELNS1_3gpuE0ELNS1_3repE0EEENS1_47radix_sort_onesweep_sort_config_static_selectorELNS0_4arch9wavefront6targetE0EEEvSG_.num_named_barrier, 0
	.set _ZN7rocprim17ROCPRIM_400000_NS6detail17trampoline_kernelINS0_14default_configENS1_35radix_sort_onesweep_config_selectorIlNS0_10empty_typeEEEZZNS1_29radix_sort_onesweep_iterationIS3_Lb1EPKlPlPS5_SB_mNS0_19identity_decomposerENS1_16block_id_wrapperIjLb1EEEEE10hipError_tT1_PNSt15iterator_traitsISG_E10value_typeET2_T3_PNSH_ISM_E10value_typeET4_T5_PSR_SS_PNS1_23onesweep_lookback_stateEbbT6_jjT7_P12ihipStream_tbENKUlT_T0_SG_SL_E_clISA_SA_SB_SB_EEDaSZ_S10_SG_SL_EUlSZ_E_NS1_11comp_targetILNS1_3genE0ELNS1_11target_archE4294967295ELNS1_3gpuE0ELNS1_3repE0EEENS1_47radix_sort_onesweep_sort_config_static_selectorELNS0_4arch9wavefront6targetE0EEEvSG_.private_seg_size, 0
	.set _ZN7rocprim17ROCPRIM_400000_NS6detail17trampoline_kernelINS0_14default_configENS1_35radix_sort_onesweep_config_selectorIlNS0_10empty_typeEEEZZNS1_29radix_sort_onesweep_iterationIS3_Lb1EPKlPlPS5_SB_mNS0_19identity_decomposerENS1_16block_id_wrapperIjLb1EEEEE10hipError_tT1_PNSt15iterator_traitsISG_E10value_typeET2_T3_PNSH_ISM_E10value_typeET4_T5_PSR_SS_PNS1_23onesweep_lookback_stateEbbT6_jjT7_P12ihipStream_tbENKUlT_T0_SG_SL_E_clISA_SA_SB_SB_EEDaSZ_S10_SG_SL_EUlSZ_E_NS1_11comp_targetILNS1_3genE0ELNS1_11target_archE4294967295ELNS1_3gpuE0ELNS1_3repE0EEENS1_47radix_sort_onesweep_sort_config_static_selectorELNS0_4arch9wavefront6targetE0EEEvSG_.uses_vcc, 1
	.set _ZN7rocprim17ROCPRIM_400000_NS6detail17trampoline_kernelINS0_14default_configENS1_35radix_sort_onesweep_config_selectorIlNS0_10empty_typeEEEZZNS1_29radix_sort_onesweep_iterationIS3_Lb1EPKlPlPS5_SB_mNS0_19identity_decomposerENS1_16block_id_wrapperIjLb1EEEEE10hipError_tT1_PNSt15iterator_traitsISG_E10value_typeET2_T3_PNSH_ISM_E10value_typeET4_T5_PSR_SS_PNS1_23onesweep_lookback_stateEbbT6_jjT7_P12ihipStream_tbENKUlT_T0_SG_SL_E_clISA_SA_SB_SB_EEDaSZ_S10_SG_SL_EUlSZ_E_NS1_11comp_targetILNS1_3genE0ELNS1_11target_archE4294967295ELNS1_3gpuE0ELNS1_3repE0EEENS1_47radix_sort_onesweep_sort_config_static_selectorELNS0_4arch9wavefront6targetE0EEEvSG_.uses_flat_scratch, 0
	.set _ZN7rocprim17ROCPRIM_400000_NS6detail17trampoline_kernelINS0_14default_configENS1_35radix_sort_onesweep_config_selectorIlNS0_10empty_typeEEEZZNS1_29radix_sort_onesweep_iterationIS3_Lb1EPKlPlPS5_SB_mNS0_19identity_decomposerENS1_16block_id_wrapperIjLb1EEEEE10hipError_tT1_PNSt15iterator_traitsISG_E10value_typeET2_T3_PNSH_ISM_E10value_typeET4_T5_PSR_SS_PNS1_23onesweep_lookback_stateEbbT6_jjT7_P12ihipStream_tbENKUlT_T0_SG_SL_E_clISA_SA_SB_SB_EEDaSZ_S10_SG_SL_EUlSZ_E_NS1_11comp_targetILNS1_3genE0ELNS1_11target_archE4294967295ELNS1_3gpuE0ELNS1_3repE0EEENS1_47radix_sort_onesweep_sort_config_static_selectorELNS0_4arch9wavefront6targetE0EEEvSG_.has_dyn_sized_stack, 0
	.set _ZN7rocprim17ROCPRIM_400000_NS6detail17trampoline_kernelINS0_14default_configENS1_35radix_sort_onesweep_config_selectorIlNS0_10empty_typeEEEZZNS1_29radix_sort_onesweep_iterationIS3_Lb1EPKlPlPS5_SB_mNS0_19identity_decomposerENS1_16block_id_wrapperIjLb1EEEEE10hipError_tT1_PNSt15iterator_traitsISG_E10value_typeET2_T3_PNSH_ISM_E10value_typeET4_T5_PSR_SS_PNS1_23onesweep_lookback_stateEbbT6_jjT7_P12ihipStream_tbENKUlT_T0_SG_SL_E_clISA_SA_SB_SB_EEDaSZ_S10_SG_SL_EUlSZ_E_NS1_11comp_targetILNS1_3genE0ELNS1_11target_archE4294967295ELNS1_3gpuE0ELNS1_3repE0EEENS1_47radix_sort_onesweep_sort_config_static_selectorELNS0_4arch9wavefront6targetE0EEEvSG_.has_recursion, 0
	.set _ZN7rocprim17ROCPRIM_400000_NS6detail17trampoline_kernelINS0_14default_configENS1_35radix_sort_onesweep_config_selectorIlNS0_10empty_typeEEEZZNS1_29radix_sort_onesweep_iterationIS3_Lb1EPKlPlPS5_SB_mNS0_19identity_decomposerENS1_16block_id_wrapperIjLb1EEEEE10hipError_tT1_PNSt15iterator_traitsISG_E10value_typeET2_T3_PNSH_ISM_E10value_typeET4_T5_PSR_SS_PNS1_23onesweep_lookback_stateEbbT6_jjT7_P12ihipStream_tbENKUlT_T0_SG_SL_E_clISA_SA_SB_SB_EEDaSZ_S10_SG_SL_EUlSZ_E_NS1_11comp_targetILNS1_3genE0ELNS1_11target_archE4294967295ELNS1_3gpuE0ELNS1_3repE0EEENS1_47radix_sort_onesweep_sort_config_static_selectorELNS0_4arch9wavefront6targetE0EEEvSG_.has_indirect_call, 0
	.section	.AMDGPU.csdata,"",@progbits
; Kernel info:
; codeLenInByte = 11432
; TotalNumSgprs: 30
; NumVgprs: 57
; ScratchSize: 0
; MemoryBound: 1
; FloatMode: 240
; IeeeMode: 1
; LDSByteSize: 18504 bytes/workgroup (compile time only)
; SGPRBlocks: 0
; VGPRBlocks: 3
; NumSGPRsForWavesPerEU: 30
; NumVGPRsForWavesPerEU: 57
; NamedBarCnt: 0
; Occupancy: 16
; WaveLimiterHint : 1
; COMPUTE_PGM_RSRC2:SCRATCH_EN: 0
; COMPUTE_PGM_RSRC2:USER_SGPR: 2
; COMPUTE_PGM_RSRC2:TRAP_HANDLER: 0
; COMPUTE_PGM_RSRC2:TGID_X_EN: 1
; COMPUTE_PGM_RSRC2:TGID_Y_EN: 0
; COMPUTE_PGM_RSRC2:TGID_Z_EN: 0
; COMPUTE_PGM_RSRC2:TIDIG_COMP_CNT: 2
	.section	.text._ZN7rocprim17ROCPRIM_400000_NS6detail17trampoline_kernelINS0_14default_configENS1_35radix_sort_onesweep_config_selectorIlNS0_10empty_typeEEEZZNS1_29radix_sort_onesweep_iterationIS3_Lb1EPKlPlPS5_SB_mNS0_19identity_decomposerENS1_16block_id_wrapperIjLb1EEEEE10hipError_tT1_PNSt15iterator_traitsISG_E10value_typeET2_T3_PNSH_ISM_E10value_typeET4_T5_PSR_SS_PNS1_23onesweep_lookback_stateEbbT6_jjT7_P12ihipStream_tbENKUlT_T0_SG_SL_E_clISA_SA_SB_SB_EEDaSZ_S10_SG_SL_EUlSZ_E_NS1_11comp_targetILNS1_3genE6ELNS1_11target_archE950ELNS1_3gpuE13ELNS1_3repE0EEENS1_47radix_sort_onesweep_sort_config_static_selectorELNS0_4arch9wavefront6targetE0EEEvSG_,"axG",@progbits,_ZN7rocprim17ROCPRIM_400000_NS6detail17trampoline_kernelINS0_14default_configENS1_35radix_sort_onesweep_config_selectorIlNS0_10empty_typeEEEZZNS1_29radix_sort_onesweep_iterationIS3_Lb1EPKlPlPS5_SB_mNS0_19identity_decomposerENS1_16block_id_wrapperIjLb1EEEEE10hipError_tT1_PNSt15iterator_traitsISG_E10value_typeET2_T3_PNSH_ISM_E10value_typeET4_T5_PSR_SS_PNS1_23onesweep_lookback_stateEbbT6_jjT7_P12ihipStream_tbENKUlT_T0_SG_SL_E_clISA_SA_SB_SB_EEDaSZ_S10_SG_SL_EUlSZ_E_NS1_11comp_targetILNS1_3genE6ELNS1_11target_archE950ELNS1_3gpuE13ELNS1_3repE0EEENS1_47radix_sort_onesweep_sort_config_static_selectorELNS0_4arch9wavefront6targetE0EEEvSG_,comdat
	.protected	_ZN7rocprim17ROCPRIM_400000_NS6detail17trampoline_kernelINS0_14default_configENS1_35radix_sort_onesweep_config_selectorIlNS0_10empty_typeEEEZZNS1_29radix_sort_onesweep_iterationIS3_Lb1EPKlPlPS5_SB_mNS0_19identity_decomposerENS1_16block_id_wrapperIjLb1EEEEE10hipError_tT1_PNSt15iterator_traitsISG_E10value_typeET2_T3_PNSH_ISM_E10value_typeET4_T5_PSR_SS_PNS1_23onesweep_lookback_stateEbbT6_jjT7_P12ihipStream_tbENKUlT_T0_SG_SL_E_clISA_SA_SB_SB_EEDaSZ_S10_SG_SL_EUlSZ_E_NS1_11comp_targetILNS1_3genE6ELNS1_11target_archE950ELNS1_3gpuE13ELNS1_3repE0EEENS1_47radix_sort_onesweep_sort_config_static_selectorELNS0_4arch9wavefront6targetE0EEEvSG_ ; -- Begin function _ZN7rocprim17ROCPRIM_400000_NS6detail17trampoline_kernelINS0_14default_configENS1_35radix_sort_onesweep_config_selectorIlNS0_10empty_typeEEEZZNS1_29radix_sort_onesweep_iterationIS3_Lb1EPKlPlPS5_SB_mNS0_19identity_decomposerENS1_16block_id_wrapperIjLb1EEEEE10hipError_tT1_PNSt15iterator_traitsISG_E10value_typeET2_T3_PNSH_ISM_E10value_typeET4_T5_PSR_SS_PNS1_23onesweep_lookback_stateEbbT6_jjT7_P12ihipStream_tbENKUlT_T0_SG_SL_E_clISA_SA_SB_SB_EEDaSZ_S10_SG_SL_EUlSZ_E_NS1_11comp_targetILNS1_3genE6ELNS1_11target_archE950ELNS1_3gpuE13ELNS1_3repE0EEENS1_47radix_sort_onesweep_sort_config_static_selectorELNS0_4arch9wavefront6targetE0EEEvSG_
	.globl	_ZN7rocprim17ROCPRIM_400000_NS6detail17trampoline_kernelINS0_14default_configENS1_35radix_sort_onesweep_config_selectorIlNS0_10empty_typeEEEZZNS1_29radix_sort_onesweep_iterationIS3_Lb1EPKlPlPS5_SB_mNS0_19identity_decomposerENS1_16block_id_wrapperIjLb1EEEEE10hipError_tT1_PNSt15iterator_traitsISG_E10value_typeET2_T3_PNSH_ISM_E10value_typeET4_T5_PSR_SS_PNS1_23onesweep_lookback_stateEbbT6_jjT7_P12ihipStream_tbENKUlT_T0_SG_SL_E_clISA_SA_SB_SB_EEDaSZ_S10_SG_SL_EUlSZ_E_NS1_11comp_targetILNS1_3genE6ELNS1_11target_archE950ELNS1_3gpuE13ELNS1_3repE0EEENS1_47radix_sort_onesweep_sort_config_static_selectorELNS0_4arch9wavefront6targetE0EEEvSG_
	.p2align	8
	.type	_ZN7rocprim17ROCPRIM_400000_NS6detail17trampoline_kernelINS0_14default_configENS1_35radix_sort_onesweep_config_selectorIlNS0_10empty_typeEEEZZNS1_29radix_sort_onesweep_iterationIS3_Lb1EPKlPlPS5_SB_mNS0_19identity_decomposerENS1_16block_id_wrapperIjLb1EEEEE10hipError_tT1_PNSt15iterator_traitsISG_E10value_typeET2_T3_PNSH_ISM_E10value_typeET4_T5_PSR_SS_PNS1_23onesweep_lookback_stateEbbT6_jjT7_P12ihipStream_tbENKUlT_T0_SG_SL_E_clISA_SA_SB_SB_EEDaSZ_S10_SG_SL_EUlSZ_E_NS1_11comp_targetILNS1_3genE6ELNS1_11target_archE950ELNS1_3gpuE13ELNS1_3repE0EEENS1_47radix_sort_onesweep_sort_config_static_selectorELNS0_4arch9wavefront6targetE0EEEvSG_,@function
_ZN7rocprim17ROCPRIM_400000_NS6detail17trampoline_kernelINS0_14default_configENS1_35radix_sort_onesweep_config_selectorIlNS0_10empty_typeEEEZZNS1_29radix_sort_onesweep_iterationIS3_Lb1EPKlPlPS5_SB_mNS0_19identity_decomposerENS1_16block_id_wrapperIjLb1EEEEE10hipError_tT1_PNSt15iterator_traitsISG_E10value_typeET2_T3_PNSH_ISM_E10value_typeET4_T5_PSR_SS_PNS1_23onesweep_lookback_stateEbbT6_jjT7_P12ihipStream_tbENKUlT_T0_SG_SL_E_clISA_SA_SB_SB_EEDaSZ_S10_SG_SL_EUlSZ_E_NS1_11comp_targetILNS1_3genE6ELNS1_11target_archE950ELNS1_3gpuE13ELNS1_3repE0EEENS1_47radix_sort_onesweep_sort_config_static_selectorELNS0_4arch9wavefront6targetE0EEEvSG_: ; @_ZN7rocprim17ROCPRIM_400000_NS6detail17trampoline_kernelINS0_14default_configENS1_35radix_sort_onesweep_config_selectorIlNS0_10empty_typeEEEZZNS1_29radix_sort_onesweep_iterationIS3_Lb1EPKlPlPS5_SB_mNS0_19identity_decomposerENS1_16block_id_wrapperIjLb1EEEEE10hipError_tT1_PNSt15iterator_traitsISG_E10value_typeET2_T3_PNSH_ISM_E10value_typeET4_T5_PSR_SS_PNS1_23onesweep_lookback_stateEbbT6_jjT7_P12ihipStream_tbENKUlT_T0_SG_SL_E_clISA_SA_SB_SB_EEDaSZ_S10_SG_SL_EUlSZ_E_NS1_11comp_targetILNS1_3genE6ELNS1_11target_archE950ELNS1_3gpuE13ELNS1_3repE0EEENS1_47radix_sort_onesweep_sort_config_static_selectorELNS0_4arch9wavefront6targetE0EEEvSG_
; %bb.0:
	.section	.rodata,"a",@progbits
	.p2align	6, 0x0
	.amdhsa_kernel _ZN7rocprim17ROCPRIM_400000_NS6detail17trampoline_kernelINS0_14default_configENS1_35radix_sort_onesweep_config_selectorIlNS0_10empty_typeEEEZZNS1_29radix_sort_onesweep_iterationIS3_Lb1EPKlPlPS5_SB_mNS0_19identity_decomposerENS1_16block_id_wrapperIjLb1EEEEE10hipError_tT1_PNSt15iterator_traitsISG_E10value_typeET2_T3_PNSH_ISM_E10value_typeET4_T5_PSR_SS_PNS1_23onesweep_lookback_stateEbbT6_jjT7_P12ihipStream_tbENKUlT_T0_SG_SL_E_clISA_SA_SB_SB_EEDaSZ_S10_SG_SL_EUlSZ_E_NS1_11comp_targetILNS1_3genE6ELNS1_11target_archE950ELNS1_3gpuE13ELNS1_3repE0EEENS1_47radix_sort_onesweep_sort_config_static_selectorELNS0_4arch9wavefront6targetE0EEEvSG_
		.amdhsa_group_segment_fixed_size 0
		.amdhsa_private_segment_fixed_size 0
		.amdhsa_kernarg_size 88
		.amdhsa_user_sgpr_count 2
		.amdhsa_user_sgpr_dispatch_ptr 0
		.amdhsa_user_sgpr_queue_ptr 0
		.amdhsa_user_sgpr_kernarg_segment_ptr 1
		.amdhsa_user_sgpr_dispatch_id 0
		.amdhsa_user_sgpr_kernarg_preload_length 0
		.amdhsa_user_sgpr_kernarg_preload_offset 0
		.amdhsa_user_sgpr_private_segment_size 0
		.amdhsa_wavefront_size32 1
		.amdhsa_uses_dynamic_stack 0
		.amdhsa_enable_private_segment 0
		.amdhsa_system_sgpr_workgroup_id_x 1
		.amdhsa_system_sgpr_workgroup_id_y 0
		.amdhsa_system_sgpr_workgroup_id_z 0
		.amdhsa_system_sgpr_workgroup_info 0
		.amdhsa_system_vgpr_workitem_id 0
		.amdhsa_next_free_vgpr 1
		.amdhsa_next_free_sgpr 1
		.amdhsa_named_barrier_count 0
		.amdhsa_reserve_vcc 0
		.amdhsa_float_round_mode_32 0
		.amdhsa_float_round_mode_16_64 0
		.amdhsa_float_denorm_mode_32 3
		.amdhsa_float_denorm_mode_16_64 3
		.amdhsa_fp16_overflow 0
		.amdhsa_memory_ordered 1
		.amdhsa_forward_progress 1
		.amdhsa_inst_pref_size 0
		.amdhsa_round_robin_scheduling 0
		.amdhsa_exception_fp_ieee_invalid_op 0
		.amdhsa_exception_fp_denorm_src 0
		.amdhsa_exception_fp_ieee_div_zero 0
		.amdhsa_exception_fp_ieee_overflow 0
		.amdhsa_exception_fp_ieee_underflow 0
		.amdhsa_exception_fp_ieee_inexact 0
		.amdhsa_exception_int_div_zero 0
	.end_amdhsa_kernel
	.section	.text._ZN7rocprim17ROCPRIM_400000_NS6detail17trampoline_kernelINS0_14default_configENS1_35radix_sort_onesweep_config_selectorIlNS0_10empty_typeEEEZZNS1_29radix_sort_onesweep_iterationIS3_Lb1EPKlPlPS5_SB_mNS0_19identity_decomposerENS1_16block_id_wrapperIjLb1EEEEE10hipError_tT1_PNSt15iterator_traitsISG_E10value_typeET2_T3_PNSH_ISM_E10value_typeET4_T5_PSR_SS_PNS1_23onesweep_lookback_stateEbbT6_jjT7_P12ihipStream_tbENKUlT_T0_SG_SL_E_clISA_SA_SB_SB_EEDaSZ_S10_SG_SL_EUlSZ_E_NS1_11comp_targetILNS1_3genE6ELNS1_11target_archE950ELNS1_3gpuE13ELNS1_3repE0EEENS1_47radix_sort_onesweep_sort_config_static_selectorELNS0_4arch9wavefront6targetE0EEEvSG_,"axG",@progbits,_ZN7rocprim17ROCPRIM_400000_NS6detail17trampoline_kernelINS0_14default_configENS1_35radix_sort_onesweep_config_selectorIlNS0_10empty_typeEEEZZNS1_29radix_sort_onesweep_iterationIS3_Lb1EPKlPlPS5_SB_mNS0_19identity_decomposerENS1_16block_id_wrapperIjLb1EEEEE10hipError_tT1_PNSt15iterator_traitsISG_E10value_typeET2_T3_PNSH_ISM_E10value_typeET4_T5_PSR_SS_PNS1_23onesweep_lookback_stateEbbT6_jjT7_P12ihipStream_tbENKUlT_T0_SG_SL_E_clISA_SA_SB_SB_EEDaSZ_S10_SG_SL_EUlSZ_E_NS1_11comp_targetILNS1_3genE6ELNS1_11target_archE950ELNS1_3gpuE13ELNS1_3repE0EEENS1_47radix_sort_onesweep_sort_config_static_selectorELNS0_4arch9wavefront6targetE0EEEvSG_,comdat
.Lfunc_end1106:
	.size	_ZN7rocprim17ROCPRIM_400000_NS6detail17trampoline_kernelINS0_14default_configENS1_35radix_sort_onesweep_config_selectorIlNS0_10empty_typeEEEZZNS1_29radix_sort_onesweep_iterationIS3_Lb1EPKlPlPS5_SB_mNS0_19identity_decomposerENS1_16block_id_wrapperIjLb1EEEEE10hipError_tT1_PNSt15iterator_traitsISG_E10value_typeET2_T3_PNSH_ISM_E10value_typeET4_T5_PSR_SS_PNS1_23onesweep_lookback_stateEbbT6_jjT7_P12ihipStream_tbENKUlT_T0_SG_SL_E_clISA_SA_SB_SB_EEDaSZ_S10_SG_SL_EUlSZ_E_NS1_11comp_targetILNS1_3genE6ELNS1_11target_archE950ELNS1_3gpuE13ELNS1_3repE0EEENS1_47radix_sort_onesweep_sort_config_static_selectorELNS0_4arch9wavefront6targetE0EEEvSG_, .Lfunc_end1106-_ZN7rocprim17ROCPRIM_400000_NS6detail17trampoline_kernelINS0_14default_configENS1_35radix_sort_onesweep_config_selectorIlNS0_10empty_typeEEEZZNS1_29radix_sort_onesweep_iterationIS3_Lb1EPKlPlPS5_SB_mNS0_19identity_decomposerENS1_16block_id_wrapperIjLb1EEEEE10hipError_tT1_PNSt15iterator_traitsISG_E10value_typeET2_T3_PNSH_ISM_E10value_typeET4_T5_PSR_SS_PNS1_23onesweep_lookback_stateEbbT6_jjT7_P12ihipStream_tbENKUlT_T0_SG_SL_E_clISA_SA_SB_SB_EEDaSZ_S10_SG_SL_EUlSZ_E_NS1_11comp_targetILNS1_3genE6ELNS1_11target_archE950ELNS1_3gpuE13ELNS1_3repE0EEENS1_47radix_sort_onesweep_sort_config_static_selectorELNS0_4arch9wavefront6targetE0EEEvSG_
                                        ; -- End function
	.set _ZN7rocprim17ROCPRIM_400000_NS6detail17trampoline_kernelINS0_14default_configENS1_35radix_sort_onesweep_config_selectorIlNS0_10empty_typeEEEZZNS1_29radix_sort_onesweep_iterationIS3_Lb1EPKlPlPS5_SB_mNS0_19identity_decomposerENS1_16block_id_wrapperIjLb1EEEEE10hipError_tT1_PNSt15iterator_traitsISG_E10value_typeET2_T3_PNSH_ISM_E10value_typeET4_T5_PSR_SS_PNS1_23onesweep_lookback_stateEbbT6_jjT7_P12ihipStream_tbENKUlT_T0_SG_SL_E_clISA_SA_SB_SB_EEDaSZ_S10_SG_SL_EUlSZ_E_NS1_11comp_targetILNS1_3genE6ELNS1_11target_archE950ELNS1_3gpuE13ELNS1_3repE0EEENS1_47radix_sort_onesweep_sort_config_static_selectorELNS0_4arch9wavefront6targetE0EEEvSG_.num_vgpr, 0
	.set _ZN7rocprim17ROCPRIM_400000_NS6detail17trampoline_kernelINS0_14default_configENS1_35radix_sort_onesweep_config_selectorIlNS0_10empty_typeEEEZZNS1_29radix_sort_onesweep_iterationIS3_Lb1EPKlPlPS5_SB_mNS0_19identity_decomposerENS1_16block_id_wrapperIjLb1EEEEE10hipError_tT1_PNSt15iterator_traitsISG_E10value_typeET2_T3_PNSH_ISM_E10value_typeET4_T5_PSR_SS_PNS1_23onesweep_lookback_stateEbbT6_jjT7_P12ihipStream_tbENKUlT_T0_SG_SL_E_clISA_SA_SB_SB_EEDaSZ_S10_SG_SL_EUlSZ_E_NS1_11comp_targetILNS1_3genE6ELNS1_11target_archE950ELNS1_3gpuE13ELNS1_3repE0EEENS1_47radix_sort_onesweep_sort_config_static_selectorELNS0_4arch9wavefront6targetE0EEEvSG_.num_agpr, 0
	.set _ZN7rocprim17ROCPRIM_400000_NS6detail17trampoline_kernelINS0_14default_configENS1_35radix_sort_onesweep_config_selectorIlNS0_10empty_typeEEEZZNS1_29radix_sort_onesweep_iterationIS3_Lb1EPKlPlPS5_SB_mNS0_19identity_decomposerENS1_16block_id_wrapperIjLb1EEEEE10hipError_tT1_PNSt15iterator_traitsISG_E10value_typeET2_T3_PNSH_ISM_E10value_typeET4_T5_PSR_SS_PNS1_23onesweep_lookback_stateEbbT6_jjT7_P12ihipStream_tbENKUlT_T0_SG_SL_E_clISA_SA_SB_SB_EEDaSZ_S10_SG_SL_EUlSZ_E_NS1_11comp_targetILNS1_3genE6ELNS1_11target_archE950ELNS1_3gpuE13ELNS1_3repE0EEENS1_47radix_sort_onesweep_sort_config_static_selectorELNS0_4arch9wavefront6targetE0EEEvSG_.numbered_sgpr, 0
	.set _ZN7rocprim17ROCPRIM_400000_NS6detail17trampoline_kernelINS0_14default_configENS1_35radix_sort_onesweep_config_selectorIlNS0_10empty_typeEEEZZNS1_29radix_sort_onesweep_iterationIS3_Lb1EPKlPlPS5_SB_mNS0_19identity_decomposerENS1_16block_id_wrapperIjLb1EEEEE10hipError_tT1_PNSt15iterator_traitsISG_E10value_typeET2_T3_PNSH_ISM_E10value_typeET4_T5_PSR_SS_PNS1_23onesweep_lookback_stateEbbT6_jjT7_P12ihipStream_tbENKUlT_T0_SG_SL_E_clISA_SA_SB_SB_EEDaSZ_S10_SG_SL_EUlSZ_E_NS1_11comp_targetILNS1_3genE6ELNS1_11target_archE950ELNS1_3gpuE13ELNS1_3repE0EEENS1_47radix_sort_onesweep_sort_config_static_selectorELNS0_4arch9wavefront6targetE0EEEvSG_.num_named_barrier, 0
	.set _ZN7rocprim17ROCPRIM_400000_NS6detail17trampoline_kernelINS0_14default_configENS1_35radix_sort_onesweep_config_selectorIlNS0_10empty_typeEEEZZNS1_29radix_sort_onesweep_iterationIS3_Lb1EPKlPlPS5_SB_mNS0_19identity_decomposerENS1_16block_id_wrapperIjLb1EEEEE10hipError_tT1_PNSt15iterator_traitsISG_E10value_typeET2_T3_PNSH_ISM_E10value_typeET4_T5_PSR_SS_PNS1_23onesweep_lookback_stateEbbT6_jjT7_P12ihipStream_tbENKUlT_T0_SG_SL_E_clISA_SA_SB_SB_EEDaSZ_S10_SG_SL_EUlSZ_E_NS1_11comp_targetILNS1_3genE6ELNS1_11target_archE950ELNS1_3gpuE13ELNS1_3repE0EEENS1_47radix_sort_onesweep_sort_config_static_selectorELNS0_4arch9wavefront6targetE0EEEvSG_.private_seg_size, 0
	.set _ZN7rocprim17ROCPRIM_400000_NS6detail17trampoline_kernelINS0_14default_configENS1_35radix_sort_onesweep_config_selectorIlNS0_10empty_typeEEEZZNS1_29radix_sort_onesweep_iterationIS3_Lb1EPKlPlPS5_SB_mNS0_19identity_decomposerENS1_16block_id_wrapperIjLb1EEEEE10hipError_tT1_PNSt15iterator_traitsISG_E10value_typeET2_T3_PNSH_ISM_E10value_typeET4_T5_PSR_SS_PNS1_23onesweep_lookback_stateEbbT6_jjT7_P12ihipStream_tbENKUlT_T0_SG_SL_E_clISA_SA_SB_SB_EEDaSZ_S10_SG_SL_EUlSZ_E_NS1_11comp_targetILNS1_3genE6ELNS1_11target_archE950ELNS1_3gpuE13ELNS1_3repE0EEENS1_47radix_sort_onesweep_sort_config_static_selectorELNS0_4arch9wavefront6targetE0EEEvSG_.uses_vcc, 0
	.set _ZN7rocprim17ROCPRIM_400000_NS6detail17trampoline_kernelINS0_14default_configENS1_35radix_sort_onesweep_config_selectorIlNS0_10empty_typeEEEZZNS1_29radix_sort_onesweep_iterationIS3_Lb1EPKlPlPS5_SB_mNS0_19identity_decomposerENS1_16block_id_wrapperIjLb1EEEEE10hipError_tT1_PNSt15iterator_traitsISG_E10value_typeET2_T3_PNSH_ISM_E10value_typeET4_T5_PSR_SS_PNS1_23onesweep_lookback_stateEbbT6_jjT7_P12ihipStream_tbENKUlT_T0_SG_SL_E_clISA_SA_SB_SB_EEDaSZ_S10_SG_SL_EUlSZ_E_NS1_11comp_targetILNS1_3genE6ELNS1_11target_archE950ELNS1_3gpuE13ELNS1_3repE0EEENS1_47radix_sort_onesweep_sort_config_static_selectorELNS0_4arch9wavefront6targetE0EEEvSG_.uses_flat_scratch, 0
	.set _ZN7rocprim17ROCPRIM_400000_NS6detail17trampoline_kernelINS0_14default_configENS1_35radix_sort_onesweep_config_selectorIlNS0_10empty_typeEEEZZNS1_29radix_sort_onesweep_iterationIS3_Lb1EPKlPlPS5_SB_mNS0_19identity_decomposerENS1_16block_id_wrapperIjLb1EEEEE10hipError_tT1_PNSt15iterator_traitsISG_E10value_typeET2_T3_PNSH_ISM_E10value_typeET4_T5_PSR_SS_PNS1_23onesweep_lookback_stateEbbT6_jjT7_P12ihipStream_tbENKUlT_T0_SG_SL_E_clISA_SA_SB_SB_EEDaSZ_S10_SG_SL_EUlSZ_E_NS1_11comp_targetILNS1_3genE6ELNS1_11target_archE950ELNS1_3gpuE13ELNS1_3repE0EEENS1_47radix_sort_onesweep_sort_config_static_selectorELNS0_4arch9wavefront6targetE0EEEvSG_.has_dyn_sized_stack, 0
	.set _ZN7rocprim17ROCPRIM_400000_NS6detail17trampoline_kernelINS0_14default_configENS1_35radix_sort_onesweep_config_selectorIlNS0_10empty_typeEEEZZNS1_29radix_sort_onesweep_iterationIS3_Lb1EPKlPlPS5_SB_mNS0_19identity_decomposerENS1_16block_id_wrapperIjLb1EEEEE10hipError_tT1_PNSt15iterator_traitsISG_E10value_typeET2_T3_PNSH_ISM_E10value_typeET4_T5_PSR_SS_PNS1_23onesweep_lookback_stateEbbT6_jjT7_P12ihipStream_tbENKUlT_T0_SG_SL_E_clISA_SA_SB_SB_EEDaSZ_S10_SG_SL_EUlSZ_E_NS1_11comp_targetILNS1_3genE6ELNS1_11target_archE950ELNS1_3gpuE13ELNS1_3repE0EEENS1_47radix_sort_onesweep_sort_config_static_selectorELNS0_4arch9wavefront6targetE0EEEvSG_.has_recursion, 0
	.set _ZN7rocprim17ROCPRIM_400000_NS6detail17trampoline_kernelINS0_14default_configENS1_35radix_sort_onesweep_config_selectorIlNS0_10empty_typeEEEZZNS1_29radix_sort_onesweep_iterationIS3_Lb1EPKlPlPS5_SB_mNS0_19identity_decomposerENS1_16block_id_wrapperIjLb1EEEEE10hipError_tT1_PNSt15iterator_traitsISG_E10value_typeET2_T3_PNSH_ISM_E10value_typeET4_T5_PSR_SS_PNS1_23onesweep_lookback_stateEbbT6_jjT7_P12ihipStream_tbENKUlT_T0_SG_SL_E_clISA_SA_SB_SB_EEDaSZ_S10_SG_SL_EUlSZ_E_NS1_11comp_targetILNS1_3genE6ELNS1_11target_archE950ELNS1_3gpuE13ELNS1_3repE0EEENS1_47radix_sort_onesweep_sort_config_static_selectorELNS0_4arch9wavefront6targetE0EEEvSG_.has_indirect_call, 0
	.section	.AMDGPU.csdata,"",@progbits
; Kernel info:
; codeLenInByte = 0
; TotalNumSgprs: 0
; NumVgprs: 0
; ScratchSize: 0
; MemoryBound: 0
; FloatMode: 240
; IeeeMode: 1
; LDSByteSize: 0 bytes/workgroup (compile time only)
; SGPRBlocks: 0
; VGPRBlocks: 0
; NumSGPRsForWavesPerEU: 1
; NumVGPRsForWavesPerEU: 1
; NamedBarCnt: 0
; Occupancy: 16
; WaveLimiterHint : 0
; COMPUTE_PGM_RSRC2:SCRATCH_EN: 0
; COMPUTE_PGM_RSRC2:USER_SGPR: 2
; COMPUTE_PGM_RSRC2:TRAP_HANDLER: 0
; COMPUTE_PGM_RSRC2:TGID_X_EN: 1
; COMPUTE_PGM_RSRC2:TGID_Y_EN: 0
; COMPUTE_PGM_RSRC2:TGID_Z_EN: 0
; COMPUTE_PGM_RSRC2:TIDIG_COMP_CNT: 0
	.section	.text._ZN7rocprim17ROCPRIM_400000_NS6detail17trampoline_kernelINS0_14default_configENS1_35radix_sort_onesweep_config_selectorIlNS0_10empty_typeEEEZZNS1_29radix_sort_onesweep_iterationIS3_Lb1EPKlPlPS5_SB_mNS0_19identity_decomposerENS1_16block_id_wrapperIjLb1EEEEE10hipError_tT1_PNSt15iterator_traitsISG_E10value_typeET2_T3_PNSH_ISM_E10value_typeET4_T5_PSR_SS_PNS1_23onesweep_lookback_stateEbbT6_jjT7_P12ihipStream_tbENKUlT_T0_SG_SL_E_clISA_SA_SB_SB_EEDaSZ_S10_SG_SL_EUlSZ_E_NS1_11comp_targetILNS1_3genE5ELNS1_11target_archE942ELNS1_3gpuE9ELNS1_3repE0EEENS1_47radix_sort_onesweep_sort_config_static_selectorELNS0_4arch9wavefront6targetE0EEEvSG_,"axG",@progbits,_ZN7rocprim17ROCPRIM_400000_NS6detail17trampoline_kernelINS0_14default_configENS1_35radix_sort_onesweep_config_selectorIlNS0_10empty_typeEEEZZNS1_29radix_sort_onesweep_iterationIS3_Lb1EPKlPlPS5_SB_mNS0_19identity_decomposerENS1_16block_id_wrapperIjLb1EEEEE10hipError_tT1_PNSt15iterator_traitsISG_E10value_typeET2_T3_PNSH_ISM_E10value_typeET4_T5_PSR_SS_PNS1_23onesweep_lookback_stateEbbT6_jjT7_P12ihipStream_tbENKUlT_T0_SG_SL_E_clISA_SA_SB_SB_EEDaSZ_S10_SG_SL_EUlSZ_E_NS1_11comp_targetILNS1_3genE5ELNS1_11target_archE942ELNS1_3gpuE9ELNS1_3repE0EEENS1_47radix_sort_onesweep_sort_config_static_selectorELNS0_4arch9wavefront6targetE0EEEvSG_,comdat
	.protected	_ZN7rocprim17ROCPRIM_400000_NS6detail17trampoline_kernelINS0_14default_configENS1_35radix_sort_onesweep_config_selectorIlNS0_10empty_typeEEEZZNS1_29radix_sort_onesweep_iterationIS3_Lb1EPKlPlPS5_SB_mNS0_19identity_decomposerENS1_16block_id_wrapperIjLb1EEEEE10hipError_tT1_PNSt15iterator_traitsISG_E10value_typeET2_T3_PNSH_ISM_E10value_typeET4_T5_PSR_SS_PNS1_23onesweep_lookback_stateEbbT6_jjT7_P12ihipStream_tbENKUlT_T0_SG_SL_E_clISA_SA_SB_SB_EEDaSZ_S10_SG_SL_EUlSZ_E_NS1_11comp_targetILNS1_3genE5ELNS1_11target_archE942ELNS1_3gpuE9ELNS1_3repE0EEENS1_47radix_sort_onesweep_sort_config_static_selectorELNS0_4arch9wavefront6targetE0EEEvSG_ ; -- Begin function _ZN7rocprim17ROCPRIM_400000_NS6detail17trampoline_kernelINS0_14default_configENS1_35radix_sort_onesweep_config_selectorIlNS0_10empty_typeEEEZZNS1_29radix_sort_onesweep_iterationIS3_Lb1EPKlPlPS5_SB_mNS0_19identity_decomposerENS1_16block_id_wrapperIjLb1EEEEE10hipError_tT1_PNSt15iterator_traitsISG_E10value_typeET2_T3_PNSH_ISM_E10value_typeET4_T5_PSR_SS_PNS1_23onesweep_lookback_stateEbbT6_jjT7_P12ihipStream_tbENKUlT_T0_SG_SL_E_clISA_SA_SB_SB_EEDaSZ_S10_SG_SL_EUlSZ_E_NS1_11comp_targetILNS1_3genE5ELNS1_11target_archE942ELNS1_3gpuE9ELNS1_3repE0EEENS1_47radix_sort_onesweep_sort_config_static_selectorELNS0_4arch9wavefront6targetE0EEEvSG_
	.globl	_ZN7rocprim17ROCPRIM_400000_NS6detail17trampoline_kernelINS0_14default_configENS1_35radix_sort_onesweep_config_selectorIlNS0_10empty_typeEEEZZNS1_29radix_sort_onesweep_iterationIS3_Lb1EPKlPlPS5_SB_mNS0_19identity_decomposerENS1_16block_id_wrapperIjLb1EEEEE10hipError_tT1_PNSt15iterator_traitsISG_E10value_typeET2_T3_PNSH_ISM_E10value_typeET4_T5_PSR_SS_PNS1_23onesweep_lookback_stateEbbT6_jjT7_P12ihipStream_tbENKUlT_T0_SG_SL_E_clISA_SA_SB_SB_EEDaSZ_S10_SG_SL_EUlSZ_E_NS1_11comp_targetILNS1_3genE5ELNS1_11target_archE942ELNS1_3gpuE9ELNS1_3repE0EEENS1_47radix_sort_onesweep_sort_config_static_selectorELNS0_4arch9wavefront6targetE0EEEvSG_
	.p2align	8
	.type	_ZN7rocprim17ROCPRIM_400000_NS6detail17trampoline_kernelINS0_14default_configENS1_35radix_sort_onesweep_config_selectorIlNS0_10empty_typeEEEZZNS1_29radix_sort_onesweep_iterationIS3_Lb1EPKlPlPS5_SB_mNS0_19identity_decomposerENS1_16block_id_wrapperIjLb1EEEEE10hipError_tT1_PNSt15iterator_traitsISG_E10value_typeET2_T3_PNSH_ISM_E10value_typeET4_T5_PSR_SS_PNS1_23onesweep_lookback_stateEbbT6_jjT7_P12ihipStream_tbENKUlT_T0_SG_SL_E_clISA_SA_SB_SB_EEDaSZ_S10_SG_SL_EUlSZ_E_NS1_11comp_targetILNS1_3genE5ELNS1_11target_archE942ELNS1_3gpuE9ELNS1_3repE0EEENS1_47radix_sort_onesweep_sort_config_static_selectorELNS0_4arch9wavefront6targetE0EEEvSG_,@function
_ZN7rocprim17ROCPRIM_400000_NS6detail17trampoline_kernelINS0_14default_configENS1_35radix_sort_onesweep_config_selectorIlNS0_10empty_typeEEEZZNS1_29radix_sort_onesweep_iterationIS3_Lb1EPKlPlPS5_SB_mNS0_19identity_decomposerENS1_16block_id_wrapperIjLb1EEEEE10hipError_tT1_PNSt15iterator_traitsISG_E10value_typeET2_T3_PNSH_ISM_E10value_typeET4_T5_PSR_SS_PNS1_23onesweep_lookback_stateEbbT6_jjT7_P12ihipStream_tbENKUlT_T0_SG_SL_E_clISA_SA_SB_SB_EEDaSZ_S10_SG_SL_EUlSZ_E_NS1_11comp_targetILNS1_3genE5ELNS1_11target_archE942ELNS1_3gpuE9ELNS1_3repE0EEENS1_47radix_sort_onesweep_sort_config_static_selectorELNS0_4arch9wavefront6targetE0EEEvSG_: ; @_ZN7rocprim17ROCPRIM_400000_NS6detail17trampoline_kernelINS0_14default_configENS1_35radix_sort_onesweep_config_selectorIlNS0_10empty_typeEEEZZNS1_29radix_sort_onesweep_iterationIS3_Lb1EPKlPlPS5_SB_mNS0_19identity_decomposerENS1_16block_id_wrapperIjLb1EEEEE10hipError_tT1_PNSt15iterator_traitsISG_E10value_typeET2_T3_PNSH_ISM_E10value_typeET4_T5_PSR_SS_PNS1_23onesweep_lookback_stateEbbT6_jjT7_P12ihipStream_tbENKUlT_T0_SG_SL_E_clISA_SA_SB_SB_EEDaSZ_S10_SG_SL_EUlSZ_E_NS1_11comp_targetILNS1_3genE5ELNS1_11target_archE942ELNS1_3gpuE9ELNS1_3repE0EEENS1_47radix_sort_onesweep_sort_config_static_selectorELNS0_4arch9wavefront6targetE0EEEvSG_
; %bb.0:
	.section	.rodata,"a",@progbits
	.p2align	6, 0x0
	.amdhsa_kernel _ZN7rocprim17ROCPRIM_400000_NS6detail17trampoline_kernelINS0_14default_configENS1_35radix_sort_onesweep_config_selectorIlNS0_10empty_typeEEEZZNS1_29radix_sort_onesweep_iterationIS3_Lb1EPKlPlPS5_SB_mNS0_19identity_decomposerENS1_16block_id_wrapperIjLb1EEEEE10hipError_tT1_PNSt15iterator_traitsISG_E10value_typeET2_T3_PNSH_ISM_E10value_typeET4_T5_PSR_SS_PNS1_23onesweep_lookback_stateEbbT6_jjT7_P12ihipStream_tbENKUlT_T0_SG_SL_E_clISA_SA_SB_SB_EEDaSZ_S10_SG_SL_EUlSZ_E_NS1_11comp_targetILNS1_3genE5ELNS1_11target_archE942ELNS1_3gpuE9ELNS1_3repE0EEENS1_47radix_sort_onesweep_sort_config_static_selectorELNS0_4arch9wavefront6targetE0EEEvSG_
		.amdhsa_group_segment_fixed_size 0
		.amdhsa_private_segment_fixed_size 0
		.amdhsa_kernarg_size 88
		.amdhsa_user_sgpr_count 2
		.amdhsa_user_sgpr_dispatch_ptr 0
		.amdhsa_user_sgpr_queue_ptr 0
		.amdhsa_user_sgpr_kernarg_segment_ptr 1
		.amdhsa_user_sgpr_dispatch_id 0
		.amdhsa_user_sgpr_kernarg_preload_length 0
		.amdhsa_user_sgpr_kernarg_preload_offset 0
		.amdhsa_user_sgpr_private_segment_size 0
		.amdhsa_wavefront_size32 1
		.amdhsa_uses_dynamic_stack 0
		.amdhsa_enable_private_segment 0
		.amdhsa_system_sgpr_workgroup_id_x 1
		.amdhsa_system_sgpr_workgroup_id_y 0
		.amdhsa_system_sgpr_workgroup_id_z 0
		.amdhsa_system_sgpr_workgroup_info 0
		.amdhsa_system_vgpr_workitem_id 0
		.amdhsa_next_free_vgpr 1
		.amdhsa_next_free_sgpr 1
		.amdhsa_named_barrier_count 0
		.amdhsa_reserve_vcc 0
		.amdhsa_float_round_mode_32 0
		.amdhsa_float_round_mode_16_64 0
		.amdhsa_float_denorm_mode_32 3
		.amdhsa_float_denorm_mode_16_64 3
		.amdhsa_fp16_overflow 0
		.amdhsa_memory_ordered 1
		.amdhsa_forward_progress 1
		.amdhsa_inst_pref_size 0
		.amdhsa_round_robin_scheduling 0
		.amdhsa_exception_fp_ieee_invalid_op 0
		.amdhsa_exception_fp_denorm_src 0
		.amdhsa_exception_fp_ieee_div_zero 0
		.amdhsa_exception_fp_ieee_overflow 0
		.amdhsa_exception_fp_ieee_underflow 0
		.amdhsa_exception_fp_ieee_inexact 0
		.amdhsa_exception_int_div_zero 0
	.end_amdhsa_kernel
	.section	.text._ZN7rocprim17ROCPRIM_400000_NS6detail17trampoline_kernelINS0_14default_configENS1_35radix_sort_onesweep_config_selectorIlNS0_10empty_typeEEEZZNS1_29radix_sort_onesweep_iterationIS3_Lb1EPKlPlPS5_SB_mNS0_19identity_decomposerENS1_16block_id_wrapperIjLb1EEEEE10hipError_tT1_PNSt15iterator_traitsISG_E10value_typeET2_T3_PNSH_ISM_E10value_typeET4_T5_PSR_SS_PNS1_23onesweep_lookback_stateEbbT6_jjT7_P12ihipStream_tbENKUlT_T0_SG_SL_E_clISA_SA_SB_SB_EEDaSZ_S10_SG_SL_EUlSZ_E_NS1_11comp_targetILNS1_3genE5ELNS1_11target_archE942ELNS1_3gpuE9ELNS1_3repE0EEENS1_47radix_sort_onesweep_sort_config_static_selectorELNS0_4arch9wavefront6targetE0EEEvSG_,"axG",@progbits,_ZN7rocprim17ROCPRIM_400000_NS6detail17trampoline_kernelINS0_14default_configENS1_35radix_sort_onesweep_config_selectorIlNS0_10empty_typeEEEZZNS1_29radix_sort_onesweep_iterationIS3_Lb1EPKlPlPS5_SB_mNS0_19identity_decomposerENS1_16block_id_wrapperIjLb1EEEEE10hipError_tT1_PNSt15iterator_traitsISG_E10value_typeET2_T3_PNSH_ISM_E10value_typeET4_T5_PSR_SS_PNS1_23onesweep_lookback_stateEbbT6_jjT7_P12ihipStream_tbENKUlT_T0_SG_SL_E_clISA_SA_SB_SB_EEDaSZ_S10_SG_SL_EUlSZ_E_NS1_11comp_targetILNS1_3genE5ELNS1_11target_archE942ELNS1_3gpuE9ELNS1_3repE0EEENS1_47radix_sort_onesweep_sort_config_static_selectorELNS0_4arch9wavefront6targetE0EEEvSG_,comdat
.Lfunc_end1107:
	.size	_ZN7rocprim17ROCPRIM_400000_NS6detail17trampoline_kernelINS0_14default_configENS1_35radix_sort_onesweep_config_selectorIlNS0_10empty_typeEEEZZNS1_29radix_sort_onesweep_iterationIS3_Lb1EPKlPlPS5_SB_mNS0_19identity_decomposerENS1_16block_id_wrapperIjLb1EEEEE10hipError_tT1_PNSt15iterator_traitsISG_E10value_typeET2_T3_PNSH_ISM_E10value_typeET4_T5_PSR_SS_PNS1_23onesweep_lookback_stateEbbT6_jjT7_P12ihipStream_tbENKUlT_T0_SG_SL_E_clISA_SA_SB_SB_EEDaSZ_S10_SG_SL_EUlSZ_E_NS1_11comp_targetILNS1_3genE5ELNS1_11target_archE942ELNS1_3gpuE9ELNS1_3repE0EEENS1_47radix_sort_onesweep_sort_config_static_selectorELNS0_4arch9wavefront6targetE0EEEvSG_, .Lfunc_end1107-_ZN7rocprim17ROCPRIM_400000_NS6detail17trampoline_kernelINS0_14default_configENS1_35radix_sort_onesweep_config_selectorIlNS0_10empty_typeEEEZZNS1_29radix_sort_onesweep_iterationIS3_Lb1EPKlPlPS5_SB_mNS0_19identity_decomposerENS1_16block_id_wrapperIjLb1EEEEE10hipError_tT1_PNSt15iterator_traitsISG_E10value_typeET2_T3_PNSH_ISM_E10value_typeET4_T5_PSR_SS_PNS1_23onesweep_lookback_stateEbbT6_jjT7_P12ihipStream_tbENKUlT_T0_SG_SL_E_clISA_SA_SB_SB_EEDaSZ_S10_SG_SL_EUlSZ_E_NS1_11comp_targetILNS1_3genE5ELNS1_11target_archE942ELNS1_3gpuE9ELNS1_3repE0EEENS1_47radix_sort_onesweep_sort_config_static_selectorELNS0_4arch9wavefront6targetE0EEEvSG_
                                        ; -- End function
	.set _ZN7rocprim17ROCPRIM_400000_NS6detail17trampoline_kernelINS0_14default_configENS1_35radix_sort_onesweep_config_selectorIlNS0_10empty_typeEEEZZNS1_29radix_sort_onesweep_iterationIS3_Lb1EPKlPlPS5_SB_mNS0_19identity_decomposerENS1_16block_id_wrapperIjLb1EEEEE10hipError_tT1_PNSt15iterator_traitsISG_E10value_typeET2_T3_PNSH_ISM_E10value_typeET4_T5_PSR_SS_PNS1_23onesweep_lookback_stateEbbT6_jjT7_P12ihipStream_tbENKUlT_T0_SG_SL_E_clISA_SA_SB_SB_EEDaSZ_S10_SG_SL_EUlSZ_E_NS1_11comp_targetILNS1_3genE5ELNS1_11target_archE942ELNS1_3gpuE9ELNS1_3repE0EEENS1_47radix_sort_onesweep_sort_config_static_selectorELNS0_4arch9wavefront6targetE0EEEvSG_.num_vgpr, 0
	.set _ZN7rocprim17ROCPRIM_400000_NS6detail17trampoline_kernelINS0_14default_configENS1_35radix_sort_onesweep_config_selectorIlNS0_10empty_typeEEEZZNS1_29radix_sort_onesweep_iterationIS3_Lb1EPKlPlPS5_SB_mNS0_19identity_decomposerENS1_16block_id_wrapperIjLb1EEEEE10hipError_tT1_PNSt15iterator_traitsISG_E10value_typeET2_T3_PNSH_ISM_E10value_typeET4_T5_PSR_SS_PNS1_23onesweep_lookback_stateEbbT6_jjT7_P12ihipStream_tbENKUlT_T0_SG_SL_E_clISA_SA_SB_SB_EEDaSZ_S10_SG_SL_EUlSZ_E_NS1_11comp_targetILNS1_3genE5ELNS1_11target_archE942ELNS1_3gpuE9ELNS1_3repE0EEENS1_47radix_sort_onesweep_sort_config_static_selectorELNS0_4arch9wavefront6targetE0EEEvSG_.num_agpr, 0
	.set _ZN7rocprim17ROCPRIM_400000_NS6detail17trampoline_kernelINS0_14default_configENS1_35radix_sort_onesweep_config_selectorIlNS0_10empty_typeEEEZZNS1_29radix_sort_onesweep_iterationIS3_Lb1EPKlPlPS5_SB_mNS0_19identity_decomposerENS1_16block_id_wrapperIjLb1EEEEE10hipError_tT1_PNSt15iterator_traitsISG_E10value_typeET2_T3_PNSH_ISM_E10value_typeET4_T5_PSR_SS_PNS1_23onesweep_lookback_stateEbbT6_jjT7_P12ihipStream_tbENKUlT_T0_SG_SL_E_clISA_SA_SB_SB_EEDaSZ_S10_SG_SL_EUlSZ_E_NS1_11comp_targetILNS1_3genE5ELNS1_11target_archE942ELNS1_3gpuE9ELNS1_3repE0EEENS1_47radix_sort_onesweep_sort_config_static_selectorELNS0_4arch9wavefront6targetE0EEEvSG_.numbered_sgpr, 0
	.set _ZN7rocprim17ROCPRIM_400000_NS6detail17trampoline_kernelINS0_14default_configENS1_35radix_sort_onesweep_config_selectorIlNS0_10empty_typeEEEZZNS1_29radix_sort_onesweep_iterationIS3_Lb1EPKlPlPS5_SB_mNS0_19identity_decomposerENS1_16block_id_wrapperIjLb1EEEEE10hipError_tT1_PNSt15iterator_traitsISG_E10value_typeET2_T3_PNSH_ISM_E10value_typeET4_T5_PSR_SS_PNS1_23onesweep_lookback_stateEbbT6_jjT7_P12ihipStream_tbENKUlT_T0_SG_SL_E_clISA_SA_SB_SB_EEDaSZ_S10_SG_SL_EUlSZ_E_NS1_11comp_targetILNS1_3genE5ELNS1_11target_archE942ELNS1_3gpuE9ELNS1_3repE0EEENS1_47radix_sort_onesweep_sort_config_static_selectorELNS0_4arch9wavefront6targetE0EEEvSG_.num_named_barrier, 0
	.set _ZN7rocprim17ROCPRIM_400000_NS6detail17trampoline_kernelINS0_14default_configENS1_35radix_sort_onesweep_config_selectorIlNS0_10empty_typeEEEZZNS1_29radix_sort_onesweep_iterationIS3_Lb1EPKlPlPS5_SB_mNS0_19identity_decomposerENS1_16block_id_wrapperIjLb1EEEEE10hipError_tT1_PNSt15iterator_traitsISG_E10value_typeET2_T3_PNSH_ISM_E10value_typeET4_T5_PSR_SS_PNS1_23onesweep_lookback_stateEbbT6_jjT7_P12ihipStream_tbENKUlT_T0_SG_SL_E_clISA_SA_SB_SB_EEDaSZ_S10_SG_SL_EUlSZ_E_NS1_11comp_targetILNS1_3genE5ELNS1_11target_archE942ELNS1_3gpuE9ELNS1_3repE0EEENS1_47radix_sort_onesweep_sort_config_static_selectorELNS0_4arch9wavefront6targetE0EEEvSG_.private_seg_size, 0
	.set _ZN7rocprim17ROCPRIM_400000_NS6detail17trampoline_kernelINS0_14default_configENS1_35radix_sort_onesweep_config_selectorIlNS0_10empty_typeEEEZZNS1_29radix_sort_onesweep_iterationIS3_Lb1EPKlPlPS5_SB_mNS0_19identity_decomposerENS1_16block_id_wrapperIjLb1EEEEE10hipError_tT1_PNSt15iterator_traitsISG_E10value_typeET2_T3_PNSH_ISM_E10value_typeET4_T5_PSR_SS_PNS1_23onesweep_lookback_stateEbbT6_jjT7_P12ihipStream_tbENKUlT_T0_SG_SL_E_clISA_SA_SB_SB_EEDaSZ_S10_SG_SL_EUlSZ_E_NS1_11comp_targetILNS1_3genE5ELNS1_11target_archE942ELNS1_3gpuE9ELNS1_3repE0EEENS1_47radix_sort_onesweep_sort_config_static_selectorELNS0_4arch9wavefront6targetE0EEEvSG_.uses_vcc, 0
	.set _ZN7rocprim17ROCPRIM_400000_NS6detail17trampoline_kernelINS0_14default_configENS1_35radix_sort_onesweep_config_selectorIlNS0_10empty_typeEEEZZNS1_29radix_sort_onesweep_iterationIS3_Lb1EPKlPlPS5_SB_mNS0_19identity_decomposerENS1_16block_id_wrapperIjLb1EEEEE10hipError_tT1_PNSt15iterator_traitsISG_E10value_typeET2_T3_PNSH_ISM_E10value_typeET4_T5_PSR_SS_PNS1_23onesweep_lookback_stateEbbT6_jjT7_P12ihipStream_tbENKUlT_T0_SG_SL_E_clISA_SA_SB_SB_EEDaSZ_S10_SG_SL_EUlSZ_E_NS1_11comp_targetILNS1_3genE5ELNS1_11target_archE942ELNS1_3gpuE9ELNS1_3repE0EEENS1_47radix_sort_onesweep_sort_config_static_selectorELNS0_4arch9wavefront6targetE0EEEvSG_.uses_flat_scratch, 0
	.set _ZN7rocprim17ROCPRIM_400000_NS6detail17trampoline_kernelINS0_14default_configENS1_35radix_sort_onesweep_config_selectorIlNS0_10empty_typeEEEZZNS1_29radix_sort_onesweep_iterationIS3_Lb1EPKlPlPS5_SB_mNS0_19identity_decomposerENS1_16block_id_wrapperIjLb1EEEEE10hipError_tT1_PNSt15iterator_traitsISG_E10value_typeET2_T3_PNSH_ISM_E10value_typeET4_T5_PSR_SS_PNS1_23onesweep_lookback_stateEbbT6_jjT7_P12ihipStream_tbENKUlT_T0_SG_SL_E_clISA_SA_SB_SB_EEDaSZ_S10_SG_SL_EUlSZ_E_NS1_11comp_targetILNS1_3genE5ELNS1_11target_archE942ELNS1_3gpuE9ELNS1_3repE0EEENS1_47radix_sort_onesweep_sort_config_static_selectorELNS0_4arch9wavefront6targetE0EEEvSG_.has_dyn_sized_stack, 0
	.set _ZN7rocprim17ROCPRIM_400000_NS6detail17trampoline_kernelINS0_14default_configENS1_35radix_sort_onesweep_config_selectorIlNS0_10empty_typeEEEZZNS1_29radix_sort_onesweep_iterationIS3_Lb1EPKlPlPS5_SB_mNS0_19identity_decomposerENS1_16block_id_wrapperIjLb1EEEEE10hipError_tT1_PNSt15iterator_traitsISG_E10value_typeET2_T3_PNSH_ISM_E10value_typeET4_T5_PSR_SS_PNS1_23onesweep_lookback_stateEbbT6_jjT7_P12ihipStream_tbENKUlT_T0_SG_SL_E_clISA_SA_SB_SB_EEDaSZ_S10_SG_SL_EUlSZ_E_NS1_11comp_targetILNS1_3genE5ELNS1_11target_archE942ELNS1_3gpuE9ELNS1_3repE0EEENS1_47radix_sort_onesweep_sort_config_static_selectorELNS0_4arch9wavefront6targetE0EEEvSG_.has_recursion, 0
	.set _ZN7rocprim17ROCPRIM_400000_NS6detail17trampoline_kernelINS0_14default_configENS1_35radix_sort_onesweep_config_selectorIlNS0_10empty_typeEEEZZNS1_29radix_sort_onesweep_iterationIS3_Lb1EPKlPlPS5_SB_mNS0_19identity_decomposerENS1_16block_id_wrapperIjLb1EEEEE10hipError_tT1_PNSt15iterator_traitsISG_E10value_typeET2_T3_PNSH_ISM_E10value_typeET4_T5_PSR_SS_PNS1_23onesweep_lookback_stateEbbT6_jjT7_P12ihipStream_tbENKUlT_T0_SG_SL_E_clISA_SA_SB_SB_EEDaSZ_S10_SG_SL_EUlSZ_E_NS1_11comp_targetILNS1_3genE5ELNS1_11target_archE942ELNS1_3gpuE9ELNS1_3repE0EEENS1_47radix_sort_onesweep_sort_config_static_selectorELNS0_4arch9wavefront6targetE0EEEvSG_.has_indirect_call, 0
	.section	.AMDGPU.csdata,"",@progbits
; Kernel info:
; codeLenInByte = 0
; TotalNumSgprs: 0
; NumVgprs: 0
; ScratchSize: 0
; MemoryBound: 0
; FloatMode: 240
; IeeeMode: 1
; LDSByteSize: 0 bytes/workgroup (compile time only)
; SGPRBlocks: 0
; VGPRBlocks: 0
; NumSGPRsForWavesPerEU: 1
; NumVGPRsForWavesPerEU: 1
; NamedBarCnt: 0
; Occupancy: 16
; WaveLimiterHint : 0
; COMPUTE_PGM_RSRC2:SCRATCH_EN: 0
; COMPUTE_PGM_RSRC2:USER_SGPR: 2
; COMPUTE_PGM_RSRC2:TRAP_HANDLER: 0
; COMPUTE_PGM_RSRC2:TGID_X_EN: 1
; COMPUTE_PGM_RSRC2:TGID_Y_EN: 0
; COMPUTE_PGM_RSRC2:TGID_Z_EN: 0
; COMPUTE_PGM_RSRC2:TIDIG_COMP_CNT: 0
	.section	.text._ZN7rocprim17ROCPRIM_400000_NS6detail17trampoline_kernelINS0_14default_configENS1_35radix_sort_onesweep_config_selectorIlNS0_10empty_typeEEEZZNS1_29radix_sort_onesweep_iterationIS3_Lb1EPKlPlPS5_SB_mNS0_19identity_decomposerENS1_16block_id_wrapperIjLb1EEEEE10hipError_tT1_PNSt15iterator_traitsISG_E10value_typeET2_T3_PNSH_ISM_E10value_typeET4_T5_PSR_SS_PNS1_23onesweep_lookback_stateEbbT6_jjT7_P12ihipStream_tbENKUlT_T0_SG_SL_E_clISA_SA_SB_SB_EEDaSZ_S10_SG_SL_EUlSZ_E_NS1_11comp_targetILNS1_3genE2ELNS1_11target_archE906ELNS1_3gpuE6ELNS1_3repE0EEENS1_47radix_sort_onesweep_sort_config_static_selectorELNS0_4arch9wavefront6targetE0EEEvSG_,"axG",@progbits,_ZN7rocprim17ROCPRIM_400000_NS6detail17trampoline_kernelINS0_14default_configENS1_35radix_sort_onesweep_config_selectorIlNS0_10empty_typeEEEZZNS1_29radix_sort_onesweep_iterationIS3_Lb1EPKlPlPS5_SB_mNS0_19identity_decomposerENS1_16block_id_wrapperIjLb1EEEEE10hipError_tT1_PNSt15iterator_traitsISG_E10value_typeET2_T3_PNSH_ISM_E10value_typeET4_T5_PSR_SS_PNS1_23onesweep_lookback_stateEbbT6_jjT7_P12ihipStream_tbENKUlT_T0_SG_SL_E_clISA_SA_SB_SB_EEDaSZ_S10_SG_SL_EUlSZ_E_NS1_11comp_targetILNS1_3genE2ELNS1_11target_archE906ELNS1_3gpuE6ELNS1_3repE0EEENS1_47radix_sort_onesweep_sort_config_static_selectorELNS0_4arch9wavefront6targetE0EEEvSG_,comdat
	.protected	_ZN7rocprim17ROCPRIM_400000_NS6detail17trampoline_kernelINS0_14default_configENS1_35radix_sort_onesweep_config_selectorIlNS0_10empty_typeEEEZZNS1_29radix_sort_onesweep_iterationIS3_Lb1EPKlPlPS5_SB_mNS0_19identity_decomposerENS1_16block_id_wrapperIjLb1EEEEE10hipError_tT1_PNSt15iterator_traitsISG_E10value_typeET2_T3_PNSH_ISM_E10value_typeET4_T5_PSR_SS_PNS1_23onesweep_lookback_stateEbbT6_jjT7_P12ihipStream_tbENKUlT_T0_SG_SL_E_clISA_SA_SB_SB_EEDaSZ_S10_SG_SL_EUlSZ_E_NS1_11comp_targetILNS1_3genE2ELNS1_11target_archE906ELNS1_3gpuE6ELNS1_3repE0EEENS1_47radix_sort_onesweep_sort_config_static_selectorELNS0_4arch9wavefront6targetE0EEEvSG_ ; -- Begin function _ZN7rocprim17ROCPRIM_400000_NS6detail17trampoline_kernelINS0_14default_configENS1_35radix_sort_onesweep_config_selectorIlNS0_10empty_typeEEEZZNS1_29radix_sort_onesweep_iterationIS3_Lb1EPKlPlPS5_SB_mNS0_19identity_decomposerENS1_16block_id_wrapperIjLb1EEEEE10hipError_tT1_PNSt15iterator_traitsISG_E10value_typeET2_T3_PNSH_ISM_E10value_typeET4_T5_PSR_SS_PNS1_23onesweep_lookback_stateEbbT6_jjT7_P12ihipStream_tbENKUlT_T0_SG_SL_E_clISA_SA_SB_SB_EEDaSZ_S10_SG_SL_EUlSZ_E_NS1_11comp_targetILNS1_3genE2ELNS1_11target_archE906ELNS1_3gpuE6ELNS1_3repE0EEENS1_47radix_sort_onesweep_sort_config_static_selectorELNS0_4arch9wavefront6targetE0EEEvSG_
	.globl	_ZN7rocprim17ROCPRIM_400000_NS6detail17trampoline_kernelINS0_14default_configENS1_35radix_sort_onesweep_config_selectorIlNS0_10empty_typeEEEZZNS1_29radix_sort_onesweep_iterationIS3_Lb1EPKlPlPS5_SB_mNS0_19identity_decomposerENS1_16block_id_wrapperIjLb1EEEEE10hipError_tT1_PNSt15iterator_traitsISG_E10value_typeET2_T3_PNSH_ISM_E10value_typeET4_T5_PSR_SS_PNS1_23onesweep_lookback_stateEbbT6_jjT7_P12ihipStream_tbENKUlT_T0_SG_SL_E_clISA_SA_SB_SB_EEDaSZ_S10_SG_SL_EUlSZ_E_NS1_11comp_targetILNS1_3genE2ELNS1_11target_archE906ELNS1_3gpuE6ELNS1_3repE0EEENS1_47radix_sort_onesweep_sort_config_static_selectorELNS0_4arch9wavefront6targetE0EEEvSG_
	.p2align	8
	.type	_ZN7rocprim17ROCPRIM_400000_NS6detail17trampoline_kernelINS0_14default_configENS1_35radix_sort_onesweep_config_selectorIlNS0_10empty_typeEEEZZNS1_29radix_sort_onesweep_iterationIS3_Lb1EPKlPlPS5_SB_mNS0_19identity_decomposerENS1_16block_id_wrapperIjLb1EEEEE10hipError_tT1_PNSt15iterator_traitsISG_E10value_typeET2_T3_PNSH_ISM_E10value_typeET4_T5_PSR_SS_PNS1_23onesweep_lookback_stateEbbT6_jjT7_P12ihipStream_tbENKUlT_T0_SG_SL_E_clISA_SA_SB_SB_EEDaSZ_S10_SG_SL_EUlSZ_E_NS1_11comp_targetILNS1_3genE2ELNS1_11target_archE906ELNS1_3gpuE6ELNS1_3repE0EEENS1_47radix_sort_onesweep_sort_config_static_selectorELNS0_4arch9wavefront6targetE0EEEvSG_,@function
_ZN7rocprim17ROCPRIM_400000_NS6detail17trampoline_kernelINS0_14default_configENS1_35radix_sort_onesweep_config_selectorIlNS0_10empty_typeEEEZZNS1_29radix_sort_onesweep_iterationIS3_Lb1EPKlPlPS5_SB_mNS0_19identity_decomposerENS1_16block_id_wrapperIjLb1EEEEE10hipError_tT1_PNSt15iterator_traitsISG_E10value_typeET2_T3_PNSH_ISM_E10value_typeET4_T5_PSR_SS_PNS1_23onesweep_lookback_stateEbbT6_jjT7_P12ihipStream_tbENKUlT_T0_SG_SL_E_clISA_SA_SB_SB_EEDaSZ_S10_SG_SL_EUlSZ_E_NS1_11comp_targetILNS1_3genE2ELNS1_11target_archE906ELNS1_3gpuE6ELNS1_3repE0EEENS1_47radix_sort_onesweep_sort_config_static_selectorELNS0_4arch9wavefront6targetE0EEEvSG_: ; @_ZN7rocprim17ROCPRIM_400000_NS6detail17trampoline_kernelINS0_14default_configENS1_35radix_sort_onesweep_config_selectorIlNS0_10empty_typeEEEZZNS1_29radix_sort_onesweep_iterationIS3_Lb1EPKlPlPS5_SB_mNS0_19identity_decomposerENS1_16block_id_wrapperIjLb1EEEEE10hipError_tT1_PNSt15iterator_traitsISG_E10value_typeET2_T3_PNSH_ISM_E10value_typeET4_T5_PSR_SS_PNS1_23onesweep_lookback_stateEbbT6_jjT7_P12ihipStream_tbENKUlT_T0_SG_SL_E_clISA_SA_SB_SB_EEDaSZ_S10_SG_SL_EUlSZ_E_NS1_11comp_targetILNS1_3genE2ELNS1_11target_archE906ELNS1_3gpuE6ELNS1_3repE0EEENS1_47radix_sort_onesweep_sort_config_static_selectorELNS0_4arch9wavefront6targetE0EEEvSG_
; %bb.0:
	.section	.rodata,"a",@progbits
	.p2align	6, 0x0
	.amdhsa_kernel _ZN7rocprim17ROCPRIM_400000_NS6detail17trampoline_kernelINS0_14default_configENS1_35radix_sort_onesweep_config_selectorIlNS0_10empty_typeEEEZZNS1_29radix_sort_onesweep_iterationIS3_Lb1EPKlPlPS5_SB_mNS0_19identity_decomposerENS1_16block_id_wrapperIjLb1EEEEE10hipError_tT1_PNSt15iterator_traitsISG_E10value_typeET2_T3_PNSH_ISM_E10value_typeET4_T5_PSR_SS_PNS1_23onesweep_lookback_stateEbbT6_jjT7_P12ihipStream_tbENKUlT_T0_SG_SL_E_clISA_SA_SB_SB_EEDaSZ_S10_SG_SL_EUlSZ_E_NS1_11comp_targetILNS1_3genE2ELNS1_11target_archE906ELNS1_3gpuE6ELNS1_3repE0EEENS1_47radix_sort_onesweep_sort_config_static_selectorELNS0_4arch9wavefront6targetE0EEEvSG_
		.amdhsa_group_segment_fixed_size 0
		.amdhsa_private_segment_fixed_size 0
		.amdhsa_kernarg_size 88
		.amdhsa_user_sgpr_count 2
		.amdhsa_user_sgpr_dispatch_ptr 0
		.amdhsa_user_sgpr_queue_ptr 0
		.amdhsa_user_sgpr_kernarg_segment_ptr 1
		.amdhsa_user_sgpr_dispatch_id 0
		.amdhsa_user_sgpr_kernarg_preload_length 0
		.amdhsa_user_sgpr_kernarg_preload_offset 0
		.amdhsa_user_sgpr_private_segment_size 0
		.amdhsa_wavefront_size32 1
		.amdhsa_uses_dynamic_stack 0
		.amdhsa_enable_private_segment 0
		.amdhsa_system_sgpr_workgroup_id_x 1
		.amdhsa_system_sgpr_workgroup_id_y 0
		.amdhsa_system_sgpr_workgroup_id_z 0
		.amdhsa_system_sgpr_workgroup_info 0
		.amdhsa_system_vgpr_workitem_id 0
		.amdhsa_next_free_vgpr 1
		.amdhsa_next_free_sgpr 1
		.amdhsa_named_barrier_count 0
		.amdhsa_reserve_vcc 0
		.amdhsa_float_round_mode_32 0
		.amdhsa_float_round_mode_16_64 0
		.amdhsa_float_denorm_mode_32 3
		.amdhsa_float_denorm_mode_16_64 3
		.amdhsa_fp16_overflow 0
		.amdhsa_memory_ordered 1
		.amdhsa_forward_progress 1
		.amdhsa_inst_pref_size 0
		.amdhsa_round_robin_scheduling 0
		.amdhsa_exception_fp_ieee_invalid_op 0
		.amdhsa_exception_fp_denorm_src 0
		.amdhsa_exception_fp_ieee_div_zero 0
		.amdhsa_exception_fp_ieee_overflow 0
		.amdhsa_exception_fp_ieee_underflow 0
		.amdhsa_exception_fp_ieee_inexact 0
		.amdhsa_exception_int_div_zero 0
	.end_amdhsa_kernel
	.section	.text._ZN7rocprim17ROCPRIM_400000_NS6detail17trampoline_kernelINS0_14default_configENS1_35radix_sort_onesweep_config_selectorIlNS0_10empty_typeEEEZZNS1_29radix_sort_onesweep_iterationIS3_Lb1EPKlPlPS5_SB_mNS0_19identity_decomposerENS1_16block_id_wrapperIjLb1EEEEE10hipError_tT1_PNSt15iterator_traitsISG_E10value_typeET2_T3_PNSH_ISM_E10value_typeET4_T5_PSR_SS_PNS1_23onesweep_lookback_stateEbbT6_jjT7_P12ihipStream_tbENKUlT_T0_SG_SL_E_clISA_SA_SB_SB_EEDaSZ_S10_SG_SL_EUlSZ_E_NS1_11comp_targetILNS1_3genE2ELNS1_11target_archE906ELNS1_3gpuE6ELNS1_3repE0EEENS1_47radix_sort_onesweep_sort_config_static_selectorELNS0_4arch9wavefront6targetE0EEEvSG_,"axG",@progbits,_ZN7rocprim17ROCPRIM_400000_NS6detail17trampoline_kernelINS0_14default_configENS1_35radix_sort_onesweep_config_selectorIlNS0_10empty_typeEEEZZNS1_29radix_sort_onesweep_iterationIS3_Lb1EPKlPlPS5_SB_mNS0_19identity_decomposerENS1_16block_id_wrapperIjLb1EEEEE10hipError_tT1_PNSt15iterator_traitsISG_E10value_typeET2_T3_PNSH_ISM_E10value_typeET4_T5_PSR_SS_PNS1_23onesweep_lookback_stateEbbT6_jjT7_P12ihipStream_tbENKUlT_T0_SG_SL_E_clISA_SA_SB_SB_EEDaSZ_S10_SG_SL_EUlSZ_E_NS1_11comp_targetILNS1_3genE2ELNS1_11target_archE906ELNS1_3gpuE6ELNS1_3repE0EEENS1_47radix_sort_onesweep_sort_config_static_selectorELNS0_4arch9wavefront6targetE0EEEvSG_,comdat
.Lfunc_end1108:
	.size	_ZN7rocprim17ROCPRIM_400000_NS6detail17trampoline_kernelINS0_14default_configENS1_35radix_sort_onesweep_config_selectorIlNS0_10empty_typeEEEZZNS1_29radix_sort_onesweep_iterationIS3_Lb1EPKlPlPS5_SB_mNS0_19identity_decomposerENS1_16block_id_wrapperIjLb1EEEEE10hipError_tT1_PNSt15iterator_traitsISG_E10value_typeET2_T3_PNSH_ISM_E10value_typeET4_T5_PSR_SS_PNS1_23onesweep_lookback_stateEbbT6_jjT7_P12ihipStream_tbENKUlT_T0_SG_SL_E_clISA_SA_SB_SB_EEDaSZ_S10_SG_SL_EUlSZ_E_NS1_11comp_targetILNS1_3genE2ELNS1_11target_archE906ELNS1_3gpuE6ELNS1_3repE0EEENS1_47radix_sort_onesweep_sort_config_static_selectorELNS0_4arch9wavefront6targetE0EEEvSG_, .Lfunc_end1108-_ZN7rocprim17ROCPRIM_400000_NS6detail17trampoline_kernelINS0_14default_configENS1_35radix_sort_onesweep_config_selectorIlNS0_10empty_typeEEEZZNS1_29radix_sort_onesweep_iterationIS3_Lb1EPKlPlPS5_SB_mNS0_19identity_decomposerENS1_16block_id_wrapperIjLb1EEEEE10hipError_tT1_PNSt15iterator_traitsISG_E10value_typeET2_T3_PNSH_ISM_E10value_typeET4_T5_PSR_SS_PNS1_23onesweep_lookback_stateEbbT6_jjT7_P12ihipStream_tbENKUlT_T0_SG_SL_E_clISA_SA_SB_SB_EEDaSZ_S10_SG_SL_EUlSZ_E_NS1_11comp_targetILNS1_3genE2ELNS1_11target_archE906ELNS1_3gpuE6ELNS1_3repE0EEENS1_47radix_sort_onesweep_sort_config_static_selectorELNS0_4arch9wavefront6targetE0EEEvSG_
                                        ; -- End function
	.set _ZN7rocprim17ROCPRIM_400000_NS6detail17trampoline_kernelINS0_14default_configENS1_35radix_sort_onesweep_config_selectorIlNS0_10empty_typeEEEZZNS1_29radix_sort_onesweep_iterationIS3_Lb1EPKlPlPS5_SB_mNS0_19identity_decomposerENS1_16block_id_wrapperIjLb1EEEEE10hipError_tT1_PNSt15iterator_traitsISG_E10value_typeET2_T3_PNSH_ISM_E10value_typeET4_T5_PSR_SS_PNS1_23onesweep_lookback_stateEbbT6_jjT7_P12ihipStream_tbENKUlT_T0_SG_SL_E_clISA_SA_SB_SB_EEDaSZ_S10_SG_SL_EUlSZ_E_NS1_11comp_targetILNS1_3genE2ELNS1_11target_archE906ELNS1_3gpuE6ELNS1_3repE0EEENS1_47radix_sort_onesweep_sort_config_static_selectorELNS0_4arch9wavefront6targetE0EEEvSG_.num_vgpr, 0
	.set _ZN7rocprim17ROCPRIM_400000_NS6detail17trampoline_kernelINS0_14default_configENS1_35radix_sort_onesweep_config_selectorIlNS0_10empty_typeEEEZZNS1_29radix_sort_onesweep_iterationIS3_Lb1EPKlPlPS5_SB_mNS0_19identity_decomposerENS1_16block_id_wrapperIjLb1EEEEE10hipError_tT1_PNSt15iterator_traitsISG_E10value_typeET2_T3_PNSH_ISM_E10value_typeET4_T5_PSR_SS_PNS1_23onesweep_lookback_stateEbbT6_jjT7_P12ihipStream_tbENKUlT_T0_SG_SL_E_clISA_SA_SB_SB_EEDaSZ_S10_SG_SL_EUlSZ_E_NS1_11comp_targetILNS1_3genE2ELNS1_11target_archE906ELNS1_3gpuE6ELNS1_3repE0EEENS1_47radix_sort_onesweep_sort_config_static_selectorELNS0_4arch9wavefront6targetE0EEEvSG_.num_agpr, 0
	.set _ZN7rocprim17ROCPRIM_400000_NS6detail17trampoline_kernelINS0_14default_configENS1_35radix_sort_onesweep_config_selectorIlNS0_10empty_typeEEEZZNS1_29radix_sort_onesweep_iterationIS3_Lb1EPKlPlPS5_SB_mNS0_19identity_decomposerENS1_16block_id_wrapperIjLb1EEEEE10hipError_tT1_PNSt15iterator_traitsISG_E10value_typeET2_T3_PNSH_ISM_E10value_typeET4_T5_PSR_SS_PNS1_23onesweep_lookback_stateEbbT6_jjT7_P12ihipStream_tbENKUlT_T0_SG_SL_E_clISA_SA_SB_SB_EEDaSZ_S10_SG_SL_EUlSZ_E_NS1_11comp_targetILNS1_3genE2ELNS1_11target_archE906ELNS1_3gpuE6ELNS1_3repE0EEENS1_47radix_sort_onesweep_sort_config_static_selectorELNS0_4arch9wavefront6targetE0EEEvSG_.numbered_sgpr, 0
	.set _ZN7rocprim17ROCPRIM_400000_NS6detail17trampoline_kernelINS0_14default_configENS1_35radix_sort_onesweep_config_selectorIlNS0_10empty_typeEEEZZNS1_29radix_sort_onesweep_iterationIS3_Lb1EPKlPlPS5_SB_mNS0_19identity_decomposerENS1_16block_id_wrapperIjLb1EEEEE10hipError_tT1_PNSt15iterator_traitsISG_E10value_typeET2_T3_PNSH_ISM_E10value_typeET4_T5_PSR_SS_PNS1_23onesweep_lookback_stateEbbT6_jjT7_P12ihipStream_tbENKUlT_T0_SG_SL_E_clISA_SA_SB_SB_EEDaSZ_S10_SG_SL_EUlSZ_E_NS1_11comp_targetILNS1_3genE2ELNS1_11target_archE906ELNS1_3gpuE6ELNS1_3repE0EEENS1_47radix_sort_onesweep_sort_config_static_selectorELNS0_4arch9wavefront6targetE0EEEvSG_.num_named_barrier, 0
	.set _ZN7rocprim17ROCPRIM_400000_NS6detail17trampoline_kernelINS0_14default_configENS1_35radix_sort_onesweep_config_selectorIlNS0_10empty_typeEEEZZNS1_29radix_sort_onesweep_iterationIS3_Lb1EPKlPlPS5_SB_mNS0_19identity_decomposerENS1_16block_id_wrapperIjLb1EEEEE10hipError_tT1_PNSt15iterator_traitsISG_E10value_typeET2_T3_PNSH_ISM_E10value_typeET4_T5_PSR_SS_PNS1_23onesweep_lookback_stateEbbT6_jjT7_P12ihipStream_tbENKUlT_T0_SG_SL_E_clISA_SA_SB_SB_EEDaSZ_S10_SG_SL_EUlSZ_E_NS1_11comp_targetILNS1_3genE2ELNS1_11target_archE906ELNS1_3gpuE6ELNS1_3repE0EEENS1_47radix_sort_onesweep_sort_config_static_selectorELNS0_4arch9wavefront6targetE0EEEvSG_.private_seg_size, 0
	.set _ZN7rocprim17ROCPRIM_400000_NS6detail17trampoline_kernelINS0_14default_configENS1_35radix_sort_onesweep_config_selectorIlNS0_10empty_typeEEEZZNS1_29radix_sort_onesweep_iterationIS3_Lb1EPKlPlPS5_SB_mNS0_19identity_decomposerENS1_16block_id_wrapperIjLb1EEEEE10hipError_tT1_PNSt15iterator_traitsISG_E10value_typeET2_T3_PNSH_ISM_E10value_typeET4_T5_PSR_SS_PNS1_23onesweep_lookback_stateEbbT6_jjT7_P12ihipStream_tbENKUlT_T0_SG_SL_E_clISA_SA_SB_SB_EEDaSZ_S10_SG_SL_EUlSZ_E_NS1_11comp_targetILNS1_3genE2ELNS1_11target_archE906ELNS1_3gpuE6ELNS1_3repE0EEENS1_47radix_sort_onesweep_sort_config_static_selectorELNS0_4arch9wavefront6targetE0EEEvSG_.uses_vcc, 0
	.set _ZN7rocprim17ROCPRIM_400000_NS6detail17trampoline_kernelINS0_14default_configENS1_35radix_sort_onesweep_config_selectorIlNS0_10empty_typeEEEZZNS1_29radix_sort_onesweep_iterationIS3_Lb1EPKlPlPS5_SB_mNS0_19identity_decomposerENS1_16block_id_wrapperIjLb1EEEEE10hipError_tT1_PNSt15iterator_traitsISG_E10value_typeET2_T3_PNSH_ISM_E10value_typeET4_T5_PSR_SS_PNS1_23onesweep_lookback_stateEbbT6_jjT7_P12ihipStream_tbENKUlT_T0_SG_SL_E_clISA_SA_SB_SB_EEDaSZ_S10_SG_SL_EUlSZ_E_NS1_11comp_targetILNS1_3genE2ELNS1_11target_archE906ELNS1_3gpuE6ELNS1_3repE0EEENS1_47radix_sort_onesweep_sort_config_static_selectorELNS0_4arch9wavefront6targetE0EEEvSG_.uses_flat_scratch, 0
	.set _ZN7rocprim17ROCPRIM_400000_NS6detail17trampoline_kernelINS0_14default_configENS1_35radix_sort_onesweep_config_selectorIlNS0_10empty_typeEEEZZNS1_29radix_sort_onesweep_iterationIS3_Lb1EPKlPlPS5_SB_mNS0_19identity_decomposerENS1_16block_id_wrapperIjLb1EEEEE10hipError_tT1_PNSt15iterator_traitsISG_E10value_typeET2_T3_PNSH_ISM_E10value_typeET4_T5_PSR_SS_PNS1_23onesweep_lookback_stateEbbT6_jjT7_P12ihipStream_tbENKUlT_T0_SG_SL_E_clISA_SA_SB_SB_EEDaSZ_S10_SG_SL_EUlSZ_E_NS1_11comp_targetILNS1_3genE2ELNS1_11target_archE906ELNS1_3gpuE6ELNS1_3repE0EEENS1_47radix_sort_onesweep_sort_config_static_selectorELNS0_4arch9wavefront6targetE0EEEvSG_.has_dyn_sized_stack, 0
	.set _ZN7rocprim17ROCPRIM_400000_NS6detail17trampoline_kernelINS0_14default_configENS1_35radix_sort_onesweep_config_selectorIlNS0_10empty_typeEEEZZNS1_29radix_sort_onesweep_iterationIS3_Lb1EPKlPlPS5_SB_mNS0_19identity_decomposerENS1_16block_id_wrapperIjLb1EEEEE10hipError_tT1_PNSt15iterator_traitsISG_E10value_typeET2_T3_PNSH_ISM_E10value_typeET4_T5_PSR_SS_PNS1_23onesweep_lookback_stateEbbT6_jjT7_P12ihipStream_tbENKUlT_T0_SG_SL_E_clISA_SA_SB_SB_EEDaSZ_S10_SG_SL_EUlSZ_E_NS1_11comp_targetILNS1_3genE2ELNS1_11target_archE906ELNS1_3gpuE6ELNS1_3repE0EEENS1_47radix_sort_onesweep_sort_config_static_selectorELNS0_4arch9wavefront6targetE0EEEvSG_.has_recursion, 0
	.set _ZN7rocprim17ROCPRIM_400000_NS6detail17trampoline_kernelINS0_14default_configENS1_35radix_sort_onesweep_config_selectorIlNS0_10empty_typeEEEZZNS1_29radix_sort_onesweep_iterationIS3_Lb1EPKlPlPS5_SB_mNS0_19identity_decomposerENS1_16block_id_wrapperIjLb1EEEEE10hipError_tT1_PNSt15iterator_traitsISG_E10value_typeET2_T3_PNSH_ISM_E10value_typeET4_T5_PSR_SS_PNS1_23onesweep_lookback_stateEbbT6_jjT7_P12ihipStream_tbENKUlT_T0_SG_SL_E_clISA_SA_SB_SB_EEDaSZ_S10_SG_SL_EUlSZ_E_NS1_11comp_targetILNS1_3genE2ELNS1_11target_archE906ELNS1_3gpuE6ELNS1_3repE0EEENS1_47radix_sort_onesweep_sort_config_static_selectorELNS0_4arch9wavefront6targetE0EEEvSG_.has_indirect_call, 0
	.section	.AMDGPU.csdata,"",@progbits
; Kernel info:
; codeLenInByte = 0
; TotalNumSgprs: 0
; NumVgprs: 0
; ScratchSize: 0
; MemoryBound: 0
; FloatMode: 240
; IeeeMode: 1
; LDSByteSize: 0 bytes/workgroup (compile time only)
; SGPRBlocks: 0
; VGPRBlocks: 0
; NumSGPRsForWavesPerEU: 1
; NumVGPRsForWavesPerEU: 1
; NamedBarCnt: 0
; Occupancy: 16
; WaveLimiterHint : 0
; COMPUTE_PGM_RSRC2:SCRATCH_EN: 0
; COMPUTE_PGM_RSRC2:USER_SGPR: 2
; COMPUTE_PGM_RSRC2:TRAP_HANDLER: 0
; COMPUTE_PGM_RSRC2:TGID_X_EN: 1
; COMPUTE_PGM_RSRC2:TGID_Y_EN: 0
; COMPUTE_PGM_RSRC2:TGID_Z_EN: 0
; COMPUTE_PGM_RSRC2:TIDIG_COMP_CNT: 0
	.section	.text._ZN7rocprim17ROCPRIM_400000_NS6detail17trampoline_kernelINS0_14default_configENS1_35radix_sort_onesweep_config_selectorIlNS0_10empty_typeEEEZZNS1_29radix_sort_onesweep_iterationIS3_Lb1EPKlPlPS5_SB_mNS0_19identity_decomposerENS1_16block_id_wrapperIjLb1EEEEE10hipError_tT1_PNSt15iterator_traitsISG_E10value_typeET2_T3_PNSH_ISM_E10value_typeET4_T5_PSR_SS_PNS1_23onesweep_lookback_stateEbbT6_jjT7_P12ihipStream_tbENKUlT_T0_SG_SL_E_clISA_SA_SB_SB_EEDaSZ_S10_SG_SL_EUlSZ_E_NS1_11comp_targetILNS1_3genE4ELNS1_11target_archE910ELNS1_3gpuE8ELNS1_3repE0EEENS1_47radix_sort_onesweep_sort_config_static_selectorELNS0_4arch9wavefront6targetE0EEEvSG_,"axG",@progbits,_ZN7rocprim17ROCPRIM_400000_NS6detail17trampoline_kernelINS0_14default_configENS1_35radix_sort_onesweep_config_selectorIlNS0_10empty_typeEEEZZNS1_29radix_sort_onesweep_iterationIS3_Lb1EPKlPlPS5_SB_mNS0_19identity_decomposerENS1_16block_id_wrapperIjLb1EEEEE10hipError_tT1_PNSt15iterator_traitsISG_E10value_typeET2_T3_PNSH_ISM_E10value_typeET4_T5_PSR_SS_PNS1_23onesweep_lookback_stateEbbT6_jjT7_P12ihipStream_tbENKUlT_T0_SG_SL_E_clISA_SA_SB_SB_EEDaSZ_S10_SG_SL_EUlSZ_E_NS1_11comp_targetILNS1_3genE4ELNS1_11target_archE910ELNS1_3gpuE8ELNS1_3repE0EEENS1_47radix_sort_onesweep_sort_config_static_selectorELNS0_4arch9wavefront6targetE0EEEvSG_,comdat
	.protected	_ZN7rocprim17ROCPRIM_400000_NS6detail17trampoline_kernelINS0_14default_configENS1_35radix_sort_onesweep_config_selectorIlNS0_10empty_typeEEEZZNS1_29radix_sort_onesweep_iterationIS3_Lb1EPKlPlPS5_SB_mNS0_19identity_decomposerENS1_16block_id_wrapperIjLb1EEEEE10hipError_tT1_PNSt15iterator_traitsISG_E10value_typeET2_T3_PNSH_ISM_E10value_typeET4_T5_PSR_SS_PNS1_23onesweep_lookback_stateEbbT6_jjT7_P12ihipStream_tbENKUlT_T0_SG_SL_E_clISA_SA_SB_SB_EEDaSZ_S10_SG_SL_EUlSZ_E_NS1_11comp_targetILNS1_3genE4ELNS1_11target_archE910ELNS1_3gpuE8ELNS1_3repE0EEENS1_47radix_sort_onesweep_sort_config_static_selectorELNS0_4arch9wavefront6targetE0EEEvSG_ ; -- Begin function _ZN7rocprim17ROCPRIM_400000_NS6detail17trampoline_kernelINS0_14default_configENS1_35radix_sort_onesweep_config_selectorIlNS0_10empty_typeEEEZZNS1_29radix_sort_onesweep_iterationIS3_Lb1EPKlPlPS5_SB_mNS0_19identity_decomposerENS1_16block_id_wrapperIjLb1EEEEE10hipError_tT1_PNSt15iterator_traitsISG_E10value_typeET2_T3_PNSH_ISM_E10value_typeET4_T5_PSR_SS_PNS1_23onesweep_lookback_stateEbbT6_jjT7_P12ihipStream_tbENKUlT_T0_SG_SL_E_clISA_SA_SB_SB_EEDaSZ_S10_SG_SL_EUlSZ_E_NS1_11comp_targetILNS1_3genE4ELNS1_11target_archE910ELNS1_3gpuE8ELNS1_3repE0EEENS1_47radix_sort_onesweep_sort_config_static_selectorELNS0_4arch9wavefront6targetE0EEEvSG_
	.globl	_ZN7rocprim17ROCPRIM_400000_NS6detail17trampoline_kernelINS0_14default_configENS1_35radix_sort_onesweep_config_selectorIlNS0_10empty_typeEEEZZNS1_29radix_sort_onesweep_iterationIS3_Lb1EPKlPlPS5_SB_mNS0_19identity_decomposerENS1_16block_id_wrapperIjLb1EEEEE10hipError_tT1_PNSt15iterator_traitsISG_E10value_typeET2_T3_PNSH_ISM_E10value_typeET4_T5_PSR_SS_PNS1_23onesweep_lookback_stateEbbT6_jjT7_P12ihipStream_tbENKUlT_T0_SG_SL_E_clISA_SA_SB_SB_EEDaSZ_S10_SG_SL_EUlSZ_E_NS1_11comp_targetILNS1_3genE4ELNS1_11target_archE910ELNS1_3gpuE8ELNS1_3repE0EEENS1_47radix_sort_onesweep_sort_config_static_selectorELNS0_4arch9wavefront6targetE0EEEvSG_
	.p2align	8
	.type	_ZN7rocprim17ROCPRIM_400000_NS6detail17trampoline_kernelINS0_14default_configENS1_35radix_sort_onesweep_config_selectorIlNS0_10empty_typeEEEZZNS1_29radix_sort_onesweep_iterationIS3_Lb1EPKlPlPS5_SB_mNS0_19identity_decomposerENS1_16block_id_wrapperIjLb1EEEEE10hipError_tT1_PNSt15iterator_traitsISG_E10value_typeET2_T3_PNSH_ISM_E10value_typeET4_T5_PSR_SS_PNS1_23onesweep_lookback_stateEbbT6_jjT7_P12ihipStream_tbENKUlT_T0_SG_SL_E_clISA_SA_SB_SB_EEDaSZ_S10_SG_SL_EUlSZ_E_NS1_11comp_targetILNS1_3genE4ELNS1_11target_archE910ELNS1_3gpuE8ELNS1_3repE0EEENS1_47radix_sort_onesweep_sort_config_static_selectorELNS0_4arch9wavefront6targetE0EEEvSG_,@function
_ZN7rocprim17ROCPRIM_400000_NS6detail17trampoline_kernelINS0_14default_configENS1_35radix_sort_onesweep_config_selectorIlNS0_10empty_typeEEEZZNS1_29radix_sort_onesweep_iterationIS3_Lb1EPKlPlPS5_SB_mNS0_19identity_decomposerENS1_16block_id_wrapperIjLb1EEEEE10hipError_tT1_PNSt15iterator_traitsISG_E10value_typeET2_T3_PNSH_ISM_E10value_typeET4_T5_PSR_SS_PNS1_23onesweep_lookback_stateEbbT6_jjT7_P12ihipStream_tbENKUlT_T0_SG_SL_E_clISA_SA_SB_SB_EEDaSZ_S10_SG_SL_EUlSZ_E_NS1_11comp_targetILNS1_3genE4ELNS1_11target_archE910ELNS1_3gpuE8ELNS1_3repE0EEENS1_47radix_sort_onesweep_sort_config_static_selectorELNS0_4arch9wavefront6targetE0EEEvSG_: ; @_ZN7rocprim17ROCPRIM_400000_NS6detail17trampoline_kernelINS0_14default_configENS1_35radix_sort_onesweep_config_selectorIlNS0_10empty_typeEEEZZNS1_29radix_sort_onesweep_iterationIS3_Lb1EPKlPlPS5_SB_mNS0_19identity_decomposerENS1_16block_id_wrapperIjLb1EEEEE10hipError_tT1_PNSt15iterator_traitsISG_E10value_typeET2_T3_PNSH_ISM_E10value_typeET4_T5_PSR_SS_PNS1_23onesweep_lookback_stateEbbT6_jjT7_P12ihipStream_tbENKUlT_T0_SG_SL_E_clISA_SA_SB_SB_EEDaSZ_S10_SG_SL_EUlSZ_E_NS1_11comp_targetILNS1_3genE4ELNS1_11target_archE910ELNS1_3gpuE8ELNS1_3repE0EEENS1_47radix_sort_onesweep_sort_config_static_selectorELNS0_4arch9wavefront6targetE0EEEvSG_
; %bb.0:
	.section	.rodata,"a",@progbits
	.p2align	6, 0x0
	.amdhsa_kernel _ZN7rocprim17ROCPRIM_400000_NS6detail17trampoline_kernelINS0_14default_configENS1_35radix_sort_onesweep_config_selectorIlNS0_10empty_typeEEEZZNS1_29radix_sort_onesweep_iterationIS3_Lb1EPKlPlPS5_SB_mNS0_19identity_decomposerENS1_16block_id_wrapperIjLb1EEEEE10hipError_tT1_PNSt15iterator_traitsISG_E10value_typeET2_T3_PNSH_ISM_E10value_typeET4_T5_PSR_SS_PNS1_23onesweep_lookback_stateEbbT6_jjT7_P12ihipStream_tbENKUlT_T0_SG_SL_E_clISA_SA_SB_SB_EEDaSZ_S10_SG_SL_EUlSZ_E_NS1_11comp_targetILNS1_3genE4ELNS1_11target_archE910ELNS1_3gpuE8ELNS1_3repE0EEENS1_47radix_sort_onesweep_sort_config_static_selectorELNS0_4arch9wavefront6targetE0EEEvSG_
		.amdhsa_group_segment_fixed_size 0
		.amdhsa_private_segment_fixed_size 0
		.amdhsa_kernarg_size 88
		.amdhsa_user_sgpr_count 2
		.amdhsa_user_sgpr_dispatch_ptr 0
		.amdhsa_user_sgpr_queue_ptr 0
		.amdhsa_user_sgpr_kernarg_segment_ptr 1
		.amdhsa_user_sgpr_dispatch_id 0
		.amdhsa_user_sgpr_kernarg_preload_length 0
		.amdhsa_user_sgpr_kernarg_preload_offset 0
		.amdhsa_user_sgpr_private_segment_size 0
		.amdhsa_wavefront_size32 1
		.amdhsa_uses_dynamic_stack 0
		.amdhsa_enable_private_segment 0
		.amdhsa_system_sgpr_workgroup_id_x 1
		.amdhsa_system_sgpr_workgroup_id_y 0
		.amdhsa_system_sgpr_workgroup_id_z 0
		.amdhsa_system_sgpr_workgroup_info 0
		.amdhsa_system_vgpr_workitem_id 0
		.amdhsa_next_free_vgpr 1
		.amdhsa_next_free_sgpr 1
		.amdhsa_named_barrier_count 0
		.amdhsa_reserve_vcc 0
		.amdhsa_float_round_mode_32 0
		.amdhsa_float_round_mode_16_64 0
		.amdhsa_float_denorm_mode_32 3
		.amdhsa_float_denorm_mode_16_64 3
		.amdhsa_fp16_overflow 0
		.amdhsa_memory_ordered 1
		.amdhsa_forward_progress 1
		.amdhsa_inst_pref_size 0
		.amdhsa_round_robin_scheduling 0
		.amdhsa_exception_fp_ieee_invalid_op 0
		.amdhsa_exception_fp_denorm_src 0
		.amdhsa_exception_fp_ieee_div_zero 0
		.amdhsa_exception_fp_ieee_overflow 0
		.amdhsa_exception_fp_ieee_underflow 0
		.amdhsa_exception_fp_ieee_inexact 0
		.amdhsa_exception_int_div_zero 0
	.end_amdhsa_kernel
	.section	.text._ZN7rocprim17ROCPRIM_400000_NS6detail17trampoline_kernelINS0_14default_configENS1_35radix_sort_onesweep_config_selectorIlNS0_10empty_typeEEEZZNS1_29radix_sort_onesweep_iterationIS3_Lb1EPKlPlPS5_SB_mNS0_19identity_decomposerENS1_16block_id_wrapperIjLb1EEEEE10hipError_tT1_PNSt15iterator_traitsISG_E10value_typeET2_T3_PNSH_ISM_E10value_typeET4_T5_PSR_SS_PNS1_23onesweep_lookback_stateEbbT6_jjT7_P12ihipStream_tbENKUlT_T0_SG_SL_E_clISA_SA_SB_SB_EEDaSZ_S10_SG_SL_EUlSZ_E_NS1_11comp_targetILNS1_3genE4ELNS1_11target_archE910ELNS1_3gpuE8ELNS1_3repE0EEENS1_47radix_sort_onesweep_sort_config_static_selectorELNS0_4arch9wavefront6targetE0EEEvSG_,"axG",@progbits,_ZN7rocprim17ROCPRIM_400000_NS6detail17trampoline_kernelINS0_14default_configENS1_35radix_sort_onesweep_config_selectorIlNS0_10empty_typeEEEZZNS1_29radix_sort_onesweep_iterationIS3_Lb1EPKlPlPS5_SB_mNS0_19identity_decomposerENS1_16block_id_wrapperIjLb1EEEEE10hipError_tT1_PNSt15iterator_traitsISG_E10value_typeET2_T3_PNSH_ISM_E10value_typeET4_T5_PSR_SS_PNS1_23onesweep_lookback_stateEbbT6_jjT7_P12ihipStream_tbENKUlT_T0_SG_SL_E_clISA_SA_SB_SB_EEDaSZ_S10_SG_SL_EUlSZ_E_NS1_11comp_targetILNS1_3genE4ELNS1_11target_archE910ELNS1_3gpuE8ELNS1_3repE0EEENS1_47radix_sort_onesweep_sort_config_static_selectorELNS0_4arch9wavefront6targetE0EEEvSG_,comdat
.Lfunc_end1109:
	.size	_ZN7rocprim17ROCPRIM_400000_NS6detail17trampoline_kernelINS0_14default_configENS1_35radix_sort_onesweep_config_selectorIlNS0_10empty_typeEEEZZNS1_29radix_sort_onesweep_iterationIS3_Lb1EPKlPlPS5_SB_mNS0_19identity_decomposerENS1_16block_id_wrapperIjLb1EEEEE10hipError_tT1_PNSt15iterator_traitsISG_E10value_typeET2_T3_PNSH_ISM_E10value_typeET4_T5_PSR_SS_PNS1_23onesweep_lookback_stateEbbT6_jjT7_P12ihipStream_tbENKUlT_T0_SG_SL_E_clISA_SA_SB_SB_EEDaSZ_S10_SG_SL_EUlSZ_E_NS1_11comp_targetILNS1_3genE4ELNS1_11target_archE910ELNS1_3gpuE8ELNS1_3repE0EEENS1_47radix_sort_onesweep_sort_config_static_selectorELNS0_4arch9wavefront6targetE0EEEvSG_, .Lfunc_end1109-_ZN7rocprim17ROCPRIM_400000_NS6detail17trampoline_kernelINS0_14default_configENS1_35radix_sort_onesweep_config_selectorIlNS0_10empty_typeEEEZZNS1_29radix_sort_onesweep_iterationIS3_Lb1EPKlPlPS5_SB_mNS0_19identity_decomposerENS1_16block_id_wrapperIjLb1EEEEE10hipError_tT1_PNSt15iterator_traitsISG_E10value_typeET2_T3_PNSH_ISM_E10value_typeET4_T5_PSR_SS_PNS1_23onesweep_lookback_stateEbbT6_jjT7_P12ihipStream_tbENKUlT_T0_SG_SL_E_clISA_SA_SB_SB_EEDaSZ_S10_SG_SL_EUlSZ_E_NS1_11comp_targetILNS1_3genE4ELNS1_11target_archE910ELNS1_3gpuE8ELNS1_3repE0EEENS1_47radix_sort_onesweep_sort_config_static_selectorELNS0_4arch9wavefront6targetE0EEEvSG_
                                        ; -- End function
	.set _ZN7rocprim17ROCPRIM_400000_NS6detail17trampoline_kernelINS0_14default_configENS1_35radix_sort_onesweep_config_selectorIlNS0_10empty_typeEEEZZNS1_29radix_sort_onesweep_iterationIS3_Lb1EPKlPlPS5_SB_mNS0_19identity_decomposerENS1_16block_id_wrapperIjLb1EEEEE10hipError_tT1_PNSt15iterator_traitsISG_E10value_typeET2_T3_PNSH_ISM_E10value_typeET4_T5_PSR_SS_PNS1_23onesweep_lookback_stateEbbT6_jjT7_P12ihipStream_tbENKUlT_T0_SG_SL_E_clISA_SA_SB_SB_EEDaSZ_S10_SG_SL_EUlSZ_E_NS1_11comp_targetILNS1_3genE4ELNS1_11target_archE910ELNS1_3gpuE8ELNS1_3repE0EEENS1_47radix_sort_onesweep_sort_config_static_selectorELNS0_4arch9wavefront6targetE0EEEvSG_.num_vgpr, 0
	.set _ZN7rocprim17ROCPRIM_400000_NS6detail17trampoline_kernelINS0_14default_configENS1_35radix_sort_onesweep_config_selectorIlNS0_10empty_typeEEEZZNS1_29radix_sort_onesweep_iterationIS3_Lb1EPKlPlPS5_SB_mNS0_19identity_decomposerENS1_16block_id_wrapperIjLb1EEEEE10hipError_tT1_PNSt15iterator_traitsISG_E10value_typeET2_T3_PNSH_ISM_E10value_typeET4_T5_PSR_SS_PNS1_23onesweep_lookback_stateEbbT6_jjT7_P12ihipStream_tbENKUlT_T0_SG_SL_E_clISA_SA_SB_SB_EEDaSZ_S10_SG_SL_EUlSZ_E_NS1_11comp_targetILNS1_3genE4ELNS1_11target_archE910ELNS1_3gpuE8ELNS1_3repE0EEENS1_47radix_sort_onesweep_sort_config_static_selectorELNS0_4arch9wavefront6targetE0EEEvSG_.num_agpr, 0
	.set _ZN7rocprim17ROCPRIM_400000_NS6detail17trampoline_kernelINS0_14default_configENS1_35radix_sort_onesweep_config_selectorIlNS0_10empty_typeEEEZZNS1_29radix_sort_onesweep_iterationIS3_Lb1EPKlPlPS5_SB_mNS0_19identity_decomposerENS1_16block_id_wrapperIjLb1EEEEE10hipError_tT1_PNSt15iterator_traitsISG_E10value_typeET2_T3_PNSH_ISM_E10value_typeET4_T5_PSR_SS_PNS1_23onesweep_lookback_stateEbbT6_jjT7_P12ihipStream_tbENKUlT_T0_SG_SL_E_clISA_SA_SB_SB_EEDaSZ_S10_SG_SL_EUlSZ_E_NS1_11comp_targetILNS1_3genE4ELNS1_11target_archE910ELNS1_3gpuE8ELNS1_3repE0EEENS1_47radix_sort_onesweep_sort_config_static_selectorELNS0_4arch9wavefront6targetE0EEEvSG_.numbered_sgpr, 0
	.set _ZN7rocprim17ROCPRIM_400000_NS6detail17trampoline_kernelINS0_14default_configENS1_35radix_sort_onesweep_config_selectorIlNS0_10empty_typeEEEZZNS1_29radix_sort_onesweep_iterationIS3_Lb1EPKlPlPS5_SB_mNS0_19identity_decomposerENS1_16block_id_wrapperIjLb1EEEEE10hipError_tT1_PNSt15iterator_traitsISG_E10value_typeET2_T3_PNSH_ISM_E10value_typeET4_T5_PSR_SS_PNS1_23onesweep_lookback_stateEbbT6_jjT7_P12ihipStream_tbENKUlT_T0_SG_SL_E_clISA_SA_SB_SB_EEDaSZ_S10_SG_SL_EUlSZ_E_NS1_11comp_targetILNS1_3genE4ELNS1_11target_archE910ELNS1_3gpuE8ELNS1_3repE0EEENS1_47radix_sort_onesweep_sort_config_static_selectorELNS0_4arch9wavefront6targetE0EEEvSG_.num_named_barrier, 0
	.set _ZN7rocprim17ROCPRIM_400000_NS6detail17trampoline_kernelINS0_14default_configENS1_35radix_sort_onesweep_config_selectorIlNS0_10empty_typeEEEZZNS1_29radix_sort_onesweep_iterationIS3_Lb1EPKlPlPS5_SB_mNS0_19identity_decomposerENS1_16block_id_wrapperIjLb1EEEEE10hipError_tT1_PNSt15iterator_traitsISG_E10value_typeET2_T3_PNSH_ISM_E10value_typeET4_T5_PSR_SS_PNS1_23onesweep_lookback_stateEbbT6_jjT7_P12ihipStream_tbENKUlT_T0_SG_SL_E_clISA_SA_SB_SB_EEDaSZ_S10_SG_SL_EUlSZ_E_NS1_11comp_targetILNS1_3genE4ELNS1_11target_archE910ELNS1_3gpuE8ELNS1_3repE0EEENS1_47radix_sort_onesweep_sort_config_static_selectorELNS0_4arch9wavefront6targetE0EEEvSG_.private_seg_size, 0
	.set _ZN7rocprim17ROCPRIM_400000_NS6detail17trampoline_kernelINS0_14default_configENS1_35radix_sort_onesweep_config_selectorIlNS0_10empty_typeEEEZZNS1_29radix_sort_onesweep_iterationIS3_Lb1EPKlPlPS5_SB_mNS0_19identity_decomposerENS1_16block_id_wrapperIjLb1EEEEE10hipError_tT1_PNSt15iterator_traitsISG_E10value_typeET2_T3_PNSH_ISM_E10value_typeET4_T5_PSR_SS_PNS1_23onesweep_lookback_stateEbbT6_jjT7_P12ihipStream_tbENKUlT_T0_SG_SL_E_clISA_SA_SB_SB_EEDaSZ_S10_SG_SL_EUlSZ_E_NS1_11comp_targetILNS1_3genE4ELNS1_11target_archE910ELNS1_3gpuE8ELNS1_3repE0EEENS1_47radix_sort_onesweep_sort_config_static_selectorELNS0_4arch9wavefront6targetE0EEEvSG_.uses_vcc, 0
	.set _ZN7rocprim17ROCPRIM_400000_NS6detail17trampoline_kernelINS0_14default_configENS1_35radix_sort_onesweep_config_selectorIlNS0_10empty_typeEEEZZNS1_29radix_sort_onesweep_iterationIS3_Lb1EPKlPlPS5_SB_mNS0_19identity_decomposerENS1_16block_id_wrapperIjLb1EEEEE10hipError_tT1_PNSt15iterator_traitsISG_E10value_typeET2_T3_PNSH_ISM_E10value_typeET4_T5_PSR_SS_PNS1_23onesweep_lookback_stateEbbT6_jjT7_P12ihipStream_tbENKUlT_T0_SG_SL_E_clISA_SA_SB_SB_EEDaSZ_S10_SG_SL_EUlSZ_E_NS1_11comp_targetILNS1_3genE4ELNS1_11target_archE910ELNS1_3gpuE8ELNS1_3repE0EEENS1_47radix_sort_onesweep_sort_config_static_selectorELNS0_4arch9wavefront6targetE0EEEvSG_.uses_flat_scratch, 0
	.set _ZN7rocprim17ROCPRIM_400000_NS6detail17trampoline_kernelINS0_14default_configENS1_35radix_sort_onesweep_config_selectorIlNS0_10empty_typeEEEZZNS1_29radix_sort_onesweep_iterationIS3_Lb1EPKlPlPS5_SB_mNS0_19identity_decomposerENS1_16block_id_wrapperIjLb1EEEEE10hipError_tT1_PNSt15iterator_traitsISG_E10value_typeET2_T3_PNSH_ISM_E10value_typeET4_T5_PSR_SS_PNS1_23onesweep_lookback_stateEbbT6_jjT7_P12ihipStream_tbENKUlT_T0_SG_SL_E_clISA_SA_SB_SB_EEDaSZ_S10_SG_SL_EUlSZ_E_NS1_11comp_targetILNS1_3genE4ELNS1_11target_archE910ELNS1_3gpuE8ELNS1_3repE0EEENS1_47radix_sort_onesweep_sort_config_static_selectorELNS0_4arch9wavefront6targetE0EEEvSG_.has_dyn_sized_stack, 0
	.set _ZN7rocprim17ROCPRIM_400000_NS6detail17trampoline_kernelINS0_14default_configENS1_35radix_sort_onesweep_config_selectorIlNS0_10empty_typeEEEZZNS1_29radix_sort_onesweep_iterationIS3_Lb1EPKlPlPS5_SB_mNS0_19identity_decomposerENS1_16block_id_wrapperIjLb1EEEEE10hipError_tT1_PNSt15iterator_traitsISG_E10value_typeET2_T3_PNSH_ISM_E10value_typeET4_T5_PSR_SS_PNS1_23onesweep_lookback_stateEbbT6_jjT7_P12ihipStream_tbENKUlT_T0_SG_SL_E_clISA_SA_SB_SB_EEDaSZ_S10_SG_SL_EUlSZ_E_NS1_11comp_targetILNS1_3genE4ELNS1_11target_archE910ELNS1_3gpuE8ELNS1_3repE0EEENS1_47radix_sort_onesweep_sort_config_static_selectorELNS0_4arch9wavefront6targetE0EEEvSG_.has_recursion, 0
	.set _ZN7rocprim17ROCPRIM_400000_NS6detail17trampoline_kernelINS0_14default_configENS1_35radix_sort_onesweep_config_selectorIlNS0_10empty_typeEEEZZNS1_29radix_sort_onesweep_iterationIS3_Lb1EPKlPlPS5_SB_mNS0_19identity_decomposerENS1_16block_id_wrapperIjLb1EEEEE10hipError_tT1_PNSt15iterator_traitsISG_E10value_typeET2_T3_PNSH_ISM_E10value_typeET4_T5_PSR_SS_PNS1_23onesweep_lookback_stateEbbT6_jjT7_P12ihipStream_tbENKUlT_T0_SG_SL_E_clISA_SA_SB_SB_EEDaSZ_S10_SG_SL_EUlSZ_E_NS1_11comp_targetILNS1_3genE4ELNS1_11target_archE910ELNS1_3gpuE8ELNS1_3repE0EEENS1_47radix_sort_onesweep_sort_config_static_selectorELNS0_4arch9wavefront6targetE0EEEvSG_.has_indirect_call, 0
	.section	.AMDGPU.csdata,"",@progbits
; Kernel info:
; codeLenInByte = 0
; TotalNumSgprs: 0
; NumVgprs: 0
; ScratchSize: 0
; MemoryBound: 0
; FloatMode: 240
; IeeeMode: 1
; LDSByteSize: 0 bytes/workgroup (compile time only)
; SGPRBlocks: 0
; VGPRBlocks: 0
; NumSGPRsForWavesPerEU: 1
; NumVGPRsForWavesPerEU: 1
; NamedBarCnt: 0
; Occupancy: 16
; WaveLimiterHint : 0
; COMPUTE_PGM_RSRC2:SCRATCH_EN: 0
; COMPUTE_PGM_RSRC2:USER_SGPR: 2
; COMPUTE_PGM_RSRC2:TRAP_HANDLER: 0
; COMPUTE_PGM_RSRC2:TGID_X_EN: 1
; COMPUTE_PGM_RSRC2:TGID_Y_EN: 0
; COMPUTE_PGM_RSRC2:TGID_Z_EN: 0
; COMPUTE_PGM_RSRC2:TIDIG_COMP_CNT: 0
	.section	.text._ZN7rocprim17ROCPRIM_400000_NS6detail17trampoline_kernelINS0_14default_configENS1_35radix_sort_onesweep_config_selectorIlNS0_10empty_typeEEEZZNS1_29radix_sort_onesweep_iterationIS3_Lb1EPKlPlPS5_SB_mNS0_19identity_decomposerENS1_16block_id_wrapperIjLb1EEEEE10hipError_tT1_PNSt15iterator_traitsISG_E10value_typeET2_T3_PNSH_ISM_E10value_typeET4_T5_PSR_SS_PNS1_23onesweep_lookback_stateEbbT6_jjT7_P12ihipStream_tbENKUlT_T0_SG_SL_E_clISA_SA_SB_SB_EEDaSZ_S10_SG_SL_EUlSZ_E_NS1_11comp_targetILNS1_3genE3ELNS1_11target_archE908ELNS1_3gpuE7ELNS1_3repE0EEENS1_47radix_sort_onesweep_sort_config_static_selectorELNS0_4arch9wavefront6targetE0EEEvSG_,"axG",@progbits,_ZN7rocprim17ROCPRIM_400000_NS6detail17trampoline_kernelINS0_14default_configENS1_35radix_sort_onesweep_config_selectorIlNS0_10empty_typeEEEZZNS1_29radix_sort_onesweep_iterationIS3_Lb1EPKlPlPS5_SB_mNS0_19identity_decomposerENS1_16block_id_wrapperIjLb1EEEEE10hipError_tT1_PNSt15iterator_traitsISG_E10value_typeET2_T3_PNSH_ISM_E10value_typeET4_T5_PSR_SS_PNS1_23onesweep_lookback_stateEbbT6_jjT7_P12ihipStream_tbENKUlT_T0_SG_SL_E_clISA_SA_SB_SB_EEDaSZ_S10_SG_SL_EUlSZ_E_NS1_11comp_targetILNS1_3genE3ELNS1_11target_archE908ELNS1_3gpuE7ELNS1_3repE0EEENS1_47radix_sort_onesweep_sort_config_static_selectorELNS0_4arch9wavefront6targetE0EEEvSG_,comdat
	.protected	_ZN7rocprim17ROCPRIM_400000_NS6detail17trampoline_kernelINS0_14default_configENS1_35radix_sort_onesweep_config_selectorIlNS0_10empty_typeEEEZZNS1_29radix_sort_onesweep_iterationIS3_Lb1EPKlPlPS5_SB_mNS0_19identity_decomposerENS1_16block_id_wrapperIjLb1EEEEE10hipError_tT1_PNSt15iterator_traitsISG_E10value_typeET2_T3_PNSH_ISM_E10value_typeET4_T5_PSR_SS_PNS1_23onesweep_lookback_stateEbbT6_jjT7_P12ihipStream_tbENKUlT_T0_SG_SL_E_clISA_SA_SB_SB_EEDaSZ_S10_SG_SL_EUlSZ_E_NS1_11comp_targetILNS1_3genE3ELNS1_11target_archE908ELNS1_3gpuE7ELNS1_3repE0EEENS1_47radix_sort_onesweep_sort_config_static_selectorELNS0_4arch9wavefront6targetE0EEEvSG_ ; -- Begin function _ZN7rocprim17ROCPRIM_400000_NS6detail17trampoline_kernelINS0_14default_configENS1_35radix_sort_onesweep_config_selectorIlNS0_10empty_typeEEEZZNS1_29radix_sort_onesweep_iterationIS3_Lb1EPKlPlPS5_SB_mNS0_19identity_decomposerENS1_16block_id_wrapperIjLb1EEEEE10hipError_tT1_PNSt15iterator_traitsISG_E10value_typeET2_T3_PNSH_ISM_E10value_typeET4_T5_PSR_SS_PNS1_23onesweep_lookback_stateEbbT6_jjT7_P12ihipStream_tbENKUlT_T0_SG_SL_E_clISA_SA_SB_SB_EEDaSZ_S10_SG_SL_EUlSZ_E_NS1_11comp_targetILNS1_3genE3ELNS1_11target_archE908ELNS1_3gpuE7ELNS1_3repE0EEENS1_47radix_sort_onesweep_sort_config_static_selectorELNS0_4arch9wavefront6targetE0EEEvSG_
	.globl	_ZN7rocprim17ROCPRIM_400000_NS6detail17trampoline_kernelINS0_14default_configENS1_35radix_sort_onesweep_config_selectorIlNS0_10empty_typeEEEZZNS1_29radix_sort_onesweep_iterationIS3_Lb1EPKlPlPS5_SB_mNS0_19identity_decomposerENS1_16block_id_wrapperIjLb1EEEEE10hipError_tT1_PNSt15iterator_traitsISG_E10value_typeET2_T3_PNSH_ISM_E10value_typeET4_T5_PSR_SS_PNS1_23onesweep_lookback_stateEbbT6_jjT7_P12ihipStream_tbENKUlT_T0_SG_SL_E_clISA_SA_SB_SB_EEDaSZ_S10_SG_SL_EUlSZ_E_NS1_11comp_targetILNS1_3genE3ELNS1_11target_archE908ELNS1_3gpuE7ELNS1_3repE0EEENS1_47radix_sort_onesweep_sort_config_static_selectorELNS0_4arch9wavefront6targetE0EEEvSG_
	.p2align	8
	.type	_ZN7rocprim17ROCPRIM_400000_NS6detail17trampoline_kernelINS0_14default_configENS1_35radix_sort_onesweep_config_selectorIlNS0_10empty_typeEEEZZNS1_29radix_sort_onesweep_iterationIS3_Lb1EPKlPlPS5_SB_mNS0_19identity_decomposerENS1_16block_id_wrapperIjLb1EEEEE10hipError_tT1_PNSt15iterator_traitsISG_E10value_typeET2_T3_PNSH_ISM_E10value_typeET4_T5_PSR_SS_PNS1_23onesweep_lookback_stateEbbT6_jjT7_P12ihipStream_tbENKUlT_T0_SG_SL_E_clISA_SA_SB_SB_EEDaSZ_S10_SG_SL_EUlSZ_E_NS1_11comp_targetILNS1_3genE3ELNS1_11target_archE908ELNS1_3gpuE7ELNS1_3repE0EEENS1_47radix_sort_onesweep_sort_config_static_selectorELNS0_4arch9wavefront6targetE0EEEvSG_,@function
_ZN7rocprim17ROCPRIM_400000_NS6detail17trampoline_kernelINS0_14default_configENS1_35radix_sort_onesweep_config_selectorIlNS0_10empty_typeEEEZZNS1_29radix_sort_onesweep_iterationIS3_Lb1EPKlPlPS5_SB_mNS0_19identity_decomposerENS1_16block_id_wrapperIjLb1EEEEE10hipError_tT1_PNSt15iterator_traitsISG_E10value_typeET2_T3_PNSH_ISM_E10value_typeET4_T5_PSR_SS_PNS1_23onesweep_lookback_stateEbbT6_jjT7_P12ihipStream_tbENKUlT_T0_SG_SL_E_clISA_SA_SB_SB_EEDaSZ_S10_SG_SL_EUlSZ_E_NS1_11comp_targetILNS1_3genE3ELNS1_11target_archE908ELNS1_3gpuE7ELNS1_3repE0EEENS1_47radix_sort_onesweep_sort_config_static_selectorELNS0_4arch9wavefront6targetE0EEEvSG_: ; @_ZN7rocprim17ROCPRIM_400000_NS6detail17trampoline_kernelINS0_14default_configENS1_35radix_sort_onesweep_config_selectorIlNS0_10empty_typeEEEZZNS1_29radix_sort_onesweep_iterationIS3_Lb1EPKlPlPS5_SB_mNS0_19identity_decomposerENS1_16block_id_wrapperIjLb1EEEEE10hipError_tT1_PNSt15iterator_traitsISG_E10value_typeET2_T3_PNSH_ISM_E10value_typeET4_T5_PSR_SS_PNS1_23onesweep_lookback_stateEbbT6_jjT7_P12ihipStream_tbENKUlT_T0_SG_SL_E_clISA_SA_SB_SB_EEDaSZ_S10_SG_SL_EUlSZ_E_NS1_11comp_targetILNS1_3genE3ELNS1_11target_archE908ELNS1_3gpuE7ELNS1_3repE0EEENS1_47radix_sort_onesweep_sort_config_static_selectorELNS0_4arch9wavefront6targetE0EEEvSG_
; %bb.0:
	.section	.rodata,"a",@progbits
	.p2align	6, 0x0
	.amdhsa_kernel _ZN7rocprim17ROCPRIM_400000_NS6detail17trampoline_kernelINS0_14default_configENS1_35radix_sort_onesweep_config_selectorIlNS0_10empty_typeEEEZZNS1_29radix_sort_onesweep_iterationIS3_Lb1EPKlPlPS5_SB_mNS0_19identity_decomposerENS1_16block_id_wrapperIjLb1EEEEE10hipError_tT1_PNSt15iterator_traitsISG_E10value_typeET2_T3_PNSH_ISM_E10value_typeET4_T5_PSR_SS_PNS1_23onesweep_lookback_stateEbbT6_jjT7_P12ihipStream_tbENKUlT_T0_SG_SL_E_clISA_SA_SB_SB_EEDaSZ_S10_SG_SL_EUlSZ_E_NS1_11comp_targetILNS1_3genE3ELNS1_11target_archE908ELNS1_3gpuE7ELNS1_3repE0EEENS1_47radix_sort_onesweep_sort_config_static_selectorELNS0_4arch9wavefront6targetE0EEEvSG_
		.amdhsa_group_segment_fixed_size 0
		.amdhsa_private_segment_fixed_size 0
		.amdhsa_kernarg_size 88
		.amdhsa_user_sgpr_count 2
		.amdhsa_user_sgpr_dispatch_ptr 0
		.amdhsa_user_sgpr_queue_ptr 0
		.amdhsa_user_sgpr_kernarg_segment_ptr 1
		.amdhsa_user_sgpr_dispatch_id 0
		.amdhsa_user_sgpr_kernarg_preload_length 0
		.amdhsa_user_sgpr_kernarg_preload_offset 0
		.amdhsa_user_sgpr_private_segment_size 0
		.amdhsa_wavefront_size32 1
		.amdhsa_uses_dynamic_stack 0
		.amdhsa_enable_private_segment 0
		.amdhsa_system_sgpr_workgroup_id_x 1
		.amdhsa_system_sgpr_workgroup_id_y 0
		.amdhsa_system_sgpr_workgroup_id_z 0
		.amdhsa_system_sgpr_workgroup_info 0
		.amdhsa_system_vgpr_workitem_id 0
		.amdhsa_next_free_vgpr 1
		.amdhsa_next_free_sgpr 1
		.amdhsa_named_barrier_count 0
		.amdhsa_reserve_vcc 0
		.amdhsa_float_round_mode_32 0
		.amdhsa_float_round_mode_16_64 0
		.amdhsa_float_denorm_mode_32 3
		.amdhsa_float_denorm_mode_16_64 3
		.amdhsa_fp16_overflow 0
		.amdhsa_memory_ordered 1
		.amdhsa_forward_progress 1
		.amdhsa_inst_pref_size 0
		.amdhsa_round_robin_scheduling 0
		.amdhsa_exception_fp_ieee_invalid_op 0
		.amdhsa_exception_fp_denorm_src 0
		.amdhsa_exception_fp_ieee_div_zero 0
		.amdhsa_exception_fp_ieee_overflow 0
		.amdhsa_exception_fp_ieee_underflow 0
		.amdhsa_exception_fp_ieee_inexact 0
		.amdhsa_exception_int_div_zero 0
	.end_amdhsa_kernel
	.section	.text._ZN7rocprim17ROCPRIM_400000_NS6detail17trampoline_kernelINS0_14default_configENS1_35radix_sort_onesweep_config_selectorIlNS0_10empty_typeEEEZZNS1_29radix_sort_onesweep_iterationIS3_Lb1EPKlPlPS5_SB_mNS0_19identity_decomposerENS1_16block_id_wrapperIjLb1EEEEE10hipError_tT1_PNSt15iterator_traitsISG_E10value_typeET2_T3_PNSH_ISM_E10value_typeET4_T5_PSR_SS_PNS1_23onesweep_lookback_stateEbbT6_jjT7_P12ihipStream_tbENKUlT_T0_SG_SL_E_clISA_SA_SB_SB_EEDaSZ_S10_SG_SL_EUlSZ_E_NS1_11comp_targetILNS1_3genE3ELNS1_11target_archE908ELNS1_3gpuE7ELNS1_3repE0EEENS1_47radix_sort_onesweep_sort_config_static_selectorELNS0_4arch9wavefront6targetE0EEEvSG_,"axG",@progbits,_ZN7rocprim17ROCPRIM_400000_NS6detail17trampoline_kernelINS0_14default_configENS1_35radix_sort_onesweep_config_selectorIlNS0_10empty_typeEEEZZNS1_29radix_sort_onesweep_iterationIS3_Lb1EPKlPlPS5_SB_mNS0_19identity_decomposerENS1_16block_id_wrapperIjLb1EEEEE10hipError_tT1_PNSt15iterator_traitsISG_E10value_typeET2_T3_PNSH_ISM_E10value_typeET4_T5_PSR_SS_PNS1_23onesweep_lookback_stateEbbT6_jjT7_P12ihipStream_tbENKUlT_T0_SG_SL_E_clISA_SA_SB_SB_EEDaSZ_S10_SG_SL_EUlSZ_E_NS1_11comp_targetILNS1_3genE3ELNS1_11target_archE908ELNS1_3gpuE7ELNS1_3repE0EEENS1_47radix_sort_onesweep_sort_config_static_selectorELNS0_4arch9wavefront6targetE0EEEvSG_,comdat
.Lfunc_end1110:
	.size	_ZN7rocprim17ROCPRIM_400000_NS6detail17trampoline_kernelINS0_14default_configENS1_35radix_sort_onesweep_config_selectorIlNS0_10empty_typeEEEZZNS1_29radix_sort_onesweep_iterationIS3_Lb1EPKlPlPS5_SB_mNS0_19identity_decomposerENS1_16block_id_wrapperIjLb1EEEEE10hipError_tT1_PNSt15iterator_traitsISG_E10value_typeET2_T3_PNSH_ISM_E10value_typeET4_T5_PSR_SS_PNS1_23onesweep_lookback_stateEbbT6_jjT7_P12ihipStream_tbENKUlT_T0_SG_SL_E_clISA_SA_SB_SB_EEDaSZ_S10_SG_SL_EUlSZ_E_NS1_11comp_targetILNS1_3genE3ELNS1_11target_archE908ELNS1_3gpuE7ELNS1_3repE0EEENS1_47radix_sort_onesweep_sort_config_static_selectorELNS0_4arch9wavefront6targetE0EEEvSG_, .Lfunc_end1110-_ZN7rocprim17ROCPRIM_400000_NS6detail17trampoline_kernelINS0_14default_configENS1_35radix_sort_onesweep_config_selectorIlNS0_10empty_typeEEEZZNS1_29radix_sort_onesweep_iterationIS3_Lb1EPKlPlPS5_SB_mNS0_19identity_decomposerENS1_16block_id_wrapperIjLb1EEEEE10hipError_tT1_PNSt15iterator_traitsISG_E10value_typeET2_T3_PNSH_ISM_E10value_typeET4_T5_PSR_SS_PNS1_23onesweep_lookback_stateEbbT6_jjT7_P12ihipStream_tbENKUlT_T0_SG_SL_E_clISA_SA_SB_SB_EEDaSZ_S10_SG_SL_EUlSZ_E_NS1_11comp_targetILNS1_3genE3ELNS1_11target_archE908ELNS1_3gpuE7ELNS1_3repE0EEENS1_47radix_sort_onesweep_sort_config_static_selectorELNS0_4arch9wavefront6targetE0EEEvSG_
                                        ; -- End function
	.set _ZN7rocprim17ROCPRIM_400000_NS6detail17trampoline_kernelINS0_14default_configENS1_35radix_sort_onesweep_config_selectorIlNS0_10empty_typeEEEZZNS1_29radix_sort_onesweep_iterationIS3_Lb1EPKlPlPS5_SB_mNS0_19identity_decomposerENS1_16block_id_wrapperIjLb1EEEEE10hipError_tT1_PNSt15iterator_traitsISG_E10value_typeET2_T3_PNSH_ISM_E10value_typeET4_T5_PSR_SS_PNS1_23onesweep_lookback_stateEbbT6_jjT7_P12ihipStream_tbENKUlT_T0_SG_SL_E_clISA_SA_SB_SB_EEDaSZ_S10_SG_SL_EUlSZ_E_NS1_11comp_targetILNS1_3genE3ELNS1_11target_archE908ELNS1_3gpuE7ELNS1_3repE0EEENS1_47radix_sort_onesweep_sort_config_static_selectorELNS0_4arch9wavefront6targetE0EEEvSG_.num_vgpr, 0
	.set _ZN7rocprim17ROCPRIM_400000_NS6detail17trampoline_kernelINS0_14default_configENS1_35radix_sort_onesweep_config_selectorIlNS0_10empty_typeEEEZZNS1_29radix_sort_onesweep_iterationIS3_Lb1EPKlPlPS5_SB_mNS0_19identity_decomposerENS1_16block_id_wrapperIjLb1EEEEE10hipError_tT1_PNSt15iterator_traitsISG_E10value_typeET2_T3_PNSH_ISM_E10value_typeET4_T5_PSR_SS_PNS1_23onesweep_lookback_stateEbbT6_jjT7_P12ihipStream_tbENKUlT_T0_SG_SL_E_clISA_SA_SB_SB_EEDaSZ_S10_SG_SL_EUlSZ_E_NS1_11comp_targetILNS1_3genE3ELNS1_11target_archE908ELNS1_3gpuE7ELNS1_3repE0EEENS1_47radix_sort_onesweep_sort_config_static_selectorELNS0_4arch9wavefront6targetE0EEEvSG_.num_agpr, 0
	.set _ZN7rocprim17ROCPRIM_400000_NS6detail17trampoline_kernelINS0_14default_configENS1_35radix_sort_onesweep_config_selectorIlNS0_10empty_typeEEEZZNS1_29radix_sort_onesweep_iterationIS3_Lb1EPKlPlPS5_SB_mNS0_19identity_decomposerENS1_16block_id_wrapperIjLb1EEEEE10hipError_tT1_PNSt15iterator_traitsISG_E10value_typeET2_T3_PNSH_ISM_E10value_typeET4_T5_PSR_SS_PNS1_23onesweep_lookback_stateEbbT6_jjT7_P12ihipStream_tbENKUlT_T0_SG_SL_E_clISA_SA_SB_SB_EEDaSZ_S10_SG_SL_EUlSZ_E_NS1_11comp_targetILNS1_3genE3ELNS1_11target_archE908ELNS1_3gpuE7ELNS1_3repE0EEENS1_47radix_sort_onesweep_sort_config_static_selectorELNS0_4arch9wavefront6targetE0EEEvSG_.numbered_sgpr, 0
	.set _ZN7rocprim17ROCPRIM_400000_NS6detail17trampoline_kernelINS0_14default_configENS1_35radix_sort_onesweep_config_selectorIlNS0_10empty_typeEEEZZNS1_29radix_sort_onesweep_iterationIS3_Lb1EPKlPlPS5_SB_mNS0_19identity_decomposerENS1_16block_id_wrapperIjLb1EEEEE10hipError_tT1_PNSt15iterator_traitsISG_E10value_typeET2_T3_PNSH_ISM_E10value_typeET4_T5_PSR_SS_PNS1_23onesweep_lookback_stateEbbT6_jjT7_P12ihipStream_tbENKUlT_T0_SG_SL_E_clISA_SA_SB_SB_EEDaSZ_S10_SG_SL_EUlSZ_E_NS1_11comp_targetILNS1_3genE3ELNS1_11target_archE908ELNS1_3gpuE7ELNS1_3repE0EEENS1_47radix_sort_onesweep_sort_config_static_selectorELNS0_4arch9wavefront6targetE0EEEvSG_.num_named_barrier, 0
	.set _ZN7rocprim17ROCPRIM_400000_NS6detail17trampoline_kernelINS0_14default_configENS1_35radix_sort_onesweep_config_selectorIlNS0_10empty_typeEEEZZNS1_29radix_sort_onesweep_iterationIS3_Lb1EPKlPlPS5_SB_mNS0_19identity_decomposerENS1_16block_id_wrapperIjLb1EEEEE10hipError_tT1_PNSt15iterator_traitsISG_E10value_typeET2_T3_PNSH_ISM_E10value_typeET4_T5_PSR_SS_PNS1_23onesweep_lookback_stateEbbT6_jjT7_P12ihipStream_tbENKUlT_T0_SG_SL_E_clISA_SA_SB_SB_EEDaSZ_S10_SG_SL_EUlSZ_E_NS1_11comp_targetILNS1_3genE3ELNS1_11target_archE908ELNS1_3gpuE7ELNS1_3repE0EEENS1_47radix_sort_onesweep_sort_config_static_selectorELNS0_4arch9wavefront6targetE0EEEvSG_.private_seg_size, 0
	.set _ZN7rocprim17ROCPRIM_400000_NS6detail17trampoline_kernelINS0_14default_configENS1_35radix_sort_onesweep_config_selectorIlNS0_10empty_typeEEEZZNS1_29radix_sort_onesweep_iterationIS3_Lb1EPKlPlPS5_SB_mNS0_19identity_decomposerENS1_16block_id_wrapperIjLb1EEEEE10hipError_tT1_PNSt15iterator_traitsISG_E10value_typeET2_T3_PNSH_ISM_E10value_typeET4_T5_PSR_SS_PNS1_23onesweep_lookback_stateEbbT6_jjT7_P12ihipStream_tbENKUlT_T0_SG_SL_E_clISA_SA_SB_SB_EEDaSZ_S10_SG_SL_EUlSZ_E_NS1_11comp_targetILNS1_3genE3ELNS1_11target_archE908ELNS1_3gpuE7ELNS1_3repE0EEENS1_47radix_sort_onesweep_sort_config_static_selectorELNS0_4arch9wavefront6targetE0EEEvSG_.uses_vcc, 0
	.set _ZN7rocprim17ROCPRIM_400000_NS6detail17trampoline_kernelINS0_14default_configENS1_35radix_sort_onesweep_config_selectorIlNS0_10empty_typeEEEZZNS1_29radix_sort_onesweep_iterationIS3_Lb1EPKlPlPS5_SB_mNS0_19identity_decomposerENS1_16block_id_wrapperIjLb1EEEEE10hipError_tT1_PNSt15iterator_traitsISG_E10value_typeET2_T3_PNSH_ISM_E10value_typeET4_T5_PSR_SS_PNS1_23onesweep_lookback_stateEbbT6_jjT7_P12ihipStream_tbENKUlT_T0_SG_SL_E_clISA_SA_SB_SB_EEDaSZ_S10_SG_SL_EUlSZ_E_NS1_11comp_targetILNS1_3genE3ELNS1_11target_archE908ELNS1_3gpuE7ELNS1_3repE0EEENS1_47radix_sort_onesweep_sort_config_static_selectorELNS0_4arch9wavefront6targetE0EEEvSG_.uses_flat_scratch, 0
	.set _ZN7rocprim17ROCPRIM_400000_NS6detail17trampoline_kernelINS0_14default_configENS1_35radix_sort_onesweep_config_selectorIlNS0_10empty_typeEEEZZNS1_29radix_sort_onesweep_iterationIS3_Lb1EPKlPlPS5_SB_mNS0_19identity_decomposerENS1_16block_id_wrapperIjLb1EEEEE10hipError_tT1_PNSt15iterator_traitsISG_E10value_typeET2_T3_PNSH_ISM_E10value_typeET4_T5_PSR_SS_PNS1_23onesweep_lookback_stateEbbT6_jjT7_P12ihipStream_tbENKUlT_T0_SG_SL_E_clISA_SA_SB_SB_EEDaSZ_S10_SG_SL_EUlSZ_E_NS1_11comp_targetILNS1_3genE3ELNS1_11target_archE908ELNS1_3gpuE7ELNS1_3repE0EEENS1_47radix_sort_onesweep_sort_config_static_selectorELNS0_4arch9wavefront6targetE0EEEvSG_.has_dyn_sized_stack, 0
	.set _ZN7rocprim17ROCPRIM_400000_NS6detail17trampoline_kernelINS0_14default_configENS1_35radix_sort_onesweep_config_selectorIlNS0_10empty_typeEEEZZNS1_29radix_sort_onesweep_iterationIS3_Lb1EPKlPlPS5_SB_mNS0_19identity_decomposerENS1_16block_id_wrapperIjLb1EEEEE10hipError_tT1_PNSt15iterator_traitsISG_E10value_typeET2_T3_PNSH_ISM_E10value_typeET4_T5_PSR_SS_PNS1_23onesweep_lookback_stateEbbT6_jjT7_P12ihipStream_tbENKUlT_T0_SG_SL_E_clISA_SA_SB_SB_EEDaSZ_S10_SG_SL_EUlSZ_E_NS1_11comp_targetILNS1_3genE3ELNS1_11target_archE908ELNS1_3gpuE7ELNS1_3repE0EEENS1_47radix_sort_onesweep_sort_config_static_selectorELNS0_4arch9wavefront6targetE0EEEvSG_.has_recursion, 0
	.set _ZN7rocprim17ROCPRIM_400000_NS6detail17trampoline_kernelINS0_14default_configENS1_35radix_sort_onesweep_config_selectorIlNS0_10empty_typeEEEZZNS1_29radix_sort_onesweep_iterationIS3_Lb1EPKlPlPS5_SB_mNS0_19identity_decomposerENS1_16block_id_wrapperIjLb1EEEEE10hipError_tT1_PNSt15iterator_traitsISG_E10value_typeET2_T3_PNSH_ISM_E10value_typeET4_T5_PSR_SS_PNS1_23onesweep_lookback_stateEbbT6_jjT7_P12ihipStream_tbENKUlT_T0_SG_SL_E_clISA_SA_SB_SB_EEDaSZ_S10_SG_SL_EUlSZ_E_NS1_11comp_targetILNS1_3genE3ELNS1_11target_archE908ELNS1_3gpuE7ELNS1_3repE0EEENS1_47radix_sort_onesweep_sort_config_static_selectorELNS0_4arch9wavefront6targetE0EEEvSG_.has_indirect_call, 0
	.section	.AMDGPU.csdata,"",@progbits
; Kernel info:
; codeLenInByte = 0
; TotalNumSgprs: 0
; NumVgprs: 0
; ScratchSize: 0
; MemoryBound: 0
; FloatMode: 240
; IeeeMode: 1
; LDSByteSize: 0 bytes/workgroup (compile time only)
; SGPRBlocks: 0
; VGPRBlocks: 0
; NumSGPRsForWavesPerEU: 1
; NumVGPRsForWavesPerEU: 1
; NamedBarCnt: 0
; Occupancy: 16
; WaveLimiterHint : 0
; COMPUTE_PGM_RSRC2:SCRATCH_EN: 0
; COMPUTE_PGM_RSRC2:USER_SGPR: 2
; COMPUTE_PGM_RSRC2:TRAP_HANDLER: 0
; COMPUTE_PGM_RSRC2:TGID_X_EN: 1
; COMPUTE_PGM_RSRC2:TGID_Y_EN: 0
; COMPUTE_PGM_RSRC2:TGID_Z_EN: 0
; COMPUTE_PGM_RSRC2:TIDIG_COMP_CNT: 0
	.section	.text._ZN7rocprim17ROCPRIM_400000_NS6detail17trampoline_kernelINS0_14default_configENS1_35radix_sort_onesweep_config_selectorIlNS0_10empty_typeEEEZZNS1_29radix_sort_onesweep_iterationIS3_Lb1EPKlPlPS5_SB_mNS0_19identity_decomposerENS1_16block_id_wrapperIjLb1EEEEE10hipError_tT1_PNSt15iterator_traitsISG_E10value_typeET2_T3_PNSH_ISM_E10value_typeET4_T5_PSR_SS_PNS1_23onesweep_lookback_stateEbbT6_jjT7_P12ihipStream_tbENKUlT_T0_SG_SL_E_clISA_SA_SB_SB_EEDaSZ_S10_SG_SL_EUlSZ_E_NS1_11comp_targetILNS1_3genE10ELNS1_11target_archE1201ELNS1_3gpuE5ELNS1_3repE0EEENS1_47radix_sort_onesweep_sort_config_static_selectorELNS0_4arch9wavefront6targetE0EEEvSG_,"axG",@progbits,_ZN7rocprim17ROCPRIM_400000_NS6detail17trampoline_kernelINS0_14default_configENS1_35radix_sort_onesweep_config_selectorIlNS0_10empty_typeEEEZZNS1_29radix_sort_onesweep_iterationIS3_Lb1EPKlPlPS5_SB_mNS0_19identity_decomposerENS1_16block_id_wrapperIjLb1EEEEE10hipError_tT1_PNSt15iterator_traitsISG_E10value_typeET2_T3_PNSH_ISM_E10value_typeET4_T5_PSR_SS_PNS1_23onesweep_lookback_stateEbbT6_jjT7_P12ihipStream_tbENKUlT_T0_SG_SL_E_clISA_SA_SB_SB_EEDaSZ_S10_SG_SL_EUlSZ_E_NS1_11comp_targetILNS1_3genE10ELNS1_11target_archE1201ELNS1_3gpuE5ELNS1_3repE0EEENS1_47radix_sort_onesweep_sort_config_static_selectorELNS0_4arch9wavefront6targetE0EEEvSG_,comdat
	.protected	_ZN7rocprim17ROCPRIM_400000_NS6detail17trampoline_kernelINS0_14default_configENS1_35radix_sort_onesweep_config_selectorIlNS0_10empty_typeEEEZZNS1_29radix_sort_onesweep_iterationIS3_Lb1EPKlPlPS5_SB_mNS0_19identity_decomposerENS1_16block_id_wrapperIjLb1EEEEE10hipError_tT1_PNSt15iterator_traitsISG_E10value_typeET2_T3_PNSH_ISM_E10value_typeET4_T5_PSR_SS_PNS1_23onesweep_lookback_stateEbbT6_jjT7_P12ihipStream_tbENKUlT_T0_SG_SL_E_clISA_SA_SB_SB_EEDaSZ_S10_SG_SL_EUlSZ_E_NS1_11comp_targetILNS1_3genE10ELNS1_11target_archE1201ELNS1_3gpuE5ELNS1_3repE0EEENS1_47radix_sort_onesweep_sort_config_static_selectorELNS0_4arch9wavefront6targetE0EEEvSG_ ; -- Begin function _ZN7rocprim17ROCPRIM_400000_NS6detail17trampoline_kernelINS0_14default_configENS1_35radix_sort_onesweep_config_selectorIlNS0_10empty_typeEEEZZNS1_29radix_sort_onesweep_iterationIS3_Lb1EPKlPlPS5_SB_mNS0_19identity_decomposerENS1_16block_id_wrapperIjLb1EEEEE10hipError_tT1_PNSt15iterator_traitsISG_E10value_typeET2_T3_PNSH_ISM_E10value_typeET4_T5_PSR_SS_PNS1_23onesweep_lookback_stateEbbT6_jjT7_P12ihipStream_tbENKUlT_T0_SG_SL_E_clISA_SA_SB_SB_EEDaSZ_S10_SG_SL_EUlSZ_E_NS1_11comp_targetILNS1_3genE10ELNS1_11target_archE1201ELNS1_3gpuE5ELNS1_3repE0EEENS1_47radix_sort_onesweep_sort_config_static_selectorELNS0_4arch9wavefront6targetE0EEEvSG_
	.globl	_ZN7rocprim17ROCPRIM_400000_NS6detail17trampoline_kernelINS0_14default_configENS1_35radix_sort_onesweep_config_selectorIlNS0_10empty_typeEEEZZNS1_29radix_sort_onesweep_iterationIS3_Lb1EPKlPlPS5_SB_mNS0_19identity_decomposerENS1_16block_id_wrapperIjLb1EEEEE10hipError_tT1_PNSt15iterator_traitsISG_E10value_typeET2_T3_PNSH_ISM_E10value_typeET4_T5_PSR_SS_PNS1_23onesweep_lookback_stateEbbT6_jjT7_P12ihipStream_tbENKUlT_T0_SG_SL_E_clISA_SA_SB_SB_EEDaSZ_S10_SG_SL_EUlSZ_E_NS1_11comp_targetILNS1_3genE10ELNS1_11target_archE1201ELNS1_3gpuE5ELNS1_3repE0EEENS1_47radix_sort_onesweep_sort_config_static_selectorELNS0_4arch9wavefront6targetE0EEEvSG_
	.p2align	8
	.type	_ZN7rocprim17ROCPRIM_400000_NS6detail17trampoline_kernelINS0_14default_configENS1_35radix_sort_onesweep_config_selectorIlNS0_10empty_typeEEEZZNS1_29radix_sort_onesweep_iterationIS3_Lb1EPKlPlPS5_SB_mNS0_19identity_decomposerENS1_16block_id_wrapperIjLb1EEEEE10hipError_tT1_PNSt15iterator_traitsISG_E10value_typeET2_T3_PNSH_ISM_E10value_typeET4_T5_PSR_SS_PNS1_23onesweep_lookback_stateEbbT6_jjT7_P12ihipStream_tbENKUlT_T0_SG_SL_E_clISA_SA_SB_SB_EEDaSZ_S10_SG_SL_EUlSZ_E_NS1_11comp_targetILNS1_3genE10ELNS1_11target_archE1201ELNS1_3gpuE5ELNS1_3repE0EEENS1_47radix_sort_onesweep_sort_config_static_selectorELNS0_4arch9wavefront6targetE0EEEvSG_,@function
_ZN7rocprim17ROCPRIM_400000_NS6detail17trampoline_kernelINS0_14default_configENS1_35radix_sort_onesweep_config_selectorIlNS0_10empty_typeEEEZZNS1_29radix_sort_onesweep_iterationIS3_Lb1EPKlPlPS5_SB_mNS0_19identity_decomposerENS1_16block_id_wrapperIjLb1EEEEE10hipError_tT1_PNSt15iterator_traitsISG_E10value_typeET2_T3_PNSH_ISM_E10value_typeET4_T5_PSR_SS_PNS1_23onesweep_lookback_stateEbbT6_jjT7_P12ihipStream_tbENKUlT_T0_SG_SL_E_clISA_SA_SB_SB_EEDaSZ_S10_SG_SL_EUlSZ_E_NS1_11comp_targetILNS1_3genE10ELNS1_11target_archE1201ELNS1_3gpuE5ELNS1_3repE0EEENS1_47radix_sort_onesweep_sort_config_static_selectorELNS0_4arch9wavefront6targetE0EEEvSG_: ; @_ZN7rocprim17ROCPRIM_400000_NS6detail17trampoline_kernelINS0_14default_configENS1_35radix_sort_onesweep_config_selectorIlNS0_10empty_typeEEEZZNS1_29radix_sort_onesweep_iterationIS3_Lb1EPKlPlPS5_SB_mNS0_19identity_decomposerENS1_16block_id_wrapperIjLb1EEEEE10hipError_tT1_PNSt15iterator_traitsISG_E10value_typeET2_T3_PNSH_ISM_E10value_typeET4_T5_PSR_SS_PNS1_23onesweep_lookback_stateEbbT6_jjT7_P12ihipStream_tbENKUlT_T0_SG_SL_E_clISA_SA_SB_SB_EEDaSZ_S10_SG_SL_EUlSZ_E_NS1_11comp_targetILNS1_3genE10ELNS1_11target_archE1201ELNS1_3gpuE5ELNS1_3repE0EEENS1_47radix_sort_onesweep_sort_config_static_selectorELNS0_4arch9wavefront6targetE0EEEvSG_
; %bb.0:
	.section	.rodata,"a",@progbits
	.p2align	6, 0x0
	.amdhsa_kernel _ZN7rocprim17ROCPRIM_400000_NS6detail17trampoline_kernelINS0_14default_configENS1_35radix_sort_onesweep_config_selectorIlNS0_10empty_typeEEEZZNS1_29radix_sort_onesweep_iterationIS3_Lb1EPKlPlPS5_SB_mNS0_19identity_decomposerENS1_16block_id_wrapperIjLb1EEEEE10hipError_tT1_PNSt15iterator_traitsISG_E10value_typeET2_T3_PNSH_ISM_E10value_typeET4_T5_PSR_SS_PNS1_23onesweep_lookback_stateEbbT6_jjT7_P12ihipStream_tbENKUlT_T0_SG_SL_E_clISA_SA_SB_SB_EEDaSZ_S10_SG_SL_EUlSZ_E_NS1_11comp_targetILNS1_3genE10ELNS1_11target_archE1201ELNS1_3gpuE5ELNS1_3repE0EEENS1_47radix_sort_onesweep_sort_config_static_selectorELNS0_4arch9wavefront6targetE0EEEvSG_
		.amdhsa_group_segment_fixed_size 0
		.amdhsa_private_segment_fixed_size 0
		.amdhsa_kernarg_size 88
		.amdhsa_user_sgpr_count 2
		.amdhsa_user_sgpr_dispatch_ptr 0
		.amdhsa_user_sgpr_queue_ptr 0
		.amdhsa_user_sgpr_kernarg_segment_ptr 1
		.amdhsa_user_sgpr_dispatch_id 0
		.amdhsa_user_sgpr_kernarg_preload_length 0
		.amdhsa_user_sgpr_kernarg_preload_offset 0
		.amdhsa_user_sgpr_private_segment_size 0
		.amdhsa_wavefront_size32 1
		.amdhsa_uses_dynamic_stack 0
		.amdhsa_enable_private_segment 0
		.amdhsa_system_sgpr_workgroup_id_x 1
		.amdhsa_system_sgpr_workgroup_id_y 0
		.amdhsa_system_sgpr_workgroup_id_z 0
		.amdhsa_system_sgpr_workgroup_info 0
		.amdhsa_system_vgpr_workitem_id 0
		.amdhsa_next_free_vgpr 1
		.amdhsa_next_free_sgpr 1
		.amdhsa_named_barrier_count 0
		.amdhsa_reserve_vcc 0
		.amdhsa_float_round_mode_32 0
		.amdhsa_float_round_mode_16_64 0
		.amdhsa_float_denorm_mode_32 3
		.amdhsa_float_denorm_mode_16_64 3
		.amdhsa_fp16_overflow 0
		.amdhsa_memory_ordered 1
		.amdhsa_forward_progress 1
		.amdhsa_inst_pref_size 0
		.amdhsa_round_robin_scheduling 0
		.amdhsa_exception_fp_ieee_invalid_op 0
		.amdhsa_exception_fp_denorm_src 0
		.amdhsa_exception_fp_ieee_div_zero 0
		.amdhsa_exception_fp_ieee_overflow 0
		.amdhsa_exception_fp_ieee_underflow 0
		.amdhsa_exception_fp_ieee_inexact 0
		.amdhsa_exception_int_div_zero 0
	.end_amdhsa_kernel
	.section	.text._ZN7rocprim17ROCPRIM_400000_NS6detail17trampoline_kernelINS0_14default_configENS1_35radix_sort_onesweep_config_selectorIlNS0_10empty_typeEEEZZNS1_29radix_sort_onesweep_iterationIS3_Lb1EPKlPlPS5_SB_mNS0_19identity_decomposerENS1_16block_id_wrapperIjLb1EEEEE10hipError_tT1_PNSt15iterator_traitsISG_E10value_typeET2_T3_PNSH_ISM_E10value_typeET4_T5_PSR_SS_PNS1_23onesweep_lookback_stateEbbT6_jjT7_P12ihipStream_tbENKUlT_T0_SG_SL_E_clISA_SA_SB_SB_EEDaSZ_S10_SG_SL_EUlSZ_E_NS1_11comp_targetILNS1_3genE10ELNS1_11target_archE1201ELNS1_3gpuE5ELNS1_3repE0EEENS1_47radix_sort_onesweep_sort_config_static_selectorELNS0_4arch9wavefront6targetE0EEEvSG_,"axG",@progbits,_ZN7rocprim17ROCPRIM_400000_NS6detail17trampoline_kernelINS0_14default_configENS1_35radix_sort_onesweep_config_selectorIlNS0_10empty_typeEEEZZNS1_29radix_sort_onesweep_iterationIS3_Lb1EPKlPlPS5_SB_mNS0_19identity_decomposerENS1_16block_id_wrapperIjLb1EEEEE10hipError_tT1_PNSt15iterator_traitsISG_E10value_typeET2_T3_PNSH_ISM_E10value_typeET4_T5_PSR_SS_PNS1_23onesweep_lookback_stateEbbT6_jjT7_P12ihipStream_tbENKUlT_T0_SG_SL_E_clISA_SA_SB_SB_EEDaSZ_S10_SG_SL_EUlSZ_E_NS1_11comp_targetILNS1_3genE10ELNS1_11target_archE1201ELNS1_3gpuE5ELNS1_3repE0EEENS1_47radix_sort_onesweep_sort_config_static_selectorELNS0_4arch9wavefront6targetE0EEEvSG_,comdat
.Lfunc_end1111:
	.size	_ZN7rocprim17ROCPRIM_400000_NS6detail17trampoline_kernelINS0_14default_configENS1_35radix_sort_onesweep_config_selectorIlNS0_10empty_typeEEEZZNS1_29radix_sort_onesweep_iterationIS3_Lb1EPKlPlPS5_SB_mNS0_19identity_decomposerENS1_16block_id_wrapperIjLb1EEEEE10hipError_tT1_PNSt15iterator_traitsISG_E10value_typeET2_T3_PNSH_ISM_E10value_typeET4_T5_PSR_SS_PNS1_23onesweep_lookback_stateEbbT6_jjT7_P12ihipStream_tbENKUlT_T0_SG_SL_E_clISA_SA_SB_SB_EEDaSZ_S10_SG_SL_EUlSZ_E_NS1_11comp_targetILNS1_3genE10ELNS1_11target_archE1201ELNS1_3gpuE5ELNS1_3repE0EEENS1_47radix_sort_onesweep_sort_config_static_selectorELNS0_4arch9wavefront6targetE0EEEvSG_, .Lfunc_end1111-_ZN7rocprim17ROCPRIM_400000_NS6detail17trampoline_kernelINS0_14default_configENS1_35radix_sort_onesweep_config_selectorIlNS0_10empty_typeEEEZZNS1_29radix_sort_onesweep_iterationIS3_Lb1EPKlPlPS5_SB_mNS0_19identity_decomposerENS1_16block_id_wrapperIjLb1EEEEE10hipError_tT1_PNSt15iterator_traitsISG_E10value_typeET2_T3_PNSH_ISM_E10value_typeET4_T5_PSR_SS_PNS1_23onesweep_lookback_stateEbbT6_jjT7_P12ihipStream_tbENKUlT_T0_SG_SL_E_clISA_SA_SB_SB_EEDaSZ_S10_SG_SL_EUlSZ_E_NS1_11comp_targetILNS1_3genE10ELNS1_11target_archE1201ELNS1_3gpuE5ELNS1_3repE0EEENS1_47radix_sort_onesweep_sort_config_static_selectorELNS0_4arch9wavefront6targetE0EEEvSG_
                                        ; -- End function
	.set _ZN7rocprim17ROCPRIM_400000_NS6detail17trampoline_kernelINS0_14default_configENS1_35radix_sort_onesweep_config_selectorIlNS0_10empty_typeEEEZZNS1_29radix_sort_onesweep_iterationIS3_Lb1EPKlPlPS5_SB_mNS0_19identity_decomposerENS1_16block_id_wrapperIjLb1EEEEE10hipError_tT1_PNSt15iterator_traitsISG_E10value_typeET2_T3_PNSH_ISM_E10value_typeET4_T5_PSR_SS_PNS1_23onesweep_lookback_stateEbbT6_jjT7_P12ihipStream_tbENKUlT_T0_SG_SL_E_clISA_SA_SB_SB_EEDaSZ_S10_SG_SL_EUlSZ_E_NS1_11comp_targetILNS1_3genE10ELNS1_11target_archE1201ELNS1_3gpuE5ELNS1_3repE0EEENS1_47radix_sort_onesweep_sort_config_static_selectorELNS0_4arch9wavefront6targetE0EEEvSG_.num_vgpr, 0
	.set _ZN7rocprim17ROCPRIM_400000_NS6detail17trampoline_kernelINS0_14default_configENS1_35radix_sort_onesweep_config_selectorIlNS0_10empty_typeEEEZZNS1_29radix_sort_onesweep_iterationIS3_Lb1EPKlPlPS5_SB_mNS0_19identity_decomposerENS1_16block_id_wrapperIjLb1EEEEE10hipError_tT1_PNSt15iterator_traitsISG_E10value_typeET2_T3_PNSH_ISM_E10value_typeET4_T5_PSR_SS_PNS1_23onesweep_lookback_stateEbbT6_jjT7_P12ihipStream_tbENKUlT_T0_SG_SL_E_clISA_SA_SB_SB_EEDaSZ_S10_SG_SL_EUlSZ_E_NS1_11comp_targetILNS1_3genE10ELNS1_11target_archE1201ELNS1_3gpuE5ELNS1_3repE0EEENS1_47radix_sort_onesweep_sort_config_static_selectorELNS0_4arch9wavefront6targetE0EEEvSG_.num_agpr, 0
	.set _ZN7rocprim17ROCPRIM_400000_NS6detail17trampoline_kernelINS0_14default_configENS1_35radix_sort_onesweep_config_selectorIlNS0_10empty_typeEEEZZNS1_29radix_sort_onesweep_iterationIS3_Lb1EPKlPlPS5_SB_mNS0_19identity_decomposerENS1_16block_id_wrapperIjLb1EEEEE10hipError_tT1_PNSt15iterator_traitsISG_E10value_typeET2_T3_PNSH_ISM_E10value_typeET4_T5_PSR_SS_PNS1_23onesweep_lookback_stateEbbT6_jjT7_P12ihipStream_tbENKUlT_T0_SG_SL_E_clISA_SA_SB_SB_EEDaSZ_S10_SG_SL_EUlSZ_E_NS1_11comp_targetILNS1_3genE10ELNS1_11target_archE1201ELNS1_3gpuE5ELNS1_3repE0EEENS1_47radix_sort_onesweep_sort_config_static_selectorELNS0_4arch9wavefront6targetE0EEEvSG_.numbered_sgpr, 0
	.set _ZN7rocprim17ROCPRIM_400000_NS6detail17trampoline_kernelINS0_14default_configENS1_35radix_sort_onesweep_config_selectorIlNS0_10empty_typeEEEZZNS1_29radix_sort_onesweep_iterationIS3_Lb1EPKlPlPS5_SB_mNS0_19identity_decomposerENS1_16block_id_wrapperIjLb1EEEEE10hipError_tT1_PNSt15iterator_traitsISG_E10value_typeET2_T3_PNSH_ISM_E10value_typeET4_T5_PSR_SS_PNS1_23onesweep_lookback_stateEbbT6_jjT7_P12ihipStream_tbENKUlT_T0_SG_SL_E_clISA_SA_SB_SB_EEDaSZ_S10_SG_SL_EUlSZ_E_NS1_11comp_targetILNS1_3genE10ELNS1_11target_archE1201ELNS1_3gpuE5ELNS1_3repE0EEENS1_47radix_sort_onesweep_sort_config_static_selectorELNS0_4arch9wavefront6targetE0EEEvSG_.num_named_barrier, 0
	.set _ZN7rocprim17ROCPRIM_400000_NS6detail17trampoline_kernelINS0_14default_configENS1_35radix_sort_onesweep_config_selectorIlNS0_10empty_typeEEEZZNS1_29radix_sort_onesweep_iterationIS3_Lb1EPKlPlPS5_SB_mNS0_19identity_decomposerENS1_16block_id_wrapperIjLb1EEEEE10hipError_tT1_PNSt15iterator_traitsISG_E10value_typeET2_T3_PNSH_ISM_E10value_typeET4_T5_PSR_SS_PNS1_23onesweep_lookback_stateEbbT6_jjT7_P12ihipStream_tbENKUlT_T0_SG_SL_E_clISA_SA_SB_SB_EEDaSZ_S10_SG_SL_EUlSZ_E_NS1_11comp_targetILNS1_3genE10ELNS1_11target_archE1201ELNS1_3gpuE5ELNS1_3repE0EEENS1_47radix_sort_onesweep_sort_config_static_selectorELNS0_4arch9wavefront6targetE0EEEvSG_.private_seg_size, 0
	.set _ZN7rocprim17ROCPRIM_400000_NS6detail17trampoline_kernelINS0_14default_configENS1_35radix_sort_onesweep_config_selectorIlNS0_10empty_typeEEEZZNS1_29radix_sort_onesweep_iterationIS3_Lb1EPKlPlPS5_SB_mNS0_19identity_decomposerENS1_16block_id_wrapperIjLb1EEEEE10hipError_tT1_PNSt15iterator_traitsISG_E10value_typeET2_T3_PNSH_ISM_E10value_typeET4_T5_PSR_SS_PNS1_23onesweep_lookback_stateEbbT6_jjT7_P12ihipStream_tbENKUlT_T0_SG_SL_E_clISA_SA_SB_SB_EEDaSZ_S10_SG_SL_EUlSZ_E_NS1_11comp_targetILNS1_3genE10ELNS1_11target_archE1201ELNS1_3gpuE5ELNS1_3repE0EEENS1_47radix_sort_onesweep_sort_config_static_selectorELNS0_4arch9wavefront6targetE0EEEvSG_.uses_vcc, 0
	.set _ZN7rocprim17ROCPRIM_400000_NS6detail17trampoline_kernelINS0_14default_configENS1_35radix_sort_onesweep_config_selectorIlNS0_10empty_typeEEEZZNS1_29radix_sort_onesweep_iterationIS3_Lb1EPKlPlPS5_SB_mNS0_19identity_decomposerENS1_16block_id_wrapperIjLb1EEEEE10hipError_tT1_PNSt15iterator_traitsISG_E10value_typeET2_T3_PNSH_ISM_E10value_typeET4_T5_PSR_SS_PNS1_23onesweep_lookback_stateEbbT6_jjT7_P12ihipStream_tbENKUlT_T0_SG_SL_E_clISA_SA_SB_SB_EEDaSZ_S10_SG_SL_EUlSZ_E_NS1_11comp_targetILNS1_3genE10ELNS1_11target_archE1201ELNS1_3gpuE5ELNS1_3repE0EEENS1_47radix_sort_onesweep_sort_config_static_selectorELNS0_4arch9wavefront6targetE0EEEvSG_.uses_flat_scratch, 0
	.set _ZN7rocprim17ROCPRIM_400000_NS6detail17trampoline_kernelINS0_14default_configENS1_35radix_sort_onesweep_config_selectorIlNS0_10empty_typeEEEZZNS1_29radix_sort_onesweep_iterationIS3_Lb1EPKlPlPS5_SB_mNS0_19identity_decomposerENS1_16block_id_wrapperIjLb1EEEEE10hipError_tT1_PNSt15iterator_traitsISG_E10value_typeET2_T3_PNSH_ISM_E10value_typeET4_T5_PSR_SS_PNS1_23onesweep_lookback_stateEbbT6_jjT7_P12ihipStream_tbENKUlT_T0_SG_SL_E_clISA_SA_SB_SB_EEDaSZ_S10_SG_SL_EUlSZ_E_NS1_11comp_targetILNS1_3genE10ELNS1_11target_archE1201ELNS1_3gpuE5ELNS1_3repE0EEENS1_47radix_sort_onesweep_sort_config_static_selectorELNS0_4arch9wavefront6targetE0EEEvSG_.has_dyn_sized_stack, 0
	.set _ZN7rocprim17ROCPRIM_400000_NS6detail17trampoline_kernelINS0_14default_configENS1_35radix_sort_onesweep_config_selectorIlNS0_10empty_typeEEEZZNS1_29radix_sort_onesweep_iterationIS3_Lb1EPKlPlPS5_SB_mNS0_19identity_decomposerENS1_16block_id_wrapperIjLb1EEEEE10hipError_tT1_PNSt15iterator_traitsISG_E10value_typeET2_T3_PNSH_ISM_E10value_typeET4_T5_PSR_SS_PNS1_23onesweep_lookback_stateEbbT6_jjT7_P12ihipStream_tbENKUlT_T0_SG_SL_E_clISA_SA_SB_SB_EEDaSZ_S10_SG_SL_EUlSZ_E_NS1_11comp_targetILNS1_3genE10ELNS1_11target_archE1201ELNS1_3gpuE5ELNS1_3repE0EEENS1_47radix_sort_onesweep_sort_config_static_selectorELNS0_4arch9wavefront6targetE0EEEvSG_.has_recursion, 0
	.set _ZN7rocprim17ROCPRIM_400000_NS6detail17trampoline_kernelINS0_14default_configENS1_35radix_sort_onesweep_config_selectorIlNS0_10empty_typeEEEZZNS1_29radix_sort_onesweep_iterationIS3_Lb1EPKlPlPS5_SB_mNS0_19identity_decomposerENS1_16block_id_wrapperIjLb1EEEEE10hipError_tT1_PNSt15iterator_traitsISG_E10value_typeET2_T3_PNSH_ISM_E10value_typeET4_T5_PSR_SS_PNS1_23onesweep_lookback_stateEbbT6_jjT7_P12ihipStream_tbENKUlT_T0_SG_SL_E_clISA_SA_SB_SB_EEDaSZ_S10_SG_SL_EUlSZ_E_NS1_11comp_targetILNS1_3genE10ELNS1_11target_archE1201ELNS1_3gpuE5ELNS1_3repE0EEENS1_47radix_sort_onesweep_sort_config_static_selectorELNS0_4arch9wavefront6targetE0EEEvSG_.has_indirect_call, 0
	.section	.AMDGPU.csdata,"",@progbits
; Kernel info:
; codeLenInByte = 0
; TotalNumSgprs: 0
; NumVgprs: 0
; ScratchSize: 0
; MemoryBound: 0
; FloatMode: 240
; IeeeMode: 1
; LDSByteSize: 0 bytes/workgroup (compile time only)
; SGPRBlocks: 0
; VGPRBlocks: 0
; NumSGPRsForWavesPerEU: 1
; NumVGPRsForWavesPerEU: 1
; NamedBarCnt: 0
; Occupancy: 16
; WaveLimiterHint : 0
; COMPUTE_PGM_RSRC2:SCRATCH_EN: 0
; COMPUTE_PGM_RSRC2:USER_SGPR: 2
; COMPUTE_PGM_RSRC2:TRAP_HANDLER: 0
; COMPUTE_PGM_RSRC2:TGID_X_EN: 1
; COMPUTE_PGM_RSRC2:TGID_Y_EN: 0
; COMPUTE_PGM_RSRC2:TGID_Z_EN: 0
; COMPUTE_PGM_RSRC2:TIDIG_COMP_CNT: 0
	.section	.text._ZN7rocprim17ROCPRIM_400000_NS6detail17trampoline_kernelINS0_14default_configENS1_35radix_sort_onesweep_config_selectorIlNS0_10empty_typeEEEZZNS1_29radix_sort_onesweep_iterationIS3_Lb1EPKlPlPS5_SB_mNS0_19identity_decomposerENS1_16block_id_wrapperIjLb1EEEEE10hipError_tT1_PNSt15iterator_traitsISG_E10value_typeET2_T3_PNSH_ISM_E10value_typeET4_T5_PSR_SS_PNS1_23onesweep_lookback_stateEbbT6_jjT7_P12ihipStream_tbENKUlT_T0_SG_SL_E_clISA_SA_SB_SB_EEDaSZ_S10_SG_SL_EUlSZ_E_NS1_11comp_targetILNS1_3genE9ELNS1_11target_archE1100ELNS1_3gpuE3ELNS1_3repE0EEENS1_47radix_sort_onesweep_sort_config_static_selectorELNS0_4arch9wavefront6targetE0EEEvSG_,"axG",@progbits,_ZN7rocprim17ROCPRIM_400000_NS6detail17trampoline_kernelINS0_14default_configENS1_35radix_sort_onesweep_config_selectorIlNS0_10empty_typeEEEZZNS1_29radix_sort_onesweep_iterationIS3_Lb1EPKlPlPS5_SB_mNS0_19identity_decomposerENS1_16block_id_wrapperIjLb1EEEEE10hipError_tT1_PNSt15iterator_traitsISG_E10value_typeET2_T3_PNSH_ISM_E10value_typeET4_T5_PSR_SS_PNS1_23onesweep_lookback_stateEbbT6_jjT7_P12ihipStream_tbENKUlT_T0_SG_SL_E_clISA_SA_SB_SB_EEDaSZ_S10_SG_SL_EUlSZ_E_NS1_11comp_targetILNS1_3genE9ELNS1_11target_archE1100ELNS1_3gpuE3ELNS1_3repE0EEENS1_47radix_sort_onesweep_sort_config_static_selectorELNS0_4arch9wavefront6targetE0EEEvSG_,comdat
	.protected	_ZN7rocprim17ROCPRIM_400000_NS6detail17trampoline_kernelINS0_14default_configENS1_35radix_sort_onesweep_config_selectorIlNS0_10empty_typeEEEZZNS1_29radix_sort_onesweep_iterationIS3_Lb1EPKlPlPS5_SB_mNS0_19identity_decomposerENS1_16block_id_wrapperIjLb1EEEEE10hipError_tT1_PNSt15iterator_traitsISG_E10value_typeET2_T3_PNSH_ISM_E10value_typeET4_T5_PSR_SS_PNS1_23onesweep_lookback_stateEbbT6_jjT7_P12ihipStream_tbENKUlT_T0_SG_SL_E_clISA_SA_SB_SB_EEDaSZ_S10_SG_SL_EUlSZ_E_NS1_11comp_targetILNS1_3genE9ELNS1_11target_archE1100ELNS1_3gpuE3ELNS1_3repE0EEENS1_47radix_sort_onesweep_sort_config_static_selectorELNS0_4arch9wavefront6targetE0EEEvSG_ ; -- Begin function _ZN7rocprim17ROCPRIM_400000_NS6detail17trampoline_kernelINS0_14default_configENS1_35radix_sort_onesweep_config_selectorIlNS0_10empty_typeEEEZZNS1_29radix_sort_onesweep_iterationIS3_Lb1EPKlPlPS5_SB_mNS0_19identity_decomposerENS1_16block_id_wrapperIjLb1EEEEE10hipError_tT1_PNSt15iterator_traitsISG_E10value_typeET2_T3_PNSH_ISM_E10value_typeET4_T5_PSR_SS_PNS1_23onesweep_lookback_stateEbbT6_jjT7_P12ihipStream_tbENKUlT_T0_SG_SL_E_clISA_SA_SB_SB_EEDaSZ_S10_SG_SL_EUlSZ_E_NS1_11comp_targetILNS1_3genE9ELNS1_11target_archE1100ELNS1_3gpuE3ELNS1_3repE0EEENS1_47radix_sort_onesweep_sort_config_static_selectorELNS0_4arch9wavefront6targetE0EEEvSG_
	.globl	_ZN7rocprim17ROCPRIM_400000_NS6detail17trampoline_kernelINS0_14default_configENS1_35radix_sort_onesweep_config_selectorIlNS0_10empty_typeEEEZZNS1_29radix_sort_onesweep_iterationIS3_Lb1EPKlPlPS5_SB_mNS0_19identity_decomposerENS1_16block_id_wrapperIjLb1EEEEE10hipError_tT1_PNSt15iterator_traitsISG_E10value_typeET2_T3_PNSH_ISM_E10value_typeET4_T5_PSR_SS_PNS1_23onesweep_lookback_stateEbbT6_jjT7_P12ihipStream_tbENKUlT_T0_SG_SL_E_clISA_SA_SB_SB_EEDaSZ_S10_SG_SL_EUlSZ_E_NS1_11comp_targetILNS1_3genE9ELNS1_11target_archE1100ELNS1_3gpuE3ELNS1_3repE0EEENS1_47radix_sort_onesweep_sort_config_static_selectorELNS0_4arch9wavefront6targetE0EEEvSG_
	.p2align	8
	.type	_ZN7rocprim17ROCPRIM_400000_NS6detail17trampoline_kernelINS0_14default_configENS1_35radix_sort_onesweep_config_selectorIlNS0_10empty_typeEEEZZNS1_29radix_sort_onesweep_iterationIS3_Lb1EPKlPlPS5_SB_mNS0_19identity_decomposerENS1_16block_id_wrapperIjLb1EEEEE10hipError_tT1_PNSt15iterator_traitsISG_E10value_typeET2_T3_PNSH_ISM_E10value_typeET4_T5_PSR_SS_PNS1_23onesweep_lookback_stateEbbT6_jjT7_P12ihipStream_tbENKUlT_T0_SG_SL_E_clISA_SA_SB_SB_EEDaSZ_S10_SG_SL_EUlSZ_E_NS1_11comp_targetILNS1_3genE9ELNS1_11target_archE1100ELNS1_3gpuE3ELNS1_3repE0EEENS1_47radix_sort_onesweep_sort_config_static_selectorELNS0_4arch9wavefront6targetE0EEEvSG_,@function
_ZN7rocprim17ROCPRIM_400000_NS6detail17trampoline_kernelINS0_14default_configENS1_35radix_sort_onesweep_config_selectorIlNS0_10empty_typeEEEZZNS1_29radix_sort_onesweep_iterationIS3_Lb1EPKlPlPS5_SB_mNS0_19identity_decomposerENS1_16block_id_wrapperIjLb1EEEEE10hipError_tT1_PNSt15iterator_traitsISG_E10value_typeET2_T3_PNSH_ISM_E10value_typeET4_T5_PSR_SS_PNS1_23onesweep_lookback_stateEbbT6_jjT7_P12ihipStream_tbENKUlT_T0_SG_SL_E_clISA_SA_SB_SB_EEDaSZ_S10_SG_SL_EUlSZ_E_NS1_11comp_targetILNS1_3genE9ELNS1_11target_archE1100ELNS1_3gpuE3ELNS1_3repE0EEENS1_47radix_sort_onesweep_sort_config_static_selectorELNS0_4arch9wavefront6targetE0EEEvSG_: ; @_ZN7rocprim17ROCPRIM_400000_NS6detail17trampoline_kernelINS0_14default_configENS1_35radix_sort_onesweep_config_selectorIlNS0_10empty_typeEEEZZNS1_29radix_sort_onesweep_iterationIS3_Lb1EPKlPlPS5_SB_mNS0_19identity_decomposerENS1_16block_id_wrapperIjLb1EEEEE10hipError_tT1_PNSt15iterator_traitsISG_E10value_typeET2_T3_PNSH_ISM_E10value_typeET4_T5_PSR_SS_PNS1_23onesweep_lookback_stateEbbT6_jjT7_P12ihipStream_tbENKUlT_T0_SG_SL_E_clISA_SA_SB_SB_EEDaSZ_S10_SG_SL_EUlSZ_E_NS1_11comp_targetILNS1_3genE9ELNS1_11target_archE1100ELNS1_3gpuE3ELNS1_3repE0EEENS1_47radix_sort_onesweep_sort_config_static_selectorELNS0_4arch9wavefront6targetE0EEEvSG_
; %bb.0:
	.section	.rodata,"a",@progbits
	.p2align	6, 0x0
	.amdhsa_kernel _ZN7rocprim17ROCPRIM_400000_NS6detail17trampoline_kernelINS0_14default_configENS1_35radix_sort_onesweep_config_selectorIlNS0_10empty_typeEEEZZNS1_29radix_sort_onesweep_iterationIS3_Lb1EPKlPlPS5_SB_mNS0_19identity_decomposerENS1_16block_id_wrapperIjLb1EEEEE10hipError_tT1_PNSt15iterator_traitsISG_E10value_typeET2_T3_PNSH_ISM_E10value_typeET4_T5_PSR_SS_PNS1_23onesweep_lookback_stateEbbT6_jjT7_P12ihipStream_tbENKUlT_T0_SG_SL_E_clISA_SA_SB_SB_EEDaSZ_S10_SG_SL_EUlSZ_E_NS1_11comp_targetILNS1_3genE9ELNS1_11target_archE1100ELNS1_3gpuE3ELNS1_3repE0EEENS1_47radix_sort_onesweep_sort_config_static_selectorELNS0_4arch9wavefront6targetE0EEEvSG_
		.amdhsa_group_segment_fixed_size 0
		.amdhsa_private_segment_fixed_size 0
		.amdhsa_kernarg_size 88
		.amdhsa_user_sgpr_count 2
		.amdhsa_user_sgpr_dispatch_ptr 0
		.amdhsa_user_sgpr_queue_ptr 0
		.amdhsa_user_sgpr_kernarg_segment_ptr 1
		.amdhsa_user_sgpr_dispatch_id 0
		.amdhsa_user_sgpr_kernarg_preload_length 0
		.amdhsa_user_sgpr_kernarg_preload_offset 0
		.amdhsa_user_sgpr_private_segment_size 0
		.amdhsa_wavefront_size32 1
		.amdhsa_uses_dynamic_stack 0
		.amdhsa_enable_private_segment 0
		.amdhsa_system_sgpr_workgroup_id_x 1
		.amdhsa_system_sgpr_workgroup_id_y 0
		.amdhsa_system_sgpr_workgroup_id_z 0
		.amdhsa_system_sgpr_workgroup_info 0
		.amdhsa_system_vgpr_workitem_id 0
		.amdhsa_next_free_vgpr 1
		.amdhsa_next_free_sgpr 1
		.amdhsa_named_barrier_count 0
		.amdhsa_reserve_vcc 0
		.amdhsa_float_round_mode_32 0
		.amdhsa_float_round_mode_16_64 0
		.amdhsa_float_denorm_mode_32 3
		.amdhsa_float_denorm_mode_16_64 3
		.amdhsa_fp16_overflow 0
		.amdhsa_memory_ordered 1
		.amdhsa_forward_progress 1
		.amdhsa_inst_pref_size 0
		.amdhsa_round_robin_scheduling 0
		.amdhsa_exception_fp_ieee_invalid_op 0
		.amdhsa_exception_fp_denorm_src 0
		.amdhsa_exception_fp_ieee_div_zero 0
		.amdhsa_exception_fp_ieee_overflow 0
		.amdhsa_exception_fp_ieee_underflow 0
		.amdhsa_exception_fp_ieee_inexact 0
		.amdhsa_exception_int_div_zero 0
	.end_amdhsa_kernel
	.section	.text._ZN7rocprim17ROCPRIM_400000_NS6detail17trampoline_kernelINS0_14default_configENS1_35radix_sort_onesweep_config_selectorIlNS0_10empty_typeEEEZZNS1_29radix_sort_onesweep_iterationIS3_Lb1EPKlPlPS5_SB_mNS0_19identity_decomposerENS1_16block_id_wrapperIjLb1EEEEE10hipError_tT1_PNSt15iterator_traitsISG_E10value_typeET2_T3_PNSH_ISM_E10value_typeET4_T5_PSR_SS_PNS1_23onesweep_lookback_stateEbbT6_jjT7_P12ihipStream_tbENKUlT_T0_SG_SL_E_clISA_SA_SB_SB_EEDaSZ_S10_SG_SL_EUlSZ_E_NS1_11comp_targetILNS1_3genE9ELNS1_11target_archE1100ELNS1_3gpuE3ELNS1_3repE0EEENS1_47radix_sort_onesweep_sort_config_static_selectorELNS0_4arch9wavefront6targetE0EEEvSG_,"axG",@progbits,_ZN7rocprim17ROCPRIM_400000_NS6detail17trampoline_kernelINS0_14default_configENS1_35radix_sort_onesweep_config_selectorIlNS0_10empty_typeEEEZZNS1_29radix_sort_onesweep_iterationIS3_Lb1EPKlPlPS5_SB_mNS0_19identity_decomposerENS1_16block_id_wrapperIjLb1EEEEE10hipError_tT1_PNSt15iterator_traitsISG_E10value_typeET2_T3_PNSH_ISM_E10value_typeET4_T5_PSR_SS_PNS1_23onesweep_lookback_stateEbbT6_jjT7_P12ihipStream_tbENKUlT_T0_SG_SL_E_clISA_SA_SB_SB_EEDaSZ_S10_SG_SL_EUlSZ_E_NS1_11comp_targetILNS1_3genE9ELNS1_11target_archE1100ELNS1_3gpuE3ELNS1_3repE0EEENS1_47radix_sort_onesweep_sort_config_static_selectorELNS0_4arch9wavefront6targetE0EEEvSG_,comdat
.Lfunc_end1112:
	.size	_ZN7rocprim17ROCPRIM_400000_NS6detail17trampoline_kernelINS0_14default_configENS1_35radix_sort_onesweep_config_selectorIlNS0_10empty_typeEEEZZNS1_29radix_sort_onesweep_iterationIS3_Lb1EPKlPlPS5_SB_mNS0_19identity_decomposerENS1_16block_id_wrapperIjLb1EEEEE10hipError_tT1_PNSt15iterator_traitsISG_E10value_typeET2_T3_PNSH_ISM_E10value_typeET4_T5_PSR_SS_PNS1_23onesweep_lookback_stateEbbT6_jjT7_P12ihipStream_tbENKUlT_T0_SG_SL_E_clISA_SA_SB_SB_EEDaSZ_S10_SG_SL_EUlSZ_E_NS1_11comp_targetILNS1_3genE9ELNS1_11target_archE1100ELNS1_3gpuE3ELNS1_3repE0EEENS1_47radix_sort_onesweep_sort_config_static_selectorELNS0_4arch9wavefront6targetE0EEEvSG_, .Lfunc_end1112-_ZN7rocprim17ROCPRIM_400000_NS6detail17trampoline_kernelINS0_14default_configENS1_35radix_sort_onesweep_config_selectorIlNS0_10empty_typeEEEZZNS1_29radix_sort_onesweep_iterationIS3_Lb1EPKlPlPS5_SB_mNS0_19identity_decomposerENS1_16block_id_wrapperIjLb1EEEEE10hipError_tT1_PNSt15iterator_traitsISG_E10value_typeET2_T3_PNSH_ISM_E10value_typeET4_T5_PSR_SS_PNS1_23onesweep_lookback_stateEbbT6_jjT7_P12ihipStream_tbENKUlT_T0_SG_SL_E_clISA_SA_SB_SB_EEDaSZ_S10_SG_SL_EUlSZ_E_NS1_11comp_targetILNS1_3genE9ELNS1_11target_archE1100ELNS1_3gpuE3ELNS1_3repE0EEENS1_47radix_sort_onesweep_sort_config_static_selectorELNS0_4arch9wavefront6targetE0EEEvSG_
                                        ; -- End function
	.set _ZN7rocprim17ROCPRIM_400000_NS6detail17trampoline_kernelINS0_14default_configENS1_35radix_sort_onesweep_config_selectorIlNS0_10empty_typeEEEZZNS1_29radix_sort_onesweep_iterationIS3_Lb1EPKlPlPS5_SB_mNS0_19identity_decomposerENS1_16block_id_wrapperIjLb1EEEEE10hipError_tT1_PNSt15iterator_traitsISG_E10value_typeET2_T3_PNSH_ISM_E10value_typeET4_T5_PSR_SS_PNS1_23onesweep_lookback_stateEbbT6_jjT7_P12ihipStream_tbENKUlT_T0_SG_SL_E_clISA_SA_SB_SB_EEDaSZ_S10_SG_SL_EUlSZ_E_NS1_11comp_targetILNS1_3genE9ELNS1_11target_archE1100ELNS1_3gpuE3ELNS1_3repE0EEENS1_47radix_sort_onesweep_sort_config_static_selectorELNS0_4arch9wavefront6targetE0EEEvSG_.num_vgpr, 0
	.set _ZN7rocprim17ROCPRIM_400000_NS6detail17trampoline_kernelINS0_14default_configENS1_35radix_sort_onesweep_config_selectorIlNS0_10empty_typeEEEZZNS1_29radix_sort_onesweep_iterationIS3_Lb1EPKlPlPS5_SB_mNS0_19identity_decomposerENS1_16block_id_wrapperIjLb1EEEEE10hipError_tT1_PNSt15iterator_traitsISG_E10value_typeET2_T3_PNSH_ISM_E10value_typeET4_T5_PSR_SS_PNS1_23onesweep_lookback_stateEbbT6_jjT7_P12ihipStream_tbENKUlT_T0_SG_SL_E_clISA_SA_SB_SB_EEDaSZ_S10_SG_SL_EUlSZ_E_NS1_11comp_targetILNS1_3genE9ELNS1_11target_archE1100ELNS1_3gpuE3ELNS1_3repE0EEENS1_47radix_sort_onesweep_sort_config_static_selectorELNS0_4arch9wavefront6targetE0EEEvSG_.num_agpr, 0
	.set _ZN7rocprim17ROCPRIM_400000_NS6detail17trampoline_kernelINS0_14default_configENS1_35radix_sort_onesweep_config_selectorIlNS0_10empty_typeEEEZZNS1_29radix_sort_onesweep_iterationIS3_Lb1EPKlPlPS5_SB_mNS0_19identity_decomposerENS1_16block_id_wrapperIjLb1EEEEE10hipError_tT1_PNSt15iterator_traitsISG_E10value_typeET2_T3_PNSH_ISM_E10value_typeET4_T5_PSR_SS_PNS1_23onesweep_lookback_stateEbbT6_jjT7_P12ihipStream_tbENKUlT_T0_SG_SL_E_clISA_SA_SB_SB_EEDaSZ_S10_SG_SL_EUlSZ_E_NS1_11comp_targetILNS1_3genE9ELNS1_11target_archE1100ELNS1_3gpuE3ELNS1_3repE0EEENS1_47radix_sort_onesweep_sort_config_static_selectorELNS0_4arch9wavefront6targetE0EEEvSG_.numbered_sgpr, 0
	.set _ZN7rocprim17ROCPRIM_400000_NS6detail17trampoline_kernelINS0_14default_configENS1_35radix_sort_onesweep_config_selectorIlNS0_10empty_typeEEEZZNS1_29radix_sort_onesweep_iterationIS3_Lb1EPKlPlPS5_SB_mNS0_19identity_decomposerENS1_16block_id_wrapperIjLb1EEEEE10hipError_tT1_PNSt15iterator_traitsISG_E10value_typeET2_T3_PNSH_ISM_E10value_typeET4_T5_PSR_SS_PNS1_23onesweep_lookback_stateEbbT6_jjT7_P12ihipStream_tbENKUlT_T0_SG_SL_E_clISA_SA_SB_SB_EEDaSZ_S10_SG_SL_EUlSZ_E_NS1_11comp_targetILNS1_3genE9ELNS1_11target_archE1100ELNS1_3gpuE3ELNS1_3repE0EEENS1_47radix_sort_onesweep_sort_config_static_selectorELNS0_4arch9wavefront6targetE0EEEvSG_.num_named_barrier, 0
	.set _ZN7rocprim17ROCPRIM_400000_NS6detail17trampoline_kernelINS0_14default_configENS1_35radix_sort_onesweep_config_selectorIlNS0_10empty_typeEEEZZNS1_29radix_sort_onesweep_iterationIS3_Lb1EPKlPlPS5_SB_mNS0_19identity_decomposerENS1_16block_id_wrapperIjLb1EEEEE10hipError_tT1_PNSt15iterator_traitsISG_E10value_typeET2_T3_PNSH_ISM_E10value_typeET4_T5_PSR_SS_PNS1_23onesweep_lookback_stateEbbT6_jjT7_P12ihipStream_tbENKUlT_T0_SG_SL_E_clISA_SA_SB_SB_EEDaSZ_S10_SG_SL_EUlSZ_E_NS1_11comp_targetILNS1_3genE9ELNS1_11target_archE1100ELNS1_3gpuE3ELNS1_3repE0EEENS1_47radix_sort_onesweep_sort_config_static_selectorELNS0_4arch9wavefront6targetE0EEEvSG_.private_seg_size, 0
	.set _ZN7rocprim17ROCPRIM_400000_NS6detail17trampoline_kernelINS0_14default_configENS1_35radix_sort_onesweep_config_selectorIlNS0_10empty_typeEEEZZNS1_29radix_sort_onesweep_iterationIS3_Lb1EPKlPlPS5_SB_mNS0_19identity_decomposerENS1_16block_id_wrapperIjLb1EEEEE10hipError_tT1_PNSt15iterator_traitsISG_E10value_typeET2_T3_PNSH_ISM_E10value_typeET4_T5_PSR_SS_PNS1_23onesweep_lookback_stateEbbT6_jjT7_P12ihipStream_tbENKUlT_T0_SG_SL_E_clISA_SA_SB_SB_EEDaSZ_S10_SG_SL_EUlSZ_E_NS1_11comp_targetILNS1_3genE9ELNS1_11target_archE1100ELNS1_3gpuE3ELNS1_3repE0EEENS1_47radix_sort_onesweep_sort_config_static_selectorELNS0_4arch9wavefront6targetE0EEEvSG_.uses_vcc, 0
	.set _ZN7rocprim17ROCPRIM_400000_NS6detail17trampoline_kernelINS0_14default_configENS1_35radix_sort_onesweep_config_selectorIlNS0_10empty_typeEEEZZNS1_29radix_sort_onesweep_iterationIS3_Lb1EPKlPlPS5_SB_mNS0_19identity_decomposerENS1_16block_id_wrapperIjLb1EEEEE10hipError_tT1_PNSt15iterator_traitsISG_E10value_typeET2_T3_PNSH_ISM_E10value_typeET4_T5_PSR_SS_PNS1_23onesweep_lookback_stateEbbT6_jjT7_P12ihipStream_tbENKUlT_T0_SG_SL_E_clISA_SA_SB_SB_EEDaSZ_S10_SG_SL_EUlSZ_E_NS1_11comp_targetILNS1_3genE9ELNS1_11target_archE1100ELNS1_3gpuE3ELNS1_3repE0EEENS1_47radix_sort_onesweep_sort_config_static_selectorELNS0_4arch9wavefront6targetE0EEEvSG_.uses_flat_scratch, 0
	.set _ZN7rocprim17ROCPRIM_400000_NS6detail17trampoline_kernelINS0_14default_configENS1_35radix_sort_onesweep_config_selectorIlNS0_10empty_typeEEEZZNS1_29radix_sort_onesweep_iterationIS3_Lb1EPKlPlPS5_SB_mNS0_19identity_decomposerENS1_16block_id_wrapperIjLb1EEEEE10hipError_tT1_PNSt15iterator_traitsISG_E10value_typeET2_T3_PNSH_ISM_E10value_typeET4_T5_PSR_SS_PNS1_23onesweep_lookback_stateEbbT6_jjT7_P12ihipStream_tbENKUlT_T0_SG_SL_E_clISA_SA_SB_SB_EEDaSZ_S10_SG_SL_EUlSZ_E_NS1_11comp_targetILNS1_3genE9ELNS1_11target_archE1100ELNS1_3gpuE3ELNS1_3repE0EEENS1_47radix_sort_onesweep_sort_config_static_selectorELNS0_4arch9wavefront6targetE0EEEvSG_.has_dyn_sized_stack, 0
	.set _ZN7rocprim17ROCPRIM_400000_NS6detail17trampoline_kernelINS0_14default_configENS1_35radix_sort_onesweep_config_selectorIlNS0_10empty_typeEEEZZNS1_29radix_sort_onesweep_iterationIS3_Lb1EPKlPlPS5_SB_mNS0_19identity_decomposerENS1_16block_id_wrapperIjLb1EEEEE10hipError_tT1_PNSt15iterator_traitsISG_E10value_typeET2_T3_PNSH_ISM_E10value_typeET4_T5_PSR_SS_PNS1_23onesweep_lookback_stateEbbT6_jjT7_P12ihipStream_tbENKUlT_T0_SG_SL_E_clISA_SA_SB_SB_EEDaSZ_S10_SG_SL_EUlSZ_E_NS1_11comp_targetILNS1_3genE9ELNS1_11target_archE1100ELNS1_3gpuE3ELNS1_3repE0EEENS1_47radix_sort_onesweep_sort_config_static_selectorELNS0_4arch9wavefront6targetE0EEEvSG_.has_recursion, 0
	.set _ZN7rocprim17ROCPRIM_400000_NS6detail17trampoline_kernelINS0_14default_configENS1_35radix_sort_onesweep_config_selectorIlNS0_10empty_typeEEEZZNS1_29radix_sort_onesweep_iterationIS3_Lb1EPKlPlPS5_SB_mNS0_19identity_decomposerENS1_16block_id_wrapperIjLb1EEEEE10hipError_tT1_PNSt15iterator_traitsISG_E10value_typeET2_T3_PNSH_ISM_E10value_typeET4_T5_PSR_SS_PNS1_23onesweep_lookback_stateEbbT6_jjT7_P12ihipStream_tbENKUlT_T0_SG_SL_E_clISA_SA_SB_SB_EEDaSZ_S10_SG_SL_EUlSZ_E_NS1_11comp_targetILNS1_3genE9ELNS1_11target_archE1100ELNS1_3gpuE3ELNS1_3repE0EEENS1_47radix_sort_onesweep_sort_config_static_selectorELNS0_4arch9wavefront6targetE0EEEvSG_.has_indirect_call, 0
	.section	.AMDGPU.csdata,"",@progbits
; Kernel info:
; codeLenInByte = 0
; TotalNumSgprs: 0
; NumVgprs: 0
; ScratchSize: 0
; MemoryBound: 0
; FloatMode: 240
; IeeeMode: 1
; LDSByteSize: 0 bytes/workgroup (compile time only)
; SGPRBlocks: 0
; VGPRBlocks: 0
; NumSGPRsForWavesPerEU: 1
; NumVGPRsForWavesPerEU: 1
; NamedBarCnt: 0
; Occupancy: 16
; WaveLimiterHint : 0
; COMPUTE_PGM_RSRC2:SCRATCH_EN: 0
; COMPUTE_PGM_RSRC2:USER_SGPR: 2
; COMPUTE_PGM_RSRC2:TRAP_HANDLER: 0
; COMPUTE_PGM_RSRC2:TGID_X_EN: 1
; COMPUTE_PGM_RSRC2:TGID_Y_EN: 0
; COMPUTE_PGM_RSRC2:TGID_Z_EN: 0
; COMPUTE_PGM_RSRC2:TIDIG_COMP_CNT: 0
	.section	.text._ZN7rocprim17ROCPRIM_400000_NS6detail17trampoline_kernelINS0_14default_configENS1_35radix_sort_onesweep_config_selectorIlNS0_10empty_typeEEEZZNS1_29radix_sort_onesweep_iterationIS3_Lb1EPKlPlPS5_SB_mNS0_19identity_decomposerENS1_16block_id_wrapperIjLb1EEEEE10hipError_tT1_PNSt15iterator_traitsISG_E10value_typeET2_T3_PNSH_ISM_E10value_typeET4_T5_PSR_SS_PNS1_23onesweep_lookback_stateEbbT6_jjT7_P12ihipStream_tbENKUlT_T0_SG_SL_E_clISA_SA_SB_SB_EEDaSZ_S10_SG_SL_EUlSZ_E_NS1_11comp_targetILNS1_3genE8ELNS1_11target_archE1030ELNS1_3gpuE2ELNS1_3repE0EEENS1_47radix_sort_onesweep_sort_config_static_selectorELNS0_4arch9wavefront6targetE0EEEvSG_,"axG",@progbits,_ZN7rocprim17ROCPRIM_400000_NS6detail17trampoline_kernelINS0_14default_configENS1_35radix_sort_onesweep_config_selectorIlNS0_10empty_typeEEEZZNS1_29radix_sort_onesweep_iterationIS3_Lb1EPKlPlPS5_SB_mNS0_19identity_decomposerENS1_16block_id_wrapperIjLb1EEEEE10hipError_tT1_PNSt15iterator_traitsISG_E10value_typeET2_T3_PNSH_ISM_E10value_typeET4_T5_PSR_SS_PNS1_23onesweep_lookback_stateEbbT6_jjT7_P12ihipStream_tbENKUlT_T0_SG_SL_E_clISA_SA_SB_SB_EEDaSZ_S10_SG_SL_EUlSZ_E_NS1_11comp_targetILNS1_3genE8ELNS1_11target_archE1030ELNS1_3gpuE2ELNS1_3repE0EEENS1_47radix_sort_onesweep_sort_config_static_selectorELNS0_4arch9wavefront6targetE0EEEvSG_,comdat
	.protected	_ZN7rocprim17ROCPRIM_400000_NS6detail17trampoline_kernelINS0_14default_configENS1_35radix_sort_onesweep_config_selectorIlNS0_10empty_typeEEEZZNS1_29radix_sort_onesweep_iterationIS3_Lb1EPKlPlPS5_SB_mNS0_19identity_decomposerENS1_16block_id_wrapperIjLb1EEEEE10hipError_tT1_PNSt15iterator_traitsISG_E10value_typeET2_T3_PNSH_ISM_E10value_typeET4_T5_PSR_SS_PNS1_23onesweep_lookback_stateEbbT6_jjT7_P12ihipStream_tbENKUlT_T0_SG_SL_E_clISA_SA_SB_SB_EEDaSZ_S10_SG_SL_EUlSZ_E_NS1_11comp_targetILNS1_3genE8ELNS1_11target_archE1030ELNS1_3gpuE2ELNS1_3repE0EEENS1_47radix_sort_onesweep_sort_config_static_selectorELNS0_4arch9wavefront6targetE0EEEvSG_ ; -- Begin function _ZN7rocprim17ROCPRIM_400000_NS6detail17trampoline_kernelINS0_14default_configENS1_35radix_sort_onesweep_config_selectorIlNS0_10empty_typeEEEZZNS1_29radix_sort_onesweep_iterationIS3_Lb1EPKlPlPS5_SB_mNS0_19identity_decomposerENS1_16block_id_wrapperIjLb1EEEEE10hipError_tT1_PNSt15iterator_traitsISG_E10value_typeET2_T3_PNSH_ISM_E10value_typeET4_T5_PSR_SS_PNS1_23onesweep_lookback_stateEbbT6_jjT7_P12ihipStream_tbENKUlT_T0_SG_SL_E_clISA_SA_SB_SB_EEDaSZ_S10_SG_SL_EUlSZ_E_NS1_11comp_targetILNS1_3genE8ELNS1_11target_archE1030ELNS1_3gpuE2ELNS1_3repE0EEENS1_47radix_sort_onesweep_sort_config_static_selectorELNS0_4arch9wavefront6targetE0EEEvSG_
	.globl	_ZN7rocprim17ROCPRIM_400000_NS6detail17trampoline_kernelINS0_14default_configENS1_35radix_sort_onesweep_config_selectorIlNS0_10empty_typeEEEZZNS1_29radix_sort_onesweep_iterationIS3_Lb1EPKlPlPS5_SB_mNS0_19identity_decomposerENS1_16block_id_wrapperIjLb1EEEEE10hipError_tT1_PNSt15iterator_traitsISG_E10value_typeET2_T3_PNSH_ISM_E10value_typeET4_T5_PSR_SS_PNS1_23onesweep_lookback_stateEbbT6_jjT7_P12ihipStream_tbENKUlT_T0_SG_SL_E_clISA_SA_SB_SB_EEDaSZ_S10_SG_SL_EUlSZ_E_NS1_11comp_targetILNS1_3genE8ELNS1_11target_archE1030ELNS1_3gpuE2ELNS1_3repE0EEENS1_47radix_sort_onesweep_sort_config_static_selectorELNS0_4arch9wavefront6targetE0EEEvSG_
	.p2align	8
	.type	_ZN7rocprim17ROCPRIM_400000_NS6detail17trampoline_kernelINS0_14default_configENS1_35radix_sort_onesweep_config_selectorIlNS0_10empty_typeEEEZZNS1_29radix_sort_onesweep_iterationIS3_Lb1EPKlPlPS5_SB_mNS0_19identity_decomposerENS1_16block_id_wrapperIjLb1EEEEE10hipError_tT1_PNSt15iterator_traitsISG_E10value_typeET2_T3_PNSH_ISM_E10value_typeET4_T5_PSR_SS_PNS1_23onesweep_lookback_stateEbbT6_jjT7_P12ihipStream_tbENKUlT_T0_SG_SL_E_clISA_SA_SB_SB_EEDaSZ_S10_SG_SL_EUlSZ_E_NS1_11comp_targetILNS1_3genE8ELNS1_11target_archE1030ELNS1_3gpuE2ELNS1_3repE0EEENS1_47radix_sort_onesweep_sort_config_static_selectorELNS0_4arch9wavefront6targetE0EEEvSG_,@function
_ZN7rocprim17ROCPRIM_400000_NS6detail17trampoline_kernelINS0_14default_configENS1_35radix_sort_onesweep_config_selectorIlNS0_10empty_typeEEEZZNS1_29radix_sort_onesweep_iterationIS3_Lb1EPKlPlPS5_SB_mNS0_19identity_decomposerENS1_16block_id_wrapperIjLb1EEEEE10hipError_tT1_PNSt15iterator_traitsISG_E10value_typeET2_T3_PNSH_ISM_E10value_typeET4_T5_PSR_SS_PNS1_23onesweep_lookback_stateEbbT6_jjT7_P12ihipStream_tbENKUlT_T0_SG_SL_E_clISA_SA_SB_SB_EEDaSZ_S10_SG_SL_EUlSZ_E_NS1_11comp_targetILNS1_3genE8ELNS1_11target_archE1030ELNS1_3gpuE2ELNS1_3repE0EEENS1_47radix_sort_onesweep_sort_config_static_selectorELNS0_4arch9wavefront6targetE0EEEvSG_: ; @_ZN7rocprim17ROCPRIM_400000_NS6detail17trampoline_kernelINS0_14default_configENS1_35radix_sort_onesweep_config_selectorIlNS0_10empty_typeEEEZZNS1_29radix_sort_onesweep_iterationIS3_Lb1EPKlPlPS5_SB_mNS0_19identity_decomposerENS1_16block_id_wrapperIjLb1EEEEE10hipError_tT1_PNSt15iterator_traitsISG_E10value_typeET2_T3_PNSH_ISM_E10value_typeET4_T5_PSR_SS_PNS1_23onesweep_lookback_stateEbbT6_jjT7_P12ihipStream_tbENKUlT_T0_SG_SL_E_clISA_SA_SB_SB_EEDaSZ_S10_SG_SL_EUlSZ_E_NS1_11comp_targetILNS1_3genE8ELNS1_11target_archE1030ELNS1_3gpuE2ELNS1_3repE0EEENS1_47radix_sort_onesweep_sort_config_static_selectorELNS0_4arch9wavefront6targetE0EEEvSG_
; %bb.0:
	.section	.rodata,"a",@progbits
	.p2align	6, 0x0
	.amdhsa_kernel _ZN7rocprim17ROCPRIM_400000_NS6detail17trampoline_kernelINS0_14default_configENS1_35radix_sort_onesweep_config_selectorIlNS0_10empty_typeEEEZZNS1_29radix_sort_onesweep_iterationIS3_Lb1EPKlPlPS5_SB_mNS0_19identity_decomposerENS1_16block_id_wrapperIjLb1EEEEE10hipError_tT1_PNSt15iterator_traitsISG_E10value_typeET2_T3_PNSH_ISM_E10value_typeET4_T5_PSR_SS_PNS1_23onesweep_lookback_stateEbbT6_jjT7_P12ihipStream_tbENKUlT_T0_SG_SL_E_clISA_SA_SB_SB_EEDaSZ_S10_SG_SL_EUlSZ_E_NS1_11comp_targetILNS1_3genE8ELNS1_11target_archE1030ELNS1_3gpuE2ELNS1_3repE0EEENS1_47radix_sort_onesweep_sort_config_static_selectorELNS0_4arch9wavefront6targetE0EEEvSG_
		.amdhsa_group_segment_fixed_size 0
		.amdhsa_private_segment_fixed_size 0
		.amdhsa_kernarg_size 88
		.amdhsa_user_sgpr_count 2
		.amdhsa_user_sgpr_dispatch_ptr 0
		.amdhsa_user_sgpr_queue_ptr 0
		.amdhsa_user_sgpr_kernarg_segment_ptr 1
		.amdhsa_user_sgpr_dispatch_id 0
		.amdhsa_user_sgpr_kernarg_preload_length 0
		.amdhsa_user_sgpr_kernarg_preload_offset 0
		.amdhsa_user_sgpr_private_segment_size 0
		.amdhsa_wavefront_size32 1
		.amdhsa_uses_dynamic_stack 0
		.amdhsa_enable_private_segment 0
		.amdhsa_system_sgpr_workgroup_id_x 1
		.amdhsa_system_sgpr_workgroup_id_y 0
		.amdhsa_system_sgpr_workgroup_id_z 0
		.amdhsa_system_sgpr_workgroup_info 0
		.amdhsa_system_vgpr_workitem_id 0
		.amdhsa_next_free_vgpr 1
		.amdhsa_next_free_sgpr 1
		.amdhsa_named_barrier_count 0
		.amdhsa_reserve_vcc 0
		.amdhsa_float_round_mode_32 0
		.amdhsa_float_round_mode_16_64 0
		.amdhsa_float_denorm_mode_32 3
		.amdhsa_float_denorm_mode_16_64 3
		.amdhsa_fp16_overflow 0
		.amdhsa_memory_ordered 1
		.amdhsa_forward_progress 1
		.amdhsa_inst_pref_size 0
		.amdhsa_round_robin_scheduling 0
		.amdhsa_exception_fp_ieee_invalid_op 0
		.amdhsa_exception_fp_denorm_src 0
		.amdhsa_exception_fp_ieee_div_zero 0
		.amdhsa_exception_fp_ieee_overflow 0
		.amdhsa_exception_fp_ieee_underflow 0
		.amdhsa_exception_fp_ieee_inexact 0
		.amdhsa_exception_int_div_zero 0
	.end_amdhsa_kernel
	.section	.text._ZN7rocprim17ROCPRIM_400000_NS6detail17trampoline_kernelINS0_14default_configENS1_35radix_sort_onesweep_config_selectorIlNS0_10empty_typeEEEZZNS1_29radix_sort_onesweep_iterationIS3_Lb1EPKlPlPS5_SB_mNS0_19identity_decomposerENS1_16block_id_wrapperIjLb1EEEEE10hipError_tT1_PNSt15iterator_traitsISG_E10value_typeET2_T3_PNSH_ISM_E10value_typeET4_T5_PSR_SS_PNS1_23onesweep_lookback_stateEbbT6_jjT7_P12ihipStream_tbENKUlT_T0_SG_SL_E_clISA_SA_SB_SB_EEDaSZ_S10_SG_SL_EUlSZ_E_NS1_11comp_targetILNS1_3genE8ELNS1_11target_archE1030ELNS1_3gpuE2ELNS1_3repE0EEENS1_47radix_sort_onesweep_sort_config_static_selectorELNS0_4arch9wavefront6targetE0EEEvSG_,"axG",@progbits,_ZN7rocprim17ROCPRIM_400000_NS6detail17trampoline_kernelINS0_14default_configENS1_35radix_sort_onesweep_config_selectorIlNS0_10empty_typeEEEZZNS1_29radix_sort_onesweep_iterationIS3_Lb1EPKlPlPS5_SB_mNS0_19identity_decomposerENS1_16block_id_wrapperIjLb1EEEEE10hipError_tT1_PNSt15iterator_traitsISG_E10value_typeET2_T3_PNSH_ISM_E10value_typeET4_T5_PSR_SS_PNS1_23onesweep_lookback_stateEbbT6_jjT7_P12ihipStream_tbENKUlT_T0_SG_SL_E_clISA_SA_SB_SB_EEDaSZ_S10_SG_SL_EUlSZ_E_NS1_11comp_targetILNS1_3genE8ELNS1_11target_archE1030ELNS1_3gpuE2ELNS1_3repE0EEENS1_47radix_sort_onesweep_sort_config_static_selectorELNS0_4arch9wavefront6targetE0EEEvSG_,comdat
.Lfunc_end1113:
	.size	_ZN7rocprim17ROCPRIM_400000_NS6detail17trampoline_kernelINS0_14default_configENS1_35radix_sort_onesweep_config_selectorIlNS0_10empty_typeEEEZZNS1_29radix_sort_onesweep_iterationIS3_Lb1EPKlPlPS5_SB_mNS0_19identity_decomposerENS1_16block_id_wrapperIjLb1EEEEE10hipError_tT1_PNSt15iterator_traitsISG_E10value_typeET2_T3_PNSH_ISM_E10value_typeET4_T5_PSR_SS_PNS1_23onesweep_lookback_stateEbbT6_jjT7_P12ihipStream_tbENKUlT_T0_SG_SL_E_clISA_SA_SB_SB_EEDaSZ_S10_SG_SL_EUlSZ_E_NS1_11comp_targetILNS1_3genE8ELNS1_11target_archE1030ELNS1_3gpuE2ELNS1_3repE0EEENS1_47radix_sort_onesweep_sort_config_static_selectorELNS0_4arch9wavefront6targetE0EEEvSG_, .Lfunc_end1113-_ZN7rocprim17ROCPRIM_400000_NS6detail17trampoline_kernelINS0_14default_configENS1_35radix_sort_onesweep_config_selectorIlNS0_10empty_typeEEEZZNS1_29radix_sort_onesweep_iterationIS3_Lb1EPKlPlPS5_SB_mNS0_19identity_decomposerENS1_16block_id_wrapperIjLb1EEEEE10hipError_tT1_PNSt15iterator_traitsISG_E10value_typeET2_T3_PNSH_ISM_E10value_typeET4_T5_PSR_SS_PNS1_23onesweep_lookback_stateEbbT6_jjT7_P12ihipStream_tbENKUlT_T0_SG_SL_E_clISA_SA_SB_SB_EEDaSZ_S10_SG_SL_EUlSZ_E_NS1_11comp_targetILNS1_3genE8ELNS1_11target_archE1030ELNS1_3gpuE2ELNS1_3repE0EEENS1_47radix_sort_onesweep_sort_config_static_selectorELNS0_4arch9wavefront6targetE0EEEvSG_
                                        ; -- End function
	.set _ZN7rocprim17ROCPRIM_400000_NS6detail17trampoline_kernelINS0_14default_configENS1_35radix_sort_onesweep_config_selectorIlNS0_10empty_typeEEEZZNS1_29radix_sort_onesweep_iterationIS3_Lb1EPKlPlPS5_SB_mNS0_19identity_decomposerENS1_16block_id_wrapperIjLb1EEEEE10hipError_tT1_PNSt15iterator_traitsISG_E10value_typeET2_T3_PNSH_ISM_E10value_typeET4_T5_PSR_SS_PNS1_23onesweep_lookback_stateEbbT6_jjT7_P12ihipStream_tbENKUlT_T0_SG_SL_E_clISA_SA_SB_SB_EEDaSZ_S10_SG_SL_EUlSZ_E_NS1_11comp_targetILNS1_3genE8ELNS1_11target_archE1030ELNS1_3gpuE2ELNS1_3repE0EEENS1_47radix_sort_onesweep_sort_config_static_selectorELNS0_4arch9wavefront6targetE0EEEvSG_.num_vgpr, 0
	.set _ZN7rocprim17ROCPRIM_400000_NS6detail17trampoline_kernelINS0_14default_configENS1_35radix_sort_onesweep_config_selectorIlNS0_10empty_typeEEEZZNS1_29radix_sort_onesweep_iterationIS3_Lb1EPKlPlPS5_SB_mNS0_19identity_decomposerENS1_16block_id_wrapperIjLb1EEEEE10hipError_tT1_PNSt15iterator_traitsISG_E10value_typeET2_T3_PNSH_ISM_E10value_typeET4_T5_PSR_SS_PNS1_23onesweep_lookback_stateEbbT6_jjT7_P12ihipStream_tbENKUlT_T0_SG_SL_E_clISA_SA_SB_SB_EEDaSZ_S10_SG_SL_EUlSZ_E_NS1_11comp_targetILNS1_3genE8ELNS1_11target_archE1030ELNS1_3gpuE2ELNS1_3repE0EEENS1_47radix_sort_onesweep_sort_config_static_selectorELNS0_4arch9wavefront6targetE0EEEvSG_.num_agpr, 0
	.set _ZN7rocprim17ROCPRIM_400000_NS6detail17trampoline_kernelINS0_14default_configENS1_35radix_sort_onesweep_config_selectorIlNS0_10empty_typeEEEZZNS1_29radix_sort_onesweep_iterationIS3_Lb1EPKlPlPS5_SB_mNS0_19identity_decomposerENS1_16block_id_wrapperIjLb1EEEEE10hipError_tT1_PNSt15iterator_traitsISG_E10value_typeET2_T3_PNSH_ISM_E10value_typeET4_T5_PSR_SS_PNS1_23onesweep_lookback_stateEbbT6_jjT7_P12ihipStream_tbENKUlT_T0_SG_SL_E_clISA_SA_SB_SB_EEDaSZ_S10_SG_SL_EUlSZ_E_NS1_11comp_targetILNS1_3genE8ELNS1_11target_archE1030ELNS1_3gpuE2ELNS1_3repE0EEENS1_47radix_sort_onesweep_sort_config_static_selectorELNS0_4arch9wavefront6targetE0EEEvSG_.numbered_sgpr, 0
	.set _ZN7rocprim17ROCPRIM_400000_NS6detail17trampoline_kernelINS0_14default_configENS1_35radix_sort_onesweep_config_selectorIlNS0_10empty_typeEEEZZNS1_29radix_sort_onesweep_iterationIS3_Lb1EPKlPlPS5_SB_mNS0_19identity_decomposerENS1_16block_id_wrapperIjLb1EEEEE10hipError_tT1_PNSt15iterator_traitsISG_E10value_typeET2_T3_PNSH_ISM_E10value_typeET4_T5_PSR_SS_PNS1_23onesweep_lookback_stateEbbT6_jjT7_P12ihipStream_tbENKUlT_T0_SG_SL_E_clISA_SA_SB_SB_EEDaSZ_S10_SG_SL_EUlSZ_E_NS1_11comp_targetILNS1_3genE8ELNS1_11target_archE1030ELNS1_3gpuE2ELNS1_3repE0EEENS1_47radix_sort_onesweep_sort_config_static_selectorELNS0_4arch9wavefront6targetE0EEEvSG_.num_named_barrier, 0
	.set _ZN7rocprim17ROCPRIM_400000_NS6detail17trampoline_kernelINS0_14default_configENS1_35radix_sort_onesweep_config_selectorIlNS0_10empty_typeEEEZZNS1_29radix_sort_onesweep_iterationIS3_Lb1EPKlPlPS5_SB_mNS0_19identity_decomposerENS1_16block_id_wrapperIjLb1EEEEE10hipError_tT1_PNSt15iterator_traitsISG_E10value_typeET2_T3_PNSH_ISM_E10value_typeET4_T5_PSR_SS_PNS1_23onesweep_lookback_stateEbbT6_jjT7_P12ihipStream_tbENKUlT_T0_SG_SL_E_clISA_SA_SB_SB_EEDaSZ_S10_SG_SL_EUlSZ_E_NS1_11comp_targetILNS1_3genE8ELNS1_11target_archE1030ELNS1_3gpuE2ELNS1_3repE0EEENS1_47radix_sort_onesweep_sort_config_static_selectorELNS0_4arch9wavefront6targetE0EEEvSG_.private_seg_size, 0
	.set _ZN7rocprim17ROCPRIM_400000_NS6detail17trampoline_kernelINS0_14default_configENS1_35radix_sort_onesweep_config_selectorIlNS0_10empty_typeEEEZZNS1_29radix_sort_onesweep_iterationIS3_Lb1EPKlPlPS5_SB_mNS0_19identity_decomposerENS1_16block_id_wrapperIjLb1EEEEE10hipError_tT1_PNSt15iterator_traitsISG_E10value_typeET2_T3_PNSH_ISM_E10value_typeET4_T5_PSR_SS_PNS1_23onesweep_lookback_stateEbbT6_jjT7_P12ihipStream_tbENKUlT_T0_SG_SL_E_clISA_SA_SB_SB_EEDaSZ_S10_SG_SL_EUlSZ_E_NS1_11comp_targetILNS1_3genE8ELNS1_11target_archE1030ELNS1_3gpuE2ELNS1_3repE0EEENS1_47radix_sort_onesweep_sort_config_static_selectorELNS0_4arch9wavefront6targetE0EEEvSG_.uses_vcc, 0
	.set _ZN7rocprim17ROCPRIM_400000_NS6detail17trampoline_kernelINS0_14default_configENS1_35radix_sort_onesweep_config_selectorIlNS0_10empty_typeEEEZZNS1_29radix_sort_onesweep_iterationIS3_Lb1EPKlPlPS5_SB_mNS0_19identity_decomposerENS1_16block_id_wrapperIjLb1EEEEE10hipError_tT1_PNSt15iterator_traitsISG_E10value_typeET2_T3_PNSH_ISM_E10value_typeET4_T5_PSR_SS_PNS1_23onesweep_lookback_stateEbbT6_jjT7_P12ihipStream_tbENKUlT_T0_SG_SL_E_clISA_SA_SB_SB_EEDaSZ_S10_SG_SL_EUlSZ_E_NS1_11comp_targetILNS1_3genE8ELNS1_11target_archE1030ELNS1_3gpuE2ELNS1_3repE0EEENS1_47radix_sort_onesweep_sort_config_static_selectorELNS0_4arch9wavefront6targetE0EEEvSG_.uses_flat_scratch, 0
	.set _ZN7rocprim17ROCPRIM_400000_NS6detail17trampoline_kernelINS0_14default_configENS1_35radix_sort_onesweep_config_selectorIlNS0_10empty_typeEEEZZNS1_29radix_sort_onesweep_iterationIS3_Lb1EPKlPlPS5_SB_mNS0_19identity_decomposerENS1_16block_id_wrapperIjLb1EEEEE10hipError_tT1_PNSt15iterator_traitsISG_E10value_typeET2_T3_PNSH_ISM_E10value_typeET4_T5_PSR_SS_PNS1_23onesweep_lookback_stateEbbT6_jjT7_P12ihipStream_tbENKUlT_T0_SG_SL_E_clISA_SA_SB_SB_EEDaSZ_S10_SG_SL_EUlSZ_E_NS1_11comp_targetILNS1_3genE8ELNS1_11target_archE1030ELNS1_3gpuE2ELNS1_3repE0EEENS1_47radix_sort_onesweep_sort_config_static_selectorELNS0_4arch9wavefront6targetE0EEEvSG_.has_dyn_sized_stack, 0
	.set _ZN7rocprim17ROCPRIM_400000_NS6detail17trampoline_kernelINS0_14default_configENS1_35radix_sort_onesweep_config_selectorIlNS0_10empty_typeEEEZZNS1_29radix_sort_onesweep_iterationIS3_Lb1EPKlPlPS5_SB_mNS0_19identity_decomposerENS1_16block_id_wrapperIjLb1EEEEE10hipError_tT1_PNSt15iterator_traitsISG_E10value_typeET2_T3_PNSH_ISM_E10value_typeET4_T5_PSR_SS_PNS1_23onesweep_lookback_stateEbbT6_jjT7_P12ihipStream_tbENKUlT_T0_SG_SL_E_clISA_SA_SB_SB_EEDaSZ_S10_SG_SL_EUlSZ_E_NS1_11comp_targetILNS1_3genE8ELNS1_11target_archE1030ELNS1_3gpuE2ELNS1_3repE0EEENS1_47radix_sort_onesweep_sort_config_static_selectorELNS0_4arch9wavefront6targetE0EEEvSG_.has_recursion, 0
	.set _ZN7rocprim17ROCPRIM_400000_NS6detail17trampoline_kernelINS0_14default_configENS1_35radix_sort_onesweep_config_selectorIlNS0_10empty_typeEEEZZNS1_29radix_sort_onesweep_iterationIS3_Lb1EPKlPlPS5_SB_mNS0_19identity_decomposerENS1_16block_id_wrapperIjLb1EEEEE10hipError_tT1_PNSt15iterator_traitsISG_E10value_typeET2_T3_PNSH_ISM_E10value_typeET4_T5_PSR_SS_PNS1_23onesweep_lookback_stateEbbT6_jjT7_P12ihipStream_tbENKUlT_T0_SG_SL_E_clISA_SA_SB_SB_EEDaSZ_S10_SG_SL_EUlSZ_E_NS1_11comp_targetILNS1_3genE8ELNS1_11target_archE1030ELNS1_3gpuE2ELNS1_3repE0EEENS1_47radix_sort_onesweep_sort_config_static_selectorELNS0_4arch9wavefront6targetE0EEEvSG_.has_indirect_call, 0
	.section	.AMDGPU.csdata,"",@progbits
; Kernel info:
; codeLenInByte = 0
; TotalNumSgprs: 0
; NumVgprs: 0
; ScratchSize: 0
; MemoryBound: 0
; FloatMode: 240
; IeeeMode: 1
; LDSByteSize: 0 bytes/workgroup (compile time only)
; SGPRBlocks: 0
; VGPRBlocks: 0
; NumSGPRsForWavesPerEU: 1
; NumVGPRsForWavesPerEU: 1
; NamedBarCnt: 0
; Occupancy: 16
; WaveLimiterHint : 0
; COMPUTE_PGM_RSRC2:SCRATCH_EN: 0
; COMPUTE_PGM_RSRC2:USER_SGPR: 2
; COMPUTE_PGM_RSRC2:TRAP_HANDLER: 0
; COMPUTE_PGM_RSRC2:TGID_X_EN: 1
; COMPUTE_PGM_RSRC2:TGID_Y_EN: 0
; COMPUTE_PGM_RSRC2:TGID_Z_EN: 0
; COMPUTE_PGM_RSRC2:TIDIG_COMP_CNT: 0
	.section	.text._ZN7rocprim17ROCPRIM_400000_NS6detail17trampoline_kernelINS0_14default_configENS1_35radix_sort_onesweep_config_selectorIlNS0_10empty_typeEEEZZNS1_29radix_sort_onesweep_iterationIS3_Lb1EPKlPlPS5_SB_mNS0_19identity_decomposerENS1_16block_id_wrapperIjLb0EEEEE10hipError_tT1_PNSt15iterator_traitsISG_E10value_typeET2_T3_PNSH_ISM_E10value_typeET4_T5_PSR_SS_PNS1_23onesweep_lookback_stateEbbT6_jjT7_P12ihipStream_tbENKUlT_T0_SG_SL_E_clIS9_SA_SB_SB_EEDaSZ_S10_SG_SL_EUlSZ_E_NS1_11comp_targetILNS1_3genE0ELNS1_11target_archE4294967295ELNS1_3gpuE0ELNS1_3repE0EEENS1_47radix_sort_onesweep_sort_config_static_selectorELNS0_4arch9wavefront6targetE0EEEvSG_,"axG",@progbits,_ZN7rocprim17ROCPRIM_400000_NS6detail17trampoline_kernelINS0_14default_configENS1_35radix_sort_onesweep_config_selectorIlNS0_10empty_typeEEEZZNS1_29radix_sort_onesweep_iterationIS3_Lb1EPKlPlPS5_SB_mNS0_19identity_decomposerENS1_16block_id_wrapperIjLb0EEEEE10hipError_tT1_PNSt15iterator_traitsISG_E10value_typeET2_T3_PNSH_ISM_E10value_typeET4_T5_PSR_SS_PNS1_23onesweep_lookback_stateEbbT6_jjT7_P12ihipStream_tbENKUlT_T0_SG_SL_E_clIS9_SA_SB_SB_EEDaSZ_S10_SG_SL_EUlSZ_E_NS1_11comp_targetILNS1_3genE0ELNS1_11target_archE4294967295ELNS1_3gpuE0ELNS1_3repE0EEENS1_47radix_sort_onesweep_sort_config_static_selectorELNS0_4arch9wavefront6targetE0EEEvSG_,comdat
	.protected	_ZN7rocprim17ROCPRIM_400000_NS6detail17trampoline_kernelINS0_14default_configENS1_35radix_sort_onesweep_config_selectorIlNS0_10empty_typeEEEZZNS1_29radix_sort_onesweep_iterationIS3_Lb1EPKlPlPS5_SB_mNS0_19identity_decomposerENS1_16block_id_wrapperIjLb0EEEEE10hipError_tT1_PNSt15iterator_traitsISG_E10value_typeET2_T3_PNSH_ISM_E10value_typeET4_T5_PSR_SS_PNS1_23onesweep_lookback_stateEbbT6_jjT7_P12ihipStream_tbENKUlT_T0_SG_SL_E_clIS9_SA_SB_SB_EEDaSZ_S10_SG_SL_EUlSZ_E_NS1_11comp_targetILNS1_3genE0ELNS1_11target_archE4294967295ELNS1_3gpuE0ELNS1_3repE0EEENS1_47radix_sort_onesweep_sort_config_static_selectorELNS0_4arch9wavefront6targetE0EEEvSG_ ; -- Begin function _ZN7rocprim17ROCPRIM_400000_NS6detail17trampoline_kernelINS0_14default_configENS1_35radix_sort_onesweep_config_selectorIlNS0_10empty_typeEEEZZNS1_29radix_sort_onesweep_iterationIS3_Lb1EPKlPlPS5_SB_mNS0_19identity_decomposerENS1_16block_id_wrapperIjLb0EEEEE10hipError_tT1_PNSt15iterator_traitsISG_E10value_typeET2_T3_PNSH_ISM_E10value_typeET4_T5_PSR_SS_PNS1_23onesweep_lookback_stateEbbT6_jjT7_P12ihipStream_tbENKUlT_T0_SG_SL_E_clIS9_SA_SB_SB_EEDaSZ_S10_SG_SL_EUlSZ_E_NS1_11comp_targetILNS1_3genE0ELNS1_11target_archE4294967295ELNS1_3gpuE0ELNS1_3repE0EEENS1_47radix_sort_onesweep_sort_config_static_selectorELNS0_4arch9wavefront6targetE0EEEvSG_
	.globl	_ZN7rocprim17ROCPRIM_400000_NS6detail17trampoline_kernelINS0_14default_configENS1_35radix_sort_onesweep_config_selectorIlNS0_10empty_typeEEEZZNS1_29radix_sort_onesweep_iterationIS3_Lb1EPKlPlPS5_SB_mNS0_19identity_decomposerENS1_16block_id_wrapperIjLb0EEEEE10hipError_tT1_PNSt15iterator_traitsISG_E10value_typeET2_T3_PNSH_ISM_E10value_typeET4_T5_PSR_SS_PNS1_23onesweep_lookback_stateEbbT6_jjT7_P12ihipStream_tbENKUlT_T0_SG_SL_E_clIS9_SA_SB_SB_EEDaSZ_S10_SG_SL_EUlSZ_E_NS1_11comp_targetILNS1_3genE0ELNS1_11target_archE4294967295ELNS1_3gpuE0ELNS1_3repE0EEENS1_47radix_sort_onesweep_sort_config_static_selectorELNS0_4arch9wavefront6targetE0EEEvSG_
	.p2align	8
	.type	_ZN7rocprim17ROCPRIM_400000_NS6detail17trampoline_kernelINS0_14default_configENS1_35radix_sort_onesweep_config_selectorIlNS0_10empty_typeEEEZZNS1_29radix_sort_onesweep_iterationIS3_Lb1EPKlPlPS5_SB_mNS0_19identity_decomposerENS1_16block_id_wrapperIjLb0EEEEE10hipError_tT1_PNSt15iterator_traitsISG_E10value_typeET2_T3_PNSH_ISM_E10value_typeET4_T5_PSR_SS_PNS1_23onesweep_lookback_stateEbbT6_jjT7_P12ihipStream_tbENKUlT_T0_SG_SL_E_clIS9_SA_SB_SB_EEDaSZ_S10_SG_SL_EUlSZ_E_NS1_11comp_targetILNS1_3genE0ELNS1_11target_archE4294967295ELNS1_3gpuE0ELNS1_3repE0EEENS1_47radix_sort_onesweep_sort_config_static_selectorELNS0_4arch9wavefront6targetE0EEEvSG_,@function
_ZN7rocprim17ROCPRIM_400000_NS6detail17trampoline_kernelINS0_14default_configENS1_35radix_sort_onesweep_config_selectorIlNS0_10empty_typeEEEZZNS1_29radix_sort_onesweep_iterationIS3_Lb1EPKlPlPS5_SB_mNS0_19identity_decomposerENS1_16block_id_wrapperIjLb0EEEEE10hipError_tT1_PNSt15iterator_traitsISG_E10value_typeET2_T3_PNSH_ISM_E10value_typeET4_T5_PSR_SS_PNS1_23onesweep_lookback_stateEbbT6_jjT7_P12ihipStream_tbENKUlT_T0_SG_SL_E_clIS9_SA_SB_SB_EEDaSZ_S10_SG_SL_EUlSZ_E_NS1_11comp_targetILNS1_3genE0ELNS1_11target_archE4294967295ELNS1_3gpuE0ELNS1_3repE0EEENS1_47radix_sort_onesweep_sort_config_static_selectorELNS0_4arch9wavefront6targetE0EEEvSG_: ; @_ZN7rocprim17ROCPRIM_400000_NS6detail17trampoline_kernelINS0_14default_configENS1_35radix_sort_onesweep_config_selectorIlNS0_10empty_typeEEEZZNS1_29radix_sort_onesweep_iterationIS3_Lb1EPKlPlPS5_SB_mNS0_19identity_decomposerENS1_16block_id_wrapperIjLb0EEEEE10hipError_tT1_PNSt15iterator_traitsISG_E10value_typeET2_T3_PNSH_ISM_E10value_typeET4_T5_PSR_SS_PNS1_23onesweep_lookback_stateEbbT6_jjT7_P12ihipStream_tbENKUlT_T0_SG_SL_E_clIS9_SA_SB_SB_EEDaSZ_S10_SG_SL_EUlSZ_E_NS1_11comp_targetILNS1_3genE0ELNS1_11target_archE4294967295ELNS1_3gpuE0ELNS1_3repE0EEENS1_47radix_sort_onesweep_sort_config_static_selectorELNS0_4arch9wavefront6targetE0EEEvSG_
; %bb.0:
	s_clause 0x3
	s_load_b96 s[20:22], s[0:1], 0x44
	s_load_b64 s[10:11], s[0:1], 0x38
	s_load_b128 s[16:19], s[0:1], 0x0
	s_load_b128 s[12:15], s[0:1], 0x28
	s_bfe_u32 s2, ttmp6, 0x4000c
	s_and_b32 s3, ttmp6, 15
	s_add_co_i32 s2, s2, 1
	s_getreg_b32 s4, hwreg(HW_REG_IB_STS2, 6, 4)
	s_mul_i32 s2, ttmp9, s2
	v_and_b32_e32 v32, 0x3ff, v0
	s_add_co_i32 s2, s3, s2
	s_cmp_eq_u32 s4, 0
	v_mbcnt_lo_u32_b32 v33, -1, 0
	s_cselect_b32 s9, ttmp9, s2
	s_mov_b32 s3, 0
	s_mov_b32 s2, -1
	s_add_nc_u64 s[24:25], s[0:1], 0x58
	s_wait_kmcnt 0x0
	s_cmp_ge_u32 s9, s22
	s_cbranch_scc0 .LBB1114_66
; %bb.1:
	v_dual_lshlrev_b32 v2, 3, v32 :: v_dual_lshlrev_b32 v6, 3, v33
	s_load_b32 s4, s[0:1], 0x20
	s_lshl_b32 s2, s9, 12
	v_mov_b64_e32 v[4:5], -1
	s_delay_alu instid0(VALU_DEP_2) | instskip(SKIP_2) | instid1(SALU_CYCLE_1)
	v_and_b32_e32 v1, 0xf00, v2
	v_mov_b32_e32 v7, 0
	s_lshl_b64 s[2:3], s[2:3], 3
	s_add_nc_u64 s[2:3], s[16:17], s[2:3]
	s_delay_alu instid0(VALU_DEP_1) | instid1(SALU_CYCLE_1)
	v_add_nc_u64_e32 v[8:9], s[2:3], v[6:7]
	v_dual_lshlrev_b32 v6, 3, v1 :: v_dual_bitop2_b32 v1, v33, v1 bitop3:0x54
	s_lshl_b32 s2, s22, 12
	s_delay_alu instid0(VALU_DEP_1)
	v_add_nc_u64_e32 v[20:21], v[8:9], v[6:7]
	v_mov_b64_e32 v[6:7], -1
	s_wait_kmcnt 0x0
	s_sub_co_i32 s22, s4, s2
	s_mov_b32 s2, exec_lo
	v_cmpx_gt_u32_e64 s22, v1
	s_cbranch_execz .LBB1114_3
; %bb.2:
	global_load_b64 v[6:7], v[20:21], off
	s_wait_loadcnt 0x0
	v_xor_b32_e32 v7, 0x7fffffff, v7
	v_not_b32_e32 v6, v6
.LBB1114_3:
	s_or_b32 exec_lo, exec_lo, s2
	v_or_b32_e32 v3, 32, v1
	s_mov_b32 s2, exec_lo
	s_delay_alu instid0(VALU_DEP_1)
	v_cmpx_gt_u32_e64 s22, v3
	s_cbranch_execz .LBB1114_5
; %bb.4:
	global_load_b64 v[4:5], v[20:21], off offset:256
	s_wait_loadcnt 0x0
	v_xor_b32_e32 v5, 0x7fffffff, v5
	v_not_b32_e32 v4, v4
.LBB1114_5:
	s_or_b32 exec_lo, exec_lo, s2
	v_mov_b64_e32 v[8:9], -1
	v_mov_b64_e32 v[10:11], -1
	v_or_b32_e32 v3, 64, v1
	s_mov_b32 s2, exec_lo
	s_delay_alu instid0(VALU_DEP_1)
	v_cmpx_gt_u32_e64 s22, v3
	s_cbranch_execz .LBB1114_7
; %bb.6:
	global_load_b64 v[10:11], v[20:21], off offset:512
	s_wait_loadcnt 0x0
	v_xor_b32_e32 v11, 0x7fffffff, v11
	v_not_b32_e32 v10, v10
.LBB1114_7:
	s_or_b32 exec_lo, exec_lo, s2
	v_or_b32_e32 v3, 0x60, v1
	s_mov_b32 s2, exec_lo
	s_delay_alu instid0(VALU_DEP_1)
	v_cmpx_gt_u32_e64 s22, v3
	s_cbranch_execz .LBB1114_9
; %bb.8:
	global_load_b64 v[8:9], v[20:21], off offset:768
	s_wait_loadcnt 0x0
	v_xor_b32_e32 v9, 0x7fffffff, v9
	v_not_b32_e32 v8, v8
.LBB1114_9:
	s_or_b32 exec_lo, exec_lo, s2
	v_mov_b64_e32 v[12:13], -1
	v_mov_b64_e32 v[14:15], -1
	v_or_b32_e32 v3, 0x80, v1
	s_mov_b32 s2, exec_lo
	s_delay_alu instid0(VALU_DEP_1)
	v_cmpx_gt_u32_e64 s22, v3
	s_cbranch_execz .LBB1114_11
; %bb.10:
	global_load_b64 v[14:15], v[20:21], off offset:1024
	s_wait_loadcnt 0x0
	v_xor_b32_e32 v15, 0x7fffffff, v15
	v_not_b32_e32 v14, v14
.LBB1114_11:
	s_or_b32 exec_lo, exec_lo, s2
	v_or_b32_e32 v3, 0xa0, v1
	s_mov_b32 s2, exec_lo
	s_delay_alu instid0(VALU_DEP_1)
	v_cmpx_gt_u32_e64 s22, v3
	s_cbranch_execz .LBB1114_13
; %bb.12:
	global_load_b64 v[12:13], v[20:21], off offset:1280
	s_wait_loadcnt 0x0
	v_xor_b32_e32 v13, 0x7fffffff, v13
	v_not_b32_e32 v12, v12
.LBB1114_13:
	s_or_b32 exec_lo, exec_lo, s2
	v_mov_b64_e32 v[16:17], -1
	v_mov_b64_e32 v[18:19], -1
	v_or_b32_e32 v3, 0xc0, v1
	s_mov_b32 s2, exec_lo
	s_delay_alu instid0(VALU_DEP_1)
	v_cmpx_gt_u32_e64 s22, v3
	s_cbranch_execz .LBB1114_15
; %bb.14:
	global_load_b64 v[18:19], v[20:21], off offset:1536
	s_wait_loadcnt 0x0
	v_xor_b32_e32 v19, 0x7fffffff, v19
	v_not_b32_e32 v18, v18
.LBB1114_15:
	s_or_b32 exec_lo, exec_lo, s2
	v_or_b32_e32 v1, 0xe0, v1
	s_mov_b32 s2, exec_lo
	s_delay_alu instid0(VALU_DEP_1)
	v_cmpx_gt_u32_e64 s22, v1
	s_cbranch_execz .LBB1114_17
; %bb.16:
	global_load_b64 v[16:17], v[20:21], off offset:1792
	s_wait_loadcnt 0x0
	v_xor_b32_e32 v17, 0x7fffffff, v17
	v_not_b32_e32 v16, v16
.LBB1114_17:
	s_or_b32 exec_lo, exec_lo, s2
	s_clause 0x1
	s_load_b32 s23, s[0:1], 0x58
	s_load_u16 s4, s[0:1], 0x66
	v_lshrrev_b64 v[20:21], s20, v[6:7]
	v_bfe_u32 v1, v0, 10, 10
	v_bfe_u32 v3, v0, 20, 10
	s_mov_b32 s3, 0
	s_wait_kmcnt 0x0
	s_cmp_lt_u32 s9, s23
	s_delay_alu instid0(VALU_DEP_1)
	v_mad_u32_u24 v1, v3, s4, v1
	s_cselect_b32 s2, 12, 18
	s_lshl_b32 s26, -1, s21
	s_add_nc_u64 s[2:3], s[24:25], s[2:3]
	v_bitop3_b32 v3, v20, 1, s26 bitop3:0x40
	s_load_u16 s27, s[2:3], 0x0
	v_bitop3_b32 v22, v20, s26, v20 bitop3:0x30
	s_wait_xcnt 0x0
	s_delay_alu instid0(VALU_DEP_2) | instskip(NEXT) | instid1(VALU_DEP_1)
	v_add_co_u32 v3, s2, v3, -1
	v_cndmask_b32_e64 v20, 0, 1, s2
	s_delay_alu instid0(VALU_DEP_3) | instskip(SKIP_1) | instid1(VALU_DEP_3)
	v_dual_lshlrev_b32 v21, 30, v22 :: v_dual_lshlrev_b32 v23, 29, v22
	v_dual_lshlrev_b32 v24, 28, v22 :: v_dual_lshlrev_b32 v25, 27, v22
	v_cmp_ne_u32_e32 vcc_lo, 0, v20
	s_delay_alu instid0(VALU_DEP_3)
	v_not_b32_e32 v20, v21
	v_dual_lshlrev_b32 v26, 26, v22 :: v_dual_lshlrev_b32 v27, 25, v22
	v_lshlrev_b32_e32 v28, 24, v22
	v_cmp_gt_i32_e64 s2, 0, v21
	v_cmp_gt_i32_e64 s3, 0, v23
	v_not_b32_e32 v21, v23
	v_not_b32_e32 v23, v24
	v_ashrrev_i32_e32 v20, 31, v20
	s_wait_kmcnt 0x0
	v_mad_u32 v1, v1, s27, v32
	v_cmp_gt_i32_e64 s4, 0, v24
	v_cmp_gt_i32_e64 s5, 0, v25
	v_not_b32_e32 v24, v25
	v_not_b32_e32 v25, v26
	v_dual_ashrrev_i32 v21, 31, v21 :: v_dual_bitop2_b32 v3, vcc_lo, v3 bitop3:0x14
	s_delay_alu instid0(VALU_DEP_3) | instskip(NEXT) | instid1(VALU_DEP_3)
	v_dual_ashrrev_i32 v23, 31, v23 :: v_dual_ashrrev_i32 v24, 31, v24
	v_dual_ashrrev_i32 v25, 31, v25 :: v_dual_bitop2_b32 v20, s2, v20 bitop3:0x14
	v_cmp_gt_i32_e64 s6, 0, v26
	v_cmp_gt_i32_e64 s7, 0, v27
	v_not_b32_e32 v26, v27
	v_not_b32_e32 v27, v28
	v_xor_b32_e32 v21, s3, v21
	v_dual_lshrrev_b32 v1, 5, v1 :: v_dual_bitop2_b32 v23, s4, v23 bitop3:0x14
	v_bitop3_b32 v3, v3, v20, exec_lo bitop3:0x80
	v_cmp_gt_i32_e64 s8, 0, v28
	v_dual_ashrrev_i32 v20, 31, v26 :: v_dual_ashrrev_i32 v26, 31, v27
	v_xor_b32_e32 v24, s5, v24
	v_xor_b32_e32 v25, s6, v25
	v_bitop3_b32 v3, v3, v23, v21 bitop3:0x80
	s_delay_alu instid0(VALU_DEP_4) | instskip(SKIP_1) | instid1(VALU_DEP_3)
	v_dual_mov_b32 v23, 0 :: v_dual_bitop2_b32 v21, s7, v20 bitop3:0x14
	v_dual_lshlrev_b32 v20, 2, v1 :: v_dual_bitop2_b32 v26, s8, v26 bitop3:0x14
	v_bitop3_b32 v24, v3, v25, v24 bitop3:0x80
	v_mul_u32_u24_e32 v3, 36, v32
	s_not_b32 s6, s26
	s_delay_alu instid0(VALU_DEP_3)
	v_mad_u32 v28, 0x44, v22, v20
	ds_store_2addr_b32 v3, v23, v23 offset0:16 offset1:17
	ds_store_2addr_b32 v3, v23, v23 offset0:18 offset1:19
	;; [unrolled: 1-line block ×4, first 2 shown]
	v_bitop3_b32 v21, v24, v26, v21 bitop3:0x80
	ds_store_b32 v3, v23 offset:96
	s_wait_dscnt 0x0
	s_barrier_signal -1
	s_barrier_wait -1
	v_mbcnt_lo_u32_b32 v1, v21, 0
	v_cmp_ne_u32_e64 s2, 0, v21
	; wave barrier
	s_delay_alu instid0(VALU_DEP_2) | instskip(SKIP_1) | instid1(SALU_CYCLE_1)
	v_cmp_eq_u32_e32 vcc_lo, 0, v1
	s_and_b32 s3, s2, vcc_lo
	s_and_saveexec_b32 s2, s3
; %bb.18:
	v_bcnt_u32_b32 v21, v21, 0
	ds_store_b32 v28, v21 offset:64
; %bb.19:
	s_or_b32 exec_lo, exec_lo, s2
	v_lshrrev_b64 v[22:23], s20, v[4:5]
	; wave barrier
	s_delay_alu instid0(VALU_DEP_1) | instskip(SKIP_1) | instid1(VALU_DEP_2)
	v_and_b32_e32 v21, s6, v22
	v_bitop3_b32 v22, v22, 1, s6 bitop3:0x80
	v_lshlrev_b32_e32 v24, 30, v21
	s_delay_alu instid0(VALU_DEP_2) | instskip(NEXT) | instid1(VALU_DEP_1)
	v_add_co_u32 v22, s2, v22, -1
	v_cndmask_b32_e64 v23, 0, 1, s2
	s_delay_alu instid0(VALU_DEP_1) | instskip(NEXT) | instid1(VALU_DEP_4)
	v_cmp_ne_u32_e32 vcc_lo, 0, v23
	v_not_b32_e32 v23, v24
	s_delay_alu instid0(VALU_DEP_1) | instskip(SKIP_4) | instid1(VALU_DEP_4)
	v_dual_ashrrev_i32 v23, 31, v23 :: v_dual_bitop2_b32 v22, vcc_lo, v22 bitop3:0x14
	v_dual_lshlrev_b32 v25, 29, v21 :: v_dual_lshlrev_b32 v26, 28, v21
	v_lshlrev_b32_e32 v27, 27, v21
	v_cmp_gt_i32_e64 s2, 0, v24
	v_mad_u32 v29, 0x44, v21, v20
	v_cmp_gt_i32_e64 s3, 0, v25
	v_not_b32_e32 v24, v25
	v_not_b32_e32 v25, v26
	v_dual_lshlrev_b32 v30, 26, v21 :: v_dual_lshlrev_b32 v31, 25, v21
	v_lshlrev_b32_e32 v21, 24, v21
	v_cmp_gt_i32_e64 s4, 0, v26
	v_not_b32_e32 v26, v27
	v_dual_ashrrev_i32 v24, 31, v24 :: v_dual_ashrrev_i32 v25, 31, v25
	v_xor_b32_e32 v23, s2, v23
	v_cmp_gt_i32_e64 s5, 0, v27
	v_not_b32_e32 v27, v30
	s_delay_alu instid0(VALU_DEP_4)
	v_dual_ashrrev_i32 v26, 31, v26 :: v_dual_bitop2_b32 v24, s3, v24 bitop3:0x14
	v_xor_b32_e32 v25, s4, v25
	v_bitop3_b32 v22, v22, v23, exec_lo bitop3:0x80
	v_cmp_gt_i32_e32 vcc_lo, 0, v30
	v_ashrrev_i32_e32 v23, 31, v27
	v_not_b32_e32 v27, v31
	v_xor_b32_e32 v26, s5, v26
	v_bitop3_b32 v22, v22, v25, v24 bitop3:0x80
	v_not_b32_e32 v24, v21
	v_xor_b32_e32 v23, vcc_lo, v23
	v_cmp_gt_i32_e32 vcc_lo, 0, v31
	v_ashrrev_i32_e32 v25, 31, v27
	v_cmp_gt_i32_e64 s2, 0, v21
	v_ashrrev_i32_e32 v21, 31, v24
	v_bitop3_b32 v22, v22, v23, v26 bitop3:0x80
	ds_load_b32 v34, v29 offset:64
	v_xor_b32_e32 v23, vcc_lo, v25
	v_xor_b32_e32 v21, s2, v21
	; wave barrier
	s_delay_alu instid0(VALU_DEP_1) | instskip(NEXT) | instid1(VALU_DEP_1)
	v_bitop3_b32 v21, v22, v21, v23 bitop3:0x80
	v_mbcnt_lo_u32_b32 v35, v21, 0
	v_cmp_ne_u32_e64 s2, 0, v21
	s_delay_alu instid0(VALU_DEP_2) | instskip(SKIP_1) | instid1(SALU_CYCLE_1)
	v_cmp_eq_u32_e32 vcc_lo, 0, v35
	s_and_b32 s3, s2, vcc_lo
	s_and_saveexec_b32 s2, s3
	s_cbranch_execz .LBB1114_21
; %bb.20:
	s_wait_dscnt 0x0
	v_bcnt_u32_b32 v21, v21, v34
	ds_store_b32 v29, v21 offset:64
.LBB1114_21:
	s_or_b32 exec_lo, exec_lo, s2
	v_lshrrev_b64 v[22:23], s20, v[10:11]
	; wave barrier
	s_delay_alu instid0(VALU_DEP_1) | instskip(SKIP_1) | instid1(VALU_DEP_2)
	v_and_b32_e32 v21, s6, v22
	v_bitop3_b32 v22, v22, 1, s6 bitop3:0x80
	v_lshlrev_b32_e32 v24, 30, v21
	s_delay_alu instid0(VALU_DEP_2) | instskip(NEXT) | instid1(VALU_DEP_1)
	v_add_co_u32 v22, s2, v22, -1
	v_cndmask_b32_e64 v23, 0, 1, s2
	s_delay_alu instid0(VALU_DEP_1) | instskip(NEXT) | instid1(VALU_DEP_4)
	v_cmp_ne_u32_e32 vcc_lo, 0, v23
	v_not_b32_e32 v23, v24
	s_delay_alu instid0(VALU_DEP_1) | instskip(SKIP_4) | instid1(VALU_DEP_4)
	v_dual_ashrrev_i32 v23, 31, v23 :: v_dual_bitop2_b32 v22, vcc_lo, v22 bitop3:0x14
	v_dual_lshlrev_b32 v25, 29, v21 :: v_dual_lshlrev_b32 v26, 28, v21
	v_lshlrev_b32_e32 v27, 27, v21
	v_cmp_gt_i32_e64 s2, 0, v24
	v_mad_u32 v30, 0x44, v21, v20
	v_cmp_gt_i32_e64 s3, 0, v25
	v_not_b32_e32 v24, v25
	v_not_b32_e32 v25, v26
	v_dual_lshlrev_b32 v31, 26, v21 :: v_dual_lshlrev_b32 v36, 25, v21
	v_lshlrev_b32_e32 v21, 24, v21
	v_cmp_gt_i32_e64 s4, 0, v26
	v_not_b32_e32 v26, v27
	v_dual_ashrrev_i32 v24, 31, v24 :: v_dual_ashrrev_i32 v25, 31, v25
	v_xor_b32_e32 v23, s2, v23
	v_cmp_gt_i32_e64 s5, 0, v27
	v_not_b32_e32 v27, v31
	s_delay_alu instid0(VALU_DEP_4)
	v_dual_ashrrev_i32 v26, 31, v26 :: v_dual_bitop2_b32 v24, s3, v24 bitop3:0x14
	v_xor_b32_e32 v25, s4, v25
	v_bitop3_b32 v22, v22, v23, exec_lo bitop3:0x80
	v_cmp_gt_i32_e32 vcc_lo, 0, v31
	v_ashrrev_i32_e32 v23, 31, v27
	v_not_b32_e32 v27, v36
	v_xor_b32_e32 v26, s5, v26
	v_bitop3_b32 v22, v22, v25, v24 bitop3:0x80
	v_not_b32_e32 v24, v21
	v_xor_b32_e32 v23, vcc_lo, v23
	v_cmp_gt_i32_e32 vcc_lo, 0, v36
	v_ashrrev_i32_e32 v25, 31, v27
	v_cmp_gt_i32_e64 s2, 0, v21
	v_ashrrev_i32_e32 v21, 31, v24
	v_bitop3_b32 v22, v22, v23, v26 bitop3:0x80
	ds_load_b32 v36, v30 offset:64
	v_xor_b32_e32 v23, vcc_lo, v25
	v_xor_b32_e32 v21, s2, v21
	; wave barrier
	s_delay_alu instid0(VALU_DEP_1) | instskip(NEXT) | instid1(VALU_DEP_1)
	v_bitop3_b32 v21, v22, v21, v23 bitop3:0x80
	v_mbcnt_lo_u32_b32 v37, v21, 0
	v_cmp_ne_u32_e64 s2, 0, v21
	s_delay_alu instid0(VALU_DEP_2) | instskip(SKIP_1) | instid1(SALU_CYCLE_1)
	v_cmp_eq_u32_e32 vcc_lo, 0, v37
	s_and_b32 s3, s2, vcc_lo
	s_and_saveexec_b32 s2, s3
	s_cbranch_execz .LBB1114_23
; %bb.22:
	s_wait_dscnt 0x0
	v_bcnt_u32_b32 v21, v21, v36
	ds_store_b32 v30, v21 offset:64
.LBB1114_23:
	;; [unrolled: 64-line block ×6, first 2 shown]
	s_or_b32 exec_lo, exec_lo, s2
	v_lshrrev_b64 v[22:23], s20, v[16:17]
	; wave barrier
	s_delay_alu instid0(VALU_DEP_1) | instskip(SKIP_1) | instid1(VALU_DEP_2)
	v_and_b32_e32 v21, s6, v22
	v_bitop3_b32 v22, v22, 1, s6 bitop3:0x80
	v_mad_u32 v51, 0x44, v21, v20
	s_delay_alu instid0(VALU_DEP_2) | instskip(NEXT) | instid1(VALU_DEP_1)
	v_add_co_u32 v20, s2, v22, -1
	v_cndmask_b32_e64 v22, 0, 1, s2
	v_lshlrev_b32_e32 v23, 30, v21
	s_delay_alu instid0(VALU_DEP_2) | instskip(NEXT) | instid1(VALU_DEP_2)
	v_cmp_ne_u32_e32 vcc_lo, 0, v22
	v_not_b32_e32 v22, v23
	s_delay_alu instid0(VALU_DEP_1) | instskip(SKIP_4) | instid1(VALU_DEP_4)
	v_dual_ashrrev_i32 v22, 31, v22 :: v_dual_bitop2_b32 v20, vcc_lo, v20 bitop3:0x14
	v_dual_lshlrev_b32 v24, 29, v21 :: v_dual_lshlrev_b32 v25, 28, v21
	v_lshlrev_b32_e32 v26, 27, v21
	v_cmp_gt_i32_e64 s2, 0, v23
	v_dual_lshlrev_b32 v27, 26, v21 :: v_dual_lshlrev_b32 v49, 25, v21
	v_cmp_gt_i32_e64 s3, 0, v24
	v_not_b32_e32 v23, v24
	v_not_b32_e32 v24, v25
	v_lshlrev_b32_e32 v21, 24, v21
	v_cmp_gt_i32_e64 s4, 0, v25
	v_not_b32_e32 v25, v26
	s_delay_alu instid0(VALU_DEP_4) | instskip(SKIP_3) | instid1(VALU_DEP_4)
	v_dual_ashrrev_i32 v23, 31, v23 :: v_dual_ashrrev_i32 v24, 31, v24
	v_xor_b32_e32 v22, s2, v22
	v_cmp_gt_i32_e64 s5, 0, v26
	v_not_b32_e32 v26, v27
	v_dual_ashrrev_i32 v25, 31, v25 :: v_dual_bitop2_b32 v23, s3, v23 bitop3:0x14
	v_xor_b32_e32 v24, s4, v24
	v_bitop3_b32 v20, v20, v22, exec_lo bitop3:0x80
	v_cmp_gt_i32_e32 vcc_lo, 0, v27
	v_ashrrev_i32_e32 v22, 31, v26
	v_not_b32_e32 v26, v49
	v_xor_b32_e32 v25, s5, v25
	v_bitop3_b32 v20, v20, v24, v23 bitop3:0x80
	v_not_b32_e32 v23, v21
	v_xor_b32_e32 v22, vcc_lo, v22
	v_cmp_gt_i32_e32 vcc_lo, 0, v49
	v_ashrrev_i32_e32 v24, 31, v26
	v_cmp_gt_i32_e64 s2, 0, v21
	v_ashrrev_i32_e32 v21, 31, v23
	v_bitop3_b32 v20, v20, v22, v25 bitop3:0x80
	ds_load_b32 v49, v51 offset:64
	v_xor_b32_e32 v22, vcc_lo, v24
	v_xor_b32_e32 v21, s2, v21
	; wave barrier
	s_delay_alu instid0(VALU_DEP_1) | instskip(NEXT) | instid1(VALU_DEP_1)
	v_bitop3_b32 v20, v20, v21, v22 bitop3:0x80
	v_mbcnt_lo_u32_b32 v50, v20, 0
	v_cmp_ne_u32_e64 s2, 0, v20
	s_delay_alu instid0(VALU_DEP_2) | instskip(SKIP_1) | instid1(SALU_CYCLE_1)
	v_cmp_eq_u32_e32 vcc_lo, 0, v50
	s_and_b32 s3, s2, vcc_lo
	s_and_saveexec_b32 s2, s3
	s_cbranch_execz .LBB1114_33
; %bb.32:
	s_wait_dscnt 0x0
	v_bcnt_u32_b32 v20, v20, v49
	ds_store_b32 v51, v20 offset:64
.LBB1114_33:
	s_or_b32 exec_lo, exec_lo, s2
	; wave barrier
	s_wait_dscnt 0x0
	s_barrier_signal -1
	s_barrier_wait -1
	ds_load_2addr_b32 v[26:27], v3 offset0:16 offset1:17
	ds_load_2addr_b32 v[24:25], v3 offset0:18 offset1:19
	;; [unrolled: 1-line block ×4, first 2 shown]
	ds_load_b32 v52, v3 offset:96
	v_bfe_i32 v55, v33, 4, 1
	s_mov_b32 s7, exec_lo
	s_wait_dscnt 0x3
	v_add3_u32 v53, v27, v26, v24
	s_wait_dscnt 0x2
	s_delay_alu instid0(VALU_DEP_1) | instskip(SKIP_1) | instid1(VALU_DEP_1)
	v_add3_u32 v53, v53, v25, v22
	s_wait_dscnt 0x1
	v_add3_u32 v53, v53, v23, v20
	s_wait_dscnt 0x0
	s_delay_alu instid0(VALU_DEP_1) | instskip(SKIP_1) | instid1(VALU_DEP_2)
	v_add3_u32 v52, v53, v21, v52
	v_and_b32_e32 v53, 15, v33
	v_mov_b32_dpp v54, v52 row_shr:1 row_mask:0xf bank_mask:0xf
	s_delay_alu instid0(VALU_DEP_2) | instskip(NEXT) | instid1(VALU_DEP_2)
	v_cmp_eq_u32_e32 vcc_lo, 0, v53
	v_cndmask_b32_e64 v54, v54, 0, vcc_lo
	s_delay_alu instid0(VALU_DEP_1) | instskip(SKIP_3) | instid1(VALU_DEP_4)
	v_add_nc_u32_e32 v52, v54, v52
	v_cmp_lt_u32_e64 s2, 1, v53
	v_cmp_lt_u32_e64 s3, 3, v53
	;; [unrolled: 1-line block ×3, first 2 shown]
	v_mov_b32_dpp v54, v52 row_shr:2 row_mask:0xf bank_mask:0xf
	s_delay_alu instid0(VALU_DEP_1) | instskip(NEXT) | instid1(VALU_DEP_1)
	v_cndmask_b32_e64 v54, 0, v54, s2
	v_add_nc_u32_e32 v52, v52, v54
	s_delay_alu instid0(VALU_DEP_1) | instskip(NEXT) | instid1(VALU_DEP_1)
	v_mov_b32_dpp v54, v52 row_shr:4 row_mask:0xf bank_mask:0xf
	v_cndmask_b32_e64 v54, 0, v54, s3
	s_delay_alu instid0(VALU_DEP_1) | instskip(NEXT) | instid1(VALU_DEP_1)
	v_add_nc_u32_e32 v52, v52, v54
	v_mov_b32_dpp v54, v52 row_shr:8 row_mask:0xf bank_mask:0xf
	s_delay_alu instid0(VALU_DEP_1) | instskip(SKIP_1) | instid1(VALU_DEP_2)
	v_cndmask_b32_e64 v53, 0, v54, s4
	v_and_b32_e32 v54, 0x3e0, v32
	v_add_nc_u32_e32 v52, v52, v53
	s_delay_alu instid0(VALU_DEP_2) | instskip(SKIP_3) | instid1(VALU_DEP_1)
	v_min_u32_e32 v54, 0x1e0, v54
	ds_swizzle_b32 v53, v52 offset:swizzle(BROADCAST,32,15)
	s_wait_dscnt 0x0
	v_dual_lshrrev_b32 v53, 5, v32 :: v_dual_bitop2_b32 v55, v55, v53 bitop3:0x40
	v_dual_add_nc_u32 v52, v52, v55 :: v_dual_bitop2_b32 v54, 31, v54 bitop3:0x54
	s_delay_alu instid0(VALU_DEP_1)
	v_cmpx_eq_u32_e64 v32, v54
; %bb.34:
	s_delay_alu instid0(VALU_DEP_3)
	v_lshlrev_b32_e32 v54, 2, v53
	ds_store_b32 v54, v52
; %bb.35:
	s_or_b32 exec_lo, exec_lo, s7
	s_delay_alu instid0(SALU_CYCLE_1)
	s_mov_b32 s7, exec_lo
	s_wait_dscnt 0x0
	s_barrier_signal -1
	s_barrier_wait -1
	v_cmpx_gt_u32_e32 16, v32
	s_cbranch_execz .LBB1114_37
; %bb.36:
	v_lshlrev_b32_e32 v54, 2, v32
	ds_load_b32 v55, v54
	s_wait_dscnt 0x0
	v_mov_b32_dpp v56, v55 row_shr:1 row_mask:0xf bank_mask:0xf
	s_delay_alu instid0(VALU_DEP_1) | instskip(NEXT) | instid1(VALU_DEP_1)
	v_cndmask_b32_e64 v56, v56, 0, vcc_lo
	v_add_nc_u32_e32 v55, v56, v55
	s_delay_alu instid0(VALU_DEP_1) | instskip(NEXT) | instid1(VALU_DEP_1)
	v_mov_b32_dpp v56, v55 row_shr:2 row_mask:0xf bank_mask:0xf
	v_cndmask_b32_e64 v56, 0, v56, s2
	s_delay_alu instid0(VALU_DEP_1) | instskip(NEXT) | instid1(VALU_DEP_1)
	v_add_nc_u32_e32 v55, v55, v56
	v_mov_b32_dpp v56, v55 row_shr:4 row_mask:0xf bank_mask:0xf
	s_delay_alu instid0(VALU_DEP_1) | instskip(NEXT) | instid1(VALU_DEP_1)
	v_cndmask_b32_e64 v56, 0, v56, s3
	v_add_nc_u32_e32 v55, v55, v56
	s_delay_alu instid0(VALU_DEP_1) | instskip(NEXT) | instid1(VALU_DEP_1)
	v_mov_b32_dpp v56, v55 row_shr:8 row_mask:0xf bank_mask:0xf
	v_cndmask_b32_e64 v56, 0, v56, s4
	s_delay_alu instid0(VALU_DEP_1)
	v_add_nc_u32_e32 v55, v55, v56
	ds_store_b32 v54, v55
.LBB1114_37:
	s_or_b32 exec_lo, exec_lo, s7
	v_mov_b32_e32 v54, 0
	s_mov_b32 s2, exec_lo
	s_wait_dscnt 0x0
	s_barrier_signal -1
	s_barrier_wait -1
	v_cmpx_lt_u32_e32 31, v32
; %bb.38:
	v_lshl_add_u32 v53, v53, 2, -4
	ds_load_b32 v54, v53
; %bb.39:
	s_or_b32 exec_lo, exec_lo, s2
	v_sub_co_u32 v53, vcc_lo, v33, 1
	s_wait_dscnt 0x0
	v_add_nc_u32_e32 v52, v54, v52
	s_delay_alu instid0(VALU_DEP_2) | instskip(NEXT) | instid1(VALU_DEP_1)
	v_cmp_gt_i32_e64 s2, 0, v53
	v_cndmask_b32_e64 v53, v53, v33, s2
	v_cmp_lt_u32_e64 s2, 0xff, v32
	s_delay_alu instid0(VALU_DEP_2) | instskip(SKIP_4) | instid1(VALU_DEP_2)
	v_lshlrev_b32_e32 v53, 2, v53
	ds_bpermute_b32 v52, v53, v52
	s_wait_dscnt 0x0
	v_cndmask_b32_e32 v52, v52, v54, vcc_lo
	v_cmp_ne_u32_e32 vcc_lo, 0, v32
	v_cndmask_b32_e32 v52, 0, v52, vcc_lo
	v_cmp_gt_u32_e32 vcc_lo, 0x100, v32
	s_delay_alu instid0(VALU_DEP_2) | instskip(NEXT) | instid1(VALU_DEP_1)
	v_add_nc_u32_e32 v26, v52, v26
	v_add_nc_u32_e32 v27, v26, v27
	s_delay_alu instid0(VALU_DEP_1) | instskip(NEXT) | instid1(VALU_DEP_1)
	v_add_nc_u32_e32 v24, v27, v24
	v_add_nc_u32_e32 v25, v24, v25
	s_delay_alu instid0(VALU_DEP_1) | instskip(NEXT) | instid1(VALU_DEP_1)
	;; [unrolled: 3-line block ×3, first 2 shown]
	v_add_nc_u32_e32 v20, v23, v20
	v_add_nc_u32_e32 v21, v20, v21
	ds_store_2addr_b32 v3, v52, v26 offset0:16 offset1:17
	ds_store_2addr_b32 v3, v27, v24 offset0:18 offset1:19
	;; [unrolled: 1-line block ×4, first 2 shown]
	ds_store_b32 v3, v21 offset:96
	s_wait_dscnt 0x0
	s_barrier_signal -1
	s_barrier_wait -1
	ds_load_b32 v54, v28 offset:64
	ds_load_b32 v23, v29 offset:64
	;; [unrolled: 1-line block ×8, first 2 shown]
	v_mov_b64_e32 v[20:21], 0
                                        ; implicit-def: $vgpr22
	s_and_saveexec_b32 s4, vcc_lo
	s_cbranch_execz .LBB1114_43
; %bb.40:
	v_mul_u32_u24_e32 v3, 0x44, v32
	v_add_nc_u32_e32 v21, 1, v32
	s_mov_b32 s5, exec_lo
	ds_load_b32 v20, v3 offset:64
	v_mov_b32_e32 v3, 0x1000
	v_cmpx_ne_u32_e32 0x100, v21
; %bb.41:
	v_mul_u32_u24_e32 v3, 0x44, v21
	ds_load_b32 v3, v3 offset:64
; %bb.42:
	s_or_b32 exec_lo, exec_lo, s5
	s_wait_dscnt 0x0
	v_dual_mov_b32 v21, 0 :: v_dual_sub_nc_u32 v22, v3, v20
.LBB1114_43:
	s_or_b32 exec_lo, exec_lo, s4
	v_mov_b32_e32 v25, 0
	s_wait_dscnt 0x0
	s_barrier_signal -1
	s_barrier_wait -1
	s_and_saveexec_b32 s3, vcc_lo
	s_cbranch_execz .LBB1114_53
; %bb.44:
	v_lshl_add_u32 v24, s9, 8, v32
	v_dual_mov_b32 v28, 0 :: v_dual_bitop2_b32 v3, 2.0, v22 bitop3:0x54
	s_mov_b32 s4, 0
	s_mov_b32 s5, s9
	s_delay_alu instid0(VALU_DEP_2)
	v_lshl_add_u64 v[26:27], v[24:25], 2, s[10:11]
	global_store_b32 v24, v3, s[10:11] scale_offset scope:SCOPE_DEV
                                        ; implicit-def: $sgpr7
	s_branch .LBB1114_47
.LBB1114_45:                            ;   in Loop: Header=BB1114_47 Depth=1
	s_or_b32 exec_lo, exec_lo, s8
.LBB1114_46:                            ;   in Loop: Header=BB1114_47 Depth=1
	s_delay_alu instid0(SALU_CYCLE_1) | instskip(SKIP_2) | instid1(VALU_DEP_2)
	s_or_b32 exec_lo, exec_lo, s7
	v_and_b32_e32 v24, 0x3fffffff, v3
	v_cmp_gt_i32_e64 s7, -2.0, v3
	v_add_nc_u32_e32 v28, v24, v28
	s_and_b32 s8, exec_lo, s7
	s_delay_alu instid0(SALU_CYCLE_1) | instskip(NEXT) | instid1(SALU_CYCLE_1)
	s_or_b32 s4, s8, s4
	s_and_not1_b32 exec_lo, exec_lo, s4
	s_cbranch_execz .LBB1114_52
.LBB1114_47:                            ; =>This Loop Header: Depth=1
                                        ;     Child Loop BB1114_50 Depth 2
	s_or_b32 s7, s7, exec_lo
	s_cmp_eq_u32 s5, 0
	s_cbranch_scc1 .LBB1114_51
; %bb.48:                               ;   in Loop: Header=BB1114_47 Depth=1
	s_add_co_i32 s5, s5, -1
	s_mov_b32 s7, exec_lo
	s_wait_xcnt 0x0
	v_lshl_or_b32 v24, s5, 8, v32
	global_load_b32 v3, v24, s[10:11] scale_offset scope:SCOPE_DEV
	s_wait_loadcnt 0x0
	v_cmpx_gt_u32_e32 2.0, v3
	s_cbranch_execz .LBB1114_46
; %bb.49:                               ;   in Loop: Header=BB1114_47 Depth=1
	v_lshl_add_u64 v[30:31], v[24:25], 2, s[10:11]
	s_mov_b32 s8, 0
.LBB1114_50:                            ;   Parent Loop BB1114_47 Depth=1
                                        ; =>  This Inner Loop Header: Depth=2
	global_load_b32 v3, v[30:31], off scope:SCOPE_DEV
	s_wait_loadcnt 0x0
	v_cmp_lt_u32_e32 vcc_lo, 0x3fffffff, v3
	s_or_b32 s8, vcc_lo, s8
	s_wait_xcnt 0x0
	s_and_not1_b32 exec_lo, exec_lo, s8
	s_cbranch_execnz .LBB1114_50
	s_branch .LBB1114_45
.LBB1114_51:                            ;   in Loop: Header=BB1114_47 Depth=1
                                        ; implicit-def: $sgpr5
	s_and_b32 s8, exec_lo, s7
	s_delay_alu instid0(SALU_CYCLE_1)
	s_or_b32 s4, s8, s4
	s_wait_xcnt 0x0
	s_and_not1_b32 exec_lo, exec_lo, s4
	s_cbranch_execnz .LBB1114_47
.LBB1114_52:
	s_or_b32 exec_lo, exec_lo, s4
	v_dual_add_nc_u32 v3, v28, v22 :: v_dual_mov_b32 v29, 0
	s_delay_alu instid0(VALU_DEP_1)
	v_or_b32_e32 v3, 0x80000000, v3
	global_store_b32 v[26:27], v3, off scope:SCOPE_DEV
	global_load_b64 v[24:25], v32, s[12:13] scale_offset
	s_wait_xcnt 0x1
	v_sub_nc_u64_e32 v[26:27], v[28:29], v[20:21]
	s_wait_loadcnt 0x0
	s_delay_alu instid0(VALU_DEP_1)
	v_add_nc_u64_e32 v[24:25], v[26:27], v[24:25]
	ds_store_b64 v2, v[24:25]
.LBB1114_53:
	s_wait_xcnt 0x0
	s_or_b32 exec_lo, exec_lo, s3
	v_dual_mov_b32 v3, 0 :: v_dual_add_nc_u32 v1, v54, v1
	v_add3_u32 v26, v47, v48, v46
	v_add3_u32 v27, v44, v45, v42
	;; [unrolled: 1-line block ×3, first 2 shown]
	s_delay_alu instid0(VALU_DEP_4)
	v_add_nc_u64_e32 v[24:25], s[18:19], v[2:3]
	v_add3_u32 v3, v50, v51, v49
	v_add3_u32 v29, v39, v53, v38
	v_add3_u32 v30, v37, v52, v36
	v_add3_u32 v23, v35, v23, v34
	v_mov_b32_e32 v31, v32
	s_mov_b32 s4, -1
	v_add_nc_u64_e32 v[24:25], 0x3000, v[24:25]
	s_mov_b32 s3, 0
	s_branch .LBB1114_55
.LBB1114_54:                            ;   in Loop: Header=BB1114_55 Depth=1
	s_wait_xcnt 0x0
	s_or_b32 exec_lo, exec_lo, s5
	v_add_nc_u64_e32 v[24:25], 0x4000, v[24:25]
	v_add_nc_u32_e32 v31, 0x800, v31
	s_xor_b32 s4, s4, -1
	s_addk_co_i32 s3, 0xf800
	s_and_b32 vcc_lo, exec_lo, s4
	s_mov_b32 s4, 0
	s_wait_storecnt 0x0
	s_barrier_signal -1
	s_barrier_wait -1
	s_cbranch_vccnz .LBB1114_63
.LBB1114_55:                            ; =>This Inner Loop Header: Depth=1
	v_add_min_u32_e64 v34, v1, s3, 0x800
	v_add_min_u32_e64 v35, v23, s3, 0x800
	;; [unrolled: 1-line block ×5, first 2 shown]
	s_delay_alu instid0(VALU_DEP_4) | instskip(NEXT) | instid1(VALU_DEP_3)
	v_dual_lshlrev_b32 v34, 3, v34 :: v_dual_lshlrev_b32 v35, 3, v35
	v_dual_lshlrev_b32 v36, 3, v36 :: v_dual_lshlrev_b32 v37, 3, v37
	s_mov_b32 s5, exec_lo
	ds_store_b64 v34, v[6:7] offset:2048
	ds_store_b64 v35, v[4:5] offset:2048
	;; [unrolled: 1-line block ×3, first 2 shown]
	v_add_min_u32_e64 v34, v27, s3, 0x800
	v_add_min_u32_e64 v35, v26, s3, 0x800
	;; [unrolled: 1-line block ×3, first 2 shown]
	v_lshlrev_b32_e32 v38, 3, v38
	s_delay_alu instid0(VALU_DEP_3) | instskip(NEXT) | instid1(VALU_DEP_3)
	v_dual_lshlrev_b32 v34, 3, v34 :: v_dual_lshlrev_b32 v35, 3, v35
	v_lshlrev_b32_e32 v36, 3, v36
	ds_store_b64 v37, v[8:9] offset:2048
	ds_store_b64 v38, v[14:15] offset:2048
	;; [unrolled: 1-line block ×5, first 2 shown]
	s_wait_storecnt_dscnt 0x0
	s_barrier_signal -1
	s_barrier_wait -1
	v_cmpx_gt_u32_e64 s22, v31
	s_cbranch_execz .LBB1114_57
; %bb.56:                               ;   in Loop: Header=BB1114_55 Depth=1
	ds_load_b64 v[34:35], v2 offset:2048
	s_wait_dscnt 0x0
	v_lshrrev_b64 v[36:37], s20, v[34:35]
	v_xor_b32_e32 v35, 0x7fffffff, v35
	v_not_b32_e32 v34, v34
	s_delay_alu instid0(VALU_DEP_3) | instskip(NEXT) | instid1(VALU_DEP_1)
	v_and_b32_e32 v36, s6, v36
	v_lshlrev_b32_e32 v36, 3, v36
	ds_load_b64 v[36:37], v36
	s_wait_dscnt 0x0
	v_lshl_add_u64 v[36:37], v[36:37], 3, v[24:25]
	global_store_b64 v[36:37], v[34:35], off offset:-12288
.LBB1114_57:                            ;   in Loop: Header=BB1114_55 Depth=1
	s_wait_xcnt 0x0
	s_or_b32 exec_lo, exec_lo, s5
	v_add_nc_u32_e32 v34, 0x200, v31
	s_mov_b32 s5, exec_lo
	s_delay_alu instid0(VALU_DEP_1)
	v_cmpx_gt_u32_e64 s22, v34
	s_cbranch_execz .LBB1114_59
; %bb.58:                               ;   in Loop: Header=BB1114_55 Depth=1
	ds_load_b64 v[34:35], v2 offset:6144
	s_wait_dscnt 0x0
	v_lshrrev_b64 v[36:37], s20, v[34:35]
	v_xor_b32_e32 v35, 0x7fffffff, v35
	v_not_b32_e32 v34, v34
	s_delay_alu instid0(VALU_DEP_3) | instskip(NEXT) | instid1(VALU_DEP_1)
	v_and_b32_e32 v36, s6, v36
	v_lshlrev_b32_e32 v36, 3, v36
	ds_load_b64 v[36:37], v36
	s_wait_dscnt 0x0
	v_lshl_add_u64 v[36:37], v[36:37], 3, v[24:25]
	global_store_b64 v[36:37], v[34:35], off offset:-8192
.LBB1114_59:                            ;   in Loop: Header=BB1114_55 Depth=1
	s_wait_xcnt 0x0
	s_or_b32 exec_lo, exec_lo, s5
	v_add_nc_u32_e32 v34, 0x400, v31
	s_mov_b32 s5, exec_lo
	s_delay_alu instid0(VALU_DEP_1)
	;; [unrolled: 21-line block ×3, first 2 shown]
	v_cmpx_gt_u32_e64 s22, v34
	s_cbranch_execz .LBB1114_54
; %bb.62:                               ;   in Loop: Header=BB1114_55 Depth=1
	ds_load_b64 v[34:35], v2 offset:14336
	s_wait_dscnt 0x0
	v_lshrrev_b64 v[36:37], s20, v[34:35]
	v_xor_b32_e32 v35, 0x7fffffff, v35
	v_not_b32_e32 v34, v34
	s_delay_alu instid0(VALU_DEP_3) | instskip(NEXT) | instid1(VALU_DEP_1)
	v_and_b32_e32 v36, s6, v36
	v_lshlrev_b32_e32 v36, 3, v36
	ds_load_b64 v[36:37], v36
	s_wait_dscnt 0x0
	v_lshl_add_u64 v[36:37], v[36:37], 3, v[24:25]
	global_store_b64 v[36:37], v[34:35], off
	s_branch .LBB1114_54
.LBB1114_63:
	s_add_co_i32 s23, s23, -1
	s_delay_alu instid0(SALU_CYCLE_1) | instskip(SKIP_2) | instid1(SALU_CYCLE_1)
	s_cmp_eq_u32 s9, s23
	s_cselect_b32 s3, -1, 0
	s_xor_b32 s2, s2, -1
	s_and_b32 s3, s2, s3
	s_delay_alu instid0(SALU_CYCLE_1)
	s_and_saveexec_b32 s2, s3
	s_cbranch_execz .LBB1114_65
; %bb.64:
	ds_load_b64 v[2:3], v2
	v_mov_b32_e32 v23, 0
	s_delay_alu instid0(VALU_DEP_1) | instskip(SKIP_1) | instid1(VALU_DEP_1)
	v_add_nc_u64_e32 v[4:5], v[20:21], v[22:23]
	s_wait_dscnt 0x0
	v_add_nc_u64_e32 v[2:3], v[4:5], v[2:3]
	global_store_b64 v32, v[2:3], s[14:15] scale_offset
.LBB1114_65:
	s_wait_xcnt 0x0
	s_or_b32 exec_lo, exec_lo, s2
	s_mov_b32 s2, 0
.LBB1114_66:
	s_delay_alu instid0(SALU_CYCLE_1)
	s_and_b32 vcc_lo, exec_lo, s2
	s_cbranch_vccz .LBB1114_107
; %bb.67:
	s_lshl_b32 s2, s9, 12
	s_mov_b32 s3, 0
	v_dual_mov_b32 v19, 0 :: v_dual_lshlrev_b32 v18, 3, v33
	s_lshl_b64 s[4:5], s[2:3], 3
	v_lshlrev_b32_e32 v1, 6, v32
	s_add_nc_u64 s[4:5], s[16:17], s[4:5]
	s_delay_alu instid0(VALU_DEP_2) | instid1(SALU_CYCLE_1)
	v_add_nc_u64_e32 v[2:3], s[4:5], v[18:19]
	s_delay_alu instid0(VALU_DEP_2) | instskip(NEXT) | instid1(VALU_DEP_1)
	v_and_b32_e32 v18, 0x7800, v1
	v_add_nc_u64_e32 v[2:3], v[2:3], v[18:19]
	v_bfe_u32 v18, v0, 10, 10
	s_clause 0x7
	global_load_b64 v[20:21], v[2:3], off
	global_load_b64 v[16:17], v[2:3], off offset:256
	global_load_b64 v[4:5], v[2:3], off offset:512
	;; [unrolled: 1-line block ×7, first 2 shown]
	s_clause 0x1
	s_load_b32 s7, s[0:1], 0x58
	s_load_u16 s4, s[0:1], 0x66
	s_wait_kmcnt 0x0
	s_cmp_lt_u32 s9, s7
	s_cselect_b32 s2, 12, 18
	s_lshl_b32 s8, -1, s21
	s_add_nc_u64 s[0:1], s[24:25], s[2:3]
	s_load_u16 s0, s[0:1], 0x0
	s_wait_loadcnt 0x7
	v_xor_b32_e32 v3, 0x7fffffff, v21
	v_not_b32_e32 v2, v20
	v_bfe_u32 v20, v0, 20, 10
	s_delay_alu instid0(VALU_DEP_2) | instskip(NEXT) | instid1(VALU_DEP_2)
	v_lshrrev_b64 v[0:1], s20, v[2:3]
	v_mad_u32_u24 v1, v20, s4, v18
	s_delay_alu instid0(VALU_DEP_2) | instskip(SKIP_2) | instid1(VALU_DEP_3)
	v_bitop3_b32 v18, v0, 1, s8 bitop3:0x40
	v_bitop3_b32 v20, v0, s8, v0 bitop3:0x30
	s_wait_kmcnt 0x0
	v_mad_u32 v0, v1, s0, v32
	s_delay_alu instid0(VALU_DEP_3) | instskip(NEXT) | instid1(VALU_DEP_1)
	v_add_co_u32 v1, s0, v18, -1
	v_cndmask_b32_e64 v18, 0, 1, s0
	v_dual_lshlrev_b32 v21, 30, v20 :: v_dual_lshlrev_b32 v22, 29, v20
	v_dual_lshlrev_b32 v23, 28, v20 :: v_dual_lshlrev_b32 v24, 27, v20
	s_delay_alu instid0(VALU_DEP_3) | instskip(NEXT) | instid1(VALU_DEP_3)
	v_cmp_ne_u32_e32 vcc_lo, 0, v18
	v_not_b32_e32 v18, v21
	v_dual_lshlrev_b32 v25, 26, v20 :: v_dual_lshlrev_b32 v26, 25, v20
	v_cmp_gt_i32_e64 s0, 0, v21
	v_cmp_gt_i32_e64 s1, 0, v22
	v_not_b32_e32 v21, v22
	v_not_b32_e32 v22, v23
	v_dual_ashrrev_i32 v18, 31, v18 :: v_dual_lshlrev_b32 v27, 24, v20
	v_xor_b32_e32 v1, vcc_lo, v1
	v_cmp_gt_i32_e64 s2, 0, v23
	v_cmp_gt_i32_e64 s3, 0, v24
	v_not_b32_e32 v23, v24
	v_not_b32_e32 v24, v25
	v_dual_ashrrev_i32 v21, 31, v21 :: v_dual_ashrrev_i32 v22, 31, v22
	s_delay_alu instid0(VALU_DEP_3)
	v_dual_ashrrev_i32 v23, 31, v23 :: v_dual_bitop2_b32 v18, s0, v18 bitop3:0x14
	v_cmp_gt_i32_e64 s4, 0, v25
	v_cmp_gt_i32_e64 s5, 0, v26
	v_not_b32_e32 v25, v26
	v_not_b32_e32 v26, v27
	v_dual_ashrrev_i32 v24, 31, v24 :: v_dual_bitop2_b32 v21, s1, v21 bitop3:0x14
	v_xor_b32_e32 v22, s2, v22
	v_bitop3_b32 v1, v1, v18, exec_lo bitop3:0x80
	v_cmp_gt_i32_e64 s6, 0, v27
	v_dual_ashrrev_i32 v18, 31, v25 :: v_dual_ashrrev_i32 v25, 31, v26
	v_xor_b32_e32 v23, s3, v23
	v_xor_b32_e32 v24, s4, v24
	v_bitop3_b32 v1, v1, v22, v21 bitop3:0x80
	s_delay_alu instid0(VALU_DEP_4) | instskip(SKIP_2) | instid1(VALU_DEP_3)
	v_dual_lshrrev_b32 v0, 5, v0 :: v_dual_bitop2_b32 v21, s5, v18 bitop3:0x14
	v_xor_b32_e32 v22, s6, v25
	s_not_b32 s6, s8
	v_bitop3_b32 v1, v1, v24, v23 bitop3:0x80
	s_delay_alu instid0(VALU_DEP_3)
	v_lshlrev_b32_e32 v18, 2, v0
	v_mul_u32_u24_e32 v24, 36, v32
	ds_store_2addr_b32 v24, v19, v19 offset0:16 offset1:17
	ds_store_2addr_b32 v24, v19, v19 offset0:18 offset1:19
	;; [unrolled: 1-line block ×4, first 2 shown]
	v_bitop3_b32 v0, v1, v22, v21 bitop3:0x80
	v_mad_u32 v25, 0x44, v20, v18
	ds_store_b32 v24, v19 offset:96
	s_wait_storecnt 0x0
	s_wait_loadcnt_dscnt 0x0
	s_barrier_signal -1
	v_mbcnt_lo_u32_b32 v30, v0, 0
	v_cmp_ne_u32_e64 s0, 0, v0
	s_barrier_wait -1
	s_delay_alu instid0(VALU_DEP_2) | instskip(SKIP_1) | instid1(SALU_CYCLE_1)
	v_cmp_eq_u32_e32 vcc_lo, 0, v30
	; wave barrier
	s_and_b32 s1, s0, vcc_lo
	s_and_saveexec_b32 s0, s1
; %bb.68:
	v_bcnt_u32_b32 v0, v0, 0
	ds_store_b32 v25, v0 offset:64
; %bb.69:
	s_or_b32 exec_lo, exec_lo, s0
	v_xor_b32_e32 v1, 0x7fffffff, v17
	v_not_b32_e32 v0, v16
	; wave barrier
	s_delay_alu instid0(VALU_DEP_1) | instskip(NEXT) | instid1(VALU_DEP_1)
	v_lshrrev_b64 v[16:17], s20, v[0:1]
	v_and_b32_e32 v17, s6, v16
	v_bitop3_b32 v16, v16, 1, s6 bitop3:0x80
	s_delay_alu instid0(VALU_DEP_2) | instskip(NEXT) | instid1(VALU_DEP_2)
	v_lshlrev_b32_e32 v20, 30, v17
	v_add_co_u32 v16, s0, v16, -1
	s_delay_alu instid0(VALU_DEP_1) | instskip(NEXT) | instid1(VALU_DEP_1)
	v_cndmask_b32_e64 v19, 0, 1, s0
	v_cmp_ne_u32_e32 vcc_lo, 0, v19
	s_delay_alu instid0(VALU_DEP_4) | instskip(NEXT) | instid1(VALU_DEP_1)
	v_not_b32_e32 v19, v20
	v_dual_ashrrev_i32 v19, 31, v19 :: v_dual_bitop2_b32 v16, vcc_lo, v16 bitop3:0x14
	v_dual_lshlrev_b32 v21, 29, v17 :: v_dual_lshlrev_b32 v22, 28, v17
	v_dual_lshlrev_b32 v23, 27, v17 :: v_dual_lshlrev_b32 v27, 26, v17
	v_lshlrev_b32_e32 v28, 25, v17
	v_cmp_gt_i32_e64 s0, 0, v20
	s_delay_alu instid0(VALU_DEP_4)
	v_cmp_gt_i32_e64 s1, 0, v21
	v_not_b32_e32 v20, v21
	v_not_b32_e32 v21, v22
	v_mad_u32 v26, 0x44, v17, v18
	v_lshlrev_b32_e32 v17, 24, v17
	v_cmp_gt_i32_e64 s2, 0, v22
	v_cmp_gt_i32_e64 s3, 0, v23
	v_not_b32_e32 v22, v23
	v_not_b32_e32 v23, v27
	v_dual_ashrrev_i32 v20, 31, v20 :: v_dual_ashrrev_i32 v21, 31, v21
	s_delay_alu instid0(VALU_DEP_3) | instskip(SKIP_1) | instid1(VALU_DEP_3)
	v_dual_ashrrev_i32 v22, 31, v22 :: v_dual_bitop2_b32 v19, s0, v19 bitop3:0x14
	v_cmp_gt_i32_e64 s4, 0, v27
	v_dual_ashrrev_i32 v23, 31, v23 :: v_dual_bitop2_b32 v20, s1, v20 bitop3:0x14
	s_delay_alu instid0(VALU_DEP_3)
	v_bitop3_b32 v16, v16, v19, exec_lo bitop3:0x80
	v_not_b32_e32 v19, v28
	v_xor_b32_e32 v21, s2, v21
	v_not_b32_e32 v27, v17
	v_cmp_gt_i32_e64 s5, 0, v28
	v_xor_b32_e32 v22, s3, v22
	v_xor_b32_e32 v23, s4, v23
	v_ashrrev_i32_e32 v19, 31, v19
	v_bitop3_b32 v16, v16, v21, v20 bitop3:0x80
	v_cmp_gt_i32_e32 vcc_lo, 0, v17
	v_ashrrev_i32_e32 v17, 31, v27
	ds_load_b32 v31, v26 offset:64
	v_xor_b32_e32 v19, s5, v19
	v_bitop3_b32 v16, v16, v23, v22 bitop3:0x80
	v_xor_b32_e32 v17, vcc_lo, v17
	; wave barrier
	s_delay_alu instid0(VALU_DEP_1) | instskip(NEXT) | instid1(VALU_DEP_1)
	v_bitop3_b32 v16, v16, v17, v19 bitop3:0x80
	v_mbcnt_lo_u32_b32 v34, v16, 0
	v_cmp_ne_u32_e64 s0, 0, v16
	s_delay_alu instid0(VALU_DEP_2) | instskip(SKIP_1) | instid1(SALU_CYCLE_1)
	v_cmp_eq_u32_e32 vcc_lo, 0, v34
	s_and_b32 s1, s0, vcc_lo
	s_and_saveexec_b32 s0, s1
	s_cbranch_execz .LBB1114_71
; %bb.70:
	s_wait_dscnt 0x0
	v_bcnt_u32_b32 v16, v16, v31
	ds_store_b32 v26, v16 offset:64
.LBB1114_71:
	s_or_b32 exec_lo, exec_lo, s0
	v_xor_b32_e32 v5, 0x7fffffff, v5
	v_not_b32_e32 v4, v4
	; wave barrier
	s_delay_alu instid0(VALU_DEP_1) | instskip(NEXT) | instid1(VALU_DEP_1)
	v_lshrrev_b64 v[16:17], s20, v[4:5]
	v_and_b32_e32 v17, s6, v16
	v_bitop3_b32 v16, v16, 1, s6 bitop3:0x80
	s_delay_alu instid0(VALU_DEP_2) | instskip(NEXT) | instid1(VALU_DEP_2)
	v_lshlrev_b32_e32 v20, 30, v17
	v_add_co_u32 v16, s0, v16, -1
	s_delay_alu instid0(VALU_DEP_1) | instskip(NEXT) | instid1(VALU_DEP_1)
	v_cndmask_b32_e64 v19, 0, 1, s0
	v_cmp_ne_u32_e32 vcc_lo, 0, v19
	s_delay_alu instid0(VALU_DEP_4) | instskip(NEXT) | instid1(VALU_DEP_1)
	v_not_b32_e32 v19, v20
	v_dual_ashrrev_i32 v19, 31, v19 :: v_dual_bitop2_b32 v16, vcc_lo, v16 bitop3:0x14
	v_dual_lshlrev_b32 v21, 29, v17 :: v_dual_lshlrev_b32 v22, 28, v17
	v_dual_lshlrev_b32 v23, 27, v17 :: v_dual_lshlrev_b32 v28, 26, v17
	v_lshlrev_b32_e32 v29, 25, v17
	v_cmp_gt_i32_e64 s0, 0, v20
	s_delay_alu instid0(VALU_DEP_4)
	v_cmp_gt_i32_e64 s1, 0, v21
	v_not_b32_e32 v20, v21
	v_not_b32_e32 v21, v22
	v_mad_u32 v27, 0x44, v17, v18
	v_lshlrev_b32_e32 v17, 24, v17
	v_cmp_gt_i32_e64 s2, 0, v22
	v_cmp_gt_i32_e64 s3, 0, v23
	v_not_b32_e32 v22, v23
	v_not_b32_e32 v23, v28
	v_dual_ashrrev_i32 v20, 31, v20 :: v_dual_ashrrev_i32 v21, 31, v21
	s_delay_alu instid0(VALU_DEP_3) | instskip(SKIP_1) | instid1(VALU_DEP_3)
	v_dual_ashrrev_i32 v22, 31, v22 :: v_dual_bitop2_b32 v19, s0, v19 bitop3:0x14
	v_cmp_gt_i32_e64 s4, 0, v28
	v_dual_ashrrev_i32 v23, 31, v23 :: v_dual_bitop2_b32 v20, s1, v20 bitop3:0x14
	s_delay_alu instid0(VALU_DEP_3)
	v_bitop3_b32 v16, v16, v19, exec_lo bitop3:0x80
	v_not_b32_e32 v19, v29
	v_xor_b32_e32 v21, s2, v21
	v_not_b32_e32 v28, v17
	v_cmp_gt_i32_e64 s5, 0, v29
	v_xor_b32_e32 v22, s3, v22
	v_xor_b32_e32 v23, s4, v23
	v_ashrrev_i32_e32 v19, 31, v19
	v_bitop3_b32 v16, v16, v21, v20 bitop3:0x80
	v_cmp_gt_i32_e32 vcc_lo, 0, v17
	v_ashrrev_i32_e32 v17, 31, v28
	ds_load_b32 v35, v27 offset:64
	v_xor_b32_e32 v19, s5, v19
	v_bitop3_b32 v16, v16, v23, v22 bitop3:0x80
	v_xor_b32_e32 v17, vcc_lo, v17
	; wave barrier
	s_delay_alu instid0(VALU_DEP_1) | instskip(NEXT) | instid1(VALU_DEP_1)
	v_bitop3_b32 v16, v16, v17, v19 bitop3:0x80
	v_mbcnt_lo_u32_b32 v36, v16, 0
	v_cmp_ne_u32_e64 s0, 0, v16
	s_delay_alu instid0(VALU_DEP_2) | instskip(SKIP_1) | instid1(SALU_CYCLE_1)
	v_cmp_eq_u32_e32 vcc_lo, 0, v36
	s_and_b32 s1, s0, vcc_lo
	s_and_saveexec_b32 s0, s1
	s_cbranch_execz .LBB1114_73
; %bb.72:
	s_wait_dscnt 0x0
	v_bcnt_u32_b32 v16, v16, v35
	ds_store_b32 v27, v16 offset:64
.LBB1114_73:
	s_or_b32 exec_lo, exec_lo, s0
	v_xor_b32_e32 v7, 0x7fffffff, v7
	v_not_b32_e32 v6, v6
	; wave barrier
	s_delay_alu instid0(VALU_DEP_1) | instskip(NEXT) | instid1(VALU_DEP_1)
	v_lshrrev_b64 v[16:17], s20, v[6:7]
	v_and_b32_e32 v17, s6, v16
	v_bitop3_b32 v16, v16, 1, s6 bitop3:0x80
	s_delay_alu instid0(VALU_DEP_2) | instskip(NEXT) | instid1(VALU_DEP_2)
	v_lshlrev_b32_e32 v20, 30, v17
	v_add_co_u32 v16, s0, v16, -1
	s_delay_alu instid0(VALU_DEP_1) | instskip(NEXT) | instid1(VALU_DEP_1)
	v_cndmask_b32_e64 v19, 0, 1, s0
	v_cmp_ne_u32_e32 vcc_lo, 0, v19
	s_delay_alu instid0(VALU_DEP_4) | instskip(NEXT) | instid1(VALU_DEP_1)
	v_not_b32_e32 v19, v20
	v_dual_ashrrev_i32 v19, 31, v19 :: v_dual_bitop2_b32 v16, vcc_lo, v16 bitop3:0x14
	v_dual_lshlrev_b32 v21, 29, v17 :: v_dual_lshlrev_b32 v22, 28, v17
	v_dual_lshlrev_b32 v23, 27, v17 :: v_dual_lshlrev_b32 v29, 26, v17
	v_lshlrev_b32_e32 v37, 25, v17
	v_cmp_gt_i32_e64 s0, 0, v20
	s_delay_alu instid0(VALU_DEP_4)
	v_cmp_gt_i32_e64 s1, 0, v21
	v_not_b32_e32 v20, v21
	v_not_b32_e32 v21, v22
	v_mad_u32 v28, 0x44, v17, v18
	v_lshlrev_b32_e32 v17, 24, v17
	v_cmp_gt_i32_e64 s2, 0, v22
	v_cmp_gt_i32_e64 s3, 0, v23
	v_not_b32_e32 v22, v23
	v_not_b32_e32 v23, v29
	v_dual_ashrrev_i32 v20, 31, v20 :: v_dual_ashrrev_i32 v21, 31, v21
	s_delay_alu instid0(VALU_DEP_3) | instskip(SKIP_1) | instid1(VALU_DEP_3)
	v_dual_ashrrev_i32 v22, 31, v22 :: v_dual_bitop2_b32 v19, s0, v19 bitop3:0x14
	v_cmp_gt_i32_e64 s4, 0, v29
	v_dual_ashrrev_i32 v23, 31, v23 :: v_dual_bitop2_b32 v20, s1, v20 bitop3:0x14
	s_delay_alu instid0(VALU_DEP_3)
	v_bitop3_b32 v16, v16, v19, exec_lo bitop3:0x80
	v_not_b32_e32 v19, v37
	v_xor_b32_e32 v21, s2, v21
	v_not_b32_e32 v29, v17
	v_cmp_gt_i32_e64 s5, 0, v37
	v_xor_b32_e32 v22, s3, v22
	v_xor_b32_e32 v23, s4, v23
	v_ashrrev_i32_e32 v19, 31, v19
	v_bitop3_b32 v16, v16, v21, v20 bitop3:0x80
	v_cmp_gt_i32_e32 vcc_lo, 0, v17
	v_ashrrev_i32_e32 v17, 31, v29
	ds_load_b32 v37, v28 offset:64
	v_xor_b32_e32 v19, s5, v19
	v_bitop3_b32 v16, v16, v23, v22 bitop3:0x80
	v_xor_b32_e32 v17, vcc_lo, v17
	; wave barrier
	s_delay_alu instid0(VALU_DEP_1) | instskip(NEXT) | instid1(VALU_DEP_1)
	v_bitop3_b32 v16, v16, v17, v19 bitop3:0x80
	v_mbcnt_lo_u32_b32 v38, v16, 0
	v_cmp_ne_u32_e64 s0, 0, v16
	s_delay_alu instid0(VALU_DEP_2) | instskip(SKIP_1) | instid1(SALU_CYCLE_1)
	v_cmp_eq_u32_e32 vcc_lo, 0, v38
	s_and_b32 s1, s0, vcc_lo
	s_and_saveexec_b32 s0, s1
	s_cbranch_execz .LBB1114_75
; %bb.74:
	s_wait_dscnt 0x0
	v_bcnt_u32_b32 v16, v16, v37
	ds_store_b32 v28, v16 offset:64
.LBB1114_75:
	s_or_b32 exec_lo, exec_lo, s0
	v_xor_b32_e32 v9, 0x7fffffff, v9
	v_not_b32_e32 v8, v8
	; wave barrier
	s_delay_alu instid0(VALU_DEP_1) | instskip(NEXT) | instid1(VALU_DEP_1)
	v_lshrrev_b64 v[16:17], s20, v[8:9]
	v_and_b32_e32 v17, s6, v16
	v_bitop3_b32 v16, v16, 1, s6 bitop3:0x80
	s_delay_alu instid0(VALU_DEP_2) | instskip(NEXT) | instid1(VALU_DEP_2)
	v_lshlrev_b32_e32 v20, 30, v17
	v_add_co_u32 v16, s0, v16, -1
	s_delay_alu instid0(VALU_DEP_1) | instskip(NEXT) | instid1(VALU_DEP_1)
	v_cndmask_b32_e64 v19, 0, 1, s0
	v_cmp_ne_u32_e32 vcc_lo, 0, v19
	s_delay_alu instid0(VALU_DEP_4) | instskip(NEXT) | instid1(VALU_DEP_1)
	v_not_b32_e32 v19, v20
	v_dual_ashrrev_i32 v19, 31, v19 :: v_dual_bitop2_b32 v16, vcc_lo, v16 bitop3:0x14
	v_dual_lshlrev_b32 v21, 29, v17 :: v_dual_lshlrev_b32 v22, 28, v17
	v_dual_lshlrev_b32 v23, 27, v17 :: v_dual_lshlrev_b32 v39, 26, v17
	v_lshlrev_b32_e32 v40, 25, v17
	v_cmp_gt_i32_e64 s0, 0, v20
	s_delay_alu instid0(VALU_DEP_4)
	v_cmp_gt_i32_e64 s1, 0, v21
	v_not_b32_e32 v20, v21
	v_not_b32_e32 v21, v22
	v_mad_u32 v29, 0x44, v17, v18
	v_lshlrev_b32_e32 v17, 24, v17
	v_cmp_gt_i32_e64 s2, 0, v22
	v_cmp_gt_i32_e64 s3, 0, v23
	v_not_b32_e32 v22, v23
	v_not_b32_e32 v23, v39
	v_dual_ashrrev_i32 v20, 31, v20 :: v_dual_ashrrev_i32 v21, 31, v21
	s_delay_alu instid0(VALU_DEP_3) | instskip(SKIP_1) | instid1(VALU_DEP_3)
	v_dual_ashrrev_i32 v22, 31, v22 :: v_dual_bitop2_b32 v19, s0, v19 bitop3:0x14
	v_cmp_gt_i32_e64 s4, 0, v39
	v_dual_ashrrev_i32 v23, 31, v23 :: v_dual_bitop2_b32 v20, s1, v20 bitop3:0x14
	s_delay_alu instid0(VALU_DEP_3)
	v_bitop3_b32 v16, v16, v19, exec_lo bitop3:0x80
	v_not_b32_e32 v19, v40
	v_xor_b32_e32 v21, s2, v21
	v_not_b32_e32 v39, v17
	v_cmp_gt_i32_e64 s5, 0, v40
	v_xor_b32_e32 v22, s3, v22
	v_xor_b32_e32 v23, s4, v23
	v_ashrrev_i32_e32 v19, 31, v19
	v_bitop3_b32 v16, v16, v21, v20 bitop3:0x80
	v_cmp_gt_i32_e32 vcc_lo, 0, v17
	v_ashrrev_i32_e32 v17, 31, v39
	ds_load_b32 v39, v29 offset:64
	v_xor_b32_e32 v19, s5, v19
	v_bitop3_b32 v16, v16, v23, v22 bitop3:0x80
	v_xor_b32_e32 v17, vcc_lo, v17
	; wave barrier
	s_delay_alu instid0(VALU_DEP_1) | instskip(NEXT) | instid1(VALU_DEP_1)
	v_bitop3_b32 v16, v16, v17, v19 bitop3:0x80
	v_mbcnt_lo_u32_b32 v40, v16, 0
	v_cmp_ne_u32_e64 s0, 0, v16
	s_delay_alu instid0(VALU_DEP_2) | instskip(SKIP_1) | instid1(SALU_CYCLE_1)
	v_cmp_eq_u32_e32 vcc_lo, 0, v40
	s_and_b32 s1, s0, vcc_lo
	s_and_saveexec_b32 s0, s1
	s_cbranch_execz .LBB1114_77
; %bb.76:
	s_wait_dscnt 0x0
	v_bcnt_u32_b32 v16, v16, v39
	ds_store_b32 v29, v16 offset:64
.LBB1114_77:
	s_or_b32 exec_lo, exec_lo, s0
	v_xor_b32_e32 v13, 0x7fffffff, v13
	v_not_b32_e32 v12, v12
	; wave barrier
	s_delay_alu instid0(VALU_DEP_1) | instskip(NEXT) | instid1(VALU_DEP_1)
	v_lshrrev_b64 v[16:17], s20, v[12:13]
	v_and_b32_e32 v17, s6, v16
	v_bitop3_b32 v16, v16, 1, s6 bitop3:0x80
	s_delay_alu instid0(VALU_DEP_2) | instskip(NEXT) | instid1(VALU_DEP_2)
	v_lshlrev_b32_e32 v20, 30, v17
	v_add_co_u32 v16, s0, v16, -1
	s_delay_alu instid0(VALU_DEP_1) | instskip(NEXT) | instid1(VALU_DEP_1)
	v_cndmask_b32_e64 v19, 0, 1, s0
	v_cmp_ne_u32_e32 vcc_lo, 0, v19
	s_delay_alu instid0(VALU_DEP_4) | instskip(NEXT) | instid1(VALU_DEP_1)
	v_not_b32_e32 v19, v20
	v_dual_ashrrev_i32 v19, 31, v19 :: v_dual_bitop2_b32 v16, vcc_lo, v16 bitop3:0x14
	v_dual_lshlrev_b32 v21, 29, v17 :: v_dual_lshlrev_b32 v22, 28, v17
	v_dual_lshlrev_b32 v23, 27, v17 :: v_dual_lshlrev_b32 v41, 26, v17
	v_lshlrev_b32_e32 v42, 25, v17
	v_cmp_gt_i32_e64 s0, 0, v20
	s_delay_alu instid0(VALU_DEP_4)
	v_cmp_gt_i32_e64 s1, 0, v21
	v_not_b32_e32 v20, v21
	v_not_b32_e32 v21, v22
	v_mad_u32 v43, 0x44, v17, v18
	v_lshlrev_b32_e32 v17, 24, v17
	v_cmp_gt_i32_e64 s2, 0, v22
	v_cmp_gt_i32_e64 s3, 0, v23
	v_not_b32_e32 v22, v23
	v_not_b32_e32 v23, v41
	v_dual_ashrrev_i32 v20, 31, v20 :: v_dual_ashrrev_i32 v21, 31, v21
	s_delay_alu instid0(VALU_DEP_3) | instskip(SKIP_1) | instid1(VALU_DEP_3)
	v_dual_ashrrev_i32 v22, 31, v22 :: v_dual_bitop2_b32 v19, s0, v19 bitop3:0x14
	v_cmp_gt_i32_e64 s4, 0, v41
	v_dual_ashrrev_i32 v23, 31, v23 :: v_dual_bitop2_b32 v20, s1, v20 bitop3:0x14
	s_delay_alu instid0(VALU_DEP_3)
	v_bitop3_b32 v16, v16, v19, exec_lo bitop3:0x80
	v_not_b32_e32 v19, v42
	v_xor_b32_e32 v21, s2, v21
	v_not_b32_e32 v41, v17
	v_cmp_gt_i32_e64 s5, 0, v42
	v_xor_b32_e32 v22, s3, v22
	v_xor_b32_e32 v23, s4, v23
	v_ashrrev_i32_e32 v19, 31, v19
	v_bitop3_b32 v16, v16, v21, v20 bitop3:0x80
	v_cmp_gt_i32_e32 vcc_lo, 0, v17
	v_ashrrev_i32_e32 v17, 31, v41
	ds_load_b32 v41, v43 offset:64
	v_xor_b32_e32 v19, s5, v19
	v_bitop3_b32 v16, v16, v23, v22 bitop3:0x80
	v_xor_b32_e32 v17, vcc_lo, v17
	; wave barrier
	s_delay_alu instid0(VALU_DEP_1) | instskip(NEXT) | instid1(VALU_DEP_1)
	v_bitop3_b32 v16, v16, v17, v19 bitop3:0x80
	v_mbcnt_lo_u32_b32 v42, v16, 0
	v_cmp_ne_u32_e64 s0, 0, v16
	s_delay_alu instid0(VALU_DEP_2) | instskip(SKIP_1) | instid1(SALU_CYCLE_1)
	v_cmp_eq_u32_e32 vcc_lo, 0, v42
	s_and_b32 s1, s0, vcc_lo
	s_and_saveexec_b32 s0, s1
	s_cbranch_execz .LBB1114_79
; %bb.78:
	s_wait_dscnt 0x0
	v_bcnt_u32_b32 v16, v16, v41
	ds_store_b32 v43, v16 offset:64
.LBB1114_79:
	s_or_b32 exec_lo, exec_lo, s0
	v_xor_b32_e32 v15, 0x7fffffff, v15
	v_not_b32_e32 v14, v14
	; wave barrier
	s_delay_alu instid0(VALU_DEP_1) | instskip(NEXT) | instid1(VALU_DEP_1)
	v_lshrrev_b64 v[16:17], s20, v[14:15]
	v_and_b32_e32 v17, s6, v16
	v_bitop3_b32 v16, v16, 1, s6 bitop3:0x80
	s_delay_alu instid0(VALU_DEP_2) | instskip(NEXT) | instid1(VALU_DEP_2)
	v_lshlrev_b32_e32 v20, 30, v17
	v_add_co_u32 v16, s0, v16, -1
	s_delay_alu instid0(VALU_DEP_1) | instskip(NEXT) | instid1(VALU_DEP_1)
	v_cndmask_b32_e64 v19, 0, 1, s0
	v_cmp_ne_u32_e32 vcc_lo, 0, v19
	s_delay_alu instid0(VALU_DEP_4) | instskip(NEXT) | instid1(VALU_DEP_1)
	v_not_b32_e32 v19, v20
	v_dual_ashrrev_i32 v19, 31, v19 :: v_dual_bitop2_b32 v16, vcc_lo, v16 bitop3:0x14
	v_dual_lshlrev_b32 v21, 29, v17 :: v_dual_lshlrev_b32 v22, 28, v17
	v_dual_lshlrev_b32 v23, 27, v17 :: v_dual_lshlrev_b32 v44, 26, v17
	v_lshlrev_b32_e32 v45, 25, v17
	v_cmp_gt_i32_e64 s0, 0, v20
	s_delay_alu instid0(VALU_DEP_4)
	v_cmp_gt_i32_e64 s1, 0, v21
	v_not_b32_e32 v20, v21
	v_not_b32_e32 v21, v22
	v_mad_u32 v46, 0x44, v17, v18
	v_lshlrev_b32_e32 v17, 24, v17
	v_cmp_gt_i32_e64 s2, 0, v22
	v_cmp_gt_i32_e64 s3, 0, v23
	v_not_b32_e32 v22, v23
	v_not_b32_e32 v23, v44
	v_dual_ashrrev_i32 v20, 31, v20 :: v_dual_ashrrev_i32 v21, 31, v21
	s_delay_alu instid0(VALU_DEP_3) | instskip(SKIP_1) | instid1(VALU_DEP_3)
	v_dual_ashrrev_i32 v22, 31, v22 :: v_dual_bitop2_b32 v19, s0, v19 bitop3:0x14
	v_cmp_gt_i32_e64 s4, 0, v44
	v_dual_ashrrev_i32 v23, 31, v23 :: v_dual_bitop2_b32 v20, s1, v20 bitop3:0x14
	s_delay_alu instid0(VALU_DEP_3)
	v_bitop3_b32 v16, v16, v19, exec_lo bitop3:0x80
	v_not_b32_e32 v19, v45
	v_xor_b32_e32 v21, s2, v21
	v_not_b32_e32 v44, v17
	v_cmp_gt_i32_e64 s5, 0, v45
	v_xor_b32_e32 v22, s3, v22
	v_xor_b32_e32 v23, s4, v23
	v_ashrrev_i32_e32 v19, 31, v19
	v_bitop3_b32 v16, v16, v21, v20 bitop3:0x80
	v_cmp_gt_i32_e32 vcc_lo, 0, v17
	v_ashrrev_i32_e32 v17, 31, v44
	ds_load_b32 v44, v46 offset:64
	v_xor_b32_e32 v19, s5, v19
	v_bitop3_b32 v16, v16, v23, v22 bitop3:0x80
	v_xor_b32_e32 v17, vcc_lo, v17
	; wave barrier
	s_delay_alu instid0(VALU_DEP_1) | instskip(NEXT) | instid1(VALU_DEP_1)
	v_bitop3_b32 v16, v16, v17, v19 bitop3:0x80
	v_mbcnt_lo_u32_b32 v45, v16, 0
	v_cmp_ne_u32_e64 s0, 0, v16
	s_delay_alu instid0(VALU_DEP_2) | instskip(SKIP_1) | instid1(SALU_CYCLE_1)
	v_cmp_eq_u32_e32 vcc_lo, 0, v45
	s_and_b32 s1, s0, vcc_lo
	s_and_saveexec_b32 s0, s1
	s_cbranch_execz .LBB1114_81
; %bb.80:
	s_wait_dscnt 0x0
	v_bcnt_u32_b32 v16, v16, v44
	ds_store_b32 v46, v16 offset:64
.LBB1114_81:
	s_or_b32 exec_lo, exec_lo, s0
	v_xor_b32_e32 v11, 0x7fffffff, v11
	v_not_b32_e32 v10, v10
	; wave barrier
	s_delay_alu instid0(VALU_DEP_1) | instskip(NEXT) | instid1(VALU_DEP_1)
	v_lshrrev_b64 v[16:17], s20, v[10:11]
	v_and_b32_e32 v17, s6, v16
	v_bitop3_b32 v16, v16, 1, s6 bitop3:0x80
	s_delay_alu instid0(VALU_DEP_2) | instskip(NEXT) | instid1(VALU_DEP_2)
	v_mad_u32 v49, 0x44, v17, v18
	v_add_co_u32 v16, s0, v16, -1
	s_delay_alu instid0(VALU_DEP_1) | instskip(SKIP_1) | instid1(VALU_DEP_2)
	v_cndmask_b32_e64 v18, 0, 1, s0
	v_lshlrev_b32_e32 v19, 30, v17
	v_cmp_ne_u32_e32 vcc_lo, 0, v18
	s_delay_alu instid0(VALU_DEP_2) | instskip(NEXT) | instid1(VALU_DEP_1)
	v_not_b32_e32 v18, v19
	v_dual_ashrrev_i32 v18, 31, v18 :: v_dual_bitop2_b32 v16, vcc_lo, v16 bitop3:0x14
	v_dual_lshlrev_b32 v20, 29, v17 :: v_dual_lshlrev_b32 v21, 28, v17
	v_dual_lshlrev_b32 v22, 27, v17 :: v_dual_lshlrev_b32 v23, 26, v17
	v_lshlrev_b32_e32 v47, 25, v17
	v_cmp_gt_i32_e64 s0, 0, v19
	s_delay_alu instid0(VALU_DEP_4)
	v_cmp_gt_i32_e64 s1, 0, v20
	v_not_b32_e32 v19, v20
	v_not_b32_e32 v20, v21
	v_lshlrev_b32_e32 v17, 24, v17
	v_cmp_gt_i32_e64 s2, 0, v21
	v_cmp_gt_i32_e64 s3, 0, v22
	v_not_b32_e32 v21, v22
	v_not_b32_e32 v22, v23
	v_dual_ashrrev_i32 v19, 31, v19 :: v_dual_ashrrev_i32 v20, 31, v20
	s_delay_alu instid0(VALU_DEP_3) | instskip(SKIP_1) | instid1(VALU_DEP_3)
	v_dual_ashrrev_i32 v21, 31, v21 :: v_dual_bitop2_b32 v18, s0, v18 bitop3:0x14
	v_cmp_gt_i32_e64 s4, 0, v23
	v_dual_ashrrev_i32 v22, 31, v22 :: v_dual_bitop2_b32 v19, s1, v19 bitop3:0x14
	s_delay_alu instid0(VALU_DEP_3)
	v_bitop3_b32 v16, v16, v18, exec_lo bitop3:0x80
	v_not_b32_e32 v18, v47
	v_xor_b32_e32 v20, s2, v20
	v_not_b32_e32 v23, v17
	v_cmp_gt_i32_e64 s5, 0, v47
	v_xor_b32_e32 v21, s3, v21
	v_xor_b32_e32 v22, s4, v22
	v_ashrrev_i32_e32 v18, 31, v18
	v_bitop3_b32 v16, v16, v20, v19 bitop3:0x80
	v_cmp_gt_i32_e32 vcc_lo, 0, v17
	v_ashrrev_i32_e32 v17, 31, v23
	ds_load_b32 v47, v49 offset:64
	v_xor_b32_e32 v18, s5, v18
	v_bitop3_b32 v16, v16, v22, v21 bitop3:0x80
	v_xor_b32_e32 v17, vcc_lo, v17
	; wave barrier
	s_delay_alu instid0(VALU_DEP_1) | instskip(NEXT) | instid1(VALU_DEP_1)
	v_bitop3_b32 v16, v16, v17, v18 bitop3:0x80
	v_mbcnt_lo_u32_b32 v48, v16, 0
	v_cmp_ne_u32_e64 s0, 0, v16
	s_delay_alu instid0(VALU_DEP_2) | instskip(SKIP_1) | instid1(SALU_CYCLE_1)
	v_cmp_eq_u32_e32 vcc_lo, 0, v48
	s_and_b32 s1, s0, vcc_lo
	s_and_saveexec_b32 s0, s1
	s_cbranch_execz .LBB1114_83
; %bb.82:
	s_wait_dscnt 0x0
	v_bcnt_u32_b32 v16, v16, v47
	ds_store_b32 v49, v16 offset:64
.LBB1114_83:
	s_or_b32 exec_lo, exec_lo, s0
	; wave barrier
	s_wait_dscnt 0x0
	s_barrier_signal -1
	s_barrier_wait -1
	ds_load_2addr_b32 v[22:23], v24 offset0:16 offset1:17
	ds_load_2addr_b32 v[20:21], v24 offset0:18 offset1:19
	;; [unrolled: 1-line block ×4, first 2 shown]
	ds_load_b32 v50, v24 offset:96
	v_bfe_i32 v53, v33, 4, 1
	s_mov_b32 s4, exec_lo
	s_wait_dscnt 0x3
	v_add3_u32 v51, v23, v22, v20
	s_wait_dscnt 0x2
	s_delay_alu instid0(VALU_DEP_1) | instskip(SKIP_1) | instid1(VALU_DEP_1)
	v_add3_u32 v51, v51, v21, v18
	s_wait_dscnt 0x1
	v_add3_u32 v51, v51, v19, v16
	s_wait_dscnt 0x0
	s_delay_alu instid0(VALU_DEP_1) | instskip(SKIP_1) | instid1(VALU_DEP_2)
	v_add3_u32 v50, v51, v17, v50
	v_and_b32_e32 v51, 15, v33
	v_mov_b32_dpp v52, v50 row_shr:1 row_mask:0xf bank_mask:0xf
	s_delay_alu instid0(VALU_DEP_2) | instskip(NEXT) | instid1(VALU_DEP_2)
	v_cmp_eq_u32_e32 vcc_lo, 0, v51
	v_cndmask_b32_e64 v52, v52, 0, vcc_lo
	s_delay_alu instid0(VALU_DEP_1) | instskip(SKIP_3) | instid1(VALU_DEP_4)
	v_add_nc_u32_e32 v50, v52, v50
	v_cmp_lt_u32_e64 s0, 1, v51
	v_cmp_lt_u32_e64 s1, 3, v51
	;; [unrolled: 1-line block ×3, first 2 shown]
	v_mov_b32_dpp v52, v50 row_shr:2 row_mask:0xf bank_mask:0xf
	s_delay_alu instid0(VALU_DEP_1) | instskip(NEXT) | instid1(VALU_DEP_1)
	v_cndmask_b32_e64 v52, 0, v52, s0
	v_add_nc_u32_e32 v50, v50, v52
	s_delay_alu instid0(VALU_DEP_1) | instskip(NEXT) | instid1(VALU_DEP_1)
	v_mov_b32_dpp v52, v50 row_shr:4 row_mask:0xf bank_mask:0xf
	v_cndmask_b32_e64 v52, 0, v52, s1
	s_delay_alu instid0(VALU_DEP_1) | instskip(NEXT) | instid1(VALU_DEP_1)
	v_add_nc_u32_e32 v50, v50, v52
	v_mov_b32_dpp v52, v50 row_shr:8 row_mask:0xf bank_mask:0xf
	s_delay_alu instid0(VALU_DEP_1) | instskip(SKIP_1) | instid1(VALU_DEP_2)
	v_cndmask_b32_e64 v51, 0, v52, s2
	v_and_b32_e32 v52, 0x3e0, v32
	v_add_nc_u32_e32 v50, v50, v51
	s_delay_alu instid0(VALU_DEP_2) | instskip(SKIP_3) | instid1(VALU_DEP_1)
	v_min_u32_e32 v52, 0x1e0, v52
	ds_swizzle_b32 v51, v50 offset:swizzle(BROADCAST,32,15)
	s_wait_dscnt 0x0
	v_dual_lshrrev_b32 v51, 5, v32 :: v_dual_bitop2_b32 v53, v53, v51 bitop3:0x40
	v_dual_add_nc_u32 v50, v50, v53 :: v_dual_bitop2_b32 v52, 31, v52 bitop3:0x54
	s_delay_alu instid0(VALU_DEP_1)
	v_cmpx_eq_u32_e64 v32, v52
; %bb.84:
	s_delay_alu instid0(VALU_DEP_3)
	v_lshlrev_b32_e32 v52, 2, v51
	ds_store_b32 v52, v50
; %bb.85:
	s_or_b32 exec_lo, exec_lo, s4
	s_delay_alu instid0(SALU_CYCLE_1)
	s_mov_b32 s4, exec_lo
	s_wait_dscnt 0x0
	s_barrier_signal -1
	s_barrier_wait -1
	v_cmpx_gt_u32_e32 16, v32
	s_cbranch_execz .LBB1114_87
; %bb.86:
	v_lshlrev_b32_e32 v52, 2, v32
	ds_load_b32 v53, v52
	s_wait_dscnt 0x0
	v_mov_b32_dpp v54, v53 row_shr:1 row_mask:0xf bank_mask:0xf
	s_delay_alu instid0(VALU_DEP_1) | instskip(NEXT) | instid1(VALU_DEP_1)
	v_cndmask_b32_e64 v54, v54, 0, vcc_lo
	v_add_nc_u32_e32 v53, v54, v53
	s_delay_alu instid0(VALU_DEP_1) | instskip(NEXT) | instid1(VALU_DEP_1)
	v_mov_b32_dpp v54, v53 row_shr:2 row_mask:0xf bank_mask:0xf
	v_cndmask_b32_e64 v54, 0, v54, s0
	s_delay_alu instid0(VALU_DEP_1) | instskip(NEXT) | instid1(VALU_DEP_1)
	v_add_nc_u32_e32 v53, v53, v54
	v_mov_b32_dpp v54, v53 row_shr:4 row_mask:0xf bank_mask:0xf
	s_delay_alu instid0(VALU_DEP_1) | instskip(NEXT) | instid1(VALU_DEP_1)
	v_cndmask_b32_e64 v54, 0, v54, s1
	v_add_nc_u32_e32 v53, v53, v54
	s_delay_alu instid0(VALU_DEP_1) | instskip(NEXT) | instid1(VALU_DEP_1)
	v_mov_b32_dpp v54, v53 row_shr:8 row_mask:0xf bank_mask:0xf
	v_cndmask_b32_e64 v54, 0, v54, s2
	s_delay_alu instid0(VALU_DEP_1)
	v_add_nc_u32_e32 v53, v53, v54
	ds_store_b32 v52, v53
.LBB1114_87:
	s_or_b32 exec_lo, exec_lo, s4
	v_mov_b32_e32 v52, 0
	s_mov_b32 s0, exec_lo
	s_wait_dscnt 0x0
	s_barrier_signal -1
	s_barrier_wait -1
	v_cmpx_lt_u32_e32 31, v32
; %bb.88:
	v_lshl_add_u32 v51, v51, 2, -4
	ds_load_b32 v52, v51
; %bb.89:
	s_or_b32 exec_lo, exec_lo, s0
	v_sub_co_u32 v51, vcc_lo, v33, 1
	s_wait_dscnt 0x0
	v_add_nc_u32_e32 v50, v52, v50
	s_delay_alu instid0(VALU_DEP_2) | instskip(NEXT) | instid1(VALU_DEP_1)
	v_cmp_gt_i32_e64 s0, 0, v51
	v_cndmask_b32_e64 v33, v51, v33, s0
	v_cmp_lt_u32_e64 s0, 0xff, v32
	s_delay_alu instid0(VALU_DEP_2) | instskip(SKIP_4) | instid1(VALU_DEP_2)
	v_lshlrev_b32_e32 v33, 2, v33
	ds_bpermute_b32 v33, v33, v50
	s_wait_dscnt 0x0
	v_cndmask_b32_e32 v33, v33, v52, vcc_lo
	v_cmp_ne_u32_e32 vcc_lo, 0, v32
	v_cndmask_b32_e32 v33, 0, v33, vcc_lo
	v_cmp_gt_u32_e32 vcc_lo, 0x100, v32
	s_delay_alu instid0(VALU_DEP_2) | instskip(NEXT) | instid1(VALU_DEP_1)
	v_add_nc_u32_e32 v22, v33, v22
	v_add_nc_u32_e32 v23, v22, v23
	s_delay_alu instid0(VALU_DEP_1) | instskip(NEXT) | instid1(VALU_DEP_1)
	v_add_nc_u32_e32 v20, v23, v20
	v_add_nc_u32_e32 v21, v20, v21
	s_delay_alu instid0(VALU_DEP_1) | instskip(NEXT) | instid1(VALU_DEP_1)
	;; [unrolled: 3-line block ×3, first 2 shown]
	v_add_nc_u32_e32 v16, v19, v16
	v_add_nc_u32_e32 v17, v16, v17
	ds_store_2addr_b32 v24, v33, v22 offset0:16 offset1:17
	ds_store_2addr_b32 v24, v23, v20 offset0:18 offset1:19
	;; [unrolled: 1-line block ×4, first 2 shown]
	ds_store_b32 v24, v17 offset:96
	s_wait_dscnt 0x0
	s_barrier_signal -1
	s_barrier_wait -1
	ds_load_b32 v21, v25 offset:64
	ds_load_b32 v19, v26 offset:64
	;; [unrolled: 1-line block ×8, first 2 shown]
	v_mov_b64_e32 v[16:17], 0
                                        ; implicit-def: $vgpr18
	s_and_saveexec_b32 s2, vcc_lo
	s_cbranch_execz .LBB1114_93
; %bb.90:
	v_mul_u32_u24_e32 v16, 0x44, v32
	v_dual_mov_b32 v17, 0x1000 :: v_dual_add_nc_u32 v18, 1, v32
	s_mov_b32 s3, exec_lo
	ds_load_b32 v16, v16 offset:64
	v_cmpx_ne_u32_e32 0x100, v18
; %bb.91:
	v_mul_u32_u24_e32 v17, 0x44, v18
	ds_load_b32 v17, v17 offset:64
; %bb.92:
	s_or_b32 exec_lo, exec_lo, s3
	s_wait_dscnt 0x0
	v_dual_mov_b32 v17, 0 :: v_dual_sub_nc_u32 v18, v17, v16
.LBB1114_93:
	s_or_b32 exec_lo, exec_lo, s2
	v_dual_mov_b32 v23, 0 :: v_dual_lshlrev_b32 v20, 3, v32
	s_wait_dscnt 0x0
	s_barrier_signal -1
	s_barrier_wait -1
	s_and_saveexec_b32 s1, vcc_lo
	s_cbranch_execz .LBB1114_103
; %bb.94:
	v_lshl_add_u32 v22, s9, 8, v32
	v_dual_mov_b32 v26, 0 :: v_dual_bitop2_b32 v27, 2.0, v18 bitop3:0x54
	s_mov_b32 s2, 0
	s_mov_b32 s3, s9
	s_delay_alu instid0(VALU_DEP_2)
	v_lshl_add_u64 v[24:25], v[22:23], 2, s[10:11]
	global_store_b32 v22, v27, s[10:11] scale_offset scope:SCOPE_DEV
                                        ; implicit-def: $sgpr4
	s_branch .LBB1114_97
.LBB1114_95:                            ;   in Loop: Header=BB1114_97 Depth=1
	s_or_b32 exec_lo, exec_lo, s5
.LBB1114_96:                            ;   in Loop: Header=BB1114_97 Depth=1
	s_delay_alu instid0(SALU_CYCLE_1) | instskip(SKIP_2) | instid1(VALU_DEP_2)
	s_or_b32 exec_lo, exec_lo, s4
	v_and_b32_e32 v22, 0x3fffffff, v27
	v_cmp_gt_i32_e64 s4, -2.0, v27
	v_add_nc_u32_e32 v26, v22, v26
	s_and_b32 s5, exec_lo, s4
	s_delay_alu instid0(SALU_CYCLE_1) | instskip(NEXT) | instid1(SALU_CYCLE_1)
	s_or_b32 s2, s5, s2
	s_and_not1_b32 exec_lo, exec_lo, s2
	s_cbranch_execz .LBB1114_102
.LBB1114_97:                            ; =>This Loop Header: Depth=1
                                        ;     Child Loop BB1114_100 Depth 2
	s_or_b32 s4, s4, exec_lo
	s_cmp_eq_u32 s3, 0
	s_cbranch_scc1 .LBB1114_101
; %bb.98:                               ;   in Loop: Header=BB1114_97 Depth=1
	s_add_co_i32 s3, s3, -1
	s_mov_b32 s4, exec_lo
	s_wait_xcnt 0x0
	v_lshl_or_b32 v22, s3, 8, v32
	global_load_b32 v27, v22, s[10:11] scale_offset scope:SCOPE_DEV
	s_wait_loadcnt 0x0
	v_cmpx_gt_u32_e32 2.0, v27
	s_cbranch_execz .LBB1114_96
; %bb.99:                               ;   in Loop: Header=BB1114_97 Depth=1
	v_lshl_add_u64 v[28:29], v[22:23], 2, s[10:11]
	s_mov_b32 s5, 0
.LBB1114_100:                           ;   Parent Loop BB1114_97 Depth=1
                                        ; =>  This Inner Loop Header: Depth=2
	global_load_b32 v27, v[28:29], off scope:SCOPE_DEV
	s_wait_loadcnt 0x0
	v_cmp_lt_u32_e32 vcc_lo, 0x3fffffff, v27
	s_or_b32 s5, vcc_lo, s5
	s_wait_xcnt 0x0
	s_and_not1_b32 exec_lo, exec_lo, s5
	s_cbranch_execnz .LBB1114_100
	s_branch .LBB1114_95
.LBB1114_101:                           ;   in Loop: Header=BB1114_97 Depth=1
                                        ; implicit-def: $sgpr3
	s_and_b32 s5, exec_lo, s4
	s_delay_alu instid0(SALU_CYCLE_1)
	s_or_b32 s2, s5, s2
	s_wait_xcnt 0x0
	s_and_not1_b32 exec_lo, exec_lo, s2
	s_cbranch_execnz .LBB1114_97
.LBB1114_102:
	s_or_b32 exec_lo, exec_lo, s2
	v_dual_mov_b32 v27, 0 :: v_dual_add_nc_u32 v22, v26, v18
	s_delay_alu instid0(VALU_DEP_1) | instskip(SKIP_4) | instid1(VALU_DEP_1)
	v_or_b32_e32 v22, 0x80000000, v22
	global_store_b32 v[24:25], v22, off scope:SCOPE_DEV
	global_load_b64 v[22:23], v32, s[12:13] scale_offset
	v_sub_nc_u64_e32 v[24:25], v[26:27], v[16:17]
	s_wait_loadcnt 0x0
	v_add_nc_u64_e32 v[22:23], v[24:25], v[22:23]
	ds_store_b64 v20, v[22:23]
.LBB1114_103:
	s_wait_xcnt 0x0
	s_or_b32 exec_lo, exec_lo, s1
	v_dual_mov_b32 v21, 0 :: v_dual_add_nc_u32 v24, v21, v30
	v_add3_u32 v25, v48, v49, v47
	v_add3_u32 v26, v45, v46, v44
	;; [unrolled: 1-line block ×4, first 2 shown]
	v_add_nc_u64_e32 v[22:23], s[18:19], v[20:21]
	v_add3_u32 v29, v38, v50, v37
	v_add3_u32 v21, v36, v33, v35
	;; [unrolled: 1-line block ×3, first 2 shown]
	s_mov_b32 s2, -1
	s_mov_b32 s1, 0
.LBB1114_104:                           ; =>This Inner Loop Header: Depth=1
	s_wait_xcnt 0x3
	v_add_min_u32_e64 v30, v24, s1, 0x800
	v_add_min_u32_e64 v31, v19, s1, 0x800
	;; [unrolled: 1-line block ×5, first 2 shown]
	s_wait_xcnt 0x2
	v_add_min_u32_e64 v36, v27, s1, 0x800
	v_add_min_u32_e64 v37, v26, s1, 0x800
	s_wait_xcnt 0x1
	v_add_min_u32_e64 v38, v25, s1, 0x800
	v_dual_lshlrev_b32 v30, 3, v30 :: v_dual_lshlrev_b32 v31, 3, v31
	v_dual_lshlrev_b32 v33, 3, v33 :: v_dual_lshlrev_b32 v34, 3, v34
	;; [unrolled: 1-line block ×3, first 2 shown]
	s_delay_alu instid0(VALU_DEP_4)
	v_dual_lshlrev_b32 v37, 3, v37 :: v_dual_lshlrev_b32 v38, 3, v38
	ds_store_b64 v30, v[2:3] offset:2048
	ds_store_b64 v31, v[0:1] offset:2048
	;; [unrolled: 1-line block ×8, first 2 shown]
	s_wait_storecnt_dscnt 0x0
	s_barrier_signal -1
	s_barrier_wait -1
	ds_load_2addr_stride64_b64 v[34:37], v20 offset0:4 offset1:12
	s_wait_xcnt 0x0
	ds_load_2addr_stride64_b64 v[38:41], v20 offset0:20 offset1:28
	s_addk_co_i32 s1, 0xf800
	s_and_b32 vcc_lo, exec_lo, s2
	s_mov_b32 s2, 0
	s_wait_dscnt 0x1
	v_lshrrev_b64 v[30:31], s20, v[34:35]
	s_wait_dscnt 0x0
	v_lshrrev_b64 v[44:45], s20, v[38:39]
	v_lshrrev_b64 v[42:43], s20, v[36:37]
	;; [unrolled: 1-line block ×3, first 2 shown]
	v_xor_b32_e32 v36, -1, v36
	v_xor_b32_e32 v35, 0x7fffffff, v35
	v_xor_b32_e32 v34, -1, v34
	v_xor_b32_e32 v37, 0x7fffffff, v37
	v_and_b32_e32 v33, s6, v44
	v_and_b32_e32 v31, s6, v42
	;; [unrolled: 1-line block ×3, first 2 shown]
	v_xor_b32_e32 v39, 0x7fffffff, v39
	s_delay_alu instid0(VALU_DEP_4) | instskip(NEXT) | instid1(VALU_DEP_4)
	v_dual_lshlrev_b32 v33, 3, v33 :: v_dual_bitop2_b32 v38, -1, v38 bitop3:0x14
	v_dual_lshlrev_b32 v43, 3, v31 :: v_dual_bitop2_b32 v30, s6, v30 bitop3:0x40
	s_delay_alu instid0(VALU_DEP_4) | instskip(SKIP_1) | instid1(VALU_DEP_3)
	v_lshlrev_b32_e32 v46, 3, v42
	v_xor_b32_e32 v41, 0x7fffffff, v41
	v_dual_lshlrev_b32 v30, 3, v30 :: v_dual_bitop2_b32 v40, -1, v40 bitop3:0x14
	ds_load_b64 v[30:31], v30
	ds_load_b64 v[42:43], v43
	;; [unrolled: 1-line block ×4, first 2 shown]
	s_wait_dscnt 0x3
	v_lshl_add_u64 v[30:31], v[30:31], 3, v[22:23]
	s_wait_dscnt 0x2
	v_lshl_add_u64 v[42:43], v[42:43], 3, v[22:23]
	;; [unrolled: 2-line block ×4, first 2 shown]
	v_add_nc_u64_e32 v[22:23], 0x4000, v[22:23]
	s_clause 0x3
	global_store_b64 v[30:31], v[34:35], off
	global_store_b64 v[42:43], v[36:37], off offset:4096
	global_store_b64 v[44:45], v[38:39], off offset:8192
	;; [unrolled: 1-line block ×3, first 2 shown]
	s_wait_storecnt 0x0
	s_barrier_signal -1
	s_barrier_wait -1
	s_cbranch_vccnz .LBB1114_104
; %bb.105:
	s_add_co_i32 s7, s7, -1
	s_delay_alu instid0(SALU_CYCLE_1) | instskip(SKIP_2) | instid1(SALU_CYCLE_1)
	s_cmp_eq_u32 s9, s7
	s_cselect_b32 s1, -1, 0
	s_xor_b32 s0, s0, -1
	s_and_b32 s0, s0, s1
	s_wait_xcnt 0x0
	s_and_saveexec_b32 s1, s0
	s_cbranch_execz .LBB1114_107
; %bb.106:
	ds_load_b64 v[0:1], v20
	v_mov_b32_e32 v19, 0
	s_delay_alu instid0(VALU_DEP_1) | instskip(SKIP_1) | instid1(VALU_DEP_1)
	v_add_nc_u64_e32 v[2:3], v[16:17], v[18:19]
	s_wait_dscnt 0x0
	v_add_nc_u64_e32 v[0:1], v[2:3], v[0:1]
	global_store_b64 v32, v[0:1], s[14:15] scale_offset
.LBB1114_107:
	s_endpgm
	.section	.rodata,"a",@progbits
	.p2align	6, 0x0
	.amdhsa_kernel _ZN7rocprim17ROCPRIM_400000_NS6detail17trampoline_kernelINS0_14default_configENS1_35radix_sort_onesweep_config_selectorIlNS0_10empty_typeEEEZZNS1_29radix_sort_onesweep_iterationIS3_Lb1EPKlPlPS5_SB_mNS0_19identity_decomposerENS1_16block_id_wrapperIjLb0EEEEE10hipError_tT1_PNSt15iterator_traitsISG_E10value_typeET2_T3_PNSH_ISM_E10value_typeET4_T5_PSR_SS_PNS1_23onesweep_lookback_stateEbbT6_jjT7_P12ihipStream_tbENKUlT_T0_SG_SL_E_clIS9_SA_SB_SB_EEDaSZ_S10_SG_SL_EUlSZ_E_NS1_11comp_targetILNS1_3genE0ELNS1_11target_archE4294967295ELNS1_3gpuE0ELNS1_3repE0EEENS1_47radix_sort_onesweep_sort_config_static_selectorELNS0_4arch9wavefront6targetE0EEEvSG_
		.amdhsa_group_segment_fixed_size 18504
		.amdhsa_private_segment_fixed_size 0
		.amdhsa_kernarg_size 344
		.amdhsa_user_sgpr_count 2
		.amdhsa_user_sgpr_dispatch_ptr 0
		.amdhsa_user_sgpr_queue_ptr 0
		.amdhsa_user_sgpr_kernarg_segment_ptr 1
		.amdhsa_user_sgpr_dispatch_id 0
		.amdhsa_user_sgpr_kernarg_preload_length 0
		.amdhsa_user_sgpr_kernarg_preload_offset 0
		.amdhsa_user_sgpr_private_segment_size 0
		.amdhsa_wavefront_size32 1
		.amdhsa_uses_dynamic_stack 0
		.amdhsa_enable_private_segment 0
		.amdhsa_system_sgpr_workgroup_id_x 1
		.amdhsa_system_sgpr_workgroup_id_y 0
		.amdhsa_system_sgpr_workgroup_id_z 0
		.amdhsa_system_sgpr_workgroup_info 0
		.amdhsa_system_vgpr_workitem_id 2
		.amdhsa_next_free_vgpr 57
		.amdhsa_next_free_sgpr 28
		.amdhsa_named_barrier_count 0
		.amdhsa_reserve_vcc 1
		.amdhsa_float_round_mode_32 0
		.amdhsa_float_round_mode_16_64 0
		.amdhsa_float_denorm_mode_32 3
		.amdhsa_float_denorm_mode_16_64 3
		.amdhsa_fp16_overflow 0
		.amdhsa_memory_ordered 1
		.amdhsa_forward_progress 1
		.amdhsa_inst_pref_size 89
		.amdhsa_round_robin_scheduling 0
		.amdhsa_exception_fp_ieee_invalid_op 0
		.amdhsa_exception_fp_denorm_src 0
		.amdhsa_exception_fp_ieee_div_zero 0
		.amdhsa_exception_fp_ieee_overflow 0
		.amdhsa_exception_fp_ieee_underflow 0
		.amdhsa_exception_fp_ieee_inexact 0
		.amdhsa_exception_int_div_zero 0
	.end_amdhsa_kernel
	.section	.text._ZN7rocprim17ROCPRIM_400000_NS6detail17trampoline_kernelINS0_14default_configENS1_35radix_sort_onesweep_config_selectorIlNS0_10empty_typeEEEZZNS1_29radix_sort_onesweep_iterationIS3_Lb1EPKlPlPS5_SB_mNS0_19identity_decomposerENS1_16block_id_wrapperIjLb0EEEEE10hipError_tT1_PNSt15iterator_traitsISG_E10value_typeET2_T3_PNSH_ISM_E10value_typeET4_T5_PSR_SS_PNS1_23onesweep_lookback_stateEbbT6_jjT7_P12ihipStream_tbENKUlT_T0_SG_SL_E_clIS9_SA_SB_SB_EEDaSZ_S10_SG_SL_EUlSZ_E_NS1_11comp_targetILNS1_3genE0ELNS1_11target_archE4294967295ELNS1_3gpuE0ELNS1_3repE0EEENS1_47radix_sort_onesweep_sort_config_static_selectorELNS0_4arch9wavefront6targetE0EEEvSG_,"axG",@progbits,_ZN7rocprim17ROCPRIM_400000_NS6detail17trampoline_kernelINS0_14default_configENS1_35radix_sort_onesweep_config_selectorIlNS0_10empty_typeEEEZZNS1_29radix_sort_onesweep_iterationIS3_Lb1EPKlPlPS5_SB_mNS0_19identity_decomposerENS1_16block_id_wrapperIjLb0EEEEE10hipError_tT1_PNSt15iterator_traitsISG_E10value_typeET2_T3_PNSH_ISM_E10value_typeET4_T5_PSR_SS_PNS1_23onesweep_lookback_stateEbbT6_jjT7_P12ihipStream_tbENKUlT_T0_SG_SL_E_clIS9_SA_SB_SB_EEDaSZ_S10_SG_SL_EUlSZ_E_NS1_11comp_targetILNS1_3genE0ELNS1_11target_archE4294967295ELNS1_3gpuE0ELNS1_3repE0EEENS1_47radix_sort_onesweep_sort_config_static_selectorELNS0_4arch9wavefront6targetE0EEEvSG_,comdat
.Lfunc_end1114:
	.size	_ZN7rocprim17ROCPRIM_400000_NS6detail17trampoline_kernelINS0_14default_configENS1_35radix_sort_onesweep_config_selectorIlNS0_10empty_typeEEEZZNS1_29radix_sort_onesweep_iterationIS3_Lb1EPKlPlPS5_SB_mNS0_19identity_decomposerENS1_16block_id_wrapperIjLb0EEEEE10hipError_tT1_PNSt15iterator_traitsISG_E10value_typeET2_T3_PNSH_ISM_E10value_typeET4_T5_PSR_SS_PNS1_23onesweep_lookback_stateEbbT6_jjT7_P12ihipStream_tbENKUlT_T0_SG_SL_E_clIS9_SA_SB_SB_EEDaSZ_S10_SG_SL_EUlSZ_E_NS1_11comp_targetILNS1_3genE0ELNS1_11target_archE4294967295ELNS1_3gpuE0ELNS1_3repE0EEENS1_47radix_sort_onesweep_sort_config_static_selectorELNS0_4arch9wavefront6targetE0EEEvSG_, .Lfunc_end1114-_ZN7rocprim17ROCPRIM_400000_NS6detail17trampoline_kernelINS0_14default_configENS1_35radix_sort_onesweep_config_selectorIlNS0_10empty_typeEEEZZNS1_29radix_sort_onesweep_iterationIS3_Lb1EPKlPlPS5_SB_mNS0_19identity_decomposerENS1_16block_id_wrapperIjLb0EEEEE10hipError_tT1_PNSt15iterator_traitsISG_E10value_typeET2_T3_PNSH_ISM_E10value_typeET4_T5_PSR_SS_PNS1_23onesweep_lookback_stateEbbT6_jjT7_P12ihipStream_tbENKUlT_T0_SG_SL_E_clIS9_SA_SB_SB_EEDaSZ_S10_SG_SL_EUlSZ_E_NS1_11comp_targetILNS1_3genE0ELNS1_11target_archE4294967295ELNS1_3gpuE0ELNS1_3repE0EEENS1_47radix_sort_onesweep_sort_config_static_selectorELNS0_4arch9wavefront6targetE0EEEvSG_
                                        ; -- End function
	.set _ZN7rocprim17ROCPRIM_400000_NS6detail17trampoline_kernelINS0_14default_configENS1_35radix_sort_onesweep_config_selectorIlNS0_10empty_typeEEEZZNS1_29radix_sort_onesweep_iterationIS3_Lb1EPKlPlPS5_SB_mNS0_19identity_decomposerENS1_16block_id_wrapperIjLb0EEEEE10hipError_tT1_PNSt15iterator_traitsISG_E10value_typeET2_T3_PNSH_ISM_E10value_typeET4_T5_PSR_SS_PNS1_23onesweep_lookback_stateEbbT6_jjT7_P12ihipStream_tbENKUlT_T0_SG_SL_E_clIS9_SA_SB_SB_EEDaSZ_S10_SG_SL_EUlSZ_E_NS1_11comp_targetILNS1_3genE0ELNS1_11target_archE4294967295ELNS1_3gpuE0ELNS1_3repE0EEENS1_47radix_sort_onesweep_sort_config_static_selectorELNS0_4arch9wavefront6targetE0EEEvSG_.num_vgpr, 57
	.set _ZN7rocprim17ROCPRIM_400000_NS6detail17trampoline_kernelINS0_14default_configENS1_35radix_sort_onesweep_config_selectorIlNS0_10empty_typeEEEZZNS1_29radix_sort_onesweep_iterationIS3_Lb1EPKlPlPS5_SB_mNS0_19identity_decomposerENS1_16block_id_wrapperIjLb0EEEEE10hipError_tT1_PNSt15iterator_traitsISG_E10value_typeET2_T3_PNSH_ISM_E10value_typeET4_T5_PSR_SS_PNS1_23onesweep_lookback_stateEbbT6_jjT7_P12ihipStream_tbENKUlT_T0_SG_SL_E_clIS9_SA_SB_SB_EEDaSZ_S10_SG_SL_EUlSZ_E_NS1_11comp_targetILNS1_3genE0ELNS1_11target_archE4294967295ELNS1_3gpuE0ELNS1_3repE0EEENS1_47radix_sort_onesweep_sort_config_static_selectorELNS0_4arch9wavefront6targetE0EEEvSG_.num_agpr, 0
	.set _ZN7rocprim17ROCPRIM_400000_NS6detail17trampoline_kernelINS0_14default_configENS1_35radix_sort_onesweep_config_selectorIlNS0_10empty_typeEEEZZNS1_29radix_sort_onesweep_iterationIS3_Lb1EPKlPlPS5_SB_mNS0_19identity_decomposerENS1_16block_id_wrapperIjLb0EEEEE10hipError_tT1_PNSt15iterator_traitsISG_E10value_typeET2_T3_PNSH_ISM_E10value_typeET4_T5_PSR_SS_PNS1_23onesweep_lookback_stateEbbT6_jjT7_P12ihipStream_tbENKUlT_T0_SG_SL_E_clIS9_SA_SB_SB_EEDaSZ_S10_SG_SL_EUlSZ_E_NS1_11comp_targetILNS1_3genE0ELNS1_11target_archE4294967295ELNS1_3gpuE0ELNS1_3repE0EEENS1_47radix_sort_onesweep_sort_config_static_selectorELNS0_4arch9wavefront6targetE0EEEvSG_.numbered_sgpr, 28
	.set _ZN7rocprim17ROCPRIM_400000_NS6detail17trampoline_kernelINS0_14default_configENS1_35radix_sort_onesweep_config_selectorIlNS0_10empty_typeEEEZZNS1_29radix_sort_onesweep_iterationIS3_Lb1EPKlPlPS5_SB_mNS0_19identity_decomposerENS1_16block_id_wrapperIjLb0EEEEE10hipError_tT1_PNSt15iterator_traitsISG_E10value_typeET2_T3_PNSH_ISM_E10value_typeET4_T5_PSR_SS_PNS1_23onesweep_lookback_stateEbbT6_jjT7_P12ihipStream_tbENKUlT_T0_SG_SL_E_clIS9_SA_SB_SB_EEDaSZ_S10_SG_SL_EUlSZ_E_NS1_11comp_targetILNS1_3genE0ELNS1_11target_archE4294967295ELNS1_3gpuE0ELNS1_3repE0EEENS1_47radix_sort_onesweep_sort_config_static_selectorELNS0_4arch9wavefront6targetE0EEEvSG_.num_named_barrier, 0
	.set _ZN7rocprim17ROCPRIM_400000_NS6detail17trampoline_kernelINS0_14default_configENS1_35radix_sort_onesweep_config_selectorIlNS0_10empty_typeEEEZZNS1_29radix_sort_onesweep_iterationIS3_Lb1EPKlPlPS5_SB_mNS0_19identity_decomposerENS1_16block_id_wrapperIjLb0EEEEE10hipError_tT1_PNSt15iterator_traitsISG_E10value_typeET2_T3_PNSH_ISM_E10value_typeET4_T5_PSR_SS_PNS1_23onesweep_lookback_stateEbbT6_jjT7_P12ihipStream_tbENKUlT_T0_SG_SL_E_clIS9_SA_SB_SB_EEDaSZ_S10_SG_SL_EUlSZ_E_NS1_11comp_targetILNS1_3genE0ELNS1_11target_archE4294967295ELNS1_3gpuE0ELNS1_3repE0EEENS1_47radix_sort_onesweep_sort_config_static_selectorELNS0_4arch9wavefront6targetE0EEEvSG_.private_seg_size, 0
	.set _ZN7rocprim17ROCPRIM_400000_NS6detail17trampoline_kernelINS0_14default_configENS1_35radix_sort_onesweep_config_selectorIlNS0_10empty_typeEEEZZNS1_29radix_sort_onesweep_iterationIS3_Lb1EPKlPlPS5_SB_mNS0_19identity_decomposerENS1_16block_id_wrapperIjLb0EEEEE10hipError_tT1_PNSt15iterator_traitsISG_E10value_typeET2_T3_PNSH_ISM_E10value_typeET4_T5_PSR_SS_PNS1_23onesweep_lookback_stateEbbT6_jjT7_P12ihipStream_tbENKUlT_T0_SG_SL_E_clIS9_SA_SB_SB_EEDaSZ_S10_SG_SL_EUlSZ_E_NS1_11comp_targetILNS1_3genE0ELNS1_11target_archE4294967295ELNS1_3gpuE0ELNS1_3repE0EEENS1_47radix_sort_onesweep_sort_config_static_selectorELNS0_4arch9wavefront6targetE0EEEvSG_.uses_vcc, 1
	.set _ZN7rocprim17ROCPRIM_400000_NS6detail17trampoline_kernelINS0_14default_configENS1_35radix_sort_onesweep_config_selectorIlNS0_10empty_typeEEEZZNS1_29radix_sort_onesweep_iterationIS3_Lb1EPKlPlPS5_SB_mNS0_19identity_decomposerENS1_16block_id_wrapperIjLb0EEEEE10hipError_tT1_PNSt15iterator_traitsISG_E10value_typeET2_T3_PNSH_ISM_E10value_typeET4_T5_PSR_SS_PNS1_23onesweep_lookback_stateEbbT6_jjT7_P12ihipStream_tbENKUlT_T0_SG_SL_E_clIS9_SA_SB_SB_EEDaSZ_S10_SG_SL_EUlSZ_E_NS1_11comp_targetILNS1_3genE0ELNS1_11target_archE4294967295ELNS1_3gpuE0ELNS1_3repE0EEENS1_47radix_sort_onesweep_sort_config_static_selectorELNS0_4arch9wavefront6targetE0EEEvSG_.uses_flat_scratch, 0
	.set _ZN7rocprim17ROCPRIM_400000_NS6detail17trampoline_kernelINS0_14default_configENS1_35radix_sort_onesweep_config_selectorIlNS0_10empty_typeEEEZZNS1_29radix_sort_onesweep_iterationIS3_Lb1EPKlPlPS5_SB_mNS0_19identity_decomposerENS1_16block_id_wrapperIjLb0EEEEE10hipError_tT1_PNSt15iterator_traitsISG_E10value_typeET2_T3_PNSH_ISM_E10value_typeET4_T5_PSR_SS_PNS1_23onesweep_lookback_stateEbbT6_jjT7_P12ihipStream_tbENKUlT_T0_SG_SL_E_clIS9_SA_SB_SB_EEDaSZ_S10_SG_SL_EUlSZ_E_NS1_11comp_targetILNS1_3genE0ELNS1_11target_archE4294967295ELNS1_3gpuE0ELNS1_3repE0EEENS1_47radix_sort_onesweep_sort_config_static_selectorELNS0_4arch9wavefront6targetE0EEEvSG_.has_dyn_sized_stack, 0
	.set _ZN7rocprim17ROCPRIM_400000_NS6detail17trampoline_kernelINS0_14default_configENS1_35radix_sort_onesweep_config_selectorIlNS0_10empty_typeEEEZZNS1_29radix_sort_onesweep_iterationIS3_Lb1EPKlPlPS5_SB_mNS0_19identity_decomposerENS1_16block_id_wrapperIjLb0EEEEE10hipError_tT1_PNSt15iterator_traitsISG_E10value_typeET2_T3_PNSH_ISM_E10value_typeET4_T5_PSR_SS_PNS1_23onesweep_lookback_stateEbbT6_jjT7_P12ihipStream_tbENKUlT_T0_SG_SL_E_clIS9_SA_SB_SB_EEDaSZ_S10_SG_SL_EUlSZ_E_NS1_11comp_targetILNS1_3genE0ELNS1_11target_archE4294967295ELNS1_3gpuE0ELNS1_3repE0EEENS1_47radix_sort_onesweep_sort_config_static_selectorELNS0_4arch9wavefront6targetE0EEEvSG_.has_recursion, 0
	.set _ZN7rocprim17ROCPRIM_400000_NS6detail17trampoline_kernelINS0_14default_configENS1_35radix_sort_onesweep_config_selectorIlNS0_10empty_typeEEEZZNS1_29radix_sort_onesweep_iterationIS3_Lb1EPKlPlPS5_SB_mNS0_19identity_decomposerENS1_16block_id_wrapperIjLb0EEEEE10hipError_tT1_PNSt15iterator_traitsISG_E10value_typeET2_T3_PNSH_ISM_E10value_typeET4_T5_PSR_SS_PNS1_23onesweep_lookback_stateEbbT6_jjT7_P12ihipStream_tbENKUlT_T0_SG_SL_E_clIS9_SA_SB_SB_EEDaSZ_S10_SG_SL_EUlSZ_E_NS1_11comp_targetILNS1_3genE0ELNS1_11target_archE4294967295ELNS1_3gpuE0ELNS1_3repE0EEENS1_47radix_sort_onesweep_sort_config_static_selectorELNS0_4arch9wavefront6targetE0EEEvSG_.has_indirect_call, 0
	.section	.AMDGPU.csdata,"",@progbits
; Kernel info:
; codeLenInByte = 11288
; TotalNumSgprs: 30
; NumVgprs: 57
; ScratchSize: 0
; MemoryBound: 1
; FloatMode: 240
; IeeeMode: 1
; LDSByteSize: 18504 bytes/workgroup (compile time only)
; SGPRBlocks: 0
; VGPRBlocks: 3
; NumSGPRsForWavesPerEU: 30
; NumVGPRsForWavesPerEU: 57
; NamedBarCnt: 0
; Occupancy: 16
; WaveLimiterHint : 1
; COMPUTE_PGM_RSRC2:SCRATCH_EN: 0
; COMPUTE_PGM_RSRC2:USER_SGPR: 2
; COMPUTE_PGM_RSRC2:TRAP_HANDLER: 0
; COMPUTE_PGM_RSRC2:TGID_X_EN: 1
; COMPUTE_PGM_RSRC2:TGID_Y_EN: 0
; COMPUTE_PGM_RSRC2:TGID_Z_EN: 0
; COMPUTE_PGM_RSRC2:TIDIG_COMP_CNT: 2
	.section	.text._ZN7rocprim17ROCPRIM_400000_NS6detail17trampoline_kernelINS0_14default_configENS1_35radix_sort_onesweep_config_selectorIlNS0_10empty_typeEEEZZNS1_29radix_sort_onesweep_iterationIS3_Lb1EPKlPlPS5_SB_mNS0_19identity_decomposerENS1_16block_id_wrapperIjLb0EEEEE10hipError_tT1_PNSt15iterator_traitsISG_E10value_typeET2_T3_PNSH_ISM_E10value_typeET4_T5_PSR_SS_PNS1_23onesweep_lookback_stateEbbT6_jjT7_P12ihipStream_tbENKUlT_T0_SG_SL_E_clIS9_SA_SB_SB_EEDaSZ_S10_SG_SL_EUlSZ_E_NS1_11comp_targetILNS1_3genE6ELNS1_11target_archE950ELNS1_3gpuE13ELNS1_3repE0EEENS1_47radix_sort_onesweep_sort_config_static_selectorELNS0_4arch9wavefront6targetE0EEEvSG_,"axG",@progbits,_ZN7rocprim17ROCPRIM_400000_NS6detail17trampoline_kernelINS0_14default_configENS1_35radix_sort_onesweep_config_selectorIlNS0_10empty_typeEEEZZNS1_29radix_sort_onesweep_iterationIS3_Lb1EPKlPlPS5_SB_mNS0_19identity_decomposerENS1_16block_id_wrapperIjLb0EEEEE10hipError_tT1_PNSt15iterator_traitsISG_E10value_typeET2_T3_PNSH_ISM_E10value_typeET4_T5_PSR_SS_PNS1_23onesweep_lookback_stateEbbT6_jjT7_P12ihipStream_tbENKUlT_T0_SG_SL_E_clIS9_SA_SB_SB_EEDaSZ_S10_SG_SL_EUlSZ_E_NS1_11comp_targetILNS1_3genE6ELNS1_11target_archE950ELNS1_3gpuE13ELNS1_3repE0EEENS1_47radix_sort_onesweep_sort_config_static_selectorELNS0_4arch9wavefront6targetE0EEEvSG_,comdat
	.protected	_ZN7rocprim17ROCPRIM_400000_NS6detail17trampoline_kernelINS0_14default_configENS1_35radix_sort_onesweep_config_selectorIlNS0_10empty_typeEEEZZNS1_29radix_sort_onesweep_iterationIS3_Lb1EPKlPlPS5_SB_mNS0_19identity_decomposerENS1_16block_id_wrapperIjLb0EEEEE10hipError_tT1_PNSt15iterator_traitsISG_E10value_typeET2_T3_PNSH_ISM_E10value_typeET4_T5_PSR_SS_PNS1_23onesweep_lookback_stateEbbT6_jjT7_P12ihipStream_tbENKUlT_T0_SG_SL_E_clIS9_SA_SB_SB_EEDaSZ_S10_SG_SL_EUlSZ_E_NS1_11comp_targetILNS1_3genE6ELNS1_11target_archE950ELNS1_3gpuE13ELNS1_3repE0EEENS1_47radix_sort_onesweep_sort_config_static_selectorELNS0_4arch9wavefront6targetE0EEEvSG_ ; -- Begin function _ZN7rocprim17ROCPRIM_400000_NS6detail17trampoline_kernelINS0_14default_configENS1_35radix_sort_onesweep_config_selectorIlNS0_10empty_typeEEEZZNS1_29radix_sort_onesweep_iterationIS3_Lb1EPKlPlPS5_SB_mNS0_19identity_decomposerENS1_16block_id_wrapperIjLb0EEEEE10hipError_tT1_PNSt15iterator_traitsISG_E10value_typeET2_T3_PNSH_ISM_E10value_typeET4_T5_PSR_SS_PNS1_23onesweep_lookback_stateEbbT6_jjT7_P12ihipStream_tbENKUlT_T0_SG_SL_E_clIS9_SA_SB_SB_EEDaSZ_S10_SG_SL_EUlSZ_E_NS1_11comp_targetILNS1_3genE6ELNS1_11target_archE950ELNS1_3gpuE13ELNS1_3repE0EEENS1_47radix_sort_onesweep_sort_config_static_selectorELNS0_4arch9wavefront6targetE0EEEvSG_
	.globl	_ZN7rocprim17ROCPRIM_400000_NS6detail17trampoline_kernelINS0_14default_configENS1_35radix_sort_onesweep_config_selectorIlNS0_10empty_typeEEEZZNS1_29radix_sort_onesweep_iterationIS3_Lb1EPKlPlPS5_SB_mNS0_19identity_decomposerENS1_16block_id_wrapperIjLb0EEEEE10hipError_tT1_PNSt15iterator_traitsISG_E10value_typeET2_T3_PNSH_ISM_E10value_typeET4_T5_PSR_SS_PNS1_23onesweep_lookback_stateEbbT6_jjT7_P12ihipStream_tbENKUlT_T0_SG_SL_E_clIS9_SA_SB_SB_EEDaSZ_S10_SG_SL_EUlSZ_E_NS1_11comp_targetILNS1_3genE6ELNS1_11target_archE950ELNS1_3gpuE13ELNS1_3repE0EEENS1_47radix_sort_onesweep_sort_config_static_selectorELNS0_4arch9wavefront6targetE0EEEvSG_
	.p2align	8
	.type	_ZN7rocprim17ROCPRIM_400000_NS6detail17trampoline_kernelINS0_14default_configENS1_35radix_sort_onesweep_config_selectorIlNS0_10empty_typeEEEZZNS1_29radix_sort_onesweep_iterationIS3_Lb1EPKlPlPS5_SB_mNS0_19identity_decomposerENS1_16block_id_wrapperIjLb0EEEEE10hipError_tT1_PNSt15iterator_traitsISG_E10value_typeET2_T3_PNSH_ISM_E10value_typeET4_T5_PSR_SS_PNS1_23onesweep_lookback_stateEbbT6_jjT7_P12ihipStream_tbENKUlT_T0_SG_SL_E_clIS9_SA_SB_SB_EEDaSZ_S10_SG_SL_EUlSZ_E_NS1_11comp_targetILNS1_3genE6ELNS1_11target_archE950ELNS1_3gpuE13ELNS1_3repE0EEENS1_47radix_sort_onesweep_sort_config_static_selectorELNS0_4arch9wavefront6targetE0EEEvSG_,@function
_ZN7rocprim17ROCPRIM_400000_NS6detail17trampoline_kernelINS0_14default_configENS1_35radix_sort_onesweep_config_selectorIlNS0_10empty_typeEEEZZNS1_29radix_sort_onesweep_iterationIS3_Lb1EPKlPlPS5_SB_mNS0_19identity_decomposerENS1_16block_id_wrapperIjLb0EEEEE10hipError_tT1_PNSt15iterator_traitsISG_E10value_typeET2_T3_PNSH_ISM_E10value_typeET4_T5_PSR_SS_PNS1_23onesweep_lookback_stateEbbT6_jjT7_P12ihipStream_tbENKUlT_T0_SG_SL_E_clIS9_SA_SB_SB_EEDaSZ_S10_SG_SL_EUlSZ_E_NS1_11comp_targetILNS1_3genE6ELNS1_11target_archE950ELNS1_3gpuE13ELNS1_3repE0EEENS1_47radix_sort_onesweep_sort_config_static_selectorELNS0_4arch9wavefront6targetE0EEEvSG_: ; @_ZN7rocprim17ROCPRIM_400000_NS6detail17trampoline_kernelINS0_14default_configENS1_35radix_sort_onesweep_config_selectorIlNS0_10empty_typeEEEZZNS1_29radix_sort_onesweep_iterationIS3_Lb1EPKlPlPS5_SB_mNS0_19identity_decomposerENS1_16block_id_wrapperIjLb0EEEEE10hipError_tT1_PNSt15iterator_traitsISG_E10value_typeET2_T3_PNSH_ISM_E10value_typeET4_T5_PSR_SS_PNS1_23onesweep_lookback_stateEbbT6_jjT7_P12ihipStream_tbENKUlT_T0_SG_SL_E_clIS9_SA_SB_SB_EEDaSZ_S10_SG_SL_EUlSZ_E_NS1_11comp_targetILNS1_3genE6ELNS1_11target_archE950ELNS1_3gpuE13ELNS1_3repE0EEENS1_47radix_sort_onesweep_sort_config_static_selectorELNS0_4arch9wavefront6targetE0EEEvSG_
; %bb.0:
	.section	.rodata,"a",@progbits
	.p2align	6, 0x0
	.amdhsa_kernel _ZN7rocprim17ROCPRIM_400000_NS6detail17trampoline_kernelINS0_14default_configENS1_35radix_sort_onesweep_config_selectorIlNS0_10empty_typeEEEZZNS1_29radix_sort_onesweep_iterationIS3_Lb1EPKlPlPS5_SB_mNS0_19identity_decomposerENS1_16block_id_wrapperIjLb0EEEEE10hipError_tT1_PNSt15iterator_traitsISG_E10value_typeET2_T3_PNSH_ISM_E10value_typeET4_T5_PSR_SS_PNS1_23onesweep_lookback_stateEbbT6_jjT7_P12ihipStream_tbENKUlT_T0_SG_SL_E_clIS9_SA_SB_SB_EEDaSZ_S10_SG_SL_EUlSZ_E_NS1_11comp_targetILNS1_3genE6ELNS1_11target_archE950ELNS1_3gpuE13ELNS1_3repE0EEENS1_47radix_sort_onesweep_sort_config_static_selectorELNS0_4arch9wavefront6targetE0EEEvSG_
		.amdhsa_group_segment_fixed_size 0
		.amdhsa_private_segment_fixed_size 0
		.amdhsa_kernarg_size 88
		.amdhsa_user_sgpr_count 2
		.amdhsa_user_sgpr_dispatch_ptr 0
		.amdhsa_user_sgpr_queue_ptr 0
		.amdhsa_user_sgpr_kernarg_segment_ptr 1
		.amdhsa_user_sgpr_dispatch_id 0
		.amdhsa_user_sgpr_kernarg_preload_length 0
		.amdhsa_user_sgpr_kernarg_preload_offset 0
		.amdhsa_user_sgpr_private_segment_size 0
		.amdhsa_wavefront_size32 1
		.amdhsa_uses_dynamic_stack 0
		.amdhsa_enable_private_segment 0
		.amdhsa_system_sgpr_workgroup_id_x 1
		.amdhsa_system_sgpr_workgroup_id_y 0
		.amdhsa_system_sgpr_workgroup_id_z 0
		.amdhsa_system_sgpr_workgroup_info 0
		.amdhsa_system_vgpr_workitem_id 0
		.amdhsa_next_free_vgpr 1
		.amdhsa_next_free_sgpr 1
		.amdhsa_named_barrier_count 0
		.amdhsa_reserve_vcc 0
		.amdhsa_float_round_mode_32 0
		.amdhsa_float_round_mode_16_64 0
		.amdhsa_float_denorm_mode_32 3
		.amdhsa_float_denorm_mode_16_64 3
		.amdhsa_fp16_overflow 0
		.amdhsa_memory_ordered 1
		.amdhsa_forward_progress 1
		.amdhsa_inst_pref_size 0
		.amdhsa_round_robin_scheduling 0
		.amdhsa_exception_fp_ieee_invalid_op 0
		.amdhsa_exception_fp_denorm_src 0
		.amdhsa_exception_fp_ieee_div_zero 0
		.amdhsa_exception_fp_ieee_overflow 0
		.amdhsa_exception_fp_ieee_underflow 0
		.amdhsa_exception_fp_ieee_inexact 0
		.amdhsa_exception_int_div_zero 0
	.end_amdhsa_kernel
	.section	.text._ZN7rocprim17ROCPRIM_400000_NS6detail17trampoline_kernelINS0_14default_configENS1_35radix_sort_onesweep_config_selectorIlNS0_10empty_typeEEEZZNS1_29radix_sort_onesweep_iterationIS3_Lb1EPKlPlPS5_SB_mNS0_19identity_decomposerENS1_16block_id_wrapperIjLb0EEEEE10hipError_tT1_PNSt15iterator_traitsISG_E10value_typeET2_T3_PNSH_ISM_E10value_typeET4_T5_PSR_SS_PNS1_23onesweep_lookback_stateEbbT6_jjT7_P12ihipStream_tbENKUlT_T0_SG_SL_E_clIS9_SA_SB_SB_EEDaSZ_S10_SG_SL_EUlSZ_E_NS1_11comp_targetILNS1_3genE6ELNS1_11target_archE950ELNS1_3gpuE13ELNS1_3repE0EEENS1_47radix_sort_onesweep_sort_config_static_selectorELNS0_4arch9wavefront6targetE0EEEvSG_,"axG",@progbits,_ZN7rocprim17ROCPRIM_400000_NS6detail17trampoline_kernelINS0_14default_configENS1_35radix_sort_onesweep_config_selectorIlNS0_10empty_typeEEEZZNS1_29radix_sort_onesweep_iterationIS3_Lb1EPKlPlPS5_SB_mNS0_19identity_decomposerENS1_16block_id_wrapperIjLb0EEEEE10hipError_tT1_PNSt15iterator_traitsISG_E10value_typeET2_T3_PNSH_ISM_E10value_typeET4_T5_PSR_SS_PNS1_23onesweep_lookback_stateEbbT6_jjT7_P12ihipStream_tbENKUlT_T0_SG_SL_E_clIS9_SA_SB_SB_EEDaSZ_S10_SG_SL_EUlSZ_E_NS1_11comp_targetILNS1_3genE6ELNS1_11target_archE950ELNS1_3gpuE13ELNS1_3repE0EEENS1_47radix_sort_onesweep_sort_config_static_selectorELNS0_4arch9wavefront6targetE0EEEvSG_,comdat
.Lfunc_end1115:
	.size	_ZN7rocprim17ROCPRIM_400000_NS6detail17trampoline_kernelINS0_14default_configENS1_35radix_sort_onesweep_config_selectorIlNS0_10empty_typeEEEZZNS1_29radix_sort_onesweep_iterationIS3_Lb1EPKlPlPS5_SB_mNS0_19identity_decomposerENS1_16block_id_wrapperIjLb0EEEEE10hipError_tT1_PNSt15iterator_traitsISG_E10value_typeET2_T3_PNSH_ISM_E10value_typeET4_T5_PSR_SS_PNS1_23onesweep_lookback_stateEbbT6_jjT7_P12ihipStream_tbENKUlT_T0_SG_SL_E_clIS9_SA_SB_SB_EEDaSZ_S10_SG_SL_EUlSZ_E_NS1_11comp_targetILNS1_3genE6ELNS1_11target_archE950ELNS1_3gpuE13ELNS1_3repE0EEENS1_47radix_sort_onesweep_sort_config_static_selectorELNS0_4arch9wavefront6targetE0EEEvSG_, .Lfunc_end1115-_ZN7rocprim17ROCPRIM_400000_NS6detail17trampoline_kernelINS0_14default_configENS1_35radix_sort_onesweep_config_selectorIlNS0_10empty_typeEEEZZNS1_29radix_sort_onesweep_iterationIS3_Lb1EPKlPlPS5_SB_mNS0_19identity_decomposerENS1_16block_id_wrapperIjLb0EEEEE10hipError_tT1_PNSt15iterator_traitsISG_E10value_typeET2_T3_PNSH_ISM_E10value_typeET4_T5_PSR_SS_PNS1_23onesweep_lookback_stateEbbT6_jjT7_P12ihipStream_tbENKUlT_T0_SG_SL_E_clIS9_SA_SB_SB_EEDaSZ_S10_SG_SL_EUlSZ_E_NS1_11comp_targetILNS1_3genE6ELNS1_11target_archE950ELNS1_3gpuE13ELNS1_3repE0EEENS1_47radix_sort_onesweep_sort_config_static_selectorELNS0_4arch9wavefront6targetE0EEEvSG_
                                        ; -- End function
	.set _ZN7rocprim17ROCPRIM_400000_NS6detail17trampoline_kernelINS0_14default_configENS1_35radix_sort_onesweep_config_selectorIlNS0_10empty_typeEEEZZNS1_29radix_sort_onesweep_iterationIS3_Lb1EPKlPlPS5_SB_mNS0_19identity_decomposerENS1_16block_id_wrapperIjLb0EEEEE10hipError_tT1_PNSt15iterator_traitsISG_E10value_typeET2_T3_PNSH_ISM_E10value_typeET4_T5_PSR_SS_PNS1_23onesweep_lookback_stateEbbT6_jjT7_P12ihipStream_tbENKUlT_T0_SG_SL_E_clIS9_SA_SB_SB_EEDaSZ_S10_SG_SL_EUlSZ_E_NS1_11comp_targetILNS1_3genE6ELNS1_11target_archE950ELNS1_3gpuE13ELNS1_3repE0EEENS1_47radix_sort_onesweep_sort_config_static_selectorELNS0_4arch9wavefront6targetE0EEEvSG_.num_vgpr, 0
	.set _ZN7rocprim17ROCPRIM_400000_NS6detail17trampoline_kernelINS0_14default_configENS1_35radix_sort_onesweep_config_selectorIlNS0_10empty_typeEEEZZNS1_29radix_sort_onesweep_iterationIS3_Lb1EPKlPlPS5_SB_mNS0_19identity_decomposerENS1_16block_id_wrapperIjLb0EEEEE10hipError_tT1_PNSt15iterator_traitsISG_E10value_typeET2_T3_PNSH_ISM_E10value_typeET4_T5_PSR_SS_PNS1_23onesweep_lookback_stateEbbT6_jjT7_P12ihipStream_tbENKUlT_T0_SG_SL_E_clIS9_SA_SB_SB_EEDaSZ_S10_SG_SL_EUlSZ_E_NS1_11comp_targetILNS1_3genE6ELNS1_11target_archE950ELNS1_3gpuE13ELNS1_3repE0EEENS1_47radix_sort_onesweep_sort_config_static_selectorELNS0_4arch9wavefront6targetE0EEEvSG_.num_agpr, 0
	.set _ZN7rocprim17ROCPRIM_400000_NS6detail17trampoline_kernelINS0_14default_configENS1_35radix_sort_onesweep_config_selectorIlNS0_10empty_typeEEEZZNS1_29radix_sort_onesweep_iterationIS3_Lb1EPKlPlPS5_SB_mNS0_19identity_decomposerENS1_16block_id_wrapperIjLb0EEEEE10hipError_tT1_PNSt15iterator_traitsISG_E10value_typeET2_T3_PNSH_ISM_E10value_typeET4_T5_PSR_SS_PNS1_23onesweep_lookback_stateEbbT6_jjT7_P12ihipStream_tbENKUlT_T0_SG_SL_E_clIS9_SA_SB_SB_EEDaSZ_S10_SG_SL_EUlSZ_E_NS1_11comp_targetILNS1_3genE6ELNS1_11target_archE950ELNS1_3gpuE13ELNS1_3repE0EEENS1_47radix_sort_onesweep_sort_config_static_selectorELNS0_4arch9wavefront6targetE0EEEvSG_.numbered_sgpr, 0
	.set _ZN7rocprim17ROCPRIM_400000_NS6detail17trampoline_kernelINS0_14default_configENS1_35radix_sort_onesweep_config_selectorIlNS0_10empty_typeEEEZZNS1_29radix_sort_onesweep_iterationIS3_Lb1EPKlPlPS5_SB_mNS0_19identity_decomposerENS1_16block_id_wrapperIjLb0EEEEE10hipError_tT1_PNSt15iterator_traitsISG_E10value_typeET2_T3_PNSH_ISM_E10value_typeET4_T5_PSR_SS_PNS1_23onesweep_lookback_stateEbbT6_jjT7_P12ihipStream_tbENKUlT_T0_SG_SL_E_clIS9_SA_SB_SB_EEDaSZ_S10_SG_SL_EUlSZ_E_NS1_11comp_targetILNS1_3genE6ELNS1_11target_archE950ELNS1_3gpuE13ELNS1_3repE0EEENS1_47radix_sort_onesweep_sort_config_static_selectorELNS0_4arch9wavefront6targetE0EEEvSG_.num_named_barrier, 0
	.set _ZN7rocprim17ROCPRIM_400000_NS6detail17trampoline_kernelINS0_14default_configENS1_35radix_sort_onesweep_config_selectorIlNS0_10empty_typeEEEZZNS1_29radix_sort_onesweep_iterationIS3_Lb1EPKlPlPS5_SB_mNS0_19identity_decomposerENS1_16block_id_wrapperIjLb0EEEEE10hipError_tT1_PNSt15iterator_traitsISG_E10value_typeET2_T3_PNSH_ISM_E10value_typeET4_T5_PSR_SS_PNS1_23onesweep_lookback_stateEbbT6_jjT7_P12ihipStream_tbENKUlT_T0_SG_SL_E_clIS9_SA_SB_SB_EEDaSZ_S10_SG_SL_EUlSZ_E_NS1_11comp_targetILNS1_3genE6ELNS1_11target_archE950ELNS1_3gpuE13ELNS1_3repE0EEENS1_47radix_sort_onesweep_sort_config_static_selectorELNS0_4arch9wavefront6targetE0EEEvSG_.private_seg_size, 0
	.set _ZN7rocprim17ROCPRIM_400000_NS6detail17trampoline_kernelINS0_14default_configENS1_35radix_sort_onesweep_config_selectorIlNS0_10empty_typeEEEZZNS1_29radix_sort_onesweep_iterationIS3_Lb1EPKlPlPS5_SB_mNS0_19identity_decomposerENS1_16block_id_wrapperIjLb0EEEEE10hipError_tT1_PNSt15iterator_traitsISG_E10value_typeET2_T3_PNSH_ISM_E10value_typeET4_T5_PSR_SS_PNS1_23onesweep_lookback_stateEbbT6_jjT7_P12ihipStream_tbENKUlT_T0_SG_SL_E_clIS9_SA_SB_SB_EEDaSZ_S10_SG_SL_EUlSZ_E_NS1_11comp_targetILNS1_3genE6ELNS1_11target_archE950ELNS1_3gpuE13ELNS1_3repE0EEENS1_47radix_sort_onesweep_sort_config_static_selectorELNS0_4arch9wavefront6targetE0EEEvSG_.uses_vcc, 0
	.set _ZN7rocprim17ROCPRIM_400000_NS6detail17trampoline_kernelINS0_14default_configENS1_35radix_sort_onesweep_config_selectorIlNS0_10empty_typeEEEZZNS1_29radix_sort_onesweep_iterationIS3_Lb1EPKlPlPS5_SB_mNS0_19identity_decomposerENS1_16block_id_wrapperIjLb0EEEEE10hipError_tT1_PNSt15iterator_traitsISG_E10value_typeET2_T3_PNSH_ISM_E10value_typeET4_T5_PSR_SS_PNS1_23onesweep_lookback_stateEbbT6_jjT7_P12ihipStream_tbENKUlT_T0_SG_SL_E_clIS9_SA_SB_SB_EEDaSZ_S10_SG_SL_EUlSZ_E_NS1_11comp_targetILNS1_3genE6ELNS1_11target_archE950ELNS1_3gpuE13ELNS1_3repE0EEENS1_47radix_sort_onesweep_sort_config_static_selectorELNS0_4arch9wavefront6targetE0EEEvSG_.uses_flat_scratch, 0
	.set _ZN7rocprim17ROCPRIM_400000_NS6detail17trampoline_kernelINS0_14default_configENS1_35radix_sort_onesweep_config_selectorIlNS0_10empty_typeEEEZZNS1_29radix_sort_onesweep_iterationIS3_Lb1EPKlPlPS5_SB_mNS0_19identity_decomposerENS1_16block_id_wrapperIjLb0EEEEE10hipError_tT1_PNSt15iterator_traitsISG_E10value_typeET2_T3_PNSH_ISM_E10value_typeET4_T5_PSR_SS_PNS1_23onesweep_lookback_stateEbbT6_jjT7_P12ihipStream_tbENKUlT_T0_SG_SL_E_clIS9_SA_SB_SB_EEDaSZ_S10_SG_SL_EUlSZ_E_NS1_11comp_targetILNS1_3genE6ELNS1_11target_archE950ELNS1_3gpuE13ELNS1_3repE0EEENS1_47radix_sort_onesweep_sort_config_static_selectorELNS0_4arch9wavefront6targetE0EEEvSG_.has_dyn_sized_stack, 0
	.set _ZN7rocprim17ROCPRIM_400000_NS6detail17trampoline_kernelINS0_14default_configENS1_35radix_sort_onesweep_config_selectorIlNS0_10empty_typeEEEZZNS1_29radix_sort_onesweep_iterationIS3_Lb1EPKlPlPS5_SB_mNS0_19identity_decomposerENS1_16block_id_wrapperIjLb0EEEEE10hipError_tT1_PNSt15iterator_traitsISG_E10value_typeET2_T3_PNSH_ISM_E10value_typeET4_T5_PSR_SS_PNS1_23onesweep_lookback_stateEbbT6_jjT7_P12ihipStream_tbENKUlT_T0_SG_SL_E_clIS9_SA_SB_SB_EEDaSZ_S10_SG_SL_EUlSZ_E_NS1_11comp_targetILNS1_3genE6ELNS1_11target_archE950ELNS1_3gpuE13ELNS1_3repE0EEENS1_47radix_sort_onesweep_sort_config_static_selectorELNS0_4arch9wavefront6targetE0EEEvSG_.has_recursion, 0
	.set _ZN7rocprim17ROCPRIM_400000_NS6detail17trampoline_kernelINS0_14default_configENS1_35radix_sort_onesweep_config_selectorIlNS0_10empty_typeEEEZZNS1_29radix_sort_onesweep_iterationIS3_Lb1EPKlPlPS5_SB_mNS0_19identity_decomposerENS1_16block_id_wrapperIjLb0EEEEE10hipError_tT1_PNSt15iterator_traitsISG_E10value_typeET2_T3_PNSH_ISM_E10value_typeET4_T5_PSR_SS_PNS1_23onesweep_lookback_stateEbbT6_jjT7_P12ihipStream_tbENKUlT_T0_SG_SL_E_clIS9_SA_SB_SB_EEDaSZ_S10_SG_SL_EUlSZ_E_NS1_11comp_targetILNS1_3genE6ELNS1_11target_archE950ELNS1_3gpuE13ELNS1_3repE0EEENS1_47radix_sort_onesweep_sort_config_static_selectorELNS0_4arch9wavefront6targetE0EEEvSG_.has_indirect_call, 0
	.section	.AMDGPU.csdata,"",@progbits
; Kernel info:
; codeLenInByte = 0
; TotalNumSgprs: 0
; NumVgprs: 0
; ScratchSize: 0
; MemoryBound: 0
; FloatMode: 240
; IeeeMode: 1
; LDSByteSize: 0 bytes/workgroup (compile time only)
; SGPRBlocks: 0
; VGPRBlocks: 0
; NumSGPRsForWavesPerEU: 1
; NumVGPRsForWavesPerEU: 1
; NamedBarCnt: 0
; Occupancy: 16
; WaveLimiterHint : 0
; COMPUTE_PGM_RSRC2:SCRATCH_EN: 0
; COMPUTE_PGM_RSRC2:USER_SGPR: 2
; COMPUTE_PGM_RSRC2:TRAP_HANDLER: 0
; COMPUTE_PGM_RSRC2:TGID_X_EN: 1
; COMPUTE_PGM_RSRC2:TGID_Y_EN: 0
; COMPUTE_PGM_RSRC2:TGID_Z_EN: 0
; COMPUTE_PGM_RSRC2:TIDIG_COMP_CNT: 0
	.section	.text._ZN7rocprim17ROCPRIM_400000_NS6detail17trampoline_kernelINS0_14default_configENS1_35radix_sort_onesweep_config_selectorIlNS0_10empty_typeEEEZZNS1_29radix_sort_onesweep_iterationIS3_Lb1EPKlPlPS5_SB_mNS0_19identity_decomposerENS1_16block_id_wrapperIjLb0EEEEE10hipError_tT1_PNSt15iterator_traitsISG_E10value_typeET2_T3_PNSH_ISM_E10value_typeET4_T5_PSR_SS_PNS1_23onesweep_lookback_stateEbbT6_jjT7_P12ihipStream_tbENKUlT_T0_SG_SL_E_clIS9_SA_SB_SB_EEDaSZ_S10_SG_SL_EUlSZ_E_NS1_11comp_targetILNS1_3genE5ELNS1_11target_archE942ELNS1_3gpuE9ELNS1_3repE0EEENS1_47radix_sort_onesweep_sort_config_static_selectorELNS0_4arch9wavefront6targetE0EEEvSG_,"axG",@progbits,_ZN7rocprim17ROCPRIM_400000_NS6detail17trampoline_kernelINS0_14default_configENS1_35radix_sort_onesweep_config_selectorIlNS0_10empty_typeEEEZZNS1_29radix_sort_onesweep_iterationIS3_Lb1EPKlPlPS5_SB_mNS0_19identity_decomposerENS1_16block_id_wrapperIjLb0EEEEE10hipError_tT1_PNSt15iterator_traitsISG_E10value_typeET2_T3_PNSH_ISM_E10value_typeET4_T5_PSR_SS_PNS1_23onesweep_lookback_stateEbbT6_jjT7_P12ihipStream_tbENKUlT_T0_SG_SL_E_clIS9_SA_SB_SB_EEDaSZ_S10_SG_SL_EUlSZ_E_NS1_11comp_targetILNS1_3genE5ELNS1_11target_archE942ELNS1_3gpuE9ELNS1_3repE0EEENS1_47radix_sort_onesweep_sort_config_static_selectorELNS0_4arch9wavefront6targetE0EEEvSG_,comdat
	.protected	_ZN7rocprim17ROCPRIM_400000_NS6detail17trampoline_kernelINS0_14default_configENS1_35radix_sort_onesweep_config_selectorIlNS0_10empty_typeEEEZZNS1_29radix_sort_onesweep_iterationIS3_Lb1EPKlPlPS5_SB_mNS0_19identity_decomposerENS1_16block_id_wrapperIjLb0EEEEE10hipError_tT1_PNSt15iterator_traitsISG_E10value_typeET2_T3_PNSH_ISM_E10value_typeET4_T5_PSR_SS_PNS1_23onesweep_lookback_stateEbbT6_jjT7_P12ihipStream_tbENKUlT_T0_SG_SL_E_clIS9_SA_SB_SB_EEDaSZ_S10_SG_SL_EUlSZ_E_NS1_11comp_targetILNS1_3genE5ELNS1_11target_archE942ELNS1_3gpuE9ELNS1_3repE0EEENS1_47radix_sort_onesweep_sort_config_static_selectorELNS0_4arch9wavefront6targetE0EEEvSG_ ; -- Begin function _ZN7rocprim17ROCPRIM_400000_NS6detail17trampoline_kernelINS0_14default_configENS1_35radix_sort_onesweep_config_selectorIlNS0_10empty_typeEEEZZNS1_29radix_sort_onesweep_iterationIS3_Lb1EPKlPlPS5_SB_mNS0_19identity_decomposerENS1_16block_id_wrapperIjLb0EEEEE10hipError_tT1_PNSt15iterator_traitsISG_E10value_typeET2_T3_PNSH_ISM_E10value_typeET4_T5_PSR_SS_PNS1_23onesweep_lookback_stateEbbT6_jjT7_P12ihipStream_tbENKUlT_T0_SG_SL_E_clIS9_SA_SB_SB_EEDaSZ_S10_SG_SL_EUlSZ_E_NS1_11comp_targetILNS1_3genE5ELNS1_11target_archE942ELNS1_3gpuE9ELNS1_3repE0EEENS1_47radix_sort_onesweep_sort_config_static_selectorELNS0_4arch9wavefront6targetE0EEEvSG_
	.globl	_ZN7rocprim17ROCPRIM_400000_NS6detail17trampoline_kernelINS0_14default_configENS1_35radix_sort_onesweep_config_selectorIlNS0_10empty_typeEEEZZNS1_29radix_sort_onesweep_iterationIS3_Lb1EPKlPlPS5_SB_mNS0_19identity_decomposerENS1_16block_id_wrapperIjLb0EEEEE10hipError_tT1_PNSt15iterator_traitsISG_E10value_typeET2_T3_PNSH_ISM_E10value_typeET4_T5_PSR_SS_PNS1_23onesweep_lookback_stateEbbT6_jjT7_P12ihipStream_tbENKUlT_T0_SG_SL_E_clIS9_SA_SB_SB_EEDaSZ_S10_SG_SL_EUlSZ_E_NS1_11comp_targetILNS1_3genE5ELNS1_11target_archE942ELNS1_3gpuE9ELNS1_3repE0EEENS1_47radix_sort_onesweep_sort_config_static_selectorELNS0_4arch9wavefront6targetE0EEEvSG_
	.p2align	8
	.type	_ZN7rocprim17ROCPRIM_400000_NS6detail17trampoline_kernelINS0_14default_configENS1_35radix_sort_onesweep_config_selectorIlNS0_10empty_typeEEEZZNS1_29radix_sort_onesweep_iterationIS3_Lb1EPKlPlPS5_SB_mNS0_19identity_decomposerENS1_16block_id_wrapperIjLb0EEEEE10hipError_tT1_PNSt15iterator_traitsISG_E10value_typeET2_T3_PNSH_ISM_E10value_typeET4_T5_PSR_SS_PNS1_23onesweep_lookback_stateEbbT6_jjT7_P12ihipStream_tbENKUlT_T0_SG_SL_E_clIS9_SA_SB_SB_EEDaSZ_S10_SG_SL_EUlSZ_E_NS1_11comp_targetILNS1_3genE5ELNS1_11target_archE942ELNS1_3gpuE9ELNS1_3repE0EEENS1_47radix_sort_onesweep_sort_config_static_selectorELNS0_4arch9wavefront6targetE0EEEvSG_,@function
_ZN7rocprim17ROCPRIM_400000_NS6detail17trampoline_kernelINS0_14default_configENS1_35radix_sort_onesweep_config_selectorIlNS0_10empty_typeEEEZZNS1_29radix_sort_onesweep_iterationIS3_Lb1EPKlPlPS5_SB_mNS0_19identity_decomposerENS1_16block_id_wrapperIjLb0EEEEE10hipError_tT1_PNSt15iterator_traitsISG_E10value_typeET2_T3_PNSH_ISM_E10value_typeET4_T5_PSR_SS_PNS1_23onesweep_lookback_stateEbbT6_jjT7_P12ihipStream_tbENKUlT_T0_SG_SL_E_clIS9_SA_SB_SB_EEDaSZ_S10_SG_SL_EUlSZ_E_NS1_11comp_targetILNS1_3genE5ELNS1_11target_archE942ELNS1_3gpuE9ELNS1_3repE0EEENS1_47radix_sort_onesweep_sort_config_static_selectorELNS0_4arch9wavefront6targetE0EEEvSG_: ; @_ZN7rocprim17ROCPRIM_400000_NS6detail17trampoline_kernelINS0_14default_configENS1_35radix_sort_onesweep_config_selectorIlNS0_10empty_typeEEEZZNS1_29radix_sort_onesweep_iterationIS3_Lb1EPKlPlPS5_SB_mNS0_19identity_decomposerENS1_16block_id_wrapperIjLb0EEEEE10hipError_tT1_PNSt15iterator_traitsISG_E10value_typeET2_T3_PNSH_ISM_E10value_typeET4_T5_PSR_SS_PNS1_23onesweep_lookback_stateEbbT6_jjT7_P12ihipStream_tbENKUlT_T0_SG_SL_E_clIS9_SA_SB_SB_EEDaSZ_S10_SG_SL_EUlSZ_E_NS1_11comp_targetILNS1_3genE5ELNS1_11target_archE942ELNS1_3gpuE9ELNS1_3repE0EEENS1_47radix_sort_onesweep_sort_config_static_selectorELNS0_4arch9wavefront6targetE0EEEvSG_
; %bb.0:
	.section	.rodata,"a",@progbits
	.p2align	6, 0x0
	.amdhsa_kernel _ZN7rocprim17ROCPRIM_400000_NS6detail17trampoline_kernelINS0_14default_configENS1_35radix_sort_onesweep_config_selectorIlNS0_10empty_typeEEEZZNS1_29radix_sort_onesweep_iterationIS3_Lb1EPKlPlPS5_SB_mNS0_19identity_decomposerENS1_16block_id_wrapperIjLb0EEEEE10hipError_tT1_PNSt15iterator_traitsISG_E10value_typeET2_T3_PNSH_ISM_E10value_typeET4_T5_PSR_SS_PNS1_23onesweep_lookback_stateEbbT6_jjT7_P12ihipStream_tbENKUlT_T0_SG_SL_E_clIS9_SA_SB_SB_EEDaSZ_S10_SG_SL_EUlSZ_E_NS1_11comp_targetILNS1_3genE5ELNS1_11target_archE942ELNS1_3gpuE9ELNS1_3repE0EEENS1_47radix_sort_onesweep_sort_config_static_selectorELNS0_4arch9wavefront6targetE0EEEvSG_
		.amdhsa_group_segment_fixed_size 0
		.amdhsa_private_segment_fixed_size 0
		.amdhsa_kernarg_size 88
		.amdhsa_user_sgpr_count 2
		.amdhsa_user_sgpr_dispatch_ptr 0
		.amdhsa_user_sgpr_queue_ptr 0
		.amdhsa_user_sgpr_kernarg_segment_ptr 1
		.amdhsa_user_sgpr_dispatch_id 0
		.amdhsa_user_sgpr_kernarg_preload_length 0
		.amdhsa_user_sgpr_kernarg_preload_offset 0
		.amdhsa_user_sgpr_private_segment_size 0
		.amdhsa_wavefront_size32 1
		.amdhsa_uses_dynamic_stack 0
		.amdhsa_enable_private_segment 0
		.amdhsa_system_sgpr_workgroup_id_x 1
		.amdhsa_system_sgpr_workgroup_id_y 0
		.amdhsa_system_sgpr_workgroup_id_z 0
		.amdhsa_system_sgpr_workgroup_info 0
		.amdhsa_system_vgpr_workitem_id 0
		.amdhsa_next_free_vgpr 1
		.amdhsa_next_free_sgpr 1
		.amdhsa_named_barrier_count 0
		.amdhsa_reserve_vcc 0
		.amdhsa_float_round_mode_32 0
		.amdhsa_float_round_mode_16_64 0
		.amdhsa_float_denorm_mode_32 3
		.amdhsa_float_denorm_mode_16_64 3
		.amdhsa_fp16_overflow 0
		.amdhsa_memory_ordered 1
		.amdhsa_forward_progress 1
		.amdhsa_inst_pref_size 0
		.amdhsa_round_robin_scheduling 0
		.amdhsa_exception_fp_ieee_invalid_op 0
		.amdhsa_exception_fp_denorm_src 0
		.amdhsa_exception_fp_ieee_div_zero 0
		.amdhsa_exception_fp_ieee_overflow 0
		.amdhsa_exception_fp_ieee_underflow 0
		.amdhsa_exception_fp_ieee_inexact 0
		.amdhsa_exception_int_div_zero 0
	.end_amdhsa_kernel
	.section	.text._ZN7rocprim17ROCPRIM_400000_NS6detail17trampoline_kernelINS0_14default_configENS1_35radix_sort_onesweep_config_selectorIlNS0_10empty_typeEEEZZNS1_29radix_sort_onesweep_iterationIS3_Lb1EPKlPlPS5_SB_mNS0_19identity_decomposerENS1_16block_id_wrapperIjLb0EEEEE10hipError_tT1_PNSt15iterator_traitsISG_E10value_typeET2_T3_PNSH_ISM_E10value_typeET4_T5_PSR_SS_PNS1_23onesweep_lookback_stateEbbT6_jjT7_P12ihipStream_tbENKUlT_T0_SG_SL_E_clIS9_SA_SB_SB_EEDaSZ_S10_SG_SL_EUlSZ_E_NS1_11comp_targetILNS1_3genE5ELNS1_11target_archE942ELNS1_3gpuE9ELNS1_3repE0EEENS1_47radix_sort_onesweep_sort_config_static_selectorELNS0_4arch9wavefront6targetE0EEEvSG_,"axG",@progbits,_ZN7rocprim17ROCPRIM_400000_NS6detail17trampoline_kernelINS0_14default_configENS1_35radix_sort_onesweep_config_selectorIlNS0_10empty_typeEEEZZNS1_29radix_sort_onesweep_iterationIS3_Lb1EPKlPlPS5_SB_mNS0_19identity_decomposerENS1_16block_id_wrapperIjLb0EEEEE10hipError_tT1_PNSt15iterator_traitsISG_E10value_typeET2_T3_PNSH_ISM_E10value_typeET4_T5_PSR_SS_PNS1_23onesweep_lookback_stateEbbT6_jjT7_P12ihipStream_tbENKUlT_T0_SG_SL_E_clIS9_SA_SB_SB_EEDaSZ_S10_SG_SL_EUlSZ_E_NS1_11comp_targetILNS1_3genE5ELNS1_11target_archE942ELNS1_3gpuE9ELNS1_3repE0EEENS1_47radix_sort_onesweep_sort_config_static_selectorELNS0_4arch9wavefront6targetE0EEEvSG_,comdat
.Lfunc_end1116:
	.size	_ZN7rocprim17ROCPRIM_400000_NS6detail17trampoline_kernelINS0_14default_configENS1_35radix_sort_onesweep_config_selectorIlNS0_10empty_typeEEEZZNS1_29radix_sort_onesweep_iterationIS3_Lb1EPKlPlPS5_SB_mNS0_19identity_decomposerENS1_16block_id_wrapperIjLb0EEEEE10hipError_tT1_PNSt15iterator_traitsISG_E10value_typeET2_T3_PNSH_ISM_E10value_typeET4_T5_PSR_SS_PNS1_23onesweep_lookback_stateEbbT6_jjT7_P12ihipStream_tbENKUlT_T0_SG_SL_E_clIS9_SA_SB_SB_EEDaSZ_S10_SG_SL_EUlSZ_E_NS1_11comp_targetILNS1_3genE5ELNS1_11target_archE942ELNS1_3gpuE9ELNS1_3repE0EEENS1_47radix_sort_onesweep_sort_config_static_selectorELNS0_4arch9wavefront6targetE0EEEvSG_, .Lfunc_end1116-_ZN7rocprim17ROCPRIM_400000_NS6detail17trampoline_kernelINS0_14default_configENS1_35radix_sort_onesweep_config_selectorIlNS0_10empty_typeEEEZZNS1_29radix_sort_onesweep_iterationIS3_Lb1EPKlPlPS5_SB_mNS0_19identity_decomposerENS1_16block_id_wrapperIjLb0EEEEE10hipError_tT1_PNSt15iterator_traitsISG_E10value_typeET2_T3_PNSH_ISM_E10value_typeET4_T5_PSR_SS_PNS1_23onesweep_lookback_stateEbbT6_jjT7_P12ihipStream_tbENKUlT_T0_SG_SL_E_clIS9_SA_SB_SB_EEDaSZ_S10_SG_SL_EUlSZ_E_NS1_11comp_targetILNS1_3genE5ELNS1_11target_archE942ELNS1_3gpuE9ELNS1_3repE0EEENS1_47radix_sort_onesweep_sort_config_static_selectorELNS0_4arch9wavefront6targetE0EEEvSG_
                                        ; -- End function
	.set _ZN7rocprim17ROCPRIM_400000_NS6detail17trampoline_kernelINS0_14default_configENS1_35radix_sort_onesweep_config_selectorIlNS0_10empty_typeEEEZZNS1_29radix_sort_onesweep_iterationIS3_Lb1EPKlPlPS5_SB_mNS0_19identity_decomposerENS1_16block_id_wrapperIjLb0EEEEE10hipError_tT1_PNSt15iterator_traitsISG_E10value_typeET2_T3_PNSH_ISM_E10value_typeET4_T5_PSR_SS_PNS1_23onesweep_lookback_stateEbbT6_jjT7_P12ihipStream_tbENKUlT_T0_SG_SL_E_clIS9_SA_SB_SB_EEDaSZ_S10_SG_SL_EUlSZ_E_NS1_11comp_targetILNS1_3genE5ELNS1_11target_archE942ELNS1_3gpuE9ELNS1_3repE0EEENS1_47radix_sort_onesweep_sort_config_static_selectorELNS0_4arch9wavefront6targetE0EEEvSG_.num_vgpr, 0
	.set _ZN7rocprim17ROCPRIM_400000_NS6detail17trampoline_kernelINS0_14default_configENS1_35radix_sort_onesweep_config_selectorIlNS0_10empty_typeEEEZZNS1_29radix_sort_onesweep_iterationIS3_Lb1EPKlPlPS5_SB_mNS0_19identity_decomposerENS1_16block_id_wrapperIjLb0EEEEE10hipError_tT1_PNSt15iterator_traitsISG_E10value_typeET2_T3_PNSH_ISM_E10value_typeET4_T5_PSR_SS_PNS1_23onesweep_lookback_stateEbbT6_jjT7_P12ihipStream_tbENKUlT_T0_SG_SL_E_clIS9_SA_SB_SB_EEDaSZ_S10_SG_SL_EUlSZ_E_NS1_11comp_targetILNS1_3genE5ELNS1_11target_archE942ELNS1_3gpuE9ELNS1_3repE0EEENS1_47radix_sort_onesweep_sort_config_static_selectorELNS0_4arch9wavefront6targetE0EEEvSG_.num_agpr, 0
	.set _ZN7rocprim17ROCPRIM_400000_NS6detail17trampoline_kernelINS0_14default_configENS1_35radix_sort_onesweep_config_selectorIlNS0_10empty_typeEEEZZNS1_29radix_sort_onesweep_iterationIS3_Lb1EPKlPlPS5_SB_mNS0_19identity_decomposerENS1_16block_id_wrapperIjLb0EEEEE10hipError_tT1_PNSt15iterator_traitsISG_E10value_typeET2_T3_PNSH_ISM_E10value_typeET4_T5_PSR_SS_PNS1_23onesweep_lookback_stateEbbT6_jjT7_P12ihipStream_tbENKUlT_T0_SG_SL_E_clIS9_SA_SB_SB_EEDaSZ_S10_SG_SL_EUlSZ_E_NS1_11comp_targetILNS1_3genE5ELNS1_11target_archE942ELNS1_3gpuE9ELNS1_3repE0EEENS1_47radix_sort_onesweep_sort_config_static_selectorELNS0_4arch9wavefront6targetE0EEEvSG_.numbered_sgpr, 0
	.set _ZN7rocprim17ROCPRIM_400000_NS6detail17trampoline_kernelINS0_14default_configENS1_35radix_sort_onesweep_config_selectorIlNS0_10empty_typeEEEZZNS1_29radix_sort_onesweep_iterationIS3_Lb1EPKlPlPS5_SB_mNS0_19identity_decomposerENS1_16block_id_wrapperIjLb0EEEEE10hipError_tT1_PNSt15iterator_traitsISG_E10value_typeET2_T3_PNSH_ISM_E10value_typeET4_T5_PSR_SS_PNS1_23onesweep_lookback_stateEbbT6_jjT7_P12ihipStream_tbENKUlT_T0_SG_SL_E_clIS9_SA_SB_SB_EEDaSZ_S10_SG_SL_EUlSZ_E_NS1_11comp_targetILNS1_3genE5ELNS1_11target_archE942ELNS1_3gpuE9ELNS1_3repE0EEENS1_47radix_sort_onesweep_sort_config_static_selectorELNS0_4arch9wavefront6targetE0EEEvSG_.num_named_barrier, 0
	.set _ZN7rocprim17ROCPRIM_400000_NS6detail17trampoline_kernelINS0_14default_configENS1_35radix_sort_onesweep_config_selectorIlNS0_10empty_typeEEEZZNS1_29radix_sort_onesweep_iterationIS3_Lb1EPKlPlPS5_SB_mNS0_19identity_decomposerENS1_16block_id_wrapperIjLb0EEEEE10hipError_tT1_PNSt15iterator_traitsISG_E10value_typeET2_T3_PNSH_ISM_E10value_typeET4_T5_PSR_SS_PNS1_23onesweep_lookback_stateEbbT6_jjT7_P12ihipStream_tbENKUlT_T0_SG_SL_E_clIS9_SA_SB_SB_EEDaSZ_S10_SG_SL_EUlSZ_E_NS1_11comp_targetILNS1_3genE5ELNS1_11target_archE942ELNS1_3gpuE9ELNS1_3repE0EEENS1_47radix_sort_onesweep_sort_config_static_selectorELNS0_4arch9wavefront6targetE0EEEvSG_.private_seg_size, 0
	.set _ZN7rocprim17ROCPRIM_400000_NS6detail17trampoline_kernelINS0_14default_configENS1_35radix_sort_onesweep_config_selectorIlNS0_10empty_typeEEEZZNS1_29radix_sort_onesweep_iterationIS3_Lb1EPKlPlPS5_SB_mNS0_19identity_decomposerENS1_16block_id_wrapperIjLb0EEEEE10hipError_tT1_PNSt15iterator_traitsISG_E10value_typeET2_T3_PNSH_ISM_E10value_typeET4_T5_PSR_SS_PNS1_23onesweep_lookback_stateEbbT6_jjT7_P12ihipStream_tbENKUlT_T0_SG_SL_E_clIS9_SA_SB_SB_EEDaSZ_S10_SG_SL_EUlSZ_E_NS1_11comp_targetILNS1_3genE5ELNS1_11target_archE942ELNS1_3gpuE9ELNS1_3repE0EEENS1_47radix_sort_onesweep_sort_config_static_selectorELNS0_4arch9wavefront6targetE0EEEvSG_.uses_vcc, 0
	.set _ZN7rocprim17ROCPRIM_400000_NS6detail17trampoline_kernelINS0_14default_configENS1_35radix_sort_onesweep_config_selectorIlNS0_10empty_typeEEEZZNS1_29radix_sort_onesweep_iterationIS3_Lb1EPKlPlPS5_SB_mNS0_19identity_decomposerENS1_16block_id_wrapperIjLb0EEEEE10hipError_tT1_PNSt15iterator_traitsISG_E10value_typeET2_T3_PNSH_ISM_E10value_typeET4_T5_PSR_SS_PNS1_23onesweep_lookback_stateEbbT6_jjT7_P12ihipStream_tbENKUlT_T0_SG_SL_E_clIS9_SA_SB_SB_EEDaSZ_S10_SG_SL_EUlSZ_E_NS1_11comp_targetILNS1_3genE5ELNS1_11target_archE942ELNS1_3gpuE9ELNS1_3repE0EEENS1_47radix_sort_onesweep_sort_config_static_selectorELNS0_4arch9wavefront6targetE0EEEvSG_.uses_flat_scratch, 0
	.set _ZN7rocprim17ROCPRIM_400000_NS6detail17trampoline_kernelINS0_14default_configENS1_35radix_sort_onesweep_config_selectorIlNS0_10empty_typeEEEZZNS1_29radix_sort_onesweep_iterationIS3_Lb1EPKlPlPS5_SB_mNS0_19identity_decomposerENS1_16block_id_wrapperIjLb0EEEEE10hipError_tT1_PNSt15iterator_traitsISG_E10value_typeET2_T3_PNSH_ISM_E10value_typeET4_T5_PSR_SS_PNS1_23onesweep_lookback_stateEbbT6_jjT7_P12ihipStream_tbENKUlT_T0_SG_SL_E_clIS9_SA_SB_SB_EEDaSZ_S10_SG_SL_EUlSZ_E_NS1_11comp_targetILNS1_3genE5ELNS1_11target_archE942ELNS1_3gpuE9ELNS1_3repE0EEENS1_47radix_sort_onesweep_sort_config_static_selectorELNS0_4arch9wavefront6targetE0EEEvSG_.has_dyn_sized_stack, 0
	.set _ZN7rocprim17ROCPRIM_400000_NS6detail17trampoline_kernelINS0_14default_configENS1_35radix_sort_onesweep_config_selectorIlNS0_10empty_typeEEEZZNS1_29radix_sort_onesweep_iterationIS3_Lb1EPKlPlPS5_SB_mNS0_19identity_decomposerENS1_16block_id_wrapperIjLb0EEEEE10hipError_tT1_PNSt15iterator_traitsISG_E10value_typeET2_T3_PNSH_ISM_E10value_typeET4_T5_PSR_SS_PNS1_23onesweep_lookback_stateEbbT6_jjT7_P12ihipStream_tbENKUlT_T0_SG_SL_E_clIS9_SA_SB_SB_EEDaSZ_S10_SG_SL_EUlSZ_E_NS1_11comp_targetILNS1_3genE5ELNS1_11target_archE942ELNS1_3gpuE9ELNS1_3repE0EEENS1_47radix_sort_onesweep_sort_config_static_selectorELNS0_4arch9wavefront6targetE0EEEvSG_.has_recursion, 0
	.set _ZN7rocprim17ROCPRIM_400000_NS6detail17trampoline_kernelINS0_14default_configENS1_35radix_sort_onesweep_config_selectorIlNS0_10empty_typeEEEZZNS1_29radix_sort_onesweep_iterationIS3_Lb1EPKlPlPS5_SB_mNS0_19identity_decomposerENS1_16block_id_wrapperIjLb0EEEEE10hipError_tT1_PNSt15iterator_traitsISG_E10value_typeET2_T3_PNSH_ISM_E10value_typeET4_T5_PSR_SS_PNS1_23onesweep_lookback_stateEbbT6_jjT7_P12ihipStream_tbENKUlT_T0_SG_SL_E_clIS9_SA_SB_SB_EEDaSZ_S10_SG_SL_EUlSZ_E_NS1_11comp_targetILNS1_3genE5ELNS1_11target_archE942ELNS1_3gpuE9ELNS1_3repE0EEENS1_47radix_sort_onesweep_sort_config_static_selectorELNS0_4arch9wavefront6targetE0EEEvSG_.has_indirect_call, 0
	.section	.AMDGPU.csdata,"",@progbits
; Kernel info:
; codeLenInByte = 0
; TotalNumSgprs: 0
; NumVgprs: 0
; ScratchSize: 0
; MemoryBound: 0
; FloatMode: 240
; IeeeMode: 1
; LDSByteSize: 0 bytes/workgroup (compile time only)
; SGPRBlocks: 0
; VGPRBlocks: 0
; NumSGPRsForWavesPerEU: 1
; NumVGPRsForWavesPerEU: 1
; NamedBarCnt: 0
; Occupancy: 16
; WaveLimiterHint : 0
; COMPUTE_PGM_RSRC2:SCRATCH_EN: 0
; COMPUTE_PGM_RSRC2:USER_SGPR: 2
; COMPUTE_PGM_RSRC2:TRAP_HANDLER: 0
; COMPUTE_PGM_RSRC2:TGID_X_EN: 1
; COMPUTE_PGM_RSRC2:TGID_Y_EN: 0
; COMPUTE_PGM_RSRC2:TGID_Z_EN: 0
; COMPUTE_PGM_RSRC2:TIDIG_COMP_CNT: 0
	.section	.text._ZN7rocprim17ROCPRIM_400000_NS6detail17trampoline_kernelINS0_14default_configENS1_35radix_sort_onesweep_config_selectorIlNS0_10empty_typeEEEZZNS1_29radix_sort_onesweep_iterationIS3_Lb1EPKlPlPS5_SB_mNS0_19identity_decomposerENS1_16block_id_wrapperIjLb0EEEEE10hipError_tT1_PNSt15iterator_traitsISG_E10value_typeET2_T3_PNSH_ISM_E10value_typeET4_T5_PSR_SS_PNS1_23onesweep_lookback_stateEbbT6_jjT7_P12ihipStream_tbENKUlT_T0_SG_SL_E_clIS9_SA_SB_SB_EEDaSZ_S10_SG_SL_EUlSZ_E_NS1_11comp_targetILNS1_3genE2ELNS1_11target_archE906ELNS1_3gpuE6ELNS1_3repE0EEENS1_47radix_sort_onesweep_sort_config_static_selectorELNS0_4arch9wavefront6targetE0EEEvSG_,"axG",@progbits,_ZN7rocprim17ROCPRIM_400000_NS6detail17trampoline_kernelINS0_14default_configENS1_35radix_sort_onesweep_config_selectorIlNS0_10empty_typeEEEZZNS1_29radix_sort_onesweep_iterationIS3_Lb1EPKlPlPS5_SB_mNS0_19identity_decomposerENS1_16block_id_wrapperIjLb0EEEEE10hipError_tT1_PNSt15iterator_traitsISG_E10value_typeET2_T3_PNSH_ISM_E10value_typeET4_T5_PSR_SS_PNS1_23onesweep_lookback_stateEbbT6_jjT7_P12ihipStream_tbENKUlT_T0_SG_SL_E_clIS9_SA_SB_SB_EEDaSZ_S10_SG_SL_EUlSZ_E_NS1_11comp_targetILNS1_3genE2ELNS1_11target_archE906ELNS1_3gpuE6ELNS1_3repE0EEENS1_47radix_sort_onesweep_sort_config_static_selectorELNS0_4arch9wavefront6targetE0EEEvSG_,comdat
	.protected	_ZN7rocprim17ROCPRIM_400000_NS6detail17trampoline_kernelINS0_14default_configENS1_35radix_sort_onesweep_config_selectorIlNS0_10empty_typeEEEZZNS1_29radix_sort_onesweep_iterationIS3_Lb1EPKlPlPS5_SB_mNS0_19identity_decomposerENS1_16block_id_wrapperIjLb0EEEEE10hipError_tT1_PNSt15iterator_traitsISG_E10value_typeET2_T3_PNSH_ISM_E10value_typeET4_T5_PSR_SS_PNS1_23onesweep_lookback_stateEbbT6_jjT7_P12ihipStream_tbENKUlT_T0_SG_SL_E_clIS9_SA_SB_SB_EEDaSZ_S10_SG_SL_EUlSZ_E_NS1_11comp_targetILNS1_3genE2ELNS1_11target_archE906ELNS1_3gpuE6ELNS1_3repE0EEENS1_47radix_sort_onesweep_sort_config_static_selectorELNS0_4arch9wavefront6targetE0EEEvSG_ ; -- Begin function _ZN7rocprim17ROCPRIM_400000_NS6detail17trampoline_kernelINS0_14default_configENS1_35radix_sort_onesweep_config_selectorIlNS0_10empty_typeEEEZZNS1_29radix_sort_onesweep_iterationIS3_Lb1EPKlPlPS5_SB_mNS0_19identity_decomposerENS1_16block_id_wrapperIjLb0EEEEE10hipError_tT1_PNSt15iterator_traitsISG_E10value_typeET2_T3_PNSH_ISM_E10value_typeET4_T5_PSR_SS_PNS1_23onesweep_lookback_stateEbbT6_jjT7_P12ihipStream_tbENKUlT_T0_SG_SL_E_clIS9_SA_SB_SB_EEDaSZ_S10_SG_SL_EUlSZ_E_NS1_11comp_targetILNS1_3genE2ELNS1_11target_archE906ELNS1_3gpuE6ELNS1_3repE0EEENS1_47radix_sort_onesweep_sort_config_static_selectorELNS0_4arch9wavefront6targetE0EEEvSG_
	.globl	_ZN7rocprim17ROCPRIM_400000_NS6detail17trampoline_kernelINS0_14default_configENS1_35radix_sort_onesweep_config_selectorIlNS0_10empty_typeEEEZZNS1_29radix_sort_onesweep_iterationIS3_Lb1EPKlPlPS5_SB_mNS0_19identity_decomposerENS1_16block_id_wrapperIjLb0EEEEE10hipError_tT1_PNSt15iterator_traitsISG_E10value_typeET2_T3_PNSH_ISM_E10value_typeET4_T5_PSR_SS_PNS1_23onesweep_lookback_stateEbbT6_jjT7_P12ihipStream_tbENKUlT_T0_SG_SL_E_clIS9_SA_SB_SB_EEDaSZ_S10_SG_SL_EUlSZ_E_NS1_11comp_targetILNS1_3genE2ELNS1_11target_archE906ELNS1_3gpuE6ELNS1_3repE0EEENS1_47radix_sort_onesweep_sort_config_static_selectorELNS0_4arch9wavefront6targetE0EEEvSG_
	.p2align	8
	.type	_ZN7rocprim17ROCPRIM_400000_NS6detail17trampoline_kernelINS0_14default_configENS1_35radix_sort_onesweep_config_selectorIlNS0_10empty_typeEEEZZNS1_29radix_sort_onesweep_iterationIS3_Lb1EPKlPlPS5_SB_mNS0_19identity_decomposerENS1_16block_id_wrapperIjLb0EEEEE10hipError_tT1_PNSt15iterator_traitsISG_E10value_typeET2_T3_PNSH_ISM_E10value_typeET4_T5_PSR_SS_PNS1_23onesweep_lookback_stateEbbT6_jjT7_P12ihipStream_tbENKUlT_T0_SG_SL_E_clIS9_SA_SB_SB_EEDaSZ_S10_SG_SL_EUlSZ_E_NS1_11comp_targetILNS1_3genE2ELNS1_11target_archE906ELNS1_3gpuE6ELNS1_3repE0EEENS1_47radix_sort_onesweep_sort_config_static_selectorELNS0_4arch9wavefront6targetE0EEEvSG_,@function
_ZN7rocprim17ROCPRIM_400000_NS6detail17trampoline_kernelINS0_14default_configENS1_35radix_sort_onesweep_config_selectorIlNS0_10empty_typeEEEZZNS1_29radix_sort_onesweep_iterationIS3_Lb1EPKlPlPS5_SB_mNS0_19identity_decomposerENS1_16block_id_wrapperIjLb0EEEEE10hipError_tT1_PNSt15iterator_traitsISG_E10value_typeET2_T3_PNSH_ISM_E10value_typeET4_T5_PSR_SS_PNS1_23onesweep_lookback_stateEbbT6_jjT7_P12ihipStream_tbENKUlT_T0_SG_SL_E_clIS9_SA_SB_SB_EEDaSZ_S10_SG_SL_EUlSZ_E_NS1_11comp_targetILNS1_3genE2ELNS1_11target_archE906ELNS1_3gpuE6ELNS1_3repE0EEENS1_47radix_sort_onesweep_sort_config_static_selectorELNS0_4arch9wavefront6targetE0EEEvSG_: ; @_ZN7rocprim17ROCPRIM_400000_NS6detail17trampoline_kernelINS0_14default_configENS1_35radix_sort_onesweep_config_selectorIlNS0_10empty_typeEEEZZNS1_29radix_sort_onesweep_iterationIS3_Lb1EPKlPlPS5_SB_mNS0_19identity_decomposerENS1_16block_id_wrapperIjLb0EEEEE10hipError_tT1_PNSt15iterator_traitsISG_E10value_typeET2_T3_PNSH_ISM_E10value_typeET4_T5_PSR_SS_PNS1_23onesweep_lookback_stateEbbT6_jjT7_P12ihipStream_tbENKUlT_T0_SG_SL_E_clIS9_SA_SB_SB_EEDaSZ_S10_SG_SL_EUlSZ_E_NS1_11comp_targetILNS1_3genE2ELNS1_11target_archE906ELNS1_3gpuE6ELNS1_3repE0EEENS1_47radix_sort_onesweep_sort_config_static_selectorELNS0_4arch9wavefront6targetE0EEEvSG_
; %bb.0:
	.section	.rodata,"a",@progbits
	.p2align	6, 0x0
	.amdhsa_kernel _ZN7rocprim17ROCPRIM_400000_NS6detail17trampoline_kernelINS0_14default_configENS1_35radix_sort_onesweep_config_selectorIlNS0_10empty_typeEEEZZNS1_29radix_sort_onesweep_iterationIS3_Lb1EPKlPlPS5_SB_mNS0_19identity_decomposerENS1_16block_id_wrapperIjLb0EEEEE10hipError_tT1_PNSt15iterator_traitsISG_E10value_typeET2_T3_PNSH_ISM_E10value_typeET4_T5_PSR_SS_PNS1_23onesweep_lookback_stateEbbT6_jjT7_P12ihipStream_tbENKUlT_T0_SG_SL_E_clIS9_SA_SB_SB_EEDaSZ_S10_SG_SL_EUlSZ_E_NS1_11comp_targetILNS1_3genE2ELNS1_11target_archE906ELNS1_3gpuE6ELNS1_3repE0EEENS1_47radix_sort_onesweep_sort_config_static_selectorELNS0_4arch9wavefront6targetE0EEEvSG_
		.amdhsa_group_segment_fixed_size 0
		.amdhsa_private_segment_fixed_size 0
		.amdhsa_kernarg_size 88
		.amdhsa_user_sgpr_count 2
		.amdhsa_user_sgpr_dispatch_ptr 0
		.amdhsa_user_sgpr_queue_ptr 0
		.amdhsa_user_sgpr_kernarg_segment_ptr 1
		.amdhsa_user_sgpr_dispatch_id 0
		.amdhsa_user_sgpr_kernarg_preload_length 0
		.amdhsa_user_sgpr_kernarg_preload_offset 0
		.amdhsa_user_sgpr_private_segment_size 0
		.amdhsa_wavefront_size32 1
		.amdhsa_uses_dynamic_stack 0
		.amdhsa_enable_private_segment 0
		.amdhsa_system_sgpr_workgroup_id_x 1
		.amdhsa_system_sgpr_workgroup_id_y 0
		.amdhsa_system_sgpr_workgroup_id_z 0
		.amdhsa_system_sgpr_workgroup_info 0
		.amdhsa_system_vgpr_workitem_id 0
		.amdhsa_next_free_vgpr 1
		.amdhsa_next_free_sgpr 1
		.amdhsa_named_barrier_count 0
		.amdhsa_reserve_vcc 0
		.amdhsa_float_round_mode_32 0
		.amdhsa_float_round_mode_16_64 0
		.amdhsa_float_denorm_mode_32 3
		.amdhsa_float_denorm_mode_16_64 3
		.amdhsa_fp16_overflow 0
		.amdhsa_memory_ordered 1
		.amdhsa_forward_progress 1
		.amdhsa_inst_pref_size 0
		.amdhsa_round_robin_scheduling 0
		.amdhsa_exception_fp_ieee_invalid_op 0
		.amdhsa_exception_fp_denorm_src 0
		.amdhsa_exception_fp_ieee_div_zero 0
		.amdhsa_exception_fp_ieee_overflow 0
		.amdhsa_exception_fp_ieee_underflow 0
		.amdhsa_exception_fp_ieee_inexact 0
		.amdhsa_exception_int_div_zero 0
	.end_amdhsa_kernel
	.section	.text._ZN7rocprim17ROCPRIM_400000_NS6detail17trampoline_kernelINS0_14default_configENS1_35radix_sort_onesweep_config_selectorIlNS0_10empty_typeEEEZZNS1_29radix_sort_onesweep_iterationIS3_Lb1EPKlPlPS5_SB_mNS0_19identity_decomposerENS1_16block_id_wrapperIjLb0EEEEE10hipError_tT1_PNSt15iterator_traitsISG_E10value_typeET2_T3_PNSH_ISM_E10value_typeET4_T5_PSR_SS_PNS1_23onesweep_lookback_stateEbbT6_jjT7_P12ihipStream_tbENKUlT_T0_SG_SL_E_clIS9_SA_SB_SB_EEDaSZ_S10_SG_SL_EUlSZ_E_NS1_11comp_targetILNS1_3genE2ELNS1_11target_archE906ELNS1_3gpuE6ELNS1_3repE0EEENS1_47radix_sort_onesweep_sort_config_static_selectorELNS0_4arch9wavefront6targetE0EEEvSG_,"axG",@progbits,_ZN7rocprim17ROCPRIM_400000_NS6detail17trampoline_kernelINS0_14default_configENS1_35radix_sort_onesweep_config_selectorIlNS0_10empty_typeEEEZZNS1_29radix_sort_onesweep_iterationIS3_Lb1EPKlPlPS5_SB_mNS0_19identity_decomposerENS1_16block_id_wrapperIjLb0EEEEE10hipError_tT1_PNSt15iterator_traitsISG_E10value_typeET2_T3_PNSH_ISM_E10value_typeET4_T5_PSR_SS_PNS1_23onesweep_lookback_stateEbbT6_jjT7_P12ihipStream_tbENKUlT_T0_SG_SL_E_clIS9_SA_SB_SB_EEDaSZ_S10_SG_SL_EUlSZ_E_NS1_11comp_targetILNS1_3genE2ELNS1_11target_archE906ELNS1_3gpuE6ELNS1_3repE0EEENS1_47radix_sort_onesweep_sort_config_static_selectorELNS0_4arch9wavefront6targetE0EEEvSG_,comdat
.Lfunc_end1117:
	.size	_ZN7rocprim17ROCPRIM_400000_NS6detail17trampoline_kernelINS0_14default_configENS1_35radix_sort_onesweep_config_selectorIlNS0_10empty_typeEEEZZNS1_29radix_sort_onesweep_iterationIS3_Lb1EPKlPlPS5_SB_mNS0_19identity_decomposerENS1_16block_id_wrapperIjLb0EEEEE10hipError_tT1_PNSt15iterator_traitsISG_E10value_typeET2_T3_PNSH_ISM_E10value_typeET4_T5_PSR_SS_PNS1_23onesweep_lookback_stateEbbT6_jjT7_P12ihipStream_tbENKUlT_T0_SG_SL_E_clIS9_SA_SB_SB_EEDaSZ_S10_SG_SL_EUlSZ_E_NS1_11comp_targetILNS1_3genE2ELNS1_11target_archE906ELNS1_3gpuE6ELNS1_3repE0EEENS1_47radix_sort_onesweep_sort_config_static_selectorELNS0_4arch9wavefront6targetE0EEEvSG_, .Lfunc_end1117-_ZN7rocprim17ROCPRIM_400000_NS6detail17trampoline_kernelINS0_14default_configENS1_35radix_sort_onesweep_config_selectorIlNS0_10empty_typeEEEZZNS1_29radix_sort_onesweep_iterationIS3_Lb1EPKlPlPS5_SB_mNS0_19identity_decomposerENS1_16block_id_wrapperIjLb0EEEEE10hipError_tT1_PNSt15iterator_traitsISG_E10value_typeET2_T3_PNSH_ISM_E10value_typeET4_T5_PSR_SS_PNS1_23onesweep_lookback_stateEbbT6_jjT7_P12ihipStream_tbENKUlT_T0_SG_SL_E_clIS9_SA_SB_SB_EEDaSZ_S10_SG_SL_EUlSZ_E_NS1_11comp_targetILNS1_3genE2ELNS1_11target_archE906ELNS1_3gpuE6ELNS1_3repE0EEENS1_47radix_sort_onesweep_sort_config_static_selectorELNS0_4arch9wavefront6targetE0EEEvSG_
                                        ; -- End function
	.set _ZN7rocprim17ROCPRIM_400000_NS6detail17trampoline_kernelINS0_14default_configENS1_35radix_sort_onesweep_config_selectorIlNS0_10empty_typeEEEZZNS1_29radix_sort_onesweep_iterationIS3_Lb1EPKlPlPS5_SB_mNS0_19identity_decomposerENS1_16block_id_wrapperIjLb0EEEEE10hipError_tT1_PNSt15iterator_traitsISG_E10value_typeET2_T3_PNSH_ISM_E10value_typeET4_T5_PSR_SS_PNS1_23onesweep_lookback_stateEbbT6_jjT7_P12ihipStream_tbENKUlT_T0_SG_SL_E_clIS9_SA_SB_SB_EEDaSZ_S10_SG_SL_EUlSZ_E_NS1_11comp_targetILNS1_3genE2ELNS1_11target_archE906ELNS1_3gpuE6ELNS1_3repE0EEENS1_47radix_sort_onesweep_sort_config_static_selectorELNS0_4arch9wavefront6targetE0EEEvSG_.num_vgpr, 0
	.set _ZN7rocprim17ROCPRIM_400000_NS6detail17trampoline_kernelINS0_14default_configENS1_35radix_sort_onesweep_config_selectorIlNS0_10empty_typeEEEZZNS1_29radix_sort_onesweep_iterationIS3_Lb1EPKlPlPS5_SB_mNS0_19identity_decomposerENS1_16block_id_wrapperIjLb0EEEEE10hipError_tT1_PNSt15iterator_traitsISG_E10value_typeET2_T3_PNSH_ISM_E10value_typeET4_T5_PSR_SS_PNS1_23onesweep_lookback_stateEbbT6_jjT7_P12ihipStream_tbENKUlT_T0_SG_SL_E_clIS9_SA_SB_SB_EEDaSZ_S10_SG_SL_EUlSZ_E_NS1_11comp_targetILNS1_3genE2ELNS1_11target_archE906ELNS1_3gpuE6ELNS1_3repE0EEENS1_47radix_sort_onesweep_sort_config_static_selectorELNS0_4arch9wavefront6targetE0EEEvSG_.num_agpr, 0
	.set _ZN7rocprim17ROCPRIM_400000_NS6detail17trampoline_kernelINS0_14default_configENS1_35radix_sort_onesweep_config_selectorIlNS0_10empty_typeEEEZZNS1_29radix_sort_onesweep_iterationIS3_Lb1EPKlPlPS5_SB_mNS0_19identity_decomposerENS1_16block_id_wrapperIjLb0EEEEE10hipError_tT1_PNSt15iterator_traitsISG_E10value_typeET2_T3_PNSH_ISM_E10value_typeET4_T5_PSR_SS_PNS1_23onesweep_lookback_stateEbbT6_jjT7_P12ihipStream_tbENKUlT_T0_SG_SL_E_clIS9_SA_SB_SB_EEDaSZ_S10_SG_SL_EUlSZ_E_NS1_11comp_targetILNS1_3genE2ELNS1_11target_archE906ELNS1_3gpuE6ELNS1_3repE0EEENS1_47radix_sort_onesweep_sort_config_static_selectorELNS0_4arch9wavefront6targetE0EEEvSG_.numbered_sgpr, 0
	.set _ZN7rocprim17ROCPRIM_400000_NS6detail17trampoline_kernelINS0_14default_configENS1_35radix_sort_onesweep_config_selectorIlNS0_10empty_typeEEEZZNS1_29radix_sort_onesweep_iterationIS3_Lb1EPKlPlPS5_SB_mNS0_19identity_decomposerENS1_16block_id_wrapperIjLb0EEEEE10hipError_tT1_PNSt15iterator_traitsISG_E10value_typeET2_T3_PNSH_ISM_E10value_typeET4_T5_PSR_SS_PNS1_23onesweep_lookback_stateEbbT6_jjT7_P12ihipStream_tbENKUlT_T0_SG_SL_E_clIS9_SA_SB_SB_EEDaSZ_S10_SG_SL_EUlSZ_E_NS1_11comp_targetILNS1_3genE2ELNS1_11target_archE906ELNS1_3gpuE6ELNS1_3repE0EEENS1_47radix_sort_onesweep_sort_config_static_selectorELNS0_4arch9wavefront6targetE0EEEvSG_.num_named_barrier, 0
	.set _ZN7rocprim17ROCPRIM_400000_NS6detail17trampoline_kernelINS0_14default_configENS1_35radix_sort_onesweep_config_selectorIlNS0_10empty_typeEEEZZNS1_29radix_sort_onesweep_iterationIS3_Lb1EPKlPlPS5_SB_mNS0_19identity_decomposerENS1_16block_id_wrapperIjLb0EEEEE10hipError_tT1_PNSt15iterator_traitsISG_E10value_typeET2_T3_PNSH_ISM_E10value_typeET4_T5_PSR_SS_PNS1_23onesweep_lookback_stateEbbT6_jjT7_P12ihipStream_tbENKUlT_T0_SG_SL_E_clIS9_SA_SB_SB_EEDaSZ_S10_SG_SL_EUlSZ_E_NS1_11comp_targetILNS1_3genE2ELNS1_11target_archE906ELNS1_3gpuE6ELNS1_3repE0EEENS1_47radix_sort_onesweep_sort_config_static_selectorELNS0_4arch9wavefront6targetE0EEEvSG_.private_seg_size, 0
	.set _ZN7rocprim17ROCPRIM_400000_NS6detail17trampoline_kernelINS0_14default_configENS1_35radix_sort_onesweep_config_selectorIlNS0_10empty_typeEEEZZNS1_29radix_sort_onesweep_iterationIS3_Lb1EPKlPlPS5_SB_mNS0_19identity_decomposerENS1_16block_id_wrapperIjLb0EEEEE10hipError_tT1_PNSt15iterator_traitsISG_E10value_typeET2_T3_PNSH_ISM_E10value_typeET4_T5_PSR_SS_PNS1_23onesweep_lookback_stateEbbT6_jjT7_P12ihipStream_tbENKUlT_T0_SG_SL_E_clIS9_SA_SB_SB_EEDaSZ_S10_SG_SL_EUlSZ_E_NS1_11comp_targetILNS1_3genE2ELNS1_11target_archE906ELNS1_3gpuE6ELNS1_3repE0EEENS1_47radix_sort_onesweep_sort_config_static_selectorELNS0_4arch9wavefront6targetE0EEEvSG_.uses_vcc, 0
	.set _ZN7rocprim17ROCPRIM_400000_NS6detail17trampoline_kernelINS0_14default_configENS1_35radix_sort_onesweep_config_selectorIlNS0_10empty_typeEEEZZNS1_29radix_sort_onesweep_iterationIS3_Lb1EPKlPlPS5_SB_mNS0_19identity_decomposerENS1_16block_id_wrapperIjLb0EEEEE10hipError_tT1_PNSt15iterator_traitsISG_E10value_typeET2_T3_PNSH_ISM_E10value_typeET4_T5_PSR_SS_PNS1_23onesweep_lookback_stateEbbT6_jjT7_P12ihipStream_tbENKUlT_T0_SG_SL_E_clIS9_SA_SB_SB_EEDaSZ_S10_SG_SL_EUlSZ_E_NS1_11comp_targetILNS1_3genE2ELNS1_11target_archE906ELNS1_3gpuE6ELNS1_3repE0EEENS1_47radix_sort_onesweep_sort_config_static_selectorELNS0_4arch9wavefront6targetE0EEEvSG_.uses_flat_scratch, 0
	.set _ZN7rocprim17ROCPRIM_400000_NS6detail17trampoline_kernelINS0_14default_configENS1_35radix_sort_onesweep_config_selectorIlNS0_10empty_typeEEEZZNS1_29radix_sort_onesweep_iterationIS3_Lb1EPKlPlPS5_SB_mNS0_19identity_decomposerENS1_16block_id_wrapperIjLb0EEEEE10hipError_tT1_PNSt15iterator_traitsISG_E10value_typeET2_T3_PNSH_ISM_E10value_typeET4_T5_PSR_SS_PNS1_23onesweep_lookback_stateEbbT6_jjT7_P12ihipStream_tbENKUlT_T0_SG_SL_E_clIS9_SA_SB_SB_EEDaSZ_S10_SG_SL_EUlSZ_E_NS1_11comp_targetILNS1_3genE2ELNS1_11target_archE906ELNS1_3gpuE6ELNS1_3repE0EEENS1_47radix_sort_onesweep_sort_config_static_selectorELNS0_4arch9wavefront6targetE0EEEvSG_.has_dyn_sized_stack, 0
	.set _ZN7rocprim17ROCPRIM_400000_NS6detail17trampoline_kernelINS0_14default_configENS1_35radix_sort_onesweep_config_selectorIlNS0_10empty_typeEEEZZNS1_29radix_sort_onesweep_iterationIS3_Lb1EPKlPlPS5_SB_mNS0_19identity_decomposerENS1_16block_id_wrapperIjLb0EEEEE10hipError_tT1_PNSt15iterator_traitsISG_E10value_typeET2_T3_PNSH_ISM_E10value_typeET4_T5_PSR_SS_PNS1_23onesweep_lookback_stateEbbT6_jjT7_P12ihipStream_tbENKUlT_T0_SG_SL_E_clIS9_SA_SB_SB_EEDaSZ_S10_SG_SL_EUlSZ_E_NS1_11comp_targetILNS1_3genE2ELNS1_11target_archE906ELNS1_3gpuE6ELNS1_3repE0EEENS1_47radix_sort_onesweep_sort_config_static_selectorELNS0_4arch9wavefront6targetE0EEEvSG_.has_recursion, 0
	.set _ZN7rocprim17ROCPRIM_400000_NS6detail17trampoline_kernelINS0_14default_configENS1_35radix_sort_onesweep_config_selectorIlNS0_10empty_typeEEEZZNS1_29radix_sort_onesweep_iterationIS3_Lb1EPKlPlPS5_SB_mNS0_19identity_decomposerENS1_16block_id_wrapperIjLb0EEEEE10hipError_tT1_PNSt15iterator_traitsISG_E10value_typeET2_T3_PNSH_ISM_E10value_typeET4_T5_PSR_SS_PNS1_23onesweep_lookback_stateEbbT6_jjT7_P12ihipStream_tbENKUlT_T0_SG_SL_E_clIS9_SA_SB_SB_EEDaSZ_S10_SG_SL_EUlSZ_E_NS1_11comp_targetILNS1_3genE2ELNS1_11target_archE906ELNS1_3gpuE6ELNS1_3repE0EEENS1_47radix_sort_onesweep_sort_config_static_selectorELNS0_4arch9wavefront6targetE0EEEvSG_.has_indirect_call, 0
	.section	.AMDGPU.csdata,"",@progbits
; Kernel info:
; codeLenInByte = 0
; TotalNumSgprs: 0
; NumVgprs: 0
; ScratchSize: 0
; MemoryBound: 0
; FloatMode: 240
; IeeeMode: 1
; LDSByteSize: 0 bytes/workgroup (compile time only)
; SGPRBlocks: 0
; VGPRBlocks: 0
; NumSGPRsForWavesPerEU: 1
; NumVGPRsForWavesPerEU: 1
; NamedBarCnt: 0
; Occupancy: 16
; WaveLimiterHint : 0
; COMPUTE_PGM_RSRC2:SCRATCH_EN: 0
; COMPUTE_PGM_RSRC2:USER_SGPR: 2
; COMPUTE_PGM_RSRC2:TRAP_HANDLER: 0
; COMPUTE_PGM_RSRC2:TGID_X_EN: 1
; COMPUTE_PGM_RSRC2:TGID_Y_EN: 0
; COMPUTE_PGM_RSRC2:TGID_Z_EN: 0
; COMPUTE_PGM_RSRC2:TIDIG_COMP_CNT: 0
	.section	.text._ZN7rocprim17ROCPRIM_400000_NS6detail17trampoline_kernelINS0_14default_configENS1_35radix_sort_onesweep_config_selectorIlNS0_10empty_typeEEEZZNS1_29radix_sort_onesweep_iterationIS3_Lb1EPKlPlPS5_SB_mNS0_19identity_decomposerENS1_16block_id_wrapperIjLb0EEEEE10hipError_tT1_PNSt15iterator_traitsISG_E10value_typeET2_T3_PNSH_ISM_E10value_typeET4_T5_PSR_SS_PNS1_23onesweep_lookback_stateEbbT6_jjT7_P12ihipStream_tbENKUlT_T0_SG_SL_E_clIS9_SA_SB_SB_EEDaSZ_S10_SG_SL_EUlSZ_E_NS1_11comp_targetILNS1_3genE4ELNS1_11target_archE910ELNS1_3gpuE8ELNS1_3repE0EEENS1_47radix_sort_onesweep_sort_config_static_selectorELNS0_4arch9wavefront6targetE0EEEvSG_,"axG",@progbits,_ZN7rocprim17ROCPRIM_400000_NS6detail17trampoline_kernelINS0_14default_configENS1_35radix_sort_onesweep_config_selectorIlNS0_10empty_typeEEEZZNS1_29radix_sort_onesweep_iterationIS3_Lb1EPKlPlPS5_SB_mNS0_19identity_decomposerENS1_16block_id_wrapperIjLb0EEEEE10hipError_tT1_PNSt15iterator_traitsISG_E10value_typeET2_T3_PNSH_ISM_E10value_typeET4_T5_PSR_SS_PNS1_23onesweep_lookback_stateEbbT6_jjT7_P12ihipStream_tbENKUlT_T0_SG_SL_E_clIS9_SA_SB_SB_EEDaSZ_S10_SG_SL_EUlSZ_E_NS1_11comp_targetILNS1_3genE4ELNS1_11target_archE910ELNS1_3gpuE8ELNS1_3repE0EEENS1_47radix_sort_onesweep_sort_config_static_selectorELNS0_4arch9wavefront6targetE0EEEvSG_,comdat
	.protected	_ZN7rocprim17ROCPRIM_400000_NS6detail17trampoline_kernelINS0_14default_configENS1_35radix_sort_onesweep_config_selectorIlNS0_10empty_typeEEEZZNS1_29radix_sort_onesweep_iterationIS3_Lb1EPKlPlPS5_SB_mNS0_19identity_decomposerENS1_16block_id_wrapperIjLb0EEEEE10hipError_tT1_PNSt15iterator_traitsISG_E10value_typeET2_T3_PNSH_ISM_E10value_typeET4_T5_PSR_SS_PNS1_23onesweep_lookback_stateEbbT6_jjT7_P12ihipStream_tbENKUlT_T0_SG_SL_E_clIS9_SA_SB_SB_EEDaSZ_S10_SG_SL_EUlSZ_E_NS1_11comp_targetILNS1_3genE4ELNS1_11target_archE910ELNS1_3gpuE8ELNS1_3repE0EEENS1_47radix_sort_onesweep_sort_config_static_selectorELNS0_4arch9wavefront6targetE0EEEvSG_ ; -- Begin function _ZN7rocprim17ROCPRIM_400000_NS6detail17trampoline_kernelINS0_14default_configENS1_35radix_sort_onesweep_config_selectorIlNS0_10empty_typeEEEZZNS1_29radix_sort_onesweep_iterationIS3_Lb1EPKlPlPS5_SB_mNS0_19identity_decomposerENS1_16block_id_wrapperIjLb0EEEEE10hipError_tT1_PNSt15iterator_traitsISG_E10value_typeET2_T3_PNSH_ISM_E10value_typeET4_T5_PSR_SS_PNS1_23onesweep_lookback_stateEbbT6_jjT7_P12ihipStream_tbENKUlT_T0_SG_SL_E_clIS9_SA_SB_SB_EEDaSZ_S10_SG_SL_EUlSZ_E_NS1_11comp_targetILNS1_3genE4ELNS1_11target_archE910ELNS1_3gpuE8ELNS1_3repE0EEENS1_47radix_sort_onesweep_sort_config_static_selectorELNS0_4arch9wavefront6targetE0EEEvSG_
	.globl	_ZN7rocprim17ROCPRIM_400000_NS6detail17trampoline_kernelINS0_14default_configENS1_35radix_sort_onesweep_config_selectorIlNS0_10empty_typeEEEZZNS1_29radix_sort_onesweep_iterationIS3_Lb1EPKlPlPS5_SB_mNS0_19identity_decomposerENS1_16block_id_wrapperIjLb0EEEEE10hipError_tT1_PNSt15iterator_traitsISG_E10value_typeET2_T3_PNSH_ISM_E10value_typeET4_T5_PSR_SS_PNS1_23onesweep_lookback_stateEbbT6_jjT7_P12ihipStream_tbENKUlT_T0_SG_SL_E_clIS9_SA_SB_SB_EEDaSZ_S10_SG_SL_EUlSZ_E_NS1_11comp_targetILNS1_3genE4ELNS1_11target_archE910ELNS1_3gpuE8ELNS1_3repE0EEENS1_47radix_sort_onesweep_sort_config_static_selectorELNS0_4arch9wavefront6targetE0EEEvSG_
	.p2align	8
	.type	_ZN7rocprim17ROCPRIM_400000_NS6detail17trampoline_kernelINS0_14default_configENS1_35radix_sort_onesweep_config_selectorIlNS0_10empty_typeEEEZZNS1_29radix_sort_onesweep_iterationIS3_Lb1EPKlPlPS5_SB_mNS0_19identity_decomposerENS1_16block_id_wrapperIjLb0EEEEE10hipError_tT1_PNSt15iterator_traitsISG_E10value_typeET2_T3_PNSH_ISM_E10value_typeET4_T5_PSR_SS_PNS1_23onesweep_lookback_stateEbbT6_jjT7_P12ihipStream_tbENKUlT_T0_SG_SL_E_clIS9_SA_SB_SB_EEDaSZ_S10_SG_SL_EUlSZ_E_NS1_11comp_targetILNS1_3genE4ELNS1_11target_archE910ELNS1_3gpuE8ELNS1_3repE0EEENS1_47radix_sort_onesweep_sort_config_static_selectorELNS0_4arch9wavefront6targetE0EEEvSG_,@function
_ZN7rocprim17ROCPRIM_400000_NS6detail17trampoline_kernelINS0_14default_configENS1_35radix_sort_onesweep_config_selectorIlNS0_10empty_typeEEEZZNS1_29radix_sort_onesweep_iterationIS3_Lb1EPKlPlPS5_SB_mNS0_19identity_decomposerENS1_16block_id_wrapperIjLb0EEEEE10hipError_tT1_PNSt15iterator_traitsISG_E10value_typeET2_T3_PNSH_ISM_E10value_typeET4_T5_PSR_SS_PNS1_23onesweep_lookback_stateEbbT6_jjT7_P12ihipStream_tbENKUlT_T0_SG_SL_E_clIS9_SA_SB_SB_EEDaSZ_S10_SG_SL_EUlSZ_E_NS1_11comp_targetILNS1_3genE4ELNS1_11target_archE910ELNS1_3gpuE8ELNS1_3repE0EEENS1_47radix_sort_onesweep_sort_config_static_selectorELNS0_4arch9wavefront6targetE0EEEvSG_: ; @_ZN7rocprim17ROCPRIM_400000_NS6detail17trampoline_kernelINS0_14default_configENS1_35radix_sort_onesweep_config_selectorIlNS0_10empty_typeEEEZZNS1_29radix_sort_onesweep_iterationIS3_Lb1EPKlPlPS5_SB_mNS0_19identity_decomposerENS1_16block_id_wrapperIjLb0EEEEE10hipError_tT1_PNSt15iterator_traitsISG_E10value_typeET2_T3_PNSH_ISM_E10value_typeET4_T5_PSR_SS_PNS1_23onesweep_lookback_stateEbbT6_jjT7_P12ihipStream_tbENKUlT_T0_SG_SL_E_clIS9_SA_SB_SB_EEDaSZ_S10_SG_SL_EUlSZ_E_NS1_11comp_targetILNS1_3genE4ELNS1_11target_archE910ELNS1_3gpuE8ELNS1_3repE0EEENS1_47radix_sort_onesweep_sort_config_static_selectorELNS0_4arch9wavefront6targetE0EEEvSG_
; %bb.0:
	.section	.rodata,"a",@progbits
	.p2align	6, 0x0
	.amdhsa_kernel _ZN7rocprim17ROCPRIM_400000_NS6detail17trampoline_kernelINS0_14default_configENS1_35radix_sort_onesweep_config_selectorIlNS0_10empty_typeEEEZZNS1_29radix_sort_onesweep_iterationIS3_Lb1EPKlPlPS5_SB_mNS0_19identity_decomposerENS1_16block_id_wrapperIjLb0EEEEE10hipError_tT1_PNSt15iterator_traitsISG_E10value_typeET2_T3_PNSH_ISM_E10value_typeET4_T5_PSR_SS_PNS1_23onesweep_lookback_stateEbbT6_jjT7_P12ihipStream_tbENKUlT_T0_SG_SL_E_clIS9_SA_SB_SB_EEDaSZ_S10_SG_SL_EUlSZ_E_NS1_11comp_targetILNS1_3genE4ELNS1_11target_archE910ELNS1_3gpuE8ELNS1_3repE0EEENS1_47radix_sort_onesweep_sort_config_static_selectorELNS0_4arch9wavefront6targetE0EEEvSG_
		.amdhsa_group_segment_fixed_size 0
		.amdhsa_private_segment_fixed_size 0
		.amdhsa_kernarg_size 88
		.amdhsa_user_sgpr_count 2
		.amdhsa_user_sgpr_dispatch_ptr 0
		.amdhsa_user_sgpr_queue_ptr 0
		.amdhsa_user_sgpr_kernarg_segment_ptr 1
		.amdhsa_user_sgpr_dispatch_id 0
		.amdhsa_user_sgpr_kernarg_preload_length 0
		.amdhsa_user_sgpr_kernarg_preload_offset 0
		.amdhsa_user_sgpr_private_segment_size 0
		.amdhsa_wavefront_size32 1
		.amdhsa_uses_dynamic_stack 0
		.amdhsa_enable_private_segment 0
		.amdhsa_system_sgpr_workgroup_id_x 1
		.amdhsa_system_sgpr_workgroup_id_y 0
		.amdhsa_system_sgpr_workgroup_id_z 0
		.amdhsa_system_sgpr_workgroup_info 0
		.amdhsa_system_vgpr_workitem_id 0
		.amdhsa_next_free_vgpr 1
		.amdhsa_next_free_sgpr 1
		.amdhsa_named_barrier_count 0
		.amdhsa_reserve_vcc 0
		.amdhsa_float_round_mode_32 0
		.amdhsa_float_round_mode_16_64 0
		.amdhsa_float_denorm_mode_32 3
		.amdhsa_float_denorm_mode_16_64 3
		.amdhsa_fp16_overflow 0
		.amdhsa_memory_ordered 1
		.amdhsa_forward_progress 1
		.amdhsa_inst_pref_size 0
		.amdhsa_round_robin_scheduling 0
		.amdhsa_exception_fp_ieee_invalid_op 0
		.amdhsa_exception_fp_denorm_src 0
		.amdhsa_exception_fp_ieee_div_zero 0
		.amdhsa_exception_fp_ieee_overflow 0
		.amdhsa_exception_fp_ieee_underflow 0
		.amdhsa_exception_fp_ieee_inexact 0
		.amdhsa_exception_int_div_zero 0
	.end_amdhsa_kernel
	.section	.text._ZN7rocprim17ROCPRIM_400000_NS6detail17trampoline_kernelINS0_14default_configENS1_35radix_sort_onesweep_config_selectorIlNS0_10empty_typeEEEZZNS1_29radix_sort_onesweep_iterationIS3_Lb1EPKlPlPS5_SB_mNS0_19identity_decomposerENS1_16block_id_wrapperIjLb0EEEEE10hipError_tT1_PNSt15iterator_traitsISG_E10value_typeET2_T3_PNSH_ISM_E10value_typeET4_T5_PSR_SS_PNS1_23onesweep_lookback_stateEbbT6_jjT7_P12ihipStream_tbENKUlT_T0_SG_SL_E_clIS9_SA_SB_SB_EEDaSZ_S10_SG_SL_EUlSZ_E_NS1_11comp_targetILNS1_3genE4ELNS1_11target_archE910ELNS1_3gpuE8ELNS1_3repE0EEENS1_47radix_sort_onesweep_sort_config_static_selectorELNS0_4arch9wavefront6targetE0EEEvSG_,"axG",@progbits,_ZN7rocprim17ROCPRIM_400000_NS6detail17trampoline_kernelINS0_14default_configENS1_35radix_sort_onesweep_config_selectorIlNS0_10empty_typeEEEZZNS1_29radix_sort_onesweep_iterationIS3_Lb1EPKlPlPS5_SB_mNS0_19identity_decomposerENS1_16block_id_wrapperIjLb0EEEEE10hipError_tT1_PNSt15iterator_traitsISG_E10value_typeET2_T3_PNSH_ISM_E10value_typeET4_T5_PSR_SS_PNS1_23onesweep_lookback_stateEbbT6_jjT7_P12ihipStream_tbENKUlT_T0_SG_SL_E_clIS9_SA_SB_SB_EEDaSZ_S10_SG_SL_EUlSZ_E_NS1_11comp_targetILNS1_3genE4ELNS1_11target_archE910ELNS1_3gpuE8ELNS1_3repE0EEENS1_47radix_sort_onesweep_sort_config_static_selectorELNS0_4arch9wavefront6targetE0EEEvSG_,comdat
.Lfunc_end1118:
	.size	_ZN7rocprim17ROCPRIM_400000_NS6detail17trampoline_kernelINS0_14default_configENS1_35radix_sort_onesweep_config_selectorIlNS0_10empty_typeEEEZZNS1_29radix_sort_onesweep_iterationIS3_Lb1EPKlPlPS5_SB_mNS0_19identity_decomposerENS1_16block_id_wrapperIjLb0EEEEE10hipError_tT1_PNSt15iterator_traitsISG_E10value_typeET2_T3_PNSH_ISM_E10value_typeET4_T5_PSR_SS_PNS1_23onesweep_lookback_stateEbbT6_jjT7_P12ihipStream_tbENKUlT_T0_SG_SL_E_clIS9_SA_SB_SB_EEDaSZ_S10_SG_SL_EUlSZ_E_NS1_11comp_targetILNS1_3genE4ELNS1_11target_archE910ELNS1_3gpuE8ELNS1_3repE0EEENS1_47radix_sort_onesweep_sort_config_static_selectorELNS0_4arch9wavefront6targetE0EEEvSG_, .Lfunc_end1118-_ZN7rocprim17ROCPRIM_400000_NS6detail17trampoline_kernelINS0_14default_configENS1_35radix_sort_onesweep_config_selectorIlNS0_10empty_typeEEEZZNS1_29radix_sort_onesweep_iterationIS3_Lb1EPKlPlPS5_SB_mNS0_19identity_decomposerENS1_16block_id_wrapperIjLb0EEEEE10hipError_tT1_PNSt15iterator_traitsISG_E10value_typeET2_T3_PNSH_ISM_E10value_typeET4_T5_PSR_SS_PNS1_23onesweep_lookback_stateEbbT6_jjT7_P12ihipStream_tbENKUlT_T0_SG_SL_E_clIS9_SA_SB_SB_EEDaSZ_S10_SG_SL_EUlSZ_E_NS1_11comp_targetILNS1_3genE4ELNS1_11target_archE910ELNS1_3gpuE8ELNS1_3repE0EEENS1_47radix_sort_onesweep_sort_config_static_selectorELNS0_4arch9wavefront6targetE0EEEvSG_
                                        ; -- End function
	.set _ZN7rocprim17ROCPRIM_400000_NS6detail17trampoline_kernelINS0_14default_configENS1_35radix_sort_onesweep_config_selectorIlNS0_10empty_typeEEEZZNS1_29radix_sort_onesweep_iterationIS3_Lb1EPKlPlPS5_SB_mNS0_19identity_decomposerENS1_16block_id_wrapperIjLb0EEEEE10hipError_tT1_PNSt15iterator_traitsISG_E10value_typeET2_T3_PNSH_ISM_E10value_typeET4_T5_PSR_SS_PNS1_23onesweep_lookback_stateEbbT6_jjT7_P12ihipStream_tbENKUlT_T0_SG_SL_E_clIS9_SA_SB_SB_EEDaSZ_S10_SG_SL_EUlSZ_E_NS1_11comp_targetILNS1_3genE4ELNS1_11target_archE910ELNS1_3gpuE8ELNS1_3repE0EEENS1_47radix_sort_onesweep_sort_config_static_selectorELNS0_4arch9wavefront6targetE0EEEvSG_.num_vgpr, 0
	.set _ZN7rocprim17ROCPRIM_400000_NS6detail17trampoline_kernelINS0_14default_configENS1_35radix_sort_onesweep_config_selectorIlNS0_10empty_typeEEEZZNS1_29radix_sort_onesweep_iterationIS3_Lb1EPKlPlPS5_SB_mNS0_19identity_decomposerENS1_16block_id_wrapperIjLb0EEEEE10hipError_tT1_PNSt15iterator_traitsISG_E10value_typeET2_T3_PNSH_ISM_E10value_typeET4_T5_PSR_SS_PNS1_23onesweep_lookback_stateEbbT6_jjT7_P12ihipStream_tbENKUlT_T0_SG_SL_E_clIS9_SA_SB_SB_EEDaSZ_S10_SG_SL_EUlSZ_E_NS1_11comp_targetILNS1_3genE4ELNS1_11target_archE910ELNS1_3gpuE8ELNS1_3repE0EEENS1_47radix_sort_onesweep_sort_config_static_selectorELNS0_4arch9wavefront6targetE0EEEvSG_.num_agpr, 0
	.set _ZN7rocprim17ROCPRIM_400000_NS6detail17trampoline_kernelINS0_14default_configENS1_35radix_sort_onesweep_config_selectorIlNS0_10empty_typeEEEZZNS1_29radix_sort_onesweep_iterationIS3_Lb1EPKlPlPS5_SB_mNS0_19identity_decomposerENS1_16block_id_wrapperIjLb0EEEEE10hipError_tT1_PNSt15iterator_traitsISG_E10value_typeET2_T3_PNSH_ISM_E10value_typeET4_T5_PSR_SS_PNS1_23onesweep_lookback_stateEbbT6_jjT7_P12ihipStream_tbENKUlT_T0_SG_SL_E_clIS9_SA_SB_SB_EEDaSZ_S10_SG_SL_EUlSZ_E_NS1_11comp_targetILNS1_3genE4ELNS1_11target_archE910ELNS1_3gpuE8ELNS1_3repE0EEENS1_47radix_sort_onesweep_sort_config_static_selectorELNS0_4arch9wavefront6targetE0EEEvSG_.numbered_sgpr, 0
	.set _ZN7rocprim17ROCPRIM_400000_NS6detail17trampoline_kernelINS0_14default_configENS1_35radix_sort_onesweep_config_selectorIlNS0_10empty_typeEEEZZNS1_29radix_sort_onesweep_iterationIS3_Lb1EPKlPlPS5_SB_mNS0_19identity_decomposerENS1_16block_id_wrapperIjLb0EEEEE10hipError_tT1_PNSt15iterator_traitsISG_E10value_typeET2_T3_PNSH_ISM_E10value_typeET4_T5_PSR_SS_PNS1_23onesweep_lookback_stateEbbT6_jjT7_P12ihipStream_tbENKUlT_T0_SG_SL_E_clIS9_SA_SB_SB_EEDaSZ_S10_SG_SL_EUlSZ_E_NS1_11comp_targetILNS1_3genE4ELNS1_11target_archE910ELNS1_3gpuE8ELNS1_3repE0EEENS1_47radix_sort_onesweep_sort_config_static_selectorELNS0_4arch9wavefront6targetE0EEEvSG_.num_named_barrier, 0
	.set _ZN7rocprim17ROCPRIM_400000_NS6detail17trampoline_kernelINS0_14default_configENS1_35radix_sort_onesweep_config_selectorIlNS0_10empty_typeEEEZZNS1_29radix_sort_onesweep_iterationIS3_Lb1EPKlPlPS5_SB_mNS0_19identity_decomposerENS1_16block_id_wrapperIjLb0EEEEE10hipError_tT1_PNSt15iterator_traitsISG_E10value_typeET2_T3_PNSH_ISM_E10value_typeET4_T5_PSR_SS_PNS1_23onesweep_lookback_stateEbbT6_jjT7_P12ihipStream_tbENKUlT_T0_SG_SL_E_clIS9_SA_SB_SB_EEDaSZ_S10_SG_SL_EUlSZ_E_NS1_11comp_targetILNS1_3genE4ELNS1_11target_archE910ELNS1_3gpuE8ELNS1_3repE0EEENS1_47radix_sort_onesweep_sort_config_static_selectorELNS0_4arch9wavefront6targetE0EEEvSG_.private_seg_size, 0
	.set _ZN7rocprim17ROCPRIM_400000_NS6detail17trampoline_kernelINS0_14default_configENS1_35radix_sort_onesweep_config_selectorIlNS0_10empty_typeEEEZZNS1_29radix_sort_onesweep_iterationIS3_Lb1EPKlPlPS5_SB_mNS0_19identity_decomposerENS1_16block_id_wrapperIjLb0EEEEE10hipError_tT1_PNSt15iterator_traitsISG_E10value_typeET2_T3_PNSH_ISM_E10value_typeET4_T5_PSR_SS_PNS1_23onesweep_lookback_stateEbbT6_jjT7_P12ihipStream_tbENKUlT_T0_SG_SL_E_clIS9_SA_SB_SB_EEDaSZ_S10_SG_SL_EUlSZ_E_NS1_11comp_targetILNS1_3genE4ELNS1_11target_archE910ELNS1_3gpuE8ELNS1_3repE0EEENS1_47radix_sort_onesweep_sort_config_static_selectorELNS0_4arch9wavefront6targetE0EEEvSG_.uses_vcc, 0
	.set _ZN7rocprim17ROCPRIM_400000_NS6detail17trampoline_kernelINS0_14default_configENS1_35radix_sort_onesweep_config_selectorIlNS0_10empty_typeEEEZZNS1_29radix_sort_onesweep_iterationIS3_Lb1EPKlPlPS5_SB_mNS0_19identity_decomposerENS1_16block_id_wrapperIjLb0EEEEE10hipError_tT1_PNSt15iterator_traitsISG_E10value_typeET2_T3_PNSH_ISM_E10value_typeET4_T5_PSR_SS_PNS1_23onesweep_lookback_stateEbbT6_jjT7_P12ihipStream_tbENKUlT_T0_SG_SL_E_clIS9_SA_SB_SB_EEDaSZ_S10_SG_SL_EUlSZ_E_NS1_11comp_targetILNS1_3genE4ELNS1_11target_archE910ELNS1_3gpuE8ELNS1_3repE0EEENS1_47radix_sort_onesweep_sort_config_static_selectorELNS0_4arch9wavefront6targetE0EEEvSG_.uses_flat_scratch, 0
	.set _ZN7rocprim17ROCPRIM_400000_NS6detail17trampoline_kernelINS0_14default_configENS1_35radix_sort_onesweep_config_selectorIlNS0_10empty_typeEEEZZNS1_29radix_sort_onesweep_iterationIS3_Lb1EPKlPlPS5_SB_mNS0_19identity_decomposerENS1_16block_id_wrapperIjLb0EEEEE10hipError_tT1_PNSt15iterator_traitsISG_E10value_typeET2_T3_PNSH_ISM_E10value_typeET4_T5_PSR_SS_PNS1_23onesweep_lookback_stateEbbT6_jjT7_P12ihipStream_tbENKUlT_T0_SG_SL_E_clIS9_SA_SB_SB_EEDaSZ_S10_SG_SL_EUlSZ_E_NS1_11comp_targetILNS1_3genE4ELNS1_11target_archE910ELNS1_3gpuE8ELNS1_3repE0EEENS1_47radix_sort_onesweep_sort_config_static_selectorELNS0_4arch9wavefront6targetE0EEEvSG_.has_dyn_sized_stack, 0
	.set _ZN7rocprim17ROCPRIM_400000_NS6detail17trampoline_kernelINS0_14default_configENS1_35radix_sort_onesweep_config_selectorIlNS0_10empty_typeEEEZZNS1_29radix_sort_onesweep_iterationIS3_Lb1EPKlPlPS5_SB_mNS0_19identity_decomposerENS1_16block_id_wrapperIjLb0EEEEE10hipError_tT1_PNSt15iterator_traitsISG_E10value_typeET2_T3_PNSH_ISM_E10value_typeET4_T5_PSR_SS_PNS1_23onesweep_lookback_stateEbbT6_jjT7_P12ihipStream_tbENKUlT_T0_SG_SL_E_clIS9_SA_SB_SB_EEDaSZ_S10_SG_SL_EUlSZ_E_NS1_11comp_targetILNS1_3genE4ELNS1_11target_archE910ELNS1_3gpuE8ELNS1_3repE0EEENS1_47radix_sort_onesweep_sort_config_static_selectorELNS0_4arch9wavefront6targetE0EEEvSG_.has_recursion, 0
	.set _ZN7rocprim17ROCPRIM_400000_NS6detail17trampoline_kernelINS0_14default_configENS1_35radix_sort_onesweep_config_selectorIlNS0_10empty_typeEEEZZNS1_29radix_sort_onesweep_iterationIS3_Lb1EPKlPlPS5_SB_mNS0_19identity_decomposerENS1_16block_id_wrapperIjLb0EEEEE10hipError_tT1_PNSt15iterator_traitsISG_E10value_typeET2_T3_PNSH_ISM_E10value_typeET4_T5_PSR_SS_PNS1_23onesweep_lookback_stateEbbT6_jjT7_P12ihipStream_tbENKUlT_T0_SG_SL_E_clIS9_SA_SB_SB_EEDaSZ_S10_SG_SL_EUlSZ_E_NS1_11comp_targetILNS1_3genE4ELNS1_11target_archE910ELNS1_3gpuE8ELNS1_3repE0EEENS1_47radix_sort_onesweep_sort_config_static_selectorELNS0_4arch9wavefront6targetE0EEEvSG_.has_indirect_call, 0
	.section	.AMDGPU.csdata,"",@progbits
; Kernel info:
; codeLenInByte = 0
; TotalNumSgprs: 0
; NumVgprs: 0
; ScratchSize: 0
; MemoryBound: 0
; FloatMode: 240
; IeeeMode: 1
; LDSByteSize: 0 bytes/workgroup (compile time only)
; SGPRBlocks: 0
; VGPRBlocks: 0
; NumSGPRsForWavesPerEU: 1
; NumVGPRsForWavesPerEU: 1
; NamedBarCnt: 0
; Occupancy: 16
; WaveLimiterHint : 0
; COMPUTE_PGM_RSRC2:SCRATCH_EN: 0
; COMPUTE_PGM_RSRC2:USER_SGPR: 2
; COMPUTE_PGM_RSRC2:TRAP_HANDLER: 0
; COMPUTE_PGM_RSRC2:TGID_X_EN: 1
; COMPUTE_PGM_RSRC2:TGID_Y_EN: 0
; COMPUTE_PGM_RSRC2:TGID_Z_EN: 0
; COMPUTE_PGM_RSRC2:TIDIG_COMP_CNT: 0
	.section	.text._ZN7rocprim17ROCPRIM_400000_NS6detail17trampoline_kernelINS0_14default_configENS1_35radix_sort_onesweep_config_selectorIlNS0_10empty_typeEEEZZNS1_29radix_sort_onesweep_iterationIS3_Lb1EPKlPlPS5_SB_mNS0_19identity_decomposerENS1_16block_id_wrapperIjLb0EEEEE10hipError_tT1_PNSt15iterator_traitsISG_E10value_typeET2_T3_PNSH_ISM_E10value_typeET4_T5_PSR_SS_PNS1_23onesweep_lookback_stateEbbT6_jjT7_P12ihipStream_tbENKUlT_T0_SG_SL_E_clIS9_SA_SB_SB_EEDaSZ_S10_SG_SL_EUlSZ_E_NS1_11comp_targetILNS1_3genE3ELNS1_11target_archE908ELNS1_3gpuE7ELNS1_3repE0EEENS1_47radix_sort_onesweep_sort_config_static_selectorELNS0_4arch9wavefront6targetE0EEEvSG_,"axG",@progbits,_ZN7rocprim17ROCPRIM_400000_NS6detail17trampoline_kernelINS0_14default_configENS1_35radix_sort_onesweep_config_selectorIlNS0_10empty_typeEEEZZNS1_29radix_sort_onesweep_iterationIS3_Lb1EPKlPlPS5_SB_mNS0_19identity_decomposerENS1_16block_id_wrapperIjLb0EEEEE10hipError_tT1_PNSt15iterator_traitsISG_E10value_typeET2_T3_PNSH_ISM_E10value_typeET4_T5_PSR_SS_PNS1_23onesweep_lookback_stateEbbT6_jjT7_P12ihipStream_tbENKUlT_T0_SG_SL_E_clIS9_SA_SB_SB_EEDaSZ_S10_SG_SL_EUlSZ_E_NS1_11comp_targetILNS1_3genE3ELNS1_11target_archE908ELNS1_3gpuE7ELNS1_3repE0EEENS1_47radix_sort_onesweep_sort_config_static_selectorELNS0_4arch9wavefront6targetE0EEEvSG_,comdat
	.protected	_ZN7rocprim17ROCPRIM_400000_NS6detail17trampoline_kernelINS0_14default_configENS1_35radix_sort_onesweep_config_selectorIlNS0_10empty_typeEEEZZNS1_29radix_sort_onesweep_iterationIS3_Lb1EPKlPlPS5_SB_mNS0_19identity_decomposerENS1_16block_id_wrapperIjLb0EEEEE10hipError_tT1_PNSt15iterator_traitsISG_E10value_typeET2_T3_PNSH_ISM_E10value_typeET4_T5_PSR_SS_PNS1_23onesweep_lookback_stateEbbT6_jjT7_P12ihipStream_tbENKUlT_T0_SG_SL_E_clIS9_SA_SB_SB_EEDaSZ_S10_SG_SL_EUlSZ_E_NS1_11comp_targetILNS1_3genE3ELNS1_11target_archE908ELNS1_3gpuE7ELNS1_3repE0EEENS1_47radix_sort_onesweep_sort_config_static_selectorELNS0_4arch9wavefront6targetE0EEEvSG_ ; -- Begin function _ZN7rocprim17ROCPRIM_400000_NS6detail17trampoline_kernelINS0_14default_configENS1_35radix_sort_onesweep_config_selectorIlNS0_10empty_typeEEEZZNS1_29radix_sort_onesweep_iterationIS3_Lb1EPKlPlPS5_SB_mNS0_19identity_decomposerENS1_16block_id_wrapperIjLb0EEEEE10hipError_tT1_PNSt15iterator_traitsISG_E10value_typeET2_T3_PNSH_ISM_E10value_typeET4_T5_PSR_SS_PNS1_23onesweep_lookback_stateEbbT6_jjT7_P12ihipStream_tbENKUlT_T0_SG_SL_E_clIS9_SA_SB_SB_EEDaSZ_S10_SG_SL_EUlSZ_E_NS1_11comp_targetILNS1_3genE3ELNS1_11target_archE908ELNS1_3gpuE7ELNS1_3repE0EEENS1_47radix_sort_onesweep_sort_config_static_selectorELNS0_4arch9wavefront6targetE0EEEvSG_
	.globl	_ZN7rocprim17ROCPRIM_400000_NS6detail17trampoline_kernelINS0_14default_configENS1_35radix_sort_onesweep_config_selectorIlNS0_10empty_typeEEEZZNS1_29radix_sort_onesweep_iterationIS3_Lb1EPKlPlPS5_SB_mNS0_19identity_decomposerENS1_16block_id_wrapperIjLb0EEEEE10hipError_tT1_PNSt15iterator_traitsISG_E10value_typeET2_T3_PNSH_ISM_E10value_typeET4_T5_PSR_SS_PNS1_23onesweep_lookback_stateEbbT6_jjT7_P12ihipStream_tbENKUlT_T0_SG_SL_E_clIS9_SA_SB_SB_EEDaSZ_S10_SG_SL_EUlSZ_E_NS1_11comp_targetILNS1_3genE3ELNS1_11target_archE908ELNS1_3gpuE7ELNS1_3repE0EEENS1_47radix_sort_onesweep_sort_config_static_selectorELNS0_4arch9wavefront6targetE0EEEvSG_
	.p2align	8
	.type	_ZN7rocprim17ROCPRIM_400000_NS6detail17trampoline_kernelINS0_14default_configENS1_35radix_sort_onesweep_config_selectorIlNS0_10empty_typeEEEZZNS1_29radix_sort_onesweep_iterationIS3_Lb1EPKlPlPS5_SB_mNS0_19identity_decomposerENS1_16block_id_wrapperIjLb0EEEEE10hipError_tT1_PNSt15iterator_traitsISG_E10value_typeET2_T3_PNSH_ISM_E10value_typeET4_T5_PSR_SS_PNS1_23onesweep_lookback_stateEbbT6_jjT7_P12ihipStream_tbENKUlT_T0_SG_SL_E_clIS9_SA_SB_SB_EEDaSZ_S10_SG_SL_EUlSZ_E_NS1_11comp_targetILNS1_3genE3ELNS1_11target_archE908ELNS1_3gpuE7ELNS1_3repE0EEENS1_47radix_sort_onesweep_sort_config_static_selectorELNS0_4arch9wavefront6targetE0EEEvSG_,@function
_ZN7rocprim17ROCPRIM_400000_NS6detail17trampoline_kernelINS0_14default_configENS1_35radix_sort_onesweep_config_selectorIlNS0_10empty_typeEEEZZNS1_29radix_sort_onesweep_iterationIS3_Lb1EPKlPlPS5_SB_mNS0_19identity_decomposerENS1_16block_id_wrapperIjLb0EEEEE10hipError_tT1_PNSt15iterator_traitsISG_E10value_typeET2_T3_PNSH_ISM_E10value_typeET4_T5_PSR_SS_PNS1_23onesweep_lookback_stateEbbT6_jjT7_P12ihipStream_tbENKUlT_T0_SG_SL_E_clIS9_SA_SB_SB_EEDaSZ_S10_SG_SL_EUlSZ_E_NS1_11comp_targetILNS1_3genE3ELNS1_11target_archE908ELNS1_3gpuE7ELNS1_3repE0EEENS1_47radix_sort_onesweep_sort_config_static_selectorELNS0_4arch9wavefront6targetE0EEEvSG_: ; @_ZN7rocprim17ROCPRIM_400000_NS6detail17trampoline_kernelINS0_14default_configENS1_35radix_sort_onesweep_config_selectorIlNS0_10empty_typeEEEZZNS1_29radix_sort_onesweep_iterationIS3_Lb1EPKlPlPS5_SB_mNS0_19identity_decomposerENS1_16block_id_wrapperIjLb0EEEEE10hipError_tT1_PNSt15iterator_traitsISG_E10value_typeET2_T3_PNSH_ISM_E10value_typeET4_T5_PSR_SS_PNS1_23onesweep_lookback_stateEbbT6_jjT7_P12ihipStream_tbENKUlT_T0_SG_SL_E_clIS9_SA_SB_SB_EEDaSZ_S10_SG_SL_EUlSZ_E_NS1_11comp_targetILNS1_3genE3ELNS1_11target_archE908ELNS1_3gpuE7ELNS1_3repE0EEENS1_47radix_sort_onesweep_sort_config_static_selectorELNS0_4arch9wavefront6targetE0EEEvSG_
; %bb.0:
	.section	.rodata,"a",@progbits
	.p2align	6, 0x0
	.amdhsa_kernel _ZN7rocprim17ROCPRIM_400000_NS6detail17trampoline_kernelINS0_14default_configENS1_35radix_sort_onesweep_config_selectorIlNS0_10empty_typeEEEZZNS1_29radix_sort_onesweep_iterationIS3_Lb1EPKlPlPS5_SB_mNS0_19identity_decomposerENS1_16block_id_wrapperIjLb0EEEEE10hipError_tT1_PNSt15iterator_traitsISG_E10value_typeET2_T3_PNSH_ISM_E10value_typeET4_T5_PSR_SS_PNS1_23onesweep_lookback_stateEbbT6_jjT7_P12ihipStream_tbENKUlT_T0_SG_SL_E_clIS9_SA_SB_SB_EEDaSZ_S10_SG_SL_EUlSZ_E_NS1_11comp_targetILNS1_3genE3ELNS1_11target_archE908ELNS1_3gpuE7ELNS1_3repE0EEENS1_47radix_sort_onesweep_sort_config_static_selectorELNS0_4arch9wavefront6targetE0EEEvSG_
		.amdhsa_group_segment_fixed_size 0
		.amdhsa_private_segment_fixed_size 0
		.amdhsa_kernarg_size 88
		.amdhsa_user_sgpr_count 2
		.amdhsa_user_sgpr_dispatch_ptr 0
		.amdhsa_user_sgpr_queue_ptr 0
		.amdhsa_user_sgpr_kernarg_segment_ptr 1
		.amdhsa_user_sgpr_dispatch_id 0
		.amdhsa_user_sgpr_kernarg_preload_length 0
		.amdhsa_user_sgpr_kernarg_preload_offset 0
		.amdhsa_user_sgpr_private_segment_size 0
		.amdhsa_wavefront_size32 1
		.amdhsa_uses_dynamic_stack 0
		.amdhsa_enable_private_segment 0
		.amdhsa_system_sgpr_workgroup_id_x 1
		.amdhsa_system_sgpr_workgroup_id_y 0
		.amdhsa_system_sgpr_workgroup_id_z 0
		.amdhsa_system_sgpr_workgroup_info 0
		.amdhsa_system_vgpr_workitem_id 0
		.amdhsa_next_free_vgpr 1
		.amdhsa_next_free_sgpr 1
		.amdhsa_named_barrier_count 0
		.amdhsa_reserve_vcc 0
		.amdhsa_float_round_mode_32 0
		.amdhsa_float_round_mode_16_64 0
		.amdhsa_float_denorm_mode_32 3
		.amdhsa_float_denorm_mode_16_64 3
		.amdhsa_fp16_overflow 0
		.amdhsa_memory_ordered 1
		.amdhsa_forward_progress 1
		.amdhsa_inst_pref_size 0
		.amdhsa_round_robin_scheduling 0
		.amdhsa_exception_fp_ieee_invalid_op 0
		.amdhsa_exception_fp_denorm_src 0
		.amdhsa_exception_fp_ieee_div_zero 0
		.amdhsa_exception_fp_ieee_overflow 0
		.amdhsa_exception_fp_ieee_underflow 0
		.amdhsa_exception_fp_ieee_inexact 0
		.amdhsa_exception_int_div_zero 0
	.end_amdhsa_kernel
	.section	.text._ZN7rocprim17ROCPRIM_400000_NS6detail17trampoline_kernelINS0_14default_configENS1_35radix_sort_onesweep_config_selectorIlNS0_10empty_typeEEEZZNS1_29radix_sort_onesweep_iterationIS3_Lb1EPKlPlPS5_SB_mNS0_19identity_decomposerENS1_16block_id_wrapperIjLb0EEEEE10hipError_tT1_PNSt15iterator_traitsISG_E10value_typeET2_T3_PNSH_ISM_E10value_typeET4_T5_PSR_SS_PNS1_23onesweep_lookback_stateEbbT6_jjT7_P12ihipStream_tbENKUlT_T0_SG_SL_E_clIS9_SA_SB_SB_EEDaSZ_S10_SG_SL_EUlSZ_E_NS1_11comp_targetILNS1_3genE3ELNS1_11target_archE908ELNS1_3gpuE7ELNS1_3repE0EEENS1_47radix_sort_onesweep_sort_config_static_selectorELNS0_4arch9wavefront6targetE0EEEvSG_,"axG",@progbits,_ZN7rocprim17ROCPRIM_400000_NS6detail17trampoline_kernelINS0_14default_configENS1_35radix_sort_onesweep_config_selectorIlNS0_10empty_typeEEEZZNS1_29radix_sort_onesweep_iterationIS3_Lb1EPKlPlPS5_SB_mNS0_19identity_decomposerENS1_16block_id_wrapperIjLb0EEEEE10hipError_tT1_PNSt15iterator_traitsISG_E10value_typeET2_T3_PNSH_ISM_E10value_typeET4_T5_PSR_SS_PNS1_23onesweep_lookback_stateEbbT6_jjT7_P12ihipStream_tbENKUlT_T0_SG_SL_E_clIS9_SA_SB_SB_EEDaSZ_S10_SG_SL_EUlSZ_E_NS1_11comp_targetILNS1_3genE3ELNS1_11target_archE908ELNS1_3gpuE7ELNS1_3repE0EEENS1_47radix_sort_onesweep_sort_config_static_selectorELNS0_4arch9wavefront6targetE0EEEvSG_,comdat
.Lfunc_end1119:
	.size	_ZN7rocprim17ROCPRIM_400000_NS6detail17trampoline_kernelINS0_14default_configENS1_35radix_sort_onesweep_config_selectorIlNS0_10empty_typeEEEZZNS1_29radix_sort_onesweep_iterationIS3_Lb1EPKlPlPS5_SB_mNS0_19identity_decomposerENS1_16block_id_wrapperIjLb0EEEEE10hipError_tT1_PNSt15iterator_traitsISG_E10value_typeET2_T3_PNSH_ISM_E10value_typeET4_T5_PSR_SS_PNS1_23onesweep_lookback_stateEbbT6_jjT7_P12ihipStream_tbENKUlT_T0_SG_SL_E_clIS9_SA_SB_SB_EEDaSZ_S10_SG_SL_EUlSZ_E_NS1_11comp_targetILNS1_3genE3ELNS1_11target_archE908ELNS1_3gpuE7ELNS1_3repE0EEENS1_47radix_sort_onesweep_sort_config_static_selectorELNS0_4arch9wavefront6targetE0EEEvSG_, .Lfunc_end1119-_ZN7rocprim17ROCPRIM_400000_NS6detail17trampoline_kernelINS0_14default_configENS1_35radix_sort_onesweep_config_selectorIlNS0_10empty_typeEEEZZNS1_29radix_sort_onesweep_iterationIS3_Lb1EPKlPlPS5_SB_mNS0_19identity_decomposerENS1_16block_id_wrapperIjLb0EEEEE10hipError_tT1_PNSt15iterator_traitsISG_E10value_typeET2_T3_PNSH_ISM_E10value_typeET4_T5_PSR_SS_PNS1_23onesweep_lookback_stateEbbT6_jjT7_P12ihipStream_tbENKUlT_T0_SG_SL_E_clIS9_SA_SB_SB_EEDaSZ_S10_SG_SL_EUlSZ_E_NS1_11comp_targetILNS1_3genE3ELNS1_11target_archE908ELNS1_3gpuE7ELNS1_3repE0EEENS1_47radix_sort_onesweep_sort_config_static_selectorELNS0_4arch9wavefront6targetE0EEEvSG_
                                        ; -- End function
	.set _ZN7rocprim17ROCPRIM_400000_NS6detail17trampoline_kernelINS0_14default_configENS1_35radix_sort_onesweep_config_selectorIlNS0_10empty_typeEEEZZNS1_29radix_sort_onesweep_iterationIS3_Lb1EPKlPlPS5_SB_mNS0_19identity_decomposerENS1_16block_id_wrapperIjLb0EEEEE10hipError_tT1_PNSt15iterator_traitsISG_E10value_typeET2_T3_PNSH_ISM_E10value_typeET4_T5_PSR_SS_PNS1_23onesweep_lookback_stateEbbT6_jjT7_P12ihipStream_tbENKUlT_T0_SG_SL_E_clIS9_SA_SB_SB_EEDaSZ_S10_SG_SL_EUlSZ_E_NS1_11comp_targetILNS1_3genE3ELNS1_11target_archE908ELNS1_3gpuE7ELNS1_3repE0EEENS1_47radix_sort_onesweep_sort_config_static_selectorELNS0_4arch9wavefront6targetE0EEEvSG_.num_vgpr, 0
	.set _ZN7rocprim17ROCPRIM_400000_NS6detail17trampoline_kernelINS0_14default_configENS1_35radix_sort_onesweep_config_selectorIlNS0_10empty_typeEEEZZNS1_29radix_sort_onesweep_iterationIS3_Lb1EPKlPlPS5_SB_mNS0_19identity_decomposerENS1_16block_id_wrapperIjLb0EEEEE10hipError_tT1_PNSt15iterator_traitsISG_E10value_typeET2_T3_PNSH_ISM_E10value_typeET4_T5_PSR_SS_PNS1_23onesweep_lookback_stateEbbT6_jjT7_P12ihipStream_tbENKUlT_T0_SG_SL_E_clIS9_SA_SB_SB_EEDaSZ_S10_SG_SL_EUlSZ_E_NS1_11comp_targetILNS1_3genE3ELNS1_11target_archE908ELNS1_3gpuE7ELNS1_3repE0EEENS1_47radix_sort_onesweep_sort_config_static_selectorELNS0_4arch9wavefront6targetE0EEEvSG_.num_agpr, 0
	.set _ZN7rocprim17ROCPRIM_400000_NS6detail17trampoline_kernelINS0_14default_configENS1_35radix_sort_onesweep_config_selectorIlNS0_10empty_typeEEEZZNS1_29radix_sort_onesweep_iterationIS3_Lb1EPKlPlPS5_SB_mNS0_19identity_decomposerENS1_16block_id_wrapperIjLb0EEEEE10hipError_tT1_PNSt15iterator_traitsISG_E10value_typeET2_T3_PNSH_ISM_E10value_typeET4_T5_PSR_SS_PNS1_23onesweep_lookback_stateEbbT6_jjT7_P12ihipStream_tbENKUlT_T0_SG_SL_E_clIS9_SA_SB_SB_EEDaSZ_S10_SG_SL_EUlSZ_E_NS1_11comp_targetILNS1_3genE3ELNS1_11target_archE908ELNS1_3gpuE7ELNS1_3repE0EEENS1_47radix_sort_onesweep_sort_config_static_selectorELNS0_4arch9wavefront6targetE0EEEvSG_.numbered_sgpr, 0
	.set _ZN7rocprim17ROCPRIM_400000_NS6detail17trampoline_kernelINS0_14default_configENS1_35radix_sort_onesweep_config_selectorIlNS0_10empty_typeEEEZZNS1_29radix_sort_onesweep_iterationIS3_Lb1EPKlPlPS5_SB_mNS0_19identity_decomposerENS1_16block_id_wrapperIjLb0EEEEE10hipError_tT1_PNSt15iterator_traitsISG_E10value_typeET2_T3_PNSH_ISM_E10value_typeET4_T5_PSR_SS_PNS1_23onesweep_lookback_stateEbbT6_jjT7_P12ihipStream_tbENKUlT_T0_SG_SL_E_clIS9_SA_SB_SB_EEDaSZ_S10_SG_SL_EUlSZ_E_NS1_11comp_targetILNS1_3genE3ELNS1_11target_archE908ELNS1_3gpuE7ELNS1_3repE0EEENS1_47radix_sort_onesweep_sort_config_static_selectorELNS0_4arch9wavefront6targetE0EEEvSG_.num_named_barrier, 0
	.set _ZN7rocprim17ROCPRIM_400000_NS6detail17trampoline_kernelINS0_14default_configENS1_35radix_sort_onesweep_config_selectorIlNS0_10empty_typeEEEZZNS1_29radix_sort_onesweep_iterationIS3_Lb1EPKlPlPS5_SB_mNS0_19identity_decomposerENS1_16block_id_wrapperIjLb0EEEEE10hipError_tT1_PNSt15iterator_traitsISG_E10value_typeET2_T3_PNSH_ISM_E10value_typeET4_T5_PSR_SS_PNS1_23onesweep_lookback_stateEbbT6_jjT7_P12ihipStream_tbENKUlT_T0_SG_SL_E_clIS9_SA_SB_SB_EEDaSZ_S10_SG_SL_EUlSZ_E_NS1_11comp_targetILNS1_3genE3ELNS1_11target_archE908ELNS1_3gpuE7ELNS1_3repE0EEENS1_47radix_sort_onesweep_sort_config_static_selectorELNS0_4arch9wavefront6targetE0EEEvSG_.private_seg_size, 0
	.set _ZN7rocprim17ROCPRIM_400000_NS6detail17trampoline_kernelINS0_14default_configENS1_35radix_sort_onesweep_config_selectorIlNS0_10empty_typeEEEZZNS1_29radix_sort_onesweep_iterationIS3_Lb1EPKlPlPS5_SB_mNS0_19identity_decomposerENS1_16block_id_wrapperIjLb0EEEEE10hipError_tT1_PNSt15iterator_traitsISG_E10value_typeET2_T3_PNSH_ISM_E10value_typeET4_T5_PSR_SS_PNS1_23onesweep_lookback_stateEbbT6_jjT7_P12ihipStream_tbENKUlT_T0_SG_SL_E_clIS9_SA_SB_SB_EEDaSZ_S10_SG_SL_EUlSZ_E_NS1_11comp_targetILNS1_3genE3ELNS1_11target_archE908ELNS1_3gpuE7ELNS1_3repE0EEENS1_47radix_sort_onesweep_sort_config_static_selectorELNS0_4arch9wavefront6targetE0EEEvSG_.uses_vcc, 0
	.set _ZN7rocprim17ROCPRIM_400000_NS6detail17trampoline_kernelINS0_14default_configENS1_35radix_sort_onesweep_config_selectorIlNS0_10empty_typeEEEZZNS1_29radix_sort_onesweep_iterationIS3_Lb1EPKlPlPS5_SB_mNS0_19identity_decomposerENS1_16block_id_wrapperIjLb0EEEEE10hipError_tT1_PNSt15iterator_traitsISG_E10value_typeET2_T3_PNSH_ISM_E10value_typeET4_T5_PSR_SS_PNS1_23onesweep_lookback_stateEbbT6_jjT7_P12ihipStream_tbENKUlT_T0_SG_SL_E_clIS9_SA_SB_SB_EEDaSZ_S10_SG_SL_EUlSZ_E_NS1_11comp_targetILNS1_3genE3ELNS1_11target_archE908ELNS1_3gpuE7ELNS1_3repE0EEENS1_47radix_sort_onesweep_sort_config_static_selectorELNS0_4arch9wavefront6targetE0EEEvSG_.uses_flat_scratch, 0
	.set _ZN7rocprim17ROCPRIM_400000_NS6detail17trampoline_kernelINS0_14default_configENS1_35radix_sort_onesweep_config_selectorIlNS0_10empty_typeEEEZZNS1_29radix_sort_onesweep_iterationIS3_Lb1EPKlPlPS5_SB_mNS0_19identity_decomposerENS1_16block_id_wrapperIjLb0EEEEE10hipError_tT1_PNSt15iterator_traitsISG_E10value_typeET2_T3_PNSH_ISM_E10value_typeET4_T5_PSR_SS_PNS1_23onesweep_lookback_stateEbbT6_jjT7_P12ihipStream_tbENKUlT_T0_SG_SL_E_clIS9_SA_SB_SB_EEDaSZ_S10_SG_SL_EUlSZ_E_NS1_11comp_targetILNS1_3genE3ELNS1_11target_archE908ELNS1_3gpuE7ELNS1_3repE0EEENS1_47radix_sort_onesweep_sort_config_static_selectorELNS0_4arch9wavefront6targetE0EEEvSG_.has_dyn_sized_stack, 0
	.set _ZN7rocprim17ROCPRIM_400000_NS6detail17trampoline_kernelINS0_14default_configENS1_35radix_sort_onesweep_config_selectorIlNS0_10empty_typeEEEZZNS1_29radix_sort_onesweep_iterationIS3_Lb1EPKlPlPS5_SB_mNS0_19identity_decomposerENS1_16block_id_wrapperIjLb0EEEEE10hipError_tT1_PNSt15iterator_traitsISG_E10value_typeET2_T3_PNSH_ISM_E10value_typeET4_T5_PSR_SS_PNS1_23onesweep_lookback_stateEbbT6_jjT7_P12ihipStream_tbENKUlT_T0_SG_SL_E_clIS9_SA_SB_SB_EEDaSZ_S10_SG_SL_EUlSZ_E_NS1_11comp_targetILNS1_3genE3ELNS1_11target_archE908ELNS1_3gpuE7ELNS1_3repE0EEENS1_47radix_sort_onesweep_sort_config_static_selectorELNS0_4arch9wavefront6targetE0EEEvSG_.has_recursion, 0
	.set _ZN7rocprim17ROCPRIM_400000_NS6detail17trampoline_kernelINS0_14default_configENS1_35radix_sort_onesweep_config_selectorIlNS0_10empty_typeEEEZZNS1_29radix_sort_onesweep_iterationIS3_Lb1EPKlPlPS5_SB_mNS0_19identity_decomposerENS1_16block_id_wrapperIjLb0EEEEE10hipError_tT1_PNSt15iterator_traitsISG_E10value_typeET2_T3_PNSH_ISM_E10value_typeET4_T5_PSR_SS_PNS1_23onesweep_lookback_stateEbbT6_jjT7_P12ihipStream_tbENKUlT_T0_SG_SL_E_clIS9_SA_SB_SB_EEDaSZ_S10_SG_SL_EUlSZ_E_NS1_11comp_targetILNS1_3genE3ELNS1_11target_archE908ELNS1_3gpuE7ELNS1_3repE0EEENS1_47radix_sort_onesweep_sort_config_static_selectorELNS0_4arch9wavefront6targetE0EEEvSG_.has_indirect_call, 0
	.section	.AMDGPU.csdata,"",@progbits
; Kernel info:
; codeLenInByte = 0
; TotalNumSgprs: 0
; NumVgprs: 0
; ScratchSize: 0
; MemoryBound: 0
; FloatMode: 240
; IeeeMode: 1
; LDSByteSize: 0 bytes/workgroup (compile time only)
; SGPRBlocks: 0
; VGPRBlocks: 0
; NumSGPRsForWavesPerEU: 1
; NumVGPRsForWavesPerEU: 1
; NamedBarCnt: 0
; Occupancy: 16
; WaveLimiterHint : 0
; COMPUTE_PGM_RSRC2:SCRATCH_EN: 0
; COMPUTE_PGM_RSRC2:USER_SGPR: 2
; COMPUTE_PGM_RSRC2:TRAP_HANDLER: 0
; COMPUTE_PGM_RSRC2:TGID_X_EN: 1
; COMPUTE_PGM_RSRC2:TGID_Y_EN: 0
; COMPUTE_PGM_RSRC2:TGID_Z_EN: 0
; COMPUTE_PGM_RSRC2:TIDIG_COMP_CNT: 0
	.section	.text._ZN7rocprim17ROCPRIM_400000_NS6detail17trampoline_kernelINS0_14default_configENS1_35radix_sort_onesweep_config_selectorIlNS0_10empty_typeEEEZZNS1_29radix_sort_onesweep_iterationIS3_Lb1EPKlPlPS5_SB_mNS0_19identity_decomposerENS1_16block_id_wrapperIjLb0EEEEE10hipError_tT1_PNSt15iterator_traitsISG_E10value_typeET2_T3_PNSH_ISM_E10value_typeET4_T5_PSR_SS_PNS1_23onesweep_lookback_stateEbbT6_jjT7_P12ihipStream_tbENKUlT_T0_SG_SL_E_clIS9_SA_SB_SB_EEDaSZ_S10_SG_SL_EUlSZ_E_NS1_11comp_targetILNS1_3genE10ELNS1_11target_archE1201ELNS1_3gpuE5ELNS1_3repE0EEENS1_47radix_sort_onesweep_sort_config_static_selectorELNS0_4arch9wavefront6targetE0EEEvSG_,"axG",@progbits,_ZN7rocprim17ROCPRIM_400000_NS6detail17trampoline_kernelINS0_14default_configENS1_35radix_sort_onesweep_config_selectorIlNS0_10empty_typeEEEZZNS1_29radix_sort_onesweep_iterationIS3_Lb1EPKlPlPS5_SB_mNS0_19identity_decomposerENS1_16block_id_wrapperIjLb0EEEEE10hipError_tT1_PNSt15iterator_traitsISG_E10value_typeET2_T3_PNSH_ISM_E10value_typeET4_T5_PSR_SS_PNS1_23onesweep_lookback_stateEbbT6_jjT7_P12ihipStream_tbENKUlT_T0_SG_SL_E_clIS9_SA_SB_SB_EEDaSZ_S10_SG_SL_EUlSZ_E_NS1_11comp_targetILNS1_3genE10ELNS1_11target_archE1201ELNS1_3gpuE5ELNS1_3repE0EEENS1_47radix_sort_onesweep_sort_config_static_selectorELNS0_4arch9wavefront6targetE0EEEvSG_,comdat
	.protected	_ZN7rocprim17ROCPRIM_400000_NS6detail17trampoline_kernelINS0_14default_configENS1_35radix_sort_onesweep_config_selectorIlNS0_10empty_typeEEEZZNS1_29radix_sort_onesweep_iterationIS3_Lb1EPKlPlPS5_SB_mNS0_19identity_decomposerENS1_16block_id_wrapperIjLb0EEEEE10hipError_tT1_PNSt15iterator_traitsISG_E10value_typeET2_T3_PNSH_ISM_E10value_typeET4_T5_PSR_SS_PNS1_23onesweep_lookback_stateEbbT6_jjT7_P12ihipStream_tbENKUlT_T0_SG_SL_E_clIS9_SA_SB_SB_EEDaSZ_S10_SG_SL_EUlSZ_E_NS1_11comp_targetILNS1_3genE10ELNS1_11target_archE1201ELNS1_3gpuE5ELNS1_3repE0EEENS1_47radix_sort_onesweep_sort_config_static_selectorELNS0_4arch9wavefront6targetE0EEEvSG_ ; -- Begin function _ZN7rocprim17ROCPRIM_400000_NS6detail17trampoline_kernelINS0_14default_configENS1_35radix_sort_onesweep_config_selectorIlNS0_10empty_typeEEEZZNS1_29radix_sort_onesweep_iterationIS3_Lb1EPKlPlPS5_SB_mNS0_19identity_decomposerENS1_16block_id_wrapperIjLb0EEEEE10hipError_tT1_PNSt15iterator_traitsISG_E10value_typeET2_T3_PNSH_ISM_E10value_typeET4_T5_PSR_SS_PNS1_23onesweep_lookback_stateEbbT6_jjT7_P12ihipStream_tbENKUlT_T0_SG_SL_E_clIS9_SA_SB_SB_EEDaSZ_S10_SG_SL_EUlSZ_E_NS1_11comp_targetILNS1_3genE10ELNS1_11target_archE1201ELNS1_3gpuE5ELNS1_3repE0EEENS1_47radix_sort_onesweep_sort_config_static_selectorELNS0_4arch9wavefront6targetE0EEEvSG_
	.globl	_ZN7rocprim17ROCPRIM_400000_NS6detail17trampoline_kernelINS0_14default_configENS1_35radix_sort_onesweep_config_selectorIlNS0_10empty_typeEEEZZNS1_29radix_sort_onesweep_iterationIS3_Lb1EPKlPlPS5_SB_mNS0_19identity_decomposerENS1_16block_id_wrapperIjLb0EEEEE10hipError_tT1_PNSt15iterator_traitsISG_E10value_typeET2_T3_PNSH_ISM_E10value_typeET4_T5_PSR_SS_PNS1_23onesweep_lookback_stateEbbT6_jjT7_P12ihipStream_tbENKUlT_T0_SG_SL_E_clIS9_SA_SB_SB_EEDaSZ_S10_SG_SL_EUlSZ_E_NS1_11comp_targetILNS1_3genE10ELNS1_11target_archE1201ELNS1_3gpuE5ELNS1_3repE0EEENS1_47radix_sort_onesweep_sort_config_static_selectorELNS0_4arch9wavefront6targetE0EEEvSG_
	.p2align	8
	.type	_ZN7rocprim17ROCPRIM_400000_NS6detail17trampoline_kernelINS0_14default_configENS1_35radix_sort_onesweep_config_selectorIlNS0_10empty_typeEEEZZNS1_29radix_sort_onesweep_iterationIS3_Lb1EPKlPlPS5_SB_mNS0_19identity_decomposerENS1_16block_id_wrapperIjLb0EEEEE10hipError_tT1_PNSt15iterator_traitsISG_E10value_typeET2_T3_PNSH_ISM_E10value_typeET4_T5_PSR_SS_PNS1_23onesweep_lookback_stateEbbT6_jjT7_P12ihipStream_tbENKUlT_T0_SG_SL_E_clIS9_SA_SB_SB_EEDaSZ_S10_SG_SL_EUlSZ_E_NS1_11comp_targetILNS1_3genE10ELNS1_11target_archE1201ELNS1_3gpuE5ELNS1_3repE0EEENS1_47radix_sort_onesweep_sort_config_static_selectorELNS0_4arch9wavefront6targetE0EEEvSG_,@function
_ZN7rocprim17ROCPRIM_400000_NS6detail17trampoline_kernelINS0_14default_configENS1_35radix_sort_onesweep_config_selectorIlNS0_10empty_typeEEEZZNS1_29radix_sort_onesweep_iterationIS3_Lb1EPKlPlPS5_SB_mNS0_19identity_decomposerENS1_16block_id_wrapperIjLb0EEEEE10hipError_tT1_PNSt15iterator_traitsISG_E10value_typeET2_T3_PNSH_ISM_E10value_typeET4_T5_PSR_SS_PNS1_23onesweep_lookback_stateEbbT6_jjT7_P12ihipStream_tbENKUlT_T0_SG_SL_E_clIS9_SA_SB_SB_EEDaSZ_S10_SG_SL_EUlSZ_E_NS1_11comp_targetILNS1_3genE10ELNS1_11target_archE1201ELNS1_3gpuE5ELNS1_3repE0EEENS1_47radix_sort_onesweep_sort_config_static_selectorELNS0_4arch9wavefront6targetE0EEEvSG_: ; @_ZN7rocprim17ROCPRIM_400000_NS6detail17trampoline_kernelINS0_14default_configENS1_35radix_sort_onesweep_config_selectorIlNS0_10empty_typeEEEZZNS1_29radix_sort_onesweep_iterationIS3_Lb1EPKlPlPS5_SB_mNS0_19identity_decomposerENS1_16block_id_wrapperIjLb0EEEEE10hipError_tT1_PNSt15iterator_traitsISG_E10value_typeET2_T3_PNSH_ISM_E10value_typeET4_T5_PSR_SS_PNS1_23onesweep_lookback_stateEbbT6_jjT7_P12ihipStream_tbENKUlT_T0_SG_SL_E_clIS9_SA_SB_SB_EEDaSZ_S10_SG_SL_EUlSZ_E_NS1_11comp_targetILNS1_3genE10ELNS1_11target_archE1201ELNS1_3gpuE5ELNS1_3repE0EEENS1_47radix_sort_onesweep_sort_config_static_selectorELNS0_4arch9wavefront6targetE0EEEvSG_
; %bb.0:
	.section	.rodata,"a",@progbits
	.p2align	6, 0x0
	.amdhsa_kernel _ZN7rocprim17ROCPRIM_400000_NS6detail17trampoline_kernelINS0_14default_configENS1_35radix_sort_onesweep_config_selectorIlNS0_10empty_typeEEEZZNS1_29radix_sort_onesweep_iterationIS3_Lb1EPKlPlPS5_SB_mNS0_19identity_decomposerENS1_16block_id_wrapperIjLb0EEEEE10hipError_tT1_PNSt15iterator_traitsISG_E10value_typeET2_T3_PNSH_ISM_E10value_typeET4_T5_PSR_SS_PNS1_23onesweep_lookback_stateEbbT6_jjT7_P12ihipStream_tbENKUlT_T0_SG_SL_E_clIS9_SA_SB_SB_EEDaSZ_S10_SG_SL_EUlSZ_E_NS1_11comp_targetILNS1_3genE10ELNS1_11target_archE1201ELNS1_3gpuE5ELNS1_3repE0EEENS1_47radix_sort_onesweep_sort_config_static_selectorELNS0_4arch9wavefront6targetE0EEEvSG_
		.amdhsa_group_segment_fixed_size 0
		.amdhsa_private_segment_fixed_size 0
		.amdhsa_kernarg_size 88
		.amdhsa_user_sgpr_count 2
		.amdhsa_user_sgpr_dispatch_ptr 0
		.amdhsa_user_sgpr_queue_ptr 0
		.amdhsa_user_sgpr_kernarg_segment_ptr 1
		.amdhsa_user_sgpr_dispatch_id 0
		.amdhsa_user_sgpr_kernarg_preload_length 0
		.amdhsa_user_sgpr_kernarg_preload_offset 0
		.amdhsa_user_sgpr_private_segment_size 0
		.amdhsa_wavefront_size32 1
		.amdhsa_uses_dynamic_stack 0
		.amdhsa_enable_private_segment 0
		.amdhsa_system_sgpr_workgroup_id_x 1
		.amdhsa_system_sgpr_workgroup_id_y 0
		.amdhsa_system_sgpr_workgroup_id_z 0
		.amdhsa_system_sgpr_workgroup_info 0
		.amdhsa_system_vgpr_workitem_id 0
		.amdhsa_next_free_vgpr 1
		.amdhsa_next_free_sgpr 1
		.amdhsa_named_barrier_count 0
		.amdhsa_reserve_vcc 0
		.amdhsa_float_round_mode_32 0
		.amdhsa_float_round_mode_16_64 0
		.amdhsa_float_denorm_mode_32 3
		.amdhsa_float_denorm_mode_16_64 3
		.amdhsa_fp16_overflow 0
		.amdhsa_memory_ordered 1
		.amdhsa_forward_progress 1
		.amdhsa_inst_pref_size 0
		.amdhsa_round_robin_scheduling 0
		.amdhsa_exception_fp_ieee_invalid_op 0
		.amdhsa_exception_fp_denorm_src 0
		.amdhsa_exception_fp_ieee_div_zero 0
		.amdhsa_exception_fp_ieee_overflow 0
		.amdhsa_exception_fp_ieee_underflow 0
		.amdhsa_exception_fp_ieee_inexact 0
		.amdhsa_exception_int_div_zero 0
	.end_amdhsa_kernel
	.section	.text._ZN7rocprim17ROCPRIM_400000_NS6detail17trampoline_kernelINS0_14default_configENS1_35radix_sort_onesweep_config_selectorIlNS0_10empty_typeEEEZZNS1_29radix_sort_onesweep_iterationIS3_Lb1EPKlPlPS5_SB_mNS0_19identity_decomposerENS1_16block_id_wrapperIjLb0EEEEE10hipError_tT1_PNSt15iterator_traitsISG_E10value_typeET2_T3_PNSH_ISM_E10value_typeET4_T5_PSR_SS_PNS1_23onesweep_lookback_stateEbbT6_jjT7_P12ihipStream_tbENKUlT_T0_SG_SL_E_clIS9_SA_SB_SB_EEDaSZ_S10_SG_SL_EUlSZ_E_NS1_11comp_targetILNS1_3genE10ELNS1_11target_archE1201ELNS1_3gpuE5ELNS1_3repE0EEENS1_47radix_sort_onesweep_sort_config_static_selectorELNS0_4arch9wavefront6targetE0EEEvSG_,"axG",@progbits,_ZN7rocprim17ROCPRIM_400000_NS6detail17trampoline_kernelINS0_14default_configENS1_35radix_sort_onesweep_config_selectorIlNS0_10empty_typeEEEZZNS1_29radix_sort_onesweep_iterationIS3_Lb1EPKlPlPS5_SB_mNS0_19identity_decomposerENS1_16block_id_wrapperIjLb0EEEEE10hipError_tT1_PNSt15iterator_traitsISG_E10value_typeET2_T3_PNSH_ISM_E10value_typeET4_T5_PSR_SS_PNS1_23onesweep_lookback_stateEbbT6_jjT7_P12ihipStream_tbENKUlT_T0_SG_SL_E_clIS9_SA_SB_SB_EEDaSZ_S10_SG_SL_EUlSZ_E_NS1_11comp_targetILNS1_3genE10ELNS1_11target_archE1201ELNS1_3gpuE5ELNS1_3repE0EEENS1_47radix_sort_onesweep_sort_config_static_selectorELNS0_4arch9wavefront6targetE0EEEvSG_,comdat
.Lfunc_end1120:
	.size	_ZN7rocprim17ROCPRIM_400000_NS6detail17trampoline_kernelINS0_14default_configENS1_35radix_sort_onesweep_config_selectorIlNS0_10empty_typeEEEZZNS1_29radix_sort_onesweep_iterationIS3_Lb1EPKlPlPS5_SB_mNS0_19identity_decomposerENS1_16block_id_wrapperIjLb0EEEEE10hipError_tT1_PNSt15iterator_traitsISG_E10value_typeET2_T3_PNSH_ISM_E10value_typeET4_T5_PSR_SS_PNS1_23onesweep_lookback_stateEbbT6_jjT7_P12ihipStream_tbENKUlT_T0_SG_SL_E_clIS9_SA_SB_SB_EEDaSZ_S10_SG_SL_EUlSZ_E_NS1_11comp_targetILNS1_3genE10ELNS1_11target_archE1201ELNS1_3gpuE5ELNS1_3repE0EEENS1_47radix_sort_onesweep_sort_config_static_selectorELNS0_4arch9wavefront6targetE0EEEvSG_, .Lfunc_end1120-_ZN7rocprim17ROCPRIM_400000_NS6detail17trampoline_kernelINS0_14default_configENS1_35radix_sort_onesweep_config_selectorIlNS0_10empty_typeEEEZZNS1_29radix_sort_onesweep_iterationIS3_Lb1EPKlPlPS5_SB_mNS0_19identity_decomposerENS1_16block_id_wrapperIjLb0EEEEE10hipError_tT1_PNSt15iterator_traitsISG_E10value_typeET2_T3_PNSH_ISM_E10value_typeET4_T5_PSR_SS_PNS1_23onesweep_lookback_stateEbbT6_jjT7_P12ihipStream_tbENKUlT_T0_SG_SL_E_clIS9_SA_SB_SB_EEDaSZ_S10_SG_SL_EUlSZ_E_NS1_11comp_targetILNS1_3genE10ELNS1_11target_archE1201ELNS1_3gpuE5ELNS1_3repE0EEENS1_47radix_sort_onesweep_sort_config_static_selectorELNS0_4arch9wavefront6targetE0EEEvSG_
                                        ; -- End function
	.set _ZN7rocprim17ROCPRIM_400000_NS6detail17trampoline_kernelINS0_14default_configENS1_35radix_sort_onesweep_config_selectorIlNS0_10empty_typeEEEZZNS1_29radix_sort_onesweep_iterationIS3_Lb1EPKlPlPS5_SB_mNS0_19identity_decomposerENS1_16block_id_wrapperIjLb0EEEEE10hipError_tT1_PNSt15iterator_traitsISG_E10value_typeET2_T3_PNSH_ISM_E10value_typeET4_T5_PSR_SS_PNS1_23onesweep_lookback_stateEbbT6_jjT7_P12ihipStream_tbENKUlT_T0_SG_SL_E_clIS9_SA_SB_SB_EEDaSZ_S10_SG_SL_EUlSZ_E_NS1_11comp_targetILNS1_3genE10ELNS1_11target_archE1201ELNS1_3gpuE5ELNS1_3repE0EEENS1_47radix_sort_onesweep_sort_config_static_selectorELNS0_4arch9wavefront6targetE0EEEvSG_.num_vgpr, 0
	.set _ZN7rocprim17ROCPRIM_400000_NS6detail17trampoline_kernelINS0_14default_configENS1_35radix_sort_onesweep_config_selectorIlNS0_10empty_typeEEEZZNS1_29radix_sort_onesweep_iterationIS3_Lb1EPKlPlPS5_SB_mNS0_19identity_decomposerENS1_16block_id_wrapperIjLb0EEEEE10hipError_tT1_PNSt15iterator_traitsISG_E10value_typeET2_T3_PNSH_ISM_E10value_typeET4_T5_PSR_SS_PNS1_23onesweep_lookback_stateEbbT6_jjT7_P12ihipStream_tbENKUlT_T0_SG_SL_E_clIS9_SA_SB_SB_EEDaSZ_S10_SG_SL_EUlSZ_E_NS1_11comp_targetILNS1_3genE10ELNS1_11target_archE1201ELNS1_3gpuE5ELNS1_3repE0EEENS1_47radix_sort_onesweep_sort_config_static_selectorELNS0_4arch9wavefront6targetE0EEEvSG_.num_agpr, 0
	.set _ZN7rocprim17ROCPRIM_400000_NS6detail17trampoline_kernelINS0_14default_configENS1_35radix_sort_onesweep_config_selectorIlNS0_10empty_typeEEEZZNS1_29radix_sort_onesweep_iterationIS3_Lb1EPKlPlPS5_SB_mNS0_19identity_decomposerENS1_16block_id_wrapperIjLb0EEEEE10hipError_tT1_PNSt15iterator_traitsISG_E10value_typeET2_T3_PNSH_ISM_E10value_typeET4_T5_PSR_SS_PNS1_23onesweep_lookback_stateEbbT6_jjT7_P12ihipStream_tbENKUlT_T0_SG_SL_E_clIS9_SA_SB_SB_EEDaSZ_S10_SG_SL_EUlSZ_E_NS1_11comp_targetILNS1_3genE10ELNS1_11target_archE1201ELNS1_3gpuE5ELNS1_3repE0EEENS1_47radix_sort_onesweep_sort_config_static_selectorELNS0_4arch9wavefront6targetE0EEEvSG_.numbered_sgpr, 0
	.set _ZN7rocprim17ROCPRIM_400000_NS6detail17trampoline_kernelINS0_14default_configENS1_35radix_sort_onesweep_config_selectorIlNS0_10empty_typeEEEZZNS1_29radix_sort_onesweep_iterationIS3_Lb1EPKlPlPS5_SB_mNS0_19identity_decomposerENS1_16block_id_wrapperIjLb0EEEEE10hipError_tT1_PNSt15iterator_traitsISG_E10value_typeET2_T3_PNSH_ISM_E10value_typeET4_T5_PSR_SS_PNS1_23onesweep_lookback_stateEbbT6_jjT7_P12ihipStream_tbENKUlT_T0_SG_SL_E_clIS9_SA_SB_SB_EEDaSZ_S10_SG_SL_EUlSZ_E_NS1_11comp_targetILNS1_3genE10ELNS1_11target_archE1201ELNS1_3gpuE5ELNS1_3repE0EEENS1_47radix_sort_onesweep_sort_config_static_selectorELNS0_4arch9wavefront6targetE0EEEvSG_.num_named_barrier, 0
	.set _ZN7rocprim17ROCPRIM_400000_NS6detail17trampoline_kernelINS0_14default_configENS1_35radix_sort_onesweep_config_selectorIlNS0_10empty_typeEEEZZNS1_29radix_sort_onesweep_iterationIS3_Lb1EPKlPlPS5_SB_mNS0_19identity_decomposerENS1_16block_id_wrapperIjLb0EEEEE10hipError_tT1_PNSt15iterator_traitsISG_E10value_typeET2_T3_PNSH_ISM_E10value_typeET4_T5_PSR_SS_PNS1_23onesweep_lookback_stateEbbT6_jjT7_P12ihipStream_tbENKUlT_T0_SG_SL_E_clIS9_SA_SB_SB_EEDaSZ_S10_SG_SL_EUlSZ_E_NS1_11comp_targetILNS1_3genE10ELNS1_11target_archE1201ELNS1_3gpuE5ELNS1_3repE0EEENS1_47radix_sort_onesweep_sort_config_static_selectorELNS0_4arch9wavefront6targetE0EEEvSG_.private_seg_size, 0
	.set _ZN7rocprim17ROCPRIM_400000_NS6detail17trampoline_kernelINS0_14default_configENS1_35radix_sort_onesweep_config_selectorIlNS0_10empty_typeEEEZZNS1_29radix_sort_onesweep_iterationIS3_Lb1EPKlPlPS5_SB_mNS0_19identity_decomposerENS1_16block_id_wrapperIjLb0EEEEE10hipError_tT1_PNSt15iterator_traitsISG_E10value_typeET2_T3_PNSH_ISM_E10value_typeET4_T5_PSR_SS_PNS1_23onesweep_lookback_stateEbbT6_jjT7_P12ihipStream_tbENKUlT_T0_SG_SL_E_clIS9_SA_SB_SB_EEDaSZ_S10_SG_SL_EUlSZ_E_NS1_11comp_targetILNS1_3genE10ELNS1_11target_archE1201ELNS1_3gpuE5ELNS1_3repE0EEENS1_47radix_sort_onesweep_sort_config_static_selectorELNS0_4arch9wavefront6targetE0EEEvSG_.uses_vcc, 0
	.set _ZN7rocprim17ROCPRIM_400000_NS6detail17trampoline_kernelINS0_14default_configENS1_35radix_sort_onesweep_config_selectorIlNS0_10empty_typeEEEZZNS1_29radix_sort_onesweep_iterationIS3_Lb1EPKlPlPS5_SB_mNS0_19identity_decomposerENS1_16block_id_wrapperIjLb0EEEEE10hipError_tT1_PNSt15iterator_traitsISG_E10value_typeET2_T3_PNSH_ISM_E10value_typeET4_T5_PSR_SS_PNS1_23onesweep_lookback_stateEbbT6_jjT7_P12ihipStream_tbENKUlT_T0_SG_SL_E_clIS9_SA_SB_SB_EEDaSZ_S10_SG_SL_EUlSZ_E_NS1_11comp_targetILNS1_3genE10ELNS1_11target_archE1201ELNS1_3gpuE5ELNS1_3repE0EEENS1_47radix_sort_onesweep_sort_config_static_selectorELNS0_4arch9wavefront6targetE0EEEvSG_.uses_flat_scratch, 0
	.set _ZN7rocprim17ROCPRIM_400000_NS6detail17trampoline_kernelINS0_14default_configENS1_35radix_sort_onesweep_config_selectorIlNS0_10empty_typeEEEZZNS1_29radix_sort_onesweep_iterationIS3_Lb1EPKlPlPS5_SB_mNS0_19identity_decomposerENS1_16block_id_wrapperIjLb0EEEEE10hipError_tT1_PNSt15iterator_traitsISG_E10value_typeET2_T3_PNSH_ISM_E10value_typeET4_T5_PSR_SS_PNS1_23onesweep_lookback_stateEbbT6_jjT7_P12ihipStream_tbENKUlT_T0_SG_SL_E_clIS9_SA_SB_SB_EEDaSZ_S10_SG_SL_EUlSZ_E_NS1_11comp_targetILNS1_3genE10ELNS1_11target_archE1201ELNS1_3gpuE5ELNS1_3repE0EEENS1_47radix_sort_onesweep_sort_config_static_selectorELNS0_4arch9wavefront6targetE0EEEvSG_.has_dyn_sized_stack, 0
	.set _ZN7rocprim17ROCPRIM_400000_NS6detail17trampoline_kernelINS0_14default_configENS1_35radix_sort_onesweep_config_selectorIlNS0_10empty_typeEEEZZNS1_29radix_sort_onesweep_iterationIS3_Lb1EPKlPlPS5_SB_mNS0_19identity_decomposerENS1_16block_id_wrapperIjLb0EEEEE10hipError_tT1_PNSt15iterator_traitsISG_E10value_typeET2_T3_PNSH_ISM_E10value_typeET4_T5_PSR_SS_PNS1_23onesweep_lookback_stateEbbT6_jjT7_P12ihipStream_tbENKUlT_T0_SG_SL_E_clIS9_SA_SB_SB_EEDaSZ_S10_SG_SL_EUlSZ_E_NS1_11comp_targetILNS1_3genE10ELNS1_11target_archE1201ELNS1_3gpuE5ELNS1_3repE0EEENS1_47radix_sort_onesweep_sort_config_static_selectorELNS0_4arch9wavefront6targetE0EEEvSG_.has_recursion, 0
	.set _ZN7rocprim17ROCPRIM_400000_NS6detail17trampoline_kernelINS0_14default_configENS1_35radix_sort_onesweep_config_selectorIlNS0_10empty_typeEEEZZNS1_29radix_sort_onesweep_iterationIS3_Lb1EPKlPlPS5_SB_mNS0_19identity_decomposerENS1_16block_id_wrapperIjLb0EEEEE10hipError_tT1_PNSt15iterator_traitsISG_E10value_typeET2_T3_PNSH_ISM_E10value_typeET4_T5_PSR_SS_PNS1_23onesweep_lookback_stateEbbT6_jjT7_P12ihipStream_tbENKUlT_T0_SG_SL_E_clIS9_SA_SB_SB_EEDaSZ_S10_SG_SL_EUlSZ_E_NS1_11comp_targetILNS1_3genE10ELNS1_11target_archE1201ELNS1_3gpuE5ELNS1_3repE0EEENS1_47radix_sort_onesweep_sort_config_static_selectorELNS0_4arch9wavefront6targetE0EEEvSG_.has_indirect_call, 0
	.section	.AMDGPU.csdata,"",@progbits
; Kernel info:
; codeLenInByte = 0
; TotalNumSgprs: 0
; NumVgprs: 0
; ScratchSize: 0
; MemoryBound: 0
; FloatMode: 240
; IeeeMode: 1
; LDSByteSize: 0 bytes/workgroup (compile time only)
; SGPRBlocks: 0
; VGPRBlocks: 0
; NumSGPRsForWavesPerEU: 1
; NumVGPRsForWavesPerEU: 1
; NamedBarCnt: 0
; Occupancy: 16
; WaveLimiterHint : 0
; COMPUTE_PGM_RSRC2:SCRATCH_EN: 0
; COMPUTE_PGM_RSRC2:USER_SGPR: 2
; COMPUTE_PGM_RSRC2:TRAP_HANDLER: 0
; COMPUTE_PGM_RSRC2:TGID_X_EN: 1
; COMPUTE_PGM_RSRC2:TGID_Y_EN: 0
; COMPUTE_PGM_RSRC2:TGID_Z_EN: 0
; COMPUTE_PGM_RSRC2:TIDIG_COMP_CNT: 0
	.section	.text._ZN7rocprim17ROCPRIM_400000_NS6detail17trampoline_kernelINS0_14default_configENS1_35radix_sort_onesweep_config_selectorIlNS0_10empty_typeEEEZZNS1_29radix_sort_onesweep_iterationIS3_Lb1EPKlPlPS5_SB_mNS0_19identity_decomposerENS1_16block_id_wrapperIjLb0EEEEE10hipError_tT1_PNSt15iterator_traitsISG_E10value_typeET2_T3_PNSH_ISM_E10value_typeET4_T5_PSR_SS_PNS1_23onesweep_lookback_stateEbbT6_jjT7_P12ihipStream_tbENKUlT_T0_SG_SL_E_clIS9_SA_SB_SB_EEDaSZ_S10_SG_SL_EUlSZ_E_NS1_11comp_targetILNS1_3genE9ELNS1_11target_archE1100ELNS1_3gpuE3ELNS1_3repE0EEENS1_47radix_sort_onesweep_sort_config_static_selectorELNS0_4arch9wavefront6targetE0EEEvSG_,"axG",@progbits,_ZN7rocprim17ROCPRIM_400000_NS6detail17trampoline_kernelINS0_14default_configENS1_35radix_sort_onesweep_config_selectorIlNS0_10empty_typeEEEZZNS1_29radix_sort_onesweep_iterationIS3_Lb1EPKlPlPS5_SB_mNS0_19identity_decomposerENS1_16block_id_wrapperIjLb0EEEEE10hipError_tT1_PNSt15iterator_traitsISG_E10value_typeET2_T3_PNSH_ISM_E10value_typeET4_T5_PSR_SS_PNS1_23onesweep_lookback_stateEbbT6_jjT7_P12ihipStream_tbENKUlT_T0_SG_SL_E_clIS9_SA_SB_SB_EEDaSZ_S10_SG_SL_EUlSZ_E_NS1_11comp_targetILNS1_3genE9ELNS1_11target_archE1100ELNS1_3gpuE3ELNS1_3repE0EEENS1_47radix_sort_onesweep_sort_config_static_selectorELNS0_4arch9wavefront6targetE0EEEvSG_,comdat
	.protected	_ZN7rocprim17ROCPRIM_400000_NS6detail17trampoline_kernelINS0_14default_configENS1_35radix_sort_onesweep_config_selectorIlNS0_10empty_typeEEEZZNS1_29radix_sort_onesweep_iterationIS3_Lb1EPKlPlPS5_SB_mNS0_19identity_decomposerENS1_16block_id_wrapperIjLb0EEEEE10hipError_tT1_PNSt15iterator_traitsISG_E10value_typeET2_T3_PNSH_ISM_E10value_typeET4_T5_PSR_SS_PNS1_23onesweep_lookback_stateEbbT6_jjT7_P12ihipStream_tbENKUlT_T0_SG_SL_E_clIS9_SA_SB_SB_EEDaSZ_S10_SG_SL_EUlSZ_E_NS1_11comp_targetILNS1_3genE9ELNS1_11target_archE1100ELNS1_3gpuE3ELNS1_3repE0EEENS1_47radix_sort_onesweep_sort_config_static_selectorELNS0_4arch9wavefront6targetE0EEEvSG_ ; -- Begin function _ZN7rocprim17ROCPRIM_400000_NS6detail17trampoline_kernelINS0_14default_configENS1_35radix_sort_onesweep_config_selectorIlNS0_10empty_typeEEEZZNS1_29radix_sort_onesweep_iterationIS3_Lb1EPKlPlPS5_SB_mNS0_19identity_decomposerENS1_16block_id_wrapperIjLb0EEEEE10hipError_tT1_PNSt15iterator_traitsISG_E10value_typeET2_T3_PNSH_ISM_E10value_typeET4_T5_PSR_SS_PNS1_23onesweep_lookback_stateEbbT6_jjT7_P12ihipStream_tbENKUlT_T0_SG_SL_E_clIS9_SA_SB_SB_EEDaSZ_S10_SG_SL_EUlSZ_E_NS1_11comp_targetILNS1_3genE9ELNS1_11target_archE1100ELNS1_3gpuE3ELNS1_3repE0EEENS1_47radix_sort_onesweep_sort_config_static_selectorELNS0_4arch9wavefront6targetE0EEEvSG_
	.globl	_ZN7rocprim17ROCPRIM_400000_NS6detail17trampoline_kernelINS0_14default_configENS1_35radix_sort_onesweep_config_selectorIlNS0_10empty_typeEEEZZNS1_29radix_sort_onesweep_iterationIS3_Lb1EPKlPlPS5_SB_mNS0_19identity_decomposerENS1_16block_id_wrapperIjLb0EEEEE10hipError_tT1_PNSt15iterator_traitsISG_E10value_typeET2_T3_PNSH_ISM_E10value_typeET4_T5_PSR_SS_PNS1_23onesweep_lookback_stateEbbT6_jjT7_P12ihipStream_tbENKUlT_T0_SG_SL_E_clIS9_SA_SB_SB_EEDaSZ_S10_SG_SL_EUlSZ_E_NS1_11comp_targetILNS1_3genE9ELNS1_11target_archE1100ELNS1_3gpuE3ELNS1_3repE0EEENS1_47radix_sort_onesweep_sort_config_static_selectorELNS0_4arch9wavefront6targetE0EEEvSG_
	.p2align	8
	.type	_ZN7rocprim17ROCPRIM_400000_NS6detail17trampoline_kernelINS0_14default_configENS1_35radix_sort_onesweep_config_selectorIlNS0_10empty_typeEEEZZNS1_29radix_sort_onesweep_iterationIS3_Lb1EPKlPlPS5_SB_mNS0_19identity_decomposerENS1_16block_id_wrapperIjLb0EEEEE10hipError_tT1_PNSt15iterator_traitsISG_E10value_typeET2_T3_PNSH_ISM_E10value_typeET4_T5_PSR_SS_PNS1_23onesweep_lookback_stateEbbT6_jjT7_P12ihipStream_tbENKUlT_T0_SG_SL_E_clIS9_SA_SB_SB_EEDaSZ_S10_SG_SL_EUlSZ_E_NS1_11comp_targetILNS1_3genE9ELNS1_11target_archE1100ELNS1_3gpuE3ELNS1_3repE0EEENS1_47radix_sort_onesweep_sort_config_static_selectorELNS0_4arch9wavefront6targetE0EEEvSG_,@function
_ZN7rocprim17ROCPRIM_400000_NS6detail17trampoline_kernelINS0_14default_configENS1_35radix_sort_onesweep_config_selectorIlNS0_10empty_typeEEEZZNS1_29radix_sort_onesweep_iterationIS3_Lb1EPKlPlPS5_SB_mNS0_19identity_decomposerENS1_16block_id_wrapperIjLb0EEEEE10hipError_tT1_PNSt15iterator_traitsISG_E10value_typeET2_T3_PNSH_ISM_E10value_typeET4_T5_PSR_SS_PNS1_23onesweep_lookback_stateEbbT6_jjT7_P12ihipStream_tbENKUlT_T0_SG_SL_E_clIS9_SA_SB_SB_EEDaSZ_S10_SG_SL_EUlSZ_E_NS1_11comp_targetILNS1_3genE9ELNS1_11target_archE1100ELNS1_3gpuE3ELNS1_3repE0EEENS1_47radix_sort_onesweep_sort_config_static_selectorELNS0_4arch9wavefront6targetE0EEEvSG_: ; @_ZN7rocprim17ROCPRIM_400000_NS6detail17trampoline_kernelINS0_14default_configENS1_35radix_sort_onesweep_config_selectorIlNS0_10empty_typeEEEZZNS1_29radix_sort_onesweep_iterationIS3_Lb1EPKlPlPS5_SB_mNS0_19identity_decomposerENS1_16block_id_wrapperIjLb0EEEEE10hipError_tT1_PNSt15iterator_traitsISG_E10value_typeET2_T3_PNSH_ISM_E10value_typeET4_T5_PSR_SS_PNS1_23onesweep_lookback_stateEbbT6_jjT7_P12ihipStream_tbENKUlT_T0_SG_SL_E_clIS9_SA_SB_SB_EEDaSZ_S10_SG_SL_EUlSZ_E_NS1_11comp_targetILNS1_3genE9ELNS1_11target_archE1100ELNS1_3gpuE3ELNS1_3repE0EEENS1_47radix_sort_onesweep_sort_config_static_selectorELNS0_4arch9wavefront6targetE0EEEvSG_
; %bb.0:
	.section	.rodata,"a",@progbits
	.p2align	6, 0x0
	.amdhsa_kernel _ZN7rocprim17ROCPRIM_400000_NS6detail17trampoline_kernelINS0_14default_configENS1_35radix_sort_onesweep_config_selectorIlNS0_10empty_typeEEEZZNS1_29radix_sort_onesweep_iterationIS3_Lb1EPKlPlPS5_SB_mNS0_19identity_decomposerENS1_16block_id_wrapperIjLb0EEEEE10hipError_tT1_PNSt15iterator_traitsISG_E10value_typeET2_T3_PNSH_ISM_E10value_typeET4_T5_PSR_SS_PNS1_23onesweep_lookback_stateEbbT6_jjT7_P12ihipStream_tbENKUlT_T0_SG_SL_E_clIS9_SA_SB_SB_EEDaSZ_S10_SG_SL_EUlSZ_E_NS1_11comp_targetILNS1_3genE9ELNS1_11target_archE1100ELNS1_3gpuE3ELNS1_3repE0EEENS1_47radix_sort_onesweep_sort_config_static_selectorELNS0_4arch9wavefront6targetE0EEEvSG_
		.amdhsa_group_segment_fixed_size 0
		.amdhsa_private_segment_fixed_size 0
		.amdhsa_kernarg_size 88
		.amdhsa_user_sgpr_count 2
		.amdhsa_user_sgpr_dispatch_ptr 0
		.amdhsa_user_sgpr_queue_ptr 0
		.amdhsa_user_sgpr_kernarg_segment_ptr 1
		.amdhsa_user_sgpr_dispatch_id 0
		.amdhsa_user_sgpr_kernarg_preload_length 0
		.amdhsa_user_sgpr_kernarg_preload_offset 0
		.amdhsa_user_sgpr_private_segment_size 0
		.amdhsa_wavefront_size32 1
		.amdhsa_uses_dynamic_stack 0
		.amdhsa_enable_private_segment 0
		.amdhsa_system_sgpr_workgroup_id_x 1
		.amdhsa_system_sgpr_workgroup_id_y 0
		.amdhsa_system_sgpr_workgroup_id_z 0
		.amdhsa_system_sgpr_workgroup_info 0
		.amdhsa_system_vgpr_workitem_id 0
		.amdhsa_next_free_vgpr 1
		.amdhsa_next_free_sgpr 1
		.amdhsa_named_barrier_count 0
		.amdhsa_reserve_vcc 0
		.amdhsa_float_round_mode_32 0
		.amdhsa_float_round_mode_16_64 0
		.amdhsa_float_denorm_mode_32 3
		.amdhsa_float_denorm_mode_16_64 3
		.amdhsa_fp16_overflow 0
		.amdhsa_memory_ordered 1
		.amdhsa_forward_progress 1
		.amdhsa_inst_pref_size 0
		.amdhsa_round_robin_scheduling 0
		.amdhsa_exception_fp_ieee_invalid_op 0
		.amdhsa_exception_fp_denorm_src 0
		.amdhsa_exception_fp_ieee_div_zero 0
		.amdhsa_exception_fp_ieee_overflow 0
		.amdhsa_exception_fp_ieee_underflow 0
		.amdhsa_exception_fp_ieee_inexact 0
		.amdhsa_exception_int_div_zero 0
	.end_amdhsa_kernel
	.section	.text._ZN7rocprim17ROCPRIM_400000_NS6detail17trampoline_kernelINS0_14default_configENS1_35radix_sort_onesweep_config_selectorIlNS0_10empty_typeEEEZZNS1_29radix_sort_onesweep_iterationIS3_Lb1EPKlPlPS5_SB_mNS0_19identity_decomposerENS1_16block_id_wrapperIjLb0EEEEE10hipError_tT1_PNSt15iterator_traitsISG_E10value_typeET2_T3_PNSH_ISM_E10value_typeET4_T5_PSR_SS_PNS1_23onesweep_lookback_stateEbbT6_jjT7_P12ihipStream_tbENKUlT_T0_SG_SL_E_clIS9_SA_SB_SB_EEDaSZ_S10_SG_SL_EUlSZ_E_NS1_11comp_targetILNS1_3genE9ELNS1_11target_archE1100ELNS1_3gpuE3ELNS1_3repE0EEENS1_47radix_sort_onesweep_sort_config_static_selectorELNS0_4arch9wavefront6targetE0EEEvSG_,"axG",@progbits,_ZN7rocprim17ROCPRIM_400000_NS6detail17trampoline_kernelINS0_14default_configENS1_35radix_sort_onesweep_config_selectorIlNS0_10empty_typeEEEZZNS1_29radix_sort_onesweep_iterationIS3_Lb1EPKlPlPS5_SB_mNS0_19identity_decomposerENS1_16block_id_wrapperIjLb0EEEEE10hipError_tT1_PNSt15iterator_traitsISG_E10value_typeET2_T3_PNSH_ISM_E10value_typeET4_T5_PSR_SS_PNS1_23onesweep_lookback_stateEbbT6_jjT7_P12ihipStream_tbENKUlT_T0_SG_SL_E_clIS9_SA_SB_SB_EEDaSZ_S10_SG_SL_EUlSZ_E_NS1_11comp_targetILNS1_3genE9ELNS1_11target_archE1100ELNS1_3gpuE3ELNS1_3repE0EEENS1_47radix_sort_onesweep_sort_config_static_selectorELNS0_4arch9wavefront6targetE0EEEvSG_,comdat
.Lfunc_end1121:
	.size	_ZN7rocprim17ROCPRIM_400000_NS6detail17trampoline_kernelINS0_14default_configENS1_35radix_sort_onesweep_config_selectorIlNS0_10empty_typeEEEZZNS1_29radix_sort_onesweep_iterationIS3_Lb1EPKlPlPS5_SB_mNS0_19identity_decomposerENS1_16block_id_wrapperIjLb0EEEEE10hipError_tT1_PNSt15iterator_traitsISG_E10value_typeET2_T3_PNSH_ISM_E10value_typeET4_T5_PSR_SS_PNS1_23onesweep_lookback_stateEbbT6_jjT7_P12ihipStream_tbENKUlT_T0_SG_SL_E_clIS9_SA_SB_SB_EEDaSZ_S10_SG_SL_EUlSZ_E_NS1_11comp_targetILNS1_3genE9ELNS1_11target_archE1100ELNS1_3gpuE3ELNS1_3repE0EEENS1_47radix_sort_onesweep_sort_config_static_selectorELNS0_4arch9wavefront6targetE0EEEvSG_, .Lfunc_end1121-_ZN7rocprim17ROCPRIM_400000_NS6detail17trampoline_kernelINS0_14default_configENS1_35radix_sort_onesweep_config_selectorIlNS0_10empty_typeEEEZZNS1_29radix_sort_onesweep_iterationIS3_Lb1EPKlPlPS5_SB_mNS0_19identity_decomposerENS1_16block_id_wrapperIjLb0EEEEE10hipError_tT1_PNSt15iterator_traitsISG_E10value_typeET2_T3_PNSH_ISM_E10value_typeET4_T5_PSR_SS_PNS1_23onesweep_lookback_stateEbbT6_jjT7_P12ihipStream_tbENKUlT_T0_SG_SL_E_clIS9_SA_SB_SB_EEDaSZ_S10_SG_SL_EUlSZ_E_NS1_11comp_targetILNS1_3genE9ELNS1_11target_archE1100ELNS1_3gpuE3ELNS1_3repE0EEENS1_47radix_sort_onesweep_sort_config_static_selectorELNS0_4arch9wavefront6targetE0EEEvSG_
                                        ; -- End function
	.set _ZN7rocprim17ROCPRIM_400000_NS6detail17trampoline_kernelINS0_14default_configENS1_35radix_sort_onesweep_config_selectorIlNS0_10empty_typeEEEZZNS1_29radix_sort_onesweep_iterationIS3_Lb1EPKlPlPS5_SB_mNS0_19identity_decomposerENS1_16block_id_wrapperIjLb0EEEEE10hipError_tT1_PNSt15iterator_traitsISG_E10value_typeET2_T3_PNSH_ISM_E10value_typeET4_T5_PSR_SS_PNS1_23onesweep_lookback_stateEbbT6_jjT7_P12ihipStream_tbENKUlT_T0_SG_SL_E_clIS9_SA_SB_SB_EEDaSZ_S10_SG_SL_EUlSZ_E_NS1_11comp_targetILNS1_3genE9ELNS1_11target_archE1100ELNS1_3gpuE3ELNS1_3repE0EEENS1_47radix_sort_onesweep_sort_config_static_selectorELNS0_4arch9wavefront6targetE0EEEvSG_.num_vgpr, 0
	.set _ZN7rocprim17ROCPRIM_400000_NS6detail17trampoline_kernelINS0_14default_configENS1_35radix_sort_onesweep_config_selectorIlNS0_10empty_typeEEEZZNS1_29radix_sort_onesweep_iterationIS3_Lb1EPKlPlPS5_SB_mNS0_19identity_decomposerENS1_16block_id_wrapperIjLb0EEEEE10hipError_tT1_PNSt15iterator_traitsISG_E10value_typeET2_T3_PNSH_ISM_E10value_typeET4_T5_PSR_SS_PNS1_23onesweep_lookback_stateEbbT6_jjT7_P12ihipStream_tbENKUlT_T0_SG_SL_E_clIS9_SA_SB_SB_EEDaSZ_S10_SG_SL_EUlSZ_E_NS1_11comp_targetILNS1_3genE9ELNS1_11target_archE1100ELNS1_3gpuE3ELNS1_3repE0EEENS1_47radix_sort_onesweep_sort_config_static_selectorELNS0_4arch9wavefront6targetE0EEEvSG_.num_agpr, 0
	.set _ZN7rocprim17ROCPRIM_400000_NS6detail17trampoline_kernelINS0_14default_configENS1_35radix_sort_onesweep_config_selectorIlNS0_10empty_typeEEEZZNS1_29radix_sort_onesweep_iterationIS3_Lb1EPKlPlPS5_SB_mNS0_19identity_decomposerENS1_16block_id_wrapperIjLb0EEEEE10hipError_tT1_PNSt15iterator_traitsISG_E10value_typeET2_T3_PNSH_ISM_E10value_typeET4_T5_PSR_SS_PNS1_23onesweep_lookback_stateEbbT6_jjT7_P12ihipStream_tbENKUlT_T0_SG_SL_E_clIS9_SA_SB_SB_EEDaSZ_S10_SG_SL_EUlSZ_E_NS1_11comp_targetILNS1_3genE9ELNS1_11target_archE1100ELNS1_3gpuE3ELNS1_3repE0EEENS1_47radix_sort_onesweep_sort_config_static_selectorELNS0_4arch9wavefront6targetE0EEEvSG_.numbered_sgpr, 0
	.set _ZN7rocprim17ROCPRIM_400000_NS6detail17trampoline_kernelINS0_14default_configENS1_35radix_sort_onesweep_config_selectorIlNS0_10empty_typeEEEZZNS1_29radix_sort_onesweep_iterationIS3_Lb1EPKlPlPS5_SB_mNS0_19identity_decomposerENS1_16block_id_wrapperIjLb0EEEEE10hipError_tT1_PNSt15iterator_traitsISG_E10value_typeET2_T3_PNSH_ISM_E10value_typeET4_T5_PSR_SS_PNS1_23onesweep_lookback_stateEbbT6_jjT7_P12ihipStream_tbENKUlT_T0_SG_SL_E_clIS9_SA_SB_SB_EEDaSZ_S10_SG_SL_EUlSZ_E_NS1_11comp_targetILNS1_3genE9ELNS1_11target_archE1100ELNS1_3gpuE3ELNS1_3repE0EEENS1_47radix_sort_onesweep_sort_config_static_selectorELNS0_4arch9wavefront6targetE0EEEvSG_.num_named_barrier, 0
	.set _ZN7rocprim17ROCPRIM_400000_NS6detail17trampoline_kernelINS0_14default_configENS1_35radix_sort_onesweep_config_selectorIlNS0_10empty_typeEEEZZNS1_29radix_sort_onesweep_iterationIS3_Lb1EPKlPlPS5_SB_mNS0_19identity_decomposerENS1_16block_id_wrapperIjLb0EEEEE10hipError_tT1_PNSt15iterator_traitsISG_E10value_typeET2_T3_PNSH_ISM_E10value_typeET4_T5_PSR_SS_PNS1_23onesweep_lookback_stateEbbT6_jjT7_P12ihipStream_tbENKUlT_T0_SG_SL_E_clIS9_SA_SB_SB_EEDaSZ_S10_SG_SL_EUlSZ_E_NS1_11comp_targetILNS1_3genE9ELNS1_11target_archE1100ELNS1_3gpuE3ELNS1_3repE0EEENS1_47radix_sort_onesweep_sort_config_static_selectorELNS0_4arch9wavefront6targetE0EEEvSG_.private_seg_size, 0
	.set _ZN7rocprim17ROCPRIM_400000_NS6detail17trampoline_kernelINS0_14default_configENS1_35radix_sort_onesweep_config_selectorIlNS0_10empty_typeEEEZZNS1_29radix_sort_onesweep_iterationIS3_Lb1EPKlPlPS5_SB_mNS0_19identity_decomposerENS1_16block_id_wrapperIjLb0EEEEE10hipError_tT1_PNSt15iterator_traitsISG_E10value_typeET2_T3_PNSH_ISM_E10value_typeET4_T5_PSR_SS_PNS1_23onesweep_lookback_stateEbbT6_jjT7_P12ihipStream_tbENKUlT_T0_SG_SL_E_clIS9_SA_SB_SB_EEDaSZ_S10_SG_SL_EUlSZ_E_NS1_11comp_targetILNS1_3genE9ELNS1_11target_archE1100ELNS1_3gpuE3ELNS1_3repE0EEENS1_47radix_sort_onesweep_sort_config_static_selectorELNS0_4arch9wavefront6targetE0EEEvSG_.uses_vcc, 0
	.set _ZN7rocprim17ROCPRIM_400000_NS6detail17trampoline_kernelINS0_14default_configENS1_35radix_sort_onesweep_config_selectorIlNS0_10empty_typeEEEZZNS1_29radix_sort_onesweep_iterationIS3_Lb1EPKlPlPS5_SB_mNS0_19identity_decomposerENS1_16block_id_wrapperIjLb0EEEEE10hipError_tT1_PNSt15iterator_traitsISG_E10value_typeET2_T3_PNSH_ISM_E10value_typeET4_T5_PSR_SS_PNS1_23onesweep_lookback_stateEbbT6_jjT7_P12ihipStream_tbENKUlT_T0_SG_SL_E_clIS9_SA_SB_SB_EEDaSZ_S10_SG_SL_EUlSZ_E_NS1_11comp_targetILNS1_3genE9ELNS1_11target_archE1100ELNS1_3gpuE3ELNS1_3repE0EEENS1_47radix_sort_onesweep_sort_config_static_selectorELNS0_4arch9wavefront6targetE0EEEvSG_.uses_flat_scratch, 0
	.set _ZN7rocprim17ROCPRIM_400000_NS6detail17trampoline_kernelINS0_14default_configENS1_35radix_sort_onesweep_config_selectorIlNS0_10empty_typeEEEZZNS1_29radix_sort_onesweep_iterationIS3_Lb1EPKlPlPS5_SB_mNS0_19identity_decomposerENS1_16block_id_wrapperIjLb0EEEEE10hipError_tT1_PNSt15iterator_traitsISG_E10value_typeET2_T3_PNSH_ISM_E10value_typeET4_T5_PSR_SS_PNS1_23onesweep_lookback_stateEbbT6_jjT7_P12ihipStream_tbENKUlT_T0_SG_SL_E_clIS9_SA_SB_SB_EEDaSZ_S10_SG_SL_EUlSZ_E_NS1_11comp_targetILNS1_3genE9ELNS1_11target_archE1100ELNS1_3gpuE3ELNS1_3repE0EEENS1_47radix_sort_onesweep_sort_config_static_selectorELNS0_4arch9wavefront6targetE0EEEvSG_.has_dyn_sized_stack, 0
	.set _ZN7rocprim17ROCPRIM_400000_NS6detail17trampoline_kernelINS0_14default_configENS1_35radix_sort_onesweep_config_selectorIlNS0_10empty_typeEEEZZNS1_29radix_sort_onesweep_iterationIS3_Lb1EPKlPlPS5_SB_mNS0_19identity_decomposerENS1_16block_id_wrapperIjLb0EEEEE10hipError_tT1_PNSt15iterator_traitsISG_E10value_typeET2_T3_PNSH_ISM_E10value_typeET4_T5_PSR_SS_PNS1_23onesweep_lookback_stateEbbT6_jjT7_P12ihipStream_tbENKUlT_T0_SG_SL_E_clIS9_SA_SB_SB_EEDaSZ_S10_SG_SL_EUlSZ_E_NS1_11comp_targetILNS1_3genE9ELNS1_11target_archE1100ELNS1_3gpuE3ELNS1_3repE0EEENS1_47radix_sort_onesweep_sort_config_static_selectorELNS0_4arch9wavefront6targetE0EEEvSG_.has_recursion, 0
	.set _ZN7rocprim17ROCPRIM_400000_NS6detail17trampoline_kernelINS0_14default_configENS1_35radix_sort_onesweep_config_selectorIlNS0_10empty_typeEEEZZNS1_29radix_sort_onesweep_iterationIS3_Lb1EPKlPlPS5_SB_mNS0_19identity_decomposerENS1_16block_id_wrapperIjLb0EEEEE10hipError_tT1_PNSt15iterator_traitsISG_E10value_typeET2_T3_PNSH_ISM_E10value_typeET4_T5_PSR_SS_PNS1_23onesweep_lookback_stateEbbT6_jjT7_P12ihipStream_tbENKUlT_T0_SG_SL_E_clIS9_SA_SB_SB_EEDaSZ_S10_SG_SL_EUlSZ_E_NS1_11comp_targetILNS1_3genE9ELNS1_11target_archE1100ELNS1_3gpuE3ELNS1_3repE0EEENS1_47radix_sort_onesweep_sort_config_static_selectorELNS0_4arch9wavefront6targetE0EEEvSG_.has_indirect_call, 0
	.section	.AMDGPU.csdata,"",@progbits
; Kernel info:
; codeLenInByte = 0
; TotalNumSgprs: 0
; NumVgprs: 0
; ScratchSize: 0
; MemoryBound: 0
; FloatMode: 240
; IeeeMode: 1
; LDSByteSize: 0 bytes/workgroup (compile time only)
; SGPRBlocks: 0
; VGPRBlocks: 0
; NumSGPRsForWavesPerEU: 1
; NumVGPRsForWavesPerEU: 1
; NamedBarCnt: 0
; Occupancy: 16
; WaveLimiterHint : 0
; COMPUTE_PGM_RSRC2:SCRATCH_EN: 0
; COMPUTE_PGM_RSRC2:USER_SGPR: 2
; COMPUTE_PGM_RSRC2:TRAP_HANDLER: 0
; COMPUTE_PGM_RSRC2:TGID_X_EN: 1
; COMPUTE_PGM_RSRC2:TGID_Y_EN: 0
; COMPUTE_PGM_RSRC2:TGID_Z_EN: 0
; COMPUTE_PGM_RSRC2:TIDIG_COMP_CNT: 0
	.section	.text._ZN7rocprim17ROCPRIM_400000_NS6detail17trampoline_kernelINS0_14default_configENS1_35radix_sort_onesweep_config_selectorIlNS0_10empty_typeEEEZZNS1_29radix_sort_onesweep_iterationIS3_Lb1EPKlPlPS5_SB_mNS0_19identity_decomposerENS1_16block_id_wrapperIjLb0EEEEE10hipError_tT1_PNSt15iterator_traitsISG_E10value_typeET2_T3_PNSH_ISM_E10value_typeET4_T5_PSR_SS_PNS1_23onesweep_lookback_stateEbbT6_jjT7_P12ihipStream_tbENKUlT_T0_SG_SL_E_clIS9_SA_SB_SB_EEDaSZ_S10_SG_SL_EUlSZ_E_NS1_11comp_targetILNS1_3genE8ELNS1_11target_archE1030ELNS1_3gpuE2ELNS1_3repE0EEENS1_47radix_sort_onesweep_sort_config_static_selectorELNS0_4arch9wavefront6targetE0EEEvSG_,"axG",@progbits,_ZN7rocprim17ROCPRIM_400000_NS6detail17trampoline_kernelINS0_14default_configENS1_35radix_sort_onesweep_config_selectorIlNS0_10empty_typeEEEZZNS1_29radix_sort_onesweep_iterationIS3_Lb1EPKlPlPS5_SB_mNS0_19identity_decomposerENS1_16block_id_wrapperIjLb0EEEEE10hipError_tT1_PNSt15iterator_traitsISG_E10value_typeET2_T3_PNSH_ISM_E10value_typeET4_T5_PSR_SS_PNS1_23onesweep_lookback_stateEbbT6_jjT7_P12ihipStream_tbENKUlT_T0_SG_SL_E_clIS9_SA_SB_SB_EEDaSZ_S10_SG_SL_EUlSZ_E_NS1_11comp_targetILNS1_3genE8ELNS1_11target_archE1030ELNS1_3gpuE2ELNS1_3repE0EEENS1_47radix_sort_onesweep_sort_config_static_selectorELNS0_4arch9wavefront6targetE0EEEvSG_,comdat
	.protected	_ZN7rocprim17ROCPRIM_400000_NS6detail17trampoline_kernelINS0_14default_configENS1_35radix_sort_onesweep_config_selectorIlNS0_10empty_typeEEEZZNS1_29radix_sort_onesweep_iterationIS3_Lb1EPKlPlPS5_SB_mNS0_19identity_decomposerENS1_16block_id_wrapperIjLb0EEEEE10hipError_tT1_PNSt15iterator_traitsISG_E10value_typeET2_T3_PNSH_ISM_E10value_typeET4_T5_PSR_SS_PNS1_23onesweep_lookback_stateEbbT6_jjT7_P12ihipStream_tbENKUlT_T0_SG_SL_E_clIS9_SA_SB_SB_EEDaSZ_S10_SG_SL_EUlSZ_E_NS1_11comp_targetILNS1_3genE8ELNS1_11target_archE1030ELNS1_3gpuE2ELNS1_3repE0EEENS1_47radix_sort_onesweep_sort_config_static_selectorELNS0_4arch9wavefront6targetE0EEEvSG_ ; -- Begin function _ZN7rocprim17ROCPRIM_400000_NS6detail17trampoline_kernelINS0_14default_configENS1_35radix_sort_onesweep_config_selectorIlNS0_10empty_typeEEEZZNS1_29radix_sort_onesweep_iterationIS3_Lb1EPKlPlPS5_SB_mNS0_19identity_decomposerENS1_16block_id_wrapperIjLb0EEEEE10hipError_tT1_PNSt15iterator_traitsISG_E10value_typeET2_T3_PNSH_ISM_E10value_typeET4_T5_PSR_SS_PNS1_23onesweep_lookback_stateEbbT6_jjT7_P12ihipStream_tbENKUlT_T0_SG_SL_E_clIS9_SA_SB_SB_EEDaSZ_S10_SG_SL_EUlSZ_E_NS1_11comp_targetILNS1_3genE8ELNS1_11target_archE1030ELNS1_3gpuE2ELNS1_3repE0EEENS1_47radix_sort_onesweep_sort_config_static_selectorELNS0_4arch9wavefront6targetE0EEEvSG_
	.globl	_ZN7rocprim17ROCPRIM_400000_NS6detail17trampoline_kernelINS0_14default_configENS1_35radix_sort_onesweep_config_selectorIlNS0_10empty_typeEEEZZNS1_29radix_sort_onesweep_iterationIS3_Lb1EPKlPlPS5_SB_mNS0_19identity_decomposerENS1_16block_id_wrapperIjLb0EEEEE10hipError_tT1_PNSt15iterator_traitsISG_E10value_typeET2_T3_PNSH_ISM_E10value_typeET4_T5_PSR_SS_PNS1_23onesweep_lookback_stateEbbT6_jjT7_P12ihipStream_tbENKUlT_T0_SG_SL_E_clIS9_SA_SB_SB_EEDaSZ_S10_SG_SL_EUlSZ_E_NS1_11comp_targetILNS1_3genE8ELNS1_11target_archE1030ELNS1_3gpuE2ELNS1_3repE0EEENS1_47radix_sort_onesweep_sort_config_static_selectorELNS0_4arch9wavefront6targetE0EEEvSG_
	.p2align	8
	.type	_ZN7rocprim17ROCPRIM_400000_NS6detail17trampoline_kernelINS0_14default_configENS1_35radix_sort_onesweep_config_selectorIlNS0_10empty_typeEEEZZNS1_29radix_sort_onesweep_iterationIS3_Lb1EPKlPlPS5_SB_mNS0_19identity_decomposerENS1_16block_id_wrapperIjLb0EEEEE10hipError_tT1_PNSt15iterator_traitsISG_E10value_typeET2_T3_PNSH_ISM_E10value_typeET4_T5_PSR_SS_PNS1_23onesweep_lookback_stateEbbT6_jjT7_P12ihipStream_tbENKUlT_T0_SG_SL_E_clIS9_SA_SB_SB_EEDaSZ_S10_SG_SL_EUlSZ_E_NS1_11comp_targetILNS1_3genE8ELNS1_11target_archE1030ELNS1_3gpuE2ELNS1_3repE0EEENS1_47radix_sort_onesweep_sort_config_static_selectorELNS0_4arch9wavefront6targetE0EEEvSG_,@function
_ZN7rocprim17ROCPRIM_400000_NS6detail17trampoline_kernelINS0_14default_configENS1_35radix_sort_onesweep_config_selectorIlNS0_10empty_typeEEEZZNS1_29radix_sort_onesweep_iterationIS3_Lb1EPKlPlPS5_SB_mNS0_19identity_decomposerENS1_16block_id_wrapperIjLb0EEEEE10hipError_tT1_PNSt15iterator_traitsISG_E10value_typeET2_T3_PNSH_ISM_E10value_typeET4_T5_PSR_SS_PNS1_23onesweep_lookback_stateEbbT6_jjT7_P12ihipStream_tbENKUlT_T0_SG_SL_E_clIS9_SA_SB_SB_EEDaSZ_S10_SG_SL_EUlSZ_E_NS1_11comp_targetILNS1_3genE8ELNS1_11target_archE1030ELNS1_3gpuE2ELNS1_3repE0EEENS1_47radix_sort_onesweep_sort_config_static_selectorELNS0_4arch9wavefront6targetE0EEEvSG_: ; @_ZN7rocprim17ROCPRIM_400000_NS6detail17trampoline_kernelINS0_14default_configENS1_35radix_sort_onesweep_config_selectorIlNS0_10empty_typeEEEZZNS1_29radix_sort_onesweep_iterationIS3_Lb1EPKlPlPS5_SB_mNS0_19identity_decomposerENS1_16block_id_wrapperIjLb0EEEEE10hipError_tT1_PNSt15iterator_traitsISG_E10value_typeET2_T3_PNSH_ISM_E10value_typeET4_T5_PSR_SS_PNS1_23onesweep_lookback_stateEbbT6_jjT7_P12ihipStream_tbENKUlT_T0_SG_SL_E_clIS9_SA_SB_SB_EEDaSZ_S10_SG_SL_EUlSZ_E_NS1_11comp_targetILNS1_3genE8ELNS1_11target_archE1030ELNS1_3gpuE2ELNS1_3repE0EEENS1_47radix_sort_onesweep_sort_config_static_selectorELNS0_4arch9wavefront6targetE0EEEvSG_
; %bb.0:
	.section	.rodata,"a",@progbits
	.p2align	6, 0x0
	.amdhsa_kernel _ZN7rocprim17ROCPRIM_400000_NS6detail17trampoline_kernelINS0_14default_configENS1_35radix_sort_onesweep_config_selectorIlNS0_10empty_typeEEEZZNS1_29radix_sort_onesweep_iterationIS3_Lb1EPKlPlPS5_SB_mNS0_19identity_decomposerENS1_16block_id_wrapperIjLb0EEEEE10hipError_tT1_PNSt15iterator_traitsISG_E10value_typeET2_T3_PNSH_ISM_E10value_typeET4_T5_PSR_SS_PNS1_23onesweep_lookback_stateEbbT6_jjT7_P12ihipStream_tbENKUlT_T0_SG_SL_E_clIS9_SA_SB_SB_EEDaSZ_S10_SG_SL_EUlSZ_E_NS1_11comp_targetILNS1_3genE8ELNS1_11target_archE1030ELNS1_3gpuE2ELNS1_3repE0EEENS1_47radix_sort_onesweep_sort_config_static_selectorELNS0_4arch9wavefront6targetE0EEEvSG_
		.amdhsa_group_segment_fixed_size 0
		.amdhsa_private_segment_fixed_size 0
		.amdhsa_kernarg_size 88
		.amdhsa_user_sgpr_count 2
		.amdhsa_user_sgpr_dispatch_ptr 0
		.amdhsa_user_sgpr_queue_ptr 0
		.amdhsa_user_sgpr_kernarg_segment_ptr 1
		.amdhsa_user_sgpr_dispatch_id 0
		.amdhsa_user_sgpr_kernarg_preload_length 0
		.amdhsa_user_sgpr_kernarg_preload_offset 0
		.amdhsa_user_sgpr_private_segment_size 0
		.amdhsa_wavefront_size32 1
		.amdhsa_uses_dynamic_stack 0
		.amdhsa_enable_private_segment 0
		.amdhsa_system_sgpr_workgroup_id_x 1
		.amdhsa_system_sgpr_workgroup_id_y 0
		.amdhsa_system_sgpr_workgroup_id_z 0
		.amdhsa_system_sgpr_workgroup_info 0
		.amdhsa_system_vgpr_workitem_id 0
		.amdhsa_next_free_vgpr 1
		.amdhsa_next_free_sgpr 1
		.amdhsa_named_barrier_count 0
		.amdhsa_reserve_vcc 0
		.amdhsa_float_round_mode_32 0
		.amdhsa_float_round_mode_16_64 0
		.amdhsa_float_denorm_mode_32 3
		.amdhsa_float_denorm_mode_16_64 3
		.amdhsa_fp16_overflow 0
		.amdhsa_memory_ordered 1
		.amdhsa_forward_progress 1
		.amdhsa_inst_pref_size 0
		.amdhsa_round_robin_scheduling 0
		.amdhsa_exception_fp_ieee_invalid_op 0
		.amdhsa_exception_fp_denorm_src 0
		.amdhsa_exception_fp_ieee_div_zero 0
		.amdhsa_exception_fp_ieee_overflow 0
		.amdhsa_exception_fp_ieee_underflow 0
		.amdhsa_exception_fp_ieee_inexact 0
		.amdhsa_exception_int_div_zero 0
	.end_amdhsa_kernel
	.section	.text._ZN7rocprim17ROCPRIM_400000_NS6detail17trampoline_kernelINS0_14default_configENS1_35radix_sort_onesweep_config_selectorIlNS0_10empty_typeEEEZZNS1_29radix_sort_onesweep_iterationIS3_Lb1EPKlPlPS5_SB_mNS0_19identity_decomposerENS1_16block_id_wrapperIjLb0EEEEE10hipError_tT1_PNSt15iterator_traitsISG_E10value_typeET2_T3_PNSH_ISM_E10value_typeET4_T5_PSR_SS_PNS1_23onesweep_lookback_stateEbbT6_jjT7_P12ihipStream_tbENKUlT_T0_SG_SL_E_clIS9_SA_SB_SB_EEDaSZ_S10_SG_SL_EUlSZ_E_NS1_11comp_targetILNS1_3genE8ELNS1_11target_archE1030ELNS1_3gpuE2ELNS1_3repE0EEENS1_47radix_sort_onesweep_sort_config_static_selectorELNS0_4arch9wavefront6targetE0EEEvSG_,"axG",@progbits,_ZN7rocprim17ROCPRIM_400000_NS6detail17trampoline_kernelINS0_14default_configENS1_35radix_sort_onesweep_config_selectorIlNS0_10empty_typeEEEZZNS1_29radix_sort_onesweep_iterationIS3_Lb1EPKlPlPS5_SB_mNS0_19identity_decomposerENS1_16block_id_wrapperIjLb0EEEEE10hipError_tT1_PNSt15iterator_traitsISG_E10value_typeET2_T3_PNSH_ISM_E10value_typeET4_T5_PSR_SS_PNS1_23onesweep_lookback_stateEbbT6_jjT7_P12ihipStream_tbENKUlT_T0_SG_SL_E_clIS9_SA_SB_SB_EEDaSZ_S10_SG_SL_EUlSZ_E_NS1_11comp_targetILNS1_3genE8ELNS1_11target_archE1030ELNS1_3gpuE2ELNS1_3repE0EEENS1_47radix_sort_onesweep_sort_config_static_selectorELNS0_4arch9wavefront6targetE0EEEvSG_,comdat
.Lfunc_end1122:
	.size	_ZN7rocprim17ROCPRIM_400000_NS6detail17trampoline_kernelINS0_14default_configENS1_35radix_sort_onesweep_config_selectorIlNS0_10empty_typeEEEZZNS1_29radix_sort_onesweep_iterationIS3_Lb1EPKlPlPS5_SB_mNS0_19identity_decomposerENS1_16block_id_wrapperIjLb0EEEEE10hipError_tT1_PNSt15iterator_traitsISG_E10value_typeET2_T3_PNSH_ISM_E10value_typeET4_T5_PSR_SS_PNS1_23onesweep_lookback_stateEbbT6_jjT7_P12ihipStream_tbENKUlT_T0_SG_SL_E_clIS9_SA_SB_SB_EEDaSZ_S10_SG_SL_EUlSZ_E_NS1_11comp_targetILNS1_3genE8ELNS1_11target_archE1030ELNS1_3gpuE2ELNS1_3repE0EEENS1_47radix_sort_onesweep_sort_config_static_selectorELNS0_4arch9wavefront6targetE0EEEvSG_, .Lfunc_end1122-_ZN7rocprim17ROCPRIM_400000_NS6detail17trampoline_kernelINS0_14default_configENS1_35radix_sort_onesweep_config_selectorIlNS0_10empty_typeEEEZZNS1_29radix_sort_onesweep_iterationIS3_Lb1EPKlPlPS5_SB_mNS0_19identity_decomposerENS1_16block_id_wrapperIjLb0EEEEE10hipError_tT1_PNSt15iterator_traitsISG_E10value_typeET2_T3_PNSH_ISM_E10value_typeET4_T5_PSR_SS_PNS1_23onesweep_lookback_stateEbbT6_jjT7_P12ihipStream_tbENKUlT_T0_SG_SL_E_clIS9_SA_SB_SB_EEDaSZ_S10_SG_SL_EUlSZ_E_NS1_11comp_targetILNS1_3genE8ELNS1_11target_archE1030ELNS1_3gpuE2ELNS1_3repE0EEENS1_47radix_sort_onesweep_sort_config_static_selectorELNS0_4arch9wavefront6targetE0EEEvSG_
                                        ; -- End function
	.set _ZN7rocprim17ROCPRIM_400000_NS6detail17trampoline_kernelINS0_14default_configENS1_35radix_sort_onesweep_config_selectorIlNS0_10empty_typeEEEZZNS1_29radix_sort_onesweep_iterationIS3_Lb1EPKlPlPS5_SB_mNS0_19identity_decomposerENS1_16block_id_wrapperIjLb0EEEEE10hipError_tT1_PNSt15iterator_traitsISG_E10value_typeET2_T3_PNSH_ISM_E10value_typeET4_T5_PSR_SS_PNS1_23onesweep_lookback_stateEbbT6_jjT7_P12ihipStream_tbENKUlT_T0_SG_SL_E_clIS9_SA_SB_SB_EEDaSZ_S10_SG_SL_EUlSZ_E_NS1_11comp_targetILNS1_3genE8ELNS1_11target_archE1030ELNS1_3gpuE2ELNS1_3repE0EEENS1_47radix_sort_onesweep_sort_config_static_selectorELNS0_4arch9wavefront6targetE0EEEvSG_.num_vgpr, 0
	.set _ZN7rocprim17ROCPRIM_400000_NS6detail17trampoline_kernelINS0_14default_configENS1_35radix_sort_onesweep_config_selectorIlNS0_10empty_typeEEEZZNS1_29radix_sort_onesweep_iterationIS3_Lb1EPKlPlPS5_SB_mNS0_19identity_decomposerENS1_16block_id_wrapperIjLb0EEEEE10hipError_tT1_PNSt15iterator_traitsISG_E10value_typeET2_T3_PNSH_ISM_E10value_typeET4_T5_PSR_SS_PNS1_23onesweep_lookback_stateEbbT6_jjT7_P12ihipStream_tbENKUlT_T0_SG_SL_E_clIS9_SA_SB_SB_EEDaSZ_S10_SG_SL_EUlSZ_E_NS1_11comp_targetILNS1_3genE8ELNS1_11target_archE1030ELNS1_3gpuE2ELNS1_3repE0EEENS1_47radix_sort_onesweep_sort_config_static_selectorELNS0_4arch9wavefront6targetE0EEEvSG_.num_agpr, 0
	.set _ZN7rocprim17ROCPRIM_400000_NS6detail17trampoline_kernelINS0_14default_configENS1_35radix_sort_onesweep_config_selectorIlNS0_10empty_typeEEEZZNS1_29radix_sort_onesweep_iterationIS3_Lb1EPKlPlPS5_SB_mNS0_19identity_decomposerENS1_16block_id_wrapperIjLb0EEEEE10hipError_tT1_PNSt15iterator_traitsISG_E10value_typeET2_T3_PNSH_ISM_E10value_typeET4_T5_PSR_SS_PNS1_23onesweep_lookback_stateEbbT6_jjT7_P12ihipStream_tbENKUlT_T0_SG_SL_E_clIS9_SA_SB_SB_EEDaSZ_S10_SG_SL_EUlSZ_E_NS1_11comp_targetILNS1_3genE8ELNS1_11target_archE1030ELNS1_3gpuE2ELNS1_3repE0EEENS1_47radix_sort_onesweep_sort_config_static_selectorELNS0_4arch9wavefront6targetE0EEEvSG_.numbered_sgpr, 0
	.set _ZN7rocprim17ROCPRIM_400000_NS6detail17trampoline_kernelINS0_14default_configENS1_35radix_sort_onesweep_config_selectorIlNS0_10empty_typeEEEZZNS1_29radix_sort_onesweep_iterationIS3_Lb1EPKlPlPS5_SB_mNS0_19identity_decomposerENS1_16block_id_wrapperIjLb0EEEEE10hipError_tT1_PNSt15iterator_traitsISG_E10value_typeET2_T3_PNSH_ISM_E10value_typeET4_T5_PSR_SS_PNS1_23onesweep_lookback_stateEbbT6_jjT7_P12ihipStream_tbENKUlT_T0_SG_SL_E_clIS9_SA_SB_SB_EEDaSZ_S10_SG_SL_EUlSZ_E_NS1_11comp_targetILNS1_3genE8ELNS1_11target_archE1030ELNS1_3gpuE2ELNS1_3repE0EEENS1_47radix_sort_onesweep_sort_config_static_selectorELNS0_4arch9wavefront6targetE0EEEvSG_.num_named_barrier, 0
	.set _ZN7rocprim17ROCPRIM_400000_NS6detail17trampoline_kernelINS0_14default_configENS1_35radix_sort_onesweep_config_selectorIlNS0_10empty_typeEEEZZNS1_29radix_sort_onesweep_iterationIS3_Lb1EPKlPlPS5_SB_mNS0_19identity_decomposerENS1_16block_id_wrapperIjLb0EEEEE10hipError_tT1_PNSt15iterator_traitsISG_E10value_typeET2_T3_PNSH_ISM_E10value_typeET4_T5_PSR_SS_PNS1_23onesweep_lookback_stateEbbT6_jjT7_P12ihipStream_tbENKUlT_T0_SG_SL_E_clIS9_SA_SB_SB_EEDaSZ_S10_SG_SL_EUlSZ_E_NS1_11comp_targetILNS1_3genE8ELNS1_11target_archE1030ELNS1_3gpuE2ELNS1_3repE0EEENS1_47radix_sort_onesweep_sort_config_static_selectorELNS0_4arch9wavefront6targetE0EEEvSG_.private_seg_size, 0
	.set _ZN7rocprim17ROCPRIM_400000_NS6detail17trampoline_kernelINS0_14default_configENS1_35radix_sort_onesweep_config_selectorIlNS0_10empty_typeEEEZZNS1_29radix_sort_onesweep_iterationIS3_Lb1EPKlPlPS5_SB_mNS0_19identity_decomposerENS1_16block_id_wrapperIjLb0EEEEE10hipError_tT1_PNSt15iterator_traitsISG_E10value_typeET2_T3_PNSH_ISM_E10value_typeET4_T5_PSR_SS_PNS1_23onesweep_lookback_stateEbbT6_jjT7_P12ihipStream_tbENKUlT_T0_SG_SL_E_clIS9_SA_SB_SB_EEDaSZ_S10_SG_SL_EUlSZ_E_NS1_11comp_targetILNS1_3genE8ELNS1_11target_archE1030ELNS1_3gpuE2ELNS1_3repE0EEENS1_47radix_sort_onesweep_sort_config_static_selectorELNS0_4arch9wavefront6targetE0EEEvSG_.uses_vcc, 0
	.set _ZN7rocprim17ROCPRIM_400000_NS6detail17trampoline_kernelINS0_14default_configENS1_35radix_sort_onesweep_config_selectorIlNS0_10empty_typeEEEZZNS1_29radix_sort_onesweep_iterationIS3_Lb1EPKlPlPS5_SB_mNS0_19identity_decomposerENS1_16block_id_wrapperIjLb0EEEEE10hipError_tT1_PNSt15iterator_traitsISG_E10value_typeET2_T3_PNSH_ISM_E10value_typeET4_T5_PSR_SS_PNS1_23onesweep_lookback_stateEbbT6_jjT7_P12ihipStream_tbENKUlT_T0_SG_SL_E_clIS9_SA_SB_SB_EEDaSZ_S10_SG_SL_EUlSZ_E_NS1_11comp_targetILNS1_3genE8ELNS1_11target_archE1030ELNS1_3gpuE2ELNS1_3repE0EEENS1_47radix_sort_onesweep_sort_config_static_selectorELNS0_4arch9wavefront6targetE0EEEvSG_.uses_flat_scratch, 0
	.set _ZN7rocprim17ROCPRIM_400000_NS6detail17trampoline_kernelINS0_14default_configENS1_35radix_sort_onesweep_config_selectorIlNS0_10empty_typeEEEZZNS1_29radix_sort_onesweep_iterationIS3_Lb1EPKlPlPS5_SB_mNS0_19identity_decomposerENS1_16block_id_wrapperIjLb0EEEEE10hipError_tT1_PNSt15iterator_traitsISG_E10value_typeET2_T3_PNSH_ISM_E10value_typeET4_T5_PSR_SS_PNS1_23onesweep_lookback_stateEbbT6_jjT7_P12ihipStream_tbENKUlT_T0_SG_SL_E_clIS9_SA_SB_SB_EEDaSZ_S10_SG_SL_EUlSZ_E_NS1_11comp_targetILNS1_3genE8ELNS1_11target_archE1030ELNS1_3gpuE2ELNS1_3repE0EEENS1_47radix_sort_onesweep_sort_config_static_selectorELNS0_4arch9wavefront6targetE0EEEvSG_.has_dyn_sized_stack, 0
	.set _ZN7rocprim17ROCPRIM_400000_NS6detail17trampoline_kernelINS0_14default_configENS1_35radix_sort_onesweep_config_selectorIlNS0_10empty_typeEEEZZNS1_29radix_sort_onesweep_iterationIS3_Lb1EPKlPlPS5_SB_mNS0_19identity_decomposerENS1_16block_id_wrapperIjLb0EEEEE10hipError_tT1_PNSt15iterator_traitsISG_E10value_typeET2_T3_PNSH_ISM_E10value_typeET4_T5_PSR_SS_PNS1_23onesweep_lookback_stateEbbT6_jjT7_P12ihipStream_tbENKUlT_T0_SG_SL_E_clIS9_SA_SB_SB_EEDaSZ_S10_SG_SL_EUlSZ_E_NS1_11comp_targetILNS1_3genE8ELNS1_11target_archE1030ELNS1_3gpuE2ELNS1_3repE0EEENS1_47radix_sort_onesweep_sort_config_static_selectorELNS0_4arch9wavefront6targetE0EEEvSG_.has_recursion, 0
	.set _ZN7rocprim17ROCPRIM_400000_NS6detail17trampoline_kernelINS0_14default_configENS1_35radix_sort_onesweep_config_selectorIlNS0_10empty_typeEEEZZNS1_29radix_sort_onesweep_iterationIS3_Lb1EPKlPlPS5_SB_mNS0_19identity_decomposerENS1_16block_id_wrapperIjLb0EEEEE10hipError_tT1_PNSt15iterator_traitsISG_E10value_typeET2_T3_PNSH_ISM_E10value_typeET4_T5_PSR_SS_PNS1_23onesweep_lookback_stateEbbT6_jjT7_P12ihipStream_tbENKUlT_T0_SG_SL_E_clIS9_SA_SB_SB_EEDaSZ_S10_SG_SL_EUlSZ_E_NS1_11comp_targetILNS1_3genE8ELNS1_11target_archE1030ELNS1_3gpuE2ELNS1_3repE0EEENS1_47radix_sort_onesweep_sort_config_static_selectorELNS0_4arch9wavefront6targetE0EEEvSG_.has_indirect_call, 0
	.section	.AMDGPU.csdata,"",@progbits
; Kernel info:
; codeLenInByte = 0
; TotalNumSgprs: 0
; NumVgprs: 0
; ScratchSize: 0
; MemoryBound: 0
; FloatMode: 240
; IeeeMode: 1
; LDSByteSize: 0 bytes/workgroup (compile time only)
; SGPRBlocks: 0
; VGPRBlocks: 0
; NumSGPRsForWavesPerEU: 1
; NumVGPRsForWavesPerEU: 1
; NamedBarCnt: 0
; Occupancy: 16
; WaveLimiterHint : 0
; COMPUTE_PGM_RSRC2:SCRATCH_EN: 0
; COMPUTE_PGM_RSRC2:USER_SGPR: 2
; COMPUTE_PGM_RSRC2:TRAP_HANDLER: 0
; COMPUTE_PGM_RSRC2:TGID_X_EN: 1
; COMPUTE_PGM_RSRC2:TGID_Y_EN: 0
; COMPUTE_PGM_RSRC2:TGID_Z_EN: 0
; COMPUTE_PGM_RSRC2:TIDIG_COMP_CNT: 0
	.section	.text._ZN7rocprim17ROCPRIM_400000_NS6detail17trampoline_kernelINS0_14default_configENS1_35radix_sort_onesweep_config_selectorIlNS0_10empty_typeEEEZZNS1_29radix_sort_onesweep_iterationIS3_Lb1EPKlPlPS5_SB_mNS0_19identity_decomposerENS1_16block_id_wrapperIjLb0EEEEE10hipError_tT1_PNSt15iterator_traitsISG_E10value_typeET2_T3_PNSH_ISM_E10value_typeET4_T5_PSR_SS_PNS1_23onesweep_lookback_stateEbbT6_jjT7_P12ihipStream_tbENKUlT_T0_SG_SL_E_clISA_SA_SB_SB_EEDaSZ_S10_SG_SL_EUlSZ_E_NS1_11comp_targetILNS1_3genE0ELNS1_11target_archE4294967295ELNS1_3gpuE0ELNS1_3repE0EEENS1_47radix_sort_onesweep_sort_config_static_selectorELNS0_4arch9wavefront6targetE0EEEvSG_,"axG",@progbits,_ZN7rocprim17ROCPRIM_400000_NS6detail17trampoline_kernelINS0_14default_configENS1_35radix_sort_onesweep_config_selectorIlNS0_10empty_typeEEEZZNS1_29radix_sort_onesweep_iterationIS3_Lb1EPKlPlPS5_SB_mNS0_19identity_decomposerENS1_16block_id_wrapperIjLb0EEEEE10hipError_tT1_PNSt15iterator_traitsISG_E10value_typeET2_T3_PNSH_ISM_E10value_typeET4_T5_PSR_SS_PNS1_23onesweep_lookback_stateEbbT6_jjT7_P12ihipStream_tbENKUlT_T0_SG_SL_E_clISA_SA_SB_SB_EEDaSZ_S10_SG_SL_EUlSZ_E_NS1_11comp_targetILNS1_3genE0ELNS1_11target_archE4294967295ELNS1_3gpuE0ELNS1_3repE0EEENS1_47radix_sort_onesweep_sort_config_static_selectorELNS0_4arch9wavefront6targetE0EEEvSG_,comdat
	.protected	_ZN7rocprim17ROCPRIM_400000_NS6detail17trampoline_kernelINS0_14default_configENS1_35radix_sort_onesweep_config_selectorIlNS0_10empty_typeEEEZZNS1_29radix_sort_onesweep_iterationIS3_Lb1EPKlPlPS5_SB_mNS0_19identity_decomposerENS1_16block_id_wrapperIjLb0EEEEE10hipError_tT1_PNSt15iterator_traitsISG_E10value_typeET2_T3_PNSH_ISM_E10value_typeET4_T5_PSR_SS_PNS1_23onesweep_lookback_stateEbbT6_jjT7_P12ihipStream_tbENKUlT_T0_SG_SL_E_clISA_SA_SB_SB_EEDaSZ_S10_SG_SL_EUlSZ_E_NS1_11comp_targetILNS1_3genE0ELNS1_11target_archE4294967295ELNS1_3gpuE0ELNS1_3repE0EEENS1_47radix_sort_onesweep_sort_config_static_selectorELNS0_4arch9wavefront6targetE0EEEvSG_ ; -- Begin function _ZN7rocprim17ROCPRIM_400000_NS6detail17trampoline_kernelINS0_14default_configENS1_35radix_sort_onesweep_config_selectorIlNS0_10empty_typeEEEZZNS1_29radix_sort_onesweep_iterationIS3_Lb1EPKlPlPS5_SB_mNS0_19identity_decomposerENS1_16block_id_wrapperIjLb0EEEEE10hipError_tT1_PNSt15iterator_traitsISG_E10value_typeET2_T3_PNSH_ISM_E10value_typeET4_T5_PSR_SS_PNS1_23onesweep_lookback_stateEbbT6_jjT7_P12ihipStream_tbENKUlT_T0_SG_SL_E_clISA_SA_SB_SB_EEDaSZ_S10_SG_SL_EUlSZ_E_NS1_11comp_targetILNS1_3genE0ELNS1_11target_archE4294967295ELNS1_3gpuE0ELNS1_3repE0EEENS1_47radix_sort_onesweep_sort_config_static_selectorELNS0_4arch9wavefront6targetE0EEEvSG_
	.globl	_ZN7rocprim17ROCPRIM_400000_NS6detail17trampoline_kernelINS0_14default_configENS1_35radix_sort_onesweep_config_selectorIlNS0_10empty_typeEEEZZNS1_29radix_sort_onesweep_iterationIS3_Lb1EPKlPlPS5_SB_mNS0_19identity_decomposerENS1_16block_id_wrapperIjLb0EEEEE10hipError_tT1_PNSt15iterator_traitsISG_E10value_typeET2_T3_PNSH_ISM_E10value_typeET4_T5_PSR_SS_PNS1_23onesweep_lookback_stateEbbT6_jjT7_P12ihipStream_tbENKUlT_T0_SG_SL_E_clISA_SA_SB_SB_EEDaSZ_S10_SG_SL_EUlSZ_E_NS1_11comp_targetILNS1_3genE0ELNS1_11target_archE4294967295ELNS1_3gpuE0ELNS1_3repE0EEENS1_47radix_sort_onesweep_sort_config_static_selectorELNS0_4arch9wavefront6targetE0EEEvSG_
	.p2align	8
	.type	_ZN7rocprim17ROCPRIM_400000_NS6detail17trampoline_kernelINS0_14default_configENS1_35radix_sort_onesweep_config_selectorIlNS0_10empty_typeEEEZZNS1_29radix_sort_onesweep_iterationIS3_Lb1EPKlPlPS5_SB_mNS0_19identity_decomposerENS1_16block_id_wrapperIjLb0EEEEE10hipError_tT1_PNSt15iterator_traitsISG_E10value_typeET2_T3_PNSH_ISM_E10value_typeET4_T5_PSR_SS_PNS1_23onesweep_lookback_stateEbbT6_jjT7_P12ihipStream_tbENKUlT_T0_SG_SL_E_clISA_SA_SB_SB_EEDaSZ_S10_SG_SL_EUlSZ_E_NS1_11comp_targetILNS1_3genE0ELNS1_11target_archE4294967295ELNS1_3gpuE0ELNS1_3repE0EEENS1_47radix_sort_onesweep_sort_config_static_selectorELNS0_4arch9wavefront6targetE0EEEvSG_,@function
_ZN7rocprim17ROCPRIM_400000_NS6detail17trampoline_kernelINS0_14default_configENS1_35radix_sort_onesweep_config_selectorIlNS0_10empty_typeEEEZZNS1_29radix_sort_onesweep_iterationIS3_Lb1EPKlPlPS5_SB_mNS0_19identity_decomposerENS1_16block_id_wrapperIjLb0EEEEE10hipError_tT1_PNSt15iterator_traitsISG_E10value_typeET2_T3_PNSH_ISM_E10value_typeET4_T5_PSR_SS_PNS1_23onesweep_lookback_stateEbbT6_jjT7_P12ihipStream_tbENKUlT_T0_SG_SL_E_clISA_SA_SB_SB_EEDaSZ_S10_SG_SL_EUlSZ_E_NS1_11comp_targetILNS1_3genE0ELNS1_11target_archE4294967295ELNS1_3gpuE0ELNS1_3repE0EEENS1_47radix_sort_onesweep_sort_config_static_selectorELNS0_4arch9wavefront6targetE0EEEvSG_: ; @_ZN7rocprim17ROCPRIM_400000_NS6detail17trampoline_kernelINS0_14default_configENS1_35radix_sort_onesweep_config_selectorIlNS0_10empty_typeEEEZZNS1_29radix_sort_onesweep_iterationIS3_Lb1EPKlPlPS5_SB_mNS0_19identity_decomposerENS1_16block_id_wrapperIjLb0EEEEE10hipError_tT1_PNSt15iterator_traitsISG_E10value_typeET2_T3_PNSH_ISM_E10value_typeET4_T5_PSR_SS_PNS1_23onesweep_lookback_stateEbbT6_jjT7_P12ihipStream_tbENKUlT_T0_SG_SL_E_clISA_SA_SB_SB_EEDaSZ_S10_SG_SL_EUlSZ_E_NS1_11comp_targetILNS1_3genE0ELNS1_11target_archE4294967295ELNS1_3gpuE0ELNS1_3repE0EEENS1_47radix_sort_onesweep_sort_config_static_selectorELNS0_4arch9wavefront6targetE0EEEvSG_
; %bb.0:
	s_clause 0x3
	s_load_b96 s[20:22], s[0:1], 0x44
	s_load_b64 s[10:11], s[0:1], 0x38
	s_load_b128 s[16:19], s[0:1], 0x0
	s_load_b128 s[12:15], s[0:1], 0x28
	s_bfe_u32 s2, ttmp6, 0x4000c
	s_and_b32 s3, ttmp6, 15
	s_add_co_i32 s2, s2, 1
	s_getreg_b32 s4, hwreg(HW_REG_IB_STS2, 6, 4)
	s_mul_i32 s2, ttmp9, s2
	v_and_b32_e32 v32, 0x3ff, v0
	s_add_co_i32 s2, s3, s2
	s_cmp_eq_u32 s4, 0
	v_mbcnt_lo_u32_b32 v33, -1, 0
	s_cselect_b32 s9, ttmp9, s2
	s_mov_b32 s3, 0
	s_mov_b32 s2, -1
	s_add_nc_u64 s[24:25], s[0:1], 0x58
	s_wait_kmcnt 0x0
	s_cmp_ge_u32 s9, s22
	s_cbranch_scc0 .LBB1123_66
; %bb.1:
	v_dual_lshlrev_b32 v2, 3, v32 :: v_dual_lshlrev_b32 v6, 3, v33
	s_load_b32 s4, s[0:1], 0x20
	s_lshl_b32 s2, s9, 12
	v_mov_b64_e32 v[4:5], -1
	s_delay_alu instid0(VALU_DEP_2) | instskip(SKIP_2) | instid1(SALU_CYCLE_1)
	v_and_b32_e32 v1, 0xf00, v2
	v_mov_b32_e32 v7, 0
	s_lshl_b64 s[2:3], s[2:3], 3
	s_add_nc_u64 s[2:3], s[16:17], s[2:3]
	s_delay_alu instid0(VALU_DEP_1) | instid1(SALU_CYCLE_1)
	v_add_nc_u64_e32 v[8:9], s[2:3], v[6:7]
	v_dual_lshlrev_b32 v6, 3, v1 :: v_dual_bitop2_b32 v1, v33, v1 bitop3:0x54
	s_lshl_b32 s2, s22, 12
	s_delay_alu instid0(VALU_DEP_1)
	v_add_nc_u64_e32 v[20:21], v[8:9], v[6:7]
	v_mov_b64_e32 v[6:7], -1
	s_wait_kmcnt 0x0
	s_sub_co_i32 s22, s4, s2
	s_mov_b32 s2, exec_lo
	v_cmpx_gt_u32_e64 s22, v1
	s_cbranch_execz .LBB1123_3
; %bb.2:
	global_load_b64 v[6:7], v[20:21], off
	s_wait_loadcnt 0x0
	v_xor_b32_e32 v7, 0x7fffffff, v7
	v_not_b32_e32 v6, v6
.LBB1123_3:
	s_or_b32 exec_lo, exec_lo, s2
	v_or_b32_e32 v3, 32, v1
	s_mov_b32 s2, exec_lo
	s_delay_alu instid0(VALU_DEP_1)
	v_cmpx_gt_u32_e64 s22, v3
	s_cbranch_execz .LBB1123_5
; %bb.4:
	global_load_b64 v[4:5], v[20:21], off offset:256
	s_wait_loadcnt 0x0
	v_xor_b32_e32 v5, 0x7fffffff, v5
	v_not_b32_e32 v4, v4
.LBB1123_5:
	s_or_b32 exec_lo, exec_lo, s2
	v_mov_b64_e32 v[8:9], -1
	v_mov_b64_e32 v[10:11], -1
	v_or_b32_e32 v3, 64, v1
	s_mov_b32 s2, exec_lo
	s_delay_alu instid0(VALU_DEP_1)
	v_cmpx_gt_u32_e64 s22, v3
	s_cbranch_execz .LBB1123_7
; %bb.6:
	global_load_b64 v[10:11], v[20:21], off offset:512
	s_wait_loadcnt 0x0
	v_xor_b32_e32 v11, 0x7fffffff, v11
	v_not_b32_e32 v10, v10
.LBB1123_7:
	s_or_b32 exec_lo, exec_lo, s2
	v_or_b32_e32 v3, 0x60, v1
	s_mov_b32 s2, exec_lo
	s_delay_alu instid0(VALU_DEP_1)
	v_cmpx_gt_u32_e64 s22, v3
	s_cbranch_execz .LBB1123_9
; %bb.8:
	global_load_b64 v[8:9], v[20:21], off offset:768
	s_wait_loadcnt 0x0
	v_xor_b32_e32 v9, 0x7fffffff, v9
	v_not_b32_e32 v8, v8
.LBB1123_9:
	s_or_b32 exec_lo, exec_lo, s2
	v_mov_b64_e32 v[12:13], -1
	v_mov_b64_e32 v[14:15], -1
	v_or_b32_e32 v3, 0x80, v1
	s_mov_b32 s2, exec_lo
	s_delay_alu instid0(VALU_DEP_1)
	v_cmpx_gt_u32_e64 s22, v3
	s_cbranch_execz .LBB1123_11
; %bb.10:
	global_load_b64 v[14:15], v[20:21], off offset:1024
	s_wait_loadcnt 0x0
	v_xor_b32_e32 v15, 0x7fffffff, v15
	v_not_b32_e32 v14, v14
.LBB1123_11:
	;; [unrolled: 26-line block ×3, first 2 shown]
	s_or_b32 exec_lo, exec_lo, s2
	v_or_b32_e32 v1, 0xe0, v1
	s_mov_b32 s2, exec_lo
	s_delay_alu instid0(VALU_DEP_1)
	v_cmpx_gt_u32_e64 s22, v1
	s_cbranch_execz .LBB1123_17
; %bb.16:
	global_load_b64 v[16:17], v[20:21], off offset:1792
	s_wait_loadcnt 0x0
	v_xor_b32_e32 v17, 0x7fffffff, v17
	v_not_b32_e32 v16, v16
.LBB1123_17:
	s_or_b32 exec_lo, exec_lo, s2
	s_clause 0x1
	s_load_b32 s23, s[0:1], 0x58
	s_load_u16 s4, s[0:1], 0x66
	v_lshrrev_b64 v[20:21], s20, v[6:7]
	v_bfe_u32 v1, v0, 10, 10
	v_bfe_u32 v3, v0, 20, 10
	s_mov_b32 s3, 0
	s_wait_kmcnt 0x0
	s_cmp_lt_u32 s9, s23
	s_delay_alu instid0(VALU_DEP_1)
	v_mad_u32_u24 v1, v3, s4, v1
	s_cselect_b32 s2, 12, 18
	s_lshl_b32 s26, -1, s21
	s_add_nc_u64 s[2:3], s[24:25], s[2:3]
	v_bitop3_b32 v3, v20, 1, s26 bitop3:0x40
	s_load_u16 s27, s[2:3], 0x0
	v_bitop3_b32 v22, v20, s26, v20 bitop3:0x30
	s_wait_xcnt 0x0
	s_delay_alu instid0(VALU_DEP_2) | instskip(NEXT) | instid1(VALU_DEP_1)
	v_add_co_u32 v3, s2, v3, -1
	v_cndmask_b32_e64 v20, 0, 1, s2
	s_delay_alu instid0(VALU_DEP_3) | instskip(SKIP_1) | instid1(VALU_DEP_3)
	v_dual_lshlrev_b32 v21, 30, v22 :: v_dual_lshlrev_b32 v23, 29, v22
	v_dual_lshlrev_b32 v24, 28, v22 :: v_dual_lshlrev_b32 v25, 27, v22
	v_cmp_ne_u32_e32 vcc_lo, 0, v20
	s_delay_alu instid0(VALU_DEP_3)
	v_not_b32_e32 v20, v21
	v_dual_lshlrev_b32 v26, 26, v22 :: v_dual_lshlrev_b32 v27, 25, v22
	v_lshlrev_b32_e32 v28, 24, v22
	v_cmp_gt_i32_e64 s2, 0, v21
	v_cmp_gt_i32_e64 s3, 0, v23
	v_not_b32_e32 v21, v23
	v_not_b32_e32 v23, v24
	v_ashrrev_i32_e32 v20, 31, v20
	s_wait_kmcnt 0x0
	v_mad_u32 v1, v1, s27, v32
	v_cmp_gt_i32_e64 s4, 0, v24
	v_cmp_gt_i32_e64 s5, 0, v25
	v_not_b32_e32 v24, v25
	v_not_b32_e32 v25, v26
	v_dual_ashrrev_i32 v21, 31, v21 :: v_dual_bitop2_b32 v3, vcc_lo, v3 bitop3:0x14
	s_delay_alu instid0(VALU_DEP_3) | instskip(NEXT) | instid1(VALU_DEP_3)
	v_dual_ashrrev_i32 v23, 31, v23 :: v_dual_ashrrev_i32 v24, 31, v24
	v_dual_ashrrev_i32 v25, 31, v25 :: v_dual_bitop2_b32 v20, s2, v20 bitop3:0x14
	v_cmp_gt_i32_e64 s6, 0, v26
	v_cmp_gt_i32_e64 s7, 0, v27
	v_not_b32_e32 v26, v27
	v_not_b32_e32 v27, v28
	v_xor_b32_e32 v21, s3, v21
	v_dual_lshrrev_b32 v1, 5, v1 :: v_dual_bitop2_b32 v23, s4, v23 bitop3:0x14
	v_bitop3_b32 v3, v3, v20, exec_lo bitop3:0x80
	v_cmp_gt_i32_e64 s8, 0, v28
	v_dual_ashrrev_i32 v20, 31, v26 :: v_dual_ashrrev_i32 v26, 31, v27
	v_xor_b32_e32 v24, s5, v24
	v_xor_b32_e32 v25, s6, v25
	v_bitop3_b32 v3, v3, v23, v21 bitop3:0x80
	s_delay_alu instid0(VALU_DEP_4) | instskip(SKIP_1) | instid1(VALU_DEP_3)
	v_dual_mov_b32 v23, 0 :: v_dual_bitop2_b32 v21, s7, v20 bitop3:0x14
	v_dual_lshlrev_b32 v20, 2, v1 :: v_dual_bitop2_b32 v26, s8, v26 bitop3:0x14
	v_bitop3_b32 v24, v3, v25, v24 bitop3:0x80
	v_mul_u32_u24_e32 v3, 36, v32
	s_not_b32 s6, s26
	s_delay_alu instid0(VALU_DEP_3)
	v_mad_u32 v28, 0x44, v22, v20
	ds_store_2addr_b32 v3, v23, v23 offset0:16 offset1:17
	ds_store_2addr_b32 v3, v23, v23 offset0:18 offset1:19
	;; [unrolled: 1-line block ×4, first 2 shown]
	v_bitop3_b32 v21, v24, v26, v21 bitop3:0x80
	ds_store_b32 v3, v23 offset:96
	s_wait_dscnt 0x0
	s_barrier_signal -1
	s_barrier_wait -1
	v_mbcnt_lo_u32_b32 v1, v21, 0
	v_cmp_ne_u32_e64 s2, 0, v21
	; wave barrier
	s_delay_alu instid0(VALU_DEP_2) | instskip(SKIP_1) | instid1(SALU_CYCLE_1)
	v_cmp_eq_u32_e32 vcc_lo, 0, v1
	s_and_b32 s3, s2, vcc_lo
	s_and_saveexec_b32 s2, s3
; %bb.18:
	v_bcnt_u32_b32 v21, v21, 0
	ds_store_b32 v28, v21 offset:64
; %bb.19:
	s_or_b32 exec_lo, exec_lo, s2
	v_lshrrev_b64 v[22:23], s20, v[4:5]
	; wave barrier
	s_delay_alu instid0(VALU_DEP_1) | instskip(SKIP_1) | instid1(VALU_DEP_2)
	v_and_b32_e32 v21, s6, v22
	v_bitop3_b32 v22, v22, 1, s6 bitop3:0x80
	v_lshlrev_b32_e32 v24, 30, v21
	s_delay_alu instid0(VALU_DEP_2) | instskip(NEXT) | instid1(VALU_DEP_1)
	v_add_co_u32 v22, s2, v22, -1
	v_cndmask_b32_e64 v23, 0, 1, s2
	s_delay_alu instid0(VALU_DEP_1) | instskip(NEXT) | instid1(VALU_DEP_4)
	v_cmp_ne_u32_e32 vcc_lo, 0, v23
	v_not_b32_e32 v23, v24
	s_delay_alu instid0(VALU_DEP_1) | instskip(SKIP_4) | instid1(VALU_DEP_4)
	v_dual_ashrrev_i32 v23, 31, v23 :: v_dual_bitop2_b32 v22, vcc_lo, v22 bitop3:0x14
	v_dual_lshlrev_b32 v25, 29, v21 :: v_dual_lshlrev_b32 v26, 28, v21
	v_lshlrev_b32_e32 v27, 27, v21
	v_cmp_gt_i32_e64 s2, 0, v24
	v_mad_u32 v29, 0x44, v21, v20
	v_cmp_gt_i32_e64 s3, 0, v25
	v_not_b32_e32 v24, v25
	v_not_b32_e32 v25, v26
	v_dual_lshlrev_b32 v30, 26, v21 :: v_dual_lshlrev_b32 v31, 25, v21
	v_lshlrev_b32_e32 v21, 24, v21
	v_cmp_gt_i32_e64 s4, 0, v26
	v_not_b32_e32 v26, v27
	v_dual_ashrrev_i32 v24, 31, v24 :: v_dual_ashrrev_i32 v25, 31, v25
	v_xor_b32_e32 v23, s2, v23
	v_cmp_gt_i32_e64 s5, 0, v27
	v_not_b32_e32 v27, v30
	s_delay_alu instid0(VALU_DEP_4)
	v_dual_ashrrev_i32 v26, 31, v26 :: v_dual_bitop2_b32 v24, s3, v24 bitop3:0x14
	v_xor_b32_e32 v25, s4, v25
	v_bitop3_b32 v22, v22, v23, exec_lo bitop3:0x80
	v_cmp_gt_i32_e32 vcc_lo, 0, v30
	v_ashrrev_i32_e32 v23, 31, v27
	v_not_b32_e32 v27, v31
	v_xor_b32_e32 v26, s5, v26
	v_bitop3_b32 v22, v22, v25, v24 bitop3:0x80
	v_not_b32_e32 v24, v21
	v_xor_b32_e32 v23, vcc_lo, v23
	v_cmp_gt_i32_e32 vcc_lo, 0, v31
	v_ashrrev_i32_e32 v25, 31, v27
	v_cmp_gt_i32_e64 s2, 0, v21
	v_ashrrev_i32_e32 v21, 31, v24
	v_bitop3_b32 v22, v22, v23, v26 bitop3:0x80
	ds_load_b32 v34, v29 offset:64
	v_xor_b32_e32 v23, vcc_lo, v25
	v_xor_b32_e32 v21, s2, v21
	; wave barrier
	s_delay_alu instid0(VALU_DEP_1) | instskip(NEXT) | instid1(VALU_DEP_1)
	v_bitop3_b32 v21, v22, v21, v23 bitop3:0x80
	v_mbcnt_lo_u32_b32 v35, v21, 0
	v_cmp_ne_u32_e64 s2, 0, v21
	s_delay_alu instid0(VALU_DEP_2) | instskip(SKIP_1) | instid1(SALU_CYCLE_1)
	v_cmp_eq_u32_e32 vcc_lo, 0, v35
	s_and_b32 s3, s2, vcc_lo
	s_and_saveexec_b32 s2, s3
	s_cbranch_execz .LBB1123_21
; %bb.20:
	s_wait_dscnt 0x0
	v_bcnt_u32_b32 v21, v21, v34
	ds_store_b32 v29, v21 offset:64
.LBB1123_21:
	s_or_b32 exec_lo, exec_lo, s2
	v_lshrrev_b64 v[22:23], s20, v[10:11]
	; wave barrier
	s_delay_alu instid0(VALU_DEP_1) | instskip(SKIP_1) | instid1(VALU_DEP_2)
	v_and_b32_e32 v21, s6, v22
	v_bitop3_b32 v22, v22, 1, s6 bitop3:0x80
	v_lshlrev_b32_e32 v24, 30, v21
	s_delay_alu instid0(VALU_DEP_2) | instskip(NEXT) | instid1(VALU_DEP_1)
	v_add_co_u32 v22, s2, v22, -1
	v_cndmask_b32_e64 v23, 0, 1, s2
	s_delay_alu instid0(VALU_DEP_1) | instskip(NEXT) | instid1(VALU_DEP_4)
	v_cmp_ne_u32_e32 vcc_lo, 0, v23
	v_not_b32_e32 v23, v24
	s_delay_alu instid0(VALU_DEP_1) | instskip(SKIP_4) | instid1(VALU_DEP_4)
	v_dual_ashrrev_i32 v23, 31, v23 :: v_dual_bitop2_b32 v22, vcc_lo, v22 bitop3:0x14
	v_dual_lshlrev_b32 v25, 29, v21 :: v_dual_lshlrev_b32 v26, 28, v21
	v_lshlrev_b32_e32 v27, 27, v21
	v_cmp_gt_i32_e64 s2, 0, v24
	v_mad_u32 v30, 0x44, v21, v20
	v_cmp_gt_i32_e64 s3, 0, v25
	v_not_b32_e32 v24, v25
	v_not_b32_e32 v25, v26
	v_dual_lshlrev_b32 v31, 26, v21 :: v_dual_lshlrev_b32 v36, 25, v21
	v_lshlrev_b32_e32 v21, 24, v21
	v_cmp_gt_i32_e64 s4, 0, v26
	v_not_b32_e32 v26, v27
	v_dual_ashrrev_i32 v24, 31, v24 :: v_dual_ashrrev_i32 v25, 31, v25
	v_xor_b32_e32 v23, s2, v23
	v_cmp_gt_i32_e64 s5, 0, v27
	v_not_b32_e32 v27, v31
	s_delay_alu instid0(VALU_DEP_4)
	v_dual_ashrrev_i32 v26, 31, v26 :: v_dual_bitop2_b32 v24, s3, v24 bitop3:0x14
	v_xor_b32_e32 v25, s4, v25
	v_bitop3_b32 v22, v22, v23, exec_lo bitop3:0x80
	v_cmp_gt_i32_e32 vcc_lo, 0, v31
	v_ashrrev_i32_e32 v23, 31, v27
	v_not_b32_e32 v27, v36
	v_xor_b32_e32 v26, s5, v26
	v_bitop3_b32 v22, v22, v25, v24 bitop3:0x80
	v_not_b32_e32 v24, v21
	v_xor_b32_e32 v23, vcc_lo, v23
	v_cmp_gt_i32_e32 vcc_lo, 0, v36
	v_ashrrev_i32_e32 v25, 31, v27
	v_cmp_gt_i32_e64 s2, 0, v21
	v_ashrrev_i32_e32 v21, 31, v24
	v_bitop3_b32 v22, v22, v23, v26 bitop3:0x80
	ds_load_b32 v36, v30 offset:64
	v_xor_b32_e32 v23, vcc_lo, v25
	v_xor_b32_e32 v21, s2, v21
	; wave barrier
	s_delay_alu instid0(VALU_DEP_1) | instskip(NEXT) | instid1(VALU_DEP_1)
	v_bitop3_b32 v21, v22, v21, v23 bitop3:0x80
	v_mbcnt_lo_u32_b32 v37, v21, 0
	v_cmp_ne_u32_e64 s2, 0, v21
	s_delay_alu instid0(VALU_DEP_2) | instskip(SKIP_1) | instid1(SALU_CYCLE_1)
	v_cmp_eq_u32_e32 vcc_lo, 0, v37
	s_and_b32 s3, s2, vcc_lo
	s_and_saveexec_b32 s2, s3
	s_cbranch_execz .LBB1123_23
; %bb.22:
	s_wait_dscnt 0x0
	v_bcnt_u32_b32 v21, v21, v36
	ds_store_b32 v30, v21 offset:64
.LBB1123_23:
	;; [unrolled: 64-line block ×6, first 2 shown]
	s_or_b32 exec_lo, exec_lo, s2
	v_lshrrev_b64 v[22:23], s20, v[16:17]
	; wave barrier
	s_delay_alu instid0(VALU_DEP_1) | instskip(SKIP_1) | instid1(VALU_DEP_2)
	v_and_b32_e32 v21, s6, v22
	v_bitop3_b32 v22, v22, 1, s6 bitop3:0x80
	v_mad_u32 v51, 0x44, v21, v20
	s_delay_alu instid0(VALU_DEP_2) | instskip(NEXT) | instid1(VALU_DEP_1)
	v_add_co_u32 v20, s2, v22, -1
	v_cndmask_b32_e64 v22, 0, 1, s2
	v_lshlrev_b32_e32 v23, 30, v21
	s_delay_alu instid0(VALU_DEP_2) | instskip(NEXT) | instid1(VALU_DEP_2)
	v_cmp_ne_u32_e32 vcc_lo, 0, v22
	v_not_b32_e32 v22, v23
	s_delay_alu instid0(VALU_DEP_1) | instskip(SKIP_4) | instid1(VALU_DEP_4)
	v_dual_ashrrev_i32 v22, 31, v22 :: v_dual_bitop2_b32 v20, vcc_lo, v20 bitop3:0x14
	v_dual_lshlrev_b32 v24, 29, v21 :: v_dual_lshlrev_b32 v25, 28, v21
	v_lshlrev_b32_e32 v26, 27, v21
	v_cmp_gt_i32_e64 s2, 0, v23
	v_dual_lshlrev_b32 v27, 26, v21 :: v_dual_lshlrev_b32 v49, 25, v21
	v_cmp_gt_i32_e64 s3, 0, v24
	v_not_b32_e32 v23, v24
	v_not_b32_e32 v24, v25
	v_lshlrev_b32_e32 v21, 24, v21
	v_cmp_gt_i32_e64 s4, 0, v25
	v_not_b32_e32 v25, v26
	s_delay_alu instid0(VALU_DEP_4) | instskip(SKIP_3) | instid1(VALU_DEP_4)
	v_dual_ashrrev_i32 v23, 31, v23 :: v_dual_ashrrev_i32 v24, 31, v24
	v_xor_b32_e32 v22, s2, v22
	v_cmp_gt_i32_e64 s5, 0, v26
	v_not_b32_e32 v26, v27
	v_dual_ashrrev_i32 v25, 31, v25 :: v_dual_bitop2_b32 v23, s3, v23 bitop3:0x14
	v_xor_b32_e32 v24, s4, v24
	v_bitop3_b32 v20, v20, v22, exec_lo bitop3:0x80
	v_cmp_gt_i32_e32 vcc_lo, 0, v27
	v_ashrrev_i32_e32 v22, 31, v26
	v_not_b32_e32 v26, v49
	v_xor_b32_e32 v25, s5, v25
	v_bitop3_b32 v20, v20, v24, v23 bitop3:0x80
	v_not_b32_e32 v23, v21
	v_xor_b32_e32 v22, vcc_lo, v22
	v_cmp_gt_i32_e32 vcc_lo, 0, v49
	v_ashrrev_i32_e32 v24, 31, v26
	v_cmp_gt_i32_e64 s2, 0, v21
	v_ashrrev_i32_e32 v21, 31, v23
	v_bitop3_b32 v20, v20, v22, v25 bitop3:0x80
	ds_load_b32 v49, v51 offset:64
	v_xor_b32_e32 v22, vcc_lo, v24
	v_xor_b32_e32 v21, s2, v21
	; wave barrier
	s_delay_alu instid0(VALU_DEP_1) | instskip(NEXT) | instid1(VALU_DEP_1)
	v_bitop3_b32 v20, v20, v21, v22 bitop3:0x80
	v_mbcnt_lo_u32_b32 v50, v20, 0
	v_cmp_ne_u32_e64 s2, 0, v20
	s_delay_alu instid0(VALU_DEP_2) | instskip(SKIP_1) | instid1(SALU_CYCLE_1)
	v_cmp_eq_u32_e32 vcc_lo, 0, v50
	s_and_b32 s3, s2, vcc_lo
	s_and_saveexec_b32 s2, s3
	s_cbranch_execz .LBB1123_33
; %bb.32:
	s_wait_dscnt 0x0
	v_bcnt_u32_b32 v20, v20, v49
	ds_store_b32 v51, v20 offset:64
.LBB1123_33:
	s_or_b32 exec_lo, exec_lo, s2
	; wave barrier
	s_wait_dscnt 0x0
	s_barrier_signal -1
	s_barrier_wait -1
	ds_load_2addr_b32 v[26:27], v3 offset0:16 offset1:17
	ds_load_2addr_b32 v[24:25], v3 offset0:18 offset1:19
	ds_load_2addr_b32 v[22:23], v3 offset0:20 offset1:21
	ds_load_2addr_b32 v[20:21], v3 offset0:22 offset1:23
	ds_load_b32 v52, v3 offset:96
	v_bfe_i32 v55, v33, 4, 1
	s_mov_b32 s7, exec_lo
	s_wait_dscnt 0x3
	v_add3_u32 v53, v27, v26, v24
	s_wait_dscnt 0x2
	s_delay_alu instid0(VALU_DEP_1) | instskip(SKIP_1) | instid1(VALU_DEP_1)
	v_add3_u32 v53, v53, v25, v22
	s_wait_dscnt 0x1
	v_add3_u32 v53, v53, v23, v20
	s_wait_dscnt 0x0
	s_delay_alu instid0(VALU_DEP_1) | instskip(SKIP_1) | instid1(VALU_DEP_2)
	v_add3_u32 v52, v53, v21, v52
	v_and_b32_e32 v53, 15, v33
	v_mov_b32_dpp v54, v52 row_shr:1 row_mask:0xf bank_mask:0xf
	s_delay_alu instid0(VALU_DEP_2) | instskip(NEXT) | instid1(VALU_DEP_2)
	v_cmp_eq_u32_e32 vcc_lo, 0, v53
	v_cndmask_b32_e64 v54, v54, 0, vcc_lo
	s_delay_alu instid0(VALU_DEP_1) | instskip(SKIP_3) | instid1(VALU_DEP_4)
	v_add_nc_u32_e32 v52, v54, v52
	v_cmp_lt_u32_e64 s2, 1, v53
	v_cmp_lt_u32_e64 s3, 3, v53
	;; [unrolled: 1-line block ×3, first 2 shown]
	v_mov_b32_dpp v54, v52 row_shr:2 row_mask:0xf bank_mask:0xf
	s_delay_alu instid0(VALU_DEP_1) | instskip(NEXT) | instid1(VALU_DEP_1)
	v_cndmask_b32_e64 v54, 0, v54, s2
	v_add_nc_u32_e32 v52, v52, v54
	s_delay_alu instid0(VALU_DEP_1) | instskip(NEXT) | instid1(VALU_DEP_1)
	v_mov_b32_dpp v54, v52 row_shr:4 row_mask:0xf bank_mask:0xf
	v_cndmask_b32_e64 v54, 0, v54, s3
	s_delay_alu instid0(VALU_DEP_1) | instskip(NEXT) | instid1(VALU_DEP_1)
	v_add_nc_u32_e32 v52, v52, v54
	v_mov_b32_dpp v54, v52 row_shr:8 row_mask:0xf bank_mask:0xf
	s_delay_alu instid0(VALU_DEP_1) | instskip(SKIP_1) | instid1(VALU_DEP_2)
	v_cndmask_b32_e64 v53, 0, v54, s4
	v_and_b32_e32 v54, 0x3e0, v32
	v_add_nc_u32_e32 v52, v52, v53
	s_delay_alu instid0(VALU_DEP_2) | instskip(SKIP_3) | instid1(VALU_DEP_1)
	v_min_u32_e32 v54, 0x1e0, v54
	ds_swizzle_b32 v53, v52 offset:swizzle(BROADCAST,32,15)
	s_wait_dscnt 0x0
	v_dual_lshrrev_b32 v53, 5, v32 :: v_dual_bitop2_b32 v55, v55, v53 bitop3:0x40
	v_dual_add_nc_u32 v52, v52, v55 :: v_dual_bitop2_b32 v54, 31, v54 bitop3:0x54
	s_delay_alu instid0(VALU_DEP_1)
	v_cmpx_eq_u32_e64 v32, v54
; %bb.34:
	s_delay_alu instid0(VALU_DEP_3)
	v_lshlrev_b32_e32 v54, 2, v53
	ds_store_b32 v54, v52
; %bb.35:
	s_or_b32 exec_lo, exec_lo, s7
	s_delay_alu instid0(SALU_CYCLE_1)
	s_mov_b32 s7, exec_lo
	s_wait_dscnt 0x0
	s_barrier_signal -1
	s_barrier_wait -1
	v_cmpx_gt_u32_e32 16, v32
	s_cbranch_execz .LBB1123_37
; %bb.36:
	v_lshlrev_b32_e32 v54, 2, v32
	ds_load_b32 v55, v54
	s_wait_dscnt 0x0
	v_mov_b32_dpp v56, v55 row_shr:1 row_mask:0xf bank_mask:0xf
	s_delay_alu instid0(VALU_DEP_1) | instskip(NEXT) | instid1(VALU_DEP_1)
	v_cndmask_b32_e64 v56, v56, 0, vcc_lo
	v_add_nc_u32_e32 v55, v56, v55
	s_delay_alu instid0(VALU_DEP_1) | instskip(NEXT) | instid1(VALU_DEP_1)
	v_mov_b32_dpp v56, v55 row_shr:2 row_mask:0xf bank_mask:0xf
	v_cndmask_b32_e64 v56, 0, v56, s2
	s_delay_alu instid0(VALU_DEP_1) | instskip(NEXT) | instid1(VALU_DEP_1)
	v_add_nc_u32_e32 v55, v55, v56
	v_mov_b32_dpp v56, v55 row_shr:4 row_mask:0xf bank_mask:0xf
	s_delay_alu instid0(VALU_DEP_1) | instskip(NEXT) | instid1(VALU_DEP_1)
	v_cndmask_b32_e64 v56, 0, v56, s3
	v_add_nc_u32_e32 v55, v55, v56
	s_delay_alu instid0(VALU_DEP_1) | instskip(NEXT) | instid1(VALU_DEP_1)
	v_mov_b32_dpp v56, v55 row_shr:8 row_mask:0xf bank_mask:0xf
	v_cndmask_b32_e64 v56, 0, v56, s4
	s_delay_alu instid0(VALU_DEP_1)
	v_add_nc_u32_e32 v55, v55, v56
	ds_store_b32 v54, v55
.LBB1123_37:
	s_or_b32 exec_lo, exec_lo, s7
	v_mov_b32_e32 v54, 0
	s_mov_b32 s2, exec_lo
	s_wait_dscnt 0x0
	s_barrier_signal -1
	s_barrier_wait -1
	v_cmpx_lt_u32_e32 31, v32
; %bb.38:
	v_lshl_add_u32 v53, v53, 2, -4
	ds_load_b32 v54, v53
; %bb.39:
	s_or_b32 exec_lo, exec_lo, s2
	v_sub_co_u32 v53, vcc_lo, v33, 1
	s_wait_dscnt 0x0
	v_add_nc_u32_e32 v52, v54, v52
	s_delay_alu instid0(VALU_DEP_2) | instskip(NEXT) | instid1(VALU_DEP_1)
	v_cmp_gt_i32_e64 s2, 0, v53
	v_cndmask_b32_e64 v53, v53, v33, s2
	v_cmp_lt_u32_e64 s2, 0xff, v32
	s_delay_alu instid0(VALU_DEP_2) | instskip(SKIP_4) | instid1(VALU_DEP_2)
	v_lshlrev_b32_e32 v53, 2, v53
	ds_bpermute_b32 v52, v53, v52
	s_wait_dscnt 0x0
	v_cndmask_b32_e32 v52, v52, v54, vcc_lo
	v_cmp_ne_u32_e32 vcc_lo, 0, v32
	v_cndmask_b32_e32 v52, 0, v52, vcc_lo
	v_cmp_gt_u32_e32 vcc_lo, 0x100, v32
	s_delay_alu instid0(VALU_DEP_2) | instskip(NEXT) | instid1(VALU_DEP_1)
	v_add_nc_u32_e32 v26, v52, v26
	v_add_nc_u32_e32 v27, v26, v27
	s_delay_alu instid0(VALU_DEP_1) | instskip(NEXT) | instid1(VALU_DEP_1)
	v_add_nc_u32_e32 v24, v27, v24
	v_add_nc_u32_e32 v25, v24, v25
	s_delay_alu instid0(VALU_DEP_1) | instskip(NEXT) | instid1(VALU_DEP_1)
	;; [unrolled: 3-line block ×3, first 2 shown]
	v_add_nc_u32_e32 v20, v23, v20
	v_add_nc_u32_e32 v21, v20, v21
	ds_store_2addr_b32 v3, v52, v26 offset0:16 offset1:17
	ds_store_2addr_b32 v3, v27, v24 offset0:18 offset1:19
	;; [unrolled: 1-line block ×4, first 2 shown]
	ds_store_b32 v3, v21 offset:96
	s_wait_dscnt 0x0
	s_barrier_signal -1
	s_barrier_wait -1
	ds_load_b32 v54, v28 offset:64
	ds_load_b32 v23, v29 offset:64
	;; [unrolled: 1-line block ×8, first 2 shown]
	v_mov_b64_e32 v[20:21], 0
                                        ; implicit-def: $vgpr22
	s_and_saveexec_b32 s4, vcc_lo
	s_cbranch_execz .LBB1123_43
; %bb.40:
	v_mul_u32_u24_e32 v3, 0x44, v32
	v_add_nc_u32_e32 v21, 1, v32
	s_mov_b32 s5, exec_lo
	ds_load_b32 v20, v3 offset:64
	v_mov_b32_e32 v3, 0x1000
	v_cmpx_ne_u32_e32 0x100, v21
; %bb.41:
	v_mul_u32_u24_e32 v3, 0x44, v21
	ds_load_b32 v3, v3 offset:64
; %bb.42:
	s_or_b32 exec_lo, exec_lo, s5
	s_wait_dscnt 0x0
	v_dual_mov_b32 v21, 0 :: v_dual_sub_nc_u32 v22, v3, v20
.LBB1123_43:
	s_or_b32 exec_lo, exec_lo, s4
	v_mov_b32_e32 v25, 0
	s_wait_dscnt 0x0
	s_barrier_signal -1
	s_barrier_wait -1
	s_and_saveexec_b32 s3, vcc_lo
	s_cbranch_execz .LBB1123_53
; %bb.44:
	v_lshl_add_u32 v24, s9, 8, v32
	v_dual_mov_b32 v28, 0 :: v_dual_bitop2_b32 v3, 2.0, v22 bitop3:0x54
	s_mov_b32 s4, 0
	s_mov_b32 s5, s9
	s_delay_alu instid0(VALU_DEP_2)
	v_lshl_add_u64 v[26:27], v[24:25], 2, s[10:11]
	global_store_b32 v24, v3, s[10:11] scale_offset scope:SCOPE_DEV
                                        ; implicit-def: $sgpr7
	s_branch .LBB1123_47
.LBB1123_45:                            ;   in Loop: Header=BB1123_47 Depth=1
	s_or_b32 exec_lo, exec_lo, s8
.LBB1123_46:                            ;   in Loop: Header=BB1123_47 Depth=1
	s_delay_alu instid0(SALU_CYCLE_1) | instskip(SKIP_2) | instid1(VALU_DEP_2)
	s_or_b32 exec_lo, exec_lo, s7
	v_and_b32_e32 v24, 0x3fffffff, v3
	v_cmp_gt_i32_e64 s7, -2.0, v3
	v_add_nc_u32_e32 v28, v24, v28
	s_and_b32 s8, exec_lo, s7
	s_delay_alu instid0(SALU_CYCLE_1) | instskip(NEXT) | instid1(SALU_CYCLE_1)
	s_or_b32 s4, s8, s4
	s_and_not1_b32 exec_lo, exec_lo, s4
	s_cbranch_execz .LBB1123_52
.LBB1123_47:                            ; =>This Loop Header: Depth=1
                                        ;     Child Loop BB1123_50 Depth 2
	s_or_b32 s7, s7, exec_lo
	s_cmp_eq_u32 s5, 0
	s_cbranch_scc1 .LBB1123_51
; %bb.48:                               ;   in Loop: Header=BB1123_47 Depth=1
	s_add_co_i32 s5, s5, -1
	s_mov_b32 s7, exec_lo
	s_wait_xcnt 0x0
	v_lshl_or_b32 v24, s5, 8, v32
	global_load_b32 v3, v24, s[10:11] scale_offset scope:SCOPE_DEV
	s_wait_loadcnt 0x0
	v_cmpx_gt_u32_e32 2.0, v3
	s_cbranch_execz .LBB1123_46
; %bb.49:                               ;   in Loop: Header=BB1123_47 Depth=1
	v_lshl_add_u64 v[30:31], v[24:25], 2, s[10:11]
	s_mov_b32 s8, 0
.LBB1123_50:                            ;   Parent Loop BB1123_47 Depth=1
                                        ; =>  This Inner Loop Header: Depth=2
	global_load_b32 v3, v[30:31], off scope:SCOPE_DEV
	s_wait_loadcnt 0x0
	v_cmp_lt_u32_e32 vcc_lo, 0x3fffffff, v3
	s_or_b32 s8, vcc_lo, s8
	s_wait_xcnt 0x0
	s_and_not1_b32 exec_lo, exec_lo, s8
	s_cbranch_execnz .LBB1123_50
	s_branch .LBB1123_45
.LBB1123_51:                            ;   in Loop: Header=BB1123_47 Depth=1
                                        ; implicit-def: $sgpr5
	s_and_b32 s8, exec_lo, s7
	s_delay_alu instid0(SALU_CYCLE_1)
	s_or_b32 s4, s8, s4
	s_wait_xcnt 0x0
	s_and_not1_b32 exec_lo, exec_lo, s4
	s_cbranch_execnz .LBB1123_47
.LBB1123_52:
	s_or_b32 exec_lo, exec_lo, s4
	v_dual_add_nc_u32 v3, v28, v22 :: v_dual_mov_b32 v29, 0
	s_delay_alu instid0(VALU_DEP_1)
	v_or_b32_e32 v3, 0x80000000, v3
	global_store_b32 v[26:27], v3, off scope:SCOPE_DEV
	global_load_b64 v[24:25], v32, s[12:13] scale_offset
	s_wait_xcnt 0x1
	v_sub_nc_u64_e32 v[26:27], v[28:29], v[20:21]
	s_wait_loadcnt 0x0
	s_delay_alu instid0(VALU_DEP_1)
	v_add_nc_u64_e32 v[24:25], v[26:27], v[24:25]
	ds_store_b64 v2, v[24:25]
.LBB1123_53:
	s_wait_xcnt 0x0
	s_or_b32 exec_lo, exec_lo, s3
	v_dual_mov_b32 v3, 0 :: v_dual_add_nc_u32 v1, v54, v1
	v_add3_u32 v26, v47, v48, v46
	v_add3_u32 v27, v44, v45, v42
	;; [unrolled: 1-line block ×3, first 2 shown]
	s_delay_alu instid0(VALU_DEP_4)
	v_add_nc_u64_e32 v[24:25], s[18:19], v[2:3]
	v_add3_u32 v3, v50, v51, v49
	v_add3_u32 v29, v39, v53, v38
	v_add3_u32 v30, v37, v52, v36
	v_add3_u32 v23, v35, v23, v34
	v_mov_b32_e32 v31, v32
	s_mov_b32 s4, -1
	v_add_nc_u64_e32 v[24:25], 0x3000, v[24:25]
	s_mov_b32 s3, 0
	s_branch .LBB1123_55
.LBB1123_54:                            ;   in Loop: Header=BB1123_55 Depth=1
	s_wait_xcnt 0x0
	s_or_b32 exec_lo, exec_lo, s5
	v_add_nc_u64_e32 v[24:25], 0x4000, v[24:25]
	v_add_nc_u32_e32 v31, 0x800, v31
	s_xor_b32 s4, s4, -1
	s_addk_co_i32 s3, 0xf800
	s_and_b32 vcc_lo, exec_lo, s4
	s_mov_b32 s4, 0
	s_wait_storecnt 0x0
	s_barrier_signal -1
	s_barrier_wait -1
	s_cbranch_vccnz .LBB1123_63
.LBB1123_55:                            ; =>This Inner Loop Header: Depth=1
	v_add_min_u32_e64 v34, v1, s3, 0x800
	v_add_min_u32_e64 v35, v23, s3, 0x800
	;; [unrolled: 1-line block ×5, first 2 shown]
	s_delay_alu instid0(VALU_DEP_4) | instskip(NEXT) | instid1(VALU_DEP_3)
	v_dual_lshlrev_b32 v34, 3, v34 :: v_dual_lshlrev_b32 v35, 3, v35
	v_dual_lshlrev_b32 v36, 3, v36 :: v_dual_lshlrev_b32 v37, 3, v37
	s_mov_b32 s5, exec_lo
	ds_store_b64 v34, v[6:7] offset:2048
	ds_store_b64 v35, v[4:5] offset:2048
	;; [unrolled: 1-line block ×3, first 2 shown]
	v_add_min_u32_e64 v34, v27, s3, 0x800
	v_add_min_u32_e64 v35, v26, s3, 0x800
	;; [unrolled: 1-line block ×3, first 2 shown]
	v_lshlrev_b32_e32 v38, 3, v38
	s_delay_alu instid0(VALU_DEP_3) | instskip(NEXT) | instid1(VALU_DEP_3)
	v_dual_lshlrev_b32 v34, 3, v34 :: v_dual_lshlrev_b32 v35, 3, v35
	v_lshlrev_b32_e32 v36, 3, v36
	ds_store_b64 v37, v[8:9] offset:2048
	ds_store_b64 v38, v[14:15] offset:2048
	;; [unrolled: 1-line block ×5, first 2 shown]
	s_wait_storecnt_dscnt 0x0
	s_barrier_signal -1
	s_barrier_wait -1
	v_cmpx_gt_u32_e64 s22, v31
	s_cbranch_execz .LBB1123_57
; %bb.56:                               ;   in Loop: Header=BB1123_55 Depth=1
	ds_load_b64 v[34:35], v2 offset:2048
	s_wait_dscnt 0x0
	v_lshrrev_b64 v[36:37], s20, v[34:35]
	v_xor_b32_e32 v35, 0x7fffffff, v35
	v_not_b32_e32 v34, v34
	s_delay_alu instid0(VALU_DEP_3) | instskip(NEXT) | instid1(VALU_DEP_1)
	v_and_b32_e32 v36, s6, v36
	v_lshlrev_b32_e32 v36, 3, v36
	ds_load_b64 v[36:37], v36
	s_wait_dscnt 0x0
	v_lshl_add_u64 v[36:37], v[36:37], 3, v[24:25]
	global_store_b64 v[36:37], v[34:35], off offset:-12288
.LBB1123_57:                            ;   in Loop: Header=BB1123_55 Depth=1
	s_wait_xcnt 0x0
	s_or_b32 exec_lo, exec_lo, s5
	v_add_nc_u32_e32 v34, 0x200, v31
	s_mov_b32 s5, exec_lo
	s_delay_alu instid0(VALU_DEP_1)
	v_cmpx_gt_u32_e64 s22, v34
	s_cbranch_execz .LBB1123_59
; %bb.58:                               ;   in Loop: Header=BB1123_55 Depth=1
	ds_load_b64 v[34:35], v2 offset:6144
	s_wait_dscnt 0x0
	v_lshrrev_b64 v[36:37], s20, v[34:35]
	v_xor_b32_e32 v35, 0x7fffffff, v35
	v_not_b32_e32 v34, v34
	s_delay_alu instid0(VALU_DEP_3) | instskip(NEXT) | instid1(VALU_DEP_1)
	v_and_b32_e32 v36, s6, v36
	v_lshlrev_b32_e32 v36, 3, v36
	ds_load_b64 v[36:37], v36
	s_wait_dscnt 0x0
	v_lshl_add_u64 v[36:37], v[36:37], 3, v[24:25]
	global_store_b64 v[36:37], v[34:35], off offset:-8192
.LBB1123_59:                            ;   in Loop: Header=BB1123_55 Depth=1
	s_wait_xcnt 0x0
	s_or_b32 exec_lo, exec_lo, s5
	v_add_nc_u32_e32 v34, 0x400, v31
	s_mov_b32 s5, exec_lo
	s_delay_alu instid0(VALU_DEP_1)
	;; [unrolled: 21-line block ×3, first 2 shown]
	v_cmpx_gt_u32_e64 s22, v34
	s_cbranch_execz .LBB1123_54
; %bb.62:                               ;   in Loop: Header=BB1123_55 Depth=1
	ds_load_b64 v[34:35], v2 offset:14336
	s_wait_dscnt 0x0
	v_lshrrev_b64 v[36:37], s20, v[34:35]
	v_xor_b32_e32 v35, 0x7fffffff, v35
	v_not_b32_e32 v34, v34
	s_delay_alu instid0(VALU_DEP_3) | instskip(NEXT) | instid1(VALU_DEP_1)
	v_and_b32_e32 v36, s6, v36
	v_lshlrev_b32_e32 v36, 3, v36
	ds_load_b64 v[36:37], v36
	s_wait_dscnt 0x0
	v_lshl_add_u64 v[36:37], v[36:37], 3, v[24:25]
	global_store_b64 v[36:37], v[34:35], off
	s_branch .LBB1123_54
.LBB1123_63:
	s_add_co_i32 s23, s23, -1
	s_delay_alu instid0(SALU_CYCLE_1) | instskip(SKIP_2) | instid1(SALU_CYCLE_1)
	s_cmp_eq_u32 s9, s23
	s_cselect_b32 s3, -1, 0
	s_xor_b32 s2, s2, -1
	s_and_b32 s3, s2, s3
	s_delay_alu instid0(SALU_CYCLE_1)
	s_and_saveexec_b32 s2, s3
	s_cbranch_execz .LBB1123_65
; %bb.64:
	ds_load_b64 v[2:3], v2
	v_mov_b32_e32 v23, 0
	s_delay_alu instid0(VALU_DEP_1) | instskip(SKIP_1) | instid1(VALU_DEP_1)
	v_add_nc_u64_e32 v[4:5], v[20:21], v[22:23]
	s_wait_dscnt 0x0
	v_add_nc_u64_e32 v[2:3], v[4:5], v[2:3]
	global_store_b64 v32, v[2:3], s[14:15] scale_offset
.LBB1123_65:
	s_wait_xcnt 0x0
	s_or_b32 exec_lo, exec_lo, s2
	s_mov_b32 s2, 0
.LBB1123_66:
	s_delay_alu instid0(SALU_CYCLE_1)
	s_and_b32 vcc_lo, exec_lo, s2
	s_cbranch_vccz .LBB1123_107
; %bb.67:
	s_lshl_b32 s2, s9, 12
	s_mov_b32 s3, 0
	v_dual_mov_b32 v19, 0 :: v_dual_lshlrev_b32 v18, 3, v33
	s_lshl_b64 s[4:5], s[2:3], 3
	v_lshlrev_b32_e32 v1, 6, v32
	s_add_nc_u64 s[4:5], s[16:17], s[4:5]
	s_delay_alu instid0(VALU_DEP_2) | instid1(SALU_CYCLE_1)
	v_add_nc_u64_e32 v[2:3], s[4:5], v[18:19]
	s_delay_alu instid0(VALU_DEP_2) | instskip(NEXT) | instid1(VALU_DEP_1)
	v_and_b32_e32 v18, 0x7800, v1
	v_add_nc_u64_e32 v[2:3], v[2:3], v[18:19]
	v_bfe_u32 v18, v0, 10, 10
	s_clause 0x7
	global_load_b64 v[20:21], v[2:3], off
	global_load_b64 v[16:17], v[2:3], off offset:256
	global_load_b64 v[4:5], v[2:3], off offset:512
	;; [unrolled: 1-line block ×7, first 2 shown]
	s_clause 0x1
	s_load_b32 s7, s[0:1], 0x58
	s_load_u16 s4, s[0:1], 0x66
	s_wait_kmcnt 0x0
	s_cmp_lt_u32 s9, s7
	s_cselect_b32 s2, 12, 18
	s_lshl_b32 s8, -1, s21
	s_add_nc_u64 s[0:1], s[24:25], s[2:3]
	s_load_u16 s0, s[0:1], 0x0
	s_wait_loadcnt 0x7
	v_xor_b32_e32 v3, 0x7fffffff, v21
	v_not_b32_e32 v2, v20
	v_bfe_u32 v20, v0, 20, 10
	s_delay_alu instid0(VALU_DEP_2) | instskip(NEXT) | instid1(VALU_DEP_2)
	v_lshrrev_b64 v[0:1], s20, v[2:3]
	v_mad_u32_u24 v1, v20, s4, v18
	s_delay_alu instid0(VALU_DEP_2) | instskip(SKIP_2) | instid1(VALU_DEP_3)
	v_bitop3_b32 v18, v0, 1, s8 bitop3:0x40
	v_bitop3_b32 v20, v0, s8, v0 bitop3:0x30
	s_wait_kmcnt 0x0
	v_mad_u32 v0, v1, s0, v32
	s_delay_alu instid0(VALU_DEP_3) | instskip(NEXT) | instid1(VALU_DEP_1)
	v_add_co_u32 v1, s0, v18, -1
	v_cndmask_b32_e64 v18, 0, 1, s0
	v_dual_lshlrev_b32 v21, 30, v20 :: v_dual_lshlrev_b32 v22, 29, v20
	v_dual_lshlrev_b32 v23, 28, v20 :: v_dual_lshlrev_b32 v24, 27, v20
	s_delay_alu instid0(VALU_DEP_3) | instskip(NEXT) | instid1(VALU_DEP_3)
	v_cmp_ne_u32_e32 vcc_lo, 0, v18
	v_not_b32_e32 v18, v21
	v_dual_lshlrev_b32 v25, 26, v20 :: v_dual_lshlrev_b32 v26, 25, v20
	v_cmp_gt_i32_e64 s0, 0, v21
	v_cmp_gt_i32_e64 s1, 0, v22
	v_not_b32_e32 v21, v22
	v_not_b32_e32 v22, v23
	v_dual_ashrrev_i32 v18, 31, v18 :: v_dual_lshlrev_b32 v27, 24, v20
	v_xor_b32_e32 v1, vcc_lo, v1
	v_cmp_gt_i32_e64 s2, 0, v23
	v_cmp_gt_i32_e64 s3, 0, v24
	v_not_b32_e32 v23, v24
	v_not_b32_e32 v24, v25
	v_dual_ashrrev_i32 v21, 31, v21 :: v_dual_ashrrev_i32 v22, 31, v22
	s_delay_alu instid0(VALU_DEP_3)
	v_dual_ashrrev_i32 v23, 31, v23 :: v_dual_bitop2_b32 v18, s0, v18 bitop3:0x14
	v_cmp_gt_i32_e64 s4, 0, v25
	v_cmp_gt_i32_e64 s5, 0, v26
	v_not_b32_e32 v25, v26
	v_not_b32_e32 v26, v27
	v_dual_ashrrev_i32 v24, 31, v24 :: v_dual_bitop2_b32 v21, s1, v21 bitop3:0x14
	v_xor_b32_e32 v22, s2, v22
	v_bitop3_b32 v1, v1, v18, exec_lo bitop3:0x80
	v_cmp_gt_i32_e64 s6, 0, v27
	v_dual_ashrrev_i32 v18, 31, v25 :: v_dual_ashrrev_i32 v25, 31, v26
	v_xor_b32_e32 v23, s3, v23
	v_xor_b32_e32 v24, s4, v24
	v_bitop3_b32 v1, v1, v22, v21 bitop3:0x80
	s_delay_alu instid0(VALU_DEP_4) | instskip(SKIP_2) | instid1(VALU_DEP_3)
	v_dual_lshrrev_b32 v0, 5, v0 :: v_dual_bitop2_b32 v21, s5, v18 bitop3:0x14
	v_xor_b32_e32 v22, s6, v25
	s_not_b32 s6, s8
	v_bitop3_b32 v1, v1, v24, v23 bitop3:0x80
	s_delay_alu instid0(VALU_DEP_3)
	v_lshlrev_b32_e32 v18, 2, v0
	v_mul_u32_u24_e32 v24, 36, v32
	ds_store_2addr_b32 v24, v19, v19 offset0:16 offset1:17
	ds_store_2addr_b32 v24, v19, v19 offset0:18 offset1:19
	;; [unrolled: 1-line block ×4, first 2 shown]
	v_bitop3_b32 v0, v1, v22, v21 bitop3:0x80
	v_mad_u32 v25, 0x44, v20, v18
	ds_store_b32 v24, v19 offset:96
	s_wait_storecnt 0x0
	s_wait_loadcnt_dscnt 0x0
	s_barrier_signal -1
	v_mbcnt_lo_u32_b32 v30, v0, 0
	v_cmp_ne_u32_e64 s0, 0, v0
	s_barrier_wait -1
	s_delay_alu instid0(VALU_DEP_2) | instskip(SKIP_1) | instid1(SALU_CYCLE_1)
	v_cmp_eq_u32_e32 vcc_lo, 0, v30
	; wave barrier
	s_and_b32 s1, s0, vcc_lo
	s_and_saveexec_b32 s0, s1
; %bb.68:
	v_bcnt_u32_b32 v0, v0, 0
	ds_store_b32 v25, v0 offset:64
; %bb.69:
	s_or_b32 exec_lo, exec_lo, s0
	v_xor_b32_e32 v1, 0x7fffffff, v17
	v_not_b32_e32 v0, v16
	; wave barrier
	s_delay_alu instid0(VALU_DEP_1) | instskip(NEXT) | instid1(VALU_DEP_1)
	v_lshrrev_b64 v[16:17], s20, v[0:1]
	v_and_b32_e32 v17, s6, v16
	v_bitop3_b32 v16, v16, 1, s6 bitop3:0x80
	s_delay_alu instid0(VALU_DEP_2) | instskip(NEXT) | instid1(VALU_DEP_2)
	v_lshlrev_b32_e32 v20, 30, v17
	v_add_co_u32 v16, s0, v16, -1
	s_delay_alu instid0(VALU_DEP_1) | instskip(NEXT) | instid1(VALU_DEP_1)
	v_cndmask_b32_e64 v19, 0, 1, s0
	v_cmp_ne_u32_e32 vcc_lo, 0, v19
	s_delay_alu instid0(VALU_DEP_4) | instskip(NEXT) | instid1(VALU_DEP_1)
	v_not_b32_e32 v19, v20
	v_dual_ashrrev_i32 v19, 31, v19 :: v_dual_bitop2_b32 v16, vcc_lo, v16 bitop3:0x14
	v_dual_lshlrev_b32 v21, 29, v17 :: v_dual_lshlrev_b32 v22, 28, v17
	v_dual_lshlrev_b32 v23, 27, v17 :: v_dual_lshlrev_b32 v27, 26, v17
	v_lshlrev_b32_e32 v28, 25, v17
	v_cmp_gt_i32_e64 s0, 0, v20
	s_delay_alu instid0(VALU_DEP_4)
	v_cmp_gt_i32_e64 s1, 0, v21
	v_not_b32_e32 v20, v21
	v_not_b32_e32 v21, v22
	v_mad_u32 v26, 0x44, v17, v18
	v_lshlrev_b32_e32 v17, 24, v17
	v_cmp_gt_i32_e64 s2, 0, v22
	v_cmp_gt_i32_e64 s3, 0, v23
	v_not_b32_e32 v22, v23
	v_not_b32_e32 v23, v27
	v_dual_ashrrev_i32 v20, 31, v20 :: v_dual_ashrrev_i32 v21, 31, v21
	s_delay_alu instid0(VALU_DEP_3) | instskip(SKIP_1) | instid1(VALU_DEP_3)
	v_dual_ashrrev_i32 v22, 31, v22 :: v_dual_bitop2_b32 v19, s0, v19 bitop3:0x14
	v_cmp_gt_i32_e64 s4, 0, v27
	v_dual_ashrrev_i32 v23, 31, v23 :: v_dual_bitop2_b32 v20, s1, v20 bitop3:0x14
	s_delay_alu instid0(VALU_DEP_3)
	v_bitop3_b32 v16, v16, v19, exec_lo bitop3:0x80
	v_not_b32_e32 v19, v28
	v_xor_b32_e32 v21, s2, v21
	v_not_b32_e32 v27, v17
	v_cmp_gt_i32_e64 s5, 0, v28
	v_xor_b32_e32 v22, s3, v22
	v_xor_b32_e32 v23, s4, v23
	v_ashrrev_i32_e32 v19, 31, v19
	v_bitop3_b32 v16, v16, v21, v20 bitop3:0x80
	v_cmp_gt_i32_e32 vcc_lo, 0, v17
	v_ashrrev_i32_e32 v17, 31, v27
	ds_load_b32 v31, v26 offset:64
	v_xor_b32_e32 v19, s5, v19
	v_bitop3_b32 v16, v16, v23, v22 bitop3:0x80
	v_xor_b32_e32 v17, vcc_lo, v17
	; wave barrier
	s_delay_alu instid0(VALU_DEP_1) | instskip(NEXT) | instid1(VALU_DEP_1)
	v_bitop3_b32 v16, v16, v17, v19 bitop3:0x80
	v_mbcnt_lo_u32_b32 v34, v16, 0
	v_cmp_ne_u32_e64 s0, 0, v16
	s_delay_alu instid0(VALU_DEP_2) | instskip(SKIP_1) | instid1(SALU_CYCLE_1)
	v_cmp_eq_u32_e32 vcc_lo, 0, v34
	s_and_b32 s1, s0, vcc_lo
	s_and_saveexec_b32 s0, s1
	s_cbranch_execz .LBB1123_71
; %bb.70:
	s_wait_dscnt 0x0
	v_bcnt_u32_b32 v16, v16, v31
	ds_store_b32 v26, v16 offset:64
.LBB1123_71:
	s_or_b32 exec_lo, exec_lo, s0
	v_xor_b32_e32 v5, 0x7fffffff, v5
	v_not_b32_e32 v4, v4
	; wave barrier
	s_delay_alu instid0(VALU_DEP_1) | instskip(NEXT) | instid1(VALU_DEP_1)
	v_lshrrev_b64 v[16:17], s20, v[4:5]
	v_and_b32_e32 v17, s6, v16
	v_bitop3_b32 v16, v16, 1, s6 bitop3:0x80
	s_delay_alu instid0(VALU_DEP_2) | instskip(NEXT) | instid1(VALU_DEP_2)
	v_lshlrev_b32_e32 v20, 30, v17
	v_add_co_u32 v16, s0, v16, -1
	s_delay_alu instid0(VALU_DEP_1) | instskip(NEXT) | instid1(VALU_DEP_1)
	v_cndmask_b32_e64 v19, 0, 1, s0
	v_cmp_ne_u32_e32 vcc_lo, 0, v19
	s_delay_alu instid0(VALU_DEP_4) | instskip(NEXT) | instid1(VALU_DEP_1)
	v_not_b32_e32 v19, v20
	v_dual_ashrrev_i32 v19, 31, v19 :: v_dual_bitop2_b32 v16, vcc_lo, v16 bitop3:0x14
	v_dual_lshlrev_b32 v21, 29, v17 :: v_dual_lshlrev_b32 v22, 28, v17
	v_dual_lshlrev_b32 v23, 27, v17 :: v_dual_lshlrev_b32 v28, 26, v17
	v_lshlrev_b32_e32 v29, 25, v17
	v_cmp_gt_i32_e64 s0, 0, v20
	s_delay_alu instid0(VALU_DEP_4)
	v_cmp_gt_i32_e64 s1, 0, v21
	v_not_b32_e32 v20, v21
	v_not_b32_e32 v21, v22
	v_mad_u32 v27, 0x44, v17, v18
	v_lshlrev_b32_e32 v17, 24, v17
	v_cmp_gt_i32_e64 s2, 0, v22
	v_cmp_gt_i32_e64 s3, 0, v23
	v_not_b32_e32 v22, v23
	v_not_b32_e32 v23, v28
	v_dual_ashrrev_i32 v20, 31, v20 :: v_dual_ashrrev_i32 v21, 31, v21
	s_delay_alu instid0(VALU_DEP_3) | instskip(SKIP_1) | instid1(VALU_DEP_3)
	v_dual_ashrrev_i32 v22, 31, v22 :: v_dual_bitop2_b32 v19, s0, v19 bitop3:0x14
	v_cmp_gt_i32_e64 s4, 0, v28
	v_dual_ashrrev_i32 v23, 31, v23 :: v_dual_bitop2_b32 v20, s1, v20 bitop3:0x14
	s_delay_alu instid0(VALU_DEP_3)
	v_bitop3_b32 v16, v16, v19, exec_lo bitop3:0x80
	v_not_b32_e32 v19, v29
	v_xor_b32_e32 v21, s2, v21
	v_not_b32_e32 v28, v17
	v_cmp_gt_i32_e64 s5, 0, v29
	v_xor_b32_e32 v22, s3, v22
	v_xor_b32_e32 v23, s4, v23
	v_ashrrev_i32_e32 v19, 31, v19
	v_bitop3_b32 v16, v16, v21, v20 bitop3:0x80
	v_cmp_gt_i32_e32 vcc_lo, 0, v17
	v_ashrrev_i32_e32 v17, 31, v28
	ds_load_b32 v35, v27 offset:64
	v_xor_b32_e32 v19, s5, v19
	v_bitop3_b32 v16, v16, v23, v22 bitop3:0x80
	v_xor_b32_e32 v17, vcc_lo, v17
	; wave barrier
	s_delay_alu instid0(VALU_DEP_1) | instskip(NEXT) | instid1(VALU_DEP_1)
	v_bitop3_b32 v16, v16, v17, v19 bitop3:0x80
	v_mbcnt_lo_u32_b32 v36, v16, 0
	v_cmp_ne_u32_e64 s0, 0, v16
	s_delay_alu instid0(VALU_DEP_2) | instskip(SKIP_1) | instid1(SALU_CYCLE_1)
	v_cmp_eq_u32_e32 vcc_lo, 0, v36
	s_and_b32 s1, s0, vcc_lo
	s_and_saveexec_b32 s0, s1
	s_cbranch_execz .LBB1123_73
; %bb.72:
	s_wait_dscnt 0x0
	v_bcnt_u32_b32 v16, v16, v35
	ds_store_b32 v27, v16 offset:64
.LBB1123_73:
	s_or_b32 exec_lo, exec_lo, s0
	v_xor_b32_e32 v7, 0x7fffffff, v7
	v_not_b32_e32 v6, v6
	; wave barrier
	s_delay_alu instid0(VALU_DEP_1) | instskip(NEXT) | instid1(VALU_DEP_1)
	v_lshrrev_b64 v[16:17], s20, v[6:7]
	v_and_b32_e32 v17, s6, v16
	v_bitop3_b32 v16, v16, 1, s6 bitop3:0x80
	s_delay_alu instid0(VALU_DEP_2) | instskip(NEXT) | instid1(VALU_DEP_2)
	v_lshlrev_b32_e32 v20, 30, v17
	v_add_co_u32 v16, s0, v16, -1
	s_delay_alu instid0(VALU_DEP_1) | instskip(NEXT) | instid1(VALU_DEP_1)
	v_cndmask_b32_e64 v19, 0, 1, s0
	v_cmp_ne_u32_e32 vcc_lo, 0, v19
	s_delay_alu instid0(VALU_DEP_4) | instskip(NEXT) | instid1(VALU_DEP_1)
	v_not_b32_e32 v19, v20
	v_dual_ashrrev_i32 v19, 31, v19 :: v_dual_bitop2_b32 v16, vcc_lo, v16 bitop3:0x14
	v_dual_lshlrev_b32 v21, 29, v17 :: v_dual_lshlrev_b32 v22, 28, v17
	v_dual_lshlrev_b32 v23, 27, v17 :: v_dual_lshlrev_b32 v29, 26, v17
	v_lshlrev_b32_e32 v37, 25, v17
	v_cmp_gt_i32_e64 s0, 0, v20
	s_delay_alu instid0(VALU_DEP_4)
	v_cmp_gt_i32_e64 s1, 0, v21
	v_not_b32_e32 v20, v21
	v_not_b32_e32 v21, v22
	v_mad_u32 v28, 0x44, v17, v18
	v_lshlrev_b32_e32 v17, 24, v17
	v_cmp_gt_i32_e64 s2, 0, v22
	v_cmp_gt_i32_e64 s3, 0, v23
	v_not_b32_e32 v22, v23
	v_not_b32_e32 v23, v29
	v_dual_ashrrev_i32 v20, 31, v20 :: v_dual_ashrrev_i32 v21, 31, v21
	s_delay_alu instid0(VALU_DEP_3) | instskip(SKIP_1) | instid1(VALU_DEP_3)
	v_dual_ashrrev_i32 v22, 31, v22 :: v_dual_bitop2_b32 v19, s0, v19 bitop3:0x14
	v_cmp_gt_i32_e64 s4, 0, v29
	v_dual_ashrrev_i32 v23, 31, v23 :: v_dual_bitop2_b32 v20, s1, v20 bitop3:0x14
	s_delay_alu instid0(VALU_DEP_3)
	v_bitop3_b32 v16, v16, v19, exec_lo bitop3:0x80
	v_not_b32_e32 v19, v37
	v_xor_b32_e32 v21, s2, v21
	v_not_b32_e32 v29, v17
	v_cmp_gt_i32_e64 s5, 0, v37
	v_xor_b32_e32 v22, s3, v22
	v_xor_b32_e32 v23, s4, v23
	v_ashrrev_i32_e32 v19, 31, v19
	v_bitop3_b32 v16, v16, v21, v20 bitop3:0x80
	v_cmp_gt_i32_e32 vcc_lo, 0, v17
	v_ashrrev_i32_e32 v17, 31, v29
	ds_load_b32 v37, v28 offset:64
	v_xor_b32_e32 v19, s5, v19
	v_bitop3_b32 v16, v16, v23, v22 bitop3:0x80
	v_xor_b32_e32 v17, vcc_lo, v17
	; wave barrier
	s_delay_alu instid0(VALU_DEP_1) | instskip(NEXT) | instid1(VALU_DEP_1)
	v_bitop3_b32 v16, v16, v17, v19 bitop3:0x80
	v_mbcnt_lo_u32_b32 v38, v16, 0
	v_cmp_ne_u32_e64 s0, 0, v16
	s_delay_alu instid0(VALU_DEP_2) | instskip(SKIP_1) | instid1(SALU_CYCLE_1)
	v_cmp_eq_u32_e32 vcc_lo, 0, v38
	s_and_b32 s1, s0, vcc_lo
	s_and_saveexec_b32 s0, s1
	s_cbranch_execz .LBB1123_75
; %bb.74:
	s_wait_dscnt 0x0
	v_bcnt_u32_b32 v16, v16, v37
	ds_store_b32 v28, v16 offset:64
.LBB1123_75:
	s_or_b32 exec_lo, exec_lo, s0
	v_xor_b32_e32 v9, 0x7fffffff, v9
	v_not_b32_e32 v8, v8
	; wave barrier
	s_delay_alu instid0(VALU_DEP_1) | instskip(NEXT) | instid1(VALU_DEP_1)
	v_lshrrev_b64 v[16:17], s20, v[8:9]
	v_and_b32_e32 v17, s6, v16
	v_bitop3_b32 v16, v16, 1, s6 bitop3:0x80
	s_delay_alu instid0(VALU_DEP_2) | instskip(NEXT) | instid1(VALU_DEP_2)
	v_lshlrev_b32_e32 v20, 30, v17
	v_add_co_u32 v16, s0, v16, -1
	s_delay_alu instid0(VALU_DEP_1) | instskip(NEXT) | instid1(VALU_DEP_1)
	v_cndmask_b32_e64 v19, 0, 1, s0
	v_cmp_ne_u32_e32 vcc_lo, 0, v19
	s_delay_alu instid0(VALU_DEP_4) | instskip(NEXT) | instid1(VALU_DEP_1)
	v_not_b32_e32 v19, v20
	v_dual_ashrrev_i32 v19, 31, v19 :: v_dual_bitop2_b32 v16, vcc_lo, v16 bitop3:0x14
	v_dual_lshlrev_b32 v21, 29, v17 :: v_dual_lshlrev_b32 v22, 28, v17
	v_dual_lshlrev_b32 v23, 27, v17 :: v_dual_lshlrev_b32 v39, 26, v17
	v_lshlrev_b32_e32 v40, 25, v17
	v_cmp_gt_i32_e64 s0, 0, v20
	s_delay_alu instid0(VALU_DEP_4)
	v_cmp_gt_i32_e64 s1, 0, v21
	v_not_b32_e32 v20, v21
	v_not_b32_e32 v21, v22
	v_mad_u32 v29, 0x44, v17, v18
	v_lshlrev_b32_e32 v17, 24, v17
	v_cmp_gt_i32_e64 s2, 0, v22
	v_cmp_gt_i32_e64 s3, 0, v23
	v_not_b32_e32 v22, v23
	v_not_b32_e32 v23, v39
	v_dual_ashrrev_i32 v20, 31, v20 :: v_dual_ashrrev_i32 v21, 31, v21
	s_delay_alu instid0(VALU_DEP_3) | instskip(SKIP_1) | instid1(VALU_DEP_3)
	v_dual_ashrrev_i32 v22, 31, v22 :: v_dual_bitop2_b32 v19, s0, v19 bitop3:0x14
	v_cmp_gt_i32_e64 s4, 0, v39
	v_dual_ashrrev_i32 v23, 31, v23 :: v_dual_bitop2_b32 v20, s1, v20 bitop3:0x14
	s_delay_alu instid0(VALU_DEP_3)
	v_bitop3_b32 v16, v16, v19, exec_lo bitop3:0x80
	v_not_b32_e32 v19, v40
	v_xor_b32_e32 v21, s2, v21
	v_not_b32_e32 v39, v17
	v_cmp_gt_i32_e64 s5, 0, v40
	v_xor_b32_e32 v22, s3, v22
	v_xor_b32_e32 v23, s4, v23
	v_ashrrev_i32_e32 v19, 31, v19
	v_bitop3_b32 v16, v16, v21, v20 bitop3:0x80
	v_cmp_gt_i32_e32 vcc_lo, 0, v17
	v_ashrrev_i32_e32 v17, 31, v39
	ds_load_b32 v39, v29 offset:64
	v_xor_b32_e32 v19, s5, v19
	v_bitop3_b32 v16, v16, v23, v22 bitop3:0x80
	v_xor_b32_e32 v17, vcc_lo, v17
	; wave barrier
	s_delay_alu instid0(VALU_DEP_1) | instskip(NEXT) | instid1(VALU_DEP_1)
	v_bitop3_b32 v16, v16, v17, v19 bitop3:0x80
	v_mbcnt_lo_u32_b32 v40, v16, 0
	v_cmp_ne_u32_e64 s0, 0, v16
	s_delay_alu instid0(VALU_DEP_2) | instskip(SKIP_1) | instid1(SALU_CYCLE_1)
	v_cmp_eq_u32_e32 vcc_lo, 0, v40
	s_and_b32 s1, s0, vcc_lo
	s_and_saveexec_b32 s0, s1
	s_cbranch_execz .LBB1123_77
; %bb.76:
	s_wait_dscnt 0x0
	v_bcnt_u32_b32 v16, v16, v39
	ds_store_b32 v29, v16 offset:64
.LBB1123_77:
	s_or_b32 exec_lo, exec_lo, s0
	v_xor_b32_e32 v13, 0x7fffffff, v13
	v_not_b32_e32 v12, v12
	; wave barrier
	s_delay_alu instid0(VALU_DEP_1) | instskip(NEXT) | instid1(VALU_DEP_1)
	v_lshrrev_b64 v[16:17], s20, v[12:13]
	v_and_b32_e32 v17, s6, v16
	v_bitop3_b32 v16, v16, 1, s6 bitop3:0x80
	s_delay_alu instid0(VALU_DEP_2) | instskip(NEXT) | instid1(VALU_DEP_2)
	v_lshlrev_b32_e32 v20, 30, v17
	v_add_co_u32 v16, s0, v16, -1
	s_delay_alu instid0(VALU_DEP_1) | instskip(NEXT) | instid1(VALU_DEP_1)
	v_cndmask_b32_e64 v19, 0, 1, s0
	v_cmp_ne_u32_e32 vcc_lo, 0, v19
	s_delay_alu instid0(VALU_DEP_4) | instskip(NEXT) | instid1(VALU_DEP_1)
	v_not_b32_e32 v19, v20
	v_dual_ashrrev_i32 v19, 31, v19 :: v_dual_bitop2_b32 v16, vcc_lo, v16 bitop3:0x14
	v_dual_lshlrev_b32 v21, 29, v17 :: v_dual_lshlrev_b32 v22, 28, v17
	v_dual_lshlrev_b32 v23, 27, v17 :: v_dual_lshlrev_b32 v41, 26, v17
	v_lshlrev_b32_e32 v42, 25, v17
	v_cmp_gt_i32_e64 s0, 0, v20
	s_delay_alu instid0(VALU_DEP_4)
	v_cmp_gt_i32_e64 s1, 0, v21
	v_not_b32_e32 v20, v21
	v_not_b32_e32 v21, v22
	v_mad_u32 v43, 0x44, v17, v18
	v_lshlrev_b32_e32 v17, 24, v17
	v_cmp_gt_i32_e64 s2, 0, v22
	v_cmp_gt_i32_e64 s3, 0, v23
	v_not_b32_e32 v22, v23
	v_not_b32_e32 v23, v41
	v_dual_ashrrev_i32 v20, 31, v20 :: v_dual_ashrrev_i32 v21, 31, v21
	s_delay_alu instid0(VALU_DEP_3) | instskip(SKIP_1) | instid1(VALU_DEP_3)
	v_dual_ashrrev_i32 v22, 31, v22 :: v_dual_bitop2_b32 v19, s0, v19 bitop3:0x14
	v_cmp_gt_i32_e64 s4, 0, v41
	v_dual_ashrrev_i32 v23, 31, v23 :: v_dual_bitop2_b32 v20, s1, v20 bitop3:0x14
	s_delay_alu instid0(VALU_DEP_3)
	v_bitop3_b32 v16, v16, v19, exec_lo bitop3:0x80
	v_not_b32_e32 v19, v42
	v_xor_b32_e32 v21, s2, v21
	v_not_b32_e32 v41, v17
	v_cmp_gt_i32_e64 s5, 0, v42
	v_xor_b32_e32 v22, s3, v22
	v_xor_b32_e32 v23, s4, v23
	v_ashrrev_i32_e32 v19, 31, v19
	v_bitop3_b32 v16, v16, v21, v20 bitop3:0x80
	v_cmp_gt_i32_e32 vcc_lo, 0, v17
	v_ashrrev_i32_e32 v17, 31, v41
	ds_load_b32 v41, v43 offset:64
	v_xor_b32_e32 v19, s5, v19
	v_bitop3_b32 v16, v16, v23, v22 bitop3:0x80
	v_xor_b32_e32 v17, vcc_lo, v17
	; wave barrier
	s_delay_alu instid0(VALU_DEP_1) | instskip(NEXT) | instid1(VALU_DEP_1)
	v_bitop3_b32 v16, v16, v17, v19 bitop3:0x80
	v_mbcnt_lo_u32_b32 v42, v16, 0
	v_cmp_ne_u32_e64 s0, 0, v16
	s_delay_alu instid0(VALU_DEP_2) | instskip(SKIP_1) | instid1(SALU_CYCLE_1)
	v_cmp_eq_u32_e32 vcc_lo, 0, v42
	s_and_b32 s1, s0, vcc_lo
	s_and_saveexec_b32 s0, s1
	s_cbranch_execz .LBB1123_79
; %bb.78:
	s_wait_dscnt 0x0
	v_bcnt_u32_b32 v16, v16, v41
	ds_store_b32 v43, v16 offset:64
.LBB1123_79:
	s_or_b32 exec_lo, exec_lo, s0
	v_xor_b32_e32 v15, 0x7fffffff, v15
	v_not_b32_e32 v14, v14
	; wave barrier
	s_delay_alu instid0(VALU_DEP_1) | instskip(NEXT) | instid1(VALU_DEP_1)
	v_lshrrev_b64 v[16:17], s20, v[14:15]
	v_and_b32_e32 v17, s6, v16
	v_bitop3_b32 v16, v16, 1, s6 bitop3:0x80
	s_delay_alu instid0(VALU_DEP_2) | instskip(NEXT) | instid1(VALU_DEP_2)
	v_lshlrev_b32_e32 v20, 30, v17
	v_add_co_u32 v16, s0, v16, -1
	s_delay_alu instid0(VALU_DEP_1) | instskip(NEXT) | instid1(VALU_DEP_1)
	v_cndmask_b32_e64 v19, 0, 1, s0
	v_cmp_ne_u32_e32 vcc_lo, 0, v19
	s_delay_alu instid0(VALU_DEP_4) | instskip(NEXT) | instid1(VALU_DEP_1)
	v_not_b32_e32 v19, v20
	v_dual_ashrrev_i32 v19, 31, v19 :: v_dual_bitop2_b32 v16, vcc_lo, v16 bitop3:0x14
	v_dual_lshlrev_b32 v21, 29, v17 :: v_dual_lshlrev_b32 v22, 28, v17
	v_dual_lshlrev_b32 v23, 27, v17 :: v_dual_lshlrev_b32 v44, 26, v17
	v_lshlrev_b32_e32 v45, 25, v17
	v_cmp_gt_i32_e64 s0, 0, v20
	s_delay_alu instid0(VALU_DEP_4)
	v_cmp_gt_i32_e64 s1, 0, v21
	v_not_b32_e32 v20, v21
	v_not_b32_e32 v21, v22
	v_mad_u32 v46, 0x44, v17, v18
	v_lshlrev_b32_e32 v17, 24, v17
	v_cmp_gt_i32_e64 s2, 0, v22
	v_cmp_gt_i32_e64 s3, 0, v23
	v_not_b32_e32 v22, v23
	v_not_b32_e32 v23, v44
	v_dual_ashrrev_i32 v20, 31, v20 :: v_dual_ashrrev_i32 v21, 31, v21
	s_delay_alu instid0(VALU_DEP_3) | instskip(SKIP_1) | instid1(VALU_DEP_3)
	v_dual_ashrrev_i32 v22, 31, v22 :: v_dual_bitop2_b32 v19, s0, v19 bitop3:0x14
	v_cmp_gt_i32_e64 s4, 0, v44
	v_dual_ashrrev_i32 v23, 31, v23 :: v_dual_bitop2_b32 v20, s1, v20 bitop3:0x14
	s_delay_alu instid0(VALU_DEP_3)
	v_bitop3_b32 v16, v16, v19, exec_lo bitop3:0x80
	v_not_b32_e32 v19, v45
	v_xor_b32_e32 v21, s2, v21
	v_not_b32_e32 v44, v17
	v_cmp_gt_i32_e64 s5, 0, v45
	v_xor_b32_e32 v22, s3, v22
	v_xor_b32_e32 v23, s4, v23
	v_ashrrev_i32_e32 v19, 31, v19
	v_bitop3_b32 v16, v16, v21, v20 bitop3:0x80
	v_cmp_gt_i32_e32 vcc_lo, 0, v17
	v_ashrrev_i32_e32 v17, 31, v44
	ds_load_b32 v44, v46 offset:64
	v_xor_b32_e32 v19, s5, v19
	v_bitop3_b32 v16, v16, v23, v22 bitop3:0x80
	v_xor_b32_e32 v17, vcc_lo, v17
	; wave barrier
	s_delay_alu instid0(VALU_DEP_1) | instskip(NEXT) | instid1(VALU_DEP_1)
	v_bitop3_b32 v16, v16, v17, v19 bitop3:0x80
	v_mbcnt_lo_u32_b32 v45, v16, 0
	v_cmp_ne_u32_e64 s0, 0, v16
	s_delay_alu instid0(VALU_DEP_2) | instskip(SKIP_1) | instid1(SALU_CYCLE_1)
	v_cmp_eq_u32_e32 vcc_lo, 0, v45
	s_and_b32 s1, s0, vcc_lo
	s_and_saveexec_b32 s0, s1
	s_cbranch_execz .LBB1123_81
; %bb.80:
	s_wait_dscnt 0x0
	v_bcnt_u32_b32 v16, v16, v44
	ds_store_b32 v46, v16 offset:64
.LBB1123_81:
	s_or_b32 exec_lo, exec_lo, s0
	v_xor_b32_e32 v11, 0x7fffffff, v11
	v_not_b32_e32 v10, v10
	; wave barrier
	s_delay_alu instid0(VALU_DEP_1) | instskip(NEXT) | instid1(VALU_DEP_1)
	v_lshrrev_b64 v[16:17], s20, v[10:11]
	v_and_b32_e32 v17, s6, v16
	v_bitop3_b32 v16, v16, 1, s6 bitop3:0x80
	s_delay_alu instid0(VALU_DEP_2) | instskip(NEXT) | instid1(VALU_DEP_2)
	v_mad_u32 v49, 0x44, v17, v18
	v_add_co_u32 v16, s0, v16, -1
	s_delay_alu instid0(VALU_DEP_1) | instskip(SKIP_1) | instid1(VALU_DEP_2)
	v_cndmask_b32_e64 v18, 0, 1, s0
	v_lshlrev_b32_e32 v19, 30, v17
	v_cmp_ne_u32_e32 vcc_lo, 0, v18
	s_delay_alu instid0(VALU_DEP_2) | instskip(NEXT) | instid1(VALU_DEP_1)
	v_not_b32_e32 v18, v19
	v_dual_ashrrev_i32 v18, 31, v18 :: v_dual_bitop2_b32 v16, vcc_lo, v16 bitop3:0x14
	v_dual_lshlrev_b32 v20, 29, v17 :: v_dual_lshlrev_b32 v21, 28, v17
	v_dual_lshlrev_b32 v22, 27, v17 :: v_dual_lshlrev_b32 v23, 26, v17
	v_lshlrev_b32_e32 v47, 25, v17
	v_cmp_gt_i32_e64 s0, 0, v19
	s_delay_alu instid0(VALU_DEP_4)
	v_cmp_gt_i32_e64 s1, 0, v20
	v_not_b32_e32 v19, v20
	v_not_b32_e32 v20, v21
	v_lshlrev_b32_e32 v17, 24, v17
	v_cmp_gt_i32_e64 s2, 0, v21
	v_cmp_gt_i32_e64 s3, 0, v22
	v_not_b32_e32 v21, v22
	v_not_b32_e32 v22, v23
	v_dual_ashrrev_i32 v19, 31, v19 :: v_dual_ashrrev_i32 v20, 31, v20
	s_delay_alu instid0(VALU_DEP_3) | instskip(SKIP_1) | instid1(VALU_DEP_3)
	v_dual_ashrrev_i32 v21, 31, v21 :: v_dual_bitop2_b32 v18, s0, v18 bitop3:0x14
	v_cmp_gt_i32_e64 s4, 0, v23
	v_dual_ashrrev_i32 v22, 31, v22 :: v_dual_bitop2_b32 v19, s1, v19 bitop3:0x14
	s_delay_alu instid0(VALU_DEP_3)
	v_bitop3_b32 v16, v16, v18, exec_lo bitop3:0x80
	v_not_b32_e32 v18, v47
	v_xor_b32_e32 v20, s2, v20
	v_not_b32_e32 v23, v17
	v_cmp_gt_i32_e64 s5, 0, v47
	v_xor_b32_e32 v21, s3, v21
	v_xor_b32_e32 v22, s4, v22
	v_ashrrev_i32_e32 v18, 31, v18
	v_bitop3_b32 v16, v16, v20, v19 bitop3:0x80
	v_cmp_gt_i32_e32 vcc_lo, 0, v17
	v_ashrrev_i32_e32 v17, 31, v23
	ds_load_b32 v47, v49 offset:64
	v_xor_b32_e32 v18, s5, v18
	v_bitop3_b32 v16, v16, v22, v21 bitop3:0x80
	v_xor_b32_e32 v17, vcc_lo, v17
	; wave barrier
	s_delay_alu instid0(VALU_DEP_1) | instskip(NEXT) | instid1(VALU_DEP_1)
	v_bitop3_b32 v16, v16, v17, v18 bitop3:0x80
	v_mbcnt_lo_u32_b32 v48, v16, 0
	v_cmp_ne_u32_e64 s0, 0, v16
	s_delay_alu instid0(VALU_DEP_2) | instskip(SKIP_1) | instid1(SALU_CYCLE_1)
	v_cmp_eq_u32_e32 vcc_lo, 0, v48
	s_and_b32 s1, s0, vcc_lo
	s_and_saveexec_b32 s0, s1
	s_cbranch_execz .LBB1123_83
; %bb.82:
	s_wait_dscnt 0x0
	v_bcnt_u32_b32 v16, v16, v47
	ds_store_b32 v49, v16 offset:64
.LBB1123_83:
	s_or_b32 exec_lo, exec_lo, s0
	; wave barrier
	s_wait_dscnt 0x0
	s_barrier_signal -1
	s_barrier_wait -1
	ds_load_2addr_b32 v[22:23], v24 offset0:16 offset1:17
	ds_load_2addr_b32 v[20:21], v24 offset0:18 offset1:19
	;; [unrolled: 1-line block ×4, first 2 shown]
	ds_load_b32 v50, v24 offset:96
	v_bfe_i32 v53, v33, 4, 1
	s_mov_b32 s4, exec_lo
	s_wait_dscnt 0x3
	v_add3_u32 v51, v23, v22, v20
	s_wait_dscnt 0x2
	s_delay_alu instid0(VALU_DEP_1) | instskip(SKIP_1) | instid1(VALU_DEP_1)
	v_add3_u32 v51, v51, v21, v18
	s_wait_dscnt 0x1
	v_add3_u32 v51, v51, v19, v16
	s_wait_dscnt 0x0
	s_delay_alu instid0(VALU_DEP_1) | instskip(SKIP_1) | instid1(VALU_DEP_2)
	v_add3_u32 v50, v51, v17, v50
	v_and_b32_e32 v51, 15, v33
	v_mov_b32_dpp v52, v50 row_shr:1 row_mask:0xf bank_mask:0xf
	s_delay_alu instid0(VALU_DEP_2) | instskip(NEXT) | instid1(VALU_DEP_2)
	v_cmp_eq_u32_e32 vcc_lo, 0, v51
	v_cndmask_b32_e64 v52, v52, 0, vcc_lo
	s_delay_alu instid0(VALU_DEP_1) | instskip(SKIP_3) | instid1(VALU_DEP_4)
	v_add_nc_u32_e32 v50, v52, v50
	v_cmp_lt_u32_e64 s0, 1, v51
	v_cmp_lt_u32_e64 s1, 3, v51
	v_cmp_lt_u32_e64 s2, 7, v51
	v_mov_b32_dpp v52, v50 row_shr:2 row_mask:0xf bank_mask:0xf
	s_delay_alu instid0(VALU_DEP_1) | instskip(NEXT) | instid1(VALU_DEP_1)
	v_cndmask_b32_e64 v52, 0, v52, s0
	v_add_nc_u32_e32 v50, v50, v52
	s_delay_alu instid0(VALU_DEP_1) | instskip(NEXT) | instid1(VALU_DEP_1)
	v_mov_b32_dpp v52, v50 row_shr:4 row_mask:0xf bank_mask:0xf
	v_cndmask_b32_e64 v52, 0, v52, s1
	s_delay_alu instid0(VALU_DEP_1) | instskip(NEXT) | instid1(VALU_DEP_1)
	v_add_nc_u32_e32 v50, v50, v52
	v_mov_b32_dpp v52, v50 row_shr:8 row_mask:0xf bank_mask:0xf
	s_delay_alu instid0(VALU_DEP_1) | instskip(SKIP_1) | instid1(VALU_DEP_2)
	v_cndmask_b32_e64 v51, 0, v52, s2
	v_and_b32_e32 v52, 0x3e0, v32
	v_add_nc_u32_e32 v50, v50, v51
	s_delay_alu instid0(VALU_DEP_2) | instskip(SKIP_3) | instid1(VALU_DEP_1)
	v_min_u32_e32 v52, 0x1e0, v52
	ds_swizzle_b32 v51, v50 offset:swizzle(BROADCAST,32,15)
	s_wait_dscnt 0x0
	v_dual_lshrrev_b32 v51, 5, v32 :: v_dual_bitop2_b32 v53, v53, v51 bitop3:0x40
	v_dual_add_nc_u32 v50, v50, v53 :: v_dual_bitop2_b32 v52, 31, v52 bitop3:0x54
	s_delay_alu instid0(VALU_DEP_1)
	v_cmpx_eq_u32_e64 v32, v52
; %bb.84:
	s_delay_alu instid0(VALU_DEP_3)
	v_lshlrev_b32_e32 v52, 2, v51
	ds_store_b32 v52, v50
; %bb.85:
	s_or_b32 exec_lo, exec_lo, s4
	s_delay_alu instid0(SALU_CYCLE_1)
	s_mov_b32 s4, exec_lo
	s_wait_dscnt 0x0
	s_barrier_signal -1
	s_barrier_wait -1
	v_cmpx_gt_u32_e32 16, v32
	s_cbranch_execz .LBB1123_87
; %bb.86:
	v_lshlrev_b32_e32 v52, 2, v32
	ds_load_b32 v53, v52
	s_wait_dscnt 0x0
	v_mov_b32_dpp v54, v53 row_shr:1 row_mask:0xf bank_mask:0xf
	s_delay_alu instid0(VALU_DEP_1) | instskip(NEXT) | instid1(VALU_DEP_1)
	v_cndmask_b32_e64 v54, v54, 0, vcc_lo
	v_add_nc_u32_e32 v53, v54, v53
	s_delay_alu instid0(VALU_DEP_1) | instskip(NEXT) | instid1(VALU_DEP_1)
	v_mov_b32_dpp v54, v53 row_shr:2 row_mask:0xf bank_mask:0xf
	v_cndmask_b32_e64 v54, 0, v54, s0
	s_delay_alu instid0(VALU_DEP_1) | instskip(NEXT) | instid1(VALU_DEP_1)
	v_add_nc_u32_e32 v53, v53, v54
	v_mov_b32_dpp v54, v53 row_shr:4 row_mask:0xf bank_mask:0xf
	s_delay_alu instid0(VALU_DEP_1) | instskip(NEXT) | instid1(VALU_DEP_1)
	v_cndmask_b32_e64 v54, 0, v54, s1
	v_add_nc_u32_e32 v53, v53, v54
	s_delay_alu instid0(VALU_DEP_1) | instskip(NEXT) | instid1(VALU_DEP_1)
	v_mov_b32_dpp v54, v53 row_shr:8 row_mask:0xf bank_mask:0xf
	v_cndmask_b32_e64 v54, 0, v54, s2
	s_delay_alu instid0(VALU_DEP_1)
	v_add_nc_u32_e32 v53, v53, v54
	ds_store_b32 v52, v53
.LBB1123_87:
	s_or_b32 exec_lo, exec_lo, s4
	v_mov_b32_e32 v52, 0
	s_mov_b32 s0, exec_lo
	s_wait_dscnt 0x0
	s_barrier_signal -1
	s_barrier_wait -1
	v_cmpx_lt_u32_e32 31, v32
; %bb.88:
	v_lshl_add_u32 v51, v51, 2, -4
	ds_load_b32 v52, v51
; %bb.89:
	s_or_b32 exec_lo, exec_lo, s0
	v_sub_co_u32 v51, vcc_lo, v33, 1
	s_wait_dscnt 0x0
	v_add_nc_u32_e32 v50, v52, v50
	s_delay_alu instid0(VALU_DEP_2) | instskip(NEXT) | instid1(VALU_DEP_1)
	v_cmp_gt_i32_e64 s0, 0, v51
	v_cndmask_b32_e64 v33, v51, v33, s0
	v_cmp_lt_u32_e64 s0, 0xff, v32
	s_delay_alu instid0(VALU_DEP_2) | instskip(SKIP_4) | instid1(VALU_DEP_2)
	v_lshlrev_b32_e32 v33, 2, v33
	ds_bpermute_b32 v33, v33, v50
	s_wait_dscnt 0x0
	v_cndmask_b32_e32 v33, v33, v52, vcc_lo
	v_cmp_ne_u32_e32 vcc_lo, 0, v32
	v_cndmask_b32_e32 v33, 0, v33, vcc_lo
	v_cmp_gt_u32_e32 vcc_lo, 0x100, v32
	s_delay_alu instid0(VALU_DEP_2) | instskip(NEXT) | instid1(VALU_DEP_1)
	v_add_nc_u32_e32 v22, v33, v22
	v_add_nc_u32_e32 v23, v22, v23
	s_delay_alu instid0(VALU_DEP_1) | instskip(NEXT) | instid1(VALU_DEP_1)
	v_add_nc_u32_e32 v20, v23, v20
	v_add_nc_u32_e32 v21, v20, v21
	s_delay_alu instid0(VALU_DEP_1) | instskip(NEXT) | instid1(VALU_DEP_1)
	v_add_nc_u32_e32 v18, v21, v18
	v_add_nc_u32_e32 v19, v18, v19
	s_delay_alu instid0(VALU_DEP_1) | instskip(NEXT) | instid1(VALU_DEP_1)
	v_add_nc_u32_e32 v16, v19, v16
	v_add_nc_u32_e32 v17, v16, v17
	ds_store_2addr_b32 v24, v33, v22 offset0:16 offset1:17
	ds_store_2addr_b32 v24, v23, v20 offset0:18 offset1:19
	;; [unrolled: 1-line block ×4, first 2 shown]
	ds_store_b32 v24, v17 offset:96
	s_wait_dscnt 0x0
	s_barrier_signal -1
	s_barrier_wait -1
	ds_load_b32 v21, v25 offset:64
	ds_load_b32 v19, v26 offset:64
	;; [unrolled: 1-line block ×8, first 2 shown]
	v_mov_b64_e32 v[16:17], 0
                                        ; implicit-def: $vgpr18
	s_and_saveexec_b32 s2, vcc_lo
	s_cbranch_execz .LBB1123_93
; %bb.90:
	v_mul_u32_u24_e32 v16, 0x44, v32
	v_dual_mov_b32 v17, 0x1000 :: v_dual_add_nc_u32 v18, 1, v32
	s_mov_b32 s3, exec_lo
	ds_load_b32 v16, v16 offset:64
	v_cmpx_ne_u32_e32 0x100, v18
; %bb.91:
	v_mul_u32_u24_e32 v17, 0x44, v18
	ds_load_b32 v17, v17 offset:64
; %bb.92:
	s_or_b32 exec_lo, exec_lo, s3
	s_wait_dscnt 0x0
	v_dual_mov_b32 v17, 0 :: v_dual_sub_nc_u32 v18, v17, v16
.LBB1123_93:
	s_or_b32 exec_lo, exec_lo, s2
	v_dual_mov_b32 v23, 0 :: v_dual_lshlrev_b32 v20, 3, v32
	s_wait_dscnt 0x0
	s_barrier_signal -1
	s_barrier_wait -1
	s_and_saveexec_b32 s1, vcc_lo
	s_cbranch_execz .LBB1123_103
; %bb.94:
	v_lshl_add_u32 v22, s9, 8, v32
	v_dual_mov_b32 v26, 0 :: v_dual_bitop2_b32 v27, 2.0, v18 bitop3:0x54
	s_mov_b32 s2, 0
	s_mov_b32 s3, s9
	s_delay_alu instid0(VALU_DEP_2)
	v_lshl_add_u64 v[24:25], v[22:23], 2, s[10:11]
	global_store_b32 v22, v27, s[10:11] scale_offset scope:SCOPE_DEV
                                        ; implicit-def: $sgpr4
	s_branch .LBB1123_97
.LBB1123_95:                            ;   in Loop: Header=BB1123_97 Depth=1
	s_or_b32 exec_lo, exec_lo, s5
.LBB1123_96:                            ;   in Loop: Header=BB1123_97 Depth=1
	s_delay_alu instid0(SALU_CYCLE_1) | instskip(SKIP_2) | instid1(VALU_DEP_2)
	s_or_b32 exec_lo, exec_lo, s4
	v_and_b32_e32 v22, 0x3fffffff, v27
	v_cmp_gt_i32_e64 s4, -2.0, v27
	v_add_nc_u32_e32 v26, v22, v26
	s_and_b32 s5, exec_lo, s4
	s_delay_alu instid0(SALU_CYCLE_1) | instskip(NEXT) | instid1(SALU_CYCLE_1)
	s_or_b32 s2, s5, s2
	s_and_not1_b32 exec_lo, exec_lo, s2
	s_cbranch_execz .LBB1123_102
.LBB1123_97:                            ; =>This Loop Header: Depth=1
                                        ;     Child Loop BB1123_100 Depth 2
	s_or_b32 s4, s4, exec_lo
	s_cmp_eq_u32 s3, 0
	s_cbranch_scc1 .LBB1123_101
; %bb.98:                               ;   in Loop: Header=BB1123_97 Depth=1
	s_add_co_i32 s3, s3, -1
	s_mov_b32 s4, exec_lo
	s_wait_xcnt 0x0
	v_lshl_or_b32 v22, s3, 8, v32
	global_load_b32 v27, v22, s[10:11] scale_offset scope:SCOPE_DEV
	s_wait_loadcnt 0x0
	v_cmpx_gt_u32_e32 2.0, v27
	s_cbranch_execz .LBB1123_96
; %bb.99:                               ;   in Loop: Header=BB1123_97 Depth=1
	v_lshl_add_u64 v[28:29], v[22:23], 2, s[10:11]
	s_mov_b32 s5, 0
.LBB1123_100:                           ;   Parent Loop BB1123_97 Depth=1
                                        ; =>  This Inner Loop Header: Depth=2
	global_load_b32 v27, v[28:29], off scope:SCOPE_DEV
	s_wait_loadcnt 0x0
	v_cmp_lt_u32_e32 vcc_lo, 0x3fffffff, v27
	s_or_b32 s5, vcc_lo, s5
	s_wait_xcnt 0x0
	s_and_not1_b32 exec_lo, exec_lo, s5
	s_cbranch_execnz .LBB1123_100
	s_branch .LBB1123_95
.LBB1123_101:                           ;   in Loop: Header=BB1123_97 Depth=1
                                        ; implicit-def: $sgpr3
	s_and_b32 s5, exec_lo, s4
	s_delay_alu instid0(SALU_CYCLE_1)
	s_or_b32 s2, s5, s2
	s_wait_xcnt 0x0
	s_and_not1_b32 exec_lo, exec_lo, s2
	s_cbranch_execnz .LBB1123_97
.LBB1123_102:
	s_or_b32 exec_lo, exec_lo, s2
	v_dual_mov_b32 v27, 0 :: v_dual_add_nc_u32 v22, v26, v18
	s_delay_alu instid0(VALU_DEP_1) | instskip(SKIP_4) | instid1(VALU_DEP_1)
	v_or_b32_e32 v22, 0x80000000, v22
	global_store_b32 v[24:25], v22, off scope:SCOPE_DEV
	global_load_b64 v[22:23], v32, s[12:13] scale_offset
	v_sub_nc_u64_e32 v[24:25], v[26:27], v[16:17]
	s_wait_loadcnt 0x0
	v_add_nc_u64_e32 v[22:23], v[24:25], v[22:23]
	ds_store_b64 v20, v[22:23]
.LBB1123_103:
	s_wait_xcnt 0x0
	s_or_b32 exec_lo, exec_lo, s1
	v_dual_mov_b32 v21, 0 :: v_dual_add_nc_u32 v24, v21, v30
	v_add3_u32 v25, v48, v49, v47
	v_add3_u32 v26, v45, v46, v44
	;; [unrolled: 1-line block ×4, first 2 shown]
	v_add_nc_u64_e32 v[22:23], s[18:19], v[20:21]
	v_add3_u32 v29, v38, v50, v37
	v_add3_u32 v21, v36, v33, v35
	;; [unrolled: 1-line block ×3, first 2 shown]
	s_mov_b32 s2, -1
	s_mov_b32 s1, 0
.LBB1123_104:                           ; =>This Inner Loop Header: Depth=1
	s_wait_xcnt 0x3
	v_add_min_u32_e64 v30, v24, s1, 0x800
	v_add_min_u32_e64 v31, v19, s1, 0x800
	v_add_min_u32_e64 v33, v21, s1, 0x800
	v_add_min_u32_e64 v34, v29, s1, 0x800
	v_add_min_u32_e64 v35, v28, s1, 0x800
	s_wait_xcnt 0x2
	v_add_min_u32_e64 v36, v27, s1, 0x800
	v_add_min_u32_e64 v37, v26, s1, 0x800
	s_wait_xcnt 0x1
	v_add_min_u32_e64 v38, v25, s1, 0x800
	v_dual_lshlrev_b32 v30, 3, v30 :: v_dual_lshlrev_b32 v31, 3, v31
	v_dual_lshlrev_b32 v33, 3, v33 :: v_dual_lshlrev_b32 v34, 3, v34
	;; [unrolled: 1-line block ×3, first 2 shown]
	s_delay_alu instid0(VALU_DEP_4)
	v_dual_lshlrev_b32 v37, 3, v37 :: v_dual_lshlrev_b32 v38, 3, v38
	ds_store_b64 v30, v[2:3] offset:2048
	ds_store_b64 v31, v[0:1] offset:2048
	;; [unrolled: 1-line block ×8, first 2 shown]
	s_wait_storecnt_dscnt 0x0
	s_barrier_signal -1
	s_barrier_wait -1
	ds_load_2addr_stride64_b64 v[34:37], v20 offset0:4 offset1:12
	s_wait_xcnt 0x0
	ds_load_2addr_stride64_b64 v[38:41], v20 offset0:20 offset1:28
	s_addk_co_i32 s1, 0xf800
	s_and_b32 vcc_lo, exec_lo, s2
	s_mov_b32 s2, 0
	s_wait_dscnt 0x1
	v_lshrrev_b64 v[30:31], s20, v[34:35]
	s_wait_dscnt 0x0
	v_lshrrev_b64 v[44:45], s20, v[38:39]
	v_lshrrev_b64 v[42:43], s20, v[36:37]
	v_lshrrev_b64 v[46:47], s20, v[40:41]
	v_xor_b32_e32 v36, -1, v36
	v_xor_b32_e32 v35, 0x7fffffff, v35
	v_xor_b32_e32 v34, -1, v34
	v_xor_b32_e32 v37, 0x7fffffff, v37
	v_and_b32_e32 v33, s6, v44
	v_and_b32_e32 v31, s6, v42
	;; [unrolled: 1-line block ×3, first 2 shown]
	v_xor_b32_e32 v39, 0x7fffffff, v39
	s_delay_alu instid0(VALU_DEP_4) | instskip(NEXT) | instid1(VALU_DEP_4)
	v_dual_lshlrev_b32 v33, 3, v33 :: v_dual_bitop2_b32 v38, -1, v38 bitop3:0x14
	v_dual_lshlrev_b32 v43, 3, v31 :: v_dual_bitop2_b32 v30, s6, v30 bitop3:0x40
	s_delay_alu instid0(VALU_DEP_4) | instskip(SKIP_1) | instid1(VALU_DEP_3)
	v_lshlrev_b32_e32 v46, 3, v42
	v_xor_b32_e32 v41, 0x7fffffff, v41
	v_dual_lshlrev_b32 v30, 3, v30 :: v_dual_bitop2_b32 v40, -1, v40 bitop3:0x14
	ds_load_b64 v[30:31], v30
	ds_load_b64 v[42:43], v43
	;; [unrolled: 1-line block ×4, first 2 shown]
	s_wait_dscnt 0x3
	v_lshl_add_u64 v[30:31], v[30:31], 3, v[22:23]
	s_wait_dscnt 0x2
	v_lshl_add_u64 v[42:43], v[42:43], 3, v[22:23]
	;; [unrolled: 2-line block ×4, first 2 shown]
	v_add_nc_u64_e32 v[22:23], 0x4000, v[22:23]
	s_clause 0x3
	global_store_b64 v[30:31], v[34:35], off
	global_store_b64 v[42:43], v[36:37], off offset:4096
	global_store_b64 v[44:45], v[38:39], off offset:8192
	global_store_b64 v[46:47], v[40:41], off offset:12288
	s_wait_storecnt 0x0
	s_barrier_signal -1
	s_barrier_wait -1
	s_cbranch_vccnz .LBB1123_104
; %bb.105:
	s_add_co_i32 s7, s7, -1
	s_delay_alu instid0(SALU_CYCLE_1) | instskip(SKIP_2) | instid1(SALU_CYCLE_1)
	s_cmp_eq_u32 s9, s7
	s_cselect_b32 s1, -1, 0
	s_xor_b32 s0, s0, -1
	s_and_b32 s0, s0, s1
	s_wait_xcnt 0x0
	s_and_saveexec_b32 s1, s0
	s_cbranch_execz .LBB1123_107
; %bb.106:
	ds_load_b64 v[0:1], v20
	v_mov_b32_e32 v19, 0
	s_delay_alu instid0(VALU_DEP_1) | instskip(SKIP_1) | instid1(VALU_DEP_1)
	v_add_nc_u64_e32 v[2:3], v[16:17], v[18:19]
	s_wait_dscnt 0x0
	v_add_nc_u64_e32 v[0:1], v[2:3], v[0:1]
	global_store_b64 v32, v[0:1], s[14:15] scale_offset
.LBB1123_107:
	s_endpgm
	.section	.rodata,"a",@progbits
	.p2align	6, 0x0
	.amdhsa_kernel _ZN7rocprim17ROCPRIM_400000_NS6detail17trampoline_kernelINS0_14default_configENS1_35radix_sort_onesweep_config_selectorIlNS0_10empty_typeEEEZZNS1_29radix_sort_onesweep_iterationIS3_Lb1EPKlPlPS5_SB_mNS0_19identity_decomposerENS1_16block_id_wrapperIjLb0EEEEE10hipError_tT1_PNSt15iterator_traitsISG_E10value_typeET2_T3_PNSH_ISM_E10value_typeET4_T5_PSR_SS_PNS1_23onesweep_lookback_stateEbbT6_jjT7_P12ihipStream_tbENKUlT_T0_SG_SL_E_clISA_SA_SB_SB_EEDaSZ_S10_SG_SL_EUlSZ_E_NS1_11comp_targetILNS1_3genE0ELNS1_11target_archE4294967295ELNS1_3gpuE0ELNS1_3repE0EEENS1_47radix_sort_onesweep_sort_config_static_selectorELNS0_4arch9wavefront6targetE0EEEvSG_
		.amdhsa_group_segment_fixed_size 18504
		.amdhsa_private_segment_fixed_size 0
		.amdhsa_kernarg_size 344
		.amdhsa_user_sgpr_count 2
		.amdhsa_user_sgpr_dispatch_ptr 0
		.amdhsa_user_sgpr_queue_ptr 0
		.amdhsa_user_sgpr_kernarg_segment_ptr 1
		.amdhsa_user_sgpr_dispatch_id 0
		.amdhsa_user_sgpr_kernarg_preload_length 0
		.amdhsa_user_sgpr_kernarg_preload_offset 0
		.amdhsa_user_sgpr_private_segment_size 0
		.amdhsa_wavefront_size32 1
		.amdhsa_uses_dynamic_stack 0
		.amdhsa_enable_private_segment 0
		.amdhsa_system_sgpr_workgroup_id_x 1
		.amdhsa_system_sgpr_workgroup_id_y 0
		.amdhsa_system_sgpr_workgroup_id_z 0
		.amdhsa_system_sgpr_workgroup_info 0
		.amdhsa_system_vgpr_workitem_id 2
		.amdhsa_next_free_vgpr 57
		.amdhsa_next_free_sgpr 28
		.amdhsa_named_barrier_count 0
		.amdhsa_reserve_vcc 1
		.amdhsa_float_round_mode_32 0
		.amdhsa_float_round_mode_16_64 0
		.amdhsa_float_denorm_mode_32 3
		.amdhsa_float_denorm_mode_16_64 3
		.amdhsa_fp16_overflow 0
		.amdhsa_memory_ordered 1
		.amdhsa_forward_progress 1
		.amdhsa_inst_pref_size 89
		.amdhsa_round_robin_scheduling 0
		.amdhsa_exception_fp_ieee_invalid_op 0
		.amdhsa_exception_fp_denorm_src 0
		.amdhsa_exception_fp_ieee_div_zero 0
		.amdhsa_exception_fp_ieee_overflow 0
		.amdhsa_exception_fp_ieee_underflow 0
		.amdhsa_exception_fp_ieee_inexact 0
		.amdhsa_exception_int_div_zero 0
	.end_amdhsa_kernel
	.section	.text._ZN7rocprim17ROCPRIM_400000_NS6detail17trampoline_kernelINS0_14default_configENS1_35radix_sort_onesweep_config_selectorIlNS0_10empty_typeEEEZZNS1_29radix_sort_onesweep_iterationIS3_Lb1EPKlPlPS5_SB_mNS0_19identity_decomposerENS1_16block_id_wrapperIjLb0EEEEE10hipError_tT1_PNSt15iterator_traitsISG_E10value_typeET2_T3_PNSH_ISM_E10value_typeET4_T5_PSR_SS_PNS1_23onesweep_lookback_stateEbbT6_jjT7_P12ihipStream_tbENKUlT_T0_SG_SL_E_clISA_SA_SB_SB_EEDaSZ_S10_SG_SL_EUlSZ_E_NS1_11comp_targetILNS1_3genE0ELNS1_11target_archE4294967295ELNS1_3gpuE0ELNS1_3repE0EEENS1_47radix_sort_onesweep_sort_config_static_selectorELNS0_4arch9wavefront6targetE0EEEvSG_,"axG",@progbits,_ZN7rocprim17ROCPRIM_400000_NS6detail17trampoline_kernelINS0_14default_configENS1_35radix_sort_onesweep_config_selectorIlNS0_10empty_typeEEEZZNS1_29radix_sort_onesweep_iterationIS3_Lb1EPKlPlPS5_SB_mNS0_19identity_decomposerENS1_16block_id_wrapperIjLb0EEEEE10hipError_tT1_PNSt15iterator_traitsISG_E10value_typeET2_T3_PNSH_ISM_E10value_typeET4_T5_PSR_SS_PNS1_23onesweep_lookback_stateEbbT6_jjT7_P12ihipStream_tbENKUlT_T0_SG_SL_E_clISA_SA_SB_SB_EEDaSZ_S10_SG_SL_EUlSZ_E_NS1_11comp_targetILNS1_3genE0ELNS1_11target_archE4294967295ELNS1_3gpuE0ELNS1_3repE0EEENS1_47radix_sort_onesweep_sort_config_static_selectorELNS0_4arch9wavefront6targetE0EEEvSG_,comdat
.Lfunc_end1123:
	.size	_ZN7rocprim17ROCPRIM_400000_NS6detail17trampoline_kernelINS0_14default_configENS1_35radix_sort_onesweep_config_selectorIlNS0_10empty_typeEEEZZNS1_29radix_sort_onesweep_iterationIS3_Lb1EPKlPlPS5_SB_mNS0_19identity_decomposerENS1_16block_id_wrapperIjLb0EEEEE10hipError_tT1_PNSt15iterator_traitsISG_E10value_typeET2_T3_PNSH_ISM_E10value_typeET4_T5_PSR_SS_PNS1_23onesweep_lookback_stateEbbT6_jjT7_P12ihipStream_tbENKUlT_T0_SG_SL_E_clISA_SA_SB_SB_EEDaSZ_S10_SG_SL_EUlSZ_E_NS1_11comp_targetILNS1_3genE0ELNS1_11target_archE4294967295ELNS1_3gpuE0ELNS1_3repE0EEENS1_47radix_sort_onesweep_sort_config_static_selectorELNS0_4arch9wavefront6targetE0EEEvSG_, .Lfunc_end1123-_ZN7rocprim17ROCPRIM_400000_NS6detail17trampoline_kernelINS0_14default_configENS1_35radix_sort_onesweep_config_selectorIlNS0_10empty_typeEEEZZNS1_29radix_sort_onesweep_iterationIS3_Lb1EPKlPlPS5_SB_mNS0_19identity_decomposerENS1_16block_id_wrapperIjLb0EEEEE10hipError_tT1_PNSt15iterator_traitsISG_E10value_typeET2_T3_PNSH_ISM_E10value_typeET4_T5_PSR_SS_PNS1_23onesweep_lookback_stateEbbT6_jjT7_P12ihipStream_tbENKUlT_T0_SG_SL_E_clISA_SA_SB_SB_EEDaSZ_S10_SG_SL_EUlSZ_E_NS1_11comp_targetILNS1_3genE0ELNS1_11target_archE4294967295ELNS1_3gpuE0ELNS1_3repE0EEENS1_47radix_sort_onesweep_sort_config_static_selectorELNS0_4arch9wavefront6targetE0EEEvSG_
                                        ; -- End function
	.set _ZN7rocprim17ROCPRIM_400000_NS6detail17trampoline_kernelINS0_14default_configENS1_35radix_sort_onesweep_config_selectorIlNS0_10empty_typeEEEZZNS1_29radix_sort_onesweep_iterationIS3_Lb1EPKlPlPS5_SB_mNS0_19identity_decomposerENS1_16block_id_wrapperIjLb0EEEEE10hipError_tT1_PNSt15iterator_traitsISG_E10value_typeET2_T3_PNSH_ISM_E10value_typeET4_T5_PSR_SS_PNS1_23onesweep_lookback_stateEbbT6_jjT7_P12ihipStream_tbENKUlT_T0_SG_SL_E_clISA_SA_SB_SB_EEDaSZ_S10_SG_SL_EUlSZ_E_NS1_11comp_targetILNS1_3genE0ELNS1_11target_archE4294967295ELNS1_3gpuE0ELNS1_3repE0EEENS1_47radix_sort_onesweep_sort_config_static_selectorELNS0_4arch9wavefront6targetE0EEEvSG_.num_vgpr, 57
	.set _ZN7rocprim17ROCPRIM_400000_NS6detail17trampoline_kernelINS0_14default_configENS1_35radix_sort_onesweep_config_selectorIlNS0_10empty_typeEEEZZNS1_29radix_sort_onesweep_iterationIS3_Lb1EPKlPlPS5_SB_mNS0_19identity_decomposerENS1_16block_id_wrapperIjLb0EEEEE10hipError_tT1_PNSt15iterator_traitsISG_E10value_typeET2_T3_PNSH_ISM_E10value_typeET4_T5_PSR_SS_PNS1_23onesweep_lookback_stateEbbT6_jjT7_P12ihipStream_tbENKUlT_T0_SG_SL_E_clISA_SA_SB_SB_EEDaSZ_S10_SG_SL_EUlSZ_E_NS1_11comp_targetILNS1_3genE0ELNS1_11target_archE4294967295ELNS1_3gpuE0ELNS1_3repE0EEENS1_47radix_sort_onesweep_sort_config_static_selectorELNS0_4arch9wavefront6targetE0EEEvSG_.num_agpr, 0
	.set _ZN7rocprim17ROCPRIM_400000_NS6detail17trampoline_kernelINS0_14default_configENS1_35radix_sort_onesweep_config_selectorIlNS0_10empty_typeEEEZZNS1_29radix_sort_onesweep_iterationIS3_Lb1EPKlPlPS5_SB_mNS0_19identity_decomposerENS1_16block_id_wrapperIjLb0EEEEE10hipError_tT1_PNSt15iterator_traitsISG_E10value_typeET2_T3_PNSH_ISM_E10value_typeET4_T5_PSR_SS_PNS1_23onesweep_lookback_stateEbbT6_jjT7_P12ihipStream_tbENKUlT_T0_SG_SL_E_clISA_SA_SB_SB_EEDaSZ_S10_SG_SL_EUlSZ_E_NS1_11comp_targetILNS1_3genE0ELNS1_11target_archE4294967295ELNS1_3gpuE0ELNS1_3repE0EEENS1_47radix_sort_onesweep_sort_config_static_selectorELNS0_4arch9wavefront6targetE0EEEvSG_.numbered_sgpr, 28
	.set _ZN7rocprim17ROCPRIM_400000_NS6detail17trampoline_kernelINS0_14default_configENS1_35radix_sort_onesweep_config_selectorIlNS0_10empty_typeEEEZZNS1_29radix_sort_onesweep_iterationIS3_Lb1EPKlPlPS5_SB_mNS0_19identity_decomposerENS1_16block_id_wrapperIjLb0EEEEE10hipError_tT1_PNSt15iterator_traitsISG_E10value_typeET2_T3_PNSH_ISM_E10value_typeET4_T5_PSR_SS_PNS1_23onesweep_lookback_stateEbbT6_jjT7_P12ihipStream_tbENKUlT_T0_SG_SL_E_clISA_SA_SB_SB_EEDaSZ_S10_SG_SL_EUlSZ_E_NS1_11comp_targetILNS1_3genE0ELNS1_11target_archE4294967295ELNS1_3gpuE0ELNS1_3repE0EEENS1_47radix_sort_onesweep_sort_config_static_selectorELNS0_4arch9wavefront6targetE0EEEvSG_.num_named_barrier, 0
	.set _ZN7rocprim17ROCPRIM_400000_NS6detail17trampoline_kernelINS0_14default_configENS1_35radix_sort_onesweep_config_selectorIlNS0_10empty_typeEEEZZNS1_29radix_sort_onesweep_iterationIS3_Lb1EPKlPlPS5_SB_mNS0_19identity_decomposerENS1_16block_id_wrapperIjLb0EEEEE10hipError_tT1_PNSt15iterator_traitsISG_E10value_typeET2_T3_PNSH_ISM_E10value_typeET4_T5_PSR_SS_PNS1_23onesweep_lookback_stateEbbT6_jjT7_P12ihipStream_tbENKUlT_T0_SG_SL_E_clISA_SA_SB_SB_EEDaSZ_S10_SG_SL_EUlSZ_E_NS1_11comp_targetILNS1_3genE0ELNS1_11target_archE4294967295ELNS1_3gpuE0ELNS1_3repE0EEENS1_47radix_sort_onesweep_sort_config_static_selectorELNS0_4arch9wavefront6targetE0EEEvSG_.private_seg_size, 0
	.set _ZN7rocprim17ROCPRIM_400000_NS6detail17trampoline_kernelINS0_14default_configENS1_35radix_sort_onesweep_config_selectorIlNS0_10empty_typeEEEZZNS1_29radix_sort_onesweep_iterationIS3_Lb1EPKlPlPS5_SB_mNS0_19identity_decomposerENS1_16block_id_wrapperIjLb0EEEEE10hipError_tT1_PNSt15iterator_traitsISG_E10value_typeET2_T3_PNSH_ISM_E10value_typeET4_T5_PSR_SS_PNS1_23onesweep_lookback_stateEbbT6_jjT7_P12ihipStream_tbENKUlT_T0_SG_SL_E_clISA_SA_SB_SB_EEDaSZ_S10_SG_SL_EUlSZ_E_NS1_11comp_targetILNS1_3genE0ELNS1_11target_archE4294967295ELNS1_3gpuE0ELNS1_3repE0EEENS1_47radix_sort_onesweep_sort_config_static_selectorELNS0_4arch9wavefront6targetE0EEEvSG_.uses_vcc, 1
	.set _ZN7rocprim17ROCPRIM_400000_NS6detail17trampoline_kernelINS0_14default_configENS1_35radix_sort_onesweep_config_selectorIlNS0_10empty_typeEEEZZNS1_29radix_sort_onesweep_iterationIS3_Lb1EPKlPlPS5_SB_mNS0_19identity_decomposerENS1_16block_id_wrapperIjLb0EEEEE10hipError_tT1_PNSt15iterator_traitsISG_E10value_typeET2_T3_PNSH_ISM_E10value_typeET4_T5_PSR_SS_PNS1_23onesweep_lookback_stateEbbT6_jjT7_P12ihipStream_tbENKUlT_T0_SG_SL_E_clISA_SA_SB_SB_EEDaSZ_S10_SG_SL_EUlSZ_E_NS1_11comp_targetILNS1_3genE0ELNS1_11target_archE4294967295ELNS1_3gpuE0ELNS1_3repE0EEENS1_47radix_sort_onesweep_sort_config_static_selectorELNS0_4arch9wavefront6targetE0EEEvSG_.uses_flat_scratch, 0
	.set _ZN7rocprim17ROCPRIM_400000_NS6detail17trampoline_kernelINS0_14default_configENS1_35radix_sort_onesweep_config_selectorIlNS0_10empty_typeEEEZZNS1_29radix_sort_onesweep_iterationIS3_Lb1EPKlPlPS5_SB_mNS0_19identity_decomposerENS1_16block_id_wrapperIjLb0EEEEE10hipError_tT1_PNSt15iterator_traitsISG_E10value_typeET2_T3_PNSH_ISM_E10value_typeET4_T5_PSR_SS_PNS1_23onesweep_lookback_stateEbbT6_jjT7_P12ihipStream_tbENKUlT_T0_SG_SL_E_clISA_SA_SB_SB_EEDaSZ_S10_SG_SL_EUlSZ_E_NS1_11comp_targetILNS1_3genE0ELNS1_11target_archE4294967295ELNS1_3gpuE0ELNS1_3repE0EEENS1_47radix_sort_onesweep_sort_config_static_selectorELNS0_4arch9wavefront6targetE0EEEvSG_.has_dyn_sized_stack, 0
	.set _ZN7rocprim17ROCPRIM_400000_NS6detail17trampoline_kernelINS0_14default_configENS1_35radix_sort_onesweep_config_selectorIlNS0_10empty_typeEEEZZNS1_29radix_sort_onesweep_iterationIS3_Lb1EPKlPlPS5_SB_mNS0_19identity_decomposerENS1_16block_id_wrapperIjLb0EEEEE10hipError_tT1_PNSt15iterator_traitsISG_E10value_typeET2_T3_PNSH_ISM_E10value_typeET4_T5_PSR_SS_PNS1_23onesweep_lookback_stateEbbT6_jjT7_P12ihipStream_tbENKUlT_T0_SG_SL_E_clISA_SA_SB_SB_EEDaSZ_S10_SG_SL_EUlSZ_E_NS1_11comp_targetILNS1_3genE0ELNS1_11target_archE4294967295ELNS1_3gpuE0ELNS1_3repE0EEENS1_47radix_sort_onesweep_sort_config_static_selectorELNS0_4arch9wavefront6targetE0EEEvSG_.has_recursion, 0
	.set _ZN7rocprim17ROCPRIM_400000_NS6detail17trampoline_kernelINS0_14default_configENS1_35radix_sort_onesweep_config_selectorIlNS0_10empty_typeEEEZZNS1_29radix_sort_onesweep_iterationIS3_Lb1EPKlPlPS5_SB_mNS0_19identity_decomposerENS1_16block_id_wrapperIjLb0EEEEE10hipError_tT1_PNSt15iterator_traitsISG_E10value_typeET2_T3_PNSH_ISM_E10value_typeET4_T5_PSR_SS_PNS1_23onesweep_lookback_stateEbbT6_jjT7_P12ihipStream_tbENKUlT_T0_SG_SL_E_clISA_SA_SB_SB_EEDaSZ_S10_SG_SL_EUlSZ_E_NS1_11comp_targetILNS1_3genE0ELNS1_11target_archE4294967295ELNS1_3gpuE0ELNS1_3repE0EEENS1_47radix_sort_onesweep_sort_config_static_selectorELNS0_4arch9wavefront6targetE0EEEvSG_.has_indirect_call, 0
	.section	.AMDGPU.csdata,"",@progbits
; Kernel info:
; codeLenInByte = 11288
; TotalNumSgprs: 30
; NumVgprs: 57
; ScratchSize: 0
; MemoryBound: 1
; FloatMode: 240
; IeeeMode: 1
; LDSByteSize: 18504 bytes/workgroup (compile time only)
; SGPRBlocks: 0
; VGPRBlocks: 3
; NumSGPRsForWavesPerEU: 30
; NumVGPRsForWavesPerEU: 57
; NamedBarCnt: 0
; Occupancy: 16
; WaveLimiterHint : 1
; COMPUTE_PGM_RSRC2:SCRATCH_EN: 0
; COMPUTE_PGM_RSRC2:USER_SGPR: 2
; COMPUTE_PGM_RSRC2:TRAP_HANDLER: 0
; COMPUTE_PGM_RSRC2:TGID_X_EN: 1
; COMPUTE_PGM_RSRC2:TGID_Y_EN: 0
; COMPUTE_PGM_RSRC2:TGID_Z_EN: 0
; COMPUTE_PGM_RSRC2:TIDIG_COMP_CNT: 2
	.section	.text._ZN7rocprim17ROCPRIM_400000_NS6detail17trampoline_kernelINS0_14default_configENS1_35radix_sort_onesweep_config_selectorIlNS0_10empty_typeEEEZZNS1_29radix_sort_onesweep_iterationIS3_Lb1EPKlPlPS5_SB_mNS0_19identity_decomposerENS1_16block_id_wrapperIjLb0EEEEE10hipError_tT1_PNSt15iterator_traitsISG_E10value_typeET2_T3_PNSH_ISM_E10value_typeET4_T5_PSR_SS_PNS1_23onesweep_lookback_stateEbbT6_jjT7_P12ihipStream_tbENKUlT_T0_SG_SL_E_clISA_SA_SB_SB_EEDaSZ_S10_SG_SL_EUlSZ_E_NS1_11comp_targetILNS1_3genE6ELNS1_11target_archE950ELNS1_3gpuE13ELNS1_3repE0EEENS1_47radix_sort_onesweep_sort_config_static_selectorELNS0_4arch9wavefront6targetE0EEEvSG_,"axG",@progbits,_ZN7rocprim17ROCPRIM_400000_NS6detail17trampoline_kernelINS0_14default_configENS1_35radix_sort_onesweep_config_selectorIlNS0_10empty_typeEEEZZNS1_29radix_sort_onesweep_iterationIS3_Lb1EPKlPlPS5_SB_mNS0_19identity_decomposerENS1_16block_id_wrapperIjLb0EEEEE10hipError_tT1_PNSt15iterator_traitsISG_E10value_typeET2_T3_PNSH_ISM_E10value_typeET4_T5_PSR_SS_PNS1_23onesweep_lookback_stateEbbT6_jjT7_P12ihipStream_tbENKUlT_T0_SG_SL_E_clISA_SA_SB_SB_EEDaSZ_S10_SG_SL_EUlSZ_E_NS1_11comp_targetILNS1_3genE6ELNS1_11target_archE950ELNS1_3gpuE13ELNS1_3repE0EEENS1_47radix_sort_onesweep_sort_config_static_selectorELNS0_4arch9wavefront6targetE0EEEvSG_,comdat
	.protected	_ZN7rocprim17ROCPRIM_400000_NS6detail17trampoline_kernelINS0_14default_configENS1_35radix_sort_onesweep_config_selectorIlNS0_10empty_typeEEEZZNS1_29radix_sort_onesweep_iterationIS3_Lb1EPKlPlPS5_SB_mNS0_19identity_decomposerENS1_16block_id_wrapperIjLb0EEEEE10hipError_tT1_PNSt15iterator_traitsISG_E10value_typeET2_T3_PNSH_ISM_E10value_typeET4_T5_PSR_SS_PNS1_23onesweep_lookback_stateEbbT6_jjT7_P12ihipStream_tbENKUlT_T0_SG_SL_E_clISA_SA_SB_SB_EEDaSZ_S10_SG_SL_EUlSZ_E_NS1_11comp_targetILNS1_3genE6ELNS1_11target_archE950ELNS1_3gpuE13ELNS1_3repE0EEENS1_47radix_sort_onesweep_sort_config_static_selectorELNS0_4arch9wavefront6targetE0EEEvSG_ ; -- Begin function _ZN7rocprim17ROCPRIM_400000_NS6detail17trampoline_kernelINS0_14default_configENS1_35radix_sort_onesweep_config_selectorIlNS0_10empty_typeEEEZZNS1_29radix_sort_onesweep_iterationIS3_Lb1EPKlPlPS5_SB_mNS0_19identity_decomposerENS1_16block_id_wrapperIjLb0EEEEE10hipError_tT1_PNSt15iterator_traitsISG_E10value_typeET2_T3_PNSH_ISM_E10value_typeET4_T5_PSR_SS_PNS1_23onesweep_lookback_stateEbbT6_jjT7_P12ihipStream_tbENKUlT_T0_SG_SL_E_clISA_SA_SB_SB_EEDaSZ_S10_SG_SL_EUlSZ_E_NS1_11comp_targetILNS1_3genE6ELNS1_11target_archE950ELNS1_3gpuE13ELNS1_3repE0EEENS1_47radix_sort_onesweep_sort_config_static_selectorELNS0_4arch9wavefront6targetE0EEEvSG_
	.globl	_ZN7rocprim17ROCPRIM_400000_NS6detail17trampoline_kernelINS0_14default_configENS1_35radix_sort_onesweep_config_selectorIlNS0_10empty_typeEEEZZNS1_29radix_sort_onesweep_iterationIS3_Lb1EPKlPlPS5_SB_mNS0_19identity_decomposerENS1_16block_id_wrapperIjLb0EEEEE10hipError_tT1_PNSt15iterator_traitsISG_E10value_typeET2_T3_PNSH_ISM_E10value_typeET4_T5_PSR_SS_PNS1_23onesweep_lookback_stateEbbT6_jjT7_P12ihipStream_tbENKUlT_T0_SG_SL_E_clISA_SA_SB_SB_EEDaSZ_S10_SG_SL_EUlSZ_E_NS1_11comp_targetILNS1_3genE6ELNS1_11target_archE950ELNS1_3gpuE13ELNS1_3repE0EEENS1_47radix_sort_onesweep_sort_config_static_selectorELNS0_4arch9wavefront6targetE0EEEvSG_
	.p2align	8
	.type	_ZN7rocprim17ROCPRIM_400000_NS6detail17trampoline_kernelINS0_14default_configENS1_35radix_sort_onesweep_config_selectorIlNS0_10empty_typeEEEZZNS1_29radix_sort_onesweep_iterationIS3_Lb1EPKlPlPS5_SB_mNS0_19identity_decomposerENS1_16block_id_wrapperIjLb0EEEEE10hipError_tT1_PNSt15iterator_traitsISG_E10value_typeET2_T3_PNSH_ISM_E10value_typeET4_T5_PSR_SS_PNS1_23onesweep_lookback_stateEbbT6_jjT7_P12ihipStream_tbENKUlT_T0_SG_SL_E_clISA_SA_SB_SB_EEDaSZ_S10_SG_SL_EUlSZ_E_NS1_11comp_targetILNS1_3genE6ELNS1_11target_archE950ELNS1_3gpuE13ELNS1_3repE0EEENS1_47radix_sort_onesweep_sort_config_static_selectorELNS0_4arch9wavefront6targetE0EEEvSG_,@function
_ZN7rocprim17ROCPRIM_400000_NS6detail17trampoline_kernelINS0_14default_configENS1_35radix_sort_onesweep_config_selectorIlNS0_10empty_typeEEEZZNS1_29radix_sort_onesweep_iterationIS3_Lb1EPKlPlPS5_SB_mNS0_19identity_decomposerENS1_16block_id_wrapperIjLb0EEEEE10hipError_tT1_PNSt15iterator_traitsISG_E10value_typeET2_T3_PNSH_ISM_E10value_typeET4_T5_PSR_SS_PNS1_23onesweep_lookback_stateEbbT6_jjT7_P12ihipStream_tbENKUlT_T0_SG_SL_E_clISA_SA_SB_SB_EEDaSZ_S10_SG_SL_EUlSZ_E_NS1_11comp_targetILNS1_3genE6ELNS1_11target_archE950ELNS1_3gpuE13ELNS1_3repE0EEENS1_47radix_sort_onesweep_sort_config_static_selectorELNS0_4arch9wavefront6targetE0EEEvSG_: ; @_ZN7rocprim17ROCPRIM_400000_NS6detail17trampoline_kernelINS0_14default_configENS1_35radix_sort_onesweep_config_selectorIlNS0_10empty_typeEEEZZNS1_29radix_sort_onesweep_iterationIS3_Lb1EPKlPlPS5_SB_mNS0_19identity_decomposerENS1_16block_id_wrapperIjLb0EEEEE10hipError_tT1_PNSt15iterator_traitsISG_E10value_typeET2_T3_PNSH_ISM_E10value_typeET4_T5_PSR_SS_PNS1_23onesweep_lookback_stateEbbT6_jjT7_P12ihipStream_tbENKUlT_T0_SG_SL_E_clISA_SA_SB_SB_EEDaSZ_S10_SG_SL_EUlSZ_E_NS1_11comp_targetILNS1_3genE6ELNS1_11target_archE950ELNS1_3gpuE13ELNS1_3repE0EEENS1_47radix_sort_onesweep_sort_config_static_selectorELNS0_4arch9wavefront6targetE0EEEvSG_
; %bb.0:
	.section	.rodata,"a",@progbits
	.p2align	6, 0x0
	.amdhsa_kernel _ZN7rocprim17ROCPRIM_400000_NS6detail17trampoline_kernelINS0_14default_configENS1_35radix_sort_onesweep_config_selectorIlNS0_10empty_typeEEEZZNS1_29radix_sort_onesweep_iterationIS3_Lb1EPKlPlPS5_SB_mNS0_19identity_decomposerENS1_16block_id_wrapperIjLb0EEEEE10hipError_tT1_PNSt15iterator_traitsISG_E10value_typeET2_T3_PNSH_ISM_E10value_typeET4_T5_PSR_SS_PNS1_23onesweep_lookback_stateEbbT6_jjT7_P12ihipStream_tbENKUlT_T0_SG_SL_E_clISA_SA_SB_SB_EEDaSZ_S10_SG_SL_EUlSZ_E_NS1_11comp_targetILNS1_3genE6ELNS1_11target_archE950ELNS1_3gpuE13ELNS1_3repE0EEENS1_47radix_sort_onesweep_sort_config_static_selectorELNS0_4arch9wavefront6targetE0EEEvSG_
		.amdhsa_group_segment_fixed_size 0
		.amdhsa_private_segment_fixed_size 0
		.amdhsa_kernarg_size 88
		.amdhsa_user_sgpr_count 2
		.amdhsa_user_sgpr_dispatch_ptr 0
		.amdhsa_user_sgpr_queue_ptr 0
		.amdhsa_user_sgpr_kernarg_segment_ptr 1
		.amdhsa_user_sgpr_dispatch_id 0
		.amdhsa_user_sgpr_kernarg_preload_length 0
		.amdhsa_user_sgpr_kernarg_preload_offset 0
		.amdhsa_user_sgpr_private_segment_size 0
		.amdhsa_wavefront_size32 1
		.amdhsa_uses_dynamic_stack 0
		.amdhsa_enable_private_segment 0
		.amdhsa_system_sgpr_workgroup_id_x 1
		.amdhsa_system_sgpr_workgroup_id_y 0
		.amdhsa_system_sgpr_workgroup_id_z 0
		.amdhsa_system_sgpr_workgroup_info 0
		.amdhsa_system_vgpr_workitem_id 0
		.amdhsa_next_free_vgpr 1
		.amdhsa_next_free_sgpr 1
		.amdhsa_named_barrier_count 0
		.amdhsa_reserve_vcc 0
		.amdhsa_float_round_mode_32 0
		.amdhsa_float_round_mode_16_64 0
		.amdhsa_float_denorm_mode_32 3
		.amdhsa_float_denorm_mode_16_64 3
		.amdhsa_fp16_overflow 0
		.amdhsa_memory_ordered 1
		.amdhsa_forward_progress 1
		.amdhsa_inst_pref_size 0
		.amdhsa_round_robin_scheduling 0
		.amdhsa_exception_fp_ieee_invalid_op 0
		.amdhsa_exception_fp_denorm_src 0
		.amdhsa_exception_fp_ieee_div_zero 0
		.amdhsa_exception_fp_ieee_overflow 0
		.amdhsa_exception_fp_ieee_underflow 0
		.amdhsa_exception_fp_ieee_inexact 0
		.amdhsa_exception_int_div_zero 0
	.end_amdhsa_kernel
	.section	.text._ZN7rocprim17ROCPRIM_400000_NS6detail17trampoline_kernelINS0_14default_configENS1_35radix_sort_onesweep_config_selectorIlNS0_10empty_typeEEEZZNS1_29radix_sort_onesweep_iterationIS3_Lb1EPKlPlPS5_SB_mNS0_19identity_decomposerENS1_16block_id_wrapperIjLb0EEEEE10hipError_tT1_PNSt15iterator_traitsISG_E10value_typeET2_T3_PNSH_ISM_E10value_typeET4_T5_PSR_SS_PNS1_23onesweep_lookback_stateEbbT6_jjT7_P12ihipStream_tbENKUlT_T0_SG_SL_E_clISA_SA_SB_SB_EEDaSZ_S10_SG_SL_EUlSZ_E_NS1_11comp_targetILNS1_3genE6ELNS1_11target_archE950ELNS1_3gpuE13ELNS1_3repE0EEENS1_47radix_sort_onesweep_sort_config_static_selectorELNS0_4arch9wavefront6targetE0EEEvSG_,"axG",@progbits,_ZN7rocprim17ROCPRIM_400000_NS6detail17trampoline_kernelINS0_14default_configENS1_35radix_sort_onesweep_config_selectorIlNS0_10empty_typeEEEZZNS1_29radix_sort_onesweep_iterationIS3_Lb1EPKlPlPS5_SB_mNS0_19identity_decomposerENS1_16block_id_wrapperIjLb0EEEEE10hipError_tT1_PNSt15iterator_traitsISG_E10value_typeET2_T3_PNSH_ISM_E10value_typeET4_T5_PSR_SS_PNS1_23onesweep_lookback_stateEbbT6_jjT7_P12ihipStream_tbENKUlT_T0_SG_SL_E_clISA_SA_SB_SB_EEDaSZ_S10_SG_SL_EUlSZ_E_NS1_11comp_targetILNS1_3genE6ELNS1_11target_archE950ELNS1_3gpuE13ELNS1_3repE0EEENS1_47radix_sort_onesweep_sort_config_static_selectorELNS0_4arch9wavefront6targetE0EEEvSG_,comdat
.Lfunc_end1124:
	.size	_ZN7rocprim17ROCPRIM_400000_NS6detail17trampoline_kernelINS0_14default_configENS1_35radix_sort_onesweep_config_selectorIlNS0_10empty_typeEEEZZNS1_29radix_sort_onesweep_iterationIS3_Lb1EPKlPlPS5_SB_mNS0_19identity_decomposerENS1_16block_id_wrapperIjLb0EEEEE10hipError_tT1_PNSt15iterator_traitsISG_E10value_typeET2_T3_PNSH_ISM_E10value_typeET4_T5_PSR_SS_PNS1_23onesweep_lookback_stateEbbT6_jjT7_P12ihipStream_tbENKUlT_T0_SG_SL_E_clISA_SA_SB_SB_EEDaSZ_S10_SG_SL_EUlSZ_E_NS1_11comp_targetILNS1_3genE6ELNS1_11target_archE950ELNS1_3gpuE13ELNS1_3repE0EEENS1_47radix_sort_onesweep_sort_config_static_selectorELNS0_4arch9wavefront6targetE0EEEvSG_, .Lfunc_end1124-_ZN7rocprim17ROCPRIM_400000_NS6detail17trampoline_kernelINS0_14default_configENS1_35radix_sort_onesweep_config_selectorIlNS0_10empty_typeEEEZZNS1_29radix_sort_onesweep_iterationIS3_Lb1EPKlPlPS5_SB_mNS0_19identity_decomposerENS1_16block_id_wrapperIjLb0EEEEE10hipError_tT1_PNSt15iterator_traitsISG_E10value_typeET2_T3_PNSH_ISM_E10value_typeET4_T5_PSR_SS_PNS1_23onesweep_lookback_stateEbbT6_jjT7_P12ihipStream_tbENKUlT_T0_SG_SL_E_clISA_SA_SB_SB_EEDaSZ_S10_SG_SL_EUlSZ_E_NS1_11comp_targetILNS1_3genE6ELNS1_11target_archE950ELNS1_3gpuE13ELNS1_3repE0EEENS1_47radix_sort_onesweep_sort_config_static_selectorELNS0_4arch9wavefront6targetE0EEEvSG_
                                        ; -- End function
	.set _ZN7rocprim17ROCPRIM_400000_NS6detail17trampoline_kernelINS0_14default_configENS1_35radix_sort_onesweep_config_selectorIlNS0_10empty_typeEEEZZNS1_29radix_sort_onesweep_iterationIS3_Lb1EPKlPlPS5_SB_mNS0_19identity_decomposerENS1_16block_id_wrapperIjLb0EEEEE10hipError_tT1_PNSt15iterator_traitsISG_E10value_typeET2_T3_PNSH_ISM_E10value_typeET4_T5_PSR_SS_PNS1_23onesweep_lookback_stateEbbT6_jjT7_P12ihipStream_tbENKUlT_T0_SG_SL_E_clISA_SA_SB_SB_EEDaSZ_S10_SG_SL_EUlSZ_E_NS1_11comp_targetILNS1_3genE6ELNS1_11target_archE950ELNS1_3gpuE13ELNS1_3repE0EEENS1_47radix_sort_onesweep_sort_config_static_selectorELNS0_4arch9wavefront6targetE0EEEvSG_.num_vgpr, 0
	.set _ZN7rocprim17ROCPRIM_400000_NS6detail17trampoline_kernelINS0_14default_configENS1_35radix_sort_onesweep_config_selectorIlNS0_10empty_typeEEEZZNS1_29radix_sort_onesweep_iterationIS3_Lb1EPKlPlPS5_SB_mNS0_19identity_decomposerENS1_16block_id_wrapperIjLb0EEEEE10hipError_tT1_PNSt15iterator_traitsISG_E10value_typeET2_T3_PNSH_ISM_E10value_typeET4_T5_PSR_SS_PNS1_23onesweep_lookback_stateEbbT6_jjT7_P12ihipStream_tbENKUlT_T0_SG_SL_E_clISA_SA_SB_SB_EEDaSZ_S10_SG_SL_EUlSZ_E_NS1_11comp_targetILNS1_3genE6ELNS1_11target_archE950ELNS1_3gpuE13ELNS1_3repE0EEENS1_47radix_sort_onesweep_sort_config_static_selectorELNS0_4arch9wavefront6targetE0EEEvSG_.num_agpr, 0
	.set _ZN7rocprim17ROCPRIM_400000_NS6detail17trampoline_kernelINS0_14default_configENS1_35radix_sort_onesweep_config_selectorIlNS0_10empty_typeEEEZZNS1_29radix_sort_onesweep_iterationIS3_Lb1EPKlPlPS5_SB_mNS0_19identity_decomposerENS1_16block_id_wrapperIjLb0EEEEE10hipError_tT1_PNSt15iterator_traitsISG_E10value_typeET2_T3_PNSH_ISM_E10value_typeET4_T5_PSR_SS_PNS1_23onesweep_lookback_stateEbbT6_jjT7_P12ihipStream_tbENKUlT_T0_SG_SL_E_clISA_SA_SB_SB_EEDaSZ_S10_SG_SL_EUlSZ_E_NS1_11comp_targetILNS1_3genE6ELNS1_11target_archE950ELNS1_3gpuE13ELNS1_3repE0EEENS1_47radix_sort_onesweep_sort_config_static_selectorELNS0_4arch9wavefront6targetE0EEEvSG_.numbered_sgpr, 0
	.set _ZN7rocprim17ROCPRIM_400000_NS6detail17trampoline_kernelINS0_14default_configENS1_35radix_sort_onesweep_config_selectorIlNS0_10empty_typeEEEZZNS1_29radix_sort_onesweep_iterationIS3_Lb1EPKlPlPS5_SB_mNS0_19identity_decomposerENS1_16block_id_wrapperIjLb0EEEEE10hipError_tT1_PNSt15iterator_traitsISG_E10value_typeET2_T3_PNSH_ISM_E10value_typeET4_T5_PSR_SS_PNS1_23onesweep_lookback_stateEbbT6_jjT7_P12ihipStream_tbENKUlT_T0_SG_SL_E_clISA_SA_SB_SB_EEDaSZ_S10_SG_SL_EUlSZ_E_NS1_11comp_targetILNS1_3genE6ELNS1_11target_archE950ELNS1_3gpuE13ELNS1_3repE0EEENS1_47radix_sort_onesweep_sort_config_static_selectorELNS0_4arch9wavefront6targetE0EEEvSG_.num_named_barrier, 0
	.set _ZN7rocprim17ROCPRIM_400000_NS6detail17trampoline_kernelINS0_14default_configENS1_35radix_sort_onesweep_config_selectorIlNS0_10empty_typeEEEZZNS1_29radix_sort_onesweep_iterationIS3_Lb1EPKlPlPS5_SB_mNS0_19identity_decomposerENS1_16block_id_wrapperIjLb0EEEEE10hipError_tT1_PNSt15iterator_traitsISG_E10value_typeET2_T3_PNSH_ISM_E10value_typeET4_T5_PSR_SS_PNS1_23onesweep_lookback_stateEbbT6_jjT7_P12ihipStream_tbENKUlT_T0_SG_SL_E_clISA_SA_SB_SB_EEDaSZ_S10_SG_SL_EUlSZ_E_NS1_11comp_targetILNS1_3genE6ELNS1_11target_archE950ELNS1_3gpuE13ELNS1_3repE0EEENS1_47radix_sort_onesweep_sort_config_static_selectorELNS0_4arch9wavefront6targetE0EEEvSG_.private_seg_size, 0
	.set _ZN7rocprim17ROCPRIM_400000_NS6detail17trampoline_kernelINS0_14default_configENS1_35radix_sort_onesweep_config_selectorIlNS0_10empty_typeEEEZZNS1_29radix_sort_onesweep_iterationIS3_Lb1EPKlPlPS5_SB_mNS0_19identity_decomposerENS1_16block_id_wrapperIjLb0EEEEE10hipError_tT1_PNSt15iterator_traitsISG_E10value_typeET2_T3_PNSH_ISM_E10value_typeET4_T5_PSR_SS_PNS1_23onesweep_lookback_stateEbbT6_jjT7_P12ihipStream_tbENKUlT_T0_SG_SL_E_clISA_SA_SB_SB_EEDaSZ_S10_SG_SL_EUlSZ_E_NS1_11comp_targetILNS1_3genE6ELNS1_11target_archE950ELNS1_3gpuE13ELNS1_3repE0EEENS1_47radix_sort_onesweep_sort_config_static_selectorELNS0_4arch9wavefront6targetE0EEEvSG_.uses_vcc, 0
	.set _ZN7rocprim17ROCPRIM_400000_NS6detail17trampoline_kernelINS0_14default_configENS1_35radix_sort_onesweep_config_selectorIlNS0_10empty_typeEEEZZNS1_29radix_sort_onesweep_iterationIS3_Lb1EPKlPlPS5_SB_mNS0_19identity_decomposerENS1_16block_id_wrapperIjLb0EEEEE10hipError_tT1_PNSt15iterator_traitsISG_E10value_typeET2_T3_PNSH_ISM_E10value_typeET4_T5_PSR_SS_PNS1_23onesweep_lookback_stateEbbT6_jjT7_P12ihipStream_tbENKUlT_T0_SG_SL_E_clISA_SA_SB_SB_EEDaSZ_S10_SG_SL_EUlSZ_E_NS1_11comp_targetILNS1_3genE6ELNS1_11target_archE950ELNS1_3gpuE13ELNS1_3repE0EEENS1_47radix_sort_onesweep_sort_config_static_selectorELNS0_4arch9wavefront6targetE0EEEvSG_.uses_flat_scratch, 0
	.set _ZN7rocprim17ROCPRIM_400000_NS6detail17trampoline_kernelINS0_14default_configENS1_35radix_sort_onesweep_config_selectorIlNS0_10empty_typeEEEZZNS1_29radix_sort_onesweep_iterationIS3_Lb1EPKlPlPS5_SB_mNS0_19identity_decomposerENS1_16block_id_wrapperIjLb0EEEEE10hipError_tT1_PNSt15iterator_traitsISG_E10value_typeET2_T3_PNSH_ISM_E10value_typeET4_T5_PSR_SS_PNS1_23onesweep_lookback_stateEbbT6_jjT7_P12ihipStream_tbENKUlT_T0_SG_SL_E_clISA_SA_SB_SB_EEDaSZ_S10_SG_SL_EUlSZ_E_NS1_11comp_targetILNS1_3genE6ELNS1_11target_archE950ELNS1_3gpuE13ELNS1_3repE0EEENS1_47radix_sort_onesweep_sort_config_static_selectorELNS0_4arch9wavefront6targetE0EEEvSG_.has_dyn_sized_stack, 0
	.set _ZN7rocprim17ROCPRIM_400000_NS6detail17trampoline_kernelINS0_14default_configENS1_35radix_sort_onesweep_config_selectorIlNS0_10empty_typeEEEZZNS1_29radix_sort_onesweep_iterationIS3_Lb1EPKlPlPS5_SB_mNS0_19identity_decomposerENS1_16block_id_wrapperIjLb0EEEEE10hipError_tT1_PNSt15iterator_traitsISG_E10value_typeET2_T3_PNSH_ISM_E10value_typeET4_T5_PSR_SS_PNS1_23onesweep_lookback_stateEbbT6_jjT7_P12ihipStream_tbENKUlT_T0_SG_SL_E_clISA_SA_SB_SB_EEDaSZ_S10_SG_SL_EUlSZ_E_NS1_11comp_targetILNS1_3genE6ELNS1_11target_archE950ELNS1_3gpuE13ELNS1_3repE0EEENS1_47radix_sort_onesweep_sort_config_static_selectorELNS0_4arch9wavefront6targetE0EEEvSG_.has_recursion, 0
	.set _ZN7rocprim17ROCPRIM_400000_NS6detail17trampoline_kernelINS0_14default_configENS1_35radix_sort_onesweep_config_selectorIlNS0_10empty_typeEEEZZNS1_29radix_sort_onesweep_iterationIS3_Lb1EPKlPlPS5_SB_mNS0_19identity_decomposerENS1_16block_id_wrapperIjLb0EEEEE10hipError_tT1_PNSt15iterator_traitsISG_E10value_typeET2_T3_PNSH_ISM_E10value_typeET4_T5_PSR_SS_PNS1_23onesweep_lookback_stateEbbT6_jjT7_P12ihipStream_tbENKUlT_T0_SG_SL_E_clISA_SA_SB_SB_EEDaSZ_S10_SG_SL_EUlSZ_E_NS1_11comp_targetILNS1_3genE6ELNS1_11target_archE950ELNS1_3gpuE13ELNS1_3repE0EEENS1_47radix_sort_onesweep_sort_config_static_selectorELNS0_4arch9wavefront6targetE0EEEvSG_.has_indirect_call, 0
	.section	.AMDGPU.csdata,"",@progbits
; Kernel info:
; codeLenInByte = 0
; TotalNumSgprs: 0
; NumVgprs: 0
; ScratchSize: 0
; MemoryBound: 0
; FloatMode: 240
; IeeeMode: 1
; LDSByteSize: 0 bytes/workgroup (compile time only)
; SGPRBlocks: 0
; VGPRBlocks: 0
; NumSGPRsForWavesPerEU: 1
; NumVGPRsForWavesPerEU: 1
; NamedBarCnt: 0
; Occupancy: 16
; WaveLimiterHint : 0
; COMPUTE_PGM_RSRC2:SCRATCH_EN: 0
; COMPUTE_PGM_RSRC2:USER_SGPR: 2
; COMPUTE_PGM_RSRC2:TRAP_HANDLER: 0
; COMPUTE_PGM_RSRC2:TGID_X_EN: 1
; COMPUTE_PGM_RSRC2:TGID_Y_EN: 0
; COMPUTE_PGM_RSRC2:TGID_Z_EN: 0
; COMPUTE_PGM_RSRC2:TIDIG_COMP_CNT: 0
	.section	.text._ZN7rocprim17ROCPRIM_400000_NS6detail17trampoline_kernelINS0_14default_configENS1_35radix_sort_onesweep_config_selectorIlNS0_10empty_typeEEEZZNS1_29radix_sort_onesweep_iterationIS3_Lb1EPKlPlPS5_SB_mNS0_19identity_decomposerENS1_16block_id_wrapperIjLb0EEEEE10hipError_tT1_PNSt15iterator_traitsISG_E10value_typeET2_T3_PNSH_ISM_E10value_typeET4_T5_PSR_SS_PNS1_23onesweep_lookback_stateEbbT6_jjT7_P12ihipStream_tbENKUlT_T0_SG_SL_E_clISA_SA_SB_SB_EEDaSZ_S10_SG_SL_EUlSZ_E_NS1_11comp_targetILNS1_3genE5ELNS1_11target_archE942ELNS1_3gpuE9ELNS1_3repE0EEENS1_47radix_sort_onesweep_sort_config_static_selectorELNS0_4arch9wavefront6targetE0EEEvSG_,"axG",@progbits,_ZN7rocprim17ROCPRIM_400000_NS6detail17trampoline_kernelINS0_14default_configENS1_35radix_sort_onesweep_config_selectorIlNS0_10empty_typeEEEZZNS1_29radix_sort_onesweep_iterationIS3_Lb1EPKlPlPS5_SB_mNS0_19identity_decomposerENS1_16block_id_wrapperIjLb0EEEEE10hipError_tT1_PNSt15iterator_traitsISG_E10value_typeET2_T3_PNSH_ISM_E10value_typeET4_T5_PSR_SS_PNS1_23onesweep_lookback_stateEbbT6_jjT7_P12ihipStream_tbENKUlT_T0_SG_SL_E_clISA_SA_SB_SB_EEDaSZ_S10_SG_SL_EUlSZ_E_NS1_11comp_targetILNS1_3genE5ELNS1_11target_archE942ELNS1_3gpuE9ELNS1_3repE0EEENS1_47radix_sort_onesweep_sort_config_static_selectorELNS0_4arch9wavefront6targetE0EEEvSG_,comdat
	.protected	_ZN7rocprim17ROCPRIM_400000_NS6detail17trampoline_kernelINS0_14default_configENS1_35radix_sort_onesweep_config_selectorIlNS0_10empty_typeEEEZZNS1_29radix_sort_onesweep_iterationIS3_Lb1EPKlPlPS5_SB_mNS0_19identity_decomposerENS1_16block_id_wrapperIjLb0EEEEE10hipError_tT1_PNSt15iterator_traitsISG_E10value_typeET2_T3_PNSH_ISM_E10value_typeET4_T5_PSR_SS_PNS1_23onesweep_lookback_stateEbbT6_jjT7_P12ihipStream_tbENKUlT_T0_SG_SL_E_clISA_SA_SB_SB_EEDaSZ_S10_SG_SL_EUlSZ_E_NS1_11comp_targetILNS1_3genE5ELNS1_11target_archE942ELNS1_3gpuE9ELNS1_3repE0EEENS1_47radix_sort_onesweep_sort_config_static_selectorELNS0_4arch9wavefront6targetE0EEEvSG_ ; -- Begin function _ZN7rocprim17ROCPRIM_400000_NS6detail17trampoline_kernelINS0_14default_configENS1_35radix_sort_onesweep_config_selectorIlNS0_10empty_typeEEEZZNS1_29radix_sort_onesweep_iterationIS3_Lb1EPKlPlPS5_SB_mNS0_19identity_decomposerENS1_16block_id_wrapperIjLb0EEEEE10hipError_tT1_PNSt15iterator_traitsISG_E10value_typeET2_T3_PNSH_ISM_E10value_typeET4_T5_PSR_SS_PNS1_23onesweep_lookback_stateEbbT6_jjT7_P12ihipStream_tbENKUlT_T0_SG_SL_E_clISA_SA_SB_SB_EEDaSZ_S10_SG_SL_EUlSZ_E_NS1_11comp_targetILNS1_3genE5ELNS1_11target_archE942ELNS1_3gpuE9ELNS1_3repE0EEENS1_47radix_sort_onesweep_sort_config_static_selectorELNS0_4arch9wavefront6targetE0EEEvSG_
	.globl	_ZN7rocprim17ROCPRIM_400000_NS6detail17trampoline_kernelINS0_14default_configENS1_35radix_sort_onesweep_config_selectorIlNS0_10empty_typeEEEZZNS1_29radix_sort_onesweep_iterationIS3_Lb1EPKlPlPS5_SB_mNS0_19identity_decomposerENS1_16block_id_wrapperIjLb0EEEEE10hipError_tT1_PNSt15iterator_traitsISG_E10value_typeET2_T3_PNSH_ISM_E10value_typeET4_T5_PSR_SS_PNS1_23onesweep_lookback_stateEbbT6_jjT7_P12ihipStream_tbENKUlT_T0_SG_SL_E_clISA_SA_SB_SB_EEDaSZ_S10_SG_SL_EUlSZ_E_NS1_11comp_targetILNS1_3genE5ELNS1_11target_archE942ELNS1_3gpuE9ELNS1_3repE0EEENS1_47radix_sort_onesweep_sort_config_static_selectorELNS0_4arch9wavefront6targetE0EEEvSG_
	.p2align	8
	.type	_ZN7rocprim17ROCPRIM_400000_NS6detail17trampoline_kernelINS0_14default_configENS1_35radix_sort_onesweep_config_selectorIlNS0_10empty_typeEEEZZNS1_29radix_sort_onesweep_iterationIS3_Lb1EPKlPlPS5_SB_mNS0_19identity_decomposerENS1_16block_id_wrapperIjLb0EEEEE10hipError_tT1_PNSt15iterator_traitsISG_E10value_typeET2_T3_PNSH_ISM_E10value_typeET4_T5_PSR_SS_PNS1_23onesweep_lookback_stateEbbT6_jjT7_P12ihipStream_tbENKUlT_T0_SG_SL_E_clISA_SA_SB_SB_EEDaSZ_S10_SG_SL_EUlSZ_E_NS1_11comp_targetILNS1_3genE5ELNS1_11target_archE942ELNS1_3gpuE9ELNS1_3repE0EEENS1_47radix_sort_onesweep_sort_config_static_selectorELNS0_4arch9wavefront6targetE0EEEvSG_,@function
_ZN7rocprim17ROCPRIM_400000_NS6detail17trampoline_kernelINS0_14default_configENS1_35radix_sort_onesweep_config_selectorIlNS0_10empty_typeEEEZZNS1_29radix_sort_onesweep_iterationIS3_Lb1EPKlPlPS5_SB_mNS0_19identity_decomposerENS1_16block_id_wrapperIjLb0EEEEE10hipError_tT1_PNSt15iterator_traitsISG_E10value_typeET2_T3_PNSH_ISM_E10value_typeET4_T5_PSR_SS_PNS1_23onesweep_lookback_stateEbbT6_jjT7_P12ihipStream_tbENKUlT_T0_SG_SL_E_clISA_SA_SB_SB_EEDaSZ_S10_SG_SL_EUlSZ_E_NS1_11comp_targetILNS1_3genE5ELNS1_11target_archE942ELNS1_3gpuE9ELNS1_3repE0EEENS1_47radix_sort_onesweep_sort_config_static_selectorELNS0_4arch9wavefront6targetE0EEEvSG_: ; @_ZN7rocprim17ROCPRIM_400000_NS6detail17trampoline_kernelINS0_14default_configENS1_35radix_sort_onesweep_config_selectorIlNS0_10empty_typeEEEZZNS1_29radix_sort_onesweep_iterationIS3_Lb1EPKlPlPS5_SB_mNS0_19identity_decomposerENS1_16block_id_wrapperIjLb0EEEEE10hipError_tT1_PNSt15iterator_traitsISG_E10value_typeET2_T3_PNSH_ISM_E10value_typeET4_T5_PSR_SS_PNS1_23onesweep_lookback_stateEbbT6_jjT7_P12ihipStream_tbENKUlT_T0_SG_SL_E_clISA_SA_SB_SB_EEDaSZ_S10_SG_SL_EUlSZ_E_NS1_11comp_targetILNS1_3genE5ELNS1_11target_archE942ELNS1_3gpuE9ELNS1_3repE0EEENS1_47radix_sort_onesweep_sort_config_static_selectorELNS0_4arch9wavefront6targetE0EEEvSG_
; %bb.0:
	.section	.rodata,"a",@progbits
	.p2align	6, 0x0
	.amdhsa_kernel _ZN7rocprim17ROCPRIM_400000_NS6detail17trampoline_kernelINS0_14default_configENS1_35radix_sort_onesweep_config_selectorIlNS0_10empty_typeEEEZZNS1_29radix_sort_onesweep_iterationIS3_Lb1EPKlPlPS5_SB_mNS0_19identity_decomposerENS1_16block_id_wrapperIjLb0EEEEE10hipError_tT1_PNSt15iterator_traitsISG_E10value_typeET2_T3_PNSH_ISM_E10value_typeET4_T5_PSR_SS_PNS1_23onesweep_lookback_stateEbbT6_jjT7_P12ihipStream_tbENKUlT_T0_SG_SL_E_clISA_SA_SB_SB_EEDaSZ_S10_SG_SL_EUlSZ_E_NS1_11comp_targetILNS1_3genE5ELNS1_11target_archE942ELNS1_3gpuE9ELNS1_3repE0EEENS1_47radix_sort_onesweep_sort_config_static_selectorELNS0_4arch9wavefront6targetE0EEEvSG_
		.amdhsa_group_segment_fixed_size 0
		.amdhsa_private_segment_fixed_size 0
		.amdhsa_kernarg_size 88
		.amdhsa_user_sgpr_count 2
		.amdhsa_user_sgpr_dispatch_ptr 0
		.amdhsa_user_sgpr_queue_ptr 0
		.amdhsa_user_sgpr_kernarg_segment_ptr 1
		.amdhsa_user_sgpr_dispatch_id 0
		.amdhsa_user_sgpr_kernarg_preload_length 0
		.amdhsa_user_sgpr_kernarg_preload_offset 0
		.amdhsa_user_sgpr_private_segment_size 0
		.amdhsa_wavefront_size32 1
		.amdhsa_uses_dynamic_stack 0
		.amdhsa_enable_private_segment 0
		.amdhsa_system_sgpr_workgroup_id_x 1
		.amdhsa_system_sgpr_workgroup_id_y 0
		.amdhsa_system_sgpr_workgroup_id_z 0
		.amdhsa_system_sgpr_workgroup_info 0
		.amdhsa_system_vgpr_workitem_id 0
		.amdhsa_next_free_vgpr 1
		.amdhsa_next_free_sgpr 1
		.amdhsa_named_barrier_count 0
		.amdhsa_reserve_vcc 0
		.amdhsa_float_round_mode_32 0
		.amdhsa_float_round_mode_16_64 0
		.amdhsa_float_denorm_mode_32 3
		.amdhsa_float_denorm_mode_16_64 3
		.amdhsa_fp16_overflow 0
		.amdhsa_memory_ordered 1
		.amdhsa_forward_progress 1
		.amdhsa_inst_pref_size 0
		.amdhsa_round_robin_scheduling 0
		.amdhsa_exception_fp_ieee_invalid_op 0
		.amdhsa_exception_fp_denorm_src 0
		.amdhsa_exception_fp_ieee_div_zero 0
		.amdhsa_exception_fp_ieee_overflow 0
		.amdhsa_exception_fp_ieee_underflow 0
		.amdhsa_exception_fp_ieee_inexact 0
		.amdhsa_exception_int_div_zero 0
	.end_amdhsa_kernel
	.section	.text._ZN7rocprim17ROCPRIM_400000_NS6detail17trampoline_kernelINS0_14default_configENS1_35radix_sort_onesweep_config_selectorIlNS0_10empty_typeEEEZZNS1_29radix_sort_onesweep_iterationIS3_Lb1EPKlPlPS5_SB_mNS0_19identity_decomposerENS1_16block_id_wrapperIjLb0EEEEE10hipError_tT1_PNSt15iterator_traitsISG_E10value_typeET2_T3_PNSH_ISM_E10value_typeET4_T5_PSR_SS_PNS1_23onesweep_lookback_stateEbbT6_jjT7_P12ihipStream_tbENKUlT_T0_SG_SL_E_clISA_SA_SB_SB_EEDaSZ_S10_SG_SL_EUlSZ_E_NS1_11comp_targetILNS1_3genE5ELNS1_11target_archE942ELNS1_3gpuE9ELNS1_3repE0EEENS1_47radix_sort_onesweep_sort_config_static_selectorELNS0_4arch9wavefront6targetE0EEEvSG_,"axG",@progbits,_ZN7rocprim17ROCPRIM_400000_NS6detail17trampoline_kernelINS0_14default_configENS1_35radix_sort_onesweep_config_selectorIlNS0_10empty_typeEEEZZNS1_29radix_sort_onesweep_iterationIS3_Lb1EPKlPlPS5_SB_mNS0_19identity_decomposerENS1_16block_id_wrapperIjLb0EEEEE10hipError_tT1_PNSt15iterator_traitsISG_E10value_typeET2_T3_PNSH_ISM_E10value_typeET4_T5_PSR_SS_PNS1_23onesweep_lookback_stateEbbT6_jjT7_P12ihipStream_tbENKUlT_T0_SG_SL_E_clISA_SA_SB_SB_EEDaSZ_S10_SG_SL_EUlSZ_E_NS1_11comp_targetILNS1_3genE5ELNS1_11target_archE942ELNS1_3gpuE9ELNS1_3repE0EEENS1_47radix_sort_onesweep_sort_config_static_selectorELNS0_4arch9wavefront6targetE0EEEvSG_,comdat
.Lfunc_end1125:
	.size	_ZN7rocprim17ROCPRIM_400000_NS6detail17trampoline_kernelINS0_14default_configENS1_35radix_sort_onesweep_config_selectorIlNS0_10empty_typeEEEZZNS1_29radix_sort_onesweep_iterationIS3_Lb1EPKlPlPS5_SB_mNS0_19identity_decomposerENS1_16block_id_wrapperIjLb0EEEEE10hipError_tT1_PNSt15iterator_traitsISG_E10value_typeET2_T3_PNSH_ISM_E10value_typeET4_T5_PSR_SS_PNS1_23onesweep_lookback_stateEbbT6_jjT7_P12ihipStream_tbENKUlT_T0_SG_SL_E_clISA_SA_SB_SB_EEDaSZ_S10_SG_SL_EUlSZ_E_NS1_11comp_targetILNS1_3genE5ELNS1_11target_archE942ELNS1_3gpuE9ELNS1_3repE0EEENS1_47radix_sort_onesweep_sort_config_static_selectorELNS0_4arch9wavefront6targetE0EEEvSG_, .Lfunc_end1125-_ZN7rocprim17ROCPRIM_400000_NS6detail17trampoline_kernelINS0_14default_configENS1_35radix_sort_onesweep_config_selectorIlNS0_10empty_typeEEEZZNS1_29radix_sort_onesweep_iterationIS3_Lb1EPKlPlPS5_SB_mNS0_19identity_decomposerENS1_16block_id_wrapperIjLb0EEEEE10hipError_tT1_PNSt15iterator_traitsISG_E10value_typeET2_T3_PNSH_ISM_E10value_typeET4_T5_PSR_SS_PNS1_23onesweep_lookback_stateEbbT6_jjT7_P12ihipStream_tbENKUlT_T0_SG_SL_E_clISA_SA_SB_SB_EEDaSZ_S10_SG_SL_EUlSZ_E_NS1_11comp_targetILNS1_3genE5ELNS1_11target_archE942ELNS1_3gpuE9ELNS1_3repE0EEENS1_47radix_sort_onesweep_sort_config_static_selectorELNS0_4arch9wavefront6targetE0EEEvSG_
                                        ; -- End function
	.set _ZN7rocprim17ROCPRIM_400000_NS6detail17trampoline_kernelINS0_14default_configENS1_35radix_sort_onesweep_config_selectorIlNS0_10empty_typeEEEZZNS1_29radix_sort_onesweep_iterationIS3_Lb1EPKlPlPS5_SB_mNS0_19identity_decomposerENS1_16block_id_wrapperIjLb0EEEEE10hipError_tT1_PNSt15iterator_traitsISG_E10value_typeET2_T3_PNSH_ISM_E10value_typeET4_T5_PSR_SS_PNS1_23onesweep_lookback_stateEbbT6_jjT7_P12ihipStream_tbENKUlT_T0_SG_SL_E_clISA_SA_SB_SB_EEDaSZ_S10_SG_SL_EUlSZ_E_NS1_11comp_targetILNS1_3genE5ELNS1_11target_archE942ELNS1_3gpuE9ELNS1_3repE0EEENS1_47radix_sort_onesweep_sort_config_static_selectorELNS0_4arch9wavefront6targetE0EEEvSG_.num_vgpr, 0
	.set _ZN7rocprim17ROCPRIM_400000_NS6detail17trampoline_kernelINS0_14default_configENS1_35radix_sort_onesweep_config_selectorIlNS0_10empty_typeEEEZZNS1_29radix_sort_onesweep_iterationIS3_Lb1EPKlPlPS5_SB_mNS0_19identity_decomposerENS1_16block_id_wrapperIjLb0EEEEE10hipError_tT1_PNSt15iterator_traitsISG_E10value_typeET2_T3_PNSH_ISM_E10value_typeET4_T5_PSR_SS_PNS1_23onesweep_lookback_stateEbbT6_jjT7_P12ihipStream_tbENKUlT_T0_SG_SL_E_clISA_SA_SB_SB_EEDaSZ_S10_SG_SL_EUlSZ_E_NS1_11comp_targetILNS1_3genE5ELNS1_11target_archE942ELNS1_3gpuE9ELNS1_3repE0EEENS1_47radix_sort_onesweep_sort_config_static_selectorELNS0_4arch9wavefront6targetE0EEEvSG_.num_agpr, 0
	.set _ZN7rocprim17ROCPRIM_400000_NS6detail17trampoline_kernelINS0_14default_configENS1_35radix_sort_onesweep_config_selectorIlNS0_10empty_typeEEEZZNS1_29radix_sort_onesweep_iterationIS3_Lb1EPKlPlPS5_SB_mNS0_19identity_decomposerENS1_16block_id_wrapperIjLb0EEEEE10hipError_tT1_PNSt15iterator_traitsISG_E10value_typeET2_T3_PNSH_ISM_E10value_typeET4_T5_PSR_SS_PNS1_23onesweep_lookback_stateEbbT6_jjT7_P12ihipStream_tbENKUlT_T0_SG_SL_E_clISA_SA_SB_SB_EEDaSZ_S10_SG_SL_EUlSZ_E_NS1_11comp_targetILNS1_3genE5ELNS1_11target_archE942ELNS1_3gpuE9ELNS1_3repE0EEENS1_47radix_sort_onesweep_sort_config_static_selectorELNS0_4arch9wavefront6targetE0EEEvSG_.numbered_sgpr, 0
	.set _ZN7rocprim17ROCPRIM_400000_NS6detail17trampoline_kernelINS0_14default_configENS1_35radix_sort_onesweep_config_selectorIlNS0_10empty_typeEEEZZNS1_29radix_sort_onesweep_iterationIS3_Lb1EPKlPlPS5_SB_mNS0_19identity_decomposerENS1_16block_id_wrapperIjLb0EEEEE10hipError_tT1_PNSt15iterator_traitsISG_E10value_typeET2_T3_PNSH_ISM_E10value_typeET4_T5_PSR_SS_PNS1_23onesweep_lookback_stateEbbT6_jjT7_P12ihipStream_tbENKUlT_T0_SG_SL_E_clISA_SA_SB_SB_EEDaSZ_S10_SG_SL_EUlSZ_E_NS1_11comp_targetILNS1_3genE5ELNS1_11target_archE942ELNS1_3gpuE9ELNS1_3repE0EEENS1_47radix_sort_onesweep_sort_config_static_selectorELNS0_4arch9wavefront6targetE0EEEvSG_.num_named_barrier, 0
	.set _ZN7rocprim17ROCPRIM_400000_NS6detail17trampoline_kernelINS0_14default_configENS1_35radix_sort_onesweep_config_selectorIlNS0_10empty_typeEEEZZNS1_29radix_sort_onesweep_iterationIS3_Lb1EPKlPlPS5_SB_mNS0_19identity_decomposerENS1_16block_id_wrapperIjLb0EEEEE10hipError_tT1_PNSt15iterator_traitsISG_E10value_typeET2_T3_PNSH_ISM_E10value_typeET4_T5_PSR_SS_PNS1_23onesweep_lookback_stateEbbT6_jjT7_P12ihipStream_tbENKUlT_T0_SG_SL_E_clISA_SA_SB_SB_EEDaSZ_S10_SG_SL_EUlSZ_E_NS1_11comp_targetILNS1_3genE5ELNS1_11target_archE942ELNS1_3gpuE9ELNS1_3repE0EEENS1_47radix_sort_onesweep_sort_config_static_selectorELNS0_4arch9wavefront6targetE0EEEvSG_.private_seg_size, 0
	.set _ZN7rocprim17ROCPRIM_400000_NS6detail17trampoline_kernelINS0_14default_configENS1_35radix_sort_onesweep_config_selectorIlNS0_10empty_typeEEEZZNS1_29radix_sort_onesweep_iterationIS3_Lb1EPKlPlPS5_SB_mNS0_19identity_decomposerENS1_16block_id_wrapperIjLb0EEEEE10hipError_tT1_PNSt15iterator_traitsISG_E10value_typeET2_T3_PNSH_ISM_E10value_typeET4_T5_PSR_SS_PNS1_23onesweep_lookback_stateEbbT6_jjT7_P12ihipStream_tbENKUlT_T0_SG_SL_E_clISA_SA_SB_SB_EEDaSZ_S10_SG_SL_EUlSZ_E_NS1_11comp_targetILNS1_3genE5ELNS1_11target_archE942ELNS1_3gpuE9ELNS1_3repE0EEENS1_47radix_sort_onesweep_sort_config_static_selectorELNS0_4arch9wavefront6targetE0EEEvSG_.uses_vcc, 0
	.set _ZN7rocprim17ROCPRIM_400000_NS6detail17trampoline_kernelINS0_14default_configENS1_35radix_sort_onesweep_config_selectorIlNS0_10empty_typeEEEZZNS1_29radix_sort_onesweep_iterationIS3_Lb1EPKlPlPS5_SB_mNS0_19identity_decomposerENS1_16block_id_wrapperIjLb0EEEEE10hipError_tT1_PNSt15iterator_traitsISG_E10value_typeET2_T3_PNSH_ISM_E10value_typeET4_T5_PSR_SS_PNS1_23onesweep_lookback_stateEbbT6_jjT7_P12ihipStream_tbENKUlT_T0_SG_SL_E_clISA_SA_SB_SB_EEDaSZ_S10_SG_SL_EUlSZ_E_NS1_11comp_targetILNS1_3genE5ELNS1_11target_archE942ELNS1_3gpuE9ELNS1_3repE0EEENS1_47radix_sort_onesweep_sort_config_static_selectorELNS0_4arch9wavefront6targetE0EEEvSG_.uses_flat_scratch, 0
	.set _ZN7rocprim17ROCPRIM_400000_NS6detail17trampoline_kernelINS0_14default_configENS1_35radix_sort_onesweep_config_selectorIlNS0_10empty_typeEEEZZNS1_29radix_sort_onesweep_iterationIS3_Lb1EPKlPlPS5_SB_mNS0_19identity_decomposerENS1_16block_id_wrapperIjLb0EEEEE10hipError_tT1_PNSt15iterator_traitsISG_E10value_typeET2_T3_PNSH_ISM_E10value_typeET4_T5_PSR_SS_PNS1_23onesweep_lookback_stateEbbT6_jjT7_P12ihipStream_tbENKUlT_T0_SG_SL_E_clISA_SA_SB_SB_EEDaSZ_S10_SG_SL_EUlSZ_E_NS1_11comp_targetILNS1_3genE5ELNS1_11target_archE942ELNS1_3gpuE9ELNS1_3repE0EEENS1_47radix_sort_onesweep_sort_config_static_selectorELNS0_4arch9wavefront6targetE0EEEvSG_.has_dyn_sized_stack, 0
	.set _ZN7rocprim17ROCPRIM_400000_NS6detail17trampoline_kernelINS0_14default_configENS1_35radix_sort_onesweep_config_selectorIlNS0_10empty_typeEEEZZNS1_29radix_sort_onesweep_iterationIS3_Lb1EPKlPlPS5_SB_mNS0_19identity_decomposerENS1_16block_id_wrapperIjLb0EEEEE10hipError_tT1_PNSt15iterator_traitsISG_E10value_typeET2_T3_PNSH_ISM_E10value_typeET4_T5_PSR_SS_PNS1_23onesweep_lookback_stateEbbT6_jjT7_P12ihipStream_tbENKUlT_T0_SG_SL_E_clISA_SA_SB_SB_EEDaSZ_S10_SG_SL_EUlSZ_E_NS1_11comp_targetILNS1_3genE5ELNS1_11target_archE942ELNS1_3gpuE9ELNS1_3repE0EEENS1_47radix_sort_onesweep_sort_config_static_selectorELNS0_4arch9wavefront6targetE0EEEvSG_.has_recursion, 0
	.set _ZN7rocprim17ROCPRIM_400000_NS6detail17trampoline_kernelINS0_14default_configENS1_35radix_sort_onesweep_config_selectorIlNS0_10empty_typeEEEZZNS1_29radix_sort_onesweep_iterationIS3_Lb1EPKlPlPS5_SB_mNS0_19identity_decomposerENS1_16block_id_wrapperIjLb0EEEEE10hipError_tT1_PNSt15iterator_traitsISG_E10value_typeET2_T3_PNSH_ISM_E10value_typeET4_T5_PSR_SS_PNS1_23onesweep_lookback_stateEbbT6_jjT7_P12ihipStream_tbENKUlT_T0_SG_SL_E_clISA_SA_SB_SB_EEDaSZ_S10_SG_SL_EUlSZ_E_NS1_11comp_targetILNS1_3genE5ELNS1_11target_archE942ELNS1_3gpuE9ELNS1_3repE0EEENS1_47radix_sort_onesweep_sort_config_static_selectorELNS0_4arch9wavefront6targetE0EEEvSG_.has_indirect_call, 0
	.section	.AMDGPU.csdata,"",@progbits
; Kernel info:
; codeLenInByte = 0
; TotalNumSgprs: 0
; NumVgprs: 0
; ScratchSize: 0
; MemoryBound: 0
; FloatMode: 240
; IeeeMode: 1
; LDSByteSize: 0 bytes/workgroup (compile time only)
; SGPRBlocks: 0
; VGPRBlocks: 0
; NumSGPRsForWavesPerEU: 1
; NumVGPRsForWavesPerEU: 1
; NamedBarCnt: 0
; Occupancy: 16
; WaveLimiterHint : 0
; COMPUTE_PGM_RSRC2:SCRATCH_EN: 0
; COMPUTE_PGM_RSRC2:USER_SGPR: 2
; COMPUTE_PGM_RSRC2:TRAP_HANDLER: 0
; COMPUTE_PGM_RSRC2:TGID_X_EN: 1
; COMPUTE_PGM_RSRC2:TGID_Y_EN: 0
; COMPUTE_PGM_RSRC2:TGID_Z_EN: 0
; COMPUTE_PGM_RSRC2:TIDIG_COMP_CNT: 0
	.section	.text._ZN7rocprim17ROCPRIM_400000_NS6detail17trampoline_kernelINS0_14default_configENS1_35radix_sort_onesweep_config_selectorIlNS0_10empty_typeEEEZZNS1_29radix_sort_onesweep_iterationIS3_Lb1EPKlPlPS5_SB_mNS0_19identity_decomposerENS1_16block_id_wrapperIjLb0EEEEE10hipError_tT1_PNSt15iterator_traitsISG_E10value_typeET2_T3_PNSH_ISM_E10value_typeET4_T5_PSR_SS_PNS1_23onesweep_lookback_stateEbbT6_jjT7_P12ihipStream_tbENKUlT_T0_SG_SL_E_clISA_SA_SB_SB_EEDaSZ_S10_SG_SL_EUlSZ_E_NS1_11comp_targetILNS1_3genE2ELNS1_11target_archE906ELNS1_3gpuE6ELNS1_3repE0EEENS1_47radix_sort_onesweep_sort_config_static_selectorELNS0_4arch9wavefront6targetE0EEEvSG_,"axG",@progbits,_ZN7rocprim17ROCPRIM_400000_NS6detail17trampoline_kernelINS0_14default_configENS1_35radix_sort_onesweep_config_selectorIlNS0_10empty_typeEEEZZNS1_29radix_sort_onesweep_iterationIS3_Lb1EPKlPlPS5_SB_mNS0_19identity_decomposerENS1_16block_id_wrapperIjLb0EEEEE10hipError_tT1_PNSt15iterator_traitsISG_E10value_typeET2_T3_PNSH_ISM_E10value_typeET4_T5_PSR_SS_PNS1_23onesweep_lookback_stateEbbT6_jjT7_P12ihipStream_tbENKUlT_T0_SG_SL_E_clISA_SA_SB_SB_EEDaSZ_S10_SG_SL_EUlSZ_E_NS1_11comp_targetILNS1_3genE2ELNS1_11target_archE906ELNS1_3gpuE6ELNS1_3repE0EEENS1_47radix_sort_onesweep_sort_config_static_selectorELNS0_4arch9wavefront6targetE0EEEvSG_,comdat
	.protected	_ZN7rocprim17ROCPRIM_400000_NS6detail17trampoline_kernelINS0_14default_configENS1_35radix_sort_onesweep_config_selectorIlNS0_10empty_typeEEEZZNS1_29radix_sort_onesweep_iterationIS3_Lb1EPKlPlPS5_SB_mNS0_19identity_decomposerENS1_16block_id_wrapperIjLb0EEEEE10hipError_tT1_PNSt15iterator_traitsISG_E10value_typeET2_T3_PNSH_ISM_E10value_typeET4_T5_PSR_SS_PNS1_23onesweep_lookback_stateEbbT6_jjT7_P12ihipStream_tbENKUlT_T0_SG_SL_E_clISA_SA_SB_SB_EEDaSZ_S10_SG_SL_EUlSZ_E_NS1_11comp_targetILNS1_3genE2ELNS1_11target_archE906ELNS1_3gpuE6ELNS1_3repE0EEENS1_47radix_sort_onesweep_sort_config_static_selectorELNS0_4arch9wavefront6targetE0EEEvSG_ ; -- Begin function _ZN7rocprim17ROCPRIM_400000_NS6detail17trampoline_kernelINS0_14default_configENS1_35radix_sort_onesweep_config_selectorIlNS0_10empty_typeEEEZZNS1_29radix_sort_onesweep_iterationIS3_Lb1EPKlPlPS5_SB_mNS0_19identity_decomposerENS1_16block_id_wrapperIjLb0EEEEE10hipError_tT1_PNSt15iterator_traitsISG_E10value_typeET2_T3_PNSH_ISM_E10value_typeET4_T5_PSR_SS_PNS1_23onesweep_lookback_stateEbbT6_jjT7_P12ihipStream_tbENKUlT_T0_SG_SL_E_clISA_SA_SB_SB_EEDaSZ_S10_SG_SL_EUlSZ_E_NS1_11comp_targetILNS1_3genE2ELNS1_11target_archE906ELNS1_3gpuE6ELNS1_3repE0EEENS1_47radix_sort_onesweep_sort_config_static_selectorELNS0_4arch9wavefront6targetE0EEEvSG_
	.globl	_ZN7rocprim17ROCPRIM_400000_NS6detail17trampoline_kernelINS0_14default_configENS1_35radix_sort_onesweep_config_selectorIlNS0_10empty_typeEEEZZNS1_29radix_sort_onesweep_iterationIS3_Lb1EPKlPlPS5_SB_mNS0_19identity_decomposerENS1_16block_id_wrapperIjLb0EEEEE10hipError_tT1_PNSt15iterator_traitsISG_E10value_typeET2_T3_PNSH_ISM_E10value_typeET4_T5_PSR_SS_PNS1_23onesweep_lookback_stateEbbT6_jjT7_P12ihipStream_tbENKUlT_T0_SG_SL_E_clISA_SA_SB_SB_EEDaSZ_S10_SG_SL_EUlSZ_E_NS1_11comp_targetILNS1_3genE2ELNS1_11target_archE906ELNS1_3gpuE6ELNS1_3repE0EEENS1_47radix_sort_onesweep_sort_config_static_selectorELNS0_4arch9wavefront6targetE0EEEvSG_
	.p2align	8
	.type	_ZN7rocprim17ROCPRIM_400000_NS6detail17trampoline_kernelINS0_14default_configENS1_35radix_sort_onesweep_config_selectorIlNS0_10empty_typeEEEZZNS1_29radix_sort_onesweep_iterationIS3_Lb1EPKlPlPS5_SB_mNS0_19identity_decomposerENS1_16block_id_wrapperIjLb0EEEEE10hipError_tT1_PNSt15iterator_traitsISG_E10value_typeET2_T3_PNSH_ISM_E10value_typeET4_T5_PSR_SS_PNS1_23onesweep_lookback_stateEbbT6_jjT7_P12ihipStream_tbENKUlT_T0_SG_SL_E_clISA_SA_SB_SB_EEDaSZ_S10_SG_SL_EUlSZ_E_NS1_11comp_targetILNS1_3genE2ELNS1_11target_archE906ELNS1_3gpuE6ELNS1_3repE0EEENS1_47radix_sort_onesweep_sort_config_static_selectorELNS0_4arch9wavefront6targetE0EEEvSG_,@function
_ZN7rocprim17ROCPRIM_400000_NS6detail17trampoline_kernelINS0_14default_configENS1_35radix_sort_onesweep_config_selectorIlNS0_10empty_typeEEEZZNS1_29radix_sort_onesweep_iterationIS3_Lb1EPKlPlPS5_SB_mNS0_19identity_decomposerENS1_16block_id_wrapperIjLb0EEEEE10hipError_tT1_PNSt15iterator_traitsISG_E10value_typeET2_T3_PNSH_ISM_E10value_typeET4_T5_PSR_SS_PNS1_23onesweep_lookback_stateEbbT6_jjT7_P12ihipStream_tbENKUlT_T0_SG_SL_E_clISA_SA_SB_SB_EEDaSZ_S10_SG_SL_EUlSZ_E_NS1_11comp_targetILNS1_3genE2ELNS1_11target_archE906ELNS1_3gpuE6ELNS1_3repE0EEENS1_47radix_sort_onesweep_sort_config_static_selectorELNS0_4arch9wavefront6targetE0EEEvSG_: ; @_ZN7rocprim17ROCPRIM_400000_NS6detail17trampoline_kernelINS0_14default_configENS1_35radix_sort_onesweep_config_selectorIlNS0_10empty_typeEEEZZNS1_29radix_sort_onesweep_iterationIS3_Lb1EPKlPlPS5_SB_mNS0_19identity_decomposerENS1_16block_id_wrapperIjLb0EEEEE10hipError_tT1_PNSt15iterator_traitsISG_E10value_typeET2_T3_PNSH_ISM_E10value_typeET4_T5_PSR_SS_PNS1_23onesweep_lookback_stateEbbT6_jjT7_P12ihipStream_tbENKUlT_T0_SG_SL_E_clISA_SA_SB_SB_EEDaSZ_S10_SG_SL_EUlSZ_E_NS1_11comp_targetILNS1_3genE2ELNS1_11target_archE906ELNS1_3gpuE6ELNS1_3repE0EEENS1_47radix_sort_onesweep_sort_config_static_selectorELNS0_4arch9wavefront6targetE0EEEvSG_
; %bb.0:
	.section	.rodata,"a",@progbits
	.p2align	6, 0x0
	.amdhsa_kernel _ZN7rocprim17ROCPRIM_400000_NS6detail17trampoline_kernelINS0_14default_configENS1_35radix_sort_onesweep_config_selectorIlNS0_10empty_typeEEEZZNS1_29radix_sort_onesweep_iterationIS3_Lb1EPKlPlPS5_SB_mNS0_19identity_decomposerENS1_16block_id_wrapperIjLb0EEEEE10hipError_tT1_PNSt15iterator_traitsISG_E10value_typeET2_T3_PNSH_ISM_E10value_typeET4_T5_PSR_SS_PNS1_23onesweep_lookback_stateEbbT6_jjT7_P12ihipStream_tbENKUlT_T0_SG_SL_E_clISA_SA_SB_SB_EEDaSZ_S10_SG_SL_EUlSZ_E_NS1_11comp_targetILNS1_3genE2ELNS1_11target_archE906ELNS1_3gpuE6ELNS1_3repE0EEENS1_47radix_sort_onesweep_sort_config_static_selectorELNS0_4arch9wavefront6targetE0EEEvSG_
		.amdhsa_group_segment_fixed_size 0
		.amdhsa_private_segment_fixed_size 0
		.amdhsa_kernarg_size 88
		.amdhsa_user_sgpr_count 2
		.amdhsa_user_sgpr_dispatch_ptr 0
		.amdhsa_user_sgpr_queue_ptr 0
		.amdhsa_user_sgpr_kernarg_segment_ptr 1
		.amdhsa_user_sgpr_dispatch_id 0
		.amdhsa_user_sgpr_kernarg_preload_length 0
		.amdhsa_user_sgpr_kernarg_preload_offset 0
		.amdhsa_user_sgpr_private_segment_size 0
		.amdhsa_wavefront_size32 1
		.amdhsa_uses_dynamic_stack 0
		.amdhsa_enable_private_segment 0
		.amdhsa_system_sgpr_workgroup_id_x 1
		.amdhsa_system_sgpr_workgroup_id_y 0
		.amdhsa_system_sgpr_workgroup_id_z 0
		.amdhsa_system_sgpr_workgroup_info 0
		.amdhsa_system_vgpr_workitem_id 0
		.amdhsa_next_free_vgpr 1
		.amdhsa_next_free_sgpr 1
		.amdhsa_named_barrier_count 0
		.amdhsa_reserve_vcc 0
		.amdhsa_float_round_mode_32 0
		.amdhsa_float_round_mode_16_64 0
		.amdhsa_float_denorm_mode_32 3
		.amdhsa_float_denorm_mode_16_64 3
		.amdhsa_fp16_overflow 0
		.amdhsa_memory_ordered 1
		.amdhsa_forward_progress 1
		.amdhsa_inst_pref_size 0
		.amdhsa_round_robin_scheduling 0
		.amdhsa_exception_fp_ieee_invalid_op 0
		.amdhsa_exception_fp_denorm_src 0
		.amdhsa_exception_fp_ieee_div_zero 0
		.amdhsa_exception_fp_ieee_overflow 0
		.amdhsa_exception_fp_ieee_underflow 0
		.amdhsa_exception_fp_ieee_inexact 0
		.amdhsa_exception_int_div_zero 0
	.end_amdhsa_kernel
	.section	.text._ZN7rocprim17ROCPRIM_400000_NS6detail17trampoline_kernelINS0_14default_configENS1_35radix_sort_onesweep_config_selectorIlNS0_10empty_typeEEEZZNS1_29radix_sort_onesweep_iterationIS3_Lb1EPKlPlPS5_SB_mNS0_19identity_decomposerENS1_16block_id_wrapperIjLb0EEEEE10hipError_tT1_PNSt15iterator_traitsISG_E10value_typeET2_T3_PNSH_ISM_E10value_typeET4_T5_PSR_SS_PNS1_23onesweep_lookback_stateEbbT6_jjT7_P12ihipStream_tbENKUlT_T0_SG_SL_E_clISA_SA_SB_SB_EEDaSZ_S10_SG_SL_EUlSZ_E_NS1_11comp_targetILNS1_3genE2ELNS1_11target_archE906ELNS1_3gpuE6ELNS1_3repE0EEENS1_47radix_sort_onesweep_sort_config_static_selectorELNS0_4arch9wavefront6targetE0EEEvSG_,"axG",@progbits,_ZN7rocprim17ROCPRIM_400000_NS6detail17trampoline_kernelINS0_14default_configENS1_35radix_sort_onesweep_config_selectorIlNS0_10empty_typeEEEZZNS1_29radix_sort_onesweep_iterationIS3_Lb1EPKlPlPS5_SB_mNS0_19identity_decomposerENS1_16block_id_wrapperIjLb0EEEEE10hipError_tT1_PNSt15iterator_traitsISG_E10value_typeET2_T3_PNSH_ISM_E10value_typeET4_T5_PSR_SS_PNS1_23onesweep_lookback_stateEbbT6_jjT7_P12ihipStream_tbENKUlT_T0_SG_SL_E_clISA_SA_SB_SB_EEDaSZ_S10_SG_SL_EUlSZ_E_NS1_11comp_targetILNS1_3genE2ELNS1_11target_archE906ELNS1_3gpuE6ELNS1_3repE0EEENS1_47radix_sort_onesweep_sort_config_static_selectorELNS0_4arch9wavefront6targetE0EEEvSG_,comdat
.Lfunc_end1126:
	.size	_ZN7rocprim17ROCPRIM_400000_NS6detail17trampoline_kernelINS0_14default_configENS1_35radix_sort_onesweep_config_selectorIlNS0_10empty_typeEEEZZNS1_29radix_sort_onesweep_iterationIS3_Lb1EPKlPlPS5_SB_mNS0_19identity_decomposerENS1_16block_id_wrapperIjLb0EEEEE10hipError_tT1_PNSt15iterator_traitsISG_E10value_typeET2_T3_PNSH_ISM_E10value_typeET4_T5_PSR_SS_PNS1_23onesweep_lookback_stateEbbT6_jjT7_P12ihipStream_tbENKUlT_T0_SG_SL_E_clISA_SA_SB_SB_EEDaSZ_S10_SG_SL_EUlSZ_E_NS1_11comp_targetILNS1_3genE2ELNS1_11target_archE906ELNS1_3gpuE6ELNS1_3repE0EEENS1_47radix_sort_onesweep_sort_config_static_selectorELNS0_4arch9wavefront6targetE0EEEvSG_, .Lfunc_end1126-_ZN7rocprim17ROCPRIM_400000_NS6detail17trampoline_kernelINS0_14default_configENS1_35radix_sort_onesweep_config_selectorIlNS0_10empty_typeEEEZZNS1_29radix_sort_onesweep_iterationIS3_Lb1EPKlPlPS5_SB_mNS0_19identity_decomposerENS1_16block_id_wrapperIjLb0EEEEE10hipError_tT1_PNSt15iterator_traitsISG_E10value_typeET2_T3_PNSH_ISM_E10value_typeET4_T5_PSR_SS_PNS1_23onesweep_lookback_stateEbbT6_jjT7_P12ihipStream_tbENKUlT_T0_SG_SL_E_clISA_SA_SB_SB_EEDaSZ_S10_SG_SL_EUlSZ_E_NS1_11comp_targetILNS1_3genE2ELNS1_11target_archE906ELNS1_3gpuE6ELNS1_3repE0EEENS1_47radix_sort_onesweep_sort_config_static_selectorELNS0_4arch9wavefront6targetE0EEEvSG_
                                        ; -- End function
	.set _ZN7rocprim17ROCPRIM_400000_NS6detail17trampoline_kernelINS0_14default_configENS1_35radix_sort_onesweep_config_selectorIlNS0_10empty_typeEEEZZNS1_29radix_sort_onesweep_iterationIS3_Lb1EPKlPlPS5_SB_mNS0_19identity_decomposerENS1_16block_id_wrapperIjLb0EEEEE10hipError_tT1_PNSt15iterator_traitsISG_E10value_typeET2_T3_PNSH_ISM_E10value_typeET4_T5_PSR_SS_PNS1_23onesweep_lookback_stateEbbT6_jjT7_P12ihipStream_tbENKUlT_T0_SG_SL_E_clISA_SA_SB_SB_EEDaSZ_S10_SG_SL_EUlSZ_E_NS1_11comp_targetILNS1_3genE2ELNS1_11target_archE906ELNS1_3gpuE6ELNS1_3repE0EEENS1_47radix_sort_onesweep_sort_config_static_selectorELNS0_4arch9wavefront6targetE0EEEvSG_.num_vgpr, 0
	.set _ZN7rocprim17ROCPRIM_400000_NS6detail17trampoline_kernelINS0_14default_configENS1_35radix_sort_onesweep_config_selectorIlNS0_10empty_typeEEEZZNS1_29radix_sort_onesweep_iterationIS3_Lb1EPKlPlPS5_SB_mNS0_19identity_decomposerENS1_16block_id_wrapperIjLb0EEEEE10hipError_tT1_PNSt15iterator_traitsISG_E10value_typeET2_T3_PNSH_ISM_E10value_typeET4_T5_PSR_SS_PNS1_23onesweep_lookback_stateEbbT6_jjT7_P12ihipStream_tbENKUlT_T0_SG_SL_E_clISA_SA_SB_SB_EEDaSZ_S10_SG_SL_EUlSZ_E_NS1_11comp_targetILNS1_3genE2ELNS1_11target_archE906ELNS1_3gpuE6ELNS1_3repE0EEENS1_47radix_sort_onesweep_sort_config_static_selectorELNS0_4arch9wavefront6targetE0EEEvSG_.num_agpr, 0
	.set _ZN7rocprim17ROCPRIM_400000_NS6detail17trampoline_kernelINS0_14default_configENS1_35radix_sort_onesweep_config_selectorIlNS0_10empty_typeEEEZZNS1_29radix_sort_onesweep_iterationIS3_Lb1EPKlPlPS5_SB_mNS0_19identity_decomposerENS1_16block_id_wrapperIjLb0EEEEE10hipError_tT1_PNSt15iterator_traitsISG_E10value_typeET2_T3_PNSH_ISM_E10value_typeET4_T5_PSR_SS_PNS1_23onesweep_lookback_stateEbbT6_jjT7_P12ihipStream_tbENKUlT_T0_SG_SL_E_clISA_SA_SB_SB_EEDaSZ_S10_SG_SL_EUlSZ_E_NS1_11comp_targetILNS1_3genE2ELNS1_11target_archE906ELNS1_3gpuE6ELNS1_3repE0EEENS1_47radix_sort_onesweep_sort_config_static_selectorELNS0_4arch9wavefront6targetE0EEEvSG_.numbered_sgpr, 0
	.set _ZN7rocprim17ROCPRIM_400000_NS6detail17trampoline_kernelINS0_14default_configENS1_35radix_sort_onesweep_config_selectorIlNS0_10empty_typeEEEZZNS1_29radix_sort_onesweep_iterationIS3_Lb1EPKlPlPS5_SB_mNS0_19identity_decomposerENS1_16block_id_wrapperIjLb0EEEEE10hipError_tT1_PNSt15iterator_traitsISG_E10value_typeET2_T3_PNSH_ISM_E10value_typeET4_T5_PSR_SS_PNS1_23onesweep_lookback_stateEbbT6_jjT7_P12ihipStream_tbENKUlT_T0_SG_SL_E_clISA_SA_SB_SB_EEDaSZ_S10_SG_SL_EUlSZ_E_NS1_11comp_targetILNS1_3genE2ELNS1_11target_archE906ELNS1_3gpuE6ELNS1_3repE0EEENS1_47radix_sort_onesweep_sort_config_static_selectorELNS0_4arch9wavefront6targetE0EEEvSG_.num_named_barrier, 0
	.set _ZN7rocprim17ROCPRIM_400000_NS6detail17trampoline_kernelINS0_14default_configENS1_35radix_sort_onesweep_config_selectorIlNS0_10empty_typeEEEZZNS1_29radix_sort_onesweep_iterationIS3_Lb1EPKlPlPS5_SB_mNS0_19identity_decomposerENS1_16block_id_wrapperIjLb0EEEEE10hipError_tT1_PNSt15iterator_traitsISG_E10value_typeET2_T3_PNSH_ISM_E10value_typeET4_T5_PSR_SS_PNS1_23onesweep_lookback_stateEbbT6_jjT7_P12ihipStream_tbENKUlT_T0_SG_SL_E_clISA_SA_SB_SB_EEDaSZ_S10_SG_SL_EUlSZ_E_NS1_11comp_targetILNS1_3genE2ELNS1_11target_archE906ELNS1_3gpuE6ELNS1_3repE0EEENS1_47radix_sort_onesweep_sort_config_static_selectorELNS0_4arch9wavefront6targetE0EEEvSG_.private_seg_size, 0
	.set _ZN7rocprim17ROCPRIM_400000_NS6detail17trampoline_kernelINS0_14default_configENS1_35radix_sort_onesweep_config_selectorIlNS0_10empty_typeEEEZZNS1_29radix_sort_onesweep_iterationIS3_Lb1EPKlPlPS5_SB_mNS0_19identity_decomposerENS1_16block_id_wrapperIjLb0EEEEE10hipError_tT1_PNSt15iterator_traitsISG_E10value_typeET2_T3_PNSH_ISM_E10value_typeET4_T5_PSR_SS_PNS1_23onesweep_lookback_stateEbbT6_jjT7_P12ihipStream_tbENKUlT_T0_SG_SL_E_clISA_SA_SB_SB_EEDaSZ_S10_SG_SL_EUlSZ_E_NS1_11comp_targetILNS1_3genE2ELNS1_11target_archE906ELNS1_3gpuE6ELNS1_3repE0EEENS1_47radix_sort_onesweep_sort_config_static_selectorELNS0_4arch9wavefront6targetE0EEEvSG_.uses_vcc, 0
	.set _ZN7rocprim17ROCPRIM_400000_NS6detail17trampoline_kernelINS0_14default_configENS1_35radix_sort_onesweep_config_selectorIlNS0_10empty_typeEEEZZNS1_29radix_sort_onesweep_iterationIS3_Lb1EPKlPlPS5_SB_mNS0_19identity_decomposerENS1_16block_id_wrapperIjLb0EEEEE10hipError_tT1_PNSt15iterator_traitsISG_E10value_typeET2_T3_PNSH_ISM_E10value_typeET4_T5_PSR_SS_PNS1_23onesweep_lookback_stateEbbT6_jjT7_P12ihipStream_tbENKUlT_T0_SG_SL_E_clISA_SA_SB_SB_EEDaSZ_S10_SG_SL_EUlSZ_E_NS1_11comp_targetILNS1_3genE2ELNS1_11target_archE906ELNS1_3gpuE6ELNS1_3repE0EEENS1_47radix_sort_onesweep_sort_config_static_selectorELNS0_4arch9wavefront6targetE0EEEvSG_.uses_flat_scratch, 0
	.set _ZN7rocprim17ROCPRIM_400000_NS6detail17trampoline_kernelINS0_14default_configENS1_35radix_sort_onesweep_config_selectorIlNS0_10empty_typeEEEZZNS1_29radix_sort_onesweep_iterationIS3_Lb1EPKlPlPS5_SB_mNS0_19identity_decomposerENS1_16block_id_wrapperIjLb0EEEEE10hipError_tT1_PNSt15iterator_traitsISG_E10value_typeET2_T3_PNSH_ISM_E10value_typeET4_T5_PSR_SS_PNS1_23onesweep_lookback_stateEbbT6_jjT7_P12ihipStream_tbENKUlT_T0_SG_SL_E_clISA_SA_SB_SB_EEDaSZ_S10_SG_SL_EUlSZ_E_NS1_11comp_targetILNS1_3genE2ELNS1_11target_archE906ELNS1_3gpuE6ELNS1_3repE0EEENS1_47radix_sort_onesweep_sort_config_static_selectorELNS0_4arch9wavefront6targetE0EEEvSG_.has_dyn_sized_stack, 0
	.set _ZN7rocprim17ROCPRIM_400000_NS6detail17trampoline_kernelINS0_14default_configENS1_35radix_sort_onesweep_config_selectorIlNS0_10empty_typeEEEZZNS1_29radix_sort_onesweep_iterationIS3_Lb1EPKlPlPS5_SB_mNS0_19identity_decomposerENS1_16block_id_wrapperIjLb0EEEEE10hipError_tT1_PNSt15iterator_traitsISG_E10value_typeET2_T3_PNSH_ISM_E10value_typeET4_T5_PSR_SS_PNS1_23onesweep_lookback_stateEbbT6_jjT7_P12ihipStream_tbENKUlT_T0_SG_SL_E_clISA_SA_SB_SB_EEDaSZ_S10_SG_SL_EUlSZ_E_NS1_11comp_targetILNS1_3genE2ELNS1_11target_archE906ELNS1_3gpuE6ELNS1_3repE0EEENS1_47radix_sort_onesweep_sort_config_static_selectorELNS0_4arch9wavefront6targetE0EEEvSG_.has_recursion, 0
	.set _ZN7rocprim17ROCPRIM_400000_NS6detail17trampoline_kernelINS0_14default_configENS1_35radix_sort_onesweep_config_selectorIlNS0_10empty_typeEEEZZNS1_29radix_sort_onesweep_iterationIS3_Lb1EPKlPlPS5_SB_mNS0_19identity_decomposerENS1_16block_id_wrapperIjLb0EEEEE10hipError_tT1_PNSt15iterator_traitsISG_E10value_typeET2_T3_PNSH_ISM_E10value_typeET4_T5_PSR_SS_PNS1_23onesweep_lookback_stateEbbT6_jjT7_P12ihipStream_tbENKUlT_T0_SG_SL_E_clISA_SA_SB_SB_EEDaSZ_S10_SG_SL_EUlSZ_E_NS1_11comp_targetILNS1_3genE2ELNS1_11target_archE906ELNS1_3gpuE6ELNS1_3repE0EEENS1_47radix_sort_onesweep_sort_config_static_selectorELNS0_4arch9wavefront6targetE0EEEvSG_.has_indirect_call, 0
	.section	.AMDGPU.csdata,"",@progbits
; Kernel info:
; codeLenInByte = 0
; TotalNumSgprs: 0
; NumVgprs: 0
; ScratchSize: 0
; MemoryBound: 0
; FloatMode: 240
; IeeeMode: 1
; LDSByteSize: 0 bytes/workgroup (compile time only)
; SGPRBlocks: 0
; VGPRBlocks: 0
; NumSGPRsForWavesPerEU: 1
; NumVGPRsForWavesPerEU: 1
; NamedBarCnt: 0
; Occupancy: 16
; WaveLimiterHint : 0
; COMPUTE_PGM_RSRC2:SCRATCH_EN: 0
; COMPUTE_PGM_RSRC2:USER_SGPR: 2
; COMPUTE_PGM_RSRC2:TRAP_HANDLER: 0
; COMPUTE_PGM_RSRC2:TGID_X_EN: 1
; COMPUTE_PGM_RSRC2:TGID_Y_EN: 0
; COMPUTE_PGM_RSRC2:TGID_Z_EN: 0
; COMPUTE_PGM_RSRC2:TIDIG_COMP_CNT: 0
	.section	.text._ZN7rocprim17ROCPRIM_400000_NS6detail17trampoline_kernelINS0_14default_configENS1_35radix_sort_onesweep_config_selectorIlNS0_10empty_typeEEEZZNS1_29radix_sort_onesweep_iterationIS3_Lb1EPKlPlPS5_SB_mNS0_19identity_decomposerENS1_16block_id_wrapperIjLb0EEEEE10hipError_tT1_PNSt15iterator_traitsISG_E10value_typeET2_T3_PNSH_ISM_E10value_typeET4_T5_PSR_SS_PNS1_23onesweep_lookback_stateEbbT6_jjT7_P12ihipStream_tbENKUlT_T0_SG_SL_E_clISA_SA_SB_SB_EEDaSZ_S10_SG_SL_EUlSZ_E_NS1_11comp_targetILNS1_3genE4ELNS1_11target_archE910ELNS1_3gpuE8ELNS1_3repE0EEENS1_47radix_sort_onesweep_sort_config_static_selectorELNS0_4arch9wavefront6targetE0EEEvSG_,"axG",@progbits,_ZN7rocprim17ROCPRIM_400000_NS6detail17trampoline_kernelINS0_14default_configENS1_35radix_sort_onesweep_config_selectorIlNS0_10empty_typeEEEZZNS1_29radix_sort_onesweep_iterationIS3_Lb1EPKlPlPS5_SB_mNS0_19identity_decomposerENS1_16block_id_wrapperIjLb0EEEEE10hipError_tT1_PNSt15iterator_traitsISG_E10value_typeET2_T3_PNSH_ISM_E10value_typeET4_T5_PSR_SS_PNS1_23onesweep_lookback_stateEbbT6_jjT7_P12ihipStream_tbENKUlT_T0_SG_SL_E_clISA_SA_SB_SB_EEDaSZ_S10_SG_SL_EUlSZ_E_NS1_11comp_targetILNS1_3genE4ELNS1_11target_archE910ELNS1_3gpuE8ELNS1_3repE0EEENS1_47radix_sort_onesweep_sort_config_static_selectorELNS0_4arch9wavefront6targetE0EEEvSG_,comdat
	.protected	_ZN7rocprim17ROCPRIM_400000_NS6detail17trampoline_kernelINS0_14default_configENS1_35radix_sort_onesweep_config_selectorIlNS0_10empty_typeEEEZZNS1_29radix_sort_onesweep_iterationIS3_Lb1EPKlPlPS5_SB_mNS0_19identity_decomposerENS1_16block_id_wrapperIjLb0EEEEE10hipError_tT1_PNSt15iterator_traitsISG_E10value_typeET2_T3_PNSH_ISM_E10value_typeET4_T5_PSR_SS_PNS1_23onesweep_lookback_stateEbbT6_jjT7_P12ihipStream_tbENKUlT_T0_SG_SL_E_clISA_SA_SB_SB_EEDaSZ_S10_SG_SL_EUlSZ_E_NS1_11comp_targetILNS1_3genE4ELNS1_11target_archE910ELNS1_3gpuE8ELNS1_3repE0EEENS1_47radix_sort_onesweep_sort_config_static_selectorELNS0_4arch9wavefront6targetE0EEEvSG_ ; -- Begin function _ZN7rocprim17ROCPRIM_400000_NS6detail17trampoline_kernelINS0_14default_configENS1_35radix_sort_onesweep_config_selectorIlNS0_10empty_typeEEEZZNS1_29radix_sort_onesweep_iterationIS3_Lb1EPKlPlPS5_SB_mNS0_19identity_decomposerENS1_16block_id_wrapperIjLb0EEEEE10hipError_tT1_PNSt15iterator_traitsISG_E10value_typeET2_T3_PNSH_ISM_E10value_typeET4_T5_PSR_SS_PNS1_23onesweep_lookback_stateEbbT6_jjT7_P12ihipStream_tbENKUlT_T0_SG_SL_E_clISA_SA_SB_SB_EEDaSZ_S10_SG_SL_EUlSZ_E_NS1_11comp_targetILNS1_3genE4ELNS1_11target_archE910ELNS1_3gpuE8ELNS1_3repE0EEENS1_47radix_sort_onesweep_sort_config_static_selectorELNS0_4arch9wavefront6targetE0EEEvSG_
	.globl	_ZN7rocprim17ROCPRIM_400000_NS6detail17trampoline_kernelINS0_14default_configENS1_35radix_sort_onesweep_config_selectorIlNS0_10empty_typeEEEZZNS1_29radix_sort_onesweep_iterationIS3_Lb1EPKlPlPS5_SB_mNS0_19identity_decomposerENS1_16block_id_wrapperIjLb0EEEEE10hipError_tT1_PNSt15iterator_traitsISG_E10value_typeET2_T3_PNSH_ISM_E10value_typeET4_T5_PSR_SS_PNS1_23onesweep_lookback_stateEbbT6_jjT7_P12ihipStream_tbENKUlT_T0_SG_SL_E_clISA_SA_SB_SB_EEDaSZ_S10_SG_SL_EUlSZ_E_NS1_11comp_targetILNS1_3genE4ELNS1_11target_archE910ELNS1_3gpuE8ELNS1_3repE0EEENS1_47radix_sort_onesweep_sort_config_static_selectorELNS0_4arch9wavefront6targetE0EEEvSG_
	.p2align	8
	.type	_ZN7rocprim17ROCPRIM_400000_NS6detail17trampoline_kernelINS0_14default_configENS1_35radix_sort_onesweep_config_selectorIlNS0_10empty_typeEEEZZNS1_29radix_sort_onesweep_iterationIS3_Lb1EPKlPlPS5_SB_mNS0_19identity_decomposerENS1_16block_id_wrapperIjLb0EEEEE10hipError_tT1_PNSt15iterator_traitsISG_E10value_typeET2_T3_PNSH_ISM_E10value_typeET4_T5_PSR_SS_PNS1_23onesweep_lookback_stateEbbT6_jjT7_P12ihipStream_tbENKUlT_T0_SG_SL_E_clISA_SA_SB_SB_EEDaSZ_S10_SG_SL_EUlSZ_E_NS1_11comp_targetILNS1_3genE4ELNS1_11target_archE910ELNS1_3gpuE8ELNS1_3repE0EEENS1_47radix_sort_onesweep_sort_config_static_selectorELNS0_4arch9wavefront6targetE0EEEvSG_,@function
_ZN7rocprim17ROCPRIM_400000_NS6detail17trampoline_kernelINS0_14default_configENS1_35radix_sort_onesweep_config_selectorIlNS0_10empty_typeEEEZZNS1_29radix_sort_onesweep_iterationIS3_Lb1EPKlPlPS5_SB_mNS0_19identity_decomposerENS1_16block_id_wrapperIjLb0EEEEE10hipError_tT1_PNSt15iterator_traitsISG_E10value_typeET2_T3_PNSH_ISM_E10value_typeET4_T5_PSR_SS_PNS1_23onesweep_lookback_stateEbbT6_jjT7_P12ihipStream_tbENKUlT_T0_SG_SL_E_clISA_SA_SB_SB_EEDaSZ_S10_SG_SL_EUlSZ_E_NS1_11comp_targetILNS1_3genE4ELNS1_11target_archE910ELNS1_3gpuE8ELNS1_3repE0EEENS1_47radix_sort_onesweep_sort_config_static_selectorELNS0_4arch9wavefront6targetE0EEEvSG_: ; @_ZN7rocprim17ROCPRIM_400000_NS6detail17trampoline_kernelINS0_14default_configENS1_35radix_sort_onesweep_config_selectorIlNS0_10empty_typeEEEZZNS1_29radix_sort_onesweep_iterationIS3_Lb1EPKlPlPS5_SB_mNS0_19identity_decomposerENS1_16block_id_wrapperIjLb0EEEEE10hipError_tT1_PNSt15iterator_traitsISG_E10value_typeET2_T3_PNSH_ISM_E10value_typeET4_T5_PSR_SS_PNS1_23onesweep_lookback_stateEbbT6_jjT7_P12ihipStream_tbENKUlT_T0_SG_SL_E_clISA_SA_SB_SB_EEDaSZ_S10_SG_SL_EUlSZ_E_NS1_11comp_targetILNS1_3genE4ELNS1_11target_archE910ELNS1_3gpuE8ELNS1_3repE0EEENS1_47radix_sort_onesweep_sort_config_static_selectorELNS0_4arch9wavefront6targetE0EEEvSG_
; %bb.0:
	.section	.rodata,"a",@progbits
	.p2align	6, 0x0
	.amdhsa_kernel _ZN7rocprim17ROCPRIM_400000_NS6detail17trampoline_kernelINS0_14default_configENS1_35radix_sort_onesweep_config_selectorIlNS0_10empty_typeEEEZZNS1_29radix_sort_onesweep_iterationIS3_Lb1EPKlPlPS5_SB_mNS0_19identity_decomposerENS1_16block_id_wrapperIjLb0EEEEE10hipError_tT1_PNSt15iterator_traitsISG_E10value_typeET2_T3_PNSH_ISM_E10value_typeET4_T5_PSR_SS_PNS1_23onesweep_lookback_stateEbbT6_jjT7_P12ihipStream_tbENKUlT_T0_SG_SL_E_clISA_SA_SB_SB_EEDaSZ_S10_SG_SL_EUlSZ_E_NS1_11comp_targetILNS1_3genE4ELNS1_11target_archE910ELNS1_3gpuE8ELNS1_3repE0EEENS1_47radix_sort_onesweep_sort_config_static_selectorELNS0_4arch9wavefront6targetE0EEEvSG_
		.amdhsa_group_segment_fixed_size 0
		.amdhsa_private_segment_fixed_size 0
		.amdhsa_kernarg_size 88
		.amdhsa_user_sgpr_count 2
		.amdhsa_user_sgpr_dispatch_ptr 0
		.amdhsa_user_sgpr_queue_ptr 0
		.amdhsa_user_sgpr_kernarg_segment_ptr 1
		.amdhsa_user_sgpr_dispatch_id 0
		.amdhsa_user_sgpr_kernarg_preload_length 0
		.amdhsa_user_sgpr_kernarg_preload_offset 0
		.amdhsa_user_sgpr_private_segment_size 0
		.amdhsa_wavefront_size32 1
		.amdhsa_uses_dynamic_stack 0
		.amdhsa_enable_private_segment 0
		.amdhsa_system_sgpr_workgroup_id_x 1
		.amdhsa_system_sgpr_workgroup_id_y 0
		.amdhsa_system_sgpr_workgroup_id_z 0
		.amdhsa_system_sgpr_workgroup_info 0
		.amdhsa_system_vgpr_workitem_id 0
		.amdhsa_next_free_vgpr 1
		.amdhsa_next_free_sgpr 1
		.amdhsa_named_barrier_count 0
		.amdhsa_reserve_vcc 0
		.amdhsa_float_round_mode_32 0
		.amdhsa_float_round_mode_16_64 0
		.amdhsa_float_denorm_mode_32 3
		.amdhsa_float_denorm_mode_16_64 3
		.amdhsa_fp16_overflow 0
		.amdhsa_memory_ordered 1
		.amdhsa_forward_progress 1
		.amdhsa_inst_pref_size 0
		.amdhsa_round_robin_scheduling 0
		.amdhsa_exception_fp_ieee_invalid_op 0
		.amdhsa_exception_fp_denorm_src 0
		.amdhsa_exception_fp_ieee_div_zero 0
		.amdhsa_exception_fp_ieee_overflow 0
		.amdhsa_exception_fp_ieee_underflow 0
		.amdhsa_exception_fp_ieee_inexact 0
		.amdhsa_exception_int_div_zero 0
	.end_amdhsa_kernel
	.section	.text._ZN7rocprim17ROCPRIM_400000_NS6detail17trampoline_kernelINS0_14default_configENS1_35radix_sort_onesweep_config_selectorIlNS0_10empty_typeEEEZZNS1_29radix_sort_onesweep_iterationIS3_Lb1EPKlPlPS5_SB_mNS0_19identity_decomposerENS1_16block_id_wrapperIjLb0EEEEE10hipError_tT1_PNSt15iterator_traitsISG_E10value_typeET2_T3_PNSH_ISM_E10value_typeET4_T5_PSR_SS_PNS1_23onesweep_lookback_stateEbbT6_jjT7_P12ihipStream_tbENKUlT_T0_SG_SL_E_clISA_SA_SB_SB_EEDaSZ_S10_SG_SL_EUlSZ_E_NS1_11comp_targetILNS1_3genE4ELNS1_11target_archE910ELNS1_3gpuE8ELNS1_3repE0EEENS1_47radix_sort_onesweep_sort_config_static_selectorELNS0_4arch9wavefront6targetE0EEEvSG_,"axG",@progbits,_ZN7rocprim17ROCPRIM_400000_NS6detail17trampoline_kernelINS0_14default_configENS1_35radix_sort_onesweep_config_selectorIlNS0_10empty_typeEEEZZNS1_29radix_sort_onesweep_iterationIS3_Lb1EPKlPlPS5_SB_mNS0_19identity_decomposerENS1_16block_id_wrapperIjLb0EEEEE10hipError_tT1_PNSt15iterator_traitsISG_E10value_typeET2_T3_PNSH_ISM_E10value_typeET4_T5_PSR_SS_PNS1_23onesweep_lookback_stateEbbT6_jjT7_P12ihipStream_tbENKUlT_T0_SG_SL_E_clISA_SA_SB_SB_EEDaSZ_S10_SG_SL_EUlSZ_E_NS1_11comp_targetILNS1_3genE4ELNS1_11target_archE910ELNS1_3gpuE8ELNS1_3repE0EEENS1_47radix_sort_onesweep_sort_config_static_selectorELNS0_4arch9wavefront6targetE0EEEvSG_,comdat
.Lfunc_end1127:
	.size	_ZN7rocprim17ROCPRIM_400000_NS6detail17trampoline_kernelINS0_14default_configENS1_35radix_sort_onesweep_config_selectorIlNS0_10empty_typeEEEZZNS1_29radix_sort_onesweep_iterationIS3_Lb1EPKlPlPS5_SB_mNS0_19identity_decomposerENS1_16block_id_wrapperIjLb0EEEEE10hipError_tT1_PNSt15iterator_traitsISG_E10value_typeET2_T3_PNSH_ISM_E10value_typeET4_T5_PSR_SS_PNS1_23onesweep_lookback_stateEbbT6_jjT7_P12ihipStream_tbENKUlT_T0_SG_SL_E_clISA_SA_SB_SB_EEDaSZ_S10_SG_SL_EUlSZ_E_NS1_11comp_targetILNS1_3genE4ELNS1_11target_archE910ELNS1_3gpuE8ELNS1_3repE0EEENS1_47radix_sort_onesweep_sort_config_static_selectorELNS0_4arch9wavefront6targetE0EEEvSG_, .Lfunc_end1127-_ZN7rocprim17ROCPRIM_400000_NS6detail17trampoline_kernelINS0_14default_configENS1_35radix_sort_onesweep_config_selectorIlNS0_10empty_typeEEEZZNS1_29radix_sort_onesweep_iterationIS3_Lb1EPKlPlPS5_SB_mNS0_19identity_decomposerENS1_16block_id_wrapperIjLb0EEEEE10hipError_tT1_PNSt15iterator_traitsISG_E10value_typeET2_T3_PNSH_ISM_E10value_typeET4_T5_PSR_SS_PNS1_23onesweep_lookback_stateEbbT6_jjT7_P12ihipStream_tbENKUlT_T0_SG_SL_E_clISA_SA_SB_SB_EEDaSZ_S10_SG_SL_EUlSZ_E_NS1_11comp_targetILNS1_3genE4ELNS1_11target_archE910ELNS1_3gpuE8ELNS1_3repE0EEENS1_47radix_sort_onesweep_sort_config_static_selectorELNS0_4arch9wavefront6targetE0EEEvSG_
                                        ; -- End function
	.set _ZN7rocprim17ROCPRIM_400000_NS6detail17trampoline_kernelINS0_14default_configENS1_35radix_sort_onesweep_config_selectorIlNS0_10empty_typeEEEZZNS1_29radix_sort_onesweep_iterationIS3_Lb1EPKlPlPS5_SB_mNS0_19identity_decomposerENS1_16block_id_wrapperIjLb0EEEEE10hipError_tT1_PNSt15iterator_traitsISG_E10value_typeET2_T3_PNSH_ISM_E10value_typeET4_T5_PSR_SS_PNS1_23onesweep_lookback_stateEbbT6_jjT7_P12ihipStream_tbENKUlT_T0_SG_SL_E_clISA_SA_SB_SB_EEDaSZ_S10_SG_SL_EUlSZ_E_NS1_11comp_targetILNS1_3genE4ELNS1_11target_archE910ELNS1_3gpuE8ELNS1_3repE0EEENS1_47radix_sort_onesweep_sort_config_static_selectorELNS0_4arch9wavefront6targetE0EEEvSG_.num_vgpr, 0
	.set _ZN7rocprim17ROCPRIM_400000_NS6detail17trampoline_kernelINS0_14default_configENS1_35radix_sort_onesweep_config_selectorIlNS0_10empty_typeEEEZZNS1_29radix_sort_onesweep_iterationIS3_Lb1EPKlPlPS5_SB_mNS0_19identity_decomposerENS1_16block_id_wrapperIjLb0EEEEE10hipError_tT1_PNSt15iterator_traitsISG_E10value_typeET2_T3_PNSH_ISM_E10value_typeET4_T5_PSR_SS_PNS1_23onesweep_lookback_stateEbbT6_jjT7_P12ihipStream_tbENKUlT_T0_SG_SL_E_clISA_SA_SB_SB_EEDaSZ_S10_SG_SL_EUlSZ_E_NS1_11comp_targetILNS1_3genE4ELNS1_11target_archE910ELNS1_3gpuE8ELNS1_3repE0EEENS1_47radix_sort_onesweep_sort_config_static_selectorELNS0_4arch9wavefront6targetE0EEEvSG_.num_agpr, 0
	.set _ZN7rocprim17ROCPRIM_400000_NS6detail17trampoline_kernelINS0_14default_configENS1_35radix_sort_onesweep_config_selectorIlNS0_10empty_typeEEEZZNS1_29radix_sort_onesweep_iterationIS3_Lb1EPKlPlPS5_SB_mNS0_19identity_decomposerENS1_16block_id_wrapperIjLb0EEEEE10hipError_tT1_PNSt15iterator_traitsISG_E10value_typeET2_T3_PNSH_ISM_E10value_typeET4_T5_PSR_SS_PNS1_23onesweep_lookback_stateEbbT6_jjT7_P12ihipStream_tbENKUlT_T0_SG_SL_E_clISA_SA_SB_SB_EEDaSZ_S10_SG_SL_EUlSZ_E_NS1_11comp_targetILNS1_3genE4ELNS1_11target_archE910ELNS1_3gpuE8ELNS1_3repE0EEENS1_47radix_sort_onesweep_sort_config_static_selectorELNS0_4arch9wavefront6targetE0EEEvSG_.numbered_sgpr, 0
	.set _ZN7rocprim17ROCPRIM_400000_NS6detail17trampoline_kernelINS0_14default_configENS1_35radix_sort_onesweep_config_selectorIlNS0_10empty_typeEEEZZNS1_29radix_sort_onesweep_iterationIS3_Lb1EPKlPlPS5_SB_mNS0_19identity_decomposerENS1_16block_id_wrapperIjLb0EEEEE10hipError_tT1_PNSt15iterator_traitsISG_E10value_typeET2_T3_PNSH_ISM_E10value_typeET4_T5_PSR_SS_PNS1_23onesweep_lookback_stateEbbT6_jjT7_P12ihipStream_tbENKUlT_T0_SG_SL_E_clISA_SA_SB_SB_EEDaSZ_S10_SG_SL_EUlSZ_E_NS1_11comp_targetILNS1_3genE4ELNS1_11target_archE910ELNS1_3gpuE8ELNS1_3repE0EEENS1_47radix_sort_onesweep_sort_config_static_selectorELNS0_4arch9wavefront6targetE0EEEvSG_.num_named_barrier, 0
	.set _ZN7rocprim17ROCPRIM_400000_NS6detail17trampoline_kernelINS0_14default_configENS1_35radix_sort_onesweep_config_selectorIlNS0_10empty_typeEEEZZNS1_29radix_sort_onesweep_iterationIS3_Lb1EPKlPlPS5_SB_mNS0_19identity_decomposerENS1_16block_id_wrapperIjLb0EEEEE10hipError_tT1_PNSt15iterator_traitsISG_E10value_typeET2_T3_PNSH_ISM_E10value_typeET4_T5_PSR_SS_PNS1_23onesweep_lookback_stateEbbT6_jjT7_P12ihipStream_tbENKUlT_T0_SG_SL_E_clISA_SA_SB_SB_EEDaSZ_S10_SG_SL_EUlSZ_E_NS1_11comp_targetILNS1_3genE4ELNS1_11target_archE910ELNS1_3gpuE8ELNS1_3repE0EEENS1_47radix_sort_onesweep_sort_config_static_selectorELNS0_4arch9wavefront6targetE0EEEvSG_.private_seg_size, 0
	.set _ZN7rocprim17ROCPRIM_400000_NS6detail17trampoline_kernelINS0_14default_configENS1_35radix_sort_onesweep_config_selectorIlNS0_10empty_typeEEEZZNS1_29radix_sort_onesweep_iterationIS3_Lb1EPKlPlPS5_SB_mNS0_19identity_decomposerENS1_16block_id_wrapperIjLb0EEEEE10hipError_tT1_PNSt15iterator_traitsISG_E10value_typeET2_T3_PNSH_ISM_E10value_typeET4_T5_PSR_SS_PNS1_23onesweep_lookback_stateEbbT6_jjT7_P12ihipStream_tbENKUlT_T0_SG_SL_E_clISA_SA_SB_SB_EEDaSZ_S10_SG_SL_EUlSZ_E_NS1_11comp_targetILNS1_3genE4ELNS1_11target_archE910ELNS1_3gpuE8ELNS1_3repE0EEENS1_47radix_sort_onesweep_sort_config_static_selectorELNS0_4arch9wavefront6targetE0EEEvSG_.uses_vcc, 0
	.set _ZN7rocprim17ROCPRIM_400000_NS6detail17trampoline_kernelINS0_14default_configENS1_35radix_sort_onesweep_config_selectorIlNS0_10empty_typeEEEZZNS1_29radix_sort_onesweep_iterationIS3_Lb1EPKlPlPS5_SB_mNS0_19identity_decomposerENS1_16block_id_wrapperIjLb0EEEEE10hipError_tT1_PNSt15iterator_traitsISG_E10value_typeET2_T3_PNSH_ISM_E10value_typeET4_T5_PSR_SS_PNS1_23onesweep_lookback_stateEbbT6_jjT7_P12ihipStream_tbENKUlT_T0_SG_SL_E_clISA_SA_SB_SB_EEDaSZ_S10_SG_SL_EUlSZ_E_NS1_11comp_targetILNS1_3genE4ELNS1_11target_archE910ELNS1_3gpuE8ELNS1_3repE0EEENS1_47radix_sort_onesweep_sort_config_static_selectorELNS0_4arch9wavefront6targetE0EEEvSG_.uses_flat_scratch, 0
	.set _ZN7rocprim17ROCPRIM_400000_NS6detail17trampoline_kernelINS0_14default_configENS1_35radix_sort_onesweep_config_selectorIlNS0_10empty_typeEEEZZNS1_29radix_sort_onesweep_iterationIS3_Lb1EPKlPlPS5_SB_mNS0_19identity_decomposerENS1_16block_id_wrapperIjLb0EEEEE10hipError_tT1_PNSt15iterator_traitsISG_E10value_typeET2_T3_PNSH_ISM_E10value_typeET4_T5_PSR_SS_PNS1_23onesweep_lookback_stateEbbT6_jjT7_P12ihipStream_tbENKUlT_T0_SG_SL_E_clISA_SA_SB_SB_EEDaSZ_S10_SG_SL_EUlSZ_E_NS1_11comp_targetILNS1_3genE4ELNS1_11target_archE910ELNS1_3gpuE8ELNS1_3repE0EEENS1_47radix_sort_onesweep_sort_config_static_selectorELNS0_4arch9wavefront6targetE0EEEvSG_.has_dyn_sized_stack, 0
	.set _ZN7rocprim17ROCPRIM_400000_NS6detail17trampoline_kernelINS0_14default_configENS1_35radix_sort_onesweep_config_selectorIlNS0_10empty_typeEEEZZNS1_29radix_sort_onesweep_iterationIS3_Lb1EPKlPlPS5_SB_mNS0_19identity_decomposerENS1_16block_id_wrapperIjLb0EEEEE10hipError_tT1_PNSt15iterator_traitsISG_E10value_typeET2_T3_PNSH_ISM_E10value_typeET4_T5_PSR_SS_PNS1_23onesweep_lookback_stateEbbT6_jjT7_P12ihipStream_tbENKUlT_T0_SG_SL_E_clISA_SA_SB_SB_EEDaSZ_S10_SG_SL_EUlSZ_E_NS1_11comp_targetILNS1_3genE4ELNS1_11target_archE910ELNS1_3gpuE8ELNS1_3repE0EEENS1_47radix_sort_onesweep_sort_config_static_selectorELNS0_4arch9wavefront6targetE0EEEvSG_.has_recursion, 0
	.set _ZN7rocprim17ROCPRIM_400000_NS6detail17trampoline_kernelINS0_14default_configENS1_35radix_sort_onesweep_config_selectorIlNS0_10empty_typeEEEZZNS1_29radix_sort_onesweep_iterationIS3_Lb1EPKlPlPS5_SB_mNS0_19identity_decomposerENS1_16block_id_wrapperIjLb0EEEEE10hipError_tT1_PNSt15iterator_traitsISG_E10value_typeET2_T3_PNSH_ISM_E10value_typeET4_T5_PSR_SS_PNS1_23onesweep_lookback_stateEbbT6_jjT7_P12ihipStream_tbENKUlT_T0_SG_SL_E_clISA_SA_SB_SB_EEDaSZ_S10_SG_SL_EUlSZ_E_NS1_11comp_targetILNS1_3genE4ELNS1_11target_archE910ELNS1_3gpuE8ELNS1_3repE0EEENS1_47radix_sort_onesweep_sort_config_static_selectorELNS0_4arch9wavefront6targetE0EEEvSG_.has_indirect_call, 0
	.section	.AMDGPU.csdata,"",@progbits
; Kernel info:
; codeLenInByte = 0
; TotalNumSgprs: 0
; NumVgprs: 0
; ScratchSize: 0
; MemoryBound: 0
; FloatMode: 240
; IeeeMode: 1
; LDSByteSize: 0 bytes/workgroup (compile time only)
; SGPRBlocks: 0
; VGPRBlocks: 0
; NumSGPRsForWavesPerEU: 1
; NumVGPRsForWavesPerEU: 1
; NamedBarCnt: 0
; Occupancy: 16
; WaveLimiterHint : 0
; COMPUTE_PGM_RSRC2:SCRATCH_EN: 0
; COMPUTE_PGM_RSRC2:USER_SGPR: 2
; COMPUTE_PGM_RSRC2:TRAP_HANDLER: 0
; COMPUTE_PGM_RSRC2:TGID_X_EN: 1
; COMPUTE_PGM_RSRC2:TGID_Y_EN: 0
; COMPUTE_PGM_RSRC2:TGID_Z_EN: 0
; COMPUTE_PGM_RSRC2:TIDIG_COMP_CNT: 0
	.section	.text._ZN7rocprim17ROCPRIM_400000_NS6detail17trampoline_kernelINS0_14default_configENS1_35radix_sort_onesweep_config_selectorIlNS0_10empty_typeEEEZZNS1_29radix_sort_onesweep_iterationIS3_Lb1EPKlPlPS5_SB_mNS0_19identity_decomposerENS1_16block_id_wrapperIjLb0EEEEE10hipError_tT1_PNSt15iterator_traitsISG_E10value_typeET2_T3_PNSH_ISM_E10value_typeET4_T5_PSR_SS_PNS1_23onesweep_lookback_stateEbbT6_jjT7_P12ihipStream_tbENKUlT_T0_SG_SL_E_clISA_SA_SB_SB_EEDaSZ_S10_SG_SL_EUlSZ_E_NS1_11comp_targetILNS1_3genE3ELNS1_11target_archE908ELNS1_3gpuE7ELNS1_3repE0EEENS1_47radix_sort_onesweep_sort_config_static_selectorELNS0_4arch9wavefront6targetE0EEEvSG_,"axG",@progbits,_ZN7rocprim17ROCPRIM_400000_NS6detail17trampoline_kernelINS0_14default_configENS1_35radix_sort_onesweep_config_selectorIlNS0_10empty_typeEEEZZNS1_29radix_sort_onesweep_iterationIS3_Lb1EPKlPlPS5_SB_mNS0_19identity_decomposerENS1_16block_id_wrapperIjLb0EEEEE10hipError_tT1_PNSt15iterator_traitsISG_E10value_typeET2_T3_PNSH_ISM_E10value_typeET4_T5_PSR_SS_PNS1_23onesweep_lookback_stateEbbT6_jjT7_P12ihipStream_tbENKUlT_T0_SG_SL_E_clISA_SA_SB_SB_EEDaSZ_S10_SG_SL_EUlSZ_E_NS1_11comp_targetILNS1_3genE3ELNS1_11target_archE908ELNS1_3gpuE7ELNS1_3repE0EEENS1_47radix_sort_onesweep_sort_config_static_selectorELNS0_4arch9wavefront6targetE0EEEvSG_,comdat
	.protected	_ZN7rocprim17ROCPRIM_400000_NS6detail17trampoline_kernelINS0_14default_configENS1_35radix_sort_onesweep_config_selectorIlNS0_10empty_typeEEEZZNS1_29radix_sort_onesweep_iterationIS3_Lb1EPKlPlPS5_SB_mNS0_19identity_decomposerENS1_16block_id_wrapperIjLb0EEEEE10hipError_tT1_PNSt15iterator_traitsISG_E10value_typeET2_T3_PNSH_ISM_E10value_typeET4_T5_PSR_SS_PNS1_23onesweep_lookback_stateEbbT6_jjT7_P12ihipStream_tbENKUlT_T0_SG_SL_E_clISA_SA_SB_SB_EEDaSZ_S10_SG_SL_EUlSZ_E_NS1_11comp_targetILNS1_3genE3ELNS1_11target_archE908ELNS1_3gpuE7ELNS1_3repE0EEENS1_47radix_sort_onesweep_sort_config_static_selectorELNS0_4arch9wavefront6targetE0EEEvSG_ ; -- Begin function _ZN7rocprim17ROCPRIM_400000_NS6detail17trampoline_kernelINS0_14default_configENS1_35radix_sort_onesweep_config_selectorIlNS0_10empty_typeEEEZZNS1_29radix_sort_onesweep_iterationIS3_Lb1EPKlPlPS5_SB_mNS0_19identity_decomposerENS1_16block_id_wrapperIjLb0EEEEE10hipError_tT1_PNSt15iterator_traitsISG_E10value_typeET2_T3_PNSH_ISM_E10value_typeET4_T5_PSR_SS_PNS1_23onesweep_lookback_stateEbbT6_jjT7_P12ihipStream_tbENKUlT_T0_SG_SL_E_clISA_SA_SB_SB_EEDaSZ_S10_SG_SL_EUlSZ_E_NS1_11comp_targetILNS1_3genE3ELNS1_11target_archE908ELNS1_3gpuE7ELNS1_3repE0EEENS1_47radix_sort_onesweep_sort_config_static_selectorELNS0_4arch9wavefront6targetE0EEEvSG_
	.globl	_ZN7rocprim17ROCPRIM_400000_NS6detail17trampoline_kernelINS0_14default_configENS1_35radix_sort_onesweep_config_selectorIlNS0_10empty_typeEEEZZNS1_29radix_sort_onesweep_iterationIS3_Lb1EPKlPlPS5_SB_mNS0_19identity_decomposerENS1_16block_id_wrapperIjLb0EEEEE10hipError_tT1_PNSt15iterator_traitsISG_E10value_typeET2_T3_PNSH_ISM_E10value_typeET4_T5_PSR_SS_PNS1_23onesweep_lookback_stateEbbT6_jjT7_P12ihipStream_tbENKUlT_T0_SG_SL_E_clISA_SA_SB_SB_EEDaSZ_S10_SG_SL_EUlSZ_E_NS1_11comp_targetILNS1_3genE3ELNS1_11target_archE908ELNS1_3gpuE7ELNS1_3repE0EEENS1_47radix_sort_onesweep_sort_config_static_selectorELNS0_4arch9wavefront6targetE0EEEvSG_
	.p2align	8
	.type	_ZN7rocprim17ROCPRIM_400000_NS6detail17trampoline_kernelINS0_14default_configENS1_35radix_sort_onesweep_config_selectorIlNS0_10empty_typeEEEZZNS1_29radix_sort_onesweep_iterationIS3_Lb1EPKlPlPS5_SB_mNS0_19identity_decomposerENS1_16block_id_wrapperIjLb0EEEEE10hipError_tT1_PNSt15iterator_traitsISG_E10value_typeET2_T3_PNSH_ISM_E10value_typeET4_T5_PSR_SS_PNS1_23onesweep_lookback_stateEbbT6_jjT7_P12ihipStream_tbENKUlT_T0_SG_SL_E_clISA_SA_SB_SB_EEDaSZ_S10_SG_SL_EUlSZ_E_NS1_11comp_targetILNS1_3genE3ELNS1_11target_archE908ELNS1_3gpuE7ELNS1_3repE0EEENS1_47radix_sort_onesweep_sort_config_static_selectorELNS0_4arch9wavefront6targetE0EEEvSG_,@function
_ZN7rocprim17ROCPRIM_400000_NS6detail17trampoline_kernelINS0_14default_configENS1_35radix_sort_onesweep_config_selectorIlNS0_10empty_typeEEEZZNS1_29radix_sort_onesweep_iterationIS3_Lb1EPKlPlPS5_SB_mNS0_19identity_decomposerENS1_16block_id_wrapperIjLb0EEEEE10hipError_tT1_PNSt15iterator_traitsISG_E10value_typeET2_T3_PNSH_ISM_E10value_typeET4_T5_PSR_SS_PNS1_23onesweep_lookback_stateEbbT6_jjT7_P12ihipStream_tbENKUlT_T0_SG_SL_E_clISA_SA_SB_SB_EEDaSZ_S10_SG_SL_EUlSZ_E_NS1_11comp_targetILNS1_3genE3ELNS1_11target_archE908ELNS1_3gpuE7ELNS1_3repE0EEENS1_47radix_sort_onesweep_sort_config_static_selectorELNS0_4arch9wavefront6targetE0EEEvSG_: ; @_ZN7rocprim17ROCPRIM_400000_NS6detail17trampoline_kernelINS0_14default_configENS1_35radix_sort_onesweep_config_selectorIlNS0_10empty_typeEEEZZNS1_29radix_sort_onesweep_iterationIS3_Lb1EPKlPlPS5_SB_mNS0_19identity_decomposerENS1_16block_id_wrapperIjLb0EEEEE10hipError_tT1_PNSt15iterator_traitsISG_E10value_typeET2_T3_PNSH_ISM_E10value_typeET4_T5_PSR_SS_PNS1_23onesweep_lookback_stateEbbT6_jjT7_P12ihipStream_tbENKUlT_T0_SG_SL_E_clISA_SA_SB_SB_EEDaSZ_S10_SG_SL_EUlSZ_E_NS1_11comp_targetILNS1_3genE3ELNS1_11target_archE908ELNS1_3gpuE7ELNS1_3repE0EEENS1_47radix_sort_onesweep_sort_config_static_selectorELNS0_4arch9wavefront6targetE0EEEvSG_
; %bb.0:
	.section	.rodata,"a",@progbits
	.p2align	6, 0x0
	.amdhsa_kernel _ZN7rocprim17ROCPRIM_400000_NS6detail17trampoline_kernelINS0_14default_configENS1_35radix_sort_onesweep_config_selectorIlNS0_10empty_typeEEEZZNS1_29radix_sort_onesweep_iterationIS3_Lb1EPKlPlPS5_SB_mNS0_19identity_decomposerENS1_16block_id_wrapperIjLb0EEEEE10hipError_tT1_PNSt15iterator_traitsISG_E10value_typeET2_T3_PNSH_ISM_E10value_typeET4_T5_PSR_SS_PNS1_23onesweep_lookback_stateEbbT6_jjT7_P12ihipStream_tbENKUlT_T0_SG_SL_E_clISA_SA_SB_SB_EEDaSZ_S10_SG_SL_EUlSZ_E_NS1_11comp_targetILNS1_3genE3ELNS1_11target_archE908ELNS1_3gpuE7ELNS1_3repE0EEENS1_47radix_sort_onesweep_sort_config_static_selectorELNS0_4arch9wavefront6targetE0EEEvSG_
		.amdhsa_group_segment_fixed_size 0
		.amdhsa_private_segment_fixed_size 0
		.amdhsa_kernarg_size 88
		.amdhsa_user_sgpr_count 2
		.amdhsa_user_sgpr_dispatch_ptr 0
		.amdhsa_user_sgpr_queue_ptr 0
		.amdhsa_user_sgpr_kernarg_segment_ptr 1
		.amdhsa_user_sgpr_dispatch_id 0
		.amdhsa_user_sgpr_kernarg_preload_length 0
		.amdhsa_user_sgpr_kernarg_preload_offset 0
		.amdhsa_user_sgpr_private_segment_size 0
		.amdhsa_wavefront_size32 1
		.amdhsa_uses_dynamic_stack 0
		.amdhsa_enable_private_segment 0
		.amdhsa_system_sgpr_workgroup_id_x 1
		.amdhsa_system_sgpr_workgroup_id_y 0
		.amdhsa_system_sgpr_workgroup_id_z 0
		.amdhsa_system_sgpr_workgroup_info 0
		.amdhsa_system_vgpr_workitem_id 0
		.amdhsa_next_free_vgpr 1
		.amdhsa_next_free_sgpr 1
		.amdhsa_named_barrier_count 0
		.amdhsa_reserve_vcc 0
		.amdhsa_float_round_mode_32 0
		.amdhsa_float_round_mode_16_64 0
		.amdhsa_float_denorm_mode_32 3
		.amdhsa_float_denorm_mode_16_64 3
		.amdhsa_fp16_overflow 0
		.amdhsa_memory_ordered 1
		.amdhsa_forward_progress 1
		.amdhsa_inst_pref_size 0
		.amdhsa_round_robin_scheduling 0
		.amdhsa_exception_fp_ieee_invalid_op 0
		.amdhsa_exception_fp_denorm_src 0
		.amdhsa_exception_fp_ieee_div_zero 0
		.amdhsa_exception_fp_ieee_overflow 0
		.amdhsa_exception_fp_ieee_underflow 0
		.amdhsa_exception_fp_ieee_inexact 0
		.amdhsa_exception_int_div_zero 0
	.end_amdhsa_kernel
	.section	.text._ZN7rocprim17ROCPRIM_400000_NS6detail17trampoline_kernelINS0_14default_configENS1_35radix_sort_onesweep_config_selectorIlNS0_10empty_typeEEEZZNS1_29radix_sort_onesweep_iterationIS3_Lb1EPKlPlPS5_SB_mNS0_19identity_decomposerENS1_16block_id_wrapperIjLb0EEEEE10hipError_tT1_PNSt15iterator_traitsISG_E10value_typeET2_T3_PNSH_ISM_E10value_typeET4_T5_PSR_SS_PNS1_23onesweep_lookback_stateEbbT6_jjT7_P12ihipStream_tbENKUlT_T0_SG_SL_E_clISA_SA_SB_SB_EEDaSZ_S10_SG_SL_EUlSZ_E_NS1_11comp_targetILNS1_3genE3ELNS1_11target_archE908ELNS1_3gpuE7ELNS1_3repE0EEENS1_47radix_sort_onesweep_sort_config_static_selectorELNS0_4arch9wavefront6targetE0EEEvSG_,"axG",@progbits,_ZN7rocprim17ROCPRIM_400000_NS6detail17trampoline_kernelINS0_14default_configENS1_35radix_sort_onesweep_config_selectorIlNS0_10empty_typeEEEZZNS1_29radix_sort_onesweep_iterationIS3_Lb1EPKlPlPS5_SB_mNS0_19identity_decomposerENS1_16block_id_wrapperIjLb0EEEEE10hipError_tT1_PNSt15iterator_traitsISG_E10value_typeET2_T3_PNSH_ISM_E10value_typeET4_T5_PSR_SS_PNS1_23onesweep_lookback_stateEbbT6_jjT7_P12ihipStream_tbENKUlT_T0_SG_SL_E_clISA_SA_SB_SB_EEDaSZ_S10_SG_SL_EUlSZ_E_NS1_11comp_targetILNS1_3genE3ELNS1_11target_archE908ELNS1_3gpuE7ELNS1_3repE0EEENS1_47radix_sort_onesweep_sort_config_static_selectorELNS0_4arch9wavefront6targetE0EEEvSG_,comdat
.Lfunc_end1128:
	.size	_ZN7rocprim17ROCPRIM_400000_NS6detail17trampoline_kernelINS0_14default_configENS1_35radix_sort_onesweep_config_selectorIlNS0_10empty_typeEEEZZNS1_29radix_sort_onesweep_iterationIS3_Lb1EPKlPlPS5_SB_mNS0_19identity_decomposerENS1_16block_id_wrapperIjLb0EEEEE10hipError_tT1_PNSt15iterator_traitsISG_E10value_typeET2_T3_PNSH_ISM_E10value_typeET4_T5_PSR_SS_PNS1_23onesweep_lookback_stateEbbT6_jjT7_P12ihipStream_tbENKUlT_T0_SG_SL_E_clISA_SA_SB_SB_EEDaSZ_S10_SG_SL_EUlSZ_E_NS1_11comp_targetILNS1_3genE3ELNS1_11target_archE908ELNS1_3gpuE7ELNS1_3repE0EEENS1_47radix_sort_onesweep_sort_config_static_selectorELNS0_4arch9wavefront6targetE0EEEvSG_, .Lfunc_end1128-_ZN7rocprim17ROCPRIM_400000_NS6detail17trampoline_kernelINS0_14default_configENS1_35radix_sort_onesweep_config_selectorIlNS0_10empty_typeEEEZZNS1_29radix_sort_onesweep_iterationIS3_Lb1EPKlPlPS5_SB_mNS0_19identity_decomposerENS1_16block_id_wrapperIjLb0EEEEE10hipError_tT1_PNSt15iterator_traitsISG_E10value_typeET2_T3_PNSH_ISM_E10value_typeET4_T5_PSR_SS_PNS1_23onesweep_lookback_stateEbbT6_jjT7_P12ihipStream_tbENKUlT_T0_SG_SL_E_clISA_SA_SB_SB_EEDaSZ_S10_SG_SL_EUlSZ_E_NS1_11comp_targetILNS1_3genE3ELNS1_11target_archE908ELNS1_3gpuE7ELNS1_3repE0EEENS1_47radix_sort_onesweep_sort_config_static_selectorELNS0_4arch9wavefront6targetE0EEEvSG_
                                        ; -- End function
	.set _ZN7rocprim17ROCPRIM_400000_NS6detail17trampoline_kernelINS0_14default_configENS1_35radix_sort_onesweep_config_selectorIlNS0_10empty_typeEEEZZNS1_29radix_sort_onesweep_iterationIS3_Lb1EPKlPlPS5_SB_mNS0_19identity_decomposerENS1_16block_id_wrapperIjLb0EEEEE10hipError_tT1_PNSt15iterator_traitsISG_E10value_typeET2_T3_PNSH_ISM_E10value_typeET4_T5_PSR_SS_PNS1_23onesweep_lookback_stateEbbT6_jjT7_P12ihipStream_tbENKUlT_T0_SG_SL_E_clISA_SA_SB_SB_EEDaSZ_S10_SG_SL_EUlSZ_E_NS1_11comp_targetILNS1_3genE3ELNS1_11target_archE908ELNS1_3gpuE7ELNS1_3repE0EEENS1_47radix_sort_onesweep_sort_config_static_selectorELNS0_4arch9wavefront6targetE0EEEvSG_.num_vgpr, 0
	.set _ZN7rocprim17ROCPRIM_400000_NS6detail17trampoline_kernelINS0_14default_configENS1_35radix_sort_onesweep_config_selectorIlNS0_10empty_typeEEEZZNS1_29radix_sort_onesweep_iterationIS3_Lb1EPKlPlPS5_SB_mNS0_19identity_decomposerENS1_16block_id_wrapperIjLb0EEEEE10hipError_tT1_PNSt15iterator_traitsISG_E10value_typeET2_T3_PNSH_ISM_E10value_typeET4_T5_PSR_SS_PNS1_23onesweep_lookback_stateEbbT6_jjT7_P12ihipStream_tbENKUlT_T0_SG_SL_E_clISA_SA_SB_SB_EEDaSZ_S10_SG_SL_EUlSZ_E_NS1_11comp_targetILNS1_3genE3ELNS1_11target_archE908ELNS1_3gpuE7ELNS1_3repE0EEENS1_47radix_sort_onesweep_sort_config_static_selectorELNS0_4arch9wavefront6targetE0EEEvSG_.num_agpr, 0
	.set _ZN7rocprim17ROCPRIM_400000_NS6detail17trampoline_kernelINS0_14default_configENS1_35radix_sort_onesweep_config_selectorIlNS0_10empty_typeEEEZZNS1_29radix_sort_onesweep_iterationIS3_Lb1EPKlPlPS5_SB_mNS0_19identity_decomposerENS1_16block_id_wrapperIjLb0EEEEE10hipError_tT1_PNSt15iterator_traitsISG_E10value_typeET2_T3_PNSH_ISM_E10value_typeET4_T5_PSR_SS_PNS1_23onesweep_lookback_stateEbbT6_jjT7_P12ihipStream_tbENKUlT_T0_SG_SL_E_clISA_SA_SB_SB_EEDaSZ_S10_SG_SL_EUlSZ_E_NS1_11comp_targetILNS1_3genE3ELNS1_11target_archE908ELNS1_3gpuE7ELNS1_3repE0EEENS1_47radix_sort_onesweep_sort_config_static_selectorELNS0_4arch9wavefront6targetE0EEEvSG_.numbered_sgpr, 0
	.set _ZN7rocprim17ROCPRIM_400000_NS6detail17trampoline_kernelINS0_14default_configENS1_35radix_sort_onesweep_config_selectorIlNS0_10empty_typeEEEZZNS1_29radix_sort_onesweep_iterationIS3_Lb1EPKlPlPS5_SB_mNS0_19identity_decomposerENS1_16block_id_wrapperIjLb0EEEEE10hipError_tT1_PNSt15iterator_traitsISG_E10value_typeET2_T3_PNSH_ISM_E10value_typeET4_T5_PSR_SS_PNS1_23onesweep_lookback_stateEbbT6_jjT7_P12ihipStream_tbENKUlT_T0_SG_SL_E_clISA_SA_SB_SB_EEDaSZ_S10_SG_SL_EUlSZ_E_NS1_11comp_targetILNS1_3genE3ELNS1_11target_archE908ELNS1_3gpuE7ELNS1_3repE0EEENS1_47radix_sort_onesweep_sort_config_static_selectorELNS0_4arch9wavefront6targetE0EEEvSG_.num_named_barrier, 0
	.set _ZN7rocprim17ROCPRIM_400000_NS6detail17trampoline_kernelINS0_14default_configENS1_35radix_sort_onesweep_config_selectorIlNS0_10empty_typeEEEZZNS1_29radix_sort_onesweep_iterationIS3_Lb1EPKlPlPS5_SB_mNS0_19identity_decomposerENS1_16block_id_wrapperIjLb0EEEEE10hipError_tT1_PNSt15iterator_traitsISG_E10value_typeET2_T3_PNSH_ISM_E10value_typeET4_T5_PSR_SS_PNS1_23onesweep_lookback_stateEbbT6_jjT7_P12ihipStream_tbENKUlT_T0_SG_SL_E_clISA_SA_SB_SB_EEDaSZ_S10_SG_SL_EUlSZ_E_NS1_11comp_targetILNS1_3genE3ELNS1_11target_archE908ELNS1_3gpuE7ELNS1_3repE0EEENS1_47radix_sort_onesweep_sort_config_static_selectorELNS0_4arch9wavefront6targetE0EEEvSG_.private_seg_size, 0
	.set _ZN7rocprim17ROCPRIM_400000_NS6detail17trampoline_kernelINS0_14default_configENS1_35radix_sort_onesweep_config_selectorIlNS0_10empty_typeEEEZZNS1_29radix_sort_onesweep_iterationIS3_Lb1EPKlPlPS5_SB_mNS0_19identity_decomposerENS1_16block_id_wrapperIjLb0EEEEE10hipError_tT1_PNSt15iterator_traitsISG_E10value_typeET2_T3_PNSH_ISM_E10value_typeET4_T5_PSR_SS_PNS1_23onesweep_lookback_stateEbbT6_jjT7_P12ihipStream_tbENKUlT_T0_SG_SL_E_clISA_SA_SB_SB_EEDaSZ_S10_SG_SL_EUlSZ_E_NS1_11comp_targetILNS1_3genE3ELNS1_11target_archE908ELNS1_3gpuE7ELNS1_3repE0EEENS1_47radix_sort_onesweep_sort_config_static_selectorELNS0_4arch9wavefront6targetE0EEEvSG_.uses_vcc, 0
	.set _ZN7rocprim17ROCPRIM_400000_NS6detail17trampoline_kernelINS0_14default_configENS1_35radix_sort_onesweep_config_selectorIlNS0_10empty_typeEEEZZNS1_29radix_sort_onesweep_iterationIS3_Lb1EPKlPlPS5_SB_mNS0_19identity_decomposerENS1_16block_id_wrapperIjLb0EEEEE10hipError_tT1_PNSt15iterator_traitsISG_E10value_typeET2_T3_PNSH_ISM_E10value_typeET4_T5_PSR_SS_PNS1_23onesweep_lookback_stateEbbT6_jjT7_P12ihipStream_tbENKUlT_T0_SG_SL_E_clISA_SA_SB_SB_EEDaSZ_S10_SG_SL_EUlSZ_E_NS1_11comp_targetILNS1_3genE3ELNS1_11target_archE908ELNS1_3gpuE7ELNS1_3repE0EEENS1_47radix_sort_onesweep_sort_config_static_selectorELNS0_4arch9wavefront6targetE0EEEvSG_.uses_flat_scratch, 0
	.set _ZN7rocprim17ROCPRIM_400000_NS6detail17trampoline_kernelINS0_14default_configENS1_35radix_sort_onesweep_config_selectorIlNS0_10empty_typeEEEZZNS1_29radix_sort_onesweep_iterationIS3_Lb1EPKlPlPS5_SB_mNS0_19identity_decomposerENS1_16block_id_wrapperIjLb0EEEEE10hipError_tT1_PNSt15iterator_traitsISG_E10value_typeET2_T3_PNSH_ISM_E10value_typeET4_T5_PSR_SS_PNS1_23onesweep_lookback_stateEbbT6_jjT7_P12ihipStream_tbENKUlT_T0_SG_SL_E_clISA_SA_SB_SB_EEDaSZ_S10_SG_SL_EUlSZ_E_NS1_11comp_targetILNS1_3genE3ELNS1_11target_archE908ELNS1_3gpuE7ELNS1_3repE0EEENS1_47radix_sort_onesweep_sort_config_static_selectorELNS0_4arch9wavefront6targetE0EEEvSG_.has_dyn_sized_stack, 0
	.set _ZN7rocprim17ROCPRIM_400000_NS6detail17trampoline_kernelINS0_14default_configENS1_35radix_sort_onesweep_config_selectorIlNS0_10empty_typeEEEZZNS1_29radix_sort_onesweep_iterationIS3_Lb1EPKlPlPS5_SB_mNS0_19identity_decomposerENS1_16block_id_wrapperIjLb0EEEEE10hipError_tT1_PNSt15iterator_traitsISG_E10value_typeET2_T3_PNSH_ISM_E10value_typeET4_T5_PSR_SS_PNS1_23onesweep_lookback_stateEbbT6_jjT7_P12ihipStream_tbENKUlT_T0_SG_SL_E_clISA_SA_SB_SB_EEDaSZ_S10_SG_SL_EUlSZ_E_NS1_11comp_targetILNS1_3genE3ELNS1_11target_archE908ELNS1_3gpuE7ELNS1_3repE0EEENS1_47radix_sort_onesweep_sort_config_static_selectorELNS0_4arch9wavefront6targetE0EEEvSG_.has_recursion, 0
	.set _ZN7rocprim17ROCPRIM_400000_NS6detail17trampoline_kernelINS0_14default_configENS1_35radix_sort_onesweep_config_selectorIlNS0_10empty_typeEEEZZNS1_29radix_sort_onesweep_iterationIS3_Lb1EPKlPlPS5_SB_mNS0_19identity_decomposerENS1_16block_id_wrapperIjLb0EEEEE10hipError_tT1_PNSt15iterator_traitsISG_E10value_typeET2_T3_PNSH_ISM_E10value_typeET4_T5_PSR_SS_PNS1_23onesweep_lookback_stateEbbT6_jjT7_P12ihipStream_tbENKUlT_T0_SG_SL_E_clISA_SA_SB_SB_EEDaSZ_S10_SG_SL_EUlSZ_E_NS1_11comp_targetILNS1_3genE3ELNS1_11target_archE908ELNS1_3gpuE7ELNS1_3repE0EEENS1_47radix_sort_onesweep_sort_config_static_selectorELNS0_4arch9wavefront6targetE0EEEvSG_.has_indirect_call, 0
	.section	.AMDGPU.csdata,"",@progbits
; Kernel info:
; codeLenInByte = 0
; TotalNumSgprs: 0
; NumVgprs: 0
; ScratchSize: 0
; MemoryBound: 0
; FloatMode: 240
; IeeeMode: 1
; LDSByteSize: 0 bytes/workgroup (compile time only)
; SGPRBlocks: 0
; VGPRBlocks: 0
; NumSGPRsForWavesPerEU: 1
; NumVGPRsForWavesPerEU: 1
; NamedBarCnt: 0
; Occupancy: 16
; WaveLimiterHint : 0
; COMPUTE_PGM_RSRC2:SCRATCH_EN: 0
; COMPUTE_PGM_RSRC2:USER_SGPR: 2
; COMPUTE_PGM_RSRC2:TRAP_HANDLER: 0
; COMPUTE_PGM_RSRC2:TGID_X_EN: 1
; COMPUTE_PGM_RSRC2:TGID_Y_EN: 0
; COMPUTE_PGM_RSRC2:TGID_Z_EN: 0
; COMPUTE_PGM_RSRC2:TIDIG_COMP_CNT: 0
	.section	.text._ZN7rocprim17ROCPRIM_400000_NS6detail17trampoline_kernelINS0_14default_configENS1_35radix_sort_onesweep_config_selectorIlNS0_10empty_typeEEEZZNS1_29radix_sort_onesweep_iterationIS3_Lb1EPKlPlPS5_SB_mNS0_19identity_decomposerENS1_16block_id_wrapperIjLb0EEEEE10hipError_tT1_PNSt15iterator_traitsISG_E10value_typeET2_T3_PNSH_ISM_E10value_typeET4_T5_PSR_SS_PNS1_23onesweep_lookback_stateEbbT6_jjT7_P12ihipStream_tbENKUlT_T0_SG_SL_E_clISA_SA_SB_SB_EEDaSZ_S10_SG_SL_EUlSZ_E_NS1_11comp_targetILNS1_3genE10ELNS1_11target_archE1201ELNS1_3gpuE5ELNS1_3repE0EEENS1_47radix_sort_onesweep_sort_config_static_selectorELNS0_4arch9wavefront6targetE0EEEvSG_,"axG",@progbits,_ZN7rocprim17ROCPRIM_400000_NS6detail17trampoline_kernelINS0_14default_configENS1_35radix_sort_onesweep_config_selectorIlNS0_10empty_typeEEEZZNS1_29radix_sort_onesweep_iterationIS3_Lb1EPKlPlPS5_SB_mNS0_19identity_decomposerENS1_16block_id_wrapperIjLb0EEEEE10hipError_tT1_PNSt15iterator_traitsISG_E10value_typeET2_T3_PNSH_ISM_E10value_typeET4_T5_PSR_SS_PNS1_23onesweep_lookback_stateEbbT6_jjT7_P12ihipStream_tbENKUlT_T0_SG_SL_E_clISA_SA_SB_SB_EEDaSZ_S10_SG_SL_EUlSZ_E_NS1_11comp_targetILNS1_3genE10ELNS1_11target_archE1201ELNS1_3gpuE5ELNS1_3repE0EEENS1_47radix_sort_onesweep_sort_config_static_selectorELNS0_4arch9wavefront6targetE0EEEvSG_,comdat
	.protected	_ZN7rocprim17ROCPRIM_400000_NS6detail17trampoline_kernelINS0_14default_configENS1_35radix_sort_onesweep_config_selectorIlNS0_10empty_typeEEEZZNS1_29radix_sort_onesweep_iterationIS3_Lb1EPKlPlPS5_SB_mNS0_19identity_decomposerENS1_16block_id_wrapperIjLb0EEEEE10hipError_tT1_PNSt15iterator_traitsISG_E10value_typeET2_T3_PNSH_ISM_E10value_typeET4_T5_PSR_SS_PNS1_23onesweep_lookback_stateEbbT6_jjT7_P12ihipStream_tbENKUlT_T0_SG_SL_E_clISA_SA_SB_SB_EEDaSZ_S10_SG_SL_EUlSZ_E_NS1_11comp_targetILNS1_3genE10ELNS1_11target_archE1201ELNS1_3gpuE5ELNS1_3repE0EEENS1_47radix_sort_onesweep_sort_config_static_selectorELNS0_4arch9wavefront6targetE0EEEvSG_ ; -- Begin function _ZN7rocprim17ROCPRIM_400000_NS6detail17trampoline_kernelINS0_14default_configENS1_35radix_sort_onesweep_config_selectorIlNS0_10empty_typeEEEZZNS1_29radix_sort_onesweep_iterationIS3_Lb1EPKlPlPS5_SB_mNS0_19identity_decomposerENS1_16block_id_wrapperIjLb0EEEEE10hipError_tT1_PNSt15iterator_traitsISG_E10value_typeET2_T3_PNSH_ISM_E10value_typeET4_T5_PSR_SS_PNS1_23onesweep_lookback_stateEbbT6_jjT7_P12ihipStream_tbENKUlT_T0_SG_SL_E_clISA_SA_SB_SB_EEDaSZ_S10_SG_SL_EUlSZ_E_NS1_11comp_targetILNS1_3genE10ELNS1_11target_archE1201ELNS1_3gpuE5ELNS1_3repE0EEENS1_47radix_sort_onesweep_sort_config_static_selectorELNS0_4arch9wavefront6targetE0EEEvSG_
	.globl	_ZN7rocprim17ROCPRIM_400000_NS6detail17trampoline_kernelINS0_14default_configENS1_35radix_sort_onesweep_config_selectorIlNS0_10empty_typeEEEZZNS1_29radix_sort_onesweep_iterationIS3_Lb1EPKlPlPS5_SB_mNS0_19identity_decomposerENS1_16block_id_wrapperIjLb0EEEEE10hipError_tT1_PNSt15iterator_traitsISG_E10value_typeET2_T3_PNSH_ISM_E10value_typeET4_T5_PSR_SS_PNS1_23onesweep_lookback_stateEbbT6_jjT7_P12ihipStream_tbENKUlT_T0_SG_SL_E_clISA_SA_SB_SB_EEDaSZ_S10_SG_SL_EUlSZ_E_NS1_11comp_targetILNS1_3genE10ELNS1_11target_archE1201ELNS1_3gpuE5ELNS1_3repE0EEENS1_47radix_sort_onesweep_sort_config_static_selectorELNS0_4arch9wavefront6targetE0EEEvSG_
	.p2align	8
	.type	_ZN7rocprim17ROCPRIM_400000_NS6detail17trampoline_kernelINS0_14default_configENS1_35radix_sort_onesweep_config_selectorIlNS0_10empty_typeEEEZZNS1_29radix_sort_onesweep_iterationIS3_Lb1EPKlPlPS5_SB_mNS0_19identity_decomposerENS1_16block_id_wrapperIjLb0EEEEE10hipError_tT1_PNSt15iterator_traitsISG_E10value_typeET2_T3_PNSH_ISM_E10value_typeET4_T5_PSR_SS_PNS1_23onesweep_lookback_stateEbbT6_jjT7_P12ihipStream_tbENKUlT_T0_SG_SL_E_clISA_SA_SB_SB_EEDaSZ_S10_SG_SL_EUlSZ_E_NS1_11comp_targetILNS1_3genE10ELNS1_11target_archE1201ELNS1_3gpuE5ELNS1_3repE0EEENS1_47radix_sort_onesweep_sort_config_static_selectorELNS0_4arch9wavefront6targetE0EEEvSG_,@function
_ZN7rocprim17ROCPRIM_400000_NS6detail17trampoline_kernelINS0_14default_configENS1_35radix_sort_onesweep_config_selectorIlNS0_10empty_typeEEEZZNS1_29radix_sort_onesweep_iterationIS3_Lb1EPKlPlPS5_SB_mNS0_19identity_decomposerENS1_16block_id_wrapperIjLb0EEEEE10hipError_tT1_PNSt15iterator_traitsISG_E10value_typeET2_T3_PNSH_ISM_E10value_typeET4_T5_PSR_SS_PNS1_23onesweep_lookback_stateEbbT6_jjT7_P12ihipStream_tbENKUlT_T0_SG_SL_E_clISA_SA_SB_SB_EEDaSZ_S10_SG_SL_EUlSZ_E_NS1_11comp_targetILNS1_3genE10ELNS1_11target_archE1201ELNS1_3gpuE5ELNS1_3repE0EEENS1_47radix_sort_onesweep_sort_config_static_selectorELNS0_4arch9wavefront6targetE0EEEvSG_: ; @_ZN7rocprim17ROCPRIM_400000_NS6detail17trampoline_kernelINS0_14default_configENS1_35radix_sort_onesweep_config_selectorIlNS0_10empty_typeEEEZZNS1_29radix_sort_onesweep_iterationIS3_Lb1EPKlPlPS5_SB_mNS0_19identity_decomposerENS1_16block_id_wrapperIjLb0EEEEE10hipError_tT1_PNSt15iterator_traitsISG_E10value_typeET2_T3_PNSH_ISM_E10value_typeET4_T5_PSR_SS_PNS1_23onesweep_lookback_stateEbbT6_jjT7_P12ihipStream_tbENKUlT_T0_SG_SL_E_clISA_SA_SB_SB_EEDaSZ_S10_SG_SL_EUlSZ_E_NS1_11comp_targetILNS1_3genE10ELNS1_11target_archE1201ELNS1_3gpuE5ELNS1_3repE0EEENS1_47radix_sort_onesweep_sort_config_static_selectorELNS0_4arch9wavefront6targetE0EEEvSG_
; %bb.0:
	.section	.rodata,"a",@progbits
	.p2align	6, 0x0
	.amdhsa_kernel _ZN7rocprim17ROCPRIM_400000_NS6detail17trampoline_kernelINS0_14default_configENS1_35radix_sort_onesweep_config_selectorIlNS0_10empty_typeEEEZZNS1_29radix_sort_onesweep_iterationIS3_Lb1EPKlPlPS5_SB_mNS0_19identity_decomposerENS1_16block_id_wrapperIjLb0EEEEE10hipError_tT1_PNSt15iterator_traitsISG_E10value_typeET2_T3_PNSH_ISM_E10value_typeET4_T5_PSR_SS_PNS1_23onesweep_lookback_stateEbbT6_jjT7_P12ihipStream_tbENKUlT_T0_SG_SL_E_clISA_SA_SB_SB_EEDaSZ_S10_SG_SL_EUlSZ_E_NS1_11comp_targetILNS1_3genE10ELNS1_11target_archE1201ELNS1_3gpuE5ELNS1_3repE0EEENS1_47radix_sort_onesweep_sort_config_static_selectorELNS0_4arch9wavefront6targetE0EEEvSG_
		.amdhsa_group_segment_fixed_size 0
		.amdhsa_private_segment_fixed_size 0
		.amdhsa_kernarg_size 88
		.amdhsa_user_sgpr_count 2
		.amdhsa_user_sgpr_dispatch_ptr 0
		.amdhsa_user_sgpr_queue_ptr 0
		.amdhsa_user_sgpr_kernarg_segment_ptr 1
		.amdhsa_user_sgpr_dispatch_id 0
		.amdhsa_user_sgpr_kernarg_preload_length 0
		.amdhsa_user_sgpr_kernarg_preload_offset 0
		.amdhsa_user_sgpr_private_segment_size 0
		.amdhsa_wavefront_size32 1
		.amdhsa_uses_dynamic_stack 0
		.amdhsa_enable_private_segment 0
		.amdhsa_system_sgpr_workgroup_id_x 1
		.amdhsa_system_sgpr_workgroup_id_y 0
		.amdhsa_system_sgpr_workgroup_id_z 0
		.amdhsa_system_sgpr_workgroup_info 0
		.amdhsa_system_vgpr_workitem_id 0
		.amdhsa_next_free_vgpr 1
		.amdhsa_next_free_sgpr 1
		.amdhsa_named_barrier_count 0
		.amdhsa_reserve_vcc 0
		.amdhsa_float_round_mode_32 0
		.amdhsa_float_round_mode_16_64 0
		.amdhsa_float_denorm_mode_32 3
		.amdhsa_float_denorm_mode_16_64 3
		.amdhsa_fp16_overflow 0
		.amdhsa_memory_ordered 1
		.amdhsa_forward_progress 1
		.amdhsa_inst_pref_size 0
		.amdhsa_round_robin_scheduling 0
		.amdhsa_exception_fp_ieee_invalid_op 0
		.amdhsa_exception_fp_denorm_src 0
		.amdhsa_exception_fp_ieee_div_zero 0
		.amdhsa_exception_fp_ieee_overflow 0
		.amdhsa_exception_fp_ieee_underflow 0
		.amdhsa_exception_fp_ieee_inexact 0
		.amdhsa_exception_int_div_zero 0
	.end_amdhsa_kernel
	.section	.text._ZN7rocprim17ROCPRIM_400000_NS6detail17trampoline_kernelINS0_14default_configENS1_35radix_sort_onesweep_config_selectorIlNS0_10empty_typeEEEZZNS1_29radix_sort_onesweep_iterationIS3_Lb1EPKlPlPS5_SB_mNS0_19identity_decomposerENS1_16block_id_wrapperIjLb0EEEEE10hipError_tT1_PNSt15iterator_traitsISG_E10value_typeET2_T3_PNSH_ISM_E10value_typeET4_T5_PSR_SS_PNS1_23onesweep_lookback_stateEbbT6_jjT7_P12ihipStream_tbENKUlT_T0_SG_SL_E_clISA_SA_SB_SB_EEDaSZ_S10_SG_SL_EUlSZ_E_NS1_11comp_targetILNS1_3genE10ELNS1_11target_archE1201ELNS1_3gpuE5ELNS1_3repE0EEENS1_47radix_sort_onesweep_sort_config_static_selectorELNS0_4arch9wavefront6targetE0EEEvSG_,"axG",@progbits,_ZN7rocprim17ROCPRIM_400000_NS6detail17trampoline_kernelINS0_14default_configENS1_35radix_sort_onesweep_config_selectorIlNS0_10empty_typeEEEZZNS1_29radix_sort_onesweep_iterationIS3_Lb1EPKlPlPS5_SB_mNS0_19identity_decomposerENS1_16block_id_wrapperIjLb0EEEEE10hipError_tT1_PNSt15iterator_traitsISG_E10value_typeET2_T3_PNSH_ISM_E10value_typeET4_T5_PSR_SS_PNS1_23onesweep_lookback_stateEbbT6_jjT7_P12ihipStream_tbENKUlT_T0_SG_SL_E_clISA_SA_SB_SB_EEDaSZ_S10_SG_SL_EUlSZ_E_NS1_11comp_targetILNS1_3genE10ELNS1_11target_archE1201ELNS1_3gpuE5ELNS1_3repE0EEENS1_47radix_sort_onesweep_sort_config_static_selectorELNS0_4arch9wavefront6targetE0EEEvSG_,comdat
.Lfunc_end1129:
	.size	_ZN7rocprim17ROCPRIM_400000_NS6detail17trampoline_kernelINS0_14default_configENS1_35radix_sort_onesweep_config_selectorIlNS0_10empty_typeEEEZZNS1_29radix_sort_onesweep_iterationIS3_Lb1EPKlPlPS5_SB_mNS0_19identity_decomposerENS1_16block_id_wrapperIjLb0EEEEE10hipError_tT1_PNSt15iterator_traitsISG_E10value_typeET2_T3_PNSH_ISM_E10value_typeET4_T5_PSR_SS_PNS1_23onesweep_lookback_stateEbbT6_jjT7_P12ihipStream_tbENKUlT_T0_SG_SL_E_clISA_SA_SB_SB_EEDaSZ_S10_SG_SL_EUlSZ_E_NS1_11comp_targetILNS1_3genE10ELNS1_11target_archE1201ELNS1_3gpuE5ELNS1_3repE0EEENS1_47radix_sort_onesweep_sort_config_static_selectorELNS0_4arch9wavefront6targetE0EEEvSG_, .Lfunc_end1129-_ZN7rocprim17ROCPRIM_400000_NS6detail17trampoline_kernelINS0_14default_configENS1_35radix_sort_onesweep_config_selectorIlNS0_10empty_typeEEEZZNS1_29radix_sort_onesweep_iterationIS3_Lb1EPKlPlPS5_SB_mNS0_19identity_decomposerENS1_16block_id_wrapperIjLb0EEEEE10hipError_tT1_PNSt15iterator_traitsISG_E10value_typeET2_T3_PNSH_ISM_E10value_typeET4_T5_PSR_SS_PNS1_23onesweep_lookback_stateEbbT6_jjT7_P12ihipStream_tbENKUlT_T0_SG_SL_E_clISA_SA_SB_SB_EEDaSZ_S10_SG_SL_EUlSZ_E_NS1_11comp_targetILNS1_3genE10ELNS1_11target_archE1201ELNS1_3gpuE5ELNS1_3repE0EEENS1_47radix_sort_onesweep_sort_config_static_selectorELNS0_4arch9wavefront6targetE0EEEvSG_
                                        ; -- End function
	.set _ZN7rocprim17ROCPRIM_400000_NS6detail17trampoline_kernelINS0_14default_configENS1_35radix_sort_onesweep_config_selectorIlNS0_10empty_typeEEEZZNS1_29radix_sort_onesweep_iterationIS3_Lb1EPKlPlPS5_SB_mNS0_19identity_decomposerENS1_16block_id_wrapperIjLb0EEEEE10hipError_tT1_PNSt15iterator_traitsISG_E10value_typeET2_T3_PNSH_ISM_E10value_typeET4_T5_PSR_SS_PNS1_23onesweep_lookback_stateEbbT6_jjT7_P12ihipStream_tbENKUlT_T0_SG_SL_E_clISA_SA_SB_SB_EEDaSZ_S10_SG_SL_EUlSZ_E_NS1_11comp_targetILNS1_3genE10ELNS1_11target_archE1201ELNS1_3gpuE5ELNS1_3repE0EEENS1_47radix_sort_onesweep_sort_config_static_selectorELNS0_4arch9wavefront6targetE0EEEvSG_.num_vgpr, 0
	.set _ZN7rocprim17ROCPRIM_400000_NS6detail17trampoline_kernelINS0_14default_configENS1_35radix_sort_onesweep_config_selectorIlNS0_10empty_typeEEEZZNS1_29radix_sort_onesweep_iterationIS3_Lb1EPKlPlPS5_SB_mNS0_19identity_decomposerENS1_16block_id_wrapperIjLb0EEEEE10hipError_tT1_PNSt15iterator_traitsISG_E10value_typeET2_T3_PNSH_ISM_E10value_typeET4_T5_PSR_SS_PNS1_23onesweep_lookback_stateEbbT6_jjT7_P12ihipStream_tbENKUlT_T0_SG_SL_E_clISA_SA_SB_SB_EEDaSZ_S10_SG_SL_EUlSZ_E_NS1_11comp_targetILNS1_3genE10ELNS1_11target_archE1201ELNS1_3gpuE5ELNS1_3repE0EEENS1_47radix_sort_onesweep_sort_config_static_selectorELNS0_4arch9wavefront6targetE0EEEvSG_.num_agpr, 0
	.set _ZN7rocprim17ROCPRIM_400000_NS6detail17trampoline_kernelINS0_14default_configENS1_35radix_sort_onesweep_config_selectorIlNS0_10empty_typeEEEZZNS1_29radix_sort_onesweep_iterationIS3_Lb1EPKlPlPS5_SB_mNS0_19identity_decomposerENS1_16block_id_wrapperIjLb0EEEEE10hipError_tT1_PNSt15iterator_traitsISG_E10value_typeET2_T3_PNSH_ISM_E10value_typeET4_T5_PSR_SS_PNS1_23onesweep_lookback_stateEbbT6_jjT7_P12ihipStream_tbENKUlT_T0_SG_SL_E_clISA_SA_SB_SB_EEDaSZ_S10_SG_SL_EUlSZ_E_NS1_11comp_targetILNS1_3genE10ELNS1_11target_archE1201ELNS1_3gpuE5ELNS1_3repE0EEENS1_47radix_sort_onesweep_sort_config_static_selectorELNS0_4arch9wavefront6targetE0EEEvSG_.numbered_sgpr, 0
	.set _ZN7rocprim17ROCPRIM_400000_NS6detail17trampoline_kernelINS0_14default_configENS1_35radix_sort_onesweep_config_selectorIlNS0_10empty_typeEEEZZNS1_29radix_sort_onesweep_iterationIS3_Lb1EPKlPlPS5_SB_mNS0_19identity_decomposerENS1_16block_id_wrapperIjLb0EEEEE10hipError_tT1_PNSt15iterator_traitsISG_E10value_typeET2_T3_PNSH_ISM_E10value_typeET4_T5_PSR_SS_PNS1_23onesweep_lookback_stateEbbT6_jjT7_P12ihipStream_tbENKUlT_T0_SG_SL_E_clISA_SA_SB_SB_EEDaSZ_S10_SG_SL_EUlSZ_E_NS1_11comp_targetILNS1_3genE10ELNS1_11target_archE1201ELNS1_3gpuE5ELNS1_3repE0EEENS1_47radix_sort_onesweep_sort_config_static_selectorELNS0_4arch9wavefront6targetE0EEEvSG_.num_named_barrier, 0
	.set _ZN7rocprim17ROCPRIM_400000_NS6detail17trampoline_kernelINS0_14default_configENS1_35radix_sort_onesweep_config_selectorIlNS0_10empty_typeEEEZZNS1_29radix_sort_onesweep_iterationIS3_Lb1EPKlPlPS5_SB_mNS0_19identity_decomposerENS1_16block_id_wrapperIjLb0EEEEE10hipError_tT1_PNSt15iterator_traitsISG_E10value_typeET2_T3_PNSH_ISM_E10value_typeET4_T5_PSR_SS_PNS1_23onesweep_lookback_stateEbbT6_jjT7_P12ihipStream_tbENKUlT_T0_SG_SL_E_clISA_SA_SB_SB_EEDaSZ_S10_SG_SL_EUlSZ_E_NS1_11comp_targetILNS1_3genE10ELNS1_11target_archE1201ELNS1_3gpuE5ELNS1_3repE0EEENS1_47radix_sort_onesweep_sort_config_static_selectorELNS0_4arch9wavefront6targetE0EEEvSG_.private_seg_size, 0
	.set _ZN7rocprim17ROCPRIM_400000_NS6detail17trampoline_kernelINS0_14default_configENS1_35radix_sort_onesweep_config_selectorIlNS0_10empty_typeEEEZZNS1_29radix_sort_onesweep_iterationIS3_Lb1EPKlPlPS5_SB_mNS0_19identity_decomposerENS1_16block_id_wrapperIjLb0EEEEE10hipError_tT1_PNSt15iterator_traitsISG_E10value_typeET2_T3_PNSH_ISM_E10value_typeET4_T5_PSR_SS_PNS1_23onesweep_lookback_stateEbbT6_jjT7_P12ihipStream_tbENKUlT_T0_SG_SL_E_clISA_SA_SB_SB_EEDaSZ_S10_SG_SL_EUlSZ_E_NS1_11comp_targetILNS1_3genE10ELNS1_11target_archE1201ELNS1_3gpuE5ELNS1_3repE0EEENS1_47radix_sort_onesweep_sort_config_static_selectorELNS0_4arch9wavefront6targetE0EEEvSG_.uses_vcc, 0
	.set _ZN7rocprim17ROCPRIM_400000_NS6detail17trampoline_kernelINS0_14default_configENS1_35radix_sort_onesweep_config_selectorIlNS0_10empty_typeEEEZZNS1_29radix_sort_onesweep_iterationIS3_Lb1EPKlPlPS5_SB_mNS0_19identity_decomposerENS1_16block_id_wrapperIjLb0EEEEE10hipError_tT1_PNSt15iterator_traitsISG_E10value_typeET2_T3_PNSH_ISM_E10value_typeET4_T5_PSR_SS_PNS1_23onesweep_lookback_stateEbbT6_jjT7_P12ihipStream_tbENKUlT_T0_SG_SL_E_clISA_SA_SB_SB_EEDaSZ_S10_SG_SL_EUlSZ_E_NS1_11comp_targetILNS1_3genE10ELNS1_11target_archE1201ELNS1_3gpuE5ELNS1_3repE0EEENS1_47radix_sort_onesweep_sort_config_static_selectorELNS0_4arch9wavefront6targetE0EEEvSG_.uses_flat_scratch, 0
	.set _ZN7rocprim17ROCPRIM_400000_NS6detail17trampoline_kernelINS0_14default_configENS1_35radix_sort_onesweep_config_selectorIlNS0_10empty_typeEEEZZNS1_29radix_sort_onesweep_iterationIS3_Lb1EPKlPlPS5_SB_mNS0_19identity_decomposerENS1_16block_id_wrapperIjLb0EEEEE10hipError_tT1_PNSt15iterator_traitsISG_E10value_typeET2_T3_PNSH_ISM_E10value_typeET4_T5_PSR_SS_PNS1_23onesweep_lookback_stateEbbT6_jjT7_P12ihipStream_tbENKUlT_T0_SG_SL_E_clISA_SA_SB_SB_EEDaSZ_S10_SG_SL_EUlSZ_E_NS1_11comp_targetILNS1_3genE10ELNS1_11target_archE1201ELNS1_3gpuE5ELNS1_3repE0EEENS1_47radix_sort_onesweep_sort_config_static_selectorELNS0_4arch9wavefront6targetE0EEEvSG_.has_dyn_sized_stack, 0
	.set _ZN7rocprim17ROCPRIM_400000_NS6detail17trampoline_kernelINS0_14default_configENS1_35radix_sort_onesweep_config_selectorIlNS0_10empty_typeEEEZZNS1_29radix_sort_onesweep_iterationIS3_Lb1EPKlPlPS5_SB_mNS0_19identity_decomposerENS1_16block_id_wrapperIjLb0EEEEE10hipError_tT1_PNSt15iterator_traitsISG_E10value_typeET2_T3_PNSH_ISM_E10value_typeET4_T5_PSR_SS_PNS1_23onesweep_lookback_stateEbbT6_jjT7_P12ihipStream_tbENKUlT_T0_SG_SL_E_clISA_SA_SB_SB_EEDaSZ_S10_SG_SL_EUlSZ_E_NS1_11comp_targetILNS1_3genE10ELNS1_11target_archE1201ELNS1_3gpuE5ELNS1_3repE0EEENS1_47radix_sort_onesweep_sort_config_static_selectorELNS0_4arch9wavefront6targetE0EEEvSG_.has_recursion, 0
	.set _ZN7rocprim17ROCPRIM_400000_NS6detail17trampoline_kernelINS0_14default_configENS1_35radix_sort_onesweep_config_selectorIlNS0_10empty_typeEEEZZNS1_29radix_sort_onesweep_iterationIS3_Lb1EPKlPlPS5_SB_mNS0_19identity_decomposerENS1_16block_id_wrapperIjLb0EEEEE10hipError_tT1_PNSt15iterator_traitsISG_E10value_typeET2_T3_PNSH_ISM_E10value_typeET4_T5_PSR_SS_PNS1_23onesweep_lookback_stateEbbT6_jjT7_P12ihipStream_tbENKUlT_T0_SG_SL_E_clISA_SA_SB_SB_EEDaSZ_S10_SG_SL_EUlSZ_E_NS1_11comp_targetILNS1_3genE10ELNS1_11target_archE1201ELNS1_3gpuE5ELNS1_3repE0EEENS1_47radix_sort_onesweep_sort_config_static_selectorELNS0_4arch9wavefront6targetE0EEEvSG_.has_indirect_call, 0
	.section	.AMDGPU.csdata,"",@progbits
; Kernel info:
; codeLenInByte = 0
; TotalNumSgprs: 0
; NumVgprs: 0
; ScratchSize: 0
; MemoryBound: 0
; FloatMode: 240
; IeeeMode: 1
; LDSByteSize: 0 bytes/workgroup (compile time only)
; SGPRBlocks: 0
; VGPRBlocks: 0
; NumSGPRsForWavesPerEU: 1
; NumVGPRsForWavesPerEU: 1
; NamedBarCnt: 0
; Occupancy: 16
; WaveLimiterHint : 0
; COMPUTE_PGM_RSRC2:SCRATCH_EN: 0
; COMPUTE_PGM_RSRC2:USER_SGPR: 2
; COMPUTE_PGM_RSRC2:TRAP_HANDLER: 0
; COMPUTE_PGM_RSRC2:TGID_X_EN: 1
; COMPUTE_PGM_RSRC2:TGID_Y_EN: 0
; COMPUTE_PGM_RSRC2:TGID_Z_EN: 0
; COMPUTE_PGM_RSRC2:TIDIG_COMP_CNT: 0
	.section	.text._ZN7rocprim17ROCPRIM_400000_NS6detail17trampoline_kernelINS0_14default_configENS1_35radix_sort_onesweep_config_selectorIlNS0_10empty_typeEEEZZNS1_29radix_sort_onesweep_iterationIS3_Lb1EPKlPlPS5_SB_mNS0_19identity_decomposerENS1_16block_id_wrapperIjLb0EEEEE10hipError_tT1_PNSt15iterator_traitsISG_E10value_typeET2_T3_PNSH_ISM_E10value_typeET4_T5_PSR_SS_PNS1_23onesweep_lookback_stateEbbT6_jjT7_P12ihipStream_tbENKUlT_T0_SG_SL_E_clISA_SA_SB_SB_EEDaSZ_S10_SG_SL_EUlSZ_E_NS1_11comp_targetILNS1_3genE9ELNS1_11target_archE1100ELNS1_3gpuE3ELNS1_3repE0EEENS1_47radix_sort_onesweep_sort_config_static_selectorELNS0_4arch9wavefront6targetE0EEEvSG_,"axG",@progbits,_ZN7rocprim17ROCPRIM_400000_NS6detail17trampoline_kernelINS0_14default_configENS1_35radix_sort_onesweep_config_selectorIlNS0_10empty_typeEEEZZNS1_29radix_sort_onesweep_iterationIS3_Lb1EPKlPlPS5_SB_mNS0_19identity_decomposerENS1_16block_id_wrapperIjLb0EEEEE10hipError_tT1_PNSt15iterator_traitsISG_E10value_typeET2_T3_PNSH_ISM_E10value_typeET4_T5_PSR_SS_PNS1_23onesweep_lookback_stateEbbT6_jjT7_P12ihipStream_tbENKUlT_T0_SG_SL_E_clISA_SA_SB_SB_EEDaSZ_S10_SG_SL_EUlSZ_E_NS1_11comp_targetILNS1_3genE9ELNS1_11target_archE1100ELNS1_3gpuE3ELNS1_3repE0EEENS1_47radix_sort_onesweep_sort_config_static_selectorELNS0_4arch9wavefront6targetE0EEEvSG_,comdat
	.protected	_ZN7rocprim17ROCPRIM_400000_NS6detail17trampoline_kernelINS0_14default_configENS1_35radix_sort_onesweep_config_selectorIlNS0_10empty_typeEEEZZNS1_29radix_sort_onesweep_iterationIS3_Lb1EPKlPlPS5_SB_mNS0_19identity_decomposerENS1_16block_id_wrapperIjLb0EEEEE10hipError_tT1_PNSt15iterator_traitsISG_E10value_typeET2_T3_PNSH_ISM_E10value_typeET4_T5_PSR_SS_PNS1_23onesweep_lookback_stateEbbT6_jjT7_P12ihipStream_tbENKUlT_T0_SG_SL_E_clISA_SA_SB_SB_EEDaSZ_S10_SG_SL_EUlSZ_E_NS1_11comp_targetILNS1_3genE9ELNS1_11target_archE1100ELNS1_3gpuE3ELNS1_3repE0EEENS1_47radix_sort_onesweep_sort_config_static_selectorELNS0_4arch9wavefront6targetE0EEEvSG_ ; -- Begin function _ZN7rocprim17ROCPRIM_400000_NS6detail17trampoline_kernelINS0_14default_configENS1_35radix_sort_onesweep_config_selectorIlNS0_10empty_typeEEEZZNS1_29radix_sort_onesweep_iterationIS3_Lb1EPKlPlPS5_SB_mNS0_19identity_decomposerENS1_16block_id_wrapperIjLb0EEEEE10hipError_tT1_PNSt15iterator_traitsISG_E10value_typeET2_T3_PNSH_ISM_E10value_typeET4_T5_PSR_SS_PNS1_23onesweep_lookback_stateEbbT6_jjT7_P12ihipStream_tbENKUlT_T0_SG_SL_E_clISA_SA_SB_SB_EEDaSZ_S10_SG_SL_EUlSZ_E_NS1_11comp_targetILNS1_3genE9ELNS1_11target_archE1100ELNS1_3gpuE3ELNS1_3repE0EEENS1_47radix_sort_onesweep_sort_config_static_selectorELNS0_4arch9wavefront6targetE0EEEvSG_
	.globl	_ZN7rocprim17ROCPRIM_400000_NS6detail17trampoline_kernelINS0_14default_configENS1_35radix_sort_onesweep_config_selectorIlNS0_10empty_typeEEEZZNS1_29radix_sort_onesweep_iterationIS3_Lb1EPKlPlPS5_SB_mNS0_19identity_decomposerENS1_16block_id_wrapperIjLb0EEEEE10hipError_tT1_PNSt15iterator_traitsISG_E10value_typeET2_T3_PNSH_ISM_E10value_typeET4_T5_PSR_SS_PNS1_23onesweep_lookback_stateEbbT6_jjT7_P12ihipStream_tbENKUlT_T0_SG_SL_E_clISA_SA_SB_SB_EEDaSZ_S10_SG_SL_EUlSZ_E_NS1_11comp_targetILNS1_3genE9ELNS1_11target_archE1100ELNS1_3gpuE3ELNS1_3repE0EEENS1_47radix_sort_onesweep_sort_config_static_selectorELNS0_4arch9wavefront6targetE0EEEvSG_
	.p2align	8
	.type	_ZN7rocprim17ROCPRIM_400000_NS6detail17trampoline_kernelINS0_14default_configENS1_35radix_sort_onesweep_config_selectorIlNS0_10empty_typeEEEZZNS1_29radix_sort_onesweep_iterationIS3_Lb1EPKlPlPS5_SB_mNS0_19identity_decomposerENS1_16block_id_wrapperIjLb0EEEEE10hipError_tT1_PNSt15iterator_traitsISG_E10value_typeET2_T3_PNSH_ISM_E10value_typeET4_T5_PSR_SS_PNS1_23onesweep_lookback_stateEbbT6_jjT7_P12ihipStream_tbENKUlT_T0_SG_SL_E_clISA_SA_SB_SB_EEDaSZ_S10_SG_SL_EUlSZ_E_NS1_11comp_targetILNS1_3genE9ELNS1_11target_archE1100ELNS1_3gpuE3ELNS1_3repE0EEENS1_47radix_sort_onesweep_sort_config_static_selectorELNS0_4arch9wavefront6targetE0EEEvSG_,@function
_ZN7rocprim17ROCPRIM_400000_NS6detail17trampoline_kernelINS0_14default_configENS1_35radix_sort_onesweep_config_selectorIlNS0_10empty_typeEEEZZNS1_29radix_sort_onesweep_iterationIS3_Lb1EPKlPlPS5_SB_mNS0_19identity_decomposerENS1_16block_id_wrapperIjLb0EEEEE10hipError_tT1_PNSt15iterator_traitsISG_E10value_typeET2_T3_PNSH_ISM_E10value_typeET4_T5_PSR_SS_PNS1_23onesweep_lookback_stateEbbT6_jjT7_P12ihipStream_tbENKUlT_T0_SG_SL_E_clISA_SA_SB_SB_EEDaSZ_S10_SG_SL_EUlSZ_E_NS1_11comp_targetILNS1_3genE9ELNS1_11target_archE1100ELNS1_3gpuE3ELNS1_3repE0EEENS1_47radix_sort_onesweep_sort_config_static_selectorELNS0_4arch9wavefront6targetE0EEEvSG_: ; @_ZN7rocprim17ROCPRIM_400000_NS6detail17trampoline_kernelINS0_14default_configENS1_35radix_sort_onesweep_config_selectorIlNS0_10empty_typeEEEZZNS1_29radix_sort_onesweep_iterationIS3_Lb1EPKlPlPS5_SB_mNS0_19identity_decomposerENS1_16block_id_wrapperIjLb0EEEEE10hipError_tT1_PNSt15iterator_traitsISG_E10value_typeET2_T3_PNSH_ISM_E10value_typeET4_T5_PSR_SS_PNS1_23onesweep_lookback_stateEbbT6_jjT7_P12ihipStream_tbENKUlT_T0_SG_SL_E_clISA_SA_SB_SB_EEDaSZ_S10_SG_SL_EUlSZ_E_NS1_11comp_targetILNS1_3genE9ELNS1_11target_archE1100ELNS1_3gpuE3ELNS1_3repE0EEENS1_47radix_sort_onesweep_sort_config_static_selectorELNS0_4arch9wavefront6targetE0EEEvSG_
; %bb.0:
	.section	.rodata,"a",@progbits
	.p2align	6, 0x0
	.amdhsa_kernel _ZN7rocprim17ROCPRIM_400000_NS6detail17trampoline_kernelINS0_14default_configENS1_35radix_sort_onesweep_config_selectorIlNS0_10empty_typeEEEZZNS1_29radix_sort_onesweep_iterationIS3_Lb1EPKlPlPS5_SB_mNS0_19identity_decomposerENS1_16block_id_wrapperIjLb0EEEEE10hipError_tT1_PNSt15iterator_traitsISG_E10value_typeET2_T3_PNSH_ISM_E10value_typeET4_T5_PSR_SS_PNS1_23onesweep_lookback_stateEbbT6_jjT7_P12ihipStream_tbENKUlT_T0_SG_SL_E_clISA_SA_SB_SB_EEDaSZ_S10_SG_SL_EUlSZ_E_NS1_11comp_targetILNS1_3genE9ELNS1_11target_archE1100ELNS1_3gpuE3ELNS1_3repE0EEENS1_47radix_sort_onesweep_sort_config_static_selectorELNS0_4arch9wavefront6targetE0EEEvSG_
		.amdhsa_group_segment_fixed_size 0
		.amdhsa_private_segment_fixed_size 0
		.amdhsa_kernarg_size 88
		.amdhsa_user_sgpr_count 2
		.amdhsa_user_sgpr_dispatch_ptr 0
		.amdhsa_user_sgpr_queue_ptr 0
		.amdhsa_user_sgpr_kernarg_segment_ptr 1
		.amdhsa_user_sgpr_dispatch_id 0
		.amdhsa_user_sgpr_kernarg_preload_length 0
		.amdhsa_user_sgpr_kernarg_preload_offset 0
		.amdhsa_user_sgpr_private_segment_size 0
		.amdhsa_wavefront_size32 1
		.amdhsa_uses_dynamic_stack 0
		.amdhsa_enable_private_segment 0
		.amdhsa_system_sgpr_workgroup_id_x 1
		.amdhsa_system_sgpr_workgroup_id_y 0
		.amdhsa_system_sgpr_workgroup_id_z 0
		.amdhsa_system_sgpr_workgroup_info 0
		.amdhsa_system_vgpr_workitem_id 0
		.amdhsa_next_free_vgpr 1
		.amdhsa_next_free_sgpr 1
		.amdhsa_named_barrier_count 0
		.amdhsa_reserve_vcc 0
		.amdhsa_float_round_mode_32 0
		.amdhsa_float_round_mode_16_64 0
		.amdhsa_float_denorm_mode_32 3
		.amdhsa_float_denorm_mode_16_64 3
		.amdhsa_fp16_overflow 0
		.amdhsa_memory_ordered 1
		.amdhsa_forward_progress 1
		.amdhsa_inst_pref_size 0
		.amdhsa_round_robin_scheduling 0
		.amdhsa_exception_fp_ieee_invalid_op 0
		.amdhsa_exception_fp_denorm_src 0
		.amdhsa_exception_fp_ieee_div_zero 0
		.amdhsa_exception_fp_ieee_overflow 0
		.amdhsa_exception_fp_ieee_underflow 0
		.amdhsa_exception_fp_ieee_inexact 0
		.amdhsa_exception_int_div_zero 0
	.end_amdhsa_kernel
	.section	.text._ZN7rocprim17ROCPRIM_400000_NS6detail17trampoline_kernelINS0_14default_configENS1_35radix_sort_onesweep_config_selectorIlNS0_10empty_typeEEEZZNS1_29radix_sort_onesweep_iterationIS3_Lb1EPKlPlPS5_SB_mNS0_19identity_decomposerENS1_16block_id_wrapperIjLb0EEEEE10hipError_tT1_PNSt15iterator_traitsISG_E10value_typeET2_T3_PNSH_ISM_E10value_typeET4_T5_PSR_SS_PNS1_23onesweep_lookback_stateEbbT6_jjT7_P12ihipStream_tbENKUlT_T0_SG_SL_E_clISA_SA_SB_SB_EEDaSZ_S10_SG_SL_EUlSZ_E_NS1_11comp_targetILNS1_3genE9ELNS1_11target_archE1100ELNS1_3gpuE3ELNS1_3repE0EEENS1_47radix_sort_onesweep_sort_config_static_selectorELNS0_4arch9wavefront6targetE0EEEvSG_,"axG",@progbits,_ZN7rocprim17ROCPRIM_400000_NS6detail17trampoline_kernelINS0_14default_configENS1_35radix_sort_onesweep_config_selectorIlNS0_10empty_typeEEEZZNS1_29radix_sort_onesweep_iterationIS3_Lb1EPKlPlPS5_SB_mNS0_19identity_decomposerENS1_16block_id_wrapperIjLb0EEEEE10hipError_tT1_PNSt15iterator_traitsISG_E10value_typeET2_T3_PNSH_ISM_E10value_typeET4_T5_PSR_SS_PNS1_23onesweep_lookback_stateEbbT6_jjT7_P12ihipStream_tbENKUlT_T0_SG_SL_E_clISA_SA_SB_SB_EEDaSZ_S10_SG_SL_EUlSZ_E_NS1_11comp_targetILNS1_3genE9ELNS1_11target_archE1100ELNS1_3gpuE3ELNS1_3repE0EEENS1_47radix_sort_onesweep_sort_config_static_selectorELNS0_4arch9wavefront6targetE0EEEvSG_,comdat
.Lfunc_end1130:
	.size	_ZN7rocprim17ROCPRIM_400000_NS6detail17trampoline_kernelINS0_14default_configENS1_35radix_sort_onesweep_config_selectorIlNS0_10empty_typeEEEZZNS1_29radix_sort_onesweep_iterationIS3_Lb1EPKlPlPS5_SB_mNS0_19identity_decomposerENS1_16block_id_wrapperIjLb0EEEEE10hipError_tT1_PNSt15iterator_traitsISG_E10value_typeET2_T3_PNSH_ISM_E10value_typeET4_T5_PSR_SS_PNS1_23onesweep_lookback_stateEbbT6_jjT7_P12ihipStream_tbENKUlT_T0_SG_SL_E_clISA_SA_SB_SB_EEDaSZ_S10_SG_SL_EUlSZ_E_NS1_11comp_targetILNS1_3genE9ELNS1_11target_archE1100ELNS1_3gpuE3ELNS1_3repE0EEENS1_47radix_sort_onesweep_sort_config_static_selectorELNS0_4arch9wavefront6targetE0EEEvSG_, .Lfunc_end1130-_ZN7rocprim17ROCPRIM_400000_NS6detail17trampoline_kernelINS0_14default_configENS1_35radix_sort_onesweep_config_selectorIlNS0_10empty_typeEEEZZNS1_29radix_sort_onesweep_iterationIS3_Lb1EPKlPlPS5_SB_mNS0_19identity_decomposerENS1_16block_id_wrapperIjLb0EEEEE10hipError_tT1_PNSt15iterator_traitsISG_E10value_typeET2_T3_PNSH_ISM_E10value_typeET4_T5_PSR_SS_PNS1_23onesweep_lookback_stateEbbT6_jjT7_P12ihipStream_tbENKUlT_T0_SG_SL_E_clISA_SA_SB_SB_EEDaSZ_S10_SG_SL_EUlSZ_E_NS1_11comp_targetILNS1_3genE9ELNS1_11target_archE1100ELNS1_3gpuE3ELNS1_3repE0EEENS1_47radix_sort_onesweep_sort_config_static_selectorELNS0_4arch9wavefront6targetE0EEEvSG_
                                        ; -- End function
	.set _ZN7rocprim17ROCPRIM_400000_NS6detail17trampoline_kernelINS0_14default_configENS1_35radix_sort_onesweep_config_selectorIlNS0_10empty_typeEEEZZNS1_29radix_sort_onesweep_iterationIS3_Lb1EPKlPlPS5_SB_mNS0_19identity_decomposerENS1_16block_id_wrapperIjLb0EEEEE10hipError_tT1_PNSt15iterator_traitsISG_E10value_typeET2_T3_PNSH_ISM_E10value_typeET4_T5_PSR_SS_PNS1_23onesweep_lookback_stateEbbT6_jjT7_P12ihipStream_tbENKUlT_T0_SG_SL_E_clISA_SA_SB_SB_EEDaSZ_S10_SG_SL_EUlSZ_E_NS1_11comp_targetILNS1_3genE9ELNS1_11target_archE1100ELNS1_3gpuE3ELNS1_3repE0EEENS1_47radix_sort_onesweep_sort_config_static_selectorELNS0_4arch9wavefront6targetE0EEEvSG_.num_vgpr, 0
	.set _ZN7rocprim17ROCPRIM_400000_NS6detail17trampoline_kernelINS0_14default_configENS1_35radix_sort_onesweep_config_selectorIlNS0_10empty_typeEEEZZNS1_29radix_sort_onesweep_iterationIS3_Lb1EPKlPlPS5_SB_mNS0_19identity_decomposerENS1_16block_id_wrapperIjLb0EEEEE10hipError_tT1_PNSt15iterator_traitsISG_E10value_typeET2_T3_PNSH_ISM_E10value_typeET4_T5_PSR_SS_PNS1_23onesweep_lookback_stateEbbT6_jjT7_P12ihipStream_tbENKUlT_T0_SG_SL_E_clISA_SA_SB_SB_EEDaSZ_S10_SG_SL_EUlSZ_E_NS1_11comp_targetILNS1_3genE9ELNS1_11target_archE1100ELNS1_3gpuE3ELNS1_3repE0EEENS1_47radix_sort_onesweep_sort_config_static_selectorELNS0_4arch9wavefront6targetE0EEEvSG_.num_agpr, 0
	.set _ZN7rocprim17ROCPRIM_400000_NS6detail17trampoline_kernelINS0_14default_configENS1_35radix_sort_onesweep_config_selectorIlNS0_10empty_typeEEEZZNS1_29radix_sort_onesweep_iterationIS3_Lb1EPKlPlPS5_SB_mNS0_19identity_decomposerENS1_16block_id_wrapperIjLb0EEEEE10hipError_tT1_PNSt15iterator_traitsISG_E10value_typeET2_T3_PNSH_ISM_E10value_typeET4_T5_PSR_SS_PNS1_23onesweep_lookback_stateEbbT6_jjT7_P12ihipStream_tbENKUlT_T0_SG_SL_E_clISA_SA_SB_SB_EEDaSZ_S10_SG_SL_EUlSZ_E_NS1_11comp_targetILNS1_3genE9ELNS1_11target_archE1100ELNS1_3gpuE3ELNS1_3repE0EEENS1_47radix_sort_onesweep_sort_config_static_selectorELNS0_4arch9wavefront6targetE0EEEvSG_.numbered_sgpr, 0
	.set _ZN7rocprim17ROCPRIM_400000_NS6detail17trampoline_kernelINS0_14default_configENS1_35radix_sort_onesweep_config_selectorIlNS0_10empty_typeEEEZZNS1_29radix_sort_onesweep_iterationIS3_Lb1EPKlPlPS5_SB_mNS0_19identity_decomposerENS1_16block_id_wrapperIjLb0EEEEE10hipError_tT1_PNSt15iterator_traitsISG_E10value_typeET2_T3_PNSH_ISM_E10value_typeET4_T5_PSR_SS_PNS1_23onesweep_lookback_stateEbbT6_jjT7_P12ihipStream_tbENKUlT_T0_SG_SL_E_clISA_SA_SB_SB_EEDaSZ_S10_SG_SL_EUlSZ_E_NS1_11comp_targetILNS1_3genE9ELNS1_11target_archE1100ELNS1_3gpuE3ELNS1_3repE0EEENS1_47radix_sort_onesweep_sort_config_static_selectorELNS0_4arch9wavefront6targetE0EEEvSG_.num_named_barrier, 0
	.set _ZN7rocprim17ROCPRIM_400000_NS6detail17trampoline_kernelINS0_14default_configENS1_35radix_sort_onesweep_config_selectorIlNS0_10empty_typeEEEZZNS1_29radix_sort_onesweep_iterationIS3_Lb1EPKlPlPS5_SB_mNS0_19identity_decomposerENS1_16block_id_wrapperIjLb0EEEEE10hipError_tT1_PNSt15iterator_traitsISG_E10value_typeET2_T3_PNSH_ISM_E10value_typeET4_T5_PSR_SS_PNS1_23onesweep_lookback_stateEbbT6_jjT7_P12ihipStream_tbENKUlT_T0_SG_SL_E_clISA_SA_SB_SB_EEDaSZ_S10_SG_SL_EUlSZ_E_NS1_11comp_targetILNS1_3genE9ELNS1_11target_archE1100ELNS1_3gpuE3ELNS1_3repE0EEENS1_47radix_sort_onesweep_sort_config_static_selectorELNS0_4arch9wavefront6targetE0EEEvSG_.private_seg_size, 0
	.set _ZN7rocprim17ROCPRIM_400000_NS6detail17trampoline_kernelINS0_14default_configENS1_35radix_sort_onesweep_config_selectorIlNS0_10empty_typeEEEZZNS1_29radix_sort_onesweep_iterationIS3_Lb1EPKlPlPS5_SB_mNS0_19identity_decomposerENS1_16block_id_wrapperIjLb0EEEEE10hipError_tT1_PNSt15iterator_traitsISG_E10value_typeET2_T3_PNSH_ISM_E10value_typeET4_T5_PSR_SS_PNS1_23onesweep_lookback_stateEbbT6_jjT7_P12ihipStream_tbENKUlT_T0_SG_SL_E_clISA_SA_SB_SB_EEDaSZ_S10_SG_SL_EUlSZ_E_NS1_11comp_targetILNS1_3genE9ELNS1_11target_archE1100ELNS1_3gpuE3ELNS1_3repE0EEENS1_47radix_sort_onesweep_sort_config_static_selectorELNS0_4arch9wavefront6targetE0EEEvSG_.uses_vcc, 0
	.set _ZN7rocprim17ROCPRIM_400000_NS6detail17trampoline_kernelINS0_14default_configENS1_35radix_sort_onesweep_config_selectorIlNS0_10empty_typeEEEZZNS1_29radix_sort_onesweep_iterationIS3_Lb1EPKlPlPS5_SB_mNS0_19identity_decomposerENS1_16block_id_wrapperIjLb0EEEEE10hipError_tT1_PNSt15iterator_traitsISG_E10value_typeET2_T3_PNSH_ISM_E10value_typeET4_T5_PSR_SS_PNS1_23onesweep_lookback_stateEbbT6_jjT7_P12ihipStream_tbENKUlT_T0_SG_SL_E_clISA_SA_SB_SB_EEDaSZ_S10_SG_SL_EUlSZ_E_NS1_11comp_targetILNS1_3genE9ELNS1_11target_archE1100ELNS1_3gpuE3ELNS1_3repE0EEENS1_47radix_sort_onesweep_sort_config_static_selectorELNS0_4arch9wavefront6targetE0EEEvSG_.uses_flat_scratch, 0
	.set _ZN7rocprim17ROCPRIM_400000_NS6detail17trampoline_kernelINS0_14default_configENS1_35radix_sort_onesweep_config_selectorIlNS0_10empty_typeEEEZZNS1_29radix_sort_onesweep_iterationIS3_Lb1EPKlPlPS5_SB_mNS0_19identity_decomposerENS1_16block_id_wrapperIjLb0EEEEE10hipError_tT1_PNSt15iterator_traitsISG_E10value_typeET2_T3_PNSH_ISM_E10value_typeET4_T5_PSR_SS_PNS1_23onesweep_lookback_stateEbbT6_jjT7_P12ihipStream_tbENKUlT_T0_SG_SL_E_clISA_SA_SB_SB_EEDaSZ_S10_SG_SL_EUlSZ_E_NS1_11comp_targetILNS1_3genE9ELNS1_11target_archE1100ELNS1_3gpuE3ELNS1_3repE0EEENS1_47radix_sort_onesweep_sort_config_static_selectorELNS0_4arch9wavefront6targetE0EEEvSG_.has_dyn_sized_stack, 0
	.set _ZN7rocprim17ROCPRIM_400000_NS6detail17trampoline_kernelINS0_14default_configENS1_35radix_sort_onesweep_config_selectorIlNS0_10empty_typeEEEZZNS1_29radix_sort_onesweep_iterationIS3_Lb1EPKlPlPS5_SB_mNS0_19identity_decomposerENS1_16block_id_wrapperIjLb0EEEEE10hipError_tT1_PNSt15iterator_traitsISG_E10value_typeET2_T3_PNSH_ISM_E10value_typeET4_T5_PSR_SS_PNS1_23onesweep_lookback_stateEbbT6_jjT7_P12ihipStream_tbENKUlT_T0_SG_SL_E_clISA_SA_SB_SB_EEDaSZ_S10_SG_SL_EUlSZ_E_NS1_11comp_targetILNS1_3genE9ELNS1_11target_archE1100ELNS1_3gpuE3ELNS1_3repE0EEENS1_47radix_sort_onesweep_sort_config_static_selectorELNS0_4arch9wavefront6targetE0EEEvSG_.has_recursion, 0
	.set _ZN7rocprim17ROCPRIM_400000_NS6detail17trampoline_kernelINS0_14default_configENS1_35radix_sort_onesweep_config_selectorIlNS0_10empty_typeEEEZZNS1_29radix_sort_onesweep_iterationIS3_Lb1EPKlPlPS5_SB_mNS0_19identity_decomposerENS1_16block_id_wrapperIjLb0EEEEE10hipError_tT1_PNSt15iterator_traitsISG_E10value_typeET2_T3_PNSH_ISM_E10value_typeET4_T5_PSR_SS_PNS1_23onesweep_lookback_stateEbbT6_jjT7_P12ihipStream_tbENKUlT_T0_SG_SL_E_clISA_SA_SB_SB_EEDaSZ_S10_SG_SL_EUlSZ_E_NS1_11comp_targetILNS1_3genE9ELNS1_11target_archE1100ELNS1_3gpuE3ELNS1_3repE0EEENS1_47radix_sort_onesweep_sort_config_static_selectorELNS0_4arch9wavefront6targetE0EEEvSG_.has_indirect_call, 0
	.section	.AMDGPU.csdata,"",@progbits
; Kernel info:
; codeLenInByte = 0
; TotalNumSgprs: 0
; NumVgprs: 0
; ScratchSize: 0
; MemoryBound: 0
; FloatMode: 240
; IeeeMode: 1
; LDSByteSize: 0 bytes/workgroup (compile time only)
; SGPRBlocks: 0
; VGPRBlocks: 0
; NumSGPRsForWavesPerEU: 1
; NumVGPRsForWavesPerEU: 1
; NamedBarCnt: 0
; Occupancy: 16
; WaveLimiterHint : 0
; COMPUTE_PGM_RSRC2:SCRATCH_EN: 0
; COMPUTE_PGM_RSRC2:USER_SGPR: 2
; COMPUTE_PGM_RSRC2:TRAP_HANDLER: 0
; COMPUTE_PGM_RSRC2:TGID_X_EN: 1
; COMPUTE_PGM_RSRC2:TGID_Y_EN: 0
; COMPUTE_PGM_RSRC2:TGID_Z_EN: 0
; COMPUTE_PGM_RSRC2:TIDIG_COMP_CNT: 0
	.section	.text._ZN7rocprim17ROCPRIM_400000_NS6detail17trampoline_kernelINS0_14default_configENS1_35radix_sort_onesweep_config_selectorIlNS0_10empty_typeEEEZZNS1_29radix_sort_onesweep_iterationIS3_Lb1EPKlPlPS5_SB_mNS0_19identity_decomposerENS1_16block_id_wrapperIjLb0EEEEE10hipError_tT1_PNSt15iterator_traitsISG_E10value_typeET2_T3_PNSH_ISM_E10value_typeET4_T5_PSR_SS_PNS1_23onesweep_lookback_stateEbbT6_jjT7_P12ihipStream_tbENKUlT_T0_SG_SL_E_clISA_SA_SB_SB_EEDaSZ_S10_SG_SL_EUlSZ_E_NS1_11comp_targetILNS1_3genE8ELNS1_11target_archE1030ELNS1_3gpuE2ELNS1_3repE0EEENS1_47radix_sort_onesweep_sort_config_static_selectorELNS0_4arch9wavefront6targetE0EEEvSG_,"axG",@progbits,_ZN7rocprim17ROCPRIM_400000_NS6detail17trampoline_kernelINS0_14default_configENS1_35radix_sort_onesweep_config_selectorIlNS0_10empty_typeEEEZZNS1_29radix_sort_onesweep_iterationIS3_Lb1EPKlPlPS5_SB_mNS0_19identity_decomposerENS1_16block_id_wrapperIjLb0EEEEE10hipError_tT1_PNSt15iterator_traitsISG_E10value_typeET2_T3_PNSH_ISM_E10value_typeET4_T5_PSR_SS_PNS1_23onesweep_lookback_stateEbbT6_jjT7_P12ihipStream_tbENKUlT_T0_SG_SL_E_clISA_SA_SB_SB_EEDaSZ_S10_SG_SL_EUlSZ_E_NS1_11comp_targetILNS1_3genE8ELNS1_11target_archE1030ELNS1_3gpuE2ELNS1_3repE0EEENS1_47radix_sort_onesweep_sort_config_static_selectorELNS0_4arch9wavefront6targetE0EEEvSG_,comdat
	.protected	_ZN7rocprim17ROCPRIM_400000_NS6detail17trampoline_kernelINS0_14default_configENS1_35radix_sort_onesweep_config_selectorIlNS0_10empty_typeEEEZZNS1_29radix_sort_onesweep_iterationIS3_Lb1EPKlPlPS5_SB_mNS0_19identity_decomposerENS1_16block_id_wrapperIjLb0EEEEE10hipError_tT1_PNSt15iterator_traitsISG_E10value_typeET2_T3_PNSH_ISM_E10value_typeET4_T5_PSR_SS_PNS1_23onesweep_lookback_stateEbbT6_jjT7_P12ihipStream_tbENKUlT_T0_SG_SL_E_clISA_SA_SB_SB_EEDaSZ_S10_SG_SL_EUlSZ_E_NS1_11comp_targetILNS1_3genE8ELNS1_11target_archE1030ELNS1_3gpuE2ELNS1_3repE0EEENS1_47radix_sort_onesweep_sort_config_static_selectorELNS0_4arch9wavefront6targetE0EEEvSG_ ; -- Begin function _ZN7rocprim17ROCPRIM_400000_NS6detail17trampoline_kernelINS0_14default_configENS1_35radix_sort_onesweep_config_selectorIlNS0_10empty_typeEEEZZNS1_29radix_sort_onesweep_iterationIS3_Lb1EPKlPlPS5_SB_mNS0_19identity_decomposerENS1_16block_id_wrapperIjLb0EEEEE10hipError_tT1_PNSt15iterator_traitsISG_E10value_typeET2_T3_PNSH_ISM_E10value_typeET4_T5_PSR_SS_PNS1_23onesweep_lookback_stateEbbT6_jjT7_P12ihipStream_tbENKUlT_T0_SG_SL_E_clISA_SA_SB_SB_EEDaSZ_S10_SG_SL_EUlSZ_E_NS1_11comp_targetILNS1_3genE8ELNS1_11target_archE1030ELNS1_3gpuE2ELNS1_3repE0EEENS1_47radix_sort_onesweep_sort_config_static_selectorELNS0_4arch9wavefront6targetE0EEEvSG_
	.globl	_ZN7rocprim17ROCPRIM_400000_NS6detail17trampoline_kernelINS0_14default_configENS1_35radix_sort_onesweep_config_selectorIlNS0_10empty_typeEEEZZNS1_29radix_sort_onesweep_iterationIS3_Lb1EPKlPlPS5_SB_mNS0_19identity_decomposerENS1_16block_id_wrapperIjLb0EEEEE10hipError_tT1_PNSt15iterator_traitsISG_E10value_typeET2_T3_PNSH_ISM_E10value_typeET4_T5_PSR_SS_PNS1_23onesweep_lookback_stateEbbT6_jjT7_P12ihipStream_tbENKUlT_T0_SG_SL_E_clISA_SA_SB_SB_EEDaSZ_S10_SG_SL_EUlSZ_E_NS1_11comp_targetILNS1_3genE8ELNS1_11target_archE1030ELNS1_3gpuE2ELNS1_3repE0EEENS1_47radix_sort_onesweep_sort_config_static_selectorELNS0_4arch9wavefront6targetE0EEEvSG_
	.p2align	8
	.type	_ZN7rocprim17ROCPRIM_400000_NS6detail17trampoline_kernelINS0_14default_configENS1_35radix_sort_onesweep_config_selectorIlNS0_10empty_typeEEEZZNS1_29radix_sort_onesweep_iterationIS3_Lb1EPKlPlPS5_SB_mNS0_19identity_decomposerENS1_16block_id_wrapperIjLb0EEEEE10hipError_tT1_PNSt15iterator_traitsISG_E10value_typeET2_T3_PNSH_ISM_E10value_typeET4_T5_PSR_SS_PNS1_23onesweep_lookback_stateEbbT6_jjT7_P12ihipStream_tbENKUlT_T0_SG_SL_E_clISA_SA_SB_SB_EEDaSZ_S10_SG_SL_EUlSZ_E_NS1_11comp_targetILNS1_3genE8ELNS1_11target_archE1030ELNS1_3gpuE2ELNS1_3repE0EEENS1_47radix_sort_onesweep_sort_config_static_selectorELNS0_4arch9wavefront6targetE0EEEvSG_,@function
_ZN7rocprim17ROCPRIM_400000_NS6detail17trampoline_kernelINS0_14default_configENS1_35radix_sort_onesweep_config_selectorIlNS0_10empty_typeEEEZZNS1_29radix_sort_onesweep_iterationIS3_Lb1EPKlPlPS5_SB_mNS0_19identity_decomposerENS1_16block_id_wrapperIjLb0EEEEE10hipError_tT1_PNSt15iterator_traitsISG_E10value_typeET2_T3_PNSH_ISM_E10value_typeET4_T5_PSR_SS_PNS1_23onesweep_lookback_stateEbbT6_jjT7_P12ihipStream_tbENKUlT_T0_SG_SL_E_clISA_SA_SB_SB_EEDaSZ_S10_SG_SL_EUlSZ_E_NS1_11comp_targetILNS1_3genE8ELNS1_11target_archE1030ELNS1_3gpuE2ELNS1_3repE0EEENS1_47radix_sort_onesweep_sort_config_static_selectorELNS0_4arch9wavefront6targetE0EEEvSG_: ; @_ZN7rocprim17ROCPRIM_400000_NS6detail17trampoline_kernelINS0_14default_configENS1_35radix_sort_onesweep_config_selectorIlNS0_10empty_typeEEEZZNS1_29radix_sort_onesweep_iterationIS3_Lb1EPKlPlPS5_SB_mNS0_19identity_decomposerENS1_16block_id_wrapperIjLb0EEEEE10hipError_tT1_PNSt15iterator_traitsISG_E10value_typeET2_T3_PNSH_ISM_E10value_typeET4_T5_PSR_SS_PNS1_23onesweep_lookback_stateEbbT6_jjT7_P12ihipStream_tbENKUlT_T0_SG_SL_E_clISA_SA_SB_SB_EEDaSZ_S10_SG_SL_EUlSZ_E_NS1_11comp_targetILNS1_3genE8ELNS1_11target_archE1030ELNS1_3gpuE2ELNS1_3repE0EEENS1_47radix_sort_onesweep_sort_config_static_selectorELNS0_4arch9wavefront6targetE0EEEvSG_
; %bb.0:
	.section	.rodata,"a",@progbits
	.p2align	6, 0x0
	.amdhsa_kernel _ZN7rocprim17ROCPRIM_400000_NS6detail17trampoline_kernelINS0_14default_configENS1_35radix_sort_onesweep_config_selectorIlNS0_10empty_typeEEEZZNS1_29radix_sort_onesweep_iterationIS3_Lb1EPKlPlPS5_SB_mNS0_19identity_decomposerENS1_16block_id_wrapperIjLb0EEEEE10hipError_tT1_PNSt15iterator_traitsISG_E10value_typeET2_T3_PNSH_ISM_E10value_typeET4_T5_PSR_SS_PNS1_23onesweep_lookback_stateEbbT6_jjT7_P12ihipStream_tbENKUlT_T0_SG_SL_E_clISA_SA_SB_SB_EEDaSZ_S10_SG_SL_EUlSZ_E_NS1_11comp_targetILNS1_3genE8ELNS1_11target_archE1030ELNS1_3gpuE2ELNS1_3repE0EEENS1_47radix_sort_onesweep_sort_config_static_selectorELNS0_4arch9wavefront6targetE0EEEvSG_
		.amdhsa_group_segment_fixed_size 0
		.amdhsa_private_segment_fixed_size 0
		.amdhsa_kernarg_size 88
		.amdhsa_user_sgpr_count 2
		.amdhsa_user_sgpr_dispatch_ptr 0
		.amdhsa_user_sgpr_queue_ptr 0
		.amdhsa_user_sgpr_kernarg_segment_ptr 1
		.amdhsa_user_sgpr_dispatch_id 0
		.amdhsa_user_sgpr_kernarg_preload_length 0
		.amdhsa_user_sgpr_kernarg_preload_offset 0
		.amdhsa_user_sgpr_private_segment_size 0
		.amdhsa_wavefront_size32 1
		.amdhsa_uses_dynamic_stack 0
		.amdhsa_enable_private_segment 0
		.amdhsa_system_sgpr_workgroup_id_x 1
		.amdhsa_system_sgpr_workgroup_id_y 0
		.amdhsa_system_sgpr_workgroup_id_z 0
		.amdhsa_system_sgpr_workgroup_info 0
		.amdhsa_system_vgpr_workitem_id 0
		.amdhsa_next_free_vgpr 1
		.amdhsa_next_free_sgpr 1
		.amdhsa_named_barrier_count 0
		.amdhsa_reserve_vcc 0
		.amdhsa_float_round_mode_32 0
		.amdhsa_float_round_mode_16_64 0
		.amdhsa_float_denorm_mode_32 3
		.amdhsa_float_denorm_mode_16_64 3
		.amdhsa_fp16_overflow 0
		.amdhsa_memory_ordered 1
		.amdhsa_forward_progress 1
		.amdhsa_inst_pref_size 0
		.amdhsa_round_robin_scheduling 0
		.amdhsa_exception_fp_ieee_invalid_op 0
		.amdhsa_exception_fp_denorm_src 0
		.amdhsa_exception_fp_ieee_div_zero 0
		.amdhsa_exception_fp_ieee_overflow 0
		.amdhsa_exception_fp_ieee_underflow 0
		.amdhsa_exception_fp_ieee_inexact 0
		.amdhsa_exception_int_div_zero 0
	.end_amdhsa_kernel
	.section	.text._ZN7rocprim17ROCPRIM_400000_NS6detail17trampoline_kernelINS0_14default_configENS1_35radix_sort_onesweep_config_selectorIlNS0_10empty_typeEEEZZNS1_29radix_sort_onesweep_iterationIS3_Lb1EPKlPlPS5_SB_mNS0_19identity_decomposerENS1_16block_id_wrapperIjLb0EEEEE10hipError_tT1_PNSt15iterator_traitsISG_E10value_typeET2_T3_PNSH_ISM_E10value_typeET4_T5_PSR_SS_PNS1_23onesweep_lookback_stateEbbT6_jjT7_P12ihipStream_tbENKUlT_T0_SG_SL_E_clISA_SA_SB_SB_EEDaSZ_S10_SG_SL_EUlSZ_E_NS1_11comp_targetILNS1_3genE8ELNS1_11target_archE1030ELNS1_3gpuE2ELNS1_3repE0EEENS1_47radix_sort_onesweep_sort_config_static_selectorELNS0_4arch9wavefront6targetE0EEEvSG_,"axG",@progbits,_ZN7rocprim17ROCPRIM_400000_NS6detail17trampoline_kernelINS0_14default_configENS1_35radix_sort_onesweep_config_selectorIlNS0_10empty_typeEEEZZNS1_29radix_sort_onesweep_iterationIS3_Lb1EPKlPlPS5_SB_mNS0_19identity_decomposerENS1_16block_id_wrapperIjLb0EEEEE10hipError_tT1_PNSt15iterator_traitsISG_E10value_typeET2_T3_PNSH_ISM_E10value_typeET4_T5_PSR_SS_PNS1_23onesweep_lookback_stateEbbT6_jjT7_P12ihipStream_tbENKUlT_T0_SG_SL_E_clISA_SA_SB_SB_EEDaSZ_S10_SG_SL_EUlSZ_E_NS1_11comp_targetILNS1_3genE8ELNS1_11target_archE1030ELNS1_3gpuE2ELNS1_3repE0EEENS1_47radix_sort_onesweep_sort_config_static_selectorELNS0_4arch9wavefront6targetE0EEEvSG_,comdat
.Lfunc_end1131:
	.size	_ZN7rocprim17ROCPRIM_400000_NS6detail17trampoline_kernelINS0_14default_configENS1_35radix_sort_onesweep_config_selectorIlNS0_10empty_typeEEEZZNS1_29radix_sort_onesweep_iterationIS3_Lb1EPKlPlPS5_SB_mNS0_19identity_decomposerENS1_16block_id_wrapperIjLb0EEEEE10hipError_tT1_PNSt15iterator_traitsISG_E10value_typeET2_T3_PNSH_ISM_E10value_typeET4_T5_PSR_SS_PNS1_23onesweep_lookback_stateEbbT6_jjT7_P12ihipStream_tbENKUlT_T0_SG_SL_E_clISA_SA_SB_SB_EEDaSZ_S10_SG_SL_EUlSZ_E_NS1_11comp_targetILNS1_3genE8ELNS1_11target_archE1030ELNS1_3gpuE2ELNS1_3repE0EEENS1_47radix_sort_onesweep_sort_config_static_selectorELNS0_4arch9wavefront6targetE0EEEvSG_, .Lfunc_end1131-_ZN7rocprim17ROCPRIM_400000_NS6detail17trampoline_kernelINS0_14default_configENS1_35radix_sort_onesweep_config_selectorIlNS0_10empty_typeEEEZZNS1_29radix_sort_onesweep_iterationIS3_Lb1EPKlPlPS5_SB_mNS0_19identity_decomposerENS1_16block_id_wrapperIjLb0EEEEE10hipError_tT1_PNSt15iterator_traitsISG_E10value_typeET2_T3_PNSH_ISM_E10value_typeET4_T5_PSR_SS_PNS1_23onesweep_lookback_stateEbbT6_jjT7_P12ihipStream_tbENKUlT_T0_SG_SL_E_clISA_SA_SB_SB_EEDaSZ_S10_SG_SL_EUlSZ_E_NS1_11comp_targetILNS1_3genE8ELNS1_11target_archE1030ELNS1_3gpuE2ELNS1_3repE0EEENS1_47radix_sort_onesweep_sort_config_static_selectorELNS0_4arch9wavefront6targetE0EEEvSG_
                                        ; -- End function
	.set _ZN7rocprim17ROCPRIM_400000_NS6detail17trampoline_kernelINS0_14default_configENS1_35radix_sort_onesweep_config_selectorIlNS0_10empty_typeEEEZZNS1_29radix_sort_onesweep_iterationIS3_Lb1EPKlPlPS5_SB_mNS0_19identity_decomposerENS1_16block_id_wrapperIjLb0EEEEE10hipError_tT1_PNSt15iterator_traitsISG_E10value_typeET2_T3_PNSH_ISM_E10value_typeET4_T5_PSR_SS_PNS1_23onesweep_lookback_stateEbbT6_jjT7_P12ihipStream_tbENKUlT_T0_SG_SL_E_clISA_SA_SB_SB_EEDaSZ_S10_SG_SL_EUlSZ_E_NS1_11comp_targetILNS1_3genE8ELNS1_11target_archE1030ELNS1_3gpuE2ELNS1_3repE0EEENS1_47radix_sort_onesweep_sort_config_static_selectorELNS0_4arch9wavefront6targetE0EEEvSG_.num_vgpr, 0
	.set _ZN7rocprim17ROCPRIM_400000_NS6detail17trampoline_kernelINS0_14default_configENS1_35radix_sort_onesweep_config_selectorIlNS0_10empty_typeEEEZZNS1_29radix_sort_onesweep_iterationIS3_Lb1EPKlPlPS5_SB_mNS0_19identity_decomposerENS1_16block_id_wrapperIjLb0EEEEE10hipError_tT1_PNSt15iterator_traitsISG_E10value_typeET2_T3_PNSH_ISM_E10value_typeET4_T5_PSR_SS_PNS1_23onesweep_lookback_stateEbbT6_jjT7_P12ihipStream_tbENKUlT_T0_SG_SL_E_clISA_SA_SB_SB_EEDaSZ_S10_SG_SL_EUlSZ_E_NS1_11comp_targetILNS1_3genE8ELNS1_11target_archE1030ELNS1_3gpuE2ELNS1_3repE0EEENS1_47radix_sort_onesweep_sort_config_static_selectorELNS0_4arch9wavefront6targetE0EEEvSG_.num_agpr, 0
	.set _ZN7rocprim17ROCPRIM_400000_NS6detail17trampoline_kernelINS0_14default_configENS1_35radix_sort_onesweep_config_selectorIlNS0_10empty_typeEEEZZNS1_29radix_sort_onesweep_iterationIS3_Lb1EPKlPlPS5_SB_mNS0_19identity_decomposerENS1_16block_id_wrapperIjLb0EEEEE10hipError_tT1_PNSt15iterator_traitsISG_E10value_typeET2_T3_PNSH_ISM_E10value_typeET4_T5_PSR_SS_PNS1_23onesweep_lookback_stateEbbT6_jjT7_P12ihipStream_tbENKUlT_T0_SG_SL_E_clISA_SA_SB_SB_EEDaSZ_S10_SG_SL_EUlSZ_E_NS1_11comp_targetILNS1_3genE8ELNS1_11target_archE1030ELNS1_3gpuE2ELNS1_3repE0EEENS1_47radix_sort_onesweep_sort_config_static_selectorELNS0_4arch9wavefront6targetE0EEEvSG_.numbered_sgpr, 0
	.set _ZN7rocprim17ROCPRIM_400000_NS6detail17trampoline_kernelINS0_14default_configENS1_35radix_sort_onesweep_config_selectorIlNS0_10empty_typeEEEZZNS1_29radix_sort_onesweep_iterationIS3_Lb1EPKlPlPS5_SB_mNS0_19identity_decomposerENS1_16block_id_wrapperIjLb0EEEEE10hipError_tT1_PNSt15iterator_traitsISG_E10value_typeET2_T3_PNSH_ISM_E10value_typeET4_T5_PSR_SS_PNS1_23onesweep_lookback_stateEbbT6_jjT7_P12ihipStream_tbENKUlT_T0_SG_SL_E_clISA_SA_SB_SB_EEDaSZ_S10_SG_SL_EUlSZ_E_NS1_11comp_targetILNS1_3genE8ELNS1_11target_archE1030ELNS1_3gpuE2ELNS1_3repE0EEENS1_47radix_sort_onesweep_sort_config_static_selectorELNS0_4arch9wavefront6targetE0EEEvSG_.num_named_barrier, 0
	.set _ZN7rocprim17ROCPRIM_400000_NS6detail17trampoline_kernelINS0_14default_configENS1_35radix_sort_onesweep_config_selectorIlNS0_10empty_typeEEEZZNS1_29radix_sort_onesweep_iterationIS3_Lb1EPKlPlPS5_SB_mNS0_19identity_decomposerENS1_16block_id_wrapperIjLb0EEEEE10hipError_tT1_PNSt15iterator_traitsISG_E10value_typeET2_T3_PNSH_ISM_E10value_typeET4_T5_PSR_SS_PNS1_23onesweep_lookback_stateEbbT6_jjT7_P12ihipStream_tbENKUlT_T0_SG_SL_E_clISA_SA_SB_SB_EEDaSZ_S10_SG_SL_EUlSZ_E_NS1_11comp_targetILNS1_3genE8ELNS1_11target_archE1030ELNS1_3gpuE2ELNS1_3repE0EEENS1_47radix_sort_onesweep_sort_config_static_selectorELNS0_4arch9wavefront6targetE0EEEvSG_.private_seg_size, 0
	.set _ZN7rocprim17ROCPRIM_400000_NS6detail17trampoline_kernelINS0_14default_configENS1_35radix_sort_onesweep_config_selectorIlNS0_10empty_typeEEEZZNS1_29radix_sort_onesweep_iterationIS3_Lb1EPKlPlPS5_SB_mNS0_19identity_decomposerENS1_16block_id_wrapperIjLb0EEEEE10hipError_tT1_PNSt15iterator_traitsISG_E10value_typeET2_T3_PNSH_ISM_E10value_typeET4_T5_PSR_SS_PNS1_23onesweep_lookback_stateEbbT6_jjT7_P12ihipStream_tbENKUlT_T0_SG_SL_E_clISA_SA_SB_SB_EEDaSZ_S10_SG_SL_EUlSZ_E_NS1_11comp_targetILNS1_3genE8ELNS1_11target_archE1030ELNS1_3gpuE2ELNS1_3repE0EEENS1_47radix_sort_onesweep_sort_config_static_selectorELNS0_4arch9wavefront6targetE0EEEvSG_.uses_vcc, 0
	.set _ZN7rocprim17ROCPRIM_400000_NS6detail17trampoline_kernelINS0_14default_configENS1_35radix_sort_onesweep_config_selectorIlNS0_10empty_typeEEEZZNS1_29radix_sort_onesweep_iterationIS3_Lb1EPKlPlPS5_SB_mNS0_19identity_decomposerENS1_16block_id_wrapperIjLb0EEEEE10hipError_tT1_PNSt15iterator_traitsISG_E10value_typeET2_T3_PNSH_ISM_E10value_typeET4_T5_PSR_SS_PNS1_23onesweep_lookback_stateEbbT6_jjT7_P12ihipStream_tbENKUlT_T0_SG_SL_E_clISA_SA_SB_SB_EEDaSZ_S10_SG_SL_EUlSZ_E_NS1_11comp_targetILNS1_3genE8ELNS1_11target_archE1030ELNS1_3gpuE2ELNS1_3repE0EEENS1_47radix_sort_onesweep_sort_config_static_selectorELNS0_4arch9wavefront6targetE0EEEvSG_.uses_flat_scratch, 0
	.set _ZN7rocprim17ROCPRIM_400000_NS6detail17trampoline_kernelINS0_14default_configENS1_35radix_sort_onesweep_config_selectorIlNS0_10empty_typeEEEZZNS1_29radix_sort_onesweep_iterationIS3_Lb1EPKlPlPS5_SB_mNS0_19identity_decomposerENS1_16block_id_wrapperIjLb0EEEEE10hipError_tT1_PNSt15iterator_traitsISG_E10value_typeET2_T3_PNSH_ISM_E10value_typeET4_T5_PSR_SS_PNS1_23onesweep_lookback_stateEbbT6_jjT7_P12ihipStream_tbENKUlT_T0_SG_SL_E_clISA_SA_SB_SB_EEDaSZ_S10_SG_SL_EUlSZ_E_NS1_11comp_targetILNS1_3genE8ELNS1_11target_archE1030ELNS1_3gpuE2ELNS1_3repE0EEENS1_47radix_sort_onesweep_sort_config_static_selectorELNS0_4arch9wavefront6targetE0EEEvSG_.has_dyn_sized_stack, 0
	.set _ZN7rocprim17ROCPRIM_400000_NS6detail17trampoline_kernelINS0_14default_configENS1_35radix_sort_onesweep_config_selectorIlNS0_10empty_typeEEEZZNS1_29radix_sort_onesweep_iterationIS3_Lb1EPKlPlPS5_SB_mNS0_19identity_decomposerENS1_16block_id_wrapperIjLb0EEEEE10hipError_tT1_PNSt15iterator_traitsISG_E10value_typeET2_T3_PNSH_ISM_E10value_typeET4_T5_PSR_SS_PNS1_23onesweep_lookback_stateEbbT6_jjT7_P12ihipStream_tbENKUlT_T0_SG_SL_E_clISA_SA_SB_SB_EEDaSZ_S10_SG_SL_EUlSZ_E_NS1_11comp_targetILNS1_3genE8ELNS1_11target_archE1030ELNS1_3gpuE2ELNS1_3repE0EEENS1_47radix_sort_onesweep_sort_config_static_selectorELNS0_4arch9wavefront6targetE0EEEvSG_.has_recursion, 0
	.set _ZN7rocprim17ROCPRIM_400000_NS6detail17trampoline_kernelINS0_14default_configENS1_35radix_sort_onesweep_config_selectorIlNS0_10empty_typeEEEZZNS1_29radix_sort_onesweep_iterationIS3_Lb1EPKlPlPS5_SB_mNS0_19identity_decomposerENS1_16block_id_wrapperIjLb0EEEEE10hipError_tT1_PNSt15iterator_traitsISG_E10value_typeET2_T3_PNSH_ISM_E10value_typeET4_T5_PSR_SS_PNS1_23onesweep_lookback_stateEbbT6_jjT7_P12ihipStream_tbENKUlT_T0_SG_SL_E_clISA_SA_SB_SB_EEDaSZ_S10_SG_SL_EUlSZ_E_NS1_11comp_targetILNS1_3genE8ELNS1_11target_archE1030ELNS1_3gpuE2ELNS1_3repE0EEENS1_47radix_sort_onesweep_sort_config_static_selectorELNS0_4arch9wavefront6targetE0EEEvSG_.has_indirect_call, 0
	.section	.AMDGPU.csdata,"",@progbits
; Kernel info:
; codeLenInByte = 0
; TotalNumSgprs: 0
; NumVgprs: 0
; ScratchSize: 0
; MemoryBound: 0
; FloatMode: 240
; IeeeMode: 1
; LDSByteSize: 0 bytes/workgroup (compile time only)
; SGPRBlocks: 0
; VGPRBlocks: 0
; NumSGPRsForWavesPerEU: 1
; NumVGPRsForWavesPerEU: 1
; NamedBarCnt: 0
; Occupancy: 16
; WaveLimiterHint : 0
; COMPUTE_PGM_RSRC2:SCRATCH_EN: 0
; COMPUTE_PGM_RSRC2:USER_SGPR: 2
; COMPUTE_PGM_RSRC2:TRAP_HANDLER: 0
; COMPUTE_PGM_RSRC2:TGID_X_EN: 1
; COMPUTE_PGM_RSRC2:TGID_Y_EN: 0
; COMPUTE_PGM_RSRC2:TGID_Z_EN: 0
; COMPUTE_PGM_RSRC2:TIDIG_COMP_CNT: 0
	.section	.text._ZN7rocprim17ROCPRIM_400000_NS6detail17trampoline_kernelINS0_13kernel_configILj256ELj4ELj4294967295EEENS1_37radix_sort_block_sort_config_selectorIlNS0_10empty_typeEEEZNS1_21radix_sort_block_sortIS4_Lb0EPKlPlPS6_SC_NS0_19identity_decomposerEEE10hipError_tT1_T2_T3_T4_jRjT5_jjP12ihipStream_tbEUlT_E_NS1_11comp_targetILNS1_3genE0ELNS1_11target_archE4294967295ELNS1_3gpuE0ELNS1_3repE0EEENS1_44radix_sort_block_sort_config_static_selectorELNS0_4arch9wavefront6targetE0EEEvSF_,"axG",@progbits,_ZN7rocprim17ROCPRIM_400000_NS6detail17trampoline_kernelINS0_13kernel_configILj256ELj4ELj4294967295EEENS1_37radix_sort_block_sort_config_selectorIlNS0_10empty_typeEEEZNS1_21radix_sort_block_sortIS4_Lb0EPKlPlPS6_SC_NS0_19identity_decomposerEEE10hipError_tT1_T2_T3_T4_jRjT5_jjP12ihipStream_tbEUlT_E_NS1_11comp_targetILNS1_3genE0ELNS1_11target_archE4294967295ELNS1_3gpuE0ELNS1_3repE0EEENS1_44radix_sort_block_sort_config_static_selectorELNS0_4arch9wavefront6targetE0EEEvSF_,comdat
	.protected	_ZN7rocprim17ROCPRIM_400000_NS6detail17trampoline_kernelINS0_13kernel_configILj256ELj4ELj4294967295EEENS1_37radix_sort_block_sort_config_selectorIlNS0_10empty_typeEEEZNS1_21radix_sort_block_sortIS4_Lb0EPKlPlPS6_SC_NS0_19identity_decomposerEEE10hipError_tT1_T2_T3_T4_jRjT5_jjP12ihipStream_tbEUlT_E_NS1_11comp_targetILNS1_3genE0ELNS1_11target_archE4294967295ELNS1_3gpuE0ELNS1_3repE0EEENS1_44radix_sort_block_sort_config_static_selectorELNS0_4arch9wavefront6targetE0EEEvSF_ ; -- Begin function _ZN7rocprim17ROCPRIM_400000_NS6detail17trampoline_kernelINS0_13kernel_configILj256ELj4ELj4294967295EEENS1_37radix_sort_block_sort_config_selectorIlNS0_10empty_typeEEEZNS1_21radix_sort_block_sortIS4_Lb0EPKlPlPS6_SC_NS0_19identity_decomposerEEE10hipError_tT1_T2_T3_T4_jRjT5_jjP12ihipStream_tbEUlT_E_NS1_11comp_targetILNS1_3genE0ELNS1_11target_archE4294967295ELNS1_3gpuE0ELNS1_3repE0EEENS1_44radix_sort_block_sort_config_static_selectorELNS0_4arch9wavefront6targetE0EEEvSF_
	.globl	_ZN7rocprim17ROCPRIM_400000_NS6detail17trampoline_kernelINS0_13kernel_configILj256ELj4ELj4294967295EEENS1_37radix_sort_block_sort_config_selectorIlNS0_10empty_typeEEEZNS1_21radix_sort_block_sortIS4_Lb0EPKlPlPS6_SC_NS0_19identity_decomposerEEE10hipError_tT1_T2_T3_T4_jRjT5_jjP12ihipStream_tbEUlT_E_NS1_11comp_targetILNS1_3genE0ELNS1_11target_archE4294967295ELNS1_3gpuE0ELNS1_3repE0EEENS1_44radix_sort_block_sort_config_static_selectorELNS0_4arch9wavefront6targetE0EEEvSF_
	.p2align	8
	.type	_ZN7rocprim17ROCPRIM_400000_NS6detail17trampoline_kernelINS0_13kernel_configILj256ELj4ELj4294967295EEENS1_37radix_sort_block_sort_config_selectorIlNS0_10empty_typeEEEZNS1_21radix_sort_block_sortIS4_Lb0EPKlPlPS6_SC_NS0_19identity_decomposerEEE10hipError_tT1_T2_T3_T4_jRjT5_jjP12ihipStream_tbEUlT_E_NS1_11comp_targetILNS1_3genE0ELNS1_11target_archE4294967295ELNS1_3gpuE0ELNS1_3repE0EEENS1_44radix_sort_block_sort_config_static_selectorELNS0_4arch9wavefront6targetE0EEEvSF_,@function
_ZN7rocprim17ROCPRIM_400000_NS6detail17trampoline_kernelINS0_13kernel_configILj256ELj4ELj4294967295EEENS1_37radix_sort_block_sort_config_selectorIlNS0_10empty_typeEEEZNS1_21radix_sort_block_sortIS4_Lb0EPKlPlPS6_SC_NS0_19identity_decomposerEEE10hipError_tT1_T2_T3_T4_jRjT5_jjP12ihipStream_tbEUlT_E_NS1_11comp_targetILNS1_3genE0ELNS1_11target_archE4294967295ELNS1_3gpuE0ELNS1_3repE0EEENS1_44radix_sort_block_sort_config_static_selectorELNS0_4arch9wavefront6targetE0EEEvSF_: ; @_ZN7rocprim17ROCPRIM_400000_NS6detail17trampoline_kernelINS0_13kernel_configILj256ELj4ELj4294967295EEENS1_37radix_sort_block_sort_config_selectorIlNS0_10empty_typeEEEZNS1_21radix_sort_block_sortIS4_Lb0EPKlPlPS6_SC_NS0_19identity_decomposerEEE10hipError_tT1_T2_T3_T4_jRjT5_jjP12ihipStream_tbEUlT_E_NS1_11comp_targetILNS1_3genE0ELNS1_11target_archE4294967295ELNS1_3gpuE0ELNS1_3repE0EEENS1_44radix_sort_block_sort_config_static_selectorELNS0_4arch9wavefront6targetE0EEEvSF_
; %bb.0:
	s_clause 0x1
	s_load_b32 s4, s[0:1], 0x20
	s_load_b128 s[20:23], s[0:1], 0x0
	s_bfe_u32 s5, ttmp6, 0x4000c
	s_and_b32 s2, ttmp6, 15
	s_add_co_i32 s5, s5, 1
	s_getreg_b32 s6, hwreg(HW_REG_IB_STS2, 6, 4)
	s_mul_i32 s5, ttmp9, s5
	v_and_b32_e32 v22, 0x3ff, v0
	s_add_co_i32 s2, s2, s5
	s_cmp_eq_u32 s6, 0
	v_mbcnt_lo_u32_b32 v1, -1, 0
	s_cselect_b32 s5, ttmp9, s2
	v_dual_mov_b32 v11, 0 :: v_dual_lshlrev_b32 v2, 2, v22
	s_lshl_b32 s2, s5, 10
	s_mov_b32 s3, 0
	v_lshlrev_b32_e32 v10, 3, v1
	s_delay_alu instid0(VALU_DEP_2) | instskip(SKIP_2) | instid1(SALU_CYCLE_1)
	v_and_b32_e32 v14, 0x380, v2
	s_wait_kmcnt 0x0
	s_lshr_b32 s8, s4, 10
	s_cmp_lg_u32 s5, s8
	s_cselect_b32 s26, -1, 0
	s_lshl_b64 s[24:25], s[2:3], 3
	s_cmp_eq_u32 s5, s8
	s_add_nc_u64 s[6:7], s[20:21], s[24:25]
	s_mov_b32 s5, -1
	v_add_nc_u64_e32 v[2:3], s[6:7], v[10:11]
	v_lshlrev_b32_e32 v10, 3, v14
	s_delay_alu instid0(VALU_DEP_1)
	v_add_nc_u64_e32 v[12:13], v[2:3], v[10:11]
                                        ; implicit-def: $vgpr2_vgpr3_vgpr4_vgpr5_vgpr6_vgpr7_vgpr8_vgpr9
	s_cbranch_scc0 .LBB1132_24
; %bb.1:
	s_load_b64 s[20:21], s[0:1], 0x28
	s_and_not1_b32 vcc_lo, exec_lo, s5
	s_sub_co_i32 s19, s4, s2
	s_cbranch_vccz .LBB1132_25
.LBB1132_2:
	s_and_saveexec_b32 s2, s3
	s_cbranch_execz .LBB1132_4
.LBB1132_3:
	global_load_b64 v[8:9], v[12:13], off offset:768
.LBB1132_4:
	s_wait_xcnt 0x0
	s_or_b32 exec_lo, exec_lo, s2
	s_load_b32 s6, s[0:1], 0x3c
	v_bfe_u32 v11, v0, 10, 10
	v_bfe_u32 v0, v0, 20, 10
	s_get_pc_i64 s[4:5]
	s_add_nc_u64 s[4:5], s[4:5], _ZN7rocprim17ROCPRIM_400000_NS16block_radix_sortIlLj256ELj4ENS0_10empty_typeELj1ELj1ELj0ELNS0_26block_radix_rank_algorithmE1ELNS0_18block_padding_hintE2ELNS0_4arch9wavefront6targetE0EE19radix_bits_per_passE@rel64+4
	v_and_b32_e32 v14, 0x3e0, v22
	v_sub_co_u32 v15, s2, v1, 1
	s_load_b32 s27, s[4:5], 0x0
	v_dual_lshlrev_b32 v23, 5, v22 :: v_dual_bitop2_b32 v12, 15, v1 bitop3:0x40
	v_cmp_gt_i32_e32 vcc_lo, 0, v15
	v_dual_lshrrev_b32 v16, 3, v22 :: v_dual_bitop2_b32 v13, 16, v1 bitop3:0x40
	v_and_b32_e32 v18, 7, v1
	s_wait_xcnt 0x0
	v_cmp_eq_u32_e64 s4, 0, v12
	v_cmp_lt_u32_e64 s5, 1, v12
	s_mov_b32 s14, 0
	v_mul_i32_i24_e32 v17, 0xffffffe4, v22
	v_and_b32_e32 v24, 0x7c, v16
	s_mov_b32 s15, s14
	s_wait_kmcnt 0x0
	s_lshr_b32 s7, s6, 16
	s_and_b32 s6, s6, 0xffff
	v_mad_u32_u24 v0, v0, s7, v11
	v_min_u32_e32 v11, 0xe0, v14
	v_cmp_lt_u32_e64 s7, 7, v12
	s_mov_b32 s16, s14
	s_mov_b32 s17, s14
	v_mad_u32 v0, v0, s6, v22
	v_cmp_lt_u32_e64 s6, 3, v12
	v_dual_cndmask_b32 v12, v15, v1, vcc_lo :: v_dual_bitop2_b32 v11, 31, v11 bitop3:0x54
	v_cmp_eq_u32_e64 s8, 0, v13
	v_lshl_add_u32 v28, v1, 3, v10
	s_wait_loadcnt 0x2
	v_xor_b32_e32 v3, 0x80000000, v3
	v_dual_lshlrev_b32 v25, 2, v12 :: v_dual_add_nc_u32 v29, v23, v17
	v_mov_b64_e32 v[12:13], s[16:17]
	s_wait_loadcnt 0x0
	v_xor_b32_e32 v5, 0x80000000, v5
	v_lshrrev_b32_e32 v0, 3, v0
	v_cmp_eq_u32_e64 s12, v22, v11
	v_mov_b64_e32 v[10:11], s[14:15]
	v_xor_b32_e32 v7, 0x80000000, v7
	v_xor_b32_e32 v9, 0x80000000, v9
	v_cmp_gt_u32_e64 s0, 8, v22
	v_cmp_lt_u32_e64 s1, 31, v22
	v_cmp_eq_u32_e64 s3, 0, v22
	v_cmp_eq_u32_e64 s9, 0, v18
	v_cmp_lt_u32_e64 s10, 1, v18
	v_cmp_lt_u32_e64 s11, 3, v18
	v_add_nc_u32_e32 v26, -4, v24
	v_and_b32_e32 v27, 0x1ffffffc, v0
	s_add_co_i32 s28, s21, s20
	s_branch .LBB1132_6
.LBB1132_5:                             ;   in Loop: Header=BB1132_6 Depth=1
	s_and_not1_b32 vcc_lo, exec_lo, s13
	s_cbranch_vccz .LBB1132_22
.LBB1132_6:                             ; =>This Inner Loop Header: Depth=1
	v_mov_b64_e32 v[14:15], v[2:3]
	s_min_u32 s13, s27, s21
	ds_store_2addr_b64 v23, v[10:11], v[12:13] offset0:4 offset1:5
	ds_store_2addr_b64 v23, v[10:11], v[12:13] offset0:6 offset1:7
	s_lshl_b32 s29, -1, s13
	s_wait_dscnt 0x0
	s_barrier_signal -1
	s_barrier_wait -1
	v_lshrrev_b64 v[0:1], s20, v[14:15]
	; wave barrier
	s_delay_alu instid0(VALU_DEP_1) | instskip(SKIP_1) | instid1(VALU_DEP_2)
	v_bitop3_b32 v1, v0, 1, s29 bitop3:0x40
	v_bitop3_b32 v2, v0, s29, v0 bitop3:0x30
	v_add_co_u32 v0, s13, v1, -1
	s_delay_alu instid0(VALU_DEP_1) | instskip(NEXT) | instid1(VALU_DEP_3)
	v_cndmask_b32_e64 v1, 0, 1, s13
	v_dual_lshlrev_b32 v3, 30, v2 :: v_dual_lshlrev_b32 v16, 29, v2
	v_dual_lshlrev_b32 v17, 28, v2 :: v_dual_lshlrev_b32 v18, 27, v2
	s_delay_alu instid0(VALU_DEP_3) | instskip(NEXT) | instid1(VALU_DEP_3)
	v_cmp_ne_u32_e32 vcc_lo, 0, v1
	v_not_b32_e32 v1, v3
	v_dual_lshlrev_b32 v19, 26, v2 :: v_dual_lshlrev_b32 v20, 25, v2
	v_lshlrev_b32_e32 v21, 24, v2
	v_cmp_gt_i32_e64 s13, 0, v3
	v_cmp_gt_i32_e64 s14, 0, v16
	v_not_b32_e32 v3, v16
	v_not_b32_e32 v16, v17
	v_ashrrev_i32_e32 v1, 31, v1
	v_cmp_gt_i32_e64 s15, 0, v17
	v_cmp_gt_i32_e64 s16, 0, v18
	v_not_b32_e32 v17, v18
	v_not_b32_e32 v18, v19
	v_dual_ashrrev_i32 v3, 31, v3 :: v_dual_bitop2_b32 v0, vcc_lo, v0 bitop3:0x14
	v_dual_ashrrev_i32 v16, 31, v16 :: v_dual_bitop2_b32 v1, s13, v1 bitop3:0x14
	v_cmp_gt_i32_e64 s17, 0, v19
	v_not_b32_e32 v19, v20
	s_delay_alu instid0(VALU_DEP_4) | instskip(NEXT) | instid1(VALU_DEP_4)
	v_dual_ashrrev_i32 v17, 31, v17 :: v_dual_bitop2_b32 v3, s14, v3 bitop3:0x14
	v_dual_ashrrev_i32 v18, 31, v18 :: v_dual_bitop2_b32 v16, s15, v16 bitop3:0x14
	v_bitop3_b32 v0, v0, v1, exec_lo bitop3:0x80
	v_not_b32_e32 v1, v21
	v_cmp_gt_i32_e64 s18, 0, v20
	v_dual_ashrrev_i32 v19, 31, v19 :: v_dual_bitop2_b32 v17, s16, v17 bitop3:0x14
	s_delay_alu instid0(VALU_DEP_4) | instskip(SKIP_2) | instid1(VALU_DEP_4)
	v_bitop3_b32 v0, v0, v16, v3 bitop3:0x80
	v_cmp_gt_i32_e32 vcc_lo, 0, v21
	v_dual_ashrrev_i32 v1, 31, v1 :: v_dual_bitop2_b32 v3, s17, v18 bitop3:0x14
	v_xor_b32_e32 v16, s18, v19
	v_mov_b64_e32 v[18:19], v[6:7]
	v_mov_b64_e32 v[20:21], v[4:5]
	s_delay_alu instid0(VALU_DEP_4) | instskip(SKIP_1) | instid1(VALU_DEP_1)
	v_xor_b32_e32 v1, vcc_lo, v1
	v_bitop3_b32 v0, v0, v3, v17 bitop3:0x80
	v_bitop3_b32 v0, v0, v1, v16 bitop3:0x80
	v_mov_b64_e32 v[16:17], v[8:9]
	v_lshlrev_b32_e32 v1, 5, v2
	s_delay_alu instid0(VALU_DEP_3) | instskip(SKIP_1) | instid1(VALU_DEP_3)
	v_mbcnt_lo_u32_b32 v8, v0, 0
	v_cmp_ne_u32_e64 s13, 0, v0
	v_add_nc_u32_e32 v9, v27, v1
	s_delay_alu instid0(VALU_DEP_3) | instskip(SKIP_1) | instid1(SALU_CYCLE_1)
	v_cmp_eq_u32_e32 vcc_lo, 0, v8
	s_and_b32 s14, s13, vcc_lo
	s_and_saveexec_b32 s13, s14
; %bb.7:                                ;   in Loop: Header=BB1132_6 Depth=1
	v_bcnt_u32_b32 v0, v0, 0
	ds_store_b32 v9, v0 offset:32
; %bb.8:                                ;   in Loop: Header=BB1132_6 Depth=1
	s_or_b32 exec_lo, exec_lo, s13
	v_lshrrev_b64 v[0:1], s20, v[20:21]
	s_not_b32 s17, s29
	; wave barrier
	s_delay_alu instid0(VALU_DEP_1) | instid1(SALU_CYCLE_1)
	v_and_b32_e32 v1, s17, v0
	v_bitop3_b32 v0, v0, 1, s17 bitop3:0x80
	s_delay_alu instid0(VALU_DEP_2) | instskip(NEXT) | instid1(VALU_DEP_2)
	v_lshlrev_b32_e32 v4, 30, v1
	v_add_co_u32 v0, s13, v0, -1
	s_delay_alu instid0(VALU_DEP_1) | instskip(NEXT) | instid1(VALU_DEP_1)
	v_cndmask_b32_e64 v3, 0, 1, s13
	v_cmp_ne_u32_e32 vcc_lo, 0, v3
	s_delay_alu instid0(VALU_DEP_4) | instskip(NEXT) | instid1(VALU_DEP_1)
	v_not_b32_e32 v3, v4
	v_dual_ashrrev_i32 v3, 31, v3 :: v_dual_lshlrev_b32 v2, 5, v1
	v_dual_lshlrev_b32 v5, 29, v1 :: v_dual_lshlrev_b32 v6, 28, v1
	v_cmp_gt_i32_e64 s13, 0, v4
	v_dual_lshlrev_b32 v7, 27, v1 :: v_dual_lshlrev_b32 v30, 26, v1
	s_delay_alu instid0(VALU_DEP_3) | instskip(SKIP_4) | instid1(VALU_DEP_4)
	v_cmp_gt_i32_e64 s14, 0, v5
	v_not_b32_e32 v4, v5
	v_not_b32_e32 v5, v6
	v_cmp_gt_i32_e64 s15, 0, v6
	v_xor_b32_e32 v0, vcc_lo, v0
	v_dual_ashrrev_i32 v4, 31, v4 :: v_dual_bitop2_b32 v3, s13, v3 bitop3:0x14
	s_delay_alu instid0(VALU_DEP_4)
	v_ashrrev_i32_e32 v5, 31, v5
	v_dual_lshlrev_b32 v31, 25, v1 :: v_dual_lshlrev_b32 v1, 24, v1
	v_cmp_gt_i32_e64 s16, 0, v7
	v_not_b32_e32 v6, v7
	v_not_b32_e32 v7, v30
	v_xor_b32_e32 v4, s14, v4
	v_xor_b32_e32 v5, s15, v5
	v_bitop3_b32 v0, v0, v3, exec_lo bitop3:0x80
	v_ashrrev_i32_e32 v3, 31, v6
	v_cmp_gt_i32_e32 vcc_lo, 0, v30
	v_ashrrev_i32_e32 v6, 31, v7
	v_not_b32_e32 v7, v31
	v_bitop3_b32 v0, v0, v5, v4 bitop3:0x80
	v_not_b32_e32 v4, v1
	v_xor_b32_e32 v3, s16, v3
	s_delay_alu instid0(VALU_DEP_4) | instskip(SKIP_3) | instid1(VALU_DEP_4)
	v_dual_ashrrev_i32 v6, 31, v7 :: v_dual_bitop2_b32 v5, vcc_lo, v6 bitop3:0x14
	v_cmp_gt_i32_e32 vcc_lo, 0, v31
	v_cmp_gt_i32_e64 s13, 0, v1
	v_dual_ashrrev_i32 v1, 31, v4 :: v_dual_add_nc_u32 v31, v27, v2
	v_bitop3_b32 v0, v0, v5, v3 bitop3:0x80
	v_xor_b32_e32 v2, vcc_lo, v6
	s_delay_alu instid0(VALU_DEP_3) | instskip(SKIP_2) | instid1(VALU_DEP_1)
	v_xor_b32_e32 v1, s13, v1
	ds_load_b32 v30, v31 offset:32
	; wave barrier
	v_bitop3_b32 v0, v0, v1, v2 bitop3:0x80
	v_mbcnt_lo_u32_b32 v32, v0, 0
	v_cmp_ne_u32_e64 s13, 0, v0
	s_delay_alu instid0(VALU_DEP_2) | instskip(SKIP_1) | instid1(SALU_CYCLE_1)
	v_cmp_eq_u32_e32 vcc_lo, 0, v32
	s_and_b32 s14, s13, vcc_lo
	s_and_saveexec_b32 s13, s14
	s_cbranch_execz .LBB1132_10
; %bb.9:                                ;   in Loop: Header=BB1132_6 Depth=1
	s_wait_dscnt 0x0
	v_bcnt_u32_b32 v0, v0, v30
	ds_store_b32 v31, v0 offset:32
.LBB1132_10:                            ;   in Loop: Header=BB1132_6 Depth=1
	s_or_b32 exec_lo, exec_lo, s13
	v_lshrrev_b64 v[0:1], s20, v[18:19]
	; wave barrier
	s_delay_alu instid0(VALU_DEP_1) | instskip(SKIP_1) | instid1(VALU_DEP_2)
	v_and_b32_e32 v1, s17, v0
	v_bitop3_b32 v0, v0, 1, s17 bitop3:0x80
	v_lshlrev_b32_e32 v4, 30, v1
	s_delay_alu instid0(VALU_DEP_2) | instskip(NEXT) | instid1(VALU_DEP_1)
	v_add_co_u32 v0, s13, v0, -1
	v_cndmask_b32_e64 v3, 0, 1, s13
	s_delay_alu instid0(VALU_DEP_1) | instskip(NEXT) | instid1(VALU_DEP_4)
	v_cmp_ne_u32_e32 vcc_lo, 0, v3
	v_not_b32_e32 v3, v4
	s_delay_alu instid0(VALU_DEP_1) | instskip(SKIP_3) | instid1(VALU_DEP_3)
	v_dual_ashrrev_i32 v3, 31, v3 :: v_dual_lshlrev_b32 v2, 5, v1
	v_dual_lshlrev_b32 v5, 29, v1 :: v_dual_lshlrev_b32 v6, 28, v1
	v_dual_lshlrev_b32 v7, 27, v1 :: v_dual_lshlrev_b32 v33, 26, v1
	v_cmp_gt_i32_e64 s13, 0, v4
	v_cmp_gt_i32_e64 s14, 0, v5
	v_not_b32_e32 v4, v5
	v_not_b32_e32 v5, v6
	v_cmp_gt_i32_e64 s15, 0, v6
	v_not_b32_e32 v6, v7
	v_xor_b32_e32 v0, vcc_lo, v0
	v_dual_ashrrev_i32 v4, 31, v4 :: v_dual_bitop2_b32 v3, s13, v3 bitop3:0x14
	v_ashrrev_i32_e32 v5, 31, v5
	v_dual_lshlrev_b32 v34, 25, v1 :: v_dual_lshlrev_b32 v1, 24, v1
	v_cmp_gt_i32_e64 s16, 0, v7
	v_not_b32_e32 v7, v33
	v_dual_ashrrev_i32 v6, 31, v6 :: v_dual_bitop2_b32 v4, s14, v4 bitop3:0x14
	v_xor_b32_e32 v5, s15, v5
	v_bitop3_b32 v0, v0, v3, exec_lo bitop3:0x80
	v_cmp_gt_i32_e32 vcc_lo, 0, v33
	v_ashrrev_i32_e32 v3, 31, v7
	v_not_b32_e32 v7, v34
	v_xor_b32_e32 v6, s16, v6
	v_bitop3_b32 v0, v0, v5, v4 bitop3:0x80
	v_not_b32_e32 v4, v1
	v_xor_b32_e32 v3, vcc_lo, v3
	v_cmp_gt_i32_e32 vcc_lo, 0, v34
	v_ashrrev_i32_e32 v5, 31, v7
	v_cmp_gt_i32_e64 s13, 0, v1
	v_dual_ashrrev_i32 v1, 31, v4 :: v_dual_add_nc_u32 v35, v27, v2
	v_bitop3_b32 v0, v0, v3, v6 bitop3:0x80
	s_delay_alu instid0(VALU_DEP_4) | instskip(NEXT) | instid1(VALU_DEP_3)
	v_xor_b32_e32 v2, vcc_lo, v5
	v_xor_b32_e32 v1, s13, v1
	ds_load_b32 v33, v35 offset:32
	; wave barrier
	v_bitop3_b32 v0, v0, v1, v2 bitop3:0x80
	s_delay_alu instid0(VALU_DEP_1) | instskip(SKIP_1) | instid1(VALU_DEP_2)
	v_mbcnt_lo_u32_b32 v34, v0, 0
	v_cmp_ne_u32_e64 s13, 0, v0
	v_cmp_eq_u32_e32 vcc_lo, 0, v34
	s_and_b32 s14, s13, vcc_lo
	s_delay_alu instid0(SALU_CYCLE_1)
	s_and_saveexec_b32 s13, s14
	s_cbranch_execz .LBB1132_12
; %bb.11:                               ;   in Loop: Header=BB1132_6 Depth=1
	s_wait_dscnt 0x0
	v_bcnt_u32_b32 v0, v0, v33
	ds_store_b32 v35, v0 offset:32
.LBB1132_12:                            ;   in Loop: Header=BB1132_6 Depth=1
	s_or_b32 exec_lo, exec_lo, s13
	v_lshrrev_b64 v[0:1], s20, v[16:17]
	; wave barrier
	s_delay_alu instid0(VALU_DEP_1) | instskip(SKIP_1) | instid1(VALU_DEP_2)
	v_and_b32_e32 v1, s17, v0
	v_bitop3_b32 v0, v0, 1, s17 bitop3:0x80
	v_lshlrev_b32_e32 v4, 30, v1
	s_delay_alu instid0(VALU_DEP_2) | instskip(NEXT) | instid1(VALU_DEP_1)
	v_add_co_u32 v0, s13, v0, -1
	v_cndmask_b32_e64 v3, 0, 1, s13
	s_delay_alu instid0(VALU_DEP_1) | instskip(NEXT) | instid1(VALU_DEP_4)
	v_cmp_ne_u32_e32 vcc_lo, 0, v3
	v_not_b32_e32 v3, v4
	s_delay_alu instid0(VALU_DEP_1) | instskip(SKIP_3) | instid1(VALU_DEP_3)
	v_dual_ashrrev_i32 v3, 31, v3 :: v_dual_lshlrev_b32 v2, 5, v1
	v_dual_lshlrev_b32 v5, 29, v1 :: v_dual_lshlrev_b32 v6, 28, v1
	v_dual_lshlrev_b32 v7, 27, v1 :: v_dual_lshlrev_b32 v36, 26, v1
	v_cmp_gt_i32_e64 s13, 0, v4
	v_cmp_gt_i32_e64 s14, 0, v5
	v_not_b32_e32 v4, v5
	v_not_b32_e32 v5, v6
	v_cmp_gt_i32_e64 s15, 0, v6
	v_not_b32_e32 v6, v7
	v_xor_b32_e32 v0, vcc_lo, v0
	v_dual_ashrrev_i32 v4, 31, v4 :: v_dual_bitop2_b32 v3, s13, v3 bitop3:0x14
	v_ashrrev_i32_e32 v5, 31, v5
	v_dual_lshlrev_b32 v37, 25, v1 :: v_dual_lshlrev_b32 v1, 24, v1
	v_cmp_gt_i32_e64 s16, 0, v7
	v_not_b32_e32 v7, v36
	v_dual_ashrrev_i32 v6, 31, v6 :: v_dual_bitop2_b32 v4, s14, v4 bitop3:0x14
	v_xor_b32_e32 v5, s15, v5
	v_bitop3_b32 v0, v0, v3, exec_lo bitop3:0x80
	v_cmp_gt_i32_e32 vcc_lo, 0, v36
	v_ashrrev_i32_e32 v3, 31, v7
	v_not_b32_e32 v7, v37
	v_xor_b32_e32 v6, s16, v6
	v_bitop3_b32 v0, v0, v5, v4 bitop3:0x80
	v_not_b32_e32 v4, v1
	v_xor_b32_e32 v3, vcc_lo, v3
	v_cmp_gt_i32_e32 vcc_lo, 0, v37
	v_ashrrev_i32_e32 v5, 31, v7
	v_cmp_gt_i32_e64 s13, 0, v1
	v_dual_ashrrev_i32 v1, 31, v4 :: v_dual_add_nc_u32 v38, v27, v2
	v_bitop3_b32 v0, v0, v3, v6 bitop3:0x80
	s_delay_alu instid0(VALU_DEP_4) | instskip(NEXT) | instid1(VALU_DEP_3)
	v_xor_b32_e32 v2, vcc_lo, v5
	v_xor_b32_e32 v1, s13, v1
	ds_load_b32 v36, v38 offset:32
	; wave barrier
	v_bitop3_b32 v0, v0, v1, v2 bitop3:0x80
	s_delay_alu instid0(VALU_DEP_1) | instskip(SKIP_1) | instid1(VALU_DEP_2)
	v_mbcnt_lo_u32_b32 v37, v0, 0
	v_cmp_ne_u32_e64 s13, 0, v0
	v_cmp_eq_u32_e32 vcc_lo, 0, v37
	s_and_b32 s14, s13, vcc_lo
	s_delay_alu instid0(SALU_CYCLE_1)
	s_and_saveexec_b32 s13, s14
	s_cbranch_execz .LBB1132_14
; %bb.13:                               ;   in Loop: Header=BB1132_6 Depth=1
	s_wait_dscnt 0x0
	v_bcnt_u32_b32 v0, v0, v36
	ds_store_b32 v38, v0 offset:32
.LBB1132_14:                            ;   in Loop: Header=BB1132_6 Depth=1
	s_or_b32 exec_lo, exec_lo, s13
	; wave barrier
	s_wait_dscnt 0x0
	s_barrier_signal -1
	s_barrier_wait -1
	ds_load_2addr_b64 v[4:7], v23 offset0:4 offset1:5
	ds_load_2addr_b64 v[0:3], v23 offset0:6 offset1:7
	s_wait_dscnt 0x1
	v_add_nc_u32_e32 v39, v5, v4
	s_delay_alu instid0(VALU_DEP_1) | instskip(SKIP_1) | instid1(VALU_DEP_1)
	v_add3_u32 v39, v39, v6, v7
	s_wait_dscnt 0x0
	v_add3_u32 v39, v39, v0, v1
	s_delay_alu instid0(VALU_DEP_1) | instskip(NEXT) | instid1(VALU_DEP_1)
	v_add3_u32 v3, v39, v2, v3
	v_mov_b32_dpp v39, v3 row_shr:1 row_mask:0xf bank_mask:0xf
	s_delay_alu instid0(VALU_DEP_1) | instskip(NEXT) | instid1(VALU_DEP_1)
	v_cndmask_b32_e64 v39, v39, 0, s4
	v_add_nc_u32_e32 v3, v39, v3
	s_delay_alu instid0(VALU_DEP_1) | instskip(NEXT) | instid1(VALU_DEP_1)
	v_mov_b32_dpp v39, v3 row_shr:2 row_mask:0xf bank_mask:0xf
	v_cndmask_b32_e64 v39, 0, v39, s5
	s_delay_alu instid0(VALU_DEP_1) | instskip(NEXT) | instid1(VALU_DEP_1)
	v_add_nc_u32_e32 v3, v3, v39
	v_mov_b32_dpp v39, v3 row_shr:4 row_mask:0xf bank_mask:0xf
	s_delay_alu instid0(VALU_DEP_1) | instskip(NEXT) | instid1(VALU_DEP_1)
	v_cndmask_b32_e64 v39, 0, v39, s6
	v_add_nc_u32_e32 v3, v3, v39
	s_delay_alu instid0(VALU_DEP_1) | instskip(NEXT) | instid1(VALU_DEP_1)
	v_mov_b32_dpp v39, v3 row_shr:8 row_mask:0xf bank_mask:0xf
	v_cndmask_b32_e64 v39, 0, v39, s7
	s_delay_alu instid0(VALU_DEP_1) | instskip(SKIP_3) | instid1(VALU_DEP_1)
	v_add_nc_u32_e32 v3, v3, v39
	ds_swizzle_b32 v39, v3 offset:swizzle(BROADCAST,32,15)
	s_wait_dscnt 0x0
	v_cndmask_b32_e64 v39, v39, 0, s8
	v_add_nc_u32_e32 v3, v3, v39
	s_and_saveexec_b32 s13, s12
; %bb.15:                               ;   in Loop: Header=BB1132_6 Depth=1
	ds_store_b32 v24, v3
; %bb.16:                               ;   in Loop: Header=BB1132_6 Depth=1
	s_or_b32 exec_lo, exec_lo, s13
	s_wait_dscnt 0x0
	s_barrier_signal -1
	s_barrier_wait -1
	s_and_saveexec_b32 s13, s0
	s_cbranch_execz .LBB1132_18
; %bb.17:                               ;   in Loop: Header=BB1132_6 Depth=1
	ds_load_b32 v39, v29
	s_wait_dscnt 0x0
	v_mov_b32_dpp v40, v39 row_shr:1 row_mask:0xf bank_mask:0xf
	s_delay_alu instid0(VALU_DEP_1) | instskip(NEXT) | instid1(VALU_DEP_1)
	v_cndmask_b32_e64 v40, v40, 0, s9
	v_add_nc_u32_e32 v39, v40, v39
	s_delay_alu instid0(VALU_DEP_1) | instskip(NEXT) | instid1(VALU_DEP_1)
	v_mov_b32_dpp v40, v39 row_shr:2 row_mask:0xf bank_mask:0xf
	v_cndmask_b32_e64 v40, 0, v40, s10
	s_delay_alu instid0(VALU_DEP_1) | instskip(NEXT) | instid1(VALU_DEP_1)
	v_add_nc_u32_e32 v39, v39, v40
	v_mov_b32_dpp v40, v39 row_shr:4 row_mask:0xf bank_mask:0xf
	s_delay_alu instid0(VALU_DEP_1) | instskip(NEXT) | instid1(VALU_DEP_1)
	v_cndmask_b32_e64 v40, 0, v40, s11
	v_add_nc_u32_e32 v39, v39, v40
	ds_store_b32 v29, v39
.LBB1132_18:                            ;   in Loop: Header=BB1132_6 Depth=1
	s_or_b32 exec_lo, exec_lo, s13
	v_mov_b32_e32 v39, 0
	s_wait_dscnt 0x0
	s_barrier_signal -1
	s_barrier_wait -1
	s_and_saveexec_b32 s13, s1
; %bb.19:                               ;   in Loop: Header=BB1132_6 Depth=1
	ds_load_b32 v39, v26
; %bb.20:                               ;   in Loop: Header=BB1132_6 Depth=1
	s_or_b32 exec_lo, exec_lo, s13
	s_wait_dscnt 0x0
	v_add_nc_u32_e32 v3, v39, v3
	s_add_co_i32 s20, s20, 8
	s_mov_b32 s13, -1
	s_cmp_ge_u32 s20, s28
	ds_bpermute_b32 v3, v25, v3
	s_wait_dscnt 0x0
	v_cndmask_b32_e64 v3, v3, v39, s2
	s_delay_alu instid0(VALU_DEP_1) | instskip(NEXT) | instid1(VALU_DEP_1)
	v_cndmask_b32_e64 v40, v3, 0, s3
	v_add_nc_u32_e32 v41, v40, v4
	s_delay_alu instid0(VALU_DEP_1) | instskip(NEXT) | instid1(VALU_DEP_1)
	v_add_nc_u32_e32 v4, v41, v5
	v_add_nc_u32_e32 v5, v4, v6
	s_delay_alu instid0(VALU_DEP_1) | instskip(NEXT) | instid1(VALU_DEP_1)
	v_add_nc_u32_e32 v6, v5, v7
	;; [unrolled: 3-line block ×3, first 2 shown]
	v_add_nc_u32_e32 v1, v0, v2
	ds_store_2addr_b64 v23, v[40:41], v[4:5] offset0:4 offset1:5
	ds_store_2addr_b64 v23, v[6:7], v[0:1] offset0:6 offset1:7
	s_wait_dscnt 0x0
	s_barrier_signal -1
	s_barrier_wait -1
	ds_load_b32 v0, v31 offset:32
	ds_load_b32 v1, v35 offset:32
	;; [unrolled: 1-line block ×4, first 2 shown]
	v_lshlrev_b32_e32 v4, 3, v8
	v_dual_lshlrev_b32 v5, 3, v32 :: v_dual_lshlrev_b32 v6, 3, v30
	v_dual_lshlrev_b32 v7, 3, v34 :: v_dual_lshlrev_b32 v8, 3, v33
	;; [unrolled: 1-line block ×3, first 2 shown]
	s_wait_dscnt 0x0
	v_dual_lshlrev_b32 v30, 3, v0 :: v_dual_lshlrev_b32 v32, 3, v1
	v_lshlrev_b32_e32 v2, 3, v2
	v_lshl_add_u32 v0, v3, 3, v4
	s_delay_alu instid0(VALU_DEP_3) | instskip(NEXT) | instid1(VALU_DEP_4)
	v_add3_u32 v1, v5, v6, v30
	v_add3_u32 v30, v7, v8, v32
	s_delay_alu instid0(VALU_DEP_4)
	v_add3_u32 v31, v9, v31, v2
                                        ; implicit-def: $vgpr8_vgpr9
	s_cbranch_scc1 .LBB1132_5
; %bb.21:                               ;   in Loop: Header=BB1132_6 Depth=1
	s_barrier_signal -1
	s_barrier_wait -1
	ds_store_b64 v0, v[14:15]
	ds_store_b64 v1, v[20:21]
	;; [unrolled: 1-line block ×4, first 2 shown]
	s_wait_dscnt 0x0
	s_barrier_signal -1
	s_barrier_wait -1
	ds_load_2addr_b64 v[2:5], v28 offset1:32
	ds_load_2addr_b64 v[6:9], v28 offset0:64 offset1:96
	s_add_co_i32 s21, s21, -8
	s_mov_b32 s13, 0
	s_wait_dscnt 0x0
	s_barrier_signal -1
	s_barrier_wait -1
	s_branch .LBB1132_5
.LBB1132_22:
	v_dual_mov_b32 v9, 0 :: v_dual_lshlrev_b32 v8, 3, v22
	s_barrier_signal -1
	s_barrier_wait -1
	ds_store_b64 v0, v[14:15]
	ds_store_b64 v1, v[20:21]
	;; [unrolled: 1-line block ×4, first 2 shown]
	s_wait_dscnt 0x0
	s_barrier_signal -1
	s_barrier_wait -1
	ds_load_2addr_stride64_b64 v[4:7], v8 offset1:4
	ds_load_2addr_stride64_b64 v[0:3], v8 offset0:8 offset1:12
	s_add_nc_u64 s[0:1], s[22:23], s[24:25]
	s_and_not1_b32 vcc_lo, exec_lo, s26
	v_add_nc_u64_e32 v[8:9], s[0:1], v[8:9]
	s_wait_dscnt 0x1
	v_xor_b32_e32 v5, 0x80000000, v5
	v_xor_b32_e32 v7, 0x80000000, v7
	s_wait_dscnt 0x0
	v_xor_b32_e32 v1, 0x80000000, v1
	s_cbranch_vccnz .LBB1132_32
; %bb.23:
	s_mov_b32 s0, -1
	s_clause 0x2
	global_store_b64 v[8:9], v[4:5], off
	global_store_b64 v[8:9], v[6:7], off offset:2048
	global_store_b64 v[8:9], v[0:1], off offset:4096
	s_cbranch_execz .LBB1132_33
	s_branch .LBB1132_40
.LBB1132_24:
	s_clause 0x2
	global_load_b64 v[2:3], v[12:13], off
	global_load_b64 v[4:5], v[12:13], off offset:256
	global_load_b64 v[6:7], v[12:13], off offset:512
	s_mov_b32 s3, -1
	s_load_b64 s[20:21], s[0:1], 0x28
	s_sub_co_i32 s19, s4, s2
	s_cbranch_execnz .LBB1132_2
.LBB1132_25:
	s_wait_loadcnt 0x2
	v_dual_mov_b32 v2, -1 :: v_dual_bitop2_b32 v11, v1, v14 bitop3:0x54
	v_bfrev_b32_e32 v3, -2
	s_mov_b32 s2, exec_lo
	s_wait_loadcnt 0x1
	s_delay_alu instid0(VALU_DEP_1)
	v_dual_mov_b32 v4, v2 :: v_dual_mov_b32 v5, v3
	s_wait_loadcnt 0x0
	v_dual_mov_b32 v6, v2 :: v_dual_mov_b32 v7, v3
	v_dual_mov_b32 v8, v2 :: v_dual_mov_b32 v9, v3
	v_cmpx_gt_u32_e64 s19, v11
	s_cbranch_execz .LBB1132_27
; %bb.26:
	global_load_b64 v[14:15], v[12:13], off
	v_dual_mov_b32 v16, v2 :: v_dual_mov_b32 v17, v3
	v_dual_mov_b32 v18, v2 :: v_dual_mov_b32 v19, v3
	;; [unrolled: 1-line block ×3, first 2 shown]
	s_wait_loadcnt 0x0
	v_mov_b64_e32 v[2:3], v[14:15]
	v_mov_b64_e32 v[4:5], v[16:17]
	;; [unrolled: 1-line block ×4, first 2 shown]
.LBB1132_27:
	s_or_b32 exec_lo, exec_lo, s2
	v_or_b32_e32 v14, 32, v11
	s_mov_b32 s2, exec_lo
	s_delay_alu instid0(VALU_DEP_1)
	v_cmpx_gt_u32_e64 s19, v14
	s_cbranch_execz .LBB1132_29
; %bb.28:
	global_load_b64 v[4:5], v[12:13], off offset:256
.LBB1132_29:
	s_wait_xcnt 0x0
	s_or_b32 exec_lo, exec_lo, s2
	v_or_b32_e32 v14, 64, v11
	s_mov_b32 s2, exec_lo
	s_delay_alu instid0(VALU_DEP_1)
	v_cmpx_gt_u32_e64 s19, v14
	s_cbranch_execz .LBB1132_31
; %bb.30:
	global_load_b64 v[6:7], v[12:13], off offset:512
.LBB1132_31:
	s_wait_xcnt 0x0
	s_or_b32 exec_lo, exec_lo, s2
	v_or_b32_e32 v11, 0x60, v11
	s_delay_alu instid0(VALU_DEP_1)
	v_cmp_gt_u32_e64 s3, s19, v11
	s_and_saveexec_b32 s2, s3
	s_cbranch_execnz .LBB1132_3
	s_branch .LBB1132_4
.LBB1132_32:
	s_mov_b32 s0, 0
.LBB1132_33:
	s_mov_b32 s0, exec_lo
	s_wait_xcnt 0x0
	v_cmpx_gt_u32_e64 s19, v22
	s_cbranch_execz .LBB1132_35
; %bb.34:
	global_store_b64 v[8:9], v[4:5], off
.LBB1132_35:
	s_wait_xcnt 0x0
	s_or_b32 exec_lo, exec_lo, s0
	v_add_nc_u32_e32 v4, 0x100, v22
	s_mov_b32 s0, exec_lo
	s_delay_alu instid0(VALU_DEP_1)
	v_cmpx_gt_u32_e64 s19, v4
	s_cbranch_execz .LBB1132_37
; %bb.36:
	global_store_b64 v[8:9], v[6:7], off offset:2048
.LBB1132_37:
	s_wait_xcnt 0x0
	s_or_b32 exec_lo, exec_lo, s0
	v_add_nc_u32_e32 v4, 0x200, v22
	s_mov_b32 s0, exec_lo
	s_delay_alu instid0(VALU_DEP_1)
	v_cmpx_gt_u32_e64 s19, v4
	s_cbranch_execz .LBB1132_39
; %bb.38:
	global_store_b64 v[8:9], v[0:1], off offset:4096
.LBB1132_39:
	s_wait_xcnt 0x0
	s_or_b32 exec_lo, exec_lo, s0
	v_add_nc_u32_e32 v0, 0x300, v22
	s_delay_alu instid0(VALU_DEP_1)
	v_cmp_gt_u32_e64 s0, s19, v0
.LBB1132_40:
	s_wait_xcnt 0x0
	s_delay_alu instid0(VALU_DEP_1)
	s_and_saveexec_b32 s1, s0
	s_cbranch_execnz .LBB1132_42
; %bb.41:
	s_endpgm
.LBB1132_42:
	v_xor_b32_e32 v3, 0x80000000, v3
	global_store_b64 v[8:9], v[2:3], off offset:6144
	s_endpgm
	.section	.rodata,"a",@progbits
	.p2align	6, 0x0
	.amdhsa_kernel _ZN7rocprim17ROCPRIM_400000_NS6detail17trampoline_kernelINS0_13kernel_configILj256ELj4ELj4294967295EEENS1_37radix_sort_block_sort_config_selectorIlNS0_10empty_typeEEEZNS1_21radix_sort_block_sortIS4_Lb0EPKlPlPS6_SC_NS0_19identity_decomposerEEE10hipError_tT1_T2_T3_T4_jRjT5_jjP12ihipStream_tbEUlT_E_NS1_11comp_targetILNS1_3genE0ELNS1_11target_archE4294967295ELNS1_3gpuE0ELNS1_3repE0EEENS1_44radix_sort_block_sort_config_static_selectorELNS0_4arch9wavefront6targetE0EEEvSF_
		.amdhsa_group_segment_fixed_size 8224
		.amdhsa_private_segment_fixed_size 0
		.amdhsa_kernarg_size 304
		.amdhsa_user_sgpr_count 2
		.amdhsa_user_sgpr_dispatch_ptr 0
		.amdhsa_user_sgpr_queue_ptr 0
		.amdhsa_user_sgpr_kernarg_segment_ptr 1
		.amdhsa_user_sgpr_dispatch_id 0
		.amdhsa_user_sgpr_kernarg_preload_length 0
		.amdhsa_user_sgpr_kernarg_preload_offset 0
		.amdhsa_user_sgpr_private_segment_size 0
		.amdhsa_wavefront_size32 1
		.amdhsa_uses_dynamic_stack 0
		.amdhsa_enable_private_segment 0
		.amdhsa_system_sgpr_workgroup_id_x 1
		.amdhsa_system_sgpr_workgroup_id_y 0
		.amdhsa_system_sgpr_workgroup_id_z 0
		.amdhsa_system_sgpr_workgroup_info 0
		.amdhsa_system_vgpr_workitem_id 2
		.amdhsa_next_free_vgpr 42
		.amdhsa_next_free_sgpr 30
		.amdhsa_named_barrier_count 0
		.amdhsa_reserve_vcc 1
		.amdhsa_float_round_mode_32 0
		.amdhsa_float_round_mode_16_64 0
		.amdhsa_float_denorm_mode_32 3
		.amdhsa_float_denorm_mode_16_64 3
		.amdhsa_fp16_overflow 0
		.amdhsa_memory_ordered 1
		.amdhsa_forward_progress 1
		.amdhsa_inst_pref_size 28
		.amdhsa_round_robin_scheduling 0
		.amdhsa_exception_fp_ieee_invalid_op 0
		.amdhsa_exception_fp_denorm_src 0
		.amdhsa_exception_fp_ieee_div_zero 0
		.amdhsa_exception_fp_ieee_overflow 0
		.amdhsa_exception_fp_ieee_underflow 0
		.amdhsa_exception_fp_ieee_inexact 0
		.amdhsa_exception_int_div_zero 0
	.end_amdhsa_kernel
	.section	.text._ZN7rocprim17ROCPRIM_400000_NS6detail17trampoline_kernelINS0_13kernel_configILj256ELj4ELj4294967295EEENS1_37radix_sort_block_sort_config_selectorIlNS0_10empty_typeEEEZNS1_21radix_sort_block_sortIS4_Lb0EPKlPlPS6_SC_NS0_19identity_decomposerEEE10hipError_tT1_T2_T3_T4_jRjT5_jjP12ihipStream_tbEUlT_E_NS1_11comp_targetILNS1_3genE0ELNS1_11target_archE4294967295ELNS1_3gpuE0ELNS1_3repE0EEENS1_44radix_sort_block_sort_config_static_selectorELNS0_4arch9wavefront6targetE0EEEvSF_,"axG",@progbits,_ZN7rocprim17ROCPRIM_400000_NS6detail17trampoline_kernelINS0_13kernel_configILj256ELj4ELj4294967295EEENS1_37radix_sort_block_sort_config_selectorIlNS0_10empty_typeEEEZNS1_21radix_sort_block_sortIS4_Lb0EPKlPlPS6_SC_NS0_19identity_decomposerEEE10hipError_tT1_T2_T3_T4_jRjT5_jjP12ihipStream_tbEUlT_E_NS1_11comp_targetILNS1_3genE0ELNS1_11target_archE4294967295ELNS1_3gpuE0ELNS1_3repE0EEENS1_44radix_sort_block_sort_config_static_selectorELNS0_4arch9wavefront6targetE0EEEvSF_,comdat
.Lfunc_end1132:
	.size	_ZN7rocprim17ROCPRIM_400000_NS6detail17trampoline_kernelINS0_13kernel_configILj256ELj4ELj4294967295EEENS1_37radix_sort_block_sort_config_selectorIlNS0_10empty_typeEEEZNS1_21radix_sort_block_sortIS4_Lb0EPKlPlPS6_SC_NS0_19identity_decomposerEEE10hipError_tT1_T2_T3_T4_jRjT5_jjP12ihipStream_tbEUlT_E_NS1_11comp_targetILNS1_3genE0ELNS1_11target_archE4294967295ELNS1_3gpuE0ELNS1_3repE0EEENS1_44radix_sort_block_sort_config_static_selectorELNS0_4arch9wavefront6targetE0EEEvSF_, .Lfunc_end1132-_ZN7rocprim17ROCPRIM_400000_NS6detail17trampoline_kernelINS0_13kernel_configILj256ELj4ELj4294967295EEENS1_37radix_sort_block_sort_config_selectorIlNS0_10empty_typeEEEZNS1_21radix_sort_block_sortIS4_Lb0EPKlPlPS6_SC_NS0_19identity_decomposerEEE10hipError_tT1_T2_T3_T4_jRjT5_jjP12ihipStream_tbEUlT_E_NS1_11comp_targetILNS1_3genE0ELNS1_11target_archE4294967295ELNS1_3gpuE0ELNS1_3repE0EEENS1_44radix_sort_block_sort_config_static_selectorELNS0_4arch9wavefront6targetE0EEEvSF_
                                        ; -- End function
	.set _ZN7rocprim17ROCPRIM_400000_NS6detail17trampoline_kernelINS0_13kernel_configILj256ELj4ELj4294967295EEENS1_37radix_sort_block_sort_config_selectorIlNS0_10empty_typeEEEZNS1_21radix_sort_block_sortIS4_Lb0EPKlPlPS6_SC_NS0_19identity_decomposerEEE10hipError_tT1_T2_T3_T4_jRjT5_jjP12ihipStream_tbEUlT_E_NS1_11comp_targetILNS1_3genE0ELNS1_11target_archE4294967295ELNS1_3gpuE0ELNS1_3repE0EEENS1_44radix_sort_block_sort_config_static_selectorELNS0_4arch9wavefront6targetE0EEEvSF_.num_vgpr, 42
	.set _ZN7rocprim17ROCPRIM_400000_NS6detail17trampoline_kernelINS0_13kernel_configILj256ELj4ELj4294967295EEENS1_37radix_sort_block_sort_config_selectorIlNS0_10empty_typeEEEZNS1_21radix_sort_block_sortIS4_Lb0EPKlPlPS6_SC_NS0_19identity_decomposerEEE10hipError_tT1_T2_T3_T4_jRjT5_jjP12ihipStream_tbEUlT_E_NS1_11comp_targetILNS1_3genE0ELNS1_11target_archE4294967295ELNS1_3gpuE0ELNS1_3repE0EEENS1_44radix_sort_block_sort_config_static_selectorELNS0_4arch9wavefront6targetE0EEEvSF_.num_agpr, 0
	.set _ZN7rocprim17ROCPRIM_400000_NS6detail17trampoline_kernelINS0_13kernel_configILj256ELj4ELj4294967295EEENS1_37radix_sort_block_sort_config_selectorIlNS0_10empty_typeEEEZNS1_21radix_sort_block_sortIS4_Lb0EPKlPlPS6_SC_NS0_19identity_decomposerEEE10hipError_tT1_T2_T3_T4_jRjT5_jjP12ihipStream_tbEUlT_E_NS1_11comp_targetILNS1_3genE0ELNS1_11target_archE4294967295ELNS1_3gpuE0ELNS1_3repE0EEENS1_44radix_sort_block_sort_config_static_selectorELNS0_4arch9wavefront6targetE0EEEvSF_.numbered_sgpr, 30
	.set _ZN7rocprim17ROCPRIM_400000_NS6detail17trampoline_kernelINS0_13kernel_configILj256ELj4ELj4294967295EEENS1_37radix_sort_block_sort_config_selectorIlNS0_10empty_typeEEEZNS1_21radix_sort_block_sortIS4_Lb0EPKlPlPS6_SC_NS0_19identity_decomposerEEE10hipError_tT1_T2_T3_T4_jRjT5_jjP12ihipStream_tbEUlT_E_NS1_11comp_targetILNS1_3genE0ELNS1_11target_archE4294967295ELNS1_3gpuE0ELNS1_3repE0EEENS1_44radix_sort_block_sort_config_static_selectorELNS0_4arch9wavefront6targetE0EEEvSF_.num_named_barrier, 0
	.set _ZN7rocprim17ROCPRIM_400000_NS6detail17trampoline_kernelINS0_13kernel_configILj256ELj4ELj4294967295EEENS1_37radix_sort_block_sort_config_selectorIlNS0_10empty_typeEEEZNS1_21radix_sort_block_sortIS4_Lb0EPKlPlPS6_SC_NS0_19identity_decomposerEEE10hipError_tT1_T2_T3_T4_jRjT5_jjP12ihipStream_tbEUlT_E_NS1_11comp_targetILNS1_3genE0ELNS1_11target_archE4294967295ELNS1_3gpuE0ELNS1_3repE0EEENS1_44radix_sort_block_sort_config_static_selectorELNS0_4arch9wavefront6targetE0EEEvSF_.private_seg_size, 0
	.set _ZN7rocprim17ROCPRIM_400000_NS6detail17trampoline_kernelINS0_13kernel_configILj256ELj4ELj4294967295EEENS1_37radix_sort_block_sort_config_selectorIlNS0_10empty_typeEEEZNS1_21radix_sort_block_sortIS4_Lb0EPKlPlPS6_SC_NS0_19identity_decomposerEEE10hipError_tT1_T2_T3_T4_jRjT5_jjP12ihipStream_tbEUlT_E_NS1_11comp_targetILNS1_3genE0ELNS1_11target_archE4294967295ELNS1_3gpuE0ELNS1_3repE0EEENS1_44radix_sort_block_sort_config_static_selectorELNS0_4arch9wavefront6targetE0EEEvSF_.uses_vcc, 1
	.set _ZN7rocprim17ROCPRIM_400000_NS6detail17trampoline_kernelINS0_13kernel_configILj256ELj4ELj4294967295EEENS1_37radix_sort_block_sort_config_selectorIlNS0_10empty_typeEEEZNS1_21radix_sort_block_sortIS4_Lb0EPKlPlPS6_SC_NS0_19identity_decomposerEEE10hipError_tT1_T2_T3_T4_jRjT5_jjP12ihipStream_tbEUlT_E_NS1_11comp_targetILNS1_3genE0ELNS1_11target_archE4294967295ELNS1_3gpuE0ELNS1_3repE0EEENS1_44radix_sort_block_sort_config_static_selectorELNS0_4arch9wavefront6targetE0EEEvSF_.uses_flat_scratch, 0
	.set _ZN7rocprim17ROCPRIM_400000_NS6detail17trampoline_kernelINS0_13kernel_configILj256ELj4ELj4294967295EEENS1_37radix_sort_block_sort_config_selectorIlNS0_10empty_typeEEEZNS1_21radix_sort_block_sortIS4_Lb0EPKlPlPS6_SC_NS0_19identity_decomposerEEE10hipError_tT1_T2_T3_T4_jRjT5_jjP12ihipStream_tbEUlT_E_NS1_11comp_targetILNS1_3genE0ELNS1_11target_archE4294967295ELNS1_3gpuE0ELNS1_3repE0EEENS1_44radix_sort_block_sort_config_static_selectorELNS0_4arch9wavefront6targetE0EEEvSF_.has_dyn_sized_stack, 0
	.set _ZN7rocprim17ROCPRIM_400000_NS6detail17trampoline_kernelINS0_13kernel_configILj256ELj4ELj4294967295EEENS1_37radix_sort_block_sort_config_selectorIlNS0_10empty_typeEEEZNS1_21radix_sort_block_sortIS4_Lb0EPKlPlPS6_SC_NS0_19identity_decomposerEEE10hipError_tT1_T2_T3_T4_jRjT5_jjP12ihipStream_tbEUlT_E_NS1_11comp_targetILNS1_3genE0ELNS1_11target_archE4294967295ELNS1_3gpuE0ELNS1_3repE0EEENS1_44radix_sort_block_sort_config_static_selectorELNS0_4arch9wavefront6targetE0EEEvSF_.has_recursion, 0
	.set _ZN7rocprim17ROCPRIM_400000_NS6detail17trampoline_kernelINS0_13kernel_configILj256ELj4ELj4294967295EEENS1_37radix_sort_block_sort_config_selectorIlNS0_10empty_typeEEEZNS1_21radix_sort_block_sortIS4_Lb0EPKlPlPS6_SC_NS0_19identity_decomposerEEE10hipError_tT1_T2_T3_T4_jRjT5_jjP12ihipStream_tbEUlT_E_NS1_11comp_targetILNS1_3genE0ELNS1_11target_archE4294967295ELNS1_3gpuE0ELNS1_3repE0EEENS1_44radix_sort_block_sort_config_static_selectorELNS0_4arch9wavefront6targetE0EEEvSF_.has_indirect_call, 0
	.section	.AMDGPU.csdata,"",@progbits
; Kernel info:
; codeLenInByte = 3516
; TotalNumSgprs: 32
; NumVgprs: 42
; ScratchSize: 0
; MemoryBound: 1
; FloatMode: 240
; IeeeMode: 1
; LDSByteSize: 8224 bytes/workgroup (compile time only)
; SGPRBlocks: 0
; VGPRBlocks: 2
; NumSGPRsForWavesPerEU: 32
; NumVGPRsForWavesPerEU: 42
; NamedBarCnt: 0
; Occupancy: 16
; WaveLimiterHint : 1
; COMPUTE_PGM_RSRC2:SCRATCH_EN: 0
; COMPUTE_PGM_RSRC2:USER_SGPR: 2
; COMPUTE_PGM_RSRC2:TRAP_HANDLER: 0
; COMPUTE_PGM_RSRC2:TGID_X_EN: 1
; COMPUTE_PGM_RSRC2:TGID_Y_EN: 0
; COMPUTE_PGM_RSRC2:TGID_Z_EN: 0
; COMPUTE_PGM_RSRC2:TIDIG_COMP_CNT: 2
	.section	.text._ZN7rocprim17ROCPRIM_400000_NS6detail17trampoline_kernelINS0_13kernel_configILj256ELj4ELj4294967295EEENS1_37radix_sort_block_sort_config_selectorIlNS0_10empty_typeEEEZNS1_21radix_sort_block_sortIS4_Lb0EPKlPlPS6_SC_NS0_19identity_decomposerEEE10hipError_tT1_T2_T3_T4_jRjT5_jjP12ihipStream_tbEUlT_E_NS1_11comp_targetILNS1_3genE5ELNS1_11target_archE942ELNS1_3gpuE9ELNS1_3repE0EEENS1_44radix_sort_block_sort_config_static_selectorELNS0_4arch9wavefront6targetE0EEEvSF_,"axG",@progbits,_ZN7rocprim17ROCPRIM_400000_NS6detail17trampoline_kernelINS0_13kernel_configILj256ELj4ELj4294967295EEENS1_37radix_sort_block_sort_config_selectorIlNS0_10empty_typeEEEZNS1_21radix_sort_block_sortIS4_Lb0EPKlPlPS6_SC_NS0_19identity_decomposerEEE10hipError_tT1_T2_T3_T4_jRjT5_jjP12ihipStream_tbEUlT_E_NS1_11comp_targetILNS1_3genE5ELNS1_11target_archE942ELNS1_3gpuE9ELNS1_3repE0EEENS1_44radix_sort_block_sort_config_static_selectorELNS0_4arch9wavefront6targetE0EEEvSF_,comdat
	.protected	_ZN7rocprim17ROCPRIM_400000_NS6detail17trampoline_kernelINS0_13kernel_configILj256ELj4ELj4294967295EEENS1_37radix_sort_block_sort_config_selectorIlNS0_10empty_typeEEEZNS1_21radix_sort_block_sortIS4_Lb0EPKlPlPS6_SC_NS0_19identity_decomposerEEE10hipError_tT1_T2_T3_T4_jRjT5_jjP12ihipStream_tbEUlT_E_NS1_11comp_targetILNS1_3genE5ELNS1_11target_archE942ELNS1_3gpuE9ELNS1_3repE0EEENS1_44radix_sort_block_sort_config_static_selectorELNS0_4arch9wavefront6targetE0EEEvSF_ ; -- Begin function _ZN7rocprim17ROCPRIM_400000_NS6detail17trampoline_kernelINS0_13kernel_configILj256ELj4ELj4294967295EEENS1_37radix_sort_block_sort_config_selectorIlNS0_10empty_typeEEEZNS1_21radix_sort_block_sortIS4_Lb0EPKlPlPS6_SC_NS0_19identity_decomposerEEE10hipError_tT1_T2_T3_T4_jRjT5_jjP12ihipStream_tbEUlT_E_NS1_11comp_targetILNS1_3genE5ELNS1_11target_archE942ELNS1_3gpuE9ELNS1_3repE0EEENS1_44radix_sort_block_sort_config_static_selectorELNS0_4arch9wavefront6targetE0EEEvSF_
	.globl	_ZN7rocprim17ROCPRIM_400000_NS6detail17trampoline_kernelINS0_13kernel_configILj256ELj4ELj4294967295EEENS1_37radix_sort_block_sort_config_selectorIlNS0_10empty_typeEEEZNS1_21radix_sort_block_sortIS4_Lb0EPKlPlPS6_SC_NS0_19identity_decomposerEEE10hipError_tT1_T2_T3_T4_jRjT5_jjP12ihipStream_tbEUlT_E_NS1_11comp_targetILNS1_3genE5ELNS1_11target_archE942ELNS1_3gpuE9ELNS1_3repE0EEENS1_44radix_sort_block_sort_config_static_selectorELNS0_4arch9wavefront6targetE0EEEvSF_
	.p2align	8
	.type	_ZN7rocprim17ROCPRIM_400000_NS6detail17trampoline_kernelINS0_13kernel_configILj256ELj4ELj4294967295EEENS1_37radix_sort_block_sort_config_selectorIlNS0_10empty_typeEEEZNS1_21radix_sort_block_sortIS4_Lb0EPKlPlPS6_SC_NS0_19identity_decomposerEEE10hipError_tT1_T2_T3_T4_jRjT5_jjP12ihipStream_tbEUlT_E_NS1_11comp_targetILNS1_3genE5ELNS1_11target_archE942ELNS1_3gpuE9ELNS1_3repE0EEENS1_44radix_sort_block_sort_config_static_selectorELNS0_4arch9wavefront6targetE0EEEvSF_,@function
_ZN7rocprim17ROCPRIM_400000_NS6detail17trampoline_kernelINS0_13kernel_configILj256ELj4ELj4294967295EEENS1_37radix_sort_block_sort_config_selectorIlNS0_10empty_typeEEEZNS1_21radix_sort_block_sortIS4_Lb0EPKlPlPS6_SC_NS0_19identity_decomposerEEE10hipError_tT1_T2_T3_T4_jRjT5_jjP12ihipStream_tbEUlT_E_NS1_11comp_targetILNS1_3genE5ELNS1_11target_archE942ELNS1_3gpuE9ELNS1_3repE0EEENS1_44radix_sort_block_sort_config_static_selectorELNS0_4arch9wavefront6targetE0EEEvSF_: ; @_ZN7rocprim17ROCPRIM_400000_NS6detail17trampoline_kernelINS0_13kernel_configILj256ELj4ELj4294967295EEENS1_37radix_sort_block_sort_config_selectorIlNS0_10empty_typeEEEZNS1_21radix_sort_block_sortIS4_Lb0EPKlPlPS6_SC_NS0_19identity_decomposerEEE10hipError_tT1_T2_T3_T4_jRjT5_jjP12ihipStream_tbEUlT_E_NS1_11comp_targetILNS1_3genE5ELNS1_11target_archE942ELNS1_3gpuE9ELNS1_3repE0EEENS1_44radix_sort_block_sort_config_static_selectorELNS0_4arch9wavefront6targetE0EEEvSF_
; %bb.0:
	.section	.rodata,"a",@progbits
	.p2align	6, 0x0
	.amdhsa_kernel _ZN7rocprim17ROCPRIM_400000_NS6detail17trampoline_kernelINS0_13kernel_configILj256ELj4ELj4294967295EEENS1_37radix_sort_block_sort_config_selectorIlNS0_10empty_typeEEEZNS1_21radix_sort_block_sortIS4_Lb0EPKlPlPS6_SC_NS0_19identity_decomposerEEE10hipError_tT1_T2_T3_T4_jRjT5_jjP12ihipStream_tbEUlT_E_NS1_11comp_targetILNS1_3genE5ELNS1_11target_archE942ELNS1_3gpuE9ELNS1_3repE0EEENS1_44radix_sort_block_sort_config_static_selectorELNS0_4arch9wavefront6targetE0EEEvSF_
		.amdhsa_group_segment_fixed_size 0
		.amdhsa_private_segment_fixed_size 0
		.amdhsa_kernarg_size 48
		.amdhsa_user_sgpr_count 2
		.amdhsa_user_sgpr_dispatch_ptr 0
		.amdhsa_user_sgpr_queue_ptr 0
		.amdhsa_user_sgpr_kernarg_segment_ptr 1
		.amdhsa_user_sgpr_dispatch_id 0
		.amdhsa_user_sgpr_kernarg_preload_length 0
		.amdhsa_user_sgpr_kernarg_preload_offset 0
		.amdhsa_user_sgpr_private_segment_size 0
		.amdhsa_wavefront_size32 1
		.amdhsa_uses_dynamic_stack 0
		.amdhsa_enable_private_segment 0
		.amdhsa_system_sgpr_workgroup_id_x 1
		.amdhsa_system_sgpr_workgroup_id_y 0
		.amdhsa_system_sgpr_workgroup_id_z 0
		.amdhsa_system_sgpr_workgroup_info 0
		.amdhsa_system_vgpr_workitem_id 0
		.amdhsa_next_free_vgpr 1
		.amdhsa_next_free_sgpr 1
		.amdhsa_named_barrier_count 0
		.amdhsa_reserve_vcc 0
		.amdhsa_float_round_mode_32 0
		.amdhsa_float_round_mode_16_64 0
		.amdhsa_float_denorm_mode_32 3
		.amdhsa_float_denorm_mode_16_64 3
		.amdhsa_fp16_overflow 0
		.amdhsa_memory_ordered 1
		.amdhsa_forward_progress 1
		.amdhsa_inst_pref_size 0
		.amdhsa_round_robin_scheduling 0
		.amdhsa_exception_fp_ieee_invalid_op 0
		.amdhsa_exception_fp_denorm_src 0
		.amdhsa_exception_fp_ieee_div_zero 0
		.amdhsa_exception_fp_ieee_overflow 0
		.amdhsa_exception_fp_ieee_underflow 0
		.amdhsa_exception_fp_ieee_inexact 0
		.amdhsa_exception_int_div_zero 0
	.end_amdhsa_kernel
	.section	.text._ZN7rocprim17ROCPRIM_400000_NS6detail17trampoline_kernelINS0_13kernel_configILj256ELj4ELj4294967295EEENS1_37radix_sort_block_sort_config_selectorIlNS0_10empty_typeEEEZNS1_21radix_sort_block_sortIS4_Lb0EPKlPlPS6_SC_NS0_19identity_decomposerEEE10hipError_tT1_T2_T3_T4_jRjT5_jjP12ihipStream_tbEUlT_E_NS1_11comp_targetILNS1_3genE5ELNS1_11target_archE942ELNS1_3gpuE9ELNS1_3repE0EEENS1_44radix_sort_block_sort_config_static_selectorELNS0_4arch9wavefront6targetE0EEEvSF_,"axG",@progbits,_ZN7rocprim17ROCPRIM_400000_NS6detail17trampoline_kernelINS0_13kernel_configILj256ELj4ELj4294967295EEENS1_37radix_sort_block_sort_config_selectorIlNS0_10empty_typeEEEZNS1_21radix_sort_block_sortIS4_Lb0EPKlPlPS6_SC_NS0_19identity_decomposerEEE10hipError_tT1_T2_T3_T4_jRjT5_jjP12ihipStream_tbEUlT_E_NS1_11comp_targetILNS1_3genE5ELNS1_11target_archE942ELNS1_3gpuE9ELNS1_3repE0EEENS1_44radix_sort_block_sort_config_static_selectorELNS0_4arch9wavefront6targetE0EEEvSF_,comdat
.Lfunc_end1133:
	.size	_ZN7rocprim17ROCPRIM_400000_NS6detail17trampoline_kernelINS0_13kernel_configILj256ELj4ELj4294967295EEENS1_37radix_sort_block_sort_config_selectorIlNS0_10empty_typeEEEZNS1_21radix_sort_block_sortIS4_Lb0EPKlPlPS6_SC_NS0_19identity_decomposerEEE10hipError_tT1_T2_T3_T4_jRjT5_jjP12ihipStream_tbEUlT_E_NS1_11comp_targetILNS1_3genE5ELNS1_11target_archE942ELNS1_3gpuE9ELNS1_3repE0EEENS1_44radix_sort_block_sort_config_static_selectorELNS0_4arch9wavefront6targetE0EEEvSF_, .Lfunc_end1133-_ZN7rocprim17ROCPRIM_400000_NS6detail17trampoline_kernelINS0_13kernel_configILj256ELj4ELj4294967295EEENS1_37radix_sort_block_sort_config_selectorIlNS0_10empty_typeEEEZNS1_21radix_sort_block_sortIS4_Lb0EPKlPlPS6_SC_NS0_19identity_decomposerEEE10hipError_tT1_T2_T3_T4_jRjT5_jjP12ihipStream_tbEUlT_E_NS1_11comp_targetILNS1_3genE5ELNS1_11target_archE942ELNS1_3gpuE9ELNS1_3repE0EEENS1_44radix_sort_block_sort_config_static_selectorELNS0_4arch9wavefront6targetE0EEEvSF_
                                        ; -- End function
	.set _ZN7rocprim17ROCPRIM_400000_NS6detail17trampoline_kernelINS0_13kernel_configILj256ELj4ELj4294967295EEENS1_37radix_sort_block_sort_config_selectorIlNS0_10empty_typeEEEZNS1_21radix_sort_block_sortIS4_Lb0EPKlPlPS6_SC_NS0_19identity_decomposerEEE10hipError_tT1_T2_T3_T4_jRjT5_jjP12ihipStream_tbEUlT_E_NS1_11comp_targetILNS1_3genE5ELNS1_11target_archE942ELNS1_3gpuE9ELNS1_3repE0EEENS1_44radix_sort_block_sort_config_static_selectorELNS0_4arch9wavefront6targetE0EEEvSF_.num_vgpr, 0
	.set _ZN7rocprim17ROCPRIM_400000_NS6detail17trampoline_kernelINS0_13kernel_configILj256ELj4ELj4294967295EEENS1_37radix_sort_block_sort_config_selectorIlNS0_10empty_typeEEEZNS1_21radix_sort_block_sortIS4_Lb0EPKlPlPS6_SC_NS0_19identity_decomposerEEE10hipError_tT1_T2_T3_T4_jRjT5_jjP12ihipStream_tbEUlT_E_NS1_11comp_targetILNS1_3genE5ELNS1_11target_archE942ELNS1_3gpuE9ELNS1_3repE0EEENS1_44radix_sort_block_sort_config_static_selectorELNS0_4arch9wavefront6targetE0EEEvSF_.num_agpr, 0
	.set _ZN7rocprim17ROCPRIM_400000_NS6detail17trampoline_kernelINS0_13kernel_configILj256ELj4ELj4294967295EEENS1_37radix_sort_block_sort_config_selectorIlNS0_10empty_typeEEEZNS1_21radix_sort_block_sortIS4_Lb0EPKlPlPS6_SC_NS0_19identity_decomposerEEE10hipError_tT1_T2_T3_T4_jRjT5_jjP12ihipStream_tbEUlT_E_NS1_11comp_targetILNS1_3genE5ELNS1_11target_archE942ELNS1_3gpuE9ELNS1_3repE0EEENS1_44radix_sort_block_sort_config_static_selectorELNS0_4arch9wavefront6targetE0EEEvSF_.numbered_sgpr, 0
	.set _ZN7rocprim17ROCPRIM_400000_NS6detail17trampoline_kernelINS0_13kernel_configILj256ELj4ELj4294967295EEENS1_37radix_sort_block_sort_config_selectorIlNS0_10empty_typeEEEZNS1_21radix_sort_block_sortIS4_Lb0EPKlPlPS6_SC_NS0_19identity_decomposerEEE10hipError_tT1_T2_T3_T4_jRjT5_jjP12ihipStream_tbEUlT_E_NS1_11comp_targetILNS1_3genE5ELNS1_11target_archE942ELNS1_3gpuE9ELNS1_3repE0EEENS1_44radix_sort_block_sort_config_static_selectorELNS0_4arch9wavefront6targetE0EEEvSF_.num_named_barrier, 0
	.set _ZN7rocprim17ROCPRIM_400000_NS6detail17trampoline_kernelINS0_13kernel_configILj256ELj4ELj4294967295EEENS1_37radix_sort_block_sort_config_selectorIlNS0_10empty_typeEEEZNS1_21radix_sort_block_sortIS4_Lb0EPKlPlPS6_SC_NS0_19identity_decomposerEEE10hipError_tT1_T2_T3_T4_jRjT5_jjP12ihipStream_tbEUlT_E_NS1_11comp_targetILNS1_3genE5ELNS1_11target_archE942ELNS1_3gpuE9ELNS1_3repE0EEENS1_44radix_sort_block_sort_config_static_selectorELNS0_4arch9wavefront6targetE0EEEvSF_.private_seg_size, 0
	.set _ZN7rocprim17ROCPRIM_400000_NS6detail17trampoline_kernelINS0_13kernel_configILj256ELj4ELj4294967295EEENS1_37radix_sort_block_sort_config_selectorIlNS0_10empty_typeEEEZNS1_21radix_sort_block_sortIS4_Lb0EPKlPlPS6_SC_NS0_19identity_decomposerEEE10hipError_tT1_T2_T3_T4_jRjT5_jjP12ihipStream_tbEUlT_E_NS1_11comp_targetILNS1_3genE5ELNS1_11target_archE942ELNS1_3gpuE9ELNS1_3repE0EEENS1_44radix_sort_block_sort_config_static_selectorELNS0_4arch9wavefront6targetE0EEEvSF_.uses_vcc, 0
	.set _ZN7rocprim17ROCPRIM_400000_NS6detail17trampoline_kernelINS0_13kernel_configILj256ELj4ELj4294967295EEENS1_37radix_sort_block_sort_config_selectorIlNS0_10empty_typeEEEZNS1_21radix_sort_block_sortIS4_Lb0EPKlPlPS6_SC_NS0_19identity_decomposerEEE10hipError_tT1_T2_T3_T4_jRjT5_jjP12ihipStream_tbEUlT_E_NS1_11comp_targetILNS1_3genE5ELNS1_11target_archE942ELNS1_3gpuE9ELNS1_3repE0EEENS1_44radix_sort_block_sort_config_static_selectorELNS0_4arch9wavefront6targetE0EEEvSF_.uses_flat_scratch, 0
	.set _ZN7rocprim17ROCPRIM_400000_NS6detail17trampoline_kernelINS0_13kernel_configILj256ELj4ELj4294967295EEENS1_37radix_sort_block_sort_config_selectorIlNS0_10empty_typeEEEZNS1_21radix_sort_block_sortIS4_Lb0EPKlPlPS6_SC_NS0_19identity_decomposerEEE10hipError_tT1_T2_T3_T4_jRjT5_jjP12ihipStream_tbEUlT_E_NS1_11comp_targetILNS1_3genE5ELNS1_11target_archE942ELNS1_3gpuE9ELNS1_3repE0EEENS1_44radix_sort_block_sort_config_static_selectorELNS0_4arch9wavefront6targetE0EEEvSF_.has_dyn_sized_stack, 0
	.set _ZN7rocprim17ROCPRIM_400000_NS6detail17trampoline_kernelINS0_13kernel_configILj256ELj4ELj4294967295EEENS1_37radix_sort_block_sort_config_selectorIlNS0_10empty_typeEEEZNS1_21radix_sort_block_sortIS4_Lb0EPKlPlPS6_SC_NS0_19identity_decomposerEEE10hipError_tT1_T2_T3_T4_jRjT5_jjP12ihipStream_tbEUlT_E_NS1_11comp_targetILNS1_3genE5ELNS1_11target_archE942ELNS1_3gpuE9ELNS1_3repE0EEENS1_44radix_sort_block_sort_config_static_selectorELNS0_4arch9wavefront6targetE0EEEvSF_.has_recursion, 0
	.set _ZN7rocprim17ROCPRIM_400000_NS6detail17trampoline_kernelINS0_13kernel_configILj256ELj4ELj4294967295EEENS1_37radix_sort_block_sort_config_selectorIlNS0_10empty_typeEEEZNS1_21radix_sort_block_sortIS4_Lb0EPKlPlPS6_SC_NS0_19identity_decomposerEEE10hipError_tT1_T2_T3_T4_jRjT5_jjP12ihipStream_tbEUlT_E_NS1_11comp_targetILNS1_3genE5ELNS1_11target_archE942ELNS1_3gpuE9ELNS1_3repE0EEENS1_44radix_sort_block_sort_config_static_selectorELNS0_4arch9wavefront6targetE0EEEvSF_.has_indirect_call, 0
	.section	.AMDGPU.csdata,"",@progbits
; Kernel info:
; codeLenInByte = 0
; TotalNumSgprs: 0
; NumVgprs: 0
; ScratchSize: 0
; MemoryBound: 0
; FloatMode: 240
; IeeeMode: 1
; LDSByteSize: 0 bytes/workgroup (compile time only)
; SGPRBlocks: 0
; VGPRBlocks: 0
; NumSGPRsForWavesPerEU: 1
; NumVGPRsForWavesPerEU: 1
; NamedBarCnt: 0
; Occupancy: 16
; WaveLimiterHint : 0
; COMPUTE_PGM_RSRC2:SCRATCH_EN: 0
; COMPUTE_PGM_RSRC2:USER_SGPR: 2
; COMPUTE_PGM_RSRC2:TRAP_HANDLER: 0
; COMPUTE_PGM_RSRC2:TGID_X_EN: 1
; COMPUTE_PGM_RSRC2:TGID_Y_EN: 0
; COMPUTE_PGM_RSRC2:TGID_Z_EN: 0
; COMPUTE_PGM_RSRC2:TIDIG_COMP_CNT: 0
	.section	.text._ZN7rocprim17ROCPRIM_400000_NS6detail17trampoline_kernelINS0_13kernel_configILj256ELj4ELj4294967295EEENS1_37radix_sort_block_sort_config_selectorIlNS0_10empty_typeEEEZNS1_21radix_sort_block_sortIS4_Lb0EPKlPlPS6_SC_NS0_19identity_decomposerEEE10hipError_tT1_T2_T3_T4_jRjT5_jjP12ihipStream_tbEUlT_E_NS1_11comp_targetILNS1_3genE4ELNS1_11target_archE910ELNS1_3gpuE8ELNS1_3repE0EEENS1_44radix_sort_block_sort_config_static_selectorELNS0_4arch9wavefront6targetE0EEEvSF_,"axG",@progbits,_ZN7rocprim17ROCPRIM_400000_NS6detail17trampoline_kernelINS0_13kernel_configILj256ELj4ELj4294967295EEENS1_37radix_sort_block_sort_config_selectorIlNS0_10empty_typeEEEZNS1_21radix_sort_block_sortIS4_Lb0EPKlPlPS6_SC_NS0_19identity_decomposerEEE10hipError_tT1_T2_T3_T4_jRjT5_jjP12ihipStream_tbEUlT_E_NS1_11comp_targetILNS1_3genE4ELNS1_11target_archE910ELNS1_3gpuE8ELNS1_3repE0EEENS1_44radix_sort_block_sort_config_static_selectorELNS0_4arch9wavefront6targetE0EEEvSF_,comdat
	.protected	_ZN7rocprim17ROCPRIM_400000_NS6detail17trampoline_kernelINS0_13kernel_configILj256ELj4ELj4294967295EEENS1_37radix_sort_block_sort_config_selectorIlNS0_10empty_typeEEEZNS1_21radix_sort_block_sortIS4_Lb0EPKlPlPS6_SC_NS0_19identity_decomposerEEE10hipError_tT1_T2_T3_T4_jRjT5_jjP12ihipStream_tbEUlT_E_NS1_11comp_targetILNS1_3genE4ELNS1_11target_archE910ELNS1_3gpuE8ELNS1_3repE0EEENS1_44radix_sort_block_sort_config_static_selectorELNS0_4arch9wavefront6targetE0EEEvSF_ ; -- Begin function _ZN7rocprim17ROCPRIM_400000_NS6detail17trampoline_kernelINS0_13kernel_configILj256ELj4ELj4294967295EEENS1_37radix_sort_block_sort_config_selectorIlNS0_10empty_typeEEEZNS1_21radix_sort_block_sortIS4_Lb0EPKlPlPS6_SC_NS0_19identity_decomposerEEE10hipError_tT1_T2_T3_T4_jRjT5_jjP12ihipStream_tbEUlT_E_NS1_11comp_targetILNS1_3genE4ELNS1_11target_archE910ELNS1_3gpuE8ELNS1_3repE0EEENS1_44radix_sort_block_sort_config_static_selectorELNS0_4arch9wavefront6targetE0EEEvSF_
	.globl	_ZN7rocprim17ROCPRIM_400000_NS6detail17trampoline_kernelINS0_13kernel_configILj256ELj4ELj4294967295EEENS1_37radix_sort_block_sort_config_selectorIlNS0_10empty_typeEEEZNS1_21radix_sort_block_sortIS4_Lb0EPKlPlPS6_SC_NS0_19identity_decomposerEEE10hipError_tT1_T2_T3_T4_jRjT5_jjP12ihipStream_tbEUlT_E_NS1_11comp_targetILNS1_3genE4ELNS1_11target_archE910ELNS1_3gpuE8ELNS1_3repE0EEENS1_44radix_sort_block_sort_config_static_selectorELNS0_4arch9wavefront6targetE0EEEvSF_
	.p2align	8
	.type	_ZN7rocprim17ROCPRIM_400000_NS6detail17trampoline_kernelINS0_13kernel_configILj256ELj4ELj4294967295EEENS1_37radix_sort_block_sort_config_selectorIlNS0_10empty_typeEEEZNS1_21radix_sort_block_sortIS4_Lb0EPKlPlPS6_SC_NS0_19identity_decomposerEEE10hipError_tT1_T2_T3_T4_jRjT5_jjP12ihipStream_tbEUlT_E_NS1_11comp_targetILNS1_3genE4ELNS1_11target_archE910ELNS1_3gpuE8ELNS1_3repE0EEENS1_44radix_sort_block_sort_config_static_selectorELNS0_4arch9wavefront6targetE0EEEvSF_,@function
_ZN7rocprim17ROCPRIM_400000_NS6detail17trampoline_kernelINS0_13kernel_configILj256ELj4ELj4294967295EEENS1_37radix_sort_block_sort_config_selectorIlNS0_10empty_typeEEEZNS1_21radix_sort_block_sortIS4_Lb0EPKlPlPS6_SC_NS0_19identity_decomposerEEE10hipError_tT1_T2_T3_T4_jRjT5_jjP12ihipStream_tbEUlT_E_NS1_11comp_targetILNS1_3genE4ELNS1_11target_archE910ELNS1_3gpuE8ELNS1_3repE0EEENS1_44radix_sort_block_sort_config_static_selectorELNS0_4arch9wavefront6targetE0EEEvSF_: ; @_ZN7rocprim17ROCPRIM_400000_NS6detail17trampoline_kernelINS0_13kernel_configILj256ELj4ELj4294967295EEENS1_37radix_sort_block_sort_config_selectorIlNS0_10empty_typeEEEZNS1_21radix_sort_block_sortIS4_Lb0EPKlPlPS6_SC_NS0_19identity_decomposerEEE10hipError_tT1_T2_T3_T4_jRjT5_jjP12ihipStream_tbEUlT_E_NS1_11comp_targetILNS1_3genE4ELNS1_11target_archE910ELNS1_3gpuE8ELNS1_3repE0EEENS1_44radix_sort_block_sort_config_static_selectorELNS0_4arch9wavefront6targetE0EEEvSF_
; %bb.0:
	.section	.rodata,"a",@progbits
	.p2align	6, 0x0
	.amdhsa_kernel _ZN7rocprim17ROCPRIM_400000_NS6detail17trampoline_kernelINS0_13kernel_configILj256ELj4ELj4294967295EEENS1_37radix_sort_block_sort_config_selectorIlNS0_10empty_typeEEEZNS1_21radix_sort_block_sortIS4_Lb0EPKlPlPS6_SC_NS0_19identity_decomposerEEE10hipError_tT1_T2_T3_T4_jRjT5_jjP12ihipStream_tbEUlT_E_NS1_11comp_targetILNS1_3genE4ELNS1_11target_archE910ELNS1_3gpuE8ELNS1_3repE0EEENS1_44radix_sort_block_sort_config_static_selectorELNS0_4arch9wavefront6targetE0EEEvSF_
		.amdhsa_group_segment_fixed_size 0
		.amdhsa_private_segment_fixed_size 0
		.amdhsa_kernarg_size 48
		.amdhsa_user_sgpr_count 2
		.amdhsa_user_sgpr_dispatch_ptr 0
		.amdhsa_user_sgpr_queue_ptr 0
		.amdhsa_user_sgpr_kernarg_segment_ptr 1
		.amdhsa_user_sgpr_dispatch_id 0
		.amdhsa_user_sgpr_kernarg_preload_length 0
		.amdhsa_user_sgpr_kernarg_preload_offset 0
		.amdhsa_user_sgpr_private_segment_size 0
		.amdhsa_wavefront_size32 1
		.amdhsa_uses_dynamic_stack 0
		.amdhsa_enable_private_segment 0
		.amdhsa_system_sgpr_workgroup_id_x 1
		.amdhsa_system_sgpr_workgroup_id_y 0
		.amdhsa_system_sgpr_workgroup_id_z 0
		.amdhsa_system_sgpr_workgroup_info 0
		.amdhsa_system_vgpr_workitem_id 0
		.amdhsa_next_free_vgpr 1
		.amdhsa_next_free_sgpr 1
		.amdhsa_named_barrier_count 0
		.amdhsa_reserve_vcc 0
		.amdhsa_float_round_mode_32 0
		.amdhsa_float_round_mode_16_64 0
		.amdhsa_float_denorm_mode_32 3
		.amdhsa_float_denorm_mode_16_64 3
		.amdhsa_fp16_overflow 0
		.amdhsa_memory_ordered 1
		.amdhsa_forward_progress 1
		.amdhsa_inst_pref_size 0
		.amdhsa_round_robin_scheduling 0
		.amdhsa_exception_fp_ieee_invalid_op 0
		.amdhsa_exception_fp_denorm_src 0
		.amdhsa_exception_fp_ieee_div_zero 0
		.amdhsa_exception_fp_ieee_overflow 0
		.amdhsa_exception_fp_ieee_underflow 0
		.amdhsa_exception_fp_ieee_inexact 0
		.amdhsa_exception_int_div_zero 0
	.end_amdhsa_kernel
	.section	.text._ZN7rocprim17ROCPRIM_400000_NS6detail17trampoline_kernelINS0_13kernel_configILj256ELj4ELj4294967295EEENS1_37radix_sort_block_sort_config_selectorIlNS0_10empty_typeEEEZNS1_21radix_sort_block_sortIS4_Lb0EPKlPlPS6_SC_NS0_19identity_decomposerEEE10hipError_tT1_T2_T3_T4_jRjT5_jjP12ihipStream_tbEUlT_E_NS1_11comp_targetILNS1_3genE4ELNS1_11target_archE910ELNS1_3gpuE8ELNS1_3repE0EEENS1_44radix_sort_block_sort_config_static_selectorELNS0_4arch9wavefront6targetE0EEEvSF_,"axG",@progbits,_ZN7rocprim17ROCPRIM_400000_NS6detail17trampoline_kernelINS0_13kernel_configILj256ELj4ELj4294967295EEENS1_37radix_sort_block_sort_config_selectorIlNS0_10empty_typeEEEZNS1_21radix_sort_block_sortIS4_Lb0EPKlPlPS6_SC_NS0_19identity_decomposerEEE10hipError_tT1_T2_T3_T4_jRjT5_jjP12ihipStream_tbEUlT_E_NS1_11comp_targetILNS1_3genE4ELNS1_11target_archE910ELNS1_3gpuE8ELNS1_3repE0EEENS1_44radix_sort_block_sort_config_static_selectorELNS0_4arch9wavefront6targetE0EEEvSF_,comdat
.Lfunc_end1134:
	.size	_ZN7rocprim17ROCPRIM_400000_NS6detail17trampoline_kernelINS0_13kernel_configILj256ELj4ELj4294967295EEENS1_37radix_sort_block_sort_config_selectorIlNS0_10empty_typeEEEZNS1_21radix_sort_block_sortIS4_Lb0EPKlPlPS6_SC_NS0_19identity_decomposerEEE10hipError_tT1_T2_T3_T4_jRjT5_jjP12ihipStream_tbEUlT_E_NS1_11comp_targetILNS1_3genE4ELNS1_11target_archE910ELNS1_3gpuE8ELNS1_3repE0EEENS1_44radix_sort_block_sort_config_static_selectorELNS0_4arch9wavefront6targetE0EEEvSF_, .Lfunc_end1134-_ZN7rocprim17ROCPRIM_400000_NS6detail17trampoline_kernelINS0_13kernel_configILj256ELj4ELj4294967295EEENS1_37radix_sort_block_sort_config_selectorIlNS0_10empty_typeEEEZNS1_21radix_sort_block_sortIS4_Lb0EPKlPlPS6_SC_NS0_19identity_decomposerEEE10hipError_tT1_T2_T3_T4_jRjT5_jjP12ihipStream_tbEUlT_E_NS1_11comp_targetILNS1_3genE4ELNS1_11target_archE910ELNS1_3gpuE8ELNS1_3repE0EEENS1_44radix_sort_block_sort_config_static_selectorELNS0_4arch9wavefront6targetE0EEEvSF_
                                        ; -- End function
	.set _ZN7rocprim17ROCPRIM_400000_NS6detail17trampoline_kernelINS0_13kernel_configILj256ELj4ELj4294967295EEENS1_37radix_sort_block_sort_config_selectorIlNS0_10empty_typeEEEZNS1_21radix_sort_block_sortIS4_Lb0EPKlPlPS6_SC_NS0_19identity_decomposerEEE10hipError_tT1_T2_T3_T4_jRjT5_jjP12ihipStream_tbEUlT_E_NS1_11comp_targetILNS1_3genE4ELNS1_11target_archE910ELNS1_3gpuE8ELNS1_3repE0EEENS1_44radix_sort_block_sort_config_static_selectorELNS0_4arch9wavefront6targetE0EEEvSF_.num_vgpr, 0
	.set _ZN7rocprim17ROCPRIM_400000_NS6detail17trampoline_kernelINS0_13kernel_configILj256ELj4ELj4294967295EEENS1_37radix_sort_block_sort_config_selectorIlNS0_10empty_typeEEEZNS1_21radix_sort_block_sortIS4_Lb0EPKlPlPS6_SC_NS0_19identity_decomposerEEE10hipError_tT1_T2_T3_T4_jRjT5_jjP12ihipStream_tbEUlT_E_NS1_11comp_targetILNS1_3genE4ELNS1_11target_archE910ELNS1_3gpuE8ELNS1_3repE0EEENS1_44radix_sort_block_sort_config_static_selectorELNS0_4arch9wavefront6targetE0EEEvSF_.num_agpr, 0
	.set _ZN7rocprim17ROCPRIM_400000_NS6detail17trampoline_kernelINS0_13kernel_configILj256ELj4ELj4294967295EEENS1_37radix_sort_block_sort_config_selectorIlNS0_10empty_typeEEEZNS1_21radix_sort_block_sortIS4_Lb0EPKlPlPS6_SC_NS0_19identity_decomposerEEE10hipError_tT1_T2_T3_T4_jRjT5_jjP12ihipStream_tbEUlT_E_NS1_11comp_targetILNS1_3genE4ELNS1_11target_archE910ELNS1_3gpuE8ELNS1_3repE0EEENS1_44radix_sort_block_sort_config_static_selectorELNS0_4arch9wavefront6targetE0EEEvSF_.numbered_sgpr, 0
	.set _ZN7rocprim17ROCPRIM_400000_NS6detail17trampoline_kernelINS0_13kernel_configILj256ELj4ELj4294967295EEENS1_37radix_sort_block_sort_config_selectorIlNS0_10empty_typeEEEZNS1_21radix_sort_block_sortIS4_Lb0EPKlPlPS6_SC_NS0_19identity_decomposerEEE10hipError_tT1_T2_T3_T4_jRjT5_jjP12ihipStream_tbEUlT_E_NS1_11comp_targetILNS1_3genE4ELNS1_11target_archE910ELNS1_3gpuE8ELNS1_3repE0EEENS1_44radix_sort_block_sort_config_static_selectorELNS0_4arch9wavefront6targetE0EEEvSF_.num_named_barrier, 0
	.set _ZN7rocprim17ROCPRIM_400000_NS6detail17trampoline_kernelINS0_13kernel_configILj256ELj4ELj4294967295EEENS1_37radix_sort_block_sort_config_selectorIlNS0_10empty_typeEEEZNS1_21radix_sort_block_sortIS4_Lb0EPKlPlPS6_SC_NS0_19identity_decomposerEEE10hipError_tT1_T2_T3_T4_jRjT5_jjP12ihipStream_tbEUlT_E_NS1_11comp_targetILNS1_3genE4ELNS1_11target_archE910ELNS1_3gpuE8ELNS1_3repE0EEENS1_44radix_sort_block_sort_config_static_selectorELNS0_4arch9wavefront6targetE0EEEvSF_.private_seg_size, 0
	.set _ZN7rocprim17ROCPRIM_400000_NS6detail17trampoline_kernelINS0_13kernel_configILj256ELj4ELj4294967295EEENS1_37radix_sort_block_sort_config_selectorIlNS0_10empty_typeEEEZNS1_21radix_sort_block_sortIS4_Lb0EPKlPlPS6_SC_NS0_19identity_decomposerEEE10hipError_tT1_T2_T3_T4_jRjT5_jjP12ihipStream_tbEUlT_E_NS1_11comp_targetILNS1_3genE4ELNS1_11target_archE910ELNS1_3gpuE8ELNS1_3repE0EEENS1_44radix_sort_block_sort_config_static_selectorELNS0_4arch9wavefront6targetE0EEEvSF_.uses_vcc, 0
	.set _ZN7rocprim17ROCPRIM_400000_NS6detail17trampoline_kernelINS0_13kernel_configILj256ELj4ELj4294967295EEENS1_37radix_sort_block_sort_config_selectorIlNS0_10empty_typeEEEZNS1_21radix_sort_block_sortIS4_Lb0EPKlPlPS6_SC_NS0_19identity_decomposerEEE10hipError_tT1_T2_T3_T4_jRjT5_jjP12ihipStream_tbEUlT_E_NS1_11comp_targetILNS1_3genE4ELNS1_11target_archE910ELNS1_3gpuE8ELNS1_3repE0EEENS1_44radix_sort_block_sort_config_static_selectorELNS0_4arch9wavefront6targetE0EEEvSF_.uses_flat_scratch, 0
	.set _ZN7rocprim17ROCPRIM_400000_NS6detail17trampoline_kernelINS0_13kernel_configILj256ELj4ELj4294967295EEENS1_37radix_sort_block_sort_config_selectorIlNS0_10empty_typeEEEZNS1_21radix_sort_block_sortIS4_Lb0EPKlPlPS6_SC_NS0_19identity_decomposerEEE10hipError_tT1_T2_T3_T4_jRjT5_jjP12ihipStream_tbEUlT_E_NS1_11comp_targetILNS1_3genE4ELNS1_11target_archE910ELNS1_3gpuE8ELNS1_3repE0EEENS1_44radix_sort_block_sort_config_static_selectorELNS0_4arch9wavefront6targetE0EEEvSF_.has_dyn_sized_stack, 0
	.set _ZN7rocprim17ROCPRIM_400000_NS6detail17trampoline_kernelINS0_13kernel_configILj256ELj4ELj4294967295EEENS1_37radix_sort_block_sort_config_selectorIlNS0_10empty_typeEEEZNS1_21radix_sort_block_sortIS4_Lb0EPKlPlPS6_SC_NS0_19identity_decomposerEEE10hipError_tT1_T2_T3_T4_jRjT5_jjP12ihipStream_tbEUlT_E_NS1_11comp_targetILNS1_3genE4ELNS1_11target_archE910ELNS1_3gpuE8ELNS1_3repE0EEENS1_44radix_sort_block_sort_config_static_selectorELNS0_4arch9wavefront6targetE0EEEvSF_.has_recursion, 0
	.set _ZN7rocprim17ROCPRIM_400000_NS6detail17trampoline_kernelINS0_13kernel_configILj256ELj4ELj4294967295EEENS1_37radix_sort_block_sort_config_selectorIlNS0_10empty_typeEEEZNS1_21radix_sort_block_sortIS4_Lb0EPKlPlPS6_SC_NS0_19identity_decomposerEEE10hipError_tT1_T2_T3_T4_jRjT5_jjP12ihipStream_tbEUlT_E_NS1_11comp_targetILNS1_3genE4ELNS1_11target_archE910ELNS1_3gpuE8ELNS1_3repE0EEENS1_44radix_sort_block_sort_config_static_selectorELNS0_4arch9wavefront6targetE0EEEvSF_.has_indirect_call, 0
	.section	.AMDGPU.csdata,"",@progbits
; Kernel info:
; codeLenInByte = 0
; TotalNumSgprs: 0
; NumVgprs: 0
; ScratchSize: 0
; MemoryBound: 0
; FloatMode: 240
; IeeeMode: 1
; LDSByteSize: 0 bytes/workgroup (compile time only)
; SGPRBlocks: 0
; VGPRBlocks: 0
; NumSGPRsForWavesPerEU: 1
; NumVGPRsForWavesPerEU: 1
; NamedBarCnt: 0
; Occupancy: 16
; WaveLimiterHint : 0
; COMPUTE_PGM_RSRC2:SCRATCH_EN: 0
; COMPUTE_PGM_RSRC2:USER_SGPR: 2
; COMPUTE_PGM_RSRC2:TRAP_HANDLER: 0
; COMPUTE_PGM_RSRC2:TGID_X_EN: 1
; COMPUTE_PGM_RSRC2:TGID_Y_EN: 0
; COMPUTE_PGM_RSRC2:TGID_Z_EN: 0
; COMPUTE_PGM_RSRC2:TIDIG_COMP_CNT: 0
	.section	.text._ZN7rocprim17ROCPRIM_400000_NS6detail17trampoline_kernelINS0_13kernel_configILj256ELj4ELj4294967295EEENS1_37radix_sort_block_sort_config_selectorIlNS0_10empty_typeEEEZNS1_21radix_sort_block_sortIS4_Lb0EPKlPlPS6_SC_NS0_19identity_decomposerEEE10hipError_tT1_T2_T3_T4_jRjT5_jjP12ihipStream_tbEUlT_E_NS1_11comp_targetILNS1_3genE3ELNS1_11target_archE908ELNS1_3gpuE7ELNS1_3repE0EEENS1_44radix_sort_block_sort_config_static_selectorELNS0_4arch9wavefront6targetE0EEEvSF_,"axG",@progbits,_ZN7rocprim17ROCPRIM_400000_NS6detail17trampoline_kernelINS0_13kernel_configILj256ELj4ELj4294967295EEENS1_37radix_sort_block_sort_config_selectorIlNS0_10empty_typeEEEZNS1_21radix_sort_block_sortIS4_Lb0EPKlPlPS6_SC_NS0_19identity_decomposerEEE10hipError_tT1_T2_T3_T4_jRjT5_jjP12ihipStream_tbEUlT_E_NS1_11comp_targetILNS1_3genE3ELNS1_11target_archE908ELNS1_3gpuE7ELNS1_3repE0EEENS1_44radix_sort_block_sort_config_static_selectorELNS0_4arch9wavefront6targetE0EEEvSF_,comdat
	.protected	_ZN7rocprim17ROCPRIM_400000_NS6detail17trampoline_kernelINS0_13kernel_configILj256ELj4ELj4294967295EEENS1_37radix_sort_block_sort_config_selectorIlNS0_10empty_typeEEEZNS1_21radix_sort_block_sortIS4_Lb0EPKlPlPS6_SC_NS0_19identity_decomposerEEE10hipError_tT1_T2_T3_T4_jRjT5_jjP12ihipStream_tbEUlT_E_NS1_11comp_targetILNS1_3genE3ELNS1_11target_archE908ELNS1_3gpuE7ELNS1_3repE0EEENS1_44radix_sort_block_sort_config_static_selectorELNS0_4arch9wavefront6targetE0EEEvSF_ ; -- Begin function _ZN7rocprim17ROCPRIM_400000_NS6detail17trampoline_kernelINS0_13kernel_configILj256ELj4ELj4294967295EEENS1_37radix_sort_block_sort_config_selectorIlNS0_10empty_typeEEEZNS1_21radix_sort_block_sortIS4_Lb0EPKlPlPS6_SC_NS0_19identity_decomposerEEE10hipError_tT1_T2_T3_T4_jRjT5_jjP12ihipStream_tbEUlT_E_NS1_11comp_targetILNS1_3genE3ELNS1_11target_archE908ELNS1_3gpuE7ELNS1_3repE0EEENS1_44radix_sort_block_sort_config_static_selectorELNS0_4arch9wavefront6targetE0EEEvSF_
	.globl	_ZN7rocprim17ROCPRIM_400000_NS6detail17trampoline_kernelINS0_13kernel_configILj256ELj4ELj4294967295EEENS1_37radix_sort_block_sort_config_selectorIlNS0_10empty_typeEEEZNS1_21radix_sort_block_sortIS4_Lb0EPKlPlPS6_SC_NS0_19identity_decomposerEEE10hipError_tT1_T2_T3_T4_jRjT5_jjP12ihipStream_tbEUlT_E_NS1_11comp_targetILNS1_3genE3ELNS1_11target_archE908ELNS1_3gpuE7ELNS1_3repE0EEENS1_44radix_sort_block_sort_config_static_selectorELNS0_4arch9wavefront6targetE0EEEvSF_
	.p2align	8
	.type	_ZN7rocprim17ROCPRIM_400000_NS6detail17trampoline_kernelINS0_13kernel_configILj256ELj4ELj4294967295EEENS1_37radix_sort_block_sort_config_selectorIlNS0_10empty_typeEEEZNS1_21radix_sort_block_sortIS4_Lb0EPKlPlPS6_SC_NS0_19identity_decomposerEEE10hipError_tT1_T2_T3_T4_jRjT5_jjP12ihipStream_tbEUlT_E_NS1_11comp_targetILNS1_3genE3ELNS1_11target_archE908ELNS1_3gpuE7ELNS1_3repE0EEENS1_44radix_sort_block_sort_config_static_selectorELNS0_4arch9wavefront6targetE0EEEvSF_,@function
_ZN7rocprim17ROCPRIM_400000_NS6detail17trampoline_kernelINS0_13kernel_configILj256ELj4ELj4294967295EEENS1_37radix_sort_block_sort_config_selectorIlNS0_10empty_typeEEEZNS1_21radix_sort_block_sortIS4_Lb0EPKlPlPS6_SC_NS0_19identity_decomposerEEE10hipError_tT1_T2_T3_T4_jRjT5_jjP12ihipStream_tbEUlT_E_NS1_11comp_targetILNS1_3genE3ELNS1_11target_archE908ELNS1_3gpuE7ELNS1_3repE0EEENS1_44radix_sort_block_sort_config_static_selectorELNS0_4arch9wavefront6targetE0EEEvSF_: ; @_ZN7rocprim17ROCPRIM_400000_NS6detail17trampoline_kernelINS0_13kernel_configILj256ELj4ELj4294967295EEENS1_37radix_sort_block_sort_config_selectorIlNS0_10empty_typeEEEZNS1_21radix_sort_block_sortIS4_Lb0EPKlPlPS6_SC_NS0_19identity_decomposerEEE10hipError_tT1_T2_T3_T4_jRjT5_jjP12ihipStream_tbEUlT_E_NS1_11comp_targetILNS1_3genE3ELNS1_11target_archE908ELNS1_3gpuE7ELNS1_3repE0EEENS1_44radix_sort_block_sort_config_static_selectorELNS0_4arch9wavefront6targetE0EEEvSF_
; %bb.0:
	.section	.rodata,"a",@progbits
	.p2align	6, 0x0
	.amdhsa_kernel _ZN7rocprim17ROCPRIM_400000_NS6detail17trampoline_kernelINS0_13kernel_configILj256ELj4ELj4294967295EEENS1_37radix_sort_block_sort_config_selectorIlNS0_10empty_typeEEEZNS1_21radix_sort_block_sortIS4_Lb0EPKlPlPS6_SC_NS0_19identity_decomposerEEE10hipError_tT1_T2_T3_T4_jRjT5_jjP12ihipStream_tbEUlT_E_NS1_11comp_targetILNS1_3genE3ELNS1_11target_archE908ELNS1_3gpuE7ELNS1_3repE0EEENS1_44radix_sort_block_sort_config_static_selectorELNS0_4arch9wavefront6targetE0EEEvSF_
		.amdhsa_group_segment_fixed_size 0
		.amdhsa_private_segment_fixed_size 0
		.amdhsa_kernarg_size 48
		.amdhsa_user_sgpr_count 2
		.amdhsa_user_sgpr_dispatch_ptr 0
		.amdhsa_user_sgpr_queue_ptr 0
		.amdhsa_user_sgpr_kernarg_segment_ptr 1
		.amdhsa_user_sgpr_dispatch_id 0
		.amdhsa_user_sgpr_kernarg_preload_length 0
		.amdhsa_user_sgpr_kernarg_preload_offset 0
		.amdhsa_user_sgpr_private_segment_size 0
		.amdhsa_wavefront_size32 1
		.amdhsa_uses_dynamic_stack 0
		.amdhsa_enable_private_segment 0
		.amdhsa_system_sgpr_workgroup_id_x 1
		.amdhsa_system_sgpr_workgroup_id_y 0
		.amdhsa_system_sgpr_workgroup_id_z 0
		.amdhsa_system_sgpr_workgroup_info 0
		.amdhsa_system_vgpr_workitem_id 0
		.amdhsa_next_free_vgpr 1
		.amdhsa_next_free_sgpr 1
		.amdhsa_named_barrier_count 0
		.amdhsa_reserve_vcc 0
		.amdhsa_float_round_mode_32 0
		.amdhsa_float_round_mode_16_64 0
		.amdhsa_float_denorm_mode_32 3
		.amdhsa_float_denorm_mode_16_64 3
		.amdhsa_fp16_overflow 0
		.amdhsa_memory_ordered 1
		.amdhsa_forward_progress 1
		.amdhsa_inst_pref_size 0
		.amdhsa_round_robin_scheduling 0
		.amdhsa_exception_fp_ieee_invalid_op 0
		.amdhsa_exception_fp_denorm_src 0
		.amdhsa_exception_fp_ieee_div_zero 0
		.amdhsa_exception_fp_ieee_overflow 0
		.amdhsa_exception_fp_ieee_underflow 0
		.amdhsa_exception_fp_ieee_inexact 0
		.amdhsa_exception_int_div_zero 0
	.end_amdhsa_kernel
	.section	.text._ZN7rocprim17ROCPRIM_400000_NS6detail17trampoline_kernelINS0_13kernel_configILj256ELj4ELj4294967295EEENS1_37radix_sort_block_sort_config_selectorIlNS0_10empty_typeEEEZNS1_21radix_sort_block_sortIS4_Lb0EPKlPlPS6_SC_NS0_19identity_decomposerEEE10hipError_tT1_T2_T3_T4_jRjT5_jjP12ihipStream_tbEUlT_E_NS1_11comp_targetILNS1_3genE3ELNS1_11target_archE908ELNS1_3gpuE7ELNS1_3repE0EEENS1_44radix_sort_block_sort_config_static_selectorELNS0_4arch9wavefront6targetE0EEEvSF_,"axG",@progbits,_ZN7rocprim17ROCPRIM_400000_NS6detail17trampoline_kernelINS0_13kernel_configILj256ELj4ELj4294967295EEENS1_37radix_sort_block_sort_config_selectorIlNS0_10empty_typeEEEZNS1_21radix_sort_block_sortIS4_Lb0EPKlPlPS6_SC_NS0_19identity_decomposerEEE10hipError_tT1_T2_T3_T4_jRjT5_jjP12ihipStream_tbEUlT_E_NS1_11comp_targetILNS1_3genE3ELNS1_11target_archE908ELNS1_3gpuE7ELNS1_3repE0EEENS1_44radix_sort_block_sort_config_static_selectorELNS0_4arch9wavefront6targetE0EEEvSF_,comdat
.Lfunc_end1135:
	.size	_ZN7rocprim17ROCPRIM_400000_NS6detail17trampoline_kernelINS0_13kernel_configILj256ELj4ELj4294967295EEENS1_37radix_sort_block_sort_config_selectorIlNS0_10empty_typeEEEZNS1_21radix_sort_block_sortIS4_Lb0EPKlPlPS6_SC_NS0_19identity_decomposerEEE10hipError_tT1_T2_T3_T4_jRjT5_jjP12ihipStream_tbEUlT_E_NS1_11comp_targetILNS1_3genE3ELNS1_11target_archE908ELNS1_3gpuE7ELNS1_3repE0EEENS1_44radix_sort_block_sort_config_static_selectorELNS0_4arch9wavefront6targetE0EEEvSF_, .Lfunc_end1135-_ZN7rocprim17ROCPRIM_400000_NS6detail17trampoline_kernelINS0_13kernel_configILj256ELj4ELj4294967295EEENS1_37radix_sort_block_sort_config_selectorIlNS0_10empty_typeEEEZNS1_21radix_sort_block_sortIS4_Lb0EPKlPlPS6_SC_NS0_19identity_decomposerEEE10hipError_tT1_T2_T3_T4_jRjT5_jjP12ihipStream_tbEUlT_E_NS1_11comp_targetILNS1_3genE3ELNS1_11target_archE908ELNS1_3gpuE7ELNS1_3repE0EEENS1_44radix_sort_block_sort_config_static_selectorELNS0_4arch9wavefront6targetE0EEEvSF_
                                        ; -- End function
	.set _ZN7rocprim17ROCPRIM_400000_NS6detail17trampoline_kernelINS0_13kernel_configILj256ELj4ELj4294967295EEENS1_37radix_sort_block_sort_config_selectorIlNS0_10empty_typeEEEZNS1_21radix_sort_block_sortIS4_Lb0EPKlPlPS6_SC_NS0_19identity_decomposerEEE10hipError_tT1_T2_T3_T4_jRjT5_jjP12ihipStream_tbEUlT_E_NS1_11comp_targetILNS1_3genE3ELNS1_11target_archE908ELNS1_3gpuE7ELNS1_3repE0EEENS1_44radix_sort_block_sort_config_static_selectorELNS0_4arch9wavefront6targetE0EEEvSF_.num_vgpr, 0
	.set _ZN7rocprim17ROCPRIM_400000_NS6detail17trampoline_kernelINS0_13kernel_configILj256ELj4ELj4294967295EEENS1_37radix_sort_block_sort_config_selectorIlNS0_10empty_typeEEEZNS1_21radix_sort_block_sortIS4_Lb0EPKlPlPS6_SC_NS0_19identity_decomposerEEE10hipError_tT1_T2_T3_T4_jRjT5_jjP12ihipStream_tbEUlT_E_NS1_11comp_targetILNS1_3genE3ELNS1_11target_archE908ELNS1_3gpuE7ELNS1_3repE0EEENS1_44radix_sort_block_sort_config_static_selectorELNS0_4arch9wavefront6targetE0EEEvSF_.num_agpr, 0
	.set _ZN7rocprim17ROCPRIM_400000_NS6detail17trampoline_kernelINS0_13kernel_configILj256ELj4ELj4294967295EEENS1_37radix_sort_block_sort_config_selectorIlNS0_10empty_typeEEEZNS1_21radix_sort_block_sortIS4_Lb0EPKlPlPS6_SC_NS0_19identity_decomposerEEE10hipError_tT1_T2_T3_T4_jRjT5_jjP12ihipStream_tbEUlT_E_NS1_11comp_targetILNS1_3genE3ELNS1_11target_archE908ELNS1_3gpuE7ELNS1_3repE0EEENS1_44radix_sort_block_sort_config_static_selectorELNS0_4arch9wavefront6targetE0EEEvSF_.numbered_sgpr, 0
	.set _ZN7rocprim17ROCPRIM_400000_NS6detail17trampoline_kernelINS0_13kernel_configILj256ELj4ELj4294967295EEENS1_37radix_sort_block_sort_config_selectorIlNS0_10empty_typeEEEZNS1_21radix_sort_block_sortIS4_Lb0EPKlPlPS6_SC_NS0_19identity_decomposerEEE10hipError_tT1_T2_T3_T4_jRjT5_jjP12ihipStream_tbEUlT_E_NS1_11comp_targetILNS1_3genE3ELNS1_11target_archE908ELNS1_3gpuE7ELNS1_3repE0EEENS1_44radix_sort_block_sort_config_static_selectorELNS0_4arch9wavefront6targetE0EEEvSF_.num_named_barrier, 0
	.set _ZN7rocprim17ROCPRIM_400000_NS6detail17trampoline_kernelINS0_13kernel_configILj256ELj4ELj4294967295EEENS1_37radix_sort_block_sort_config_selectorIlNS0_10empty_typeEEEZNS1_21radix_sort_block_sortIS4_Lb0EPKlPlPS6_SC_NS0_19identity_decomposerEEE10hipError_tT1_T2_T3_T4_jRjT5_jjP12ihipStream_tbEUlT_E_NS1_11comp_targetILNS1_3genE3ELNS1_11target_archE908ELNS1_3gpuE7ELNS1_3repE0EEENS1_44radix_sort_block_sort_config_static_selectorELNS0_4arch9wavefront6targetE0EEEvSF_.private_seg_size, 0
	.set _ZN7rocprim17ROCPRIM_400000_NS6detail17trampoline_kernelINS0_13kernel_configILj256ELj4ELj4294967295EEENS1_37radix_sort_block_sort_config_selectorIlNS0_10empty_typeEEEZNS1_21radix_sort_block_sortIS4_Lb0EPKlPlPS6_SC_NS0_19identity_decomposerEEE10hipError_tT1_T2_T3_T4_jRjT5_jjP12ihipStream_tbEUlT_E_NS1_11comp_targetILNS1_3genE3ELNS1_11target_archE908ELNS1_3gpuE7ELNS1_3repE0EEENS1_44radix_sort_block_sort_config_static_selectorELNS0_4arch9wavefront6targetE0EEEvSF_.uses_vcc, 0
	.set _ZN7rocprim17ROCPRIM_400000_NS6detail17trampoline_kernelINS0_13kernel_configILj256ELj4ELj4294967295EEENS1_37radix_sort_block_sort_config_selectorIlNS0_10empty_typeEEEZNS1_21radix_sort_block_sortIS4_Lb0EPKlPlPS6_SC_NS0_19identity_decomposerEEE10hipError_tT1_T2_T3_T4_jRjT5_jjP12ihipStream_tbEUlT_E_NS1_11comp_targetILNS1_3genE3ELNS1_11target_archE908ELNS1_3gpuE7ELNS1_3repE0EEENS1_44radix_sort_block_sort_config_static_selectorELNS0_4arch9wavefront6targetE0EEEvSF_.uses_flat_scratch, 0
	.set _ZN7rocprim17ROCPRIM_400000_NS6detail17trampoline_kernelINS0_13kernel_configILj256ELj4ELj4294967295EEENS1_37radix_sort_block_sort_config_selectorIlNS0_10empty_typeEEEZNS1_21radix_sort_block_sortIS4_Lb0EPKlPlPS6_SC_NS0_19identity_decomposerEEE10hipError_tT1_T2_T3_T4_jRjT5_jjP12ihipStream_tbEUlT_E_NS1_11comp_targetILNS1_3genE3ELNS1_11target_archE908ELNS1_3gpuE7ELNS1_3repE0EEENS1_44radix_sort_block_sort_config_static_selectorELNS0_4arch9wavefront6targetE0EEEvSF_.has_dyn_sized_stack, 0
	.set _ZN7rocprim17ROCPRIM_400000_NS6detail17trampoline_kernelINS0_13kernel_configILj256ELj4ELj4294967295EEENS1_37radix_sort_block_sort_config_selectorIlNS0_10empty_typeEEEZNS1_21radix_sort_block_sortIS4_Lb0EPKlPlPS6_SC_NS0_19identity_decomposerEEE10hipError_tT1_T2_T3_T4_jRjT5_jjP12ihipStream_tbEUlT_E_NS1_11comp_targetILNS1_3genE3ELNS1_11target_archE908ELNS1_3gpuE7ELNS1_3repE0EEENS1_44radix_sort_block_sort_config_static_selectorELNS0_4arch9wavefront6targetE0EEEvSF_.has_recursion, 0
	.set _ZN7rocprim17ROCPRIM_400000_NS6detail17trampoline_kernelINS0_13kernel_configILj256ELj4ELj4294967295EEENS1_37radix_sort_block_sort_config_selectorIlNS0_10empty_typeEEEZNS1_21radix_sort_block_sortIS4_Lb0EPKlPlPS6_SC_NS0_19identity_decomposerEEE10hipError_tT1_T2_T3_T4_jRjT5_jjP12ihipStream_tbEUlT_E_NS1_11comp_targetILNS1_3genE3ELNS1_11target_archE908ELNS1_3gpuE7ELNS1_3repE0EEENS1_44radix_sort_block_sort_config_static_selectorELNS0_4arch9wavefront6targetE0EEEvSF_.has_indirect_call, 0
	.section	.AMDGPU.csdata,"",@progbits
; Kernel info:
; codeLenInByte = 0
; TotalNumSgprs: 0
; NumVgprs: 0
; ScratchSize: 0
; MemoryBound: 0
; FloatMode: 240
; IeeeMode: 1
; LDSByteSize: 0 bytes/workgroup (compile time only)
; SGPRBlocks: 0
; VGPRBlocks: 0
; NumSGPRsForWavesPerEU: 1
; NumVGPRsForWavesPerEU: 1
; NamedBarCnt: 0
; Occupancy: 16
; WaveLimiterHint : 0
; COMPUTE_PGM_RSRC2:SCRATCH_EN: 0
; COMPUTE_PGM_RSRC2:USER_SGPR: 2
; COMPUTE_PGM_RSRC2:TRAP_HANDLER: 0
; COMPUTE_PGM_RSRC2:TGID_X_EN: 1
; COMPUTE_PGM_RSRC2:TGID_Y_EN: 0
; COMPUTE_PGM_RSRC2:TGID_Z_EN: 0
; COMPUTE_PGM_RSRC2:TIDIG_COMP_CNT: 0
	.section	.text._ZN7rocprim17ROCPRIM_400000_NS6detail17trampoline_kernelINS0_13kernel_configILj256ELj4ELj4294967295EEENS1_37radix_sort_block_sort_config_selectorIlNS0_10empty_typeEEEZNS1_21radix_sort_block_sortIS4_Lb0EPKlPlPS6_SC_NS0_19identity_decomposerEEE10hipError_tT1_T2_T3_T4_jRjT5_jjP12ihipStream_tbEUlT_E_NS1_11comp_targetILNS1_3genE2ELNS1_11target_archE906ELNS1_3gpuE6ELNS1_3repE0EEENS1_44radix_sort_block_sort_config_static_selectorELNS0_4arch9wavefront6targetE0EEEvSF_,"axG",@progbits,_ZN7rocprim17ROCPRIM_400000_NS6detail17trampoline_kernelINS0_13kernel_configILj256ELj4ELj4294967295EEENS1_37radix_sort_block_sort_config_selectorIlNS0_10empty_typeEEEZNS1_21radix_sort_block_sortIS4_Lb0EPKlPlPS6_SC_NS0_19identity_decomposerEEE10hipError_tT1_T2_T3_T4_jRjT5_jjP12ihipStream_tbEUlT_E_NS1_11comp_targetILNS1_3genE2ELNS1_11target_archE906ELNS1_3gpuE6ELNS1_3repE0EEENS1_44radix_sort_block_sort_config_static_selectorELNS0_4arch9wavefront6targetE0EEEvSF_,comdat
	.protected	_ZN7rocprim17ROCPRIM_400000_NS6detail17trampoline_kernelINS0_13kernel_configILj256ELj4ELj4294967295EEENS1_37radix_sort_block_sort_config_selectorIlNS0_10empty_typeEEEZNS1_21radix_sort_block_sortIS4_Lb0EPKlPlPS6_SC_NS0_19identity_decomposerEEE10hipError_tT1_T2_T3_T4_jRjT5_jjP12ihipStream_tbEUlT_E_NS1_11comp_targetILNS1_3genE2ELNS1_11target_archE906ELNS1_3gpuE6ELNS1_3repE0EEENS1_44radix_sort_block_sort_config_static_selectorELNS0_4arch9wavefront6targetE0EEEvSF_ ; -- Begin function _ZN7rocprim17ROCPRIM_400000_NS6detail17trampoline_kernelINS0_13kernel_configILj256ELj4ELj4294967295EEENS1_37radix_sort_block_sort_config_selectorIlNS0_10empty_typeEEEZNS1_21radix_sort_block_sortIS4_Lb0EPKlPlPS6_SC_NS0_19identity_decomposerEEE10hipError_tT1_T2_T3_T4_jRjT5_jjP12ihipStream_tbEUlT_E_NS1_11comp_targetILNS1_3genE2ELNS1_11target_archE906ELNS1_3gpuE6ELNS1_3repE0EEENS1_44radix_sort_block_sort_config_static_selectorELNS0_4arch9wavefront6targetE0EEEvSF_
	.globl	_ZN7rocprim17ROCPRIM_400000_NS6detail17trampoline_kernelINS0_13kernel_configILj256ELj4ELj4294967295EEENS1_37radix_sort_block_sort_config_selectorIlNS0_10empty_typeEEEZNS1_21radix_sort_block_sortIS4_Lb0EPKlPlPS6_SC_NS0_19identity_decomposerEEE10hipError_tT1_T2_T3_T4_jRjT5_jjP12ihipStream_tbEUlT_E_NS1_11comp_targetILNS1_3genE2ELNS1_11target_archE906ELNS1_3gpuE6ELNS1_3repE0EEENS1_44radix_sort_block_sort_config_static_selectorELNS0_4arch9wavefront6targetE0EEEvSF_
	.p2align	8
	.type	_ZN7rocprim17ROCPRIM_400000_NS6detail17trampoline_kernelINS0_13kernel_configILj256ELj4ELj4294967295EEENS1_37radix_sort_block_sort_config_selectorIlNS0_10empty_typeEEEZNS1_21radix_sort_block_sortIS4_Lb0EPKlPlPS6_SC_NS0_19identity_decomposerEEE10hipError_tT1_T2_T3_T4_jRjT5_jjP12ihipStream_tbEUlT_E_NS1_11comp_targetILNS1_3genE2ELNS1_11target_archE906ELNS1_3gpuE6ELNS1_3repE0EEENS1_44radix_sort_block_sort_config_static_selectorELNS0_4arch9wavefront6targetE0EEEvSF_,@function
_ZN7rocprim17ROCPRIM_400000_NS6detail17trampoline_kernelINS0_13kernel_configILj256ELj4ELj4294967295EEENS1_37radix_sort_block_sort_config_selectorIlNS0_10empty_typeEEEZNS1_21radix_sort_block_sortIS4_Lb0EPKlPlPS6_SC_NS0_19identity_decomposerEEE10hipError_tT1_T2_T3_T4_jRjT5_jjP12ihipStream_tbEUlT_E_NS1_11comp_targetILNS1_3genE2ELNS1_11target_archE906ELNS1_3gpuE6ELNS1_3repE0EEENS1_44radix_sort_block_sort_config_static_selectorELNS0_4arch9wavefront6targetE0EEEvSF_: ; @_ZN7rocprim17ROCPRIM_400000_NS6detail17trampoline_kernelINS0_13kernel_configILj256ELj4ELj4294967295EEENS1_37radix_sort_block_sort_config_selectorIlNS0_10empty_typeEEEZNS1_21radix_sort_block_sortIS4_Lb0EPKlPlPS6_SC_NS0_19identity_decomposerEEE10hipError_tT1_T2_T3_T4_jRjT5_jjP12ihipStream_tbEUlT_E_NS1_11comp_targetILNS1_3genE2ELNS1_11target_archE906ELNS1_3gpuE6ELNS1_3repE0EEENS1_44radix_sort_block_sort_config_static_selectorELNS0_4arch9wavefront6targetE0EEEvSF_
; %bb.0:
	.section	.rodata,"a",@progbits
	.p2align	6, 0x0
	.amdhsa_kernel _ZN7rocprim17ROCPRIM_400000_NS6detail17trampoline_kernelINS0_13kernel_configILj256ELj4ELj4294967295EEENS1_37radix_sort_block_sort_config_selectorIlNS0_10empty_typeEEEZNS1_21radix_sort_block_sortIS4_Lb0EPKlPlPS6_SC_NS0_19identity_decomposerEEE10hipError_tT1_T2_T3_T4_jRjT5_jjP12ihipStream_tbEUlT_E_NS1_11comp_targetILNS1_3genE2ELNS1_11target_archE906ELNS1_3gpuE6ELNS1_3repE0EEENS1_44radix_sort_block_sort_config_static_selectorELNS0_4arch9wavefront6targetE0EEEvSF_
		.amdhsa_group_segment_fixed_size 0
		.amdhsa_private_segment_fixed_size 0
		.amdhsa_kernarg_size 48
		.amdhsa_user_sgpr_count 2
		.amdhsa_user_sgpr_dispatch_ptr 0
		.amdhsa_user_sgpr_queue_ptr 0
		.amdhsa_user_sgpr_kernarg_segment_ptr 1
		.amdhsa_user_sgpr_dispatch_id 0
		.amdhsa_user_sgpr_kernarg_preload_length 0
		.amdhsa_user_sgpr_kernarg_preload_offset 0
		.amdhsa_user_sgpr_private_segment_size 0
		.amdhsa_wavefront_size32 1
		.amdhsa_uses_dynamic_stack 0
		.amdhsa_enable_private_segment 0
		.amdhsa_system_sgpr_workgroup_id_x 1
		.amdhsa_system_sgpr_workgroup_id_y 0
		.amdhsa_system_sgpr_workgroup_id_z 0
		.amdhsa_system_sgpr_workgroup_info 0
		.amdhsa_system_vgpr_workitem_id 0
		.amdhsa_next_free_vgpr 1
		.amdhsa_next_free_sgpr 1
		.amdhsa_named_barrier_count 0
		.amdhsa_reserve_vcc 0
		.amdhsa_float_round_mode_32 0
		.amdhsa_float_round_mode_16_64 0
		.amdhsa_float_denorm_mode_32 3
		.amdhsa_float_denorm_mode_16_64 3
		.amdhsa_fp16_overflow 0
		.amdhsa_memory_ordered 1
		.amdhsa_forward_progress 1
		.amdhsa_inst_pref_size 0
		.amdhsa_round_robin_scheduling 0
		.amdhsa_exception_fp_ieee_invalid_op 0
		.amdhsa_exception_fp_denorm_src 0
		.amdhsa_exception_fp_ieee_div_zero 0
		.amdhsa_exception_fp_ieee_overflow 0
		.amdhsa_exception_fp_ieee_underflow 0
		.amdhsa_exception_fp_ieee_inexact 0
		.amdhsa_exception_int_div_zero 0
	.end_amdhsa_kernel
	.section	.text._ZN7rocprim17ROCPRIM_400000_NS6detail17trampoline_kernelINS0_13kernel_configILj256ELj4ELj4294967295EEENS1_37radix_sort_block_sort_config_selectorIlNS0_10empty_typeEEEZNS1_21radix_sort_block_sortIS4_Lb0EPKlPlPS6_SC_NS0_19identity_decomposerEEE10hipError_tT1_T2_T3_T4_jRjT5_jjP12ihipStream_tbEUlT_E_NS1_11comp_targetILNS1_3genE2ELNS1_11target_archE906ELNS1_3gpuE6ELNS1_3repE0EEENS1_44radix_sort_block_sort_config_static_selectorELNS0_4arch9wavefront6targetE0EEEvSF_,"axG",@progbits,_ZN7rocprim17ROCPRIM_400000_NS6detail17trampoline_kernelINS0_13kernel_configILj256ELj4ELj4294967295EEENS1_37radix_sort_block_sort_config_selectorIlNS0_10empty_typeEEEZNS1_21radix_sort_block_sortIS4_Lb0EPKlPlPS6_SC_NS0_19identity_decomposerEEE10hipError_tT1_T2_T3_T4_jRjT5_jjP12ihipStream_tbEUlT_E_NS1_11comp_targetILNS1_3genE2ELNS1_11target_archE906ELNS1_3gpuE6ELNS1_3repE0EEENS1_44radix_sort_block_sort_config_static_selectorELNS0_4arch9wavefront6targetE0EEEvSF_,comdat
.Lfunc_end1136:
	.size	_ZN7rocprim17ROCPRIM_400000_NS6detail17trampoline_kernelINS0_13kernel_configILj256ELj4ELj4294967295EEENS1_37radix_sort_block_sort_config_selectorIlNS0_10empty_typeEEEZNS1_21radix_sort_block_sortIS4_Lb0EPKlPlPS6_SC_NS0_19identity_decomposerEEE10hipError_tT1_T2_T3_T4_jRjT5_jjP12ihipStream_tbEUlT_E_NS1_11comp_targetILNS1_3genE2ELNS1_11target_archE906ELNS1_3gpuE6ELNS1_3repE0EEENS1_44radix_sort_block_sort_config_static_selectorELNS0_4arch9wavefront6targetE0EEEvSF_, .Lfunc_end1136-_ZN7rocprim17ROCPRIM_400000_NS6detail17trampoline_kernelINS0_13kernel_configILj256ELj4ELj4294967295EEENS1_37radix_sort_block_sort_config_selectorIlNS0_10empty_typeEEEZNS1_21radix_sort_block_sortIS4_Lb0EPKlPlPS6_SC_NS0_19identity_decomposerEEE10hipError_tT1_T2_T3_T4_jRjT5_jjP12ihipStream_tbEUlT_E_NS1_11comp_targetILNS1_3genE2ELNS1_11target_archE906ELNS1_3gpuE6ELNS1_3repE0EEENS1_44radix_sort_block_sort_config_static_selectorELNS0_4arch9wavefront6targetE0EEEvSF_
                                        ; -- End function
	.set _ZN7rocprim17ROCPRIM_400000_NS6detail17trampoline_kernelINS0_13kernel_configILj256ELj4ELj4294967295EEENS1_37radix_sort_block_sort_config_selectorIlNS0_10empty_typeEEEZNS1_21radix_sort_block_sortIS4_Lb0EPKlPlPS6_SC_NS0_19identity_decomposerEEE10hipError_tT1_T2_T3_T4_jRjT5_jjP12ihipStream_tbEUlT_E_NS1_11comp_targetILNS1_3genE2ELNS1_11target_archE906ELNS1_3gpuE6ELNS1_3repE0EEENS1_44radix_sort_block_sort_config_static_selectorELNS0_4arch9wavefront6targetE0EEEvSF_.num_vgpr, 0
	.set _ZN7rocprim17ROCPRIM_400000_NS6detail17trampoline_kernelINS0_13kernel_configILj256ELj4ELj4294967295EEENS1_37radix_sort_block_sort_config_selectorIlNS0_10empty_typeEEEZNS1_21radix_sort_block_sortIS4_Lb0EPKlPlPS6_SC_NS0_19identity_decomposerEEE10hipError_tT1_T2_T3_T4_jRjT5_jjP12ihipStream_tbEUlT_E_NS1_11comp_targetILNS1_3genE2ELNS1_11target_archE906ELNS1_3gpuE6ELNS1_3repE0EEENS1_44radix_sort_block_sort_config_static_selectorELNS0_4arch9wavefront6targetE0EEEvSF_.num_agpr, 0
	.set _ZN7rocprim17ROCPRIM_400000_NS6detail17trampoline_kernelINS0_13kernel_configILj256ELj4ELj4294967295EEENS1_37radix_sort_block_sort_config_selectorIlNS0_10empty_typeEEEZNS1_21radix_sort_block_sortIS4_Lb0EPKlPlPS6_SC_NS0_19identity_decomposerEEE10hipError_tT1_T2_T3_T4_jRjT5_jjP12ihipStream_tbEUlT_E_NS1_11comp_targetILNS1_3genE2ELNS1_11target_archE906ELNS1_3gpuE6ELNS1_3repE0EEENS1_44radix_sort_block_sort_config_static_selectorELNS0_4arch9wavefront6targetE0EEEvSF_.numbered_sgpr, 0
	.set _ZN7rocprim17ROCPRIM_400000_NS6detail17trampoline_kernelINS0_13kernel_configILj256ELj4ELj4294967295EEENS1_37radix_sort_block_sort_config_selectorIlNS0_10empty_typeEEEZNS1_21radix_sort_block_sortIS4_Lb0EPKlPlPS6_SC_NS0_19identity_decomposerEEE10hipError_tT1_T2_T3_T4_jRjT5_jjP12ihipStream_tbEUlT_E_NS1_11comp_targetILNS1_3genE2ELNS1_11target_archE906ELNS1_3gpuE6ELNS1_3repE0EEENS1_44radix_sort_block_sort_config_static_selectorELNS0_4arch9wavefront6targetE0EEEvSF_.num_named_barrier, 0
	.set _ZN7rocprim17ROCPRIM_400000_NS6detail17trampoline_kernelINS0_13kernel_configILj256ELj4ELj4294967295EEENS1_37radix_sort_block_sort_config_selectorIlNS0_10empty_typeEEEZNS1_21radix_sort_block_sortIS4_Lb0EPKlPlPS6_SC_NS0_19identity_decomposerEEE10hipError_tT1_T2_T3_T4_jRjT5_jjP12ihipStream_tbEUlT_E_NS1_11comp_targetILNS1_3genE2ELNS1_11target_archE906ELNS1_3gpuE6ELNS1_3repE0EEENS1_44radix_sort_block_sort_config_static_selectorELNS0_4arch9wavefront6targetE0EEEvSF_.private_seg_size, 0
	.set _ZN7rocprim17ROCPRIM_400000_NS6detail17trampoline_kernelINS0_13kernel_configILj256ELj4ELj4294967295EEENS1_37radix_sort_block_sort_config_selectorIlNS0_10empty_typeEEEZNS1_21radix_sort_block_sortIS4_Lb0EPKlPlPS6_SC_NS0_19identity_decomposerEEE10hipError_tT1_T2_T3_T4_jRjT5_jjP12ihipStream_tbEUlT_E_NS1_11comp_targetILNS1_3genE2ELNS1_11target_archE906ELNS1_3gpuE6ELNS1_3repE0EEENS1_44radix_sort_block_sort_config_static_selectorELNS0_4arch9wavefront6targetE0EEEvSF_.uses_vcc, 0
	.set _ZN7rocprim17ROCPRIM_400000_NS6detail17trampoline_kernelINS0_13kernel_configILj256ELj4ELj4294967295EEENS1_37radix_sort_block_sort_config_selectorIlNS0_10empty_typeEEEZNS1_21radix_sort_block_sortIS4_Lb0EPKlPlPS6_SC_NS0_19identity_decomposerEEE10hipError_tT1_T2_T3_T4_jRjT5_jjP12ihipStream_tbEUlT_E_NS1_11comp_targetILNS1_3genE2ELNS1_11target_archE906ELNS1_3gpuE6ELNS1_3repE0EEENS1_44radix_sort_block_sort_config_static_selectorELNS0_4arch9wavefront6targetE0EEEvSF_.uses_flat_scratch, 0
	.set _ZN7rocprim17ROCPRIM_400000_NS6detail17trampoline_kernelINS0_13kernel_configILj256ELj4ELj4294967295EEENS1_37radix_sort_block_sort_config_selectorIlNS0_10empty_typeEEEZNS1_21radix_sort_block_sortIS4_Lb0EPKlPlPS6_SC_NS0_19identity_decomposerEEE10hipError_tT1_T2_T3_T4_jRjT5_jjP12ihipStream_tbEUlT_E_NS1_11comp_targetILNS1_3genE2ELNS1_11target_archE906ELNS1_3gpuE6ELNS1_3repE0EEENS1_44radix_sort_block_sort_config_static_selectorELNS0_4arch9wavefront6targetE0EEEvSF_.has_dyn_sized_stack, 0
	.set _ZN7rocprim17ROCPRIM_400000_NS6detail17trampoline_kernelINS0_13kernel_configILj256ELj4ELj4294967295EEENS1_37radix_sort_block_sort_config_selectorIlNS0_10empty_typeEEEZNS1_21radix_sort_block_sortIS4_Lb0EPKlPlPS6_SC_NS0_19identity_decomposerEEE10hipError_tT1_T2_T3_T4_jRjT5_jjP12ihipStream_tbEUlT_E_NS1_11comp_targetILNS1_3genE2ELNS1_11target_archE906ELNS1_3gpuE6ELNS1_3repE0EEENS1_44radix_sort_block_sort_config_static_selectorELNS0_4arch9wavefront6targetE0EEEvSF_.has_recursion, 0
	.set _ZN7rocprim17ROCPRIM_400000_NS6detail17trampoline_kernelINS0_13kernel_configILj256ELj4ELj4294967295EEENS1_37radix_sort_block_sort_config_selectorIlNS0_10empty_typeEEEZNS1_21radix_sort_block_sortIS4_Lb0EPKlPlPS6_SC_NS0_19identity_decomposerEEE10hipError_tT1_T2_T3_T4_jRjT5_jjP12ihipStream_tbEUlT_E_NS1_11comp_targetILNS1_3genE2ELNS1_11target_archE906ELNS1_3gpuE6ELNS1_3repE0EEENS1_44radix_sort_block_sort_config_static_selectorELNS0_4arch9wavefront6targetE0EEEvSF_.has_indirect_call, 0
	.section	.AMDGPU.csdata,"",@progbits
; Kernel info:
; codeLenInByte = 0
; TotalNumSgprs: 0
; NumVgprs: 0
; ScratchSize: 0
; MemoryBound: 0
; FloatMode: 240
; IeeeMode: 1
; LDSByteSize: 0 bytes/workgroup (compile time only)
; SGPRBlocks: 0
; VGPRBlocks: 0
; NumSGPRsForWavesPerEU: 1
; NumVGPRsForWavesPerEU: 1
; NamedBarCnt: 0
; Occupancy: 16
; WaveLimiterHint : 0
; COMPUTE_PGM_RSRC2:SCRATCH_EN: 0
; COMPUTE_PGM_RSRC2:USER_SGPR: 2
; COMPUTE_PGM_RSRC2:TRAP_HANDLER: 0
; COMPUTE_PGM_RSRC2:TGID_X_EN: 1
; COMPUTE_PGM_RSRC2:TGID_Y_EN: 0
; COMPUTE_PGM_RSRC2:TGID_Z_EN: 0
; COMPUTE_PGM_RSRC2:TIDIG_COMP_CNT: 0
	.section	.text._ZN7rocprim17ROCPRIM_400000_NS6detail17trampoline_kernelINS0_13kernel_configILj256ELj4ELj4294967295EEENS1_37radix_sort_block_sort_config_selectorIlNS0_10empty_typeEEEZNS1_21radix_sort_block_sortIS4_Lb0EPKlPlPS6_SC_NS0_19identity_decomposerEEE10hipError_tT1_T2_T3_T4_jRjT5_jjP12ihipStream_tbEUlT_E_NS1_11comp_targetILNS1_3genE10ELNS1_11target_archE1201ELNS1_3gpuE5ELNS1_3repE0EEENS1_44radix_sort_block_sort_config_static_selectorELNS0_4arch9wavefront6targetE0EEEvSF_,"axG",@progbits,_ZN7rocprim17ROCPRIM_400000_NS6detail17trampoline_kernelINS0_13kernel_configILj256ELj4ELj4294967295EEENS1_37radix_sort_block_sort_config_selectorIlNS0_10empty_typeEEEZNS1_21radix_sort_block_sortIS4_Lb0EPKlPlPS6_SC_NS0_19identity_decomposerEEE10hipError_tT1_T2_T3_T4_jRjT5_jjP12ihipStream_tbEUlT_E_NS1_11comp_targetILNS1_3genE10ELNS1_11target_archE1201ELNS1_3gpuE5ELNS1_3repE0EEENS1_44radix_sort_block_sort_config_static_selectorELNS0_4arch9wavefront6targetE0EEEvSF_,comdat
	.protected	_ZN7rocprim17ROCPRIM_400000_NS6detail17trampoline_kernelINS0_13kernel_configILj256ELj4ELj4294967295EEENS1_37radix_sort_block_sort_config_selectorIlNS0_10empty_typeEEEZNS1_21radix_sort_block_sortIS4_Lb0EPKlPlPS6_SC_NS0_19identity_decomposerEEE10hipError_tT1_T2_T3_T4_jRjT5_jjP12ihipStream_tbEUlT_E_NS1_11comp_targetILNS1_3genE10ELNS1_11target_archE1201ELNS1_3gpuE5ELNS1_3repE0EEENS1_44radix_sort_block_sort_config_static_selectorELNS0_4arch9wavefront6targetE0EEEvSF_ ; -- Begin function _ZN7rocprim17ROCPRIM_400000_NS6detail17trampoline_kernelINS0_13kernel_configILj256ELj4ELj4294967295EEENS1_37radix_sort_block_sort_config_selectorIlNS0_10empty_typeEEEZNS1_21radix_sort_block_sortIS4_Lb0EPKlPlPS6_SC_NS0_19identity_decomposerEEE10hipError_tT1_T2_T3_T4_jRjT5_jjP12ihipStream_tbEUlT_E_NS1_11comp_targetILNS1_3genE10ELNS1_11target_archE1201ELNS1_3gpuE5ELNS1_3repE0EEENS1_44radix_sort_block_sort_config_static_selectorELNS0_4arch9wavefront6targetE0EEEvSF_
	.globl	_ZN7rocprim17ROCPRIM_400000_NS6detail17trampoline_kernelINS0_13kernel_configILj256ELj4ELj4294967295EEENS1_37radix_sort_block_sort_config_selectorIlNS0_10empty_typeEEEZNS1_21radix_sort_block_sortIS4_Lb0EPKlPlPS6_SC_NS0_19identity_decomposerEEE10hipError_tT1_T2_T3_T4_jRjT5_jjP12ihipStream_tbEUlT_E_NS1_11comp_targetILNS1_3genE10ELNS1_11target_archE1201ELNS1_3gpuE5ELNS1_3repE0EEENS1_44radix_sort_block_sort_config_static_selectorELNS0_4arch9wavefront6targetE0EEEvSF_
	.p2align	8
	.type	_ZN7rocprim17ROCPRIM_400000_NS6detail17trampoline_kernelINS0_13kernel_configILj256ELj4ELj4294967295EEENS1_37radix_sort_block_sort_config_selectorIlNS0_10empty_typeEEEZNS1_21radix_sort_block_sortIS4_Lb0EPKlPlPS6_SC_NS0_19identity_decomposerEEE10hipError_tT1_T2_T3_T4_jRjT5_jjP12ihipStream_tbEUlT_E_NS1_11comp_targetILNS1_3genE10ELNS1_11target_archE1201ELNS1_3gpuE5ELNS1_3repE0EEENS1_44radix_sort_block_sort_config_static_selectorELNS0_4arch9wavefront6targetE0EEEvSF_,@function
_ZN7rocprim17ROCPRIM_400000_NS6detail17trampoline_kernelINS0_13kernel_configILj256ELj4ELj4294967295EEENS1_37radix_sort_block_sort_config_selectorIlNS0_10empty_typeEEEZNS1_21radix_sort_block_sortIS4_Lb0EPKlPlPS6_SC_NS0_19identity_decomposerEEE10hipError_tT1_T2_T3_T4_jRjT5_jjP12ihipStream_tbEUlT_E_NS1_11comp_targetILNS1_3genE10ELNS1_11target_archE1201ELNS1_3gpuE5ELNS1_3repE0EEENS1_44radix_sort_block_sort_config_static_selectorELNS0_4arch9wavefront6targetE0EEEvSF_: ; @_ZN7rocprim17ROCPRIM_400000_NS6detail17trampoline_kernelINS0_13kernel_configILj256ELj4ELj4294967295EEENS1_37radix_sort_block_sort_config_selectorIlNS0_10empty_typeEEEZNS1_21radix_sort_block_sortIS4_Lb0EPKlPlPS6_SC_NS0_19identity_decomposerEEE10hipError_tT1_T2_T3_T4_jRjT5_jjP12ihipStream_tbEUlT_E_NS1_11comp_targetILNS1_3genE10ELNS1_11target_archE1201ELNS1_3gpuE5ELNS1_3repE0EEENS1_44radix_sort_block_sort_config_static_selectorELNS0_4arch9wavefront6targetE0EEEvSF_
; %bb.0:
	.section	.rodata,"a",@progbits
	.p2align	6, 0x0
	.amdhsa_kernel _ZN7rocprim17ROCPRIM_400000_NS6detail17trampoline_kernelINS0_13kernel_configILj256ELj4ELj4294967295EEENS1_37radix_sort_block_sort_config_selectorIlNS0_10empty_typeEEEZNS1_21radix_sort_block_sortIS4_Lb0EPKlPlPS6_SC_NS0_19identity_decomposerEEE10hipError_tT1_T2_T3_T4_jRjT5_jjP12ihipStream_tbEUlT_E_NS1_11comp_targetILNS1_3genE10ELNS1_11target_archE1201ELNS1_3gpuE5ELNS1_3repE0EEENS1_44radix_sort_block_sort_config_static_selectorELNS0_4arch9wavefront6targetE0EEEvSF_
		.amdhsa_group_segment_fixed_size 0
		.amdhsa_private_segment_fixed_size 0
		.amdhsa_kernarg_size 48
		.amdhsa_user_sgpr_count 2
		.amdhsa_user_sgpr_dispatch_ptr 0
		.amdhsa_user_sgpr_queue_ptr 0
		.amdhsa_user_sgpr_kernarg_segment_ptr 1
		.amdhsa_user_sgpr_dispatch_id 0
		.amdhsa_user_sgpr_kernarg_preload_length 0
		.amdhsa_user_sgpr_kernarg_preload_offset 0
		.amdhsa_user_sgpr_private_segment_size 0
		.amdhsa_wavefront_size32 1
		.amdhsa_uses_dynamic_stack 0
		.amdhsa_enable_private_segment 0
		.amdhsa_system_sgpr_workgroup_id_x 1
		.amdhsa_system_sgpr_workgroup_id_y 0
		.amdhsa_system_sgpr_workgroup_id_z 0
		.amdhsa_system_sgpr_workgroup_info 0
		.amdhsa_system_vgpr_workitem_id 0
		.amdhsa_next_free_vgpr 1
		.amdhsa_next_free_sgpr 1
		.amdhsa_named_barrier_count 0
		.amdhsa_reserve_vcc 0
		.amdhsa_float_round_mode_32 0
		.amdhsa_float_round_mode_16_64 0
		.amdhsa_float_denorm_mode_32 3
		.amdhsa_float_denorm_mode_16_64 3
		.amdhsa_fp16_overflow 0
		.amdhsa_memory_ordered 1
		.amdhsa_forward_progress 1
		.amdhsa_inst_pref_size 0
		.amdhsa_round_robin_scheduling 0
		.amdhsa_exception_fp_ieee_invalid_op 0
		.amdhsa_exception_fp_denorm_src 0
		.amdhsa_exception_fp_ieee_div_zero 0
		.amdhsa_exception_fp_ieee_overflow 0
		.amdhsa_exception_fp_ieee_underflow 0
		.amdhsa_exception_fp_ieee_inexact 0
		.amdhsa_exception_int_div_zero 0
	.end_amdhsa_kernel
	.section	.text._ZN7rocprim17ROCPRIM_400000_NS6detail17trampoline_kernelINS0_13kernel_configILj256ELj4ELj4294967295EEENS1_37radix_sort_block_sort_config_selectorIlNS0_10empty_typeEEEZNS1_21radix_sort_block_sortIS4_Lb0EPKlPlPS6_SC_NS0_19identity_decomposerEEE10hipError_tT1_T2_T3_T4_jRjT5_jjP12ihipStream_tbEUlT_E_NS1_11comp_targetILNS1_3genE10ELNS1_11target_archE1201ELNS1_3gpuE5ELNS1_3repE0EEENS1_44radix_sort_block_sort_config_static_selectorELNS0_4arch9wavefront6targetE0EEEvSF_,"axG",@progbits,_ZN7rocprim17ROCPRIM_400000_NS6detail17trampoline_kernelINS0_13kernel_configILj256ELj4ELj4294967295EEENS1_37radix_sort_block_sort_config_selectorIlNS0_10empty_typeEEEZNS1_21radix_sort_block_sortIS4_Lb0EPKlPlPS6_SC_NS0_19identity_decomposerEEE10hipError_tT1_T2_T3_T4_jRjT5_jjP12ihipStream_tbEUlT_E_NS1_11comp_targetILNS1_3genE10ELNS1_11target_archE1201ELNS1_3gpuE5ELNS1_3repE0EEENS1_44radix_sort_block_sort_config_static_selectorELNS0_4arch9wavefront6targetE0EEEvSF_,comdat
.Lfunc_end1137:
	.size	_ZN7rocprim17ROCPRIM_400000_NS6detail17trampoline_kernelINS0_13kernel_configILj256ELj4ELj4294967295EEENS1_37radix_sort_block_sort_config_selectorIlNS0_10empty_typeEEEZNS1_21radix_sort_block_sortIS4_Lb0EPKlPlPS6_SC_NS0_19identity_decomposerEEE10hipError_tT1_T2_T3_T4_jRjT5_jjP12ihipStream_tbEUlT_E_NS1_11comp_targetILNS1_3genE10ELNS1_11target_archE1201ELNS1_3gpuE5ELNS1_3repE0EEENS1_44radix_sort_block_sort_config_static_selectorELNS0_4arch9wavefront6targetE0EEEvSF_, .Lfunc_end1137-_ZN7rocprim17ROCPRIM_400000_NS6detail17trampoline_kernelINS0_13kernel_configILj256ELj4ELj4294967295EEENS1_37radix_sort_block_sort_config_selectorIlNS0_10empty_typeEEEZNS1_21radix_sort_block_sortIS4_Lb0EPKlPlPS6_SC_NS0_19identity_decomposerEEE10hipError_tT1_T2_T3_T4_jRjT5_jjP12ihipStream_tbEUlT_E_NS1_11comp_targetILNS1_3genE10ELNS1_11target_archE1201ELNS1_3gpuE5ELNS1_3repE0EEENS1_44radix_sort_block_sort_config_static_selectorELNS0_4arch9wavefront6targetE0EEEvSF_
                                        ; -- End function
	.set _ZN7rocprim17ROCPRIM_400000_NS6detail17trampoline_kernelINS0_13kernel_configILj256ELj4ELj4294967295EEENS1_37radix_sort_block_sort_config_selectorIlNS0_10empty_typeEEEZNS1_21radix_sort_block_sortIS4_Lb0EPKlPlPS6_SC_NS0_19identity_decomposerEEE10hipError_tT1_T2_T3_T4_jRjT5_jjP12ihipStream_tbEUlT_E_NS1_11comp_targetILNS1_3genE10ELNS1_11target_archE1201ELNS1_3gpuE5ELNS1_3repE0EEENS1_44radix_sort_block_sort_config_static_selectorELNS0_4arch9wavefront6targetE0EEEvSF_.num_vgpr, 0
	.set _ZN7rocprim17ROCPRIM_400000_NS6detail17trampoline_kernelINS0_13kernel_configILj256ELj4ELj4294967295EEENS1_37radix_sort_block_sort_config_selectorIlNS0_10empty_typeEEEZNS1_21radix_sort_block_sortIS4_Lb0EPKlPlPS6_SC_NS0_19identity_decomposerEEE10hipError_tT1_T2_T3_T4_jRjT5_jjP12ihipStream_tbEUlT_E_NS1_11comp_targetILNS1_3genE10ELNS1_11target_archE1201ELNS1_3gpuE5ELNS1_3repE0EEENS1_44radix_sort_block_sort_config_static_selectorELNS0_4arch9wavefront6targetE0EEEvSF_.num_agpr, 0
	.set _ZN7rocprim17ROCPRIM_400000_NS6detail17trampoline_kernelINS0_13kernel_configILj256ELj4ELj4294967295EEENS1_37radix_sort_block_sort_config_selectorIlNS0_10empty_typeEEEZNS1_21radix_sort_block_sortIS4_Lb0EPKlPlPS6_SC_NS0_19identity_decomposerEEE10hipError_tT1_T2_T3_T4_jRjT5_jjP12ihipStream_tbEUlT_E_NS1_11comp_targetILNS1_3genE10ELNS1_11target_archE1201ELNS1_3gpuE5ELNS1_3repE0EEENS1_44radix_sort_block_sort_config_static_selectorELNS0_4arch9wavefront6targetE0EEEvSF_.numbered_sgpr, 0
	.set _ZN7rocprim17ROCPRIM_400000_NS6detail17trampoline_kernelINS0_13kernel_configILj256ELj4ELj4294967295EEENS1_37radix_sort_block_sort_config_selectorIlNS0_10empty_typeEEEZNS1_21radix_sort_block_sortIS4_Lb0EPKlPlPS6_SC_NS0_19identity_decomposerEEE10hipError_tT1_T2_T3_T4_jRjT5_jjP12ihipStream_tbEUlT_E_NS1_11comp_targetILNS1_3genE10ELNS1_11target_archE1201ELNS1_3gpuE5ELNS1_3repE0EEENS1_44radix_sort_block_sort_config_static_selectorELNS0_4arch9wavefront6targetE0EEEvSF_.num_named_barrier, 0
	.set _ZN7rocprim17ROCPRIM_400000_NS6detail17trampoline_kernelINS0_13kernel_configILj256ELj4ELj4294967295EEENS1_37radix_sort_block_sort_config_selectorIlNS0_10empty_typeEEEZNS1_21radix_sort_block_sortIS4_Lb0EPKlPlPS6_SC_NS0_19identity_decomposerEEE10hipError_tT1_T2_T3_T4_jRjT5_jjP12ihipStream_tbEUlT_E_NS1_11comp_targetILNS1_3genE10ELNS1_11target_archE1201ELNS1_3gpuE5ELNS1_3repE0EEENS1_44radix_sort_block_sort_config_static_selectorELNS0_4arch9wavefront6targetE0EEEvSF_.private_seg_size, 0
	.set _ZN7rocprim17ROCPRIM_400000_NS6detail17trampoline_kernelINS0_13kernel_configILj256ELj4ELj4294967295EEENS1_37radix_sort_block_sort_config_selectorIlNS0_10empty_typeEEEZNS1_21radix_sort_block_sortIS4_Lb0EPKlPlPS6_SC_NS0_19identity_decomposerEEE10hipError_tT1_T2_T3_T4_jRjT5_jjP12ihipStream_tbEUlT_E_NS1_11comp_targetILNS1_3genE10ELNS1_11target_archE1201ELNS1_3gpuE5ELNS1_3repE0EEENS1_44radix_sort_block_sort_config_static_selectorELNS0_4arch9wavefront6targetE0EEEvSF_.uses_vcc, 0
	.set _ZN7rocprim17ROCPRIM_400000_NS6detail17trampoline_kernelINS0_13kernel_configILj256ELj4ELj4294967295EEENS1_37radix_sort_block_sort_config_selectorIlNS0_10empty_typeEEEZNS1_21radix_sort_block_sortIS4_Lb0EPKlPlPS6_SC_NS0_19identity_decomposerEEE10hipError_tT1_T2_T3_T4_jRjT5_jjP12ihipStream_tbEUlT_E_NS1_11comp_targetILNS1_3genE10ELNS1_11target_archE1201ELNS1_3gpuE5ELNS1_3repE0EEENS1_44radix_sort_block_sort_config_static_selectorELNS0_4arch9wavefront6targetE0EEEvSF_.uses_flat_scratch, 0
	.set _ZN7rocprim17ROCPRIM_400000_NS6detail17trampoline_kernelINS0_13kernel_configILj256ELj4ELj4294967295EEENS1_37radix_sort_block_sort_config_selectorIlNS0_10empty_typeEEEZNS1_21radix_sort_block_sortIS4_Lb0EPKlPlPS6_SC_NS0_19identity_decomposerEEE10hipError_tT1_T2_T3_T4_jRjT5_jjP12ihipStream_tbEUlT_E_NS1_11comp_targetILNS1_3genE10ELNS1_11target_archE1201ELNS1_3gpuE5ELNS1_3repE0EEENS1_44radix_sort_block_sort_config_static_selectorELNS0_4arch9wavefront6targetE0EEEvSF_.has_dyn_sized_stack, 0
	.set _ZN7rocprim17ROCPRIM_400000_NS6detail17trampoline_kernelINS0_13kernel_configILj256ELj4ELj4294967295EEENS1_37radix_sort_block_sort_config_selectorIlNS0_10empty_typeEEEZNS1_21radix_sort_block_sortIS4_Lb0EPKlPlPS6_SC_NS0_19identity_decomposerEEE10hipError_tT1_T2_T3_T4_jRjT5_jjP12ihipStream_tbEUlT_E_NS1_11comp_targetILNS1_3genE10ELNS1_11target_archE1201ELNS1_3gpuE5ELNS1_3repE0EEENS1_44radix_sort_block_sort_config_static_selectorELNS0_4arch9wavefront6targetE0EEEvSF_.has_recursion, 0
	.set _ZN7rocprim17ROCPRIM_400000_NS6detail17trampoline_kernelINS0_13kernel_configILj256ELj4ELj4294967295EEENS1_37radix_sort_block_sort_config_selectorIlNS0_10empty_typeEEEZNS1_21radix_sort_block_sortIS4_Lb0EPKlPlPS6_SC_NS0_19identity_decomposerEEE10hipError_tT1_T2_T3_T4_jRjT5_jjP12ihipStream_tbEUlT_E_NS1_11comp_targetILNS1_3genE10ELNS1_11target_archE1201ELNS1_3gpuE5ELNS1_3repE0EEENS1_44radix_sort_block_sort_config_static_selectorELNS0_4arch9wavefront6targetE0EEEvSF_.has_indirect_call, 0
	.section	.AMDGPU.csdata,"",@progbits
; Kernel info:
; codeLenInByte = 0
; TotalNumSgprs: 0
; NumVgprs: 0
; ScratchSize: 0
; MemoryBound: 0
; FloatMode: 240
; IeeeMode: 1
; LDSByteSize: 0 bytes/workgroup (compile time only)
; SGPRBlocks: 0
; VGPRBlocks: 0
; NumSGPRsForWavesPerEU: 1
; NumVGPRsForWavesPerEU: 1
; NamedBarCnt: 0
; Occupancy: 16
; WaveLimiterHint : 0
; COMPUTE_PGM_RSRC2:SCRATCH_EN: 0
; COMPUTE_PGM_RSRC2:USER_SGPR: 2
; COMPUTE_PGM_RSRC2:TRAP_HANDLER: 0
; COMPUTE_PGM_RSRC2:TGID_X_EN: 1
; COMPUTE_PGM_RSRC2:TGID_Y_EN: 0
; COMPUTE_PGM_RSRC2:TGID_Z_EN: 0
; COMPUTE_PGM_RSRC2:TIDIG_COMP_CNT: 0
	.section	.text._ZN7rocprim17ROCPRIM_400000_NS6detail17trampoline_kernelINS0_13kernel_configILj256ELj4ELj4294967295EEENS1_37radix_sort_block_sort_config_selectorIlNS0_10empty_typeEEEZNS1_21radix_sort_block_sortIS4_Lb0EPKlPlPS6_SC_NS0_19identity_decomposerEEE10hipError_tT1_T2_T3_T4_jRjT5_jjP12ihipStream_tbEUlT_E_NS1_11comp_targetILNS1_3genE10ELNS1_11target_archE1200ELNS1_3gpuE4ELNS1_3repE0EEENS1_44radix_sort_block_sort_config_static_selectorELNS0_4arch9wavefront6targetE0EEEvSF_,"axG",@progbits,_ZN7rocprim17ROCPRIM_400000_NS6detail17trampoline_kernelINS0_13kernel_configILj256ELj4ELj4294967295EEENS1_37radix_sort_block_sort_config_selectorIlNS0_10empty_typeEEEZNS1_21radix_sort_block_sortIS4_Lb0EPKlPlPS6_SC_NS0_19identity_decomposerEEE10hipError_tT1_T2_T3_T4_jRjT5_jjP12ihipStream_tbEUlT_E_NS1_11comp_targetILNS1_3genE10ELNS1_11target_archE1200ELNS1_3gpuE4ELNS1_3repE0EEENS1_44radix_sort_block_sort_config_static_selectorELNS0_4arch9wavefront6targetE0EEEvSF_,comdat
	.protected	_ZN7rocprim17ROCPRIM_400000_NS6detail17trampoline_kernelINS0_13kernel_configILj256ELj4ELj4294967295EEENS1_37radix_sort_block_sort_config_selectorIlNS0_10empty_typeEEEZNS1_21radix_sort_block_sortIS4_Lb0EPKlPlPS6_SC_NS0_19identity_decomposerEEE10hipError_tT1_T2_T3_T4_jRjT5_jjP12ihipStream_tbEUlT_E_NS1_11comp_targetILNS1_3genE10ELNS1_11target_archE1200ELNS1_3gpuE4ELNS1_3repE0EEENS1_44radix_sort_block_sort_config_static_selectorELNS0_4arch9wavefront6targetE0EEEvSF_ ; -- Begin function _ZN7rocprim17ROCPRIM_400000_NS6detail17trampoline_kernelINS0_13kernel_configILj256ELj4ELj4294967295EEENS1_37radix_sort_block_sort_config_selectorIlNS0_10empty_typeEEEZNS1_21radix_sort_block_sortIS4_Lb0EPKlPlPS6_SC_NS0_19identity_decomposerEEE10hipError_tT1_T2_T3_T4_jRjT5_jjP12ihipStream_tbEUlT_E_NS1_11comp_targetILNS1_3genE10ELNS1_11target_archE1200ELNS1_3gpuE4ELNS1_3repE0EEENS1_44radix_sort_block_sort_config_static_selectorELNS0_4arch9wavefront6targetE0EEEvSF_
	.globl	_ZN7rocprim17ROCPRIM_400000_NS6detail17trampoline_kernelINS0_13kernel_configILj256ELj4ELj4294967295EEENS1_37radix_sort_block_sort_config_selectorIlNS0_10empty_typeEEEZNS1_21radix_sort_block_sortIS4_Lb0EPKlPlPS6_SC_NS0_19identity_decomposerEEE10hipError_tT1_T2_T3_T4_jRjT5_jjP12ihipStream_tbEUlT_E_NS1_11comp_targetILNS1_3genE10ELNS1_11target_archE1200ELNS1_3gpuE4ELNS1_3repE0EEENS1_44radix_sort_block_sort_config_static_selectorELNS0_4arch9wavefront6targetE0EEEvSF_
	.p2align	8
	.type	_ZN7rocprim17ROCPRIM_400000_NS6detail17trampoline_kernelINS0_13kernel_configILj256ELj4ELj4294967295EEENS1_37radix_sort_block_sort_config_selectorIlNS0_10empty_typeEEEZNS1_21radix_sort_block_sortIS4_Lb0EPKlPlPS6_SC_NS0_19identity_decomposerEEE10hipError_tT1_T2_T3_T4_jRjT5_jjP12ihipStream_tbEUlT_E_NS1_11comp_targetILNS1_3genE10ELNS1_11target_archE1200ELNS1_3gpuE4ELNS1_3repE0EEENS1_44radix_sort_block_sort_config_static_selectorELNS0_4arch9wavefront6targetE0EEEvSF_,@function
_ZN7rocprim17ROCPRIM_400000_NS6detail17trampoline_kernelINS0_13kernel_configILj256ELj4ELj4294967295EEENS1_37radix_sort_block_sort_config_selectorIlNS0_10empty_typeEEEZNS1_21radix_sort_block_sortIS4_Lb0EPKlPlPS6_SC_NS0_19identity_decomposerEEE10hipError_tT1_T2_T3_T4_jRjT5_jjP12ihipStream_tbEUlT_E_NS1_11comp_targetILNS1_3genE10ELNS1_11target_archE1200ELNS1_3gpuE4ELNS1_3repE0EEENS1_44radix_sort_block_sort_config_static_selectorELNS0_4arch9wavefront6targetE0EEEvSF_: ; @_ZN7rocprim17ROCPRIM_400000_NS6detail17trampoline_kernelINS0_13kernel_configILj256ELj4ELj4294967295EEENS1_37radix_sort_block_sort_config_selectorIlNS0_10empty_typeEEEZNS1_21radix_sort_block_sortIS4_Lb0EPKlPlPS6_SC_NS0_19identity_decomposerEEE10hipError_tT1_T2_T3_T4_jRjT5_jjP12ihipStream_tbEUlT_E_NS1_11comp_targetILNS1_3genE10ELNS1_11target_archE1200ELNS1_3gpuE4ELNS1_3repE0EEENS1_44radix_sort_block_sort_config_static_selectorELNS0_4arch9wavefront6targetE0EEEvSF_
; %bb.0:
	.section	.rodata,"a",@progbits
	.p2align	6, 0x0
	.amdhsa_kernel _ZN7rocprim17ROCPRIM_400000_NS6detail17trampoline_kernelINS0_13kernel_configILj256ELj4ELj4294967295EEENS1_37radix_sort_block_sort_config_selectorIlNS0_10empty_typeEEEZNS1_21radix_sort_block_sortIS4_Lb0EPKlPlPS6_SC_NS0_19identity_decomposerEEE10hipError_tT1_T2_T3_T4_jRjT5_jjP12ihipStream_tbEUlT_E_NS1_11comp_targetILNS1_3genE10ELNS1_11target_archE1200ELNS1_3gpuE4ELNS1_3repE0EEENS1_44radix_sort_block_sort_config_static_selectorELNS0_4arch9wavefront6targetE0EEEvSF_
		.amdhsa_group_segment_fixed_size 0
		.amdhsa_private_segment_fixed_size 0
		.amdhsa_kernarg_size 48
		.amdhsa_user_sgpr_count 2
		.amdhsa_user_sgpr_dispatch_ptr 0
		.amdhsa_user_sgpr_queue_ptr 0
		.amdhsa_user_sgpr_kernarg_segment_ptr 1
		.amdhsa_user_sgpr_dispatch_id 0
		.amdhsa_user_sgpr_kernarg_preload_length 0
		.amdhsa_user_sgpr_kernarg_preload_offset 0
		.amdhsa_user_sgpr_private_segment_size 0
		.amdhsa_wavefront_size32 1
		.amdhsa_uses_dynamic_stack 0
		.amdhsa_enable_private_segment 0
		.amdhsa_system_sgpr_workgroup_id_x 1
		.amdhsa_system_sgpr_workgroup_id_y 0
		.amdhsa_system_sgpr_workgroup_id_z 0
		.amdhsa_system_sgpr_workgroup_info 0
		.amdhsa_system_vgpr_workitem_id 0
		.amdhsa_next_free_vgpr 1
		.amdhsa_next_free_sgpr 1
		.amdhsa_named_barrier_count 0
		.amdhsa_reserve_vcc 0
		.amdhsa_float_round_mode_32 0
		.amdhsa_float_round_mode_16_64 0
		.amdhsa_float_denorm_mode_32 3
		.amdhsa_float_denorm_mode_16_64 3
		.amdhsa_fp16_overflow 0
		.amdhsa_memory_ordered 1
		.amdhsa_forward_progress 1
		.amdhsa_inst_pref_size 0
		.amdhsa_round_robin_scheduling 0
		.amdhsa_exception_fp_ieee_invalid_op 0
		.amdhsa_exception_fp_denorm_src 0
		.amdhsa_exception_fp_ieee_div_zero 0
		.amdhsa_exception_fp_ieee_overflow 0
		.amdhsa_exception_fp_ieee_underflow 0
		.amdhsa_exception_fp_ieee_inexact 0
		.amdhsa_exception_int_div_zero 0
	.end_amdhsa_kernel
	.section	.text._ZN7rocprim17ROCPRIM_400000_NS6detail17trampoline_kernelINS0_13kernel_configILj256ELj4ELj4294967295EEENS1_37radix_sort_block_sort_config_selectorIlNS0_10empty_typeEEEZNS1_21radix_sort_block_sortIS4_Lb0EPKlPlPS6_SC_NS0_19identity_decomposerEEE10hipError_tT1_T2_T3_T4_jRjT5_jjP12ihipStream_tbEUlT_E_NS1_11comp_targetILNS1_3genE10ELNS1_11target_archE1200ELNS1_3gpuE4ELNS1_3repE0EEENS1_44radix_sort_block_sort_config_static_selectorELNS0_4arch9wavefront6targetE0EEEvSF_,"axG",@progbits,_ZN7rocprim17ROCPRIM_400000_NS6detail17trampoline_kernelINS0_13kernel_configILj256ELj4ELj4294967295EEENS1_37radix_sort_block_sort_config_selectorIlNS0_10empty_typeEEEZNS1_21radix_sort_block_sortIS4_Lb0EPKlPlPS6_SC_NS0_19identity_decomposerEEE10hipError_tT1_T2_T3_T4_jRjT5_jjP12ihipStream_tbEUlT_E_NS1_11comp_targetILNS1_3genE10ELNS1_11target_archE1200ELNS1_3gpuE4ELNS1_3repE0EEENS1_44radix_sort_block_sort_config_static_selectorELNS0_4arch9wavefront6targetE0EEEvSF_,comdat
.Lfunc_end1138:
	.size	_ZN7rocprim17ROCPRIM_400000_NS6detail17trampoline_kernelINS0_13kernel_configILj256ELj4ELj4294967295EEENS1_37radix_sort_block_sort_config_selectorIlNS0_10empty_typeEEEZNS1_21radix_sort_block_sortIS4_Lb0EPKlPlPS6_SC_NS0_19identity_decomposerEEE10hipError_tT1_T2_T3_T4_jRjT5_jjP12ihipStream_tbEUlT_E_NS1_11comp_targetILNS1_3genE10ELNS1_11target_archE1200ELNS1_3gpuE4ELNS1_3repE0EEENS1_44radix_sort_block_sort_config_static_selectorELNS0_4arch9wavefront6targetE0EEEvSF_, .Lfunc_end1138-_ZN7rocprim17ROCPRIM_400000_NS6detail17trampoline_kernelINS0_13kernel_configILj256ELj4ELj4294967295EEENS1_37radix_sort_block_sort_config_selectorIlNS0_10empty_typeEEEZNS1_21radix_sort_block_sortIS4_Lb0EPKlPlPS6_SC_NS0_19identity_decomposerEEE10hipError_tT1_T2_T3_T4_jRjT5_jjP12ihipStream_tbEUlT_E_NS1_11comp_targetILNS1_3genE10ELNS1_11target_archE1200ELNS1_3gpuE4ELNS1_3repE0EEENS1_44radix_sort_block_sort_config_static_selectorELNS0_4arch9wavefront6targetE0EEEvSF_
                                        ; -- End function
	.set _ZN7rocprim17ROCPRIM_400000_NS6detail17trampoline_kernelINS0_13kernel_configILj256ELj4ELj4294967295EEENS1_37radix_sort_block_sort_config_selectorIlNS0_10empty_typeEEEZNS1_21radix_sort_block_sortIS4_Lb0EPKlPlPS6_SC_NS0_19identity_decomposerEEE10hipError_tT1_T2_T3_T4_jRjT5_jjP12ihipStream_tbEUlT_E_NS1_11comp_targetILNS1_3genE10ELNS1_11target_archE1200ELNS1_3gpuE4ELNS1_3repE0EEENS1_44radix_sort_block_sort_config_static_selectorELNS0_4arch9wavefront6targetE0EEEvSF_.num_vgpr, 0
	.set _ZN7rocprim17ROCPRIM_400000_NS6detail17trampoline_kernelINS0_13kernel_configILj256ELj4ELj4294967295EEENS1_37radix_sort_block_sort_config_selectorIlNS0_10empty_typeEEEZNS1_21radix_sort_block_sortIS4_Lb0EPKlPlPS6_SC_NS0_19identity_decomposerEEE10hipError_tT1_T2_T3_T4_jRjT5_jjP12ihipStream_tbEUlT_E_NS1_11comp_targetILNS1_3genE10ELNS1_11target_archE1200ELNS1_3gpuE4ELNS1_3repE0EEENS1_44radix_sort_block_sort_config_static_selectorELNS0_4arch9wavefront6targetE0EEEvSF_.num_agpr, 0
	.set _ZN7rocprim17ROCPRIM_400000_NS6detail17trampoline_kernelINS0_13kernel_configILj256ELj4ELj4294967295EEENS1_37radix_sort_block_sort_config_selectorIlNS0_10empty_typeEEEZNS1_21radix_sort_block_sortIS4_Lb0EPKlPlPS6_SC_NS0_19identity_decomposerEEE10hipError_tT1_T2_T3_T4_jRjT5_jjP12ihipStream_tbEUlT_E_NS1_11comp_targetILNS1_3genE10ELNS1_11target_archE1200ELNS1_3gpuE4ELNS1_3repE0EEENS1_44radix_sort_block_sort_config_static_selectorELNS0_4arch9wavefront6targetE0EEEvSF_.numbered_sgpr, 0
	.set _ZN7rocprim17ROCPRIM_400000_NS6detail17trampoline_kernelINS0_13kernel_configILj256ELj4ELj4294967295EEENS1_37radix_sort_block_sort_config_selectorIlNS0_10empty_typeEEEZNS1_21radix_sort_block_sortIS4_Lb0EPKlPlPS6_SC_NS0_19identity_decomposerEEE10hipError_tT1_T2_T3_T4_jRjT5_jjP12ihipStream_tbEUlT_E_NS1_11comp_targetILNS1_3genE10ELNS1_11target_archE1200ELNS1_3gpuE4ELNS1_3repE0EEENS1_44radix_sort_block_sort_config_static_selectorELNS0_4arch9wavefront6targetE0EEEvSF_.num_named_barrier, 0
	.set _ZN7rocprim17ROCPRIM_400000_NS6detail17trampoline_kernelINS0_13kernel_configILj256ELj4ELj4294967295EEENS1_37radix_sort_block_sort_config_selectorIlNS0_10empty_typeEEEZNS1_21radix_sort_block_sortIS4_Lb0EPKlPlPS6_SC_NS0_19identity_decomposerEEE10hipError_tT1_T2_T3_T4_jRjT5_jjP12ihipStream_tbEUlT_E_NS1_11comp_targetILNS1_3genE10ELNS1_11target_archE1200ELNS1_3gpuE4ELNS1_3repE0EEENS1_44radix_sort_block_sort_config_static_selectorELNS0_4arch9wavefront6targetE0EEEvSF_.private_seg_size, 0
	.set _ZN7rocprim17ROCPRIM_400000_NS6detail17trampoline_kernelINS0_13kernel_configILj256ELj4ELj4294967295EEENS1_37radix_sort_block_sort_config_selectorIlNS0_10empty_typeEEEZNS1_21radix_sort_block_sortIS4_Lb0EPKlPlPS6_SC_NS0_19identity_decomposerEEE10hipError_tT1_T2_T3_T4_jRjT5_jjP12ihipStream_tbEUlT_E_NS1_11comp_targetILNS1_3genE10ELNS1_11target_archE1200ELNS1_3gpuE4ELNS1_3repE0EEENS1_44radix_sort_block_sort_config_static_selectorELNS0_4arch9wavefront6targetE0EEEvSF_.uses_vcc, 0
	.set _ZN7rocprim17ROCPRIM_400000_NS6detail17trampoline_kernelINS0_13kernel_configILj256ELj4ELj4294967295EEENS1_37radix_sort_block_sort_config_selectorIlNS0_10empty_typeEEEZNS1_21radix_sort_block_sortIS4_Lb0EPKlPlPS6_SC_NS0_19identity_decomposerEEE10hipError_tT1_T2_T3_T4_jRjT5_jjP12ihipStream_tbEUlT_E_NS1_11comp_targetILNS1_3genE10ELNS1_11target_archE1200ELNS1_3gpuE4ELNS1_3repE0EEENS1_44radix_sort_block_sort_config_static_selectorELNS0_4arch9wavefront6targetE0EEEvSF_.uses_flat_scratch, 0
	.set _ZN7rocprim17ROCPRIM_400000_NS6detail17trampoline_kernelINS0_13kernel_configILj256ELj4ELj4294967295EEENS1_37radix_sort_block_sort_config_selectorIlNS0_10empty_typeEEEZNS1_21radix_sort_block_sortIS4_Lb0EPKlPlPS6_SC_NS0_19identity_decomposerEEE10hipError_tT1_T2_T3_T4_jRjT5_jjP12ihipStream_tbEUlT_E_NS1_11comp_targetILNS1_3genE10ELNS1_11target_archE1200ELNS1_3gpuE4ELNS1_3repE0EEENS1_44radix_sort_block_sort_config_static_selectorELNS0_4arch9wavefront6targetE0EEEvSF_.has_dyn_sized_stack, 0
	.set _ZN7rocprim17ROCPRIM_400000_NS6detail17trampoline_kernelINS0_13kernel_configILj256ELj4ELj4294967295EEENS1_37radix_sort_block_sort_config_selectorIlNS0_10empty_typeEEEZNS1_21radix_sort_block_sortIS4_Lb0EPKlPlPS6_SC_NS0_19identity_decomposerEEE10hipError_tT1_T2_T3_T4_jRjT5_jjP12ihipStream_tbEUlT_E_NS1_11comp_targetILNS1_3genE10ELNS1_11target_archE1200ELNS1_3gpuE4ELNS1_3repE0EEENS1_44radix_sort_block_sort_config_static_selectorELNS0_4arch9wavefront6targetE0EEEvSF_.has_recursion, 0
	.set _ZN7rocprim17ROCPRIM_400000_NS6detail17trampoline_kernelINS0_13kernel_configILj256ELj4ELj4294967295EEENS1_37radix_sort_block_sort_config_selectorIlNS0_10empty_typeEEEZNS1_21radix_sort_block_sortIS4_Lb0EPKlPlPS6_SC_NS0_19identity_decomposerEEE10hipError_tT1_T2_T3_T4_jRjT5_jjP12ihipStream_tbEUlT_E_NS1_11comp_targetILNS1_3genE10ELNS1_11target_archE1200ELNS1_3gpuE4ELNS1_3repE0EEENS1_44radix_sort_block_sort_config_static_selectorELNS0_4arch9wavefront6targetE0EEEvSF_.has_indirect_call, 0
	.section	.AMDGPU.csdata,"",@progbits
; Kernel info:
; codeLenInByte = 0
; TotalNumSgprs: 0
; NumVgprs: 0
; ScratchSize: 0
; MemoryBound: 0
; FloatMode: 240
; IeeeMode: 1
; LDSByteSize: 0 bytes/workgroup (compile time only)
; SGPRBlocks: 0
; VGPRBlocks: 0
; NumSGPRsForWavesPerEU: 1
; NumVGPRsForWavesPerEU: 1
; NamedBarCnt: 0
; Occupancy: 16
; WaveLimiterHint : 0
; COMPUTE_PGM_RSRC2:SCRATCH_EN: 0
; COMPUTE_PGM_RSRC2:USER_SGPR: 2
; COMPUTE_PGM_RSRC2:TRAP_HANDLER: 0
; COMPUTE_PGM_RSRC2:TGID_X_EN: 1
; COMPUTE_PGM_RSRC2:TGID_Y_EN: 0
; COMPUTE_PGM_RSRC2:TGID_Z_EN: 0
; COMPUTE_PGM_RSRC2:TIDIG_COMP_CNT: 0
	.section	.text._ZN7rocprim17ROCPRIM_400000_NS6detail17trampoline_kernelINS0_13kernel_configILj256ELj4ELj4294967295EEENS1_37radix_sort_block_sort_config_selectorIlNS0_10empty_typeEEEZNS1_21radix_sort_block_sortIS4_Lb0EPKlPlPS6_SC_NS0_19identity_decomposerEEE10hipError_tT1_T2_T3_T4_jRjT5_jjP12ihipStream_tbEUlT_E_NS1_11comp_targetILNS1_3genE9ELNS1_11target_archE1100ELNS1_3gpuE3ELNS1_3repE0EEENS1_44radix_sort_block_sort_config_static_selectorELNS0_4arch9wavefront6targetE0EEEvSF_,"axG",@progbits,_ZN7rocprim17ROCPRIM_400000_NS6detail17trampoline_kernelINS0_13kernel_configILj256ELj4ELj4294967295EEENS1_37radix_sort_block_sort_config_selectorIlNS0_10empty_typeEEEZNS1_21radix_sort_block_sortIS4_Lb0EPKlPlPS6_SC_NS0_19identity_decomposerEEE10hipError_tT1_T2_T3_T4_jRjT5_jjP12ihipStream_tbEUlT_E_NS1_11comp_targetILNS1_3genE9ELNS1_11target_archE1100ELNS1_3gpuE3ELNS1_3repE0EEENS1_44radix_sort_block_sort_config_static_selectorELNS0_4arch9wavefront6targetE0EEEvSF_,comdat
	.protected	_ZN7rocprim17ROCPRIM_400000_NS6detail17trampoline_kernelINS0_13kernel_configILj256ELj4ELj4294967295EEENS1_37radix_sort_block_sort_config_selectorIlNS0_10empty_typeEEEZNS1_21radix_sort_block_sortIS4_Lb0EPKlPlPS6_SC_NS0_19identity_decomposerEEE10hipError_tT1_T2_T3_T4_jRjT5_jjP12ihipStream_tbEUlT_E_NS1_11comp_targetILNS1_3genE9ELNS1_11target_archE1100ELNS1_3gpuE3ELNS1_3repE0EEENS1_44radix_sort_block_sort_config_static_selectorELNS0_4arch9wavefront6targetE0EEEvSF_ ; -- Begin function _ZN7rocprim17ROCPRIM_400000_NS6detail17trampoline_kernelINS0_13kernel_configILj256ELj4ELj4294967295EEENS1_37radix_sort_block_sort_config_selectorIlNS0_10empty_typeEEEZNS1_21radix_sort_block_sortIS4_Lb0EPKlPlPS6_SC_NS0_19identity_decomposerEEE10hipError_tT1_T2_T3_T4_jRjT5_jjP12ihipStream_tbEUlT_E_NS1_11comp_targetILNS1_3genE9ELNS1_11target_archE1100ELNS1_3gpuE3ELNS1_3repE0EEENS1_44radix_sort_block_sort_config_static_selectorELNS0_4arch9wavefront6targetE0EEEvSF_
	.globl	_ZN7rocprim17ROCPRIM_400000_NS6detail17trampoline_kernelINS0_13kernel_configILj256ELj4ELj4294967295EEENS1_37radix_sort_block_sort_config_selectorIlNS0_10empty_typeEEEZNS1_21radix_sort_block_sortIS4_Lb0EPKlPlPS6_SC_NS0_19identity_decomposerEEE10hipError_tT1_T2_T3_T4_jRjT5_jjP12ihipStream_tbEUlT_E_NS1_11comp_targetILNS1_3genE9ELNS1_11target_archE1100ELNS1_3gpuE3ELNS1_3repE0EEENS1_44radix_sort_block_sort_config_static_selectorELNS0_4arch9wavefront6targetE0EEEvSF_
	.p2align	8
	.type	_ZN7rocprim17ROCPRIM_400000_NS6detail17trampoline_kernelINS0_13kernel_configILj256ELj4ELj4294967295EEENS1_37radix_sort_block_sort_config_selectorIlNS0_10empty_typeEEEZNS1_21radix_sort_block_sortIS4_Lb0EPKlPlPS6_SC_NS0_19identity_decomposerEEE10hipError_tT1_T2_T3_T4_jRjT5_jjP12ihipStream_tbEUlT_E_NS1_11comp_targetILNS1_3genE9ELNS1_11target_archE1100ELNS1_3gpuE3ELNS1_3repE0EEENS1_44radix_sort_block_sort_config_static_selectorELNS0_4arch9wavefront6targetE0EEEvSF_,@function
_ZN7rocprim17ROCPRIM_400000_NS6detail17trampoline_kernelINS0_13kernel_configILj256ELj4ELj4294967295EEENS1_37radix_sort_block_sort_config_selectorIlNS0_10empty_typeEEEZNS1_21radix_sort_block_sortIS4_Lb0EPKlPlPS6_SC_NS0_19identity_decomposerEEE10hipError_tT1_T2_T3_T4_jRjT5_jjP12ihipStream_tbEUlT_E_NS1_11comp_targetILNS1_3genE9ELNS1_11target_archE1100ELNS1_3gpuE3ELNS1_3repE0EEENS1_44radix_sort_block_sort_config_static_selectorELNS0_4arch9wavefront6targetE0EEEvSF_: ; @_ZN7rocprim17ROCPRIM_400000_NS6detail17trampoline_kernelINS0_13kernel_configILj256ELj4ELj4294967295EEENS1_37radix_sort_block_sort_config_selectorIlNS0_10empty_typeEEEZNS1_21radix_sort_block_sortIS4_Lb0EPKlPlPS6_SC_NS0_19identity_decomposerEEE10hipError_tT1_T2_T3_T4_jRjT5_jjP12ihipStream_tbEUlT_E_NS1_11comp_targetILNS1_3genE9ELNS1_11target_archE1100ELNS1_3gpuE3ELNS1_3repE0EEENS1_44radix_sort_block_sort_config_static_selectorELNS0_4arch9wavefront6targetE0EEEvSF_
; %bb.0:
	.section	.rodata,"a",@progbits
	.p2align	6, 0x0
	.amdhsa_kernel _ZN7rocprim17ROCPRIM_400000_NS6detail17trampoline_kernelINS0_13kernel_configILj256ELj4ELj4294967295EEENS1_37radix_sort_block_sort_config_selectorIlNS0_10empty_typeEEEZNS1_21radix_sort_block_sortIS4_Lb0EPKlPlPS6_SC_NS0_19identity_decomposerEEE10hipError_tT1_T2_T3_T4_jRjT5_jjP12ihipStream_tbEUlT_E_NS1_11comp_targetILNS1_3genE9ELNS1_11target_archE1100ELNS1_3gpuE3ELNS1_3repE0EEENS1_44radix_sort_block_sort_config_static_selectorELNS0_4arch9wavefront6targetE0EEEvSF_
		.amdhsa_group_segment_fixed_size 0
		.amdhsa_private_segment_fixed_size 0
		.amdhsa_kernarg_size 48
		.amdhsa_user_sgpr_count 2
		.amdhsa_user_sgpr_dispatch_ptr 0
		.amdhsa_user_sgpr_queue_ptr 0
		.amdhsa_user_sgpr_kernarg_segment_ptr 1
		.amdhsa_user_sgpr_dispatch_id 0
		.amdhsa_user_sgpr_kernarg_preload_length 0
		.amdhsa_user_sgpr_kernarg_preload_offset 0
		.amdhsa_user_sgpr_private_segment_size 0
		.amdhsa_wavefront_size32 1
		.amdhsa_uses_dynamic_stack 0
		.amdhsa_enable_private_segment 0
		.amdhsa_system_sgpr_workgroup_id_x 1
		.amdhsa_system_sgpr_workgroup_id_y 0
		.amdhsa_system_sgpr_workgroup_id_z 0
		.amdhsa_system_sgpr_workgroup_info 0
		.amdhsa_system_vgpr_workitem_id 0
		.amdhsa_next_free_vgpr 1
		.amdhsa_next_free_sgpr 1
		.amdhsa_named_barrier_count 0
		.amdhsa_reserve_vcc 0
		.amdhsa_float_round_mode_32 0
		.amdhsa_float_round_mode_16_64 0
		.amdhsa_float_denorm_mode_32 3
		.amdhsa_float_denorm_mode_16_64 3
		.amdhsa_fp16_overflow 0
		.amdhsa_memory_ordered 1
		.amdhsa_forward_progress 1
		.amdhsa_inst_pref_size 0
		.amdhsa_round_robin_scheduling 0
		.amdhsa_exception_fp_ieee_invalid_op 0
		.amdhsa_exception_fp_denorm_src 0
		.amdhsa_exception_fp_ieee_div_zero 0
		.amdhsa_exception_fp_ieee_overflow 0
		.amdhsa_exception_fp_ieee_underflow 0
		.amdhsa_exception_fp_ieee_inexact 0
		.amdhsa_exception_int_div_zero 0
	.end_amdhsa_kernel
	.section	.text._ZN7rocprim17ROCPRIM_400000_NS6detail17trampoline_kernelINS0_13kernel_configILj256ELj4ELj4294967295EEENS1_37radix_sort_block_sort_config_selectorIlNS0_10empty_typeEEEZNS1_21radix_sort_block_sortIS4_Lb0EPKlPlPS6_SC_NS0_19identity_decomposerEEE10hipError_tT1_T2_T3_T4_jRjT5_jjP12ihipStream_tbEUlT_E_NS1_11comp_targetILNS1_3genE9ELNS1_11target_archE1100ELNS1_3gpuE3ELNS1_3repE0EEENS1_44radix_sort_block_sort_config_static_selectorELNS0_4arch9wavefront6targetE0EEEvSF_,"axG",@progbits,_ZN7rocprim17ROCPRIM_400000_NS6detail17trampoline_kernelINS0_13kernel_configILj256ELj4ELj4294967295EEENS1_37radix_sort_block_sort_config_selectorIlNS0_10empty_typeEEEZNS1_21radix_sort_block_sortIS4_Lb0EPKlPlPS6_SC_NS0_19identity_decomposerEEE10hipError_tT1_T2_T3_T4_jRjT5_jjP12ihipStream_tbEUlT_E_NS1_11comp_targetILNS1_3genE9ELNS1_11target_archE1100ELNS1_3gpuE3ELNS1_3repE0EEENS1_44radix_sort_block_sort_config_static_selectorELNS0_4arch9wavefront6targetE0EEEvSF_,comdat
.Lfunc_end1139:
	.size	_ZN7rocprim17ROCPRIM_400000_NS6detail17trampoline_kernelINS0_13kernel_configILj256ELj4ELj4294967295EEENS1_37radix_sort_block_sort_config_selectorIlNS0_10empty_typeEEEZNS1_21radix_sort_block_sortIS4_Lb0EPKlPlPS6_SC_NS0_19identity_decomposerEEE10hipError_tT1_T2_T3_T4_jRjT5_jjP12ihipStream_tbEUlT_E_NS1_11comp_targetILNS1_3genE9ELNS1_11target_archE1100ELNS1_3gpuE3ELNS1_3repE0EEENS1_44radix_sort_block_sort_config_static_selectorELNS0_4arch9wavefront6targetE0EEEvSF_, .Lfunc_end1139-_ZN7rocprim17ROCPRIM_400000_NS6detail17trampoline_kernelINS0_13kernel_configILj256ELj4ELj4294967295EEENS1_37radix_sort_block_sort_config_selectorIlNS0_10empty_typeEEEZNS1_21radix_sort_block_sortIS4_Lb0EPKlPlPS6_SC_NS0_19identity_decomposerEEE10hipError_tT1_T2_T3_T4_jRjT5_jjP12ihipStream_tbEUlT_E_NS1_11comp_targetILNS1_3genE9ELNS1_11target_archE1100ELNS1_3gpuE3ELNS1_3repE0EEENS1_44radix_sort_block_sort_config_static_selectorELNS0_4arch9wavefront6targetE0EEEvSF_
                                        ; -- End function
	.set _ZN7rocprim17ROCPRIM_400000_NS6detail17trampoline_kernelINS0_13kernel_configILj256ELj4ELj4294967295EEENS1_37radix_sort_block_sort_config_selectorIlNS0_10empty_typeEEEZNS1_21radix_sort_block_sortIS4_Lb0EPKlPlPS6_SC_NS0_19identity_decomposerEEE10hipError_tT1_T2_T3_T4_jRjT5_jjP12ihipStream_tbEUlT_E_NS1_11comp_targetILNS1_3genE9ELNS1_11target_archE1100ELNS1_3gpuE3ELNS1_3repE0EEENS1_44radix_sort_block_sort_config_static_selectorELNS0_4arch9wavefront6targetE0EEEvSF_.num_vgpr, 0
	.set _ZN7rocprim17ROCPRIM_400000_NS6detail17trampoline_kernelINS0_13kernel_configILj256ELj4ELj4294967295EEENS1_37radix_sort_block_sort_config_selectorIlNS0_10empty_typeEEEZNS1_21radix_sort_block_sortIS4_Lb0EPKlPlPS6_SC_NS0_19identity_decomposerEEE10hipError_tT1_T2_T3_T4_jRjT5_jjP12ihipStream_tbEUlT_E_NS1_11comp_targetILNS1_3genE9ELNS1_11target_archE1100ELNS1_3gpuE3ELNS1_3repE0EEENS1_44radix_sort_block_sort_config_static_selectorELNS0_4arch9wavefront6targetE0EEEvSF_.num_agpr, 0
	.set _ZN7rocprim17ROCPRIM_400000_NS6detail17trampoline_kernelINS0_13kernel_configILj256ELj4ELj4294967295EEENS1_37radix_sort_block_sort_config_selectorIlNS0_10empty_typeEEEZNS1_21radix_sort_block_sortIS4_Lb0EPKlPlPS6_SC_NS0_19identity_decomposerEEE10hipError_tT1_T2_T3_T4_jRjT5_jjP12ihipStream_tbEUlT_E_NS1_11comp_targetILNS1_3genE9ELNS1_11target_archE1100ELNS1_3gpuE3ELNS1_3repE0EEENS1_44radix_sort_block_sort_config_static_selectorELNS0_4arch9wavefront6targetE0EEEvSF_.numbered_sgpr, 0
	.set _ZN7rocprim17ROCPRIM_400000_NS6detail17trampoline_kernelINS0_13kernel_configILj256ELj4ELj4294967295EEENS1_37radix_sort_block_sort_config_selectorIlNS0_10empty_typeEEEZNS1_21radix_sort_block_sortIS4_Lb0EPKlPlPS6_SC_NS0_19identity_decomposerEEE10hipError_tT1_T2_T3_T4_jRjT5_jjP12ihipStream_tbEUlT_E_NS1_11comp_targetILNS1_3genE9ELNS1_11target_archE1100ELNS1_3gpuE3ELNS1_3repE0EEENS1_44radix_sort_block_sort_config_static_selectorELNS0_4arch9wavefront6targetE0EEEvSF_.num_named_barrier, 0
	.set _ZN7rocprim17ROCPRIM_400000_NS6detail17trampoline_kernelINS0_13kernel_configILj256ELj4ELj4294967295EEENS1_37radix_sort_block_sort_config_selectorIlNS0_10empty_typeEEEZNS1_21radix_sort_block_sortIS4_Lb0EPKlPlPS6_SC_NS0_19identity_decomposerEEE10hipError_tT1_T2_T3_T4_jRjT5_jjP12ihipStream_tbEUlT_E_NS1_11comp_targetILNS1_3genE9ELNS1_11target_archE1100ELNS1_3gpuE3ELNS1_3repE0EEENS1_44radix_sort_block_sort_config_static_selectorELNS0_4arch9wavefront6targetE0EEEvSF_.private_seg_size, 0
	.set _ZN7rocprim17ROCPRIM_400000_NS6detail17trampoline_kernelINS0_13kernel_configILj256ELj4ELj4294967295EEENS1_37radix_sort_block_sort_config_selectorIlNS0_10empty_typeEEEZNS1_21radix_sort_block_sortIS4_Lb0EPKlPlPS6_SC_NS0_19identity_decomposerEEE10hipError_tT1_T2_T3_T4_jRjT5_jjP12ihipStream_tbEUlT_E_NS1_11comp_targetILNS1_3genE9ELNS1_11target_archE1100ELNS1_3gpuE3ELNS1_3repE0EEENS1_44radix_sort_block_sort_config_static_selectorELNS0_4arch9wavefront6targetE0EEEvSF_.uses_vcc, 0
	.set _ZN7rocprim17ROCPRIM_400000_NS6detail17trampoline_kernelINS0_13kernel_configILj256ELj4ELj4294967295EEENS1_37radix_sort_block_sort_config_selectorIlNS0_10empty_typeEEEZNS1_21radix_sort_block_sortIS4_Lb0EPKlPlPS6_SC_NS0_19identity_decomposerEEE10hipError_tT1_T2_T3_T4_jRjT5_jjP12ihipStream_tbEUlT_E_NS1_11comp_targetILNS1_3genE9ELNS1_11target_archE1100ELNS1_3gpuE3ELNS1_3repE0EEENS1_44radix_sort_block_sort_config_static_selectorELNS0_4arch9wavefront6targetE0EEEvSF_.uses_flat_scratch, 0
	.set _ZN7rocprim17ROCPRIM_400000_NS6detail17trampoline_kernelINS0_13kernel_configILj256ELj4ELj4294967295EEENS1_37radix_sort_block_sort_config_selectorIlNS0_10empty_typeEEEZNS1_21radix_sort_block_sortIS4_Lb0EPKlPlPS6_SC_NS0_19identity_decomposerEEE10hipError_tT1_T2_T3_T4_jRjT5_jjP12ihipStream_tbEUlT_E_NS1_11comp_targetILNS1_3genE9ELNS1_11target_archE1100ELNS1_3gpuE3ELNS1_3repE0EEENS1_44radix_sort_block_sort_config_static_selectorELNS0_4arch9wavefront6targetE0EEEvSF_.has_dyn_sized_stack, 0
	.set _ZN7rocprim17ROCPRIM_400000_NS6detail17trampoline_kernelINS0_13kernel_configILj256ELj4ELj4294967295EEENS1_37radix_sort_block_sort_config_selectorIlNS0_10empty_typeEEEZNS1_21radix_sort_block_sortIS4_Lb0EPKlPlPS6_SC_NS0_19identity_decomposerEEE10hipError_tT1_T2_T3_T4_jRjT5_jjP12ihipStream_tbEUlT_E_NS1_11comp_targetILNS1_3genE9ELNS1_11target_archE1100ELNS1_3gpuE3ELNS1_3repE0EEENS1_44radix_sort_block_sort_config_static_selectorELNS0_4arch9wavefront6targetE0EEEvSF_.has_recursion, 0
	.set _ZN7rocprim17ROCPRIM_400000_NS6detail17trampoline_kernelINS0_13kernel_configILj256ELj4ELj4294967295EEENS1_37radix_sort_block_sort_config_selectorIlNS0_10empty_typeEEEZNS1_21radix_sort_block_sortIS4_Lb0EPKlPlPS6_SC_NS0_19identity_decomposerEEE10hipError_tT1_T2_T3_T4_jRjT5_jjP12ihipStream_tbEUlT_E_NS1_11comp_targetILNS1_3genE9ELNS1_11target_archE1100ELNS1_3gpuE3ELNS1_3repE0EEENS1_44radix_sort_block_sort_config_static_selectorELNS0_4arch9wavefront6targetE0EEEvSF_.has_indirect_call, 0
	.section	.AMDGPU.csdata,"",@progbits
; Kernel info:
; codeLenInByte = 0
; TotalNumSgprs: 0
; NumVgprs: 0
; ScratchSize: 0
; MemoryBound: 0
; FloatMode: 240
; IeeeMode: 1
; LDSByteSize: 0 bytes/workgroup (compile time only)
; SGPRBlocks: 0
; VGPRBlocks: 0
; NumSGPRsForWavesPerEU: 1
; NumVGPRsForWavesPerEU: 1
; NamedBarCnt: 0
; Occupancy: 16
; WaveLimiterHint : 0
; COMPUTE_PGM_RSRC2:SCRATCH_EN: 0
; COMPUTE_PGM_RSRC2:USER_SGPR: 2
; COMPUTE_PGM_RSRC2:TRAP_HANDLER: 0
; COMPUTE_PGM_RSRC2:TGID_X_EN: 1
; COMPUTE_PGM_RSRC2:TGID_Y_EN: 0
; COMPUTE_PGM_RSRC2:TGID_Z_EN: 0
; COMPUTE_PGM_RSRC2:TIDIG_COMP_CNT: 0
	.section	.text._ZN7rocprim17ROCPRIM_400000_NS6detail17trampoline_kernelINS0_13kernel_configILj256ELj4ELj4294967295EEENS1_37radix_sort_block_sort_config_selectorIlNS0_10empty_typeEEEZNS1_21radix_sort_block_sortIS4_Lb0EPKlPlPS6_SC_NS0_19identity_decomposerEEE10hipError_tT1_T2_T3_T4_jRjT5_jjP12ihipStream_tbEUlT_E_NS1_11comp_targetILNS1_3genE8ELNS1_11target_archE1030ELNS1_3gpuE2ELNS1_3repE0EEENS1_44radix_sort_block_sort_config_static_selectorELNS0_4arch9wavefront6targetE0EEEvSF_,"axG",@progbits,_ZN7rocprim17ROCPRIM_400000_NS6detail17trampoline_kernelINS0_13kernel_configILj256ELj4ELj4294967295EEENS1_37radix_sort_block_sort_config_selectorIlNS0_10empty_typeEEEZNS1_21radix_sort_block_sortIS4_Lb0EPKlPlPS6_SC_NS0_19identity_decomposerEEE10hipError_tT1_T2_T3_T4_jRjT5_jjP12ihipStream_tbEUlT_E_NS1_11comp_targetILNS1_3genE8ELNS1_11target_archE1030ELNS1_3gpuE2ELNS1_3repE0EEENS1_44radix_sort_block_sort_config_static_selectorELNS0_4arch9wavefront6targetE0EEEvSF_,comdat
	.protected	_ZN7rocprim17ROCPRIM_400000_NS6detail17trampoline_kernelINS0_13kernel_configILj256ELj4ELj4294967295EEENS1_37radix_sort_block_sort_config_selectorIlNS0_10empty_typeEEEZNS1_21radix_sort_block_sortIS4_Lb0EPKlPlPS6_SC_NS0_19identity_decomposerEEE10hipError_tT1_T2_T3_T4_jRjT5_jjP12ihipStream_tbEUlT_E_NS1_11comp_targetILNS1_3genE8ELNS1_11target_archE1030ELNS1_3gpuE2ELNS1_3repE0EEENS1_44radix_sort_block_sort_config_static_selectorELNS0_4arch9wavefront6targetE0EEEvSF_ ; -- Begin function _ZN7rocprim17ROCPRIM_400000_NS6detail17trampoline_kernelINS0_13kernel_configILj256ELj4ELj4294967295EEENS1_37radix_sort_block_sort_config_selectorIlNS0_10empty_typeEEEZNS1_21radix_sort_block_sortIS4_Lb0EPKlPlPS6_SC_NS0_19identity_decomposerEEE10hipError_tT1_T2_T3_T4_jRjT5_jjP12ihipStream_tbEUlT_E_NS1_11comp_targetILNS1_3genE8ELNS1_11target_archE1030ELNS1_3gpuE2ELNS1_3repE0EEENS1_44radix_sort_block_sort_config_static_selectorELNS0_4arch9wavefront6targetE0EEEvSF_
	.globl	_ZN7rocprim17ROCPRIM_400000_NS6detail17trampoline_kernelINS0_13kernel_configILj256ELj4ELj4294967295EEENS1_37radix_sort_block_sort_config_selectorIlNS0_10empty_typeEEEZNS1_21radix_sort_block_sortIS4_Lb0EPKlPlPS6_SC_NS0_19identity_decomposerEEE10hipError_tT1_T2_T3_T4_jRjT5_jjP12ihipStream_tbEUlT_E_NS1_11comp_targetILNS1_3genE8ELNS1_11target_archE1030ELNS1_3gpuE2ELNS1_3repE0EEENS1_44radix_sort_block_sort_config_static_selectorELNS0_4arch9wavefront6targetE0EEEvSF_
	.p2align	8
	.type	_ZN7rocprim17ROCPRIM_400000_NS6detail17trampoline_kernelINS0_13kernel_configILj256ELj4ELj4294967295EEENS1_37radix_sort_block_sort_config_selectorIlNS0_10empty_typeEEEZNS1_21radix_sort_block_sortIS4_Lb0EPKlPlPS6_SC_NS0_19identity_decomposerEEE10hipError_tT1_T2_T3_T4_jRjT5_jjP12ihipStream_tbEUlT_E_NS1_11comp_targetILNS1_3genE8ELNS1_11target_archE1030ELNS1_3gpuE2ELNS1_3repE0EEENS1_44radix_sort_block_sort_config_static_selectorELNS0_4arch9wavefront6targetE0EEEvSF_,@function
_ZN7rocprim17ROCPRIM_400000_NS6detail17trampoline_kernelINS0_13kernel_configILj256ELj4ELj4294967295EEENS1_37radix_sort_block_sort_config_selectorIlNS0_10empty_typeEEEZNS1_21radix_sort_block_sortIS4_Lb0EPKlPlPS6_SC_NS0_19identity_decomposerEEE10hipError_tT1_T2_T3_T4_jRjT5_jjP12ihipStream_tbEUlT_E_NS1_11comp_targetILNS1_3genE8ELNS1_11target_archE1030ELNS1_3gpuE2ELNS1_3repE0EEENS1_44radix_sort_block_sort_config_static_selectorELNS0_4arch9wavefront6targetE0EEEvSF_: ; @_ZN7rocprim17ROCPRIM_400000_NS6detail17trampoline_kernelINS0_13kernel_configILj256ELj4ELj4294967295EEENS1_37radix_sort_block_sort_config_selectorIlNS0_10empty_typeEEEZNS1_21radix_sort_block_sortIS4_Lb0EPKlPlPS6_SC_NS0_19identity_decomposerEEE10hipError_tT1_T2_T3_T4_jRjT5_jjP12ihipStream_tbEUlT_E_NS1_11comp_targetILNS1_3genE8ELNS1_11target_archE1030ELNS1_3gpuE2ELNS1_3repE0EEENS1_44radix_sort_block_sort_config_static_selectorELNS0_4arch9wavefront6targetE0EEEvSF_
; %bb.0:
	.section	.rodata,"a",@progbits
	.p2align	6, 0x0
	.amdhsa_kernel _ZN7rocprim17ROCPRIM_400000_NS6detail17trampoline_kernelINS0_13kernel_configILj256ELj4ELj4294967295EEENS1_37radix_sort_block_sort_config_selectorIlNS0_10empty_typeEEEZNS1_21radix_sort_block_sortIS4_Lb0EPKlPlPS6_SC_NS0_19identity_decomposerEEE10hipError_tT1_T2_T3_T4_jRjT5_jjP12ihipStream_tbEUlT_E_NS1_11comp_targetILNS1_3genE8ELNS1_11target_archE1030ELNS1_3gpuE2ELNS1_3repE0EEENS1_44radix_sort_block_sort_config_static_selectorELNS0_4arch9wavefront6targetE0EEEvSF_
		.amdhsa_group_segment_fixed_size 0
		.amdhsa_private_segment_fixed_size 0
		.amdhsa_kernarg_size 48
		.amdhsa_user_sgpr_count 2
		.amdhsa_user_sgpr_dispatch_ptr 0
		.amdhsa_user_sgpr_queue_ptr 0
		.amdhsa_user_sgpr_kernarg_segment_ptr 1
		.amdhsa_user_sgpr_dispatch_id 0
		.amdhsa_user_sgpr_kernarg_preload_length 0
		.amdhsa_user_sgpr_kernarg_preload_offset 0
		.amdhsa_user_sgpr_private_segment_size 0
		.amdhsa_wavefront_size32 1
		.amdhsa_uses_dynamic_stack 0
		.amdhsa_enable_private_segment 0
		.amdhsa_system_sgpr_workgroup_id_x 1
		.amdhsa_system_sgpr_workgroup_id_y 0
		.amdhsa_system_sgpr_workgroup_id_z 0
		.amdhsa_system_sgpr_workgroup_info 0
		.amdhsa_system_vgpr_workitem_id 0
		.amdhsa_next_free_vgpr 1
		.amdhsa_next_free_sgpr 1
		.amdhsa_named_barrier_count 0
		.amdhsa_reserve_vcc 0
		.amdhsa_float_round_mode_32 0
		.amdhsa_float_round_mode_16_64 0
		.amdhsa_float_denorm_mode_32 3
		.amdhsa_float_denorm_mode_16_64 3
		.amdhsa_fp16_overflow 0
		.amdhsa_memory_ordered 1
		.amdhsa_forward_progress 1
		.amdhsa_inst_pref_size 0
		.amdhsa_round_robin_scheduling 0
		.amdhsa_exception_fp_ieee_invalid_op 0
		.amdhsa_exception_fp_denorm_src 0
		.amdhsa_exception_fp_ieee_div_zero 0
		.amdhsa_exception_fp_ieee_overflow 0
		.amdhsa_exception_fp_ieee_underflow 0
		.amdhsa_exception_fp_ieee_inexact 0
		.amdhsa_exception_int_div_zero 0
	.end_amdhsa_kernel
	.section	.text._ZN7rocprim17ROCPRIM_400000_NS6detail17trampoline_kernelINS0_13kernel_configILj256ELj4ELj4294967295EEENS1_37radix_sort_block_sort_config_selectorIlNS0_10empty_typeEEEZNS1_21radix_sort_block_sortIS4_Lb0EPKlPlPS6_SC_NS0_19identity_decomposerEEE10hipError_tT1_T2_T3_T4_jRjT5_jjP12ihipStream_tbEUlT_E_NS1_11comp_targetILNS1_3genE8ELNS1_11target_archE1030ELNS1_3gpuE2ELNS1_3repE0EEENS1_44radix_sort_block_sort_config_static_selectorELNS0_4arch9wavefront6targetE0EEEvSF_,"axG",@progbits,_ZN7rocprim17ROCPRIM_400000_NS6detail17trampoline_kernelINS0_13kernel_configILj256ELj4ELj4294967295EEENS1_37radix_sort_block_sort_config_selectorIlNS0_10empty_typeEEEZNS1_21radix_sort_block_sortIS4_Lb0EPKlPlPS6_SC_NS0_19identity_decomposerEEE10hipError_tT1_T2_T3_T4_jRjT5_jjP12ihipStream_tbEUlT_E_NS1_11comp_targetILNS1_3genE8ELNS1_11target_archE1030ELNS1_3gpuE2ELNS1_3repE0EEENS1_44radix_sort_block_sort_config_static_selectorELNS0_4arch9wavefront6targetE0EEEvSF_,comdat
.Lfunc_end1140:
	.size	_ZN7rocprim17ROCPRIM_400000_NS6detail17trampoline_kernelINS0_13kernel_configILj256ELj4ELj4294967295EEENS1_37radix_sort_block_sort_config_selectorIlNS0_10empty_typeEEEZNS1_21radix_sort_block_sortIS4_Lb0EPKlPlPS6_SC_NS0_19identity_decomposerEEE10hipError_tT1_T2_T3_T4_jRjT5_jjP12ihipStream_tbEUlT_E_NS1_11comp_targetILNS1_3genE8ELNS1_11target_archE1030ELNS1_3gpuE2ELNS1_3repE0EEENS1_44radix_sort_block_sort_config_static_selectorELNS0_4arch9wavefront6targetE0EEEvSF_, .Lfunc_end1140-_ZN7rocprim17ROCPRIM_400000_NS6detail17trampoline_kernelINS0_13kernel_configILj256ELj4ELj4294967295EEENS1_37radix_sort_block_sort_config_selectorIlNS0_10empty_typeEEEZNS1_21radix_sort_block_sortIS4_Lb0EPKlPlPS6_SC_NS0_19identity_decomposerEEE10hipError_tT1_T2_T3_T4_jRjT5_jjP12ihipStream_tbEUlT_E_NS1_11comp_targetILNS1_3genE8ELNS1_11target_archE1030ELNS1_3gpuE2ELNS1_3repE0EEENS1_44radix_sort_block_sort_config_static_selectorELNS0_4arch9wavefront6targetE0EEEvSF_
                                        ; -- End function
	.set _ZN7rocprim17ROCPRIM_400000_NS6detail17trampoline_kernelINS0_13kernel_configILj256ELj4ELj4294967295EEENS1_37radix_sort_block_sort_config_selectorIlNS0_10empty_typeEEEZNS1_21radix_sort_block_sortIS4_Lb0EPKlPlPS6_SC_NS0_19identity_decomposerEEE10hipError_tT1_T2_T3_T4_jRjT5_jjP12ihipStream_tbEUlT_E_NS1_11comp_targetILNS1_3genE8ELNS1_11target_archE1030ELNS1_3gpuE2ELNS1_3repE0EEENS1_44radix_sort_block_sort_config_static_selectorELNS0_4arch9wavefront6targetE0EEEvSF_.num_vgpr, 0
	.set _ZN7rocprim17ROCPRIM_400000_NS6detail17trampoline_kernelINS0_13kernel_configILj256ELj4ELj4294967295EEENS1_37radix_sort_block_sort_config_selectorIlNS0_10empty_typeEEEZNS1_21radix_sort_block_sortIS4_Lb0EPKlPlPS6_SC_NS0_19identity_decomposerEEE10hipError_tT1_T2_T3_T4_jRjT5_jjP12ihipStream_tbEUlT_E_NS1_11comp_targetILNS1_3genE8ELNS1_11target_archE1030ELNS1_3gpuE2ELNS1_3repE0EEENS1_44radix_sort_block_sort_config_static_selectorELNS0_4arch9wavefront6targetE0EEEvSF_.num_agpr, 0
	.set _ZN7rocprim17ROCPRIM_400000_NS6detail17trampoline_kernelINS0_13kernel_configILj256ELj4ELj4294967295EEENS1_37radix_sort_block_sort_config_selectorIlNS0_10empty_typeEEEZNS1_21radix_sort_block_sortIS4_Lb0EPKlPlPS6_SC_NS0_19identity_decomposerEEE10hipError_tT1_T2_T3_T4_jRjT5_jjP12ihipStream_tbEUlT_E_NS1_11comp_targetILNS1_3genE8ELNS1_11target_archE1030ELNS1_3gpuE2ELNS1_3repE0EEENS1_44radix_sort_block_sort_config_static_selectorELNS0_4arch9wavefront6targetE0EEEvSF_.numbered_sgpr, 0
	.set _ZN7rocprim17ROCPRIM_400000_NS6detail17trampoline_kernelINS0_13kernel_configILj256ELj4ELj4294967295EEENS1_37radix_sort_block_sort_config_selectorIlNS0_10empty_typeEEEZNS1_21radix_sort_block_sortIS4_Lb0EPKlPlPS6_SC_NS0_19identity_decomposerEEE10hipError_tT1_T2_T3_T4_jRjT5_jjP12ihipStream_tbEUlT_E_NS1_11comp_targetILNS1_3genE8ELNS1_11target_archE1030ELNS1_3gpuE2ELNS1_3repE0EEENS1_44radix_sort_block_sort_config_static_selectorELNS0_4arch9wavefront6targetE0EEEvSF_.num_named_barrier, 0
	.set _ZN7rocprim17ROCPRIM_400000_NS6detail17trampoline_kernelINS0_13kernel_configILj256ELj4ELj4294967295EEENS1_37radix_sort_block_sort_config_selectorIlNS0_10empty_typeEEEZNS1_21radix_sort_block_sortIS4_Lb0EPKlPlPS6_SC_NS0_19identity_decomposerEEE10hipError_tT1_T2_T3_T4_jRjT5_jjP12ihipStream_tbEUlT_E_NS1_11comp_targetILNS1_3genE8ELNS1_11target_archE1030ELNS1_3gpuE2ELNS1_3repE0EEENS1_44radix_sort_block_sort_config_static_selectorELNS0_4arch9wavefront6targetE0EEEvSF_.private_seg_size, 0
	.set _ZN7rocprim17ROCPRIM_400000_NS6detail17trampoline_kernelINS0_13kernel_configILj256ELj4ELj4294967295EEENS1_37radix_sort_block_sort_config_selectorIlNS0_10empty_typeEEEZNS1_21radix_sort_block_sortIS4_Lb0EPKlPlPS6_SC_NS0_19identity_decomposerEEE10hipError_tT1_T2_T3_T4_jRjT5_jjP12ihipStream_tbEUlT_E_NS1_11comp_targetILNS1_3genE8ELNS1_11target_archE1030ELNS1_3gpuE2ELNS1_3repE0EEENS1_44radix_sort_block_sort_config_static_selectorELNS0_4arch9wavefront6targetE0EEEvSF_.uses_vcc, 0
	.set _ZN7rocprim17ROCPRIM_400000_NS6detail17trampoline_kernelINS0_13kernel_configILj256ELj4ELj4294967295EEENS1_37radix_sort_block_sort_config_selectorIlNS0_10empty_typeEEEZNS1_21radix_sort_block_sortIS4_Lb0EPKlPlPS6_SC_NS0_19identity_decomposerEEE10hipError_tT1_T2_T3_T4_jRjT5_jjP12ihipStream_tbEUlT_E_NS1_11comp_targetILNS1_3genE8ELNS1_11target_archE1030ELNS1_3gpuE2ELNS1_3repE0EEENS1_44radix_sort_block_sort_config_static_selectorELNS0_4arch9wavefront6targetE0EEEvSF_.uses_flat_scratch, 0
	.set _ZN7rocprim17ROCPRIM_400000_NS6detail17trampoline_kernelINS0_13kernel_configILj256ELj4ELj4294967295EEENS1_37radix_sort_block_sort_config_selectorIlNS0_10empty_typeEEEZNS1_21radix_sort_block_sortIS4_Lb0EPKlPlPS6_SC_NS0_19identity_decomposerEEE10hipError_tT1_T2_T3_T4_jRjT5_jjP12ihipStream_tbEUlT_E_NS1_11comp_targetILNS1_3genE8ELNS1_11target_archE1030ELNS1_3gpuE2ELNS1_3repE0EEENS1_44radix_sort_block_sort_config_static_selectorELNS0_4arch9wavefront6targetE0EEEvSF_.has_dyn_sized_stack, 0
	.set _ZN7rocprim17ROCPRIM_400000_NS6detail17trampoline_kernelINS0_13kernel_configILj256ELj4ELj4294967295EEENS1_37radix_sort_block_sort_config_selectorIlNS0_10empty_typeEEEZNS1_21radix_sort_block_sortIS4_Lb0EPKlPlPS6_SC_NS0_19identity_decomposerEEE10hipError_tT1_T2_T3_T4_jRjT5_jjP12ihipStream_tbEUlT_E_NS1_11comp_targetILNS1_3genE8ELNS1_11target_archE1030ELNS1_3gpuE2ELNS1_3repE0EEENS1_44radix_sort_block_sort_config_static_selectorELNS0_4arch9wavefront6targetE0EEEvSF_.has_recursion, 0
	.set _ZN7rocprim17ROCPRIM_400000_NS6detail17trampoline_kernelINS0_13kernel_configILj256ELj4ELj4294967295EEENS1_37radix_sort_block_sort_config_selectorIlNS0_10empty_typeEEEZNS1_21radix_sort_block_sortIS4_Lb0EPKlPlPS6_SC_NS0_19identity_decomposerEEE10hipError_tT1_T2_T3_T4_jRjT5_jjP12ihipStream_tbEUlT_E_NS1_11comp_targetILNS1_3genE8ELNS1_11target_archE1030ELNS1_3gpuE2ELNS1_3repE0EEENS1_44radix_sort_block_sort_config_static_selectorELNS0_4arch9wavefront6targetE0EEEvSF_.has_indirect_call, 0
	.section	.AMDGPU.csdata,"",@progbits
; Kernel info:
; codeLenInByte = 0
; TotalNumSgprs: 0
; NumVgprs: 0
; ScratchSize: 0
; MemoryBound: 0
; FloatMode: 240
; IeeeMode: 1
; LDSByteSize: 0 bytes/workgroup (compile time only)
; SGPRBlocks: 0
; VGPRBlocks: 0
; NumSGPRsForWavesPerEU: 1
; NumVGPRsForWavesPerEU: 1
; NamedBarCnt: 0
; Occupancy: 16
; WaveLimiterHint : 0
; COMPUTE_PGM_RSRC2:SCRATCH_EN: 0
; COMPUTE_PGM_RSRC2:USER_SGPR: 2
; COMPUTE_PGM_RSRC2:TRAP_HANDLER: 0
; COMPUTE_PGM_RSRC2:TGID_X_EN: 1
; COMPUTE_PGM_RSRC2:TGID_Y_EN: 0
; COMPUTE_PGM_RSRC2:TGID_Z_EN: 0
; COMPUTE_PGM_RSRC2:TIDIG_COMP_CNT: 0
	.section	.text._ZN7rocprim17ROCPRIM_400000_NS6detail17trampoline_kernelINS0_14default_configENS1_38merge_sort_block_merge_config_selectorIlNS0_10empty_typeEEEZZNS1_27merge_sort_block_merge_implIS3_PlPS5_jNS1_19radix_merge_compareILb0ELb0ElNS0_19identity_decomposerEEEEE10hipError_tT0_T1_T2_jT3_P12ihipStream_tbPNSt15iterator_traitsISE_E10value_typeEPNSK_ISF_E10value_typeEPSG_NS1_7vsmem_tEENKUlT_SE_SF_SG_E_clIS8_S8_S9_S9_EESD_ST_SE_SF_SG_EUlST_E_NS1_11comp_targetILNS1_3genE0ELNS1_11target_archE4294967295ELNS1_3gpuE0ELNS1_3repE0EEENS1_48merge_mergepath_partition_config_static_selectorELNS0_4arch9wavefront6targetE0EEEvSF_,"axG",@progbits,_ZN7rocprim17ROCPRIM_400000_NS6detail17trampoline_kernelINS0_14default_configENS1_38merge_sort_block_merge_config_selectorIlNS0_10empty_typeEEEZZNS1_27merge_sort_block_merge_implIS3_PlPS5_jNS1_19radix_merge_compareILb0ELb0ElNS0_19identity_decomposerEEEEE10hipError_tT0_T1_T2_jT3_P12ihipStream_tbPNSt15iterator_traitsISE_E10value_typeEPNSK_ISF_E10value_typeEPSG_NS1_7vsmem_tEENKUlT_SE_SF_SG_E_clIS8_S8_S9_S9_EESD_ST_SE_SF_SG_EUlST_E_NS1_11comp_targetILNS1_3genE0ELNS1_11target_archE4294967295ELNS1_3gpuE0ELNS1_3repE0EEENS1_48merge_mergepath_partition_config_static_selectorELNS0_4arch9wavefront6targetE0EEEvSF_,comdat
	.protected	_ZN7rocprim17ROCPRIM_400000_NS6detail17trampoline_kernelINS0_14default_configENS1_38merge_sort_block_merge_config_selectorIlNS0_10empty_typeEEEZZNS1_27merge_sort_block_merge_implIS3_PlPS5_jNS1_19radix_merge_compareILb0ELb0ElNS0_19identity_decomposerEEEEE10hipError_tT0_T1_T2_jT3_P12ihipStream_tbPNSt15iterator_traitsISE_E10value_typeEPNSK_ISF_E10value_typeEPSG_NS1_7vsmem_tEENKUlT_SE_SF_SG_E_clIS8_S8_S9_S9_EESD_ST_SE_SF_SG_EUlST_E_NS1_11comp_targetILNS1_3genE0ELNS1_11target_archE4294967295ELNS1_3gpuE0ELNS1_3repE0EEENS1_48merge_mergepath_partition_config_static_selectorELNS0_4arch9wavefront6targetE0EEEvSF_ ; -- Begin function _ZN7rocprim17ROCPRIM_400000_NS6detail17trampoline_kernelINS0_14default_configENS1_38merge_sort_block_merge_config_selectorIlNS0_10empty_typeEEEZZNS1_27merge_sort_block_merge_implIS3_PlPS5_jNS1_19radix_merge_compareILb0ELb0ElNS0_19identity_decomposerEEEEE10hipError_tT0_T1_T2_jT3_P12ihipStream_tbPNSt15iterator_traitsISE_E10value_typeEPNSK_ISF_E10value_typeEPSG_NS1_7vsmem_tEENKUlT_SE_SF_SG_E_clIS8_S8_S9_S9_EESD_ST_SE_SF_SG_EUlST_E_NS1_11comp_targetILNS1_3genE0ELNS1_11target_archE4294967295ELNS1_3gpuE0ELNS1_3repE0EEENS1_48merge_mergepath_partition_config_static_selectorELNS0_4arch9wavefront6targetE0EEEvSF_
	.globl	_ZN7rocprim17ROCPRIM_400000_NS6detail17trampoline_kernelINS0_14default_configENS1_38merge_sort_block_merge_config_selectorIlNS0_10empty_typeEEEZZNS1_27merge_sort_block_merge_implIS3_PlPS5_jNS1_19radix_merge_compareILb0ELb0ElNS0_19identity_decomposerEEEEE10hipError_tT0_T1_T2_jT3_P12ihipStream_tbPNSt15iterator_traitsISE_E10value_typeEPNSK_ISF_E10value_typeEPSG_NS1_7vsmem_tEENKUlT_SE_SF_SG_E_clIS8_S8_S9_S9_EESD_ST_SE_SF_SG_EUlST_E_NS1_11comp_targetILNS1_3genE0ELNS1_11target_archE4294967295ELNS1_3gpuE0ELNS1_3repE0EEENS1_48merge_mergepath_partition_config_static_selectorELNS0_4arch9wavefront6targetE0EEEvSF_
	.p2align	8
	.type	_ZN7rocprim17ROCPRIM_400000_NS6detail17trampoline_kernelINS0_14default_configENS1_38merge_sort_block_merge_config_selectorIlNS0_10empty_typeEEEZZNS1_27merge_sort_block_merge_implIS3_PlPS5_jNS1_19radix_merge_compareILb0ELb0ElNS0_19identity_decomposerEEEEE10hipError_tT0_T1_T2_jT3_P12ihipStream_tbPNSt15iterator_traitsISE_E10value_typeEPNSK_ISF_E10value_typeEPSG_NS1_7vsmem_tEENKUlT_SE_SF_SG_E_clIS8_S8_S9_S9_EESD_ST_SE_SF_SG_EUlST_E_NS1_11comp_targetILNS1_3genE0ELNS1_11target_archE4294967295ELNS1_3gpuE0ELNS1_3repE0EEENS1_48merge_mergepath_partition_config_static_selectorELNS0_4arch9wavefront6targetE0EEEvSF_,@function
_ZN7rocprim17ROCPRIM_400000_NS6detail17trampoline_kernelINS0_14default_configENS1_38merge_sort_block_merge_config_selectorIlNS0_10empty_typeEEEZZNS1_27merge_sort_block_merge_implIS3_PlPS5_jNS1_19radix_merge_compareILb0ELb0ElNS0_19identity_decomposerEEEEE10hipError_tT0_T1_T2_jT3_P12ihipStream_tbPNSt15iterator_traitsISE_E10value_typeEPNSK_ISF_E10value_typeEPSG_NS1_7vsmem_tEENKUlT_SE_SF_SG_E_clIS8_S8_S9_S9_EESD_ST_SE_SF_SG_EUlST_E_NS1_11comp_targetILNS1_3genE0ELNS1_11target_archE4294967295ELNS1_3gpuE0ELNS1_3repE0EEENS1_48merge_mergepath_partition_config_static_selectorELNS0_4arch9wavefront6targetE0EEEvSF_: ; @_ZN7rocprim17ROCPRIM_400000_NS6detail17trampoline_kernelINS0_14default_configENS1_38merge_sort_block_merge_config_selectorIlNS0_10empty_typeEEEZZNS1_27merge_sort_block_merge_implIS3_PlPS5_jNS1_19radix_merge_compareILb0ELb0ElNS0_19identity_decomposerEEEEE10hipError_tT0_T1_T2_jT3_P12ihipStream_tbPNSt15iterator_traitsISE_E10value_typeEPNSK_ISF_E10value_typeEPSG_NS1_7vsmem_tEENKUlT_SE_SF_SG_E_clIS8_S8_S9_S9_EESD_ST_SE_SF_SG_EUlST_E_NS1_11comp_targetILNS1_3genE0ELNS1_11target_archE4294967295ELNS1_3gpuE0ELNS1_3repE0EEENS1_48merge_mergepath_partition_config_static_selectorELNS0_4arch9wavefront6targetE0EEEvSF_
; %bb.0:
	s_load_b32 s2, s[0:1], 0x0
	s_bfe_u32 s3, ttmp6, 0x4000c
	s_and_b32 s4, ttmp6, 15
	s_add_co_i32 s3, s3, 1
	s_getreg_b32 s5, hwreg(HW_REG_IB_STS2, 6, 4)
	s_mul_i32 s3, ttmp9, s3
	s_delay_alu instid0(SALU_CYCLE_1) | instskip(SKIP_2) | instid1(SALU_CYCLE_1)
	s_add_co_i32 s4, s4, s3
	s_cmp_eq_u32 s5, 0
	s_cselect_b32 s3, ttmp9, s4
	v_lshl_or_b32 v8, s3, 7, v0
	s_wait_kmcnt 0x0
	s_delay_alu instid0(VALU_DEP_1)
	v_cmp_gt_u32_e32 vcc_lo, s2, v8
	s_and_saveexec_b32 s2, vcc_lo
	s_cbranch_execz .LBB1141_6
; %bb.1:
	s_load_b64 s[2:3], s[0:1], 0x4
	s_wait_kmcnt 0x0
	s_lshr_b32 s4, s2, 9
	s_delay_alu instid0(SALU_CYCLE_1) | instskip(NEXT) | instid1(SALU_CYCLE_1)
	s_and_b32 s4, s4, 0x7ffffe
	s_sub_co_i32 s5, 0, s4
	s_add_co_i32 s4, s4, -1
	s_delay_alu instid0(SALU_CYCLE_1) | instskip(SKIP_2) | instid1(VALU_DEP_1)
	v_and_b32_e32 v1, s4, v8
	v_and_b32_e32 v0, s5, v8
	s_mov_b32 s4, exec_lo
	v_dual_lshlrev_b32 v1, 10, v1 :: v_dual_lshlrev_b32 v0, 10, v0
	s_delay_alu instid0(VALU_DEP_1) | instskip(SKIP_1) | instid1(VALU_DEP_2)
	v_add_min_u32_e64 v2, v0, s2, s3
	v_min_u32_e32 v0, s3, v0
	v_add_min_u32_e64 v3, v2, s2, s3
	s_load_b64 s[2:3], s[0:1], 0x20
	s_delay_alu instid0(VALU_DEP_1) | instskip(NEXT) | instid1(VALU_DEP_1)
	v_dual_sub_nc_u32 v4, v3, v0 :: v_dual_sub_nc_u32 v3, v3, v2
	v_min_u32_e32 v10, v4, v1
	v_sub_nc_u32_e32 v1, v2, v0
	s_delay_alu instid0(VALU_DEP_2) | instskip(NEXT) | instid1(VALU_DEP_2)
	v_sub_nc_u32_e64 v9, v10, v3 clamp
	v_min_u32_e32 v11, v10, v1
	s_delay_alu instid0(VALU_DEP_1)
	v_cmpx_lt_u32_e64 v9, v11
	s_cbranch_execz .LBB1141_5
; %bb.2:
	s_wait_xcnt 0x0
	s_load_b64 s[0:1], s[0:1], 0x10
	v_mov_b32_e32 v3, 0
	s_delay_alu instid0(VALU_DEP_1) | instskip(SKIP_1) | instid1(VALU_DEP_1)
	v_mov_b32_e32 v1, v3
	s_wait_kmcnt 0x0
	v_lshl_add_u64 v[4:5], v[0:1], 3, s[0:1]
	v_lshl_add_u64 v[6:7], v[2:3], 3, s[0:1]
	s_mov_b32 s0, 0
.LBB1141_3:                             ; =>This Inner Loop Header: Depth=1
	v_add_nc_u32_e32 v1, v11, v9
	s_delay_alu instid0(VALU_DEP_1) | instskip(NEXT) | instid1(VALU_DEP_1)
	v_dual_mov_b32 v13, v3 :: v_dual_lshrrev_b32 v2, 1, v1
	v_xad_u32 v12, v2, -1, v10
	v_lshl_add_u64 v[14:15], v[2:3], 3, v[4:5]
	v_add_nc_u32_e32 v1, 1, v2
	s_delay_alu instid0(VALU_DEP_3)
	v_lshl_add_u64 v[12:13], v[12:13], 3, v[6:7]
	s_clause 0x1
	global_load_b64 v[16:17], v[14:15], off
	global_load_b64 v[18:19], v[12:13], off
	s_wait_loadcnt 0x0
	v_cmp_gt_i64_e32 vcc_lo, v[16:17], v[18:19]
	v_dual_cndmask_b32 v11, v11, v2, vcc_lo :: v_dual_cndmask_b32 v9, v1, v9, vcc_lo
	s_delay_alu instid0(VALU_DEP_1) | instskip(SKIP_1) | instid1(SALU_CYCLE_1)
	v_cmp_ge_u32_e32 vcc_lo, v9, v11
	s_or_b32 s0, vcc_lo, s0
	s_and_not1_b32 exec_lo, exec_lo, s0
	s_cbranch_execnz .LBB1141_3
; %bb.4:
	s_or_b32 exec_lo, exec_lo, s0
.LBB1141_5:
	s_delay_alu instid0(SALU_CYCLE_1)
	s_or_b32 exec_lo, exec_lo, s4
	v_add_nc_u32_e32 v0, v9, v0
	s_wait_kmcnt 0x0
	global_store_b32 v8, v0, s[2:3] scale_offset
.LBB1141_6:
	s_endpgm
	.section	.rodata,"a",@progbits
	.p2align	6, 0x0
	.amdhsa_kernel _ZN7rocprim17ROCPRIM_400000_NS6detail17trampoline_kernelINS0_14default_configENS1_38merge_sort_block_merge_config_selectorIlNS0_10empty_typeEEEZZNS1_27merge_sort_block_merge_implIS3_PlPS5_jNS1_19radix_merge_compareILb0ELb0ElNS0_19identity_decomposerEEEEE10hipError_tT0_T1_T2_jT3_P12ihipStream_tbPNSt15iterator_traitsISE_E10value_typeEPNSK_ISF_E10value_typeEPSG_NS1_7vsmem_tEENKUlT_SE_SF_SG_E_clIS8_S8_S9_S9_EESD_ST_SE_SF_SG_EUlST_E_NS1_11comp_targetILNS1_3genE0ELNS1_11target_archE4294967295ELNS1_3gpuE0ELNS1_3repE0EEENS1_48merge_mergepath_partition_config_static_selectorELNS0_4arch9wavefront6targetE0EEEvSF_
		.amdhsa_group_segment_fixed_size 0
		.amdhsa_private_segment_fixed_size 0
		.amdhsa_kernarg_size 40
		.amdhsa_user_sgpr_count 2
		.amdhsa_user_sgpr_dispatch_ptr 0
		.amdhsa_user_sgpr_queue_ptr 0
		.amdhsa_user_sgpr_kernarg_segment_ptr 1
		.amdhsa_user_sgpr_dispatch_id 0
		.amdhsa_user_sgpr_kernarg_preload_length 0
		.amdhsa_user_sgpr_kernarg_preload_offset 0
		.amdhsa_user_sgpr_private_segment_size 0
		.amdhsa_wavefront_size32 1
		.amdhsa_uses_dynamic_stack 0
		.amdhsa_enable_private_segment 0
		.amdhsa_system_sgpr_workgroup_id_x 1
		.amdhsa_system_sgpr_workgroup_id_y 0
		.amdhsa_system_sgpr_workgroup_id_z 0
		.amdhsa_system_sgpr_workgroup_info 0
		.amdhsa_system_vgpr_workitem_id 0
		.amdhsa_next_free_vgpr 20
		.amdhsa_next_free_sgpr 6
		.amdhsa_named_barrier_count 0
		.amdhsa_reserve_vcc 1
		.amdhsa_float_round_mode_32 0
		.amdhsa_float_round_mode_16_64 0
		.amdhsa_float_denorm_mode_32 3
		.amdhsa_float_denorm_mode_16_64 3
		.amdhsa_fp16_overflow 0
		.amdhsa_memory_ordered 1
		.amdhsa_forward_progress 1
		.amdhsa_inst_pref_size 4
		.amdhsa_round_robin_scheduling 0
		.amdhsa_exception_fp_ieee_invalid_op 0
		.amdhsa_exception_fp_denorm_src 0
		.amdhsa_exception_fp_ieee_div_zero 0
		.amdhsa_exception_fp_ieee_overflow 0
		.amdhsa_exception_fp_ieee_underflow 0
		.amdhsa_exception_fp_ieee_inexact 0
		.amdhsa_exception_int_div_zero 0
	.end_amdhsa_kernel
	.section	.text._ZN7rocprim17ROCPRIM_400000_NS6detail17trampoline_kernelINS0_14default_configENS1_38merge_sort_block_merge_config_selectorIlNS0_10empty_typeEEEZZNS1_27merge_sort_block_merge_implIS3_PlPS5_jNS1_19radix_merge_compareILb0ELb0ElNS0_19identity_decomposerEEEEE10hipError_tT0_T1_T2_jT3_P12ihipStream_tbPNSt15iterator_traitsISE_E10value_typeEPNSK_ISF_E10value_typeEPSG_NS1_7vsmem_tEENKUlT_SE_SF_SG_E_clIS8_S8_S9_S9_EESD_ST_SE_SF_SG_EUlST_E_NS1_11comp_targetILNS1_3genE0ELNS1_11target_archE4294967295ELNS1_3gpuE0ELNS1_3repE0EEENS1_48merge_mergepath_partition_config_static_selectorELNS0_4arch9wavefront6targetE0EEEvSF_,"axG",@progbits,_ZN7rocprim17ROCPRIM_400000_NS6detail17trampoline_kernelINS0_14default_configENS1_38merge_sort_block_merge_config_selectorIlNS0_10empty_typeEEEZZNS1_27merge_sort_block_merge_implIS3_PlPS5_jNS1_19radix_merge_compareILb0ELb0ElNS0_19identity_decomposerEEEEE10hipError_tT0_T1_T2_jT3_P12ihipStream_tbPNSt15iterator_traitsISE_E10value_typeEPNSK_ISF_E10value_typeEPSG_NS1_7vsmem_tEENKUlT_SE_SF_SG_E_clIS8_S8_S9_S9_EESD_ST_SE_SF_SG_EUlST_E_NS1_11comp_targetILNS1_3genE0ELNS1_11target_archE4294967295ELNS1_3gpuE0ELNS1_3repE0EEENS1_48merge_mergepath_partition_config_static_selectorELNS0_4arch9wavefront6targetE0EEEvSF_,comdat
.Lfunc_end1141:
	.size	_ZN7rocprim17ROCPRIM_400000_NS6detail17trampoline_kernelINS0_14default_configENS1_38merge_sort_block_merge_config_selectorIlNS0_10empty_typeEEEZZNS1_27merge_sort_block_merge_implIS3_PlPS5_jNS1_19radix_merge_compareILb0ELb0ElNS0_19identity_decomposerEEEEE10hipError_tT0_T1_T2_jT3_P12ihipStream_tbPNSt15iterator_traitsISE_E10value_typeEPNSK_ISF_E10value_typeEPSG_NS1_7vsmem_tEENKUlT_SE_SF_SG_E_clIS8_S8_S9_S9_EESD_ST_SE_SF_SG_EUlST_E_NS1_11comp_targetILNS1_3genE0ELNS1_11target_archE4294967295ELNS1_3gpuE0ELNS1_3repE0EEENS1_48merge_mergepath_partition_config_static_selectorELNS0_4arch9wavefront6targetE0EEEvSF_, .Lfunc_end1141-_ZN7rocprim17ROCPRIM_400000_NS6detail17trampoline_kernelINS0_14default_configENS1_38merge_sort_block_merge_config_selectorIlNS0_10empty_typeEEEZZNS1_27merge_sort_block_merge_implIS3_PlPS5_jNS1_19radix_merge_compareILb0ELb0ElNS0_19identity_decomposerEEEEE10hipError_tT0_T1_T2_jT3_P12ihipStream_tbPNSt15iterator_traitsISE_E10value_typeEPNSK_ISF_E10value_typeEPSG_NS1_7vsmem_tEENKUlT_SE_SF_SG_E_clIS8_S8_S9_S9_EESD_ST_SE_SF_SG_EUlST_E_NS1_11comp_targetILNS1_3genE0ELNS1_11target_archE4294967295ELNS1_3gpuE0ELNS1_3repE0EEENS1_48merge_mergepath_partition_config_static_selectorELNS0_4arch9wavefront6targetE0EEEvSF_
                                        ; -- End function
	.set _ZN7rocprim17ROCPRIM_400000_NS6detail17trampoline_kernelINS0_14default_configENS1_38merge_sort_block_merge_config_selectorIlNS0_10empty_typeEEEZZNS1_27merge_sort_block_merge_implIS3_PlPS5_jNS1_19radix_merge_compareILb0ELb0ElNS0_19identity_decomposerEEEEE10hipError_tT0_T1_T2_jT3_P12ihipStream_tbPNSt15iterator_traitsISE_E10value_typeEPNSK_ISF_E10value_typeEPSG_NS1_7vsmem_tEENKUlT_SE_SF_SG_E_clIS8_S8_S9_S9_EESD_ST_SE_SF_SG_EUlST_E_NS1_11comp_targetILNS1_3genE0ELNS1_11target_archE4294967295ELNS1_3gpuE0ELNS1_3repE0EEENS1_48merge_mergepath_partition_config_static_selectorELNS0_4arch9wavefront6targetE0EEEvSF_.num_vgpr, 20
	.set _ZN7rocprim17ROCPRIM_400000_NS6detail17trampoline_kernelINS0_14default_configENS1_38merge_sort_block_merge_config_selectorIlNS0_10empty_typeEEEZZNS1_27merge_sort_block_merge_implIS3_PlPS5_jNS1_19radix_merge_compareILb0ELb0ElNS0_19identity_decomposerEEEEE10hipError_tT0_T1_T2_jT3_P12ihipStream_tbPNSt15iterator_traitsISE_E10value_typeEPNSK_ISF_E10value_typeEPSG_NS1_7vsmem_tEENKUlT_SE_SF_SG_E_clIS8_S8_S9_S9_EESD_ST_SE_SF_SG_EUlST_E_NS1_11comp_targetILNS1_3genE0ELNS1_11target_archE4294967295ELNS1_3gpuE0ELNS1_3repE0EEENS1_48merge_mergepath_partition_config_static_selectorELNS0_4arch9wavefront6targetE0EEEvSF_.num_agpr, 0
	.set _ZN7rocprim17ROCPRIM_400000_NS6detail17trampoline_kernelINS0_14default_configENS1_38merge_sort_block_merge_config_selectorIlNS0_10empty_typeEEEZZNS1_27merge_sort_block_merge_implIS3_PlPS5_jNS1_19radix_merge_compareILb0ELb0ElNS0_19identity_decomposerEEEEE10hipError_tT0_T1_T2_jT3_P12ihipStream_tbPNSt15iterator_traitsISE_E10value_typeEPNSK_ISF_E10value_typeEPSG_NS1_7vsmem_tEENKUlT_SE_SF_SG_E_clIS8_S8_S9_S9_EESD_ST_SE_SF_SG_EUlST_E_NS1_11comp_targetILNS1_3genE0ELNS1_11target_archE4294967295ELNS1_3gpuE0ELNS1_3repE0EEENS1_48merge_mergepath_partition_config_static_selectorELNS0_4arch9wavefront6targetE0EEEvSF_.numbered_sgpr, 6
	.set _ZN7rocprim17ROCPRIM_400000_NS6detail17trampoline_kernelINS0_14default_configENS1_38merge_sort_block_merge_config_selectorIlNS0_10empty_typeEEEZZNS1_27merge_sort_block_merge_implIS3_PlPS5_jNS1_19radix_merge_compareILb0ELb0ElNS0_19identity_decomposerEEEEE10hipError_tT0_T1_T2_jT3_P12ihipStream_tbPNSt15iterator_traitsISE_E10value_typeEPNSK_ISF_E10value_typeEPSG_NS1_7vsmem_tEENKUlT_SE_SF_SG_E_clIS8_S8_S9_S9_EESD_ST_SE_SF_SG_EUlST_E_NS1_11comp_targetILNS1_3genE0ELNS1_11target_archE4294967295ELNS1_3gpuE0ELNS1_3repE0EEENS1_48merge_mergepath_partition_config_static_selectorELNS0_4arch9wavefront6targetE0EEEvSF_.num_named_barrier, 0
	.set _ZN7rocprim17ROCPRIM_400000_NS6detail17trampoline_kernelINS0_14default_configENS1_38merge_sort_block_merge_config_selectorIlNS0_10empty_typeEEEZZNS1_27merge_sort_block_merge_implIS3_PlPS5_jNS1_19radix_merge_compareILb0ELb0ElNS0_19identity_decomposerEEEEE10hipError_tT0_T1_T2_jT3_P12ihipStream_tbPNSt15iterator_traitsISE_E10value_typeEPNSK_ISF_E10value_typeEPSG_NS1_7vsmem_tEENKUlT_SE_SF_SG_E_clIS8_S8_S9_S9_EESD_ST_SE_SF_SG_EUlST_E_NS1_11comp_targetILNS1_3genE0ELNS1_11target_archE4294967295ELNS1_3gpuE0ELNS1_3repE0EEENS1_48merge_mergepath_partition_config_static_selectorELNS0_4arch9wavefront6targetE0EEEvSF_.private_seg_size, 0
	.set _ZN7rocprim17ROCPRIM_400000_NS6detail17trampoline_kernelINS0_14default_configENS1_38merge_sort_block_merge_config_selectorIlNS0_10empty_typeEEEZZNS1_27merge_sort_block_merge_implIS3_PlPS5_jNS1_19radix_merge_compareILb0ELb0ElNS0_19identity_decomposerEEEEE10hipError_tT0_T1_T2_jT3_P12ihipStream_tbPNSt15iterator_traitsISE_E10value_typeEPNSK_ISF_E10value_typeEPSG_NS1_7vsmem_tEENKUlT_SE_SF_SG_E_clIS8_S8_S9_S9_EESD_ST_SE_SF_SG_EUlST_E_NS1_11comp_targetILNS1_3genE0ELNS1_11target_archE4294967295ELNS1_3gpuE0ELNS1_3repE0EEENS1_48merge_mergepath_partition_config_static_selectorELNS0_4arch9wavefront6targetE0EEEvSF_.uses_vcc, 1
	.set _ZN7rocprim17ROCPRIM_400000_NS6detail17trampoline_kernelINS0_14default_configENS1_38merge_sort_block_merge_config_selectorIlNS0_10empty_typeEEEZZNS1_27merge_sort_block_merge_implIS3_PlPS5_jNS1_19radix_merge_compareILb0ELb0ElNS0_19identity_decomposerEEEEE10hipError_tT0_T1_T2_jT3_P12ihipStream_tbPNSt15iterator_traitsISE_E10value_typeEPNSK_ISF_E10value_typeEPSG_NS1_7vsmem_tEENKUlT_SE_SF_SG_E_clIS8_S8_S9_S9_EESD_ST_SE_SF_SG_EUlST_E_NS1_11comp_targetILNS1_3genE0ELNS1_11target_archE4294967295ELNS1_3gpuE0ELNS1_3repE0EEENS1_48merge_mergepath_partition_config_static_selectorELNS0_4arch9wavefront6targetE0EEEvSF_.uses_flat_scratch, 0
	.set _ZN7rocprim17ROCPRIM_400000_NS6detail17trampoline_kernelINS0_14default_configENS1_38merge_sort_block_merge_config_selectorIlNS0_10empty_typeEEEZZNS1_27merge_sort_block_merge_implIS3_PlPS5_jNS1_19radix_merge_compareILb0ELb0ElNS0_19identity_decomposerEEEEE10hipError_tT0_T1_T2_jT3_P12ihipStream_tbPNSt15iterator_traitsISE_E10value_typeEPNSK_ISF_E10value_typeEPSG_NS1_7vsmem_tEENKUlT_SE_SF_SG_E_clIS8_S8_S9_S9_EESD_ST_SE_SF_SG_EUlST_E_NS1_11comp_targetILNS1_3genE0ELNS1_11target_archE4294967295ELNS1_3gpuE0ELNS1_3repE0EEENS1_48merge_mergepath_partition_config_static_selectorELNS0_4arch9wavefront6targetE0EEEvSF_.has_dyn_sized_stack, 0
	.set _ZN7rocprim17ROCPRIM_400000_NS6detail17trampoline_kernelINS0_14default_configENS1_38merge_sort_block_merge_config_selectorIlNS0_10empty_typeEEEZZNS1_27merge_sort_block_merge_implIS3_PlPS5_jNS1_19radix_merge_compareILb0ELb0ElNS0_19identity_decomposerEEEEE10hipError_tT0_T1_T2_jT3_P12ihipStream_tbPNSt15iterator_traitsISE_E10value_typeEPNSK_ISF_E10value_typeEPSG_NS1_7vsmem_tEENKUlT_SE_SF_SG_E_clIS8_S8_S9_S9_EESD_ST_SE_SF_SG_EUlST_E_NS1_11comp_targetILNS1_3genE0ELNS1_11target_archE4294967295ELNS1_3gpuE0ELNS1_3repE0EEENS1_48merge_mergepath_partition_config_static_selectorELNS0_4arch9wavefront6targetE0EEEvSF_.has_recursion, 0
	.set _ZN7rocprim17ROCPRIM_400000_NS6detail17trampoline_kernelINS0_14default_configENS1_38merge_sort_block_merge_config_selectorIlNS0_10empty_typeEEEZZNS1_27merge_sort_block_merge_implIS3_PlPS5_jNS1_19radix_merge_compareILb0ELb0ElNS0_19identity_decomposerEEEEE10hipError_tT0_T1_T2_jT3_P12ihipStream_tbPNSt15iterator_traitsISE_E10value_typeEPNSK_ISF_E10value_typeEPSG_NS1_7vsmem_tEENKUlT_SE_SF_SG_E_clIS8_S8_S9_S9_EESD_ST_SE_SF_SG_EUlST_E_NS1_11comp_targetILNS1_3genE0ELNS1_11target_archE4294967295ELNS1_3gpuE0ELNS1_3repE0EEENS1_48merge_mergepath_partition_config_static_selectorELNS0_4arch9wavefront6targetE0EEEvSF_.has_indirect_call, 0
	.section	.AMDGPU.csdata,"",@progbits
; Kernel info:
; codeLenInByte = 428
; TotalNumSgprs: 8
; NumVgprs: 20
; ScratchSize: 0
; MemoryBound: 0
; FloatMode: 240
; IeeeMode: 1
; LDSByteSize: 0 bytes/workgroup (compile time only)
; SGPRBlocks: 0
; VGPRBlocks: 1
; NumSGPRsForWavesPerEU: 8
; NumVGPRsForWavesPerEU: 20
; NamedBarCnt: 0
; Occupancy: 16
; WaveLimiterHint : 0
; COMPUTE_PGM_RSRC2:SCRATCH_EN: 0
; COMPUTE_PGM_RSRC2:USER_SGPR: 2
; COMPUTE_PGM_RSRC2:TRAP_HANDLER: 0
; COMPUTE_PGM_RSRC2:TGID_X_EN: 1
; COMPUTE_PGM_RSRC2:TGID_Y_EN: 0
; COMPUTE_PGM_RSRC2:TGID_Z_EN: 0
; COMPUTE_PGM_RSRC2:TIDIG_COMP_CNT: 0
	.section	.text._ZN7rocprim17ROCPRIM_400000_NS6detail17trampoline_kernelINS0_14default_configENS1_38merge_sort_block_merge_config_selectorIlNS0_10empty_typeEEEZZNS1_27merge_sort_block_merge_implIS3_PlPS5_jNS1_19radix_merge_compareILb0ELb0ElNS0_19identity_decomposerEEEEE10hipError_tT0_T1_T2_jT3_P12ihipStream_tbPNSt15iterator_traitsISE_E10value_typeEPNSK_ISF_E10value_typeEPSG_NS1_7vsmem_tEENKUlT_SE_SF_SG_E_clIS8_S8_S9_S9_EESD_ST_SE_SF_SG_EUlST_E_NS1_11comp_targetILNS1_3genE10ELNS1_11target_archE1201ELNS1_3gpuE5ELNS1_3repE0EEENS1_48merge_mergepath_partition_config_static_selectorELNS0_4arch9wavefront6targetE0EEEvSF_,"axG",@progbits,_ZN7rocprim17ROCPRIM_400000_NS6detail17trampoline_kernelINS0_14default_configENS1_38merge_sort_block_merge_config_selectorIlNS0_10empty_typeEEEZZNS1_27merge_sort_block_merge_implIS3_PlPS5_jNS1_19radix_merge_compareILb0ELb0ElNS0_19identity_decomposerEEEEE10hipError_tT0_T1_T2_jT3_P12ihipStream_tbPNSt15iterator_traitsISE_E10value_typeEPNSK_ISF_E10value_typeEPSG_NS1_7vsmem_tEENKUlT_SE_SF_SG_E_clIS8_S8_S9_S9_EESD_ST_SE_SF_SG_EUlST_E_NS1_11comp_targetILNS1_3genE10ELNS1_11target_archE1201ELNS1_3gpuE5ELNS1_3repE0EEENS1_48merge_mergepath_partition_config_static_selectorELNS0_4arch9wavefront6targetE0EEEvSF_,comdat
	.protected	_ZN7rocprim17ROCPRIM_400000_NS6detail17trampoline_kernelINS0_14default_configENS1_38merge_sort_block_merge_config_selectorIlNS0_10empty_typeEEEZZNS1_27merge_sort_block_merge_implIS3_PlPS5_jNS1_19radix_merge_compareILb0ELb0ElNS0_19identity_decomposerEEEEE10hipError_tT0_T1_T2_jT3_P12ihipStream_tbPNSt15iterator_traitsISE_E10value_typeEPNSK_ISF_E10value_typeEPSG_NS1_7vsmem_tEENKUlT_SE_SF_SG_E_clIS8_S8_S9_S9_EESD_ST_SE_SF_SG_EUlST_E_NS1_11comp_targetILNS1_3genE10ELNS1_11target_archE1201ELNS1_3gpuE5ELNS1_3repE0EEENS1_48merge_mergepath_partition_config_static_selectorELNS0_4arch9wavefront6targetE0EEEvSF_ ; -- Begin function _ZN7rocprim17ROCPRIM_400000_NS6detail17trampoline_kernelINS0_14default_configENS1_38merge_sort_block_merge_config_selectorIlNS0_10empty_typeEEEZZNS1_27merge_sort_block_merge_implIS3_PlPS5_jNS1_19radix_merge_compareILb0ELb0ElNS0_19identity_decomposerEEEEE10hipError_tT0_T1_T2_jT3_P12ihipStream_tbPNSt15iterator_traitsISE_E10value_typeEPNSK_ISF_E10value_typeEPSG_NS1_7vsmem_tEENKUlT_SE_SF_SG_E_clIS8_S8_S9_S9_EESD_ST_SE_SF_SG_EUlST_E_NS1_11comp_targetILNS1_3genE10ELNS1_11target_archE1201ELNS1_3gpuE5ELNS1_3repE0EEENS1_48merge_mergepath_partition_config_static_selectorELNS0_4arch9wavefront6targetE0EEEvSF_
	.globl	_ZN7rocprim17ROCPRIM_400000_NS6detail17trampoline_kernelINS0_14default_configENS1_38merge_sort_block_merge_config_selectorIlNS0_10empty_typeEEEZZNS1_27merge_sort_block_merge_implIS3_PlPS5_jNS1_19radix_merge_compareILb0ELb0ElNS0_19identity_decomposerEEEEE10hipError_tT0_T1_T2_jT3_P12ihipStream_tbPNSt15iterator_traitsISE_E10value_typeEPNSK_ISF_E10value_typeEPSG_NS1_7vsmem_tEENKUlT_SE_SF_SG_E_clIS8_S8_S9_S9_EESD_ST_SE_SF_SG_EUlST_E_NS1_11comp_targetILNS1_3genE10ELNS1_11target_archE1201ELNS1_3gpuE5ELNS1_3repE0EEENS1_48merge_mergepath_partition_config_static_selectorELNS0_4arch9wavefront6targetE0EEEvSF_
	.p2align	8
	.type	_ZN7rocprim17ROCPRIM_400000_NS6detail17trampoline_kernelINS0_14default_configENS1_38merge_sort_block_merge_config_selectorIlNS0_10empty_typeEEEZZNS1_27merge_sort_block_merge_implIS3_PlPS5_jNS1_19radix_merge_compareILb0ELb0ElNS0_19identity_decomposerEEEEE10hipError_tT0_T1_T2_jT3_P12ihipStream_tbPNSt15iterator_traitsISE_E10value_typeEPNSK_ISF_E10value_typeEPSG_NS1_7vsmem_tEENKUlT_SE_SF_SG_E_clIS8_S8_S9_S9_EESD_ST_SE_SF_SG_EUlST_E_NS1_11comp_targetILNS1_3genE10ELNS1_11target_archE1201ELNS1_3gpuE5ELNS1_3repE0EEENS1_48merge_mergepath_partition_config_static_selectorELNS0_4arch9wavefront6targetE0EEEvSF_,@function
_ZN7rocprim17ROCPRIM_400000_NS6detail17trampoline_kernelINS0_14default_configENS1_38merge_sort_block_merge_config_selectorIlNS0_10empty_typeEEEZZNS1_27merge_sort_block_merge_implIS3_PlPS5_jNS1_19radix_merge_compareILb0ELb0ElNS0_19identity_decomposerEEEEE10hipError_tT0_T1_T2_jT3_P12ihipStream_tbPNSt15iterator_traitsISE_E10value_typeEPNSK_ISF_E10value_typeEPSG_NS1_7vsmem_tEENKUlT_SE_SF_SG_E_clIS8_S8_S9_S9_EESD_ST_SE_SF_SG_EUlST_E_NS1_11comp_targetILNS1_3genE10ELNS1_11target_archE1201ELNS1_3gpuE5ELNS1_3repE0EEENS1_48merge_mergepath_partition_config_static_selectorELNS0_4arch9wavefront6targetE0EEEvSF_: ; @_ZN7rocprim17ROCPRIM_400000_NS6detail17trampoline_kernelINS0_14default_configENS1_38merge_sort_block_merge_config_selectorIlNS0_10empty_typeEEEZZNS1_27merge_sort_block_merge_implIS3_PlPS5_jNS1_19radix_merge_compareILb0ELb0ElNS0_19identity_decomposerEEEEE10hipError_tT0_T1_T2_jT3_P12ihipStream_tbPNSt15iterator_traitsISE_E10value_typeEPNSK_ISF_E10value_typeEPSG_NS1_7vsmem_tEENKUlT_SE_SF_SG_E_clIS8_S8_S9_S9_EESD_ST_SE_SF_SG_EUlST_E_NS1_11comp_targetILNS1_3genE10ELNS1_11target_archE1201ELNS1_3gpuE5ELNS1_3repE0EEENS1_48merge_mergepath_partition_config_static_selectorELNS0_4arch9wavefront6targetE0EEEvSF_
; %bb.0:
	.section	.rodata,"a",@progbits
	.p2align	6, 0x0
	.amdhsa_kernel _ZN7rocprim17ROCPRIM_400000_NS6detail17trampoline_kernelINS0_14default_configENS1_38merge_sort_block_merge_config_selectorIlNS0_10empty_typeEEEZZNS1_27merge_sort_block_merge_implIS3_PlPS5_jNS1_19radix_merge_compareILb0ELb0ElNS0_19identity_decomposerEEEEE10hipError_tT0_T1_T2_jT3_P12ihipStream_tbPNSt15iterator_traitsISE_E10value_typeEPNSK_ISF_E10value_typeEPSG_NS1_7vsmem_tEENKUlT_SE_SF_SG_E_clIS8_S8_S9_S9_EESD_ST_SE_SF_SG_EUlST_E_NS1_11comp_targetILNS1_3genE10ELNS1_11target_archE1201ELNS1_3gpuE5ELNS1_3repE0EEENS1_48merge_mergepath_partition_config_static_selectorELNS0_4arch9wavefront6targetE0EEEvSF_
		.amdhsa_group_segment_fixed_size 0
		.amdhsa_private_segment_fixed_size 0
		.amdhsa_kernarg_size 40
		.amdhsa_user_sgpr_count 2
		.amdhsa_user_sgpr_dispatch_ptr 0
		.amdhsa_user_sgpr_queue_ptr 0
		.amdhsa_user_sgpr_kernarg_segment_ptr 1
		.amdhsa_user_sgpr_dispatch_id 0
		.amdhsa_user_sgpr_kernarg_preload_length 0
		.amdhsa_user_sgpr_kernarg_preload_offset 0
		.amdhsa_user_sgpr_private_segment_size 0
		.amdhsa_wavefront_size32 1
		.amdhsa_uses_dynamic_stack 0
		.amdhsa_enable_private_segment 0
		.amdhsa_system_sgpr_workgroup_id_x 1
		.amdhsa_system_sgpr_workgroup_id_y 0
		.amdhsa_system_sgpr_workgroup_id_z 0
		.amdhsa_system_sgpr_workgroup_info 0
		.amdhsa_system_vgpr_workitem_id 0
		.amdhsa_next_free_vgpr 1
		.amdhsa_next_free_sgpr 1
		.amdhsa_named_barrier_count 0
		.amdhsa_reserve_vcc 0
		.amdhsa_float_round_mode_32 0
		.amdhsa_float_round_mode_16_64 0
		.amdhsa_float_denorm_mode_32 3
		.amdhsa_float_denorm_mode_16_64 3
		.amdhsa_fp16_overflow 0
		.amdhsa_memory_ordered 1
		.amdhsa_forward_progress 1
		.amdhsa_inst_pref_size 0
		.amdhsa_round_robin_scheduling 0
		.amdhsa_exception_fp_ieee_invalid_op 0
		.amdhsa_exception_fp_denorm_src 0
		.amdhsa_exception_fp_ieee_div_zero 0
		.amdhsa_exception_fp_ieee_overflow 0
		.amdhsa_exception_fp_ieee_underflow 0
		.amdhsa_exception_fp_ieee_inexact 0
		.amdhsa_exception_int_div_zero 0
	.end_amdhsa_kernel
	.section	.text._ZN7rocprim17ROCPRIM_400000_NS6detail17trampoline_kernelINS0_14default_configENS1_38merge_sort_block_merge_config_selectorIlNS0_10empty_typeEEEZZNS1_27merge_sort_block_merge_implIS3_PlPS5_jNS1_19radix_merge_compareILb0ELb0ElNS0_19identity_decomposerEEEEE10hipError_tT0_T1_T2_jT3_P12ihipStream_tbPNSt15iterator_traitsISE_E10value_typeEPNSK_ISF_E10value_typeEPSG_NS1_7vsmem_tEENKUlT_SE_SF_SG_E_clIS8_S8_S9_S9_EESD_ST_SE_SF_SG_EUlST_E_NS1_11comp_targetILNS1_3genE10ELNS1_11target_archE1201ELNS1_3gpuE5ELNS1_3repE0EEENS1_48merge_mergepath_partition_config_static_selectorELNS0_4arch9wavefront6targetE0EEEvSF_,"axG",@progbits,_ZN7rocprim17ROCPRIM_400000_NS6detail17trampoline_kernelINS0_14default_configENS1_38merge_sort_block_merge_config_selectorIlNS0_10empty_typeEEEZZNS1_27merge_sort_block_merge_implIS3_PlPS5_jNS1_19radix_merge_compareILb0ELb0ElNS0_19identity_decomposerEEEEE10hipError_tT0_T1_T2_jT3_P12ihipStream_tbPNSt15iterator_traitsISE_E10value_typeEPNSK_ISF_E10value_typeEPSG_NS1_7vsmem_tEENKUlT_SE_SF_SG_E_clIS8_S8_S9_S9_EESD_ST_SE_SF_SG_EUlST_E_NS1_11comp_targetILNS1_3genE10ELNS1_11target_archE1201ELNS1_3gpuE5ELNS1_3repE0EEENS1_48merge_mergepath_partition_config_static_selectorELNS0_4arch9wavefront6targetE0EEEvSF_,comdat
.Lfunc_end1142:
	.size	_ZN7rocprim17ROCPRIM_400000_NS6detail17trampoline_kernelINS0_14default_configENS1_38merge_sort_block_merge_config_selectorIlNS0_10empty_typeEEEZZNS1_27merge_sort_block_merge_implIS3_PlPS5_jNS1_19radix_merge_compareILb0ELb0ElNS0_19identity_decomposerEEEEE10hipError_tT0_T1_T2_jT3_P12ihipStream_tbPNSt15iterator_traitsISE_E10value_typeEPNSK_ISF_E10value_typeEPSG_NS1_7vsmem_tEENKUlT_SE_SF_SG_E_clIS8_S8_S9_S9_EESD_ST_SE_SF_SG_EUlST_E_NS1_11comp_targetILNS1_3genE10ELNS1_11target_archE1201ELNS1_3gpuE5ELNS1_3repE0EEENS1_48merge_mergepath_partition_config_static_selectorELNS0_4arch9wavefront6targetE0EEEvSF_, .Lfunc_end1142-_ZN7rocprim17ROCPRIM_400000_NS6detail17trampoline_kernelINS0_14default_configENS1_38merge_sort_block_merge_config_selectorIlNS0_10empty_typeEEEZZNS1_27merge_sort_block_merge_implIS3_PlPS5_jNS1_19radix_merge_compareILb0ELb0ElNS0_19identity_decomposerEEEEE10hipError_tT0_T1_T2_jT3_P12ihipStream_tbPNSt15iterator_traitsISE_E10value_typeEPNSK_ISF_E10value_typeEPSG_NS1_7vsmem_tEENKUlT_SE_SF_SG_E_clIS8_S8_S9_S9_EESD_ST_SE_SF_SG_EUlST_E_NS1_11comp_targetILNS1_3genE10ELNS1_11target_archE1201ELNS1_3gpuE5ELNS1_3repE0EEENS1_48merge_mergepath_partition_config_static_selectorELNS0_4arch9wavefront6targetE0EEEvSF_
                                        ; -- End function
	.set _ZN7rocprim17ROCPRIM_400000_NS6detail17trampoline_kernelINS0_14default_configENS1_38merge_sort_block_merge_config_selectorIlNS0_10empty_typeEEEZZNS1_27merge_sort_block_merge_implIS3_PlPS5_jNS1_19radix_merge_compareILb0ELb0ElNS0_19identity_decomposerEEEEE10hipError_tT0_T1_T2_jT3_P12ihipStream_tbPNSt15iterator_traitsISE_E10value_typeEPNSK_ISF_E10value_typeEPSG_NS1_7vsmem_tEENKUlT_SE_SF_SG_E_clIS8_S8_S9_S9_EESD_ST_SE_SF_SG_EUlST_E_NS1_11comp_targetILNS1_3genE10ELNS1_11target_archE1201ELNS1_3gpuE5ELNS1_3repE0EEENS1_48merge_mergepath_partition_config_static_selectorELNS0_4arch9wavefront6targetE0EEEvSF_.num_vgpr, 0
	.set _ZN7rocprim17ROCPRIM_400000_NS6detail17trampoline_kernelINS0_14default_configENS1_38merge_sort_block_merge_config_selectorIlNS0_10empty_typeEEEZZNS1_27merge_sort_block_merge_implIS3_PlPS5_jNS1_19radix_merge_compareILb0ELb0ElNS0_19identity_decomposerEEEEE10hipError_tT0_T1_T2_jT3_P12ihipStream_tbPNSt15iterator_traitsISE_E10value_typeEPNSK_ISF_E10value_typeEPSG_NS1_7vsmem_tEENKUlT_SE_SF_SG_E_clIS8_S8_S9_S9_EESD_ST_SE_SF_SG_EUlST_E_NS1_11comp_targetILNS1_3genE10ELNS1_11target_archE1201ELNS1_3gpuE5ELNS1_3repE0EEENS1_48merge_mergepath_partition_config_static_selectorELNS0_4arch9wavefront6targetE0EEEvSF_.num_agpr, 0
	.set _ZN7rocprim17ROCPRIM_400000_NS6detail17trampoline_kernelINS0_14default_configENS1_38merge_sort_block_merge_config_selectorIlNS0_10empty_typeEEEZZNS1_27merge_sort_block_merge_implIS3_PlPS5_jNS1_19radix_merge_compareILb0ELb0ElNS0_19identity_decomposerEEEEE10hipError_tT0_T1_T2_jT3_P12ihipStream_tbPNSt15iterator_traitsISE_E10value_typeEPNSK_ISF_E10value_typeEPSG_NS1_7vsmem_tEENKUlT_SE_SF_SG_E_clIS8_S8_S9_S9_EESD_ST_SE_SF_SG_EUlST_E_NS1_11comp_targetILNS1_3genE10ELNS1_11target_archE1201ELNS1_3gpuE5ELNS1_3repE0EEENS1_48merge_mergepath_partition_config_static_selectorELNS0_4arch9wavefront6targetE0EEEvSF_.numbered_sgpr, 0
	.set _ZN7rocprim17ROCPRIM_400000_NS6detail17trampoline_kernelINS0_14default_configENS1_38merge_sort_block_merge_config_selectorIlNS0_10empty_typeEEEZZNS1_27merge_sort_block_merge_implIS3_PlPS5_jNS1_19radix_merge_compareILb0ELb0ElNS0_19identity_decomposerEEEEE10hipError_tT0_T1_T2_jT3_P12ihipStream_tbPNSt15iterator_traitsISE_E10value_typeEPNSK_ISF_E10value_typeEPSG_NS1_7vsmem_tEENKUlT_SE_SF_SG_E_clIS8_S8_S9_S9_EESD_ST_SE_SF_SG_EUlST_E_NS1_11comp_targetILNS1_3genE10ELNS1_11target_archE1201ELNS1_3gpuE5ELNS1_3repE0EEENS1_48merge_mergepath_partition_config_static_selectorELNS0_4arch9wavefront6targetE0EEEvSF_.num_named_barrier, 0
	.set _ZN7rocprim17ROCPRIM_400000_NS6detail17trampoline_kernelINS0_14default_configENS1_38merge_sort_block_merge_config_selectorIlNS0_10empty_typeEEEZZNS1_27merge_sort_block_merge_implIS3_PlPS5_jNS1_19radix_merge_compareILb0ELb0ElNS0_19identity_decomposerEEEEE10hipError_tT0_T1_T2_jT3_P12ihipStream_tbPNSt15iterator_traitsISE_E10value_typeEPNSK_ISF_E10value_typeEPSG_NS1_7vsmem_tEENKUlT_SE_SF_SG_E_clIS8_S8_S9_S9_EESD_ST_SE_SF_SG_EUlST_E_NS1_11comp_targetILNS1_3genE10ELNS1_11target_archE1201ELNS1_3gpuE5ELNS1_3repE0EEENS1_48merge_mergepath_partition_config_static_selectorELNS0_4arch9wavefront6targetE0EEEvSF_.private_seg_size, 0
	.set _ZN7rocprim17ROCPRIM_400000_NS6detail17trampoline_kernelINS0_14default_configENS1_38merge_sort_block_merge_config_selectorIlNS0_10empty_typeEEEZZNS1_27merge_sort_block_merge_implIS3_PlPS5_jNS1_19radix_merge_compareILb0ELb0ElNS0_19identity_decomposerEEEEE10hipError_tT0_T1_T2_jT3_P12ihipStream_tbPNSt15iterator_traitsISE_E10value_typeEPNSK_ISF_E10value_typeEPSG_NS1_7vsmem_tEENKUlT_SE_SF_SG_E_clIS8_S8_S9_S9_EESD_ST_SE_SF_SG_EUlST_E_NS1_11comp_targetILNS1_3genE10ELNS1_11target_archE1201ELNS1_3gpuE5ELNS1_3repE0EEENS1_48merge_mergepath_partition_config_static_selectorELNS0_4arch9wavefront6targetE0EEEvSF_.uses_vcc, 0
	.set _ZN7rocprim17ROCPRIM_400000_NS6detail17trampoline_kernelINS0_14default_configENS1_38merge_sort_block_merge_config_selectorIlNS0_10empty_typeEEEZZNS1_27merge_sort_block_merge_implIS3_PlPS5_jNS1_19radix_merge_compareILb0ELb0ElNS0_19identity_decomposerEEEEE10hipError_tT0_T1_T2_jT3_P12ihipStream_tbPNSt15iterator_traitsISE_E10value_typeEPNSK_ISF_E10value_typeEPSG_NS1_7vsmem_tEENKUlT_SE_SF_SG_E_clIS8_S8_S9_S9_EESD_ST_SE_SF_SG_EUlST_E_NS1_11comp_targetILNS1_3genE10ELNS1_11target_archE1201ELNS1_3gpuE5ELNS1_3repE0EEENS1_48merge_mergepath_partition_config_static_selectorELNS0_4arch9wavefront6targetE0EEEvSF_.uses_flat_scratch, 0
	.set _ZN7rocprim17ROCPRIM_400000_NS6detail17trampoline_kernelINS0_14default_configENS1_38merge_sort_block_merge_config_selectorIlNS0_10empty_typeEEEZZNS1_27merge_sort_block_merge_implIS3_PlPS5_jNS1_19radix_merge_compareILb0ELb0ElNS0_19identity_decomposerEEEEE10hipError_tT0_T1_T2_jT3_P12ihipStream_tbPNSt15iterator_traitsISE_E10value_typeEPNSK_ISF_E10value_typeEPSG_NS1_7vsmem_tEENKUlT_SE_SF_SG_E_clIS8_S8_S9_S9_EESD_ST_SE_SF_SG_EUlST_E_NS1_11comp_targetILNS1_3genE10ELNS1_11target_archE1201ELNS1_3gpuE5ELNS1_3repE0EEENS1_48merge_mergepath_partition_config_static_selectorELNS0_4arch9wavefront6targetE0EEEvSF_.has_dyn_sized_stack, 0
	.set _ZN7rocprim17ROCPRIM_400000_NS6detail17trampoline_kernelINS0_14default_configENS1_38merge_sort_block_merge_config_selectorIlNS0_10empty_typeEEEZZNS1_27merge_sort_block_merge_implIS3_PlPS5_jNS1_19radix_merge_compareILb0ELb0ElNS0_19identity_decomposerEEEEE10hipError_tT0_T1_T2_jT3_P12ihipStream_tbPNSt15iterator_traitsISE_E10value_typeEPNSK_ISF_E10value_typeEPSG_NS1_7vsmem_tEENKUlT_SE_SF_SG_E_clIS8_S8_S9_S9_EESD_ST_SE_SF_SG_EUlST_E_NS1_11comp_targetILNS1_3genE10ELNS1_11target_archE1201ELNS1_3gpuE5ELNS1_3repE0EEENS1_48merge_mergepath_partition_config_static_selectorELNS0_4arch9wavefront6targetE0EEEvSF_.has_recursion, 0
	.set _ZN7rocprim17ROCPRIM_400000_NS6detail17trampoline_kernelINS0_14default_configENS1_38merge_sort_block_merge_config_selectorIlNS0_10empty_typeEEEZZNS1_27merge_sort_block_merge_implIS3_PlPS5_jNS1_19radix_merge_compareILb0ELb0ElNS0_19identity_decomposerEEEEE10hipError_tT0_T1_T2_jT3_P12ihipStream_tbPNSt15iterator_traitsISE_E10value_typeEPNSK_ISF_E10value_typeEPSG_NS1_7vsmem_tEENKUlT_SE_SF_SG_E_clIS8_S8_S9_S9_EESD_ST_SE_SF_SG_EUlST_E_NS1_11comp_targetILNS1_3genE10ELNS1_11target_archE1201ELNS1_3gpuE5ELNS1_3repE0EEENS1_48merge_mergepath_partition_config_static_selectorELNS0_4arch9wavefront6targetE0EEEvSF_.has_indirect_call, 0
	.section	.AMDGPU.csdata,"",@progbits
; Kernel info:
; codeLenInByte = 0
; TotalNumSgprs: 0
; NumVgprs: 0
; ScratchSize: 0
; MemoryBound: 0
; FloatMode: 240
; IeeeMode: 1
; LDSByteSize: 0 bytes/workgroup (compile time only)
; SGPRBlocks: 0
; VGPRBlocks: 0
; NumSGPRsForWavesPerEU: 1
; NumVGPRsForWavesPerEU: 1
; NamedBarCnt: 0
; Occupancy: 16
; WaveLimiterHint : 0
; COMPUTE_PGM_RSRC2:SCRATCH_EN: 0
; COMPUTE_PGM_RSRC2:USER_SGPR: 2
; COMPUTE_PGM_RSRC2:TRAP_HANDLER: 0
; COMPUTE_PGM_RSRC2:TGID_X_EN: 1
; COMPUTE_PGM_RSRC2:TGID_Y_EN: 0
; COMPUTE_PGM_RSRC2:TGID_Z_EN: 0
; COMPUTE_PGM_RSRC2:TIDIG_COMP_CNT: 0
	.section	.text._ZN7rocprim17ROCPRIM_400000_NS6detail17trampoline_kernelINS0_14default_configENS1_38merge_sort_block_merge_config_selectorIlNS0_10empty_typeEEEZZNS1_27merge_sort_block_merge_implIS3_PlPS5_jNS1_19radix_merge_compareILb0ELb0ElNS0_19identity_decomposerEEEEE10hipError_tT0_T1_T2_jT3_P12ihipStream_tbPNSt15iterator_traitsISE_E10value_typeEPNSK_ISF_E10value_typeEPSG_NS1_7vsmem_tEENKUlT_SE_SF_SG_E_clIS8_S8_S9_S9_EESD_ST_SE_SF_SG_EUlST_E_NS1_11comp_targetILNS1_3genE5ELNS1_11target_archE942ELNS1_3gpuE9ELNS1_3repE0EEENS1_48merge_mergepath_partition_config_static_selectorELNS0_4arch9wavefront6targetE0EEEvSF_,"axG",@progbits,_ZN7rocprim17ROCPRIM_400000_NS6detail17trampoline_kernelINS0_14default_configENS1_38merge_sort_block_merge_config_selectorIlNS0_10empty_typeEEEZZNS1_27merge_sort_block_merge_implIS3_PlPS5_jNS1_19radix_merge_compareILb0ELb0ElNS0_19identity_decomposerEEEEE10hipError_tT0_T1_T2_jT3_P12ihipStream_tbPNSt15iterator_traitsISE_E10value_typeEPNSK_ISF_E10value_typeEPSG_NS1_7vsmem_tEENKUlT_SE_SF_SG_E_clIS8_S8_S9_S9_EESD_ST_SE_SF_SG_EUlST_E_NS1_11comp_targetILNS1_3genE5ELNS1_11target_archE942ELNS1_3gpuE9ELNS1_3repE0EEENS1_48merge_mergepath_partition_config_static_selectorELNS0_4arch9wavefront6targetE0EEEvSF_,comdat
	.protected	_ZN7rocprim17ROCPRIM_400000_NS6detail17trampoline_kernelINS0_14default_configENS1_38merge_sort_block_merge_config_selectorIlNS0_10empty_typeEEEZZNS1_27merge_sort_block_merge_implIS3_PlPS5_jNS1_19radix_merge_compareILb0ELb0ElNS0_19identity_decomposerEEEEE10hipError_tT0_T1_T2_jT3_P12ihipStream_tbPNSt15iterator_traitsISE_E10value_typeEPNSK_ISF_E10value_typeEPSG_NS1_7vsmem_tEENKUlT_SE_SF_SG_E_clIS8_S8_S9_S9_EESD_ST_SE_SF_SG_EUlST_E_NS1_11comp_targetILNS1_3genE5ELNS1_11target_archE942ELNS1_3gpuE9ELNS1_3repE0EEENS1_48merge_mergepath_partition_config_static_selectorELNS0_4arch9wavefront6targetE0EEEvSF_ ; -- Begin function _ZN7rocprim17ROCPRIM_400000_NS6detail17trampoline_kernelINS0_14default_configENS1_38merge_sort_block_merge_config_selectorIlNS0_10empty_typeEEEZZNS1_27merge_sort_block_merge_implIS3_PlPS5_jNS1_19radix_merge_compareILb0ELb0ElNS0_19identity_decomposerEEEEE10hipError_tT0_T1_T2_jT3_P12ihipStream_tbPNSt15iterator_traitsISE_E10value_typeEPNSK_ISF_E10value_typeEPSG_NS1_7vsmem_tEENKUlT_SE_SF_SG_E_clIS8_S8_S9_S9_EESD_ST_SE_SF_SG_EUlST_E_NS1_11comp_targetILNS1_3genE5ELNS1_11target_archE942ELNS1_3gpuE9ELNS1_3repE0EEENS1_48merge_mergepath_partition_config_static_selectorELNS0_4arch9wavefront6targetE0EEEvSF_
	.globl	_ZN7rocprim17ROCPRIM_400000_NS6detail17trampoline_kernelINS0_14default_configENS1_38merge_sort_block_merge_config_selectorIlNS0_10empty_typeEEEZZNS1_27merge_sort_block_merge_implIS3_PlPS5_jNS1_19radix_merge_compareILb0ELb0ElNS0_19identity_decomposerEEEEE10hipError_tT0_T1_T2_jT3_P12ihipStream_tbPNSt15iterator_traitsISE_E10value_typeEPNSK_ISF_E10value_typeEPSG_NS1_7vsmem_tEENKUlT_SE_SF_SG_E_clIS8_S8_S9_S9_EESD_ST_SE_SF_SG_EUlST_E_NS1_11comp_targetILNS1_3genE5ELNS1_11target_archE942ELNS1_3gpuE9ELNS1_3repE0EEENS1_48merge_mergepath_partition_config_static_selectorELNS0_4arch9wavefront6targetE0EEEvSF_
	.p2align	8
	.type	_ZN7rocprim17ROCPRIM_400000_NS6detail17trampoline_kernelINS0_14default_configENS1_38merge_sort_block_merge_config_selectorIlNS0_10empty_typeEEEZZNS1_27merge_sort_block_merge_implIS3_PlPS5_jNS1_19radix_merge_compareILb0ELb0ElNS0_19identity_decomposerEEEEE10hipError_tT0_T1_T2_jT3_P12ihipStream_tbPNSt15iterator_traitsISE_E10value_typeEPNSK_ISF_E10value_typeEPSG_NS1_7vsmem_tEENKUlT_SE_SF_SG_E_clIS8_S8_S9_S9_EESD_ST_SE_SF_SG_EUlST_E_NS1_11comp_targetILNS1_3genE5ELNS1_11target_archE942ELNS1_3gpuE9ELNS1_3repE0EEENS1_48merge_mergepath_partition_config_static_selectorELNS0_4arch9wavefront6targetE0EEEvSF_,@function
_ZN7rocprim17ROCPRIM_400000_NS6detail17trampoline_kernelINS0_14default_configENS1_38merge_sort_block_merge_config_selectorIlNS0_10empty_typeEEEZZNS1_27merge_sort_block_merge_implIS3_PlPS5_jNS1_19radix_merge_compareILb0ELb0ElNS0_19identity_decomposerEEEEE10hipError_tT0_T1_T2_jT3_P12ihipStream_tbPNSt15iterator_traitsISE_E10value_typeEPNSK_ISF_E10value_typeEPSG_NS1_7vsmem_tEENKUlT_SE_SF_SG_E_clIS8_S8_S9_S9_EESD_ST_SE_SF_SG_EUlST_E_NS1_11comp_targetILNS1_3genE5ELNS1_11target_archE942ELNS1_3gpuE9ELNS1_3repE0EEENS1_48merge_mergepath_partition_config_static_selectorELNS0_4arch9wavefront6targetE0EEEvSF_: ; @_ZN7rocprim17ROCPRIM_400000_NS6detail17trampoline_kernelINS0_14default_configENS1_38merge_sort_block_merge_config_selectorIlNS0_10empty_typeEEEZZNS1_27merge_sort_block_merge_implIS3_PlPS5_jNS1_19radix_merge_compareILb0ELb0ElNS0_19identity_decomposerEEEEE10hipError_tT0_T1_T2_jT3_P12ihipStream_tbPNSt15iterator_traitsISE_E10value_typeEPNSK_ISF_E10value_typeEPSG_NS1_7vsmem_tEENKUlT_SE_SF_SG_E_clIS8_S8_S9_S9_EESD_ST_SE_SF_SG_EUlST_E_NS1_11comp_targetILNS1_3genE5ELNS1_11target_archE942ELNS1_3gpuE9ELNS1_3repE0EEENS1_48merge_mergepath_partition_config_static_selectorELNS0_4arch9wavefront6targetE0EEEvSF_
; %bb.0:
	.section	.rodata,"a",@progbits
	.p2align	6, 0x0
	.amdhsa_kernel _ZN7rocprim17ROCPRIM_400000_NS6detail17trampoline_kernelINS0_14default_configENS1_38merge_sort_block_merge_config_selectorIlNS0_10empty_typeEEEZZNS1_27merge_sort_block_merge_implIS3_PlPS5_jNS1_19radix_merge_compareILb0ELb0ElNS0_19identity_decomposerEEEEE10hipError_tT0_T1_T2_jT3_P12ihipStream_tbPNSt15iterator_traitsISE_E10value_typeEPNSK_ISF_E10value_typeEPSG_NS1_7vsmem_tEENKUlT_SE_SF_SG_E_clIS8_S8_S9_S9_EESD_ST_SE_SF_SG_EUlST_E_NS1_11comp_targetILNS1_3genE5ELNS1_11target_archE942ELNS1_3gpuE9ELNS1_3repE0EEENS1_48merge_mergepath_partition_config_static_selectorELNS0_4arch9wavefront6targetE0EEEvSF_
		.amdhsa_group_segment_fixed_size 0
		.amdhsa_private_segment_fixed_size 0
		.amdhsa_kernarg_size 40
		.amdhsa_user_sgpr_count 2
		.amdhsa_user_sgpr_dispatch_ptr 0
		.amdhsa_user_sgpr_queue_ptr 0
		.amdhsa_user_sgpr_kernarg_segment_ptr 1
		.amdhsa_user_sgpr_dispatch_id 0
		.amdhsa_user_sgpr_kernarg_preload_length 0
		.amdhsa_user_sgpr_kernarg_preload_offset 0
		.amdhsa_user_sgpr_private_segment_size 0
		.amdhsa_wavefront_size32 1
		.amdhsa_uses_dynamic_stack 0
		.amdhsa_enable_private_segment 0
		.amdhsa_system_sgpr_workgroup_id_x 1
		.amdhsa_system_sgpr_workgroup_id_y 0
		.amdhsa_system_sgpr_workgroup_id_z 0
		.amdhsa_system_sgpr_workgroup_info 0
		.amdhsa_system_vgpr_workitem_id 0
		.amdhsa_next_free_vgpr 1
		.amdhsa_next_free_sgpr 1
		.amdhsa_named_barrier_count 0
		.amdhsa_reserve_vcc 0
		.amdhsa_float_round_mode_32 0
		.amdhsa_float_round_mode_16_64 0
		.amdhsa_float_denorm_mode_32 3
		.amdhsa_float_denorm_mode_16_64 3
		.amdhsa_fp16_overflow 0
		.amdhsa_memory_ordered 1
		.amdhsa_forward_progress 1
		.amdhsa_inst_pref_size 0
		.amdhsa_round_robin_scheduling 0
		.amdhsa_exception_fp_ieee_invalid_op 0
		.amdhsa_exception_fp_denorm_src 0
		.amdhsa_exception_fp_ieee_div_zero 0
		.amdhsa_exception_fp_ieee_overflow 0
		.amdhsa_exception_fp_ieee_underflow 0
		.amdhsa_exception_fp_ieee_inexact 0
		.amdhsa_exception_int_div_zero 0
	.end_amdhsa_kernel
	.section	.text._ZN7rocprim17ROCPRIM_400000_NS6detail17trampoline_kernelINS0_14default_configENS1_38merge_sort_block_merge_config_selectorIlNS0_10empty_typeEEEZZNS1_27merge_sort_block_merge_implIS3_PlPS5_jNS1_19radix_merge_compareILb0ELb0ElNS0_19identity_decomposerEEEEE10hipError_tT0_T1_T2_jT3_P12ihipStream_tbPNSt15iterator_traitsISE_E10value_typeEPNSK_ISF_E10value_typeEPSG_NS1_7vsmem_tEENKUlT_SE_SF_SG_E_clIS8_S8_S9_S9_EESD_ST_SE_SF_SG_EUlST_E_NS1_11comp_targetILNS1_3genE5ELNS1_11target_archE942ELNS1_3gpuE9ELNS1_3repE0EEENS1_48merge_mergepath_partition_config_static_selectorELNS0_4arch9wavefront6targetE0EEEvSF_,"axG",@progbits,_ZN7rocprim17ROCPRIM_400000_NS6detail17trampoline_kernelINS0_14default_configENS1_38merge_sort_block_merge_config_selectorIlNS0_10empty_typeEEEZZNS1_27merge_sort_block_merge_implIS3_PlPS5_jNS1_19radix_merge_compareILb0ELb0ElNS0_19identity_decomposerEEEEE10hipError_tT0_T1_T2_jT3_P12ihipStream_tbPNSt15iterator_traitsISE_E10value_typeEPNSK_ISF_E10value_typeEPSG_NS1_7vsmem_tEENKUlT_SE_SF_SG_E_clIS8_S8_S9_S9_EESD_ST_SE_SF_SG_EUlST_E_NS1_11comp_targetILNS1_3genE5ELNS1_11target_archE942ELNS1_3gpuE9ELNS1_3repE0EEENS1_48merge_mergepath_partition_config_static_selectorELNS0_4arch9wavefront6targetE0EEEvSF_,comdat
.Lfunc_end1143:
	.size	_ZN7rocprim17ROCPRIM_400000_NS6detail17trampoline_kernelINS0_14default_configENS1_38merge_sort_block_merge_config_selectorIlNS0_10empty_typeEEEZZNS1_27merge_sort_block_merge_implIS3_PlPS5_jNS1_19radix_merge_compareILb0ELb0ElNS0_19identity_decomposerEEEEE10hipError_tT0_T1_T2_jT3_P12ihipStream_tbPNSt15iterator_traitsISE_E10value_typeEPNSK_ISF_E10value_typeEPSG_NS1_7vsmem_tEENKUlT_SE_SF_SG_E_clIS8_S8_S9_S9_EESD_ST_SE_SF_SG_EUlST_E_NS1_11comp_targetILNS1_3genE5ELNS1_11target_archE942ELNS1_3gpuE9ELNS1_3repE0EEENS1_48merge_mergepath_partition_config_static_selectorELNS0_4arch9wavefront6targetE0EEEvSF_, .Lfunc_end1143-_ZN7rocprim17ROCPRIM_400000_NS6detail17trampoline_kernelINS0_14default_configENS1_38merge_sort_block_merge_config_selectorIlNS0_10empty_typeEEEZZNS1_27merge_sort_block_merge_implIS3_PlPS5_jNS1_19radix_merge_compareILb0ELb0ElNS0_19identity_decomposerEEEEE10hipError_tT0_T1_T2_jT3_P12ihipStream_tbPNSt15iterator_traitsISE_E10value_typeEPNSK_ISF_E10value_typeEPSG_NS1_7vsmem_tEENKUlT_SE_SF_SG_E_clIS8_S8_S9_S9_EESD_ST_SE_SF_SG_EUlST_E_NS1_11comp_targetILNS1_3genE5ELNS1_11target_archE942ELNS1_3gpuE9ELNS1_3repE0EEENS1_48merge_mergepath_partition_config_static_selectorELNS0_4arch9wavefront6targetE0EEEvSF_
                                        ; -- End function
	.set _ZN7rocprim17ROCPRIM_400000_NS6detail17trampoline_kernelINS0_14default_configENS1_38merge_sort_block_merge_config_selectorIlNS0_10empty_typeEEEZZNS1_27merge_sort_block_merge_implIS3_PlPS5_jNS1_19radix_merge_compareILb0ELb0ElNS0_19identity_decomposerEEEEE10hipError_tT0_T1_T2_jT3_P12ihipStream_tbPNSt15iterator_traitsISE_E10value_typeEPNSK_ISF_E10value_typeEPSG_NS1_7vsmem_tEENKUlT_SE_SF_SG_E_clIS8_S8_S9_S9_EESD_ST_SE_SF_SG_EUlST_E_NS1_11comp_targetILNS1_3genE5ELNS1_11target_archE942ELNS1_3gpuE9ELNS1_3repE0EEENS1_48merge_mergepath_partition_config_static_selectorELNS0_4arch9wavefront6targetE0EEEvSF_.num_vgpr, 0
	.set _ZN7rocprim17ROCPRIM_400000_NS6detail17trampoline_kernelINS0_14default_configENS1_38merge_sort_block_merge_config_selectorIlNS0_10empty_typeEEEZZNS1_27merge_sort_block_merge_implIS3_PlPS5_jNS1_19radix_merge_compareILb0ELb0ElNS0_19identity_decomposerEEEEE10hipError_tT0_T1_T2_jT3_P12ihipStream_tbPNSt15iterator_traitsISE_E10value_typeEPNSK_ISF_E10value_typeEPSG_NS1_7vsmem_tEENKUlT_SE_SF_SG_E_clIS8_S8_S9_S9_EESD_ST_SE_SF_SG_EUlST_E_NS1_11comp_targetILNS1_3genE5ELNS1_11target_archE942ELNS1_3gpuE9ELNS1_3repE0EEENS1_48merge_mergepath_partition_config_static_selectorELNS0_4arch9wavefront6targetE0EEEvSF_.num_agpr, 0
	.set _ZN7rocprim17ROCPRIM_400000_NS6detail17trampoline_kernelINS0_14default_configENS1_38merge_sort_block_merge_config_selectorIlNS0_10empty_typeEEEZZNS1_27merge_sort_block_merge_implIS3_PlPS5_jNS1_19radix_merge_compareILb0ELb0ElNS0_19identity_decomposerEEEEE10hipError_tT0_T1_T2_jT3_P12ihipStream_tbPNSt15iterator_traitsISE_E10value_typeEPNSK_ISF_E10value_typeEPSG_NS1_7vsmem_tEENKUlT_SE_SF_SG_E_clIS8_S8_S9_S9_EESD_ST_SE_SF_SG_EUlST_E_NS1_11comp_targetILNS1_3genE5ELNS1_11target_archE942ELNS1_3gpuE9ELNS1_3repE0EEENS1_48merge_mergepath_partition_config_static_selectorELNS0_4arch9wavefront6targetE0EEEvSF_.numbered_sgpr, 0
	.set _ZN7rocprim17ROCPRIM_400000_NS6detail17trampoline_kernelINS0_14default_configENS1_38merge_sort_block_merge_config_selectorIlNS0_10empty_typeEEEZZNS1_27merge_sort_block_merge_implIS3_PlPS5_jNS1_19radix_merge_compareILb0ELb0ElNS0_19identity_decomposerEEEEE10hipError_tT0_T1_T2_jT3_P12ihipStream_tbPNSt15iterator_traitsISE_E10value_typeEPNSK_ISF_E10value_typeEPSG_NS1_7vsmem_tEENKUlT_SE_SF_SG_E_clIS8_S8_S9_S9_EESD_ST_SE_SF_SG_EUlST_E_NS1_11comp_targetILNS1_3genE5ELNS1_11target_archE942ELNS1_3gpuE9ELNS1_3repE0EEENS1_48merge_mergepath_partition_config_static_selectorELNS0_4arch9wavefront6targetE0EEEvSF_.num_named_barrier, 0
	.set _ZN7rocprim17ROCPRIM_400000_NS6detail17trampoline_kernelINS0_14default_configENS1_38merge_sort_block_merge_config_selectorIlNS0_10empty_typeEEEZZNS1_27merge_sort_block_merge_implIS3_PlPS5_jNS1_19radix_merge_compareILb0ELb0ElNS0_19identity_decomposerEEEEE10hipError_tT0_T1_T2_jT3_P12ihipStream_tbPNSt15iterator_traitsISE_E10value_typeEPNSK_ISF_E10value_typeEPSG_NS1_7vsmem_tEENKUlT_SE_SF_SG_E_clIS8_S8_S9_S9_EESD_ST_SE_SF_SG_EUlST_E_NS1_11comp_targetILNS1_3genE5ELNS1_11target_archE942ELNS1_3gpuE9ELNS1_3repE0EEENS1_48merge_mergepath_partition_config_static_selectorELNS0_4arch9wavefront6targetE0EEEvSF_.private_seg_size, 0
	.set _ZN7rocprim17ROCPRIM_400000_NS6detail17trampoline_kernelINS0_14default_configENS1_38merge_sort_block_merge_config_selectorIlNS0_10empty_typeEEEZZNS1_27merge_sort_block_merge_implIS3_PlPS5_jNS1_19radix_merge_compareILb0ELb0ElNS0_19identity_decomposerEEEEE10hipError_tT0_T1_T2_jT3_P12ihipStream_tbPNSt15iterator_traitsISE_E10value_typeEPNSK_ISF_E10value_typeEPSG_NS1_7vsmem_tEENKUlT_SE_SF_SG_E_clIS8_S8_S9_S9_EESD_ST_SE_SF_SG_EUlST_E_NS1_11comp_targetILNS1_3genE5ELNS1_11target_archE942ELNS1_3gpuE9ELNS1_3repE0EEENS1_48merge_mergepath_partition_config_static_selectorELNS0_4arch9wavefront6targetE0EEEvSF_.uses_vcc, 0
	.set _ZN7rocprim17ROCPRIM_400000_NS6detail17trampoline_kernelINS0_14default_configENS1_38merge_sort_block_merge_config_selectorIlNS0_10empty_typeEEEZZNS1_27merge_sort_block_merge_implIS3_PlPS5_jNS1_19radix_merge_compareILb0ELb0ElNS0_19identity_decomposerEEEEE10hipError_tT0_T1_T2_jT3_P12ihipStream_tbPNSt15iterator_traitsISE_E10value_typeEPNSK_ISF_E10value_typeEPSG_NS1_7vsmem_tEENKUlT_SE_SF_SG_E_clIS8_S8_S9_S9_EESD_ST_SE_SF_SG_EUlST_E_NS1_11comp_targetILNS1_3genE5ELNS1_11target_archE942ELNS1_3gpuE9ELNS1_3repE0EEENS1_48merge_mergepath_partition_config_static_selectorELNS0_4arch9wavefront6targetE0EEEvSF_.uses_flat_scratch, 0
	.set _ZN7rocprim17ROCPRIM_400000_NS6detail17trampoline_kernelINS0_14default_configENS1_38merge_sort_block_merge_config_selectorIlNS0_10empty_typeEEEZZNS1_27merge_sort_block_merge_implIS3_PlPS5_jNS1_19radix_merge_compareILb0ELb0ElNS0_19identity_decomposerEEEEE10hipError_tT0_T1_T2_jT3_P12ihipStream_tbPNSt15iterator_traitsISE_E10value_typeEPNSK_ISF_E10value_typeEPSG_NS1_7vsmem_tEENKUlT_SE_SF_SG_E_clIS8_S8_S9_S9_EESD_ST_SE_SF_SG_EUlST_E_NS1_11comp_targetILNS1_3genE5ELNS1_11target_archE942ELNS1_3gpuE9ELNS1_3repE0EEENS1_48merge_mergepath_partition_config_static_selectorELNS0_4arch9wavefront6targetE0EEEvSF_.has_dyn_sized_stack, 0
	.set _ZN7rocprim17ROCPRIM_400000_NS6detail17trampoline_kernelINS0_14default_configENS1_38merge_sort_block_merge_config_selectorIlNS0_10empty_typeEEEZZNS1_27merge_sort_block_merge_implIS3_PlPS5_jNS1_19radix_merge_compareILb0ELb0ElNS0_19identity_decomposerEEEEE10hipError_tT0_T1_T2_jT3_P12ihipStream_tbPNSt15iterator_traitsISE_E10value_typeEPNSK_ISF_E10value_typeEPSG_NS1_7vsmem_tEENKUlT_SE_SF_SG_E_clIS8_S8_S9_S9_EESD_ST_SE_SF_SG_EUlST_E_NS1_11comp_targetILNS1_3genE5ELNS1_11target_archE942ELNS1_3gpuE9ELNS1_3repE0EEENS1_48merge_mergepath_partition_config_static_selectorELNS0_4arch9wavefront6targetE0EEEvSF_.has_recursion, 0
	.set _ZN7rocprim17ROCPRIM_400000_NS6detail17trampoline_kernelINS0_14default_configENS1_38merge_sort_block_merge_config_selectorIlNS0_10empty_typeEEEZZNS1_27merge_sort_block_merge_implIS3_PlPS5_jNS1_19radix_merge_compareILb0ELb0ElNS0_19identity_decomposerEEEEE10hipError_tT0_T1_T2_jT3_P12ihipStream_tbPNSt15iterator_traitsISE_E10value_typeEPNSK_ISF_E10value_typeEPSG_NS1_7vsmem_tEENKUlT_SE_SF_SG_E_clIS8_S8_S9_S9_EESD_ST_SE_SF_SG_EUlST_E_NS1_11comp_targetILNS1_3genE5ELNS1_11target_archE942ELNS1_3gpuE9ELNS1_3repE0EEENS1_48merge_mergepath_partition_config_static_selectorELNS0_4arch9wavefront6targetE0EEEvSF_.has_indirect_call, 0
	.section	.AMDGPU.csdata,"",@progbits
; Kernel info:
; codeLenInByte = 0
; TotalNumSgprs: 0
; NumVgprs: 0
; ScratchSize: 0
; MemoryBound: 0
; FloatMode: 240
; IeeeMode: 1
; LDSByteSize: 0 bytes/workgroup (compile time only)
; SGPRBlocks: 0
; VGPRBlocks: 0
; NumSGPRsForWavesPerEU: 1
; NumVGPRsForWavesPerEU: 1
; NamedBarCnt: 0
; Occupancy: 16
; WaveLimiterHint : 0
; COMPUTE_PGM_RSRC2:SCRATCH_EN: 0
; COMPUTE_PGM_RSRC2:USER_SGPR: 2
; COMPUTE_PGM_RSRC2:TRAP_HANDLER: 0
; COMPUTE_PGM_RSRC2:TGID_X_EN: 1
; COMPUTE_PGM_RSRC2:TGID_Y_EN: 0
; COMPUTE_PGM_RSRC2:TGID_Z_EN: 0
; COMPUTE_PGM_RSRC2:TIDIG_COMP_CNT: 0
	.section	.text._ZN7rocprim17ROCPRIM_400000_NS6detail17trampoline_kernelINS0_14default_configENS1_38merge_sort_block_merge_config_selectorIlNS0_10empty_typeEEEZZNS1_27merge_sort_block_merge_implIS3_PlPS5_jNS1_19radix_merge_compareILb0ELb0ElNS0_19identity_decomposerEEEEE10hipError_tT0_T1_T2_jT3_P12ihipStream_tbPNSt15iterator_traitsISE_E10value_typeEPNSK_ISF_E10value_typeEPSG_NS1_7vsmem_tEENKUlT_SE_SF_SG_E_clIS8_S8_S9_S9_EESD_ST_SE_SF_SG_EUlST_E_NS1_11comp_targetILNS1_3genE4ELNS1_11target_archE910ELNS1_3gpuE8ELNS1_3repE0EEENS1_48merge_mergepath_partition_config_static_selectorELNS0_4arch9wavefront6targetE0EEEvSF_,"axG",@progbits,_ZN7rocprim17ROCPRIM_400000_NS6detail17trampoline_kernelINS0_14default_configENS1_38merge_sort_block_merge_config_selectorIlNS0_10empty_typeEEEZZNS1_27merge_sort_block_merge_implIS3_PlPS5_jNS1_19radix_merge_compareILb0ELb0ElNS0_19identity_decomposerEEEEE10hipError_tT0_T1_T2_jT3_P12ihipStream_tbPNSt15iterator_traitsISE_E10value_typeEPNSK_ISF_E10value_typeEPSG_NS1_7vsmem_tEENKUlT_SE_SF_SG_E_clIS8_S8_S9_S9_EESD_ST_SE_SF_SG_EUlST_E_NS1_11comp_targetILNS1_3genE4ELNS1_11target_archE910ELNS1_3gpuE8ELNS1_3repE0EEENS1_48merge_mergepath_partition_config_static_selectorELNS0_4arch9wavefront6targetE0EEEvSF_,comdat
	.protected	_ZN7rocprim17ROCPRIM_400000_NS6detail17trampoline_kernelINS0_14default_configENS1_38merge_sort_block_merge_config_selectorIlNS0_10empty_typeEEEZZNS1_27merge_sort_block_merge_implIS3_PlPS5_jNS1_19radix_merge_compareILb0ELb0ElNS0_19identity_decomposerEEEEE10hipError_tT0_T1_T2_jT3_P12ihipStream_tbPNSt15iterator_traitsISE_E10value_typeEPNSK_ISF_E10value_typeEPSG_NS1_7vsmem_tEENKUlT_SE_SF_SG_E_clIS8_S8_S9_S9_EESD_ST_SE_SF_SG_EUlST_E_NS1_11comp_targetILNS1_3genE4ELNS1_11target_archE910ELNS1_3gpuE8ELNS1_3repE0EEENS1_48merge_mergepath_partition_config_static_selectorELNS0_4arch9wavefront6targetE0EEEvSF_ ; -- Begin function _ZN7rocprim17ROCPRIM_400000_NS6detail17trampoline_kernelINS0_14default_configENS1_38merge_sort_block_merge_config_selectorIlNS0_10empty_typeEEEZZNS1_27merge_sort_block_merge_implIS3_PlPS5_jNS1_19radix_merge_compareILb0ELb0ElNS0_19identity_decomposerEEEEE10hipError_tT0_T1_T2_jT3_P12ihipStream_tbPNSt15iterator_traitsISE_E10value_typeEPNSK_ISF_E10value_typeEPSG_NS1_7vsmem_tEENKUlT_SE_SF_SG_E_clIS8_S8_S9_S9_EESD_ST_SE_SF_SG_EUlST_E_NS1_11comp_targetILNS1_3genE4ELNS1_11target_archE910ELNS1_3gpuE8ELNS1_3repE0EEENS1_48merge_mergepath_partition_config_static_selectorELNS0_4arch9wavefront6targetE0EEEvSF_
	.globl	_ZN7rocprim17ROCPRIM_400000_NS6detail17trampoline_kernelINS0_14default_configENS1_38merge_sort_block_merge_config_selectorIlNS0_10empty_typeEEEZZNS1_27merge_sort_block_merge_implIS3_PlPS5_jNS1_19radix_merge_compareILb0ELb0ElNS0_19identity_decomposerEEEEE10hipError_tT0_T1_T2_jT3_P12ihipStream_tbPNSt15iterator_traitsISE_E10value_typeEPNSK_ISF_E10value_typeEPSG_NS1_7vsmem_tEENKUlT_SE_SF_SG_E_clIS8_S8_S9_S9_EESD_ST_SE_SF_SG_EUlST_E_NS1_11comp_targetILNS1_3genE4ELNS1_11target_archE910ELNS1_3gpuE8ELNS1_3repE0EEENS1_48merge_mergepath_partition_config_static_selectorELNS0_4arch9wavefront6targetE0EEEvSF_
	.p2align	8
	.type	_ZN7rocprim17ROCPRIM_400000_NS6detail17trampoline_kernelINS0_14default_configENS1_38merge_sort_block_merge_config_selectorIlNS0_10empty_typeEEEZZNS1_27merge_sort_block_merge_implIS3_PlPS5_jNS1_19radix_merge_compareILb0ELb0ElNS0_19identity_decomposerEEEEE10hipError_tT0_T1_T2_jT3_P12ihipStream_tbPNSt15iterator_traitsISE_E10value_typeEPNSK_ISF_E10value_typeEPSG_NS1_7vsmem_tEENKUlT_SE_SF_SG_E_clIS8_S8_S9_S9_EESD_ST_SE_SF_SG_EUlST_E_NS1_11comp_targetILNS1_3genE4ELNS1_11target_archE910ELNS1_3gpuE8ELNS1_3repE0EEENS1_48merge_mergepath_partition_config_static_selectorELNS0_4arch9wavefront6targetE0EEEvSF_,@function
_ZN7rocprim17ROCPRIM_400000_NS6detail17trampoline_kernelINS0_14default_configENS1_38merge_sort_block_merge_config_selectorIlNS0_10empty_typeEEEZZNS1_27merge_sort_block_merge_implIS3_PlPS5_jNS1_19radix_merge_compareILb0ELb0ElNS0_19identity_decomposerEEEEE10hipError_tT0_T1_T2_jT3_P12ihipStream_tbPNSt15iterator_traitsISE_E10value_typeEPNSK_ISF_E10value_typeEPSG_NS1_7vsmem_tEENKUlT_SE_SF_SG_E_clIS8_S8_S9_S9_EESD_ST_SE_SF_SG_EUlST_E_NS1_11comp_targetILNS1_3genE4ELNS1_11target_archE910ELNS1_3gpuE8ELNS1_3repE0EEENS1_48merge_mergepath_partition_config_static_selectorELNS0_4arch9wavefront6targetE0EEEvSF_: ; @_ZN7rocprim17ROCPRIM_400000_NS6detail17trampoline_kernelINS0_14default_configENS1_38merge_sort_block_merge_config_selectorIlNS0_10empty_typeEEEZZNS1_27merge_sort_block_merge_implIS3_PlPS5_jNS1_19radix_merge_compareILb0ELb0ElNS0_19identity_decomposerEEEEE10hipError_tT0_T1_T2_jT3_P12ihipStream_tbPNSt15iterator_traitsISE_E10value_typeEPNSK_ISF_E10value_typeEPSG_NS1_7vsmem_tEENKUlT_SE_SF_SG_E_clIS8_S8_S9_S9_EESD_ST_SE_SF_SG_EUlST_E_NS1_11comp_targetILNS1_3genE4ELNS1_11target_archE910ELNS1_3gpuE8ELNS1_3repE0EEENS1_48merge_mergepath_partition_config_static_selectorELNS0_4arch9wavefront6targetE0EEEvSF_
; %bb.0:
	.section	.rodata,"a",@progbits
	.p2align	6, 0x0
	.amdhsa_kernel _ZN7rocprim17ROCPRIM_400000_NS6detail17trampoline_kernelINS0_14default_configENS1_38merge_sort_block_merge_config_selectorIlNS0_10empty_typeEEEZZNS1_27merge_sort_block_merge_implIS3_PlPS5_jNS1_19radix_merge_compareILb0ELb0ElNS0_19identity_decomposerEEEEE10hipError_tT0_T1_T2_jT3_P12ihipStream_tbPNSt15iterator_traitsISE_E10value_typeEPNSK_ISF_E10value_typeEPSG_NS1_7vsmem_tEENKUlT_SE_SF_SG_E_clIS8_S8_S9_S9_EESD_ST_SE_SF_SG_EUlST_E_NS1_11comp_targetILNS1_3genE4ELNS1_11target_archE910ELNS1_3gpuE8ELNS1_3repE0EEENS1_48merge_mergepath_partition_config_static_selectorELNS0_4arch9wavefront6targetE0EEEvSF_
		.amdhsa_group_segment_fixed_size 0
		.amdhsa_private_segment_fixed_size 0
		.amdhsa_kernarg_size 40
		.amdhsa_user_sgpr_count 2
		.amdhsa_user_sgpr_dispatch_ptr 0
		.amdhsa_user_sgpr_queue_ptr 0
		.amdhsa_user_sgpr_kernarg_segment_ptr 1
		.amdhsa_user_sgpr_dispatch_id 0
		.amdhsa_user_sgpr_kernarg_preload_length 0
		.amdhsa_user_sgpr_kernarg_preload_offset 0
		.amdhsa_user_sgpr_private_segment_size 0
		.amdhsa_wavefront_size32 1
		.amdhsa_uses_dynamic_stack 0
		.amdhsa_enable_private_segment 0
		.amdhsa_system_sgpr_workgroup_id_x 1
		.amdhsa_system_sgpr_workgroup_id_y 0
		.amdhsa_system_sgpr_workgroup_id_z 0
		.amdhsa_system_sgpr_workgroup_info 0
		.amdhsa_system_vgpr_workitem_id 0
		.amdhsa_next_free_vgpr 1
		.amdhsa_next_free_sgpr 1
		.amdhsa_named_barrier_count 0
		.amdhsa_reserve_vcc 0
		.amdhsa_float_round_mode_32 0
		.amdhsa_float_round_mode_16_64 0
		.amdhsa_float_denorm_mode_32 3
		.amdhsa_float_denorm_mode_16_64 3
		.amdhsa_fp16_overflow 0
		.amdhsa_memory_ordered 1
		.amdhsa_forward_progress 1
		.amdhsa_inst_pref_size 0
		.amdhsa_round_robin_scheduling 0
		.amdhsa_exception_fp_ieee_invalid_op 0
		.amdhsa_exception_fp_denorm_src 0
		.amdhsa_exception_fp_ieee_div_zero 0
		.amdhsa_exception_fp_ieee_overflow 0
		.amdhsa_exception_fp_ieee_underflow 0
		.amdhsa_exception_fp_ieee_inexact 0
		.amdhsa_exception_int_div_zero 0
	.end_amdhsa_kernel
	.section	.text._ZN7rocprim17ROCPRIM_400000_NS6detail17trampoline_kernelINS0_14default_configENS1_38merge_sort_block_merge_config_selectorIlNS0_10empty_typeEEEZZNS1_27merge_sort_block_merge_implIS3_PlPS5_jNS1_19radix_merge_compareILb0ELb0ElNS0_19identity_decomposerEEEEE10hipError_tT0_T1_T2_jT3_P12ihipStream_tbPNSt15iterator_traitsISE_E10value_typeEPNSK_ISF_E10value_typeEPSG_NS1_7vsmem_tEENKUlT_SE_SF_SG_E_clIS8_S8_S9_S9_EESD_ST_SE_SF_SG_EUlST_E_NS1_11comp_targetILNS1_3genE4ELNS1_11target_archE910ELNS1_3gpuE8ELNS1_3repE0EEENS1_48merge_mergepath_partition_config_static_selectorELNS0_4arch9wavefront6targetE0EEEvSF_,"axG",@progbits,_ZN7rocprim17ROCPRIM_400000_NS6detail17trampoline_kernelINS0_14default_configENS1_38merge_sort_block_merge_config_selectorIlNS0_10empty_typeEEEZZNS1_27merge_sort_block_merge_implIS3_PlPS5_jNS1_19radix_merge_compareILb0ELb0ElNS0_19identity_decomposerEEEEE10hipError_tT0_T1_T2_jT3_P12ihipStream_tbPNSt15iterator_traitsISE_E10value_typeEPNSK_ISF_E10value_typeEPSG_NS1_7vsmem_tEENKUlT_SE_SF_SG_E_clIS8_S8_S9_S9_EESD_ST_SE_SF_SG_EUlST_E_NS1_11comp_targetILNS1_3genE4ELNS1_11target_archE910ELNS1_3gpuE8ELNS1_3repE0EEENS1_48merge_mergepath_partition_config_static_selectorELNS0_4arch9wavefront6targetE0EEEvSF_,comdat
.Lfunc_end1144:
	.size	_ZN7rocprim17ROCPRIM_400000_NS6detail17trampoline_kernelINS0_14default_configENS1_38merge_sort_block_merge_config_selectorIlNS0_10empty_typeEEEZZNS1_27merge_sort_block_merge_implIS3_PlPS5_jNS1_19radix_merge_compareILb0ELb0ElNS0_19identity_decomposerEEEEE10hipError_tT0_T1_T2_jT3_P12ihipStream_tbPNSt15iterator_traitsISE_E10value_typeEPNSK_ISF_E10value_typeEPSG_NS1_7vsmem_tEENKUlT_SE_SF_SG_E_clIS8_S8_S9_S9_EESD_ST_SE_SF_SG_EUlST_E_NS1_11comp_targetILNS1_3genE4ELNS1_11target_archE910ELNS1_3gpuE8ELNS1_3repE0EEENS1_48merge_mergepath_partition_config_static_selectorELNS0_4arch9wavefront6targetE0EEEvSF_, .Lfunc_end1144-_ZN7rocprim17ROCPRIM_400000_NS6detail17trampoline_kernelINS0_14default_configENS1_38merge_sort_block_merge_config_selectorIlNS0_10empty_typeEEEZZNS1_27merge_sort_block_merge_implIS3_PlPS5_jNS1_19radix_merge_compareILb0ELb0ElNS0_19identity_decomposerEEEEE10hipError_tT0_T1_T2_jT3_P12ihipStream_tbPNSt15iterator_traitsISE_E10value_typeEPNSK_ISF_E10value_typeEPSG_NS1_7vsmem_tEENKUlT_SE_SF_SG_E_clIS8_S8_S9_S9_EESD_ST_SE_SF_SG_EUlST_E_NS1_11comp_targetILNS1_3genE4ELNS1_11target_archE910ELNS1_3gpuE8ELNS1_3repE0EEENS1_48merge_mergepath_partition_config_static_selectorELNS0_4arch9wavefront6targetE0EEEvSF_
                                        ; -- End function
	.set _ZN7rocprim17ROCPRIM_400000_NS6detail17trampoline_kernelINS0_14default_configENS1_38merge_sort_block_merge_config_selectorIlNS0_10empty_typeEEEZZNS1_27merge_sort_block_merge_implIS3_PlPS5_jNS1_19radix_merge_compareILb0ELb0ElNS0_19identity_decomposerEEEEE10hipError_tT0_T1_T2_jT3_P12ihipStream_tbPNSt15iterator_traitsISE_E10value_typeEPNSK_ISF_E10value_typeEPSG_NS1_7vsmem_tEENKUlT_SE_SF_SG_E_clIS8_S8_S9_S9_EESD_ST_SE_SF_SG_EUlST_E_NS1_11comp_targetILNS1_3genE4ELNS1_11target_archE910ELNS1_3gpuE8ELNS1_3repE0EEENS1_48merge_mergepath_partition_config_static_selectorELNS0_4arch9wavefront6targetE0EEEvSF_.num_vgpr, 0
	.set _ZN7rocprim17ROCPRIM_400000_NS6detail17trampoline_kernelINS0_14default_configENS1_38merge_sort_block_merge_config_selectorIlNS0_10empty_typeEEEZZNS1_27merge_sort_block_merge_implIS3_PlPS5_jNS1_19radix_merge_compareILb0ELb0ElNS0_19identity_decomposerEEEEE10hipError_tT0_T1_T2_jT3_P12ihipStream_tbPNSt15iterator_traitsISE_E10value_typeEPNSK_ISF_E10value_typeEPSG_NS1_7vsmem_tEENKUlT_SE_SF_SG_E_clIS8_S8_S9_S9_EESD_ST_SE_SF_SG_EUlST_E_NS1_11comp_targetILNS1_3genE4ELNS1_11target_archE910ELNS1_3gpuE8ELNS1_3repE0EEENS1_48merge_mergepath_partition_config_static_selectorELNS0_4arch9wavefront6targetE0EEEvSF_.num_agpr, 0
	.set _ZN7rocprim17ROCPRIM_400000_NS6detail17trampoline_kernelINS0_14default_configENS1_38merge_sort_block_merge_config_selectorIlNS0_10empty_typeEEEZZNS1_27merge_sort_block_merge_implIS3_PlPS5_jNS1_19radix_merge_compareILb0ELb0ElNS0_19identity_decomposerEEEEE10hipError_tT0_T1_T2_jT3_P12ihipStream_tbPNSt15iterator_traitsISE_E10value_typeEPNSK_ISF_E10value_typeEPSG_NS1_7vsmem_tEENKUlT_SE_SF_SG_E_clIS8_S8_S9_S9_EESD_ST_SE_SF_SG_EUlST_E_NS1_11comp_targetILNS1_3genE4ELNS1_11target_archE910ELNS1_3gpuE8ELNS1_3repE0EEENS1_48merge_mergepath_partition_config_static_selectorELNS0_4arch9wavefront6targetE0EEEvSF_.numbered_sgpr, 0
	.set _ZN7rocprim17ROCPRIM_400000_NS6detail17trampoline_kernelINS0_14default_configENS1_38merge_sort_block_merge_config_selectorIlNS0_10empty_typeEEEZZNS1_27merge_sort_block_merge_implIS3_PlPS5_jNS1_19radix_merge_compareILb0ELb0ElNS0_19identity_decomposerEEEEE10hipError_tT0_T1_T2_jT3_P12ihipStream_tbPNSt15iterator_traitsISE_E10value_typeEPNSK_ISF_E10value_typeEPSG_NS1_7vsmem_tEENKUlT_SE_SF_SG_E_clIS8_S8_S9_S9_EESD_ST_SE_SF_SG_EUlST_E_NS1_11comp_targetILNS1_3genE4ELNS1_11target_archE910ELNS1_3gpuE8ELNS1_3repE0EEENS1_48merge_mergepath_partition_config_static_selectorELNS0_4arch9wavefront6targetE0EEEvSF_.num_named_barrier, 0
	.set _ZN7rocprim17ROCPRIM_400000_NS6detail17trampoline_kernelINS0_14default_configENS1_38merge_sort_block_merge_config_selectorIlNS0_10empty_typeEEEZZNS1_27merge_sort_block_merge_implIS3_PlPS5_jNS1_19radix_merge_compareILb0ELb0ElNS0_19identity_decomposerEEEEE10hipError_tT0_T1_T2_jT3_P12ihipStream_tbPNSt15iterator_traitsISE_E10value_typeEPNSK_ISF_E10value_typeEPSG_NS1_7vsmem_tEENKUlT_SE_SF_SG_E_clIS8_S8_S9_S9_EESD_ST_SE_SF_SG_EUlST_E_NS1_11comp_targetILNS1_3genE4ELNS1_11target_archE910ELNS1_3gpuE8ELNS1_3repE0EEENS1_48merge_mergepath_partition_config_static_selectorELNS0_4arch9wavefront6targetE0EEEvSF_.private_seg_size, 0
	.set _ZN7rocprim17ROCPRIM_400000_NS6detail17trampoline_kernelINS0_14default_configENS1_38merge_sort_block_merge_config_selectorIlNS0_10empty_typeEEEZZNS1_27merge_sort_block_merge_implIS3_PlPS5_jNS1_19radix_merge_compareILb0ELb0ElNS0_19identity_decomposerEEEEE10hipError_tT0_T1_T2_jT3_P12ihipStream_tbPNSt15iterator_traitsISE_E10value_typeEPNSK_ISF_E10value_typeEPSG_NS1_7vsmem_tEENKUlT_SE_SF_SG_E_clIS8_S8_S9_S9_EESD_ST_SE_SF_SG_EUlST_E_NS1_11comp_targetILNS1_3genE4ELNS1_11target_archE910ELNS1_3gpuE8ELNS1_3repE0EEENS1_48merge_mergepath_partition_config_static_selectorELNS0_4arch9wavefront6targetE0EEEvSF_.uses_vcc, 0
	.set _ZN7rocprim17ROCPRIM_400000_NS6detail17trampoline_kernelINS0_14default_configENS1_38merge_sort_block_merge_config_selectorIlNS0_10empty_typeEEEZZNS1_27merge_sort_block_merge_implIS3_PlPS5_jNS1_19radix_merge_compareILb0ELb0ElNS0_19identity_decomposerEEEEE10hipError_tT0_T1_T2_jT3_P12ihipStream_tbPNSt15iterator_traitsISE_E10value_typeEPNSK_ISF_E10value_typeEPSG_NS1_7vsmem_tEENKUlT_SE_SF_SG_E_clIS8_S8_S9_S9_EESD_ST_SE_SF_SG_EUlST_E_NS1_11comp_targetILNS1_3genE4ELNS1_11target_archE910ELNS1_3gpuE8ELNS1_3repE0EEENS1_48merge_mergepath_partition_config_static_selectorELNS0_4arch9wavefront6targetE0EEEvSF_.uses_flat_scratch, 0
	.set _ZN7rocprim17ROCPRIM_400000_NS6detail17trampoline_kernelINS0_14default_configENS1_38merge_sort_block_merge_config_selectorIlNS0_10empty_typeEEEZZNS1_27merge_sort_block_merge_implIS3_PlPS5_jNS1_19radix_merge_compareILb0ELb0ElNS0_19identity_decomposerEEEEE10hipError_tT0_T1_T2_jT3_P12ihipStream_tbPNSt15iterator_traitsISE_E10value_typeEPNSK_ISF_E10value_typeEPSG_NS1_7vsmem_tEENKUlT_SE_SF_SG_E_clIS8_S8_S9_S9_EESD_ST_SE_SF_SG_EUlST_E_NS1_11comp_targetILNS1_3genE4ELNS1_11target_archE910ELNS1_3gpuE8ELNS1_3repE0EEENS1_48merge_mergepath_partition_config_static_selectorELNS0_4arch9wavefront6targetE0EEEvSF_.has_dyn_sized_stack, 0
	.set _ZN7rocprim17ROCPRIM_400000_NS6detail17trampoline_kernelINS0_14default_configENS1_38merge_sort_block_merge_config_selectorIlNS0_10empty_typeEEEZZNS1_27merge_sort_block_merge_implIS3_PlPS5_jNS1_19radix_merge_compareILb0ELb0ElNS0_19identity_decomposerEEEEE10hipError_tT0_T1_T2_jT3_P12ihipStream_tbPNSt15iterator_traitsISE_E10value_typeEPNSK_ISF_E10value_typeEPSG_NS1_7vsmem_tEENKUlT_SE_SF_SG_E_clIS8_S8_S9_S9_EESD_ST_SE_SF_SG_EUlST_E_NS1_11comp_targetILNS1_3genE4ELNS1_11target_archE910ELNS1_3gpuE8ELNS1_3repE0EEENS1_48merge_mergepath_partition_config_static_selectorELNS0_4arch9wavefront6targetE0EEEvSF_.has_recursion, 0
	.set _ZN7rocprim17ROCPRIM_400000_NS6detail17trampoline_kernelINS0_14default_configENS1_38merge_sort_block_merge_config_selectorIlNS0_10empty_typeEEEZZNS1_27merge_sort_block_merge_implIS3_PlPS5_jNS1_19radix_merge_compareILb0ELb0ElNS0_19identity_decomposerEEEEE10hipError_tT0_T1_T2_jT3_P12ihipStream_tbPNSt15iterator_traitsISE_E10value_typeEPNSK_ISF_E10value_typeEPSG_NS1_7vsmem_tEENKUlT_SE_SF_SG_E_clIS8_S8_S9_S9_EESD_ST_SE_SF_SG_EUlST_E_NS1_11comp_targetILNS1_3genE4ELNS1_11target_archE910ELNS1_3gpuE8ELNS1_3repE0EEENS1_48merge_mergepath_partition_config_static_selectorELNS0_4arch9wavefront6targetE0EEEvSF_.has_indirect_call, 0
	.section	.AMDGPU.csdata,"",@progbits
; Kernel info:
; codeLenInByte = 0
; TotalNumSgprs: 0
; NumVgprs: 0
; ScratchSize: 0
; MemoryBound: 0
; FloatMode: 240
; IeeeMode: 1
; LDSByteSize: 0 bytes/workgroup (compile time only)
; SGPRBlocks: 0
; VGPRBlocks: 0
; NumSGPRsForWavesPerEU: 1
; NumVGPRsForWavesPerEU: 1
; NamedBarCnt: 0
; Occupancy: 16
; WaveLimiterHint : 0
; COMPUTE_PGM_RSRC2:SCRATCH_EN: 0
; COMPUTE_PGM_RSRC2:USER_SGPR: 2
; COMPUTE_PGM_RSRC2:TRAP_HANDLER: 0
; COMPUTE_PGM_RSRC2:TGID_X_EN: 1
; COMPUTE_PGM_RSRC2:TGID_Y_EN: 0
; COMPUTE_PGM_RSRC2:TGID_Z_EN: 0
; COMPUTE_PGM_RSRC2:TIDIG_COMP_CNT: 0
	.section	.text._ZN7rocprim17ROCPRIM_400000_NS6detail17trampoline_kernelINS0_14default_configENS1_38merge_sort_block_merge_config_selectorIlNS0_10empty_typeEEEZZNS1_27merge_sort_block_merge_implIS3_PlPS5_jNS1_19radix_merge_compareILb0ELb0ElNS0_19identity_decomposerEEEEE10hipError_tT0_T1_T2_jT3_P12ihipStream_tbPNSt15iterator_traitsISE_E10value_typeEPNSK_ISF_E10value_typeEPSG_NS1_7vsmem_tEENKUlT_SE_SF_SG_E_clIS8_S8_S9_S9_EESD_ST_SE_SF_SG_EUlST_E_NS1_11comp_targetILNS1_3genE3ELNS1_11target_archE908ELNS1_3gpuE7ELNS1_3repE0EEENS1_48merge_mergepath_partition_config_static_selectorELNS0_4arch9wavefront6targetE0EEEvSF_,"axG",@progbits,_ZN7rocprim17ROCPRIM_400000_NS6detail17trampoline_kernelINS0_14default_configENS1_38merge_sort_block_merge_config_selectorIlNS0_10empty_typeEEEZZNS1_27merge_sort_block_merge_implIS3_PlPS5_jNS1_19radix_merge_compareILb0ELb0ElNS0_19identity_decomposerEEEEE10hipError_tT0_T1_T2_jT3_P12ihipStream_tbPNSt15iterator_traitsISE_E10value_typeEPNSK_ISF_E10value_typeEPSG_NS1_7vsmem_tEENKUlT_SE_SF_SG_E_clIS8_S8_S9_S9_EESD_ST_SE_SF_SG_EUlST_E_NS1_11comp_targetILNS1_3genE3ELNS1_11target_archE908ELNS1_3gpuE7ELNS1_3repE0EEENS1_48merge_mergepath_partition_config_static_selectorELNS0_4arch9wavefront6targetE0EEEvSF_,comdat
	.protected	_ZN7rocprim17ROCPRIM_400000_NS6detail17trampoline_kernelINS0_14default_configENS1_38merge_sort_block_merge_config_selectorIlNS0_10empty_typeEEEZZNS1_27merge_sort_block_merge_implIS3_PlPS5_jNS1_19radix_merge_compareILb0ELb0ElNS0_19identity_decomposerEEEEE10hipError_tT0_T1_T2_jT3_P12ihipStream_tbPNSt15iterator_traitsISE_E10value_typeEPNSK_ISF_E10value_typeEPSG_NS1_7vsmem_tEENKUlT_SE_SF_SG_E_clIS8_S8_S9_S9_EESD_ST_SE_SF_SG_EUlST_E_NS1_11comp_targetILNS1_3genE3ELNS1_11target_archE908ELNS1_3gpuE7ELNS1_3repE0EEENS1_48merge_mergepath_partition_config_static_selectorELNS0_4arch9wavefront6targetE0EEEvSF_ ; -- Begin function _ZN7rocprim17ROCPRIM_400000_NS6detail17trampoline_kernelINS0_14default_configENS1_38merge_sort_block_merge_config_selectorIlNS0_10empty_typeEEEZZNS1_27merge_sort_block_merge_implIS3_PlPS5_jNS1_19radix_merge_compareILb0ELb0ElNS0_19identity_decomposerEEEEE10hipError_tT0_T1_T2_jT3_P12ihipStream_tbPNSt15iterator_traitsISE_E10value_typeEPNSK_ISF_E10value_typeEPSG_NS1_7vsmem_tEENKUlT_SE_SF_SG_E_clIS8_S8_S9_S9_EESD_ST_SE_SF_SG_EUlST_E_NS1_11comp_targetILNS1_3genE3ELNS1_11target_archE908ELNS1_3gpuE7ELNS1_3repE0EEENS1_48merge_mergepath_partition_config_static_selectorELNS0_4arch9wavefront6targetE0EEEvSF_
	.globl	_ZN7rocprim17ROCPRIM_400000_NS6detail17trampoline_kernelINS0_14default_configENS1_38merge_sort_block_merge_config_selectorIlNS0_10empty_typeEEEZZNS1_27merge_sort_block_merge_implIS3_PlPS5_jNS1_19radix_merge_compareILb0ELb0ElNS0_19identity_decomposerEEEEE10hipError_tT0_T1_T2_jT3_P12ihipStream_tbPNSt15iterator_traitsISE_E10value_typeEPNSK_ISF_E10value_typeEPSG_NS1_7vsmem_tEENKUlT_SE_SF_SG_E_clIS8_S8_S9_S9_EESD_ST_SE_SF_SG_EUlST_E_NS1_11comp_targetILNS1_3genE3ELNS1_11target_archE908ELNS1_3gpuE7ELNS1_3repE0EEENS1_48merge_mergepath_partition_config_static_selectorELNS0_4arch9wavefront6targetE0EEEvSF_
	.p2align	8
	.type	_ZN7rocprim17ROCPRIM_400000_NS6detail17trampoline_kernelINS0_14default_configENS1_38merge_sort_block_merge_config_selectorIlNS0_10empty_typeEEEZZNS1_27merge_sort_block_merge_implIS3_PlPS5_jNS1_19radix_merge_compareILb0ELb0ElNS0_19identity_decomposerEEEEE10hipError_tT0_T1_T2_jT3_P12ihipStream_tbPNSt15iterator_traitsISE_E10value_typeEPNSK_ISF_E10value_typeEPSG_NS1_7vsmem_tEENKUlT_SE_SF_SG_E_clIS8_S8_S9_S9_EESD_ST_SE_SF_SG_EUlST_E_NS1_11comp_targetILNS1_3genE3ELNS1_11target_archE908ELNS1_3gpuE7ELNS1_3repE0EEENS1_48merge_mergepath_partition_config_static_selectorELNS0_4arch9wavefront6targetE0EEEvSF_,@function
_ZN7rocprim17ROCPRIM_400000_NS6detail17trampoline_kernelINS0_14default_configENS1_38merge_sort_block_merge_config_selectorIlNS0_10empty_typeEEEZZNS1_27merge_sort_block_merge_implIS3_PlPS5_jNS1_19radix_merge_compareILb0ELb0ElNS0_19identity_decomposerEEEEE10hipError_tT0_T1_T2_jT3_P12ihipStream_tbPNSt15iterator_traitsISE_E10value_typeEPNSK_ISF_E10value_typeEPSG_NS1_7vsmem_tEENKUlT_SE_SF_SG_E_clIS8_S8_S9_S9_EESD_ST_SE_SF_SG_EUlST_E_NS1_11comp_targetILNS1_3genE3ELNS1_11target_archE908ELNS1_3gpuE7ELNS1_3repE0EEENS1_48merge_mergepath_partition_config_static_selectorELNS0_4arch9wavefront6targetE0EEEvSF_: ; @_ZN7rocprim17ROCPRIM_400000_NS6detail17trampoline_kernelINS0_14default_configENS1_38merge_sort_block_merge_config_selectorIlNS0_10empty_typeEEEZZNS1_27merge_sort_block_merge_implIS3_PlPS5_jNS1_19radix_merge_compareILb0ELb0ElNS0_19identity_decomposerEEEEE10hipError_tT0_T1_T2_jT3_P12ihipStream_tbPNSt15iterator_traitsISE_E10value_typeEPNSK_ISF_E10value_typeEPSG_NS1_7vsmem_tEENKUlT_SE_SF_SG_E_clIS8_S8_S9_S9_EESD_ST_SE_SF_SG_EUlST_E_NS1_11comp_targetILNS1_3genE3ELNS1_11target_archE908ELNS1_3gpuE7ELNS1_3repE0EEENS1_48merge_mergepath_partition_config_static_selectorELNS0_4arch9wavefront6targetE0EEEvSF_
; %bb.0:
	.section	.rodata,"a",@progbits
	.p2align	6, 0x0
	.amdhsa_kernel _ZN7rocprim17ROCPRIM_400000_NS6detail17trampoline_kernelINS0_14default_configENS1_38merge_sort_block_merge_config_selectorIlNS0_10empty_typeEEEZZNS1_27merge_sort_block_merge_implIS3_PlPS5_jNS1_19radix_merge_compareILb0ELb0ElNS0_19identity_decomposerEEEEE10hipError_tT0_T1_T2_jT3_P12ihipStream_tbPNSt15iterator_traitsISE_E10value_typeEPNSK_ISF_E10value_typeEPSG_NS1_7vsmem_tEENKUlT_SE_SF_SG_E_clIS8_S8_S9_S9_EESD_ST_SE_SF_SG_EUlST_E_NS1_11comp_targetILNS1_3genE3ELNS1_11target_archE908ELNS1_3gpuE7ELNS1_3repE0EEENS1_48merge_mergepath_partition_config_static_selectorELNS0_4arch9wavefront6targetE0EEEvSF_
		.amdhsa_group_segment_fixed_size 0
		.amdhsa_private_segment_fixed_size 0
		.amdhsa_kernarg_size 40
		.amdhsa_user_sgpr_count 2
		.amdhsa_user_sgpr_dispatch_ptr 0
		.amdhsa_user_sgpr_queue_ptr 0
		.amdhsa_user_sgpr_kernarg_segment_ptr 1
		.amdhsa_user_sgpr_dispatch_id 0
		.amdhsa_user_sgpr_kernarg_preload_length 0
		.amdhsa_user_sgpr_kernarg_preload_offset 0
		.amdhsa_user_sgpr_private_segment_size 0
		.amdhsa_wavefront_size32 1
		.amdhsa_uses_dynamic_stack 0
		.amdhsa_enable_private_segment 0
		.amdhsa_system_sgpr_workgroup_id_x 1
		.amdhsa_system_sgpr_workgroup_id_y 0
		.amdhsa_system_sgpr_workgroup_id_z 0
		.amdhsa_system_sgpr_workgroup_info 0
		.amdhsa_system_vgpr_workitem_id 0
		.amdhsa_next_free_vgpr 1
		.amdhsa_next_free_sgpr 1
		.amdhsa_named_barrier_count 0
		.amdhsa_reserve_vcc 0
		.amdhsa_float_round_mode_32 0
		.amdhsa_float_round_mode_16_64 0
		.amdhsa_float_denorm_mode_32 3
		.amdhsa_float_denorm_mode_16_64 3
		.amdhsa_fp16_overflow 0
		.amdhsa_memory_ordered 1
		.amdhsa_forward_progress 1
		.amdhsa_inst_pref_size 0
		.amdhsa_round_robin_scheduling 0
		.amdhsa_exception_fp_ieee_invalid_op 0
		.amdhsa_exception_fp_denorm_src 0
		.amdhsa_exception_fp_ieee_div_zero 0
		.amdhsa_exception_fp_ieee_overflow 0
		.amdhsa_exception_fp_ieee_underflow 0
		.amdhsa_exception_fp_ieee_inexact 0
		.amdhsa_exception_int_div_zero 0
	.end_amdhsa_kernel
	.section	.text._ZN7rocprim17ROCPRIM_400000_NS6detail17trampoline_kernelINS0_14default_configENS1_38merge_sort_block_merge_config_selectorIlNS0_10empty_typeEEEZZNS1_27merge_sort_block_merge_implIS3_PlPS5_jNS1_19radix_merge_compareILb0ELb0ElNS0_19identity_decomposerEEEEE10hipError_tT0_T1_T2_jT3_P12ihipStream_tbPNSt15iterator_traitsISE_E10value_typeEPNSK_ISF_E10value_typeEPSG_NS1_7vsmem_tEENKUlT_SE_SF_SG_E_clIS8_S8_S9_S9_EESD_ST_SE_SF_SG_EUlST_E_NS1_11comp_targetILNS1_3genE3ELNS1_11target_archE908ELNS1_3gpuE7ELNS1_3repE0EEENS1_48merge_mergepath_partition_config_static_selectorELNS0_4arch9wavefront6targetE0EEEvSF_,"axG",@progbits,_ZN7rocprim17ROCPRIM_400000_NS6detail17trampoline_kernelINS0_14default_configENS1_38merge_sort_block_merge_config_selectorIlNS0_10empty_typeEEEZZNS1_27merge_sort_block_merge_implIS3_PlPS5_jNS1_19radix_merge_compareILb0ELb0ElNS0_19identity_decomposerEEEEE10hipError_tT0_T1_T2_jT3_P12ihipStream_tbPNSt15iterator_traitsISE_E10value_typeEPNSK_ISF_E10value_typeEPSG_NS1_7vsmem_tEENKUlT_SE_SF_SG_E_clIS8_S8_S9_S9_EESD_ST_SE_SF_SG_EUlST_E_NS1_11comp_targetILNS1_3genE3ELNS1_11target_archE908ELNS1_3gpuE7ELNS1_3repE0EEENS1_48merge_mergepath_partition_config_static_selectorELNS0_4arch9wavefront6targetE0EEEvSF_,comdat
.Lfunc_end1145:
	.size	_ZN7rocprim17ROCPRIM_400000_NS6detail17trampoline_kernelINS0_14default_configENS1_38merge_sort_block_merge_config_selectorIlNS0_10empty_typeEEEZZNS1_27merge_sort_block_merge_implIS3_PlPS5_jNS1_19radix_merge_compareILb0ELb0ElNS0_19identity_decomposerEEEEE10hipError_tT0_T1_T2_jT3_P12ihipStream_tbPNSt15iterator_traitsISE_E10value_typeEPNSK_ISF_E10value_typeEPSG_NS1_7vsmem_tEENKUlT_SE_SF_SG_E_clIS8_S8_S9_S9_EESD_ST_SE_SF_SG_EUlST_E_NS1_11comp_targetILNS1_3genE3ELNS1_11target_archE908ELNS1_3gpuE7ELNS1_3repE0EEENS1_48merge_mergepath_partition_config_static_selectorELNS0_4arch9wavefront6targetE0EEEvSF_, .Lfunc_end1145-_ZN7rocprim17ROCPRIM_400000_NS6detail17trampoline_kernelINS0_14default_configENS1_38merge_sort_block_merge_config_selectorIlNS0_10empty_typeEEEZZNS1_27merge_sort_block_merge_implIS3_PlPS5_jNS1_19radix_merge_compareILb0ELb0ElNS0_19identity_decomposerEEEEE10hipError_tT0_T1_T2_jT3_P12ihipStream_tbPNSt15iterator_traitsISE_E10value_typeEPNSK_ISF_E10value_typeEPSG_NS1_7vsmem_tEENKUlT_SE_SF_SG_E_clIS8_S8_S9_S9_EESD_ST_SE_SF_SG_EUlST_E_NS1_11comp_targetILNS1_3genE3ELNS1_11target_archE908ELNS1_3gpuE7ELNS1_3repE0EEENS1_48merge_mergepath_partition_config_static_selectorELNS0_4arch9wavefront6targetE0EEEvSF_
                                        ; -- End function
	.set _ZN7rocprim17ROCPRIM_400000_NS6detail17trampoline_kernelINS0_14default_configENS1_38merge_sort_block_merge_config_selectorIlNS0_10empty_typeEEEZZNS1_27merge_sort_block_merge_implIS3_PlPS5_jNS1_19radix_merge_compareILb0ELb0ElNS0_19identity_decomposerEEEEE10hipError_tT0_T1_T2_jT3_P12ihipStream_tbPNSt15iterator_traitsISE_E10value_typeEPNSK_ISF_E10value_typeEPSG_NS1_7vsmem_tEENKUlT_SE_SF_SG_E_clIS8_S8_S9_S9_EESD_ST_SE_SF_SG_EUlST_E_NS1_11comp_targetILNS1_3genE3ELNS1_11target_archE908ELNS1_3gpuE7ELNS1_3repE0EEENS1_48merge_mergepath_partition_config_static_selectorELNS0_4arch9wavefront6targetE0EEEvSF_.num_vgpr, 0
	.set _ZN7rocprim17ROCPRIM_400000_NS6detail17trampoline_kernelINS0_14default_configENS1_38merge_sort_block_merge_config_selectorIlNS0_10empty_typeEEEZZNS1_27merge_sort_block_merge_implIS3_PlPS5_jNS1_19radix_merge_compareILb0ELb0ElNS0_19identity_decomposerEEEEE10hipError_tT0_T1_T2_jT3_P12ihipStream_tbPNSt15iterator_traitsISE_E10value_typeEPNSK_ISF_E10value_typeEPSG_NS1_7vsmem_tEENKUlT_SE_SF_SG_E_clIS8_S8_S9_S9_EESD_ST_SE_SF_SG_EUlST_E_NS1_11comp_targetILNS1_3genE3ELNS1_11target_archE908ELNS1_3gpuE7ELNS1_3repE0EEENS1_48merge_mergepath_partition_config_static_selectorELNS0_4arch9wavefront6targetE0EEEvSF_.num_agpr, 0
	.set _ZN7rocprim17ROCPRIM_400000_NS6detail17trampoline_kernelINS0_14default_configENS1_38merge_sort_block_merge_config_selectorIlNS0_10empty_typeEEEZZNS1_27merge_sort_block_merge_implIS3_PlPS5_jNS1_19radix_merge_compareILb0ELb0ElNS0_19identity_decomposerEEEEE10hipError_tT0_T1_T2_jT3_P12ihipStream_tbPNSt15iterator_traitsISE_E10value_typeEPNSK_ISF_E10value_typeEPSG_NS1_7vsmem_tEENKUlT_SE_SF_SG_E_clIS8_S8_S9_S9_EESD_ST_SE_SF_SG_EUlST_E_NS1_11comp_targetILNS1_3genE3ELNS1_11target_archE908ELNS1_3gpuE7ELNS1_3repE0EEENS1_48merge_mergepath_partition_config_static_selectorELNS0_4arch9wavefront6targetE0EEEvSF_.numbered_sgpr, 0
	.set _ZN7rocprim17ROCPRIM_400000_NS6detail17trampoline_kernelINS0_14default_configENS1_38merge_sort_block_merge_config_selectorIlNS0_10empty_typeEEEZZNS1_27merge_sort_block_merge_implIS3_PlPS5_jNS1_19radix_merge_compareILb0ELb0ElNS0_19identity_decomposerEEEEE10hipError_tT0_T1_T2_jT3_P12ihipStream_tbPNSt15iterator_traitsISE_E10value_typeEPNSK_ISF_E10value_typeEPSG_NS1_7vsmem_tEENKUlT_SE_SF_SG_E_clIS8_S8_S9_S9_EESD_ST_SE_SF_SG_EUlST_E_NS1_11comp_targetILNS1_3genE3ELNS1_11target_archE908ELNS1_3gpuE7ELNS1_3repE0EEENS1_48merge_mergepath_partition_config_static_selectorELNS0_4arch9wavefront6targetE0EEEvSF_.num_named_barrier, 0
	.set _ZN7rocprim17ROCPRIM_400000_NS6detail17trampoline_kernelINS0_14default_configENS1_38merge_sort_block_merge_config_selectorIlNS0_10empty_typeEEEZZNS1_27merge_sort_block_merge_implIS3_PlPS5_jNS1_19radix_merge_compareILb0ELb0ElNS0_19identity_decomposerEEEEE10hipError_tT0_T1_T2_jT3_P12ihipStream_tbPNSt15iterator_traitsISE_E10value_typeEPNSK_ISF_E10value_typeEPSG_NS1_7vsmem_tEENKUlT_SE_SF_SG_E_clIS8_S8_S9_S9_EESD_ST_SE_SF_SG_EUlST_E_NS1_11comp_targetILNS1_3genE3ELNS1_11target_archE908ELNS1_3gpuE7ELNS1_3repE0EEENS1_48merge_mergepath_partition_config_static_selectorELNS0_4arch9wavefront6targetE0EEEvSF_.private_seg_size, 0
	.set _ZN7rocprim17ROCPRIM_400000_NS6detail17trampoline_kernelINS0_14default_configENS1_38merge_sort_block_merge_config_selectorIlNS0_10empty_typeEEEZZNS1_27merge_sort_block_merge_implIS3_PlPS5_jNS1_19radix_merge_compareILb0ELb0ElNS0_19identity_decomposerEEEEE10hipError_tT0_T1_T2_jT3_P12ihipStream_tbPNSt15iterator_traitsISE_E10value_typeEPNSK_ISF_E10value_typeEPSG_NS1_7vsmem_tEENKUlT_SE_SF_SG_E_clIS8_S8_S9_S9_EESD_ST_SE_SF_SG_EUlST_E_NS1_11comp_targetILNS1_3genE3ELNS1_11target_archE908ELNS1_3gpuE7ELNS1_3repE0EEENS1_48merge_mergepath_partition_config_static_selectorELNS0_4arch9wavefront6targetE0EEEvSF_.uses_vcc, 0
	.set _ZN7rocprim17ROCPRIM_400000_NS6detail17trampoline_kernelINS0_14default_configENS1_38merge_sort_block_merge_config_selectorIlNS0_10empty_typeEEEZZNS1_27merge_sort_block_merge_implIS3_PlPS5_jNS1_19radix_merge_compareILb0ELb0ElNS0_19identity_decomposerEEEEE10hipError_tT0_T1_T2_jT3_P12ihipStream_tbPNSt15iterator_traitsISE_E10value_typeEPNSK_ISF_E10value_typeEPSG_NS1_7vsmem_tEENKUlT_SE_SF_SG_E_clIS8_S8_S9_S9_EESD_ST_SE_SF_SG_EUlST_E_NS1_11comp_targetILNS1_3genE3ELNS1_11target_archE908ELNS1_3gpuE7ELNS1_3repE0EEENS1_48merge_mergepath_partition_config_static_selectorELNS0_4arch9wavefront6targetE0EEEvSF_.uses_flat_scratch, 0
	.set _ZN7rocprim17ROCPRIM_400000_NS6detail17trampoline_kernelINS0_14default_configENS1_38merge_sort_block_merge_config_selectorIlNS0_10empty_typeEEEZZNS1_27merge_sort_block_merge_implIS3_PlPS5_jNS1_19radix_merge_compareILb0ELb0ElNS0_19identity_decomposerEEEEE10hipError_tT0_T1_T2_jT3_P12ihipStream_tbPNSt15iterator_traitsISE_E10value_typeEPNSK_ISF_E10value_typeEPSG_NS1_7vsmem_tEENKUlT_SE_SF_SG_E_clIS8_S8_S9_S9_EESD_ST_SE_SF_SG_EUlST_E_NS1_11comp_targetILNS1_3genE3ELNS1_11target_archE908ELNS1_3gpuE7ELNS1_3repE0EEENS1_48merge_mergepath_partition_config_static_selectorELNS0_4arch9wavefront6targetE0EEEvSF_.has_dyn_sized_stack, 0
	.set _ZN7rocprim17ROCPRIM_400000_NS6detail17trampoline_kernelINS0_14default_configENS1_38merge_sort_block_merge_config_selectorIlNS0_10empty_typeEEEZZNS1_27merge_sort_block_merge_implIS3_PlPS5_jNS1_19radix_merge_compareILb0ELb0ElNS0_19identity_decomposerEEEEE10hipError_tT0_T1_T2_jT3_P12ihipStream_tbPNSt15iterator_traitsISE_E10value_typeEPNSK_ISF_E10value_typeEPSG_NS1_7vsmem_tEENKUlT_SE_SF_SG_E_clIS8_S8_S9_S9_EESD_ST_SE_SF_SG_EUlST_E_NS1_11comp_targetILNS1_3genE3ELNS1_11target_archE908ELNS1_3gpuE7ELNS1_3repE0EEENS1_48merge_mergepath_partition_config_static_selectorELNS0_4arch9wavefront6targetE0EEEvSF_.has_recursion, 0
	.set _ZN7rocprim17ROCPRIM_400000_NS6detail17trampoline_kernelINS0_14default_configENS1_38merge_sort_block_merge_config_selectorIlNS0_10empty_typeEEEZZNS1_27merge_sort_block_merge_implIS3_PlPS5_jNS1_19radix_merge_compareILb0ELb0ElNS0_19identity_decomposerEEEEE10hipError_tT0_T1_T2_jT3_P12ihipStream_tbPNSt15iterator_traitsISE_E10value_typeEPNSK_ISF_E10value_typeEPSG_NS1_7vsmem_tEENKUlT_SE_SF_SG_E_clIS8_S8_S9_S9_EESD_ST_SE_SF_SG_EUlST_E_NS1_11comp_targetILNS1_3genE3ELNS1_11target_archE908ELNS1_3gpuE7ELNS1_3repE0EEENS1_48merge_mergepath_partition_config_static_selectorELNS0_4arch9wavefront6targetE0EEEvSF_.has_indirect_call, 0
	.section	.AMDGPU.csdata,"",@progbits
; Kernel info:
; codeLenInByte = 0
; TotalNumSgprs: 0
; NumVgprs: 0
; ScratchSize: 0
; MemoryBound: 0
; FloatMode: 240
; IeeeMode: 1
; LDSByteSize: 0 bytes/workgroup (compile time only)
; SGPRBlocks: 0
; VGPRBlocks: 0
; NumSGPRsForWavesPerEU: 1
; NumVGPRsForWavesPerEU: 1
; NamedBarCnt: 0
; Occupancy: 16
; WaveLimiterHint : 0
; COMPUTE_PGM_RSRC2:SCRATCH_EN: 0
; COMPUTE_PGM_RSRC2:USER_SGPR: 2
; COMPUTE_PGM_RSRC2:TRAP_HANDLER: 0
; COMPUTE_PGM_RSRC2:TGID_X_EN: 1
; COMPUTE_PGM_RSRC2:TGID_Y_EN: 0
; COMPUTE_PGM_RSRC2:TGID_Z_EN: 0
; COMPUTE_PGM_RSRC2:TIDIG_COMP_CNT: 0
	.section	.text._ZN7rocprim17ROCPRIM_400000_NS6detail17trampoline_kernelINS0_14default_configENS1_38merge_sort_block_merge_config_selectorIlNS0_10empty_typeEEEZZNS1_27merge_sort_block_merge_implIS3_PlPS5_jNS1_19radix_merge_compareILb0ELb0ElNS0_19identity_decomposerEEEEE10hipError_tT0_T1_T2_jT3_P12ihipStream_tbPNSt15iterator_traitsISE_E10value_typeEPNSK_ISF_E10value_typeEPSG_NS1_7vsmem_tEENKUlT_SE_SF_SG_E_clIS8_S8_S9_S9_EESD_ST_SE_SF_SG_EUlST_E_NS1_11comp_targetILNS1_3genE2ELNS1_11target_archE906ELNS1_3gpuE6ELNS1_3repE0EEENS1_48merge_mergepath_partition_config_static_selectorELNS0_4arch9wavefront6targetE0EEEvSF_,"axG",@progbits,_ZN7rocprim17ROCPRIM_400000_NS6detail17trampoline_kernelINS0_14default_configENS1_38merge_sort_block_merge_config_selectorIlNS0_10empty_typeEEEZZNS1_27merge_sort_block_merge_implIS3_PlPS5_jNS1_19radix_merge_compareILb0ELb0ElNS0_19identity_decomposerEEEEE10hipError_tT0_T1_T2_jT3_P12ihipStream_tbPNSt15iterator_traitsISE_E10value_typeEPNSK_ISF_E10value_typeEPSG_NS1_7vsmem_tEENKUlT_SE_SF_SG_E_clIS8_S8_S9_S9_EESD_ST_SE_SF_SG_EUlST_E_NS1_11comp_targetILNS1_3genE2ELNS1_11target_archE906ELNS1_3gpuE6ELNS1_3repE0EEENS1_48merge_mergepath_partition_config_static_selectorELNS0_4arch9wavefront6targetE0EEEvSF_,comdat
	.protected	_ZN7rocprim17ROCPRIM_400000_NS6detail17trampoline_kernelINS0_14default_configENS1_38merge_sort_block_merge_config_selectorIlNS0_10empty_typeEEEZZNS1_27merge_sort_block_merge_implIS3_PlPS5_jNS1_19radix_merge_compareILb0ELb0ElNS0_19identity_decomposerEEEEE10hipError_tT0_T1_T2_jT3_P12ihipStream_tbPNSt15iterator_traitsISE_E10value_typeEPNSK_ISF_E10value_typeEPSG_NS1_7vsmem_tEENKUlT_SE_SF_SG_E_clIS8_S8_S9_S9_EESD_ST_SE_SF_SG_EUlST_E_NS1_11comp_targetILNS1_3genE2ELNS1_11target_archE906ELNS1_3gpuE6ELNS1_3repE0EEENS1_48merge_mergepath_partition_config_static_selectorELNS0_4arch9wavefront6targetE0EEEvSF_ ; -- Begin function _ZN7rocprim17ROCPRIM_400000_NS6detail17trampoline_kernelINS0_14default_configENS1_38merge_sort_block_merge_config_selectorIlNS0_10empty_typeEEEZZNS1_27merge_sort_block_merge_implIS3_PlPS5_jNS1_19radix_merge_compareILb0ELb0ElNS0_19identity_decomposerEEEEE10hipError_tT0_T1_T2_jT3_P12ihipStream_tbPNSt15iterator_traitsISE_E10value_typeEPNSK_ISF_E10value_typeEPSG_NS1_7vsmem_tEENKUlT_SE_SF_SG_E_clIS8_S8_S9_S9_EESD_ST_SE_SF_SG_EUlST_E_NS1_11comp_targetILNS1_3genE2ELNS1_11target_archE906ELNS1_3gpuE6ELNS1_3repE0EEENS1_48merge_mergepath_partition_config_static_selectorELNS0_4arch9wavefront6targetE0EEEvSF_
	.globl	_ZN7rocprim17ROCPRIM_400000_NS6detail17trampoline_kernelINS0_14default_configENS1_38merge_sort_block_merge_config_selectorIlNS0_10empty_typeEEEZZNS1_27merge_sort_block_merge_implIS3_PlPS5_jNS1_19radix_merge_compareILb0ELb0ElNS0_19identity_decomposerEEEEE10hipError_tT0_T1_T2_jT3_P12ihipStream_tbPNSt15iterator_traitsISE_E10value_typeEPNSK_ISF_E10value_typeEPSG_NS1_7vsmem_tEENKUlT_SE_SF_SG_E_clIS8_S8_S9_S9_EESD_ST_SE_SF_SG_EUlST_E_NS1_11comp_targetILNS1_3genE2ELNS1_11target_archE906ELNS1_3gpuE6ELNS1_3repE0EEENS1_48merge_mergepath_partition_config_static_selectorELNS0_4arch9wavefront6targetE0EEEvSF_
	.p2align	8
	.type	_ZN7rocprim17ROCPRIM_400000_NS6detail17trampoline_kernelINS0_14default_configENS1_38merge_sort_block_merge_config_selectorIlNS0_10empty_typeEEEZZNS1_27merge_sort_block_merge_implIS3_PlPS5_jNS1_19radix_merge_compareILb0ELb0ElNS0_19identity_decomposerEEEEE10hipError_tT0_T1_T2_jT3_P12ihipStream_tbPNSt15iterator_traitsISE_E10value_typeEPNSK_ISF_E10value_typeEPSG_NS1_7vsmem_tEENKUlT_SE_SF_SG_E_clIS8_S8_S9_S9_EESD_ST_SE_SF_SG_EUlST_E_NS1_11comp_targetILNS1_3genE2ELNS1_11target_archE906ELNS1_3gpuE6ELNS1_3repE0EEENS1_48merge_mergepath_partition_config_static_selectorELNS0_4arch9wavefront6targetE0EEEvSF_,@function
_ZN7rocprim17ROCPRIM_400000_NS6detail17trampoline_kernelINS0_14default_configENS1_38merge_sort_block_merge_config_selectorIlNS0_10empty_typeEEEZZNS1_27merge_sort_block_merge_implIS3_PlPS5_jNS1_19radix_merge_compareILb0ELb0ElNS0_19identity_decomposerEEEEE10hipError_tT0_T1_T2_jT3_P12ihipStream_tbPNSt15iterator_traitsISE_E10value_typeEPNSK_ISF_E10value_typeEPSG_NS1_7vsmem_tEENKUlT_SE_SF_SG_E_clIS8_S8_S9_S9_EESD_ST_SE_SF_SG_EUlST_E_NS1_11comp_targetILNS1_3genE2ELNS1_11target_archE906ELNS1_3gpuE6ELNS1_3repE0EEENS1_48merge_mergepath_partition_config_static_selectorELNS0_4arch9wavefront6targetE0EEEvSF_: ; @_ZN7rocprim17ROCPRIM_400000_NS6detail17trampoline_kernelINS0_14default_configENS1_38merge_sort_block_merge_config_selectorIlNS0_10empty_typeEEEZZNS1_27merge_sort_block_merge_implIS3_PlPS5_jNS1_19radix_merge_compareILb0ELb0ElNS0_19identity_decomposerEEEEE10hipError_tT0_T1_T2_jT3_P12ihipStream_tbPNSt15iterator_traitsISE_E10value_typeEPNSK_ISF_E10value_typeEPSG_NS1_7vsmem_tEENKUlT_SE_SF_SG_E_clIS8_S8_S9_S9_EESD_ST_SE_SF_SG_EUlST_E_NS1_11comp_targetILNS1_3genE2ELNS1_11target_archE906ELNS1_3gpuE6ELNS1_3repE0EEENS1_48merge_mergepath_partition_config_static_selectorELNS0_4arch9wavefront6targetE0EEEvSF_
; %bb.0:
	.section	.rodata,"a",@progbits
	.p2align	6, 0x0
	.amdhsa_kernel _ZN7rocprim17ROCPRIM_400000_NS6detail17trampoline_kernelINS0_14default_configENS1_38merge_sort_block_merge_config_selectorIlNS0_10empty_typeEEEZZNS1_27merge_sort_block_merge_implIS3_PlPS5_jNS1_19radix_merge_compareILb0ELb0ElNS0_19identity_decomposerEEEEE10hipError_tT0_T1_T2_jT3_P12ihipStream_tbPNSt15iterator_traitsISE_E10value_typeEPNSK_ISF_E10value_typeEPSG_NS1_7vsmem_tEENKUlT_SE_SF_SG_E_clIS8_S8_S9_S9_EESD_ST_SE_SF_SG_EUlST_E_NS1_11comp_targetILNS1_3genE2ELNS1_11target_archE906ELNS1_3gpuE6ELNS1_3repE0EEENS1_48merge_mergepath_partition_config_static_selectorELNS0_4arch9wavefront6targetE0EEEvSF_
		.amdhsa_group_segment_fixed_size 0
		.amdhsa_private_segment_fixed_size 0
		.amdhsa_kernarg_size 40
		.amdhsa_user_sgpr_count 2
		.amdhsa_user_sgpr_dispatch_ptr 0
		.amdhsa_user_sgpr_queue_ptr 0
		.amdhsa_user_sgpr_kernarg_segment_ptr 1
		.amdhsa_user_sgpr_dispatch_id 0
		.amdhsa_user_sgpr_kernarg_preload_length 0
		.amdhsa_user_sgpr_kernarg_preload_offset 0
		.amdhsa_user_sgpr_private_segment_size 0
		.amdhsa_wavefront_size32 1
		.amdhsa_uses_dynamic_stack 0
		.amdhsa_enable_private_segment 0
		.amdhsa_system_sgpr_workgroup_id_x 1
		.amdhsa_system_sgpr_workgroup_id_y 0
		.amdhsa_system_sgpr_workgroup_id_z 0
		.amdhsa_system_sgpr_workgroup_info 0
		.amdhsa_system_vgpr_workitem_id 0
		.amdhsa_next_free_vgpr 1
		.amdhsa_next_free_sgpr 1
		.amdhsa_named_barrier_count 0
		.amdhsa_reserve_vcc 0
		.amdhsa_float_round_mode_32 0
		.amdhsa_float_round_mode_16_64 0
		.amdhsa_float_denorm_mode_32 3
		.amdhsa_float_denorm_mode_16_64 3
		.amdhsa_fp16_overflow 0
		.amdhsa_memory_ordered 1
		.amdhsa_forward_progress 1
		.amdhsa_inst_pref_size 0
		.amdhsa_round_robin_scheduling 0
		.amdhsa_exception_fp_ieee_invalid_op 0
		.amdhsa_exception_fp_denorm_src 0
		.amdhsa_exception_fp_ieee_div_zero 0
		.amdhsa_exception_fp_ieee_overflow 0
		.amdhsa_exception_fp_ieee_underflow 0
		.amdhsa_exception_fp_ieee_inexact 0
		.amdhsa_exception_int_div_zero 0
	.end_amdhsa_kernel
	.section	.text._ZN7rocprim17ROCPRIM_400000_NS6detail17trampoline_kernelINS0_14default_configENS1_38merge_sort_block_merge_config_selectorIlNS0_10empty_typeEEEZZNS1_27merge_sort_block_merge_implIS3_PlPS5_jNS1_19radix_merge_compareILb0ELb0ElNS0_19identity_decomposerEEEEE10hipError_tT0_T1_T2_jT3_P12ihipStream_tbPNSt15iterator_traitsISE_E10value_typeEPNSK_ISF_E10value_typeEPSG_NS1_7vsmem_tEENKUlT_SE_SF_SG_E_clIS8_S8_S9_S9_EESD_ST_SE_SF_SG_EUlST_E_NS1_11comp_targetILNS1_3genE2ELNS1_11target_archE906ELNS1_3gpuE6ELNS1_3repE0EEENS1_48merge_mergepath_partition_config_static_selectorELNS0_4arch9wavefront6targetE0EEEvSF_,"axG",@progbits,_ZN7rocprim17ROCPRIM_400000_NS6detail17trampoline_kernelINS0_14default_configENS1_38merge_sort_block_merge_config_selectorIlNS0_10empty_typeEEEZZNS1_27merge_sort_block_merge_implIS3_PlPS5_jNS1_19radix_merge_compareILb0ELb0ElNS0_19identity_decomposerEEEEE10hipError_tT0_T1_T2_jT3_P12ihipStream_tbPNSt15iterator_traitsISE_E10value_typeEPNSK_ISF_E10value_typeEPSG_NS1_7vsmem_tEENKUlT_SE_SF_SG_E_clIS8_S8_S9_S9_EESD_ST_SE_SF_SG_EUlST_E_NS1_11comp_targetILNS1_3genE2ELNS1_11target_archE906ELNS1_3gpuE6ELNS1_3repE0EEENS1_48merge_mergepath_partition_config_static_selectorELNS0_4arch9wavefront6targetE0EEEvSF_,comdat
.Lfunc_end1146:
	.size	_ZN7rocprim17ROCPRIM_400000_NS6detail17trampoline_kernelINS0_14default_configENS1_38merge_sort_block_merge_config_selectorIlNS0_10empty_typeEEEZZNS1_27merge_sort_block_merge_implIS3_PlPS5_jNS1_19radix_merge_compareILb0ELb0ElNS0_19identity_decomposerEEEEE10hipError_tT0_T1_T2_jT3_P12ihipStream_tbPNSt15iterator_traitsISE_E10value_typeEPNSK_ISF_E10value_typeEPSG_NS1_7vsmem_tEENKUlT_SE_SF_SG_E_clIS8_S8_S9_S9_EESD_ST_SE_SF_SG_EUlST_E_NS1_11comp_targetILNS1_3genE2ELNS1_11target_archE906ELNS1_3gpuE6ELNS1_3repE0EEENS1_48merge_mergepath_partition_config_static_selectorELNS0_4arch9wavefront6targetE0EEEvSF_, .Lfunc_end1146-_ZN7rocprim17ROCPRIM_400000_NS6detail17trampoline_kernelINS0_14default_configENS1_38merge_sort_block_merge_config_selectorIlNS0_10empty_typeEEEZZNS1_27merge_sort_block_merge_implIS3_PlPS5_jNS1_19radix_merge_compareILb0ELb0ElNS0_19identity_decomposerEEEEE10hipError_tT0_T1_T2_jT3_P12ihipStream_tbPNSt15iterator_traitsISE_E10value_typeEPNSK_ISF_E10value_typeEPSG_NS1_7vsmem_tEENKUlT_SE_SF_SG_E_clIS8_S8_S9_S9_EESD_ST_SE_SF_SG_EUlST_E_NS1_11comp_targetILNS1_3genE2ELNS1_11target_archE906ELNS1_3gpuE6ELNS1_3repE0EEENS1_48merge_mergepath_partition_config_static_selectorELNS0_4arch9wavefront6targetE0EEEvSF_
                                        ; -- End function
	.set _ZN7rocprim17ROCPRIM_400000_NS6detail17trampoline_kernelINS0_14default_configENS1_38merge_sort_block_merge_config_selectorIlNS0_10empty_typeEEEZZNS1_27merge_sort_block_merge_implIS3_PlPS5_jNS1_19radix_merge_compareILb0ELb0ElNS0_19identity_decomposerEEEEE10hipError_tT0_T1_T2_jT3_P12ihipStream_tbPNSt15iterator_traitsISE_E10value_typeEPNSK_ISF_E10value_typeEPSG_NS1_7vsmem_tEENKUlT_SE_SF_SG_E_clIS8_S8_S9_S9_EESD_ST_SE_SF_SG_EUlST_E_NS1_11comp_targetILNS1_3genE2ELNS1_11target_archE906ELNS1_3gpuE6ELNS1_3repE0EEENS1_48merge_mergepath_partition_config_static_selectorELNS0_4arch9wavefront6targetE0EEEvSF_.num_vgpr, 0
	.set _ZN7rocprim17ROCPRIM_400000_NS6detail17trampoline_kernelINS0_14default_configENS1_38merge_sort_block_merge_config_selectorIlNS0_10empty_typeEEEZZNS1_27merge_sort_block_merge_implIS3_PlPS5_jNS1_19radix_merge_compareILb0ELb0ElNS0_19identity_decomposerEEEEE10hipError_tT0_T1_T2_jT3_P12ihipStream_tbPNSt15iterator_traitsISE_E10value_typeEPNSK_ISF_E10value_typeEPSG_NS1_7vsmem_tEENKUlT_SE_SF_SG_E_clIS8_S8_S9_S9_EESD_ST_SE_SF_SG_EUlST_E_NS1_11comp_targetILNS1_3genE2ELNS1_11target_archE906ELNS1_3gpuE6ELNS1_3repE0EEENS1_48merge_mergepath_partition_config_static_selectorELNS0_4arch9wavefront6targetE0EEEvSF_.num_agpr, 0
	.set _ZN7rocprim17ROCPRIM_400000_NS6detail17trampoline_kernelINS0_14default_configENS1_38merge_sort_block_merge_config_selectorIlNS0_10empty_typeEEEZZNS1_27merge_sort_block_merge_implIS3_PlPS5_jNS1_19radix_merge_compareILb0ELb0ElNS0_19identity_decomposerEEEEE10hipError_tT0_T1_T2_jT3_P12ihipStream_tbPNSt15iterator_traitsISE_E10value_typeEPNSK_ISF_E10value_typeEPSG_NS1_7vsmem_tEENKUlT_SE_SF_SG_E_clIS8_S8_S9_S9_EESD_ST_SE_SF_SG_EUlST_E_NS1_11comp_targetILNS1_3genE2ELNS1_11target_archE906ELNS1_3gpuE6ELNS1_3repE0EEENS1_48merge_mergepath_partition_config_static_selectorELNS0_4arch9wavefront6targetE0EEEvSF_.numbered_sgpr, 0
	.set _ZN7rocprim17ROCPRIM_400000_NS6detail17trampoline_kernelINS0_14default_configENS1_38merge_sort_block_merge_config_selectorIlNS0_10empty_typeEEEZZNS1_27merge_sort_block_merge_implIS3_PlPS5_jNS1_19radix_merge_compareILb0ELb0ElNS0_19identity_decomposerEEEEE10hipError_tT0_T1_T2_jT3_P12ihipStream_tbPNSt15iterator_traitsISE_E10value_typeEPNSK_ISF_E10value_typeEPSG_NS1_7vsmem_tEENKUlT_SE_SF_SG_E_clIS8_S8_S9_S9_EESD_ST_SE_SF_SG_EUlST_E_NS1_11comp_targetILNS1_3genE2ELNS1_11target_archE906ELNS1_3gpuE6ELNS1_3repE0EEENS1_48merge_mergepath_partition_config_static_selectorELNS0_4arch9wavefront6targetE0EEEvSF_.num_named_barrier, 0
	.set _ZN7rocprim17ROCPRIM_400000_NS6detail17trampoline_kernelINS0_14default_configENS1_38merge_sort_block_merge_config_selectorIlNS0_10empty_typeEEEZZNS1_27merge_sort_block_merge_implIS3_PlPS5_jNS1_19radix_merge_compareILb0ELb0ElNS0_19identity_decomposerEEEEE10hipError_tT0_T1_T2_jT3_P12ihipStream_tbPNSt15iterator_traitsISE_E10value_typeEPNSK_ISF_E10value_typeEPSG_NS1_7vsmem_tEENKUlT_SE_SF_SG_E_clIS8_S8_S9_S9_EESD_ST_SE_SF_SG_EUlST_E_NS1_11comp_targetILNS1_3genE2ELNS1_11target_archE906ELNS1_3gpuE6ELNS1_3repE0EEENS1_48merge_mergepath_partition_config_static_selectorELNS0_4arch9wavefront6targetE0EEEvSF_.private_seg_size, 0
	.set _ZN7rocprim17ROCPRIM_400000_NS6detail17trampoline_kernelINS0_14default_configENS1_38merge_sort_block_merge_config_selectorIlNS0_10empty_typeEEEZZNS1_27merge_sort_block_merge_implIS3_PlPS5_jNS1_19radix_merge_compareILb0ELb0ElNS0_19identity_decomposerEEEEE10hipError_tT0_T1_T2_jT3_P12ihipStream_tbPNSt15iterator_traitsISE_E10value_typeEPNSK_ISF_E10value_typeEPSG_NS1_7vsmem_tEENKUlT_SE_SF_SG_E_clIS8_S8_S9_S9_EESD_ST_SE_SF_SG_EUlST_E_NS1_11comp_targetILNS1_3genE2ELNS1_11target_archE906ELNS1_3gpuE6ELNS1_3repE0EEENS1_48merge_mergepath_partition_config_static_selectorELNS0_4arch9wavefront6targetE0EEEvSF_.uses_vcc, 0
	.set _ZN7rocprim17ROCPRIM_400000_NS6detail17trampoline_kernelINS0_14default_configENS1_38merge_sort_block_merge_config_selectorIlNS0_10empty_typeEEEZZNS1_27merge_sort_block_merge_implIS3_PlPS5_jNS1_19radix_merge_compareILb0ELb0ElNS0_19identity_decomposerEEEEE10hipError_tT0_T1_T2_jT3_P12ihipStream_tbPNSt15iterator_traitsISE_E10value_typeEPNSK_ISF_E10value_typeEPSG_NS1_7vsmem_tEENKUlT_SE_SF_SG_E_clIS8_S8_S9_S9_EESD_ST_SE_SF_SG_EUlST_E_NS1_11comp_targetILNS1_3genE2ELNS1_11target_archE906ELNS1_3gpuE6ELNS1_3repE0EEENS1_48merge_mergepath_partition_config_static_selectorELNS0_4arch9wavefront6targetE0EEEvSF_.uses_flat_scratch, 0
	.set _ZN7rocprim17ROCPRIM_400000_NS6detail17trampoline_kernelINS0_14default_configENS1_38merge_sort_block_merge_config_selectorIlNS0_10empty_typeEEEZZNS1_27merge_sort_block_merge_implIS3_PlPS5_jNS1_19radix_merge_compareILb0ELb0ElNS0_19identity_decomposerEEEEE10hipError_tT0_T1_T2_jT3_P12ihipStream_tbPNSt15iterator_traitsISE_E10value_typeEPNSK_ISF_E10value_typeEPSG_NS1_7vsmem_tEENKUlT_SE_SF_SG_E_clIS8_S8_S9_S9_EESD_ST_SE_SF_SG_EUlST_E_NS1_11comp_targetILNS1_3genE2ELNS1_11target_archE906ELNS1_3gpuE6ELNS1_3repE0EEENS1_48merge_mergepath_partition_config_static_selectorELNS0_4arch9wavefront6targetE0EEEvSF_.has_dyn_sized_stack, 0
	.set _ZN7rocprim17ROCPRIM_400000_NS6detail17trampoline_kernelINS0_14default_configENS1_38merge_sort_block_merge_config_selectorIlNS0_10empty_typeEEEZZNS1_27merge_sort_block_merge_implIS3_PlPS5_jNS1_19radix_merge_compareILb0ELb0ElNS0_19identity_decomposerEEEEE10hipError_tT0_T1_T2_jT3_P12ihipStream_tbPNSt15iterator_traitsISE_E10value_typeEPNSK_ISF_E10value_typeEPSG_NS1_7vsmem_tEENKUlT_SE_SF_SG_E_clIS8_S8_S9_S9_EESD_ST_SE_SF_SG_EUlST_E_NS1_11comp_targetILNS1_3genE2ELNS1_11target_archE906ELNS1_3gpuE6ELNS1_3repE0EEENS1_48merge_mergepath_partition_config_static_selectorELNS0_4arch9wavefront6targetE0EEEvSF_.has_recursion, 0
	.set _ZN7rocprim17ROCPRIM_400000_NS6detail17trampoline_kernelINS0_14default_configENS1_38merge_sort_block_merge_config_selectorIlNS0_10empty_typeEEEZZNS1_27merge_sort_block_merge_implIS3_PlPS5_jNS1_19radix_merge_compareILb0ELb0ElNS0_19identity_decomposerEEEEE10hipError_tT0_T1_T2_jT3_P12ihipStream_tbPNSt15iterator_traitsISE_E10value_typeEPNSK_ISF_E10value_typeEPSG_NS1_7vsmem_tEENKUlT_SE_SF_SG_E_clIS8_S8_S9_S9_EESD_ST_SE_SF_SG_EUlST_E_NS1_11comp_targetILNS1_3genE2ELNS1_11target_archE906ELNS1_3gpuE6ELNS1_3repE0EEENS1_48merge_mergepath_partition_config_static_selectorELNS0_4arch9wavefront6targetE0EEEvSF_.has_indirect_call, 0
	.section	.AMDGPU.csdata,"",@progbits
; Kernel info:
; codeLenInByte = 0
; TotalNumSgprs: 0
; NumVgprs: 0
; ScratchSize: 0
; MemoryBound: 0
; FloatMode: 240
; IeeeMode: 1
; LDSByteSize: 0 bytes/workgroup (compile time only)
; SGPRBlocks: 0
; VGPRBlocks: 0
; NumSGPRsForWavesPerEU: 1
; NumVGPRsForWavesPerEU: 1
; NamedBarCnt: 0
; Occupancy: 16
; WaveLimiterHint : 0
; COMPUTE_PGM_RSRC2:SCRATCH_EN: 0
; COMPUTE_PGM_RSRC2:USER_SGPR: 2
; COMPUTE_PGM_RSRC2:TRAP_HANDLER: 0
; COMPUTE_PGM_RSRC2:TGID_X_EN: 1
; COMPUTE_PGM_RSRC2:TGID_Y_EN: 0
; COMPUTE_PGM_RSRC2:TGID_Z_EN: 0
; COMPUTE_PGM_RSRC2:TIDIG_COMP_CNT: 0
	.section	.text._ZN7rocprim17ROCPRIM_400000_NS6detail17trampoline_kernelINS0_14default_configENS1_38merge_sort_block_merge_config_selectorIlNS0_10empty_typeEEEZZNS1_27merge_sort_block_merge_implIS3_PlPS5_jNS1_19radix_merge_compareILb0ELb0ElNS0_19identity_decomposerEEEEE10hipError_tT0_T1_T2_jT3_P12ihipStream_tbPNSt15iterator_traitsISE_E10value_typeEPNSK_ISF_E10value_typeEPSG_NS1_7vsmem_tEENKUlT_SE_SF_SG_E_clIS8_S8_S9_S9_EESD_ST_SE_SF_SG_EUlST_E_NS1_11comp_targetILNS1_3genE9ELNS1_11target_archE1100ELNS1_3gpuE3ELNS1_3repE0EEENS1_48merge_mergepath_partition_config_static_selectorELNS0_4arch9wavefront6targetE0EEEvSF_,"axG",@progbits,_ZN7rocprim17ROCPRIM_400000_NS6detail17trampoline_kernelINS0_14default_configENS1_38merge_sort_block_merge_config_selectorIlNS0_10empty_typeEEEZZNS1_27merge_sort_block_merge_implIS3_PlPS5_jNS1_19radix_merge_compareILb0ELb0ElNS0_19identity_decomposerEEEEE10hipError_tT0_T1_T2_jT3_P12ihipStream_tbPNSt15iterator_traitsISE_E10value_typeEPNSK_ISF_E10value_typeEPSG_NS1_7vsmem_tEENKUlT_SE_SF_SG_E_clIS8_S8_S9_S9_EESD_ST_SE_SF_SG_EUlST_E_NS1_11comp_targetILNS1_3genE9ELNS1_11target_archE1100ELNS1_3gpuE3ELNS1_3repE0EEENS1_48merge_mergepath_partition_config_static_selectorELNS0_4arch9wavefront6targetE0EEEvSF_,comdat
	.protected	_ZN7rocprim17ROCPRIM_400000_NS6detail17trampoline_kernelINS0_14default_configENS1_38merge_sort_block_merge_config_selectorIlNS0_10empty_typeEEEZZNS1_27merge_sort_block_merge_implIS3_PlPS5_jNS1_19radix_merge_compareILb0ELb0ElNS0_19identity_decomposerEEEEE10hipError_tT0_T1_T2_jT3_P12ihipStream_tbPNSt15iterator_traitsISE_E10value_typeEPNSK_ISF_E10value_typeEPSG_NS1_7vsmem_tEENKUlT_SE_SF_SG_E_clIS8_S8_S9_S9_EESD_ST_SE_SF_SG_EUlST_E_NS1_11comp_targetILNS1_3genE9ELNS1_11target_archE1100ELNS1_3gpuE3ELNS1_3repE0EEENS1_48merge_mergepath_partition_config_static_selectorELNS0_4arch9wavefront6targetE0EEEvSF_ ; -- Begin function _ZN7rocprim17ROCPRIM_400000_NS6detail17trampoline_kernelINS0_14default_configENS1_38merge_sort_block_merge_config_selectorIlNS0_10empty_typeEEEZZNS1_27merge_sort_block_merge_implIS3_PlPS5_jNS1_19radix_merge_compareILb0ELb0ElNS0_19identity_decomposerEEEEE10hipError_tT0_T1_T2_jT3_P12ihipStream_tbPNSt15iterator_traitsISE_E10value_typeEPNSK_ISF_E10value_typeEPSG_NS1_7vsmem_tEENKUlT_SE_SF_SG_E_clIS8_S8_S9_S9_EESD_ST_SE_SF_SG_EUlST_E_NS1_11comp_targetILNS1_3genE9ELNS1_11target_archE1100ELNS1_3gpuE3ELNS1_3repE0EEENS1_48merge_mergepath_partition_config_static_selectorELNS0_4arch9wavefront6targetE0EEEvSF_
	.globl	_ZN7rocprim17ROCPRIM_400000_NS6detail17trampoline_kernelINS0_14default_configENS1_38merge_sort_block_merge_config_selectorIlNS0_10empty_typeEEEZZNS1_27merge_sort_block_merge_implIS3_PlPS5_jNS1_19radix_merge_compareILb0ELb0ElNS0_19identity_decomposerEEEEE10hipError_tT0_T1_T2_jT3_P12ihipStream_tbPNSt15iterator_traitsISE_E10value_typeEPNSK_ISF_E10value_typeEPSG_NS1_7vsmem_tEENKUlT_SE_SF_SG_E_clIS8_S8_S9_S9_EESD_ST_SE_SF_SG_EUlST_E_NS1_11comp_targetILNS1_3genE9ELNS1_11target_archE1100ELNS1_3gpuE3ELNS1_3repE0EEENS1_48merge_mergepath_partition_config_static_selectorELNS0_4arch9wavefront6targetE0EEEvSF_
	.p2align	8
	.type	_ZN7rocprim17ROCPRIM_400000_NS6detail17trampoline_kernelINS0_14default_configENS1_38merge_sort_block_merge_config_selectorIlNS0_10empty_typeEEEZZNS1_27merge_sort_block_merge_implIS3_PlPS5_jNS1_19radix_merge_compareILb0ELb0ElNS0_19identity_decomposerEEEEE10hipError_tT0_T1_T2_jT3_P12ihipStream_tbPNSt15iterator_traitsISE_E10value_typeEPNSK_ISF_E10value_typeEPSG_NS1_7vsmem_tEENKUlT_SE_SF_SG_E_clIS8_S8_S9_S9_EESD_ST_SE_SF_SG_EUlST_E_NS1_11comp_targetILNS1_3genE9ELNS1_11target_archE1100ELNS1_3gpuE3ELNS1_3repE0EEENS1_48merge_mergepath_partition_config_static_selectorELNS0_4arch9wavefront6targetE0EEEvSF_,@function
_ZN7rocprim17ROCPRIM_400000_NS6detail17trampoline_kernelINS0_14default_configENS1_38merge_sort_block_merge_config_selectorIlNS0_10empty_typeEEEZZNS1_27merge_sort_block_merge_implIS3_PlPS5_jNS1_19radix_merge_compareILb0ELb0ElNS0_19identity_decomposerEEEEE10hipError_tT0_T1_T2_jT3_P12ihipStream_tbPNSt15iterator_traitsISE_E10value_typeEPNSK_ISF_E10value_typeEPSG_NS1_7vsmem_tEENKUlT_SE_SF_SG_E_clIS8_S8_S9_S9_EESD_ST_SE_SF_SG_EUlST_E_NS1_11comp_targetILNS1_3genE9ELNS1_11target_archE1100ELNS1_3gpuE3ELNS1_3repE0EEENS1_48merge_mergepath_partition_config_static_selectorELNS0_4arch9wavefront6targetE0EEEvSF_: ; @_ZN7rocprim17ROCPRIM_400000_NS6detail17trampoline_kernelINS0_14default_configENS1_38merge_sort_block_merge_config_selectorIlNS0_10empty_typeEEEZZNS1_27merge_sort_block_merge_implIS3_PlPS5_jNS1_19radix_merge_compareILb0ELb0ElNS0_19identity_decomposerEEEEE10hipError_tT0_T1_T2_jT3_P12ihipStream_tbPNSt15iterator_traitsISE_E10value_typeEPNSK_ISF_E10value_typeEPSG_NS1_7vsmem_tEENKUlT_SE_SF_SG_E_clIS8_S8_S9_S9_EESD_ST_SE_SF_SG_EUlST_E_NS1_11comp_targetILNS1_3genE9ELNS1_11target_archE1100ELNS1_3gpuE3ELNS1_3repE0EEENS1_48merge_mergepath_partition_config_static_selectorELNS0_4arch9wavefront6targetE0EEEvSF_
; %bb.0:
	.section	.rodata,"a",@progbits
	.p2align	6, 0x0
	.amdhsa_kernel _ZN7rocprim17ROCPRIM_400000_NS6detail17trampoline_kernelINS0_14default_configENS1_38merge_sort_block_merge_config_selectorIlNS0_10empty_typeEEEZZNS1_27merge_sort_block_merge_implIS3_PlPS5_jNS1_19radix_merge_compareILb0ELb0ElNS0_19identity_decomposerEEEEE10hipError_tT0_T1_T2_jT3_P12ihipStream_tbPNSt15iterator_traitsISE_E10value_typeEPNSK_ISF_E10value_typeEPSG_NS1_7vsmem_tEENKUlT_SE_SF_SG_E_clIS8_S8_S9_S9_EESD_ST_SE_SF_SG_EUlST_E_NS1_11comp_targetILNS1_3genE9ELNS1_11target_archE1100ELNS1_3gpuE3ELNS1_3repE0EEENS1_48merge_mergepath_partition_config_static_selectorELNS0_4arch9wavefront6targetE0EEEvSF_
		.amdhsa_group_segment_fixed_size 0
		.amdhsa_private_segment_fixed_size 0
		.amdhsa_kernarg_size 40
		.amdhsa_user_sgpr_count 2
		.amdhsa_user_sgpr_dispatch_ptr 0
		.amdhsa_user_sgpr_queue_ptr 0
		.amdhsa_user_sgpr_kernarg_segment_ptr 1
		.amdhsa_user_sgpr_dispatch_id 0
		.amdhsa_user_sgpr_kernarg_preload_length 0
		.amdhsa_user_sgpr_kernarg_preload_offset 0
		.amdhsa_user_sgpr_private_segment_size 0
		.amdhsa_wavefront_size32 1
		.amdhsa_uses_dynamic_stack 0
		.amdhsa_enable_private_segment 0
		.amdhsa_system_sgpr_workgroup_id_x 1
		.amdhsa_system_sgpr_workgroup_id_y 0
		.amdhsa_system_sgpr_workgroup_id_z 0
		.amdhsa_system_sgpr_workgroup_info 0
		.amdhsa_system_vgpr_workitem_id 0
		.amdhsa_next_free_vgpr 1
		.amdhsa_next_free_sgpr 1
		.amdhsa_named_barrier_count 0
		.amdhsa_reserve_vcc 0
		.amdhsa_float_round_mode_32 0
		.amdhsa_float_round_mode_16_64 0
		.amdhsa_float_denorm_mode_32 3
		.amdhsa_float_denorm_mode_16_64 3
		.amdhsa_fp16_overflow 0
		.amdhsa_memory_ordered 1
		.amdhsa_forward_progress 1
		.amdhsa_inst_pref_size 0
		.amdhsa_round_robin_scheduling 0
		.amdhsa_exception_fp_ieee_invalid_op 0
		.amdhsa_exception_fp_denorm_src 0
		.amdhsa_exception_fp_ieee_div_zero 0
		.amdhsa_exception_fp_ieee_overflow 0
		.amdhsa_exception_fp_ieee_underflow 0
		.amdhsa_exception_fp_ieee_inexact 0
		.amdhsa_exception_int_div_zero 0
	.end_amdhsa_kernel
	.section	.text._ZN7rocprim17ROCPRIM_400000_NS6detail17trampoline_kernelINS0_14default_configENS1_38merge_sort_block_merge_config_selectorIlNS0_10empty_typeEEEZZNS1_27merge_sort_block_merge_implIS3_PlPS5_jNS1_19radix_merge_compareILb0ELb0ElNS0_19identity_decomposerEEEEE10hipError_tT0_T1_T2_jT3_P12ihipStream_tbPNSt15iterator_traitsISE_E10value_typeEPNSK_ISF_E10value_typeEPSG_NS1_7vsmem_tEENKUlT_SE_SF_SG_E_clIS8_S8_S9_S9_EESD_ST_SE_SF_SG_EUlST_E_NS1_11comp_targetILNS1_3genE9ELNS1_11target_archE1100ELNS1_3gpuE3ELNS1_3repE0EEENS1_48merge_mergepath_partition_config_static_selectorELNS0_4arch9wavefront6targetE0EEEvSF_,"axG",@progbits,_ZN7rocprim17ROCPRIM_400000_NS6detail17trampoline_kernelINS0_14default_configENS1_38merge_sort_block_merge_config_selectorIlNS0_10empty_typeEEEZZNS1_27merge_sort_block_merge_implIS3_PlPS5_jNS1_19radix_merge_compareILb0ELb0ElNS0_19identity_decomposerEEEEE10hipError_tT0_T1_T2_jT3_P12ihipStream_tbPNSt15iterator_traitsISE_E10value_typeEPNSK_ISF_E10value_typeEPSG_NS1_7vsmem_tEENKUlT_SE_SF_SG_E_clIS8_S8_S9_S9_EESD_ST_SE_SF_SG_EUlST_E_NS1_11comp_targetILNS1_3genE9ELNS1_11target_archE1100ELNS1_3gpuE3ELNS1_3repE0EEENS1_48merge_mergepath_partition_config_static_selectorELNS0_4arch9wavefront6targetE0EEEvSF_,comdat
.Lfunc_end1147:
	.size	_ZN7rocprim17ROCPRIM_400000_NS6detail17trampoline_kernelINS0_14default_configENS1_38merge_sort_block_merge_config_selectorIlNS0_10empty_typeEEEZZNS1_27merge_sort_block_merge_implIS3_PlPS5_jNS1_19radix_merge_compareILb0ELb0ElNS0_19identity_decomposerEEEEE10hipError_tT0_T1_T2_jT3_P12ihipStream_tbPNSt15iterator_traitsISE_E10value_typeEPNSK_ISF_E10value_typeEPSG_NS1_7vsmem_tEENKUlT_SE_SF_SG_E_clIS8_S8_S9_S9_EESD_ST_SE_SF_SG_EUlST_E_NS1_11comp_targetILNS1_3genE9ELNS1_11target_archE1100ELNS1_3gpuE3ELNS1_3repE0EEENS1_48merge_mergepath_partition_config_static_selectorELNS0_4arch9wavefront6targetE0EEEvSF_, .Lfunc_end1147-_ZN7rocprim17ROCPRIM_400000_NS6detail17trampoline_kernelINS0_14default_configENS1_38merge_sort_block_merge_config_selectorIlNS0_10empty_typeEEEZZNS1_27merge_sort_block_merge_implIS3_PlPS5_jNS1_19radix_merge_compareILb0ELb0ElNS0_19identity_decomposerEEEEE10hipError_tT0_T1_T2_jT3_P12ihipStream_tbPNSt15iterator_traitsISE_E10value_typeEPNSK_ISF_E10value_typeEPSG_NS1_7vsmem_tEENKUlT_SE_SF_SG_E_clIS8_S8_S9_S9_EESD_ST_SE_SF_SG_EUlST_E_NS1_11comp_targetILNS1_3genE9ELNS1_11target_archE1100ELNS1_3gpuE3ELNS1_3repE0EEENS1_48merge_mergepath_partition_config_static_selectorELNS0_4arch9wavefront6targetE0EEEvSF_
                                        ; -- End function
	.set _ZN7rocprim17ROCPRIM_400000_NS6detail17trampoline_kernelINS0_14default_configENS1_38merge_sort_block_merge_config_selectorIlNS0_10empty_typeEEEZZNS1_27merge_sort_block_merge_implIS3_PlPS5_jNS1_19radix_merge_compareILb0ELb0ElNS0_19identity_decomposerEEEEE10hipError_tT0_T1_T2_jT3_P12ihipStream_tbPNSt15iterator_traitsISE_E10value_typeEPNSK_ISF_E10value_typeEPSG_NS1_7vsmem_tEENKUlT_SE_SF_SG_E_clIS8_S8_S9_S9_EESD_ST_SE_SF_SG_EUlST_E_NS1_11comp_targetILNS1_3genE9ELNS1_11target_archE1100ELNS1_3gpuE3ELNS1_3repE0EEENS1_48merge_mergepath_partition_config_static_selectorELNS0_4arch9wavefront6targetE0EEEvSF_.num_vgpr, 0
	.set _ZN7rocprim17ROCPRIM_400000_NS6detail17trampoline_kernelINS0_14default_configENS1_38merge_sort_block_merge_config_selectorIlNS0_10empty_typeEEEZZNS1_27merge_sort_block_merge_implIS3_PlPS5_jNS1_19radix_merge_compareILb0ELb0ElNS0_19identity_decomposerEEEEE10hipError_tT0_T1_T2_jT3_P12ihipStream_tbPNSt15iterator_traitsISE_E10value_typeEPNSK_ISF_E10value_typeEPSG_NS1_7vsmem_tEENKUlT_SE_SF_SG_E_clIS8_S8_S9_S9_EESD_ST_SE_SF_SG_EUlST_E_NS1_11comp_targetILNS1_3genE9ELNS1_11target_archE1100ELNS1_3gpuE3ELNS1_3repE0EEENS1_48merge_mergepath_partition_config_static_selectorELNS0_4arch9wavefront6targetE0EEEvSF_.num_agpr, 0
	.set _ZN7rocprim17ROCPRIM_400000_NS6detail17trampoline_kernelINS0_14default_configENS1_38merge_sort_block_merge_config_selectorIlNS0_10empty_typeEEEZZNS1_27merge_sort_block_merge_implIS3_PlPS5_jNS1_19radix_merge_compareILb0ELb0ElNS0_19identity_decomposerEEEEE10hipError_tT0_T1_T2_jT3_P12ihipStream_tbPNSt15iterator_traitsISE_E10value_typeEPNSK_ISF_E10value_typeEPSG_NS1_7vsmem_tEENKUlT_SE_SF_SG_E_clIS8_S8_S9_S9_EESD_ST_SE_SF_SG_EUlST_E_NS1_11comp_targetILNS1_3genE9ELNS1_11target_archE1100ELNS1_3gpuE3ELNS1_3repE0EEENS1_48merge_mergepath_partition_config_static_selectorELNS0_4arch9wavefront6targetE0EEEvSF_.numbered_sgpr, 0
	.set _ZN7rocprim17ROCPRIM_400000_NS6detail17trampoline_kernelINS0_14default_configENS1_38merge_sort_block_merge_config_selectorIlNS0_10empty_typeEEEZZNS1_27merge_sort_block_merge_implIS3_PlPS5_jNS1_19radix_merge_compareILb0ELb0ElNS0_19identity_decomposerEEEEE10hipError_tT0_T1_T2_jT3_P12ihipStream_tbPNSt15iterator_traitsISE_E10value_typeEPNSK_ISF_E10value_typeEPSG_NS1_7vsmem_tEENKUlT_SE_SF_SG_E_clIS8_S8_S9_S9_EESD_ST_SE_SF_SG_EUlST_E_NS1_11comp_targetILNS1_3genE9ELNS1_11target_archE1100ELNS1_3gpuE3ELNS1_3repE0EEENS1_48merge_mergepath_partition_config_static_selectorELNS0_4arch9wavefront6targetE0EEEvSF_.num_named_barrier, 0
	.set _ZN7rocprim17ROCPRIM_400000_NS6detail17trampoline_kernelINS0_14default_configENS1_38merge_sort_block_merge_config_selectorIlNS0_10empty_typeEEEZZNS1_27merge_sort_block_merge_implIS3_PlPS5_jNS1_19radix_merge_compareILb0ELb0ElNS0_19identity_decomposerEEEEE10hipError_tT0_T1_T2_jT3_P12ihipStream_tbPNSt15iterator_traitsISE_E10value_typeEPNSK_ISF_E10value_typeEPSG_NS1_7vsmem_tEENKUlT_SE_SF_SG_E_clIS8_S8_S9_S9_EESD_ST_SE_SF_SG_EUlST_E_NS1_11comp_targetILNS1_3genE9ELNS1_11target_archE1100ELNS1_3gpuE3ELNS1_3repE0EEENS1_48merge_mergepath_partition_config_static_selectorELNS0_4arch9wavefront6targetE0EEEvSF_.private_seg_size, 0
	.set _ZN7rocprim17ROCPRIM_400000_NS6detail17trampoline_kernelINS0_14default_configENS1_38merge_sort_block_merge_config_selectorIlNS0_10empty_typeEEEZZNS1_27merge_sort_block_merge_implIS3_PlPS5_jNS1_19radix_merge_compareILb0ELb0ElNS0_19identity_decomposerEEEEE10hipError_tT0_T1_T2_jT3_P12ihipStream_tbPNSt15iterator_traitsISE_E10value_typeEPNSK_ISF_E10value_typeEPSG_NS1_7vsmem_tEENKUlT_SE_SF_SG_E_clIS8_S8_S9_S9_EESD_ST_SE_SF_SG_EUlST_E_NS1_11comp_targetILNS1_3genE9ELNS1_11target_archE1100ELNS1_3gpuE3ELNS1_3repE0EEENS1_48merge_mergepath_partition_config_static_selectorELNS0_4arch9wavefront6targetE0EEEvSF_.uses_vcc, 0
	.set _ZN7rocprim17ROCPRIM_400000_NS6detail17trampoline_kernelINS0_14default_configENS1_38merge_sort_block_merge_config_selectorIlNS0_10empty_typeEEEZZNS1_27merge_sort_block_merge_implIS3_PlPS5_jNS1_19radix_merge_compareILb0ELb0ElNS0_19identity_decomposerEEEEE10hipError_tT0_T1_T2_jT3_P12ihipStream_tbPNSt15iterator_traitsISE_E10value_typeEPNSK_ISF_E10value_typeEPSG_NS1_7vsmem_tEENKUlT_SE_SF_SG_E_clIS8_S8_S9_S9_EESD_ST_SE_SF_SG_EUlST_E_NS1_11comp_targetILNS1_3genE9ELNS1_11target_archE1100ELNS1_3gpuE3ELNS1_3repE0EEENS1_48merge_mergepath_partition_config_static_selectorELNS0_4arch9wavefront6targetE0EEEvSF_.uses_flat_scratch, 0
	.set _ZN7rocprim17ROCPRIM_400000_NS6detail17trampoline_kernelINS0_14default_configENS1_38merge_sort_block_merge_config_selectorIlNS0_10empty_typeEEEZZNS1_27merge_sort_block_merge_implIS3_PlPS5_jNS1_19radix_merge_compareILb0ELb0ElNS0_19identity_decomposerEEEEE10hipError_tT0_T1_T2_jT3_P12ihipStream_tbPNSt15iterator_traitsISE_E10value_typeEPNSK_ISF_E10value_typeEPSG_NS1_7vsmem_tEENKUlT_SE_SF_SG_E_clIS8_S8_S9_S9_EESD_ST_SE_SF_SG_EUlST_E_NS1_11comp_targetILNS1_3genE9ELNS1_11target_archE1100ELNS1_3gpuE3ELNS1_3repE0EEENS1_48merge_mergepath_partition_config_static_selectorELNS0_4arch9wavefront6targetE0EEEvSF_.has_dyn_sized_stack, 0
	.set _ZN7rocprim17ROCPRIM_400000_NS6detail17trampoline_kernelINS0_14default_configENS1_38merge_sort_block_merge_config_selectorIlNS0_10empty_typeEEEZZNS1_27merge_sort_block_merge_implIS3_PlPS5_jNS1_19radix_merge_compareILb0ELb0ElNS0_19identity_decomposerEEEEE10hipError_tT0_T1_T2_jT3_P12ihipStream_tbPNSt15iterator_traitsISE_E10value_typeEPNSK_ISF_E10value_typeEPSG_NS1_7vsmem_tEENKUlT_SE_SF_SG_E_clIS8_S8_S9_S9_EESD_ST_SE_SF_SG_EUlST_E_NS1_11comp_targetILNS1_3genE9ELNS1_11target_archE1100ELNS1_3gpuE3ELNS1_3repE0EEENS1_48merge_mergepath_partition_config_static_selectorELNS0_4arch9wavefront6targetE0EEEvSF_.has_recursion, 0
	.set _ZN7rocprim17ROCPRIM_400000_NS6detail17trampoline_kernelINS0_14default_configENS1_38merge_sort_block_merge_config_selectorIlNS0_10empty_typeEEEZZNS1_27merge_sort_block_merge_implIS3_PlPS5_jNS1_19radix_merge_compareILb0ELb0ElNS0_19identity_decomposerEEEEE10hipError_tT0_T1_T2_jT3_P12ihipStream_tbPNSt15iterator_traitsISE_E10value_typeEPNSK_ISF_E10value_typeEPSG_NS1_7vsmem_tEENKUlT_SE_SF_SG_E_clIS8_S8_S9_S9_EESD_ST_SE_SF_SG_EUlST_E_NS1_11comp_targetILNS1_3genE9ELNS1_11target_archE1100ELNS1_3gpuE3ELNS1_3repE0EEENS1_48merge_mergepath_partition_config_static_selectorELNS0_4arch9wavefront6targetE0EEEvSF_.has_indirect_call, 0
	.section	.AMDGPU.csdata,"",@progbits
; Kernel info:
; codeLenInByte = 0
; TotalNumSgprs: 0
; NumVgprs: 0
; ScratchSize: 0
; MemoryBound: 0
; FloatMode: 240
; IeeeMode: 1
; LDSByteSize: 0 bytes/workgroup (compile time only)
; SGPRBlocks: 0
; VGPRBlocks: 0
; NumSGPRsForWavesPerEU: 1
; NumVGPRsForWavesPerEU: 1
; NamedBarCnt: 0
; Occupancy: 16
; WaveLimiterHint : 0
; COMPUTE_PGM_RSRC2:SCRATCH_EN: 0
; COMPUTE_PGM_RSRC2:USER_SGPR: 2
; COMPUTE_PGM_RSRC2:TRAP_HANDLER: 0
; COMPUTE_PGM_RSRC2:TGID_X_EN: 1
; COMPUTE_PGM_RSRC2:TGID_Y_EN: 0
; COMPUTE_PGM_RSRC2:TGID_Z_EN: 0
; COMPUTE_PGM_RSRC2:TIDIG_COMP_CNT: 0
	.section	.text._ZN7rocprim17ROCPRIM_400000_NS6detail17trampoline_kernelINS0_14default_configENS1_38merge_sort_block_merge_config_selectorIlNS0_10empty_typeEEEZZNS1_27merge_sort_block_merge_implIS3_PlPS5_jNS1_19radix_merge_compareILb0ELb0ElNS0_19identity_decomposerEEEEE10hipError_tT0_T1_T2_jT3_P12ihipStream_tbPNSt15iterator_traitsISE_E10value_typeEPNSK_ISF_E10value_typeEPSG_NS1_7vsmem_tEENKUlT_SE_SF_SG_E_clIS8_S8_S9_S9_EESD_ST_SE_SF_SG_EUlST_E_NS1_11comp_targetILNS1_3genE8ELNS1_11target_archE1030ELNS1_3gpuE2ELNS1_3repE0EEENS1_48merge_mergepath_partition_config_static_selectorELNS0_4arch9wavefront6targetE0EEEvSF_,"axG",@progbits,_ZN7rocprim17ROCPRIM_400000_NS6detail17trampoline_kernelINS0_14default_configENS1_38merge_sort_block_merge_config_selectorIlNS0_10empty_typeEEEZZNS1_27merge_sort_block_merge_implIS3_PlPS5_jNS1_19radix_merge_compareILb0ELb0ElNS0_19identity_decomposerEEEEE10hipError_tT0_T1_T2_jT3_P12ihipStream_tbPNSt15iterator_traitsISE_E10value_typeEPNSK_ISF_E10value_typeEPSG_NS1_7vsmem_tEENKUlT_SE_SF_SG_E_clIS8_S8_S9_S9_EESD_ST_SE_SF_SG_EUlST_E_NS1_11comp_targetILNS1_3genE8ELNS1_11target_archE1030ELNS1_3gpuE2ELNS1_3repE0EEENS1_48merge_mergepath_partition_config_static_selectorELNS0_4arch9wavefront6targetE0EEEvSF_,comdat
	.protected	_ZN7rocprim17ROCPRIM_400000_NS6detail17trampoline_kernelINS0_14default_configENS1_38merge_sort_block_merge_config_selectorIlNS0_10empty_typeEEEZZNS1_27merge_sort_block_merge_implIS3_PlPS5_jNS1_19radix_merge_compareILb0ELb0ElNS0_19identity_decomposerEEEEE10hipError_tT0_T1_T2_jT3_P12ihipStream_tbPNSt15iterator_traitsISE_E10value_typeEPNSK_ISF_E10value_typeEPSG_NS1_7vsmem_tEENKUlT_SE_SF_SG_E_clIS8_S8_S9_S9_EESD_ST_SE_SF_SG_EUlST_E_NS1_11comp_targetILNS1_3genE8ELNS1_11target_archE1030ELNS1_3gpuE2ELNS1_3repE0EEENS1_48merge_mergepath_partition_config_static_selectorELNS0_4arch9wavefront6targetE0EEEvSF_ ; -- Begin function _ZN7rocprim17ROCPRIM_400000_NS6detail17trampoline_kernelINS0_14default_configENS1_38merge_sort_block_merge_config_selectorIlNS0_10empty_typeEEEZZNS1_27merge_sort_block_merge_implIS3_PlPS5_jNS1_19radix_merge_compareILb0ELb0ElNS0_19identity_decomposerEEEEE10hipError_tT0_T1_T2_jT3_P12ihipStream_tbPNSt15iterator_traitsISE_E10value_typeEPNSK_ISF_E10value_typeEPSG_NS1_7vsmem_tEENKUlT_SE_SF_SG_E_clIS8_S8_S9_S9_EESD_ST_SE_SF_SG_EUlST_E_NS1_11comp_targetILNS1_3genE8ELNS1_11target_archE1030ELNS1_3gpuE2ELNS1_3repE0EEENS1_48merge_mergepath_partition_config_static_selectorELNS0_4arch9wavefront6targetE0EEEvSF_
	.globl	_ZN7rocprim17ROCPRIM_400000_NS6detail17trampoline_kernelINS0_14default_configENS1_38merge_sort_block_merge_config_selectorIlNS0_10empty_typeEEEZZNS1_27merge_sort_block_merge_implIS3_PlPS5_jNS1_19radix_merge_compareILb0ELb0ElNS0_19identity_decomposerEEEEE10hipError_tT0_T1_T2_jT3_P12ihipStream_tbPNSt15iterator_traitsISE_E10value_typeEPNSK_ISF_E10value_typeEPSG_NS1_7vsmem_tEENKUlT_SE_SF_SG_E_clIS8_S8_S9_S9_EESD_ST_SE_SF_SG_EUlST_E_NS1_11comp_targetILNS1_3genE8ELNS1_11target_archE1030ELNS1_3gpuE2ELNS1_3repE0EEENS1_48merge_mergepath_partition_config_static_selectorELNS0_4arch9wavefront6targetE0EEEvSF_
	.p2align	8
	.type	_ZN7rocprim17ROCPRIM_400000_NS6detail17trampoline_kernelINS0_14default_configENS1_38merge_sort_block_merge_config_selectorIlNS0_10empty_typeEEEZZNS1_27merge_sort_block_merge_implIS3_PlPS5_jNS1_19radix_merge_compareILb0ELb0ElNS0_19identity_decomposerEEEEE10hipError_tT0_T1_T2_jT3_P12ihipStream_tbPNSt15iterator_traitsISE_E10value_typeEPNSK_ISF_E10value_typeEPSG_NS1_7vsmem_tEENKUlT_SE_SF_SG_E_clIS8_S8_S9_S9_EESD_ST_SE_SF_SG_EUlST_E_NS1_11comp_targetILNS1_3genE8ELNS1_11target_archE1030ELNS1_3gpuE2ELNS1_3repE0EEENS1_48merge_mergepath_partition_config_static_selectorELNS0_4arch9wavefront6targetE0EEEvSF_,@function
_ZN7rocprim17ROCPRIM_400000_NS6detail17trampoline_kernelINS0_14default_configENS1_38merge_sort_block_merge_config_selectorIlNS0_10empty_typeEEEZZNS1_27merge_sort_block_merge_implIS3_PlPS5_jNS1_19radix_merge_compareILb0ELb0ElNS0_19identity_decomposerEEEEE10hipError_tT0_T1_T2_jT3_P12ihipStream_tbPNSt15iterator_traitsISE_E10value_typeEPNSK_ISF_E10value_typeEPSG_NS1_7vsmem_tEENKUlT_SE_SF_SG_E_clIS8_S8_S9_S9_EESD_ST_SE_SF_SG_EUlST_E_NS1_11comp_targetILNS1_3genE8ELNS1_11target_archE1030ELNS1_3gpuE2ELNS1_3repE0EEENS1_48merge_mergepath_partition_config_static_selectorELNS0_4arch9wavefront6targetE0EEEvSF_: ; @_ZN7rocprim17ROCPRIM_400000_NS6detail17trampoline_kernelINS0_14default_configENS1_38merge_sort_block_merge_config_selectorIlNS0_10empty_typeEEEZZNS1_27merge_sort_block_merge_implIS3_PlPS5_jNS1_19radix_merge_compareILb0ELb0ElNS0_19identity_decomposerEEEEE10hipError_tT0_T1_T2_jT3_P12ihipStream_tbPNSt15iterator_traitsISE_E10value_typeEPNSK_ISF_E10value_typeEPSG_NS1_7vsmem_tEENKUlT_SE_SF_SG_E_clIS8_S8_S9_S9_EESD_ST_SE_SF_SG_EUlST_E_NS1_11comp_targetILNS1_3genE8ELNS1_11target_archE1030ELNS1_3gpuE2ELNS1_3repE0EEENS1_48merge_mergepath_partition_config_static_selectorELNS0_4arch9wavefront6targetE0EEEvSF_
; %bb.0:
	.section	.rodata,"a",@progbits
	.p2align	6, 0x0
	.amdhsa_kernel _ZN7rocprim17ROCPRIM_400000_NS6detail17trampoline_kernelINS0_14default_configENS1_38merge_sort_block_merge_config_selectorIlNS0_10empty_typeEEEZZNS1_27merge_sort_block_merge_implIS3_PlPS5_jNS1_19radix_merge_compareILb0ELb0ElNS0_19identity_decomposerEEEEE10hipError_tT0_T1_T2_jT3_P12ihipStream_tbPNSt15iterator_traitsISE_E10value_typeEPNSK_ISF_E10value_typeEPSG_NS1_7vsmem_tEENKUlT_SE_SF_SG_E_clIS8_S8_S9_S9_EESD_ST_SE_SF_SG_EUlST_E_NS1_11comp_targetILNS1_3genE8ELNS1_11target_archE1030ELNS1_3gpuE2ELNS1_3repE0EEENS1_48merge_mergepath_partition_config_static_selectorELNS0_4arch9wavefront6targetE0EEEvSF_
		.amdhsa_group_segment_fixed_size 0
		.amdhsa_private_segment_fixed_size 0
		.amdhsa_kernarg_size 40
		.amdhsa_user_sgpr_count 2
		.amdhsa_user_sgpr_dispatch_ptr 0
		.amdhsa_user_sgpr_queue_ptr 0
		.amdhsa_user_sgpr_kernarg_segment_ptr 1
		.amdhsa_user_sgpr_dispatch_id 0
		.amdhsa_user_sgpr_kernarg_preload_length 0
		.amdhsa_user_sgpr_kernarg_preload_offset 0
		.amdhsa_user_sgpr_private_segment_size 0
		.amdhsa_wavefront_size32 1
		.amdhsa_uses_dynamic_stack 0
		.amdhsa_enable_private_segment 0
		.amdhsa_system_sgpr_workgroup_id_x 1
		.amdhsa_system_sgpr_workgroup_id_y 0
		.amdhsa_system_sgpr_workgroup_id_z 0
		.amdhsa_system_sgpr_workgroup_info 0
		.amdhsa_system_vgpr_workitem_id 0
		.amdhsa_next_free_vgpr 1
		.amdhsa_next_free_sgpr 1
		.amdhsa_named_barrier_count 0
		.amdhsa_reserve_vcc 0
		.amdhsa_float_round_mode_32 0
		.amdhsa_float_round_mode_16_64 0
		.amdhsa_float_denorm_mode_32 3
		.amdhsa_float_denorm_mode_16_64 3
		.amdhsa_fp16_overflow 0
		.amdhsa_memory_ordered 1
		.amdhsa_forward_progress 1
		.amdhsa_inst_pref_size 0
		.amdhsa_round_robin_scheduling 0
		.amdhsa_exception_fp_ieee_invalid_op 0
		.amdhsa_exception_fp_denorm_src 0
		.amdhsa_exception_fp_ieee_div_zero 0
		.amdhsa_exception_fp_ieee_overflow 0
		.amdhsa_exception_fp_ieee_underflow 0
		.amdhsa_exception_fp_ieee_inexact 0
		.amdhsa_exception_int_div_zero 0
	.end_amdhsa_kernel
	.section	.text._ZN7rocprim17ROCPRIM_400000_NS6detail17trampoline_kernelINS0_14default_configENS1_38merge_sort_block_merge_config_selectorIlNS0_10empty_typeEEEZZNS1_27merge_sort_block_merge_implIS3_PlPS5_jNS1_19radix_merge_compareILb0ELb0ElNS0_19identity_decomposerEEEEE10hipError_tT0_T1_T2_jT3_P12ihipStream_tbPNSt15iterator_traitsISE_E10value_typeEPNSK_ISF_E10value_typeEPSG_NS1_7vsmem_tEENKUlT_SE_SF_SG_E_clIS8_S8_S9_S9_EESD_ST_SE_SF_SG_EUlST_E_NS1_11comp_targetILNS1_3genE8ELNS1_11target_archE1030ELNS1_3gpuE2ELNS1_3repE0EEENS1_48merge_mergepath_partition_config_static_selectorELNS0_4arch9wavefront6targetE0EEEvSF_,"axG",@progbits,_ZN7rocprim17ROCPRIM_400000_NS6detail17trampoline_kernelINS0_14default_configENS1_38merge_sort_block_merge_config_selectorIlNS0_10empty_typeEEEZZNS1_27merge_sort_block_merge_implIS3_PlPS5_jNS1_19radix_merge_compareILb0ELb0ElNS0_19identity_decomposerEEEEE10hipError_tT0_T1_T2_jT3_P12ihipStream_tbPNSt15iterator_traitsISE_E10value_typeEPNSK_ISF_E10value_typeEPSG_NS1_7vsmem_tEENKUlT_SE_SF_SG_E_clIS8_S8_S9_S9_EESD_ST_SE_SF_SG_EUlST_E_NS1_11comp_targetILNS1_3genE8ELNS1_11target_archE1030ELNS1_3gpuE2ELNS1_3repE0EEENS1_48merge_mergepath_partition_config_static_selectorELNS0_4arch9wavefront6targetE0EEEvSF_,comdat
.Lfunc_end1148:
	.size	_ZN7rocprim17ROCPRIM_400000_NS6detail17trampoline_kernelINS0_14default_configENS1_38merge_sort_block_merge_config_selectorIlNS0_10empty_typeEEEZZNS1_27merge_sort_block_merge_implIS3_PlPS5_jNS1_19radix_merge_compareILb0ELb0ElNS0_19identity_decomposerEEEEE10hipError_tT0_T1_T2_jT3_P12ihipStream_tbPNSt15iterator_traitsISE_E10value_typeEPNSK_ISF_E10value_typeEPSG_NS1_7vsmem_tEENKUlT_SE_SF_SG_E_clIS8_S8_S9_S9_EESD_ST_SE_SF_SG_EUlST_E_NS1_11comp_targetILNS1_3genE8ELNS1_11target_archE1030ELNS1_3gpuE2ELNS1_3repE0EEENS1_48merge_mergepath_partition_config_static_selectorELNS0_4arch9wavefront6targetE0EEEvSF_, .Lfunc_end1148-_ZN7rocprim17ROCPRIM_400000_NS6detail17trampoline_kernelINS0_14default_configENS1_38merge_sort_block_merge_config_selectorIlNS0_10empty_typeEEEZZNS1_27merge_sort_block_merge_implIS3_PlPS5_jNS1_19radix_merge_compareILb0ELb0ElNS0_19identity_decomposerEEEEE10hipError_tT0_T1_T2_jT3_P12ihipStream_tbPNSt15iterator_traitsISE_E10value_typeEPNSK_ISF_E10value_typeEPSG_NS1_7vsmem_tEENKUlT_SE_SF_SG_E_clIS8_S8_S9_S9_EESD_ST_SE_SF_SG_EUlST_E_NS1_11comp_targetILNS1_3genE8ELNS1_11target_archE1030ELNS1_3gpuE2ELNS1_3repE0EEENS1_48merge_mergepath_partition_config_static_selectorELNS0_4arch9wavefront6targetE0EEEvSF_
                                        ; -- End function
	.set _ZN7rocprim17ROCPRIM_400000_NS6detail17trampoline_kernelINS0_14default_configENS1_38merge_sort_block_merge_config_selectorIlNS0_10empty_typeEEEZZNS1_27merge_sort_block_merge_implIS3_PlPS5_jNS1_19radix_merge_compareILb0ELb0ElNS0_19identity_decomposerEEEEE10hipError_tT0_T1_T2_jT3_P12ihipStream_tbPNSt15iterator_traitsISE_E10value_typeEPNSK_ISF_E10value_typeEPSG_NS1_7vsmem_tEENKUlT_SE_SF_SG_E_clIS8_S8_S9_S9_EESD_ST_SE_SF_SG_EUlST_E_NS1_11comp_targetILNS1_3genE8ELNS1_11target_archE1030ELNS1_3gpuE2ELNS1_3repE0EEENS1_48merge_mergepath_partition_config_static_selectorELNS0_4arch9wavefront6targetE0EEEvSF_.num_vgpr, 0
	.set _ZN7rocprim17ROCPRIM_400000_NS6detail17trampoline_kernelINS0_14default_configENS1_38merge_sort_block_merge_config_selectorIlNS0_10empty_typeEEEZZNS1_27merge_sort_block_merge_implIS3_PlPS5_jNS1_19radix_merge_compareILb0ELb0ElNS0_19identity_decomposerEEEEE10hipError_tT0_T1_T2_jT3_P12ihipStream_tbPNSt15iterator_traitsISE_E10value_typeEPNSK_ISF_E10value_typeEPSG_NS1_7vsmem_tEENKUlT_SE_SF_SG_E_clIS8_S8_S9_S9_EESD_ST_SE_SF_SG_EUlST_E_NS1_11comp_targetILNS1_3genE8ELNS1_11target_archE1030ELNS1_3gpuE2ELNS1_3repE0EEENS1_48merge_mergepath_partition_config_static_selectorELNS0_4arch9wavefront6targetE0EEEvSF_.num_agpr, 0
	.set _ZN7rocprim17ROCPRIM_400000_NS6detail17trampoline_kernelINS0_14default_configENS1_38merge_sort_block_merge_config_selectorIlNS0_10empty_typeEEEZZNS1_27merge_sort_block_merge_implIS3_PlPS5_jNS1_19radix_merge_compareILb0ELb0ElNS0_19identity_decomposerEEEEE10hipError_tT0_T1_T2_jT3_P12ihipStream_tbPNSt15iterator_traitsISE_E10value_typeEPNSK_ISF_E10value_typeEPSG_NS1_7vsmem_tEENKUlT_SE_SF_SG_E_clIS8_S8_S9_S9_EESD_ST_SE_SF_SG_EUlST_E_NS1_11comp_targetILNS1_3genE8ELNS1_11target_archE1030ELNS1_3gpuE2ELNS1_3repE0EEENS1_48merge_mergepath_partition_config_static_selectorELNS0_4arch9wavefront6targetE0EEEvSF_.numbered_sgpr, 0
	.set _ZN7rocprim17ROCPRIM_400000_NS6detail17trampoline_kernelINS0_14default_configENS1_38merge_sort_block_merge_config_selectorIlNS0_10empty_typeEEEZZNS1_27merge_sort_block_merge_implIS3_PlPS5_jNS1_19radix_merge_compareILb0ELb0ElNS0_19identity_decomposerEEEEE10hipError_tT0_T1_T2_jT3_P12ihipStream_tbPNSt15iterator_traitsISE_E10value_typeEPNSK_ISF_E10value_typeEPSG_NS1_7vsmem_tEENKUlT_SE_SF_SG_E_clIS8_S8_S9_S9_EESD_ST_SE_SF_SG_EUlST_E_NS1_11comp_targetILNS1_3genE8ELNS1_11target_archE1030ELNS1_3gpuE2ELNS1_3repE0EEENS1_48merge_mergepath_partition_config_static_selectorELNS0_4arch9wavefront6targetE0EEEvSF_.num_named_barrier, 0
	.set _ZN7rocprim17ROCPRIM_400000_NS6detail17trampoline_kernelINS0_14default_configENS1_38merge_sort_block_merge_config_selectorIlNS0_10empty_typeEEEZZNS1_27merge_sort_block_merge_implIS3_PlPS5_jNS1_19radix_merge_compareILb0ELb0ElNS0_19identity_decomposerEEEEE10hipError_tT0_T1_T2_jT3_P12ihipStream_tbPNSt15iterator_traitsISE_E10value_typeEPNSK_ISF_E10value_typeEPSG_NS1_7vsmem_tEENKUlT_SE_SF_SG_E_clIS8_S8_S9_S9_EESD_ST_SE_SF_SG_EUlST_E_NS1_11comp_targetILNS1_3genE8ELNS1_11target_archE1030ELNS1_3gpuE2ELNS1_3repE0EEENS1_48merge_mergepath_partition_config_static_selectorELNS0_4arch9wavefront6targetE0EEEvSF_.private_seg_size, 0
	.set _ZN7rocprim17ROCPRIM_400000_NS6detail17trampoline_kernelINS0_14default_configENS1_38merge_sort_block_merge_config_selectorIlNS0_10empty_typeEEEZZNS1_27merge_sort_block_merge_implIS3_PlPS5_jNS1_19radix_merge_compareILb0ELb0ElNS0_19identity_decomposerEEEEE10hipError_tT0_T1_T2_jT3_P12ihipStream_tbPNSt15iterator_traitsISE_E10value_typeEPNSK_ISF_E10value_typeEPSG_NS1_7vsmem_tEENKUlT_SE_SF_SG_E_clIS8_S8_S9_S9_EESD_ST_SE_SF_SG_EUlST_E_NS1_11comp_targetILNS1_3genE8ELNS1_11target_archE1030ELNS1_3gpuE2ELNS1_3repE0EEENS1_48merge_mergepath_partition_config_static_selectorELNS0_4arch9wavefront6targetE0EEEvSF_.uses_vcc, 0
	.set _ZN7rocprim17ROCPRIM_400000_NS6detail17trampoline_kernelINS0_14default_configENS1_38merge_sort_block_merge_config_selectorIlNS0_10empty_typeEEEZZNS1_27merge_sort_block_merge_implIS3_PlPS5_jNS1_19radix_merge_compareILb0ELb0ElNS0_19identity_decomposerEEEEE10hipError_tT0_T1_T2_jT3_P12ihipStream_tbPNSt15iterator_traitsISE_E10value_typeEPNSK_ISF_E10value_typeEPSG_NS1_7vsmem_tEENKUlT_SE_SF_SG_E_clIS8_S8_S9_S9_EESD_ST_SE_SF_SG_EUlST_E_NS1_11comp_targetILNS1_3genE8ELNS1_11target_archE1030ELNS1_3gpuE2ELNS1_3repE0EEENS1_48merge_mergepath_partition_config_static_selectorELNS0_4arch9wavefront6targetE0EEEvSF_.uses_flat_scratch, 0
	.set _ZN7rocprim17ROCPRIM_400000_NS6detail17trampoline_kernelINS0_14default_configENS1_38merge_sort_block_merge_config_selectorIlNS0_10empty_typeEEEZZNS1_27merge_sort_block_merge_implIS3_PlPS5_jNS1_19radix_merge_compareILb0ELb0ElNS0_19identity_decomposerEEEEE10hipError_tT0_T1_T2_jT3_P12ihipStream_tbPNSt15iterator_traitsISE_E10value_typeEPNSK_ISF_E10value_typeEPSG_NS1_7vsmem_tEENKUlT_SE_SF_SG_E_clIS8_S8_S9_S9_EESD_ST_SE_SF_SG_EUlST_E_NS1_11comp_targetILNS1_3genE8ELNS1_11target_archE1030ELNS1_3gpuE2ELNS1_3repE0EEENS1_48merge_mergepath_partition_config_static_selectorELNS0_4arch9wavefront6targetE0EEEvSF_.has_dyn_sized_stack, 0
	.set _ZN7rocprim17ROCPRIM_400000_NS6detail17trampoline_kernelINS0_14default_configENS1_38merge_sort_block_merge_config_selectorIlNS0_10empty_typeEEEZZNS1_27merge_sort_block_merge_implIS3_PlPS5_jNS1_19radix_merge_compareILb0ELb0ElNS0_19identity_decomposerEEEEE10hipError_tT0_T1_T2_jT3_P12ihipStream_tbPNSt15iterator_traitsISE_E10value_typeEPNSK_ISF_E10value_typeEPSG_NS1_7vsmem_tEENKUlT_SE_SF_SG_E_clIS8_S8_S9_S9_EESD_ST_SE_SF_SG_EUlST_E_NS1_11comp_targetILNS1_3genE8ELNS1_11target_archE1030ELNS1_3gpuE2ELNS1_3repE0EEENS1_48merge_mergepath_partition_config_static_selectorELNS0_4arch9wavefront6targetE0EEEvSF_.has_recursion, 0
	.set _ZN7rocprim17ROCPRIM_400000_NS6detail17trampoline_kernelINS0_14default_configENS1_38merge_sort_block_merge_config_selectorIlNS0_10empty_typeEEEZZNS1_27merge_sort_block_merge_implIS3_PlPS5_jNS1_19radix_merge_compareILb0ELb0ElNS0_19identity_decomposerEEEEE10hipError_tT0_T1_T2_jT3_P12ihipStream_tbPNSt15iterator_traitsISE_E10value_typeEPNSK_ISF_E10value_typeEPSG_NS1_7vsmem_tEENKUlT_SE_SF_SG_E_clIS8_S8_S9_S9_EESD_ST_SE_SF_SG_EUlST_E_NS1_11comp_targetILNS1_3genE8ELNS1_11target_archE1030ELNS1_3gpuE2ELNS1_3repE0EEENS1_48merge_mergepath_partition_config_static_selectorELNS0_4arch9wavefront6targetE0EEEvSF_.has_indirect_call, 0
	.section	.AMDGPU.csdata,"",@progbits
; Kernel info:
; codeLenInByte = 0
; TotalNumSgprs: 0
; NumVgprs: 0
; ScratchSize: 0
; MemoryBound: 0
; FloatMode: 240
; IeeeMode: 1
; LDSByteSize: 0 bytes/workgroup (compile time only)
; SGPRBlocks: 0
; VGPRBlocks: 0
; NumSGPRsForWavesPerEU: 1
; NumVGPRsForWavesPerEU: 1
; NamedBarCnt: 0
; Occupancy: 16
; WaveLimiterHint : 0
; COMPUTE_PGM_RSRC2:SCRATCH_EN: 0
; COMPUTE_PGM_RSRC2:USER_SGPR: 2
; COMPUTE_PGM_RSRC2:TRAP_HANDLER: 0
; COMPUTE_PGM_RSRC2:TGID_X_EN: 1
; COMPUTE_PGM_RSRC2:TGID_Y_EN: 0
; COMPUTE_PGM_RSRC2:TGID_Z_EN: 0
; COMPUTE_PGM_RSRC2:TIDIG_COMP_CNT: 0
	.section	.text._ZN7rocprim17ROCPRIM_400000_NS6detail17trampoline_kernelINS0_14default_configENS1_38merge_sort_block_merge_config_selectorIlNS0_10empty_typeEEEZZNS1_27merge_sort_block_merge_implIS3_PlPS5_jNS1_19radix_merge_compareILb0ELb0ElNS0_19identity_decomposerEEEEE10hipError_tT0_T1_T2_jT3_P12ihipStream_tbPNSt15iterator_traitsISE_E10value_typeEPNSK_ISF_E10value_typeEPSG_NS1_7vsmem_tEENKUlT_SE_SF_SG_E_clIS8_S8_S9_S9_EESD_ST_SE_SF_SG_EUlST_E0_NS1_11comp_targetILNS1_3genE0ELNS1_11target_archE4294967295ELNS1_3gpuE0ELNS1_3repE0EEENS1_38merge_mergepath_config_static_selectorELNS0_4arch9wavefront6targetE0EEEvSF_,"axG",@progbits,_ZN7rocprim17ROCPRIM_400000_NS6detail17trampoline_kernelINS0_14default_configENS1_38merge_sort_block_merge_config_selectorIlNS0_10empty_typeEEEZZNS1_27merge_sort_block_merge_implIS3_PlPS5_jNS1_19radix_merge_compareILb0ELb0ElNS0_19identity_decomposerEEEEE10hipError_tT0_T1_T2_jT3_P12ihipStream_tbPNSt15iterator_traitsISE_E10value_typeEPNSK_ISF_E10value_typeEPSG_NS1_7vsmem_tEENKUlT_SE_SF_SG_E_clIS8_S8_S9_S9_EESD_ST_SE_SF_SG_EUlST_E0_NS1_11comp_targetILNS1_3genE0ELNS1_11target_archE4294967295ELNS1_3gpuE0ELNS1_3repE0EEENS1_38merge_mergepath_config_static_selectorELNS0_4arch9wavefront6targetE0EEEvSF_,comdat
	.protected	_ZN7rocprim17ROCPRIM_400000_NS6detail17trampoline_kernelINS0_14default_configENS1_38merge_sort_block_merge_config_selectorIlNS0_10empty_typeEEEZZNS1_27merge_sort_block_merge_implIS3_PlPS5_jNS1_19radix_merge_compareILb0ELb0ElNS0_19identity_decomposerEEEEE10hipError_tT0_T1_T2_jT3_P12ihipStream_tbPNSt15iterator_traitsISE_E10value_typeEPNSK_ISF_E10value_typeEPSG_NS1_7vsmem_tEENKUlT_SE_SF_SG_E_clIS8_S8_S9_S9_EESD_ST_SE_SF_SG_EUlST_E0_NS1_11comp_targetILNS1_3genE0ELNS1_11target_archE4294967295ELNS1_3gpuE0ELNS1_3repE0EEENS1_38merge_mergepath_config_static_selectorELNS0_4arch9wavefront6targetE0EEEvSF_ ; -- Begin function _ZN7rocprim17ROCPRIM_400000_NS6detail17trampoline_kernelINS0_14default_configENS1_38merge_sort_block_merge_config_selectorIlNS0_10empty_typeEEEZZNS1_27merge_sort_block_merge_implIS3_PlPS5_jNS1_19radix_merge_compareILb0ELb0ElNS0_19identity_decomposerEEEEE10hipError_tT0_T1_T2_jT3_P12ihipStream_tbPNSt15iterator_traitsISE_E10value_typeEPNSK_ISF_E10value_typeEPSG_NS1_7vsmem_tEENKUlT_SE_SF_SG_E_clIS8_S8_S9_S9_EESD_ST_SE_SF_SG_EUlST_E0_NS1_11comp_targetILNS1_3genE0ELNS1_11target_archE4294967295ELNS1_3gpuE0ELNS1_3repE0EEENS1_38merge_mergepath_config_static_selectorELNS0_4arch9wavefront6targetE0EEEvSF_
	.globl	_ZN7rocprim17ROCPRIM_400000_NS6detail17trampoline_kernelINS0_14default_configENS1_38merge_sort_block_merge_config_selectorIlNS0_10empty_typeEEEZZNS1_27merge_sort_block_merge_implIS3_PlPS5_jNS1_19radix_merge_compareILb0ELb0ElNS0_19identity_decomposerEEEEE10hipError_tT0_T1_T2_jT3_P12ihipStream_tbPNSt15iterator_traitsISE_E10value_typeEPNSK_ISF_E10value_typeEPSG_NS1_7vsmem_tEENKUlT_SE_SF_SG_E_clIS8_S8_S9_S9_EESD_ST_SE_SF_SG_EUlST_E0_NS1_11comp_targetILNS1_3genE0ELNS1_11target_archE4294967295ELNS1_3gpuE0ELNS1_3repE0EEENS1_38merge_mergepath_config_static_selectorELNS0_4arch9wavefront6targetE0EEEvSF_
	.p2align	8
	.type	_ZN7rocprim17ROCPRIM_400000_NS6detail17trampoline_kernelINS0_14default_configENS1_38merge_sort_block_merge_config_selectorIlNS0_10empty_typeEEEZZNS1_27merge_sort_block_merge_implIS3_PlPS5_jNS1_19radix_merge_compareILb0ELb0ElNS0_19identity_decomposerEEEEE10hipError_tT0_T1_T2_jT3_P12ihipStream_tbPNSt15iterator_traitsISE_E10value_typeEPNSK_ISF_E10value_typeEPSG_NS1_7vsmem_tEENKUlT_SE_SF_SG_E_clIS8_S8_S9_S9_EESD_ST_SE_SF_SG_EUlST_E0_NS1_11comp_targetILNS1_3genE0ELNS1_11target_archE4294967295ELNS1_3gpuE0ELNS1_3repE0EEENS1_38merge_mergepath_config_static_selectorELNS0_4arch9wavefront6targetE0EEEvSF_,@function
_ZN7rocprim17ROCPRIM_400000_NS6detail17trampoline_kernelINS0_14default_configENS1_38merge_sort_block_merge_config_selectorIlNS0_10empty_typeEEEZZNS1_27merge_sort_block_merge_implIS3_PlPS5_jNS1_19radix_merge_compareILb0ELb0ElNS0_19identity_decomposerEEEEE10hipError_tT0_T1_T2_jT3_P12ihipStream_tbPNSt15iterator_traitsISE_E10value_typeEPNSK_ISF_E10value_typeEPSG_NS1_7vsmem_tEENKUlT_SE_SF_SG_E_clIS8_S8_S9_S9_EESD_ST_SE_SF_SG_EUlST_E0_NS1_11comp_targetILNS1_3genE0ELNS1_11target_archE4294967295ELNS1_3gpuE0ELNS1_3repE0EEENS1_38merge_mergepath_config_static_selectorELNS0_4arch9wavefront6targetE0EEEvSF_: ; @_ZN7rocprim17ROCPRIM_400000_NS6detail17trampoline_kernelINS0_14default_configENS1_38merge_sort_block_merge_config_selectorIlNS0_10empty_typeEEEZZNS1_27merge_sort_block_merge_implIS3_PlPS5_jNS1_19radix_merge_compareILb0ELb0ElNS0_19identity_decomposerEEEEE10hipError_tT0_T1_T2_jT3_P12ihipStream_tbPNSt15iterator_traitsISE_E10value_typeEPNSK_ISF_E10value_typeEPSG_NS1_7vsmem_tEENKUlT_SE_SF_SG_E_clIS8_S8_S9_S9_EESD_ST_SE_SF_SG_EUlST_E0_NS1_11comp_targetILNS1_3genE0ELNS1_11target_archE4294967295ELNS1_3gpuE0ELNS1_3repE0EEENS1_38merge_mergepath_config_static_selectorELNS0_4arch9wavefront6targetE0EEEvSF_
; %bb.0:
	s_bfe_u32 s2, ttmp6, 0x40010
	s_and_b32 s4, ttmp7, 0xffff
	s_add_co_i32 s5, s2, 1
	s_clause 0x1
	s_load_b32 s6, s[0:1], 0x30
	s_load_b64 s[2:3], s[0:1], 0x40
	s_bfe_u32 s8, ttmp6, 0x4000c
	s_mul_i32 s5, s4, s5
	s_bfe_u32 s7, ttmp6, 0x40004
	s_add_co_i32 s8, s8, 1
	s_bfe_u32 s9, ttmp6, 0x40014
	s_add_co_i32 s7, s7, s5
	s_and_b32 s5, ttmp6, 15
	s_mul_i32 s8, ttmp9, s8
	s_lshr_b32 s10, ttmp7, 16
	s_add_co_i32 s9, s9, 1
	s_add_co_i32 s5, s5, s8
	s_mul_i32 s8, s10, s9
	s_bfe_u32 s9, ttmp6, 0x40008
	s_getreg_b32 s11, hwreg(HW_REG_IB_STS2, 6, 4)
	s_add_co_i32 s9, s9, s8
	s_cmp_eq_u32 s11, 0
	s_cselect_b32 s8, s10, s9
	s_cselect_b32 s4, s4, s7
	s_wait_kmcnt 0x0
	s_mul_i32 s8, s3, s8
	s_cselect_b32 s3, ttmp9, s5
	s_add_co_i32 s4, s8, s4
	s_mov_b32 s5, 0
	s_mul_i32 s4, s4, s2
	s_delay_alu instid0(SALU_CYCLE_1) | instskip(NEXT) | instid1(SALU_CYCLE_1)
	s_add_co_i32 s4, s4, s3
	s_cmp_ge_u32 s4, s6
	s_cbranch_scc1 .LBB1149_43
; %bb.1:
	v_mov_b32_e32 v21, 0
	s_add_nc_u64 s[6:7], s[0:1], 64
	v_lshlrev_b32_e32 v20, 3, v0
	global_load_b32 v1, v21, s[6:7] offset:14
	s_clause 0x2
	s_load_b64 s[8:9], s[0:1], 0x28
	s_load_b64 s[10:11], s[0:1], 0x38
	;; [unrolled: 1-line block ×3, first 2 shown]
	s_wait_kmcnt 0x0
	s_lshr_b32 s22, s8, 10
	s_delay_alu instid0(SALU_CYCLE_1) | instskip(SKIP_2) | instid1(SALU_CYCLE_1)
	s_cmp_lg_u32 s4, s22
	s_cselect_b32 s14, -1, 0
	s_lshl_b64 s[12:13], s[4:5], 2
	s_add_nc_u64 s[10:11], s[10:11], s[12:13]
	s_load_b64 s[12:13], s[10:11], 0x0
	s_wait_xcnt 0x0
	s_lshr_b32 s10, s9, 9
	s_delay_alu instid0(SALU_CYCLE_1) | instskip(NEXT) | instid1(SALU_CYCLE_1)
	s_and_b32 s10, s10, 0x7ffffe
	s_sub_co_i32 s11, 0, s10
	s_lshl_b32 s10, s4, 10
	s_and_b32 s15, s4, s11
	s_or_b32 s11, s4, s11
	s_lshl_b32 s18, s15, 11
	s_lshl_b32 s15, s15, 10
	s_add_co_i32 s18, s18, s9
	s_sub_co_i32 s19, s10, s15
	s_sub_co_i32 s15, s18, s15
	s_add_co_i32 s18, s18, s19
	s_min_u32 s20, s8, s15
	s_add_co_i32 s15, s15, s9
	s_wait_kmcnt 0x0
	s_sub_co_i32 s9, s18, s12
	s_sub_co_i32 s19, s18, s13
	s_min_u32 s18, s8, s9
	s_add_co_i32 s9, s19, 0x400
	s_cmp_eq_u32 s11, -1
	s_mov_b32 s19, s5
	s_cselect_b32 s9, s15, s9
	s_cselect_b32 s11, s20, s13
	s_mov_b32 s13, s5
	s_min_u32 s15, s9, s8
	s_lshl_b64 s[20:21], s[18:19], 3
	s_sub_co_i32 s9, s11, s12
	s_lshl_b64 s[12:13], s[12:13], 3
	s_sub_co_i32 s15, s15, s18
	s_cmp_lt_u32 s3, s2
	s_mov_b32 s3, s5
	s_cselect_b32 s2, 12, 18
	s_add_nc_u64 s[12:13], s[16:17], s[12:13]
	s_add_nc_u64 s[2:3], s[6:7], s[2:3]
	s_cmp_eq_u32 s4, s22
	s_load_u16 s2, s[2:3], 0x0
	s_add_nc_u64 s[6:7], s[16:17], s[20:21]
	s_wait_loadcnt 0x0
	v_lshrrev_b32_e32 v2, 16, v1
	v_and_b32_e32 v1, 0xffff, v1
	s_delay_alu instid0(VALU_DEP_1) | instskip(SKIP_1) | instid1(VALU_DEP_1)
	v_mul_lo_u32 v1, v1, v2
	s_wait_kmcnt 0x0
	v_mul_lo_u32 v1, v1, s2
	s_mov_b32 s2, -1
	s_delay_alu instid0(VALU_DEP_1) | instskip(NEXT) | instid1(VALU_DEP_1)
	v_add_nc_u32_e32 v24, v1, v0
	v_add_nc_u32_e32 v22, v24, v1
	s_cbranch_scc1 .LBB1149_3
; %bb.2:
	v_sub_co_u32 v4, vcc_lo, v0, s9
	v_dual_mov_b32 v5, v21 :: v_dual_mov_b32 v25, v21
	v_add_nc_u64_e32 v[2:3], s[12:13], v[20:21]
	v_sub_co_u32 v8, s2, v24, s9
	s_delay_alu instid0(VALU_DEP_3) | instskip(SKIP_3) | instid1(VALU_DEP_4)
	v_lshl_add_u64 v[4:5], v[4:5], 3, s[6:7]
	v_dual_mov_b32 v9, v21 :: v_dual_mov_b32 v23, v21
	v_lshl_add_u64 v[6:7], v[24:25], 3, s[12:13]
	v_dual_mov_b32 v11, v21 :: v_dual_add_nc_u32 v12, v22, v1
	v_dual_cndmask_b32 v3, v5, v3 :: v_dual_cndmask_b32 v2, v4, v2
	s_delay_alu instid0(VALU_DEP_4) | instskip(SKIP_3) | instid1(VALU_DEP_4)
	v_lshl_add_u64 v[4:5], v[8:9], 3, s[6:7]
	v_sub_co_u32 v10, vcc_lo, v22, s9
	v_mov_b32_e32 v13, v21
	v_lshl_add_u64 v[8:9], v[22:23], 3, s[12:13]
	v_dual_cndmask_b32 v5, v5, v7, s2 :: v_dual_cndmask_b32 v4, v4, v6, s2
	s_delay_alu instid0(VALU_DEP_4) | instskip(NEXT) | instid1(VALU_DEP_4)
	v_lshl_add_u64 v[6:7], v[10:11], 3, s[6:7]
	v_lshl_add_u64 v[10:11], v[12:13], 3, s[12:13]
	v_sub_co_u32 v14, s2, v12, s9
	s_delay_alu instid0(VALU_DEP_3) | instskip(NEXT) | instid1(VALU_DEP_4)
	v_dual_mov_b32 v15, v21 :: v_dual_cndmask_b32 v7, v7, v9, vcc_lo
	v_dual_add_nc_u32 v12, v12, v1 :: v_dual_cndmask_b32 v6, v6, v8, vcc_lo
	v_mov_b32_e32 v17, v21
	s_delay_alu instid0(VALU_DEP_3) | instskip(SKIP_1) | instid1(VALU_DEP_4)
	v_lshl_add_u64 v[8:9], v[14:15], 3, s[6:7]
	v_mov_b32_e32 v27, v21
	v_lshl_add_u64 v[14:15], v[12:13], 3, s[12:13]
	v_sub_co_u32 v16, vcc_lo, v12, s9
	s_delay_alu instid0(VALU_DEP_4) | instskip(SKIP_1) | instid1(VALU_DEP_3)
	v_dual_add_nc_u32 v12, v12, v1 :: v_dual_cndmask_b32 v19, v9, v11, s2
	v_cndmask_b32_e64 v18, v8, v10, s2
	v_lshl_add_u64 v[8:9], v[16:17], 3, s[6:7]
	global_load_b64 v[2:3], v[2:3], off
	v_lshl_add_u64 v[10:11], v[12:13], 3, s[12:13]
	v_add_nc_u32_e32 v16, v12, v1
	v_sub_co_u32 v12, s2, v12, s9
	v_cndmask_b32_e32 v33, v9, v15, vcc_lo
	global_load_b64 v[4:5], v[4:5], off
	v_lshl_add_u64 v[28:29], v[16:17], 3, s[12:13]
	v_lshl_add_u64 v[12:13], v[12:13], 3, s[6:7]
	v_add_nc_u32_e32 v26, v16, v1
	v_sub_co_u32 v16, s3, v16, s9
	global_load_b64 v[6:7], v[6:7], off
	s_add_co_i32 s11, s15, s9
	v_lshl_add_u64 v[30:31], v[26:27], 3, s[12:13]
	v_sub_co_u32 v26, s4, v26, s9
	v_lshl_add_u64 v[16:17], v[16:17], 3, s[6:7]
	v_cndmask_b32_e32 v32, v8, v14, vcc_lo
	s_delay_alu instid0(VALU_DEP_3) | instskip(SKIP_1) | instid1(VALU_DEP_4)
	v_lshl_add_u64 v[8:9], v[26:27], 3, s[6:7]
	v_dual_cndmask_b32 v27, v13, v11, s2 :: v_dual_cndmask_b32 v26, v12, v10, s2
	v_dual_cndmask_b32 v29, v17, v29, s3 :: v_dual_cndmask_b32 v28, v16, v28, s3
	s_delay_alu instid0(VALU_DEP_3)
	v_dual_cndmask_b32 v31, v9, v31, s4 :: v_dual_cndmask_b32 v30, v8, v30, s4
	global_load_b64 v[8:9], v[18:19], off
	global_load_b64 v[10:11], v[32:33], off
	;; [unrolled: 1-line block ×5, first 2 shown]
	s_cbranch_execz .LBB1149_4
	s_branch .LBB1149_19
.LBB1149_3:
                                        ; implicit-def: $vgpr2_vgpr3_vgpr4_vgpr5_vgpr6_vgpr7_vgpr8_vgpr9_vgpr10_vgpr11_vgpr12_vgpr13_vgpr14_vgpr15_vgpr16_vgpr17
                                        ; implicit-def: $sgpr11
	s_and_not1_b32 vcc_lo, exec_lo, s2
	s_cbranch_vccnz .LBB1149_19
.LBB1149_4:
	s_wait_loadcnt 0x7
	s_wait_xcnt 0x7
	v_mov_b32_e32 v2, 0
	s_add_co_i32 s11, s15, s9
	s_mov_b32 s2, exec_lo
	s_wait_loadcnt 0x6
	s_wait_xcnt 0x6
	v_dual_mov_b32 v3, v2 :: v_dual_mov_b32 v4, v2
	s_wait_loadcnt 0x5
	s_wait_xcnt 0x5
	v_dual_mov_b32 v5, v2 :: v_dual_mov_b32 v6, v2
	s_wait_loadcnt 0x4
	v_dual_mov_b32 v7, v2 :: v_dual_mov_b32 v8, v2
	s_wait_loadcnt 0x3
	;; [unrolled: 2-line block ×5, first 2 shown]
	v_dual_mov_b32 v15, v2 :: v_dual_mov_b32 v16, v2
	v_mov_b32_e32 v17, v2
	v_cmpx_gt_u32_e64 s11, v0
	s_cbranch_execnz .LBB1149_44
; %bb.5:
	s_or_b32 exec_lo, exec_lo, s2
	s_delay_alu instid0(SALU_CYCLE_1)
	s_mov_b32 s2, exec_lo
	v_cmpx_gt_u32_e64 s11, v24
	s_cbranch_execnz .LBB1149_45
.LBB1149_6:
	s_or_b32 exec_lo, exec_lo, s2
	s_delay_alu instid0(SALU_CYCLE_1)
	s_mov_b32 s2, exec_lo
	v_cmpx_gt_u32_e64 s11, v22
	s_cbranch_execz .LBB1149_8
.LBB1149_7:
	v_sub_co_u32 v18, vcc_lo, v22, s9
	v_mov_b32_e32 v23, 0
	s_delay_alu instid0(VALU_DEP_1) | instskip(SKIP_1) | instid1(VALU_DEP_1)
	v_lshl_add_u64 v[6:7], v[22:23], 3, s[12:13]
	v_mov_b32_e32 v19, v23
	v_lshl_add_u64 v[18:19], v[18:19], 3, s[6:7]
	s_delay_alu instid0(VALU_DEP_1)
	v_dual_cndmask_b32 v7, v19, v7 :: v_dual_cndmask_b32 v6, v18, v6
	global_load_b64 v[6:7], v[6:7], off
.LBB1149_8:
	s_wait_xcnt 0x0
	s_or_b32 exec_lo, exec_lo, s2
	v_add_nc_u32_e32 v18, v22, v1
	s_mov_b32 s2, exec_lo
	s_delay_alu instid0(VALU_DEP_1)
	v_cmpx_gt_u32_e64 s11, v18
	s_cbranch_execz .LBB1149_10
; %bb.9:
	v_sub_co_u32 v22, vcc_lo, v18, s9
	v_mov_b32_e32 v19, 0
	s_delay_alu instid0(VALU_DEP_1) | instskip(SKIP_1) | instid1(VALU_DEP_1)
	v_lshl_add_u64 v[8:9], v[18:19], 3, s[12:13]
	v_mov_b32_e32 v23, v19
	v_lshl_add_u64 v[22:23], v[22:23], 3, s[6:7]
	s_delay_alu instid0(VALU_DEP_1)
	v_dual_cndmask_b32 v9, v23, v9 :: v_dual_cndmask_b32 v8, v22, v8
	global_load_b64 v[8:9], v[8:9], off
.LBB1149_10:
	s_wait_xcnt 0x0
	s_or_b32 exec_lo, exec_lo, s2
	v_add_nc_u32_e32 v18, v18, v1
	s_mov_b32 s2, exec_lo
	s_delay_alu instid0(VALU_DEP_1)
	v_cmpx_gt_u32_e64 s11, v18
	s_cbranch_execz .LBB1149_12
; %bb.11:
	v_sub_co_u32 v22, vcc_lo, v18, s9
	v_mov_b32_e32 v19, 0
	s_delay_alu instid0(VALU_DEP_1) | instskip(SKIP_1) | instid1(VALU_DEP_1)
	v_lshl_add_u64 v[10:11], v[18:19], 3, s[12:13]
	v_mov_b32_e32 v23, v19
	v_lshl_add_u64 v[22:23], v[22:23], 3, s[6:7]
	s_delay_alu instid0(VALU_DEP_1)
	v_dual_cndmask_b32 v11, v23, v11 :: v_dual_cndmask_b32 v10, v22, v10
	global_load_b64 v[10:11], v[10:11], off
.LBB1149_12:
	;; [unrolled: 18-line block ×4, first 2 shown]
	s_wait_xcnt 0x0
	s_or_b32 exec_lo, exec_lo, s2
	v_add_nc_u32_e32 v18, v18, v1
	s_mov_b32 s2, exec_lo
	s_delay_alu instid0(VALU_DEP_1)
	v_cmpx_gt_u32_e64 s11, v18
	s_cbranch_execz .LBB1149_18
; %bb.17:
	v_mov_b32_e32 v19, 0
	s_delay_alu instid0(VALU_DEP_1) | instskip(SKIP_1) | instid1(VALU_DEP_1)
	v_lshl_add_u64 v[16:17], v[18:19], 3, s[12:13]
	v_sub_co_u32 v18, vcc_lo, v18, s9
	v_lshl_add_u64 v[18:19], v[18:19], 3, s[6:7]
	s_delay_alu instid0(VALU_DEP_1)
	v_dual_cndmask_b32 v17, v19, v17 :: v_dual_cndmask_b32 v16, v18, v16
	global_load_b64 v[16:17], v[16:17], off
.LBB1149_18:
	s_wait_xcnt 0x0
	s_or_b32 exec_lo, exec_lo, s2
.LBB1149_19:
	s_load_b64 s[12:13], s[0:1], 0x10
	v_min_u32_e32 v18, s11, v20
	s_wait_xcnt 0x0
	s_mov_b32 s0, exec_lo
	s_wait_loadcnt 0x0
	ds_store_2addr_stride64_b64 v20, v[2:3], v[4:5] offset1:2
	ds_store_2addr_stride64_b64 v20, v[6:7], v[8:9] offset0:4 offset1:6
	ds_store_2addr_stride64_b64 v20, v[10:11], v[12:13] offset0:8 offset1:10
	;; [unrolled: 1-line block ×3, first 2 shown]
	s_wait_dscnt 0x0
	s_barrier_signal -1
	v_sub_nc_u32_e64 v1, v18, s15 clamp
	v_min_u32_e32 v19, s9, v18
	s_barrier_wait -1
	s_delay_alu instid0(VALU_DEP_1)
	v_cmpx_lt_u32_e64 v1, v19
	s_cbranch_execz .LBB1149_23
; %bb.20:
	v_lshlrev_b32_e32 v21, 3, v18
	s_mov_b32 s1, 0
	s_delay_alu instid0(VALU_DEP_1)
	v_lshl_add_u32 v21, s9, 3, v21
.LBB1149_21:                            ; =>This Inner Loop Header: Depth=1
	v_add_nc_u32_e32 v22, v19, v1
	s_delay_alu instid0(VALU_DEP_1) | instskip(NEXT) | instid1(VALU_DEP_1)
	v_lshrrev_b32_e32 v26, 1, v22
	v_not_b32_e32 v22, v26
	v_lshlrev_b32_e32 v23, 3, v26
	s_delay_alu instid0(VALU_DEP_2)
	v_lshl_add_u32 v24, v22, 3, v21
	ds_load_b64 v[22:23], v23
	ds_load_b64 v[24:25], v24
	s_wait_dscnt 0x0
	v_cmp_gt_i64_e32 vcc_lo, v[22:23], v[24:25]
	v_add_nc_u32_e32 v22, 1, v26
	s_delay_alu instid0(VALU_DEP_1) | instskip(NEXT) | instid1(VALU_DEP_1)
	v_dual_cndmask_b32 v1, v22, v1, vcc_lo :: v_dual_cndmask_b32 v19, v19, v26, vcc_lo
	v_cmp_ge_u32_e32 vcc_lo, v1, v19
	s_or_b32 s1, vcc_lo, s1
	s_delay_alu instid0(SALU_CYCLE_1)
	s_and_not1_b32 exec_lo, exec_lo, s1
	s_cbranch_execnz .LBB1149_21
; %bb.22:
	s_or_b32 exec_lo, exec_lo, s1
.LBB1149_23:
	s_delay_alu instid0(SALU_CYCLE_1) | instskip(SKIP_2) | instid1(VALU_DEP_2)
	s_or_b32 exec_lo, exec_lo, s0
	v_sub_nc_u32_e32 v18, v18, v1
	v_cmp_ge_u32_e32 vcc_lo, s9, v1
	v_add_nc_u32_e32 v18, s9, v18
	s_delay_alu instid0(VALU_DEP_1) | instskip(SKIP_1) | instid1(SALU_CYCLE_1)
	v_cmp_ge_u32_e64 s0, s11, v18
	s_or_b32 s0, vcc_lo, s0
	s_and_saveexec_b32 s15, s0
	s_cbranch_execz .LBB1149_29
; %bb.24:
	v_cmp_gt_u32_e32 vcc_lo, s9, v1
                                        ; implicit-def: $vgpr2_vgpr3
	s_and_saveexec_b32 s0, vcc_lo
; %bb.25:
	v_lshlrev_b32_e32 v2, 3, v1
	ds_load_b64 v[2:3], v2
; %bb.26:
	s_or_b32 exec_lo, exec_lo, s0
	v_cmp_le_u32_e64 s0, s11, v18
	s_mov_b32 s2, exec_lo
                                        ; implicit-def: $vgpr4_vgpr5
	v_cmpx_gt_u32_e64 s11, v18
; %bb.27:
	v_lshlrev_b32_e32 v4, 3, v18
	ds_load_b64 v[4:5], v4
; %bb.28:
	s_or_b32 exec_lo, exec_lo, s2
	s_wait_dscnt 0x0
	v_cmp_le_i64_e64 s1, v[2:3], v[4:5]
	s_and_b32 s1, vcc_lo, s1
	s_delay_alu instid0(SALU_CYCLE_1) | instskip(SKIP_1) | instid1(VALU_DEP_1)
	s_or_b32 vcc_lo, s0, s1
	v_dual_mov_b32 v21, s9 :: v_dual_cndmask_b32 v6, v18, v1
	v_dual_cndmask_b32 v7, s11, v21 :: v_dual_add_nc_u32 v10, 1, v6
	s_delay_alu instid0(VALU_DEP_1) | instskip(SKIP_1) | instid1(VALU_DEP_2)
	v_add_min_u32_e64 v6, v7, -1, v10
	v_cndmask_b32_e32 v1, v1, v10, vcc_lo
	v_lshlrev_b32_e32 v6, 3, v6
	s_delay_alu instid0(VALU_DEP_2)
	v_cmp_gt_u32_e64 s1, s9, v1
	ds_load_b64 v[6:7], v6
	s_wait_dscnt 0x0
	v_dual_cndmask_b32 v9, v7, v5 :: v_dual_cndmask_b32 v8, v6, v4
	v_dual_cndmask_b32 v7, v3, v7 :: v_dual_cndmask_b32 v6, v2, v6
	;; [unrolled: 1-line block ×3, first 2 shown]
	v_cndmask_b32_e32 v2, v4, v2, vcc_lo
	s_delay_alu instid0(VALU_DEP_3) | instskip(NEXT) | instid1(VALU_DEP_3)
	v_cmp_le_i64_e64 s0, v[6:7], v[8:9]
	v_cmp_le_u32_e64 s2, s11, v14
	s_and_b32 s0, s1, s0
	s_delay_alu instid0(SALU_CYCLE_1) | instskip(NEXT) | instid1(SALU_CYCLE_1)
	s_or_b32 s0, s2, s0
	v_cndmask_b32_e64 v10, v14, v1, s0
	s_delay_alu instid0(VALU_DEP_1) | instskip(NEXT) | instid1(VALU_DEP_1)
	v_dual_cndmask_b32 v11, s11, v21, s0 :: v_dual_add_nc_u32 v15, 1, v10
	v_add_min_u32_e64 v10, v11, -1, v15
	s_delay_alu instid0(VALU_DEP_1) | instskip(NEXT) | instid1(VALU_DEP_1)
	v_dual_cndmask_b32 v1, v1, v15, s0 :: v_dual_lshlrev_b32 v10, 3, v10
	v_cmp_gt_u32_e64 s2, s9, v1
	ds_load_b64 v[10:11], v10
	s_wait_dscnt 0x0
	v_dual_cndmask_b32 v13, v11, v9, s0 :: v_dual_cndmask_b32 v12, v10, v8, s0
	v_dual_cndmask_b32 v11, v7, v11, s0 :: v_dual_cndmask_b32 v10, v6, v10, s0
	;; [unrolled: 1-line block ×3, first 2 shown]
	v_cndmask_b32_e64 v4, v8, v6, s0
	s_delay_alu instid0(VALU_DEP_3) | instskip(NEXT) | instid1(VALU_DEP_3)
	v_cmp_le_i64_e64 s1, v[10:11], v[12:13]
	v_cmp_le_u32_e64 s3, s11, v18
	s_and_b32 s1, s2, s1
	s_delay_alu instid0(SALU_CYCLE_1) | instskip(NEXT) | instid1(SALU_CYCLE_1)
	s_or_b32 s1, s3, s1
	v_cndmask_b32_e64 v14, v18, v1, s1
	v_cndmask_b32_e64 v15, s11, v21, s1
	v_dual_cndmask_b32 v7, v13, v11, s1 :: v_dual_cndmask_b32 v6, v12, v10, s1
	s_delay_alu instid0(VALU_DEP_3) | instskip(NEXT) | instid1(VALU_DEP_1)
	v_add_nc_u32_e32 v19, 1, v14
	v_add_min_u32_e64 v14, v15, -1, v19
	v_dual_cndmask_b32 v1, v1, v19, s1 :: v_dual_cndmask_b32 v24, v19, v18, s1
	s_delay_alu instid0(VALU_DEP_2) | instskip(NEXT) | instid1(VALU_DEP_2)
	v_lshlrev_b32_e32 v14, 3, v14
	v_cmp_gt_u32_e64 s3, s9, v1
	s_delay_alu instid0(VALU_DEP_3) | instskip(SKIP_4) | instid1(VALU_DEP_1)
	v_cmp_le_u32_e64 s4, s11, v24
	ds_load_b64 v[14:15], v14
	s_wait_dscnt 0x0
	v_dual_cndmask_b32 v17, v15, v13, s1 :: v_dual_cndmask_b32 v16, v14, v12, s1
	v_dual_cndmask_b32 v15, v11, v15, s1 :: v_dual_cndmask_b32 v14, v10, v14, s1
	v_cmp_le_i64_e64 s2, v[14:15], v[16:17]
	s_and_b32 s2, s3, s2
	s_delay_alu instid0(SALU_CYCLE_1) | instskip(NEXT) | instid1(SALU_CYCLE_1)
	s_or_b32 s2, s4, s2
	v_cndmask_b32_e64 v18, v24, v1, s2
	v_cndmask_b32_e64 v19, s11, v21, s2
	;; [unrolled: 1-line block ×3, first 2 shown]
	s_delay_alu instid0(VALU_DEP_3) | instskip(NEXT) | instid1(VALU_DEP_1)
	v_add_nc_u32_e32 v25, 1, v18
	v_add_min_u32_e64 v18, v19, -1, v25
	v_cndmask_b32_e64 v1, v1, v25, s2
	s_delay_alu instid0(VALU_DEP_2) | instskip(NEXT) | instid1(VALU_DEP_2)
	v_dual_cndmask_b32 v28, v25, v24, s2 :: v_dual_lshlrev_b32 v18, 3, v18
	v_cmp_gt_u32_e64 s4, s9, v1
	s_delay_alu instid0(VALU_DEP_2) | instskip(SKIP_4) | instid1(VALU_DEP_1)
	v_cmp_le_u32_e64 s5, s11, v28
	ds_load_b64 v[18:19], v18
	s_wait_dscnt 0x0
	v_dual_cndmask_b32 v23, v19, v17, s2 :: v_dual_cndmask_b32 v22, v18, v16, s2
	v_dual_cndmask_b32 v19, v15, v19, s2 :: v_dual_cndmask_b32 v18, v14, v18, s2
	v_cmp_le_i64_e64 s3, v[18:19], v[22:23]
	s_and_b32 s3, s4, s3
	s_delay_alu instid0(SALU_CYCLE_1) | instskip(NEXT) | instid1(SALU_CYCLE_1)
	s_or_b32 s3, s5, s3
	v_cndmask_b32_e64 v24, v28, v1, s3
	v_cndmask_b32_e64 v25, s11, v21, s3
	v_dual_cndmask_b32 v11, v23, v19, s3 :: v_dual_cndmask_b32 v10, v22, v18, s3
	s_delay_alu instid0(VALU_DEP_3) | instskip(NEXT) | instid1(VALU_DEP_1)
	v_add_nc_u32_e32 v29, 1, v24
	v_add_min_u32_e64 v24, v25, -1, v29
	v_cndmask_b32_e64 v1, v1, v29, s3
	v_cndmask_b32_e64 v32, v29, v28, s3
	s_delay_alu instid0(VALU_DEP_3) | instskip(NEXT) | instid1(VALU_DEP_3)
	v_lshlrev_b32_e32 v24, 3, v24
	v_cmp_gt_u32_e64 s5, s9, v1
	s_delay_alu instid0(VALU_DEP_3) | instskip(SKIP_4) | instid1(VALU_DEP_1)
	v_cmp_le_u32_e64 s6, s11, v32
	ds_load_b64 v[24:25], v24
	s_wait_dscnt 0x0
	v_dual_cndmask_b32 v27, v25, v23, s3 :: v_dual_cndmask_b32 v26, v24, v22, s3
	v_dual_cndmask_b32 v25, v19, v25, s3 :: v_dual_cndmask_b32 v24, v18, v24, s3
	v_cmp_le_i64_e64 s4, v[24:25], v[26:27]
	s_and_b32 s4, s5, s4
	s_delay_alu instid0(SALU_CYCLE_1) | instskip(NEXT) | instid1(SALU_CYCLE_1)
	s_or_b32 s4, s6, s4
	v_cndmask_b32_e64 v28, v32, v1, s4
	v_cndmask_b32_e64 v29, s11, v21, s4
	s_delay_alu instid0(VALU_DEP_2) | instskip(NEXT) | instid1(VALU_DEP_1)
	v_dual_cndmask_b32 v13, v27, v25, s4 :: v_dual_add_nc_u32 v33, 1, v28
	v_add_min_u32_e64 v28, v29, -1, v33
	v_cndmask_b32_e64 v1, v1, v33, s4
	v_cndmask_b32_e64 v36, v33, v32, s4
	s_delay_alu instid0(VALU_DEP_3) | instskip(NEXT) | instid1(VALU_DEP_3)
	v_lshlrev_b32_e32 v28, 3, v28
	v_cmp_gt_u32_e64 s6, s9, v1
	s_delay_alu instid0(VALU_DEP_3) | instskip(SKIP_4) | instid1(VALU_DEP_1)
	v_cmp_le_u32_e64 s7, s11, v36
	ds_load_b64 v[28:29], v28
	s_wait_dscnt 0x0
	v_dual_cndmask_b32 v31, v29, v27, s4 :: v_dual_cndmask_b32 v30, v28, v26, s4
	v_dual_cndmask_b32 v29, v25, v29, s4 :: v_dual_cndmask_b32 v28, v24, v28, s4
	v_cmp_le_i64_e64 s5, v[28:29], v[30:31]
	s_and_b32 s5, s6, s5
	s_delay_alu instid0(SALU_CYCLE_1) | instskip(NEXT) | instid1(SALU_CYCLE_1)
	s_or_b32 s5, s7, s5
	v_cndmask_b32_e64 v32, v36, v1, s5
	v_cndmask_b32_e64 v21, s11, v21, s5
	;; [unrolled: 1-line block ×3, first 2 shown]
	s_delay_alu instid0(VALU_DEP_3) | instskip(NEXT) | instid1(VALU_DEP_1)
	v_add_nc_u32_e32 v37, 1, v32
	v_add_min_u32_e64 v21, v21, -1, v37
	v_cndmask_b32_e64 v1, v1, v37, s5
	s_delay_alu instid0(VALU_DEP_2) | instskip(NEXT) | instid1(VALU_DEP_2)
	v_dual_cndmask_b32 v12, v37, v36, s5 :: v_dual_lshlrev_b32 v21, 3, v21
	v_cmp_gt_u32_e64 s0, s9, v1
	s_delay_alu instid0(VALU_DEP_2)
	v_cmp_le_u32_e64 s1, s11, v12
	v_cndmask_b32_e64 v12, v26, v24, s4
	ds_load_b64 v[32:33], v21
	v_dual_cndmask_b32 v9, v17, v15, s2 :: v_dual_cndmask_b32 v15, v31, v29, s5
	s_wait_dscnt 0x0
	v_dual_cndmask_b32 v35, v33, v31, s5 :: v_dual_cndmask_b32 v34, v32, v30, s5
	v_dual_cndmask_b32 v33, v29, v33, s5 :: v_dual_cndmask_b32 v32, v28, v32, s5
	s_delay_alu instid0(VALU_DEP_1) | instskip(SKIP_1) | instid1(SALU_CYCLE_1)
	v_cmp_le_i64_e32 vcc_lo, v[32:33], v[34:35]
	s_and_b32 s0, s0, vcc_lo
	s_or_b32 vcc_lo, s1, s0
	v_dual_cndmask_b32 v17, v35, v33 :: v_dual_cndmask_b32 v16, v34, v32
.LBB1149_29:
	s_or_b32 exec_lo, exec_lo, s15
	v_or_b32_e32 v25, 0x80, v0
	v_lshrrev_b32_e32 v1, 2, v0
	v_or_b32_e32 v22, 0x100, v0
	v_lshlrev_b32_e32 v18, 3, v20
	s_delay_alu instid0(VALU_DEP_4) | instskip(SKIP_1) | instid1(VALU_DEP_3)
	v_lshrrev_b32_e32 v19, 2, v25
	s_barrier_signal -1
	v_lshrrev_b32_e32 v21, 2, v22
	s_delay_alu instid0(VALU_DEP_3)
	v_lshl_add_u32 v18, v1, 3, v18
	s_barrier_wait -1
	s_barrier_signal -1
	s_barrier_wait -1
	ds_store_2addr_b64 v18, v[2:3], v[4:5] offset1:1
	ds_store_2addr_b64 v18, v[6:7], v[8:9] offset0:2 offset1:3
	v_and_b32_e32 v2, 56, v19
	v_and_b32_e32 v1, 24, v1
	v_or_b32_e32 v24, 0x180, v0
	v_and_b32_e32 v3, 0x58, v21
	v_or_b32_e32 v23, 0x200, v0
	s_delay_alu instid0(VALU_DEP_4) | instskip(NEXT) | instid1(VALU_DEP_4)
	v_dual_add_nc_u32 v6, v2, v20 :: v_dual_add_nc_u32 v26, v1, v20
	v_lshrrev_b32_e32 v1, 2, v24
	ds_store_2addr_b64 v18, v[10:11], v[12:13] offset0:4 offset1:5
	ds_store_2addr_b64 v18, v[14:15], v[16:17] offset0:6 offset1:7
	v_or_b32_e32 v19, 0x280, v0
	v_add_nc_u32_e32 v7, v3, v20
	v_or_b32_e32 v18, 0x300, v0
	v_lshrrev_b32_e32 v3, 2, v23
	v_and_b32_e32 v2, 0x78, v1
	v_or_b32_e32 v1, 0x380, v0
	s_delay_alu instid0(VALU_DEP_4) | instskip(SKIP_1) | instid1(VALU_DEP_2)
	v_dual_lshrrev_b32 v4, 2, v19 :: v_dual_lshrrev_b32 v5, 2, v18
	s_mov_b32 s11, 0
	v_dual_add_nc_u32 v8, v2, v20 :: v_dual_lshrrev_b32 v2, 2, v1
	v_mov_b32_e32 v21, 0
	v_and_b32_e32 v3, 0x98, v3
	s_lshl_b64 s[0:1], s[10:11], 3
	v_and_b32_e32 v4, 0xb8, v4
	v_and_b32_e32 v5, 0xd8, v5
	;; [unrolled: 1-line block ×3, first 2 shown]
	s_wait_kmcnt 0x0
	s_add_nc_u64 s[0:1], s[12:13], s[0:1]
	v_dual_add_nc_u32 v9, v3, v20 :: v_dual_add_nc_u32 v27, v4, v20
	v_add_nc_u64_e32 v[2:3], s[0:1], v[20:21]
	v_dual_add_nc_u32 v28, v5, v20 :: v_dual_add_nc_u32 v20, v10, v20
	s_and_b32 vcc_lo, exec_lo, s14
	s_wait_dscnt 0x0
	s_cbranch_vccz .LBB1149_31
; %bb.30:
	s_barrier_signal -1
	s_barrier_wait -1
	ds_load_b64 v[10:11], v26
	ds_load_b64 v[12:13], v6 offset:1024
	ds_load_b64 v[14:15], v7 offset:2048
	;; [unrolled: 1-line block ×7, first 2 shown]
	s_mov_b32 s11, -1
	s_wait_dscnt 0x7
	global_store_b64 v[2:3], v[10:11], off
	s_wait_dscnt 0x6
	global_store_b64 v[2:3], v[12:13], off offset:1024
	s_wait_dscnt 0x5
	global_store_b64 v[2:3], v[14:15], off offset:2048
	;; [unrolled: 2-line block ×6, first 2 shown]
	s_cbranch_execz .LBB1149_32
	s_branch .LBB1149_41
.LBB1149_31:
                                        ; implicit-def: $vgpr4_vgpr5
.LBB1149_32:
	s_barrier_signal -1
	s_barrier_wait -1
	s_wait_storecnt_dscnt 0x0
	s_wait_xcnt 0x3
	ds_load_b64 v[16:17], v6 offset:1024
	ds_load_b64 v[14:15], v7 offset:2048
	;; [unrolled: 1-line block ×7, first 2 shown]
	s_sub_co_i32 s0, s8, s10
	s_mov_b32 s1, exec_lo
	s_wait_xcnt 0x0
	v_cmpx_gt_u32_e64 s0, v0
	s_cbranch_execnz .LBB1149_46
; %bb.33:
	s_or_b32 exec_lo, exec_lo, s1
	s_delay_alu instid0(SALU_CYCLE_1)
	s_mov_b32 s1, exec_lo
	v_cmpx_gt_u32_e64 s0, v25
	s_cbranch_execnz .LBB1149_47
.LBB1149_34:
	s_or_b32 exec_lo, exec_lo, s1
	s_delay_alu instid0(SALU_CYCLE_1)
	s_mov_b32 s1, exec_lo
	v_cmpx_gt_u32_e64 s0, v22
	s_cbranch_execnz .LBB1149_48
.LBB1149_35:
	s_or_b32 exec_lo, exec_lo, s1
	s_delay_alu instid0(SALU_CYCLE_1)
	s_mov_b32 s1, exec_lo
	v_cmpx_gt_u32_e64 s0, v24
	s_cbranch_execnz .LBB1149_49
.LBB1149_36:
	s_or_b32 exec_lo, exec_lo, s1
	s_delay_alu instid0(SALU_CYCLE_1)
	s_mov_b32 s1, exec_lo
	v_cmpx_gt_u32_e64 s0, v23
	s_cbranch_execnz .LBB1149_50
.LBB1149_37:
	s_or_b32 exec_lo, exec_lo, s1
	s_delay_alu instid0(SALU_CYCLE_1)
	s_mov_b32 s1, exec_lo
	v_cmpx_gt_u32_e64 s0, v19
	s_cbranch_execnz .LBB1149_51
.LBB1149_38:
	s_or_b32 exec_lo, exec_lo, s1
	s_delay_alu instid0(SALU_CYCLE_1)
	s_mov_b32 s1, exec_lo
	v_cmpx_gt_u32_e64 s0, v18
	s_cbranch_execz .LBB1149_40
.LBB1149_39:
	s_wait_dscnt 0x1
	global_store_b64 v[2:3], v[6:7], off offset:6144
.LBB1149_40:
	s_wait_xcnt 0x0
	s_or_b32 exec_lo, exec_lo, s1
	v_cmp_gt_u32_e64 s11, s0, v1
.LBB1149_41:
	s_wait_xcnt 0x0
	s_delay_alu instid0(VALU_DEP_1)
	s_and_saveexec_b32 s0, s11
	s_cbranch_execz .LBB1149_43
; %bb.42:
	s_wait_dscnt 0x0
	global_store_b64 v[2:3], v[4:5], off offset:7168
.LBB1149_43:
	s_endpgm
.LBB1149_44:
	v_dual_mov_b32 v21, v2 :: v_dual_mov_b32 v5, v2
	v_sub_co_u32 v4, vcc_lo, v0, s9
	v_dual_mov_b32 v18, v2 :: v_dual_mov_b32 v19, v2
	s_delay_alu instid0(VALU_DEP_3) | instskip(NEXT) | instid1(VALU_DEP_3)
	v_add_nc_u64_e32 v[6:7], s[12:13], v[20:21]
	v_lshl_add_u64 v[4:5], v[4:5], 3, s[6:7]
	v_dual_mov_b32 v8, v2 :: v_dual_mov_b32 v9, v2
	v_dual_mov_b32 v10, v2 :: v_dual_mov_b32 v11, v2
	;; [unrolled: 1-line block ×3, first 2 shown]
	s_delay_alu instid0(VALU_DEP_4)
	v_dual_cndmask_b32 v5, v5, v7 :: v_dual_cndmask_b32 v4, v4, v6
	v_dual_mov_b32 v6, v2 :: v_dual_mov_b32 v7, v2
	v_dual_mov_b32 v14, v2 :: v_dual_mov_b32 v15, v2
	global_load_b64 v[4:5], v[4:5], off
	v_dual_mov_b32 v16, v2 :: v_dual_mov_b32 v17, v2
	s_wait_loadcnt 0x0
	v_mov_b64_e32 v[2:3], v[4:5]
	v_mov_b64_e32 v[4:5], v[6:7]
	;; [unrolled: 1-line block ×8, first 2 shown]
	s_or_b32 exec_lo, exec_lo, s2
	s_delay_alu instid0(SALU_CYCLE_1)
	s_mov_b32 s2, exec_lo
	v_cmpx_gt_u32_e64 s11, v24
	s_cbranch_execz .LBB1149_6
.LBB1149_45:
	v_mov_b32_e32 v25, 0
	s_delay_alu instid0(VALU_DEP_1) | instskip(SKIP_1) | instid1(VALU_DEP_1)
	v_lshl_add_u64 v[4:5], v[24:25], 3, s[12:13]
	v_sub_co_u32 v24, vcc_lo, v24, s9
	v_lshl_add_u64 v[18:19], v[24:25], 3, s[6:7]
	s_delay_alu instid0(VALU_DEP_1) | instskip(SKIP_3) | instid1(SALU_CYCLE_1)
	v_dual_cndmask_b32 v5, v19, v5 :: v_dual_cndmask_b32 v4, v18, v4
	global_load_b64 v[4:5], v[4:5], off
	s_wait_xcnt 0x0
	s_or_b32 exec_lo, exec_lo, s2
	s_mov_b32 s2, exec_lo
	v_cmpx_gt_u32_e64 s11, v22
	s_cbranch_execnz .LBB1149_7
	s_branch .LBB1149_8
.LBB1149_46:
	ds_load_b64 v[20:21], v26
	s_wait_dscnt 0x0
	global_store_b64 v[2:3], v[20:21], off
	s_wait_xcnt 0x0
	s_or_b32 exec_lo, exec_lo, s1
	s_delay_alu instid0(SALU_CYCLE_1)
	s_mov_b32 s1, exec_lo
	v_cmpx_gt_u32_e64 s0, v25
	s_cbranch_execz .LBB1149_34
.LBB1149_47:
	s_wait_dscnt 0x6
	global_store_b64 v[2:3], v[16:17], off offset:1024
	s_wait_xcnt 0x0
	s_or_b32 exec_lo, exec_lo, s1
	s_delay_alu instid0(SALU_CYCLE_1)
	s_mov_b32 s1, exec_lo
	v_cmpx_gt_u32_e64 s0, v22
	s_cbranch_execz .LBB1149_35
.LBB1149_48:
	s_wait_dscnt 0x5
	global_store_b64 v[2:3], v[14:15], off offset:2048
	s_wait_xcnt 0x0
	s_or_b32 exec_lo, exec_lo, s1
	s_delay_alu instid0(SALU_CYCLE_1)
	s_mov_b32 s1, exec_lo
	v_cmpx_gt_u32_e64 s0, v24
	s_cbranch_execz .LBB1149_36
.LBB1149_49:
	s_wait_dscnt 0x4
	global_store_b64 v[2:3], v[12:13], off offset:3072
	s_wait_xcnt 0x0
	s_or_b32 exec_lo, exec_lo, s1
	s_delay_alu instid0(SALU_CYCLE_1)
	s_mov_b32 s1, exec_lo
	v_cmpx_gt_u32_e64 s0, v23
	s_cbranch_execz .LBB1149_37
.LBB1149_50:
	s_wait_dscnt 0x3
	global_store_b64 v[2:3], v[10:11], off offset:4096
	s_wait_xcnt 0x0
	s_or_b32 exec_lo, exec_lo, s1
	s_delay_alu instid0(SALU_CYCLE_1)
	s_mov_b32 s1, exec_lo
	v_cmpx_gt_u32_e64 s0, v19
	s_cbranch_execz .LBB1149_38
.LBB1149_51:
	s_wait_dscnt 0x2
	global_store_b64 v[2:3], v[8:9], off offset:5120
	s_wait_xcnt 0x0
	s_or_b32 exec_lo, exec_lo, s1
	s_delay_alu instid0(SALU_CYCLE_1)
	s_mov_b32 s1, exec_lo
	v_cmpx_gt_u32_e64 s0, v18
	s_cbranch_execnz .LBB1149_39
	s_branch .LBB1149_40
	.section	.rodata,"a",@progbits
	.p2align	6, 0x0
	.amdhsa_kernel _ZN7rocprim17ROCPRIM_400000_NS6detail17trampoline_kernelINS0_14default_configENS1_38merge_sort_block_merge_config_selectorIlNS0_10empty_typeEEEZZNS1_27merge_sort_block_merge_implIS3_PlPS5_jNS1_19radix_merge_compareILb0ELb0ElNS0_19identity_decomposerEEEEE10hipError_tT0_T1_T2_jT3_P12ihipStream_tbPNSt15iterator_traitsISE_E10value_typeEPNSK_ISF_E10value_typeEPSG_NS1_7vsmem_tEENKUlT_SE_SF_SG_E_clIS8_S8_S9_S9_EESD_ST_SE_SF_SG_EUlST_E0_NS1_11comp_targetILNS1_3genE0ELNS1_11target_archE4294967295ELNS1_3gpuE0ELNS1_3repE0EEENS1_38merge_mergepath_config_static_selectorELNS0_4arch9wavefront6targetE0EEEvSF_
		.amdhsa_group_segment_fixed_size 8448
		.amdhsa_private_segment_fixed_size 0
		.amdhsa_kernarg_size 320
		.amdhsa_user_sgpr_count 2
		.amdhsa_user_sgpr_dispatch_ptr 0
		.amdhsa_user_sgpr_queue_ptr 0
		.amdhsa_user_sgpr_kernarg_segment_ptr 1
		.amdhsa_user_sgpr_dispatch_id 0
		.amdhsa_user_sgpr_kernarg_preload_length 0
		.amdhsa_user_sgpr_kernarg_preload_offset 0
		.amdhsa_user_sgpr_private_segment_size 0
		.amdhsa_wavefront_size32 1
		.amdhsa_uses_dynamic_stack 0
		.amdhsa_enable_private_segment 0
		.amdhsa_system_sgpr_workgroup_id_x 1
		.amdhsa_system_sgpr_workgroup_id_y 1
		.amdhsa_system_sgpr_workgroup_id_z 1
		.amdhsa_system_sgpr_workgroup_info 0
		.amdhsa_system_vgpr_workitem_id 0
		.amdhsa_next_free_vgpr 38
		.amdhsa_next_free_sgpr 23
		.amdhsa_named_barrier_count 0
		.amdhsa_reserve_vcc 1
		.amdhsa_float_round_mode_32 0
		.amdhsa_float_round_mode_16_64 0
		.amdhsa_float_denorm_mode_32 3
		.amdhsa_float_denorm_mode_16_64 3
		.amdhsa_fp16_overflow 0
		.amdhsa_memory_ordered 1
		.amdhsa_forward_progress 1
		.amdhsa_inst_pref_size 35
		.amdhsa_round_robin_scheduling 0
		.amdhsa_exception_fp_ieee_invalid_op 0
		.amdhsa_exception_fp_denorm_src 0
		.amdhsa_exception_fp_ieee_div_zero 0
		.amdhsa_exception_fp_ieee_overflow 0
		.amdhsa_exception_fp_ieee_underflow 0
		.amdhsa_exception_fp_ieee_inexact 0
		.amdhsa_exception_int_div_zero 0
	.end_amdhsa_kernel
	.section	.text._ZN7rocprim17ROCPRIM_400000_NS6detail17trampoline_kernelINS0_14default_configENS1_38merge_sort_block_merge_config_selectorIlNS0_10empty_typeEEEZZNS1_27merge_sort_block_merge_implIS3_PlPS5_jNS1_19radix_merge_compareILb0ELb0ElNS0_19identity_decomposerEEEEE10hipError_tT0_T1_T2_jT3_P12ihipStream_tbPNSt15iterator_traitsISE_E10value_typeEPNSK_ISF_E10value_typeEPSG_NS1_7vsmem_tEENKUlT_SE_SF_SG_E_clIS8_S8_S9_S9_EESD_ST_SE_SF_SG_EUlST_E0_NS1_11comp_targetILNS1_3genE0ELNS1_11target_archE4294967295ELNS1_3gpuE0ELNS1_3repE0EEENS1_38merge_mergepath_config_static_selectorELNS0_4arch9wavefront6targetE0EEEvSF_,"axG",@progbits,_ZN7rocprim17ROCPRIM_400000_NS6detail17trampoline_kernelINS0_14default_configENS1_38merge_sort_block_merge_config_selectorIlNS0_10empty_typeEEEZZNS1_27merge_sort_block_merge_implIS3_PlPS5_jNS1_19radix_merge_compareILb0ELb0ElNS0_19identity_decomposerEEEEE10hipError_tT0_T1_T2_jT3_P12ihipStream_tbPNSt15iterator_traitsISE_E10value_typeEPNSK_ISF_E10value_typeEPSG_NS1_7vsmem_tEENKUlT_SE_SF_SG_E_clIS8_S8_S9_S9_EESD_ST_SE_SF_SG_EUlST_E0_NS1_11comp_targetILNS1_3genE0ELNS1_11target_archE4294967295ELNS1_3gpuE0ELNS1_3repE0EEENS1_38merge_mergepath_config_static_selectorELNS0_4arch9wavefront6targetE0EEEvSF_,comdat
.Lfunc_end1149:
	.size	_ZN7rocprim17ROCPRIM_400000_NS6detail17trampoline_kernelINS0_14default_configENS1_38merge_sort_block_merge_config_selectorIlNS0_10empty_typeEEEZZNS1_27merge_sort_block_merge_implIS3_PlPS5_jNS1_19radix_merge_compareILb0ELb0ElNS0_19identity_decomposerEEEEE10hipError_tT0_T1_T2_jT3_P12ihipStream_tbPNSt15iterator_traitsISE_E10value_typeEPNSK_ISF_E10value_typeEPSG_NS1_7vsmem_tEENKUlT_SE_SF_SG_E_clIS8_S8_S9_S9_EESD_ST_SE_SF_SG_EUlST_E0_NS1_11comp_targetILNS1_3genE0ELNS1_11target_archE4294967295ELNS1_3gpuE0ELNS1_3repE0EEENS1_38merge_mergepath_config_static_selectorELNS0_4arch9wavefront6targetE0EEEvSF_, .Lfunc_end1149-_ZN7rocprim17ROCPRIM_400000_NS6detail17trampoline_kernelINS0_14default_configENS1_38merge_sort_block_merge_config_selectorIlNS0_10empty_typeEEEZZNS1_27merge_sort_block_merge_implIS3_PlPS5_jNS1_19radix_merge_compareILb0ELb0ElNS0_19identity_decomposerEEEEE10hipError_tT0_T1_T2_jT3_P12ihipStream_tbPNSt15iterator_traitsISE_E10value_typeEPNSK_ISF_E10value_typeEPSG_NS1_7vsmem_tEENKUlT_SE_SF_SG_E_clIS8_S8_S9_S9_EESD_ST_SE_SF_SG_EUlST_E0_NS1_11comp_targetILNS1_3genE0ELNS1_11target_archE4294967295ELNS1_3gpuE0ELNS1_3repE0EEENS1_38merge_mergepath_config_static_selectorELNS0_4arch9wavefront6targetE0EEEvSF_
                                        ; -- End function
	.set _ZN7rocprim17ROCPRIM_400000_NS6detail17trampoline_kernelINS0_14default_configENS1_38merge_sort_block_merge_config_selectorIlNS0_10empty_typeEEEZZNS1_27merge_sort_block_merge_implIS3_PlPS5_jNS1_19radix_merge_compareILb0ELb0ElNS0_19identity_decomposerEEEEE10hipError_tT0_T1_T2_jT3_P12ihipStream_tbPNSt15iterator_traitsISE_E10value_typeEPNSK_ISF_E10value_typeEPSG_NS1_7vsmem_tEENKUlT_SE_SF_SG_E_clIS8_S8_S9_S9_EESD_ST_SE_SF_SG_EUlST_E0_NS1_11comp_targetILNS1_3genE0ELNS1_11target_archE4294967295ELNS1_3gpuE0ELNS1_3repE0EEENS1_38merge_mergepath_config_static_selectorELNS0_4arch9wavefront6targetE0EEEvSF_.num_vgpr, 38
	.set _ZN7rocprim17ROCPRIM_400000_NS6detail17trampoline_kernelINS0_14default_configENS1_38merge_sort_block_merge_config_selectorIlNS0_10empty_typeEEEZZNS1_27merge_sort_block_merge_implIS3_PlPS5_jNS1_19radix_merge_compareILb0ELb0ElNS0_19identity_decomposerEEEEE10hipError_tT0_T1_T2_jT3_P12ihipStream_tbPNSt15iterator_traitsISE_E10value_typeEPNSK_ISF_E10value_typeEPSG_NS1_7vsmem_tEENKUlT_SE_SF_SG_E_clIS8_S8_S9_S9_EESD_ST_SE_SF_SG_EUlST_E0_NS1_11comp_targetILNS1_3genE0ELNS1_11target_archE4294967295ELNS1_3gpuE0ELNS1_3repE0EEENS1_38merge_mergepath_config_static_selectorELNS0_4arch9wavefront6targetE0EEEvSF_.num_agpr, 0
	.set _ZN7rocprim17ROCPRIM_400000_NS6detail17trampoline_kernelINS0_14default_configENS1_38merge_sort_block_merge_config_selectorIlNS0_10empty_typeEEEZZNS1_27merge_sort_block_merge_implIS3_PlPS5_jNS1_19radix_merge_compareILb0ELb0ElNS0_19identity_decomposerEEEEE10hipError_tT0_T1_T2_jT3_P12ihipStream_tbPNSt15iterator_traitsISE_E10value_typeEPNSK_ISF_E10value_typeEPSG_NS1_7vsmem_tEENKUlT_SE_SF_SG_E_clIS8_S8_S9_S9_EESD_ST_SE_SF_SG_EUlST_E0_NS1_11comp_targetILNS1_3genE0ELNS1_11target_archE4294967295ELNS1_3gpuE0ELNS1_3repE0EEENS1_38merge_mergepath_config_static_selectorELNS0_4arch9wavefront6targetE0EEEvSF_.numbered_sgpr, 23
	.set _ZN7rocprim17ROCPRIM_400000_NS6detail17trampoline_kernelINS0_14default_configENS1_38merge_sort_block_merge_config_selectorIlNS0_10empty_typeEEEZZNS1_27merge_sort_block_merge_implIS3_PlPS5_jNS1_19radix_merge_compareILb0ELb0ElNS0_19identity_decomposerEEEEE10hipError_tT0_T1_T2_jT3_P12ihipStream_tbPNSt15iterator_traitsISE_E10value_typeEPNSK_ISF_E10value_typeEPSG_NS1_7vsmem_tEENKUlT_SE_SF_SG_E_clIS8_S8_S9_S9_EESD_ST_SE_SF_SG_EUlST_E0_NS1_11comp_targetILNS1_3genE0ELNS1_11target_archE4294967295ELNS1_3gpuE0ELNS1_3repE0EEENS1_38merge_mergepath_config_static_selectorELNS0_4arch9wavefront6targetE0EEEvSF_.num_named_barrier, 0
	.set _ZN7rocprim17ROCPRIM_400000_NS6detail17trampoline_kernelINS0_14default_configENS1_38merge_sort_block_merge_config_selectorIlNS0_10empty_typeEEEZZNS1_27merge_sort_block_merge_implIS3_PlPS5_jNS1_19radix_merge_compareILb0ELb0ElNS0_19identity_decomposerEEEEE10hipError_tT0_T1_T2_jT3_P12ihipStream_tbPNSt15iterator_traitsISE_E10value_typeEPNSK_ISF_E10value_typeEPSG_NS1_7vsmem_tEENKUlT_SE_SF_SG_E_clIS8_S8_S9_S9_EESD_ST_SE_SF_SG_EUlST_E0_NS1_11comp_targetILNS1_3genE0ELNS1_11target_archE4294967295ELNS1_3gpuE0ELNS1_3repE0EEENS1_38merge_mergepath_config_static_selectorELNS0_4arch9wavefront6targetE0EEEvSF_.private_seg_size, 0
	.set _ZN7rocprim17ROCPRIM_400000_NS6detail17trampoline_kernelINS0_14default_configENS1_38merge_sort_block_merge_config_selectorIlNS0_10empty_typeEEEZZNS1_27merge_sort_block_merge_implIS3_PlPS5_jNS1_19radix_merge_compareILb0ELb0ElNS0_19identity_decomposerEEEEE10hipError_tT0_T1_T2_jT3_P12ihipStream_tbPNSt15iterator_traitsISE_E10value_typeEPNSK_ISF_E10value_typeEPSG_NS1_7vsmem_tEENKUlT_SE_SF_SG_E_clIS8_S8_S9_S9_EESD_ST_SE_SF_SG_EUlST_E0_NS1_11comp_targetILNS1_3genE0ELNS1_11target_archE4294967295ELNS1_3gpuE0ELNS1_3repE0EEENS1_38merge_mergepath_config_static_selectorELNS0_4arch9wavefront6targetE0EEEvSF_.uses_vcc, 1
	.set _ZN7rocprim17ROCPRIM_400000_NS6detail17trampoline_kernelINS0_14default_configENS1_38merge_sort_block_merge_config_selectorIlNS0_10empty_typeEEEZZNS1_27merge_sort_block_merge_implIS3_PlPS5_jNS1_19radix_merge_compareILb0ELb0ElNS0_19identity_decomposerEEEEE10hipError_tT0_T1_T2_jT3_P12ihipStream_tbPNSt15iterator_traitsISE_E10value_typeEPNSK_ISF_E10value_typeEPSG_NS1_7vsmem_tEENKUlT_SE_SF_SG_E_clIS8_S8_S9_S9_EESD_ST_SE_SF_SG_EUlST_E0_NS1_11comp_targetILNS1_3genE0ELNS1_11target_archE4294967295ELNS1_3gpuE0ELNS1_3repE0EEENS1_38merge_mergepath_config_static_selectorELNS0_4arch9wavefront6targetE0EEEvSF_.uses_flat_scratch, 0
	.set _ZN7rocprim17ROCPRIM_400000_NS6detail17trampoline_kernelINS0_14default_configENS1_38merge_sort_block_merge_config_selectorIlNS0_10empty_typeEEEZZNS1_27merge_sort_block_merge_implIS3_PlPS5_jNS1_19radix_merge_compareILb0ELb0ElNS0_19identity_decomposerEEEEE10hipError_tT0_T1_T2_jT3_P12ihipStream_tbPNSt15iterator_traitsISE_E10value_typeEPNSK_ISF_E10value_typeEPSG_NS1_7vsmem_tEENKUlT_SE_SF_SG_E_clIS8_S8_S9_S9_EESD_ST_SE_SF_SG_EUlST_E0_NS1_11comp_targetILNS1_3genE0ELNS1_11target_archE4294967295ELNS1_3gpuE0ELNS1_3repE0EEENS1_38merge_mergepath_config_static_selectorELNS0_4arch9wavefront6targetE0EEEvSF_.has_dyn_sized_stack, 0
	.set _ZN7rocprim17ROCPRIM_400000_NS6detail17trampoline_kernelINS0_14default_configENS1_38merge_sort_block_merge_config_selectorIlNS0_10empty_typeEEEZZNS1_27merge_sort_block_merge_implIS3_PlPS5_jNS1_19radix_merge_compareILb0ELb0ElNS0_19identity_decomposerEEEEE10hipError_tT0_T1_T2_jT3_P12ihipStream_tbPNSt15iterator_traitsISE_E10value_typeEPNSK_ISF_E10value_typeEPSG_NS1_7vsmem_tEENKUlT_SE_SF_SG_E_clIS8_S8_S9_S9_EESD_ST_SE_SF_SG_EUlST_E0_NS1_11comp_targetILNS1_3genE0ELNS1_11target_archE4294967295ELNS1_3gpuE0ELNS1_3repE0EEENS1_38merge_mergepath_config_static_selectorELNS0_4arch9wavefront6targetE0EEEvSF_.has_recursion, 0
	.set _ZN7rocprim17ROCPRIM_400000_NS6detail17trampoline_kernelINS0_14default_configENS1_38merge_sort_block_merge_config_selectorIlNS0_10empty_typeEEEZZNS1_27merge_sort_block_merge_implIS3_PlPS5_jNS1_19radix_merge_compareILb0ELb0ElNS0_19identity_decomposerEEEEE10hipError_tT0_T1_T2_jT3_P12ihipStream_tbPNSt15iterator_traitsISE_E10value_typeEPNSK_ISF_E10value_typeEPSG_NS1_7vsmem_tEENKUlT_SE_SF_SG_E_clIS8_S8_S9_S9_EESD_ST_SE_SF_SG_EUlST_E0_NS1_11comp_targetILNS1_3genE0ELNS1_11target_archE4294967295ELNS1_3gpuE0ELNS1_3repE0EEENS1_38merge_mergepath_config_static_selectorELNS0_4arch9wavefront6targetE0EEEvSF_.has_indirect_call, 0
	.section	.AMDGPU.csdata,"",@progbits
; Kernel info:
; codeLenInByte = 4368
; TotalNumSgprs: 25
; NumVgprs: 38
; ScratchSize: 0
; MemoryBound: 0
; FloatMode: 240
; IeeeMode: 1
; LDSByteSize: 8448 bytes/workgroup (compile time only)
; SGPRBlocks: 0
; VGPRBlocks: 2
; NumSGPRsForWavesPerEU: 25
; NumVGPRsForWavesPerEU: 38
; NamedBarCnt: 0
; Occupancy: 16
; WaveLimiterHint : 1
; COMPUTE_PGM_RSRC2:SCRATCH_EN: 0
; COMPUTE_PGM_RSRC2:USER_SGPR: 2
; COMPUTE_PGM_RSRC2:TRAP_HANDLER: 0
; COMPUTE_PGM_RSRC2:TGID_X_EN: 1
; COMPUTE_PGM_RSRC2:TGID_Y_EN: 1
; COMPUTE_PGM_RSRC2:TGID_Z_EN: 1
; COMPUTE_PGM_RSRC2:TIDIG_COMP_CNT: 0
	.section	.text._ZN7rocprim17ROCPRIM_400000_NS6detail17trampoline_kernelINS0_14default_configENS1_38merge_sort_block_merge_config_selectorIlNS0_10empty_typeEEEZZNS1_27merge_sort_block_merge_implIS3_PlPS5_jNS1_19radix_merge_compareILb0ELb0ElNS0_19identity_decomposerEEEEE10hipError_tT0_T1_T2_jT3_P12ihipStream_tbPNSt15iterator_traitsISE_E10value_typeEPNSK_ISF_E10value_typeEPSG_NS1_7vsmem_tEENKUlT_SE_SF_SG_E_clIS8_S8_S9_S9_EESD_ST_SE_SF_SG_EUlST_E0_NS1_11comp_targetILNS1_3genE10ELNS1_11target_archE1201ELNS1_3gpuE5ELNS1_3repE0EEENS1_38merge_mergepath_config_static_selectorELNS0_4arch9wavefront6targetE0EEEvSF_,"axG",@progbits,_ZN7rocprim17ROCPRIM_400000_NS6detail17trampoline_kernelINS0_14default_configENS1_38merge_sort_block_merge_config_selectorIlNS0_10empty_typeEEEZZNS1_27merge_sort_block_merge_implIS3_PlPS5_jNS1_19radix_merge_compareILb0ELb0ElNS0_19identity_decomposerEEEEE10hipError_tT0_T1_T2_jT3_P12ihipStream_tbPNSt15iterator_traitsISE_E10value_typeEPNSK_ISF_E10value_typeEPSG_NS1_7vsmem_tEENKUlT_SE_SF_SG_E_clIS8_S8_S9_S9_EESD_ST_SE_SF_SG_EUlST_E0_NS1_11comp_targetILNS1_3genE10ELNS1_11target_archE1201ELNS1_3gpuE5ELNS1_3repE0EEENS1_38merge_mergepath_config_static_selectorELNS0_4arch9wavefront6targetE0EEEvSF_,comdat
	.protected	_ZN7rocprim17ROCPRIM_400000_NS6detail17trampoline_kernelINS0_14default_configENS1_38merge_sort_block_merge_config_selectorIlNS0_10empty_typeEEEZZNS1_27merge_sort_block_merge_implIS3_PlPS5_jNS1_19radix_merge_compareILb0ELb0ElNS0_19identity_decomposerEEEEE10hipError_tT0_T1_T2_jT3_P12ihipStream_tbPNSt15iterator_traitsISE_E10value_typeEPNSK_ISF_E10value_typeEPSG_NS1_7vsmem_tEENKUlT_SE_SF_SG_E_clIS8_S8_S9_S9_EESD_ST_SE_SF_SG_EUlST_E0_NS1_11comp_targetILNS1_3genE10ELNS1_11target_archE1201ELNS1_3gpuE5ELNS1_3repE0EEENS1_38merge_mergepath_config_static_selectorELNS0_4arch9wavefront6targetE0EEEvSF_ ; -- Begin function _ZN7rocprim17ROCPRIM_400000_NS6detail17trampoline_kernelINS0_14default_configENS1_38merge_sort_block_merge_config_selectorIlNS0_10empty_typeEEEZZNS1_27merge_sort_block_merge_implIS3_PlPS5_jNS1_19radix_merge_compareILb0ELb0ElNS0_19identity_decomposerEEEEE10hipError_tT0_T1_T2_jT3_P12ihipStream_tbPNSt15iterator_traitsISE_E10value_typeEPNSK_ISF_E10value_typeEPSG_NS1_7vsmem_tEENKUlT_SE_SF_SG_E_clIS8_S8_S9_S9_EESD_ST_SE_SF_SG_EUlST_E0_NS1_11comp_targetILNS1_3genE10ELNS1_11target_archE1201ELNS1_3gpuE5ELNS1_3repE0EEENS1_38merge_mergepath_config_static_selectorELNS0_4arch9wavefront6targetE0EEEvSF_
	.globl	_ZN7rocprim17ROCPRIM_400000_NS6detail17trampoline_kernelINS0_14default_configENS1_38merge_sort_block_merge_config_selectorIlNS0_10empty_typeEEEZZNS1_27merge_sort_block_merge_implIS3_PlPS5_jNS1_19radix_merge_compareILb0ELb0ElNS0_19identity_decomposerEEEEE10hipError_tT0_T1_T2_jT3_P12ihipStream_tbPNSt15iterator_traitsISE_E10value_typeEPNSK_ISF_E10value_typeEPSG_NS1_7vsmem_tEENKUlT_SE_SF_SG_E_clIS8_S8_S9_S9_EESD_ST_SE_SF_SG_EUlST_E0_NS1_11comp_targetILNS1_3genE10ELNS1_11target_archE1201ELNS1_3gpuE5ELNS1_3repE0EEENS1_38merge_mergepath_config_static_selectorELNS0_4arch9wavefront6targetE0EEEvSF_
	.p2align	8
	.type	_ZN7rocprim17ROCPRIM_400000_NS6detail17trampoline_kernelINS0_14default_configENS1_38merge_sort_block_merge_config_selectorIlNS0_10empty_typeEEEZZNS1_27merge_sort_block_merge_implIS3_PlPS5_jNS1_19radix_merge_compareILb0ELb0ElNS0_19identity_decomposerEEEEE10hipError_tT0_T1_T2_jT3_P12ihipStream_tbPNSt15iterator_traitsISE_E10value_typeEPNSK_ISF_E10value_typeEPSG_NS1_7vsmem_tEENKUlT_SE_SF_SG_E_clIS8_S8_S9_S9_EESD_ST_SE_SF_SG_EUlST_E0_NS1_11comp_targetILNS1_3genE10ELNS1_11target_archE1201ELNS1_3gpuE5ELNS1_3repE0EEENS1_38merge_mergepath_config_static_selectorELNS0_4arch9wavefront6targetE0EEEvSF_,@function
_ZN7rocprim17ROCPRIM_400000_NS6detail17trampoline_kernelINS0_14default_configENS1_38merge_sort_block_merge_config_selectorIlNS0_10empty_typeEEEZZNS1_27merge_sort_block_merge_implIS3_PlPS5_jNS1_19radix_merge_compareILb0ELb0ElNS0_19identity_decomposerEEEEE10hipError_tT0_T1_T2_jT3_P12ihipStream_tbPNSt15iterator_traitsISE_E10value_typeEPNSK_ISF_E10value_typeEPSG_NS1_7vsmem_tEENKUlT_SE_SF_SG_E_clIS8_S8_S9_S9_EESD_ST_SE_SF_SG_EUlST_E0_NS1_11comp_targetILNS1_3genE10ELNS1_11target_archE1201ELNS1_3gpuE5ELNS1_3repE0EEENS1_38merge_mergepath_config_static_selectorELNS0_4arch9wavefront6targetE0EEEvSF_: ; @_ZN7rocprim17ROCPRIM_400000_NS6detail17trampoline_kernelINS0_14default_configENS1_38merge_sort_block_merge_config_selectorIlNS0_10empty_typeEEEZZNS1_27merge_sort_block_merge_implIS3_PlPS5_jNS1_19radix_merge_compareILb0ELb0ElNS0_19identity_decomposerEEEEE10hipError_tT0_T1_T2_jT3_P12ihipStream_tbPNSt15iterator_traitsISE_E10value_typeEPNSK_ISF_E10value_typeEPSG_NS1_7vsmem_tEENKUlT_SE_SF_SG_E_clIS8_S8_S9_S9_EESD_ST_SE_SF_SG_EUlST_E0_NS1_11comp_targetILNS1_3genE10ELNS1_11target_archE1201ELNS1_3gpuE5ELNS1_3repE0EEENS1_38merge_mergepath_config_static_selectorELNS0_4arch9wavefront6targetE0EEEvSF_
; %bb.0:
	.section	.rodata,"a",@progbits
	.p2align	6, 0x0
	.amdhsa_kernel _ZN7rocprim17ROCPRIM_400000_NS6detail17trampoline_kernelINS0_14default_configENS1_38merge_sort_block_merge_config_selectorIlNS0_10empty_typeEEEZZNS1_27merge_sort_block_merge_implIS3_PlPS5_jNS1_19radix_merge_compareILb0ELb0ElNS0_19identity_decomposerEEEEE10hipError_tT0_T1_T2_jT3_P12ihipStream_tbPNSt15iterator_traitsISE_E10value_typeEPNSK_ISF_E10value_typeEPSG_NS1_7vsmem_tEENKUlT_SE_SF_SG_E_clIS8_S8_S9_S9_EESD_ST_SE_SF_SG_EUlST_E0_NS1_11comp_targetILNS1_3genE10ELNS1_11target_archE1201ELNS1_3gpuE5ELNS1_3repE0EEENS1_38merge_mergepath_config_static_selectorELNS0_4arch9wavefront6targetE0EEEvSF_
		.amdhsa_group_segment_fixed_size 0
		.amdhsa_private_segment_fixed_size 0
		.amdhsa_kernarg_size 64
		.amdhsa_user_sgpr_count 2
		.amdhsa_user_sgpr_dispatch_ptr 0
		.amdhsa_user_sgpr_queue_ptr 0
		.amdhsa_user_sgpr_kernarg_segment_ptr 1
		.amdhsa_user_sgpr_dispatch_id 0
		.amdhsa_user_sgpr_kernarg_preload_length 0
		.amdhsa_user_sgpr_kernarg_preload_offset 0
		.amdhsa_user_sgpr_private_segment_size 0
		.amdhsa_wavefront_size32 1
		.amdhsa_uses_dynamic_stack 0
		.amdhsa_enable_private_segment 0
		.amdhsa_system_sgpr_workgroup_id_x 1
		.amdhsa_system_sgpr_workgroup_id_y 0
		.amdhsa_system_sgpr_workgroup_id_z 0
		.amdhsa_system_sgpr_workgroup_info 0
		.amdhsa_system_vgpr_workitem_id 0
		.amdhsa_next_free_vgpr 1
		.amdhsa_next_free_sgpr 1
		.amdhsa_named_barrier_count 0
		.amdhsa_reserve_vcc 0
		.amdhsa_float_round_mode_32 0
		.amdhsa_float_round_mode_16_64 0
		.amdhsa_float_denorm_mode_32 3
		.amdhsa_float_denorm_mode_16_64 3
		.amdhsa_fp16_overflow 0
		.amdhsa_memory_ordered 1
		.amdhsa_forward_progress 1
		.amdhsa_inst_pref_size 0
		.amdhsa_round_robin_scheduling 0
		.amdhsa_exception_fp_ieee_invalid_op 0
		.amdhsa_exception_fp_denorm_src 0
		.amdhsa_exception_fp_ieee_div_zero 0
		.amdhsa_exception_fp_ieee_overflow 0
		.amdhsa_exception_fp_ieee_underflow 0
		.amdhsa_exception_fp_ieee_inexact 0
		.amdhsa_exception_int_div_zero 0
	.end_amdhsa_kernel
	.section	.text._ZN7rocprim17ROCPRIM_400000_NS6detail17trampoline_kernelINS0_14default_configENS1_38merge_sort_block_merge_config_selectorIlNS0_10empty_typeEEEZZNS1_27merge_sort_block_merge_implIS3_PlPS5_jNS1_19radix_merge_compareILb0ELb0ElNS0_19identity_decomposerEEEEE10hipError_tT0_T1_T2_jT3_P12ihipStream_tbPNSt15iterator_traitsISE_E10value_typeEPNSK_ISF_E10value_typeEPSG_NS1_7vsmem_tEENKUlT_SE_SF_SG_E_clIS8_S8_S9_S9_EESD_ST_SE_SF_SG_EUlST_E0_NS1_11comp_targetILNS1_3genE10ELNS1_11target_archE1201ELNS1_3gpuE5ELNS1_3repE0EEENS1_38merge_mergepath_config_static_selectorELNS0_4arch9wavefront6targetE0EEEvSF_,"axG",@progbits,_ZN7rocprim17ROCPRIM_400000_NS6detail17trampoline_kernelINS0_14default_configENS1_38merge_sort_block_merge_config_selectorIlNS0_10empty_typeEEEZZNS1_27merge_sort_block_merge_implIS3_PlPS5_jNS1_19radix_merge_compareILb0ELb0ElNS0_19identity_decomposerEEEEE10hipError_tT0_T1_T2_jT3_P12ihipStream_tbPNSt15iterator_traitsISE_E10value_typeEPNSK_ISF_E10value_typeEPSG_NS1_7vsmem_tEENKUlT_SE_SF_SG_E_clIS8_S8_S9_S9_EESD_ST_SE_SF_SG_EUlST_E0_NS1_11comp_targetILNS1_3genE10ELNS1_11target_archE1201ELNS1_3gpuE5ELNS1_3repE0EEENS1_38merge_mergepath_config_static_selectorELNS0_4arch9wavefront6targetE0EEEvSF_,comdat
.Lfunc_end1150:
	.size	_ZN7rocprim17ROCPRIM_400000_NS6detail17trampoline_kernelINS0_14default_configENS1_38merge_sort_block_merge_config_selectorIlNS0_10empty_typeEEEZZNS1_27merge_sort_block_merge_implIS3_PlPS5_jNS1_19radix_merge_compareILb0ELb0ElNS0_19identity_decomposerEEEEE10hipError_tT0_T1_T2_jT3_P12ihipStream_tbPNSt15iterator_traitsISE_E10value_typeEPNSK_ISF_E10value_typeEPSG_NS1_7vsmem_tEENKUlT_SE_SF_SG_E_clIS8_S8_S9_S9_EESD_ST_SE_SF_SG_EUlST_E0_NS1_11comp_targetILNS1_3genE10ELNS1_11target_archE1201ELNS1_3gpuE5ELNS1_3repE0EEENS1_38merge_mergepath_config_static_selectorELNS0_4arch9wavefront6targetE0EEEvSF_, .Lfunc_end1150-_ZN7rocprim17ROCPRIM_400000_NS6detail17trampoline_kernelINS0_14default_configENS1_38merge_sort_block_merge_config_selectorIlNS0_10empty_typeEEEZZNS1_27merge_sort_block_merge_implIS3_PlPS5_jNS1_19radix_merge_compareILb0ELb0ElNS0_19identity_decomposerEEEEE10hipError_tT0_T1_T2_jT3_P12ihipStream_tbPNSt15iterator_traitsISE_E10value_typeEPNSK_ISF_E10value_typeEPSG_NS1_7vsmem_tEENKUlT_SE_SF_SG_E_clIS8_S8_S9_S9_EESD_ST_SE_SF_SG_EUlST_E0_NS1_11comp_targetILNS1_3genE10ELNS1_11target_archE1201ELNS1_3gpuE5ELNS1_3repE0EEENS1_38merge_mergepath_config_static_selectorELNS0_4arch9wavefront6targetE0EEEvSF_
                                        ; -- End function
	.set _ZN7rocprim17ROCPRIM_400000_NS6detail17trampoline_kernelINS0_14default_configENS1_38merge_sort_block_merge_config_selectorIlNS0_10empty_typeEEEZZNS1_27merge_sort_block_merge_implIS3_PlPS5_jNS1_19radix_merge_compareILb0ELb0ElNS0_19identity_decomposerEEEEE10hipError_tT0_T1_T2_jT3_P12ihipStream_tbPNSt15iterator_traitsISE_E10value_typeEPNSK_ISF_E10value_typeEPSG_NS1_7vsmem_tEENKUlT_SE_SF_SG_E_clIS8_S8_S9_S9_EESD_ST_SE_SF_SG_EUlST_E0_NS1_11comp_targetILNS1_3genE10ELNS1_11target_archE1201ELNS1_3gpuE5ELNS1_3repE0EEENS1_38merge_mergepath_config_static_selectorELNS0_4arch9wavefront6targetE0EEEvSF_.num_vgpr, 0
	.set _ZN7rocprim17ROCPRIM_400000_NS6detail17trampoline_kernelINS0_14default_configENS1_38merge_sort_block_merge_config_selectorIlNS0_10empty_typeEEEZZNS1_27merge_sort_block_merge_implIS3_PlPS5_jNS1_19radix_merge_compareILb0ELb0ElNS0_19identity_decomposerEEEEE10hipError_tT0_T1_T2_jT3_P12ihipStream_tbPNSt15iterator_traitsISE_E10value_typeEPNSK_ISF_E10value_typeEPSG_NS1_7vsmem_tEENKUlT_SE_SF_SG_E_clIS8_S8_S9_S9_EESD_ST_SE_SF_SG_EUlST_E0_NS1_11comp_targetILNS1_3genE10ELNS1_11target_archE1201ELNS1_3gpuE5ELNS1_3repE0EEENS1_38merge_mergepath_config_static_selectorELNS0_4arch9wavefront6targetE0EEEvSF_.num_agpr, 0
	.set _ZN7rocprim17ROCPRIM_400000_NS6detail17trampoline_kernelINS0_14default_configENS1_38merge_sort_block_merge_config_selectorIlNS0_10empty_typeEEEZZNS1_27merge_sort_block_merge_implIS3_PlPS5_jNS1_19radix_merge_compareILb0ELb0ElNS0_19identity_decomposerEEEEE10hipError_tT0_T1_T2_jT3_P12ihipStream_tbPNSt15iterator_traitsISE_E10value_typeEPNSK_ISF_E10value_typeEPSG_NS1_7vsmem_tEENKUlT_SE_SF_SG_E_clIS8_S8_S9_S9_EESD_ST_SE_SF_SG_EUlST_E0_NS1_11comp_targetILNS1_3genE10ELNS1_11target_archE1201ELNS1_3gpuE5ELNS1_3repE0EEENS1_38merge_mergepath_config_static_selectorELNS0_4arch9wavefront6targetE0EEEvSF_.numbered_sgpr, 0
	.set _ZN7rocprim17ROCPRIM_400000_NS6detail17trampoline_kernelINS0_14default_configENS1_38merge_sort_block_merge_config_selectorIlNS0_10empty_typeEEEZZNS1_27merge_sort_block_merge_implIS3_PlPS5_jNS1_19radix_merge_compareILb0ELb0ElNS0_19identity_decomposerEEEEE10hipError_tT0_T1_T2_jT3_P12ihipStream_tbPNSt15iterator_traitsISE_E10value_typeEPNSK_ISF_E10value_typeEPSG_NS1_7vsmem_tEENKUlT_SE_SF_SG_E_clIS8_S8_S9_S9_EESD_ST_SE_SF_SG_EUlST_E0_NS1_11comp_targetILNS1_3genE10ELNS1_11target_archE1201ELNS1_3gpuE5ELNS1_3repE0EEENS1_38merge_mergepath_config_static_selectorELNS0_4arch9wavefront6targetE0EEEvSF_.num_named_barrier, 0
	.set _ZN7rocprim17ROCPRIM_400000_NS6detail17trampoline_kernelINS0_14default_configENS1_38merge_sort_block_merge_config_selectorIlNS0_10empty_typeEEEZZNS1_27merge_sort_block_merge_implIS3_PlPS5_jNS1_19radix_merge_compareILb0ELb0ElNS0_19identity_decomposerEEEEE10hipError_tT0_T1_T2_jT3_P12ihipStream_tbPNSt15iterator_traitsISE_E10value_typeEPNSK_ISF_E10value_typeEPSG_NS1_7vsmem_tEENKUlT_SE_SF_SG_E_clIS8_S8_S9_S9_EESD_ST_SE_SF_SG_EUlST_E0_NS1_11comp_targetILNS1_3genE10ELNS1_11target_archE1201ELNS1_3gpuE5ELNS1_3repE0EEENS1_38merge_mergepath_config_static_selectorELNS0_4arch9wavefront6targetE0EEEvSF_.private_seg_size, 0
	.set _ZN7rocprim17ROCPRIM_400000_NS6detail17trampoline_kernelINS0_14default_configENS1_38merge_sort_block_merge_config_selectorIlNS0_10empty_typeEEEZZNS1_27merge_sort_block_merge_implIS3_PlPS5_jNS1_19radix_merge_compareILb0ELb0ElNS0_19identity_decomposerEEEEE10hipError_tT0_T1_T2_jT3_P12ihipStream_tbPNSt15iterator_traitsISE_E10value_typeEPNSK_ISF_E10value_typeEPSG_NS1_7vsmem_tEENKUlT_SE_SF_SG_E_clIS8_S8_S9_S9_EESD_ST_SE_SF_SG_EUlST_E0_NS1_11comp_targetILNS1_3genE10ELNS1_11target_archE1201ELNS1_3gpuE5ELNS1_3repE0EEENS1_38merge_mergepath_config_static_selectorELNS0_4arch9wavefront6targetE0EEEvSF_.uses_vcc, 0
	.set _ZN7rocprim17ROCPRIM_400000_NS6detail17trampoline_kernelINS0_14default_configENS1_38merge_sort_block_merge_config_selectorIlNS0_10empty_typeEEEZZNS1_27merge_sort_block_merge_implIS3_PlPS5_jNS1_19radix_merge_compareILb0ELb0ElNS0_19identity_decomposerEEEEE10hipError_tT0_T1_T2_jT3_P12ihipStream_tbPNSt15iterator_traitsISE_E10value_typeEPNSK_ISF_E10value_typeEPSG_NS1_7vsmem_tEENKUlT_SE_SF_SG_E_clIS8_S8_S9_S9_EESD_ST_SE_SF_SG_EUlST_E0_NS1_11comp_targetILNS1_3genE10ELNS1_11target_archE1201ELNS1_3gpuE5ELNS1_3repE0EEENS1_38merge_mergepath_config_static_selectorELNS0_4arch9wavefront6targetE0EEEvSF_.uses_flat_scratch, 0
	.set _ZN7rocprim17ROCPRIM_400000_NS6detail17trampoline_kernelINS0_14default_configENS1_38merge_sort_block_merge_config_selectorIlNS0_10empty_typeEEEZZNS1_27merge_sort_block_merge_implIS3_PlPS5_jNS1_19radix_merge_compareILb0ELb0ElNS0_19identity_decomposerEEEEE10hipError_tT0_T1_T2_jT3_P12ihipStream_tbPNSt15iterator_traitsISE_E10value_typeEPNSK_ISF_E10value_typeEPSG_NS1_7vsmem_tEENKUlT_SE_SF_SG_E_clIS8_S8_S9_S9_EESD_ST_SE_SF_SG_EUlST_E0_NS1_11comp_targetILNS1_3genE10ELNS1_11target_archE1201ELNS1_3gpuE5ELNS1_3repE0EEENS1_38merge_mergepath_config_static_selectorELNS0_4arch9wavefront6targetE0EEEvSF_.has_dyn_sized_stack, 0
	.set _ZN7rocprim17ROCPRIM_400000_NS6detail17trampoline_kernelINS0_14default_configENS1_38merge_sort_block_merge_config_selectorIlNS0_10empty_typeEEEZZNS1_27merge_sort_block_merge_implIS3_PlPS5_jNS1_19radix_merge_compareILb0ELb0ElNS0_19identity_decomposerEEEEE10hipError_tT0_T1_T2_jT3_P12ihipStream_tbPNSt15iterator_traitsISE_E10value_typeEPNSK_ISF_E10value_typeEPSG_NS1_7vsmem_tEENKUlT_SE_SF_SG_E_clIS8_S8_S9_S9_EESD_ST_SE_SF_SG_EUlST_E0_NS1_11comp_targetILNS1_3genE10ELNS1_11target_archE1201ELNS1_3gpuE5ELNS1_3repE0EEENS1_38merge_mergepath_config_static_selectorELNS0_4arch9wavefront6targetE0EEEvSF_.has_recursion, 0
	.set _ZN7rocprim17ROCPRIM_400000_NS6detail17trampoline_kernelINS0_14default_configENS1_38merge_sort_block_merge_config_selectorIlNS0_10empty_typeEEEZZNS1_27merge_sort_block_merge_implIS3_PlPS5_jNS1_19radix_merge_compareILb0ELb0ElNS0_19identity_decomposerEEEEE10hipError_tT0_T1_T2_jT3_P12ihipStream_tbPNSt15iterator_traitsISE_E10value_typeEPNSK_ISF_E10value_typeEPSG_NS1_7vsmem_tEENKUlT_SE_SF_SG_E_clIS8_S8_S9_S9_EESD_ST_SE_SF_SG_EUlST_E0_NS1_11comp_targetILNS1_3genE10ELNS1_11target_archE1201ELNS1_3gpuE5ELNS1_3repE0EEENS1_38merge_mergepath_config_static_selectorELNS0_4arch9wavefront6targetE0EEEvSF_.has_indirect_call, 0
	.section	.AMDGPU.csdata,"",@progbits
; Kernel info:
; codeLenInByte = 0
; TotalNumSgprs: 0
; NumVgprs: 0
; ScratchSize: 0
; MemoryBound: 0
; FloatMode: 240
; IeeeMode: 1
; LDSByteSize: 0 bytes/workgroup (compile time only)
; SGPRBlocks: 0
; VGPRBlocks: 0
; NumSGPRsForWavesPerEU: 1
; NumVGPRsForWavesPerEU: 1
; NamedBarCnt: 0
; Occupancy: 16
; WaveLimiterHint : 0
; COMPUTE_PGM_RSRC2:SCRATCH_EN: 0
; COMPUTE_PGM_RSRC2:USER_SGPR: 2
; COMPUTE_PGM_RSRC2:TRAP_HANDLER: 0
; COMPUTE_PGM_RSRC2:TGID_X_EN: 1
; COMPUTE_PGM_RSRC2:TGID_Y_EN: 0
; COMPUTE_PGM_RSRC2:TGID_Z_EN: 0
; COMPUTE_PGM_RSRC2:TIDIG_COMP_CNT: 0
	.section	.text._ZN7rocprim17ROCPRIM_400000_NS6detail17trampoline_kernelINS0_14default_configENS1_38merge_sort_block_merge_config_selectorIlNS0_10empty_typeEEEZZNS1_27merge_sort_block_merge_implIS3_PlPS5_jNS1_19radix_merge_compareILb0ELb0ElNS0_19identity_decomposerEEEEE10hipError_tT0_T1_T2_jT3_P12ihipStream_tbPNSt15iterator_traitsISE_E10value_typeEPNSK_ISF_E10value_typeEPSG_NS1_7vsmem_tEENKUlT_SE_SF_SG_E_clIS8_S8_S9_S9_EESD_ST_SE_SF_SG_EUlST_E0_NS1_11comp_targetILNS1_3genE5ELNS1_11target_archE942ELNS1_3gpuE9ELNS1_3repE0EEENS1_38merge_mergepath_config_static_selectorELNS0_4arch9wavefront6targetE0EEEvSF_,"axG",@progbits,_ZN7rocprim17ROCPRIM_400000_NS6detail17trampoline_kernelINS0_14default_configENS1_38merge_sort_block_merge_config_selectorIlNS0_10empty_typeEEEZZNS1_27merge_sort_block_merge_implIS3_PlPS5_jNS1_19radix_merge_compareILb0ELb0ElNS0_19identity_decomposerEEEEE10hipError_tT0_T1_T2_jT3_P12ihipStream_tbPNSt15iterator_traitsISE_E10value_typeEPNSK_ISF_E10value_typeEPSG_NS1_7vsmem_tEENKUlT_SE_SF_SG_E_clIS8_S8_S9_S9_EESD_ST_SE_SF_SG_EUlST_E0_NS1_11comp_targetILNS1_3genE5ELNS1_11target_archE942ELNS1_3gpuE9ELNS1_3repE0EEENS1_38merge_mergepath_config_static_selectorELNS0_4arch9wavefront6targetE0EEEvSF_,comdat
	.protected	_ZN7rocprim17ROCPRIM_400000_NS6detail17trampoline_kernelINS0_14default_configENS1_38merge_sort_block_merge_config_selectorIlNS0_10empty_typeEEEZZNS1_27merge_sort_block_merge_implIS3_PlPS5_jNS1_19radix_merge_compareILb0ELb0ElNS0_19identity_decomposerEEEEE10hipError_tT0_T1_T2_jT3_P12ihipStream_tbPNSt15iterator_traitsISE_E10value_typeEPNSK_ISF_E10value_typeEPSG_NS1_7vsmem_tEENKUlT_SE_SF_SG_E_clIS8_S8_S9_S9_EESD_ST_SE_SF_SG_EUlST_E0_NS1_11comp_targetILNS1_3genE5ELNS1_11target_archE942ELNS1_3gpuE9ELNS1_3repE0EEENS1_38merge_mergepath_config_static_selectorELNS0_4arch9wavefront6targetE0EEEvSF_ ; -- Begin function _ZN7rocprim17ROCPRIM_400000_NS6detail17trampoline_kernelINS0_14default_configENS1_38merge_sort_block_merge_config_selectorIlNS0_10empty_typeEEEZZNS1_27merge_sort_block_merge_implIS3_PlPS5_jNS1_19radix_merge_compareILb0ELb0ElNS0_19identity_decomposerEEEEE10hipError_tT0_T1_T2_jT3_P12ihipStream_tbPNSt15iterator_traitsISE_E10value_typeEPNSK_ISF_E10value_typeEPSG_NS1_7vsmem_tEENKUlT_SE_SF_SG_E_clIS8_S8_S9_S9_EESD_ST_SE_SF_SG_EUlST_E0_NS1_11comp_targetILNS1_3genE5ELNS1_11target_archE942ELNS1_3gpuE9ELNS1_3repE0EEENS1_38merge_mergepath_config_static_selectorELNS0_4arch9wavefront6targetE0EEEvSF_
	.globl	_ZN7rocprim17ROCPRIM_400000_NS6detail17trampoline_kernelINS0_14default_configENS1_38merge_sort_block_merge_config_selectorIlNS0_10empty_typeEEEZZNS1_27merge_sort_block_merge_implIS3_PlPS5_jNS1_19radix_merge_compareILb0ELb0ElNS0_19identity_decomposerEEEEE10hipError_tT0_T1_T2_jT3_P12ihipStream_tbPNSt15iterator_traitsISE_E10value_typeEPNSK_ISF_E10value_typeEPSG_NS1_7vsmem_tEENKUlT_SE_SF_SG_E_clIS8_S8_S9_S9_EESD_ST_SE_SF_SG_EUlST_E0_NS1_11comp_targetILNS1_3genE5ELNS1_11target_archE942ELNS1_3gpuE9ELNS1_3repE0EEENS1_38merge_mergepath_config_static_selectorELNS0_4arch9wavefront6targetE0EEEvSF_
	.p2align	8
	.type	_ZN7rocprim17ROCPRIM_400000_NS6detail17trampoline_kernelINS0_14default_configENS1_38merge_sort_block_merge_config_selectorIlNS0_10empty_typeEEEZZNS1_27merge_sort_block_merge_implIS3_PlPS5_jNS1_19radix_merge_compareILb0ELb0ElNS0_19identity_decomposerEEEEE10hipError_tT0_T1_T2_jT3_P12ihipStream_tbPNSt15iterator_traitsISE_E10value_typeEPNSK_ISF_E10value_typeEPSG_NS1_7vsmem_tEENKUlT_SE_SF_SG_E_clIS8_S8_S9_S9_EESD_ST_SE_SF_SG_EUlST_E0_NS1_11comp_targetILNS1_3genE5ELNS1_11target_archE942ELNS1_3gpuE9ELNS1_3repE0EEENS1_38merge_mergepath_config_static_selectorELNS0_4arch9wavefront6targetE0EEEvSF_,@function
_ZN7rocprim17ROCPRIM_400000_NS6detail17trampoline_kernelINS0_14default_configENS1_38merge_sort_block_merge_config_selectorIlNS0_10empty_typeEEEZZNS1_27merge_sort_block_merge_implIS3_PlPS5_jNS1_19radix_merge_compareILb0ELb0ElNS0_19identity_decomposerEEEEE10hipError_tT0_T1_T2_jT3_P12ihipStream_tbPNSt15iterator_traitsISE_E10value_typeEPNSK_ISF_E10value_typeEPSG_NS1_7vsmem_tEENKUlT_SE_SF_SG_E_clIS8_S8_S9_S9_EESD_ST_SE_SF_SG_EUlST_E0_NS1_11comp_targetILNS1_3genE5ELNS1_11target_archE942ELNS1_3gpuE9ELNS1_3repE0EEENS1_38merge_mergepath_config_static_selectorELNS0_4arch9wavefront6targetE0EEEvSF_: ; @_ZN7rocprim17ROCPRIM_400000_NS6detail17trampoline_kernelINS0_14default_configENS1_38merge_sort_block_merge_config_selectorIlNS0_10empty_typeEEEZZNS1_27merge_sort_block_merge_implIS3_PlPS5_jNS1_19radix_merge_compareILb0ELb0ElNS0_19identity_decomposerEEEEE10hipError_tT0_T1_T2_jT3_P12ihipStream_tbPNSt15iterator_traitsISE_E10value_typeEPNSK_ISF_E10value_typeEPSG_NS1_7vsmem_tEENKUlT_SE_SF_SG_E_clIS8_S8_S9_S9_EESD_ST_SE_SF_SG_EUlST_E0_NS1_11comp_targetILNS1_3genE5ELNS1_11target_archE942ELNS1_3gpuE9ELNS1_3repE0EEENS1_38merge_mergepath_config_static_selectorELNS0_4arch9wavefront6targetE0EEEvSF_
; %bb.0:
	.section	.rodata,"a",@progbits
	.p2align	6, 0x0
	.amdhsa_kernel _ZN7rocprim17ROCPRIM_400000_NS6detail17trampoline_kernelINS0_14default_configENS1_38merge_sort_block_merge_config_selectorIlNS0_10empty_typeEEEZZNS1_27merge_sort_block_merge_implIS3_PlPS5_jNS1_19radix_merge_compareILb0ELb0ElNS0_19identity_decomposerEEEEE10hipError_tT0_T1_T2_jT3_P12ihipStream_tbPNSt15iterator_traitsISE_E10value_typeEPNSK_ISF_E10value_typeEPSG_NS1_7vsmem_tEENKUlT_SE_SF_SG_E_clIS8_S8_S9_S9_EESD_ST_SE_SF_SG_EUlST_E0_NS1_11comp_targetILNS1_3genE5ELNS1_11target_archE942ELNS1_3gpuE9ELNS1_3repE0EEENS1_38merge_mergepath_config_static_selectorELNS0_4arch9wavefront6targetE0EEEvSF_
		.amdhsa_group_segment_fixed_size 0
		.amdhsa_private_segment_fixed_size 0
		.amdhsa_kernarg_size 64
		.amdhsa_user_sgpr_count 2
		.amdhsa_user_sgpr_dispatch_ptr 0
		.amdhsa_user_sgpr_queue_ptr 0
		.amdhsa_user_sgpr_kernarg_segment_ptr 1
		.amdhsa_user_sgpr_dispatch_id 0
		.amdhsa_user_sgpr_kernarg_preload_length 0
		.amdhsa_user_sgpr_kernarg_preload_offset 0
		.amdhsa_user_sgpr_private_segment_size 0
		.amdhsa_wavefront_size32 1
		.amdhsa_uses_dynamic_stack 0
		.amdhsa_enable_private_segment 0
		.amdhsa_system_sgpr_workgroup_id_x 1
		.amdhsa_system_sgpr_workgroup_id_y 0
		.amdhsa_system_sgpr_workgroup_id_z 0
		.amdhsa_system_sgpr_workgroup_info 0
		.amdhsa_system_vgpr_workitem_id 0
		.amdhsa_next_free_vgpr 1
		.amdhsa_next_free_sgpr 1
		.amdhsa_named_barrier_count 0
		.amdhsa_reserve_vcc 0
		.amdhsa_float_round_mode_32 0
		.amdhsa_float_round_mode_16_64 0
		.amdhsa_float_denorm_mode_32 3
		.amdhsa_float_denorm_mode_16_64 3
		.amdhsa_fp16_overflow 0
		.amdhsa_memory_ordered 1
		.amdhsa_forward_progress 1
		.amdhsa_inst_pref_size 0
		.amdhsa_round_robin_scheduling 0
		.amdhsa_exception_fp_ieee_invalid_op 0
		.amdhsa_exception_fp_denorm_src 0
		.amdhsa_exception_fp_ieee_div_zero 0
		.amdhsa_exception_fp_ieee_overflow 0
		.amdhsa_exception_fp_ieee_underflow 0
		.amdhsa_exception_fp_ieee_inexact 0
		.amdhsa_exception_int_div_zero 0
	.end_amdhsa_kernel
	.section	.text._ZN7rocprim17ROCPRIM_400000_NS6detail17trampoline_kernelINS0_14default_configENS1_38merge_sort_block_merge_config_selectorIlNS0_10empty_typeEEEZZNS1_27merge_sort_block_merge_implIS3_PlPS5_jNS1_19radix_merge_compareILb0ELb0ElNS0_19identity_decomposerEEEEE10hipError_tT0_T1_T2_jT3_P12ihipStream_tbPNSt15iterator_traitsISE_E10value_typeEPNSK_ISF_E10value_typeEPSG_NS1_7vsmem_tEENKUlT_SE_SF_SG_E_clIS8_S8_S9_S9_EESD_ST_SE_SF_SG_EUlST_E0_NS1_11comp_targetILNS1_3genE5ELNS1_11target_archE942ELNS1_3gpuE9ELNS1_3repE0EEENS1_38merge_mergepath_config_static_selectorELNS0_4arch9wavefront6targetE0EEEvSF_,"axG",@progbits,_ZN7rocprim17ROCPRIM_400000_NS6detail17trampoline_kernelINS0_14default_configENS1_38merge_sort_block_merge_config_selectorIlNS0_10empty_typeEEEZZNS1_27merge_sort_block_merge_implIS3_PlPS5_jNS1_19radix_merge_compareILb0ELb0ElNS0_19identity_decomposerEEEEE10hipError_tT0_T1_T2_jT3_P12ihipStream_tbPNSt15iterator_traitsISE_E10value_typeEPNSK_ISF_E10value_typeEPSG_NS1_7vsmem_tEENKUlT_SE_SF_SG_E_clIS8_S8_S9_S9_EESD_ST_SE_SF_SG_EUlST_E0_NS1_11comp_targetILNS1_3genE5ELNS1_11target_archE942ELNS1_3gpuE9ELNS1_3repE0EEENS1_38merge_mergepath_config_static_selectorELNS0_4arch9wavefront6targetE0EEEvSF_,comdat
.Lfunc_end1151:
	.size	_ZN7rocprim17ROCPRIM_400000_NS6detail17trampoline_kernelINS0_14default_configENS1_38merge_sort_block_merge_config_selectorIlNS0_10empty_typeEEEZZNS1_27merge_sort_block_merge_implIS3_PlPS5_jNS1_19radix_merge_compareILb0ELb0ElNS0_19identity_decomposerEEEEE10hipError_tT0_T1_T2_jT3_P12ihipStream_tbPNSt15iterator_traitsISE_E10value_typeEPNSK_ISF_E10value_typeEPSG_NS1_7vsmem_tEENKUlT_SE_SF_SG_E_clIS8_S8_S9_S9_EESD_ST_SE_SF_SG_EUlST_E0_NS1_11comp_targetILNS1_3genE5ELNS1_11target_archE942ELNS1_3gpuE9ELNS1_3repE0EEENS1_38merge_mergepath_config_static_selectorELNS0_4arch9wavefront6targetE0EEEvSF_, .Lfunc_end1151-_ZN7rocprim17ROCPRIM_400000_NS6detail17trampoline_kernelINS0_14default_configENS1_38merge_sort_block_merge_config_selectorIlNS0_10empty_typeEEEZZNS1_27merge_sort_block_merge_implIS3_PlPS5_jNS1_19radix_merge_compareILb0ELb0ElNS0_19identity_decomposerEEEEE10hipError_tT0_T1_T2_jT3_P12ihipStream_tbPNSt15iterator_traitsISE_E10value_typeEPNSK_ISF_E10value_typeEPSG_NS1_7vsmem_tEENKUlT_SE_SF_SG_E_clIS8_S8_S9_S9_EESD_ST_SE_SF_SG_EUlST_E0_NS1_11comp_targetILNS1_3genE5ELNS1_11target_archE942ELNS1_3gpuE9ELNS1_3repE0EEENS1_38merge_mergepath_config_static_selectorELNS0_4arch9wavefront6targetE0EEEvSF_
                                        ; -- End function
	.set _ZN7rocprim17ROCPRIM_400000_NS6detail17trampoline_kernelINS0_14default_configENS1_38merge_sort_block_merge_config_selectorIlNS0_10empty_typeEEEZZNS1_27merge_sort_block_merge_implIS3_PlPS5_jNS1_19radix_merge_compareILb0ELb0ElNS0_19identity_decomposerEEEEE10hipError_tT0_T1_T2_jT3_P12ihipStream_tbPNSt15iterator_traitsISE_E10value_typeEPNSK_ISF_E10value_typeEPSG_NS1_7vsmem_tEENKUlT_SE_SF_SG_E_clIS8_S8_S9_S9_EESD_ST_SE_SF_SG_EUlST_E0_NS1_11comp_targetILNS1_3genE5ELNS1_11target_archE942ELNS1_3gpuE9ELNS1_3repE0EEENS1_38merge_mergepath_config_static_selectorELNS0_4arch9wavefront6targetE0EEEvSF_.num_vgpr, 0
	.set _ZN7rocprim17ROCPRIM_400000_NS6detail17trampoline_kernelINS0_14default_configENS1_38merge_sort_block_merge_config_selectorIlNS0_10empty_typeEEEZZNS1_27merge_sort_block_merge_implIS3_PlPS5_jNS1_19radix_merge_compareILb0ELb0ElNS0_19identity_decomposerEEEEE10hipError_tT0_T1_T2_jT3_P12ihipStream_tbPNSt15iterator_traitsISE_E10value_typeEPNSK_ISF_E10value_typeEPSG_NS1_7vsmem_tEENKUlT_SE_SF_SG_E_clIS8_S8_S9_S9_EESD_ST_SE_SF_SG_EUlST_E0_NS1_11comp_targetILNS1_3genE5ELNS1_11target_archE942ELNS1_3gpuE9ELNS1_3repE0EEENS1_38merge_mergepath_config_static_selectorELNS0_4arch9wavefront6targetE0EEEvSF_.num_agpr, 0
	.set _ZN7rocprim17ROCPRIM_400000_NS6detail17trampoline_kernelINS0_14default_configENS1_38merge_sort_block_merge_config_selectorIlNS0_10empty_typeEEEZZNS1_27merge_sort_block_merge_implIS3_PlPS5_jNS1_19radix_merge_compareILb0ELb0ElNS0_19identity_decomposerEEEEE10hipError_tT0_T1_T2_jT3_P12ihipStream_tbPNSt15iterator_traitsISE_E10value_typeEPNSK_ISF_E10value_typeEPSG_NS1_7vsmem_tEENKUlT_SE_SF_SG_E_clIS8_S8_S9_S9_EESD_ST_SE_SF_SG_EUlST_E0_NS1_11comp_targetILNS1_3genE5ELNS1_11target_archE942ELNS1_3gpuE9ELNS1_3repE0EEENS1_38merge_mergepath_config_static_selectorELNS0_4arch9wavefront6targetE0EEEvSF_.numbered_sgpr, 0
	.set _ZN7rocprim17ROCPRIM_400000_NS6detail17trampoline_kernelINS0_14default_configENS1_38merge_sort_block_merge_config_selectorIlNS0_10empty_typeEEEZZNS1_27merge_sort_block_merge_implIS3_PlPS5_jNS1_19radix_merge_compareILb0ELb0ElNS0_19identity_decomposerEEEEE10hipError_tT0_T1_T2_jT3_P12ihipStream_tbPNSt15iterator_traitsISE_E10value_typeEPNSK_ISF_E10value_typeEPSG_NS1_7vsmem_tEENKUlT_SE_SF_SG_E_clIS8_S8_S9_S9_EESD_ST_SE_SF_SG_EUlST_E0_NS1_11comp_targetILNS1_3genE5ELNS1_11target_archE942ELNS1_3gpuE9ELNS1_3repE0EEENS1_38merge_mergepath_config_static_selectorELNS0_4arch9wavefront6targetE0EEEvSF_.num_named_barrier, 0
	.set _ZN7rocprim17ROCPRIM_400000_NS6detail17trampoline_kernelINS0_14default_configENS1_38merge_sort_block_merge_config_selectorIlNS0_10empty_typeEEEZZNS1_27merge_sort_block_merge_implIS3_PlPS5_jNS1_19radix_merge_compareILb0ELb0ElNS0_19identity_decomposerEEEEE10hipError_tT0_T1_T2_jT3_P12ihipStream_tbPNSt15iterator_traitsISE_E10value_typeEPNSK_ISF_E10value_typeEPSG_NS1_7vsmem_tEENKUlT_SE_SF_SG_E_clIS8_S8_S9_S9_EESD_ST_SE_SF_SG_EUlST_E0_NS1_11comp_targetILNS1_3genE5ELNS1_11target_archE942ELNS1_3gpuE9ELNS1_3repE0EEENS1_38merge_mergepath_config_static_selectorELNS0_4arch9wavefront6targetE0EEEvSF_.private_seg_size, 0
	.set _ZN7rocprim17ROCPRIM_400000_NS6detail17trampoline_kernelINS0_14default_configENS1_38merge_sort_block_merge_config_selectorIlNS0_10empty_typeEEEZZNS1_27merge_sort_block_merge_implIS3_PlPS5_jNS1_19radix_merge_compareILb0ELb0ElNS0_19identity_decomposerEEEEE10hipError_tT0_T1_T2_jT3_P12ihipStream_tbPNSt15iterator_traitsISE_E10value_typeEPNSK_ISF_E10value_typeEPSG_NS1_7vsmem_tEENKUlT_SE_SF_SG_E_clIS8_S8_S9_S9_EESD_ST_SE_SF_SG_EUlST_E0_NS1_11comp_targetILNS1_3genE5ELNS1_11target_archE942ELNS1_3gpuE9ELNS1_3repE0EEENS1_38merge_mergepath_config_static_selectorELNS0_4arch9wavefront6targetE0EEEvSF_.uses_vcc, 0
	.set _ZN7rocprim17ROCPRIM_400000_NS6detail17trampoline_kernelINS0_14default_configENS1_38merge_sort_block_merge_config_selectorIlNS0_10empty_typeEEEZZNS1_27merge_sort_block_merge_implIS3_PlPS5_jNS1_19radix_merge_compareILb0ELb0ElNS0_19identity_decomposerEEEEE10hipError_tT0_T1_T2_jT3_P12ihipStream_tbPNSt15iterator_traitsISE_E10value_typeEPNSK_ISF_E10value_typeEPSG_NS1_7vsmem_tEENKUlT_SE_SF_SG_E_clIS8_S8_S9_S9_EESD_ST_SE_SF_SG_EUlST_E0_NS1_11comp_targetILNS1_3genE5ELNS1_11target_archE942ELNS1_3gpuE9ELNS1_3repE0EEENS1_38merge_mergepath_config_static_selectorELNS0_4arch9wavefront6targetE0EEEvSF_.uses_flat_scratch, 0
	.set _ZN7rocprim17ROCPRIM_400000_NS6detail17trampoline_kernelINS0_14default_configENS1_38merge_sort_block_merge_config_selectorIlNS0_10empty_typeEEEZZNS1_27merge_sort_block_merge_implIS3_PlPS5_jNS1_19radix_merge_compareILb0ELb0ElNS0_19identity_decomposerEEEEE10hipError_tT0_T1_T2_jT3_P12ihipStream_tbPNSt15iterator_traitsISE_E10value_typeEPNSK_ISF_E10value_typeEPSG_NS1_7vsmem_tEENKUlT_SE_SF_SG_E_clIS8_S8_S9_S9_EESD_ST_SE_SF_SG_EUlST_E0_NS1_11comp_targetILNS1_3genE5ELNS1_11target_archE942ELNS1_3gpuE9ELNS1_3repE0EEENS1_38merge_mergepath_config_static_selectorELNS0_4arch9wavefront6targetE0EEEvSF_.has_dyn_sized_stack, 0
	.set _ZN7rocprim17ROCPRIM_400000_NS6detail17trampoline_kernelINS0_14default_configENS1_38merge_sort_block_merge_config_selectorIlNS0_10empty_typeEEEZZNS1_27merge_sort_block_merge_implIS3_PlPS5_jNS1_19radix_merge_compareILb0ELb0ElNS0_19identity_decomposerEEEEE10hipError_tT0_T1_T2_jT3_P12ihipStream_tbPNSt15iterator_traitsISE_E10value_typeEPNSK_ISF_E10value_typeEPSG_NS1_7vsmem_tEENKUlT_SE_SF_SG_E_clIS8_S8_S9_S9_EESD_ST_SE_SF_SG_EUlST_E0_NS1_11comp_targetILNS1_3genE5ELNS1_11target_archE942ELNS1_3gpuE9ELNS1_3repE0EEENS1_38merge_mergepath_config_static_selectorELNS0_4arch9wavefront6targetE0EEEvSF_.has_recursion, 0
	.set _ZN7rocprim17ROCPRIM_400000_NS6detail17trampoline_kernelINS0_14default_configENS1_38merge_sort_block_merge_config_selectorIlNS0_10empty_typeEEEZZNS1_27merge_sort_block_merge_implIS3_PlPS5_jNS1_19radix_merge_compareILb0ELb0ElNS0_19identity_decomposerEEEEE10hipError_tT0_T1_T2_jT3_P12ihipStream_tbPNSt15iterator_traitsISE_E10value_typeEPNSK_ISF_E10value_typeEPSG_NS1_7vsmem_tEENKUlT_SE_SF_SG_E_clIS8_S8_S9_S9_EESD_ST_SE_SF_SG_EUlST_E0_NS1_11comp_targetILNS1_3genE5ELNS1_11target_archE942ELNS1_3gpuE9ELNS1_3repE0EEENS1_38merge_mergepath_config_static_selectorELNS0_4arch9wavefront6targetE0EEEvSF_.has_indirect_call, 0
	.section	.AMDGPU.csdata,"",@progbits
; Kernel info:
; codeLenInByte = 0
; TotalNumSgprs: 0
; NumVgprs: 0
; ScratchSize: 0
; MemoryBound: 0
; FloatMode: 240
; IeeeMode: 1
; LDSByteSize: 0 bytes/workgroup (compile time only)
; SGPRBlocks: 0
; VGPRBlocks: 0
; NumSGPRsForWavesPerEU: 1
; NumVGPRsForWavesPerEU: 1
; NamedBarCnt: 0
; Occupancy: 16
; WaveLimiterHint : 0
; COMPUTE_PGM_RSRC2:SCRATCH_EN: 0
; COMPUTE_PGM_RSRC2:USER_SGPR: 2
; COMPUTE_PGM_RSRC2:TRAP_HANDLER: 0
; COMPUTE_PGM_RSRC2:TGID_X_EN: 1
; COMPUTE_PGM_RSRC2:TGID_Y_EN: 0
; COMPUTE_PGM_RSRC2:TGID_Z_EN: 0
; COMPUTE_PGM_RSRC2:TIDIG_COMP_CNT: 0
	.section	.text._ZN7rocprim17ROCPRIM_400000_NS6detail17trampoline_kernelINS0_14default_configENS1_38merge_sort_block_merge_config_selectorIlNS0_10empty_typeEEEZZNS1_27merge_sort_block_merge_implIS3_PlPS5_jNS1_19radix_merge_compareILb0ELb0ElNS0_19identity_decomposerEEEEE10hipError_tT0_T1_T2_jT3_P12ihipStream_tbPNSt15iterator_traitsISE_E10value_typeEPNSK_ISF_E10value_typeEPSG_NS1_7vsmem_tEENKUlT_SE_SF_SG_E_clIS8_S8_S9_S9_EESD_ST_SE_SF_SG_EUlST_E0_NS1_11comp_targetILNS1_3genE4ELNS1_11target_archE910ELNS1_3gpuE8ELNS1_3repE0EEENS1_38merge_mergepath_config_static_selectorELNS0_4arch9wavefront6targetE0EEEvSF_,"axG",@progbits,_ZN7rocprim17ROCPRIM_400000_NS6detail17trampoline_kernelINS0_14default_configENS1_38merge_sort_block_merge_config_selectorIlNS0_10empty_typeEEEZZNS1_27merge_sort_block_merge_implIS3_PlPS5_jNS1_19radix_merge_compareILb0ELb0ElNS0_19identity_decomposerEEEEE10hipError_tT0_T1_T2_jT3_P12ihipStream_tbPNSt15iterator_traitsISE_E10value_typeEPNSK_ISF_E10value_typeEPSG_NS1_7vsmem_tEENKUlT_SE_SF_SG_E_clIS8_S8_S9_S9_EESD_ST_SE_SF_SG_EUlST_E0_NS1_11comp_targetILNS1_3genE4ELNS1_11target_archE910ELNS1_3gpuE8ELNS1_3repE0EEENS1_38merge_mergepath_config_static_selectorELNS0_4arch9wavefront6targetE0EEEvSF_,comdat
	.protected	_ZN7rocprim17ROCPRIM_400000_NS6detail17trampoline_kernelINS0_14default_configENS1_38merge_sort_block_merge_config_selectorIlNS0_10empty_typeEEEZZNS1_27merge_sort_block_merge_implIS3_PlPS5_jNS1_19radix_merge_compareILb0ELb0ElNS0_19identity_decomposerEEEEE10hipError_tT0_T1_T2_jT3_P12ihipStream_tbPNSt15iterator_traitsISE_E10value_typeEPNSK_ISF_E10value_typeEPSG_NS1_7vsmem_tEENKUlT_SE_SF_SG_E_clIS8_S8_S9_S9_EESD_ST_SE_SF_SG_EUlST_E0_NS1_11comp_targetILNS1_3genE4ELNS1_11target_archE910ELNS1_3gpuE8ELNS1_3repE0EEENS1_38merge_mergepath_config_static_selectorELNS0_4arch9wavefront6targetE0EEEvSF_ ; -- Begin function _ZN7rocprim17ROCPRIM_400000_NS6detail17trampoline_kernelINS0_14default_configENS1_38merge_sort_block_merge_config_selectorIlNS0_10empty_typeEEEZZNS1_27merge_sort_block_merge_implIS3_PlPS5_jNS1_19radix_merge_compareILb0ELb0ElNS0_19identity_decomposerEEEEE10hipError_tT0_T1_T2_jT3_P12ihipStream_tbPNSt15iterator_traitsISE_E10value_typeEPNSK_ISF_E10value_typeEPSG_NS1_7vsmem_tEENKUlT_SE_SF_SG_E_clIS8_S8_S9_S9_EESD_ST_SE_SF_SG_EUlST_E0_NS1_11comp_targetILNS1_3genE4ELNS1_11target_archE910ELNS1_3gpuE8ELNS1_3repE0EEENS1_38merge_mergepath_config_static_selectorELNS0_4arch9wavefront6targetE0EEEvSF_
	.globl	_ZN7rocprim17ROCPRIM_400000_NS6detail17trampoline_kernelINS0_14default_configENS1_38merge_sort_block_merge_config_selectorIlNS0_10empty_typeEEEZZNS1_27merge_sort_block_merge_implIS3_PlPS5_jNS1_19radix_merge_compareILb0ELb0ElNS0_19identity_decomposerEEEEE10hipError_tT0_T1_T2_jT3_P12ihipStream_tbPNSt15iterator_traitsISE_E10value_typeEPNSK_ISF_E10value_typeEPSG_NS1_7vsmem_tEENKUlT_SE_SF_SG_E_clIS8_S8_S9_S9_EESD_ST_SE_SF_SG_EUlST_E0_NS1_11comp_targetILNS1_3genE4ELNS1_11target_archE910ELNS1_3gpuE8ELNS1_3repE0EEENS1_38merge_mergepath_config_static_selectorELNS0_4arch9wavefront6targetE0EEEvSF_
	.p2align	8
	.type	_ZN7rocprim17ROCPRIM_400000_NS6detail17trampoline_kernelINS0_14default_configENS1_38merge_sort_block_merge_config_selectorIlNS0_10empty_typeEEEZZNS1_27merge_sort_block_merge_implIS3_PlPS5_jNS1_19radix_merge_compareILb0ELb0ElNS0_19identity_decomposerEEEEE10hipError_tT0_T1_T2_jT3_P12ihipStream_tbPNSt15iterator_traitsISE_E10value_typeEPNSK_ISF_E10value_typeEPSG_NS1_7vsmem_tEENKUlT_SE_SF_SG_E_clIS8_S8_S9_S9_EESD_ST_SE_SF_SG_EUlST_E0_NS1_11comp_targetILNS1_3genE4ELNS1_11target_archE910ELNS1_3gpuE8ELNS1_3repE0EEENS1_38merge_mergepath_config_static_selectorELNS0_4arch9wavefront6targetE0EEEvSF_,@function
_ZN7rocprim17ROCPRIM_400000_NS6detail17trampoline_kernelINS0_14default_configENS1_38merge_sort_block_merge_config_selectorIlNS0_10empty_typeEEEZZNS1_27merge_sort_block_merge_implIS3_PlPS5_jNS1_19radix_merge_compareILb0ELb0ElNS0_19identity_decomposerEEEEE10hipError_tT0_T1_T2_jT3_P12ihipStream_tbPNSt15iterator_traitsISE_E10value_typeEPNSK_ISF_E10value_typeEPSG_NS1_7vsmem_tEENKUlT_SE_SF_SG_E_clIS8_S8_S9_S9_EESD_ST_SE_SF_SG_EUlST_E0_NS1_11comp_targetILNS1_3genE4ELNS1_11target_archE910ELNS1_3gpuE8ELNS1_3repE0EEENS1_38merge_mergepath_config_static_selectorELNS0_4arch9wavefront6targetE0EEEvSF_: ; @_ZN7rocprim17ROCPRIM_400000_NS6detail17trampoline_kernelINS0_14default_configENS1_38merge_sort_block_merge_config_selectorIlNS0_10empty_typeEEEZZNS1_27merge_sort_block_merge_implIS3_PlPS5_jNS1_19radix_merge_compareILb0ELb0ElNS0_19identity_decomposerEEEEE10hipError_tT0_T1_T2_jT3_P12ihipStream_tbPNSt15iterator_traitsISE_E10value_typeEPNSK_ISF_E10value_typeEPSG_NS1_7vsmem_tEENKUlT_SE_SF_SG_E_clIS8_S8_S9_S9_EESD_ST_SE_SF_SG_EUlST_E0_NS1_11comp_targetILNS1_3genE4ELNS1_11target_archE910ELNS1_3gpuE8ELNS1_3repE0EEENS1_38merge_mergepath_config_static_selectorELNS0_4arch9wavefront6targetE0EEEvSF_
; %bb.0:
	.section	.rodata,"a",@progbits
	.p2align	6, 0x0
	.amdhsa_kernel _ZN7rocprim17ROCPRIM_400000_NS6detail17trampoline_kernelINS0_14default_configENS1_38merge_sort_block_merge_config_selectorIlNS0_10empty_typeEEEZZNS1_27merge_sort_block_merge_implIS3_PlPS5_jNS1_19radix_merge_compareILb0ELb0ElNS0_19identity_decomposerEEEEE10hipError_tT0_T1_T2_jT3_P12ihipStream_tbPNSt15iterator_traitsISE_E10value_typeEPNSK_ISF_E10value_typeEPSG_NS1_7vsmem_tEENKUlT_SE_SF_SG_E_clIS8_S8_S9_S9_EESD_ST_SE_SF_SG_EUlST_E0_NS1_11comp_targetILNS1_3genE4ELNS1_11target_archE910ELNS1_3gpuE8ELNS1_3repE0EEENS1_38merge_mergepath_config_static_selectorELNS0_4arch9wavefront6targetE0EEEvSF_
		.amdhsa_group_segment_fixed_size 0
		.amdhsa_private_segment_fixed_size 0
		.amdhsa_kernarg_size 64
		.amdhsa_user_sgpr_count 2
		.amdhsa_user_sgpr_dispatch_ptr 0
		.amdhsa_user_sgpr_queue_ptr 0
		.amdhsa_user_sgpr_kernarg_segment_ptr 1
		.amdhsa_user_sgpr_dispatch_id 0
		.amdhsa_user_sgpr_kernarg_preload_length 0
		.amdhsa_user_sgpr_kernarg_preload_offset 0
		.amdhsa_user_sgpr_private_segment_size 0
		.amdhsa_wavefront_size32 1
		.amdhsa_uses_dynamic_stack 0
		.amdhsa_enable_private_segment 0
		.amdhsa_system_sgpr_workgroup_id_x 1
		.amdhsa_system_sgpr_workgroup_id_y 0
		.amdhsa_system_sgpr_workgroup_id_z 0
		.amdhsa_system_sgpr_workgroup_info 0
		.amdhsa_system_vgpr_workitem_id 0
		.amdhsa_next_free_vgpr 1
		.amdhsa_next_free_sgpr 1
		.amdhsa_named_barrier_count 0
		.amdhsa_reserve_vcc 0
		.amdhsa_float_round_mode_32 0
		.amdhsa_float_round_mode_16_64 0
		.amdhsa_float_denorm_mode_32 3
		.amdhsa_float_denorm_mode_16_64 3
		.amdhsa_fp16_overflow 0
		.amdhsa_memory_ordered 1
		.amdhsa_forward_progress 1
		.amdhsa_inst_pref_size 0
		.amdhsa_round_robin_scheduling 0
		.amdhsa_exception_fp_ieee_invalid_op 0
		.amdhsa_exception_fp_denorm_src 0
		.amdhsa_exception_fp_ieee_div_zero 0
		.amdhsa_exception_fp_ieee_overflow 0
		.amdhsa_exception_fp_ieee_underflow 0
		.amdhsa_exception_fp_ieee_inexact 0
		.amdhsa_exception_int_div_zero 0
	.end_amdhsa_kernel
	.section	.text._ZN7rocprim17ROCPRIM_400000_NS6detail17trampoline_kernelINS0_14default_configENS1_38merge_sort_block_merge_config_selectorIlNS0_10empty_typeEEEZZNS1_27merge_sort_block_merge_implIS3_PlPS5_jNS1_19radix_merge_compareILb0ELb0ElNS0_19identity_decomposerEEEEE10hipError_tT0_T1_T2_jT3_P12ihipStream_tbPNSt15iterator_traitsISE_E10value_typeEPNSK_ISF_E10value_typeEPSG_NS1_7vsmem_tEENKUlT_SE_SF_SG_E_clIS8_S8_S9_S9_EESD_ST_SE_SF_SG_EUlST_E0_NS1_11comp_targetILNS1_3genE4ELNS1_11target_archE910ELNS1_3gpuE8ELNS1_3repE0EEENS1_38merge_mergepath_config_static_selectorELNS0_4arch9wavefront6targetE0EEEvSF_,"axG",@progbits,_ZN7rocprim17ROCPRIM_400000_NS6detail17trampoline_kernelINS0_14default_configENS1_38merge_sort_block_merge_config_selectorIlNS0_10empty_typeEEEZZNS1_27merge_sort_block_merge_implIS3_PlPS5_jNS1_19radix_merge_compareILb0ELb0ElNS0_19identity_decomposerEEEEE10hipError_tT0_T1_T2_jT3_P12ihipStream_tbPNSt15iterator_traitsISE_E10value_typeEPNSK_ISF_E10value_typeEPSG_NS1_7vsmem_tEENKUlT_SE_SF_SG_E_clIS8_S8_S9_S9_EESD_ST_SE_SF_SG_EUlST_E0_NS1_11comp_targetILNS1_3genE4ELNS1_11target_archE910ELNS1_3gpuE8ELNS1_3repE0EEENS1_38merge_mergepath_config_static_selectorELNS0_4arch9wavefront6targetE0EEEvSF_,comdat
.Lfunc_end1152:
	.size	_ZN7rocprim17ROCPRIM_400000_NS6detail17trampoline_kernelINS0_14default_configENS1_38merge_sort_block_merge_config_selectorIlNS0_10empty_typeEEEZZNS1_27merge_sort_block_merge_implIS3_PlPS5_jNS1_19radix_merge_compareILb0ELb0ElNS0_19identity_decomposerEEEEE10hipError_tT0_T1_T2_jT3_P12ihipStream_tbPNSt15iterator_traitsISE_E10value_typeEPNSK_ISF_E10value_typeEPSG_NS1_7vsmem_tEENKUlT_SE_SF_SG_E_clIS8_S8_S9_S9_EESD_ST_SE_SF_SG_EUlST_E0_NS1_11comp_targetILNS1_3genE4ELNS1_11target_archE910ELNS1_3gpuE8ELNS1_3repE0EEENS1_38merge_mergepath_config_static_selectorELNS0_4arch9wavefront6targetE0EEEvSF_, .Lfunc_end1152-_ZN7rocprim17ROCPRIM_400000_NS6detail17trampoline_kernelINS0_14default_configENS1_38merge_sort_block_merge_config_selectorIlNS0_10empty_typeEEEZZNS1_27merge_sort_block_merge_implIS3_PlPS5_jNS1_19radix_merge_compareILb0ELb0ElNS0_19identity_decomposerEEEEE10hipError_tT0_T1_T2_jT3_P12ihipStream_tbPNSt15iterator_traitsISE_E10value_typeEPNSK_ISF_E10value_typeEPSG_NS1_7vsmem_tEENKUlT_SE_SF_SG_E_clIS8_S8_S9_S9_EESD_ST_SE_SF_SG_EUlST_E0_NS1_11comp_targetILNS1_3genE4ELNS1_11target_archE910ELNS1_3gpuE8ELNS1_3repE0EEENS1_38merge_mergepath_config_static_selectorELNS0_4arch9wavefront6targetE0EEEvSF_
                                        ; -- End function
	.set _ZN7rocprim17ROCPRIM_400000_NS6detail17trampoline_kernelINS0_14default_configENS1_38merge_sort_block_merge_config_selectorIlNS0_10empty_typeEEEZZNS1_27merge_sort_block_merge_implIS3_PlPS5_jNS1_19radix_merge_compareILb0ELb0ElNS0_19identity_decomposerEEEEE10hipError_tT0_T1_T2_jT3_P12ihipStream_tbPNSt15iterator_traitsISE_E10value_typeEPNSK_ISF_E10value_typeEPSG_NS1_7vsmem_tEENKUlT_SE_SF_SG_E_clIS8_S8_S9_S9_EESD_ST_SE_SF_SG_EUlST_E0_NS1_11comp_targetILNS1_3genE4ELNS1_11target_archE910ELNS1_3gpuE8ELNS1_3repE0EEENS1_38merge_mergepath_config_static_selectorELNS0_4arch9wavefront6targetE0EEEvSF_.num_vgpr, 0
	.set _ZN7rocprim17ROCPRIM_400000_NS6detail17trampoline_kernelINS0_14default_configENS1_38merge_sort_block_merge_config_selectorIlNS0_10empty_typeEEEZZNS1_27merge_sort_block_merge_implIS3_PlPS5_jNS1_19radix_merge_compareILb0ELb0ElNS0_19identity_decomposerEEEEE10hipError_tT0_T1_T2_jT3_P12ihipStream_tbPNSt15iterator_traitsISE_E10value_typeEPNSK_ISF_E10value_typeEPSG_NS1_7vsmem_tEENKUlT_SE_SF_SG_E_clIS8_S8_S9_S9_EESD_ST_SE_SF_SG_EUlST_E0_NS1_11comp_targetILNS1_3genE4ELNS1_11target_archE910ELNS1_3gpuE8ELNS1_3repE0EEENS1_38merge_mergepath_config_static_selectorELNS0_4arch9wavefront6targetE0EEEvSF_.num_agpr, 0
	.set _ZN7rocprim17ROCPRIM_400000_NS6detail17trampoline_kernelINS0_14default_configENS1_38merge_sort_block_merge_config_selectorIlNS0_10empty_typeEEEZZNS1_27merge_sort_block_merge_implIS3_PlPS5_jNS1_19radix_merge_compareILb0ELb0ElNS0_19identity_decomposerEEEEE10hipError_tT0_T1_T2_jT3_P12ihipStream_tbPNSt15iterator_traitsISE_E10value_typeEPNSK_ISF_E10value_typeEPSG_NS1_7vsmem_tEENKUlT_SE_SF_SG_E_clIS8_S8_S9_S9_EESD_ST_SE_SF_SG_EUlST_E0_NS1_11comp_targetILNS1_3genE4ELNS1_11target_archE910ELNS1_3gpuE8ELNS1_3repE0EEENS1_38merge_mergepath_config_static_selectorELNS0_4arch9wavefront6targetE0EEEvSF_.numbered_sgpr, 0
	.set _ZN7rocprim17ROCPRIM_400000_NS6detail17trampoline_kernelINS0_14default_configENS1_38merge_sort_block_merge_config_selectorIlNS0_10empty_typeEEEZZNS1_27merge_sort_block_merge_implIS3_PlPS5_jNS1_19radix_merge_compareILb0ELb0ElNS0_19identity_decomposerEEEEE10hipError_tT0_T1_T2_jT3_P12ihipStream_tbPNSt15iterator_traitsISE_E10value_typeEPNSK_ISF_E10value_typeEPSG_NS1_7vsmem_tEENKUlT_SE_SF_SG_E_clIS8_S8_S9_S9_EESD_ST_SE_SF_SG_EUlST_E0_NS1_11comp_targetILNS1_3genE4ELNS1_11target_archE910ELNS1_3gpuE8ELNS1_3repE0EEENS1_38merge_mergepath_config_static_selectorELNS0_4arch9wavefront6targetE0EEEvSF_.num_named_barrier, 0
	.set _ZN7rocprim17ROCPRIM_400000_NS6detail17trampoline_kernelINS0_14default_configENS1_38merge_sort_block_merge_config_selectorIlNS0_10empty_typeEEEZZNS1_27merge_sort_block_merge_implIS3_PlPS5_jNS1_19radix_merge_compareILb0ELb0ElNS0_19identity_decomposerEEEEE10hipError_tT0_T1_T2_jT3_P12ihipStream_tbPNSt15iterator_traitsISE_E10value_typeEPNSK_ISF_E10value_typeEPSG_NS1_7vsmem_tEENKUlT_SE_SF_SG_E_clIS8_S8_S9_S9_EESD_ST_SE_SF_SG_EUlST_E0_NS1_11comp_targetILNS1_3genE4ELNS1_11target_archE910ELNS1_3gpuE8ELNS1_3repE0EEENS1_38merge_mergepath_config_static_selectorELNS0_4arch9wavefront6targetE0EEEvSF_.private_seg_size, 0
	.set _ZN7rocprim17ROCPRIM_400000_NS6detail17trampoline_kernelINS0_14default_configENS1_38merge_sort_block_merge_config_selectorIlNS0_10empty_typeEEEZZNS1_27merge_sort_block_merge_implIS3_PlPS5_jNS1_19radix_merge_compareILb0ELb0ElNS0_19identity_decomposerEEEEE10hipError_tT0_T1_T2_jT3_P12ihipStream_tbPNSt15iterator_traitsISE_E10value_typeEPNSK_ISF_E10value_typeEPSG_NS1_7vsmem_tEENKUlT_SE_SF_SG_E_clIS8_S8_S9_S9_EESD_ST_SE_SF_SG_EUlST_E0_NS1_11comp_targetILNS1_3genE4ELNS1_11target_archE910ELNS1_3gpuE8ELNS1_3repE0EEENS1_38merge_mergepath_config_static_selectorELNS0_4arch9wavefront6targetE0EEEvSF_.uses_vcc, 0
	.set _ZN7rocprim17ROCPRIM_400000_NS6detail17trampoline_kernelINS0_14default_configENS1_38merge_sort_block_merge_config_selectorIlNS0_10empty_typeEEEZZNS1_27merge_sort_block_merge_implIS3_PlPS5_jNS1_19radix_merge_compareILb0ELb0ElNS0_19identity_decomposerEEEEE10hipError_tT0_T1_T2_jT3_P12ihipStream_tbPNSt15iterator_traitsISE_E10value_typeEPNSK_ISF_E10value_typeEPSG_NS1_7vsmem_tEENKUlT_SE_SF_SG_E_clIS8_S8_S9_S9_EESD_ST_SE_SF_SG_EUlST_E0_NS1_11comp_targetILNS1_3genE4ELNS1_11target_archE910ELNS1_3gpuE8ELNS1_3repE0EEENS1_38merge_mergepath_config_static_selectorELNS0_4arch9wavefront6targetE0EEEvSF_.uses_flat_scratch, 0
	.set _ZN7rocprim17ROCPRIM_400000_NS6detail17trampoline_kernelINS0_14default_configENS1_38merge_sort_block_merge_config_selectorIlNS0_10empty_typeEEEZZNS1_27merge_sort_block_merge_implIS3_PlPS5_jNS1_19radix_merge_compareILb0ELb0ElNS0_19identity_decomposerEEEEE10hipError_tT0_T1_T2_jT3_P12ihipStream_tbPNSt15iterator_traitsISE_E10value_typeEPNSK_ISF_E10value_typeEPSG_NS1_7vsmem_tEENKUlT_SE_SF_SG_E_clIS8_S8_S9_S9_EESD_ST_SE_SF_SG_EUlST_E0_NS1_11comp_targetILNS1_3genE4ELNS1_11target_archE910ELNS1_3gpuE8ELNS1_3repE0EEENS1_38merge_mergepath_config_static_selectorELNS0_4arch9wavefront6targetE0EEEvSF_.has_dyn_sized_stack, 0
	.set _ZN7rocprim17ROCPRIM_400000_NS6detail17trampoline_kernelINS0_14default_configENS1_38merge_sort_block_merge_config_selectorIlNS0_10empty_typeEEEZZNS1_27merge_sort_block_merge_implIS3_PlPS5_jNS1_19radix_merge_compareILb0ELb0ElNS0_19identity_decomposerEEEEE10hipError_tT0_T1_T2_jT3_P12ihipStream_tbPNSt15iterator_traitsISE_E10value_typeEPNSK_ISF_E10value_typeEPSG_NS1_7vsmem_tEENKUlT_SE_SF_SG_E_clIS8_S8_S9_S9_EESD_ST_SE_SF_SG_EUlST_E0_NS1_11comp_targetILNS1_3genE4ELNS1_11target_archE910ELNS1_3gpuE8ELNS1_3repE0EEENS1_38merge_mergepath_config_static_selectorELNS0_4arch9wavefront6targetE0EEEvSF_.has_recursion, 0
	.set _ZN7rocprim17ROCPRIM_400000_NS6detail17trampoline_kernelINS0_14default_configENS1_38merge_sort_block_merge_config_selectorIlNS0_10empty_typeEEEZZNS1_27merge_sort_block_merge_implIS3_PlPS5_jNS1_19radix_merge_compareILb0ELb0ElNS0_19identity_decomposerEEEEE10hipError_tT0_T1_T2_jT3_P12ihipStream_tbPNSt15iterator_traitsISE_E10value_typeEPNSK_ISF_E10value_typeEPSG_NS1_7vsmem_tEENKUlT_SE_SF_SG_E_clIS8_S8_S9_S9_EESD_ST_SE_SF_SG_EUlST_E0_NS1_11comp_targetILNS1_3genE4ELNS1_11target_archE910ELNS1_3gpuE8ELNS1_3repE0EEENS1_38merge_mergepath_config_static_selectorELNS0_4arch9wavefront6targetE0EEEvSF_.has_indirect_call, 0
	.section	.AMDGPU.csdata,"",@progbits
; Kernel info:
; codeLenInByte = 0
; TotalNumSgprs: 0
; NumVgprs: 0
; ScratchSize: 0
; MemoryBound: 0
; FloatMode: 240
; IeeeMode: 1
; LDSByteSize: 0 bytes/workgroup (compile time only)
; SGPRBlocks: 0
; VGPRBlocks: 0
; NumSGPRsForWavesPerEU: 1
; NumVGPRsForWavesPerEU: 1
; NamedBarCnt: 0
; Occupancy: 16
; WaveLimiterHint : 0
; COMPUTE_PGM_RSRC2:SCRATCH_EN: 0
; COMPUTE_PGM_RSRC2:USER_SGPR: 2
; COMPUTE_PGM_RSRC2:TRAP_HANDLER: 0
; COMPUTE_PGM_RSRC2:TGID_X_EN: 1
; COMPUTE_PGM_RSRC2:TGID_Y_EN: 0
; COMPUTE_PGM_RSRC2:TGID_Z_EN: 0
; COMPUTE_PGM_RSRC2:TIDIG_COMP_CNT: 0
	.section	.text._ZN7rocprim17ROCPRIM_400000_NS6detail17trampoline_kernelINS0_14default_configENS1_38merge_sort_block_merge_config_selectorIlNS0_10empty_typeEEEZZNS1_27merge_sort_block_merge_implIS3_PlPS5_jNS1_19radix_merge_compareILb0ELb0ElNS0_19identity_decomposerEEEEE10hipError_tT0_T1_T2_jT3_P12ihipStream_tbPNSt15iterator_traitsISE_E10value_typeEPNSK_ISF_E10value_typeEPSG_NS1_7vsmem_tEENKUlT_SE_SF_SG_E_clIS8_S8_S9_S9_EESD_ST_SE_SF_SG_EUlST_E0_NS1_11comp_targetILNS1_3genE3ELNS1_11target_archE908ELNS1_3gpuE7ELNS1_3repE0EEENS1_38merge_mergepath_config_static_selectorELNS0_4arch9wavefront6targetE0EEEvSF_,"axG",@progbits,_ZN7rocprim17ROCPRIM_400000_NS6detail17trampoline_kernelINS0_14default_configENS1_38merge_sort_block_merge_config_selectorIlNS0_10empty_typeEEEZZNS1_27merge_sort_block_merge_implIS3_PlPS5_jNS1_19radix_merge_compareILb0ELb0ElNS0_19identity_decomposerEEEEE10hipError_tT0_T1_T2_jT3_P12ihipStream_tbPNSt15iterator_traitsISE_E10value_typeEPNSK_ISF_E10value_typeEPSG_NS1_7vsmem_tEENKUlT_SE_SF_SG_E_clIS8_S8_S9_S9_EESD_ST_SE_SF_SG_EUlST_E0_NS1_11comp_targetILNS1_3genE3ELNS1_11target_archE908ELNS1_3gpuE7ELNS1_3repE0EEENS1_38merge_mergepath_config_static_selectorELNS0_4arch9wavefront6targetE0EEEvSF_,comdat
	.protected	_ZN7rocprim17ROCPRIM_400000_NS6detail17trampoline_kernelINS0_14default_configENS1_38merge_sort_block_merge_config_selectorIlNS0_10empty_typeEEEZZNS1_27merge_sort_block_merge_implIS3_PlPS5_jNS1_19radix_merge_compareILb0ELb0ElNS0_19identity_decomposerEEEEE10hipError_tT0_T1_T2_jT3_P12ihipStream_tbPNSt15iterator_traitsISE_E10value_typeEPNSK_ISF_E10value_typeEPSG_NS1_7vsmem_tEENKUlT_SE_SF_SG_E_clIS8_S8_S9_S9_EESD_ST_SE_SF_SG_EUlST_E0_NS1_11comp_targetILNS1_3genE3ELNS1_11target_archE908ELNS1_3gpuE7ELNS1_3repE0EEENS1_38merge_mergepath_config_static_selectorELNS0_4arch9wavefront6targetE0EEEvSF_ ; -- Begin function _ZN7rocprim17ROCPRIM_400000_NS6detail17trampoline_kernelINS0_14default_configENS1_38merge_sort_block_merge_config_selectorIlNS0_10empty_typeEEEZZNS1_27merge_sort_block_merge_implIS3_PlPS5_jNS1_19radix_merge_compareILb0ELb0ElNS0_19identity_decomposerEEEEE10hipError_tT0_T1_T2_jT3_P12ihipStream_tbPNSt15iterator_traitsISE_E10value_typeEPNSK_ISF_E10value_typeEPSG_NS1_7vsmem_tEENKUlT_SE_SF_SG_E_clIS8_S8_S9_S9_EESD_ST_SE_SF_SG_EUlST_E0_NS1_11comp_targetILNS1_3genE3ELNS1_11target_archE908ELNS1_3gpuE7ELNS1_3repE0EEENS1_38merge_mergepath_config_static_selectorELNS0_4arch9wavefront6targetE0EEEvSF_
	.globl	_ZN7rocprim17ROCPRIM_400000_NS6detail17trampoline_kernelINS0_14default_configENS1_38merge_sort_block_merge_config_selectorIlNS0_10empty_typeEEEZZNS1_27merge_sort_block_merge_implIS3_PlPS5_jNS1_19radix_merge_compareILb0ELb0ElNS0_19identity_decomposerEEEEE10hipError_tT0_T1_T2_jT3_P12ihipStream_tbPNSt15iterator_traitsISE_E10value_typeEPNSK_ISF_E10value_typeEPSG_NS1_7vsmem_tEENKUlT_SE_SF_SG_E_clIS8_S8_S9_S9_EESD_ST_SE_SF_SG_EUlST_E0_NS1_11comp_targetILNS1_3genE3ELNS1_11target_archE908ELNS1_3gpuE7ELNS1_3repE0EEENS1_38merge_mergepath_config_static_selectorELNS0_4arch9wavefront6targetE0EEEvSF_
	.p2align	8
	.type	_ZN7rocprim17ROCPRIM_400000_NS6detail17trampoline_kernelINS0_14default_configENS1_38merge_sort_block_merge_config_selectorIlNS0_10empty_typeEEEZZNS1_27merge_sort_block_merge_implIS3_PlPS5_jNS1_19radix_merge_compareILb0ELb0ElNS0_19identity_decomposerEEEEE10hipError_tT0_T1_T2_jT3_P12ihipStream_tbPNSt15iterator_traitsISE_E10value_typeEPNSK_ISF_E10value_typeEPSG_NS1_7vsmem_tEENKUlT_SE_SF_SG_E_clIS8_S8_S9_S9_EESD_ST_SE_SF_SG_EUlST_E0_NS1_11comp_targetILNS1_3genE3ELNS1_11target_archE908ELNS1_3gpuE7ELNS1_3repE0EEENS1_38merge_mergepath_config_static_selectorELNS0_4arch9wavefront6targetE0EEEvSF_,@function
_ZN7rocprim17ROCPRIM_400000_NS6detail17trampoline_kernelINS0_14default_configENS1_38merge_sort_block_merge_config_selectorIlNS0_10empty_typeEEEZZNS1_27merge_sort_block_merge_implIS3_PlPS5_jNS1_19radix_merge_compareILb0ELb0ElNS0_19identity_decomposerEEEEE10hipError_tT0_T1_T2_jT3_P12ihipStream_tbPNSt15iterator_traitsISE_E10value_typeEPNSK_ISF_E10value_typeEPSG_NS1_7vsmem_tEENKUlT_SE_SF_SG_E_clIS8_S8_S9_S9_EESD_ST_SE_SF_SG_EUlST_E0_NS1_11comp_targetILNS1_3genE3ELNS1_11target_archE908ELNS1_3gpuE7ELNS1_3repE0EEENS1_38merge_mergepath_config_static_selectorELNS0_4arch9wavefront6targetE0EEEvSF_: ; @_ZN7rocprim17ROCPRIM_400000_NS6detail17trampoline_kernelINS0_14default_configENS1_38merge_sort_block_merge_config_selectorIlNS0_10empty_typeEEEZZNS1_27merge_sort_block_merge_implIS3_PlPS5_jNS1_19radix_merge_compareILb0ELb0ElNS0_19identity_decomposerEEEEE10hipError_tT0_T1_T2_jT3_P12ihipStream_tbPNSt15iterator_traitsISE_E10value_typeEPNSK_ISF_E10value_typeEPSG_NS1_7vsmem_tEENKUlT_SE_SF_SG_E_clIS8_S8_S9_S9_EESD_ST_SE_SF_SG_EUlST_E0_NS1_11comp_targetILNS1_3genE3ELNS1_11target_archE908ELNS1_3gpuE7ELNS1_3repE0EEENS1_38merge_mergepath_config_static_selectorELNS0_4arch9wavefront6targetE0EEEvSF_
; %bb.0:
	.section	.rodata,"a",@progbits
	.p2align	6, 0x0
	.amdhsa_kernel _ZN7rocprim17ROCPRIM_400000_NS6detail17trampoline_kernelINS0_14default_configENS1_38merge_sort_block_merge_config_selectorIlNS0_10empty_typeEEEZZNS1_27merge_sort_block_merge_implIS3_PlPS5_jNS1_19radix_merge_compareILb0ELb0ElNS0_19identity_decomposerEEEEE10hipError_tT0_T1_T2_jT3_P12ihipStream_tbPNSt15iterator_traitsISE_E10value_typeEPNSK_ISF_E10value_typeEPSG_NS1_7vsmem_tEENKUlT_SE_SF_SG_E_clIS8_S8_S9_S9_EESD_ST_SE_SF_SG_EUlST_E0_NS1_11comp_targetILNS1_3genE3ELNS1_11target_archE908ELNS1_3gpuE7ELNS1_3repE0EEENS1_38merge_mergepath_config_static_selectorELNS0_4arch9wavefront6targetE0EEEvSF_
		.amdhsa_group_segment_fixed_size 0
		.amdhsa_private_segment_fixed_size 0
		.amdhsa_kernarg_size 64
		.amdhsa_user_sgpr_count 2
		.amdhsa_user_sgpr_dispatch_ptr 0
		.amdhsa_user_sgpr_queue_ptr 0
		.amdhsa_user_sgpr_kernarg_segment_ptr 1
		.amdhsa_user_sgpr_dispatch_id 0
		.amdhsa_user_sgpr_kernarg_preload_length 0
		.amdhsa_user_sgpr_kernarg_preload_offset 0
		.amdhsa_user_sgpr_private_segment_size 0
		.amdhsa_wavefront_size32 1
		.amdhsa_uses_dynamic_stack 0
		.amdhsa_enable_private_segment 0
		.amdhsa_system_sgpr_workgroup_id_x 1
		.amdhsa_system_sgpr_workgroup_id_y 0
		.amdhsa_system_sgpr_workgroup_id_z 0
		.amdhsa_system_sgpr_workgroup_info 0
		.amdhsa_system_vgpr_workitem_id 0
		.amdhsa_next_free_vgpr 1
		.amdhsa_next_free_sgpr 1
		.amdhsa_named_barrier_count 0
		.amdhsa_reserve_vcc 0
		.amdhsa_float_round_mode_32 0
		.amdhsa_float_round_mode_16_64 0
		.amdhsa_float_denorm_mode_32 3
		.amdhsa_float_denorm_mode_16_64 3
		.amdhsa_fp16_overflow 0
		.amdhsa_memory_ordered 1
		.amdhsa_forward_progress 1
		.amdhsa_inst_pref_size 0
		.amdhsa_round_robin_scheduling 0
		.amdhsa_exception_fp_ieee_invalid_op 0
		.amdhsa_exception_fp_denorm_src 0
		.amdhsa_exception_fp_ieee_div_zero 0
		.amdhsa_exception_fp_ieee_overflow 0
		.amdhsa_exception_fp_ieee_underflow 0
		.amdhsa_exception_fp_ieee_inexact 0
		.amdhsa_exception_int_div_zero 0
	.end_amdhsa_kernel
	.section	.text._ZN7rocprim17ROCPRIM_400000_NS6detail17trampoline_kernelINS0_14default_configENS1_38merge_sort_block_merge_config_selectorIlNS0_10empty_typeEEEZZNS1_27merge_sort_block_merge_implIS3_PlPS5_jNS1_19radix_merge_compareILb0ELb0ElNS0_19identity_decomposerEEEEE10hipError_tT0_T1_T2_jT3_P12ihipStream_tbPNSt15iterator_traitsISE_E10value_typeEPNSK_ISF_E10value_typeEPSG_NS1_7vsmem_tEENKUlT_SE_SF_SG_E_clIS8_S8_S9_S9_EESD_ST_SE_SF_SG_EUlST_E0_NS1_11comp_targetILNS1_3genE3ELNS1_11target_archE908ELNS1_3gpuE7ELNS1_3repE0EEENS1_38merge_mergepath_config_static_selectorELNS0_4arch9wavefront6targetE0EEEvSF_,"axG",@progbits,_ZN7rocprim17ROCPRIM_400000_NS6detail17trampoline_kernelINS0_14default_configENS1_38merge_sort_block_merge_config_selectorIlNS0_10empty_typeEEEZZNS1_27merge_sort_block_merge_implIS3_PlPS5_jNS1_19radix_merge_compareILb0ELb0ElNS0_19identity_decomposerEEEEE10hipError_tT0_T1_T2_jT3_P12ihipStream_tbPNSt15iterator_traitsISE_E10value_typeEPNSK_ISF_E10value_typeEPSG_NS1_7vsmem_tEENKUlT_SE_SF_SG_E_clIS8_S8_S9_S9_EESD_ST_SE_SF_SG_EUlST_E0_NS1_11comp_targetILNS1_3genE3ELNS1_11target_archE908ELNS1_3gpuE7ELNS1_3repE0EEENS1_38merge_mergepath_config_static_selectorELNS0_4arch9wavefront6targetE0EEEvSF_,comdat
.Lfunc_end1153:
	.size	_ZN7rocprim17ROCPRIM_400000_NS6detail17trampoline_kernelINS0_14default_configENS1_38merge_sort_block_merge_config_selectorIlNS0_10empty_typeEEEZZNS1_27merge_sort_block_merge_implIS3_PlPS5_jNS1_19radix_merge_compareILb0ELb0ElNS0_19identity_decomposerEEEEE10hipError_tT0_T1_T2_jT3_P12ihipStream_tbPNSt15iterator_traitsISE_E10value_typeEPNSK_ISF_E10value_typeEPSG_NS1_7vsmem_tEENKUlT_SE_SF_SG_E_clIS8_S8_S9_S9_EESD_ST_SE_SF_SG_EUlST_E0_NS1_11comp_targetILNS1_3genE3ELNS1_11target_archE908ELNS1_3gpuE7ELNS1_3repE0EEENS1_38merge_mergepath_config_static_selectorELNS0_4arch9wavefront6targetE0EEEvSF_, .Lfunc_end1153-_ZN7rocprim17ROCPRIM_400000_NS6detail17trampoline_kernelINS0_14default_configENS1_38merge_sort_block_merge_config_selectorIlNS0_10empty_typeEEEZZNS1_27merge_sort_block_merge_implIS3_PlPS5_jNS1_19radix_merge_compareILb0ELb0ElNS0_19identity_decomposerEEEEE10hipError_tT0_T1_T2_jT3_P12ihipStream_tbPNSt15iterator_traitsISE_E10value_typeEPNSK_ISF_E10value_typeEPSG_NS1_7vsmem_tEENKUlT_SE_SF_SG_E_clIS8_S8_S9_S9_EESD_ST_SE_SF_SG_EUlST_E0_NS1_11comp_targetILNS1_3genE3ELNS1_11target_archE908ELNS1_3gpuE7ELNS1_3repE0EEENS1_38merge_mergepath_config_static_selectorELNS0_4arch9wavefront6targetE0EEEvSF_
                                        ; -- End function
	.set _ZN7rocprim17ROCPRIM_400000_NS6detail17trampoline_kernelINS0_14default_configENS1_38merge_sort_block_merge_config_selectorIlNS0_10empty_typeEEEZZNS1_27merge_sort_block_merge_implIS3_PlPS5_jNS1_19radix_merge_compareILb0ELb0ElNS0_19identity_decomposerEEEEE10hipError_tT0_T1_T2_jT3_P12ihipStream_tbPNSt15iterator_traitsISE_E10value_typeEPNSK_ISF_E10value_typeEPSG_NS1_7vsmem_tEENKUlT_SE_SF_SG_E_clIS8_S8_S9_S9_EESD_ST_SE_SF_SG_EUlST_E0_NS1_11comp_targetILNS1_3genE3ELNS1_11target_archE908ELNS1_3gpuE7ELNS1_3repE0EEENS1_38merge_mergepath_config_static_selectorELNS0_4arch9wavefront6targetE0EEEvSF_.num_vgpr, 0
	.set _ZN7rocprim17ROCPRIM_400000_NS6detail17trampoline_kernelINS0_14default_configENS1_38merge_sort_block_merge_config_selectorIlNS0_10empty_typeEEEZZNS1_27merge_sort_block_merge_implIS3_PlPS5_jNS1_19radix_merge_compareILb0ELb0ElNS0_19identity_decomposerEEEEE10hipError_tT0_T1_T2_jT3_P12ihipStream_tbPNSt15iterator_traitsISE_E10value_typeEPNSK_ISF_E10value_typeEPSG_NS1_7vsmem_tEENKUlT_SE_SF_SG_E_clIS8_S8_S9_S9_EESD_ST_SE_SF_SG_EUlST_E0_NS1_11comp_targetILNS1_3genE3ELNS1_11target_archE908ELNS1_3gpuE7ELNS1_3repE0EEENS1_38merge_mergepath_config_static_selectorELNS0_4arch9wavefront6targetE0EEEvSF_.num_agpr, 0
	.set _ZN7rocprim17ROCPRIM_400000_NS6detail17trampoline_kernelINS0_14default_configENS1_38merge_sort_block_merge_config_selectorIlNS0_10empty_typeEEEZZNS1_27merge_sort_block_merge_implIS3_PlPS5_jNS1_19radix_merge_compareILb0ELb0ElNS0_19identity_decomposerEEEEE10hipError_tT0_T1_T2_jT3_P12ihipStream_tbPNSt15iterator_traitsISE_E10value_typeEPNSK_ISF_E10value_typeEPSG_NS1_7vsmem_tEENKUlT_SE_SF_SG_E_clIS8_S8_S9_S9_EESD_ST_SE_SF_SG_EUlST_E0_NS1_11comp_targetILNS1_3genE3ELNS1_11target_archE908ELNS1_3gpuE7ELNS1_3repE0EEENS1_38merge_mergepath_config_static_selectorELNS0_4arch9wavefront6targetE0EEEvSF_.numbered_sgpr, 0
	.set _ZN7rocprim17ROCPRIM_400000_NS6detail17trampoline_kernelINS0_14default_configENS1_38merge_sort_block_merge_config_selectorIlNS0_10empty_typeEEEZZNS1_27merge_sort_block_merge_implIS3_PlPS5_jNS1_19radix_merge_compareILb0ELb0ElNS0_19identity_decomposerEEEEE10hipError_tT0_T1_T2_jT3_P12ihipStream_tbPNSt15iterator_traitsISE_E10value_typeEPNSK_ISF_E10value_typeEPSG_NS1_7vsmem_tEENKUlT_SE_SF_SG_E_clIS8_S8_S9_S9_EESD_ST_SE_SF_SG_EUlST_E0_NS1_11comp_targetILNS1_3genE3ELNS1_11target_archE908ELNS1_3gpuE7ELNS1_3repE0EEENS1_38merge_mergepath_config_static_selectorELNS0_4arch9wavefront6targetE0EEEvSF_.num_named_barrier, 0
	.set _ZN7rocprim17ROCPRIM_400000_NS6detail17trampoline_kernelINS0_14default_configENS1_38merge_sort_block_merge_config_selectorIlNS0_10empty_typeEEEZZNS1_27merge_sort_block_merge_implIS3_PlPS5_jNS1_19radix_merge_compareILb0ELb0ElNS0_19identity_decomposerEEEEE10hipError_tT0_T1_T2_jT3_P12ihipStream_tbPNSt15iterator_traitsISE_E10value_typeEPNSK_ISF_E10value_typeEPSG_NS1_7vsmem_tEENKUlT_SE_SF_SG_E_clIS8_S8_S9_S9_EESD_ST_SE_SF_SG_EUlST_E0_NS1_11comp_targetILNS1_3genE3ELNS1_11target_archE908ELNS1_3gpuE7ELNS1_3repE0EEENS1_38merge_mergepath_config_static_selectorELNS0_4arch9wavefront6targetE0EEEvSF_.private_seg_size, 0
	.set _ZN7rocprim17ROCPRIM_400000_NS6detail17trampoline_kernelINS0_14default_configENS1_38merge_sort_block_merge_config_selectorIlNS0_10empty_typeEEEZZNS1_27merge_sort_block_merge_implIS3_PlPS5_jNS1_19radix_merge_compareILb0ELb0ElNS0_19identity_decomposerEEEEE10hipError_tT0_T1_T2_jT3_P12ihipStream_tbPNSt15iterator_traitsISE_E10value_typeEPNSK_ISF_E10value_typeEPSG_NS1_7vsmem_tEENKUlT_SE_SF_SG_E_clIS8_S8_S9_S9_EESD_ST_SE_SF_SG_EUlST_E0_NS1_11comp_targetILNS1_3genE3ELNS1_11target_archE908ELNS1_3gpuE7ELNS1_3repE0EEENS1_38merge_mergepath_config_static_selectorELNS0_4arch9wavefront6targetE0EEEvSF_.uses_vcc, 0
	.set _ZN7rocprim17ROCPRIM_400000_NS6detail17trampoline_kernelINS0_14default_configENS1_38merge_sort_block_merge_config_selectorIlNS0_10empty_typeEEEZZNS1_27merge_sort_block_merge_implIS3_PlPS5_jNS1_19radix_merge_compareILb0ELb0ElNS0_19identity_decomposerEEEEE10hipError_tT0_T1_T2_jT3_P12ihipStream_tbPNSt15iterator_traitsISE_E10value_typeEPNSK_ISF_E10value_typeEPSG_NS1_7vsmem_tEENKUlT_SE_SF_SG_E_clIS8_S8_S9_S9_EESD_ST_SE_SF_SG_EUlST_E0_NS1_11comp_targetILNS1_3genE3ELNS1_11target_archE908ELNS1_3gpuE7ELNS1_3repE0EEENS1_38merge_mergepath_config_static_selectorELNS0_4arch9wavefront6targetE0EEEvSF_.uses_flat_scratch, 0
	.set _ZN7rocprim17ROCPRIM_400000_NS6detail17trampoline_kernelINS0_14default_configENS1_38merge_sort_block_merge_config_selectorIlNS0_10empty_typeEEEZZNS1_27merge_sort_block_merge_implIS3_PlPS5_jNS1_19radix_merge_compareILb0ELb0ElNS0_19identity_decomposerEEEEE10hipError_tT0_T1_T2_jT3_P12ihipStream_tbPNSt15iterator_traitsISE_E10value_typeEPNSK_ISF_E10value_typeEPSG_NS1_7vsmem_tEENKUlT_SE_SF_SG_E_clIS8_S8_S9_S9_EESD_ST_SE_SF_SG_EUlST_E0_NS1_11comp_targetILNS1_3genE3ELNS1_11target_archE908ELNS1_3gpuE7ELNS1_3repE0EEENS1_38merge_mergepath_config_static_selectorELNS0_4arch9wavefront6targetE0EEEvSF_.has_dyn_sized_stack, 0
	.set _ZN7rocprim17ROCPRIM_400000_NS6detail17trampoline_kernelINS0_14default_configENS1_38merge_sort_block_merge_config_selectorIlNS0_10empty_typeEEEZZNS1_27merge_sort_block_merge_implIS3_PlPS5_jNS1_19radix_merge_compareILb0ELb0ElNS0_19identity_decomposerEEEEE10hipError_tT0_T1_T2_jT3_P12ihipStream_tbPNSt15iterator_traitsISE_E10value_typeEPNSK_ISF_E10value_typeEPSG_NS1_7vsmem_tEENKUlT_SE_SF_SG_E_clIS8_S8_S9_S9_EESD_ST_SE_SF_SG_EUlST_E0_NS1_11comp_targetILNS1_3genE3ELNS1_11target_archE908ELNS1_3gpuE7ELNS1_3repE0EEENS1_38merge_mergepath_config_static_selectorELNS0_4arch9wavefront6targetE0EEEvSF_.has_recursion, 0
	.set _ZN7rocprim17ROCPRIM_400000_NS6detail17trampoline_kernelINS0_14default_configENS1_38merge_sort_block_merge_config_selectorIlNS0_10empty_typeEEEZZNS1_27merge_sort_block_merge_implIS3_PlPS5_jNS1_19radix_merge_compareILb0ELb0ElNS0_19identity_decomposerEEEEE10hipError_tT0_T1_T2_jT3_P12ihipStream_tbPNSt15iterator_traitsISE_E10value_typeEPNSK_ISF_E10value_typeEPSG_NS1_7vsmem_tEENKUlT_SE_SF_SG_E_clIS8_S8_S9_S9_EESD_ST_SE_SF_SG_EUlST_E0_NS1_11comp_targetILNS1_3genE3ELNS1_11target_archE908ELNS1_3gpuE7ELNS1_3repE0EEENS1_38merge_mergepath_config_static_selectorELNS0_4arch9wavefront6targetE0EEEvSF_.has_indirect_call, 0
	.section	.AMDGPU.csdata,"",@progbits
; Kernel info:
; codeLenInByte = 0
; TotalNumSgprs: 0
; NumVgprs: 0
; ScratchSize: 0
; MemoryBound: 0
; FloatMode: 240
; IeeeMode: 1
; LDSByteSize: 0 bytes/workgroup (compile time only)
; SGPRBlocks: 0
; VGPRBlocks: 0
; NumSGPRsForWavesPerEU: 1
; NumVGPRsForWavesPerEU: 1
; NamedBarCnt: 0
; Occupancy: 16
; WaveLimiterHint : 0
; COMPUTE_PGM_RSRC2:SCRATCH_EN: 0
; COMPUTE_PGM_RSRC2:USER_SGPR: 2
; COMPUTE_PGM_RSRC2:TRAP_HANDLER: 0
; COMPUTE_PGM_RSRC2:TGID_X_EN: 1
; COMPUTE_PGM_RSRC2:TGID_Y_EN: 0
; COMPUTE_PGM_RSRC2:TGID_Z_EN: 0
; COMPUTE_PGM_RSRC2:TIDIG_COMP_CNT: 0
	.section	.text._ZN7rocprim17ROCPRIM_400000_NS6detail17trampoline_kernelINS0_14default_configENS1_38merge_sort_block_merge_config_selectorIlNS0_10empty_typeEEEZZNS1_27merge_sort_block_merge_implIS3_PlPS5_jNS1_19radix_merge_compareILb0ELb0ElNS0_19identity_decomposerEEEEE10hipError_tT0_T1_T2_jT3_P12ihipStream_tbPNSt15iterator_traitsISE_E10value_typeEPNSK_ISF_E10value_typeEPSG_NS1_7vsmem_tEENKUlT_SE_SF_SG_E_clIS8_S8_S9_S9_EESD_ST_SE_SF_SG_EUlST_E0_NS1_11comp_targetILNS1_3genE2ELNS1_11target_archE906ELNS1_3gpuE6ELNS1_3repE0EEENS1_38merge_mergepath_config_static_selectorELNS0_4arch9wavefront6targetE0EEEvSF_,"axG",@progbits,_ZN7rocprim17ROCPRIM_400000_NS6detail17trampoline_kernelINS0_14default_configENS1_38merge_sort_block_merge_config_selectorIlNS0_10empty_typeEEEZZNS1_27merge_sort_block_merge_implIS3_PlPS5_jNS1_19radix_merge_compareILb0ELb0ElNS0_19identity_decomposerEEEEE10hipError_tT0_T1_T2_jT3_P12ihipStream_tbPNSt15iterator_traitsISE_E10value_typeEPNSK_ISF_E10value_typeEPSG_NS1_7vsmem_tEENKUlT_SE_SF_SG_E_clIS8_S8_S9_S9_EESD_ST_SE_SF_SG_EUlST_E0_NS1_11comp_targetILNS1_3genE2ELNS1_11target_archE906ELNS1_3gpuE6ELNS1_3repE0EEENS1_38merge_mergepath_config_static_selectorELNS0_4arch9wavefront6targetE0EEEvSF_,comdat
	.protected	_ZN7rocprim17ROCPRIM_400000_NS6detail17trampoline_kernelINS0_14default_configENS1_38merge_sort_block_merge_config_selectorIlNS0_10empty_typeEEEZZNS1_27merge_sort_block_merge_implIS3_PlPS5_jNS1_19radix_merge_compareILb0ELb0ElNS0_19identity_decomposerEEEEE10hipError_tT0_T1_T2_jT3_P12ihipStream_tbPNSt15iterator_traitsISE_E10value_typeEPNSK_ISF_E10value_typeEPSG_NS1_7vsmem_tEENKUlT_SE_SF_SG_E_clIS8_S8_S9_S9_EESD_ST_SE_SF_SG_EUlST_E0_NS1_11comp_targetILNS1_3genE2ELNS1_11target_archE906ELNS1_3gpuE6ELNS1_3repE0EEENS1_38merge_mergepath_config_static_selectorELNS0_4arch9wavefront6targetE0EEEvSF_ ; -- Begin function _ZN7rocprim17ROCPRIM_400000_NS6detail17trampoline_kernelINS0_14default_configENS1_38merge_sort_block_merge_config_selectorIlNS0_10empty_typeEEEZZNS1_27merge_sort_block_merge_implIS3_PlPS5_jNS1_19radix_merge_compareILb0ELb0ElNS0_19identity_decomposerEEEEE10hipError_tT0_T1_T2_jT3_P12ihipStream_tbPNSt15iterator_traitsISE_E10value_typeEPNSK_ISF_E10value_typeEPSG_NS1_7vsmem_tEENKUlT_SE_SF_SG_E_clIS8_S8_S9_S9_EESD_ST_SE_SF_SG_EUlST_E0_NS1_11comp_targetILNS1_3genE2ELNS1_11target_archE906ELNS1_3gpuE6ELNS1_3repE0EEENS1_38merge_mergepath_config_static_selectorELNS0_4arch9wavefront6targetE0EEEvSF_
	.globl	_ZN7rocprim17ROCPRIM_400000_NS6detail17trampoline_kernelINS0_14default_configENS1_38merge_sort_block_merge_config_selectorIlNS0_10empty_typeEEEZZNS1_27merge_sort_block_merge_implIS3_PlPS5_jNS1_19radix_merge_compareILb0ELb0ElNS0_19identity_decomposerEEEEE10hipError_tT0_T1_T2_jT3_P12ihipStream_tbPNSt15iterator_traitsISE_E10value_typeEPNSK_ISF_E10value_typeEPSG_NS1_7vsmem_tEENKUlT_SE_SF_SG_E_clIS8_S8_S9_S9_EESD_ST_SE_SF_SG_EUlST_E0_NS1_11comp_targetILNS1_3genE2ELNS1_11target_archE906ELNS1_3gpuE6ELNS1_3repE0EEENS1_38merge_mergepath_config_static_selectorELNS0_4arch9wavefront6targetE0EEEvSF_
	.p2align	8
	.type	_ZN7rocprim17ROCPRIM_400000_NS6detail17trampoline_kernelINS0_14default_configENS1_38merge_sort_block_merge_config_selectorIlNS0_10empty_typeEEEZZNS1_27merge_sort_block_merge_implIS3_PlPS5_jNS1_19radix_merge_compareILb0ELb0ElNS0_19identity_decomposerEEEEE10hipError_tT0_T1_T2_jT3_P12ihipStream_tbPNSt15iterator_traitsISE_E10value_typeEPNSK_ISF_E10value_typeEPSG_NS1_7vsmem_tEENKUlT_SE_SF_SG_E_clIS8_S8_S9_S9_EESD_ST_SE_SF_SG_EUlST_E0_NS1_11comp_targetILNS1_3genE2ELNS1_11target_archE906ELNS1_3gpuE6ELNS1_3repE0EEENS1_38merge_mergepath_config_static_selectorELNS0_4arch9wavefront6targetE0EEEvSF_,@function
_ZN7rocprim17ROCPRIM_400000_NS6detail17trampoline_kernelINS0_14default_configENS1_38merge_sort_block_merge_config_selectorIlNS0_10empty_typeEEEZZNS1_27merge_sort_block_merge_implIS3_PlPS5_jNS1_19radix_merge_compareILb0ELb0ElNS0_19identity_decomposerEEEEE10hipError_tT0_T1_T2_jT3_P12ihipStream_tbPNSt15iterator_traitsISE_E10value_typeEPNSK_ISF_E10value_typeEPSG_NS1_7vsmem_tEENKUlT_SE_SF_SG_E_clIS8_S8_S9_S9_EESD_ST_SE_SF_SG_EUlST_E0_NS1_11comp_targetILNS1_3genE2ELNS1_11target_archE906ELNS1_3gpuE6ELNS1_3repE0EEENS1_38merge_mergepath_config_static_selectorELNS0_4arch9wavefront6targetE0EEEvSF_: ; @_ZN7rocprim17ROCPRIM_400000_NS6detail17trampoline_kernelINS0_14default_configENS1_38merge_sort_block_merge_config_selectorIlNS0_10empty_typeEEEZZNS1_27merge_sort_block_merge_implIS3_PlPS5_jNS1_19radix_merge_compareILb0ELb0ElNS0_19identity_decomposerEEEEE10hipError_tT0_T1_T2_jT3_P12ihipStream_tbPNSt15iterator_traitsISE_E10value_typeEPNSK_ISF_E10value_typeEPSG_NS1_7vsmem_tEENKUlT_SE_SF_SG_E_clIS8_S8_S9_S9_EESD_ST_SE_SF_SG_EUlST_E0_NS1_11comp_targetILNS1_3genE2ELNS1_11target_archE906ELNS1_3gpuE6ELNS1_3repE0EEENS1_38merge_mergepath_config_static_selectorELNS0_4arch9wavefront6targetE0EEEvSF_
; %bb.0:
	.section	.rodata,"a",@progbits
	.p2align	6, 0x0
	.amdhsa_kernel _ZN7rocprim17ROCPRIM_400000_NS6detail17trampoline_kernelINS0_14default_configENS1_38merge_sort_block_merge_config_selectorIlNS0_10empty_typeEEEZZNS1_27merge_sort_block_merge_implIS3_PlPS5_jNS1_19radix_merge_compareILb0ELb0ElNS0_19identity_decomposerEEEEE10hipError_tT0_T1_T2_jT3_P12ihipStream_tbPNSt15iterator_traitsISE_E10value_typeEPNSK_ISF_E10value_typeEPSG_NS1_7vsmem_tEENKUlT_SE_SF_SG_E_clIS8_S8_S9_S9_EESD_ST_SE_SF_SG_EUlST_E0_NS1_11comp_targetILNS1_3genE2ELNS1_11target_archE906ELNS1_3gpuE6ELNS1_3repE0EEENS1_38merge_mergepath_config_static_selectorELNS0_4arch9wavefront6targetE0EEEvSF_
		.amdhsa_group_segment_fixed_size 0
		.amdhsa_private_segment_fixed_size 0
		.amdhsa_kernarg_size 64
		.amdhsa_user_sgpr_count 2
		.amdhsa_user_sgpr_dispatch_ptr 0
		.amdhsa_user_sgpr_queue_ptr 0
		.amdhsa_user_sgpr_kernarg_segment_ptr 1
		.amdhsa_user_sgpr_dispatch_id 0
		.amdhsa_user_sgpr_kernarg_preload_length 0
		.amdhsa_user_sgpr_kernarg_preload_offset 0
		.amdhsa_user_sgpr_private_segment_size 0
		.amdhsa_wavefront_size32 1
		.amdhsa_uses_dynamic_stack 0
		.amdhsa_enable_private_segment 0
		.amdhsa_system_sgpr_workgroup_id_x 1
		.amdhsa_system_sgpr_workgroup_id_y 0
		.amdhsa_system_sgpr_workgroup_id_z 0
		.amdhsa_system_sgpr_workgroup_info 0
		.amdhsa_system_vgpr_workitem_id 0
		.amdhsa_next_free_vgpr 1
		.amdhsa_next_free_sgpr 1
		.amdhsa_named_barrier_count 0
		.amdhsa_reserve_vcc 0
		.amdhsa_float_round_mode_32 0
		.amdhsa_float_round_mode_16_64 0
		.amdhsa_float_denorm_mode_32 3
		.amdhsa_float_denorm_mode_16_64 3
		.amdhsa_fp16_overflow 0
		.amdhsa_memory_ordered 1
		.amdhsa_forward_progress 1
		.amdhsa_inst_pref_size 0
		.amdhsa_round_robin_scheduling 0
		.amdhsa_exception_fp_ieee_invalid_op 0
		.amdhsa_exception_fp_denorm_src 0
		.amdhsa_exception_fp_ieee_div_zero 0
		.amdhsa_exception_fp_ieee_overflow 0
		.amdhsa_exception_fp_ieee_underflow 0
		.amdhsa_exception_fp_ieee_inexact 0
		.amdhsa_exception_int_div_zero 0
	.end_amdhsa_kernel
	.section	.text._ZN7rocprim17ROCPRIM_400000_NS6detail17trampoline_kernelINS0_14default_configENS1_38merge_sort_block_merge_config_selectorIlNS0_10empty_typeEEEZZNS1_27merge_sort_block_merge_implIS3_PlPS5_jNS1_19radix_merge_compareILb0ELb0ElNS0_19identity_decomposerEEEEE10hipError_tT0_T1_T2_jT3_P12ihipStream_tbPNSt15iterator_traitsISE_E10value_typeEPNSK_ISF_E10value_typeEPSG_NS1_7vsmem_tEENKUlT_SE_SF_SG_E_clIS8_S8_S9_S9_EESD_ST_SE_SF_SG_EUlST_E0_NS1_11comp_targetILNS1_3genE2ELNS1_11target_archE906ELNS1_3gpuE6ELNS1_3repE0EEENS1_38merge_mergepath_config_static_selectorELNS0_4arch9wavefront6targetE0EEEvSF_,"axG",@progbits,_ZN7rocprim17ROCPRIM_400000_NS6detail17trampoline_kernelINS0_14default_configENS1_38merge_sort_block_merge_config_selectorIlNS0_10empty_typeEEEZZNS1_27merge_sort_block_merge_implIS3_PlPS5_jNS1_19radix_merge_compareILb0ELb0ElNS0_19identity_decomposerEEEEE10hipError_tT0_T1_T2_jT3_P12ihipStream_tbPNSt15iterator_traitsISE_E10value_typeEPNSK_ISF_E10value_typeEPSG_NS1_7vsmem_tEENKUlT_SE_SF_SG_E_clIS8_S8_S9_S9_EESD_ST_SE_SF_SG_EUlST_E0_NS1_11comp_targetILNS1_3genE2ELNS1_11target_archE906ELNS1_3gpuE6ELNS1_3repE0EEENS1_38merge_mergepath_config_static_selectorELNS0_4arch9wavefront6targetE0EEEvSF_,comdat
.Lfunc_end1154:
	.size	_ZN7rocprim17ROCPRIM_400000_NS6detail17trampoline_kernelINS0_14default_configENS1_38merge_sort_block_merge_config_selectorIlNS0_10empty_typeEEEZZNS1_27merge_sort_block_merge_implIS3_PlPS5_jNS1_19radix_merge_compareILb0ELb0ElNS0_19identity_decomposerEEEEE10hipError_tT0_T1_T2_jT3_P12ihipStream_tbPNSt15iterator_traitsISE_E10value_typeEPNSK_ISF_E10value_typeEPSG_NS1_7vsmem_tEENKUlT_SE_SF_SG_E_clIS8_S8_S9_S9_EESD_ST_SE_SF_SG_EUlST_E0_NS1_11comp_targetILNS1_3genE2ELNS1_11target_archE906ELNS1_3gpuE6ELNS1_3repE0EEENS1_38merge_mergepath_config_static_selectorELNS0_4arch9wavefront6targetE0EEEvSF_, .Lfunc_end1154-_ZN7rocprim17ROCPRIM_400000_NS6detail17trampoline_kernelINS0_14default_configENS1_38merge_sort_block_merge_config_selectorIlNS0_10empty_typeEEEZZNS1_27merge_sort_block_merge_implIS3_PlPS5_jNS1_19radix_merge_compareILb0ELb0ElNS0_19identity_decomposerEEEEE10hipError_tT0_T1_T2_jT3_P12ihipStream_tbPNSt15iterator_traitsISE_E10value_typeEPNSK_ISF_E10value_typeEPSG_NS1_7vsmem_tEENKUlT_SE_SF_SG_E_clIS8_S8_S9_S9_EESD_ST_SE_SF_SG_EUlST_E0_NS1_11comp_targetILNS1_3genE2ELNS1_11target_archE906ELNS1_3gpuE6ELNS1_3repE0EEENS1_38merge_mergepath_config_static_selectorELNS0_4arch9wavefront6targetE0EEEvSF_
                                        ; -- End function
	.set _ZN7rocprim17ROCPRIM_400000_NS6detail17trampoline_kernelINS0_14default_configENS1_38merge_sort_block_merge_config_selectorIlNS0_10empty_typeEEEZZNS1_27merge_sort_block_merge_implIS3_PlPS5_jNS1_19radix_merge_compareILb0ELb0ElNS0_19identity_decomposerEEEEE10hipError_tT0_T1_T2_jT3_P12ihipStream_tbPNSt15iterator_traitsISE_E10value_typeEPNSK_ISF_E10value_typeEPSG_NS1_7vsmem_tEENKUlT_SE_SF_SG_E_clIS8_S8_S9_S9_EESD_ST_SE_SF_SG_EUlST_E0_NS1_11comp_targetILNS1_3genE2ELNS1_11target_archE906ELNS1_3gpuE6ELNS1_3repE0EEENS1_38merge_mergepath_config_static_selectorELNS0_4arch9wavefront6targetE0EEEvSF_.num_vgpr, 0
	.set _ZN7rocprim17ROCPRIM_400000_NS6detail17trampoline_kernelINS0_14default_configENS1_38merge_sort_block_merge_config_selectorIlNS0_10empty_typeEEEZZNS1_27merge_sort_block_merge_implIS3_PlPS5_jNS1_19radix_merge_compareILb0ELb0ElNS0_19identity_decomposerEEEEE10hipError_tT0_T1_T2_jT3_P12ihipStream_tbPNSt15iterator_traitsISE_E10value_typeEPNSK_ISF_E10value_typeEPSG_NS1_7vsmem_tEENKUlT_SE_SF_SG_E_clIS8_S8_S9_S9_EESD_ST_SE_SF_SG_EUlST_E0_NS1_11comp_targetILNS1_3genE2ELNS1_11target_archE906ELNS1_3gpuE6ELNS1_3repE0EEENS1_38merge_mergepath_config_static_selectorELNS0_4arch9wavefront6targetE0EEEvSF_.num_agpr, 0
	.set _ZN7rocprim17ROCPRIM_400000_NS6detail17trampoline_kernelINS0_14default_configENS1_38merge_sort_block_merge_config_selectorIlNS0_10empty_typeEEEZZNS1_27merge_sort_block_merge_implIS3_PlPS5_jNS1_19radix_merge_compareILb0ELb0ElNS0_19identity_decomposerEEEEE10hipError_tT0_T1_T2_jT3_P12ihipStream_tbPNSt15iterator_traitsISE_E10value_typeEPNSK_ISF_E10value_typeEPSG_NS1_7vsmem_tEENKUlT_SE_SF_SG_E_clIS8_S8_S9_S9_EESD_ST_SE_SF_SG_EUlST_E0_NS1_11comp_targetILNS1_3genE2ELNS1_11target_archE906ELNS1_3gpuE6ELNS1_3repE0EEENS1_38merge_mergepath_config_static_selectorELNS0_4arch9wavefront6targetE0EEEvSF_.numbered_sgpr, 0
	.set _ZN7rocprim17ROCPRIM_400000_NS6detail17trampoline_kernelINS0_14default_configENS1_38merge_sort_block_merge_config_selectorIlNS0_10empty_typeEEEZZNS1_27merge_sort_block_merge_implIS3_PlPS5_jNS1_19radix_merge_compareILb0ELb0ElNS0_19identity_decomposerEEEEE10hipError_tT0_T1_T2_jT3_P12ihipStream_tbPNSt15iterator_traitsISE_E10value_typeEPNSK_ISF_E10value_typeEPSG_NS1_7vsmem_tEENKUlT_SE_SF_SG_E_clIS8_S8_S9_S9_EESD_ST_SE_SF_SG_EUlST_E0_NS1_11comp_targetILNS1_3genE2ELNS1_11target_archE906ELNS1_3gpuE6ELNS1_3repE0EEENS1_38merge_mergepath_config_static_selectorELNS0_4arch9wavefront6targetE0EEEvSF_.num_named_barrier, 0
	.set _ZN7rocprim17ROCPRIM_400000_NS6detail17trampoline_kernelINS0_14default_configENS1_38merge_sort_block_merge_config_selectorIlNS0_10empty_typeEEEZZNS1_27merge_sort_block_merge_implIS3_PlPS5_jNS1_19radix_merge_compareILb0ELb0ElNS0_19identity_decomposerEEEEE10hipError_tT0_T1_T2_jT3_P12ihipStream_tbPNSt15iterator_traitsISE_E10value_typeEPNSK_ISF_E10value_typeEPSG_NS1_7vsmem_tEENKUlT_SE_SF_SG_E_clIS8_S8_S9_S9_EESD_ST_SE_SF_SG_EUlST_E0_NS1_11comp_targetILNS1_3genE2ELNS1_11target_archE906ELNS1_3gpuE6ELNS1_3repE0EEENS1_38merge_mergepath_config_static_selectorELNS0_4arch9wavefront6targetE0EEEvSF_.private_seg_size, 0
	.set _ZN7rocprim17ROCPRIM_400000_NS6detail17trampoline_kernelINS0_14default_configENS1_38merge_sort_block_merge_config_selectorIlNS0_10empty_typeEEEZZNS1_27merge_sort_block_merge_implIS3_PlPS5_jNS1_19radix_merge_compareILb0ELb0ElNS0_19identity_decomposerEEEEE10hipError_tT0_T1_T2_jT3_P12ihipStream_tbPNSt15iterator_traitsISE_E10value_typeEPNSK_ISF_E10value_typeEPSG_NS1_7vsmem_tEENKUlT_SE_SF_SG_E_clIS8_S8_S9_S9_EESD_ST_SE_SF_SG_EUlST_E0_NS1_11comp_targetILNS1_3genE2ELNS1_11target_archE906ELNS1_3gpuE6ELNS1_3repE0EEENS1_38merge_mergepath_config_static_selectorELNS0_4arch9wavefront6targetE0EEEvSF_.uses_vcc, 0
	.set _ZN7rocprim17ROCPRIM_400000_NS6detail17trampoline_kernelINS0_14default_configENS1_38merge_sort_block_merge_config_selectorIlNS0_10empty_typeEEEZZNS1_27merge_sort_block_merge_implIS3_PlPS5_jNS1_19radix_merge_compareILb0ELb0ElNS0_19identity_decomposerEEEEE10hipError_tT0_T1_T2_jT3_P12ihipStream_tbPNSt15iterator_traitsISE_E10value_typeEPNSK_ISF_E10value_typeEPSG_NS1_7vsmem_tEENKUlT_SE_SF_SG_E_clIS8_S8_S9_S9_EESD_ST_SE_SF_SG_EUlST_E0_NS1_11comp_targetILNS1_3genE2ELNS1_11target_archE906ELNS1_3gpuE6ELNS1_3repE0EEENS1_38merge_mergepath_config_static_selectorELNS0_4arch9wavefront6targetE0EEEvSF_.uses_flat_scratch, 0
	.set _ZN7rocprim17ROCPRIM_400000_NS6detail17trampoline_kernelINS0_14default_configENS1_38merge_sort_block_merge_config_selectorIlNS0_10empty_typeEEEZZNS1_27merge_sort_block_merge_implIS3_PlPS5_jNS1_19radix_merge_compareILb0ELb0ElNS0_19identity_decomposerEEEEE10hipError_tT0_T1_T2_jT3_P12ihipStream_tbPNSt15iterator_traitsISE_E10value_typeEPNSK_ISF_E10value_typeEPSG_NS1_7vsmem_tEENKUlT_SE_SF_SG_E_clIS8_S8_S9_S9_EESD_ST_SE_SF_SG_EUlST_E0_NS1_11comp_targetILNS1_3genE2ELNS1_11target_archE906ELNS1_3gpuE6ELNS1_3repE0EEENS1_38merge_mergepath_config_static_selectorELNS0_4arch9wavefront6targetE0EEEvSF_.has_dyn_sized_stack, 0
	.set _ZN7rocprim17ROCPRIM_400000_NS6detail17trampoline_kernelINS0_14default_configENS1_38merge_sort_block_merge_config_selectorIlNS0_10empty_typeEEEZZNS1_27merge_sort_block_merge_implIS3_PlPS5_jNS1_19radix_merge_compareILb0ELb0ElNS0_19identity_decomposerEEEEE10hipError_tT0_T1_T2_jT3_P12ihipStream_tbPNSt15iterator_traitsISE_E10value_typeEPNSK_ISF_E10value_typeEPSG_NS1_7vsmem_tEENKUlT_SE_SF_SG_E_clIS8_S8_S9_S9_EESD_ST_SE_SF_SG_EUlST_E0_NS1_11comp_targetILNS1_3genE2ELNS1_11target_archE906ELNS1_3gpuE6ELNS1_3repE0EEENS1_38merge_mergepath_config_static_selectorELNS0_4arch9wavefront6targetE0EEEvSF_.has_recursion, 0
	.set _ZN7rocprim17ROCPRIM_400000_NS6detail17trampoline_kernelINS0_14default_configENS1_38merge_sort_block_merge_config_selectorIlNS0_10empty_typeEEEZZNS1_27merge_sort_block_merge_implIS3_PlPS5_jNS1_19radix_merge_compareILb0ELb0ElNS0_19identity_decomposerEEEEE10hipError_tT0_T1_T2_jT3_P12ihipStream_tbPNSt15iterator_traitsISE_E10value_typeEPNSK_ISF_E10value_typeEPSG_NS1_7vsmem_tEENKUlT_SE_SF_SG_E_clIS8_S8_S9_S9_EESD_ST_SE_SF_SG_EUlST_E0_NS1_11comp_targetILNS1_3genE2ELNS1_11target_archE906ELNS1_3gpuE6ELNS1_3repE0EEENS1_38merge_mergepath_config_static_selectorELNS0_4arch9wavefront6targetE0EEEvSF_.has_indirect_call, 0
	.section	.AMDGPU.csdata,"",@progbits
; Kernel info:
; codeLenInByte = 0
; TotalNumSgprs: 0
; NumVgprs: 0
; ScratchSize: 0
; MemoryBound: 0
; FloatMode: 240
; IeeeMode: 1
; LDSByteSize: 0 bytes/workgroup (compile time only)
; SGPRBlocks: 0
; VGPRBlocks: 0
; NumSGPRsForWavesPerEU: 1
; NumVGPRsForWavesPerEU: 1
; NamedBarCnt: 0
; Occupancy: 16
; WaveLimiterHint : 0
; COMPUTE_PGM_RSRC2:SCRATCH_EN: 0
; COMPUTE_PGM_RSRC2:USER_SGPR: 2
; COMPUTE_PGM_RSRC2:TRAP_HANDLER: 0
; COMPUTE_PGM_RSRC2:TGID_X_EN: 1
; COMPUTE_PGM_RSRC2:TGID_Y_EN: 0
; COMPUTE_PGM_RSRC2:TGID_Z_EN: 0
; COMPUTE_PGM_RSRC2:TIDIG_COMP_CNT: 0
	.section	.text._ZN7rocprim17ROCPRIM_400000_NS6detail17trampoline_kernelINS0_14default_configENS1_38merge_sort_block_merge_config_selectorIlNS0_10empty_typeEEEZZNS1_27merge_sort_block_merge_implIS3_PlPS5_jNS1_19radix_merge_compareILb0ELb0ElNS0_19identity_decomposerEEEEE10hipError_tT0_T1_T2_jT3_P12ihipStream_tbPNSt15iterator_traitsISE_E10value_typeEPNSK_ISF_E10value_typeEPSG_NS1_7vsmem_tEENKUlT_SE_SF_SG_E_clIS8_S8_S9_S9_EESD_ST_SE_SF_SG_EUlST_E0_NS1_11comp_targetILNS1_3genE9ELNS1_11target_archE1100ELNS1_3gpuE3ELNS1_3repE0EEENS1_38merge_mergepath_config_static_selectorELNS0_4arch9wavefront6targetE0EEEvSF_,"axG",@progbits,_ZN7rocprim17ROCPRIM_400000_NS6detail17trampoline_kernelINS0_14default_configENS1_38merge_sort_block_merge_config_selectorIlNS0_10empty_typeEEEZZNS1_27merge_sort_block_merge_implIS3_PlPS5_jNS1_19radix_merge_compareILb0ELb0ElNS0_19identity_decomposerEEEEE10hipError_tT0_T1_T2_jT3_P12ihipStream_tbPNSt15iterator_traitsISE_E10value_typeEPNSK_ISF_E10value_typeEPSG_NS1_7vsmem_tEENKUlT_SE_SF_SG_E_clIS8_S8_S9_S9_EESD_ST_SE_SF_SG_EUlST_E0_NS1_11comp_targetILNS1_3genE9ELNS1_11target_archE1100ELNS1_3gpuE3ELNS1_3repE0EEENS1_38merge_mergepath_config_static_selectorELNS0_4arch9wavefront6targetE0EEEvSF_,comdat
	.protected	_ZN7rocprim17ROCPRIM_400000_NS6detail17trampoline_kernelINS0_14default_configENS1_38merge_sort_block_merge_config_selectorIlNS0_10empty_typeEEEZZNS1_27merge_sort_block_merge_implIS3_PlPS5_jNS1_19radix_merge_compareILb0ELb0ElNS0_19identity_decomposerEEEEE10hipError_tT0_T1_T2_jT3_P12ihipStream_tbPNSt15iterator_traitsISE_E10value_typeEPNSK_ISF_E10value_typeEPSG_NS1_7vsmem_tEENKUlT_SE_SF_SG_E_clIS8_S8_S9_S9_EESD_ST_SE_SF_SG_EUlST_E0_NS1_11comp_targetILNS1_3genE9ELNS1_11target_archE1100ELNS1_3gpuE3ELNS1_3repE0EEENS1_38merge_mergepath_config_static_selectorELNS0_4arch9wavefront6targetE0EEEvSF_ ; -- Begin function _ZN7rocprim17ROCPRIM_400000_NS6detail17trampoline_kernelINS0_14default_configENS1_38merge_sort_block_merge_config_selectorIlNS0_10empty_typeEEEZZNS1_27merge_sort_block_merge_implIS3_PlPS5_jNS1_19radix_merge_compareILb0ELb0ElNS0_19identity_decomposerEEEEE10hipError_tT0_T1_T2_jT3_P12ihipStream_tbPNSt15iterator_traitsISE_E10value_typeEPNSK_ISF_E10value_typeEPSG_NS1_7vsmem_tEENKUlT_SE_SF_SG_E_clIS8_S8_S9_S9_EESD_ST_SE_SF_SG_EUlST_E0_NS1_11comp_targetILNS1_3genE9ELNS1_11target_archE1100ELNS1_3gpuE3ELNS1_3repE0EEENS1_38merge_mergepath_config_static_selectorELNS0_4arch9wavefront6targetE0EEEvSF_
	.globl	_ZN7rocprim17ROCPRIM_400000_NS6detail17trampoline_kernelINS0_14default_configENS1_38merge_sort_block_merge_config_selectorIlNS0_10empty_typeEEEZZNS1_27merge_sort_block_merge_implIS3_PlPS5_jNS1_19radix_merge_compareILb0ELb0ElNS0_19identity_decomposerEEEEE10hipError_tT0_T1_T2_jT3_P12ihipStream_tbPNSt15iterator_traitsISE_E10value_typeEPNSK_ISF_E10value_typeEPSG_NS1_7vsmem_tEENKUlT_SE_SF_SG_E_clIS8_S8_S9_S9_EESD_ST_SE_SF_SG_EUlST_E0_NS1_11comp_targetILNS1_3genE9ELNS1_11target_archE1100ELNS1_3gpuE3ELNS1_3repE0EEENS1_38merge_mergepath_config_static_selectorELNS0_4arch9wavefront6targetE0EEEvSF_
	.p2align	8
	.type	_ZN7rocprim17ROCPRIM_400000_NS6detail17trampoline_kernelINS0_14default_configENS1_38merge_sort_block_merge_config_selectorIlNS0_10empty_typeEEEZZNS1_27merge_sort_block_merge_implIS3_PlPS5_jNS1_19radix_merge_compareILb0ELb0ElNS0_19identity_decomposerEEEEE10hipError_tT0_T1_T2_jT3_P12ihipStream_tbPNSt15iterator_traitsISE_E10value_typeEPNSK_ISF_E10value_typeEPSG_NS1_7vsmem_tEENKUlT_SE_SF_SG_E_clIS8_S8_S9_S9_EESD_ST_SE_SF_SG_EUlST_E0_NS1_11comp_targetILNS1_3genE9ELNS1_11target_archE1100ELNS1_3gpuE3ELNS1_3repE0EEENS1_38merge_mergepath_config_static_selectorELNS0_4arch9wavefront6targetE0EEEvSF_,@function
_ZN7rocprim17ROCPRIM_400000_NS6detail17trampoline_kernelINS0_14default_configENS1_38merge_sort_block_merge_config_selectorIlNS0_10empty_typeEEEZZNS1_27merge_sort_block_merge_implIS3_PlPS5_jNS1_19radix_merge_compareILb0ELb0ElNS0_19identity_decomposerEEEEE10hipError_tT0_T1_T2_jT3_P12ihipStream_tbPNSt15iterator_traitsISE_E10value_typeEPNSK_ISF_E10value_typeEPSG_NS1_7vsmem_tEENKUlT_SE_SF_SG_E_clIS8_S8_S9_S9_EESD_ST_SE_SF_SG_EUlST_E0_NS1_11comp_targetILNS1_3genE9ELNS1_11target_archE1100ELNS1_3gpuE3ELNS1_3repE0EEENS1_38merge_mergepath_config_static_selectorELNS0_4arch9wavefront6targetE0EEEvSF_: ; @_ZN7rocprim17ROCPRIM_400000_NS6detail17trampoline_kernelINS0_14default_configENS1_38merge_sort_block_merge_config_selectorIlNS0_10empty_typeEEEZZNS1_27merge_sort_block_merge_implIS3_PlPS5_jNS1_19radix_merge_compareILb0ELb0ElNS0_19identity_decomposerEEEEE10hipError_tT0_T1_T2_jT3_P12ihipStream_tbPNSt15iterator_traitsISE_E10value_typeEPNSK_ISF_E10value_typeEPSG_NS1_7vsmem_tEENKUlT_SE_SF_SG_E_clIS8_S8_S9_S9_EESD_ST_SE_SF_SG_EUlST_E0_NS1_11comp_targetILNS1_3genE9ELNS1_11target_archE1100ELNS1_3gpuE3ELNS1_3repE0EEENS1_38merge_mergepath_config_static_selectorELNS0_4arch9wavefront6targetE0EEEvSF_
; %bb.0:
	.section	.rodata,"a",@progbits
	.p2align	6, 0x0
	.amdhsa_kernel _ZN7rocprim17ROCPRIM_400000_NS6detail17trampoline_kernelINS0_14default_configENS1_38merge_sort_block_merge_config_selectorIlNS0_10empty_typeEEEZZNS1_27merge_sort_block_merge_implIS3_PlPS5_jNS1_19radix_merge_compareILb0ELb0ElNS0_19identity_decomposerEEEEE10hipError_tT0_T1_T2_jT3_P12ihipStream_tbPNSt15iterator_traitsISE_E10value_typeEPNSK_ISF_E10value_typeEPSG_NS1_7vsmem_tEENKUlT_SE_SF_SG_E_clIS8_S8_S9_S9_EESD_ST_SE_SF_SG_EUlST_E0_NS1_11comp_targetILNS1_3genE9ELNS1_11target_archE1100ELNS1_3gpuE3ELNS1_3repE0EEENS1_38merge_mergepath_config_static_selectorELNS0_4arch9wavefront6targetE0EEEvSF_
		.amdhsa_group_segment_fixed_size 0
		.amdhsa_private_segment_fixed_size 0
		.amdhsa_kernarg_size 64
		.amdhsa_user_sgpr_count 2
		.amdhsa_user_sgpr_dispatch_ptr 0
		.amdhsa_user_sgpr_queue_ptr 0
		.amdhsa_user_sgpr_kernarg_segment_ptr 1
		.amdhsa_user_sgpr_dispatch_id 0
		.amdhsa_user_sgpr_kernarg_preload_length 0
		.amdhsa_user_sgpr_kernarg_preload_offset 0
		.amdhsa_user_sgpr_private_segment_size 0
		.amdhsa_wavefront_size32 1
		.amdhsa_uses_dynamic_stack 0
		.amdhsa_enable_private_segment 0
		.amdhsa_system_sgpr_workgroup_id_x 1
		.amdhsa_system_sgpr_workgroup_id_y 0
		.amdhsa_system_sgpr_workgroup_id_z 0
		.amdhsa_system_sgpr_workgroup_info 0
		.amdhsa_system_vgpr_workitem_id 0
		.amdhsa_next_free_vgpr 1
		.amdhsa_next_free_sgpr 1
		.amdhsa_named_barrier_count 0
		.amdhsa_reserve_vcc 0
		.amdhsa_float_round_mode_32 0
		.amdhsa_float_round_mode_16_64 0
		.amdhsa_float_denorm_mode_32 3
		.amdhsa_float_denorm_mode_16_64 3
		.amdhsa_fp16_overflow 0
		.amdhsa_memory_ordered 1
		.amdhsa_forward_progress 1
		.amdhsa_inst_pref_size 0
		.amdhsa_round_robin_scheduling 0
		.amdhsa_exception_fp_ieee_invalid_op 0
		.amdhsa_exception_fp_denorm_src 0
		.amdhsa_exception_fp_ieee_div_zero 0
		.amdhsa_exception_fp_ieee_overflow 0
		.amdhsa_exception_fp_ieee_underflow 0
		.amdhsa_exception_fp_ieee_inexact 0
		.amdhsa_exception_int_div_zero 0
	.end_amdhsa_kernel
	.section	.text._ZN7rocprim17ROCPRIM_400000_NS6detail17trampoline_kernelINS0_14default_configENS1_38merge_sort_block_merge_config_selectorIlNS0_10empty_typeEEEZZNS1_27merge_sort_block_merge_implIS3_PlPS5_jNS1_19radix_merge_compareILb0ELb0ElNS0_19identity_decomposerEEEEE10hipError_tT0_T1_T2_jT3_P12ihipStream_tbPNSt15iterator_traitsISE_E10value_typeEPNSK_ISF_E10value_typeEPSG_NS1_7vsmem_tEENKUlT_SE_SF_SG_E_clIS8_S8_S9_S9_EESD_ST_SE_SF_SG_EUlST_E0_NS1_11comp_targetILNS1_3genE9ELNS1_11target_archE1100ELNS1_3gpuE3ELNS1_3repE0EEENS1_38merge_mergepath_config_static_selectorELNS0_4arch9wavefront6targetE0EEEvSF_,"axG",@progbits,_ZN7rocprim17ROCPRIM_400000_NS6detail17trampoline_kernelINS0_14default_configENS1_38merge_sort_block_merge_config_selectorIlNS0_10empty_typeEEEZZNS1_27merge_sort_block_merge_implIS3_PlPS5_jNS1_19radix_merge_compareILb0ELb0ElNS0_19identity_decomposerEEEEE10hipError_tT0_T1_T2_jT3_P12ihipStream_tbPNSt15iterator_traitsISE_E10value_typeEPNSK_ISF_E10value_typeEPSG_NS1_7vsmem_tEENKUlT_SE_SF_SG_E_clIS8_S8_S9_S9_EESD_ST_SE_SF_SG_EUlST_E0_NS1_11comp_targetILNS1_3genE9ELNS1_11target_archE1100ELNS1_3gpuE3ELNS1_3repE0EEENS1_38merge_mergepath_config_static_selectorELNS0_4arch9wavefront6targetE0EEEvSF_,comdat
.Lfunc_end1155:
	.size	_ZN7rocprim17ROCPRIM_400000_NS6detail17trampoline_kernelINS0_14default_configENS1_38merge_sort_block_merge_config_selectorIlNS0_10empty_typeEEEZZNS1_27merge_sort_block_merge_implIS3_PlPS5_jNS1_19radix_merge_compareILb0ELb0ElNS0_19identity_decomposerEEEEE10hipError_tT0_T1_T2_jT3_P12ihipStream_tbPNSt15iterator_traitsISE_E10value_typeEPNSK_ISF_E10value_typeEPSG_NS1_7vsmem_tEENKUlT_SE_SF_SG_E_clIS8_S8_S9_S9_EESD_ST_SE_SF_SG_EUlST_E0_NS1_11comp_targetILNS1_3genE9ELNS1_11target_archE1100ELNS1_3gpuE3ELNS1_3repE0EEENS1_38merge_mergepath_config_static_selectorELNS0_4arch9wavefront6targetE0EEEvSF_, .Lfunc_end1155-_ZN7rocprim17ROCPRIM_400000_NS6detail17trampoline_kernelINS0_14default_configENS1_38merge_sort_block_merge_config_selectorIlNS0_10empty_typeEEEZZNS1_27merge_sort_block_merge_implIS3_PlPS5_jNS1_19radix_merge_compareILb0ELb0ElNS0_19identity_decomposerEEEEE10hipError_tT0_T1_T2_jT3_P12ihipStream_tbPNSt15iterator_traitsISE_E10value_typeEPNSK_ISF_E10value_typeEPSG_NS1_7vsmem_tEENKUlT_SE_SF_SG_E_clIS8_S8_S9_S9_EESD_ST_SE_SF_SG_EUlST_E0_NS1_11comp_targetILNS1_3genE9ELNS1_11target_archE1100ELNS1_3gpuE3ELNS1_3repE0EEENS1_38merge_mergepath_config_static_selectorELNS0_4arch9wavefront6targetE0EEEvSF_
                                        ; -- End function
	.set _ZN7rocprim17ROCPRIM_400000_NS6detail17trampoline_kernelINS0_14default_configENS1_38merge_sort_block_merge_config_selectorIlNS0_10empty_typeEEEZZNS1_27merge_sort_block_merge_implIS3_PlPS5_jNS1_19radix_merge_compareILb0ELb0ElNS0_19identity_decomposerEEEEE10hipError_tT0_T1_T2_jT3_P12ihipStream_tbPNSt15iterator_traitsISE_E10value_typeEPNSK_ISF_E10value_typeEPSG_NS1_7vsmem_tEENKUlT_SE_SF_SG_E_clIS8_S8_S9_S9_EESD_ST_SE_SF_SG_EUlST_E0_NS1_11comp_targetILNS1_3genE9ELNS1_11target_archE1100ELNS1_3gpuE3ELNS1_3repE0EEENS1_38merge_mergepath_config_static_selectorELNS0_4arch9wavefront6targetE0EEEvSF_.num_vgpr, 0
	.set _ZN7rocprim17ROCPRIM_400000_NS6detail17trampoline_kernelINS0_14default_configENS1_38merge_sort_block_merge_config_selectorIlNS0_10empty_typeEEEZZNS1_27merge_sort_block_merge_implIS3_PlPS5_jNS1_19radix_merge_compareILb0ELb0ElNS0_19identity_decomposerEEEEE10hipError_tT0_T1_T2_jT3_P12ihipStream_tbPNSt15iterator_traitsISE_E10value_typeEPNSK_ISF_E10value_typeEPSG_NS1_7vsmem_tEENKUlT_SE_SF_SG_E_clIS8_S8_S9_S9_EESD_ST_SE_SF_SG_EUlST_E0_NS1_11comp_targetILNS1_3genE9ELNS1_11target_archE1100ELNS1_3gpuE3ELNS1_3repE0EEENS1_38merge_mergepath_config_static_selectorELNS0_4arch9wavefront6targetE0EEEvSF_.num_agpr, 0
	.set _ZN7rocprim17ROCPRIM_400000_NS6detail17trampoline_kernelINS0_14default_configENS1_38merge_sort_block_merge_config_selectorIlNS0_10empty_typeEEEZZNS1_27merge_sort_block_merge_implIS3_PlPS5_jNS1_19radix_merge_compareILb0ELb0ElNS0_19identity_decomposerEEEEE10hipError_tT0_T1_T2_jT3_P12ihipStream_tbPNSt15iterator_traitsISE_E10value_typeEPNSK_ISF_E10value_typeEPSG_NS1_7vsmem_tEENKUlT_SE_SF_SG_E_clIS8_S8_S9_S9_EESD_ST_SE_SF_SG_EUlST_E0_NS1_11comp_targetILNS1_3genE9ELNS1_11target_archE1100ELNS1_3gpuE3ELNS1_3repE0EEENS1_38merge_mergepath_config_static_selectorELNS0_4arch9wavefront6targetE0EEEvSF_.numbered_sgpr, 0
	.set _ZN7rocprim17ROCPRIM_400000_NS6detail17trampoline_kernelINS0_14default_configENS1_38merge_sort_block_merge_config_selectorIlNS0_10empty_typeEEEZZNS1_27merge_sort_block_merge_implIS3_PlPS5_jNS1_19radix_merge_compareILb0ELb0ElNS0_19identity_decomposerEEEEE10hipError_tT0_T1_T2_jT3_P12ihipStream_tbPNSt15iterator_traitsISE_E10value_typeEPNSK_ISF_E10value_typeEPSG_NS1_7vsmem_tEENKUlT_SE_SF_SG_E_clIS8_S8_S9_S9_EESD_ST_SE_SF_SG_EUlST_E0_NS1_11comp_targetILNS1_3genE9ELNS1_11target_archE1100ELNS1_3gpuE3ELNS1_3repE0EEENS1_38merge_mergepath_config_static_selectorELNS0_4arch9wavefront6targetE0EEEvSF_.num_named_barrier, 0
	.set _ZN7rocprim17ROCPRIM_400000_NS6detail17trampoline_kernelINS0_14default_configENS1_38merge_sort_block_merge_config_selectorIlNS0_10empty_typeEEEZZNS1_27merge_sort_block_merge_implIS3_PlPS5_jNS1_19radix_merge_compareILb0ELb0ElNS0_19identity_decomposerEEEEE10hipError_tT0_T1_T2_jT3_P12ihipStream_tbPNSt15iterator_traitsISE_E10value_typeEPNSK_ISF_E10value_typeEPSG_NS1_7vsmem_tEENKUlT_SE_SF_SG_E_clIS8_S8_S9_S9_EESD_ST_SE_SF_SG_EUlST_E0_NS1_11comp_targetILNS1_3genE9ELNS1_11target_archE1100ELNS1_3gpuE3ELNS1_3repE0EEENS1_38merge_mergepath_config_static_selectorELNS0_4arch9wavefront6targetE0EEEvSF_.private_seg_size, 0
	.set _ZN7rocprim17ROCPRIM_400000_NS6detail17trampoline_kernelINS0_14default_configENS1_38merge_sort_block_merge_config_selectorIlNS0_10empty_typeEEEZZNS1_27merge_sort_block_merge_implIS3_PlPS5_jNS1_19radix_merge_compareILb0ELb0ElNS0_19identity_decomposerEEEEE10hipError_tT0_T1_T2_jT3_P12ihipStream_tbPNSt15iterator_traitsISE_E10value_typeEPNSK_ISF_E10value_typeEPSG_NS1_7vsmem_tEENKUlT_SE_SF_SG_E_clIS8_S8_S9_S9_EESD_ST_SE_SF_SG_EUlST_E0_NS1_11comp_targetILNS1_3genE9ELNS1_11target_archE1100ELNS1_3gpuE3ELNS1_3repE0EEENS1_38merge_mergepath_config_static_selectorELNS0_4arch9wavefront6targetE0EEEvSF_.uses_vcc, 0
	.set _ZN7rocprim17ROCPRIM_400000_NS6detail17trampoline_kernelINS0_14default_configENS1_38merge_sort_block_merge_config_selectorIlNS0_10empty_typeEEEZZNS1_27merge_sort_block_merge_implIS3_PlPS5_jNS1_19radix_merge_compareILb0ELb0ElNS0_19identity_decomposerEEEEE10hipError_tT0_T1_T2_jT3_P12ihipStream_tbPNSt15iterator_traitsISE_E10value_typeEPNSK_ISF_E10value_typeEPSG_NS1_7vsmem_tEENKUlT_SE_SF_SG_E_clIS8_S8_S9_S9_EESD_ST_SE_SF_SG_EUlST_E0_NS1_11comp_targetILNS1_3genE9ELNS1_11target_archE1100ELNS1_3gpuE3ELNS1_3repE0EEENS1_38merge_mergepath_config_static_selectorELNS0_4arch9wavefront6targetE0EEEvSF_.uses_flat_scratch, 0
	.set _ZN7rocprim17ROCPRIM_400000_NS6detail17trampoline_kernelINS0_14default_configENS1_38merge_sort_block_merge_config_selectorIlNS0_10empty_typeEEEZZNS1_27merge_sort_block_merge_implIS3_PlPS5_jNS1_19radix_merge_compareILb0ELb0ElNS0_19identity_decomposerEEEEE10hipError_tT0_T1_T2_jT3_P12ihipStream_tbPNSt15iterator_traitsISE_E10value_typeEPNSK_ISF_E10value_typeEPSG_NS1_7vsmem_tEENKUlT_SE_SF_SG_E_clIS8_S8_S9_S9_EESD_ST_SE_SF_SG_EUlST_E0_NS1_11comp_targetILNS1_3genE9ELNS1_11target_archE1100ELNS1_3gpuE3ELNS1_3repE0EEENS1_38merge_mergepath_config_static_selectorELNS0_4arch9wavefront6targetE0EEEvSF_.has_dyn_sized_stack, 0
	.set _ZN7rocprim17ROCPRIM_400000_NS6detail17trampoline_kernelINS0_14default_configENS1_38merge_sort_block_merge_config_selectorIlNS0_10empty_typeEEEZZNS1_27merge_sort_block_merge_implIS3_PlPS5_jNS1_19radix_merge_compareILb0ELb0ElNS0_19identity_decomposerEEEEE10hipError_tT0_T1_T2_jT3_P12ihipStream_tbPNSt15iterator_traitsISE_E10value_typeEPNSK_ISF_E10value_typeEPSG_NS1_7vsmem_tEENKUlT_SE_SF_SG_E_clIS8_S8_S9_S9_EESD_ST_SE_SF_SG_EUlST_E0_NS1_11comp_targetILNS1_3genE9ELNS1_11target_archE1100ELNS1_3gpuE3ELNS1_3repE0EEENS1_38merge_mergepath_config_static_selectorELNS0_4arch9wavefront6targetE0EEEvSF_.has_recursion, 0
	.set _ZN7rocprim17ROCPRIM_400000_NS6detail17trampoline_kernelINS0_14default_configENS1_38merge_sort_block_merge_config_selectorIlNS0_10empty_typeEEEZZNS1_27merge_sort_block_merge_implIS3_PlPS5_jNS1_19radix_merge_compareILb0ELb0ElNS0_19identity_decomposerEEEEE10hipError_tT0_T1_T2_jT3_P12ihipStream_tbPNSt15iterator_traitsISE_E10value_typeEPNSK_ISF_E10value_typeEPSG_NS1_7vsmem_tEENKUlT_SE_SF_SG_E_clIS8_S8_S9_S9_EESD_ST_SE_SF_SG_EUlST_E0_NS1_11comp_targetILNS1_3genE9ELNS1_11target_archE1100ELNS1_3gpuE3ELNS1_3repE0EEENS1_38merge_mergepath_config_static_selectorELNS0_4arch9wavefront6targetE0EEEvSF_.has_indirect_call, 0
	.section	.AMDGPU.csdata,"",@progbits
; Kernel info:
; codeLenInByte = 0
; TotalNumSgprs: 0
; NumVgprs: 0
; ScratchSize: 0
; MemoryBound: 0
; FloatMode: 240
; IeeeMode: 1
; LDSByteSize: 0 bytes/workgroup (compile time only)
; SGPRBlocks: 0
; VGPRBlocks: 0
; NumSGPRsForWavesPerEU: 1
; NumVGPRsForWavesPerEU: 1
; NamedBarCnt: 0
; Occupancy: 16
; WaveLimiterHint : 0
; COMPUTE_PGM_RSRC2:SCRATCH_EN: 0
; COMPUTE_PGM_RSRC2:USER_SGPR: 2
; COMPUTE_PGM_RSRC2:TRAP_HANDLER: 0
; COMPUTE_PGM_RSRC2:TGID_X_EN: 1
; COMPUTE_PGM_RSRC2:TGID_Y_EN: 0
; COMPUTE_PGM_RSRC2:TGID_Z_EN: 0
; COMPUTE_PGM_RSRC2:TIDIG_COMP_CNT: 0
	.section	.text._ZN7rocprim17ROCPRIM_400000_NS6detail17trampoline_kernelINS0_14default_configENS1_38merge_sort_block_merge_config_selectorIlNS0_10empty_typeEEEZZNS1_27merge_sort_block_merge_implIS3_PlPS5_jNS1_19radix_merge_compareILb0ELb0ElNS0_19identity_decomposerEEEEE10hipError_tT0_T1_T2_jT3_P12ihipStream_tbPNSt15iterator_traitsISE_E10value_typeEPNSK_ISF_E10value_typeEPSG_NS1_7vsmem_tEENKUlT_SE_SF_SG_E_clIS8_S8_S9_S9_EESD_ST_SE_SF_SG_EUlST_E0_NS1_11comp_targetILNS1_3genE8ELNS1_11target_archE1030ELNS1_3gpuE2ELNS1_3repE0EEENS1_38merge_mergepath_config_static_selectorELNS0_4arch9wavefront6targetE0EEEvSF_,"axG",@progbits,_ZN7rocprim17ROCPRIM_400000_NS6detail17trampoline_kernelINS0_14default_configENS1_38merge_sort_block_merge_config_selectorIlNS0_10empty_typeEEEZZNS1_27merge_sort_block_merge_implIS3_PlPS5_jNS1_19radix_merge_compareILb0ELb0ElNS0_19identity_decomposerEEEEE10hipError_tT0_T1_T2_jT3_P12ihipStream_tbPNSt15iterator_traitsISE_E10value_typeEPNSK_ISF_E10value_typeEPSG_NS1_7vsmem_tEENKUlT_SE_SF_SG_E_clIS8_S8_S9_S9_EESD_ST_SE_SF_SG_EUlST_E0_NS1_11comp_targetILNS1_3genE8ELNS1_11target_archE1030ELNS1_3gpuE2ELNS1_3repE0EEENS1_38merge_mergepath_config_static_selectorELNS0_4arch9wavefront6targetE0EEEvSF_,comdat
	.protected	_ZN7rocprim17ROCPRIM_400000_NS6detail17trampoline_kernelINS0_14default_configENS1_38merge_sort_block_merge_config_selectorIlNS0_10empty_typeEEEZZNS1_27merge_sort_block_merge_implIS3_PlPS5_jNS1_19radix_merge_compareILb0ELb0ElNS0_19identity_decomposerEEEEE10hipError_tT0_T1_T2_jT3_P12ihipStream_tbPNSt15iterator_traitsISE_E10value_typeEPNSK_ISF_E10value_typeEPSG_NS1_7vsmem_tEENKUlT_SE_SF_SG_E_clIS8_S8_S9_S9_EESD_ST_SE_SF_SG_EUlST_E0_NS1_11comp_targetILNS1_3genE8ELNS1_11target_archE1030ELNS1_3gpuE2ELNS1_3repE0EEENS1_38merge_mergepath_config_static_selectorELNS0_4arch9wavefront6targetE0EEEvSF_ ; -- Begin function _ZN7rocprim17ROCPRIM_400000_NS6detail17trampoline_kernelINS0_14default_configENS1_38merge_sort_block_merge_config_selectorIlNS0_10empty_typeEEEZZNS1_27merge_sort_block_merge_implIS3_PlPS5_jNS1_19radix_merge_compareILb0ELb0ElNS0_19identity_decomposerEEEEE10hipError_tT0_T1_T2_jT3_P12ihipStream_tbPNSt15iterator_traitsISE_E10value_typeEPNSK_ISF_E10value_typeEPSG_NS1_7vsmem_tEENKUlT_SE_SF_SG_E_clIS8_S8_S9_S9_EESD_ST_SE_SF_SG_EUlST_E0_NS1_11comp_targetILNS1_3genE8ELNS1_11target_archE1030ELNS1_3gpuE2ELNS1_3repE0EEENS1_38merge_mergepath_config_static_selectorELNS0_4arch9wavefront6targetE0EEEvSF_
	.globl	_ZN7rocprim17ROCPRIM_400000_NS6detail17trampoline_kernelINS0_14default_configENS1_38merge_sort_block_merge_config_selectorIlNS0_10empty_typeEEEZZNS1_27merge_sort_block_merge_implIS3_PlPS5_jNS1_19radix_merge_compareILb0ELb0ElNS0_19identity_decomposerEEEEE10hipError_tT0_T1_T2_jT3_P12ihipStream_tbPNSt15iterator_traitsISE_E10value_typeEPNSK_ISF_E10value_typeEPSG_NS1_7vsmem_tEENKUlT_SE_SF_SG_E_clIS8_S8_S9_S9_EESD_ST_SE_SF_SG_EUlST_E0_NS1_11comp_targetILNS1_3genE8ELNS1_11target_archE1030ELNS1_3gpuE2ELNS1_3repE0EEENS1_38merge_mergepath_config_static_selectorELNS0_4arch9wavefront6targetE0EEEvSF_
	.p2align	8
	.type	_ZN7rocprim17ROCPRIM_400000_NS6detail17trampoline_kernelINS0_14default_configENS1_38merge_sort_block_merge_config_selectorIlNS0_10empty_typeEEEZZNS1_27merge_sort_block_merge_implIS3_PlPS5_jNS1_19radix_merge_compareILb0ELb0ElNS0_19identity_decomposerEEEEE10hipError_tT0_T1_T2_jT3_P12ihipStream_tbPNSt15iterator_traitsISE_E10value_typeEPNSK_ISF_E10value_typeEPSG_NS1_7vsmem_tEENKUlT_SE_SF_SG_E_clIS8_S8_S9_S9_EESD_ST_SE_SF_SG_EUlST_E0_NS1_11comp_targetILNS1_3genE8ELNS1_11target_archE1030ELNS1_3gpuE2ELNS1_3repE0EEENS1_38merge_mergepath_config_static_selectorELNS0_4arch9wavefront6targetE0EEEvSF_,@function
_ZN7rocprim17ROCPRIM_400000_NS6detail17trampoline_kernelINS0_14default_configENS1_38merge_sort_block_merge_config_selectorIlNS0_10empty_typeEEEZZNS1_27merge_sort_block_merge_implIS3_PlPS5_jNS1_19radix_merge_compareILb0ELb0ElNS0_19identity_decomposerEEEEE10hipError_tT0_T1_T2_jT3_P12ihipStream_tbPNSt15iterator_traitsISE_E10value_typeEPNSK_ISF_E10value_typeEPSG_NS1_7vsmem_tEENKUlT_SE_SF_SG_E_clIS8_S8_S9_S9_EESD_ST_SE_SF_SG_EUlST_E0_NS1_11comp_targetILNS1_3genE8ELNS1_11target_archE1030ELNS1_3gpuE2ELNS1_3repE0EEENS1_38merge_mergepath_config_static_selectorELNS0_4arch9wavefront6targetE0EEEvSF_: ; @_ZN7rocprim17ROCPRIM_400000_NS6detail17trampoline_kernelINS0_14default_configENS1_38merge_sort_block_merge_config_selectorIlNS0_10empty_typeEEEZZNS1_27merge_sort_block_merge_implIS3_PlPS5_jNS1_19radix_merge_compareILb0ELb0ElNS0_19identity_decomposerEEEEE10hipError_tT0_T1_T2_jT3_P12ihipStream_tbPNSt15iterator_traitsISE_E10value_typeEPNSK_ISF_E10value_typeEPSG_NS1_7vsmem_tEENKUlT_SE_SF_SG_E_clIS8_S8_S9_S9_EESD_ST_SE_SF_SG_EUlST_E0_NS1_11comp_targetILNS1_3genE8ELNS1_11target_archE1030ELNS1_3gpuE2ELNS1_3repE0EEENS1_38merge_mergepath_config_static_selectorELNS0_4arch9wavefront6targetE0EEEvSF_
; %bb.0:
	.section	.rodata,"a",@progbits
	.p2align	6, 0x0
	.amdhsa_kernel _ZN7rocprim17ROCPRIM_400000_NS6detail17trampoline_kernelINS0_14default_configENS1_38merge_sort_block_merge_config_selectorIlNS0_10empty_typeEEEZZNS1_27merge_sort_block_merge_implIS3_PlPS5_jNS1_19radix_merge_compareILb0ELb0ElNS0_19identity_decomposerEEEEE10hipError_tT0_T1_T2_jT3_P12ihipStream_tbPNSt15iterator_traitsISE_E10value_typeEPNSK_ISF_E10value_typeEPSG_NS1_7vsmem_tEENKUlT_SE_SF_SG_E_clIS8_S8_S9_S9_EESD_ST_SE_SF_SG_EUlST_E0_NS1_11comp_targetILNS1_3genE8ELNS1_11target_archE1030ELNS1_3gpuE2ELNS1_3repE0EEENS1_38merge_mergepath_config_static_selectorELNS0_4arch9wavefront6targetE0EEEvSF_
		.amdhsa_group_segment_fixed_size 0
		.amdhsa_private_segment_fixed_size 0
		.amdhsa_kernarg_size 64
		.amdhsa_user_sgpr_count 2
		.amdhsa_user_sgpr_dispatch_ptr 0
		.amdhsa_user_sgpr_queue_ptr 0
		.amdhsa_user_sgpr_kernarg_segment_ptr 1
		.amdhsa_user_sgpr_dispatch_id 0
		.amdhsa_user_sgpr_kernarg_preload_length 0
		.amdhsa_user_sgpr_kernarg_preload_offset 0
		.amdhsa_user_sgpr_private_segment_size 0
		.amdhsa_wavefront_size32 1
		.amdhsa_uses_dynamic_stack 0
		.amdhsa_enable_private_segment 0
		.amdhsa_system_sgpr_workgroup_id_x 1
		.amdhsa_system_sgpr_workgroup_id_y 0
		.amdhsa_system_sgpr_workgroup_id_z 0
		.amdhsa_system_sgpr_workgroup_info 0
		.amdhsa_system_vgpr_workitem_id 0
		.amdhsa_next_free_vgpr 1
		.amdhsa_next_free_sgpr 1
		.amdhsa_named_barrier_count 0
		.amdhsa_reserve_vcc 0
		.amdhsa_float_round_mode_32 0
		.amdhsa_float_round_mode_16_64 0
		.amdhsa_float_denorm_mode_32 3
		.amdhsa_float_denorm_mode_16_64 3
		.amdhsa_fp16_overflow 0
		.amdhsa_memory_ordered 1
		.amdhsa_forward_progress 1
		.amdhsa_inst_pref_size 0
		.amdhsa_round_robin_scheduling 0
		.amdhsa_exception_fp_ieee_invalid_op 0
		.amdhsa_exception_fp_denorm_src 0
		.amdhsa_exception_fp_ieee_div_zero 0
		.amdhsa_exception_fp_ieee_overflow 0
		.amdhsa_exception_fp_ieee_underflow 0
		.amdhsa_exception_fp_ieee_inexact 0
		.amdhsa_exception_int_div_zero 0
	.end_amdhsa_kernel
	.section	.text._ZN7rocprim17ROCPRIM_400000_NS6detail17trampoline_kernelINS0_14default_configENS1_38merge_sort_block_merge_config_selectorIlNS0_10empty_typeEEEZZNS1_27merge_sort_block_merge_implIS3_PlPS5_jNS1_19radix_merge_compareILb0ELb0ElNS0_19identity_decomposerEEEEE10hipError_tT0_T1_T2_jT3_P12ihipStream_tbPNSt15iterator_traitsISE_E10value_typeEPNSK_ISF_E10value_typeEPSG_NS1_7vsmem_tEENKUlT_SE_SF_SG_E_clIS8_S8_S9_S9_EESD_ST_SE_SF_SG_EUlST_E0_NS1_11comp_targetILNS1_3genE8ELNS1_11target_archE1030ELNS1_3gpuE2ELNS1_3repE0EEENS1_38merge_mergepath_config_static_selectorELNS0_4arch9wavefront6targetE0EEEvSF_,"axG",@progbits,_ZN7rocprim17ROCPRIM_400000_NS6detail17trampoline_kernelINS0_14default_configENS1_38merge_sort_block_merge_config_selectorIlNS0_10empty_typeEEEZZNS1_27merge_sort_block_merge_implIS3_PlPS5_jNS1_19radix_merge_compareILb0ELb0ElNS0_19identity_decomposerEEEEE10hipError_tT0_T1_T2_jT3_P12ihipStream_tbPNSt15iterator_traitsISE_E10value_typeEPNSK_ISF_E10value_typeEPSG_NS1_7vsmem_tEENKUlT_SE_SF_SG_E_clIS8_S8_S9_S9_EESD_ST_SE_SF_SG_EUlST_E0_NS1_11comp_targetILNS1_3genE8ELNS1_11target_archE1030ELNS1_3gpuE2ELNS1_3repE0EEENS1_38merge_mergepath_config_static_selectorELNS0_4arch9wavefront6targetE0EEEvSF_,comdat
.Lfunc_end1156:
	.size	_ZN7rocprim17ROCPRIM_400000_NS6detail17trampoline_kernelINS0_14default_configENS1_38merge_sort_block_merge_config_selectorIlNS0_10empty_typeEEEZZNS1_27merge_sort_block_merge_implIS3_PlPS5_jNS1_19radix_merge_compareILb0ELb0ElNS0_19identity_decomposerEEEEE10hipError_tT0_T1_T2_jT3_P12ihipStream_tbPNSt15iterator_traitsISE_E10value_typeEPNSK_ISF_E10value_typeEPSG_NS1_7vsmem_tEENKUlT_SE_SF_SG_E_clIS8_S8_S9_S9_EESD_ST_SE_SF_SG_EUlST_E0_NS1_11comp_targetILNS1_3genE8ELNS1_11target_archE1030ELNS1_3gpuE2ELNS1_3repE0EEENS1_38merge_mergepath_config_static_selectorELNS0_4arch9wavefront6targetE0EEEvSF_, .Lfunc_end1156-_ZN7rocprim17ROCPRIM_400000_NS6detail17trampoline_kernelINS0_14default_configENS1_38merge_sort_block_merge_config_selectorIlNS0_10empty_typeEEEZZNS1_27merge_sort_block_merge_implIS3_PlPS5_jNS1_19radix_merge_compareILb0ELb0ElNS0_19identity_decomposerEEEEE10hipError_tT0_T1_T2_jT3_P12ihipStream_tbPNSt15iterator_traitsISE_E10value_typeEPNSK_ISF_E10value_typeEPSG_NS1_7vsmem_tEENKUlT_SE_SF_SG_E_clIS8_S8_S9_S9_EESD_ST_SE_SF_SG_EUlST_E0_NS1_11comp_targetILNS1_3genE8ELNS1_11target_archE1030ELNS1_3gpuE2ELNS1_3repE0EEENS1_38merge_mergepath_config_static_selectorELNS0_4arch9wavefront6targetE0EEEvSF_
                                        ; -- End function
	.set _ZN7rocprim17ROCPRIM_400000_NS6detail17trampoline_kernelINS0_14default_configENS1_38merge_sort_block_merge_config_selectorIlNS0_10empty_typeEEEZZNS1_27merge_sort_block_merge_implIS3_PlPS5_jNS1_19radix_merge_compareILb0ELb0ElNS0_19identity_decomposerEEEEE10hipError_tT0_T1_T2_jT3_P12ihipStream_tbPNSt15iterator_traitsISE_E10value_typeEPNSK_ISF_E10value_typeEPSG_NS1_7vsmem_tEENKUlT_SE_SF_SG_E_clIS8_S8_S9_S9_EESD_ST_SE_SF_SG_EUlST_E0_NS1_11comp_targetILNS1_3genE8ELNS1_11target_archE1030ELNS1_3gpuE2ELNS1_3repE0EEENS1_38merge_mergepath_config_static_selectorELNS0_4arch9wavefront6targetE0EEEvSF_.num_vgpr, 0
	.set _ZN7rocprim17ROCPRIM_400000_NS6detail17trampoline_kernelINS0_14default_configENS1_38merge_sort_block_merge_config_selectorIlNS0_10empty_typeEEEZZNS1_27merge_sort_block_merge_implIS3_PlPS5_jNS1_19radix_merge_compareILb0ELb0ElNS0_19identity_decomposerEEEEE10hipError_tT0_T1_T2_jT3_P12ihipStream_tbPNSt15iterator_traitsISE_E10value_typeEPNSK_ISF_E10value_typeEPSG_NS1_7vsmem_tEENKUlT_SE_SF_SG_E_clIS8_S8_S9_S9_EESD_ST_SE_SF_SG_EUlST_E0_NS1_11comp_targetILNS1_3genE8ELNS1_11target_archE1030ELNS1_3gpuE2ELNS1_3repE0EEENS1_38merge_mergepath_config_static_selectorELNS0_4arch9wavefront6targetE0EEEvSF_.num_agpr, 0
	.set _ZN7rocprim17ROCPRIM_400000_NS6detail17trampoline_kernelINS0_14default_configENS1_38merge_sort_block_merge_config_selectorIlNS0_10empty_typeEEEZZNS1_27merge_sort_block_merge_implIS3_PlPS5_jNS1_19radix_merge_compareILb0ELb0ElNS0_19identity_decomposerEEEEE10hipError_tT0_T1_T2_jT3_P12ihipStream_tbPNSt15iterator_traitsISE_E10value_typeEPNSK_ISF_E10value_typeEPSG_NS1_7vsmem_tEENKUlT_SE_SF_SG_E_clIS8_S8_S9_S9_EESD_ST_SE_SF_SG_EUlST_E0_NS1_11comp_targetILNS1_3genE8ELNS1_11target_archE1030ELNS1_3gpuE2ELNS1_3repE0EEENS1_38merge_mergepath_config_static_selectorELNS0_4arch9wavefront6targetE0EEEvSF_.numbered_sgpr, 0
	.set _ZN7rocprim17ROCPRIM_400000_NS6detail17trampoline_kernelINS0_14default_configENS1_38merge_sort_block_merge_config_selectorIlNS0_10empty_typeEEEZZNS1_27merge_sort_block_merge_implIS3_PlPS5_jNS1_19radix_merge_compareILb0ELb0ElNS0_19identity_decomposerEEEEE10hipError_tT0_T1_T2_jT3_P12ihipStream_tbPNSt15iterator_traitsISE_E10value_typeEPNSK_ISF_E10value_typeEPSG_NS1_7vsmem_tEENKUlT_SE_SF_SG_E_clIS8_S8_S9_S9_EESD_ST_SE_SF_SG_EUlST_E0_NS1_11comp_targetILNS1_3genE8ELNS1_11target_archE1030ELNS1_3gpuE2ELNS1_3repE0EEENS1_38merge_mergepath_config_static_selectorELNS0_4arch9wavefront6targetE0EEEvSF_.num_named_barrier, 0
	.set _ZN7rocprim17ROCPRIM_400000_NS6detail17trampoline_kernelINS0_14default_configENS1_38merge_sort_block_merge_config_selectorIlNS0_10empty_typeEEEZZNS1_27merge_sort_block_merge_implIS3_PlPS5_jNS1_19radix_merge_compareILb0ELb0ElNS0_19identity_decomposerEEEEE10hipError_tT0_T1_T2_jT3_P12ihipStream_tbPNSt15iterator_traitsISE_E10value_typeEPNSK_ISF_E10value_typeEPSG_NS1_7vsmem_tEENKUlT_SE_SF_SG_E_clIS8_S8_S9_S9_EESD_ST_SE_SF_SG_EUlST_E0_NS1_11comp_targetILNS1_3genE8ELNS1_11target_archE1030ELNS1_3gpuE2ELNS1_3repE0EEENS1_38merge_mergepath_config_static_selectorELNS0_4arch9wavefront6targetE0EEEvSF_.private_seg_size, 0
	.set _ZN7rocprim17ROCPRIM_400000_NS6detail17trampoline_kernelINS0_14default_configENS1_38merge_sort_block_merge_config_selectorIlNS0_10empty_typeEEEZZNS1_27merge_sort_block_merge_implIS3_PlPS5_jNS1_19radix_merge_compareILb0ELb0ElNS0_19identity_decomposerEEEEE10hipError_tT0_T1_T2_jT3_P12ihipStream_tbPNSt15iterator_traitsISE_E10value_typeEPNSK_ISF_E10value_typeEPSG_NS1_7vsmem_tEENKUlT_SE_SF_SG_E_clIS8_S8_S9_S9_EESD_ST_SE_SF_SG_EUlST_E0_NS1_11comp_targetILNS1_3genE8ELNS1_11target_archE1030ELNS1_3gpuE2ELNS1_3repE0EEENS1_38merge_mergepath_config_static_selectorELNS0_4arch9wavefront6targetE0EEEvSF_.uses_vcc, 0
	.set _ZN7rocprim17ROCPRIM_400000_NS6detail17trampoline_kernelINS0_14default_configENS1_38merge_sort_block_merge_config_selectorIlNS0_10empty_typeEEEZZNS1_27merge_sort_block_merge_implIS3_PlPS5_jNS1_19radix_merge_compareILb0ELb0ElNS0_19identity_decomposerEEEEE10hipError_tT0_T1_T2_jT3_P12ihipStream_tbPNSt15iterator_traitsISE_E10value_typeEPNSK_ISF_E10value_typeEPSG_NS1_7vsmem_tEENKUlT_SE_SF_SG_E_clIS8_S8_S9_S9_EESD_ST_SE_SF_SG_EUlST_E0_NS1_11comp_targetILNS1_3genE8ELNS1_11target_archE1030ELNS1_3gpuE2ELNS1_3repE0EEENS1_38merge_mergepath_config_static_selectorELNS0_4arch9wavefront6targetE0EEEvSF_.uses_flat_scratch, 0
	.set _ZN7rocprim17ROCPRIM_400000_NS6detail17trampoline_kernelINS0_14default_configENS1_38merge_sort_block_merge_config_selectorIlNS0_10empty_typeEEEZZNS1_27merge_sort_block_merge_implIS3_PlPS5_jNS1_19radix_merge_compareILb0ELb0ElNS0_19identity_decomposerEEEEE10hipError_tT0_T1_T2_jT3_P12ihipStream_tbPNSt15iterator_traitsISE_E10value_typeEPNSK_ISF_E10value_typeEPSG_NS1_7vsmem_tEENKUlT_SE_SF_SG_E_clIS8_S8_S9_S9_EESD_ST_SE_SF_SG_EUlST_E0_NS1_11comp_targetILNS1_3genE8ELNS1_11target_archE1030ELNS1_3gpuE2ELNS1_3repE0EEENS1_38merge_mergepath_config_static_selectorELNS0_4arch9wavefront6targetE0EEEvSF_.has_dyn_sized_stack, 0
	.set _ZN7rocprim17ROCPRIM_400000_NS6detail17trampoline_kernelINS0_14default_configENS1_38merge_sort_block_merge_config_selectorIlNS0_10empty_typeEEEZZNS1_27merge_sort_block_merge_implIS3_PlPS5_jNS1_19radix_merge_compareILb0ELb0ElNS0_19identity_decomposerEEEEE10hipError_tT0_T1_T2_jT3_P12ihipStream_tbPNSt15iterator_traitsISE_E10value_typeEPNSK_ISF_E10value_typeEPSG_NS1_7vsmem_tEENKUlT_SE_SF_SG_E_clIS8_S8_S9_S9_EESD_ST_SE_SF_SG_EUlST_E0_NS1_11comp_targetILNS1_3genE8ELNS1_11target_archE1030ELNS1_3gpuE2ELNS1_3repE0EEENS1_38merge_mergepath_config_static_selectorELNS0_4arch9wavefront6targetE0EEEvSF_.has_recursion, 0
	.set _ZN7rocprim17ROCPRIM_400000_NS6detail17trampoline_kernelINS0_14default_configENS1_38merge_sort_block_merge_config_selectorIlNS0_10empty_typeEEEZZNS1_27merge_sort_block_merge_implIS3_PlPS5_jNS1_19radix_merge_compareILb0ELb0ElNS0_19identity_decomposerEEEEE10hipError_tT0_T1_T2_jT3_P12ihipStream_tbPNSt15iterator_traitsISE_E10value_typeEPNSK_ISF_E10value_typeEPSG_NS1_7vsmem_tEENKUlT_SE_SF_SG_E_clIS8_S8_S9_S9_EESD_ST_SE_SF_SG_EUlST_E0_NS1_11comp_targetILNS1_3genE8ELNS1_11target_archE1030ELNS1_3gpuE2ELNS1_3repE0EEENS1_38merge_mergepath_config_static_selectorELNS0_4arch9wavefront6targetE0EEEvSF_.has_indirect_call, 0
	.section	.AMDGPU.csdata,"",@progbits
; Kernel info:
; codeLenInByte = 0
; TotalNumSgprs: 0
; NumVgprs: 0
; ScratchSize: 0
; MemoryBound: 0
; FloatMode: 240
; IeeeMode: 1
; LDSByteSize: 0 bytes/workgroup (compile time only)
; SGPRBlocks: 0
; VGPRBlocks: 0
; NumSGPRsForWavesPerEU: 1
; NumVGPRsForWavesPerEU: 1
; NamedBarCnt: 0
; Occupancy: 16
; WaveLimiterHint : 0
; COMPUTE_PGM_RSRC2:SCRATCH_EN: 0
; COMPUTE_PGM_RSRC2:USER_SGPR: 2
; COMPUTE_PGM_RSRC2:TRAP_HANDLER: 0
; COMPUTE_PGM_RSRC2:TGID_X_EN: 1
; COMPUTE_PGM_RSRC2:TGID_Y_EN: 0
; COMPUTE_PGM_RSRC2:TGID_Z_EN: 0
; COMPUTE_PGM_RSRC2:TIDIG_COMP_CNT: 0
	.section	.text._ZN7rocprim17ROCPRIM_400000_NS6detail17trampoline_kernelINS0_14default_configENS1_38merge_sort_block_merge_config_selectorIlNS0_10empty_typeEEEZZNS1_27merge_sort_block_merge_implIS3_PlPS5_jNS1_19radix_merge_compareILb0ELb0ElNS0_19identity_decomposerEEEEE10hipError_tT0_T1_T2_jT3_P12ihipStream_tbPNSt15iterator_traitsISE_E10value_typeEPNSK_ISF_E10value_typeEPSG_NS1_7vsmem_tEENKUlT_SE_SF_SG_E_clIS8_S8_S9_S9_EESD_ST_SE_SF_SG_EUlST_E1_NS1_11comp_targetILNS1_3genE0ELNS1_11target_archE4294967295ELNS1_3gpuE0ELNS1_3repE0EEENS1_36merge_oddeven_config_static_selectorELNS0_4arch9wavefront6targetE0EEEvSF_,"axG",@progbits,_ZN7rocprim17ROCPRIM_400000_NS6detail17trampoline_kernelINS0_14default_configENS1_38merge_sort_block_merge_config_selectorIlNS0_10empty_typeEEEZZNS1_27merge_sort_block_merge_implIS3_PlPS5_jNS1_19radix_merge_compareILb0ELb0ElNS0_19identity_decomposerEEEEE10hipError_tT0_T1_T2_jT3_P12ihipStream_tbPNSt15iterator_traitsISE_E10value_typeEPNSK_ISF_E10value_typeEPSG_NS1_7vsmem_tEENKUlT_SE_SF_SG_E_clIS8_S8_S9_S9_EESD_ST_SE_SF_SG_EUlST_E1_NS1_11comp_targetILNS1_3genE0ELNS1_11target_archE4294967295ELNS1_3gpuE0ELNS1_3repE0EEENS1_36merge_oddeven_config_static_selectorELNS0_4arch9wavefront6targetE0EEEvSF_,comdat
	.protected	_ZN7rocprim17ROCPRIM_400000_NS6detail17trampoline_kernelINS0_14default_configENS1_38merge_sort_block_merge_config_selectorIlNS0_10empty_typeEEEZZNS1_27merge_sort_block_merge_implIS3_PlPS5_jNS1_19radix_merge_compareILb0ELb0ElNS0_19identity_decomposerEEEEE10hipError_tT0_T1_T2_jT3_P12ihipStream_tbPNSt15iterator_traitsISE_E10value_typeEPNSK_ISF_E10value_typeEPSG_NS1_7vsmem_tEENKUlT_SE_SF_SG_E_clIS8_S8_S9_S9_EESD_ST_SE_SF_SG_EUlST_E1_NS1_11comp_targetILNS1_3genE0ELNS1_11target_archE4294967295ELNS1_3gpuE0ELNS1_3repE0EEENS1_36merge_oddeven_config_static_selectorELNS0_4arch9wavefront6targetE0EEEvSF_ ; -- Begin function _ZN7rocprim17ROCPRIM_400000_NS6detail17trampoline_kernelINS0_14default_configENS1_38merge_sort_block_merge_config_selectorIlNS0_10empty_typeEEEZZNS1_27merge_sort_block_merge_implIS3_PlPS5_jNS1_19radix_merge_compareILb0ELb0ElNS0_19identity_decomposerEEEEE10hipError_tT0_T1_T2_jT3_P12ihipStream_tbPNSt15iterator_traitsISE_E10value_typeEPNSK_ISF_E10value_typeEPSG_NS1_7vsmem_tEENKUlT_SE_SF_SG_E_clIS8_S8_S9_S9_EESD_ST_SE_SF_SG_EUlST_E1_NS1_11comp_targetILNS1_3genE0ELNS1_11target_archE4294967295ELNS1_3gpuE0ELNS1_3repE0EEENS1_36merge_oddeven_config_static_selectorELNS0_4arch9wavefront6targetE0EEEvSF_
	.globl	_ZN7rocprim17ROCPRIM_400000_NS6detail17trampoline_kernelINS0_14default_configENS1_38merge_sort_block_merge_config_selectorIlNS0_10empty_typeEEEZZNS1_27merge_sort_block_merge_implIS3_PlPS5_jNS1_19radix_merge_compareILb0ELb0ElNS0_19identity_decomposerEEEEE10hipError_tT0_T1_T2_jT3_P12ihipStream_tbPNSt15iterator_traitsISE_E10value_typeEPNSK_ISF_E10value_typeEPSG_NS1_7vsmem_tEENKUlT_SE_SF_SG_E_clIS8_S8_S9_S9_EESD_ST_SE_SF_SG_EUlST_E1_NS1_11comp_targetILNS1_3genE0ELNS1_11target_archE4294967295ELNS1_3gpuE0ELNS1_3repE0EEENS1_36merge_oddeven_config_static_selectorELNS0_4arch9wavefront6targetE0EEEvSF_
	.p2align	8
	.type	_ZN7rocprim17ROCPRIM_400000_NS6detail17trampoline_kernelINS0_14default_configENS1_38merge_sort_block_merge_config_selectorIlNS0_10empty_typeEEEZZNS1_27merge_sort_block_merge_implIS3_PlPS5_jNS1_19radix_merge_compareILb0ELb0ElNS0_19identity_decomposerEEEEE10hipError_tT0_T1_T2_jT3_P12ihipStream_tbPNSt15iterator_traitsISE_E10value_typeEPNSK_ISF_E10value_typeEPSG_NS1_7vsmem_tEENKUlT_SE_SF_SG_E_clIS8_S8_S9_S9_EESD_ST_SE_SF_SG_EUlST_E1_NS1_11comp_targetILNS1_3genE0ELNS1_11target_archE4294967295ELNS1_3gpuE0ELNS1_3repE0EEENS1_36merge_oddeven_config_static_selectorELNS0_4arch9wavefront6targetE0EEEvSF_,@function
_ZN7rocprim17ROCPRIM_400000_NS6detail17trampoline_kernelINS0_14default_configENS1_38merge_sort_block_merge_config_selectorIlNS0_10empty_typeEEEZZNS1_27merge_sort_block_merge_implIS3_PlPS5_jNS1_19radix_merge_compareILb0ELb0ElNS0_19identity_decomposerEEEEE10hipError_tT0_T1_T2_jT3_P12ihipStream_tbPNSt15iterator_traitsISE_E10value_typeEPNSK_ISF_E10value_typeEPSG_NS1_7vsmem_tEENKUlT_SE_SF_SG_E_clIS8_S8_S9_S9_EESD_ST_SE_SF_SG_EUlST_E1_NS1_11comp_targetILNS1_3genE0ELNS1_11target_archE4294967295ELNS1_3gpuE0ELNS1_3repE0EEENS1_36merge_oddeven_config_static_selectorELNS0_4arch9wavefront6targetE0EEEvSF_: ; @_ZN7rocprim17ROCPRIM_400000_NS6detail17trampoline_kernelINS0_14default_configENS1_38merge_sort_block_merge_config_selectorIlNS0_10empty_typeEEEZZNS1_27merge_sort_block_merge_implIS3_PlPS5_jNS1_19radix_merge_compareILb0ELb0ElNS0_19identity_decomposerEEEEE10hipError_tT0_T1_T2_jT3_P12ihipStream_tbPNSt15iterator_traitsISE_E10value_typeEPNSK_ISF_E10value_typeEPSG_NS1_7vsmem_tEENKUlT_SE_SF_SG_E_clIS8_S8_S9_S9_EESD_ST_SE_SF_SG_EUlST_E1_NS1_11comp_targetILNS1_3genE0ELNS1_11target_archE4294967295ELNS1_3gpuE0ELNS1_3repE0EEENS1_36merge_oddeven_config_static_selectorELNS0_4arch9wavefront6targetE0EEEvSF_
; %bb.0:
	s_load_b32 s10, s[0:1], 0x20
	s_bfe_u32 s2, ttmp6, 0x4000c
	s_and_b32 s3, ttmp6, 15
	s_add_co_i32 s2, s2, 1
	s_getreg_b32 s4, hwreg(HW_REG_IB_STS2, 6, 4)
	s_mul_i32 s2, ttmp9, s2
	s_mov_b32 s9, 0
	s_add_co_i32 s3, s3, s2
	s_cmp_eq_u32 s4, 0
	s_cselect_b32 s13, ttmp9, s3
	s_wait_kmcnt 0x0
	s_lshr_b32 s2, s10, 8
	s_delay_alu instid0(SALU_CYCLE_1) | instskip(SKIP_4) | instid1(SALU_CYCLE_1)
	s_cmp_lg_u32 s13, s2
	s_cselect_b32 s3, -1, 0
	s_cmp_eq_u32 s13, s2
	s_cselect_b32 s11, -1, 0
	s_lshl_b32 s8, s13, 8
	s_sub_co_i32 s2, s10, s8
	s_delay_alu instid0(SALU_CYCLE_1) | instskip(SKIP_1) | instid1(SALU_CYCLE_1)
	v_cmp_gt_u32_e64 s2, s2, v0
	s_or_b32 s4, s3, s2
	s_and_saveexec_b32 s5, s4
	s_cbranch_execz .LBB1157_20
; %bb.1:
	s_clause 0x1
	s_load_b128 s[4:7], s[0:1], 0x0
	s_load_b32 s12, s[0:1], 0x24
	s_lshl_b64 s[14:15], s[8:9], 3
	v_add_nc_u32_e32 v1, s8, v0
	s_wait_kmcnt 0x0
	s_add_nc_u64 s[0:1], s[4:5], s[14:15]
	global_load_b64 v[2:3], v0, s[0:1] scale_offset
	s_wait_xcnt 0x0
	s_lshr_b32 s0, s12, 8
	s_delay_alu instid0(SALU_CYCLE_1) | instskip(NEXT) | instid1(SALU_CYCLE_1)
	s_sub_co_i32 s1, 0, s0
	s_and_b32 s1, s13, s1
	s_delay_alu instid0(SALU_CYCLE_1) | instskip(SKIP_4) | instid1(SALU_CYCLE_1)
	s_and_b32 s0, s1, s0
	s_lshl_b32 s13, s1, 8
	s_sub_co_i32 s1, 0, s12
	s_cmp_eq_u32 s0, 0
	s_cselect_b32 s0, -1, 0
	s_and_b32 s14, s0, exec_lo
	s_cselect_b32 s1, s12, s1
	s_delay_alu instid0(SALU_CYCLE_1) | instskip(NEXT) | instid1(SALU_CYCLE_1)
	s_add_co_i32 s1, s1, s13
	s_cmp_gt_u32 s10, s1
	s_cbranch_scc1 .LBB1157_3
; %bb.2:
	v_cmp_gt_u32_e32 vcc_lo, s10, v1
	s_or_b32 s8, vcc_lo, s3
	s_delay_alu instid0(SALU_CYCLE_1)
	s_and_b32 s9, s8, exec_lo
	s_cbranch_execz .LBB1157_4
	s_branch .LBB1157_18
.LBB1157_3:
.LBB1157_4:
	s_min_u32 s3, s1, s10
	s_and_b32 vcc_lo, exec_lo, s11
	s_add_co_i32 s8, s13, s3
	s_add_co_i32 s12, s3, s12
	v_subrev_nc_u32_e32 v0, s8, v1
	s_min_u32 s8, s13, s3
	s_delay_alu instid0(VALU_DEP_1) | instid1(SALU_CYCLE_1)
	v_add_nc_u32_e32 v0, s8, v0
	s_min_u32 s8, s12, s10
	s_cbranch_vccz .LBB1157_12
; %bb.5:
                                        ; implicit-def: $vgpr1
	s_and_saveexec_b32 s10, s2
	s_cbranch_execz .LBB1157_11
; %bb.6:
	v_mov_b32_e32 v1, s3
	s_cmp_ge_u32 s1, s8
	s_cbranch_scc1 .LBB1157_10
; %bb.7:
	v_dual_mov_b32 v4, s8 :: v_dual_mov_b32 v1, s3
	s_mov_b32 s2, 0
.LBB1157_8:                             ; =>This Inner Loop Header: Depth=1
	s_delay_alu instid0(VALU_DEP_1) | instskip(NEXT) | instid1(VALU_DEP_1)
	v_add_nc_u32_e32 v5, v1, v4
	v_lshrrev_b32_e32 v5, 1, v5
	global_load_b64 v[6:7], v5, s[4:5] scale_offset
	s_wait_loadcnt 0x0
	v_cmp_gt_i64_e32 vcc_lo, v[2:3], v[6:7]
	v_cndmask_b32_e64 v8, 0, 1, vcc_lo
	v_cmp_le_i64_e32 vcc_lo, v[6:7], v[2:3]
	v_cndmask_b32_e64 v6, 0, 1, vcc_lo
	s_delay_alu instid0(VALU_DEP_1) | instskip(NEXT) | instid1(VALU_DEP_1)
	v_cndmask_b32_e64 v6, v6, v8, s0
	v_and_b32_e32 v6, 1, v6
	s_delay_alu instid0(VALU_DEP_1) | instskip(SKIP_1) | instid1(VALU_DEP_1)
	v_cmp_eq_u32_e32 vcc_lo, 1, v6
	v_dual_cndmask_b32 v4, v5, v4 :: v_dual_add_nc_u32 v7, 1, v5
	v_cndmask_b32_e32 v1, v1, v7, vcc_lo
	s_delay_alu instid0(VALU_DEP_1) | instskip(SKIP_1) | instid1(SALU_CYCLE_1)
	v_cmp_ge_u32_e32 vcc_lo, v1, v4
	s_or_b32 s2, vcc_lo, s2
	s_and_not1_b32 exec_lo, exec_lo, s2
	s_cbranch_execnz .LBB1157_8
; %bb.9:
	s_or_b32 exec_lo, exec_lo, s2
.LBB1157_10:
	s_delay_alu instid0(VALU_DEP_1)
	v_add_nc_u32_e32 v1, v1, v0
	s_or_b32 s9, s9, exec_lo
.LBB1157_11:
	s_or_b32 exec_lo, exec_lo, s10
	s_branch .LBB1157_18
.LBB1157_12:
                                        ; implicit-def: $vgpr1
	s_cbranch_execz .LBB1157_18
; %bb.13:
	v_mov_b32_e32 v1, s3
	s_cmp_ge_u32 s1, s8
	s_cbranch_scc1 .LBB1157_17
; %bb.14:
	v_dual_mov_b32 v4, s8 :: v_dual_mov_b32 v1, s3
	s_mov_b32 s1, 0
.LBB1157_15:                            ; =>This Inner Loop Header: Depth=1
	s_delay_alu instid0(VALU_DEP_1) | instskip(NEXT) | instid1(VALU_DEP_1)
	v_add_nc_u32_e32 v5, v1, v4
	v_lshrrev_b32_e32 v5, 1, v5
	global_load_b64 v[6:7], v5, s[4:5] scale_offset
	s_wait_loadcnt 0x0
	v_cmp_gt_i64_e32 vcc_lo, v[2:3], v[6:7]
	v_cndmask_b32_e64 v8, 0, 1, vcc_lo
	v_cmp_le_i64_e32 vcc_lo, v[6:7], v[2:3]
	v_cndmask_b32_e64 v6, 0, 1, vcc_lo
	s_delay_alu instid0(VALU_DEP_1) | instskip(NEXT) | instid1(VALU_DEP_1)
	v_cndmask_b32_e64 v6, v6, v8, s0
	v_and_b32_e32 v6, 1, v6
	s_delay_alu instid0(VALU_DEP_1) | instskip(SKIP_1) | instid1(VALU_DEP_1)
	v_cmp_eq_u32_e32 vcc_lo, 1, v6
	v_dual_cndmask_b32 v4, v5, v4 :: v_dual_add_nc_u32 v7, 1, v5
	v_cndmask_b32_e32 v1, v1, v7, vcc_lo
	s_delay_alu instid0(VALU_DEP_1) | instskip(SKIP_1) | instid1(SALU_CYCLE_1)
	v_cmp_ge_u32_e32 vcc_lo, v1, v4
	s_or_b32 s1, vcc_lo, s1
	s_and_not1_b32 exec_lo, exec_lo, s1
	s_cbranch_execnz .LBB1157_15
; %bb.16:
	s_or_b32 exec_lo, exec_lo, s1
.LBB1157_17:
	s_delay_alu instid0(VALU_DEP_1)
	v_add_nc_u32_e32 v1, v1, v0
	s_mov_b32 s9, -1
.LBB1157_18:
	s_delay_alu instid0(SALU_CYCLE_1)
	s_and_b32 exec_lo, exec_lo, s9
	s_cbranch_execz .LBB1157_20
; %bb.19:
	s_wait_loadcnt 0x0
	global_store_b64 v1, v[2:3], s[6:7] scale_offset
.LBB1157_20:
	s_endpgm
	.section	.rodata,"a",@progbits
	.p2align	6, 0x0
	.amdhsa_kernel _ZN7rocprim17ROCPRIM_400000_NS6detail17trampoline_kernelINS0_14default_configENS1_38merge_sort_block_merge_config_selectorIlNS0_10empty_typeEEEZZNS1_27merge_sort_block_merge_implIS3_PlPS5_jNS1_19radix_merge_compareILb0ELb0ElNS0_19identity_decomposerEEEEE10hipError_tT0_T1_T2_jT3_P12ihipStream_tbPNSt15iterator_traitsISE_E10value_typeEPNSK_ISF_E10value_typeEPSG_NS1_7vsmem_tEENKUlT_SE_SF_SG_E_clIS8_S8_S9_S9_EESD_ST_SE_SF_SG_EUlST_E1_NS1_11comp_targetILNS1_3genE0ELNS1_11target_archE4294967295ELNS1_3gpuE0ELNS1_3repE0EEENS1_36merge_oddeven_config_static_selectorELNS0_4arch9wavefront6targetE0EEEvSF_
		.amdhsa_group_segment_fixed_size 0
		.amdhsa_private_segment_fixed_size 0
		.amdhsa_kernarg_size 48
		.amdhsa_user_sgpr_count 2
		.amdhsa_user_sgpr_dispatch_ptr 0
		.amdhsa_user_sgpr_queue_ptr 0
		.amdhsa_user_sgpr_kernarg_segment_ptr 1
		.amdhsa_user_sgpr_dispatch_id 0
		.amdhsa_user_sgpr_kernarg_preload_length 0
		.amdhsa_user_sgpr_kernarg_preload_offset 0
		.amdhsa_user_sgpr_private_segment_size 0
		.amdhsa_wavefront_size32 1
		.amdhsa_uses_dynamic_stack 0
		.amdhsa_enable_private_segment 0
		.amdhsa_system_sgpr_workgroup_id_x 1
		.amdhsa_system_sgpr_workgroup_id_y 0
		.amdhsa_system_sgpr_workgroup_id_z 0
		.amdhsa_system_sgpr_workgroup_info 0
		.amdhsa_system_vgpr_workitem_id 0
		.amdhsa_next_free_vgpr 9
		.amdhsa_next_free_sgpr 16
		.amdhsa_named_barrier_count 0
		.amdhsa_reserve_vcc 1
		.amdhsa_float_round_mode_32 0
		.amdhsa_float_round_mode_16_64 0
		.amdhsa_float_denorm_mode_32 3
		.amdhsa_float_denorm_mode_16_64 3
		.amdhsa_fp16_overflow 0
		.amdhsa_memory_ordered 1
		.amdhsa_forward_progress 1
		.amdhsa_inst_pref_size 5
		.amdhsa_round_robin_scheduling 0
		.amdhsa_exception_fp_ieee_invalid_op 0
		.amdhsa_exception_fp_denorm_src 0
		.amdhsa_exception_fp_ieee_div_zero 0
		.amdhsa_exception_fp_ieee_overflow 0
		.amdhsa_exception_fp_ieee_underflow 0
		.amdhsa_exception_fp_ieee_inexact 0
		.amdhsa_exception_int_div_zero 0
	.end_amdhsa_kernel
	.section	.text._ZN7rocprim17ROCPRIM_400000_NS6detail17trampoline_kernelINS0_14default_configENS1_38merge_sort_block_merge_config_selectorIlNS0_10empty_typeEEEZZNS1_27merge_sort_block_merge_implIS3_PlPS5_jNS1_19radix_merge_compareILb0ELb0ElNS0_19identity_decomposerEEEEE10hipError_tT0_T1_T2_jT3_P12ihipStream_tbPNSt15iterator_traitsISE_E10value_typeEPNSK_ISF_E10value_typeEPSG_NS1_7vsmem_tEENKUlT_SE_SF_SG_E_clIS8_S8_S9_S9_EESD_ST_SE_SF_SG_EUlST_E1_NS1_11comp_targetILNS1_3genE0ELNS1_11target_archE4294967295ELNS1_3gpuE0ELNS1_3repE0EEENS1_36merge_oddeven_config_static_selectorELNS0_4arch9wavefront6targetE0EEEvSF_,"axG",@progbits,_ZN7rocprim17ROCPRIM_400000_NS6detail17trampoline_kernelINS0_14default_configENS1_38merge_sort_block_merge_config_selectorIlNS0_10empty_typeEEEZZNS1_27merge_sort_block_merge_implIS3_PlPS5_jNS1_19radix_merge_compareILb0ELb0ElNS0_19identity_decomposerEEEEE10hipError_tT0_T1_T2_jT3_P12ihipStream_tbPNSt15iterator_traitsISE_E10value_typeEPNSK_ISF_E10value_typeEPSG_NS1_7vsmem_tEENKUlT_SE_SF_SG_E_clIS8_S8_S9_S9_EESD_ST_SE_SF_SG_EUlST_E1_NS1_11comp_targetILNS1_3genE0ELNS1_11target_archE4294967295ELNS1_3gpuE0ELNS1_3repE0EEENS1_36merge_oddeven_config_static_selectorELNS0_4arch9wavefront6targetE0EEEvSF_,comdat
.Lfunc_end1157:
	.size	_ZN7rocprim17ROCPRIM_400000_NS6detail17trampoline_kernelINS0_14default_configENS1_38merge_sort_block_merge_config_selectorIlNS0_10empty_typeEEEZZNS1_27merge_sort_block_merge_implIS3_PlPS5_jNS1_19radix_merge_compareILb0ELb0ElNS0_19identity_decomposerEEEEE10hipError_tT0_T1_T2_jT3_P12ihipStream_tbPNSt15iterator_traitsISE_E10value_typeEPNSK_ISF_E10value_typeEPSG_NS1_7vsmem_tEENKUlT_SE_SF_SG_E_clIS8_S8_S9_S9_EESD_ST_SE_SF_SG_EUlST_E1_NS1_11comp_targetILNS1_3genE0ELNS1_11target_archE4294967295ELNS1_3gpuE0ELNS1_3repE0EEENS1_36merge_oddeven_config_static_selectorELNS0_4arch9wavefront6targetE0EEEvSF_, .Lfunc_end1157-_ZN7rocprim17ROCPRIM_400000_NS6detail17trampoline_kernelINS0_14default_configENS1_38merge_sort_block_merge_config_selectorIlNS0_10empty_typeEEEZZNS1_27merge_sort_block_merge_implIS3_PlPS5_jNS1_19radix_merge_compareILb0ELb0ElNS0_19identity_decomposerEEEEE10hipError_tT0_T1_T2_jT3_P12ihipStream_tbPNSt15iterator_traitsISE_E10value_typeEPNSK_ISF_E10value_typeEPSG_NS1_7vsmem_tEENKUlT_SE_SF_SG_E_clIS8_S8_S9_S9_EESD_ST_SE_SF_SG_EUlST_E1_NS1_11comp_targetILNS1_3genE0ELNS1_11target_archE4294967295ELNS1_3gpuE0ELNS1_3repE0EEENS1_36merge_oddeven_config_static_selectorELNS0_4arch9wavefront6targetE0EEEvSF_
                                        ; -- End function
	.set _ZN7rocprim17ROCPRIM_400000_NS6detail17trampoline_kernelINS0_14default_configENS1_38merge_sort_block_merge_config_selectorIlNS0_10empty_typeEEEZZNS1_27merge_sort_block_merge_implIS3_PlPS5_jNS1_19radix_merge_compareILb0ELb0ElNS0_19identity_decomposerEEEEE10hipError_tT0_T1_T2_jT3_P12ihipStream_tbPNSt15iterator_traitsISE_E10value_typeEPNSK_ISF_E10value_typeEPSG_NS1_7vsmem_tEENKUlT_SE_SF_SG_E_clIS8_S8_S9_S9_EESD_ST_SE_SF_SG_EUlST_E1_NS1_11comp_targetILNS1_3genE0ELNS1_11target_archE4294967295ELNS1_3gpuE0ELNS1_3repE0EEENS1_36merge_oddeven_config_static_selectorELNS0_4arch9wavefront6targetE0EEEvSF_.num_vgpr, 9
	.set _ZN7rocprim17ROCPRIM_400000_NS6detail17trampoline_kernelINS0_14default_configENS1_38merge_sort_block_merge_config_selectorIlNS0_10empty_typeEEEZZNS1_27merge_sort_block_merge_implIS3_PlPS5_jNS1_19radix_merge_compareILb0ELb0ElNS0_19identity_decomposerEEEEE10hipError_tT0_T1_T2_jT3_P12ihipStream_tbPNSt15iterator_traitsISE_E10value_typeEPNSK_ISF_E10value_typeEPSG_NS1_7vsmem_tEENKUlT_SE_SF_SG_E_clIS8_S8_S9_S9_EESD_ST_SE_SF_SG_EUlST_E1_NS1_11comp_targetILNS1_3genE0ELNS1_11target_archE4294967295ELNS1_3gpuE0ELNS1_3repE0EEENS1_36merge_oddeven_config_static_selectorELNS0_4arch9wavefront6targetE0EEEvSF_.num_agpr, 0
	.set _ZN7rocprim17ROCPRIM_400000_NS6detail17trampoline_kernelINS0_14default_configENS1_38merge_sort_block_merge_config_selectorIlNS0_10empty_typeEEEZZNS1_27merge_sort_block_merge_implIS3_PlPS5_jNS1_19radix_merge_compareILb0ELb0ElNS0_19identity_decomposerEEEEE10hipError_tT0_T1_T2_jT3_P12ihipStream_tbPNSt15iterator_traitsISE_E10value_typeEPNSK_ISF_E10value_typeEPSG_NS1_7vsmem_tEENKUlT_SE_SF_SG_E_clIS8_S8_S9_S9_EESD_ST_SE_SF_SG_EUlST_E1_NS1_11comp_targetILNS1_3genE0ELNS1_11target_archE4294967295ELNS1_3gpuE0ELNS1_3repE0EEENS1_36merge_oddeven_config_static_selectorELNS0_4arch9wavefront6targetE0EEEvSF_.numbered_sgpr, 16
	.set _ZN7rocprim17ROCPRIM_400000_NS6detail17trampoline_kernelINS0_14default_configENS1_38merge_sort_block_merge_config_selectorIlNS0_10empty_typeEEEZZNS1_27merge_sort_block_merge_implIS3_PlPS5_jNS1_19radix_merge_compareILb0ELb0ElNS0_19identity_decomposerEEEEE10hipError_tT0_T1_T2_jT3_P12ihipStream_tbPNSt15iterator_traitsISE_E10value_typeEPNSK_ISF_E10value_typeEPSG_NS1_7vsmem_tEENKUlT_SE_SF_SG_E_clIS8_S8_S9_S9_EESD_ST_SE_SF_SG_EUlST_E1_NS1_11comp_targetILNS1_3genE0ELNS1_11target_archE4294967295ELNS1_3gpuE0ELNS1_3repE0EEENS1_36merge_oddeven_config_static_selectorELNS0_4arch9wavefront6targetE0EEEvSF_.num_named_barrier, 0
	.set _ZN7rocprim17ROCPRIM_400000_NS6detail17trampoline_kernelINS0_14default_configENS1_38merge_sort_block_merge_config_selectorIlNS0_10empty_typeEEEZZNS1_27merge_sort_block_merge_implIS3_PlPS5_jNS1_19radix_merge_compareILb0ELb0ElNS0_19identity_decomposerEEEEE10hipError_tT0_T1_T2_jT3_P12ihipStream_tbPNSt15iterator_traitsISE_E10value_typeEPNSK_ISF_E10value_typeEPSG_NS1_7vsmem_tEENKUlT_SE_SF_SG_E_clIS8_S8_S9_S9_EESD_ST_SE_SF_SG_EUlST_E1_NS1_11comp_targetILNS1_3genE0ELNS1_11target_archE4294967295ELNS1_3gpuE0ELNS1_3repE0EEENS1_36merge_oddeven_config_static_selectorELNS0_4arch9wavefront6targetE0EEEvSF_.private_seg_size, 0
	.set _ZN7rocprim17ROCPRIM_400000_NS6detail17trampoline_kernelINS0_14default_configENS1_38merge_sort_block_merge_config_selectorIlNS0_10empty_typeEEEZZNS1_27merge_sort_block_merge_implIS3_PlPS5_jNS1_19radix_merge_compareILb0ELb0ElNS0_19identity_decomposerEEEEE10hipError_tT0_T1_T2_jT3_P12ihipStream_tbPNSt15iterator_traitsISE_E10value_typeEPNSK_ISF_E10value_typeEPSG_NS1_7vsmem_tEENKUlT_SE_SF_SG_E_clIS8_S8_S9_S9_EESD_ST_SE_SF_SG_EUlST_E1_NS1_11comp_targetILNS1_3genE0ELNS1_11target_archE4294967295ELNS1_3gpuE0ELNS1_3repE0EEENS1_36merge_oddeven_config_static_selectorELNS0_4arch9wavefront6targetE0EEEvSF_.uses_vcc, 1
	.set _ZN7rocprim17ROCPRIM_400000_NS6detail17trampoline_kernelINS0_14default_configENS1_38merge_sort_block_merge_config_selectorIlNS0_10empty_typeEEEZZNS1_27merge_sort_block_merge_implIS3_PlPS5_jNS1_19radix_merge_compareILb0ELb0ElNS0_19identity_decomposerEEEEE10hipError_tT0_T1_T2_jT3_P12ihipStream_tbPNSt15iterator_traitsISE_E10value_typeEPNSK_ISF_E10value_typeEPSG_NS1_7vsmem_tEENKUlT_SE_SF_SG_E_clIS8_S8_S9_S9_EESD_ST_SE_SF_SG_EUlST_E1_NS1_11comp_targetILNS1_3genE0ELNS1_11target_archE4294967295ELNS1_3gpuE0ELNS1_3repE0EEENS1_36merge_oddeven_config_static_selectorELNS0_4arch9wavefront6targetE0EEEvSF_.uses_flat_scratch, 0
	.set _ZN7rocprim17ROCPRIM_400000_NS6detail17trampoline_kernelINS0_14default_configENS1_38merge_sort_block_merge_config_selectorIlNS0_10empty_typeEEEZZNS1_27merge_sort_block_merge_implIS3_PlPS5_jNS1_19radix_merge_compareILb0ELb0ElNS0_19identity_decomposerEEEEE10hipError_tT0_T1_T2_jT3_P12ihipStream_tbPNSt15iterator_traitsISE_E10value_typeEPNSK_ISF_E10value_typeEPSG_NS1_7vsmem_tEENKUlT_SE_SF_SG_E_clIS8_S8_S9_S9_EESD_ST_SE_SF_SG_EUlST_E1_NS1_11comp_targetILNS1_3genE0ELNS1_11target_archE4294967295ELNS1_3gpuE0ELNS1_3repE0EEENS1_36merge_oddeven_config_static_selectorELNS0_4arch9wavefront6targetE0EEEvSF_.has_dyn_sized_stack, 0
	.set _ZN7rocprim17ROCPRIM_400000_NS6detail17trampoline_kernelINS0_14default_configENS1_38merge_sort_block_merge_config_selectorIlNS0_10empty_typeEEEZZNS1_27merge_sort_block_merge_implIS3_PlPS5_jNS1_19radix_merge_compareILb0ELb0ElNS0_19identity_decomposerEEEEE10hipError_tT0_T1_T2_jT3_P12ihipStream_tbPNSt15iterator_traitsISE_E10value_typeEPNSK_ISF_E10value_typeEPSG_NS1_7vsmem_tEENKUlT_SE_SF_SG_E_clIS8_S8_S9_S9_EESD_ST_SE_SF_SG_EUlST_E1_NS1_11comp_targetILNS1_3genE0ELNS1_11target_archE4294967295ELNS1_3gpuE0ELNS1_3repE0EEENS1_36merge_oddeven_config_static_selectorELNS0_4arch9wavefront6targetE0EEEvSF_.has_recursion, 0
	.set _ZN7rocprim17ROCPRIM_400000_NS6detail17trampoline_kernelINS0_14default_configENS1_38merge_sort_block_merge_config_selectorIlNS0_10empty_typeEEEZZNS1_27merge_sort_block_merge_implIS3_PlPS5_jNS1_19radix_merge_compareILb0ELb0ElNS0_19identity_decomposerEEEEE10hipError_tT0_T1_T2_jT3_P12ihipStream_tbPNSt15iterator_traitsISE_E10value_typeEPNSK_ISF_E10value_typeEPSG_NS1_7vsmem_tEENKUlT_SE_SF_SG_E_clIS8_S8_S9_S9_EESD_ST_SE_SF_SG_EUlST_E1_NS1_11comp_targetILNS1_3genE0ELNS1_11target_archE4294967295ELNS1_3gpuE0ELNS1_3repE0EEENS1_36merge_oddeven_config_static_selectorELNS0_4arch9wavefront6targetE0EEEvSF_.has_indirect_call, 0
	.section	.AMDGPU.csdata,"",@progbits
; Kernel info:
; codeLenInByte = 636
; TotalNumSgprs: 18
; NumVgprs: 9
; ScratchSize: 0
; MemoryBound: 0
; FloatMode: 240
; IeeeMode: 1
; LDSByteSize: 0 bytes/workgroup (compile time only)
; SGPRBlocks: 0
; VGPRBlocks: 0
; NumSGPRsForWavesPerEU: 18
; NumVGPRsForWavesPerEU: 9
; NamedBarCnt: 0
; Occupancy: 16
; WaveLimiterHint : 0
; COMPUTE_PGM_RSRC2:SCRATCH_EN: 0
; COMPUTE_PGM_RSRC2:USER_SGPR: 2
; COMPUTE_PGM_RSRC2:TRAP_HANDLER: 0
; COMPUTE_PGM_RSRC2:TGID_X_EN: 1
; COMPUTE_PGM_RSRC2:TGID_Y_EN: 0
; COMPUTE_PGM_RSRC2:TGID_Z_EN: 0
; COMPUTE_PGM_RSRC2:TIDIG_COMP_CNT: 0
	.section	.text._ZN7rocprim17ROCPRIM_400000_NS6detail17trampoline_kernelINS0_14default_configENS1_38merge_sort_block_merge_config_selectorIlNS0_10empty_typeEEEZZNS1_27merge_sort_block_merge_implIS3_PlPS5_jNS1_19radix_merge_compareILb0ELb0ElNS0_19identity_decomposerEEEEE10hipError_tT0_T1_T2_jT3_P12ihipStream_tbPNSt15iterator_traitsISE_E10value_typeEPNSK_ISF_E10value_typeEPSG_NS1_7vsmem_tEENKUlT_SE_SF_SG_E_clIS8_S8_S9_S9_EESD_ST_SE_SF_SG_EUlST_E1_NS1_11comp_targetILNS1_3genE10ELNS1_11target_archE1201ELNS1_3gpuE5ELNS1_3repE0EEENS1_36merge_oddeven_config_static_selectorELNS0_4arch9wavefront6targetE0EEEvSF_,"axG",@progbits,_ZN7rocprim17ROCPRIM_400000_NS6detail17trampoline_kernelINS0_14default_configENS1_38merge_sort_block_merge_config_selectorIlNS0_10empty_typeEEEZZNS1_27merge_sort_block_merge_implIS3_PlPS5_jNS1_19radix_merge_compareILb0ELb0ElNS0_19identity_decomposerEEEEE10hipError_tT0_T1_T2_jT3_P12ihipStream_tbPNSt15iterator_traitsISE_E10value_typeEPNSK_ISF_E10value_typeEPSG_NS1_7vsmem_tEENKUlT_SE_SF_SG_E_clIS8_S8_S9_S9_EESD_ST_SE_SF_SG_EUlST_E1_NS1_11comp_targetILNS1_3genE10ELNS1_11target_archE1201ELNS1_3gpuE5ELNS1_3repE0EEENS1_36merge_oddeven_config_static_selectorELNS0_4arch9wavefront6targetE0EEEvSF_,comdat
	.protected	_ZN7rocprim17ROCPRIM_400000_NS6detail17trampoline_kernelINS0_14default_configENS1_38merge_sort_block_merge_config_selectorIlNS0_10empty_typeEEEZZNS1_27merge_sort_block_merge_implIS3_PlPS5_jNS1_19radix_merge_compareILb0ELb0ElNS0_19identity_decomposerEEEEE10hipError_tT0_T1_T2_jT3_P12ihipStream_tbPNSt15iterator_traitsISE_E10value_typeEPNSK_ISF_E10value_typeEPSG_NS1_7vsmem_tEENKUlT_SE_SF_SG_E_clIS8_S8_S9_S9_EESD_ST_SE_SF_SG_EUlST_E1_NS1_11comp_targetILNS1_3genE10ELNS1_11target_archE1201ELNS1_3gpuE5ELNS1_3repE0EEENS1_36merge_oddeven_config_static_selectorELNS0_4arch9wavefront6targetE0EEEvSF_ ; -- Begin function _ZN7rocprim17ROCPRIM_400000_NS6detail17trampoline_kernelINS0_14default_configENS1_38merge_sort_block_merge_config_selectorIlNS0_10empty_typeEEEZZNS1_27merge_sort_block_merge_implIS3_PlPS5_jNS1_19radix_merge_compareILb0ELb0ElNS0_19identity_decomposerEEEEE10hipError_tT0_T1_T2_jT3_P12ihipStream_tbPNSt15iterator_traitsISE_E10value_typeEPNSK_ISF_E10value_typeEPSG_NS1_7vsmem_tEENKUlT_SE_SF_SG_E_clIS8_S8_S9_S9_EESD_ST_SE_SF_SG_EUlST_E1_NS1_11comp_targetILNS1_3genE10ELNS1_11target_archE1201ELNS1_3gpuE5ELNS1_3repE0EEENS1_36merge_oddeven_config_static_selectorELNS0_4arch9wavefront6targetE0EEEvSF_
	.globl	_ZN7rocprim17ROCPRIM_400000_NS6detail17trampoline_kernelINS0_14default_configENS1_38merge_sort_block_merge_config_selectorIlNS0_10empty_typeEEEZZNS1_27merge_sort_block_merge_implIS3_PlPS5_jNS1_19radix_merge_compareILb0ELb0ElNS0_19identity_decomposerEEEEE10hipError_tT0_T1_T2_jT3_P12ihipStream_tbPNSt15iterator_traitsISE_E10value_typeEPNSK_ISF_E10value_typeEPSG_NS1_7vsmem_tEENKUlT_SE_SF_SG_E_clIS8_S8_S9_S9_EESD_ST_SE_SF_SG_EUlST_E1_NS1_11comp_targetILNS1_3genE10ELNS1_11target_archE1201ELNS1_3gpuE5ELNS1_3repE0EEENS1_36merge_oddeven_config_static_selectorELNS0_4arch9wavefront6targetE0EEEvSF_
	.p2align	8
	.type	_ZN7rocprim17ROCPRIM_400000_NS6detail17trampoline_kernelINS0_14default_configENS1_38merge_sort_block_merge_config_selectorIlNS0_10empty_typeEEEZZNS1_27merge_sort_block_merge_implIS3_PlPS5_jNS1_19radix_merge_compareILb0ELb0ElNS0_19identity_decomposerEEEEE10hipError_tT0_T1_T2_jT3_P12ihipStream_tbPNSt15iterator_traitsISE_E10value_typeEPNSK_ISF_E10value_typeEPSG_NS1_7vsmem_tEENKUlT_SE_SF_SG_E_clIS8_S8_S9_S9_EESD_ST_SE_SF_SG_EUlST_E1_NS1_11comp_targetILNS1_3genE10ELNS1_11target_archE1201ELNS1_3gpuE5ELNS1_3repE0EEENS1_36merge_oddeven_config_static_selectorELNS0_4arch9wavefront6targetE0EEEvSF_,@function
_ZN7rocprim17ROCPRIM_400000_NS6detail17trampoline_kernelINS0_14default_configENS1_38merge_sort_block_merge_config_selectorIlNS0_10empty_typeEEEZZNS1_27merge_sort_block_merge_implIS3_PlPS5_jNS1_19radix_merge_compareILb0ELb0ElNS0_19identity_decomposerEEEEE10hipError_tT0_T1_T2_jT3_P12ihipStream_tbPNSt15iterator_traitsISE_E10value_typeEPNSK_ISF_E10value_typeEPSG_NS1_7vsmem_tEENKUlT_SE_SF_SG_E_clIS8_S8_S9_S9_EESD_ST_SE_SF_SG_EUlST_E1_NS1_11comp_targetILNS1_3genE10ELNS1_11target_archE1201ELNS1_3gpuE5ELNS1_3repE0EEENS1_36merge_oddeven_config_static_selectorELNS0_4arch9wavefront6targetE0EEEvSF_: ; @_ZN7rocprim17ROCPRIM_400000_NS6detail17trampoline_kernelINS0_14default_configENS1_38merge_sort_block_merge_config_selectorIlNS0_10empty_typeEEEZZNS1_27merge_sort_block_merge_implIS3_PlPS5_jNS1_19radix_merge_compareILb0ELb0ElNS0_19identity_decomposerEEEEE10hipError_tT0_T1_T2_jT3_P12ihipStream_tbPNSt15iterator_traitsISE_E10value_typeEPNSK_ISF_E10value_typeEPSG_NS1_7vsmem_tEENKUlT_SE_SF_SG_E_clIS8_S8_S9_S9_EESD_ST_SE_SF_SG_EUlST_E1_NS1_11comp_targetILNS1_3genE10ELNS1_11target_archE1201ELNS1_3gpuE5ELNS1_3repE0EEENS1_36merge_oddeven_config_static_selectorELNS0_4arch9wavefront6targetE0EEEvSF_
; %bb.0:
	.section	.rodata,"a",@progbits
	.p2align	6, 0x0
	.amdhsa_kernel _ZN7rocprim17ROCPRIM_400000_NS6detail17trampoline_kernelINS0_14default_configENS1_38merge_sort_block_merge_config_selectorIlNS0_10empty_typeEEEZZNS1_27merge_sort_block_merge_implIS3_PlPS5_jNS1_19radix_merge_compareILb0ELb0ElNS0_19identity_decomposerEEEEE10hipError_tT0_T1_T2_jT3_P12ihipStream_tbPNSt15iterator_traitsISE_E10value_typeEPNSK_ISF_E10value_typeEPSG_NS1_7vsmem_tEENKUlT_SE_SF_SG_E_clIS8_S8_S9_S9_EESD_ST_SE_SF_SG_EUlST_E1_NS1_11comp_targetILNS1_3genE10ELNS1_11target_archE1201ELNS1_3gpuE5ELNS1_3repE0EEENS1_36merge_oddeven_config_static_selectorELNS0_4arch9wavefront6targetE0EEEvSF_
		.amdhsa_group_segment_fixed_size 0
		.amdhsa_private_segment_fixed_size 0
		.amdhsa_kernarg_size 48
		.amdhsa_user_sgpr_count 2
		.amdhsa_user_sgpr_dispatch_ptr 0
		.amdhsa_user_sgpr_queue_ptr 0
		.amdhsa_user_sgpr_kernarg_segment_ptr 1
		.amdhsa_user_sgpr_dispatch_id 0
		.amdhsa_user_sgpr_kernarg_preload_length 0
		.amdhsa_user_sgpr_kernarg_preload_offset 0
		.amdhsa_user_sgpr_private_segment_size 0
		.amdhsa_wavefront_size32 1
		.amdhsa_uses_dynamic_stack 0
		.amdhsa_enable_private_segment 0
		.amdhsa_system_sgpr_workgroup_id_x 1
		.amdhsa_system_sgpr_workgroup_id_y 0
		.amdhsa_system_sgpr_workgroup_id_z 0
		.amdhsa_system_sgpr_workgroup_info 0
		.amdhsa_system_vgpr_workitem_id 0
		.amdhsa_next_free_vgpr 1
		.amdhsa_next_free_sgpr 1
		.amdhsa_named_barrier_count 0
		.amdhsa_reserve_vcc 0
		.amdhsa_float_round_mode_32 0
		.amdhsa_float_round_mode_16_64 0
		.amdhsa_float_denorm_mode_32 3
		.amdhsa_float_denorm_mode_16_64 3
		.amdhsa_fp16_overflow 0
		.amdhsa_memory_ordered 1
		.amdhsa_forward_progress 1
		.amdhsa_inst_pref_size 0
		.amdhsa_round_robin_scheduling 0
		.amdhsa_exception_fp_ieee_invalid_op 0
		.amdhsa_exception_fp_denorm_src 0
		.amdhsa_exception_fp_ieee_div_zero 0
		.amdhsa_exception_fp_ieee_overflow 0
		.amdhsa_exception_fp_ieee_underflow 0
		.amdhsa_exception_fp_ieee_inexact 0
		.amdhsa_exception_int_div_zero 0
	.end_amdhsa_kernel
	.section	.text._ZN7rocprim17ROCPRIM_400000_NS6detail17trampoline_kernelINS0_14default_configENS1_38merge_sort_block_merge_config_selectorIlNS0_10empty_typeEEEZZNS1_27merge_sort_block_merge_implIS3_PlPS5_jNS1_19radix_merge_compareILb0ELb0ElNS0_19identity_decomposerEEEEE10hipError_tT0_T1_T2_jT3_P12ihipStream_tbPNSt15iterator_traitsISE_E10value_typeEPNSK_ISF_E10value_typeEPSG_NS1_7vsmem_tEENKUlT_SE_SF_SG_E_clIS8_S8_S9_S9_EESD_ST_SE_SF_SG_EUlST_E1_NS1_11comp_targetILNS1_3genE10ELNS1_11target_archE1201ELNS1_3gpuE5ELNS1_3repE0EEENS1_36merge_oddeven_config_static_selectorELNS0_4arch9wavefront6targetE0EEEvSF_,"axG",@progbits,_ZN7rocprim17ROCPRIM_400000_NS6detail17trampoline_kernelINS0_14default_configENS1_38merge_sort_block_merge_config_selectorIlNS0_10empty_typeEEEZZNS1_27merge_sort_block_merge_implIS3_PlPS5_jNS1_19radix_merge_compareILb0ELb0ElNS0_19identity_decomposerEEEEE10hipError_tT0_T1_T2_jT3_P12ihipStream_tbPNSt15iterator_traitsISE_E10value_typeEPNSK_ISF_E10value_typeEPSG_NS1_7vsmem_tEENKUlT_SE_SF_SG_E_clIS8_S8_S9_S9_EESD_ST_SE_SF_SG_EUlST_E1_NS1_11comp_targetILNS1_3genE10ELNS1_11target_archE1201ELNS1_3gpuE5ELNS1_3repE0EEENS1_36merge_oddeven_config_static_selectorELNS0_4arch9wavefront6targetE0EEEvSF_,comdat
.Lfunc_end1158:
	.size	_ZN7rocprim17ROCPRIM_400000_NS6detail17trampoline_kernelINS0_14default_configENS1_38merge_sort_block_merge_config_selectorIlNS0_10empty_typeEEEZZNS1_27merge_sort_block_merge_implIS3_PlPS5_jNS1_19radix_merge_compareILb0ELb0ElNS0_19identity_decomposerEEEEE10hipError_tT0_T1_T2_jT3_P12ihipStream_tbPNSt15iterator_traitsISE_E10value_typeEPNSK_ISF_E10value_typeEPSG_NS1_7vsmem_tEENKUlT_SE_SF_SG_E_clIS8_S8_S9_S9_EESD_ST_SE_SF_SG_EUlST_E1_NS1_11comp_targetILNS1_3genE10ELNS1_11target_archE1201ELNS1_3gpuE5ELNS1_3repE0EEENS1_36merge_oddeven_config_static_selectorELNS0_4arch9wavefront6targetE0EEEvSF_, .Lfunc_end1158-_ZN7rocprim17ROCPRIM_400000_NS6detail17trampoline_kernelINS0_14default_configENS1_38merge_sort_block_merge_config_selectorIlNS0_10empty_typeEEEZZNS1_27merge_sort_block_merge_implIS3_PlPS5_jNS1_19radix_merge_compareILb0ELb0ElNS0_19identity_decomposerEEEEE10hipError_tT0_T1_T2_jT3_P12ihipStream_tbPNSt15iterator_traitsISE_E10value_typeEPNSK_ISF_E10value_typeEPSG_NS1_7vsmem_tEENKUlT_SE_SF_SG_E_clIS8_S8_S9_S9_EESD_ST_SE_SF_SG_EUlST_E1_NS1_11comp_targetILNS1_3genE10ELNS1_11target_archE1201ELNS1_3gpuE5ELNS1_3repE0EEENS1_36merge_oddeven_config_static_selectorELNS0_4arch9wavefront6targetE0EEEvSF_
                                        ; -- End function
	.set _ZN7rocprim17ROCPRIM_400000_NS6detail17trampoline_kernelINS0_14default_configENS1_38merge_sort_block_merge_config_selectorIlNS0_10empty_typeEEEZZNS1_27merge_sort_block_merge_implIS3_PlPS5_jNS1_19radix_merge_compareILb0ELb0ElNS0_19identity_decomposerEEEEE10hipError_tT0_T1_T2_jT3_P12ihipStream_tbPNSt15iterator_traitsISE_E10value_typeEPNSK_ISF_E10value_typeEPSG_NS1_7vsmem_tEENKUlT_SE_SF_SG_E_clIS8_S8_S9_S9_EESD_ST_SE_SF_SG_EUlST_E1_NS1_11comp_targetILNS1_3genE10ELNS1_11target_archE1201ELNS1_3gpuE5ELNS1_3repE0EEENS1_36merge_oddeven_config_static_selectorELNS0_4arch9wavefront6targetE0EEEvSF_.num_vgpr, 0
	.set _ZN7rocprim17ROCPRIM_400000_NS6detail17trampoline_kernelINS0_14default_configENS1_38merge_sort_block_merge_config_selectorIlNS0_10empty_typeEEEZZNS1_27merge_sort_block_merge_implIS3_PlPS5_jNS1_19radix_merge_compareILb0ELb0ElNS0_19identity_decomposerEEEEE10hipError_tT0_T1_T2_jT3_P12ihipStream_tbPNSt15iterator_traitsISE_E10value_typeEPNSK_ISF_E10value_typeEPSG_NS1_7vsmem_tEENKUlT_SE_SF_SG_E_clIS8_S8_S9_S9_EESD_ST_SE_SF_SG_EUlST_E1_NS1_11comp_targetILNS1_3genE10ELNS1_11target_archE1201ELNS1_3gpuE5ELNS1_3repE0EEENS1_36merge_oddeven_config_static_selectorELNS0_4arch9wavefront6targetE0EEEvSF_.num_agpr, 0
	.set _ZN7rocprim17ROCPRIM_400000_NS6detail17trampoline_kernelINS0_14default_configENS1_38merge_sort_block_merge_config_selectorIlNS0_10empty_typeEEEZZNS1_27merge_sort_block_merge_implIS3_PlPS5_jNS1_19radix_merge_compareILb0ELb0ElNS0_19identity_decomposerEEEEE10hipError_tT0_T1_T2_jT3_P12ihipStream_tbPNSt15iterator_traitsISE_E10value_typeEPNSK_ISF_E10value_typeEPSG_NS1_7vsmem_tEENKUlT_SE_SF_SG_E_clIS8_S8_S9_S9_EESD_ST_SE_SF_SG_EUlST_E1_NS1_11comp_targetILNS1_3genE10ELNS1_11target_archE1201ELNS1_3gpuE5ELNS1_3repE0EEENS1_36merge_oddeven_config_static_selectorELNS0_4arch9wavefront6targetE0EEEvSF_.numbered_sgpr, 0
	.set _ZN7rocprim17ROCPRIM_400000_NS6detail17trampoline_kernelINS0_14default_configENS1_38merge_sort_block_merge_config_selectorIlNS0_10empty_typeEEEZZNS1_27merge_sort_block_merge_implIS3_PlPS5_jNS1_19radix_merge_compareILb0ELb0ElNS0_19identity_decomposerEEEEE10hipError_tT0_T1_T2_jT3_P12ihipStream_tbPNSt15iterator_traitsISE_E10value_typeEPNSK_ISF_E10value_typeEPSG_NS1_7vsmem_tEENKUlT_SE_SF_SG_E_clIS8_S8_S9_S9_EESD_ST_SE_SF_SG_EUlST_E1_NS1_11comp_targetILNS1_3genE10ELNS1_11target_archE1201ELNS1_3gpuE5ELNS1_3repE0EEENS1_36merge_oddeven_config_static_selectorELNS0_4arch9wavefront6targetE0EEEvSF_.num_named_barrier, 0
	.set _ZN7rocprim17ROCPRIM_400000_NS6detail17trampoline_kernelINS0_14default_configENS1_38merge_sort_block_merge_config_selectorIlNS0_10empty_typeEEEZZNS1_27merge_sort_block_merge_implIS3_PlPS5_jNS1_19radix_merge_compareILb0ELb0ElNS0_19identity_decomposerEEEEE10hipError_tT0_T1_T2_jT3_P12ihipStream_tbPNSt15iterator_traitsISE_E10value_typeEPNSK_ISF_E10value_typeEPSG_NS1_7vsmem_tEENKUlT_SE_SF_SG_E_clIS8_S8_S9_S9_EESD_ST_SE_SF_SG_EUlST_E1_NS1_11comp_targetILNS1_3genE10ELNS1_11target_archE1201ELNS1_3gpuE5ELNS1_3repE0EEENS1_36merge_oddeven_config_static_selectorELNS0_4arch9wavefront6targetE0EEEvSF_.private_seg_size, 0
	.set _ZN7rocprim17ROCPRIM_400000_NS6detail17trampoline_kernelINS0_14default_configENS1_38merge_sort_block_merge_config_selectorIlNS0_10empty_typeEEEZZNS1_27merge_sort_block_merge_implIS3_PlPS5_jNS1_19radix_merge_compareILb0ELb0ElNS0_19identity_decomposerEEEEE10hipError_tT0_T1_T2_jT3_P12ihipStream_tbPNSt15iterator_traitsISE_E10value_typeEPNSK_ISF_E10value_typeEPSG_NS1_7vsmem_tEENKUlT_SE_SF_SG_E_clIS8_S8_S9_S9_EESD_ST_SE_SF_SG_EUlST_E1_NS1_11comp_targetILNS1_3genE10ELNS1_11target_archE1201ELNS1_3gpuE5ELNS1_3repE0EEENS1_36merge_oddeven_config_static_selectorELNS0_4arch9wavefront6targetE0EEEvSF_.uses_vcc, 0
	.set _ZN7rocprim17ROCPRIM_400000_NS6detail17trampoline_kernelINS0_14default_configENS1_38merge_sort_block_merge_config_selectorIlNS0_10empty_typeEEEZZNS1_27merge_sort_block_merge_implIS3_PlPS5_jNS1_19radix_merge_compareILb0ELb0ElNS0_19identity_decomposerEEEEE10hipError_tT0_T1_T2_jT3_P12ihipStream_tbPNSt15iterator_traitsISE_E10value_typeEPNSK_ISF_E10value_typeEPSG_NS1_7vsmem_tEENKUlT_SE_SF_SG_E_clIS8_S8_S9_S9_EESD_ST_SE_SF_SG_EUlST_E1_NS1_11comp_targetILNS1_3genE10ELNS1_11target_archE1201ELNS1_3gpuE5ELNS1_3repE0EEENS1_36merge_oddeven_config_static_selectorELNS0_4arch9wavefront6targetE0EEEvSF_.uses_flat_scratch, 0
	.set _ZN7rocprim17ROCPRIM_400000_NS6detail17trampoline_kernelINS0_14default_configENS1_38merge_sort_block_merge_config_selectorIlNS0_10empty_typeEEEZZNS1_27merge_sort_block_merge_implIS3_PlPS5_jNS1_19radix_merge_compareILb0ELb0ElNS0_19identity_decomposerEEEEE10hipError_tT0_T1_T2_jT3_P12ihipStream_tbPNSt15iterator_traitsISE_E10value_typeEPNSK_ISF_E10value_typeEPSG_NS1_7vsmem_tEENKUlT_SE_SF_SG_E_clIS8_S8_S9_S9_EESD_ST_SE_SF_SG_EUlST_E1_NS1_11comp_targetILNS1_3genE10ELNS1_11target_archE1201ELNS1_3gpuE5ELNS1_3repE0EEENS1_36merge_oddeven_config_static_selectorELNS0_4arch9wavefront6targetE0EEEvSF_.has_dyn_sized_stack, 0
	.set _ZN7rocprim17ROCPRIM_400000_NS6detail17trampoline_kernelINS0_14default_configENS1_38merge_sort_block_merge_config_selectorIlNS0_10empty_typeEEEZZNS1_27merge_sort_block_merge_implIS3_PlPS5_jNS1_19radix_merge_compareILb0ELb0ElNS0_19identity_decomposerEEEEE10hipError_tT0_T1_T2_jT3_P12ihipStream_tbPNSt15iterator_traitsISE_E10value_typeEPNSK_ISF_E10value_typeEPSG_NS1_7vsmem_tEENKUlT_SE_SF_SG_E_clIS8_S8_S9_S9_EESD_ST_SE_SF_SG_EUlST_E1_NS1_11comp_targetILNS1_3genE10ELNS1_11target_archE1201ELNS1_3gpuE5ELNS1_3repE0EEENS1_36merge_oddeven_config_static_selectorELNS0_4arch9wavefront6targetE0EEEvSF_.has_recursion, 0
	.set _ZN7rocprim17ROCPRIM_400000_NS6detail17trampoline_kernelINS0_14default_configENS1_38merge_sort_block_merge_config_selectorIlNS0_10empty_typeEEEZZNS1_27merge_sort_block_merge_implIS3_PlPS5_jNS1_19radix_merge_compareILb0ELb0ElNS0_19identity_decomposerEEEEE10hipError_tT0_T1_T2_jT3_P12ihipStream_tbPNSt15iterator_traitsISE_E10value_typeEPNSK_ISF_E10value_typeEPSG_NS1_7vsmem_tEENKUlT_SE_SF_SG_E_clIS8_S8_S9_S9_EESD_ST_SE_SF_SG_EUlST_E1_NS1_11comp_targetILNS1_3genE10ELNS1_11target_archE1201ELNS1_3gpuE5ELNS1_3repE0EEENS1_36merge_oddeven_config_static_selectorELNS0_4arch9wavefront6targetE0EEEvSF_.has_indirect_call, 0
	.section	.AMDGPU.csdata,"",@progbits
; Kernel info:
; codeLenInByte = 0
; TotalNumSgprs: 0
; NumVgprs: 0
; ScratchSize: 0
; MemoryBound: 0
; FloatMode: 240
; IeeeMode: 1
; LDSByteSize: 0 bytes/workgroup (compile time only)
; SGPRBlocks: 0
; VGPRBlocks: 0
; NumSGPRsForWavesPerEU: 1
; NumVGPRsForWavesPerEU: 1
; NamedBarCnt: 0
; Occupancy: 16
; WaveLimiterHint : 0
; COMPUTE_PGM_RSRC2:SCRATCH_EN: 0
; COMPUTE_PGM_RSRC2:USER_SGPR: 2
; COMPUTE_PGM_RSRC2:TRAP_HANDLER: 0
; COMPUTE_PGM_RSRC2:TGID_X_EN: 1
; COMPUTE_PGM_RSRC2:TGID_Y_EN: 0
; COMPUTE_PGM_RSRC2:TGID_Z_EN: 0
; COMPUTE_PGM_RSRC2:TIDIG_COMP_CNT: 0
	.section	.text._ZN7rocprim17ROCPRIM_400000_NS6detail17trampoline_kernelINS0_14default_configENS1_38merge_sort_block_merge_config_selectorIlNS0_10empty_typeEEEZZNS1_27merge_sort_block_merge_implIS3_PlPS5_jNS1_19radix_merge_compareILb0ELb0ElNS0_19identity_decomposerEEEEE10hipError_tT0_T1_T2_jT3_P12ihipStream_tbPNSt15iterator_traitsISE_E10value_typeEPNSK_ISF_E10value_typeEPSG_NS1_7vsmem_tEENKUlT_SE_SF_SG_E_clIS8_S8_S9_S9_EESD_ST_SE_SF_SG_EUlST_E1_NS1_11comp_targetILNS1_3genE5ELNS1_11target_archE942ELNS1_3gpuE9ELNS1_3repE0EEENS1_36merge_oddeven_config_static_selectorELNS0_4arch9wavefront6targetE0EEEvSF_,"axG",@progbits,_ZN7rocprim17ROCPRIM_400000_NS6detail17trampoline_kernelINS0_14default_configENS1_38merge_sort_block_merge_config_selectorIlNS0_10empty_typeEEEZZNS1_27merge_sort_block_merge_implIS3_PlPS5_jNS1_19radix_merge_compareILb0ELb0ElNS0_19identity_decomposerEEEEE10hipError_tT0_T1_T2_jT3_P12ihipStream_tbPNSt15iterator_traitsISE_E10value_typeEPNSK_ISF_E10value_typeEPSG_NS1_7vsmem_tEENKUlT_SE_SF_SG_E_clIS8_S8_S9_S9_EESD_ST_SE_SF_SG_EUlST_E1_NS1_11comp_targetILNS1_3genE5ELNS1_11target_archE942ELNS1_3gpuE9ELNS1_3repE0EEENS1_36merge_oddeven_config_static_selectorELNS0_4arch9wavefront6targetE0EEEvSF_,comdat
	.protected	_ZN7rocprim17ROCPRIM_400000_NS6detail17trampoline_kernelINS0_14default_configENS1_38merge_sort_block_merge_config_selectorIlNS0_10empty_typeEEEZZNS1_27merge_sort_block_merge_implIS3_PlPS5_jNS1_19radix_merge_compareILb0ELb0ElNS0_19identity_decomposerEEEEE10hipError_tT0_T1_T2_jT3_P12ihipStream_tbPNSt15iterator_traitsISE_E10value_typeEPNSK_ISF_E10value_typeEPSG_NS1_7vsmem_tEENKUlT_SE_SF_SG_E_clIS8_S8_S9_S9_EESD_ST_SE_SF_SG_EUlST_E1_NS1_11comp_targetILNS1_3genE5ELNS1_11target_archE942ELNS1_3gpuE9ELNS1_3repE0EEENS1_36merge_oddeven_config_static_selectorELNS0_4arch9wavefront6targetE0EEEvSF_ ; -- Begin function _ZN7rocprim17ROCPRIM_400000_NS6detail17trampoline_kernelINS0_14default_configENS1_38merge_sort_block_merge_config_selectorIlNS0_10empty_typeEEEZZNS1_27merge_sort_block_merge_implIS3_PlPS5_jNS1_19radix_merge_compareILb0ELb0ElNS0_19identity_decomposerEEEEE10hipError_tT0_T1_T2_jT3_P12ihipStream_tbPNSt15iterator_traitsISE_E10value_typeEPNSK_ISF_E10value_typeEPSG_NS1_7vsmem_tEENKUlT_SE_SF_SG_E_clIS8_S8_S9_S9_EESD_ST_SE_SF_SG_EUlST_E1_NS1_11comp_targetILNS1_3genE5ELNS1_11target_archE942ELNS1_3gpuE9ELNS1_3repE0EEENS1_36merge_oddeven_config_static_selectorELNS0_4arch9wavefront6targetE0EEEvSF_
	.globl	_ZN7rocprim17ROCPRIM_400000_NS6detail17trampoline_kernelINS0_14default_configENS1_38merge_sort_block_merge_config_selectorIlNS0_10empty_typeEEEZZNS1_27merge_sort_block_merge_implIS3_PlPS5_jNS1_19radix_merge_compareILb0ELb0ElNS0_19identity_decomposerEEEEE10hipError_tT0_T1_T2_jT3_P12ihipStream_tbPNSt15iterator_traitsISE_E10value_typeEPNSK_ISF_E10value_typeEPSG_NS1_7vsmem_tEENKUlT_SE_SF_SG_E_clIS8_S8_S9_S9_EESD_ST_SE_SF_SG_EUlST_E1_NS1_11comp_targetILNS1_3genE5ELNS1_11target_archE942ELNS1_3gpuE9ELNS1_3repE0EEENS1_36merge_oddeven_config_static_selectorELNS0_4arch9wavefront6targetE0EEEvSF_
	.p2align	8
	.type	_ZN7rocprim17ROCPRIM_400000_NS6detail17trampoline_kernelINS0_14default_configENS1_38merge_sort_block_merge_config_selectorIlNS0_10empty_typeEEEZZNS1_27merge_sort_block_merge_implIS3_PlPS5_jNS1_19radix_merge_compareILb0ELb0ElNS0_19identity_decomposerEEEEE10hipError_tT0_T1_T2_jT3_P12ihipStream_tbPNSt15iterator_traitsISE_E10value_typeEPNSK_ISF_E10value_typeEPSG_NS1_7vsmem_tEENKUlT_SE_SF_SG_E_clIS8_S8_S9_S9_EESD_ST_SE_SF_SG_EUlST_E1_NS1_11comp_targetILNS1_3genE5ELNS1_11target_archE942ELNS1_3gpuE9ELNS1_3repE0EEENS1_36merge_oddeven_config_static_selectorELNS0_4arch9wavefront6targetE0EEEvSF_,@function
_ZN7rocprim17ROCPRIM_400000_NS6detail17trampoline_kernelINS0_14default_configENS1_38merge_sort_block_merge_config_selectorIlNS0_10empty_typeEEEZZNS1_27merge_sort_block_merge_implIS3_PlPS5_jNS1_19radix_merge_compareILb0ELb0ElNS0_19identity_decomposerEEEEE10hipError_tT0_T1_T2_jT3_P12ihipStream_tbPNSt15iterator_traitsISE_E10value_typeEPNSK_ISF_E10value_typeEPSG_NS1_7vsmem_tEENKUlT_SE_SF_SG_E_clIS8_S8_S9_S9_EESD_ST_SE_SF_SG_EUlST_E1_NS1_11comp_targetILNS1_3genE5ELNS1_11target_archE942ELNS1_3gpuE9ELNS1_3repE0EEENS1_36merge_oddeven_config_static_selectorELNS0_4arch9wavefront6targetE0EEEvSF_: ; @_ZN7rocprim17ROCPRIM_400000_NS6detail17trampoline_kernelINS0_14default_configENS1_38merge_sort_block_merge_config_selectorIlNS0_10empty_typeEEEZZNS1_27merge_sort_block_merge_implIS3_PlPS5_jNS1_19radix_merge_compareILb0ELb0ElNS0_19identity_decomposerEEEEE10hipError_tT0_T1_T2_jT3_P12ihipStream_tbPNSt15iterator_traitsISE_E10value_typeEPNSK_ISF_E10value_typeEPSG_NS1_7vsmem_tEENKUlT_SE_SF_SG_E_clIS8_S8_S9_S9_EESD_ST_SE_SF_SG_EUlST_E1_NS1_11comp_targetILNS1_3genE5ELNS1_11target_archE942ELNS1_3gpuE9ELNS1_3repE0EEENS1_36merge_oddeven_config_static_selectorELNS0_4arch9wavefront6targetE0EEEvSF_
; %bb.0:
	.section	.rodata,"a",@progbits
	.p2align	6, 0x0
	.amdhsa_kernel _ZN7rocprim17ROCPRIM_400000_NS6detail17trampoline_kernelINS0_14default_configENS1_38merge_sort_block_merge_config_selectorIlNS0_10empty_typeEEEZZNS1_27merge_sort_block_merge_implIS3_PlPS5_jNS1_19radix_merge_compareILb0ELb0ElNS0_19identity_decomposerEEEEE10hipError_tT0_T1_T2_jT3_P12ihipStream_tbPNSt15iterator_traitsISE_E10value_typeEPNSK_ISF_E10value_typeEPSG_NS1_7vsmem_tEENKUlT_SE_SF_SG_E_clIS8_S8_S9_S9_EESD_ST_SE_SF_SG_EUlST_E1_NS1_11comp_targetILNS1_3genE5ELNS1_11target_archE942ELNS1_3gpuE9ELNS1_3repE0EEENS1_36merge_oddeven_config_static_selectorELNS0_4arch9wavefront6targetE0EEEvSF_
		.amdhsa_group_segment_fixed_size 0
		.amdhsa_private_segment_fixed_size 0
		.amdhsa_kernarg_size 48
		.amdhsa_user_sgpr_count 2
		.amdhsa_user_sgpr_dispatch_ptr 0
		.amdhsa_user_sgpr_queue_ptr 0
		.amdhsa_user_sgpr_kernarg_segment_ptr 1
		.amdhsa_user_sgpr_dispatch_id 0
		.amdhsa_user_sgpr_kernarg_preload_length 0
		.amdhsa_user_sgpr_kernarg_preload_offset 0
		.amdhsa_user_sgpr_private_segment_size 0
		.amdhsa_wavefront_size32 1
		.amdhsa_uses_dynamic_stack 0
		.amdhsa_enable_private_segment 0
		.amdhsa_system_sgpr_workgroup_id_x 1
		.amdhsa_system_sgpr_workgroup_id_y 0
		.amdhsa_system_sgpr_workgroup_id_z 0
		.amdhsa_system_sgpr_workgroup_info 0
		.amdhsa_system_vgpr_workitem_id 0
		.amdhsa_next_free_vgpr 1
		.amdhsa_next_free_sgpr 1
		.amdhsa_named_barrier_count 0
		.amdhsa_reserve_vcc 0
		.amdhsa_float_round_mode_32 0
		.amdhsa_float_round_mode_16_64 0
		.amdhsa_float_denorm_mode_32 3
		.amdhsa_float_denorm_mode_16_64 3
		.amdhsa_fp16_overflow 0
		.amdhsa_memory_ordered 1
		.amdhsa_forward_progress 1
		.amdhsa_inst_pref_size 0
		.amdhsa_round_robin_scheduling 0
		.amdhsa_exception_fp_ieee_invalid_op 0
		.amdhsa_exception_fp_denorm_src 0
		.amdhsa_exception_fp_ieee_div_zero 0
		.amdhsa_exception_fp_ieee_overflow 0
		.amdhsa_exception_fp_ieee_underflow 0
		.amdhsa_exception_fp_ieee_inexact 0
		.amdhsa_exception_int_div_zero 0
	.end_amdhsa_kernel
	.section	.text._ZN7rocprim17ROCPRIM_400000_NS6detail17trampoline_kernelINS0_14default_configENS1_38merge_sort_block_merge_config_selectorIlNS0_10empty_typeEEEZZNS1_27merge_sort_block_merge_implIS3_PlPS5_jNS1_19radix_merge_compareILb0ELb0ElNS0_19identity_decomposerEEEEE10hipError_tT0_T1_T2_jT3_P12ihipStream_tbPNSt15iterator_traitsISE_E10value_typeEPNSK_ISF_E10value_typeEPSG_NS1_7vsmem_tEENKUlT_SE_SF_SG_E_clIS8_S8_S9_S9_EESD_ST_SE_SF_SG_EUlST_E1_NS1_11comp_targetILNS1_3genE5ELNS1_11target_archE942ELNS1_3gpuE9ELNS1_3repE0EEENS1_36merge_oddeven_config_static_selectorELNS0_4arch9wavefront6targetE0EEEvSF_,"axG",@progbits,_ZN7rocprim17ROCPRIM_400000_NS6detail17trampoline_kernelINS0_14default_configENS1_38merge_sort_block_merge_config_selectorIlNS0_10empty_typeEEEZZNS1_27merge_sort_block_merge_implIS3_PlPS5_jNS1_19radix_merge_compareILb0ELb0ElNS0_19identity_decomposerEEEEE10hipError_tT0_T1_T2_jT3_P12ihipStream_tbPNSt15iterator_traitsISE_E10value_typeEPNSK_ISF_E10value_typeEPSG_NS1_7vsmem_tEENKUlT_SE_SF_SG_E_clIS8_S8_S9_S9_EESD_ST_SE_SF_SG_EUlST_E1_NS1_11comp_targetILNS1_3genE5ELNS1_11target_archE942ELNS1_3gpuE9ELNS1_3repE0EEENS1_36merge_oddeven_config_static_selectorELNS0_4arch9wavefront6targetE0EEEvSF_,comdat
.Lfunc_end1159:
	.size	_ZN7rocprim17ROCPRIM_400000_NS6detail17trampoline_kernelINS0_14default_configENS1_38merge_sort_block_merge_config_selectorIlNS0_10empty_typeEEEZZNS1_27merge_sort_block_merge_implIS3_PlPS5_jNS1_19radix_merge_compareILb0ELb0ElNS0_19identity_decomposerEEEEE10hipError_tT0_T1_T2_jT3_P12ihipStream_tbPNSt15iterator_traitsISE_E10value_typeEPNSK_ISF_E10value_typeEPSG_NS1_7vsmem_tEENKUlT_SE_SF_SG_E_clIS8_S8_S9_S9_EESD_ST_SE_SF_SG_EUlST_E1_NS1_11comp_targetILNS1_3genE5ELNS1_11target_archE942ELNS1_3gpuE9ELNS1_3repE0EEENS1_36merge_oddeven_config_static_selectorELNS0_4arch9wavefront6targetE0EEEvSF_, .Lfunc_end1159-_ZN7rocprim17ROCPRIM_400000_NS6detail17trampoline_kernelINS0_14default_configENS1_38merge_sort_block_merge_config_selectorIlNS0_10empty_typeEEEZZNS1_27merge_sort_block_merge_implIS3_PlPS5_jNS1_19radix_merge_compareILb0ELb0ElNS0_19identity_decomposerEEEEE10hipError_tT0_T1_T2_jT3_P12ihipStream_tbPNSt15iterator_traitsISE_E10value_typeEPNSK_ISF_E10value_typeEPSG_NS1_7vsmem_tEENKUlT_SE_SF_SG_E_clIS8_S8_S9_S9_EESD_ST_SE_SF_SG_EUlST_E1_NS1_11comp_targetILNS1_3genE5ELNS1_11target_archE942ELNS1_3gpuE9ELNS1_3repE0EEENS1_36merge_oddeven_config_static_selectorELNS0_4arch9wavefront6targetE0EEEvSF_
                                        ; -- End function
	.set _ZN7rocprim17ROCPRIM_400000_NS6detail17trampoline_kernelINS0_14default_configENS1_38merge_sort_block_merge_config_selectorIlNS0_10empty_typeEEEZZNS1_27merge_sort_block_merge_implIS3_PlPS5_jNS1_19radix_merge_compareILb0ELb0ElNS0_19identity_decomposerEEEEE10hipError_tT0_T1_T2_jT3_P12ihipStream_tbPNSt15iterator_traitsISE_E10value_typeEPNSK_ISF_E10value_typeEPSG_NS1_7vsmem_tEENKUlT_SE_SF_SG_E_clIS8_S8_S9_S9_EESD_ST_SE_SF_SG_EUlST_E1_NS1_11comp_targetILNS1_3genE5ELNS1_11target_archE942ELNS1_3gpuE9ELNS1_3repE0EEENS1_36merge_oddeven_config_static_selectorELNS0_4arch9wavefront6targetE0EEEvSF_.num_vgpr, 0
	.set _ZN7rocprim17ROCPRIM_400000_NS6detail17trampoline_kernelINS0_14default_configENS1_38merge_sort_block_merge_config_selectorIlNS0_10empty_typeEEEZZNS1_27merge_sort_block_merge_implIS3_PlPS5_jNS1_19radix_merge_compareILb0ELb0ElNS0_19identity_decomposerEEEEE10hipError_tT0_T1_T2_jT3_P12ihipStream_tbPNSt15iterator_traitsISE_E10value_typeEPNSK_ISF_E10value_typeEPSG_NS1_7vsmem_tEENKUlT_SE_SF_SG_E_clIS8_S8_S9_S9_EESD_ST_SE_SF_SG_EUlST_E1_NS1_11comp_targetILNS1_3genE5ELNS1_11target_archE942ELNS1_3gpuE9ELNS1_3repE0EEENS1_36merge_oddeven_config_static_selectorELNS0_4arch9wavefront6targetE0EEEvSF_.num_agpr, 0
	.set _ZN7rocprim17ROCPRIM_400000_NS6detail17trampoline_kernelINS0_14default_configENS1_38merge_sort_block_merge_config_selectorIlNS0_10empty_typeEEEZZNS1_27merge_sort_block_merge_implIS3_PlPS5_jNS1_19radix_merge_compareILb0ELb0ElNS0_19identity_decomposerEEEEE10hipError_tT0_T1_T2_jT3_P12ihipStream_tbPNSt15iterator_traitsISE_E10value_typeEPNSK_ISF_E10value_typeEPSG_NS1_7vsmem_tEENKUlT_SE_SF_SG_E_clIS8_S8_S9_S9_EESD_ST_SE_SF_SG_EUlST_E1_NS1_11comp_targetILNS1_3genE5ELNS1_11target_archE942ELNS1_3gpuE9ELNS1_3repE0EEENS1_36merge_oddeven_config_static_selectorELNS0_4arch9wavefront6targetE0EEEvSF_.numbered_sgpr, 0
	.set _ZN7rocprim17ROCPRIM_400000_NS6detail17trampoline_kernelINS0_14default_configENS1_38merge_sort_block_merge_config_selectorIlNS0_10empty_typeEEEZZNS1_27merge_sort_block_merge_implIS3_PlPS5_jNS1_19radix_merge_compareILb0ELb0ElNS0_19identity_decomposerEEEEE10hipError_tT0_T1_T2_jT3_P12ihipStream_tbPNSt15iterator_traitsISE_E10value_typeEPNSK_ISF_E10value_typeEPSG_NS1_7vsmem_tEENKUlT_SE_SF_SG_E_clIS8_S8_S9_S9_EESD_ST_SE_SF_SG_EUlST_E1_NS1_11comp_targetILNS1_3genE5ELNS1_11target_archE942ELNS1_3gpuE9ELNS1_3repE0EEENS1_36merge_oddeven_config_static_selectorELNS0_4arch9wavefront6targetE0EEEvSF_.num_named_barrier, 0
	.set _ZN7rocprim17ROCPRIM_400000_NS6detail17trampoline_kernelINS0_14default_configENS1_38merge_sort_block_merge_config_selectorIlNS0_10empty_typeEEEZZNS1_27merge_sort_block_merge_implIS3_PlPS5_jNS1_19radix_merge_compareILb0ELb0ElNS0_19identity_decomposerEEEEE10hipError_tT0_T1_T2_jT3_P12ihipStream_tbPNSt15iterator_traitsISE_E10value_typeEPNSK_ISF_E10value_typeEPSG_NS1_7vsmem_tEENKUlT_SE_SF_SG_E_clIS8_S8_S9_S9_EESD_ST_SE_SF_SG_EUlST_E1_NS1_11comp_targetILNS1_3genE5ELNS1_11target_archE942ELNS1_3gpuE9ELNS1_3repE0EEENS1_36merge_oddeven_config_static_selectorELNS0_4arch9wavefront6targetE0EEEvSF_.private_seg_size, 0
	.set _ZN7rocprim17ROCPRIM_400000_NS6detail17trampoline_kernelINS0_14default_configENS1_38merge_sort_block_merge_config_selectorIlNS0_10empty_typeEEEZZNS1_27merge_sort_block_merge_implIS3_PlPS5_jNS1_19radix_merge_compareILb0ELb0ElNS0_19identity_decomposerEEEEE10hipError_tT0_T1_T2_jT3_P12ihipStream_tbPNSt15iterator_traitsISE_E10value_typeEPNSK_ISF_E10value_typeEPSG_NS1_7vsmem_tEENKUlT_SE_SF_SG_E_clIS8_S8_S9_S9_EESD_ST_SE_SF_SG_EUlST_E1_NS1_11comp_targetILNS1_3genE5ELNS1_11target_archE942ELNS1_3gpuE9ELNS1_3repE0EEENS1_36merge_oddeven_config_static_selectorELNS0_4arch9wavefront6targetE0EEEvSF_.uses_vcc, 0
	.set _ZN7rocprim17ROCPRIM_400000_NS6detail17trampoline_kernelINS0_14default_configENS1_38merge_sort_block_merge_config_selectorIlNS0_10empty_typeEEEZZNS1_27merge_sort_block_merge_implIS3_PlPS5_jNS1_19radix_merge_compareILb0ELb0ElNS0_19identity_decomposerEEEEE10hipError_tT0_T1_T2_jT3_P12ihipStream_tbPNSt15iterator_traitsISE_E10value_typeEPNSK_ISF_E10value_typeEPSG_NS1_7vsmem_tEENKUlT_SE_SF_SG_E_clIS8_S8_S9_S9_EESD_ST_SE_SF_SG_EUlST_E1_NS1_11comp_targetILNS1_3genE5ELNS1_11target_archE942ELNS1_3gpuE9ELNS1_3repE0EEENS1_36merge_oddeven_config_static_selectorELNS0_4arch9wavefront6targetE0EEEvSF_.uses_flat_scratch, 0
	.set _ZN7rocprim17ROCPRIM_400000_NS6detail17trampoline_kernelINS0_14default_configENS1_38merge_sort_block_merge_config_selectorIlNS0_10empty_typeEEEZZNS1_27merge_sort_block_merge_implIS3_PlPS5_jNS1_19radix_merge_compareILb0ELb0ElNS0_19identity_decomposerEEEEE10hipError_tT0_T1_T2_jT3_P12ihipStream_tbPNSt15iterator_traitsISE_E10value_typeEPNSK_ISF_E10value_typeEPSG_NS1_7vsmem_tEENKUlT_SE_SF_SG_E_clIS8_S8_S9_S9_EESD_ST_SE_SF_SG_EUlST_E1_NS1_11comp_targetILNS1_3genE5ELNS1_11target_archE942ELNS1_3gpuE9ELNS1_3repE0EEENS1_36merge_oddeven_config_static_selectorELNS0_4arch9wavefront6targetE0EEEvSF_.has_dyn_sized_stack, 0
	.set _ZN7rocprim17ROCPRIM_400000_NS6detail17trampoline_kernelINS0_14default_configENS1_38merge_sort_block_merge_config_selectorIlNS0_10empty_typeEEEZZNS1_27merge_sort_block_merge_implIS3_PlPS5_jNS1_19radix_merge_compareILb0ELb0ElNS0_19identity_decomposerEEEEE10hipError_tT0_T1_T2_jT3_P12ihipStream_tbPNSt15iterator_traitsISE_E10value_typeEPNSK_ISF_E10value_typeEPSG_NS1_7vsmem_tEENKUlT_SE_SF_SG_E_clIS8_S8_S9_S9_EESD_ST_SE_SF_SG_EUlST_E1_NS1_11comp_targetILNS1_3genE5ELNS1_11target_archE942ELNS1_3gpuE9ELNS1_3repE0EEENS1_36merge_oddeven_config_static_selectorELNS0_4arch9wavefront6targetE0EEEvSF_.has_recursion, 0
	.set _ZN7rocprim17ROCPRIM_400000_NS6detail17trampoline_kernelINS0_14default_configENS1_38merge_sort_block_merge_config_selectorIlNS0_10empty_typeEEEZZNS1_27merge_sort_block_merge_implIS3_PlPS5_jNS1_19radix_merge_compareILb0ELb0ElNS0_19identity_decomposerEEEEE10hipError_tT0_T1_T2_jT3_P12ihipStream_tbPNSt15iterator_traitsISE_E10value_typeEPNSK_ISF_E10value_typeEPSG_NS1_7vsmem_tEENKUlT_SE_SF_SG_E_clIS8_S8_S9_S9_EESD_ST_SE_SF_SG_EUlST_E1_NS1_11comp_targetILNS1_3genE5ELNS1_11target_archE942ELNS1_3gpuE9ELNS1_3repE0EEENS1_36merge_oddeven_config_static_selectorELNS0_4arch9wavefront6targetE0EEEvSF_.has_indirect_call, 0
	.section	.AMDGPU.csdata,"",@progbits
; Kernel info:
; codeLenInByte = 0
; TotalNumSgprs: 0
; NumVgprs: 0
; ScratchSize: 0
; MemoryBound: 0
; FloatMode: 240
; IeeeMode: 1
; LDSByteSize: 0 bytes/workgroup (compile time only)
; SGPRBlocks: 0
; VGPRBlocks: 0
; NumSGPRsForWavesPerEU: 1
; NumVGPRsForWavesPerEU: 1
; NamedBarCnt: 0
; Occupancy: 16
; WaveLimiterHint : 0
; COMPUTE_PGM_RSRC2:SCRATCH_EN: 0
; COMPUTE_PGM_RSRC2:USER_SGPR: 2
; COMPUTE_PGM_RSRC2:TRAP_HANDLER: 0
; COMPUTE_PGM_RSRC2:TGID_X_EN: 1
; COMPUTE_PGM_RSRC2:TGID_Y_EN: 0
; COMPUTE_PGM_RSRC2:TGID_Z_EN: 0
; COMPUTE_PGM_RSRC2:TIDIG_COMP_CNT: 0
	.section	.text._ZN7rocprim17ROCPRIM_400000_NS6detail17trampoline_kernelINS0_14default_configENS1_38merge_sort_block_merge_config_selectorIlNS0_10empty_typeEEEZZNS1_27merge_sort_block_merge_implIS3_PlPS5_jNS1_19radix_merge_compareILb0ELb0ElNS0_19identity_decomposerEEEEE10hipError_tT0_T1_T2_jT3_P12ihipStream_tbPNSt15iterator_traitsISE_E10value_typeEPNSK_ISF_E10value_typeEPSG_NS1_7vsmem_tEENKUlT_SE_SF_SG_E_clIS8_S8_S9_S9_EESD_ST_SE_SF_SG_EUlST_E1_NS1_11comp_targetILNS1_3genE4ELNS1_11target_archE910ELNS1_3gpuE8ELNS1_3repE0EEENS1_36merge_oddeven_config_static_selectorELNS0_4arch9wavefront6targetE0EEEvSF_,"axG",@progbits,_ZN7rocprim17ROCPRIM_400000_NS6detail17trampoline_kernelINS0_14default_configENS1_38merge_sort_block_merge_config_selectorIlNS0_10empty_typeEEEZZNS1_27merge_sort_block_merge_implIS3_PlPS5_jNS1_19radix_merge_compareILb0ELb0ElNS0_19identity_decomposerEEEEE10hipError_tT0_T1_T2_jT3_P12ihipStream_tbPNSt15iterator_traitsISE_E10value_typeEPNSK_ISF_E10value_typeEPSG_NS1_7vsmem_tEENKUlT_SE_SF_SG_E_clIS8_S8_S9_S9_EESD_ST_SE_SF_SG_EUlST_E1_NS1_11comp_targetILNS1_3genE4ELNS1_11target_archE910ELNS1_3gpuE8ELNS1_3repE0EEENS1_36merge_oddeven_config_static_selectorELNS0_4arch9wavefront6targetE0EEEvSF_,comdat
	.protected	_ZN7rocprim17ROCPRIM_400000_NS6detail17trampoline_kernelINS0_14default_configENS1_38merge_sort_block_merge_config_selectorIlNS0_10empty_typeEEEZZNS1_27merge_sort_block_merge_implIS3_PlPS5_jNS1_19radix_merge_compareILb0ELb0ElNS0_19identity_decomposerEEEEE10hipError_tT0_T1_T2_jT3_P12ihipStream_tbPNSt15iterator_traitsISE_E10value_typeEPNSK_ISF_E10value_typeEPSG_NS1_7vsmem_tEENKUlT_SE_SF_SG_E_clIS8_S8_S9_S9_EESD_ST_SE_SF_SG_EUlST_E1_NS1_11comp_targetILNS1_3genE4ELNS1_11target_archE910ELNS1_3gpuE8ELNS1_3repE0EEENS1_36merge_oddeven_config_static_selectorELNS0_4arch9wavefront6targetE0EEEvSF_ ; -- Begin function _ZN7rocprim17ROCPRIM_400000_NS6detail17trampoline_kernelINS0_14default_configENS1_38merge_sort_block_merge_config_selectorIlNS0_10empty_typeEEEZZNS1_27merge_sort_block_merge_implIS3_PlPS5_jNS1_19radix_merge_compareILb0ELb0ElNS0_19identity_decomposerEEEEE10hipError_tT0_T1_T2_jT3_P12ihipStream_tbPNSt15iterator_traitsISE_E10value_typeEPNSK_ISF_E10value_typeEPSG_NS1_7vsmem_tEENKUlT_SE_SF_SG_E_clIS8_S8_S9_S9_EESD_ST_SE_SF_SG_EUlST_E1_NS1_11comp_targetILNS1_3genE4ELNS1_11target_archE910ELNS1_3gpuE8ELNS1_3repE0EEENS1_36merge_oddeven_config_static_selectorELNS0_4arch9wavefront6targetE0EEEvSF_
	.globl	_ZN7rocprim17ROCPRIM_400000_NS6detail17trampoline_kernelINS0_14default_configENS1_38merge_sort_block_merge_config_selectorIlNS0_10empty_typeEEEZZNS1_27merge_sort_block_merge_implIS3_PlPS5_jNS1_19radix_merge_compareILb0ELb0ElNS0_19identity_decomposerEEEEE10hipError_tT0_T1_T2_jT3_P12ihipStream_tbPNSt15iterator_traitsISE_E10value_typeEPNSK_ISF_E10value_typeEPSG_NS1_7vsmem_tEENKUlT_SE_SF_SG_E_clIS8_S8_S9_S9_EESD_ST_SE_SF_SG_EUlST_E1_NS1_11comp_targetILNS1_3genE4ELNS1_11target_archE910ELNS1_3gpuE8ELNS1_3repE0EEENS1_36merge_oddeven_config_static_selectorELNS0_4arch9wavefront6targetE0EEEvSF_
	.p2align	8
	.type	_ZN7rocprim17ROCPRIM_400000_NS6detail17trampoline_kernelINS0_14default_configENS1_38merge_sort_block_merge_config_selectorIlNS0_10empty_typeEEEZZNS1_27merge_sort_block_merge_implIS3_PlPS5_jNS1_19radix_merge_compareILb0ELb0ElNS0_19identity_decomposerEEEEE10hipError_tT0_T1_T2_jT3_P12ihipStream_tbPNSt15iterator_traitsISE_E10value_typeEPNSK_ISF_E10value_typeEPSG_NS1_7vsmem_tEENKUlT_SE_SF_SG_E_clIS8_S8_S9_S9_EESD_ST_SE_SF_SG_EUlST_E1_NS1_11comp_targetILNS1_3genE4ELNS1_11target_archE910ELNS1_3gpuE8ELNS1_3repE0EEENS1_36merge_oddeven_config_static_selectorELNS0_4arch9wavefront6targetE0EEEvSF_,@function
_ZN7rocprim17ROCPRIM_400000_NS6detail17trampoline_kernelINS0_14default_configENS1_38merge_sort_block_merge_config_selectorIlNS0_10empty_typeEEEZZNS1_27merge_sort_block_merge_implIS3_PlPS5_jNS1_19radix_merge_compareILb0ELb0ElNS0_19identity_decomposerEEEEE10hipError_tT0_T1_T2_jT3_P12ihipStream_tbPNSt15iterator_traitsISE_E10value_typeEPNSK_ISF_E10value_typeEPSG_NS1_7vsmem_tEENKUlT_SE_SF_SG_E_clIS8_S8_S9_S9_EESD_ST_SE_SF_SG_EUlST_E1_NS1_11comp_targetILNS1_3genE4ELNS1_11target_archE910ELNS1_3gpuE8ELNS1_3repE0EEENS1_36merge_oddeven_config_static_selectorELNS0_4arch9wavefront6targetE0EEEvSF_: ; @_ZN7rocprim17ROCPRIM_400000_NS6detail17trampoline_kernelINS0_14default_configENS1_38merge_sort_block_merge_config_selectorIlNS0_10empty_typeEEEZZNS1_27merge_sort_block_merge_implIS3_PlPS5_jNS1_19radix_merge_compareILb0ELb0ElNS0_19identity_decomposerEEEEE10hipError_tT0_T1_T2_jT3_P12ihipStream_tbPNSt15iterator_traitsISE_E10value_typeEPNSK_ISF_E10value_typeEPSG_NS1_7vsmem_tEENKUlT_SE_SF_SG_E_clIS8_S8_S9_S9_EESD_ST_SE_SF_SG_EUlST_E1_NS1_11comp_targetILNS1_3genE4ELNS1_11target_archE910ELNS1_3gpuE8ELNS1_3repE0EEENS1_36merge_oddeven_config_static_selectorELNS0_4arch9wavefront6targetE0EEEvSF_
; %bb.0:
	.section	.rodata,"a",@progbits
	.p2align	6, 0x0
	.amdhsa_kernel _ZN7rocprim17ROCPRIM_400000_NS6detail17trampoline_kernelINS0_14default_configENS1_38merge_sort_block_merge_config_selectorIlNS0_10empty_typeEEEZZNS1_27merge_sort_block_merge_implIS3_PlPS5_jNS1_19radix_merge_compareILb0ELb0ElNS0_19identity_decomposerEEEEE10hipError_tT0_T1_T2_jT3_P12ihipStream_tbPNSt15iterator_traitsISE_E10value_typeEPNSK_ISF_E10value_typeEPSG_NS1_7vsmem_tEENKUlT_SE_SF_SG_E_clIS8_S8_S9_S9_EESD_ST_SE_SF_SG_EUlST_E1_NS1_11comp_targetILNS1_3genE4ELNS1_11target_archE910ELNS1_3gpuE8ELNS1_3repE0EEENS1_36merge_oddeven_config_static_selectorELNS0_4arch9wavefront6targetE0EEEvSF_
		.amdhsa_group_segment_fixed_size 0
		.amdhsa_private_segment_fixed_size 0
		.amdhsa_kernarg_size 48
		.amdhsa_user_sgpr_count 2
		.amdhsa_user_sgpr_dispatch_ptr 0
		.amdhsa_user_sgpr_queue_ptr 0
		.amdhsa_user_sgpr_kernarg_segment_ptr 1
		.amdhsa_user_sgpr_dispatch_id 0
		.amdhsa_user_sgpr_kernarg_preload_length 0
		.amdhsa_user_sgpr_kernarg_preload_offset 0
		.amdhsa_user_sgpr_private_segment_size 0
		.amdhsa_wavefront_size32 1
		.amdhsa_uses_dynamic_stack 0
		.amdhsa_enable_private_segment 0
		.amdhsa_system_sgpr_workgroup_id_x 1
		.amdhsa_system_sgpr_workgroup_id_y 0
		.amdhsa_system_sgpr_workgroup_id_z 0
		.amdhsa_system_sgpr_workgroup_info 0
		.amdhsa_system_vgpr_workitem_id 0
		.amdhsa_next_free_vgpr 1
		.amdhsa_next_free_sgpr 1
		.amdhsa_named_barrier_count 0
		.amdhsa_reserve_vcc 0
		.amdhsa_float_round_mode_32 0
		.amdhsa_float_round_mode_16_64 0
		.amdhsa_float_denorm_mode_32 3
		.amdhsa_float_denorm_mode_16_64 3
		.amdhsa_fp16_overflow 0
		.amdhsa_memory_ordered 1
		.amdhsa_forward_progress 1
		.amdhsa_inst_pref_size 0
		.amdhsa_round_robin_scheduling 0
		.amdhsa_exception_fp_ieee_invalid_op 0
		.amdhsa_exception_fp_denorm_src 0
		.amdhsa_exception_fp_ieee_div_zero 0
		.amdhsa_exception_fp_ieee_overflow 0
		.amdhsa_exception_fp_ieee_underflow 0
		.amdhsa_exception_fp_ieee_inexact 0
		.amdhsa_exception_int_div_zero 0
	.end_amdhsa_kernel
	.section	.text._ZN7rocprim17ROCPRIM_400000_NS6detail17trampoline_kernelINS0_14default_configENS1_38merge_sort_block_merge_config_selectorIlNS0_10empty_typeEEEZZNS1_27merge_sort_block_merge_implIS3_PlPS5_jNS1_19radix_merge_compareILb0ELb0ElNS0_19identity_decomposerEEEEE10hipError_tT0_T1_T2_jT3_P12ihipStream_tbPNSt15iterator_traitsISE_E10value_typeEPNSK_ISF_E10value_typeEPSG_NS1_7vsmem_tEENKUlT_SE_SF_SG_E_clIS8_S8_S9_S9_EESD_ST_SE_SF_SG_EUlST_E1_NS1_11comp_targetILNS1_3genE4ELNS1_11target_archE910ELNS1_3gpuE8ELNS1_3repE0EEENS1_36merge_oddeven_config_static_selectorELNS0_4arch9wavefront6targetE0EEEvSF_,"axG",@progbits,_ZN7rocprim17ROCPRIM_400000_NS6detail17trampoline_kernelINS0_14default_configENS1_38merge_sort_block_merge_config_selectorIlNS0_10empty_typeEEEZZNS1_27merge_sort_block_merge_implIS3_PlPS5_jNS1_19radix_merge_compareILb0ELb0ElNS0_19identity_decomposerEEEEE10hipError_tT0_T1_T2_jT3_P12ihipStream_tbPNSt15iterator_traitsISE_E10value_typeEPNSK_ISF_E10value_typeEPSG_NS1_7vsmem_tEENKUlT_SE_SF_SG_E_clIS8_S8_S9_S9_EESD_ST_SE_SF_SG_EUlST_E1_NS1_11comp_targetILNS1_3genE4ELNS1_11target_archE910ELNS1_3gpuE8ELNS1_3repE0EEENS1_36merge_oddeven_config_static_selectorELNS0_4arch9wavefront6targetE0EEEvSF_,comdat
.Lfunc_end1160:
	.size	_ZN7rocprim17ROCPRIM_400000_NS6detail17trampoline_kernelINS0_14default_configENS1_38merge_sort_block_merge_config_selectorIlNS0_10empty_typeEEEZZNS1_27merge_sort_block_merge_implIS3_PlPS5_jNS1_19radix_merge_compareILb0ELb0ElNS0_19identity_decomposerEEEEE10hipError_tT0_T1_T2_jT3_P12ihipStream_tbPNSt15iterator_traitsISE_E10value_typeEPNSK_ISF_E10value_typeEPSG_NS1_7vsmem_tEENKUlT_SE_SF_SG_E_clIS8_S8_S9_S9_EESD_ST_SE_SF_SG_EUlST_E1_NS1_11comp_targetILNS1_3genE4ELNS1_11target_archE910ELNS1_3gpuE8ELNS1_3repE0EEENS1_36merge_oddeven_config_static_selectorELNS0_4arch9wavefront6targetE0EEEvSF_, .Lfunc_end1160-_ZN7rocprim17ROCPRIM_400000_NS6detail17trampoline_kernelINS0_14default_configENS1_38merge_sort_block_merge_config_selectorIlNS0_10empty_typeEEEZZNS1_27merge_sort_block_merge_implIS3_PlPS5_jNS1_19radix_merge_compareILb0ELb0ElNS0_19identity_decomposerEEEEE10hipError_tT0_T1_T2_jT3_P12ihipStream_tbPNSt15iterator_traitsISE_E10value_typeEPNSK_ISF_E10value_typeEPSG_NS1_7vsmem_tEENKUlT_SE_SF_SG_E_clIS8_S8_S9_S9_EESD_ST_SE_SF_SG_EUlST_E1_NS1_11comp_targetILNS1_3genE4ELNS1_11target_archE910ELNS1_3gpuE8ELNS1_3repE0EEENS1_36merge_oddeven_config_static_selectorELNS0_4arch9wavefront6targetE0EEEvSF_
                                        ; -- End function
	.set _ZN7rocprim17ROCPRIM_400000_NS6detail17trampoline_kernelINS0_14default_configENS1_38merge_sort_block_merge_config_selectorIlNS0_10empty_typeEEEZZNS1_27merge_sort_block_merge_implIS3_PlPS5_jNS1_19radix_merge_compareILb0ELb0ElNS0_19identity_decomposerEEEEE10hipError_tT0_T1_T2_jT3_P12ihipStream_tbPNSt15iterator_traitsISE_E10value_typeEPNSK_ISF_E10value_typeEPSG_NS1_7vsmem_tEENKUlT_SE_SF_SG_E_clIS8_S8_S9_S9_EESD_ST_SE_SF_SG_EUlST_E1_NS1_11comp_targetILNS1_3genE4ELNS1_11target_archE910ELNS1_3gpuE8ELNS1_3repE0EEENS1_36merge_oddeven_config_static_selectorELNS0_4arch9wavefront6targetE0EEEvSF_.num_vgpr, 0
	.set _ZN7rocprim17ROCPRIM_400000_NS6detail17trampoline_kernelINS0_14default_configENS1_38merge_sort_block_merge_config_selectorIlNS0_10empty_typeEEEZZNS1_27merge_sort_block_merge_implIS3_PlPS5_jNS1_19radix_merge_compareILb0ELb0ElNS0_19identity_decomposerEEEEE10hipError_tT0_T1_T2_jT3_P12ihipStream_tbPNSt15iterator_traitsISE_E10value_typeEPNSK_ISF_E10value_typeEPSG_NS1_7vsmem_tEENKUlT_SE_SF_SG_E_clIS8_S8_S9_S9_EESD_ST_SE_SF_SG_EUlST_E1_NS1_11comp_targetILNS1_3genE4ELNS1_11target_archE910ELNS1_3gpuE8ELNS1_3repE0EEENS1_36merge_oddeven_config_static_selectorELNS0_4arch9wavefront6targetE0EEEvSF_.num_agpr, 0
	.set _ZN7rocprim17ROCPRIM_400000_NS6detail17trampoline_kernelINS0_14default_configENS1_38merge_sort_block_merge_config_selectorIlNS0_10empty_typeEEEZZNS1_27merge_sort_block_merge_implIS3_PlPS5_jNS1_19radix_merge_compareILb0ELb0ElNS0_19identity_decomposerEEEEE10hipError_tT0_T1_T2_jT3_P12ihipStream_tbPNSt15iterator_traitsISE_E10value_typeEPNSK_ISF_E10value_typeEPSG_NS1_7vsmem_tEENKUlT_SE_SF_SG_E_clIS8_S8_S9_S9_EESD_ST_SE_SF_SG_EUlST_E1_NS1_11comp_targetILNS1_3genE4ELNS1_11target_archE910ELNS1_3gpuE8ELNS1_3repE0EEENS1_36merge_oddeven_config_static_selectorELNS0_4arch9wavefront6targetE0EEEvSF_.numbered_sgpr, 0
	.set _ZN7rocprim17ROCPRIM_400000_NS6detail17trampoline_kernelINS0_14default_configENS1_38merge_sort_block_merge_config_selectorIlNS0_10empty_typeEEEZZNS1_27merge_sort_block_merge_implIS3_PlPS5_jNS1_19radix_merge_compareILb0ELb0ElNS0_19identity_decomposerEEEEE10hipError_tT0_T1_T2_jT3_P12ihipStream_tbPNSt15iterator_traitsISE_E10value_typeEPNSK_ISF_E10value_typeEPSG_NS1_7vsmem_tEENKUlT_SE_SF_SG_E_clIS8_S8_S9_S9_EESD_ST_SE_SF_SG_EUlST_E1_NS1_11comp_targetILNS1_3genE4ELNS1_11target_archE910ELNS1_3gpuE8ELNS1_3repE0EEENS1_36merge_oddeven_config_static_selectorELNS0_4arch9wavefront6targetE0EEEvSF_.num_named_barrier, 0
	.set _ZN7rocprim17ROCPRIM_400000_NS6detail17trampoline_kernelINS0_14default_configENS1_38merge_sort_block_merge_config_selectorIlNS0_10empty_typeEEEZZNS1_27merge_sort_block_merge_implIS3_PlPS5_jNS1_19radix_merge_compareILb0ELb0ElNS0_19identity_decomposerEEEEE10hipError_tT0_T1_T2_jT3_P12ihipStream_tbPNSt15iterator_traitsISE_E10value_typeEPNSK_ISF_E10value_typeEPSG_NS1_7vsmem_tEENKUlT_SE_SF_SG_E_clIS8_S8_S9_S9_EESD_ST_SE_SF_SG_EUlST_E1_NS1_11comp_targetILNS1_3genE4ELNS1_11target_archE910ELNS1_3gpuE8ELNS1_3repE0EEENS1_36merge_oddeven_config_static_selectorELNS0_4arch9wavefront6targetE0EEEvSF_.private_seg_size, 0
	.set _ZN7rocprim17ROCPRIM_400000_NS6detail17trampoline_kernelINS0_14default_configENS1_38merge_sort_block_merge_config_selectorIlNS0_10empty_typeEEEZZNS1_27merge_sort_block_merge_implIS3_PlPS5_jNS1_19radix_merge_compareILb0ELb0ElNS0_19identity_decomposerEEEEE10hipError_tT0_T1_T2_jT3_P12ihipStream_tbPNSt15iterator_traitsISE_E10value_typeEPNSK_ISF_E10value_typeEPSG_NS1_7vsmem_tEENKUlT_SE_SF_SG_E_clIS8_S8_S9_S9_EESD_ST_SE_SF_SG_EUlST_E1_NS1_11comp_targetILNS1_3genE4ELNS1_11target_archE910ELNS1_3gpuE8ELNS1_3repE0EEENS1_36merge_oddeven_config_static_selectorELNS0_4arch9wavefront6targetE0EEEvSF_.uses_vcc, 0
	.set _ZN7rocprim17ROCPRIM_400000_NS6detail17trampoline_kernelINS0_14default_configENS1_38merge_sort_block_merge_config_selectorIlNS0_10empty_typeEEEZZNS1_27merge_sort_block_merge_implIS3_PlPS5_jNS1_19radix_merge_compareILb0ELb0ElNS0_19identity_decomposerEEEEE10hipError_tT0_T1_T2_jT3_P12ihipStream_tbPNSt15iterator_traitsISE_E10value_typeEPNSK_ISF_E10value_typeEPSG_NS1_7vsmem_tEENKUlT_SE_SF_SG_E_clIS8_S8_S9_S9_EESD_ST_SE_SF_SG_EUlST_E1_NS1_11comp_targetILNS1_3genE4ELNS1_11target_archE910ELNS1_3gpuE8ELNS1_3repE0EEENS1_36merge_oddeven_config_static_selectorELNS0_4arch9wavefront6targetE0EEEvSF_.uses_flat_scratch, 0
	.set _ZN7rocprim17ROCPRIM_400000_NS6detail17trampoline_kernelINS0_14default_configENS1_38merge_sort_block_merge_config_selectorIlNS0_10empty_typeEEEZZNS1_27merge_sort_block_merge_implIS3_PlPS5_jNS1_19radix_merge_compareILb0ELb0ElNS0_19identity_decomposerEEEEE10hipError_tT0_T1_T2_jT3_P12ihipStream_tbPNSt15iterator_traitsISE_E10value_typeEPNSK_ISF_E10value_typeEPSG_NS1_7vsmem_tEENKUlT_SE_SF_SG_E_clIS8_S8_S9_S9_EESD_ST_SE_SF_SG_EUlST_E1_NS1_11comp_targetILNS1_3genE4ELNS1_11target_archE910ELNS1_3gpuE8ELNS1_3repE0EEENS1_36merge_oddeven_config_static_selectorELNS0_4arch9wavefront6targetE0EEEvSF_.has_dyn_sized_stack, 0
	.set _ZN7rocprim17ROCPRIM_400000_NS6detail17trampoline_kernelINS0_14default_configENS1_38merge_sort_block_merge_config_selectorIlNS0_10empty_typeEEEZZNS1_27merge_sort_block_merge_implIS3_PlPS5_jNS1_19radix_merge_compareILb0ELb0ElNS0_19identity_decomposerEEEEE10hipError_tT0_T1_T2_jT3_P12ihipStream_tbPNSt15iterator_traitsISE_E10value_typeEPNSK_ISF_E10value_typeEPSG_NS1_7vsmem_tEENKUlT_SE_SF_SG_E_clIS8_S8_S9_S9_EESD_ST_SE_SF_SG_EUlST_E1_NS1_11comp_targetILNS1_3genE4ELNS1_11target_archE910ELNS1_3gpuE8ELNS1_3repE0EEENS1_36merge_oddeven_config_static_selectorELNS0_4arch9wavefront6targetE0EEEvSF_.has_recursion, 0
	.set _ZN7rocprim17ROCPRIM_400000_NS6detail17trampoline_kernelINS0_14default_configENS1_38merge_sort_block_merge_config_selectorIlNS0_10empty_typeEEEZZNS1_27merge_sort_block_merge_implIS3_PlPS5_jNS1_19radix_merge_compareILb0ELb0ElNS0_19identity_decomposerEEEEE10hipError_tT0_T1_T2_jT3_P12ihipStream_tbPNSt15iterator_traitsISE_E10value_typeEPNSK_ISF_E10value_typeEPSG_NS1_7vsmem_tEENKUlT_SE_SF_SG_E_clIS8_S8_S9_S9_EESD_ST_SE_SF_SG_EUlST_E1_NS1_11comp_targetILNS1_3genE4ELNS1_11target_archE910ELNS1_3gpuE8ELNS1_3repE0EEENS1_36merge_oddeven_config_static_selectorELNS0_4arch9wavefront6targetE0EEEvSF_.has_indirect_call, 0
	.section	.AMDGPU.csdata,"",@progbits
; Kernel info:
; codeLenInByte = 0
; TotalNumSgprs: 0
; NumVgprs: 0
; ScratchSize: 0
; MemoryBound: 0
; FloatMode: 240
; IeeeMode: 1
; LDSByteSize: 0 bytes/workgroup (compile time only)
; SGPRBlocks: 0
; VGPRBlocks: 0
; NumSGPRsForWavesPerEU: 1
; NumVGPRsForWavesPerEU: 1
; NamedBarCnt: 0
; Occupancy: 16
; WaveLimiterHint : 0
; COMPUTE_PGM_RSRC2:SCRATCH_EN: 0
; COMPUTE_PGM_RSRC2:USER_SGPR: 2
; COMPUTE_PGM_RSRC2:TRAP_HANDLER: 0
; COMPUTE_PGM_RSRC2:TGID_X_EN: 1
; COMPUTE_PGM_RSRC2:TGID_Y_EN: 0
; COMPUTE_PGM_RSRC2:TGID_Z_EN: 0
; COMPUTE_PGM_RSRC2:TIDIG_COMP_CNT: 0
	.section	.text._ZN7rocprim17ROCPRIM_400000_NS6detail17trampoline_kernelINS0_14default_configENS1_38merge_sort_block_merge_config_selectorIlNS0_10empty_typeEEEZZNS1_27merge_sort_block_merge_implIS3_PlPS5_jNS1_19radix_merge_compareILb0ELb0ElNS0_19identity_decomposerEEEEE10hipError_tT0_T1_T2_jT3_P12ihipStream_tbPNSt15iterator_traitsISE_E10value_typeEPNSK_ISF_E10value_typeEPSG_NS1_7vsmem_tEENKUlT_SE_SF_SG_E_clIS8_S8_S9_S9_EESD_ST_SE_SF_SG_EUlST_E1_NS1_11comp_targetILNS1_3genE3ELNS1_11target_archE908ELNS1_3gpuE7ELNS1_3repE0EEENS1_36merge_oddeven_config_static_selectorELNS0_4arch9wavefront6targetE0EEEvSF_,"axG",@progbits,_ZN7rocprim17ROCPRIM_400000_NS6detail17trampoline_kernelINS0_14default_configENS1_38merge_sort_block_merge_config_selectorIlNS0_10empty_typeEEEZZNS1_27merge_sort_block_merge_implIS3_PlPS5_jNS1_19radix_merge_compareILb0ELb0ElNS0_19identity_decomposerEEEEE10hipError_tT0_T1_T2_jT3_P12ihipStream_tbPNSt15iterator_traitsISE_E10value_typeEPNSK_ISF_E10value_typeEPSG_NS1_7vsmem_tEENKUlT_SE_SF_SG_E_clIS8_S8_S9_S9_EESD_ST_SE_SF_SG_EUlST_E1_NS1_11comp_targetILNS1_3genE3ELNS1_11target_archE908ELNS1_3gpuE7ELNS1_3repE0EEENS1_36merge_oddeven_config_static_selectorELNS0_4arch9wavefront6targetE0EEEvSF_,comdat
	.protected	_ZN7rocprim17ROCPRIM_400000_NS6detail17trampoline_kernelINS0_14default_configENS1_38merge_sort_block_merge_config_selectorIlNS0_10empty_typeEEEZZNS1_27merge_sort_block_merge_implIS3_PlPS5_jNS1_19radix_merge_compareILb0ELb0ElNS0_19identity_decomposerEEEEE10hipError_tT0_T1_T2_jT3_P12ihipStream_tbPNSt15iterator_traitsISE_E10value_typeEPNSK_ISF_E10value_typeEPSG_NS1_7vsmem_tEENKUlT_SE_SF_SG_E_clIS8_S8_S9_S9_EESD_ST_SE_SF_SG_EUlST_E1_NS1_11comp_targetILNS1_3genE3ELNS1_11target_archE908ELNS1_3gpuE7ELNS1_3repE0EEENS1_36merge_oddeven_config_static_selectorELNS0_4arch9wavefront6targetE0EEEvSF_ ; -- Begin function _ZN7rocprim17ROCPRIM_400000_NS6detail17trampoline_kernelINS0_14default_configENS1_38merge_sort_block_merge_config_selectorIlNS0_10empty_typeEEEZZNS1_27merge_sort_block_merge_implIS3_PlPS5_jNS1_19radix_merge_compareILb0ELb0ElNS0_19identity_decomposerEEEEE10hipError_tT0_T1_T2_jT3_P12ihipStream_tbPNSt15iterator_traitsISE_E10value_typeEPNSK_ISF_E10value_typeEPSG_NS1_7vsmem_tEENKUlT_SE_SF_SG_E_clIS8_S8_S9_S9_EESD_ST_SE_SF_SG_EUlST_E1_NS1_11comp_targetILNS1_3genE3ELNS1_11target_archE908ELNS1_3gpuE7ELNS1_3repE0EEENS1_36merge_oddeven_config_static_selectorELNS0_4arch9wavefront6targetE0EEEvSF_
	.globl	_ZN7rocprim17ROCPRIM_400000_NS6detail17trampoline_kernelINS0_14default_configENS1_38merge_sort_block_merge_config_selectorIlNS0_10empty_typeEEEZZNS1_27merge_sort_block_merge_implIS3_PlPS5_jNS1_19radix_merge_compareILb0ELb0ElNS0_19identity_decomposerEEEEE10hipError_tT0_T1_T2_jT3_P12ihipStream_tbPNSt15iterator_traitsISE_E10value_typeEPNSK_ISF_E10value_typeEPSG_NS1_7vsmem_tEENKUlT_SE_SF_SG_E_clIS8_S8_S9_S9_EESD_ST_SE_SF_SG_EUlST_E1_NS1_11comp_targetILNS1_3genE3ELNS1_11target_archE908ELNS1_3gpuE7ELNS1_3repE0EEENS1_36merge_oddeven_config_static_selectorELNS0_4arch9wavefront6targetE0EEEvSF_
	.p2align	8
	.type	_ZN7rocprim17ROCPRIM_400000_NS6detail17trampoline_kernelINS0_14default_configENS1_38merge_sort_block_merge_config_selectorIlNS0_10empty_typeEEEZZNS1_27merge_sort_block_merge_implIS3_PlPS5_jNS1_19radix_merge_compareILb0ELb0ElNS0_19identity_decomposerEEEEE10hipError_tT0_T1_T2_jT3_P12ihipStream_tbPNSt15iterator_traitsISE_E10value_typeEPNSK_ISF_E10value_typeEPSG_NS1_7vsmem_tEENKUlT_SE_SF_SG_E_clIS8_S8_S9_S9_EESD_ST_SE_SF_SG_EUlST_E1_NS1_11comp_targetILNS1_3genE3ELNS1_11target_archE908ELNS1_3gpuE7ELNS1_3repE0EEENS1_36merge_oddeven_config_static_selectorELNS0_4arch9wavefront6targetE0EEEvSF_,@function
_ZN7rocprim17ROCPRIM_400000_NS6detail17trampoline_kernelINS0_14default_configENS1_38merge_sort_block_merge_config_selectorIlNS0_10empty_typeEEEZZNS1_27merge_sort_block_merge_implIS3_PlPS5_jNS1_19radix_merge_compareILb0ELb0ElNS0_19identity_decomposerEEEEE10hipError_tT0_T1_T2_jT3_P12ihipStream_tbPNSt15iterator_traitsISE_E10value_typeEPNSK_ISF_E10value_typeEPSG_NS1_7vsmem_tEENKUlT_SE_SF_SG_E_clIS8_S8_S9_S9_EESD_ST_SE_SF_SG_EUlST_E1_NS1_11comp_targetILNS1_3genE3ELNS1_11target_archE908ELNS1_3gpuE7ELNS1_3repE0EEENS1_36merge_oddeven_config_static_selectorELNS0_4arch9wavefront6targetE0EEEvSF_: ; @_ZN7rocprim17ROCPRIM_400000_NS6detail17trampoline_kernelINS0_14default_configENS1_38merge_sort_block_merge_config_selectorIlNS0_10empty_typeEEEZZNS1_27merge_sort_block_merge_implIS3_PlPS5_jNS1_19radix_merge_compareILb0ELb0ElNS0_19identity_decomposerEEEEE10hipError_tT0_T1_T2_jT3_P12ihipStream_tbPNSt15iterator_traitsISE_E10value_typeEPNSK_ISF_E10value_typeEPSG_NS1_7vsmem_tEENKUlT_SE_SF_SG_E_clIS8_S8_S9_S9_EESD_ST_SE_SF_SG_EUlST_E1_NS1_11comp_targetILNS1_3genE3ELNS1_11target_archE908ELNS1_3gpuE7ELNS1_3repE0EEENS1_36merge_oddeven_config_static_selectorELNS0_4arch9wavefront6targetE0EEEvSF_
; %bb.0:
	.section	.rodata,"a",@progbits
	.p2align	6, 0x0
	.amdhsa_kernel _ZN7rocprim17ROCPRIM_400000_NS6detail17trampoline_kernelINS0_14default_configENS1_38merge_sort_block_merge_config_selectorIlNS0_10empty_typeEEEZZNS1_27merge_sort_block_merge_implIS3_PlPS5_jNS1_19radix_merge_compareILb0ELb0ElNS0_19identity_decomposerEEEEE10hipError_tT0_T1_T2_jT3_P12ihipStream_tbPNSt15iterator_traitsISE_E10value_typeEPNSK_ISF_E10value_typeEPSG_NS1_7vsmem_tEENKUlT_SE_SF_SG_E_clIS8_S8_S9_S9_EESD_ST_SE_SF_SG_EUlST_E1_NS1_11comp_targetILNS1_3genE3ELNS1_11target_archE908ELNS1_3gpuE7ELNS1_3repE0EEENS1_36merge_oddeven_config_static_selectorELNS0_4arch9wavefront6targetE0EEEvSF_
		.amdhsa_group_segment_fixed_size 0
		.amdhsa_private_segment_fixed_size 0
		.amdhsa_kernarg_size 48
		.amdhsa_user_sgpr_count 2
		.amdhsa_user_sgpr_dispatch_ptr 0
		.amdhsa_user_sgpr_queue_ptr 0
		.amdhsa_user_sgpr_kernarg_segment_ptr 1
		.amdhsa_user_sgpr_dispatch_id 0
		.amdhsa_user_sgpr_kernarg_preload_length 0
		.amdhsa_user_sgpr_kernarg_preload_offset 0
		.amdhsa_user_sgpr_private_segment_size 0
		.amdhsa_wavefront_size32 1
		.amdhsa_uses_dynamic_stack 0
		.amdhsa_enable_private_segment 0
		.amdhsa_system_sgpr_workgroup_id_x 1
		.amdhsa_system_sgpr_workgroup_id_y 0
		.amdhsa_system_sgpr_workgroup_id_z 0
		.amdhsa_system_sgpr_workgroup_info 0
		.amdhsa_system_vgpr_workitem_id 0
		.amdhsa_next_free_vgpr 1
		.amdhsa_next_free_sgpr 1
		.amdhsa_named_barrier_count 0
		.amdhsa_reserve_vcc 0
		.amdhsa_float_round_mode_32 0
		.amdhsa_float_round_mode_16_64 0
		.amdhsa_float_denorm_mode_32 3
		.amdhsa_float_denorm_mode_16_64 3
		.amdhsa_fp16_overflow 0
		.amdhsa_memory_ordered 1
		.amdhsa_forward_progress 1
		.amdhsa_inst_pref_size 0
		.amdhsa_round_robin_scheduling 0
		.amdhsa_exception_fp_ieee_invalid_op 0
		.amdhsa_exception_fp_denorm_src 0
		.amdhsa_exception_fp_ieee_div_zero 0
		.amdhsa_exception_fp_ieee_overflow 0
		.amdhsa_exception_fp_ieee_underflow 0
		.amdhsa_exception_fp_ieee_inexact 0
		.amdhsa_exception_int_div_zero 0
	.end_amdhsa_kernel
	.section	.text._ZN7rocprim17ROCPRIM_400000_NS6detail17trampoline_kernelINS0_14default_configENS1_38merge_sort_block_merge_config_selectorIlNS0_10empty_typeEEEZZNS1_27merge_sort_block_merge_implIS3_PlPS5_jNS1_19radix_merge_compareILb0ELb0ElNS0_19identity_decomposerEEEEE10hipError_tT0_T1_T2_jT3_P12ihipStream_tbPNSt15iterator_traitsISE_E10value_typeEPNSK_ISF_E10value_typeEPSG_NS1_7vsmem_tEENKUlT_SE_SF_SG_E_clIS8_S8_S9_S9_EESD_ST_SE_SF_SG_EUlST_E1_NS1_11comp_targetILNS1_3genE3ELNS1_11target_archE908ELNS1_3gpuE7ELNS1_3repE0EEENS1_36merge_oddeven_config_static_selectorELNS0_4arch9wavefront6targetE0EEEvSF_,"axG",@progbits,_ZN7rocprim17ROCPRIM_400000_NS6detail17trampoline_kernelINS0_14default_configENS1_38merge_sort_block_merge_config_selectorIlNS0_10empty_typeEEEZZNS1_27merge_sort_block_merge_implIS3_PlPS5_jNS1_19radix_merge_compareILb0ELb0ElNS0_19identity_decomposerEEEEE10hipError_tT0_T1_T2_jT3_P12ihipStream_tbPNSt15iterator_traitsISE_E10value_typeEPNSK_ISF_E10value_typeEPSG_NS1_7vsmem_tEENKUlT_SE_SF_SG_E_clIS8_S8_S9_S9_EESD_ST_SE_SF_SG_EUlST_E1_NS1_11comp_targetILNS1_3genE3ELNS1_11target_archE908ELNS1_3gpuE7ELNS1_3repE0EEENS1_36merge_oddeven_config_static_selectorELNS0_4arch9wavefront6targetE0EEEvSF_,comdat
.Lfunc_end1161:
	.size	_ZN7rocprim17ROCPRIM_400000_NS6detail17trampoline_kernelINS0_14default_configENS1_38merge_sort_block_merge_config_selectorIlNS0_10empty_typeEEEZZNS1_27merge_sort_block_merge_implIS3_PlPS5_jNS1_19radix_merge_compareILb0ELb0ElNS0_19identity_decomposerEEEEE10hipError_tT0_T1_T2_jT3_P12ihipStream_tbPNSt15iterator_traitsISE_E10value_typeEPNSK_ISF_E10value_typeEPSG_NS1_7vsmem_tEENKUlT_SE_SF_SG_E_clIS8_S8_S9_S9_EESD_ST_SE_SF_SG_EUlST_E1_NS1_11comp_targetILNS1_3genE3ELNS1_11target_archE908ELNS1_3gpuE7ELNS1_3repE0EEENS1_36merge_oddeven_config_static_selectorELNS0_4arch9wavefront6targetE0EEEvSF_, .Lfunc_end1161-_ZN7rocprim17ROCPRIM_400000_NS6detail17trampoline_kernelINS0_14default_configENS1_38merge_sort_block_merge_config_selectorIlNS0_10empty_typeEEEZZNS1_27merge_sort_block_merge_implIS3_PlPS5_jNS1_19radix_merge_compareILb0ELb0ElNS0_19identity_decomposerEEEEE10hipError_tT0_T1_T2_jT3_P12ihipStream_tbPNSt15iterator_traitsISE_E10value_typeEPNSK_ISF_E10value_typeEPSG_NS1_7vsmem_tEENKUlT_SE_SF_SG_E_clIS8_S8_S9_S9_EESD_ST_SE_SF_SG_EUlST_E1_NS1_11comp_targetILNS1_3genE3ELNS1_11target_archE908ELNS1_3gpuE7ELNS1_3repE0EEENS1_36merge_oddeven_config_static_selectorELNS0_4arch9wavefront6targetE0EEEvSF_
                                        ; -- End function
	.set _ZN7rocprim17ROCPRIM_400000_NS6detail17trampoline_kernelINS0_14default_configENS1_38merge_sort_block_merge_config_selectorIlNS0_10empty_typeEEEZZNS1_27merge_sort_block_merge_implIS3_PlPS5_jNS1_19radix_merge_compareILb0ELb0ElNS0_19identity_decomposerEEEEE10hipError_tT0_T1_T2_jT3_P12ihipStream_tbPNSt15iterator_traitsISE_E10value_typeEPNSK_ISF_E10value_typeEPSG_NS1_7vsmem_tEENKUlT_SE_SF_SG_E_clIS8_S8_S9_S9_EESD_ST_SE_SF_SG_EUlST_E1_NS1_11comp_targetILNS1_3genE3ELNS1_11target_archE908ELNS1_3gpuE7ELNS1_3repE0EEENS1_36merge_oddeven_config_static_selectorELNS0_4arch9wavefront6targetE0EEEvSF_.num_vgpr, 0
	.set _ZN7rocprim17ROCPRIM_400000_NS6detail17trampoline_kernelINS0_14default_configENS1_38merge_sort_block_merge_config_selectorIlNS0_10empty_typeEEEZZNS1_27merge_sort_block_merge_implIS3_PlPS5_jNS1_19radix_merge_compareILb0ELb0ElNS0_19identity_decomposerEEEEE10hipError_tT0_T1_T2_jT3_P12ihipStream_tbPNSt15iterator_traitsISE_E10value_typeEPNSK_ISF_E10value_typeEPSG_NS1_7vsmem_tEENKUlT_SE_SF_SG_E_clIS8_S8_S9_S9_EESD_ST_SE_SF_SG_EUlST_E1_NS1_11comp_targetILNS1_3genE3ELNS1_11target_archE908ELNS1_3gpuE7ELNS1_3repE0EEENS1_36merge_oddeven_config_static_selectorELNS0_4arch9wavefront6targetE0EEEvSF_.num_agpr, 0
	.set _ZN7rocprim17ROCPRIM_400000_NS6detail17trampoline_kernelINS0_14default_configENS1_38merge_sort_block_merge_config_selectorIlNS0_10empty_typeEEEZZNS1_27merge_sort_block_merge_implIS3_PlPS5_jNS1_19radix_merge_compareILb0ELb0ElNS0_19identity_decomposerEEEEE10hipError_tT0_T1_T2_jT3_P12ihipStream_tbPNSt15iterator_traitsISE_E10value_typeEPNSK_ISF_E10value_typeEPSG_NS1_7vsmem_tEENKUlT_SE_SF_SG_E_clIS8_S8_S9_S9_EESD_ST_SE_SF_SG_EUlST_E1_NS1_11comp_targetILNS1_3genE3ELNS1_11target_archE908ELNS1_3gpuE7ELNS1_3repE0EEENS1_36merge_oddeven_config_static_selectorELNS0_4arch9wavefront6targetE0EEEvSF_.numbered_sgpr, 0
	.set _ZN7rocprim17ROCPRIM_400000_NS6detail17trampoline_kernelINS0_14default_configENS1_38merge_sort_block_merge_config_selectorIlNS0_10empty_typeEEEZZNS1_27merge_sort_block_merge_implIS3_PlPS5_jNS1_19radix_merge_compareILb0ELb0ElNS0_19identity_decomposerEEEEE10hipError_tT0_T1_T2_jT3_P12ihipStream_tbPNSt15iterator_traitsISE_E10value_typeEPNSK_ISF_E10value_typeEPSG_NS1_7vsmem_tEENKUlT_SE_SF_SG_E_clIS8_S8_S9_S9_EESD_ST_SE_SF_SG_EUlST_E1_NS1_11comp_targetILNS1_3genE3ELNS1_11target_archE908ELNS1_3gpuE7ELNS1_3repE0EEENS1_36merge_oddeven_config_static_selectorELNS0_4arch9wavefront6targetE0EEEvSF_.num_named_barrier, 0
	.set _ZN7rocprim17ROCPRIM_400000_NS6detail17trampoline_kernelINS0_14default_configENS1_38merge_sort_block_merge_config_selectorIlNS0_10empty_typeEEEZZNS1_27merge_sort_block_merge_implIS3_PlPS5_jNS1_19radix_merge_compareILb0ELb0ElNS0_19identity_decomposerEEEEE10hipError_tT0_T1_T2_jT3_P12ihipStream_tbPNSt15iterator_traitsISE_E10value_typeEPNSK_ISF_E10value_typeEPSG_NS1_7vsmem_tEENKUlT_SE_SF_SG_E_clIS8_S8_S9_S9_EESD_ST_SE_SF_SG_EUlST_E1_NS1_11comp_targetILNS1_3genE3ELNS1_11target_archE908ELNS1_3gpuE7ELNS1_3repE0EEENS1_36merge_oddeven_config_static_selectorELNS0_4arch9wavefront6targetE0EEEvSF_.private_seg_size, 0
	.set _ZN7rocprim17ROCPRIM_400000_NS6detail17trampoline_kernelINS0_14default_configENS1_38merge_sort_block_merge_config_selectorIlNS0_10empty_typeEEEZZNS1_27merge_sort_block_merge_implIS3_PlPS5_jNS1_19radix_merge_compareILb0ELb0ElNS0_19identity_decomposerEEEEE10hipError_tT0_T1_T2_jT3_P12ihipStream_tbPNSt15iterator_traitsISE_E10value_typeEPNSK_ISF_E10value_typeEPSG_NS1_7vsmem_tEENKUlT_SE_SF_SG_E_clIS8_S8_S9_S9_EESD_ST_SE_SF_SG_EUlST_E1_NS1_11comp_targetILNS1_3genE3ELNS1_11target_archE908ELNS1_3gpuE7ELNS1_3repE0EEENS1_36merge_oddeven_config_static_selectorELNS0_4arch9wavefront6targetE0EEEvSF_.uses_vcc, 0
	.set _ZN7rocprim17ROCPRIM_400000_NS6detail17trampoline_kernelINS0_14default_configENS1_38merge_sort_block_merge_config_selectorIlNS0_10empty_typeEEEZZNS1_27merge_sort_block_merge_implIS3_PlPS5_jNS1_19radix_merge_compareILb0ELb0ElNS0_19identity_decomposerEEEEE10hipError_tT0_T1_T2_jT3_P12ihipStream_tbPNSt15iterator_traitsISE_E10value_typeEPNSK_ISF_E10value_typeEPSG_NS1_7vsmem_tEENKUlT_SE_SF_SG_E_clIS8_S8_S9_S9_EESD_ST_SE_SF_SG_EUlST_E1_NS1_11comp_targetILNS1_3genE3ELNS1_11target_archE908ELNS1_3gpuE7ELNS1_3repE0EEENS1_36merge_oddeven_config_static_selectorELNS0_4arch9wavefront6targetE0EEEvSF_.uses_flat_scratch, 0
	.set _ZN7rocprim17ROCPRIM_400000_NS6detail17trampoline_kernelINS0_14default_configENS1_38merge_sort_block_merge_config_selectorIlNS0_10empty_typeEEEZZNS1_27merge_sort_block_merge_implIS3_PlPS5_jNS1_19radix_merge_compareILb0ELb0ElNS0_19identity_decomposerEEEEE10hipError_tT0_T1_T2_jT3_P12ihipStream_tbPNSt15iterator_traitsISE_E10value_typeEPNSK_ISF_E10value_typeEPSG_NS1_7vsmem_tEENKUlT_SE_SF_SG_E_clIS8_S8_S9_S9_EESD_ST_SE_SF_SG_EUlST_E1_NS1_11comp_targetILNS1_3genE3ELNS1_11target_archE908ELNS1_3gpuE7ELNS1_3repE0EEENS1_36merge_oddeven_config_static_selectorELNS0_4arch9wavefront6targetE0EEEvSF_.has_dyn_sized_stack, 0
	.set _ZN7rocprim17ROCPRIM_400000_NS6detail17trampoline_kernelINS0_14default_configENS1_38merge_sort_block_merge_config_selectorIlNS0_10empty_typeEEEZZNS1_27merge_sort_block_merge_implIS3_PlPS5_jNS1_19radix_merge_compareILb0ELb0ElNS0_19identity_decomposerEEEEE10hipError_tT0_T1_T2_jT3_P12ihipStream_tbPNSt15iterator_traitsISE_E10value_typeEPNSK_ISF_E10value_typeEPSG_NS1_7vsmem_tEENKUlT_SE_SF_SG_E_clIS8_S8_S9_S9_EESD_ST_SE_SF_SG_EUlST_E1_NS1_11comp_targetILNS1_3genE3ELNS1_11target_archE908ELNS1_3gpuE7ELNS1_3repE0EEENS1_36merge_oddeven_config_static_selectorELNS0_4arch9wavefront6targetE0EEEvSF_.has_recursion, 0
	.set _ZN7rocprim17ROCPRIM_400000_NS6detail17trampoline_kernelINS0_14default_configENS1_38merge_sort_block_merge_config_selectorIlNS0_10empty_typeEEEZZNS1_27merge_sort_block_merge_implIS3_PlPS5_jNS1_19radix_merge_compareILb0ELb0ElNS0_19identity_decomposerEEEEE10hipError_tT0_T1_T2_jT3_P12ihipStream_tbPNSt15iterator_traitsISE_E10value_typeEPNSK_ISF_E10value_typeEPSG_NS1_7vsmem_tEENKUlT_SE_SF_SG_E_clIS8_S8_S9_S9_EESD_ST_SE_SF_SG_EUlST_E1_NS1_11comp_targetILNS1_3genE3ELNS1_11target_archE908ELNS1_3gpuE7ELNS1_3repE0EEENS1_36merge_oddeven_config_static_selectorELNS0_4arch9wavefront6targetE0EEEvSF_.has_indirect_call, 0
	.section	.AMDGPU.csdata,"",@progbits
; Kernel info:
; codeLenInByte = 0
; TotalNumSgprs: 0
; NumVgprs: 0
; ScratchSize: 0
; MemoryBound: 0
; FloatMode: 240
; IeeeMode: 1
; LDSByteSize: 0 bytes/workgroup (compile time only)
; SGPRBlocks: 0
; VGPRBlocks: 0
; NumSGPRsForWavesPerEU: 1
; NumVGPRsForWavesPerEU: 1
; NamedBarCnt: 0
; Occupancy: 16
; WaveLimiterHint : 0
; COMPUTE_PGM_RSRC2:SCRATCH_EN: 0
; COMPUTE_PGM_RSRC2:USER_SGPR: 2
; COMPUTE_PGM_RSRC2:TRAP_HANDLER: 0
; COMPUTE_PGM_RSRC2:TGID_X_EN: 1
; COMPUTE_PGM_RSRC2:TGID_Y_EN: 0
; COMPUTE_PGM_RSRC2:TGID_Z_EN: 0
; COMPUTE_PGM_RSRC2:TIDIG_COMP_CNT: 0
	.section	.text._ZN7rocprim17ROCPRIM_400000_NS6detail17trampoline_kernelINS0_14default_configENS1_38merge_sort_block_merge_config_selectorIlNS0_10empty_typeEEEZZNS1_27merge_sort_block_merge_implIS3_PlPS5_jNS1_19radix_merge_compareILb0ELb0ElNS0_19identity_decomposerEEEEE10hipError_tT0_T1_T2_jT3_P12ihipStream_tbPNSt15iterator_traitsISE_E10value_typeEPNSK_ISF_E10value_typeEPSG_NS1_7vsmem_tEENKUlT_SE_SF_SG_E_clIS8_S8_S9_S9_EESD_ST_SE_SF_SG_EUlST_E1_NS1_11comp_targetILNS1_3genE2ELNS1_11target_archE906ELNS1_3gpuE6ELNS1_3repE0EEENS1_36merge_oddeven_config_static_selectorELNS0_4arch9wavefront6targetE0EEEvSF_,"axG",@progbits,_ZN7rocprim17ROCPRIM_400000_NS6detail17trampoline_kernelINS0_14default_configENS1_38merge_sort_block_merge_config_selectorIlNS0_10empty_typeEEEZZNS1_27merge_sort_block_merge_implIS3_PlPS5_jNS1_19radix_merge_compareILb0ELb0ElNS0_19identity_decomposerEEEEE10hipError_tT0_T1_T2_jT3_P12ihipStream_tbPNSt15iterator_traitsISE_E10value_typeEPNSK_ISF_E10value_typeEPSG_NS1_7vsmem_tEENKUlT_SE_SF_SG_E_clIS8_S8_S9_S9_EESD_ST_SE_SF_SG_EUlST_E1_NS1_11comp_targetILNS1_3genE2ELNS1_11target_archE906ELNS1_3gpuE6ELNS1_3repE0EEENS1_36merge_oddeven_config_static_selectorELNS0_4arch9wavefront6targetE0EEEvSF_,comdat
	.protected	_ZN7rocprim17ROCPRIM_400000_NS6detail17trampoline_kernelINS0_14default_configENS1_38merge_sort_block_merge_config_selectorIlNS0_10empty_typeEEEZZNS1_27merge_sort_block_merge_implIS3_PlPS5_jNS1_19radix_merge_compareILb0ELb0ElNS0_19identity_decomposerEEEEE10hipError_tT0_T1_T2_jT3_P12ihipStream_tbPNSt15iterator_traitsISE_E10value_typeEPNSK_ISF_E10value_typeEPSG_NS1_7vsmem_tEENKUlT_SE_SF_SG_E_clIS8_S8_S9_S9_EESD_ST_SE_SF_SG_EUlST_E1_NS1_11comp_targetILNS1_3genE2ELNS1_11target_archE906ELNS1_3gpuE6ELNS1_3repE0EEENS1_36merge_oddeven_config_static_selectorELNS0_4arch9wavefront6targetE0EEEvSF_ ; -- Begin function _ZN7rocprim17ROCPRIM_400000_NS6detail17trampoline_kernelINS0_14default_configENS1_38merge_sort_block_merge_config_selectorIlNS0_10empty_typeEEEZZNS1_27merge_sort_block_merge_implIS3_PlPS5_jNS1_19radix_merge_compareILb0ELb0ElNS0_19identity_decomposerEEEEE10hipError_tT0_T1_T2_jT3_P12ihipStream_tbPNSt15iterator_traitsISE_E10value_typeEPNSK_ISF_E10value_typeEPSG_NS1_7vsmem_tEENKUlT_SE_SF_SG_E_clIS8_S8_S9_S9_EESD_ST_SE_SF_SG_EUlST_E1_NS1_11comp_targetILNS1_3genE2ELNS1_11target_archE906ELNS1_3gpuE6ELNS1_3repE0EEENS1_36merge_oddeven_config_static_selectorELNS0_4arch9wavefront6targetE0EEEvSF_
	.globl	_ZN7rocprim17ROCPRIM_400000_NS6detail17trampoline_kernelINS0_14default_configENS1_38merge_sort_block_merge_config_selectorIlNS0_10empty_typeEEEZZNS1_27merge_sort_block_merge_implIS3_PlPS5_jNS1_19radix_merge_compareILb0ELb0ElNS0_19identity_decomposerEEEEE10hipError_tT0_T1_T2_jT3_P12ihipStream_tbPNSt15iterator_traitsISE_E10value_typeEPNSK_ISF_E10value_typeEPSG_NS1_7vsmem_tEENKUlT_SE_SF_SG_E_clIS8_S8_S9_S9_EESD_ST_SE_SF_SG_EUlST_E1_NS1_11comp_targetILNS1_3genE2ELNS1_11target_archE906ELNS1_3gpuE6ELNS1_3repE0EEENS1_36merge_oddeven_config_static_selectorELNS0_4arch9wavefront6targetE0EEEvSF_
	.p2align	8
	.type	_ZN7rocprim17ROCPRIM_400000_NS6detail17trampoline_kernelINS0_14default_configENS1_38merge_sort_block_merge_config_selectorIlNS0_10empty_typeEEEZZNS1_27merge_sort_block_merge_implIS3_PlPS5_jNS1_19radix_merge_compareILb0ELb0ElNS0_19identity_decomposerEEEEE10hipError_tT0_T1_T2_jT3_P12ihipStream_tbPNSt15iterator_traitsISE_E10value_typeEPNSK_ISF_E10value_typeEPSG_NS1_7vsmem_tEENKUlT_SE_SF_SG_E_clIS8_S8_S9_S9_EESD_ST_SE_SF_SG_EUlST_E1_NS1_11comp_targetILNS1_3genE2ELNS1_11target_archE906ELNS1_3gpuE6ELNS1_3repE0EEENS1_36merge_oddeven_config_static_selectorELNS0_4arch9wavefront6targetE0EEEvSF_,@function
_ZN7rocprim17ROCPRIM_400000_NS6detail17trampoline_kernelINS0_14default_configENS1_38merge_sort_block_merge_config_selectorIlNS0_10empty_typeEEEZZNS1_27merge_sort_block_merge_implIS3_PlPS5_jNS1_19radix_merge_compareILb0ELb0ElNS0_19identity_decomposerEEEEE10hipError_tT0_T1_T2_jT3_P12ihipStream_tbPNSt15iterator_traitsISE_E10value_typeEPNSK_ISF_E10value_typeEPSG_NS1_7vsmem_tEENKUlT_SE_SF_SG_E_clIS8_S8_S9_S9_EESD_ST_SE_SF_SG_EUlST_E1_NS1_11comp_targetILNS1_3genE2ELNS1_11target_archE906ELNS1_3gpuE6ELNS1_3repE0EEENS1_36merge_oddeven_config_static_selectorELNS0_4arch9wavefront6targetE0EEEvSF_: ; @_ZN7rocprim17ROCPRIM_400000_NS6detail17trampoline_kernelINS0_14default_configENS1_38merge_sort_block_merge_config_selectorIlNS0_10empty_typeEEEZZNS1_27merge_sort_block_merge_implIS3_PlPS5_jNS1_19radix_merge_compareILb0ELb0ElNS0_19identity_decomposerEEEEE10hipError_tT0_T1_T2_jT3_P12ihipStream_tbPNSt15iterator_traitsISE_E10value_typeEPNSK_ISF_E10value_typeEPSG_NS1_7vsmem_tEENKUlT_SE_SF_SG_E_clIS8_S8_S9_S9_EESD_ST_SE_SF_SG_EUlST_E1_NS1_11comp_targetILNS1_3genE2ELNS1_11target_archE906ELNS1_3gpuE6ELNS1_3repE0EEENS1_36merge_oddeven_config_static_selectorELNS0_4arch9wavefront6targetE0EEEvSF_
; %bb.0:
	.section	.rodata,"a",@progbits
	.p2align	6, 0x0
	.amdhsa_kernel _ZN7rocprim17ROCPRIM_400000_NS6detail17trampoline_kernelINS0_14default_configENS1_38merge_sort_block_merge_config_selectorIlNS0_10empty_typeEEEZZNS1_27merge_sort_block_merge_implIS3_PlPS5_jNS1_19radix_merge_compareILb0ELb0ElNS0_19identity_decomposerEEEEE10hipError_tT0_T1_T2_jT3_P12ihipStream_tbPNSt15iterator_traitsISE_E10value_typeEPNSK_ISF_E10value_typeEPSG_NS1_7vsmem_tEENKUlT_SE_SF_SG_E_clIS8_S8_S9_S9_EESD_ST_SE_SF_SG_EUlST_E1_NS1_11comp_targetILNS1_3genE2ELNS1_11target_archE906ELNS1_3gpuE6ELNS1_3repE0EEENS1_36merge_oddeven_config_static_selectorELNS0_4arch9wavefront6targetE0EEEvSF_
		.amdhsa_group_segment_fixed_size 0
		.amdhsa_private_segment_fixed_size 0
		.amdhsa_kernarg_size 48
		.amdhsa_user_sgpr_count 2
		.amdhsa_user_sgpr_dispatch_ptr 0
		.amdhsa_user_sgpr_queue_ptr 0
		.amdhsa_user_sgpr_kernarg_segment_ptr 1
		.amdhsa_user_sgpr_dispatch_id 0
		.amdhsa_user_sgpr_kernarg_preload_length 0
		.amdhsa_user_sgpr_kernarg_preload_offset 0
		.amdhsa_user_sgpr_private_segment_size 0
		.amdhsa_wavefront_size32 1
		.amdhsa_uses_dynamic_stack 0
		.amdhsa_enable_private_segment 0
		.amdhsa_system_sgpr_workgroup_id_x 1
		.amdhsa_system_sgpr_workgroup_id_y 0
		.amdhsa_system_sgpr_workgroup_id_z 0
		.amdhsa_system_sgpr_workgroup_info 0
		.amdhsa_system_vgpr_workitem_id 0
		.amdhsa_next_free_vgpr 1
		.amdhsa_next_free_sgpr 1
		.amdhsa_named_barrier_count 0
		.amdhsa_reserve_vcc 0
		.amdhsa_float_round_mode_32 0
		.amdhsa_float_round_mode_16_64 0
		.amdhsa_float_denorm_mode_32 3
		.amdhsa_float_denorm_mode_16_64 3
		.amdhsa_fp16_overflow 0
		.amdhsa_memory_ordered 1
		.amdhsa_forward_progress 1
		.amdhsa_inst_pref_size 0
		.amdhsa_round_robin_scheduling 0
		.amdhsa_exception_fp_ieee_invalid_op 0
		.amdhsa_exception_fp_denorm_src 0
		.amdhsa_exception_fp_ieee_div_zero 0
		.amdhsa_exception_fp_ieee_overflow 0
		.amdhsa_exception_fp_ieee_underflow 0
		.amdhsa_exception_fp_ieee_inexact 0
		.amdhsa_exception_int_div_zero 0
	.end_amdhsa_kernel
	.section	.text._ZN7rocprim17ROCPRIM_400000_NS6detail17trampoline_kernelINS0_14default_configENS1_38merge_sort_block_merge_config_selectorIlNS0_10empty_typeEEEZZNS1_27merge_sort_block_merge_implIS3_PlPS5_jNS1_19radix_merge_compareILb0ELb0ElNS0_19identity_decomposerEEEEE10hipError_tT0_T1_T2_jT3_P12ihipStream_tbPNSt15iterator_traitsISE_E10value_typeEPNSK_ISF_E10value_typeEPSG_NS1_7vsmem_tEENKUlT_SE_SF_SG_E_clIS8_S8_S9_S9_EESD_ST_SE_SF_SG_EUlST_E1_NS1_11comp_targetILNS1_3genE2ELNS1_11target_archE906ELNS1_3gpuE6ELNS1_3repE0EEENS1_36merge_oddeven_config_static_selectorELNS0_4arch9wavefront6targetE0EEEvSF_,"axG",@progbits,_ZN7rocprim17ROCPRIM_400000_NS6detail17trampoline_kernelINS0_14default_configENS1_38merge_sort_block_merge_config_selectorIlNS0_10empty_typeEEEZZNS1_27merge_sort_block_merge_implIS3_PlPS5_jNS1_19radix_merge_compareILb0ELb0ElNS0_19identity_decomposerEEEEE10hipError_tT0_T1_T2_jT3_P12ihipStream_tbPNSt15iterator_traitsISE_E10value_typeEPNSK_ISF_E10value_typeEPSG_NS1_7vsmem_tEENKUlT_SE_SF_SG_E_clIS8_S8_S9_S9_EESD_ST_SE_SF_SG_EUlST_E1_NS1_11comp_targetILNS1_3genE2ELNS1_11target_archE906ELNS1_3gpuE6ELNS1_3repE0EEENS1_36merge_oddeven_config_static_selectorELNS0_4arch9wavefront6targetE0EEEvSF_,comdat
.Lfunc_end1162:
	.size	_ZN7rocprim17ROCPRIM_400000_NS6detail17trampoline_kernelINS0_14default_configENS1_38merge_sort_block_merge_config_selectorIlNS0_10empty_typeEEEZZNS1_27merge_sort_block_merge_implIS3_PlPS5_jNS1_19radix_merge_compareILb0ELb0ElNS0_19identity_decomposerEEEEE10hipError_tT0_T1_T2_jT3_P12ihipStream_tbPNSt15iterator_traitsISE_E10value_typeEPNSK_ISF_E10value_typeEPSG_NS1_7vsmem_tEENKUlT_SE_SF_SG_E_clIS8_S8_S9_S9_EESD_ST_SE_SF_SG_EUlST_E1_NS1_11comp_targetILNS1_3genE2ELNS1_11target_archE906ELNS1_3gpuE6ELNS1_3repE0EEENS1_36merge_oddeven_config_static_selectorELNS0_4arch9wavefront6targetE0EEEvSF_, .Lfunc_end1162-_ZN7rocprim17ROCPRIM_400000_NS6detail17trampoline_kernelINS0_14default_configENS1_38merge_sort_block_merge_config_selectorIlNS0_10empty_typeEEEZZNS1_27merge_sort_block_merge_implIS3_PlPS5_jNS1_19radix_merge_compareILb0ELb0ElNS0_19identity_decomposerEEEEE10hipError_tT0_T1_T2_jT3_P12ihipStream_tbPNSt15iterator_traitsISE_E10value_typeEPNSK_ISF_E10value_typeEPSG_NS1_7vsmem_tEENKUlT_SE_SF_SG_E_clIS8_S8_S9_S9_EESD_ST_SE_SF_SG_EUlST_E1_NS1_11comp_targetILNS1_3genE2ELNS1_11target_archE906ELNS1_3gpuE6ELNS1_3repE0EEENS1_36merge_oddeven_config_static_selectorELNS0_4arch9wavefront6targetE0EEEvSF_
                                        ; -- End function
	.set _ZN7rocprim17ROCPRIM_400000_NS6detail17trampoline_kernelINS0_14default_configENS1_38merge_sort_block_merge_config_selectorIlNS0_10empty_typeEEEZZNS1_27merge_sort_block_merge_implIS3_PlPS5_jNS1_19radix_merge_compareILb0ELb0ElNS0_19identity_decomposerEEEEE10hipError_tT0_T1_T2_jT3_P12ihipStream_tbPNSt15iterator_traitsISE_E10value_typeEPNSK_ISF_E10value_typeEPSG_NS1_7vsmem_tEENKUlT_SE_SF_SG_E_clIS8_S8_S9_S9_EESD_ST_SE_SF_SG_EUlST_E1_NS1_11comp_targetILNS1_3genE2ELNS1_11target_archE906ELNS1_3gpuE6ELNS1_3repE0EEENS1_36merge_oddeven_config_static_selectorELNS0_4arch9wavefront6targetE0EEEvSF_.num_vgpr, 0
	.set _ZN7rocprim17ROCPRIM_400000_NS6detail17trampoline_kernelINS0_14default_configENS1_38merge_sort_block_merge_config_selectorIlNS0_10empty_typeEEEZZNS1_27merge_sort_block_merge_implIS3_PlPS5_jNS1_19radix_merge_compareILb0ELb0ElNS0_19identity_decomposerEEEEE10hipError_tT0_T1_T2_jT3_P12ihipStream_tbPNSt15iterator_traitsISE_E10value_typeEPNSK_ISF_E10value_typeEPSG_NS1_7vsmem_tEENKUlT_SE_SF_SG_E_clIS8_S8_S9_S9_EESD_ST_SE_SF_SG_EUlST_E1_NS1_11comp_targetILNS1_3genE2ELNS1_11target_archE906ELNS1_3gpuE6ELNS1_3repE0EEENS1_36merge_oddeven_config_static_selectorELNS0_4arch9wavefront6targetE0EEEvSF_.num_agpr, 0
	.set _ZN7rocprim17ROCPRIM_400000_NS6detail17trampoline_kernelINS0_14default_configENS1_38merge_sort_block_merge_config_selectorIlNS0_10empty_typeEEEZZNS1_27merge_sort_block_merge_implIS3_PlPS5_jNS1_19radix_merge_compareILb0ELb0ElNS0_19identity_decomposerEEEEE10hipError_tT0_T1_T2_jT3_P12ihipStream_tbPNSt15iterator_traitsISE_E10value_typeEPNSK_ISF_E10value_typeEPSG_NS1_7vsmem_tEENKUlT_SE_SF_SG_E_clIS8_S8_S9_S9_EESD_ST_SE_SF_SG_EUlST_E1_NS1_11comp_targetILNS1_3genE2ELNS1_11target_archE906ELNS1_3gpuE6ELNS1_3repE0EEENS1_36merge_oddeven_config_static_selectorELNS0_4arch9wavefront6targetE0EEEvSF_.numbered_sgpr, 0
	.set _ZN7rocprim17ROCPRIM_400000_NS6detail17trampoline_kernelINS0_14default_configENS1_38merge_sort_block_merge_config_selectorIlNS0_10empty_typeEEEZZNS1_27merge_sort_block_merge_implIS3_PlPS5_jNS1_19radix_merge_compareILb0ELb0ElNS0_19identity_decomposerEEEEE10hipError_tT0_T1_T2_jT3_P12ihipStream_tbPNSt15iterator_traitsISE_E10value_typeEPNSK_ISF_E10value_typeEPSG_NS1_7vsmem_tEENKUlT_SE_SF_SG_E_clIS8_S8_S9_S9_EESD_ST_SE_SF_SG_EUlST_E1_NS1_11comp_targetILNS1_3genE2ELNS1_11target_archE906ELNS1_3gpuE6ELNS1_3repE0EEENS1_36merge_oddeven_config_static_selectorELNS0_4arch9wavefront6targetE0EEEvSF_.num_named_barrier, 0
	.set _ZN7rocprim17ROCPRIM_400000_NS6detail17trampoline_kernelINS0_14default_configENS1_38merge_sort_block_merge_config_selectorIlNS0_10empty_typeEEEZZNS1_27merge_sort_block_merge_implIS3_PlPS5_jNS1_19radix_merge_compareILb0ELb0ElNS0_19identity_decomposerEEEEE10hipError_tT0_T1_T2_jT3_P12ihipStream_tbPNSt15iterator_traitsISE_E10value_typeEPNSK_ISF_E10value_typeEPSG_NS1_7vsmem_tEENKUlT_SE_SF_SG_E_clIS8_S8_S9_S9_EESD_ST_SE_SF_SG_EUlST_E1_NS1_11comp_targetILNS1_3genE2ELNS1_11target_archE906ELNS1_3gpuE6ELNS1_3repE0EEENS1_36merge_oddeven_config_static_selectorELNS0_4arch9wavefront6targetE0EEEvSF_.private_seg_size, 0
	.set _ZN7rocprim17ROCPRIM_400000_NS6detail17trampoline_kernelINS0_14default_configENS1_38merge_sort_block_merge_config_selectorIlNS0_10empty_typeEEEZZNS1_27merge_sort_block_merge_implIS3_PlPS5_jNS1_19radix_merge_compareILb0ELb0ElNS0_19identity_decomposerEEEEE10hipError_tT0_T1_T2_jT3_P12ihipStream_tbPNSt15iterator_traitsISE_E10value_typeEPNSK_ISF_E10value_typeEPSG_NS1_7vsmem_tEENKUlT_SE_SF_SG_E_clIS8_S8_S9_S9_EESD_ST_SE_SF_SG_EUlST_E1_NS1_11comp_targetILNS1_3genE2ELNS1_11target_archE906ELNS1_3gpuE6ELNS1_3repE0EEENS1_36merge_oddeven_config_static_selectorELNS0_4arch9wavefront6targetE0EEEvSF_.uses_vcc, 0
	.set _ZN7rocprim17ROCPRIM_400000_NS6detail17trampoline_kernelINS0_14default_configENS1_38merge_sort_block_merge_config_selectorIlNS0_10empty_typeEEEZZNS1_27merge_sort_block_merge_implIS3_PlPS5_jNS1_19radix_merge_compareILb0ELb0ElNS0_19identity_decomposerEEEEE10hipError_tT0_T1_T2_jT3_P12ihipStream_tbPNSt15iterator_traitsISE_E10value_typeEPNSK_ISF_E10value_typeEPSG_NS1_7vsmem_tEENKUlT_SE_SF_SG_E_clIS8_S8_S9_S9_EESD_ST_SE_SF_SG_EUlST_E1_NS1_11comp_targetILNS1_3genE2ELNS1_11target_archE906ELNS1_3gpuE6ELNS1_3repE0EEENS1_36merge_oddeven_config_static_selectorELNS0_4arch9wavefront6targetE0EEEvSF_.uses_flat_scratch, 0
	.set _ZN7rocprim17ROCPRIM_400000_NS6detail17trampoline_kernelINS0_14default_configENS1_38merge_sort_block_merge_config_selectorIlNS0_10empty_typeEEEZZNS1_27merge_sort_block_merge_implIS3_PlPS5_jNS1_19radix_merge_compareILb0ELb0ElNS0_19identity_decomposerEEEEE10hipError_tT0_T1_T2_jT3_P12ihipStream_tbPNSt15iterator_traitsISE_E10value_typeEPNSK_ISF_E10value_typeEPSG_NS1_7vsmem_tEENKUlT_SE_SF_SG_E_clIS8_S8_S9_S9_EESD_ST_SE_SF_SG_EUlST_E1_NS1_11comp_targetILNS1_3genE2ELNS1_11target_archE906ELNS1_3gpuE6ELNS1_3repE0EEENS1_36merge_oddeven_config_static_selectorELNS0_4arch9wavefront6targetE0EEEvSF_.has_dyn_sized_stack, 0
	.set _ZN7rocprim17ROCPRIM_400000_NS6detail17trampoline_kernelINS0_14default_configENS1_38merge_sort_block_merge_config_selectorIlNS0_10empty_typeEEEZZNS1_27merge_sort_block_merge_implIS3_PlPS5_jNS1_19radix_merge_compareILb0ELb0ElNS0_19identity_decomposerEEEEE10hipError_tT0_T1_T2_jT3_P12ihipStream_tbPNSt15iterator_traitsISE_E10value_typeEPNSK_ISF_E10value_typeEPSG_NS1_7vsmem_tEENKUlT_SE_SF_SG_E_clIS8_S8_S9_S9_EESD_ST_SE_SF_SG_EUlST_E1_NS1_11comp_targetILNS1_3genE2ELNS1_11target_archE906ELNS1_3gpuE6ELNS1_3repE0EEENS1_36merge_oddeven_config_static_selectorELNS0_4arch9wavefront6targetE0EEEvSF_.has_recursion, 0
	.set _ZN7rocprim17ROCPRIM_400000_NS6detail17trampoline_kernelINS0_14default_configENS1_38merge_sort_block_merge_config_selectorIlNS0_10empty_typeEEEZZNS1_27merge_sort_block_merge_implIS3_PlPS5_jNS1_19radix_merge_compareILb0ELb0ElNS0_19identity_decomposerEEEEE10hipError_tT0_T1_T2_jT3_P12ihipStream_tbPNSt15iterator_traitsISE_E10value_typeEPNSK_ISF_E10value_typeEPSG_NS1_7vsmem_tEENKUlT_SE_SF_SG_E_clIS8_S8_S9_S9_EESD_ST_SE_SF_SG_EUlST_E1_NS1_11comp_targetILNS1_3genE2ELNS1_11target_archE906ELNS1_3gpuE6ELNS1_3repE0EEENS1_36merge_oddeven_config_static_selectorELNS0_4arch9wavefront6targetE0EEEvSF_.has_indirect_call, 0
	.section	.AMDGPU.csdata,"",@progbits
; Kernel info:
; codeLenInByte = 0
; TotalNumSgprs: 0
; NumVgprs: 0
; ScratchSize: 0
; MemoryBound: 0
; FloatMode: 240
; IeeeMode: 1
; LDSByteSize: 0 bytes/workgroup (compile time only)
; SGPRBlocks: 0
; VGPRBlocks: 0
; NumSGPRsForWavesPerEU: 1
; NumVGPRsForWavesPerEU: 1
; NamedBarCnt: 0
; Occupancy: 16
; WaveLimiterHint : 0
; COMPUTE_PGM_RSRC2:SCRATCH_EN: 0
; COMPUTE_PGM_RSRC2:USER_SGPR: 2
; COMPUTE_PGM_RSRC2:TRAP_HANDLER: 0
; COMPUTE_PGM_RSRC2:TGID_X_EN: 1
; COMPUTE_PGM_RSRC2:TGID_Y_EN: 0
; COMPUTE_PGM_RSRC2:TGID_Z_EN: 0
; COMPUTE_PGM_RSRC2:TIDIG_COMP_CNT: 0
	.section	.text._ZN7rocprim17ROCPRIM_400000_NS6detail17trampoline_kernelINS0_14default_configENS1_38merge_sort_block_merge_config_selectorIlNS0_10empty_typeEEEZZNS1_27merge_sort_block_merge_implIS3_PlPS5_jNS1_19radix_merge_compareILb0ELb0ElNS0_19identity_decomposerEEEEE10hipError_tT0_T1_T2_jT3_P12ihipStream_tbPNSt15iterator_traitsISE_E10value_typeEPNSK_ISF_E10value_typeEPSG_NS1_7vsmem_tEENKUlT_SE_SF_SG_E_clIS8_S8_S9_S9_EESD_ST_SE_SF_SG_EUlST_E1_NS1_11comp_targetILNS1_3genE9ELNS1_11target_archE1100ELNS1_3gpuE3ELNS1_3repE0EEENS1_36merge_oddeven_config_static_selectorELNS0_4arch9wavefront6targetE0EEEvSF_,"axG",@progbits,_ZN7rocprim17ROCPRIM_400000_NS6detail17trampoline_kernelINS0_14default_configENS1_38merge_sort_block_merge_config_selectorIlNS0_10empty_typeEEEZZNS1_27merge_sort_block_merge_implIS3_PlPS5_jNS1_19radix_merge_compareILb0ELb0ElNS0_19identity_decomposerEEEEE10hipError_tT0_T1_T2_jT3_P12ihipStream_tbPNSt15iterator_traitsISE_E10value_typeEPNSK_ISF_E10value_typeEPSG_NS1_7vsmem_tEENKUlT_SE_SF_SG_E_clIS8_S8_S9_S9_EESD_ST_SE_SF_SG_EUlST_E1_NS1_11comp_targetILNS1_3genE9ELNS1_11target_archE1100ELNS1_3gpuE3ELNS1_3repE0EEENS1_36merge_oddeven_config_static_selectorELNS0_4arch9wavefront6targetE0EEEvSF_,comdat
	.protected	_ZN7rocprim17ROCPRIM_400000_NS6detail17trampoline_kernelINS0_14default_configENS1_38merge_sort_block_merge_config_selectorIlNS0_10empty_typeEEEZZNS1_27merge_sort_block_merge_implIS3_PlPS5_jNS1_19radix_merge_compareILb0ELb0ElNS0_19identity_decomposerEEEEE10hipError_tT0_T1_T2_jT3_P12ihipStream_tbPNSt15iterator_traitsISE_E10value_typeEPNSK_ISF_E10value_typeEPSG_NS1_7vsmem_tEENKUlT_SE_SF_SG_E_clIS8_S8_S9_S9_EESD_ST_SE_SF_SG_EUlST_E1_NS1_11comp_targetILNS1_3genE9ELNS1_11target_archE1100ELNS1_3gpuE3ELNS1_3repE0EEENS1_36merge_oddeven_config_static_selectorELNS0_4arch9wavefront6targetE0EEEvSF_ ; -- Begin function _ZN7rocprim17ROCPRIM_400000_NS6detail17trampoline_kernelINS0_14default_configENS1_38merge_sort_block_merge_config_selectorIlNS0_10empty_typeEEEZZNS1_27merge_sort_block_merge_implIS3_PlPS5_jNS1_19radix_merge_compareILb0ELb0ElNS0_19identity_decomposerEEEEE10hipError_tT0_T1_T2_jT3_P12ihipStream_tbPNSt15iterator_traitsISE_E10value_typeEPNSK_ISF_E10value_typeEPSG_NS1_7vsmem_tEENKUlT_SE_SF_SG_E_clIS8_S8_S9_S9_EESD_ST_SE_SF_SG_EUlST_E1_NS1_11comp_targetILNS1_3genE9ELNS1_11target_archE1100ELNS1_3gpuE3ELNS1_3repE0EEENS1_36merge_oddeven_config_static_selectorELNS0_4arch9wavefront6targetE0EEEvSF_
	.globl	_ZN7rocprim17ROCPRIM_400000_NS6detail17trampoline_kernelINS0_14default_configENS1_38merge_sort_block_merge_config_selectorIlNS0_10empty_typeEEEZZNS1_27merge_sort_block_merge_implIS3_PlPS5_jNS1_19radix_merge_compareILb0ELb0ElNS0_19identity_decomposerEEEEE10hipError_tT0_T1_T2_jT3_P12ihipStream_tbPNSt15iterator_traitsISE_E10value_typeEPNSK_ISF_E10value_typeEPSG_NS1_7vsmem_tEENKUlT_SE_SF_SG_E_clIS8_S8_S9_S9_EESD_ST_SE_SF_SG_EUlST_E1_NS1_11comp_targetILNS1_3genE9ELNS1_11target_archE1100ELNS1_3gpuE3ELNS1_3repE0EEENS1_36merge_oddeven_config_static_selectorELNS0_4arch9wavefront6targetE0EEEvSF_
	.p2align	8
	.type	_ZN7rocprim17ROCPRIM_400000_NS6detail17trampoline_kernelINS0_14default_configENS1_38merge_sort_block_merge_config_selectorIlNS0_10empty_typeEEEZZNS1_27merge_sort_block_merge_implIS3_PlPS5_jNS1_19radix_merge_compareILb0ELb0ElNS0_19identity_decomposerEEEEE10hipError_tT0_T1_T2_jT3_P12ihipStream_tbPNSt15iterator_traitsISE_E10value_typeEPNSK_ISF_E10value_typeEPSG_NS1_7vsmem_tEENKUlT_SE_SF_SG_E_clIS8_S8_S9_S9_EESD_ST_SE_SF_SG_EUlST_E1_NS1_11comp_targetILNS1_3genE9ELNS1_11target_archE1100ELNS1_3gpuE3ELNS1_3repE0EEENS1_36merge_oddeven_config_static_selectorELNS0_4arch9wavefront6targetE0EEEvSF_,@function
_ZN7rocprim17ROCPRIM_400000_NS6detail17trampoline_kernelINS0_14default_configENS1_38merge_sort_block_merge_config_selectorIlNS0_10empty_typeEEEZZNS1_27merge_sort_block_merge_implIS3_PlPS5_jNS1_19radix_merge_compareILb0ELb0ElNS0_19identity_decomposerEEEEE10hipError_tT0_T1_T2_jT3_P12ihipStream_tbPNSt15iterator_traitsISE_E10value_typeEPNSK_ISF_E10value_typeEPSG_NS1_7vsmem_tEENKUlT_SE_SF_SG_E_clIS8_S8_S9_S9_EESD_ST_SE_SF_SG_EUlST_E1_NS1_11comp_targetILNS1_3genE9ELNS1_11target_archE1100ELNS1_3gpuE3ELNS1_3repE0EEENS1_36merge_oddeven_config_static_selectorELNS0_4arch9wavefront6targetE0EEEvSF_: ; @_ZN7rocprim17ROCPRIM_400000_NS6detail17trampoline_kernelINS0_14default_configENS1_38merge_sort_block_merge_config_selectorIlNS0_10empty_typeEEEZZNS1_27merge_sort_block_merge_implIS3_PlPS5_jNS1_19radix_merge_compareILb0ELb0ElNS0_19identity_decomposerEEEEE10hipError_tT0_T1_T2_jT3_P12ihipStream_tbPNSt15iterator_traitsISE_E10value_typeEPNSK_ISF_E10value_typeEPSG_NS1_7vsmem_tEENKUlT_SE_SF_SG_E_clIS8_S8_S9_S9_EESD_ST_SE_SF_SG_EUlST_E1_NS1_11comp_targetILNS1_3genE9ELNS1_11target_archE1100ELNS1_3gpuE3ELNS1_3repE0EEENS1_36merge_oddeven_config_static_selectorELNS0_4arch9wavefront6targetE0EEEvSF_
; %bb.0:
	.section	.rodata,"a",@progbits
	.p2align	6, 0x0
	.amdhsa_kernel _ZN7rocprim17ROCPRIM_400000_NS6detail17trampoline_kernelINS0_14default_configENS1_38merge_sort_block_merge_config_selectorIlNS0_10empty_typeEEEZZNS1_27merge_sort_block_merge_implIS3_PlPS5_jNS1_19radix_merge_compareILb0ELb0ElNS0_19identity_decomposerEEEEE10hipError_tT0_T1_T2_jT3_P12ihipStream_tbPNSt15iterator_traitsISE_E10value_typeEPNSK_ISF_E10value_typeEPSG_NS1_7vsmem_tEENKUlT_SE_SF_SG_E_clIS8_S8_S9_S9_EESD_ST_SE_SF_SG_EUlST_E1_NS1_11comp_targetILNS1_3genE9ELNS1_11target_archE1100ELNS1_3gpuE3ELNS1_3repE0EEENS1_36merge_oddeven_config_static_selectorELNS0_4arch9wavefront6targetE0EEEvSF_
		.amdhsa_group_segment_fixed_size 0
		.amdhsa_private_segment_fixed_size 0
		.amdhsa_kernarg_size 48
		.amdhsa_user_sgpr_count 2
		.amdhsa_user_sgpr_dispatch_ptr 0
		.amdhsa_user_sgpr_queue_ptr 0
		.amdhsa_user_sgpr_kernarg_segment_ptr 1
		.amdhsa_user_sgpr_dispatch_id 0
		.amdhsa_user_sgpr_kernarg_preload_length 0
		.amdhsa_user_sgpr_kernarg_preload_offset 0
		.amdhsa_user_sgpr_private_segment_size 0
		.amdhsa_wavefront_size32 1
		.amdhsa_uses_dynamic_stack 0
		.amdhsa_enable_private_segment 0
		.amdhsa_system_sgpr_workgroup_id_x 1
		.amdhsa_system_sgpr_workgroup_id_y 0
		.amdhsa_system_sgpr_workgroup_id_z 0
		.amdhsa_system_sgpr_workgroup_info 0
		.amdhsa_system_vgpr_workitem_id 0
		.amdhsa_next_free_vgpr 1
		.amdhsa_next_free_sgpr 1
		.amdhsa_named_barrier_count 0
		.amdhsa_reserve_vcc 0
		.amdhsa_float_round_mode_32 0
		.amdhsa_float_round_mode_16_64 0
		.amdhsa_float_denorm_mode_32 3
		.amdhsa_float_denorm_mode_16_64 3
		.amdhsa_fp16_overflow 0
		.amdhsa_memory_ordered 1
		.amdhsa_forward_progress 1
		.amdhsa_inst_pref_size 0
		.amdhsa_round_robin_scheduling 0
		.amdhsa_exception_fp_ieee_invalid_op 0
		.amdhsa_exception_fp_denorm_src 0
		.amdhsa_exception_fp_ieee_div_zero 0
		.amdhsa_exception_fp_ieee_overflow 0
		.amdhsa_exception_fp_ieee_underflow 0
		.amdhsa_exception_fp_ieee_inexact 0
		.amdhsa_exception_int_div_zero 0
	.end_amdhsa_kernel
	.section	.text._ZN7rocprim17ROCPRIM_400000_NS6detail17trampoline_kernelINS0_14default_configENS1_38merge_sort_block_merge_config_selectorIlNS0_10empty_typeEEEZZNS1_27merge_sort_block_merge_implIS3_PlPS5_jNS1_19radix_merge_compareILb0ELb0ElNS0_19identity_decomposerEEEEE10hipError_tT0_T1_T2_jT3_P12ihipStream_tbPNSt15iterator_traitsISE_E10value_typeEPNSK_ISF_E10value_typeEPSG_NS1_7vsmem_tEENKUlT_SE_SF_SG_E_clIS8_S8_S9_S9_EESD_ST_SE_SF_SG_EUlST_E1_NS1_11comp_targetILNS1_3genE9ELNS1_11target_archE1100ELNS1_3gpuE3ELNS1_3repE0EEENS1_36merge_oddeven_config_static_selectorELNS0_4arch9wavefront6targetE0EEEvSF_,"axG",@progbits,_ZN7rocprim17ROCPRIM_400000_NS6detail17trampoline_kernelINS0_14default_configENS1_38merge_sort_block_merge_config_selectorIlNS0_10empty_typeEEEZZNS1_27merge_sort_block_merge_implIS3_PlPS5_jNS1_19radix_merge_compareILb0ELb0ElNS0_19identity_decomposerEEEEE10hipError_tT0_T1_T2_jT3_P12ihipStream_tbPNSt15iterator_traitsISE_E10value_typeEPNSK_ISF_E10value_typeEPSG_NS1_7vsmem_tEENKUlT_SE_SF_SG_E_clIS8_S8_S9_S9_EESD_ST_SE_SF_SG_EUlST_E1_NS1_11comp_targetILNS1_3genE9ELNS1_11target_archE1100ELNS1_3gpuE3ELNS1_3repE0EEENS1_36merge_oddeven_config_static_selectorELNS0_4arch9wavefront6targetE0EEEvSF_,comdat
.Lfunc_end1163:
	.size	_ZN7rocprim17ROCPRIM_400000_NS6detail17trampoline_kernelINS0_14default_configENS1_38merge_sort_block_merge_config_selectorIlNS0_10empty_typeEEEZZNS1_27merge_sort_block_merge_implIS3_PlPS5_jNS1_19radix_merge_compareILb0ELb0ElNS0_19identity_decomposerEEEEE10hipError_tT0_T1_T2_jT3_P12ihipStream_tbPNSt15iterator_traitsISE_E10value_typeEPNSK_ISF_E10value_typeEPSG_NS1_7vsmem_tEENKUlT_SE_SF_SG_E_clIS8_S8_S9_S9_EESD_ST_SE_SF_SG_EUlST_E1_NS1_11comp_targetILNS1_3genE9ELNS1_11target_archE1100ELNS1_3gpuE3ELNS1_3repE0EEENS1_36merge_oddeven_config_static_selectorELNS0_4arch9wavefront6targetE0EEEvSF_, .Lfunc_end1163-_ZN7rocprim17ROCPRIM_400000_NS6detail17trampoline_kernelINS0_14default_configENS1_38merge_sort_block_merge_config_selectorIlNS0_10empty_typeEEEZZNS1_27merge_sort_block_merge_implIS3_PlPS5_jNS1_19radix_merge_compareILb0ELb0ElNS0_19identity_decomposerEEEEE10hipError_tT0_T1_T2_jT3_P12ihipStream_tbPNSt15iterator_traitsISE_E10value_typeEPNSK_ISF_E10value_typeEPSG_NS1_7vsmem_tEENKUlT_SE_SF_SG_E_clIS8_S8_S9_S9_EESD_ST_SE_SF_SG_EUlST_E1_NS1_11comp_targetILNS1_3genE9ELNS1_11target_archE1100ELNS1_3gpuE3ELNS1_3repE0EEENS1_36merge_oddeven_config_static_selectorELNS0_4arch9wavefront6targetE0EEEvSF_
                                        ; -- End function
	.set _ZN7rocprim17ROCPRIM_400000_NS6detail17trampoline_kernelINS0_14default_configENS1_38merge_sort_block_merge_config_selectorIlNS0_10empty_typeEEEZZNS1_27merge_sort_block_merge_implIS3_PlPS5_jNS1_19radix_merge_compareILb0ELb0ElNS0_19identity_decomposerEEEEE10hipError_tT0_T1_T2_jT3_P12ihipStream_tbPNSt15iterator_traitsISE_E10value_typeEPNSK_ISF_E10value_typeEPSG_NS1_7vsmem_tEENKUlT_SE_SF_SG_E_clIS8_S8_S9_S9_EESD_ST_SE_SF_SG_EUlST_E1_NS1_11comp_targetILNS1_3genE9ELNS1_11target_archE1100ELNS1_3gpuE3ELNS1_3repE0EEENS1_36merge_oddeven_config_static_selectorELNS0_4arch9wavefront6targetE0EEEvSF_.num_vgpr, 0
	.set _ZN7rocprim17ROCPRIM_400000_NS6detail17trampoline_kernelINS0_14default_configENS1_38merge_sort_block_merge_config_selectorIlNS0_10empty_typeEEEZZNS1_27merge_sort_block_merge_implIS3_PlPS5_jNS1_19radix_merge_compareILb0ELb0ElNS0_19identity_decomposerEEEEE10hipError_tT0_T1_T2_jT3_P12ihipStream_tbPNSt15iterator_traitsISE_E10value_typeEPNSK_ISF_E10value_typeEPSG_NS1_7vsmem_tEENKUlT_SE_SF_SG_E_clIS8_S8_S9_S9_EESD_ST_SE_SF_SG_EUlST_E1_NS1_11comp_targetILNS1_3genE9ELNS1_11target_archE1100ELNS1_3gpuE3ELNS1_3repE0EEENS1_36merge_oddeven_config_static_selectorELNS0_4arch9wavefront6targetE0EEEvSF_.num_agpr, 0
	.set _ZN7rocprim17ROCPRIM_400000_NS6detail17trampoline_kernelINS0_14default_configENS1_38merge_sort_block_merge_config_selectorIlNS0_10empty_typeEEEZZNS1_27merge_sort_block_merge_implIS3_PlPS5_jNS1_19radix_merge_compareILb0ELb0ElNS0_19identity_decomposerEEEEE10hipError_tT0_T1_T2_jT3_P12ihipStream_tbPNSt15iterator_traitsISE_E10value_typeEPNSK_ISF_E10value_typeEPSG_NS1_7vsmem_tEENKUlT_SE_SF_SG_E_clIS8_S8_S9_S9_EESD_ST_SE_SF_SG_EUlST_E1_NS1_11comp_targetILNS1_3genE9ELNS1_11target_archE1100ELNS1_3gpuE3ELNS1_3repE0EEENS1_36merge_oddeven_config_static_selectorELNS0_4arch9wavefront6targetE0EEEvSF_.numbered_sgpr, 0
	.set _ZN7rocprim17ROCPRIM_400000_NS6detail17trampoline_kernelINS0_14default_configENS1_38merge_sort_block_merge_config_selectorIlNS0_10empty_typeEEEZZNS1_27merge_sort_block_merge_implIS3_PlPS5_jNS1_19radix_merge_compareILb0ELb0ElNS0_19identity_decomposerEEEEE10hipError_tT0_T1_T2_jT3_P12ihipStream_tbPNSt15iterator_traitsISE_E10value_typeEPNSK_ISF_E10value_typeEPSG_NS1_7vsmem_tEENKUlT_SE_SF_SG_E_clIS8_S8_S9_S9_EESD_ST_SE_SF_SG_EUlST_E1_NS1_11comp_targetILNS1_3genE9ELNS1_11target_archE1100ELNS1_3gpuE3ELNS1_3repE0EEENS1_36merge_oddeven_config_static_selectorELNS0_4arch9wavefront6targetE0EEEvSF_.num_named_barrier, 0
	.set _ZN7rocprim17ROCPRIM_400000_NS6detail17trampoline_kernelINS0_14default_configENS1_38merge_sort_block_merge_config_selectorIlNS0_10empty_typeEEEZZNS1_27merge_sort_block_merge_implIS3_PlPS5_jNS1_19radix_merge_compareILb0ELb0ElNS0_19identity_decomposerEEEEE10hipError_tT0_T1_T2_jT3_P12ihipStream_tbPNSt15iterator_traitsISE_E10value_typeEPNSK_ISF_E10value_typeEPSG_NS1_7vsmem_tEENKUlT_SE_SF_SG_E_clIS8_S8_S9_S9_EESD_ST_SE_SF_SG_EUlST_E1_NS1_11comp_targetILNS1_3genE9ELNS1_11target_archE1100ELNS1_3gpuE3ELNS1_3repE0EEENS1_36merge_oddeven_config_static_selectorELNS0_4arch9wavefront6targetE0EEEvSF_.private_seg_size, 0
	.set _ZN7rocprim17ROCPRIM_400000_NS6detail17trampoline_kernelINS0_14default_configENS1_38merge_sort_block_merge_config_selectorIlNS0_10empty_typeEEEZZNS1_27merge_sort_block_merge_implIS3_PlPS5_jNS1_19radix_merge_compareILb0ELb0ElNS0_19identity_decomposerEEEEE10hipError_tT0_T1_T2_jT3_P12ihipStream_tbPNSt15iterator_traitsISE_E10value_typeEPNSK_ISF_E10value_typeEPSG_NS1_7vsmem_tEENKUlT_SE_SF_SG_E_clIS8_S8_S9_S9_EESD_ST_SE_SF_SG_EUlST_E1_NS1_11comp_targetILNS1_3genE9ELNS1_11target_archE1100ELNS1_3gpuE3ELNS1_3repE0EEENS1_36merge_oddeven_config_static_selectorELNS0_4arch9wavefront6targetE0EEEvSF_.uses_vcc, 0
	.set _ZN7rocprim17ROCPRIM_400000_NS6detail17trampoline_kernelINS0_14default_configENS1_38merge_sort_block_merge_config_selectorIlNS0_10empty_typeEEEZZNS1_27merge_sort_block_merge_implIS3_PlPS5_jNS1_19radix_merge_compareILb0ELb0ElNS0_19identity_decomposerEEEEE10hipError_tT0_T1_T2_jT3_P12ihipStream_tbPNSt15iterator_traitsISE_E10value_typeEPNSK_ISF_E10value_typeEPSG_NS1_7vsmem_tEENKUlT_SE_SF_SG_E_clIS8_S8_S9_S9_EESD_ST_SE_SF_SG_EUlST_E1_NS1_11comp_targetILNS1_3genE9ELNS1_11target_archE1100ELNS1_3gpuE3ELNS1_3repE0EEENS1_36merge_oddeven_config_static_selectorELNS0_4arch9wavefront6targetE0EEEvSF_.uses_flat_scratch, 0
	.set _ZN7rocprim17ROCPRIM_400000_NS6detail17trampoline_kernelINS0_14default_configENS1_38merge_sort_block_merge_config_selectorIlNS0_10empty_typeEEEZZNS1_27merge_sort_block_merge_implIS3_PlPS5_jNS1_19radix_merge_compareILb0ELb0ElNS0_19identity_decomposerEEEEE10hipError_tT0_T1_T2_jT3_P12ihipStream_tbPNSt15iterator_traitsISE_E10value_typeEPNSK_ISF_E10value_typeEPSG_NS1_7vsmem_tEENKUlT_SE_SF_SG_E_clIS8_S8_S9_S9_EESD_ST_SE_SF_SG_EUlST_E1_NS1_11comp_targetILNS1_3genE9ELNS1_11target_archE1100ELNS1_3gpuE3ELNS1_3repE0EEENS1_36merge_oddeven_config_static_selectorELNS0_4arch9wavefront6targetE0EEEvSF_.has_dyn_sized_stack, 0
	.set _ZN7rocprim17ROCPRIM_400000_NS6detail17trampoline_kernelINS0_14default_configENS1_38merge_sort_block_merge_config_selectorIlNS0_10empty_typeEEEZZNS1_27merge_sort_block_merge_implIS3_PlPS5_jNS1_19radix_merge_compareILb0ELb0ElNS0_19identity_decomposerEEEEE10hipError_tT0_T1_T2_jT3_P12ihipStream_tbPNSt15iterator_traitsISE_E10value_typeEPNSK_ISF_E10value_typeEPSG_NS1_7vsmem_tEENKUlT_SE_SF_SG_E_clIS8_S8_S9_S9_EESD_ST_SE_SF_SG_EUlST_E1_NS1_11comp_targetILNS1_3genE9ELNS1_11target_archE1100ELNS1_3gpuE3ELNS1_3repE0EEENS1_36merge_oddeven_config_static_selectorELNS0_4arch9wavefront6targetE0EEEvSF_.has_recursion, 0
	.set _ZN7rocprim17ROCPRIM_400000_NS6detail17trampoline_kernelINS0_14default_configENS1_38merge_sort_block_merge_config_selectorIlNS0_10empty_typeEEEZZNS1_27merge_sort_block_merge_implIS3_PlPS5_jNS1_19radix_merge_compareILb0ELb0ElNS0_19identity_decomposerEEEEE10hipError_tT0_T1_T2_jT3_P12ihipStream_tbPNSt15iterator_traitsISE_E10value_typeEPNSK_ISF_E10value_typeEPSG_NS1_7vsmem_tEENKUlT_SE_SF_SG_E_clIS8_S8_S9_S9_EESD_ST_SE_SF_SG_EUlST_E1_NS1_11comp_targetILNS1_3genE9ELNS1_11target_archE1100ELNS1_3gpuE3ELNS1_3repE0EEENS1_36merge_oddeven_config_static_selectorELNS0_4arch9wavefront6targetE0EEEvSF_.has_indirect_call, 0
	.section	.AMDGPU.csdata,"",@progbits
; Kernel info:
; codeLenInByte = 0
; TotalNumSgprs: 0
; NumVgprs: 0
; ScratchSize: 0
; MemoryBound: 0
; FloatMode: 240
; IeeeMode: 1
; LDSByteSize: 0 bytes/workgroup (compile time only)
; SGPRBlocks: 0
; VGPRBlocks: 0
; NumSGPRsForWavesPerEU: 1
; NumVGPRsForWavesPerEU: 1
; NamedBarCnt: 0
; Occupancy: 16
; WaveLimiterHint : 0
; COMPUTE_PGM_RSRC2:SCRATCH_EN: 0
; COMPUTE_PGM_RSRC2:USER_SGPR: 2
; COMPUTE_PGM_RSRC2:TRAP_HANDLER: 0
; COMPUTE_PGM_RSRC2:TGID_X_EN: 1
; COMPUTE_PGM_RSRC2:TGID_Y_EN: 0
; COMPUTE_PGM_RSRC2:TGID_Z_EN: 0
; COMPUTE_PGM_RSRC2:TIDIG_COMP_CNT: 0
	.section	.text._ZN7rocprim17ROCPRIM_400000_NS6detail17trampoline_kernelINS0_14default_configENS1_38merge_sort_block_merge_config_selectorIlNS0_10empty_typeEEEZZNS1_27merge_sort_block_merge_implIS3_PlPS5_jNS1_19radix_merge_compareILb0ELb0ElNS0_19identity_decomposerEEEEE10hipError_tT0_T1_T2_jT3_P12ihipStream_tbPNSt15iterator_traitsISE_E10value_typeEPNSK_ISF_E10value_typeEPSG_NS1_7vsmem_tEENKUlT_SE_SF_SG_E_clIS8_S8_S9_S9_EESD_ST_SE_SF_SG_EUlST_E1_NS1_11comp_targetILNS1_3genE8ELNS1_11target_archE1030ELNS1_3gpuE2ELNS1_3repE0EEENS1_36merge_oddeven_config_static_selectorELNS0_4arch9wavefront6targetE0EEEvSF_,"axG",@progbits,_ZN7rocprim17ROCPRIM_400000_NS6detail17trampoline_kernelINS0_14default_configENS1_38merge_sort_block_merge_config_selectorIlNS0_10empty_typeEEEZZNS1_27merge_sort_block_merge_implIS3_PlPS5_jNS1_19radix_merge_compareILb0ELb0ElNS0_19identity_decomposerEEEEE10hipError_tT0_T1_T2_jT3_P12ihipStream_tbPNSt15iterator_traitsISE_E10value_typeEPNSK_ISF_E10value_typeEPSG_NS1_7vsmem_tEENKUlT_SE_SF_SG_E_clIS8_S8_S9_S9_EESD_ST_SE_SF_SG_EUlST_E1_NS1_11comp_targetILNS1_3genE8ELNS1_11target_archE1030ELNS1_3gpuE2ELNS1_3repE0EEENS1_36merge_oddeven_config_static_selectorELNS0_4arch9wavefront6targetE0EEEvSF_,comdat
	.protected	_ZN7rocprim17ROCPRIM_400000_NS6detail17trampoline_kernelINS0_14default_configENS1_38merge_sort_block_merge_config_selectorIlNS0_10empty_typeEEEZZNS1_27merge_sort_block_merge_implIS3_PlPS5_jNS1_19radix_merge_compareILb0ELb0ElNS0_19identity_decomposerEEEEE10hipError_tT0_T1_T2_jT3_P12ihipStream_tbPNSt15iterator_traitsISE_E10value_typeEPNSK_ISF_E10value_typeEPSG_NS1_7vsmem_tEENKUlT_SE_SF_SG_E_clIS8_S8_S9_S9_EESD_ST_SE_SF_SG_EUlST_E1_NS1_11comp_targetILNS1_3genE8ELNS1_11target_archE1030ELNS1_3gpuE2ELNS1_3repE0EEENS1_36merge_oddeven_config_static_selectorELNS0_4arch9wavefront6targetE0EEEvSF_ ; -- Begin function _ZN7rocprim17ROCPRIM_400000_NS6detail17trampoline_kernelINS0_14default_configENS1_38merge_sort_block_merge_config_selectorIlNS0_10empty_typeEEEZZNS1_27merge_sort_block_merge_implIS3_PlPS5_jNS1_19radix_merge_compareILb0ELb0ElNS0_19identity_decomposerEEEEE10hipError_tT0_T1_T2_jT3_P12ihipStream_tbPNSt15iterator_traitsISE_E10value_typeEPNSK_ISF_E10value_typeEPSG_NS1_7vsmem_tEENKUlT_SE_SF_SG_E_clIS8_S8_S9_S9_EESD_ST_SE_SF_SG_EUlST_E1_NS1_11comp_targetILNS1_3genE8ELNS1_11target_archE1030ELNS1_3gpuE2ELNS1_3repE0EEENS1_36merge_oddeven_config_static_selectorELNS0_4arch9wavefront6targetE0EEEvSF_
	.globl	_ZN7rocprim17ROCPRIM_400000_NS6detail17trampoline_kernelINS0_14default_configENS1_38merge_sort_block_merge_config_selectorIlNS0_10empty_typeEEEZZNS1_27merge_sort_block_merge_implIS3_PlPS5_jNS1_19radix_merge_compareILb0ELb0ElNS0_19identity_decomposerEEEEE10hipError_tT0_T1_T2_jT3_P12ihipStream_tbPNSt15iterator_traitsISE_E10value_typeEPNSK_ISF_E10value_typeEPSG_NS1_7vsmem_tEENKUlT_SE_SF_SG_E_clIS8_S8_S9_S9_EESD_ST_SE_SF_SG_EUlST_E1_NS1_11comp_targetILNS1_3genE8ELNS1_11target_archE1030ELNS1_3gpuE2ELNS1_3repE0EEENS1_36merge_oddeven_config_static_selectorELNS0_4arch9wavefront6targetE0EEEvSF_
	.p2align	8
	.type	_ZN7rocprim17ROCPRIM_400000_NS6detail17trampoline_kernelINS0_14default_configENS1_38merge_sort_block_merge_config_selectorIlNS0_10empty_typeEEEZZNS1_27merge_sort_block_merge_implIS3_PlPS5_jNS1_19radix_merge_compareILb0ELb0ElNS0_19identity_decomposerEEEEE10hipError_tT0_T1_T2_jT3_P12ihipStream_tbPNSt15iterator_traitsISE_E10value_typeEPNSK_ISF_E10value_typeEPSG_NS1_7vsmem_tEENKUlT_SE_SF_SG_E_clIS8_S8_S9_S9_EESD_ST_SE_SF_SG_EUlST_E1_NS1_11comp_targetILNS1_3genE8ELNS1_11target_archE1030ELNS1_3gpuE2ELNS1_3repE0EEENS1_36merge_oddeven_config_static_selectorELNS0_4arch9wavefront6targetE0EEEvSF_,@function
_ZN7rocprim17ROCPRIM_400000_NS6detail17trampoline_kernelINS0_14default_configENS1_38merge_sort_block_merge_config_selectorIlNS0_10empty_typeEEEZZNS1_27merge_sort_block_merge_implIS3_PlPS5_jNS1_19radix_merge_compareILb0ELb0ElNS0_19identity_decomposerEEEEE10hipError_tT0_T1_T2_jT3_P12ihipStream_tbPNSt15iterator_traitsISE_E10value_typeEPNSK_ISF_E10value_typeEPSG_NS1_7vsmem_tEENKUlT_SE_SF_SG_E_clIS8_S8_S9_S9_EESD_ST_SE_SF_SG_EUlST_E1_NS1_11comp_targetILNS1_3genE8ELNS1_11target_archE1030ELNS1_3gpuE2ELNS1_3repE0EEENS1_36merge_oddeven_config_static_selectorELNS0_4arch9wavefront6targetE0EEEvSF_: ; @_ZN7rocprim17ROCPRIM_400000_NS6detail17trampoline_kernelINS0_14default_configENS1_38merge_sort_block_merge_config_selectorIlNS0_10empty_typeEEEZZNS1_27merge_sort_block_merge_implIS3_PlPS5_jNS1_19radix_merge_compareILb0ELb0ElNS0_19identity_decomposerEEEEE10hipError_tT0_T1_T2_jT3_P12ihipStream_tbPNSt15iterator_traitsISE_E10value_typeEPNSK_ISF_E10value_typeEPSG_NS1_7vsmem_tEENKUlT_SE_SF_SG_E_clIS8_S8_S9_S9_EESD_ST_SE_SF_SG_EUlST_E1_NS1_11comp_targetILNS1_3genE8ELNS1_11target_archE1030ELNS1_3gpuE2ELNS1_3repE0EEENS1_36merge_oddeven_config_static_selectorELNS0_4arch9wavefront6targetE0EEEvSF_
; %bb.0:
	.section	.rodata,"a",@progbits
	.p2align	6, 0x0
	.amdhsa_kernel _ZN7rocprim17ROCPRIM_400000_NS6detail17trampoline_kernelINS0_14default_configENS1_38merge_sort_block_merge_config_selectorIlNS0_10empty_typeEEEZZNS1_27merge_sort_block_merge_implIS3_PlPS5_jNS1_19radix_merge_compareILb0ELb0ElNS0_19identity_decomposerEEEEE10hipError_tT0_T1_T2_jT3_P12ihipStream_tbPNSt15iterator_traitsISE_E10value_typeEPNSK_ISF_E10value_typeEPSG_NS1_7vsmem_tEENKUlT_SE_SF_SG_E_clIS8_S8_S9_S9_EESD_ST_SE_SF_SG_EUlST_E1_NS1_11comp_targetILNS1_3genE8ELNS1_11target_archE1030ELNS1_3gpuE2ELNS1_3repE0EEENS1_36merge_oddeven_config_static_selectorELNS0_4arch9wavefront6targetE0EEEvSF_
		.amdhsa_group_segment_fixed_size 0
		.amdhsa_private_segment_fixed_size 0
		.amdhsa_kernarg_size 48
		.amdhsa_user_sgpr_count 2
		.amdhsa_user_sgpr_dispatch_ptr 0
		.amdhsa_user_sgpr_queue_ptr 0
		.amdhsa_user_sgpr_kernarg_segment_ptr 1
		.amdhsa_user_sgpr_dispatch_id 0
		.amdhsa_user_sgpr_kernarg_preload_length 0
		.amdhsa_user_sgpr_kernarg_preload_offset 0
		.amdhsa_user_sgpr_private_segment_size 0
		.amdhsa_wavefront_size32 1
		.amdhsa_uses_dynamic_stack 0
		.amdhsa_enable_private_segment 0
		.amdhsa_system_sgpr_workgroup_id_x 1
		.amdhsa_system_sgpr_workgroup_id_y 0
		.amdhsa_system_sgpr_workgroup_id_z 0
		.amdhsa_system_sgpr_workgroup_info 0
		.amdhsa_system_vgpr_workitem_id 0
		.amdhsa_next_free_vgpr 1
		.amdhsa_next_free_sgpr 1
		.amdhsa_named_barrier_count 0
		.amdhsa_reserve_vcc 0
		.amdhsa_float_round_mode_32 0
		.amdhsa_float_round_mode_16_64 0
		.amdhsa_float_denorm_mode_32 3
		.amdhsa_float_denorm_mode_16_64 3
		.amdhsa_fp16_overflow 0
		.amdhsa_memory_ordered 1
		.amdhsa_forward_progress 1
		.amdhsa_inst_pref_size 0
		.amdhsa_round_robin_scheduling 0
		.amdhsa_exception_fp_ieee_invalid_op 0
		.amdhsa_exception_fp_denorm_src 0
		.amdhsa_exception_fp_ieee_div_zero 0
		.amdhsa_exception_fp_ieee_overflow 0
		.amdhsa_exception_fp_ieee_underflow 0
		.amdhsa_exception_fp_ieee_inexact 0
		.amdhsa_exception_int_div_zero 0
	.end_amdhsa_kernel
	.section	.text._ZN7rocprim17ROCPRIM_400000_NS6detail17trampoline_kernelINS0_14default_configENS1_38merge_sort_block_merge_config_selectorIlNS0_10empty_typeEEEZZNS1_27merge_sort_block_merge_implIS3_PlPS5_jNS1_19radix_merge_compareILb0ELb0ElNS0_19identity_decomposerEEEEE10hipError_tT0_T1_T2_jT3_P12ihipStream_tbPNSt15iterator_traitsISE_E10value_typeEPNSK_ISF_E10value_typeEPSG_NS1_7vsmem_tEENKUlT_SE_SF_SG_E_clIS8_S8_S9_S9_EESD_ST_SE_SF_SG_EUlST_E1_NS1_11comp_targetILNS1_3genE8ELNS1_11target_archE1030ELNS1_3gpuE2ELNS1_3repE0EEENS1_36merge_oddeven_config_static_selectorELNS0_4arch9wavefront6targetE0EEEvSF_,"axG",@progbits,_ZN7rocprim17ROCPRIM_400000_NS6detail17trampoline_kernelINS0_14default_configENS1_38merge_sort_block_merge_config_selectorIlNS0_10empty_typeEEEZZNS1_27merge_sort_block_merge_implIS3_PlPS5_jNS1_19radix_merge_compareILb0ELb0ElNS0_19identity_decomposerEEEEE10hipError_tT0_T1_T2_jT3_P12ihipStream_tbPNSt15iterator_traitsISE_E10value_typeEPNSK_ISF_E10value_typeEPSG_NS1_7vsmem_tEENKUlT_SE_SF_SG_E_clIS8_S8_S9_S9_EESD_ST_SE_SF_SG_EUlST_E1_NS1_11comp_targetILNS1_3genE8ELNS1_11target_archE1030ELNS1_3gpuE2ELNS1_3repE0EEENS1_36merge_oddeven_config_static_selectorELNS0_4arch9wavefront6targetE0EEEvSF_,comdat
.Lfunc_end1164:
	.size	_ZN7rocprim17ROCPRIM_400000_NS6detail17trampoline_kernelINS0_14default_configENS1_38merge_sort_block_merge_config_selectorIlNS0_10empty_typeEEEZZNS1_27merge_sort_block_merge_implIS3_PlPS5_jNS1_19radix_merge_compareILb0ELb0ElNS0_19identity_decomposerEEEEE10hipError_tT0_T1_T2_jT3_P12ihipStream_tbPNSt15iterator_traitsISE_E10value_typeEPNSK_ISF_E10value_typeEPSG_NS1_7vsmem_tEENKUlT_SE_SF_SG_E_clIS8_S8_S9_S9_EESD_ST_SE_SF_SG_EUlST_E1_NS1_11comp_targetILNS1_3genE8ELNS1_11target_archE1030ELNS1_3gpuE2ELNS1_3repE0EEENS1_36merge_oddeven_config_static_selectorELNS0_4arch9wavefront6targetE0EEEvSF_, .Lfunc_end1164-_ZN7rocprim17ROCPRIM_400000_NS6detail17trampoline_kernelINS0_14default_configENS1_38merge_sort_block_merge_config_selectorIlNS0_10empty_typeEEEZZNS1_27merge_sort_block_merge_implIS3_PlPS5_jNS1_19radix_merge_compareILb0ELb0ElNS0_19identity_decomposerEEEEE10hipError_tT0_T1_T2_jT3_P12ihipStream_tbPNSt15iterator_traitsISE_E10value_typeEPNSK_ISF_E10value_typeEPSG_NS1_7vsmem_tEENKUlT_SE_SF_SG_E_clIS8_S8_S9_S9_EESD_ST_SE_SF_SG_EUlST_E1_NS1_11comp_targetILNS1_3genE8ELNS1_11target_archE1030ELNS1_3gpuE2ELNS1_3repE0EEENS1_36merge_oddeven_config_static_selectorELNS0_4arch9wavefront6targetE0EEEvSF_
                                        ; -- End function
	.set _ZN7rocprim17ROCPRIM_400000_NS6detail17trampoline_kernelINS0_14default_configENS1_38merge_sort_block_merge_config_selectorIlNS0_10empty_typeEEEZZNS1_27merge_sort_block_merge_implIS3_PlPS5_jNS1_19radix_merge_compareILb0ELb0ElNS0_19identity_decomposerEEEEE10hipError_tT0_T1_T2_jT3_P12ihipStream_tbPNSt15iterator_traitsISE_E10value_typeEPNSK_ISF_E10value_typeEPSG_NS1_7vsmem_tEENKUlT_SE_SF_SG_E_clIS8_S8_S9_S9_EESD_ST_SE_SF_SG_EUlST_E1_NS1_11comp_targetILNS1_3genE8ELNS1_11target_archE1030ELNS1_3gpuE2ELNS1_3repE0EEENS1_36merge_oddeven_config_static_selectorELNS0_4arch9wavefront6targetE0EEEvSF_.num_vgpr, 0
	.set _ZN7rocprim17ROCPRIM_400000_NS6detail17trampoline_kernelINS0_14default_configENS1_38merge_sort_block_merge_config_selectorIlNS0_10empty_typeEEEZZNS1_27merge_sort_block_merge_implIS3_PlPS5_jNS1_19radix_merge_compareILb0ELb0ElNS0_19identity_decomposerEEEEE10hipError_tT0_T1_T2_jT3_P12ihipStream_tbPNSt15iterator_traitsISE_E10value_typeEPNSK_ISF_E10value_typeEPSG_NS1_7vsmem_tEENKUlT_SE_SF_SG_E_clIS8_S8_S9_S9_EESD_ST_SE_SF_SG_EUlST_E1_NS1_11comp_targetILNS1_3genE8ELNS1_11target_archE1030ELNS1_3gpuE2ELNS1_3repE0EEENS1_36merge_oddeven_config_static_selectorELNS0_4arch9wavefront6targetE0EEEvSF_.num_agpr, 0
	.set _ZN7rocprim17ROCPRIM_400000_NS6detail17trampoline_kernelINS0_14default_configENS1_38merge_sort_block_merge_config_selectorIlNS0_10empty_typeEEEZZNS1_27merge_sort_block_merge_implIS3_PlPS5_jNS1_19radix_merge_compareILb0ELb0ElNS0_19identity_decomposerEEEEE10hipError_tT0_T1_T2_jT3_P12ihipStream_tbPNSt15iterator_traitsISE_E10value_typeEPNSK_ISF_E10value_typeEPSG_NS1_7vsmem_tEENKUlT_SE_SF_SG_E_clIS8_S8_S9_S9_EESD_ST_SE_SF_SG_EUlST_E1_NS1_11comp_targetILNS1_3genE8ELNS1_11target_archE1030ELNS1_3gpuE2ELNS1_3repE0EEENS1_36merge_oddeven_config_static_selectorELNS0_4arch9wavefront6targetE0EEEvSF_.numbered_sgpr, 0
	.set _ZN7rocprim17ROCPRIM_400000_NS6detail17trampoline_kernelINS0_14default_configENS1_38merge_sort_block_merge_config_selectorIlNS0_10empty_typeEEEZZNS1_27merge_sort_block_merge_implIS3_PlPS5_jNS1_19radix_merge_compareILb0ELb0ElNS0_19identity_decomposerEEEEE10hipError_tT0_T1_T2_jT3_P12ihipStream_tbPNSt15iterator_traitsISE_E10value_typeEPNSK_ISF_E10value_typeEPSG_NS1_7vsmem_tEENKUlT_SE_SF_SG_E_clIS8_S8_S9_S9_EESD_ST_SE_SF_SG_EUlST_E1_NS1_11comp_targetILNS1_3genE8ELNS1_11target_archE1030ELNS1_3gpuE2ELNS1_3repE0EEENS1_36merge_oddeven_config_static_selectorELNS0_4arch9wavefront6targetE0EEEvSF_.num_named_barrier, 0
	.set _ZN7rocprim17ROCPRIM_400000_NS6detail17trampoline_kernelINS0_14default_configENS1_38merge_sort_block_merge_config_selectorIlNS0_10empty_typeEEEZZNS1_27merge_sort_block_merge_implIS3_PlPS5_jNS1_19radix_merge_compareILb0ELb0ElNS0_19identity_decomposerEEEEE10hipError_tT0_T1_T2_jT3_P12ihipStream_tbPNSt15iterator_traitsISE_E10value_typeEPNSK_ISF_E10value_typeEPSG_NS1_7vsmem_tEENKUlT_SE_SF_SG_E_clIS8_S8_S9_S9_EESD_ST_SE_SF_SG_EUlST_E1_NS1_11comp_targetILNS1_3genE8ELNS1_11target_archE1030ELNS1_3gpuE2ELNS1_3repE0EEENS1_36merge_oddeven_config_static_selectorELNS0_4arch9wavefront6targetE0EEEvSF_.private_seg_size, 0
	.set _ZN7rocprim17ROCPRIM_400000_NS6detail17trampoline_kernelINS0_14default_configENS1_38merge_sort_block_merge_config_selectorIlNS0_10empty_typeEEEZZNS1_27merge_sort_block_merge_implIS3_PlPS5_jNS1_19radix_merge_compareILb0ELb0ElNS0_19identity_decomposerEEEEE10hipError_tT0_T1_T2_jT3_P12ihipStream_tbPNSt15iterator_traitsISE_E10value_typeEPNSK_ISF_E10value_typeEPSG_NS1_7vsmem_tEENKUlT_SE_SF_SG_E_clIS8_S8_S9_S9_EESD_ST_SE_SF_SG_EUlST_E1_NS1_11comp_targetILNS1_3genE8ELNS1_11target_archE1030ELNS1_3gpuE2ELNS1_3repE0EEENS1_36merge_oddeven_config_static_selectorELNS0_4arch9wavefront6targetE0EEEvSF_.uses_vcc, 0
	.set _ZN7rocprim17ROCPRIM_400000_NS6detail17trampoline_kernelINS0_14default_configENS1_38merge_sort_block_merge_config_selectorIlNS0_10empty_typeEEEZZNS1_27merge_sort_block_merge_implIS3_PlPS5_jNS1_19radix_merge_compareILb0ELb0ElNS0_19identity_decomposerEEEEE10hipError_tT0_T1_T2_jT3_P12ihipStream_tbPNSt15iterator_traitsISE_E10value_typeEPNSK_ISF_E10value_typeEPSG_NS1_7vsmem_tEENKUlT_SE_SF_SG_E_clIS8_S8_S9_S9_EESD_ST_SE_SF_SG_EUlST_E1_NS1_11comp_targetILNS1_3genE8ELNS1_11target_archE1030ELNS1_3gpuE2ELNS1_3repE0EEENS1_36merge_oddeven_config_static_selectorELNS0_4arch9wavefront6targetE0EEEvSF_.uses_flat_scratch, 0
	.set _ZN7rocprim17ROCPRIM_400000_NS6detail17trampoline_kernelINS0_14default_configENS1_38merge_sort_block_merge_config_selectorIlNS0_10empty_typeEEEZZNS1_27merge_sort_block_merge_implIS3_PlPS5_jNS1_19radix_merge_compareILb0ELb0ElNS0_19identity_decomposerEEEEE10hipError_tT0_T1_T2_jT3_P12ihipStream_tbPNSt15iterator_traitsISE_E10value_typeEPNSK_ISF_E10value_typeEPSG_NS1_7vsmem_tEENKUlT_SE_SF_SG_E_clIS8_S8_S9_S9_EESD_ST_SE_SF_SG_EUlST_E1_NS1_11comp_targetILNS1_3genE8ELNS1_11target_archE1030ELNS1_3gpuE2ELNS1_3repE0EEENS1_36merge_oddeven_config_static_selectorELNS0_4arch9wavefront6targetE0EEEvSF_.has_dyn_sized_stack, 0
	.set _ZN7rocprim17ROCPRIM_400000_NS6detail17trampoline_kernelINS0_14default_configENS1_38merge_sort_block_merge_config_selectorIlNS0_10empty_typeEEEZZNS1_27merge_sort_block_merge_implIS3_PlPS5_jNS1_19radix_merge_compareILb0ELb0ElNS0_19identity_decomposerEEEEE10hipError_tT0_T1_T2_jT3_P12ihipStream_tbPNSt15iterator_traitsISE_E10value_typeEPNSK_ISF_E10value_typeEPSG_NS1_7vsmem_tEENKUlT_SE_SF_SG_E_clIS8_S8_S9_S9_EESD_ST_SE_SF_SG_EUlST_E1_NS1_11comp_targetILNS1_3genE8ELNS1_11target_archE1030ELNS1_3gpuE2ELNS1_3repE0EEENS1_36merge_oddeven_config_static_selectorELNS0_4arch9wavefront6targetE0EEEvSF_.has_recursion, 0
	.set _ZN7rocprim17ROCPRIM_400000_NS6detail17trampoline_kernelINS0_14default_configENS1_38merge_sort_block_merge_config_selectorIlNS0_10empty_typeEEEZZNS1_27merge_sort_block_merge_implIS3_PlPS5_jNS1_19radix_merge_compareILb0ELb0ElNS0_19identity_decomposerEEEEE10hipError_tT0_T1_T2_jT3_P12ihipStream_tbPNSt15iterator_traitsISE_E10value_typeEPNSK_ISF_E10value_typeEPSG_NS1_7vsmem_tEENKUlT_SE_SF_SG_E_clIS8_S8_S9_S9_EESD_ST_SE_SF_SG_EUlST_E1_NS1_11comp_targetILNS1_3genE8ELNS1_11target_archE1030ELNS1_3gpuE2ELNS1_3repE0EEENS1_36merge_oddeven_config_static_selectorELNS0_4arch9wavefront6targetE0EEEvSF_.has_indirect_call, 0
	.section	.AMDGPU.csdata,"",@progbits
; Kernel info:
; codeLenInByte = 0
; TotalNumSgprs: 0
; NumVgprs: 0
; ScratchSize: 0
; MemoryBound: 0
; FloatMode: 240
; IeeeMode: 1
; LDSByteSize: 0 bytes/workgroup (compile time only)
; SGPRBlocks: 0
; VGPRBlocks: 0
; NumSGPRsForWavesPerEU: 1
; NumVGPRsForWavesPerEU: 1
; NamedBarCnt: 0
; Occupancy: 16
; WaveLimiterHint : 0
; COMPUTE_PGM_RSRC2:SCRATCH_EN: 0
; COMPUTE_PGM_RSRC2:USER_SGPR: 2
; COMPUTE_PGM_RSRC2:TRAP_HANDLER: 0
; COMPUTE_PGM_RSRC2:TGID_X_EN: 1
; COMPUTE_PGM_RSRC2:TGID_Y_EN: 0
; COMPUTE_PGM_RSRC2:TGID_Z_EN: 0
; COMPUTE_PGM_RSRC2:TIDIG_COMP_CNT: 0
	.section	.text._ZN7rocprim17ROCPRIM_400000_NS6detail17trampoline_kernelINS0_14default_configENS1_38merge_sort_block_merge_config_selectorIlNS0_10empty_typeEEEZZNS1_27merge_sort_block_merge_implIS3_PlPS5_jNS1_19radix_merge_compareILb0ELb1ElNS0_19identity_decomposerEEEEE10hipError_tT0_T1_T2_jT3_P12ihipStream_tbPNSt15iterator_traitsISE_E10value_typeEPNSK_ISF_E10value_typeEPSG_NS1_7vsmem_tEENKUlT_SE_SF_SG_E_clIS8_S8_S9_S9_EESD_ST_SE_SF_SG_EUlST_E_NS1_11comp_targetILNS1_3genE0ELNS1_11target_archE4294967295ELNS1_3gpuE0ELNS1_3repE0EEENS1_48merge_mergepath_partition_config_static_selectorELNS0_4arch9wavefront6targetE0EEEvSF_,"axG",@progbits,_ZN7rocprim17ROCPRIM_400000_NS6detail17trampoline_kernelINS0_14default_configENS1_38merge_sort_block_merge_config_selectorIlNS0_10empty_typeEEEZZNS1_27merge_sort_block_merge_implIS3_PlPS5_jNS1_19radix_merge_compareILb0ELb1ElNS0_19identity_decomposerEEEEE10hipError_tT0_T1_T2_jT3_P12ihipStream_tbPNSt15iterator_traitsISE_E10value_typeEPNSK_ISF_E10value_typeEPSG_NS1_7vsmem_tEENKUlT_SE_SF_SG_E_clIS8_S8_S9_S9_EESD_ST_SE_SF_SG_EUlST_E_NS1_11comp_targetILNS1_3genE0ELNS1_11target_archE4294967295ELNS1_3gpuE0ELNS1_3repE0EEENS1_48merge_mergepath_partition_config_static_selectorELNS0_4arch9wavefront6targetE0EEEvSF_,comdat
	.protected	_ZN7rocprim17ROCPRIM_400000_NS6detail17trampoline_kernelINS0_14default_configENS1_38merge_sort_block_merge_config_selectorIlNS0_10empty_typeEEEZZNS1_27merge_sort_block_merge_implIS3_PlPS5_jNS1_19radix_merge_compareILb0ELb1ElNS0_19identity_decomposerEEEEE10hipError_tT0_T1_T2_jT3_P12ihipStream_tbPNSt15iterator_traitsISE_E10value_typeEPNSK_ISF_E10value_typeEPSG_NS1_7vsmem_tEENKUlT_SE_SF_SG_E_clIS8_S8_S9_S9_EESD_ST_SE_SF_SG_EUlST_E_NS1_11comp_targetILNS1_3genE0ELNS1_11target_archE4294967295ELNS1_3gpuE0ELNS1_3repE0EEENS1_48merge_mergepath_partition_config_static_selectorELNS0_4arch9wavefront6targetE0EEEvSF_ ; -- Begin function _ZN7rocprim17ROCPRIM_400000_NS6detail17trampoline_kernelINS0_14default_configENS1_38merge_sort_block_merge_config_selectorIlNS0_10empty_typeEEEZZNS1_27merge_sort_block_merge_implIS3_PlPS5_jNS1_19radix_merge_compareILb0ELb1ElNS0_19identity_decomposerEEEEE10hipError_tT0_T1_T2_jT3_P12ihipStream_tbPNSt15iterator_traitsISE_E10value_typeEPNSK_ISF_E10value_typeEPSG_NS1_7vsmem_tEENKUlT_SE_SF_SG_E_clIS8_S8_S9_S9_EESD_ST_SE_SF_SG_EUlST_E_NS1_11comp_targetILNS1_3genE0ELNS1_11target_archE4294967295ELNS1_3gpuE0ELNS1_3repE0EEENS1_48merge_mergepath_partition_config_static_selectorELNS0_4arch9wavefront6targetE0EEEvSF_
	.globl	_ZN7rocprim17ROCPRIM_400000_NS6detail17trampoline_kernelINS0_14default_configENS1_38merge_sort_block_merge_config_selectorIlNS0_10empty_typeEEEZZNS1_27merge_sort_block_merge_implIS3_PlPS5_jNS1_19radix_merge_compareILb0ELb1ElNS0_19identity_decomposerEEEEE10hipError_tT0_T1_T2_jT3_P12ihipStream_tbPNSt15iterator_traitsISE_E10value_typeEPNSK_ISF_E10value_typeEPSG_NS1_7vsmem_tEENKUlT_SE_SF_SG_E_clIS8_S8_S9_S9_EESD_ST_SE_SF_SG_EUlST_E_NS1_11comp_targetILNS1_3genE0ELNS1_11target_archE4294967295ELNS1_3gpuE0ELNS1_3repE0EEENS1_48merge_mergepath_partition_config_static_selectorELNS0_4arch9wavefront6targetE0EEEvSF_
	.p2align	8
	.type	_ZN7rocprim17ROCPRIM_400000_NS6detail17trampoline_kernelINS0_14default_configENS1_38merge_sort_block_merge_config_selectorIlNS0_10empty_typeEEEZZNS1_27merge_sort_block_merge_implIS3_PlPS5_jNS1_19radix_merge_compareILb0ELb1ElNS0_19identity_decomposerEEEEE10hipError_tT0_T1_T2_jT3_P12ihipStream_tbPNSt15iterator_traitsISE_E10value_typeEPNSK_ISF_E10value_typeEPSG_NS1_7vsmem_tEENKUlT_SE_SF_SG_E_clIS8_S8_S9_S9_EESD_ST_SE_SF_SG_EUlST_E_NS1_11comp_targetILNS1_3genE0ELNS1_11target_archE4294967295ELNS1_3gpuE0ELNS1_3repE0EEENS1_48merge_mergepath_partition_config_static_selectorELNS0_4arch9wavefront6targetE0EEEvSF_,@function
_ZN7rocprim17ROCPRIM_400000_NS6detail17trampoline_kernelINS0_14default_configENS1_38merge_sort_block_merge_config_selectorIlNS0_10empty_typeEEEZZNS1_27merge_sort_block_merge_implIS3_PlPS5_jNS1_19radix_merge_compareILb0ELb1ElNS0_19identity_decomposerEEEEE10hipError_tT0_T1_T2_jT3_P12ihipStream_tbPNSt15iterator_traitsISE_E10value_typeEPNSK_ISF_E10value_typeEPSG_NS1_7vsmem_tEENKUlT_SE_SF_SG_E_clIS8_S8_S9_S9_EESD_ST_SE_SF_SG_EUlST_E_NS1_11comp_targetILNS1_3genE0ELNS1_11target_archE4294967295ELNS1_3gpuE0ELNS1_3repE0EEENS1_48merge_mergepath_partition_config_static_selectorELNS0_4arch9wavefront6targetE0EEEvSF_: ; @_ZN7rocprim17ROCPRIM_400000_NS6detail17trampoline_kernelINS0_14default_configENS1_38merge_sort_block_merge_config_selectorIlNS0_10empty_typeEEEZZNS1_27merge_sort_block_merge_implIS3_PlPS5_jNS1_19radix_merge_compareILb0ELb1ElNS0_19identity_decomposerEEEEE10hipError_tT0_T1_T2_jT3_P12ihipStream_tbPNSt15iterator_traitsISE_E10value_typeEPNSK_ISF_E10value_typeEPSG_NS1_7vsmem_tEENKUlT_SE_SF_SG_E_clIS8_S8_S9_S9_EESD_ST_SE_SF_SG_EUlST_E_NS1_11comp_targetILNS1_3genE0ELNS1_11target_archE4294967295ELNS1_3gpuE0ELNS1_3repE0EEENS1_48merge_mergepath_partition_config_static_selectorELNS0_4arch9wavefront6targetE0EEEvSF_
; %bb.0:
	s_load_b32 s2, s[0:1], 0x0
	s_bfe_u32 s3, ttmp6, 0x4000c
	s_and_b32 s4, ttmp6, 15
	s_add_co_i32 s3, s3, 1
	s_getreg_b32 s5, hwreg(HW_REG_IB_STS2, 6, 4)
	s_mul_i32 s3, ttmp9, s3
	s_delay_alu instid0(SALU_CYCLE_1) | instskip(SKIP_2) | instid1(SALU_CYCLE_1)
	s_add_co_i32 s4, s4, s3
	s_cmp_eq_u32 s5, 0
	s_cselect_b32 s3, ttmp9, s4
	v_lshl_or_b32 v8, s3, 7, v0
	s_wait_kmcnt 0x0
	s_delay_alu instid0(VALU_DEP_1)
	v_cmp_gt_u32_e32 vcc_lo, s2, v8
	s_and_saveexec_b32 s2, vcc_lo
	s_cbranch_execz .LBB1165_6
; %bb.1:
	s_load_b64 s[2:3], s[0:1], 0x4
	s_wait_kmcnt 0x0
	s_lshr_b32 s4, s2, 9
	s_delay_alu instid0(SALU_CYCLE_1) | instskip(NEXT) | instid1(SALU_CYCLE_1)
	s_and_b32 s4, s4, 0x7ffffe
	s_sub_co_i32 s5, 0, s4
	s_add_co_i32 s4, s4, -1
	s_delay_alu instid0(SALU_CYCLE_1) | instskip(SKIP_2) | instid1(VALU_DEP_1)
	v_and_b32_e32 v1, s4, v8
	v_and_b32_e32 v0, s5, v8
	s_load_b128 s[4:7], s[0:1], 0x18
	v_dual_lshlrev_b32 v1, 10, v1 :: v_dual_lshlrev_b32 v0, 10, v0
	s_delay_alu instid0(VALU_DEP_1) | instskip(SKIP_1) | instid1(VALU_DEP_2)
	v_add_min_u32_e64 v2, v0, s2, s3
	v_min_u32_e32 v0, s3, v0
	v_add_min_u32_e64 v3, v2, s2, s3
	s_mov_b32 s2, exec_lo
	s_delay_alu instid0(VALU_DEP_1) | instskip(NEXT) | instid1(VALU_DEP_1)
	v_dual_sub_nc_u32 v4, v3, v0 :: v_dual_sub_nc_u32 v3, v3, v2
	v_min_u32_e32 v10, v4, v1
	v_sub_nc_u32_e32 v1, v2, v0
	s_delay_alu instid0(VALU_DEP_2) | instskip(NEXT) | instid1(VALU_DEP_2)
	v_sub_nc_u32_e64 v9, v10, v3 clamp
	v_min_u32_e32 v11, v10, v1
	s_delay_alu instid0(VALU_DEP_1)
	v_cmpx_lt_u32_e64 v9, v11
	s_cbranch_execz .LBB1165_5
; %bb.2:
	s_wait_xcnt 0x0
	s_load_b64 s[0:1], s[0:1], 0x10
	v_mov_b32_e32 v3, 0
	s_delay_alu instid0(VALU_DEP_1) | instskip(SKIP_1) | instid1(VALU_DEP_1)
	v_mov_b32_e32 v1, v3
	s_wait_kmcnt 0x0
	v_lshl_add_u64 v[4:5], v[0:1], 3, s[0:1]
	v_lshl_add_u64 v[6:7], v[2:3], 3, s[0:1]
	s_mov_b32 s0, 0
.LBB1165_3:                             ; =>This Inner Loop Header: Depth=1
	v_add_nc_u32_e32 v1, v11, v9
	s_delay_alu instid0(VALU_DEP_1) | instskip(NEXT) | instid1(VALU_DEP_1)
	v_dual_mov_b32 v13, v3 :: v_dual_lshrrev_b32 v2, 1, v1
	v_xad_u32 v12, v2, -1, v10
	v_lshl_add_u64 v[14:15], v[2:3], 3, v[4:5]
	v_add_nc_u32_e32 v1, 1, v2
	s_delay_alu instid0(VALU_DEP_3)
	v_lshl_add_u64 v[12:13], v[12:13], 3, v[6:7]
	s_clause 0x1
	global_load_b64 v[16:17], v[14:15], off
	global_load_b64 v[18:19], v[12:13], off
	s_wait_loadcnt 0x1
	s_wait_xcnt 0x0
	v_and_b32_e32 v13, s5, v17
	v_and_b32_e32 v12, s4, v16
	s_wait_loadcnt 0x0
	v_and_b32_e32 v15, s5, v19
	v_and_b32_e32 v14, s4, v18
	s_delay_alu instid0(VALU_DEP_1) | instskip(SKIP_1) | instid1(VALU_DEP_1)
	v_cmp_gt_i64_e32 vcc_lo, v[12:13], v[14:15]
	v_dual_cndmask_b32 v11, v11, v2, vcc_lo :: v_dual_cndmask_b32 v9, v1, v9, vcc_lo
	v_cmp_ge_u32_e32 vcc_lo, v9, v11
	s_or_b32 s0, vcc_lo, s0
	s_delay_alu instid0(SALU_CYCLE_1)
	s_and_not1_b32 exec_lo, exec_lo, s0
	s_cbranch_execnz .LBB1165_3
; %bb.4:
	s_or_b32 exec_lo, exec_lo, s0
.LBB1165_5:
	s_delay_alu instid0(SALU_CYCLE_1)
	s_or_b32 exec_lo, exec_lo, s2
	v_add_nc_u32_e32 v0, v9, v0
	s_wait_kmcnt 0x0
	global_store_b32 v8, v0, s[6:7] scale_offset
.LBB1165_6:
	s_endpgm
	.section	.rodata,"a",@progbits
	.p2align	6, 0x0
	.amdhsa_kernel _ZN7rocprim17ROCPRIM_400000_NS6detail17trampoline_kernelINS0_14default_configENS1_38merge_sort_block_merge_config_selectorIlNS0_10empty_typeEEEZZNS1_27merge_sort_block_merge_implIS3_PlPS5_jNS1_19radix_merge_compareILb0ELb1ElNS0_19identity_decomposerEEEEE10hipError_tT0_T1_T2_jT3_P12ihipStream_tbPNSt15iterator_traitsISE_E10value_typeEPNSK_ISF_E10value_typeEPSG_NS1_7vsmem_tEENKUlT_SE_SF_SG_E_clIS8_S8_S9_S9_EESD_ST_SE_SF_SG_EUlST_E_NS1_11comp_targetILNS1_3genE0ELNS1_11target_archE4294967295ELNS1_3gpuE0ELNS1_3repE0EEENS1_48merge_mergepath_partition_config_static_selectorELNS0_4arch9wavefront6targetE0EEEvSF_
		.amdhsa_group_segment_fixed_size 0
		.amdhsa_private_segment_fixed_size 0
		.amdhsa_kernarg_size 40
		.amdhsa_user_sgpr_count 2
		.amdhsa_user_sgpr_dispatch_ptr 0
		.amdhsa_user_sgpr_queue_ptr 0
		.amdhsa_user_sgpr_kernarg_segment_ptr 1
		.amdhsa_user_sgpr_dispatch_id 0
		.amdhsa_user_sgpr_kernarg_preload_length 0
		.amdhsa_user_sgpr_kernarg_preload_offset 0
		.amdhsa_user_sgpr_private_segment_size 0
		.amdhsa_wavefront_size32 1
		.amdhsa_uses_dynamic_stack 0
		.amdhsa_enable_private_segment 0
		.amdhsa_system_sgpr_workgroup_id_x 1
		.amdhsa_system_sgpr_workgroup_id_y 0
		.amdhsa_system_sgpr_workgroup_id_z 0
		.amdhsa_system_sgpr_workgroup_info 0
		.amdhsa_system_vgpr_workitem_id 0
		.amdhsa_next_free_vgpr 20
		.amdhsa_next_free_sgpr 8
		.amdhsa_named_barrier_count 0
		.amdhsa_reserve_vcc 1
		.amdhsa_float_round_mode_32 0
		.amdhsa_float_round_mode_16_64 0
		.amdhsa_float_denorm_mode_32 3
		.amdhsa_float_denorm_mode_16_64 3
		.amdhsa_fp16_overflow 0
		.amdhsa_memory_ordered 1
		.amdhsa_forward_progress 1
		.amdhsa_inst_pref_size 4
		.amdhsa_round_robin_scheduling 0
		.amdhsa_exception_fp_ieee_invalid_op 0
		.amdhsa_exception_fp_denorm_src 0
		.amdhsa_exception_fp_ieee_div_zero 0
		.amdhsa_exception_fp_ieee_overflow 0
		.amdhsa_exception_fp_ieee_underflow 0
		.amdhsa_exception_fp_ieee_inexact 0
		.amdhsa_exception_int_div_zero 0
	.end_amdhsa_kernel
	.section	.text._ZN7rocprim17ROCPRIM_400000_NS6detail17trampoline_kernelINS0_14default_configENS1_38merge_sort_block_merge_config_selectorIlNS0_10empty_typeEEEZZNS1_27merge_sort_block_merge_implIS3_PlPS5_jNS1_19radix_merge_compareILb0ELb1ElNS0_19identity_decomposerEEEEE10hipError_tT0_T1_T2_jT3_P12ihipStream_tbPNSt15iterator_traitsISE_E10value_typeEPNSK_ISF_E10value_typeEPSG_NS1_7vsmem_tEENKUlT_SE_SF_SG_E_clIS8_S8_S9_S9_EESD_ST_SE_SF_SG_EUlST_E_NS1_11comp_targetILNS1_3genE0ELNS1_11target_archE4294967295ELNS1_3gpuE0ELNS1_3repE0EEENS1_48merge_mergepath_partition_config_static_selectorELNS0_4arch9wavefront6targetE0EEEvSF_,"axG",@progbits,_ZN7rocprim17ROCPRIM_400000_NS6detail17trampoline_kernelINS0_14default_configENS1_38merge_sort_block_merge_config_selectorIlNS0_10empty_typeEEEZZNS1_27merge_sort_block_merge_implIS3_PlPS5_jNS1_19radix_merge_compareILb0ELb1ElNS0_19identity_decomposerEEEEE10hipError_tT0_T1_T2_jT3_P12ihipStream_tbPNSt15iterator_traitsISE_E10value_typeEPNSK_ISF_E10value_typeEPSG_NS1_7vsmem_tEENKUlT_SE_SF_SG_E_clIS8_S8_S9_S9_EESD_ST_SE_SF_SG_EUlST_E_NS1_11comp_targetILNS1_3genE0ELNS1_11target_archE4294967295ELNS1_3gpuE0ELNS1_3repE0EEENS1_48merge_mergepath_partition_config_static_selectorELNS0_4arch9wavefront6targetE0EEEvSF_,comdat
.Lfunc_end1165:
	.size	_ZN7rocprim17ROCPRIM_400000_NS6detail17trampoline_kernelINS0_14default_configENS1_38merge_sort_block_merge_config_selectorIlNS0_10empty_typeEEEZZNS1_27merge_sort_block_merge_implIS3_PlPS5_jNS1_19radix_merge_compareILb0ELb1ElNS0_19identity_decomposerEEEEE10hipError_tT0_T1_T2_jT3_P12ihipStream_tbPNSt15iterator_traitsISE_E10value_typeEPNSK_ISF_E10value_typeEPSG_NS1_7vsmem_tEENKUlT_SE_SF_SG_E_clIS8_S8_S9_S9_EESD_ST_SE_SF_SG_EUlST_E_NS1_11comp_targetILNS1_3genE0ELNS1_11target_archE4294967295ELNS1_3gpuE0ELNS1_3repE0EEENS1_48merge_mergepath_partition_config_static_selectorELNS0_4arch9wavefront6targetE0EEEvSF_, .Lfunc_end1165-_ZN7rocprim17ROCPRIM_400000_NS6detail17trampoline_kernelINS0_14default_configENS1_38merge_sort_block_merge_config_selectorIlNS0_10empty_typeEEEZZNS1_27merge_sort_block_merge_implIS3_PlPS5_jNS1_19radix_merge_compareILb0ELb1ElNS0_19identity_decomposerEEEEE10hipError_tT0_T1_T2_jT3_P12ihipStream_tbPNSt15iterator_traitsISE_E10value_typeEPNSK_ISF_E10value_typeEPSG_NS1_7vsmem_tEENKUlT_SE_SF_SG_E_clIS8_S8_S9_S9_EESD_ST_SE_SF_SG_EUlST_E_NS1_11comp_targetILNS1_3genE0ELNS1_11target_archE4294967295ELNS1_3gpuE0ELNS1_3repE0EEENS1_48merge_mergepath_partition_config_static_selectorELNS0_4arch9wavefront6targetE0EEEvSF_
                                        ; -- End function
	.set _ZN7rocprim17ROCPRIM_400000_NS6detail17trampoline_kernelINS0_14default_configENS1_38merge_sort_block_merge_config_selectorIlNS0_10empty_typeEEEZZNS1_27merge_sort_block_merge_implIS3_PlPS5_jNS1_19radix_merge_compareILb0ELb1ElNS0_19identity_decomposerEEEEE10hipError_tT0_T1_T2_jT3_P12ihipStream_tbPNSt15iterator_traitsISE_E10value_typeEPNSK_ISF_E10value_typeEPSG_NS1_7vsmem_tEENKUlT_SE_SF_SG_E_clIS8_S8_S9_S9_EESD_ST_SE_SF_SG_EUlST_E_NS1_11comp_targetILNS1_3genE0ELNS1_11target_archE4294967295ELNS1_3gpuE0ELNS1_3repE0EEENS1_48merge_mergepath_partition_config_static_selectorELNS0_4arch9wavefront6targetE0EEEvSF_.num_vgpr, 20
	.set _ZN7rocprim17ROCPRIM_400000_NS6detail17trampoline_kernelINS0_14default_configENS1_38merge_sort_block_merge_config_selectorIlNS0_10empty_typeEEEZZNS1_27merge_sort_block_merge_implIS3_PlPS5_jNS1_19radix_merge_compareILb0ELb1ElNS0_19identity_decomposerEEEEE10hipError_tT0_T1_T2_jT3_P12ihipStream_tbPNSt15iterator_traitsISE_E10value_typeEPNSK_ISF_E10value_typeEPSG_NS1_7vsmem_tEENKUlT_SE_SF_SG_E_clIS8_S8_S9_S9_EESD_ST_SE_SF_SG_EUlST_E_NS1_11comp_targetILNS1_3genE0ELNS1_11target_archE4294967295ELNS1_3gpuE0ELNS1_3repE0EEENS1_48merge_mergepath_partition_config_static_selectorELNS0_4arch9wavefront6targetE0EEEvSF_.num_agpr, 0
	.set _ZN7rocprim17ROCPRIM_400000_NS6detail17trampoline_kernelINS0_14default_configENS1_38merge_sort_block_merge_config_selectorIlNS0_10empty_typeEEEZZNS1_27merge_sort_block_merge_implIS3_PlPS5_jNS1_19radix_merge_compareILb0ELb1ElNS0_19identity_decomposerEEEEE10hipError_tT0_T1_T2_jT3_P12ihipStream_tbPNSt15iterator_traitsISE_E10value_typeEPNSK_ISF_E10value_typeEPSG_NS1_7vsmem_tEENKUlT_SE_SF_SG_E_clIS8_S8_S9_S9_EESD_ST_SE_SF_SG_EUlST_E_NS1_11comp_targetILNS1_3genE0ELNS1_11target_archE4294967295ELNS1_3gpuE0ELNS1_3repE0EEENS1_48merge_mergepath_partition_config_static_selectorELNS0_4arch9wavefront6targetE0EEEvSF_.numbered_sgpr, 8
	.set _ZN7rocprim17ROCPRIM_400000_NS6detail17trampoline_kernelINS0_14default_configENS1_38merge_sort_block_merge_config_selectorIlNS0_10empty_typeEEEZZNS1_27merge_sort_block_merge_implIS3_PlPS5_jNS1_19radix_merge_compareILb0ELb1ElNS0_19identity_decomposerEEEEE10hipError_tT0_T1_T2_jT3_P12ihipStream_tbPNSt15iterator_traitsISE_E10value_typeEPNSK_ISF_E10value_typeEPSG_NS1_7vsmem_tEENKUlT_SE_SF_SG_E_clIS8_S8_S9_S9_EESD_ST_SE_SF_SG_EUlST_E_NS1_11comp_targetILNS1_3genE0ELNS1_11target_archE4294967295ELNS1_3gpuE0ELNS1_3repE0EEENS1_48merge_mergepath_partition_config_static_selectorELNS0_4arch9wavefront6targetE0EEEvSF_.num_named_barrier, 0
	.set _ZN7rocprim17ROCPRIM_400000_NS6detail17trampoline_kernelINS0_14default_configENS1_38merge_sort_block_merge_config_selectorIlNS0_10empty_typeEEEZZNS1_27merge_sort_block_merge_implIS3_PlPS5_jNS1_19radix_merge_compareILb0ELb1ElNS0_19identity_decomposerEEEEE10hipError_tT0_T1_T2_jT3_P12ihipStream_tbPNSt15iterator_traitsISE_E10value_typeEPNSK_ISF_E10value_typeEPSG_NS1_7vsmem_tEENKUlT_SE_SF_SG_E_clIS8_S8_S9_S9_EESD_ST_SE_SF_SG_EUlST_E_NS1_11comp_targetILNS1_3genE0ELNS1_11target_archE4294967295ELNS1_3gpuE0ELNS1_3repE0EEENS1_48merge_mergepath_partition_config_static_selectorELNS0_4arch9wavefront6targetE0EEEvSF_.private_seg_size, 0
	.set _ZN7rocprim17ROCPRIM_400000_NS6detail17trampoline_kernelINS0_14default_configENS1_38merge_sort_block_merge_config_selectorIlNS0_10empty_typeEEEZZNS1_27merge_sort_block_merge_implIS3_PlPS5_jNS1_19radix_merge_compareILb0ELb1ElNS0_19identity_decomposerEEEEE10hipError_tT0_T1_T2_jT3_P12ihipStream_tbPNSt15iterator_traitsISE_E10value_typeEPNSK_ISF_E10value_typeEPSG_NS1_7vsmem_tEENKUlT_SE_SF_SG_E_clIS8_S8_S9_S9_EESD_ST_SE_SF_SG_EUlST_E_NS1_11comp_targetILNS1_3genE0ELNS1_11target_archE4294967295ELNS1_3gpuE0ELNS1_3repE0EEENS1_48merge_mergepath_partition_config_static_selectorELNS0_4arch9wavefront6targetE0EEEvSF_.uses_vcc, 1
	.set _ZN7rocprim17ROCPRIM_400000_NS6detail17trampoline_kernelINS0_14default_configENS1_38merge_sort_block_merge_config_selectorIlNS0_10empty_typeEEEZZNS1_27merge_sort_block_merge_implIS3_PlPS5_jNS1_19radix_merge_compareILb0ELb1ElNS0_19identity_decomposerEEEEE10hipError_tT0_T1_T2_jT3_P12ihipStream_tbPNSt15iterator_traitsISE_E10value_typeEPNSK_ISF_E10value_typeEPSG_NS1_7vsmem_tEENKUlT_SE_SF_SG_E_clIS8_S8_S9_S9_EESD_ST_SE_SF_SG_EUlST_E_NS1_11comp_targetILNS1_3genE0ELNS1_11target_archE4294967295ELNS1_3gpuE0ELNS1_3repE0EEENS1_48merge_mergepath_partition_config_static_selectorELNS0_4arch9wavefront6targetE0EEEvSF_.uses_flat_scratch, 0
	.set _ZN7rocprim17ROCPRIM_400000_NS6detail17trampoline_kernelINS0_14default_configENS1_38merge_sort_block_merge_config_selectorIlNS0_10empty_typeEEEZZNS1_27merge_sort_block_merge_implIS3_PlPS5_jNS1_19radix_merge_compareILb0ELb1ElNS0_19identity_decomposerEEEEE10hipError_tT0_T1_T2_jT3_P12ihipStream_tbPNSt15iterator_traitsISE_E10value_typeEPNSK_ISF_E10value_typeEPSG_NS1_7vsmem_tEENKUlT_SE_SF_SG_E_clIS8_S8_S9_S9_EESD_ST_SE_SF_SG_EUlST_E_NS1_11comp_targetILNS1_3genE0ELNS1_11target_archE4294967295ELNS1_3gpuE0ELNS1_3repE0EEENS1_48merge_mergepath_partition_config_static_selectorELNS0_4arch9wavefront6targetE0EEEvSF_.has_dyn_sized_stack, 0
	.set _ZN7rocprim17ROCPRIM_400000_NS6detail17trampoline_kernelINS0_14default_configENS1_38merge_sort_block_merge_config_selectorIlNS0_10empty_typeEEEZZNS1_27merge_sort_block_merge_implIS3_PlPS5_jNS1_19radix_merge_compareILb0ELb1ElNS0_19identity_decomposerEEEEE10hipError_tT0_T1_T2_jT3_P12ihipStream_tbPNSt15iterator_traitsISE_E10value_typeEPNSK_ISF_E10value_typeEPSG_NS1_7vsmem_tEENKUlT_SE_SF_SG_E_clIS8_S8_S9_S9_EESD_ST_SE_SF_SG_EUlST_E_NS1_11comp_targetILNS1_3genE0ELNS1_11target_archE4294967295ELNS1_3gpuE0ELNS1_3repE0EEENS1_48merge_mergepath_partition_config_static_selectorELNS0_4arch9wavefront6targetE0EEEvSF_.has_recursion, 0
	.set _ZN7rocprim17ROCPRIM_400000_NS6detail17trampoline_kernelINS0_14default_configENS1_38merge_sort_block_merge_config_selectorIlNS0_10empty_typeEEEZZNS1_27merge_sort_block_merge_implIS3_PlPS5_jNS1_19radix_merge_compareILb0ELb1ElNS0_19identity_decomposerEEEEE10hipError_tT0_T1_T2_jT3_P12ihipStream_tbPNSt15iterator_traitsISE_E10value_typeEPNSK_ISF_E10value_typeEPSG_NS1_7vsmem_tEENKUlT_SE_SF_SG_E_clIS8_S8_S9_S9_EESD_ST_SE_SF_SG_EUlST_E_NS1_11comp_targetILNS1_3genE0ELNS1_11target_archE4294967295ELNS1_3gpuE0ELNS1_3repE0EEENS1_48merge_mergepath_partition_config_static_selectorELNS0_4arch9wavefront6targetE0EEEvSF_.has_indirect_call, 0
	.section	.AMDGPU.csdata,"",@progbits
; Kernel info:
; codeLenInByte = 456
; TotalNumSgprs: 10
; NumVgprs: 20
; ScratchSize: 0
; MemoryBound: 0
; FloatMode: 240
; IeeeMode: 1
; LDSByteSize: 0 bytes/workgroup (compile time only)
; SGPRBlocks: 0
; VGPRBlocks: 1
; NumSGPRsForWavesPerEU: 10
; NumVGPRsForWavesPerEU: 20
; NamedBarCnt: 0
; Occupancy: 16
; WaveLimiterHint : 0
; COMPUTE_PGM_RSRC2:SCRATCH_EN: 0
; COMPUTE_PGM_RSRC2:USER_SGPR: 2
; COMPUTE_PGM_RSRC2:TRAP_HANDLER: 0
; COMPUTE_PGM_RSRC2:TGID_X_EN: 1
; COMPUTE_PGM_RSRC2:TGID_Y_EN: 0
; COMPUTE_PGM_RSRC2:TGID_Z_EN: 0
; COMPUTE_PGM_RSRC2:TIDIG_COMP_CNT: 0
	.section	.text._ZN7rocprim17ROCPRIM_400000_NS6detail17trampoline_kernelINS0_14default_configENS1_38merge_sort_block_merge_config_selectorIlNS0_10empty_typeEEEZZNS1_27merge_sort_block_merge_implIS3_PlPS5_jNS1_19radix_merge_compareILb0ELb1ElNS0_19identity_decomposerEEEEE10hipError_tT0_T1_T2_jT3_P12ihipStream_tbPNSt15iterator_traitsISE_E10value_typeEPNSK_ISF_E10value_typeEPSG_NS1_7vsmem_tEENKUlT_SE_SF_SG_E_clIS8_S8_S9_S9_EESD_ST_SE_SF_SG_EUlST_E_NS1_11comp_targetILNS1_3genE10ELNS1_11target_archE1201ELNS1_3gpuE5ELNS1_3repE0EEENS1_48merge_mergepath_partition_config_static_selectorELNS0_4arch9wavefront6targetE0EEEvSF_,"axG",@progbits,_ZN7rocprim17ROCPRIM_400000_NS6detail17trampoline_kernelINS0_14default_configENS1_38merge_sort_block_merge_config_selectorIlNS0_10empty_typeEEEZZNS1_27merge_sort_block_merge_implIS3_PlPS5_jNS1_19radix_merge_compareILb0ELb1ElNS0_19identity_decomposerEEEEE10hipError_tT0_T1_T2_jT3_P12ihipStream_tbPNSt15iterator_traitsISE_E10value_typeEPNSK_ISF_E10value_typeEPSG_NS1_7vsmem_tEENKUlT_SE_SF_SG_E_clIS8_S8_S9_S9_EESD_ST_SE_SF_SG_EUlST_E_NS1_11comp_targetILNS1_3genE10ELNS1_11target_archE1201ELNS1_3gpuE5ELNS1_3repE0EEENS1_48merge_mergepath_partition_config_static_selectorELNS0_4arch9wavefront6targetE0EEEvSF_,comdat
	.protected	_ZN7rocprim17ROCPRIM_400000_NS6detail17trampoline_kernelINS0_14default_configENS1_38merge_sort_block_merge_config_selectorIlNS0_10empty_typeEEEZZNS1_27merge_sort_block_merge_implIS3_PlPS5_jNS1_19radix_merge_compareILb0ELb1ElNS0_19identity_decomposerEEEEE10hipError_tT0_T1_T2_jT3_P12ihipStream_tbPNSt15iterator_traitsISE_E10value_typeEPNSK_ISF_E10value_typeEPSG_NS1_7vsmem_tEENKUlT_SE_SF_SG_E_clIS8_S8_S9_S9_EESD_ST_SE_SF_SG_EUlST_E_NS1_11comp_targetILNS1_3genE10ELNS1_11target_archE1201ELNS1_3gpuE5ELNS1_3repE0EEENS1_48merge_mergepath_partition_config_static_selectorELNS0_4arch9wavefront6targetE0EEEvSF_ ; -- Begin function _ZN7rocprim17ROCPRIM_400000_NS6detail17trampoline_kernelINS0_14default_configENS1_38merge_sort_block_merge_config_selectorIlNS0_10empty_typeEEEZZNS1_27merge_sort_block_merge_implIS3_PlPS5_jNS1_19radix_merge_compareILb0ELb1ElNS0_19identity_decomposerEEEEE10hipError_tT0_T1_T2_jT3_P12ihipStream_tbPNSt15iterator_traitsISE_E10value_typeEPNSK_ISF_E10value_typeEPSG_NS1_7vsmem_tEENKUlT_SE_SF_SG_E_clIS8_S8_S9_S9_EESD_ST_SE_SF_SG_EUlST_E_NS1_11comp_targetILNS1_3genE10ELNS1_11target_archE1201ELNS1_3gpuE5ELNS1_3repE0EEENS1_48merge_mergepath_partition_config_static_selectorELNS0_4arch9wavefront6targetE0EEEvSF_
	.globl	_ZN7rocprim17ROCPRIM_400000_NS6detail17trampoline_kernelINS0_14default_configENS1_38merge_sort_block_merge_config_selectorIlNS0_10empty_typeEEEZZNS1_27merge_sort_block_merge_implIS3_PlPS5_jNS1_19radix_merge_compareILb0ELb1ElNS0_19identity_decomposerEEEEE10hipError_tT0_T1_T2_jT3_P12ihipStream_tbPNSt15iterator_traitsISE_E10value_typeEPNSK_ISF_E10value_typeEPSG_NS1_7vsmem_tEENKUlT_SE_SF_SG_E_clIS8_S8_S9_S9_EESD_ST_SE_SF_SG_EUlST_E_NS1_11comp_targetILNS1_3genE10ELNS1_11target_archE1201ELNS1_3gpuE5ELNS1_3repE0EEENS1_48merge_mergepath_partition_config_static_selectorELNS0_4arch9wavefront6targetE0EEEvSF_
	.p2align	8
	.type	_ZN7rocprim17ROCPRIM_400000_NS6detail17trampoline_kernelINS0_14default_configENS1_38merge_sort_block_merge_config_selectorIlNS0_10empty_typeEEEZZNS1_27merge_sort_block_merge_implIS3_PlPS5_jNS1_19radix_merge_compareILb0ELb1ElNS0_19identity_decomposerEEEEE10hipError_tT0_T1_T2_jT3_P12ihipStream_tbPNSt15iterator_traitsISE_E10value_typeEPNSK_ISF_E10value_typeEPSG_NS1_7vsmem_tEENKUlT_SE_SF_SG_E_clIS8_S8_S9_S9_EESD_ST_SE_SF_SG_EUlST_E_NS1_11comp_targetILNS1_3genE10ELNS1_11target_archE1201ELNS1_3gpuE5ELNS1_3repE0EEENS1_48merge_mergepath_partition_config_static_selectorELNS0_4arch9wavefront6targetE0EEEvSF_,@function
_ZN7rocprim17ROCPRIM_400000_NS6detail17trampoline_kernelINS0_14default_configENS1_38merge_sort_block_merge_config_selectorIlNS0_10empty_typeEEEZZNS1_27merge_sort_block_merge_implIS3_PlPS5_jNS1_19radix_merge_compareILb0ELb1ElNS0_19identity_decomposerEEEEE10hipError_tT0_T1_T2_jT3_P12ihipStream_tbPNSt15iterator_traitsISE_E10value_typeEPNSK_ISF_E10value_typeEPSG_NS1_7vsmem_tEENKUlT_SE_SF_SG_E_clIS8_S8_S9_S9_EESD_ST_SE_SF_SG_EUlST_E_NS1_11comp_targetILNS1_3genE10ELNS1_11target_archE1201ELNS1_3gpuE5ELNS1_3repE0EEENS1_48merge_mergepath_partition_config_static_selectorELNS0_4arch9wavefront6targetE0EEEvSF_: ; @_ZN7rocprim17ROCPRIM_400000_NS6detail17trampoline_kernelINS0_14default_configENS1_38merge_sort_block_merge_config_selectorIlNS0_10empty_typeEEEZZNS1_27merge_sort_block_merge_implIS3_PlPS5_jNS1_19radix_merge_compareILb0ELb1ElNS0_19identity_decomposerEEEEE10hipError_tT0_T1_T2_jT3_P12ihipStream_tbPNSt15iterator_traitsISE_E10value_typeEPNSK_ISF_E10value_typeEPSG_NS1_7vsmem_tEENKUlT_SE_SF_SG_E_clIS8_S8_S9_S9_EESD_ST_SE_SF_SG_EUlST_E_NS1_11comp_targetILNS1_3genE10ELNS1_11target_archE1201ELNS1_3gpuE5ELNS1_3repE0EEENS1_48merge_mergepath_partition_config_static_selectorELNS0_4arch9wavefront6targetE0EEEvSF_
; %bb.0:
	.section	.rodata,"a",@progbits
	.p2align	6, 0x0
	.amdhsa_kernel _ZN7rocprim17ROCPRIM_400000_NS6detail17trampoline_kernelINS0_14default_configENS1_38merge_sort_block_merge_config_selectorIlNS0_10empty_typeEEEZZNS1_27merge_sort_block_merge_implIS3_PlPS5_jNS1_19radix_merge_compareILb0ELb1ElNS0_19identity_decomposerEEEEE10hipError_tT0_T1_T2_jT3_P12ihipStream_tbPNSt15iterator_traitsISE_E10value_typeEPNSK_ISF_E10value_typeEPSG_NS1_7vsmem_tEENKUlT_SE_SF_SG_E_clIS8_S8_S9_S9_EESD_ST_SE_SF_SG_EUlST_E_NS1_11comp_targetILNS1_3genE10ELNS1_11target_archE1201ELNS1_3gpuE5ELNS1_3repE0EEENS1_48merge_mergepath_partition_config_static_selectorELNS0_4arch9wavefront6targetE0EEEvSF_
		.amdhsa_group_segment_fixed_size 0
		.amdhsa_private_segment_fixed_size 0
		.amdhsa_kernarg_size 40
		.amdhsa_user_sgpr_count 2
		.amdhsa_user_sgpr_dispatch_ptr 0
		.amdhsa_user_sgpr_queue_ptr 0
		.amdhsa_user_sgpr_kernarg_segment_ptr 1
		.amdhsa_user_sgpr_dispatch_id 0
		.amdhsa_user_sgpr_kernarg_preload_length 0
		.amdhsa_user_sgpr_kernarg_preload_offset 0
		.amdhsa_user_sgpr_private_segment_size 0
		.amdhsa_wavefront_size32 1
		.amdhsa_uses_dynamic_stack 0
		.amdhsa_enable_private_segment 0
		.amdhsa_system_sgpr_workgroup_id_x 1
		.amdhsa_system_sgpr_workgroup_id_y 0
		.amdhsa_system_sgpr_workgroup_id_z 0
		.amdhsa_system_sgpr_workgroup_info 0
		.amdhsa_system_vgpr_workitem_id 0
		.amdhsa_next_free_vgpr 1
		.amdhsa_next_free_sgpr 1
		.amdhsa_named_barrier_count 0
		.amdhsa_reserve_vcc 0
		.amdhsa_float_round_mode_32 0
		.amdhsa_float_round_mode_16_64 0
		.amdhsa_float_denorm_mode_32 3
		.amdhsa_float_denorm_mode_16_64 3
		.amdhsa_fp16_overflow 0
		.amdhsa_memory_ordered 1
		.amdhsa_forward_progress 1
		.amdhsa_inst_pref_size 0
		.amdhsa_round_robin_scheduling 0
		.amdhsa_exception_fp_ieee_invalid_op 0
		.amdhsa_exception_fp_denorm_src 0
		.amdhsa_exception_fp_ieee_div_zero 0
		.amdhsa_exception_fp_ieee_overflow 0
		.amdhsa_exception_fp_ieee_underflow 0
		.amdhsa_exception_fp_ieee_inexact 0
		.amdhsa_exception_int_div_zero 0
	.end_amdhsa_kernel
	.section	.text._ZN7rocprim17ROCPRIM_400000_NS6detail17trampoline_kernelINS0_14default_configENS1_38merge_sort_block_merge_config_selectorIlNS0_10empty_typeEEEZZNS1_27merge_sort_block_merge_implIS3_PlPS5_jNS1_19radix_merge_compareILb0ELb1ElNS0_19identity_decomposerEEEEE10hipError_tT0_T1_T2_jT3_P12ihipStream_tbPNSt15iterator_traitsISE_E10value_typeEPNSK_ISF_E10value_typeEPSG_NS1_7vsmem_tEENKUlT_SE_SF_SG_E_clIS8_S8_S9_S9_EESD_ST_SE_SF_SG_EUlST_E_NS1_11comp_targetILNS1_3genE10ELNS1_11target_archE1201ELNS1_3gpuE5ELNS1_3repE0EEENS1_48merge_mergepath_partition_config_static_selectorELNS0_4arch9wavefront6targetE0EEEvSF_,"axG",@progbits,_ZN7rocprim17ROCPRIM_400000_NS6detail17trampoline_kernelINS0_14default_configENS1_38merge_sort_block_merge_config_selectorIlNS0_10empty_typeEEEZZNS1_27merge_sort_block_merge_implIS3_PlPS5_jNS1_19radix_merge_compareILb0ELb1ElNS0_19identity_decomposerEEEEE10hipError_tT0_T1_T2_jT3_P12ihipStream_tbPNSt15iterator_traitsISE_E10value_typeEPNSK_ISF_E10value_typeEPSG_NS1_7vsmem_tEENKUlT_SE_SF_SG_E_clIS8_S8_S9_S9_EESD_ST_SE_SF_SG_EUlST_E_NS1_11comp_targetILNS1_3genE10ELNS1_11target_archE1201ELNS1_3gpuE5ELNS1_3repE0EEENS1_48merge_mergepath_partition_config_static_selectorELNS0_4arch9wavefront6targetE0EEEvSF_,comdat
.Lfunc_end1166:
	.size	_ZN7rocprim17ROCPRIM_400000_NS6detail17trampoline_kernelINS0_14default_configENS1_38merge_sort_block_merge_config_selectorIlNS0_10empty_typeEEEZZNS1_27merge_sort_block_merge_implIS3_PlPS5_jNS1_19radix_merge_compareILb0ELb1ElNS0_19identity_decomposerEEEEE10hipError_tT0_T1_T2_jT3_P12ihipStream_tbPNSt15iterator_traitsISE_E10value_typeEPNSK_ISF_E10value_typeEPSG_NS1_7vsmem_tEENKUlT_SE_SF_SG_E_clIS8_S8_S9_S9_EESD_ST_SE_SF_SG_EUlST_E_NS1_11comp_targetILNS1_3genE10ELNS1_11target_archE1201ELNS1_3gpuE5ELNS1_3repE0EEENS1_48merge_mergepath_partition_config_static_selectorELNS0_4arch9wavefront6targetE0EEEvSF_, .Lfunc_end1166-_ZN7rocprim17ROCPRIM_400000_NS6detail17trampoline_kernelINS0_14default_configENS1_38merge_sort_block_merge_config_selectorIlNS0_10empty_typeEEEZZNS1_27merge_sort_block_merge_implIS3_PlPS5_jNS1_19radix_merge_compareILb0ELb1ElNS0_19identity_decomposerEEEEE10hipError_tT0_T1_T2_jT3_P12ihipStream_tbPNSt15iterator_traitsISE_E10value_typeEPNSK_ISF_E10value_typeEPSG_NS1_7vsmem_tEENKUlT_SE_SF_SG_E_clIS8_S8_S9_S9_EESD_ST_SE_SF_SG_EUlST_E_NS1_11comp_targetILNS1_3genE10ELNS1_11target_archE1201ELNS1_3gpuE5ELNS1_3repE0EEENS1_48merge_mergepath_partition_config_static_selectorELNS0_4arch9wavefront6targetE0EEEvSF_
                                        ; -- End function
	.set _ZN7rocprim17ROCPRIM_400000_NS6detail17trampoline_kernelINS0_14default_configENS1_38merge_sort_block_merge_config_selectorIlNS0_10empty_typeEEEZZNS1_27merge_sort_block_merge_implIS3_PlPS5_jNS1_19radix_merge_compareILb0ELb1ElNS0_19identity_decomposerEEEEE10hipError_tT0_T1_T2_jT3_P12ihipStream_tbPNSt15iterator_traitsISE_E10value_typeEPNSK_ISF_E10value_typeEPSG_NS1_7vsmem_tEENKUlT_SE_SF_SG_E_clIS8_S8_S9_S9_EESD_ST_SE_SF_SG_EUlST_E_NS1_11comp_targetILNS1_3genE10ELNS1_11target_archE1201ELNS1_3gpuE5ELNS1_3repE0EEENS1_48merge_mergepath_partition_config_static_selectorELNS0_4arch9wavefront6targetE0EEEvSF_.num_vgpr, 0
	.set _ZN7rocprim17ROCPRIM_400000_NS6detail17trampoline_kernelINS0_14default_configENS1_38merge_sort_block_merge_config_selectorIlNS0_10empty_typeEEEZZNS1_27merge_sort_block_merge_implIS3_PlPS5_jNS1_19radix_merge_compareILb0ELb1ElNS0_19identity_decomposerEEEEE10hipError_tT0_T1_T2_jT3_P12ihipStream_tbPNSt15iterator_traitsISE_E10value_typeEPNSK_ISF_E10value_typeEPSG_NS1_7vsmem_tEENKUlT_SE_SF_SG_E_clIS8_S8_S9_S9_EESD_ST_SE_SF_SG_EUlST_E_NS1_11comp_targetILNS1_3genE10ELNS1_11target_archE1201ELNS1_3gpuE5ELNS1_3repE0EEENS1_48merge_mergepath_partition_config_static_selectorELNS0_4arch9wavefront6targetE0EEEvSF_.num_agpr, 0
	.set _ZN7rocprim17ROCPRIM_400000_NS6detail17trampoline_kernelINS0_14default_configENS1_38merge_sort_block_merge_config_selectorIlNS0_10empty_typeEEEZZNS1_27merge_sort_block_merge_implIS3_PlPS5_jNS1_19radix_merge_compareILb0ELb1ElNS0_19identity_decomposerEEEEE10hipError_tT0_T1_T2_jT3_P12ihipStream_tbPNSt15iterator_traitsISE_E10value_typeEPNSK_ISF_E10value_typeEPSG_NS1_7vsmem_tEENKUlT_SE_SF_SG_E_clIS8_S8_S9_S9_EESD_ST_SE_SF_SG_EUlST_E_NS1_11comp_targetILNS1_3genE10ELNS1_11target_archE1201ELNS1_3gpuE5ELNS1_3repE0EEENS1_48merge_mergepath_partition_config_static_selectorELNS0_4arch9wavefront6targetE0EEEvSF_.numbered_sgpr, 0
	.set _ZN7rocprim17ROCPRIM_400000_NS6detail17trampoline_kernelINS0_14default_configENS1_38merge_sort_block_merge_config_selectorIlNS0_10empty_typeEEEZZNS1_27merge_sort_block_merge_implIS3_PlPS5_jNS1_19radix_merge_compareILb0ELb1ElNS0_19identity_decomposerEEEEE10hipError_tT0_T1_T2_jT3_P12ihipStream_tbPNSt15iterator_traitsISE_E10value_typeEPNSK_ISF_E10value_typeEPSG_NS1_7vsmem_tEENKUlT_SE_SF_SG_E_clIS8_S8_S9_S9_EESD_ST_SE_SF_SG_EUlST_E_NS1_11comp_targetILNS1_3genE10ELNS1_11target_archE1201ELNS1_3gpuE5ELNS1_3repE0EEENS1_48merge_mergepath_partition_config_static_selectorELNS0_4arch9wavefront6targetE0EEEvSF_.num_named_barrier, 0
	.set _ZN7rocprim17ROCPRIM_400000_NS6detail17trampoline_kernelINS0_14default_configENS1_38merge_sort_block_merge_config_selectorIlNS0_10empty_typeEEEZZNS1_27merge_sort_block_merge_implIS3_PlPS5_jNS1_19radix_merge_compareILb0ELb1ElNS0_19identity_decomposerEEEEE10hipError_tT0_T1_T2_jT3_P12ihipStream_tbPNSt15iterator_traitsISE_E10value_typeEPNSK_ISF_E10value_typeEPSG_NS1_7vsmem_tEENKUlT_SE_SF_SG_E_clIS8_S8_S9_S9_EESD_ST_SE_SF_SG_EUlST_E_NS1_11comp_targetILNS1_3genE10ELNS1_11target_archE1201ELNS1_3gpuE5ELNS1_3repE0EEENS1_48merge_mergepath_partition_config_static_selectorELNS0_4arch9wavefront6targetE0EEEvSF_.private_seg_size, 0
	.set _ZN7rocprim17ROCPRIM_400000_NS6detail17trampoline_kernelINS0_14default_configENS1_38merge_sort_block_merge_config_selectorIlNS0_10empty_typeEEEZZNS1_27merge_sort_block_merge_implIS3_PlPS5_jNS1_19radix_merge_compareILb0ELb1ElNS0_19identity_decomposerEEEEE10hipError_tT0_T1_T2_jT3_P12ihipStream_tbPNSt15iterator_traitsISE_E10value_typeEPNSK_ISF_E10value_typeEPSG_NS1_7vsmem_tEENKUlT_SE_SF_SG_E_clIS8_S8_S9_S9_EESD_ST_SE_SF_SG_EUlST_E_NS1_11comp_targetILNS1_3genE10ELNS1_11target_archE1201ELNS1_3gpuE5ELNS1_3repE0EEENS1_48merge_mergepath_partition_config_static_selectorELNS0_4arch9wavefront6targetE0EEEvSF_.uses_vcc, 0
	.set _ZN7rocprim17ROCPRIM_400000_NS6detail17trampoline_kernelINS0_14default_configENS1_38merge_sort_block_merge_config_selectorIlNS0_10empty_typeEEEZZNS1_27merge_sort_block_merge_implIS3_PlPS5_jNS1_19radix_merge_compareILb0ELb1ElNS0_19identity_decomposerEEEEE10hipError_tT0_T1_T2_jT3_P12ihipStream_tbPNSt15iterator_traitsISE_E10value_typeEPNSK_ISF_E10value_typeEPSG_NS1_7vsmem_tEENKUlT_SE_SF_SG_E_clIS8_S8_S9_S9_EESD_ST_SE_SF_SG_EUlST_E_NS1_11comp_targetILNS1_3genE10ELNS1_11target_archE1201ELNS1_3gpuE5ELNS1_3repE0EEENS1_48merge_mergepath_partition_config_static_selectorELNS0_4arch9wavefront6targetE0EEEvSF_.uses_flat_scratch, 0
	.set _ZN7rocprim17ROCPRIM_400000_NS6detail17trampoline_kernelINS0_14default_configENS1_38merge_sort_block_merge_config_selectorIlNS0_10empty_typeEEEZZNS1_27merge_sort_block_merge_implIS3_PlPS5_jNS1_19radix_merge_compareILb0ELb1ElNS0_19identity_decomposerEEEEE10hipError_tT0_T1_T2_jT3_P12ihipStream_tbPNSt15iterator_traitsISE_E10value_typeEPNSK_ISF_E10value_typeEPSG_NS1_7vsmem_tEENKUlT_SE_SF_SG_E_clIS8_S8_S9_S9_EESD_ST_SE_SF_SG_EUlST_E_NS1_11comp_targetILNS1_3genE10ELNS1_11target_archE1201ELNS1_3gpuE5ELNS1_3repE0EEENS1_48merge_mergepath_partition_config_static_selectorELNS0_4arch9wavefront6targetE0EEEvSF_.has_dyn_sized_stack, 0
	.set _ZN7rocprim17ROCPRIM_400000_NS6detail17trampoline_kernelINS0_14default_configENS1_38merge_sort_block_merge_config_selectorIlNS0_10empty_typeEEEZZNS1_27merge_sort_block_merge_implIS3_PlPS5_jNS1_19radix_merge_compareILb0ELb1ElNS0_19identity_decomposerEEEEE10hipError_tT0_T1_T2_jT3_P12ihipStream_tbPNSt15iterator_traitsISE_E10value_typeEPNSK_ISF_E10value_typeEPSG_NS1_7vsmem_tEENKUlT_SE_SF_SG_E_clIS8_S8_S9_S9_EESD_ST_SE_SF_SG_EUlST_E_NS1_11comp_targetILNS1_3genE10ELNS1_11target_archE1201ELNS1_3gpuE5ELNS1_3repE0EEENS1_48merge_mergepath_partition_config_static_selectorELNS0_4arch9wavefront6targetE0EEEvSF_.has_recursion, 0
	.set _ZN7rocprim17ROCPRIM_400000_NS6detail17trampoline_kernelINS0_14default_configENS1_38merge_sort_block_merge_config_selectorIlNS0_10empty_typeEEEZZNS1_27merge_sort_block_merge_implIS3_PlPS5_jNS1_19radix_merge_compareILb0ELb1ElNS0_19identity_decomposerEEEEE10hipError_tT0_T1_T2_jT3_P12ihipStream_tbPNSt15iterator_traitsISE_E10value_typeEPNSK_ISF_E10value_typeEPSG_NS1_7vsmem_tEENKUlT_SE_SF_SG_E_clIS8_S8_S9_S9_EESD_ST_SE_SF_SG_EUlST_E_NS1_11comp_targetILNS1_3genE10ELNS1_11target_archE1201ELNS1_3gpuE5ELNS1_3repE0EEENS1_48merge_mergepath_partition_config_static_selectorELNS0_4arch9wavefront6targetE0EEEvSF_.has_indirect_call, 0
	.section	.AMDGPU.csdata,"",@progbits
; Kernel info:
; codeLenInByte = 0
; TotalNumSgprs: 0
; NumVgprs: 0
; ScratchSize: 0
; MemoryBound: 0
; FloatMode: 240
; IeeeMode: 1
; LDSByteSize: 0 bytes/workgroup (compile time only)
; SGPRBlocks: 0
; VGPRBlocks: 0
; NumSGPRsForWavesPerEU: 1
; NumVGPRsForWavesPerEU: 1
; NamedBarCnt: 0
; Occupancy: 16
; WaveLimiterHint : 0
; COMPUTE_PGM_RSRC2:SCRATCH_EN: 0
; COMPUTE_PGM_RSRC2:USER_SGPR: 2
; COMPUTE_PGM_RSRC2:TRAP_HANDLER: 0
; COMPUTE_PGM_RSRC2:TGID_X_EN: 1
; COMPUTE_PGM_RSRC2:TGID_Y_EN: 0
; COMPUTE_PGM_RSRC2:TGID_Z_EN: 0
; COMPUTE_PGM_RSRC2:TIDIG_COMP_CNT: 0
	.section	.text._ZN7rocprim17ROCPRIM_400000_NS6detail17trampoline_kernelINS0_14default_configENS1_38merge_sort_block_merge_config_selectorIlNS0_10empty_typeEEEZZNS1_27merge_sort_block_merge_implIS3_PlPS5_jNS1_19radix_merge_compareILb0ELb1ElNS0_19identity_decomposerEEEEE10hipError_tT0_T1_T2_jT3_P12ihipStream_tbPNSt15iterator_traitsISE_E10value_typeEPNSK_ISF_E10value_typeEPSG_NS1_7vsmem_tEENKUlT_SE_SF_SG_E_clIS8_S8_S9_S9_EESD_ST_SE_SF_SG_EUlST_E_NS1_11comp_targetILNS1_3genE5ELNS1_11target_archE942ELNS1_3gpuE9ELNS1_3repE0EEENS1_48merge_mergepath_partition_config_static_selectorELNS0_4arch9wavefront6targetE0EEEvSF_,"axG",@progbits,_ZN7rocprim17ROCPRIM_400000_NS6detail17trampoline_kernelINS0_14default_configENS1_38merge_sort_block_merge_config_selectorIlNS0_10empty_typeEEEZZNS1_27merge_sort_block_merge_implIS3_PlPS5_jNS1_19radix_merge_compareILb0ELb1ElNS0_19identity_decomposerEEEEE10hipError_tT0_T1_T2_jT3_P12ihipStream_tbPNSt15iterator_traitsISE_E10value_typeEPNSK_ISF_E10value_typeEPSG_NS1_7vsmem_tEENKUlT_SE_SF_SG_E_clIS8_S8_S9_S9_EESD_ST_SE_SF_SG_EUlST_E_NS1_11comp_targetILNS1_3genE5ELNS1_11target_archE942ELNS1_3gpuE9ELNS1_3repE0EEENS1_48merge_mergepath_partition_config_static_selectorELNS0_4arch9wavefront6targetE0EEEvSF_,comdat
	.protected	_ZN7rocprim17ROCPRIM_400000_NS6detail17trampoline_kernelINS0_14default_configENS1_38merge_sort_block_merge_config_selectorIlNS0_10empty_typeEEEZZNS1_27merge_sort_block_merge_implIS3_PlPS5_jNS1_19radix_merge_compareILb0ELb1ElNS0_19identity_decomposerEEEEE10hipError_tT0_T1_T2_jT3_P12ihipStream_tbPNSt15iterator_traitsISE_E10value_typeEPNSK_ISF_E10value_typeEPSG_NS1_7vsmem_tEENKUlT_SE_SF_SG_E_clIS8_S8_S9_S9_EESD_ST_SE_SF_SG_EUlST_E_NS1_11comp_targetILNS1_3genE5ELNS1_11target_archE942ELNS1_3gpuE9ELNS1_3repE0EEENS1_48merge_mergepath_partition_config_static_selectorELNS0_4arch9wavefront6targetE0EEEvSF_ ; -- Begin function _ZN7rocprim17ROCPRIM_400000_NS6detail17trampoline_kernelINS0_14default_configENS1_38merge_sort_block_merge_config_selectorIlNS0_10empty_typeEEEZZNS1_27merge_sort_block_merge_implIS3_PlPS5_jNS1_19radix_merge_compareILb0ELb1ElNS0_19identity_decomposerEEEEE10hipError_tT0_T1_T2_jT3_P12ihipStream_tbPNSt15iterator_traitsISE_E10value_typeEPNSK_ISF_E10value_typeEPSG_NS1_7vsmem_tEENKUlT_SE_SF_SG_E_clIS8_S8_S9_S9_EESD_ST_SE_SF_SG_EUlST_E_NS1_11comp_targetILNS1_3genE5ELNS1_11target_archE942ELNS1_3gpuE9ELNS1_3repE0EEENS1_48merge_mergepath_partition_config_static_selectorELNS0_4arch9wavefront6targetE0EEEvSF_
	.globl	_ZN7rocprim17ROCPRIM_400000_NS6detail17trampoline_kernelINS0_14default_configENS1_38merge_sort_block_merge_config_selectorIlNS0_10empty_typeEEEZZNS1_27merge_sort_block_merge_implIS3_PlPS5_jNS1_19radix_merge_compareILb0ELb1ElNS0_19identity_decomposerEEEEE10hipError_tT0_T1_T2_jT3_P12ihipStream_tbPNSt15iterator_traitsISE_E10value_typeEPNSK_ISF_E10value_typeEPSG_NS1_7vsmem_tEENKUlT_SE_SF_SG_E_clIS8_S8_S9_S9_EESD_ST_SE_SF_SG_EUlST_E_NS1_11comp_targetILNS1_3genE5ELNS1_11target_archE942ELNS1_3gpuE9ELNS1_3repE0EEENS1_48merge_mergepath_partition_config_static_selectorELNS0_4arch9wavefront6targetE0EEEvSF_
	.p2align	8
	.type	_ZN7rocprim17ROCPRIM_400000_NS6detail17trampoline_kernelINS0_14default_configENS1_38merge_sort_block_merge_config_selectorIlNS0_10empty_typeEEEZZNS1_27merge_sort_block_merge_implIS3_PlPS5_jNS1_19radix_merge_compareILb0ELb1ElNS0_19identity_decomposerEEEEE10hipError_tT0_T1_T2_jT3_P12ihipStream_tbPNSt15iterator_traitsISE_E10value_typeEPNSK_ISF_E10value_typeEPSG_NS1_7vsmem_tEENKUlT_SE_SF_SG_E_clIS8_S8_S9_S9_EESD_ST_SE_SF_SG_EUlST_E_NS1_11comp_targetILNS1_3genE5ELNS1_11target_archE942ELNS1_3gpuE9ELNS1_3repE0EEENS1_48merge_mergepath_partition_config_static_selectorELNS0_4arch9wavefront6targetE0EEEvSF_,@function
_ZN7rocprim17ROCPRIM_400000_NS6detail17trampoline_kernelINS0_14default_configENS1_38merge_sort_block_merge_config_selectorIlNS0_10empty_typeEEEZZNS1_27merge_sort_block_merge_implIS3_PlPS5_jNS1_19radix_merge_compareILb0ELb1ElNS0_19identity_decomposerEEEEE10hipError_tT0_T1_T2_jT3_P12ihipStream_tbPNSt15iterator_traitsISE_E10value_typeEPNSK_ISF_E10value_typeEPSG_NS1_7vsmem_tEENKUlT_SE_SF_SG_E_clIS8_S8_S9_S9_EESD_ST_SE_SF_SG_EUlST_E_NS1_11comp_targetILNS1_3genE5ELNS1_11target_archE942ELNS1_3gpuE9ELNS1_3repE0EEENS1_48merge_mergepath_partition_config_static_selectorELNS0_4arch9wavefront6targetE0EEEvSF_: ; @_ZN7rocprim17ROCPRIM_400000_NS6detail17trampoline_kernelINS0_14default_configENS1_38merge_sort_block_merge_config_selectorIlNS0_10empty_typeEEEZZNS1_27merge_sort_block_merge_implIS3_PlPS5_jNS1_19radix_merge_compareILb0ELb1ElNS0_19identity_decomposerEEEEE10hipError_tT0_T1_T2_jT3_P12ihipStream_tbPNSt15iterator_traitsISE_E10value_typeEPNSK_ISF_E10value_typeEPSG_NS1_7vsmem_tEENKUlT_SE_SF_SG_E_clIS8_S8_S9_S9_EESD_ST_SE_SF_SG_EUlST_E_NS1_11comp_targetILNS1_3genE5ELNS1_11target_archE942ELNS1_3gpuE9ELNS1_3repE0EEENS1_48merge_mergepath_partition_config_static_selectorELNS0_4arch9wavefront6targetE0EEEvSF_
; %bb.0:
	.section	.rodata,"a",@progbits
	.p2align	6, 0x0
	.amdhsa_kernel _ZN7rocprim17ROCPRIM_400000_NS6detail17trampoline_kernelINS0_14default_configENS1_38merge_sort_block_merge_config_selectorIlNS0_10empty_typeEEEZZNS1_27merge_sort_block_merge_implIS3_PlPS5_jNS1_19radix_merge_compareILb0ELb1ElNS0_19identity_decomposerEEEEE10hipError_tT0_T1_T2_jT3_P12ihipStream_tbPNSt15iterator_traitsISE_E10value_typeEPNSK_ISF_E10value_typeEPSG_NS1_7vsmem_tEENKUlT_SE_SF_SG_E_clIS8_S8_S9_S9_EESD_ST_SE_SF_SG_EUlST_E_NS1_11comp_targetILNS1_3genE5ELNS1_11target_archE942ELNS1_3gpuE9ELNS1_3repE0EEENS1_48merge_mergepath_partition_config_static_selectorELNS0_4arch9wavefront6targetE0EEEvSF_
		.amdhsa_group_segment_fixed_size 0
		.amdhsa_private_segment_fixed_size 0
		.amdhsa_kernarg_size 40
		.amdhsa_user_sgpr_count 2
		.amdhsa_user_sgpr_dispatch_ptr 0
		.amdhsa_user_sgpr_queue_ptr 0
		.amdhsa_user_sgpr_kernarg_segment_ptr 1
		.amdhsa_user_sgpr_dispatch_id 0
		.amdhsa_user_sgpr_kernarg_preload_length 0
		.amdhsa_user_sgpr_kernarg_preload_offset 0
		.amdhsa_user_sgpr_private_segment_size 0
		.amdhsa_wavefront_size32 1
		.amdhsa_uses_dynamic_stack 0
		.amdhsa_enable_private_segment 0
		.amdhsa_system_sgpr_workgroup_id_x 1
		.amdhsa_system_sgpr_workgroup_id_y 0
		.amdhsa_system_sgpr_workgroup_id_z 0
		.amdhsa_system_sgpr_workgroup_info 0
		.amdhsa_system_vgpr_workitem_id 0
		.amdhsa_next_free_vgpr 1
		.amdhsa_next_free_sgpr 1
		.amdhsa_named_barrier_count 0
		.amdhsa_reserve_vcc 0
		.amdhsa_float_round_mode_32 0
		.amdhsa_float_round_mode_16_64 0
		.amdhsa_float_denorm_mode_32 3
		.amdhsa_float_denorm_mode_16_64 3
		.amdhsa_fp16_overflow 0
		.amdhsa_memory_ordered 1
		.amdhsa_forward_progress 1
		.amdhsa_inst_pref_size 0
		.amdhsa_round_robin_scheduling 0
		.amdhsa_exception_fp_ieee_invalid_op 0
		.amdhsa_exception_fp_denorm_src 0
		.amdhsa_exception_fp_ieee_div_zero 0
		.amdhsa_exception_fp_ieee_overflow 0
		.amdhsa_exception_fp_ieee_underflow 0
		.amdhsa_exception_fp_ieee_inexact 0
		.amdhsa_exception_int_div_zero 0
	.end_amdhsa_kernel
	.section	.text._ZN7rocprim17ROCPRIM_400000_NS6detail17trampoline_kernelINS0_14default_configENS1_38merge_sort_block_merge_config_selectorIlNS0_10empty_typeEEEZZNS1_27merge_sort_block_merge_implIS3_PlPS5_jNS1_19radix_merge_compareILb0ELb1ElNS0_19identity_decomposerEEEEE10hipError_tT0_T1_T2_jT3_P12ihipStream_tbPNSt15iterator_traitsISE_E10value_typeEPNSK_ISF_E10value_typeEPSG_NS1_7vsmem_tEENKUlT_SE_SF_SG_E_clIS8_S8_S9_S9_EESD_ST_SE_SF_SG_EUlST_E_NS1_11comp_targetILNS1_3genE5ELNS1_11target_archE942ELNS1_3gpuE9ELNS1_3repE0EEENS1_48merge_mergepath_partition_config_static_selectorELNS0_4arch9wavefront6targetE0EEEvSF_,"axG",@progbits,_ZN7rocprim17ROCPRIM_400000_NS6detail17trampoline_kernelINS0_14default_configENS1_38merge_sort_block_merge_config_selectorIlNS0_10empty_typeEEEZZNS1_27merge_sort_block_merge_implIS3_PlPS5_jNS1_19radix_merge_compareILb0ELb1ElNS0_19identity_decomposerEEEEE10hipError_tT0_T1_T2_jT3_P12ihipStream_tbPNSt15iterator_traitsISE_E10value_typeEPNSK_ISF_E10value_typeEPSG_NS1_7vsmem_tEENKUlT_SE_SF_SG_E_clIS8_S8_S9_S9_EESD_ST_SE_SF_SG_EUlST_E_NS1_11comp_targetILNS1_3genE5ELNS1_11target_archE942ELNS1_3gpuE9ELNS1_3repE0EEENS1_48merge_mergepath_partition_config_static_selectorELNS0_4arch9wavefront6targetE0EEEvSF_,comdat
.Lfunc_end1167:
	.size	_ZN7rocprim17ROCPRIM_400000_NS6detail17trampoline_kernelINS0_14default_configENS1_38merge_sort_block_merge_config_selectorIlNS0_10empty_typeEEEZZNS1_27merge_sort_block_merge_implIS3_PlPS5_jNS1_19radix_merge_compareILb0ELb1ElNS0_19identity_decomposerEEEEE10hipError_tT0_T1_T2_jT3_P12ihipStream_tbPNSt15iterator_traitsISE_E10value_typeEPNSK_ISF_E10value_typeEPSG_NS1_7vsmem_tEENKUlT_SE_SF_SG_E_clIS8_S8_S9_S9_EESD_ST_SE_SF_SG_EUlST_E_NS1_11comp_targetILNS1_3genE5ELNS1_11target_archE942ELNS1_3gpuE9ELNS1_3repE0EEENS1_48merge_mergepath_partition_config_static_selectorELNS0_4arch9wavefront6targetE0EEEvSF_, .Lfunc_end1167-_ZN7rocprim17ROCPRIM_400000_NS6detail17trampoline_kernelINS0_14default_configENS1_38merge_sort_block_merge_config_selectorIlNS0_10empty_typeEEEZZNS1_27merge_sort_block_merge_implIS3_PlPS5_jNS1_19radix_merge_compareILb0ELb1ElNS0_19identity_decomposerEEEEE10hipError_tT0_T1_T2_jT3_P12ihipStream_tbPNSt15iterator_traitsISE_E10value_typeEPNSK_ISF_E10value_typeEPSG_NS1_7vsmem_tEENKUlT_SE_SF_SG_E_clIS8_S8_S9_S9_EESD_ST_SE_SF_SG_EUlST_E_NS1_11comp_targetILNS1_3genE5ELNS1_11target_archE942ELNS1_3gpuE9ELNS1_3repE0EEENS1_48merge_mergepath_partition_config_static_selectorELNS0_4arch9wavefront6targetE0EEEvSF_
                                        ; -- End function
	.set _ZN7rocprim17ROCPRIM_400000_NS6detail17trampoline_kernelINS0_14default_configENS1_38merge_sort_block_merge_config_selectorIlNS0_10empty_typeEEEZZNS1_27merge_sort_block_merge_implIS3_PlPS5_jNS1_19radix_merge_compareILb0ELb1ElNS0_19identity_decomposerEEEEE10hipError_tT0_T1_T2_jT3_P12ihipStream_tbPNSt15iterator_traitsISE_E10value_typeEPNSK_ISF_E10value_typeEPSG_NS1_7vsmem_tEENKUlT_SE_SF_SG_E_clIS8_S8_S9_S9_EESD_ST_SE_SF_SG_EUlST_E_NS1_11comp_targetILNS1_3genE5ELNS1_11target_archE942ELNS1_3gpuE9ELNS1_3repE0EEENS1_48merge_mergepath_partition_config_static_selectorELNS0_4arch9wavefront6targetE0EEEvSF_.num_vgpr, 0
	.set _ZN7rocprim17ROCPRIM_400000_NS6detail17trampoline_kernelINS0_14default_configENS1_38merge_sort_block_merge_config_selectorIlNS0_10empty_typeEEEZZNS1_27merge_sort_block_merge_implIS3_PlPS5_jNS1_19radix_merge_compareILb0ELb1ElNS0_19identity_decomposerEEEEE10hipError_tT0_T1_T2_jT3_P12ihipStream_tbPNSt15iterator_traitsISE_E10value_typeEPNSK_ISF_E10value_typeEPSG_NS1_7vsmem_tEENKUlT_SE_SF_SG_E_clIS8_S8_S9_S9_EESD_ST_SE_SF_SG_EUlST_E_NS1_11comp_targetILNS1_3genE5ELNS1_11target_archE942ELNS1_3gpuE9ELNS1_3repE0EEENS1_48merge_mergepath_partition_config_static_selectorELNS0_4arch9wavefront6targetE0EEEvSF_.num_agpr, 0
	.set _ZN7rocprim17ROCPRIM_400000_NS6detail17trampoline_kernelINS0_14default_configENS1_38merge_sort_block_merge_config_selectorIlNS0_10empty_typeEEEZZNS1_27merge_sort_block_merge_implIS3_PlPS5_jNS1_19radix_merge_compareILb0ELb1ElNS0_19identity_decomposerEEEEE10hipError_tT0_T1_T2_jT3_P12ihipStream_tbPNSt15iterator_traitsISE_E10value_typeEPNSK_ISF_E10value_typeEPSG_NS1_7vsmem_tEENKUlT_SE_SF_SG_E_clIS8_S8_S9_S9_EESD_ST_SE_SF_SG_EUlST_E_NS1_11comp_targetILNS1_3genE5ELNS1_11target_archE942ELNS1_3gpuE9ELNS1_3repE0EEENS1_48merge_mergepath_partition_config_static_selectorELNS0_4arch9wavefront6targetE0EEEvSF_.numbered_sgpr, 0
	.set _ZN7rocprim17ROCPRIM_400000_NS6detail17trampoline_kernelINS0_14default_configENS1_38merge_sort_block_merge_config_selectorIlNS0_10empty_typeEEEZZNS1_27merge_sort_block_merge_implIS3_PlPS5_jNS1_19radix_merge_compareILb0ELb1ElNS0_19identity_decomposerEEEEE10hipError_tT0_T1_T2_jT3_P12ihipStream_tbPNSt15iterator_traitsISE_E10value_typeEPNSK_ISF_E10value_typeEPSG_NS1_7vsmem_tEENKUlT_SE_SF_SG_E_clIS8_S8_S9_S9_EESD_ST_SE_SF_SG_EUlST_E_NS1_11comp_targetILNS1_3genE5ELNS1_11target_archE942ELNS1_3gpuE9ELNS1_3repE0EEENS1_48merge_mergepath_partition_config_static_selectorELNS0_4arch9wavefront6targetE0EEEvSF_.num_named_barrier, 0
	.set _ZN7rocprim17ROCPRIM_400000_NS6detail17trampoline_kernelINS0_14default_configENS1_38merge_sort_block_merge_config_selectorIlNS0_10empty_typeEEEZZNS1_27merge_sort_block_merge_implIS3_PlPS5_jNS1_19radix_merge_compareILb0ELb1ElNS0_19identity_decomposerEEEEE10hipError_tT0_T1_T2_jT3_P12ihipStream_tbPNSt15iterator_traitsISE_E10value_typeEPNSK_ISF_E10value_typeEPSG_NS1_7vsmem_tEENKUlT_SE_SF_SG_E_clIS8_S8_S9_S9_EESD_ST_SE_SF_SG_EUlST_E_NS1_11comp_targetILNS1_3genE5ELNS1_11target_archE942ELNS1_3gpuE9ELNS1_3repE0EEENS1_48merge_mergepath_partition_config_static_selectorELNS0_4arch9wavefront6targetE0EEEvSF_.private_seg_size, 0
	.set _ZN7rocprim17ROCPRIM_400000_NS6detail17trampoline_kernelINS0_14default_configENS1_38merge_sort_block_merge_config_selectorIlNS0_10empty_typeEEEZZNS1_27merge_sort_block_merge_implIS3_PlPS5_jNS1_19radix_merge_compareILb0ELb1ElNS0_19identity_decomposerEEEEE10hipError_tT0_T1_T2_jT3_P12ihipStream_tbPNSt15iterator_traitsISE_E10value_typeEPNSK_ISF_E10value_typeEPSG_NS1_7vsmem_tEENKUlT_SE_SF_SG_E_clIS8_S8_S9_S9_EESD_ST_SE_SF_SG_EUlST_E_NS1_11comp_targetILNS1_3genE5ELNS1_11target_archE942ELNS1_3gpuE9ELNS1_3repE0EEENS1_48merge_mergepath_partition_config_static_selectorELNS0_4arch9wavefront6targetE0EEEvSF_.uses_vcc, 0
	.set _ZN7rocprim17ROCPRIM_400000_NS6detail17trampoline_kernelINS0_14default_configENS1_38merge_sort_block_merge_config_selectorIlNS0_10empty_typeEEEZZNS1_27merge_sort_block_merge_implIS3_PlPS5_jNS1_19radix_merge_compareILb0ELb1ElNS0_19identity_decomposerEEEEE10hipError_tT0_T1_T2_jT3_P12ihipStream_tbPNSt15iterator_traitsISE_E10value_typeEPNSK_ISF_E10value_typeEPSG_NS1_7vsmem_tEENKUlT_SE_SF_SG_E_clIS8_S8_S9_S9_EESD_ST_SE_SF_SG_EUlST_E_NS1_11comp_targetILNS1_3genE5ELNS1_11target_archE942ELNS1_3gpuE9ELNS1_3repE0EEENS1_48merge_mergepath_partition_config_static_selectorELNS0_4arch9wavefront6targetE0EEEvSF_.uses_flat_scratch, 0
	.set _ZN7rocprim17ROCPRIM_400000_NS6detail17trampoline_kernelINS0_14default_configENS1_38merge_sort_block_merge_config_selectorIlNS0_10empty_typeEEEZZNS1_27merge_sort_block_merge_implIS3_PlPS5_jNS1_19radix_merge_compareILb0ELb1ElNS0_19identity_decomposerEEEEE10hipError_tT0_T1_T2_jT3_P12ihipStream_tbPNSt15iterator_traitsISE_E10value_typeEPNSK_ISF_E10value_typeEPSG_NS1_7vsmem_tEENKUlT_SE_SF_SG_E_clIS8_S8_S9_S9_EESD_ST_SE_SF_SG_EUlST_E_NS1_11comp_targetILNS1_3genE5ELNS1_11target_archE942ELNS1_3gpuE9ELNS1_3repE0EEENS1_48merge_mergepath_partition_config_static_selectorELNS0_4arch9wavefront6targetE0EEEvSF_.has_dyn_sized_stack, 0
	.set _ZN7rocprim17ROCPRIM_400000_NS6detail17trampoline_kernelINS0_14default_configENS1_38merge_sort_block_merge_config_selectorIlNS0_10empty_typeEEEZZNS1_27merge_sort_block_merge_implIS3_PlPS5_jNS1_19radix_merge_compareILb0ELb1ElNS0_19identity_decomposerEEEEE10hipError_tT0_T1_T2_jT3_P12ihipStream_tbPNSt15iterator_traitsISE_E10value_typeEPNSK_ISF_E10value_typeEPSG_NS1_7vsmem_tEENKUlT_SE_SF_SG_E_clIS8_S8_S9_S9_EESD_ST_SE_SF_SG_EUlST_E_NS1_11comp_targetILNS1_3genE5ELNS1_11target_archE942ELNS1_3gpuE9ELNS1_3repE0EEENS1_48merge_mergepath_partition_config_static_selectorELNS0_4arch9wavefront6targetE0EEEvSF_.has_recursion, 0
	.set _ZN7rocprim17ROCPRIM_400000_NS6detail17trampoline_kernelINS0_14default_configENS1_38merge_sort_block_merge_config_selectorIlNS0_10empty_typeEEEZZNS1_27merge_sort_block_merge_implIS3_PlPS5_jNS1_19radix_merge_compareILb0ELb1ElNS0_19identity_decomposerEEEEE10hipError_tT0_T1_T2_jT3_P12ihipStream_tbPNSt15iterator_traitsISE_E10value_typeEPNSK_ISF_E10value_typeEPSG_NS1_7vsmem_tEENKUlT_SE_SF_SG_E_clIS8_S8_S9_S9_EESD_ST_SE_SF_SG_EUlST_E_NS1_11comp_targetILNS1_3genE5ELNS1_11target_archE942ELNS1_3gpuE9ELNS1_3repE0EEENS1_48merge_mergepath_partition_config_static_selectorELNS0_4arch9wavefront6targetE0EEEvSF_.has_indirect_call, 0
	.section	.AMDGPU.csdata,"",@progbits
; Kernel info:
; codeLenInByte = 0
; TotalNumSgprs: 0
; NumVgprs: 0
; ScratchSize: 0
; MemoryBound: 0
; FloatMode: 240
; IeeeMode: 1
; LDSByteSize: 0 bytes/workgroup (compile time only)
; SGPRBlocks: 0
; VGPRBlocks: 0
; NumSGPRsForWavesPerEU: 1
; NumVGPRsForWavesPerEU: 1
; NamedBarCnt: 0
; Occupancy: 16
; WaveLimiterHint : 0
; COMPUTE_PGM_RSRC2:SCRATCH_EN: 0
; COMPUTE_PGM_RSRC2:USER_SGPR: 2
; COMPUTE_PGM_RSRC2:TRAP_HANDLER: 0
; COMPUTE_PGM_RSRC2:TGID_X_EN: 1
; COMPUTE_PGM_RSRC2:TGID_Y_EN: 0
; COMPUTE_PGM_RSRC2:TGID_Z_EN: 0
; COMPUTE_PGM_RSRC2:TIDIG_COMP_CNT: 0
	.section	.text._ZN7rocprim17ROCPRIM_400000_NS6detail17trampoline_kernelINS0_14default_configENS1_38merge_sort_block_merge_config_selectorIlNS0_10empty_typeEEEZZNS1_27merge_sort_block_merge_implIS3_PlPS5_jNS1_19radix_merge_compareILb0ELb1ElNS0_19identity_decomposerEEEEE10hipError_tT0_T1_T2_jT3_P12ihipStream_tbPNSt15iterator_traitsISE_E10value_typeEPNSK_ISF_E10value_typeEPSG_NS1_7vsmem_tEENKUlT_SE_SF_SG_E_clIS8_S8_S9_S9_EESD_ST_SE_SF_SG_EUlST_E_NS1_11comp_targetILNS1_3genE4ELNS1_11target_archE910ELNS1_3gpuE8ELNS1_3repE0EEENS1_48merge_mergepath_partition_config_static_selectorELNS0_4arch9wavefront6targetE0EEEvSF_,"axG",@progbits,_ZN7rocprim17ROCPRIM_400000_NS6detail17trampoline_kernelINS0_14default_configENS1_38merge_sort_block_merge_config_selectorIlNS0_10empty_typeEEEZZNS1_27merge_sort_block_merge_implIS3_PlPS5_jNS1_19radix_merge_compareILb0ELb1ElNS0_19identity_decomposerEEEEE10hipError_tT0_T1_T2_jT3_P12ihipStream_tbPNSt15iterator_traitsISE_E10value_typeEPNSK_ISF_E10value_typeEPSG_NS1_7vsmem_tEENKUlT_SE_SF_SG_E_clIS8_S8_S9_S9_EESD_ST_SE_SF_SG_EUlST_E_NS1_11comp_targetILNS1_3genE4ELNS1_11target_archE910ELNS1_3gpuE8ELNS1_3repE0EEENS1_48merge_mergepath_partition_config_static_selectorELNS0_4arch9wavefront6targetE0EEEvSF_,comdat
	.protected	_ZN7rocprim17ROCPRIM_400000_NS6detail17trampoline_kernelINS0_14default_configENS1_38merge_sort_block_merge_config_selectorIlNS0_10empty_typeEEEZZNS1_27merge_sort_block_merge_implIS3_PlPS5_jNS1_19radix_merge_compareILb0ELb1ElNS0_19identity_decomposerEEEEE10hipError_tT0_T1_T2_jT3_P12ihipStream_tbPNSt15iterator_traitsISE_E10value_typeEPNSK_ISF_E10value_typeEPSG_NS1_7vsmem_tEENKUlT_SE_SF_SG_E_clIS8_S8_S9_S9_EESD_ST_SE_SF_SG_EUlST_E_NS1_11comp_targetILNS1_3genE4ELNS1_11target_archE910ELNS1_3gpuE8ELNS1_3repE0EEENS1_48merge_mergepath_partition_config_static_selectorELNS0_4arch9wavefront6targetE0EEEvSF_ ; -- Begin function _ZN7rocprim17ROCPRIM_400000_NS6detail17trampoline_kernelINS0_14default_configENS1_38merge_sort_block_merge_config_selectorIlNS0_10empty_typeEEEZZNS1_27merge_sort_block_merge_implIS3_PlPS5_jNS1_19radix_merge_compareILb0ELb1ElNS0_19identity_decomposerEEEEE10hipError_tT0_T1_T2_jT3_P12ihipStream_tbPNSt15iterator_traitsISE_E10value_typeEPNSK_ISF_E10value_typeEPSG_NS1_7vsmem_tEENKUlT_SE_SF_SG_E_clIS8_S8_S9_S9_EESD_ST_SE_SF_SG_EUlST_E_NS1_11comp_targetILNS1_3genE4ELNS1_11target_archE910ELNS1_3gpuE8ELNS1_3repE0EEENS1_48merge_mergepath_partition_config_static_selectorELNS0_4arch9wavefront6targetE0EEEvSF_
	.globl	_ZN7rocprim17ROCPRIM_400000_NS6detail17trampoline_kernelINS0_14default_configENS1_38merge_sort_block_merge_config_selectorIlNS0_10empty_typeEEEZZNS1_27merge_sort_block_merge_implIS3_PlPS5_jNS1_19radix_merge_compareILb0ELb1ElNS0_19identity_decomposerEEEEE10hipError_tT0_T1_T2_jT3_P12ihipStream_tbPNSt15iterator_traitsISE_E10value_typeEPNSK_ISF_E10value_typeEPSG_NS1_7vsmem_tEENKUlT_SE_SF_SG_E_clIS8_S8_S9_S9_EESD_ST_SE_SF_SG_EUlST_E_NS1_11comp_targetILNS1_3genE4ELNS1_11target_archE910ELNS1_3gpuE8ELNS1_3repE0EEENS1_48merge_mergepath_partition_config_static_selectorELNS0_4arch9wavefront6targetE0EEEvSF_
	.p2align	8
	.type	_ZN7rocprim17ROCPRIM_400000_NS6detail17trampoline_kernelINS0_14default_configENS1_38merge_sort_block_merge_config_selectorIlNS0_10empty_typeEEEZZNS1_27merge_sort_block_merge_implIS3_PlPS5_jNS1_19radix_merge_compareILb0ELb1ElNS0_19identity_decomposerEEEEE10hipError_tT0_T1_T2_jT3_P12ihipStream_tbPNSt15iterator_traitsISE_E10value_typeEPNSK_ISF_E10value_typeEPSG_NS1_7vsmem_tEENKUlT_SE_SF_SG_E_clIS8_S8_S9_S9_EESD_ST_SE_SF_SG_EUlST_E_NS1_11comp_targetILNS1_3genE4ELNS1_11target_archE910ELNS1_3gpuE8ELNS1_3repE0EEENS1_48merge_mergepath_partition_config_static_selectorELNS0_4arch9wavefront6targetE0EEEvSF_,@function
_ZN7rocprim17ROCPRIM_400000_NS6detail17trampoline_kernelINS0_14default_configENS1_38merge_sort_block_merge_config_selectorIlNS0_10empty_typeEEEZZNS1_27merge_sort_block_merge_implIS3_PlPS5_jNS1_19radix_merge_compareILb0ELb1ElNS0_19identity_decomposerEEEEE10hipError_tT0_T1_T2_jT3_P12ihipStream_tbPNSt15iterator_traitsISE_E10value_typeEPNSK_ISF_E10value_typeEPSG_NS1_7vsmem_tEENKUlT_SE_SF_SG_E_clIS8_S8_S9_S9_EESD_ST_SE_SF_SG_EUlST_E_NS1_11comp_targetILNS1_3genE4ELNS1_11target_archE910ELNS1_3gpuE8ELNS1_3repE0EEENS1_48merge_mergepath_partition_config_static_selectorELNS0_4arch9wavefront6targetE0EEEvSF_: ; @_ZN7rocprim17ROCPRIM_400000_NS6detail17trampoline_kernelINS0_14default_configENS1_38merge_sort_block_merge_config_selectorIlNS0_10empty_typeEEEZZNS1_27merge_sort_block_merge_implIS3_PlPS5_jNS1_19radix_merge_compareILb0ELb1ElNS0_19identity_decomposerEEEEE10hipError_tT0_T1_T2_jT3_P12ihipStream_tbPNSt15iterator_traitsISE_E10value_typeEPNSK_ISF_E10value_typeEPSG_NS1_7vsmem_tEENKUlT_SE_SF_SG_E_clIS8_S8_S9_S9_EESD_ST_SE_SF_SG_EUlST_E_NS1_11comp_targetILNS1_3genE4ELNS1_11target_archE910ELNS1_3gpuE8ELNS1_3repE0EEENS1_48merge_mergepath_partition_config_static_selectorELNS0_4arch9wavefront6targetE0EEEvSF_
; %bb.0:
	.section	.rodata,"a",@progbits
	.p2align	6, 0x0
	.amdhsa_kernel _ZN7rocprim17ROCPRIM_400000_NS6detail17trampoline_kernelINS0_14default_configENS1_38merge_sort_block_merge_config_selectorIlNS0_10empty_typeEEEZZNS1_27merge_sort_block_merge_implIS3_PlPS5_jNS1_19radix_merge_compareILb0ELb1ElNS0_19identity_decomposerEEEEE10hipError_tT0_T1_T2_jT3_P12ihipStream_tbPNSt15iterator_traitsISE_E10value_typeEPNSK_ISF_E10value_typeEPSG_NS1_7vsmem_tEENKUlT_SE_SF_SG_E_clIS8_S8_S9_S9_EESD_ST_SE_SF_SG_EUlST_E_NS1_11comp_targetILNS1_3genE4ELNS1_11target_archE910ELNS1_3gpuE8ELNS1_3repE0EEENS1_48merge_mergepath_partition_config_static_selectorELNS0_4arch9wavefront6targetE0EEEvSF_
		.amdhsa_group_segment_fixed_size 0
		.amdhsa_private_segment_fixed_size 0
		.amdhsa_kernarg_size 40
		.amdhsa_user_sgpr_count 2
		.amdhsa_user_sgpr_dispatch_ptr 0
		.amdhsa_user_sgpr_queue_ptr 0
		.amdhsa_user_sgpr_kernarg_segment_ptr 1
		.amdhsa_user_sgpr_dispatch_id 0
		.amdhsa_user_sgpr_kernarg_preload_length 0
		.amdhsa_user_sgpr_kernarg_preload_offset 0
		.amdhsa_user_sgpr_private_segment_size 0
		.amdhsa_wavefront_size32 1
		.amdhsa_uses_dynamic_stack 0
		.amdhsa_enable_private_segment 0
		.amdhsa_system_sgpr_workgroup_id_x 1
		.amdhsa_system_sgpr_workgroup_id_y 0
		.amdhsa_system_sgpr_workgroup_id_z 0
		.amdhsa_system_sgpr_workgroup_info 0
		.amdhsa_system_vgpr_workitem_id 0
		.amdhsa_next_free_vgpr 1
		.amdhsa_next_free_sgpr 1
		.amdhsa_named_barrier_count 0
		.amdhsa_reserve_vcc 0
		.amdhsa_float_round_mode_32 0
		.amdhsa_float_round_mode_16_64 0
		.amdhsa_float_denorm_mode_32 3
		.amdhsa_float_denorm_mode_16_64 3
		.amdhsa_fp16_overflow 0
		.amdhsa_memory_ordered 1
		.amdhsa_forward_progress 1
		.amdhsa_inst_pref_size 0
		.amdhsa_round_robin_scheduling 0
		.amdhsa_exception_fp_ieee_invalid_op 0
		.amdhsa_exception_fp_denorm_src 0
		.amdhsa_exception_fp_ieee_div_zero 0
		.amdhsa_exception_fp_ieee_overflow 0
		.amdhsa_exception_fp_ieee_underflow 0
		.amdhsa_exception_fp_ieee_inexact 0
		.amdhsa_exception_int_div_zero 0
	.end_amdhsa_kernel
	.section	.text._ZN7rocprim17ROCPRIM_400000_NS6detail17trampoline_kernelINS0_14default_configENS1_38merge_sort_block_merge_config_selectorIlNS0_10empty_typeEEEZZNS1_27merge_sort_block_merge_implIS3_PlPS5_jNS1_19radix_merge_compareILb0ELb1ElNS0_19identity_decomposerEEEEE10hipError_tT0_T1_T2_jT3_P12ihipStream_tbPNSt15iterator_traitsISE_E10value_typeEPNSK_ISF_E10value_typeEPSG_NS1_7vsmem_tEENKUlT_SE_SF_SG_E_clIS8_S8_S9_S9_EESD_ST_SE_SF_SG_EUlST_E_NS1_11comp_targetILNS1_3genE4ELNS1_11target_archE910ELNS1_3gpuE8ELNS1_3repE0EEENS1_48merge_mergepath_partition_config_static_selectorELNS0_4arch9wavefront6targetE0EEEvSF_,"axG",@progbits,_ZN7rocprim17ROCPRIM_400000_NS6detail17trampoline_kernelINS0_14default_configENS1_38merge_sort_block_merge_config_selectorIlNS0_10empty_typeEEEZZNS1_27merge_sort_block_merge_implIS3_PlPS5_jNS1_19radix_merge_compareILb0ELb1ElNS0_19identity_decomposerEEEEE10hipError_tT0_T1_T2_jT3_P12ihipStream_tbPNSt15iterator_traitsISE_E10value_typeEPNSK_ISF_E10value_typeEPSG_NS1_7vsmem_tEENKUlT_SE_SF_SG_E_clIS8_S8_S9_S9_EESD_ST_SE_SF_SG_EUlST_E_NS1_11comp_targetILNS1_3genE4ELNS1_11target_archE910ELNS1_3gpuE8ELNS1_3repE0EEENS1_48merge_mergepath_partition_config_static_selectorELNS0_4arch9wavefront6targetE0EEEvSF_,comdat
.Lfunc_end1168:
	.size	_ZN7rocprim17ROCPRIM_400000_NS6detail17trampoline_kernelINS0_14default_configENS1_38merge_sort_block_merge_config_selectorIlNS0_10empty_typeEEEZZNS1_27merge_sort_block_merge_implIS3_PlPS5_jNS1_19radix_merge_compareILb0ELb1ElNS0_19identity_decomposerEEEEE10hipError_tT0_T1_T2_jT3_P12ihipStream_tbPNSt15iterator_traitsISE_E10value_typeEPNSK_ISF_E10value_typeEPSG_NS1_7vsmem_tEENKUlT_SE_SF_SG_E_clIS8_S8_S9_S9_EESD_ST_SE_SF_SG_EUlST_E_NS1_11comp_targetILNS1_3genE4ELNS1_11target_archE910ELNS1_3gpuE8ELNS1_3repE0EEENS1_48merge_mergepath_partition_config_static_selectorELNS0_4arch9wavefront6targetE0EEEvSF_, .Lfunc_end1168-_ZN7rocprim17ROCPRIM_400000_NS6detail17trampoline_kernelINS0_14default_configENS1_38merge_sort_block_merge_config_selectorIlNS0_10empty_typeEEEZZNS1_27merge_sort_block_merge_implIS3_PlPS5_jNS1_19radix_merge_compareILb0ELb1ElNS0_19identity_decomposerEEEEE10hipError_tT0_T1_T2_jT3_P12ihipStream_tbPNSt15iterator_traitsISE_E10value_typeEPNSK_ISF_E10value_typeEPSG_NS1_7vsmem_tEENKUlT_SE_SF_SG_E_clIS8_S8_S9_S9_EESD_ST_SE_SF_SG_EUlST_E_NS1_11comp_targetILNS1_3genE4ELNS1_11target_archE910ELNS1_3gpuE8ELNS1_3repE0EEENS1_48merge_mergepath_partition_config_static_selectorELNS0_4arch9wavefront6targetE0EEEvSF_
                                        ; -- End function
	.set _ZN7rocprim17ROCPRIM_400000_NS6detail17trampoline_kernelINS0_14default_configENS1_38merge_sort_block_merge_config_selectorIlNS0_10empty_typeEEEZZNS1_27merge_sort_block_merge_implIS3_PlPS5_jNS1_19radix_merge_compareILb0ELb1ElNS0_19identity_decomposerEEEEE10hipError_tT0_T1_T2_jT3_P12ihipStream_tbPNSt15iterator_traitsISE_E10value_typeEPNSK_ISF_E10value_typeEPSG_NS1_7vsmem_tEENKUlT_SE_SF_SG_E_clIS8_S8_S9_S9_EESD_ST_SE_SF_SG_EUlST_E_NS1_11comp_targetILNS1_3genE4ELNS1_11target_archE910ELNS1_3gpuE8ELNS1_3repE0EEENS1_48merge_mergepath_partition_config_static_selectorELNS0_4arch9wavefront6targetE0EEEvSF_.num_vgpr, 0
	.set _ZN7rocprim17ROCPRIM_400000_NS6detail17trampoline_kernelINS0_14default_configENS1_38merge_sort_block_merge_config_selectorIlNS0_10empty_typeEEEZZNS1_27merge_sort_block_merge_implIS3_PlPS5_jNS1_19radix_merge_compareILb0ELb1ElNS0_19identity_decomposerEEEEE10hipError_tT0_T1_T2_jT3_P12ihipStream_tbPNSt15iterator_traitsISE_E10value_typeEPNSK_ISF_E10value_typeEPSG_NS1_7vsmem_tEENKUlT_SE_SF_SG_E_clIS8_S8_S9_S9_EESD_ST_SE_SF_SG_EUlST_E_NS1_11comp_targetILNS1_3genE4ELNS1_11target_archE910ELNS1_3gpuE8ELNS1_3repE0EEENS1_48merge_mergepath_partition_config_static_selectorELNS0_4arch9wavefront6targetE0EEEvSF_.num_agpr, 0
	.set _ZN7rocprim17ROCPRIM_400000_NS6detail17trampoline_kernelINS0_14default_configENS1_38merge_sort_block_merge_config_selectorIlNS0_10empty_typeEEEZZNS1_27merge_sort_block_merge_implIS3_PlPS5_jNS1_19radix_merge_compareILb0ELb1ElNS0_19identity_decomposerEEEEE10hipError_tT0_T1_T2_jT3_P12ihipStream_tbPNSt15iterator_traitsISE_E10value_typeEPNSK_ISF_E10value_typeEPSG_NS1_7vsmem_tEENKUlT_SE_SF_SG_E_clIS8_S8_S9_S9_EESD_ST_SE_SF_SG_EUlST_E_NS1_11comp_targetILNS1_3genE4ELNS1_11target_archE910ELNS1_3gpuE8ELNS1_3repE0EEENS1_48merge_mergepath_partition_config_static_selectorELNS0_4arch9wavefront6targetE0EEEvSF_.numbered_sgpr, 0
	.set _ZN7rocprim17ROCPRIM_400000_NS6detail17trampoline_kernelINS0_14default_configENS1_38merge_sort_block_merge_config_selectorIlNS0_10empty_typeEEEZZNS1_27merge_sort_block_merge_implIS3_PlPS5_jNS1_19radix_merge_compareILb0ELb1ElNS0_19identity_decomposerEEEEE10hipError_tT0_T1_T2_jT3_P12ihipStream_tbPNSt15iterator_traitsISE_E10value_typeEPNSK_ISF_E10value_typeEPSG_NS1_7vsmem_tEENKUlT_SE_SF_SG_E_clIS8_S8_S9_S9_EESD_ST_SE_SF_SG_EUlST_E_NS1_11comp_targetILNS1_3genE4ELNS1_11target_archE910ELNS1_3gpuE8ELNS1_3repE0EEENS1_48merge_mergepath_partition_config_static_selectorELNS0_4arch9wavefront6targetE0EEEvSF_.num_named_barrier, 0
	.set _ZN7rocprim17ROCPRIM_400000_NS6detail17trampoline_kernelINS0_14default_configENS1_38merge_sort_block_merge_config_selectorIlNS0_10empty_typeEEEZZNS1_27merge_sort_block_merge_implIS3_PlPS5_jNS1_19radix_merge_compareILb0ELb1ElNS0_19identity_decomposerEEEEE10hipError_tT0_T1_T2_jT3_P12ihipStream_tbPNSt15iterator_traitsISE_E10value_typeEPNSK_ISF_E10value_typeEPSG_NS1_7vsmem_tEENKUlT_SE_SF_SG_E_clIS8_S8_S9_S9_EESD_ST_SE_SF_SG_EUlST_E_NS1_11comp_targetILNS1_3genE4ELNS1_11target_archE910ELNS1_3gpuE8ELNS1_3repE0EEENS1_48merge_mergepath_partition_config_static_selectorELNS0_4arch9wavefront6targetE0EEEvSF_.private_seg_size, 0
	.set _ZN7rocprim17ROCPRIM_400000_NS6detail17trampoline_kernelINS0_14default_configENS1_38merge_sort_block_merge_config_selectorIlNS0_10empty_typeEEEZZNS1_27merge_sort_block_merge_implIS3_PlPS5_jNS1_19radix_merge_compareILb0ELb1ElNS0_19identity_decomposerEEEEE10hipError_tT0_T1_T2_jT3_P12ihipStream_tbPNSt15iterator_traitsISE_E10value_typeEPNSK_ISF_E10value_typeEPSG_NS1_7vsmem_tEENKUlT_SE_SF_SG_E_clIS8_S8_S9_S9_EESD_ST_SE_SF_SG_EUlST_E_NS1_11comp_targetILNS1_3genE4ELNS1_11target_archE910ELNS1_3gpuE8ELNS1_3repE0EEENS1_48merge_mergepath_partition_config_static_selectorELNS0_4arch9wavefront6targetE0EEEvSF_.uses_vcc, 0
	.set _ZN7rocprim17ROCPRIM_400000_NS6detail17trampoline_kernelINS0_14default_configENS1_38merge_sort_block_merge_config_selectorIlNS0_10empty_typeEEEZZNS1_27merge_sort_block_merge_implIS3_PlPS5_jNS1_19radix_merge_compareILb0ELb1ElNS0_19identity_decomposerEEEEE10hipError_tT0_T1_T2_jT3_P12ihipStream_tbPNSt15iterator_traitsISE_E10value_typeEPNSK_ISF_E10value_typeEPSG_NS1_7vsmem_tEENKUlT_SE_SF_SG_E_clIS8_S8_S9_S9_EESD_ST_SE_SF_SG_EUlST_E_NS1_11comp_targetILNS1_3genE4ELNS1_11target_archE910ELNS1_3gpuE8ELNS1_3repE0EEENS1_48merge_mergepath_partition_config_static_selectorELNS0_4arch9wavefront6targetE0EEEvSF_.uses_flat_scratch, 0
	.set _ZN7rocprim17ROCPRIM_400000_NS6detail17trampoline_kernelINS0_14default_configENS1_38merge_sort_block_merge_config_selectorIlNS0_10empty_typeEEEZZNS1_27merge_sort_block_merge_implIS3_PlPS5_jNS1_19radix_merge_compareILb0ELb1ElNS0_19identity_decomposerEEEEE10hipError_tT0_T1_T2_jT3_P12ihipStream_tbPNSt15iterator_traitsISE_E10value_typeEPNSK_ISF_E10value_typeEPSG_NS1_7vsmem_tEENKUlT_SE_SF_SG_E_clIS8_S8_S9_S9_EESD_ST_SE_SF_SG_EUlST_E_NS1_11comp_targetILNS1_3genE4ELNS1_11target_archE910ELNS1_3gpuE8ELNS1_3repE0EEENS1_48merge_mergepath_partition_config_static_selectorELNS0_4arch9wavefront6targetE0EEEvSF_.has_dyn_sized_stack, 0
	.set _ZN7rocprim17ROCPRIM_400000_NS6detail17trampoline_kernelINS0_14default_configENS1_38merge_sort_block_merge_config_selectorIlNS0_10empty_typeEEEZZNS1_27merge_sort_block_merge_implIS3_PlPS5_jNS1_19radix_merge_compareILb0ELb1ElNS0_19identity_decomposerEEEEE10hipError_tT0_T1_T2_jT3_P12ihipStream_tbPNSt15iterator_traitsISE_E10value_typeEPNSK_ISF_E10value_typeEPSG_NS1_7vsmem_tEENKUlT_SE_SF_SG_E_clIS8_S8_S9_S9_EESD_ST_SE_SF_SG_EUlST_E_NS1_11comp_targetILNS1_3genE4ELNS1_11target_archE910ELNS1_3gpuE8ELNS1_3repE0EEENS1_48merge_mergepath_partition_config_static_selectorELNS0_4arch9wavefront6targetE0EEEvSF_.has_recursion, 0
	.set _ZN7rocprim17ROCPRIM_400000_NS6detail17trampoline_kernelINS0_14default_configENS1_38merge_sort_block_merge_config_selectorIlNS0_10empty_typeEEEZZNS1_27merge_sort_block_merge_implIS3_PlPS5_jNS1_19radix_merge_compareILb0ELb1ElNS0_19identity_decomposerEEEEE10hipError_tT0_T1_T2_jT3_P12ihipStream_tbPNSt15iterator_traitsISE_E10value_typeEPNSK_ISF_E10value_typeEPSG_NS1_7vsmem_tEENKUlT_SE_SF_SG_E_clIS8_S8_S9_S9_EESD_ST_SE_SF_SG_EUlST_E_NS1_11comp_targetILNS1_3genE4ELNS1_11target_archE910ELNS1_3gpuE8ELNS1_3repE0EEENS1_48merge_mergepath_partition_config_static_selectorELNS0_4arch9wavefront6targetE0EEEvSF_.has_indirect_call, 0
	.section	.AMDGPU.csdata,"",@progbits
; Kernel info:
; codeLenInByte = 0
; TotalNumSgprs: 0
; NumVgprs: 0
; ScratchSize: 0
; MemoryBound: 0
; FloatMode: 240
; IeeeMode: 1
; LDSByteSize: 0 bytes/workgroup (compile time only)
; SGPRBlocks: 0
; VGPRBlocks: 0
; NumSGPRsForWavesPerEU: 1
; NumVGPRsForWavesPerEU: 1
; NamedBarCnt: 0
; Occupancy: 16
; WaveLimiterHint : 0
; COMPUTE_PGM_RSRC2:SCRATCH_EN: 0
; COMPUTE_PGM_RSRC2:USER_SGPR: 2
; COMPUTE_PGM_RSRC2:TRAP_HANDLER: 0
; COMPUTE_PGM_RSRC2:TGID_X_EN: 1
; COMPUTE_PGM_RSRC2:TGID_Y_EN: 0
; COMPUTE_PGM_RSRC2:TGID_Z_EN: 0
; COMPUTE_PGM_RSRC2:TIDIG_COMP_CNT: 0
	.section	.text._ZN7rocprim17ROCPRIM_400000_NS6detail17trampoline_kernelINS0_14default_configENS1_38merge_sort_block_merge_config_selectorIlNS0_10empty_typeEEEZZNS1_27merge_sort_block_merge_implIS3_PlPS5_jNS1_19radix_merge_compareILb0ELb1ElNS0_19identity_decomposerEEEEE10hipError_tT0_T1_T2_jT3_P12ihipStream_tbPNSt15iterator_traitsISE_E10value_typeEPNSK_ISF_E10value_typeEPSG_NS1_7vsmem_tEENKUlT_SE_SF_SG_E_clIS8_S8_S9_S9_EESD_ST_SE_SF_SG_EUlST_E_NS1_11comp_targetILNS1_3genE3ELNS1_11target_archE908ELNS1_3gpuE7ELNS1_3repE0EEENS1_48merge_mergepath_partition_config_static_selectorELNS0_4arch9wavefront6targetE0EEEvSF_,"axG",@progbits,_ZN7rocprim17ROCPRIM_400000_NS6detail17trampoline_kernelINS0_14default_configENS1_38merge_sort_block_merge_config_selectorIlNS0_10empty_typeEEEZZNS1_27merge_sort_block_merge_implIS3_PlPS5_jNS1_19radix_merge_compareILb0ELb1ElNS0_19identity_decomposerEEEEE10hipError_tT0_T1_T2_jT3_P12ihipStream_tbPNSt15iterator_traitsISE_E10value_typeEPNSK_ISF_E10value_typeEPSG_NS1_7vsmem_tEENKUlT_SE_SF_SG_E_clIS8_S8_S9_S9_EESD_ST_SE_SF_SG_EUlST_E_NS1_11comp_targetILNS1_3genE3ELNS1_11target_archE908ELNS1_3gpuE7ELNS1_3repE0EEENS1_48merge_mergepath_partition_config_static_selectorELNS0_4arch9wavefront6targetE0EEEvSF_,comdat
	.protected	_ZN7rocprim17ROCPRIM_400000_NS6detail17trampoline_kernelINS0_14default_configENS1_38merge_sort_block_merge_config_selectorIlNS0_10empty_typeEEEZZNS1_27merge_sort_block_merge_implIS3_PlPS5_jNS1_19radix_merge_compareILb0ELb1ElNS0_19identity_decomposerEEEEE10hipError_tT0_T1_T2_jT3_P12ihipStream_tbPNSt15iterator_traitsISE_E10value_typeEPNSK_ISF_E10value_typeEPSG_NS1_7vsmem_tEENKUlT_SE_SF_SG_E_clIS8_S8_S9_S9_EESD_ST_SE_SF_SG_EUlST_E_NS1_11comp_targetILNS1_3genE3ELNS1_11target_archE908ELNS1_3gpuE7ELNS1_3repE0EEENS1_48merge_mergepath_partition_config_static_selectorELNS0_4arch9wavefront6targetE0EEEvSF_ ; -- Begin function _ZN7rocprim17ROCPRIM_400000_NS6detail17trampoline_kernelINS0_14default_configENS1_38merge_sort_block_merge_config_selectorIlNS0_10empty_typeEEEZZNS1_27merge_sort_block_merge_implIS3_PlPS5_jNS1_19radix_merge_compareILb0ELb1ElNS0_19identity_decomposerEEEEE10hipError_tT0_T1_T2_jT3_P12ihipStream_tbPNSt15iterator_traitsISE_E10value_typeEPNSK_ISF_E10value_typeEPSG_NS1_7vsmem_tEENKUlT_SE_SF_SG_E_clIS8_S8_S9_S9_EESD_ST_SE_SF_SG_EUlST_E_NS1_11comp_targetILNS1_3genE3ELNS1_11target_archE908ELNS1_3gpuE7ELNS1_3repE0EEENS1_48merge_mergepath_partition_config_static_selectorELNS0_4arch9wavefront6targetE0EEEvSF_
	.globl	_ZN7rocprim17ROCPRIM_400000_NS6detail17trampoline_kernelINS0_14default_configENS1_38merge_sort_block_merge_config_selectorIlNS0_10empty_typeEEEZZNS1_27merge_sort_block_merge_implIS3_PlPS5_jNS1_19radix_merge_compareILb0ELb1ElNS0_19identity_decomposerEEEEE10hipError_tT0_T1_T2_jT3_P12ihipStream_tbPNSt15iterator_traitsISE_E10value_typeEPNSK_ISF_E10value_typeEPSG_NS1_7vsmem_tEENKUlT_SE_SF_SG_E_clIS8_S8_S9_S9_EESD_ST_SE_SF_SG_EUlST_E_NS1_11comp_targetILNS1_3genE3ELNS1_11target_archE908ELNS1_3gpuE7ELNS1_3repE0EEENS1_48merge_mergepath_partition_config_static_selectorELNS0_4arch9wavefront6targetE0EEEvSF_
	.p2align	8
	.type	_ZN7rocprim17ROCPRIM_400000_NS6detail17trampoline_kernelINS0_14default_configENS1_38merge_sort_block_merge_config_selectorIlNS0_10empty_typeEEEZZNS1_27merge_sort_block_merge_implIS3_PlPS5_jNS1_19radix_merge_compareILb0ELb1ElNS0_19identity_decomposerEEEEE10hipError_tT0_T1_T2_jT3_P12ihipStream_tbPNSt15iterator_traitsISE_E10value_typeEPNSK_ISF_E10value_typeEPSG_NS1_7vsmem_tEENKUlT_SE_SF_SG_E_clIS8_S8_S9_S9_EESD_ST_SE_SF_SG_EUlST_E_NS1_11comp_targetILNS1_3genE3ELNS1_11target_archE908ELNS1_3gpuE7ELNS1_3repE0EEENS1_48merge_mergepath_partition_config_static_selectorELNS0_4arch9wavefront6targetE0EEEvSF_,@function
_ZN7rocprim17ROCPRIM_400000_NS6detail17trampoline_kernelINS0_14default_configENS1_38merge_sort_block_merge_config_selectorIlNS0_10empty_typeEEEZZNS1_27merge_sort_block_merge_implIS3_PlPS5_jNS1_19radix_merge_compareILb0ELb1ElNS0_19identity_decomposerEEEEE10hipError_tT0_T1_T2_jT3_P12ihipStream_tbPNSt15iterator_traitsISE_E10value_typeEPNSK_ISF_E10value_typeEPSG_NS1_7vsmem_tEENKUlT_SE_SF_SG_E_clIS8_S8_S9_S9_EESD_ST_SE_SF_SG_EUlST_E_NS1_11comp_targetILNS1_3genE3ELNS1_11target_archE908ELNS1_3gpuE7ELNS1_3repE0EEENS1_48merge_mergepath_partition_config_static_selectorELNS0_4arch9wavefront6targetE0EEEvSF_: ; @_ZN7rocprim17ROCPRIM_400000_NS6detail17trampoline_kernelINS0_14default_configENS1_38merge_sort_block_merge_config_selectorIlNS0_10empty_typeEEEZZNS1_27merge_sort_block_merge_implIS3_PlPS5_jNS1_19radix_merge_compareILb0ELb1ElNS0_19identity_decomposerEEEEE10hipError_tT0_T1_T2_jT3_P12ihipStream_tbPNSt15iterator_traitsISE_E10value_typeEPNSK_ISF_E10value_typeEPSG_NS1_7vsmem_tEENKUlT_SE_SF_SG_E_clIS8_S8_S9_S9_EESD_ST_SE_SF_SG_EUlST_E_NS1_11comp_targetILNS1_3genE3ELNS1_11target_archE908ELNS1_3gpuE7ELNS1_3repE0EEENS1_48merge_mergepath_partition_config_static_selectorELNS0_4arch9wavefront6targetE0EEEvSF_
; %bb.0:
	.section	.rodata,"a",@progbits
	.p2align	6, 0x0
	.amdhsa_kernel _ZN7rocprim17ROCPRIM_400000_NS6detail17trampoline_kernelINS0_14default_configENS1_38merge_sort_block_merge_config_selectorIlNS0_10empty_typeEEEZZNS1_27merge_sort_block_merge_implIS3_PlPS5_jNS1_19radix_merge_compareILb0ELb1ElNS0_19identity_decomposerEEEEE10hipError_tT0_T1_T2_jT3_P12ihipStream_tbPNSt15iterator_traitsISE_E10value_typeEPNSK_ISF_E10value_typeEPSG_NS1_7vsmem_tEENKUlT_SE_SF_SG_E_clIS8_S8_S9_S9_EESD_ST_SE_SF_SG_EUlST_E_NS1_11comp_targetILNS1_3genE3ELNS1_11target_archE908ELNS1_3gpuE7ELNS1_3repE0EEENS1_48merge_mergepath_partition_config_static_selectorELNS0_4arch9wavefront6targetE0EEEvSF_
		.amdhsa_group_segment_fixed_size 0
		.amdhsa_private_segment_fixed_size 0
		.amdhsa_kernarg_size 40
		.amdhsa_user_sgpr_count 2
		.amdhsa_user_sgpr_dispatch_ptr 0
		.amdhsa_user_sgpr_queue_ptr 0
		.amdhsa_user_sgpr_kernarg_segment_ptr 1
		.amdhsa_user_sgpr_dispatch_id 0
		.amdhsa_user_sgpr_kernarg_preload_length 0
		.amdhsa_user_sgpr_kernarg_preload_offset 0
		.amdhsa_user_sgpr_private_segment_size 0
		.amdhsa_wavefront_size32 1
		.amdhsa_uses_dynamic_stack 0
		.amdhsa_enable_private_segment 0
		.amdhsa_system_sgpr_workgroup_id_x 1
		.amdhsa_system_sgpr_workgroup_id_y 0
		.amdhsa_system_sgpr_workgroup_id_z 0
		.amdhsa_system_sgpr_workgroup_info 0
		.amdhsa_system_vgpr_workitem_id 0
		.amdhsa_next_free_vgpr 1
		.amdhsa_next_free_sgpr 1
		.amdhsa_named_barrier_count 0
		.amdhsa_reserve_vcc 0
		.amdhsa_float_round_mode_32 0
		.amdhsa_float_round_mode_16_64 0
		.amdhsa_float_denorm_mode_32 3
		.amdhsa_float_denorm_mode_16_64 3
		.amdhsa_fp16_overflow 0
		.amdhsa_memory_ordered 1
		.amdhsa_forward_progress 1
		.amdhsa_inst_pref_size 0
		.amdhsa_round_robin_scheduling 0
		.amdhsa_exception_fp_ieee_invalid_op 0
		.amdhsa_exception_fp_denorm_src 0
		.amdhsa_exception_fp_ieee_div_zero 0
		.amdhsa_exception_fp_ieee_overflow 0
		.amdhsa_exception_fp_ieee_underflow 0
		.amdhsa_exception_fp_ieee_inexact 0
		.amdhsa_exception_int_div_zero 0
	.end_amdhsa_kernel
	.section	.text._ZN7rocprim17ROCPRIM_400000_NS6detail17trampoline_kernelINS0_14default_configENS1_38merge_sort_block_merge_config_selectorIlNS0_10empty_typeEEEZZNS1_27merge_sort_block_merge_implIS3_PlPS5_jNS1_19radix_merge_compareILb0ELb1ElNS0_19identity_decomposerEEEEE10hipError_tT0_T1_T2_jT3_P12ihipStream_tbPNSt15iterator_traitsISE_E10value_typeEPNSK_ISF_E10value_typeEPSG_NS1_7vsmem_tEENKUlT_SE_SF_SG_E_clIS8_S8_S9_S9_EESD_ST_SE_SF_SG_EUlST_E_NS1_11comp_targetILNS1_3genE3ELNS1_11target_archE908ELNS1_3gpuE7ELNS1_3repE0EEENS1_48merge_mergepath_partition_config_static_selectorELNS0_4arch9wavefront6targetE0EEEvSF_,"axG",@progbits,_ZN7rocprim17ROCPRIM_400000_NS6detail17trampoline_kernelINS0_14default_configENS1_38merge_sort_block_merge_config_selectorIlNS0_10empty_typeEEEZZNS1_27merge_sort_block_merge_implIS3_PlPS5_jNS1_19radix_merge_compareILb0ELb1ElNS0_19identity_decomposerEEEEE10hipError_tT0_T1_T2_jT3_P12ihipStream_tbPNSt15iterator_traitsISE_E10value_typeEPNSK_ISF_E10value_typeEPSG_NS1_7vsmem_tEENKUlT_SE_SF_SG_E_clIS8_S8_S9_S9_EESD_ST_SE_SF_SG_EUlST_E_NS1_11comp_targetILNS1_3genE3ELNS1_11target_archE908ELNS1_3gpuE7ELNS1_3repE0EEENS1_48merge_mergepath_partition_config_static_selectorELNS0_4arch9wavefront6targetE0EEEvSF_,comdat
.Lfunc_end1169:
	.size	_ZN7rocprim17ROCPRIM_400000_NS6detail17trampoline_kernelINS0_14default_configENS1_38merge_sort_block_merge_config_selectorIlNS0_10empty_typeEEEZZNS1_27merge_sort_block_merge_implIS3_PlPS5_jNS1_19radix_merge_compareILb0ELb1ElNS0_19identity_decomposerEEEEE10hipError_tT0_T1_T2_jT3_P12ihipStream_tbPNSt15iterator_traitsISE_E10value_typeEPNSK_ISF_E10value_typeEPSG_NS1_7vsmem_tEENKUlT_SE_SF_SG_E_clIS8_S8_S9_S9_EESD_ST_SE_SF_SG_EUlST_E_NS1_11comp_targetILNS1_3genE3ELNS1_11target_archE908ELNS1_3gpuE7ELNS1_3repE0EEENS1_48merge_mergepath_partition_config_static_selectorELNS0_4arch9wavefront6targetE0EEEvSF_, .Lfunc_end1169-_ZN7rocprim17ROCPRIM_400000_NS6detail17trampoline_kernelINS0_14default_configENS1_38merge_sort_block_merge_config_selectorIlNS0_10empty_typeEEEZZNS1_27merge_sort_block_merge_implIS3_PlPS5_jNS1_19radix_merge_compareILb0ELb1ElNS0_19identity_decomposerEEEEE10hipError_tT0_T1_T2_jT3_P12ihipStream_tbPNSt15iterator_traitsISE_E10value_typeEPNSK_ISF_E10value_typeEPSG_NS1_7vsmem_tEENKUlT_SE_SF_SG_E_clIS8_S8_S9_S9_EESD_ST_SE_SF_SG_EUlST_E_NS1_11comp_targetILNS1_3genE3ELNS1_11target_archE908ELNS1_3gpuE7ELNS1_3repE0EEENS1_48merge_mergepath_partition_config_static_selectorELNS0_4arch9wavefront6targetE0EEEvSF_
                                        ; -- End function
	.set _ZN7rocprim17ROCPRIM_400000_NS6detail17trampoline_kernelINS0_14default_configENS1_38merge_sort_block_merge_config_selectorIlNS0_10empty_typeEEEZZNS1_27merge_sort_block_merge_implIS3_PlPS5_jNS1_19radix_merge_compareILb0ELb1ElNS0_19identity_decomposerEEEEE10hipError_tT0_T1_T2_jT3_P12ihipStream_tbPNSt15iterator_traitsISE_E10value_typeEPNSK_ISF_E10value_typeEPSG_NS1_7vsmem_tEENKUlT_SE_SF_SG_E_clIS8_S8_S9_S9_EESD_ST_SE_SF_SG_EUlST_E_NS1_11comp_targetILNS1_3genE3ELNS1_11target_archE908ELNS1_3gpuE7ELNS1_3repE0EEENS1_48merge_mergepath_partition_config_static_selectorELNS0_4arch9wavefront6targetE0EEEvSF_.num_vgpr, 0
	.set _ZN7rocprim17ROCPRIM_400000_NS6detail17trampoline_kernelINS0_14default_configENS1_38merge_sort_block_merge_config_selectorIlNS0_10empty_typeEEEZZNS1_27merge_sort_block_merge_implIS3_PlPS5_jNS1_19radix_merge_compareILb0ELb1ElNS0_19identity_decomposerEEEEE10hipError_tT0_T1_T2_jT3_P12ihipStream_tbPNSt15iterator_traitsISE_E10value_typeEPNSK_ISF_E10value_typeEPSG_NS1_7vsmem_tEENKUlT_SE_SF_SG_E_clIS8_S8_S9_S9_EESD_ST_SE_SF_SG_EUlST_E_NS1_11comp_targetILNS1_3genE3ELNS1_11target_archE908ELNS1_3gpuE7ELNS1_3repE0EEENS1_48merge_mergepath_partition_config_static_selectorELNS0_4arch9wavefront6targetE0EEEvSF_.num_agpr, 0
	.set _ZN7rocprim17ROCPRIM_400000_NS6detail17trampoline_kernelINS0_14default_configENS1_38merge_sort_block_merge_config_selectorIlNS0_10empty_typeEEEZZNS1_27merge_sort_block_merge_implIS3_PlPS5_jNS1_19radix_merge_compareILb0ELb1ElNS0_19identity_decomposerEEEEE10hipError_tT0_T1_T2_jT3_P12ihipStream_tbPNSt15iterator_traitsISE_E10value_typeEPNSK_ISF_E10value_typeEPSG_NS1_7vsmem_tEENKUlT_SE_SF_SG_E_clIS8_S8_S9_S9_EESD_ST_SE_SF_SG_EUlST_E_NS1_11comp_targetILNS1_3genE3ELNS1_11target_archE908ELNS1_3gpuE7ELNS1_3repE0EEENS1_48merge_mergepath_partition_config_static_selectorELNS0_4arch9wavefront6targetE0EEEvSF_.numbered_sgpr, 0
	.set _ZN7rocprim17ROCPRIM_400000_NS6detail17trampoline_kernelINS0_14default_configENS1_38merge_sort_block_merge_config_selectorIlNS0_10empty_typeEEEZZNS1_27merge_sort_block_merge_implIS3_PlPS5_jNS1_19radix_merge_compareILb0ELb1ElNS0_19identity_decomposerEEEEE10hipError_tT0_T1_T2_jT3_P12ihipStream_tbPNSt15iterator_traitsISE_E10value_typeEPNSK_ISF_E10value_typeEPSG_NS1_7vsmem_tEENKUlT_SE_SF_SG_E_clIS8_S8_S9_S9_EESD_ST_SE_SF_SG_EUlST_E_NS1_11comp_targetILNS1_3genE3ELNS1_11target_archE908ELNS1_3gpuE7ELNS1_3repE0EEENS1_48merge_mergepath_partition_config_static_selectorELNS0_4arch9wavefront6targetE0EEEvSF_.num_named_barrier, 0
	.set _ZN7rocprim17ROCPRIM_400000_NS6detail17trampoline_kernelINS0_14default_configENS1_38merge_sort_block_merge_config_selectorIlNS0_10empty_typeEEEZZNS1_27merge_sort_block_merge_implIS3_PlPS5_jNS1_19radix_merge_compareILb0ELb1ElNS0_19identity_decomposerEEEEE10hipError_tT0_T1_T2_jT3_P12ihipStream_tbPNSt15iterator_traitsISE_E10value_typeEPNSK_ISF_E10value_typeEPSG_NS1_7vsmem_tEENKUlT_SE_SF_SG_E_clIS8_S8_S9_S9_EESD_ST_SE_SF_SG_EUlST_E_NS1_11comp_targetILNS1_3genE3ELNS1_11target_archE908ELNS1_3gpuE7ELNS1_3repE0EEENS1_48merge_mergepath_partition_config_static_selectorELNS0_4arch9wavefront6targetE0EEEvSF_.private_seg_size, 0
	.set _ZN7rocprim17ROCPRIM_400000_NS6detail17trampoline_kernelINS0_14default_configENS1_38merge_sort_block_merge_config_selectorIlNS0_10empty_typeEEEZZNS1_27merge_sort_block_merge_implIS3_PlPS5_jNS1_19radix_merge_compareILb0ELb1ElNS0_19identity_decomposerEEEEE10hipError_tT0_T1_T2_jT3_P12ihipStream_tbPNSt15iterator_traitsISE_E10value_typeEPNSK_ISF_E10value_typeEPSG_NS1_7vsmem_tEENKUlT_SE_SF_SG_E_clIS8_S8_S9_S9_EESD_ST_SE_SF_SG_EUlST_E_NS1_11comp_targetILNS1_3genE3ELNS1_11target_archE908ELNS1_3gpuE7ELNS1_3repE0EEENS1_48merge_mergepath_partition_config_static_selectorELNS0_4arch9wavefront6targetE0EEEvSF_.uses_vcc, 0
	.set _ZN7rocprim17ROCPRIM_400000_NS6detail17trampoline_kernelINS0_14default_configENS1_38merge_sort_block_merge_config_selectorIlNS0_10empty_typeEEEZZNS1_27merge_sort_block_merge_implIS3_PlPS5_jNS1_19radix_merge_compareILb0ELb1ElNS0_19identity_decomposerEEEEE10hipError_tT0_T1_T2_jT3_P12ihipStream_tbPNSt15iterator_traitsISE_E10value_typeEPNSK_ISF_E10value_typeEPSG_NS1_7vsmem_tEENKUlT_SE_SF_SG_E_clIS8_S8_S9_S9_EESD_ST_SE_SF_SG_EUlST_E_NS1_11comp_targetILNS1_3genE3ELNS1_11target_archE908ELNS1_3gpuE7ELNS1_3repE0EEENS1_48merge_mergepath_partition_config_static_selectorELNS0_4arch9wavefront6targetE0EEEvSF_.uses_flat_scratch, 0
	.set _ZN7rocprim17ROCPRIM_400000_NS6detail17trampoline_kernelINS0_14default_configENS1_38merge_sort_block_merge_config_selectorIlNS0_10empty_typeEEEZZNS1_27merge_sort_block_merge_implIS3_PlPS5_jNS1_19radix_merge_compareILb0ELb1ElNS0_19identity_decomposerEEEEE10hipError_tT0_T1_T2_jT3_P12ihipStream_tbPNSt15iterator_traitsISE_E10value_typeEPNSK_ISF_E10value_typeEPSG_NS1_7vsmem_tEENKUlT_SE_SF_SG_E_clIS8_S8_S9_S9_EESD_ST_SE_SF_SG_EUlST_E_NS1_11comp_targetILNS1_3genE3ELNS1_11target_archE908ELNS1_3gpuE7ELNS1_3repE0EEENS1_48merge_mergepath_partition_config_static_selectorELNS0_4arch9wavefront6targetE0EEEvSF_.has_dyn_sized_stack, 0
	.set _ZN7rocprim17ROCPRIM_400000_NS6detail17trampoline_kernelINS0_14default_configENS1_38merge_sort_block_merge_config_selectorIlNS0_10empty_typeEEEZZNS1_27merge_sort_block_merge_implIS3_PlPS5_jNS1_19radix_merge_compareILb0ELb1ElNS0_19identity_decomposerEEEEE10hipError_tT0_T1_T2_jT3_P12ihipStream_tbPNSt15iterator_traitsISE_E10value_typeEPNSK_ISF_E10value_typeEPSG_NS1_7vsmem_tEENKUlT_SE_SF_SG_E_clIS8_S8_S9_S9_EESD_ST_SE_SF_SG_EUlST_E_NS1_11comp_targetILNS1_3genE3ELNS1_11target_archE908ELNS1_3gpuE7ELNS1_3repE0EEENS1_48merge_mergepath_partition_config_static_selectorELNS0_4arch9wavefront6targetE0EEEvSF_.has_recursion, 0
	.set _ZN7rocprim17ROCPRIM_400000_NS6detail17trampoline_kernelINS0_14default_configENS1_38merge_sort_block_merge_config_selectorIlNS0_10empty_typeEEEZZNS1_27merge_sort_block_merge_implIS3_PlPS5_jNS1_19radix_merge_compareILb0ELb1ElNS0_19identity_decomposerEEEEE10hipError_tT0_T1_T2_jT3_P12ihipStream_tbPNSt15iterator_traitsISE_E10value_typeEPNSK_ISF_E10value_typeEPSG_NS1_7vsmem_tEENKUlT_SE_SF_SG_E_clIS8_S8_S9_S9_EESD_ST_SE_SF_SG_EUlST_E_NS1_11comp_targetILNS1_3genE3ELNS1_11target_archE908ELNS1_3gpuE7ELNS1_3repE0EEENS1_48merge_mergepath_partition_config_static_selectorELNS0_4arch9wavefront6targetE0EEEvSF_.has_indirect_call, 0
	.section	.AMDGPU.csdata,"",@progbits
; Kernel info:
; codeLenInByte = 0
; TotalNumSgprs: 0
; NumVgprs: 0
; ScratchSize: 0
; MemoryBound: 0
; FloatMode: 240
; IeeeMode: 1
; LDSByteSize: 0 bytes/workgroup (compile time only)
; SGPRBlocks: 0
; VGPRBlocks: 0
; NumSGPRsForWavesPerEU: 1
; NumVGPRsForWavesPerEU: 1
; NamedBarCnt: 0
; Occupancy: 16
; WaveLimiterHint : 0
; COMPUTE_PGM_RSRC2:SCRATCH_EN: 0
; COMPUTE_PGM_RSRC2:USER_SGPR: 2
; COMPUTE_PGM_RSRC2:TRAP_HANDLER: 0
; COMPUTE_PGM_RSRC2:TGID_X_EN: 1
; COMPUTE_PGM_RSRC2:TGID_Y_EN: 0
; COMPUTE_PGM_RSRC2:TGID_Z_EN: 0
; COMPUTE_PGM_RSRC2:TIDIG_COMP_CNT: 0
	.section	.text._ZN7rocprim17ROCPRIM_400000_NS6detail17trampoline_kernelINS0_14default_configENS1_38merge_sort_block_merge_config_selectorIlNS0_10empty_typeEEEZZNS1_27merge_sort_block_merge_implIS3_PlPS5_jNS1_19radix_merge_compareILb0ELb1ElNS0_19identity_decomposerEEEEE10hipError_tT0_T1_T2_jT3_P12ihipStream_tbPNSt15iterator_traitsISE_E10value_typeEPNSK_ISF_E10value_typeEPSG_NS1_7vsmem_tEENKUlT_SE_SF_SG_E_clIS8_S8_S9_S9_EESD_ST_SE_SF_SG_EUlST_E_NS1_11comp_targetILNS1_3genE2ELNS1_11target_archE906ELNS1_3gpuE6ELNS1_3repE0EEENS1_48merge_mergepath_partition_config_static_selectorELNS0_4arch9wavefront6targetE0EEEvSF_,"axG",@progbits,_ZN7rocprim17ROCPRIM_400000_NS6detail17trampoline_kernelINS0_14default_configENS1_38merge_sort_block_merge_config_selectorIlNS0_10empty_typeEEEZZNS1_27merge_sort_block_merge_implIS3_PlPS5_jNS1_19radix_merge_compareILb0ELb1ElNS0_19identity_decomposerEEEEE10hipError_tT0_T1_T2_jT3_P12ihipStream_tbPNSt15iterator_traitsISE_E10value_typeEPNSK_ISF_E10value_typeEPSG_NS1_7vsmem_tEENKUlT_SE_SF_SG_E_clIS8_S8_S9_S9_EESD_ST_SE_SF_SG_EUlST_E_NS1_11comp_targetILNS1_3genE2ELNS1_11target_archE906ELNS1_3gpuE6ELNS1_3repE0EEENS1_48merge_mergepath_partition_config_static_selectorELNS0_4arch9wavefront6targetE0EEEvSF_,comdat
	.protected	_ZN7rocprim17ROCPRIM_400000_NS6detail17trampoline_kernelINS0_14default_configENS1_38merge_sort_block_merge_config_selectorIlNS0_10empty_typeEEEZZNS1_27merge_sort_block_merge_implIS3_PlPS5_jNS1_19radix_merge_compareILb0ELb1ElNS0_19identity_decomposerEEEEE10hipError_tT0_T1_T2_jT3_P12ihipStream_tbPNSt15iterator_traitsISE_E10value_typeEPNSK_ISF_E10value_typeEPSG_NS1_7vsmem_tEENKUlT_SE_SF_SG_E_clIS8_S8_S9_S9_EESD_ST_SE_SF_SG_EUlST_E_NS1_11comp_targetILNS1_3genE2ELNS1_11target_archE906ELNS1_3gpuE6ELNS1_3repE0EEENS1_48merge_mergepath_partition_config_static_selectorELNS0_4arch9wavefront6targetE0EEEvSF_ ; -- Begin function _ZN7rocprim17ROCPRIM_400000_NS6detail17trampoline_kernelINS0_14default_configENS1_38merge_sort_block_merge_config_selectorIlNS0_10empty_typeEEEZZNS1_27merge_sort_block_merge_implIS3_PlPS5_jNS1_19radix_merge_compareILb0ELb1ElNS0_19identity_decomposerEEEEE10hipError_tT0_T1_T2_jT3_P12ihipStream_tbPNSt15iterator_traitsISE_E10value_typeEPNSK_ISF_E10value_typeEPSG_NS1_7vsmem_tEENKUlT_SE_SF_SG_E_clIS8_S8_S9_S9_EESD_ST_SE_SF_SG_EUlST_E_NS1_11comp_targetILNS1_3genE2ELNS1_11target_archE906ELNS1_3gpuE6ELNS1_3repE0EEENS1_48merge_mergepath_partition_config_static_selectorELNS0_4arch9wavefront6targetE0EEEvSF_
	.globl	_ZN7rocprim17ROCPRIM_400000_NS6detail17trampoline_kernelINS0_14default_configENS1_38merge_sort_block_merge_config_selectorIlNS0_10empty_typeEEEZZNS1_27merge_sort_block_merge_implIS3_PlPS5_jNS1_19radix_merge_compareILb0ELb1ElNS0_19identity_decomposerEEEEE10hipError_tT0_T1_T2_jT3_P12ihipStream_tbPNSt15iterator_traitsISE_E10value_typeEPNSK_ISF_E10value_typeEPSG_NS1_7vsmem_tEENKUlT_SE_SF_SG_E_clIS8_S8_S9_S9_EESD_ST_SE_SF_SG_EUlST_E_NS1_11comp_targetILNS1_3genE2ELNS1_11target_archE906ELNS1_3gpuE6ELNS1_3repE0EEENS1_48merge_mergepath_partition_config_static_selectorELNS0_4arch9wavefront6targetE0EEEvSF_
	.p2align	8
	.type	_ZN7rocprim17ROCPRIM_400000_NS6detail17trampoline_kernelINS0_14default_configENS1_38merge_sort_block_merge_config_selectorIlNS0_10empty_typeEEEZZNS1_27merge_sort_block_merge_implIS3_PlPS5_jNS1_19radix_merge_compareILb0ELb1ElNS0_19identity_decomposerEEEEE10hipError_tT0_T1_T2_jT3_P12ihipStream_tbPNSt15iterator_traitsISE_E10value_typeEPNSK_ISF_E10value_typeEPSG_NS1_7vsmem_tEENKUlT_SE_SF_SG_E_clIS8_S8_S9_S9_EESD_ST_SE_SF_SG_EUlST_E_NS1_11comp_targetILNS1_3genE2ELNS1_11target_archE906ELNS1_3gpuE6ELNS1_3repE0EEENS1_48merge_mergepath_partition_config_static_selectorELNS0_4arch9wavefront6targetE0EEEvSF_,@function
_ZN7rocprim17ROCPRIM_400000_NS6detail17trampoline_kernelINS0_14default_configENS1_38merge_sort_block_merge_config_selectorIlNS0_10empty_typeEEEZZNS1_27merge_sort_block_merge_implIS3_PlPS5_jNS1_19radix_merge_compareILb0ELb1ElNS0_19identity_decomposerEEEEE10hipError_tT0_T1_T2_jT3_P12ihipStream_tbPNSt15iterator_traitsISE_E10value_typeEPNSK_ISF_E10value_typeEPSG_NS1_7vsmem_tEENKUlT_SE_SF_SG_E_clIS8_S8_S9_S9_EESD_ST_SE_SF_SG_EUlST_E_NS1_11comp_targetILNS1_3genE2ELNS1_11target_archE906ELNS1_3gpuE6ELNS1_3repE0EEENS1_48merge_mergepath_partition_config_static_selectorELNS0_4arch9wavefront6targetE0EEEvSF_: ; @_ZN7rocprim17ROCPRIM_400000_NS6detail17trampoline_kernelINS0_14default_configENS1_38merge_sort_block_merge_config_selectorIlNS0_10empty_typeEEEZZNS1_27merge_sort_block_merge_implIS3_PlPS5_jNS1_19radix_merge_compareILb0ELb1ElNS0_19identity_decomposerEEEEE10hipError_tT0_T1_T2_jT3_P12ihipStream_tbPNSt15iterator_traitsISE_E10value_typeEPNSK_ISF_E10value_typeEPSG_NS1_7vsmem_tEENKUlT_SE_SF_SG_E_clIS8_S8_S9_S9_EESD_ST_SE_SF_SG_EUlST_E_NS1_11comp_targetILNS1_3genE2ELNS1_11target_archE906ELNS1_3gpuE6ELNS1_3repE0EEENS1_48merge_mergepath_partition_config_static_selectorELNS0_4arch9wavefront6targetE0EEEvSF_
; %bb.0:
	.section	.rodata,"a",@progbits
	.p2align	6, 0x0
	.amdhsa_kernel _ZN7rocprim17ROCPRIM_400000_NS6detail17trampoline_kernelINS0_14default_configENS1_38merge_sort_block_merge_config_selectorIlNS0_10empty_typeEEEZZNS1_27merge_sort_block_merge_implIS3_PlPS5_jNS1_19radix_merge_compareILb0ELb1ElNS0_19identity_decomposerEEEEE10hipError_tT0_T1_T2_jT3_P12ihipStream_tbPNSt15iterator_traitsISE_E10value_typeEPNSK_ISF_E10value_typeEPSG_NS1_7vsmem_tEENKUlT_SE_SF_SG_E_clIS8_S8_S9_S9_EESD_ST_SE_SF_SG_EUlST_E_NS1_11comp_targetILNS1_3genE2ELNS1_11target_archE906ELNS1_3gpuE6ELNS1_3repE0EEENS1_48merge_mergepath_partition_config_static_selectorELNS0_4arch9wavefront6targetE0EEEvSF_
		.amdhsa_group_segment_fixed_size 0
		.amdhsa_private_segment_fixed_size 0
		.amdhsa_kernarg_size 40
		.amdhsa_user_sgpr_count 2
		.amdhsa_user_sgpr_dispatch_ptr 0
		.amdhsa_user_sgpr_queue_ptr 0
		.amdhsa_user_sgpr_kernarg_segment_ptr 1
		.amdhsa_user_sgpr_dispatch_id 0
		.amdhsa_user_sgpr_kernarg_preload_length 0
		.amdhsa_user_sgpr_kernarg_preload_offset 0
		.amdhsa_user_sgpr_private_segment_size 0
		.amdhsa_wavefront_size32 1
		.amdhsa_uses_dynamic_stack 0
		.amdhsa_enable_private_segment 0
		.amdhsa_system_sgpr_workgroup_id_x 1
		.amdhsa_system_sgpr_workgroup_id_y 0
		.amdhsa_system_sgpr_workgroup_id_z 0
		.amdhsa_system_sgpr_workgroup_info 0
		.amdhsa_system_vgpr_workitem_id 0
		.amdhsa_next_free_vgpr 1
		.amdhsa_next_free_sgpr 1
		.amdhsa_named_barrier_count 0
		.amdhsa_reserve_vcc 0
		.amdhsa_float_round_mode_32 0
		.amdhsa_float_round_mode_16_64 0
		.amdhsa_float_denorm_mode_32 3
		.amdhsa_float_denorm_mode_16_64 3
		.amdhsa_fp16_overflow 0
		.amdhsa_memory_ordered 1
		.amdhsa_forward_progress 1
		.amdhsa_inst_pref_size 0
		.amdhsa_round_robin_scheduling 0
		.amdhsa_exception_fp_ieee_invalid_op 0
		.amdhsa_exception_fp_denorm_src 0
		.amdhsa_exception_fp_ieee_div_zero 0
		.amdhsa_exception_fp_ieee_overflow 0
		.amdhsa_exception_fp_ieee_underflow 0
		.amdhsa_exception_fp_ieee_inexact 0
		.amdhsa_exception_int_div_zero 0
	.end_amdhsa_kernel
	.section	.text._ZN7rocprim17ROCPRIM_400000_NS6detail17trampoline_kernelINS0_14default_configENS1_38merge_sort_block_merge_config_selectorIlNS0_10empty_typeEEEZZNS1_27merge_sort_block_merge_implIS3_PlPS5_jNS1_19radix_merge_compareILb0ELb1ElNS0_19identity_decomposerEEEEE10hipError_tT0_T1_T2_jT3_P12ihipStream_tbPNSt15iterator_traitsISE_E10value_typeEPNSK_ISF_E10value_typeEPSG_NS1_7vsmem_tEENKUlT_SE_SF_SG_E_clIS8_S8_S9_S9_EESD_ST_SE_SF_SG_EUlST_E_NS1_11comp_targetILNS1_3genE2ELNS1_11target_archE906ELNS1_3gpuE6ELNS1_3repE0EEENS1_48merge_mergepath_partition_config_static_selectorELNS0_4arch9wavefront6targetE0EEEvSF_,"axG",@progbits,_ZN7rocprim17ROCPRIM_400000_NS6detail17trampoline_kernelINS0_14default_configENS1_38merge_sort_block_merge_config_selectorIlNS0_10empty_typeEEEZZNS1_27merge_sort_block_merge_implIS3_PlPS5_jNS1_19radix_merge_compareILb0ELb1ElNS0_19identity_decomposerEEEEE10hipError_tT0_T1_T2_jT3_P12ihipStream_tbPNSt15iterator_traitsISE_E10value_typeEPNSK_ISF_E10value_typeEPSG_NS1_7vsmem_tEENKUlT_SE_SF_SG_E_clIS8_S8_S9_S9_EESD_ST_SE_SF_SG_EUlST_E_NS1_11comp_targetILNS1_3genE2ELNS1_11target_archE906ELNS1_3gpuE6ELNS1_3repE0EEENS1_48merge_mergepath_partition_config_static_selectorELNS0_4arch9wavefront6targetE0EEEvSF_,comdat
.Lfunc_end1170:
	.size	_ZN7rocprim17ROCPRIM_400000_NS6detail17trampoline_kernelINS0_14default_configENS1_38merge_sort_block_merge_config_selectorIlNS0_10empty_typeEEEZZNS1_27merge_sort_block_merge_implIS3_PlPS5_jNS1_19radix_merge_compareILb0ELb1ElNS0_19identity_decomposerEEEEE10hipError_tT0_T1_T2_jT3_P12ihipStream_tbPNSt15iterator_traitsISE_E10value_typeEPNSK_ISF_E10value_typeEPSG_NS1_7vsmem_tEENKUlT_SE_SF_SG_E_clIS8_S8_S9_S9_EESD_ST_SE_SF_SG_EUlST_E_NS1_11comp_targetILNS1_3genE2ELNS1_11target_archE906ELNS1_3gpuE6ELNS1_3repE0EEENS1_48merge_mergepath_partition_config_static_selectorELNS0_4arch9wavefront6targetE0EEEvSF_, .Lfunc_end1170-_ZN7rocprim17ROCPRIM_400000_NS6detail17trampoline_kernelINS0_14default_configENS1_38merge_sort_block_merge_config_selectorIlNS0_10empty_typeEEEZZNS1_27merge_sort_block_merge_implIS3_PlPS5_jNS1_19radix_merge_compareILb0ELb1ElNS0_19identity_decomposerEEEEE10hipError_tT0_T1_T2_jT3_P12ihipStream_tbPNSt15iterator_traitsISE_E10value_typeEPNSK_ISF_E10value_typeEPSG_NS1_7vsmem_tEENKUlT_SE_SF_SG_E_clIS8_S8_S9_S9_EESD_ST_SE_SF_SG_EUlST_E_NS1_11comp_targetILNS1_3genE2ELNS1_11target_archE906ELNS1_3gpuE6ELNS1_3repE0EEENS1_48merge_mergepath_partition_config_static_selectorELNS0_4arch9wavefront6targetE0EEEvSF_
                                        ; -- End function
	.set _ZN7rocprim17ROCPRIM_400000_NS6detail17trampoline_kernelINS0_14default_configENS1_38merge_sort_block_merge_config_selectorIlNS0_10empty_typeEEEZZNS1_27merge_sort_block_merge_implIS3_PlPS5_jNS1_19radix_merge_compareILb0ELb1ElNS0_19identity_decomposerEEEEE10hipError_tT0_T1_T2_jT3_P12ihipStream_tbPNSt15iterator_traitsISE_E10value_typeEPNSK_ISF_E10value_typeEPSG_NS1_7vsmem_tEENKUlT_SE_SF_SG_E_clIS8_S8_S9_S9_EESD_ST_SE_SF_SG_EUlST_E_NS1_11comp_targetILNS1_3genE2ELNS1_11target_archE906ELNS1_3gpuE6ELNS1_3repE0EEENS1_48merge_mergepath_partition_config_static_selectorELNS0_4arch9wavefront6targetE0EEEvSF_.num_vgpr, 0
	.set _ZN7rocprim17ROCPRIM_400000_NS6detail17trampoline_kernelINS0_14default_configENS1_38merge_sort_block_merge_config_selectorIlNS0_10empty_typeEEEZZNS1_27merge_sort_block_merge_implIS3_PlPS5_jNS1_19radix_merge_compareILb0ELb1ElNS0_19identity_decomposerEEEEE10hipError_tT0_T1_T2_jT3_P12ihipStream_tbPNSt15iterator_traitsISE_E10value_typeEPNSK_ISF_E10value_typeEPSG_NS1_7vsmem_tEENKUlT_SE_SF_SG_E_clIS8_S8_S9_S9_EESD_ST_SE_SF_SG_EUlST_E_NS1_11comp_targetILNS1_3genE2ELNS1_11target_archE906ELNS1_3gpuE6ELNS1_3repE0EEENS1_48merge_mergepath_partition_config_static_selectorELNS0_4arch9wavefront6targetE0EEEvSF_.num_agpr, 0
	.set _ZN7rocprim17ROCPRIM_400000_NS6detail17trampoline_kernelINS0_14default_configENS1_38merge_sort_block_merge_config_selectorIlNS0_10empty_typeEEEZZNS1_27merge_sort_block_merge_implIS3_PlPS5_jNS1_19radix_merge_compareILb0ELb1ElNS0_19identity_decomposerEEEEE10hipError_tT0_T1_T2_jT3_P12ihipStream_tbPNSt15iterator_traitsISE_E10value_typeEPNSK_ISF_E10value_typeEPSG_NS1_7vsmem_tEENKUlT_SE_SF_SG_E_clIS8_S8_S9_S9_EESD_ST_SE_SF_SG_EUlST_E_NS1_11comp_targetILNS1_3genE2ELNS1_11target_archE906ELNS1_3gpuE6ELNS1_3repE0EEENS1_48merge_mergepath_partition_config_static_selectorELNS0_4arch9wavefront6targetE0EEEvSF_.numbered_sgpr, 0
	.set _ZN7rocprim17ROCPRIM_400000_NS6detail17trampoline_kernelINS0_14default_configENS1_38merge_sort_block_merge_config_selectorIlNS0_10empty_typeEEEZZNS1_27merge_sort_block_merge_implIS3_PlPS5_jNS1_19radix_merge_compareILb0ELb1ElNS0_19identity_decomposerEEEEE10hipError_tT0_T1_T2_jT3_P12ihipStream_tbPNSt15iterator_traitsISE_E10value_typeEPNSK_ISF_E10value_typeEPSG_NS1_7vsmem_tEENKUlT_SE_SF_SG_E_clIS8_S8_S9_S9_EESD_ST_SE_SF_SG_EUlST_E_NS1_11comp_targetILNS1_3genE2ELNS1_11target_archE906ELNS1_3gpuE6ELNS1_3repE0EEENS1_48merge_mergepath_partition_config_static_selectorELNS0_4arch9wavefront6targetE0EEEvSF_.num_named_barrier, 0
	.set _ZN7rocprim17ROCPRIM_400000_NS6detail17trampoline_kernelINS0_14default_configENS1_38merge_sort_block_merge_config_selectorIlNS0_10empty_typeEEEZZNS1_27merge_sort_block_merge_implIS3_PlPS5_jNS1_19radix_merge_compareILb0ELb1ElNS0_19identity_decomposerEEEEE10hipError_tT0_T1_T2_jT3_P12ihipStream_tbPNSt15iterator_traitsISE_E10value_typeEPNSK_ISF_E10value_typeEPSG_NS1_7vsmem_tEENKUlT_SE_SF_SG_E_clIS8_S8_S9_S9_EESD_ST_SE_SF_SG_EUlST_E_NS1_11comp_targetILNS1_3genE2ELNS1_11target_archE906ELNS1_3gpuE6ELNS1_3repE0EEENS1_48merge_mergepath_partition_config_static_selectorELNS0_4arch9wavefront6targetE0EEEvSF_.private_seg_size, 0
	.set _ZN7rocprim17ROCPRIM_400000_NS6detail17trampoline_kernelINS0_14default_configENS1_38merge_sort_block_merge_config_selectorIlNS0_10empty_typeEEEZZNS1_27merge_sort_block_merge_implIS3_PlPS5_jNS1_19radix_merge_compareILb0ELb1ElNS0_19identity_decomposerEEEEE10hipError_tT0_T1_T2_jT3_P12ihipStream_tbPNSt15iterator_traitsISE_E10value_typeEPNSK_ISF_E10value_typeEPSG_NS1_7vsmem_tEENKUlT_SE_SF_SG_E_clIS8_S8_S9_S9_EESD_ST_SE_SF_SG_EUlST_E_NS1_11comp_targetILNS1_3genE2ELNS1_11target_archE906ELNS1_3gpuE6ELNS1_3repE0EEENS1_48merge_mergepath_partition_config_static_selectorELNS0_4arch9wavefront6targetE0EEEvSF_.uses_vcc, 0
	.set _ZN7rocprim17ROCPRIM_400000_NS6detail17trampoline_kernelINS0_14default_configENS1_38merge_sort_block_merge_config_selectorIlNS0_10empty_typeEEEZZNS1_27merge_sort_block_merge_implIS3_PlPS5_jNS1_19radix_merge_compareILb0ELb1ElNS0_19identity_decomposerEEEEE10hipError_tT0_T1_T2_jT3_P12ihipStream_tbPNSt15iterator_traitsISE_E10value_typeEPNSK_ISF_E10value_typeEPSG_NS1_7vsmem_tEENKUlT_SE_SF_SG_E_clIS8_S8_S9_S9_EESD_ST_SE_SF_SG_EUlST_E_NS1_11comp_targetILNS1_3genE2ELNS1_11target_archE906ELNS1_3gpuE6ELNS1_3repE0EEENS1_48merge_mergepath_partition_config_static_selectorELNS0_4arch9wavefront6targetE0EEEvSF_.uses_flat_scratch, 0
	.set _ZN7rocprim17ROCPRIM_400000_NS6detail17trampoline_kernelINS0_14default_configENS1_38merge_sort_block_merge_config_selectorIlNS0_10empty_typeEEEZZNS1_27merge_sort_block_merge_implIS3_PlPS5_jNS1_19radix_merge_compareILb0ELb1ElNS0_19identity_decomposerEEEEE10hipError_tT0_T1_T2_jT3_P12ihipStream_tbPNSt15iterator_traitsISE_E10value_typeEPNSK_ISF_E10value_typeEPSG_NS1_7vsmem_tEENKUlT_SE_SF_SG_E_clIS8_S8_S9_S9_EESD_ST_SE_SF_SG_EUlST_E_NS1_11comp_targetILNS1_3genE2ELNS1_11target_archE906ELNS1_3gpuE6ELNS1_3repE0EEENS1_48merge_mergepath_partition_config_static_selectorELNS0_4arch9wavefront6targetE0EEEvSF_.has_dyn_sized_stack, 0
	.set _ZN7rocprim17ROCPRIM_400000_NS6detail17trampoline_kernelINS0_14default_configENS1_38merge_sort_block_merge_config_selectorIlNS0_10empty_typeEEEZZNS1_27merge_sort_block_merge_implIS3_PlPS5_jNS1_19radix_merge_compareILb0ELb1ElNS0_19identity_decomposerEEEEE10hipError_tT0_T1_T2_jT3_P12ihipStream_tbPNSt15iterator_traitsISE_E10value_typeEPNSK_ISF_E10value_typeEPSG_NS1_7vsmem_tEENKUlT_SE_SF_SG_E_clIS8_S8_S9_S9_EESD_ST_SE_SF_SG_EUlST_E_NS1_11comp_targetILNS1_3genE2ELNS1_11target_archE906ELNS1_3gpuE6ELNS1_3repE0EEENS1_48merge_mergepath_partition_config_static_selectorELNS0_4arch9wavefront6targetE0EEEvSF_.has_recursion, 0
	.set _ZN7rocprim17ROCPRIM_400000_NS6detail17trampoline_kernelINS0_14default_configENS1_38merge_sort_block_merge_config_selectorIlNS0_10empty_typeEEEZZNS1_27merge_sort_block_merge_implIS3_PlPS5_jNS1_19radix_merge_compareILb0ELb1ElNS0_19identity_decomposerEEEEE10hipError_tT0_T1_T2_jT3_P12ihipStream_tbPNSt15iterator_traitsISE_E10value_typeEPNSK_ISF_E10value_typeEPSG_NS1_7vsmem_tEENKUlT_SE_SF_SG_E_clIS8_S8_S9_S9_EESD_ST_SE_SF_SG_EUlST_E_NS1_11comp_targetILNS1_3genE2ELNS1_11target_archE906ELNS1_3gpuE6ELNS1_3repE0EEENS1_48merge_mergepath_partition_config_static_selectorELNS0_4arch9wavefront6targetE0EEEvSF_.has_indirect_call, 0
	.section	.AMDGPU.csdata,"",@progbits
; Kernel info:
; codeLenInByte = 0
; TotalNumSgprs: 0
; NumVgprs: 0
; ScratchSize: 0
; MemoryBound: 0
; FloatMode: 240
; IeeeMode: 1
; LDSByteSize: 0 bytes/workgroup (compile time only)
; SGPRBlocks: 0
; VGPRBlocks: 0
; NumSGPRsForWavesPerEU: 1
; NumVGPRsForWavesPerEU: 1
; NamedBarCnt: 0
; Occupancy: 16
; WaveLimiterHint : 0
; COMPUTE_PGM_RSRC2:SCRATCH_EN: 0
; COMPUTE_PGM_RSRC2:USER_SGPR: 2
; COMPUTE_PGM_RSRC2:TRAP_HANDLER: 0
; COMPUTE_PGM_RSRC2:TGID_X_EN: 1
; COMPUTE_PGM_RSRC2:TGID_Y_EN: 0
; COMPUTE_PGM_RSRC2:TGID_Z_EN: 0
; COMPUTE_PGM_RSRC2:TIDIG_COMP_CNT: 0
	.section	.text._ZN7rocprim17ROCPRIM_400000_NS6detail17trampoline_kernelINS0_14default_configENS1_38merge_sort_block_merge_config_selectorIlNS0_10empty_typeEEEZZNS1_27merge_sort_block_merge_implIS3_PlPS5_jNS1_19radix_merge_compareILb0ELb1ElNS0_19identity_decomposerEEEEE10hipError_tT0_T1_T2_jT3_P12ihipStream_tbPNSt15iterator_traitsISE_E10value_typeEPNSK_ISF_E10value_typeEPSG_NS1_7vsmem_tEENKUlT_SE_SF_SG_E_clIS8_S8_S9_S9_EESD_ST_SE_SF_SG_EUlST_E_NS1_11comp_targetILNS1_3genE9ELNS1_11target_archE1100ELNS1_3gpuE3ELNS1_3repE0EEENS1_48merge_mergepath_partition_config_static_selectorELNS0_4arch9wavefront6targetE0EEEvSF_,"axG",@progbits,_ZN7rocprim17ROCPRIM_400000_NS6detail17trampoline_kernelINS0_14default_configENS1_38merge_sort_block_merge_config_selectorIlNS0_10empty_typeEEEZZNS1_27merge_sort_block_merge_implIS3_PlPS5_jNS1_19radix_merge_compareILb0ELb1ElNS0_19identity_decomposerEEEEE10hipError_tT0_T1_T2_jT3_P12ihipStream_tbPNSt15iterator_traitsISE_E10value_typeEPNSK_ISF_E10value_typeEPSG_NS1_7vsmem_tEENKUlT_SE_SF_SG_E_clIS8_S8_S9_S9_EESD_ST_SE_SF_SG_EUlST_E_NS1_11comp_targetILNS1_3genE9ELNS1_11target_archE1100ELNS1_3gpuE3ELNS1_3repE0EEENS1_48merge_mergepath_partition_config_static_selectorELNS0_4arch9wavefront6targetE0EEEvSF_,comdat
	.protected	_ZN7rocprim17ROCPRIM_400000_NS6detail17trampoline_kernelINS0_14default_configENS1_38merge_sort_block_merge_config_selectorIlNS0_10empty_typeEEEZZNS1_27merge_sort_block_merge_implIS3_PlPS5_jNS1_19radix_merge_compareILb0ELb1ElNS0_19identity_decomposerEEEEE10hipError_tT0_T1_T2_jT3_P12ihipStream_tbPNSt15iterator_traitsISE_E10value_typeEPNSK_ISF_E10value_typeEPSG_NS1_7vsmem_tEENKUlT_SE_SF_SG_E_clIS8_S8_S9_S9_EESD_ST_SE_SF_SG_EUlST_E_NS1_11comp_targetILNS1_3genE9ELNS1_11target_archE1100ELNS1_3gpuE3ELNS1_3repE0EEENS1_48merge_mergepath_partition_config_static_selectorELNS0_4arch9wavefront6targetE0EEEvSF_ ; -- Begin function _ZN7rocprim17ROCPRIM_400000_NS6detail17trampoline_kernelINS0_14default_configENS1_38merge_sort_block_merge_config_selectorIlNS0_10empty_typeEEEZZNS1_27merge_sort_block_merge_implIS3_PlPS5_jNS1_19radix_merge_compareILb0ELb1ElNS0_19identity_decomposerEEEEE10hipError_tT0_T1_T2_jT3_P12ihipStream_tbPNSt15iterator_traitsISE_E10value_typeEPNSK_ISF_E10value_typeEPSG_NS1_7vsmem_tEENKUlT_SE_SF_SG_E_clIS8_S8_S9_S9_EESD_ST_SE_SF_SG_EUlST_E_NS1_11comp_targetILNS1_3genE9ELNS1_11target_archE1100ELNS1_3gpuE3ELNS1_3repE0EEENS1_48merge_mergepath_partition_config_static_selectorELNS0_4arch9wavefront6targetE0EEEvSF_
	.globl	_ZN7rocprim17ROCPRIM_400000_NS6detail17trampoline_kernelINS0_14default_configENS1_38merge_sort_block_merge_config_selectorIlNS0_10empty_typeEEEZZNS1_27merge_sort_block_merge_implIS3_PlPS5_jNS1_19radix_merge_compareILb0ELb1ElNS0_19identity_decomposerEEEEE10hipError_tT0_T1_T2_jT3_P12ihipStream_tbPNSt15iterator_traitsISE_E10value_typeEPNSK_ISF_E10value_typeEPSG_NS1_7vsmem_tEENKUlT_SE_SF_SG_E_clIS8_S8_S9_S9_EESD_ST_SE_SF_SG_EUlST_E_NS1_11comp_targetILNS1_3genE9ELNS1_11target_archE1100ELNS1_3gpuE3ELNS1_3repE0EEENS1_48merge_mergepath_partition_config_static_selectorELNS0_4arch9wavefront6targetE0EEEvSF_
	.p2align	8
	.type	_ZN7rocprim17ROCPRIM_400000_NS6detail17trampoline_kernelINS0_14default_configENS1_38merge_sort_block_merge_config_selectorIlNS0_10empty_typeEEEZZNS1_27merge_sort_block_merge_implIS3_PlPS5_jNS1_19radix_merge_compareILb0ELb1ElNS0_19identity_decomposerEEEEE10hipError_tT0_T1_T2_jT3_P12ihipStream_tbPNSt15iterator_traitsISE_E10value_typeEPNSK_ISF_E10value_typeEPSG_NS1_7vsmem_tEENKUlT_SE_SF_SG_E_clIS8_S8_S9_S9_EESD_ST_SE_SF_SG_EUlST_E_NS1_11comp_targetILNS1_3genE9ELNS1_11target_archE1100ELNS1_3gpuE3ELNS1_3repE0EEENS1_48merge_mergepath_partition_config_static_selectorELNS0_4arch9wavefront6targetE0EEEvSF_,@function
_ZN7rocprim17ROCPRIM_400000_NS6detail17trampoline_kernelINS0_14default_configENS1_38merge_sort_block_merge_config_selectorIlNS0_10empty_typeEEEZZNS1_27merge_sort_block_merge_implIS3_PlPS5_jNS1_19radix_merge_compareILb0ELb1ElNS0_19identity_decomposerEEEEE10hipError_tT0_T1_T2_jT3_P12ihipStream_tbPNSt15iterator_traitsISE_E10value_typeEPNSK_ISF_E10value_typeEPSG_NS1_7vsmem_tEENKUlT_SE_SF_SG_E_clIS8_S8_S9_S9_EESD_ST_SE_SF_SG_EUlST_E_NS1_11comp_targetILNS1_3genE9ELNS1_11target_archE1100ELNS1_3gpuE3ELNS1_3repE0EEENS1_48merge_mergepath_partition_config_static_selectorELNS0_4arch9wavefront6targetE0EEEvSF_: ; @_ZN7rocprim17ROCPRIM_400000_NS6detail17trampoline_kernelINS0_14default_configENS1_38merge_sort_block_merge_config_selectorIlNS0_10empty_typeEEEZZNS1_27merge_sort_block_merge_implIS3_PlPS5_jNS1_19radix_merge_compareILb0ELb1ElNS0_19identity_decomposerEEEEE10hipError_tT0_T1_T2_jT3_P12ihipStream_tbPNSt15iterator_traitsISE_E10value_typeEPNSK_ISF_E10value_typeEPSG_NS1_7vsmem_tEENKUlT_SE_SF_SG_E_clIS8_S8_S9_S9_EESD_ST_SE_SF_SG_EUlST_E_NS1_11comp_targetILNS1_3genE9ELNS1_11target_archE1100ELNS1_3gpuE3ELNS1_3repE0EEENS1_48merge_mergepath_partition_config_static_selectorELNS0_4arch9wavefront6targetE0EEEvSF_
; %bb.0:
	.section	.rodata,"a",@progbits
	.p2align	6, 0x0
	.amdhsa_kernel _ZN7rocprim17ROCPRIM_400000_NS6detail17trampoline_kernelINS0_14default_configENS1_38merge_sort_block_merge_config_selectorIlNS0_10empty_typeEEEZZNS1_27merge_sort_block_merge_implIS3_PlPS5_jNS1_19radix_merge_compareILb0ELb1ElNS0_19identity_decomposerEEEEE10hipError_tT0_T1_T2_jT3_P12ihipStream_tbPNSt15iterator_traitsISE_E10value_typeEPNSK_ISF_E10value_typeEPSG_NS1_7vsmem_tEENKUlT_SE_SF_SG_E_clIS8_S8_S9_S9_EESD_ST_SE_SF_SG_EUlST_E_NS1_11comp_targetILNS1_3genE9ELNS1_11target_archE1100ELNS1_3gpuE3ELNS1_3repE0EEENS1_48merge_mergepath_partition_config_static_selectorELNS0_4arch9wavefront6targetE0EEEvSF_
		.amdhsa_group_segment_fixed_size 0
		.amdhsa_private_segment_fixed_size 0
		.amdhsa_kernarg_size 40
		.amdhsa_user_sgpr_count 2
		.amdhsa_user_sgpr_dispatch_ptr 0
		.amdhsa_user_sgpr_queue_ptr 0
		.amdhsa_user_sgpr_kernarg_segment_ptr 1
		.amdhsa_user_sgpr_dispatch_id 0
		.amdhsa_user_sgpr_kernarg_preload_length 0
		.amdhsa_user_sgpr_kernarg_preload_offset 0
		.amdhsa_user_sgpr_private_segment_size 0
		.amdhsa_wavefront_size32 1
		.amdhsa_uses_dynamic_stack 0
		.amdhsa_enable_private_segment 0
		.amdhsa_system_sgpr_workgroup_id_x 1
		.amdhsa_system_sgpr_workgroup_id_y 0
		.amdhsa_system_sgpr_workgroup_id_z 0
		.amdhsa_system_sgpr_workgroup_info 0
		.amdhsa_system_vgpr_workitem_id 0
		.amdhsa_next_free_vgpr 1
		.amdhsa_next_free_sgpr 1
		.amdhsa_named_barrier_count 0
		.amdhsa_reserve_vcc 0
		.amdhsa_float_round_mode_32 0
		.amdhsa_float_round_mode_16_64 0
		.amdhsa_float_denorm_mode_32 3
		.amdhsa_float_denorm_mode_16_64 3
		.amdhsa_fp16_overflow 0
		.amdhsa_memory_ordered 1
		.amdhsa_forward_progress 1
		.amdhsa_inst_pref_size 0
		.amdhsa_round_robin_scheduling 0
		.amdhsa_exception_fp_ieee_invalid_op 0
		.amdhsa_exception_fp_denorm_src 0
		.amdhsa_exception_fp_ieee_div_zero 0
		.amdhsa_exception_fp_ieee_overflow 0
		.amdhsa_exception_fp_ieee_underflow 0
		.amdhsa_exception_fp_ieee_inexact 0
		.amdhsa_exception_int_div_zero 0
	.end_amdhsa_kernel
	.section	.text._ZN7rocprim17ROCPRIM_400000_NS6detail17trampoline_kernelINS0_14default_configENS1_38merge_sort_block_merge_config_selectorIlNS0_10empty_typeEEEZZNS1_27merge_sort_block_merge_implIS3_PlPS5_jNS1_19radix_merge_compareILb0ELb1ElNS0_19identity_decomposerEEEEE10hipError_tT0_T1_T2_jT3_P12ihipStream_tbPNSt15iterator_traitsISE_E10value_typeEPNSK_ISF_E10value_typeEPSG_NS1_7vsmem_tEENKUlT_SE_SF_SG_E_clIS8_S8_S9_S9_EESD_ST_SE_SF_SG_EUlST_E_NS1_11comp_targetILNS1_3genE9ELNS1_11target_archE1100ELNS1_3gpuE3ELNS1_3repE0EEENS1_48merge_mergepath_partition_config_static_selectorELNS0_4arch9wavefront6targetE0EEEvSF_,"axG",@progbits,_ZN7rocprim17ROCPRIM_400000_NS6detail17trampoline_kernelINS0_14default_configENS1_38merge_sort_block_merge_config_selectorIlNS0_10empty_typeEEEZZNS1_27merge_sort_block_merge_implIS3_PlPS5_jNS1_19radix_merge_compareILb0ELb1ElNS0_19identity_decomposerEEEEE10hipError_tT0_T1_T2_jT3_P12ihipStream_tbPNSt15iterator_traitsISE_E10value_typeEPNSK_ISF_E10value_typeEPSG_NS1_7vsmem_tEENKUlT_SE_SF_SG_E_clIS8_S8_S9_S9_EESD_ST_SE_SF_SG_EUlST_E_NS1_11comp_targetILNS1_3genE9ELNS1_11target_archE1100ELNS1_3gpuE3ELNS1_3repE0EEENS1_48merge_mergepath_partition_config_static_selectorELNS0_4arch9wavefront6targetE0EEEvSF_,comdat
.Lfunc_end1171:
	.size	_ZN7rocprim17ROCPRIM_400000_NS6detail17trampoline_kernelINS0_14default_configENS1_38merge_sort_block_merge_config_selectorIlNS0_10empty_typeEEEZZNS1_27merge_sort_block_merge_implIS3_PlPS5_jNS1_19radix_merge_compareILb0ELb1ElNS0_19identity_decomposerEEEEE10hipError_tT0_T1_T2_jT3_P12ihipStream_tbPNSt15iterator_traitsISE_E10value_typeEPNSK_ISF_E10value_typeEPSG_NS1_7vsmem_tEENKUlT_SE_SF_SG_E_clIS8_S8_S9_S9_EESD_ST_SE_SF_SG_EUlST_E_NS1_11comp_targetILNS1_3genE9ELNS1_11target_archE1100ELNS1_3gpuE3ELNS1_3repE0EEENS1_48merge_mergepath_partition_config_static_selectorELNS0_4arch9wavefront6targetE0EEEvSF_, .Lfunc_end1171-_ZN7rocprim17ROCPRIM_400000_NS6detail17trampoline_kernelINS0_14default_configENS1_38merge_sort_block_merge_config_selectorIlNS0_10empty_typeEEEZZNS1_27merge_sort_block_merge_implIS3_PlPS5_jNS1_19radix_merge_compareILb0ELb1ElNS0_19identity_decomposerEEEEE10hipError_tT0_T1_T2_jT3_P12ihipStream_tbPNSt15iterator_traitsISE_E10value_typeEPNSK_ISF_E10value_typeEPSG_NS1_7vsmem_tEENKUlT_SE_SF_SG_E_clIS8_S8_S9_S9_EESD_ST_SE_SF_SG_EUlST_E_NS1_11comp_targetILNS1_3genE9ELNS1_11target_archE1100ELNS1_3gpuE3ELNS1_3repE0EEENS1_48merge_mergepath_partition_config_static_selectorELNS0_4arch9wavefront6targetE0EEEvSF_
                                        ; -- End function
	.set _ZN7rocprim17ROCPRIM_400000_NS6detail17trampoline_kernelINS0_14default_configENS1_38merge_sort_block_merge_config_selectorIlNS0_10empty_typeEEEZZNS1_27merge_sort_block_merge_implIS3_PlPS5_jNS1_19radix_merge_compareILb0ELb1ElNS0_19identity_decomposerEEEEE10hipError_tT0_T1_T2_jT3_P12ihipStream_tbPNSt15iterator_traitsISE_E10value_typeEPNSK_ISF_E10value_typeEPSG_NS1_7vsmem_tEENKUlT_SE_SF_SG_E_clIS8_S8_S9_S9_EESD_ST_SE_SF_SG_EUlST_E_NS1_11comp_targetILNS1_3genE9ELNS1_11target_archE1100ELNS1_3gpuE3ELNS1_3repE0EEENS1_48merge_mergepath_partition_config_static_selectorELNS0_4arch9wavefront6targetE0EEEvSF_.num_vgpr, 0
	.set _ZN7rocprim17ROCPRIM_400000_NS6detail17trampoline_kernelINS0_14default_configENS1_38merge_sort_block_merge_config_selectorIlNS0_10empty_typeEEEZZNS1_27merge_sort_block_merge_implIS3_PlPS5_jNS1_19radix_merge_compareILb0ELb1ElNS0_19identity_decomposerEEEEE10hipError_tT0_T1_T2_jT3_P12ihipStream_tbPNSt15iterator_traitsISE_E10value_typeEPNSK_ISF_E10value_typeEPSG_NS1_7vsmem_tEENKUlT_SE_SF_SG_E_clIS8_S8_S9_S9_EESD_ST_SE_SF_SG_EUlST_E_NS1_11comp_targetILNS1_3genE9ELNS1_11target_archE1100ELNS1_3gpuE3ELNS1_3repE0EEENS1_48merge_mergepath_partition_config_static_selectorELNS0_4arch9wavefront6targetE0EEEvSF_.num_agpr, 0
	.set _ZN7rocprim17ROCPRIM_400000_NS6detail17trampoline_kernelINS0_14default_configENS1_38merge_sort_block_merge_config_selectorIlNS0_10empty_typeEEEZZNS1_27merge_sort_block_merge_implIS3_PlPS5_jNS1_19radix_merge_compareILb0ELb1ElNS0_19identity_decomposerEEEEE10hipError_tT0_T1_T2_jT3_P12ihipStream_tbPNSt15iterator_traitsISE_E10value_typeEPNSK_ISF_E10value_typeEPSG_NS1_7vsmem_tEENKUlT_SE_SF_SG_E_clIS8_S8_S9_S9_EESD_ST_SE_SF_SG_EUlST_E_NS1_11comp_targetILNS1_3genE9ELNS1_11target_archE1100ELNS1_3gpuE3ELNS1_3repE0EEENS1_48merge_mergepath_partition_config_static_selectorELNS0_4arch9wavefront6targetE0EEEvSF_.numbered_sgpr, 0
	.set _ZN7rocprim17ROCPRIM_400000_NS6detail17trampoline_kernelINS0_14default_configENS1_38merge_sort_block_merge_config_selectorIlNS0_10empty_typeEEEZZNS1_27merge_sort_block_merge_implIS3_PlPS5_jNS1_19radix_merge_compareILb0ELb1ElNS0_19identity_decomposerEEEEE10hipError_tT0_T1_T2_jT3_P12ihipStream_tbPNSt15iterator_traitsISE_E10value_typeEPNSK_ISF_E10value_typeEPSG_NS1_7vsmem_tEENKUlT_SE_SF_SG_E_clIS8_S8_S9_S9_EESD_ST_SE_SF_SG_EUlST_E_NS1_11comp_targetILNS1_3genE9ELNS1_11target_archE1100ELNS1_3gpuE3ELNS1_3repE0EEENS1_48merge_mergepath_partition_config_static_selectorELNS0_4arch9wavefront6targetE0EEEvSF_.num_named_barrier, 0
	.set _ZN7rocprim17ROCPRIM_400000_NS6detail17trampoline_kernelINS0_14default_configENS1_38merge_sort_block_merge_config_selectorIlNS0_10empty_typeEEEZZNS1_27merge_sort_block_merge_implIS3_PlPS5_jNS1_19radix_merge_compareILb0ELb1ElNS0_19identity_decomposerEEEEE10hipError_tT0_T1_T2_jT3_P12ihipStream_tbPNSt15iterator_traitsISE_E10value_typeEPNSK_ISF_E10value_typeEPSG_NS1_7vsmem_tEENKUlT_SE_SF_SG_E_clIS8_S8_S9_S9_EESD_ST_SE_SF_SG_EUlST_E_NS1_11comp_targetILNS1_3genE9ELNS1_11target_archE1100ELNS1_3gpuE3ELNS1_3repE0EEENS1_48merge_mergepath_partition_config_static_selectorELNS0_4arch9wavefront6targetE0EEEvSF_.private_seg_size, 0
	.set _ZN7rocprim17ROCPRIM_400000_NS6detail17trampoline_kernelINS0_14default_configENS1_38merge_sort_block_merge_config_selectorIlNS0_10empty_typeEEEZZNS1_27merge_sort_block_merge_implIS3_PlPS5_jNS1_19radix_merge_compareILb0ELb1ElNS0_19identity_decomposerEEEEE10hipError_tT0_T1_T2_jT3_P12ihipStream_tbPNSt15iterator_traitsISE_E10value_typeEPNSK_ISF_E10value_typeEPSG_NS1_7vsmem_tEENKUlT_SE_SF_SG_E_clIS8_S8_S9_S9_EESD_ST_SE_SF_SG_EUlST_E_NS1_11comp_targetILNS1_3genE9ELNS1_11target_archE1100ELNS1_3gpuE3ELNS1_3repE0EEENS1_48merge_mergepath_partition_config_static_selectorELNS0_4arch9wavefront6targetE0EEEvSF_.uses_vcc, 0
	.set _ZN7rocprim17ROCPRIM_400000_NS6detail17trampoline_kernelINS0_14default_configENS1_38merge_sort_block_merge_config_selectorIlNS0_10empty_typeEEEZZNS1_27merge_sort_block_merge_implIS3_PlPS5_jNS1_19radix_merge_compareILb0ELb1ElNS0_19identity_decomposerEEEEE10hipError_tT0_T1_T2_jT3_P12ihipStream_tbPNSt15iterator_traitsISE_E10value_typeEPNSK_ISF_E10value_typeEPSG_NS1_7vsmem_tEENKUlT_SE_SF_SG_E_clIS8_S8_S9_S9_EESD_ST_SE_SF_SG_EUlST_E_NS1_11comp_targetILNS1_3genE9ELNS1_11target_archE1100ELNS1_3gpuE3ELNS1_3repE0EEENS1_48merge_mergepath_partition_config_static_selectorELNS0_4arch9wavefront6targetE0EEEvSF_.uses_flat_scratch, 0
	.set _ZN7rocprim17ROCPRIM_400000_NS6detail17trampoline_kernelINS0_14default_configENS1_38merge_sort_block_merge_config_selectorIlNS0_10empty_typeEEEZZNS1_27merge_sort_block_merge_implIS3_PlPS5_jNS1_19radix_merge_compareILb0ELb1ElNS0_19identity_decomposerEEEEE10hipError_tT0_T1_T2_jT3_P12ihipStream_tbPNSt15iterator_traitsISE_E10value_typeEPNSK_ISF_E10value_typeEPSG_NS1_7vsmem_tEENKUlT_SE_SF_SG_E_clIS8_S8_S9_S9_EESD_ST_SE_SF_SG_EUlST_E_NS1_11comp_targetILNS1_3genE9ELNS1_11target_archE1100ELNS1_3gpuE3ELNS1_3repE0EEENS1_48merge_mergepath_partition_config_static_selectorELNS0_4arch9wavefront6targetE0EEEvSF_.has_dyn_sized_stack, 0
	.set _ZN7rocprim17ROCPRIM_400000_NS6detail17trampoline_kernelINS0_14default_configENS1_38merge_sort_block_merge_config_selectorIlNS0_10empty_typeEEEZZNS1_27merge_sort_block_merge_implIS3_PlPS5_jNS1_19radix_merge_compareILb0ELb1ElNS0_19identity_decomposerEEEEE10hipError_tT0_T1_T2_jT3_P12ihipStream_tbPNSt15iterator_traitsISE_E10value_typeEPNSK_ISF_E10value_typeEPSG_NS1_7vsmem_tEENKUlT_SE_SF_SG_E_clIS8_S8_S9_S9_EESD_ST_SE_SF_SG_EUlST_E_NS1_11comp_targetILNS1_3genE9ELNS1_11target_archE1100ELNS1_3gpuE3ELNS1_3repE0EEENS1_48merge_mergepath_partition_config_static_selectorELNS0_4arch9wavefront6targetE0EEEvSF_.has_recursion, 0
	.set _ZN7rocprim17ROCPRIM_400000_NS6detail17trampoline_kernelINS0_14default_configENS1_38merge_sort_block_merge_config_selectorIlNS0_10empty_typeEEEZZNS1_27merge_sort_block_merge_implIS3_PlPS5_jNS1_19radix_merge_compareILb0ELb1ElNS0_19identity_decomposerEEEEE10hipError_tT0_T1_T2_jT3_P12ihipStream_tbPNSt15iterator_traitsISE_E10value_typeEPNSK_ISF_E10value_typeEPSG_NS1_7vsmem_tEENKUlT_SE_SF_SG_E_clIS8_S8_S9_S9_EESD_ST_SE_SF_SG_EUlST_E_NS1_11comp_targetILNS1_3genE9ELNS1_11target_archE1100ELNS1_3gpuE3ELNS1_3repE0EEENS1_48merge_mergepath_partition_config_static_selectorELNS0_4arch9wavefront6targetE0EEEvSF_.has_indirect_call, 0
	.section	.AMDGPU.csdata,"",@progbits
; Kernel info:
; codeLenInByte = 0
; TotalNumSgprs: 0
; NumVgprs: 0
; ScratchSize: 0
; MemoryBound: 0
; FloatMode: 240
; IeeeMode: 1
; LDSByteSize: 0 bytes/workgroup (compile time only)
; SGPRBlocks: 0
; VGPRBlocks: 0
; NumSGPRsForWavesPerEU: 1
; NumVGPRsForWavesPerEU: 1
; NamedBarCnt: 0
; Occupancy: 16
; WaveLimiterHint : 0
; COMPUTE_PGM_RSRC2:SCRATCH_EN: 0
; COMPUTE_PGM_RSRC2:USER_SGPR: 2
; COMPUTE_PGM_RSRC2:TRAP_HANDLER: 0
; COMPUTE_PGM_RSRC2:TGID_X_EN: 1
; COMPUTE_PGM_RSRC2:TGID_Y_EN: 0
; COMPUTE_PGM_RSRC2:TGID_Z_EN: 0
; COMPUTE_PGM_RSRC2:TIDIG_COMP_CNT: 0
	.section	.text._ZN7rocprim17ROCPRIM_400000_NS6detail17trampoline_kernelINS0_14default_configENS1_38merge_sort_block_merge_config_selectorIlNS0_10empty_typeEEEZZNS1_27merge_sort_block_merge_implIS3_PlPS5_jNS1_19radix_merge_compareILb0ELb1ElNS0_19identity_decomposerEEEEE10hipError_tT0_T1_T2_jT3_P12ihipStream_tbPNSt15iterator_traitsISE_E10value_typeEPNSK_ISF_E10value_typeEPSG_NS1_7vsmem_tEENKUlT_SE_SF_SG_E_clIS8_S8_S9_S9_EESD_ST_SE_SF_SG_EUlST_E_NS1_11comp_targetILNS1_3genE8ELNS1_11target_archE1030ELNS1_3gpuE2ELNS1_3repE0EEENS1_48merge_mergepath_partition_config_static_selectorELNS0_4arch9wavefront6targetE0EEEvSF_,"axG",@progbits,_ZN7rocprim17ROCPRIM_400000_NS6detail17trampoline_kernelINS0_14default_configENS1_38merge_sort_block_merge_config_selectorIlNS0_10empty_typeEEEZZNS1_27merge_sort_block_merge_implIS3_PlPS5_jNS1_19radix_merge_compareILb0ELb1ElNS0_19identity_decomposerEEEEE10hipError_tT0_T1_T2_jT3_P12ihipStream_tbPNSt15iterator_traitsISE_E10value_typeEPNSK_ISF_E10value_typeEPSG_NS1_7vsmem_tEENKUlT_SE_SF_SG_E_clIS8_S8_S9_S9_EESD_ST_SE_SF_SG_EUlST_E_NS1_11comp_targetILNS1_3genE8ELNS1_11target_archE1030ELNS1_3gpuE2ELNS1_3repE0EEENS1_48merge_mergepath_partition_config_static_selectorELNS0_4arch9wavefront6targetE0EEEvSF_,comdat
	.protected	_ZN7rocprim17ROCPRIM_400000_NS6detail17trampoline_kernelINS0_14default_configENS1_38merge_sort_block_merge_config_selectorIlNS0_10empty_typeEEEZZNS1_27merge_sort_block_merge_implIS3_PlPS5_jNS1_19radix_merge_compareILb0ELb1ElNS0_19identity_decomposerEEEEE10hipError_tT0_T1_T2_jT3_P12ihipStream_tbPNSt15iterator_traitsISE_E10value_typeEPNSK_ISF_E10value_typeEPSG_NS1_7vsmem_tEENKUlT_SE_SF_SG_E_clIS8_S8_S9_S9_EESD_ST_SE_SF_SG_EUlST_E_NS1_11comp_targetILNS1_3genE8ELNS1_11target_archE1030ELNS1_3gpuE2ELNS1_3repE0EEENS1_48merge_mergepath_partition_config_static_selectorELNS0_4arch9wavefront6targetE0EEEvSF_ ; -- Begin function _ZN7rocprim17ROCPRIM_400000_NS6detail17trampoline_kernelINS0_14default_configENS1_38merge_sort_block_merge_config_selectorIlNS0_10empty_typeEEEZZNS1_27merge_sort_block_merge_implIS3_PlPS5_jNS1_19radix_merge_compareILb0ELb1ElNS0_19identity_decomposerEEEEE10hipError_tT0_T1_T2_jT3_P12ihipStream_tbPNSt15iterator_traitsISE_E10value_typeEPNSK_ISF_E10value_typeEPSG_NS1_7vsmem_tEENKUlT_SE_SF_SG_E_clIS8_S8_S9_S9_EESD_ST_SE_SF_SG_EUlST_E_NS1_11comp_targetILNS1_3genE8ELNS1_11target_archE1030ELNS1_3gpuE2ELNS1_3repE0EEENS1_48merge_mergepath_partition_config_static_selectorELNS0_4arch9wavefront6targetE0EEEvSF_
	.globl	_ZN7rocprim17ROCPRIM_400000_NS6detail17trampoline_kernelINS0_14default_configENS1_38merge_sort_block_merge_config_selectorIlNS0_10empty_typeEEEZZNS1_27merge_sort_block_merge_implIS3_PlPS5_jNS1_19radix_merge_compareILb0ELb1ElNS0_19identity_decomposerEEEEE10hipError_tT0_T1_T2_jT3_P12ihipStream_tbPNSt15iterator_traitsISE_E10value_typeEPNSK_ISF_E10value_typeEPSG_NS1_7vsmem_tEENKUlT_SE_SF_SG_E_clIS8_S8_S9_S9_EESD_ST_SE_SF_SG_EUlST_E_NS1_11comp_targetILNS1_3genE8ELNS1_11target_archE1030ELNS1_3gpuE2ELNS1_3repE0EEENS1_48merge_mergepath_partition_config_static_selectorELNS0_4arch9wavefront6targetE0EEEvSF_
	.p2align	8
	.type	_ZN7rocprim17ROCPRIM_400000_NS6detail17trampoline_kernelINS0_14default_configENS1_38merge_sort_block_merge_config_selectorIlNS0_10empty_typeEEEZZNS1_27merge_sort_block_merge_implIS3_PlPS5_jNS1_19radix_merge_compareILb0ELb1ElNS0_19identity_decomposerEEEEE10hipError_tT0_T1_T2_jT3_P12ihipStream_tbPNSt15iterator_traitsISE_E10value_typeEPNSK_ISF_E10value_typeEPSG_NS1_7vsmem_tEENKUlT_SE_SF_SG_E_clIS8_S8_S9_S9_EESD_ST_SE_SF_SG_EUlST_E_NS1_11comp_targetILNS1_3genE8ELNS1_11target_archE1030ELNS1_3gpuE2ELNS1_3repE0EEENS1_48merge_mergepath_partition_config_static_selectorELNS0_4arch9wavefront6targetE0EEEvSF_,@function
_ZN7rocprim17ROCPRIM_400000_NS6detail17trampoline_kernelINS0_14default_configENS1_38merge_sort_block_merge_config_selectorIlNS0_10empty_typeEEEZZNS1_27merge_sort_block_merge_implIS3_PlPS5_jNS1_19radix_merge_compareILb0ELb1ElNS0_19identity_decomposerEEEEE10hipError_tT0_T1_T2_jT3_P12ihipStream_tbPNSt15iterator_traitsISE_E10value_typeEPNSK_ISF_E10value_typeEPSG_NS1_7vsmem_tEENKUlT_SE_SF_SG_E_clIS8_S8_S9_S9_EESD_ST_SE_SF_SG_EUlST_E_NS1_11comp_targetILNS1_3genE8ELNS1_11target_archE1030ELNS1_3gpuE2ELNS1_3repE0EEENS1_48merge_mergepath_partition_config_static_selectorELNS0_4arch9wavefront6targetE0EEEvSF_: ; @_ZN7rocprim17ROCPRIM_400000_NS6detail17trampoline_kernelINS0_14default_configENS1_38merge_sort_block_merge_config_selectorIlNS0_10empty_typeEEEZZNS1_27merge_sort_block_merge_implIS3_PlPS5_jNS1_19radix_merge_compareILb0ELb1ElNS0_19identity_decomposerEEEEE10hipError_tT0_T1_T2_jT3_P12ihipStream_tbPNSt15iterator_traitsISE_E10value_typeEPNSK_ISF_E10value_typeEPSG_NS1_7vsmem_tEENKUlT_SE_SF_SG_E_clIS8_S8_S9_S9_EESD_ST_SE_SF_SG_EUlST_E_NS1_11comp_targetILNS1_3genE8ELNS1_11target_archE1030ELNS1_3gpuE2ELNS1_3repE0EEENS1_48merge_mergepath_partition_config_static_selectorELNS0_4arch9wavefront6targetE0EEEvSF_
; %bb.0:
	.section	.rodata,"a",@progbits
	.p2align	6, 0x0
	.amdhsa_kernel _ZN7rocprim17ROCPRIM_400000_NS6detail17trampoline_kernelINS0_14default_configENS1_38merge_sort_block_merge_config_selectorIlNS0_10empty_typeEEEZZNS1_27merge_sort_block_merge_implIS3_PlPS5_jNS1_19radix_merge_compareILb0ELb1ElNS0_19identity_decomposerEEEEE10hipError_tT0_T1_T2_jT3_P12ihipStream_tbPNSt15iterator_traitsISE_E10value_typeEPNSK_ISF_E10value_typeEPSG_NS1_7vsmem_tEENKUlT_SE_SF_SG_E_clIS8_S8_S9_S9_EESD_ST_SE_SF_SG_EUlST_E_NS1_11comp_targetILNS1_3genE8ELNS1_11target_archE1030ELNS1_3gpuE2ELNS1_3repE0EEENS1_48merge_mergepath_partition_config_static_selectorELNS0_4arch9wavefront6targetE0EEEvSF_
		.amdhsa_group_segment_fixed_size 0
		.amdhsa_private_segment_fixed_size 0
		.amdhsa_kernarg_size 40
		.amdhsa_user_sgpr_count 2
		.amdhsa_user_sgpr_dispatch_ptr 0
		.amdhsa_user_sgpr_queue_ptr 0
		.amdhsa_user_sgpr_kernarg_segment_ptr 1
		.amdhsa_user_sgpr_dispatch_id 0
		.amdhsa_user_sgpr_kernarg_preload_length 0
		.amdhsa_user_sgpr_kernarg_preload_offset 0
		.amdhsa_user_sgpr_private_segment_size 0
		.amdhsa_wavefront_size32 1
		.amdhsa_uses_dynamic_stack 0
		.amdhsa_enable_private_segment 0
		.amdhsa_system_sgpr_workgroup_id_x 1
		.amdhsa_system_sgpr_workgroup_id_y 0
		.amdhsa_system_sgpr_workgroup_id_z 0
		.amdhsa_system_sgpr_workgroup_info 0
		.amdhsa_system_vgpr_workitem_id 0
		.amdhsa_next_free_vgpr 1
		.amdhsa_next_free_sgpr 1
		.amdhsa_named_barrier_count 0
		.amdhsa_reserve_vcc 0
		.amdhsa_float_round_mode_32 0
		.amdhsa_float_round_mode_16_64 0
		.amdhsa_float_denorm_mode_32 3
		.amdhsa_float_denorm_mode_16_64 3
		.amdhsa_fp16_overflow 0
		.amdhsa_memory_ordered 1
		.amdhsa_forward_progress 1
		.amdhsa_inst_pref_size 0
		.amdhsa_round_robin_scheduling 0
		.amdhsa_exception_fp_ieee_invalid_op 0
		.amdhsa_exception_fp_denorm_src 0
		.amdhsa_exception_fp_ieee_div_zero 0
		.amdhsa_exception_fp_ieee_overflow 0
		.amdhsa_exception_fp_ieee_underflow 0
		.amdhsa_exception_fp_ieee_inexact 0
		.amdhsa_exception_int_div_zero 0
	.end_amdhsa_kernel
	.section	.text._ZN7rocprim17ROCPRIM_400000_NS6detail17trampoline_kernelINS0_14default_configENS1_38merge_sort_block_merge_config_selectorIlNS0_10empty_typeEEEZZNS1_27merge_sort_block_merge_implIS3_PlPS5_jNS1_19radix_merge_compareILb0ELb1ElNS0_19identity_decomposerEEEEE10hipError_tT0_T1_T2_jT3_P12ihipStream_tbPNSt15iterator_traitsISE_E10value_typeEPNSK_ISF_E10value_typeEPSG_NS1_7vsmem_tEENKUlT_SE_SF_SG_E_clIS8_S8_S9_S9_EESD_ST_SE_SF_SG_EUlST_E_NS1_11comp_targetILNS1_3genE8ELNS1_11target_archE1030ELNS1_3gpuE2ELNS1_3repE0EEENS1_48merge_mergepath_partition_config_static_selectorELNS0_4arch9wavefront6targetE0EEEvSF_,"axG",@progbits,_ZN7rocprim17ROCPRIM_400000_NS6detail17trampoline_kernelINS0_14default_configENS1_38merge_sort_block_merge_config_selectorIlNS0_10empty_typeEEEZZNS1_27merge_sort_block_merge_implIS3_PlPS5_jNS1_19radix_merge_compareILb0ELb1ElNS0_19identity_decomposerEEEEE10hipError_tT0_T1_T2_jT3_P12ihipStream_tbPNSt15iterator_traitsISE_E10value_typeEPNSK_ISF_E10value_typeEPSG_NS1_7vsmem_tEENKUlT_SE_SF_SG_E_clIS8_S8_S9_S9_EESD_ST_SE_SF_SG_EUlST_E_NS1_11comp_targetILNS1_3genE8ELNS1_11target_archE1030ELNS1_3gpuE2ELNS1_3repE0EEENS1_48merge_mergepath_partition_config_static_selectorELNS0_4arch9wavefront6targetE0EEEvSF_,comdat
.Lfunc_end1172:
	.size	_ZN7rocprim17ROCPRIM_400000_NS6detail17trampoline_kernelINS0_14default_configENS1_38merge_sort_block_merge_config_selectorIlNS0_10empty_typeEEEZZNS1_27merge_sort_block_merge_implIS3_PlPS5_jNS1_19radix_merge_compareILb0ELb1ElNS0_19identity_decomposerEEEEE10hipError_tT0_T1_T2_jT3_P12ihipStream_tbPNSt15iterator_traitsISE_E10value_typeEPNSK_ISF_E10value_typeEPSG_NS1_7vsmem_tEENKUlT_SE_SF_SG_E_clIS8_S8_S9_S9_EESD_ST_SE_SF_SG_EUlST_E_NS1_11comp_targetILNS1_3genE8ELNS1_11target_archE1030ELNS1_3gpuE2ELNS1_3repE0EEENS1_48merge_mergepath_partition_config_static_selectorELNS0_4arch9wavefront6targetE0EEEvSF_, .Lfunc_end1172-_ZN7rocprim17ROCPRIM_400000_NS6detail17trampoline_kernelINS0_14default_configENS1_38merge_sort_block_merge_config_selectorIlNS0_10empty_typeEEEZZNS1_27merge_sort_block_merge_implIS3_PlPS5_jNS1_19radix_merge_compareILb0ELb1ElNS0_19identity_decomposerEEEEE10hipError_tT0_T1_T2_jT3_P12ihipStream_tbPNSt15iterator_traitsISE_E10value_typeEPNSK_ISF_E10value_typeEPSG_NS1_7vsmem_tEENKUlT_SE_SF_SG_E_clIS8_S8_S9_S9_EESD_ST_SE_SF_SG_EUlST_E_NS1_11comp_targetILNS1_3genE8ELNS1_11target_archE1030ELNS1_3gpuE2ELNS1_3repE0EEENS1_48merge_mergepath_partition_config_static_selectorELNS0_4arch9wavefront6targetE0EEEvSF_
                                        ; -- End function
	.set _ZN7rocprim17ROCPRIM_400000_NS6detail17trampoline_kernelINS0_14default_configENS1_38merge_sort_block_merge_config_selectorIlNS0_10empty_typeEEEZZNS1_27merge_sort_block_merge_implIS3_PlPS5_jNS1_19radix_merge_compareILb0ELb1ElNS0_19identity_decomposerEEEEE10hipError_tT0_T1_T2_jT3_P12ihipStream_tbPNSt15iterator_traitsISE_E10value_typeEPNSK_ISF_E10value_typeEPSG_NS1_7vsmem_tEENKUlT_SE_SF_SG_E_clIS8_S8_S9_S9_EESD_ST_SE_SF_SG_EUlST_E_NS1_11comp_targetILNS1_3genE8ELNS1_11target_archE1030ELNS1_3gpuE2ELNS1_3repE0EEENS1_48merge_mergepath_partition_config_static_selectorELNS0_4arch9wavefront6targetE0EEEvSF_.num_vgpr, 0
	.set _ZN7rocprim17ROCPRIM_400000_NS6detail17trampoline_kernelINS0_14default_configENS1_38merge_sort_block_merge_config_selectorIlNS0_10empty_typeEEEZZNS1_27merge_sort_block_merge_implIS3_PlPS5_jNS1_19radix_merge_compareILb0ELb1ElNS0_19identity_decomposerEEEEE10hipError_tT0_T1_T2_jT3_P12ihipStream_tbPNSt15iterator_traitsISE_E10value_typeEPNSK_ISF_E10value_typeEPSG_NS1_7vsmem_tEENKUlT_SE_SF_SG_E_clIS8_S8_S9_S9_EESD_ST_SE_SF_SG_EUlST_E_NS1_11comp_targetILNS1_3genE8ELNS1_11target_archE1030ELNS1_3gpuE2ELNS1_3repE0EEENS1_48merge_mergepath_partition_config_static_selectorELNS0_4arch9wavefront6targetE0EEEvSF_.num_agpr, 0
	.set _ZN7rocprim17ROCPRIM_400000_NS6detail17trampoline_kernelINS0_14default_configENS1_38merge_sort_block_merge_config_selectorIlNS0_10empty_typeEEEZZNS1_27merge_sort_block_merge_implIS3_PlPS5_jNS1_19radix_merge_compareILb0ELb1ElNS0_19identity_decomposerEEEEE10hipError_tT0_T1_T2_jT3_P12ihipStream_tbPNSt15iterator_traitsISE_E10value_typeEPNSK_ISF_E10value_typeEPSG_NS1_7vsmem_tEENKUlT_SE_SF_SG_E_clIS8_S8_S9_S9_EESD_ST_SE_SF_SG_EUlST_E_NS1_11comp_targetILNS1_3genE8ELNS1_11target_archE1030ELNS1_3gpuE2ELNS1_3repE0EEENS1_48merge_mergepath_partition_config_static_selectorELNS0_4arch9wavefront6targetE0EEEvSF_.numbered_sgpr, 0
	.set _ZN7rocprim17ROCPRIM_400000_NS6detail17trampoline_kernelINS0_14default_configENS1_38merge_sort_block_merge_config_selectorIlNS0_10empty_typeEEEZZNS1_27merge_sort_block_merge_implIS3_PlPS5_jNS1_19radix_merge_compareILb0ELb1ElNS0_19identity_decomposerEEEEE10hipError_tT0_T1_T2_jT3_P12ihipStream_tbPNSt15iterator_traitsISE_E10value_typeEPNSK_ISF_E10value_typeEPSG_NS1_7vsmem_tEENKUlT_SE_SF_SG_E_clIS8_S8_S9_S9_EESD_ST_SE_SF_SG_EUlST_E_NS1_11comp_targetILNS1_3genE8ELNS1_11target_archE1030ELNS1_3gpuE2ELNS1_3repE0EEENS1_48merge_mergepath_partition_config_static_selectorELNS0_4arch9wavefront6targetE0EEEvSF_.num_named_barrier, 0
	.set _ZN7rocprim17ROCPRIM_400000_NS6detail17trampoline_kernelINS0_14default_configENS1_38merge_sort_block_merge_config_selectorIlNS0_10empty_typeEEEZZNS1_27merge_sort_block_merge_implIS3_PlPS5_jNS1_19radix_merge_compareILb0ELb1ElNS0_19identity_decomposerEEEEE10hipError_tT0_T1_T2_jT3_P12ihipStream_tbPNSt15iterator_traitsISE_E10value_typeEPNSK_ISF_E10value_typeEPSG_NS1_7vsmem_tEENKUlT_SE_SF_SG_E_clIS8_S8_S9_S9_EESD_ST_SE_SF_SG_EUlST_E_NS1_11comp_targetILNS1_3genE8ELNS1_11target_archE1030ELNS1_3gpuE2ELNS1_3repE0EEENS1_48merge_mergepath_partition_config_static_selectorELNS0_4arch9wavefront6targetE0EEEvSF_.private_seg_size, 0
	.set _ZN7rocprim17ROCPRIM_400000_NS6detail17trampoline_kernelINS0_14default_configENS1_38merge_sort_block_merge_config_selectorIlNS0_10empty_typeEEEZZNS1_27merge_sort_block_merge_implIS3_PlPS5_jNS1_19radix_merge_compareILb0ELb1ElNS0_19identity_decomposerEEEEE10hipError_tT0_T1_T2_jT3_P12ihipStream_tbPNSt15iterator_traitsISE_E10value_typeEPNSK_ISF_E10value_typeEPSG_NS1_7vsmem_tEENKUlT_SE_SF_SG_E_clIS8_S8_S9_S9_EESD_ST_SE_SF_SG_EUlST_E_NS1_11comp_targetILNS1_3genE8ELNS1_11target_archE1030ELNS1_3gpuE2ELNS1_3repE0EEENS1_48merge_mergepath_partition_config_static_selectorELNS0_4arch9wavefront6targetE0EEEvSF_.uses_vcc, 0
	.set _ZN7rocprim17ROCPRIM_400000_NS6detail17trampoline_kernelINS0_14default_configENS1_38merge_sort_block_merge_config_selectorIlNS0_10empty_typeEEEZZNS1_27merge_sort_block_merge_implIS3_PlPS5_jNS1_19radix_merge_compareILb0ELb1ElNS0_19identity_decomposerEEEEE10hipError_tT0_T1_T2_jT3_P12ihipStream_tbPNSt15iterator_traitsISE_E10value_typeEPNSK_ISF_E10value_typeEPSG_NS1_7vsmem_tEENKUlT_SE_SF_SG_E_clIS8_S8_S9_S9_EESD_ST_SE_SF_SG_EUlST_E_NS1_11comp_targetILNS1_3genE8ELNS1_11target_archE1030ELNS1_3gpuE2ELNS1_3repE0EEENS1_48merge_mergepath_partition_config_static_selectorELNS0_4arch9wavefront6targetE0EEEvSF_.uses_flat_scratch, 0
	.set _ZN7rocprim17ROCPRIM_400000_NS6detail17trampoline_kernelINS0_14default_configENS1_38merge_sort_block_merge_config_selectorIlNS0_10empty_typeEEEZZNS1_27merge_sort_block_merge_implIS3_PlPS5_jNS1_19radix_merge_compareILb0ELb1ElNS0_19identity_decomposerEEEEE10hipError_tT0_T1_T2_jT3_P12ihipStream_tbPNSt15iterator_traitsISE_E10value_typeEPNSK_ISF_E10value_typeEPSG_NS1_7vsmem_tEENKUlT_SE_SF_SG_E_clIS8_S8_S9_S9_EESD_ST_SE_SF_SG_EUlST_E_NS1_11comp_targetILNS1_3genE8ELNS1_11target_archE1030ELNS1_3gpuE2ELNS1_3repE0EEENS1_48merge_mergepath_partition_config_static_selectorELNS0_4arch9wavefront6targetE0EEEvSF_.has_dyn_sized_stack, 0
	.set _ZN7rocprim17ROCPRIM_400000_NS6detail17trampoline_kernelINS0_14default_configENS1_38merge_sort_block_merge_config_selectorIlNS0_10empty_typeEEEZZNS1_27merge_sort_block_merge_implIS3_PlPS5_jNS1_19radix_merge_compareILb0ELb1ElNS0_19identity_decomposerEEEEE10hipError_tT0_T1_T2_jT3_P12ihipStream_tbPNSt15iterator_traitsISE_E10value_typeEPNSK_ISF_E10value_typeEPSG_NS1_7vsmem_tEENKUlT_SE_SF_SG_E_clIS8_S8_S9_S9_EESD_ST_SE_SF_SG_EUlST_E_NS1_11comp_targetILNS1_3genE8ELNS1_11target_archE1030ELNS1_3gpuE2ELNS1_3repE0EEENS1_48merge_mergepath_partition_config_static_selectorELNS0_4arch9wavefront6targetE0EEEvSF_.has_recursion, 0
	.set _ZN7rocprim17ROCPRIM_400000_NS6detail17trampoline_kernelINS0_14default_configENS1_38merge_sort_block_merge_config_selectorIlNS0_10empty_typeEEEZZNS1_27merge_sort_block_merge_implIS3_PlPS5_jNS1_19radix_merge_compareILb0ELb1ElNS0_19identity_decomposerEEEEE10hipError_tT0_T1_T2_jT3_P12ihipStream_tbPNSt15iterator_traitsISE_E10value_typeEPNSK_ISF_E10value_typeEPSG_NS1_7vsmem_tEENKUlT_SE_SF_SG_E_clIS8_S8_S9_S9_EESD_ST_SE_SF_SG_EUlST_E_NS1_11comp_targetILNS1_3genE8ELNS1_11target_archE1030ELNS1_3gpuE2ELNS1_3repE0EEENS1_48merge_mergepath_partition_config_static_selectorELNS0_4arch9wavefront6targetE0EEEvSF_.has_indirect_call, 0
	.section	.AMDGPU.csdata,"",@progbits
; Kernel info:
; codeLenInByte = 0
; TotalNumSgprs: 0
; NumVgprs: 0
; ScratchSize: 0
; MemoryBound: 0
; FloatMode: 240
; IeeeMode: 1
; LDSByteSize: 0 bytes/workgroup (compile time only)
; SGPRBlocks: 0
; VGPRBlocks: 0
; NumSGPRsForWavesPerEU: 1
; NumVGPRsForWavesPerEU: 1
; NamedBarCnt: 0
; Occupancy: 16
; WaveLimiterHint : 0
; COMPUTE_PGM_RSRC2:SCRATCH_EN: 0
; COMPUTE_PGM_RSRC2:USER_SGPR: 2
; COMPUTE_PGM_RSRC2:TRAP_HANDLER: 0
; COMPUTE_PGM_RSRC2:TGID_X_EN: 1
; COMPUTE_PGM_RSRC2:TGID_Y_EN: 0
; COMPUTE_PGM_RSRC2:TGID_Z_EN: 0
; COMPUTE_PGM_RSRC2:TIDIG_COMP_CNT: 0
	.section	.text._ZN7rocprim17ROCPRIM_400000_NS6detail17trampoline_kernelINS0_14default_configENS1_38merge_sort_block_merge_config_selectorIlNS0_10empty_typeEEEZZNS1_27merge_sort_block_merge_implIS3_PlPS5_jNS1_19radix_merge_compareILb0ELb1ElNS0_19identity_decomposerEEEEE10hipError_tT0_T1_T2_jT3_P12ihipStream_tbPNSt15iterator_traitsISE_E10value_typeEPNSK_ISF_E10value_typeEPSG_NS1_7vsmem_tEENKUlT_SE_SF_SG_E_clIS8_S8_S9_S9_EESD_ST_SE_SF_SG_EUlST_E0_NS1_11comp_targetILNS1_3genE0ELNS1_11target_archE4294967295ELNS1_3gpuE0ELNS1_3repE0EEENS1_38merge_mergepath_config_static_selectorELNS0_4arch9wavefront6targetE0EEEvSF_,"axG",@progbits,_ZN7rocprim17ROCPRIM_400000_NS6detail17trampoline_kernelINS0_14default_configENS1_38merge_sort_block_merge_config_selectorIlNS0_10empty_typeEEEZZNS1_27merge_sort_block_merge_implIS3_PlPS5_jNS1_19radix_merge_compareILb0ELb1ElNS0_19identity_decomposerEEEEE10hipError_tT0_T1_T2_jT3_P12ihipStream_tbPNSt15iterator_traitsISE_E10value_typeEPNSK_ISF_E10value_typeEPSG_NS1_7vsmem_tEENKUlT_SE_SF_SG_E_clIS8_S8_S9_S9_EESD_ST_SE_SF_SG_EUlST_E0_NS1_11comp_targetILNS1_3genE0ELNS1_11target_archE4294967295ELNS1_3gpuE0ELNS1_3repE0EEENS1_38merge_mergepath_config_static_selectorELNS0_4arch9wavefront6targetE0EEEvSF_,comdat
	.protected	_ZN7rocprim17ROCPRIM_400000_NS6detail17trampoline_kernelINS0_14default_configENS1_38merge_sort_block_merge_config_selectorIlNS0_10empty_typeEEEZZNS1_27merge_sort_block_merge_implIS3_PlPS5_jNS1_19radix_merge_compareILb0ELb1ElNS0_19identity_decomposerEEEEE10hipError_tT0_T1_T2_jT3_P12ihipStream_tbPNSt15iterator_traitsISE_E10value_typeEPNSK_ISF_E10value_typeEPSG_NS1_7vsmem_tEENKUlT_SE_SF_SG_E_clIS8_S8_S9_S9_EESD_ST_SE_SF_SG_EUlST_E0_NS1_11comp_targetILNS1_3genE0ELNS1_11target_archE4294967295ELNS1_3gpuE0ELNS1_3repE0EEENS1_38merge_mergepath_config_static_selectorELNS0_4arch9wavefront6targetE0EEEvSF_ ; -- Begin function _ZN7rocprim17ROCPRIM_400000_NS6detail17trampoline_kernelINS0_14default_configENS1_38merge_sort_block_merge_config_selectorIlNS0_10empty_typeEEEZZNS1_27merge_sort_block_merge_implIS3_PlPS5_jNS1_19radix_merge_compareILb0ELb1ElNS0_19identity_decomposerEEEEE10hipError_tT0_T1_T2_jT3_P12ihipStream_tbPNSt15iterator_traitsISE_E10value_typeEPNSK_ISF_E10value_typeEPSG_NS1_7vsmem_tEENKUlT_SE_SF_SG_E_clIS8_S8_S9_S9_EESD_ST_SE_SF_SG_EUlST_E0_NS1_11comp_targetILNS1_3genE0ELNS1_11target_archE4294967295ELNS1_3gpuE0ELNS1_3repE0EEENS1_38merge_mergepath_config_static_selectorELNS0_4arch9wavefront6targetE0EEEvSF_
	.globl	_ZN7rocprim17ROCPRIM_400000_NS6detail17trampoline_kernelINS0_14default_configENS1_38merge_sort_block_merge_config_selectorIlNS0_10empty_typeEEEZZNS1_27merge_sort_block_merge_implIS3_PlPS5_jNS1_19radix_merge_compareILb0ELb1ElNS0_19identity_decomposerEEEEE10hipError_tT0_T1_T2_jT3_P12ihipStream_tbPNSt15iterator_traitsISE_E10value_typeEPNSK_ISF_E10value_typeEPSG_NS1_7vsmem_tEENKUlT_SE_SF_SG_E_clIS8_S8_S9_S9_EESD_ST_SE_SF_SG_EUlST_E0_NS1_11comp_targetILNS1_3genE0ELNS1_11target_archE4294967295ELNS1_3gpuE0ELNS1_3repE0EEENS1_38merge_mergepath_config_static_selectorELNS0_4arch9wavefront6targetE0EEEvSF_
	.p2align	8
	.type	_ZN7rocprim17ROCPRIM_400000_NS6detail17trampoline_kernelINS0_14default_configENS1_38merge_sort_block_merge_config_selectorIlNS0_10empty_typeEEEZZNS1_27merge_sort_block_merge_implIS3_PlPS5_jNS1_19radix_merge_compareILb0ELb1ElNS0_19identity_decomposerEEEEE10hipError_tT0_T1_T2_jT3_P12ihipStream_tbPNSt15iterator_traitsISE_E10value_typeEPNSK_ISF_E10value_typeEPSG_NS1_7vsmem_tEENKUlT_SE_SF_SG_E_clIS8_S8_S9_S9_EESD_ST_SE_SF_SG_EUlST_E0_NS1_11comp_targetILNS1_3genE0ELNS1_11target_archE4294967295ELNS1_3gpuE0ELNS1_3repE0EEENS1_38merge_mergepath_config_static_selectorELNS0_4arch9wavefront6targetE0EEEvSF_,@function
_ZN7rocprim17ROCPRIM_400000_NS6detail17trampoline_kernelINS0_14default_configENS1_38merge_sort_block_merge_config_selectorIlNS0_10empty_typeEEEZZNS1_27merge_sort_block_merge_implIS3_PlPS5_jNS1_19radix_merge_compareILb0ELb1ElNS0_19identity_decomposerEEEEE10hipError_tT0_T1_T2_jT3_P12ihipStream_tbPNSt15iterator_traitsISE_E10value_typeEPNSK_ISF_E10value_typeEPSG_NS1_7vsmem_tEENKUlT_SE_SF_SG_E_clIS8_S8_S9_S9_EESD_ST_SE_SF_SG_EUlST_E0_NS1_11comp_targetILNS1_3genE0ELNS1_11target_archE4294967295ELNS1_3gpuE0ELNS1_3repE0EEENS1_38merge_mergepath_config_static_selectorELNS0_4arch9wavefront6targetE0EEEvSF_: ; @_ZN7rocprim17ROCPRIM_400000_NS6detail17trampoline_kernelINS0_14default_configENS1_38merge_sort_block_merge_config_selectorIlNS0_10empty_typeEEEZZNS1_27merge_sort_block_merge_implIS3_PlPS5_jNS1_19radix_merge_compareILb0ELb1ElNS0_19identity_decomposerEEEEE10hipError_tT0_T1_T2_jT3_P12ihipStream_tbPNSt15iterator_traitsISE_E10value_typeEPNSK_ISF_E10value_typeEPSG_NS1_7vsmem_tEENKUlT_SE_SF_SG_E_clIS8_S8_S9_S9_EESD_ST_SE_SF_SG_EUlST_E0_NS1_11comp_targetILNS1_3genE0ELNS1_11target_archE4294967295ELNS1_3gpuE0ELNS1_3repE0EEENS1_38merge_mergepath_config_static_selectorELNS0_4arch9wavefront6targetE0EEEvSF_
; %bb.0:
	s_bfe_u32 s2, ttmp6, 0x40010
	s_and_b32 s4, ttmp7, 0xffff
	s_add_co_i32 s5, s2, 1
	s_clause 0x1
	s_load_b32 s6, s[0:1], 0x30
	s_load_b64 s[2:3], s[0:1], 0x48
	s_bfe_u32 s8, ttmp6, 0x4000c
	s_mul_i32 s5, s4, s5
	s_bfe_u32 s7, ttmp6, 0x40004
	s_add_co_i32 s8, s8, 1
	s_bfe_u32 s9, ttmp6, 0x40014
	s_add_co_i32 s7, s7, s5
	s_and_b32 s5, ttmp6, 15
	s_mul_i32 s8, ttmp9, s8
	s_lshr_b32 s10, ttmp7, 16
	s_add_co_i32 s9, s9, 1
	s_add_co_i32 s5, s5, s8
	s_mul_i32 s8, s10, s9
	s_bfe_u32 s9, ttmp6, 0x40008
	s_getreg_b32 s11, hwreg(HW_REG_IB_STS2, 6, 4)
	s_add_co_i32 s9, s9, s8
	s_cmp_eq_u32 s11, 0
	s_cselect_b32 s8, s10, s9
	s_cselect_b32 s4, s4, s7
	s_wait_kmcnt 0x0
	s_mul_i32 s8, s3, s8
	s_cselect_b32 s3, ttmp9, s5
	s_add_co_i32 s4, s8, s4
	s_mov_b32 s5, 0
	s_mul_i32 s4, s4, s2
	s_delay_alu instid0(SALU_CYCLE_1) | instskip(NEXT) | instid1(SALU_CYCLE_1)
	s_add_co_i32 s4, s4, s3
	s_cmp_ge_u32 s4, s6
	s_cbranch_scc1 .LBB1173_43
; %bb.1:
	v_mov_b32_e32 v21, 0
	s_add_nc_u64 s[6:7], s[0:1], 0x48
	v_lshlrev_b32_e32 v20, 3, v0
	global_load_b32 v1, v21, s[6:7] offset:14
	s_clause 0x2
	s_load_b64 s[8:9], s[0:1], 0x28
	s_load_b64 s[10:11], s[0:1], 0x40
	;; [unrolled: 1-line block ×3, first 2 shown]
	s_wait_kmcnt 0x0
	s_lshr_b32 s22, s8, 10
	s_delay_alu instid0(SALU_CYCLE_1) | instskip(SKIP_2) | instid1(SALU_CYCLE_1)
	s_cmp_lg_u32 s4, s22
	s_cselect_b32 s16, -1, 0
	s_lshl_b64 s[14:15], s[4:5], 2
	s_add_nc_u64 s[10:11], s[10:11], s[14:15]
	s_load_b64 s[14:15], s[10:11], 0x0
	s_wait_xcnt 0x0
	s_lshr_b32 s10, s9, 9
	s_delay_alu instid0(SALU_CYCLE_1) | instskip(NEXT) | instid1(SALU_CYCLE_1)
	s_and_b32 s10, s10, 0x7ffffe
	s_sub_co_i32 s11, 0, s10
	s_lshl_b32 s10, s4, 10
	s_and_b32 s17, s4, s11
	s_or_b32 s11, s4, s11
	s_lshl_b32 s18, s17, 11
	s_lshl_b32 s17, s17, 10
	s_add_co_i32 s18, s18, s9
	s_sub_co_i32 s19, s10, s17
	s_sub_co_i32 s17, s18, s17
	s_add_co_i32 s18, s18, s19
	s_min_u32 s20, s8, s17
	s_add_co_i32 s17, s17, s9
	s_wait_kmcnt 0x0
	s_sub_co_i32 s9, s18, s14
	s_sub_co_i32 s19, s18, s15
	s_min_u32 s18, s8, s9
	s_add_co_i32 s9, s19, 0x400
	s_cmp_eq_u32 s11, -1
	s_mov_b32 s19, s5
	s_cselect_b32 s9, s17, s9
	s_cselect_b32 s11, s20, s15
	s_mov_b32 s15, s5
	s_min_u32 s17, s9, s8
	s_lshl_b64 s[20:21], s[18:19], 3
	s_sub_co_i32 s9, s11, s14
	s_lshl_b64 s[14:15], s[14:15], 3
	s_sub_co_i32 s17, s17, s18
	s_cmp_lt_u32 s3, s2
	s_mov_b32 s3, s5
	s_cselect_b32 s2, 12, 18
	s_add_nc_u64 s[14:15], s[12:13], s[14:15]
	s_add_nc_u64 s[2:3], s[6:7], s[2:3]
	s_cmp_eq_u32 s4, s22
	s_load_u16 s2, s[2:3], 0x0
	s_add_nc_u64 s[6:7], s[12:13], s[20:21]
	s_wait_loadcnt 0x0
	v_lshrrev_b32_e32 v2, 16, v1
	v_and_b32_e32 v1, 0xffff, v1
	s_delay_alu instid0(VALU_DEP_1) | instskip(SKIP_1) | instid1(VALU_DEP_1)
	v_mul_lo_u32 v1, v1, v2
	s_wait_kmcnt 0x0
	v_mul_lo_u32 v1, v1, s2
	s_mov_b32 s2, -1
	s_delay_alu instid0(VALU_DEP_1) | instskip(NEXT) | instid1(VALU_DEP_1)
	v_add_nc_u32_e32 v24, v1, v0
	v_add_nc_u32_e32 v22, v24, v1
	s_cbranch_scc1 .LBB1173_3
; %bb.2:
	v_sub_co_u32 v4, vcc_lo, v0, s9
	v_dual_mov_b32 v5, v21 :: v_dual_mov_b32 v25, v21
	v_add_nc_u64_e32 v[2:3], s[14:15], v[20:21]
	v_sub_co_u32 v8, s2, v24, s9
	s_delay_alu instid0(VALU_DEP_3) | instskip(SKIP_3) | instid1(VALU_DEP_4)
	v_lshl_add_u64 v[4:5], v[4:5], 3, s[6:7]
	v_dual_mov_b32 v9, v21 :: v_dual_mov_b32 v23, v21
	v_lshl_add_u64 v[6:7], v[24:25], 3, s[14:15]
	v_dual_mov_b32 v11, v21 :: v_dual_add_nc_u32 v12, v22, v1
	v_dual_cndmask_b32 v3, v5, v3 :: v_dual_cndmask_b32 v2, v4, v2
	s_delay_alu instid0(VALU_DEP_4) | instskip(SKIP_3) | instid1(VALU_DEP_4)
	v_lshl_add_u64 v[4:5], v[8:9], 3, s[6:7]
	v_sub_co_u32 v10, vcc_lo, v22, s9
	v_mov_b32_e32 v13, v21
	v_lshl_add_u64 v[8:9], v[22:23], 3, s[14:15]
	v_dual_cndmask_b32 v5, v5, v7, s2 :: v_dual_cndmask_b32 v4, v4, v6, s2
	s_delay_alu instid0(VALU_DEP_4) | instskip(NEXT) | instid1(VALU_DEP_4)
	v_lshl_add_u64 v[6:7], v[10:11], 3, s[6:7]
	v_lshl_add_u64 v[10:11], v[12:13], 3, s[14:15]
	v_sub_co_u32 v14, s2, v12, s9
	s_delay_alu instid0(VALU_DEP_3) | instskip(NEXT) | instid1(VALU_DEP_4)
	v_dual_mov_b32 v15, v21 :: v_dual_cndmask_b32 v7, v7, v9, vcc_lo
	v_dual_add_nc_u32 v12, v12, v1 :: v_dual_cndmask_b32 v6, v6, v8, vcc_lo
	v_mov_b32_e32 v17, v21
	s_delay_alu instid0(VALU_DEP_3) | instskip(SKIP_1) | instid1(VALU_DEP_4)
	v_lshl_add_u64 v[8:9], v[14:15], 3, s[6:7]
	v_mov_b32_e32 v27, v21
	v_lshl_add_u64 v[14:15], v[12:13], 3, s[14:15]
	v_sub_co_u32 v16, vcc_lo, v12, s9
	s_delay_alu instid0(VALU_DEP_4) | instskip(SKIP_1) | instid1(VALU_DEP_3)
	v_dual_add_nc_u32 v12, v12, v1 :: v_dual_cndmask_b32 v19, v9, v11, s2
	v_cndmask_b32_e64 v18, v8, v10, s2
	v_lshl_add_u64 v[8:9], v[16:17], 3, s[6:7]
	global_load_b64 v[2:3], v[2:3], off
	v_lshl_add_u64 v[10:11], v[12:13], 3, s[14:15]
	v_add_nc_u32_e32 v16, v12, v1
	v_sub_co_u32 v12, s2, v12, s9
	v_cndmask_b32_e32 v33, v9, v15, vcc_lo
	global_load_b64 v[4:5], v[4:5], off
	v_lshl_add_u64 v[28:29], v[16:17], 3, s[14:15]
	v_lshl_add_u64 v[12:13], v[12:13], 3, s[6:7]
	v_add_nc_u32_e32 v26, v16, v1
	v_sub_co_u32 v16, s3, v16, s9
	global_load_b64 v[6:7], v[6:7], off
	s_add_co_i32 s11, s17, s9
	v_lshl_add_u64 v[30:31], v[26:27], 3, s[14:15]
	v_sub_co_u32 v26, s4, v26, s9
	v_lshl_add_u64 v[16:17], v[16:17], 3, s[6:7]
	v_cndmask_b32_e32 v32, v8, v14, vcc_lo
	s_delay_alu instid0(VALU_DEP_3) | instskip(SKIP_1) | instid1(VALU_DEP_4)
	v_lshl_add_u64 v[8:9], v[26:27], 3, s[6:7]
	v_dual_cndmask_b32 v27, v13, v11, s2 :: v_dual_cndmask_b32 v26, v12, v10, s2
	v_dual_cndmask_b32 v29, v17, v29, s3 :: v_dual_cndmask_b32 v28, v16, v28, s3
	s_delay_alu instid0(VALU_DEP_3)
	v_dual_cndmask_b32 v31, v9, v31, s4 :: v_dual_cndmask_b32 v30, v8, v30, s4
	global_load_b64 v[8:9], v[18:19], off
	global_load_b64 v[10:11], v[32:33], off
	;; [unrolled: 1-line block ×5, first 2 shown]
	s_load_b64 s[12:13], s[0:1], 0x38
	s_cbranch_execz .LBB1173_4
	s_branch .LBB1173_19
.LBB1173_3:
                                        ; implicit-def: $vgpr2_vgpr3_vgpr4_vgpr5_vgpr6_vgpr7_vgpr8_vgpr9_vgpr10_vgpr11_vgpr12_vgpr13_vgpr14_vgpr15_vgpr16_vgpr17
                                        ; implicit-def: $sgpr11
	s_load_b64 s[12:13], s[0:1], 0x38
	s_and_not1_b32 vcc_lo, exec_lo, s2
	s_cbranch_vccnz .LBB1173_19
.LBB1173_4:
	s_wait_loadcnt 0x7
	v_mov_b32_e32 v2, 0
	s_add_co_i32 s11, s17, s9
	s_mov_b32 s2, exec_lo
	s_wait_loadcnt 0x6
	s_delay_alu instid0(VALU_DEP_1)
	v_dual_mov_b32 v3, v2 :: v_dual_mov_b32 v4, v2
	s_wait_loadcnt 0x5
	v_dual_mov_b32 v5, v2 :: v_dual_mov_b32 v6, v2
	s_wait_loadcnt 0x4
	v_dual_mov_b32 v7, v2 :: v_dual_mov_b32 v8, v2
	s_wait_loadcnt 0x3
	v_dual_mov_b32 v9, v2 :: v_dual_mov_b32 v10, v2
	s_wait_loadcnt 0x2
	v_dual_mov_b32 v11, v2 :: v_dual_mov_b32 v12, v2
	s_wait_loadcnt 0x1
	v_dual_mov_b32 v13, v2 :: v_dual_mov_b32 v14, v2
	s_wait_loadcnt 0x0
	v_dual_mov_b32 v15, v2 :: v_dual_mov_b32 v16, v2
	v_mov_b32_e32 v17, v2
	v_cmpx_gt_u32_e64 s11, v0
	s_cbranch_execnz .LBB1173_44
; %bb.5:
	s_or_b32 exec_lo, exec_lo, s2
	s_delay_alu instid0(SALU_CYCLE_1)
	s_mov_b32 s2, exec_lo
	v_cmpx_gt_u32_e64 s11, v24
	s_cbranch_execnz .LBB1173_45
.LBB1173_6:
	s_or_b32 exec_lo, exec_lo, s2
	s_delay_alu instid0(SALU_CYCLE_1)
	s_mov_b32 s2, exec_lo
	v_cmpx_gt_u32_e64 s11, v22
	s_cbranch_execz .LBB1173_8
.LBB1173_7:
	v_sub_co_u32 v18, vcc_lo, v22, s9
	v_mov_b32_e32 v23, 0
	s_delay_alu instid0(VALU_DEP_1) | instskip(SKIP_1) | instid1(VALU_DEP_1)
	v_lshl_add_u64 v[6:7], v[22:23], 3, s[14:15]
	v_mov_b32_e32 v19, v23
	v_lshl_add_u64 v[18:19], v[18:19], 3, s[6:7]
	s_delay_alu instid0(VALU_DEP_1)
	v_dual_cndmask_b32 v7, v19, v7 :: v_dual_cndmask_b32 v6, v18, v6
	global_load_b64 v[6:7], v[6:7], off
.LBB1173_8:
	s_wait_xcnt 0x0
	s_or_b32 exec_lo, exec_lo, s2
	v_add_nc_u32_e32 v18, v22, v1
	s_mov_b32 s2, exec_lo
	s_delay_alu instid0(VALU_DEP_1)
	v_cmpx_gt_u32_e64 s11, v18
	s_cbranch_execz .LBB1173_10
; %bb.9:
	v_sub_co_u32 v22, vcc_lo, v18, s9
	v_mov_b32_e32 v19, 0
	s_delay_alu instid0(VALU_DEP_1) | instskip(SKIP_1) | instid1(VALU_DEP_1)
	v_lshl_add_u64 v[8:9], v[18:19], 3, s[14:15]
	v_mov_b32_e32 v23, v19
	v_lshl_add_u64 v[22:23], v[22:23], 3, s[6:7]
	s_delay_alu instid0(VALU_DEP_1)
	v_dual_cndmask_b32 v9, v23, v9 :: v_dual_cndmask_b32 v8, v22, v8
	global_load_b64 v[8:9], v[8:9], off
.LBB1173_10:
	s_wait_xcnt 0x0
	s_or_b32 exec_lo, exec_lo, s2
	v_add_nc_u32_e32 v18, v18, v1
	s_mov_b32 s2, exec_lo
	s_delay_alu instid0(VALU_DEP_1)
	v_cmpx_gt_u32_e64 s11, v18
	s_cbranch_execz .LBB1173_12
; %bb.11:
	v_sub_co_u32 v22, vcc_lo, v18, s9
	v_mov_b32_e32 v19, 0
	s_delay_alu instid0(VALU_DEP_1) | instskip(SKIP_1) | instid1(VALU_DEP_1)
	v_lshl_add_u64 v[10:11], v[18:19], 3, s[14:15]
	v_mov_b32_e32 v23, v19
	v_lshl_add_u64 v[22:23], v[22:23], 3, s[6:7]
	s_delay_alu instid0(VALU_DEP_1)
	v_dual_cndmask_b32 v11, v23, v11 :: v_dual_cndmask_b32 v10, v22, v10
	global_load_b64 v[10:11], v[10:11], off
.LBB1173_12:
	;; [unrolled: 18-line block ×4, first 2 shown]
	s_wait_xcnt 0x0
	s_or_b32 exec_lo, exec_lo, s2
	v_add_nc_u32_e32 v18, v18, v1
	s_mov_b32 s2, exec_lo
	s_delay_alu instid0(VALU_DEP_1)
	v_cmpx_gt_u32_e64 s11, v18
	s_cbranch_execz .LBB1173_18
; %bb.17:
	v_mov_b32_e32 v19, 0
	s_delay_alu instid0(VALU_DEP_1) | instskip(SKIP_1) | instid1(VALU_DEP_1)
	v_lshl_add_u64 v[16:17], v[18:19], 3, s[14:15]
	v_sub_co_u32 v18, vcc_lo, v18, s9
	v_lshl_add_u64 v[18:19], v[18:19], 3, s[6:7]
	s_delay_alu instid0(VALU_DEP_1)
	v_dual_cndmask_b32 v17, v19, v17 :: v_dual_cndmask_b32 v16, v18, v16
	global_load_b64 v[16:17], v[16:17], off
.LBB1173_18:
	s_wait_xcnt 0x0
	s_or_b32 exec_lo, exec_lo, s2
.LBB1173_19:
	s_load_b64 s[14:15], s[0:1], 0x10
	v_min_u32_e32 v18, s11, v20
	s_wait_xcnt 0x0
	s_mov_b32 s0, exec_lo
	s_wait_loadcnt 0x0
	ds_store_2addr_stride64_b64 v20, v[2:3], v[4:5] offset1:2
	ds_store_2addr_stride64_b64 v20, v[6:7], v[8:9] offset0:4 offset1:6
	ds_store_2addr_stride64_b64 v20, v[10:11], v[12:13] offset0:8 offset1:10
	;; [unrolled: 1-line block ×3, first 2 shown]
	s_wait_dscnt 0x0
	s_barrier_signal -1
	v_sub_nc_u32_e64 v1, v18, s17 clamp
	v_min_u32_e32 v19, s9, v18
	s_barrier_wait -1
	s_delay_alu instid0(VALU_DEP_1)
	v_cmpx_lt_u32_e64 v1, v19
	s_cbranch_execz .LBB1173_23
; %bb.20:
	v_lshlrev_b32_e32 v21, 3, v18
	s_mov_b32 s1, 0
	s_delay_alu instid0(VALU_DEP_1)
	v_lshl_add_u32 v21, s9, 3, v21
.LBB1173_21:                            ; =>This Inner Loop Header: Depth=1
	v_add_nc_u32_e32 v22, v19, v1
	s_delay_alu instid0(VALU_DEP_1) | instskip(NEXT) | instid1(VALU_DEP_1)
	v_lshrrev_b32_e32 v26, 1, v22
	v_not_b32_e32 v22, v26
	v_lshlrev_b32_e32 v23, 3, v26
	s_delay_alu instid0(VALU_DEP_2)
	v_lshl_add_u32 v24, v22, 3, v21
	ds_load_b64 v[22:23], v23
	ds_load_b64 v[24:25], v24
	s_wait_dscnt 0x1
	s_wait_kmcnt 0x0
	v_and_b32_e32 v23, s13, v23
	v_and_b32_e32 v22, s12, v22
	s_wait_dscnt 0x0
	v_and_b32_e32 v25, s13, v25
	v_and_b32_e32 v24, s12, v24
	s_delay_alu instid0(VALU_DEP_1) | instskip(SKIP_1) | instid1(VALU_DEP_1)
	v_cmp_gt_i64_e32 vcc_lo, v[22:23], v[24:25]
	v_dual_cndmask_b32 v19, v19, v26 :: v_dual_add_nc_u32 v22, 1, v26
	v_cndmask_b32_e32 v1, v22, v1, vcc_lo
	s_delay_alu instid0(VALU_DEP_1) | instskip(SKIP_1) | instid1(SALU_CYCLE_1)
	v_cmp_ge_u32_e32 vcc_lo, v1, v19
	s_or_b32 s1, vcc_lo, s1
	s_and_not1_b32 exec_lo, exec_lo, s1
	s_cbranch_execnz .LBB1173_21
; %bb.22:
	s_or_b32 exec_lo, exec_lo, s1
.LBB1173_23:
	s_delay_alu instid0(SALU_CYCLE_1) | instskip(SKIP_2) | instid1(VALU_DEP_2)
	s_or_b32 exec_lo, exec_lo, s0
	v_sub_nc_u32_e32 v18, v18, v1
	v_cmp_ge_u32_e32 vcc_lo, s9, v1
	v_add_nc_u32_e32 v18, s9, v18
	s_delay_alu instid0(VALU_DEP_1) | instskip(SKIP_1) | instid1(SALU_CYCLE_1)
	v_cmp_ge_u32_e64 s0, s11, v18
	s_or_b32 s0, vcc_lo, s0
	s_and_saveexec_b32 s17, s0
	s_cbranch_execz .LBB1173_29
; %bb.24:
	v_cmp_gt_u32_e32 vcc_lo, s9, v1
                                        ; implicit-def: $vgpr2_vgpr3
	s_and_saveexec_b32 s0, vcc_lo
; %bb.25:
	v_lshlrev_b32_e32 v2, 3, v1
	ds_load_b64 v[2:3], v2
; %bb.26:
	s_or_b32 exec_lo, exec_lo, s0
	v_cmp_le_u32_e64 s0, s11, v18
	s_mov_b32 s2, exec_lo
                                        ; implicit-def: $vgpr4_vgpr5
	v_cmpx_gt_u32_e64 s11, v18
; %bb.27:
	v_lshlrev_b32_e32 v4, 3, v18
	ds_load_b64 v[4:5], v4
; %bb.28:
	s_or_b32 exec_lo, exec_lo, s2
	s_wait_dscnt 0x0
	s_wait_kmcnt 0x0
	v_dual_mov_b32 v10, s9 :: v_dual_bitop2_b32 v7, s13, v5 bitop3:0x40
	v_and_b32_e32 v6, s12, v4
	v_and_b32_e32 v9, s13, v3
	;; [unrolled: 1-line block ×3, first 2 shown]
	s_delay_alu instid0(VALU_DEP_1) | instskip(SKIP_1) | instid1(SALU_CYCLE_1)
	v_cmp_le_i64_e64 s1, v[8:9], v[6:7]
	s_and_b32 s1, vcc_lo, s1
	s_or_b32 vcc_lo, s0, s1
	v_cndmask_b32_e32 v6, v18, v1, vcc_lo
	v_cndmask_b32_e32 v7, s11, v10, vcc_lo
	s_delay_alu instid0(VALU_DEP_2) | instskip(NEXT) | instid1(VALU_DEP_1)
	v_add_nc_u32_e32 v11, 1, v6
	v_add_min_u32_e64 v6, v7, -1, v11
	s_delay_alu instid0(VALU_DEP_1)
	v_dual_cndmask_b32 v1, v1, v11 :: v_dual_lshlrev_b32 v6, 3, v6
	v_cndmask_b32_e32 v11, v11, v18, vcc_lo
	ds_load_b64 v[6:7], v6
	v_cmp_gt_u32_e64 s1, s9, v1
	v_cmp_le_u32_e64 s2, s11, v11
	s_wait_dscnt 0x0
	v_dual_cndmask_b32 v12, v7, v5 :: v_dual_cndmask_b32 v13, v6, v4
	v_dual_cndmask_b32 v14, v3, v7 :: v_dual_cndmask_b32 v15, v2, v6
	s_delay_alu instid0(VALU_DEP_2) | instskip(NEXT) | instid1(VALU_DEP_3)
	v_dual_cndmask_b32 v2, v4, v2, vcc_lo :: v_dual_bitop2_b32 v7, s13, v12 bitop3:0x40
	v_and_b32_e32 v6, s12, v13
	s_delay_alu instid0(VALU_DEP_3) | instskip(NEXT) | instid1(VALU_DEP_4)
	v_and_b32_e32 v9, s13, v14
	v_and_b32_e32 v8, s12, v15
	v_cndmask_b32_e32 v3, v5, v3, vcc_lo
	s_delay_alu instid0(VALU_DEP_2) | instskip(SKIP_1) | instid1(SALU_CYCLE_1)
	v_cmp_le_i64_e64 s0, v[8:9], v[6:7]
	s_and_b32 s0, s1, s0
	s_or_b32 s0, s2, s0
	s_delay_alu instid0(SALU_CYCLE_1) | instskip(SKIP_2) | instid1(VALU_DEP_3)
	v_cndmask_b32_e64 v6, v11, v1, s0
	v_cndmask_b32_e64 v7, s11, v10, s0
	v_dual_cndmask_b32 v5, v12, v14, s0 :: v_dual_cndmask_b32 v4, v13, v15, s0
	v_add_nc_u32_e32 v16, 1, v6
	s_delay_alu instid0(VALU_DEP_1) | instskip(SKIP_1) | instid1(VALU_DEP_2)
	v_add_min_u32_e64 v6, v7, -1, v16
	v_dual_cndmask_b32 v1, v1, v16, s0 :: v_dual_cndmask_b32 v11, v16, v11, s0
	v_lshlrev_b32_e32 v6, 3, v6
	s_delay_alu instid0(VALU_DEP_2) | instskip(NEXT) | instid1(VALU_DEP_3)
	v_cmp_gt_u32_e64 s2, s9, v1
	v_cmp_le_u32_e64 s3, s11, v11
	ds_load_b64 v[6:7], v6
	s_wait_dscnt 0x0
	v_dual_cndmask_b32 v17, v7, v12, s0 :: v_dual_cndmask_b32 v18, v6, v13, s0
	v_dual_cndmask_b32 v21, v15, v6, s0 :: v_dual_cndmask_b32 v19, v14, v7, s0
	s_delay_alu instid0(VALU_DEP_2) | instskip(NEXT) | instid1(VALU_DEP_3)
	v_and_b32_e32 v7, s13, v17
	v_and_b32_e32 v6, s12, v18
	s_delay_alu instid0(VALU_DEP_3) | instskip(NEXT) | instid1(VALU_DEP_4)
	v_and_b32_e32 v8, s12, v21
	v_and_b32_e32 v9, s13, v19
	s_delay_alu instid0(VALU_DEP_1) | instskip(SKIP_1) | instid1(SALU_CYCLE_1)
	v_cmp_le_i64_e64 s1, v[8:9], v[6:7]
	s_and_b32 s1, s2, s1
	s_or_b32 s1, s3, s1
	s_delay_alu instid0(SALU_CYCLE_1) | instskip(SKIP_1) | instid1(VALU_DEP_2)
	v_cndmask_b32_e64 v6, v11, v1, s1
	v_cndmask_b32_e64 v7, s11, v10, s1
	v_add_nc_u32_e32 v16, 1, v6
	s_delay_alu instid0(VALU_DEP_1) | instskip(NEXT) | instid1(VALU_DEP_1)
	v_add_min_u32_e64 v6, v7, -1, v16
	v_dual_lshlrev_b32 v6, 3, v6 :: v_dual_cndmask_b32 v1, v1, v16, s1
	v_cndmask_b32_e64 v11, v16, v11, s1
	ds_load_b64 v[6:7], v6
	v_cmp_gt_u32_e64 s3, s9, v1
	v_cmp_le_u32_e64 s4, s11, v11
	s_wait_dscnt 0x0
	v_dual_cndmask_b32 v22, v7, v17, s1 :: v_dual_cndmask_b32 v23, v6, v18, s1
	v_dual_cndmask_b32 v24, v19, v7, s1 :: v_dual_cndmask_b32 v25, v21, v6, s1
	s_delay_alu instid0(VALU_DEP_2) | instskip(NEXT) | instid1(VALU_DEP_3)
	v_and_b32_e32 v7, s13, v22
	v_and_b32_e32 v6, s12, v23
	s_delay_alu instid0(VALU_DEP_3) | instskip(NEXT) | instid1(VALU_DEP_4)
	v_and_b32_e32 v9, s13, v24
	v_and_b32_e32 v8, s12, v25
	s_delay_alu instid0(VALU_DEP_1) | instskip(SKIP_1) | instid1(SALU_CYCLE_1)
	v_cmp_le_i64_e64 s2, v[8:9], v[6:7]
	s_and_b32 s2, s3, s2
	s_or_b32 s2, s4, s2
	s_delay_alu instid0(SALU_CYCLE_1) | instskip(SKIP_1) | instid1(VALU_DEP_2)
	v_cndmask_b32_e64 v6, v11, v1, s2
	v_cndmask_b32_e64 v7, s11, v10, s2
	v_add_nc_u32_e32 v16, 1, v6
	s_delay_alu instid0(VALU_DEP_1) | instskip(SKIP_1) | instid1(VALU_DEP_2)
	v_add_min_u32_e64 v6, v7, -1, v16
	v_dual_cndmask_b32 v1, v1, v16, s2 :: v_dual_cndmask_b32 v11, v16, v11, s2
	v_lshlrev_b32_e32 v6, 3, v6
	s_delay_alu instid0(VALU_DEP_2) | instskip(NEXT) | instid1(VALU_DEP_3)
	v_cmp_gt_u32_e64 s4, s9, v1
	v_cmp_le_u32_e64 s5, s11, v11
	ds_load_b64 v[6:7], v6
	s_wait_dscnt 0x0
	v_dual_cndmask_b32 v26, v7, v22, s2 :: v_dual_cndmask_b32 v27, v6, v23, s2
	v_dual_cndmask_b32 v29, v25, v6, s2 :: v_dual_cndmask_b32 v28, v24, v7, s2
	s_delay_alu instid0(VALU_DEP_2) | instskip(NEXT) | instid1(VALU_DEP_3)
	v_and_b32_e32 v7, s13, v26
	v_and_b32_e32 v6, s12, v27
	s_delay_alu instid0(VALU_DEP_3) | instskip(NEXT) | instid1(VALU_DEP_4)
	v_and_b32_e32 v8, s12, v29
	v_and_b32_e32 v9, s13, v28
	s_delay_alu instid0(VALU_DEP_1) | instskip(SKIP_1) | instid1(SALU_CYCLE_1)
	v_cmp_le_i64_e64 s3, v[8:9], v[6:7]
	s_and_b32 s3, s4, s3
	s_or_b32 s3, s5, s3
	s_delay_alu instid0(SALU_CYCLE_1) | instskip(SKIP_1) | instid1(VALU_DEP_2)
	v_cndmask_b32_e64 v6, v11, v1, s3
	v_cndmask_b32_e64 v7, s11, v10, s3
	v_add_nc_u32_e32 v16, 1, v6
	s_delay_alu instid0(VALU_DEP_1) | instskip(NEXT) | instid1(VALU_DEP_1)
	v_add_min_u32_e64 v6, v7, -1, v16
	v_dual_lshlrev_b32 v6, 3, v6 :: v_dual_cndmask_b32 v1, v1, v16, s3
	v_cndmask_b32_e64 v11, v16, v11, s3
	ds_load_b64 v[6:7], v6
	v_cmp_gt_u32_e64 s5, s9, v1
	v_cmp_le_u32_e64 s6, s11, v11
	s_wait_dscnt 0x0
	v_dual_cndmask_b32 v30, v7, v26, s3 :: v_dual_cndmask_b32 v31, v6, v27, s3
	v_dual_cndmask_b32 v33, v29, v6, s3 :: v_dual_cndmask_b32 v32, v28, v7, s3
	s_delay_alu instid0(VALU_DEP_2) | instskip(NEXT) | instid1(VALU_DEP_3)
	v_and_b32_e32 v7, s13, v30
	v_and_b32_e32 v6, s12, v31
	s_delay_alu instid0(VALU_DEP_3) | instskip(NEXT) | instid1(VALU_DEP_4)
	v_and_b32_e32 v8, s12, v33
	v_and_b32_e32 v9, s13, v32
	s_delay_alu instid0(VALU_DEP_1) | instskip(SKIP_1) | instid1(SALU_CYCLE_1)
	v_cmp_le_i64_e64 s4, v[8:9], v[6:7]
	s_and_b32 s4, s5, s4
	s_or_b32 s4, s6, s4
	s_delay_alu instid0(SALU_CYCLE_1) | instskip(SKIP_1) | instid1(VALU_DEP_2)
	v_cndmask_b32_e64 v6, v11, v1, s4
	v_cndmask_b32_e64 v7, s11, v10, s4
	v_add_nc_u32_e32 v16, 1, v6
	s_delay_alu instid0(VALU_DEP_1) | instskip(SKIP_1) | instid1(VALU_DEP_2)
	v_add_min_u32_e64 v6, v7, -1, v16
	v_dual_cndmask_b32 v1, v1, v16, s4 :: v_dual_cndmask_b32 v16, v16, v11, s4
	v_dual_cndmask_b32 v11, v26, v28, s3 :: v_dual_lshlrev_b32 v6, 3, v6
	s_delay_alu instid0(VALU_DEP_2) | instskip(NEXT) | instid1(VALU_DEP_3)
	v_cmp_gt_u32_e64 s6, s9, v1
	v_cmp_le_u32_e64 s7, s11, v16
	ds_load_b64 v[6:7], v6
	s_wait_dscnt 0x0
	v_dual_cndmask_b32 v34, v7, v30, s4 :: v_dual_cndmask_b32 v35, v6, v31, s4
	v_dual_cndmask_b32 v37, v33, v6, s4 :: v_dual_cndmask_b32 v36, v32, v7, s4
	s_delay_alu instid0(VALU_DEP_2) | instskip(NEXT) | instid1(VALU_DEP_3)
	v_and_b32_e32 v7, s13, v34
	v_and_b32_e32 v6, s12, v35
	s_delay_alu instid0(VALU_DEP_3) | instskip(NEXT) | instid1(VALU_DEP_4)
	v_and_b32_e32 v8, s12, v37
	v_and_b32_e32 v9, s13, v36
	s_delay_alu instid0(VALU_DEP_1) | instskip(SKIP_1) | instid1(SALU_CYCLE_1)
	v_cmp_le_i64_e64 s5, v[8:9], v[6:7]
	s_and_b32 s5, s6, s5
	s_or_b32 s5, s7, s5
	s_delay_alu instid0(SALU_CYCLE_1) | instskip(SKIP_1) | instid1(VALU_DEP_2)
	v_cndmask_b32_e64 v6, v16, v1, s5
	v_cndmask_b32_e64 v7, s11, v10, s5
	v_add_nc_u32_e32 v10, 1, v6
	s_delay_alu instid0(VALU_DEP_1) | instskip(NEXT) | instid1(VALU_DEP_1)
	v_add_min_u32_e64 v6, v7, -1, v10
	v_dual_cndmask_b32 v7, v17, v19, s1 :: v_dual_lshlrev_b32 v6, 3, v6
	v_dual_cndmask_b32 v1, v1, v10, s5 :: v_dual_cndmask_b32 v16, v10, v16, s5
	v_cndmask_b32_e64 v10, v27, v29, s3
	ds_load_b64 v[8:9], v6
	v_cndmask_b32_e64 v6, v18, v21, s1
	v_cmp_le_u32_e64 s1, s11, v16
	v_cmp_gt_u32_e64 s0, s9, v1
	s_wait_dscnt 0x0
	v_dual_cndmask_b32 v17, v9, v34, s5 :: v_dual_cndmask_b32 v18, v8, v35, s5
	v_dual_cndmask_b32 v19, v36, v9, s5 :: v_dual_cndmask_b32 v21, v37, v8, s5
	s_delay_alu instid0(VALU_DEP_2) | instskip(NEXT) | instid1(VALU_DEP_3)
	v_dual_cndmask_b32 v9, v22, v24, s2 :: v_dual_bitop2_b32 v13, s13, v17 bitop3:0x40
	v_dual_cndmask_b32 v8, v23, v25, s2 :: v_dual_bitop2_b32 v12, s12, v18 bitop3:0x40
	s_delay_alu instid0(VALU_DEP_3) | instskip(NEXT) | instid1(VALU_DEP_4)
	v_and_b32_e32 v15, s13, v19
	v_and_b32_e32 v14, s12, v21
	s_delay_alu instid0(VALU_DEP_1) | instskip(SKIP_3) | instid1(SALU_CYCLE_1)
	v_cmp_le_i64_e32 vcc_lo, v[14:15], v[12:13]
	v_dual_cndmask_b32 v13, v30, v32, s4 :: v_dual_cndmask_b32 v12, v31, v33, s4
	v_dual_cndmask_b32 v15, v34, v36, s5 :: v_dual_cndmask_b32 v14, v35, v37, s5
	s_and_b32 s0, s0, vcc_lo
	s_or_b32 vcc_lo, s1, s0
	v_dual_cndmask_b32 v17, v17, v19 :: v_dual_cndmask_b32 v16, v18, v21
.LBB1173_29:
	s_or_b32 exec_lo, exec_lo, s17
	v_or_b32_e32 v25, 0x80, v0
	v_lshrrev_b32_e32 v1, 2, v0
	v_or_b32_e32 v22, 0x100, v0
	v_lshlrev_b32_e32 v18, 3, v20
	s_delay_alu instid0(VALU_DEP_4) | instskip(SKIP_1) | instid1(VALU_DEP_3)
	v_lshrrev_b32_e32 v19, 2, v25
	s_barrier_signal -1
	v_lshrrev_b32_e32 v21, 2, v22
	s_delay_alu instid0(VALU_DEP_3)
	v_lshl_add_u32 v18, v1, 3, v18
	s_barrier_wait -1
	s_barrier_signal -1
	s_barrier_wait -1
	ds_store_2addr_b64 v18, v[2:3], v[4:5] offset1:1
	ds_store_2addr_b64 v18, v[6:7], v[8:9] offset0:2 offset1:3
	v_and_b32_e32 v2, 56, v19
	v_and_b32_e32 v1, 24, v1
	v_or_b32_e32 v24, 0x180, v0
	v_and_b32_e32 v3, 0x58, v21
	v_or_b32_e32 v23, 0x200, v0
	s_delay_alu instid0(VALU_DEP_4) | instskip(NEXT) | instid1(VALU_DEP_4)
	v_dual_add_nc_u32 v6, v2, v20 :: v_dual_add_nc_u32 v26, v1, v20
	v_lshrrev_b32_e32 v1, 2, v24
	ds_store_2addr_b64 v18, v[10:11], v[12:13] offset0:4 offset1:5
	ds_store_2addr_b64 v18, v[14:15], v[16:17] offset0:6 offset1:7
	v_or_b32_e32 v19, 0x280, v0
	v_add_nc_u32_e32 v7, v3, v20
	v_or_b32_e32 v18, 0x300, v0
	v_lshrrev_b32_e32 v3, 2, v23
	v_and_b32_e32 v2, 0x78, v1
	v_or_b32_e32 v1, 0x380, v0
	s_delay_alu instid0(VALU_DEP_4) | instskip(SKIP_1) | instid1(VALU_DEP_2)
	v_dual_lshrrev_b32 v4, 2, v19 :: v_dual_lshrrev_b32 v5, 2, v18
	s_mov_b32 s11, 0
	v_dual_add_nc_u32 v8, v2, v20 :: v_dual_lshrrev_b32 v2, 2, v1
	v_mov_b32_e32 v21, 0
	v_and_b32_e32 v3, 0x98, v3
	s_lshl_b64 s[0:1], s[10:11], 3
	v_and_b32_e32 v4, 0xb8, v4
	v_and_b32_e32 v5, 0xd8, v5
	;; [unrolled: 1-line block ×3, first 2 shown]
	s_wait_kmcnt 0x0
	s_add_nc_u64 s[0:1], s[14:15], s[0:1]
	v_dual_add_nc_u32 v9, v3, v20 :: v_dual_add_nc_u32 v27, v4, v20
	v_add_nc_u64_e32 v[2:3], s[0:1], v[20:21]
	v_dual_add_nc_u32 v28, v5, v20 :: v_dual_add_nc_u32 v20, v10, v20
	s_and_b32 vcc_lo, exec_lo, s16
	s_wait_dscnt 0x0
	s_cbranch_vccz .LBB1173_31
; %bb.30:
	s_barrier_signal -1
	s_barrier_wait -1
	ds_load_b64 v[10:11], v26
	ds_load_b64 v[12:13], v6 offset:1024
	ds_load_b64 v[14:15], v7 offset:2048
	;; [unrolled: 1-line block ×7, first 2 shown]
	s_mov_b32 s11, -1
	s_wait_dscnt 0x7
	global_store_b64 v[2:3], v[10:11], off
	s_wait_dscnt 0x6
	global_store_b64 v[2:3], v[12:13], off offset:1024
	s_wait_dscnt 0x5
	global_store_b64 v[2:3], v[14:15], off offset:2048
	;; [unrolled: 2-line block ×6, first 2 shown]
	s_cbranch_execz .LBB1173_32
	s_branch .LBB1173_41
.LBB1173_31:
                                        ; implicit-def: $vgpr4_vgpr5
.LBB1173_32:
	s_barrier_signal -1
	s_barrier_wait -1
	s_wait_storecnt_dscnt 0x0
	s_wait_xcnt 0x3
	ds_load_b64 v[16:17], v6 offset:1024
	ds_load_b64 v[14:15], v7 offset:2048
	;; [unrolled: 1-line block ×7, first 2 shown]
	s_sub_co_i32 s0, s8, s10
	s_mov_b32 s1, exec_lo
	s_wait_xcnt 0x0
	v_cmpx_gt_u32_e64 s0, v0
	s_cbranch_execnz .LBB1173_46
; %bb.33:
	s_or_b32 exec_lo, exec_lo, s1
	s_delay_alu instid0(SALU_CYCLE_1)
	s_mov_b32 s1, exec_lo
	v_cmpx_gt_u32_e64 s0, v25
	s_cbranch_execnz .LBB1173_47
.LBB1173_34:
	s_or_b32 exec_lo, exec_lo, s1
	s_delay_alu instid0(SALU_CYCLE_1)
	s_mov_b32 s1, exec_lo
	v_cmpx_gt_u32_e64 s0, v22
	s_cbranch_execnz .LBB1173_48
.LBB1173_35:
	s_or_b32 exec_lo, exec_lo, s1
	s_delay_alu instid0(SALU_CYCLE_1)
	s_mov_b32 s1, exec_lo
	v_cmpx_gt_u32_e64 s0, v24
	s_cbranch_execnz .LBB1173_49
.LBB1173_36:
	s_or_b32 exec_lo, exec_lo, s1
	s_delay_alu instid0(SALU_CYCLE_1)
	s_mov_b32 s1, exec_lo
	v_cmpx_gt_u32_e64 s0, v23
	s_cbranch_execnz .LBB1173_50
.LBB1173_37:
	s_or_b32 exec_lo, exec_lo, s1
	s_delay_alu instid0(SALU_CYCLE_1)
	s_mov_b32 s1, exec_lo
	v_cmpx_gt_u32_e64 s0, v19
	s_cbranch_execnz .LBB1173_51
.LBB1173_38:
	s_or_b32 exec_lo, exec_lo, s1
	s_delay_alu instid0(SALU_CYCLE_1)
	s_mov_b32 s1, exec_lo
	v_cmpx_gt_u32_e64 s0, v18
	s_cbranch_execz .LBB1173_40
.LBB1173_39:
	s_wait_dscnt 0x1
	global_store_b64 v[2:3], v[6:7], off offset:6144
.LBB1173_40:
	s_wait_xcnt 0x0
	s_or_b32 exec_lo, exec_lo, s1
	v_cmp_gt_u32_e64 s11, s0, v1
.LBB1173_41:
	s_wait_xcnt 0x0
	s_delay_alu instid0(VALU_DEP_1)
	s_and_saveexec_b32 s0, s11
	s_cbranch_execz .LBB1173_43
; %bb.42:
	s_wait_dscnt 0x0
	global_store_b64 v[2:3], v[4:5], off offset:7168
.LBB1173_43:
	s_endpgm
.LBB1173_44:
	v_dual_mov_b32 v21, v2 :: v_dual_mov_b32 v5, v2
	v_sub_co_u32 v4, vcc_lo, v0, s9
	v_dual_mov_b32 v18, v2 :: v_dual_mov_b32 v19, v2
	s_delay_alu instid0(VALU_DEP_3) | instskip(NEXT) | instid1(VALU_DEP_3)
	v_add_nc_u64_e32 v[6:7], s[14:15], v[20:21]
	v_lshl_add_u64 v[4:5], v[4:5], 3, s[6:7]
	v_dual_mov_b32 v8, v2 :: v_dual_mov_b32 v9, v2
	v_dual_mov_b32 v10, v2 :: v_dual_mov_b32 v11, v2
	;; [unrolled: 1-line block ×3, first 2 shown]
	s_delay_alu instid0(VALU_DEP_4)
	v_dual_cndmask_b32 v5, v5, v7 :: v_dual_cndmask_b32 v4, v4, v6
	v_dual_mov_b32 v6, v2 :: v_dual_mov_b32 v7, v2
	v_dual_mov_b32 v14, v2 :: v_dual_mov_b32 v15, v2
	global_load_b64 v[4:5], v[4:5], off
	v_dual_mov_b32 v16, v2 :: v_dual_mov_b32 v17, v2
	s_wait_loadcnt 0x0
	v_mov_b64_e32 v[2:3], v[4:5]
	v_mov_b64_e32 v[4:5], v[6:7]
	;; [unrolled: 1-line block ×8, first 2 shown]
	s_or_b32 exec_lo, exec_lo, s2
	s_delay_alu instid0(SALU_CYCLE_1)
	s_mov_b32 s2, exec_lo
	v_cmpx_gt_u32_e64 s11, v24
	s_cbranch_execz .LBB1173_6
.LBB1173_45:
	v_mov_b32_e32 v25, 0
	s_delay_alu instid0(VALU_DEP_1) | instskip(SKIP_1) | instid1(VALU_DEP_1)
	v_lshl_add_u64 v[4:5], v[24:25], 3, s[14:15]
	v_sub_co_u32 v24, vcc_lo, v24, s9
	v_lshl_add_u64 v[18:19], v[24:25], 3, s[6:7]
	s_delay_alu instid0(VALU_DEP_1) | instskip(SKIP_3) | instid1(SALU_CYCLE_1)
	v_dual_cndmask_b32 v5, v19, v5 :: v_dual_cndmask_b32 v4, v18, v4
	global_load_b64 v[4:5], v[4:5], off
	s_wait_xcnt 0x0
	s_or_b32 exec_lo, exec_lo, s2
	s_mov_b32 s2, exec_lo
	v_cmpx_gt_u32_e64 s11, v22
	s_cbranch_execnz .LBB1173_7
	s_branch .LBB1173_8
.LBB1173_46:
	ds_load_b64 v[20:21], v26
	s_wait_dscnt 0x0
	global_store_b64 v[2:3], v[20:21], off
	s_wait_xcnt 0x0
	s_or_b32 exec_lo, exec_lo, s1
	s_delay_alu instid0(SALU_CYCLE_1)
	s_mov_b32 s1, exec_lo
	v_cmpx_gt_u32_e64 s0, v25
	s_cbranch_execz .LBB1173_34
.LBB1173_47:
	s_wait_dscnt 0x6
	global_store_b64 v[2:3], v[16:17], off offset:1024
	s_wait_xcnt 0x0
	s_or_b32 exec_lo, exec_lo, s1
	s_delay_alu instid0(SALU_CYCLE_1)
	s_mov_b32 s1, exec_lo
	v_cmpx_gt_u32_e64 s0, v22
	s_cbranch_execz .LBB1173_35
.LBB1173_48:
	s_wait_dscnt 0x5
	global_store_b64 v[2:3], v[14:15], off offset:2048
	s_wait_xcnt 0x0
	s_or_b32 exec_lo, exec_lo, s1
	s_delay_alu instid0(SALU_CYCLE_1)
	s_mov_b32 s1, exec_lo
	v_cmpx_gt_u32_e64 s0, v24
	s_cbranch_execz .LBB1173_36
.LBB1173_49:
	s_wait_dscnt 0x4
	global_store_b64 v[2:3], v[12:13], off offset:3072
	s_wait_xcnt 0x0
	s_or_b32 exec_lo, exec_lo, s1
	s_delay_alu instid0(SALU_CYCLE_1)
	s_mov_b32 s1, exec_lo
	v_cmpx_gt_u32_e64 s0, v23
	s_cbranch_execz .LBB1173_37
.LBB1173_50:
	s_wait_dscnt 0x3
	global_store_b64 v[2:3], v[10:11], off offset:4096
	s_wait_xcnt 0x0
	s_or_b32 exec_lo, exec_lo, s1
	s_delay_alu instid0(SALU_CYCLE_1)
	s_mov_b32 s1, exec_lo
	v_cmpx_gt_u32_e64 s0, v19
	s_cbranch_execz .LBB1173_38
.LBB1173_51:
	s_wait_dscnt 0x2
	global_store_b64 v[2:3], v[8:9], off offset:5120
	s_wait_xcnt 0x0
	s_or_b32 exec_lo, exec_lo, s1
	s_delay_alu instid0(SALU_CYCLE_1)
	s_mov_b32 s1, exec_lo
	v_cmpx_gt_u32_e64 s0, v18
	s_cbranch_execnz .LBB1173_39
	s_branch .LBB1173_40
	.section	.rodata,"a",@progbits
	.p2align	6, 0x0
	.amdhsa_kernel _ZN7rocprim17ROCPRIM_400000_NS6detail17trampoline_kernelINS0_14default_configENS1_38merge_sort_block_merge_config_selectorIlNS0_10empty_typeEEEZZNS1_27merge_sort_block_merge_implIS3_PlPS5_jNS1_19radix_merge_compareILb0ELb1ElNS0_19identity_decomposerEEEEE10hipError_tT0_T1_T2_jT3_P12ihipStream_tbPNSt15iterator_traitsISE_E10value_typeEPNSK_ISF_E10value_typeEPSG_NS1_7vsmem_tEENKUlT_SE_SF_SG_E_clIS8_S8_S9_S9_EESD_ST_SE_SF_SG_EUlST_E0_NS1_11comp_targetILNS1_3genE0ELNS1_11target_archE4294967295ELNS1_3gpuE0ELNS1_3repE0EEENS1_38merge_mergepath_config_static_selectorELNS0_4arch9wavefront6targetE0EEEvSF_
		.amdhsa_group_segment_fixed_size 8448
		.amdhsa_private_segment_fixed_size 0
		.amdhsa_kernarg_size 328
		.amdhsa_user_sgpr_count 2
		.amdhsa_user_sgpr_dispatch_ptr 0
		.amdhsa_user_sgpr_queue_ptr 0
		.amdhsa_user_sgpr_kernarg_segment_ptr 1
		.amdhsa_user_sgpr_dispatch_id 0
		.amdhsa_user_sgpr_kernarg_preload_length 0
		.amdhsa_user_sgpr_kernarg_preload_offset 0
		.amdhsa_user_sgpr_private_segment_size 0
		.amdhsa_wavefront_size32 1
		.amdhsa_uses_dynamic_stack 0
		.amdhsa_enable_private_segment 0
		.amdhsa_system_sgpr_workgroup_id_x 1
		.amdhsa_system_sgpr_workgroup_id_y 1
		.amdhsa_system_sgpr_workgroup_id_z 1
		.amdhsa_system_sgpr_workgroup_info 0
		.amdhsa_system_vgpr_workitem_id 0
		.amdhsa_next_free_vgpr 38
		.amdhsa_next_free_sgpr 23
		.amdhsa_named_barrier_count 0
		.amdhsa_reserve_vcc 1
		.amdhsa_float_round_mode_32 0
		.amdhsa_float_round_mode_16_64 0
		.amdhsa_float_denorm_mode_32 3
		.amdhsa_float_denorm_mode_16_64 3
		.amdhsa_fp16_overflow 0
		.amdhsa_memory_ordered 1
		.amdhsa_forward_progress 1
		.amdhsa_inst_pref_size 36
		.amdhsa_round_robin_scheduling 0
		.amdhsa_exception_fp_ieee_invalid_op 0
		.amdhsa_exception_fp_denorm_src 0
		.amdhsa_exception_fp_ieee_div_zero 0
		.amdhsa_exception_fp_ieee_overflow 0
		.amdhsa_exception_fp_ieee_underflow 0
		.amdhsa_exception_fp_ieee_inexact 0
		.amdhsa_exception_int_div_zero 0
	.end_amdhsa_kernel
	.section	.text._ZN7rocprim17ROCPRIM_400000_NS6detail17trampoline_kernelINS0_14default_configENS1_38merge_sort_block_merge_config_selectorIlNS0_10empty_typeEEEZZNS1_27merge_sort_block_merge_implIS3_PlPS5_jNS1_19radix_merge_compareILb0ELb1ElNS0_19identity_decomposerEEEEE10hipError_tT0_T1_T2_jT3_P12ihipStream_tbPNSt15iterator_traitsISE_E10value_typeEPNSK_ISF_E10value_typeEPSG_NS1_7vsmem_tEENKUlT_SE_SF_SG_E_clIS8_S8_S9_S9_EESD_ST_SE_SF_SG_EUlST_E0_NS1_11comp_targetILNS1_3genE0ELNS1_11target_archE4294967295ELNS1_3gpuE0ELNS1_3repE0EEENS1_38merge_mergepath_config_static_selectorELNS0_4arch9wavefront6targetE0EEEvSF_,"axG",@progbits,_ZN7rocprim17ROCPRIM_400000_NS6detail17trampoline_kernelINS0_14default_configENS1_38merge_sort_block_merge_config_selectorIlNS0_10empty_typeEEEZZNS1_27merge_sort_block_merge_implIS3_PlPS5_jNS1_19radix_merge_compareILb0ELb1ElNS0_19identity_decomposerEEEEE10hipError_tT0_T1_T2_jT3_P12ihipStream_tbPNSt15iterator_traitsISE_E10value_typeEPNSK_ISF_E10value_typeEPSG_NS1_7vsmem_tEENKUlT_SE_SF_SG_E_clIS8_S8_S9_S9_EESD_ST_SE_SF_SG_EUlST_E0_NS1_11comp_targetILNS1_3genE0ELNS1_11target_archE4294967295ELNS1_3gpuE0ELNS1_3repE0EEENS1_38merge_mergepath_config_static_selectorELNS0_4arch9wavefront6targetE0EEEvSF_,comdat
.Lfunc_end1173:
	.size	_ZN7rocprim17ROCPRIM_400000_NS6detail17trampoline_kernelINS0_14default_configENS1_38merge_sort_block_merge_config_selectorIlNS0_10empty_typeEEEZZNS1_27merge_sort_block_merge_implIS3_PlPS5_jNS1_19radix_merge_compareILb0ELb1ElNS0_19identity_decomposerEEEEE10hipError_tT0_T1_T2_jT3_P12ihipStream_tbPNSt15iterator_traitsISE_E10value_typeEPNSK_ISF_E10value_typeEPSG_NS1_7vsmem_tEENKUlT_SE_SF_SG_E_clIS8_S8_S9_S9_EESD_ST_SE_SF_SG_EUlST_E0_NS1_11comp_targetILNS1_3genE0ELNS1_11target_archE4294967295ELNS1_3gpuE0ELNS1_3repE0EEENS1_38merge_mergepath_config_static_selectorELNS0_4arch9wavefront6targetE0EEEvSF_, .Lfunc_end1173-_ZN7rocprim17ROCPRIM_400000_NS6detail17trampoline_kernelINS0_14default_configENS1_38merge_sort_block_merge_config_selectorIlNS0_10empty_typeEEEZZNS1_27merge_sort_block_merge_implIS3_PlPS5_jNS1_19radix_merge_compareILb0ELb1ElNS0_19identity_decomposerEEEEE10hipError_tT0_T1_T2_jT3_P12ihipStream_tbPNSt15iterator_traitsISE_E10value_typeEPNSK_ISF_E10value_typeEPSG_NS1_7vsmem_tEENKUlT_SE_SF_SG_E_clIS8_S8_S9_S9_EESD_ST_SE_SF_SG_EUlST_E0_NS1_11comp_targetILNS1_3genE0ELNS1_11target_archE4294967295ELNS1_3gpuE0ELNS1_3repE0EEENS1_38merge_mergepath_config_static_selectorELNS0_4arch9wavefront6targetE0EEEvSF_
                                        ; -- End function
	.set _ZN7rocprim17ROCPRIM_400000_NS6detail17trampoline_kernelINS0_14default_configENS1_38merge_sort_block_merge_config_selectorIlNS0_10empty_typeEEEZZNS1_27merge_sort_block_merge_implIS3_PlPS5_jNS1_19radix_merge_compareILb0ELb1ElNS0_19identity_decomposerEEEEE10hipError_tT0_T1_T2_jT3_P12ihipStream_tbPNSt15iterator_traitsISE_E10value_typeEPNSK_ISF_E10value_typeEPSG_NS1_7vsmem_tEENKUlT_SE_SF_SG_E_clIS8_S8_S9_S9_EESD_ST_SE_SF_SG_EUlST_E0_NS1_11comp_targetILNS1_3genE0ELNS1_11target_archE4294967295ELNS1_3gpuE0ELNS1_3repE0EEENS1_38merge_mergepath_config_static_selectorELNS0_4arch9wavefront6targetE0EEEvSF_.num_vgpr, 38
	.set _ZN7rocprim17ROCPRIM_400000_NS6detail17trampoline_kernelINS0_14default_configENS1_38merge_sort_block_merge_config_selectorIlNS0_10empty_typeEEEZZNS1_27merge_sort_block_merge_implIS3_PlPS5_jNS1_19radix_merge_compareILb0ELb1ElNS0_19identity_decomposerEEEEE10hipError_tT0_T1_T2_jT3_P12ihipStream_tbPNSt15iterator_traitsISE_E10value_typeEPNSK_ISF_E10value_typeEPSG_NS1_7vsmem_tEENKUlT_SE_SF_SG_E_clIS8_S8_S9_S9_EESD_ST_SE_SF_SG_EUlST_E0_NS1_11comp_targetILNS1_3genE0ELNS1_11target_archE4294967295ELNS1_3gpuE0ELNS1_3repE0EEENS1_38merge_mergepath_config_static_selectorELNS0_4arch9wavefront6targetE0EEEvSF_.num_agpr, 0
	.set _ZN7rocprim17ROCPRIM_400000_NS6detail17trampoline_kernelINS0_14default_configENS1_38merge_sort_block_merge_config_selectorIlNS0_10empty_typeEEEZZNS1_27merge_sort_block_merge_implIS3_PlPS5_jNS1_19radix_merge_compareILb0ELb1ElNS0_19identity_decomposerEEEEE10hipError_tT0_T1_T2_jT3_P12ihipStream_tbPNSt15iterator_traitsISE_E10value_typeEPNSK_ISF_E10value_typeEPSG_NS1_7vsmem_tEENKUlT_SE_SF_SG_E_clIS8_S8_S9_S9_EESD_ST_SE_SF_SG_EUlST_E0_NS1_11comp_targetILNS1_3genE0ELNS1_11target_archE4294967295ELNS1_3gpuE0ELNS1_3repE0EEENS1_38merge_mergepath_config_static_selectorELNS0_4arch9wavefront6targetE0EEEvSF_.numbered_sgpr, 23
	.set _ZN7rocprim17ROCPRIM_400000_NS6detail17trampoline_kernelINS0_14default_configENS1_38merge_sort_block_merge_config_selectorIlNS0_10empty_typeEEEZZNS1_27merge_sort_block_merge_implIS3_PlPS5_jNS1_19radix_merge_compareILb0ELb1ElNS0_19identity_decomposerEEEEE10hipError_tT0_T1_T2_jT3_P12ihipStream_tbPNSt15iterator_traitsISE_E10value_typeEPNSK_ISF_E10value_typeEPSG_NS1_7vsmem_tEENKUlT_SE_SF_SG_E_clIS8_S8_S9_S9_EESD_ST_SE_SF_SG_EUlST_E0_NS1_11comp_targetILNS1_3genE0ELNS1_11target_archE4294967295ELNS1_3gpuE0ELNS1_3repE0EEENS1_38merge_mergepath_config_static_selectorELNS0_4arch9wavefront6targetE0EEEvSF_.num_named_barrier, 0
	.set _ZN7rocprim17ROCPRIM_400000_NS6detail17trampoline_kernelINS0_14default_configENS1_38merge_sort_block_merge_config_selectorIlNS0_10empty_typeEEEZZNS1_27merge_sort_block_merge_implIS3_PlPS5_jNS1_19radix_merge_compareILb0ELb1ElNS0_19identity_decomposerEEEEE10hipError_tT0_T1_T2_jT3_P12ihipStream_tbPNSt15iterator_traitsISE_E10value_typeEPNSK_ISF_E10value_typeEPSG_NS1_7vsmem_tEENKUlT_SE_SF_SG_E_clIS8_S8_S9_S9_EESD_ST_SE_SF_SG_EUlST_E0_NS1_11comp_targetILNS1_3genE0ELNS1_11target_archE4294967295ELNS1_3gpuE0ELNS1_3repE0EEENS1_38merge_mergepath_config_static_selectorELNS0_4arch9wavefront6targetE0EEEvSF_.private_seg_size, 0
	.set _ZN7rocprim17ROCPRIM_400000_NS6detail17trampoline_kernelINS0_14default_configENS1_38merge_sort_block_merge_config_selectorIlNS0_10empty_typeEEEZZNS1_27merge_sort_block_merge_implIS3_PlPS5_jNS1_19radix_merge_compareILb0ELb1ElNS0_19identity_decomposerEEEEE10hipError_tT0_T1_T2_jT3_P12ihipStream_tbPNSt15iterator_traitsISE_E10value_typeEPNSK_ISF_E10value_typeEPSG_NS1_7vsmem_tEENKUlT_SE_SF_SG_E_clIS8_S8_S9_S9_EESD_ST_SE_SF_SG_EUlST_E0_NS1_11comp_targetILNS1_3genE0ELNS1_11target_archE4294967295ELNS1_3gpuE0ELNS1_3repE0EEENS1_38merge_mergepath_config_static_selectorELNS0_4arch9wavefront6targetE0EEEvSF_.uses_vcc, 1
	.set _ZN7rocprim17ROCPRIM_400000_NS6detail17trampoline_kernelINS0_14default_configENS1_38merge_sort_block_merge_config_selectorIlNS0_10empty_typeEEEZZNS1_27merge_sort_block_merge_implIS3_PlPS5_jNS1_19radix_merge_compareILb0ELb1ElNS0_19identity_decomposerEEEEE10hipError_tT0_T1_T2_jT3_P12ihipStream_tbPNSt15iterator_traitsISE_E10value_typeEPNSK_ISF_E10value_typeEPSG_NS1_7vsmem_tEENKUlT_SE_SF_SG_E_clIS8_S8_S9_S9_EESD_ST_SE_SF_SG_EUlST_E0_NS1_11comp_targetILNS1_3genE0ELNS1_11target_archE4294967295ELNS1_3gpuE0ELNS1_3repE0EEENS1_38merge_mergepath_config_static_selectorELNS0_4arch9wavefront6targetE0EEEvSF_.uses_flat_scratch, 0
	.set _ZN7rocprim17ROCPRIM_400000_NS6detail17trampoline_kernelINS0_14default_configENS1_38merge_sort_block_merge_config_selectorIlNS0_10empty_typeEEEZZNS1_27merge_sort_block_merge_implIS3_PlPS5_jNS1_19radix_merge_compareILb0ELb1ElNS0_19identity_decomposerEEEEE10hipError_tT0_T1_T2_jT3_P12ihipStream_tbPNSt15iterator_traitsISE_E10value_typeEPNSK_ISF_E10value_typeEPSG_NS1_7vsmem_tEENKUlT_SE_SF_SG_E_clIS8_S8_S9_S9_EESD_ST_SE_SF_SG_EUlST_E0_NS1_11comp_targetILNS1_3genE0ELNS1_11target_archE4294967295ELNS1_3gpuE0ELNS1_3repE0EEENS1_38merge_mergepath_config_static_selectorELNS0_4arch9wavefront6targetE0EEEvSF_.has_dyn_sized_stack, 0
	.set _ZN7rocprim17ROCPRIM_400000_NS6detail17trampoline_kernelINS0_14default_configENS1_38merge_sort_block_merge_config_selectorIlNS0_10empty_typeEEEZZNS1_27merge_sort_block_merge_implIS3_PlPS5_jNS1_19radix_merge_compareILb0ELb1ElNS0_19identity_decomposerEEEEE10hipError_tT0_T1_T2_jT3_P12ihipStream_tbPNSt15iterator_traitsISE_E10value_typeEPNSK_ISF_E10value_typeEPSG_NS1_7vsmem_tEENKUlT_SE_SF_SG_E_clIS8_S8_S9_S9_EESD_ST_SE_SF_SG_EUlST_E0_NS1_11comp_targetILNS1_3genE0ELNS1_11target_archE4294967295ELNS1_3gpuE0ELNS1_3repE0EEENS1_38merge_mergepath_config_static_selectorELNS0_4arch9wavefront6targetE0EEEvSF_.has_recursion, 0
	.set _ZN7rocprim17ROCPRIM_400000_NS6detail17trampoline_kernelINS0_14default_configENS1_38merge_sort_block_merge_config_selectorIlNS0_10empty_typeEEEZZNS1_27merge_sort_block_merge_implIS3_PlPS5_jNS1_19radix_merge_compareILb0ELb1ElNS0_19identity_decomposerEEEEE10hipError_tT0_T1_T2_jT3_P12ihipStream_tbPNSt15iterator_traitsISE_E10value_typeEPNSK_ISF_E10value_typeEPSG_NS1_7vsmem_tEENKUlT_SE_SF_SG_E_clIS8_S8_S9_S9_EESD_ST_SE_SF_SG_EUlST_E0_NS1_11comp_targetILNS1_3genE0ELNS1_11target_archE4294967295ELNS1_3gpuE0ELNS1_3repE0EEENS1_38merge_mergepath_config_static_selectorELNS0_4arch9wavefront6targetE0EEEvSF_.has_indirect_call, 0
	.section	.AMDGPU.csdata,"",@progbits
; Kernel info:
; codeLenInByte = 4572
; TotalNumSgprs: 25
; NumVgprs: 38
; ScratchSize: 0
; MemoryBound: 0
; FloatMode: 240
; IeeeMode: 1
; LDSByteSize: 8448 bytes/workgroup (compile time only)
; SGPRBlocks: 0
; VGPRBlocks: 2
; NumSGPRsForWavesPerEU: 25
; NumVGPRsForWavesPerEU: 38
; NamedBarCnt: 0
; Occupancy: 16
; WaveLimiterHint : 1
; COMPUTE_PGM_RSRC2:SCRATCH_EN: 0
; COMPUTE_PGM_RSRC2:USER_SGPR: 2
; COMPUTE_PGM_RSRC2:TRAP_HANDLER: 0
; COMPUTE_PGM_RSRC2:TGID_X_EN: 1
; COMPUTE_PGM_RSRC2:TGID_Y_EN: 1
; COMPUTE_PGM_RSRC2:TGID_Z_EN: 1
; COMPUTE_PGM_RSRC2:TIDIG_COMP_CNT: 0
	.section	.text._ZN7rocprim17ROCPRIM_400000_NS6detail17trampoline_kernelINS0_14default_configENS1_38merge_sort_block_merge_config_selectorIlNS0_10empty_typeEEEZZNS1_27merge_sort_block_merge_implIS3_PlPS5_jNS1_19radix_merge_compareILb0ELb1ElNS0_19identity_decomposerEEEEE10hipError_tT0_T1_T2_jT3_P12ihipStream_tbPNSt15iterator_traitsISE_E10value_typeEPNSK_ISF_E10value_typeEPSG_NS1_7vsmem_tEENKUlT_SE_SF_SG_E_clIS8_S8_S9_S9_EESD_ST_SE_SF_SG_EUlST_E0_NS1_11comp_targetILNS1_3genE10ELNS1_11target_archE1201ELNS1_3gpuE5ELNS1_3repE0EEENS1_38merge_mergepath_config_static_selectorELNS0_4arch9wavefront6targetE0EEEvSF_,"axG",@progbits,_ZN7rocprim17ROCPRIM_400000_NS6detail17trampoline_kernelINS0_14default_configENS1_38merge_sort_block_merge_config_selectorIlNS0_10empty_typeEEEZZNS1_27merge_sort_block_merge_implIS3_PlPS5_jNS1_19radix_merge_compareILb0ELb1ElNS0_19identity_decomposerEEEEE10hipError_tT0_T1_T2_jT3_P12ihipStream_tbPNSt15iterator_traitsISE_E10value_typeEPNSK_ISF_E10value_typeEPSG_NS1_7vsmem_tEENKUlT_SE_SF_SG_E_clIS8_S8_S9_S9_EESD_ST_SE_SF_SG_EUlST_E0_NS1_11comp_targetILNS1_3genE10ELNS1_11target_archE1201ELNS1_3gpuE5ELNS1_3repE0EEENS1_38merge_mergepath_config_static_selectorELNS0_4arch9wavefront6targetE0EEEvSF_,comdat
	.protected	_ZN7rocprim17ROCPRIM_400000_NS6detail17trampoline_kernelINS0_14default_configENS1_38merge_sort_block_merge_config_selectorIlNS0_10empty_typeEEEZZNS1_27merge_sort_block_merge_implIS3_PlPS5_jNS1_19radix_merge_compareILb0ELb1ElNS0_19identity_decomposerEEEEE10hipError_tT0_T1_T2_jT3_P12ihipStream_tbPNSt15iterator_traitsISE_E10value_typeEPNSK_ISF_E10value_typeEPSG_NS1_7vsmem_tEENKUlT_SE_SF_SG_E_clIS8_S8_S9_S9_EESD_ST_SE_SF_SG_EUlST_E0_NS1_11comp_targetILNS1_3genE10ELNS1_11target_archE1201ELNS1_3gpuE5ELNS1_3repE0EEENS1_38merge_mergepath_config_static_selectorELNS0_4arch9wavefront6targetE0EEEvSF_ ; -- Begin function _ZN7rocprim17ROCPRIM_400000_NS6detail17trampoline_kernelINS0_14default_configENS1_38merge_sort_block_merge_config_selectorIlNS0_10empty_typeEEEZZNS1_27merge_sort_block_merge_implIS3_PlPS5_jNS1_19radix_merge_compareILb0ELb1ElNS0_19identity_decomposerEEEEE10hipError_tT0_T1_T2_jT3_P12ihipStream_tbPNSt15iterator_traitsISE_E10value_typeEPNSK_ISF_E10value_typeEPSG_NS1_7vsmem_tEENKUlT_SE_SF_SG_E_clIS8_S8_S9_S9_EESD_ST_SE_SF_SG_EUlST_E0_NS1_11comp_targetILNS1_3genE10ELNS1_11target_archE1201ELNS1_3gpuE5ELNS1_3repE0EEENS1_38merge_mergepath_config_static_selectorELNS0_4arch9wavefront6targetE0EEEvSF_
	.globl	_ZN7rocprim17ROCPRIM_400000_NS6detail17trampoline_kernelINS0_14default_configENS1_38merge_sort_block_merge_config_selectorIlNS0_10empty_typeEEEZZNS1_27merge_sort_block_merge_implIS3_PlPS5_jNS1_19radix_merge_compareILb0ELb1ElNS0_19identity_decomposerEEEEE10hipError_tT0_T1_T2_jT3_P12ihipStream_tbPNSt15iterator_traitsISE_E10value_typeEPNSK_ISF_E10value_typeEPSG_NS1_7vsmem_tEENKUlT_SE_SF_SG_E_clIS8_S8_S9_S9_EESD_ST_SE_SF_SG_EUlST_E0_NS1_11comp_targetILNS1_3genE10ELNS1_11target_archE1201ELNS1_3gpuE5ELNS1_3repE0EEENS1_38merge_mergepath_config_static_selectorELNS0_4arch9wavefront6targetE0EEEvSF_
	.p2align	8
	.type	_ZN7rocprim17ROCPRIM_400000_NS6detail17trampoline_kernelINS0_14default_configENS1_38merge_sort_block_merge_config_selectorIlNS0_10empty_typeEEEZZNS1_27merge_sort_block_merge_implIS3_PlPS5_jNS1_19radix_merge_compareILb0ELb1ElNS0_19identity_decomposerEEEEE10hipError_tT0_T1_T2_jT3_P12ihipStream_tbPNSt15iterator_traitsISE_E10value_typeEPNSK_ISF_E10value_typeEPSG_NS1_7vsmem_tEENKUlT_SE_SF_SG_E_clIS8_S8_S9_S9_EESD_ST_SE_SF_SG_EUlST_E0_NS1_11comp_targetILNS1_3genE10ELNS1_11target_archE1201ELNS1_3gpuE5ELNS1_3repE0EEENS1_38merge_mergepath_config_static_selectorELNS0_4arch9wavefront6targetE0EEEvSF_,@function
_ZN7rocprim17ROCPRIM_400000_NS6detail17trampoline_kernelINS0_14default_configENS1_38merge_sort_block_merge_config_selectorIlNS0_10empty_typeEEEZZNS1_27merge_sort_block_merge_implIS3_PlPS5_jNS1_19radix_merge_compareILb0ELb1ElNS0_19identity_decomposerEEEEE10hipError_tT0_T1_T2_jT3_P12ihipStream_tbPNSt15iterator_traitsISE_E10value_typeEPNSK_ISF_E10value_typeEPSG_NS1_7vsmem_tEENKUlT_SE_SF_SG_E_clIS8_S8_S9_S9_EESD_ST_SE_SF_SG_EUlST_E0_NS1_11comp_targetILNS1_3genE10ELNS1_11target_archE1201ELNS1_3gpuE5ELNS1_3repE0EEENS1_38merge_mergepath_config_static_selectorELNS0_4arch9wavefront6targetE0EEEvSF_: ; @_ZN7rocprim17ROCPRIM_400000_NS6detail17trampoline_kernelINS0_14default_configENS1_38merge_sort_block_merge_config_selectorIlNS0_10empty_typeEEEZZNS1_27merge_sort_block_merge_implIS3_PlPS5_jNS1_19radix_merge_compareILb0ELb1ElNS0_19identity_decomposerEEEEE10hipError_tT0_T1_T2_jT3_P12ihipStream_tbPNSt15iterator_traitsISE_E10value_typeEPNSK_ISF_E10value_typeEPSG_NS1_7vsmem_tEENKUlT_SE_SF_SG_E_clIS8_S8_S9_S9_EESD_ST_SE_SF_SG_EUlST_E0_NS1_11comp_targetILNS1_3genE10ELNS1_11target_archE1201ELNS1_3gpuE5ELNS1_3repE0EEENS1_38merge_mergepath_config_static_selectorELNS0_4arch9wavefront6targetE0EEEvSF_
; %bb.0:
	.section	.rodata,"a",@progbits
	.p2align	6, 0x0
	.amdhsa_kernel _ZN7rocprim17ROCPRIM_400000_NS6detail17trampoline_kernelINS0_14default_configENS1_38merge_sort_block_merge_config_selectorIlNS0_10empty_typeEEEZZNS1_27merge_sort_block_merge_implIS3_PlPS5_jNS1_19radix_merge_compareILb0ELb1ElNS0_19identity_decomposerEEEEE10hipError_tT0_T1_T2_jT3_P12ihipStream_tbPNSt15iterator_traitsISE_E10value_typeEPNSK_ISF_E10value_typeEPSG_NS1_7vsmem_tEENKUlT_SE_SF_SG_E_clIS8_S8_S9_S9_EESD_ST_SE_SF_SG_EUlST_E0_NS1_11comp_targetILNS1_3genE10ELNS1_11target_archE1201ELNS1_3gpuE5ELNS1_3repE0EEENS1_38merge_mergepath_config_static_selectorELNS0_4arch9wavefront6targetE0EEEvSF_
		.amdhsa_group_segment_fixed_size 0
		.amdhsa_private_segment_fixed_size 0
		.amdhsa_kernarg_size 72
		.amdhsa_user_sgpr_count 2
		.amdhsa_user_sgpr_dispatch_ptr 0
		.amdhsa_user_sgpr_queue_ptr 0
		.amdhsa_user_sgpr_kernarg_segment_ptr 1
		.amdhsa_user_sgpr_dispatch_id 0
		.amdhsa_user_sgpr_kernarg_preload_length 0
		.amdhsa_user_sgpr_kernarg_preload_offset 0
		.amdhsa_user_sgpr_private_segment_size 0
		.amdhsa_wavefront_size32 1
		.amdhsa_uses_dynamic_stack 0
		.amdhsa_enable_private_segment 0
		.amdhsa_system_sgpr_workgroup_id_x 1
		.amdhsa_system_sgpr_workgroup_id_y 0
		.amdhsa_system_sgpr_workgroup_id_z 0
		.amdhsa_system_sgpr_workgroup_info 0
		.amdhsa_system_vgpr_workitem_id 0
		.amdhsa_next_free_vgpr 1
		.amdhsa_next_free_sgpr 1
		.amdhsa_named_barrier_count 0
		.amdhsa_reserve_vcc 0
		.amdhsa_float_round_mode_32 0
		.amdhsa_float_round_mode_16_64 0
		.amdhsa_float_denorm_mode_32 3
		.amdhsa_float_denorm_mode_16_64 3
		.amdhsa_fp16_overflow 0
		.amdhsa_memory_ordered 1
		.amdhsa_forward_progress 1
		.amdhsa_inst_pref_size 0
		.amdhsa_round_robin_scheduling 0
		.amdhsa_exception_fp_ieee_invalid_op 0
		.amdhsa_exception_fp_denorm_src 0
		.amdhsa_exception_fp_ieee_div_zero 0
		.amdhsa_exception_fp_ieee_overflow 0
		.amdhsa_exception_fp_ieee_underflow 0
		.amdhsa_exception_fp_ieee_inexact 0
		.amdhsa_exception_int_div_zero 0
	.end_amdhsa_kernel
	.section	.text._ZN7rocprim17ROCPRIM_400000_NS6detail17trampoline_kernelINS0_14default_configENS1_38merge_sort_block_merge_config_selectorIlNS0_10empty_typeEEEZZNS1_27merge_sort_block_merge_implIS3_PlPS5_jNS1_19radix_merge_compareILb0ELb1ElNS0_19identity_decomposerEEEEE10hipError_tT0_T1_T2_jT3_P12ihipStream_tbPNSt15iterator_traitsISE_E10value_typeEPNSK_ISF_E10value_typeEPSG_NS1_7vsmem_tEENKUlT_SE_SF_SG_E_clIS8_S8_S9_S9_EESD_ST_SE_SF_SG_EUlST_E0_NS1_11comp_targetILNS1_3genE10ELNS1_11target_archE1201ELNS1_3gpuE5ELNS1_3repE0EEENS1_38merge_mergepath_config_static_selectorELNS0_4arch9wavefront6targetE0EEEvSF_,"axG",@progbits,_ZN7rocprim17ROCPRIM_400000_NS6detail17trampoline_kernelINS0_14default_configENS1_38merge_sort_block_merge_config_selectorIlNS0_10empty_typeEEEZZNS1_27merge_sort_block_merge_implIS3_PlPS5_jNS1_19radix_merge_compareILb0ELb1ElNS0_19identity_decomposerEEEEE10hipError_tT0_T1_T2_jT3_P12ihipStream_tbPNSt15iterator_traitsISE_E10value_typeEPNSK_ISF_E10value_typeEPSG_NS1_7vsmem_tEENKUlT_SE_SF_SG_E_clIS8_S8_S9_S9_EESD_ST_SE_SF_SG_EUlST_E0_NS1_11comp_targetILNS1_3genE10ELNS1_11target_archE1201ELNS1_3gpuE5ELNS1_3repE0EEENS1_38merge_mergepath_config_static_selectorELNS0_4arch9wavefront6targetE0EEEvSF_,comdat
.Lfunc_end1174:
	.size	_ZN7rocprim17ROCPRIM_400000_NS6detail17trampoline_kernelINS0_14default_configENS1_38merge_sort_block_merge_config_selectorIlNS0_10empty_typeEEEZZNS1_27merge_sort_block_merge_implIS3_PlPS5_jNS1_19radix_merge_compareILb0ELb1ElNS0_19identity_decomposerEEEEE10hipError_tT0_T1_T2_jT3_P12ihipStream_tbPNSt15iterator_traitsISE_E10value_typeEPNSK_ISF_E10value_typeEPSG_NS1_7vsmem_tEENKUlT_SE_SF_SG_E_clIS8_S8_S9_S9_EESD_ST_SE_SF_SG_EUlST_E0_NS1_11comp_targetILNS1_3genE10ELNS1_11target_archE1201ELNS1_3gpuE5ELNS1_3repE0EEENS1_38merge_mergepath_config_static_selectorELNS0_4arch9wavefront6targetE0EEEvSF_, .Lfunc_end1174-_ZN7rocprim17ROCPRIM_400000_NS6detail17trampoline_kernelINS0_14default_configENS1_38merge_sort_block_merge_config_selectorIlNS0_10empty_typeEEEZZNS1_27merge_sort_block_merge_implIS3_PlPS5_jNS1_19radix_merge_compareILb0ELb1ElNS0_19identity_decomposerEEEEE10hipError_tT0_T1_T2_jT3_P12ihipStream_tbPNSt15iterator_traitsISE_E10value_typeEPNSK_ISF_E10value_typeEPSG_NS1_7vsmem_tEENKUlT_SE_SF_SG_E_clIS8_S8_S9_S9_EESD_ST_SE_SF_SG_EUlST_E0_NS1_11comp_targetILNS1_3genE10ELNS1_11target_archE1201ELNS1_3gpuE5ELNS1_3repE0EEENS1_38merge_mergepath_config_static_selectorELNS0_4arch9wavefront6targetE0EEEvSF_
                                        ; -- End function
	.set _ZN7rocprim17ROCPRIM_400000_NS6detail17trampoline_kernelINS0_14default_configENS1_38merge_sort_block_merge_config_selectorIlNS0_10empty_typeEEEZZNS1_27merge_sort_block_merge_implIS3_PlPS5_jNS1_19radix_merge_compareILb0ELb1ElNS0_19identity_decomposerEEEEE10hipError_tT0_T1_T2_jT3_P12ihipStream_tbPNSt15iterator_traitsISE_E10value_typeEPNSK_ISF_E10value_typeEPSG_NS1_7vsmem_tEENKUlT_SE_SF_SG_E_clIS8_S8_S9_S9_EESD_ST_SE_SF_SG_EUlST_E0_NS1_11comp_targetILNS1_3genE10ELNS1_11target_archE1201ELNS1_3gpuE5ELNS1_3repE0EEENS1_38merge_mergepath_config_static_selectorELNS0_4arch9wavefront6targetE0EEEvSF_.num_vgpr, 0
	.set _ZN7rocprim17ROCPRIM_400000_NS6detail17trampoline_kernelINS0_14default_configENS1_38merge_sort_block_merge_config_selectorIlNS0_10empty_typeEEEZZNS1_27merge_sort_block_merge_implIS3_PlPS5_jNS1_19radix_merge_compareILb0ELb1ElNS0_19identity_decomposerEEEEE10hipError_tT0_T1_T2_jT3_P12ihipStream_tbPNSt15iterator_traitsISE_E10value_typeEPNSK_ISF_E10value_typeEPSG_NS1_7vsmem_tEENKUlT_SE_SF_SG_E_clIS8_S8_S9_S9_EESD_ST_SE_SF_SG_EUlST_E0_NS1_11comp_targetILNS1_3genE10ELNS1_11target_archE1201ELNS1_3gpuE5ELNS1_3repE0EEENS1_38merge_mergepath_config_static_selectorELNS0_4arch9wavefront6targetE0EEEvSF_.num_agpr, 0
	.set _ZN7rocprim17ROCPRIM_400000_NS6detail17trampoline_kernelINS0_14default_configENS1_38merge_sort_block_merge_config_selectorIlNS0_10empty_typeEEEZZNS1_27merge_sort_block_merge_implIS3_PlPS5_jNS1_19radix_merge_compareILb0ELb1ElNS0_19identity_decomposerEEEEE10hipError_tT0_T1_T2_jT3_P12ihipStream_tbPNSt15iterator_traitsISE_E10value_typeEPNSK_ISF_E10value_typeEPSG_NS1_7vsmem_tEENKUlT_SE_SF_SG_E_clIS8_S8_S9_S9_EESD_ST_SE_SF_SG_EUlST_E0_NS1_11comp_targetILNS1_3genE10ELNS1_11target_archE1201ELNS1_3gpuE5ELNS1_3repE0EEENS1_38merge_mergepath_config_static_selectorELNS0_4arch9wavefront6targetE0EEEvSF_.numbered_sgpr, 0
	.set _ZN7rocprim17ROCPRIM_400000_NS6detail17trampoline_kernelINS0_14default_configENS1_38merge_sort_block_merge_config_selectorIlNS0_10empty_typeEEEZZNS1_27merge_sort_block_merge_implIS3_PlPS5_jNS1_19radix_merge_compareILb0ELb1ElNS0_19identity_decomposerEEEEE10hipError_tT0_T1_T2_jT3_P12ihipStream_tbPNSt15iterator_traitsISE_E10value_typeEPNSK_ISF_E10value_typeEPSG_NS1_7vsmem_tEENKUlT_SE_SF_SG_E_clIS8_S8_S9_S9_EESD_ST_SE_SF_SG_EUlST_E0_NS1_11comp_targetILNS1_3genE10ELNS1_11target_archE1201ELNS1_3gpuE5ELNS1_3repE0EEENS1_38merge_mergepath_config_static_selectorELNS0_4arch9wavefront6targetE0EEEvSF_.num_named_barrier, 0
	.set _ZN7rocprim17ROCPRIM_400000_NS6detail17trampoline_kernelINS0_14default_configENS1_38merge_sort_block_merge_config_selectorIlNS0_10empty_typeEEEZZNS1_27merge_sort_block_merge_implIS3_PlPS5_jNS1_19radix_merge_compareILb0ELb1ElNS0_19identity_decomposerEEEEE10hipError_tT0_T1_T2_jT3_P12ihipStream_tbPNSt15iterator_traitsISE_E10value_typeEPNSK_ISF_E10value_typeEPSG_NS1_7vsmem_tEENKUlT_SE_SF_SG_E_clIS8_S8_S9_S9_EESD_ST_SE_SF_SG_EUlST_E0_NS1_11comp_targetILNS1_3genE10ELNS1_11target_archE1201ELNS1_3gpuE5ELNS1_3repE0EEENS1_38merge_mergepath_config_static_selectorELNS0_4arch9wavefront6targetE0EEEvSF_.private_seg_size, 0
	.set _ZN7rocprim17ROCPRIM_400000_NS6detail17trampoline_kernelINS0_14default_configENS1_38merge_sort_block_merge_config_selectorIlNS0_10empty_typeEEEZZNS1_27merge_sort_block_merge_implIS3_PlPS5_jNS1_19radix_merge_compareILb0ELb1ElNS0_19identity_decomposerEEEEE10hipError_tT0_T1_T2_jT3_P12ihipStream_tbPNSt15iterator_traitsISE_E10value_typeEPNSK_ISF_E10value_typeEPSG_NS1_7vsmem_tEENKUlT_SE_SF_SG_E_clIS8_S8_S9_S9_EESD_ST_SE_SF_SG_EUlST_E0_NS1_11comp_targetILNS1_3genE10ELNS1_11target_archE1201ELNS1_3gpuE5ELNS1_3repE0EEENS1_38merge_mergepath_config_static_selectorELNS0_4arch9wavefront6targetE0EEEvSF_.uses_vcc, 0
	.set _ZN7rocprim17ROCPRIM_400000_NS6detail17trampoline_kernelINS0_14default_configENS1_38merge_sort_block_merge_config_selectorIlNS0_10empty_typeEEEZZNS1_27merge_sort_block_merge_implIS3_PlPS5_jNS1_19radix_merge_compareILb0ELb1ElNS0_19identity_decomposerEEEEE10hipError_tT0_T1_T2_jT3_P12ihipStream_tbPNSt15iterator_traitsISE_E10value_typeEPNSK_ISF_E10value_typeEPSG_NS1_7vsmem_tEENKUlT_SE_SF_SG_E_clIS8_S8_S9_S9_EESD_ST_SE_SF_SG_EUlST_E0_NS1_11comp_targetILNS1_3genE10ELNS1_11target_archE1201ELNS1_3gpuE5ELNS1_3repE0EEENS1_38merge_mergepath_config_static_selectorELNS0_4arch9wavefront6targetE0EEEvSF_.uses_flat_scratch, 0
	.set _ZN7rocprim17ROCPRIM_400000_NS6detail17trampoline_kernelINS0_14default_configENS1_38merge_sort_block_merge_config_selectorIlNS0_10empty_typeEEEZZNS1_27merge_sort_block_merge_implIS3_PlPS5_jNS1_19radix_merge_compareILb0ELb1ElNS0_19identity_decomposerEEEEE10hipError_tT0_T1_T2_jT3_P12ihipStream_tbPNSt15iterator_traitsISE_E10value_typeEPNSK_ISF_E10value_typeEPSG_NS1_7vsmem_tEENKUlT_SE_SF_SG_E_clIS8_S8_S9_S9_EESD_ST_SE_SF_SG_EUlST_E0_NS1_11comp_targetILNS1_3genE10ELNS1_11target_archE1201ELNS1_3gpuE5ELNS1_3repE0EEENS1_38merge_mergepath_config_static_selectorELNS0_4arch9wavefront6targetE0EEEvSF_.has_dyn_sized_stack, 0
	.set _ZN7rocprim17ROCPRIM_400000_NS6detail17trampoline_kernelINS0_14default_configENS1_38merge_sort_block_merge_config_selectorIlNS0_10empty_typeEEEZZNS1_27merge_sort_block_merge_implIS3_PlPS5_jNS1_19radix_merge_compareILb0ELb1ElNS0_19identity_decomposerEEEEE10hipError_tT0_T1_T2_jT3_P12ihipStream_tbPNSt15iterator_traitsISE_E10value_typeEPNSK_ISF_E10value_typeEPSG_NS1_7vsmem_tEENKUlT_SE_SF_SG_E_clIS8_S8_S9_S9_EESD_ST_SE_SF_SG_EUlST_E0_NS1_11comp_targetILNS1_3genE10ELNS1_11target_archE1201ELNS1_3gpuE5ELNS1_3repE0EEENS1_38merge_mergepath_config_static_selectorELNS0_4arch9wavefront6targetE0EEEvSF_.has_recursion, 0
	.set _ZN7rocprim17ROCPRIM_400000_NS6detail17trampoline_kernelINS0_14default_configENS1_38merge_sort_block_merge_config_selectorIlNS0_10empty_typeEEEZZNS1_27merge_sort_block_merge_implIS3_PlPS5_jNS1_19radix_merge_compareILb0ELb1ElNS0_19identity_decomposerEEEEE10hipError_tT0_T1_T2_jT3_P12ihipStream_tbPNSt15iterator_traitsISE_E10value_typeEPNSK_ISF_E10value_typeEPSG_NS1_7vsmem_tEENKUlT_SE_SF_SG_E_clIS8_S8_S9_S9_EESD_ST_SE_SF_SG_EUlST_E0_NS1_11comp_targetILNS1_3genE10ELNS1_11target_archE1201ELNS1_3gpuE5ELNS1_3repE0EEENS1_38merge_mergepath_config_static_selectorELNS0_4arch9wavefront6targetE0EEEvSF_.has_indirect_call, 0
	.section	.AMDGPU.csdata,"",@progbits
; Kernel info:
; codeLenInByte = 0
; TotalNumSgprs: 0
; NumVgprs: 0
; ScratchSize: 0
; MemoryBound: 0
; FloatMode: 240
; IeeeMode: 1
; LDSByteSize: 0 bytes/workgroup (compile time only)
; SGPRBlocks: 0
; VGPRBlocks: 0
; NumSGPRsForWavesPerEU: 1
; NumVGPRsForWavesPerEU: 1
; NamedBarCnt: 0
; Occupancy: 16
; WaveLimiterHint : 0
; COMPUTE_PGM_RSRC2:SCRATCH_EN: 0
; COMPUTE_PGM_RSRC2:USER_SGPR: 2
; COMPUTE_PGM_RSRC2:TRAP_HANDLER: 0
; COMPUTE_PGM_RSRC2:TGID_X_EN: 1
; COMPUTE_PGM_RSRC2:TGID_Y_EN: 0
; COMPUTE_PGM_RSRC2:TGID_Z_EN: 0
; COMPUTE_PGM_RSRC2:TIDIG_COMP_CNT: 0
	.section	.text._ZN7rocprim17ROCPRIM_400000_NS6detail17trampoline_kernelINS0_14default_configENS1_38merge_sort_block_merge_config_selectorIlNS0_10empty_typeEEEZZNS1_27merge_sort_block_merge_implIS3_PlPS5_jNS1_19radix_merge_compareILb0ELb1ElNS0_19identity_decomposerEEEEE10hipError_tT0_T1_T2_jT3_P12ihipStream_tbPNSt15iterator_traitsISE_E10value_typeEPNSK_ISF_E10value_typeEPSG_NS1_7vsmem_tEENKUlT_SE_SF_SG_E_clIS8_S8_S9_S9_EESD_ST_SE_SF_SG_EUlST_E0_NS1_11comp_targetILNS1_3genE5ELNS1_11target_archE942ELNS1_3gpuE9ELNS1_3repE0EEENS1_38merge_mergepath_config_static_selectorELNS0_4arch9wavefront6targetE0EEEvSF_,"axG",@progbits,_ZN7rocprim17ROCPRIM_400000_NS6detail17trampoline_kernelINS0_14default_configENS1_38merge_sort_block_merge_config_selectorIlNS0_10empty_typeEEEZZNS1_27merge_sort_block_merge_implIS3_PlPS5_jNS1_19radix_merge_compareILb0ELb1ElNS0_19identity_decomposerEEEEE10hipError_tT0_T1_T2_jT3_P12ihipStream_tbPNSt15iterator_traitsISE_E10value_typeEPNSK_ISF_E10value_typeEPSG_NS1_7vsmem_tEENKUlT_SE_SF_SG_E_clIS8_S8_S9_S9_EESD_ST_SE_SF_SG_EUlST_E0_NS1_11comp_targetILNS1_3genE5ELNS1_11target_archE942ELNS1_3gpuE9ELNS1_3repE0EEENS1_38merge_mergepath_config_static_selectorELNS0_4arch9wavefront6targetE0EEEvSF_,comdat
	.protected	_ZN7rocprim17ROCPRIM_400000_NS6detail17trampoline_kernelINS0_14default_configENS1_38merge_sort_block_merge_config_selectorIlNS0_10empty_typeEEEZZNS1_27merge_sort_block_merge_implIS3_PlPS5_jNS1_19radix_merge_compareILb0ELb1ElNS0_19identity_decomposerEEEEE10hipError_tT0_T1_T2_jT3_P12ihipStream_tbPNSt15iterator_traitsISE_E10value_typeEPNSK_ISF_E10value_typeEPSG_NS1_7vsmem_tEENKUlT_SE_SF_SG_E_clIS8_S8_S9_S9_EESD_ST_SE_SF_SG_EUlST_E0_NS1_11comp_targetILNS1_3genE5ELNS1_11target_archE942ELNS1_3gpuE9ELNS1_3repE0EEENS1_38merge_mergepath_config_static_selectorELNS0_4arch9wavefront6targetE0EEEvSF_ ; -- Begin function _ZN7rocprim17ROCPRIM_400000_NS6detail17trampoline_kernelINS0_14default_configENS1_38merge_sort_block_merge_config_selectorIlNS0_10empty_typeEEEZZNS1_27merge_sort_block_merge_implIS3_PlPS5_jNS1_19radix_merge_compareILb0ELb1ElNS0_19identity_decomposerEEEEE10hipError_tT0_T1_T2_jT3_P12ihipStream_tbPNSt15iterator_traitsISE_E10value_typeEPNSK_ISF_E10value_typeEPSG_NS1_7vsmem_tEENKUlT_SE_SF_SG_E_clIS8_S8_S9_S9_EESD_ST_SE_SF_SG_EUlST_E0_NS1_11comp_targetILNS1_3genE5ELNS1_11target_archE942ELNS1_3gpuE9ELNS1_3repE0EEENS1_38merge_mergepath_config_static_selectorELNS0_4arch9wavefront6targetE0EEEvSF_
	.globl	_ZN7rocprim17ROCPRIM_400000_NS6detail17trampoline_kernelINS0_14default_configENS1_38merge_sort_block_merge_config_selectorIlNS0_10empty_typeEEEZZNS1_27merge_sort_block_merge_implIS3_PlPS5_jNS1_19radix_merge_compareILb0ELb1ElNS0_19identity_decomposerEEEEE10hipError_tT0_T1_T2_jT3_P12ihipStream_tbPNSt15iterator_traitsISE_E10value_typeEPNSK_ISF_E10value_typeEPSG_NS1_7vsmem_tEENKUlT_SE_SF_SG_E_clIS8_S8_S9_S9_EESD_ST_SE_SF_SG_EUlST_E0_NS1_11comp_targetILNS1_3genE5ELNS1_11target_archE942ELNS1_3gpuE9ELNS1_3repE0EEENS1_38merge_mergepath_config_static_selectorELNS0_4arch9wavefront6targetE0EEEvSF_
	.p2align	8
	.type	_ZN7rocprim17ROCPRIM_400000_NS6detail17trampoline_kernelINS0_14default_configENS1_38merge_sort_block_merge_config_selectorIlNS0_10empty_typeEEEZZNS1_27merge_sort_block_merge_implIS3_PlPS5_jNS1_19radix_merge_compareILb0ELb1ElNS0_19identity_decomposerEEEEE10hipError_tT0_T1_T2_jT3_P12ihipStream_tbPNSt15iterator_traitsISE_E10value_typeEPNSK_ISF_E10value_typeEPSG_NS1_7vsmem_tEENKUlT_SE_SF_SG_E_clIS8_S8_S9_S9_EESD_ST_SE_SF_SG_EUlST_E0_NS1_11comp_targetILNS1_3genE5ELNS1_11target_archE942ELNS1_3gpuE9ELNS1_3repE0EEENS1_38merge_mergepath_config_static_selectorELNS0_4arch9wavefront6targetE0EEEvSF_,@function
_ZN7rocprim17ROCPRIM_400000_NS6detail17trampoline_kernelINS0_14default_configENS1_38merge_sort_block_merge_config_selectorIlNS0_10empty_typeEEEZZNS1_27merge_sort_block_merge_implIS3_PlPS5_jNS1_19radix_merge_compareILb0ELb1ElNS0_19identity_decomposerEEEEE10hipError_tT0_T1_T2_jT3_P12ihipStream_tbPNSt15iterator_traitsISE_E10value_typeEPNSK_ISF_E10value_typeEPSG_NS1_7vsmem_tEENKUlT_SE_SF_SG_E_clIS8_S8_S9_S9_EESD_ST_SE_SF_SG_EUlST_E0_NS1_11comp_targetILNS1_3genE5ELNS1_11target_archE942ELNS1_3gpuE9ELNS1_3repE0EEENS1_38merge_mergepath_config_static_selectorELNS0_4arch9wavefront6targetE0EEEvSF_: ; @_ZN7rocprim17ROCPRIM_400000_NS6detail17trampoline_kernelINS0_14default_configENS1_38merge_sort_block_merge_config_selectorIlNS0_10empty_typeEEEZZNS1_27merge_sort_block_merge_implIS3_PlPS5_jNS1_19radix_merge_compareILb0ELb1ElNS0_19identity_decomposerEEEEE10hipError_tT0_T1_T2_jT3_P12ihipStream_tbPNSt15iterator_traitsISE_E10value_typeEPNSK_ISF_E10value_typeEPSG_NS1_7vsmem_tEENKUlT_SE_SF_SG_E_clIS8_S8_S9_S9_EESD_ST_SE_SF_SG_EUlST_E0_NS1_11comp_targetILNS1_3genE5ELNS1_11target_archE942ELNS1_3gpuE9ELNS1_3repE0EEENS1_38merge_mergepath_config_static_selectorELNS0_4arch9wavefront6targetE0EEEvSF_
; %bb.0:
	.section	.rodata,"a",@progbits
	.p2align	6, 0x0
	.amdhsa_kernel _ZN7rocprim17ROCPRIM_400000_NS6detail17trampoline_kernelINS0_14default_configENS1_38merge_sort_block_merge_config_selectorIlNS0_10empty_typeEEEZZNS1_27merge_sort_block_merge_implIS3_PlPS5_jNS1_19radix_merge_compareILb0ELb1ElNS0_19identity_decomposerEEEEE10hipError_tT0_T1_T2_jT3_P12ihipStream_tbPNSt15iterator_traitsISE_E10value_typeEPNSK_ISF_E10value_typeEPSG_NS1_7vsmem_tEENKUlT_SE_SF_SG_E_clIS8_S8_S9_S9_EESD_ST_SE_SF_SG_EUlST_E0_NS1_11comp_targetILNS1_3genE5ELNS1_11target_archE942ELNS1_3gpuE9ELNS1_3repE0EEENS1_38merge_mergepath_config_static_selectorELNS0_4arch9wavefront6targetE0EEEvSF_
		.amdhsa_group_segment_fixed_size 0
		.amdhsa_private_segment_fixed_size 0
		.amdhsa_kernarg_size 72
		.amdhsa_user_sgpr_count 2
		.amdhsa_user_sgpr_dispatch_ptr 0
		.amdhsa_user_sgpr_queue_ptr 0
		.amdhsa_user_sgpr_kernarg_segment_ptr 1
		.amdhsa_user_sgpr_dispatch_id 0
		.amdhsa_user_sgpr_kernarg_preload_length 0
		.amdhsa_user_sgpr_kernarg_preload_offset 0
		.amdhsa_user_sgpr_private_segment_size 0
		.amdhsa_wavefront_size32 1
		.amdhsa_uses_dynamic_stack 0
		.amdhsa_enable_private_segment 0
		.amdhsa_system_sgpr_workgroup_id_x 1
		.amdhsa_system_sgpr_workgroup_id_y 0
		.amdhsa_system_sgpr_workgroup_id_z 0
		.amdhsa_system_sgpr_workgroup_info 0
		.amdhsa_system_vgpr_workitem_id 0
		.amdhsa_next_free_vgpr 1
		.amdhsa_next_free_sgpr 1
		.amdhsa_named_barrier_count 0
		.amdhsa_reserve_vcc 0
		.amdhsa_float_round_mode_32 0
		.amdhsa_float_round_mode_16_64 0
		.amdhsa_float_denorm_mode_32 3
		.amdhsa_float_denorm_mode_16_64 3
		.amdhsa_fp16_overflow 0
		.amdhsa_memory_ordered 1
		.amdhsa_forward_progress 1
		.amdhsa_inst_pref_size 0
		.amdhsa_round_robin_scheduling 0
		.amdhsa_exception_fp_ieee_invalid_op 0
		.amdhsa_exception_fp_denorm_src 0
		.amdhsa_exception_fp_ieee_div_zero 0
		.amdhsa_exception_fp_ieee_overflow 0
		.amdhsa_exception_fp_ieee_underflow 0
		.amdhsa_exception_fp_ieee_inexact 0
		.amdhsa_exception_int_div_zero 0
	.end_amdhsa_kernel
	.section	.text._ZN7rocprim17ROCPRIM_400000_NS6detail17trampoline_kernelINS0_14default_configENS1_38merge_sort_block_merge_config_selectorIlNS0_10empty_typeEEEZZNS1_27merge_sort_block_merge_implIS3_PlPS5_jNS1_19radix_merge_compareILb0ELb1ElNS0_19identity_decomposerEEEEE10hipError_tT0_T1_T2_jT3_P12ihipStream_tbPNSt15iterator_traitsISE_E10value_typeEPNSK_ISF_E10value_typeEPSG_NS1_7vsmem_tEENKUlT_SE_SF_SG_E_clIS8_S8_S9_S9_EESD_ST_SE_SF_SG_EUlST_E0_NS1_11comp_targetILNS1_3genE5ELNS1_11target_archE942ELNS1_3gpuE9ELNS1_3repE0EEENS1_38merge_mergepath_config_static_selectorELNS0_4arch9wavefront6targetE0EEEvSF_,"axG",@progbits,_ZN7rocprim17ROCPRIM_400000_NS6detail17trampoline_kernelINS0_14default_configENS1_38merge_sort_block_merge_config_selectorIlNS0_10empty_typeEEEZZNS1_27merge_sort_block_merge_implIS3_PlPS5_jNS1_19radix_merge_compareILb0ELb1ElNS0_19identity_decomposerEEEEE10hipError_tT0_T1_T2_jT3_P12ihipStream_tbPNSt15iterator_traitsISE_E10value_typeEPNSK_ISF_E10value_typeEPSG_NS1_7vsmem_tEENKUlT_SE_SF_SG_E_clIS8_S8_S9_S9_EESD_ST_SE_SF_SG_EUlST_E0_NS1_11comp_targetILNS1_3genE5ELNS1_11target_archE942ELNS1_3gpuE9ELNS1_3repE0EEENS1_38merge_mergepath_config_static_selectorELNS0_4arch9wavefront6targetE0EEEvSF_,comdat
.Lfunc_end1175:
	.size	_ZN7rocprim17ROCPRIM_400000_NS6detail17trampoline_kernelINS0_14default_configENS1_38merge_sort_block_merge_config_selectorIlNS0_10empty_typeEEEZZNS1_27merge_sort_block_merge_implIS3_PlPS5_jNS1_19radix_merge_compareILb0ELb1ElNS0_19identity_decomposerEEEEE10hipError_tT0_T1_T2_jT3_P12ihipStream_tbPNSt15iterator_traitsISE_E10value_typeEPNSK_ISF_E10value_typeEPSG_NS1_7vsmem_tEENKUlT_SE_SF_SG_E_clIS8_S8_S9_S9_EESD_ST_SE_SF_SG_EUlST_E0_NS1_11comp_targetILNS1_3genE5ELNS1_11target_archE942ELNS1_3gpuE9ELNS1_3repE0EEENS1_38merge_mergepath_config_static_selectorELNS0_4arch9wavefront6targetE0EEEvSF_, .Lfunc_end1175-_ZN7rocprim17ROCPRIM_400000_NS6detail17trampoline_kernelINS0_14default_configENS1_38merge_sort_block_merge_config_selectorIlNS0_10empty_typeEEEZZNS1_27merge_sort_block_merge_implIS3_PlPS5_jNS1_19radix_merge_compareILb0ELb1ElNS0_19identity_decomposerEEEEE10hipError_tT0_T1_T2_jT3_P12ihipStream_tbPNSt15iterator_traitsISE_E10value_typeEPNSK_ISF_E10value_typeEPSG_NS1_7vsmem_tEENKUlT_SE_SF_SG_E_clIS8_S8_S9_S9_EESD_ST_SE_SF_SG_EUlST_E0_NS1_11comp_targetILNS1_3genE5ELNS1_11target_archE942ELNS1_3gpuE9ELNS1_3repE0EEENS1_38merge_mergepath_config_static_selectorELNS0_4arch9wavefront6targetE0EEEvSF_
                                        ; -- End function
	.set _ZN7rocprim17ROCPRIM_400000_NS6detail17trampoline_kernelINS0_14default_configENS1_38merge_sort_block_merge_config_selectorIlNS0_10empty_typeEEEZZNS1_27merge_sort_block_merge_implIS3_PlPS5_jNS1_19radix_merge_compareILb0ELb1ElNS0_19identity_decomposerEEEEE10hipError_tT0_T1_T2_jT3_P12ihipStream_tbPNSt15iterator_traitsISE_E10value_typeEPNSK_ISF_E10value_typeEPSG_NS1_7vsmem_tEENKUlT_SE_SF_SG_E_clIS8_S8_S9_S9_EESD_ST_SE_SF_SG_EUlST_E0_NS1_11comp_targetILNS1_3genE5ELNS1_11target_archE942ELNS1_3gpuE9ELNS1_3repE0EEENS1_38merge_mergepath_config_static_selectorELNS0_4arch9wavefront6targetE0EEEvSF_.num_vgpr, 0
	.set _ZN7rocprim17ROCPRIM_400000_NS6detail17trampoline_kernelINS0_14default_configENS1_38merge_sort_block_merge_config_selectorIlNS0_10empty_typeEEEZZNS1_27merge_sort_block_merge_implIS3_PlPS5_jNS1_19radix_merge_compareILb0ELb1ElNS0_19identity_decomposerEEEEE10hipError_tT0_T1_T2_jT3_P12ihipStream_tbPNSt15iterator_traitsISE_E10value_typeEPNSK_ISF_E10value_typeEPSG_NS1_7vsmem_tEENKUlT_SE_SF_SG_E_clIS8_S8_S9_S9_EESD_ST_SE_SF_SG_EUlST_E0_NS1_11comp_targetILNS1_3genE5ELNS1_11target_archE942ELNS1_3gpuE9ELNS1_3repE0EEENS1_38merge_mergepath_config_static_selectorELNS0_4arch9wavefront6targetE0EEEvSF_.num_agpr, 0
	.set _ZN7rocprim17ROCPRIM_400000_NS6detail17trampoline_kernelINS0_14default_configENS1_38merge_sort_block_merge_config_selectorIlNS0_10empty_typeEEEZZNS1_27merge_sort_block_merge_implIS3_PlPS5_jNS1_19radix_merge_compareILb0ELb1ElNS0_19identity_decomposerEEEEE10hipError_tT0_T1_T2_jT3_P12ihipStream_tbPNSt15iterator_traitsISE_E10value_typeEPNSK_ISF_E10value_typeEPSG_NS1_7vsmem_tEENKUlT_SE_SF_SG_E_clIS8_S8_S9_S9_EESD_ST_SE_SF_SG_EUlST_E0_NS1_11comp_targetILNS1_3genE5ELNS1_11target_archE942ELNS1_3gpuE9ELNS1_3repE0EEENS1_38merge_mergepath_config_static_selectorELNS0_4arch9wavefront6targetE0EEEvSF_.numbered_sgpr, 0
	.set _ZN7rocprim17ROCPRIM_400000_NS6detail17trampoline_kernelINS0_14default_configENS1_38merge_sort_block_merge_config_selectorIlNS0_10empty_typeEEEZZNS1_27merge_sort_block_merge_implIS3_PlPS5_jNS1_19radix_merge_compareILb0ELb1ElNS0_19identity_decomposerEEEEE10hipError_tT0_T1_T2_jT3_P12ihipStream_tbPNSt15iterator_traitsISE_E10value_typeEPNSK_ISF_E10value_typeEPSG_NS1_7vsmem_tEENKUlT_SE_SF_SG_E_clIS8_S8_S9_S9_EESD_ST_SE_SF_SG_EUlST_E0_NS1_11comp_targetILNS1_3genE5ELNS1_11target_archE942ELNS1_3gpuE9ELNS1_3repE0EEENS1_38merge_mergepath_config_static_selectorELNS0_4arch9wavefront6targetE0EEEvSF_.num_named_barrier, 0
	.set _ZN7rocprim17ROCPRIM_400000_NS6detail17trampoline_kernelINS0_14default_configENS1_38merge_sort_block_merge_config_selectorIlNS0_10empty_typeEEEZZNS1_27merge_sort_block_merge_implIS3_PlPS5_jNS1_19radix_merge_compareILb0ELb1ElNS0_19identity_decomposerEEEEE10hipError_tT0_T1_T2_jT3_P12ihipStream_tbPNSt15iterator_traitsISE_E10value_typeEPNSK_ISF_E10value_typeEPSG_NS1_7vsmem_tEENKUlT_SE_SF_SG_E_clIS8_S8_S9_S9_EESD_ST_SE_SF_SG_EUlST_E0_NS1_11comp_targetILNS1_3genE5ELNS1_11target_archE942ELNS1_3gpuE9ELNS1_3repE0EEENS1_38merge_mergepath_config_static_selectorELNS0_4arch9wavefront6targetE0EEEvSF_.private_seg_size, 0
	.set _ZN7rocprim17ROCPRIM_400000_NS6detail17trampoline_kernelINS0_14default_configENS1_38merge_sort_block_merge_config_selectorIlNS0_10empty_typeEEEZZNS1_27merge_sort_block_merge_implIS3_PlPS5_jNS1_19radix_merge_compareILb0ELb1ElNS0_19identity_decomposerEEEEE10hipError_tT0_T1_T2_jT3_P12ihipStream_tbPNSt15iterator_traitsISE_E10value_typeEPNSK_ISF_E10value_typeEPSG_NS1_7vsmem_tEENKUlT_SE_SF_SG_E_clIS8_S8_S9_S9_EESD_ST_SE_SF_SG_EUlST_E0_NS1_11comp_targetILNS1_3genE5ELNS1_11target_archE942ELNS1_3gpuE9ELNS1_3repE0EEENS1_38merge_mergepath_config_static_selectorELNS0_4arch9wavefront6targetE0EEEvSF_.uses_vcc, 0
	.set _ZN7rocprim17ROCPRIM_400000_NS6detail17trampoline_kernelINS0_14default_configENS1_38merge_sort_block_merge_config_selectorIlNS0_10empty_typeEEEZZNS1_27merge_sort_block_merge_implIS3_PlPS5_jNS1_19radix_merge_compareILb0ELb1ElNS0_19identity_decomposerEEEEE10hipError_tT0_T1_T2_jT3_P12ihipStream_tbPNSt15iterator_traitsISE_E10value_typeEPNSK_ISF_E10value_typeEPSG_NS1_7vsmem_tEENKUlT_SE_SF_SG_E_clIS8_S8_S9_S9_EESD_ST_SE_SF_SG_EUlST_E0_NS1_11comp_targetILNS1_3genE5ELNS1_11target_archE942ELNS1_3gpuE9ELNS1_3repE0EEENS1_38merge_mergepath_config_static_selectorELNS0_4arch9wavefront6targetE0EEEvSF_.uses_flat_scratch, 0
	.set _ZN7rocprim17ROCPRIM_400000_NS6detail17trampoline_kernelINS0_14default_configENS1_38merge_sort_block_merge_config_selectorIlNS0_10empty_typeEEEZZNS1_27merge_sort_block_merge_implIS3_PlPS5_jNS1_19radix_merge_compareILb0ELb1ElNS0_19identity_decomposerEEEEE10hipError_tT0_T1_T2_jT3_P12ihipStream_tbPNSt15iterator_traitsISE_E10value_typeEPNSK_ISF_E10value_typeEPSG_NS1_7vsmem_tEENKUlT_SE_SF_SG_E_clIS8_S8_S9_S9_EESD_ST_SE_SF_SG_EUlST_E0_NS1_11comp_targetILNS1_3genE5ELNS1_11target_archE942ELNS1_3gpuE9ELNS1_3repE0EEENS1_38merge_mergepath_config_static_selectorELNS0_4arch9wavefront6targetE0EEEvSF_.has_dyn_sized_stack, 0
	.set _ZN7rocprim17ROCPRIM_400000_NS6detail17trampoline_kernelINS0_14default_configENS1_38merge_sort_block_merge_config_selectorIlNS0_10empty_typeEEEZZNS1_27merge_sort_block_merge_implIS3_PlPS5_jNS1_19radix_merge_compareILb0ELb1ElNS0_19identity_decomposerEEEEE10hipError_tT0_T1_T2_jT3_P12ihipStream_tbPNSt15iterator_traitsISE_E10value_typeEPNSK_ISF_E10value_typeEPSG_NS1_7vsmem_tEENKUlT_SE_SF_SG_E_clIS8_S8_S9_S9_EESD_ST_SE_SF_SG_EUlST_E0_NS1_11comp_targetILNS1_3genE5ELNS1_11target_archE942ELNS1_3gpuE9ELNS1_3repE0EEENS1_38merge_mergepath_config_static_selectorELNS0_4arch9wavefront6targetE0EEEvSF_.has_recursion, 0
	.set _ZN7rocprim17ROCPRIM_400000_NS6detail17trampoline_kernelINS0_14default_configENS1_38merge_sort_block_merge_config_selectorIlNS0_10empty_typeEEEZZNS1_27merge_sort_block_merge_implIS3_PlPS5_jNS1_19radix_merge_compareILb0ELb1ElNS0_19identity_decomposerEEEEE10hipError_tT0_T1_T2_jT3_P12ihipStream_tbPNSt15iterator_traitsISE_E10value_typeEPNSK_ISF_E10value_typeEPSG_NS1_7vsmem_tEENKUlT_SE_SF_SG_E_clIS8_S8_S9_S9_EESD_ST_SE_SF_SG_EUlST_E0_NS1_11comp_targetILNS1_3genE5ELNS1_11target_archE942ELNS1_3gpuE9ELNS1_3repE0EEENS1_38merge_mergepath_config_static_selectorELNS0_4arch9wavefront6targetE0EEEvSF_.has_indirect_call, 0
	.section	.AMDGPU.csdata,"",@progbits
; Kernel info:
; codeLenInByte = 0
; TotalNumSgprs: 0
; NumVgprs: 0
; ScratchSize: 0
; MemoryBound: 0
; FloatMode: 240
; IeeeMode: 1
; LDSByteSize: 0 bytes/workgroup (compile time only)
; SGPRBlocks: 0
; VGPRBlocks: 0
; NumSGPRsForWavesPerEU: 1
; NumVGPRsForWavesPerEU: 1
; NamedBarCnt: 0
; Occupancy: 16
; WaveLimiterHint : 0
; COMPUTE_PGM_RSRC2:SCRATCH_EN: 0
; COMPUTE_PGM_RSRC2:USER_SGPR: 2
; COMPUTE_PGM_RSRC2:TRAP_HANDLER: 0
; COMPUTE_PGM_RSRC2:TGID_X_EN: 1
; COMPUTE_PGM_RSRC2:TGID_Y_EN: 0
; COMPUTE_PGM_RSRC2:TGID_Z_EN: 0
; COMPUTE_PGM_RSRC2:TIDIG_COMP_CNT: 0
	.section	.text._ZN7rocprim17ROCPRIM_400000_NS6detail17trampoline_kernelINS0_14default_configENS1_38merge_sort_block_merge_config_selectorIlNS0_10empty_typeEEEZZNS1_27merge_sort_block_merge_implIS3_PlPS5_jNS1_19radix_merge_compareILb0ELb1ElNS0_19identity_decomposerEEEEE10hipError_tT0_T1_T2_jT3_P12ihipStream_tbPNSt15iterator_traitsISE_E10value_typeEPNSK_ISF_E10value_typeEPSG_NS1_7vsmem_tEENKUlT_SE_SF_SG_E_clIS8_S8_S9_S9_EESD_ST_SE_SF_SG_EUlST_E0_NS1_11comp_targetILNS1_3genE4ELNS1_11target_archE910ELNS1_3gpuE8ELNS1_3repE0EEENS1_38merge_mergepath_config_static_selectorELNS0_4arch9wavefront6targetE0EEEvSF_,"axG",@progbits,_ZN7rocprim17ROCPRIM_400000_NS6detail17trampoline_kernelINS0_14default_configENS1_38merge_sort_block_merge_config_selectorIlNS0_10empty_typeEEEZZNS1_27merge_sort_block_merge_implIS3_PlPS5_jNS1_19radix_merge_compareILb0ELb1ElNS0_19identity_decomposerEEEEE10hipError_tT0_T1_T2_jT3_P12ihipStream_tbPNSt15iterator_traitsISE_E10value_typeEPNSK_ISF_E10value_typeEPSG_NS1_7vsmem_tEENKUlT_SE_SF_SG_E_clIS8_S8_S9_S9_EESD_ST_SE_SF_SG_EUlST_E0_NS1_11comp_targetILNS1_3genE4ELNS1_11target_archE910ELNS1_3gpuE8ELNS1_3repE0EEENS1_38merge_mergepath_config_static_selectorELNS0_4arch9wavefront6targetE0EEEvSF_,comdat
	.protected	_ZN7rocprim17ROCPRIM_400000_NS6detail17trampoline_kernelINS0_14default_configENS1_38merge_sort_block_merge_config_selectorIlNS0_10empty_typeEEEZZNS1_27merge_sort_block_merge_implIS3_PlPS5_jNS1_19radix_merge_compareILb0ELb1ElNS0_19identity_decomposerEEEEE10hipError_tT0_T1_T2_jT3_P12ihipStream_tbPNSt15iterator_traitsISE_E10value_typeEPNSK_ISF_E10value_typeEPSG_NS1_7vsmem_tEENKUlT_SE_SF_SG_E_clIS8_S8_S9_S9_EESD_ST_SE_SF_SG_EUlST_E0_NS1_11comp_targetILNS1_3genE4ELNS1_11target_archE910ELNS1_3gpuE8ELNS1_3repE0EEENS1_38merge_mergepath_config_static_selectorELNS0_4arch9wavefront6targetE0EEEvSF_ ; -- Begin function _ZN7rocprim17ROCPRIM_400000_NS6detail17trampoline_kernelINS0_14default_configENS1_38merge_sort_block_merge_config_selectorIlNS0_10empty_typeEEEZZNS1_27merge_sort_block_merge_implIS3_PlPS5_jNS1_19radix_merge_compareILb0ELb1ElNS0_19identity_decomposerEEEEE10hipError_tT0_T1_T2_jT3_P12ihipStream_tbPNSt15iterator_traitsISE_E10value_typeEPNSK_ISF_E10value_typeEPSG_NS1_7vsmem_tEENKUlT_SE_SF_SG_E_clIS8_S8_S9_S9_EESD_ST_SE_SF_SG_EUlST_E0_NS1_11comp_targetILNS1_3genE4ELNS1_11target_archE910ELNS1_3gpuE8ELNS1_3repE0EEENS1_38merge_mergepath_config_static_selectorELNS0_4arch9wavefront6targetE0EEEvSF_
	.globl	_ZN7rocprim17ROCPRIM_400000_NS6detail17trampoline_kernelINS0_14default_configENS1_38merge_sort_block_merge_config_selectorIlNS0_10empty_typeEEEZZNS1_27merge_sort_block_merge_implIS3_PlPS5_jNS1_19radix_merge_compareILb0ELb1ElNS0_19identity_decomposerEEEEE10hipError_tT0_T1_T2_jT3_P12ihipStream_tbPNSt15iterator_traitsISE_E10value_typeEPNSK_ISF_E10value_typeEPSG_NS1_7vsmem_tEENKUlT_SE_SF_SG_E_clIS8_S8_S9_S9_EESD_ST_SE_SF_SG_EUlST_E0_NS1_11comp_targetILNS1_3genE4ELNS1_11target_archE910ELNS1_3gpuE8ELNS1_3repE0EEENS1_38merge_mergepath_config_static_selectorELNS0_4arch9wavefront6targetE0EEEvSF_
	.p2align	8
	.type	_ZN7rocprim17ROCPRIM_400000_NS6detail17trampoline_kernelINS0_14default_configENS1_38merge_sort_block_merge_config_selectorIlNS0_10empty_typeEEEZZNS1_27merge_sort_block_merge_implIS3_PlPS5_jNS1_19radix_merge_compareILb0ELb1ElNS0_19identity_decomposerEEEEE10hipError_tT0_T1_T2_jT3_P12ihipStream_tbPNSt15iterator_traitsISE_E10value_typeEPNSK_ISF_E10value_typeEPSG_NS1_7vsmem_tEENKUlT_SE_SF_SG_E_clIS8_S8_S9_S9_EESD_ST_SE_SF_SG_EUlST_E0_NS1_11comp_targetILNS1_3genE4ELNS1_11target_archE910ELNS1_3gpuE8ELNS1_3repE0EEENS1_38merge_mergepath_config_static_selectorELNS0_4arch9wavefront6targetE0EEEvSF_,@function
_ZN7rocprim17ROCPRIM_400000_NS6detail17trampoline_kernelINS0_14default_configENS1_38merge_sort_block_merge_config_selectorIlNS0_10empty_typeEEEZZNS1_27merge_sort_block_merge_implIS3_PlPS5_jNS1_19radix_merge_compareILb0ELb1ElNS0_19identity_decomposerEEEEE10hipError_tT0_T1_T2_jT3_P12ihipStream_tbPNSt15iterator_traitsISE_E10value_typeEPNSK_ISF_E10value_typeEPSG_NS1_7vsmem_tEENKUlT_SE_SF_SG_E_clIS8_S8_S9_S9_EESD_ST_SE_SF_SG_EUlST_E0_NS1_11comp_targetILNS1_3genE4ELNS1_11target_archE910ELNS1_3gpuE8ELNS1_3repE0EEENS1_38merge_mergepath_config_static_selectorELNS0_4arch9wavefront6targetE0EEEvSF_: ; @_ZN7rocprim17ROCPRIM_400000_NS6detail17trampoline_kernelINS0_14default_configENS1_38merge_sort_block_merge_config_selectorIlNS0_10empty_typeEEEZZNS1_27merge_sort_block_merge_implIS3_PlPS5_jNS1_19radix_merge_compareILb0ELb1ElNS0_19identity_decomposerEEEEE10hipError_tT0_T1_T2_jT3_P12ihipStream_tbPNSt15iterator_traitsISE_E10value_typeEPNSK_ISF_E10value_typeEPSG_NS1_7vsmem_tEENKUlT_SE_SF_SG_E_clIS8_S8_S9_S9_EESD_ST_SE_SF_SG_EUlST_E0_NS1_11comp_targetILNS1_3genE4ELNS1_11target_archE910ELNS1_3gpuE8ELNS1_3repE0EEENS1_38merge_mergepath_config_static_selectorELNS0_4arch9wavefront6targetE0EEEvSF_
; %bb.0:
	.section	.rodata,"a",@progbits
	.p2align	6, 0x0
	.amdhsa_kernel _ZN7rocprim17ROCPRIM_400000_NS6detail17trampoline_kernelINS0_14default_configENS1_38merge_sort_block_merge_config_selectorIlNS0_10empty_typeEEEZZNS1_27merge_sort_block_merge_implIS3_PlPS5_jNS1_19radix_merge_compareILb0ELb1ElNS0_19identity_decomposerEEEEE10hipError_tT0_T1_T2_jT3_P12ihipStream_tbPNSt15iterator_traitsISE_E10value_typeEPNSK_ISF_E10value_typeEPSG_NS1_7vsmem_tEENKUlT_SE_SF_SG_E_clIS8_S8_S9_S9_EESD_ST_SE_SF_SG_EUlST_E0_NS1_11comp_targetILNS1_3genE4ELNS1_11target_archE910ELNS1_3gpuE8ELNS1_3repE0EEENS1_38merge_mergepath_config_static_selectorELNS0_4arch9wavefront6targetE0EEEvSF_
		.amdhsa_group_segment_fixed_size 0
		.amdhsa_private_segment_fixed_size 0
		.amdhsa_kernarg_size 72
		.amdhsa_user_sgpr_count 2
		.amdhsa_user_sgpr_dispatch_ptr 0
		.amdhsa_user_sgpr_queue_ptr 0
		.amdhsa_user_sgpr_kernarg_segment_ptr 1
		.amdhsa_user_sgpr_dispatch_id 0
		.amdhsa_user_sgpr_kernarg_preload_length 0
		.amdhsa_user_sgpr_kernarg_preload_offset 0
		.amdhsa_user_sgpr_private_segment_size 0
		.amdhsa_wavefront_size32 1
		.amdhsa_uses_dynamic_stack 0
		.amdhsa_enable_private_segment 0
		.amdhsa_system_sgpr_workgroup_id_x 1
		.amdhsa_system_sgpr_workgroup_id_y 0
		.amdhsa_system_sgpr_workgroup_id_z 0
		.amdhsa_system_sgpr_workgroup_info 0
		.amdhsa_system_vgpr_workitem_id 0
		.amdhsa_next_free_vgpr 1
		.amdhsa_next_free_sgpr 1
		.amdhsa_named_barrier_count 0
		.amdhsa_reserve_vcc 0
		.amdhsa_float_round_mode_32 0
		.amdhsa_float_round_mode_16_64 0
		.amdhsa_float_denorm_mode_32 3
		.amdhsa_float_denorm_mode_16_64 3
		.amdhsa_fp16_overflow 0
		.amdhsa_memory_ordered 1
		.amdhsa_forward_progress 1
		.amdhsa_inst_pref_size 0
		.amdhsa_round_robin_scheduling 0
		.amdhsa_exception_fp_ieee_invalid_op 0
		.amdhsa_exception_fp_denorm_src 0
		.amdhsa_exception_fp_ieee_div_zero 0
		.amdhsa_exception_fp_ieee_overflow 0
		.amdhsa_exception_fp_ieee_underflow 0
		.amdhsa_exception_fp_ieee_inexact 0
		.amdhsa_exception_int_div_zero 0
	.end_amdhsa_kernel
	.section	.text._ZN7rocprim17ROCPRIM_400000_NS6detail17trampoline_kernelINS0_14default_configENS1_38merge_sort_block_merge_config_selectorIlNS0_10empty_typeEEEZZNS1_27merge_sort_block_merge_implIS3_PlPS5_jNS1_19radix_merge_compareILb0ELb1ElNS0_19identity_decomposerEEEEE10hipError_tT0_T1_T2_jT3_P12ihipStream_tbPNSt15iterator_traitsISE_E10value_typeEPNSK_ISF_E10value_typeEPSG_NS1_7vsmem_tEENKUlT_SE_SF_SG_E_clIS8_S8_S9_S9_EESD_ST_SE_SF_SG_EUlST_E0_NS1_11comp_targetILNS1_3genE4ELNS1_11target_archE910ELNS1_3gpuE8ELNS1_3repE0EEENS1_38merge_mergepath_config_static_selectorELNS0_4arch9wavefront6targetE0EEEvSF_,"axG",@progbits,_ZN7rocprim17ROCPRIM_400000_NS6detail17trampoline_kernelINS0_14default_configENS1_38merge_sort_block_merge_config_selectorIlNS0_10empty_typeEEEZZNS1_27merge_sort_block_merge_implIS3_PlPS5_jNS1_19radix_merge_compareILb0ELb1ElNS0_19identity_decomposerEEEEE10hipError_tT0_T1_T2_jT3_P12ihipStream_tbPNSt15iterator_traitsISE_E10value_typeEPNSK_ISF_E10value_typeEPSG_NS1_7vsmem_tEENKUlT_SE_SF_SG_E_clIS8_S8_S9_S9_EESD_ST_SE_SF_SG_EUlST_E0_NS1_11comp_targetILNS1_3genE4ELNS1_11target_archE910ELNS1_3gpuE8ELNS1_3repE0EEENS1_38merge_mergepath_config_static_selectorELNS0_4arch9wavefront6targetE0EEEvSF_,comdat
.Lfunc_end1176:
	.size	_ZN7rocprim17ROCPRIM_400000_NS6detail17trampoline_kernelINS0_14default_configENS1_38merge_sort_block_merge_config_selectorIlNS0_10empty_typeEEEZZNS1_27merge_sort_block_merge_implIS3_PlPS5_jNS1_19radix_merge_compareILb0ELb1ElNS0_19identity_decomposerEEEEE10hipError_tT0_T1_T2_jT3_P12ihipStream_tbPNSt15iterator_traitsISE_E10value_typeEPNSK_ISF_E10value_typeEPSG_NS1_7vsmem_tEENKUlT_SE_SF_SG_E_clIS8_S8_S9_S9_EESD_ST_SE_SF_SG_EUlST_E0_NS1_11comp_targetILNS1_3genE4ELNS1_11target_archE910ELNS1_3gpuE8ELNS1_3repE0EEENS1_38merge_mergepath_config_static_selectorELNS0_4arch9wavefront6targetE0EEEvSF_, .Lfunc_end1176-_ZN7rocprim17ROCPRIM_400000_NS6detail17trampoline_kernelINS0_14default_configENS1_38merge_sort_block_merge_config_selectorIlNS0_10empty_typeEEEZZNS1_27merge_sort_block_merge_implIS3_PlPS5_jNS1_19radix_merge_compareILb0ELb1ElNS0_19identity_decomposerEEEEE10hipError_tT0_T1_T2_jT3_P12ihipStream_tbPNSt15iterator_traitsISE_E10value_typeEPNSK_ISF_E10value_typeEPSG_NS1_7vsmem_tEENKUlT_SE_SF_SG_E_clIS8_S8_S9_S9_EESD_ST_SE_SF_SG_EUlST_E0_NS1_11comp_targetILNS1_3genE4ELNS1_11target_archE910ELNS1_3gpuE8ELNS1_3repE0EEENS1_38merge_mergepath_config_static_selectorELNS0_4arch9wavefront6targetE0EEEvSF_
                                        ; -- End function
	.set _ZN7rocprim17ROCPRIM_400000_NS6detail17trampoline_kernelINS0_14default_configENS1_38merge_sort_block_merge_config_selectorIlNS0_10empty_typeEEEZZNS1_27merge_sort_block_merge_implIS3_PlPS5_jNS1_19radix_merge_compareILb0ELb1ElNS0_19identity_decomposerEEEEE10hipError_tT0_T1_T2_jT3_P12ihipStream_tbPNSt15iterator_traitsISE_E10value_typeEPNSK_ISF_E10value_typeEPSG_NS1_7vsmem_tEENKUlT_SE_SF_SG_E_clIS8_S8_S9_S9_EESD_ST_SE_SF_SG_EUlST_E0_NS1_11comp_targetILNS1_3genE4ELNS1_11target_archE910ELNS1_3gpuE8ELNS1_3repE0EEENS1_38merge_mergepath_config_static_selectorELNS0_4arch9wavefront6targetE0EEEvSF_.num_vgpr, 0
	.set _ZN7rocprim17ROCPRIM_400000_NS6detail17trampoline_kernelINS0_14default_configENS1_38merge_sort_block_merge_config_selectorIlNS0_10empty_typeEEEZZNS1_27merge_sort_block_merge_implIS3_PlPS5_jNS1_19radix_merge_compareILb0ELb1ElNS0_19identity_decomposerEEEEE10hipError_tT0_T1_T2_jT3_P12ihipStream_tbPNSt15iterator_traitsISE_E10value_typeEPNSK_ISF_E10value_typeEPSG_NS1_7vsmem_tEENKUlT_SE_SF_SG_E_clIS8_S8_S9_S9_EESD_ST_SE_SF_SG_EUlST_E0_NS1_11comp_targetILNS1_3genE4ELNS1_11target_archE910ELNS1_3gpuE8ELNS1_3repE0EEENS1_38merge_mergepath_config_static_selectorELNS0_4arch9wavefront6targetE0EEEvSF_.num_agpr, 0
	.set _ZN7rocprim17ROCPRIM_400000_NS6detail17trampoline_kernelINS0_14default_configENS1_38merge_sort_block_merge_config_selectorIlNS0_10empty_typeEEEZZNS1_27merge_sort_block_merge_implIS3_PlPS5_jNS1_19radix_merge_compareILb0ELb1ElNS0_19identity_decomposerEEEEE10hipError_tT0_T1_T2_jT3_P12ihipStream_tbPNSt15iterator_traitsISE_E10value_typeEPNSK_ISF_E10value_typeEPSG_NS1_7vsmem_tEENKUlT_SE_SF_SG_E_clIS8_S8_S9_S9_EESD_ST_SE_SF_SG_EUlST_E0_NS1_11comp_targetILNS1_3genE4ELNS1_11target_archE910ELNS1_3gpuE8ELNS1_3repE0EEENS1_38merge_mergepath_config_static_selectorELNS0_4arch9wavefront6targetE0EEEvSF_.numbered_sgpr, 0
	.set _ZN7rocprim17ROCPRIM_400000_NS6detail17trampoline_kernelINS0_14default_configENS1_38merge_sort_block_merge_config_selectorIlNS0_10empty_typeEEEZZNS1_27merge_sort_block_merge_implIS3_PlPS5_jNS1_19radix_merge_compareILb0ELb1ElNS0_19identity_decomposerEEEEE10hipError_tT0_T1_T2_jT3_P12ihipStream_tbPNSt15iterator_traitsISE_E10value_typeEPNSK_ISF_E10value_typeEPSG_NS1_7vsmem_tEENKUlT_SE_SF_SG_E_clIS8_S8_S9_S9_EESD_ST_SE_SF_SG_EUlST_E0_NS1_11comp_targetILNS1_3genE4ELNS1_11target_archE910ELNS1_3gpuE8ELNS1_3repE0EEENS1_38merge_mergepath_config_static_selectorELNS0_4arch9wavefront6targetE0EEEvSF_.num_named_barrier, 0
	.set _ZN7rocprim17ROCPRIM_400000_NS6detail17trampoline_kernelINS0_14default_configENS1_38merge_sort_block_merge_config_selectorIlNS0_10empty_typeEEEZZNS1_27merge_sort_block_merge_implIS3_PlPS5_jNS1_19radix_merge_compareILb0ELb1ElNS0_19identity_decomposerEEEEE10hipError_tT0_T1_T2_jT3_P12ihipStream_tbPNSt15iterator_traitsISE_E10value_typeEPNSK_ISF_E10value_typeEPSG_NS1_7vsmem_tEENKUlT_SE_SF_SG_E_clIS8_S8_S9_S9_EESD_ST_SE_SF_SG_EUlST_E0_NS1_11comp_targetILNS1_3genE4ELNS1_11target_archE910ELNS1_3gpuE8ELNS1_3repE0EEENS1_38merge_mergepath_config_static_selectorELNS0_4arch9wavefront6targetE0EEEvSF_.private_seg_size, 0
	.set _ZN7rocprim17ROCPRIM_400000_NS6detail17trampoline_kernelINS0_14default_configENS1_38merge_sort_block_merge_config_selectorIlNS0_10empty_typeEEEZZNS1_27merge_sort_block_merge_implIS3_PlPS5_jNS1_19radix_merge_compareILb0ELb1ElNS0_19identity_decomposerEEEEE10hipError_tT0_T1_T2_jT3_P12ihipStream_tbPNSt15iterator_traitsISE_E10value_typeEPNSK_ISF_E10value_typeEPSG_NS1_7vsmem_tEENKUlT_SE_SF_SG_E_clIS8_S8_S9_S9_EESD_ST_SE_SF_SG_EUlST_E0_NS1_11comp_targetILNS1_3genE4ELNS1_11target_archE910ELNS1_3gpuE8ELNS1_3repE0EEENS1_38merge_mergepath_config_static_selectorELNS0_4arch9wavefront6targetE0EEEvSF_.uses_vcc, 0
	.set _ZN7rocprim17ROCPRIM_400000_NS6detail17trampoline_kernelINS0_14default_configENS1_38merge_sort_block_merge_config_selectorIlNS0_10empty_typeEEEZZNS1_27merge_sort_block_merge_implIS3_PlPS5_jNS1_19radix_merge_compareILb0ELb1ElNS0_19identity_decomposerEEEEE10hipError_tT0_T1_T2_jT3_P12ihipStream_tbPNSt15iterator_traitsISE_E10value_typeEPNSK_ISF_E10value_typeEPSG_NS1_7vsmem_tEENKUlT_SE_SF_SG_E_clIS8_S8_S9_S9_EESD_ST_SE_SF_SG_EUlST_E0_NS1_11comp_targetILNS1_3genE4ELNS1_11target_archE910ELNS1_3gpuE8ELNS1_3repE0EEENS1_38merge_mergepath_config_static_selectorELNS0_4arch9wavefront6targetE0EEEvSF_.uses_flat_scratch, 0
	.set _ZN7rocprim17ROCPRIM_400000_NS6detail17trampoline_kernelINS0_14default_configENS1_38merge_sort_block_merge_config_selectorIlNS0_10empty_typeEEEZZNS1_27merge_sort_block_merge_implIS3_PlPS5_jNS1_19radix_merge_compareILb0ELb1ElNS0_19identity_decomposerEEEEE10hipError_tT0_T1_T2_jT3_P12ihipStream_tbPNSt15iterator_traitsISE_E10value_typeEPNSK_ISF_E10value_typeEPSG_NS1_7vsmem_tEENKUlT_SE_SF_SG_E_clIS8_S8_S9_S9_EESD_ST_SE_SF_SG_EUlST_E0_NS1_11comp_targetILNS1_3genE4ELNS1_11target_archE910ELNS1_3gpuE8ELNS1_3repE0EEENS1_38merge_mergepath_config_static_selectorELNS0_4arch9wavefront6targetE0EEEvSF_.has_dyn_sized_stack, 0
	.set _ZN7rocprim17ROCPRIM_400000_NS6detail17trampoline_kernelINS0_14default_configENS1_38merge_sort_block_merge_config_selectorIlNS0_10empty_typeEEEZZNS1_27merge_sort_block_merge_implIS3_PlPS5_jNS1_19radix_merge_compareILb0ELb1ElNS0_19identity_decomposerEEEEE10hipError_tT0_T1_T2_jT3_P12ihipStream_tbPNSt15iterator_traitsISE_E10value_typeEPNSK_ISF_E10value_typeEPSG_NS1_7vsmem_tEENKUlT_SE_SF_SG_E_clIS8_S8_S9_S9_EESD_ST_SE_SF_SG_EUlST_E0_NS1_11comp_targetILNS1_3genE4ELNS1_11target_archE910ELNS1_3gpuE8ELNS1_3repE0EEENS1_38merge_mergepath_config_static_selectorELNS0_4arch9wavefront6targetE0EEEvSF_.has_recursion, 0
	.set _ZN7rocprim17ROCPRIM_400000_NS6detail17trampoline_kernelINS0_14default_configENS1_38merge_sort_block_merge_config_selectorIlNS0_10empty_typeEEEZZNS1_27merge_sort_block_merge_implIS3_PlPS5_jNS1_19radix_merge_compareILb0ELb1ElNS0_19identity_decomposerEEEEE10hipError_tT0_T1_T2_jT3_P12ihipStream_tbPNSt15iterator_traitsISE_E10value_typeEPNSK_ISF_E10value_typeEPSG_NS1_7vsmem_tEENKUlT_SE_SF_SG_E_clIS8_S8_S9_S9_EESD_ST_SE_SF_SG_EUlST_E0_NS1_11comp_targetILNS1_3genE4ELNS1_11target_archE910ELNS1_3gpuE8ELNS1_3repE0EEENS1_38merge_mergepath_config_static_selectorELNS0_4arch9wavefront6targetE0EEEvSF_.has_indirect_call, 0
	.section	.AMDGPU.csdata,"",@progbits
; Kernel info:
; codeLenInByte = 0
; TotalNumSgprs: 0
; NumVgprs: 0
; ScratchSize: 0
; MemoryBound: 0
; FloatMode: 240
; IeeeMode: 1
; LDSByteSize: 0 bytes/workgroup (compile time only)
; SGPRBlocks: 0
; VGPRBlocks: 0
; NumSGPRsForWavesPerEU: 1
; NumVGPRsForWavesPerEU: 1
; NamedBarCnt: 0
; Occupancy: 16
; WaveLimiterHint : 0
; COMPUTE_PGM_RSRC2:SCRATCH_EN: 0
; COMPUTE_PGM_RSRC2:USER_SGPR: 2
; COMPUTE_PGM_RSRC2:TRAP_HANDLER: 0
; COMPUTE_PGM_RSRC2:TGID_X_EN: 1
; COMPUTE_PGM_RSRC2:TGID_Y_EN: 0
; COMPUTE_PGM_RSRC2:TGID_Z_EN: 0
; COMPUTE_PGM_RSRC2:TIDIG_COMP_CNT: 0
	.section	.text._ZN7rocprim17ROCPRIM_400000_NS6detail17trampoline_kernelINS0_14default_configENS1_38merge_sort_block_merge_config_selectorIlNS0_10empty_typeEEEZZNS1_27merge_sort_block_merge_implIS3_PlPS5_jNS1_19radix_merge_compareILb0ELb1ElNS0_19identity_decomposerEEEEE10hipError_tT0_T1_T2_jT3_P12ihipStream_tbPNSt15iterator_traitsISE_E10value_typeEPNSK_ISF_E10value_typeEPSG_NS1_7vsmem_tEENKUlT_SE_SF_SG_E_clIS8_S8_S9_S9_EESD_ST_SE_SF_SG_EUlST_E0_NS1_11comp_targetILNS1_3genE3ELNS1_11target_archE908ELNS1_3gpuE7ELNS1_3repE0EEENS1_38merge_mergepath_config_static_selectorELNS0_4arch9wavefront6targetE0EEEvSF_,"axG",@progbits,_ZN7rocprim17ROCPRIM_400000_NS6detail17trampoline_kernelINS0_14default_configENS1_38merge_sort_block_merge_config_selectorIlNS0_10empty_typeEEEZZNS1_27merge_sort_block_merge_implIS3_PlPS5_jNS1_19radix_merge_compareILb0ELb1ElNS0_19identity_decomposerEEEEE10hipError_tT0_T1_T2_jT3_P12ihipStream_tbPNSt15iterator_traitsISE_E10value_typeEPNSK_ISF_E10value_typeEPSG_NS1_7vsmem_tEENKUlT_SE_SF_SG_E_clIS8_S8_S9_S9_EESD_ST_SE_SF_SG_EUlST_E0_NS1_11comp_targetILNS1_3genE3ELNS1_11target_archE908ELNS1_3gpuE7ELNS1_3repE0EEENS1_38merge_mergepath_config_static_selectorELNS0_4arch9wavefront6targetE0EEEvSF_,comdat
	.protected	_ZN7rocprim17ROCPRIM_400000_NS6detail17trampoline_kernelINS0_14default_configENS1_38merge_sort_block_merge_config_selectorIlNS0_10empty_typeEEEZZNS1_27merge_sort_block_merge_implIS3_PlPS5_jNS1_19radix_merge_compareILb0ELb1ElNS0_19identity_decomposerEEEEE10hipError_tT0_T1_T2_jT3_P12ihipStream_tbPNSt15iterator_traitsISE_E10value_typeEPNSK_ISF_E10value_typeEPSG_NS1_7vsmem_tEENKUlT_SE_SF_SG_E_clIS8_S8_S9_S9_EESD_ST_SE_SF_SG_EUlST_E0_NS1_11comp_targetILNS1_3genE3ELNS1_11target_archE908ELNS1_3gpuE7ELNS1_3repE0EEENS1_38merge_mergepath_config_static_selectorELNS0_4arch9wavefront6targetE0EEEvSF_ ; -- Begin function _ZN7rocprim17ROCPRIM_400000_NS6detail17trampoline_kernelINS0_14default_configENS1_38merge_sort_block_merge_config_selectorIlNS0_10empty_typeEEEZZNS1_27merge_sort_block_merge_implIS3_PlPS5_jNS1_19radix_merge_compareILb0ELb1ElNS0_19identity_decomposerEEEEE10hipError_tT0_T1_T2_jT3_P12ihipStream_tbPNSt15iterator_traitsISE_E10value_typeEPNSK_ISF_E10value_typeEPSG_NS1_7vsmem_tEENKUlT_SE_SF_SG_E_clIS8_S8_S9_S9_EESD_ST_SE_SF_SG_EUlST_E0_NS1_11comp_targetILNS1_3genE3ELNS1_11target_archE908ELNS1_3gpuE7ELNS1_3repE0EEENS1_38merge_mergepath_config_static_selectorELNS0_4arch9wavefront6targetE0EEEvSF_
	.globl	_ZN7rocprim17ROCPRIM_400000_NS6detail17trampoline_kernelINS0_14default_configENS1_38merge_sort_block_merge_config_selectorIlNS0_10empty_typeEEEZZNS1_27merge_sort_block_merge_implIS3_PlPS5_jNS1_19radix_merge_compareILb0ELb1ElNS0_19identity_decomposerEEEEE10hipError_tT0_T1_T2_jT3_P12ihipStream_tbPNSt15iterator_traitsISE_E10value_typeEPNSK_ISF_E10value_typeEPSG_NS1_7vsmem_tEENKUlT_SE_SF_SG_E_clIS8_S8_S9_S9_EESD_ST_SE_SF_SG_EUlST_E0_NS1_11comp_targetILNS1_3genE3ELNS1_11target_archE908ELNS1_3gpuE7ELNS1_3repE0EEENS1_38merge_mergepath_config_static_selectorELNS0_4arch9wavefront6targetE0EEEvSF_
	.p2align	8
	.type	_ZN7rocprim17ROCPRIM_400000_NS6detail17trampoline_kernelINS0_14default_configENS1_38merge_sort_block_merge_config_selectorIlNS0_10empty_typeEEEZZNS1_27merge_sort_block_merge_implIS3_PlPS5_jNS1_19radix_merge_compareILb0ELb1ElNS0_19identity_decomposerEEEEE10hipError_tT0_T1_T2_jT3_P12ihipStream_tbPNSt15iterator_traitsISE_E10value_typeEPNSK_ISF_E10value_typeEPSG_NS1_7vsmem_tEENKUlT_SE_SF_SG_E_clIS8_S8_S9_S9_EESD_ST_SE_SF_SG_EUlST_E0_NS1_11comp_targetILNS1_3genE3ELNS1_11target_archE908ELNS1_3gpuE7ELNS1_3repE0EEENS1_38merge_mergepath_config_static_selectorELNS0_4arch9wavefront6targetE0EEEvSF_,@function
_ZN7rocprim17ROCPRIM_400000_NS6detail17trampoline_kernelINS0_14default_configENS1_38merge_sort_block_merge_config_selectorIlNS0_10empty_typeEEEZZNS1_27merge_sort_block_merge_implIS3_PlPS5_jNS1_19radix_merge_compareILb0ELb1ElNS0_19identity_decomposerEEEEE10hipError_tT0_T1_T2_jT3_P12ihipStream_tbPNSt15iterator_traitsISE_E10value_typeEPNSK_ISF_E10value_typeEPSG_NS1_7vsmem_tEENKUlT_SE_SF_SG_E_clIS8_S8_S9_S9_EESD_ST_SE_SF_SG_EUlST_E0_NS1_11comp_targetILNS1_3genE3ELNS1_11target_archE908ELNS1_3gpuE7ELNS1_3repE0EEENS1_38merge_mergepath_config_static_selectorELNS0_4arch9wavefront6targetE0EEEvSF_: ; @_ZN7rocprim17ROCPRIM_400000_NS6detail17trampoline_kernelINS0_14default_configENS1_38merge_sort_block_merge_config_selectorIlNS0_10empty_typeEEEZZNS1_27merge_sort_block_merge_implIS3_PlPS5_jNS1_19radix_merge_compareILb0ELb1ElNS0_19identity_decomposerEEEEE10hipError_tT0_T1_T2_jT3_P12ihipStream_tbPNSt15iterator_traitsISE_E10value_typeEPNSK_ISF_E10value_typeEPSG_NS1_7vsmem_tEENKUlT_SE_SF_SG_E_clIS8_S8_S9_S9_EESD_ST_SE_SF_SG_EUlST_E0_NS1_11comp_targetILNS1_3genE3ELNS1_11target_archE908ELNS1_3gpuE7ELNS1_3repE0EEENS1_38merge_mergepath_config_static_selectorELNS0_4arch9wavefront6targetE0EEEvSF_
; %bb.0:
	.section	.rodata,"a",@progbits
	.p2align	6, 0x0
	.amdhsa_kernel _ZN7rocprim17ROCPRIM_400000_NS6detail17trampoline_kernelINS0_14default_configENS1_38merge_sort_block_merge_config_selectorIlNS0_10empty_typeEEEZZNS1_27merge_sort_block_merge_implIS3_PlPS5_jNS1_19radix_merge_compareILb0ELb1ElNS0_19identity_decomposerEEEEE10hipError_tT0_T1_T2_jT3_P12ihipStream_tbPNSt15iterator_traitsISE_E10value_typeEPNSK_ISF_E10value_typeEPSG_NS1_7vsmem_tEENKUlT_SE_SF_SG_E_clIS8_S8_S9_S9_EESD_ST_SE_SF_SG_EUlST_E0_NS1_11comp_targetILNS1_3genE3ELNS1_11target_archE908ELNS1_3gpuE7ELNS1_3repE0EEENS1_38merge_mergepath_config_static_selectorELNS0_4arch9wavefront6targetE0EEEvSF_
		.amdhsa_group_segment_fixed_size 0
		.amdhsa_private_segment_fixed_size 0
		.amdhsa_kernarg_size 72
		.amdhsa_user_sgpr_count 2
		.amdhsa_user_sgpr_dispatch_ptr 0
		.amdhsa_user_sgpr_queue_ptr 0
		.amdhsa_user_sgpr_kernarg_segment_ptr 1
		.amdhsa_user_sgpr_dispatch_id 0
		.amdhsa_user_sgpr_kernarg_preload_length 0
		.amdhsa_user_sgpr_kernarg_preload_offset 0
		.amdhsa_user_sgpr_private_segment_size 0
		.amdhsa_wavefront_size32 1
		.amdhsa_uses_dynamic_stack 0
		.amdhsa_enable_private_segment 0
		.amdhsa_system_sgpr_workgroup_id_x 1
		.amdhsa_system_sgpr_workgroup_id_y 0
		.amdhsa_system_sgpr_workgroup_id_z 0
		.amdhsa_system_sgpr_workgroup_info 0
		.amdhsa_system_vgpr_workitem_id 0
		.amdhsa_next_free_vgpr 1
		.amdhsa_next_free_sgpr 1
		.amdhsa_named_barrier_count 0
		.amdhsa_reserve_vcc 0
		.amdhsa_float_round_mode_32 0
		.amdhsa_float_round_mode_16_64 0
		.amdhsa_float_denorm_mode_32 3
		.amdhsa_float_denorm_mode_16_64 3
		.amdhsa_fp16_overflow 0
		.amdhsa_memory_ordered 1
		.amdhsa_forward_progress 1
		.amdhsa_inst_pref_size 0
		.amdhsa_round_robin_scheduling 0
		.amdhsa_exception_fp_ieee_invalid_op 0
		.amdhsa_exception_fp_denorm_src 0
		.amdhsa_exception_fp_ieee_div_zero 0
		.amdhsa_exception_fp_ieee_overflow 0
		.amdhsa_exception_fp_ieee_underflow 0
		.amdhsa_exception_fp_ieee_inexact 0
		.amdhsa_exception_int_div_zero 0
	.end_amdhsa_kernel
	.section	.text._ZN7rocprim17ROCPRIM_400000_NS6detail17trampoline_kernelINS0_14default_configENS1_38merge_sort_block_merge_config_selectorIlNS0_10empty_typeEEEZZNS1_27merge_sort_block_merge_implIS3_PlPS5_jNS1_19radix_merge_compareILb0ELb1ElNS0_19identity_decomposerEEEEE10hipError_tT0_T1_T2_jT3_P12ihipStream_tbPNSt15iterator_traitsISE_E10value_typeEPNSK_ISF_E10value_typeEPSG_NS1_7vsmem_tEENKUlT_SE_SF_SG_E_clIS8_S8_S9_S9_EESD_ST_SE_SF_SG_EUlST_E0_NS1_11comp_targetILNS1_3genE3ELNS1_11target_archE908ELNS1_3gpuE7ELNS1_3repE0EEENS1_38merge_mergepath_config_static_selectorELNS0_4arch9wavefront6targetE0EEEvSF_,"axG",@progbits,_ZN7rocprim17ROCPRIM_400000_NS6detail17trampoline_kernelINS0_14default_configENS1_38merge_sort_block_merge_config_selectorIlNS0_10empty_typeEEEZZNS1_27merge_sort_block_merge_implIS3_PlPS5_jNS1_19radix_merge_compareILb0ELb1ElNS0_19identity_decomposerEEEEE10hipError_tT0_T1_T2_jT3_P12ihipStream_tbPNSt15iterator_traitsISE_E10value_typeEPNSK_ISF_E10value_typeEPSG_NS1_7vsmem_tEENKUlT_SE_SF_SG_E_clIS8_S8_S9_S9_EESD_ST_SE_SF_SG_EUlST_E0_NS1_11comp_targetILNS1_3genE3ELNS1_11target_archE908ELNS1_3gpuE7ELNS1_3repE0EEENS1_38merge_mergepath_config_static_selectorELNS0_4arch9wavefront6targetE0EEEvSF_,comdat
.Lfunc_end1177:
	.size	_ZN7rocprim17ROCPRIM_400000_NS6detail17trampoline_kernelINS0_14default_configENS1_38merge_sort_block_merge_config_selectorIlNS0_10empty_typeEEEZZNS1_27merge_sort_block_merge_implIS3_PlPS5_jNS1_19radix_merge_compareILb0ELb1ElNS0_19identity_decomposerEEEEE10hipError_tT0_T1_T2_jT3_P12ihipStream_tbPNSt15iterator_traitsISE_E10value_typeEPNSK_ISF_E10value_typeEPSG_NS1_7vsmem_tEENKUlT_SE_SF_SG_E_clIS8_S8_S9_S9_EESD_ST_SE_SF_SG_EUlST_E0_NS1_11comp_targetILNS1_3genE3ELNS1_11target_archE908ELNS1_3gpuE7ELNS1_3repE0EEENS1_38merge_mergepath_config_static_selectorELNS0_4arch9wavefront6targetE0EEEvSF_, .Lfunc_end1177-_ZN7rocprim17ROCPRIM_400000_NS6detail17trampoline_kernelINS0_14default_configENS1_38merge_sort_block_merge_config_selectorIlNS0_10empty_typeEEEZZNS1_27merge_sort_block_merge_implIS3_PlPS5_jNS1_19radix_merge_compareILb0ELb1ElNS0_19identity_decomposerEEEEE10hipError_tT0_T1_T2_jT3_P12ihipStream_tbPNSt15iterator_traitsISE_E10value_typeEPNSK_ISF_E10value_typeEPSG_NS1_7vsmem_tEENKUlT_SE_SF_SG_E_clIS8_S8_S9_S9_EESD_ST_SE_SF_SG_EUlST_E0_NS1_11comp_targetILNS1_3genE3ELNS1_11target_archE908ELNS1_3gpuE7ELNS1_3repE0EEENS1_38merge_mergepath_config_static_selectorELNS0_4arch9wavefront6targetE0EEEvSF_
                                        ; -- End function
	.set _ZN7rocprim17ROCPRIM_400000_NS6detail17trampoline_kernelINS0_14default_configENS1_38merge_sort_block_merge_config_selectorIlNS0_10empty_typeEEEZZNS1_27merge_sort_block_merge_implIS3_PlPS5_jNS1_19radix_merge_compareILb0ELb1ElNS0_19identity_decomposerEEEEE10hipError_tT0_T1_T2_jT3_P12ihipStream_tbPNSt15iterator_traitsISE_E10value_typeEPNSK_ISF_E10value_typeEPSG_NS1_7vsmem_tEENKUlT_SE_SF_SG_E_clIS8_S8_S9_S9_EESD_ST_SE_SF_SG_EUlST_E0_NS1_11comp_targetILNS1_3genE3ELNS1_11target_archE908ELNS1_3gpuE7ELNS1_3repE0EEENS1_38merge_mergepath_config_static_selectorELNS0_4arch9wavefront6targetE0EEEvSF_.num_vgpr, 0
	.set _ZN7rocprim17ROCPRIM_400000_NS6detail17trampoline_kernelINS0_14default_configENS1_38merge_sort_block_merge_config_selectorIlNS0_10empty_typeEEEZZNS1_27merge_sort_block_merge_implIS3_PlPS5_jNS1_19radix_merge_compareILb0ELb1ElNS0_19identity_decomposerEEEEE10hipError_tT0_T1_T2_jT3_P12ihipStream_tbPNSt15iterator_traitsISE_E10value_typeEPNSK_ISF_E10value_typeEPSG_NS1_7vsmem_tEENKUlT_SE_SF_SG_E_clIS8_S8_S9_S9_EESD_ST_SE_SF_SG_EUlST_E0_NS1_11comp_targetILNS1_3genE3ELNS1_11target_archE908ELNS1_3gpuE7ELNS1_3repE0EEENS1_38merge_mergepath_config_static_selectorELNS0_4arch9wavefront6targetE0EEEvSF_.num_agpr, 0
	.set _ZN7rocprim17ROCPRIM_400000_NS6detail17trampoline_kernelINS0_14default_configENS1_38merge_sort_block_merge_config_selectorIlNS0_10empty_typeEEEZZNS1_27merge_sort_block_merge_implIS3_PlPS5_jNS1_19radix_merge_compareILb0ELb1ElNS0_19identity_decomposerEEEEE10hipError_tT0_T1_T2_jT3_P12ihipStream_tbPNSt15iterator_traitsISE_E10value_typeEPNSK_ISF_E10value_typeEPSG_NS1_7vsmem_tEENKUlT_SE_SF_SG_E_clIS8_S8_S9_S9_EESD_ST_SE_SF_SG_EUlST_E0_NS1_11comp_targetILNS1_3genE3ELNS1_11target_archE908ELNS1_3gpuE7ELNS1_3repE0EEENS1_38merge_mergepath_config_static_selectorELNS0_4arch9wavefront6targetE0EEEvSF_.numbered_sgpr, 0
	.set _ZN7rocprim17ROCPRIM_400000_NS6detail17trampoline_kernelINS0_14default_configENS1_38merge_sort_block_merge_config_selectorIlNS0_10empty_typeEEEZZNS1_27merge_sort_block_merge_implIS3_PlPS5_jNS1_19radix_merge_compareILb0ELb1ElNS0_19identity_decomposerEEEEE10hipError_tT0_T1_T2_jT3_P12ihipStream_tbPNSt15iterator_traitsISE_E10value_typeEPNSK_ISF_E10value_typeEPSG_NS1_7vsmem_tEENKUlT_SE_SF_SG_E_clIS8_S8_S9_S9_EESD_ST_SE_SF_SG_EUlST_E0_NS1_11comp_targetILNS1_3genE3ELNS1_11target_archE908ELNS1_3gpuE7ELNS1_3repE0EEENS1_38merge_mergepath_config_static_selectorELNS0_4arch9wavefront6targetE0EEEvSF_.num_named_barrier, 0
	.set _ZN7rocprim17ROCPRIM_400000_NS6detail17trampoline_kernelINS0_14default_configENS1_38merge_sort_block_merge_config_selectorIlNS0_10empty_typeEEEZZNS1_27merge_sort_block_merge_implIS3_PlPS5_jNS1_19radix_merge_compareILb0ELb1ElNS0_19identity_decomposerEEEEE10hipError_tT0_T1_T2_jT3_P12ihipStream_tbPNSt15iterator_traitsISE_E10value_typeEPNSK_ISF_E10value_typeEPSG_NS1_7vsmem_tEENKUlT_SE_SF_SG_E_clIS8_S8_S9_S9_EESD_ST_SE_SF_SG_EUlST_E0_NS1_11comp_targetILNS1_3genE3ELNS1_11target_archE908ELNS1_3gpuE7ELNS1_3repE0EEENS1_38merge_mergepath_config_static_selectorELNS0_4arch9wavefront6targetE0EEEvSF_.private_seg_size, 0
	.set _ZN7rocprim17ROCPRIM_400000_NS6detail17trampoline_kernelINS0_14default_configENS1_38merge_sort_block_merge_config_selectorIlNS0_10empty_typeEEEZZNS1_27merge_sort_block_merge_implIS3_PlPS5_jNS1_19radix_merge_compareILb0ELb1ElNS0_19identity_decomposerEEEEE10hipError_tT0_T1_T2_jT3_P12ihipStream_tbPNSt15iterator_traitsISE_E10value_typeEPNSK_ISF_E10value_typeEPSG_NS1_7vsmem_tEENKUlT_SE_SF_SG_E_clIS8_S8_S9_S9_EESD_ST_SE_SF_SG_EUlST_E0_NS1_11comp_targetILNS1_3genE3ELNS1_11target_archE908ELNS1_3gpuE7ELNS1_3repE0EEENS1_38merge_mergepath_config_static_selectorELNS0_4arch9wavefront6targetE0EEEvSF_.uses_vcc, 0
	.set _ZN7rocprim17ROCPRIM_400000_NS6detail17trampoline_kernelINS0_14default_configENS1_38merge_sort_block_merge_config_selectorIlNS0_10empty_typeEEEZZNS1_27merge_sort_block_merge_implIS3_PlPS5_jNS1_19radix_merge_compareILb0ELb1ElNS0_19identity_decomposerEEEEE10hipError_tT0_T1_T2_jT3_P12ihipStream_tbPNSt15iterator_traitsISE_E10value_typeEPNSK_ISF_E10value_typeEPSG_NS1_7vsmem_tEENKUlT_SE_SF_SG_E_clIS8_S8_S9_S9_EESD_ST_SE_SF_SG_EUlST_E0_NS1_11comp_targetILNS1_3genE3ELNS1_11target_archE908ELNS1_3gpuE7ELNS1_3repE0EEENS1_38merge_mergepath_config_static_selectorELNS0_4arch9wavefront6targetE0EEEvSF_.uses_flat_scratch, 0
	.set _ZN7rocprim17ROCPRIM_400000_NS6detail17trampoline_kernelINS0_14default_configENS1_38merge_sort_block_merge_config_selectorIlNS0_10empty_typeEEEZZNS1_27merge_sort_block_merge_implIS3_PlPS5_jNS1_19radix_merge_compareILb0ELb1ElNS0_19identity_decomposerEEEEE10hipError_tT0_T1_T2_jT3_P12ihipStream_tbPNSt15iterator_traitsISE_E10value_typeEPNSK_ISF_E10value_typeEPSG_NS1_7vsmem_tEENKUlT_SE_SF_SG_E_clIS8_S8_S9_S9_EESD_ST_SE_SF_SG_EUlST_E0_NS1_11comp_targetILNS1_3genE3ELNS1_11target_archE908ELNS1_3gpuE7ELNS1_3repE0EEENS1_38merge_mergepath_config_static_selectorELNS0_4arch9wavefront6targetE0EEEvSF_.has_dyn_sized_stack, 0
	.set _ZN7rocprim17ROCPRIM_400000_NS6detail17trampoline_kernelINS0_14default_configENS1_38merge_sort_block_merge_config_selectorIlNS0_10empty_typeEEEZZNS1_27merge_sort_block_merge_implIS3_PlPS5_jNS1_19radix_merge_compareILb0ELb1ElNS0_19identity_decomposerEEEEE10hipError_tT0_T1_T2_jT3_P12ihipStream_tbPNSt15iterator_traitsISE_E10value_typeEPNSK_ISF_E10value_typeEPSG_NS1_7vsmem_tEENKUlT_SE_SF_SG_E_clIS8_S8_S9_S9_EESD_ST_SE_SF_SG_EUlST_E0_NS1_11comp_targetILNS1_3genE3ELNS1_11target_archE908ELNS1_3gpuE7ELNS1_3repE0EEENS1_38merge_mergepath_config_static_selectorELNS0_4arch9wavefront6targetE0EEEvSF_.has_recursion, 0
	.set _ZN7rocprim17ROCPRIM_400000_NS6detail17trampoline_kernelINS0_14default_configENS1_38merge_sort_block_merge_config_selectorIlNS0_10empty_typeEEEZZNS1_27merge_sort_block_merge_implIS3_PlPS5_jNS1_19radix_merge_compareILb0ELb1ElNS0_19identity_decomposerEEEEE10hipError_tT0_T1_T2_jT3_P12ihipStream_tbPNSt15iterator_traitsISE_E10value_typeEPNSK_ISF_E10value_typeEPSG_NS1_7vsmem_tEENKUlT_SE_SF_SG_E_clIS8_S8_S9_S9_EESD_ST_SE_SF_SG_EUlST_E0_NS1_11comp_targetILNS1_3genE3ELNS1_11target_archE908ELNS1_3gpuE7ELNS1_3repE0EEENS1_38merge_mergepath_config_static_selectorELNS0_4arch9wavefront6targetE0EEEvSF_.has_indirect_call, 0
	.section	.AMDGPU.csdata,"",@progbits
; Kernel info:
; codeLenInByte = 0
; TotalNumSgprs: 0
; NumVgprs: 0
; ScratchSize: 0
; MemoryBound: 0
; FloatMode: 240
; IeeeMode: 1
; LDSByteSize: 0 bytes/workgroup (compile time only)
; SGPRBlocks: 0
; VGPRBlocks: 0
; NumSGPRsForWavesPerEU: 1
; NumVGPRsForWavesPerEU: 1
; NamedBarCnt: 0
; Occupancy: 16
; WaveLimiterHint : 0
; COMPUTE_PGM_RSRC2:SCRATCH_EN: 0
; COMPUTE_PGM_RSRC2:USER_SGPR: 2
; COMPUTE_PGM_RSRC2:TRAP_HANDLER: 0
; COMPUTE_PGM_RSRC2:TGID_X_EN: 1
; COMPUTE_PGM_RSRC2:TGID_Y_EN: 0
; COMPUTE_PGM_RSRC2:TGID_Z_EN: 0
; COMPUTE_PGM_RSRC2:TIDIG_COMP_CNT: 0
	.section	.text._ZN7rocprim17ROCPRIM_400000_NS6detail17trampoline_kernelINS0_14default_configENS1_38merge_sort_block_merge_config_selectorIlNS0_10empty_typeEEEZZNS1_27merge_sort_block_merge_implIS3_PlPS5_jNS1_19radix_merge_compareILb0ELb1ElNS0_19identity_decomposerEEEEE10hipError_tT0_T1_T2_jT3_P12ihipStream_tbPNSt15iterator_traitsISE_E10value_typeEPNSK_ISF_E10value_typeEPSG_NS1_7vsmem_tEENKUlT_SE_SF_SG_E_clIS8_S8_S9_S9_EESD_ST_SE_SF_SG_EUlST_E0_NS1_11comp_targetILNS1_3genE2ELNS1_11target_archE906ELNS1_3gpuE6ELNS1_3repE0EEENS1_38merge_mergepath_config_static_selectorELNS0_4arch9wavefront6targetE0EEEvSF_,"axG",@progbits,_ZN7rocprim17ROCPRIM_400000_NS6detail17trampoline_kernelINS0_14default_configENS1_38merge_sort_block_merge_config_selectorIlNS0_10empty_typeEEEZZNS1_27merge_sort_block_merge_implIS3_PlPS5_jNS1_19radix_merge_compareILb0ELb1ElNS0_19identity_decomposerEEEEE10hipError_tT0_T1_T2_jT3_P12ihipStream_tbPNSt15iterator_traitsISE_E10value_typeEPNSK_ISF_E10value_typeEPSG_NS1_7vsmem_tEENKUlT_SE_SF_SG_E_clIS8_S8_S9_S9_EESD_ST_SE_SF_SG_EUlST_E0_NS1_11comp_targetILNS1_3genE2ELNS1_11target_archE906ELNS1_3gpuE6ELNS1_3repE0EEENS1_38merge_mergepath_config_static_selectorELNS0_4arch9wavefront6targetE0EEEvSF_,comdat
	.protected	_ZN7rocprim17ROCPRIM_400000_NS6detail17trampoline_kernelINS0_14default_configENS1_38merge_sort_block_merge_config_selectorIlNS0_10empty_typeEEEZZNS1_27merge_sort_block_merge_implIS3_PlPS5_jNS1_19radix_merge_compareILb0ELb1ElNS0_19identity_decomposerEEEEE10hipError_tT0_T1_T2_jT3_P12ihipStream_tbPNSt15iterator_traitsISE_E10value_typeEPNSK_ISF_E10value_typeEPSG_NS1_7vsmem_tEENKUlT_SE_SF_SG_E_clIS8_S8_S9_S9_EESD_ST_SE_SF_SG_EUlST_E0_NS1_11comp_targetILNS1_3genE2ELNS1_11target_archE906ELNS1_3gpuE6ELNS1_3repE0EEENS1_38merge_mergepath_config_static_selectorELNS0_4arch9wavefront6targetE0EEEvSF_ ; -- Begin function _ZN7rocprim17ROCPRIM_400000_NS6detail17trampoline_kernelINS0_14default_configENS1_38merge_sort_block_merge_config_selectorIlNS0_10empty_typeEEEZZNS1_27merge_sort_block_merge_implIS3_PlPS5_jNS1_19radix_merge_compareILb0ELb1ElNS0_19identity_decomposerEEEEE10hipError_tT0_T1_T2_jT3_P12ihipStream_tbPNSt15iterator_traitsISE_E10value_typeEPNSK_ISF_E10value_typeEPSG_NS1_7vsmem_tEENKUlT_SE_SF_SG_E_clIS8_S8_S9_S9_EESD_ST_SE_SF_SG_EUlST_E0_NS1_11comp_targetILNS1_3genE2ELNS1_11target_archE906ELNS1_3gpuE6ELNS1_3repE0EEENS1_38merge_mergepath_config_static_selectorELNS0_4arch9wavefront6targetE0EEEvSF_
	.globl	_ZN7rocprim17ROCPRIM_400000_NS6detail17trampoline_kernelINS0_14default_configENS1_38merge_sort_block_merge_config_selectorIlNS0_10empty_typeEEEZZNS1_27merge_sort_block_merge_implIS3_PlPS5_jNS1_19radix_merge_compareILb0ELb1ElNS0_19identity_decomposerEEEEE10hipError_tT0_T1_T2_jT3_P12ihipStream_tbPNSt15iterator_traitsISE_E10value_typeEPNSK_ISF_E10value_typeEPSG_NS1_7vsmem_tEENKUlT_SE_SF_SG_E_clIS8_S8_S9_S9_EESD_ST_SE_SF_SG_EUlST_E0_NS1_11comp_targetILNS1_3genE2ELNS1_11target_archE906ELNS1_3gpuE6ELNS1_3repE0EEENS1_38merge_mergepath_config_static_selectorELNS0_4arch9wavefront6targetE0EEEvSF_
	.p2align	8
	.type	_ZN7rocprim17ROCPRIM_400000_NS6detail17trampoline_kernelINS0_14default_configENS1_38merge_sort_block_merge_config_selectorIlNS0_10empty_typeEEEZZNS1_27merge_sort_block_merge_implIS3_PlPS5_jNS1_19radix_merge_compareILb0ELb1ElNS0_19identity_decomposerEEEEE10hipError_tT0_T1_T2_jT3_P12ihipStream_tbPNSt15iterator_traitsISE_E10value_typeEPNSK_ISF_E10value_typeEPSG_NS1_7vsmem_tEENKUlT_SE_SF_SG_E_clIS8_S8_S9_S9_EESD_ST_SE_SF_SG_EUlST_E0_NS1_11comp_targetILNS1_3genE2ELNS1_11target_archE906ELNS1_3gpuE6ELNS1_3repE0EEENS1_38merge_mergepath_config_static_selectorELNS0_4arch9wavefront6targetE0EEEvSF_,@function
_ZN7rocprim17ROCPRIM_400000_NS6detail17trampoline_kernelINS0_14default_configENS1_38merge_sort_block_merge_config_selectorIlNS0_10empty_typeEEEZZNS1_27merge_sort_block_merge_implIS3_PlPS5_jNS1_19radix_merge_compareILb0ELb1ElNS0_19identity_decomposerEEEEE10hipError_tT0_T1_T2_jT3_P12ihipStream_tbPNSt15iterator_traitsISE_E10value_typeEPNSK_ISF_E10value_typeEPSG_NS1_7vsmem_tEENKUlT_SE_SF_SG_E_clIS8_S8_S9_S9_EESD_ST_SE_SF_SG_EUlST_E0_NS1_11comp_targetILNS1_3genE2ELNS1_11target_archE906ELNS1_3gpuE6ELNS1_3repE0EEENS1_38merge_mergepath_config_static_selectorELNS0_4arch9wavefront6targetE0EEEvSF_: ; @_ZN7rocprim17ROCPRIM_400000_NS6detail17trampoline_kernelINS0_14default_configENS1_38merge_sort_block_merge_config_selectorIlNS0_10empty_typeEEEZZNS1_27merge_sort_block_merge_implIS3_PlPS5_jNS1_19radix_merge_compareILb0ELb1ElNS0_19identity_decomposerEEEEE10hipError_tT0_T1_T2_jT3_P12ihipStream_tbPNSt15iterator_traitsISE_E10value_typeEPNSK_ISF_E10value_typeEPSG_NS1_7vsmem_tEENKUlT_SE_SF_SG_E_clIS8_S8_S9_S9_EESD_ST_SE_SF_SG_EUlST_E0_NS1_11comp_targetILNS1_3genE2ELNS1_11target_archE906ELNS1_3gpuE6ELNS1_3repE0EEENS1_38merge_mergepath_config_static_selectorELNS0_4arch9wavefront6targetE0EEEvSF_
; %bb.0:
	.section	.rodata,"a",@progbits
	.p2align	6, 0x0
	.amdhsa_kernel _ZN7rocprim17ROCPRIM_400000_NS6detail17trampoline_kernelINS0_14default_configENS1_38merge_sort_block_merge_config_selectorIlNS0_10empty_typeEEEZZNS1_27merge_sort_block_merge_implIS3_PlPS5_jNS1_19radix_merge_compareILb0ELb1ElNS0_19identity_decomposerEEEEE10hipError_tT0_T1_T2_jT3_P12ihipStream_tbPNSt15iterator_traitsISE_E10value_typeEPNSK_ISF_E10value_typeEPSG_NS1_7vsmem_tEENKUlT_SE_SF_SG_E_clIS8_S8_S9_S9_EESD_ST_SE_SF_SG_EUlST_E0_NS1_11comp_targetILNS1_3genE2ELNS1_11target_archE906ELNS1_3gpuE6ELNS1_3repE0EEENS1_38merge_mergepath_config_static_selectorELNS0_4arch9wavefront6targetE0EEEvSF_
		.amdhsa_group_segment_fixed_size 0
		.amdhsa_private_segment_fixed_size 0
		.amdhsa_kernarg_size 72
		.amdhsa_user_sgpr_count 2
		.amdhsa_user_sgpr_dispatch_ptr 0
		.amdhsa_user_sgpr_queue_ptr 0
		.amdhsa_user_sgpr_kernarg_segment_ptr 1
		.amdhsa_user_sgpr_dispatch_id 0
		.amdhsa_user_sgpr_kernarg_preload_length 0
		.amdhsa_user_sgpr_kernarg_preload_offset 0
		.amdhsa_user_sgpr_private_segment_size 0
		.amdhsa_wavefront_size32 1
		.amdhsa_uses_dynamic_stack 0
		.amdhsa_enable_private_segment 0
		.amdhsa_system_sgpr_workgroup_id_x 1
		.amdhsa_system_sgpr_workgroup_id_y 0
		.amdhsa_system_sgpr_workgroup_id_z 0
		.amdhsa_system_sgpr_workgroup_info 0
		.amdhsa_system_vgpr_workitem_id 0
		.amdhsa_next_free_vgpr 1
		.amdhsa_next_free_sgpr 1
		.amdhsa_named_barrier_count 0
		.amdhsa_reserve_vcc 0
		.amdhsa_float_round_mode_32 0
		.amdhsa_float_round_mode_16_64 0
		.amdhsa_float_denorm_mode_32 3
		.amdhsa_float_denorm_mode_16_64 3
		.amdhsa_fp16_overflow 0
		.amdhsa_memory_ordered 1
		.amdhsa_forward_progress 1
		.amdhsa_inst_pref_size 0
		.amdhsa_round_robin_scheduling 0
		.amdhsa_exception_fp_ieee_invalid_op 0
		.amdhsa_exception_fp_denorm_src 0
		.amdhsa_exception_fp_ieee_div_zero 0
		.amdhsa_exception_fp_ieee_overflow 0
		.amdhsa_exception_fp_ieee_underflow 0
		.amdhsa_exception_fp_ieee_inexact 0
		.amdhsa_exception_int_div_zero 0
	.end_amdhsa_kernel
	.section	.text._ZN7rocprim17ROCPRIM_400000_NS6detail17trampoline_kernelINS0_14default_configENS1_38merge_sort_block_merge_config_selectorIlNS0_10empty_typeEEEZZNS1_27merge_sort_block_merge_implIS3_PlPS5_jNS1_19radix_merge_compareILb0ELb1ElNS0_19identity_decomposerEEEEE10hipError_tT0_T1_T2_jT3_P12ihipStream_tbPNSt15iterator_traitsISE_E10value_typeEPNSK_ISF_E10value_typeEPSG_NS1_7vsmem_tEENKUlT_SE_SF_SG_E_clIS8_S8_S9_S9_EESD_ST_SE_SF_SG_EUlST_E0_NS1_11comp_targetILNS1_3genE2ELNS1_11target_archE906ELNS1_3gpuE6ELNS1_3repE0EEENS1_38merge_mergepath_config_static_selectorELNS0_4arch9wavefront6targetE0EEEvSF_,"axG",@progbits,_ZN7rocprim17ROCPRIM_400000_NS6detail17trampoline_kernelINS0_14default_configENS1_38merge_sort_block_merge_config_selectorIlNS0_10empty_typeEEEZZNS1_27merge_sort_block_merge_implIS3_PlPS5_jNS1_19radix_merge_compareILb0ELb1ElNS0_19identity_decomposerEEEEE10hipError_tT0_T1_T2_jT3_P12ihipStream_tbPNSt15iterator_traitsISE_E10value_typeEPNSK_ISF_E10value_typeEPSG_NS1_7vsmem_tEENKUlT_SE_SF_SG_E_clIS8_S8_S9_S9_EESD_ST_SE_SF_SG_EUlST_E0_NS1_11comp_targetILNS1_3genE2ELNS1_11target_archE906ELNS1_3gpuE6ELNS1_3repE0EEENS1_38merge_mergepath_config_static_selectorELNS0_4arch9wavefront6targetE0EEEvSF_,comdat
.Lfunc_end1178:
	.size	_ZN7rocprim17ROCPRIM_400000_NS6detail17trampoline_kernelINS0_14default_configENS1_38merge_sort_block_merge_config_selectorIlNS0_10empty_typeEEEZZNS1_27merge_sort_block_merge_implIS3_PlPS5_jNS1_19radix_merge_compareILb0ELb1ElNS0_19identity_decomposerEEEEE10hipError_tT0_T1_T2_jT3_P12ihipStream_tbPNSt15iterator_traitsISE_E10value_typeEPNSK_ISF_E10value_typeEPSG_NS1_7vsmem_tEENKUlT_SE_SF_SG_E_clIS8_S8_S9_S9_EESD_ST_SE_SF_SG_EUlST_E0_NS1_11comp_targetILNS1_3genE2ELNS1_11target_archE906ELNS1_3gpuE6ELNS1_3repE0EEENS1_38merge_mergepath_config_static_selectorELNS0_4arch9wavefront6targetE0EEEvSF_, .Lfunc_end1178-_ZN7rocprim17ROCPRIM_400000_NS6detail17trampoline_kernelINS0_14default_configENS1_38merge_sort_block_merge_config_selectorIlNS0_10empty_typeEEEZZNS1_27merge_sort_block_merge_implIS3_PlPS5_jNS1_19radix_merge_compareILb0ELb1ElNS0_19identity_decomposerEEEEE10hipError_tT0_T1_T2_jT3_P12ihipStream_tbPNSt15iterator_traitsISE_E10value_typeEPNSK_ISF_E10value_typeEPSG_NS1_7vsmem_tEENKUlT_SE_SF_SG_E_clIS8_S8_S9_S9_EESD_ST_SE_SF_SG_EUlST_E0_NS1_11comp_targetILNS1_3genE2ELNS1_11target_archE906ELNS1_3gpuE6ELNS1_3repE0EEENS1_38merge_mergepath_config_static_selectorELNS0_4arch9wavefront6targetE0EEEvSF_
                                        ; -- End function
	.set _ZN7rocprim17ROCPRIM_400000_NS6detail17trampoline_kernelINS0_14default_configENS1_38merge_sort_block_merge_config_selectorIlNS0_10empty_typeEEEZZNS1_27merge_sort_block_merge_implIS3_PlPS5_jNS1_19radix_merge_compareILb0ELb1ElNS0_19identity_decomposerEEEEE10hipError_tT0_T1_T2_jT3_P12ihipStream_tbPNSt15iterator_traitsISE_E10value_typeEPNSK_ISF_E10value_typeEPSG_NS1_7vsmem_tEENKUlT_SE_SF_SG_E_clIS8_S8_S9_S9_EESD_ST_SE_SF_SG_EUlST_E0_NS1_11comp_targetILNS1_3genE2ELNS1_11target_archE906ELNS1_3gpuE6ELNS1_3repE0EEENS1_38merge_mergepath_config_static_selectorELNS0_4arch9wavefront6targetE0EEEvSF_.num_vgpr, 0
	.set _ZN7rocprim17ROCPRIM_400000_NS6detail17trampoline_kernelINS0_14default_configENS1_38merge_sort_block_merge_config_selectorIlNS0_10empty_typeEEEZZNS1_27merge_sort_block_merge_implIS3_PlPS5_jNS1_19radix_merge_compareILb0ELb1ElNS0_19identity_decomposerEEEEE10hipError_tT0_T1_T2_jT3_P12ihipStream_tbPNSt15iterator_traitsISE_E10value_typeEPNSK_ISF_E10value_typeEPSG_NS1_7vsmem_tEENKUlT_SE_SF_SG_E_clIS8_S8_S9_S9_EESD_ST_SE_SF_SG_EUlST_E0_NS1_11comp_targetILNS1_3genE2ELNS1_11target_archE906ELNS1_3gpuE6ELNS1_3repE0EEENS1_38merge_mergepath_config_static_selectorELNS0_4arch9wavefront6targetE0EEEvSF_.num_agpr, 0
	.set _ZN7rocprim17ROCPRIM_400000_NS6detail17trampoline_kernelINS0_14default_configENS1_38merge_sort_block_merge_config_selectorIlNS0_10empty_typeEEEZZNS1_27merge_sort_block_merge_implIS3_PlPS5_jNS1_19radix_merge_compareILb0ELb1ElNS0_19identity_decomposerEEEEE10hipError_tT0_T1_T2_jT3_P12ihipStream_tbPNSt15iterator_traitsISE_E10value_typeEPNSK_ISF_E10value_typeEPSG_NS1_7vsmem_tEENKUlT_SE_SF_SG_E_clIS8_S8_S9_S9_EESD_ST_SE_SF_SG_EUlST_E0_NS1_11comp_targetILNS1_3genE2ELNS1_11target_archE906ELNS1_3gpuE6ELNS1_3repE0EEENS1_38merge_mergepath_config_static_selectorELNS0_4arch9wavefront6targetE0EEEvSF_.numbered_sgpr, 0
	.set _ZN7rocprim17ROCPRIM_400000_NS6detail17trampoline_kernelINS0_14default_configENS1_38merge_sort_block_merge_config_selectorIlNS0_10empty_typeEEEZZNS1_27merge_sort_block_merge_implIS3_PlPS5_jNS1_19radix_merge_compareILb0ELb1ElNS0_19identity_decomposerEEEEE10hipError_tT0_T1_T2_jT3_P12ihipStream_tbPNSt15iterator_traitsISE_E10value_typeEPNSK_ISF_E10value_typeEPSG_NS1_7vsmem_tEENKUlT_SE_SF_SG_E_clIS8_S8_S9_S9_EESD_ST_SE_SF_SG_EUlST_E0_NS1_11comp_targetILNS1_3genE2ELNS1_11target_archE906ELNS1_3gpuE6ELNS1_3repE0EEENS1_38merge_mergepath_config_static_selectorELNS0_4arch9wavefront6targetE0EEEvSF_.num_named_barrier, 0
	.set _ZN7rocprim17ROCPRIM_400000_NS6detail17trampoline_kernelINS0_14default_configENS1_38merge_sort_block_merge_config_selectorIlNS0_10empty_typeEEEZZNS1_27merge_sort_block_merge_implIS3_PlPS5_jNS1_19radix_merge_compareILb0ELb1ElNS0_19identity_decomposerEEEEE10hipError_tT0_T1_T2_jT3_P12ihipStream_tbPNSt15iterator_traitsISE_E10value_typeEPNSK_ISF_E10value_typeEPSG_NS1_7vsmem_tEENKUlT_SE_SF_SG_E_clIS8_S8_S9_S9_EESD_ST_SE_SF_SG_EUlST_E0_NS1_11comp_targetILNS1_3genE2ELNS1_11target_archE906ELNS1_3gpuE6ELNS1_3repE0EEENS1_38merge_mergepath_config_static_selectorELNS0_4arch9wavefront6targetE0EEEvSF_.private_seg_size, 0
	.set _ZN7rocprim17ROCPRIM_400000_NS6detail17trampoline_kernelINS0_14default_configENS1_38merge_sort_block_merge_config_selectorIlNS0_10empty_typeEEEZZNS1_27merge_sort_block_merge_implIS3_PlPS5_jNS1_19radix_merge_compareILb0ELb1ElNS0_19identity_decomposerEEEEE10hipError_tT0_T1_T2_jT3_P12ihipStream_tbPNSt15iterator_traitsISE_E10value_typeEPNSK_ISF_E10value_typeEPSG_NS1_7vsmem_tEENKUlT_SE_SF_SG_E_clIS8_S8_S9_S9_EESD_ST_SE_SF_SG_EUlST_E0_NS1_11comp_targetILNS1_3genE2ELNS1_11target_archE906ELNS1_3gpuE6ELNS1_3repE0EEENS1_38merge_mergepath_config_static_selectorELNS0_4arch9wavefront6targetE0EEEvSF_.uses_vcc, 0
	.set _ZN7rocprim17ROCPRIM_400000_NS6detail17trampoline_kernelINS0_14default_configENS1_38merge_sort_block_merge_config_selectorIlNS0_10empty_typeEEEZZNS1_27merge_sort_block_merge_implIS3_PlPS5_jNS1_19radix_merge_compareILb0ELb1ElNS0_19identity_decomposerEEEEE10hipError_tT0_T1_T2_jT3_P12ihipStream_tbPNSt15iterator_traitsISE_E10value_typeEPNSK_ISF_E10value_typeEPSG_NS1_7vsmem_tEENKUlT_SE_SF_SG_E_clIS8_S8_S9_S9_EESD_ST_SE_SF_SG_EUlST_E0_NS1_11comp_targetILNS1_3genE2ELNS1_11target_archE906ELNS1_3gpuE6ELNS1_3repE0EEENS1_38merge_mergepath_config_static_selectorELNS0_4arch9wavefront6targetE0EEEvSF_.uses_flat_scratch, 0
	.set _ZN7rocprim17ROCPRIM_400000_NS6detail17trampoline_kernelINS0_14default_configENS1_38merge_sort_block_merge_config_selectorIlNS0_10empty_typeEEEZZNS1_27merge_sort_block_merge_implIS3_PlPS5_jNS1_19radix_merge_compareILb0ELb1ElNS0_19identity_decomposerEEEEE10hipError_tT0_T1_T2_jT3_P12ihipStream_tbPNSt15iterator_traitsISE_E10value_typeEPNSK_ISF_E10value_typeEPSG_NS1_7vsmem_tEENKUlT_SE_SF_SG_E_clIS8_S8_S9_S9_EESD_ST_SE_SF_SG_EUlST_E0_NS1_11comp_targetILNS1_3genE2ELNS1_11target_archE906ELNS1_3gpuE6ELNS1_3repE0EEENS1_38merge_mergepath_config_static_selectorELNS0_4arch9wavefront6targetE0EEEvSF_.has_dyn_sized_stack, 0
	.set _ZN7rocprim17ROCPRIM_400000_NS6detail17trampoline_kernelINS0_14default_configENS1_38merge_sort_block_merge_config_selectorIlNS0_10empty_typeEEEZZNS1_27merge_sort_block_merge_implIS3_PlPS5_jNS1_19radix_merge_compareILb0ELb1ElNS0_19identity_decomposerEEEEE10hipError_tT0_T1_T2_jT3_P12ihipStream_tbPNSt15iterator_traitsISE_E10value_typeEPNSK_ISF_E10value_typeEPSG_NS1_7vsmem_tEENKUlT_SE_SF_SG_E_clIS8_S8_S9_S9_EESD_ST_SE_SF_SG_EUlST_E0_NS1_11comp_targetILNS1_3genE2ELNS1_11target_archE906ELNS1_3gpuE6ELNS1_3repE0EEENS1_38merge_mergepath_config_static_selectorELNS0_4arch9wavefront6targetE0EEEvSF_.has_recursion, 0
	.set _ZN7rocprim17ROCPRIM_400000_NS6detail17trampoline_kernelINS0_14default_configENS1_38merge_sort_block_merge_config_selectorIlNS0_10empty_typeEEEZZNS1_27merge_sort_block_merge_implIS3_PlPS5_jNS1_19radix_merge_compareILb0ELb1ElNS0_19identity_decomposerEEEEE10hipError_tT0_T1_T2_jT3_P12ihipStream_tbPNSt15iterator_traitsISE_E10value_typeEPNSK_ISF_E10value_typeEPSG_NS1_7vsmem_tEENKUlT_SE_SF_SG_E_clIS8_S8_S9_S9_EESD_ST_SE_SF_SG_EUlST_E0_NS1_11comp_targetILNS1_3genE2ELNS1_11target_archE906ELNS1_3gpuE6ELNS1_3repE0EEENS1_38merge_mergepath_config_static_selectorELNS0_4arch9wavefront6targetE0EEEvSF_.has_indirect_call, 0
	.section	.AMDGPU.csdata,"",@progbits
; Kernel info:
; codeLenInByte = 0
; TotalNumSgprs: 0
; NumVgprs: 0
; ScratchSize: 0
; MemoryBound: 0
; FloatMode: 240
; IeeeMode: 1
; LDSByteSize: 0 bytes/workgroup (compile time only)
; SGPRBlocks: 0
; VGPRBlocks: 0
; NumSGPRsForWavesPerEU: 1
; NumVGPRsForWavesPerEU: 1
; NamedBarCnt: 0
; Occupancy: 16
; WaveLimiterHint : 0
; COMPUTE_PGM_RSRC2:SCRATCH_EN: 0
; COMPUTE_PGM_RSRC2:USER_SGPR: 2
; COMPUTE_PGM_RSRC2:TRAP_HANDLER: 0
; COMPUTE_PGM_RSRC2:TGID_X_EN: 1
; COMPUTE_PGM_RSRC2:TGID_Y_EN: 0
; COMPUTE_PGM_RSRC2:TGID_Z_EN: 0
; COMPUTE_PGM_RSRC2:TIDIG_COMP_CNT: 0
	.section	.text._ZN7rocprim17ROCPRIM_400000_NS6detail17trampoline_kernelINS0_14default_configENS1_38merge_sort_block_merge_config_selectorIlNS0_10empty_typeEEEZZNS1_27merge_sort_block_merge_implIS3_PlPS5_jNS1_19radix_merge_compareILb0ELb1ElNS0_19identity_decomposerEEEEE10hipError_tT0_T1_T2_jT3_P12ihipStream_tbPNSt15iterator_traitsISE_E10value_typeEPNSK_ISF_E10value_typeEPSG_NS1_7vsmem_tEENKUlT_SE_SF_SG_E_clIS8_S8_S9_S9_EESD_ST_SE_SF_SG_EUlST_E0_NS1_11comp_targetILNS1_3genE9ELNS1_11target_archE1100ELNS1_3gpuE3ELNS1_3repE0EEENS1_38merge_mergepath_config_static_selectorELNS0_4arch9wavefront6targetE0EEEvSF_,"axG",@progbits,_ZN7rocprim17ROCPRIM_400000_NS6detail17trampoline_kernelINS0_14default_configENS1_38merge_sort_block_merge_config_selectorIlNS0_10empty_typeEEEZZNS1_27merge_sort_block_merge_implIS3_PlPS5_jNS1_19radix_merge_compareILb0ELb1ElNS0_19identity_decomposerEEEEE10hipError_tT0_T1_T2_jT3_P12ihipStream_tbPNSt15iterator_traitsISE_E10value_typeEPNSK_ISF_E10value_typeEPSG_NS1_7vsmem_tEENKUlT_SE_SF_SG_E_clIS8_S8_S9_S9_EESD_ST_SE_SF_SG_EUlST_E0_NS1_11comp_targetILNS1_3genE9ELNS1_11target_archE1100ELNS1_3gpuE3ELNS1_3repE0EEENS1_38merge_mergepath_config_static_selectorELNS0_4arch9wavefront6targetE0EEEvSF_,comdat
	.protected	_ZN7rocprim17ROCPRIM_400000_NS6detail17trampoline_kernelINS0_14default_configENS1_38merge_sort_block_merge_config_selectorIlNS0_10empty_typeEEEZZNS1_27merge_sort_block_merge_implIS3_PlPS5_jNS1_19radix_merge_compareILb0ELb1ElNS0_19identity_decomposerEEEEE10hipError_tT0_T1_T2_jT3_P12ihipStream_tbPNSt15iterator_traitsISE_E10value_typeEPNSK_ISF_E10value_typeEPSG_NS1_7vsmem_tEENKUlT_SE_SF_SG_E_clIS8_S8_S9_S9_EESD_ST_SE_SF_SG_EUlST_E0_NS1_11comp_targetILNS1_3genE9ELNS1_11target_archE1100ELNS1_3gpuE3ELNS1_3repE0EEENS1_38merge_mergepath_config_static_selectorELNS0_4arch9wavefront6targetE0EEEvSF_ ; -- Begin function _ZN7rocprim17ROCPRIM_400000_NS6detail17trampoline_kernelINS0_14default_configENS1_38merge_sort_block_merge_config_selectorIlNS0_10empty_typeEEEZZNS1_27merge_sort_block_merge_implIS3_PlPS5_jNS1_19radix_merge_compareILb0ELb1ElNS0_19identity_decomposerEEEEE10hipError_tT0_T1_T2_jT3_P12ihipStream_tbPNSt15iterator_traitsISE_E10value_typeEPNSK_ISF_E10value_typeEPSG_NS1_7vsmem_tEENKUlT_SE_SF_SG_E_clIS8_S8_S9_S9_EESD_ST_SE_SF_SG_EUlST_E0_NS1_11comp_targetILNS1_3genE9ELNS1_11target_archE1100ELNS1_3gpuE3ELNS1_3repE0EEENS1_38merge_mergepath_config_static_selectorELNS0_4arch9wavefront6targetE0EEEvSF_
	.globl	_ZN7rocprim17ROCPRIM_400000_NS6detail17trampoline_kernelINS0_14default_configENS1_38merge_sort_block_merge_config_selectorIlNS0_10empty_typeEEEZZNS1_27merge_sort_block_merge_implIS3_PlPS5_jNS1_19radix_merge_compareILb0ELb1ElNS0_19identity_decomposerEEEEE10hipError_tT0_T1_T2_jT3_P12ihipStream_tbPNSt15iterator_traitsISE_E10value_typeEPNSK_ISF_E10value_typeEPSG_NS1_7vsmem_tEENKUlT_SE_SF_SG_E_clIS8_S8_S9_S9_EESD_ST_SE_SF_SG_EUlST_E0_NS1_11comp_targetILNS1_3genE9ELNS1_11target_archE1100ELNS1_3gpuE3ELNS1_3repE0EEENS1_38merge_mergepath_config_static_selectorELNS0_4arch9wavefront6targetE0EEEvSF_
	.p2align	8
	.type	_ZN7rocprim17ROCPRIM_400000_NS6detail17trampoline_kernelINS0_14default_configENS1_38merge_sort_block_merge_config_selectorIlNS0_10empty_typeEEEZZNS1_27merge_sort_block_merge_implIS3_PlPS5_jNS1_19radix_merge_compareILb0ELb1ElNS0_19identity_decomposerEEEEE10hipError_tT0_T1_T2_jT3_P12ihipStream_tbPNSt15iterator_traitsISE_E10value_typeEPNSK_ISF_E10value_typeEPSG_NS1_7vsmem_tEENKUlT_SE_SF_SG_E_clIS8_S8_S9_S9_EESD_ST_SE_SF_SG_EUlST_E0_NS1_11comp_targetILNS1_3genE9ELNS1_11target_archE1100ELNS1_3gpuE3ELNS1_3repE0EEENS1_38merge_mergepath_config_static_selectorELNS0_4arch9wavefront6targetE0EEEvSF_,@function
_ZN7rocprim17ROCPRIM_400000_NS6detail17trampoline_kernelINS0_14default_configENS1_38merge_sort_block_merge_config_selectorIlNS0_10empty_typeEEEZZNS1_27merge_sort_block_merge_implIS3_PlPS5_jNS1_19radix_merge_compareILb0ELb1ElNS0_19identity_decomposerEEEEE10hipError_tT0_T1_T2_jT3_P12ihipStream_tbPNSt15iterator_traitsISE_E10value_typeEPNSK_ISF_E10value_typeEPSG_NS1_7vsmem_tEENKUlT_SE_SF_SG_E_clIS8_S8_S9_S9_EESD_ST_SE_SF_SG_EUlST_E0_NS1_11comp_targetILNS1_3genE9ELNS1_11target_archE1100ELNS1_3gpuE3ELNS1_3repE0EEENS1_38merge_mergepath_config_static_selectorELNS0_4arch9wavefront6targetE0EEEvSF_: ; @_ZN7rocprim17ROCPRIM_400000_NS6detail17trampoline_kernelINS0_14default_configENS1_38merge_sort_block_merge_config_selectorIlNS0_10empty_typeEEEZZNS1_27merge_sort_block_merge_implIS3_PlPS5_jNS1_19radix_merge_compareILb0ELb1ElNS0_19identity_decomposerEEEEE10hipError_tT0_T1_T2_jT3_P12ihipStream_tbPNSt15iterator_traitsISE_E10value_typeEPNSK_ISF_E10value_typeEPSG_NS1_7vsmem_tEENKUlT_SE_SF_SG_E_clIS8_S8_S9_S9_EESD_ST_SE_SF_SG_EUlST_E0_NS1_11comp_targetILNS1_3genE9ELNS1_11target_archE1100ELNS1_3gpuE3ELNS1_3repE0EEENS1_38merge_mergepath_config_static_selectorELNS0_4arch9wavefront6targetE0EEEvSF_
; %bb.0:
	.section	.rodata,"a",@progbits
	.p2align	6, 0x0
	.amdhsa_kernel _ZN7rocprim17ROCPRIM_400000_NS6detail17trampoline_kernelINS0_14default_configENS1_38merge_sort_block_merge_config_selectorIlNS0_10empty_typeEEEZZNS1_27merge_sort_block_merge_implIS3_PlPS5_jNS1_19radix_merge_compareILb0ELb1ElNS0_19identity_decomposerEEEEE10hipError_tT0_T1_T2_jT3_P12ihipStream_tbPNSt15iterator_traitsISE_E10value_typeEPNSK_ISF_E10value_typeEPSG_NS1_7vsmem_tEENKUlT_SE_SF_SG_E_clIS8_S8_S9_S9_EESD_ST_SE_SF_SG_EUlST_E0_NS1_11comp_targetILNS1_3genE9ELNS1_11target_archE1100ELNS1_3gpuE3ELNS1_3repE0EEENS1_38merge_mergepath_config_static_selectorELNS0_4arch9wavefront6targetE0EEEvSF_
		.amdhsa_group_segment_fixed_size 0
		.amdhsa_private_segment_fixed_size 0
		.amdhsa_kernarg_size 72
		.amdhsa_user_sgpr_count 2
		.amdhsa_user_sgpr_dispatch_ptr 0
		.amdhsa_user_sgpr_queue_ptr 0
		.amdhsa_user_sgpr_kernarg_segment_ptr 1
		.amdhsa_user_sgpr_dispatch_id 0
		.amdhsa_user_sgpr_kernarg_preload_length 0
		.amdhsa_user_sgpr_kernarg_preload_offset 0
		.amdhsa_user_sgpr_private_segment_size 0
		.amdhsa_wavefront_size32 1
		.amdhsa_uses_dynamic_stack 0
		.amdhsa_enable_private_segment 0
		.amdhsa_system_sgpr_workgroup_id_x 1
		.amdhsa_system_sgpr_workgroup_id_y 0
		.amdhsa_system_sgpr_workgroup_id_z 0
		.amdhsa_system_sgpr_workgroup_info 0
		.amdhsa_system_vgpr_workitem_id 0
		.amdhsa_next_free_vgpr 1
		.amdhsa_next_free_sgpr 1
		.amdhsa_named_barrier_count 0
		.amdhsa_reserve_vcc 0
		.amdhsa_float_round_mode_32 0
		.amdhsa_float_round_mode_16_64 0
		.amdhsa_float_denorm_mode_32 3
		.amdhsa_float_denorm_mode_16_64 3
		.amdhsa_fp16_overflow 0
		.amdhsa_memory_ordered 1
		.amdhsa_forward_progress 1
		.amdhsa_inst_pref_size 0
		.amdhsa_round_robin_scheduling 0
		.amdhsa_exception_fp_ieee_invalid_op 0
		.amdhsa_exception_fp_denorm_src 0
		.amdhsa_exception_fp_ieee_div_zero 0
		.amdhsa_exception_fp_ieee_overflow 0
		.amdhsa_exception_fp_ieee_underflow 0
		.amdhsa_exception_fp_ieee_inexact 0
		.amdhsa_exception_int_div_zero 0
	.end_amdhsa_kernel
	.section	.text._ZN7rocprim17ROCPRIM_400000_NS6detail17trampoline_kernelINS0_14default_configENS1_38merge_sort_block_merge_config_selectorIlNS0_10empty_typeEEEZZNS1_27merge_sort_block_merge_implIS3_PlPS5_jNS1_19radix_merge_compareILb0ELb1ElNS0_19identity_decomposerEEEEE10hipError_tT0_T1_T2_jT3_P12ihipStream_tbPNSt15iterator_traitsISE_E10value_typeEPNSK_ISF_E10value_typeEPSG_NS1_7vsmem_tEENKUlT_SE_SF_SG_E_clIS8_S8_S9_S9_EESD_ST_SE_SF_SG_EUlST_E0_NS1_11comp_targetILNS1_3genE9ELNS1_11target_archE1100ELNS1_3gpuE3ELNS1_3repE0EEENS1_38merge_mergepath_config_static_selectorELNS0_4arch9wavefront6targetE0EEEvSF_,"axG",@progbits,_ZN7rocprim17ROCPRIM_400000_NS6detail17trampoline_kernelINS0_14default_configENS1_38merge_sort_block_merge_config_selectorIlNS0_10empty_typeEEEZZNS1_27merge_sort_block_merge_implIS3_PlPS5_jNS1_19radix_merge_compareILb0ELb1ElNS0_19identity_decomposerEEEEE10hipError_tT0_T1_T2_jT3_P12ihipStream_tbPNSt15iterator_traitsISE_E10value_typeEPNSK_ISF_E10value_typeEPSG_NS1_7vsmem_tEENKUlT_SE_SF_SG_E_clIS8_S8_S9_S9_EESD_ST_SE_SF_SG_EUlST_E0_NS1_11comp_targetILNS1_3genE9ELNS1_11target_archE1100ELNS1_3gpuE3ELNS1_3repE0EEENS1_38merge_mergepath_config_static_selectorELNS0_4arch9wavefront6targetE0EEEvSF_,comdat
.Lfunc_end1179:
	.size	_ZN7rocprim17ROCPRIM_400000_NS6detail17trampoline_kernelINS0_14default_configENS1_38merge_sort_block_merge_config_selectorIlNS0_10empty_typeEEEZZNS1_27merge_sort_block_merge_implIS3_PlPS5_jNS1_19radix_merge_compareILb0ELb1ElNS0_19identity_decomposerEEEEE10hipError_tT0_T1_T2_jT3_P12ihipStream_tbPNSt15iterator_traitsISE_E10value_typeEPNSK_ISF_E10value_typeEPSG_NS1_7vsmem_tEENKUlT_SE_SF_SG_E_clIS8_S8_S9_S9_EESD_ST_SE_SF_SG_EUlST_E0_NS1_11comp_targetILNS1_3genE9ELNS1_11target_archE1100ELNS1_3gpuE3ELNS1_3repE0EEENS1_38merge_mergepath_config_static_selectorELNS0_4arch9wavefront6targetE0EEEvSF_, .Lfunc_end1179-_ZN7rocprim17ROCPRIM_400000_NS6detail17trampoline_kernelINS0_14default_configENS1_38merge_sort_block_merge_config_selectorIlNS0_10empty_typeEEEZZNS1_27merge_sort_block_merge_implIS3_PlPS5_jNS1_19radix_merge_compareILb0ELb1ElNS0_19identity_decomposerEEEEE10hipError_tT0_T1_T2_jT3_P12ihipStream_tbPNSt15iterator_traitsISE_E10value_typeEPNSK_ISF_E10value_typeEPSG_NS1_7vsmem_tEENKUlT_SE_SF_SG_E_clIS8_S8_S9_S9_EESD_ST_SE_SF_SG_EUlST_E0_NS1_11comp_targetILNS1_3genE9ELNS1_11target_archE1100ELNS1_3gpuE3ELNS1_3repE0EEENS1_38merge_mergepath_config_static_selectorELNS0_4arch9wavefront6targetE0EEEvSF_
                                        ; -- End function
	.set _ZN7rocprim17ROCPRIM_400000_NS6detail17trampoline_kernelINS0_14default_configENS1_38merge_sort_block_merge_config_selectorIlNS0_10empty_typeEEEZZNS1_27merge_sort_block_merge_implIS3_PlPS5_jNS1_19radix_merge_compareILb0ELb1ElNS0_19identity_decomposerEEEEE10hipError_tT0_T1_T2_jT3_P12ihipStream_tbPNSt15iterator_traitsISE_E10value_typeEPNSK_ISF_E10value_typeEPSG_NS1_7vsmem_tEENKUlT_SE_SF_SG_E_clIS8_S8_S9_S9_EESD_ST_SE_SF_SG_EUlST_E0_NS1_11comp_targetILNS1_3genE9ELNS1_11target_archE1100ELNS1_3gpuE3ELNS1_3repE0EEENS1_38merge_mergepath_config_static_selectorELNS0_4arch9wavefront6targetE0EEEvSF_.num_vgpr, 0
	.set _ZN7rocprim17ROCPRIM_400000_NS6detail17trampoline_kernelINS0_14default_configENS1_38merge_sort_block_merge_config_selectorIlNS0_10empty_typeEEEZZNS1_27merge_sort_block_merge_implIS3_PlPS5_jNS1_19radix_merge_compareILb0ELb1ElNS0_19identity_decomposerEEEEE10hipError_tT0_T1_T2_jT3_P12ihipStream_tbPNSt15iterator_traitsISE_E10value_typeEPNSK_ISF_E10value_typeEPSG_NS1_7vsmem_tEENKUlT_SE_SF_SG_E_clIS8_S8_S9_S9_EESD_ST_SE_SF_SG_EUlST_E0_NS1_11comp_targetILNS1_3genE9ELNS1_11target_archE1100ELNS1_3gpuE3ELNS1_3repE0EEENS1_38merge_mergepath_config_static_selectorELNS0_4arch9wavefront6targetE0EEEvSF_.num_agpr, 0
	.set _ZN7rocprim17ROCPRIM_400000_NS6detail17trampoline_kernelINS0_14default_configENS1_38merge_sort_block_merge_config_selectorIlNS0_10empty_typeEEEZZNS1_27merge_sort_block_merge_implIS3_PlPS5_jNS1_19radix_merge_compareILb0ELb1ElNS0_19identity_decomposerEEEEE10hipError_tT0_T1_T2_jT3_P12ihipStream_tbPNSt15iterator_traitsISE_E10value_typeEPNSK_ISF_E10value_typeEPSG_NS1_7vsmem_tEENKUlT_SE_SF_SG_E_clIS8_S8_S9_S9_EESD_ST_SE_SF_SG_EUlST_E0_NS1_11comp_targetILNS1_3genE9ELNS1_11target_archE1100ELNS1_3gpuE3ELNS1_3repE0EEENS1_38merge_mergepath_config_static_selectorELNS0_4arch9wavefront6targetE0EEEvSF_.numbered_sgpr, 0
	.set _ZN7rocprim17ROCPRIM_400000_NS6detail17trampoline_kernelINS0_14default_configENS1_38merge_sort_block_merge_config_selectorIlNS0_10empty_typeEEEZZNS1_27merge_sort_block_merge_implIS3_PlPS5_jNS1_19radix_merge_compareILb0ELb1ElNS0_19identity_decomposerEEEEE10hipError_tT0_T1_T2_jT3_P12ihipStream_tbPNSt15iterator_traitsISE_E10value_typeEPNSK_ISF_E10value_typeEPSG_NS1_7vsmem_tEENKUlT_SE_SF_SG_E_clIS8_S8_S9_S9_EESD_ST_SE_SF_SG_EUlST_E0_NS1_11comp_targetILNS1_3genE9ELNS1_11target_archE1100ELNS1_3gpuE3ELNS1_3repE0EEENS1_38merge_mergepath_config_static_selectorELNS0_4arch9wavefront6targetE0EEEvSF_.num_named_barrier, 0
	.set _ZN7rocprim17ROCPRIM_400000_NS6detail17trampoline_kernelINS0_14default_configENS1_38merge_sort_block_merge_config_selectorIlNS0_10empty_typeEEEZZNS1_27merge_sort_block_merge_implIS3_PlPS5_jNS1_19radix_merge_compareILb0ELb1ElNS0_19identity_decomposerEEEEE10hipError_tT0_T1_T2_jT3_P12ihipStream_tbPNSt15iterator_traitsISE_E10value_typeEPNSK_ISF_E10value_typeEPSG_NS1_7vsmem_tEENKUlT_SE_SF_SG_E_clIS8_S8_S9_S9_EESD_ST_SE_SF_SG_EUlST_E0_NS1_11comp_targetILNS1_3genE9ELNS1_11target_archE1100ELNS1_3gpuE3ELNS1_3repE0EEENS1_38merge_mergepath_config_static_selectorELNS0_4arch9wavefront6targetE0EEEvSF_.private_seg_size, 0
	.set _ZN7rocprim17ROCPRIM_400000_NS6detail17trampoline_kernelINS0_14default_configENS1_38merge_sort_block_merge_config_selectorIlNS0_10empty_typeEEEZZNS1_27merge_sort_block_merge_implIS3_PlPS5_jNS1_19radix_merge_compareILb0ELb1ElNS0_19identity_decomposerEEEEE10hipError_tT0_T1_T2_jT3_P12ihipStream_tbPNSt15iterator_traitsISE_E10value_typeEPNSK_ISF_E10value_typeEPSG_NS1_7vsmem_tEENKUlT_SE_SF_SG_E_clIS8_S8_S9_S9_EESD_ST_SE_SF_SG_EUlST_E0_NS1_11comp_targetILNS1_3genE9ELNS1_11target_archE1100ELNS1_3gpuE3ELNS1_3repE0EEENS1_38merge_mergepath_config_static_selectorELNS0_4arch9wavefront6targetE0EEEvSF_.uses_vcc, 0
	.set _ZN7rocprim17ROCPRIM_400000_NS6detail17trampoline_kernelINS0_14default_configENS1_38merge_sort_block_merge_config_selectorIlNS0_10empty_typeEEEZZNS1_27merge_sort_block_merge_implIS3_PlPS5_jNS1_19radix_merge_compareILb0ELb1ElNS0_19identity_decomposerEEEEE10hipError_tT0_T1_T2_jT3_P12ihipStream_tbPNSt15iterator_traitsISE_E10value_typeEPNSK_ISF_E10value_typeEPSG_NS1_7vsmem_tEENKUlT_SE_SF_SG_E_clIS8_S8_S9_S9_EESD_ST_SE_SF_SG_EUlST_E0_NS1_11comp_targetILNS1_3genE9ELNS1_11target_archE1100ELNS1_3gpuE3ELNS1_3repE0EEENS1_38merge_mergepath_config_static_selectorELNS0_4arch9wavefront6targetE0EEEvSF_.uses_flat_scratch, 0
	.set _ZN7rocprim17ROCPRIM_400000_NS6detail17trampoline_kernelINS0_14default_configENS1_38merge_sort_block_merge_config_selectorIlNS0_10empty_typeEEEZZNS1_27merge_sort_block_merge_implIS3_PlPS5_jNS1_19radix_merge_compareILb0ELb1ElNS0_19identity_decomposerEEEEE10hipError_tT0_T1_T2_jT3_P12ihipStream_tbPNSt15iterator_traitsISE_E10value_typeEPNSK_ISF_E10value_typeEPSG_NS1_7vsmem_tEENKUlT_SE_SF_SG_E_clIS8_S8_S9_S9_EESD_ST_SE_SF_SG_EUlST_E0_NS1_11comp_targetILNS1_3genE9ELNS1_11target_archE1100ELNS1_3gpuE3ELNS1_3repE0EEENS1_38merge_mergepath_config_static_selectorELNS0_4arch9wavefront6targetE0EEEvSF_.has_dyn_sized_stack, 0
	.set _ZN7rocprim17ROCPRIM_400000_NS6detail17trampoline_kernelINS0_14default_configENS1_38merge_sort_block_merge_config_selectorIlNS0_10empty_typeEEEZZNS1_27merge_sort_block_merge_implIS3_PlPS5_jNS1_19radix_merge_compareILb0ELb1ElNS0_19identity_decomposerEEEEE10hipError_tT0_T1_T2_jT3_P12ihipStream_tbPNSt15iterator_traitsISE_E10value_typeEPNSK_ISF_E10value_typeEPSG_NS1_7vsmem_tEENKUlT_SE_SF_SG_E_clIS8_S8_S9_S9_EESD_ST_SE_SF_SG_EUlST_E0_NS1_11comp_targetILNS1_3genE9ELNS1_11target_archE1100ELNS1_3gpuE3ELNS1_3repE0EEENS1_38merge_mergepath_config_static_selectorELNS0_4arch9wavefront6targetE0EEEvSF_.has_recursion, 0
	.set _ZN7rocprim17ROCPRIM_400000_NS6detail17trampoline_kernelINS0_14default_configENS1_38merge_sort_block_merge_config_selectorIlNS0_10empty_typeEEEZZNS1_27merge_sort_block_merge_implIS3_PlPS5_jNS1_19radix_merge_compareILb0ELb1ElNS0_19identity_decomposerEEEEE10hipError_tT0_T1_T2_jT3_P12ihipStream_tbPNSt15iterator_traitsISE_E10value_typeEPNSK_ISF_E10value_typeEPSG_NS1_7vsmem_tEENKUlT_SE_SF_SG_E_clIS8_S8_S9_S9_EESD_ST_SE_SF_SG_EUlST_E0_NS1_11comp_targetILNS1_3genE9ELNS1_11target_archE1100ELNS1_3gpuE3ELNS1_3repE0EEENS1_38merge_mergepath_config_static_selectorELNS0_4arch9wavefront6targetE0EEEvSF_.has_indirect_call, 0
	.section	.AMDGPU.csdata,"",@progbits
; Kernel info:
; codeLenInByte = 0
; TotalNumSgprs: 0
; NumVgprs: 0
; ScratchSize: 0
; MemoryBound: 0
; FloatMode: 240
; IeeeMode: 1
; LDSByteSize: 0 bytes/workgroup (compile time only)
; SGPRBlocks: 0
; VGPRBlocks: 0
; NumSGPRsForWavesPerEU: 1
; NumVGPRsForWavesPerEU: 1
; NamedBarCnt: 0
; Occupancy: 16
; WaveLimiterHint : 0
; COMPUTE_PGM_RSRC2:SCRATCH_EN: 0
; COMPUTE_PGM_RSRC2:USER_SGPR: 2
; COMPUTE_PGM_RSRC2:TRAP_HANDLER: 0
; COMPUTE_PGM_RSRC2:TGID_X_EN: 1
; COMPUTE_PGM_RSRC2:TGID_Y_EN: 0
; COMPUTE_PGM_RSRC2:TGID_Z_EN: 0
; COMPUTE_PGM_RSRC2:TIDIG_COMP_CNT: 0
	.section	.text._ZN7rocprim17ROCPRIM_400000_NS6detail17trampoline_kernelINS0_14default_configENS1_38merge_sort_block_merge_config_selectorIlNS0_10empty_typeEEEZZNS1_27merge_sort_block_merge_implIS3_PlPS5_jNS1_19radix_merge_compareILb0ELb1ElNS0_19identity_decomposerEEEEE10hipError_tT0_T1_T2_jT3_P12ihipStream_tbPNSt15iterator_traitsISE_E10value_typeEPNSK_ISF_E10value_typeEPSG_NS1_7vsmem_tEENKUlT_SE_SF_SG_E_clIS8_S8_S9_S9_EESD_ST_SE_SF_SG_EUlST_E0_NS1_11comp_targetILNS1_3genE8ELNS1_11target_archE1030ELNS1_3gpuE2ELNS1_3repE0EEENS1_38merge_mergepath_config_static_selectorELNS0_4arch9wavefront6targetE0EEEvSF_,"axG",@progbits,_ZN7rocprim17ROCPRIM_400000_NS6detail17trampoline_kernelINS0_14default_configENS1_38merge_sort_block_merge_config_selectorIlNS0_10empty_typeEEEZZNS1_27merge_sort_block_merge_implIS3_PlPS5_jNS1_19radix_merge_compareILb0ELb1ElNS0_19identity_decomposerEEEEE10hipError_tT0_T1_T2_jT3_P12ihipStream_tbPNSt15iterator_traitsISE_E10value_typeEPNSK_ISF_E10value_typeEPSG_NS1_7vsmem_tEENKUlT_SE_SF_SG_E_clIS8_S8_S9_S9_EESD_ST_SE_SF_SG_EUlST_E0_NS1_11comp_targetILNS1_3genE8ELNS1_11target_archE1030ELNS1_3gpuE2ELNS1_3repE0EEENS1_38merge_mergepath_config_static_selectorELNS0_4arch9wavefront6targetE0EEEvSF_,comdat
	.protected	_ZN7rocprim17ROCPRIM_400000_NS6detail17trampoline_kernelINS0_14default_configENS1_38merge_sort_block_merge_config_selectorIlNS0_10empty_typeEEEZZNS1_27merge_sort_block_merge_implIS3_PlPS5_jNS1_19radix_merge_compareILb0ELb1ElNS0_19identity_decomposerEEEEE10hipError_tT0_T1_T2_jT3_P12ihipStream_tbPNSt15iterator_traitsISE_E10value_typeEPNSK_ISF_E10value_typeEPSG_NS1_7vsmem_tEENKUlT_SE_SF_SG_E_clIS8_S8_S9_S9_EESD_ST_SE_SF_SG_EUlST_E0_NS1_11comp_targetILNS1_3genE8ELNS1_11target_archE1030ELNS1_3gpuE2ELNS1_3repE0EEENS1_38merge_mergepath_config_static_selectorELNS0_4arch9wavefront6targetE0EEEvSF_ ; -- Begin function _ZN7rocprim17ROCPRIM_400000_NS6detail17trampoline_kernelINS0_14default_configENS1_38merge_sort_block_merge_config_selectorIlNS0_10empty_typeEEEZZNS1_27merge_sort_block_merge_implIS3_PlPS5_jNS1_19radix_merge_compareILb0ELb1ElNS0_19identity_decomposerEEEEE10hipError_tT0_T1_T2_jT3_P12ihipStream_tbPNSt15iterator_traitsISE_E10value_typeEPNSK_ISF_E10value_typeEPSG_NS1_7vsmem_tEENKUlT_SE_SF_SG_E_clIS8_S8_S9_S9_EESD_ST_SE_SF_SG_EUlST_E0_NS1_11comp_targetILNS1_3genE8ELNS1_11target_archE1030ELNS1_3gpuE2ELNS1_3repE0EEENS1_38merge_mergepath_config_static_selectorELNS0_4arch9wavefront6targetE0EEEvSF_
	.globl	_ZN7rocprim17ROCPRIM_400000_NS6detail17trampoline_kernelINS0_14default_configENS1_38merge_sort_block_merge_config_selectorIlNS0_10empty_typeEEEZZNS1_27merge_sort_block_merge_implIS3_PlPS5_jNS1_19radix_merge_compareILb0ELb1ElNS0_19identity_decomposerEEEEE10hipError_tT0_T1_T2_jT3_P12ihipStream_tbPNSt15iterator_traitsISE_E10value_typeEPNSK_ISF_E10value_typeEPSG_NS1_7vsmem_tEENKUlT_SE_SF_SG_E_clIS8_S8_S9_S9_EESD_ST_SE_SF_SG_EUlST_E0_NS1_11comp_targetILNS1_3genE8ELNS1_11target_archE1030ELNS1_3gpuE2ELNS1_3repE0EEENS1_38merge_mergepath_config_static_selectorELNS0_4arch9wavefront6targetE0EEEvSF_
	.p2align	8
	.type	_ZN7rocprim17ROCPRIM_400000_NS6detail17trampoline_kernelINS0_14default_configENS1_38merge_sort_block_merge_config_selectorIlNS0_10empty_typeEEEZZNS1_27merge_sort_block_merge_implIS3_PlPS5_jNS1_19radix_merge_compareILb0ELb1ElNS0_19identity_decomposerEEEEE10hipError_tT0_T1_T2_jT3_P12ihipStream_tbPNSt15iterator_traitsISE_E10value_typeEPNSK_ISF_E10value_typeEPSG_NS1_7vsmem_tEENKUlT_SE_SF_SG_E_clIS8_S8_S9_S9_EESD_ST_SE_SF_SG_EUlST_E0_NS1_11comp_targetILNS1_3genE8ELNS1_11target_archE1030ELNS1_3gpuE2ELNS1_3repE0EEENS1_38merge_mergepath_config_static_selectorELNS0_4arch9wavefront6targetE0EEEvSF_,@function
_ZN7rocprim17ROCPRIM_400000_NS6detail17trampoline_kernelINS0_14default_configENS1_38merge_sort_block_merge_config_selectorIlNS0_10empty_typeEEEZZNS1_27merge_sort_block_merge_implIS3_PlPS5_jNS1_19radix_merge_compareILb0ELb1ElNS0_19identity_decomposerEEEEE10hipError_tT0_T1_T2_jT3_P12ihipStream_tbPNSt15iterator_traitsISE_E10value_typeEPNSK_ISF_E10value_typeEPSG_NS1_7vsmem_tEENKUlT_SE_SF_SG_E_clIS8_S8_S9_S9_EESD_ST_SE_SF_SG_EUlST_E0_NS1_11comp_targetILNS1_3genE8ELNS1_11target_archE1030ELNS1_3gpuE2ELNS1_3repE0EEENS1_38merge_mergepath_config_static_selectorELNS0_4arch9wavefront6targetE0EEEvSF_: ; @_ZN7rocprim17ROCPRIM_400000_NS6detail17trampoline_kernelINS0_14default_configENS1_38merge_sort_block_merge_config_selectorIlNS0_10empty_typeEEEZZNS1_27merge_sort_block_merge_implIS3_PlPS5_jNS1_19radix_merge_compareILb0ELb1ElNS0_19identity_decomposerEEEEE10hipError_tT0_T1_T2_jT3_P12ihipStream_tbPNSt15iterator_traitsISE_E10value_typeEPNSK_ISF_E10value_typeEPSG_NS1_7vsmem_tEENKUlT_SE_SF_SG_E_clIS8_S8_S9_S9_EESD_ST_SE_SF_SG_EUlST_E0_NS1_11comp_targetILNS1_3genE8ELNS1_11target_archE1030ELNS1_3gpuE2ELNS1_3repE0EEENS1_38merge_mergepath_config_static_selectorELNS0_4arch9wavefront6targetE0EEEvSF_
; %bb.0:
	.section	.rodata,"a",@progbits
	.p2align	6, 0x0
	.amdhsa_kernel _ZN7rocprim17ROCPRIM_400000_NS6detail17trampoline_kernelINS0_14default_configENS1_38merge_sort_block_merge_config_selectorIlNS0_10empty_typeEEEZZNS1_27merge_sort_block_merge_implIS3_PlPS5_jNS1_19radix_merge_compareILb0ELb1ElNS0_19identity_decomposerEEEEE10hipError_tT0_T1_T2_jT3_P12ihipStream_tbPNSt15iterator_traitsISE_E10value_typeEPNSK_ISF_E10value_typeEPSG_NS1_7vsmem_tEENKUlT_SE_SF_SG_E_clIS8_S8_S9_S9_EESD_ST_SE_SF_SG_EUlST_E0_NS1_11comp_targetILNS1_3genE8ELNS1_11target_archE1030ELNS1_3gpuE2ELNS1_3repE0EEENS1_38merge_mergepath_config_static_selectorELNS0_4arch9wavefront6targetE0EEEvSF_
		.amdhsa_group_segment_fixed_size 0
		.amdhsa_private_segment_fixed_size 0
		.amdhsa_kernarg_size 72
		.amdhsa_user_sgpr_count 2
		.amdhsa_user_sgpr_dispatch_ptr 0
		.amdhsa_user_sgpr_queue_ptr 0
		.amdhsa_user_sgpr_kernarg_segment_ptr 1
		.amdhsa_user_sgpr_dispatch_id 0
		.amdhsa_user_sgpr_kernarg_preload_length 0
		.amdhsa_user_sgpr_kernarg_preload_offset 0
		.amdhsa_user_sgpr_private_segment_size 0
		.amdhsa_wavefront_size32 1
		.amdhsa_uses_dynamic_stack 0
		.amdhsa_enable_private_segment 0
		.amdhsa_system_sgpr_workgroup_id_x 1
		.amdhsa_system_sgpr_workgroup_id_y 0
		.amdhsa_system_sgpr_workgroup_id_z 0
		.amdhsa_system_sgpr_workgroup_info 0
		.amdhsa_system_vgpr_workitem_id 0
		.amdhsa_next_free_vgpr 1
		.amdhsa_next_free_sgpr 1
		.amdhsa_named_barrier_count 0
		.amdhsa_reserve_vcc 0
		.amdhsa_float_round_mode_32 0
		.amdhsa_float_round_mode_16_64 0
		.amdhsa_float_denorm_mode_32 3
		.amdhsa_float_denorm_mode_16_64 3
		.amdhsa_fp16_overflow 0
		.amdhsa_memory_ordered 1
		.amdhsa_forward_progress 1
		.amdhsa_inst_pref_size 0
		.amdhsa_round_robin_scheduling 0
		.amdhsa_exception_fp_ieee_invalid_op 0
		.amdhsa_exception_fp_denorm_src 0
		.amdhsa_exception_fp_ieee_div_zero 0
		.amdhsa_exception_fp_ieee_overflow 0
		.amdhsa_exception_fp_ieee_underflow 0
		.amdhsa_exception_fp_ieee_inexact 0
		.amdhsa_exception_int_div_zero 0
	.end_amdhsa_kernel
	.section	.text._ZN7rocprim17ROCPRIM_400000_NS6detail17trampoline_kernelINS0_14default_configENS1_38merge_sort_block_merge_config_selectorIlNS0_10empty_typeEEEZZNS1_27merge_sort_block_merge_implIS3_PlPS5_jNS1_19radix_merge_compareILb0ELb1ElNS0_19identity_decomposerEEEEE10hipError_tT0_T1_T2_jT3_P12ihipStream_tbPNSt15iterator_traitsISE_E10value_typeEPNSK_ISF_E10value_typeEPSG_NS1_7vsmem_tEENKUlT_SE_SF_SG_E_clIS8_S8_S9_S9_EESD_ST_SE_SF_SG_EUlST_E0_NS1_11comp_targetILNS1_3genE8ELNS1_11target_archE1030ELNS1_3gpuE2ELNS1_3repE0EEENS1_38merge_mergepath_config_static_selectorELNS0_4arch9wavefront6targetE0EEEvSF_,"axG",@progbits,_ZN7rocprim17ROCPRIM_400000_NS6detail17trampoline_kernelINS0_14default_configENS1_38merge_sort_block_merge_config_selectorIlNS0_10empty_typeEEEZZNS1_27merge_sort_block_merge_implIS3_PlPS5_jNS1_19radix_merge_compareILb0ELb1ElNS0_19identity_decomposerEEEEE10hipError_tT0_T1_T2_jT3_P12ihipStream_tbPNSt15iterator_traitsISE_E10value_typeEPNSK_ISF_E10value_typeEPSG_NS1_7vsmem_tEENKUlT_SE_SF_SG_E_clIS8_S8_S9_S9_EESD_ST_SE_SF_SG_EUlST_E0_NS1_11comp_targetILNS1_3genE8ELNS1_11target_archE1030ELNS1_3gpuE2ELNS1_3repE0EEENS1_38merge_mergepath_config_static_selectorELNS0_4arch9wavefront6targetE0EEEvSF_,comdat
.Lfunc_end1180:
	.size	_ZN7rocprim17ROCPRIM_400000_NS6detail17trampoline_kernelINS0_14default_configENS1_38merge_sort_block_merge_config_selectorIlNS0_10empty_typeEEEZZNS1_27merge_sort_block_merge_implIS3_PlPS5_jNS1_19radix_merge_compareILb0ELb1ElNS0_19identity_decomposerEEEEE10hipError_tT0_T1_T2_jT3_P12ihipStream_tbPNSt15iterator_traitsISE_E10value_typeEPNSK_ISF_E10value_typeEPSG_NS1_7vsmem_tEENKUlT_SE_SF_SG_E_clIS8_S8_S9_S9_EESD_ST_SE_SF_SG_EUlST_E0_NS1_11comp_targetILNS1_3genE8ELNS1_11target_archE1030ELNS1_3gpuE2ELNS1_3repE0EEENS1_38merge_mergepath_config_static_selectorELNS0_4arch9wavefront6targetE0EEEvSF_, .Lfunc_end1180-_ZN7rocprim17ROCPRIM_400000_NS6detail17trampoline_kernelINS0_14default_configENS1_38merge_sort_block_merge_config_selectorIlNS0_10empty_typeEEEZZNS1_27merge_sort_block_merge_implIS3_PlPS5_jNS1_19radix_merge_compareILb0ELb1ElNS0_19identity_decomposerEEEEE10hipError_tT0_T1_T2_jT3_P12ihipStream_tbPNSt15iterator_traitsISE_E10value_typeEPNSK_ISF_E10value_typeEPSG_NS1_7vsmem_tEENKUlT_SE_SF_SG_E_clIS8_S8_S9_S9_EESD_ST_SE_SF_SG_EUlST_E0_NS1_11comp_targetILNS1_3genE8ELNS1_11target_archE1030ELNS1_3gpuE2ELNS1_3repE0EEENS1_38merge_mergepath_config_static_selectorELNS0_4arch9wavefront6targetE0EEEvSF_
                                        ; -- End function
	.set _ZN7rocprim17ROCPRIM_400000_NS6detail17trampoline_kernelINS0_14default_configENS1_38merge_sort_block_merge_config_selectorIlNS0_10empty_typeEEEZZNS1_27merge_sort_block_merge_implIS3_PlPS5_jNS1_19radix_merge_compareILb0ELb1ElNS0_19identity_decomposerEEEEE10hipError_tT0_T1_T2_jT3_P12ihipStream_tbPNSt15iterator_traitsISE_E10value_typeEPNSK_ISF_E10value_typeEPSG_NS1_7vsmem_tEENKUlT_SE_SF_SG_E_clIS8_S8_S9_S9_EESD_ST_SE_SF_SG_EUlST_E0_NS1_11comp_targetILNS1_3genE8ELNS1_11target_archE1030ELNS1_3gpuE2ELNS1_3repE0EEENS1_38merge_mergepath_config_static_selectorELNS0_4arch9wavefront6targetE0EEEvSF_.num_vgpr, 0
	.set _ZN7rocprim17ROCPRIM_400000_NS6detail17trampoline_kernelINS0_14default_configENS1_38merge_sort_block_merge_config_selectorIlNS0_10empty_typeEEEZZNS1_27merge_sort_block_merge_implIS3_PlPS5_jNS1_19radix_merge_compareILb0ELb1ElNS0_19identity_decomposerEEEEE10hipError_tT0_T1_T2_jT3_P12ihipStream_tbPNSt15iterator_traitsISE_E10value_typeEPNSK_ISF_E10value_typeEPSG_NS1_7vsmem_tEENKUlT_SE_SF_SG_E_clIS8_S8_S9_S9_EESD_ST_SE_SF_SG_EUlST_E0_NS1_11comp_targetILNS1_3genE8ELNS1_11target_archE1030ELNS1_3gpuE2ELNS1_3repE0EEENS1_38merge_mergepath_config_static_selectorELNS0_4arch9wavefront6targetE0EEEvSF_.num_agpr, 0
	.set _ZN7rocprim17ROCPRIM_400000_NS6detail17trampoline_kernelINS0_14default_configENS1_38merge_sort_block_merge_config_selectorIlNS0_10empty_typeEEEZZNS1_27merge_sort_block_merge_implIS3_PlPS5_jNS1_19radix_merge_compareILb0ELb1ElNS0_19identity_decomposerEEEEE10hipError_tT0_T1_T2_jT3_P12ihipStream_tbPNSt15iterator_traitsISE_E10value_typeEPNSK_ISF_E10value_typeEPSG_NS1_7vsmem_tEENKUlT_SE_SF_SG_E_clIS8_S8_S9_S9_EESD_ST_SE_SF_SG_EUlST_E0_NS1_11comp_targetILNS1_3genE8ELNS1_11target_archE1030ELNS1_3gpuE2ELNS1_3repE0EEENS1_38merge_mergepath_config_static_selectorELNS0_4arch9wavefront6targetE0EEEvSF_.numbered_sgpr, 0
	.set _ZN7rocprim17ROCPRIM_400000_NS6detail17trampoline_kernelINS0_14default_configENS1_38merge_sort_block_merge_config_selectorIlNS0_10empty_typeEEEZZNS1_27merge_sort_block_merge_implIS3_PlPS5_jNS1_19radix_merge_compareILb0ELb1ElNS0_19identity_decomposerEEEEE10hipError_tT0_T1_T2_jT3_P12ihipStream_tbPNSt15iterator_traitsISE_E10value_typeEPNSK_ISF_E10value_typeEPSG_NS1_7vsmem_tEENKUlT_SE_SF_SG_E_clIS8_S8_S9_S9_EESD_ST_SE_SF_SG_EUlST_E0_NS1_11comp_targetILNS1_3genE8ELNS1_11target_archE1030ELNS1_3gpuE2ELNS1_3repE0EEENS1_38merge_mergepath_config_static_selectorELNS0_4arch9wavefront6targetE0EEEvSF_.num_named_barrier, 0
	.set _ZN7rocprim17ROCPRIM_400000_NS6detail17trampoline_kernelINS0_14default_configENS1_38merge_sort_block_merge_config_selectorIlNS0_10empty_typeEEEZZNS1_27merge_sort_block_merge_implIS3_PlPS5_jNS1_19radix_merge_compareILb0ELb1ElNS0_19identity_decomposerEEEEE10hipError_tT0_T1_T2_jT3_P12ihipStream_tbPNSt15iterator_traitsISE_E10value_typeEPNSK_ISF_E10value_typeEPSG_NS1_7vsmem_tEENKUlT_SE_SF_SG_E_clIS8_S8_S9_S9_EESD_ST_SE_SF_SG_EUlST_E0_NS1_11comp_targetILNS1_3genE8ELNS1_11target_archE1030ELNS1_3gpuE2ELNS1_3repE0EEENS1_38merge_mergepath_config_static_selectorELNS0_4arch9wavefront6targetE0EEEvSF_.private_seg_size, 0
	.set _ZN7rocprim17ROCPRIM_400000_NS6detail17trampoline_kernelINS0_14default_configENS1_38merge_sort_block_merge_config_selectorIlNS0_10empty_typeEEEZZNS1_27merge_sort_block_merge_implIS3_PlPS5_jNS1_19radix_merge_compareILb0ELb1ElNS0_19identity_decomposerEEEEE10hipError_tT0_T1_T2_jT3_P12ihipStream_tbPNSt15iterator_traitsISE_E10value_typeEPNSK_ISF_E10value_typeEPSG_NS1_7vsmem_tEENKUlT_SE_SF_SG_E_clIS8_S8_S9_S9_EESD_ST_SE_SF_SG_EUlST_E0_NS1_11comp_targetILNS1_3genE8ELNS1_11target_archE1030ELNS1_3gpuE2ELNS1_3repE0EEENS1_38merge_mergepath_config_static_selectorELNS0_4arch9wavefront6targetE0EEEvSF_.uses_vcc, 0
	.set _ZN7rocprim17ROCPRIM_400000_NS6detail17trampoline_kernelINS0_14default_configENS1_38merge_sort_block_merge_config_selectorIlNS0_10empty_typeEEEZZNS1_27merge_sort_block_merge_implIS3_PlPS5_jNS1_19radix_merge_compareILb0ELb1ElNS0_19identity_decomposerEEEEE10hipError_tT0_T1_T2_jT3_P12ihipStream_tbPNSt15iterator_traitsISE_E10value_typeEPNSK_ISF_E10value_typeEPSG_NS1_7vsmem_tEENKUlT_SE_SF_SG_E_clIS8_S8_S9_S9_EESD_ST_SE_SF_SG_EUlST_E0_NS1_11comp_targetILNS1_3genE8ELNS1_11target_archE1030ELNS1_3gpuE2ELNS1_3repE0EEENS1_38merge_mergepath_config_static_selectorELNS0_4arch9wavefront6targetE0EEEvSF_.uses_flat_scratch, 0
	.set _ZN7rocprim17ROCPRIM_400000_NS6detail17trampoline_kernelINS0_14default_configENS1_38merge_sort_block_merge_config_selectorIlNS0_10empty_typeEEEZZNS1_27merge_sort_block_merge_implIS3_PlPS5_jNS1_19radix_merge_compareILb0ELb1ElNS0_19identity_decomposerEEEEE10hipError_tT0_T1_T2_jT3_P12ihipStream_tbPNSt15iterator_traitsISE_E10value_typeEPNSK_ISF_E10value_typeEPSG_NS1_7vsmem_tEENKUlT_SE_SF_SG_E_clIS8_S8_S9_S9_EESD_ST_SE_SF_SG_EUlST_E0_NS1_11comp_targetILNS1_3genE8ELNS1_11target_archE1030ELNS1_3gpuE2ELNS1_3repE0EEENS1_38merge_mergepath_config_static_selectorELNS0_4arch9wavefront6targetE0EEEvSF_.has_dyn_sized_stack, 0
	.set _ZN7rocprim17ROCPRIM_400000_NS6detail17trampoline_kernelINS0_14default_configENS1_38merge_sort_block_merge_config_selectorIlNS0_10empty_typeEEEZZNS1_27merge_sort_block_merge_implIS3_PlPS5_jNS1_19radix_merge_compareILb0ELb1ElNS0_19identity_decomposerEEEEE10hipError_tT0_T1_T2_jT3_P12ihipStream_tbPNSt15iterator_traitsISE_E10value_typeEPNSK_ISF_E10value_typeEPSG_NS1_7vsmem_tEENKUlT_SE_SF_SG_E_clIS8_S8_S9_S9_EESD_ST_SE_SF_SG_EUlST_E0_NS1_11comp_targetILNS1_3genE8ELNS1_11target_archE1030ELNS1_3gpuE2ELNS1_3repE0EEENS1_38merge_mergepath_config_static_selectorELNS0_4arch9wavefront6targetE0EEEvSF_.has_recursion, 0
	.set _ZN7rocprim17ROCPRIM_400000_NS6detail17trampoline_kernelINS0_14default_configENS1_38merge_sort_block_merge_config_selectorIlNS0_10empty_typeEEEZZNS1_27merge_sort_block_merge_implIS3_PlPS5_jNS1_19radix_merge_compareILb0ELb1ElNS0_19identity_decomposerEEEEE10hipError_tT0_T1_T2_jT3_P12ihipStream_tbPNSt15iterator_traitsISE_E10value_typeEPNSK_ISF_E10value_typeEPSG_NS1_7vsmem_tEENKUlT_SE_SF_SG_E_clIS8_S8_S9_S9_EESD_ST_SE_SF_SG_EUlST_E0_NS1_11comp_targetILNS1_3genE8ELNS1_11target_archE1030ELNS1_3gpuE2ELNS1_3repE0EEENS1_38merge_mergepath_config_static_selectorELNS0_4arch9wavefront6targetE0EEEvSF_.has_indirect_call, 0
	.section	.AMDGPU.csdata,"",@progbits
; Kernel info:
; codeLenInByte = 0
; TotalNumSgprs: 0
; NumVgprs: 0
; ScratchSize: 0
; MemoryBound: 0
; FloatMode: 240
; IeeeMode: 1
; LDSByteSize: 0 bytes/workgroup (compile time only)
; SGPRBlocks: 0
; VGPRBlocks: 0
; NumSGPRsForWavesPerEU: 1
; NumVGPRsForWavesPerEU: 1
; NamedBarCnt: 0
; Occupancy: 16
; WaveLimiterHint : 0
; COMPUTE_PGM_RSRC2:SCRATCH_EN: 0
; COMPUTE_PGM_RSRC2:USER_SGPR: 2
; COMPUTE_PGM_RSRC2:TRAP_HANDLER: 0
; COMPUTE_PGM_RSRC2:TGID_X_EN: 1
; COMPUTE_PGM_RSRC2:TGID_Y_EN: 0
; COMPUTE_PGM_RSRC2:TGID_Z_EN: 0
; COMPUTE_PGM_RSRC2:TIDIG_COMP_CNT: 0
	.section	.text._ZN7rocprim17ROCPRIM_400000_NS6detail17trampoline_kernelINS0_14default_configENS1_38merge_sort_block_merge_config_selectorIlNS0_10empty_typeEEEZZNS1_27merge_sort_block_merge_implIS3_PlPS5_jNS1_19radix_merge_compareILb0ELb1ElNS0_19identity_decomposerEEEEE10hipError_tT0_T1_T2_jT3_P12ihipStream_tbPNSt15iterator_traitsISE_E10value_typeEPNSK_ISF_E10value_typeEPSG_NS1_7vsmem_tEENKUlT_SE_SF_SG_E_clIS8_S8_S9_S9_EESD_ST_SE_SF_SG_EUlST_E1_NS1_11comp_targetILNS1_3genE0ELNS1_11target_archE4294967295ELNS1_3gpuE0ELNS1_3repE0EEENS1_36merge_oddeven_config_static_selectorELNS0_4arch9wavefront6targetE0EEEvSF_,"axG",@progbits,_ZN7rocprim17ROCPRIM_400000_NS6detail17trampoline_kernelINS0_14default_configENS1_38merge_sort_block_merge_config_selectorIlNS0_10empty_typeEEEZZNS1_27merge_sort_block_merge_implIS3_PlPS5_jNS1_19radix_merge_compareILb0ELb1ElNS0_19identity_decomposerEEEEE10hipError_tT0_T1_T2_jT3_P12ihipStream_tbPNSt15iterator_traitsISE_E10value_typeEPNSK_ISF_E10value_typeEPSG_NS1_7vsmem_tEENKUlT_SE_SF_SG_E_clIS8_S8_S9_S9_EESD_ST_SE_SF_SG_EUlST_E1_NS1_11comp_targetILNS1_3genE0ELNS1_11target_archE4294967295ELNS1_3gpuE0ELNS1_3repE0EEENS1_36merge_oddeven_config_static_selectorELNS0_4arch9wavefront6targetE0EEEvSF_,comdat
	.protected	_ZN7rocprim17ROCPRIM_400000_NS6detail17trampoline_kernelINS0_14default_configENS1_38merge_sort_block_merge_config_selectorIlNS0_10empty_typeEEEZZNS1_27merge_sort_block_merge_implIS3_PlPS5_jNS1_19radix_merge_compareILb0ELb1ElNS0_19identity_decomposerEEEEE10hipError_tT0_T1_T2_jT3_P12ihipStream_tbPNSt15iterator_traitsISE_E10value_typeEPNSK_ISF_E10value_typeEPSG_NS1_7vsmem_tEENKUlT_SE_SF_SG_E_clIS8_S8_S9_S9_EESD_ST_SE_SF_SG_EUlST_E1_NS1_11comp_targetILNS1_3genE0ELNS1_11target_archE4294967295ELNS1_3gpuE0ELNS1_3repE0EEENS1_36merge_oddeven_config_static_selectorELNS0_4arch9wavefront6targetE0EEEvSF_ ; -- Begin function _ZN7rocprim17ROCPRIM_400000_NS6detail17trampoline_kernelINS0_14default_configENS1_38merge_sort_block_merge_config_selectorIlNS0_10empty_typeEEEZZNS1_27merge_sort_block_merge_implIS3_PlPS5_jNS1_19radix_merge_compareILb0ELb1ElNS0_19identity_decomposerEEEEE10hipError_tT0_T1_T2_jT3_P12ihipStream_tbPNSt15iterator_traitsISE_E10value_typeEPNSK_ISF_E10value_typeEPSG_NS1_7vsmem_tEENKUlT_SE_SF_SG_E_clIS8_S8_S9_S9_EESD_ST_SE_SF_SG_EUlST_E1_NS1_11comp_targetILNS1_3genE0ELNS1_11target_archE4294967295ELNS1_3gpuE0ELNS1_3repE0EEENS1_36merge_oddeven_config_static_selectorELNS0_4arch9wavefront6targetE0EEEvSF_
	.globl	_ZN7rocprim17ROCPRIM_400000_NS6detail17trampoline_kernelINS0_14default_configENS1_38merge_sort_block_merge_config_selectorIlNS0_10empty_typeEEEZZNS1_27merge_sort_block_merge_implIS3_PlPS5_jNS1_19radix_merge_compareILb0ELb1ElNS0_19identity_decomposerEEEEE10hipError_tT0_T1_T2_jT3_P12ihipStream_tbPNSt15iterator_traitsISE_E10value_typeEPNSK_ISF_E10value_typeEPSG_NS1_7vsmem_tEENKUlT_SE_SF_SG_E_clIS8_S8_S9_S9_EESD_ST_SE_SF_SG_EUlST_E1_NS1_11comp_targetILNS1_3genE0ELNS1_11target_archE4294967295ELNS1_3gpuE0ELNS1_3repE0EEENS1_36merge_oddeven_config_static_selectorELNS0_4arch9wavefront6targetE0EEEvSF_
	.p2align	8
	.type	_ZN7rocprim17ROCPRIM_400000_NS6detail17trampoline_kernelINS0_14default_configENS1_38merge_sort_block_merge_config_selectorIlNS0_10empty_typeEEEZZNS1_27merge_sort_block_merge_implIS3_PlPS5_jNS1_19radix_merge_compareILb0ELb1ElNS0_19identity_decomposerEEEEE10hipError_tT0_T1_T2_jT3_P12ihipStream_tbPNSt15iterator_traitsISE_E10value_typeEPNSK_ISF_E10value_typeEPSG_NS1_7vsmem_tEENKUlT_SE_SF_SG_E_clIS8_S8_S9_S9_EESD_ST_SE_SF_SG_EUlST_E1_NS1_11comp_targetILNS1_3genE0ELNS1_11target_archE4294967295ELNS1_3gpuE0ELNS1_3repE0EEENS1_36merge_oddeven_config_static_selectorELNS0_4arch9wavefront6targetE0EEEvSF_,@function
_ZN7rocprim17ROCPRIM_400000_NS6detail17trampoline_kernelINS0_14default_configENS1_38merge_sort_block_merge_config_selectorIlNS0_10empty_typeEEEZZNS1_27merge_sort_block_merge_implIS3_PlPS5_jNS1_19radix_merge_compareILb0ELb1ElNS0_19identity_decomposerEEEEE10hipError_tT0_T1_T2_jT3_P12ihipStream_tbPNSt15iterator_traitsISE_E10value_typeEPNSK_ISF_E10value_typeEPSG_NS1_7vsmem_tEENKUlT_SE_SF_SG_E_clIS8_S8_S9_S9_EESD_ST_SE_SF_SG_EUlST_E1_NS1_11comp_targetILNS1_3genE0ELNS1_11target_archE4294967295ELNS1_3gpuE0ELNS1_3repE0EEENS1_36merge_oddeven_config_static_selectorELNS0_4arch9wavefront6targetE0EEEvSF_: ; @_ZN7rocprim17ROCPRIM_400000_NS6detail17trampoline_kernelINS0_14default_configENS1_38merge_sort_block_merge_config_selectorIlNS0_10empty_typeEEEZZNS1_27merge_sort_block_merge_implIS3_PlPS5_jNS1_19radix_merge_compareILb0ELb1ElNS0_19identity_decomposerEEEEE10hipError_tT0_T1_T2_jT3_P12ihipStream_tbPNSt15iterator_traitsISE_E10value_typeEPNSK_ISF_E10value_typeEPSG_NS1_7vsmem_tEENKUlT_SE_SF_SG_E_clIS8_S8_S9_S9_EESD_ST_SE_SF_SG_EUlST_E1_NS1_11comp_targetILNS1_3genE0ELNS1_11target_archE4294967295ELNS1_3gpuE0ELNS1_3repE0EEENS1_36merge_oddeven_config_static_selectorELNS0_4arch9wavefront6targetE0EEEvSF_
; %bb.0:
	s_load_b32 s11, s[0:1], 0x20
	s_bfe_u32 s2, ttmp6, 0x4000c
	s_and_b32 s3, ttmp6, 15
	s_add_co_i32 s2, s2, 1
	s_getreg_b32 s4, hwreg(HW_REG_IB_STS2, 6, 4)
	s_mul_i32 s2, ttmp9, s2
	s_mov_b32 s9, 0
	s_add_co_i32 s3, s3, s2
	s_cmp_eq_u32 s4, 0
	s_cselect_b32 s2, ttmp9, s3
	s_wait_kmcnt 0x0
	s_lshr_b32 s3, s11, 8
	s_delay_alu instid0(SALU_CYCLE_1) | instskip(SKIP_4) | instid1(SALU_CYCLE_1)
	s_cmp_lg_u32 s2, s3
	s_cselect_b32 s15, -1, 0
	s_cmp_eq_u32 s2, s3
	s_cselect_b32 s12, -1, 0
	s_lshl_b32 s8, s2, 8
	s_sub_co_i32 s3, s11, s8
	s_delay_alu instid0(SALU_CYCLE_1) | instskip(SKIP_1) | instid1(SALU_CYCLE_1)
	v_cmp_gt_u32_e64 s3, s3, v0
	s_or_b32 s4, s15, s3
	s_and_saveexec_b32 s5, s4
	s_cbranch_execz .LBB1181_20
; %bb.1:
	s_clause 0x1
	s_load_b128 s[4:7], s[0:1], 0x0
	s_load_b32 s13, s[0:1], 0x24
	s_lshl_b64 s[16:17], s[8:9], 3
	v_add_nc_u32_e32 v5, s8, v0
	s_wait_kmcnt 0x0
	s_add_nc_u64 s[16:17], s[4:5], s[16:17]
	s_lshr_b32 s10, s13, 8
	global_load_b64 v[2:3], v0, s[16:17] scale_offset
	s_sub_co_i32 s14, 0, s10
	s_wait_xcnt 0x0
	s_sub_co_i32 s16, 0, s13
	s_and_b32 s2, s2, s14
	s_delay_alu instid0(SALU_CYCLE_1) | instskip(SKIP_3) | instid1(SALU_CYCLE_1)
	s_and_b32 s10, s2, s10
	s_lshl_b32 s14, s2, 8
	s_cmp_eq_u32 s10, 0
	s_cselect_b32 s2, -1, 0
	s_and_b32 s10, s2, exec_lo
	s_cselect_b32 s10, s13, s16
	s_delay_alu instid0(SALU_CYCLE_1) | instskip(NEXT) | instid1(SALU_CYCLE_1)
	s_add_co_i32 s10, s10, s14
	s_cmp_gt_u32 s11, s10
	s_cbranch_scc1 .LBB1181_3
; %bb.2:
	v_cmp_gt_u32_e32 vcc_lo, s11, v5
	s_or_b32 s9, vcc_lo, s15
	s_delay_alu instid0(SALU_CYCLE_1)
	s_and_b32 s9, s9, exec_lo
	s_cbranch_execz .LBB1181_4
	s_branch .LBB1181_18
.LBB1181_3:
.LBB1181_4:
	s_load_b64 s[0:1], s[0:1], 0x28
	s_min_u32 s8, s10, s11
	s_and_b32 vcc_lo, exec_lo, s12
	s_add_co_i32 s15, s14, s8
	s_min_u32 s14, s14, s8
	v_subrev_nc_u32_e32 v0, s15, v5
	s_add_co_i32 s13, s8, s13
	s_delay_alu instid0(SALU_CYCLE_1)
	s_min_u32 s11, s13, s11
	s_wait_loadcnt 0x0
	s_wait_kmcnt 0x0
	v_dual_add_nc_u32 v4, s14, v0 :: v_dual_bitop2_b32 v1, s1, v3 bitop3:0x40
	v_and_b32_e32 v0, s0, v2
	s_cbranch_vccz .LBB1181_12
; %bb.5:
                                        ; implicit-def: $vgpr5
	s_and_saveexec_b32 s12, s3
	s_cbranch_execz .LBB1181_11
; %bb.6:
	v_mov_b32_e32 v5, s8
	s_cmp_ge_u32 s10, s11
	s_cbranch_scc1 .LBB1181_10
; %bb.7:
	v_dual_mov_b32 v6, s11 :: v_dual_mov_b32 v5, s8
	s_mov_b32 s3, 0
.LBB1181_8:                             ; =>This Inner Loop Header: Depth=1
	s_delay_alu instid0(VALU_DEP_1) | instskip(NEXT) | instid1(VALU_DEP_1)
	v_add_nc_u32_e32 v7, v5, v6
	v_lshrrev_b32_e32 v7, 1, v7
	global_load_b64 v[8:9], v7, s[4:5] scale_offset
	s_wait_loadcnt 0x0
	v_and_b32_e32 v9, s1, v9
	v_and_b32_e32 v8, s0, v8
	s_delay_alu instid0(VALU_DEP_1) | instskip(SKIP_4) | instid1(VALU_DEP_1)
	v_cmp_gt_i64_e32 vcc_lo, v[0:1], v[8:9]
	v_cndmask_b32_e64 v10, 0, 1, vcc_lo
	v_cmp_le_i64_e32 vcc_lo, v[8:9], v[0:1]
	v_add_nc_u32_e32 v9, 1, v7
	v_cndmask_b32_e64 v8, 0, 1, vcc_lo
	v_cndmask_b32_e64 v8, v8, v10, s2
	s_delay_alu instid0(VALU_DEP_1) | instskip(NEXT) | instid1(VALU_DEP_1)
	v_and_b32_e32 v8, 1, v8
	v_cmp_eq_u32_e32 vcc_lo, 1, v8
	v_dual_cndmask_b32 v6, v7, v6 :: v_dual_cndmask_b32 v5, v5, v9
	s_delay_alu instid0(VALU_DEP_1) | instskip(SKIP_1) | instid1(SALU_CYCLE_1)
	v_cmp_ge_u32_e32 vcc_lo, v5, v6
	s_or_b32 s3, vcc_lo, s3
	s_and_not1_b32 exec_lo, exec_lo, s3
	s_cbranch_execnz .LBB1181_8
; %bb.9:
	s_or_b32 exec_lo, exec_lo, s3
.LBB1181_10:
	s_delay_alu instid0(VALU_DEP_1)
	v_add_nc_u32_e32 v5, v5, v4
	s_or_b32 s9, s9, exec_lo
.LBB1181_11:
	s_or_b32 exec_lo, exec_lo, s12
	s_branch .LBB1181_18
.LBB1181_12:
                                        ; implicit-def: $vgpr5
	s_cbranch_execz .LBB1181_18
; %bb.13:
	v_mov_b32_e32 v5, s8
	s_cmp_ge_u32 s10, s11
	s_cbranch_scc1 .LBB1181_17
; %bb.14:
	v_dual_mov_b32 v6, s11 :: v_dual_mov_b32 v5, s8
	s_mov_b32 s3, 0
.LBB1181_15:                            ; =>This Inner Loop Header: Depth=1
	s_delay_alu instid0(VALU_DEP_1) | instskip(NEXT) | instid1(VALU_DEP_1)
	v_add_nc_u32_e32 v7, v5, v6
	v_lshrrev_b32_e32 v7, 1, v7
	global_load_b64 v[8:9], v7, s[4:5] scale_offset
	s_wait_loadcnt 0x0
	v_and_b32_e32 v9, s1, v9
	v_and_b32_e32 v8, s0, v8
	s_delay_alu instid0(VALU_DEP_1) | instskip(SKIP_4) | instid1(VALU_DEP_1)
	v_cmp_gt_i64_e32 vcc_lo, v[0:1], v[8:9]
	v_cndmask_b32_e64 v10, 0, 1, vcc_lo
	v_cmp_le_i64_e32 vcc_lo, v[8:9], v[0:1]
	v_add_nc_u32_e32 v9, 1, v7
	v_cndmask_b32_e64 v8, 0, 1, vcc_lo
	v_cndmask_b32_e64 v8, v8, v10, s2
	s_delay_alu instid0(VALU_DEP_1) | instskip(NEXT) | instid1(VALU_DEP_1)
	v_and_b32_e32 v8, 1, v8
	v_cmp_eq_u32_e32 vcc_lo, 1, v8
	v_dual_cndmask_b32 v6, v7, v6 :: v_dual_cndmask_b32 v5, v5, v9
	s_delay_alu instid0(VALU_DEP_1) | instskip(SKIP_1) | instid1(SALU_CYCLE_1)
	v_cmp_ge_u32_e32 vcc_lo, v5, v6
	s_or_b32 s3, vcc_lo, s3
	s_and_not1_b32 exec_lo, exec_lo, s3
	s_cbranch_execnz .LBB1181_15
; %bb.16:
	s_or_b32 exec_lo, exec_lo, s3
.LBB1181_17:
	s_delay_alu instid0(VALU_DEP_1)
	v_add_nc_u32_e32 v5, v5, v4
	s_mov_b32 s9, -1
.LBB1181_18:
	s_delay_alu instid0(SALU_CYCLE_1)
	s_and_b32 exec_lo, exec_lo, s9
	s_cbranch_execz .LBB1181_20
; %bb.19:
	s_wait_loadcnt 0x0
	global_store_b64 v5, v[2:3], s[6:7] scale_offset
.LBB1181_20:
	s_endpgm
	.section	.rodata,"a",@progbits
	.p2align	6, 0x0
	.amdhsa_kernel _ZN7rocprim17ROCPRIM_400000_NS6detail17trampoline_kernelINS0_14default_configENS1_38merge_sort_block_merge_config_selectorIlNS0_10empty_typeEEEZZNS1_27merge_sort_block_merge_implIS3_PlPS5_jNS1_19radix_merge_compareILb0ELb1ElNS0_19identity_decomposerEEEEE10hipError_tT0_T1_T2_jT3_P12ihipStream_tbPNSt15iterator_traitsISE_E10value_typeEPNSK_ISF_E10value_typeEPSG_NS1_7vsmem_tEENKUlT_SE_SF_SG_E_clIS8_S8_S9_S9_EESD_ST_SE_SF_SG_EUlST_E1_NS1_11comp_targetILNS1_3genE0ELNS1_11target_archE4294967295ELNS1_3gpuE0ELNS1_3repE0EEENS1_36merge_oddeven_config_static_selectorELNS0_4arch9wavefront6targetE0EEEvSF_
		.amdhsa_group_segment_fixed_size 0
		.amdhsa_private_segment_fixed_size 0
		.amdhsa_kernarg_size 48
		.amdhsa_user_sgpr_count 2
		.amdhsa_user_sgpr_dispatch_ptr 0
		.amdhsa_user_sgpr_queue_ptr 0
		.amdhsa_user_sgpr_kernarg_segment_ptr 1
		.amdhsa_user_sgpr_dispatch_id 0
		.amdhsa_user_sgpr_kernarg_preload_length 0
		.amdhsa_user_sgpr_kernarg_preload_offset 0
		.amdhsa_user_sgpr_private_segment_size 0
		.amdhsa_wavefront_size32 1
		.amdhsa_uses_dynamic_stack 0
		.amdhsa_enable_private_segment 0
		.amdhsa_system_sgpr_workgroup_id_x 1
		.amdhsa_system_sgpr_workgroup_id_y 0
		.amdhsa_system_sgpr_workgroup_id_z 0
		.amdhsa_system_sgpr_workgroup_info 0
		.amdhsa_system_vgpr_workitem_id 0
		.amdhsa_next_free_vgpr 11
		.amdhsa_next_free_sgpr 18
		.amdhsa_named_barrier_count 0
		.amdhsa_reserve_vcc 1
		.amdhsa_float_round_mode_32 0
		.amdhsa_float_round_mode_16_64 0
		.amdhsa_float_denorm_mode_32 3
		.amdhsa_float_denorm_mode_16_64 3
		.amdhsa_fp16_overflow 0
		.amdhsa_memory_ordered 1
		.amdhsa_forward_progress 1
		.amdhsa_inst_pref_size 6
		.amdhsa_round_robin_scheduling 0
		.amdhsa_exception_fp_ieee_invalid_op 0
		.amdhsa_exception_fp_denorm_src 0
		.amdhsa_exception_fp_ieee_div_zero 0
		.amdhsa_exception_fp_ieee_overflow 0
		.amdhsa_exception_fp_ieee_underflow 0
		.amdhsa_exception_fp_ieee_inexact 0
		.amdhsa_exception_int_div_zero 0
	.end_amdhsa_kernel
	.section	.text._ZN7rocprim17ROCPRIM_400000_NS6detail17trampoline_kernelINS0_14default_configENS1_38merge_sort_block_merge_config_selectorIlNS0_10empty_typeEEEZZNS1_27merge_sort_block_merge_implIS3_PlPS5_jNS1_19radix_merge_compareILb0ELb1ElNS0_19identity_decomposerEEEEE10hipError_tT0_T1_T2_jT3_P12ihipStream_tbPNSt15iterator_traitsISE_E10value_typeEPNSK_ISF_E10value_typeEPSG_NS1_7vsmem_tEENKUlT_SE_SF_SG_E_clIS8_S8_S9_S9_EESD_ST_SE_SF_SG_EUlST_E1_NS1_11comp_targetILNS1_3genE0ELNS1_11target_archE4294967295ELNS1_3gpuE0ELNS1_3repE0EEENS1_36merge_oddeven_config_static_selectorELNS0_4arch9wavefront6targetE0EEEvSF_,"axG",@progbits,_ZN7rocprim17ROCPRIM_400000_NS6detail17trampoline_kernelINS0_14default_configENS1_38merge_sort_block_merge_config_selectorIlNS0_10empty_typeEEEZZNS1_27merge_sort_block_merge_implIS3_PlPS5_jNS1_19radix_merge_compareILb0ELb1ElNS0_19identity_decomposerEEEEE10hipError_tT0_T1_T2_jT3_P12ihipStream_tbPNSt15iterator_traitsISE_E10value_typeEPNSK_ISF_E10value_typeEPSG_NS1_7vsmem_tEENKUlT_SE_SF_SG_E_clIS8_S8_S9_S9_EESD_ST_SE_SF_SG_EUlST_E1_NS1_11comp_targetILNS1_3genE0ELNS1_11target_archE4294967295ELNS1_3gpuE0ELNS1_3repE0EEENS1_36merge_oddeven_config_static_selectorELNS0_4arch9wavefront6targetE0EEEvSF_,comdat
.Lfunc_end1181:
	.size	_ZN7rocprim17ROCPRIM_400000_NS6detail17trampoline_kernelINS0_14default_configENS1_38merge_sort_block_merge_config_selectorIlNS0_10empty_typeEEEZZNS1_27merge_sort_block_merge_implIS3_PlPS5_jNS1_19radix_merge_compareILb0ELb1ElNS0_19identity_decomposerEEEEE10hipError_tT0_T1_T2_jT3_P12ihipStream_tbPNSt15iterator_traitsISE_E10value_typeEPNSK_ISF_E10value_typeEPSG_NS1_7vsmem_tEENKUlT_SE_SF_SG_E_clIS8_S8_S9_S9_EESD_ST_SE_SF_SG_EUlST_E1_NS1_11comp_targetILNS1_3genE0ELNS1_11target_archE4294967295ELNS1_3gpuE0ELNS1_3repE0EEENS1_36merge_oddeven_config_static_selectorELNS0_4arch9wavefront6targetE0EEEvSF_, .Lfunc_end1181-_ZN7rocprim17ROCPRIM_400000_NS6detail17trampoline_kernelINS0_14default_configENS1_38merge_sort_block_merge_config_selectorIlNS0_10empty_typeEEEZZNS1_27merge_sort_block_merge_implIS3_PlPS5_jNS1_19radix_merge_compareILb0ELb1ElNS0_19identity_decomposerEEEEE10hipError_tT0_T1_T2_jT3_P12ihipStream_tbPNSt15iterator_traitsISE_E10value_typeEPNSK_ISF_E10value_typeEPSG_NS1_7vsmem_tEENKUlT_SE_SF_SG_E_clIS8_S8_S9_S9_EESD_ST_SE_SF_SG_EUlST_E1_NS1_11comp_targetILNS1_3genE0ELNS1_11target_archE4294967295ELNS1_3gpuE0ELNS1_3repE0EEENS1_36merge_oddeven_config_static_selectorELNS0_4arch9wavefront6targetE0EEEvSF_
                                        ; -- End function
	.set _ZN7rocprim17ROCPRIM_400000_NS6detail17trampoline_kernelINS0_14default_configENS1_38merge_sort_block_merge_config_selectorIlNS0_10empty_typeEEEZZNS1_27merge_sort_block_merge_implIS3_PlPS5_jNS1_19radix_merge_compareILb0ELb1ElNS0_19identity_decomposerEEEEE10hipError_tT0_T1_T2_jT3_P12ihipStream_tbPNSt15iterator_traitsISE_E10value_typeEPNSK_ISF_E10value_typeEPSG_NS1_7vsmem_tEENKUlT_SE_SF_SG_E_clIS8_S8_S9_S9_EESD_ST_SE_SF_SG_EUlST_E1_NS1_11comp_targetILNS1_3genE0ELNS1_11target_archE4294967295ELNS1_3gpuE0ELNS1_3repE0EEENS1_36merge_oddeven_config_static_selectorELNS0_4arch9wavefront6targetE0EEEvSF_.num_vgpr, 11
	.set _ZN7rocprim17ROCPRIM_400000_NS6detail17trampoline_kernelINS0_14default_configENS1_38merge_sort_block_merge_config_selectorIlNS0_10empty_typeEEEZZNS1_27merge_sort_block_merge_implIS3_PlPS5_jNS1_19radix_merge_compareILb0ELb1ElNS0_19identity_decomposerEEEEE10hipError_tT0_T1_T2_jT3_P12ihipStream_tbPNSt15iterator_traitsISE_E10value_typeEPNSK_ISF_E10value_typeEPSG_NS1_7vsmem_tEENKUlT_SE_SF_SG_E_clIS8_S8_S9_S9_EESD_ST_SE_SF_SG_EUlST_E1_NS1_11comp_targetILNS1_3genE0ELNS1_11target_archE4294967295ELNS1_3gpuE0ELNS1_3repE0EEENS1_36merge_oddeven_config_static_selectorELNS0_4arch9wavefront6targetE0EEEvSF_.num_agpr, 0
	.set _ZN7rocprim17ROCPRIM_400000_NS6detail17trampoline_kernelINS0_14default_configENS1_38merge_sort_block_merge_config_selectorIlNS0_10empty_typeEEEZZNS1_27merge_sort_block_merge_implIS3_PlPS5_jNS1_19radix_merge_compareILb0ELb1ElNS0_19identity_decomposerEEEEE10hipError_tT0_T1_T2_jT3_P12ihipStream_tbPNSt15iterator_traitsISE_E10value_typeEPNSK_ISF_E10value_typeEPSG_NS1_7vsmem_tEENKUlT_SE_SF_SG_E_clIS8_S8_S9_S9_EESD_ST_SE_SF_SG_EUlST_E1_NS1_11comp_targetILNS1_3genE0ELNS1_11target_archE4294967295ELNS1_3gpuE0ELNS1_3repE0EEENS1_36merge_oddeven_config_static_selectorELNS0_4arch9wavefront6targetE0EEEvSF_.numbered_sgpr, 18
	.set _ZN7rocprim17ROCPRIM_400000_NS6detail17trampoline_kernelINS0_14default_configENS1_38merge_sort_block_merge_config_selectorIlNS0_10empty_typeEEEZZNS1_27merge_sort_block_merge_implIS3_PlPS5_jNS1_19radix_merge_compareILb0ELb1ElNS0_19identity_decomposerEEEEE10hipError_tT0_T1_T2_jT3_P12ihipStream_tbPNSt15iterator_traitsISE_E10value_typeEPNSK_ISF_E10value_typeEPSG_NS1_7vsmem_tEENKUlT_SE_SF_SG_E_clIS8_S8_S9_S9_EESD_ST_SE_SF_SG_EUlST_E1_NS1_11comp_targetILNS1_3genE0ELNS1_11target_archE4294967295ELNS1_3gpuE0ELNS1_3repE0EEENS1_36merge_oddeven_config_static_selectorELNS0_4arch9wavefront6targetE0EEEvSF_.num_named_barrier, 0
	.set _ZN7rocprim17ROCPRIM_400000_NS6detail17trampoline_kernelINS0_14default_configENS1_38merge_sort_block_merge_config_selectorIlNS0_10empty_typeEEEZZNS1_27merge_sort_block_merge_implIS3_PlPS5_jNS1_19radix_merge_compareILb0ELb1ElNS0_19identity_decomposerEEEEE10hipError_tT0_T1_T2_jT3_P12ihipStream_tbPNSt15iterator_traitsISE_E10value_typeEPNSK_ISF_E10value_typeEPSG_NS1_7vsmem_tEENKUlT_SE_SF_SG_E_clIS8_S8_S9_S9_EESD_ST_SE_SF_SG_EUlST_E1_NS1_11comp_targetILNS1_3genE0ELNS1_11target_archE4294967295ELNS1_3gpuE0ELNS1_3repE0EEENS1_36merge_oddeven_config_static_selectorELNS0_4arch9wavefront6targetE0EEEvSF_.private_seg_size, 0
	.set _ZN7rocprim17ROCPRIM_400000_NS6detail17trampoline_kernelINS0_14default_configENS1_38merge_sort_block_merge_config_selectorIlNS0_10empty_typeEEEZZNS1_27merge_sort_block_merge_implIS3_PlPS5_jNS1_19radix_merge_compareILb0ELb1ElNS0_19identity_decomposerEEEEE10hipError_tT0_T1_T2_jT3_P12ihipStream_tbPNSt15iterator_traitsISE_E10value_typeEPNSK_ISF_E10value_typeEPSG_NS1_7vsmem_tEENKUlT_SE_SF_SG_E_clIS8_S8_S9_S9_EESD_ST_SE_SF_SG_EUlST_E1_NS1_11comp_targetILNS1_3genE0ELNS1_11target_archE4294967295ELNS1_3gpuE0ELNS1_3repE0EEENS1_36merge_oddeven_config_static_selectorELNS0_4arch9wavefront6targetE0EEEvSF_.uses_vcc, 1
	.set _ZN7rocprim17ROCPRIM_400000_NS6detail17trampoline_kernelINS0_14default_configENS1_38merge_sort_block_merge_config_selectorIlNS0_10empty_typeEEEZZNS1_27merge_sort_block_merge_implIS3_PlPS5_jNS1_19radix_merge_compareILb0ELb1ElNS0_19identity_decomposerEEEEE10hipError_tT0_T1_T2_jT3_P12ihipStream_tbPNSt15iterator_traitsISE_E10value_typeEPNSK_ISF_E10value_typeEPSG_NS1_7vsmem_tEENKUlT_SE_SF_SG_E_clIS8_S8_S9_S9_EESD_ST_SE_SF_SG_EUlST_E1_NS1_11comp_targetILNS1_3genE0ELNS1_11target_archE4294967295ELNS1_3gpuE0ELNS1_3repE0EEENS1_36merge_oddeven_config_static_selectorELNS0_4arch9wavefront6targetE0EEEvSF_.uses_flat_scratch, 0
	.set _ZN7rocprim17ROCPRIM_400000_NS6detail17trampoline_kernelINS0_14default_configENS1_38merge_sort_block_merge_config_selectorIlNS0_10empty_typeEEEZZNS1_27merge_sort_block_merge_implIS3_PlPS5_jNS1_19radix_merge_compareILb0ELb1ElNS0_19identity_decomposerEEEEE10hipError_tT0_T1_T2_jT3_P12ihipStream_tbPNSt15iterator_traitsISE_E10value_typeEPNSK_ISF_E10value_typeEPSG_NS1_7vsmem_tEENKUlT_SE_SF_SG_E_clIS8_S8_S9_S9_EESD_ST_SE_SF_SG_EUlST_E1_NS1_11comp_targetILNS1_3genE0ELNS1_11target_archE4294967295ELNS1_3gpuE0ELNS1_3repE0EEENS1_36merge_oddeven_config_static_selectorELNS0_4arch9wavefront6targetE0EEEvSF_.has_dyn_sized_stack, 0
	.set _ZN7rocprim17ROCPRIM_400000_NS6detail17trampoline_kernelINS0_14default_configENS1_38merge_sort_block_merge_config_selectorIlNS0_10empty_typeEEEZZNS1_27merge_sort_block_merge_implIS3_PlPS5_jNS1_19radix_merge_compareILb0ELb1ElNS0_19identity_decomposerEEEEE10hipError_tT0_T1_T2_jT3_P12ihipStream_tbPNSt15iterator_traitsISE_E10value_typeEPNSK_ISF_E10value_typeEPSG_NS1_7vsmem_tEENKUlT_SE_SF_SG_E_clIS8_S8_S9_S9_EESD_ST_SE_SF_SG_EUlST_E1_NS1_11comp_targetILNS1_3genE0ELNS1_11target_archE4294967295ELNS1_3gpuE0ELNS1_3repE0EEENS1_36merge_oddeven_config_static_selectorELNS0_4arch9wavefront6targetE0EEEvSF_.has_recursion, 0
	.set _ZN7rocprim17ROCPRIM_400000_NS6detail17trampoline_kernelINS0_14default_configENS1_38merge_sort_block_merge_config_selectorIlNS0_10empty_typeEEEZZNS1_27merge_sort_block_merge_implIS3_PlPS5_jNS1_19radix_merge_compareILb0ELb1ElNS0_19identity_decomposerEEEEE10hipError_tT0_T1_T2_jT3_P12ihipStream_tbPNSt15iterator_traitsISE_E10value_typeEPNSK_ISF_E10value_typeEPSG_NS1_7vsmem_tEENKUlT_SE_SF_SG_E_clIS8_S8_S9_S9_EESD_ST_SE_SF_SG_EUlST_E1_NS1_11comp_targetILNS1_3genE0ELNS1_11target_archE4294967295ELNS1_3gpuE0ELNS1_3repE0EEENS1_36merge_oddeven_config_static_selectorELNS0_4arch9wavefront6targetE0EEEvSF_.has_indirect_call, 0
	.section	.AMDGPU.csdata,"",@progbits
; Kernel info:
; codeLenInByte = 676
; TotalNumSgprs: 20
; NumVgprs: 11
; ScratchSize: 0
; MemoryBound: 0
; FloatMode: 240
; IeeeMode: 1
; LDSByteSize: 0 bytes/workgroup (compile time only)
; SGPRBlocks: 0
; VGPRBlocks: 0
; NumSGPRsForWavesPerEU: 20
; NumVGPRsForWavesPerEU: 11
; NamedBarCnt: 0
; Occupancy: 16
; WaveLimiterHint : 0
; COMPUTE_PGM_RSRC2:SCRATCH_EN: 0
; COMPUTE_PGM_RSRC2:USER_SGPR: 2
; COMPUTE_PGM_RSRC2:TRAP_HANDLER: 0
; COMPUTE_PGM_RSRC2:TGID_X_EN: 1
; COMPUTE_PGM_RSRC2:TGID_Y_EN: 0
; COMPUTE_PGM_RSRC2:TGID_Z_EN: 0
; COMPUTE_PGM_RSRC2:TIDIG_COMP_CNT: 0
	.section	.text._ZN7rocprim17ROCPRIM_400000_NS6detail17trampoline_kernelINS0_14default_configENS1_38merge_sort_block_merge_config_selectorIlNS0_10empty_typeEEEZZNS1_27merge_sort_block_merge_implIS3_PlPS5_jNS1_19radix_merge_compareILb0ELb1ElNS0_19identity_decomposerEEEEE10hipError_tT0_T1_T2_jT3_P12ihipStream_tbPNSt15iterator_traitsISE_E10value_typeEPNSK_ISF_E10value_typeEPSG_NS1_7vsmem_tEENKUlT_SE_SF_SG_E_clIS8_S8_S9_S9_EESD_ST_SE_SF_SG_EUlST_E1_NS1_11comp_targetILNS1_3genE10ELNS1_11target_archE1201ELNS1_3gpuE5ELNS1_3repE0EEENS1_36merge_oddeven_config_static_selectorELNS0_4arch9wavefront6targetE0EEEvSF_,"axG",@progbits,_ZN7rocprim17ROCPRIM_400000_NS6detail17trampoline_kernelINS0_14default_configENS1_38merge_sort_block_merge_config_selectorIlNS0_10empty_typeEEEZZNS1_27merge_sort_block_merge_implIS3_PlPS5_jNS1_19radix_merge_compareILb0ELb1ElNS0_19identity_decomposerEEEEE10hipError_tT0_T1_T2_jT3_P12ihipStream_tbPNSt15iterator_traitsISE_E10value_typeEPNSK_ISF_E10value_typeEPSG_NS1_7vsmem_tEENKUlT_SE_SF_SG_E_clIS8_S8_S9_S9_EESD_ST_SE_SF_SG_EUlST_E1_NS1_11comp_targetILNS1_3genE10ELNS1_11target_archE1201ELNS1_3gpuE5ELNS1_3repE0EEENS1_36merge_oddeven_config_static_selectorELNS0_4arch9wavefront6targetE0EEEvSF_,comdat
	.protected	_ZN7rocprim17ROCPRIM_400000_NS6detail17trampoline_kernelINS0_14default_configENS1_38merge_sort_block_merge_config_selectorIlNS0_10empty_typeEEEZZNS1_27merge_sort_block_merge_implIS3_PlPS5_jNS1_19radix_merge_compareILb0ELb1ElNS0_19identity_decomposerEEEEE10hipError_tT0_T1_T2_jT3_P12ihipStream_tbPNSt15iterator_traitsISE_E10value_typeEPNSK_ISF_E10value_typeEPSG_NS1_7vsmem_tEENKUlT_SE_SF_SG_E_clIS8_S8_S9_S9_EESD_ST_SE_SF_SG_EUlST_E1_NS1_11comp_targetILNS1_3genE10ELNS1_11target_archE1201ELNS1_3gpuE5ELNS1_3repE0EEENS1_36merge_oddeven_config_static_selectorELNS0_4arch9wavefront6targetE0EEEvSF_ ; -- Begin function _ZN7rocprim17ROCPRIM_400000_NS6detail17trampoline_kernelINS0_14default_configENS1_38merge_sort_block_merge_config_selectorIlNS0_10empty_typeEEEZZNS1_27merge_sort_block_merge_implIS3_PlPS5_jNS1_19radix_merge_compareILb0ELb1ElNS0_19identity_decomposerEEEEE10hipError_tT0_T1_T2_jT3_P12ihipStream_tbPNSt15iterator_traitsISE_E10value_typeEPNSK_ISF_E10value_typeEPSG_NS1_7vsmem_tEENKUlT_SE_SF_SG_E_clIS8_S8_S9_S9_EESD_ST_SE_SF_SG_EUlST_E1_NS1_11comp_targetILNS1_3genE10ELNS1_11target_archE1201ELNS1_3gpuE5ELNS1_3repE0EEENS1_36merge_oddeven_config_static_selectorELNS0_4arch9wavefront6targetE0EEEvSF_
	.globl	_ZN7rocprim17ROCPRIM_400000_NS6detail17trampoline_kernelINS0_14default_configENS1_38merge_sort_block_merge_config_selectorIlNS0_10empty_typeEEEZZNS1_27merge_sort_block_merge_implIS3_PlPS5_jNS1_19radix_merge_compareILb0ELb1ElNS0_19identity_decomposerEEEEE10hipError_tT0_T1_T2_jT3_P12ihipStream_tbPNSt15iterator_traitsISE_E10value_typeEPNSK_ISF_E10value_typeEPSG_NS1_7vsmem_tEENKUlT_SE_SF_SG_E_clIS8_S8_S9_S9_EESD_ST_SE_SF_SG_EUlST_E1_NS1_11comp_targetILNS1_3genE10ELNS1_11target_archE1201ELNS1_3gpuE5ELNS1_3repE0EEENS1_36merge_oddeven_config_static_selectorELNS0_4arch9wavefront6targetE0EEEvSF_
	.p2align	8
	.type	_ZN7rocprim17ROCPRIM_400000_NS6detail17trampoline_kernelINS0_14default_configENS1_38merge_sort_block_merge_config_selectorIlNS0_10empty_typeEEEZZNS1_27merge_sort_block_merge_implIS3_PlPS5_jNS1_19radix_merge_compareILb0ELb1ElNS0_19identity_decomposerEEEEE10hipError_tT0_T1_T2_jT3_P12ihipStream_tbPNSt15iterator_traitsISE_E10value_typeEPNSK_ISF_E10value_typeEPSG_NS1_7vsmem_tEENKUlT_SE_SF_SG_E_clIS8_S8_S9_S9_EESD_ST_SE_SF_SG_EUlST_E1_NS1_11comp_targetILNS1_3genE10ELNS1_11target_archE1201ELNS1_3gpuE5ELNS1_3repE0EEENS1_36merge_oddeven_config_static_selectorELNS0_4arch9wavefront6targetE0EEEvSF_,@function
_ZN7rocprim17ROCPRIM_400000_NS6detail17trampoline_kernelINS0_14default_configENS1_38merge_sort_block_merge_config_selectorIlNS0_10empty_typeEEEZZNS1_27merge_sort_block_merge_implIS3_PlPS5_jNS1_19radix_merge_compareILb0ELb1ElNS0_19identity_decomposerEEEEE10hipError_tT0_T1_T2_jT3_P12ihipStream_tbPNSt15iterator_traitsISE_E10value_typeEPNSK_ISF_E10value_typeEPSG_NS1_7vsmem_tEENKUlT_SE_SF_SG_E_clIS8_S8_S9_S9_EESD_ST_SE_SF_SG_EUlST_E1_NS1_11comp_targetILNS1_3genE10ELNS1_11target_archE1201ELNS1_3gpuE5ELNS1_3repE0EEENS1_36merge_oddeven_config_static_selectorELNS0_4arch9wavefront6targetE0EEEvSF_: ; @_ZN7rocprim17ROCPRIM_400000_NS6detail17trampoline_kernelINS0_14default_configENS1_38merge_sort_block_merge_config_selectorIlNS0_10empty_typeEEEZZNS1_27merge_sort_block_merge_implIS3_PlPS5_jNS1_19radix_merge_compareILb0ELb1ElNS0_19identity_decomposerEEEEE10hipError_tT0_T1_T2_jT3_P12ihipStream_tbPNSt15iterator_traitsISE_E10value_typeEPNSK_ISF_E10value_typeEPSG_NS1_7vsmem_tEENKUlT_SE_SF_SG_E_clIS8_S8_S9_S9_EESD_ST_SE_SF_SG_EUlST_E1_NS1_11comp_targetILNS1_3genE10ELNS1_11target_archE1201ELNS1_3gpuE5ELNS1_3repE0EEENS1_36merge_oddeven_config_static_selectorELNS0_4arch9wavefront6targetE0EEEvSF_
; %bb.0:
	.section	.rodata,"a",@progbits
	.p2align	6, 0x0
	.amdhsa_kernel _ZN7rocprim17ROCPRIM_400000_NS6detail17trampoline_kernelINS0_14default_configENS1_38merge_sort_block_merge_config_selectorIlNS0_10empty_typeEEEZZNS1_27merge_sort_block_merge_implIS3_PlPS5_jNS1_19radix_merge_compareILb0ELb1ElNS0_19identity_decomposerEEEEE10hipError_tT0_T1_T2_jT3_P12ihipStream_tbPNSt15iterator_traitsISE_E10value_typeEPNSK_ISF_E10value_typeEPSG_NS1_7vsmem_tEENKUlT_SE_SF_SG_E_clIS8_S8_S9_S9_EESD_ST_SE_SF_SG_EUlST_E1_NS1_11comp_targetILNS1_3genE10ELNS1_11target_archE1201ELNS1_3gpuE5ELNS1_3repE0EEENS1_36merge_oddeven_config_static_selectorELNS0_4arch9wavefront6targetE0EEEvSF_
		.amdhsa_group_segment_fixed_size 0
		.amdhsa_private_segment_fixed_size 0
		.amdhsa_kernarg_size 48
		.amdhsa_user_sgpr_count 2
		.amdhsa_user_sgpr_dispatch_ptr 0
		.amdhsa_user_sgpr_queue_ptr 0
		.amdhsa_user_sgpr_kernarg_segment_ptr 1
		.amdhsa_user_sgpr_dispatch_id 0
		.amdhsa_user_sgpr_kernarg_preload_length 0
		.amdhsa_user_sgpr_kernarg_preload_offset 0
		.amdhsa_user_sgpr_private_segment_size 0
		.amdhsa_wavefront_size32 1
		.amdhsa_uses_dynamic_stack 0
		.amdhsa_enable_private_segment 0
		.amdhsa_system_sgpr_workgroup_id_x 1
		.amdhsa_system_sgpr_workgroup_id_y 0
		.amdhsa_system_sgpr_workgroup_id_z 0
		.amdhsa_system_sgpr_workgroup_info 0
		.amdhsa_system_vgpr_workitem_id 0
		.amdhsa_next_free_vgpr 1
		.amdhsa_next_free_sgpr 1
		.amdhsa_named_barrier_count 0
		.amdhsa_reserve_vcc 0
		.amdhsa_float_round_mode_32 0
		.amdhsa_float_round_mode_16_64 0
		.amdhsa_float_denorm_mode_32 3
		.amdhsa_float_denorm_mode_16_64 3
		.amdhsa_fp16_overflow 0
		.amdhsa_memory_ordered 1
		.amdhsa_forward_progress 1
		.amdhsa_inst_pref_size 0
		.amdhsa_round_robin_scheduling 0
		.amdhsa_exception_fp_ieee_invalid_op 0
		.amdhsa_exception_fp_denorm_src 0
		.amdhsa_exception_fp_ieee_div_zero 0
		.amdhsa_exception_fp_ieee_overflow 0
		.amdhsa_exception_fp_ieee_underflow 0
		.amdhsa_exception_fp_ieee_inexact 0
		.amdhsa_exception_int_div_zero 0
	.end_amdhsa_kernel
	.section	.text._ZN7rocprim17ROCPRIM_400000_NS6detail17trampoline_kernelINS0_14default_configENS1_38merge_sort_block_merge_config_selectorIlNS0_10empty_typeEEEZZNS1_27merge_sort_block_merge_implIS3_PlPS5_jNS1_19radix_merge_compareILb0ELb1ElNS0_19identity_decomposerEEEEE10hipError_tT0_T1_T2_jT3_P12ihipStream_tbPNSt15iterator_traitsISE_E10value_typeEPNSK_ISF_E10value_typeEPSG_NS1_7vsmem_tEENKUlT_SE_SF_SG_E_clIS8_S8_S9_S9_EESD_ST_SE_SF_SG_EUlST_E1_NS1_11comp_targetILNS1_3genE10ELNS1_11target_archE1201ELNS1_3gpuE5ELNS1_3repE0EEENS1_36merge_oddeven_config_static_selectorELNS0_4arch9wavefront6targetE0EEEvSF_,"axG",@progbits,_ZN7rocprim17ROCPRIM_400000_NS6detail17trampoline_kernelINS0_14default_configENS1_38merge_sort_block_merge_config_selectorIlNS0_10empty_typeEEEZZNS1_27merge_sort_block_merge_implIS3_PlPS5_jNS1_19radix_merge_compareILb0ELb1ElNS0_19identity_decomposerEEEEE10hipError_tT0_T1_T2_jT3_P12ihipStream_tbPNSt15iterator_traitsISE_E10value_typeEPNSK_ISF_E10value_typeEPSG_NS1_7vsmem_tEENKUlT_SE_SF_SG_E_clIS8_S8_S9_S9_EESD_ST_SE_SF_SG_EUlST_E1_NS1_11comp_targetILNS1_3genE10ELNS1_11target_archE1201ELNS1_3gpuE5ELNS1_3repE0EEENS1_36merge_oddeven_config_static_selectorELNS0_4arch9wavefront6targetE0EEEvSF_,comdat
.Lfunc_end1182:
	.size	_ZN7rocprim17ROCPRIM_400000_NS6detail17trampoline_kernelINS0_14default_configENS1_38merge_sort_block_merge_config_selectorIlNS0_10empty_typeEEEZZNS1_27merge_sort_block_merge_implIS3_PlPS5_jNS1_19radix_merge_compareILb0ELb1ElNS0_19identity_decomposerEEEEE10hipError_tT0_T1_T2_jT3_P12ihipStream_tbPNSt15iterator_traitsISE_E10value_typeEPNSK_ISF_E10value_typeEPSG_NS1_7vsmem_tEENKUlT_SE_SF_SG_E_clIS8_S8_S9_S9_EESD_ST_SE_SF_SG_EUlST_E1_NS1_11comp_targetILNS1_3genE10ELNS1_11target_archE1201ELNS1_3gpuE5ELNS1_3repE0EEENS1_36merge_oddeven_config_static_selectorELNS0_4arch9wavefront6targetE0EEEvSF_, .Lfunc_end1182-_ZN7rocprim17ROCPRIM_400000_NS6detail17trampoline_kernelINS0_14default_configENS1_38merge_sort_block_merge_config_selectorIlNS0_10empty_typeEEEZZNS1_27merge_sort_block_merge_implIS3_PlPS5_jNS1_19radix_merge_compareILb0ELb1ElNS0_19identity_decomposerEEEEE10hipError_tT0_T1_T2_jT3_P12ihipStream_tbPNSt15iterator_traitsISE_E10value_typeEPNSK_ISF_E10value_typeEPSG_NS1_7vsmem_tEENKUlT_SE_SF_SG_E_clIS8_S8_S9_S9_EESD_ST_SE_SF_SG_EUlST_E1_NS1_11comp_targetILNS1_3genE10ELNS1_11target_archE1201ELNS1_3gpuE5ELNS1_3repE0EEENS1_36merge_oddeven_config_static_selectorELNS0_4arch9wavefront6targetE0EEEvSF_
                                        ; -- End function
	.set _ZN7rocprim17ROCPRIM_400000_NS6detail17trampoline_kernelINS0_14default_configENS1_38merge_sort_block_merge_config_selectorIlNS0_10empty_typeEEEZZNS1_27merge_sort_block_merge_implIS3_PlPS5_jNS1_19radix_merge_compareILb0ELb1ElNS0_19identity_decomposerEEEEE10hipError_tT0_T1_T2_jT3_P12ihipStream_tbPNSt15iterator_traitsISE_E10value_typeEPNSK_ISF_E10value_typeEPSG_NS1_7vsmem_tEENKUlT_SE_SF_SG_E_clIS8_S8_S9_S9_EESD_ST_SE_SF_SG_EUlST_E1_NS1_11comp_targetILNS1_3genE10ELNS1_11target_archE1201ELNS1_3gpuE5ELNS1_3repE0EEENS1_36merge_oddeven_config_static_selectorELNS0_4arch9wavefront6targetE0EEEvSF_.num_vgpr, 0
	.set _ZN7rocprim17ROCPRIM_400000_NS6detail17trampoline_kernelINS0_14default_configENS1_38merge_sort_block_merge_config_selectorIlNS0_10empty_typeEEEZZNS1_27merge_sort_block_merge_implIS3_PlPS5_jNS1_19radix_merge_compareILb0ELb1ElNS0_19identity_decomposerEEEEE10hipError_tT0_T1_T2_jT3_P12ihipStream_tbPNSt15iterator_traitsISE_E10value_typeEPNSK_ISF_E10value_typeEPSG_NS1_7vsmem_tEENKUlT_SE_SF_SG_E_clIS8_S8_S9_S9_EESD_ST_SE_SF_SG_EUlST_E1_NS1_11comp_targetILNS1_3genE10ELNS1_11target_archE1201ELNS1_3gpuE5ELNS1_3repE0EEENS1_36merge_oddeven_config_static_selectorELNS0_4arch9wavefront6targetE0EEEvSF_.num_agpr, 0
	.set _ZN7rocprim17ROCPRIM_400000_NS6detail17trampoline_kernelINS0_14default_configENS1_38merge_sort_block_merge_config_selectorIlNS0_10empty_typeEEEZZNS1_27merge_sort_block_merge_implIS3_PlPS5_jNS1_19radix_merge_compareILb0ELb1ElNS0_19identity_decomposerEEEEE10hipError_tT0_T1_T2_jT3_P12ihipStream_tbPNSt15iterator_traitsISE_E10value_typeEPNSK_ISF_E10value_typeEPSG_NS1_7vsmem_tEENKUlT_SE_SF_SG_E_clIS8_S8_S9_S9_EESD_ST_SE_SF_SG_EUlST_E1_NS1_11comp_targetILNS1_3genE10ELNS1_11target_archE1201ELNS1_3gpuE5ELNS1_3repE0EEENS1_36merge_oddeven_config_static_selectorELNS0_4arch9wavefront6targetE0EEEvSF_.numbered_sgpr, 0
	.set _ZN7rocprim17ROCPRIM_400000_NS6detail17trampoline_kernelINS0_14default_configENS1_38merge_sort_block_merge_config_selectorIlNS0_10empty_typeEEEZZNS1_27merge_sort_block_merge_implIS3_PlPS5_jNS1_19radix_merge_compareILb0ELb1ElNS0_19identity_decomposerEEEEE10hipError_tT0_T1_T2_jT3_P12ihipStream_tbPNSt15iterator_traitsISE_E10value_typeEPNSK_ISF_E10value_typeEPSG_NS1_7vsmem_tEENKUlT_SE_SF_SG_E_clIS8_S8_S9_S9_EESD_ST_SE_SF_SG_EUlST_E1_NS1_11comp_targetILNS1_3genE10ELNS1_11target_archE1201ELNS1_3gpuE5ELNS1_3repE0EEENS1_36merge_oddeven_config_static_selectorELNS0_4arch9wavefront6targetE0EEEvSF_.num_named_barrier, 0
	.set _ZN7rocprim17ROCPRIM_400000_NS6detail17trampoline_kernelINS0_14default_configENS1_38merge_sort_block_merge_config_selectorIlNS0_10empty_typeEEEZZNS1_27merge_sort_block_merge_implIS3_PlPS5_jNS1_19radix_merge_compareILb0ELb1ElNS0_19identity_decomposerEEEEE10hipError_tT0_T1_T2_jT3_P12ihipStream_tbPNSt15iterator_traitsISE_E10value_typeEPNSK_ISF_E10value_typeEPSG_NS1_7vsmem_tEENKUlT_SE_SF_SG_E_clIS8_S8_S9_S9_EESD_ST_SE_SF_SG_EUlST_E1_NS1_11comp_targetILNS1_3genE10ELNS1_11target_archE1201ELNS1_3gpuE5ELNS1_3repE0EEENS1_36merge_oddeven_config_static_selectorELNS0_4arch9wavefront6targetE0EEEvSF_.private_seg_size, 0
	.set _ZN7rocprim17ROCPRIM_400000_NS6detail17trampoline_kernelINS0_14default_configENS1_38merge_sort_block_merge_config_selectorIlNS0_10empty_typeEEEZZNS1_27merge_sort_block_merge_implIS3_PlPS5_jNS1_19radix_merge_compareILb0ELb1ElNS0_19identity_decomposerEEEEE10hipError_tT0_T1_T2_jT3_P12ihipStream_tbPNSt15iterator_traitsISE_E10value_typeEPNSK_ISF_E10value_typeEPSG_NS1_7vsmem_tEENKUlT_SE_SF_SG_E_clIS8_S8_S9_S9_EESD_ST_SE_SF_SG_EUlST_E1_NS1_11comp_targetILNS1_3genE10ELNS1_11target_archE1201ELNS1_3gpuE5ELNS1_3repE0EEENS1_36merge_oddeven_config_static_selectorELNS0_4arch9wavefront6targetE0EEEvSF_.uses_vcc, 0
	.set _ZN7rocprim17ROCPRIM_400000_NS6detail17trampoline_kernelINS0_14default_configENS1_38merge_sort_block_merge_config_selectorIlNS0_10empty_typeEEEZZNS1_27merge_sort_block_merge_implIS3_PlPS5_jNS1_19radix_merge_compareILb0ELb1ElNS0_19identity_decomposerEEEEE10hipError_tT0_T1_T2_jT3_P12ihipStream_tbPNSt15iterator_traitsISE_E10value_typeEPNSK_ISF_E10value_typeEPSG_NS1_7vsmem_tEENKUlT_SE_SF_SG_E_clIS8_S8_S9_S9_EESD_ST_SE_SF_SG_EUlST_E1_NS1_11comp_targetILNS1_3genE10ELNS1_11target_archE1201ELNS1_3gpuE5ELNS1_3repE0EEENS1_36merge_oddeven_config_static_selectorELNS0_4arch9wavefront6targetE0EEEvSF_.uses_flat_scratch, 0
	.set _ZN7rocprim17ROCPRIM_400000_NS6detail17trampoline_kernelINS0_14default_configENS1_38merge_sort_block_merge_config_selectorIlNS0_10empty_typeEEEZZNS1_27merge_sort_block_merge_implIS3_PlPS5_jNS1_19radix_merge_compareILb0ELb1ElNS0_19identity_decomposerEEEEE10hipError_tT0_T1_T2_jT3_P12ihipStream_tbPNSt15iterator_traitsISE_E10value_typeEPNSK_ISF_E10value_typeEPSG_NS1_7vsmem_tEENKUlT_SE_SF_SG_E_clIS8_S8_S9_S9_EESD_ST_SE_SF_SG_EUlST_E1_NS1_11comp_targetILNS1_3genE10ELNS1_11target_archE1201ELNS1_3gpuE5ELNS1_3repE0EEENS1_36merge_oddeven_config_static_selectorELNS0_4arch9wavefront6targetE0EEEvSF_.has_dyn_sized_stack, 0
	.set _ZN7rocprim17ROCPRIM_400000_NS6detail17trampoline_kernelINS0_14default_configENS1_38merge_sort_block_merge_config_selectorIlNS0_10empty_typeEEEZZNS1_27merge_sort_block_merge_implIS3_PlPS5_jNS1_19radix_merge_compareILb0ELb1ElNS0_19identity_decomposerEEEEE10hipError_tT0_T1_T2_jT3_P12ihipStream_tbPNSt15iterator_traitsISE_E10value_typeEPNSK_ISF_E10value_typeEPSG_NS1_7vsmem_tEENKUlT_SE_SF_SG_E_clIS8_S8_S9_S9_EESD_ST_SE_SF_SG_EUlST_E1_NS1_11comp_targetILNS1_3genE10ELNS1_11target_archE1201ELNS1_3gpuE5ELNS1_3repE0EEENS1_36merge_oddeven_config_static_selectorELNS0_4arch9wavefront6targetE0EEEvSF_.has_recursion, 0
	.set _ZN7rocprim17ROCPRIM_400000_NS6detail17trampoline_kernelINS0_14default_configENS1_38merge_sort_block_merge_config_selectorIlNS0_10empty_typeEEEZZNS1_27merge_sort_block_merge_implIS3_PlPS5_jNS1_19radix_merge_compareILb0ELb1ElNS0_19identity_decomposerEEEEE10hipError_tT0_T1_T2_jT3_P12ihipStream_tbPNSt15iterator_traitsISE_E10value_typeEPNSK_ISF_E10value_typeEPSG_NS1_7vsmem_tEENKUlT_SE_SF_SG_E_clIS8_S8_S9_S9_EESD_ST_SE_SF_SG_EUlST_E1_NS1_11comp_targetILNS1_3genE10ELNS1_11target_archE1201ELNS1_3gpuE5ELNS1_3repE0EEENS1_36merge_oddeven_config_static_selectorELNS0_4arch9wavefront6targetE0EEEvSF_.has_indirect_call, 0
	.section	.AMDGPU.csdata,"",@progbits
; Kernel info:
; codeLenInByte = 0
; TotalNumSgprs: 0
; NumVgprs: 0
; ScratchSize: 0
; MemoryBound: 0
; FloatMode: 240
; IeeeMode: 1
; LDSByteSize: 0 bytes/workgroup (compile time only)
; SGPRBlocks: 0
; VGPRBlocks: 0
; NumSGPRsForWavesPerEU: 1
; NumVGPRsForWavesPerEU: 1
; NamedBarCnt: 0
; Occupancy: 16
; WaveLimiterHint : 0
; COMPUTE_PGM_RSRC2:SCRATCH_EN: 0
; COMPUTE_PGM_RSRC2:USER_SGPR: 2
; COMPUTE_PGM_RSRC2:TRAP_HANDLER: 0
; COMPUTE_PGM_RSRC2:TGID_X_EN: 1
; COMPUTE_PGM_RSRC2:TGID_Y_EN: 0
; COMPUTE_PGM_RSRC2:TGID_Z_EN: 0
; COMPUTE_PGM_RSRC2:TIDIG_COMP_CNT: 0
	.section	.text._ZN7rocprim17ROCPRIM_400000_NS6detail17trampoline_kernelINS0_14default_configENS1_38merge_sort_block_merge_config_selectorIlNS0_10empty_typeEEEZZNS1_27merge_sort_block_merge_implIS3_PlPS5_jNS1_19radix_merge_compareILb0ELb1ElNS0_19identity_decomposerEEEEE10hipError_tT0_T1_T2_jT3_P12ihipStream_tbPNSt15iterator_traitsISE_E10value_typeEPNSK_ISF_E10value_typeEPSG_NS1_7vsmem_tEENKUlT_SE_SF_SG_E_clIS8_S8_S9_S9_EESD_ST_SE_SF_SG_EUlST_E1_NS1_11comp_targetILNS1_3genE5ELNS1_11target_archE942ELNS1_3gpuE9ELNS1_3repE0EEENS1_36merge_oddeven_config_static_selectorELNS0_4arch9wavefront6targetE0EEEvSF_,"axG",@progbits,_ZN7rocprim17ROCPRIM_400000_NS6detail17trampoline_kernelINS0_14default_configENS1_38merge_sort_block_merge_config_selectorIlNS0_10empty_typeEEEZZNS1_27merge_sort_block_merge_implIS3_PlPS5_jNS1_19radix_merge_compareILb0ELb1ElNS0_19identity_decomposerEEEEE10hipError_tT0_T1_T2_jT3_P12ihipStream_tbPNSt15iterator_traitsISE_E10value_typeEPNSK_ISF_E10value_typeEPSG_NS1_7vsmem_tEENKUlT_SE_SF_SG_E_clIS8_S8_S9_S9_EESD_ST_SE_SF_SG_EUlST_E1_NS1_11comp_targetILNS1_3genE5ELNS1_11target_archE942ELNS1_3gpuE9ELNS1_3repE0EEENS1_36merge_oddeven_config_static_selectorELNS0_4arch9wavefront6targetE0EEEvSF_,comdat
	.protected	_ZN7rocprim17ROCPRIM_400000_NS6detail17trampoline_kernelINS0_14default_configENS1_38merge_sort_block_merge_config_selectorIlNS0_10empty_typeEEEZZNS1_27merge_sort_block_merge_implIS3_PlPS5_jNS1_19radix_merge_compareILb0ELb1ElNS0_19identity_decomposerEEEEE10hipError_tT0_T1_T2_jT3_P12ihipStream_tbPNSt15iterator_traitsISE_E10value_typeEPNSK_ISF_E10value_typeEPSG_NS1_7vsmem_tEENKUlT_SE_SF_SG_E_clIS8_S8_S9_S9_EESD_ST_SE_SF_SG_EUlST_E1_NS1_11comp_targetILNS1_3genE5ELNS1_11target_archE942ELNS1_3gpuE9ELNS1_3repE0EEENS1_36merge_oddeven_config_static_selectorELNS0_4arch9wavefront6targetE0EEEvSF_ ; -- Begin function _ZN7rocprim17ROCPRIM_400000_NS6detail17trampoline_kernelINS0_14default_configENS1_38merge_sort_block_merge_config_selectorIlNS0_10empty_typeEEEZZNS1_27merge_sort_block_merge_implIS3_PlPS5_jNS1_19radix_merge_compareILb0ELb1ElNS0_19identity_decomposerEEEEE10hipError_tT0_T1_T2_jT3_P12ihipStream_tbPNSt15iterator_traitsISE_E10value_typeEPNSK_ISF_E10value_typeEPSG_NS1_7vsmem_tEENKUlT_SE_SF_SG_E_clIS8_S8_S9_S9_EESD_ST_SE_SF_SG_EUlST_E1_NS1_11comp_targetILNS1_3genE5ELNS1_11target_archE942ELNS1_3gpuE9ELNS1_3repE0EEENS1_36merge_oddeven_config_static_selectorELNS0_4arch9wavefront6targetE0EEEvSF_
	.globl	_ZN7rocprim17ROCPRIM_400000_NS6detail17trampoline_kernelINS0_14default_configENS1_38merge_sort_block_merge_config_selectorIlNS0_10empty_typeEEEZZNS1_27merge_sort_block_merge_implIS3_PlPS5_jNS1_19radix_merge_compareILb0ELb1ElNS0_19identity_decomposerEEEEE10hipError_tT0_T1_T2_jT3_P12ihipStream_tbPNSt15iterator_traitsISE_E10value_typeEPNSK_ISF_E10value_typeEPSG_NS1_7vsmem_tEENKUlT_SE_SF_SG_E_clIS8_S8_S9_S9_EESD_ST_SE_SF_SG_EUlST_E1_NS1_11comp_targetILNS1_3genE5ELNS1_11target_archE942ELNS1_3gpuE9ELNS1_3repE0EEENS1_36merge_oddeven_config_static_selectorELNS0_4arch9wavefront6targetE0EEEvSF_
	.p2align	8
	.type	_ZN7rocprim17ROCPRIM_400000_NS6detail17trampoline_kernelINS0_14default_configENS1_38merge_sort_block_merge_config_selectorIlNS0_10empty_typeEEEZZNS1_27merge_sort_block_merge_implIS3_PlPS5_jNS1_19radix_merge_compareILb0ELb1ElNS0_19identity_decomposerEEEEE10hipError_tT0_T1_T2_jT3_P12ihipStream_tbPNSt15iterator_traitsISE_E10value_typeEPNSK_ISF_E10value_typeEPSG_NS1_7vsmem_tEENKUlT_SE_SF_SG_E_clIS8_S8_S9_S9_EESD_ST_SE_SF_SG_EUlST_E1_NS1_11comp_targetILNS1_3genE5ELNS1_11target_archE942ELNS1_3gpuE9ELNS1_3repE0EEENS1_36merge_oddeven_config_static_selectorELNS0_4arch9wavefront6targetE0EEEvSF_,@function
_ZN7rocprim17ROCPRIM_400000_NS6detail17trampoline_kernelINS0_14default_configENS1_38merge_sort_block_merge_config_selectorIlNS0_10empty_typeEEEZZNS1_27merge_sort_block_merge_implIS3_PlPS5_jNS1_19radix_merge_compareILb0ELb1ElNS0_19identity_decomposerEEEEE10hipError_tT0_T1_T2_jT3_P12ihipStream_tbPNSt15iterator_traitsISE_E10value_typeEPNSK_ISF_E10value_typeEPSG_NS1_7vsmem_tEENKUlT_SE_SF_SG_E_clIS8_S8_S9_S9_EESD_ST_SE_SF_SG_EUlST_E1_NS1_11comp_targetILNS1_3genE5ELNS1_11target_archE942ELNS1_3gpuE9ELNS1_3repE0EEENS1_36merge_oddeven_config_static_selectorELNS0_4arch9wavefront6targetE0EEEvSF_: ; @_ZN7rocprim17ROCPRIM_400000_NS6detail17trampoline_kernelINS0_14default_configENS1_38merge_sort_block_merge_config_selectorIlNS0_10empty_typeEEEZZNS1_27merge_sort_block_merge_implIS3_PlPS5_jNS1_19radix_merge_compareILb0ELb1ElNS0_19identity_decomposerEEEEE10hipError_tT0_T1_T2_jT3_P12ihipStream_tbPNSt15iterator_traitsISE_E10value_typeEPNSK_ISF_E10value_typeEPSG_NS1_7vsmem_tEENKUlT_SE_SF_SG_E_clIS8_S8_S9_S9_EESD_ST_SE_SF_SG_EUlST_E1_NS1_11comp_targetILNS1_3genE5ELNS1_11target_archE942ELNS1_3gpuE9ELNS1_3repE0EEENS1_36merge_oddeven_config_static_selectorELNS0_4arch9wavefront6targetE0EEEvSF_
; %bb.0:
	.section	.rodata,"a",@progbits
	.p2align	6, 0x0
	.amdhsa_kernel _ZN7rocprim17ROCPRIM_400000_NS6detail17trampoline_kernelINS0_14default_configENS1_38merge_sort_block_merge_config_selectorIlNS0_10empty_typeEEEZZNS1_27merge_sort_block_merge_implIS3_PlPS5_jNS1_19radix_merge_compareILb0ELb1ElNS0_19identity_decomposerEEEEE10hipError_tT0_T1_T2_jT3_P12ihipStream_tbPNSt15iterator_traitsISE_E10value_typeEPNSK_ISF_E10value_typeEPSG_NS1_7vsmem_tEENKUlT_SE_SF_SG_E_clIS8_S8_S9_S9_EESD_ST_SE_SF_SG_EUlST_E1_NS1_11comp_targetILNS1_3genE5ELNS1_11target_archE942ELNS1_3gpuE9ELNS1_3repE0EEENS1_36merge_oddeven_config_static_selectorELNS0_4arch9wavefront6targetE0EEEvSF_
		.amdhsa_group_segment_fixed_size 0
		.amdhsa_private_segment_fixed_size 0
		.amdhsa_kernarg_size 48
		.amdhsa_user_sgpr_count 2
		.amdhsa_user_sgpr_dispatch_ptr 0
		.amdhsa_user_sgpr_queue_ptr 0
		.amdhsa_user_sgpr_kernarg_segment_ptr 1
		.amdhsa_user_sgpr_dispatch_id 0
		.amdhsa_user_sgpr_kernarg_preload_length 0
		.amdhsa_user_sgpr_kernarg_preload_offset 0
		.amdhsa_user_sgpr_private_segment_size 0
		.amdhsa_wavefront_size32 1
		.amdhsa_uses_dynamic_stack 0
		.amdhsa_enable_private_segment 0
		.amdhsa_system_sgpr_workgroup_id_x 1
		.amdhsa_system_sgpr_workgroup_id_y 0
		.amdhsa_system_sgpr_workgroup_id_z 0
		.amdhsa_system_sgpr_workgroup_info 0
		.amdhsa_system_vgpr_workitem_id 0
		.amdhsa_next_free_vgpr 1
		.amdhsa_next_free_sgpr 1
		.amdhsa_named_barrier_count 0
		.amdhsa_reserve_vcc 0
		.amdhsa_float_round_mode_32 0
		.amdhsa_float_round_mode_16_64 0
		.amdhsa_float_denorm_mode_32 3
		.amdhsa_float_denorm_mode_16_64 3
		.amdhsa_fp16_overflow 0
		.amdhsa_memory_ordered 1
		.amdhsa_forward_progress 1
		.amdhsa_inst_pref_size 0
		.amdhsa_round_robin_scheduling 0
		.amdhsa_exception_fp_ieee_invalid_op 0
		.amdhsa_exception_fp_denorm_src 0
		.amdhsa_exception_fp_ieee_div_zero 0
		.amdhsa_exception_fp_ieee_overflow 0
		.amdhsa_exception_fp_ieee_underflow 0
		.amdhsa_exception_fp_ieee_inexact 0
		.amdhsa_exception_int_div_zero 0
	.end_amdhsa_kernel
	.section	.text._ZN7rocprim17ROCPRIM_400000_NS6detail17trampoline_kernelINS0_14default_configENS1_38merge_sort_block_merge_config_selectorIlNS0_10empty_typeEEEZZNS1_27merge_sort_block_merge_implIS3_PlPS5_jNS1_19radix_merge_compareILb0ELb1ElNS0_19identity_decomposerEEEEE10hipError_tT0_T1_T2_jT3_P12ihipStream_tbPNSt15iterator_traitsISE_E10value_typeEPNSK_ISF_E10value_typeEPSG_NS1_7vsmem_tEENKUlT_SE_SF_SG_E_clIS8_S8_S9_S9_EESD_ST_SE_SF_SG_EUlST_E1_NS1_11comp_targetILNS1_3genE5ELNS1_11target_archE942ELNS1_3gpuE9ELNS1_3repE0EEENS1_36merge_oddeven_config_static_selectorELNS0_4arch9wavefront6targetE0EEEvSF_,"axG",@progbits,_ZN7rocprim17ROCPRIM_400000_NS6detail17trampoline_kernelINS0_14default_configENS1_38merge_sort_block_merge_config_selectorIlNS0_10empty_typeEEEZZNS1_27merge_sort_block_merge_implIS3_PlPS5_jNS1_19radix_merge_compareILb0ELb1ElNS0_19identity_decomposerEEEEE10hipError_tT0_T1_T2_jT3_P12ihipStream_tbPNSt15iterator_traitsISE_E10value_typeEPNSK_ISF_E10value_typeEPSG_NS1_7vsmem_tEENKUlT_SE_SF_SG_E_clIS8_S8_S9_S9_EESD_ST_SE_SF_SG_EUlST_E1_NS1_11comp_targetILNS1_3genE5ELNS1_11target_archE942ELNS1_3gpuE9ELNS1_3repE0EEENS1_36merge_oddeven_config_static_selectorELNS0_4arch9wavefront6targetE0EEEvSF_,comdat
.Lfunc_end1183:
	.size	_ZN7rocprim17ROCPRIM_400000_NS6detail17trampoline_kernelINS0_14default_configENS1_38merge_sort_block_merge_config_selectorIlNS0_10empty_typeEEEZZNS1_27merge_sort_block_merge_implIS3_PlPS5_jNS1_19radix_merge_compareILb0ELb1ElNS0_19identity_decomposerEEEEE10hipError_tT0_T1_T2_jT3_P12ihipStream_tbPNSt15iterator_traitsISE_E10value_typeEPNSK_ISF_E10value_typeEPSG_NS1_7vsmem_tEENKUlT_SE_SF_SG_E_clIS8_S8_S9_S9_EESD_ST_SE_SF_SG_EUlST_E1_NS1_11comp_targetILNS1_3genE5ELNS1_11target_archE942ELNS1_3gpuE9ELNS1_3repE0EEENS1_36merge_oddeven_config_static_selectorELNS0_4arch9wavefront6targetE0EEEvSF_, .Lfunc_end1183-_ZN7rocprim17ROCPRIM_400000_NS6detail17trampoline_kernelINS0_14default_configENS1_38merge_sort_block_merge_config_selectorIlNS0_10empty_typeEEEZZNS1_27merge_sort_block_merge_implIS3_PlPS5_jNS1_19radix_merge_compareILb0ELb1ElNS0_19identity_decomposerEEEEE10hipError_tT0_T1_T2_jT3_P12ihipStream_tbPNSt15iterator_traitsISE_E10value_typeEPNSK_ISF_E10value_typeEPSG_NS1_7vsmem_tEENKUlT_SE_SF_SG_E_clIS8_S8_S9_S9_EESD_ST_SE_SF_SG_EUlST_E1_NS1_11comp_targetILNS1_3genE5ELNS1_11target_archE942ELNS1_3gpuE9ELNS1_3repE0EEENS1_36merge_oddeven_config_static_selectorELNS0_4arch9wavefront6targetE0EEEvSF_
                                        ; -- End function
	.set _ZN7rocprim17ROCPRIM_400000_NS6detail17trampoline_kernelINS0_14default_configENS1_38merge_sort_block_merge_config_selectorIlNS0_10empty_typeEEEZZNS1_27merge_sort_block_merge_implIS3_PlPS5_jNS1_19radix_merge_compareILb0ELb1ElNS0_19identity_decomposerEEEEE10hipError_tT0_T1_T2_jT3_P12ihipStream_tbPNSt15iterator_traitsISE_E10value_typeEPNSK_ISF_E10value_typeEPSG_NS1_7vsmem_tEENKUlT_SE_SF_SG_E_clIS8_S8_S9_S9_EESD_ST_SE_SF_SG_EUlST_E1_NS1_11comp_targetILNS1_3genE5ELNS1_11target_archE942ELNS1_3gpuE9ELNS1_3repE0EEENS1_36merge_oddeven_config_static_selectorELNS0_4arch9wavefront6targetE0EEEvSF_.num_vgpr, 0
	.set _ZN7rocprim17ROCPRIM_400000_NS6detail17trampoline_kernelINS0_14default_configENS1_38merge_sort_block_merge_config_selectorIlNS0_10empty_typeEEEZZNS1_27merge_sort_block_merge_implIS3_PlPS5_jNS1_19radix_merge_compareILb0ELb1ElNS0_19identity_decomposerEEEEE10hipError_tT0_T1_T2_jT3_P12ihipStream_tbPNSt15iterator_traitsISE_E10value_typeEPNSK_ISF_E10value_typeEPSG_NS1_7vsmem_tEENKUlT_SE_SF_SG_E_clIS8_S8_S9_S9_EESD_ST_SE_SF_SG_EUlST_E1_NS1_11comp_targetILNS1_3genE5ELNS1_11target_archE942ELNS1_3gpuE9ELNS1_3repE0EEENS1_36merge_oddeven_config_static_selectorELNS0_4arch9wavefront6targetE0EEEvSF_.num_agpr, 0
	.set _ZN7rocprim17ROCPRIM_400000_NS6detail17trampoline_kernelINS0_14default_configENS1_38merge_sort_block_merge_config_selectorIlNS0_10empty_typeEEEZZNS1_27merge_sort_block_merge_implIS3_PlPS5_jNS1_19radix_merge_compareILb0ELb1ElNS0_19identity_decomposerEEEEE10hipError_tT0_T1_T2_jT3_P12ihipStream_tbPNSt15iterator_traitsISE_E10value_typeEPNSK_ISF_E10value_typeEPSG_NS1_7vsmem_tEENKUlT_SE_SF_SG_E_clIS8_S8_S9_S9_EESD_ST_SE_SF_SG_EUlST_E1_NS1_11comp_targetILNS1_3genE5ELNS1_11target_archE942ELNS1_3gpuE9ELNS1_3repE0EEENS1_36merge_oddeven_config_static_selectorELNS0_4arch9wavefront6targetE0EEEvSF_.numbered_sgpr, 0
	.set _ZN7rocprim17ROCPRIM_400000_NS6detail17trampoline_kernelINS0_14default_configENS1_38merge_sort_block_merge_config_selectorIlNS0_10empty_typeEEEZZNS1_27merge_sort_block_merge_implIS3_PlPS5_jNS1_19radix_merge_compareILb0ELb1ElNS0_19identity_decomposerEEEEE10hipError_tT0_T1_T2_jT3_P12ihipStream_tbPNSt15iterator_traitsISE_E10value_typeEPNSK_ISF_E10value_typeEPSG_NS1_7vsmem_tEENKUlT_SE_SF_SG_E_clIS8_S8_S9_S9_EESD_ST_SE_SF_SG_EUlST_E1_NS1_11comp_targetILNS1_3genE5ELNS1_11target_archE942ELNS1_3gpuE9ELNS1_3repE0EEENS1_36merge_oddeven_config_static_selectorELNS0_4arch9wavefront6targetE0EEEvSF_.num_named_barrier, 0
	.set _ZN7rocprim17ROCPRIM_400000_NS6detail17trampoline_kernelINS0_14default_configENS1_38merge_sort_block_merge_config_selectorIlNS0_10empty_typeEEEZZNS1_27merge_sort_block_merge_implIS3_PlPS5_jNS1_19radix_merge_compareILb0ELb1ElNS0_19identity_decomposerEEEEE10hipError_tT0_T1_T2_jT3_P12ihipStream_tbPNSt15iterator_traitsISE_E10value_typeEPNSK_ISF_E10value_typeEPSG_NS1_7vsmem_tEENKUlT_SE_SF_SG_E_clIS8_S8_S9_S9_EESD_ST_SE_SF_SG_EUlST_E1_NS1_11comp_targetILNS1_3genE5ELNS1_11target_archE942ELNS1_3gpuE9ELNS1_3repE0EEENS1_36merge_oddeven_config_static_selectorELNS0_4arch9wavefront6targetE0EEEvSF_.private_seg_size, 0
	.set _ZN7rocprim17ROCPRIM_400000_NS6detail17trampoline_kernelINS0_14default_configENS1_38merge_sort_block_merge_config_selectorIlNS0_10empty_typeEEEZZNS1_27merge_sort_block_merge_implIS3_PlPS5_jNS1_19radix_merge_compareILb0ELb1ElNS0_19identity_decomposerEEEEE10hipError_tT0_T1_T2_jT3_P12ihipStream_tbPNSt15iterator_traitsISE_E10value_typeEPNSK_ISF_E10value_typeEPSG_NS1_7vsmem_tEENKUlT_SE_SF_SG_E_clIS8_S8_S9_S9_EESD_ST_SE_SF_SG_EUlST_E1_NS1_11comp_targetILNS1_3genE5ELNS1_11target_archE942ELNS1_3gpuE9ELNS1_3repE0EEENS1_36merge_oddeven_config_static_selectorELNS0_4arch9wavefront6targetE0EEEvSF_.uses_vcc, 0
	.set _ZN7rocprim17ROCPRIM_400000_NS6detail17trampoline_kernelINS0_14default_configENS1_38merge_sort_block_merge_config_selectorIlNS0_10empty_typeEEEZZNS1_27merge_sort_block_merge_implIS3_PlPS5_jNS1_19radix_merge_compareILb0ELb1ElNS0_19identity_decomposerEEEEE10hipError_tT0_T1_T2_jT3_P12ihipStream_tbPNSt15iterator_traitsISE_E10value_typeEPNSK_ISF_E10value_typeEPSG_NS1_7vsmem_tEENKUlT_SE_SF_SG_E_clIS8_S8_S9_S9_EESD_ST_SE_SF_SG_EUlST_E1_NS1_11comp_targetILNS1_3genE5ELNS1_11target_archE942ELNS1_3gpuE9ELNS1_3repE0EEENS1_36merge_oddeven_config_static_selectorELNS0_4arch9wavefront6targetE0EEEvSF_.uses_flat_scratch, 0
	.set _ZN7rocprim17ROCPRIM_400000_NS6detail17trampoline_kernelINS0_14default_configENS1_38merge_sort_block_merge_config_selectorIlNS0_10empty_typeEEEZZNS1_27merge_sort_block_merge_implIS3_PlPS5_jNS1_19radix_merge_compareILb0ELb1ElNS0_19identity_decomposerEEEEE10hipError_tT0_T1_T2_jT3_P12ihipStream_tbPNSt15iterator_traitsISE_E10value_typeEPNSK_ISF_E10value_typeEPSG_NS1_7vsmem_tEENKUlT_SE_SF_SG_E_clIS8_S8_S9_S9_EESD_ST_SE_SF_SG_EUlST_E1_NS1_11comp_targetILNS1_3genE5ELNS1_11target_archE942ELNS1_3gpuE9ELNS1_3repE0EEENS1_36merge_oddeven_config_static_selectorELNS0_4arch9wavefront6targetE0EEEvSF_.has_dyn_sized_stack, 0
	.set _ZN7rocprim17ROCPRIM_400000_NS6detail17trampoline_kernelINS0_14default_configENS1_38merge_sort_block_merge_config_selectorIlNS0_10empty_typeEEEZZNS1_27merge_sort_block_merge_implIS3_PlPS5_jNS1_19radix_merge_compareILb0ELb1ElNS0_19identity_decomposerEEEEE10hipError_tT0_T1_T2_jT3_P12ihipStream_tbPNSt15iterator_traitsISE_E10value_typeEPNSK_ISF_E10value_typeEPSG_NS1_7vsmem_tEENKUlT_SE_SF_SG_E_clIS8_S8_S9_S9_EESD_ST_SE_SF_SG_EUlST_E1_NS1_11comp_targetILNS1_3genE5ELNS1_11target_archE942ELNS1_3gpuE9ELNS1_3repE0EEENS1_36merge_oddeven_config_static_selectorELNS0_4arch9wavefront6targetE0EEEvSF_.has_recursion, 0
	.set _ZN7rocprim17ROCPRIM_400000_NS6detail17trampoline_kernelINS0_14default_configENS1_38merge_sort_block_merge_config_selectorIlNS0_10empty_typeEEEZZNS1_27merge_sort_block_merge_implIS3_PlPS5_jNS1_19radix_merge_compareILb0ELb1ElNS0_19identity_decomposerEEEEE10hipError_tT0_T1_T2_jT3_P12ihipStream_tbPNSt15iterator_traitsISE_E10value_typeEPNSK_ISF_E10value_typeEPSG_NS1_7vsmem_tEENKUlT_SE_SF_SG_E_clIS8_S8_S9_S9_EESD_ST_SE_SF_SG_EUlST_E1_NS1_11comp_targetILNS1_3genE5ELNS1_11target_archE942ELNS1_3gpuE9ELNS1_3repE0EEENS1_36merge_oddeven_config_static_selectorELNS0_4arch9wavefront6targetE0EEEvSF_.has_indirect_call, 0
	.section	.AMDGPU.csdata,"",@progbits
; Kernel info:
; codeLenInByte = 0
; TotalNumSgprs: 0
; NumVgprs: 0
; ScratchSize: 0
; MemoryBound: 0
; FloatMode: 240
; IeeeMode: 1
; LDSByteSize: 0 bytes/workgroup (compile time only)
; SGPRBlocks: 0
; VGPRBlocks: 0
; NumSGPRsForWavesPerEU: 1
; NumVGPRsForWavesPerEU: 1
; NamedBarCnt: 0
; Occupancy: 16
; WaveLimiterHint : 0
; COMPUTE_PGM_RSRC2:SCRATCH_EN: 0
; COMPUTE_PGM_RSRC2:USER_SGPR: 2
; COMPUTE_PGM_RSRC2:TRAP_HANDLER: 0
; COMPUTE_PGM_RSRC2:TGID_X_EN: 1
; COMPUTE_PGM_RSRC2:TGID_Y_EN: 0
; COMPUTE_PGM_RSRC2:TGID_Z_EN: 0
; COMPUTE_PGM_RSRC2:TIDIG_COMP_CNT: 0
	.section	.text._ZN7rocprim17ROCPRIM_400000_NS6detail17trampoline_kernelINS0_14default_configENS1_38merge_sort_block_merge_config_selectorIlNS0_10empty_typeEEEZZNS1_27merge_sort_block_merge_implIS3_PlPS5_jNS1_19radix_merge_compareILb0ELb1ElNS0_19identity_decomposerEEEEE10hipError_tT0_T1_T2_jT3_P12ihipStream_tbPNSt15iterator_traitsISE_E10value_typeEPNSK_ISF_E10value_typeEPSG_NS1_7vsmem_tEENKUlT_SE_SF_SG_E_clIS8_S8_S9_S9_EESD_ST_SE_SF_SG_EUlST_E1_NS1_11comp_targetILNS1_3genE4ELNS1_11target_archE910ELNS1_3gpuE8ELNS1_3repE0EEENS1_36merge_oddeven_config_static_selectorELNS0_4arch9wavefront6targetE0EEEvSF_,"axG",@progbits,_ZN7rocprim17ROCPRIM_400000_NS6detail17trampoline_kernelINS0_14default_configENS1_38merge_sort_block_merge_config_selectorIlNS0_10empty_typeEEEZZNS1_27merge_sort_block_merge_implIS3_PlPS5_jNS1_19radix_merge_compareILb0ELb1ElNS0_19identity_decomposerEEEEE10hipError_tT0_T1_T2_jT3_P12ihipStream_tbPNSt15iterator_traitsISE_E10value_typeEPNSK_ISF_E10value_typeEPSG_NS1_7vsmem_tEENKUlT_SE_SF_SG_E_clIS8_S8_S9_S9_EESD_ST_SE_SF_SG_EUlST_E1_NS1_11comp_targetILNS1_3genE4ELNS1_11target_archE910ELNS1_3gpuE8ELNS1_3repE0EEENS1_36merge_oddeven_config_static_selectorELNS0_4arch9wavefront6targetE0EEEvSF_,comdat
	.protected	_ZN7rocprim17ROCPRIM_400000_NS6detail17trampoline_kernelINS0_14default_configENS1_38merge_sort_block_merge_config_selectorIlNS0_10empty_typeEEEZZNS1_27merge_sort_block_merge_implIS3_PlPS5_jNS1_19radix_merge_compareILb0ELb1ElNS0_19identity_decomposerEEEEE10hipError_tT0_T1_T2_jT3_P12ihipStream_tbPNSt15iterator_traitsISE_E10value_typeEPNSK_ISF_E10value_typeEPSG_NS1_7vsmem_tEENKUlT_SE_SF_SG_E_clIS8_S8_S9_S9_EESD_ST_SE_SF_SG_EUlST_E1_NS1_11comp_targetILNS1_3genE4ELNS1_11target_archE910ELNS1_3gpuE8ELNS1_3repE0EEENS1_36merge_oddeven_config_static_selectorELNS0_4arch9wavefront6targetE0EEEvSF_ ; -- Begin function _ZN7rocprim17ROCPRIM_400000_NS6detail17trampoline_kernelINS0_14default_configENS1_38merge_sort_block_merge_config_selectorIlNS0_10empty_typeEEEZZNS1_27merge_sort_block_merge_implIS3_PlPS5_jNS1_19radix_merge_compareILb0ELb1ElNS0_19identity_decomposerEEEEE10hipError_tT0_T1_T2_jT3_P12ihipStream_tbPNSt15iterator_traitsISE_E10value_typeEPNSK_ISF_E10value_typeEPSG_NS1_7vsmem_tEENKUlT_SE_SF_SG_E_clIS8_S8_S9_S9_EESD_ST_SE_SF_SG_EUlST_E1_NS1_11comp_targetILNS1_3genE4ELNS1_11target_archE910ELNS1_3gpuE8ELNS1_3repE0EEENS1_36merge_oddeven_config_static_selectorELNS0_4arch9wavefront6targetE0EEEvSF_
	.globl	_ZN7rocprim17ROCPRIM_400000_NS6detail17trampoline_kernelINS0_14default_configENS1_38merge_sort_block_merge_config_selectorIlNS0_10empty_typeEEEZZNS1_27merge_sort_block_merge_implIS3_PlPS5_jNS1_19radix_merge_compareILb0ELb1ElNS0_19identity_decomposerEEEEE10hipError_tT0_T1_T2_jT3_P12ihipStream_tbPNSt15iterator_traitsISE_E10value_typeEPNSK_ISF_E10value_typeEPSG_NS1_7vsmem_tEENKUlT_SE_SF_SG_E_clIS8_S8_S9_S9_EESD_ST_SE_SF_SG_EUlST_E1_NS1_11comp_targetILNS1_3genE4ELNS1_11target_archE910ELNS1_3gpuE8ELNS1_3repE0EEENS1_36merge_oddeven_config_static_selectorELNS0_4arch9wavefront6targetE0EEEvSF_
	.p2align	8
	.type	_ZN7rocprim17ROCPRIM_400000_NS6detail17trampoline_kernelINS0_14default_configENS1_38merge_sort_block_merge_config_selectorIlNS0_10empty_typeEEEZZNS1_27merge_sort_block_merge_implIS3_PlPS5_jNS1_19radix_merge_compareILb0ELb1ElNS0_19identity_decomposerEEEEE10hipError_tT0_T1_T2_jT3_P12ihipStream_tbPNSt15iterator_traitsISE_E10value_typeEPNSK_ISF_E10value_typeEPSG_NS1_7vsmem_tEENKUlT_SE_SF_SG_E_clIS8_S8_S9_S9_EESD_ST_SE_SF_SG_EUlST_E1_NS1_11comp_targetILNS1_3genE4ELNS1_11target_archE910ELNS1_3gpuE8ELNS1_3repE0EEENS1_36merge_oddeven_config_static_selectorELNS0_4arch9wavefront6targetE0EEEvSF_,@function
_ZN7rocprim17ROCPRIM_400000_NS6detail17trampoline_kernelINS0_14default_configENS1_38merge_sort_block_merge_config_selectorIlNS0_10empty_typeEEEZZNS1_27merge_sort_block_merge_implIS3_PlPS5_jNS1_19radix_merge_compareILb0ELb1ElNS0_19identity_decomposerEEEEE10hipError_tT0_T1_T2_jT3_P12ihipStream_tbPNSt15iterator_traitsISE_E10value_typeEPNSK_ISF_E10value_typeEPSG_NS1_7vsmem_tEENKUlT_SE_SF_SG_E_clIS8_S8_S9_S9_EESD_ST_SE_SF_SG_EUlST_E1_NS1_11comp_targetILNS1_3genE4ELNS1_11target_archE910ELNS1_3gpuE8ELNS1_3repE0EEENS1_36merge_oddeven_config_static_selectorELNS0_4arch9wavefront6targetE0EEEvSF_: ; @_ZN7rocprim17ROCPRIM_400000_NS6detail17trampoline_kernelINS0_14default_configENS1_38merge_sort_block_merge_config_selectorIlNS0_10empty_typeEEEZZNS1_27merge_sort_block_merge_implIS3_PlPS5_jNS1_19radix_merge_compareILb0ELb1ElNS0_19identity_decomposerEEEEE10hipError_tT0_T1_T2_jT3_P12ihipStream_tbPNSt15iterator_traitsISE_E10value_typeEPNSK_ISF_E10value_typeEPSG_NS1_7vsmem_tEENKUlT_SE_SF_SG_E_clIS8_S8_S9_S9_EESD_ST_SE_SF_SG_EUlST_E1_NS1_11comp_targetILNS1_3genE4ELNS1_11target_archE910ELNS1_3gpuE8ELNS1_3repE0EEENS1_36merge_oddeven_config_static_selectorELNS0_4arch9wavefront6targetE0EEEvSF_
; %bb.0:
	.section	.rodata,"a",@progbits
	.p2align	6, 0x0
	.amdhsa_kernel _ZN7rocprim17ROCPRIM_400000_NS6detail17trampoline_kernelINS0_14default_configENS1_38merge_sort_block_merge_config_selectorIlNS0_10empty_typeEEEZZNS1_27merge_sort_block_merge_implIS3_PlPS5_jNS1_19radix_merge_compareILb0ELb1ElNS0_19identity_decomposerEEEEE10hipError_tT0_T1_T2_jT3_P12ihipStream_tbPNSt15iterator_traitsISE_E10value_typeEPNSK_ISF_E10value_typeEPSG_NS1_7vsmem_tEENKUlT_SE_SF_SG_E_clIS8_S8_S9_S9_EESD_ST_SE_SF_SG_EUlST_E1_NS1_11comp_targetILNS1_3genE4ELNS1_11target_archE910ELNS1_3gpuE8ELNS1_3repE0EEENS1_36merge_oddeven_config_static_selectorELNS0_4arch9wavefront6targetE0EEEvSF_
		.amdhsa_group_segment_fixed_size 0
		.amdhsa_private_segment_fixed_size 0
		.amdhsa_kernarg_size 48
		.amdhsa_user_sgpr_count 2
		.amdhsa_user_sgpr_dispatch_ptr 0
		.amdhsa_user_sgpr_queue_ptr 0
		.amdhsa_user_sgpr_kernarg_segment_ptr 1
		.amdhsa_user_sgpr_dispatch_id 0
		.amdhsa_user_sgpr_kernarg_preload_length 0
		.amdhsa_user_sgpr_kernarg_preload_offset 0
		.amdhsa_user_sgpr_private_segment_size 0
		.amdhsa_wavefront_size32 1
		.amdhsa_uses_dynamic_stack 0
		.amdhsa_enable_private_segment 0
		.amdhsa_system_sgpr_workgroup_id_x 1
		.amdhsa_system_sgpr_workgroup_id_y 0
		.amdhsa_system_sgpr_workgroup_id_z 0
		.amdhsa_system_sgpr_workgroup_info 0
		.amdhsa_system_vgpr_workitem_id 0
		.amdhsa_next_free_vgpr 1
		.amdhsa_next_free_sgpr 1
		.amdhsa_named_barrier_count 0
		.amdhsa_reserve_vcc 0
		.amdhsa_float_round_mode_32 0
		.amdhsa_float_round_mode_16_64 0
		.amdhsa_float_denorm_mode_32 3
		.amdhsa_float_denorm_mode_16_64 3
		.amdhsa_fp16_overflow 0
		.amdhsa_memory_ordered 1
		.amdhsa_forward_progress 1
		.amdhsa_inst_pref_size 0
		.amdhsa_round_robin_scheduling 0
		.amdhsa_exception_fp_ieee_invalid_op 0
		.amdhsa_exception_fp_denorm_src 0
		.amdhsa_exception_fp_ieee_div_zero 0
		.amdhsa_exception_fp_ieee_overflow 0
		.amdhsa_exception_fp_ieee_underflow 0
		.amdhsa_exception_fp_ieee_inexact 0
		.amdhsa_exception_int_div_zero 0
	.end_amdhsa_kernel
	.section	.text._ZN7rocprim17ROCPRIM_400000_NS6detail17trampoline_kernelINS0_14default_configENS1_38merge_sort_block_merge_config_selectorIlNS0_10empty_typeEEEZZNS1_27merge_sort_block_merge_implIS3_PlPS5_jNS1_19radix_merge_compareILb0ELb1ElNS0_19identity_decomposerEEEEE10hipError_tT0_T1_T2_jT3_P12ihipStream_tbPNSt15iterator_traitsISE_E10value_typeEPNSK_ISF_E10value_typeEPSG_NS1_7vsmem_tEENKUlT_SE_SF_SG_E_clIS8_S8_S9_S9_EESD_ST_SE_SF_SG_EUlST_E1_NS1_11comp_targetILNS1_3genE4ELNS1_11target_archE910ELNS1_3gpuE8ELNS1_3repE0EEENS1_36merge_oddeven_config_static_selectorELNS0_4arch9wavefront6targetE0EEEvSF_,"axG",@progbits,_ZN7rocprim17ROCPRIM_400000_NS6detail17trampoline_kernelINS0_14default_configENS1_38merge_sort_block_merge_config_selectorIlNS0_10empty_typeEEEZZNS1_27merge_sort_block_merge_implIS3_PlPS5_jNS1_19radix_merge_compareILb0ELb1ElNS0_19identity_decomposerEEEEE10hipError_tT0_T1_T2_jT3_P12ihipStream_tbPNSt15iterator_traitsISE_E10value_typeEPNSK_ISF_E10value_typeEPSG_NS1_7vsmem_tEENKUlT_SE_SF_SG_E_clIS8_S8_S9_S9_EESD_ST_SE_SF_SG_EUlST_E1_NS1_11comp_targetILNS1_3genE4ELNS1_11target_archE910ELNS1_3gpuE8ELNS1_3repE0EEENS1_36merge_oddeven_config_static_selectorELNS0_4arch9wavefront6targetE0EEEvSF_,comdat
.Lfunc_end1184:
	.size	_ZN7rocprim17ROCPRIM_400000_NS6detail17trampoline_kernelINS0_14default_configENS1_38merge_sort_block_merge_config_selectorIlNS0_10empty_typeEEEZZNS1_27merge_sort_block_merge_implIS3_PlPS5_jNS1_19radix_merge_compareILb0ELb1ElNS0_19identity_decomposerEEEEE10hipError_tT0_T1_T2_jT3_P12ihipStream_tbPNSt15iterator_traitsISE_E10value_typeEPNSK_ISF_E10value_typeEPSG_NS1_7vsmem_tEENKUlT_SE_SF_SG_E_clIS8_S8_S9_S9_EESD_ST_SE_SF_SG_EUlST_E1_NS1_11comp_targetILNS1_3genE4ELNS1_11target_archE910ELNS1_3gpuE8ELNS1_3repE0EEENS1_36merge_oddeven_config_static_selectorELNS0_4arch9wavefront6targetE0EEEvSF_, .Lfunc_end1184-_ZN7rocprim17ROCPRIM_400000_NS6detail17trampoline_kernelINS0_14default_configENS1_38merge_sort_block_merge_config_selectorIlNS0_10empty_typeEEEZZNS1_27merge_sort_block_merge_implIS3_PlPS5_jNS1_19radix_merge_compareILb0ELb1ElNS0_19identity_decomposerEEEEE10hipError_tT0_T1_T2_jT3_P12ihipStream_tbPNSt15iterator_traitsISE_E10value_typeEPNSK_ISF_E10value_typeEPSG_NS1_7vsmem_tEENKUlT_SE_SF_SG_E_clIS8_S8_S9_S9_EESD_ST_SE_SF_SG_EUlST_E1_NS1_11comp_targetILNS1_3genE4ELNS1_11target_archE910ELNS1_3gpuE8ELNS1_3repE0EEENS1_36merge_oddeven_config_static_selectorELNS0_4arch9wavefront6targetE0EEEvSF_
                                        ; -- End function
	.set _ZN7rocprim17ROCPRIM_400000_NS6detail17trampoline_kernelINS0_14default_configENS1_38merge_sort_block_merge_config_selectorIlNS0_10empty_typeEEEZZNS1_27merge_sort_block_merge_implIS3_PlPS5_jNS1_19radix_merge_compareILb0ELb1ElNS0_19identity_decomposerEEEEE10hipError_tT0_T1_T2_jT3_P12ihipStream_tbPNSt15iterator_traitsISE_E10value_typeEPNSK_ISF_E10value_typeEPSG_NS1_7vsmem_tEENKUlT_SE_SF_SG_E_clIS8_S8_S9_S9_EESD_ST_SE_SF_SG_EUlST_E1_NS1_11comp_targetILNS1_3genE4ELNS1_11target_archE910ELNS1_3gpuE8ELNS1_3repE0EEENS1_36merge_oddeven_config_static_selectorELNS0_4arch9wavefront6targetE0EEEvSF_.num_vgpr, 0
	.set _ZN7rocprim17ROCPRIM_400000_NS6detail17trampoline_kernelINS0_14default_configENS1_38merge_sort_block_merge_config_selectorIlNS0_10empty_typeEEEZZNS1_27merge_sort_block_merge_implIS3_PlPS5_jNS1_19radix_merge_compareILb0ELb1ElNS0_19identity_decomposerEEEEE10hipError_tT0_T1_T2_jT3_P12ihipStream_tbPNSt15iterator_traitsISE_E10value_typeEPNSK_ISF_E10value_typeEPSG_NS1_7vsmem_tEENKUlT_SE_SF_SG_E_clIS8_S8_S9_S9_EESD_ST_SE_SF_SG_EUlST_E1_NS1_11comp_targetILNS1_3genE4ELNS1_11target_archE910ELNS1_3gpuE8ELNS1_3repE0EEENS1_36merge_oddeven_config_static_selectorELNS0_4arch9wavefront6targetE0EEEvSF_.num_agpr, 0
	.set _ZN7rocprim17ROCPRIM_400000_NS6detail17trampoline_kernelINS0_14default_configENS1_38merge_sort_block_merge_config_selectorIlNS0_10empty_typeEEEZZNS1_27merge_sort_block_merge_implIS3_PlPS5_jNS1_19radix_merge_compareILb0ELb1ElNS0_19identity_decomposerEEEEE10hipError_tT0_T1_T2_jT3_P12ihipStream_tbPNSt15iterator_traitsISE_E10value_typeEPNSK_ISF_E10value_typeEPSG_NS1_7vsmem_tEENKUlT_SE_SF_SG_E_clIS8_S8_S9_S9_EESD_ST_SE_SF_SG_EUlST_E1_NS1_11comp_targetILNS1_3genE4ELNS1_11target_archE910ELNS1_3gpuE8ELNS1_3repE0EEENS1_36merge_oddeven_config_static_selectorELNS0_4arch9wavefront6targetE0EEEvSF_.numbered_sgpr, 0
	.set _ZN7rocprim17ROCPRIM_400000_NS6detail17trampoline_kernelINS0_14default_configENS1_38merge_sort_block_merge_config_selectorIlNS0_10empty_typeEEEZZNS1_27merge_sort_block_merge_implIS3_PlPS5_jNS1_19radix_merge_compareILb0ELb1ElNS0_19identity_decomposerEEEEE10hipError_tT0_T1_T2_jT3_P12ihipStream_tbPNSt15iterator_traitsISE_E10value_typeEPNSK_ISF_E10value_typeEPSG_NS1_7vsmem_tEENKUlT_SE_SF_SG_E_clIS8_S8_S9_S9_EESD_ST_SE_SF_SG_EUlST_E1_NS1_11comp_targetILNS1_3genE4ELNS1_11target_archE910ELNS1_3gpuE8ELNS1_3repE0EEENS1_36merge_oddeven_config_static_selectorELNS0_4arch9wavefront6targetE0EEEvSF_.num_named_barrier, 0
	.set _ZN7rocprim17ROCPRIM_400000_NS6detail17trampoline_kernelINS0_14default_configENS1_38merge_sort_block_merge_config_selectorIlNS0_10empty_typeEEEZZNS1_27merge_sort_block_merge_implIS3_PlPS5_jNS1_19radix_merge_compareILb0ELb1ElNS0_19identity_decomposerEEEEE10hipError_tT0_T1_T2_jT3_P12ihipStream_tbPNSt15iterator_traitsISE_E10value_typeEPNSK_ISF_E10value_typeEPSG_NS1_7vsmem_tEENKUlT_SE_SF_SG_E_clIS8_S8_S9_S9_EESD_ST_SE_SF_SG_EUlST_E1_NS1_11comp_targetILNS1_3genE4ELNS1_11target_archE910ELNS1_3gpuE8ELNS1_3repE0EEENS1_36merge_oddeven_config_static_selectorELNS0_4arch9wavefront6targetE0EEEvSF_.private_seg_size, 0
	.set _ZN7rocprim17ROCPRIM_400000_NS6detail17trampoline_kernelINS0_14default_configENS1_38merge_sort_block_merge_config_selectorIlNS0_10empty_typeEEEZZNS1_27merge_sort_block_merge_implIS3_PlPS5_jNS1_19radix_merge_compareILb0ELb1ElNS0_19identity_decomposerEEEEE10hipError_tT0_T1_T2_jT3_P12ihipStream_tbPNSt15iterator_traitsISE_E10value_typeEPNSK_ISF_E10value_typeEPSG_NS1_7vsmem_tEENKUlT_SE_SF_SG_E_clIS8_S8_S9_S9_EESD_ST_SE_SF_SG_EUlST_E1_NS1_11comp_targetILNS1_3genE4ELNS1_11target_archE910ELNS1_3gpuE8ELNS1_3repE0EEENS1_36merge_oddeven_config_static_selectorELNS0_4arch9wavefront6targetE0EEEvSF_.uses_vcc, 0
	.set _ZN7rocprim17ROCPRIM_400000_NS6detail17trampoline_kernelINS0_14default_configENS1_38merge_sort_block_merge_config_selectorIlNS0_10empty_typeEEEZZNS1_27merge_sort_block_merge_implIS3_PlPS5_jNS1_19radix_merge_compareILb0ELb1ElNS0_19identity_decomposerEEEEE10hipError_tT0_T1_T2_jT3_P12ihipStream_tbPNSt15iterator_traitsISE_E10value_typeEPNSK_ISF_E10value_typeEPSG_NS1_7vsmem_tEENKUlT_SE_SF_SG_E_clIS8_S8_S9_S9_EESD_ST_SE_SF_SG_EUlST_E1_NS1_11comp_targetILNS1_3genE4ELNS1_11target_archE910ELNS1_3gpuE8ELNS1_3repE0EEENS1_36merge_oddeven_config_static_selectorELNS0_4arch9wavefront6targetE0EEEvSF_.uses_flat_scratch, 0
	.set _ZN7rocprim17ROCPRIM_400000_NS6detail17trampoline_kernelINS0_14default_configENS1_38merge_sort_block_merge_config_selectorIlNS0_10empty_typeEEEZZNS1_27merge_sort_block_merge_implIS3_PlPS5_jNS1_19radix_merge_compareILb0ELb1ElNS0_19identity_decomposerEEEEE10hipError_tT0_T1_T2_jT3_P12ihipStream_tbPNSt15iterator_traitsISE_E10value_typeEPNSK_ISF_E10value_typeEPSG_NS1_7vsmem_tEENKUlT_SE_SF_SG_E_clIS8_S8_S9_S9_EESD_ST_SE_SF_SG_EUlST_E1_NS1_11comp_targetILNS1_3genE4ELNS1_11target_archE910ELNS1_3gpuE8ELNS1_3repE0EEENS1_36merge_oddeven_config_static_selectorELNS0_4arch9wavefront6targetE0EEEvSF_.has_dyn_sized_stack, 0
	.set _ZN7rocprim17ROCPRIM_400000_NS6detail17trampoline_kernelINS0_14default_configENS1_38merge_sort_block_merge_config_selectorIlNS0_10empty_typeEEEZZNS1_27merge_sort_block_merge_implIS3_PlPS5_jNS1_19radix_merge_compareILb0ELb1ElNS0_19identity_decomposerEEEEE10hipError_tT0_T1_T2_jT3_P12ihipStream_tbPNSt15iterator_traitsISE_E10value_typeEPNSK_ISF_E10value_typeEPSG_NS1_7vsmem_tEENKUlT_SE_SF_SG_E_clIS8_S8_S9_S9_EESD_ST_SE_SF_SG_EUlST_E1_NS1_11comp_targetILNS1_3genE4ELNS1_11target_archE910ELNS1_3gpuE8ELNS1_3repE0EEENS1_36merge_oddeven_config_static_selectorELNS0_4arch9wavefront6targetE0EEEvSF_.has_recursion, 0
	.set _ZN7rocprim17ROCPRIM_400000_NS6detail17trampoline_kernelINS0_14default_configENS1_38merge_sort_block_merge_config_selectorIlNS0_10empty_typeEEEZZNS1_27merge_sort_block_merge_implIS3_PlPS5_jNS1_19radix_merge_compareILb0ELb1ElNS0_19identity_decomposerEEEEE10hipError_tT0_T1_T2_jT3_P12ihipStream_tbPNSt15iterator_traitsISE_E10value_typeEPNSK_ISF_E10value_typeEPSG_NS1_7vsmem_tEENKUlT_SE_SF_SG_E_clIS8_S8_S9_S9_EESD_ST_SE_SF_SG_EUlST_E1_NS1_11comp_targetILNS1_3genE4ELNS1_11target_archE910ELNS1_3gpuE8ELNS1_3repE0EEENS1_36merge_oddeven_config_static_selectorELNS0_4arch9wavefront6targetE0EEEvSF_.has_indirect_call, 0
	.section	.AMDGPU.csdata,"",@progbits
; Kernel info:
; codeLenInByte = 0
; TotalNumSgprs: 0
; NumVgprs: 0
; ScratchSize: 0
; MemoryBound: 0
; FloatMode: 240
; IeeeMode: 1
; LDSByteSize: 0 bytes/workgroup (compile time only)
; SGPRBlocks: 0
; VGPRBlocks: 0
; NumSGPRsForWavesPerEU: 1
; NumVGPRsForWavesPerEU: 1
; NamedBarCnt: 0
; Occupancy: 16
; WaveLimiterHint : 0
; COMPUTE_PGM_RSRC2:SCRATCH_EN: 0
; COMPUTE_PGM_RSRC2:USER_SGPR: 2
; COMPUTE_PGM_RSRC2:TRAP_HANDLER: 0
; COMPUTE_PGM_RSRC2:TGID_X_EN: 1
; COMPUTE_PGM_RSRC2:TGID_Y_EN: 0
; COMPUTE_PGM_RSRC2:TGID_Z_EN: 0
; COMPUTE_PGM_RSRC2:TIDIG_COMP_CNT: 0
	.section	.text._ZN7rocprim17ROCPRIM_400000_NS6detail17trampoline_kernelINS0_14default_configENS1_38merge_sort_block_merge_config_selectorIlNS0_10empty_typeEEEZZNS1_27merge_sort_block_merge_implIS3_PlPS5_jNS1_19radix_merge_compareILb0ELb1ElNS0_19identity_decomposerEEEEE10hipError_tT0_T1_T2_jT3_P12ihipStream_tbPNSt15iterator_traitsISE_E10value_typeEPNSK_ISF_E10value_typeEPSG_NS1_7vsmem_tEENKUlT_SE_SF_SG_E_clIS8_S8_S9_S9_EESD_ST_SE_SF_SG_EUlST_E1_NS1_11comp_targetILNS1_3genE3ELNS1_11target_archE908ELNS1_3gpuE7ELNS1_3repE0EEENS1_36merge_oddeven_config_static_selectorELNS0_4arch9wavefront6targetE0EEEvSF_,"axG",@progbits,_ZN7rocprim17ROCPRIM_400000_NS6detail17trampoline_kernelINS0_14default_configENS1_38merge_sort_block_merge_config_selectorIlNS0_10empty_typeEEEZZNS1_27merge_sort_block_merge_implIS3_PlPS5_jNS1_19radix_merge_compareILb0ELb1ElNS0_19identity_decomposerEEEEE10hipError_tT0_T1_T2_jT3_P12ihipStream_tbPNSt15iterator_traitsISE_E10value_typeEPNSK_ISF_E10value_typeEPSG_NS1_7vsmem_tEENKUlT_SE_SF_SG_E_clIS8_S8_S9_S9_EESD_ST_SE_SF_SG_EUlST_E1_NS1_11comp_targetILNS1_3genE3ELNS1_11target_archE908ELNS1_3gpuE7ELNS1_3repE0EEENS1_36merge_oddeven_config_static_selectorELNS0_4arch9wavefront6targetE0EEEvSF_,comdat
	.protected	_ZN7rocprim17ROCPRIM_400000_NS6detail17trampoline_kernelINS0_14default_configENS1_38merge_sort_block_merge_config_selectorIlNS0_10empty_typeEEEZZNS1_27merge_sort_block_merge_implIS3_PlPS5_jNS1_19radix_merge_compareILb0ELb1ElNS0_19identity_decomposerEEEEE10hipError_tT0_T1_T2_jT3_P12ihipStream_tbPNSt15iterator_traitsISE_E10value_typeEPNSK_ISF_E10value_typeEPSG_NS1_7vsmem_tEENKUlT_SE_SF_SG_E_clIS8_S8_S9_S9_EESD_ST_SE_SF_SG_EUlST_E1_NS1_11comp_targetILNS1_3genE3ELNS1_11target_archE908ELNS1_3gpuE7ELNS1_3repE0EEENS1_36merge_oddeven_config_static_selectorELNS0_4arch9wavefront6targetE0EEEvSF_ ; -- Begin function _ZN7rocprim17ROCPRIM_400000_NS6detail17trampoline_kernelINS0_14default_configENS1_38merge_sort_block_merge_config_selectorIlNS0_10empty_typeEEEZZNS1_27merge_sort_block_merge_implIS3_PlPS5_jNS1_19radix_merge_compareILb0ELb1ElNS0_19identity_decomposerEEEEE10hipError_tT0_T1_T2_jT3_P12ihipStream_tbPNSt15iterator_traitsISE_E10value_typeEPNSK_ISF_E10value_typeEPSG_NS1_7vsmem_tEENKUlT_SE_SF_SG_E_clIS8_S8_S9_S9_EESD_ST_SE_SF_SG_EUlST_E1_NS1_11comp_targetILNS1_3genE3ELNS1_11target_archE908ELNS1_3gpuE7ELNS1_3repE0EEENS1_36merge_oddeven_config_static_selectorELNS0_4arch9wavefront6targetE0EEEvSF_
	.globl	_ZN7rocprim17ROCPRIM_400000_NS6detail17trampoline_kernelINS0_14default_configENS1_38merge_sort_block_merge_config_selectorIlNS0_10empty_typeEEEZZNS1_27merge_sort_block_merge_implIS3_PlPS5_jNS1_19radix_merge_compareILb0ELb1ElNS0_19identity_decomposerEEEEE10hipError_tT0_T1_T2_jT3_P12ihipStream_tbPNSt15iterator_traitsISE_E10value_typeEPNSK_ISF_E10value_typeEPSG_NS1_7vsmem_tEENKUlT_SE_SF_SG_E_clIS8_S8_S9_S9_EESD_ST_SE_SF_SG_EUlST_E1_NS1_11comp_targetILNS1_3genE3ELNS1_11target_archE908ELNS1_3gpuE7ELNS1_3repE0EEENS1_36merge_oddeven_config_static_selectorELNS0_4arch9wavefront6targetE0EEEvSF_
	.p2align	8
	.type	_ZN7rocprim17ROCPRIM_400000_NS6detail17trampoline_kernelINS0_14default_configENS1_38merge_sort_block_merge_config_selectorIlNS0_10empty_typeEEEZZNS1_27merge_sort_block_merge_implIS3_PlPS5_jNS1_19radix_merge_compareILb0ELb1ElNS0_19identity_decomposerEEEEE10hipError_tT0_T1_T2_jT3_P12ihipStream_tbPNSt15iterator_traitsISE_E10value_typeEPNSK_ISF_E10value_typeEPSG_NS1_7vsmem_tEENKUlT_SE_SF_SG_E_clIS8_S8_S9_S9_EESD_ST_SE_SF_SG_EUlST_E1_NS1_11comp_targetILNS1_3genE3ELNS1_11target_archE908ELNS1_3gpuE7ELNS1_3repE0EEENS1_36merge_oddeven_config_static_selectorELNS0_4arch9wavefront6targetE0EEEvSF_,@function
_ZN7rocprim17ROCPRIM_400000_NS6detail17trampoline_kernelINS0_14default_configENS1_38merge_sort_block_merge_config_selectorIlNS0_10empty_typeEEEZZNS1_27merge_sort_block_merge_implIS3_PlPS5_jNS1_19radix_merge_compareILb0ELb1ElNS0_19identity_decomposerEEEEE10hipError_tT0_T1_T2_jT3_P12ihipStream_tbPNSt15iterator_traitsISE_E10value_typeEPNSK_ISF_E10value_typeEPSG_NS1_7vsmem_tEENKUlT_SE_SF_SG_E_clIS8_S8_S9_S9_EESD_ST_SE_SF_SG_EUlST_E1_NS1_11comp_targetILNS1_3genE3ELNS1_11target_archE908ELNS1_3gpuE7ELNS1_3repE0EEENS1_36merge_oddeven_config_static_selectorELNS0_4arch9wavefront6targetE0EEEvSF_: ; @_ZN7rocprim17ROCPRIM_400000_NS6detail17trampoline_kernelINS0_14default_configENS1_38merge_sort_block_merge_config_selectorIlNS0_10empty_typeEEEZZNS1_27merge_sort_block_merge_implIS3_PlPS5_jNS1_19radix_merge_compareILb0ELb1ElNS0_19identity_decomposerEEEEE10hipError_tT0_T1_T2_jT3_P12ihipStream_tbPNSt15iterator_traitsISE_E10value_typeEPNSK_ISF_E10value_typeEPSG_NS1_7vsmem_tEENKUlT_SE_SF_SG_E_clIS8_S8_S9_S9_EESD_ST_SE_SF_SG_EUlST_E1_NS1_11comp_targetILNS1_3genE3ELNS1_11target_archE908ELNS1_3gpuE7ELNS1_3repE0EEENS1_36merge_oddeven_config_static_selectorELNS0_4arch9wavefront6targetE0EEEvSF_
; %bb.0:
	.section	.rodata,"a",@progbits
	.p2align	6, 0x0
	.amdhsa_kernel _ZN7rocprim17ROCPRIM_400000_NS6detail17trampoline_kernelINS0_14default_configENS1_38merge_sort_block_merge_config_selectorIlNS0_10empty_typeEEEZZNS1_27merge_sort_block_merge_implIS3_PlPS5_jNS1_19radix_merge_compareILb0ELb1ElNS0_19identity_decomposerEEEEE10hipError_tT0_T1_T2_jT3_P12ihipStream_tbPNSt15iterator_traitsISE_E10value_typeEPNSK_ISF_E10value_typeEPSG_NS1_7vsmem_tEENKUlT_SE_SF_SG_E_clIS8_S8_S9_S9_EESD_ST_SE_SF_SG_EUlST_E1_NS1_11comp_targetILNS1_3genE3ELNS1_11target_archE908ELNS1_3gpuE7ELNS1_3repE0EEENS1_36merge_oddeven_config_static_selectorELNS0_4arch9wavefront6targetE0EEEvSF_
		.amdhsa_group_segment_fixed_size 0
		.amdhsa_private_segment_fixed_size 0
		.amdhsa_kernarg_size 48
		.amdhsa_user_sgpr_count 2
		.amdhsa_user_sgpr_dispatch_ptr 0
		.amdhsa_user_sgpr_queue_ptr 0
		.amdhsa_user_sgpr_kernarg_segment_ptr 1
		.amdhsa_user_sgpr_dispatch_id 0
		.amdhsa_user_sgpr_kernarg_preload_length 0
		.amdhsa_user_sgpr_kernarg_preload_offset 0
		.amdhsa_user_sgpr_private_segment_size 0
		.amdhsa_wavefront_size32 1
		.amdhsa_uses_dynamic_stack 0
		.amdhsa_enable_private_segment 0
		.amdhsa_system_sgpr_workgroup_id_x 1
		.amdhsa_system_sgpr_workgroup_id_y 0
		.amdhsa_system_sgpr_workgroup_id_z 0
		.amdhsa_system_sgpr_workgroup_info 0
		.amdhsa_system_vgpr_workitem_id 0
		.amdhsa_next_free_vgpr 1
		.amdhsa_next_free_sgpr 1
		.amdhsa_named_barrier_count 0
		.amdhsa_reserve_vcc 0
		.amdhsa_float_round_mode_32 0
		.amdhsa_float_round_mode_16_64 0
		.amdhsa_float_denorm_mode_32 3
		.amdhsa_float_denorm_mode_16_64 3
		.amdhsa_fp16_overflow 0
		.amdhsa_memory_ordered 1
		.amdhsa_forward_progress 1
		.amdhsa_inst_pref_size 0
		.amdhsa_round_robin_scheduling 0
		.amdhsa_exception_fp_ieee_invalid_op 0
		.amdhsa_exception_fp_denorm_src 0
		.amdhsa_exception_fp_ieee_div_zero 0
		.amdhsa_exception_fp_ieee_overflow 0
		.amdhsa_exception_fp_ieee_underflow 0
		.amdhsa_exception_fp_ieee_inexact 0
		.amdhsa_exception_int_div_zero 0
	.end_amdhsa_kernel
	.section	.text._ZN7rocprim17ROCPRIM_400000_NS6detail17trampoline_kernelINS0_14default_configENS1_38merge_sort_block_merge_config_selectorIlNS0_10empty_typeEEEZZNS1_27merge_sort_block_merge_implIS3_PlPS5_jNS1_19radix_merge_compareILb0ELb1ElNS0_19identity_decomposerEEEEE10hipError_tT0_T1_T2_jT3_P12ihipStream_tbPNSt15iterator_traitsISE_E10value_typeEPNSK_ISF_E10value_typeEPSG_NS1_7vsmem_tEENKUlT_SE_SF_SG_E_clIS8_S8_S9_S9_EESD_ST_SE_SF_SG_EUlST_E1_NS1_11comp_targetILNS1_3genE3ELNS1_11target_archE908ELNS1_3gpuE7ELNS1_3repE0EEENS1_36merge_oddeven_config_static_selectorELNS0_4arch9wavefront6targetE0EEEvSF_,"axG",@progbits,_ZN7rocprim17ROCPRIM_400000_NS6detail17trampoline_kernelINS0_14default_configENS1_38merge_sort_block_merge_config_selectorIlNS0_10empty_typeEEEZZNS1_27merge_sort_block_merge_implIS3_PlPS5_jNS1_19radix_merge_compareILb0ELb1ElNS0_19identity_decomposerEEEEE10hipError_tT0_T1_T2_jT3_P12ihipStream_tbPNSt15iterator_traitsISE_E10value_typeEPNSK_ISF_E10value_typeEPSG_NS1_7vsmem_tEENKUlT_SE_SF_SG_E_clIS8_S8_S9_S9_EESD_ST_SE_SF_SG_EUlST_E1_NS1_11comp_targetILNS1_3genE3ELNS1_11target_archE908ELNS1_3gpuE7ELNS1_3repE0EEENS1_36merge_oddeven_config_static_selectorELNS0_4arch9wavefront6targetE0EEEvSF_,comdat
.Lfunc_end1185:
	.size	_ZN7rocprim17ROCPRIM_400000_NS6detail17trampoline_kernelINS0_14default_configENS1_38merge_sort_block_merge_config_selectorIlNS0_10empty_typeEEEZZNS1_27merge_sort_block_merge_implIS3_PlPS5_jNS1_19radix_merge_compareILb0ELb1ElNS0_19identity_decomposerEEEEE10hipError_tT0_T1_T2_jT3_P12ihipStream_tbPNSt15iterator_traitsISE_E10value_typeEPNSK_ISF_E10value_typeEPSG_NS1_7vsmem_tEENKUlT_SE_SF_SG_E_clIS8_S8_S9_S9_EESD_ST_SE_SF_SG_EUlST_E1_NS1_11comp_targetILNS1_3genE3ELNS1_11target_archE908ELNS1_3gpuE7ELNS1_3repE0EEENS1_36merge_oddeven_config_static_selectorELNS0_4arch9wavefront6targetE0EEEvSF_, .Lfunc_end1185-_ZN7rocprim17ROCPRIM_400000_NS6detail17trampoline_kernelINS0_14default_configENS1_38merge_sort_block_merge_config_selectorIlNS0_10empty_typeEEEZZNS1_27merge_sort_block_merge_implIS3_PlPS5_jNS1_19radix_merge_compareILb0ELb1ElNS0_19identity_decomposerEEEEE10hipError_tT0_T1_T2_jT3_P12ihipStream_tbPNSt15iterator_traitsISE_E10value_typeEPNSK_ISF_E10value_typeEPSG_NS1_7vsmem_tEENKUlT_SE_SF_SG_E_clIS8_S8_S9_S9_EESD_ST_SE_SF_SG_EUlST_E1_NS1_11comp_targetILNS1_3genE3ELNS1_11target_archE908ELNS1_3gpuE7ELNS1_3repE0EEENS1_36merge_oddeven_config_static_selectorELNS0_4arch9wavefront6targetE0EEEvSF_
                                        ; -- End function
	.set _ZN7rocprim17ROCPRIM_400000_NS6detail17trampoline_kernelINS0_14default_configENS1_38merge_sort_block_merge_config_selectorIlNS0_10empty_typeEEEZZNS1_27merge_sort_block_merge_implIS3_PlPS5_jNS1_19radix_merge_compareILb0ELb1ElNS0_19identity_decomposerEEEEE10hipError_tT0_T1_T2_jT3_P12ihipStream_tbPNSt15iterator_traitsISE_E10value_typeEPNSK_ISF_E10value_typeEPSG_NS1_7vsmem_tEENKUlT_SE_SF_SG_E_clIS8_S8_S9_S9_EESD_ST_SE_SF_SG_EUlST_E1_NS1_11comp_targetILNS1_3genE3ELNS1_11target_archE908ELNS1_3gpuE7ELNS1_3repE0EEENS1_36merge_oddeven_config_static_selectorELNS0_4arch9wavefront6targetE0EEEvSF_.num_vgpr, 0
	.set _ZN7rocprim17ROCPRIM_400000_NS6detail17trampoline_kernelINS0_14default_configENS1_38merge_sort_block_merge_config_selectorIlNS0_10empty_typeEEEZZNS1_27merge_sort_block_merge_implIS3_PlPS5_jNS1_19radix_merge_compareILb0ELb1ElNS0_19identity_decomposerEEEEE10hipError_tT0_T1_T2_jT3_P12ihipStream_tbPNSt15iterator_traitsISE_E10value_typeEPNSK_ISF_E10value_typeEPSG_NS1_7vsmem_tEENKUlT_SE_SF_SG_E_clIS8_S8_S9_S9_EESD_ST_SE_SF_SG_EUlST_E1_NS1_11comp_targetILNS1_3genE3ELNS1_11target_archE908ELNS1_3gpuE7ELNS1_3repE0EEENS1_36merge_oddeven_config_static_selectorELNS0_4arch9wavefront6targetE0EEEvSF_.num_agpr, 0
	.set _ZN7rocprim17ROCPRIM_400000_NS6detail17trampoline_kernelINS0_14default_configENS1_38merge_sort_block_merge_config_selectorIlNS0_10empty_typeEEEZZNS1_27merge_sort_block_merge_implIS3_PlPS5_jNS1_19radix_merge_compareILb0ELb1ElNS0_19identity_decomposerEEEEE10hipError_tT0_T1_T2_jT3_P12ihipStream_tbPNSt15iterator_traitsISE_E10value_typeEPNSK_ISF_E10value_typeEPSG_NS1_7vsmem_tEENKUlT_SE_SF_SG_E_clIS8_S8_S9_S9_EESD_ST_SE_SF_SG_EUlST_E1_NS1_11comp_targetILNS1_3genE3ELNS1_11target_archE908ELNS1_3gpuE7ELNS1_3repE0EEENS1_36merge_oddeven_config_static_selectorELNS0_4arch9wavefront6targetE0EEEvSF_.numbered_sgpr, 0
	.set _ZN7rocprim17ROCPRIM_400000_NS6detail17trampoline_kernelINS0_14default_configENS1_38merge_sort_block_merge_config_selectorIlNS0_10empty_typeEEEZZNS1_27merge_sort_block_merge_implIS3_PlPS5_jNS1_19radix_merge_compareILb0ELb1ElNS0_19identity_decomposerEEEEE10hipError_tT0_T1_T2_jT3_P12ihipStream_tbPNSt15iterator_traitsISE_E10value_typeEPNSK_ISF_E10value_typeEPSG_NS1_7vsmem_tEENKUlT_SE_SF_SG_E_clIS8_S8_S9_S9_EESD_ST_SE_SF_SG_EUlST_E1_NS1_11comp_targetILNS1_3genE3ELNS1_11target_archE908ELNS1_3gpuE7ELNS1_3repE0EEENS1_36merge_oddeven_config_static_selectorELNS0_4arch9wavefront6targetE0EEEvSF_.num_named_barrier, 0
	.set _ZN7rocprim17ROCPRIM_400000_NS6detail17trampoline_kernelINS0_14default_configENS1_38merge_sort_block_merge_config_selectorIlNS0_10empty_typeEEEZZNS1_27merge_sort_block_merge_implIS3_PlPS5_jNS1_19radix_merge_compareILb0ELb1ElNS0_19identity_decomposerEEEEE10hipError_tT0_T1_T2_jT3_P12ihipStream_tbPNSt15iterator_traitsISE_E10value_typeEPNSK_ISF_E10value_typeEPSG_NS1_7vsmem_tEENKUlT_SE_SF_SG_E_clIS8_S8_S9_S9_EESD_ST_SE_SF_SG_EUlST_E1_NS1_11comp_targetILNS1_3genE3ELNS1_11target_archE908ELNS1_3gpuE7ELNS1_3repE0EEENS1_36merge_oddeven_config_static_selectorELNS0_4arch9wavefront6targetE0EEEvSF_.private_seg_size, 0
	.set _ZN7rocprim17ROCPRIM_400000_NS6detail17trampoline_kernelINS0_14default_configENS1_38merge_sort_block_merge_config_selectorIlNS0_10empty_typeEEEZZNS1_27merge_sort_block_merge_implIS3_PlPS5_jNS1_19radix_merge_compareILb0ELb1ElNS0_19identity_decomposerEEEEE10hipError_tT0_T1_T2_jT3_P12ihipStream_tbPNSt15iterator_traitsISE_E10value_typeEPNSK_ISF_E10value_typeEPSG_NS1_7vsmem_tEENKUlT_SE_SF_SG_E_clIS8_S8_S9_S9_EESD_ST_SE_SF_SG_EUlST_E1_NS1_11comp_targetILNS1_3genE3ELNS1_11target_archE908ELNS1_3gpuE7ELNS1_3repE0EEENS1_36merge_oddeven_config_static_selectorELNS0_4arch9wavefront6targetE0EEEvSF_.uses_vcc, 0
	.set _ZN7rocprim17ROCPRIM_400000_NS6detail17trampoline_kernelINS0_14default_configENS1_38merge_sort_block_merge_config_selectorIlNS0_10empty_typeEEEZZNS1_27merge_sort_block_merge_implIS3_PlPS5_jNS1_19radix_merge_compareILb0ELb1ElNS0_19identity_decomposerEEEEE10hipError_tT0_T1_T2_jT3_P12ihipStream_tbPNSt15iterator_traitsISE_E10value_typeEPNSK_ISF_E10value_typeEPSG_NS1_7vsmem_tEENKUlT_SE_SF_SG_E_clIS8_S8_S9_S9_EESD_ST_SE_SF_SG_EUlST_E1_NS1_11comp_targetILNS1_3genE3ELNS1_11target_archE908ELNS1_3gpuE7ELNS1_3repE0EEENS1_36merge_oddeven_config_static_selectorELNS0_4arch9wavefront6targetE0EEEvSF_.uses_flat_scratch, 0
	.set _ZN7rocprim17ROCPRIM_400000_NS6detail17trampoline_kernelINS0_14default_configENS1_38merge_sort_block_merge_config_selectorIlNS0_10empty_typeEEEZZNS1_27merge_sort_block_merge_implIS3_PlPS5_jNS1_19radix_merge_compareILb0ELb1ElNS0_19identity_decomposerEEEEE10hipError_tT0_T1_T2_jT3_P12ihipStream_tbPNSt15iterator_traitsISE_E10value_typeEPNSK_ISF_E10value_typeEPSG_NS1_7vsmem_tEENKUlT_SE_SF_SG_E_clIS8_S8_S9_S9_EESD_ST_SE_SF_SG_EUlST_E1_NS1_11comp_targetILNS1_3genE3ELNS1_11target_archE908ELNS1_3gpuE7ELNS1_3repE0EEENS1_36merge_oddeven_config_static_selectorELNS0_4arch9wavefront6targetE0EEEvSF_.has_dyn_sized_stack, 0
	.set _ZN7rocprim17ROCPRIM_400000_NS6detail17trampoline_kernelINS0_14default_configENS1_38merge_sort_block_merge_config_selectorIlNS0_10empty_typeEEEZZNS1_27merge_sort_block_merge_implIS3_PlPS5_jNS1_19radix_merge_compareILb0ELb1ElNS0_19identity_decomposerEEEEE10hipError_tT0_T1_T2_jT3_P12ihipStream_tbPNSt15iterator_traitsISE_E10value_typeEPNSK_ISF_E10value_typeEPSG_NS1_7vsmem_tEENKUlT_SE_SF_SG_E_clIS8_S8_S9_S9_EESD_ST_SE_SF_SG_EUlST_E1_NS1_11comp_targetILNS1_3genE3ELNS1_11target_archE908ELNS1_3gpuE7ELNS1_3repE0EEENS1_36merge_oddeven_config_static_selectorELNS0_4arch9wavefront6targetE0EEEvSF_.has_recursion, 0
	.set _ZN7rocprim17ROCPRIM_400000_NS6detail17trampoline_kernelINS0_14default_configENS1_38merge_sort_block_merge_config_selectorIlNS0_10empty_typeEEEZZNS1_27merge_sort_block_merge_implIS3_PlPS5_jNS1_19radix_merge_compareILb0ELb1ElNS0_19identity_decomposerEEEEE10hipError_tT0_T1_T2_jT3_P12ihipStream_tbPNSt15iterator_traitsISE_E10value_typeEPNSK_ISF_E10value_typeEPSG_NS1_7vsmem_tEENKUlT_SE_SF_SG_E_clIS8_S8_S9_S9_EESD_ST_SE_SF_SG_EUlST_E1_NS1_11comp_targetILNS1_3genE3ELNS1_11target_archE908ELNS1_3gpuE7ELNS1_3repE0EEENS1_36merge_oddeven_config_static_selectorELNS0_4arch9wavefront6targetE0EEEvSF_.has_indirect_call, 0
	.section	.AMDGPU.csdata,"",@progbits
; Kernel info:
; codeLenInByte = 0
; TotalNumSgprs: 0
; NumVgprs: 0
; ScratchSize: 0
; MemoryBound: 0
; FloatMode: 240
; IeeeMode: 1
; LDSByteSize: 0 bytes/workgroup (compile time only)
; SGPRBlocks: 0
; VGPRBlocks: 0
; NumSGPRsForWavesPerEU: 1
; NumVGPRsForWavesPerEU: 1
; NamedBarCnt: 0
; Occupancy: 16
; WaveLimiterHint : 0
; COMPUTE_PGM_RSRC2:SCRATCH_EN: 0
; COMPUTE_PGM_RSRC2:USER_SGPR: 2
; COMPUTE_PGM_RSRC2:TRAP_HANDLER: 0
; COMPUTE_PGM_RSRC2:TGID_X_EN: 1
; COMPUTE_PGM_RSRC2:TGID_Y_EN: 0
; COMPUTE_PGM_RSRC2:TGID_Z_EN: 0
; COMPUTE_PGM_RSRC2:TIDIG_COMP_CNT: 0
	.section	.text._ZN7rocprim17ROCPRIM_400000_NS6detail17trampoline_kernelINS0_14default_configENS1_38merge_sort_block_merge_config_selectorIlNS0_10empty_typeEEEZZNS1_27merge_sort_block_merge_implIS3_PlPS5_jNS1_19radix_merge_compareILb0ELb1ElNS0_19identity_decomposerEEEEE10hipError_tT0_T1_T2_jT3_P12ihipStream_tbPNSt15iterator_traitsISE_E10value_typeEPNSK_ISF_E10value_typeEPSG_NS1_7vsmem_tEENKUlT_SE_SF_SG_E_clIS8_S8_S9_S9_EESD_ST_SE_SF_SG_EUlST_E1_NS1_11comp_targetILNS1_3genE2ELNS1_11target_archE906ELNS1_3gpuE6ELNS1_3repE0EEENS1_36merge_oddeven_config_static_selectorELNS0_4arch9wavefront6targetE0EEEvSF_,"axG",@progbits,_ZN7rocprim17ROCPRIM_400000_NS6detail17trampoline_kernelINS0_14default_configENS1_38merge_sort_block_merge_config_selectorIlNS0_10empty_typeEEEZZNS1_27merge_sort_block_merge_implIS3_PlPS5_jNS1_19radix_merge_compareILb0ELb1ElNS0_19identity_decomposerEEEEE10hipError_tT0_T1_T2_jT3_P12ihipStream_tbPNSt15iterator_traitsISE_E10value_typeEPNSK_ISF_E10value_typeEPSG_NS1_7vsmem_tEENKUlT_SE_SF_SG_E_clIS8_S8_S9_S9_EESD_ST_SE_SF_SG_EUlST_E1_NS1_11comp_targetILNS1_3genE2ELNS1_11target_archE906ELNS1_3gpuE6ELNS1_3repE0EEENS1_36merge_oddeven_config_static_selectorELNS0_4arch9wavefront6targetE0EEEvSF_,comdat
	.protected	_ZN7rocprim17ROCPRIM_400000_NS6detail17trampoline_kernelINS0_14default_configENS1_38merge_sort_block_merge_config_selectorIlNS0_10empty_typeEEEZZNS1_27merge_sort_block_merge_implIS3_PlPS5_jNS1_19radix_merge_compareILb0ELb1ElNS0_19identity_decomposerEEEEE10hipError_tT0_T1_T2_jT3_P12ihipStream_tbPNSt15iterator_traitsISE_E10value_typeEPNSK_ISF_E10value_typeEPSG_NS1_7vsmem_tEENKUlT_SE_SF_SG_E_clIS8_S8_S9_S9_EESD_ST_SE_SF_SG_EUlST_E1_NS1_11comp_targetILNS1_3genE2ELNS1_11target_archE906ELNS1_3gpuE6ELNS1_3repE0EEENS1_36merge_oddeven_config_static_selectorELNS0_4arch9wavefront6targetE0EEEvSF_ ; -- Begin function _ZN7rocprim17ROCPRIM_400000_NS6detail17trampoline_kernelINS0_14default_configENS1_38merge_sort_block_merge_config_selectorIlNS0_10empty_typeEEEZZNS1_27merge_sort_block_merge_implIS3_PlPS5_jNS1_19radix_merge_compareILb0ELb1ElNS0_19identity_decomposerEEEEE10hipError_tT0_T1_T2_jT3_P12ihipStream_tbPNSt15iterator_traitsISE_E10value_typeEPNSK_ISF_E10value_typeEPSG_NS1_7vsmem_tEENKUlT_SE_SF_SG_E_clIS8_S8_S9_S9_EESD_ST_SE_SF_SG_EUlST_E1_NS1_11comp_targetILNS1_3genE2ELNS1_11target_archE906ELNS1_3gpuE6ELNS1_3repE0EEENS1_36merge_oddeven_config_static_selectorELNS0_4arch9wavefront6targetE0EEEvSF_
	.globl	_ZN7rocprim17ROCPRIM_400000_NS6detail17trampoline_kernelINS0_14default_configENS1_38merge_sort_block_merge_config_selectorIlNS0_10empty_typeEEEZZNS1_27merge_sort_block_merge_implIS3_PlPS5_jNS1_19radix_merge_compareILb0ELb1ElNS0_19identity_decomposerEEEEE10hipError_tT0_T1_T2_jT3_P12ihipStream_tbPNSt15iterator_traitsISE_E10value_typeEPNSK_ISF_E10value_typeEPSG_NS1_7vsmem_tEENKUlT_SE_SF_SG_E_clIS8_S8_S9_S9_EESD_ST_SE_SF_SG_EUlST_E1_NS1_11comp_targetILNS1_3genE2ELNS1_11target_archE906ELNS1_3gpuE6ELNS1_3repE0EEENS1_36merge_oddeven_config_static_selectorELNS0_4arch9wavefront6targetE0EEEvSF_
	.p2align	8
	.type	_ZN7rocprim17ROCPRIM_400000_NS6detail17trampoline_kernelINS0_14default_configENS1_38merge_sort_block_merge_config_selectorIlNS0_10empty_typeEEEZZNS1_27merge_sort_block_merge_implIS3_PlPS5_jNS1_19radix_merge_compareILb0ELb1ElNS0_19identity_decomposerEEEEE10hipError_tT0_T1_T2_jT3_P12ihipStream_tbPNSt15iterator_traitsISE_E10value_typeEPNSK_ISF_E10value_typeEPSG_NS1_7vsmem_tEENKUlT_SE_SF_SG_E_clIS8_S8_S9_S9_EESD_ST_SE_SF_SG_EUlST_E1_NS1_11comp_targetILNS1_3genE2ELNS1_11target_archE906ELNS1_3gpuE6ELNS1_3repE0EEENS1_36merge_oddeven_config_static_selectorELNS0_4arch9wavefront6targetE0EEEvSF_,@function
_ZN7rocprim17ROCPRIM_400000_NS6detail17trampoline_kernelINS0_14default_configENS1_38merge_sort_block_merge_config_selectorIlNS0_10empty_typeEEEZZNS1_27merge_sort_block_merge_implIS3_PlPS5_jNS1_19radix_merge_compareILb0ELb1ElNS0_19identity_decomposerEEEEE10hipError_tT0_T1_T2_jT3_P12ihipStream_tbPNSt15iterator_traitsISE_E10value_typeEPNSK_ISF_E10value_typeEPSG_NS1_7vsmem_tEENKUlT_SE_SF_SG_E_clIS8_S8_S9_S9_EESD_ST_SE_SF_SG_EUlST_E1_NS1_11comp_targetILNS1_3genE2ELNS1_11target_archE906ELNS1_3gpuE6ELNS1_3repE0EEENS1_36merge_oddeven_config_static_selectorELNS0_4arch9wavefront6targetE0EEEvSF_: ; @_ZN7rocprim17ROCPRIM_400000_NS6detail17trampoline_kernelINS0_14default_configENS1_38merge_sort_block_merge_config_selectorIlNS0_10empty_typeEEEZZNS1_27merge_sort_block_merge_implIS3_PlPS5_jNS1_19radix_merge_compareILb0ELb1ElNS0_19identity_decomposerEEEEE10hipError_tT0_T1_T2_jT3_P12ihipStream_tbPNSt15iterator_traitsISE_E10value_typeEPNSK_ISF_E10value_typeEPSG_NS1_7vsmem_tEENKUlT_SE_SF_SG_E_clIS8_S8_S9_S9_EESD_ST_SE_SF_SG_EUlST_E1_NS1_11comp_targetILNS1_3genE2ELNS1_11target_archE906ELNS1_3gpuE6ELNS1_3repE0EEENS1_36merge_oddeven_config_static_selectorELNS0_4arch9wavefront6targetE0EEEvSF_
; %bb.0:
	.section	.rodata,"a",@progbits
	.p2align	6, 0x0
	.amdhsa_kernel _ZN7rocprim17ROCPRIM_400000_NS6detail17trampoline_kernelINS0_14default_configENS1_38merge_sort_block_merge_config_selectorIlNS0_10empty_typeEEEZZNS1_27merge_sort_block_merge_implIS3_PlPS5_jNS1_19radix_merge_compareILb0ELb1ElNS0_19identity_decomposerEEEEE10hipError_tT0_T1_T2_jT3_P12ihipStream_tbPNSt15iterator_traitsISE_E10value_typeEPNSK_ISF_E10value_typeEPSG_NS1_7vsmem_tEENKUlT_SE_SF_SG_E_clIS8_S8_S9_S9_EESD_ST_SE_SF_SG_EUlST_E1_NS1_11comp_targetILNS1_3genE2ELNS1_11target_archE906ELNS1_3gpuE6ELNS1_3repE0EEENS1_36merge_oddeven_config_static_selectorELNS0_4arch9wavefront6targetE0EEEvSF_
		.amdhsa_group_segment_fixed_size 0
		.amdhsa_private_segment_fixed_size 0
		.amdhsa_kernarg_size 48
		.amdhsa_user_sgpr_count 2
		.amdhsa_user_sgpr_dispatch_ptr 0
		.amdhsa_user_sgpr_queue_ptr 0
		.amdhsa_user_sgpr_kernarg_segment_ptr 1
		.amdhsa_user_sgpr_dispatch_id 0
		.amdhsa_user_sgpr_kernarg_preload_length 0
		.amdhsa_user_sgpr_kernarg_preload_offset 0
		.amdhsa_user_sgpr_private_segment_size 0
		.amdhsa_wavefront_size32 1
		.amdhsa_uses_dynamic_stack 0
		.amdhsa_enable_private_segment 0
		.amdhsa_system_sgpr_workgroup_id_x 1
		.amdhsa_system_sgpr_workgroup_id_y 0
		.amdhsa_system_sgpr_workgroup_id_z 0
		.amdhsa_system_sgpr_workgroup_info 0
		.amdhsa_system_vgpr_workitem_id 0
		.amdhsa_next_free_vgpr 1
		.amdhsa_next_free_sgpr 1
		.amdhsa_named_barrier_count 0
		.amdhsa_reserve_vcc 0
		.amdhsa_float_round_mode_32 0
		.amdhsa_float_round_mode_16_64 0
		.amdhsa_float_denorm_mode_32 3
		.amdhsa_float_denorm_mode_16_64 3
		.amdhsa_fp16_overflow 0
		.amdhsa_memory_ordered 1
		.amdhsa_forward_progress 1
		.amdhsa_inst_pref_size 0
		.amdhsa_round_robin_scheduling 0
		.amdhsa_exception_fp_ieee_invalid_op 0
		.amdhsa_exception_fp_denorm_src 0
		.amdhsa_exception_fp_ieee_div_zero 0
		.amdhsa_exception_fp_ieee_overflow 0
		.amdhsa_exception_fp_ieee_underflow 0
		.amdhsa_exception_fp_ieee_inexact 0
		.amdhsa_exception_int_div_zero 0
	.end_amdhsa_kernel
	.section	.text._ZN7rocprim17ROCPRIM_400000_NS6detail17trampoline_kernelINS0_14default_configENS1_38merge_sort_block_merge_config_selectorIlNS0_10empty_typeEEEZZNS1_27merge_sort_block_merge_implIS3_PlPS5_jNS1_19radix_merge_compareILb0ELb1ElNS0_19identity_decomposerEEEEE10hipError_tT0_T1_T2_jT3_P12ihipStream_tbPNSt15iterator_traitsISE_E10value_typeEPNSK_ISF_E10value_typeEPSG_NS1_7vsmem_tEENKUlT_SE_SF_SG_E_clIS8_S8_S9_S9_EESD_ST_SE_SF_SG_EUlST_E1_NS1_11comp_targetILNS1_3genE2ELNS1_11target_archE906ELNS1_3gpuE6ELNS1_3repE0EEENS1_36merge_oddeven_config_static_selectorELNS0_4arch9wavefront6targetE0EEEvSF_,"axG",@progbits,_ZN7rocprim17ROCPRIM_400000_NS6detail17trampoline_kernelINS0_14default_configENS1_38merge_sort_block_merge_config_selectorIlNS0_10empty_typeEEEZZNS1_27merge_sort_block_merge_implIS3_PlPS5_jNS1_19radix_merge_compareILb0ELb1ElNS0_19identity_decomposerEEEEE10hipError_tT0_T1_T2_jT3_P12ihipStream_tbPNSt15iterator_traitsISE_E10value_typeEPNSK_ISF_E10value_typeEPSG_NS1_7vsmem_tEENKUlT_SE_SF_SG_E_clIS8_S8_S9_S9_EESD_ST_SE_SF_SG_EUlST_E1_NS1_11comp_targetILNS1_3genE2ELNS1_11target_archE906ELNS1_3gpuE6ELNS1_3repE0EEENS1_36merge_oddeven_config_static_selectorELNS0_4arch9wavefront6targetE0EEEvSF_,comdat
.Lfunc_end1186:
	.size	_ZN7rocprim17ROCPRIM_400000_NS6detail17trampoline_kernelINS0_14default_configENS1_38merge_sort_block_merge_config_selectorIlNS0_10empty_typeEEEZZNS1_27merge_sort_block_merge_implIS3_PlPS5_jNS1_19radix_merge_compareILb0ELb1ElNS0_19identity_decomposerEEEEE10hipError_tT0_T1_T2_jT3_P12ihipStream_tbPNSt15iterator_traitsISE_E10value_typeEPNSK_ISF_E10value_typeEPSG_NS1_7vsmem_tEENKUlT_SE_SF_SG_E_clIS8_S8_S9_S9_EESD_ST_SE_SF_SG_EUlST_E1_NS1_11comp_targetILNS1_3genE2ELNS1_11target_archE906ELNS1_3gpuE6ELNS1_3repE0EEENS1_36merge_oddeven_config_static_selectorELNS0_4arch9wavefront6targetE0EEEvSF_, .Lfunc_end1186-_ZN7rocprim17ROCPRIM_400000_NS6detail17trampoline_kernelINS0_14default_configENS1_38merge_sort_block_merge_config_selectorIlNS0_10empty_typeEEEZZNS1_27merge_sort_block_merge_implIS3_PlPS5_jNS1_19radix_merge_compareILb0ELb1ElNS0_19identity_decomposerEEEEE10hipError_tT0_T1_T2_jT3_P12ihipStream_tbPNSt15iterator_traitsISE_E10value_typeEPNSK_ISF_E10value_typeEPSG_NS1_7vsmem_tEENKUlT_SE_SF_SG_E_clIS8_S8_S9_S9_EESD_ST_SE_SF_SG_EUlST_E1_NS1_11comp_targetILNS1_3genE2ELNS1_11target_archE906ELNS1_3gpuE6ELNS1_3repE0EEENS1_36merge_oddeven_config_static_selectorELNS0_4arch9wavefront6targetE0EEEvSF_
                                        ; -- End function
	.set _ZN7rocprim17ROCPRIM_400000_NS6detail17trampoline_kernelINS0_14default_configENS1_38merge_sort_block_merge_config_selectorIlNS0_10empty_typeEEEZZNS1_27merge_sort_block_merge_implIS3_PlPS5_jNS1_19radix_merge_compareILb0ELb1ElNS0_19identity_decomposerEEEEE10hipError_tT0_T1_T2_jT3_P12ihipStream_tbPNSt15iterator_traitsISE_E10value_typeEPNSK_ISF_E10value_typeEPSG_NS1_7vsmem_tEENKUlT_SE_SF_SG_E_clIS8_S8_S9_S9_EESD_ST_SE_SF_SG_EUlST_E1_NS1_11comp_targetILNS1_3genE2ELNS1_11target_archE906ELNS1_3gpuE6ELNS1_3repE0EEENS1_36merge_oddeven_config_static_selectorELNS0_4arch9wavefront6targetE0EEEvSF_.num_vgpr, 0
	.set _ZN7rocprim17ROCPRIM_400000_NS6detail17trampoline_kernelINS0_14default_configENS1_38merge_sort_block_merge_config_selectorIlNS0_10empty_typeEEEZZNS1_27merge_sort_block_merge_implIS3_PlPS5_jNS1_19radix_merge_compareILb0ELb1ElNS0_19identity_decomposerEEEEE10hipError_tT0_T1_T2_jT3_P12ihipStream_tbPNSt15iterator_traitsISE_E10value_typeEPNSK_ISF_E10value_typeEPSG_NS1_7vsmem_tEENKUlT_SE_SF_SG_E_clIS8_S8_S9_S9_EESD_ST_SE_SF_SG_EUlST_E1_NS1_11comp_targetILNS1_3genE2ELNS1_11target_archE906ELNS1_3gpuE6ELNS1_3repE0EEENS1_36merge_oddeven_config_static_selectorELNS0_4arch9wavefront6targetE0EEEvSF_.num_agpr, 0
	.set _ZN7rocprim17ROCPRIM_400000_NS6detail17trampoline_kernelINS0_14default_configENS1_38merge_sort_block_merge_config_selectorIlNS0_10empty_typeEEEZZNS1_27merge_sort_block_merge_implIS3_PlPS5_jNS1_19radix_merge_compareILb0ELb1ElNS0_19identity_decomposerEEEEE10hipError_tT0_T1_T2_jT3_P12ihipStream_tbPNSt15iterator_traitsISE_E10value_typeEPNSK_ISF_E10value_typeEPSG_NS1_7vsmem_tEENKUlT_SE_SF_SG_E_clIS8_S8_S9_S9_EESD_ST_SE_SF_SG_EUlST_E1_NS1_11comp_targetILNS1_3genE2ELNS1_11target_archE906ELNS1_3gpuE6ELNS1_3repE0EEENS1_36merge_oddeven_config_static_selectorELNS0_4arch9wavefront6targetE0EEEvSF_.numbered_sgpr, 0
	.set _ZN7rocprim17ROCPRIM_400000_NS6detail17trampoline_kernelINS0_14default_configENS1_38merge_sort_block_merge_config_selectorIlNS0_10empty_typeEEEZZNS1_27merge_sort_block_merge_implIS3_PlPS5_jNS1_19radix_merge_compareILb0ELb1ElNS0_19identity_decomposerEEEEE10hipError_tT0_T1_T2_jT3_P12ihipStream_tbPNSt15iterator_traitsISE_E10value_typeEPNSK_ISF_E10value_typeEPSG_NS1_7vsmem_tEENKUlT_SE_SF_SG_E_clIS8_S8_S9_S9_EESD_ST_SE_SF_SG_EUlST_E1_NS1_11comp_targetILNS1_3genE2ELNS1_11target_archE906ELNS1_3gpuE6ELNS1_3repE0EEENS1_36merge_oddeven_config_static_selectorELNS0_4arch9wavefront6targetE0EEEvSF_.num_named_barrier, 0
	.set _ZN7rocprim17ROCPRIM_400000_NS6detail17trampoline_kernelINS0_14default_configENS1_38merge_sort_block_merge_config_selectorIlNS0_10empty_typeEEEZZNS1_27merge_sort_block_merge_implIS3_PlPS5_jNS1_19radix_merge_compareILb0ELb1ElNS0_19identity_decomposerEEEEE10hipError_tT0_T1_T2_jT3_P12ihipStream_tbPNSt15iterator_traitsISE_E10value_typeEPNSK_ISF_E10value_typeEPSG_NS1_7vsmem_tEENKUlT_SE_SF_SG_E_clIS8_S8_S9_S9_EESD_ST_SE_SF_SG_EUlST_E1_NS1_11comp_targetILNS1_3genE2ELNS1_11target_archE906ELNS1_3gpuE6ELNS1_3repE0EEENS1_36merge_oddeven_config_static_selectorELNS0_4arch9wavefront6targetE0EEEvSF_.private_seg_size, 0
	.set _ZN7rocprim17ROCPRIM_400000_NS6detail17trampoline_kernelINS0_14default_configENS1_38merge_sort_block_merge_config_selectorIlNS0_10empty_typeEEEZZNS1_27merge_sort_block_merge_implIS3_PlPS5_jNS1_19radix_merge_compareILb0ELb1ElNS0_19identity_decomposerEEEEE10hipError_tT0_T1_T2_jT3_P12ihipStream_tbPNSt15iterator_traitsISE_E10value_typeEPNSK_ISF_E10value_typeEPSG_NS1_7vsmem_tEENKUlT_SE_SF_SG_E_clIS8_S8_S9_S9_EESD_ST_SE_SF_SG_EUlST_E1_NS1_11comp_targetILNS1_3genE2ELNS1_11target_archE906ELNS1_3gpuE6ELNS1_3repE0EEENS1_36merge_oddeven_config_static_selectorELNS0_4arch9wavefront6targetE0EEEvSF_.uses_vcc, 0
	.set _ZN7rocprim17ROCPRIM_400000_NS6detail17trampoline_kernelINS0_14default_configENS1_38merge_sort_block_merge_config_selectorIlNS0_10empty_typeEEEZZNS1_27merge_sort_block_merge_implIS3_PlPS5_jNS1_19radix_merge_compareILb0ELb1ElNS0_19identity_decomposerEEEEE10hipError_tT0_T1_T2_jT3_P12ihipStream_tbPNSt15iterator_traitsISE_E10value_typeEPNSK_ISF_E10value_typeEPSG_NS1_7vsmem_tEENKUlT_SE_SF_SG_E_clIS8_S8_S9_S9_EESD_ST_SE_SF_SG_EUlST_E1_NS1_11comp_targetILNS1_3genE2ELNS1_11target_archE906ELNS1_3gpuE6ELNS1_3repE0EEENS1_36merge_oddeven_config_static_selectorELNS0_4arch9wavefront6targetE0EEEvSF_.uses_flat_scratch, 0
	.set _ZN7rocprim17ROCPRIM_400000_NS6detail17trampoline_kernelINS0_14default_configENS1_38merge_sort_block_merge_config_selectorIlNS0_10empty_typeEEEZZNS1_27merge_sort_block_merge_implIS3_PlPS5_jNS1_19radix_merge_compareILb0ELb1ElNS0_19identity_decomposerEEEEE10hipError_tT0_T1_T2_jT3_P12ihipStream_tbPNSt15iterator_traitsISE_E10value_typeEPNSK_ISF_E10value_typeEPSG_NS1_7vsmem_tEENKUlT_SE_SF_SG_E_clIS8_S8_S9_S9_EESD_ST_SE_SF_SG_EUlST_E1_NS1_11comp_targetILNS1_3genE2ELNS1_11target_archE906ELNS1_3gpuE6ELNS1_3repE0EEENS1_36merge_oddeven_config_static_selectorELNS0_4arch9wavefront6targetE0EEEvSF_.has_dyn_sized_stack, 0
	.set _ZN7rocprim17ROCPRIM_400000_NS6detail17trampoline_kernelINS0_14default_configENS1_38merge_sort_block_merge_config_selectorIlNS0_10empty_typeEEEZZNS1_27merge_sort_block_merge_implIS3_PlPS5_jNS1_19radix_merge_compareILb0ELb1ElNS0_19identity_decomposerEEEEE10hipError_tT0_T1_T2_jT3_P12ihipStream_tbPNSt15iterator_traitsISE_E10value_typeEPNSK_ISF_E10value_typeEPSG_NS1_7vsmem_tEENKUlT_SE_SF_SG_E_clIS8_S8_S9_S9_EESD_ST_SE_SF_SG_EUlST_E1_NS1_11comp_targetILNS1_3genE2ELNS1_11target_archE906ELNS1_3gpuE6ELNS1_3repE0EEENS1_36merge_oddeven_config_static_selectorELNS0_4arch9wavefront6targetE0EEEvSF_.has_recursion, 0
	.set _ZN7rocprim17ROCPRIM_400000_NS6detail17trampoline_kernelINS0_14default_configENS1_38merge_sort_block_merge_config_selectorIlNS0_10empty_typeEEEZZNS1_27merge_sort_block_merge_implIS3_PlPS5_jNS1_19radix_merge_compareILb0ELb1ElNS0_19identity_decomposerEEEEE10hipError_tT0_T1_T2_jT3_P12ihipStream_tbPNSt15iterator_traitsISE_E10value_typeEPNSK_ISF_E10value_typeEPSG_NS1_7vsmem_tEENKUlT_SE_SF_SG_E_clIS8_S8_S9_S9_EESD_ST_SE_SF_SG_EUlST_E1_NS1_11comp_targetILNS1_3genE2ELNS1_11target_archE906ELNS1_3gpuE6ELNS1_3repE0EEENS1_36merge_oddeven_config_static_selectorELNS0_4arch9wavefront6targetE0EEEvSF_.has_indirect_call, 0
	.section	.AMDGPU.csdata,"",@progbits
; Kernel info:
; codeLenInByte = 0
; TotalNumSgprs: 0
; NumVgprs: 0
; ScratchSize: 0
; MemoryBound: 0
; FloatMode: 240
; IeeeMode: 1
; LDSByteSize: 0 bytes/workgroup (compile time only)
; SGPRBlocks: 0
; VGPRBlocks: 0
; NumSGPRsForWavesPerEU: 1
; NumVGPRsForWavesPerEU: 1
; NamedBarCnt: 0
; Occupancy: 16
; WaveLimiterHint : 0
; COMPUTE_PGM_RSRC2:SCRATCH_EN: 0
; COMPUTE_PGM_RSRC2:USER_SGPR: 2
; COMPUTE_PGM_RSRC2:TRAP_HANDLER: 0
; COMPUTE_PGM_RSRC2:TGID_X_EN: 1
; COMPUTE_PGM_RSRC2:TGID_Y_EN: 0
; COMPUTE_PGM_RSRC2:TGID_Z_EN: 0
; COMPUTE_PGM_RSRC2:TIDIG_COMP_CNT: 0
	.section	.text._ZN7rocprim17ROCPRIM_400000_NS6detail17trampoline_kernelINS0_14default_configENS1_38merge_sort_block_merge_config_selectorIlNS0_10empty_typeEEEZZNS1_27merge_sort_block_merge_implIS3_PlPS5_jNS1_19radix_merge_compareILb0ELb1ElNS0_19identity_decomposerEEEEE10hipError_tT0_T1_T2_jT3_P12ihipStream_tbPNSt15iterator_traitsISE_E10value_typeEPNSK_ISF_E10value_typeEPSG_NS1_7vsmem_tEENKUlT_SE_SF_SG_E_clIS8_S8_S9_S9_EESD_ST_SE_SF_SG_EUlST_E1_NS1_11comp_targetILNS1_3genE9ELNS1_11target_archE1100ELNS1_3gpuE3ELNS1_3repE0EEENS1_36merge_oddeven_config_static_selectorELNS0_4arch9wavefront6targetE0EEEvSF_,"axG",@progbits,_ZN7rocprim17ROCPRIM_400000_NS6detail17trampoline_kernelINS0_14default_configENS1_38merge_sort_block_merge_config_selectorIlNS0_10empty_typeEEEZZNS1_27merge_sort_block_merge_implIS3_PlPS5_jNS1_19radix_merge_compareILb0ELb1ElNS0_19identity_decomposerEEEEE10hipError_tT0_T1_T2_jT3_P12ihipStream_tbPNSt15iterator_traitsISE_E10value_typeEPNSK_ISF_E10value_typeEPSG_NS1_7vsmem_tEENKUlT_SE_SF_SG_E_clIS8_S8_S9_S9_EESD_ST_SE_SF_SG_EUlST_E1_NS1_11comp_targetILNS1_3genE9ELNS1_11target_archE1100ELNS1_3gpuE3ELNS1_3repE0EEENS1_36merge_oddeven_config_static_selectorELNS0_4arch9wavefront6targetE0EEEvSF_,comdat
	.protected	_ZN7rocprim17ROCPRIM_400000_NS6detail17trampoline_kernelINS0_14default_configENS1_38merge_sort_block_merge_config_selectorIlNS0_10empty_typeEEEZZNS1_27merge_sort_block_merge_implIS3_PlPS5_jNS1_19radix_merge_compareILb0ELb1ElNS0_19identity_decomposerEEEEE10hipError_tT0_T1_T2_jT3_P12ihipStream_tbPNSt15iterator_traitsISE_E10value_typeEPNSK_ISF_E10value_typeEPSG_NS1_7vsmem_tEENKUlT_SE_SF_SG_E_clIS8_S8_S9_S9_EESD_ST_SE_SF_SG_EUlST_E1_NS1_11comp_targetILNS1_3genE9ELNS1_11target_archE1100ELNS1_3gpuE3ELNS1_3repE0EEENS1_36merge_oddeven_config_static_selectorELNS0_4arch9wavefront6targetE0EEEvSF_ ; -- Begin function _ZN7rocprim17ROCPRIM_400000_NS6detail17trampoline_kernelINS0_14default_configENS1_38merge_sort_block_merge_config_selectorIlNS0_10empty_typeEEEZZNS1_27merge_sort_block_merge_implIS3_PlPS5_jNS1_19radix_merge_compareILb0ELb1ElNS0_19identity_decomposerEEEEE10hipError_tT0_T1_T2_jT3_P12ihipStream_tbPNSt15iterator_traitsISE_E10value_typeEPNSK_ISF_E10value_typeEPSG_NS1_7vsmem_tEENKUlT_SE_SF_SG_E_clIS8_S8_S9_S9_EESD_ST_SE_SF_SG_EUlST_E1_NS1_11comp_targetILNS1_3genE9ELNS1_11target_archE1100ELNS1_3gpuE3ELNS1_3repE0EEENS1_36merge_oddeven_config_static_selectorELNS0_4arch9wavefront6targetE0EEEvSF_
	.globl	_ZN7rocprim17ROCPRIM_400000_NS6detail17trampoline_kernelINS0_14default_configENS1_38merge_sort_block_merge_config_selectorIlNS0_10empty_typeEEEZZNS1_27merge_sort_block_merge_implIS3_PlPS5_jNS1_19radix_merge_compareILb0ELb1ElNS0_19identity_decomposerEEEEE10hipError_tT0_T1_T2_jT3_P12ihipStream_tbPNSt15iterator_traitsISE_E10value_typeEPNSK_ISF_E10value_typeEPSG_NS1_7vsmem_tEENKUlT_SE_SF_SG_E_clIS8_S8_S9_S9_EESD_ST_SE_SF_SG_EUlST_E1_NS1_11comp_targetILNS1_3genE9ELNS1_11target_archE1100ELNS1_3gpuE3ELNS1_3repE0EEENS1_36merge_oddeven_config_static_selectorELNS0_4arch9wavefront6targetE0EEEvSF_
	.p2align	8
	.type	_ZN7rocprim17ROCPRIM_400000_NS6detail17trampoline_kernelINS0_14default_configENS1_38merge_sort_block_merge_config_selectorIlNS0_10empty_typeEEEZZNS1_27merge_sort_block_merge_implIS3_PlPS5_jNS1_19radix_merge_compareILb0ELb1ElNS0_19identity_decomposerEEEEE10hipError_tT0_T1_T2_jT3_P12ihipStream_tbPNSt15iterator_traitsISE_E10value_typeEPNSK_ISF_E10value_typeEPSG_NS1_7vsmem_tEENKUlT_SE_SF_SG_E_clIS8_S8_S9_S9_EESD_ST_SE_SF_SG_EUlST_E1_NS1_11comp_targetILNS1_3genE9ELNS1_11target_archE1100ELNS1_3gpuE3ELNS1_3repE0EEENS1_36merge_oddeven_config_static_selectorELNS0_4arch9wavefront6targetE0EEEvSF_,@function
_ZN7rocprim17ROCPRIM_400000_NS6detail17trampoline_kernelINS0_14default_configENS1_38merge_sort_block_merge_config_selectorIlNS0_10empty_typeEEEZZNS1_27merge_sort_block_merge_implIS3_PlPS5_jNS1_19radix_merge_compareILb0ELb1ElNS0_19identity_decomposerEEEEE10hipError_tT0_T1_T2_jT3_P12ihipStream_tbPNSt15iterator_traitsISE_E10value_typeEPNSK_ISF_E10value_typeEPSG_NS1_7vsmem_tEENKUlT_SE_SF_SG_E_clIS8_S8_S9_S9_EESD_ST_SE_SF_SG_EUlST_E1_NS1_11comp_targetILNS1_3genE9ELNS1_11target_archE1100ELNS1_3gpuE3ELNS1_3repE0EEENS1_36merge_oddeven_config_static_selectorELNS0_4arch9wavefront6targetE0EEEvSF_: ; @_ZN7rocprim17ROCPRIM_400000_NS6detail17trampoline_kernelINS0_14default_configENS1_38merge_sort_block_merge_config_selectorIlNS0_10empty_typeEEEZZNS1_27merge_sort_block_merge_implIS3_PlPS5_jNS1_19radix_merge_compareILb0ELb1ElNS0_19identity_decomposerEEEEE10hipError_tT0_T1_T2_jT3_P12ihipStream_tbPNSt15iterator_traitsISE_E10value_typeEPNSK_ISF_E10value_typeEPSG_NS1_7vsmem_tEENKUlT_SE_SF_SG_E_clIS8_S8_S9_S9_EESD_ST_SE_SF_SG_EUlST_E1_NS1_11comp_targetILNS1_3genE9ELNS1_11target_archE1100ELNS1_3gpuE3ELNS1_3repE0EEENS1_36merge_oddeven_config_static_selectorELNS0_4arch9wavefront6targetE0EEEvSF_
; %bb.0:
	.section	.rodata,"a",@progbits
	.p2align	6, 0x0
	.amdhsa_kernel _ZN7rocprim17ROCPRIM_400000_NS6detail17trampoline_kernelINS0_14default_configENS1_38merge_sort_block_merge_config_selectorIlNS0_10empty_typeEEEZZNS1_27merge_sort_block_merge_implIS3_PlPS5_jNS1_19radix_merge_compareILb0ELb1ElNS0_19identity_decomposerEEEEE10hipError_tT0_T1_T2_jT3_P12ihipStream_tbPNSt15iterator_traitsISE_E10value_typeEPNSK_ISF_E10value_typeEPSG_NS1_7vsmem_tEENKUlT_SE_SF_SG_E_clIS8_S8_S9_S9_EESD_ST_SE_SF_SG_EUlST_E1_NS1_11comp_targetILNS1_3genE9ELNS1_11target_archE1100ELNS1_3gpuE3ELNS1_3repE0EEENS1_36merge_oddeven_config_static_selectorELNS0_4arch9wavefront6targetE0EEEvSF_
		.amdhsa_group_segment_fixed_size 0
		.amdhsa_private_segment_fixed_size 0
		.amdhsa_kernarg_size 48
		.amdhsa_user_sgpr_count 2
		.amdhsa_user_sgpr_dispatch_ptr 0
		.amdhsa_user_sgpr_queue_ptr 0
		.amdhsa_user_sgpr_kernarg_segment_ptr 1
		.amdhsa_user_sgpr_dispatch_id 0
		.amdhsa_user_sgpr_kernarg_preload_length 0
		.amdhsa_user_sgpr_kernarg_preload_offset 0
		.amdhsa_user_sgpr_private_segment_size 0
		.amdhsa_wavefront_size32 1
		.amdhsa_uses_dynamic_stack 0
		.amdhsa_enable_private_segment 0
		.amdhsa_system_sgpr_workgroup_id_x 1
		.amdhsa_system_sgpr_workgroup_id_y 0
		.amdhsa_system_sgpr_workgroup_id_z 0
		.amdhsa_system_sgpr_workgroup_info 0
		.amdhsa_system_vgpr_workitem_id 0
		.amdhsa_next_free_vgpr 1
		.amdhsa_next_free_sgpr 1
		.amdhsa_named_barrier_count 0
		.amdhsa_reserve_vcc 0
		.amdhsa_float_round_mode_32 0
		.amdhsa_float_round_mode_16_64 0
		.amdhsa_float_denorm_mode_32 3
		.amdhsa_float_denorm_mode_16_64 3
		.amdhsa_fp16_overflow 0
		.amdhsa_memory_ordered 1
		.amdhsa_forward_progress 1
		.amdhsa_inst_pref_size 0
		.amdhsa_round_robin_scheduling 0
		.amdhsa_exception_fp_ieee_invalid_op 0
		.amdhsa_exception_fp_denorm_src 0
		.amdhsa_exception_fp_ieee_div_zero 0
		.amdhsa_exception_fp_ieee_overflow 0
		.amdhsa_exception_fp_ieee_underflow 0
		.amdhsa_exception_fp_ieee_inexact 0
		.amdhsa_exception_int_div_zero 0
	.end_amdhsa_kernel
	.section	.text._ZN7rocprim17ROCPRIM_400000_NS6detail17trampoline_kernelINS0_14default_configENS1_38merge_sort_block_merge_config_selectorIlNS0_10empty_typeEEEZZNS1_27merge_sort_block_merge_implIS3_PlPS5_jNS1_19radix_merge_compareILb0ELb1ElNS0_19identity_decomposerEEEEE10hipError_tT0_T1_T2_jT3_P12ihipStream_tbPNSt15iterator_traitsISE_E10value_typeEPNSK_ISF_E10value_typeEPSG_NS1_7vsmem_tEENKUlT_SE_SF_SG_E_clIS8_S8_S9_S9_EESD_ST_SE_SF_SG_EUlST_E1_NS1_11comp_targetILNS1_3genE9ELNS1_11target_archE1100ELNS1_3gpuE3ELNS1_3repE0EEENS1_36merge_oddeven_config_static_selectorELNS0_4arch9wavefront6targetE0EEEvSF_,"axG",@progbits,_ZN7rocprim17ROCPRIM_400000_NS6detail17trampoline_kernelINS0_14default_configENS1_38merge_sort_block_merge_config_selectorIlNS0_10empty_typeEEEZZNS1_27merge_sort_block_merge_implIS3_PlPS5_jNS1_19radix_merge_compareILb0ELb1ElNS0_19identity_decomposerEEEEE10hipError_tT0_T1_T2_jT3_P12ihipStream_tbPNSt15iterator_traitsISE_E10value_typeEPNSK_ISF_E10value_typeEPSG_NS1_7vsmem_tEENKUlT_SE_SF_SG_E_clIS8_S8_S9_S9_EESD_ST_SE_SF_SG_EUlST_E1_NS1_11comp_targetILNS1_3genE9ELNS1_11target_archE1100ELNS1_3gpuE3ELNS1_3repE0EEENS1_36merge_oddeven_config_static_selectorELNS0_4arch9wavefront6targetE0EEEvSF_,comdat
.Lfunc_end1187:
	.size	_ZN7rocprim17ROCPRIM_400000_NS6detail17trampoline_kernelINS0_14default_configENS1_38merge_sort_block_merge_config_selectorIlNS0_10empty_typeEEEZZNS1_27merge_sort_block_merge_implIS3_PlPS5_jNS1_19radix_merge_compareILb0ELb1ElNS0_19identity_decomposerEEEEE10hipError_tT0_T1_T2_jT3_P12ihipStream_tbPNSt15iterator_traitsISE_E10value_typeEPNSK_ISF_E10value_typeEPSG_NS1_7vsmem_tEENKUlT_SE_SF_SG_E_clIS8_S8_S9_S9_EESD_ST_SE_SF_SG_EUlST_E1_NS1_11comp_targetILNS1_3genE9ELNS1_11target_archE1100ELNS1_3gpuE3ELNS1_3repE0EEENS1_36merge_oddeven_config_static_selectorELNS0_4arch9wavefront6targetE0EEEvSF_, .Lfunc_end1187-_ZN7rocprim17ROCPRIM_400000_NS6detail17trampoline_kernelINS0_14default_configENS1_38merge_sort_block_merge_config_selectorIlNS0_10empty_typeEEEZZNS1_27merge_sort_block_merge_implIS3_PlPS5_jNS1_19radix_merge_compareILb0ELb1ElNS0_19identity_decomposerEEEEE10hipError_tT0_T1_T2_jT3_P12ihipStream_tbPNSt15iterator_traitsISE_E10value_typeEPNSK_ISF_E10value_typeEPSG_NS1_7vsmem_tEENKUlT_SE_SF_SG_E_clIS8_S8_S9_S9_EESD_ST_SE_SF_SG_EUlST_E1_NS1_11comp_targetILNS1_3genE9ELNS1_11target_archE1100ELNS1_3gpuE3ELNS1_3repE0EEENS1_36merge_oddeven_config_static_selectorELNS0_4arch9wavefront6targetE0EEEvSF_
                                        ; -- End function
	.set _ZN7rocprim17ROCPRIM_400000_NS6detail17trampoline_kernelINS0_14default_configENS1_38merge_sort_block_merge_config_selectorIlNS0_10empty_typeEEEZZNS1_27merge_sort_block_merge_implIS3_PlPS5_jNS1_19radix_merge_compareILb0ELb1ElNS0_19identity_decomposerEEEEE10hipError_tT0_T1_T2_jT3_P12ihipStream_tbPNSt15iterator_traitsISE_E10value_typeEPNSK_ISF_E10value_typeEPSG_NS1_7vsmem_tEENKUlT_SE_SF_SG_E_clIS8_S8_S9_S9_EESD_ST_SE_SF_SG_EUlST_E1_NS1_11comp_targetILNS1_3genE9ELNS1_11target_archE1100ELNS1_3gpuE3ELNS1_3repE0EEENS1_36merge_oddeven_config_static_selectorELNS0_4arch9wavefront6targetE0EEEvSF_.num_vgpr, 0
	.set _ZN7rocprim17ROCPRIM_400000_NS6detail17trampoline_kernelINS0_14default_configENS1_38merge_sort_block_merge_config_selectorIlNS0_10empty_typeEEEZZNS1_27merge_sort_block_merge_implIS3_PlPS5_jNS1_19radix_merge_compareILb0ELb1ElNS0_19identity_decomposerEEEEE10hipError_tT0_T1_T2_jT3_P12ihipStream_tbPNSt15iterator_traitsISE_E10value_typeEPNSK_ISF_E10value_typeEPSG_NS1_7vsmem_tEENKUlT_SE_SF_SG_E_clIS8_S8_S9_S9_EESD_ST_SE_SF_SG_EUlST_E1_NS1_11comp_targetILNS1_3genE9ELNS1_11target_archE1100ELNS1_3gpuE3ELNS1_3repE0EEENS1_36merge_oddeven_config_static_selectorELNS0_4arch9wavefront6targetE0EEEvSF_.num_agpr, 0
	.set _ZN7rocprim17ROCPRIM_400000_NS6detail17trampoline_kernelINS0_14default_configENS1_38merge_sort_block_merge_config_selectorIlNS0_10empty_typeEEEZZNS1_27merge_sort_block_merge_implIS3_PlPS5_jNS1_19radix_merge_compareILb0ELb1ElNS0_19identity_decomposerEEEEE10hipError_tT0_T1_T2_jT3_P12ihipStream_tbPNSt15iterator_traitsISE_E10value_typeEPNSK_ISF_E10value_typeEPSG_NS1_7vsmem_tEENKUlT_SE_SF_SG_E_clIS8_S8_S9_S9_EESD_ST_SE_SF_SG_EUlST_E1_NS1_11comp_targetILNS1_3genE9ELNS1_11target_archE1100ELNS1_3gpuE3ELNS1_3repE0EEENS1_36merge_oddeven_config_static_selectorELNS0_4arch9wavefront6targetE0EEEvSF_.numbered_sgpr, 0
	.set _ZN7rocprim17ROCPRIM_400000_NS6detail17trampoline_kernelINS0_14default_configENS1_38merge_sort_block_merge_config_selectorIlNS0_10empty_typeEEEZZNS1_27merge_sort_block_merge_implIS3_PlPS5_jNS1_19radix_merge_compareILb0ELb1ElNS0_19identity_decomposerEEEEE10hipError_tT0_T1_T2_jT3_P12ihipStream_tbPNSt15iterator_traitsISE_E10value_typeEPNSK_ISF_E10value_typeEPSG_NS1_7vsmem_tEENKUlT_SE_SF_SG_E_clIS8_S8_S9_S9_EESD_ST_SE_SF_SG_EUlST_E1_NS1_11comp_targetILNS1_3genE9ELNS1_11target_archE1100ELNS1_3gpuE3ELNS1_3repE0EEENS1_36merge_oddeven_config_static_selectorELNS0_4arch9wavefront6targetE0EEEvSF_.num_named_barrier, 0
	.set _ZN7rocprim17ROCPRIM_400000_NS6detail17trampoline_kernelINS0_14default_configENS1_38merge_sort_block_merge_config_selectorIlNS0_10empty_typeEEEZZNS1_27merge_sort_block_merge_implIS3_PlPS5_jNS1_19radix_merge_compareILb0ELb1ElNS0_19identity_decomposerEEEEE10hipError_tT0_T1_T2_jT3_P12ihipStream_tbPNSt15iterator_traitsISE_E10value_typeEPNSK_ISF_E10value_typeEPSG_NS1_7vsmem_tEENKUlT_SE_SF_SG_E_clIS8_S8_S9_S9_EESD_ST_SE_SF_SG_EUlST_E1_NS1_11comp_targetILNS1_3genE9ELNS1_11target_archE1100ELNS1_3gpuE3ELNS1_3repE0EEENS1_36merge_oddeven_config_static_selectorELNS0_4arch9wavefront6targetE0EEEvSF_.private_seg_size, 0
	.set _ZN7rocprim17ROCPRIM_400000_NS6detail17trampoline_kernelINS0_14default_configENS1_38merge_sort_block_merge_config_selectorIlNS0_10empty_typeEEEZZNS1_27merge_sort_block_merge_implIS3_PlPS5_jNS1_19radix_merge_compareILb0ELb1ElNS0_19identity_decomposerEEEEE10hipError_tT0_T1_T2_jT3_P12ihipStream_tbPNSt15iterator_traitsISE_E10value_typeEPNSK_ISF_E10value_typeEPSG_NS1_7vsmem_tEENKUlT_SE_SF_SG_E_clIS8_S8_S9_S9_EESD_ST_SE_SF_SG_EUlST_E1_NS1_11comp_targetILNS1_3genE9ELNS1_11target_archE1100ELNS1_3gpuE3ELNS1_3repE0EEENS1_36merge_oddeven_config_static_selectorELNS0_4arch9wavefront6targetE0EEEvSF_.uses_vcc, 0
	.set _ZN7rocprim17ROCPRIM_400000_NS6detail17trampoline_kernelINS0_14default_configENS1_38merge_sort_block_merge_config_selectorIlNS0_10empty_typeEEEZZNS1_27merge_sort_block_merge_implIS3_PlPS5_jNS1_19radix_merge_compareILb0ELb1ElNS0_19identity_decomposerEEEEE10hipError_tT0_T1_T2_jT3_P12ihipStream_tbPNSt15iterator_traitsISE_E10value_typeEPNSK_ISF_E10value_typeEPSG_NS1_7vsmem_tEENKUlT_SE_SF_SG_E_clIS8_S8_S9_S9_EESD_ST_SE_SF_SG_EUlST_E1_NS1_11comp_targetILNS1_3genE9ELNS1_11target_archE1100ELNS1_3gpuE3ELNS1_3repE0EEENS1_36merge_oddeven_config_static_selectorELNS0_4arch9wavefront6targetE0EEEvSF_.uses_flat_scratch, 0
	.set _ZN7rocprim17ROCPRIM_400000_NS6detail17trampoline_kernelINS0_14default_configENS1_38merge_sort_block_merge_config_selectorIlNS0_10empty_typeEEEZZNS1_27merge_sort_block_merge_implIS3_PlPS5_jNS1_19radix_merge_compareILb0ELb1ElNS0_19identity_decomposerEEEEE10hipError_tT0_T1_T2_jT3_P12ihipStream_tbPNSt15iterator_traitsISE_E10value_typeEPNSK_ISF_E10value_typeEPSG_NS1_7vsmem_tEENKUlT_SE_SF_SG_E_clIS8_S8_S9_S9_EESD_ST_SE_SF_SG_EUlST_E1_NS1_11comp_targetILNS1_3genE9ELNS1_11target_archE1100ELNS1_3gpuE3ELNS1_3repE0EEENS1_36merge_oddeven_config_static_selectorELNS0_4arch9wavefront6targetE0EEEvSF_.has_dyn_sized_stack, 0
	.set _ZN7rocprim17ROCPRIM_400000_NS6detail17trampoline_kernelINS0_14default_configENS1_38merge_sort_block_merge_config_selectorIlNS0_10empty_typeEEEZZNS1_27merge_sort_block_merge_implIS3_PlPS5_jNS1_19radix_merge_compareILb0ELb1ElNS0_19identity_decomposerEEEEE10hipError_tT0_T1_T2_jT3_P12ihipStream_tbPNSt15iterator_traitsISE_E10value_typeEPNSK_ISF_E10value_typeEPSG_NS1_7vsmem_tEENKUlT_SE_SF_SG_E_clIS8_S8_S9_S9_EESD_ST_SE_SF_SG_EUlST_E1_NS1_11comp_targetILNS1_3genE9ELNS1_11target_archE1100ELNS1_3gpuE3ELNS1_3repE0EEENS1_36merge_oddeven_config_static_selectorELNS0_4arch9wavefront6targetE0EEEvSF_.has_recursion, 0
	.set _ZN7rocprim17ROCPRIM_400000_NS6detail17trampoline_kernelINS0_14default_configENS1_38merge_sort_block_merge_config_selectorIlNS0_10empty_typeEEEZZNS1_27merge_sort_block_merge_implIS3_PlPS5_jNS1_19radix_merge_compareILb0ELb1ElNS0_19identity_decomposerEEEEE10hipError_tT0_T1_T2_jT3_P12ihipStream_tbPNSt15iterator_traitsISE_E10value_typeEPNSK_ISF_E10value_typeEPSG_NS1_7vsmem_tEENKUlT_SE_SF_SG_E_clIS8_S8_S9_S9_EESD_ST_SE_SF_SG_EUlST_E1_NS1_11comp_targetILNS1_3genE9ELNS1_11target_archE1100ELNS1_3gpuE3ELNS1_3repE0EEENS1_36merge_oddeven_config_static_selectorELNS0_4arch9wavefront6targetE0EEEvSF_.has_indirect_call, 0
	.section	.AMDGPU.csdata,"",@progbits
; Kernel info:
; codeLenInByte = 0
; TotalNumSgprs: 0
; NumVgprs: 0
; ScratchSize: 0
; MemoryBound: 0
; FloatMode: 240
; IeeeMode: 1
; LDSByteSize: 0 bytes/workgroup (compile time only)
; SGPRBlocks: 0
; VGPRBlocks: 0
; NumSGPRsForWavesPerEU: 1
; NumVGPRsForWavesPerEU: 1
; NamedBarCnt: 0
; Occupancy: 16
; WaveLimiterHint : 0
; COMPUTE_PGM_RSRC2:SCRATCH_EN: 0
; COMPUTE_PGM_RSRC2:USER_SGPR: 2
; COMPUTE_PGM_RSRC2:TRAP_HANDLER: 0
; COMPUTE_PGM_RSRC2:TGID_X_EN: 1
; COMPUTE_PGM_RSRC2:TGID_Y_EN: 0
; COMPUTE_PGM_RSRC2:TGID_Z_EN: 0
; COMPUTE_PGM_RSRC2:TIDIG_COMP_CNT: 0
	.section	.text._ZN7rocprim17ROCPRIM_400000_NS6detail17trampoline_kernelINS0_14default_configENS1_38merge_sort_block_merge_config_selectorIlNS0_10empty_typeEEEZZNS1_27merge_sort_block_merge_implIS3_PlPS5_jNS1_19radix_merge_compareILb0ELb1ElNS0_19identity_decomposerEEEEE10hipError_tT0_T1_T2_jT3_P12ihipStream_tbPNSt15iterator_traitsISE_E10value_typeEPNSK_ISF_E10value_typeEPSG_NS1_7vsmem_tEENKUlT_SE_SF_SG_E_clIS8_S8_S9_S9_EESD_ST_SE_SF_SG_EUlST_E1_NS1_11comp_targetILNS1_3genE8ELNS1_11target_archE1030ELNS1_3gpuE2ELNS1_3repE0EEENS1_36merge_oddeven_config_static_selectorELNS0_4arch9wavefront6targetE0EEEvSF_,"axG",@progbits,_ZN7rocprim17ROCPRIM_400000_NS6detail17trampoline_kernelINS0_14default_configENS1_38merge_sort_block_merge_config_selectorIlNS0_10empty_typeEEEZZNS1_27merge_sort_block_merge_implIS3_PlPS5_jNS1_19radix_merge_compareILb0ELb1ElNS0_19identity_decomposerEEEEE10hipError_tT0_T1_T2_jT3_P12ihipStream_tbPNSt15iterator_traitsISE_E10value_typeEPNSK_ISF_E10value_typeEPSG_NS1_7vsmem_tEENKUlT_SE_SF_SG_E_clIS8_S8_S9_S9_EESD_ST_SE_SF_SG_EUlST_E1_NS1_11comp_targetILNS1_3genE8ELNS1_11target_archE1030ELNS1_3gpuE2ELNS1_3repE0EEENS1_36merge_oddeven_config_static_selectorELNS0_4arch9wavefront6targetE0EEEvSF_,comdat
	.protected	_ZN7rocprim17ROCPRIM_400000_NS6detail17trampoline_kernelINS0_14default_configENS1_38merge_sort_block_merge_config_selectorIlNS0_10empty_typeEEEZZNS1_27merge_sort_block_merge_implIS3_PlPS5_jNS1_19radix_merge_compareILb0ELb1ElNS0_19identity_decomposerEEEEE10hipError_tT0_T1_T2_jT3_P12ihipStream_tbPNSt15iterator_traitsISE_E10value_typeEPNSK_ISF_E10value_typeEPSG_NS1_7vsmem_tEENKUlT_SE_SF_SG_E_clIS8_S8_S9_S9_EESD_ST_SE_SF_SG_EUlST_E1_NS1_11comp_targetILNS1_3genE8ELNS1_11target_archE1030ELNS1_3gpuE2ELNS1_3repE0EEENS1_36merge_oddeven_config_static_selectorELNS0_4arch9wavefront6targetE0EEEvSF_ ; -- Begin function _ZN7rocprim17ROCPRIM_400000_NS6detail17trampoline_kernelINS0_14default_configENS1_38merge_sort_block_merge_config_selectorIlNS0_10empty_typeEEEZZNS1_27merge_sort_block_merge_implIS3_PlPS5_jNS1_19radix_merge_compareILb0ELb1ElNS0_19identity_decomposerEEEEE10hipError_tT0_T1_T2_jT3_P12ihipStream_tbPNSt15iterator_traitsISE_E10value_typeEPNSK_ISF_E10value_typeEPSG_NS1_7vsmem_tEENKUlT_SE_SF_SG_E_clIS8_S8_S9_S9_EESD_ST_SE_SF_SG_EUlST_E1_NS1_11comp_targetILNS1_3genE8ELNS1_11target_archE1030ELNS1_3gpuE2ELNS1_3repE0EEENS1_36merge_oddeven_config_static_selectorELNS0_4arch9wavefront6targetE0EEEvSF_
	.globl	_ZN7rocprim17ROCPRIM_400000_NS6detail17trampoline_kernelINS0_14default_configENS1_38merge_sort_block_merge_config_selectorIlNS0_10empty_typeEEEZZNS1_27merge_sort_block_merge_implIS3_PlPS5_jNS1_19radix_merge_compareILb0ELb1ElNS0_19identity_decomposerEEEEE10hipError_tT0_T1_T2_jT3_P12ihipStream_tbPNSt15iterator_traitsISE_E10value_typeEPNSK_ISF_E10value_typeEPSG_NS1_7vsmem_tEENKUlT_SE_SF_SG_E_clIS8_S8_S9_S9_EESD_ST_SE_SF_SG_EUlST_E1_NS1_11comp_targetILNS1_3genE8ELNS1_11target_archE1030ELNS1_3gpuE2ELNS1_3repE0EEENS1_36merge_oddeven_config_static_selectorELNS0_4arch9wavefront6targetE0EEEvSF_
	.p2align	8
	.type	_ZN7rocprim17ROCPRIM_400000_NS6detail17trampoline_kernelINS0_14default_configENS1_38merge_sort_block_merge_config_selectorIlNS0_10empty_typeEEEZZNS1_27merge_sort_block_merge_implIS3_PlPS5_jNS1_19radix_merge_compareILb0ELb1ElNS0_19identity_decomposerEEEEE10hipError_tT0_T1_T2_jT3_P12ihipStream_tbPNSt15iterator_traitsISE_E10value_typeEPNSK_ISF_E10value_typeEPSG_NS1_7vsmem_tEENKUlT_SE_SF_SG_E_clIS8_S8_S9_S9_EESD_ST_SE_SF_SG_EUlST_E1_NS1_11comp_targetILNS1_3genE8ELNS1_11target_archE1030ELNS1_3gpuE2ELNS1_3repE0EEENS1_36merge_oddeven_config_static_selectorELNS0_4arch9wavefront6targetE0EEEvSF_,@function
_ZN7rocprim17ROCPRIM_400000_NS6detail17trampoline_kernelINS0_14default_configENS1_38merge_sort_block_merge_config_selectorIlNS0_10empty_typeEEEZZNS1_27merge_sort_block_merge_implIS3_PlPS5_jNS1_19radix_merge_compareILb0ELb1ElNS0_19identity_decomposerEEEEE10hipError_tT0_T1_T2_jT3_P12ihipStream_tbPNSt15iterator_traitsISE_E10value_typeEPNSK_ISF_E10value_typeEPSG_NS1_7vsmem_tEENKUlT_SE_SF_SG_E_clIS8_S8_S9_S9_EESD_ST_SE_SF_SG_EUlST_E1_NS1_11comp_targetILNS1_3genE8ELNS1_11target_archE1030ELNS1_3gpuE2ELNS1_3repE0EEENS1_36merge_oddeven_config_static_selectorELNS0_4arch9wavefront6targetE0EEEvSF_: ; @_ZN7rocprim17ROCPRIM_400000_NS6detail17trampoline_kernelINS0_14default_configENS1_38merge_sort_block_merge_config_selectorIlNS0_10empty_typeEEEZZNS1_27merge_sort_block_merge_implIS3_PlPS5_jNS1_19radix_merge_compareILb0ELb1ElNS0_19identity_decomposerEEEEE10hipError_tT0_T1_T2_jT3_P12ihipStream_tbPNSt15iterator_traitsISE_E10value_typeEPNSK_ISF_E10value_typeEPSG_NS1_7vsmem_tEENKUlT_SE_SF_SG_E_clIS8_S8_S9_S9_EESD_ST_SE_SF_SG_EUlST_E1_NS1_11comp_targetILNS1_3genE8ELNS1_11target_archE1030ELNS1_3gpuE2ELNS1_3repE0EEENS1_36merge_oddeven_config_static_selectorELNS0_4arch9wavefront6targetE0EEEvSF_
; %bb.0:
	.section	.rodata,"a",@progbits
	.p2align	6, 0x0
	.amdhsa_kernel _ZN7rocprim17ROCPRIM_400000_NS6detail17trampoline_kernelINS0_14default_configENS1_38merge_sort_block_merge_config_selectorIlNS0_10empty_typeEEEZZNS1_27merge_sort_block_merge_implIS3_PlPS5_jNS1_19radix_merge_compareILb0ELb1ElNS0_19identity_decomposerEEEEE10hipError_tT0_T1_T2_jT3_P12ihipStream_tbPNSt15iterator_traitsISE_E10value_typeEPNSK_ISF_E10value_typeEPSG_NS1_7vsmem_tEENKUlT_SE_SF_SG_E_clIS8_S8_S9_S9_EESD_ST_SE_SF_SG_EUlST_E1_NS1_11comp_targetILNS1_3genE8ELNS1_11target_archE1030ELNS1_3gpuE2ELNS1_3repE0EEENS1_36merge_oddeven_config_static_selectorELNS0_4arch9wavefront6targetE0EEEvSF_
		.amdhsa_group_segment_fixed_size 0
		.amdhsa_private_segment_fixed_size 0
		.amdhsa_kernarg_size 48
		.amdhsa_user_sgpr_count 2
		.amdhsa_user_sgpr_dispatch_ptr 0
		.amdhsa_user_sgpr_queue_ptr 0
		.amdhsa_user_sgpr_kernarg_segment_ptr 1
		.amdhsa_user_sgpr_dispatch_id 0
		.amdhsa_user_sgpr_kernarg_preload_length 0
		.amdhsa_user_sgpr_kernarg_preload_offset 0
		.amdhsa_user_sgpr_private_segment_size 0
		.amdhsa_wavefront_size32 1
		.amdhsa_uses_dynamic_stack 0
		.amdhsa_enable_private_segment 0
		.amdhsa_system_sgpr_workgroup_id_x 1
		.amdhsa_system_sgpr_workgroup_id_y 0
		.amdhsa_system_sgpr_workgroup_id_z 0
		.amdhsa_system_sgpr_workgroup_info 0
		.amdhsa_system_vgpr_workitem_id 0
		.amdhsa_next_free_vgpr 1
		.amdhsa_next_free_sgpr 1
		.amdhsa_named_barrier_count 0
		.amdhsa_reserve_vcc 0
		.amdhsa_float_round_mode_32 0
		.amdhsa_float_round_mode_16_64 0
		.amdhsa_float_denorm_mode_32 3
		.amdhsa_float_denorm_mode_16_64 3
		.amdhsa_fp16_overflow 0
		.amdhsa_memory_ordered 1
		.amdhsa_forward_progress 1
		.amdhsa_inst_pref_size 0
		.amdhsa_round_robin_scheduling 0
		.amdhsa_exception_fp_ieee_invalid_op 0
		.amdhsa_exception_fp_denorm_src 0
		.amdhsa_exception_fp_ieee_div_zero 0
		.amdhsa_exception_fp_ieee_overflow 0
		.amdhsa_exception_fp_ieee_underflow 0
		.amdhsa_exception_fp_ieee_inexact 0
		.amdhsa_exception_int_div_zero 0
	.end_amdhsa_kernel
	.section	.text._ZN7rocprim17ROCPRIM_400000_NS6detail17trampoline_kernelINS0_14default_configENS1_38merge_sort_block_merge_config_selectorIlNS0_10empty_typeEEEZZNS1_27merge_sort_block_merge_implIS3_PlPS5_jNS1_19radix_merge_compareILb0ELb1ElNS0_19identity_decomposerEEEEE10hipError_tT0_T1_T2_jT3_P12ihipStream_tbPNSt15iterator_traitsISE_E10value_typeEPNSK_ISF_E10value_typeEPSG_NS1_7vsmem_tEENKUlT_SE_SF_SG_E_clIS8_S8_S9_S9_EESD_ST_SE_SF_SG_EUlST_E1_NS1_11comp_targetILNS1_3genE8ELNS1_11target_archE1030ELNS1_3gpuE2ELNS1_3repE0EEENS1_36merge_oddeven_config_static_selectorELNS0_4arch9wavefront6targetE0EEEvSF_,"axG",@progbits,_ZN7rocprim17ROCPRIM_400000_NS6detail17trampoline_kernelINS0_14default_configENS1_38merge_sort_block_merge_config_selectorIlNS0_10empty_typeEEEZZNS1_27merge_sort_block_merge_implIS3_PlPS5_jNS1_19radix_merge_compareILb0ELb1ElNS0_19identity_decomposerEEEEE10hipError_tT0_T1_T2_jT3_P12ihipStream_tbPNSt15iterator_traitsISE_E10value_typeEPNSK_ISF_E10value_typeEPSG_NS1_7vsmem_tEENKUlT_SE_SF_SG_E_clIS8_S8_S9_S9_EESD_ST_SE_SF_SG_EUlST_E1_NS1_11comp_targetILNS1_3genE8ELNS1_11target_archE1030ELNS1_3gpuE2ELNS1_3repE0EEENS1_36merge_oddeven_config_static_selectorELNS0_4arch9wavefront6targetE0EEEvSF_,comdat
.Lfunc_end1188:
	.size	_ZN7rocprim17ROCPRIM_400000_NS6detail17trampoline_kernelINS0_14default_configENS1_38merge_sort_block_merge_config_selectorIlNS0_10empty_typeEEEZZNS1_27merge_sort_block_merge_implIS3_PlPS5_jNS1_19radix_merge_compareILb0ELb1ElNS0_19identity_decomposerEEEEE10hipError_tT0_T1_T2_jT3_P12ihipStream_tbPNSt15iterator_traitsISE_E10value_typeEPNSK_ISF_E10value_typeEPSG_NS1_7vsmem_tEENKUlT_SE_SF_SG_E_clIS8_S8_S9_S9_EESD_ST_SE_SF_SG_EUlST_E1_NS1_11comp_targetILNS1_3genE8ELNS1_11target_archE1030ELNS1_3gpuE2ELNS1_3repE0EEENS1_36merge_oddeven_config_static_selectorELNS0_4arch9wavefront6targetE0EEEvSF_, .Lfunc_end1188-_ZN7rocprim17ROCPRIM_400000_NS6detail17trampoline_kernelINS0_14default_configENS1_38merge_sort_block_merge_config_selectorIlNS0_10empty_typeEEEZZNS1_27merge_sort_block_merge_implIS3_PlPS5_jNS1_19radix_merge_compareILb0ELb1ElNS0_19identity_decomposerEEEEE10hipError_tT0_T1_T2_jT3_P12ihipStream_tbPNSt15iterator_traitsISE_E10value_typeEPNSK_ISF_E10value_typeEPSG_NS1_7vsmem_tEENKUlT_SE_SF_SG_E_clIS8_S8_S9_S9_EESD_ST_SE_SF_SG_EUlST_E1_NS1_11comp_targetILNS1_3genE8ELNS1_11target_archE1030ELNS1_3gpuE2ELNS1_3repE0EEENS1_36merge_oddeven_config_static_selectorELNS0_4arch9wavefront6targetE0EEEvSF_
                                        ; -- End function
	.set _ZN7rocprim17ROCPRIM_400000_NS6detail17trampoline_kernelINS0_14default_configENS1_38merge_sort_block_merge_config_selectorIlNS0_10empty_typeEEEZZNS1_27merge_sort_block_merge_implIS3_PlPS5_jNS1_19radix_merge_compareILb0ELb1ElNS0_19identity_decomposerEEEEE10hipError_tT0_T1_T2_jT3_P12ihipStream_tbPNSt15iterator_traitsISE_E10value_typeEPNSK_ISF_E10value_typeEPSG_NS1_7vsmem_tEENKUlT_SE_SF_SG_E_clIS8_S8_S9_S9_EESD_ST_SE_SF_SG_EUlST_E1_NS1_11comp_targetILNS1_3genE8ELNS1_11target_archE1030ELNS1_3gpuE2ELNS1_3repE0EEENS1_36merge_oddeven_config_static_selectorELNS0_4arch9wavefront6targetE0EEEvSF_.num_vgpr, 0
	.set _ZN7rocprim17ROCPRIM_400000_NS6detail17trampoline_kernelINS0_14default_configENS1_38merge_sort_block_merge_config_selectorIlNS0_10empty_typeEEEZZNS1_27merge_sort_block_merge_implIS3_PlPS5_jNS1_19radix_merge_compareILb0ELb1ElNS0_19identity_decomposerEEEEE10hipError_tT0_T1_T2_jT3_P12ihipStream_tbPNSt15iterator_traitsISE_E10value_typeEPNSK_ISF_E10value_typeEPSG_NS1_7vsmem_tEENKUlT_SE_SF_SG_E_clIS8_S8_S9_S9_EESD_ST_SE_SF_SG_EUlST_E1_NS1_11comp_targetILNS1_3genE8ELNS1_11target_archE1030ELNS1_3gpuE2ELNS1_3repE0EEENS1_36merge_oddeven_config_static_selectorELNS0_4arch9wavefront6targetE0EEEvSF_.num_agpr, 0
	.set _ZN7rocprim17ROCPRIM_400000_NS6detail17trampoline_kernelINS0_14default_configENS1_38merge_sort_block_merge_config_selectorIlNS0_10empty_typeEEEZZNS1_27merge_sort_block_merge_implIS3_PlPS5_jNS1_19radix_merge_compareILb0ELb1ElNS0_19identity_decomposerEEEEE10hipError_tT0_T1_T2_jT3_P12ihipStream_tbPNSt15iterator_traitsISE_E10value_typeEPNSK_ISF_E10value_typeEPSG_NS1_7vsmem_tEENKUlT_SE_SF_SG_E_clIS8_S8_S9_S9_EESD_ST_SE_SF_SG_EUlST_E1_NS1_11comp_targetILNS1_3genE8ELNS1_11target_archE1030ELNS1_3gpuE2ELNS1_3repE0EEENS1_36merge_oddeven_config_static_selectorELNS0_4arch9wavefront6targetE0EEEvSF_.numbered_sgpr, 0
	.set _ZN7rocprim17ROCPRIM_400000_NS6detail17trampoline_kernelINS0_14default_configENS1_38merge_sort_block_merge_config_selectorIlNS0_10empty_typeEEEZZNS1_27merge_sort_block_merge_implIS3_PlPS5_jNS1_19radix_merge_compareILb0ELb1ElNS0_19identity_decomposerEEEEE10hipError_tT0_T1_T2_jT3_P12ihipStream_tbPNSt15iterator_traitsISE_E10value_typeEPNSK_ISF_E10value_typeEPSG_NS1_7vsmem_tEENKUlT_SE_SF_SG_E_clIS8_S8_S9_S9_EESD_ST_SE_SF_SG_EUlST_E1_NS1_11comp_targetILNS1_3genE8ELNS1_11target_archE1030ELNS1_3gpuE2ELNS1_3repE0EEENS1_36merge_oddeven_config_static_selectorELNS0_4arch9wavefront6targetE0EEEvSF_.num_named_barrier, 0
	.set _ZN7rocprim17ROCPRIM_400000_NS6detail17trampoline_kernelINS0_14default_configENS1_38merge_sort_block_merge_config_selectorIlNS0_10empty_typeEEEZZNS1_27merge_sort_block_merge_implIS3_PlPS5_jNS1_19radix_merge_compareILb0ELb1ElNS0_19identity_decomposerEEEEE10hipError_tT0_T1_T2_jT3_P12ihipStream_tbPNSt15iterator_traitsISE_E10value_typeEPNSK_ISF_E10value_typeEPSG_NS1_7vsmem_tEENKUlT_SE_SF_SG_E_clIS8_S8_S9_S9_EESD_ST_SE_SF_SG_EUlST_E1_NS1_11comp_targetILNS1_3genE8ELNS1_11target_archE1030ELNS1_3gpuE2ELNS1_3repE0EEENS1_36merge_oddeven_config_static_selectorELNS0_4arch9wavefront6targetE0EEEvSF_.private_seg_size, 0
	.set _ZN7rocprim17ROCPRIM_400000_NS6detail17trampoline_kernelINS0_14default_configENS1_38merge_sort_block_merge_config_selectorIlNS0_10empty_typeEEEZZNS1_27merge_sort_block_merge_implIS3_PlPS5_jNS1_19radix_merge_compareILb0ELb1ElNS0_19identity_decomposerEEEEE10hipError_tT0_T1_T2_jT3_P12ihipStream_tbPNSt15iterator_traitsISE_E10value_typeEPNSK_ISF_E10value_typeEPSG_NS1_7vsmem_tEENKUlT_SE_SF_SG_E_clIS8_S8_S9_S9_EESD_ST_SE_SF_SG_EUlST_E1_NS1_11comp_targetILNS1_3genE8ELNS1_11target_archE1030ELNS1_3gpuE2ELNS1_3repE0EEENS1_36merge_oddeven_config_static_selectorELNS0_4arch9wavefront6targetE0EEEvSF_.uses_vcc, 0
	.set _ZN7rocprim17ROCPRIM_400000_NS6detail17trampoline_kernelINS0_14default_configENS1_38merge_sort_block_merge_config_selectorIlNS0_10empty_typeEEEZZNS1_27merge_sort_block_merge_implIS3_PlPS5_jNS1_19radix_merge_compareILb0ELb1ElNS0_19identity_decomposerEEEEE10hipError_tT0_T1_T2_jT3_P12ihipStream_tbPNSt15iterator_traitsISE_E10value_typeEPNSK_ISF_E10value_typeEPSG_NS1_7vsmem_tEENKUlT_SE_SF_SG_E_clIS8_S8_S9_S9_EESD_ST_SE_SF_SG_EUlST_E1_NS1_11comp_targetILNS1_3genE8ELNS1_11target_archE1030ELNS1_3gpuE2ELNS1_3repE0EEENS1_36merge_oddeven_config_static_selectorELNS0_4arch9wavefront6targetE0EEEvSF_.uses_flat_scratch, 0
	.set _ZN7rocprim17ROCPRIM_400000_NS6detail17trampoline_kernelINS0_14default_configENS1_38merge_sort_block_merge_config_selectorIlNS0_10empty_typeEEEZZNS1_27merge_sort_block_merge_implIS3_PlPS5_jNS1_19radix_merge_compareILb0ELb1ElNS0_19identity_decomposerEEEEE10hipError_tT0_T1_T2_jT3_P12ihipStream_tbPNSt15iterator_traitsISE_E10value_typeEPNSK_ISF_E10value_typeEPSG_NS1_7vsmem_tEENKUlT_SE_SF_SG_E_clIS8_S8_S9_S9_EESD_ST_SE_SF_SG_EUlST_E1_NS1_11comp_targetILNS1_3genE8ELNS1_11target_archE1030ELNS1_3gpuE2ELNS1_3repE0EEENS1_36merge_oddeven_config_static_selectorELNS0_4arch9wavefront6targetE0EEEvSF_.has_dyn_sized_stack, 0
	.set _ZN7rocprim17ROCPRIM_400000_NS6detail17trampoline_kernelINS0_14default_configENS1_38merge_sort_block_merge_config_selectorIlNS0_10empty_typeEEEZZNS1_27merge_sort_block_merge_implIS3_PlPS5_jNS1_19radix_merge_compareILb0ELb1ElNS0_19identity_decomposerEEEEE10hipError_tT0_T1_T2_jT3_P12ihipStream_tbPNSt15iterator_traitsISE_E10value_typeEPNSK_ISF_E10value_typeEPSG_NS1_7vsmem_tEENKUlT_SE_SF_SG_E_clIS8_S8_S9_S9_EESD_ST_SE_SF_SG_EUlST_E1_NS1_11comp_targetILNS1_3genE8ELNS1_11target_archE1030ELNS1_3gpuE2ELNS1_3repE0EEENS1_36merge_oddeven_config_static_selectorELNS0_4arch9wavefront6targetE0EEEvSF_.has_recursion, 0
	.set _ZN7rocprim17ROCPRIM_400000_NS6detail17trampoline_kernelINS0_14default_configENS1_38merge_sort_block_merge_config_selectorIlNS0_10empty_typeEEEZZNS1_27merge_sort_block_merge_implIS3_PlPS5_jNS1_19radix_merge_compareILb0ELb1ElNS0_19identity_decomposerEEEEE10hipError_tT0_T1_T2_jT3_P12ihipStream_tbPNSt15iterator_traitsISE_E10value_typeEPNSK_ISF_E10value_typeEPSG_NS1_7vsmem_tEENKUlT_SE_SF_SG_E_clIS8_S8_S9_S9_EESD_ST_SE_SF_SG_EUlST_E1_NS1_11comp_targetILNS1_3genE8ELNS1_11target_archE1030ELNS1_3gpuE2ELNS1_3repE0EEENS1_36merge_oddeven_config_static_selectorELNS0_4arch9wavefront6targetE0EEEvSF_.has_indirect_call, 0
	.section	.AMDGPU.csdata,"",@progbits
; Kernel info:
; codeLenInByte = 0
; TotalNumSgprs: 0
; NumVgprs: 0
; ScratchSize: 0
; MemoryBound: 0
; FloatMode: 240
; IeeeMode: 1
; LDSByteSize: 0 bytes/workgroup (compile time only)
; SGPRBlocks: 0
; VGPRBlocks: 0
; NumSGPRsForWavesPerEU: 1
; NumVGPRsForWavesPerEU: 1
; NamedBarCnt: 0
; Occupancy: 16
; WaveLimiterHint : 0
; COMPUTE_PGM_RSRC2:SCRATCH_EN: 0
; COMPUTE_PGM_RSRC2:USER_SGPR: 2
; COMPUTE_PGM_RSRC2:TRAP_HANDLER: 0
; COMPUTE_PGM_RSRC2:TGID_X_EN: 1
; COMPUTE_PGM_RSRC2:TGID_Y_EN: 0
; COMPUTE_PGM_RSRC2:TGID_Z_EN: 0
; COMPUTE_PGM_RSRC2:TIDIG_COMP_CNT: 0
	.section	.text._ZN7rocprim17ROCPRIM_400000_NS6detail17trampoline_kernelINS0_14default_configENS1_35radix_sort_onesweep_config_selectorIlNS0_10empty_typeEEEZNS1_34radix_sort_onesweep_global_offsetsIS3_Lb0EPKlPS5_mNS0_19identity_decomposerEEE10hipError_tT1_T2_PT3_SF_jT4_jjP12ihipStream_tbEUlT_E_NS1_11comp_targetILNS1_3genE0ELNS1_11target_archE4294967295ELNS1_3gpuE0ELNS1_3repE0EEENS1_52radix_sort_onesweep_histogram_config_static_selectorELNS0_4arch9wavefront6targetE0EEEvSD_,"axG",@progbits,_ZN7rocprim17ROCPRIM_400000_NS6detail17trampoline_kernelINS0_14default_configENS1_35radix_sort_onesweep_config_selectorIlNS0_10empty_typeEEEZNS1_34radix_sort_onesweep_global_offsetsIS3_Lb0EPKlPS5_mNS0_19identity_decomposerEEE10hipError_tT1_T2_PT3_SF_jT4_jjP12ihipStream_tbEUlT_E_NS1_11comp_targetILNS1_3genE0ELNS1_11target_archE4294967295ELNS1_3gpuE0ELNS1_3repE0EEENS1_52radix_sort_onesweep_histogram_config_static_selectorELNS0_4arch9wavefront6targetE0EEEvSD_,comdat
	.protected	_ZN7rocprim17ROCPRIM_400000_NS6detail17trampoline_kernelINS0_14default_configENS1_35radix_sort_onesweep_config_selectorIlNS0_10empty_typeEEEZNS1_34radix_sort_onesweep_global_offsetsIS3_Lb0EPKlPS5_mNS0_19identity_decomposerEEE10hipError_tT1_T2_PT3_SF_jT4_jjP12ihipStream_tbEUlT_E_NS1_11comp_targetILNS1_3genE0ELNS1_11target_archE4294967295ELNS1_3gpuE0ELNS1_3repE0EEENS1_52radix_sort_onesweep_histogram_config_static_selectorELNS0_4arch9wavefront6targetE0EEEvSD_ ; -- Begin function _ZN7rocprim17ROCPRIM_400000_NS6detail17trampoline_kernelINS0_14default_configENS1_35radix_sort_onesweep_config_selectorIlNS0_10empty_typeEEEZNS1_34radix_sort_onesweep_global_offsetsIS3_Lb0EPKlPS5_mNS0_19identity_decomposerEEE10hipError_tT1_T2_PT3_SF_jT4_jjP12ihipStream_tbEUlT_E_NS1_11comp_targetILNS1_3genE0ELNS1_11target_archE4294967295ELNS1_3gpuE0ELNS1_3repE0EEENS1_52radix_sort_onesweep_histogram_config_static_selectorELNS0_4arch9wavefront6targetE0EEEvSD_
	.globl	_ZN7rocprim17ROCPRIM_400000_NS6detail17trampoline_kernelINS0_14default_configENS1_35radix_sort_onesweep_config_selectorIlNS0_10empty_typeEEEZNS1_34radix_sort_onesweep_global_offsetsIS3_Lb0EPKlPS5_mNS0_19identity_decomposerEEE10hipError_tT1_T2_PT3_SF_jT4_jjP12ihipStream_tbEUlT_E_NS1_11comp_targetILNS1_3genE0ELNS1_11target_archE4294967295ELNS1_3gpuE0ELNS1_3repE0EEENS1_52radix_sort_onesweep_histogram_config_static_selectorELNS0_4arch9wavefront6targetE0EEEvSD_
	.p2align	8
	.type	_ZN7rocprim17ROCPRIM_400000_NS6detail17trampoline_kernelINS0_14default_configENS1_35radix_sort_onesweep_config_selectorIlNS0_10empty_typeEEEZNS1_34radix_sort_onesweep_global_offsetsIS3_Lb0EPKlPS5_mNS0_19identity_decomposerEEE10hipError_tT1_T2_PT3_SF_jT4_jjP12ihipStream_tbEUlT_E_NS1_11comp_targetILNS1_3genE0ELNS1_11target_archE4294967295ELNS1_3gpuE0ELNS1_3repE0EEENS1_52radix_sort_onesweep_histogram_config_static_selectorELNS0_4arch9wavefront6targetE0EEEvSD_,@function
_ZN7rocprim17ROCPRIM_400000_NS6detail17trampoline_kernelINS0_14default_configENS1_35radix_sort_onesweep_config_selectorIlNS0_10empty_typeEEEZNS1_34radix_sort_onesweep_global_offsetsIS3_Lb0EPKlPS5_mNS0_19identity_decomposerEEE10hipError_tT1_T2_PT3_SF_jT4_jjP12ihipStream_tbEUlT_E_NS1_11comp_targetILNS1_3genE0ELNS1_11target_archE4294967295ELNS1_3gpuE0ELNS1_3repE0EEENS1_52radix_sort_onesweep_histogram_config_static_selectorELNS0_4arch9wavefront6targetE0EEEvSD_: ; @_ZN7rocprim17ROCPRIM_400000_NS6detail17trampoline_kernelINS0_14default_configENS1_35radix_sort_onesweep_config_selectorIlNS0_10empty_typeEEEZNS1_34radix_sort_onesweep_global_offsetsIS3_Lb0EPKlPS5_mNS0_19identity_decomposerEEE10hipError_tT1_T2_PT3_SF_jT4_jjP12ihipStream_tbEUlT_E_NS1_11comp_targetILNS1_3genE0ELNS1_11target_archE4294967295ELNS1_3gpuE0ELNS1_3repE0EEENS1_52radix_sort_onesweep_histogram_config_static_selectorELNS0_4arch9wavefront6targetE0EEEvSD_
; %bb.0:
	s_clause 0x1
	s_load_b64 s[8:9], s[0:1], 0x18
	s_load_b128 s[4:7], s[0:1], 0x0
	s_bfe_u32 s10, ttmp6, 0x4000c
	s_load_b64 s[2:3], s[0:1], 0x24
	s_add_co_i32 s10, s10, 1
	s_and_b32 s11, ttmp6, 15
	s_mul_i32 s10, ttmp9, s10
	s_getreg_b32 s12, hwreg(HW_REG_IB_STS2, 6, 4)
	s_add_co_i32 s10, s11, s10
	s_cmp_eq_u32 s12, 0
	s_mov_b32 s11, 0
	s_cselect_b32 s10, ttmp9, s10
	s_wait_kmcnt 0x0
	v_cmp_le_u64_e64 s9, s[8:9], s[10:11]
	s_lshl_b64 s[10:11], s[10:11], 15
	s_delay_alu instid0(SALU_CYCLE_1)
	s_add_nc_u64 s[4:5], s[4:5], s[10:11]
	s_and_b32 vcc_lo, exec_lo, s9
	s_mov_b32 s9, -1
	s_cbranch_vccz .LBB1189_321
; %bb.1:
	s_load_b32 s0, s[0:1], 0x10
	s_wait_xcnt 0x0
	s_lshl_b32 s1, s8, 12
                                        ; implicit-def: $vgpr16_vgpr17
	s_wait_kmcnt 0x0
	s_sub_co_i32 s1, s0, s1
	s_mov_b32 s0, exec_lo
	v_cmpx_gt_u32_e64 s1, v0
	s_cbranch_execz .LBB1189_3
; %bb.2:
	global_load_b64 v[16:17], v0, s[4:5] scale_offset
	s_wait_loadcnt 0x0
	v_xor_b32_e32 v17, 0x80000000, v17
.LBB1189_3:
	s_or_b32 exec_lo, exec_lo, s0
	v_or_b32_e32 v24, 0x200, v0
	s_mov_b32 s0, exec_lo
                                        ; implicit-def: $vgpr14_vgpr15
	s_delay_alu instid0(VALU_DEP_1)
	v_cmpx_gt_u32_e64 s1, v24
	s_cbranch_execz .LBB1189_5
; %bb.4:
	global_load_b64 v[14:15], v0, s[4:5] offset:4096 scale_offset
	s_wait_loadcnt 0x0
	v_xor_b32_e32 v15, 0x80000000, v15
.LBB1189_5:
	s_or_b32 exec_lo, exec_lo, s0
	v_or_b32_e32 v23, 0x400, v0
	s_mov_b32 s0, exec_lo
                                        ; implicit-def: $vgpr12_vgpr13
	s_delay_alu instid0(VALU_DEP_1)
	v_cmpx_gt_u32_e64 s1, v23
	s_cbranch_execz .LBB1189_7
; %bb.6:
	global_load_b64 v[12:13], v0, s[4:5] offset:8192 scale_offset
	s_wait_loadcnt 0x0
	v_xor_b32_e32 v13, 0x80000000, v13
.LBB1189_7:
	s_or_b32 exec_lo, exec_lo, s0
	v_or_b32_e32 v22, 0x600, v0
	s_mov_b32 s0, exec_lo
                                        ; implicit-def: $vgpr10_vgpr11
	s_delay_alu instid0(VALU_DEP_1)
	v_cmpx_gt_u32_e64 s1, v22
	s_cbranch_execz .LBB1189_9
; %bb.8:
	global_load_b64 v[10:11], v0, s[4:5] offset:12288 scale_offset
	s_wait_loadcnt 0x0
	v_xor_b32_e32 v11, 0x80000000, v11
.LBB1189_9:
	s_or_b32 exec_lo, exec_lo, s0
	v_or_b32_e32 v21, 0x800, v0
	s_mov_b32 s0, exec_lo
                                        ; implicit-def: $vgpr8_vgpr9
	s_delay_alu instid0(VALU_DEP_1)
	v_cmpx_gt_u32_e64 s1, v21
	s_cbranch_execz .LBB1189_11
; %bb.10:
	global_load_b64 v[8:9], v0, s[4:5] offset:16384 scale_offset
	s_wait_loadcnt 0x0
	v_xor_b32_e32 v9, 0x80000000, v9
.LBB1189_11:
	s_or_b32 exec_lo, exec_lo, s0
	v_or_b32_e32 v20, 0xa00, v0
	s_mov_b32 s0, exec_lo
                                        ; implicit-def: $vgpr6_vgpr7
	s_delay_alu instid0(VALU_DEP_1)
	v_cmpx_gt_u32_e64 s1, v20
	s_cbranch_execz .LBB1189_13
; %bb.12:
	global_load_b64 v[6:7], v0, s[4:5] offset:20480 scale_offset
	s_wait_loadcnt 0x0
	v_xor_b32_e32 v7, 0x80000000, v7
.LBB1189_13:
	s_or_b32 exec_lo, exec_lo, s0
	v_or_b32_e32 v19, 0xc00, v0
	s_mov_b32 s0, exec_lo
                                        ; implicit-def: $vgpr4_vgpr5
	s_delay_alu instid0(VALU_DEP_1)
	v_cmpx_gt_u32_e64 s1, v19
	s_cbranch_execz .LBB1189_15
; %bb.14:
	global_load_b64 v[4:5], v0, s[4:5] offset:24576 scale_offset
	s_wait_loadcnt 0x0
	v_xor_b32_e32 v5, 0x80000000, v5
.LBB1189_15:
	s_or_b32 exec_lo, exec_lo, s0
	v_or_b32_e32 v18, 0xe00, v0
	s_mov_b32 s0, exec_lo
                                        ; implicit-def: $vgpr2_vgpr3
	s_delay_alu instid0(VALU_DEP_1)
	v_cmpx_gt_u32_e64 s1, v18
	s_cbranch_execz .LBB1189_17
; %bb.16:
	global_load_b64 v[2:3], v0, s[4:5] offset:28672 scale_offset
	s_wait_loadcnt 0x0
	v_xor_b32_e32 v3, 0x80000000, v3
.LBB1189_17:
	s_or_b32 exec_lo, exec_lo, s0
	v_or_b32_e32 v1, 0xfffffe00, v0
	v_dual_mov_b32 v26, 0 :: v_dual_lshlrev_b32 v25, 2, v0
	s_mov_b32 s0, 0
.LBB1189_18:                            ; =>This Inner Loop Header: Depth=1
	s_delay_alu instid0(VALU_DEP_2) | instskip(SKIP_4) | instid1(SALU_CYCLE_1)
	v_add_nc_u32_e32 v1, 0x200, v1
	ds_store_b32 v25, v26
	v_add_nc_u32_e32 v25, 0x800, v25
	v_cmp_lt_u32_e32 vcc_lo, 0x1dff, v1
	s_or_b32 s0, vcc_lo, s0
	s_and_not1_b32 exec_lo, exec_lo, s0
	s_cbranch_execnz .LBB1189_18
; %bb.19:
	s_or_b32 exec_lo, exec_lo, s0
	s_cmp_le_u32 s3, s2
	v_cmp_le_u32_e32 vcc_lo, s1, v0
	s_cselect_b32 s8, -1, 0
	s_wait_dscnt 0x0
	s_and_b32 s0, s8, exec_lo
	s_cselect_b32 s9, 8, 10
	s_delay_alu instid0(SALU_CYCLE_1)
	v_dual_mov_b32 v25, s9 :: v_dual_bitop2_b32 v1, 3, v0 bitop3:0x40
	s_nor_b32 s10, s8, vcc_lo
	s_barrier_signal -1
	s_barrier_wait -1
	s_and_saveexec_b32 s0, s10
	s_cbranch_execz .LBB1189_21
; %bb.20:
	v_lshrrev_b64 v[26:27], s2, v[16:17]
	s_sub_co_i32 s10, s3, s2
	v_lshlrev_b32_e32 v25, 2, v1
	s_min_u32 s10, s10, 8
	s_delay_alu instid0(VALU_DEP_2) | instid1(SALU_CYCLE_1)
	v_bfe_u32 v26, v26, 0, s10
	s_delay_alu instid0(VALU_DEP_1)
	v_lshl_or_b32 v25, v26, 4, v25
	v_mov_b32_e32 v26, 1
	ds_add_u32 v25, v26
	v_mov_b32_e32 v25, 0
.LBB1189_21:
	s_or_b32 exec_lo, exec_lo, s0
	s_mov_b32 s11, -1
	s_mov_b32 s10, exec_lo
	s_delay_alu instid0(VALU_DEP_1)
	v_cmpx_gt_i32_e32 10, v25
; %bb.22:
	v_cmp_eq_u32_e64 s0, 0, v25
	s_or_not1_b32 s11, s0, exec_lo
; %bb.23:
	s_or_b32 exec_lo, exec_lo, s10
	s_and_saveexec_b32 s10, s11
	s_cbranch_execz .LBB1189_56
; %bb.24:
	s_add_co_i32 s11, s2, 8
	s_delay_alu instid0(SALU_CYCLE_1) | instskip(SKIP_1) | instid1(SALU_CYCLE_1)
	s_cmp_le_u32 s3, s11
	s_cselect_b32 s0, -1, 0
	s_and_b32 s12, s0, exec_lo
	s_cselect_b32 s12, 8, 10
	s_delay_alu instid0(SALU_CYCLE_1) | instskip(SKIP_1) | instid1(SALU_CYCLE_1)
	v_mov_b32_e32 v25, s12
	s_nor_b32 s12, s0, vcc_lo
	s_and_saveexec_b32 s0, s12
	s_cbranch_execz .LBB1189_26
; %bb.25:
	v_lshrrev_b64 v[26:27], s11, v[16:17]
	s_sub_co_i32 s11, s3, s11
	v_lshlrev_b32_e32 v25, 2, v1
	s_min_u32 s11, s11, 8
	s_delay_alu instid0(VALU_DEP_2) | instid1(SALU_CYCLE_1)
	v_bfe_u32 v26, v26, 0, s11
	s_delay_alu instid0(VALU_DEP_1)
	v_lshl_or_b32 v25, v26, 4, v25
	v_mov_b32_e32 v26, 1
	ds_add_u32 v25, v26 offset:4096
	v_mov_b32_e32 v25, 0
.LBB1189_26:
	s_or_b32 exec_lo, exec_lo, s0
	s_mov_b32 s11, -1
	s_mov_b32 s12, exec_lo
	s_delay_alu instid0(VALU_DEP_1)
	v_cmpx_gt_i32_e32 10, v25
; %bb.27:
	v_cmp_eq_u32_e64 s0, 0, v25
	s_or_not1_b32 s11, s0, exec_lo
; %bb.28:
	s_or_b32 exec_lo, exec_lo, s12
	s_delay_alu instid0(SALU_CYCLE_1)
	s_and_b32 exec_lo, exec_lo, s11
	s_cbranch_execz .LBB1189_56
; %bb.29:
	s_add_co_i32 s11, s2, 16
	s_delay_alu instid0(SALU_CYCLE_1) | instskip(SKIP_1) | instid1(SALU_CYCLE_1)
	s_cmp_le_u32 s3, s11
	s_cselect_b32 s0, -1, 0
	s_and_b32 s12, s0, exec_lo
	s_cselect_b32 s12, 8, 10
	s_delay_alu instid0(SALU_CYCLE_1) | instskip(SKIP_1) | instid1(SALU_CYCLE_1)
	v_mov_b32_e32 v25, s12
	s_nor_b32 s12, s0, vcc_lo
	s_and_saveexec_b32 s0, s12
	s_cbranch_execz .LBB1189_31
; %bb.30:
	v_lshrrev_b64 v[26:27], s11, v[16:17]
	s_sub_co_i32 s11, s3, s11
	v_lshlrev_b32_e32 v25, 2, v1
	s_min_u32 s11, s11, 8
	s_delay_alu instid0(VALU_DEP_2) | instid1(SALU_CYCLE_1)
	v_bfe_u32 v26, v26, 0, s11
	s_delay_alu instid0(VALU_DEP_1)
	v_lshl_or_b32 v25, v26, 4, v25
	v_mov_b32_e32 v26, 1
	ds_add_u32 v25, v26 offset:8192
	v_mov_b32_e32 v25, 0
.LBB1189_31:
	s_or_b32 exec_lo, exec_lo, s0
	s_mov_b32 s11, -1
	s_mov_b32 s12, exec_lo
	s_delay_alu instid0(VALU_DEP_1)
	v_cmpx_gt_i32_e32 10, v25
; %bb.32:
	v_cmp_eq_u32_e64 s0, 0, v25
	s_or_not1_b32 s11, s0, exec_lo
; %bb.33:
	s_or_b32 exec_lo, exec_lo, s12
	s_delay_alu instid0(SALU_CYCLE_1)
	s_and_b32 exec_lo, exec_lo, s11
	;; [unrolled: 38-line block ×6, first 2 shown]
	s_cbranch_execz .LBB1189_56
; %bb.54:
	s_add_co_i32 s0, s2, 56
	s_delay_alu instid0(SALU_CYCLE_1) | instskip(SKIP_2) | instid1(SALU_CYCLE_1)
	s_cmp_gt_u32 s3, s0
	s_cselect_b32 s11, -1, 0
	s_xor_b32 s12, vcc_lo, -1
	s_and_b32 s11, s11, s12
	s_delay_alu instid0(SALU_CYCLE_1)
	s_and_b32 exec_lo, exec_lo, s11
	s_cbranch_execz .LBB1189_56
; %bb.55:
	v_lshrrev_b64 v[16:17], s0, v[16:17]
	s_sub_co_i32 s0, s3, s0
	v_lshlrev_b32_e32 v17, 2, v1
	s_min_u32 s0, s0, 8
	s_delay_alu instid0(VALU_DEP_2) | instid1(SALU_CYCLE_1)
	v_bfe_u32 v16, v16, 0, s0
	s_delay_alu instid0(VALU_DEP_1)
	v_lshl_or_b32 v16, v16, 4, v17
	v_mov_b32_e32 v17, 1
	ds_add_u32 v16, v17 offset:28672
.LBB1189_56:
	s_or_b32 exec_lo, exec_lo, s10
	v_cmp_le_u32_e32 vcc_lo, s1, v24
	v_mov_b32_e32 v16, s9
	s_nor_b32 s10, s8, vcc_lo
	s_delay_alu instid0(SALU_CYCLE_1)
	s_and_saveexec_b32 s0, s10
	s_cbranch_execz .LBB1189_58
; %bb.57:
	v_lshrrev_b64 v[16:17], s2, v[14:15]
	s_sub_co_i32 s10, s3, s2
	v_lshlrev_b32_e32 v17, 2, v1
	s_min_u32 s10, s10, 8
	s_delay_alu instid0(VALU_DEP_2) | instid1(SALU_CYCLE_1)
	v_bfe_u32 v16, v16, 0, s10
	s_delay_alu instid0(VALU_DEP_1)
	v_lshl_or_b32 v16, v16, 4, v17
	v_mov_b32_e32 v17, 1
	ds_add_u32 v16, v17
	v_mov_b32_e32 v16, 0
.LBB1189_58:
	s_or_b32 exec_lo, exec_lo, s0
	s_mov_b32 s11, -1
	s_mov_b32 s10, exec_lo
	s_delay_alu instid0(VALU_DEP_1)
	v_cmpx_gt_i32_e32 10, v16
; %bb.59:
	v_cmp_eq_u32_e64 s0, 0, v16
	s_or_not1_b32 s11, s0, exec_lo
; %bb.60:
	s_or_b32 exec_lo, exec_lo, s10
	s_and_saveexec_b32 s10, s11
	s_cbranch_execz .LBB1189_93
; %bb.61:
	s_add_co_i32 s11, s2, 8
	s_delay_alu instid0(SALU_CYCLE_1) | instskip(SKIP_1) | instid1(SALU_CYCLE_1)
	s_cmp_le_u32 s3, s11
	s_cselect_b32 s0, -1, 0
	s_and_b32 s12, s0, exec_lo
	s_cselect_b32 s12, 8, 10
	s_delay_alu instid0(SALU_CYCLE_1) | instskip(SKIP_1) | instid1(SALU_CYCLE_1)
	v_mov_b32_e32 v16, s12
	s_nor_b32 s12, s0, vcc_lo
	s_and_saveexec_b32 s0, s12
	s_cbranch_execz .LBB1189_63
; %bb.62:
	v_lshrrev_b64 v[16:17], s11, v[14:15]
	s_sub_co_i32 s11, s3, s11
	v_lshlrev_b32_e32 v17, 2, v1
	s_min_u32 s11, s11, 8
	s_delay_alu instid0(VALU_DEP_2) | instid1(SALU_CYCLE_1)
	v_bfe_u32 v16, v16, 0, s11
	s_delay_alu instid0(VALU_DEP_1)
	v_lshl_or_b32 v16, v16, 4, v17
	v_mov_b32_e32 v17, 1
	ds_add_u32 v16, v17 offset:4096
	v_mov_b32_e32 v16, 0
.LBB1189_63:
	s_or_b32 exec_lo, exec_lo, s0
	s_mov_b32 s11, -1
	s_mov_b32 s12, exec_lo
	s_delay_alu instid0(VALU_DEP_1)
	v_cmpx_gt_i32_e32 10, v16
; %bb.64:
	v_cmp_eq_u32_e64 s0, 0, v16
	s_or_not1_b32 s11, s0, exec_lo
; %bb.65:
	s_or_b32 exec_lo, exec_lo, s12
	s_delay_alu instid0(SALU_CYCLE_1)
	s_and_b32 exec_lo, exec_lo, s11
	s_cbranch_execz .LBB1189_93
; %bb.66:
	s_add_co_i32 s11, s2, 16
	s_delay_alu instid0(SALU_CYCLE_1) | instskip(SKIP_1) | instid1(SALU_CYCLE_1)
	s_cmp_le_u32 s3, s11
	s_cselect_b32 s0, -1, 0
	s_and_b32 s12, s0, exec_lo
	s_cselect_b32 s12, 8, 10
	s_delay_alu instid0(SALU_CYCLE_1) | instskip(SKIP_1) | instid1(SALU_CYCLE_1)
	v_mov_b32_e32 v16, s12
	s_nor_b32 s12, s0, vcc_lo
	s_and_saveexec_b32 s0, s12
	s_cbranch_execz .LBB1189_68
; %bb.67:
	v_lshrrev_b64 v[16:17], s11, v[14:15]
	s_sub_co_i32 s11, s3, s11
	v_lshlrev_b32_e32 v17, 2, v1
	s_min_u32 s11, s11, 8
	s_delay_alu instid0(VALU_DEP_2) | instid1(SALU_CYCLE_1)
	v_bfe_u32 v16, v16, 0, s11
	s_delay_alu instid0(VALU_DEP_1)
	v_lshl_or_b32 v16, v16, 4, v17
	v_mov_b32_e32 v17, 1
	ds_add_u32 v16, v17 offset:8192
	v_mov_b32_e32 v16, 0
.LBB1189_68:
	s_or_b32 exec_lo, exec_lo, s0
	s_mov_b32 s11, -1
	s_mov_b32 s12, exec_lo
	s_delay_alu instid0(VALU_DEP_1)
	v_cmpx_gt_i32_e32 10, v16
; %bb.69:
	v_cmp_eq_u32_e64 s0, 0, v16
	s_or_not1_b32 s11, s0, exec_lo
; %bb.70:
	s_or_b32 exec_lo, exec_lo, s12
	s_delay_alu instid0(SALU_CYCLE_1)
	s_and_b32 exec_lo, exec_lo, s11
	;; [unrolled: 38-line block ×6, first 2 shown]
	s_cbranch_execz .LBB1189_93
; %bb.91:
	s_add_co_i32 s0, s2, 56
	s_delay_alu instid0(SALU_CYCLE_1) | instskip(SKIP_2) | instid1(SALU_CYCLE_1)
	s_cmp_gt_u32 s3, s0
	s_cselect_b32 s11, -1, 0
	s_xor_b32 s12, vcc_lo, -1
	s_and_b32 s11, s11, s12
	s_delay_alu instid0(SALU_CYCLE_1)
	s_and_b32 exec_lo, exec_lo, s11
	s_cbranch_execz .LBB1189_93
; %bb.92:
	v_lshrrev_b64 v[14:15], s0, v[14:15]
	s_sub_co_i32 s0, s3, s0
	v_lshlrev_b32_e32 v15, 2, v1
	s_min_u32 s0, s0, 8
	s_delay_alu instid0(VALU_DEP_2) | instid1(SALU_CYCLE_1)
	v_bfe_u32 v14, v14, 0, s0
	s_delay_alu instid0(VALU_DEP_1)
	v_lshl_or_b32 v14, v14, 4, v15
	v_mov_b32_e32 v15, 1
	ds_add_u32 v14, v15 offset:28672
.LBB1189_93:
	s_or_b32 exec_lo, exec_lo, s10
	v_cmp_le_u32_e32 vcc_lo, s1, v23
	v_mov_b32_e32 v14, s9
	s_nor_b32 s10, s8, vcc_lo
	s_delay_alu instid0(SALU_CYCLE_1)
	s_and_saveexec_b32 s0, s10
	s_cbranch_execz .LBB1189_95
; %bb.94:
	v_lshrrev_b64 v[14:15], s2, v[12:13]
	s_sub_co_i32 s10, s3, s2
	v_lshlrev_b32_e32 v15, 2, v1
	s_min_u32 s10, s10, 8
	s_delay_alu instid0(VALU_DEP_2) | instid1(SALU_CYCLE_1)
	v_bfe_u32 v14, v14, 0, s10
	s_delay_alu instid0(VALU_DEP_1)
	v_lshl_or_b32 v14, v14, 4, v15
	v_mov_b32_e32 v15, 1
	ds_add_u32 v14, v15
	v_mov_b32_e32 v14, 0
.LBB1189_95:
	s_or_b32 exec_lo, exec_lo, s0
	s_mov_b32 s11, -1
	s_mov_b32 s10, exec_lo
	s_delay_alu instid0(VALU_DEP_1)
	v_cmpx_gt_i32_e32 10, v14
; %bb.96:
	v_cmp_eq_u32_e64 s0, 0, v14
	s_or_not1_b32 s11, s0, exec_lo
; %bb.97:
	s_or_b32 exec_lo, exec_lo, s10
	s_and_saveexec_b32 s10, s11
	s_cbranch_execz .LBB1189_130
; %bb.98:
	s_add_co_i32 s11, s2, 8
	s_delay_alu instid0(SALU_CYCLE_1) | instskip(SKIP_1) | instid1(SALU_CYCLE_1)
	s_cmp_le_u32 s3, s11
	s_cselect_b32 s0, -1, 0
	s_and_b32 s12, s0, exec_lo
	s_cselect_b32 s12, 8, 10
	s_delay_alu instid0(SALU_CYCLE_1) | instskip(SKIP_1) | instid1(SALU_CYCLE_1)
	v_mov_b32_e32 v14, s12
	s_nor_b32 s12, s0, vcc_lo
	s_and_saveexec_b32 s0, s12
	s_cbranch_execz .LBB1189_100
; %bb.99:
	v_lshrrev_b64 v[14:15], s11, v[12:13]
	s_sub_co_i32 s11, s3, s11
	v_lshlrev_b32_e32 v15, 2, v1
	s_min_u32 s11, s11, 8
	s_delay_alu instid0(VALU_DEP_2) | instid1(SALU_CYCLE_1)
	v_bfe_u32 v14, v14, 0, s11
	s_delay_alu instid0(VALU_DEP_1)
	v_lshl_or_b32 v14, v14, 4, v15
	v_mov_b32_e32 v15, 1
	ds_add_u32 v14, v15 offset:4096
	v_mov_b32_e32 v14, 0
.LBB1189_100:
	s_or_b32 exec_lo, exec_lo, s0
	s_mov_b32 s11, -1
	s_mov_b32 s12, exec_lo
	s_delay_alu instid0(VALU_DEP_1)
	v_cmpx_gt_i32_e32 10, v14
; %bb.101:
	v_cmp_eq_u32_e64 s0, 0, v14
	s_or_not1_b32 s11, s0, exec_lo
; %bb.102:
	s_or_b32 exec_lo, exec_lo, s12
	s_delay_alu instid0(SALU_CYCLE_1)
	s_and_b32 exec_lo, exec_lo, s11
	s_cbranch_execz .LBB1189_130
; %bb.103:
	s_add_co_i32 s11, s2, 16
	s_delay_alu instid0(SALU_CYCLE_1) | instskip(SKIP_1) | instid1(SALU_CYCLE_1)
	s_cmp_le_u32 s3, s11
	s_cselect_b32 s0, -1, 0
	s_and_b32 s12, s0, exec_lo
	s_cselect_b32 s12, 8, 10
	s_delay_alu instid0(SALU_CYCLE_1) | instskip(SKIP_1) | instid1(SALU_CYCLE_1)
	v_mov_b32_e32 v14, s12
	s_nor_b32 s12, s0, vcc_lo
	s_and_saveexec_b32 s0, s12
	s_cbranch_execz .LBB1189_105
; %bb.104:
	v_lshrrev_b64 v[14:15], s11, v[12:13]
	s_sub_co_i32 s11, s3, s11
	v_lshlrev_b32_e32 v15, 2, v1
	s_min_u32 s11, s11, 8
	s_delay_alu instid0(VALU_DEP_2) | instid1(SALU_CYCLE_1)
	v_bfe_u32 v14, v14, 0, s11
	s_delay_alu instid0(VALU_DEP_1)
	v_lshl_or_b32 v14, v14, 4, v15
	v_mov_b32_e32 v15, 1
	ds_add_u32 v14, v15 offset:8192
	v_mov_b32_e32 v14, 0
.LBB1189_105:
	s_or_b32 exec_lo, exec_lo, s0
	s_mov_b32 s11, -1
	s_mov_b32 s12, exec_lo
	s_delay_alu instid0(VALU_DEP_1)
	v_cmpx_gt_i32_e32 10, v14
; %bb.106:
	v_cmp_eq_u32_e64 s0, 0, v14
	s_or_not1_b32 s11, s0, exec_lo
; %bb.107:
	s_or_b32 exec_lo, exec_lo, s12
	s_delay_alu instid0(SALU_CYCLE_1)
	s_and_b32 exec_lo, exec_lo, s11
	;; [unrolled: 38-line block ×6, first 2 shown]
	s_cbranch_execz .LBB1189_130
; %bb.128:
	s_add_co_i32 s0, s2, 56
	s_delay_alu instid0(SALU_CYCLE_1) | instskip(SKIP_2) | instid1(SALU_CYCLE_1)
	s_cmp_gt_u32 s3, s0
	s_cselect_b32 s11, -1, 0
	s_xor_b32 s12, vcc_lo, -1
	s_and_b32 s11, s11, s12
	s_delay_alu instid0(SALU_CYCLE_1)
	s_and_b32 exec_lo, exec_lo, s11
	s_cbranch_execz .LBB1189_130
; %bb.129:
	v_lshrrev_b64 v[12:13], s0, v[12:13]
	s_sub_co_i32 s0, s3, s0
	v_lshlrev_b32_e32 v13, 2, v1
	s_min_u32 s0, s0, 8
	s_delay_alu instid0(VALU_DEP_2) | instid1(SALU_CYCLE_1)
	v_bfe_u32 v12, v12, 0, s0
	s_delay_alu instid0(VALU_DEP_1)
	v_lshl_or_b32 v12, v12, 4, v13
	v_mov_b32_e32 v13, 1
	ds_add_u32 v12, v13 offset:28672
.LBB1189_130:
	s_or_b32 exec_lo, exec_lo, s10
	v_cmp_le_u32_e32 vcc_lo, s1, v22
	v_mov_b32_e32 v12, s9
	s_nor_b32 s10, s8, vcc_lo
	s_delay_alu instid0(SALU_CYCLE_1)
	s_and_saveexec_b32 s0, s10
	s_cbranch_execz .LBB1189_132
; %bb.131:
	v_lshrrev_b64 v[12:13], s2, v[10:11]
	s_sub_co_i32 s10, s3, s2
	v_lshlrev_b32_e32 v13, 2, v1
	s_min_u32 s10, s10, 8
	s_delay_alu instid0(VALU_DEP_2) | instid1(SALU_CYCLE_1)
	v_bfe_u32 v12, v12, 0, s10
	s_delay_alu instid0(VALU_DEP_1)
	v_lshl_or_b32 v12, v12, 4, v13
	v_mov_b32_e32 v13, 1
	ds_add_u32 v12, v13
	v_mov_b32_e32 v12, 0
.LBB1189_132:
	s_or_b32 exec_lo, exec_lo, s0
	s_mov_b32 s11, -1
	s_mov_b32 s10, exec_lo
	s_delay_alu instid0(VALU_DEP_1)
	v_cmpx_gt_i32_e32 10, v12
; %bb.133:
	v_cmp_eq_u32_e64 s0, 0, v12
	s_or_not1_b32 s11, s0, exec_lo
; %bb.134:
	s_or_b32 exec_lo, exec_lo, s10
	s_and_saveexec_b32 s10, s11
	s_cbranch_execz .LBB1189_167
; %bb.135:
	s_add_co_i32 s11, s2, 8
	s_delay_alu instid0(SALU_CYCLE_1) | instskip(SKIP_1) | instid1(SALU_CYCLE_1)
	s_cmp_le_u32 s3, s11
	s_cselect_b32 s0, -1, 0
	s_and_b32 s12, s0, exec_lo
	s_cselect_b32 s12, 8, 10
	s_delay_alu instid0(SALU_CYCLE_1) | instskip(SKIP_1) | instid1(SALU_CYCLE_1)
	v_mov_b32_e32 v12, s12
	s_nor_b32 s12, s0, vcc_lo
	s_and_saveexec_b32 s0, s12
	s_cbranch_execz .LBB1189_137
; %bb.136:
	v_lshrrev_b64 v[12:13], s11, v[10:11]
	s_sub_co_i32 s11, s3, s11
	v_lshlrev_b32_e32 v13, 2, v1
	s_min_u32 s11, s11, 8
	s_delay_alu instid0(VALU_DEP_2) | instid1(SALU_CYCLE_1)
	v_bfe_u32 v12, v12, 0, s11
	s_delay_alu instid0(VALU_DEP_1)
	v_lshl_or_b32 v12, v12, 4, v13
	v_mov_b32_e32 v13, 1
	ds_add_u32 v12, v13 offset:4096
	v_mov_b32_e32 v12, 0
.LBB1189_137:
	s_or_b32 exec_lo, exec_lo, s0
	s_mov_b32 s11, -1
	s_mov_b32 s12, exec_lo
	s_delay_alu instid0(VALU_DEP_1)
	v_cmpx_gt_i32_e32 10, v12
; %bb.138:
	v_cmp_eq_u32_e64 s0, 0, v12
	s_or_not1_b32 s11, s0, exec_lo
; %bb.139:
	s_or_b32 exec_lo, exec_lo, s12
	s_delay_alu instid0(SALU_CYCLE_1)
	s_and_b32 exec_lo, exec_lo, s11
	s_cbranch_execz .LBB1189_167
; %bb.140:
	s_add_co_i32 s11, s2, 16
	s_delay_alu instid0(SALU_CYCLE_1) | instskip(SKIP_1) | instid1(SALU_CYCLE_1)
	s_cmp_le_u32 s3, s11
	s_cselect_b32 s0, -1, 0
	s_and_b32 s12, s0, exec_lo
	s_cselect_b32 s12, 8, 10
	s_delay_alu instid0(SALU_CYCLE_1) | instskip(SKIP_1) | instid1(SALU_CYCLE_1)
	v_mov_b32_e32 v12, s12
	s_nor_b32 s12, s0, vcc_lo
	s_and_saveexec_b32 s0, s12
	s_cbranch_execz .LBB1189_142
; %bb.141:
	v_lshrrev_b64 v[12:13], s11, v[10:11]
	s_sub_co_i32 s11, s3, s11
	v_lshlrev_b32_e32 v13, 2, v1
	s_min_u32 s11, s11, 8
	s_delay_alu instid0(VALU_DEP_2) | instid1(SALU_CYCLE_1)
	v_bfe_u32 v12, v12, 0, s11
	s_delay_alu instid0(VALU_DEP_1)
	v_lshl_or_b32 v12, v12, 4, v13
	v_mov_b32_e32 v13, 1
	ds_add_u32 v12, v13 offset:8192
	v_mov_b32_e32 v12, 0
.LBB1189_142:
	s_or_b32 exec_lo, exec_lo, s0
	s_mov_b32 s11, -1
	s_mov_b32 s12, exec_lo
	s_delay_alu instid0(VALU_DEP_1)
	v_cmpx_gt_i32_e32 10, v12
; %bb.143:
	v_cmp_eq_u32_e64 s0, 0, v12
	s_or_not1_b32 s11, s0, exec_lo
; %bb.144:
	s_or_b32 exec_lo, exec_lo, s12
	s_delay_alu instid0(SALU_CYCLE_1)
	s_and_b32 exec_lo, exec_lo, s11
	;; [unrolled: 38-line block ×6, first 2 shown]
	s_cbranch_execz .LBB1189_167
; %bb.165:
	s_add_co_i32 s0, s2, 56
	s_delay_alu instid0(SALU_CYCLE_1) | instskip(SKIP_2) | instid1(SALU_CYCLE_1)
	s_cmp_gt_u32 s3, s0
	s_cselect_b32 s11, -1, 0
	s_xor_b32 s12, vcc_lo, -1
	s_and_b32 s11, s11, s12
	s_delay_alu instid0(SALU_CYCLE_1)
	s_and_b32 exec_lo, exec_lo, s11
	s_cbranch_execz .LBB1189_167
; %bb.166:
	v_lshrrev_b64 v[10:11], s0, v[10:11]
	s_sub_co_i32 s0, s3, s0
	v_lshlrev_b32_e32 v11, 2, v1
	s_min_u32 s0, s0, 8
	s_delay_alu instid0(VALU_DEP_2) | instid1(SALU_CYCLE_1)
	v_bfe_u32 v10, v10, 0, s0
	s_delay_alu instid0(VALU_DEP_1)
	v_lshl_or_b32 v10, v10, 4, v11
	v_mov_b32_e32 v11, 1
	ds_add_u32 v10, v11 offset:28672
.LBB1189_167:
	s_or_b32 exec_lo, exec_lo, s10
	v_cmp_le_u32_e32 vcc_lo, s1, v21
	v_mov_b32_e32 v10, s9
	s_nor_b32 s10, s8, vcc_lo
	s_delay_alu instid0(SALU_CYCLE_1)
	s_and_saveexec_b32 s0, s10
	s_cbranch_execz .LBB1189_169
; %bb.168:
	v_lshrrev_b64 v[10:11], s2, v[8:9]
	s_sub_co_i32 s10, s3, s2
	v_lshlrev_b32_e32 v11, 2, v1
	s_min_u32 s10, s10, 8
	s_delay_alu instid0(VALU_DEP_2) | instid1(SALU_CYCLE_1)
	v_bfe_u32 v10, v10, 0, s10
	s_delay_alu instid0(VALU_DEP_1)
	v_lshl_or_b32 v10, v10, 4, v11
	v_mov_b32_e32 v11, 1
	ds_add_u32 v10, v11
	v_mov_b32_e32 v10, 0
.LBB1189_169:
	s_or_b32 exec_lo, exec_lo, s0
	s_mov_b32 s11, -1
	s_mov_b32 s10, exec_lo
	s_delay_alu instid0(VALU_DEP_1)
	v_cmpx_gt_i32_e32 10, v10
; %bb.170:
	v_cmp_eq_u32_e64 s0, 0, v10
	s_or_not1_b32 s11, s0, exec_lo
; %bb.171:
	s_or_b32 exec_lo, exec_lo, s10
	s_and_saveexec_b32 s10, s11
	s_cbranch_execz .LBB1189_204
; %bb.172:
	s_add_co_i32 s11, s2, 8
	s_delay_alu instid0(SALU_CYCLE_1) | instskip(SKIP_1) | instid1(SALU_CYCLE_1)
	s_cmp_le_u32 s3, s11
	s_cselect_b32 s0, -1, 0
	s_and_b32 s12, s0, exec_lo
	s_cselect_b32 s12, 8, 10
	s_delay_alu instid0(SALU_CYCLE_1) | instskip(SKIP_1) | instid1(SALU_CYCLE_1)
	v_mov_b32_e32 v10, s12
	s_nor_b32 s12, s0, vcc_lo
	s_and_saveexec_b32 s0, s12
	s_cbranch_execz .LBB1189_174
; %bb.173:
	v_lshrrev_b64 v[10:11], s11, v[8:9]
	s_sub_co_i32 s11, s3, s11
	v_lshlrev_b32_e32 v11, 2, v1
	s_min_u32 s11, s11, 8
	s_delay_alu instid0(VALU_DEP_2) | instid1(SALU_CYCLE_1)
	v_bfe_u32 v10, v10, 0, s11
	s_delay_alu instid0(VALU_DEP_1)
	v_lshl_or_b32 v10, v10, 4, v11
	v_mov_b32_e32 v11, 1
	ds_add_u32 v10, v11 offset:4096
	v_mov_b32_e32 v10, 0
.LBB1189_174:
	s_or_b32 exec_lo, exec_lo, s0
	s_mov_b32 s11, -1
	s_mov_b32 s12, exec_lo
	s_delay_alu instid0(VALU_DEP_1)
	v_cmpx_gt_i32_e32 10, v10
; %bb.175:
	v_cmp_eq_u32_e64 s0, 0, v10
	s_or_not1_b32 s11, s0, exec_lo
; %bb.176:
	s_or_b32 exec_lo, exec_lo, s12
	s_delay_alu instid0(SALU_CYCLE_1)
	s_and_b32 exec_lo, exec_lo, s11
	s_cbranch_execz .LBB1189_204
; %bb.177:
	s_add_co_i32 s11, s2, 16
	s_delay_alu instid0(SALU_CYCLE_1) | instskip(SKIP_1) | instid1(SALU_CYCLE_1)
	s_cmp_le_u32 s3, s11
	s_cselect_b32 s0, -1, 0
	s_and_b32 s12, s0, exec_lo
	s_cselect_b32 s12, 8, 10
	s_delay_alu instid0(SALU_CYCLE_1) | instskip(SKIP_1) | instid1(SALU_CYCLE_1)
	v_mov_b32_e32 v10, s12
	s_nor_b32 s12, s0, vcc_lo
	s_and_saveexec_b32 s0, s12
	s_cbranch_execz .LBB1189_179
; %bb.178:
	v_lshrrev_b64 v[10:11], s11, v[8:9]
	s_sub_co_i32 s11, s3, s11
	v_lshlrev_b32_e32 v11, 2, v1
	s_min_u32 s11, s11, 8
	s_delay_alu instid0(VALU_DEP_2) | instid1(SALU_CYCLE_1)
	v_bfe_u32 v10, v10, 0, s11
	s_delay_alu instid0(VALU_DEP_1)
	v_lshl_or_b32 v10, v10, 4, v11
	v_mov_b32_e32 v11, 1
	ds_add_u32 v10, v11 offset:8192
	v_mov_b32_e32 v10, 0
.LBB1189_179:
	s_or_b32 exec_lo, exec_lo, s0
	s_mov_b32 s11, -1
	s_mov_b32 s12, exec_lo
	s_delay_alu instid0(VALU_DEP_1)
	v_cmpx_gt_i32_e32 10, v10
; %bb.180:
	v_cmp_eq_u32_e64 s0, 0, v10
	s_or_not1_b32 s11, s0, exec_lo
; %bb.181:
	s_or_b32 exec_lo, exec_lo, s12
	s_delay_alu instid0(SALU_CYCLE_1)
	s_and_b32 exec_lo, exec_lo, s11
	;; [unrolled: 38-line block ×6, first 2 shown]
	s_cbranch_execz .LBB1189_204
; %bb.202:
	s_add_co_i32 s0, s2, 56
	s_delay_alu instid0(SALU_CYCLE_1) | instskip(SKIP_2) | instid1(SALU_CYCLE_1)
	s_cmp_gt_u32 s3, s0
	s_cselect_b32 s11, -1, 0
	s_xor_b32 s12, vcc_lo, -1
	s_and_b32 s11, s11, s12
	s_delay_alu instid0(SALU_CYCLE_1)
	s_and_b32 exec_lo, exec_lo, s11
	s_cbranch_execz .LBB1189_204
; %bb.203:
	v_lshrrev_b64 v[8:9], s0, v[8:9]
	s_sub_co_i32 s0, s3, s0
	v_lshlrev_b32_e32 v9, 2, v1
	s_min_u32 s0, s0, 8
	s_delay_alu instid0(VALU_DEP_2) | instid1(SALU_CYCLE_1)
	v_bfe_u32 v8, v8, 0, s0
	s_delay_alu instid0(VALU_DEP_1)
	v_lshl_or_b32 v8, v8, 4, v9
	v_mov_b32_e32 v9, 1
	ds_add_u32 v8, v9 offset:28672
.LBB1189_204:
	s_or_b32 exec_lo, exec_lo, s10
	v_cmp_le_u32_e32 vcc_lo, s1, v20
	v_mov_b32_e32 v8, s9
	s_nor_b32 s10, s8, vcc_lo
	s_delay_alu instid0(SALU_CYCLE_1)
	s_and_saveexec_b32 s0, s10
	s_cbranch_execz .LBB1189_206
; %bb.205:
	v_lshrrev_b64 v[8:9], s2, v[6:7]
	s_sub_co_i32 s10, s3, s2
	v_lshlrev_b32_e32 v9, 2, v1
	s_min_u32 s10, s10, 8
	s_delay_alu instid0(VALU_DEP_2) | instid1(SALU_CYCLE_1)
	v_bfe_u32 v8, v8, 0, s10
	s_delay_alu instid0(VALU_DEP_1)
	v_lshl_or_b32 v8, v8, 4, v9
	v_mov_b32_e32 v9, 1
	ds_add_u32 v8, v9
	v_mov_b32_e32 v8, 0
.LBB1189_206:
	s_or_b32 exec_lo, exec_lo, s0
	s_mov_b32 s11, -1
	s_mov_b32 s10, exec_lo
	s_delay_alu instid0(VALU_DEP_1)
	v_cmpx_gt_i32_e32 10, v8
; %bb.207:
	v_cmp_eq_u32_e64 s0, 0, v8
	s_or_not1_b32 s11, s0, exec_lo
; %bb.208:
	s_or_b32 exec_lo, exec_lo, s10
	s_and_saveexec_b32 s10, s11
	s_cbranch_execz .LBB1189_241
; %bb.209:
	s_add_co_i32 s11, s2, 8
	s_delay_alu instid0(SALU_CYCLE_1) | instskip(SKIP_1) | instid1(SALU_CYCLE_1)
	s_cmp_le_u32 s3, s11
	s_cselect_b32 s0, -1, 0
	s_and_b32 s12, s0, exec_lo
	s_cselect_b32 s12, 8, 10
	s_delay_alu instid0(SALU_CYCLE_1) | instskip(SKIP_1) | instid1(SALU_CYCLE_1)
	v_mov_b32_e32 v8, s12
	s_nor_b32 s12, s0, vcc_lo
	s_and_saveexec_b32 s0, s12
	s_cbranch_execz .LBB1189_211
; %bb.210:
	v_lshrrev_b64 v[8:9], s11, v[6:7]
	s_sub_co_i32 s11, s3, s11
	v_lshlrev_b32_e32 v9, 2, v1
	s_min_u32 s11, s11, 8
	s_delay_alu instid0(VALU_DEP_2) | instid1(SALU_CYCLE_1)
	v_bfe_u32 v8, v8, 0, s11
	s_delay_alu instid0(VALU_DEP_1)
	v_lshl_or_b32 v8, v8, 4, v9
	v_mov_b32_e32 v9, 1
	ds_add_u32 v8, v9 offset:4096
	v_mov_b32_e32 v8, 0
.LBB1189_211:
	s_or_b32 exec_lo, exec_lo, s0
	s_mov_b32 s11, -1
	s_mov_b32 s12, exec_lo
	s_delay_alu instid0(VALU_DEP_1)
	v_cmpx_gt_i32_e32 10, v8
; %bb.212:
	v_cmp_eq_u32_e64 s0, 0, v8
	s_or_not1_b32 s11, s0, exec_lo
; %bb.213:
	s_or_b32 exec_lo, exec_lo, s12
	s_delay_alu instid0(SALU_CYCLE_1)
	s_and_b32 exec_lo, exec_lo, s11
	s_cbranch_execz .LBB1189_241
; %bb.214:
	s_add_co_i32 s11, s2, 16
	s_delay_alu instid0(SALU_CYCLE_1) | instskip(SKIP_1) | instid1(SALU_CYCLE_1)
	s_cmp_le_u32 s3, s11
	s_cselect_b32 s0, -1, 0
	s_and_b32 s12, s0, exec_lo
	s_cselect_b32 s12, 8, 10
	s_delay_alu instid0(SALU_CYCLE_1) | instskip(SKIP_1) | instid1(SALU_CYCLE_1)
	v_mov_b32_e32 v8, s12
	s_nor_b32 s12, s0, vcc_lo
	s_and_saveexec_b32 s0, s12
	s_cbranch_execz .LBB1189_216
; %bb.215:
	v_lshrrev_b64 v[8:9], s11, v[6:7]
	s_sub_co_i32 s11, s3, s11
	v_lshlrev_b32_e32 v9, 2, v1
	s_min_u32 s11, s11, 8
	s_delay_alu instid0(VALU_DEP_2) | instid1(SALU_CYCLE_1)
	v_bfe_u32 v8, v8, 0, s11
	s_delay_alu instid0(VALU_DEP_1)
	v_lshl_or_b32 v8, v8, 4, v9
	v_mov_b32_e32 v9, 1
	ds_add_u32 v8, v9 offset:8192
	v_mov_b32_e32 v8, 0
.LBB1189_216:
	s_or_b32 exec_lo, exec_lo, s0
	s_mov_b32 s11, -1
	s_mov_b32 s12, exec_lo
	s_delay_alu instid0(VALU_DEP_1)
	v_cmpx_gt_i32_e32 10, v8
; %bb.217:
	v_cmp_eq_u32_e64 s0, 0, v8
	s_or_not1_b32 s11, s0, exec_lo
; %bb.218:
	s_or_b32 exec_lo, exec_lo, s12
	s_delay_alu instid0(SALU_CYCLE_1)
	s_and_b32 exec_lo, exec_lo, s11
	s_cbranch_execz .LBB1189_241
; %bb.219:
	s_add_co_i32 s11, s2, 24
	s_delay_alu instid0(SALU_CYCLE_1) | instskip(SKIP_1) | instid1(SALU_CYCLE_1)
	s_cmp_le_u32 s3, s11
	s_cselect_b32 s0, -1, 0
	s_and_b32 s12, s0, exec_lo
	s_cselect_b32 s12, 8, 10
	s_delay_alu instid0(SALU_CYCLE_1) | instskip(SKIP_1) | instid1(SALU_CYCLE_1)
	v_mov_b32_e32 v8, s12
	s_nor_b32 s12, s0, vcc_lo
	s_and_saveexec_b32 s0, s12
	s_cbranch_execz .LBB1189_221
; %bb.220:
	v_lshrrev_b64 v[8:9], s11, v[6:7]
	s_sub_co_i32 s11, s3, s11
	v_lshlrev_b32_e32 v9, 2, v1
	s_min_u32 s11, s11, 8
	s_delay_alu instid0(VALU_DEP_2) | instid1(SALU_CYCLE_1)
	v_bfe_u32 v8, v8, 0, s11
	s_delay_alu instid0(VALU_DEP_1)
	v_lshl_or_b32 v8, v8, 4, v9
	v_mov_b32_e32 v9, 1
	ds_add_u32 v8, v9 offset:12288
	v_mov_b32_e32 v8, 0
.LBB1189_221:
	s_or_b32 exec_lo, exec_lo, s0
	s_mov_b32 s11, -1
	s_mov_b32 s12, exec_lo
	s_delay_alu instid0(VALU_DEP_1)
	v_cmpx_gt_i32_e32 10, v8
; %bb.222:
	v_cmp_eq_u32_e64 s0, 0, v8
	s_or_not1_b32 s11, s0, exec_lo
; %bb.223:
	s_or_b32 exec_lo, exec_lo, s12
	s_delay_alu instid0(SALU_CYCLE_1)
	s_and_b32 exec_lo, exec_lo, s11
	s_cbranch_execz .LBB1189_241
; %bb.224:
	s_add_co_i32 s11, s2, 32
	s_delay_alu instid0(SALU_CYCLE_1) | instskip(SKIP_1) | instid1(SALU_CYCLE_1)
	s_cmp_le_u32 s3, s11
	s_cselect_b32 s0, -1, 0
	s_and_b32 s12, s0, exec_lo
	s_cselect_b32 s12, 8, 10
	s_delay_alu instid0(SALU_CYCLE_1) | instskip(SKIP_1) | instid1(SALU_CYCLE_1)
	v_mov_b32_e32 v8, s12
	s_nor_b32 s12, s0, vcc_lo
	s_and_saveexec_b32 s0, s12
	s_cbranch_execz .LBB1189_226
; %bb.225:
	v_lshrrev_b64 v[8:9], s11, v[6:7]
	s_sub_co_i32 s11, s3, s11
	v_lshlrev_b32_e32 v9, 2, v1
	s_min_u32 s11, s11, 8
	s_delay_alu instid0(VALU_DEP_2) | instid1(SALU_CYCLE_1)
	v_bfe_u32 v8, v8, 0, s11
	s_delay_alu instid0(VALU_DEP_1)
	v_lshl_or_b32 v8, v8, 4, v9
	v_mov_b32_e32 v9, 1
	ds_add_u32 v8, v9 offset:16384
	v_mov_b32_e32 v8, 0
.LBB1189_226:
	s_or_b32 exec_lo, exec_lo, s0
	s_mov_b32 s11, -1
	s_mov_b32 s12, exec_lo
	s_delay_alu instid0(VALU_DEP_1)
	v_cmpx_gt_i32_e32 10, v8
; %bb.227:
	v_cmp_eq_u32_e64 s0, 0, v8
	s_or_not1_b32 s11, s0, exec_lo
; %bb.228:
	s_or_b32 exec_lo, exec_lo, s12
	s_delay_alu instid0(SALU_CYCLE_1)
	s_and_b32 exec_lo, exec_lo, s11
	s_cbranch_execz .LBB1189_241
; %bb.229:
	s_add_co_i32 s11, s2, 40
	s_delay_alu instid0(SALU_CYCLE_1) | instskip(SKIP_1) | instid1(SALU_CYCLE_1)
	s_cmp_le_u32 s3, s11
	s_cselect_b32 s0, -1, 0
	s_and_b32 s12, s0, exec_lo
	s_cselect_b32 s12, 8, 10
	s_delay_alu instid0(SALU_CYCLE_1) | instskip(SKIP_1) | instid1(SALU_CYCLE_1)
	v_mov_b32_e32 v8, s12
	s_nor_b32 s12, s0, vcc_lo
	s_and_saveexec_b32 s0, s12
	s_cbranch_execz .LBB1189_231
; %bb.230:
	v_lshrrev_b64 v[8:9], s11, v[6:7]
	s_sub_co_i32 s11, s3, s11
	v_lshlrev_b32_e32 v9, 2, v1
	s_min_u32 s11, s11, 8
	s_delay_alu instid0(VALU_DEP_2) | instid1(SALU_CYCLE_1)
	v_bfe_u32 v8, v8, 0, s11
	s_delay_alu instid0(VALU_DEP_1)
	v_lshl_or_b32 v8, v8, 4, v9
	v_mov_b32_e32 v9, 1
	ds_add_u32 v8, v9 offset:20480
	v_mov_b32_e32 v8, 0
.LBB1189_231:
	s_or_b32 exec_lo, exec_lo, s0
	s_mov_b32 s11, -1
	s_mov_b32 s12, exec_lo
	s_delay_alu instid0(VALU_DEP_1)
	v_cmpx_gt_i32_e32 10, v8
; %bb.232:
	v_cmp_eq_u32_e64 s0, 0, v8
	s_or_not1_b32 s11, s0, exec_lo
; %bb.233:
	s_or_b32 exec_lo, exec_lo, s12
	s_delay_alu instid0(SALU_CYCLE_1)
	s_and_b32 exec_lo, exec_lo, s11
	s_cbranch_execz .LBB1189_241
; %bb.234:
	s_add_co_i32 s11, s2, 48
	s_delay_alu instid0(SALU_CYCLE_1) | instskip(SKIP_1) | instid1(SALU_CYCLE_1)
	s_cmp_le_u32 s3, s11
	s_cselect_b32 s0, -1, 0
	s_and_b32 s12, s0, exec_lo
	s_cselect_b32 s12, 8, 10
	s_delay_alu instid0(SALU_CYCLE_1) | instskip(SKIP_1) | instid1(SALU_CYCLE_1)
	v_mov_b32_e32 v8, s12
	s_nor_b32 s12, s0, vcc_lo
	s_and_saveexec_b32 s0, s12
	s_cbranch_execz .LBB1189_236
; %bb.235:
	v_lshrrev_b64 v[8:9], s11, v[6:7]
	s_sub_co_i32 s11, s3, s11
	v_lshlrev_b32_e32 v9, 2, v1
	s_min_u32 s11, s11, 8
	s_delay_alu instid0(VALU_DEP_2) | instid1(SALU_CYCLE_1)
	v_bfe_u32 v8, v8, 0, s11
	s_delay_alu instid0(VALU_DEP_1)
	v_lshl_or_b32 v8, v8, 4, v9
	v_mov_b32_e32 v9, 1
	ds_add_u32 v8, v9 offset:24576
	v_mov_b32_e32 v8, 0
.LBB1189_236:
	s_or_b32 exec_lo, exec_lo, s0
	s_mov_b32 s11, -1
	s_mov_b32 s12, exec_lo
	s_delay_alu instid0(VALU_DEP_1)
	v_cmpx_gt_i32_e32 10, v8
; %bb.237:
	v_cmp_eq_u32_e64 s0, 0, v8
	s_or_not1_b32 s11, s0, exec_lo
; %bb.238:
	s_or_b32 exec_lo, exec_lo, s12
	s_delay_alu instid0(SALU_CYCLE_1)
	s_and_b32 exec_lo, exec_lo, s11
	s_cbranch_execz .LBB1189_241
; %bb.239:
	s_add_co_i32 s0, s2, 56
	s_delay_alu instid0(SALU_CYCLE_1) | instskip(SKIP_2) | instid1(SALU_CYCLE_1)
	s_cmp_gt_u32 s3, s0
	s_cselect_b32 s11, -1, 0
	s_xor_b32 s12, vcc_lo, -1
	s_and_b32 s11, s11, s12
	s_delay_alu instid0(SALU_CYCLE_1)
	s_and_b32 exec_lo, exec_lo, s11
	s_cbranch_execz .LBB1189_241
; %bb.240:
	v_lshrrev_b64 v[6:7], s0, v[6:7]
	s_sub_co_i32 s0, s3, s0
	v_lshlrev_b32_e32 v7, 2, v1
	s_min_u32 s0, s0, 8
	s_delay_alu instid0(VALU_DEP_2) | instid1(SALU_CYCLE_1)
	v_bfe_u32 v6, v6, 0, s0
	s_delay_alu instid0(VALU_DEP_1)
	v_lshl_or_b32 v6, v6, 4, v7
	v_mov_b32_e32 v7, 1
	ds_add_u32 v6, v7 offset:28672
.LBB1189_241:
	s_or_b32 exec_lo, exec_lo, s10
	v_cmp_le_u32_e32 vcc_lo, s1, v19
	v_mov_b32_e32 v6, s9
	s_nor_b32 s10, s8, vcc_lo
	s_delay_alu instid0(SALU_CYCLE_1)
	s_and_saveexec_b32 s0, s10
	s_cbranch_execz .LBB1189_243
; %bb.242:
	v_lshrrev_b64 v[6:7], s2, v[4:5]
	s_sub_co_i32 s10, s3, s2
	v_lshlrev_b32_e32 v7, 2, v1
	s_min_u32 s10, s10, 8
	s_delay_alu instid0(VALU_DEP_2) | instid1(SALU_CYCLE_1)
	v_bfe_u32 v6, v6, 0, s10
	s_delay_alu instid0(VALU_DEP_1)
	v_lshl_or_b32 v6, v6, 4, v7
	v_mov_b32_e32 v7, 1
	ds_add_u32 v6, v7
	v_mov_b32_e32 v6, 0
.LBB1189_243:
	s_or_b32 exec_lo, exec_lo, s0
	s_mov_b32 s11, -1
	s_mov_b32 s10, exec_lo
	s_delay_alu instid0(VALU_DEP_1)
	v_cmpx_gt_i32_e32 10, v6
; %bb.244:
	v_cmp_eq_u32_e64 s0, 0, v6
	s_or_not1_b32 s11, s0, exec_lo
; %bb.245:
	s_or_b32 exec_lo, exec_lo, s10
	s_and_saveexec_b32 s10, s11
	s_cbranch_execz .LBB1189_278
; %bb.246:
	s_add_co_i32 s11, s2, 8
	s_delay_alu instid0(SALU_CYCLE_1) | instskip(SKIP_1) | instid1(SALU_CYCLE_1)
	s_cmp_le_u32 s3, s11
	s_cselect_b32 s0, -1, 0
	s_and_b32 s12, s0, exec_lo
	s_cselect_b32 s12, 8, 10
	s_delay_alu instid0(SALU_CYCLE_1) | instskip(SKIP_1) | instid1(SALU_CYCLE_1)
	v_mov_b32_e32 v6, s12
	s_nor_b32 s12, s0, vcc_lo
	s_and_saveexec_b32 s0, s12
	s_cbranch_execz .LBB1189_248
; %bb.247:
	v_lshrrev_b64 v[6:7], s11, v[4:5]
	s_sub_co_i32 s11, s3, s11
	v_lshlrev_b32_e32 v7, 2, v1
	s_min_u32 s11, s11, 8
	s_delay_alu instid0(VALU_DEP_2) | instid1(SALU_CYCLE_1)
	v_bfe_u32 v6, v6, 0, s11
	s_delay_alu instid0(VALU_DEP_1)
	v_lshl_or_b32 v6, v6, 4, v7
	v_mov_b32_e32 v7, 1
	ds_add_u32 v6, v7 offset:4096
	v_mov_b32_e32 v6, 0
.LBB1189_248:
	s_or_b32 exec_lo, exec_lo, s0
	s_mov_b32 s11, -1
	s_mov_b32 s12, exec_lo
	s_delay_alu instid0(VALU_DEP_1)
	v_cmpx_gt_i32_e32 10, v6
; %bb.249:
	v_cmp_eq_u32_e64 s0, 0, v6
	s_or_not1_b32 s11, s0, exec_lo
; %bb.250:
	s_or_b32 exec_lo, exec_lo, s12
	s_delay_alu instid0(SALU_CYCLE_1)
	s_and_b32 exec_lo, exec_lo, s11
	s_cbranch_execz .LBB1189_278
; %bb.251:
	s_add_co_i32 s11, s2, 16
	s_delay_alu instid0(SALU_CYCLE_1) | instskip(SKIP_1) | instid1(SALU_CYCLE_1)
	s_cmp_le_u32 s3, s11
	s_cselect_b32 s0, -1, 0
	s_and_b32 s12, s0, exec_lo
	s_cselect_b32 s12, 8, 10
	s_delay_alu instid0(SALU_CYCLE_1) | instskip(SKIP_1) | instid1(SALU_CYCLE_1)
	v_mov_b32_e32 v6, s12
	s_nor_b32 s12, s0, vcc_lo
	s_and_saveexec_b32 s0, s12
	s_cbranch_execz .LBB1189_253
; %bb.252:
	v_lshrrev_b64 v[6:7], s11, v[4:5]
	s_sub_co_i32 s11, s3, s11
	v_lshlrev_b32_e32 v7, 2, v1
	s_min_u32 s11, s11, 8
	s_delay_alu instid0(VALU_DEP_2) | instid1(SALU_CYCLE_1)
	v_bfe_u32 v6, v6, 0, s11
	s_delay_alu instid0(VALU_DEP_1)
	v_lshl_or_b32 v6, v6, 4, v7
	v_mov_b32_e32 v7, 1
	ds_add_u32 v6, v7 offset:8192
	v_mov_b32_e32 v6, 0
.LBB1189_253:
	s_or_b32 exec_lo, exec_lo, s0
	s_mov_b32 s11, -1
	s_mov_b32 s12, exec_lo
	s_delay_alu instid0(VALU_DEP_1)
	v_cmpx_gt_i32_e32 10, v6
; %bb.254:
	v_cmp_eq_u32_e64 s0, 0, v6
	s_or_not1_b32 s11, s0, exec_lo
; %bb.255:
	s_or_b32 exec_lo, exec_lo, s12
	s_delay_alu instid0(SALU_CYCLE_1)
	s_and_b32 exec_lo, exec_lo, s11
	;; [unrolled: 38-line block ×6, first 2 shown]
	s_cbranch_execz .LBB1189_278
; %bb.276:
	s_add_co_i32 s0, s2, 56
	s_delay_alu instid0(SALU_CYCLE_1) | instskip(SKIP_2) | instid1(SALU_CYCLE_1)
	s_cmp_gt_u32 s3, s0
	s_cselect_b32 s11, -1, 0
	s_xor_b32 s12, vcc_lo, -1
	s_and_b32 s11, s11, s12
	s_delay_alu instid0(SALU_CYCLE_1)
	s_and_b32 exec_lo, exec_lo, s11
	s_cbranch_execz .LBB1189_278
; %bb.277:
	v_lshrrev_b64 v[4:5], s0, v[4:5]
	s_sub_co_i32 s0, s3, s0
	v_lshlrev_b32_e32 v5, 2, v1
	s_min_u32 s0, s0, 8
	s_delay_alu instid0(VALU_DEP_2) | instid1(SALU_CYCLE_1)
	v_bfe_u32 v4, v4, 0, s0
	s_delay_alu instid0(VALU_DEP_1)
	v_lshl_or_b32 v4, v4, 4, v5
	v_mov_b32_e32 v5, 1
	ds_add_u32 v4, v5 offset:28672
.LBB1189_278:
	s_or_b32 exec_lo, exec_lo, s10
	v_cmp_le_u32_e32 vcc_lo, s1, v18
	v_mov_b32_e32 v4, s9
	s_nor_b32 s1, s8, vcc_lo
	s_delay_alu instid0(SALU_CYCLE_1)
	s_and_saveexec_b32 s0, s1
	s_cbranch_execz .LBB1189_280
; %bb.279:
	v_lshrrev_b64 v[4:5], s2, v[2:3]
	s_sub_co_i32 s1, s3, s2
	v_lshlrev_b32_e32 v5, 2, v1
	s_min_u32 s1, s1, 8
	s_delay_alu instid0(VALU_DEP_2) | instid1(SALU_CYCLE_1)
	v_bfe_u32 v4, v4, 0, s1
	s_delay_alu instid0(VALU_DEP_1)
	v_lshl_or_b32 v4, v4, 4, v5
	v_mov_b32_e32 v5, 1
	ds_add_u32 v4, v5
	v_mov_b32_e32 v4, 0
.LBB1189_280:
	s_or_b32 exec_lo, exec_lo, s0
	s_mov_b32 s8, -1
	s_mov_b32 s1, exec_lo
	s_delay_alu instid0(VALU_DEP_1)
	v_cmpx_gt_i32_e32 10, v4
; %bb.281:
	v_cmp_eq_u32_e64 s0, 0, v4
	s_or_not1_b32 s8, s0, exec_lo
; %bb.282:
	s_or_b32 exec_lo, exec_lo, s1
	s_and_saveexec_b32 s1, s8
	s_cbranch_execz .LBB1189_315
; %bb.283:
	s_add_co_i32 s8, s2, 8
	s_delay_alu instid0(SALU_CYCLE_1) | instskip(SKIP_1) | instid1(SALU_CYCLE_1)
	s_cmp_le_u32 s3, s8
	s_cselect_b32 s0, -1, 0
	s_and_b32 s9, s0, exec_lo
	s_cselect_b32 s9, 8, 10
	s_delay_alu instid0(SALU_CYCLE_1) | instskip(SKIP_1) | instid1(SALU_CYCLE_1)
	v_mov_b32_e32 v4, s9
	s_nor_b32 s9, s0, vcc_lo
	s_and_saveexec_b32 s0, s9
	s_cbranch_execz .LBB1189_285
; %bb.284:
	v_lshrrev_b64 v[4:5], s8, v[2:3]
	s_sub_co_i32 s8, s3, s8
	v_lshlrev_b32_e32 v5, 2, v1
	s_min_u32 s8, s8, 8
	s_delay_alu instid0(VALU_DEP_2) | instid1(SALU_CYCLE_1)
	v_bfe_u32 v4, v4, 0, s8
	s_delay_alu instid0(VALU_DEP_1)
	v_lshl_or_b32 v4, v4, 4, v5
	v_mov_b32_e32 v5, 1
	ds_add_u32 v4, v5 offset:4096
	v_mov_b32_e32 v4, 0
.LBB1189_285:
	s_or_b32 exec_lo, exec_lo, s0
	s_mov_b32 s8, -1
	s_mov_b32 s9, exec_lo
	s_delay_alu instid0(VALU_DEP_1)
	v_cmpx_gt_i32_e32 10, v4
; %bb.286:
	v_cmp_eq_u32_e64 s0, 0, v4
	s_or_not1_b32 s8, s0, exec_lo
; %bb.287:
	s_or_b32 exec_lo, exec_lo, s9
	s_delay_alu instid0(SALU_CYCLE_1)
	s_and_b32 exec_lo, exec_lo, s8
	s_cbranch_execz .LBB1189_315
; %bb.288:
	s_add_co_i32 s8, s2, 16
	s_delay_alu instid0(SALU_CYCLE_1) | instskip(SKIP_1) | instid1(SALU_CYCLE_1)
	s_cmp_le_u32 s3, s8
	s_cselect_b32 s0, -1, 0
	s_and_b32 s9, s0, exec_lo
	s_cselect_b32 s9, 8, 10
	s_delay_alu instid0(SALU_CYCLE_1) | instskip(SKIP_1) | instid1(SALU_CYCLE_1)
	v_mov_b32_e32 v4, s9
	s_nor_b32 s9, s0, vcc_lo
	s_and_saveexec_b32 s0, s9
	s_cbranch_execz .LBB1189_290
; %bb.289:
	v_lshrrev_b64 v[4:5], s8, v[2:3]
	s_sub_co_i32 s8, s3, s8
	v_lshlrev_b32_e32 v5, 2, v1
	s_min_u32 s8, s8, 8
	s_delay_alu instid0(VALU_DEP_2) | instid1(SALU_CYCLE_1)
	v_bfe_u32 v4, v4, 0, s8
	s_delay_alu instid0(VALU_DEP_1)
	v_lshl_or_b32 v4, v4, 4, v5
	v_mov_b32_e32 v5, 1
	ds_add_u32 v4, v5 offset:8192
	v_mov_b32_e32 v4, 0
.LBB1189_290:
	s_or_b32 exec_lo, exec_lo, s0
	s_mov_b32 s8, -1
	s_mov_b32 s9, exec_lo
	s_delay_alu instid0(VALU_DEP_1)
	v_cmpx_gt_i32_e32 10, v4
; %bb.291:
	v_cmp_eq_u32_e64 s0, 0, v4
	s_or_not1_b32 s8, s0, exec_lo
; %bb.292:
	s_or_b32 exec_lo, exec_lo, s9
	s_delay_alu instid0(SALU_CYCLE_1)
	s_and_b32 exec_lo, exec_lo, s8
	;; [unrolled: 38-line block ×6, first 2 shown]
	s_cbranch_execz .LBB1189_315
; %bb.313:
	s_add_co_i32 s0, s2, 56
	s_delay_alu instid0(SALU_CYCLE_1) | instskip(SKIP_2) | instid1(SALU_CYCLE_1)
	s_cmp_gt_u32 s3, s0
	s_cselect_b32 s8, -1, 0
	s_xor_b32 s9, vcc_lo, -1
	s_and_b32 s8, s8, s9
	s_delay_alu instid0(SALU_CYCLE_1)
	s_and_b32 exec_lo, exec_lo, s8
	s_cbranch_execz .LBB1189_315
; %bb.314:
	v_lshrrev_b64 v[2:3], s0, v[2:3]
	s_sub_co_i32 s0, s3, s0
	v_lshlrev_b32_e32 v1, 2, v1
	s_min_u32 s0, s0, 8
	s_delay_alu instid0(VALU_DEP_2) | instid1(SALU_CYCLE_1)
	v_bfe_u32 v2, v2, 0, s0
	s_delay_alu instid0(VALU_DEP_1)
	v_lshl_or_b32 v1, v2, 4, v1
	v_mov_b32_e32 v2, 1
	ds_add_u32 v1, v2 offset:28672
.LBB1189_315:
	s_or_b32 exec_lo, exec_lo, s1
	s_cmp_gt_u32 s3, s2
	s_wait_dscnt 0x0
	s_barrier_signal -1
	s_barrier_wait -1
	s_cbranch_scc0 .LBB1189_320
; %bb.316:
	v_dual_lshlrev_b32 v1, 4, v0 :: v_dual_mov_b32 v3, 0
	v_mov_b32_e32 v4, v0
	s_mov_b32 s0, s2
	v_cmp_gt_u32_e32 vcc_lo, 0x100, v0
	s_branch .LBB1189_318
.LBB1189_317:                           ;   in Loop: Header=BB1189_318 Depth=1
	s_wait_xcnt 0x0
	s_or_b32 exec_lo, exec_lo, s1
	v_add_nc_u32_e32 v4, 0x100, v4
	v_add_nc_u32_e32 v1, 0x1000, v1
	s_add_co_i32 s0, s0, 8
	s_delay_alu instid0(SALU_CYCLE_1)
	s_cmp_lt_u32 s0, s3
	s_cbranch_scc0 .LBB1189_320
.LBB1189_318:                           ; =>This Inner Loop Header: Depth=1
	s_and_saveexec_b32 s1, vcc_lo
	s_cbranch_execz .LBB1189_317
; %bb.319:                              ;   in Loop: Header=BB1189_318 Depth=1
	ds_load_2addr_b32 v[6:7], v1 offset1:1
	ds_load_2addr_b32 v[8:9], v1 offset0:2 offset1:3
	s_wait_dscnt 0x1
	v_add_nc_u32_e32 v2, v7, v6
	s_wait_dscnt 0x0
	s_delay_alu instid0(VALU_DEP_1)
	v_add3_u32 v2, v2, v8, v9
	global_atomic_add_u64 v4, v[2:3], s[6:7] scale_offset scope:SCOPE_DEV
	s_branch .LBB1189_317
.LBB1189_320:
	s_mov_b32 s9, 0
.LBB1189_321:
	s_delay_alu instid0(SALU_CYCLE_1)
	s_and_b32 vcc_lo, exec_lo, s9
	s_cbranch_vccz .LBB1189_417
; %bb.322:
	s_clause 0x7
	global_load_b64 v[16:17], v0, s[4:5] scale_offset
	global_load_b64 v[14:15], v0, s[4:5] offset:4096 scale_offset
	global_load_b64 v[12:13], v0, s[4:5] offset:8192 scale_offset
	global_load_b64 v[10:11], v0, s[4:5] offset:12288 scale_offset
	global_load_b64 v[8:9], v0, s[4:5] offset:16384 scale_offset
	global_load_b64 v[6:7], v0, s[4:5] offset:20480 scale_offset
	global_load_b64 v[4:5], v0, s[4:5] offset:24576 scale_offset
	global_load_b64 v[2:3], v0, s[4:5] offset:28672 scale_offset
	s_cmp_eq_u32 s2, 0
	v_dual_mov_b32 v18, 0 :: v_dual_lshlrev_b32 v24, 2, v0
	s_cselect_b32 s1, -1, 0
	s_cmp_eq_u32 s3, 64
	v_or_b32_e32 v1, 0xfffffe00, v0
	s_wait_xcnt 0x0
	s_cselect_b32 s4, -1, 0
	s_mov_b32 s0, 0
	s_and_b32 s1, s1, s4
	s_delay_alu instid0(SALU_CYCLE_1)
	s_and_b32 vcc_lo, exec_lo, s1
	s_mov_b32 s1, -1
	s_cbranch_vccnz .LBB1189_412
; %bb.323:
	v_or_b32_e32 v19, 0xfffffe00, v0
	v_lshlrev_b32_e32 v20, 2, v0
.LBB1189_324:                           ; =>This Inner Loop Header: Depth=1
	s_delay_alu instid0(VALU_DEP_2) | instskip(SKIP_4) | instid1(SALU_CYCLE_1)
	v_add_nc_u32_e32 v19, 0x200, v19
	ds_store_b32 v20, v18
	v_add_nc_u32_e32 v20, 0x800, v20
	v_cmp_lt_u32_e32 vcc_lo, 0x1dff, v19
	s_or_b32 s0, vcc_lo, s0
	s_and_not1_b32 exec_lo, exec_lo, s0
	s_cbranch_execnz .LBB1189_324
; %bb.325:
	s_or_b32 exec_lo, exec_lo, s0
	s_cmp_gt_u32 s3, s2
	s_wait_storecnt 0x0
	s_wait_loadcnt_dscnt 0x0
	s_cselect_b32 s0, -1, 0
	s_barrier_signal -1
	s_and_b32 vcc_lo, exec_lo, s0
	s_barrier_wait -1
	s_cbranch_vccz .LBB1189_406
; %bb.326:
	v_xor_b32_e32 v21, 0x80000000, v17
	v_dual_mov_b32 v20, v16 :: v_dual_bitop2_b32 v25, 3, v0 bitop3:0x40
	s_sub_co_i32 s1, s3, s2
	s_add_co_i32 s4, s2, 8
	s_min_u32 s1, s1, 8
	s_delay_alu instid0(VALU_DEP_1) | instskip(SKIP_4) | instid1(VALU_DEP_2)
	v_lshrrev_b64 v[18:19], s2, v[20:21]
	s_lshl_b32 s1, -1, s1
	v_dual_mov_b32 v19, 1 :: v_dual_lshlrev_b32 v26, 2, v25
	s_mov_b32 s9, -1
	s_mov_b32 s8, 0
	v_bitop3_b32 v18, v18, s1, v18 bitop3:0x30
	s_not_b32 s1, s1
	s_cmp_le_u32 s3, s4
	s_cselect_b32 s5, -1, 0
	s_delay_alu instid0(VALU_DEP_1) | instskip(SKIP_4) | instid1(VALU_DEP_1)
	v_lshl_or_b32 v18, v18, 4, v26
	s_and_b32 vcc_lo, exec_lo, s5
	ds_add_u32 v18, v19
	v_xor_b32_e32 v19, 0x80000000, v15
	v_mov_b32_e32 v18, v14
	v_lshrrev_b64 v[22:23], s2, v[18:19]
                                        ; implicit-def: $vgpr23
	s_cbranch_vccz .LBB1189_328
; %bb.327:
	s_delay_alu instid0(VALU_DEP_1) | instskip(SKIP_2) | instid1(VALU_DEP_1)
	v_and_b32_e32 v23, s1, v22
	s_mov_b32 s9, 0
	s_mov_b32 s8, -1
	v_lshlrev_b32_e32 v23, 4, v23
.LBB1189_328:
	s_and_not1_b32 vcc_lo, exec_lo, s9
	s_cbranch_vccnz .LBB1189_344
; %bb.329:
	v_lshrrev_b64 v[28:29], s4, v[20:21]
	s_sub_co_i32 s9, s3, s4
	s_delay_alu instid0(SALU_CYCLE_1) | instskip(NEXT) | instid1(SALU_CYCLE_1)
	s_min_u32 s9, s9, 8
	s_lshl_b32 s10, -1, s9
	s_add_co_i32 s9, s2, 16
	s_delay_alu instid0(VALU_DEP_1) | instskip(SKIP_3) | instid1(VALU_DEP_1)
	v_bitop3_b32 v23, v28, s10, v28 bitop3:0x30
	s_not_b32 s11, s10
	s_cmp_gt_u32 s3, s9
	s_cselect_b32 s10, -1, 0
	v_lshl_or_b32 v27, v23, 4, v26
	v_mov_b32_e32 v23, 1
	s_cmp_le_u32 s3, s9
	ds_add_u32 v27, v23 offset:4096
	s_cbranch_scc1 .LBB1189_336
; %bb.330:
	v_lshrrev_b64 v[28:29], s9, v[20:21]
	s_sub_co_i32 s12, s3, s9
	s_delay_alu instid0(SALU_CYCLE_1)
	s_min_u32 s12, s12, 8
	s_delay_alu instid0(VALU_DEP_1) | instid1(SALU_CYCLE_1)
	v_bfe_u32 v27, v28, 0, s12
	s_add_co_i32 s12, s2, 24
	s_delay_alu instid0(SALU_CYCLE_1) | instskip(NEXT) | instid1(VALU_DEP_1)
	s_cmp_le_u32 s3, s12
	v_lshl_or_b32 v27, v27, 4, v26
	ds_add_u32 v27, v23 offset:8192
	s_cbranch_scc1 .LBB1189_336
; %bb.331:
	v_lshrrev_b64 v[28:29], s12, v[20:21]
	s_sub_co_i32 s12, s3, s12
	s_delay_alu instid0(SALU_CYCLE_1)
	s_min_u32 s12, s12, 8
	s_delay_alu instid0(VALU_DEP_1) | instid1(SALU_CYCLE_1)
	v_bfe_u32 v27, v28, 0, s12
	s_add_co_i32 s12, s2, 32
	s_delay_alu instid0(SALU_CYCLE_1) | instskip(NEXT) | instid1(VALU_DEP_1)
	s_cmp_le_u32 s3, s12
	v_lshl_or_b32 v28, v27, 4, v26
	v_mov_b32_e32 v27, 1
	ds_add_u32 v28, v27 offset:12288
	s_cbranch_scc1 .LBB1189_336
; %bb.332:
	v_lshrrev_b64 v[28:29], s12, v[20:21]
	s_sub_co_i32 s12, s3, s12
	s_delay_alu instid0(SALU_CYCLE_1)
	s_min_u32 s12, s12, 8
	s_delay_alu instid0(VALU_DEP_1) | instid1(SALU_CYCLE_1)
	v_bfe_u32 v28, v28, 0, s12
	s_add_co_i32 s12, s2, 40
	s_delay_alu instid0(SALU_CYCLE_1) | instskip(NEXT) | instid1(VALU_DEP_1)
	s_cmp_le_u32 s3, s12
	v_lshl_or_b32 v28, v28, 4, v26
	ds_add_u32 v28, v27 offset:16384
	s_cbranch_scc1 .LBB1189_336
; %bb.333:
	v_lshrrev_b64 v[28:29], s12, v[20:21]
	s_sub_co_i32 s12, s3, s12
	s_delay_alu instid0(SALU_CYCLE_1)
	s_min_u32 s12, s12, 8
	s_delay_alu instid0(VALU_DEP_1) | instid1(SALU_CYCLE_1)
	v_bfe_u32 v27, v28, 0, s12
	s_add_co_i32 s12, s2, 48
	s_delay_alu instid0(SALU_CYCLE_1) | instskip(NEXT) | instid1(VALU_DEP_1)
	s_cmp_le_u32 s3, s12
	v_lshl_or_b32 v28, v27, 4, v26
	v_mov_b32_e32 v27, 1
	ds_add_u32 v28, v27 offset:20480
	s_cbranch_scc1 .LBB1189_336
; %bb.334:
	v_lshrrev_b64 v[28:29], s12, v[20:21]
	s_sub_co_i32 s12, s3, s12
	s_delay_alu instid0(SALU_CYCLE_1)
	s_min_u32 s12, s12, 8
	s_delay_alu instid0(VALU_DEP_1) | instid1(SALU_CYCLE_1)
	v_bfe_u32 v28, v28, 0, s12
	s_add_co_i32 s12, s2, 56
	s_delay_alu instid0(SALU_CYCLE_1) | instskip(NEXT) | instid1(VALU_DEP_1)
	s_cmp_le_u32 s3, s12
	v_lshl_or_b32 v28, v28, 4, v26
	ds_add_u32 v28, v27 offset:24576
	s_cbranch_scc1 .LBB1189_336
; %bb.335:
	v_lshrrev_b64 v[20:21], s12, v[20:21]
	s_sub_co_i32 s12, s3, s12
	v_mov_b32_e32 v21, 1
	s_min_u32 s12, s12, 8
	s_delay_alu instid0(VALU_DEP_2) | instid1(SALU_CYCLE_1)
	v_bfe_u32 v20, v20, 0, s12
	s_delay_alu instid0(VALU_DEP_1)
	v_lshl_or_b32 v20, v20, 4, v26
	ds_add_u32 v20, v21 offset:28672
.LBB1189_336:
	v_lshrrev_b64 v[20:21], s4, v[18:19]
	v_and_b32_e32 v21, s1, v22
	s_and_not1_b32 vcc_lo, exec_lo, s10
	s_delay_alu instid0(VALU_DEP_1) | instskip(NEXT) | instid1(VALU_DEP_3)
	v_lshl_or_b32 v21, v21, 4, v26
	v_and_b32_e32 v20, s11, v20
	s_delay_alu instid0(VALU_DEP_1)
	v_lshl_or_b32 v20, v20, 4, v26
	ds_add_u32 v21, v23
	ds_add_u32 v20, v23 offset:4096
	s_cbranch_vccnz .LBB1189_343
; %bb.337:
	v_lshrrev_b64 v[20:21], s9, v[18:19]
	s_sub_co_i32 s9, s3, s9
	s_delay_alu instid0(SALU_CYCLE_1)
	s_min_u32 s9, s9, 8
	s_delay_alu instid0(VALU_DEP_1) | instid1(SALU_CYCLE_1)
	v_bfe_u32 v20, v20, 0, s9
	s_add_co_i32 s9, s2, 24
	s_delay_alu instid0(SALU_CYCLE_1) | instskip(NEXT) | instid1(VALU_DEP_1)
	s_cmp_gt_u32 s3, s9
	v_lshl_or_b32 v21, v20, 4, v26
	v_mov_b32_e32 v20, 1
	ds_add_u32 v21, v20 offset:8192
	s_cbranch_scc0 .LBB1189_343
; %bb.338:
	v_lshrrev_b64 v[22:23], s9, v[18:19]
	s_sub_co_i32 s9, s3, s9
	s_delay_alu instid0(SALU_CYCLE_1)
	s_min_u32 s9, s9, 8
	s_delay_alu instid0(VALU_DEP_1) | instid1(SALU_CYCLE_1)
	v_bfe_u32 v21, v22, 0, s9
	s_add_co_i32 s9, s2, 32
	s_delay_alu instid0(SALU_CYCLE_1) | instskip(NEXT) | instid1(VALU_DEP_1)
	s_cmp_gt_u32 s3, s9
	v_lshl_or_b32 v21, v21, 4, v26
	ds_add_u32 v21, v20 offset:12288
	s_cbranch_scc0 .LBB1189_343
; %bb.339:
	v_lshrrev_b64 v[20:21], s9, v[18:19]
	s_sub_co_i32 s9, s3, s9
	s_delay_alu instid0(SALU_CYCLE_1)
	s_min_u32 s9, s9, 8
	s_delay_alu instid0(VALU_DEP_1) | instid1(SALU_CYCLE_1)
	v_bfe_u32 v20, v20, 0, s9
	s_add_co_i32 s9, s2, 40
	s_delay_alu instid0(SALU_CYCLE_1) | instskip(NEXT) | instid1(VALU_DEP_1)
	s_cmp_gt_u32 s3, s9
	v_lshl_or_b32 v21, v20, 4, v26
	v_mov_b32_e32 v20, 1
	ds_add_u32 v21, v20 offset:16384
	s_cbranch_scc0 .LBB1189_343
; %bb.340:
	v_lshrrev_b64 v[22:23], s9, v[18:19]
	s_sub_co_i32 s9, s3, s9
	s_delay_alu instid0(SALU_CYCLE_1)
	s_min_u32 s9, s9, 8
	s_delay_alu instid0(VALU_DEP_1) | instid1(SALU_CYCLE_1)
	v_bfe_u32 v21, v22, 0, s9
	s_add_co_i32 s9, s2, 48
	s_delay_alu instid0(SALU_CYCLE_1) | instskip(NEXT) | instid1(VALU_DEP_1)
	s_cmp_gt_u32 s3, s9
	v_lshl_or_b32 v21, v21, 4, v26
	ds_add_u32 v21, v20 offset:20480
	s_cbranch_scc0 .LBB1189_343
; %bb.341:
	v_lshrrev_b64 v[20:21], s9, v[18:19]
	s_sub_co_i32 s9, s3, s9
	v_mov_b32_e32 v21, 1
	s_min_u32 s9, s9, 8
                                        ; implicit-def: $vgpr23
	s_delay_alu instid0(VALU_DEP_2) | instid1(SALU_CYCLE_1)
	v_bfe_u32 v20, v20, 0, s9
	s_add_co_i32 s9, s2, 56
	s_delay_alu instid0(SALU_CYCLE_1) | instskip(NEXT) | instid1(VALU_DEP_1)
	s_cmp_gt_u32 s3, s9
	v_lshl_or_b32 v20, v20, 4, v26
	ds_add_u32 v20, v21 offset:24576
	s_cbranch_scc0 .LBB1189_344
; %bb.342:
	v_lshrrev_b64 v[18:19], s9, v[18:19]
	s_sub_co_i32 s8, s3, s9
	s_delay_alu instid0(SALU_CYCLE_1)
	s_min_u32 s8, s8, 8
	s_delay_alu instid0(VALU_DEP_1) | instid1(SALU_CYCLE_1)
	v_bfe_u32 v18, v18, 0, s8
	s_mov_b32 s8, -1
	s_delay_alu instid0(VALU_DEP_1)
	v_lshl_add_u32 v23, v18, 4, 0x7000
	s_branch .LBB1189_344
.LBB1189_343:
                                        ; implicit-def: $vgpr23
.LBB1189_344:
	s_and_b32 vcc_lo, exec_lo, s8
	s_cbranch_vccz .LBB1189_346
; %bb.345:
	s_delay_alu instid0(VALU_DEP_1)
	v_lshl_add_u32 v18, v25, 2, v23
	v_mov_b32_e32 v19, 1
	ds_add_u32 v18, v19
.LBB1189_346:
	v_xor_b32_e32 v21, 0x80000000, v13
	v_mov_b32_e32 v20, v12
	s_and_b32 vcc_lo, exec_lo, s5
	s_delay_alu instid0(VALU_DEP_1) | instskip(NEXT) | instid1(VALU_DEP_1)
	v_lshrrev_b64 v[18:19], s2, v[20:21]
	v_dual_mov_b32 v19, 1 :: v_dual_bitop2_b32 v18, s1, v18 bitop3:0x40
	s_delay_alu instid0(VALU_DEP_1) | instskip(SKIP_3) | instid1(VALU_DEP_1)
	v_lshl_or_b32 v18, v18, 4, v26
	ds_add_u32 v18, v19
	v_xor_b32_e32 v19, 0x80000000, v11
	v_mov_b32_e32 v18, v10
	v_lshrrev_b64 v[22:23], s2, v[18:19]
	s_cbranch_vccz .LBB1189_348
; %bb.347:
	s_delay_alu instid0(VALU_DEP_1) | instskip(SKIP_1) | instid1(VALU_DEP_1)
	v_and_b32_e32 v23, s1, v22
	s_mov_b32 s8, -1
	v_lshlrev_b32_e32 v23, 4, v23
	s_cbranch_execz .LBB1189_349
	s_branch .LBB1189_364
.LBB1189_348:
	s_mov_b32 s8, 0
                                        ; implicit-def: $vgpr23
.LBB1189_349:
	v_lshrrev_b64 v[28:29], s4, v[20:21]
	s_sub_co_i32 s9, s3, s4
	s_delay_alu instid0(SALU_CYCLE_1) | instskip(NEXT) | instid1(SALU_CYCLE_1)
	s_min_u32 s9, s9, 8
	s_lshl_b32 s10, -1, s9
	s_add_co_i32 s9, s2, 16
	s_delay_alu instid0(VALU_DEP_1) | instskip(SKIP_3) | instid1(VALU_DEP_1)
	v_bitop3_b32 v23, v28, s10, v28 bitop3:0x30
	s_not_b32 s11, s10
	s_cmp_gt_u32 s3, s9
	s_cselect_b32 s10, -1, 0
	v_lshl_or_b32 v27, v23, 4, v26
	v_mov_b32_e32 v23, 1
	s_cmp_le_u32 s3, s9
	ds_add_u32 v27, v23 offset:4096
	s_cbranch_scc1 .LBB1189_356
; %bb.350:
	v_lshrrev_b64 v[28:29], s9, v[20:21]
	s_sub_co_i32 s12, s3, s9
	s_delay_alu instid0(SALU_CYCLE_1)
	s_min_u32 s12, s12, 8
	s_delay_alu instid0(VALU_DEP_1) | instid1(SALU_CYCLE_1)
	v_bfe_u32 v27, v28, 0, s12
	s_add_co_i32 s12, s2, 24
	s_delay_alu instid0(SALU_CYCLE_1) | instskip(NEXT) | instid1(VALU_DEP_1)
	s_cmp_le_u32 s3, s12
	v_lshl_or_b32 v27, v27, 4, v26
	ds_add_u32 v27, v23 offset:8192
	s_cbranch_scc1 .LBB1189_356
; %bb.351:
	v_lshrrev_b64 v[28:29], s12, v[20:21]
	s_sub_co_i32 s12, s3, s12
	s_delay_alu instid0(SALU_CYCLE_1)
	s_min_u32 s12, s12, 8
	s_delay_alu instid0(VALU_DEP_1) | instid1(SALU_CYCLE_1)
	v_bfe_u32 v27, v28, 0, s12
	s_add_co_i32 s12, s2, 32
	s_delay_alu instid0(SALU_CYCLE_1) | instskip(NEXT) | instid1(VALU_DEP_1)
	s_cmp_le_u32 s3, s12
	v_lshl_or_b32 v28, v27, 4, v26
	v_mov_b32_e32 v27, 1
	ds_add_u32 v28, v27 offset:12288
	s_cbranch_scc1 .LBB1189_356
; %bb.352:
	v_lshrrev_b64 v[28:29], s12, v[20:21]
	s_sub_co_i32 s12, s3, s12
	s_delay_alu instid0(SALU_CYCLE_1)
	s_min_u32 s12, s12, 8
	s_delay_alu instid0(VALU_DEP_1) | instid1(SALU_CYCLE_1)
	v_bfe_u32 v28, v28, 0, s12
	s_add_co_i32 s12, s2, 40
	s_delay_alu instid0(SALU_CYCLE_1) | instskip(NEXT) | instid1(VALU_DEP_1)
	s_cmp_le_u32 s3, s12
	v_lshl_or_b32 v28, v28, 4, v26
	ds_add_u32 v28, v27 offset:16384
	s_cbranch_scc1 .LBB1189_356
; %bb.353:
	v_lshrrev_b64 v[28:29], s12, v[20:21]
	s_sub_co_i32 s12, s3, s12
	s_delay_alu instid0(SALU_CYCLE_1)
	s_min_u32 s12, s12, 8
	s_delay_alu instid0(VALU_DEP_1) | instid1(SALU_CYCLE_1)
	v_bfe_u32 v27, v28, 0, s12
	s_add_co_i32 s12, s2, 48
	s_delay_alu instid0(SALU_CYCLE_1) | instskip(NEXT) | instid1(VALU_DEP_1)
	s_cmp_le_u32 s3, s12
	v_lshl_or_b32 v28, v27, 4, v26
	v_mov_b32_e32 v27, 1
	ds_add_u32 v28, v27 offset:20480
	s_cbranch_scc1 .LBB1189_356
; %bb.354:
	v_lshrrev_b64 v[28:29], s12, v[20:21]
	s_sub_co_i32 s12, s3, s12
	s_delay_alu instid0(SALU_CYCLE_1)
	s_min_u32 s12, s12, 8
	s_delay_alu instid0(VALU_DEP_1) | instid1(SALU_CYCLE_1)
	v_bfe_u32 v28, v28, 0, s12
	s_add_co_i32 s12, s2, 56
	s_delay_alu instid0(SALU_CYCLE_1) | instskip(NEXT) | instid1(VALU_DEP_1)
	s_cmp_le_u32 s3, s12
	v_lshl_or_b32 v28, v28, 4, v26
	ds_add_u32 v28, v27 offset:24576
	s_cbranch_scc1 .LBB1189_356
; %bb.355:
	v_lshrrev_b64 v[20:21], s12, v[20:21]
	s_sub_co_i32 s12, s3, s12
	v_mov_b32_e32 v21, 1
	s_min_u32 s12, s12, 8
	s_delay_alu instid0(VALU_DEP_2) | instid1(SALU_CYCLE_1)
	v_bfe_u32 v20, v20, 0, s12
	s_delay_alu instid0(VALU_DEP_1)
	v_lshl_or_b32 v20, v20, 4, v26
	ds_add_u32 v20, v21 offset:28672
.LBB1189_356:
	v_lshrrev_b64 v[20:21], s4, v[18:19]
	v_and_b32_e32 v21, s1, v22
	s_and_not1_b32 vcc_lo, exec_lo, s10
	s_delay_alu instid0(VALU_DEP_1) | instskip(NEXT) | instid1(VALU_DEP_3)
	v_lshl_or_b32 v21, v21, 4, v26
	v_and_b32_e32 v20, s11, v20
	s_delay_alu instid0(VALU_DEP_1)
	v_lshl_or_b32 v20, v20, 4, v26
	ds_add_u32 v21, v23
	ds_add_u32 v20, v23 offset:4096
	s_cbranch_vccnz .LBB1189_363
; %bb.357:
	v_lshrrev_b64 v[20:21], s9, v[18:19]
	s_sub_co_i32 s9, s3, s9
	s_delay_alu instid0(SALU_CYCLE_1)
	s_min_u32 s9, s9, 8
	s_delay_alu instid0(VALU_DEP_1) | instid1(SALU_CYCLE_1)
	v_bfe_u32 v20, v20, 0, s9
	s_add_co_i32 s9, s2, 24
	s_delay_alu instid0(SALU_CYCLE_1) | instskip(NEXT) | instid1(VALU_DEP_1)
	s_cmp_gt_u32 s3, s9
	v_lshl_or_b32 v21, v20, 4, v26
	v_mov_b32_e32 v20, 1
	ds_add_u32 v21, v20 offset:8192
	s_cbranch_scc0 .LBB1189_363
; %bb.358:
	v_lshrrev_b64 v[22:23], s9, v[18:19]
	s_sub_co_i32 s9, s3, s9
	s_delay_alu instid0(SALU_CYCLE_1)
	s_min_u32 s9, s9, 8
	s_delay_alu instid0(VALU_DEP_1) | instid1(SALU_CYCLE_1)
	v_bfe_u32 v21, v22, 0, s9
	s_add_co_i32 s9, s2, 32
	s_delay_alu instid0(SALU_CYCLE_1) | instskip(NEXT) | instid1(VALU_DEP_1)
	s_cmp_gt_u32 s3, s9
	v_lshl_or_b32 v21, v21, 4, v26
	ds_add_u32 v21, v20 offset:12288
	s_cbranch_scc0 .LBB1189_363
; %bb.359:
	v_lshrrev_b64 v[20:21], s9, v[18:19]
	s_sub_co_i32 s9, s3, s9
	s_delay_alu instid0(SALU_CYCLE_1)
	s_min_u32 s9, s9, 8
	s_delay_alu instid0(VALU_DEP_1) | instid1(SALU_CYCLE_1)
	v_bfe_u32 v20, v20, 0, s9
	s_add_co_i32 s9, s2, 40
	s_delay_alu instid0(SALU_CYCLE_1) | instskip(NEXT) | instid1(VALU_DEP_1)
	s_cmp_gt_u32 s3, s9
	v_lshl_or_b32 v21, v20, 4, v26
	v_mov_b32_e32 v20, 1
	ds_add_u32 v21, v20 offset:16384
	s_cbranch_scc0 .LBB1189_363
; %bb.360:
	v_lshrrev_b64 v[22:23], s9, v[18:19]
	s_sub_co_i32 s9, s3, s9
	s_delay_alu instid0(SALU_CYCLE_1)
	s_min_u32 s9, s9, 8
	s_delay_alu instid0(VALU_DEP_1) | instid1(SALU_CYCLE_1)
	v_bfe_u32 v21, v22, 0, s9
	s_add_co_i32 s9, s2, 48
	s_delay_alu instid0(SALU_CYCLE_1) | instskip(NEXT) | instid1(VALU_DEP_1)
	s_cmp_gt_u32 s3, s9
	v_lshl_or_b32 v21, v21, 4, v26
	ds_add_u32 v21, v20 offset:20480
	s_cbranch_scc0 .LBB1189_363
; %bb.361:
	v_lshrrev_b64 v[20:21], s9, v[18:19]
	s_sub_co_i32 s9, s3, s9
	v_mov_b32_e32 v21, 1
	s_min_u32 s9, s9, 8
                                        ; implicit-def: $vgpr23
	s_delay_alu instid0(VALU_DEP_2) | instid1(SALU_CYCLE_1)
	v_bfe_u32 v20, v20, 0, s9
	s_add_co_i32 s9, s2, 56
	s_delay_alu instid0(SALU_CYCLE_1) | instskip(NEXT) | instid1(VALU_DEP_1)
	s_cmp_gt_u32 s3, s9
	v_lshl_or_b32 v20, v20, 4, v26
	ds_add_u32 v20, v21 offset:24576
	s_cbranch_scc0 .LBB1189_364
; %bb.362:
	v_lshrrev_b64 v[18:19], s9, v[18:19]
	s_sub_co_i32 s8, s3, s9
	s_delay_alu instid0(SALU_CYCLE_1)
	s_min_u32 s8, s8, 8
	s_delay_alu instid0(VALU_DEP_1) | instid1(SALU_CYCLE_1)
	v_bfe_u32 v18, v18, 0, s8
	s_mov_b32 s8, -1
	s_delay_alu instid0(VALU_DEP_1)
	v_lshl_add_u32 v23, v18, 4, 0x7000
	s_branch .LBB1189_364
.LBB1189_363:
                                        ; implicit-def: $vgpr23
.LBB1189_364:
	s_and_b32 vcc_lo, exec_lo, s8
	s_cbranch_vccz .LBB1189_366
; %bb.365:
	s_delay_alu instid0(VALU_DEP_1)
	v_lshl_add_u32 v18, v25, 2, v23
	v_mov_b32_e32 v19, 1
	ds_add_u32 v18, v19
.LBB1189_366:
	v_xor_b32_e32 v21, 0x80000000, v9
	v_mov_b32_e32 v20, v8
	s_and_b32 vcc_lo, exec_lo, s5
	s_delay_alu instid0(VALU_DEP_1) | instskip(NEXT) | instid1(VALU_DEP_1)
	v_lshrrev_b64 v[18:19], s2, v[20:21]
	v_dual_mov_b32 v19, 1 :: v_dual_bitop2_b32 v18, s1, v18 bitop3:0x40
	s_delay_alu instid0(VALU_DEP_1) | instskip(SKIP_3) | instid1(VALU_DEP_1)
	v_lshl_or_b32 v18, v18, 4, v26
	ds_add_u32 v18, v19
	v_xor_b32_e32 v19, 0x80000000, v7
	v_mov_b32_e32 v18, v6
	v_lshrrev_b64 v[22:23], s2, v[18:19]
	s_cbranch_vccz .LBB1189_368
; %bb.367:
	s_delay_alu instid0(VALU_DEP_1) | instskip(SKIP_1) | instid1(VALU_DEP_1)
	v_and_b32_e32 v23, s1, v22
	s_mov_b32 s8, -1
	v_lshlrev_b32_e32 v23, 4, v23
	s_cbranch_execz .LBB1189_369
	s_branch .LBB1189_384
.LBB1189_368:
	s_mov_b32 s8, 0
                                        ; implicit-def: $vgpr23
.LBB1189_369:
	v_lshrrev_b64 v[28:29], s4, v[20:21]
	s_sub_co_i32 s9, s3, s4
	s_delay_alu instid0(SALU_CYCLE_1) | instskip(NEXT) | instid1(SALU_CYCLE_1)
	s_min_u32 s9, s9, 8
	s_lshl_b32 s10, -1, s9
	s_add_co_i32 s9, s2, 16
	s_delay_alu instid0(VALU_DEP_1) | instskip(SKIP_3) | instid1(VALU_DEP_1)
	v_bitop3_b32 v23, v28, s10, v28 bitop3:0x30
	s_not_b32 s11, s10
	s_cmp_gt_u32 s3, s9
	s_cselect_b32 s10, -1, 0
	v_lshl_or_b32 v27, v23, 4, v26
	v_mov_b32_e32 v23, 1
	s_cmp_le_u32 s3, s9
	ds_add_u32 v27, v23 offset:4096
	s_cbranch_scc1 .LBB1189_376
; %bb.370:
	v_lshrrev_b64 v[28:29], s9, v[20:21]
	s_sub_co_i32 s12, s3, s9
	s_delay_alu instid0(SALU_CYCLE_1)
	s_min_u32 s12, s12, 8
	s_delay_alu instid0(VALU_DEP_1) | instid1(SALU_CYCLE_1)
	v_bfe_u32 v27, v28, 0, s12
	s_add_co_i32 s12, s2, 24
	s_delay_alu instid0(SALU_CYCLE_1) | instskip(NEXT) | instid1(VALU_DEP_1)
	s_cmp_le_u32 s3, s12
	v_lshl_or_b32 v27, v27, 4, v26
	ds_add_u32 v27, v23 offset:8192
	s_cbranch_scc1 .LBB1189_376
; %bb.371:
	v_lshrrev_b64 v[28:29], s12, v[20:21]
	s_sub_co_i32 s12, s3, s12
	s_delay_alu instid0(SALU_CYCLE_1)
	s_min_u32 s12, s12, 8
	s_delay_alu instid0(VALU_DEP_1) | instid1(SALU_CYCLE_1)
	v_bfe_u32 v27, v28, 0, s12
	s_add_co_i32 s12, s2, 32
	s_delay_alu instid0(SALU_CYCLE_1) | instskip(NEXT) | instid1(VALU_DEP_1)
	s_cmp_le_u32 s3, s12
	v_lshl_or_b32 v28, v27, 4, v26
	v_mov_b32_e32 v27, 1
	ds_add_u32 v28, v27 offset:12288
	s_cbranch_scc1 .LBB1189_376
; %bb.372:
	v_lshrrev_b64 v[28:29], s12, v[20:21]
	s_sub_co_i32 s12, s3, s12
	s_delay_alu instid0(SALU_CYCLE_1)
	s_min_u32 s12, s12, 8
	s_delay_alu instid0(VALU_DEP_1) | instid1(SALU_CYCLE_1)
	v_bfe_u32 v28, v28, 0, s12
	s_add_co_i32 s12, s2, 40
	s_delay_alu instid0(SALU_CYCLE_1) | instskip(NEXT) | instid1(VALU_DEP_1)
	s_cmp_le_u32 s3, s12
	v_lshl_or_b32 v28, v28, 4, v26
	ds_add_u32 v28, v27 offset:16384
	s_cbranch_scc1 .LBB1189_376
; %bb.373:
	v_lshrrev_b64 v[28:29], s12, v[20:21]
	s_sub_co_i32 s12, s3, s12
	s_delay_alu instid0(SALU_CYCLE_1)
	s_min_u32 s12, s12, 8
	s_delay_alu instid0(VALU_DEP_1) | instid1(SALU_CYCLE_1)
	v_bfe_u32 v27, v28, 0, s12
	s_add_co_i32 s12, s2, 48
	s_delay_alu instid0(SALU_CYCLE_1) | instskip(NEXT) | instid1(VALU_DEP_1)
	s_cmp_le_u32 s3, s12
	v_lshl_or_b32 v28, v27, 4, v26
	v_mov_b32_e32 v27, 1
	ds_add_u32 v28, v27 offset:20480
	s_cbranch_scc1 .LBB1189_376
; %bb.374:
	v_lshrrev_b64 v[28:29], s12, v[20:21]
	s_sub_co_i32 s12, s3, s12
	s_delay_alu instid0(SALU_CYCLE_1)
	s_min_u32 s12, s12, 8
	s_delay_alu instid0(VALU_DEP_1) | instid1(SALU_CYCLE_1)
	v_bfe_u32 v28, v28, 0, s12
	s_add_co_i32 s12, s2, 56
	s_delay_alu instid0(SALU_CYCLE_1) | instskip(NEXT) | instid1(VALU_DEP_1)
	s_cmp_le_u32 s3, s12
	v_lshl_or_b32 v28, v28, 4, v26
	ds_add_u32 v28, v27 offset:24576
	s_cbranch_scc1 .LBB1189_376
; %bb.375:
	v_lshrrev_b64 v[20:21], s12, v[20:21]
	s_sub_co_i32 s12, s3, s12
	v_mov_b32_e32 v21, 1
	s_min_u32 s12, s12, 8
	s_delay_alu instid0(VALU_DEP_2) | instid1(SALU_CYCLE_1)
	v_bfe_u32 v20, v20, 0, s12
	s_delay_alu instid0(VALU_DEP_1)
	v_lshl_or_b32 v20, v20, 4, v26
	ds_add_u32 v20, v21 offset:28672
.LBB1189_376:
	v_lshrrev_b64 v[20:21], s4, v[18:19]
	v_and_b32_e32 v21, s1, v22
	s_and_not1_b32 vcc_lo, exec_lo, s10
	s_delay_alu instid0(VALU_DEP_1) | instskip(NEXT) | instid1(VALU_DEP_3)
	v_lshl_or_b32 v21, v21, 4, v26
	v_and_b32_e32 v20, s11, v20
	s_delay_alu instid0(VALU_DEP_1)
	v_lshl_or_b32 v20, v20, 4, v26
	ds_add_u32 v21, v23
	ds_add_u32 v20, v23 offset:4096
	s_cbranch_vccnz .LBB1189_383
; %bb.377:
	v_lshrrev_b64 v[20:21], s9, v[18:19]
	s_sub_co_i32 s9, s3, s9
	s_delay_alu instid0(SALU_CYCLE_1)
	s_min_u32 s9, s9, 8
	s_delay_alu instid0(VALU_DEP_1) | instid1(SALU_CYCLE_1)
	v_bfe_u32 v20, v20, 0, s9
	s_add_co_i32 s9, s2, 24
	s_delay_alu instid0(SALU_CYCLE_1) | instskip(NEXT) | instid1(VALU_DEP_1)
	s_cmp_gt_u32 s3, s9
	v_lshl_or_b32 v21, v20, 4, v26
	v_mov_b32_e32 v20, 1
	ds_add_u32 v21, v20 offset:8192
	s_cbranch_scc0 .LBB1189_383
; %bb.378:
	v_lshrrev_b64 v[22:23], s9, v[18:19]
	s_sub_co_i32 s9, s3, s9
	s_delay_alu instid0(SALU_CYCLE_1)
	s_min_u32 s9, s9, 8
	s_delay_alu instid0(VALU_DEP_1) | instid1(SALU_CYCLE_1)
	v_bfe_u32 v21, v22, 0, s9
	s_add_co_i32 s9, s2, 32
	s_delay_alu instid0(SALU_CYCLE_1) | instskip(NEXT) | instid1(VALU_DEP_1)
	s_cmp_gt_u32 s3, s9
	v_lshl_or_b32 v21, v21, 4, v26
	ds_add_u32 v21, v20 offset:12288
	s_cbranch_scc0 .LBB1189_383
; %bb.379:
	v_lshrrev_b64 v[20:21], s9, v[18:19]
	s_sub_co_i32 s9, s3, s9
	s_delay_alu instid0(SALU_CYCLE_1)
	s_min_u32 s9, s9, 8
	s_delay_alu instid0(VALU_DEP_1) | instid1(SALU_CYCLE_1)
	v_bfe_u32 v20, v20, 0, s9
	s_add_co_i32 s9, s2, 40
	s_delay_alu instid0(SALU_CYCLE_1) | instskip(NEXT) | instid1(VALU_DEP_1)
	s_cmp_gt_u32 s3, s9
	v_lshl_or_b32 v21, v20, 4, v26
	v_mov_b32_e32 v20, 1
	ds_add_u32 v21, v20 offset:16384
	s_cbranch_scc0 .LBB1189_383
; %bb.380:
	v_lshrrev_b64 v[22:23], s9, v[18:19]
	s_sub_co_i32 s9, s3, s9
	s_delay_alu instid0(SALU_CYCLE_1)
	s_min_u32 s9, s9, 8
	s_delay_alu instid0(VALU_DEP_1) | instid1(SALU_CYCLE_1)
	v_bfe_u32 v21, v22, 0, s9
	s_add_co_i32 s9, s2, 48
	s_delay_alu instid0(SALU_CYCLE_1) | instskip(NEXT) | instid1(VALU_DEP_1)
	s_cmp_gt_u32 s3, s9
	v_lshl_or_b32 v21, v21, 4, v26
	ds_add_u32 v21, v20 offset:20480
	s_cbranch_scc0 .LBB1189_383
; %bb.381:
	v_lshrrev_b64 v[20:21], s9, v[18:19]
	s_sub_co_i32 s9, s3, s9
	v_mov_b32_e32 v21, 1
	s_min_u32 s9, s9, 8
                                        ; implicit-def: $vgpr23
	s_delay_alu instid0(VALU_DEP_2) | instid1(SALU_CYCLE_1)
	v_bfe_u32 v20, v20, 0, s9
	s_add_co_i32 s9, s2, 56
	s_delay_alu instid0(SALU_CYCLE_1) | instskip(NEXT) | instid1(VALU_DEP_1)
	s_cmp_gt_u32 s3, s9
	v_lshl_or_b32 v20, v20, 4, v26
	ds_add_u32 v20, v21 offset:24576
	s_cbranch_scc0 .LBB1189_384
; %bb.382:
	v_lshrrev_b64 v[18:19], s9, v[18:19]
	s_sub_co_i32 s8, s3, s9
	s_delay_alu instid0(SALU_CYCLE_1)
	s_min_u32 s8, s8, 8
	s_delay_alu instid0(VALU_DEP_1) | instid1(SALU_CYCLE_1)
	v_bfe_u32 v18, v18, 0, s8
	s_mov_b32 s8, -1
	s_delay_alu instid0(VALU_DEP_1)
	v_lshl_add_u32 v23, v18, 4, 0x7000
	s_branch .LBB1189_384
.LBB1189_383:
                                        ; implicit-def: $vgpr23
.LBB1189_384:
	s_and_b32 vcc_lo, exec_lo, s8
	s_cbranch_vccz .LBB1189_386
; %bb.385:
	s_delay_alu instid0(VALU_DEP_1)
	v_lshl_add_u32 v18, v25, 2, v23
	v_mov_b32_e32 v19, 1
	ds_add_u32 v18, v19
.LBB1189_386:
	v_xor_b32_e32 v21, 0x80000000, v5
	v_mov_b32_e32 v20, v4
	s_and_b32 vcc_lo, exec_lo, s5
	s_delay_alu instid0(VALU_DEP_1) | instskip(NEXT) | instid1(VALU_DEP_1)
	v_lshrrev_b64 v[18:19], s2, v[20:21]
	v_dual_mov_b32 v19, 1 :: v_dual_bitop2_b32 v18, s1, v18 bitop3:0x40
	s_delay_alu instid0(VALU_DEP_1) | instskip(SKIP_3) | instid1(VALU_DEP_1)
	v_lshl_or_b32 v18, v18, 4, v26
	ds_add_u32 v18, v19
	v_xor_b32_e32 v19, 0x80000000, v3
	v_mov_b32_e32 v18, v2
	v_lshrrev_b64 v[22:23], s2, v[18:19]
	s_cbranch_vccz .LBB1189_388
; %bb.387:
	s_delay_alu instid0(VALU_DEP_1) | instskip(SKIP_1) | instid1(VALU_DEP_1)
	v_and_b32_e32 v23, s1, v22
	s_mov_b32 s5, -1
	v_lshlrev_b32_e32 v23, 4, v23
	s_cbranch_execz .LBB1189_389
	s_branch .LBB1189_404
.LBB1189_388:
	s_mov_b32 s5, 0
                                        ; implicit-def: $vgpr23
.LBB1189_389:
	v_lshrrev_b64 v[28:29], s4, v[20:21]
	s_sub_co_i32 s8, s3, s4
	s_delay_alu instid0(SALU_CYCLE_1) | instskip(NEXT) | instid1(SALU_CYCLE_1)
	s_min_u32 s8, s8, 8
	s_lshl_b32 s9, -1, s8
	s_add_co_i32 s8, s2, 16
	s_delay_alu instid0(VALU_DEP_1) | instskip(SKIP_3) | instid1(VALU_DEP_1)
	v_bitop3_b32 v23, v28, s9, v28 bitop3:0x30
	s_not_b32 s10, s9
	s_cmp_gt_u32 s3, s8
	s_cselect_b32 s9, -1, 0
	v_lshl_or_b32 v27, v23, 4, v26
	v_mov_b32_e32 v23, 1
	s_cmp_le_u32 s3, s8
	ds_add_u32 v27, v23 offset:4096
	s_cbranch_scc1 .LBB1189_396
; %bb.390:
	v_lshrrev_b64 v[28:29], s8, v[20:21]
	s_sub_co_i32 s11, s3, s8
	s_delay_alu instid0(SALU_CYCLE_1)
	s_min_u32 s11, s11, 8
	s_delay_alu instid0(VALU_DEP_1) | instid1(SALU_CYCLE_1)
	v_bfe_u32 v27, v28, 0, s11
	s_add_co_i32 s11, s2, 24
	s_delay_alu instid0(SALU_CYCLE_1) | instskip(NEXT) | instid1(VALU_DEP_1)
	s_cmp_le_u32 s3, s11
	v_lshl_or_b32 v27, v27, 4, v26
	ds_add_u32 v27, v23 offset:8192
	s_cbranch_scc1 .LBB1189_396
; %bb.391:
	v_lshrrev_b64 v[28:29], s11, v[20:21]
	s_sub_co_i32 s11, s3, s11
	s_delay_alu instid0(SALU_CYCLE_1)
	s_min_u32 s11, s11, 8
	s_delay_alu instid0(VALU_DEP_1) | instid1(SALU_CYCLE_1)
	v_bfe_u32 v27, v28, 0, s11
	s_add_co_i32 s11, s2, 32
	s_delay_alu instid0(SALU_CYCLE_1) | instskip(NEXT) | instid1(VALU_DEP_1)
	s_cmp_le_u32 s3, s11
	v_lshl_or_b32 v28, v27, 4, v26
	v_mov_b32_e32 v27, 1
	ds_add_u32 v28, v27 offset:12288
	s_cbranch_scc1 .LBB1189_396
; %bb.392:
	v_lshrrev_b64 v[28:29], s11, v[20:21]
	s_sub_co_i32 s11, s3, s11
	s_delay_alu instid0(SALU_CYCLE_1)
	s_min_u32 s11, s11, 8
	s_delay_alu instid0(VALU_DEP_1) | instid1(SALU_CYCLE_1)
	v_bfe_u32 v28, v28, 0, s11
	s_add_co_i32 s11, s2, 40
	s_delay_alu instid0(SALU_CYCLE_1) | instskip(NEXT) | instid1(VALU_DEP_1)
	s_cmp_le_u32 s3, s11
	v_lshl_or_b32 v28, v28, 4, v26
	ds_add_u32 v28, v27 offset:16384
	s_cbranch_scc1 .LBB1189_396
; %bb.393:
	v_lshrrev_b64 v[28:29], s11, v[20:21]
	s_sub_co_i32 s11, s3, s11
	s_delay_alu instid0(SALU_CYCLE_1)
	s_min_u32 s11, s11, 8
	s_delay_alu instid0(VALU_DEP_1) | instid1(SALU_CYCLE_1)
	v_bfe_u32 v27, v28, 0, s11
	s_add_co_i32 s11, s2, 48
	s_delay_alu instid0(SALU_CYCLE_1) | instskip(NEXT) | instid1(VALU_DEP_1)
	s_cmp_le_u32 s3, s11
	v_lshl_or_b32 v28, v27, 4, v26
	v_mov_b32_e32 v27, 1
	ds_add_u32 v28, v27 offset:20480
	s_cbranch_scc1 .LBB1189_396
; %bb.394:
	v_lshrrev_b64 v[28:29], s11, v[20:21]
	s_sub_co_i32 s11, s3, s11
	s_delay_alu instid0(SALU_CYCLE_1)
	s_min_u32 s11, s11, 8
	s_delay_alu instid0(VALU_DEP_1) | instid1(SALU_CYCLE_1)
	v_bfe_u32 v28, v28, 0, s11
	s_add_co_i32 s11, s2, 56
	s_delay_alu instid0(SALU_CYCLE_1) | instskip(NEXT) | instid1(VALU_DEP_1)
	s_cmp_le_u32 s3, s11
	v_lshl_or_b32 v28, v28, 4, v26
	ds_add_u32 v28, v27 offset:24576
	s_cbranch_scc1 .LBB1189_396
; %bb.395:
	v_lshrrev_b64 v[20:21], s11, v[20:21]
	s_sub_co_i32 s11, s3, s11
	v_mov_b32_e32 v21, 1
	s_min_u32 s11, s11, 8
	s_delay_alu instid0(VALU_DEP_2) | instid1(SALU_CYCLE_1)
	v_bfe_u32 v20, v20, 0, s11
	s_delay_alu instid0(VALU_DEP_1)
	v_lshl_or_b32 v20, v20, 4, v26
	ds_add_u32 v20, v21 offset:28672
.LBB1189_396:
	v_lshrrev_b64 v[20:21], s4, v[18:19]
	v_and_b32_e32 v21, s1, v22
	s_and_not1_b32 vcc_lo, exec_lo, s9
	s_delay_alu instid0(VALU_DEP_1) | instskip(NEXT) | instid1(VALU_DEP_3)
	v_lshl_or_b32 v21, v21, 4, v26
	v_and_b32_e32 v20, s10, v20
	s_delay_alu instid0(VALU_DEP_1)
	v_lshl_or_b32 v20, v20, 4, v26
	ds_add_u32 v21, v23
	ds_add_u32 v20, v23 offset:4096
	s_cbranch_vccnz .LBB1189_403
; %bb.397:
	v_lshrrev_b64 v[20:21], s8, v[18:19]
	s_sub_co_i32 s1, s3, s8
	s_delay_alu instid0(SALU_CYCLE_1)
	s_min_u32 s1, s1, 8
	s_delay_alu instid0(VALU_DEP_1) | instid1(SALU_CYCLE_1)
	v_bfe_u32 v20, v20, 0, s1
	s_add_co_i32 s1, s2, 24
	s_delay_alu instid0(SALU_CYCLE_1) | instskip(NEXT) | instid1(VALU_DEP_1)
	s_cmp_gt_u32 s3, s1
	v_lshl_or_b32 v21, v20, 4, v26
	v_mov_b32_e32 v20, 1
	ds_add_u32 v21, v20 offset:8192
	s_cbranch_scc0 .LBB1189_403
; %bb.398:
	v_lshrrev_b64 v[22:23], s1, v[18:19]
	s_sub_co_i32 s1, s3, s1
	s_delay_alu instid0(SALU_CYCLE_1)
	s_min_u32 s1, s1, 8
	s_delay_alu instid0(VALU_DEP_1) | instid1(SALU_CYCLE_1)
	v_bfe_u32 v21, v22, 0, s1
	s_add_co_i32 s1, s2, 32
	s_delay_alu instid0(SALU_CYCLE_1) | instskip(NEXT) | instid1(VALU_DEP_1)
	s_cmp_gt_u32 s3, s1
	v_lshl_or_b32 v21, v21, 4, v26
	ds_add_u32 v21, v20 offset:12288
	s_cbranch_scc0 .LBB1189_403
; %bb.399:
	v_lshrrev_b64 v[20:21], s1, v[18:19]
	s_sub_co_i32 s1, s3, s1
	s_delay_alu instid0(SALU_CYCLE_1)
	s_min_u32 s1, s1, 8
	s_delay_alu instid0(VALU_DEP_1) | instid1(SALU_CYCLE_1)
	v_bfe_u32 v20, v20, 0, s1
	s_add_co_i32 s1, s2, 40
	s_delay_alu instid0(SALU_CYCLE_1) | instskip(NEXT) | instid1(VALU_DEP_1)
	s_cmp_gt_u32 s3, s1
	v_lshl_or_b32 v21, v20, 4, v26
	v_mov_b32_e32 v20, 1
	ds_add_u32 v21, v20 offset:16384
	s_cbranch_scc0 .LBB1189_403
; %bb.400:
	v_lshrrev_b64 v[22:23], s1, v[18:19]
	s_sub_co_i32 s1, s3, s1
	s_delay_alu instid0(SALU_CYCLE_1)
	s_min_u32 s1, s1, 8
	s_delay_alu instid0(VALU_DEP_1) | instid1(SALU_CYCLE_1)
	v_bfe_u32 v21, v22, 0, s1
	s_add_co_i32 s1, s2, 48
	s_delay_alu instid0(SALU_CYCLE_1) | instskip(NEXT) | instid1(VALU_DEP_1)
	s_cmp_gt_u32 s3, s1
	v_lshl_or_b32 v21, v21, 4, v26
	ds_add_u32 v21, v20 offset:20480
	s_cbranch_scc0 .LBB1189_403
; %bb.401:
	v_lshrrev_b64 v[20:21], s1, v[18:19]
	s_sub_co_i32 s1, s3, s1
	v_mov_b32_e32 v21, 1
	s_min_u32 s1, s1, 8
                                        ; implicit-def: $vgpr23
	s_delay_alu instid0(VALU_DEP_2) | instid1(SALU_CYCLE_1)
	v_bfe_u32 v20, v20, 0, s1
	s_add_co_i32 s1, s2, 56
	s_delay_alu instid0(SALU_CYCLE_1) | instskip(NEXT) | instid1(VALU_DEP_1)
	s_cmp_gt_u32 s3, s1
	v_lshl_or_b32 v20, v20, 4, v26
	ds_add_u32 v20, v21 offset:24576
	s_cbranch_scc0 .LBB1189_404
; %bb.402:
	v_lshrrev_b64 v[18:19], s1, v[18:19]
	s_sub_co_i32 s1, s3, s1
	s_mov_b32 s5, -1
	s_min_u32 s1, s1, 8
	s_delay_alu instid0(VALU_DEP_1) | instid1(SALU_CYCLE_1)
	v_bfe_u32 v18, v18, 0, s1
	s_delay_alu instid0(VALU_DEP_1)
	v_lshl_add_u32 v23, v18, 4, 0x7000
	s_branch .LBB1189_404
.LBB1189_403:
                                        ; implicit-def: $vgpr23
.LBB1189_404:
	s_and_b32 vcc_lo, exec_lo, s5
	s_cbranch_vccz .LBB1189_406
; %bb.405:
	s_delay_alu instid0(VALU_DEP_1)
	v_lshl_add_u32 v18, v25, 2, v23
	v_mov_b32_e32 v19, 1
	ds_add_u32 v18, v19
.LBB1189_406:
	s_and_b32 vcc_lo, exec_lo, s0
	s_wait_dscnt 0x0
	s_barrier_signal -1
	s_barrier_wait -1
	s_cbranch_vccz .LBB1189_411
; %bb.407:
	v_dual_mov_b32 v19, 0 :: v_dual_lshlrev_b32 v20, 4, v0
	v_mov_b32_e32 v21, v0
	v_cmp_gt_u32_e32 vcc_lo, 0x100, v0
	s_branch .LBB1189_409
.LBB1189_408:                           ;   in Loop: Header=BB1189_409 Depth=1
	s_wait_xcnt 0x0
	s_or_b32 exec_lo, exec_lo, s0
	v_add_nc_u32_e32 v21, 0x100, v21
	v_add_nc_u32_e32 v20, 0x1000, v20
	s_add_co_i32 s2, s2, 8
	s_delay_alu instid0(SALU_CYCLE_1)
	s_cmp_ge_u32 s2, s3
	s_cbranch_scc1 .LBB1189_411
.LBB1189_409:                           ; =>This Inner Loop Header: Depth=1
	s_and_saveexec_b32 s0, vcc_lo
	s_cbranch_execz .LBB1189_408
; %bb.410:                              ;   in Loop: Header=BB1189_409 Depth=1
	ds_load_2addr_b32 v[22:23], v20 offset1:1
	ds_load_2addr_b32 v[26:27], v20 offset0:2 offset1:3
	s_wait_dscnt 0x1
	v_add_nc_u32_e32 v18, v23, v22
	s_wait_dscnt 0x0
	s_delay_alu instid0(VALU_DEP_1)
	v_add3_u32 v18, v18, v26, v27
	global_atomic_add_u64 v21, v[18:19], s[6:7] scale_offset scope:SCOPE_DEV
	s_branch .LBB1189_408
.LBB1189_411:
	s_mov_b32 s1, 0
.LBB1189_412:
	s_delay_alu instid0(SALU_CYCLE_1)
	s_and_b32 vcc_lo, exec_lo, s1
	s_cbranch_vccz .LBB1189_417
; %bb.413:
	v_mov_b32_e32 v18, 0
	s_mov_b32 s0, 0
.LBB1189_414:                           ; =>This Inner Loop Header: Depth=1
	v_add_nc_u32_e32 v1, 0x200, v1
	ds_store_b32 v24, v18
	v_add_nc_u32_e32 v24, 0x800, v24
	v_cmp_lt_u32_e32 vcc_lo, 0x1dff, v1
	s_or_b32 s0, vcc_lo, s0
	s_delay_alu instid0(SALU_CYCLE_1)
	s_and_not1_b32 exec_lo, exec_lo, s0
	s_cbranch_execnz .LBB1189_414
; %bb.415:
	s_or_b32 exec_lo, exec_lo, s0
	v_dual_mov_b32 v19, 1 :: v_dual_bitop2_b32 v1, 3, v0 bitop3:0x40
	s_wait_loadcnt 0x7
	v_dual_lshlrev_b32 v18, 4, v16 :: v_dual_lshrrev_b32 v20, 4, v16
	s_delay_alu instid0(VALU_DEP_2)
	v_dual_lshrrev_b32 v21, 12, v16 :: v_dual_lshlrev_b32 v1, 2, v1
	v_lshrrev_b32_e32 v22, 20, v16
	v_alignbit_b32 v16, v17, v16, 30
	s_wait_storecnt 0x0
	s_wait_loadcnt_dscnt 0x0
	s_barrier_signal -1
	v_and_or_b32 v18, 0xff0, v18, v1
	v_and_or_b32 v20, 0xff0, v20, v1
	s_barrier_wait -1
	v_and_or_b32 v21, 0xff0, v21, v1
	ds_add_u32 v18, v19
	v_lshrrev_b32_e32 v18, 6, v17
	ds_add_u32 v20, v19 offset:4096
	ds_add_u32 v21, v19 offset:8192
	v_and_b32_e32 v16, 0x3fc, v16
	v_dual_lshrrev_b32 v20, 14, v17 :: v_dual_lshrrev_b32 v17, 22, v17
	v_and_b32_e32 v18, 0x3fc, v18
	v_and_or_b32 v22, 0xff0, v22, v1
	s_movk_i32 s0, 0x200
	v_lshl_or_b32 v16, v16, 2, v1
	v_and_b32_e32 v20, 0x3fc, v20
	v_lshl_or_b32 v18, v18, 2, v1
	v_bitop3_b32 v17, v17, s0, 0x3fc bitop3:0x6c
	v_lshlrev_b32_e32 v21, 4, v14
	ds_add_u32 v22, v19 offset:12288
	ds_add_u32 v16, v19 offset:16384
	;; [unrolled: 1-line block ×3, first 2 shown]
	v_lshl_or_b32 v16, v20, 2, v1
	v_lshrrev_b32_e32 v20, 4, v14
	v_lshl_or_b32 v17, v17, 2, v1
	v_and_or_b32 v18, 0xff0, v21, v1
	v_lshrrev_b32_e32 v21, 12, v14
	ds_add_u32 v16, v19 offset:24576
	ds_add_u32 v17, v19 offset:28672
	ds_add_u32 v18, v19
	v_and_or_b32 v16, 0xff0, v20, v1
	v_lshrrev_b32_e32 v18, 20, v14
	v_alignbit_b32 v14, v15, v14, 30
	v_lshrrev_b32_e32 v20, 6, v15
	v_and_or_b32 v17, 0xff0, v21, v1
	ds_add_u32 v16, v19 offset:4096
	ds_add_u32 v17, v19 offset:8192
	v_and_or_b32 v16, 0xff0, v18, v1
	v_and_b32_e32 v14, 0x3fc, v14
	v_lshrrev_b32_e32 v18, 14, v15
	v_and_b32_e32 v17, 0x3fc, v20
	v_lshrrev_b32_e32 v15, 22, v15
	ds_add_u32 v16, v19 offset:12288
	v_lshl_or_b32 v14, v14, 2, v1
	v_lshl_or_b32 v16, v17, 2, v1
	v_and_b32_e32 v17, 0x3fc, v18
	v_lshlrev_b32_e32 v18, 4, v12
	v_bitop3_b32 v15, v15, s0, 0x3fc bitop3:0x6c
	ds_add_u32 v14, v19 offset:16384
	ds_add_u32 v16, v19 offset:20480
	v_lshl_or_b32 v14, v17, 2, v1
	v_lshrrev_b32_e32 v17, 4, v12
	v_lshl_or_b32 v15, v15, 2, v1
	v_and_or_b32 v16, 0xff0, v18, v1
	v_lshrrev_b32_e32 v18, 12, v12
	ds_add_u32 v14, v19 offset:24576
	ds_add_u32 v15, v19 offset:28672
	ds_add_u32 v16, v19
	v_and_or_b32 v14, 0xff0, v17, v1
	v_alignbit_b32 v16, v13, v12, 30
	v_and_or_b32 v15, 0xff0, v18, v1
	v_dual_lshrrev_b32 v17, 6, v13 :: v_dual_lshrrev_b32 v12, 20, v12
	ds_add_u32 v14, v19 offset:4096
	ds_add_u32 v15, v19 offset:8192
	v_and_b32_e32 v14, 0x3fc, v16
	v_and_b32_e32 v15, 0x3fc, v17
	v_and_or_b32 v12, 0xff0, v12, v1
	v_dual_lshrrev_b32 v16, 14, v13 :: v_dual_lshrrev_b32 v13, 22, v13
	s_delay_alu instid0(VALU_DEP_4) | instskip(NEXT) | instid1(VALU_DEP_4)
	v_lshl_or_b32 v14, v14, 2, v1
	v_lshl_or_b32 v15, v15, 2, v1
	ds_add_u32 v12, v19 offset:12288
	v_and_b32_e32 v12, 0x3fc, v16
	v_bitop3_b32 v13, v13, s0, 0x3fc bitop3:0x6c
	ds_add_u32 v14, v19 offset:16384
	ds_add_u32 v15, v19 offset:20480
	v_dual_lshlrev_b32 v14, 4, v10 :: v_dual_lshrrev_b32 v15, 4, v10
	v_lshl_or_b32 v12, v12, 2, v1
	v_lshl_or_b32 v13, v13, 2, v1
	v_lshrrev_b32_e32 v16, 12, v10
	s_delay_alu instid0(VALU_DEP_4)
	v_and_or_b32 v14, 0xff0, v14, v1
	ds_add_u32 v12, v19 offset:24576
	ds_add_u32 v13, v19 offset:28672
	v_and_or_b32 v12, 0xff0, v15, v1
	ds_add_u32 v14, v19
	v_lshrrev_b32_e32 v14, 20, v10
	v_and_or_b32 v13, 0xff0, v16, v1
	v_alignbit_b32 v10, v11, v10, 30
	ds_add_u32 v12, v19 offset:4096
	ds_add_u32 v13, v19 offset:8192
	v_lshrrev_b32_e32 v12, 6, v11
	v_and_or_b32 v13, 0xff0, v14, v1
	v_and_b32_e32 v10, 0x3fc, v10
	v_dual_lshrrev_b32 v14, 14, v11 :: v_dual_lshrrev_b32 v11, 22, v11
	s_delay_alu instid0(VALU_DEP_4)
	v_and_b32_e32 v12, 0x3fc, v12
	ds_add_u32 v13, v19 offset:12288
	v_lshl_or_b32 v10, v10, 2, v1
	v_and_b32_e32 v13, 0x3fc, v14
	v_lshlrev_b32_e32 v14, 4, v8
	v_bitop3_b32 v11, v11, s0, 0x3fc bitop3:0x6c
	v_lshl_or_b32 v12, v12, 2, v1
	ds_add_u32 v10, v19 offset:16384
	v_lshl_or_b32 v10, v13, 2, v1
	v_lshrrev_b32_e32 v13, 4, v8
	v_lshl_or_b32 v11, v11, 2, v1
	ds_add_u32 v12, v19 offset:20480
	v_and_or_b32 v12, 0xff0, v14, v1
	ds_add_u32 v10, v19 offset:24576
	ds_add_u32 v11, v19 offset:28672
	v_lshrrev_b32_e32 v10, 12, v8
	v_and_or_b32 v11, 0xff0, v13, v1
	ds_add_u32 v12, v19
	v_alignbit_b32 v12, v9, v8, 30
	v_dual_lshrrev_b32 v13, 6, v9 :: v_dual_lshrrev_b32 v8, 20, v8
	v_and_or_b32 v10, 0xff0, v10, v1
	ds_add_u32 v11, v19 offset:4096
	v_and_b32_e32 v11, 0x3fc, v12
	v_and_b32_e32 v12, 0x3fc, v13
	v_and_or_b32 v8, 0xff0, v8, v1
	ds_add_u32 v10, v19 offset:8192
	v_dual_lshrrev_b32 v10, 14, v9 :: v_dual_lshrrev_b32 v9, 22, v9
	v_lshl_or_b32 v11, v11, 2, v1
	ds_add_u32 v8, v19 offset:12288
	v_lshl_or_b32 v12, v12, 2, v1
	v_and_b32_e32 v8, 0x3fc, v10
	v_bitop3_b32 v9, v9, s0, 0x3fc bitop3:0x6c
	v_lshlrev_b32_e32 v10, 4, v6
	ds_add_u32 v11, v19 offset:16384
	ds_add_u32 v12, v19 offset:20480
	v_lshrrev_b32_e32 v11, 4, v6
	v_lshl_or_b32 v8, v8, 2, v1
	v_lshrrev_b32_e32 v12, 12, v6
	v_lshl_or_b32 v9, v9, 2, v1
	v_and_or_b32 v10, 0xff0, v10, v1
	ds_add_u32 v8, v19 offset:24576
	v_and_or_b32 v8, 0xff0, v11, v1
	ds_add_u32 v9, v19 offset:28672
	ds_add_u32 v10, v19
	v_lshrrev_b32_e32 v9, 20, v6
	v_and_or_b32 v11, 0xff0, v12, v1
	v_alignbit_b32 v6, v7, v6, 30
	ds_add_u32 v8, v19 offset:4096
	ds_add_u32 v11, v19 offset:8192
	v_dual_lshrrev_b32 v8, 6, v7 :: v_dual_lshrrev_b32 v10, 14, v7
	v_and_or_b32 v9, 0xff0, v9, v1
	v_lshrrev_b32_e32 v7, 22, v7
	v_and_b32_e32 v6, 0x3fc, v6
	s_delay_alu instid0(VALU_DEP_4)
	v_and_b32_e32 v8, 0x3fc, v8
	ds_add_u32 v9, v19 offset:12288
	v_and_b32_e32 v9, 0x3fc, v10
	v_lshl_or_b32 v6, v6, 2, v1
	v_lshlrev_b32_e32 v10, 4, v4
	v_bitop3_b32 v7, v7, s0, 0x3fc bitop3:0x6c
	v_lshl_or_b32 v8, v8, 2, v1
	v_lshl_or_b32 v9, v9, 2, v1
	ds_add_u32 v6, v19 offset:16384
	ds_add_u32 v8, v19 offset:20480
	v_lshl_or_b32 v7, v7, 2, v1
	v_and_or_b32 v6, 0xff0, v10, v1
	ds_add_u32 v9, v19 offset:24576
	ds_add_u32 v7, v19 offset:28672
	v_dual_lshrrev_b32 v7, 4, v4 :: v_dual_lshrrev_b32 v8, 12, v4
	ds_add_u32 v6, v19
	v_alignbit_b32 v6, v5, v4, 30
	v_dual_lshrrev_b32 v9, 6, v5 :: v_dual_lshrrev_b32 v4, 20, v4
	v_and_or_b32 v7, 0xff0, v7, v1
	v_and_or_b32 v8, 0xff0, v8, v1
	s_delay_alu instid0(VALU_DEP_4) | instskip(NEXT) | instid1(VALU_DEP_4)
	v_and_b32_e32 v6, 0x3fc, v6
	v_and_b32_e32 v9, 0x3fc, v9
	ds_add_u32 v7, v19 offset:4096
	ds_add_u32 v8, v19 offset:8192
	v_and_or_b32 v4, 0xff0, v4, v1
	v_dual_lshrrev_b32 v8, 14, v5 :: v_dual_lshrrev_b32 v5, 22, v5
	v_lshl_or_b32 v6, v6, 2, v1
	v_lshl_or_b32 v7, v9, 2, v1
	ds_add_u32 v4, v19 offset:12288
	ds_add_u32 v6, v19 offset:16384
	;; [unrolled: 1-line block ×3, first 2 shown]
	v_and_b32_e32 v4, 0x3fc, v8
	v_bitop3_b32 v5, v5, s0, 0x3fc bitop3:0x6c
	v_dual_lshlrev_b32 v6, 4, v2 :: v_dual_lshrrev_b32 v7, 4, v2
	v_lshrrev_b32_e32 v8, 12, v2
	s_delay_alu instid0(VALU_DEP_4) | instskip(NEXT) | instid1(VALU_DEP_4)
	v_lshl_or_b32 v4, v4, 2, v1
	v_lshl_or_b32 v5, v5, 2, v1
	s_delay_alu instid0(VALU_DEP_4)
	v_and_or_b32 v6, 0xff0, v6, v1
	v_and_or_b32 v7, 0xff0, v7, v1
	;; [unrolled: 1-line block ×3, first 2 shown]
	ds_add_u32 v4, v19 offset:24576
	ds_add_u32 v5, v19 offset:28672
	ds_add_u32 v6, v19
	ds_add_u32 v7, v19 offset:4096
	ds_add_u32 v8, v19 offset:8192
	v_alignbit_b32 v4, v3, v2, 30
	v_dual_lshrrev_b32 v5, 6, v3 :: v_dual_lshrrev_b32 v6, 14, v3
	v_dual_lshrrev_b32 v3, 22, v3 :: v_dual_lshrrev_b32 v2, 20, v2
	s_delay_alu instid0(VALU_DEP_3) | instskip(NEXT) | instid1(VALU_DEP_3)
	v_and_b32_e32 v4, 0x3fc, v4
	v_and_b32_e32 v5, 0x3fc, v5
	s_delay_alu instid0(VALU_DEP_4) | instskip(NEXT) | instid1(VALU_DEP_4)
	v_and_b32_e32 v6, 0x3fc, v6
	v_bitop3_b32 v3, v3, s0, 0x3fc bitop3:0x6c
	v_and_or_b32 v2, 0xff0, v2, v1
	v_lshl_or_b32 v4, v4, 2, v1
	v_lshl_or_b32 v5, v5, 2, v1
	;; [unrolled: 1-line block ×4, first 2 shown]
	ds_add_u32 v2, v19 offset:12288
	ds_add_u32 v4, v19 offset:16384
	;; [unrolled: 1-line block ×5, first 2 shown]
	s_wait_dscnt 0x0
	s_barrier_signal -1
	s_barrier_wait -1
	s_mov_b32 s0, exec_lo
	v_cmpx_gt_u32_e32 0x100, v0
	s_cbranch_execz .LBB1189_417
; %bb.416:
	v_lshlrev_b32_e32 v1, 4, v0
	ds_load_2addr_b32 v[2:3], v1 offset1:1
	ds_load_2addr_b32 v[4:5], v1 offset0:2 offset1:3
	s_wait_dscnt 0x1
	v_dual_mov_b32 v3, 0 :: v_dual_add_nc_u32 v2, v3, v2
	v_add_nc_u32_e32 v6, 0x1008, v1
	s_wait_dscnt 0x0
	s_delay_alu instid0(VALU_DEP_2)
	v_add3_u32 v2, v2, v4, v5
	v_add_nc_u32_e32 v4, 0x1000, v1
	global_atomic_add_u64 v0, v[2:3], s[6:7] scale_offset scope:SCOPE_DEV
	ds_load_2addr_b32 v[4:5], v4 offset1:1
	ds_load_2addr_b32 v[6:7], v6 offset1:1
	s_wait_dscnt 0x1
	s_wait_xcnt 0x0
	v_add_nc_u32_e32 v2, v5, v4
	v_or_b32_e32 v4, 0x2000, v1
	s_wait_dscnt 0x0
	s_delay_alu instid0(VALU_DEP_2)
	v_add3_u32 v2, v2, v6, v7
	v_or_b32_e32 v6, 0x2008, v1
	global_atomic_add_u64 v0, v[2:3], s[6:7] offset:2048 scale_offset scope:SCOPE_DEV
	ds_load_2addr_b32 v[4:5], v4 offset1:1
	ds_load_2addr_b32 v[6:7], v6 offset1:1
	s_wait_dscnt 0x1
	s_wait_xcnt 0x0
	v_add_nc_u32_e32 v2, v5, v4
	v_add_nc_u32_e32 v4, 0x3000, v1
	s_wait_dscnt 0x0
	s_delay_alu instid0(VALU_DEP_2)
	v_add3_u32 v2, v2, v6, v7
	v_add_nc_u32_e32 v6, 0x3008, v1
	global_atomic_add_u64 v0, v[2:3], s[6:7] offset:4096 scale_offset scope:SCOPE_DEV
	ds_load_2addr_b32 v[4:5], v4 offset1:1
	ds_load_2addr_b32 v[6:7], v6 offset1:1
	s_wait_dscnt 0x1
	s_wait_xcnt 0x0
	v_add_nc_u32_e32 v2, v5, v4
	v_or_b32_e32 v4, 0x4000, v1
	s_wait_dscnt 0x0
	s_delay_alu instid0(VALU_DEP_2)
	v_add3_u32 v2, v2, v6, v7
	v_or_b32_e32 v6, 0x4008, v1
	global_atomic_add_u64 v0, v[2:3], s[6:7] offset:6144 scale_offset scope:SCOPE_DEV
	ds_load_2addr_b32 v[4:5], v4 offset1:1
	ds_load_2addr_b32 v[6:7], v6 offset1:1
	s_wait_dscnt 0x1
	s_wait_xcnt 0x0
	v_add_nc_u32_e32 v2, v5, v4
	v_add_nc_u32_e32 v4, 0x5000, v1
	s_wait_dscnt 0x0
	s_delay_alu instid0(VALU_DEP_2)
	v_add3_u32 v2, v2, v6, v7
	v_add_nc_u32_e32 v6, 0x5008, v1
	global_atomic_add_u64 v0, v[2:3], s[6:7] offset:8192 scale_offset scope:SCOPE_DEV
	ds_load_2addr_b32 v[4:5], v4 offset1:1
	ds_load_2addr_b32 v[6:7], v6 offset1:1
	s_wait_dscnt 0x1
	s_wait_xcnt 0x0
	v_add_nc_u32_e32 v2, v5, v4
	v_or_b32_e32 v4, 0x6000, v1
	s_wait_dscnt 0x0
	s_delay_alu instid0(VALU_DEP_2)
	v_add3_u32 v2, v2, v6, v7
	v_or_b32_e32 v6, 0x6008, v1
	global_atomic_add_u64 v0, v[2:3], s[6:7] offset:10240 scale_offset scope:SCOPE_DEV
	ds_load_2addr_b32 v[4:5], v4 offset1:1
	ds_load_2addr_b32 v[6:7], v6 offset1:1
	s_wait_dscnt 0x1
	s_wait_xcnt 0x0
	v_add_nc_u32_e32 v2, v5, v4
	v_add_nc_u32_e32 v4, 0x7000, v1
	;; [unrolled: 1-line block ×3, first 2 shown]
	s_wait_dscnt 0x0
	s_delay_alu instid0(VALU_DEP_3)
	v_add3_u32 v2, v2, v6, v7
	global_atomic_add_u64 v0, v[2:3], s[6:7] offset:12288 scale_offset scope:SCOPE_DEV
	ds_load_2addr_b32 v[4:5], v4 offset1:1
	ds_load_2addr_b32 v[6:7], v1 offset1:1
	s_wait_dscnt 0x1
	v_add_nc_u32_e32 v1, v5, v4
	s_wait_dscnt 0x0
	s_wait_xcnt 0x0
	s_delay_alu instid0(VALU_DEP_1)
	v_add3_u32 v2, v1, v6, v7
	global_atomic_add_u64 v0, v[2:3], s[6:7] offset:14336 scale_offset scope:SCOPE_DEV
.LBB1189_417:
	s_endpgm
	.section	.rodata,"a",@progbits
	.p2align	6, 0x0
	.amdhsa_kernel _ZN7rocprim17ROCPRIM_400000_NS6detail17trampoline_kernelINS0_14default_configENS1_35radix_sort_onesweep_config_selectorIlNS0_10empty_typeEEEZNS1_34radix_sort_onesweep_global_offsetsIS3_Lb0EPKlPS5_mNS0_19identity_decomposerEEE10hipError_tT1_T2_PT3_SF_jT4_jjP12ihipStream_tbEUlT_E_NS1_11comp_targetILNS1_3genE0ELNS1_11target_archE4294967295ELNS1_3gpuE0ELNS1_3repE0EEENS1_52radix_sort_onesweep_histogram_config_static_selectorELNS0_4arch9wavefront6targetE0EEEvSD_
		.amdhsa_group_segment_fixed_size 32768
		.amdhsa_private_segment_fixed_size 0
		.amdhsa_kernarg_size 48
		.amdhsa_user_sgpr_count 2
		.amdhsa_user_sgpr_dispatch_ptr 0
		.amdhsa_user_sgpr_queue_ptr 0
		.amdhsa_user_sgpr_kernarg_segment_ptr 1
		.amdhsa_user_sgpr_dispatch_id 0
		.amdhsa_user_sgpr_kernarg_preload_length 0
		.amdhsa_user_sgpr_kernarg_preload_offset 0
		.amdhsa_user_sgpr_private_segment_size 0
		.amdhsa_wavefront_size32 1
		.amdhsa_uses_dynamic_stack 0
		.amdhsa_enable_private_segment 0
		.amdhsa_system_sgpr_workgroup_id_x 1
		.amdhsa_system_sgpr_workgroup_id_y 0
		.amdhsa_system_sgpr_workgroup_id_z 0
		.amdhsa_system_sgpr_workgroup_info 0
		.amdhsa_system_vgpr_workitem_id 0
		.amdhsa_next_free_vgpr 30
		.amdhsa_next_free_sgpr 13
		.amdhsa_named_barrier_count 0
		.amdhsa_reserve_vcc 1
		.amdhsa_float_round_mode_32 0
		.amdhsa_float_round_mode_16_64 0
		.amdhsa_float_denorm_mode_32 3
		.amdhsa_float_denorm_mode_16_64 3
		.amdhsa_fp16_overflow 0
		.amdhsa_memory_ordered 1
		.amdhsa_forward_progress 1
		.amdhsa_inst_pref_size 134
		.amdhsa_round_robin_scheduling 0
		.amdhsa_exception_fp_ieee_invalid_op 0
		.amdhsa_exception_fp_denorm_src 0
		.amdhsa_exception_fp_ieee_div_zero 0
		.amdhsa_exception_fp_ieee_overflow 0
		.amdhsa_exception_fp_ieee_underflow 0
		.amdhsa_exception_fp_ieee_inexact 0
		.amdhsa_exception_int_div_zero 0
	.end_amdhsa_kernel
	.section	.text._ZN7rocprim17ROCPRIM_400000_NS6detail17trampoline_kernelINS0_14default_configENS1_35radix_sort_onesweep_config_selectorIlNS0_10empty_typeEEEZNS1_34radix_sort_onesweep_global_offsetsIS3_Lb0EPKlPS5_mNS0_19identity_decomposerEEE10hipError_tT1_T2_PT3_SF_jT4_jjP12ihipStream_tbEUlT_E_NS1_11comp_targetILNS1_3genE0ELNS1_11target_archE4294967295ELNS1_3gpuE0ELNS1_3repE0EEENS1_52radix_sort_onesweep_histogram_config_static_selectorELNS0_4arch9wavefront6targetE0EEEvSD_,"axG",@progbits,_ZN7rocprim17ROCPRIM_400000_NS6detail17trampoline_kernelINS0_14default_configENS1_35radix_sort_onesweep_config_selectorIlNS0_10empty_typeEEEZNS1_34radix_sort_onesweep_global_offsetsIS3_Lb0EPKlPS5_mNS0_19identity_decomposerEEE10hipError_tT1_T2_PT3_SF_jT4_jjP12ihipStream_tbEUlT_E_NS1_11comp_targetILNS1_3genE0ELNS1_11target_archE4294967295ELNS1_3gpuE0ELNS1_3repE0EEENS1_52radix_sort_onesweep_histogram_config_static_selectorELNS0_4arch9wavefront6targetE0EEEvSD_,comdat
.Lfunc_end1189:
	.size	_ZN7rocprim17ROCPRIM_400000_NS6detail17trampoline_kernelINS0_14default_configENS1_35radix_sort_onesweep_config_selectorIlNS0_10empty_typeEEEZNS1_34radix_sort_onesweep_global_offsetsIS3_Lb0EPKlPS5_mNS0_19identity_decomposerEEE10hipError_tT1_T2_PT3_SF_jT4_jjP12ihipStream_tbEUlT_E_NS1_11comp_targetILNS1_3genE0ELNS1_11target_archE4294967295ELNS1_3gpuE0ELNS1_3repE0EEENS1_52radix_sort_onesweep_histogram_config_static_selectorELNS0_4arch9wavefront6targetE0EEEvSD_, .Lfunc_end1189-_ZN7rocprim17ROCPRIM_400000_NS6detail17trampoline_kernelINS0_14default_configENS1_35radix_sort_onesweep_config_selectorIlNS0_10empty_typeEEEZNS1_34radix_sort_onesweep_global_offsetsIS3_Lb0EPKlPS5_mNS0_19identity_decomposerEEE10hipError_tT1_T2_PT3_SF_jT4_jjP12ihipStream_tbEUlT_E_NS1_11comp_targetILNS1_3genE0ELNS1_11target_archE4294967295ELNS1_3gpuE0ELNS1_3repE0EEENS1_52radix_sort_onesweep_histogram_config_static_selectorELNS0_4arch9wavefront6targetE0EEEvSD_
                                        ; -- End function
	.set _ZN7rocprim17ROCPRIM_400000_NS6detail17trampoline_kernelINS0_14default_configENS1_35radix_sort_onesweep_config_selectorIlNS0_10empty_typeEEEZNS1_34radix_sort_onesweep_global_offsetsIS3_Lb0EPKlPS5_mNS0_19identity_decomposerEEE10hipError_tT1_T2_PT3_SF_jT4_jjP12ihipStream_tbEUlT_E_NS1_11comp_targetILNS1_3genE0ELNS1_11target_archE4294967295ELNS1_3gpuE0ELNS1_3repE0EEENS1_52radix_sort_onesweep_histogram_config_static_selectorELNS0_4arch9wavefront6targetE0EEEvSD_.num_vgpr, 30
	.set _ZN7rocprim17ROCPRIM_400000_NS6detail17trampoline_kernelINS0_14default_configENS1_35radix_sort_onesweep_config_selectorIlNS0_10empty_typeEEEZNS1_34radix_sort_onesweep_global_offsetsIS3_Lb0EPKlPS5_mNS0_19identity_decomposerEEE10hipError_tT1_T2_PT3_SF_jT4_jjP12ihipStream_tbEUlT_E_NS1_11comp_targetILNS1_3genE0ELNS1_11target_archE4294967295ELNS1_3gpuE0ELNS1_3repE0EEENS1_52radix_sort_onesweep_histogram_config_static_selectorELNS0_4arch9wavefront6targetE0EEEvSD_.num_agpr, 0
	.set _ZN7rocprim17ROCPRIM_400000_NS6detail17trampoline_kernelINS0_14default_configENS1_35radix_sort_onesweep_config_selectorIlNS0_10empty_typeEEEZNS1_34radix_sort_onesweep_global_offsetsIS3_Lb0EPKlPS5_mNS0_19identity_decomposerEEE10hipError_tT1_T2_PT3_SF_jT4_jjP12ihipStream_tbEUlT_E_NS1_11comp_targetILNS1_3genE0ELNS1_11target_archE4294967295ELNS1_3gpuE0ELNS1_3repE0EEENS1_52radix_sort_onesweep_histogram_config_static_selectorELNS0_4arch9wavefront6targetE0EEEvSD_.numbered_sgpr, 13
	.set _ZN7rocprim17ROCPRIM_400000_NS6detail17trampoline_kernelINS0_14default_configENS1_35radix_sort_onesweep_config_selectorIlNS0_10empty_typeEEEZNS1_34radix_sort_onesweep_global_offsetsIS3_Lb0EPKlPS5_mNS0_19identity_decomposerEEE10hipError_tT1_T2_PT3_SF_jT4_jjP12ihipStream_tbEUlT_E_NS1_11comp_targetILNS1_3genE0ELNS1_11target_archE4294967295ELNS1_3gpuE0ELNS1_3repE0EEENS1_52radix_sort_onesweep_histogram_config_static_selectorELNS0_4arch9wavefront6targetE0EEEvSD_.num_named_barrier, 0
	.set _ZN7rocprim17ROCPRIM_400000_NS6detail17trampoline_kernelINS0_14default_configENS1_35radix_sort_onesweep_config_selectorIlNS0_10empty_typeEEEZNS1_34radix_sort_onesweep_global_offsetsIS3_Lb0EPKlPS5_mNS0_19identity_decomposerEEE10hipError_tT1_T2_PT3_SF_jT4_jjP12ihipStream_tbEUlT_E_NS1_11comp_targetILNS1_3genE0ELNS1_11target_archE4294967295ELNS1_3gpuE0ELNS1_3repE0EEENS1_52radix_sort_onesweep_histogram_config_static_selectorELNS0_4arch9wavefront6targetE0EEEvSD_.private_seg_size, 0
	.set _ZN7rocprim17ROCPRIM_400000_NS6detail17trampoline_kernelINS0_14default_configENS1_35radix_sort_onesweep_config_selectorIlNS0_10empty_typeEEEZNS1_34radix_sort_onesweep_global_offsetsIS3_Lb0EPKlPS5_mNS0_19identity_decomposerEEE10hipError_tT1_T2_PT3_SF_jT4_jjP12ihipStream_tbEUlT_E_NS1_11comp_targetILNS1_3genE0ELNS1_11target_archE4294967295ELNS1_3gpuE0ELNS1_3repE0EEENS1_52radix_sort_onesweep_histogram_config_static_selectorELNS0_4arch9wavefront6targetE0EEEvSD_.uses_vcc, 1
	.set _ZN7rocprim17ROCPRIM_400000_NS6detail17trampoline_kernelINS0_14default_configENS1_35radix_sort_onesweep_config_selectorIlNS0_10empty_typeEEEZNS1_34radix_sort_onesweep_global_offsetsIS3_Lb0EPKlPS5_mNS0_19identity_decomposerEEE10hipError_tT1_T2_PT3_SF_jT4_jjP12ihipStream_tbEUlT_E_NS1_11comp_targetILNS1_3genE0ELNS1_11target_archE4294967295ELNS1_3gpuE0ELNS1_3repE0EEENS1_52radix_sort_onesweep_histogram_config_static_selectorELNS0_4arch9wavefront6targetE0EEEvSD_.uses_flat_scratch, 0
	.set _ZN7rocprim17ROCPRIM_400000_NS6detail17trampoline_kernelINS0_14default_configENS1_35radix_sort_onesweep_config_selectorIlNS0_10empty_typeEEEZNS1_34radix_sort_onesweep_global_offsetsIS3_Lb0EPKlPS5_mNS0_19identity_decomposerEEE10hipError_tT1_T2_PT3_SF_jT4_jjP12ihipStream_tbEUlT_E_NS1_11comp_targetILNS1_3genE0ELNS1_11target_archE4294967295ELNS1_3gpuE0ELNS1_3repE0EEENS1_52radix_sort_onesweep_histogram_config_static_selectorELNS0_4arch9wavefront6targetE0EEEvSD_.has_dyn_sized_stack, 0
	.set _ZN7rocprim17ROCPRIM_400000_NS6detail17trampoline_kernelINS0_14default_configENS1_35radix_sort_onesweep_config_selectorIlNS0_10empty_typeEEEZNS1_34radix_sort_onesweep_global_offsetsIS3_Lb0EPKlPS5_mNS0_19identity_decomposerEEE10hipError_tT1_T2_PT3_SF_jT4_jjP12ihipStream_tbEUlT_E_NS1_11comp_targetILNS1_3genE0ELNS1_11target_archE4294967295ELNS1_3gpuE0ELNS1_3repE0EEENS1_52radix_sort_onesweep_histogram_config_static_selectorELNS0_4arch9wavefront6targetE0EEEvSD_.has_recursion, 0
	.set _ZN7rocprim17ROCPRIM_400000_NS6detail17trampoline_kernelINS0_14default_configENS1_35radix_sort_onesweep_config_selectorIlNS0_10empty_typeEEEZNS1_34radix_sort_onesweep_global_offsetsIS3_Lb0EPKlPS5_mNS0_19identity_decomposerEEE10hipError_tT1_T2_PT3_SF_jT4_jjP12ihipStream_tbEUlT_E_NS1_11comp_targetILNS1_3genE0ELNS1_11target_archE4294967295ELNS1_3gpuE0ELNS1_3repE0EEENS1_52radix_sort_onesweep_histogram_config_static_selectorELNS0_4arch9wavefront6targetE0EEEvSD_.has_indirect_call, 0
	.section	.AMDGPU.csdata,"",@progbits
; Kernel info:
; codeLenInByte = 17136
; TotalNumSgprs: 15
; NumVgprs: 30
; ScratchSize: 0
; MemoryBound: 0
; FloatMode: 240
; IeeeMode: 1
; LDSByteSize: 32768 bytes/workgroup (compile time only)
; SGPRBlocks: 0
; VGPRBlocks: 1
; NumSGPRsForWavesPerEU: 15
; NumVGPRsForWavesPerEU: 30
; NamedBarCnt: 0
; Occupancy: 16
; WaveLimiterHint : 1
; COMPUTE_PGM_RSRC2:SCRATCH_EN: 0
; COMPUTE_PGM_RSRC2:USER_SGPR: 2
; COMPUTE_PGM_RSRC2:TRAP_HANDLER: 0
; COMPUTE_PGM_RSRC2:TGID_X_EN: 1
; COMPUTE_PGM_RSRC2:TGID_Y_EN: 0
; COMPUTE_PGM_RSRC2:TGID_Z_EN: 0
; COMPUTE_PGM_RSRC2:TIDIG_COMP_CNT: 0
	.section	.text._ZN7rocprim17ROCPRIM_400000_NS6detail17trampoline_kernelINS0_14default_configENS1_35radix_sort_onesweep_config_selectorIlNS0_10empty_typeEEEZNS1_34radix_sort_onesweep_global_offsetsIS3_Lb0EPKlPS5_mNS0_19identity_decomposerEEE10hipError_tT1_T2_PT3_SF_jT4_jjP12ihipStream_tbEUlT_E_NS1_11comp_targetILNS1_3genE6ELNS1_11target_archE950ELNS1_3gpuE13ELNS1_3repE0EEENS1_52radix_sort_onesweep_histogram_config_static_selectorELNS0_4arch9wavefront6targetE0EEEvSD_,"axG",@progbits,_ZN7rocprim17ROCPRIM_400000_NS6detail17trampoline_kernelINS0_14default_configENS1_35radix_sort_onesweep_config_selectorIlNS0_10empty_typeEEEZNS1_34radix_sort_onesweep_global_offsetsIS3_Lb0EPKlPS5_mNS0_19identity_decomposerEEE10hipError_tT1_T2_PT3_SF_jT4_jjP12ihipStream_tbEUlT_E_NS1_11comp_targetILNS1_3genE6ELNS1_11target_archE950ELNS1_3gpuE13ELNS1_3repE0EEENS1_52radix_sort_onesweep_histogram_config_static_selectorELNS0_4arch9wavefront6targetE0EEEvSD_,comdat
	.protected	_ZN7rocprim17ROCPRIM_400000_NS6detail17trampoline_kernelINS0_14default_configENS1_35radix_sort_onesweep_config_selectorIlNS0_10empty_typeEEEZNS1_34radix_sort_onesweep_global_offsetsIS3_Lb0EPKlPS5_mNS0_19identity_decomposerEEE10hipError_tT1_T2_PT3_SF_jT4_jjP12ihipStream_tbEUlT_E_NS1_11comp_targetILNS1_3genE6ELNS1_11target_archE950ELNS1_3gpuE13ELNS1_3repE0EEENS1_52radix_sort_onesweep_histogram_config_static_selectorELNS0_4arch9wavefront6targetE0EEEvSD_ ; -- Begin function _ZN7rocprim17ROCPRIM_400000_NS6detail17trampoline_kernelINS0_14default_configENS1_35radix_sort_onesweep_config_selectorIlNS0_10empty_typeEEEZNS1_34radix_sort_onesweep_global_offsetsIS3_Lb0EPKlPS5_mNS0_19identity_decomposerEEE10hipError_tT1_T2_PT3_SF_jT4_jjP12ihipStream_tbEUlT_E_NS1_11comp_targetILNS1_3genE6ELNS1_11target_archE950ELNS1_3gpuE13ELNS1_3repE0EEENS1_52radix_sort_onesweep_histogram_config_static_selectorELNS0_4arch9wavefront6targetE0EEEvSD_
	.globl	_ZN7rocprim17ROCPRIM_400000_NS6detail17trampoline_kernelINS0_14default_configENS1_35radix_sort_onesweep_config_selectorIlNS0_10empty_typeEEEZNS1_34radix_sort_onesweep_global_offsetsIS3_Lb0EPKlPS5_mNS0_19identity_decomposerEEE10hipError_tT1_T2_PT3_SF_jT4_jjP12ihipStream_tbEUlT_E_NS1_11comp_targetILNS1_3genE6ELNS1_11target_archE950ELNS1_3gpuE13ELNS1_3repE0EEENS1_52radix_sort_onesweep_histogram_config_static_selectorELNS0_4arch9wavefront6targetE0EEEvSD_
	.p2align	8
	.type	_ZN7rocprim17ROCPRIM_400000_NS6detail17trampoline_kernelINS0_14default_configENS1_35radix_sort_onesweep_config_selectorIlNS0_10empty_typeEEEZNS1_34radix_sort_onesweep_global_offsetsIS3_Lb0EPKlPS5_mNS0_19identity_decomposerEEE10hipError_tT1_T2_PT3_SF_jT4_jjP12ihipStream_tbEUlT_E_NS1_11comp_targetILNS1_3genE6ELNS1_11target_archE950ELNS1_3gpuE13ELNS1_3repE0EEENS1_52radix_sort_onesweep_histogram_config_static_selectorELNS0_4arch9wavefront6targetE0EEEvSD_,@function
_ZN7rocprim17ROCPRIM_400000_NS6detail17trampoline_kernelINS0_14default_configENS1_35radix_sort_onesweep_config_selectorIlNS0_10empty_typeEEEZNS1_34radix_sort_onesweep_global_offsetsIS3_Lb0EPKlPS5_mNS0_19identity_decomposerEEE10hipError_tT1_T2_PT3_SF_jT4_jjP12ihipStream_tbEUlT_E_NS1_11comp_targetILNS1_3genE6ELNS1_11target_archE950ELNS1_3gpuE13ELNS1_3repE0EEENS1_52radix_sort_onesweep_histogram_config_static_selectorELNS0_4arch9wavefront6targetE0EEEvSD_: ; @_ZN7rocprim17ROCPRIM_400000_NS6detail17trampoline_kernelINS0_14default_configENS1_35radix_sort_onesweep_config_selectorIlNS0_10empty_typeEEEZNS1_34radix_sort_onesweep_global_offsetsIS3_Lb0EPKlPS5_mNS0_19identity_decomposerEEE10hipError_tT1_T2_PT3_SF_jT4_jjP12ihipStream_tbEUlT_E_NS1_11comp_targetILNS1_3genE6ELNS1_11target_archE950ELNS1_3gpuE13ELNS1_3repE0EEENS1_52radix_sort_onesweep_histogram_config_static_selectorELNS0_4arch9wavefront6targetE0EEEvSD_
; %bb.0:
	.section	.rodata,"a",@progbits
	.p2align	6, 0x0
	.amdhsa_kernel _ZN7rocprim17ROCPRIM_400000_NS6detail17trampoline_kernelINS0_14default_configENS1_35radix_sort_onesweep_config_selectorIlNS0_10empty_typeEEEZNS1_34radix_sort_onesweep_global_offsetsIS3_Lb0EPKlPS5_mNS0_19identity_decomposerEEE10hipError_tT1_T2_PT3_SF_jT4_jjP12ihipStream_tbEUlT_E_NS1_11comp_targetILNS1_3genE6ELNS1_11target_archE950ELNS1_3gpuE13ELNS1_3repE0EEENS1_52radix_sort_onesweep_histogram_config_static_selectorELNS0_4arch9wavefront6targetE0EEEvSD_
		.amdhsa_group_segment_fixed_size 0
		.amdhsa_private_segment_fixed_size 0
		.amdhsa_kernarg_size 48
		.amdhsa_user_sgpr_count 2
		.amdhsa_user_sgpr_dispatch_ptr 0
		.amdhsa_user_sgpr_queue_ptr 0
		.amdhsa_user_sgpr_kernarg_segment_ptr 1
		.amdhsa_user_sgpr_dispatch_id 0
		.amdhsa_user_sgpr_kernarg_preload_length 0
		.amdhsa_user_sgpr_kernarg_preload_offset 0
		.amdhsa_user_sgpr_private_segment_size 0
		.amdhsa_wavefront_size32 1
		.amdhsa_uses_dynamic_stack 0
		.amdhsa_enable_private_segment 0
		.amdhsa_system_sgpr_workgroup_id_x 1
		.amdhsa_system_sgpr_workgroup_id_y 0
		.amdhsa_system_sgpr_workgroup_id_z 0
		.amdhsa_system_sgpr_workgroup_info 0
		.amdhsa_system_vgpr_workitem_id 0
		.amdhsa_next_free_vgpr 1
		.amdhsa_next_free_sgpr 1
		.amdhsa_named_barrier_count 0
		.amdhsa_reserve_vcc 0
		.amdhsa_float_round_mode_32 0
		.amdhsa_float_round_mode_16_64 0
		.amdhsa_float_denorm_mode_32 3
		.amdhsa_float_denorm_mode_16_64 3
		.amdhsa_fp16_overflow 0
		.amdhsa_memory_ordered 1
		.amdhsa_forward_progress 1
		.amdhsa_inst_pref_size 0
		.amdhsa_round_robin_scheduling 0
		.amdhsa_exception_fp_ieee_invalid_op 0
		.amdhsa_exception_fp_denorm_src 0
		.amdhsa_exception_fp_ieee_div_zero 0
		.amdhsa_exception_fp_ieee_overflow 0
		.amdhsa_exception_fp_ieee_underflow 0
		.amdhsa_exception_fp_ieee_inexact 0
		.amdhsa_exception_int_div_zero 0
	.end_amdhsa_kernel
	.section	.text._ZN7rocprim17ROCPRIM_400000_NS6detail17trampoline_kernelINS0_14default_configENS1_35radix_sort_onesweep_config_selectorIlNS0_10empty_typeEEEZNS1_34radix_sort_onesweep_global_offsetsIS3_Lb0EPKlPS5_mNS0_19identity_decomposerEEE10hipError_tT1_T2_PT3_SF_jT4_jjP12ihipStream_tbEUlT_E_NS1_11comp_targetILNS1_3genE6ELNS1_11target_archE950ELNS1_3gpuE13ELNS1_3repE0EEENS1_52radix_sort_onesweep_histogram_config_static_selectorELNS0_4arch9wavefront6targetE0EEEvSD_,"axG",@progbits,_ZN7rocprim17ROCPRIM_400000_NS6detail17trampoline_kernelINS0_14default_configENS1_35radix_sort_onesweep_config_selectorIlNS0_10empty_typeEEEZNS1_34radix_sort_onesweep_global_offsetsIS3_Lb0EPKlPS5_mNS0_19identity_decomposerEEE10hipError_tT1_T2_PT3_SF_jT4_jjP12ihipStream_tbEUlT_E_NS1_11comp_targetILNS1_3genE6ELNS1_11target_archE950ELNS1_3gpuE13ELNS1_3repE0EEENS1_52radix_sort_onesweep_histogram_config_static_selectorELNS0_4arch9wavefront6targetE0EEEvSD_,comdat
.Lfunc_end1190:
	.size	_ZN7rocprim17ROCPRIM_400000_NS6detail17trampoline_kernelINS0_14default_configENS1_35radix_sort_onesweep_config_selectorIlNS0_10empty_typeEEEZNS1_34radix_sort_onesweep_global_offsetsIS3_Lb0EPKlPS5_mNS0_19identity_decomposerEEE10hipError_tT1_T2_PT3_SF_jT4_jjP12ihipStream_tbEUlT_E_NS1_11comp_targetILNS1_3genE6ELNS1_11target_archE950ELNS1_3gpuE13ELNS1_3repE0EEENS1_52radix_sort_onesweep_histogram_config_static_selectorELNS0_4arch9wavefront6targetE0EEEvSD_, .Lfunc_end1190-_ZN7rocprim17ROCPRIM_400000_NS6detail17trampoline_kernelINS0_14default_configENS1_35radix_sort_onesweep_config_selectorIlNS0_10empty_typeEEEZNS1_34radix_sort_onesweep_global_offsetsIS3_Lb0EPKlPS5_mNS0_19identity_decomposerEEE10hipError_tT1_T2_PT3_SF_jT4_jjP12ihipStream_tbEUlT_E_NS1_11comp_targetILNS1_3genE6ELNS1_11target_archE950ELNS1_3gpuE13ELNS1_3repE0EEENS1_52radix_sort_onesweep_histogram_config_static_selectorELNS0_4arch9wavefront6targetE0EEEvSD_
                                        ; -- End function
	.set _ZN7rocprim17ROCPRIM_400000_NS6detail17trampoline_kernelINS0_14default_configENS1_35radix_sort_onesweep_config_selectorIlNS0_10empty_typeEEEZNS1_34radix_sort_onesweep_global_offsetsIS3_Lb0EPKlPS5_mNS0_19identity_decomposerEEE10hipError_tT1_T2_PT3_SF_jT4_jjP12ihipStream_tbEUlT_E_NS1_11comp_targetILNS1_3genE6ELNS1_11target_archE950ELNS1_3gpuE13ELNS1_3repE0EEENS1_52radix_sort_onesweep_histogram_config_static_selectorELNS0_4arch9wavefront6targetE0EEEvSD_.num_vgpr, 0
	.set _ZN7rocprim17ROCPRIM_400000_NS6detail17trampoline_kernelINS0_14default_configENS1_35radix_sort_onesweep_config_selectorIlNS0_10empty_typeEEEZNS1_34radix_sort_onesweep_global_offsetsIS3_Lb0EPKlPS5_mNS0_19identity_decomposerEEE10hipError_tT1_T2_PT3_SF_jT4_jjP12ihipStream_tbEUlT_E_NS1_11comp_targetILNS1_3genE6ELNS1_11target_archE950ELNS1_3gpuE13ELNS1_3repE0EEENS1_52radix_sort_onesweep_histogram_config_static_selectorELNS0_4arch9wavefront6targetE0EEEvSD_.num_agpr, 0
	.set _ZN7rocprim17ROCPRIM_400000_NS6detail17trampoline_kernelINS0_14default_configENS1_35radix_sort_onesweep_config_selectorIlNS0_10empty_typeEEEZNS1_34radix_sort_onesweep_global_offsetsIS3_Lb0EPKlPS5_mNS0_19identity_decomposerEEE10hipError_tT1_T2_PT3_SF_jT4_jjP12ihipStream_tbEUlT_E_NS1_11comp_targetILNS1_3genE6ELNS1_11target_archE950ELNS1_3gpuE13ELNS1_3repE0EEENS1_52radix_sort_onesweep_histogram_config_static_selectorELNS0_4arch9wavefront6targetE0EEEvSD_.numbered_sgpr, 0
	.set _ZN7rocprim17ROCPRIM_400000_NS6detail17trampoline_kernelINS0_14default_configENS1_35radix_sort_onesweep_config_selectorIlNS0_10empty_typeEEEZNS1_34radix_sort_onesweep_global_offsetsIS3_Lb0EPKlPS5_mNS0_19identity_decomposerEEE10hipError_tT1_T2_PT3_SF_jT4_jjP12ihipStream_tbEUlT_E_NS1_11comp_targetILNS1_3genE6ELNS1_11target_archE950ELNS1_3gpuE13ELNS1_3repE0EEENS1_52radix_sort_onesweep_histogram_config_static_selectorELNS0_4arch9wavefront6targetE0EEEvSD_.num_named_barrier, 0
	.set _ZN7rocprim17ROCPRIM_400000_NS6detail17trampoline_kernelINS0_14default_configENS1_35radix_sort_onesweep_config_selectorIlNS0_10empty_typeEEEZNS1_34radix_sort_onesweep_global_offsetsIS3_Lb0EPKlPS5_mNS0_19identity_decomposerEEE10hipError_tT1_T2_PT3_SF_jT4_jjP12ihipStream_tbEUlT_E_NS1_11comp_targetILNS1_3genE6ELNS1_11target_archE950ELNS1_3gpuE13ELNS1_3repE0EEENS1_52radix_sort_onesweep_histogram_config_static_selectorELNS0_4arch9wavefront6targetE0EEEvSD_.private_seg_size, 0
	.set _ZN7rocprim17ROCPRIM_400000_NS6detail17trampoline_kernelINS0_14default_configENS1_35radix_sort_onesweep_config_selectorIlNS0_10empty_typeEEEZNS1_34radix_sort_onesweep_global_offsetsIS3_Lb0EPKlPS5_mNS0_19identity_decomposerEEE10hipError_tT1_T2_PT3_SF_jT4_jjP12ihipStream_tbEUlT_E_NS1_11comp_targetILNS1_3genE6ELNS1_11target_archE950ELNS1_3gpuE13ELNS1_3repE0EEENS1_52radix_sort_onesweep_histogram_config_static_selectorELNS0_4arch9wavefront6targetE0EEEvSD_.uses_vcc, 0
	.set _ZN7rocprim17ROCPRIM_400000_NS6detail17trampoline_kernelINS0_14default_configENS1_35radix_sort_onesweep_config_selectorIlNS0_10empty_typeEEEZNS1_34radix_sort_onesweep_global_offsetsIS3_Lb0EPKlPS5_mNS0_19identity_decomposerEEE10hipError_tT1_T2_PT3_SF_jT4_jjP12ihipStream_tbEUlT_E_NS1_11comp_targetILNS1_3genE6ELNS1_11target_archE950ELNS1_3gpuE13ELNS1_3repE0EEENS1_52radix_sort_onesweep_histogram_config_static_selectorELNS0_4arch9wavefront6targetE0EEEvSD_.uses_flat_scratch, 0
	.set _ZN7rocprim17ROCPRIM_400000_NS6detail17trampoline_kernelINS0_14default_configENS1_35radix_sort_onesweep_config_selectorIlNS0_10empty_typeEEEZNS1_34radix_sort_onesweep_global_offsetsIS3_Lb0EPKlPS5_mNS0_19identity_decomposerEEE10hipError_tT1_T2_PT3_SF_jT4_jjP12ihipStream_tbEUlT_E_NS1_11comp_targetILNS1_3genE6ELNS1_11target_archE950ELNS1_3gpuE13ELNS1_3repE0EEENS1_52radix_sort_onesweep_histogram_config_static_selectorELNS0_4arch9wavefront6targetE0EEEvSD_.has_dyn_sized_stack, 0
	.set _ZN7rocprim17ROCPRIM_400000_NS6detail17trampoline_kernelINS0_14default_configENS1_35radix_sort_onesweep_config_selectorIlNS0_10empty_typeEEEZNS1_34radix_sort_onesweep_global_offsetsIS3_Lb0EPKlPS5_mNS0_19identity_decomposerEEE10hipError_tT1_T2_PT3_SF_jT4_jjP12ihipStream_tbEUlT_E_NS1_11comp_targetILNS1_3genE6ELNS1_11target_archE950ELNS1_3gpuE13ELNS1_3repE0EEENS1_52radix_sort_onesweep_histogram_config_static_selectorELNS0_4arch9wavefront6targetE0EEEvSD_.has_recursion, 0
	.set _ZN7rocprim17ROCPRIM_400000_NS6detail17trampoline_kernelINS0_14default_configENS1_35radix_sort_onesweep_config_selectorIlNS0_10empty_typeEEEZNS1_34radix_sort_onesweep_global_offsetsIS3_Lb0EPKlPS5_mNS0_19identity_decomposerEEE10hipError_tT1_T2_PT3_SF_jT4_jjP12ihipStream_tbEUlT_E_NS1_11comp_targetILNS1_3genE6ELNS1_11target_archE950ELNS1_3gpuE13ELNS1_3repE0EEENS1_52radix_sort_onesweep_histogram_config_static_selectorELNS0_4arch9wavefront6targetE0EEEvSD_.has_indirect_call, 0
	.section	.AMDGPU.csdata,"",@progbits
; Kernel info:
; codeLenInByte = 0
; TotalNumSgprs: 0
; NumVgprs: 0
; ScratchSize: 0
; MemoryBound: 0
; FloatMode: 240
; IeeeMode: 1
; LDSByteSize: 0 bytes/workgroup (compile time only)
; SGPRBlocks: 0
; VGPRBlocks: 0
; NumSGPRsForWavesPerEU: 1
; NumVGPRsForWavesPerEU: 1
; NamedBarCnt: 0
; Occupancy: 16
; WaveLimiterHint : 0
; COMPUTE_PGM_RSRC2:SCRATCH_EN: 0
; COMPUTE_PGM_RSRC2:USER_SGPR: 2
; COMPUTE_PGM_RSRC2:TRAP_HANDLER: 0
; COMPUTE_PGM_RSRC2:TGID_X_EN: 1
; COMPUTE_PGM_RSRC2:TGID_Y_EN: 0
; COMPUTE_PGM_RSRC2:TGID_Z_EN: 0
; COMPUTE_PGM_RSRC2:TIDIG_COMP_CNT: 0
	.section	.text._ZN7rocprim17ROCPRIM_400000_NS6detail17trampoline_kernelINS0_14default_configENS1_35radix_sort_onesweep_config_selectorIlNS0_10empty_typeEEEZNS1_34radix_sort_onesweep_global_offsetsIS3_Lb0EPKlPS5_mNS0_19identity_decomposerEEE10hipError_tT1_T2_PT3_SF_jT4_jjP12ihipStream_tbEUlT_E_NS1_11comp_targetILNS1_3genE5ELNS1_11target_archE942ELNS1_3gpuE9ELNS1_3repE0EEENS1_52radix_sort_onesweep_histogram_config_static_selectorELNS0_4arch9wavefront6targetE0EEEvSD_,"axG",@progbits,_ZN7rocprim17ROCPRIM_400000_NS6detail17trampoline_kernelINS0_14default_configENS1_35radix_sort_onesweep_config_selectorIlNS0_10empty_typeEEEZNS1_34radix_sort_onesweep_global_offsetsIS3_Lb0EPKlPS5_mNS0_19identity_decomposerEEE10hipError_tT1_T2_PT3_SF_jT4_jjP12ihipStream_tbEUlT_E_NS1_11comp_targetILNS1_3genE5ELNS1_11target_archE942ELNS1_3gpuE9ELNS1_3repE0EEENS1_52radix_sort_onesweep_histogram_config_static_selectorELNS0_4arch9wavefront6targetE0EEEvSD_,comdat
	.protected	_ZN7rocprim17ROCPRIM_400000_NS6detail17trampoline_kernelINS0_14default_configENS1_35radix_sort_onesweep_config_selectorIlNS0_10empty_typeEEEZNS1_34radix_sort_onesweep_global_offsetsIS3_Lb0EPKlPS5_mNS0_19identity_decomposerEEE10hipError_tT1_T2_PT3_SF_jT4_jjP12ihipStream_tbEUlT_E_NS1_11comp_targetILNS1_3genE5ELNS1_11target_archE942ELNS1_3gpuE9ELNS1_3repE0EEENS1_52radix_sort_onesweep_histogram_config_static_selectorELNS0_4arch9wavefront6targetE0EEEvSD_ ; -- Begin function _ZN7rocprim17ROCPRIM_400000_NS6detail17trampoline_kernelINS0_14default_configENS1_35radix_sort_onesweep_config_selectorIlNS0_10empty_typeEEEZNS1_34radix_sort_onesweep_global_offsetsIS3_Lb0EPKlPS5_mNS0_19identity_decomposerEEE10hipError_tT1_T2_PT3_SF_jT4_jjP12ihipStream_tbEUlT_E_NS1_11comp_targetILNS1_3genE5ELNS1_11target_archE942ELNS1_3gpuE9ELNS1_3repE0EEENS1_52radix_sort_onesweep_histogram_config_static_selectorELNS0_4arch9wavefront6targetE0EEEvSD_
	.globl	_ZN7rocprim17ROCPRIM_400000_NS6detail17trampoline_kernelINS0_14default_configENS1_35radix_sort_onesweep_config_selectorIlNS0_10empty_typeEEEZNS1_34radix_sort_onesweep_global_offsetsIS3_Lb0EPKlPS5_mNS0_19identity_decomposerEEE10hipError_tT1_T2_PT3_SF_jT4_jjP12ihipStream_tbEUlT_E_NS1_11comp_targetILNS1_3genE5ELNS1_11target_archE942ELNS1_3gpuE9ELNS1_3repE0EEENS1_52radix_sort_onesweep_histogram_config_static_selectorELNS0_4arch9wavefront6targetE0EEEvSD_
	.p2align	8
	.type	_ZN7rocprim17ROCPRIM_400000_NS6detail17trampoline_kernelINS0_14default_configENS1_35radix_sort_onesweep_config_selectorIlNS0_10empty_typeEEEZNS1_34radix_sort_onesweep_global_offsetsIS3_Lb0EPKlPS5_mNS0_19identity_decomposerEEE10hipError_tT1_T2_PT3_SF_jT4_jjP12ihipStream_tbEUlT_E_NS1_11comp_targetILNS1_3genE5ELNS1_11target_archE942ELNS1_3gpuE9ELNS1_3repE0EEENS1_52radix_sort_onesweep_histogram_config_static_selectorELNS0_4arch9wavefront6targetE0EEEvSD_,@function
_ZN7rocprim17ROCPRIM_400000_NS6detail17trampoline_kernelINS0_14default_configENS1_35radix_sort_onesweep_config_selectorIlNS0_10empty_typeEEEZNS1_34radix_sort_onesweep_global_offsetsIS3_Lb0EPKlPS5_mNS0_19identity_decomposerEEE10hipError_tT1_T2_PT3_SF_jT4_jjP12ihipStream_tbEUlT_E_NS1_11comp_targetILNS1_3genE5ELNS1_11target_archE942ELNS1_3gpuE9ELNS1_3repE0EEENS1_52radix_sort_onesweep_histogram_config_static_selectorELNS0_4arch9wavefront6targetE0EEEvSD_: ; @_ZN7rocprim17ROCPRIM_400000_NS6detail17trampoline_kernelINS0_14default_configENS1_35radix_sort_onesweep_config_selectorIlNS0_10empty_typeEEEZNS1_34radix_sort_onesweep_global_offsetsIS3_Lb0EPKlPS5_mNS0_19identity_decomposerEEE10hipError_tT1_T2_PT3_SF_jT4_jjP12ihipStream_tbEUlT_E_NS1_11comp_targetILNS1_3genE5ELNS1_11target_archE942ELNS1_3gpuE9ELNS1_3repE0EEENS1_52radix_sort_onesweep_histogram_config_static_selectorELNS0_4arch9wavefront6targetE0EEEvSD_
; %bb.0:
	.section	.rodata,"a",@progbits
	.p2align	6, 0x0
	.amdhsa_kernel _ZN7rocprim17ROCPRIM_400000_NS6detail17trampoline_kernelINS0_14default_configENS1_35radix_sort_onesweep_config_selectorIlNS0_10empty_typeEEEZNS1_34radix_sort_onesweep_global_offsetsIS3_Lb0EPKlPS5_mNS0_19identity_decomposerEEE10hipError_tT1_T2_PT3_SF_jT4_jjP12ihipStream_tbEUlT_E_NS1_11comp_targetILNS1_3genE5ELNS1_11target_archE942ELNS1_3gpuE9ELNS1_3repE0EEENS1_52radix_sort_onesweep_histogram_config_static_selectorELNS0_4arch9wavefront6targetE0EEEvSD_
		.amdhsa_group_segment_fixed_size 0
		.amdhsa_private_segment_fixed_size 0
		.amdhsa_kernarg_size 48
		.amdhsa_user_sgpr_count 2
		.amdhsa_user_sgpr_dispatch_ptr 0
		.amdhsa_user_sgpr_queue_ptr 0
		.amdhsa_user_sgpr_kernarg_segment_ptr 1
		.amdhsa_user_sgpr_dispatch_id 0
		.amdhsa_user_sgpr_kernarg_preload_length 0
		.amdhsa_user_sgpr_kernarg_preload_offset 0
		.amdhsa_user_sgpr_private_segment_size 0
		.amdhsa_wavefront_size32 1
		.amdhsa_uses_dynamic_stack 0
		.amdhsa_enable_private_segment 0
		.amdhsa_system_sgpr_workgroup_id_x 1
		.amdhsa_system_sgpr_workgroup_id_y 0
		.amdhsa_system_sgpr_workgroup_id_z 0
		.amdhsa_system_sgpr_workgroup_info 0
		.amdhsa_system_vgpr_workitem_id 0
		.amdhsa_next_free_vgpr 1
		.amdhsa_next_free_sgpr 1
		.amdhsa_named_barrier_count 0
		.amdhsa_reserve_vcc 0
		.amdhsa_float_round_mode_32 0
		.amdhsa_float_round_mode_16_64 0
		.amdhsa_float_denorm_mode_32 3
		.amdhsa_float_denorm_mode_16_64 3
		.amdhsa_fp16_overflow 0
		.amdhsa_memory_ordered 1
		.amdhsa_forward_progress 1
		.amdhsa_inst_pref_size 0
		.amdhsa_round_robin_scheduling 0
		.amdhsa_exception_fp_ieee_invalid_op 0
		.amdhsa_exception_fp_denorm_src 0
		.amdhsa_exception_fp_ieee_div_zero 0
		.amdhsa_exception_fp_ieee_overflow 0
		.amdhsa_exception_fp_ieee_underflow 0
		.amdhsa_exception_fp_ieee_inexact 0
		.amdhsa_exception_int_div_zero 0
	.end_amdhsa_kernel
	.section	.text._ZN7rocprim17ROCPRIM_400000_NS6detail17trampoline_kernelINS0_14default_configENS1_35radix_sort_onesweep_config_selectorIlNS0_10empty_typeEEEZNS1_34radix_sort_onesweep_global_offsetsIS3_Lb0EPKlPS5_mNS0_19identity_decomposerEEE10hipError_tT1_T2_PT3_SF_jT4_jjP12ihipStream_tbEUlT_E_NS1_11comp_targetILNS1_3genE5ELNS1_11target_archE942ELNS1_3gpuE9ELNS1_3repE0EEENS1_52radix_sort_onesweep_histogram_config_static_selectorELNS0_4arch9wavefront6targetE0EEEvSD_,"axG",@progbits,_ZN7rocprim17ROCPRIM_400000_NS6detail17trampoline_kernelINS0_14default_configENS1_35radix_sort_onesweep_config_selectorIlNS0_10empty_typeEEEZNS1_34radix_sort_onesweep_global_offsetsIS3_Lb0EPKlPS5_mNS0_19identity_decomposerEEE10hipError_tT1_T2_PT3_SF_jT4_jjP12ihipStream_tbEUlT_E_NS1_11comp_targetILNS1_3genE5ELNS1_11target_archE942ELNS1_3gpuE9ELNS1_3repE0EEENS1_52radix_sort_onesweep_histogram_config_static_selectorELNS0_4arch9wavefront6targetE0EEEvSD_,comdat
.Lfunc_end1191:
	.size	_ZN7rocprim17ROCPRIM_400000_NS6detail17trampoline_kernelINS0_14default_configENS1_35radix_sort_onesweep_config_selectorIlNS0_10empty_typeEEEZNS1_34radix_sort_onesweep_global_offsetsIS3_Lb0EPKlPS5_mNS0_19identity_decomposerEEE10hipError_tT1_T2_PT3_SF_jT4_jjP12ihipStream_tbEUlT_E_NS1_11comp_targetILNS1_3genE5ELNS1_11target_archE942ELNS1_3gpuE9ELNS1_3repE0EEENS1_52radix_sort_onesweep_histogram_config_static_selectorELNS0_4arch9wavefront6targetE0EEEvSD_, .Lfunc_end1191-_ZN7rocprim17ROCPRIM_400000_NS6detail17trampoline_kernelINS0_14default_configENS1_35radix_sort_onesweep_config_selectorIlNS0_10empty_typeEEEZNS1_34radix_sort_onesweep_global_offsetsIS3_Lb0EPKlPS5_mNS0_19identity_decomposerEEE10hipError_tT1_T2_PT3_SF_jT4_jjP12ihipStream_tbEUlT_E_NS1_11comp_targetILNS1_3genE5ELNS1_11target_archE942ELNS1_3gpuE9ELNS1_3repE0EEENS1_52radix_sort_onesweep_histogram_config_static_selectorELNS0_4arch9wavefront6targetE0EEEvSD_
                                        ; -- End function
	.set _ZN7rocprim17ROCPRIM_400000_NS6detail17trampoline_kernelINS0_14default_configENS1_35radix_sort_onesweep_config_selectorIlNS0_10empty_typeEEEZNS1_34radix_sort_onesweep_global_offsetsIS3_Lb0EPKlPS5_mNS0_19identity_decomposerEEE10hipError_tT1_T2_PT3_SF_jT4_jjP12ihipStream_tbEUlT_E_NS1_11comp_targetILNS1_3genE5ELNS1_11target_archE942ELNS1_3gpuE9ELNS1_3repE0EEENS1_52radix_sort_onesweep_histogram_config_static_selectorELNS0_4arch9wavefront6targetE0EEEvSD_.num_vgpr, 0
	.set _ZN7rocprim17ROCPRIM_400000_NS6detail17trampoline_kernelINS0_14default_configENS1_35radix_sort_onesweep_config_selectorIlNS0_10empty_typeEEEZNS1_34radix_sort_onesweep_global_offsetsIS3_Lb0EPKlPS5_mNS0_19identity_decomposerEEE10hipError_tT1_T2_PT3_SF_jT4_jjP12ihipStream_tbEUlT_E_NS1_11comp_targetILNS1_3genE5ELNS1_11target_archE942ELNS1_3gpuE9ELNS1_3repE0EEENS1_52radix_sort_onesweep_histogram_config_static_selectorELNS0_4arch9wavefront6targetE0EEEvSD_.num_agpr, 0
	.set _ZN7rocprim17ROCPRIM_400000_NS6detail17trampoline_kernelINS0_14default_configENS1_35radix_sort_onesweep_config_selectorIlNS0_10empty_typeEEEZNS1_34radix_sort_onesweep_global_offsetsIS3_Lb0EPKlPS5_mNS0_19identity_decomposerEEE10hipError_tT1_T2_PT3_SF_jT4_jjP12ihipStream_tbEUlT_E_NS1_11comp_targetILNS1_3genE5ELNS1_11target_archE942ELNS1_3gpuE9ELNS1_3repE0EEENS1_52radix_sort_onesweep_histogram_config_static_selectorELNS0_4arch9wavefront6targetE0EEEvSD_.numbered_sgpr, 0
	.set _ZN7rocprim17ROCPRIM_400000_NS6detail17trampoline_kernelINS0_14default_configENS1_35radix_sort_onesweep_config_selectorIlNS0_10empty_typeEEEZNS1_34radix_sort_onesweep_global_offsetsIS3_Lb0EPKlPS5_mNS0_19identity_decomposerEEE10hipError_tT1_T2_PT3_SF_jT4_jjP12ihipStream_tbEUlT_E_NS1_11comp_targetILNS1_3genE5ELNS1_11target_archE942ELNS1_3gpuE9ELNS1_3repE0EEENS1_52radix_sort_onesweep_histogram_config_static_selectorELNS0_4arch9wavefront6targetE0EEEvSD_.num_named_barrier, 0
	.set _ZN7rocprim17ROCPRIM_400000_NS6detail17trampoline_kernelINS0_14default_configENS1_35radix_sort_onesweep_config_selectorIlNS0_10empty_typeEEEZNS1_34radix_sort_onesweep_global_offsetsIS3_Lb0EPKlPS5_mNS0_19identity_decomposerEEE10hipError_tT1_T2_PT3_SF_jT4_jjP12ihipStream_tbEUlT_E_NS1_11comp_targetILNS1_3genE5ELNS1_11target_archE942ELNS1_3gpuE9ELNS1_3repE0EEENS1_52radix_sort_onesweep_histogram_config_static_selectorELNS0_4arch9wavefront6targetE0EEEvSD_.private_seg_size, 0
	.set _ZN7rocprim17ROCPRIM_400000_NS6detail17trampoline_kernelINS0_14default_configENS1_35radix_sort_onesweep_config_selectorIlNS0_10empty_typeEEEZNS1_34radix_sort_onesweep_global_offsetsIS3_Lb0EPKlPS5_mNS0_19identity_decomposerEEE10hipError_tT1_T2_PT3_SF_jT4_jjP12ihipStream_tbEUlT_E_NS1_11comp_targetILNS1_3genE5ELNS1_11target_archE942ELNS1_3gpuE9ELNS1_3repE0EEENS1_52radix_sort_onesweep_histogram_config_static_selectorELNS0_4arch9wavefront6targetE0EEEvSD_.uses_vcc, 0
	.set _ZN7rocprim17ROCPRIM_400000_NS6detail17trampoline_kernelINS0_14default_configENS1_35radix_sort_onesweep_config_selectorIlNS0_10empty_typeEEEZNS1_34radix_sort_onesweep_global_offsetsIS3_Lb0EPKlPS5_mNS0_19identity_decomposerEEE10hipError_tT1_T2_PT3_SF_jT4_jjP12ihipStream_tbEUlT_E_NS1_11comp_targetILNS1_3genE5ELNS1_11target_archE942ELNS1_3gpuE9ELNS1_3repE0EEENS1_52radix_sort_onesweep_histogram_config_static_selectorELNS0_4arch9wavefront6targetE0EEEvSD_.uses_flat_scratch, 0
	.set _ZN7rocprim17ROCPRIM_400000_NS6detail17trampoline_kernelINS0_14default_configENS1_35radix_sort_onesweep_config_selectorIlNS0_10empty_typeEEEZNS1_34radix_sort_onesweep_global_offsetsIS3_Lb0EPKlPS5_mNS0_19identity_decomposerEEE10hipError_tT1_T2_PT3_SF_jT4_jjP12ihipStream_tbEUlT_E_NS1_11comp_targetILNS1_3genE5ELNS1_11target_archE942ELNS1_3gpuE9ELNS1_3repE0EEENS1_52radix_sort_onesweep_histogram_config_static_selectorELNS0_4arch9wavefront6targetE0EEEvSD_.has_dyn_sized_stack, 0
	.set _ZN7rocprim17ROCPRIM_400000_NS6detail17trampoline_kernelINS0_14default_configENS1_35radix_sort_onesweep_config_selectorIlNS0_10empty_typeEEEZNS1_34radix_sort_onesweep_global_offsetsIS3_Lb0EPKlPS5_mNS0_19identity_decomposerEEE10hipError_tT1_T2_PT3_SF_jT4_jjP12ihipStream_tbEUlT_E_NS1_11comp_targetILNS1_3genE5ELNS1_11target_archE942ELNS1_3gpuE9ELNS1_3repE0EEENS1_52radix_sort_onesweep_histogram_config_static_selectorELNS0_4arch9wavefront6targetE0EEEvSD_.has_recursion, 0
	.set _ZN7rocprim17ROCPRIM_400000_NS6detail17trampoline_kernelINS0_14default_configENS1_35radix_sort_onesweep_config_selectorIlNS0_10empty_typeEEEZNS1_34radix_sort_onesweep_global_offsetsIS3_Lb0EPKlPS5_mNS0_19identity_decomposerEEE10hipError_tT1_T2_PT3_SF_jT4_jjP12ihipStream_tbEUlT_E_NS1_11comp_targetILNS1_3genE5ELNS1_11target_archE942ELNS1_3gpuE9ELNS1_3repE0EEENS1_52radix_sort_onesweep_histogram_config_static_selectorELNS0_4arch9wavefront6targetE0EEEvSD_.has_indirect_call, 0
	.section	.AMDGPU.csdata,"",@progbits
; Kernel info:
; codeLenInByte = 0
; TotalNumSgprs: 0
; NumVgprs: 0
; ScratchSize: 0
; MemoryBound: 0
; FloatMode: 240
; IeeeMode: 1
; LDSByteSize: 0 bytes/workgroup (compile time only)
; SGPRBlocks: 0
; VGPRBlocks: 0
; NumSGPRsForWavesPerEU: 1
; NumVGPRsForWavesPerEU: 1
; NamedBarCnt: 0
; Occupancy: 16
; WaveLimiterHint : 0
; COMPUTE_PGM_RSRC2:SCRATCH_EN: 0
; COMPUTE_PGM_RSRC2:USER_SGPR: 2
; COMPUTE_PGM_RSRC2:TRAP_HANDLER: 0
; COMPUTE_PGM_RSRC2:TGID_X_EN: 1
; COMPUTE_PGM_RSRC2:TGID_Y_EN: 0
; COMPUTE_PGM_RSRC2:TGID_Z_EN: 0
; COMPUTE_PGM_RSRC2:TIDIG_COMP_CNT: 0
	.section	.text._ZN7rocprim17ROCPRIM_400000_NS6detail17trampoline_kernelINS0_14default_configENS1_35radix_sort_onesweep_config_selectorIlNS0_10empty_typeEEEZNS1_34radix_sort_onesweep_global_offsetsIS3_Lb0EPKlPS5_mNS0_19identity_decomposerEEE10hipError_tT1_T2_PT3_SF_jT4_jjP12ihipStream_tbEUlT_E_NS1_11comp_targetILNS1_3genE2ELNS1_11target_archE906ELNS1_3gpuE6ELNS1_3repE0EEENS1_52radix_sort_onesweep_histogram_config_static_selectorELNS0_4arch9wavefront6targetE0EEEvSD_,"axG",@progbits,_ZN7rocprim17ROCPRIM_400000_NS6detail17trampoline_kernelINS0_14default_configENS1_35radix_sort_onesweep_config_selectorIlNS0_10empty_typeEEEZNS1_34radix_sort_onesweep_global_offsetsIS3_Lb0EPKlPS5_mNS0_19identity_decomposerEEE10hipError_tT1_T2_PT3_SF_jT4_jjP12ihipStream_tbEUlT_E_NS1_11comp_targetILNS1_3genE2ELNS1_11target_archE906ELNS1_3gpuE6ELNS1_3repE0EEENS1_52radix_sort_onesweep_histogram_config_static_selectorELNS0_4arch9wavefront6targetE0EEEvSD_,comdat
	.protected	_ZN7rocprim17ROCPRIM_400000_NS6detail17trampoline_kernelINS0_14default_configENS1_35radix_sort_onesweep_config_selectorIlNS0_10empty_typeEEEZNS1_34radix_sort_onesweep_global_offsetsIS3_Lb0EPKlPS5_mNS0_19identity_decomposerEEE10hipError_tT1_T2_PT3_SF_jT4_jjP12ihipStream_tbEUlT_E_NS1_11comp_targetILNS1_3genE2ELNS1_11target_archE906ELNS1_3gpuE6ELNS1_3repE0EEENS1_52radix_sort_onesweep_histogram_config_static_selectorELNS0_4arch9wavefront6targetE0EEEvSD_ ; -- Begin function _ZN7rocprim17ROCPRIM_400000_NS6detail17trampoline_kernelINS0_14default_configENS1_35radix_sort_onesweep_config_selectorIlNS0_10empty_typeEEEZNS1_34radix_sort_onesweep_global_offsetsIS3_Lb0EPKlPS5_mNS0_19identity_decomposerEEE10hipError_tT1_T2_PT3_SF_jT4_jjP12ihipStream_tbEUlT_E_NS1_11comp_targetILNS1_3genE2ELNS1_11target_archE906ELNS1_3gpuE6ELNS1_3repE0EEENS1_52radix_sort_onesweep_histogram_config_static_selectorELNS0_4arch9wavefront6targetE0EEEvSD_
	.globl	_ZN7rocprim17ROCPRIM_400000_NS6detail17trampoline_kernelINS0_14default_configENS1_35radix_sort_onesweep_config_selectorIlNS0_10empty_typeEEEZNS1_34radix_sort_onesweep_global_offsetsIS3_Lb0EPKlPS5_mNS0_19identity_decomposerEEE10hipError_tT1_T2_PT3_SF_jT4_jjP12ihipStream_tbEUlT_E_NS1_11comp_targetILNS1_3genE2ELNS1_11target_archE906ELNS1_3gpuE6ELNS1_3repE0EEENS1_52radix_sort_onesweep_histogram_config_static_selectorELNS0_4arch9wavefront6targetE0EEEvSD_
	.p2align	8
	.type	_ZN7rocprim17ROCPRIM_400000_NS6detail17trampoline_kernelINS0_14default_configENS1_35radix_sort_onesweep_config_selectorIlNS0_10empty_typeEEEZNS1_34radix_sort_onesweep_global_offsetsIS3_Lb0EPKlPS5_mNS0_19identity_decomposerEEE10hipError_tT1_T2_PT3_SF_jT4_jjP12ihipStream_tbEUlT_E_NS1_11comp_targetILNS1_3genE2ELNS1_11target_archE906ELNS1_3gpuE6ELNS1_3repE0EEENS1_52radix_sort_onesweep_histogram_config_static_selectorELNS0_4arch9wavefront6targetE0EEEvSD_,@function
_ZN7rocprim17ROCPRIM_400000_NS6detail17trampoline_kernelINS0_14default_configENS1_35radix_sort_onesweep_config_selectorIlNS0_10empty_typeEEEZNS1_34radix_sort_onesweep_global_offsetsIS3_Lb0EPKlPS5_mNS0_19identity_decomposerEEE10hipError_tT1_T2_PT3_SF_jT4_jjP12ihipStream_tbEUlT_E_NS1_11comp_targetILNS1_3genE2ELNS1_11target_archE906ELNS1_3gpuE6ELNS1_3repE0EEENS1_52radix_sort_onesweep_histogram_config_static_selectorELNS0_4arch9wavefront6targetE0EEEvSD_: ; @_ZN7rocprim17ROCPRIM_400000_NS6detail17trampoline_kernelINS0_14default_configENS1_35radix_sort_onesweep_config_selectorIlNS0_10empty_typeEEEZNS1_34radix_sort_onesweep_global_offsetsIS3_Lb0EPKlPS5_mNS0_19identity_decomposerEEE10hipError_tT1_T2_PT3_SF_jT4_jjP12ihipStream_tbEUlT_E_NS1_11comp_targetILNS1_3genE2ELNS1_11target_archE906ELNS1_3gpuE6ELNS1_3repE0EEENS1_52radix_sort_onesweep_histogram_config_static_selectorELNS0_4arch9wavefront6targetE0EEEvSD_
; %bb.0:
	.section	.rodata,"a",@progbits
	.p2align	6, 0x0
	.amdhsa_kernel _ZN7rocprim17ROCPRIM_400000_NS6detail17trampoline_kernelINS0_14default_configENS1_35radix_sort_onesweep_config_selectorIlNS0_10empty_typeEEEZNS1_34radix_sort_onesweep_global_offsetsIS3_Lb0EPKlPS5_mNS0_19identity_decomposerEEE10hipError_tT1_T2_PT3_SF_jT4_jjP12ihipStream_tbEUlT_E_NS1_11comp_targetILNS1_3genE2ELNS1_11target_archE906ELNS1_3gpuE6ELNS1_3repE0EEENS1_52radix_sort_onesweep_histogram_config_static_selectorELNS0_4arch9wavefront6targetE0EEEvSD_
		.amdhsa_group_segment_fixed_size 0
		.amdhsa_private_segment_fixed_size 0
		.amdhsa_kernarg_size 48
		.amdhsa_user_sgpr_count 2
		.amdhsa_user_sgpr_dispatch_ptr 0
		.amdhsa_user_sgpr_queue_ptr 0
		.amdhsa_user_sgpr_kernarg_segment_ptr 1
		.amdhsa_user_sgpr_dispatch_id 0
		.amdhsa_user_sgpr_kernarg_preload_length 0
		.amdhsa_user_sgpr_kernarg_preload_offset 0
		.amdhsa_user_sgpr_private_segment_size 0
		.amdhsa_wavefront_size32 1
		.amdhsa_uses_dynamic_stack 0
		.amdhsa_enable_private_segment 0
		.amdhsa_system_sgpr_workgroup_id_x 1
		.amdhsa_system_sgpr_workgroup_id_y 0
		.amdhsa_system_sgpr_workgroup_id_z 0
		.amdhsa_system_sgpr_workgroup_info 0
		.amdhsa_system_vgpr_workitem_id 0
		.amdhsa_next_free_vgpr 1
		.amdhsa_next_free_sgpr 1
		.amdhsa_named_barrier_count 0
		.amdhsa_reserve_vcc 0
		.amdhsa_float_round_mode_32 0
		.amdhsa_float_round_mode_16_64 0
		.amdhsa_float_denorm_mode_32 3
		.amdhsa_float_denorm_mode_16_64 3
		.amdhsa_fp16_overflow 0
		.amdhsa_memory_ordered 1
		.amdhsa_forward_progress 1
		.amdhsa_inst_pref_size 0
		.amdhsa_round_robin_scheduling 0
		.amdhsa_exception_fp_ieee_invalid_op 0
		.amdhsa_exception_fp_denorm_src 0
		.amdhsa_exception_fp_ieee_div_zero 0
		.amdhsa_exception_fp_ieee_overflow 0
		.amdhsa_exception_fp_ieee_underflow 0
		.amdhsa_exception_fp_ieee_inexact 0
		.amdhsa_exception_int_div_zero 0
	.end_amdhsa_kernel
	.section	.text._ZN7rocprim17ROCPRIM_400000_NS6detail17trampoline_kernelINS0_14default_configENS1_35radix_sort_onesweep_config_selectorIlNS0_10empty_typeEEEZNS1_34radix_sort_onesweep_global_offsetsIS3_Lb0EPKlPS5_mNS0_19identity_decomposerEEE10hipError_tT1_T2_PT3_SF_jT4_jjP12ihipStream_tbEUlT_E_NS1_11comp_targetILNS1_3genE2ELNS1_11target_archE906ELNS1_3gpuE6ELNS1_3repE0EEENS1_52radix_sort_onesweep_histogram_config_static_selectorELNS0_4arch9wavefront6targetE0EEEvSD_,"axG",@progbits,_ZN7rocprim17ROCPRIM_400000_NS6detail17trampoline_kernelINS0_14default_configENS1_35radix_sort_onesweep_config_selectorIlNS0_10empty_typeEEEZNS1_34radix_sort_onesweep_global_offsetsIS3_Lb0EPKlPS5_mNS0_19identity_decomposerEEE10hipError_tT1_T2_PT3_SF_jT4_jjP12ihipStream_tbEUlT_E_NS1_11comp_targetILNS1_3genE2ELNS1_11target_archE906ELNS1_3gpuE6ELNS1_3repE0EEENS1_52radix_sort_onesweep_histogram_config_static_selectorELNS0_4arch9wavefront6targetE0EEEvSD_,comdat
.Lfunc_end1192:
	.size	_ZN7rocprim17ROCPRIM_400000_NS6detail17trampoline_kernelINS0_14default_configENS1_35radix_sort_onesweep_config_selectorIlNS0_10empty_typeEEEZNS1_34radix_sort_onesweep_global_offsetsIS3_Lb0EPKlPS5_mNS0_19identity_decomposerEEE10hipError_tT1_T2_PT3_SF_jT4_jjP12ihipStream_tbEUlT_E_NS1_11comp_targetILNS1_3genE2ELNS1_11target_archE906ELNS1_3gpuE6ELNS1_3repE0EEENS1_52radix_sort_onesweep_histogram_config_static_selectorELNS0_4arch9wavefront6targetE0EEEvSD_, .Lfunc_end1192-_ZN7rocprim17ROCPRIM_400000_NS6detail17trampoline_kernelINS0_14default_configENS1_35radix_sort_onesweep_config_selectorIlNS0_10empty_typeEEEZNS1_34radix_sort_onesweep_global_offsetsIS3_Lb0EPKlPS5_mNS0_19identity_decomposerEEE10hipError_tT1_T2_PT3_SF_jT4_jjP12ihipStream_tbEUlT_E_NS1_11comp_targetILNS1_3genE2ELNS1_11target_archE906ELNS1_3gpuE6ELNS1_3repE0EEENS1_52radix_sort_onesweep_histogram_config_static_selectorELNS0_4arch9wavefront6targetE0EEEvSD_
                                        ; -- End function
	.set _ZN7rocprim17ROCPRIM_400000_NS6detail17trampoline_kernelINS0_14default_configENS1_35radix_sort_onesweep_config_selectorIlNS0_10empty_typeEEEZNS1_34radix_sort_onesweep_global_offsetsIS3_Lb0EPKlPS5_mNS0_19identity_decomposerEEE10hipError_tT1_T2_PT3_SF_jT4_jjP12ihipStream_tbEUlT_E_NS1_11comp_targetILNS1_3genE2ELNS1_11target_archE906ELNS1_3gpuE6ELNS1_3repE0EEENS1_52radix_sort_onesweep_histogram_config_static_selectorELNS0_4arch9wavefront6targetE0EEEvSD_.num_vgpr, 0
	.set _ZN7rocprim17ROCPRIM_400000_NS6detail17trampoline_kernelINS0_14default_configENS1_35radix_sort_onesweep_config_selectorIlNS0_10empty_typeEEEZNS1_34radix_sort_onesweep_global_offsetsIS3_Lb0EPKlPS5_mNS0_19identity_decomposerEEE10hipError_tT1_T2_PT3_SF_jT4_jjP12ihipStream_tbEUlT_E_NS1_11comp_targetILNS1_3genE2ELNS1_11target_archE906ELNS1_3gpuE6ELNS1_3repE0EEENS1_52radix_sort_onesweep_histogram_config_static_selectorELNS0_4arch9wavefront6targetE0EEEvSD_.num_agpr, 0
	.set _ZN7rocprim17ROCPRIM_400000_NS6detail17trampoline_kernelINS0_14default_configENS1_35radix_sort_onesweep_config_selectorIlNS0_10empty_typeEEEZNS1_34radix_sort_onesweep_global_offsetsIS3_Lb0EPKlPS5_mNS0_19identity_decomposerEEE10hipError_tT1_T2_PT3_SF_jT4_jjP12ihipStream_tbEUlT_E_NS1_11comp_targetILNS1_3genE2ELNS1_11target_archE906ELNS1_3gpuE6ELNS1_3repE0EEENS1_52radix_sort_onesweep_histogram_config_static_selectorELNS0_4arch9wavefront6targetE0EEEvSD_.numbered_sgpr, 0
	.set _ZN7rocprim17ROCPRIM_400000_NS6detail17trampoline_kernelINS0_14default_configENS1_35radix_sort_onesweep_config_selectorIlNS0_10empty_typeEEEZNS1_34radix_sort_onesweep_global_offsetsIS3_Lb0EPKlPS5_mNS0_19identity_decomposerEEE10hipError_tT1_T2_PT3_SF_jT4_jjP12ihipStream_tbEUlT_E_NS1_11comp_targetILNS1_3genE2ELNS1_11target_archE906ELNS1_3gpuE6ELNS1_3repE0EEENS1_52radix_sort_onesweep_histogram_config_static_selectorELNS0_4arch9wavefront6targetE0EEEvSD_.num_named_barrier, 0
	.set _ZN7rocprim17ROCPRIM_400000_NS6detail17trampoline_kernelINS0_14default_configENS1_35radix_sort_onesweep_config_selectorIlNS0_10empty_typeEEEZNS1_34radix_sort_onesweep_global_offsetsIS3_Lb0EPKlPS5_mNS0_19identity_decomposerEEE10hipError_tT1_T2_PT3_SF_jT4_jjP12ihipStream_tbEUlT_E_NS1_11comp_targetILNS1_3genE2ELNS1_11target_archE906ELNS1_3gpuE6ELNS1_3repE0EEENS1_52radix_sort_onesweep_histogram_config_static_selectorELNS0_4arch9wavefront6targetE0EEEvSD_.private_seg_size, 0
	.set _ZN7rocprim17ROCPRIM_400000_NS6detail17trampoline_kernelINS0_14default_configENS1_35radix_sort_onesweep_config_selectorIlNS0_10empty_typeEEEZNS1_34radix_sort_onesweep_global_offsetsIS3_Lb0EPKlPS5_mNS0_19identity_decomposerEEE10hipError_tT1_T2_PT3_SF_jT4_jjP12ihipStream_tbEUlT_E_NS1_11comp_targetILNS1_3genE2ELNS1_11target_archE906ELNS1_3gpuE6ELNS1_3repE0EEENS1_52radix_sort_onesweep_histogram_config_static_selectorELNS0_4arch9wavefront6targetE0EEEvSD_.uses_vcc, 0
	.set _ZN7rocprim17ROCPRIM_400000_NS6detail17trampoline_kernelINS0_14default_configENS1_35radix_sort_onesweep_config_selectorIlNS0_10empty_typeEEEZNS1_34radix_sort_onesweep_global_offsetsIS3_Lb0EPKlPS5_mNS0_19identity_decomposerEEE10hipError_tT1_T2_PT3_SF_jT4_jjP12ihipStream_tbEUlT_E_NS1_11comp_targetILNS1_3genE2ELNS1_11target_archE906ELNS1_3gpuE6ELNS1_3repE0EEENS1_52radix_sort_onesweep_histogram_config_static_selectorELNS0_4arch9wavefront6targetE0EEEvSD_.uses_flat_scratch, 0
	.set _ZN7rocprim17ROCPRIM_400000_NS6detail17trampoline_kernelINS0_14default_configENS1_35radix_sort_onesweep_config_selectorIlNS0_10empty_typeEEEZNS1_34radix_sort_onesweep_global_offsetsIS3_Lb0EPKlPS5_mNS0_19identity_decomposerEEE10hipError_tT1_T2_PT3_SF_jT4_jjP12ihipStream_tbEUlT_E_NS1_11comp_targetILNS1_3genE2ELNS1_11target_archE906ELNS1_3gpuE6ELNS1_3repE0EEENS1_52radix_sort_onesweep_histogram_config_static_selectorELNS0_4arch9wavefront6targetE0EEEvSD_.has_dyn_sized_stack, 0
	.set _ZN7rocprim17ROCPRIM_400000_NS6detail17trampoline_kernelINS0_14default_configENS1_35radix_sort_onesweep_config_selectorIlNS0_10empty_typeEEEZNS1_34radix_sort_onesweep_global_offsetsIS3_Lb0EPKlPS5_mNS0_19identity_decomposerEEE10hipError_tT1_T2_PT3_SF_jT4_jjP12ihipStream_tbEUlT_E_NS1_11comp_targetILNS1_3genE2ELNS1_11target_archE906ELNS1_3gpuE6ELNS1_3repE0EEENS1_52radix_sort_onesweep_histogram_config_static_selectorELNS0_4arch9wavefront6targetE0EEEvSD_.has_recursion, 0
	.set _ZN7rocprim17ROCPRIM_400000_NS6detail17trampoline_kernelINS0_14default_configENS1_35radix_sort_onesweep_config_selectorIlNS0_10empty_typeEEEZNS1_34radix_sort_onesweep_global_offsetsIS3_Lb0EPKlPS5_mNS0_19identity_decomposerEEE10hipError_tT1_T2_PT3_SF_jT4_jjP12ihipStream_tbEUlT_E_NS1_11comp_targetILNS1_3genE2ELNS1_11target_archE906ELNS1_3gpuE6ELNS1_3repE0EEENS1_52radix_sort_onesweep_histogram_config_static_selectorELNS0_4arch9wavefront6targetE0EEEvSD_.has_indirect_call, 0
	.section	.AMDGPU.csdata,"",@progbits
; Kernel info:
; codeLenInByte = 0
; TotalNumSgprs: 0
; NumVgprs: 0
; ScratchSize: 0
; MemoryBound: 0
; FloatMode: 240
; IeeeMode: 1
; LDSByteSize: 0 bytes/workgroup (compile time only)
; SGPRBlocks: 0
; VGPRBlocks: 0
; NumSGPRsForWavesPerEU: 1
; NumVGPRsForWavesPerEU: 1
; NamedBarCnt: 0
; Occupancy: 16
; WaveLimiterHint : 0
; COMPUTE_PGM_RSRC2:SCRATCH_EN: 0
; COMPUTE_PGM_RSRC2:USER_SGPR: 2
; COMPUTE_PGM_RSRC2:TRAP_HANDLER: 0
; COMPUTE_PGM_RSRC2:TGID_X_EN: 1
; COMPUTE_PGM_RSRC2:TGID_Y_EN: 0
; COMPUTE_PGM_RSRC2:TGID_Z_EN: 0
; COMPUTE_PGM_RSRC2:TIDIG_COMP_CNT: 0
	.section	.text._ZN7rocprim17ROCPRIM_400000_NS6detail17trampoline_kernelINS0_14default_configENS1_35radix_sort_onesweep_config_selectorIlNS0_10empty_typeEEEZNS1_34radix_sort_onesweep_global_offsetsIS3_Lb0EPKlPS5_mNS0_19identity_decomposerEEE10hipError_tT1_T2_PT3_SF_jT4_jjP12ihipStream_tbEUlT_E_NS1_11comp_targetILNS1_3genE4ELNS1_11target_archE910ELNS1_3gpuE8ELNS1_3repE0EEENS1_52radix_sort_onesweep_histogram_config_static_selectorELNS0_4arch9wavefront6targetE0EEEvSD_,"axG",@progbits,_ZN7rocprim17ROCPRIM_400000_NS6detail17trampoline_kernelINS0_14default_configENS1_35radix_sort_onesweep_config_selectorIlNS0_10empty_typeEEEZNS1_34radix_sort_onesweep_global_offsetsIS3_Lb0EPKlPS5_mNS0_19identity_decomposerEEE10hipError_tT1_T2_PT3_SF_jT4_jjP12ihipStream_tbEUlT_E_NS1_11comp_targetILNS1_3genE4ELNS1_11target_archE910ELNS1_3gpuE8ELNS1_3repE0EEENS1_52radix_sort_onesweep_histogram_config_static_selectorELNS0_4arch9wavefront6targetE0EEEvSD_,comdat
	.protected	_ZN7rocprim17ROCPRIM_400000_NS6detail17trampoline_kernelINS0_14default_configENS1_35radix_sort_onesweep_config_selectorIlNS0_10empty_typeEEEZNS1_34radix_sort_onesweep_global_offsetsIS3_Lb0EPKlPS5_mNS0_19identity_decomposerEEE10hipError_tT1_T2_PT3_SF_jT4_jjP12ihipStream_tbEUlT_E_NS1_11comp_targetILNS1_3genE4ELNS1_11target_archE910ELNS1_3gpuE8ELNS1_3repE0EEENS1_52radix_sort_onesweep_histogram_config_static_selectorELNS0_4arch9wavefront6targetE0EEEvSD_ ; -- Begin function _ZN7rocprim17ROCPRIM_400000_NS6detail17trampoline_kernelINS0_14default_configENS1_35radix_sort_onesweep_config_selectorIlNS0_10empty_typeEEEZNS1_34radix_sort_onesweep_global_offsetsIS3_Lb0EPKlPS5_mNS0_19identity_decomposerEEE10hipError_tT1_T2_PT3_SF_jT4_jjP12ihipStream_tbEUlT_E_NS1_11comp_targetILNS1_3genE4ELNS1_11target_archE910ELNS1_3gpuE8ELNS1_3repE0EEENS1_52radix_sort_onesweep_histogram_config_static_selectorELNS0_4arch9wavefront6targetE0EEEvSD_
	.globl	_ZN7rocprim17ROCPRIM_400000_NS6detail17trampoline_kernelINS0_14default_configENS1_35radix_sort_onesweep_config_selectorIlNS0_10empty_typeEEEZNS1_34radix_sort_onesweep_global_offsetsIS3_Lb0EPKlPS5_mNS0_19identity_decomposerEEE10hipError_tT1_T2_PT3_SF_jT4_jjP12ihipStream_tbEUlT_E_NS1_11comp_targetILNS1_3genE4ELNS1_11target_archE910ELNS1_3gpuE8ELNS1_3repE0EEENS1_52radix_sort_onesweep_histogram_config_static_selectorELNS0_4arch9wavefront6targetE0EEEvSD_
	.p2align	8
	.type	_ZN7rocprim17ROCPRIM_400000_NS6detail17trampoline_kernelINS0_14default_configENS1_35radix_sort_onesweep_config_selectorIlNS0_10empty_typeEEEZNS1_34radix_sort_onesweep_global_offsetsIS3_Lb0EPKlPS5_mNS0_19identity_decomposerEEE10hipError_tT1_T2_PT3_SF_jT4_jjP12ihipStream_tbEUlT_E_NS1_11comp_targetILNS1_3genE4ELNS1_11target_archE910ELNS1_3gpuE8ELNS1_3repE0EEENS1_52radix_sort_onesweep_histogram_config_static_selectorELNS0_4arch9wavefront6targetE0EEEvSD_,@function
_ZN7rocprim17ROCPRIM_400000_NS6detail17trampoline_kernelINS0_14default_configENS1_35radix_sort_onesweep_config_selectorIlNS0_10empty_typeEEEZNS1_34radix_sort_onesweep_global_offsetsIS3_Lb0EPKlPS5_mNS0_19identity_decomposerEEE10hipError_tT1_T2_PT3_SF_jT4_jjP12ihipStream_tbEUlT_E_NS1_11comp_targetILNS1_3genE4ELNS1_11target_archE910ELNS1_3gpuE8ELNS1_3repE0EEENS1_52radix_sort_onesweep_histogram_config_static_selectorELNS0_4arch9wavefront6targetE0EEEvSD_: ; @_ZN7rocprim17ROCPRIM_400000_NS6detail17trampoline_kernelINS0_14default_configENS1_35radix_sort_onesweep_config_selectorIlNS0_10empty_typeEEEZNS1_34radix_sort_onesweep_global_offsetsIS3_Lb0EPKlPS5_mNS0_19identity_decomposerEEE10hipError_tT1_T2_PT3_SF_jT4_jjP12ihipStream_tbEUlT_E_NS1_11comp_targetILNS1_3genE4ELNS1_11target_archE910ELNS1_3gpuE8ELNS1_3repE0EEENS1_52radix_sort_onesweep_histogram_config_static_selectorELNS0_4arch9wavefront6targetE0EEEvSD_
; %bb.0:
	.section	.rodata,"a",@progbits
	.p2align	6, 0x0
	.amdhsa_kernel _ZN7rocprim17ROCPRIM_400000_NS6detail17trampoline_kernelINS0_14default_configENS1_35radix_sort_onesweep_config_selectorIlNS0_10empty_typeEEEZNS1_34radix_sort_onesweep_global_offsetsIS3_Lb0EPKlPS5_mNS0_19identity_decomposerEEE10hipError_tT1_T2_PT3_SF_jT4_jjP12ihipStream_tbEUlT_E_NS1_11comp_targetILNS1_3genE4ELNS1_11target_archE910ELNS1_3gpuE8ELNS1_3repE0EEENS1_52radix_sort_onesweep_histogram_config_static_selectorELNS0_4arch9wavefront6targetE0EEEvSD_
		.amdhsa_group_segment_fixed_size 0
		.amdhsa_private_segment_fixed_size 0
		.amdhsa_kernarg_size 48
		.amdhsa_user_sgpr_count 2
		.amdhsa_user_sgpr_dispatch_ptr 0
		.amdhsa_user_sgpr_queue_ptr 0
		.amdhsa_user_sgpr_kernarg_segment_ptr 1
		.amdhsa_user_sgpr_dispatch_id 0
		.amdhsa_user_sgpr_kernarg_preload_length 0
		.amdhsa_user_sgpr_kernarg_preload_offset 0
		.amdhsa_user_sgpr_private_segment_size 0
		.amdhsa_wavefront_size32 1
		.amdhsa_uses_dynamic_stack 0
		.amdhsa_enable_private_segment 0
		.amdhsa_system_sgpr_workgroup_id_x 1
		.amdhsa_system_sgpr_workgroup_id_y 0
		.amdhsa_system_sgpr_workgroup_id_z 0
		.amdhsa_system_sgpr_workgroup_info 0
		.amdhsa_system_vgpr_workitem_id 0
		.amdhsa_next_free_vgpr 1
		.amdhsa_next_free_sgpr 1
		.amdhsa_named_barrier_count 0
		.amdhsa_reserve_vcc 0
		.amdhsa_float_round_mode_32 0
		.amdhsa_float_round_mode_16_64 0
		.amdhsa_float_denorm_mode_32 3
		.amdhsa_float_denorm_mode_16_64 3
		.amdhsa_fp16_overflow 0
		.amdhsa_memory_ordered 1
		.amdhsa_forward_progress 1
		.amdhsa_inst_pref_size 0
		.amdhsa_round_robin_scheduling 0
		.amdhsa_exception_fp_ieee_invalid_op 0
		.amdhsa_exception_fp_denorm_src 0
		.amdhsa_exception_fp_ieee_div_zero 0
		.amdhsa_exception_fp_ieee_overflow 0
		.amdhsa_exception_fp_ieee_underflow 0
		.amdhsa_exception_fp_ieee_inexact 0
		.amdhsa_exception_int_div_zero 0
	.end_amdhsa_kernel
	.section	.text._ZN7rocprim17ROCPRIM_400000_NS6detail17trampoline_kernelINS0_14default_configENS1_35radix_sort_onesweep_config_selectorIlNS0_10empty_typeEEEZNS1_34radix_sort_onesweep_global_offsetsIS3_Lb0EPKlPS5_mNS0_19identity_decomposerEEE10hipError_tT1_T2_PT3_SF_jT4_jjP12ihipStream_tbEUlT_E_NS1_11comp_targetILNS1_3genE4ELNS1_11target_archE910ELNS1_3gpuE8ELNS1_3repE0EEENS1_52radix_sort_onesweep_histogram_config_static_selectorELNS0_4arch9wavefront6targetE0EEEvSD_,"axG",@progbits,_ZN7rocprim17ROCPRIM_400000_NS6detail17trampoline_kernelINS0_14default_configENS1_35radix_sort_onesweep_config_selectorIlNS0_10empty_typeEEEZNS1_34radix_sort_onesweep_global_offsetsIS3_Lb0EPKlPS5_mNS0_19identity_decomposerEEE10hipError_tT1_T2_PT3_SF_jT4_jjP12ihipStream_tbEUlT_E_NS1_11comp_targetILNS1_3genE4ELNS1_11target_archE910ELNS1_3gpuE8ELNS1_3repE0EEENS1_52radix_sort_onesweep_histogram_config_static_selectorELNS0_4arch9wavefront6targetE0EEEvSD_,comdat
.Lfunc_end1193:
	.size	_ZN7rocprim17ROCPRIM_400000_NS6detail17trampoline_kernelINS0_14default_configENS1_35radix_sort_onesweep_config_selectorIlNS0_10empty_typeEEEZNS1_34radix_sort_onesweep_global_offsetsIS3_Lb0EPKlPS5_mNS0_19identity_decomposerEEE10hipError_tT1_T2_PT3_SF_jT4_jjP12ihipStream_tbEUlT_E_NS1_11comp_targetILNS1_3genE4ELNS1_11target_archE910ELNS1_3gpuE8ELNS1_3repE0EEENS1_52radix_sort_onesweep_histogram_config_static_selectorELNS0_4arch9wavefront6targetE0EEEvSD_, .Lfunc_end1193-_ZN7rocprim17ROCPRIM_400000_NS6detail17trampoline_kernelINS0_14default_configENS1_35radix_sort_onesweep_config_selectorIlNS0_10empty_typeEEEZNS1_34radix_sort_onesweep_global_offsetsIS3_Lb0EPKlPS5_mNS0_19identity_decomposerEEE10hipError_tT1_T2_PT3_SF_jT4_jjP12ihipStream_tbEUlT_E_NS1_11comp_targetILNS1_3genE4ELNS1_11target_archE910ELNS1_3gpuE8ELNS1_3repE0EEENS1_52radix_sort_onesweep_histogram_config_static_selectorELNS0_4arch9wavefront6targetE0EEEvSD_
                                        ; -- End function
	.set _ZN7rocprim17ROCPRIM_400000_NS6detail17trampoline_kernelINS0_14default_configENS1_35radix_sort_onesweep_config_selectorIlNS0_10empty_typeEEEZNS1_34radix_sort_onesweep_global_offsetsIS3_Lb0EPKlPS5_mNS0_19identity_decomposerEEE10hipError_tT1_T2_PT3_SF_jT4_jjP12ihipStream_tbEUlT_E_NS1_11comp_targetILNS1_3genE4ELNS1_11target_archE910ELNS1_3gpuE8ELNS1_3repE0EEENS1_52radix_sort_onesweep_histogram_config_static_selectorELNS0_4arch9wavefront6targetE0EEEvSD_.num_vgpr, 0
	.set _ZN7rocprim17ROCPRIM_400000_NS6detail17trampoline_kernelINS0_14default_configENS1_35radix_sort_onesweep_config_selectorIlNS0_10empty_typeEEEZNS1_34radix_sort_onesweep_global_offsetsIS3_Lb0EPKlPS5_mNS0_19identity_decomposerEEE10hipError_tT1_T2_PT3_SF_jT4_jjP12ihipStream_tbEUlT_E_NS1_11comp_targetILNS1_3genE4ELNS1_11target_archE910ELNS1_3gpuE8ELNS1_3repE0EEENS1_52radix_sort_onesweep_histogram_config_static_selectorELNS0_4arch9wavefront6targetE0EEEvSD_.num_agpr, 0
	.set _ZN7rocprim17ROCPRIM_400000_NS6detail17trampoline_kernelINS0_14default_configENS1_35radix_sort_onesweep_config_selectorIlNS0_10empty_typeEEEZNS1_34radix_sort_onesweep_global_offsetsIS3_Lb0EPKlPS5_mNS0_19identity_decomposerEEE10hipError_tT1_T2_PT3_SF_jT4_jjP12ihipStream_tbEUlT_E_NS1_11comp_targetILNS1_3genE4ELNS1_11target_archE910ELNS1_3gpuE8ELNS1_3repE0EEENS1_52radix_sort_onesweep_histogram_config_static_selectorELNS0_4arch9wavefront6targetE0EEEvSD_.numbered_sgpr, 0
	.set _ZN7rocprim17ROCPRIM_400000_NS6detail17trampoline_kernelINS0_14default_configENS1_35radix_sort_onesweep_config_selectorIlNS0_10empty_typeEEEZNS1_34radix_sort_onesweep_global_offsetsIS3_Lb0EPKlPS5_mNS0_19identity_decomposerEEE10hipError_tT1_T2_PT3_SF_jT4_jjP12ihipStream_tbEUlT_E_NS1_11comp_targetILNS1_3genE4ELNS1_11target_archE910ELNS1_3gpuE8ELNS1_3repE0EEENS1_52radix_sort_onesweep_histogram_config_static_selectorELNS0_4arch9wavefront6targetE0EEEvSD_.num_named_barrier, 0
	.set _ZN7rocprim17ROCPRIM_400000_NS6detail17trampoline_kernelINS0_14default_configENS1_35radix_sort_onesweep_config_selectorIlNS0_10empty_typeEEEZNS1_34radix_sort_onesweep_global_offsetsIS3_Lb0EPKlPS5_mNS0_19identity_decomposerEEE10hipError_tT1_T2_PT3_SF_jT4_jjP12ihipStream_tbEUlT_E_NS1_11comp_targetILNS1_3genE4ELNS1_11target_archE910ELNS1_3gpuE8ELNS1_3repE0EEENS1_52radix_sort_onesweep_histogram_config_static_selectorELNS0_4arch9wavefront6targetE0EEEvSD_.private_seg_size, 0
	.set _ZN7rocprim17ROCPRIM_400000_NS6detail17trampoline_kernelINS0_14default_configENS1_35radix_sort_onesweep_config_selectorIlNS0_10empty_typeEEEZNS1_34radix_sort_onesweep_global_offsetsIS3_Lb0EPKlPS5_mNS0_19identity_decomposerEEE10hipError_tT1_T2_PT3_SF_jT4_jjP12ihipStream_tbEUlT_E_NS1_11comp_targetILNS1_3genE4ELNS1_11target_archE910ELNS1_3gpuE8ELNS1_3repE0EEENS1_52radix_sort_onesweep_histogram_config_static_selectorELNS0_4arch9wavefront6targetE0EEEvSD_.uses_vcc, 0
	.set _ZN7rocprim17ROCPRIM_400000_NS6detail17trampoline_kernelINS0_14default_configENS1_35radix_sort_onesweep_config_selectorIlNS0_10empty_typeEEEZNS1_34radix_sort_onesweep_global_offsetsIS3_Lb0EPKlPS5_mNS0_19identity_decomposerEEE10hipError_tT1_T2_PT3_SF_jT4_jjP12ihipStream_tbEUlT_E_NS1_11comp_targetILNS1_3genE4ELNS1_11target_archE910ELNS1_3gpuE8ELNS1_3repE0EEENS1_52radix_sort_onesweep_histogram_config_static_selectorELNS0_4arch9wavefront6targetE0EEEvSD_.uses_flat_scratch, 0
	.set _ZN7rocprim17ROCPRIM_400000_NS6detail17trampoline_kernelINS0_14default_configENS1_35radix_sort_onesweep_config_selectorIlNS0_10empty_typeEEEZNS1_34radix_sort_onesweep_global_offsetsIS3_Lb0EPKlPS5_mNS0_19identity_decomposerEEE10hipError_tT1_T2_PT3_SF_jT4_jjP12ihipStream_tbEUlT_E_NS1_11comp_targetILNS1_3genE4ELNS1_11target_archE910ELNS1_3gpuE8ELNS1_3repE0EEENS1_52radix_sort_onesweep_histogram_config_static_selectorELNS0_4arch9wavefront6targetE0EEEvSD_.has_dyn_sized_stack, 0
	.set _ZN7rocprim17ROCPRIM_400000_NS6detail17trampoline_kernelINS0_14default_configENS1_35radix_sort_onesweep_config_selectorIlNS0_10empty_typeEEEZNS1_34radix_sort_onesweep_global_offsetsIS3_Lb0EPKlPS5_mNS0_19identity_decomposerEEE10hipError_tT1_T2_PT3_SF_jT4_jjP12ihipStream_tbEUlT_E_NS1_11comp_targetILNS1_3genE4ELNS1_11target_archE910ELNS1_3gpuE8ELNS1_3repE0EEENS1_52radix_sort_onesweep_histogram_config_static_selectorELNS0_4arch9wavefront6targetE0EEEvSD_.has_recursion, 0
	.set _ZN7rocprim17ROCPRIM_400000_NS6detail17trampoline_kernelINS0_14default_configENS1_35radix_sort_onesweep_config_selectorIlNS0_10empty_typeEEEZNS1_34radix_sort_onesweep_global_offsetsIS3_Lb0EPKlPS5_mNS0_19identity_decomposerEEE10hipError_tT1_T2_PT3_SF_jT4_jjP12ihipStream_tbEUlT_E_NS1_11comp_targetILNS1_3genE4ELNS1_11target_archE910ELNS1_3gpuE8ELNS1_3repE0EEENS1_52radix_sort_onesweep_histogram_config_static_selectorELNS0_4arch9wavefront6targetE0EEEvSD_.has_indirect_call, 0
	.section	.AMDGPU.csdata,"",@progbits
; Kernel info:
; codeLenInByte = 0
; TotalNumSgprs: 0
; NumVgprs: 0
; ScratchSize: 0
; MemoryBound: 0
; FloatMode: 240
; IeeeMode: 1
; LDSByteSize: 0 bytes/workgroup (compile time only)
; SGPRBlocks: 0
; VGPRBlocks: 0
; NumSGPRsForWavesPerEU: 1
; NumVGPRsForWavesPerEU: 1
; NamedBarCnt: 0
; Occupancy: 16
; WaveLimiterHint : 0
; COMPUTE_PGM_RSRC2:SCRATCH_EN: 0
; COMPUTE_PGM_RSRC2:USER_SGPR: 2
; COMPUTE_PGM_RSRC2:TRAP_HANDLER: 0
; COMPUTE_PGM_RSRC2:TGID_X_EN: 1
; COMPUTE_PGM_RSRC2:TGID_Y_EN: 0
; COMPUTE_PGM_RSRC2:TGID_Z_EN: 0
; COMPUTE_PGM_RSRC2:TIDIG_COMP_CNT: 0
	.section	.text._ZN7rocprim17ROCPRIM_400000_NS6detail17trampoline_kernelINS0_14default_configENS1_35radix_sort_onesweep_config_selectorIlNS0_10empty_typeEEEZNS1_34radix_sort_onesweep_global_offsetsIS3_Lb0EPKlPS5_mNS0_19identity_decomposerEEE10hipError_tT1_T2_PT3_SF_jT4_jjP12ihipStream_tbEUlT_E_NS1_11comp_targetILNS1_3genE3ELNS1_11target_archE908ELNS1_3gpuE7ELNS1_3repE0EEENS1_52radix_sort_onesweep_histogram_config_static_selectorELNS0_4arch9wavefront6targetE0EEEvSD_,"axG",@progbits,_ZN7rocprim17ROCPRIM_400000_NS6detail17trampoline_kernelINS0_14default_configENS1_35radix_sort_onesweep_config_selectorIlNS0_10empty_typeEEEZNS1_34radix_sort_onesweep_global_offsetsIS3_Lb0EPKlPS5_mNS0_19identity_decomposerEEE10hipError_tT1_T2_PT3_SF_jT4_jjP12ihipStream_tbEUlT_E_NS1_11comp_targetILNS1_3genE3ELNS1_11target_archE908ELNS1_3gpuE7ELNS1_3repE0EEENS1_52radix_sort_onesweep_histogram_config_static_selectorELNS0_4arch9wavefront6targetE0EEEvSD_,comdat
	.protected	_ZN7rocprim17ROCPRIM_400000_NS6detail17trampoline_kernelINS0_14default_configENS1_35radix_sort_onesweep_config_selectorIlNS0_10empty_typeEEEZNS1_34radix_sort_onesweep_global_offsetsIS3_Lb0EPKlPS5_mNS0_19identity_decomposerEEE10hipError_tT1_T2_PT3_SF_jT4_jjP12ihipStream_tbEUlT_E_NS1_11comp_targetILNS1_3genE3ELNS1_11target_archE908ELNS1_3gpuE7ELNS1_3repE0EEENS1_52radix_sort_onesweep_histogram_config_static_selectorELNS0_4arch9wavefront6targetE0EEEvSD_ ; -- Begin function _ZN7rocprim17ROCPRIM_400000_NS6detail17trampoline_kernelINS0_14default_configENS1_35radix_sort_onesweep_config_selectorIlNS0_10empty_typeEEEZNS1_34radix_sort_onesweep_global_offsetsIS3_Lb0EPKlPS5_mNS0_19identity_decomposerEEE10hipError_tT1_T2_PT3_SF_jT4_jjP12ihipStream_tbEUlT_E_NS1_11comp_targetILNS1_3genE3ELNS1_11target_archE908ELNS1_3gpuE7ELNS1_3repE0EEENS1_52radix_sort_onesweep_histogram_config_static_selectorELNS0_4arch9wavefront6targetE0EEEvSD_
	.globl	_ZN7rocprim17ROCPRIM_400000_NS6detail17trampoline_kernelINS0_14default_configENS1_35radix_sort_onesweep_config_selectorIlNS0_10empty_typeEEEZNS1_34radix_sort_onesweep_global_offsetsIS3_Lb0EPKlPS5_mNS0_19identity_decomposerEEE10hipError_tT1_T2_PT3_SF_jT4_jjP12ihipStream_tbEUlT_E_NS1_11comp_targetILNS1_3genE3ELNS1_11target_archE908ELNS1_3gpuE7ELNS1_3repE0EEENS1_52radix_sort_onesweep_histogram_config_static_selectorELNS0_4arch9wavefront6targetE0EEEvSD_
	.p2align	8
	.type	_ZN7rocprim17ROCPRIM_400000_NS6detail17trampoline_kernelINS0_14default_configENS1_35radix_sort_onesweep_config_selectorIlNS0_10empty_typeEEEZNS1_34radix_sort_onesweep_global_offsetsIS3_Lb0EPKlPS5_mNS0_19identity_decomposerEEE10hipError_tT1_T2_PT3_SF_jT4_jjP12ihipStream_tbEUlT_E_NS1_11comp_targetILNS1_3genE3ELNS1_11target_archE908ELNS1_3gpuE7ELNS1_3repE0EEENS1_52radix_sort_onesweep_histogram_config_static_selectorELNS0_4arch9wavefront6targetE0EEEvSD_,@function
_ZN7rocprim17ROCPRIM_400000_NS6detail17trampoline_kernelINS0_14default_configENS1_35radix_sort_onesweep_config_selectorIlNS0_10empty_typeEEEZNS1_34radix_sort_onesweep_global_offsetsIS3_Lb0EPKlPS5_mNS0_19identity_decomposerEEE10hipError_tT1_T2_PT3_SF_jT4_jjP12ihipStream_tbEUlT_E_NS1_11comp_targetILNS1_3genE3ELNS1_11target_archE908ELNS1_3gpuE7ELNS1_3repE0EEENS1_52radix_sort_onesweep_histogram_config_static_selectorELNS0_4arch9wavefront6targetE0EEEvSD_: ; @_ZN7rocprim17ROCPRIM_400000_NS6detail17trampoline_kernelINS0_14default_configENS1_35radix_sort_onesweep_config_selectorIlNS0_10empty_typeEEEZNS1_34radix_sort_onesweep_global_offsetsIS3_Lb0EPKlPS5_mNS0_19identity_decomposerEEE10hipError_tT1_T2_PT3_SF_jT4_jjP12ihipStream_tbEUlT_E_NS1_11comp_targetILNS1_3genE3ELNS1_11target_archE908ELNS1_3gpuE7ELNS1_3repE0EEENS1_52radix_sort_onesweep_histogram_config_static_selectorELNS0_4arch9wavefront6targetE0EEEvSD_
; %bb.0:
	.section	.rodata,"a",@progbits
	.p2align	6, 0x0
	.amdhsa_kernel _ZN7rocprim17ROCPRIM_400000_NS6detail17trampoline_kernelINS0_14default_configENS1_35radix_sort_onesweep_config_selectorIlNS0_10empty_typeEEEZNS1_34radix_sort_onesweep_global_offsetsIS3_Lb0EPKlPS5_mNS0_19identity_decomposerEEE10hipError_tT1_T2_PT3_SF_jT4_jjP12ihipStream_tbEUlT_E_NS1_11comp_targetILNS1_3genE3ELNS1_11target_archE908ELNS1_3gpuE7ELNS1_3repE0EEENS1_52radix_sort_onesweep_histogram_config_static_selectorELNS0_4arch9wavefront6targetE0EEEvSD_
		.amdhsa_group_segment_fixed_size 0
		.amdhsa_private_segment_fixed_size 0
		.amdhsa_kernarg_size 48
		.amdhsa_user_sgpr_count 2
		.amdhsa_user_sgpr_dispatch_ptr 0
		.amdhsa_user_sgpr_queue_ptr 0
		.amdhsa_user_sgpr_kernarg_segment_ptr 1
		.amdhsa_user_sgpr_dispatch_id 0
		.amdhsa_user_sgpr_kernarg_preload_length 0
		.amdhsa_user_sgpr_kernarg_preload_offset 0
		.amdhsa_user_sgpr_private_segment_size 0
		.amdhsa_wavefront_size32 1
		.amdhsa_uses_dynamic_stack 0
		.amdhsa_enable_private_segment 0
		.amdhsa_system_sgpr_workgroup_id_x 1
		.amdhsa_system_sgpr_workgroup_id_y 0
		.amdhsa_system_sgpr_workgroup_id_z 0
		.amdhsa_system_sgpr_workgroup_info 0
		.amdhsa_system_vgpr_workitem_id 0
		.amdhsa_next_free_vgpr 1
		.amdhsa_next_free_sgpr 1
		.amdhsa_named_barrier_count 0
		.amdhsa_reserve_vcc 0
		.amdhsa_float_round_mode_32 0
		.amdhsa_float_round_mode_16_64 0
		.amdhsa_float_denorm_mode_32 3
		.amdhsa_float_denorm_mode_16_64 3
		.amdhsa_fp16_overflow 0
		.amdhsa_memory_ordered 1
		.amdhsa_forward_progress 1
		.amdhsa_inst_pref_size 0
		.amdhsa_round_robin_scheduling 0
		.amdhsa_exception_fp_ieee_invalid_op 0
		.amdhsa_exception_fp_denorm_src 0
		.amdhsa_exception_fp_ieee_div_zero 0
		.amdhsa_exception_fp_ieee_overflow 0
		.amdhsa_exception_fp_ieee_underflow 0
		.amdhsa_exception_fp_ieee_inexact 0
		.amdhsa_exception_int_div_zero 0
	.end_amdhsa_kernel
	.section	.text._ZN7rocprim17ROCPRIM_400000_NS6detail17trampoline_kernelINS0_14default_configENS1_35radix_sort_onesweep_config_selectorIlNS0_10empty_typeEEEZNS1_34radix_sort_onesweep_global_offsetsIS3_Lb0EPKlPS5_mNS0_19identity_decomposerEEE10hipError_tT1_T2_PT3_SF_jT4_jjP12ihipStream_tbEUlT_E_NS1_11comp_targetILNS1_3genE3ELNS1_11target_archE908ELNS1_3gpuE7ELNS1_3repE0EEENS1_52radix_sort_onesweep_histogram_config_static_selectorELNS0_4arch9wavefront6targetE0EEEvSD_,"axG",@progbits,_ZN7rocprim17ROCPRIM_400000_NS6detail17trampoline_kernelINS0_14default_configENS1_35radix_sort_onesweep_config_selectorIlNS0_10empty_typeEEEZNS1_34radix_sort_onesweep_global_offsetsIS3_Lb0EPKlPS5_mNS0_19identity_decomposerEEE10hipError_tT1_T2_PT3_SF_jT4_jjP12ihipStream_tbEUlT_E_NS1_11comp_targetILNS1_3genE3ELNS1_11target_archE908ELNS1_3gpuE7ELNS1_3repE0EEENS1_52radix_sort_onesweep_histogram_config_static_selectorELNS0_4arch9wavefront6targetE0EEEvSD_,comdat
.Lfunc_end1194:
	.size	_ZN7rocprim17ROCPRIM_400000_NS6detail17trampoline_kernelINS0_14default_configENS1_35radix_sort_onesweep_config_selectorIlNS0_10empty_typeEEEZNS1_34radix_sort_onesweep_global_offsetsIS3_Lb0EPKlPS5_mNS0_19identity_decomposerEEE10hipError_tT1_T2_PT3_SF_jT4_jjP12ihipStream_tbEUlT_E_NS1_11comp_targetILNS1_3genE3ELNS1_11target_archE908ELNS1_3gpuE7ELNS1_3repE0EEENS1_52radix_sort_onesweep_histogram_config_static_selectorELNS0_4arch9wavefront6targetE0EEEvSD_, .Lfunc_end1194-_ZN7rocprim17ROCPRIM_400000_NS6detail17trampoline_kernelINS0_14default_configENS1_35radix_sort_onesweep_config_selectorIlNS0_10empty_typeEEEZNS1_34radix_sort_onesweep_global_offsetsIS3_Lb0EPKlPS5_mNS0_19identity_decomposerEEE10hipError_tT1_T2_PT3_SF_jT4_jjP12ihipStream_tbEUlT_E_NS1_11comp_targetILNS1_3genE3ELNS1_11target_archE908ELNS1_3gpuE7ELNS1_3repE0EEENS1_52radix_sort_onesweep_histogram_config_static_selectorELNS0_4arch9wavefront6targetE0EEEvSD_
                                        ; -- End function
	.set _ZN7rocprim17ROCPRIM_400000_NS6detail17trampoline_kernelINS0_14default_configENS1_35radix_sort_onesweep_config_selectorIlNS0_10empty_typeEEEZNS1_34radix_sort_onesweep_global_offsetsIS3_Lb0EPKlPS5_mNS0_19identity_decomposerEEE10hipError_tT1_T2_PT3_SF_jT4_jjP12ihipStream_tbEUlT_E_NS1_11comp_targetILNS1_3genE3ELNS1_11target_archE908ELNS1_3gpuE7ELNS1_3repE0EEENS1_52radix_sort_onesweep_histogram_config_static_selectorELNS0_4arch9wavefront6targetE0EEEvSD_.num_vgpr, 0
	.set _ZN7rocprim17ROCPRIM_400000_NS6detail17trampoline_kernelINS0_14default_configENS1_35radix_sort_onesweep_config_selectorIlNS0_10empty_typeEEEZNS1_34radix_sort_onesweep_global_offsetsIS3_Lb0EPKlPS5_mNS0_19identity_decomposerEEE10hipError_tT1_T2_PT3_SF_jT4_jjP12ihipStream_tbEUlT_E_NS1_11comp_targetILNS1_3genE3ELNS1_11target_archE908ELNS1_3gpuE7ELNS1_3repE0EEENS1_52radix_sort_onesweep_histogram_config_static_selectorELNS0_4arch9wavefront6targetE0EEEvSD_.num_agpr, 0
	.set _ZN7rocprim17ROCPRIM_400000_NS6detail17trampoline_kernelINS0_14default_configENS1_35radix_sort_onesweep_config_selectorIlNS0_10empty_typeEEEZNS1_34radix_sort_onesweep_global_offsetsIS3_Lb0EPKlPS5_mNS0_19identity_decomposerEEE10hipError_tT1_T2_PT3_SF_jT4_jjP12ihipStream_tbEUlT_E_NS1_11comp_targetILNS1_3genE3ELNS1_11target_archE908ELNS1_3gpuE7ELNS1_3repE0EEENS1_52radix_sort_onesweep_histogram_config_static_selectorELNS0_4arch9wavefront6targetE0EEEvSD_.numbered_sgpr, 0
	.set _ZN7rocprim17ROCPRIM_400000_NS6detail17trampoline_kernelINS0_14default_configENS1_35radix_sort_onesweep_config_selectorIlNS0_10empty_typeEEEZNS1_34radix_sort_onesweep_global_offsetsIS3_Lb0EPKlPS5_mNS0_19identity_decomposerEEE10hipError_tT1_T2_PT3_SF_jT4_jjP12ihipStream_tbEUlT_E_NS1_11comp_targetILNS1_3genE3ELNS1_11target_archE908ELNS1_3gpuE7ELNS1_3repE0EEENS1_52radix_sort_onesweep_histogram_config_static_selectorELNS0_4arch9wavefront6targetE0EEEvSD_.num_named_barrier, 0
	.set _ZN7rocprim17ROCPRIM_400000_NS6detail17trampoline_kernelINS0_14default_configENS1_35radix_sort_onesweep_config_selectorIlNS0_10empty_typeEEEZNS1_34radix_sort_onesweep_global_offsetsIS3_Lb0EPKlPS5_mNS0_19identity_decomposerEEE10hipError_tT1_T2_PT3_SF_jT4_jjP12ihipStream_tbEUlT_E_NS1_11comp_targetILNS1_3genE3ELNS1_11target_archE908ELNS1_3gpuE7ELNS1_3repE0EEENS1_52radix_sort_onesweep_histogram_config_static_selectorELNS0_4arch9wavefront6targetE0EEEvSD_.private_seg_size, 0
	.set _ZN7rocprim17ROCPRIM_400000_NS6detail17trampoline_kernelINS0_14default_configENS1_35radix_sort_onesweep_config_selectorIlNS0_10empty_typeEEEZNS1_34radix_sort_onesweep_global_offsetsIS3_Lb0EPKlPS5_mNS0_19identity_decomposerEEE10hipError_tT1_T2_PT3_SF_jT4_jjP12ihipStream_tbEUlT_E_NS1_11comp_targetILNS1_3genE3ELNS1_11target_archE908ELNS1_3gpuE7ELNS1_3repE0EEENS1_52radix_sort_onesweep_histogram_config_static_selectorELNS0_4arch9wavefront6targetE0EEEvSD_.uses_vcc, 0
	.set _ZN7rocprim17ROCPRIM_400000_NS6detail17trampoline_kernelINS0_14default_configENS1_35radix_sort_onesweep_config_selectorIlNS0_10empty_typeEEEZNS1_34radix_sort_onesweep_global_offsetsIS3_Lb0EPKlPS5_mNS0_19identity_decomposerEEE10hipError_tT1_T2_PT3_SF_jT4_jjP12ihipStream_tbEUlT_E_NS1_11comp_targetILNS1_3genE3ELNS1_11target_archE908ELNS1_3gpuE7ELNS1_3repE0EEENS1_52radix_sort_onesweep_histogram_config_static_selectorELNS0_4arch9wavefront6targetE0EEEvSD_.uses_flat_scratch, 0
	.set _ZN7rocprim17ROCPRIM_400000_NS6detail17trampoline_kernelINS0_14default_configENS1_35radix_sort_onesweep_config_selectorIlNS0_10empty_typeEEEZNS1_34radix_sort_onesweep_global_offsetsIS3_Lb0EPKlPS5_mNS0_19identity_decomposerEEE10hipError_tT1_T2_PT3_SF_jT4_jjP12ihipStream_tbEUlT_E_NS1_11comp_targetILNS1_3genE3ELNS1_11target_archE908ELNS1_3gpuE7ELNS1_3repE0EEENS1_52radix_sort_onesweep_histogram_config_static_selectorELNS0_4arch9wavefront6targetE0EEEvSD_.has_dyn_sized_stack, 0
	.set _ZN7rocprim17ROCPRIM_400000_NS6detail17trampoline_kernelINS0_14default_configENS1_35radix_sort_onesweep_config_selectorIlNS0_10empty_typeEEEZNS1_34radix_sort_onesweep_global_offsetsIS3_Lb0EPKlPS5_mNS0_19identity_decomposerEEE10hipError_tT1_T2_PT3_SF_jT4_jjP12ihipStream_tbEUlT_E_NS1_11comp_targetILNS1_3genE3ELNS1_11target_archE908ELNS1_3gpuE7ELNS1_3repE0EEENS1_52radix_sort_onesweep_histogram_config_static_selectorELNS0_4arch9wavefront6targetE0EEEvSD_.has_recursion, 0
	.set _ZN7rocprim17ROCPRIM_400000_NS6detail17trampoline_kernelINS0_14default_configENS1_35radix_sort_onesweep_config_selectorIlNS0_10empty_typeEEEZNS1_34radix_sort_onesweep_global_offsetsIS3_Lb0EPKlPS5_mNS0_19identity_decomposerEEE10hipError_tT1_T2_PT3_SF_jT4_jjP12ihipStream_tbEUlT_E_NS1_11comp_targetILNS1_3genE3ELNS1_11target_archE908ELNS1_3gpuE7ELNS1_3repE0EEENS1_52radix_sort_onesweep_histogram_config_static_selectorELNS0_4arch9wavefront6targetE0EEEvSD_.has_indirect_call, 0
	.section	.AMDGPU.csdata,"",@progbits
; Kernel info:
; codeLenInByte = 0
; TotalNumSgprs: 0
; NumVgprs: 0
; ScratchSize: 0
; MemoryBound: 0
; FloatMode: 240
; IeeeMode: 1
; LDSByteSize: 0 bytes/workgroup (compile time only)
; SGPRBlocks: 0
; VGPRBlocks: 0
; NumSGPRsForWavesPerEU: 1
; NumVGPRsForWavesPerEU: 1
; NamedBarCnt: 0
; Occupancy: 16
; WaveLimiterHint : 0
; COMPUTE_PGM_RSRC2:SCRATCH_EN: 0
; COMPUTE_PGM_RSRC2:USER_SGPR: 2
; COMPUTE_PGM_RSRC2:TRAP_HANDLER: 0
; COMPUTE_PGM_RSRC2:TGID_X_EN: 1
; COMPUTE_PGM_RSRC2:TGID_Y_EN: 0
; COMPUTE_PGM_RSRC2:TGID_Z_EN: 0
; COMPUTE_PGM_RSRC2:TIDIG_COMP_CNT: 0
	.section	.text._ZN7rocprim17ROCPRIM_400000_NS6detail17trampoline_kernelINS0_14default_configENS1_35radix_sort_onesweep_config_selectorIlNS0_10empty_typeEEEZNS1_34radix_sort_onesweep_global_offsetsIS3_Lb0EPKlPS5_mNS0_19identity_decomposerEEE10hipError_tT1_T2_PT3_SF_jT4_jjP12ihipStream_tbEUlT_E_NS1_11comp_targetILNS1_3genE10ELNS1_11target_archE1201ELNS1_3gpuE5ELNS1_3repE0EEENS1_52radix_sort_onesweep_histogram_config_static_selectorELNS0_4arch9wavefront6targetE0EEEvSD_,"axG",@progbits,_ZN7rocprim17ROCPRIM_400000_NS6detail17trampoline_kernelINS0_14default_configENS1_35radix_sort_onesweep_config_selectorIlNS0_10empty_typeEEEZNS1_34radix_sort_onesweep_global_offsetsIS3_Lb0EPKlPS5_mNS0_19identity_decomposerEEE10hipError_tT1_T2_PT3_SF_jT4_jjP12ihipStream_tbEUlT_E_NS1_11comp_targetILNS1_3genE10ELNS1_11target_archE1201ELNS1_3gpuE5ELNS1_3repE0EEENS1_52radix_sort_onesweep_histogram_config_static_selectorELNS0_4arch9wavefront6targetE0EEEvSD_,comdat
	.protected	_ZN7rocprim17ROCPRIM_400000_NS6detail17trampoline_kernelINS0_14default_configENS1_35radix_sort_onesweep_config_selectorIlNS0_10empty_typeEEEZNS1_34radix_sort_onesweep_global_offsetsIS3_Lb0EPKlPS5_mNS0_19identity_decomposerEEE10hipError_tT1_T2_PT3_SF_jT4_jjP12ihipStream_tbEUlT_E_NS1_11comp_targetILNS1_3genE10ELNS1_11target_archE1201ELNS1_3gpuE5ELNS1_3repE0EEENS1_52radix_sort_onesweep_histogram_config_static_selectorELNS0_4arch9wavefront6targetE0EEEvSD_ ; -- Begin function _ZN7rocprim17ROCPRIM_400000_NS6detail17trampoline_kernelINS0_14default_configENS1_35radix_sort_onesweep_config_selectorIlNS0_10empty_typeEEEZNS1_34radix_sort_onesweep_global_offsetsIS3_Lb0EPKlPS5_mNS0_19identity_decomposerEEE10hipError_tT1_T2_PT3_SF_jT4_jjP12ihipStream_tbEUlT_E_NS1_11comp_targetILNS1_3genE10ELNS1_11target_archE1201ELNS1_3gpuE5ELNS1_3repE0EEENS1_52radix_sort_onesweep_histogram_config_static_selectorELNS0_4arch9wavefront6targetE0EEEvSD_
	.globl	_ZN7rocprim17ROCPRIM_400000_NS6detail17trampoline_kernelINS0_14default_configENS1_35radix_sort_onesweep_config_selectorIlNS0_10empty_typeEEEZNS1_34radix_sort_onesweep_global_offsetsIS3_Lb0EPKlPS5_mNS0_19identity_decomposerEEE10hipError_tT1_T2_PT3_SF_jT4_jjP12ihipStream_tbEUlT_E_NS1_11comp_targetILNS1_3genE10ELNS1_11target_archE1201ELNS1_3gpuE5ELNS1_3repE0EEENS1_52radix_sort_onesweep_histogram_config_static_selectorELNS0_4arch9wavefront6targetE0EEEvSD_
	.p2align	8
	.type	_ZN7rocprim17ROCPRIM_400000_NS6detail17trampoline_kernelINS0_14default_configENS1_35radix_sort_onesweep_config_selectorIlNS0_10empty_typeEEEZNS1_34radix_sort_onesweep_global_offsetsIS3_Lb0EPKlPS5_mNS0_19identity_decomposerEEE10hipError_tT1_T2_PT3_SF_jT4_jjP12ihipStream_tbEUlT_E_NS1_11comp_targetILNS1_3genE10ELNS1_11target_archE1201ELNS1_3gpuE5ELNS1_3repE0EEENS1_52radix_sort_onesweep_histogram_config_static_selectorELNS0_4arch9wavefront6targetE0EEEvSD_,@function
_ZN7rocprim17ROCPRIM_400000_NS6detail17trampoline_kernelINS0_14default_configENS1_35radix_sort_onesweep_config_selectorIlNS0_10empty_typeEEEZNS1_34radix_sort_onesweep_global_offsetsIS3_Lb0EPKlPS5_mNS0_19identity_decomposerEEE10hipError_tT1_T2_PT3_SF_jT4_jjP12ihipStream_tbEUlT_E_NS1_11comp_targetILNS1_3genE10ELNS1_11target_archE1201ELNS1_3gpuE5ELNS1_3repE0EEENS1_52radix_sort_onesweep_histogram_config_static_selectorELNS0_4arch9wavefront6targetE0EEEvSD_: ; @_ZN7rocprim17ROCPRIM_400000_NS6detail17trampoline_kernelINS0_14default_configENS1_35radix_sort_onesweep_config_selectorIlNS0_10empty_typeEEEZNS1_34radix_sort_onesweep_global_offsetsIS3_Lb0EPKlPS5_mNS0_19identity_decomposerEEE10hipError_tT1_T2_PT3_SF_jT4_jjP12ihipStream_tbEUlT_E_NS1_11comp_targetILNS1_3genE10ELNS1_11target_archE1201ELNS1_3gpuE5ELNS1_3repE0EEENS1_52radix_sort_onesweep_histogram_config_static_selectorELNS0_4arch9wavefront6targetE0EEEvSD_
; %bb.0:
	.section	.rodata,"a",@progbits
	.p2align	6, 0x0
	.amdhsa_kernel _ZN7rocprim17ROCPRIM_400000_NS6detail17trampoline_kernelINS0_14default_configENS1_35radix_sort_onesweep_config_selectorIlNS0_10empty_typeEEEZNS1_34radix_sort_onesweep_global_offsetsIS3_Lb0EPKlPS5_mNS0_19identity_decomposerEEE10hipError_tT1_T2_PT3_SF_jT4_jjP12ihipStream_tbEUlT_E_NS1_11comp_targetILNS1_3genE10ELNS1_11target_archE1201ELNS1_3gpuE5ELNS1_3repE0EEENS1_52radix_sort_onesweep_histogram_config_static_selectorELNS0_4arch9wavefront6targetE0EEEvSD_
		.amdhsa_group_segment_fixed_size 0
		.amdhsa_private_segment_fixed_size 0
		.amdhsa_kernarg_size 48
		.amdhsa_user_sgpr_count 2
		.amdhsa_user_sgpr_dispatch_ptr 0
		.amdhsa_user_sgpr_queue_ptr 0
		.amdhsa_user_sgpr_kernarg_segment_ptr 1
		.amdhsa_user_sgpr_dispatch_id 0
		.amdhsa_user_sgpr_kernarg_preload_length 0
		.amdhsa_user_sgpr_kernarg_preload_offset 0
		.amdhsa_user_sgpr_private_segment_size 0
		.amdhsa_wavefront_size32 1
		.amdhsa_uses_dynamic_stack 0
		.amdhsa_enable_private_segment 0
		.amdhsa_system_sgpr_workgroup_id_x 1
		.amdhsa_system_sgpr_workgroup_id_y 0
		.amdhsa_system_sgpr_workgroup_id_z 0
		.amdhsa_system_sgpr_workgroup_info 0
		.amdhsa_system_vgpr_workitem_id 0
		.amdhsa_next_free_vgpr 1
		.amdhsa_next_free_sgpr 1
		.amdhsa_named_barrier_count 0
		.amdhsa_reserve_vcc 0
		.amdhsa_float_round_mode_32 0
		.amdhsa_float_round_mode_16_64 0
		.amdhsa_float_denorm_mode_32 3
		.amdhsa_float_denorm_mode_16_64 3
		.amdhsa_fp16_overflow 0
		.amdhsa_memory_ordered 1
		.amdhsa_forward_progress 1
		.amdhsa_inst_pref_size 0
		.amdhsa_round_robin_scheduling 0
		.amdhsa_exception_fp_ieee_invalid_op 0
		.amdhsa_exception_fp_denorm_src 0
		.amdhsa_exception_fp_ieee_div_zero 0
		.amdhsa_exception_fp_ieee_overflow 0
		.amdhsa_exception_fp_ieee_underflow 0
		.amdhsa_exception_fp_ieee_inexact 0
		.amdhsa_exception_int_div_zero 0
	.end_amdhsa_kernel
	.section	.text._ZN7rocprim17ROCPRIM_400000_NS6detail17trampoline_kernelINS0_14default_configENS1_35radix_sort_onesweep_config_selectorIlNS0_10empty_typeEEEZNS1_34radix_sort_onesweep_global_offsetsIS3_Lb0EPKlPS5_mNS0_19identity_decomposerEEE10hipError_tT1_T2_PT3_SF_jT4_jjP12ihipStream_tbEUlT_E_NS1_11comp_targetILNS1_3genE10ELNS1_11target_archE1201ELNS1_3gpuE5ELNS1_3repE0EEENS1_52radix_sort_onesweep_histogram_config_static_selectorELNS0_4arch9wavefront6targetE0EEEvSD_,"axG",@progbits,_ZN7rocprim17ROCPRIM_400000_NS6detail17trampoline_kernelINS0_14default_configENS1_35radix_sort_onesweep_config_selectorIlNS0_10empty_typeEEEZNS1_34radix_sort_onesweep_global_offsetsIS3_Lb0EPKlPS5_mNS0_19identity_decomposerEEE10hipError_tT1_T2_PT3_SF_jT4_jjP12ihipStream_tbEUlT_E_NS1_11comp_targetILNS1_3genE10ELNS1_11target_archE1201ELNS1_3gpuE5ELNS1_3repE0EEENS1_52radix_sort_onesweep_histogram_config_static_selectorELNS0_4arch9wavefront6targetE0EEEvSD_,comdat
.Lfunc_end1195:
	.size	_ZN7rocprim17ROCPRIM_400000_NS6detail17trampoline_kernelINS0_14default_configENS1_35radix_sort_onesweep_config_selectorIlNS0_10empty_typeEEEZNS1_34radix_sort_onesweep_global_offsetsIS3_Lb0EPKlPS5_mNS0_19identity_decomposerEEE10hipError_tT1_T2_PT3_SF_jT4_jjP12ihipStream_tbEUlT_E_NS1_11comp_targetILNS1_3genE10ELNS1_11target_archE1201ELNS1_3gpuE5ELNS1_3repE0EEENS1_52radix_sort_onesweep_histogram_config_static_selectorELNS0_4arch9wavefront6targetE0EEEvSD_, .Lfunc_end1195-_ZN7rocprim17ROCPRIM_400000_NS6detail17trampoline_kernelINS0_14default_configENS1_35radix_sort_onesweep_config_selectorIlNS0_10empty_typeEEEZNS1_34radix_sort_onesweep_global_offsetsIS3_Lb0EPKlPS5_mNS0_19identity_decomposerEEE10hipError_tT1_T2_PT3_SF_jT4_jjP12ihipStream_tbEUlT_E_NS1_11comp_targetILNS1_3genE10ELNS1_11target_archE1201ELNS1_3gpuE5ELNS1_3repE0EEENS1_52radix_sort_onesweep_histogram_config_static_selectorELNS0_4arch9wavefront6targetE0EEEvSD_
                                        ; -- End function
	.set _ZN7rocprim17ROCPRIM_400000_NS6detail17trampoline_kernelINS0_14default_configENS1_35radix_sort_onesweep_config_selectorIlNS0_10empty_typeEEEZNS1_34radix_sort_onesweep_global_offsetsIS3_Lb0EPKlPS5_mNS0_19identity_decomposerEEE10hipError_tT1_T2_PT3_SF_jT4_jjP12ihipStream_tbEUlT_E_NS1_11comp_targetILNS1_3genE10ELNS1_11target_archE1201ELNS1_3gpuE5ELNS1_3repE0EEENS1_52radix_sort_onesweep_histogram_config_static_selectorELNS0_4arch9wavefront6targetE0EEEvSD_.num_vgpr, 0
	.set _ZN7rocprim17ROCPRIM_400000_NS6detail17trampoline_kernelINS0_14default_configENS1_35radix_sort_onesweep_config_selectorIlNS0_10empty_typeEEEZNS1_34radix_sort_onesweep_global_offsetsIS3_Lb0EPKlPS5_mNS0_19identity_decomposerEEE10hipError_tT1_T2_PT3_SF_jT4_jjP12ihipStream_tbEUlT_E_NS1_11comp_targetILNS1_3genE10ELNS1_11target_archE1201ELNS1_3gpuE5ELNS1_3repE0EEENS1_52radix_sort_onesweep_histogram_config_static_selectorELNS0_4arch9wavefront6targetE0EEEvSD_.num_agpr, 0
	.set _ZN7rocprim17ROCPRIM_400000_NS6detail17trampoline_kernelINS0_14default_configENS1_35radix_sort_onesweep_config_selectorIlNS0_10empty_typeEEEZNS1_34radix_sort_onesweep_global_offsetsIS3_Lb0EPKlPS5_mNS0_19identity_decomposerEEE10hipError_tT1_T2_PT3_SF_jT4_jjP12ihipStream_tbEUlT_E_NS1_11comp_targetILNS1_3genE10ELNS1_11target_archE1201ELNS1_3gpuE5ELNS1_3repE0EEENS1_52radix_sort_onesweep_histogram_config_static_selectorELNS0_4arch9wavefront6targetE0EEEvSD_.numbered_sgpr, 0
	.set _ZN7rocprim17ROCPRIM_400000_NS6detail17trampoline_kernelINS0_14default_configENS1_35radix_sort_onesweep_config_selectorIlNS0_10empty_typeEEEZNS1_34radix_sort_onesweep_global_offsetsIS3_Lb0EPKlPS5_mNS0_19identity_decomposerEEE10hipError_tT1_T2_PT3_SF_jT4_jjP12ihipStream_tbEUlT_E_NS1_11comp_targetILNS1_3genE10ELNS1_11target_archE1201ELNS1_3gpuE5ELNS1_3repE0EEENS1_52radix_sort_onesweep_histogram_config_static_selectorELNS0_4arch9wavefront6targetE0EEEvSD_.num_named_barrier, 0
	.set _ZN7rocprim17ROCPRIM_400000_NS6detail17trampoline_kernelINS0_14default_configENS1_35radix_sort_onesweep_config_selectorIlNS0_10empty_typeEEEZNS1_34radix_sort_onesweep_global_offsetsIS3_Lb0EPKlPS5_mNS0_19identity_decomposerEEE10hipError_tT1_T2_PT3_SF_jT4_jjP12ihipStream_tbEUlT_E_NS1_11comp_targetILNS1_3genE10ELNS1_11target_archE1201ELNS1_3gpuE5ELNS1_3repE0EEENS1_52radix_sort_onesweep_histogram_config_static_selectorELNS0_4arch9wavefront6targetE0EEEvSD_.private_seg_size, 0
	.set _ZN7rocprim17ROCPRIM_400000_NS6detail17trampoline_kernelINS0_14default_configENS1_35radix_sort_onesweep_config_selectorIlNS0_10empty_typeEEEZNS1_34radix_sort_onesweep_global_offsetsIS3_Lb0EPKlPS5_mNS0_19identity_decomposerEEE10hipError_tT1_T2_PT3_SF_jT4_jjP12ihipStream_tbEUlT_E_NS1_11comp_targetILNS1_3genE10ELNS1_11target_archE1201ELNS1_3gpuE5ELNS1_3repE0EEENS1_52radix_sort_onesweep_histogram_config_static_selectorELNS0_4arch9wavefront6targetE0EEEvSD_.uses_vcc, 0
	.set _ZN7rocprim17ROCPRIM_400000_NS6detail17trampoline_kernelINS0_14default_configENS1_35radix_sort_onesweep_config_selectorIlNS0_10empty_typeEEEZNS1_34radix_sort_onesweep_global_offsetsIS3_Lb0EPKlPS5_mNS0_19identity_decomposerEEE10hipError_tT1_T2_PT3_SF_jT4_jjP12ihipStream_tbEUlT_E_NS1_11comp_targetILNS1_3genE10ELNS1_11target_archE1201ELNS1_3gpuE5ELNS1_3repE0EEENS1_52radix_sort_onesweep_histogram_config_static_selectorELNS0_4arch9wavefront6targetE0EEEvSD_.uses_flat_scratch, 0
	.set _ZN7rocprim17ROCPRIM_400000_NS6detail17trampoline_kernelINS0_14default_configENS1_35radix_sort_onesweep_config_selectorIlNS0_10empty_typeEEEZNS1_34radix_sort_onesweep_global_offsetsIS3_Lb0EPKlPS5_mNS0_19identity_decomposerEEE10hipError_tT1_T2_PT3_SF_jT4_jjP12ihipStream_tbEUlT_E_NS1_11comp_targetILNS1_3genE10ELNS1_11target_archE1201ELNS1_3gpuE5ELNS1_3repE0EEENS1_52radix_sort_onesweep_histogram_config_static_selectorELNS0_4arch9wavefront6targetE0EEEvSD_.has_dyn_sized_stack, 0
	.set _ZN7rocprim17ROCPRIM_400000_NS6detail17trampoline_kernelINS0_14default_configENS1_35radix_sort_onesweep_config_selectorIlNS0_10empty_typeEEEZNS1_34radix_sort_onesweep_global_offsetsIS3_Lb0EPKlPS5_mNS0_19identity_decomposerEEE10hipError_tT1_T2_PT3_SF_jT4_jjP12ihipStream_tbEUlT_E_NS1_11comp_targetILNS1_3genE10ELNS1_11target_archE1201ELNS1_3gpuE5ELNS1_3repE0EEENS1_52radix_sort_onesweep_histogram_config_static_selectorELNS0_4arch9wavefront6targetE0EEEvSD_.has_recursion, 0
	.set _ZN7rocprim17ROCPRIM_400000_NS6detail17trampoline_kernelINS0_14default_configENS1_35radix_sort_onesweep_config_selectorIlNS0_10empty_typeEEEZNS1_34radix_sort_onesweep_global_offsetsIS3_Lb0EPKlPS5_mNS0_19identity_decomposerEEE10hipError_tT1_T2_PT3_SF_jT4_jjP12ihipStream_tbEUlT_E_NS1_11comp_targetILNS1_3genE10ELNS1_11target_archE1201ELNS1_3gpuE5ELNS1_3repE0EEENS1_52radix_sort_onesweep_histogram_config_static_selectorELNS0_4arch9wavefront6targetE0EEEvSD_.has_indirect_call, 0
	.section	.AMDGPU.csdata,"",@progbits
; Kernel info:
; codeLenInByte = 0
; TotalNumSgprs: 0
; NumVgprs: 0
; ScratchSize: 0
; MemoryBound: 0
; FloatMode: 240
; IeeeMode: 1
; LDSByteSize: 0 bytes/workgroup (compile time only)
; SGPRBlocks: 0
; VGPRBlocks: 0
; NumSGPRsForWavesPerEU: 1
; NumVGPRsForWavesPerEU: 1
; NamedBarCnt: 0
; Occupancy: 16
; WaveLimiterHint : 0
; COMPUTE_PGM_RSRC2:SCRATCH_EN: 0
; COMPUTE_PGM_RSRC2:USER_SGPR: 2
; COMPUTE_PGM_RSRC2:TRAP_HANDLER: 0
; COMPUTE_PGM_RSRC2:TGID_X_EN: 1
; COMPUTE_PGM_RSRC2:TGID_Y_EN: 0
; COMPUTE_PGM_RSRC2:TGID_Z_EN: 0
; COMPUTE_PGM_RSRC2:TIDIG_COMP_CNT: 0
	.section	.text._ZN7rocprim17ROCPRIM_400000_NS6detail17trampoline_kernelINS0_14default_configENS1_35radix_sort_onesweep_config_selectorIlNS0_10empty_typeEEEZNS1_34radix_sort_onesweep_global_offsetsIS3_Lb0EPKlPS5_mNS0_19identity_decomposerEEE10hipError_tT1_T2_PT3_SF_jT4_jjP12ihipStream_tbEUlT_E_NS1_11comp_targetILNS1_3genE9ELNS1_11target_archE1100ELNS1_3gpuE3ELNS1_3repE0EEENS1_52radix_sort_onesweep_histogram_config_static_selectorELNS0_4arch9wavefront6targetE0EEEvSD_,"axG",@progbits,_ZN7rocprim17ROCPRIM_400000_NS6detail17trampoline_kernelINS0_14default_configENS1_35radix_sort_onesweep_config_selectorIlNS0_10empty_typeEEEZNS1_34radix_sort_onesweep_global_offsetsIS3_Lb0EPKlPS5_mNS0_19identity_decomposerEEE10hipError_tT1_T2_PT3_SF_jT4_jjP12ihipStream_tbEUlT_E_NS1_11comp_targetILNS1_3genE9ELNS1_11target_archE1100ELNS1_3gpuE3ELNS1_3repE0EEENS1_52radix_sort_onesweep_histogram_config_static_selectorELNS0_4arch9wavefront6targetE0EEEvSD_,comdat
	.protected	_ZN7rocprim17ROCPRIM_400000_NS6detail17trampoline_kernelINS0_14default_configENS1_35radix_sort_onesweep_config_selectorIlNS0_10empty_typeEEEZNS1_34radix_sort_onesweep_global_offsetsIS3_Lb0EPKlPS5_mNS0_19identity_decomposerEEE10hipError_tT1_T2_PT3_SF_jT4_jjP12ihipStream_tbEUlT_E_NS1_11comp_targetILNS1_3genE9ELNS1_11target_archE1100ELNS1_3gpuE3ELNS1_3repE0EEENS1_52radix_sort_onesweep_histogram_config_static_selectorELNS0_4arch9wavefront6targetE0EEEvSD_ ; -- Begin function _ZN7rocprim17ROCPRIM_400000_NS6detail17trampoline_kernelINS0_14default_configENS1_35radix_sort_onesweep_config_selectorIlNS0_10empty_typeEEEZNS1_34radix_sort_onesweep_global_offsetsIS3_Lb0EPKlPS5_mNS0_19identity_decomposerEEE10hipError_tT1_T2_PT3_SF_jT4_jjP12ihipStream_tbEUlT_E_NS1_11comp_targetILNS1_3genE9ELNS1_11target_archE1100ELNS1_3gpuE3ELNS1_3repE0EEENS1_52radix_sort_onesweep_histogram_config_static_selectorELNS0_4arch9wavefront6targetE0EEEvSD_
	.globl	_ZN7rocprim17ROCPRIM_400000_NS6detail17trampoline_kernelINS0_14default_configENS1_35radix_sort_onesweep_config_selectorIlNS0_10empty_typeEEEZNS1_34radix_sort_onesweep_global_offsetsIS3_Lb0EPKlPS5_mNS0_19identity_decomposerEEE10hipError_tT1_T2_PT3_SF_jT4_jjP12ihipStream_tbEUlT_E_NS1_11comp_targetILNS1_3genE9ELNS1_11target_archE1100ELNS1_3gpuE3ELNS1_3repE0EEENS1_52radix_sort_onesweep_histogram_config_static_selectorELNS0_4arch9wavefront6targetE0EEEvSD_
	.p2align	8
	.type	_ZN7rocprim17ROCPRIM_400000_NS6detail17trampoline_kernelINS0_14default_configENS1_35radix_sort_onesweep_config_selectorIlNS0_10empty_typeEEEZNS1_34radix_sort_onesweep_global_offsetsIS3_Lb0EPKlPS5_mNS0_19identity_decomposerEEE10hipError_tT1_T2_PT3_SF_jT4_jjP12ihipStream_tbEUlT_E_NS1_11comp_targetILNS1_3genE9ELNS1_11target_archE1100ELNS1_3gpuE3ELNS1_3repE0EEENS1_52radix_sort_onesweep_histogram_config_static_selectorELNS0_4arch9wavefront6targetE0EEEvSD_,@function
_ZN7rocprim17ROCPRIM_400000_NS6detail17trampoline_kernelINS0_14default_configENS1_35radix_sort_onesweep_config_selectorIlNS0_10empty_typeEEEZNS1_34radix_sort_onesweep_global_offsetsIS3_Lb0EPKlPS5_mNS0_19identity_decomposerEEE10hipError_tT1_T2_PT3_SF_jT4_jjP12ihipStream_tbEUlT_E_NS1_11comp_targetILNS1_3genE9ELNS1_11target_archE1100ELNS1_3gpuE3ELNS1_3repE0EEENS1_52radix_sort_onesweep_histogram_config_static_selectorELNS0_4arch9wavefront6targetE0EEEvSD_: ; @_ZN7rocprim17ROCPRIM_400000_NS6detail17trampoline_kernelINS0_14default_configENS1_35radix_sort_onesweep_config_selectorIlNS0_10empty_typeEEEZNS1_34radix_sort_onesweep_global_offsetsIS3_Lb0EPKlPS5_mNS0_19identity_decomposerEEE10hipError_tT1_T2_PT3_SF_jT4_jjP12ihipStream_tbEUlT_E_NS1_11comp_targetILNS1_3genE9ELNS1_11target_archE1100ELNS1_3gpuE3ELNS1_3repE0EEENS1_52radix_sort_onesweep_histogram_config_static_selectorELNS0_4arch9wavefront6targetE0EEEvSD_
; %bb.0:
	.section	.rodata,"a",@progbits
	.p2align	6, 0x0
	.amdhsa_kernel _ZN7rocprim17ROCPRIM_400000_NS6detail17trampoline_kernelINS0_14default_configENS1_35radix_sort_onesweep_config_selectorIlNS0_10empty_typeEEEZNS1_34radix_sort_onesweep_global_offsetsIS3_Lb0EPKlPS5_mNS0_19identity_decomposerEEE10hipError_tT1_T2_PT3_SF_jT4_jjP12ihipStream_tbEUlT_E_NS1_11comp_targetILNS1_3genE9ELNS1_11target_archE1100ELNS1_3gpuE3ELNS1_3repE0EEENS1_52radix_sort_onesweep_histogram_config_static_selectorELNS0_4arch9wavefront6targetE0EEEvSD_
		.amdhsa_group_segment_fixed_size 0
		.amdhsa_private_segment_fixed_size 0
		.amdhsa_kernarg_size 48
		.amdhsa_user_sgpr_count 2
		.amdhsa_user_sgpr_dispatch_ptr 0
		.amdhsa_user_sgpr_queue_ptr 0
		.amdhsa_user_sgpr_kernarg_segment_ptr 1
		.amdhsa_user_sgpr_dispatch_id 0
		.amdhsa_user_sgpr_kernarg_preload_length 0
		.amdhsa_user_sgpr_kernarg_preload_offset 0
		.amdhsa_user_sgpr_private_segment_size 0
		.amdhsa_wavefront_size32 1
		.amdhsa_uses_dynamic_stack 0
		.amdhsa_enable_private_segment 0
		.amdhsa_system_sgpr_workgroup_id_x 1
		.amdhsa_system_sgpr_workgroup_id_y 0
		.amdhsa_system_sgpr_workgroup_id_z 0
		.amdhsa_system_sgpr_workgroup_info 0
		.amdhsa_system_vgpr_workitem_id 0
		.amdhsa_next_free_vgpr 1
		.amdhsa_next_free_sgpr 1
		.amdhsa_named_barrier_count 0
		.amdhsa_reserve_vcc 0
		.amdhsa_float_round_mode_32 0
		.amdhsa_float_round_mode_16_64 0
		.amdhsa_float_denorm_mode_32 3
		.amdhsa_float_denorm_mode_16_64 3
		.amdhsa_fp16_overflow 0
		.amdhsa_memory_ordered 1
		.amdhsa_forward_progress 1
		.amdhsa_inst_pref_size 0
		.amdhsa_round_robin_scheduling 0
		.amdhsa_exception_fp_ieee_invalid_op 0
		.amdhsa_exception_fp_denorm_src 0
		.amdhsa_exception_fp_ieee_div_zero 0
		.amdhsa_exception_fp_ieee_overflow 0
		.amdhsa_exception_fp_ieee_underflow 0
		.amdhsa_exception_fp_ieee_inexact 0
		.amdhsa_exception_int_div_zero 0
	.end_amdhsa_kernel
	.section	.text._ZN7rocprim17ROCPRIM_400000_NS6detail17trampoline_kernelINS0_14default_configENS1_35radix_sort_onesweep_config_selectorIlNS0_10empty_typeEEEZNS1_34radix_sort_onesweep_global_offsetsIS3_Lb0EPKlPS5_mNS0_19identity_decomposerEEE10hipError_tT1_T2_PT3_SF_jT4_jjP12ihipStream_tbEUlT_E_NS1_11comp_targetILNS1_3genE9ELNS1_11target_archE1100ELNS1_3gpuE3ELNS1_3repE0EEENS1_52radix_sort_onesweep_histogram_config_static_selectorELNS0_4arch9wavefront6targetE0EEEvSD_,"axG",@progbits,_ZN7rocprim17ROCPRIM_400000_NS6detail17trampoline_kernelINS0_14default_configENS1_35radix_sort_onesweep_config_selectorIlNS0_10empty_typeEEEZNS1_34radix_sort_onesweep_global_offsetsIS3_Lb0EPKlPS5_mNS0_19identity_decomposerEEE10hipError_tT1_T2_PT3_SF_jT4_jjP12ihipStream_tbEUlT_E_NS1_11comp_targetILNS1_3genE9ELNS1_11target_archE1100ELNS1_3gpuE3ELNS1_3repE0EEENS1_52radix_sort_onesweep_histogram_config_static_selectorELNS0_4arch9wavefront6targetE0EEEvSD_,comdat
.Lfunc_end1196:
	.size	_ZN7rocprim17ROCPRIM_400000_NS6detail17trampoline_kernelINS0_14default_configENS1_35radix_sort_onesweep_config_selectorIlNS0_10empty_typeEEEZNS1_34radix_sort_onesweep_global_offsetsIS3_Lb0EPKlPS5_mNS0_19identity_decomposerEEE10hipError_tT1_T2_PT3_SF_jT4_jjP12ihipStream_tbEUlT_E_NS1_11comp_targetILNS1_3genE9ELNS1_11target_archE1100ELNS1_3gpuE3ELNS1_3repE0EEENS1_52radix_sort_onesweep_histogram_config_static_selectorELNS0_4arch9wavefront6targetE0EEEvSD_, .Lfunc_end1196-_ZN7rocprim17ROCPRIM_400000_NS6detail17trampoline_kernelINS0_14default_configENS1_35radix_sort_onesweep_config_selectorIlNS0_10empty_typeEEEZNS1_34radix_sort_onesweep_global_offsetsIS3_Lb0EPKlPS5_mNS0_19identity_decomposerEEE10hipError_tT1_T2_PT3_SF_jT4_jjP12ihipStream_tbEUlT_E_NS1_11comp_targetILNS1_3genE9ELNS1_11target_archE1100ELNS1_3gpuE3ELNS1_3repE0EEENS1_52radix_sort_onesweep_histogram_config_static_selectorELNS0_4arch9wavefront6targetE0EEEvSD_
                                        ; -- End function
	.set _ZN7rocprim17ROCPRIM_400000_NS6detail17trampoline_kernelINS0_14default_configENS1_35radix_sort_onesweep_config_selectorIlNS0_10empty_typeEEEZNS1_34radix_sort_onesweep_global_offsetsIS3_Lb0EPKlPS5_mNS0_19identity_decomposerEEE10hipError_tT1_T2_PT3_SF_jT4_jjP12ihipStream_tbEUlT_E_NS1_11comp_targetILNS1_3genE9ELNS1_11target_archE1100ELNS1_3gpuE3ELNS1_3repE0EEENS1_52radix_sort_onesweep_histogram_config_static_selectorELNS0_4arch9wavefront6targetE0EEEvSD_.num_vgpr, 0
	.set _ZN7rocprim17ROCPRIM_400000_NS6detail17trampoline_kernelINS0_14default_configENS1_35radix_sort_onesweep_config_selectorIlNS0_10empty_typeEEEZNS1_34radix_sort_onesweep_global_offsetsIS3_Lb0EPKlPS5_mNS0_19identity_decomposerEEE10hipError_tT1_T2_PT3_SF_jT4_jjP12ihipStream_tbEUlT_E_NS1_11comp_targetILNS1_3genE9ELNS1_11target_archE1100ELNS1_3gpuE3ELNS1_3repE0EEENS1_52radix_sort_onesweep_histogram_config_static_selectorELNS0_4arch9wavefront6targetE0EEEvSD_.num_agpr, 0
	.set _ZN7rocprim17ROCPRIM_400000_NS6detail17trampoline_kernelINS0_14default_configENS1_35radix_sort_onesweep_config_selectorIlNS0_10empty_typeEEEZNS1_34radix_sort_onesweep_global_offsetsIS3_Lb0EPKlPS5_mNS0_19identity_decomposerEEE10hipError_tT1_T2_PT3_SF_jT4_jjP12ihipStream_tbEUlT_E_NS1_11comp_targetILNS1_3genE9ELNS1_11target_archE1100ELNS1_3gpuE3ELNS1_3repE0EEENS1_52radix_sort_onesweep_histogram_config_static_selectorELNS0_4arch9wavefront6targetE0EEEvSD_.numbered_sgpr, 0
	.set _ZN7rocprim17ROCPRIM_400000_NS6detail17trampoline_kernelINS0_14default_configENS1_35radix_sort_onesweep_config_selectorIlNS0_10empty_typeEEEZNS1_34radix_sort_onesweep_global_offsetsIS3_Lb0EPKlPS5_mNS0_19identity_decomposerEEE10hipError_tT1_T2_PT3_SF_jT4_jjP12ihipStream_tbEUlT_E_NS1_11comp_targetILNS1_3genE9ELNS1_11target_archE1100ELNS1_3gpuE3ELNS1_3repE0EEENS1_52radix_sort_onesweep_histogram_config_static_selectorELNS0_4arch9wavefront6targetE0EEEvSD_.num_named_barrier, 0
	.set _ZN7rocprim17ROCPRIM_400000_NS6detail17trampoline_kernelINS0_14default_configENS1_35radix_sort_onesweep_config_selectorIlNS0_10empty_typeEEEZNS1_34radix_sort_onesweep_global_offsetsIS3_Lb0EPKlPS5_mNS0_19identity_decomposerEEE10hipError_tT1_T2_PT3_SF_jT4_jjP12ihipStream_tbEUlT_E_NS1_11comp_targetILNS1_3genE9ELNS1_11target_archE1100ELNS1_3gpuE3ELNS1_3repE0EEENS1_52radix_sort_onesweep_histogram_config_static_selectorELNS0_4arch9wavefront6targetE0EEEvSD_.private_seg_size, 0
	.set _ZN7rocprim17ROCPRIM_400000_NS6detail17trampoline_kernelINS0_14default_configENS1_35radix_sort_onesweep_config_selectorIlNS0_10empty_typeEEEZNS1_34radix_sort_onesweep_global_offsetsIS3_Lb0EPKlPS5_mNS0_19identity_decomposerEEE10hipError_tT1_T2_PT3_SF_jT4_jjP12ihipStream_tbEUlT_E_NS1_11comp_targetILNS1_3genE9ELNS1_11target_archE1100ELNS1_3gpuE3ELNS1_3repE0EEENS1_52radix_sort_onesweep_histogram_config_static_selectorELNS0_4arch9wavefront6targetE0EEEvSD_.uses_vcc, 0
	.set _ZN7rocprim17ROCPRIM_400000_NS6detail17trampoline_kernelINS0_14default_configENS1_35radix_sort_onesweep_config_selectorIlNS0_10empty_typeEEEZNS1_34radix_sort_onesweep_global_offsetsIS3_Lb0EPKlPS5_mNS0_19identity_decomposerEEE10hipError_tT1_T2_PT3_SF_jT4_jjP12ihipStream_tbEUlT_E_NS1_11comp_targetILNS1_3genE9ELNS1_11target_archE1100ELNS1_3gpuE3ELNS1_3repE0EEENS1_52radix_sort_onesweep_histogram_config_static_selectorELNS0_4arch9wavefront6targetE0EEEvSD_.uses_flat_scratch, 0
	.set _ZN7rocprim17ROCPRIM_400000_NS6detail17trampoline_kernelINS0_14default_configENS1_35radix_sort_onesweep_config_selectorIlNS0_10empty_typeEEEZNS1_34radix_sort_onesweep_global_offsetsIS3_Lb0EPKlPS5_mNS0_19identity_decomposerEEE10hipError_tT1_T2_PT3_SF_jT4_jjP12ihipStream_tbEUlT_E_NS1_11comp_targetILNS1_3genE9ELNS1_11target_archE1100ELNS1_3gpuE3ELNS1_3repE0EEENS1_52radix_sort_onesweep_histogram_config_static_selectorELNS0_4arch9wavefront6targetE0EEEvSD_.has_dyn_sized_stack, 0
	.set _ZN7rocprim17ROCPRIM_400000_NS6detail17trampoline_kernelINS0_14default_configENS1_35radix_sort_onesweep_config_selectorIlNS0_10empty_typeEEEZNS1_34radix_sort_onesweep_global_offsetsIS3_Lb0EPKlPS5_mNS0_19identity_decomposerEEE10hipError_tT1_T2_PT3_SF_jT4_jjP12ihipStream_tbEUlT_E_NS1_11comp_targetILNS1_3genE9ELNS1_11target_archE1100ELNS1_3gpuE3ELNS1_3repE0EEENS1_52radix_sort_onesweep_histogram_config_static_selectorELNS0_4arch9wavefront6targetE0EEEvSD_.has_recursion, 0
	.set _ZN7rocprim17ROCPRIM_400000_NS6detail17trampoline_kernelINS0_14default_configENS1_35radix_sort_onesweep_config_selectorIlNS0_10empty_typeEEEZNS1_34radix_sort_onesweep_global_offsetsIS3_Lb0EPKlPS5_mNS0_19identity_decomposerEEE10hipError_tT1_T2_PT3_SF_jT4_jjP12ihipStream_tbEUlT_E_NS1_11comp_targetILNS1_3genE9ELNS1_11target_archE1100ELNS1_3gpuE3ELNS1_3repE0EEENS1_52radix_sort_onesweep_histogram_config_static_selectorELNS0_4arch9wavefront6targetE0EEEvSD_.has_indirect_call, 0
	.section	.AMDGPU.csdata,"",@progbits
; Kernel info:
; codeLenInByte = 0
; TotalNumSgprs: 0
; NumVgprs: 0
; ScratchSize: 0
; MemoryBound: 0
; FloatMode: 240
; IeeeMode: 1
; LDSByteSize: 0 bytes/workgroup (compile time only)
; SGPRBlocks: 0
; VGPRBlocks: 0
; NumSGPRsForWavesPerEU: 1
; NumVGPRsForWavesPerEU: 1
; NamedBarCnt: 0
; Occupancy: 16
; WaveLimiterHint : 0
; COMPUTE_PGM_RSRC2:SCRATCH_EN: 0
; COMPUTE_PGM_RSRC2:USER_SGPR: 2
; COMPUTE_PGM_RSRC2:TRAP_HANDLER: 0
; COMPUTE_PGM_RSRC2:TGID_X_EN: 1
; COMPUTE_PGM_RSRC2:TGID_Y_EN: 0
; COMPUTE_PGM_RSRC2:TGID_Z_EN: 0
; COMPUTE_PGM_RSRC2:TIDIG_COMP_CNT: 0
	.section	.text._ZN7rocprim17ROCPRIM_400000_NS6detail17trampoline_kernelINS0_14default_configENS1_35radix_sort_onesweep_config_selectorIlNS0_10empty_typeEEEZNS1_34radix_sort_onesweep_global_offsetsIS3_Lb0EPKlPS5_mNS0_19identity_decomposerEEE10hipError_tT1_T2_PT3_SF_jT4_jjP12ihipStream_tbEUlT_E_NS1_11comp_targetILNS1_3genE8ELNS1_11target_archE1030ELNS1_3gpuE2ELNS1_3repE0EEENS1_52radix_sort_onesweep_histogram_config_static_selectorELNS0_4arch9wavefront6targetE0EEEvSD_,"axG",@progbits,_ZN7rocprim17ROCPRIM_400000_NS6detail17trampoline_kernelINS0_14default_configENS1_35radix_sort_onesweep_config_selectorIlNS0_10empty_typeEEEZNS1_34radix_sort_onesweep_global_offsetsIS3_Lb0EPKlPS5_mNS0_19identity_decomposerEEE10hipError_tT1_T2_PT3_SF_jT4_jjP12ihipStream_tbEUlT_E_NS1_11comp_targetILNS1_3genE8ELNS1_11target_archE1030ELNS1_3gpuE2ELNS1_3repE0EEENS1_52radix_sort_onesweep_histogram_config_static_selectorELNS0_4arch9wavefront6targetE0EEEvSD_,comdat
	.protected	_ZN7rocprim17ROCPRIM_400000_NS6detail17trampoline_kernelINS0_14default_configENS1_35radix_sort_onesweep_config_selectorIlNS0_10empty_typeEEEZNS1_34radix_sort_onesweep_global_offsetsIS3_Lb0EPKlPS5_mNS0_19identity_decomposerEEE10hipError_tT1_T2_PT3_SF_jT4_jjP12ihipStream_tbEUlT_E_NS1_11comp_targetILNS1_3genE8ELNS1_11target_archE1030ELNS1_3gpuE2ELNS1_3repE0EEENS1_52radix_sort_onesweep_histogram_config_static_selectorELNS0_4arch9wavefront6targetE0EEEvSD_ ; -- Begin function _ZN7rocprim17ROCPRIM_400000_NS6detail17trampoline_kernelINS0_14default_configENS1_35radix_sort_onesweep_config_selectorIlNS0_10empty_typeEEEZNS1_34radix_sort_onesweep_global_offsetsIS3_Lb0EPKlPS5_mNS0_19identity_decomposerEEE10hipError_tT1_T2_PT3_SF_jT4_jjP12ihipStream_tbEUlT_E_NS1_11comp_targetILNS1_3genE8ELNS1_11target_archE1030ELNS1_3gpuE2ELNS1_3repE0EEENS1_52radix_sort_onesweep_histogram_config_static_selectorELNS0_4arch9wavefront6targetE0EEEvSD_
	.globl	_ZN7rocprim17ROCPRIM_400000_NS6detail17trampoline_kernelINS0_14default_configENS1_35radix_sort_onesweep_config_selectorIlNS0_10empty_typeEEEZNS1_34radix_sort_onesweep_global_offsetsIS3_Lb0EPKlPS5_mNS0_19identity_decomposerEEE10hipError_tT1_T2_PT3_SF_jT4_jjP12ihipStream_tbEUlT_E_NS1_11comp_targetILNS1_3genE8ELNS1_11target_archE1030ELNS1_3gpuE2ELNS1_3repE0EEENS1_52radix_sort_onesweep_histogram_config_static_selectorELNS0_4arch9wavefront6targetE0EEEvSD_
	.p2align	8
	.type	_ZN7rocprim17ROCPRIM_400000_NS6detail17trampoline_kernelINS0_14default_configENS1_35radix_sort_onesweep_config_selectorIlNS0_10empty_typeEEEZNS1_34radix_sort_onesweep_global_offsetsIS3_Lb0EPKlPS5_mNS0_19identity_decomposerEEE10hipError_tT1_T2_PT3_SF_jT4_jjP12ihipStream_tbEUlT_E_NS1_11comp_targetILNS1_3genE8ELNS1_11target_archE1030ELNS1_3gpuE2ELNS1_3repE0EEENS1_52radix_sort_onesweep_histogram_config_static_selectorELNS0_4arch9wavefront6targetE0EEEvSD_,@function
_ZN7rocprim17ROCPRIM_400000_NS6detail17trampoline_kernelINS0_14default_configENS1_35radix_sort_onesweep_config_selectorIlNS0_10empty_typeEEEZNS1_34radix_sort_onesweep_global_offsetsIS3_Lb0EPKlPS5_mNS0_19identity_decomposerEEE10hipError_tT1_T2_PT3_SF_jT4_jjP12ihipStream_tbEUlT_E_NS1_11comp_targetILNS1_3genE8ELNS1_11target_archE1030ELNS1_3gpuE2ELNS1_3repE0EEENS1_52radix_sort_onesweep_histogram_config_static_selectorELNS0_4arch9wavefront6targetE0EEEvSD_: ; @_ZN7rocprim17ROCPRIM_400000_NS6detail17trampoline_kernelINS0_14default_configENS1_35radix_sort_onesweep_config_selectorIlNS0_10empty_typeEEEZNS1_34radix_sort_onesweep_global_offsetsIS3_Lb0EPKlPS5_mNS0_19identity_decomposerEEE10hipError_tT1_T2_PT3_SF_jT4_jjP12ihipStream_tbEUlT_E_NS1_11comp_targetILNS1_3genE8ELNS1_11target_archE1030ELNS1_3gpuE2ELNS1_3repE0EEENS1_52radix_sort_onesweep_histogram_config_static_selectorELNS0_4arch9wavefront6targetE0EEEvSD_
; %bb.0:
	.section	.rodata,"a",@progbits
	.p2align	6, 0x0
	.amdhsa_kernel _ZN7rocprim17ROCPRIM_400000_NS6detail17trampoline_kernelINS0_14default_configENS1_35radix_sort_onesweep_config_selectorIlNS0_10empty_typeEEEZNS1_34radix_sort_onesweep_global_offsetsIS3_Lb0EPKlPS5_mNS0_19identity_decomposerEEE10hipError_tT1_T2_PT3_SF_jT4_jjP12ihipStream_tbEUlT_E_NS1_11comp_targetILNS1_3genE8ELNS1_11target_archE1030ELNS1_3gpuE2ELNS1_3repE0EEENS1_52radix_sort_onesweep_histogram_config_static_selectorELNS0_4arch9wavefront6targetE0EEEvSD_
		.amdhsa_group_segment_fixed_size 0
		.amdhsa_private_segment_fixed_size 0
		.amdhsa_kernarg_size 48
		.amdhsa_user_sgpr_count 2
		.amdhsa_user_sgpr_dispatch_ptr 0
		.amdhsa_user_sgpr_queue_ptr 0
		.amdhsa_user_sgpr_kernarg_segment_ptr 1
		.amdhsa_user_sgpr_dispatch_id 0
		.amdhsa_user_sgpr_kernarg_preload_length 0
		.amdhsa_user_sgpr_kernarg_preload_offset 0
		.amdhsa_user_sgpr_private_segment_size 0
		.amdhsa_wavefront_size32 1
		.amdhsa_uses_dynamic_stack 0
		.amdhsa_enable_private_segment 0
		.amdhsa_system_sgpr_workgroup_id_x 1
		.amdhsa_system_sgpr_workgroup_id_y 0
		.amdhsa_system_sgpr_workgroup_id_z 0
		.amdhsa_system_sgpr_workgroup_info 0
		.amdhsa_system_vgpr_workitem_id 0
		.amdhsa_next_free_vgpr 1
		.amdhsa_next_free_sgpr 1
		.amdhsa_named_barrier_count 0
		.amdhsa_reserve_vcc 0
		.amdhsa_float_round_mode_32 0
		.amdhsa_float_round_mode_16_64 0
		.amdhsa_float_denorm_mode_32 3
		.amdhsa_float_denorm_mode_16_64 3
		.amdhsa_fp16_overflow 0
		.amdhsa_memory_ordered 1
		.amdhsa_forward_progress 1
		.amdhsa_inst_pref_size 0
		.amdhsa_round_robin_scheduling 0
		.amdhsa_exception_fp_ieee_invalid_op 0
		.amdhsa_exception_fp_denorm_src 0
		.amdhsa_exception_fp_ieee_div_zero 0
		.amdhsa_exception_fp_ieee_overflow 0
		.amdhsa_exception_fp_ieee_underflow 0
		.amdhsa_exception_fp_ieee_inexact 0
		.amdhsa_exception_int_div_zero 0
	.end_amdhsa_kernel
	.section	.text._ZN7rocprim17ROCPRIM_400000_NS6detail17trampoline_kernelINS0_14default_configENS1_35radix_sort_onesweep_config_selectorIlNS0_10empty_typeEEEZNS1_34radix_sort_onesweep_global_offsetsIS3_Lb0EPKlPS5_mNS0_19identity_decomposerEEE10hipError_tT1_T2_PT3_SF_jT4_jjP12ihipStream_tbEUlT_E_NS1_11comp_targetILNS1_3genE8ELNS1_11target_archE1030ELNS1_3gpuE2ELNS1_3repE0EEENS1_52radix_sort_onesweep_histogram_config_static_selectorELNS0_4arch9wavefront6targetE0EEEvSD_,"axG",@progbits,_ZN7rocprim17ROCPRIM_400000_NS6detail17trampoline_kernelINS0_14default_configENS1_35radix_sort_onesweep_config_selectorIlNS0_10empty_typeEEEZNS1_34radix_sort_onesweep_global_offsetsIS3_Lb0EPKlPS5_mNS0_19identity_decomposerEEE10hipError_tT1_T2_PT3_SF_jT4_jjP12ihipStream_tbEUlT_E_NS1_11comp_targetILNS1_3genE8ELNS1_11target_archE1030ELNS1_3gpuE2ELNS1_3repE0EEENS1_52radix_sort_onesweep_histogram_config_static_selectorELNS0_4arch9wavefront6targetE0EEEvSD_,comdat
.Lfunc_end1197:
	.size	_ZN7rocprim17ROCPRIM_400000_NS6detail17trampoline_kernelINS0_14default_configENS1_35radix_sort_onesweep_config_selectorIlNS0_10empty_typeEEEZNS1_34radix_sort_onesweep_global_offsetsIS3_Lb0EPKlPS5_mNS0_19identity_decomposerEEE10hipError_tT1_T2_PT3_SF_jT4_jjP12ihipStream_tbEUlT_E_NS1_11comp_targetILNS1_3genE8ELNS1_11target_archE1030ELNS1_3gpuE2ELNS1_3repE0EEENS1_52radix_sort_onesweep_histogram_config_static_selectorELNS0_4arch9wavefront6targetE0EEEvSD_, .Lfunc_end1197-_ZN7rocprim17ROCPRIM_400000_NS6detail17trampoline_kernelINS0_14default_configENS1_35radix_sort_onesweep_config_selectorIlNS0_10empty_typeEEEZNS1_34radix_sort_onesweep_global_offsetsIS3_Lb0EPKlPS5_mNS0_19identity_decomposerEEE10hipError_tT1_T2_PT3_SF_jT4_jjP12ihipStream_tbEUlT_E_NS1_11comp_targetILNS1_3genE8ELNS1_11target_archE1030ELNS1_3gpuE2ELNS1_3repE0EEENS1_52radix_sort_onesweep_histogram_config_static_selectorELNS0_4arch9wavefront6targetE0EEEvSD_
                                        ; -- End function
	.set _ZN7rocprim17ROCPRIM_400000_NS6detail17trampoline_kernelINS0_14default_configENS1_35radix_sort_onesweep_config_selectorIlNS0_10empty_typeEEEZNS1_34radix_sort_onesweep_global_offsetsIS3_Lb0EPKlPS5_mNS0_19identity_decomposerEEE10hipError_tT1_T2_PT3_SF_jT4_jjP12ihipStream_tbEUlT_E_NS1_11comp_targetILNS1_3genE8ELNS1_11target_archE1030ELNS1_3gpuE2ELNS1_3repE0EEENS1_52radix_sort_onesweep_histogram_config_static_selectorELNS0_4arch9wavefront6targetE0EEEvSD_.num_vgpr, 0
	.set _ZN7rocprim17ROCPRIM_400000_NS6detail17trampoline_kernelINS0_14default_configENS1_35radix_sort_onesweep_config_selectorIlNS0_10empty_typeEEEZNS1_34radix_sort_onesweep_global_offsetsIS3_Lb0EPKlPS5_mNS0_19identity_decomposerEEE10hipError_tT1_T2_PT3_SF_jT4_jjP12ihipStream_tbEUlT_E_NS1_11comp_targetILNS1_3genE8ELNS1_11target_archE1030ELNS1_3gpuE2ELNS1_3repE0EEENS1_52radix_sort_onesweep_histogram_config_static_selectorELNS0_4arch9wavefront6targetE0EEEvSD_.num_agpr, 0
	.set _ZN7rocprim17ROCPRIM_400000_NS6detail17trampoline_kernelINS0_14default_configENS1_35radix_sort_onesweep_config_selectorIlNS0_10empty_typeEEEZNS1_34radix_sort_onesweep_global_offsetsIS3_Lb0EPKlPS5_mNS0_19identity_decomposerEEE10hipError_tT1_T2_PT3_SF_jT4_jjP12ihipStream_tbEUlT_E_NS1_11comp_targetILNS1_3genE8ELNS1_11target_archE1030ELNS1_3gpuE2ELNS1_3repE0EEENS1_52radix_sort_onesweep_histogram_config_static_selectorELNS0_4arch9wavefront6targetE0EEEvSD_.numbered_sgpr, 0
	.set _ZN7rocprim17ROCPRIM_400000_NS6detail17trampoline_kernelINS0_14default_configENS1_35radix_sort_onesweep_config_selectorIlNS0_10empty_typeEEEZNS1_34radix_sort_onesweep_global_offsetsIS3_Lb0EPKlPS5_mNS0_19identity_decomposerEEE10hipError_tT1_T2_PT3_SF_jT4_jjP12ihipStream_tbEUlT_E_NS1_11comp_targetILNS1_3genE8ELNS1_11target_archE1030ELNS1_3gpuE2ELNS1_3repE0EEENS1_52radix_sort_onesweep_histogram_config_static_selectorELNS0_4arch9wavefront6targetE0EEEvSD_.num_named_barrier, 0
	.set _ZN7rocprim17ROCPRIM_400000_NS6detail17trampoline_kernelINS0_14default_configENS1_35radix_sort_onesweep_config_selectorIlNS0_10empty_typeEEEZNS1_34radix_sort_onesweep_global_offsetsIS3_Lb0EPKlPS5_mNS0_19identity_decomposerEEE10hipError_tT1_T2_PT3_SF_jT4_jjP12ihipStream_tbEUlT_E_NS1_11comp_targetILNS1_3genE8ELNS1_11target_archE1030ELNS1_3gpuE2ELNS1_3repE0EEENS1_52radix_sort_onesweep_histogram_config_static_selectorELNS0_4arch9wavefront6targetE0EEEvSD_.private_seg_size, 0
	.set _ZN7rocprim17ROCPRIM_400000_NS6detail17trampoline_kernelINS0_14default_configENS1_35radix_sort_onesweep_config_selectorIlNS0_10empty_typeEEEZNS1_34radix_sort_onesweep_global_offsetsIS3_Lb0EPKlPS5_mNS0_19identity_decomposerEEE10hipError_tT1_T2_PT3_SF_jT4_jjP12ihipStream_tbEUlT_E_NS1_11comp_targetILNS1_3genE8ELNS1_11target_archE1030ELNS1_3gpuE2ELNS1_3repE0EEENS1_52radix_sort_onesweep_histogram_config_static_selectorELNS0_4arch9wavefront6targetE0EEEvSD_.uses_vcc, 0
	.set _ZN7rocprim17ROCPRIM_400000_NS6detail17trampoline_kernelINS0_14default_configENS1_35radix_sort_onesweep_config_selectorIlNS0_10empty_typeEEEZNS1_34radix_sort_onesweep_global_offsetsIS3_Lb0EPKlPS5_mNS0_19identity_decomposerEEE10hipError_tT1_T2_PT3_SF_jT4_jjP12ihipStream_tbEUlT_E_NS1_11comp_targetILNS1_3genE8ELNS1_11target_archE1030ELNS1_3gpuE2ELNS1_3repE0EEENS1_52radix_sort_onesweep_histogram_config_static_selectorELNS0_4arch9wavefront6targetE0EEEvSD_.uses_flat_scratch, 0
	.set _ZN7rocprim17ROCPRIM_400000_NS6detail17trampoline_kernelINS0_14default_configENS1_35radix_sort_onesweep_config_selectorIlNS0_10empty_typeEEEZNS1_34radix_sort_onesweep_global_offsetsIS3_Lb0EPKlPS5_mNS0_19identity_decomposerEEE10hipError_tT1_T2_PT3_SF_jT4_jjP12ihipStream_tbEUlT_E_NS1_11comp_targetILNS1_3genE8ELNS1_11target_archE1030ELNS1_3gpuE2ELNS1_3repE0EEENS1_52radix_sort_onesweep_histogram_config_static_selectorELNS0_4arch9wavefront6targetE0EEEvSD_.has_dyn_sized_stack, 0
	.set _ZN7rocprim17ROCPRIM_400000_NS6detail17trampoline_kernelINS0_14default_configENS1_35radix_sort_onesweep_config_selectorIlNS0_10empty_typeEEEZNS1_34radix_sort_onesweep_global_offsetsIS3_Lb0EPKlPS5_mNS0_19identity_decomposerEEE10hipError_tT1_T2_PT3_SF_jT4_jjP12ihipStream_tbEUlT_E_NS1_11comp_targetILNS1_3genE8ELNS1_11target_archE1030ELNS1_3gpuE2ELNS1_3repE0EEENS1_52radix_sort_onesweep_histogram_config_static_selectorELNS0_4arch9wavefront6targetE0EEEvSD_.has_recursion, 0
	.set _ZN7rocprim17ROCPRIM_400000_NS6detail17trampoline_kernelINS0_14default_configENS1_35radix_sort_onesweep_config_selectorIlNS0_10empty_typeEEEZNS1_34radix_sort_onesweep_global_offsetsIS3_Lb0EPKlPS5_mNS0_19identity_decomposerEEE10hipError_tT1_T2_PT3_SF_jT4_jjP12ihipStream_tbEUlT_E_NS1_11comp_targetILNS1_3genE8ELNS1_11target_archE1030ELNS1_3gpuE2ELNS1_3repE0EEENS1_52radix_sort_onesweep_histogram_config_static_selectorELNS0_4arch9wavefront6targetE0EEEvSD_.has_indirect_call, 0
	.section	.AMDGPU.csdata,"",@progbits
; Kernel info:
; codeLenInByte = 0
; TotalNumSgprs: 0
; NumVgprs: 0
; ScratchSize: 0
; MemoryBound: 0
; FloatMode: 240
; IeeeMode: 1
; LDSByteSize: 0 bytes/workgroup (compile time only)
; SGPRBlocks: 0
; VGPRBlocks: 0
; NumSGPRsForWavesPerEU: 1
; NumVGPRsForWavesPerEU: 1
; NamedBarCnt: 0
; Occupancy: 16
; WaveLimiterHint : 0
; COMPUTE_PGM_RSRC2:SCRATCH_EN: 0
; COMPUTE_PGM_RSRC2:USER_SGPR: 2
; COMPUTE_PGM_RSRC2:TRAP_HANDLER: 0
; COMPUTE_PGM_RSRC2:TGID_X_EN: 1
; COMPUTE_PGM_RSRC2:TGID_Y_EN: 0
; COMPUTE_PGM_RSRC2:TGID_Z_EN: 0
; COMPUTE_PGM_RSRC2:TIDIG_COMP_CNT: 0
	.section	.text._ZN7rocprim17ROCPRIM_400000_NS6detail17trampoline_kernelINS0_14default_configENS1_35radix_sort_onesweep_config_selectorIlNS0_10empty_typeEEEZNS1_34radix_sort_onesweep_global_offsetsIS3_Lb0EPKlPS5_mNS0_19identity_decomposerEEE10hipError_tT1_T2_PT3_SF_jT4_jjP12ihipStream_tbEUlT_E0_NS1_11comp_targetILNS1_3genE0ELNS1_11target_archE4294967295ELNS1_3gpuE0ELNS1_3repE0EEENS1_52radix_sort_onesweep_histogram_config_static_selectorELNS0_4arch9wavefront6targetE0EEEvSD_,"axG",@progbits,_ZN7rocprim17ROCPRIM_400000_NS6detail17trampoline_kernelINS0_14default_configENS1_35radix_sort_onesweep_config_selectorIlNS0_10empty_typeEEEZNS1_34radix_sort_onesweep_global_offsetsIS3_Lb0EPKlPS5_mNS0_19identity_decomposerEEE10hipError_tT1_T2_PT3_SF_jT4_jjP12ihipStream_tbEUlT_E0_NS1_11comp_targetILNS1_3genE0ELNS1_11target_archE4294967295ELNS1_3gpuE0ELNS1_3repE0EEENS1_52radix_sort_onesweep_histogram_config_static_selectorELNS0_4arch9wavefront6targetE0EEEvSD_,comdat
	.protected	_ZN7rocprim17ROCPRIM_400000_NS6detail17trampoline_kernelINS0_14default_configENS1_35radix_sort_onesweep_config_selectorIlNS0_10empty_typeEEEZNS1_34radix_sort_onesweep_global_offsetsIS3_Lb0EPKlPS5_mNS0_19identity_decomposerEEE10hipError_tT1_T2_PT3_SF_jT4_jjP12ihipStream_tbEUlT_E0_NS1_11comp_targetILNS1_3genE0ELNS1_11target_archE4294967295ELNS1_3gpuE0ELNS1_3repE0EEENS1_52radix_sort_onesweep_histogram_config_static_selectorELNS0_4arch9wavefront6targetE0EEEvSD_ ; -- Begin function _ZN7rocprim17ROCPRIM_400000_NS6detail17trampoline_kernelINS0_14default_configENS1_35radix_sort_onesweep_config_selectorIlNS0_10empty_typeEEEZNS1_34radix_sort_onesweep_global_offsetsIS3_Lb0EPKlPS5_mNS0_19identity_decomposerEEE10hipError_tT1_T2_PT3_SF_jT4_jjP12ihipStream_tbEUlT_E0_NS1_11comp_targetILNS1_3genE0ELNS1_11target_archE4294967295ELNS1_3gpuE0ELNS1_3repE0EEENS1_52radix_sort_onesweep_histogram_config_static_selectorELNS0_4arch9wavefront6targetE0EEEvSD_
	.globl	_ZN7rocprim17ROCPRIM_400000_NS6detail17trampoline_kernelINS0_14default_configENS1_35radix_sort_onesweep_config_selectorIlNS0_10empty_typeEEEZNS1_34radix_sort_onesweep_global_offsetsIS3_Lb0EPKlPS5_mNS0_19identity_decomposerEEE10hipError_tT1_T2_PT3_SF_jT4_jjP12ihipStream_tbEUlT_E0_NS1_11comp_targetILNS1_3genE0ELNS1_11target_archE4294967295ELNS1_3gpuE0ELNS1_3repE0EEENS1_52radix_sort_onesweep_histogram_config_static_selectorELNS0_4arch9wavefront6targetE0EEEvSD_
	.p2align	8
	.type	_ZN7rocprim17ROCPRIM_400000_NS6detail17trampoline_kernelINS0_14default_configENS1_35radix_sort_onesweep_config_selectorIlNS0_10empty_typeEEEZNS1_34radix_sort_onesweep_global_offsetsIS3_Lb0EPKlPS5_mNS0_19identity_decomposerEEE10hipError_tT1_T2_PT3_SF_jT4_jjP12ihipStream_tbEUlT_E0_NS1_11comp_targetILNS1_3genE0ELNS1_11target_archE4294967295ELNS1_3gpuE0ELNS1_3repE0EEENS1_52radix_sort_onesweep_histogram_config_static_selectorELNS0_4arch9wavefront6targetE0EEEvSD_,@function
_ZN7rocprim17ROCPRIM_400000_NS6detail17trampoline_kernelINS0_14default_configENS1_35radix_sort_onesweep_config_selectorIlNS0_10empty_typeEEEZNS1_34radix_sort_onesweep_global_offsetsIS3_Lb0EPKlPS5_mNS0_19identity_decomposerEEE10hipError_tT1_T2_PT3_SF_jT4_jjP12ihipStream_tbEUlT_E0_NS1_11comp_targetILNS1_3genE0ELNS1_11target_archE4294967295ELNS1_3gpuE0ELNS1_3repE0EEENS1_52radix_sort_onesweep_histogram_config_static_selectorELNS0_4arch9wavefront6targetE0EEEvSD_: ; @_ZN7rocprim17ROCPRIM_400000_NS6detail17trampoline_kernelINS0_14default_configENS1_35radix_sort_onesweep_config_selectorIlNS0_10empty_typeEEEZNS1_34radix_sort_onesweep_global_offsetsIS3_Lb0EPKlPS5_mNS0_19identity_decomposerEEE10hipError_tT1_T2_PT3_SF_jT4_jjP12ihipStream_tbEUlT_E0_NS1_11comp_targetILNS1_3genE0ELNS1_11target_archE4294967295ELNS1_3gpuE0ELNS1_3repE0EEENS1_52radix_sort_onesweep_histogram_config_static_selectorELNS0_4arch9wavefront6targetE0EEEvSD_
; %bb.0:
	s_load_b64 s[0:1], s[0:1], 0x0
	s_bfe_u32 s2, ttmp6, 0x4000c
	s_and_b32 s3, ttmp6, 15
	s_add_co_i32 s2, s2, 1
	s_getreg_b32 s4, hwreg(HW_REG_IB_STS2, 6, 4)
	s_mul_i32 s2, ttmp9, s2
	v_cmp_gt_u32_e32 vcc_lo, 0x100, v0
	s_add_co_i32 s3, s3, s2
	s_cmp_eq_u32 s4, 0
                                        ; implicit-def: $vgpr2_vgpr3
	s_cselect_b32 s2, ttmp9, s3
	s_mov_b32 s3, 0
	s_lshl_b32 s2, s2, 8
	s_delay_alu instid0(SALU_CYCLE_1)
	s_lshl_b64 s[2:3], s[2:3], 3
	s_wait_kmcnt 0x0
	s_add_nc_u64 s[6:7], s[0:1], s[2:3]
	s_and_saveexec_b32 s0, vcc_lo
	s_cbranch_execz .LBB1198_2
; %bb.1:
	global_load_b64 v[2:3], v0, s[6:7] scale_offset
.LBB1198_2:
	s_wait_xcnt 0x0
	s_or_b32 exec_lo, exec_lo, s0
	v_mbcnt_lo_u32_b32 v1, -1, 0
	s_wait_loadcnt 0x0
	v_mov_b32_dpp v6, v2 row_shr:1 row_mask:0xf bank_mask:0xf
	v_mov_b32_dpp v9, v3 row_shr:1 row_mask:0xf bank_mask:0xf
	s_delay_alu instid0(VALU_DEP_3) | instskip(NEXT) | instid1(VALU_DEP_1)
	v_dual_mov_b32 v4, v2 :: v_dual_bitop2_b32 v10, 15, v1 bitop3:0x40
	v_cmp_ne_u32_e64 s0, 0, v10
	s_and_saveexec_b32 s1, s0
; %bb.3:
	v_mov_b32_e32 v8, 0
	s_delay_alu instid0(VALU_DEP_1) | instskip(NEXT) | instid1(VALU_DEP_1)
	v_mov_b32_e32 v7, v8
	v_add_nc_u64_e32 v[4:5], v[2:3], v[6:7]
	s_delay_alu instid0(VALU_DEP_1)
	v_add_nc_u64_e32 v[2:3], v[8:9], v[4:5]
; %bb.4:
	s_or_b32 exec_lo, exec_lo, s1
	v_mov_b32_dpp v6, v4 row_shr:2 row_mask:0xf bank_mask:0xf
	s_delay_alu instid0(VALU_DEP_2)
	v_mov_b32_dpp v9, v3 row_shr:2 row_mask:0xf bank_mask:0xf
	v_cmp_lt_u32_e64 s1, 1, v10
	s_and_saveexec_b32 s2, s1
; %bb.5:
	v_mov_b32_e32 v8, 0
	s_delay_alu instid0(VALU_DEP_1) | instskip(NEXT) | instid1(VALU_DEP_1)
	v_mov_b32_e32 v7, v8
	v_add_nc_u64_e32 v[4:5], v[2:3], v[6:7]
	s_delay_alu instid0(VALU_DEP_1)
	v_add_nc_u64_e32 v[2:3], v[8:9], v[4:5]
; %bb.6:
	s_or_b32 exec_lo, exec_lo, s2
	v_mov_b32_dpp v6, v4 row_shr:4 row_mask:0xf bank_mask:0xf
	s_delay_alu instid0(VALU_DEP_2)
	v_mov_b32_dpp v9, v3 row_shr:4 row_mask:0xf bank_mask:0xf
	v_cmp_lt_u32_e64 s2, 3, v10
	;; [unrolled: 14-line block ×3, first 2 shown]
	s_and_saveexec_b32 s4, s3
; %bb.9:
	v_mov_b32_e32 v8, 0
	s_delay_alu instid0(VALU_DEP_1) | instskip(NEXT) | instid1(VALU_DEP_1)
	v_mov_b32_e32 v7, v8
	v_add_nc_u64_e32 v[4:5], v[2:3], v[6:7]
	s_delay_alu instid0(VALU_DEP_1)
	v_add_nc_u64_e32 v[2:3], v[8:9], v[4:5]
; %bb.10:
	s_or_b32 exec_lo, exec_lo, s4
	ds_swizzle_b32 v4, v4 offset:swizzle(BROADCAST,32,15)
	ds_swizzle_b32 v7, v3 offset:swizzle(BROADCAST,32,15)
	v_and_b32_e32 v5, 16, v1
	s_mov_b32 s5, exec_lo
	s_delay_alu instid0(VALU_DEP_1)
	v_cmpx_ne_u32_e32 0, v5
	s_cbranch_execz .LBB1198_12
; %bb.11:
	v_mov_b32_e32 v6, 0
	s_delay_alu instid0(VALU_DEP_1) | instskip(SKIP_1) | instid1(VALU_DEP_1)
	v_mov_b32_e32 v5, v6
	s_wait_dscnt 0x1
	v_add_nc_u64_e32 v[2:3], v[2:3], v[4:5]
	s_wait_dscnt 0x0
	s_delay_alu instid0(VALU_DEP_1)
	v_add_nc_u64_e32 v[2:3], v[2:3], v[6:7]
.LBB1198_12:
	s_or_b32 exec_lo, exec_lo, s5
	s_wait_dscnt 0x1
	v_dual_lshrrev_b32 v12, 5, v0 :: v_dual_bitop2_b32 v4, 31, v0 bitop3:0x54
	s_mov_b32 s5, exec_lo
	s_delay_alu instid0(VALU_DEP_1)
	v_cmpx_eq_u32_e64 v0, v4
; %bb.13:
	s_delay_alu instid0(VALU_DEP_2)
	v_lshlrev_b32_e32 v4, 3, v12
	ds_store_b64 v4, v[2:3]
; %bb.14:
	s_or_b32 exec_lo, exec_lo, s5
	s_delay_alu instid0(SALU_CYCLE_1)
	s_mov_b32 s5, exec_lo
	s_wait_dscnt 0x0
	s_barrier_signal -1
	s_barrier_wait -1
	v_cmpx_gt_u32_e32 16, v0
	s_cbranch_execz .LBB1198_24
; %bb.15:
	v_lshlrev_b32_e32 v13, 3, v0
	ds_load_b64 v[4:5], v13
	s_wait_dscnt 0x0
	v_mov_b32_dpp v8, v4 row_shr:1 row_mask:0xf bank_mask:0xf
	v_mov_b32_dpp v11, v5 row_shr:1 row_mask:0xf bank_mask:0xf
	v_mov_b32_e32 v6, v4
	s_and_saveexec_b32 s4, s0
; %bb.16:
	v_mov_b32_e32 v10, 0
	s_delay_alu instid0(VALU_DEP_1) | instskip(NEXT) | instid1(VALU_DEP_1)
	v_mov_b32_e32 v9, v10
	v_add_nc_u64_e32 v[6:7], v[4:5], v[8:9]
	s_delay_alu instid0(VALU_DEP_1)
	v_add_nc_u64_e32 v[4:5], v[10:11], v[6:7]
; %bb.17:
	s_or_b32 exec_lo, exec_lo, s4
	v_mov_b32_dpp v8, v6 row_shr:2 row_mask:0xf bank_mask:0xf
	s_delay_alu instid0(VALU_DEP_2)
	v_mov_b32_dpp v11, v5 row_shr:2 row_mask:0xf bank_mask:0xf
	s_and_saveexec_b32 s0, s1
; %bb.18:
	v_mov_b32_e32 v10, 0
	s_delay_alu instid0(VALU_DEP_1) | instskip(NEXT) | instid1(VALU_DEP_1)
	v_mov_b32_e32 v9, v10
	v_add_nc_u64_e32 v[6:7], v[4:5], v[8:9]
	s_delay_alu instid0(VALU_DEP_1)
	v_add_nc_u64_e32 v[4:5], v[10:11], v[6:7]
; %bb.19:
	s_or_b32 exec_lo, exec_lo, s0
	v_mov_b32_dpp v8, v6 row_shr:4 row_mask:0xf bank_mask:0xf
	s_delay_alu instid0(VALU_DEP_2)
	v_mov_b32_dpp v11, v5 row_shr:4 row_mask:0xf bank_mask:0xf
	;; [unrolled: 13-line block ×3, first 2 shown]
	s_and_saveexec_b32 s0, s3
; %bb.22:
	v_mov_b32_e32 v8, 0
	s_delay_alu instid0(VALU_DEP_1) | instskip(NEXT) | instid1(VALU_DEP_1)
	v_mov_b32_e32 v7, v8
	v_add_nc_u64_e32 v[4:5], v[4:5], v[6:7]
	s_delay_alu instid0(VALU_DEP_1)
	v_add_nc_u64_e32 v[4:5], v[4:5], v[8:9]
; %bb.23:
	s_or_b32 exec_lo, exec_lo, s0
	ds_store_b64 v13, v[4:5]
.LBB1198_24:
	s_or_b32 exec_lo, exec_lo, s5
	v_mov_b64_e32 v[4:5], 0
	s_mov_b32 s1, exec_lo
	s_wait_dscnt 0x0
	s_barrier_signal -1
	s_barrier_wait -1
	v_cmpx_lt_u32_e32 31, v0
; %bb.25:
	v_lshl_add_u32 v4, v12, 3, -8
	ds_load_b64 v[4:5], v4
; %bb.26:
	s_or_b32 exec_lo, exec_lo, s1
	v_add_nc_u32_e32 v6, -1, v1
	s_wait_dscnt 0x0
	v_add_nc_u64_e32 v[2:3], v[4:5], v[2:3]
	s_delay_alu instid0(VALU_DEP_2) | instskip(NEXT) | instid1(VALU_DEP_1)
	v_cmp_gt_i32_e64 s0, 0, v6
	v_cndmask_b32_e64 v6, v6, v1, s0
	s_delay_alu instid0(VALU_DEP_1)
	v_lshlrev_b32_e32 v6, 2, v6
	ds_bpermute_b32 v2, v6, v2
	ds_bpermute_b32 v3, v6, v3
	s_and_saveexec_b32 s0, vcc_lo
	s_cbranch_execz .LBB1198_28
; %bb.27:
	v_cmp_eq_u32_e32 vcc_lo, 0, v1
	s_wait_dscnt 0x0
	v_dual_cndmask_b32 v3, v3, v5 :: v_dual_cndmask_b32 v2, v2, v4
	global_store_b64 v0, v[2:3], s[6:7] scale_offset
.LBB1198_28:
	s_endpgm
	.section	.rodata,"a",@progbits
	.p2align	6, 0x0
	.amdhsa_kernel _ZN7rocprim17ROCPRIM_400000_NS6detail17trampoline_kernelINS0_14default_configENS1_35radix_sort_onesweep_config_selectorIlNS0_10empty_typeEEEZNS1_34radix_sort_onesweep_global_offsetsIS3_Lb0EPKlPS5_mNS0_19identity_decomposerEEE10hipError_tT1_T2_PT3_SF_jT4_jjP12ihipStream_tbEUlT_E0_NS1_11comp_targetILNS1_3genE0ELNS1_11target_archE4294967295ELNS1_3gpuE0ELNS1_3repE0EEENS1_52radix_sort_onesweep_histogram_config_static_selectorELNS0_4arch9wavefront6targetE0EEEvSD_
		.amdhsa_group_segment_fixed_size 128
		.amdhsa_private_segment_fixed_size 0
		.amdhsa_kernarg_size 8
		.amdhsa_user_sgpr_count 2
		.amdhsa_user_sgpr_dispatch_ptr 0
		.amdhsa_user_sgpr_queue_ptr 0
		.amdhsa_user_sgpr_kernarg_segment_ptr 1
		.amdhsa_user_sgpr_dispatch_id 0
		.amdhsa_user_sgpr_kernarg_preload_length 0
		.amdhsa_user_sgpr_kernarg_preload_offset 0
		.amdhsa_user_sgpr_private_segment_size 0
		.amdhsa_wavefront_size32 1
		.amdhsa_uses_dynamic_stack 0
		.amdhsa_enable_private_segment 0
		.amdhsa_system_sgpr_workgroup_id_x 1
		.amdhsa_system_sgpr_workgroup_id_y 0
		.amdhsa_system_sgpr_workgroup_id_z 0
		.amdhsa_system_sgpr_workgroup_info 0
		.amdhsa_system_vgpr_workitem_id 0
		.amdhsa_next_free_vgpr 14
		.amdhsa_next_free_sgpr 8
		.amdhsa_named_barrier_count 0
		.amdhsa_reserve_vcc 1
		.amdhsa_float_round_mode_32 0
		.amdhsa_float_round_mode_16_64 0
		.amdhsa_float_denorm_mode_32 3
		.amdhsa_float_denorm_mode_16_64 3
		.amdhsa_fp16_overflow 0
		.amdhsa_memory_ordered 1
		.amdhsa_forward_progress 1
		.amdhsa_inst_pref_size 7
		.amdhsa_round_robin_scheduling 0
		.amdhsa_exception_fp_ieee_invalid_op 0
		.amdhsa_exception_fp_denorm_src 0
		.amdhsa_exception_fp_ieee_div_zero 0
		.amdhsa_exception_fp_ieee_overflow 0
		.amdhsa_exception_fp_ieee_underflow 0
		.amdhsa_exception_fp_ieee_inexact 0
		.amdhsa_exception_int_div_zero 0
	.end_amdhsa_kernel
	.section	.text._ZN7rocprim17ROCPRIM_400000_NS6detail17trampoline_kernelINS0_14default_configENS1_35radix_sort_onesweep_config_selectorIlNS0_10empty_typeEEEZNS1_34radix_sort_onesweep_global_offsetsIS3_Lb0EPKlPS5_mNS0_19identity_decomposerEEE10hipError_tT1_T2_PT3_SF_jT4_jjP12ihipStream_tbEUlT_E0_NS1_11comp_targetILNS1_3genE0ELNS1_11target_archE4294967295ELNS1_3gpuE0ELNS1_3repE0EEENS1_52radix_sort_onesweep_histogram_config_static_selectorELNS0_4arch9wavefront6targetE0EEEvSD_,"axG",@progbits,_ZN7rocprim17ROCPRIM_400000_NS6detail17trampoline_kernelINS0_14default_configENS1_35radix_sort_onesweep_config_selectorIlNS0_10empty_typeEEEZNS1_34radix_sort_onesweep_global_offsetsIS3_Lb0EPKlPS5_mNS0_19identity_decomposerEEE10hipError_tT1_T2_PT3_SF_jT4_jjP12ihipStream_tbEUlT_E0_NS1_11comp_targetILNS1_3genE0ELNS1_11target_archE4294967295ELNS1_3gpuE0ELNS1_3repE0EEENS1_52radix_sort_onesweep_histogram_config_static_selectorELNS0_4arch9wavefront6targetE0EEEvSD_,comdat
.Lfunc_end1198:
	.size	_ZN7rocprim17ROCPRIM_400000_NS6detail17trampoline_kernelINS0_14default_configENS1_35radix_sort_onesweep_config_selectorIlNS0_10empty_typeEEEZNS1_34radix_sort_onesweep_global_offsetsIS3_Lb0EPKlPS5_mNS0_19identity_decomposerEEE10hipError_tT1_T2_PT3_SF_jT4_jjP12ihipStream_tbEUlT_E0_NS1_11comp_targetILNS1_3genE0ELNS1_11target_archE4294967295ELNS1_3gpuE0ELNS1_3repE0EEENS1_52radix_sort_onesweep_histogram_config_static_selectorELNS0_4arch9wavefront6targetE0EEEvSD_, .Lfunc_end1198-_ZN7rocprim17ROCPRIM_400000_NS6detail17trampoline_kernelINS0_14default_configENS1_35radix_sort_onesweep_config_selectorIlNS0_10empty_typeEEEZNS1_34radix_sort_onesweep_global_offsetsIS3_Lb0EPKlPS5_mNS0_19identity_decomposerEEE10hipError_tT1_T2_PT3_SF_jT4_jjP12ihipStream_tbEUlT_E0_NS1_11comp_targetILNS1_3genE0ELNS1_11target_archE4294967295ELNS1_3gpuE0ELNS1_3repE0EEENS1_52radix_sort_onesweep_histogram_config_static_selectorELNS0_4arch9wavefront6targetE0EEEvSD_
                                        ; -- End function
	.set _ZN7rocprim17ROCPRIM_400000_NS6detail17trampoline_kernelINS0_14default_configENS1_35radix_sort_onesweep_config_selectorIlNS0_10empty_typeEEEZNS1_34radix_sort_onesweep_global_offsetsIS3_Lb0EPKlPS5_mNS0_19identity_decomposerEEE10hipError_tT1_T2_PT3_SF_jT4_jjP12ihipStream_tbEUlT_E0_NS1_11comp_targetILNS1_3genE0ELNS1_11target_archE4294967295ELNS1_3gpuE0ELNS1_3repE0EEENS1_52radix_sort_onesweep_histogram_config_static_selectorELNS0_4arch9wavefront6targetE0EEEvSD_.num_vgpr, 14
	.set _ZN7rocprim17ROCPRIM_400000_NS6detail17trampoline_kernelINS0_14default_configENS1_35radix_sort_onesweep_config_selectorIlNS0_10empty_typeEEEZNS1_34radix_sort_onesweep_global_offsetsIS3_Lb0EPKlPS5_mNS0_19identity_decomposerEEE10hipError_tT1_T2_PT3_SF_jT4_jjP12ihipStream_tbEUlT_E0_NS1_11comp_targetILNS1_3genE0ELNS1_11target_archE4294967295ELNS1_3gpuE0ELNS1_3repE0EEENS1_52radix_sort_onesweep_histogram_config_static_selectorELNS0_4arch9wavefront6targetE0EEEvSD_.num_agpr, 0
	.set _ZN7rocprim17ROCPRIM_400000_NS6detail17trampoline_kernelINS0_14default_configENS1_35radix_sort_onesweep_config_selectorIlNS0_10empty_typeEEEZNS1_34radix_sort_onesweep_global_offsetsIS3_Lb0EPKlPS5_mNS0_19identity_decomposerEEE10hipError_tT1_T2_PT3_SF_jT4_jjP12ihipStream_tbEUlT_E0_NS1_11comp_targetILNS1_3genE0ELNS1_11target_archE4294967295ELNS1_3gpuE0ELNS1_3repE0EEENS1_52radix_sort_onesweep_histogram_config_static_selectorELNS0_4arch9wavefront6targetE0EEEvSD_.numbered_sgpr, 8
	.set _ZN7rocprim17ROCPRIM_400000_NS6detail17trampoline_kernelINS0_14default_configENS1_35radix_sort_onesweep_config_selectorIlNS0_10empty_typeEEEZNS1_34radix_sort_onesweep_global_offsetsIS3_Lb0EPKlPS5_mNS0_19identity_decomposerEEE10hipError_tT1_T2_PT3_SF_jT4_jjP12ihipStream_tbEUlT_E0_NS1_11comp_targetILNS1_3genE0ELNS1_11target_archE4294967295ELNS1_3gpuE0ELNS1_3repE0EEENS1_52radix_sort_onesweep_histogram_config_static_selectorELNS0_4arch9wavefront6targetE0EEEvSD_.num_named_barrier, 0
	.set _ZN7rocprim17ROCPRIM_400000_NS6detail17trampoline_kernelINS0_14default_configENS1_35radix_sort_onesweep_config_selectorIlNS0_10empty_typeEEEZNS1_34radix_sort_onesweep_global_offsetsIS3_Lb0EPKlPS5_mNS0_19identity_decomposerEEE10hipError_tT1_T2_PT3_SF_jT4_jjP12ihipStream_tbEUlT_E0_NS1_11comp_targetILNS1_3genE0ELNS1_11target_archE4294967295ELNS1_3gpuE0ELNS1_3repE0EEENS1_52radix_sort_onesweep_histogram_config_static_selectorELNS0_4arch9wavefront6targetE0EEEvSD_.private_seg_size, 0
	.set _ZN7rocprim17ROCPRIM_400000_NS6detail17trampoline_kernelINS0_14default_configENS1_35radix_sort_onesweep_config_selectorIlNS0_10empty_typeEEEZNS1_34radix_sort_onesweep_global_offsetsIS3_Lb0EPKlPS5_mNS0_19identity_decomposerEEE10hipError_tT1_T2_PT3_SF_jT4_jjP12ihipStream_tbEUlT_E0_NS1_11comp_targetILNS1_3genE0ELNS1_11target_archE4294967295ELNS1_3gpuE0ELNS1_3repE0EEENS1_52radix_sort_onesweep_histogram_config_static_selectorELNS0_4arch9wavefront6targetE0EEEvSD_.uses_vcc, 1
	.set _ZN7rocprim17ROCPRIM_400000_NS6detail17trampoline_kernelINS0_14default_configENS1_35radix_sort_onesweep_config_selectorIlNS0_10empty_typeEEEZNS1_34radix_sort_onesweep_global_offsetsIS3_Lb0EPKlPS5_mNS0_19identity_decomposerEEE10hipError_tT1_T2_PT3_SF_jT4_jjP12ihipStream_tbEUlT_E0_NS1_11comp_targetILNS1_3genE0ELNS1_11target_archE4294967295ELNS1_3gpuE0ELNS1_3repE0EEENS1_52radix_sort_onesweep_histogram_config_static_selectorELNS0_4arch9wavefront6targetE0EEEvSD_.uses_flat_scratch, 0
	.set _ZN7rocprim17ROCPRIM_400000_NS6detail17trampoline_kernelINS0_14default_configENS1_35radix_sort_onesweep_config_selectorIlNS0_10empty_typeEEEZNS1_34radix_sort_onesweep_global_offsetsIS3_Lb0EPKlPS5_mNS0_19identity_decomposerEEE10hipError_tT1_T2_PT3_SF_jT4_jjP12ihipStream_tbEUlT_E0_NS1_11comp_targetILNS1_3genE0ELNS1_11target_archE4294967295ELNS1_3gpuE0ELNS1_3repE0EEENS1_52radix_sort_onesweep_histogram_config_static_selectorELNS0_4arch9wavefront6targetE0EEEvSD_.has_dyn_sized_stack, 0
	.set _ZN7rocprim17ROCPRIM_400000_NS6detail17trampoline_kernelINS0_14default_configENS1_35radix_sort_onesweep_config_selectorIlNS0_10empty_typeEEEZNS1_34radix_sort_onesweep_global_offsetsIS3_Lb0EPKlPS5_mNS0_19identity_decomposerEEE10hipError_tT1_T2_PT3_SF_jT4_jjP12ihipStream_tbEUlT_E0_NS1_11comp_targetILNS1_3genE0ELNS1_11target_archE4294967295ELNS1_3gpuE0ELNS1_3repE0EEENS1_52radix_sort_onesweep_histogram_config_static_selectorELNS0_4arch9wavefront6targetE0EEEvSD_.has_recursion, 0
	.set _ZN7rocprim17ROCPRIM_400000_NS6detail17trampoline_kernelINS0_14default_configENS1_35radix_sort_onesweep_config_selectorIlNS0_10empty_typeEEEZNS1_34radix_sort_onesweep_global_offsetsIS3_Lb0EPKlPS5_mNS0_19identity_decomposerEEE10hipError_tT1_T2_PT3_SF_jT4_jjP12ihipStream_tbEUlT_E0_NS1_11comp_targetILNS1_3genE0ELNS1_11target_archE4294967295ELNS1_3gpuE0ELNS1_3repE0EEENS1_52radix_sort_onesweep_histogram_config_static_selectorELNS0_4arch9wavefront6targetE0EEEvSD_.has_indirect_call, 0
	.section	.AMDGPU.csdata,"",@progbits
; Kernel info:
; codeLenInByte = 896
; TotalNumSgprs: 10
; NumVgprs: 14
; ScratchSize: 0
; MemoryBound: 0
; FloatMode: 240
; IeeeMode: 1
; LDSByteSize: 128 bytes/workgroup (compile time only)
; SGPRBlocks: 0
; VGPRBlocks: 0
; NumSGPRsForWavesPerEU: 10
; NumVGPRsForWavesPerEU: 14
; NamedBarCnt: 0
; Occupancy: 16
; WaveLimiterHint : 0
; COMPUTE_PGM_RSRC2:SCRATCH_EN: 0
; COMPUTE_PGM_RSRC2:USER_SGPR: 2
; COMPUTE_PGM_RSRC2:TRAP_HANDLER: 0
; COMPUTE_PGM_RSRC2:TGID_X_EN: 1
; COMPUTE_PGM_RSRC2:TGID_Y_EN: 0
; COMPUTE_PGM_RSRC2:TGID_Z_EN: 0
; COMPUTE_PGM_RSRC2:TIDIG_COMP_CNT: 0
	.section	.text._ZN7rocprim17ROCPRIM_400000_NS6detail17trampoline_kernelINS0_14default_configENS1_35radix_sort_onesweep_config_selectorIlNS0_10empty_typeEEEZNS1_34radix_sort_onesweep_global_offsetsIS3_Lb0EPKlPS5_mNS0_19identity_decomposerEEE10hipError_tT1_T2_PT3_SF_jT4_jjP12ihipStream_tbEUlT_E0_NS1_11comp_targetILNS1_3genE6ELNS1_11target_archE950ELNS1_3gpuE13ELNS1_3repE0EEENS1_52radix_sort_onesweep_histogram_config_static_selectorELNS0_4arch9wavefront6targetE0EEEvSD_,"axG",@progbits,_ZN7rocprim17ROCPRIM_400000_NS6detail17trampoline_kernelINS0_14default_configENS1_35radix_sort_onesweep_config_selectorIlNS0_10empty_typeEEEZNS1_34radix_sort_onesweep_global_offsetsIS3_Lb0EPKlPS5_mNS0_19identity_decomposerEEE10hipError_tT1_T2_PT3_SF_jT4_jjP12ihipStream_tbEUlT_E0_NS1_11comp_targetILNS1_3genE6ELNS1_11target_archE950ELNS1_3gpuE13ELNS1_3repE0EEENS1_52radix_sort_onesweep_histogram_config_static_selectorELNS0_4arch9wavefront6targetE0EEEvSD_,comdat
	.protected	_ZN7rocprim17ROCPRIM_400000_NS6detail17trampoline_kernelINS0_14default_configENS1_35radix_sort_onesweep_config_selectorIlNS0_10empty_typeEEEZNS1_34radix_sort_onesweep_global_offsetsIS3_Lb0EPKlPS5_mNS0_19identity_decomposerEEE10hipError_tT1_T2_PT3_SF_jT4_jjP12ihipStream_tbEUlT_E0_NS1_11comp_targetILNS1_3genE6ELNS1_11target_archE950ELNS1_3gpuE13ELNS1_3repE0EEENS1_52radix_sort_onesweep_histogram_config_static_selectorELNS0_4arch9wavefront6targetE0EEEvSD_ ; -- Begin function _ZN7rocprim17ROCPRIM_400000_NS6detail17trampoline_kernelINS0_14default_configENS1_35radix_sort_onesweep_config_selectorIlNS0_10empty_typeEEEZNS1_34radix_sort_onesweep_global_offsetsIS3_Lb0EPKlPS5_mNS0_19identity_decomposerEEE10hipError_tT1_T2_PT3_SF_jT4_jjP12ihipStream_tbEUlT_E0_NS1_11comp_targetILNS1_3genE6ELNS1_11target_archE950ELNS1_3gpuE13ELNS1_3repE0EEENS1_52radix_sort_onesweep_histogram_config_static_selectorELNS0_4arch9wavefront6targetE0EEEvSD_
	.globl	_ZN7rocprim17ROCPRIM_400000_NS6detail17trampoline_kernelINS0_14default_configENS1_35radix_sort_onesweep_config_selectorIlNS0_10empty_typeEEEZNS1_34radix_sort_onesweep_global_offsetsIS3_Lb0EPKlPS5_mNS0_19identity_decomposerEEE10hipError_tT1_T2_PT3_SF_jT4_jjP12ihipStream_tbEUlT_E0_NS1_11comp_targetILNS1_3genE6ELNS1_11target_archE950ELNS1_3gpuE13ELNS1_3repE0EEENS1_52radix_sort_onesweep_histogram_config_static_selectorELNS0_4arch9wavefront6targetE0EEEvSD_
	.p2align	8
	.type	_ZN7rocprim17ROCPRIM_400000_NS6detail17trampoline_kernelINS0_14default_configENS1_35radix_sort_onesweep_config_selectorIlNS0_10empty_typeEEEZNS1_34radix_sort_onesweep_global_offsetsIS3_Lb0EPKlPS5_mNS0_19identity_decomposerEEE10hipError_tT1_T2_PT3_SF_jT4_jjP12ihipStream_tbEUlT_E0_NS1_11comp_targetILNS1_3genE6ELNS1_11target_archE950ELNS1_3gpuE13ELNS1_3repE0EEENS1_52radix_sort_onesweep_histogram_config_static_selectorELNS0_4arch9wavefront6targetE0EEEvSD_,@function
_ZN7rocprim17ROCPRIM_400000_NS6detail17trampoline_kernelINS0_14default_configENS1_35radix_sort_onesweep_config_selectorIlNS0_10empty_typeEEEZNS1_34radix_sort_onesweep_global_offsetsIS3_Lb0EPKlPS5_mNS0_19identity_decomposerEEE10hipError_tT1_T2_PT3_SF_jT4_jjP12ihipStream_tbEUlT_E0_NS1_11comp_targetILNS1_3genE6ELNS1_11target_archE950ELNS1_3gpuE13ELNS1_3repE0EEENS1_52radix_sort_onesweep_histogram_config_static_selectorELNS0_4arch9wavefront6targetE0EEEvSD_: ; @_ZN7rocprim17ROCPRIM_400000_NS6detail17trampoline_kernelINS0_14default_configENS1_35radix_sort_onesweep_config_selectorIlNS0_10empty_typeEEEZNS1_34radix_sort_onesweep_global_offsetsIS3_Lb0EPKlPS5_mNS0_19identity_decomposerEEE10hipError_tT1_T2_PT3_SF_jT4_jjP12ihipStream_tbEUlT_E0_NS1_11comp_targetILNS1_3genE6ELNS1_11target_archE950ELNS1_3gpuE13ELNS1_3repE0EEENS1_52radix_sort_onesweep_histogram_config_static_selectorELNS0_4arch9wavefront6targetE0EEEvSD_
; %bb.0:
	.section	.rodata,"a",@progbits
	.p2align	6, 0x0
	.amdhsa_kernel _ZN7rocprim17ROCPRIM_400000_NS6detail17trampoline_kernelINS0_14default_configENS1_35radix_sort_onesweep_config_selectorIlNS0_10empty_typeEEEZNS1_34radix_sort_onesweep_global_offsetsIS3_Lb0EPKlPS5_mNS0_19identity_decomposerEEE10hipError_tT1_T2_PT3_SF_jT4_jjP12ihipStream_tbEUlT_E0_NS1_11comp_targetILNS1_3genE6ELNS1_11target_archE950ELNS1_3gpuE13ELNS1_3repE0EEENS1_52radix_sort_onesweep_histogram_config_static_selectorELNS0_4arch9wavefront6targetE0EEEvSD_
		.amdhsa_group_segment_fixed_size 0
		.amdhsa_private_segment_fixed_size 0
		.amdhsa_kernarg_size 8
		.amdhsa_user_sgpr_count 2
		.amdhsa_user_sgpr_dispatch_ptr 0
		.amdhsa_user_sgpr_queue_ptr 0
		.amdhsa_user_sgpr_kernarg_segment_ptr 1
		.amdhsa_user_sgpr_dispatch_id 0
		.amdhsa_user_sgpr_kernarg_preload_length 0
		.amdhsa_user_sgpr_kernarg_preload_offset 0
		.amdhsa_user_sgpr_private_segment_size 0
		.amdhsa_wavefront_size32 1
		.amdhsa_uses_dynamic_stack 0
		.amdhsa_enable_private_segment 0
		.amdhsa_system_sgpr_workgroup_id_x 1
		.amdhsa_system_sgpr_workgroup_id_y 0
		.amdhsa_system_sgpr_workgroup_id_z 0
		.amdhsa_system_sgpr_workgroup_info 0
		.amdhsa_system_vgpr_workitem_id 0
		.amdhsa_next_free_vgpr 1
		.amdhsa_next_free_sgpr 1
		.amdhsa_named_barrier_count 0
		.amdhsa_reserve_vcc 0
		.amdhsa_float_round_mode_32 0
		.amdhsa_float_round_mode_16_64 0
		.amdhsa_float_denorm_mode_32 3
		.amdhsa_float_denorm_mode_16_64 3
		.amdhsa_fp16_overflow 0
		.amdhsa_memory_ordered 1
		.amdhsa_forward_progress 1
		.amdhsa_inst_pref_size 0
		.amdhsa_round_robin_scheduling 0
		.amdhsa_exception_fp_ieee_invalid_op 0
		.amdhsa_exception_fp_denorm_src 0
		.amdhsa_exception_fp_ieee_div_zero 0
		.amdhsa_exception_fp_ieee_overflow 0
		.amdhsa_exception_fp_ieee_underflow 0
		.amdhsa_exception_fp_ieee_inexact 0
		.amdhsa_exception_int_div_zero 0
	.end_amdhsa_kernel
	.section	.text._ZN7rocprim17ROCPRIM_400000_NS6detail17trampoline_kernelINS0_14default_configENS1_35radix_sort_onesweep_config_selectorIlNS0_10empty_typeEEEZNS1_34radix_sort_onesweep_global_offsetsIS3_Lb0EPKlPS5_mNS0_19identity_decomposerEEE10hipError_tT1_T2_PT3_SF_jT4_jjP12ihipStream_tbEUlT_E0_NS1_11comp_targetILNS1_3genE6ELNS1_11target_archE950ELNS1_3gpuE13ELNS1_3repE0EEENS1_52radix_sort_onesweep_histogram_config_static_selectorELNS0_4arch9wavefront6targetE0EEEvSD_,"axG",@progbits,_ZN7rocprim17ROCPRIM_400000_NS6detail17trampoline_kernelINS0_14default_configENS1_35radix_sort_onesweep_config_selectorIlNS0_10empty_typeEEEZNS1_34radix_sort_onesweep_global_offsetsIS3_Lb0EPKlPS5_mNS0_19identity_decomposerEEE10hipError_tT1_T2_PT3_SF_jT4_jjP12ihipStream_tbEUlT_E0_NS1_11comp_targetILNS1_3genE6ELNS1_11target_archE950ELNS1_3gpuE13ELNS1_3repE0EEENS1_52radix_sort_onesweep_histogram_config_static_selectorELNS0_4arch9wavefront6targetE0EEEvSD_,comdat
.Lfunc_end1199:
	.size	_ZN7rocprim17ROCPRIM_400000_NS6detail17trampoline_kernelINS0_14default_configENS1_35radix_sort_onesweep_config_selectorIlNS0_10empty_typeEEEZNS1_34radix_sort_onesweep_global_offsetsIS3_Lb0EPKlPS5_mNS0_19identity_decomposerEEE10hipError_tT1_T2_PT3_SF_jT4_jjP12ihipStream_tbEUlT_E0_NS1_11comp_targetILNS1_3genE6ELNS1_11target_archE950ELNS1_3gpuE13ELNS1_3repE0EEENS1_52radix_sort_onesweep_histogram_config_static_selectorELNS0_4arch9wavefront6targetE0EEEvSD_, .Lfunc_end1199-_ZN7rocprim17ROCPRIM_400000_NS6detail17trampoline_kernelINS0_14default_configENS1_35radix_sort_onesweep_config_selectorIlNS0_10empty_typeEEEZNS1_34radix_sort_onesweep_global_offsetsIS3_Lb0EPKlPS5_mNS0_19identity_decomposerEEE10hipError_tT1_T2_PT3_SF_jT4_jjP12ihipStream_tbEUlT_E0_NS1_11comp_targetILNS1_3genE6ELNS1_11target_archE950ELNS1_3gpuE13ELNS1_3repE0EEENS1_52radix_sort_onesweep_histogram_config_static_selectorELNS0_4arch9wavefront6targetE0EEEvSD_
                                        ; -- End function
	.set _ZN7rocprim17ROCPRIM_400000_NS6detail17trampoline_kernelINS0_14default_configENS1_35radix_sort_onesweep_config_selectorIlNS0_10empty_typeEEEZNS1_34radix_sort_onesweep_global_offsetsIS3_Lb0EPKlPS5_mNS0_19identity_decomposerEEE10hipError_tT1_T2_PT3_SF_jT4_jjP12ihipStream_tbEUlT_E0_NS1_11comp_targetILNS1_3genE6ELNS1_11target_archE950ELNS1_3gpuE13ELNS1_3repE0EEENS1_52radix_sort_onesweep_histogram_config_static_selectorELNS0_4arch9wavefront6targetE0EEEvSD_.num_vgpr, 0
	.set _ZN7rocprim17ROCPRIM_400000_NS6detail17trampoline_kernelINS0_14default_configENS1_35radix_sort_onesweep_config_selectorIlNS0_10empty_typeEEEZNS1_34radix_sort_onesweep_global_offsetsIS3_Lb0EPKlPS5_mNS0_19identity_decomposerEEE10hipError_tT1_T2_PT3_SF_jT4_jjP12ihipStream_tbEUlT_E0_NS1_11comp_targetILNS1_3genE6ELNS1_11target_archE950ELNS1_3gpuE13ELNS1_3repE0EEENS1_52radix_sort_onesweep_histogram_config_static_selectorELNS0_4arch9wavefront6targetE0EEEvSD_.num_agpr, 0
	.set _ZN7rocprim17ROCPRIM_400000_NS6detail17trampoline_kernelINS0_14default_configENS1_35radix_sort_onesweep_config_selectorIlNS0_10empty_typeEEEZNS1_34radix_sort_onesweep_global_offsetsIS3_Lb0EPKlPS5_mNS0_19identity_decomposerEEE10hipError_tT1_T2_PT3_SF_jT4_jjP12ihipStream_tbEUlT_E0_NS1_11comp_targetILNS1_3genE6ELNS1_11target_archE950ELNS1_3gpuE13ELNS1_3repE0EEENS1_52radix_sort_onesweep_histogram_config_static_selectorELNS0_4arch9wavefront6targetE0EEEvSD_.numbered_sgpr, 0
	.set _ZN7rocprim17ROCPRIM_400000_NS6detail17trampoline_kernelINS0_14default_configENS1_35radix_sort_onesweep_config_selectorIlNS0_10empty_typeEEEZNS1_34radix_sort_onesweep_global_offsetsIS3_Lb0EPKlPS5_mNS0_19identity_decomposerEEE10hipError_tT1_T2_PT3_SF_jT4_jjP12ihipStream_tbEUlT_E0_NS1_11comp_targetILNS1_3genE6ELNS1_11target_archE950ELNS1_3gpuE13ELNS1_3repE0EEENS1_52radix_sort_onesweep_histogram_config_static_selectorELNS0_4arch9wavefront6targetE0EEEvSD_.num_named_barrier, 0
	.set _ZN7rocprim17ROCPRIM_400000_NS6detail17trampoline_kernelINS0_14default_configENS1_35radix_sort_onesweep_config_selectorIlNS0_10empty_typeEEEZNS1_34radix_sort_onesweep_global_offsetsIS3_Lb0EPKlPS5_mNS0_19identity_decomposerEEE10hipError_tT1_T2_PT3_SF_jT4_jjP12ihipStream_tbEUlT_E0_NS1_11comp_targetILNS1_3genE6ELNS1_11target_archE950ELNS1_3gpuE13ELNS1_3repE0EEENS1_52radix_sort_onesweep_histogram_config_static_selectorELNS0_4arch9wavefront6targetE0EEEvSD_.private_seg_size, 0
	.set _ZN7rocprim17ROCPRIM_400000_NS6detail17trampoline_kernelINS0_14default_configENS1_35radix_sort_onesweep_config_selectorIlNS0_10empty_typeEEEZNS1_34radix_sort_onesweep_global_offsetsIS3_Lb0EPKlPS5_mNS0_19identity_decomposerEEE10hipError_tT1_T2_PT3_SF_jT4_jjP12ihipStream_tbEUlT_E0_NS1_11comp_targetILNS1_3genE6ELNS1_11target_archE950ELNS1_3gpuE13ELNS1_3repE0EEENS1_52radix_sort_onesweep_histogram_config_static_selectorELNS0_4arch9wavefront6targetE0EEEvSD_.uses_vcc, 0
	.set _ZN7rocprim17ROCPRIM_400000_NS6detail17trampoline_kernelINS0_14default_configENS1_35radix_sort_onesweep_config_selectorIlNS0_10empty_typeEEEZNS1_34radix_sort_onesweep_global_offsetsIS3_Lb0EPKlPS5_mNS0_19identity_decomposerEEE10hipError_tT1_T2_PT3_SF_jT4_jjP12ihipStream_tbEUlT_E0_NS1_11comp_targetILNS1_3genE6ELNS1_11target_archE950ELNS1_3gpuE13ELNS1_3repE0EEENS1_52radix_sort_onesweep_histogram_config_static_selectorELNS0_4arch9wavefront6targetE0EEEvSD_.uses_flat_scratch, 0
	.set _ZN7rocprim17ROCPRIM_400000_NS6detail17trampoline_kernelINS0_14default_configENS1_35radix_sort_onesweep_config_selectorIlNS0_10empty_typeEEEZNS1_34radix_sort_onesweep_global_offsetsIS3_Lb0EPKlPS5_mNS0_19identity_decomposerEEE10hipError_tT1_T2_PT3_SF_jT4_jjP12ihipStream_tbEUlT_E0_NS1_11comp_targetILNS1_3genE6ELNS1_11target_archE950ELNS1_3gpuE13ELNS1_3repE0EEENS1_52radix_sort_onesweep_histogram_config_static_selectorELNS0_4arch9wavefront6targetE0EEEvSD_.has_dyn_sized_stack, 0
	.set _ZN7rocprim17ROCPRIM_400000_NS6detail17trampoline_kernelINS0_14default_configENS1_35radix_sort_onesweep_config_selectorIlNS0_10empty_typeEEEZNS1_34radix_sort_onesweep_global_offsetsIS3_Lb0EPKlPS5_mNS0_19identity_decomposerEEE10hipError_tT1_T2_PT3_SF_jT4_jjP12ihipStream_tbEUlT_E0_NS1_11comp_targetILNS1_3genE6ELNS1_11target_archE950ELNS1_3gpuE13ELNS1_3repE0EEENS1_52radix_sort_onesweep_histogram_config_static_selectorELNS0_4arch9wavefront6targetE0EEEvSD_.has_recursion, 0
	.set _ZN7rocprim17ROCPRIM_400000_NS6detail17trampoline_kernelINS0_14default_configENS1_35radix_sort_onesweep_config_selectorIlNS0_10empty_typeEEEZNS1_34radix_sort_onesweep_global_offsetsIS3_Lb0EPKlPS5_mNS0_19identity_decomposerEEE10hipError_tT1_T2_PT3_SF_jT4_jjP12ihipStream_tbEUlT_E0_NS1_11comp_targetILNS1_3genE6ELNS1_11target_archE950ELNS1_3gpuE13ELNS1_3repE0EEENS1_52radix_sort_onesweep_histogram_config_static_selectorELNS0_4arch9wavefront6targetE0EEEvSD_.has_indirect_call, 0
	.section	.AMDGPU.csdata,"",@progbits
; Kernel info:
; codeLenInByte = 0
; TotalNumSgprs: 0
; NumVgprs: 0
; ScratchSize: 0
; MemoryBound: 0
; FloatMode: 240
; IeeeMode: 1
; LDSByteSize: 0 bytes/workgroup (compile time only)
; SGPRBlocks: 0
; VGPRBlocks: 0
; NumSGPRsForWavesPerEU: 1
; NumVGPRsForWavesPerEU: 1
; NamedBarCnt: 0
; Occupancy: 16
; WaveLimiterHint : 0
; COMPUTE_PGM_RSRC2:SCRATCH_EN: 0
; COMPUTE_PGM_RSRC2:USER_SGPR: 2
; COMPUTE_PGM_RSRC2:TRAP_HANDLER: 0
; COMPUTE_PGM_RSRC2:TGID_X_EN: 1
; COMPUTE_PGM_RSRC2:TGID_Y_EN: 0
; COMPUTE_PGM_RSRC2:TGID_Z_EN: 0
; COMPUTE_PGM_RSRC2:TIDIG_COMP_CNT: 0
	.section	.text._ZN7rocprim17ROCPRIM_400000_NS6detail17trampoline_kernelINS0_14default_configENS1_35radix_sort_onesweep_config_selectorIlNS0_10empty_typeEEEZNS1_34radix_sort_onesweep_global_offsetsIS3_Lb0EPKlPS5_mNS0_19identity_decomposerEEE10hipError_tT1_T2_PT3_SF_jT4_jjP12ihipStream_tbEUlT_E0_NS1_11comp_targetILNS1_3genE5ELNS1_11target_archE942ELNS1_3gpuE9ELNS1_3repE0EEENS1_52radix_sort_onesweep_histogram_config_static_selectorELNS0_4arch9wavefront6targetE0EEEvSD_,"axG",@progbits,_ZN7rocprim17ROCPRIM_400000_NS6detail17trampoline_kernelINS0_14default_configENS1_35radix_sort_onesweep_config_selectorIlNS0_10empty_typeEEEZNS1_34radix_sort_onesweep_global_offsetsIS3_Lb0EPKlPS5_mNS0_19identity_decomposerEEE10hipError_tT1_T2_PT3_SF_jT4_jjP12ihipStream_tbEUlT_E0_NS1_11comp_targetILNS1_3genE5ELNS1_11target_archE942ELNS1_3gpuE9ELNS1_3repE0EEENS1_52radix_sort_onesweep_histogram_config_static_selectorELNS0_4arch9wavefront6targetE0EEEvSD_,comdat
	.protected	_ZN7rocprim17ROCPRIM_400000_NS6detail17trampoline_kernelINS0_14default_configENS1_35radix_sort_onesweep_config_selectorIlNS0_10empty_typeEEEZNS1_34radix_sort_onesweep_global_offsetsIS3_Lb0EPKlPS5_mNS0_19identity_decomposerEEE10hipError_tT1_T2_PT3_SF_jT4_jjP12ihipStream_tbEUlT_E0_NS1_11comp_targetILNS1_3genE5ELNS1_11target_archE942ELNS1_3gpuE9ELNS1_3repE0EEENS1_52radix_sort_onesweep_histogram_config_static_selectorELNS0_4arch9wavefront6targetE0EEEvSD_ ; -- Begin function _ZN7rocprim17ROCPRIM_400000_NS6detail17trampoline_kernelINS0_14default_configENS1_35radix_sort_onesweep_config_selectorIlNS0_10empty_typeEEEZNS1_34radix_sort_onesweep_global_offsetsIS3_Lb0EPKlPS5_mNS0_19identity_decomposerEEE10hipError_tT1_T2_PT3_SF_jT4_jjP12ihipStream_tbEUlT_E0_NS1_11comp_targetILNS1_3genE5ELNS1_11target_archE942ELNS1_3gpuE9ELNS1_3repE0EEENS1_52radix_sort_onesweep_histogram_config_static_selectorELNS0_4arch9wavefront6targetE0EEEvSD_
	.globl	_ZN7rocprim17ROCPRIM_400000_NS6detail17trampoline_kernelINS0_14default_configENS1_35radix_sort_onesweep_config_selectorIlNS0_10empty_typeEEEZNS1_34radix_sort_onesweep_global_offsetsIS3_Lb0EPKlPS5_mNS0_19identity_decomposerEEE10hipError_tT1_T2_PT3_SF_jT4_jjP12ihipStream_tbEUlT_E0_NS1_11comp_targetILNS1_3genE5ELNS1_11target_archE942ELNS1_3gpuE9ELNS1_3repE0EEENS1_52radix_sort_onesweep_histogram_config_static_selectorELNS0_4arch9wavefront6targetE0EEEvSD_
	.p2align	8
	.type	_ZN7rocprim17ROCPRIM_400000_NS6detail17trampoline_kernelINS0_14default_configENS1_35radix_sort_onesweep_config_selectorIlNS0_10empty_typeEEEZNS1_34radix_sort_onesweep_global_offsetsIS3_Lb0EPKlPS5_mNS0_19identity_decomposerEEE10hipError_tT1_T2_PT3_SF_jT4_jjP12ihipStream_tbEUlT_E0_NS1_11comp_targetILNS1_3genE5ELNS1_11target_archE942ELNS1_3gpuE9ELNS1_3repE0EEENS1_52radix_sort_onesweep_histogram_config_static_selectorELNS0_4arch9wavefront6targetE0EEEvSD_,@function
_ZN7rocprim17ROCPRIM_400000_NS6detail17trampoline_kernelINS0_14default_configENS1_35radix_sort_onesweep_config_selectorIlNS0_10empty_typeEEEZNS1_34radix_sort_onesweep_global_offsetsIS3_Lb0EPKlPS5_mNS0_19identity_decomposerEEE10hipError_tT1_T2_PT3_SF_jT4_jjP12ihipStream_tbEUlT_E0_NS1_11comp_targetILNS1_3genE5ELNS1_11target_archE942ELNS1_3gpuE9ELNS1_3repE0EEENS1_52radix_sort_onesweep_histogram_config_static_selectorELNS0_4arch9wavefront6targetE0EEEvSD_: ; @_ZN7rocprim17ROCPRIM_400000_NS6detail17trampoline_kernelINS0_14default_configENS1_35radix_sort_onesweep_config_selectorIlNS0_10empty_typeEEEZNS1_34radix_sort_onesweep_global_offsetsIS3_Lb0EPKlPS5_mNS0_19identity_decomposerEEE10hipError_tT1_T2_PT3_SF_jT4_jjP12ihipStream_tbEUlT_E0_NS1_11comp_targetILNS1_3genE5ELNS1_11target_archE942ELNS1_3gpuE9ELNS1_3repE0EEENS1_52radix_sort_onesweep_histogram_config_static_selectorELNS0_4arch9wavefront6targetE0EEEvSD_
; %bb.0:
	.section	.rodata,"a",@progbits
	.p2align	6, 0x0
	.amdhsa_kernel _ZN7rocprim17ROCPRIM_400000_NS6detail17trampoline_kernelINS0_14default_configENS1_35radix_sort_onesweep_config_selectorIlNS0_10empty_typeEEEZNS1_34radix_sort_onesweep_global_offsetsIS3_Lb0EPKlPS5_mNS0_19identity_decomposerEEE10hipError_tT1_T2_PT3_SF_jT4_jjP12ihipStream_tbEUlT_E0_NS1_11comp_targetILNS1_3genE5ELNS1_11target_archE942ELNS1_3gpuE9ELNS1_3repE0EEENS1_52radix_sort_onesweep_histogram_config_static_selectorELNS0_4arch9wavefront6targetE0EEEvSD_
		.amdhsa_group_segment_fixed_size 0
		.amdhsa_private_segment_fixed_size 0
		.amdhsa_kernarg_size 8
		.amdhsa_user_sgpr_count 2
		.amdhsa_user_sgpr_dispatch_ptr 0
		.amdhsa_user_sgpr_queue_ptr 0
		.amdhsa_user_sgpr_kernarg_segment_ptr 1
		.amdhsa_user_sgpr_dispatch_id 0
		.amdhsa_user_sgpr_kernarg_preload_length 0
		.amdhsa_user_sgpr_kernarg_preload_offset 0
		.amdhsa_user_sgpr_private_segment_size 0
		.amdhsa_wavefront_size32 1
		.amdhsa_uses_dynamic_stack 0
		.amdhsa_enable_private_segment 0
		.amdhsa_system_sgpr_workgroup_id_x 1
		.amdhsa_system_sgpr_workgroup_id_y 0
		.amdhsa_system_sgpr_workgroup_id_z 0
		.amdhsa_system_sgpr_workgroup_info 0
		.amdhsa_system_vgpr_workitem_id 0
		.amdhsa_next_free_vgpr 1
		.amdhsa_next_free_sgpr 1
		.amdhsa_named_barrier_count 0
		.amdhsa_reserve_vcc 0
		.amdhsa_float_round_mode_32 0
		.amdhsa_float_round_mode_16_64 0
		.amdhsa_float_denorm_mode_32 3
		.amdhsa_float_denorm_mode_16_64 3
		.amdhsa_fp16_overflow 0
		.amdhsa_memory_ordered 1
		.amdhsa_forward_progress 1
		.amdhsa_inst_pref_size 0
		.amdhsa_round_robin_scheduling 0
		.amdhsa_exception_fp_ieee_invalid_op 0
		.amdhsa_exception_fp_denorm_src 0
		.amdhsa_exception_fp_ieee_div_zero 0
		.amdhsa_exception_fp_ieee_overflow 0
		.amdhsa_exception_fp_ieee_underflow 0
		.amdhsa_exception_fp_ieee_inexact 0
		.amdhsa_exception_int_div_zero 0
	.end_amdhsa_kernel
	.section	.text._ZN7rocprim17ROCPRIM_400000_NS6detail17trampoline_kernelINS0_14default_configENS1_35radix_sort_onesweep_config_selectorIlNS0_10empty_typeEEEZNS1_34radix_sort_onesweep_global_offsetsIS3_Lb0EPKlPS5_mNS0_19identity_decomposerEEE10hipError_tT1_T2_PT3_SF_jT4_jjP12ihipStream_tbEUlT_E0_NS1_11comp_targetILNS1_3genE5ELNS1_11target_archE942ELNS1_3gpuE9ELNS1_3repE0EEENS1_52radix_sort_onesweep_histogram_config_static_selectorELNS0_4arch9wavefront6targetE0EEEvSD_,"axG",@progbits,_ZN7rocprim17ROCPRIM_400000_NS6detail17trampoline_kernelINS0_14default_configENS1_35radix_sort_onesweep_config_selectorIlNS0_10empty_typeEEEZNS1_34radix_sort_onesweep_global_offsetsIS3_Lb0EPKlPS5_mNS0_19identity_decomposerEEE10hipError_tT1_T2_PT3_SF_jT4_jjP12ihipStream_tbEUlT_E0_NS1_11comp_targetILNS1_3genE5ELNS1_11target_archE942ELNS1_3gpuE9ELNS1_3repE0EEENS1_52radix_sort_onesweep_histogram_config_static_selectorELNS0_4arch9wavefront6targetE0EEEvSD_,comdat
.Lfunc_end1200:
	.size	_ZN7rocprim17ROCPRIM_400000_NS6detail17trampoline_kernelINS0_14default_configENS1_35radix_sort_onesweep_config_selectorIlNS0_10empty_typeEEEZNS1_34radix_sort_onesweep_global_offsetsIS3_Lb0EPKlPS5_mNS0_19identity_decomposerEEE10hipError_tT1_T2_PT3_SF_jT4_jjP12ihipStream_tbEUlT_E0_NS1_11comp_targetILNS1_3genE5ELNS1_11target_archE942ELNS1_3gpuE9ELNS1_3repE0EEENS1_52radix_sort_onesweep_histogram_config_static_selectorELNS0_4arch9wavefront6targetE0EEEvSD_, .Lfunc_end1200-_ZN7rocprim17ROCPRIM_400000_NS6detail17trampoline_kernelINS0_14default_configENS1_35radix_sort_onesweep_config_selectorIlNS0_10empty_typeEEEZNS1_34radix_sort_onesweep_global_offsetsIS3_Lb0EPKlPS5_mNS0_19identity_decomposerEEE10hipError_tT1_T2_PT3_SF_jT4_jjP12ihipStream_tbEUlT_E0_NS1_11comp_targetILNS1_3genE5ELNS1_11target_archE942ELNS1_3gpuE9ELNS1_3repE0EEENS1_52radix_sort_onesweep_histogram_config_static_selectorELNS0_4arch9wavefront6targetE0EEEvSD_
                                        ; -- End function
	.set _ZN7rocprim17ROCPRIM_400000_NS6detail17trampoline_kernelINS0_14default_configENS1_35radix_sort_onesweep_config_selectorIlNS0_10empty_typeEEEZNS1_34radix_sort_onesweep_global_offsetsIS3_Lb0EPKlPS5_mNS0_19identity_decomposerEEE10hipError_tT1_T2_PT3_SF_jT4_jjP12ihipStream_tbEUlT_E0_NS1_11comp_targetILNS1_3genE5ELNS1_11target_archE942ELNS1_3gpuE9ELNS1_3repE0EEENS1_52radix_sort_onesweep_histogram_config_static_selectorELNS0_4arch9wavefront6targetE0EEEvSD_.num_vgpr, 0
	.set _ZN7rocprim17ROCPRIM_400000_NS6detail17trampoline_kernelINS0_14default_configENS1_35radix_sort_onesweep_config_selectorIlNS0_10empty_typeEEEZNS1_34radix_sort_onesweep_global_offsetsIS3_Lb0EPKlPS5_mNS0_19identity_decomposerEEE10hipError_tT1_T2_PT3_SF_jT4_jjP12ihipStream_tbEUlT_E0_NS1_11comp_targetILNS1_3genE5ELNS1_11target_archE942ELNS1_3gpuE9ELNS1_3repE0EEENS1_52radix_sort_onesweep_histogram_config_static_selectorELNS0_4arch9wavefront6targetE0EEEvSD_.num_agpr, 0
	.set _ZN7rocprim17ROCPRIM_400000_NS6detail17trampoline_kernelINS0_14default_configENS1_35radix_sort_onesweep_config_selectorIlNS0_10empty_typeEEEZNS1_34radix_sort_onesweep_global_offsetsIS3_Lb0EPKlPS5_mNS0_19identity_decomposerEEE10hipError_tT1_T2_PT3_SF_jT4_jjP12ihipStream_tbEUlT_E0_NS1_11comp_targetILNS1_3genE5ELNS1_11target_archE942ELNS1_3gpuE9ELNS1_3repE0EEENS1_52radix_sort_onesweep_histogram_config_static_selectorELNS0_4arch9wavefront6targetE0EEEvSD_.numbered_sgpr, 0
	.set _ZN7rocprim17ROCPRIM_400000_NS6detail17trampoline_kernelINS0_14default_configENS1_35radix_sort_onesweep_config_selectorIlNS0_10empty_typeEEEZNS1_34radix_sort_onesweep_global_offsetsIS3_Lb0EPKlPS5_mNS0_19identity_decomposerEEE10hipError_tT1_T2_PT3_SF_jT4_jjP12ihipStream_tbEUlT_E0_NS1_11comp_targetILNS1_3genE5ELNS1_11target_archE942ELNS1_3gpuE9ELNS1_3repE0EEENS1_52radix_sort_onesweep_histogram_config_static_selectorELNS0_4arch9wavefront6targetE0EEEvSD_.num_named_barrier, 0
	.set _ZN7rocprim17ROCPRIM_400000_NS6detail17trampoline_kernelINS0_14default_configENS1_35radix_sort_onesweep_config_selectorIlNS0_10empty_typeEEEZNS1_34radix_sort_onesweep_global_offsetsIS3_Lb0EPKlPS5_mNS0_19identity_decomposerEEE10hipError_tT1_T2_PT3_SF_jT4_jjP12ihipStream_tbEUlT_E0_NS1_11comp_targetILNS1_3genE5ELNS1_11target_archE942ELNS1_3gpuE9ELNS1_3repE0EEENS1_52radix_sort_onesweep_histogram_config_static_selectorELNS0_4arch9wavefront6targetE0EEEvSD_.private_seg_size, 0
	.set _ZN7rocprim17ROCPRIM_400000_NS6detail17trampoline_kernelINS0_14default_configENS1_35radix_sort_onesweep_config_selectorIlNS0_10empty_typeEEEZNS1_34radix_sort_onesweep_global_offsetsIS3_Lb0EPKlPS5_mNS0_19identity_decomposerEEE10hipError_tT1_T2_PT3_SF_jT4_jjP12ihipStream_tbEUlT_E0_NS1_11comp_targetILNS1_3genE5ELNS1_11target_archE942ELNS1_3gpuE9ELNS1_3repE0EEENS1_52radix_sort_onesweep_histogram_config_static_selectorELNS0_4arch9wavefront6targetE0EEEvSD_.uses_vcc, 0
	.set _ZN7rocprim17ROCPRIM_400000_NS6detail17trampoline_kernelINS0_14default_configENS1_35radix_sort_onesweep_config_selectorIlNS0_10empty_typeEEEZNS1_34radix_sort_onesweep_global_offsetsIS3_Lb0EPKlPS5_mNS0_19identity_decomposerEEE10hipError_tT1_T2_PT3_SF_jT4_jjP12ihipStream_tbEUlT_E0_NS1_11comp_targetILNS1_3genE5ELNS1_11target_archE942ELNS1_3gpuE9ELNS1_3repE0EEENS1_52radix_sort_onesweep_histogram_config_static_selectorELNS0_4arch9wavefront6targetE0EEEvSD_.uses_flat_scratch, 0
	.set _ZN7rocprim17ROCPRIM_400000_NS6detail17trampoline_kernelINS0_14default_configENS1_35radix_sort_onesweep_config_selectorIlNS0_10empty_typeEEEZNS1_34radix_sort_onesweep_global_offsetsIS3_Lb0EPKlPS5_mNS0_19identity_decomposerEEE10hipError_tT1_T2_PT3_SF_jT4_jjP12ihipStream_tbEUlT_E0_NS1_11comp_targetILNS1_3genE5ELNS1_11target_archE942ELNS1_3gpuE9ELNS1_3repE0EEENS1_52radix_sort_onesweep_histogram_config_static_selectorELNS0_4arch9wavefront6targetE0EEEvSD_.has_dyn_sized_stack, 0
	.set _ZN7rocprim17ROCPRIM_400000_NS6detail17trampoline_kernelINS0_14default_configENS1_35radix_sort_onesweep_config_selectorIlNS0_10empty_typeEEEZNS1_34radix_sort_onesweep_global_offsetsIS3_Lb0EPKlPS5_mNS0_19identity_decomposerEEE10hipError_tT1_T2_PT3_SF_jT4_jjP12ihipStream_tbEUlT_E0_NS1_11comp_targetILNS1_3genE5ELNS1_11target_archE942ELNS1_3gpuE9ELNS1_3repE0EEENS1_52radix_sort_onesweep_histogram_config_static_selectorELNS0_4arch9wavefront6targetE0EEEvSD_.has_recursion, 0
	.set _ZN7rocprim17ROCPRIM_400000_NS6detail17trampoline_kernelINS0_14default_configENS1_35radix_sort_onesweep_config_selectorIlNS0_10empty_typeEEEZNS1_34radix_sort_onesweep_global_offsetsIS3_Lb0EPKlPS5_mNS0_19identity_decomposerEEE10hipError_tT1_T2_PT3_SF_jT4_jjP12ihipStream_tbEUlT_E0_NS1_11comp_targetILNS1_3genE5ELNS1_11target_archE942ELNS1_3gpuE9ELNS1_3repE0EEENS1_52radix_sort_onesweep_histogram_config_static_selectorELNS0_4arch9wavefront6targetE0EEEvSD_.has_indirect_call, 0
	.section	.AMDGPU.csdata,"",@progbits
; Kernel info:
; codeLenInByte = 0
; TotalNumSgprs: 0
; NumVgprs: 0
; ScratchSize: 0
; MemoryBound: 0
; FloatMode: 240
; IeeeMode: 1
; LDSByteSize: 0 bytes/workgroup (compile time only)
; SGPRBlocks: 0
; VGPRBlocks: 0
; NumSGPRsForWavesPerEU: 1
; NumVGPRsForWavesPerEU: 1
; NamedBarCnt: 0
; Occupancy: 16
; WaveLimiterHint : 0
; COMPUTE_PGM_RSRC2:SCRATCH_EN: 0
; COMPUTE_PGM_RSRC2:USER_SGPR: 2
; COMPUTE_PGM_RSRC2:TRAP_HANDLER: 0
; COMPUTE_PGM_RSRC2:TGID_X_EN: 1
; COMPUTE_PGM_RSRC2:TGID_Y_EN: 0
; COMPUTE_PGM_RSRC2:TGID_Z_EN: 0
; COMPUTE_PGM_RSRC2:TIDIG_COMP_CNT: 0
	.section	.text._ZN7rocprim17ROCPRIM_400000_NS6detail17trampoline_kernelINS0_14default_configENS1_35radix_sort_onesweep_config_selectorIlNS0_10empty_typeEEEZNS1_34radix_sort_onesweep_global_offsetsIS3_Lb0EPKlPS5_mNS0_19identity_decomposerEEE10hipError_tT1_T2_PT3_SF_jT4_jjP12ihipStream_tbEUlT_E0_NS1_11comp_targetILNS1_3genE2ELNS1_11target_archE906ELNS1_3gpuE6ELNS1_3repE0EEENS1_52radix_sort_onesweep_histogram_config_static_selectorELNS0_4arch9wavefront6targetE0EEEvSD_,"axG",@progbits,_ZN7rocprim17ROCPRIM_400000_NS6detail17trampoline_kernelINS0_14default_configENS1_35radix_sort_onesweep_config_selectorIlNS0_10empty_typeEEEZNS1_34radix_sort_onesweep_global_offsetsIS3_Lb0EPKlPS5_mNS0_19identity_decomposerEEE10hipError_tT1_T2_PT3_SF_jT4_jjP12ihipStream_tbEUlT_E0_NS1_11comp_targetILNS1_3genE2ELNS1_11target_archE906ELNS1_3gpuE6ELNS1_3repE0EEENS1_52radix_sort_onesweep_histogram_config_static_selectorELNS0_4arch9wavefront6targetE0EEEvSD_,comdat
	.protected	_ZN7rocprim17ROCPRIM_400000_NS6detail17trampoline_kernelINS0_14default_configENS1_35radix_sort_onesweep_config_selectorIlNS0_10empty_typeEEEZNS1_34radix_sort_onesweep_global_offsetsIS3_Lb0EPKlPS5_mNS0_19identity_decomposerEEE10hipError_tT1_T2_PT3_SF_jT4_jjP12ihipStream_tbEUlT_E0_NS1_11comp_targetILNS1_3genE2ELNS1_11target_archE906ELNS1_3gpuE6ELNS1_3repE0EEENS1_52radix_sort_onesweep_histogram_config_static_selectorELNS0_4arch9wavefront6targetE0EEEvSD_ ; -- Begin function _ZN7rocprim17ROCPRIM_400000_NS6detail17trampoline_kernelINS0_14default_configENS1_35radix_sort_onesweep_config_selectorIlNS0_10empty_typeEEEZNS1_34radix_sort_onesweep_global_offsetsIS3_Lb0EPKlPS5_mNS0_19identity_decomposerEEE10hipError_tT1_T2_PT3_SF_jT4_jjP12ihipStream_tbEUlT_E0_NS1_11comp_targetILNS1_3genE2ELNS1_11target_archE906ELNS1_3gpuE6ELNS1_3repE0EEENS1_52radix_sort_onesweep_histogram_config_static_selectorELNS0_4arch9wavefront6targetE0EEEvSD_
	.globl	_ZN7rocprim17ROCPRIM_400000_NS6detail17trampoline_kernelINS0_14default_configENS1_35radix_sort_onesweep_config_selectorIlNS0_10empty_typeEEEZNS1_34radix_sort_onesweep_global_offsetsIS3_Lb0EPKlPS5_mNS0_19identity_decomposerEEE10hipError_tT1_T2_PT3_SF_jT4_jjP12ihipStream_tbEUlT_E0_NS1_11comp_targetILNS1_3genE2ELNS1_11target_archE906ELNS1_3gpuE6ELNS1_3repE0EEENS1_52radix_sort_onesweep_histogram_config_static_selectorELNS0_4arch9wavefront6targetE0EEEvSD_
	.p2align	8
	.type	_ZN7rocprim17ROCPRIM_400000_NS6detail17trampoline_kernelINS0_14default_configENS1_35radix_sort_onesweep_config_selectorIlNS0_10empty_typeEEEZNS1_34radix_sort_onesweep_global_offsetsIS3_Lb0EPKlPS5_mNS0_19identity_decomposerEEE10hipError_tT1_T2_PT3_SF_jT4_jjP12ihipStream_tbEUlT_E0_NS1_11comp_targetILNS1_3genE2ELNS1_11target_archE906ELNS1_3gpuE6ELNS1_3repE0EEENS1_52radix_sort_onesweep_histogram_config_static_selectorELNS0_4arch9wavefront6targetE0EEEvSD_,@function
_ZN7rocprim17ROCPRIM_400000_NS6detail17trampoline_kernelINS0_14default_configENS1_35radix_sort_onesweep_config_selectorIlNS0_10empty_typeEEEZNS1_34radix_sort_onesweep_global_offsetsIS3_Lb0EPKlPS5_mNS0_19identity_decomposerEEE10hipError_tT1_T2_PT3_SF_jT4_jjP12ihipStream_tbEUlT_E0_NS1_11comp_targetILNS1_3genE2ELNS1_11target_archE906ELNS1_3gpuE6ELNS1_3repE0EEENS1_52radix_sort_onesweep_histogram_config_static_selectorELNS0_4arch9wavefront6targetE0EEEvSD_: ; @_ZN7rocprim17ROCPRIM_400000_NS6detail17trampoline_kernelINS0_14default_configENS1_35radix_sort_onesweep_config_selectorIlNS0_10empty_typeEEEZNS1_34radix_sort_onesweep_global_offsetsIS3_Lb0EPKlPS5_mNS0_19identity_decomposerEEE10hipError_tT1_T2_PT3_SF_jT4_jjP12ihipStream_tbEUlT_E0_NS1_11comp_targetILNS1_3genE2ELNS1_11target_archE906ELNS1_3gpuE6ELNS1_3repE0EEENS1_52radix_sort_onesweep_histogram_config_static_selectorELNS0_4arch9wavefront6targetE0EEEvSD_
; %bb.0:
	.section	.rodata,"a",@progbits
	.p2align	6, 0x0
	.amdhsa_kernel _ZN7rocprim17ROCPRIM_400000_NS6detail17trampoline_kernelINS0_14default_configENS1_35radix_sort_onesweep_config_selectorIlNS0_10empty_typeEEEZNS1_34radix_sort_onesweep_global_offsetsIS3_Lb0EPKlPS5_mNS0_19identity_decomposerEEE10hipError_tT1_T2_PT3_SF_jT4_jjP12ihipStream_tbEUlT_E0_NS1_11comp_targetILNS1_3genE2ELNS1_11target_archE906ELNS1_3gpuE6ELNS1_3repE0EEENS1_52radix_sort_onesweep_histogram_config_static_selectorELNS0_4arch9wavefront6targetE0EEEvSD_
		.amdhsa_group_segment_fixed_size 0
		.amdhsa_private_segment_fixed_size 0
		.amdhsa_kernarg_size 8
		.amdhsa_user_sgpr_count 2
		.amdhsa_user_sgpr_dispatch_ptr 0
		.amdhsa_user_sgpr_queue_ptr 0
		.amdhsa_user_sgpr_kernarg_segment_ptr 1
		.amdhsa_user_sgpr_dispatch_id 0
		.amdhsa_user_sgpr_kernarg_preload_length 0
		.amdhsa_user_sgpr_kernarg_preload_offset 0
		.amdhsa_user_sgpr_private_segment_size 0
		.amdhsa_wavefront_size32 1
		.amdhsa_uses_dynamic_stack 0
		.amdhsa_enable_private_segment 0
		.amdhsa_system_sgpr_workgroup_id_x 1
		.amdhsa_system_sgpr_workgroup_id_y 0
		.amdhsa_system_sgpr_workgroup_id_z 0
		.amdhsa_system_sgpr_workgroup_info 0
		.amdhsa_system_vgpr_workitem_id 0
		.amdhsa_next_free_vgpr 1
		.amdhsa_next_free_sgpr 1
		.amdhsa_named_barrier_count 0
		.amdhsa_reserve_vcc 0
		.amdhsa_float_round_mode_32 0
		.amdhsa_float_round_mode_16_64 0
		.amdhsa_float_denorm_mode_32 3
		.amdhsa_float_denorm_mode_16_64 3
		.amdhsa_fp16_overflow 0
		.amdhsa_memory_ordered 1
		.amdhsa_forward_progress 1
		.amdhsa_inst_pref_size 0
		.amdhsa_round_robin_scheduling 0
		.amdhsa_exception_fp_ieee_invalid_op 0
		.amdhsa_exception_fp_denorm_src 0
		.amdhsa_exception_fp_ieee_div_zero 0
		.amdhsa_exception_fp_ieee_overflow 0
		.amdhsa_exception_fp_ieee_underflow 0
		.amdhsa_exception_fp_ieee_inexact 0
		.amdhsa_exception_int_div_zero 0
	.end_amdhsa_kernel
	.section	.text._ZN7rocprim17ROCPRIM_400000_NS6detail17trampoline_kernelINS0_14default_configENS1_35radix_sort_onesweep_config_selectorIlNS0_10empty_typeEEEZNS1_34radix_sort_onesweep_global_offsetsIS3_Lb0EPKlPS5_mNS0_19identity_decomposerEEE10hipError_tT1_T2_PT3_SF_jT4_jjP12ihipStream_tbEUlT_E0_NS1_11comp_targetILNS1_3genE2ELNS1_11target_archE906ELNS1_3gpuE6ELNS1_3repE0EEENS1_52radix_sort_onesweep_histogram_config_static_selectorELNS0_4arch9wavefront6targetE0EEEvSD_,"axG",@progbits,_ZN7rocprim17ROCPRIM_400000_NS6detail17trampoline_kernelINS0_14default_configENS1_35radix_sort_onesweep_config_selectorIlNS0_10empty_typeEEEZNS1_34radix_sort_onesweep_global_offsetsIS3_Lb0EPKlPS5_mNS0_19identity_decomposerEEE10hipError_tT1_T2_PT3_SF_jT4_jjP12ihipStream_tbEUlT_E0_NS1_11comp_targetILNS1_3genE2ELNS1_11target_archE906ELNS1_3gpuE6ELNS1_3repE0EEENS1_52radix_sort_onesweep_histogram_config_static_selectorELNS0_4arch9wavefront6targetE0EEEvSD_,comdat
.Lfunc_end1201:
	.size	_ZN7rocprim17ROCPRIM_400000_NS6detail17trampoline_kernelINS0_14default_configENS1_35radix_sort_onesweep_config_selectorIlNS0_10empty_typeEEEZNS1_34radix_sort_onesweep_global_offsetsIS3_Lb0EPKlPS5_mNS0_19identity_decomposerEEE10hipError_tT1_T2_PT3_SF_jT4_jjP12ihipStream_tbEUlT_E0_NS1_11comp_targetILNS1_3genE2ELNS1_11target_archE906ELNS1_3gpuE6ELNS1_3repE0EEENS1_52radix_sort_onesweep_histogram_config_static_selectorELNS0_4arch9wavefront6targetE0EEEvSD_, .Lfunc_end1201-_ZN7rocprim17ROCPRIM_400000_NS6detail17trampoline_kernelINS0_14default_configENS1_35radix_sort_onesweep_config_selectorIlNS0_10empty_typeEEEZNS1_34radix_sort_onesweep_global_offsetsIS3_Lb0EPKlPS5_mNS0_19identity_decomposerEEE10hipError_tT1_T2_PT3_SF_jT4_jjP12ihipStream_tbEUlT_E0_NS1_11comp_targetILNS1_3genE2ELNS1_11target_archE906ELNS1_3gpuE6ELNS1_3repE0EEENS1_52radix_sort_onesweep_histogram_config_static_selectorELNS0_4arch9wavefront6targetE0EEEvSD_
                                        ; -- End function
	.set _ZN7rocprim17ROCPRIM_400000_NS6detail17trampoline_kernelINS0_14default_configENS1_35radix_sort_onesweep_config_selectorIlNS0_10empty_typeEEEZNS1_34radix_sort_onesweep_global_offsetsIS3_Lb0EPKlPS5_mNS0_19identity_decomposerEEE10hipError_tT1_T2_PT3_SF_jT4_jjP12ihipStream_tbEUlT_E0_NS1_11comp_targetILNS1_3genE2ELNS1_11target_archE906ELNS1_3gpuE6ELNS1_3repE0EEENS1_52radix_sort_onesweep_histogram_config_static_selectorELNS0_4arch9wavefront6targetE0EEEvSD_.num_vgpr, 0
	.set _ZN7rocprim17ROCPRIM_400000_NS6detail17trampoline_kernelINS0_14default_configENS1_35radix_sort_onesweep_config_selectorIlNS0_10empty_typeEEEZNS1_34radix_sort_onesweep_global_offsetsIS3_Lb0EPKlPS5_mNS0_19identity_decomposerEEE10hipError_tT1_T2_PT3_SF_jT4_jjP12ihipStream_tbEUlT_E0_NS1_11comp_targetILNS1_3genE2ELNS1_11target_archE906ELNS1_3gpuE6ELNS1_3repE0EEENS1_52radix_sort_onesweep_histogram_config_static_selectorELNS0_4arch9wavefront6targetE0EEEvSD_.num_agpr, 0
	.set _ZN7rocprim17ROCPRIM_400000_NS6detail17trampoline_kernelINS0_14default_configENS1_35radix_sort_onesweep_config_selectorIlNS0_10empty_typeEEEZNS1_34radix_sort_onesweep_global_offsetsIS3_Lb0EPKlPS5_mNS0_19identity_decomposerEEE10hipError_tT1_T2_PT3_SF_jT4_jjP12ihipStream_tbEUlT_E0_NS1_11comp_targetILNS1_3genE2ELNS1_11target_archE906ELNS1_3gpuE6ELNS1_3repE0EEENS1_52radix_sort_onesweep_histogram_config_static_selectorELNS0_4arch9wavefront6targetE0EEEvSD_.numbered_sgpr, 0
	.set _ZN7rocprim17ROCPRIM_400000_NS6detail17trampoline_kernelINS0_14default_configENS1_35radix_sort_onesweep_config_selectorIlNS0_10empty_typeEEEZNS1_34radix_sort_onesweep_global_offsetsIS3_Lb0EPKlPS5_mNS0_19identity_decomposerEEE10hipError_tT1_T2_PT3_SF_jT4_jjP12ihipStream_tbEUlT_E0_NS1_11comp_targetILNS1_3genE2ELNS1_11target_archE906ELNS1_3gpuE6ELNS1_3repE0EEENS1_52radix_sort_onesweep_histogram_config_static_selectorELNS0_4arch9wavefront6targetE0EEEvSD_.num_named_barrier, 0
	.set _ZN7rocprim17ROCPRIM_400000_NS6detail17trampoline_kernelINS0_14default_configENS1_35radix_sort_onesweep_config_selectorIlNS0_10empty_typeEEEZNS1_34radix_sort_onesweep_global_offsetsIS3_Lb0EPKlPS5_mNS0_19identity_decomposerEEE10hipError_tT1_T2_PT3_SF_jT4_jjP12ihipStream_tbEUlT_E0_NS1_11comp_targetILNS1_3genE2ELNS1_11target_archE906ELNS1_3gpuE6ELNS1_3repE0EEENS1_52radix_sort_onesweep_histogram_config_static_selectorELNS0_4arch9wavefront6targetE0EEEvSD_.private_seg_size, 0
	.set _ZN7rocprim17ROCPRIM_400000_NS6detail17trampoline_kernelINS0_14default_configENS1_35radix_sort_onesweep_config_selectorIlNS0_10empty_typeEEEZNS1_34radix_sort_onesweep_global_offsetsIS3_Lb0EPKlPS5_mNS0_19identity_decomposerEEE10hipError_tT1_T2_PT3_SF_jT4_jjP12ihipStream_tbEUlT_E0_NS1_11comp_targetILNS1_3genE2ELNS1_11target_archE906ELNS1_3gpuE6ELNS1_3repE0EEENS1_52radix_sort_onesweep_histogram_config_static_selectorELNS0_4arch9wavefront6targetE0EEEvSD_.uses_vcc, 0
	.set _ZN7rocprim17ROCPRIM_400000_NS6detail17trampoline_kernelINS0_14default_configENS1_35radix_sort_onesweep_config_selectorIlNS0_10empty_typeEEEZNS1_34radix_sort_onesweep_global_offsetsIS3_Lb0EPKlPS5_mNS0_19identity_decomposerEEE10hipError_tT1_T2_PT3_SF_jT4_jjP12ihipStream_tbEUlT_E0_NS1_11comp_targetILNS1_3genE2ELNS1_11target_archE906ELNS1_3gpuE6ELNS1_3repE0EEENS1_52radix_sort_onesweep_histogram_config_static_selectorELNS0_4arch9wavefront6targetE0EEEvSD_.uses_flat_scratch, 0
	.set _ZN7rocprim17ROCPRIM_400000_NS6detail17trampoline_kernelINS0_14default_configENS1_35radix_sort_onesweep_config_selectorIlNS0_10empty_typeEEEZNS1_34radix_sort_onesweep_global_offsetsIS3_Lb0EPKlPS5_mNS0_19identity_decomposerEEE10hipError_tT1_T2_PT3_SF_jT4_jjP12ihipStream_tbEUlT_E0_NS1_11comp_targetILNS1_3genE2ELNS1_11target_archE906ELNS1_3gpuE6ELNS1_3repE0EEENS1_52radix_sort_onesweep_histogram_config_static_selectorELNS0_4arch9wavefront6targetE0EEEvSD_.has_dyn_sized_stack, 0
	.set _ZN7rocprim17ROCPRIM_400000_NS6detail17trampoline_kernelINS0_14default_configENS1_35radix_sort_onesweep_config_selectorIlNS0_10empty_typeEEEZNS1_34radix_sort_onesweep_global_offsetsIS3_Lb0EPKlPS5_mNS0_19identity_decomposerEEE10hipError_tT1_T2_PT3_SF_jT4_jjP12ihipStream_tbEUlT_E0_NS1_11comp_targetILNS1_3genE2ELNS1_11target_archE906ELNS1_3gpuE6ELNS1_3repE0EEENS1_52radix_sort_onesweep_histogram_config_static_selectorELNS0_4arch9wavefront6targetE0EEEvSD_.has_recursion, 0
	.set _ZN7rocprim17ROCPRIM_400000_NS6detail17trampoline_kernelINS0_14default_configENS1_35radix_sort_onesweep_config_selectorIlNS0_10empty_typeEEEZNS1_34radix_sort_onesweep_global_offsetsIS3_Lb0EPKlPS5_mNS0_19identity_decomposerEEE10hipError_tT1_T2_PT3_SF_jT4_jjP12ihipStream_tbEUlT_E0_NS1_11comp_targetILNS1_3genE2ELNS1_11target_archE906ELNS1_3gpuE6ELNS1_3repE0EEENS1_52radix_sort_onesweep_histogram_config_static_selectorELNS0_4arch9wavefront6targetE0EEEvSD_.has_indirect_call, 0
	.section	.AMDGPU.csdata,"",@progbits
; Kernel info:
; codeLenInByte = 0
; TotalNumSgprs: 0
; NumVgprs: 0
; ScratchSize: 0
; MemoryBound: 0
; FloatMode: 240
; IeeeMode: 1
; LDSByteSize: 0 bytes/workgroup (compile time only)
; SGPRBlocks: 0
; VGPRBlocks: 0
; NumSGPRsForWavesPerEU: 1
; NumVGPRsForWavesPerEU: 1
; NamedBarCnt: 0
; Occupancy: 16
; WaveLimiterHint : 0
; COMPUTE_PGM_RSRC2:SCRATCH_EN: 0
; COMPUTE_PGM_RSRC2:USER_SGPR: 2
; COMPUTE_PGM_RSRC2:TRAP_HANDLER: 0
; COMPUTE_PGM_RSRC2:TGID_X_EN: 1
; COMPUTE_PGM_RSRC2:TGID_Y_EN: 0
; COMPUTE_PGM_RSRC2:TGID_Z_EN: 0
; COMPUTE_PGM_RSRC2:TIDIG_COMP_CNT: 0
	.section	.text._ZN7rocprim17ROCPRIM_400000_NS6detail17trampoline_kernelINS0_14default_configENS1_35radix_sort_onesweep_config_selectorIlNS0_10empty_typeEEEZNS1_34radix_sort_onesweep_global_offsetsIS3_Lb0EPKlPS5_mNS0_19identity_decomposerEEE10hipError_tT1_T2_PT3_SF_jT4_jjP12ihipStream_tbEUlT_E0_NS1_11comp_targetILNS1_3genE4ELNS1_11target_archE910ELNS1_3gpuE8ELNS1_3repE0EEENS1_52radix_sort_onesweep_histogram_config_static_selectorELNS0_4arch9wavefront6targetE0EEEvSD_,"axG",@progbits,_ZN7rocprim17ROCPRIM_400000_NS6detail17trampoline_kernelINS0_14default_configENS1_35radix_sort_onesweep_config_selectorIlNS0_10empty_typeEEEZNS1_34radix_sort_onesweep_global_offsetsIS3_Lb0EPKlPS5_mNS0_19identity_decomposerEEE10hipError_tT1_T2_PT3_SF_jT4_jjP12ihipStream_tbEUlT_E0_NS1_11comp_targetILNS1_3genE4ELNS1_11target_archE910ELNS1_3gpuE8ELNS1_3repE0EEENS1_52radix_sort_onesweep_histogram_config_static_selectorELNS0_4arch9wavefront6targetE0EEEvSD_,comdat
	.protected	_ZN7rocprim17ROCPRIM_400000_NS6detail17trampoline_kernelINS0_14default_configENS1_35radix_sort_onesweep_config_selectorIlNS0_10empty_typeEEEZNS1_34radix_sort_onesweep_global_offsetsIS3_Lb0EPKlPS5_mNS0_19identity_decomposerEEE10hipError_tT1_T2_PT3_SF_jT4_jjP12ihipStream_tbEUlT_E0_NS1_11comp_targetILNS1_3genE4ELNS1_11target_archE910ELNS1_3gpuE8ELNS1_3repE0EEENS1_52radix_sort_onesweep_histogram_config_static_selectorELNS0_4arch9wavefront6targetE0EEEvSD_ ; -- Begin function _ZN7rocprim17ROCPRIM_400000_NS6detail17trampoline_kernelINS0_14default_configENS1_35radix_sort_onesweep_config_selectorIlNS0_10empty_typeEEEZNS1_34radix_sort_onesweep_global_offsetsIS3_Lb0EPKlPS5_mNS0_19identity_decomposerEEE10hipError_tT1_T2_PT3_SF_jT4_jjP12ihipStream_tbEUlT_E0_NS1_11comp_targetILNS1_3genE4ELNS1_11target_archE910ELNS1_3gpuE8ELNS1_3repE0EEENS1_52radix_sort_onesweep_histogram_config_static_selectorELNS0_4arch9wavefront6targetE0EEEvSD_
	.globl	_ZN7rocprim17ROCPRIM_400000_NS6detail17trampoline_kernelINS0_14default_configENS1_35radix_sort_onesweep_config_selectorIlNS0_10empty_typeEEEZNS1_34radix_sort_onesweep_global_offsetsIS3_Lb0EPKlPS5_mNS0_19identity_decomposerEEE10hipError_tT1_T2_PT3_SF_jT4_jjP12ihipStream_tbEUlT_E0_NS1_11comp_targetILNS1_3genE4ELNS1_11target_archE910ELNS1_3gpuE8ELNS1_3repE0EEENS1_52radix_sort_onesweep_histogram_config_static_selectorELNS0_4arch9wavefront6targetE0EEEvSD_
	.p2align	8
	.type	_ZN7rocprim17ROCPRIM_400000_NS6detail17trampoline_kernelINS0_14default_configENS1_35radix_sort_onesweep_config_selectorIlNS0_10empty_typeEEEZNS1_34radix_sort_onesweep_global_offsetsIS3_Lb0EPKlPS5_mNS0_19identity_decomposerEEE10hipError_tT1_T2_PT3_SF_jT4_jjP12ihipStream_tbEUlT_E0_NS1_11comp_targetILNS1_3genE4ELNS1_11target_archE910ELNS1_3gpuE8ELNS1_3repE0EEENS1_52radix_sort_onesweep_histogram_config_static_selectorELNS0_4arch9wavefront6targetE0EEEvSD_,@function
_ZN7rocprim17ROCPRIM_400000_NS6detail17trampoline_kernelINS0_14default_configENS1_35radix_sort_onesweep_config_selectorIlNS0_10empty_typeEEEZNS1_34radix_sort_onesweep_global_offsetsIS3_Lb0EPKlPS5_mNS0_19identity_decomposerEEE10hipError_tT1_T2_PT3_SF_jT4_jjP12ihipStream_tbEUlT_E0_NS1_11comp_targetILNS1_3genE4ELNS1_11target_archE910ELNS1_3gpuE8ELNS1_3repE0EEENS1_52radix_sort_onesweep_histogram_config_static_selectorELNS0_4arch9wavefront6targetE0EEEvSD_: ; @_ZN7rocprim17ROCPRIM_400000_NS6detail17trampoline_kernelINS0_14default_configENS1_35radix_sort_onesweep_config_selectorIlNS0_10empty_typeEEEZNS1_34radix_sort_onesweep_global_offsetsIS3_Lb0EPKlPS5_mNS0_19identity_decomposerEEE10hipError_tT1_T2_PT3_SF_jT4_jjP12ihipStream_tbEUlT_E0_NS1_11comp_targetILNS1_3genE4ELNS1_11target_archE910ELNS1_3gpuE8ELNS1_3repE0EEENS1_52radix_sort_onesweep_histogram_config_static_selectorELNS0_4arch9wavefront6targetE0EEEvSD_
; %bb.0:
	.section	.rodata,"a",@progbits
	.p2align	6, 0x0
	.amdhsa_kernel _ZN7rocprim17ROCPRIM_400000_NS6detail17trampoline_kernelINS0_14default_configENS1_35radix_sort_onesweep_config_selectorIlNS0_10empty_typeEEEZNS1_34radix_sort_onesweep_global_offsetsIS3_Lb0EPKlPS5_mNS0_19identity_decomposerEEE10hipError_tT1_T2_PT3_SF_jT4_jjP12ihipStream_tbEUlT_E0_NS1_11comp_targetILNS1_3genE4ELNS1_11target_archE910ELNS1_3gpuE8ELNS1_3repE0EEENS1_52radix_sort_onesweep_histogram_config_static_selectorELNS0_4arch9wavefront6targetE0EEEvSD_
		.amdhsa_group_segment_fixed_size 0
		.amdhsa_private_segment_fixed_size 0
		.amdhsa_kernarg_size 8
		.amdhsa_user_sgpr_count 2
		.amdhsa_user_sgpr_dispatch_ptr 0
		.amdhsa_user_sgpr_queue_ptr 0
		.amdhsa_user_sgpr_kernarg_segment_ptr 1
		.amdhsa_user_sgpr_dispatch_id 0
		.amdhsa_user_sgpr_kernarg_preload_length 0
		.amdhsa_user_sgpr_kernarg_preload_offset 0
		.amdhsa_user_sgpr_private_segment_size 0
		.amdhsa_wavefront_size32 1
		.amdhsa_uses_dynamic_stack 0
		.amdhsa_enable_private_segment 0
		.amdhsa_system_sgpr_workgroup_id_x 1
		.amdhsa_system_sgpr_workgroup_id_y 0
		.amdhsa_system_sgpr_workgroup_id_z 0
		.amdhsa_system_sgpr_workgroup_info 0
		.amdhsa_system_vgpr_workitem_id 0
		.amdhsa_next_free_vgpr 1
		.amdhsa_next_free_sgpr 1
		.amdhsa_named_barrier_count 0
		.amdhsa_reserve_vcc 0
		.amdhsa_float_round_mode_32 0
		.amdhsa_float_round_mode_16_64 0
		.amdhsa_float_denorm_mode_32 3
		.amdhsa_float_denorm_mode_16_64 3
		.amdhsa_fp16_overflow 0
		.amdhsa_memory_ordered 1
		.amdhsa_forward_progress 1
		.amdhsa_inst_pref_size 0
		.amdhsa_round_robin_scheduling 0
		.amdhsa_exception_fp_ieee_invalid_op 0
		.amdhsa_exception_fp_denorm_src 0
		.amdhsa_exception_fp_ieee_div_zero 0
		.amdhsa_exception_fp_ieee_overflow 0
		.amdhsa_exception_fp_ieee_underflow 0
		.amdhsa_exception_fp_ieee_inexact 0
		.amdhsa_exception_int_div_zero 0
	.end_amdhsa_kernel
	.section	.text._ZN7rocprim17ROCPRIM_400000_NS6detail17trampoline_kernelINS0_14default_configENS1_35radix_sort_onesweep_config_selectorIlNS0_10empty_typeEEEZNS1_34radix_sort_onesweep_global_offsetsIS3_Lb0EPKlPS5_mNS0_19identity_decomposerEEE10hipError_tT1_T2_PT3_SF_jT4_jjP12ihipStream_tbEUlT_E0_NS1_11comp_targetILNS1_3genE4ELNS1_11target_archE910ELNS1_3gpuE8ELNS1_3repE0EEENS1_52radix_sort_onesweep_histogram_config_static_selectorELNS0_4arch9wavefront6targetE0EEEvSD_,"axG",@progbits,_ZN7rocprim17ROCPRIM_400000_NS6detail17trampoline_kernelINS0_14default_configENS1_35radix_sort_onesweep_config_selectorIlNS0_10empty_typeEEEZNS1_34radix_sort_onesweep_global_offsetsIS3_Lb0EPKlPS5_mNS0_19identity_decomposerEEE10hipError_tT1_T2_PT3_SF_jT4_jjP12ihipStream_tbEUlT_E0_NS1_11comp_targetILNS1_3genE4ELNS1_11target_archE910ELNS1_3gpuE8ELNS1_3repE0EEENS1_52radix_sort_onesweep_histogram_config_static_selectorELNS0_4arch9wavefront6targetE0EEEvSD_,comdat
.Lfunc_end1202:
	.size	_ZN7rocprim17ROCPRIM_400000_NS6detail17trampoline_kernelINS0_14default_configENS1_35radix_sort_onesweep_config_selectorIlNS0_10empty_typeEEEZNS1_34radix_sort_onesweep_global_offsetsIS3_Lb0EPKlPS5_mNS0_19identity_decomposerEEE10hipError_tT1_T2_PT3_SF_jT4_jjP12ihipStream_tbEUlT_E0_NS1_11comp_targetILNS1_3genE4ELNS1_11target_archE910ELNS1_3gpuE8ELNS1_3repE0EEENS1_52radix_sort_onesweep_histogram_config_static_selectorELNS0_4arch9wavefront6targetE0EEEvSD_, .Lfunc_end1202-_ZN7rocprim17ROCPRIM_400000_NS6detail17trampoline_kernelINS0_14default_configENS1_35radix_sort_onesweep_config_selectorIlNS0_10empty_typeEEEZNS1_34radix_sort_onesweep_global_offsetsIS3_Lb0EPKlPS5_mNS0_19identity_decomposerEEE10hipError_tT1_T2_PT3_SF_jT4_jjP12ihipStream_tbEUlT_E0_NS1_11comp_targetILNS1_3genE4ELNS1_11target_archE910ELNS1_3gpuE8ELNS1_3repE0EEENS1_52radix_sort_onesweep_histogram_config_static_selectorELNS0_4arch9wavefront6targetE0EEEvSD_
                                        ; -- End function
	.set _ZN7rocprim17ROCPRIM_400000_NS6detail17trampoline_kernelINS0_14default_configENS1_35radix_sort_onesweep_config_selectorIlNS0_10empty_typeEEEZNS1_34radix_sort_onesweep_global_offsetsIS3_Lb0EPKlPS5_mNS0_19identity_decomposerEEE10hipError_tT1_T2_PT3_SF_jT4_jjP12ihipStream_tbEUlT_E0_NS1_11comp_targetILNS1_3genE4ELNS1_11target_archE910ELNS1_3gpuE8ELNS1_3repE0EEENS1_52radix_sort_onesweep_histogram_config_static_selectorELNS0_4arch9wavefront6targetE0EEEvSD_.num_vgpr, 0
	.set _ZN7rocprim17ROCPRIM_400000_NS6detail17trampoline_kernelINS0_14default_configENS1_35radix_sort_onesweep_config_selectorIlNS0_10empty_typeEEEZNS1_34radix_sort_onesweep_global_offsetsIS3_Lb0EPKlPS5_mNS0_19identity_decomposerEEE10hipError_tT1_T2_PT3_SF_jT4_jjP12ihipStream_tbEUlT_E0_NS1_11comp_targetILNS1_3genE4ELNS1_11target_archE910ELNS1_3gpuE8ELNS1_3repE0EEENS1_52radix_sort_onesweep_histogram_config_static_selectorELNS0_4arch9wavefront6targetE0EEEvSD_.num_agpr, 0
	.set _ZN7rocprim17ROCPRIM_400000_NS6detail17trampoline_kernelINS0_14default_configENS1_35radix_sort_onesweep_config_selectorIlNS0_10empty_typeEEEZNS1_34radix_sort_onesweep_global_offsetsIS3_Lb0EPKlPS5_mNS0_19identity_decomposerEEE10hipError_tT1_T2_PT3_SF_jT4_jjP12ihipStream_tbEUlT_E0_NS1_11comp_targetILNS1_3genE4ELNS1_11target_archE910ELNS1_3gpuE8ELNS1_3repE0EEENS1_52radix_sort_onesweep_histogram_config_static_selectorELNS0_4arch9wavefront6targetE0EEEvSD_.numbered_sgpr, 0
	.set _ZN7rocprim17ROCPRIM_400000_NS6detail17trampoline_kernelINS0_14default_configENS1_35radix_sort_onesweep_config_selectorIlNS0_10empty_typeEEEZNS1_34radix_sort_onesweep_global_offsetsIS3_Lb0EPKlPS5_mNS0_19identity_decomposerEEE10hipError_tT1_T2_PT3_SF_jT4_jjP12ihipStream_tbEUlT_E0_NS1_11comp_targetILNS1_3genE4ELNS1_11target_archE910ELNS1_3gpuE8ELNS1_3repE0EEENS1_52radix_sort_onesweep_histogram_config_static_selectorELNS0_4arch9wavefront6targetE0EEEvSD_.num_named_barrier, 0
	.set _ZN7rocprim17ROCPRIM_400000_NS6detail17trampoline_kernelINS0_14default_configENS1_35radix_sort_onesweep_config_selectorIlNS0_10empty_typeEEEZNS1_34radix_sort_onesweep_global_offsetsIS3_Lb0EPKlPS5_mNS0_19identity_decomposerEEE10hipError_tT1_T2_PT3_SF_jT4_jjP12ihipStream_tbEUlT_E0_NS1_11comp_targetILNS1_3genE4ELNS1_11target_archE910ELNS1_3gpuE8ELNS1_3repE0EEENS1_52radix_sort_onesweep_histogram_config_static_selectorELNS0_4arch9wavefront6targetE0EEEvSD_.private_seg_size, 0
	.set _ZN7rocprim17ROCPRIM_400000_NS6detail17trampoline_kernelINS0_14default_configENS1_35radix_sort_onesweep_config_selectorIlNS0_10empty_typeEEEZNS1_34radix_sort_onesweep_global_offsetsIS3_Lb0EPKlPS5_mNS0_19identity_decomposerEEE10hipError_tT1_T2_PT3_SF_jT4_jjP12ihipStream_tbEUlT_E0_NS1_11comp_targetILNS1_3genE4ELNS1_11target_archE910ELNS1_3gpuE8ELNS1_3repE0EEENS1_52radix_sort_onesweep_histogram_config_static_selectorELNS0_4arch9wavefront6targetE0EEEvSD_.uses_vcc, 0
	.set _ZN7rocprim17ROCPRIM_400000_NS6detail17trampoline_kernelINS0_14default_configENS1_35radix_sort_onesweep_config_selectorIlNS0_10empty_typeEEEZNS1_34radix_sort_onesweep_global_offsetsIS3_Lb0EPKlPS5_mNS0_19identity_decomposerEEE10hipError_tT1_T2_PT3_SF_jT4_jjP12ihipStream_tbEUlT_E0_NS1_11comp_targetILNS1_3genE4ELNS1_11target_archE910ELNS1_3gpuE8ELNS1_3repE0EEENS1_52radix_sort_onesweep_histogram_config_static_selectorELNS0_4arch9wavefront6targetE0EEEvSD_.uses_flat_scratch, 0
	.set _ZN7rocprim17ROCPRIM_400000_NS6detail17trampoline_kernelINS0_14default_configENS1_35radix_sort_onesweep_config_selectorIlNS0_10empty_typeEEEZNS1_34radix_sort_onesweep_global_offsetsIS3_Lb0EPKlPS5_mNS0_19identity_decomposerEEE10hipError_tT1_T2_PT3_SF_jT4_jjP12ihipStream_tbEUlT_E0_NS1_11comp_targetILNS1_3genE4ELNS1_11target_archE910ELNS1_3gpuE8ELNS1_3repE0EEENS1_52radix_sort_onesweep_histogram_config_static_selectorELNS0_4arch9wavefront6targetE0EEEvSD_.has_dyn_sized_stack, 0
	.set _ZN7rocprim17ROCPRIM_400000_NS6detail17trampoline_kernelINS0_14default_configENS1_35radix_sort_onesweep_config_selectorIlNS0_10empty_typeEEEZNS1_34radix_sort_onesweep_global_offsetsIS3_Lb0EPKlPS5_mNS0_19identity_decomposerEEE10hipError_tT1_T2_PT3_SF_jT4_jjP12ihipStream_tbEUlT_E0_NS1_11comp_targetILNS1_3genE4ELNS1_11target_archE910ELNS1_3gpuE8ELNS1_3repE0EEENS1_52radix_sort_onesweep_histogram_config_static_selectorELNS0_4arch9wavefront6targetE0EEEvSD_.has_recursion, 0
	.set _ZN7rocprim17ROCPRIM_400000_NS6detail17trampoline_kernelINS0_14default_configENS1_35radix_sort_onesweep_config_selectorIlNS0_10empty_typeEEEZNS1_34radix_sort_onesweep_global_offsetsIS3_Lb0EPKlPS5_mNS0_19identity_decomposerEEE10hipError_tT1_T2_PT3_SF_jT4_jjP12ihipStream_tbEUlT_E0_NS1_11comp_targetILNS1_3genE4ELNS1_11target_archE910ELNS1_3gpuE8ELNS1_3repE0EEENS1_52radix_sort_onesweep_histogram_config_static_selectorELNS0_4arch9wavefront6targetE0EEEvSD_.has_indirect_call, 0
	.section	.AMDGPU.csdata,"",@progbits
; Kernel info:
; codeLenInByte = 0
; TotalNumSgprs: 0
; NumVgprs: 0
; ScratchSize: 0
; MemoryBound: 0
; FloatMode: 240
; IeeeMode: 1
; LDSByteSize: 0 bytes/workgroup (compile time only)
; SGPRBlocks: 0
; VGPRBlocks: 0
; NumSGPRsForWavesPerEU: 1
; NumVGPRsForWavesPerEU: 1
; NamedBarCnt: 0
; Occupancy: 16
; WaveLimiterHint : 0
; COMPUTE_PGM_RSRC2:SCRATCH_EN: 0
; COMPUTE_PGM_RSRC2:USER_SGPR: 2
; COMPUTE_PGM_RSRC2:TRAP_HANDLER: 0
; COMPUTE_PGM_RSRC2:TGID_X_EN: 1
; COMPUTE_PGM_RSRC2:TGID_Y_EN: 0
; COMPUTE_PGM_RSRC2:TGID_Z_EN: 0
; COMPUTE_PGM_RSRC2:TIDIG_COMP_CNT: 0
	.section	.text._ZN7rocprim17ROCPRIM_400000_NS6detail17trampoline_kernelINS0_14default_configENS1_35radix_sort_onesweep_config_selectorIlNS0_10empty_typeEEEZNS1_34radix_sort_onesweep_global_offsetsIS3_Lb0EPKlPS5_mNS0_19identity_decomposerEEE10hipError_tT1_T2_PT3_SF_jT4_jjP12ihipStream_tbEUlT_E0_NS1_11comp_targetILNS1_3genE3ELNS1_11target_archE908ELNS1_3gpuE7ELNS1_3repE0EEENS1_52radix_sort_onesweep_histogram_config_static_selectorELNS0_4arch9wavefront6targetE0EEEvSD_,"axG",@progbits,_ZN7rocprim17ROCPRIM_400000_NS6detail17trampoline_kernelINS0_14default_configENS1_35radix_sort_onesweep_config_selectorIlNS0_10empty_typeEEEZNS1_34radix_sort_onesweep_global_offsetsIS3_Lb0EPKlPS5_mNS0_19identity_decomposerEEE10hipError_tT1_T2_PT3_SF_jT4_jjP12ihipStream_tbEUlT_E0_NS1_11comp_targetILNS1_3genE3ELNS1_11target_archE908ELNS1_3gpuE7ELNS1_3repE0EEENS1_52radix_sort_onesweep_histogram_config_static_selectorELNS0_4arch9wavefront6targetE0EEEvSD_,comdat
	.protected	_ZN7rocprim17ROCPRIM_400000_NS6detail17trampoline_kernelINS0_14default_configENS1_35radix_sort_onesweep_config_selectorIlNS0_10empty_typeEEEZNS1_34radix_sort_onesweep_global_offsetsIS3_Lb0EPKlPS5_mNS0_19identity_decomposerEEE10hipError_tT1_T2_PT3_SF_jT4_jjP12ihipStream_tbEUlT_E0_NS1_11comp_targetILNS1_3genE3ELNS1_11target_archE908ELNS1_3gpuE7ELNS1_3repE0EEENS1_52radix_sort_onesweep_histogram_config_static_selectorELNS0_4arch9wavefront6targetE0EEEvSD_ ; -- Begin function _ZN7rocprim17ROCPRIM_400000_NS6detail17trampoline_kernelINS0_14default_configENS1_35radix_sort_onesweep_config_selectorIlNS0_10empty_typeEEEZNS1_34radix_sort_onesweep_global_offsetsIS3_Lb0EPKlPS5_mNS0_19identity_decomposerEEE10hipError_tT1_T2_PT3_SF_jT4_jjP12ihipStream_tbEUlT_E0_NS1_11comp_targetILNS1_3genE3ELNS1_11target_archE908ELNS1_3gpuE7ELNS1_3repE0EEENS1_52radix_sort_onesweep_histogram_config_static_selectorELNS0_4arch9wavefront6targetE0EEEvSD_
	.globl	_ZN7rocprim17ROCPRIM_400000_NS6detail17trampoline_kernelINS0_14default_configENS1_35radix_sort_onesweep_config_selectorIlNS0_10empty_typeEEEZNS1_34radix_sort_onesweep_global_offsetsIS3_Lb0EPKlPS5_mNS0_19identity_decomposerEEE10hipError_tT1_T2_PT3_SF_jT4_jjP12ihipStream_tbEUlT_E0_NS1_11comp_targetILNS1_3genE3ELNS1_11target_archE908ELNS1_3gpuE7ELNS1_3repE0EEENS1_52radix_sort_onesweep_histogram_config_static_selectorELNS0_4arch9wavefront6targetE0EEEvSD_
	.p2align	8
	.type	_ZN7rocprim17ROCPRIM_400000_NS6detail17trampoline_kernelINS0_14default_configENS1_35radix_sort_onesweep_config_selectorIlNS0_10empty_typeEEEZNS1_34radix_sort_onesweep_global_offsetsIS3_Lb0EPKlPS5_mNS0_19identity_decomposerEEE10hipError_tT1_T2_PT3_SF_jT4_jjP12ihipStream_tbEUlT_E0_NS1_11comp_targetILNS1_3genE3ELNS1_11target_archE908ELNS1_3gpuE7ELNS1_3repE0EEENS1_52radix_sort_onesweep_histogram_config_static_selectorELNS0_4arch9wavefront6targetE0EEEvSD_,@function
_ZN7rocprim17ROCPRIM_400000_NS6detail17trampoline_kernelINS0_14default_configENS1_35radix_sort_onesweep_config_selectorIlNS0_10empty_typeEEEZNS1_34radix_sort_onesweep_global_offsetsIS3_Lb0EPKlPS5_mNS0_19identity_decomposerEEE10hipError_tT1_T2_PT3_SF_jT4_jjP12ihipStream_tbEUlT_E0_NS1_11comp_targetILNS1_3genE3ELNS1_11target_archE908ELNS1_3gpuE7ELNS1_3repE0EEENS1_52radix_sort_onesweep_histogram_config_static_selectorELNS0_4arch9wavefront6targetE0EEEvSD_: ; @_ZN7rocprim17ROCPRIM_400000_NS6detail17trampoline_kernelINS0_14default_configENS1_35radix_sort_onesweep_config_selectorIlNS0_10empty_typeEEEZNS1_34radix_sort_onesweep_global_offsetsIS3_Lb0EPKlPS5_mNS0_19identity_decomposerEEE10hipError_tT1_T2_PT3_SF_jT4_jjP12ihipStream_tbEUlT_E0_NS1_11comp_targetILNS1_3genE3ELNS1_11target_archE908ELNS1_3gpuE7ELNS1_3repE0EEENS1_52radix_sort_onesweep_histogram_config_static_selectorELNS0_4arch9wavefront6targetE0EEEvSD_
; %bb.0:
	.section	.rodata,"a",@progbits
	.p2align	6, 0x0
	.amdhsa_kernel _ZN7rocprim17ROCPRIM_400000_NS6detail17trampoline_kernelINS0_14default_configENS1_35radix_sort_onesweep_config_selectorIlNS0_10empty_typeEEEZNS1_34radix_sort_onesweep_global_offsetsIS3_Lb0EPKlPS5_mNS0_19identity_decomposerEEE10hipError_tT1_T2_PT3_SF_jT4_jjP12ihipStream_tbEUlT_E0_NS1_11comp_targetILNS1_3genE3ELNS1_11target_archE908ELNS1_3gpuE7ELNS1_3repE0EEENS1_52radix_sort_onesweep_histogram_config_static_selectorELNS0_4arch9wavefront6targetE0EEEvSD_
		.amdhsa_group_segment_fixed_size 0
		.amdhsa_private_segment_fixed_size 0
		.amdhsa_kernarg_size 8
		.amdhsa_user_sgpr_count 2
		.amdhsa_user_sgpr_dispatch_ptr 0
		.amdhsa_user_sgpr_queue_ptr 0
		.amdhsa_user_sgpr_kernarg_segment_ptr 1
		.amdhsa_user_sgpr_dispatch_id 0
		.amdhsa_user_sgpr_kernarg_preload_length 0
		.amdhsa_user_sgpr_kernarg_preload_offset 0
		.amdhsa_user_sgpr_private_segment_size 0
		.amdhsa_wavefront_size32 1
		.amdhsa_uses_dynamic_stack 0
		.amdhsa_enable_private_segment 0
		.amdhsa_system_sgpr_workgroup_id_x 1
		.amdhsa_system_sgpr_workgroup_id_y 0
		.amdhsa_system_sgpr_workgroup_id_z 0
		.amdhsa_system_sgpr_workgroup_info 0
		.amdhsa_system_vgpr_workitem_id 0
		.amdhsa_next_free_vgpr 1
		.amdhsa_next_free_sgpr 1
		.amdhsa_named_barrier_count 0
		.amdhsa_reserve_vcc 0
		.amdhsa_float_round_mode_32 0
		.amdhsa_float_round_mode_16_64 0
		.amdhsa_float_denorm_mode_32 3
		.amdhsa_float_denorm_mode_16_64 3
		.amdhsa_fp16_overflow 0
		.amdhsa_memory_ordered 1
		.amdhsa_forward_progress 1
		.amdhsa_inst_pref_size 0
		.amdhsa_round_robin_scheduling 0
		.amdhsa_exception_fp_ieee_invalid_op 0
		.amdhsa_exception_fp_denorm_src 0
		.amdhsa_exception_fp_ieee_div_zero 0
		.amdhsa_exception_fp_ieee_overflow 0
		.amdhsa_exception_fp_ieee_underflow 0
		.amdhsa_exception_fp_ieee_inexact 0
		.amdhsa_exception_int_div_zero 0
	.end_amdhsa_kernel
	.section	.text._ZN7rocprim17ROCPRIM_400000_NS6detail17trampoline_kernelINS0_14default_configENS1_35radix_sort_onesweep_config_selectorIlNS0_10empty_typeEEEZNS1_34radix_sort_onesweep_global_offsetsIS3_Lb0EPKlPS5_mNS0_19identity_decomposerEEE10hipError_tT1_T2_PT3_SF_jT4_jjP12ihipStream_tbEUlT_E0_NS1_11comp_targetILNS1_3genE3ELNS1_11target_archE908ELNS1_3gpuE7ELNS1_3repE0EEENS1_52radix_sort_onesweep_histogram_config_static_selectorELNS0_4arch9wavefront6targetE0EEEvSD_,"axG",@progbits,_ZN7rocprim17ROCPRIM_400000_NS6detail17trampoline_kernelINS0_14default_configENS1_35radix_sort_onesweep_config_selectorIlNS0_10empty_typeEEEZNS1_34radix_sort_onesweep_global_offsetsIS3_Lb0EPKlPS5_mNS0_19identity_decomposerEEE10hipError_tT1_T2_PT3_SF_jT4_jjP12ihipStream_tbEUlT_E0_NS1_11comp_targetILNS1_3genE3ELNS1_11target_archE908ELNS1_3gpuE7ELNS1_3repE0EEENS1_52radix_sort_onesweep_histogram_config_static_selectorELNS0_4arch9wavefront6targetE0EEEvSD_,comdat
.Lfunc_end1203:
	.size	_ZN7rocprim17ROCPRIM_400000_NS6detail17trampoline_kernelINS0_14default_configENS1_35radix_sort_onesweep_config_selectorIlNS0_10empty_typeEEEZNS1_34radix_sort_onesweep_global_offsetsIS3_Lb0EPKlPS5_mNS0_19identity_decomposerEEE10hipError_tT1_T2_PT3_SF_jT4_jjP12ihipStream_tbEUlT_E0_NS1_11comp_targetILNS1_3genE3ELNS1_11target_archE908ELNS1_3gpuE7ELNS1_3repE0EEENS1_52radix_sort_onesweep_histogram_config_static_selectorELNS0_4arch9wavefront6targetE0EEEvSD_, .Lfunc_end1203-_ZN7rocprim17ROCPRIM_400000_NS6detail17trampoline_kernelINS0_14default_configENS1_35radix_sort_onesweep_config_selectorIlNS0_10empty_typeEEEZNS1_34radix_sort_onesweep_global_offsetsIS3_Lb0EPKlPS5_mNS0_19identity_decomposerEEE10hipError_tT1_T2_PT3_SF_jT4_jjP12ihipStream_tbEUlT_E0_NS1_11comp_targetILNS1_3genE3ELNS1_11target_archE908ELNS1_3gpuE7ELNS1_3repE0EEENS1_52radix_sort_onesweep_histogram_config_static_selectorELNS0_4arch9wavefront6targetE0EEEvSD_
                                        ; -- End function
	.set _ZN7rocprim17ROCPRIM_400000_NS6detail17trampoline_kernelINS0_14default_configENS1_35radix_sort_onesweep_config_selectorIlNS0_10empty_typeEEEZNS1_34radix_sort_onesweep_global_offsetsIS3_Lb0EPKlPS5_mNS0_19identity_decomposerEEE10hipError_tT1_T2_PT3_SF_jT4_jjP12ihipStream_tbEUlT_E0_NS1_11comp_targetILNS1_3genE3ELNS1_11target_archE908ELNS1_3gpuE7ELNS1_3repE0EEENS1_52radix_sort_onesweep_histogram_config_static_selectorELNS0_4arch9wavefront6targetE0EEEvSD_.num_vgpr, 0
	.set _ZN7rocprim17ROCPRIM_400000_NS6detail17trampoline_kernelINS0_14default_configENS1_35radix_sort_onesweep_config_selectorIlNS0_10empty_typeEEEZNS1_34radix_sort_onesweep_global_offsetsIS3_Lb0EPKlPS5_mNS0_19identity_decomposerEEE10hipError_tT1_T2_PT3_SF_jT4_jjP12ihipStream_tbEUlT_E0_NS1_11comp_targetILNS1_3genE3ELNS1_11target_archE908ELNS1_3gpuE7ELNS1_3repE0EEENS1_52radix_sort_onesweep_histogram_config_static_selectorELNS0_4arch9wavefront6targetE0EEEvSD_.num_agpr, 0
	.set _ZN7rocprim17ROCPRIM_400000_NS6detail17trampoline_kernelINS0_14default_configENS1_35radix_sort_onesweep_config_selectorIlNS0_10empty_typeEEEZNS1_34radix_sort_onesweep_global_offsetsIS3_Lb0EPKlPS5_mNS0_19identity_decomposerEEE10hipError_tT1_T2_PT3_SF_jT4_jjP12ihipStream_tbEUlT_E0_NS1_11comp_targetILNS1_3genE3ELNS1_11target_archE908ELNS1_3gpuE7ELNS1_3repE0EEENS1_52radix_sort_onesweep_histogram_config_static_selectorELNS0_4arch9wavefront6targetE0EEEvSD_.numbered_sgpr, 0
	.set _ZN7rocprim17ROCPRIM_400000_NS6detail17trampoline_kernelINS0_14default_configENS1_35radix_sort_onesweep_config_selectorIlNS0_10empty_typeEEEZNS1_34radix_sort_onesweep_global_offsetsIS3_Lb0EPKlPS5_mNS0_19identity_decomposerEEE10hipError_tT1_T2_PT3_SF_jT4_jjP12ihipStream_tbEUlT_E0_NS1_11comp_targetILNS1_3genE3ELNS1_11target_archE908ELNS1_3gpuE7ELNS1_3repE0EEENS1_52radix_sort_onesweep_histogram_config_static_selectorELNS0_4arch9wavefront6targetE0EEEvSD_.num_named_barrier, 0
	.set _ZN7rocprim17ROCPRIM_400000_NS6detail17trampoline_kernelINS0_14default_configENS1_35radix_sort_onesweep_config_selectorIlNS0_10empty_typeEEEZNS1_34radix_sort_onesweep_global_offsetsIS3_Lb0EPKlPS5_mNS0_19identity_decomposerEEE10hipError_tT1_T2_PT3_SF_jT4_jjP12ihipStream_tbEUlT_E0_NS1_11comp_targetILNS1_3genE3ELNS1_11target_archE908ELNS1_3gpuE7ELNS1_3repE0EEENS1_52radix_sort_onesweep_histogram_config_static_selectorELNS0_4arch9wavefront6targetE0EEEvSD_.private_seg_size, 0
	.set _ZN7rocprim17ROCPRIM_400000_NS6detail17trampoline_kernelINS0_14default_configENS1_35radix_sort_onesweep_config_selectorIlNS0_10empty_typeEEEZNS1_34radix_sort_onesweep_global_offsetsIS3_Lb0EPKlPS5_mNS0_19identity_decomposerEEE10hipError_tT1_T2_PT3_SF_jT4_jjP12ihipStream_tbEUlT_E0_NS1_11comp_targetILNS1_3genE3ELNS1_11target_archE908ELNS1_3gpuE7ELNS1_3repE0EEENS1_52radix_sort_onesweep_histogram_config_static_selectorELNS0_4arch9wavefront6targetE0EEEvSD_.uses_vcc, 0
	.set _ZN7rocprim17ROCPRIM_400000_NS6detail17trampoline_kernelINS0_14default_configENS1_35radix_sort_onesweep_config_selectorIlNS0_10empty_typeEEEZNS1_34radix_sort_onesweep_global_offsetsIS3_Lb0EPKlPS5_mNS0_19identity_decomposerEEE10hipError_tT1_T2_PT3_SF_jT4_jjP12ihipStream_tbEUlT_E0_NS1_11comp_targetILNS1_3genE3ELNS1_11target_archE908ELNS1_3gpuE7ELNS1_3repE0EEENS1_52radix_sort_onesweep_histogram_config_static_selectorELNS0_4arch9wavefront6targetE0EEEvSD_.uses_flat_scratch, 0
	.set _ZN7rocprim17ROCPRIM_400000_NS6detail17trampoline_kernelINS0_14default_configENS1_35radix_sort_onesweep_config_selectorIlNS0_10empty_typeEEEZNS1_34radix_sort_onesweep_global_offsetsIS3_Lb0EPKlPS5_mNS0_19identity_decomposerEEE10hipError_tT1_T2_PT3_SF_jT4_jjP12ihipStream_tbEUlT_E0_NS1_11comp_targetILNS1_3genE3ELNS1_11target_archE908ELNS1_3gpuE7ELNS1_3repE0EEENS1_52radix_sort_onesweep_histogram_config_static_selectorELNS0_4arch9wavefront6targetE0EEEvSD_.has_dyn_sized_stack, 0
	.set _ZN7rocprim17ROCPRIM_400000_NS6detail17trampoline_kernelINS0_14default_configENS1_35radix_sort_onesweep_config_selectorIlNS0_10empty_typeEEEZNS1_34radix_sort_onesweep_global_offsetsIS3_Lb0EPKlPS5_mNS0_19identity_decomposerEEE10hipError_tT1_T2_PT3_SF_jT4_jjP12ihipStream_tbEUlT_E0_NS1_11comp_targetILNS1_3genE3ELNS1_11target_archE908ELNS1_3gpuE7ELNS1_3repE0EEENS1_52radix_sort_onesweep_histogram_config_static_selectorELNS0_4arch9wavefront6targetE0EEEvSD_.has_recursion, 0
	.set _ZN7rocprim17ROCPRIM_400000_NS6detail17trampoline_kernelINS0_14default_configENS1_35radix_sort_onesweep_config_selectorIlNS0_10empty_typeEEEZNS1_34radix_sort_onesweep_global_offsetsIS3_Lb0EPKlPS5_mNS0_19identity_decomposerEEE10hipError_tT1_T2_PT3_SF_jT4_jjP12ihipStream_tbEUlT_E0_NS1_11comp_targetILNS1_3genE3ELNS1_11target_archE908ELNS1_3gpuE7ELNS1_3repE0EEENS1_52radix_sort_onesweep_histogram_config_static_selectorELNS0_4arch9wavefront6targetE0EEEvSD_.has_indirect_call, 0
	.section	.AMDGPU.csdata,"",@progbits
; Kernel info:
; codeLenInByte = 0
; TotalNumSgprs: 0
; NumVgprs: 0
; ScratchSize: 0
; MemoryBound: 0
; FloatMode: 240
; IeeeMode: 1
; LDSByteSize: 0 bytes/workgroup (compile time only)
; SGPRBlocks: 0
; VGPRBlocks: 0
; NumSGPRsForWavesPerEU: 1
; NumVGPRsForWavesPerEU: 1
; NamedBarCnt: 0
; Occupancy: 16
; WaveLimiterHint : 0
; COMPUTE_PGM_RSRC2:SCRATCH_EN: 0
; COMPUTE_PGM_RSRC2:USER_SGPR: 2
; COMPUTE_PGM_RSRC2:TRAP_HANDLER: 0
; COMPUTE_PGM_RSRC2:TGID_X_EN: 1
; COMPUTE_PGM_RSRC2:TGID_Y_EN: 0
; COMPUTE_PGM_RSRC2:TGID_Z_EN: 0
; COMPUTE_PGM_RSRC2:TIDIG_COMP_CNT: 0
	.section	.text._ZN7rocprim17ROCPRIM_400000_NS6detail17trampoline_kernelINS0_14default_configENS1_35radix_sort_onesweep_config_selectorIlNS0_10empty_typeEEEZNS1_34radix_sort_onesweep_global_offsetsIS3_Lb0EPKlPS5_mNS0_19identity_decomposerEEE10hipError_tT1_T2_PT3_SF_jT4_jjP12ihipStream_tbEUlT_E0_NS1_11comp_targetILNS1_3genE10ELNS1_11target_archE1201ELNS1_3gpuE5ELNS1_3repE0EEENS1_52radix_sort_onesweep_histogram_config_static_selectorELNS0_4arch9wavefront6targetE0EEEvSD_,"axG",@progbits,_ZN7rocprim17ROCPRIM_400000_NS6detail17trampoline_kernelINS0_14default_configENS1_35radix_sort_onesweep_config_selectorIlNS0_10empty_typeEEEZNS1_34radix_sort_onesweep_global_offsetsIS3_Lb0EPKlPS5_mNS0_19identity_decomposerEEE10hipError_tT1_T2_PT3_SF_jT4_jjP12ihipStream_tbEUlT_E0_NS1_11comp_targetILNS1_3genE10ELNS1_11target_archE1201ELNS1_3gpuE5ELNS1_3repE0EEENS1_52radix_sort_onesweep_histogram_config_static_selectorELNS0_4arch9wavefront6targetE0EEEvSD_,comdat
	.protected	_ZN7rocprim17ROCPRIM_400000_NS6detail17trampoline_kernelINS0_14default_configENS1_35radix_sort_onesweep_config_selectorIlNS0_10empty_typeEEEZNS1_34radix_sort_onesweep_global_offsetsIS3_Lb0EPKlPS5_mNS0_19identity_decomposerEEE10hipError_tT1_T2_PT3_SF_jT4_jjP12ihipStream_tbEUlT_E0_NS1_11comp_targetILNS1_3genE10ELNS1_11target_archE1201ELNS1_3gpuE5ELNS1_3repE0EEENS1_52radix_sort_onesweep_histogram_config_static_selectorELNS0_4arch9wavefront6targetE0EEEvSD_ ; -- Begin function _ZN7rocprim17ROCPRIM_400000_NS6detail17trampoline_kernelINS0_14default_configENS1_35radix_sort_onesweep_config_selectorIlNS0_10empty_typeEEEZNS1_34radix_sort_onesweep_global_offsetsIS3_Lb0EPKlPS5_mNS0_19identity_decomposerEEE10hipError_tT1_T2_PT3_SF_jT4_jjP12ihipStream_tbEUlT_E0_NS1_11comp_targetILNS1_3genE10ELNS1_11target_archE1201ELNS1_3gpuE5ELNS1_3repE0EEENS1_52radix_sort_onesweep_histogram_config_static_selectorELNS0_4arch9wavefront6targetE0EEEvSD_
	.globl	_ZN7rocprim17ROCPRIM_400000_NS6detail17trampoline_kernelINS0_14default_configENS1_35radix_sort_onesweep_config_selectorIlNS0_10empty_typeEEEZNS1_34radix_sort_onesweep_global_offsetsIS3_Lb0EPKlPS5_mNS0_19identity_decomposerEEE10hipError_tT1_T2_PT3_SF_jT4_jjP12ihipStream_tbEUlT_E0_NS1_11comp_targetILNS1_3genE10ELNS1_11target_archE1201ELNS1_3gpuE5ELNS1_3repE0EEENS1_52radix_sort_onesweep_histogram_config_static_selectorELNS0_4arch9wavefront6targetE0EEEvSD_
	.p2align	8
	.type	_ZN7rocprim17ROCPRIM_400000_NS6detail17trampoline_kernelINS0_14default_configENS1_35radix_sort_onesweep_config_selectorIlNS0_10empty_typeEEEZNS1_34radix_sort_onesweep_global_offsetsIS3_Lb0EPKlPS5_mNS0_19identity_decomposerEEE10hipError_tT1_T2_PT3_SF_jT4_jjP12ihipStream_tbEUlT_E0_NS1_11comp_targetILNS1_3genE10ELNS1_11target_archE1201ELNS1_3gpuE5ELNS1_3repE0EEENS1_52radix_sort_onesweep_histogram_config_static_selectorELNS0_4arch9wavefront6targetE0EEEvSD_,@function
_ZN7rocprim17ROCPRIM_400000_NS6detail17trampoline_kernelINS0_14default_configENS1_35radix_sort_onesweep_config_selectorIlNS0_10empty_typeEEEZNS1_34radix_sort_onesweep_global_offsetsIS3_Lb0EPKlPS5_mNS0_19identity_decomposerEEE10hipError_tT1_T2_PT3_SF_jT4_jjP12ihipStream_tbEUlT_E0_NS1_11comp_targetILNS1_3genE10ELNS1_11target_archE1201ELNS1_3gpuE5ELNS1_3repE0EEENS1_52radix_sort_onesweep_histogram_config_static_selectorELNS0_4arch9wavefront6targetE0EEEvSD_: ; @_ZN7rocprim17ROCPRIM_400000_NS6detail17trampoline_kernelINS0_14default_configENS1_35radix_sort_onesweep_config_selectorIlNS0_10empty_typeEEEZNS1_34radix_sort_onesweep_global_offsetsIS3_Lb0EPKlPS5_mNS0_19identity_decomposerEEE10hipError_tT1_T2_PT3_SF_jT4_jjP12ihipStream_tbEUlT_E0_NS1_11comp_targetILNS1_3genE10ELNS1_11target_archE1201ELNS1_3gpuE5ELNS1_3repE0EEENS1_52radix_sort_onesweep_histogram_config_static_selectorELNS0_4arch9wavefront6targetE0EEEvSD_
; %bb.0:
	.section	.rodata,"a",@progbits
	.p2align	6, 0x0
	.amdhsa_kernel _ZN7rocprim17ROCPRIM_400000_NS6detail17trampoline_kernelINS0_14default_configENS1_35radix_sort_onesweep_config_selectorIlNS0_10empty_typeEEEZNS1_34radix_sort_onesweep_global_offsetsIS3_Lb0EPKlPS5_mNS0_19identity_decomposerEEE10hipError_tT1_T2_PT3_SF_jT4_jjP12ihipStream_tbEUlT_E0_NS1_11comp_targetILNS1_3genE10ELNS1_11target_archE1201ELNS1_3gpuE5ELNS1_3repE0EEENS1_52radix_sort_onesweep_histogram_config_static_selectorELNS0_4arch9wavefront6targetE0EEEvSD_
		.amdhsa_group_segment_fixed_size 0
		.amdhsa_private_segment_fixed_size 0
		.amdhsa_kernarg_size 8
		.amdhsa_user_sgpr_count 2
		.amdhsa_user_sgpr_dispatch_ptr 0
		.amdhsa_user_sgpr_queue_ptr 0
		.amdhsa_user_sgpr_kernarg_segment_ptr 1
		.amdhsa_user_sgpr_dispatch_id 0
		.amdhsa_user_sgpr_kernarg_preload_length 0
		.amdhsa_user_sgpr_kernarg_preload_offset 0
		.amdhsa_user_sgpr_private_segment_size 0
		.amdhsa_wavefront_size32 1
		.amdhsa_uses_dynamic_stack 0
		.amdhsa_enable_private_segment 0
		.amdhsa_system_sgpr_workgroup_id_x 1
		.amdhsa_system_sgpr_workgroup_id_y 0
		.amdhsa_system_sgpr_workgroup_id_z 0
		.amdhsa_system_sgpr_workgroup_info 0
		.amdhsa_system_vgpr_workitem_id 0
		.amdhsa_next_free_vgpr 1
		.amdhsa_next_free_sgpr 1
		.amdhsa_named_barrier_count 0
		.amdhsa_reserve_vcc 0
		.amdhsa_float_round_mode_32 0
		.amdhsa_float_round_mode_16_64 0
		.amdhsa_float_denorm_mode_32 3
		.amdhsa_float_denorm_mode_16_64 3
		.amdhsa_fp16_overflow 0
		.amdhsa_memory_ordered 1
		.amdhsa_forward_progress 1
		.amdhsa_inst_pref_size 0
		.amdhsa_round_robin_scheduling 0
		.amdhsa_exception_fp_ieee_invalid_op 0
		.amdhsa_exception_fp_denorm_src 0
		.amdhsa_exception_fp_ieee_div_zero 0
		.amdhsa_exception_fp_ieee_overflow 0
		.amdhsa_exception_fp_ieee_underflow 0
		.amdhsa_exception_fp_ieee_inexact 0
		.amdhsa_exception_int_div_zero 0
	.end_amdhsa_kernel
	.section	.text._ZN7rocprim17ROCPRIM_400000_NS6detail17trampoline_kernelINS0_14default_configENS1_35radix_sort_onesweep_config_selectorIlNS0_10empty_typeEEEZNS1_34radix_sort_onesweep_global_offsetsIS3_Lb0EPKlPS5_mNS0_19identity_decomposerEEE10hipError_tT1_T2_PT3_SF_jT4_jjP12ihipStream_tbEUlT_E0_NS1_11comp_targetILNS1_3genE10ELNS1_11target_archE1201ELNS1_3gpuE5ELNS1_3repE0EEENS1_52radix_sort_onesweep_histogram_config_static_selectorELNS0_4arch9wavefront6targetE0EEEvSD_,"axG",@progbits,_ZN7rocprim17ROCPRIM_400000_NS6detail17trampoline_kernelINS0_14default_configENS1_35radix_sort_onesweep_config_selectorIlNS0_10empty_typeEEEZNS1_34radix_sort_onesweep_global_offsetsIS3_Lb0EPKlPS5_mNS0_19identity_decomposerEEE10hipError_tT1_T2_PT3_SF_jT4_jjP12ihipStream_tbEUlT_E0_NS1_11comp_targetILNS1_3genE10ELNS1_11target_archE1201ELNS1_3gpuE5ELNS1_3repE0EEENS1_52radix_sort_onesweep_histogram_config_static_selectorELNS0_4arch9wavefront6targetE0EEEvSD_,comdat
.Lfunc_end1204:
	.size	_ZN7rocprim17ROCPRIM_400000_NS6detail17trampoline_kernelINS0_14default_configENS1_35radix_sort_onesweep_config_selectorIlNS0_10empty_typeEEEZNS1_34radix_sort_onesweep_global_offsetsIS3_Lb0EPKlPS5_mNS0_19identity_decomposerEEE10hipError_tT1_T2_PT3_SF_jT4_jjP12ihipStream_tbEUlT_E0_NS1_11comp_targetILNS1_3genE10ELNS1_11target_archE1201ELNS1_3gpuE5ELNS1_3repE0EEENS1_52radix_sort_onesweep_histogram_config_static_selectorELNS0_4arch9wavefront6targetE0EEEvSD_, .Lfunc_end1204-_ZN7rocprim17ROCPRIM_400000_NS6detail17trampoline_kernelINS0_14default_configENS1_35radix_sort_onesweep_config_selectorIlNS0_10empty_typeEEEZNS1_34radix_sort_onesweep_global_offsetsIS3_Lb0EPKlPS5_mNS0_19identity_decomposerEEE10hipError_tT1_T2_PT3_SF_jT4_jjP12ihipStream_tbEUlT_E0_NS1_11comp_targetILNS1_3genE10ELNS1_11target_archE1201ELNS1_3gpuE5ELNS1_3repE0EEENS1_52radix_sort_onesweep_histogram_config_static_selectorELNS0_4arch9wavefront6targetE0EEEvSD_
                                        ; -- End function
	.set _ZN7rocprim17ROCPRIM_400000_NS6detail17trampoline_kernelINS0_14default_configENS1_35radix_sort_onesweep_config_selectorIlNS0_10empty_typeEEEZNS1_34radix_sort_onesweep_global_offsetsIS3_Lb0EPKlPS5_mNS0_19identity_decomposerEEE10hipError_tT1_T2_PT3_SF_jT4_jjP12ihipStream_tbEUlT_E0_NS1_11comp_targetILNS1_3genE10ELNS1_11target_archE1201ELNS1_3gpuE5ELNS1_3repE0EEENS1_52radix_sort_onesweep_histogram_config_static_selectorELNS0_4arch9wavefront6targetE0EEEvSD_.num_vgpr, 0
	.set _ZN7rocprim17ROCPRIM_400000_NS6detail17trampoline_kernelINS0_14default_configENS1_35radix_sort_onesweep_config_selectorIlNS0_10empty_typeEEEZNS1_34radix_sort_onesweep_global_offsetsIS3_Lb0EPKlPS5_mNS0_19identity_decomposerEEE10hipError_tT1_T2_PT3_SF_jT4_jjP12ihipStream_tbEUlT_E0_NS1_11comp_targetILNS1_3genE10ELNS1_11target_archE1201ELNS1_3gpuE5ELNS1_3repE0EEENS1_52radix_sort_onesweep_histogram_config_static_selectorELNS0_4arch9wavefront6targetE0EEEvSD_.num_agpr, 0
	.set _ZN7rocprim17ROCPRIM_400000_NS6detail17trampoline_kernelINS0_14default_configENS1_35radix_sort_onesweep_config_selectorIlNS0_10empty_typeEEEZNS1_34radix_sort_onesweep_global_offsetsIS3_Lb0EPKlPS5_mNS0_19identity_decomposerEEE10hipError_tT1_T2_PT3_SF_jT4_jjP12ihipStream_tbEUlT_E0_NS1_11comp_targetILNS1_3genE10ELNS1_11target_archE1201ELNS1_3gpuE5ELNS1_3repE0EEENS1_52radix_sort_onesweep_histogram_config_static_selectorELNS0_4arch9wavefront6targetE0EEEvSD_.numbered_sgpr, 0
	.set _ZN7rocprim17ROCPRIM_400000_NS6detail17trampoline_kernelINS0_14default_configENS1_35radix_sort_onesweep_config_selectorIlNS0_10empty_typeEEEZNS1_34radix_sort_onesweep_global_offsetsIS3_Lb0EPKlPS5_mNS0_19identity_decomposerEEE10hipError_tT1_T2_PT3_SF_jT4_jjP12ihipStream_tbEUlT_E0_NS1_11comp_targetILNS1_3genE10ELNS1_11target_archE1201ELNS1_3gpuE5ELNS1_3repE0EEENS1_52radix_sort_onesweep_histogram_config_static_selectorELNS0_4arch9wavefront6targetE0EEEvSD_.num_named_barrier, 0
	.set _ZN7rocprim17ROCPRIM_400000_NS6detail17trampoline_kernelINS0_14default_configENS1_35radix_sort_onesweep_config_selectorIlNS0_10empty_typeEEEZNS1_34radix_sort_onesweep_global_offsetsIS3_Lb0EPKlPS5_mNS0_19identity_decomposerEEE10hipError_tT1_T2_PT3_SF_jT4_jjP12ihipStream_tbEUlT_E0_NS1_11comp_targetILNS1_3genE10ELNS1_11target_archE1201ELNS1_3gpuE5ELNS1_3repE0EEENS1_52radix_sort_onesweep_histogram_config_static_selectorELNS0_4arch9wavefront6targetE0EEEvSD_.private_seg_size, 0
	.set _ZN7rocprim17ROCPRIM_400000_NS6detail17trampoline_kernelINS0_14default_configENS1_35radix_sort_onesweep_config_selectorIlNS0_10empty_typeEEEZNS1_34radix_sort_onesweep_global_offsetsIS3_Lb0EPKlPS5_mNS0_19identity_decomposerEEE10hipError_tT1_T2_PT3_SF_jT4_jjP12ihipStream_tbEUlT_E0_NS1_11comp_targetILNS1_3genE10ELNS1_11target_archE1201ELNS1_3gpuE5ELNS1_3repE0EEENS1_52radix_sort_onesweep_histogram_config_static_selectorELNS0_4arch9wavefront6targetE0EEEvSD_.uses_vcc, 0
	.set _ZN7rocprim17ROCPRIM_400000_NS6detail17trampoline_kernelINS0_14default_configENS1_35radix_sort_onesweep_config_selectorIlNS0_10empty_typeEEEZNS1_34radix_sort_onesweep_global_offsetsIS3_Lb0EPKlPS5_mNS0_19identity_decomposerEEE10hipError_tT1_T2_PT3_SF_jT4_jjP12ihipStream_tbEUlT_E0_NS1_11comp_targetILNS1_3genE10ELNS1_11target_archE1201ELNS1_3gpuE5ELNS1_3repE0EEENS1_52radix_sort_onesweep_histogram_config_static_selectorELNS0_4arch9wavefront6targetE0EEEvSD_.uses_flat_scratch, 0
	.set _ZN7rocprim17ROCPRIM_400000_NS6detail17trampoline_kernelINS0_14default_configENS1_35radix_sort_onesweep_config_selectorIlNS0_10empty_typeEEEZNS1_34radix_sort_onesweep_global_offsetsIS3_Lb0EPKlPS5_mNS0_19identity_decomposerEEE10hipError_tT1_T2_PT3_SF_jT4_jjP12ihipStream_tbEUlT_E0_NS1_11comp_targetILNS1_3genE10ELNS1_11target_archE1201ELNS1_3gpuE5ELNS1_3repE0EEENS1_52radix_sort_onesweep_histogram_config_static_selectorELNS0_4arch9wavefront6targetE0EEEvSD_.has_dyn_sized_stack, 0
	.set _ZN7rocprim17ROCPRIM_400000_NS6detail17trampoline_kernelINS0_14default_configENS1_35radix_sort_onesweep_config_selectorIlNS0_10empty_typeEEEZNS1_34radix_sort_onesweep_global_offsetsIS3_Lb0EPKlPS5_mNS0_19identity_decomposerEEE10hipError_tT1_T2_PT3_SF_jT4_jjP12ihipStream_tbEUlT_E0_NS1_11comp_targetILNS1_3genE10ELNS1_11target_archE1201ELNS1_3gpuE5ELNS1_3repE0EEENS1_52radix_sort_onesweep_histogram_config_static_selectorELNS0_4arch9wavefront6targetE0EEEvSD_.has_recursion, 0
	.set _ZN7rocprim17ROCPRIM_400000_NS6detail17trampoline_kernelINS0_14default_configENS1_35radix_sort_onesweep_config_selectorIlNS0_10empty_typeEEEZNS1_34radix_sort_onesweep_global_offsetsIS3_Lb0EPKlPS5_mNS0_19identity_decomposerEEE10hipError_tT1_T2_PT3_SF_jT4_jjP12ihipStream_tbEUlT_E0_NS1_11comp_targetILNS1_3genE10ELNS1_11target_archE1201ELNS1_3gpuE5ELNS1_3repE0EEENS1_52radix_sort_onesweep_histogram_config_static_selectorELNS0_4arch9wavefront6targetE0EEEvSD_.has_indirect_call, 0
	.section	.AMDGPU.csdata,"",@progbits
; Kernel info:
; codeLenInByte = 0
; TotalNumSgprs: 0
; NumVgprs: 0
; ScratchSize: 0
; MemoryBound: 0
; FloatMode: 240
; IeeeMode: 1
; LDSByteSize: 0 bytes/workgroup (compile time only)
; SGPRBlocks: 0
; VGPRBlocks: 0
; NumSGPRsForWavesPerEU: 1
; NumVGPRsForWavesPerEU: 1
; NamedBarCnt: 0
; Occupancy: 16
; WaveLimiterHint : 0
; COMPUTE_PGM_RSRC2:SCRATCH_EN: 0
; COMPUTE_PGM_RSRC2:USER_SGPR: 2
; COMPUTE_PGM_RSRC2:TRAP_HANDLER: 0
; COMPUTE_PGM_RSRC2:TGID_X_EN: 1
; COMPUTE_PGM_RSRC2:TGID_Y_EN: 0
; COMPUTE_PGM_RSRC2:TGID_Z_EN: 0
; COMPUTE_PGM_RSRC2:TIDIG_COMP_CNT: 0
	.section	.text._ZN7rocprim17ROCPRIM_400000_NS6detail17trampoline_kernelINS0_14default_configENS1_35radix_sort_onesweep_config_selectorIlNS0_10empty_typeEEEZNS1_34radix_sort_onesweep_global_offsetsIS3_Lb0EPKlPS5_mNS0_19identity_decomposerEEE10hipError_tT1_T2_PT3_SF_jT4_jjP12ihipStream_tbEUlT_E0_NS1_11comp_targetILNS1_3genE9ELNS1_11target_archE1100ELNS1_3gpuE3ELNS1_3repE0EEENS1_52radix_sort_onesweep_histogram_config_static_selectorELNS0_4arch9wavefront6targetE0EEEvSD_,"axG",@progbits,_ZN7rocprim17ROCPRIM_400000_NS6detail17trampoline_kernelINS0_14default_configENS1_35radix_sort_onesweep_config_selectorIlNS0_10empty_typeEEEZNS1_34radix_sort_onesweep_global_offsetsIS3_Lb0EPKlPS5_mNS0_19identity_decomposerEEE10hipError_tT1_T2_PT3_SF_jT4_jjP12ihipStream_tbEUlT_E0_NS1_11comp_targetILNS1_3genE9ELNS1_11target_archE1100ELNS1_3gpuE3ELNS1_3repE0EEENS1_52radix_sort_onesweep_histogram_config_static_selectorELNS0_4arch9wavefront6targetE0EEEvSD_,comdat
	.protected	_ZN7rocprim17ROCPRIM_400000_NS6detail17trampoline_kernelINS0_14default_configENS1_35radix_sort_onesweep_config_selectorIlNS0_10empty_typeEEEZNS1_34radix_sort_onesweep_global_offsetsIS3_Lb0EPKlPS5_mNS0_19identity_decomposerEEE10hipError_tT1_T2_PT3_SF_jT4_jjP12ihipStream_tbEUlT_E0_NS1_11comp_targetILNS1_3genE9ELNS1_11target_archE1100ELNS1_3gpuE3ELNS1_3repE0EEENS1_52radix_sort_onesweep_histogram_config_static_selectorELNS0_4arch9wavefront6targetE0EEEvSD_ ; -- Begin function _ZN7rocprim17ROCPRIM_400000_NS6detail17trampoline_kernelINS0_14default_configENS1_35radix_sort_onesweep_config_selectorIlNS0_10empty_typeEEEZNS1_34radix_sort_onesweep_global_offsetsIS3_Lb0EPKlPS5_mNS0_19identity_decomposerEEE10hipError_tT1_T2_PT3_SF_jT4_jjP12ihipStream_tbEUlT_E0_NS1_11comp_targetILNS1_3genE9ELNS1_11target_archE1100ELNS1_3gpuE3ELNS1_3repE0EEENS1_52radix_sort_onesweep_histogram_config_static_selectorELNS0_4arch9wavefront6targetE0EEEvSD_
	.globl	_ZN7rocprim17ROCPRIM_400000_NS6detail17trampoline_kernelINS0_14default_configENS1_35radix_sort_onesweep_config_selectorIlNS0_10empty_typeEEEZNS1_34radix_sort_onesweep_global_offsetsIS3_Lb0EPKlPS5_mNS0_19identity_decomposerEEE10hipError_tT1_T2_PT3_SF_jT4_jjP12ihipStream_tbEUlT_E0_NS1_11comp_targetILNS1_3genE9ELNS1_11target_archE1100ELNS1_3gpuE3ELNS1_3repE0EEENS1_52radix_sort_onesweep_histogram_config_static_selectorELNS0_4arch9wavefront6targetE0EEEvSD_
	.p2align	8
	.type	_ZN7rocprim17ROCPRIM_400000_NS6detail17trampoline_kernelINS0_14default_configENS1_35radix_sort_onesweep_config_selectorIlNS0_10empty_typeEEEZNS1_34radix_sort_onesweep_global_offsetsIS3_Lb0EPKlPS5_mNS0_19identity_decomposerEEE10hipError_tT1_T2_PT3_SF_jT4_jjP12ihipStream_tbEUlT_E0_NS1_11comp_targetILNS1_3genE9ELNS1_11target_archE1100ELNS1_3gpuE3ELNS1_3repE0EEENS1_52radix_sort_onesweep_histogram_config_static_selectorELNS0_4arch9wavefront6targetE0EEEvSD_,@function
_ZN7rocprim17ROCPRIM_400000_NS6detail17trampoline_kernelINS0_14default_configENS1_35radix_sort_onesweep_config_selectorIlNS0_10empty_typeEEEZNS1_34radix_sort_onesweep_global_offsetsIS3_Lb0EPKlPS5_mNS0_19identity_decomposerEEE10hipError_tT1_T2_PT3_SF_jT4_jjP12ihipStream_tbEUlT_E0_NS1_11comp_targetILNS1_3genE9ELNS1_11target_archE1100ELNS1_3gpuE3ELNS1_3repE0EEENS1_52radix_sort_onesweep_histogram_config_static_selectorELNS0_4arch9wavefront6targetE0EEEvSD_: ; @_ZN7rocprim17ROCPRIM_400000_NS6detail17trampoline_kernelINS0_14default_configENS1_35radix_sort_onesweep_config_selectorIlNS0_10empty_typeEEEZNS1_34radix_sort_onesweep_global_offsetsIS3_Lb0EPKlPS5_mNS0_19identity_decomposerEEE10hipError_tT1_T2_PT3_SF_jT4_jjP12ihipStream_tbEUlT_E0_NS1_11comp_targetILNS1_3genE9ELNS1_11target_archE1100ELNS1_3gpuE3ELNS1_3repE0EEENS1_52radix_sort_onesweep_histogram_config_static_selectorELNS0_4arch9wavefront6targetE0EEEvSD_
; %bb.0:
	.section	.rodata,"a",@progbits
	.p2align	6, 0x0
	.amdhsa_kernel _ZN7rocprim17ROCPRIM_400000_NS6detail17trampoline_kernelINS0_14default_configENS1_35radix_sort_onesweep_config_selectorIlNS0_10empty_typeEEEZNS1_34radix_sort_onesweep_global_offsetsIS3_Lb0EPKlPS5_mNS0_19identity_decomposerEEE10hipError_tT1_T2_PT3_SF_jT4_jjP12ihipStream_tbEUlT_E0_NS1_11comp_targetILNS1_3genE9ELNS1_11target_archE1100ELNS1_3gpuE3ELNS1_3repE0EEENS1_52radix_sort_onesweep_histogram_config_static_selectorELNS0_4arch9wavefront6targetE0EEEvSD_
		.amdhsa_group_segment_fixed_size 0
		.amdhsa_private_segment_fixed_size 0
		.amdhsa_kernarg_size 8
		.amdhsa_user_sgpr_count 2
		.amdhsa_user_sgpr_dispatch_ptr 0
		.amdhsa_user_sgpr_queue_ptr 0
		.amdhsa_user_sgpr_kernarg_segment_ptr 1
		.amdhsa_user_sgpr_dispatch_id 0
		.amdhsa_user_sgpr_kernarg_preload_length 0
		.amdhsa_user_sgpr_kernarg_preload_offset 0
		.amdhsa_user_sgpr_private_segment_size 0
		.amdhsa_wavefront_size32 1
		.amdhsa_uses_dynamic_stack 0
		.amdhsa_enable_private_segment 0
		.amdhsa_system_sgpr_workgroup_id_x 1
		.amdhsa_system_sgpr_workgroup_id_y 0
		.amdhsa_system_sgpr_workgroup_id_z 0
		.amdhsa_system_sgpr_workgroup_info 0
		.amdhsa_system_vgpr_workitem_id 0
		.amdhsa_next_free_vgpr 1
		.amdhsa_next_free_sgpr 1
		.amdhsa_named_barrier_count 0
		.amdhsa_reserve_vcc 0
		.amdhsa_float_round_mode_32 0
		.amdhsa_float_round_mode_16_64 0
		.amdhsa_float_denorm_mode_32 3
		.amdhsa_float_denorm_mode_16_64 3
		.amdhsa_fp16_overflow 0
		.amdhsa_memory_ordered 1
		.amdhsa_forward_progress 1
		.amdhsa_inst_pref_size 0
		.amdhsa_round_robin_scheduling 0
		.amdhsa_exception_fp_ieee_invalid_op 0
		.amdhsa_exception_fp_denorm_src 0
		.amdhsa_exception_fp_ieee_div_zero 0
		.amdhsa_exception_fp_ieee_overflow 0
		.amdhsa_exception_fp_ieee_underflow 0
		.amdhsa_exception_fp_ieee_inexact 0
		.amdhsa_exception_int_div_zero 0
	.end_amdhsa_kernel
	.section	.text._ZN7rocprim17ROCPRIM_400000_NS6detail17trampoline_kernelINS0_14default_configENS1_35radix_sort_onesweep_config_selectorIlNS0_10empty_typeEEEZNS1_34radix_sort_onesweep_global_offsetsIS3_Lb0EPKlPS5_mNS0_19identity_decomposerEEE10hipError_tT1_T2_PT3_SF_jT4_jjP12ihipStream_tbEUlT_E0_NS1_11comp_targetILNS1_3genE9ELNS1_11target_archE1100ELNS1_3gpuE3ELNS1_3repE0EEENS1_52radix_sort_onesweep_histogram_config_static_selectorELNS0_4arch9wavefront6targetE0EEEvSD_,"axG",@progbits,_ZN7rocprim17ROCPRIM_400000_NS6detail17trampoline_kernelINS0_14default_configENS1_35radix_sort_onesweep_config_selectorIlNS0_10empty_typeEEEZNS1_34radix_sort_onesweep_global_offsetsIS3_Lb0EPKlPS5_mNS0_19identity_decomposerEEE10hipError_tT1_T2_PT3_SF_jT4_jjP12ihipStream_tbEUlT_E0_NS1_11comp_targetILNS1_3genE9ELNS1_11target_archE1100ELNS1_3gpuE3ELNS1_3repE0EEENS1_52radix_sort_onesweep_histogram_config_static_selectorELNS0_4arch9wavefront6targetE0EEEvSD_,comdat
.Lfunc_end1205:
	.size	_ZN7rocprim17ROCPRIM_400000_NS6detail17trampoline_kernelINS0_14default_configENS1_35radix_sort_onesweep_config_selectorIlNS0_10empty_typeEEEZNS1_34radix_sort_onesweep_global_offsetsIS3_Lb0EPKlPS5_mNS0_19identity_decomposerEEE10hipError_tT1_T2_PT3_SF_jT4_jjP12ihipStream_tbEUlT_E0_NS1_11comp_targetILNS1_3genE9ELNS1_11target_archE1100ELNS1_3gpuE3ELNS1_3repE0EEENS1_52radix_sort_onesweep_histogram_config_static_selectorELNS0_4arch9wavefront6targetE0EEEvSD_, .Lfunc_end1205-_ZN7rocprim17ROCPRIM_400000_NS6detail17trampoline_kernelINS0_14default_configENS1_35radix_sort_onesweep_config_selectorIlNS0_10empty_typeEEEZNS1_34radix_sort_onesweep_global_offsetsIS3_Lb0EPKlPS5_mNS0_19identity_decomposerEEE10hipError_tT1_T2_PT3_SF_jT4_jjP12ihipStream_tbEUlT_E0_NS1_11comp_targetILNS1_3genE9ELNS1_11target_archE1100ELNS1_3gpuE3ELNS1_3repE0EEENS1_52radix_sort_onesweep_histogram_config_static_selectorELNS0_4arch9wavefront6targetE0EEEvSD_
                                        ; -- End function
	.set _ZN7rocprim17ROCPRIM_400000_NS6detail17trampoline_kernelINS0_14default_configENS1_35radix_sort_onesweep_config_selectorIlNS0_10empty_typeEEEZNS1_34radix_sort_onesweep_global_offsetsIS3_Lb0EPKlPS5_mNS0_19identity_decomposerEEE10hipError_tT1_T2_PT3_SF_jT4_jjP12ihipStream_tbEUlT_E0_NS1_11comp_targetILNS1_3genE9ELNS1_11target_archE1100ELNS1_3gpuE3ELNS1_3repE0EEENS1_52radix_sort_onesweep_histogram_config_static_selectorELNS0_4arch9wavefront6targetE0EEEvSD_.num_vgpr, 0
	.set _ZN7rocprim17ROCPRIM_400000_NS6detail17trampoline_kernelINS0_14default_configENS1_35radix_sort_onesweep_config_selectorIlNS0_10empty_typeEEEZNS1_34radix_sort_onesweep_global_offsetsIS3_Lb0EPKlPS5_mNS0_19identity_decomposerEEE10hipError_tT1_T2_PT3_SF_jT4_jjP12ihipStream_tbEUlT_E0_NS1_11comp_targetILNS1_3genE9ELNS1_11target_archE1100ELNS1_3gpuE3ELNS1_3repE0EEENS1_52radix_sort_onesweep_histogram_config_static_selectorELNS0_4arch9wavefront6targetE0EEEvSD_.num_agpr, 0
	.set _ZN7rocprim17ROCPRIM_400000_NS6detail17trampoline_kernelINS0_14default_configENS1_35radix_sort_onesweep_config_selectorIlNS0_10empty_typeEEEZNS1_34radix_sort_onesweep_global_offsetsIS3_Lb0EPKlPS5_mNS0_19identity_decomposerEEE10hipError_tT1_T2_PT3_SF_jT4_jjP12ihipStream_tbEUlT_E0_NS1_11comp_targetILNS1_3genE9ELNS1_11target_archE1100ELNS1_3gpuE3ELNS1_3repE0EEENS1_52radix_sort_onesweep_histogram_config_static_selectorELNS0_4arch9wavefront6targetE0EEEvSD_.numbered_sgpr, 0
	.set _ZN7rocprim17ROCPRIM_400000_NS6detail17trampoline_kernelINS0_14default_configENS1_35radix_sort_onesweep_config_selectorIlNS0_10empty_typeEEEZNS1_34radix_sort_onesweep_global_offsetsIS3_Lb0EPKlPS5_mNS0_19identity_decomposerEEE10hipError_tT1_T2_PT3_SF_jT4_jjP12ihipStream_tbEUlT_E0_NS1_11comp_targetILNS1_3genE9ELNS1_11target_archE1100ELNS1_3gpuE3ELNS1_3repE0EEENS1_52radix_sort_onesweep_histogram_config_static_selectorELNS0_4arch9wavefront6targetE0EEEvSD_.num_named_barrier, 0
	.set _ZN7rocprim17ROCPRIM_400000_NS6detail17trampoline_kernelINS0_14default_configENS1_35radix_sort_onesweep_config_selectorIlNS0_10empty_typeEEEZNS1_34radix_sort_onesweep_global_offsetsIS3_Lb0EPKlPS5_mNS0_19identity_decomposerEEE10hipError_tT1_T2_PT3_SF_jT4_jjP12ihipStream_tbEUlT_E0_NS1_11comp_targetILNS1_3genE9ELNS1_11target_archE1100ELNS1_3gpuE3ELNS1_3repE0EEENS1_52radix_sort_onesweep_histogram_config_static_selectorELNS0_4arch9wavefront6targetE0EEEvSD_.private_seg_size, 0
	.set _ZN7rocprim17ROCPRIM_400000_NS6detail17trampoline_kernelINS0_14default_configENS1_35radix_sort_onesweep_config_selectorIlNS0_10empty_typeEEEZNS1_34radix_sort_onesweep_global_offsetsIS3_Lb0EPKlPS5_mNS0_19identity_decomposerEEE10hipError_tT1_T2_PT3_SF_jT4_jjP12ihipStream_tbEUlT_E0_NS1_11comp_targetILNS1_3genE9ELNS1_11target_archE1100ELNS1_3gpuE3ELNS1_3repE0EEENS1_52radix_sort_onesweep_histogram_config_static_selectorELNS0_4arch9wavefront6targetE0EEEvSD_.uses_vcc, 0
	.set _ZN7rocprim17ROCPRIM_400000_NS6detail17trampoline_kernelINS0_14default_configENS1_35radix_sort_onesweep_config_selectorIlNS0_10empty_typeEEEZNS1_34radix_sort_onesweep_global_offsetsIS3_Lb0EPKlPS5_mNS0_19identity_decomposerEEE10hipError_tT1_T2_PT3_SF_jT4_jjP12ihipStream_tbEUlT_E0_NS1_11comp_targetILNS1_3genE9ELNS1_11target_archE1100ELNS1_3gpuE3ELNS1_3repE0EEENS1_52radix_sort_onesweep_histogram_config_static_selectorELNS0_4arch9wavefront6targetE0EEEvSD_.uses_flat_scratch, 0
	.set _ZN7rocprim17ROCPRIM_400000_NS6detail17trampoline_kernelINS0_14default_configENS1_35radix_sort_onesweep_config_selectorIlNS0_10empty_typeEEEZNS1_34radix_sort_onesweep_global_offsetsIS3_Lb0EPKlPS5_mNS0_19identity_decomposerEEE10hipError_tT1_T2_PT3_SF_jT4_jjP12ihipStream_tbEUlT_E0_NS1_11comp_targetILNS1_3genE9ELNS1_11target_archE1100ELNS1_3gpuE3ELNS1_3repE0EEENS1_52radix_sort_onesweep_histogram_config_static_selectorELNS0_4arch9wavefront6targetE0EEEvSD_.has_dyn_sized_stack, 0
	.set _ZN7rocprim17ROCPRIM_400000_NS6detail17trampoline_kernelINS0_14default_configENS1_35radix_sort_onesweep_config_selectorIlNS0_10empty_typeEEEZNS1_34radix_sort_onesweep_global_offsetsIS3_Lb0EPKlPS5_mNS0_19identity_decomposerEEE10hipError_tT1_T2_PT3_SF_jT4_jjP12ihipStream_tbEUlT_E0_NS1_11comp_targetILNS1_3genE9ELNS1_11target_archE1100ELNS1_3gpuE3ELNS1_3repE0EEENS1_52radix_sort_onesweep_histogram_config_static_selectorELNS0_4arch9wavefront6targetE0EEEvSD_.has_recursion, 0
	.set _ZN7rocprim17ROCPRIM_400000_NS6detail17trampoline_kernelINS0_14default_configENS1_35radix_sort_onesweep_config_selectorIlNS0_10empty_typeEEEZNS1_34radix_sort_onesweep_global_offsetsIS3_Lb0EPKlPS5_mNS0_19identity_decomposerEEE10hipError_tT1_T2_PT3_SF_jT4_jjP12ihipStream_tbEUlT_E0_NS1_11comp_targetILNS1_3genE9ELNS1_11target_archE1100ELNS1_3gpuE3ELNS1_3repE0EEENS1_52radix_sort_onesweep_histogram_config_static_selectorELNS0_4arch9wavefront6targetE0EEEvSD_.has_indirect_call, 0
	.section	.AMDGPU.csdata,"",@progbits
; Kernel info:
; codeLenInByte = 0
; TotalNumSgprs: 0
; NumVgprs: 0
; ScratchSize: 0
; MemoryBound: 0
; FloatMode: 240
; IeeeMode: 1
; LDSByteSize: 0 bytes/workgroup (compile time only)
; SGPRBlocks: 0
; VGPRBlocks: 0
; NumSGPRsForWavesPerEU: 1
; NumVGPRsForWavesPerEU: 1
; NamedBarCnt: 0
; Occupancy: 16
; WaveLimiterHint : 0
; COMPUTE_PGM_RSRC2:SCRATCH_EN: 0
; COMPUTE_PGM_RSRC2:USER_SGPR: 2
; COMPUTE_PGM_RSRC2:TRAP_HANDLER: 0
; COMPUTE_PGM_RSRC2:TGID_X_EN: 1
; COMPUTE_PGM_RSRC2:TGID_Y_EN: 0
; COMPUTE_PGM_RSRC2:TGID_Z_EN: 0
; COMPUTE_PGM_RSRC2:TIDIG_COMP_CNT: 0
	.section	.text._ZN7rocprim17ROCPRIM_400000_NS6detail17trampoline_kernelINS0_14default_configENS1_35radix_sort_onesweep_config_selectorIlNS0_10empty_typeEEEZNS1_34radix_sort_onesweep_global_offsetsIS3_Lb0EPKlPS5_mNS0_19identity_decomposerEEE10hipError_tT1_T2_PT3_SF_jT4_jjP12ihipStream_tbEUlT_E0_NS1_11comp_targetILNS1_3genE8ELNS1_11target_archE1030ELNS1_3gpuE2ELNS1_3repE0EEENS1_52radix_sort_onesweep_histogram_config_static_selectorELNS0_4arch9wavefront6targetE0EEEvSD_,"axG",@progbits,_ZN7rocprim17ROCPRIM_400000_NS6detail17trampoline_kernelINS0_14default_configENS1_35radix_sort_onesweep_config_selectorIlNS0_10empty_typeEEEZNS1_34radix_sort_onesweep_global_offsetsIS3_Lb0EPKlPS5_mNS0_19identity_decomposerEEE10hipError_tT1_T2_PT3_SF_jT4_jjP12ihipStream_tbEUlT_E0_NS1_11comp_targetILNS1_3genE8ELNS1_11target_archE1030ELNS1_3gpuE2ELNS1_3repE0EEENS1_52radix_sort_onesweep_histogram_config_static_selectorELNS0_4arch9wavefront6targetE0EEEvSD_,comdat
	.protected	_ZN7rocprim17ROCPRIM_400000_NS6detail17trampoline_kernelINS0_14default_configENS1_35radix_sort_onesweep_config_selectorIlNS0_10empty_typeEEEZNS1_34radix_sort_onesweep_global_offsetsIS3_Lb0EPKlPS5_mNS0_19identity_decomposerEEE10hipError_tT1_T2_PT3_SF_jT4_jjP12ihipStream_tbEUlT_E0_NS1_11comp_targetILNS1_3genE8ELNS1_11target_archE1030ELNS1_3gpuE2ELNS1_3repE0EEENS1_52radix_sort_onesweep_histogram_config_static_selectorELNS0_4arch9wavefront6targetE0EEEvSD_ ; -- Begin function _ZN7rocprim17ROCPRIM_400000_NS6detail17trampoline_kernelINS0_14default_configENS1_35radix_sort_onesweep_config_selectorIlNS0_10empty_typeEEEZNS1_34radix_sort_onesweep_global_offsetsIS3_Lb0EPKlPS5_mNS0_19identity_decomposerEEE10hipError_tT1_T2_PT3_SF_jT4_jjP12ihipStream_tbEUlT_E0_NS1_11comp_targetILNS1_3genE8ELNS1_11target_archE1030ELNS1_3gpuE2ELNS1_3repE0EEENS1_52radix_sort_onesweep_histogram_config_static_selectorELNS0_4arch9wavefront6targetE0EEEvSD_
	.globl	_ZN7rocprim17ROCPRIM_400000_NS6detail17trampoline_kernelINS0_14default_configENS1_35radix_sort_onesweep_config_selectorIlNS0_10empty_typeEEEZNS1_34radix_sort_onesweep_global_offsetsIS3_Lb0EPKlPS5_mNS0_19identity_decomposerEEE10hipError_tT1_T2_PT3_SF_jT4_jjP12ihipStream_tbEUlT_E0_NS1_11comp_targetILNS1_3genE8ELNS1_11target_archE1030ELNS1_3gpuE2ELNS1_3repE0EEENS1_52radix_sort_onesweep_histogram_config_static_selectorELNS0_4arch9wavefront6targetE0EEEvSD_
	.p2align	8
	.type	_ZN7rocprim17ROCPRIM_400000_NS6detail17trampoline_kernelINS0_14default_configENS1_35radix_sort_onesweep_config_selectorIlNS0_10empty_typeEEEZNS1_34radix_sort_onesweep_global_offsetsIS3_Lb0EPKlPS5_mNS0_19identity_decomposerEEE10hipError_tT1_T2_PT3_SF_jT4_jjP12ihipStream_tbEUlT_E0_NS1_11comp_targetILNS1_3genE8ELNS1_11target_archE1030ELNS1_3gpuE2ELNS1_3repE0EEENS1_52radix_sort_onesweep_histogram_config_static_selectorELNS0_4arch9wavefront6targetE0EEEvSD_,@function
_ZN7rocprim17ROCPRIM_400000_NS6detail17trampoline_kernelINS0_14default_configENS1_35radix_sort_onesweep_config_selectorIlNS0_10empty_typeEEEZNS1_34radix_sort_onesweep_global_offsetsIS3_Lb0EPKlPS5_mNS0_19identity_decomposerEEE10hipError_tT1_T2_PT3_SF_jT4_jjP12ihipStream_tbEUlT_E0_NS1_11comp_targetILNS1_3genE8ELNS1_11target_archE1030ELNS1_3gpuE2ELNS1_3repE0EEENS1_52radix_sort_onesweep_histogram_config_static_selectorELNS0_4arch9wavefront6targetE0EEEvSD_: ; @_ZN7rocprim17ROCPRIM_400000_NS6detail17trampoline_kernelINS0_14default_configENS1_35radix_sort_onesweep_config_selectorIlNS0_10empty_typeEEEZNS1_34radix_sort_onesweep_global_offsetsIS3_Lb0EPKlPS5_mNS0_19identity_decomposerEEE10hipError_tT1_T2_PT3_SF_jT4_jjP12ihipStream_tbEUlT_E0_NS1_11comp_targetILNS1_3genE8ELNS1_11target_archE1030ELNS1_3gpuE2ELNS1_3repE0EEENS1_52radix_sort_onesweep_histogram_config_static_selectorELNS0_4arch9wavefront6targetE0EEEvSD_
; %bb.0:
	.section	.rodata,"a",@progbits
	.p2align	6, 0x0
	.amdhsa_kernel _ZN7rocprim17ROCPRIM_400000_NS6detail17trampoline_kernelINS0_14default_configENS1_35radix_sort_onesweep_config_selectorIlNS0_10empty_typeEEEZNS1_34radix_sort_onesweep_global_offsetsIS3_Lb0EPKlPS5_mNS0_19identity_decomposerEEE10hipError_tT1_T2_PT3_SF_jT4_jjP12ihipStream_tbEUlT_E0_NS1_11comp_targetILNS1_3genE8ELNS1_11target_archE1030ELNS1_3gpuE2ELNS1_3repE0EEENS1_52radix_sort_onesweep_histogram_config_static_selectorELNS0_4arch9wavefront6targetE0EEEvSD_
		.amdhsa_group_segment_fixed_size 0
		.amdhsa_private_segment_fixed_size 0
		.amdhsa_kernarg_size 8
		.amdhsa_user_sgpr_count 2
		.amdhsa_user_sgpr_dispatch_ptr 0
		.amdhsa_user_sgpr_queue_ptr 0
		.amdhsa_user_sgpr_kernarg_segment_ptr 1
		.amdhsa_user_sgpr_dispatch_id 0
		.amdhsa_user_sgpr_kernarg_preload_length 0
		.amdhsa_user_sgpr_kernarg_preload_offset 0
		.amdhsa_user_sgpr_private_segment_size 0
		.amdhsa_wavefront_size32 1
		.amdhsa_uses_dynamic_stack 0
		.amdhsa_enable_private_segment 0
		.amdhsa_system_sgpr_workgroup_id_x 1
		.amdhsa_system_sgpr_workgroup_id_y 0
		.amdhsa_system_sgpr_workgroup_id_z 0
		.amdhsa_system_sgpr_workgroup_info 0
		.amdhsa_system_vgpr_workitem_id 0
		.amdhsa_next_free_vgpr 1
		.amdhsa_next_free_sgpr 1
		.amdhsa_named_barrier_count 0
		.amdhsa_reserve_vcc 0
		.amdhsa_float_round_mode_32 0
		.amdhsa_float_round_mode_16_64 0
		.amdhsa_float_denorm_mode_32 3
		.amdhsa_float_denorm_mode_16_64 3
		.amdhsa_fp16_overflow 0
		.amdhsa_memory_ordered 1
		.amdhsa_forward_progress 1
		.amdhsa_inst_pref_size 0
		.amdhsa_round_robin_scheduling 0
		.amdhsa_exception_fp_ieee_invalid_op 0
		.amdhsa_exception_fp_denorm_src 0
		.amdhsa_exception_fp_ieee_div_zero 0
		.amdhsa_exception_fp_ieee_overflow 0
		.amdhsa_exception_fp_ieee_underflow 0
		.amdhsa_exception_fp_ieee_inexact 0
		.amdhsa_exception_int_div_zero 0
	.end_amdhsa_kernel
	.section	.text._ZN7rocprim17ROCPRIM_400000_NS6detail17trampoline_kernelINS0_14default_configENS1_35radix_sort_onesweep_config_selectorIlNS0_10empty_typeEEEZNS1_34radix_sort_onesweep_global_offsetsIS3_Lb0EPKlPS5_mNS0_19identity_decomposerEEE10hipError_tT1_T2_PT3_SF_jT4_jjP12ihipStream_tbEUlT_E0_NS1_11comp_targetILNS1_3genE8ELNS1_11target_archE1030ELNS1_3gpuE2ELNS1_3repE0EEENS1_52radix_sort_onesweep_histogram_config_static_selectorELNS0_4arch9wavefront6targetE0EEEvSD_,"axG",@progbits,_ZN7rocprim17ROCPRIM_400000_NS6detail17trampoline_kernelINS0_14default_configENS1_35radix_sort_onesweep_config_selectorIlNS0_10empty_typeEEEZNS1_34radix_sort_onesweep_global_offsetsIS3_Lb0EPKlPS5_mNS0_19identity_decomposerEEE10hipError_tT1_T2_PT3_SF_jT4_jjP12ihipStream_tbEUlT_E0_NS1_11comp_targetILNS1_3genE8ELNS1_11target_archE1030ELNS1_3gpuE2ELNS1_3repE0EEENS1_52radix_sort_onesweep_histogram_config_static_selectorELNS0_4arch9wavefront6targetE0EEEvSD_,comdat
.Lfunc_end1206:
	.size	_ZN7rocprim17ROCPRIM_400000_NS6detail17trampoline_kernelINS0_14default_configENS1_35radix_sort_onesweep_config_selectorIlNS0_10empty_typeEEEZNS1_34radix_sort_onesweep_global_offsetsIS3_Lb0EPKlPS5_mNS0_19identity_decomposerEEE10hipError_tT1_T2_PT3_SF_jT4_jjP12ihipStream_tbEUlT_E0_NS1_11comp_targetILNS1_3genE8ELNS1_11target_archE1030ELNS1_3gpuE2ELNS1_3repE0EEENS1_52radix_sort_onesweep_histogram_config_static_selectorELNS0_4arch9wavefront6targetE0EEEvSD_, .Lfunc_end1206-_ZN7rocprim17ROCPRIM_400000_NS6detail17trampoline_kernelINS0_14default_configENS1_35radix_sort_onesweep_config_selectorIlNS0_10empty_typeEEEZNS1_34radix_sort_onesweep_global_offsetsIS3_Lb0EPKlPS5_mNS0_19identity_decomposerEEE10hipError_tT1_T2_PT3_SF_jT4_jjP12ihipStream_tbEUlT_E0_NS1_11comp_targetILNS1_3genE8ELNS1_11target_archE1030ELNS1_3gpuE2ELNS1_3repE0EEENS1_52radix_sort_onesweep_histogram_config_static_selectorELNS0_4arch9wavefront6targetE0EEEvSD_
                                        ; -- End function
	.set _ZN7rocprim17ROCPRIM_400000_NS6detail17trampoline_kernelINS0_14default_configENS1_35radix_sort_onesweep_config_selectorIlNS0_10empty_typeEEEZNS1_34radix_sort_onesweep_global_offsetsIS3_Lb0EPKlPS5_mNS0_19identity_decomposerEEE10hipError_tT1_T2_PT3_SF_jT4_jjP12ihipStream_tbEUlT_E0_NS1_11comp_targetILNS1_3genE8ELNS1_11target_archE1030ELNS1_3gpuE2ELNS1_3repE0EEENS1_52radix_sort_onesweep_histogram_config_static_selectorELNS0_4arch9wavefront6targetE0EEEvSD_.num_vgpr, 0
	.set _ZN7rocprim17ROCPRIM_400000_NS6detail17trampoline_kernelINS0_14default_configENS1_35radix_sort_onesweep_config_selectorIlNS0_10empty_typeEEEZNS1_34radix_sort_onesweep_global_offsetsIS3_Lb0EPKlPS5_mNS0_19identity_decomposerEEE10hipError_tT1_T2_PT3_SF_jT4_jjP12ihipStream_tbEUlT_E0_NS1_11comp_targetILNS1_3genE8ELNS1_11target_archE1030ELNS1_3gpuE2ELNS1_3repE0EEENS1_52radix_sort_onesweep_histogram_config_static_selectorELNS0_4arch9wavefront6targetE0EEEvSD_.num_agpr, 0
	.set _ZN7rocprim17ROCPRIM_400000_NS6detail17trampoline_kernelINS0_14default_configENS1_35radix_sort_onesweep_config_selectorIlNS0_10empty_typeEEEZNS1_34radix_sort_onesweep_global_offsetsIS3_Lb0EPKlPS5_mNS0_19identity_decomposerEEE10hipError_tT1_T2_PT3_SF_jT4_jjP12ihipStream_tbEUlT_E0_NS1_11comp_targetILNS1_3genE8ELNS1_11target_archE1030ELNS1_3gpuE2ELNS1_3repE0EEENS1_52radix_sort_onesweep_histogram_config_static_selectorELNS0_4arch9wavefront6targetE0EEEvSD_.numbered_sgpr, 0
	.set _ZN7rocprim17ROCPRIM_400000_NS6detail17trampoline_kernelINS0_14default_configENS1_35radix_sort_onesweep_config_selectorIlNS0_10empty_typeEEEZNS1_34radix_sort_onesweep_global_offsetsIS3_Lb0EPKlPS5_mNS0_19identity_decomposerEEE10hipError_tT1_T2_PT3_SF_jT4_jjP12ihipStream_tbEUlT_E0_NS1_11comp_targetILNS1_3genE8ELNS1_11target_archE1030ELNS1_3gpuE2ELNS1_3repE0EEENS1_52radix_sort_onesweep_histogram_config_static_selectorELNS0_4arch9wavefront6targetE0EEEvSD_.num_named_barrier, 0
	.set _ZN7rocprim17ROCPRIM_400000_NS6detail17trampoline_kernelINS0_14default_configENS1_35radix_sort_onesweep_config_selectorIlNS0_10empty_typeEEEZNS1_34radix_sort_onesweep_global_offsetsIS3_Lb0EPKlPS5_mNS0_19identity_decomposerEEE10hipError_tT1_T2_PT3_SF_jT4_jjP12ihipStream_tbEUlT_E0_NS1_11comp_targetILNS1_3genE8ELNS1_11target_archE1030ELNS1_3gpuE2ELNS1_3repE0EEENS1_52radix_sort_onesweep_histogram_config_static_selectorELNS0_4arch9wavefront6targetE0EEEvSD_.private_seg_size, 0
	.set _ZN7rocprim17ROCPRIM_400000_NS6detail17trampoline_kernelINS0_14default_configENS1_35radix_sort_onesweep_config_selectorIlNS0_10empty_typeEEEZNS1_34radix_sort_onesweep_global_offsetsIS3_Lb0EPKlPS5_mNS0_19identity_decomposerEEE10hipError_tT1_T2_PT3_SF_jT4_jjP12ihipStream_tbEUlT_E0_NS1_11comp_targetILNS1_3genE8ELNS1_11target_archE1030ELNS1_3gpuE2ELNS1_3repE0EEENS1_52radix_sort_onesweep_histogram_config_static_selectorELNS0_4arch9wavefront6targetE0EEEvSD_.uses_vcc, 0
	.set _ZN7rocprim17ROCPRIM_400000_NS6detail17trampoline_kernelINS0_14default_configENS1_35radix_sort_onesweep_config_selectorIlNS0_10empty_typeEEEZNS1_34radix_sort_onesweep_global_offsetsIS3_Lb0EPKlPS5_mNS0_19identity_decomposerEEE10hipError_tT1_T2_PT3_SF_jT4_jjP12ihipStream_tbEUlT_E0_NS1_11comp_targetILNS1_3genE8ELNS1_11target_archE1030ELNS1_3gpuE2ELNS1_3repE0EEENS1_52radix_sort_onesweep_histogram_config_static_selectorELNS0_4arch9wavefront6targetE0EEEvSD_.uses_flat_scratch, 0
	.set _ZN7rocprim17ROCPRIM_400000_NS6detail17trampoline_kernelINS0_14default_configENS1_35radix_sort_onesweep_config_selectorIlNS0_10empty_typeEEEZNS1_34radix_sort_onesweep_global_offsetsIS3_Lb0EPKlPS5_mNS0_19identity_decomposerEEE10hipError_tT1_T2_PT3_SF_jT4_jjP12ihipStream_tbEUlT_E0_NS1_11comp_targetILNS1_3genE8ELNS1_11target_archE1030ELNS1_3gpuE2ELNS1_3repE0EEENS1_52radix_sort_onesweep_histogram_config_static_selectorELNS0_4arch9wavefront6targetE0EEEvSD_.has_dyn_sized_stack, 0
	.set _ZN7rocprim17ROCPRIM_400000_NS6detail17trampoline_kernelINS0_14default_configENS1_35radix_sort_onesweep_config_selectorIlNS0_10empty_typeEEEZNS1_34radix_sort_onesweep_global_offsetsIS3_Lb0EPKlPS5_mNS0_19identity_decomposerEEE10hipError_tT1_T2_PT3_SF_jT4_jjP12ihipStream_tbEUlT_E0_NS1_11comp_targetILNS1_3genE8ELNS1_11target_archE1030ELNS1_3gpuE2ELNS1_3repE0EEENS1_52radix_sort_onesweep_histogram_config_static_selectorELNS0_4arch9wavefront6targetE0EEEvSD_.has_recursion, 0
	.set _ZN7rocprim17ROCPRIM_400000_NS6detail17trampoline_kernelINS0_14default_configENS1_35radix_sort_onesweep_config_selectorIlNS0_10empty_typeEEEZNS1_34radix_sort_onesweep_global_offsetsIS3_Lb0EPKlPS5_mNS0_19identity_decomposerEEE10hipError_tT1_T2_PT3_SF_jT4_jjP12ihipStream_tbEUlT_E0_NS1_11comp_targetILNS1_3genE8ELNS1_11target_archE1030ELNS1_3gpuE2ELNS1_3repE0EEENS1_52radix_sort_onesweep_histogram_config_static_selectorELNS0_4arch9wavefront6targetE0EEEvSD_.has_indirect_call, 0
	.section	.AMDGPU.csdata,"",@progbits
; Kernel info:
; codeLenInByte = 0
; TotalNumSgprs: 0
; NumVgprs: 0
; ScratchSize: 0
; MemoryBound: 0
; FloatMode: 240
; IeeeMode: 1
; LDSByteSize: 0 bytes/workgroup (compile time only)
; SGPRBlocks: 0
; VGPRBlocks: 0
; NumSGPRsForWavesPerEU: 1
; NumVGPRsForWavesPerEU: 1
; NamedBarCnt: 0
; Occupancy: 16
; WaveLimiterHint : 0
; COMPUTE_PGM_RSRC2:SCRATCH_EN: 0
; COMPUTE_PGM_RSRC2:USER_SGPR: 2
; COMPUTE_PGM_RSRC2:TRAP_HANDLER: 0
; COMPUTE_PGM_RSRC2:TGID_X_EN: 1
; COMPUTE_PGM_RSRC2:TGID_Y_EN: 0
; COMPUTE_PGM_RSRC2:TGID_Z_EN: 0
; COMPUTE_PGM_RSRC2:TIDIG_COMP_CNT: 0
	.section	.text._ZN7rocprim17ROCPRIM_400000_NS6detail17trampoline_kernelINS0_14default_configENS1_35radix_sort_onesweep_config_selectorIlNS0_10empty_typeEEEZZNS1_29radix_sort_onesweep_iterationIS3_Lb0EPKlPlPS5_SB_mNS0_19identity_decomposerENS1_16block_id_wrapperIjLb1EEEEE10hipError_tT1_PNSt15iterator_traitsISG_E10value_typeET2_T3_PNSH_ISM_E10value_typeET4_T5_PSR_SS_PNS1_23onesweep_lookback_stateEbbT6_jjT7_P12ihipStream_tbENKUlT_T0_SG_SL_E_clIS9_SA_SB_SB_EEDaSZ_S10_SG_SL_EUlSZ_E_NS1_11comp_targetILNS1_3genE0ELNS1_11target_archE4294967295ELNS1_3gpuE0ELNS1_3repE0EEENS1_47radix_sort_onesweep_sort_config_static_selectorELNS0_4arch9wavefront6targetE0EEEvSG_,"axG",@progbits,_ZN7rocprim17ROCPRIM_400000_NS6detail17trampoline_kernelINS0_14default_configENS1_35radix_sort_onesweep_config_selectorIlNS0_10empty_typeEEEZZNS1_29radix_sort_onesweep_iterationIS3_Lb0EPKlPlPS5_SB_mNS0_19identity_decomposerENS1_16block_id_wrapperIjLb1EEEEE10hipError_tT1_PNSt15iterator_traitsISG_E10value_typeET2_T3_PNSH_ISM_E10value_typeET4_T5_PSR_SS_PNS1_23onesweep_lookback_stateEbbT6_jjT7_P12ihipStream_tbENKUlT_T0_SG_SL_E_clIS9_SA_SB_SB_EEDaSZ_S10_SG_SL_EUlSZ_E_NS1_11comp_targetILNS1_3genE0ELNS1_11target_archE4294967295ELNS1_3gpuE0ELNS1_3repE0EEENS1_47radix_sort_onesweep_sort_config_static_selectorELNS0_4arch9wavefront6targetE0EEEvSG_,comdat
	.protected	_ZN7rocprim17ROCPRIM_400000_NS6detail17trampoline_kernelINS0_14default_configENS1_35radix_sort_onesweep_config_selectorIlNS0_10empty_typeEEEZZNS1_29radix_sort_onesweep_iterationIS3_Lb0EPKlPlPS5_SB_mNS0_19identity_decomposerENS1_16block_id_wrapperIjLb1EEEEE10hipError_tT1_PNSt15iterator_traitsISG_E10value_typeET2_T3_PNSH_ISM_E10value_typeET4_T5_PSR_SS_PNS1_23onesweep_lookback_stateEbbT6_jjT7_P12ihipStream_tbENKUlT_T0_SG_SL_E_clIS9_SA_SB_SB_EEDaSZ_S10_SG_SL_EUlSZ_E_NS1_11comp_targetILNS1_3genE0ELNS1_11target_archE4294967295ELNS1_3gpuE0ELNS1_3repE0EEENS1_47radix_sort_onesweep_sort_config_static_selectorELNS0_4arch9wavefront6targetE0EEEvSG_ ; -- Begin function _ZN7rocprim17ROCPRIM_400000_NS6detail17trampoline_kernelINS0_14default_configENS1_35radix_sort_onesweep_config_selectorIlNS0_10empty_typeEEEZZNS1_29radix_sort_onesweep_iterationIS3_Lb0EPKlPlPS5_SB_mNS0_19identity_decomposerENS1_16block_id_wrapperIjLb1EEEEE10hipError_tT1_PNSt15iterator_traitsISG_E10value_typeET2_T3_PNSH_ISM_E10value_typeET4_T5_PSR_SS_PNS1_23onesweep_lookback_stateEbbT6_jjT7_P12ihipStream_tbENKUlT_T0_SG_SL_E_clIS9_SA_SB_SB_EEDaSZ_S10_SG_SL_EUlSZ_E_NS1_11comp_targetILNS1_3genE0ELNS1_11target_archE4294967295ELNS1_3gpuE0ELNS1_3repE0EEENS1_47radix_sort_onesweep_sort_config_static_selectorELNS0_4arch9wavefront6targetE0EEEvSG_
	.globl	_ZN7rocprim17ROCPRIM_400000_NS6detail17trampoline_kernelINS0_14default_configENS1_35radix_sort_onesweep_config_selectorIlNS0_10empty_typeEEEZZNS1_29radix_sort_onesweep_iterationIS3_Lb0EPKlPlPS5_SB_mNS0_19identity_decomposerENS1_16block_id_wrapperIjLb1EEEEE10hipError_tT1_PNSt15iterator_traitsISG_E10value_typeET2_T3_PNSH_ISM_E10value_typeET4_T5_PSR_SS_PNS1_23onesweep_lookback_stateEbbT6_jjT7_P12ihipStream_tbENKUlT_T0_SG_SL_E_clIS9_SA_SB_SB_EEDaSZ_S10_SG_SL_EUlSZ_E_NS1_11comp_targetILNS1_3genE0ELNS1_11target_archE4294967295ELNS1_3gpuE0ELNS1_3repE0EEENS1_47radix_sort_onesweep_sort_config_static_selectorELNS0_4arch9wavefront6targetE0EEEvSG_
	.p2align	8
	.type	_ZN7rocprim17ROCPRIM_400000_NS6detail17trampoline_kernelINS0_14default_configENS1_35radix_sort_onesweep_config_selectorIlNS0_10empty_typeEEEZZNS1_29radix_sort_onesweep_iterationIS3_Lb0EPKlPlPS5_SB_mNS0_19identity_decomposerENS1_16block_id_wrapperIjLb1EEEEE10hipError_tT1_PNSt15iterator_traitsISG_E10value_typeET2_T3_PNSH_ISM_E10value_typeET4_T5_PSR_SS_PNS1_23onesweep_lookback_stateEbbT6_jjT7_P12ihipStream_tbENKUlT_T0_SG_SL_E_clIS9_SA_SB_SB_EEDaSZ_S10_SG_SL_EUlSZ_E_NS1_11comp_targetILNS1_3genE0ELNS1_11target_archE4294967295ELNS1_3gpuE0ELNS1_3repE0EEENS1_47radix_sort_onesweep_sort_config_static_selectorELNS0_4arch9wavefront6targetE0EEEvSG_,@function
_ZN7rocprim17ROCPRIM_400000_NS6detail17trampoline_kernelINS0_14default_configENS1_35radix_sort_onesweep_config_selectorIlNS0_10empty_typeEEEZZNS1_29radix_sort_onesweep_iterationIS3_Lb0EPKlPlPS5_SB_mNS0_19identity_decomposerENS1_16block_id_wrapperIjLb1EEEEE10hipError_tT1_PNSt15iterator_traitsISG_E10value_typeET2_T3_PNSH_ISM_E10value_typeET4_T5_PSR_SS_PNS1_23onesweep_lookback_stateEbbT6_jjT7_P12ihipStream_tbENKUlT_T0_SG_SL_E_clIS9_SA_SB_SB_EEDaSZ_S10_SG_SL_EUlSZ_E_NS1_11comp_targetILNS1_3genE0ELNS1_11target_archE4294967295ELNS1_3gpuE0ELNS1_3repE0EEENS1_47radix_sort_onesweep_sort_config_static_selectorELNS0_4arch9wavefront6targetE0EEEvSG_: ; @_ZN7rocprim17ROCPRIM_400000_NS6detail17trampoline_kernelINS0_14default_configENS1_35radix_sort_onesweep_config_selectorIlNS0_10empty_typeEEEZZNS1_29radix_sort_onesweep_iterationIS3_Lb0EPKlPlPS5_SB_mNS0_19identity_decomposerENS1_16block_id_wrapperIjLb1EEEEE10hipError_tT1_PNSt15iterator_traitsISG_E10value_typeET2_T3_PNSH_ISM_E10value_typeET4_T5_PSR_SS_PNS1_23onesweep_lookback_stateEbbT6_jjT7_P12ihipStream_tbENKUlT_T0_SG_SL_E_clIS9_SA_SB_SB_EEDaSZ_S10_SG_SL_EUlSZ_E_NS1_11comp_targetILNS1_3genE0ELNS1_11target_archE4294967295ELNS1_3gpuE0ELNS1_3repE0EEENS1_47radix_sort_onesweep_sort_config_static_selectorELNS0_4arch9wavefront6targetE0EEEvSG_
; %bb.0:
	s_clause 0x1
	s_load_b128 s[8:11], s[0:1], 0x28
	s_load_b64 s[20:21], s[0:1], 0x38
	v_and_b32_e32 v32, 0x3ff, v0
	s_delay_alu instid0(VALU_DEP_1)
	v_cmp_eq_u32_e64 s2, 0, v32
	s_and_saveexec_b32 s3, s2
	s_cbranch_execz .LBB1207_4
; %bb.1:
	s_mov_b32 s5, exec_lo
	s_mov_b32 s4, exec_lo
	v_mbcnt_lo_u32_b32 v1, s5, 0
                                        ; implicit-def: $vgpr2
	s_delay_alu instid0(VALU_DEP_1)
	v_cmpx_eq_u32_e32 0, v1
	s_cbranch_execz .LBB1207_3
; %bb.2:
	s_load_b64 s[6:7], s[0:1], 0x50
	s_bcnt1_i32_b32 s5, s5
	s_delay_alu instid0(SALU_CYCLE_1)
	v_dual_mov_b32 v2, 0 :: v_dual_mov_b32 v3, s5
	s_wait_xcnt 0x0
	s_wait_kmcnt 0x0
	global_atomic_add_u32 v2, v2, v3, s[6:7] th:TH_ATOMIC_RETURN scope:SCOPE_DEV
.LBB1207_3:
	s_wait_xcnt 0x0
	s_or_b32 exec_lo, exec_lo, s4
	s_wait_loadcnt 0x0
	v_readfirstlane_b32 s4, v2
	s_delay_alu instid0(VALU_DEP_1)
	v_dual_mov_b32 v2, 0 :: v_dual_add_nc_u32 v1, s4, v1
	ds_store_b32 v2, v1 offset:18496
.LBB1207_4:
	s_or_b32 exec_lo, exec_lo, s3
	v_dual_mov_b32 v7, 0 :: v_dual_lshlrev_b32 v2, 3, v32
	s_clause 0x2
	s_load_b128 s[12:15], s[0:1], 0x0
	s_load_b32 s3, s[0:1], 0x20
	s_load_b96 s[16:18], s[0:1], 0x44
	s_wait_dscnt 0x0
	s_barrier_signal -1
	s_barrier_wait -1
	ds_load_b32 v1, v7 offset:18496
	v_mbcnt_lo_u32_b32 v33, -1, 0
	s_mov_b32 s4, -1
	s_add_nc_u64 s[22:23], s[0:1], 0x58
	s_getreg_b32 s7, hwreg(HW_REG_IB_STS2, 6, 4)
	s_wait_dscnt 0x0
	s_barrier_signal -1
	s_barrier_wait -1
	s_wait_kmcnt 0x0
	v_cmp_le_u32_e32 vcc_lo, s18, v1
	v_readfirstlane_b32 s19, v1
	s_cbranch_vccz .LBB1207_70
; %bb.5:
	s_lshl_b32 s4, s19, 12
	s_mov_b32 s5, 0
	v_lshlrev_b32_e32 v6, 3, v33
	s_lshl_b64 s[4:5], s[4:5], 3
	v_and_b32_e32 v1, 0x1f00, v2
	s_add_nc_u64 s[4:5], s[12:13], s[4:5]
	v_mov_b64_e32 v[4:5], -1
	v_add_nc_u64_e32 v[8:9], s[4:5], v[6:7]
	s_lshl_b32 s4, s18, 12
	v_dual_lshlrev_b32 v6, 3, v1 :: v_dual_bitop2_b32 v1, v33, v1 bitop3:0x54
	s_sub_co_i32 s18, s3, s4
	s_mov_b32 s3, exec_lo
	s_delay_alu instid0(VALU_DEP_1)
	v_add_nc_u64_e32 v[20:21], v[8:9], v[6:7]
	v_mov_b64_e32 v[6:7], -1
	v_cmpx_gt_u32_e64 s18, v1
	s_cbranch_execz .LBB1207_7
; %bb.6:
	global_load_b64 v[6:7], v[20:21], off
	s_wait_loadcnt 0x0
	v_xor_b32_e32 v7, 0x80000000, v7
.LBB1207_7:
	s_or_b32 exec_lo, exec_lo, s3
	v_or_b32_e32 v3, 32, v1
	s_mov_b32 s3, exec_lo
	s_delay_alu instid0(VALU_DEP_1)
	v_cmpx_gt_u32_e64 s18, v3
	s_cbranch_execz .LBB1207_9
; %bb.8:
	global_load_b64 v[4:5], v[20:21], off offset:256
	s_wait_loadcnt 0x0
	v_xor_b32_e32 v5, 0x80000000, v5
.LBB1207_9:
	s_or_b32 exec_lo, exec_lo, s3
	v_mov_b64_e32 v[8:9], -1
	v_mov_b64_e32 v[10:11], -1
	v_or_b32_e32 v3, 64, v1
	s_mov_b32 s3, exec_lo
	s_delay_alu instid0(VALU_DEP_1)
	v_cmpx_gt_u32_e64 s18, v3
	s_cbranch_execz .LBB1207_11
; %bb.10:
	global_load_b64 v[10:11], v[20:21], off offset:512
	s_wait_loadcnt 0x0
	v_xor_b32_e32 v11, 0x80000000, v11
.LBB1207_11:
	s_or_b32 exec_lo, exec_lo, s3
	v_or_b32_e32 v3, 0x60, v1
	s_mov_b32 s3, exec_lo
	s_delay_alu instid0(VALU_DEP_1)
	v_cmpx_gt_u32_e64 s18, v3
	s_cbranch_execz .LBB1207_13
; %bb.12:
	global_load_b64 v[8:9], v[20:21], off offset:768
	s_wait_loadcnt 0x0
	v_xor_b32_e32 v9, 0x80000000, v9
.LBB1207_13:
	s_or_b32 exec_lo, exec_lo, s3
	v_mov_b64_e32 v[12:13], -1
	v_mov_b64_e32 v[14:15], -1
	v_or_b32_e32 v3, 0x80, v1
	s_mov_b32 s3, exec_lo
	s_delay_alu instid0(VALU_DEP_1)
	v_cmpx_gt_u32_e64 s18, v3
	s_cbranch_execz .LBB1207_15
; %bb.14:
	global_load_b64 v[14:15], v[20:21], off offset:1024
	s_wait_loadcnt 0x0
	v_xor_b32_e32 v15, 0x80000000, v15
.LBB1207_15:
	;; [unrolled: 24-line block ×3, first 2 shown]
	s_or_b32 exec_lo, exec_lo, s3
	v_or_b32_e32 v1, 0xe0, v1
	s_mov_b32 s3, exec_lo
	s_delay_alu instid0(VALU_DEP_1)
	v_cmpx_gt_u32_e64 s18, v1
	s_cbranch_execz .LBB1207_21
; %bb.20:
	global_load_b64 v[16:17], v[20:21], off offset:1792
	s_wait_loadcnt 0x0
	v_xor_b32_e32 v17, 0x80000000, v17
.LBB1207_21:
	s_or_b32 exec_lo, exec_lo, s3
	s_clause 0x1
	s_load_b32 s24, s[0:1], 0x58
	s_load_u16 s3, s[0:1], 0x66
	s_bfe_u32 s4, ttmp6, 0x4000c
	s_and_b32 s5, ttmp6, 15
	s_add_co_i32 s4, s4, 1
	v_lshrrev_b64 v[20:21], s16, v[6:7]
	s_mul_i32 s4, ttmp9, s4
	v_bfe_u32 v1, v0, 10, 10
	s_add_co_i32 s5, s5, s4
	s_cmp_eq_u32 s7, 0
	v_bfe_u32 v3, v0, 20, 10
	s_cselect_b32 s4, ttmp9, s5
	s_mov_b32 s5, 0
	s_wait_kmcnt 0x0
	s_cmp_lt_u32 s4, s24
	v_mad_u32_u24 v1, v3, s3, v1
	s_cselect_b32 s4, 12, 18
	s_lshl_b32 s25, -1, s17
	s_add_nc_u64 s[4:5], s[22:23], s[4:5]
	v_bitop3_b32 v3, v20, 1, s25 bitop3:0x40
	v_bitop3_b32 v22, v20, s25, v20 bitop3:0x30
	s_load_u16 s26, s[4:5], 0x0
	s_not_b32 s25, s25
	s_delay_alu instid0(VALU_DEP_2) | instskip(NEXT) | instid1(VALU_DEP_1)
	v_add_co_u32 v3, s3, v3, -1
	v_cndmask_b32_e64 v20, 0, 1, s3
	v_dual_lshlrev_b32 v21, 30, v22 :: v_dual_lshlrev_b32 v23, 29, v22
	v_dual_lshlrev_b32 v24, 28, v22 :: v_dual_lshlrev_b32 v25, 27, v22
	s_delay_alu instid0(VALU_DEP_3) | instskip(NEXT) | instid1(VALU_DEP_3)
	v_cmp_ne_u32_e32 vcc_lo, 0, v20
	v_not_b32_e32 v20, v21
	v_lshlrev_b32_e32 v28, 24, v22
	v_cmp_gt_i32_e64 s3, 0, v21
	s_wait_xcnt 0x0
	v_cmp_gt_i32_e64 s4, 0, v23
	v_not_b32_e32 v21, v23
	v_not_b32_e32 v23, v24
	v_dual_ashrrev_i32 v20, 31, v20 :: v_dual_lshlrev_b32 v26, 26, v22
	v_lshlrev_b32_e32 v27, 25, v22
	v_cmp_gt_i32_e64 s5, 0, v24
	v_dual_ashrrev_i32 v21, 31, v21 :: v_dual_bitop2_b32 v3, vcc_lo, v3 bitop3:0x14
	s_delay_alu instid0(VALU_DEP_4)
	v_dual_ashrrev_i32 v23, 31, v23 :: v_dual_bitop2_b32 v20, s3, v20 bitop3:0x14
	v_cmp_gt_i32_e64 s6, 0, v25
	v_not_b32_e32 v24, v25
	v_not_b32_e32 v25, v26
	v_xor_b32_e32 v21, s4, v21
	v_xor_b32_e32 v23, s5, v23
	v_bitop3_b32 v3, v3, v20, exec_lo bitop3:0x80
	s_wait_kmcnt 0x0
	v_mad_u32 v1, v1, s26, v32
	v_cmp_gt_i32_e32 vcc_lo, 0, v26
	v_dual_ashrrev_i32 v20, 31, v24 :: v_dual_ashrrev_i32 v24, 31, v25
	v_not_b32_e32 v25, v27
	v_bitop3_b32 v21, v3, v23, v21 bitop3:0x80
	v_not_b32_e32 v3, v28
	s_delay_alu instid0(VALU_DEP_4)
	v_xor_b32_e32 v20, s6, v20
	v_xor_b32_e32 v23, vcc_lo, v24
	v_cmp_gt_i32_e32 vcc_lo, 0, v27
	v_ashrrev_i32_e32 v24, 31, v25
	v_cmp_gt_i32_e64 s3, 0, v28
	v_dual_ashrrev_i32 v25, 31, v3 :: v_dual_lshrrev_b32 v1, 5, v1
	v_bitop3_b32 v21, v21, v23, v20 bitop3:0x80
	s_delay_alu instid0(VALU_DEP_4) | instskip(SKIP_1) | instid1(VALU_DEP_4)
	v_xor_b32_e32 v23, vcc_lo, v24
	v_mul_u32_u24_e32 v3, 36, v32
	v_dual_mov_b32 v25, 0 :: v_dual_bitop2_b32 v24, s3, v25 bitop3:0x14
	v_lshlrev_b32_e32 v20, 2, v1
	ds_store_2addr_b32 v3, v25, v25 offset0:16 offset1:17
	ds_store_2addr_b32 v3, v25, v25 offset0:18 offset1:19
	;; [unrolled: 1-line block ×4, first 2 shown]
	v_bitop3_b32 v21, v21, v24, v23 bitop3:0x80
	v_mad_u32 v28, 0x44, v22, v20
	ds_store_b32 v3, v25 offset:96
	s_wait_dscnt 0x0
	s_barrier_signal -1
	v_mbcnt_lo_u32_b32 v1, v21, 0
	v_cmp_ne_u32_e64 s3, 0, v21
	s_barrier_wait -1
	s_delay_alu instid0(VALU_DEP_2) | instskip(SKIP_1) | instid1(SALU_CYCLE_1)
	v_cmp_eq_u32_e32 vcc_lo, 0, v1
	; wave barrier
	s_and_b32 s4, s3, vcc_lo
	s_and_saveexec_b32 s3, s4
; %bb.22:
	v_bcnt_u32_b32 v21, v21, 0
	ds_store_b32 v28, v21 offset:64
; %bb.23:
	s_or_b32 exec_lo, exec_lo, s3
	v_lshrrev_b64 v[22:23], s16, v[4:5]
	; wave barrier
	s_delay_alu instid0(VALU_DEP_1) | instskip(SKIP_1) | instid1(VALU_DEP_2)
	v_and_b32_e32 v21, s25, v22
	v_bitop3_b32 v22, v22, 1, s25 bitop3:0x80
	v_lshlrev_b32_e32 v24, 30, v21
	s_delay_alu instid0(VALU_DEP_2) | instskip(NEXT) | instid1(VALU_DEP_1)
	v_add_co_u32 v22, s3, v22, -1
	v_cndmask_b32_e64 v23, 0, 1, s3
	s_delay_alu instid0(VALU_DEP_1) | instskip(NEXT) | instid1(VALU_DEP_4)
	v_cmp_ne_u32_e32 vcc_lo, 0, v23
	v_not_b32_e32 v23, v24
	s_delay_alu instid0(VALU_DEP_1) | instskip(SKIP_4) | instid1(VALU_DEP_4)
	v_dual_ashrrev_i32 v23, 31, v23 :: v_dual_bitop2_b32 v22, vcc_lo, v22 bitop3:0x14
	v_dual_lshlrev_b32 v25, 29, v21 :: v_dual_lshlrev_b32 v26, 28, v21
	v_lshlrev_b32_e32 v27, 27, v21
	v_cmp_gt_i32_e64 s3, 0, v24
	v_mad_u32 v29, 0x44, v21, v20
	v_cmp_gt_i32_e64 s4, 0, v25
	v_not_b32_e32 v24, v25
	v_not_b32_e32 v25, v26
	v_dual_lshlrev_b32 v30, 26, v21 :: v_dual_lshlrev_b32 v31, 25, v21
	v_lshlrev_b32_e32 v21, 24, v21
	v_cmp_gt_i32_e64 s5, 0, v26
	v_not_b32_e32 v26, v27
	v_dual_ashrrev_i32 v24, 31, v24 :: v_dual_ashrrev_i32 v25, 31, v25
	v_xor_b32_e32 v23, s3, v23
	v_cmp_gt_i32_e64 s6, 0, v27
	v_not_b32_e32 v27, v30
	s_delay_alu instid0(VALU_DEP_4)
	v_dual_ashrrev_i32 v26, 31, v26 :: v_dual_bitop2_b32 v24, s4, v24 bitop3:0x14
	v_xor_b32_e32 v25, s5, v25
	v_bitop3_b32 v22, v22, v23, exec_lo bitop3:0x80
	v_cmp_gt_i32_e32 vcc_lo, 0, v30
	v_ashrrev_i32_e32 v23, 31, v27
	v_not_b32_e32 v27, v31
	v_xor_b32_e32 v26, s6, v26
	v_bitop3_b32 v22, v22, v25, v24 bitop3:0x80
	v_not_b32_e32 v24, v21
	v_xor_b32_e32 v23, vcc_lo, v23
	v_cmp_gt_i32_e32 vcc_lo, 0, v31
	v_ashrrev_i32_e32 v25, 31, v27
	v_cmp_gt_i32_e64 s3, 0, v21
	v_ashrrev_i32_e32 v21, 31, v24
	v_bitop3_b32 v22, v22, v23, v26 bitop3:0x80
	ds_load_b32 v34, v29 offset:64
	v_xor_b32_e32 v23, vcc_lo, v25
	v_xor_b32_e32 v21, s3, v21
	; wave barrier
	s_delay_alu instid0(VALU_DEP_1) | instskip(NEXT) | instid1(VALU_DEP_1)
	v_bitop3_b32 v21, v22, v21, v23 bitop3:0x80
	v_mbcnt_lo_u32_b32 v35, v21, 0
	v_cmp_ne_u32_e64 s3, 0, v21
	s_delay_alu instid0(VALU_DEP_2) | instskip(SKIP_1) | instid1(SALU_CYCLE_1)
	v_cmp_eq_u32_e32 vcc_lo, 0, v35
	s_and_b32 s4, s3, vcc_lo
	s_and_saveexec_b32 s3, s4
	s_cbranch_execz .LBB1207_25
; %bb.24:
	s_wait_dscnt 0x0
	v_bcnt_u32_b32 v21, v21, v34
	ds_store_b32 v29, v21 offset:64
.LBB1207_25:
	s_or_b32 exec_lo, exec_lo, s3
	v_lshrrev_b64 v[22:23], s16, v[10:11]
	; wave barrier
	s_delay_alu instid0(VALU_DEP_1) | instskip(SKIP_1) | instid1(VALU_DEP_2)
	v_and_b32_e32 v21, s25, v22
	v_bitop3_b32 v22, v22, 1, s25 bitop3:0x80
	v_lshlrev_b32_e32 v24, 30, v21
	s_delay_alu instid0(VALU_DEP_2) | instskip(NEXT) | instid1(VALU_DEP_1)
	v_add_co_u32 v22, s3, v22, -1
	v_cndmask_b32_e64 v23, 0, 1, s3
	s_delay_alu instid0(VALU_DEP_1) | instskip(NEXT) | instid1(VALU_DEP_4)
	v_cmp_ne_u32_e32 vcc_lo, 0, v23
	v_not_b32_e32 v23, v24
	s_delay_alu instid0(VALU_DEP_1) | instskip(SKIP_4) | instid1(VALU_DEP_4)
	v_dual_ashrrev_i32 v23, 31, v23 :: v_dual_bitop2_b32 v22, vcc_lo, v22 bitop3:0x14
	v_dual_lshlrev_b32 v25, 29, v21 :: v_dual_lshlrev_b32 v26, 28, v21
	v_lshlrev_b32_e32 v27, 27, v21
	v_cmp_gt_i32_e64 s3, 0, v24
	v_mad_u32 v30, 0x44, v21, v20
	v_cmp_gt_i32_e64 s4, 0, v25
	v_not_b32_e32 v24, v25
	v_not_b32_e32 v25, v26
	v_dual_lshlrev_b32 v31, 26, v21 :: v_dual_lshlrev_b32 v36, 25, v21
	v_lshlrev_b32_e32 v21, 24, v21
	v_cmp_gt_i32_e64 s5, 0, v26
	v_not_b32_e32 v26, v27
	v_dual_ashrrev_i32 v24, 31, v24 :: v_dual_ashrrev_i32 v25, 31, v25
	v_xor_b32_e32 v23, s3, v23
	v_cmp_gt_i32_e64 s6, 0, v27
	v_not_b32_e32 v27, v31
	s_delay_alu instid0(VALU_DEP_4)
	v_dual_ashrrev_i32 v26, 31, v26 :: v_dual_bitop2_b32 v24, s4, v24 bitop3:0x14
	v_xor_b32_e32 v25, s5, v25
	v_bitop3_b32 v22, v22, v23, exec_lo bitop3:0x80
	v_cmp_gt_i32_e32 vcc_lo, 0, v31
	v_ashrrev_i32_e32 v23, 31, v27
	v_not_b32_e32 v27, v36
	v_xor_b32_e32 v26, s6, v26
	v_bitop3_b32 v22, v22, v25, v24 bitop3:0x80
	v_not_b32_e32 v24, v21
	v_xor_b32_e32 v23, vcc_lo, v23
	v_cmp_gt_i32_e32 vcc_lo, 0, v36
	v_ashrrev_i32_e32 v25, 31, v27
	v_cmp_gt_i32_e64 s3, 0, v21
	v_ashrrev_i32_e32 v21, 31, v24
	v_bitop3_b32 v22, v22, v23, v26 bitop3:0x80
	ds_load_b32 v36, v30 offset:64
	v_xor_b32_e32 v23, vcc_lo, v25
	v_xor_b32_e32 v21, s3, v21
	; wave barrier
	s_delay_alu instid0(VALU_DEP_1) | instskip(NEXT) | instid1(VALU_DEP_1)
	v_bitop3_b32 v21, v22, v21, v23 bitop3:0x80
	v_mbcnt_lo_u32_b32 v37, v21, 0
	v_cmp_ne_u32_e64 s3, 0, v21
	s_delay_alu instid0(VALU_DEP_2) | instskip(SKIP_1) | instid1(SALU_CYCLE_1)
	v_cmp_eq_u32_e32 vcc_lo, 0, v37
	s_and_b32 s4, s3, vcc_lo
	s_and_saveexec_b32 s3, s4
	s_cbranch_execz .LBB1207_27
; %bb.26:
	s_wait_dscnt 0x0
	v_bcnt_u32_b32 v21, v21, v36
	ds_store_b32 v30, v21 offset:64
.LBB1207_27:
	;; [unrolled: 64-line block ×6, first 2 shown]
	s_or_b32 exec_lo, exec_lo, s3
	v_lshrrev_b64 v[22:23], s16, v[16:17]
	; wave barrier
	s_delay_alu instid0(VALU_DEP_1) | instskip(SKIP_1) | instid1(VALU_DEP_2)
	v_and_b32_e32 v21, s25, v22
	v_bitop3_b32 v22, v22, 1, s25 bitop3:0x80
	v_mad_u32 v51, 0x44, v21, v20
	s_delay_alu instid0(VALU_DEP_2) | instskip(NEXT) | instid1(VALU_DEP_1)
	v_add_co_u32 v20, s3, v22, -1
	v_cndmask_b32_e64 v22, 0, 1, s3
	v_lshlrev_b32_e32 v23, 30, v21
	s_delay_alu instid0(VALU_DEP_2) | instskip(NEXT) | instid1(VALU_DEP_2)
	v_cmp_ne_u32_e32 vcc_lo, 0, v22
	v_not_b32_e32 v22, v23
	s_delay_alu instid0(VALU_DEP_1) | instskip(SKIP_4) | instid1(VALU_DEP_4)
	v_dual_ashrrev_i32 v22, 31, v22 :: v_dual_bitop2_b32 v20, vcc_lo, v20 bitop3:0x14
	v_dual_lshlrev_b32 v24, 29, v21 :: v_dual_lshlrev_b32 v25, 28, v21
	v_lshlrev_b32_e32 v26, 27, v21
	v_cmp_gt_i32_e64 s3, 0, v23
	v_dual_lshlrev_b32 v27, 26, v21 :: v_dual_lshlrev_b32 v49, 25, v21
	v_cmp_gt_i32_e64 s4, 0, v24
	v_not_b32_e32 v23, v24
	v_not_b32_e32 v24, v25
	v_lshlrev_b32_e32 v21, 24, v21
	v_cmp_gt_i32_e64 s5, 0, v25
	v_not_b32_e32 v25, v26
	s_delay_alu instid0(VALU_DEP_4) | instskip(SKIP_3) | instid1(VALU_DEP_4)
	v_dual_ashrrev_i32 v23, 31, v23 :: v_dual_ashrrev_i32 v24, 31, v24
	v_xor_b32_e32 v22, s3, v22
	v_cmp_gt_i32_e64 s6, 0, v26
	v_not_b32_e32 v26, v27
	v_dual_ashrrev_i32 v25, 31, v25 :: v_dual_bitop2_b32 v23, s4, v23 bitop3:0x14
	v_xor_b32_e32 v24, s5, v24
	v_bitop3_b32 v20, v20, v22, exec_lo bitop3:0x80
	v_cmp_gt_i32_e32 vcc_lo, 0, v27
	v_ashrrev_i32_e32 v22, 31, v26
	v_not_b32_e32 v26, v49
	v_xor_b32_e32 v25, s6, v25
	v_bitop3_b32 v20, v20, v24, v23 bitop3:0x80
	v_not_b32_e32 v23, v21
	v_xor_b32_e32 v22, vcc_lo, v22
	v_cmp_gt_i32_e32 vcc_lo, 0, v49
	v_ashrrev_i32_e32 v24, 31, v26
	v_cmp_gt_i32_e64 s3, 0, v21
	v_ashrrev_i32_e32 v21, 31, v23
	v_bitop3_b32 v20, v20, v22, v25 bitop3:0x80
	ds_load_b32 v49, v51 offset:64
	v_xor_b32_e32 v22, vcc_lo, v24
	v_xor_b32_e32 v21, s3, v21
	; wave barrier
	s_delay_alu instid0(VALU_DEP_1) | instskip(NEXT) | instid1(VALU_DEP_1)
	v_bitop3_b32 v20, v20, v21, v22 bitop3:0x80
	v_mbcnt_lo_u32_b32 v50, v20, 0
	v_cmp_ne_u32_e64 s3, 0, v20
	s_delay_alu instid0(VALU_DEP_2) | instskip(SKIP_1) | instid1(SALU_CYCLE_1)
	v_cmp_eq_u32_e32 vcc_lo, 0, v50
	s_and_b32 s4, s3, vcc_lo
	s_and_saveexec_b32 s3, s4
	s_cbranch_execz .LBB1207_37
; %bb.36:
	s_wait_dscnt 0x0
	v_bcnt_u32_b32 v20, v20, v49
	ds_store_b32 v51, v20 offset:64
.LBB1207_37:
	s_or_b32 exec_lo, exec_lo, s3
	; wave barrier
	s_wait_dscnt 0x0
	s_barrier_signal -1
	s_barrier_wait -1
	ds_load_2addr_b32 v[26:27], v3 offset0:16 offset1:17
	ds_load_2addr_b32 v[24:25], v3 offset0:18 offset1:19
	;; [unrolled: 1-line block ×4, first 2 shown]
	ds_load_b32 v52, v3 offset:96
	v_bfe_i32 v55, v33, 4, 1
	s_mov_b32 s26, exec_lo
	s_wait_dscnt 0x3
	v_add3_u32 v53, v27, v26, v24
	s_wait_dscnt 0x2
	s_delay_alu instid0(VALU_DEP_1) | instskip(SKIP_1) | instid1(VALU_DEP_1)
	v_add3_u32 v53, v53, v25, v22
	s_wait_dscnt 0x1
	v_add3_u32 v53, v53, v23, v20
	s_wait_dscnt 0x0
	s_delay_alu instid0(VALU_DEP_1) | instskip(SKIP_1) | instid1(VALU_DEP_2)
	v_add3_u32 v52, v53, v21, v52
	v_and_b32_e32 v53, 15, v33
	v_mov_b32_dpp v54, v52 row_shr:1 row_mask:0xf bank_mask:0xf
	s_delay_alu instid0(VALU_DEP_2) | instskip(NEXT) | instid1(VALU_DEP_2)
	v_cmp_eq_u32_e32 vcc_lo, 0, v53
	v_cndmask_b32_e64 v54, v54, 0, vcc_lo
	s_delay_alu instid0(VALU_DEP_1) | instskip(SKIP_3) | instid1(VALU_DEP_4)
	v_add_nc_u32_e32 v52, v54, v52
	v_cmp_lt_u32_e64 s3, 1, v53
	v_cmp_lt_u32_e64 s4, 3, v53
	;; [unrolled: 1-line block ×3, first 2 shown]
	v_mov_b32_dpp v54, v52 row_shr:2 row_mask:0xf bank_mask:0xf
	s_delay_alu instid0(VALU_DEP_1) | instskip(NEXT) | instid1(VALU_DEP_1)
	v_cndmask_b32_e64 v54, 0, v54, s3
	v_add_nc_u32_e32 v52, v52, v54
	s_delay_alu instid0(VALU_DEP_1) | instskip(NEXT) | instid1(VALU_DEP_1)
	v_mov_b32_dpp v54, v52 row_shr:4 row_mask:0xf bank_mask:0xf
	v_cndmask_b32_e64 v54, 0, v54, s4
	s_delay_alu instid0(VALU_DEP_1) | instskip(NEXT) | instid1(VALU_DEP_1)
	v_add_nc_u32_e32 v52, v52, v54
	v_mov_b32_dpp v54, v52 row_shr:8 row_mask:0xf bank_mask:0xf
	s_delay_alu instid0(VALU_DEP_1) | instskip(SKIP_1) | instid1(VALU_DEP_2)
	v_cndmask_b32_e64 v53, 0, v54, s5
	v_and_b32_e32 v54, 0x3e0, v32
	v_add_nc_u32_e32 v52, v52, v53
	s_delay_alu instid0(VALU_DEP_2) | instskip(SKIP_3) | instid1(VALU_DEP_1)
	v_min_u32_e32 v54, 0x1e0, v54
	ds_swizzle_b32 v53, v52 offset:swizzle(BROADCAST,32,15)
	s_wait_dscnt 0x0
	v_dual_lshrrev_b32 v53, 5, v32 :: v_dual_bitop2_b32 v55, v55, v53 bitop3:0x40
	v_dual_add_nc_u32 v52, v52, v55 :: v_dual_bitop2_b32 v54, 31, v54 bitop3:0x54
	s_delay_alu instid0(VALU_DEP_1)
	v_cmpx_eq_u32_e64 v32, v54
; %bb.38:
	s_delay_alu instid0(VALU_DEP_3)
	v_lshlrev_b32_e32 v54, 2, v53
	ds_store_b32 v54, v52
; %bb.39:
	s_or_b32 exec_lo, exec_lo, s26
	s_delay_alu instid0(SALU_CYCLE_1)
	s_mov_b32 s26, exec_lo
	s_wait_dscnt 0x0
	s_barrier_signal -1
	s_barrier_wait -1
	v_cmpx_gt_u32_e32 16, v32
	s_cbranch_execz .LBB1207_41
; %bb.40:
	v_lshlrev_b32_e32 v54, 2, v32
	ds_load_b32 v55, v54
	s_wait_dscnt 0x0
	v_mov_b32_dpp v56, v55 row_shr:1 row_mask:0xf bank_mask:0xf
	s_delay_alu instid0(VALU_DEP_1) | instskip(NEXT) | instid1(VALU_DEP_1)
	v_cndmask_b32_e64 v56, v56, 0, vcc_lo
	v_add_nc_u32_e32 v55, v56, v55
	s_delay_alu instid0(VALU_DEP_1) | instskip(NEXT) | instid1(VALU_DEP_1)
	v_mov_b32_dpp v56, v55 row_shr:2 row_mask:0xf bank_mask:0xf
	v_cndmask_b32_e64 v56, 0, v56, s3
	s_delay_alu instid0(VALU_DEP_1) | instskip(NEXT) | instid1(VALU_DEP_1)
	v_add_nc_u32_e32 v55, v55, v56
	v_mov_b32_dpp v56, v55 row_shr:4 row_mask:0xf bank_mask:0xf
	s_delay_alu instid0(VALU_DEP_1) | instskip(NEXT) | instid1(VALU_DEP_1)
	v_cndmask_b32_e64 v56, 0, v56, s4
	v_add_nc_u32_e32 v55, v55, v56
	s_delay_alu instid0(VALU_DEP_1) | instskip(NEXT) | instid1(VALU_DEP_1)
	v_mov_b32_dpp v56, v55 row_shr:8 row_mask:0xf bank_mask:0xf
	v_cndmask_b32_e64 v56, 0, v56, s5
	s_delay_alu instid0(VALU_DEP_1)
	v_add_nc_u32_e32 v55, v55, v56
	ds_store_b32 v54, v55
.LBB1207_41:
	s_or_b32 exec_lo, exec_lo, s26
	v_mov_b32_e32 v54, 0
	s_mov_b32 s3, exec_lo
	s_wait_dscnt 0x0
	s_barrier_signal -1
	s_barrier_wait -1
	v_cmpx_lt_u32_e32 31, v32
; %bb.42:
	v_lshl_add_u32 v53, v53, 2, -4
	ds_load_b32 v54, v53
; %bb.43:
	s_or_b32 exec_lo, exec_lo, s3
	v_sub_co_u32 v53, vcc_lo, v33, 1
	s_wait_dscnt 0x0
	v_add_nc_u32_e32 v52, v54, v52
	s_delay_alu instid0(VALU_DEP_2) | instskip(NEXT) | instid1(VALU_DEP_1)
	v_cmp_gt_i32_e64 s3, 0, v53
	v_cndmask_b32_e64 v53, v53, v33, s3
	v_cmp_lt_u32_e64 s3, 0xff, v32
	s_delay_alu instid0(VALU_DEP_2) | instskip(SKIP_4) | instid1(VALU_DEP_2)
	v_lshlrev_b32_e32 v53, 2, v53
	ds_bpermute_b32 v52, v53, v52
	s_wait_dscnt 0x0
	v_cndmask_b32_e32 v52, v52, v54, vcc_lo
	v_cmp_gt_u32_e32 vcc_lo, 0x100, v32
	v_cndmask_b32_e64 v52, v52, 0, s2
	s_delay_alu instid0(VALU_DEP_1) | instskip(NEXT) | instid1(VALU_DEP_1)
	v_add_nc_u32_e32 v26, v52, v26
	v_add_nc_u32_e32 v27, v26, v27
	s_delay_alu instid0(VALU_DEP_1) | instskip(NEXT) | instid1(VALU_DEP_1)
	v_add_nc_u32_e32 v24, v27, v24
	v_add_nc_u32_e32 v25, v24, v25
	;; [unrolled: 3-line block ×4, first 2 shown]
	ds_store_2addr_b32 v3, v52, v26 offset0:16 offset1:17
	ds_store_2addr_b32 v3, v27, v24 offset0:18 offset1:19
	;; [unrolled: 1-line block ×4, first 2 shown]
	ds_store_b32 v3, v21 offset:96
	s_wait_dscnt 0x0
	s_barrier_signal -1
	s_barrier_wait -1
	ds_load_b32 v54, v28 offset:64
	ds_load_b32 v23, v29 offset:64
	;; [unrolled: 1-line block ×8, first 2 shown]
	v_mov_b64_e32 v[20:21], 0
                                        ; implicit-def: $vgpr22
	s_and_saveexec_b32 s5, vcc_lo
	s_cbranch_execz .LBB1207_47
; %bb.44:
	v_mul_u32_u24_e32 v3, 0x44, v32
	v_add_nc_u32_e32 v21, 1, v32
	s_mov_b32 s6, exec_lo
	ds_load_b32 v20, v3 offset:64
	v_mov_b32_e32 v3, 0x1000
	v_cmpx_ne_u32_e32 0x100, v21
; %bb.45:
	v_mul_u32_u24_e32 v3, 0x44, v21
	ds_load_b32 v3, v3 offset:64
; %bb.46:
	s_or_b32 exec_lo, exec_lo, s6
	s_wait_dscnt 0x0
	v_dual_mov_b32 v21, 0 :: v_dual_sub_nc_u32 v22, v3, v20
.LBB1207_47:
	s_or_b32 exec_lo, exec_lo, s5
	v_mov_b32_e32 v25, 0
	s_wait_dscnt 0x0
	s_barrier_signal -1
	s_barrier_wait -1
	s_and_saveexec_b32 s4, vcc_lo
	s_cbranch_execz .LBB1207_57
; %bb.48:
	v_lshl_add_u32 v24, s19, 8, v32
	v_dual_mov_b32 v28, 0 :: v_dual_bitop2_b32 v3, 2.0, v22 bitop3:0x54
	s_mov_b32 s5, 0
	s_mov_b32 s6, s19
	s_delay_alu instid0(VALU_DEP_2)
	v_lshl_add_u64 v[26:27], v[24:25], 2, s[20:21]
	global_store_b32 v24, v3, s[20:21] scale_offset scope:SCOPE_DEV
                                        ; implicit-def: $sgpr26
	s_branch .LBB1207_51
.LBB1207_49:                            ;   in Loop: Header=BB1207_51 Depth=1
	s_or_b32 exec_lo, exec_lo, s27
.LBB1207_50:                            ;   in Loop: Header=BB1207_51 Depth=1
	s_delay_alu instid0(SALU_CYCLE_1) | instskip(SKIP_2) | instid1(VALU_DEP_2)
	s_or_b32 exec_lo, exec_lo, s26
	v_and_b32_e32 v24, 0x3fffffff, v3
	v_cmp_gt_i32_e64 s26, -2.0, v3
	v_add_nc_u32_e32 v28, v24, v28
	s_and_b32 s27, exec_lo, s26
	s_delay_alu instid0(SALU_CYCLE_1) | instskip(NEXT) | instid1(SALU_CYCLE_1)
	s_or_b32 s5, s27, s5
	s_and_not1_b32 exec_lo, exec_lo, s5
	s_cbranch_execz .LBB1207_56
.LBB1207_51:                            ; =>This Loop Header: Depth=1
                                        ;     Child Loop BB1207_54 Depth 2
	s_or_b32 s26, s26, exec_lo
	s_cmp_eq_u32 s6, 0
	s_cbranch_scc1 .LBB1207_55
; %bb.52:                               ;   in Loop: Header=BB1207_51 Depth=1
	s_add_co_i32 s6, s6, -1
	s_mov_b32 s26, exec_lo
	s_wait_xcnt 0x0
	v_lshl_or_b32 v24, s6, 8, v32
	global_load_b32 v3, v24, s[20:21] scale_offset scope:SCOPE_DEV
	s_wait_loadcnt 0x0
	v_cmpx_gt_u32_e32 2.0, v3
	s_cbranch_execz .LBB1207_50
; %bb.53:                               ;   in Loop: Header=BB1207_51 Depth=1
	v_lshl_add_u64 v[30:31], v[24:25], 2, s[20:21]
	s_mov_b32 s27, 0
.LBB1207_54:                            ;   Parent Loop BB1207_51 Depth=1
                                        ; =>  This Inner Loop Header: Depth=2
	global_load_b32 v3, v[30:31], off scope:SCOPE_DEV
	s_wait_loadcnt 0x0
	v_cmp_lt_u32_e32 vcc_lo, 0x3fffffff, v3
	s_or_b32 s27, vcc_lo, s27
	s_wait_xcnt 0x0
	s_and_not1_b32 exec_lo, exec_lo, s27
	s_cbranch_execnz .LBB1207_54
	s_branch .LBB1207_49
.LBB1207_55:                            ;   in Loop: Header=BB1207_51 Depth=1
                                        ; implicit-def: $sgpr6
	s_and_b32 s27, exec_lo, s26
	s_delay_alu instid0(SALU_CYCLE_1)
	s_or_b32 s5, s27, s5
	s_wait_xcnt 0x0
	s_and_not1_b32 exec_lo, exec_lo, s5
	s_cbranch_execnz .LBB1207_51
.LBB1207_56:
	s_or_b32 exec_lo, exec_lo, s5
	v_dual_add_nc_u32 v3, v28, v22 :: v_dual_mov_b32 v29, 0
	s_delay_alu instid0(VALU_DEP_1)
	v_or_b32_e32 v3, 0x80000000, v3
	global_store_b32 v[26:27], v3, off scope:SCOPE_DEV
	global_load_b64 v[24:25], v32, s[8:9] scale_offset
	s_wait_xcnt 0x1
	v_sub_nc_u64_e32 v[26:27], v[28:29], v[20:21]
	s_wait_loadcnt 0x0
	s_delay_alu instid0(VALU_DEP_1)
	v_add_nc_u64_e32 v[24:25], v[26:27], v[24:25]
	ds_store_b64 v2, v[24:25]
.LBB1207_57:
	s_wait_xcnt 0x0
	s_or_b32 exec_lo, exec_lo, s4
	v_dual_mov_b32 v3, 0 :: v_dual_add_nc_u32 v1, v54, v1
	v_add3_u32 v26, v47, v48, v46
	v_add3_u32 v27, v44, v45, v42
	;; [unrolled: 1-line block ×3, first 2 shown]
	s_delay_alu instid0(VALU_DEP_4)
	v_add_nc_u64_e32 v[24:25], s[14:15], v[2:3]
	v_add3_u32 v3, v50, v51, v49
	v_add3_u32 v29, v39, v53, v38
	;; [unrolled: 1-line block ×4, first 2 shown]
	v_mov_b32_e32 v31, v32
	s_mov_b32 s5, -1
	v_add_nc_u64_e32 v[24:25], 0x3000, v[24:25]
	s_mov_b32 s4, 0
	s_branch .LBB1207_59
.LBB1207_58:                            ;   in Loop: Header=BB1207_59 Depth=1
	s_wait_xcnt 0x0
	s_or_b32 exec_lo, exec_lo, s6
	v_add_nc_u64_e32 v[24:25], 0x4000, v[24:25]
	v_add_nc_u32_e32 v31, 0x800, v31
	s_xor_b32 s5, s5, -1
	s_addk_co_i32 s4, 0xf800
	s_and_b32 vcc_lo, exec_lo, s5
	s_mov_b32 s5, 0
	s_wait_storecnt 0x0
	s_barrier_signal -1
	s_barrier_wait -1
	s_cbranch_vccnz .LBB1207_67
.LBB1207_59:                            ; =>This Inner Loop Header: Depth=1
	v_add_min_u32_e64 v34, v1, s4, 0x800
	v_add_min_u32_e64 v35, v23, s4, 0x800
	;; [unrolled: 1-line block ×5, first 2 shown]
	s_delay_alu instid0(VALU_DEP_4) | instskip(NEXT) | instid1(VALU_DEP_3)
	v_dual_lshlrev_b32 v34, 3, v34 :: v_dual_lshlrev_b32 v35, 3, v35
	v_dual_lshlrev_b32 v36, 3, v36 :: v_dual_lshlrev_b32 v37, 3, v37
	s_mov_b32 s6, exec_lo
	ds_store_b64 v34, v[6:7] offset:2048
	ds_store_b64 v35, v[4:5] offset:2048
	;; [unrolled: 1-line block ×3, first 2 shown]
	v_add_min_u32_e64 v34, v27, s4, 0x800
	v_add_min_u32_e64 v35, v26, s4, 0x800
	;; [unrolled: 1-line block ×3, first 2 shown]
	v_lshlrev_b32_e32 v38, 3, v38
	s_delay_alu instid0(VALU_DEP_3) | instskip(NEXT) | instid1(VALU_DEP_3)
	v_dual_lshlrev_b32 v34, 3, v34 :: v_dual_lshlrev_b32 v35, 3, v35
	v_lshlrev_b32_e32 v36, 3, v36
	ds_store_b64 v37, v[8:9] offset:2048
	ds_store_b64 v38, v[14:15] offset:2048
	;; [unrolled: 1-line block ×5, first 2 shown]
	s_wait_storecnt_dscnt 0x0
	s_barrier_signal -1
	s_barrier_wait -1
	v_cmpx_gt_u32_e64 s18, v31
	s_cbranch_execz .LBB1207_61
; %bb.60:                               ;   in Loop: Header=BB1207_59 Depth=1
	ds_load_b64 v[34:35], v2 offset:2048
	s_wait_dscnt 0x0
	v_lshrrev_b64 v[36:37], s16, v[34:35]
	v_xor_b32_e32 v35, 0x80000000, v35
	s_delay_alu instid0(VALU_DEP_2) | instskip(NEXT) | instid1(VALU_DEP_1)
	v_and_b32_e32 v36, s25, v36
	v_lshlrev_b32_e32 v36, 3, v36
	ds_load_b64 v[36:37], v36
	s_wait_dscnt 0x0
	v_lshl_add_u64 v[36:37], v[36:37], 3, v[24:25]
	global_store_b64 v[36:37], v[34:35], off offset:-12288
.LBB1207_61:                            ;   in Loop: Header=BB1207_59 Depth=1
	s_wait_xcnt 0x0
	s_or_b32 exec_lo, exec_lo, s6
	v_add_nc_u32_e32 v34, 0x200, v31
	s_mov_b32 s6, exec_lo
	s_delay_alu instid0(VALU_DEP_1)
	v_cmpx_gt_u32_e64 s18, v34
	s_cbranch_execz .LBB1207_63
; %bb.62:                               ;   in Loop: Header=BB1207_59 Depth=1
	ds_load_b64 v[34:35], v2 offset:6144
	s_wait_dscnt 0x0
	v_lshrrev_b64 v[36:37], s16, v[34:35]
	v_xor_b32_e32 v35, 0x80000000, v35
	s_delay_alu instid0(VALU_DEP_2) | instskip(NEXT) | instid1(VALU_DEP_1)
	v_and_b32_e32 v36, s25, v36
	v_lshlrev_b32_e32 v36, 3, v36
	ds_load_b64 v[36:37], v36
	s_wait_dscnt 0x0
	v_lshl_add_u64 v[36:37], v[36:37], 3, v[24:25]
	global_store_b64 v[36:37], v[34:35], off offset:-8192
.LBB1207_63:                            ;   in Loop: Header=BB1207_59 Depth=1
	s_wait_xcnt 0x0
	s_or_b32 exec_lo, exec_lo, s6
	v_add_nc_u32_e32 v34, 0x400, v31
	s_mov_b32 s6, exec_lo
	s_delay_alu instid0(VALU_DEP_1)
	v_cmpx_gt_u32_e64 s18, v34
	s_cbranch_execz .LBB1207_65
; %bb.64:                               ;   in Loop: Header=BB1207_59 Depth=1
	ds_load_b64 v[34:35], v2 offset:10240
	s_wait_dscnt 0x0
	v_lshrrev_b64 v[36:37], s16, v[34:35]
	v_xor_b32_e32 v35, 0x80000000, v35
	s_delay_alu instid0(VALU_DEP_2) | instskip(NEXT) | instid1(VALU_DEP_1)
	v_and_b32_e32 v36, s25, v36
	v_lshlrev_b32_e32 v36, 3, v36
	ds_load_b64 v[36:37], v36
	s_wait_dscnt 0x0
	v_lshl_add_u64 v[36:37], v[36:37], 3, v[24:25]
	global_store_b64 v[36:37], v[34:35], off offset:-4096
.LBB1207_65:                            ;   in Loop: Header=BB1207_59 Depth=1
	s_wait_xcnt 0x0
	s_or_b32 exec_lo, exec_lo, s6
	v_add_nc_u32_e32 v34, 0x600, v31
	s_mov_b32 s6, exec_lo
	s_delay_alu instid0(VALU_DEP_1)
	v_cmpx_gt_u32_e64 s18, v34
	s_cbranch_execz .LBB1207_58
; %bb.66:                               ;   in Loop: Header=BB1207_59 Depth=1
	ds_load_b64 v[34:35], v2 offset:14336
	s_wait_dscnt 0x0
	v_lshrrev_b64 v[36:37], s16, v[34:35]
	v_xor_b32_e32 v35, 0x80000000, v35
	s_delay_alu instid0(VALU_DEP_2) | instskip(NEXT) | instid1(VALU_DEP_1)
	v_and_b32_e32 v36, s25, v36
	v_lshlrev_b32_e32 v36, 3, v36
	ds_load_b64 v[36:37], v36
	s_wait_dscnt 0x0
	v_lshl_add_u64 v[36:37], v[36:37], 3, v[24:25]
	global_store_b64 v[36:37], v[34:35], off
	s_branch .LBB1207_58
.LBB1207_67:
	s_add_co_i32 s24, s24, -1
	s_delay_alu instid0(SALU_CYCLE_1) | instskip(SKIP_2) | instid1(SALU_CYCLE_1)
	s_cmp_eq_u32 s19, s24
	s_cselect_b32 s4, -1, 0
	s_xor_b32 s3, s3, -1
	s_and_b32 s4, s3, s4
	s_delay_alu instid0(SALU_CYCLE_1)
	s_and_saveexec_b32 s3, s4
	s_cbranch_execz .LBB1207_69
; %bb.68:
	ds_load_b64 v[4:5], v2
	v_mov_b32_e32 v23, 0
	s_delay_alu instid0(VALU_DEP_1) | instskip(SKIP_1) | instid1(VALU_DEP_1)
	v_add_nc_u64_e32 v[6:7], v[20:21], v[22:23]
	s_wait_dscnt 0x0
	v_add_nc_u64_e32 v[4:5], v[6:7], v[4:5]
	global_store_b64 v32, v[4:5], s[10:11] scale_offset
.LBB1207_69:
	s_wait_xcnt 0x0
	s_or_b32 exec_lo, exec_lo, s3
	s_mov_b32 s4, 0
.LBB1207_70:
	s_delay_alu instid0(SALU_CYCLE_1)
	s_and_b32 vcc_lo, exec_lo, s4
	s_cbranch_vccz .LBB1207_111
; %bb.71:
	s_lshl_b32 s4, s19, 12
	s_mov_b32 s5, 0
	v_dual_mov_b32 v21, 0 :: v_dual_lshlrev_b32 v20, 3, v33
	s_lshl_b64 s[24:25], s[4:5], 3
	v_lshlrev_b32_e32 v1, 6, v32
	s_add_nc_u64 s[12:13], s[12:13], s[24:25]
	s_bfe_u32 s3, ttmp6, 0x4000c
	v_add_nc_u64_e32 v[4:5], s[12:13], v[20:21]
	s_add_co_i32 s3, s3, 1
	v_and_b32_e32 v20, 0xf800, v1
	s_and_b32 s4, ttmp6, 15
	s_mul_i32 s3, ttmp9, s3
	v_bfe_u32 v3, v0, 10, 10
	s_add_co_i32 s4, s4, s3
	v_add_nc_u64_e32 v[22:23], v[4:5], v[20:21]
	s_cmp_eq_u32 s7, 0
	v_bfe_u32 v20, v0, 20, 10
	s_cselect_b32 s3, ttmp9, s4
	s_clause 0x7
	global_load_b64 v[4:5], v[22:23], off
	global_load_b64 v[6:7], v[22:23], off offset:256
	global_load_b64 v[8:9], v[22:23], off offset:512
	;; [unrolled: 1-line block ×7, first 2 shown]
	s_clause 0x1
	s_load_b32 s12, s[0:1], 0x58
	s_load_u16 s6, s[0:1], 0x66
	s_wait_kmcnt 0x0
	s_cmp_lt_u32 s3, s12
	s_cselect_b32 s4, 12, 18
	s_lshl_b32 s13, -1, s17
	s_add_nc_u64 s[0:1], s[22:23], s[4:5]
	s_load_u16 s0, s[0:1], 0x0
	s_wait_loadcnt 0x7
	v_xor_b32_e32 v5, 0x80000000, v5
	s_delay_alu instid0(VALU_DEP_1) | instskip(SKIP_1) | instid1(VALU_DEP_2)
	v_lshrrev_b64 v[0:1], s16, v[4:5]
	v_mad_u32_u24 v1, v20, s6, v3
	v_bitop3_b32 v3, v0, 1, s13 bitop3:0x40
	v_bitop3_b32 v20, v0, s13, v0 bitop3:0x30
	s_wait_kmcnt 0x0
	s_delay_alu instid0(VALU_DEP_3) | instskip(NEXT) | instid1(VALU_DEP_3)
	v_mad_u32 v0, v1, s0, v32
	v_add_co_u32 v1, s0, v3, -1
	s_delay_alu instid0(VALU_DEP_1) | instskip(SKIP_2) | instid1(VALU_DEP_3)
	v_cndmask_b32_e64 v3, 0, 1, s0
	v_dual_lshlrev_b32 v22, 30, v20 :: v_dual_lshlrev_b32 v23, 29, v20
	v_dual_lshlrev_b32 v24, 28, v20 :: v_dual_lshlrev_b32 v25, 27, v20
	v_cmp_ne_u32_e32 vcc_lo, 0, v3
	s_delay_alu instid0(VALU_DEP_3)
	v_not_b32_e32 v3, v22
	v_dual_lshlrev_b32 v26, 26, v20 :: v_dual_lshlrev_b32 v27, 25, v20
	v_cmp_gt_i32_e64 s0, 0, v22
	v_cmp_gt_i32_e64 s1, 0, v23
	v_not_b32_e32 v22, v23
	v_not_b32_e32 v23, v24
	v_dual_ashrrev_i32 v3, 31, v3 :: v_dual_lshlrev_b32 v28, 24, v20
	v_xor_b32_e32 v1, vcc_lo, v1
	v_cmp_gt_i32_e64 s3, 0, v24
	v_cmp_gt_i32_e64 s4, 0, v25
	v_not_b32_e32 v24, v25
	v_not_b32_e32 v25, v26
	v_dual_ashrrev_i32 v22, 31, v22 :: v_dual_ashrrev_i32 v23, 31, v23
	s_delay_alu instid0(VALU_DEP_3)
	v_dual_ashrrev_i32 v24, 31, v24 :: v_dual_bitop2_b32 v3, s0, v3 bitop3:0x14
	v_cmp_gt_i32_e64 s5, 0, v26
	v_cmp_gt_i32_e64 s6, 0, v27
	v_not_b32_e32 v26, v27
	v_not_b32_e32 v27, v28
	v_dual_ashrrev_i32 v25, 31, v25 :: v_dual_bitop2_b32 v22, s1, v22 bitop3:0x14
	v_xor_b32_e32 v23, s3, v23
	v_bitop3_b32 v1, v1, v3, exec_lo bitop3:0x80
	v_cmp_gt_i32_e64 s7, 0, v28
	v_dual_ashrrev_i32 v3, 31, v26 :: v_dual_ashrrev_i32 v26, 31, v27
	v_xor_b32_e32 v24, s4, v24
	v_dual_lshrrev_b32 v0, 5, v0 :: v_dual_bitop2_b32 v25, s5, v25 bitop3:0x14
	v_bitop3_b32 v1, v1, v23, v22 bitop3:0x80
	s_delay_alu instid0(VALU_DEP_4)
	v_xor_b32_e32 v3, s6, v3
	v_xor_b32_e32 v22, s7, v26
	v_mul_u32_u24_e32 v26, 36, v32
	v_lshlrev_b32_e32 v0, 2, v0
	v_bitop3_b32 v1, v1, v25, v24 bitop3:0x80
	s_not_b32 s6, s13
	ds_store_2addr_b32 v26, v21, v21 offset0:16 offset1:17
	ds_store_2addr_b32 v26, v21, v21 offset0:18 offset1:19
	;; [unrolled: 1-line block ×4, first 2 shown]
	v_mad_u32 v27, 0x44, v20, v0
	v_bitop3_b32 v1, v1, v22, v3 bitop3:0x80
	ds_store_b32 v26, v21 offset:96
	s_wait_storecnt 0x0
	s_wait_loadcnt_dscnt 0x0
	s_barrier_signal -1
	s_barrier_wait -1
	v_mbcnt_lo_u32_b32 v3, v1, 0
	v_cmp_ne_u32_e64 s0, 0, v1
	; wave barrier
	s_delay_alu instid0(VALU_DEP_2) | instskip(SKIP_1) | instid1(SALU_CYCLE_1)
	v_cmp_eq_u32_e32 vcc_lo, 0, v3
	s_and_b32 s1, s0, vcc_lo
	s_and_saveexec_b32 s0, s1
; %bb.72:
	v_bcnt_u32_b32 v1, v1, 0
	ds_store_b32 v27, v1 offset:64
; %bb.73:
	s_or_b32 exec_lo, exec_lo, s0
	v_xor_b32_e32 v7, 0x80000000, v7
	; wave barrier
	s_delay_alu instid0(VALU_DEP_1) | instskip(NEXT) | instid1(VALU_DEP_1)
	v_lshrrev_b64 v[20:21], s16, v[6:7]
	v_and_b32_e32 v1, s6, v20
	v_bitop3_b32 v20, v20, 1, s6 bitop3:0x80
	s_delay_alu instid0(VALU_DEP_2) | instskip(NEXT) | instid1(VALU_DEP_2)
	v_lshlrev_b32_e32 v22, 30, v1
	v_add_co_u32 v20, s0, v20, -1
	s_delay_alu instid0(VALU_DEP_1) | instskip(NEXT) | instid1(VALU_DEP_1)
	v_cndmask_b32_e64 v21, 0, 1, s0
	v_cmp_ne_u32_e32 vcc_lo, 0, v21
	s_delay_alu instid0(VALU_DEP_4) | instskip(NEXT) | instid1(VALU_DEP_1)
	v_not_b32_e32 v21, v22
	v_dual_ashrrev_i32 v21, 31, v21 :: v_dual_bitop2_b32 v20, vcc_lo, v20 bitop3:0x14
	v_dual_lshlrev_b32 v23, 29, v1 :: v_dual_lshlrev_b32 v24, 28, v1
	v_dual_lshlrev_b32 v25, 27, v1 :: v_dual_lshlrev_b32 v29, 26, v1
	v_lshlrev_b32_e32 v30, 25, v1
	v_cmp_gt_i32_e64 s0, 0, v22
	s_delay_alu instid0(VALU_DEP_4)
	v_cmp_gt_i32_e64 s1, 0, v23
	v_not_b32_e32 v22, v23
	v_cmp_gt_i32_e64 s3, 0, v24
	v_not_b32_e32 v23, v24
	v_not_b32_e32 v24, v25
	v_mad_u32 v28, 0x44, v1, v0
	v_lshlrev_b32_e32 v1, 24, v1
	v_cmp_gt_i32_e64 s4, 0, v25
	v_not_b32_e32 v25, v29
	v_dual_ashrrev_i32 v22, 31, v22 :: v_dual_ashrrev_i32 v23, 31, v23
	v_dual_ashrrev_i32 v24, 31, v24 :: v_dual_bitop2_b32 v21, s0, v21 bitop3:0x14
	v_cmp_gt_i32_e64 s5, 0, v29
	v_not_b32_e32 v29, v30
	s_delay_alu instid0(VALU_DEP_4)
	v_dual_ashrrev_i32 v25, 31, v25 :: v_dual_bitop2_b32 v22, s1, v22 bitop3:0x14
	v_xor_b32_e32 v23, s3, v23
	v_bitop3_b32 v20, v20, v21, exec_lo bitop3:0x80
	v_not_b32_e32 v21, v1
	v_xor_b32_e32 v24, s4, v24
	v_xor_b32_e32 v25, s5, v25
	v_cmp_gt_i32_e32 vcc_lo, 0, v30
	v_ashrrev_i32_e32 v29, 31, v29
	v_cmp_gt_i32_e64 s0, 0, v1
	v_ashrrev_i32_e32 v1, 31, v21
	v_bitop3_b32 v20, v20, v23, v22 bitop3:0x80
	ds_load_b32 v30, v28 offset:64
	v_xor_b32_e32 v21, vcc_lo, v29
	v_xor_b32_e32 v1, s0, v1
	v_bitop3_b32 v20, v20, v25, v24 bitop3:0x80
	; wave barrier
	s_delay_alu instid0(VALU_DEP_1) | instskip(NEXT) | instid1(VALU_DEP_1)
	v_bitop3_b32 v1, v20, v1, v21 bitop3:0x80
	v_mbcnt_lo_u32_b32 v31, v1, 0
	v_cmp_ne_u32_e64 s0, 0, v1
	s_delay_alu instid0(VALU_DEP_2) | instskip(SKIP_1) | instid1(SALU_CYCLE_1)
	v_cmp_eq_u32_e32 vcc_lo, 0, v31
	s_and_b32 s1, s0, vcc_lo
	s_and_saveexec_b32 s0, s1
	s_cbranch_execz .LBB1207_75
; %bb.74:
	s_wait_dscnt 0x0
	v_bcnt_u32_b32 v1, v1, v30
	ds_store_b32 v28, v1 offset:64
.LBB1207_75:
	s_or_b32 exec_lo, exec_lo, s0
	v_xor_b32_e32 v9, 0x80000000, v9
	; wave barrier
	s_delay_alu instid0(VALU_DEP_1) | instskip(NEXT) | instid1(VALU_DEP_1)
	v_lshrrev_b64 v[20:21], s16, v[8:9]
	v_and_b32_e32 v1, s6, v20
	v_bitop3_b32 v20, v20, 1, s6 bitop3:0x80
	s_delay_alu instid0(VALU_DEP_2) | instskip(NEXT) | instid1(VALU_DEP_2)
	v_lshlrev_b32_e32 v22, 30, v1
	v_add_co_u32 v20, s0, v20, -1
	s_delay_alu instid0(VALU_DEP_1) | instskip(NEXT) | instid1(VALU_DEP_1)
	v_cndmask_b32_e64 v21, 0, 1, s0
	v_cmp_ne_u32_e32 vcc_lo, 0, v21
	s_delay_alu instid0(VALU_DEP_4) | instskip(NEXT) | instid1(VALU_DEP_1)
	v_not_b32_e32 v21, v22
	v_dual_ashrrev_i32 v21, 31, v21 :: v_dual_bitop2_b32 v20, vcc_lo, v20 bitop3:0x14
	v_dual_lshlrev_b32 v23, 29, v1 :: v_dual_lshlrev_b32 v24, 28, v1
	v_dual_lshlrev_b32 v25, 27, v1 :: v_dual_lshlrev_b32 v34, 26, v1
	v_lshlrev_b32_e32 v35, 25, v1
	v_cmp_gt_i32_e64 s0, 0, v22
	s_delay_alu instid0(VALU_DEP_4)
	v_cmp_gt_i32_e64 s1, 0, v23
	v_not_b32_e32 v22, v23
	v_cmp_gt_i32_e64 s3, 0, v24
	v_not_b32_e32 v23, v24
	v_not_b32_e32 v24, v25
	v_mad_u32 v29, 0x44, v1, v0
	v_lshlrev_b32_e32 v1, 24, v1
	v_cmp_gt_i32_e64 s4, 0, v25
	v_not_b32_e32 v25, v34
	v_dual_ashrrev_i32 v22, 31, v22 :: v_dual_ashrrev_i32 v23, 31, v23
	v_dual_ashrrev_i32 v24, 31, v24 :: v_dual_bitop2_b32 v21, s0, v21 bitop3:0x14
	v_cmp_gt_i32_e64 s5, 0, v34
	v_not_b32_e32 v34, v35
	s_delay_alu instid0(VALU_DEP_4)
	v_dual_ashrrev_i32 v25, 31, v25 :: v_dual_bitop2_b32 v22, s1, v22 bitop3:0x14
	v_xor_b32_e32 v23, s3, v23
	v_bitop3_b32 v20, v20, v21, exec_lo bitop3:0x80
	v_not_b32_e32 v21, v1
	v_xor_b32_e32 v24, s4, v24
	v_xor_b32_e32 v25, s5, v25
	v_cmp_gt_i32_e32 vcc_lo, 0, v35
	v_ashrrev_i32_e32 v34, 31, v34
	v_cmp_gt_i32_e64 s0, 0, v1
	v_ashrrev_i32_e32 v1, 31, v21
	v_bitop3_b32 v20, v20, v23, v22 bitop3:0x80
	s_delay_alu instid0(VALU_DEP_4) | instskip(SKIP_3) | instid1(VALU_DEP_1)
	v_xor_b32_e32 v21, vcc_lo, v34
	ds_load_b32 v34, v29 offset:64
	v_xor_b32_e32 v1, s0, v1
	v_bitop3_b32 v20, v20, v25, v24 bitop3:0x80
	; wave barrier
	v_bitop3_b32 v1, v20, v1, v21 bitop3:0x80
	s_delay_alu instid0(VALU_DEP_1) | instskip(SKIP_1) | instid1(VALU_DEP_2)
	v_mbcnt_lo_u32_b32 v35, v1, 0
	v_cmp_ne_u32_e64 s0, 0, v1
	v_cmp_eq_u32_e32 vcc_lo, 0, v35
	s_and_b32 s1, s0, vcc_lo
	s_delay_alu instid0(SALU_CYCLE_1)
	s_and_saveexec_b32 s0, s1
	s_cbranch_execz .LBB1207_77
; %bb.76:
	s_wait_dscnt 0x0
	v_bcnt_u32_b32 v1, v1, v34
	ds_store_b32 v29, v1 offset:64
.LBB1207_77:
	s_or_b32 exec_lo, exec_lo, s0
	v_xor_b32_e32 v11, 0x80000000, v11
	; wave barrier
	s_delay_alu instid0(VALU_DEP_1) | instskip(NEXT) | instid1(VALU_DEP_1)
	v_lshrrev_b64 v[20:21], s16, v[10:11]
	v_and_b32_e32 v1, s6, v20
	v_bitop3_b32 v20, v20, 1, s6 bitop3:0x80
	s_delay_alu instid0(VALU_DEP_2) | instskip(NEXT) | instid1(VALU_DEP_2)
	v_lshlrev_b32_e32 v22, 30, v1
	v_add_co_u32 v20, s0, v20, -1
	s_delay_alu instid0(VALU_DEP_1) | instskip(NEXT) | instid1(VALU_DEP_1)
	v_cndmask_b32_e64 v21, 0, 1, s0
	v_cmp_ne_u32_e32 vcc_lo, 0, v21
	s_delay_alu instid0(VALU_DEP_4) | instskip(NEXT) | instid1(VALU_DEP_1)
	v_not_b32_e32 v21, v22
	v_dual_ashrrev_i32 v21, 31, v21 :: v_dual_bitop2_b32 v20, vcc_lo, v20 bitop3:0x14
	v_dual_lshlrev_b32 v23, 29, v1 :: v_dual_lshlrev_b32 v24, 28, v1
	v_dual_lshlrev_b32 v25, 27, v1 :: v_dual_lshlrev_b32 v36, 26, v1
	v_lshlrev_b32_e32 v37, 25, v1
	v_cmp_gt_i32_e64 s0, 0, v22
	s_delay_alu instid0(VALU_DEP_4)
	v_cmp_gt_i32_e64 s1, 0, v23
	v_not_b32_e32 v22, v23
	v_cmp_gt_i32_e64 s3, 0, v24
	v_not_b32_e32 v23, v24
	v_not_b32_e32 v24, v25
	v_mad_u32 v38, 0x44, v1, v0
	v_lshlrev_b32_e32 v1, 24, v1
	v_cmp_gt_i32_e64 s4, 0, v25
	v_not_b32_e32 v25, v36
	v_dual_ashrrev_i32 v22, 31, v22 :: v_dual_ashrrev_i32 v23, 31, v23
	v_dual_ashrrev_i32 v24, 31, v24 :: v_dual_bitop2_b32 v21, s0, v21 bitop3:0x14
	v_cmp_gt_i32_e64 s5, 0, v36
	v_not_b32_e32 v36, v37
	s_delay_alu instid0(VALU_DEP_4)
	v_dual_ashrrev_i32 v25, 31, v25 :: v_dual_bitop2_b32 v22, s1, v22 bitop3:0x14
	v_xor_b32_e32 v23, s3, v23
	v_bitop3_b32 v20, v20, v21, exec_lo bitop3:0x80
	v_not_b32_e32 v21, v1
	v_xor_b32_e32 v24, s4, v24
	v_xor_b32_e32 v25, s5, v25
	v_cmp_gt_i32_e32 vcc_lo, 0, v37
	v_ashrrev_i32_e32 v36, 31, v36
	v_cmp_gt_i32_e64 s0, 0, v1
	v_ashrrev_i32_e32 v1, 31, v21
	v_bitop3_b32 v20, v20, v23, v22 bitop3:0x80
	s_delay_alu instid0(VALU_DEP_4) | instskip(SKIP_3) | instid1(VALU_DEP_1)
	v_xor_b32_e32 v21, vcc_lo, v36
	ds_load_b32 v36, v38 offset:64
	v_xor_b32_e32 v1, s0, v1
	v_bitop3_b32 v20, v20, v25, v24 bitop3:0x80
	; wave barrier
	v_bitop3_b32 v1, v20, v1, v21 bitop3:0x80
	s_delay_alu instid0(VALU_DEP_1) | instskip(SKIP_1) | instid1(VALU_DEP_2)
	v_mbcnt_lo_u32_b32 v37, v1, 0
	v_cmp_ne_u32_e64 s0, 0, v1
	v_cmp_eq_u32_e32 vcc_lo, 0, v37
	s_and_b32 s1, s0, vcc_lo
	s_delay_alu instid0(SALU_CYCLE_1)
	s_and_saveexec_b32 s0, s1
	s_cbranch_execz .LBB1207_79
; %bb.78:
	s_wait_dscnt 0x0
	v_bcnt_u32_b32 v1, v1, v36
	ds_store_b32 v38, v1 offset:64
.LBB1207_79:
	s_or_b32 exec_lo, exec_lo, s0
	v_xor_b32_e32 v13, 0x80000000, v13
	; wave barrier
	s_delay_alu instid0(VALU_DEP_1) | instskip(NEXT) | instid1(VALU_DEP_1)
	v_lshrrev_b64 v[20:21], s16, v[12:13]
	v_and_b32_e32 v1, s6, v20
	v_bitop3_b32 v20, v20, 1, s6 bitop3:0x80
	s_delay_alu instid0(VALU_DEP_2) | instskip(NEXT) | instid1(VALU_DEP_2)
	v_lshlrev_b32_e32 v22, 30, v1
	v_add_co_u32 v20, s0, v20, -1
	s_delay_alu instid0(VALU_DEP_1) | instskip(NEXT) | instid1(VALU_DEP_1)
	v_cndmask_b32_e64 v21, 0, 1, s0
	v_cmp_ne_u32_e32 vcc_lo, 0, v21
	s_delay_alu instid0(VALU_DEP_4) | instskip(NEXT) | instid1(VALU_DEP_1)
	v_not_b32_e32 v21, v22
	v_dual_ashrrev_i32 v21, 31, v21 :: v_dual_bitop2_b32 v20, vcc_lo, v20 bitop3:0x14
	v_dual_lshlrev_b32 v23, 29, v1 :: v_dual_lshlrev_b32 v24, 28, v1
	v_dual_lshlrev_b32 v25, 27, v1 :: v_dual_lshlrev_b32 v39, 26, v1
	v_lshlrev_b32_e32 v40, 25, v1
	v_cmp_gt_i32_e64 s0, 0, v22
	s_delay_alu instid0(VALU_DEP_4)
	v_cmp_gt_i32_e64 s1, 0, v23
	v_not_b32_e32 v22, v23
	v_cmp_gt_i32_e64 s3, 0, v24
	v_not_b32_e32 v23, v24
	v_not_b32_e32 v24, v25
	v_mad_u32 v41, 0x44, v1, v0
	v_lshlrev_b32_e32 v1, 24, v1
	v_cmp_gt_i32_e64 s4, 0, v25
	v_not_b32_e32 v25, v39
	v_dual_ashrrev_i32 v22, 31, v22 :: v_dual_ashrrev_i32 v23, 31, v23
	v_dual_ashrrev_i32 v24, 31, v24 :: v_dual_bitop2_b32 v21, s0, v21 bitop3:0x14
	v_cmp_gt_i32_e64 s5, 0, v39
	v_not_b32_e32 v39, v40
	s_delay_alu instid0(VALU_DEP_4) | instskip(NEXT) | instid1(VALU_DEP_4)
	v_dual_ashrrev_i32 v25, 31, v25 :: v_dual_bitop2_b32 v22, s1, v22 bitop3:0x14
	v_bitop3_b32 v20, v20, v21, exec_lo bitop3:0x80
	v_not_b32_e32 v21, v1
	v_xor_b32_e32 v23, s3, v23
	v_dual_ashrrev_i32 v39, 31, v39 :: v_dual_bitop2_b32 v24, s4, v24 bitop3:0x14
	v_xor_b32_e32 v25, s5, v25
	v_cmp_gt_i32_e32 vcc_lo, 0, v40
	v_cmp_gt_i32_e64 s0, 0, v1
	v_ashrrev_i32_e32 v1, 31, v21
	v_bitop3_b32 v20, v20, v23, v22 bitop3:0x80
	v_xor_b32_e32 v21, vcc_lo, v39
	ds_load_b32 v39, v41 offset:64
	v_xor_b32_e32 v1, s0, v1
	v_bitop3_b32 v20, v20, v25, v24 bitop3:0x80
	; wave barrier
	s_delay_alu instid0(VALU_DEP_1) | instskip(NEXT) | instid1(VALU_DEP_1)
	v_bitop3_b32 v1, v20, v1, v21 bitop3:0x80
	v_mbcnt_lo_u32_b32 v40, v1, 0
	v_cmp_ne_u32_e64 s0, 0, v1
	s_delay_alu instid0(VALU_DEP_2) | instskip(SKIP_1) | instid1(SALU_CYCLE_1)
	v_cmp_eq_u32_e32 vcc_lo, 0, v40
	s_and_b32 s1, s0, vcc_lo
	s_and_saveexec_b32 s0, s1
	s_cbranch_execz .LBB1207_81
; %bb.80:
	s_wait_dscnt 0x0
	v_bcnt_u32_b32 v1, v1, v39
	ds_store_b32 v41, v1 offset:64
.LBB1207_81:
	s_or_b32 exec_lo, exec_lo, s0
	v_xor_b32_e32 v15, 0x80000000, v15
	; wave barrier
	s_delay_alu instid0(VALU_DEP_1) | instskip(NEXT) | instid1(VALU_DEP_1)
	v_lshrrev_b64 v[20:21], s16, v[14:15]
	v_and_b32_e32 v1, s6, v20
	v_bitop3_b32 v20, v20, 1, s6 bitop3:0x80
	s_delay_alu instid0(VALU_DEP_2) | instskip(NEXT) | instid1(VALU_DEP_2)
	v_lshlrev_b32_e32 v22, 30, v1
	v_add_co_u32 v20, s0, v20, -1
	s_delay_alu instid0(VALU_DEP_1) | instskip(NEXT) | instid1(VALU_DEP_1)
	v_cndmask_b32_e64 v21, 0, 1, s0
	v_cmp_ne_u32_e32 vcc_lo, 0, v21
	s_delay_alu instid0(VALU_DEP_4) | instskip(NEXT) | instid1(VALU_DEP_1)
	v_not_b32_e32 v21, v22
	v_dual_ashrrev_i32 v21, 31, v21 :: v_dual_bitop2_b32 v20, vcc_lo, v20 bitop3:0x14
	v_dual_lshlrev_b32 v23, 29, v1 :: v_dual_lshlrev_b32 v24, 28, v1
	v_dual_lshlrev_b32 v25, 27, v1 :: v_dual_lshlrev_b32 v42, 26, v1
	v_lshlrev_b32_e32 v43, 25, v1
	v_cmp_gt_i32_e64 s0, 0, v22
	s_delay_alu instid0(VALU_DEP_4)
	v_cmp_gt_i32_e64 s1, 0, v23
	v_not_b32_e32 v22, v23
	v_cmp_gt_i32_e64 s3, 0, v24
	v_not_b32_e32 v23, v24
	v_not_b32_e32 v24, v25
	v_mad_u32 v44, 0x44, v1, v0
	v_lshlrev_b32_e32 v1, 24, v1
	v_cmp_gt_i32_e64 s4, 0, v25
	v_not_b32_e32 v25, v42
	v_dual_ashrrev_i32 v22, 31, v22 :: v_dual_ashrrev_i32 v23, 31, v23
	v_dual_ashrrev_i32 v24, 31, v24 :: v_dual_bitop2_b32 v21, s0, v21 bitop3:0x14
	v_cmp_gt_i32_e64 s5, 0, v42
	v_not_b32_e32 v42, v43
	s_delay_alu instid0(VALU_DEP_4)
	v_dual_ashrrev_i32 v25, 31, v25 :: v_dual_bitop2_b32 v22, s1, v22 bitop3:0x14
	v_xor_b32_e32 v23, s3, v23
	v_bitop3_b32 v20, v20, v21, exec_lo bitop3:0x80
	v_not_b32_e32 v21, v1
	v_xor_b32_e32 v24, s4, v24
	v_xor_b32_e32 v25, s5, v25
	v_cmp_gt_i32_e32 vcc_lo, 0, v43
	v_ashrrev_i32_e32 v42, 31, v42
	v_cmp_gt_i32_e64 s0, 0, v1
	v_ashrrev_i32_e32 v1, 31, v21
	v_bitop3_b32 v20, v20, v23, v22 bitop3:0x80
	s_delay_alu instid0(VALU_DEP_4) | instskip(SKIP_3) | instid1(VALU_DEP_1)
	v_xor_b32_e32 v21, vcc_lo, v42
	ds_load_b32 v42, v44 offset:64
	v_xor_b32_e32 v1, s0, v1
	v_bitop3_b32 v20, v20, v25, v24 bitop3:0x80
	; wave barrier
	v_bitop3_b32 v1, v20, v1, v21 bitop3:0x80
	s_delay_alu instid0(VALU_DEP_1) | instskip(SKIP_1) | instid1(VALU_DEP_2)
	v_mbcnt_lo_u32_b32 v43, v1, 0
	v_cmp_ne_u32_e64 s0, 0, v1
	v_cmp_eq_u32_e32 vcc_lo, 0, v43
	s_and_b32 s1, s0, vcc_lo
	s_delay_alu instid0(SALU_CYCLE_1)
	s_and_saveexec_b32 s0, s1
	s_cbranch_execz .LBB1207_83
; %bb.82:
	s_wait_dscnt 0x0
	v_bcnt_u32_b32 v1, v1, v42
	ds_store_b32 v44, v1 offset:64
.LBB1207_83:
	s_or_b32 exec_lo, exec_lo, s0
	v_xor_b32_e32 v17, 0x80000000, v17
	; wave barrier
	s_delay_alu instid0(VALU_DEP_1) | instskip(NEXT) | instid1(VALU_DEP_1)
	v_lshrrev_b64 v[20:21], s16, v[16:17]
	v_and_b32_e32 v1, s6, v20
	v_bitop3_b32 v20, v20, 1, s6 bitop3:0x80
	s_delay_alu instid0(VALU_DEP_2) | instskip(NEXT) | instid1(VALU_DEP_2)
	v_lshlrev_b32_e32 v22, 30, v1
	v_add_co_u32 v20, s0, v20, -1
	s_delay_alu instid0(VALU_DEP_1) | instskip(NEXT) | instid1(VALU_DEP_1)
	v_cndmask_b32_e64 v21, 0, 1, s0
	v_cmp_ne_u32_e32 vcc_lo, 0, v21
	s_delay_alu instid0(VALU_DEP_4) | instskip(NEXT) | instid1(VALU_DEP_1)
	v_not_b32_e32 v21, v22
	v_dual_ashrrev_i32 v21, 31, v21 :: v_dual_bitop2_b32 v20, vcc_lo, v20 bitop3:0x14
	v_dual_lshlrev_b32 v23, 29, v1 :: v_dual_lshlrev_b32 v24, 28, v1
	v_dual_lshlrev_b32 v25, 27, v1 :: v_dual_lshlrev_b32 v45, 26, v1
	v_lshlrev_b32_e32 v46, 25, v1
	v_cmp_gt_i32_e64 s0, 0, v22
	s_delay_alu instid0(VALU_DEP_4)
	v_cmp_gt_i32_e64 s1, 0, v23
	v_not_b32_e32 v22, v23
	v_cmp_gt_i32_e64 s3, 0, v24
	v_not_b32_e32 v23, v24
	v_not_b32_e32 v24, v25
	v_mad_u32 v47, 0x44, v1, v0
	v_lshlrev_b32_e32 v1, 24, v1
	v_cmp_gt_i32_e64 s4, 0, v25
	v_not_b32_e32 v25, v45
	v_dual_ashrrev_i32 v22, 31, v22 :: v_dual_ashrrev_i32 v23, 31, v23
	v_dual_ashrrev_i32 v24, 31, v24 :: v_dual_bitop2_b32 v21, s0, v21 bitop3:0x14
	v_cmp_gt_i32_e64 s5, 0, v45
	v_not_b32_e32 v45, v46
	s_delay_alu instid0(VALU_DEP_4)
	v_dual_ashrrev_i32 v25, 31, v25 :: v_dual_bitop2_b32 v22, s1, v22 bitop3:0x14
	v_xor_b32_e32 v23, s3, v23
	v_bitop3_b32 v20, v20, v21, exec_lo bitop3:0x80
	v_not_b32_e32 v21, v1
	v_xor_b32_e32 v24, s4, v24
	v_xor_b32_e32 v25, s5, v25
	v_cmp_gt_i32_e32 vcc_lo, 0, v46
	v_ashrrev_i32_e32 v45, 31, v45
	v_cmp_gt_i32_e64 s0, 0, v1
	v_ashrrev_i32_e32 v1, 31, v21
	v_bitop3_b32 v20, v20, v23, v22 bitop3:0x80
	s_delay_alu instid0(VALU_DEP_4) | instskip(SKIP_3) | instid1(VALU_DEP_1)
	v_xor_b32_e32 v21, vcc_lo, v45
	ds_load_b32 v45, v47 offset:64
	v_xor_b32_e32 v1, s0, v1
	v_bitop3_b32 v20, v20, v25, v24 bitop3:0x80
	; wave barrier
	v_bitop3_b32 v1, v20, v1, v21 bitop3:0x80
	s_delay_alu instid0(VALU_DEP_1) | instskip(SKIP_1) | instid1(VALU_DEP_2)
	v_mbcnt_lo_u32_b32 v46, v1, 0
	v_cmp_ne_u32_e64 s0, 0, v1
	v_cmp_eq_u32_e32 vcc_lo, 0, v46
	s_and_b32 s1, s0, vcc_lo
	s_delay_alu instid0(SALU_CYCLE_1)
	s_and_saveexec_b32 s0, s1
	s_cbranch_execz .LBB1207_85
; %bb.84:
	s_wait_dscnt 0x0
	v_bcnt_u32_b32 v1, v1, v45
	ds_store_b32 v47, v1 offset:64
.LBB1207_85:
	s_or_b32 exec_lo, exec_lo, s0
	v_xor_b32_e32 v19, 0x80000000, v19
	; wave barrier
	s_delay_alu instid0(VALU_DEP_1) | instskip(NEXT) | instid1(VALU_DEP_1)
	v_lshrrev_b64 v[20:21], s16, v[18:19]
	v_and_b32_e32 v1, s6, v20
	v_bitop3_b32 v20, v20, 1, s6 bitop3:0x80
	s_delay_alu instid0(VALU_DEP_2) | instskip(NEXT) | instid1(VALU_DEP_2)
	v_mad_u32 v50, 0x44, v1, v0
	v_add_co_u32 v0, s0, v20, -1
	s_delay_alu instid0(VALU_DEP_1) | instskip(SKIP_1) | instid1(VALU_DEP_2)
	v_cndmask_b32_e64 v20, 0, 1, s0
	v_lshlrev_b32_e32 v21, 30, v1
	v_cmp_ne_u32_e32 vcc_lo, 0, v20
	s_delay_alu instid0(VALU_DEP_2) | instskip(SKIP_1) | instid1(VALU_DEP_2)
	v_not_b32_e32 v20, v21
	v_xor_b32_e32 v0, vcc_lo, v0
	v_dual_ashrrev_i32 v20, 31, v20 :: v_dual_lshlrev_b32 v22, 29, v1
	v_dual_lshlrev_b32 v23, 28, v1 :: v_dual_lshlrev_b32 v24, 27, v1
	v_dual_lshlrev_b32 v25, 26, v1 :: v_dual_lshlrev_b32 v48, 25, v1
	v_cmp_gt_i32_e64 s0, 0, v21
	s_delay_alu instid0(VALU_DEP_4)
	v_cmp_gt_i32_e64 s1, 0, v22
	v_not_b32_e32 v21, v22
	v_cmp_gt_i32_e64 s3, 0, v23
	v_not_b32_e32 v22, v23
	v_not_b32_e32 v23, v24
	v_lshlrev_b32_e32 v1, 24, v1
	v_cmp_gt_i32_e64 s4, 0, v24
	v_not_b32_e32 v24, v25
	v_dual_ashrrev_i32 v21, 31, v21 :: v_dual_ashrrev_i32 v22, 31, v22
	v_dual_ashrrev_i32 v23, 31, v23 :: v_dual_bitop2_b32 v20, s0, v20 bitop3:0x14
	v_cmp_gt_i32_e64 s5, 0, v25
	v_not_b32_e32 v25, v48
	s_delay_alu instid0(VALU_DEP_4)
	v_dual_ashrrev_i32 v24, 31, v24 :: v_dual_bitop2_b32 v21, s1, v21 bitop3:0x14
	v_xor_b32_e32 v22, s3, v22
	v_bitop3_b32 v0, v0, v20, exec_lo bitop3:0x80
	v_not_b32_e32 v20, v1
	v_xor_b32_e32 v23, s4, v23
	v_xor_b32_e32 v24, s5, v24
	v_cmp_gt_i32_e32 vcc_lo, 0, v48
	v_ashrrev_i32_e32 v25, 31, v25
	v_cmp_gt_i32_e64 s0, 0, v1
	v_ashrrev_i32_e32 v1, 31, v20
	v_bitop3_b32 v0, v0, v22, v21 bitop3:0x80
	ds_load_b32 v48, v50 offset:64
	v_xor_b32_e32 v20, vcc_lo, v25
	v_xor_b32_e32 v1, s0, v1
	v_bitop3_b32 v0, v0, v24, v23 bitop3:0x80
	; wave barrier
	s_delay_alu instid0(VALU_DEP_1) | instskip(NEXT) | instid1(VALU_DEP_1)
	v_bitop3_b32 v0, v0, v1, v20 bitop3:0x80
	v_mbcnt_lo_u32_b32 v49, v0, 0
	v_cmp_ne_u32_e64 s0, 0, v0
	s_delay_alu instid0(VALU_DEP_2) | instskip(SKIP_1) | instid1(SALU_CYCLE_1)
	v_cmp_eq_u32_e32 vcc_lo, 0, v49
	s_and_b32 s1, s0, vcc_lo
	s_and_saveexec_b32 s0, s1
	s_cbranch_execz .LBB1207_87
; %bb.86:
	s_wait_dscnt 0x0
	v_bcnt_u32_b32 v0, v0, v48
	ds_store_b32 v50, v0 offset:64
.LBB1207_87:
	s_or_b32 exec_lo, exec_lo, s0
	; wave barrier
	s_wait_dscnt 0x0
	s_barrier_signal -1
	s_barrier_wait -1
	ds_load_2addr_b32 v[24:25], v26 offset0:16 offset1:17
	ds_load_2addr_b32 v[22:23], v26 offset0:18 offset1:19
	;; [unrolled: 1-line block ×4, first 2 shown]
	ds_load_b32 v51, v26 offset:96
	v_bfe_i32 v54, v33, 4, 1
	s_mov_b32 s5, exec_lo
	s_wait_dscnt 0x3
	v_add3_u32 v52, v25, v24, v22
	s_wait_dscnt 0x2
	s_delay_alu instid0(VALU_DEP_1) | instskip(SKIP_1) | instid1(VALU_DEP_1)
	v_add3_u32 v52, v52, v23, v20
	s_wait_dscnt 0x1
	v_add3_u32 v52, v52, v21, v0
	s_wait_dscnt 0x0
	s_delay_alu instid0(VALU_DEP_1) | instskip(SKIP_1) | instid1(VALU_DEP_2)
	v_add3_u32 v51, v52, v1, v51
	v_and_b32_e32 v52, 15, v33
	v_mov_b32_dpp v53, v51 row_shr:1 row_mask:0xf bank_mask:0xf
	s_delay_alu instid0(VALU_DEP_2) | instskip(NEXT) | instid1(VALU_DEP_2)
	v_cmp_eq_u32_e32 vcc_lo, 0, v52
	v_cndmask_b32_e64 v53, v53, 0, vcc_lo
	s_delay_alu instid0(VALU_DEP_1) | instskip(SKIP_3) | instid1(VALU_DEP_4)
	v_add_nc_u32_e32 v51, v53, v51
	v_cmp_lt_u32_e64 s0, 1, v52
	v_cmp_lt_u32_e64 s1, 3, v52
	;; [unrolled: 1-line block ×3, first 2 shown]
	v_mov_b32_dpp v53, v51 row_shr:2 row_mask:0xf bank_mask:0xf
	s_delay_alu instid0(VALU_DEP_1) | instskip(NEXT) | instid1(VALU_DEP_1)
	v_cndmask_b32_e64 v53, 0, v53, s0
	v_add_nc_u32_e32 v51, v51, v53
	s_delay_alu instid0(VALU_DEP_1) | instskip(NEXT) | instid1(VALU_DEP_1)
	v_mov_b32_dpp v53, v51 row_shr:4 row_mask:0xf bank_mask:0xf
	v_cndmask_b32_e64 v53, 0, v53, s1
	s_delay_alu instid0(VALU_DEP_1) | instskip(NEXT) | instid1(VALU_DEP_1)
	v_add_nc_u32_e32 v51, v51, v53
	v_mov_b32_dpp v53, v51 row_shr:8 row_mask:0xf bank_mask:0xf
	s_delay_alu instid0(VALU_DEP_1) | instskip(SKIP_1) | instid1(VALU_DEP_2)
	v_cndmask_b32_e64 v52, 0, v53, s3
	v_and_b32_e32 v53, 0x3e0, v32
	v_add_nc_u32_e32 v51, v51, v52
	s_delay_alu instid0(VALU_DEP_2) | instskip(SKIP_4) | instid1(VALU_DEP_1)
	v_min_u32_e32 v53, 0x1e0, v53
	ds_swizzle_b32 v52, v51 offset:swizzle(BROADCAST,32,15)
	v_or_b32_e32 v53, 31, v53
	s_wait_dscnt 0x0
	v_and_b32_e32 v54, v54, v52
	v_dual_lshrrev_b32 v52, 5, v32 :: v_dual_add_nc_u32 v51, v51, v54
	s_delay_alu instid0(VALU_DEP_3)
	v_cmpx_eq_u32_e64 v32, v53
; %bb.88:
	s_delay_alu instid0(VALU_DEP_2)
	v_lshlrev_b32_e32 v53, 2, v52
	ds_store_b32 v53, v51
; %bb.89:
	s_or_b32 exec_lo, exec_lo, s5
	s_delay_alu instid0(SALU_CYCLE_1)
	s_mov_b32 s5, exec_lo
	s_wait_dscnt 0x0
	s_barrier_signal -1
	s_barrier_wait -1
	v_cmpx_gt_u32_e32 16, v32
	s_cbranch_execz .LBB1207_91
; %bb.90:
	v_lshlrev_b32_e32 v53, 2, v32
	ds_load_b32 v54, v53
	s_wait_dscnt 0x0
	v_mov_b32_dpp v55, v54 row_shr:1 row_mask:0xf bank_mask:0xf
	s_delay_alu instid0(VALU_DEP_1) | instskip(NEXT) | instid1(VALU_DEP_1)
	v_cndmask_b32_e64 v55, v55, 0, vcc_lo
	v_add_nc_u32_e32 v54, v55, v54
	s_delay_alu instid0(VALU_DEP_1) | instskip(NEXT) | instid1(VALU_DEP_1)
	v_mov_b32_dpp v55, v54 row_shr:2 row_mask:0xf bank_mask:0xf
	v_cndmask_b32_e64 v55, 0, v55, s0
	s_delay_alu instid0(VALU_DEP_1) | instskip(NEXT) | instid1(VALU_DEP_1)
	v_add_nc_u32_e32 v54, v54, v55
	v_mov_b32_dpp v55, v54 row_shr:4 row_mask:0xf bank_mask:0xf
	s_delay_alu instid0(VALU_DEP_1) | instskip(NEXT) | instid1(VALU_DEP_1)
	v_cndmask_b32_e64 v55, 0, v55, s1
	v_add_nc_u32_e32 v54, v54, v55
	s_delay_alu instid0(VALU_DEP_1) | instskip(NEXT) | instid1(VALU_DEP_1)
	v_mov_b32_dpp v55, v54 row_shr:8 row_mask:0xf bank_mask:0xf
	v_cndmask_b32_e64 v55, 0, v55, s3
	s_delay_alu instid0(VALU_DEP_1)
	v_add_nc_u32_e32 v54, v54, v55
	ds_store_b32 v53, v54
.LBB1207_91:
	s_or_b32 exec_lo, exec_lo, s5
	v_mov_b32_e32 v53, 0
	s_mov_b32 s0, exec_lo
	s_wait_dscnt 0x0
	s_barrier_signal -1
	s_barrier_wait -1
	v_cmpx_lt_u32_e32 31, v32
; %bb.92:
	v_lshl_add_u32 v52, v52, 2, -4
	ds_load_b32 v53, v52
; %bb.93:
	s_or_b32 exec_lo, exec_lo, s0
	v_sub_co_u32 v52, vcc_lo, v33, 1
	s_wait_dscnt 0x0
	v_add_nc_u32_e32 v51, v53, v51
	s_delay_alu instid0(VALU_DEP_2) | instskip(NEXT) | instid1(VALU_DEP_1)
	v_cmp_gt_i32_e64 s0, 0, v52
	v_cndmask_b32_e64 v33, v52, v33, s0
	v_cmp_lt_u32_e64 s0, 0xff, v32
	s_delay_alu instid0(VALU_DEP_2) | instskip(SKIP_4) | instid1(VALU_DEP_2)
	v_lshlrev_b32_e32 v33, 2, v33
	ds_bpermute_b32 v33, v33, v51
	s_wait_dscnt 0x0
	v_cndmask_b32_e32 v33, v33, v53, vcc_lo
	v_cmp_gt_u32_e32 vcc_lo, 0x100, v32
	v_cndmask_b32_e64 v33, v33, 0, s2
	s_delay_alu instid0(VALU_DEP_1) | instskip(NEXT) | instid1(VALU_DEP_1)
	v_add_nc_u32_e32 v24, v33, v24
	v_add_nc_u32_e32 v25, v24, v25
	s_delay_alu instid0(VALU_DEP_1) | instskip(NEXT) | instid1(VALU_DEP_1)
	v_add_nc_u32_e32 v22, v25, v22
	v_add_nc_u32_e32 v23, v22, v23
	;; [unrolled: 3-line block ×4, first 2 shown]
	ds_store_2addr_b32 v26, v33, v24 offset0:16 offset1:17
	ds_store_2addr_b32 v26, v25, v22 offset0:18 offset1:19
	;; [unrolled: 1-line block ×4, first 2 shown]
	ds_store_b32 v26, v1 offset:96
	s_wait_dscnt 0x0
	s_barrier_signal -1
	s_barrier_wait -1
	ds_load_b32 v51, v27 offset:64
	ds_load_b32 v21, v28 offset:64
	;; [unrolled: 1-line block ×8, first 2 shown]
	v_mov_b64_e32 v[0:1], 0
                                        ; implicit-def: $vgpr20
	s_and_saveexec_b32 s2, vcc_lo
	s_cbranch_execz .LBB1207_97
; %bb.94:
	v_mul_u32_u24_e32 v0, 0x44, v32
	v_dual_mov_b32 v1, 0x1000 :: v_dual_add_nc_u32 v20, 1, v32
	s_mov_b32 s3, exec_lo
	ds_load_b32 v0, v0 offset:64
	v_cmpx_ne_u32_e32 0x100, v20
; %bb.95:
	v_mul_u32_u24_e32 v1, 0x44, v20
	ds_load_b32 v1, v1 offset:64
; %bb.96:
	s_or_b32 exec_lo, exec_lo, s3
	s_wait_dscnt 0x0
	v_dual_mov_b32 v1, 0 :: v_dual_sub_nc_u32 v20, v1, v0
.LBB1207_97:
	s_or_b32 exec_lo, exec_lo, s2
	v_mov_b32_e32 v23, 0
	s_wait_dscnt 0x0
	s_barrier_signal -1
	s_barrier_wait -1
	s_and_saveexec_b32 s1, vcc_lo
	s_cbranch_execz .LBB1207_107
; %bb.98:
	v_lshl_add_u32 v22, s19, 8, v32
	v_dual_mov_b32 v26, 0 :: v_dual_bitop2_b32 v27, 2.0, v20 bitop3:0x54
	s_mov_b32 s2, 0
	s_mov_b32 s3, s19
	s_delay_alu instid0(VALU_DEP_2)
	v_lshl_add_u64 v[24:25], v[22:23], 2, s[20:21]
	global_store_b32 v22, v27, s[20:21] scale_offset scope:SCOPE_DEV
                                        ; implicit-def: $sgpr4
	s_branch .LBB1207_101
.LBB1207_99:                            ;   in Loop: Header=BB1207_101 Depth=1
	s_or_b32 exec_lo, exec_lo, s5
.LBB1207_100:                           ;   in Loop: Header=BB1207_101 Depth=1
	s_delay_alu instid0(SALU_CYCLE_1) | instskip(SKIP_2) | instid1(VALU_DEP_2)
	s_or_b32 exec_lo, exec_lo, s4
	v_and_b32_e32 v22, 0x3fffffff, v27
	v_cmp_gt_i32_e64 s4, -2.0, v27
	v_add_nc_u32_e32 v26, v22, v26
	s_and_b32 s5, exec_lo, s4
	s_delay_alu instid0(SALU_CYCLE_1) | instskip(NEXT) | instid1(SALU_CYCLE_1)
	s_or_b32 s2, s5, s2
	s_and_not1_b32 exec_lo, exec_lo, s2
	s_cbranch_execz .LBB1207_106
.LBB1207_101:                           ; =>This Loop Header: Depth=1
                                        ;     Child Loop BB1207_104 Depth 2
	s_or_b32 s4, s4, exec_lo
	s_cmp_eq_u32 s3, 0
	s_cbranch_scc1 .LBB1207_105
; %bb.102:                              ;   in Loop: Header=BB1207_101 Depth=1
	s_add_co_i32 s3, s3, -1
	s_mov_b32 s4, exec_lo
	s_wait_xcnt 0x0
	v_lshl_or_b32 v22, s3, 8, v32
	global_load_b32 v27, v22, s[20:21] scale_offset scope:SCOPE_DEV
	s_wait_loadcnt 0x0
	v_cmpx_gt_u32_e32 2.0, v27
	s_cbranch_execz .LBB1207_100
; %bb.103:                              ;   in Loop: Header=BB1207_101 Depth=1
	v_lshl_add_u64 v[28:29], v[22:23], 2, s[20:21]
	s_mov_b32 s5, 0
.LBB1207_104:                           ;   Parent Loop BB1207_101 Depth=1
                                        ; =>  This Inner Loop Header: Depth=2
	global_load_b32 v27, v[28:29], off scope:SCOPE_DEV
	s_wait_loadcnt 0x0
	v_cmp_lt_u32_e32 vcc_lo, 0x3fffffff, v27
	s_or_b32 s5, vcc_lo, s5
	s_wait_xcnt 0x0
	s_and_not1_b32 exec_lo, exec_lo, s5
	s_cbranch_execnz .LBB1207_104
	s_branch .LBB1207_99
.LBB1207_105:                           ;   in Loop: Header=BB1207_101 Depth=1
                                        ; implicit-def: $sgpr3
	s_and_b32 s5, exec_lo, s4
	s_delay_alu instid0(SALU_CYCLE_1)
	s_or_b32 s2, s5, s2
	s_wait_xcnt 0x0
	s_and_not1_b32 exec_lo, exec_lo, s2
	s_cbranch_execnz .LBB1207_101
.LBB1207_106:
	s_or_b32 exec_lo, exec_lo, s2
	v_dual_mov_b32 v27, 0 :: v_dual_add_nc_u32 v22, v26, v20
	s_delay_alu instid0(VALU_DEP_1) | instskip(SKIP_4) | instid1(VALU_DEP_1)
	v_or_b32_e32 v22, 0x80000000, v22
	global_store_b32 v[24:25], v22, off scope:SCOPE_DEV
	global_load_b64 v[22:23], v32, s[8:9] scale_offset
	v_sub_nc_u64_e32 v[24:25], v[26:27], v[0:1]
	s_wait_loadcnt 0x0
	v_add_nc_u64_e32 v[22:23], v[24:25], v[22:23]
	ds_store_b64 v2, v[22:23]
.LBB1207_107:
	s_wait_xcnt 0x0
	s_or_b32 exec_lo, exec_lo, s1
	v_dual_mov_b32 v3, 0 :: v_dual_add_nc_u32 v24, v51, v3
	v_add3_u32 v25, v49, v50, v48
	v_add3_u32 v26, v46, v47, v45
	v_add3_u32 v27, v43, v44, v42
	v_add3_u32 v28, v40, v41, v39
	v_add_nc_u64_e32 v[22:23], s[14:15], v[2:3]
	v_add3_u32 v29, v37, v38, v36
	v_add3_u32 v3, v35, v33, v34
	;; [unrolled: 1-line block ×3, first 2 shown]
	s_mov_b32 s2, -1
	s_mov_b32 s1, 0
.LBB1207_108:                           ; =>This Inner Loop Header: Depth=1
	s_wait_xcnt 0x3
	v_add_min_u32_e64 v30, v24, s1, 0x800
	v_add_min_u32_e64 v31, v21, s1, 0x800
	;; [unrolled: 1-line block ×5, first 2 shown]
	s_wait_xcnt 0x2
	v_add_min_u32_e64 v36, v27, s1, 0x800
	v_add_min_u32_e64 v37, v26, s1, 0x800
	s_wait_xcnt 0x1
	v_add_min_u32_e64 v38, v25, s1, 0x800
	v_dual_lshlrev_b32 v30, 3, v30 :: v_dual_lshlrev_b32 v31, 3, v31
	v_dual_lshlrev_b32 v33, 3, v33 :: v_dual_lshlrev_b32 v34, 3, v34
	;; [unrolled: 1-line block ×3, first 2 shown]
	s_delay_alu instid0(VALU_DEP_4)
	v_dual_lshlrev_b32 v37, 3, v37 :: v_dual_lshlrev_b32 v38, 3, v38
	ds_store_b64 v30, v[4:5] offset:2048
	ds_store_b64 v31, v[6:7] offset:2048
	;; [unrolled: 1-line block ×8, first 2 shown]
	s_wait_storecnt_dscnt 0x0
	s_barrier_signal -1
	s_barrier_wait -1
	ds_load_2addr_stride64_b64 v[34:37], v2 offset0:4 offset1:12
	s_wait_xcnt 0x0
	ds_load_2addr_stride64_b64 v[38:41], v2 offset0:20 offset1:28
	s_addk_co_i32 s1, 0xf800
	s_and_b32 vcc_lo, exec_lo, s2
	s_mov_b32 s2, 0
	s_wait_dscnt 0x1
	v_lshrrev_b64 v[30:31], s16, v[34:35]
	s_wait_dscnt 0x0
	v_lshrrev_b64 v[44:45], s16, v[38:39]
	v_lshrrev_b64 v[42:43], s16, v[36:37]
	;; [unrolled: 1-line block ×3, first 2 shown]
	v_xor_b32_e32 v35, 0x80000000, v35
	v_xor_b32_e32 v37, 0x80000000, v37
	;; [unrolled: 1-line block ×4, first 2 shown]
	v_and_b32_e32 v33, s6, v44
	v_and_b32_e32 v31, s6, v42
	s_delay_alu instid0(VALU_DEP_2) | instskip(NEXT) | instid1(VALU_DEP_2)
	v_dual_lshlrev_b32 v33, 3, v33 :: v_dual_bitop2_b32 v42, s6, v46 bitop3:0x40
	v_dual_lshlrev_b32 v43, 3, v31 :: v_dual_bitop2_b32 v30, s6, v30 bitop3:0x40
	s_delay_alu instid0(VALU_DEP_2) | instskip(NEXT) | instid1(VALU_DEP_2)
	v_lshlrev_b32_e32 v46, 3, v42
	v_lshlrev_b32_e32 v30, 3, v30
	ds_load_b64 v[30:31], v30
	ds_load_b64 v[42:43], v43
	;; [unrolled: 1-line block ×4, first 2 shown]
	s_wait_dscnt 0x3
	v_lshl_add_u64 v[30:31], v[30:31], 3, v[22:23]
	s_wait_dscnt 0x2
	v_lshl_add_u64 v[42:43], v[42:43], 3, v[22:23]
	;; [unrolled: 2-line block ×4, first 2 shown]
	v_add_nc_u64_e32 v[22:23], 0x4000, v[22:23]
	s_clause 0x3
	global_store_b64 v[30:31], v[34:35], off
	global_store_b64 v[42:43], v[36:37], off offset:4096
	global_store_b64 v[44:45], v[38:39], off offset:8192
	;; [unrolled: 1-line block ×3, first 2 shown]
	s_wait_storecnt 0x0
	s_barrier_signal -1
	s_barrier_wait -1
	s_cbranch_vccnz .LBB1207_108
; %bb.109:
	s_add_co_i32 s12, s12, -1
	s_delay_alu instid0(SALU_CYCLE_1) | instskip(SKIP_2) | instid1(SALU_CYCLE_1)
	s_cmp_eq_u32 s19, s12
	s_cselect_b32 s1, -1, 0
	s_xor_b32 s0, s0, -1
	s_and_b32 s0, s0, s1
	s_wait_xcnt 0x0
	s_and_saveexec_b32 s1, s0
	s_cbranch_execz .LBB1207_111
; %bb.110:
	ds_load_b64 v[2:3], v2
	v_mov_b32_e32 v21, 0
	s_delay_alu instid0(VALU_DEP_1) | instskip(SKIP_1) | instid1(VALU_DEP_1)
	v_add_nc_u64_e32 v[0:1], v[0:1], v[20:21]
	s_wait_dscnt 0x0
	v_add_nc_u64_e32 v[0:1], v[0:1], v[2:3]
	global_store_b64 v32, v[0:1], s[10:11] scale_offset
.LBB1207_111:
	s_endpgm
	.section	.rodata,"a",@progbits
	.p2align	6, 0x0
	.amdhsa_kernel _ZN7rocprim17ROCPRIM_400000_NS6detail17trampoline_kernelINS0_14default_configENS1_35radix_sort_onesweep_config_selectorIlNS0_10empty_typeEEEZZNS1_29radix_sort_onesweep_iterationIS3_Lb0EPKlPlPS5_SB_mNS0_19identity_decomposerENS1_16block_id_wrapperIjLb1EEEEE10hipError_tT1_PNSt15iterator_traitsISG_E10value_typeET2_T3_PNSH_ISM_E10value_typeET4_T5_PSR_SS_PNS1_23onesweep_lookback_stateEbbT6_jjT7_P12ihipStream_tbENKUlT_T0_SG_SL_E_clIS9_SA_SB_SB_EEDaSZ_S10_SG_SL_EUlSZ_E_NS1_11comp_targetILNS1_3genE0ELNS1_11target_archE4294967295ELNS1_3gpuE0ELNS1_3repE0EEENS1_47radix_sort_onesweep_sort_config_static_selectorELNS0_4arch9wavefront6targetE0EEEvSG_
		.amdhsa_group_segment_fixed_size 18504
		.amdhsa_private_segment_fixed_size 0
		.amdhsa_kernarg_size 344
		.amdhsa_user_sgpr_count 2
		.amdhsa_user_sgpr_dispatch_ptr 0
		.amdhsa_user_sgpr_queue_ptr 0
		.amdhsa_user_sgpr_kernarg_segment_ptr 1
		.amdhsa_user_sgpr_dispatch_id 0
		.amdhsa_user_sgpr_kernarg_preload_length 0
		.amdhsa_user_sgpr_kernarg_preload_offset 0
		.amdhsa_user_sgpr_private_segment_size 0
		.amdhsa_wavefront_size32 1
		.amdhsa_uses_dynamic_stack 0
		.amdhsa_enable_private_segment 0
		.amdhsa_system_sgpr_workgroup_id_x 1
		.amdhsa_system_sgpr_workgroup_id_y 0
		.amdhsa_system_sgpr_workgroup_id_z 0
		.amdhsa_system_sgpr_workgroup_info 0
		.amdhsa_system_vgpr_workitem_id 2
		.amdhsa_next_free_vgpr 57
		.amdhsa_next_free_sgpr 28
		.amdhsa_named_barrier_count 0
		.amdhsa_reserve_vcc 1
		.amdhsa_float_round_mode_32 0
		.amdhsa_float_round_mode_16_64 0
		.amdhsa_float_denorm_mode_32 3
		.amdhsa_float_denorm_mode_16_64 3
		.amdhsa_fp16_overflow 0
		.amdhsa_memory_ordered 1
		.amdhsa_forward_progress 1
		.amdhsa_inst_pref_size 89
		.amdhsa_round_robin_scheduling 0
		.amdhsa_exception_fp_ieee_invalid_op 0
		.amdhsa_exception_fp_denorm_src 0
		.amdhsa_exception_fp_ieee_div_zero 0
		.amdhsa_exception_fp_ieee_overflow 0
		.amdhsa_exception_fp_ieee_underflow 0
		.amdhsa_exception_fp_ieee_inexact 0
		.amdhsa_exception_int_div_zero 0
	.end_amdhsa_kernel
	.section	.text._ZN7rocprim17ROCPRIM_400000_NS6detail17trampoline_kernelINS0_14default_configENS1_35radix_sort_onesweep_config_selectorIlNS0_10empty_typeEEEZZNS1_29radix_sort_onesweep_iterationIS3_Lb0EPKlPlPS5_SB_mNS0_19identity_decomposerENS1_16block_id_wrapperIjLb1EEEEE10hipError_tT1_PNSt15iterator_traitsISG_E10value_typeET2_T3_PNSH_ISM_E10value_typeET4_T5_PSR_SS_PNS1_23onesweep_lookback_stateEbbT6_jjT7_P12ihipStream_tbENKUlT_T0_SG_SL_E_clIS9_SA_SB_SB_EEDaSZ_S10_SG_SL_EUlSZ_E_NS1_11comp_targetILNS1_3genE0ELNS1_11target_archE4294967295ELNS1_3gpuE0ELNS1_3repE0EEENS1_47radix_sort_onesweep_sort_config_static_selectorELNS0_4arch9wavefront6targetE0EEEvSG_,"axG",@progbits,_ZN7rocprim17ROCPRIM_400000_NS6detail17trampoline_kernelINS0_14default_configENS1_35radix_sort_onesweep_config_selectorIlNS0_10empty_typeEEEZZNS1_29radix_sort_onesweep_iterationIS3_Lb0EPKlPlPS5_SB_mNS0_19identity_decomposerENS1_16block_id_wrapperIjLb1EEEEE10hipError_tT1_PNSt15iterator_traitsISG_E10value_typeET2_T3_PNSH_ISM_E10value_typeET4_T5_PSR_SS_PNS1_23onesweep_lookback_stateEbbT6_jjT7_P12ihipStream_tbENKUlT_T0_SG_SL_E_clIS9_SA_SB_SB_EEDaSZ_S10_SG_SL_EUlSZ_E_NS1_11comp_targetILNS1_3genE0ELNS1_11target_archE4294967295ELNS1_3gpuE0ELNS1_3repE0EEENS1_47radix_sort_onesweep_sort_config_static_selectorELNS0_4arch9wavefront6targetE0EEEvSG_,comdat
.Lfunc_end1207:
	.size	_ZN7rocprim17ROCPRIM_400000_NS6detail17trampoline_kernelINS0_14default_configENS1_35radix_sort_onesweep_config_selectorIlNS0_10empty_typeEEEZZNS1_29radix_sort_onesweep_iterationIS3_Lb0EPKlPlPS5_SB_mNS0_19identity_decomposerENS1_16block_id_wrapperIjLb1EEEEE10hipError_tT1_PNSt15iterator_traitsISG_E10value_typeET2_T3_PNSH_ISM_E10value_typeET4_T5_PSR_SS_PNS1_23onesweep_lookback_stateEbbT6_jjT7_P12ihipStream_tbENKUlT_T0_SG_SL_E_clIS9_SA_SB_SB_EEDaSZ_S10_SG_SL_EUlSZ_E_NS1_11comp_targetILNS1_3genE0ELNS1_11target_archE4294967295ELNS1_3gpuE0ELNS1_3repE0EEENS1_47radix_sort_onesweep_sort_config_static_selectorELNS0_4arch9wavefront6targetE0EEEvSG_, .Lfunc_end1207-_ZN7rocprim17ROCPRIM_400000_NS6detail17trampoline_kernelINS0_14default_configENS1_35radix_sort_onesweep_config_selectorIlNS0_10empty_typeEEEZZNS1_29radix_sort_onesweep_iterationIS3_Lb0EPKlPlPS5_SB_mNS0_19identity_decomposerENS1_16block_id_wrapperIjLb1EEEEE10hipError_tT1_PNSt15iterator_traitsISG_E10value_typeET2_T3_PNSH_ISM_E10value_typeET4_T5_PSR_SS_PNS1_23onesweep_lookback_stateEbbT6_jjT7_P12ihipStream_tbENKUlT_T0_SG_SL_E_clIS9_SA_SB_SB_EEDaSZ_S10_SG_SL_EUlSZ_E_NS1_11comp_targetILNS1_3genE0ELNS1_11target_archE4294967295ELNS1_3gpuE0ELNS1_3repE0EEENS1_47radix_sort_onesweep_sort_config_static_selectorELNS0_4arch9wavefront6targetE0EEEvSG_
                                        ; -- End function
	.set _ZN7rocprim17ROCPRIM_400000_NS6detail17trampoline_kernelINS0_14default_configENS1_35radix_sort_onesweep_config_selectorIlNS0_10empty_typeEEEZZNS1_29radix_sort_onesweep_iterationIS3_Lb0EPKlPlPS5_SB_mNS0_19identity_decomposerENS1_16block_id_wrapperIjLb1EEEEE10hipError_tT1_PNSt15iterator_traitsISG_E10value_typeET2_T3_PNSH_ISM_E10value_typeET4_T5_PSR_SS_PNS1_23onesweep_lookback_stateEbbT6_jjT7_P12ihipStream_tbENKUlT_T0_SG_SL_E_clIS9_SA_SB_SB_EEDaSZ_S10_SG_SL_EUlSZ_E_NS1_11comp_targetILNS1_3genE0ELNS1_11target_archE4294967295ELNS1_3gpuE0ELNS1_3repE0EEENS1_47radix_sort_onesweep_sort_config_static_selectorELNS0_4arch9wavefront6targetE0EEEvSG_.num_vgpr, 57
	.set _ZN7rocprim17ROCPRIM_400000_NS6detail17trampoline_kernelINS0_14default_configENS1_35radix_sort_onesweep_config_selectorIlNS0_10empty_typeEEEZZNS1_29radix_sort_onesweep_iterationIS3_Lb0EPKlPlPS5_SB_mNS0_19identity_decomposerENS1_16block_id_wrapperIjLb1EEEEE10hipError_tT1_PNSt15iterator_traitsISG_E10value_typeET2_T3_PNSH_ISM_E10value_typeET4_T5_PSR_SS_PNS1_23onesweep_lookback_stateEbbT6_jjT7_P12ihipStream_tbENKUlT_T0_SG_SL_E_clIS9_SA_SB_SB_EEDaSZ_S10_SG_SL_EUlSZ_E_NS1_11comp_targetILNS1_3genE0ELNS1_11target_archE4294967295ELNS1_3gpuE0ELNS1_3repE0EEENS1_47radix_sort_onesweep_sort_config_static_selectorELNS0_4arch9wavefront6targetE0EEEvSG_.num_agpr, 0
	.set _ZN7rocprim17ROCPRIM_400000_NS6detail17trampoline_kernelINS0_14default_configENS1_35radix_sort_onesweep_config_selectorIlNS0_10empty_typeEEEZZNS1_29radix_sort_onesweep_iterationIS3_Lb0EPKlPlPS5_SB_mNS0_19identity_decomposerENS1_16block_id_wrapperIjLb1EEEEE10hipError_tT1_PNSt15iterator_traitsISG_E10value_typeET2_T3_PNSH_ISM_E10value_typeET4_T5_PSR_SS_PNS1_23onesweep_lookback_stateEbbT6_jjT7_P12ihipStream_tbENKUlT_T0_SG_SL_E_clIS9_SA_SB_SB_EEDaSZ_S10_SG_SL_EUlSZ_E_NS1_11comp_targetILNS1_3genE0ELNS1_11target_archE4294967295ELNS1_3gpuE0ELNS1_3repE0EEENS1_47radix_sort_onesweep_sort_config_static_selectorELNS0_4arch9wavefront6targetE0EEEvSG_.numbered_sgpr, 28
	.set _ZN7rocprim17ROCPRIM_400000_NS6detail17trampoline_kernelINS0_14default_configENS1_35radix_sort_onesweep_config_selectorIlNS0_10empty_typeEEEZZNS1_29radix_sort_onesweep_iterationIS3_Lb0EPKlPlPS5_SB_mNS0_19identity_decomposerENS1_16block_id_wrapperIjLb1EEEEE10hipError_tT1_PNSt15iterator_traitsISG_E10value_typeET2_T3_PNSH_ISM_E10value_typeET4_T5_PSR_SS_PNS1_23onesweep_lookback_stateEbbT6_jjT7_P12ihipStream_tbENKUlT_T0_SG_SL_E_clIS9_SA_SB_SB_EEDaSZ_S10_SG_SL_EUlSZ_E_NS1_11comp_targetILNS1_3genE0ELNS1_11target_archE4294967295ELNS1_3gpuE0ELNS1_3repE0EEENS1_47radix_sort_onesweep_sort_config_static_selectorELNS0_4arch9wavefront6targetE0EEEvSG_.num_named_barrier, 0
	.set _ZN7rocprim17ROCPRIM_400000_NS6detail17trampoline_kernelINS0_14default_configENS1_35radix_sort_onesweep_config_selectorIlNS0_10empty_typeEEEZZNS1_29radix_sort_onesweep_iterationIS3_Lb0EPKlPlPS5_SB_mNS0_19identity_decomposerENS1_16block_id_wrapperIjLb1EEEEE10hipError_tT1_PNSt15iterator_traitsISG_E10value_typeET2_T3_PNSH_ISM_E10value_typeET4_T5_PSR_SS_PNS1_23onesweep_lookback_stateEbbT6_jjT7_P12ihipStream_tbENKUlT_T0_SG_SL_E_clIS9_SA_SB_SB_EEDaSZ_S10_SG_SL_EUlSZ_E_NS1_11comp_targetILNS1_3genE0ELNS1_11target_archE4294967295ELNS1_3gpuE0ELNS1_3repE0EEENS1_47radix_sort_onesweep_sort_config_static_selectorELNS0_4arch9wavefront6targetE0EEEvSG_.private_seg_size, 0
	.set _ZN7rocprim17ROCPRIM_400000_NS6detail17trampoline_kernelINS0_14default_configENS1_35radix_sort_onesweep_config_selectorIlNS0_10empty_typeEEEZZNS1_29radix_sort_onesweep_iterationIS3_Lb0EPKlPlPS5_SB_mNS0_19identity_decomposerENS1_16block_id_wrapperIjLb1EEEEE10hipError_tT1_PNSt15iterator_traitsISG_E10value_typeET2_T3_PNSH_ISM_E10value_typeET4_T5_PSR_SS_PNS1_23onesweep_lookback_stateEbbT6_jjT7_P12ihipStream_tbENKUlT_T0_SG_SL_E_clIS9_SA_SB_SB_EEDaSZ_S10_SG_SL_EUlSZ_E_NS1_11comp_targetILNS1_3genE0ELNS1_11target_archE4294967295ELNS1_3gpuE0ELNS1_3repE0EEENS1_47radix_sort_onesweep_sort_config_static_selectorELNS0_4arch9wavefront6targetE0EEEvSG_.uses_vcc, 1
	.set _ZN7rocprim17ROCPRIM_400000_NS6detail17trampoline_kernelINS0_14default_configENS1_35radix_sort_onesweep_config_selectorIlNS0_10empty_typeEEEZZNS1_29radix_sort_onesweep_iterationIS3_Lb0EPKlPlPS5_SB_mNS0_19identity_decomposerENS1_16block_id_wrapperIjLb1EEEEE10hipError_tT1_PNSt15iterator_traitsISG_E10value_typeET2_T3_PNSH_ISM_E10value_typeET4_T5_PSR_SS_PNS1_23onesweep_lookback_stateEbbT6_jjT7_P12ihipStream_tbENKUlT_T0_SG_SL_E_clIS9_SA_SB_SB_EEDaSZ_S10_SG_SL_EUlSZ_E_NS1_11comp_targetILNS1_3genE0ELNS1_11target_archE4294967295ELNS1_3gpuE0ELNS1_3repE0EEENS1_47radix_sort_onesweep_sort_config_static_selectorELNS0_4arch9wavefront6targetE0EEEvSG_.uses_flat_scratch, 0
	.set _ZN7rocprim17ROCPRIM_400000_NS6detail17trampoline_kernelINS0_14default_configENS1_35radix_sort_onesweep_config_selectorIlNS0_10empty_typeEEEZZNS1_29radix_sort_onesweep_iterationIS3_Lb0EPKlPlPS5_SB_mNS0_19identity_decomposerENS1_16block_id_wrapperIjLb1EEEEE10hipError_tT1_PNSt15iterator_traitsISG_E10value_typeET2_T3_PNSH_ISM_E10value_typeET4_T5_PSR_SS_PNS1_23onesweep_lookback_stateEbbT6_jjT7_P12ihipStream_tbENKUlT_T0_SG_SL_E_clIS9_SA_SB_SB_EEDaSZ_S10_SG_SL_EUlSZ_E_NS1_11comp_targetILNS1_3genE0ELNS1_11target_archE4294967295ELNS1_3gpuE0ELNS1_3repE0EEENS1_47radix_sort_onesweep_sort_config_static_selectorELNS0_4arch9wavefront6targetE0EEEvSG_.has_dyn_sized_stack, 0
	.set _ZN7rocprim17ROCPRIM_400000_NS6detail17trampoline_kernelINS0_14default_configENS1_35radix_sort_onesweep_config_selectorIlNS0_10empty_typeEEEZZNS1_29radix_sort_onesweep_iterationIS3_Lb0EPKlPlPS5_SB_mNS0_19identity_decomposerENS1_16block_id_wrapperIjLb1EEEEE10hipError_tT1_PNSt15iterator_traitsISG_E10value_typeET2_T3_PNSH_ISM_E10value_typeET4_T5_PSR_SS_PNS1_23onesweep_lookback_stateEbbT6_jjT7_P12ihipStream_tbENKUlT_T0_SG_SL_E_clIS9_SA_SB_SB_EEDaSZ_S10_SG_SL_EUlSZ_E_NS1_11comp_targetILNS1_3genE0ELNS1_11target_archE4294967295ELNS1_3gpuE0ELNS1_3repE0EEENS1_47radix_sort_onesweep_sort_config_static_selectorELNS0_4arch9wavefront6targetE0EEEvSG_.has_recursion, 0
	.set _ZN7rocprim17ROCPRIM_400000_NS6detail17trampoline_kernelINS0_14default_configENS1_35radix_sort_onesweep_config_selectorIlNS0_10empty_typeEEEZZNS1_29radix_sort_onesweep_iterationIS3_Lb0EPKlPlPS5_SB_mNS0_19identity_decomposerENS1_16block_id_wrapperIjLb1EEEEE10hipError_tT1_PNSt15iterator_traitsISG_E10value_typeET2_T3_PNSH_ISM_E10value_typeET4_T5_PSR_SS_PNS1_23onesweep_lookback_stateEbbT6_jjT7_P12ihipStream_tbENKUlT_T0_SG_SL_E_clIS9_SA_SB_SB_EEDaSZ_S10_SG_SL_EUlSZ_E_NS1_11comp_targetILNS1_3genE0ELNS1_11target_archE4294967295ELNS1_3gpuE0ELNS1_3repE0EEENS1_47radix_sort_onesweep_sort_config_static_selectorELNS0_4arch9wavefront6targetE0EEEvSG_.has_indirect_call, 0
	.section	.AMDGPU.csdata,"",@progbits
; Kernel info:
; codeLenInByte = 11324
; TotalNumSgprs: 30
; NumVgprs: 57
; ScratchSize: 0
; MemoryBound: 1
; FloatMode: 240
; IeeeMode: 1
; LDSByteSize: 18504 bytes/workgroup (compile time only)
; SGPRBlocks: 0
; VGPRBlocks: 3
; NumSGPRsForWavesPerEU: 30
; NumVGPRsForWavesPerEU: 57
; NamedBarCnt: 0
; Occupancy: 16
; WaveLimiterHint : 1
; COMPUTE_PGM_RSRC2:SCRATCH_EN: 0
; COMPUTE_PGM_RSRC2:USER_SGPR: 2
; COMPUTE_PGM_RSRC2:TRAP_HANDLER: 0
; COMPUTE_PGM_RSRC2:TGID_X_EN: 1
; COMPUTE_PGM_RSRC2:TGID_Y_EN: 0
; COMPUTE_PGM_RSRC2:TGID_Z_EN: 0
; COMPUTE_PGM_RSRC2:TIDIG_COMP_CNT: 2
	.section	.text._ZN7rocprim17ROCPRIM_400000_NS6detail17trampoline_kernelINS0_14default_configENS1_35radix_sort_onesweep_config_selectorIlNS0_10empty_typeEEEZZNS1_29radix_sort_onesweep_iterationIS3_Lb0EPKlPlPS5_SB_mNS0_19identity_decomposerENS1_16block_id_wrapperIjLb1EEEEE10hipError_tT1_PNSt15iterator_traitsISG_E10value_typeET2_T3_PNSH_ISM_E10value_typeET4_T5_PSR_SS_PNS1_23onesweep_lookback_stateEbbT6_jjT7_P12ihipStream_tbENKUlT_T0_SG_SL_E_clIS9_SA_SB_SB_EEDaSZ_S10_SG_SL_EUlSZ_E_NS1_11comp_targetILNS1_3genE6ELNS1_11target_archE950ELNS1_3gpuE13ELNS1_3repE0EEENS1_47radix_sort_onesweep_sort_config_static_selectorELNS0_4arch9wavefront6targetE0EEEvSG_,"axG",@progbits,_ZN7rocprim17ROCPRIM_400000_NS6detail17trampoline_kernelINS0_14default_configENS1_35radix_sort_onesweep_config_selectorIlNS0_10empty_typeEEEZZNS1_29radix_sort_onesweep_iterationIS3_Lb0EPKlPlPS5_SB_mNS0_19identity_decomposerENS1_16block_id_wrapperIjLb1EEEEE10hipError_tT1_PNSt15iterator_traitsISG_E10value_typeET2_T3_PNSH_ISM_E10value_typeET4_T5_PSR_SS_PNS1_23onesweep_lookback_stateEbbT6_jjT7_P12ihipStream_tbENKUlT_T0_SG_SL_E_clIS9_SA_SB_SB_EEDaSZ_S10_SG_SL_EUlSZ_E_NS1_11comp_targetILNS1_3genE6ELNS1_11target_archE950ELNS1_3gpuE13ELNS1_3repE0EEENS1_47radix_sort_onesweep_sort_config_static_selectorELNS0_4arch9wavefront6targetE0EEEvSG_,comdat
	.protected	_ZN7rocprim17ROCPRIM_400000_NS6detail17trampoline_kernelINS0_14default_configENS1_35radix_sort_onesweep_config_selectorIlNS0_10empty_typeEEEZZNS1_29radix_sort_onesweep_iterationIS3_Lb0EPKlPlPS5_SB_mNS0_19identity_decomposerENS1_16block_id_wrapperIjLb1EEEEE10hipError_tT1_PNSt15iterator_traitsISG_E10value_typeET2_T3_PNSH_ISM_E10value_typeET4_T5_PSR_SS_PNS1_23onesweep_lookback_stateEbbT6_jjT7_P12ihipStream_tbENKUlT_T0_SG_SL_E_clIS9_SA_SB_SB_EEDaSZ_S10_SG_SL_EUlSZ_E_NS1_11comp_targetILNS1_3genE6ELNS1_11target_archE950ELNS1_3gpuE13ELNS1_3repE0EEENS1_47radix_sort_onesweep_sort_config_static_selectorELNS0_4arch9wavefront6targetE0EEEvSG_ ; -- Begin function _ZN7rocprim17ROCPRIM_400000_NS6detail17trampoline_kernelINS0_14default_configENS1_35radix_sort_onesweep_config_selectorIlNS0_10empty_typeEEEZZNS1_29radix_sort_onesweep_iterationIS3_Lb0EPKlPlPS5_SB_mNS0_19identity_decomposerENS1_16block_id_wrapperIjLb1EEEEE10hipError_tT1_PNSt15iterator_traitsISG_E10value_typeET2_T3_PNSH_ISM_E10value_typeET4_T5_PSR_SS_PNS1_23onesweep_lookback_stateEbbT6_jjT7_P12ihipStream_tbENKUlT_T0_SG_SL_E_clIS9_SA_SB_SB_EEDaSZ_S10_SG_SL_EUlSZ_E_NS1_11comp_targetILNS1_3genE6ELNS1_11target_archE950ELNS1_3gpuE13ELNS1_3repE0EEENS1_47radix_sort_onesweep_sort_config_static_selectorELNS0_4arch9wavefront6targetE0EEEvSG_
	.globl	_ZN7rocprim17ROCPRIM_400000_NS6detail17trampoline_kernelINS0_14default_configENS1_35radix_sort_onesweep_config_selectorIlNS0_10empty_typeEEEZZNS1_29radix_sort_onesweep_iterationIS3_Lb0EPKlPlPS5_SB_mNS0_19identity_decomposerENS1_16block_id_wrapperIjLb1EEEEE10hipError_tT1_PNSt15iterator_traitsISG_E10value_typeET2_T3_PNSH_ISM_E10value_typeET4_T5_PSR_SS_PNS1_23onesweep_lookback_stateEbbT6_jjT7_P12ihipStream_tbENKUlT_T0_SG_SL_E_clIS9_SA_SB_SB_EEDaSZ_S10_SG_SL_EUlSZ_E_NS1_11comp_targetILNS1_3genE6ELNS1_11target_archE950ELNS1_3gpuE13ELNS1_3repE0EEENS1_47radix_sort_onesweep_sort_config_static_selectorELNS0_4arch9wavefront6targetE0EEEvSG_
	.p2align	8
	.type	_ZN7rocprim17ROCPRIM_400000_NS6detail17trampoline_kernelINS0_14default_configENS1_35radix_sort_onesweep_config_selectorIlNS0_10empty_typeEEEZZNS1_29radix_sort_onesweep_iterationIS3_Lb0EPKlPlPS5_SB_mNS0_19identity_decomposerENS1_16block_id_wrapperIjLb1EEEEE10hipError_tT1_PNSt15iterator_traitsISG_E10value_typeET2_T3_PNSH_ISM_E10value_typeET4_T5_PSR_SS_PNS1_23onesweep_lookback_stateEbbT6_jjT7_P12ihipStream_tbENKUlT_T0_SG_SL_E_clIS9_SA_SB_SB_EEDaSZ_S10_SG_SL_EUlSZ_E_NS1_11comp_targetILNS1_3genE6ELNS1_11target_archE950ELNS1_3gpuE13ELNS1_3repE0EEENS1_47radix_sort_onesweep_sort_config_static_selectorELNS0_4arch9wavefront6targetE0EEEvSG_,@function
_ZN7rocprim17ROCPRIM_400000_NS6detail17trampoline_kernelINS0_14default_configENS1_35radix_sort_onesweep_config_selectorIlNS0_10empty_typeEEEZZNS1_29radix_sort_onesweep_iterationIS3_Lb0EPKlPlPS5_SB_mNS0_19identity_decomposerENS1_16block_id_wrapperIjLb1EEEEE10hipError_tT1_PNSt15iterator_traitsISG_E10value_typeET2_T3_PNSH_ISM_E10value_typeET4_T5_PSR_SS_PNS1_23onesweep_lookback_stateEbbT6_jjT7_P12ihipStream_tbENKUlT_T0_SG_SL_E_clIS9_SA_SB_SB_EEDaSZ_S10_SG_SL_EUlSZ_E_NS1_11comp_targetILNS1_3genE6ELNS1_11target_archE950ELNS1_3gpuE13ELNS1_3repE0EEENS1_47radix_sort_onesweep_sort_config_static_selectorELNS0_4arch9wavefront6targetE0EEEvSG_: ; @_ZN7rocprim17ROCPRIM_400000_NS6detail17trampoline_kernelINS0_14default_configENS1_35radix_sort_onesweep_config_selectorIlNS0_10empty_typeEEEZZNS1_29radix_sort_onesweep_iterationIS3_Lb0EPKlPlPS5_SB_mNS0_19identity_decomposerENS1_16block_id_wrapperIjLb1EEEEE10hipError_tT1_PNSt15iterator_traitsISG_E10value_typeET2_T3_PNSH_ISM_E10value_typeET4_T5_PSR_SS_PNS1_23onesweep_lookback_stateEbbT6_jjT7_P12ihipStream_tbENKUlT_T0_SG_SL_E_clIS9_SA_SB_SB_EEDaSZ_S10_SG_SL_EUlSZ_E_NS1_11comp_targetILNS1_3genE6ELNS1_11target_archE950ELNS1_3gpuE13ELNS1_3repE0EEENS1_47radix_sort_onesweep_sort_config_static_selectorELNS0_4arch9wavefront6targetE0EEEvSG_
; %bb.0:
	.section	.rodata,"a",@progbits
	.p2align	6, 0x0
	.amdhsa_kernel _ZN7rocprim17ROCPRIM_400000_NS6detail17trampoline_kernelINS0_14default_configENS1_35radix_sort_onesweep_config_selectorIlNS0_10empty_typeEEEZZNS1_29radix_sort_onesweep_iterationIS3_Lb0EPKlPlPS5_SB_mNS0_19identity_decomposerENS1_16block_id_wrapperIjLb1EEEEE10hipError_tT1_PNSt15iterator_traitsISG_E10value_typeET2_T3_PNSH_ISM_E10value_typeET4_T5_PSR_SS_PNS1_23onesweep_lookback_stateEbbT6_jjT7_P12ihipStream_tbENKUlT_T0_SG_SL_E_clIS9_SA_SB_SB_EEDaSZ_S10_SG_SL_EUlSZ_E_NS1_11comp_targetILNS1_3genE6ELNS1_11target_archE950ELNS1_3gpuE13ELNS1_3repE0EEENS1_47radix_sort_onesweep_sort_config_static_selectorELNS0_4arch9wavefront6targetE0EEEvSG_
		.amdhsa_group_segment_fixed_size 0
		.amdhsa_private_segment_fixed_size 0
		.amdhsa_kernarg_size 88
		.amdhsa_user_sgpr_count 2
		.amdhsa_user_sgpr_dispatch_ptr 0
		.amdhsa_user_sgpr_queue_ptr 0
		.amdhsa_user_sgpr_kernarg_segment_ptr 1
		.amdhsa_user_sgpr_dispatch_id 0
		.amdhsa_user_sgpr_kernarg_preload_length 0
		.amdhsa_user_sgpr_kernarg_preload_offset 0
		.amdhsa_user_sgpr_private_segment_size 0
		.amdhsa_wavefront_size32 1
		.amdhsa_uses_dynamic_stack 0
		.amdhsa_enable_private_segment 0
		.amdhsa_system_sgpr_workgroup_id_x 1
		.amdhsa_system_sgpr_workgroup_id_y 0
		.amdhsa_system_sgpr_workgroup_id_z 0
		.amdhsa_system_sgpr_workgroup_info 0
		.amdhsa_system_vgpr_workitem_id 0
		.amdhsa_next_free_vgpr 1
		.amdhsa_next_free_sgpr 1
		.amdhsa_named_barrier_count 0
		.amdhsa_reserve_vcc 0
		.amdhsa_float_round_mode_32 0
		.amdhsa_float_round_mode_16_64 0
		.amdhsa_float_denorm_mode_32 3
		.amdhsa_float_denorm_mode_16_64 3
		.amdhsa_fp16_overflow 0
		.amdhsa_memory_ordered 1
		.amdhsa_forward_progress 1
		.amdhsa_inst_pref_size 0
		.amdhsa_round_robin_scheduling 0
		.amdhsa_exception_fp_ieee_invalid_op 0
		.amdhsa_exception_fp_denorm_src 0
		.amdhsa_exception_fp_ieee_div_zero 0
		.amdhsa_exception_fp_ieee_overflow 0
		.amdhsa_exception_fp_ieee_underflow 0
		.amdhsa_exception_fp_ieee_inexact 0
		.amdhsa_exception_int_div_zero 0
	.end_amdhsa_kernel
	.section	.text._ZN7rocprim17ROCPRIM_400000_NS6detail17trampoline_kernelINS0_14default_configENS1_35radix_sort_onesweep_config_selectorIlNS0_10empty_typeEEEZZNS1_29radix_sort_onesweep_iterationIS3_Lb0EPKlPlPS5_SB_mNS0_19identity_decomposerENS1_16block_id_wrapperIjLb1EEEEE10hipError_tT1_PNSt15iterator_traitsISG_E10value_typeET2_T3_PNSH_ISM_E10value_typeET4_T5_PSR_SS_PNS1_23onesweep_lookback_stateEbbT6_jjT7_P12ihipStream_tbENKUlT_T0_SG_SL_E_clIS9_SA_SB_SB_EEDaSZ_S10_SG_SL_EUlSZ_E_NS1_11comp_targetILNS1_3genE6ELNS1_11target_archE950ELNS1_3gpuE13ELNS1_3repE0EEENS1_47radix_sort_onesweep_sort_config_static_selectorELNS0_4arch9wavefront6targetE0EEEvSG_,"axG",@progbits,_ZN7rocprim17ROCPRIM_400000_NS6detail17trampoline_kernelINS0_14default_configENS1_35radix_sort_onesweep_config_selectorIlNS0_10empty_typeEEEZZNS1_29radix_sort_onesweep_iterationIS3_Lb0EPKlPlPS5_SB_mNS0_19identity_decomposerENS1_16block_id_wrapperIjLb1EEEEE10hipError_tT1_PNSt15iterator_traitsISG_E10value_typeET2_T3_PNSH_ISM_E10value_typeET4_T5_PSR_SS_PNS1_23onesweep_lookback_stateEbbT6_jjT7_P12ihipStream_tbENKUlT_T0_SG_SL_E_clIS9_SA_SB_SB_EEDaSZ_S10_SG_SL_EUlSZ_E_NS1_11comp_targetILNS1_3genE6ELNS1_11target_archE950ELNS1_3gpuE13ELNS1_3repE0EEENS1_47radix_sort_onesweep_sort_config_static_selectorELNS0_4arch9wavefront6targetE0EEEvSG_,comdat
.Lfunc_end1208:
	.size	_ZN7rocprim17ROCPRIM_400000_NS6detail17trampoline_kernelINS0_14default_configENS1_35radix_sort_onesweep_config_selectorIlNS0_10empty_typeEEEZZNS1_29radix_sort_onesweep_iterationIS3_Lb0EPKlPlPS5_SB_mNS0_19identity_decomposerENS1_16block_id_wrapperIjLb1EEEEE10hipError_tT1_PNSt15iterator_traitsISG_E10value_typeET2_T3_PNSH_ISM_E10value_typeET4_T5_PSR_SS_PNS1_23onesweep_lookback_stateEbbT6_jjT7_P12ihipStream_tbENKUlT_T0_SG_SL_E_clIS9_SA_SB_SB_EEDaSZ_S10_SG_SL_EUlSZ_E_NS1_11comp_targetILNS1_3genE6ELNS1_11target_archE950ELNS1_3gpuE13ELNS1_3repE0EEENS1_47radix_sort_onesweep_sort_config_static_selectorELNS0_4arch9wavefront6targetE0EEEvSG_, .Lfunc_end1208-_ZN7rocprim17ROCPRIM_400000_NS6detail17trampoline_kernelINS0_14default_configENS1_35radix_sort_onesweep_config_selectorIlNS0_10empty_typeEEEZZNS1_29radix_sort_onesweep_iterationIS3_Lb0EPKlPlPS5_SB_mNS0_19identity_decomposerENS1_16block_id_wrapperIjLb1EEEEE10hipError_tT1_PNSt15iterator_traitsISG_E10value_typeET2_T3_PNSH_ISM_E10value_typeET4_T5_PSR_SS_PNS1_23onesweep_lookback_stateEbbT6_jjT7_P12ihipStream_tbENKUlT_T0_SG_SL_E_clIS9_SA_SB_SB_EEDaSZ_S10_SG_SL_EUlSZ_E_NS1_11comp_targetILNS1_3genE6ELNS1_11target_archE950ELNS1_3gpuE13ELNS1_3repE0EEENS1_47radix_sort_onesweep_sort_config_static_selectorELNS0_4arch9wavefront6targetE0EEEvSG_
                                        ; -- End function
	.set _ZN7rocprim17ROCPRIM_400000_NS6detail17trampoline_kernelINS0_14default_configENS1_35radix_sort_onesweep_config_selectorIlNS0_10empty_typeEEEZZNS1_29radix_sort_onesweep_iterationIS3_Lb0EPKlPlPS5_SB_mNS0_19identity_decomposerENS1_16block_id_wrapperIjLb1EEEEE10hipError_tT1_PNSt15iterator_traitsISG_E10value_typeET2_T3_PNSH_ISM_E10value_typeET4_T5_PSR_SS_PNS1_23onesweep_lookback_stateEbbT6_jjT7_P12ihipStream_tbENKUlT_T0_SG_SL_E_clIS9_SA_SB_SB_EEDaSZ_S10_SG_SL_EUlSZ_E_NS1_11comp_targetILNS1_3genE6ELNS1_11target_archE950ELNS1_3gpuE13ELNS1_3repE0EEENS1_47radix_sort_onesweep_sort_config_static_selectorELNS0_4arch9wavefront6targetE0EEEvSG_.num_vgpr, 0
	.set _ZN7rocprim17ROCPRIM_400000_NS6detail17trampoline_kernelINS0_14default_configENS1_35radix_sort_onesweep_config_selectorIlNS0_10empty_typeEEEZZNS1_29radix_sort_onesweep_iterationIS3_Lb0EPKlPlPS5_SB_mNS0_19identity_decomposerENS1_16block_id_wrapperIjLb1EEEEE10hipError_tT1_PNSt15iterator_traitsISG_E10value_typeET2_T3_PNSH_ISM_E10value_typeET4_T5_PSR_SS_PNS1_23onesweep_lookback_stateEbbT6_jjT7_P12ihipStream_tbENKUlT_T0_SG_SL_E_clIS9_SA_SB_SB_EEDaSZ_S10_SG_SL_EUlSZ_E_NS1_11comp_targetILNS1_3genE6ELNS1_11target_archE950ELNS1_3gpuE13ELNS1_3repE0EEENS1_47radix_sort_onesweep_sort_config_static_selectorELNS0_4arch9wavefront6targetE0EEEvSG_.num_agpr, 0
	.set _ZN7rocprim17ROCPRIM_400000_NS6detail17trampoline_kernelINS0_14default_configENS1_35radix_sort_onesweep_config_selectorIlNS0_10empty_typeEEEZZNS1_29radix_sort_onesweep_iterationIS3_Lb0EPKlPlPS5_SB_mNS0_19identity_decomposerENS1_16block_id_wrapperIjLb1EEEEE10hipError_tT1_PNSt15iterator_traitsISG_E10value_typeET2_T3_PNSH_ISM_E10value_typeET4_T5_PSR_SS_PNS1_23onesweep_lookback_stateEbbT6_jjT7_P12ihipStream_tbENKUlT_T0_SG_SL_E_clIS9_SA_SB_SB_EEDaSZ_S10_SG_SL_EUlSZ_E_NS1_11comp_targetILNS1_3genE6ELNS1_11target_archE950ELNS1_3gpuE13ELNS1_3repE0EEENS1_47radix_sort_onesweep_sort_config_static_selectorELNS0_4arch9wavefront6targetE0EEEvSG_.numbered_sgpr, 0
	.set _ZN7rocprim17ROCPRIM_400000_NS6detail17trampoline_kernelINS0_14default_configENS1_35radix_sort_onesweep_config_selectorIlNS0_10empty_typeEEEZZNS1_29radix_sort_onesweep_iterationIS3_Lb0EPKlPlPS5_SB_mNS0_19identity_decomposerENS1_16block_id_wrapperIjLb1EEEEE10hipError_tT1_PNSt15iterator_traitsISG_E10value_typeET2_T3_PNSH_ISM_E10value_typeET4_T5_PSR_SS_PNS1_23onesweep_lookback_stateEbbT6_jjT7_P12ihipStream_tbENKUlT_T0_SG_SL_E_clIS9_SA_SB_SB_EEDaSZ_S10_SG_SL_EUlSZ_E_NS1_11comp_targetILNS1_3genE6ELNS1_11target_archE950ELNS1_3gpuE13ELNS1_3repE0EEENS1_47radix_sort_onesweep_sort_config_static_selectorELNS0_4arch9wavefront6targetE0EEEvSG_.num_named_barrier, 0
	.set _ZN7rocprim17ROCPRIM_400000_NS6detail17trampoline_kernelINS0_14default_configENS1_35radix_sort_onesweep_config_selectorIlNS0_10empty_typeEEEZZNS1_29radix_sort_onesweep_iterationIS3_Lb0EPKlPlPS5_SB_mNS0_19identity_decomposerENS1_16block_id_wrapperIjLb1EEEEE10hipError_tT1_PNSt15iterator_traitsISG_E10value_typeET2_T3_PNSH_ISM_E10value_typeET4_T5_PSR_SS_PNS1_23onesweep_lookback_stateEbbT6_jjT7_P12ihipStream_tbENKUlT_T0_SG_SL_E_clIS9_SA_SB_SB_EEDaSZ_S10_SG_SL_EUlSZ_E_NS1_11comp_targetILNS1_3genE6ELNS1_11target_archE950ELNS1_3gpuE13ELNS1_3repE0EEENS1_47radix_sort_onesweep_sort_config_static_selectorELNS0_4arch9wavefront6targetE0EEEvSG_.private_seg_size, 0
	.set _ZN7rocprim17ROCPRIM_400000_NS6detail17trampoline_kernelINS0_14default_configENS1_35radix_sort_onesweep_config_selectorIlNS0_10empty_typeEEEZZNS1_29radix_sort_onesweep_iterationIS3_Lb0EPKlPlPS5_SB_mNS0_19identity_decomposerENS1_16block_id_wrapperIjLb1EEEEE10hipError_tT1_PNSt15iterator_traitsISG_E10value_typeET2_T3_PNSH_ISM_E10value_typeET4_T5_PSR_SS_PNS1_23onesweep_lookback_stateEbbT6_jjT7_P12ihipStream_tbENKUlT_T0_SG_SL_E_clIS9_SA_SB_SB_EEDaSZ_S10_SG_SL_EUlSZ_E_NS1_11comp_targetILNS1_3genE6ELNS1_11target_archE950ELNS1_3gpuE13ELNS1_3repE0EEENS1_47radix_sort_onesweep_sort_config_static_selectorELNS0_4arch9wavefront6targetE0EEEvSG_.uses_vcc, 0
	.set _ZN7rocprim17ROCPRIM_400000_NS6detail17trampoline_kernelINS0_14default_configENS1_35radix_sort_onesweep_config_selectorIlNS0_10empty_typeEEEZZNS1_29radix_sort_onesweep_iterationIS3_Lb0EPKlPlPS5_SB_mNS0_19identity_decomposerENS1_16block_id_wrapperIjLb1EEEEE10hipError_tT1_PNSt15iterator_traitsISG_E10value_typeET2_T3_PNSH_ISM_E10value_typeET4_T5_PSR_SS_PNS1_23onesweep_lookback_stateEbbT6_jjT7_P12ihipStream_tbENKUlT_T0_SG_SL_E_clIS9_SA_SB_SB_EEDaSZ_S10_SG_SL_EUlSZ_E_NS1_11comp_targetILNS1_3genE6ELNS1_11target_archE950ELNS1_3gpuE13ELNS1_3repE0EEENS1_47radix_sort_onesweep_sort_config_static_selectorELNS0_4arch9wavefront6targetE0EEEvSG_.uses_flat_scratch, 0
	.set _ZN7rocprim17ROCPRIM_400000_NS6detail17trampoline_kernelINS0_14default_configENS1_35radix_sort_onesweep_config_selectorIlNS0_10empty_typeEEEZZNS1_29radix_sort_onesweep_iterationIS3_Lb0EPKlPlPS5_SB_mNS0_19identity_decomposerENS1_16block_id_wrapperIjLb1EEEEE10hipError_tT1_PNSt15iterator_traitsISG_E10value_typeET2_T3_PNSH_ISM_E10value_typeET4_T5_PSR_SS_PNS1_23onesweep_lookback_stateEbbT6_jjT7_P12ihipStream_tbENKUlT_T0_SG_SL_E_clIS9_SA_SB_SB_EEDaSZ_S10_SG_SL_EUlSZ_E_NS1_11comp_targetILNS1_3genE6ELNS1_11target_archE950ELNS1_3gpuE13ELNS1_3repE0EEENS1_47radix_sort_onesweep_sort_config_static_selectorELNS0_4arch9wavefront6targetE0EEEvSG_.has_dyn_sized_stack, 0
	.set _ZN7rocprim17ROCPRIM_400000_NS6detail17trampoline_kernelINS0_14default_configENS1_35radix_sort_onesweep_config_selectorIlNS0_10empty_typeEEEZZNS1_29radix_sort_onesweep_iterationIS3_Lb0EPKlPlPS5_SB_mNS0_19identity_decomposerENS1_16block_id_wrapperIjLb1EEEEE10hipError_tT1_PNSt15iterator_traitsISG_E10value_typeET2_T3_PNSH_ISM_E10value_typeET4_T5_PSR_SS_PNS1_23onesweep_lookback_stateEbbT6_jjT7_P12ihipStream_tbENKUlT_T0_SG_SL_E_clIS9_SA_SB_SB_EEDaSZ_S10_SG_SL_EUlSZ_E_NS1_11comp_targetILNS1_3genE6ELNS1_11target_archE950ELNS1_3gpuE13ELNS1_3repE0EEENS1_47radix_sort_onesweep_sort_config_static_selectorELNS0_4arch9wavefront6targetE0EEEvSG_.has_recursion, 0
	.set _ZN7rocprim17ROCPRIM_400000_NS6detail17trampoline_kernelINS0_14default_configENS1_35radix_sort_onesweep_config_selectorIlNS0_10empty_typeEEEZZNS1_29radix_sort_onesweep_iterationIS3_Lb0EPKlPlPS5_SB_mNS0_19identity_decomposerENS1_16block_id_wrapperIjLb1EEEEE10hipError_tT1_PNSt15iterator_traitsISG_E10value_typeET2_T3_PNSH_ISM_E10value_typeET4_T5_PSR_SS_PNS1_23onesweep_lookback_stateEbbT6_jjT7_P12ihipStream_tbENKUlT_T0_SG_SL_E_clIS9_SA_SB_SB_EEDaSZ_S10_SG_SL_EUlSZ_E_NS1_11comp_targetILNS1_3genE6ELNS1_11target_archE950ELNS1_3gpuE13ELNS1_3repE0EEENS1_47radix_sort_onesweep_sort_config_static_selectorELNS0_4arch9wavefront6targetE0EEEvSG_.has_indirect_call, 0
	.section	.AMDGPU.csdata,"",@progbits
; Kernel info:
; codeLenInByte = 0
; TotalNumSgprs: 0
; NumVgprs: 0
; ScratchSize: 0
; MemoryBound: 0
; FloatMode: 240
; IeeeMode: 1
; LDSByteSize: 0 bytes/workgroup (compile time only)
; SGPRBlocks: 0
; VGPRBlocks: 0
; NumSGPRsForWavesPerEU: 1
; NumVGPRsForWavesPerEU: 1
; NamedBarCnt: 0
; Occupancy: 16
; WaveLimiterHint : 0
; COMPUTE_PGM_RSRC2:SCRATCH_EN: 0
; COMPUTE_PGM_RSRC2:USER_SGPR: 2
; COMPUTE_PGM_RSRC2:TRAP_HANDLER: 0
; COMPUTE_PGM_RSRC2:TGID_X_EN: 1
; COMPUTE_PGM_RSRC2:TGID_Y_EN: 0
; COMPUTE_PGM_RSRC2:TGID_Z_EN: 0
; COMPUTE_PGM_RSRC2:TIDIG_COMP_CNT: 0
	.section	.text._ZN7rocprim17ROCPRIM_400000_NS6detail17trampoline_kernelINS0_14default_configENS1_35radix_sort_onesweep_config_selectorIlNS0_10empty_typeEEEZZNS1_29radix_sort_onesweep_iterationIS3_Lb0EPKlPlPS5_SB_mNS0_19identity_decomposerENS1_16block_id_wrapperIjLb1EEEEE10hipError_tT1_PNSt15iterator_traitsISG_E10value_typeET2_T3_PNSH_ISM_E10value_typeET4_T5_PSR_SS_PNS1_23onesweep_lookback_stateEbbT6_jjT7_P12ihipStream_tbENKUlT_T0_SG_SL_E_clIS9_SA_SB_SB_EEDaSZ_S10_SG_SL_EUlSZ_E_NS1_11comp_targetILNS1_3genE5ELNS1_11target_archE942ELNS1_3gpuE9ELNS1_3repE0EEENS1_47radix_sort_onesweep_sort_config_static_selectorELNS0_4arch9wavefront6targetE0EEEvSG_,"axG",@progbits,_ZN7rocprim17ROCPRIM_400000_NS6detail17trampoline_kernelINS0_14default_configENS1_35radix_sort_onesweep_config_selectorIlNS0_10empty_typeEEEZZNS1_29radix_sort_onesweep_iterationIS3_Lb0EPKlPlPS5_SB_mNS0_19identity_decomposerENS1_16block_id_wrapperIjLb1EEEEE10hipError_tT1_PNSt15iterator_traitsISG_E10value_typeET2_T3_PNSH_ISM_E10value_typeET4_T5_PSR_SS_PNS1_23onesweep_lookback_stateEbbT6_jjT7_P12ihipStream_tbENKUlT_T0_SG_SL_E_clIS9_SA_SB_SB_EEDaSZ_S10_SG_SL_EUlSZ_E_NS1_11comp_targetILNS1_3genE5ELNS1_11target_archE942ELNS1_3gpuE9ELNS1_3repE0EEENS1_47radix_sort_onesweep_sort_config_static_selectorELNS0_4arch9wavefront6targetE0EEEvSG_,comdat
	.protected	_ZN7rocprim17ROCPRIM_400000_NS6detail17trampoline_kernelINS0_14default_configENS1_35radix_sort_onesweep_config_selectorIlNS0_10empty_typeEEEZZNS1_29radix_sort_onesweep_iterationIS3_Lb0EPKlPlPS5_SB_mNS0_19identity_decomposerENS1_16block_id_wrapperIjLb1EEEEE10hipError_tT1_PNSt15iterator_traitsISG_E10value_typeET2_T3_PNSH_ISM_E10value_typeET4_T5_PSR_SS_PNS1_23onesweep_lookback_stateEbbT6_jjT7_P12ihipStream_tbENKUlT_T0_SG_SL_E_clIS9_SA_SB_SB_EEDaSZ_S10_SG_SL_EUlSZ_E_NS1_11comp_targetILNS1_3genE5ELNS1_11target_archE942ELNS1_3gpuE9ELNS1_3repE0EEENS1_47radix_sort_onesweep_sort_config_static_selectorELNS0_4arch9wavefront6targetE0EEEvSG_ ; -- Begin function _ZN7rocprim17ROCPRIM_400000_NS6detail17trampoline_kernelINS0_14default_configENS1_35radix_sort_onesweep_config_selectorIlNS0_10empty_typeEEEZZNS1_29radix_sort_onesweep_iterationIS3_Lb0EPKlPlPS5_SB_mNS0_19identity_decomposerENS1_16block_id_wrapperIjLb1EEEEE10hipError_tT1_PNSt15iterator_traitsISG_E10value_typeET2_T3_PNSH_ISM_E10value_typeET4_T5_PSR_SS_PNS1_23onesweep_lookback_stateEbbT6_jjT7_P12ihipStream_tbENKUlT_T0_SG_SL_E_clIS9_SA_SB_SB_EEDaSZ_S10_SG_SL_EUlSZ_E_NS1_11comp_targetILNS1_3genE5ELNS1_11target_archE942ELNS1_3gpuE9ELNS1_3repE0EEENS1_47radix_sort_onesweep_sort_config_static_selectorELNS0_4arch9wavefront6targetE0EEEvSG_
	.globl	_ZN7rocprim17ROCPRIM_400000_NS6detail17trampoline_kernelINS0_14default_configENS1_35radix_sort_onesweep_config_selectorIlNS0_10empty_typeEEEZZNS1_29radix_sort_onesweep_iterationIS3_Lb0EPKlPlPS5_SB_mNS0_19identity_decomposerENS1_16block_id_wrapperIjLb1EEEEE10hipError_tT1_PNSt15iterator_traitsISG_E10value_typeET2_T3_PNSH_ISM_E10value_typeET4_T5_PSR_SS_PNS1_23onesweep_lookback_stateEbbT6_jjT7_P12ihipStream_tbENKUlT_T0_SG_SL_E_clIS9_SA_SB_SB_EEDaSZ_S10_SG_SL_EUlSZ_E_NS1_11comp_targetILNS1_3genE5ELNS1_11target_archE942ELNS1_3gpuE9ELNS1_3repE0EEENS1_47radix_sort_onesweep_sort_config_static_selectorELNS0_4arch9wavefront6targetE0EEEvSG_
	.p2align	8
	.type	_ZN7rocprim17ROCPRIM_400000_NS6detail17trampoline_kernelINS0_14default_configENS1_35radix_sort_onesweep_config_selectorIlNS0_10empty_typeEEEZZNS1_29radix_sort_onesweep_iterationIS3_Lb0EPKlPlPS5_SB_mNS0_19identity_decomposerENS1_16block_id_wrapperIjLb1EEEEE10hipError_tT1_PNSt15iterator_traitsISG_E10value_typeET2_T3_PNSH_ISM_E10value_typeET4_T5_PSR_SS_PNS1_23onesweep_lookback_stateEbbT6_jjT7_P12ihipStream_tbENKUlT_T0_SG_SL_E_clIS9_SA_SB_SB_EEDaSZ_S10_SG_SL_EUlSZ_E_NS1_11comp_targetILNS1_3genE5ELNS1_11target_archE942ELNS1_3gpuE9ELNS1_3repE0EEENS1_47radix_sort_onesweep_sort_config_static_selectorELNS0_4arch9wavefront6targetE0EEEvSG_,@function
_ZN7rocprim17ROCPRIM_400000_NS6detail17trampoline_kernelINS0_14default_configENS1_35radix_sort_onesweep_config_selectorIlNS0_10empty_typeEEEZZNS1_29radix_sort_onesweep_iterationIS3_Lb0EPKlPlPS5_SB_mNS0_19identity_decomposerENS1_16block_id_wrapperIjLb1EEEEE10hipError_tT1_PNSt15iterator_traitsISG_E10value_typeET2_T3_PNSH_ISM_E10value_typeET4_T5_PSR_SS_PNS1_23onesweep_lookback_stateEbbT6_jjT7_P12ihipStream_tbENKUlT_T0_SG_SL_E_clIS9_SA_SB_SB_EEDaSZ_S10_SG_SL_EUlSZ_E_NS1_11comp_targetILNS1_3genE5ELNS1_11target_archE942ELNS1_3gpuE9ELNS1_3repE0EEENS1_47radix_sort_onesweep_sort_config_static_selectorELNS0_4arch9wavefront6targetE0EEEvSG_: ; @_ZN7rocprim17ROCPRIM_400000_NS6detail17trampoline_kernelINS0_14default_configENS1_35radix_sort_onesweep_config_selectorIlNS0_10empty_typeEEEZZNS1_29radix_sort_onesweep_iterationIS3_Lb0EPKlPlPS5_SB_mNS0_19identity_decomposerENS1_16block_id_wrapperIjLb1EEEEE10hipError_tT1_PNSt15iterator_traitsISG_E10value_typeET2_T3_PNSH_ISM_E10value_typeET4_T5_PSR_SS_PNS1_23onesweep_lookback_stateEbbT6_jjT7_P12ihipStream_tbENKUlT_T0_SG_SL_E_clIS9_SA_SB_SB_EEDaSZ_S10_SG_SL_EUlSZ_E_NS1_11comp_targetILNS1_3genE5ELNS1_11target_archE942ELNS1_3gpuE9ELNS1_3repE0EEENS1_47radix_sort_onesweep_sort_config_static_selectorELNS0_4arch9wavefront6targetE0EEEvSG_
; %bb.0:
	.section	.rodata,"a",@progbits
	.p2align	6, 0x0
	.amdhsa_kernel _ZN7rocprim17ROCPRIM_400000_NS6detail17trampoline_kernelINS0_14default_configENS1_35radix_sort_onesweep_config_selectorIlNS0_10empty_typeEEEZZNS1_29radix_sort_onesweep_iterationIS3_Lb0EPKlPlPS5_SB_mNS0_19identity_decomposerENS1_16block_id_wrapperIjLb1EEEEE10hipError_tT1_PNSt15iterator_traitsISG_E10value_typeET2_T3_PNSH_ISM_E10value_typeET4_T5_PSR_SS_PNS1_23onesweep_lookback_stateEbbT6_jjT7_P12ihipStream_tbENKUlT_T0_SG_SL_E_clIS9_SA_SB_SB_EEDaSZ_S10_SG_SL_EUlSZ_E_NS1_11comp_targetILNS1_3genE5ELNS1_11target_archE942ELNS1_3gpuE9ELNS1_3repE0EEENS1_47radix_sort_onesweep_sort_config_static_selectorELNS0_4arch9wavefront6targetE0EEEvSG_
		.amdhsa_group_segment_fixed_size 0
		.amdhsa_private_segment_fixed_size 0
		.amdhsa_kernarg_size 88
		.amdhsa_user_sgpr_count 2
		.amdhsa_user_sgpr_dispatch_ptr 0
		.amdhsa_user_sgpr_queue_ptr 0
		.amdhsa_user_sgpr_kernarg_segment_ptr 1
		.amdhsa_user_sgpr_dispatch_id 0
		.amdhsa_user_sgpr_kernarg_preload_length 0
		.amdhsa_user_sgpr_kernarg_preload_offset 0
		.amdhsa_user_sgpr_private_segment_size 0
		.amdhsa_wavefront_size32 1
		.amdhsa_uses_dynamic_stack 0
		.amdhsa_enable_private_segment 0
		.amdhsa_system_sgpr_workgroup_id_x 1
		.amdhsa_system_sgpr_workgroup_id_y 0
		.amdhsa_system_sgpr_workgroup_id_z 0
		.amdhsa_system_sgpr_workgroup_info 0
		.amdhsa_system_vgpr_workitem_id 0
		.amdhsa_next_free_vgpr 1
		.amdhsa_next_free_sgpr 1
		.amdhsa_named_barrier_count 0
		.amdhsa_reserve_vcc 0
		.amdhsa_float_round_mode_32 0
		.amdhsa_float_round_mode_16_64 0
		.amdhsa_float_denorm_mode_32 3
		.amdhsa_float_denorm_mode_16_64 3
		.amdhsa_fp16_overflow 0
		.amdhsa_memory_ordered 1
		.amdhsa_forward_progress 1
		.amdhsa_inst_pref_size 0
		.amdhsa_round_robin_scheduling 0
		.amdhsa_exception_fp_ieee_invalid_op 0
		.amdhsa_exception_fp_denorm_src 0
		.amdhsa_exception_fp_ieee_div_zero 0
		.amdhsa_exception_fp_ieee_overflow 0
		.amdhsa_exception_fp_ieee_underflow 0
		.amdhsa_exception_fp_ieee_inexact 0
		.amdhsa_exception_int_div_zero 0
	.end_amdhsa_kernel
	.section	.text._ZN7rocprim17ROCPRIM_400000_NS6detail17trampoline_kernelINS0_14default_configENS1_35radix_sort_onesweep_config_selectorIlNS0_10empty_typeEEEZZNS1_29radix_sort_onesweep_iterationIS3_Lb0EPKlPlPS5_SB_mNS0_19identity_decomposerENS1_16block_id_wrapperIjLb1EEEEE10hipError_tT1_PNSt15iterator_traitsISG_E10value_typeET2_T3_PNSH_ISM_E10value_typeET4_T5_PSR_SS_PNS1_23onesweep_lookback_stateEbbT6_jjT7_P12ihipStream_tbENKUlT_T0_SG_SL_E_clIS9_SA_SB_SB_EEDaSZ_S10_SG_SL_EUlSZ_E_NS1_11comp_targetILNS1_3genE5ELNS1_11target_archE942ELNS1_3gpuE9ELNS1_3repE0EEENS1_47radix_sort_onesweep_sort_config_static_selectorELNS0_4arch9wavefront6targetE0EEEvSG_,"axG",@progbits,_ZN7rocprim17ROCPRIM_400000_NS6detail17trampoline_kernelINS0_14default_configENS1_35radix_sort_onesweep_config_selectorIlNS0_10empty_typeEEEZZNS1_29radix_sort_onesweep_iterationIS3_Lb0EPKlPlPS5_SB_mNS0_19identity_decomposerENS1_16block_id_wrapperIjLb1EEEEE10hipError_tT1_PNSt15iterator_traitsISG_E10value_typeET2_T3_PNSH_ISM_E10value_typeET4_T5_PSR_SS_PNS1_23onesweep_lookback_stateEbbT6_jjT7_P12ihipStream_tbENKUlT_T0_SG_SL_E_clIS9_SA_SB_SB_EEDaSZ_S10_SG_SL_EUlSZ_E_NS1_11comp_targetILNS1_3genE5ELNS1_11target_archE942ELNS1_3gpuE9ELNS1_3repE0EEENS1_47radix_sort_onesweep_sort_config_static_selectorELNS0_4arch9wavefront6targetE0EEEvSG_,comdat
.Lfunc_end1209:
	.size	_ZN7rocprim17ROCPRIM_400000_NS6detail17trampoline_kernelINS0_14default_configENS1_35radix_sort_onesweep_config_selectorIlNS0_10empty_typeEEEZZNS1_29radix_sort_onesweep_iterationIS3_Lb0EPKlPlPS5_SB_mNS0_19identity_decomposerENS1_16block_id_wrapperIjLb1EEEEE10hipError_tT1_PNSt15iterator_traitsISG_E10value_typeET2_T3_PNSH_ISM_E10value_typeET4_T5_PSR_SS_PNS1_23onesweep_lookback_stateEbbT6_jjT7_P12ihipStream_tbENKUlT_T0_SG_SL_E_clIS9_SA_SB_SB_EEDaSZ_S10_SG_SL_EUlSZ_E_NS1_11comp_targetILNS1_3genE5ELNS1_11target_archE942ELNS1_3gpuE9ELNS1_3repE0EEENS1_47radix_sort_onesweep_sort_config_static_selectorELNS0_4arch9wavefront6targetE0EEEvSG_, .Lfunc_end1209-_ZN7rocprim17ROCPRIM_400000_NS6detail17trampoline_kernelINS0_14default_configENS1_35radix_sort_onesweep_config_selectorIlNS0_10empty_typeEEEZZNS1_29radix_sort_onesweep_iterationIS3_Lb0EPKlPlPS5_SB_mNS0_19identity_decomposerENS1_16block_id_wrapperIjLb1EEEEE10hipError_tT1_PNSt15iterator_traitsISG_E10value_typeET2_T3_PNSH_ISM_E10value_typeET4_T5_PSR_SS_PNS1_23onesweep_lookback_stateEbbT6_jjT7_P12ihipStream_tbENKUlT_T0_SG_SL_E_clIS9_SA_SB_SB_EEDaSZ_S10_SG_SL_EUlSZ_E_NS1_11comp_targetILNS1_3genE5ELNS1_11target_archE942ELNS1_3gpuE9ELNS1_3repE0EEENS1_47radix_sort_onesweep_sort_config_static_selectorELNS0_4arch9wavefront6targetE0EEEvSG_
                                        ; -- End function
	.set _ZN7rocprim17ROCPRIM_400000_NS6detail17trampoline_kernelINS0_14default_configENS1_35radix_sort_onesweep_config_selectorIlNS0_10empty_typeEEEZZNS1_29radix_sort_onesweep_iterationIS3_Lb0EPKlPlPS5_SB_mNS0_19identity_decomposerENS1_16block_id_wrapperIjLb1EEEEE10hipError_tT1_PNSt15iterator_traitsISG_E10value_typeET2_T3_PNSH_ISM_E10value_typeET4_T5_PSR_SS_PNS1_23onesweep_lookback_stateEbbT6_jjT7_P12ihipStream_tbENKUlT_T0_SG_SL_E_clIS9_SA_SB_SB_EEDaSZ_S10_SG_SL_EUlSZ_E_NS1_11comp_targetILNS1_3genE5ELNS1_11target_archE942ELNS1_3gpuE9ELNS1_3repE0EEENS1_47radix_sort_onesweep_sort_config_static_selectorELNS0_4arch9wavefront6targetE0EEEvSG_.num_vgpr, 0
	.set _ZN7rocprim17ROCPRIM_400000_NS6detail17trampoline_kernelINS0_14default_configENS1_35radix_sort_onesweep_config_selectorIlNS0_10empty_typeEEEZZNS1_29radix_sort_onesweep_iterationIS3_Lb0EPKlPlPS5_SB_mNS0_19identity_decomposerENS1_16block_id_wrapperIjLb1EEEEE10hipError_tT1_PNSt15iterator_traitsISG_E10value_typeET2_T3_PNSH_ISM_E10value_typeET4_T5_PSR_SS_PNS1_23onesweep_lookback_stateEbbT6_jjT7_P12ihipStream_tbENKUlT_T0_SG_SL_E_clIS9_SA_SB_SB_EEDaSZ_S10_SG_SL_EUlSZ_E_NS1_11comp_targetILNS1_3genE5ELNS1_11target_archE942ELNS1_3gpuE9ELNS1_3repE0EEENS1_47radix_sort_onesweep_sort_config_static_selectorELNS0_4arch9wavefront6targetE0EEEvSG_.num_agpr, 0
	.set _ZN7rocprim17ROCPRIM_400000_NS6detail17trampoline_kernelINS0_14default_configENS1_35radix_sort_onesweep_config_selectorIlNS0_10empty_typeEEEZZNS1_29radix_sort_onesweep_iterationIS3_Lb0EPKlPlPS5_SB_mNS0_19identity_decomposerENS1_16block_id_wrapperIjLb1EEEEE10hipError_tT1_PNSt15iterator_traitsISG_E10value_typeET2_T3_PNSH_ISM_E10value_typeET4_T5_PSR_SS_PNS1_23onesweep_lookback_stateEbbT6_jjT7_P12ihipStream_tbENKUlT_T0_SG_SL_E_clIS9_SA_SB_SB_EEDaSZ_S10_SG_SL_EUlSZ_E_NS1_11comp_targetILNS1_3genE5ELNS1_11target_archE942ELNS1_3gpuE9ELNS1_3repE0EEENS1_47radix_sort_onesweep_sort_config_static_selectorELNS0_4arch9wavefront6targetE0EEEvSG_.numbered_sgpr, 0
	.set _ZN7rocprim17ROCPRIM_400000_NS6detail17trampoline_kernelINS0_14default_configENS1_35radix_sort_onesweep_config_selectorIlNS0_10empty_typeEEEZZNS1_29radix_sort_onesweep_iterationIS3_Lb0EPKlPlPS5_SB_mNS0_19identity_decomposerENS1_16block_id_wrapperIjLb1EEEEE10hipError_tT1_PNSt15iterator_traitsISG_E10value_typeET2_T3_PNSH_ISM_E10value_typeET4_T5_PSR_SS_PNS1_23onesweep_lookback_stateEbbT6_jjT7_P12ihipStream_tbENKUlT_T0_SG_SL_E_clIS9_SA_SB_SB_EEDaSZ_S10_SG_SL_EUlSZ_E_NS1_11comp_targetILNS1_3genE5ELNS1_11target_archE942ELNS1_3gpuE9ELNS1_3repE0EEENS1_47radix_sort_onesweep_sort_config_static_selectorELNS0_4arch9wavefront6targetE0EEEvSG_.num_named_barrier, 0
	.set _ZN7rocprim17ROCPRIM_400000_NS6detail17trampoline_kernelINS0_14default_configENS1_35radix_sort_onesweep_config_selectorIlNS0_10empty_typeEEEZZNS1_29radix_sort_onesweep_iterationIS3_Lb0EPKlPlPS5_SB_mNS0_19identity_decomposerENS1_16block_id_wrapperIjLb1EEEEE10hipError_tT1_PNSt15iterator_traitsISG_E10value_typeET2_T3_PNSH_ISM_E10value_typeET4_T5_PSR_SS_PNS1_23onesweep_lookback_stateEbbT6_jjT7_P12ihipStream_tbENKUlT_T0_SG_SL_E_clIS9_SA_SB_SB_EEDaSZ_S10_SG_SL_EUlSZ_E_NS1_11comp_targetILNS1_3genE5ELNS1_11target_archE942ELNS1_3gpuE9ELNS1_3repE0EEENS1_47radix_sort_onesweep_sort_config_static_selectorELNS0_4arch9wavefront6targetE0EEEvSG_.private_seg_size, 0
	.set _ZN7rocprim17ROCPRIM_400000_NS6detail17trampoline_kernelINS0_14default_configENS1_35radix_sort_onesweep_config_selectorIlNS0_10empty_typeEEEZZNS1_29radix_sort_onesweep_iterationIS3_Lb0EPKlPlPS5_SB_mNS0_19identity_decomposerENS1_16block_id_wrapperIjLb1EEEEE10hipError_tT1_PNSt15iterator_traitsISG_E10value_typeET2_T3_PNSH_ISM_E10value_typeET4_T5_PSR_SS_PNS1_23onesweep_lookback_stateEbbT6_jjT7_P12ihipStream_tbENKUlT_T0_SG_SL_E_clIS9_SA_SB_SB_EEDaSZ_S10_SG_SL_EUlSZ_E_NS1_11comp_targetILNS1_3genE5ELNS1_11target_archE942ELNS1_3gpuE9ELNS1_3repE0EEENS1_47radix_sort_onesweep_sort_config_static_selectorELNS0_4arch9wavefront6targetE0EEEvSG_.uses_vcc, 0
	.set _ZN7rocprim17ROCPRIM_400000_NS6detail17trampoline_kernelINS0_14default_configENS1_35radix_sort_onesweep_config_selectorIlNS0_10empty_typeEEEZZNS1_29radix_sort_onesweep_iterationIS3_Lb0EPKlPlPS5_SB_mNS0_19identity_decomposerENS1_16block_id_wrapperIjLb1EEEEE10hipError_tT1_PNSt15iterator_traitsISG_E10value_typeET2_T3_PNSH_ISM_E10value_typeET4_T5_PSR_SS_PNS1_23onesweep_lookback_stateEbbT6_jjT7_P12ihipStream_tbENKUlT_T0_SG_SL_E_clIS9_SA_SB_SB_EEDaSZ_S10_SG_SL_EUlSZ_E_NS1_11comp_targetILNS1_3genE5ELNS1_11target_archE942ELNS1_3gpuE9ELNS1_3repE0EEENS1_47radix_sort_onesweep_sort_config_static_selectorELNS0_4arch9wavefront6targetE0EEEvSG_.uses_flat_scratch, 0
	.set _ZN7rocprim17ROCPRIM_400000_NS6detail17trampoline_kernelINS0_14default_configENS1_35radix_sort_onesweep_config_selectorIlNS0_10empty_typeEEEZZNS1_29radix_sort_onesweep_iterationIS3_Lb0EPKlPlPS5_SB_mNS0_19identity_decomposerENS1_16block_id_wrapperIjLb1EEEEE10hipError_tT1_PNSt15iterator_traitsISG_E10value_typeET2_T3_PNSH_ISM_E10value_typeET4_T5_PSR_SS_PNS1_23onesweep_lookback_stateEbbT6_jjT7_P12ihipStream_tbENKUlT_T0_SG_SL_E_clIS9_SA_SB_SB_EEDaSZ_S10_SG_SL_EUlSZ_E_NS1_11comp_targetILNS1_3genE5ELNS1_11target_archE942ELNS1_3gpuE9ELNS1_3repE0EEENS1_47radix_sort_onesweep_sort_config_static_selectorELNS0_4arch9wavefront6targetE0EEEvSG_.has_dyn_sized_stack, 0
	.set _ZN7rocprim17ROCPRIM_400000_NS6detail17trampoline_kernelINS0_14default_configENS1_35radix_sort_onesweep_config_selectorIlNS0_10empty_typeEEEZZNS1_29radix_sort_onesweep_iterationIS3_Lb0EPKlPlPS5_SB_mNS0_19identity_decomposerENS1_16block_id_wrapperIjLb1EEEEE10hipError_tT1_PNSt15iterator_traitsISG_E10value_typeET2_T3_PNSH_ISM_E10value_typeET4_T5_PSR_SS_PNS1_23onesweep_lookback_stateEbbT6_jjT7_P12ihipStream_tbENKUlT_T0_SG_SL_E_clIS9_SA_SB_SB_EEDaSZ_S10_SG_SL_EUlSZ_E_NS1_11comp_targetILNS1_3genE5ELNS1_11target_archE942ELNS1_3gpuE9ELNS1_3repE0EEENS1_47radix_sort_onesweep_sort_config_static_selectorELNS0_4arch9wavefront6targetE0EEEvSG_.has_recursion, 0
	.set _ZN7rocprim17ROCPRIM_400000_NS6detail17trampoline_kernelINS0_14default_configENS1_35radix_sort_onesweep_config_selectorIlNS0_10empty_typeEEEZZNS1_29radix_sort_onesweep_iterationIS3_Lb0EPKlPlPS5_SB_mNS0_19identity_decomposerENS1_16block_id_wrapperIjLb1EEEEE10hipError_tT1_PNSt15iterator_traitsISG_E10value_typeET2_T3_PNSH_ISM_E10value_typeET4_T5_PSR_SS_PNS1_23onesweep_lookback_stateEbbT6_jjT7_P12ihipStream_tbENKUlT_T0_SG_SL_E_clIS9_SA_SB_SB_EEDaSZ_S10_SG_SL_EUlSZ_E_NS1_11comp_targetILNS1_3genE5ELNS1_11target_archE942ELNS1_3gpuE9ELNS1_3repE0EEENS1_47radix_sort_onesweep_sort_config_static_selectorELNS0_4arch9wavefront6targetE0EEEvSG_.has_indirect_call, 0
	.section	.AMDGPU.csdata,"",@progbits
; Kernel info:
; codeLenInByte = 0
; TotalNumSgprs: 0
; NumVgprs: 0
; ScratchSize: 0
; MemoryBound: 0
; FloatMode: 240
; IeeeMode: 1
; LDSByteSize: 0 bytes/workgroup (compile time only)
; SGPRBlocks: 0
; VGPRBlocks: 0
; NumSGPRsForWavesPerEU: 1
; NumVGPRsForWavesPerEU: 1
; NamedBarCnt: 0
; Occupancy: 16
; WaveLimiterHint : 0
; COMPUTE_PGM_RSRC2:SCRATCH_EN: 0
; COMPUTE_PGM_RSRC2:USER_SGPR: 2
; COMPUTE_PGM_RSRC2:TRAP_HANDLER: 0
; COMPUTE_PGM_RSRC2:TGID_X_EN: 1
; COMPUTE_PGM_RSRC2:TGID_Y_EN: 0
; COMPUTE_PGM_RSRC2:TGID_Z_EN: 0
; COMPUTE_PGM_RSRC2:TIDIG_COMP_CNT: 0
	.section	.text._ZN7rocprim17ROCPRIM_400000_NS6detail17trampoline_kernelINS0_14default_configENS1_35radix_sort_onesweep_config_selectorIlNS0_10empty_typeEEEZZNS1_29radix_sort_onesweep_iterationIS3_Lb0EPKlPlPS5_SB_mNS0_19identity_decomposerENS1_16block_id_wrapperIjLb1EEEEE10hipError_tT1_PNSt15iterator_traitsISG_E10value_typeET2_T3_PNSH_ISM_E10value_typeET4_T5_PSR_SS_PNS1_23onesweep_lookback_stateEbbT6_jjT7_P12ihipStream_tbENKUlT_T0_SG_SL_E_clIS9_SA_SB_SB_EEDaSZ_S10_SG_SL_EUlSZ_E_NS1_11comp_targetILNS1_3genE2ELNS1_11target_archE906ELNS1_3gpuE6ELNS1_3repE0EEENS1_47radix_sort_onesweep_sort_config_static_selectorELNS0_4arch9wavefront6targetE0EEEvSG_,"axG",@progbits,_ZN7rocprim17ROCPRIM_400000_NS6detail17trampoline_kernelINS0_14default_configENS1_35radix_sort_onesweep_config_selectorIlNS0_10empty_typeEEEZZNS1_29radix_sort_onesweep_iterationIS3_Lb0EPKlPlPS5_SB_mNS0_19identity_decomposerENS1_16block_id_wrapperIjLb1EEEEE10hipError_tT1_PNSt15iterator_traitsISG_E10value_typeET2_T3_PNSH_ISM_E10value_typeET4_T5_PSR_SS_PNS1_23onesweep_lookback_stateEbbT6_jjT7_P12ihipStream_tbENKUlT_T0_SG_SL_E_clIS9_SA_SB_SB_EEDaSZ_S10_SG_SL_EUlSZ_E_NS1_11comp_targetILNS1_3genE2ELNS1_11target_archE906ELNS1_3gpuE6ELNS1_3repE0EEENS1_47radix_sort_onesweep_sort_config_static_selectorELNS0_4arch9wavefront6targetE0EEEvSG_,comdat
	.protected	_ZN7rocprim17ROCPRIM_400000_NS6detail17trampoline_kernelINS0_14default_configENS1_35radix_sort_onesweep_config_selectorIlNS0_10empty_typeEEEZZNS1_29radix_sort_onesweep_iterationIS3_Lb0EPKlPlPS5_SB_mNS0_19identity_decomposerENS1_16block_id_wrapperIjLb1EEEEE10hipError_tT1_PNSt15iterator_traitsISG_E10value_typeET2_T3_PNSH_ISM_E10value_typeET4_T5_PSR_SS_PNS1_23onesweep_lookback_stateEbbT6_jjT7_P12ihipStream_tbENKUlT_T0_SG_SL_E_clIS9_SA_SB_SB_EEDaSZ_S10_SG_SL_EUlSZ_E_NS1_11comp_targetILNS1_3genE2ELNS1_11target_archE906ELNS1_3gpuE6ELNS1_3repE0EEENS1_47radix_sort_onesweep_sort_config_static_selectorELNS0_4arch9wavefront6targetE0EEEvSG_ ; -- Begin function _ZN7rocprim17ROCPRIM_400000_NS6detail17trampoline_kernelINS0_14default_configENS1_35radix_sort_onesweep_config_selectorIlNS0_10empty_typeEEEZZNS1_29radix_sort_onesweep_iterationIS3_Lb0EPKlPlPS5_SB_mNS0_19identity_decomposerENS1_16block_id_wrapperIjLb1EEEEE10hipError_tT1_PNSt15iterator_traitsISG_E10value_typeET2_T3_PNSH_ISM_E10value_typeET4_T5_PSR_SS_PNS1_23onesweep_lookback_stateEbbT6_jjT7_P12ihipStream_tbENKUlT_T0_SG_SL_E_clIS9_SA_SB_SB_EEDaSZ_S10_SG_SL_EUlSZ_E_NS1_11comp_targetILNS1_3genE2ELNS1_11target_archE906ELNS1_3gpuE6ELNS1_3repE0EEENS1_47radix_sort_onesweep_sort_config_static_selectorELNS0_4arch9wavefront6targetE0EEEvSG_
	.globl	_ZN7rocprim17ROCPRIM_400000_NS6detail17trampoline_kernelINS0_14default_configENS1_35radix_sort_onesweep_config_selectorIlNS0_10empty_typeEEEZZNS1_29radix_sort_onesweep_iterationIS3_Lb0EPKlPlPS5_SB_mNS0_19identity_decomposerENS1_16block_id_wrapperIjLb1EEEEE10hipError_tT1_PNSt15iterator_traitsISG_E10value_typeET2_T3_PNSH_ISM_E10value_typeET4_T5_PSR_SS_PNS1_23onesweep_lookback_stateEbbT6_jjT7_P12ihipStream_tbENKUlT_T0_SG_SL_E_clIS9_SA_SB_SB_EEDaSZ_S10_SG_SL_EUlSZ_E_NS1_11comp_targetILNS1_3genE2ELNS1_11target_archE906ELNS1_3gpuE6ELNS1_3repE0EEENS1_47radix_sort_onesweep_sort_config_static_selectorELNS0_4arch9wavefront6targetE0EEEvSG_
	.p2align	8
	.type	_ZN7rocprim17ROCPRIM_400000_NS6detail17trampoline_kernelINS0_14default_configENS1_35radix_sort_onesweep_config_selectorIlNS0_10empty_typeEEEZZNS1_29radix_sort_onesweep_iterationIS3_Lb0EPKlPlPS5_SB_mNS0_19identity_decomposerENS1_16block_id_wrapperIjLb1EEEEE10hipError_tT1_PNSt15iterator_traitsISG_E10value_typeET2_T3_PNSH_ISM_E10value_typeET4_T5_PSR_SS_PNS1_23onesweep_lookback_stateEbbT6_jjT7_P12ihipStream_tbENKUlT_T0_SG_SL_E_clIS9_SA_SB_SB_EEDaSZ_S10_SG_SL_EUlSZ_E_NS1_11comp_targetILNS1_3genE2ELNS1_11target_archE906ELNS1_3gpuE6ELNS1_3repE0EEENS1_47radix_sort_onesweep_sort_config_static_selectorELNS0_4arch9wavefront6targetE0EEEvSG_,@function
_ZN7rocprim17ROCPRIM_400000_NS6detail17trampoline_kernelINS0_14default_configENS1_35radix_sort_onesweep_config_selectorIlNS0_10empty_typeEEEZZNS1_29radix_sort_onesweep_iterationIS3_Lb0EPKlPlPS5_SB_mNS0_19identity_decomposerENS1_16block_id_wrapperIjLb1EEEEE10hipError_tT1_PNSt15iterator_traitsISG_E10value_typeET2_T3_PNSH_ISM_E10value_typeET4_T5_PSR_SS_PNS1_23onesweep_lookback_stateEbbT6_jjT7_P12ihipStream_tbENKUlT_T0_SG_SL_E_clIS9_SA_SB_SB_EEDaSZ_S10_SG_SL_EUlSZ_E_NS1_11comp_targetILNS1_3genE2ELNS1_11target_archE906ELNS1_3gpuE6ELNS1_3repE0EEENS1_47radix_sort_onesweep_sort_config_static_selectorELNS0_4arch9wavefront6targetE0EEEvSG_: ; @_ZN7rocprim17ROCPRIM_400000_NS6detail17trampoline_kernelINS0_14default_configENS1_35radix_sort_onesweep_config_selectorIlNS0_10empty_typeEEEZZNS1_29radix_sort_onesweep_iterationIS3_Lb0EPKlPlPS5_SB_mNS0_19identity_decomposerENS1_16block_id_wrapperIjLb1EEEEE10hipError_tT1_PNSt15iterator_traitsISG_E10value_typeET2_T3_PNSH_ISM_E10value_typeET4_T5_PSR_SS_PNS1_23onesweep_lookback_stateEbbT6_jjT7_P12ihipStream_tbENKUlT_T0_SG_SL_E_clIS9_SA_SB_SB_EEDaSZ_S10_SG_SL_EUlSZ_E_NS1_11comp_targetILNS1_3genE2ELNS1_11target_archE906ELNS1_3gpuE6ELNS1_3repE0EEENS1_47radix_sort_onesweep_sort_config_static_selectorELNS0_4arch9wavefront6targetE0EEEvSG_
; %bb.0:
	.section	.rodata,"a",@progbits
	.p2align	6, 0x0
	.amdhsa_kernel _ZN7rocprim17ROCPRIM_400000_NS6detail17trampoline_kernelINS0_14default_configENS1_35radix_sort_onesweep_config_selectorIlNS0_10empty_typeEEEZZNS1_29radix_sort_onesweep_iterationIS3_Lb0EPKlPlPS5_SB_mNS0_19identity_decomposerENS1_16block_id_wrapperIjLb1EEEEE10hipError_tT1_PNSt15iterator_traitsISG_E10value_typeET2_T3_PNSH_ISM_E10value_typeET4_T5_PSR_SS_PNS1_23onesweep_lookback_stateEbbT6_jjT7_P12ihipStream_tbENKUlT_T0_SG_SL_E_clIS9_SA_SB_SB_EEDaSZ_S10_SG_SL_EUlSZ_E_NS1_11comp_targetILNS1_3genE2ELNS1_11target_archE906ELNS1_3gpuE6ELNS1_3repE0EEENS1_47radix_sort_onesweep_sort_config_static_selectorELNS0_4arch9wavefront6targetE0EEEvSG_
		.amdhsa_group_segment_fixed_size 0
		.amdhsa_private_segment_fixed_size 0
		.amdhsa_kernarg_size 88
		.amdhsa_user_sgpr_count 2
		.amdhsa_user_sgpr_dispatch_ptr 0
		.amdhsa_user_sgpr_queue_ptr 0
		.amdhsa_user_sgpr_kernarg_segment_ptr 1
		.amdhsa_user_sgpr_dispatch_id 0
		.amdhsa_user_sgpr_kernarg_preload_length 0
		.amdhsa_user_sgpr_kernarg_preload_offset 0
		.amdhsa_user_sgpr_private_segment_size 0
		.amdhsa_wavefront_size32 1
		.amdhsa_uses_dynamic_stack 0
		.amdhsa_enable_private_segment 0
		.amdhsa_system_sgpr_workgroup_id_x 1
		.amdhsa_system_sgpr_workgroup_id_y 0
		.amdhsa_system_sgpr_workgroup_id_z 0
		.amdhsa_system_sgpr_workgroup_info 0
		.amdhsa_system_vgpr_workitem_id 0
		.amdhsa_next_free_vgpr 1
		.amdhsa_next_free_sgpr 1
		.amdhsa_named_barrier_count 0
		.amdhsa_reserve_vcc 0
		.amdhsa_float_round_mode_32 0
		.amdhsa_float_round_mode_16_64 0
		.amdhsa_float_denorm_mode_32 3
		.amdhsa_float_denorm_mode_16_64 3
		.amdhsa_fp16_overflow 0
		.amdhsa_memory_ordered 1
		.amdhsa_forward_progress 1
		.amdhsa_inst_pref_size 0
		.amdhsa_round_robin_scheduling 0
		.amdhsa_exception_fp_ieee_invalid_op 0
		.amdhsa_exception_fp_denorm_src 0
		.amdhsa_exception_fp_ieee_div_zero 0
		.amdhsa_exception_fp_ieee_overflow 0
		.amdhsa_exception_fp_ieee_underflow 0
		.amdhsa_exception_fp_ieee_inexact 0
		.amdhsa_exception_int_div_zero 0
	.end_amdhsa_kernel
	.section	.text._ZN7rocprim17ROCPRIM_400000_NS6detail17trampoline_kernelINS0_14default_configENS1_35radix_sort_onesweep_config_selectorIlNS0_10empty_typeEEEZZNS1_29radix_sort_onesweep_iterationIS3_Lb0EPKlPlPS5_SB_mNS0_19identity_decomposerENS1_16block_id_wrapperIjLb1EEEEE10hipError_tT1_PNSt15iterator_traitsISG_E10value_typeET2_T3_PNSH_ISM_E10value_typeET4_T5_PSR_SS_PNS1_23onesweep_lookback_stateEbbT6_jjT7_P12ihipStream_tbENKUlT_T0_SG_SL_E_clIS9_SA_SB_SB_EEDaSZ_S10_SG_SL_EUlSZ_E_NS1_11comp_targetILNS1_3genE2ELNS1_11target_archE906ELNS1_3gpuE6ELNS1_3repE0EEENS1_47radix_sort_onesweep_sort_config_static_selectorELNS0_4arch9wavefront6targetE0EEEvSG_,"axG",@progbits,_ZN7rocprim17ROCPRIM_400000_NS6detail17trampoline_kernelINS0_14default_configENS1_35radix_sort_onesweep_config_selectorIlNS0_10empty_typeEEEZZNS1_29radix_sort_onesweep_iterationIS3_Lb0EPKlPlPS5_SB_mNS0_19identity_decomposerENS1_16block_id_wrapperIjLb1EEEEE10hipError_tT1_PNSt15iterator_traitsISG_E10value_typeET2_T3_PNSH_ISM_E10value_typeET4_T5_PSR_SS_PNS1_23onesweep_lookback_stateEbbT6_jjT7_P12ihipStream_tbENKUlT_T0_SG_SL_E_clIS9_SA_SB_SB_EEDaSZ_S10_SG_SL_EUlSZ_E_NS1_11comp_targetILNS1_3genE2ELNS1_11target_archE906ELNS1_3gpuE6ELNS1_3repE0EEENS1_47radix_sort_onesweep_sort_config_static_selectorELNS0_4arch9wavefront6targetE0EEEvSG_,comdat
.Lfunc_end1210:
	.size	_ZN7rocprim17ROCPRIM_400000_NS6detail17trampoline_kernelINS0_14default_configENS1_35radix_sort_onesweep_config_selectorIlNS0_10empty_typeEEEZZNS1_29radix_sort_onesweep_iterationIS3_Lb0EPKlPlPS5_SB_mNS0_19identity_decomposerENS1_16block_id_wrapperIjLb1EEEEE10hipError_tT1_PNSt15iterator_traitsISG_E10value_typeET2_T3_PNSH_ISM_E10value_typeET4_T5_PSR_SS_PNS1_23onesweep_lookback_stateEbbT6_jjT7_P12ihipStream_tbENKUlT_T0_SG_SL_E_clIS9_SA_SB_SB_EEDaSZ_S10_SG_SL_EUlSZ_E_NS1_11comp_targetILNS1_3genE2ELNS1_11target_archE906ELNS1_3gpuE6ELNS1_3repE0EEENS1_47radix_sort_onesweep_sort_config_static_selectorELNS0_4arch9wavefront6targetE0EEEvSG_, .Lfunc_end1210-_ZN7rocprim17ROCPRIM_400000_NS6detail17trampoline_kernelINS0_14default_configENS1_35radix_sort_onesweep_config_selectorIlNS0_10empty_typeEEEZZNS1_29radix_sort_onesweep_iterationIS3_Lb0EPKlPlPS5_SB_mNS0_19identity_decomposerENS1_16block_id_wrapperIjLb1EEEEE10hipError_tT1_PNSt15iterator_traitsISG_E10value_typeET2_T3_PNSH_ISM_E10value_typeET4_T5_PSR_SS_PNS1_23onesweep_lookback_stateEbbT6_jjT7_P12ihipStream_tbENKUlT_T0_SG_SL_E_clIS9_SA_SB_SB_EEDaSZ_S10_SG_SL_EUlSZ_E_NS1_11comp_targetILNS1_3genE2ELNS1_11target_archE906ELNS1_3gpuE6ELNS1_3repE0EEENS1_47radix_sort_onesweep_sort_config_static_selectorELNS0_4arch9wavefront6targetE0EEEvSG_
                                        ; -- End function
	.set _ZN7rocprim17ROCPRIM_400000_NS6detail17trampoline_kernelINS0_14default_configENS1_35radix_sort_onesweep_config_selectorIlNS0_10empty_typeEEEZZNS1_29radix_sort_onesweep_iterationIS3_Lb0EPKlPlPS5_SB_mNS0_19identity_decomposerENS1_16block_id_wrapperIjLb1EEEEE10hipError_tT1_PNSt15iterator_traitsISG_E10value_typeET2_T3_PNSH_ISM_E10value_typeET4_T5_PSR_SS_PNS1_23onesweep_lookback_stateEbbT6_jjT7_P12ihipStream_tbENKUlT_T0_SG_SL_E_clIS9_SA_SB_SB_EEDaSZ_S10_SG_SL_EUlSZ_E_NS1_11comp_targetILNS1_3genE2ELNS1_11target_archE906ELNS1_3gpuE6ELNS1_3repE0EEENS1_47radix_sort_onesweep_sort_config_static_selectorELNS0_4arch9wavefront6targetE0EEEvSG_.num_vgpr, 0
	.set _ZN7rocprim17ROCPRIM_400000_NS6detail17trampoline_kernelINS0_14default_configENS1_35radix_sort_onesweep_config_selectorIlNS0_10empty_typeEEEZZNS1_29radix_sort_onesweep_iterationIS3_Lb0EPKlPlPS5_SB_mNS0_19identity_decomposerENS1_16block_id_wrapperIjLb1EEEEE10hipError_tT1_PNSt15iterator_traitsISG_E10value_typeET2_T3_PNSH_ISM_E10value_typeET4_T5_PSR_SS_PNS1_23onesweep_lookback_stateEbbT6_jjT7_P12ihipStream_tbENKUlT_T0_SG_SL_E_clIS9_SA_SB_SB_EEDaSZ_S10_SG_SL_EUlSZ_E_NS1_11comp_targetILNS1_3genE2ELNS1_11target_archE906ELNS1_3gpuE6ELNS1_3repE0EEENS1_47radix_sort_onesweep_sort_config_static_selectorELNS0_4arch9wavefront6targetE0EEEvSG_.num_agpr, 0
	.set _ZN7rocprim17ROCPRIM_400000_NS6detail17trampoline_kernelINS0_14default_configENS1_35radix_sort_onesweep_config_selectorIlNS0_10empty_typeEEEZZNS1_29radix_sort_onesweep_iterationIS3_Lb0EPKlPlPS5_SB_mNS0_19identity_decomposerENS1_16block_id_wrapperIjLb1EEEEE10hipError_tT1_PNSt15iterator_traitsISG_E10value_typeET2_T3_PNSH_ISM_E10value_typeET4_T5_PSR_SS_PNS1_23onesweep_lookback_stateEbbT6_jjT7_P12ihipStream_tbENKUlT_T0_SG_SL_E_clIS9_SA_SB_SB_EEDaSZ_S10_SG_SL_EUlSZ_E_NS1_11comp_targetILNS1_3genE2ELNS1_11target_archE906ELNS1_3gpuE6ELNS1_3repE0EEENS1_47radix_sort_onesweep_sort_config_static_selectorELNS0_4arch9wavefront6targetE0EEEvSG_.numbered_sgpr, 0
	.set _ZN7rocprim17ROCPRIM_400000_NS6detail17trampoline_kernelINS0_14default_configENS1_35radix_sort_onesweep_config_selectorIlNS0_10empty_typeEEEZZNS1_29radix_sort_onesweep_iterationIS3_Lb0EPKlPlPS5_SB_mNS0_19identity_decomposerENS1_16block_id_wrapperIjLb1EEEEE10hipError_tT1_PNSt15iterator_traitsISG_E10value_typeET2_T3_PNSH_ISM_E10value_typeET4_T5_PSR_SS_PNS1_23onesweep_lookback_stateEbbT6_jjT7_P12ihipStream_tbENKUlT_T0_SG_SL_E_clIS9_SA_SB_SB_EEDaSZ_S10_SG_SL_EUlSZ_E_NS1_11comp_targetILNS1_3genE2ELNS1_11target_archE906ELNS1_3gpuE6ELNS1_3repE0EEENS1_47radix_sort_onesweep_sort_config_static_selectorELNS0_4arch9wavefront6targetE0EEEvSG_.num_named_barrier, 0
	.set _ZN7rocprim17ROCPRIM_400000_NS6detail17trampoline_kernelINS0_14default_configENS1_35radix_sort_onesweep_config_selectorIlNS0_10empty_typeEEEZZNS1_29radix_sort_onesweep_iterationIS3_Lb0EPKlPlPS5_SB_mNS0_19identity_decomposerENS1_16block_id_wrapperIjLb1EEEEE10hipError_tT1_PNSt15iterator_traitsISG_E10value_typeET2_T3_PNSH_ISM_E10value_typeET4_T5_PSR_SS_PNS1_23onesweep_lookback_stateEbbT6_jjT7_P12ihipStream_tbENKUlT_T0_SG_SL_E_clIS9_SA_SB_SB_EEDaSZ_S10_SG_SL_EUlSZ_E_NS1_11comp_targetILNS1_3genE2ELNS1_11target_archE906ELNS1_3gpuE6ELNS1_3repE0EEENS1_47radix_sort_onesweep_sort_config_static_selectorELNS0_4arch9wavefront6targetE0EEEvSG_.private_seg_size, 0
	.set _ZN7rocprim17ROCPRIM_400000_NS6detail17trampoline_kernelINS0_14default_configENS1_35radix_sort_onesweep_config_selectorIlNS0_10empty_typeEEEZZNS1_29radix_sort_onesweep_iterationIS3_Lb0EPKlPlPS5_SB_mNS0_19identity_decomposerENS1_16block_id_wrapperIjLb1EEEEE10hipError_tT1_PNSt15iterator_traitsISG_E10value_typeET2_T3_PNSH_ISM_E10value_typeET4_T5_PSR_SS_PNS1_23onesweep_lookback_stateEbbT6_jjT7_P12ihipStream_tbENKUlT_T0_SG_SL_E_clIS9_SA_SB_SB_EEDaSZ_S10_SG_SL_EUlSZ_E_NS1_11comp_targetILNS1_3genE2ELNS1_11target_archE906ELNS1_3gpuE6ELNS1_3repE0EEENS1_47radix_sort_onesweep_sort_config_static_selectorELNS0_4arch9wavefront6targetE0EEEvSG_.uses_vcc, 0
	.set _ZN7rocprim17ROCPRIM_400000_NS6detail17trampoline_kernelINS0_14default_configENS1_35radix_sort_onesweep_config_selectorIlNS0_10empty_typeEEEZZNS1_29radix_sort_onesweep_iterationIS3_Lb0EPKlPlPS5_SB_mNS0_19identity_decomposerENS1_16block_id_wrapperIjLb1EEEEE10hipError_tT1_PNSt15iterator_traitsISG_E10value_typeET2_T3_PNSH_ISM_E10value_typeET4_T5_PSR_SS_PNS1_23onesweep_lookback_stateEbbT6_jjT7_P12ihipStream_tbENKUlT_T0_SG_SL_E_clIS9_SA_SB_SB_EEDaSZ_S10_SG_SL_EUlSZ_E_NS1_11comp_targetILNS1_3genE2ELNS1_11target_archE906ELNS1_3gpuE6ELNS1_3repE0EEENS1_47radix_sort_onesweep_sort_config_static_selectorELNS0_4arch9wavefront6targetE0EEEvSG_.uses_flat_scratch, 0
	.set _ZN7rocprim17ROCPRIM_400000_NS6detail17trampoline_kernelINS0_14default_configENS1_35radix_sort_onesweep_config_selectorIlNS0_10empty_typeEEEZZNS1_29radix_sort_onesweep_iterationIS3_Lb0EPKlPlPS5_SB_mNS0_19identity_decomposerENS1_16block_id_wrapperIjLb1EEEEE10hipError_tT1_PNSt15iterator_traitsISG_E10value_typeET2_T3_PNSH_ISM_E10value_typeET4_T5_PSR_SS_PNS1_23onesweep_lookback_stateEbbT6_jjT7_P12ihipStream_tbENKUlT_T0_SG_SL_E_clIS9_SA_SB_SB_EEDaSZ_S10_SG_SL_EUlSZ_E_NS1_11comp_targetILNS1_3genE2ELNS1_11target_archE906ELNS1_3gpuE6ELNS1_3repE0EEENS1_47radix_sort_onesweep_sort_config_static_selectorELNS0_4arch9wavefront6targetE0EEEvSG_.has_dyn_sized_stack, 0
	.set _ZN7rocprim17ROCPRIM_400000_NS6detail17trampoline_kernelINS0_14default_configENS1_35radix_sort_onesweep_config_selectorIlNS0_10empty_typeEEEZZNS1_29radix_sort_onesweep_iterationIS3_Lb0EPKlPlPS5_SB_mNS0_19identity_decomposerENS1_16block_id_wrapperIjLb1EEEEE10hipError_tT1_PNSt15iterator_traitsISG_E10value_typeET2_T3_PNSH_ISM_E10value_typeET4_T5_PSR_SS_PNS1_23onesweep_lookback_stateEbbT6_jjT7_P12ihipStream_tbENKUlT_T0_SG_SL_E_clIS9_SA_SB_SB_EEDaSZ_S10_SG_SL_EUlSZ_E_NS1_11comp_targetILNS1_3genE2ELNS1_11target_archE906ELNS1_3gpuE6ELNS1_3repE0EEENS1_47radix_sort_onesweep_sort_config_static_selectorELNS0_4arch9wavefront6targetE0EEEvSG_.has_recursion, 0
	.set _ZN7rocprim17ROCPRIM_400000_NS6detail17trampoline_kernelINS0_14default_configENS1_35radix_sort_onesweep_config_selectorIlNS0_10empty_typeEEEZZNS1_29radix_sort_onesweep_iterationIS3_Lb0EPKlPlPS5_SB_mNS0_19identity_decomposerENS1_16block_id_wrapperIjLb1EEEEE10hipError_tT1_PNSt15iterator_traitsISG_E10value_typeET2_T3_PNSH_ISM_E10value_typeET4_T5_PSR_SS_PNS1_23onesweep_lookback_stateEbbT6_jjT7_P12ihipStream_tbENKUlT_T0_SG_SL_E_clIS9_SA_SB_SB_EEDaSZ_S10_SG_SL_EUlSZ_E_NS1_11comp_targetILNS1_3genE2ELNS1_11target_archE906ELNS1_3gpuE6ELNS1_3repE0EEENS1_47radix_sort_onesweep_sort_config_static_selectorELNS0_4arch9wavefront6targetE0EEEvSG_.has_indirect_call, 0
	.section	.AMDGPU.csdata,"",@progbits
; Kernel info:
; codeLenInByte = 0
; TotalNumSgprs: 0
; NumVgprs: 0
; ScratchSize: 0
; MemoryBound: 0
; FloatMode: 240
; IeeeMode: 1
; LDSByteSize: 0 bytes/workgroup (compile time only)
; SGPRBlocks: 0
; VGPRBlocks: 0
; NumSGPRsForWavesPerEU: 1
; NumVGPRsForWavesPerEU: 1
; NamedBarCnt: 0
; Occupancy: 16
; WaveLimiterHint : 0
; COMPUTE_PGM_RSRC2:SCRATCH_EN: 0
; COMPUTE_PGM_RSRC2:USER_SGPR: 2
; COMPUTE_PGM_RSRC2:TRAP_HANDLER: 0
; COMPUTE_PGM_RSRC2:TGID_X_EN: 1
; COMPUTE_PGM_RSRC2:TGID_Y_EN: 0
; COMPUTE_PGM_RSRC2:TGID_Z_EN: 0
; COMPUTE_PGM_RSRC2:TIDIG_COMP_CNT: 0
	.section	.text._ZN7rocprim17ROCPRIM_400000_NS6detail17trampoline_kernelINS0_14default_configENS1_35radix_sort_onesweep_config_selectorIlNS0_10empty_typeEEEZZNS1_29radix_sort_onesweep_iterationIS3_Lb0EPKlPlPS5_SB_mNS0_19identity_decomposerENS1_16block_id_wrapperIjLb1EEEEE10hipError_tT1_PNSt15iterator_traitsISG_E10value_typeET2_T3_PNSH_ISM_E10value_typeET4_T5_PSR_SS_PNS1_23onesweep_lookback_stateEbbT6_jjT7_P12ihipStream_tbENKUlT_T0_SG_SL_E_clIS9_SA_SB_SB_EEDaSZ_S10_SG_SL_EUlSZ_E_NS1_11comp_targetILNS1_3genE4ELNS1_11target_archE910ELNS1_3gpuE8ELNS1_3repE0EEENS1_47radix_sort_onesweep_sort_config_static_selectorELNS0_4arch9wavefront6targetE0EEEvSG_,"axG",@progbits,_ZN7rocprim17ROCPRIM_400000_NS6detail17trampoline_kernelINS0_14default_configENS1_35radix_sort_onesweep_config_selectorIlNS0_10empty_typeEEEZZNS1_29radix_sort_onesweep_iterationIS3_Lb0EPKlPlPS5_SB_mNS0_19identity_decomposerENS1_16block_id_wrapperIjLb1EEEEE10hipError_tT1_PNSt15iterator_traitsISG_E10value_typeET2_T3_PNSH_ISM_E10value_typeET4_T5_PSR_SS_PNS1_23onesweep_lookback_stateEbbT6_jjT7_P12ihipStream_tbENKUlT_T0_SG_SL_E_clIS9_SA_SB_SB_EEDaSZ_S10_SG_SL_EUlSZ_E_NS1_11comp_targetILNS1_3genE4ELNS1_11target_archE910ELNS1_3gpuE8ELNS1_3repE0EEENS1_47radix_sort_onesweep_sort_config_static_selectorELNS0_4arch9wavefront6targetE0EEEvSG_,comdat
	.protected	_ZN7rocprim17ROCPRIM_400000_NS6detail17trampoline_kernelINS0_14default_configENS1_35radix_sort_onesweep_config_selectorIlNS0_10empty_typeEEEZZNS1_29radix_sort_onesweep_iterationIS3_Lb0EPKlPlPS5_SB_mNS0_19identity_decomposerENS1_16block_id_wrapperIjLb1EEEEE10hipError_tT1_PNSt15iterator_traitsISG_E10value_typeET2_T3_PNSH_ISM_E10value_typeET4_T5_PSR_SS_PNS1_23onesweep_lookback_stateEbbT6_jjT7_P12ihipStream_tbENKUlT_T0_SG_SL_E_clIS9_SA_SB_SB_EEDaSZ_S10_SG_SL_EUlSZ_E_NS1_11comp_targetILNS1_3genE4ELNS1_11target_archE910ELNS1_3gpuE8ELNS1_3repE0EEENS1_47radix_sort_onesweep_sort_config_static_selectorELNS0_4arch9wavefront6targetE0EEEvSG_ ; -- Begin function _ZN7rocprim17ROCPRIM_400000_NS6detail17trampoline_kernelINS0_14default_configENS1_35radix_sort_onesweep_config_selectorIlNS0_10empty_typeEEEZZNS1_29radix_sort_onesweep_iterationIS3_Lb0EPKlPlPS5_SB_mNS0_19identity_decomposerENS1_16block_id_wrapperIjLb1EEEEE10hipError_tT1_PNSt15iterator_traitsISG_E10value_typeET2_T3_PNSH_ISM_E10value_typeET4_T5_PSR_SS_PNS1_23onesweep_lookback_stateEbbT6_jjT7_P12ihipStream_tbENKUlT_T0_SG_SL_E_clIS9_SA_SB_SB_EEDaSZ_S10_SG_SL_EUlSZ_E_NS1_11comp_targetILNS1_3genE4ELNS1_11target_archE910ELNS1_3gpuE8ELNS1_3repE0EEENS1_47radix_sort_onesweep_sort_config_static_selectorELNS0_4arch9wavefront6targetE0EEEvSG_
	.globl	_ZN7rocprim17ROCPRIM_400000_NS6detail17trampoline_kernelINS0_14default_configENS1_35radix_sort_onesweep_config_selectorIlNS0_10empty_typeEEEZZNS1_29radix_sort_onesweep_iterationIS3_Lb0EPKlPlPS5_SB_mNS0_19identity_decomposerENS1_16block_id_wrapperIjLb1EEEEE10hipError_tT1_PNSt15iterator_traitsISG_E10value_typeET2_T3_PNSH_ISM_E10value_typeET4_T5_PSR_SS_PNS1_23onesweep_lookback_stateEbbT6_jjT7_P12ihipStream_tbENKUlT_T0_SG_SL_E_clIS9_SA_SB_SB_EEDaSZ_S10_SG_SL_EUlSZ_E_NS1_11comp_targetILNS1_3genE4ELNS1_11target_archE910ELNS1_3gpuE8ELNS1_3repE0EEENS1_47radix_sort_onesweep_sort_config_static_selectorELNS0_4arch9wavefront6targetE0EEEvSG_
	.p2align	8
	.type	_ZN7rocprim17ROCPRIM_400000_NS6detail17trampoline_kernelINS0_14default_configENS1_35radix_sort_onesweep_config_selectorIlNS0_10empty_typeEEEZZNS1_29radix_sort_onesweep_iterationIS3_Lb0EPKlPlPS5_SB_mNS0_19identity_decomposerENS1_16block_id_wrapperIjLb1EEEEE10hipError_tT1_PNSt15iterator_traitsISG_E10value_typeET2_T3_PNSH_ISM_E10value_typeET4_T5_PSR_SS_PNS1_23onesweep_lookback_stateEbbT6_jjT7_P12ihipStream_tbENKUlT_T0_SG_SL_E_clIS9_SA_SB_SB_EEDaSZ_S10_SG_SL_EUlSZ_E_NS1_11comp_targetILNS1_3genE4ELNS1_11target_archE910ELNS1_3gpuE8ELNS1_3repE0EEENS1_47radix_sort_onesweep_sort_config_static_selectorELNS0_4arch9wavefront6targetE0EEEvSG_,@function
_ZN7rocprim17ROCPRIM_400000_NS6detail17trampoline_kernelINS0_14default_configENS1_35radix_sort_onesweep_config_selectorIlNS0_10empty_typeEEEZZNS1_29radix_sort_onesweep_iterationIS3_Lb0EPKlPlPS5_SB_mNS0_19identity_decomposerENS1_16block_id_wrapperIjLb1EEEEE10hipError_tT1_PNSt15iterator_traitsISG_E10value_typeET2_T3_PNSH_ISM_E10value_typeET4_T5_PSR_SS_PNS1_23onesweep_lookback_stateEbbT6_jjT7_P12ihipStream_tbENKUlT_T0_SG_SL_E_clIS9_SA_SB_SB_EEDaSZ_S10_SG_SL_EUlSZ_E_NS1_11comp_targetILNS1_3genE4ELNS1_11target_archE910ELNS1_3gpuE8ELNS1_3repE0EEENS1_47radix_sort_onesweep_sort_config_static_selectorELNS0_4arch9wavefront6targetE0EEEvSG_: ; @_ZN7rocprim17ROCPRIM_400000_NS6detail17trampoline_kernelINS0_14default_configENS1_35radix_sort_onesweep_config_selectorIlNS0_10empty_typeEEEZZNS1_29radix_sort_onesweep_iterationIS3_Lb0EPKlPlPS5_SB_mNS0_19identity_decomposerENS1_16block_id_wrapperIjLb1EEEEE10hipError_tT1_PNSt15iterator_traitsISG_E10value_typeET2_T3_PNSH_ISM_E10value_typeET4_T5_PSR_SS_PNS1_23onesweep_lookback_stateEbbT6_jjT7_P12ihipStream_tbENKUlT_T0_SG_SL_E_clIS9_SA_SB_SB_EEDaSZ_S10_SG_SL_EUlSZ_E_NS1_11comp_targetILNS1_3genE4ELNS1_11target_archE910ELNS1_3gpuE8ELNS1_3repE0EEENS1_47radix_sort_onesweep_sort_config_static_selectorELNS0_4arch9wavefront6targetE0EEEvSG_
; %bb.0:
	.section	.rodata,"a",@progbits
	.p2align	6, 0x0
	.amdhsa_kernel _ZN7rocprim17ROCPRIM_400000_NS6detail17trampoline_kernelINS0_14default_configENS1_35radix_sort_onesweep_config_selectorIlNS0_10empty_typeEEEZZNS1_29radix_sort_onesweep_iterationIS3_Lb0EPKlPlPS5_SB_mNS0_19identity_decomposerENS1_16block_id_wrapperIjLb1EEEEE10hipError_tT1_PNSt15iterator_traitsISG_E10value_typeET2_T3_PNSH_ISM_E10value_typeET4_T5_PSR_SS_PNS1_23onesweep_lookback_stateEbbT6_jjT7_P12ihipStream_tbENKUlT_T0_SG_SL_E_clIS9_SA_SB_SB_EEDaSZ_S10_SG_SL_EUlSZ_E_NS1_11comp_targetILNS1_3genE4ELNS1_11target_archE910ELNS1_3gpuE8ELNS1_3repE0EEENS1_47radix_sort_onesweep_sort_config_static_selectorELNS0_4arch9wavefront6targetE0EEEvSG_
		.amdhsa_group_segment_fixed_size 0
		.amdhsa_private_segment_fixed_size 0
		.amdhsa_kernarg_size 88
		.amdhsa_user_sgpr_count 2
		.amdhsa_user_sgpr_dispatch_ptr 0
		.amdhsa_user_sgpr_queue_ptr 0
		.amdhsa_user_sgpr_kernarg_segment_ptr 1
		.amdhsa_user_sgpr_dispatch_id 0
		.amdhsa_user_sgpr_kernarg_preload_length 0
		.amdhsa_user_sgpr_kernarg_preload_offset 0
		.amdhsa_user_sgpr_private_segment_size 0
		.amdhsa_wavefront_size32 1
		.amdhsa_uses_dynamic_stack 0
		.amdhsa_enable_private_segment 0
		.amdhsa_system_sgpr_workgroup_id_x 1
		.amdhsa_system_sgpr_workgroup_id_y 0
		.amdhsa_system_sgpr_workgroup_id_z 0
		.amdhsa_system_sgpr_workgroup_info 0
		.amdhsa_system_vgpr_workitem_id 0
		.amdhsa_next_free_vgpr 1
		.amdhsa_next_free_sgpr 1
		.amdhsa_named_barrier_count 0
		.amdhsa_reserve_vcc 0
		.amdhsa_float_round_mode_32 0
		.amdhsa_float_round_mode_16_64 0
		.amdhsa_float_denorm_mode_32 3
		.amdhsa_float_denorm_mode_16_64 3
		.amdhsa_fp16_overflow 0
		.amdhsa_memory_ordered 1
		.amdhsa_forward_progress 1
		.amdhsa_inst_pref_size 0
		.amdhsa_round_robin_scheduling 0
		.amdhsa_exception_fp_ieee_invalid_op 0
		.amdhsa_exception_fp_denorm_src 0
		.amdhsa_exception_fp_ieee_div_zero 0
		.amdhsa_exception_fp_ieee_overflow 0
		.amdhsa_exception_fp_ieee_underflow 0
		.amdhsa_exception_fp_ieee_inexact 0
		.amdhsa_exception_int_div_zero 0
	.end_amdhsa_kernel
	.section	.text._ZN7rocprim17ROCPRIM_400000_NS6detail17trampoline_kernelINS0_14default_configENS1_35radix_sort_onesweep_config_selectorIlNS0_10empty_typeEEEZZNS1_29radix_sort_onesweep_iterationIS3_Lb0EPKlPlPS5_SB_mNS0_19identity_decomposerENS1_16block_id_wrapperIjLb1EEEEE10hipError_tT1_PNSt15iterator_traitsISG_E10value_typeET2_T3_PNSH_ISM_E10value_typeET4_T5_PSR_SS_PNS1_23onesweep_lookback_stateEbbT6_jjT7_P12ihipStream_tbENKUlT_T0_SG_SL_E_clIS9_SA_SB_SB_EEDaSZ_S10_SG_SL_EUlSZ_E_NS1_11comp_targetILNS1_3genE4ELNS1_11target_archE910ELNS1_3gpuE8ELNS1_3repE0EEENS1_47radix_sort_onesweep_sort_config_static_selectorELNS0_4arch9wavefront6targetE0EEEvSG_,"axG",@progbits,_ZN7rocprim17ROCPRIM_400000_NS6detail17trampoline_kernelINS0_14default_configENS1_35radix_sort_onesweep_config_selectorIlNS0_10empty_typeEEEZZNS1_29radix_sort_onesweep_iterationIS3_Lb0EPKlPlPS5_SB_mNS0_19identity_decomposerENS1_16block_id_wrapperIjLb1EEEEE10hipError_tT1_PNSt15iterator_traitsISG_E10value_typeET2_T3_PNSH_ISM_E10value_typeET4_T5_PSR_SS_PNS1_23onesweep_lookback_stateEbbT6_jjT7_P12ihipStream_tbENKUlT_T0_SG_SL_E_clIS9_SA_SB_SB_EEDaSZ_S10_SG_SL_EUlSZ_E_NS1_11comp_targetILNS1_3genE4ELNS1_11target_archE910ELNS1_3gpuE8ELNS1_3repE0EEENS1_47radix_sort_onesweep_sort_config_static_selectorELNS0_4arch9wavefront6targetE0EEEvSG_,comdat
.Lfunc_end1211:
	.size	_ZN7rocprim17ROCPRIM_400000_NS6detail17trampoline_kernelINS0_14default_configENS1_35radix_sort_onesweep_config_selectorIlNS0_10empty_typeEEEZZNS1_29radix_sort_onesweep_iterationIS3_Lb0EPKlPlPS5_SB_mNS0_19identity_decomposerENS1_16block_id_wrapperIjLb1EEEEE10hipError_tT1_PNSt15iterator_traitsISG_E10value_typeET2_T3_PNSH_ISM_E10value_typeET4_T5_PSR_SS_PNS1_23onesweep_lookback_stateEbbT6_jjT7_P12ihipStream_tbENKUlT_T0_SG_SL_E_clIS9_SA_SB_SB_EEDaSZ_S10_SG_SL_EUlSZ_E_NS1_11comp_targetILNS1_3genE4ELNS1_11target_archE910ELNS1_3gpuE8ELNS1_3repE0EEENS1_47radix_sort_onesweep_sort_config_static_selectorELNS0_4arch9wavefront6targetE0EEEvSG_, .Lfunc_end1211-_ZN7rocprim17ROCPRIM_400000_NS6detail17trampoline_kernelINS0_14default_configENS1_35radix_sort_onesweep_config_selectorIlNS0_10empty_typeEEEZZNS1_29radix_sort_onesweep_iterationIS3_Lb0EPKlPlPS5_SB_mNS0_19identity_decomposerENS1_16block_id_wrapperIjLb1EEEEE10hipError_tT1_PNSt15iterator_traitsISG_E10value_typeET2_T3_PNSH_ISM_E10value_typeET4_T5_PSR_SS_PNS1_23onesweep_lookback_stateEbbT6_jjT7_P12ihipStream_tbENKUlT_T0_SG_SL_E_clIS9_SA_SB_SB_EEDaSZ_S10_SG_SL_EUlSZ_E_NS1_11comp_targetILNS1_3genE4ELNS1_11target_archE910ELNS1_3gpuE8ELNS1_3repE0EEENS1_47radix_sort_onesweep_sort_config_static_selectorELNS0_4arch9wavefront6targetE0EEEvSG_
                                        ; -- End function
	.set _ZN7rocprim17ROCPRIM_400000_NS6detail17trampoline_kernelINS0_14default_configENS1_35radix_sort_onesweep_config_selectorIlNS0_10empty_typeEEEZZNS1_29radix_sort_onesweep_iterationIS3_Lb0EPKlPlPS5_SB_mNS0_19identity_decomposerENS1_16block_id_wrapperIjLb1EEEEE10hipError_tT1_PNSt15iterator_traitsISG_E10value_typeET2_T3_PNSH_ISM_E10value_typeET4_T5_PSR_SS_PNS1_23onesweep_lookback_stateEbbT6_jjT7_P12ihipStream_tbENKUlT_T0_SG_SL_E_clIS9_SA_SB_SB_EEDaSZ_S10_SG_SL_EUlSZ_E_NS1_11comp_targetILNS1_3genE4ELNS1_11target_archE910ELNS1_3gpuE8ELNS1_3repE0EEENS1_47radix_sort_onesweep_sort_config_static_selectorELNS0_4arch9wavefront6targetE0EEEvSG_.num_vgpr, 0
	.set _ZN7rocprim17ROCPRIM_400000_NS6detail17trampoline_kernelINS0_14default_configENS1_35radix_sort_onesweep_config_selectorIlNS0_10empty_typeEEEZZNS1_29radix_sort_onesweep_iterationIS3_Lb0EPKlPlPS5_SB_mNS0_19identity_decomposerENS1_16block_id_wrapperIjLb1EEEEE10hipError_tT1_PNSt15iterator_traitsISG_E10value_typeET2_T3_PNSH_ISM_E10value_typeET4_T5_PSR_SS_PNS1_23onesweep_lookback_stateEbbT6_jjT7_P12ihipStream_tbENKUlT_T0_SG_SL_E_clIS9_SA_SB_SB_EEDaSZ_S10_SG_SL_EUlSZ_E_NS1_11comp_targetILNS1_3genE4ELNS1_11target_archE910ELNS1_3gpuE8ELNS1_3repE0EEENS1_47radix_sort_onesweep_sort_config_static_selectorELNS0_4arch9wavefront6targetE0EEEvSG_.num_agpr, 0
	.set _ZN7rocprim17ROCPRIM_400000_NS6detail17trampoline_kernelINS0_14default_configENS1_35radix_sort_onesweep_config_selectorIlNS0_10empty_typeEEEZZNS1_29radix_sort_onesweep_iterationIS3_Lb0EPKlPlPS5_SB_mNS0_19identity_decomposerENS1_16block_id_wrapperIjLb1EEEEE10hipError_tT1_PNSt15iterator_traitsISG_E10value_typeET2_T3_PNSH_ISM_E10value_typeET4_T5_PSR_SS_PNS1_23onesweep_lookback_stateEbbT6_jjT7_P12ihipStream_tbENKUlT_T0_SG_SL_E_clIS9_SA_SB_SB_EEDaSZ_S10_SG_SL_EUlSZ_E_NS1_11comp_targetILNS1_3genE4ELNS1_11target_archE910ELNS1_3gpuE8ELNS1_3repE0EEENS1_47radix_sort_onesweep_sort_config_static_selectorELNS0_4arch9wavefront6targetE0EEEvSG_.numbered_sgpr, 0
	.set _ZN7rocprim17ROCPRIM_400000_NS6detail17trampoline_kernelINS0_14default_configENS1_35radix_sort_onesweep_config_selectorIlNS0_10empty_typeEEEZZNS1_29radix_sort_onesweep_iterationIS3_Lb0EPKlPlPS5_SB_mNS0_19identity_decomposerENS1_16block_id_wrapperIjLb1EEEEE10hipError_tT1_PNSt15iterator_traitsISG_E10value_typeET2_T3_PNSH_ISM_E10value_typeET4_T5_PSR_SS_PNS1_23onesweep_lookback_stateEbbT6_jjT7_P12ihipStream_tbENKUlT_T0_SG_SL_E_clIS9_SA_SB_SB_EEDaSZ_S10_SG_SL_EUlSZ_E_NS1_11comp_targetILNS1_3genE4ELNS1_11target_archE910ELNS1_3gpuE8ELNS1_3repE0EEENS1_47radix_sort_onesweep_sort_config_static_selectorELNS0_4arch9wavefront6targetE0EEEvSG_.num_named_barrier, 0
	.set _ZN7rocprim17ROCPRIM_400000_NS6detail17trampoline_kernelINS0_14default_configENS1_35radix_sort_onesweep_config_selectorIlNS0_10empty_typeEEEZZNS1_29radix_sort_onesweep_iterationIS3_Lb0EPKlPlPS5_SB_mNS0_19identity_decomposerENS1_16block_id_wrapperIjLb1EEEEE10hipError_tT1_PNSt15iterator_traitsISG_E10value_typeET2_T3_PNSH_ISM_E10value_typeET4_T5_PSR_SS_PNS1_23onesweep_lookback_stateEbbT6_jjT7_P12ihipStream_tbENKUlT_T0_SG_SL_E_clIS9_SA_SB_SB_EEDaSZ_S10_SG_SL_EUlSZ_E_NS1_11comp_targetILNS1_3genE4ELNS1_11target_archE910ELNS1_3gpuE8ELNS1_3repE0EEENS1_47radix_sort_onesweep_sort_config_static_selectorELNS0_4arch9wavefront6targetE0EEEvSG_.private_seg_size, 0
	.set _ZN7rocprim17ROCPRIM_400000_NS6detail17trampoline_kernelINS0_14default_configENS1_35radix_sort_onesweep_config_selectorIlNS0_10empty_typeEEEZZNS1_29radix_sort_onesweep_iterationIS3_Lb0EPKlPlPS5_SB_mNS0_19identity_decomposerENS1_16block_id_wrapperIjLb1EEEEE10hipError_tT1_PNSt15iterator_traitsISG_E10value_typeET2_T3_PNSH_ISM_E10value_typeET4_T5_PSR_SS_PNS1_23onesweep_lookback_stateEbbT6_jjT7_P12ihipStream_tbENKUlT_T0_SG_SL_E_clIS9_SA_SB_SB_EEDaSZ_S10_SG_SL_EUlSZ_E_NS1_11comp_targetILNS1_3genE4ELNS1_11target_archE910ELNS1_3gpuE8ELNS1_3repE0EEENS1_47radix_sort_onesweep_sort_config_static_selectorELNS0_4arch9wavefront6targetE0EEEvSG_.uses_vcc, 0
	.set _ZN7rocprim17ROCPRIM_400000_NS6detail17trampoline_kernelINS0_14default_configENS1_35radix_sort_onesweep_config_selectorIlNS0_10empty_typeEEEZZNS1_29radix_sort_onesweep_iterationIS3_Lb0EPKlPlPS5_SB_mNS0_19identity_decomposerENS1_16block_id_wrapperIjLb1EEEEE10hipError_tT1_PNSt15iterator_traitsISG_E10value_typeET2_T3_PNSH_ISM_E10value_typeET4_T5_PSR_SS_PNS1_23onesweep_lookback_stateEbbT6_jjT7_P12ihipStream_tbENKUlT_T0_SG_SL_E_clIS9_SA_SB_SB_EEDaSZ_S10_SG_SL_EUlSZ_E_NS1_11comp_targetILNS1_3genE4ELNS1_11target_archE910ELNS1_3gpuE8ELNS1_3repE0EEENS1_47radix_sort_onesweep_sort_config_static_selectorELNS0_4arch9wavefront6targetE0EEEvSG_.uses_flat_scratch, 0
	.set _ZN7rocprim17ROCPRIM_400000_NS6detail17trampoline_kernelINS0_14default_configENS1_35radix_sort_onesweep_config_selectorIlNS0_10empty_typeEEEZZNS1_29radix_sort_onesweep_iterationIS3_Lb0EPKlPlPS5_SB_mNS0_19identity_decomposerENS1_16block_id_wrapperIjLb1EEEEE10hipError_tT1_PNSt15iterator_traitsISG_E10value_typeET2_T3_PNSH_ISM_E10value_typeET4_T5_PSR_SS_PNS1_23onesweep_lookback_stateEbbT6_jjT7_P12ihipStream_tbENKUlT_T0_SG_SL_E_clIS9_SA_SB_SB_EEDaSZ_S10_SG_SL_EUlSZ_E_NS1_11comp_targetILNS1_3genE4ELNS1_11target_archE910ELNS1_3gpuE8ELNS1_3repE0EEENS1_47radix_sort_onesweep_sort_config_static_selectorELNS0_4arch9wavefront6targetE0EEEvSG_.has_dyn_sized_stack, 0
	.set _ZN7rocprim17ROCPRIM_400000_NS6detail17trampoline_kernelINS0_14default_configENS1_35radix_sort_onesweep_config_selectorIlNS0_10empty_typeEEEZZNS1_29radix_sort_onesweep_iterationIS3_Lb0EPKlPlPS5_SB_mNS0_19identity_decomposerENS1_16block_id_wrapperIjLb1EEEEE10hipError_tT1_PNSt15iterator_traitsISG_E10value_typeET2_T3_PNSH_ISM_E10value_typeET4_T5_PSR_SS_PNS1_23onesweep_lookback_stateEbbT6_jjT7_P12ihipStream_tbENKUlT_T0_SG_SL_E_clIS9_SA_SB_SB_EEDaSZ_S10_SG_SL_EUlSZ_E_NS1_11comp_targetILNS1_3genE4ELNS1_11target_archE910ELNS1_3gpuE8ELNS1_3repE0EEENS1_47radix_sort_onesweep_sort_config_static_selectorELNS0_4arch9wavefront6targetE0EEEvSG_.has_recursion, 0
	.set _ZN7rocprim17ROCPRIM_400000_NS6detail17trampoline_kernelINS0_14default_configENS1_35radix_sort_onesweep_config_selectorIlNS0_10empty_typeEEEZZNS1_29radix_sort_onesweep_iterationIS3_Lb0EPKlPlPS5_SB_mNS0_19identity_decomposerENS1_16block_id_wrapperIjLb1EEEEE10hipError_tT1_PNSt15iterator_traitsISG_E10value_typeET2_T3_PNSH_ISM_E10value_typeET4_T5_PSR_SS_PNS1_23onesweep_lookback_stateEbbT6_jjT7_P12ihipStream_tbENKUlT_T0_SG_SL_E_clIS9_SA_SB_SB_EEDaSZ_S10_SG_SL_EUlSZ_E_NS1_11comp_targetILNS1_3genE4ELNS1_11target_archE910ELNS1_3gpuE8ELNS1_3repE0EEENS1_47radix_sort_onesweep_sort_config_static_selectorELNS0_4arch9wavefront6targetE0EEEvSG_.has_indirect_call, 0
	.section	.AMDGPU.csdata,"",@progbits
; Kernel info:
; codeLenInByte = 0
; TotalNumSgprs: 0
; NumVgprs: 0
; ScratchSize: 0
; MemoryBound: 0
; FloatMode: 240
; IeeeMode: 1
; LDSByteSize: 0 bytes/workgroup (compile time only)
; SGPRBlocks: 0
; VGPRBlocks: 0
; NumSGPRsForWavesPerEU: 1
; NumVGPRsForWavesPerEU: 1
; NamedBarCnt: 0
; Occupancy: 16
; WaveLimiterHint : 0
; COMPUTE_PGM_RSRC2:SCRATCH_EN: 0
; COMPUTE_PGM_RSRC2:USER_SGPR: 2
; COMPUTE_PGM_RSRC2:TRAP_HANDLER: 0
; COMPUTE_PGM_RSRC2:TGID_X_EN: 1
; COMPUTE_PGM_RSRC2:TGID_Y_EN: 0
; COMPUTE_PGM_RSRC2:TGID_Z_EN: 0
; COMPUTE_PGM_RSRC2:TIDIG_COMP_CNT: 0
	.section	.text._ZN7rocprim17ROCPRIM_400000_NS6detail17trampoline_kernelINS0_14default_configENS1_35radix_sort_onesweep_config_selectorIlNS0_10empty_typeEEEZZNS1_29radix_sort_onesweep_iterationIS3_Lb0EPKlPlPS5_SB_mNS0_19identity_decomposerENS1_16block_id_wrapperIjLb1EEEEE10hipError_tT1_PNSt15iterator_traitsISG_E10value_typeET2_T3_PNSH_ISM_E10value_typeET4_T5_PSR_SS_PNS1_23onesweep_lookback_stateEbbT6_jjT7_P12ihipStream_tbENKUlT_T0_SG_SL_E_clIS9_SA_SB_SB_EEDaSZ_S10_SG_SL_EUlSZ_E_NS1_11comp_targetILNS1_3genE3ELNS1_11target_archE908ELNS1_3gpuE7ELNS1_3repE0EEENS1_47radix_sort_onesweep_sort_config_static_selectorELNS0_4arch9wavefront6targetE0EEEvSG_,"axG",@progbits,_ZN7rocprim17ROCPRIM_400000_NS6detail17trampoline_kernelINS0_14default_configENS1_35radix_sort_onesweep_config_selectorIlNS0_10empty_typeEEEZZNS1_29radix_sort_onesweep_iterationIS3_Lb0EPKlPlPS5_SB_mNS0_19identity_decomposerENS1_16block_id_wrapperIjLb1EEEEE10hipError_tT1_PNSt15iterator_traitsISG_E10value_typeET2_T3_PNSH_ISM_E10value_typeET4_T5_PSR_SS_PNS1_23onesweep_lookback_stateEbbT6_jjT7_P12ihipStream_tbENKUlT_T0_SG_SL_E_clIS9_SA_SB_SB_EEDaSZ_S10_SG_SL_EUlSZ_E_NS1_11comp_targetILNS1_3genE3ELNS1_11target_archE908ELNS1_3gpuE7ELNS1_3repE0EEENS1_47radix_sort_onesweep_sort_config_static_selectorELNS0_4arch9wavefront6targetE0EEEvSG_,comdat
	.protected	_ZN7rocprim17ROCPRIM_400000_NS6detail17trampoline_kernelINS0_14default_configENS1_35radix_sort_onesweep_config_selectorIlNS0_10empty_typeEEEZZNS1_29radix_sort_onesweep_iterationIS3_Lb0EPKlPlPS5_SB_mNS0_19identity_decomposerENS1_16block_id_wrapperIjLb1EEEEE10hipError_tT1_PNSt15iterator_traitsISG_E10value_typeET2_T3_PNSH_ISM_E10value_typeET4_T5_PSR_SS_PNS1_23onesweep_lookback_stateEbbT6_jjT7_P12ihipStream_tbENKUlT_T0_SG_SL_E_clIS9_SA_SB_SB_EEDaSZ_S10_SG_SL_EUlSZ_E_NS1_11comp_targetILNS1_3genE3ELNS1_11target_archE908ELNS1_3gpuE7ELNS1_3repE0EEENS1_47radix_sort_onesweep_sort_config_static_selectorELNS0_4arch9wavefront6targetE0EEEvSG_ ; -- Begin function _ZN7rocprim17ROCPRIM_400000_NS6detail17trampoline_kernelINS0_14default_configENS1_35radix_sort_onesweep_config_selectorIlNS0_10empty_typeEEEZZNS1_29radix_sort_onesweep_iterationIS3_Lb0EPKlPlPS5_SB_mNS0_19identity_decomposerENS1_16block_id_wrapperIjLb1EEEEE10hipError_tT1_PNSt15iterator_traitsISG_E10value_typeET2_T3_PNSH_ISM_E10value_typeET4_T5_PSR_SS_PNS1_23onesweep_lookback_stateEbbT6_jjT7_P12ihipStream_tbENKUlT_T0_SG_SL_E_clIS9_SA_SB_SB_EEDaSZ_S10_SG_SL_EUlSZ_E_NS1_11comp_targetILNS1_3genE3ELNS1_11target_archE908ELNS1_3gpuE7ELNS1_3repE0EEENS1_47radix_sort_onesweep_sort_config_static_selectorELNS0_4arch9wavefront6targetE0EEEvSG_
	.globl	_ZN7rocprim17ROCPRIM_400000_NS6detail17trampoline_kernelINS0_14default_configENS1_35radix_sort_onesweep_config_selectorIlNS0_10empty_typeEEEZZNS1_29radix_sort_onesweep_iterationIS3_Lb0EPKlPlPS5_SB_mNS0_19identity_decomposerENS1_16block_id_wrapperIjLb1EEEEE10hipError_tT1_PNSt15iterator_traitsISG_E10value_typeET2_T3_PNSH_ISM_E10value_typeET4_T5_PSR_SS_PNS1_23onesweep_lookback_stateEbbT6_jjT7_P12ihipStream_tbENKUlT_T0_SG_SL_E_clIS9_SA_SB_SB_EEDaSZ_S10_SG_SL_EUlSZ_E_NS1_11comp_targetILNS1_3genE3ELNS1_11target_archE908ELNS1_3gpuE7ELNS1_3repE0EEENS1_47radix_sort_onesweep_sort_config_static_selectorELNS0_4arch9wavefront6targetE0EEEvSG_
	.p2align	8
	.type	_ZN7rocprim17ROCPRIM_400000_NS6detail17trampoline_kernelINS0_14default_configENS1_35radix_sort_onesweep_config_selectorIlNS0_10empty_typeEEEZZNS1_29radix_sort_onesweep_iterationIS3_Lb0EPKlPlPS5_SB_mNS0_19identity_decomposerENS1_16block_id_wrapperIjLb1EEEEE10hipError_tT1_PNSt15iterator_traitsISG_E10value_typeET2_T3_PNSH_ISM_E10value_typeET4_T5_PSR_SS_PNS1_23onesweep_lookback_stateEbbT6_jjT7_P12ihipStream_tbENKUlT_T0_SG_SL_E_clIS9_SA_SB_SB_EEDaSZ_S10_SG_SL_EUlSZ_E_NS1_11comp_targetILNS1_3genE3ELNS1_11target_archE908ELNS1_3gpuE7ELNS1_3repE0EEENS1_47radix_sort_onesweep_sort_config_static_selectorELNS0_4arch9wavefront6targetE0EEEvSG_,@function
_ZN7rocprim17ROCPRIM_400000_NS6detail17trampoline_kernelINS0_14default_configENS1_35radix_sort_onesweep_config_selectorIlNS0_10empty_typeEEEZZNS1_29radix_sort_onesweep_iterationIS3_Lb0EPKlPlPS5_SB_mNS0_19identity_decomposerENS1_16block_id_wrapperIjLb1EEEEE10hipError_tT1_PNSt15iterator_traitsISG_E10value_typeET2_T3_PNSH_ISM_E10value_typeET4_T5_PSR_SS_PNS1_23onesweep_lookback_stateEbbT6_jjT7_P12ihipStream_tbENKUlT_T0_SG_SL_E_clIS9_SA_SB_SB_EEDaSZ_S10_SG_SL_EUlSZ_E_NS1_11comp_targetILNS1_3genE3ELNS1_11target_archE908ELNS1_3gpuE7ELNS1_3repE0EEENS1_47radix_sort_onesweep_sort_config_static_selectorELNS0_4arch9wavefront6targetE0EEEvSG_: ; @_ZN7rocprim17ROCPRIM_400000_NS6detail17trampoline_kernelINS0_14default_configENS1_35radix_sort_onesweep_config_selectorIlNS0_10empty_typeEEEZZNS1_29radix_sort_onesweep_iterationIS3_Lb0EPKlPlPS5_SB_mNS0_19identity_decomposerENS1_16block_id_wrapperIjLb1EEEEE10hipError_tT1_PNSt15iterator_traitsISG_E10value_typeET2_T3_PNSH_ISM_E10value_typeET4_T5_PSR_SS_PNS1_23onesweep_lookback_stateEbbT6_jjT7_P12ihipStream_tbENKUlT_T0_SG_SL_E_clIS9_SA_SB_SB_EEDaSZ_S10_SG_SL_EUlSZ_E_NS1_11comp_targetILNS1_3genE3ELNS1_11target_archE908ELNS1_3gpuE7ELNS1_3repE0EEENS1_47radix_sort_onesweep_sort_config_static_selectorELNS0_4arch9wavefront6targetE0EEEvSG_
; %bb.0:
	.section	.rodata,"a",@progbits
	.p2align	6, 0x0
	.amdhsa_kernel _ZN7rocprim17ROCPRIM_400000_NS6detail17trampoline_kernelINS0_14default_configENS1_35radix_sort_onesweep_config_selectorIlNS0_10empty_typeEEEZZNS1_29radix_sort_onesweep_iterationIS3_Lb0EPKlPlPS5_SB_mNS0_19identity_decomposerENS1_16block_id_wrapperIjLb1EEEEE10hipError_tT1_PNSt15iterator_traitsISG_E10value_typeET2_T3_PNSH_ISM_E10value_typeET4_T5_PSR_SS_PNS1_23onesweep_lookback_stateEbbT6_jjT7_P12ihipStream_tbENKUlT_T0_SG_SL_E_clIS9_SA_SB_SB_EEDaSZ_S10_SG_SL_EUlSZ_E_NS1_11comp_targetILNS1_3genE3ELNS1_11target_archE908ELNS1_3gpuE7ELNS1_3repE0EEENS1_47radix_sort_onesweep_sort_config_static_selectorELNS0_4arch9wavefront6targetE0EEEvSG_
		.amdhsa_group_segment_fixed_size 0
		.amdhsa_private_segment_fixed_size 0
		.amdhsa_kernarg_size 88
		.amdhsa_user_sgpr_count 2
		.amdhsa_user_sgpr_dispatch_ptr 0
		.amdhsa_user_sgpr_queue_ptr 0
		.amdhsa_user_sgpr_kernarg_segment_ptr 1
		.amdhsa_user_sgpr_dispatch_id 0
		.amdhsa_user_sgpr_kernarg_preload_length 0
		.amdhsa_user_sgpr_kernarg_preload_offset 0
		.amdhsa_user_sgpr_private_segment_size 0
		.amdhsa_wavefront_size32 1
		.amdhsa_uses_dynamic_stack 0
		.amdhsa_enable_private_segment 0
		.amdhsa_system_sgpr_workgroup_id_x 1
		.amdhsa_system_sgpr_workgroup_id_y 0
		.amdhsa_system_sgpr_workgroup_id_z 0
		.amdhsa_system_sgpr_workgroup_info 0
		.amdhsa_system_vgpr_workitem_id 0
		.amdhsa_next_free_vgpr 1
		.amdhsa_next_free_sgpr 1
		.amdhsa_named_barrier_count 0
		.amdhsa_reserve_vcc 0
		.amdhsa_float_round_mode_32 0
		.amdhsa_float_round_mode_16_64 0
		.amdhsa_float_denorm_mode_32 3
		.amdhsa_float_denorm_mode_16_64 3
		.amdhsa_fp16_overflow 0
		.amdhsa_memory_ordered 1
		.amdhsa_forward_progress 1
		.amdhsa_inst_pref_size 0
		.amdhsa_round_robin_scheduling 0
		.amdhsa_exception_fp_ieee_invalid_op 0
		.amdhsa_exception_fp_denorm_src 0
		.amdhsa_exception_fp_ieee_div_zero 0
		.amdhsa_exception_fp_ieee_overflow 0
		.amdhsa_exception_fp_ieee_underflow 0
		.amdhsa_exception_fp_ieee_inexact 0
		.amdhsa_exception_int_div_zero 0
	.end_amdhsa_kernel
	.section	.text._ZN7rocprim17ROCPRIM_400000_NS6detail17trampoline_kernelINS0_14default_configENS1_35radix_sort_onesweep_config_selectorIlNS0_10empty_typeEEEZZNS1_29radix_sort_onesweep_iterationIS3_Lb0EPKlPlPS5_SB_mNS0_19identity_decomposerENS1_16block_id_wrapperIjLb1EEEEE10hipError_tT1_PNSt15iterator_traitsISG_E10value_typeET2_T3_PNSH_ISM_E10value_typeET4_T5_PSR_SS_PNS1_23onesweep_lookback_stateEbbT6_jjT7_P12ihipStream_tbENKUlT_T0_SG_SL_E_clIS9_SA_SB_SB_EEDaSZ_S10_SG_SL_EUlSZ_E_NS1_11comp_targetILNS1_3genE3ELNS1_11target_archE908ELNS1_3gpuE7ELNS1_3repE0EEENS1_47radix_sort_onesweep_sort_config_static_selectorELNS0_4arch9wavefront6targetE0EEEvSG_,"axG",@progbits,_ZN7rocprim17ROCPRIM_400000_NS6detail17trampoline_kernelINS0_14default_configENS1_35radix_sort_onesweep_config_selectorIlNS0_10empty_typeEEEZZNS1_29radix_sort_onesweep_iterationIS3_Lb0EPKlPlPS5_SB_mNS0_19identity_decomposerENS1_16block_id_wrapperIjLb1EEEEE10hipError_tT1_PNSt15iterator_traitsISG_E10value_typeET2_T3_PNSH_ISM_E10value_typeET4_T5_PSR_SS_PNS1_23onesweep_lookback_stateEbbT6_jjT7_P12ihipStream_tbENKUlT_T0_SG_SL_E_clIS9_SA_SB_SB_EEDaSZ_S10_SG_SL_EUlSZ_E_NS1_11comp_targetILNS1_3genE3ELNS1_11target_archE908ELNS1_3gpuE7ELNS1_3repE0EEENS1_47radix_sort_onesweep_sort_config_static_selectorELNS0_4arch9wavefront6targetE0EEEvSG_,comdat
.Lfunc_end1212:
	.size	_ZN7rocprim17ROCPRIM_400000_NS6detail17trampoline_kernelINS0_14default_configENS1_35radix_sort_onesweep_config_selectorIlNS0_10empty_typeEEEZZNS1_29radix_sort_onesweep_iterationIS3_Lb0EPKlPlPS5_SB_mNS0_19identity_decomposerENS1_16block_id_wrapperIjLb1EEEEE10hipError_tT1_PNSt15iterator_traitsISG_E10value_typeET2_T3_PNSH_ISM_E10value_typeET4_T5_PSR_SS_PNS1_23onesweep_lookback_stateEbbT6_jjT7_P12ihipStream_tbENKUlT_T0_SG_SL_E_clIS9_SA_SB_SB_EEDaSZ_S10_SG_SL_EUlSZ_E_NS1_11comp_targetILNS1_3genE3ELNS1_11target_archE908ELNS1_3gpuE7ELNS1_3repE0EEENS1_47radix_sort_onesweep_sort_config_static_selectorELNS0_4arch9wavefront6targetE0EEEvSG_, .Lfunc_end1212-_ZN7rocprim17ROCPRIM_400000_NS6detail17trampoline_kernelINS0_14default_configENS1_35radix_sort_onesweep_config_selectorIlNS0_10empty_typeEEEZZNS1_29radix_sort_onesweep_iterationIS3_Lb0EPKlPlPS5_SB_mNS0_19identity_decomposerENS1_16block_id_wrapperIjLb1EEEEE10hipError_tT1_PNSt15iterator_traitsISG_E10value_typeET2_T3_PNSH_ISM_E10value_typeET4_T5_PSR_SS_PNS1_23onesweep_lookback_stateEbbT6_jjT7_P12ihipStream_tbENKUlT_T0_SG_SL_E_clIS9_SA_SB_SB_EEDaSZ_S10_SG_SL_EUlSZ_E_NS1_11comp_targetILNS1_3genE3ELNS1_11target_archE908ELNS1_3gpuE7ELNS1_3repE0EEENS1_47radix_sort_onesweep_sort_config_static_selectorELNS0_4arch9wavefront6targetE0EEEvSG_
                                        ; -- End function
	.set _ZN7rocprim17ROCPRIM_400000_NS6detail17trampoline_kernelINS0_14default_configENS1_35radix_sort_onesweep_config_selectorIlNS0_10empty_typeEEEZZNS1_29radix_sort_onesweep_iterationIS3_Lb0EPKlPlPS5_SB_mNS0_19identity_decomposerENS1_16block_id_wrapperIjLb1EEEEE10hipError_tT1_PNSt15iterator_traitsISG_E10value_typeET2_T3_PNSH_ISM_E10value_typeET4_T5_PSR_SS_PNS1_23onesweep_lookback_stateEbbT6_jjT7_P12ihipStream_tbENKUlT_T0_SG_SL_E_clIS9_SA_SB_SB_EEDaSZ_S10_SG_SL_EUlSZ_E_NS1_11comp_targetILNS1_3genE3ELNS1_11target_archE908ELNS1_3gpuE7ELNS1_3repE0EEENS1_47radix_sort_onesweep_sort_config_static_selectorELNS0_4arch9wavefront6targetE0EEEvSG_.num_vgpr, 0
	.set _ZN7rocprim17ROCPRIM_400000_NS6detail17trampoline_kernelINS0_14default_configENS1_35radix_sort_onesweep_config_selectorIlNS0_10empty_typeEEEZZNS1_29radix_sort_onesweep_iterationIS3_Lb0EPKlPlPS5_SB_mNS0_19identity_decomposerENS1_16block_id_wrapperIjLb1EEEEE10hipError_tT1_PNSt15iterator_traitsISG_E10value_typeET2_T3_PNSH_ISM_E10value_typeET4_T5_PSR_SS_PNS1_23onesweep_lookback_stateEbbT6_jjT7_P12ihipStream_tbENKUlT_T0_SG_SL_E_clIS9_SA_SB_SB_EEDaSZ_S10_SG_SL_EUlSZ_E_NS1_11comp_targetILNS1_3genE3ELNS1_11target_archE908ELNS1_3gpuE7ELNS1_3repE0EEENS1_47radix_sort_onesweep_sort_config_static_selectorELNS0_4arch9wavefront6targetE0EEEvSG_.num_agpr, 0
	.set _ZN7rocprim17ROCPRIM_400000_NS6detail17trampoline_kernelINS0_14default_configENS1_35radix_sort_onesweep_config_selectorIlNS0_10empty_typeEEEZZNS1_29radix_sort_onesweep_iterationIS3_Lb0EPKlPlPS5_SB_mNS0_19identity_decomposerENS1_16block_id_wrapperIjLb1EEEEE10hipError_tT1_PNSt15iterator_traitsISG_E10value_typeET2_T3_PNSH_ISM_E10value_typeET4_T5_PSR_SS_PNS1_23onesweep_lookback_stateEbbT6_jjT7_P12ihipStream_tbENKUlT_T0_SG_SL_E_clIS9_SA_SB_SB_EEDaSZ_S10_SG_SL_EUlSZ_E_NS1_11comp_targetILNS1_3genE3ELNS1_11target_archE908ELNS1_3gpuE7ELNS1_3repE0EEENS1_47radix_sort_onesweep_sort_config_static_selectorELNS0_4arch9wavefront6targetE0EEEvSG_.numbered_sgpr, 0
	.set _ZN7rocprim17ROCPRIM_400000_NS6detail17trampoline_kernelINS0_14default_configENS1_35radix_sort_onesweep_config_selectorIlNS0_10empty_typeEEEZZNS1_29radix_sort_onesweep_iterationIS3_Lb0EPKlPlPS5_SB_mNS0_19identity_decomposerENS1_16block_id_wrapperIjLb1EEEEE10hipError_tT1_PNSt15iterator_traitsISG_E10value_typeET2_T3_PNSH_ISM_E10value_typeET4_T5_PSR_SS_PNS1_23onesweep_lookback_stateEbbT6_jjT7_P12ihipStream_tbENKUlT_T0_SG_SL_E_clIS9_SA_SB_SB_EEDaSZ_S10_SG_SL_EUlSZ_E_NS1_11comp_targetILNS1_3genE3ELNS1_11target_archE908ELNS1_3gpuE7ELNS1_3repE0EEENS1_47radix_sort_onesweep_sort_config_static_selectorELNS0_4arch9wavefront6targetE0EEEvSG_.num_named_barrier, 0
	.set _ZN7rocprim17ROCPRIM_400000_NS6detail17trampoline_kernelINS0_14default_configENS1_35radix_sort_onesweep_config_selectorIlNS0_10empty_typeEEEZZNS1_29radix_sort_onesweep_iterationIS3_Lb0EPKlPlPS5_SB_mNS0_19identity_decomposerENS1_16block_id_wrapperIjLb1EEEEE10hipError_tT1_PNSt15iterator_traitsISG_E10value_typeET2_T3_PNSH_ISM_E10value_typeET4_T5_PSR_SS_PNS1_23onesweep_lookback_stateEbbT6_jjT7_P12ihipStream_tbENKUlT_T0_SG_SL_E_clIS9_SA_SB_SB_EEDaSZ_S10_SG_SL_EUlSZ_E_NS1_11comp_targetILNS1_3genE3ELNS1_11target_archE908ELNS1_3gpuE7ELNS1_3repE0EEENS1_47radix_sort_onesweep_sort_config_static_selectorELNS0_4arch9wavefront6targetE0EEEvSG_.private_seg_size, 0
	.set _ZN7rocprim17ROCPRIM_400000_NS6detail17trampoline_kernelINS0_14default_configENS1_35radix_sort_onesweep_config_selectorIlNS0_10empty_typeEEEZZNS1_29radix_sort_onesweep_iterationIS3_Lb0EPKlPlPS5_SB_mNS0_19identity_decomposerENS1_16block_id_wrapperIjLb1EEEEE10hipError_tT1_PNSt15iterator_traitsISG_E10value_typeET2_T3_PNSH_ISM_E10value_typeET4_T5_PSR_SS_PNS1_23onesweep_lookback_stateEbbT6_jjT7_P12ihipStream_tbENKUlT_T0_SG_SL_E_clIS9_SA_SB_SB_EEDaSZ_S10_SG_SL_EUlSZ_E_NS1_11comp_targetILNS1_3genE3ELNS1_11target_archE908ELNS1_3gpuE7ELNS1_3repE0EEENS1_47radix_sort_onesweep_sort_config_static_selectorELNS0_4arch9wavefront6targetE0EEEvSG_.uses_vcc, 0
	.set _ZN7rocprim17ROCPRIM_400000_NS6detail17trampoline_kernelINS0_14default_configENS1_35radix_sort_onesweep_config_selectorIlNS0_10empty_typeEEEZZNS1_29radix_sort_onesweep_iterationIS3_Lb0EPKlPlPS5_SB_mNS0_19identity_decomposerENS1_16block_id_wrapperIjLb1EEEEE10hipError_tT1_PNSt15iterator_traitsISG_E10value_typeET2_T3_PNSH_ISM_E10value_typeET4_T5_PSR_SS_PNS1_23onesweep_lookback_stateEbbT6_jjT7_P12ihipStream_tbENKUlT_T0_SG_SL_E_clIS9_SA_SB_SB_EEDaSZ_S10_SG_SL_EUlSZ_E_NS1_11comp_targetILNS1_3genE3ELNS1_11target_archE908ELNS1_3gpuE7ELNS1_3repE0EEENS1_47radix_sort_onesweep_sort_config_static_selectorELNS0_4arch9wavefront6targetE0EEEvSG_.uses_flat_scratch, 0
	.set _ZN7rocprim17ROCPRIM_400000_NS6detail17trampoline_kernelINS0_14default_configENS1_35radix_sort_onesweep_config_selectorIlNS0_10empty_typeEEEZZNS1_29radix_sort_onesweep_iterationIS3_Lb0EPKlPlPS5_SB_mNS0_19identity_decomposerENS1_16block_id_wrapperIjLb1EEEEE10hipError_tT1_PNSt15iterator_traitsISG_E10value_typeET2_T3_PNSH_ISM_E10value_typeET4_T5_PSR_SS_PNS1_23onesweep_lookback_stateEbbT6_jjT7_P12ihipStream_tbENKUlT_T0_SG_SL_E_clIS9_SA_SB_SB_EEDaSZ_S10_SG_SL_EUlSZ_E_NS1_11comp_targetILNS1_3genE3ELNS1_11target_archE908ELNS1_3gpuE7ELNS1_3repE0EEENS1_47radix_sort_onesweep_sort_config_static_selectorELNS0_4arch9wavefront6targetE0EEEvSG_.has_dyn_sized_stack, 0
	.set _ZN7rocprim17ROCPRIM_400000_NS6detail17trampoline_kernelINS0_14default_configENS1_35radix_sort_onesweep_config_selectorIlNS0_10empty_typeEEEZZNS1_29radix_sort_onesweep_iterationIS3_Lb0EPKlPlPS5_SB_mNS0_19identity_decomposerENS1_16block_id_wrapperIjLb1EEEEE10hipError_tT1_PNSt15iterator_traitsISG_E10value_typeET2_T3_PNSH_ISM_E10value_typeET4_T5_PSR_SS_PNS1_23onesweep_lookback_stateEbbT6_jjT7_P12ihipStream_tbENKUlT_T0_SG_SL_E_clIS9_SA_SB_SB_EEDaSZ_S10_SG_SL_EUlSZ_E_NS1_11comp_targetILNS1_3genE3ELNS1_11target_archE908ELNS1_3gpuE7ELNS1_3repE0EEENS1_47radix_sort_onesweep_sort_config_static_selectorELNS0_4arch9wavefront6targetE0EEEvSG_.has_recursion, 0
	.set _ZN7rocprim17ROCPRIM_400000_NS6detail17trampoline_kernelINS0_14default_configENS1_35radix_sort_onesweep_config_selectorIlNS0_10empty_typeEEEZZNS1_29radix_sort_onesweep_iterationIS3_Lb0EPKlPlPS5_SB_mNS0_19identity_decomposerENS1_16block_id_wrapperIjLb1EEEEE10hipError_tT1_PNSt15iterator_traitsISG_E10value_typeET2_T3_PNSH_ISM_E10value_typeET4_T5_PSR_SS_PNS1_23onesweep_lookback_stateEbbT6_jjT7_P12ihipStream_tbENKUlT_T0_SG_SL_E_clIS9_SA_SB_SB_EEDaSZ_S10_SG_SL_EUlSZ_E_NS1_11comp_targetILNS1_3genE3ELNS1_11target_archE908ELNS1_3gpuE7ELNS1_3repE0EEENS1_47radix_sort_onesweep_sort_config_static_selectorELNS0_4arch9wavefront6targetE0EEEvSG_.has_indirect_call, 0
	.section	.AMDGPU.csdata,"",@progbits
; Kernel info:
; codeLenInByte = 0
; TotalNumSgprs: 0
; NumVgprs: 0
; ScratchSize: 0
; MemoryBound: 0
; FloatMode: 240
; IeeeMode: 1
; LDSByteSize: 0 bytes/workgroup (compile time only)
; SGPRBlocks: 0
; VGPRBlocks: 0
; NumSGPRsForWavesPerEU: 1
; NumVGPRsForWavesPerEU: 1
; NamedBarCnt: 0
; Occupancy: 16
; WaveLimiterHint : 0
; COMPUTE_PGM_RSRC2:SCRATCH_EN: 0
; COMPUTE_PGM_RSRC2:USER_SGPR: 2
; COMPUTE_PGM_RSRC2:TRAP_HANDLER: 0
; COMPUTE_PGM_RSRC2:TGID_X_EN: 1
; COMPUTE_PGM_RSRC2:TGID_Y_EN: 0
; COMPUTE_PGM_RSRC2:TGID_Z_EN: 0
; COMPUTE_PGM_RSRC2:TIDIG_COMP_CNT: 0
	.section	.text._ZN7rocprim17ROCPRIM_400000_NS6detail17trampoline_kernelINS0_14default_configENS1_35radix_sort_onesweep_config_selectorIlNS0_10empty_typeEEEZZNS1_29radix_sort_onesweep_iterationIS3_Lb0EPKlPlPS5_SB_mNS0_19identity_decomposerENS1_16block_id_wrapperIjLb1EEEEE10hipError_tT1_PNSt15iterator_traitsISG_E10value_typeET2_T3_PNSH_ISM_E10value_typeET4_T5_PSR_SS_PNS1_23onesweep_lookback_stateEbbT6_jjT7_P12ihipStream_tbENKUlT_T0_SG_SL_E_clIS9_SA_SB_SB_EEDaSZ_S10_SG_SL_EUlSZ_E_NS1_11comp_targetILNS1_3genE10ELNS1_11target_archE1201ELNS1_3gpuE5ELNS1_3repE0EEENS1_47radix_sort_onesweep_sort_config_static_selectorELNS0_4arch9wavefront6targetE0EEEvSG_,"axG",@progbits,_ZN7rocprim17ROCPRIM_400000_NS6detail17trampoline_kernelINS0_14default_configENS1_35radix_sort_onesweep_config_selectorIlNS0_10empty_typeEEEZZNS1_29radix_sort_onesweep_iterationIS3_Lb0EPKlPlPS5_SB_mNS0_19identity_decomposerENS1_16block_id_wrapperIjLb1EEEEE10hipError_tT1_PNSt15iterator_traitsISG_E10value_typeET2_T3_PNSH_ISM_E10value_typeET4_T5_PSR_SS_PNS1_23onesweep_lookback_stateEbbT6_jjT7_P12ihipStream_tbENKUlT_T0_SG_SL_E_clIS9_SA_SB_SB_EEDaSZ_S10_SG_SL_EUlSZ_E_NS1_11comp_targetILNS1_3genE10ELNS1_11target_archE1201ELNS1_3gpuE5ELNS1_3repE0EEENS1_47radix_sort_onesweep_sort_config_static_selectorELNS0_4arch9wavefront6targetE0EEEvSG_,comdat
	.protected	_ZN7rocprim17ROCPRIM_400000_NS6detail17trampoline_kernelINS0_14default_configENS1_35radix_sort_onesweep_config_selectorIlNS0_10empty_typeEEEZZNS1_29radix_sort_onesweep_iterationIS3_Lb0EPKlPlPS5_SB_mNS0_19identity_decomposerENS1_16block_id_wrapperIjLb1EEEEE10hipError_tT1_PNSt15iterator_traitsISG_E10value_typeET2_T3_PNSH_ISM_E10value_typeET4_T5_PSR_SS_PNS1_23onesweep_lookback_stateEbbT6_jjT7_P12ihipStream_tbENKUlT_T0_SG_SL_E_clIS9_SA_SB_SB_EEDaSZ_S10_SG_SL_EUlSZ_E_NS1_11comp_targetILNS1_3genE10ELNS1_11target_archE1201ELNS1_3gpuE5ELNS1_3repE0EEENS1_47radix_sort_onesweep_sort_config_static_selectorELNS0_4arch9wavefront6targetE0EEEvSG_ ; -- Begin function _ZN7rocprim17ROCPRIM_400000_NS6detail17trampoline_kernelINS0_14default_configENS1_35radix_sort_onesweep_config_selectorIlNS0_10empty_typeEEEZZNS1_29radix_sort_onesweep_iterationIS3_Lb0EPKlPlPS5_SB_mNS0_19identity_decomposerENS1_16block_id_wrapperIjLb1EEEEE10hipError_tT1_PNSt15iterator_traitsISG_E10value_typeET2_T3_PNSH_ISM_E10value_typeET4_T5_PSR_SS_PNS1_23onesweep_lookback_stateEbbT6_jjT7_P12ihipStream_tbENKUlT_T0_SG_SL_E_clIS9_SA_SB_SB_EEDaSZ_S10_SG_SL_EUlSZ_E_NS1_11comp_targetILNS1_3genE10ELNS1_11target_archE1201ELNS1_3gpuE5ELNS1_3repE0EEENS1_47radix_sort_onesweep_sort_config_static_selectorELNS0_4arch9wavefront6targetE0EEEvSG_
	.globl	_ZN7rocprim17ROCPRIM_400000_NS6detail17trampoline_kernelINS0_14default_configENS1_35radix_sort_onesweep_config_selectorIlNS0_10empty_typeEEEZZNS1_29radix_sort_onesweep_iterationIS3_Lb0EPKlPlPS5_SB_mNS0_19identity_decomposerENS1_16block_id_wrapperIjLb1EEEEE10hipError_tT1_PNSt15iterator_traitsISG_E10value_typeET2_T3_PNSH_ISM_E10value_typeET4_T5_PSR_SS_PNS1_23onesweep_lookback_stateEbbT6_jjT7_P12ihipStream_tbENKUlT_T0_SG_SL_E_clIS9_SA_SB_SB_EEDaSZ_S10_SG_SL_EUlSZ_E_NS1_11comp_targetILNS1_3genE10ELNS1_11target_archE1201ELNS1_3gpuE5ELNS1_3repE0EEENS1_47radix_sort_onesweep_sort_config_static_selectorELNS0_4arch9wavefront6targetE0EEEvSG_
	.p2align	8
	.type	_ZN7rocprim17ROCPRIM_400000_NS6detail17trampoline_kernelINS0_14default_configENS1_35radix_sort_onesweep_config_selectorIlNS0_10empty_typeEEEZZNS1_29radix_sort_onesweep_iterationIS3_Lb0EPKlPlPS5_SB_mNS0_19identity_decomposerENS1_16block_id_wrapperIjLb1EEEEE10hipError_tT1_PNSt15iterator_traitsISG_E10value_typeET2_T3_PNSH_ISM_E10value_typeET4_T5_PSR_SS_PNS1_23onesweep_lookback_stateEbbT6_jjT7_P12ihipStream_tbENKUlT_T0_SG_SL_E_clIS9_SA_SB_SB_EEDaSZ_S10_SG_SL_EUlSZ_E_NS1_11comp_targetILNS1_3genE10ELNS1_11target_archE1201ELNS1_3gpuE5ELNS1_3repE0EEENS1_47radix_sort_onesweep_sort_config_static_selectorELNS0_4arch9wavefront6targetE0EEEvSG_,@function
_ZN7rocprim17ROCPRIM_400000_NS6detail17trampoline_kernelINS0_14default_configENS1_35radix_sort_onesweep_config_selectorIlNS0_10empty_typeEEEZZNS1_29radix_sort_onesweep_iterationIS3_Lb0EPKlPlPS5_SB_mNS0_19identity_decomposerENS1_16block_id_wrapperIjLb1EEEEE10hipError_tT1_PNSt15iterator_traitsISG_E10value_typeET2_T3_PNSH_ISM_E10value_typeET4_T5_PSR_SS_PNS1_23onesweep_lookback_stateEbbT6_jjT7_P12ihipStream_tbENKUlT_T0_SG_SL_E_clIS9_SA_SB_SB_EEDaSZ_S10_SG_SL_EUlSZ_E_NS1_11comp_targetILNS1_3genE10ELNS1_11target_archE1201ELNS1_3gpuE5ELNS1_3repE0EEENS1_47radix_sort_onesweep_sort_config_static_selectorELNS0_4arch9wavefront6targetE0EEEvSG_: ; @_ZN7rocprim17ROCPRIM_400000_NS6detail17trampoline_kernelINS0_14default_configENS1_35radix_sort_onesweep_config_selectorIlNS0_10empty_typeEEEZZNS1_29radix_sort_onesweep_iterationIS3_Lb0EPKlPlPS5_SB_mNS0_19identity_decomposerENS1_16block_id_wrapperIjLb1EEEEE10hipError_tT1_PNSt15iterator_traitsISG_E10value_typeET2_T3_PNSH_ISM_E10value_typeET4_T5_PSR_SS_PNS1_23onesweep_lookback_stateEbbT6_jjT7_P12ihipStream_tbENKUlT_T0_SG_SL_E_clIS9_SA_SB_SB_EEDaSZ_S10_SG_SL_EUlSZ_E_NS1_11comp_targetILNS1_3genE10ELNS1_11target_archE1201ELNS1_3gpuE5ELNS1_3repE0EEENS1_47radix_sort_onesweep_sort_config_static_selectorELNS0_4arch9wavefront6targetE0EEEvSG_
; %bb.0:
	.section	.rodata,"a",@progbits
	.p2align	6, 0x0
	.amdhsa_kernel _ZN7rocprim17ROCPRIM_400000_NS6detail17trampoline_kernelINS0_14default_configENS1_35radix_sort_onesweep_config_selectorIlNS0_10empty_typeEEEZZNS1_29radix_sort_onesweep_iterationIS3_Lb0EPKlPlPS5_SB_mNS0_19identity_decomposerENS1_16block_id_wrapperIjLb1EEEEE10hipError_tT1_PNSt15iterator_traitsISG_E10value_typeET2_T3_PNSH_ISM_E10value_typeET4_T5_PSR_SS_PNS1_23onesweep_lookback_stateEbbT6_jjT7_P12ihipStream_tbENKUlT_T0_SG_SL_E_clIS9_SA_SB_SB_EEDaSZ_S10_SG_SL_EUlSZ_E_NS1_11comp_targetILNS1_3genE10ELNS1_11target_archE1201ELNS1_3gpuE5ELNS1_3repE0EEENS1_47radix_sort_onesweep_sort_config_static_selectorELNS0_4arch9wavefront6targetE0EEEvSG_
		.amdhsa_group_segment_fixed_size 0
		.amdhsa_private_segment_fixed_size 0
		.amdhsa_kernarg_size 88
		.amdhsa_user_sgpr_count 2
		.amdhsa_user_sgpr_dispatch_ptr 0
		.amdhsa_user_sgpr_queue_ptr 0
		.amdhsa_user_sgpr_kernarg_segment_ptr 1
		.amdhsa_user_sgpr_dispatch_id 0
		.amdhsa_user_sgpr_kernarg_preload_length 0
		.amdhsa_user_sgpr_kernarg_preload_offset 0
		.amdhsa_user_sgpr_private_segment_size 0
		.amdhsa_wavefront_size32 1
		.amdhsa_uses_dynamic_stack 0
		.amdhsa_enable_private_segment 0
		.amdhsa_system_sgpr_workgroup_id_x 1
		.amdhsa_system_sgpr_workgroup_id_y 0
		.amdhsa_system_sgpr_workgroup_id_z 0
		.amdhsa_system_sgpr_workgroup_info 0
		.amdhsa_system_vgpr_workitem_id 0
		.amdhsa_next_free_vgpr 1
		.amdhsa_next_free_sgpr 1
		.amdhsa_named_barrier_count 0
		.amdhsa_reserve_vcc 0
		.amdhsa_float_round_mode_32 0
		.amdhsa_float_round_mode_16_64 0
		.amdhsa_float_denorm_mode_32 3
		.amdhsa_float_denorm_mode_16_64 3
		.amdhsa_fp16_overflow 0
		.amdhsa_memory_ordered 1
		.amdhsa_forward_progress 1
		.amdhsa_inst_pref_size 0
		.amdhsa_round_robin_scheduling 0
		.amdhsa_exception_fp_ieee_invalid_op 0
		.amdhsa_exception_fp_denorm_src 0
		.amdhsa_exception_fp_ieee_div_zero 0
		.amdhsa_exception_fp_ieee_overflow 0
		.amdhsa_exception_fp_ieee_underflow 0
		.amdhsa_exception_fp_ieee_inexact 0
		.amdhsa_exception_int_div_zero 0
	.end_amdhsa_kernel
	.section	.text._ZN7rocprim17ROCPRIM_400000_NS6detail17trampoline_kernelINS0_14default_configENS1_35radix_sort_onesweep_config_selectorIlNS0_10empty_typeEEEZZNS1_29radix_sort_onesweep_iterationIS3_Lb0EPKlPlPS5_SB_mNS0_19identity_decomposerENS1_16block_id_wrapperIjLb1EEEEE10hipError_tT1_PNSt15iterator_traitsISG_E10value_typeET2_T3_PNSH_ISM_E10value_typeET4_T5_PSR_SS_PNS1_23onesweep_lookback_stateEbbT6_jjT7_P12ihipStream_tbENKUlT_T0_SG_SL_E_clIS9_SA_SB_SB_EEDaSZ_S10_SG_SL_EUlSZ_E_NS1_11comp_targetILNS1_3genE10ELNS1_11target_archE1201ELNS1_3gpuE5ELNS1_3repE0EEENS1_47radix_sort_onesweep_sort_config_static_selectorELNS0_4arch9wavefront6targetE0EEEvSG_,"axG",@progbits,_ZN7rocprim17ROCPRIM_400000_NS6detail17trampoline_kernelINS0_14default_configENS1_35radix_sort_onesweep_config_selectorIlNS0_10empty_typeEEEZZNS1_29radix_sort_onesweep_iterationIS3_Lb0EPKlPlPS5_SB_mNS0_19identity_decomposerENS1_16block_id_wrapperIjLb1EEEEE10hipError_tT1_PNSt15iterator_traitsISG_E10value_typeET2_T3_PNSH_ISM_E10value_typeET4_T5_PSR_SS_PNS1_23onesweep_lookback_stateEbbT6_jjT7_P12ihipStream_tbENKUlT_T0_SG_SL_E_clIS9_SA_SB_SB_EEDaSZ_S10_SG_SL_EUlSZ_E_NS1_11comp_targetILNS1_3genE10ELNS1_11target_archE1201ELNS1_3gpuE5ELNS1_3repE0EEENS1_47radix_sort_onesweep_sort_config_static_selectorELNS0_4arch9wavefront6targetE0EEEvSG_,comdat
.Lfunc_end1213:
	.size	_ZN7rocprim17ROCPRIM_400000_NS6detail17trampoline_kernelINS0_14default_configENS1_35radix_sort_onesweep_config_selectorIlNS0_10empty_typeEEEZZNS1_29radix_sort_onesweep_iterationIS3_Lb0EPKlPlPS5_SB_mNS0_19identity_decomposerENS1_16block_id_wrapperIjLb1EEEEE10hipError_tT1_PNSt15iterator_traitsISG_E10value_typeET2_T3_PNSH_ISM_E10value_typeET4_T5_PSR_SS_PNS1_23onesweep_lookback_stateEbbT6_jjT7_P12ihipStream_tbENKUlT_T0_SG_SL_E_clIS9_SA_SB_SB_EEDaSZ_S10_SG_SL_EUlSZ_E_NS1_11comp_targetILNS1_3genE10ELNS1_11target_archE1201ELNS1_3gpuE5ELNS1_3repE0EEENS1_47radix_sort_onesweep_sort_config_static_selectorELNS0_4arch9wavefront6targetE0EEEvSG_, .Lfunc_end1213-_ZN7rocprim17ROCPRIM_400000_NS6detail17trampoline_kernelINS0_14default_configENS1_35radix_sort_onesweep_config_selectorIlNS0_10empty_typeEEEZZNS1_29radix_sort_onesweep_iterationIS3_Lb0EPKlPlPS5_SB_mNS0_19identity_decomposerENS1_16block_id_wrapperIjLb1EEEEE10hipError_tT1_PNSt15iterator_traitsISG_E10value_typeET2_T3_PNSH_ISM_E10value_typeET4_T5_PSR_SS_PNS1_23onesweep_lookback_stateEbbT6_jjT7_P12ihipStream_tbENKUlT_T0_SG_SL_E_clIS9_SA_SB_SB_EEDaSZ_S10_SG_SL_EUlSZ_E_NS1_11comp_targetILNS1_3genE10ELNS1_11target_archE1201ELNS1_3gpuE5ELNS1_3repE0EEENS1_47radix_sort_onesweep_sort_config_static_selectorELNS0_4arch9wavefront6targetE0EEEvSG_
                                        ; -- End function
	.set _ZN7rocprim17ROCPRIM_400000_NS6detail17trampoline_kernelINS0_14default_configENS1_35radix_sort_onesweep_config_selectorIlNS0_10empty_typeEEEZZNS1_29radix_sort_onesweep_iterationIS3_Lb0EPKlPlPS5_SB_mNS0_19identity_decomposerENS1_16block_id_wrapperIjLb1EEEEE10hipError_tT1_PNSt15iterator_traitsISG_E10value_typeET2_T3_PNSH_ISM_E10value_typeET4_T5_PSR_SS_PNS1_23onesweep_lookback_stateEbbT6_jjT7_P12ihipStream_tbENKUlT_T0_SG_SL_E_clIS9_SA_SB_SB_EEDaSZ_S10_SG_SL_EUlSZ_E_NS1_11comp_targetILNS1_3genE10ELNS1_11target_archE1201ELNS1_3gpuE5ELNS1_3repE0EEENS1_47radix_sort_onesweep_sort_config_static_selectorELNS0_4arch9wavefront6targetE0EEEvSG_.num_vgpr, 0
	.set _ZN7rocprim17ROCPRIM_400000_NS6detail17trampoline_kernelINS0_14default_configENS1_35radix_sort_onesweep_config_selectorIlNS0_10empty_typeEEEZZNS1_29radix_sort_onesweep_iterationIS3_Lb0EPKlPlPS5_SB_mNS0_19identity_decomposerENS1_16block_id_wrapperIjLb1EEEEE10hipError_tT1_PNSt15iterator_traitsISG_E10value_typeET2_T3_PNSH_ISM_E10value_typeET4_T5_PSR_SS_PNS1_23onesweep_lookback_stateEbbT6_jjT7_P12ihipStream_tbENKUlT_T0_SG_SL_E_clIS9_SA_SB_SB_EEDaSZ_S10_SG_SL_EUlSZ_E_NS1_11comp_targetILNS1_3genE10ELNS1_11target_archE1201ELNS1_3gpuE5ELNS1_3repE0EEENS1_47radix_sort_onesweep_sort_config_static_selectorELNS0_4arch9wavefront6targetE0EEEvSG_.num_agpr, 0
	.set _ZN7rocprim17ROCPRIM_400000_NS6detail17trampoline_kernelINS0_14default_configENS1_35radix_sort_onesweep_config_selectorIlNS0_10empty_typeEEEZZNS1_29radix_sort_onesweep_iterationIS3_Lb0EPKlPlPS5_SB_mNS0_19identity_decomposerENS1_16block_id_wrapperIjLb1EEEEE10hipError_tT1_PNSt15iterator_traitsISG_E10value_typeET2_T3_PNSH_ISM_E10value_typeET4_T5_PSR_SS_PNS1_23onesweep_lookback_stateEbbT6_jjT7_P12ihipStream_tbENKUlT_T0_SG_SL_E_clIS9_SA_SB_SB_EEDaSZ_S10_SG_SL_EUlSZ_E_NS1_11comp_targetILNS1_3genE10ELNS1_11target_archE1201ELNS1_3gpuE5ELNS1_3repE0EEENS1_47radix_sort_onesweep_sort_config_static_selectorELNS0_4arch9wavefront6targetE0EEEvSG_.numbered_sgpr, 0
	.set _ZN7rocprim17ROCPRIM_400000_NS6detail17trampoline_kernelINS0_14default_configENS1_35radix_sort_onesweep_config_selectorIlNS0_10empty_typeEEEZZNS1_29radix_sort_onesweep_iterationIS3_Lb0EPKlPlPS5_SB_mNS0_19identity_decomposerENS1_16block_id_wrapperIjLb1EEEEE10hipError_tT1_PNSt15iterator_traitsISG_E10value_typeET2_T3_PNSH_ISM_E10value_typeET4_T5_PSR_SS_PNS1_23onesweep_lookback_stateEbbT6_jjT7_P12ihipStream_tbENKUlT_T0_SG_SL_E_clIS9_SA_SB_SB_EEDaSZ_S10_SG_SL_EUlSZ_E_NS1_11comp_targetILNS1_3genE10ELNS1_11target_archE1201ELNS1_3gpuE5ELNS1_3repE0EEENS1_47radix_sort_onesweep_sort_config_static_selectorELNS0_4arch9wavefront6targetE0EEEvSG_.num_named_barrier, 0
	.set _ZN7rocprim17ROCPRIM_400000_NS6detail17trampoline_kernelINS0_14default_configENS1_35radix_sort_onesweep_config_selectorIlNS0_10empty_typeEEEZZNS1_29radix_sort_onesweep_iterationIS3_Lb0EPKlPlPS5_SB_mNS0_19identity_decomposerENS1_16block_id_wrapperIjLb1EEEEE10hipError_tT1_PNSt15iterator_traitsISG_E10value_typeET2_T3_PNSH_ISM_E10value_typeET4_T5_PSR_SS_PNS1_23onesweep_lookback_stateEbbT6_jjT7_P12ihipStream_tbENKUlT_T0_SG_SL_E_clIS9_SA_SB_SB_EEDaSZ_S10_SG_SL_EUlSZ_E_NS1_11comp_targetILNS1_3genE10ELNS1_11target_archE1201ELNS1_3gpuE5ELNS1_3repE0EEENS1_47radix_sort_onesweep_sort_config_static_selectorELNS0_4arch9wavefront6targetE0EEEvSG_.private_seg_size, 0
	.set _ZN7rocprim17ROCPRIM_400000_NS6detail17trampoline_kernelINS0_14default_configENS1_35radix_sort_onesweep_config_selectorIlNS0_10empty_typeEEEZZNS1_29radix_sort_onesweep_iterationIS3_Lb0EPKlPlPS5_SB_mNS0_19identity_decomposerENS1_16block_id_wrapperIjLb1EEEEE10hipError_tT1_PNSt15iterator_traitsISG_E10value_typeET2_T3_PNSH_ISM_E10value_typeET4_T5_PSR_SS_PNS1_23onesweep_lookback_stateEbbT6_jjT7_P12ihipStream_tbENKUlT_T0_SG_SL_E_clIS9_SA_SB_SB_EEDaSZ_S10_SG_SL_EUlSZ_E_NS1_11comp_targetILNS1_3genE10ELNS1_11target_archE1201ELNS1_3gpuE5ELNS1_3repE0EEENS1_47radix_sort_onesweep_sort_config_static_selectorELNS0_4arch9wavefront6targetE0EEEvSG_.uses_vcc, 0
	.set _ZN7rocprim17ROCPRIM_400000_NS6detail17trampoline_kernelINS0_14default_configENS1_35radix_sort_onesweep_config_selectorIlNS0_10empty_typeEEEZZNS1_29radix_sort_onesweep_iterationIS3_Lb0EPKlPlPS5_SB_mNS0_19identity_decomposerENS1_16block_id_wrapperIjLb1EEEEE10hipError_tT1_PNSt15iterator_traitsISG_E10value_typeET2_T3_PNSH_ISM_E10value_typeET4_T5_PSR_SS_PNS1_23onesweep_lookback_stateEbbT6_jjT7_P12ihipStream_tbENKUlT_T0_SG_SL_E_clIS9_SA_SB_SB_EEDaSZ_S10_SG_SL_EUlSZ_E_NS1_11comp_targetILNS1_3genE10ELNS1_11target_archE1201ELNS1_3gpuE5ELNS1_3repE0EEENS1_47radix_sort_onesweep_sort_config_static_selectorELNS0_4arch9wavefront6targetE0EEEvSG_.uses_flat_scratch, 0
	.set _ZN7rocprim17ROCPRIM_400000_NS6detail17trampoline_kernelINS0_14default_configENS1_35radix_sort_onesweep_config_selectorIlNS0_10empty_typeEEEZZNS1_29radix_sort_onesweep_iterationIS3_Lb0EPKlPlPS5_SB_mNS0_19identity_decomposerENS1_16block_id_wrapperIjLb1EEEEE10hipError_tT1_PNSt15iterator_traitsISG_E10value_typeET2_T3_PNSH_ISM_E10value_typeET4_T5_PSR_SS_PNS1_23onesweep_lookback_stateEbbT6_jjT7_P12ihipStream_tbENKUlT_T0_SG_SL_E_clIS9_SA_SB_SB_EEDaSZ_S10_SG_SL_EUlSZ_E_NS1_11comp_targetILNS1_3genE10ELNS1_11target_archE1201ELNS1_3gpuE5ELNS1_3repE0EEENS1_47radix_sort_onesweep_sort_config_static_selectorELNS0_4arch9wavefront6targetE0EEEvSG_.has_dyn_sized_stack, 0
	.set _ZN7rocprim17ROCPRIM_400000_NS6detail17trampoline_kernelINS0_14default_configENS1_35radix_sort_onesweep_config_selectorIlNS0_10empty_typeEEEZZNS1_29radix_sort_onesweep_iterationIS3_Lb0EPKlPlPS5_SB_mNS0_19identity_decomposerENS1_16block_id_wrapperIjLb1EEEEE10hipError_tT1_PNSt15iterator_traitsISG_E10value_typeET2_T3_PNSH_ISM_E10value_typeET4_T5_PSR_SS_PNS1_23onesweep_lookback_stateEbbT6_jjT7_P12ihipStream_tbENKUlT_T0_SG_SL_E_clIS9_SA_SB_SB_EEDaSZ_S10_SG_SL_EUlSZ_E_NS1_11comp_targetILNS1_3genE10ELNS1_11target_archE1201ELNS1_3gpuE5ELNS1_3repE0EEENS1_47radix_sort_onesweep_sort_config_static_selectorELNS0_4arch9wavefront6targetE0EEEvSG_.has_recursion, 0
	.set _ZN7rocprim17ROCPRIM_400000_NS6detail17trampoline_kernelINS0_14default_configENS1_35radix_sort_onesweep_config_selectorIlNS0_10empty_typeEEEZZNS1_29radix_sort_onesweep_iterationIS3_Lb0EPKlPlPS5_SB_mNS0_19identity_decomposerENS1_16block_id_wrapperIjLb1EEEEE10hipError_tT1_PNSt15iterator_traitsISG_E10value_typeET2_T3_PNSH_ISM_E10value_typeET4_T5_PSR_SS_PNS1_23onesweep_lookback_stateEbbT6_jjT7_P12ihipStream_tbENKUlT_T0_SG_SL_E_clIS9_SA_SB_SB_EEDaSZ_S10_SG_SL_EUlSZ_E_NS1_11comp_targetILNS1_3genE10ELNS1_11target_archE1201ELNS1_3gpuE5ELNS1_3repE0EEENS1_47radix_sort_onesweep_sort_config_static_selectorELNS0_4arch9wavefront6targetE0EEEvSG_.has_indirect_call, 0
	.section	.AMDGPU.csdata,"",@progbits
; Kernel info:
; codeLenInByte = 0
; TotalNumSgprs: 0
; NumVgprs: 0
; ScratchSize: 0
; MemoryBound: 0
; FloatMode: 240
; IeeeMode: 1
; LDSByteSize: 0 bytes/workgroup (compile time only)
; SGPRBlocks: 0
; VGPRBlocks: 0
; NumSGPRsForWavesPerEU: 1
; NumVGPRsForWavesPerEU: 1
; NamedBarCnt: 0
; Occupancy: 16
; WaveLimiterHint : 0
; COMPUTE_PGM_RSRC2:SCRATCH_EN: 0
; COMPUTE_PGM_RSRC2:USER_SGPR: 2
; COMPUTE_PGM_RSRC2:TRAP_HANDLER: 0
; COMPUTE_PGM_RSRC2:TGID_X_EN: 1
; COMPUTE_PGM_RSRC2:TGID_Y_EN: 0
; COMPUTE_PGM_RSRC2:TGID_Z_EN: 0
; COMPUTE_PGM_RSRC2:TIDIG_COMP_CNT: 0
	.section	.text._ZN7rocprim17ROCPRIM_400000_NS6detail17trampoline_kernelINS0_14default_configENS1_35radix_sort_onesweep_config_selectorIlNS0_10empty_typeEEEZZNS1_29radix_sort_onesweep_iterationIS3_Lb0EPKlPlPS5_SB_mNS0_19identity_decomposerENS1_16block_id_wrapperIjLb1EEEEE10hipError_tT1_PNSt15iterator_traitsISG_E10value_typeET2_T3_PNSH_ISM_E10value_typeET4_T5_PSR_SS_PNS1_23onesweep_lookback_stateEbbT6_jjT7_P12ihipStream_tbENKUlT_T0_SG_SL_E_clIS9_SA_SB_SB_EEDaSZ_S10_SG_SL_EUlSZ_E_NS1_11comp_targetILNS1_3genE9ELNS1_11target_archE1100ELNS1_3gpuE3ELNS1_3repE0EEENS1_47radix_sort_onesweep_sort_config_static_selectorELNS0_4arch9wavefront6targetE0EEEvSG_,"axG",@progbits,_ZN7rocprim17ROCPRIM_400000_NS6detail17trampoline_kernelINS0_14default_configENS1_35radix_sort_onesweep_config_selectorIlNS0_10empty_typeEEEZZNS1_29radix_sort_onesweep_iterationIS3_Lb0EPKlPlPS5_SB_mNS0_19identity_decomposerENS1_16block_id_wrapperIjLb1EEEEE10hipError_tT1_PNSt15iterator_traitsISG_E10value_typeET2_T3_PNSH_ISM_E10value_typeET4_T5_PSR_SS_PNS1_23onesweep_lookback_stateEbbT6_jjT7_P12ihipStream_tbENKUlT_T0_SG_SL_E_clIS9_SA_SB_SB_EEDaSZ_S10_SG_SL_EUlSZ_E_NS1_11comp_targetILNS1_3genE9ELNS1_11target_archE1100ELNS1_3gpuE3ELNS1_3repE0EEENS1_47radix_sort_onesweep_sort_config_static_selectorELNS0_4arch9wavefront6targetE0EEEvSG_,comdat
	.protected	_ZN7rocprim17ROCPRIM_400000_NS6detail17trampoline_kernelINS0_14default_configENS1_35radix_sort_onesweep_config_selectorIlNS0_10empty_typeEEEZZNS1_29radix_sort_onesweep_iterationIS3_Lb0EPKlPlPS5_SB_mNS0_19identity_decomposerENS1_16block_id_wrapperIjLb1EEEEE10hipError_tT1_PNSt15iterator_traitsISG_E10value_typeET2_T3_PNSH_ISM_E10value_typeET4_T5_PSR_SS_PNS1_23onesweep_lookback_stateEbbT6_jjT7_P12ihipStream_tbENKUlT_T0_SG_SL_E_clIS9_SA_SB_SB_EEDaSZ_S10_SG_SL_EUlSZ_E_NS1_11comp_targetILNS1_3genE9ELNS1_11target_archE1100ELNS1_3gpuE3ELNS1_3repE0EEENS1_47radix_sort_onesweep_sort_config_static_selectorELNS0_4arch9wavefront6targetE0EEEvSG_ ; -- Begin function _ZN7rocprim17ROCPRIM_400000_NS6detail17trampoline_kernelINS0_14default_configENS1_35radix_sort_onesweep_config_selectorIlNS0_10empty_typeEEEZZNS1_29radix_sort_onesweep_iterationIS3_Lb0EPKlPlPS5_SB_mNS0_19identity_decomposerENS1_16block_id_wrapperIjLb1EEEEE10hipError_tT1_PNSt15iterator_traitsISG_E10value_typeET2_T3_PNSH_ISM_E10value_typeET4_T5_PSR_SS_PNS1_23onesweep_lookback_stateEbbT6_jjT7_P12ihipStream_tbENKUlT_T0_SG_SL_E_clIS9_SA_SB_SB_EEDaSZ_S10_SG_SL_EUlSZ_E_NS1_11comp_targetILNS1_3genE9ELNS1_11target_archE1100ELNS1_3gpuE3ELNS1_3repE0EEENS1_47radix_sort_onesweep_sort_config_static_selectorELNS0_4arch9wavefront6targetE0EEEvSG_
	.globl	_ZN7rocprim17ROCPRIM_400000_NS6detail17trampoline_kernelINS0_14default_configENS1_35radix_sort_onesweep_config_selectorIlNS0_10empty_typeEEEZZNS1_29radix_sort_onesweep_iterationIS3_Lb0EPKlPlPS5_SB_mNS0_19identity_decomposerENS1_16block_id_wrapperIjLb1EEEEE10hipError_tT1_PNSt15iterator_traitsISG_E10value_typeET2_T3_PNSH_ISM_E10value_typeET4_T5_PSR_SS_PNS1_23onesweep_lookback_stateEbbT6_jjT7_P12ihipStream_tbENKUlT_T0_SG_SL_E_clIS9_SA_SB_SB_EEDaSZ_S10_SG_SL_EUlSZ_E_NS1_11comp_targetILNS1_3genE9ELNS1_11target_archE1100ELNS1_3gpuE3ELNS1_3repE0EEENS1_47radix_sort_onesweep_sort_config_static_selectorELNS0_4arch9wavefront6targetE0EEEvSG_
	.p2align	8
	.type	_ZN7rocprim17ROCPRIM_400000_NS6detail17trampoline_kernelINS0_14default_configENS1_35radix_sort_onesweep_config_selectorIlNS0_10empty_typeEEEZZNS1_29radix_sort_onesweep_iterationIS3_Lb0EPKlPlPS5_SB_mNS0_19identity_decomposerENS1_16block_id_wrapperIjLb1EEEEE10hipError_tT1_PNSt15iterator_traitsISG_E10value_typeET2_T3_PNSH_ISM_E10value_typeET4_T5_PSR_SS_PNS1_23onesweep_lookback_stateEbbT6_jjT7_P12ihipStream_tbENKUlT_T0_SG_SL_E_clIS9_SA_SB_SB_EEDaSZ_S10_SG_SL_EUlSZ_E_NS1_11comp_targetILNS1_3genE9ELNS1_11target_archE1100ELNS1_3gpuE3ELNS1_3repE0EEENS1_47radix_sort_onesweep_sort_config_static_selectorELNS0_4arch9wavefront6targetE0EEEvSG_,@function
_ZN7rocprim17ROCPRIM_400000_NS6detail17trampoline_kernelINS0_14default_configENS1_35radix_sort_onesweep_config_selectorIlNS0_10empty_typeEEEZZNS1_29radix_sort_onesweep_iterationIS3_Lb0EPKlPlPS5_SB_mNS0_19identity_decomposerENS1_16block_id_wrapperIjLb1EEEEE10hipError_tT1_PNSt15iterator_traitsISG_E10value_typeET2_T3_PNSH_ISM_E10value_typeET4_T5_PSR_SS_PNS1_23onesweep_lookback_stateEbbT6_jjT7_P12ihipStream_tbENKUlT_T0_SG_SL_E_clIS9_SA_SB_SB_EEDaSZ_S10_SG_SL_EUlSZ_E_NS1_11comp_targetILNS1_3genE9ELNS1_11target_archE1100ELNS1_3gpuE3ELNS1_3repE0EEENS1_47radix_sort_onesweep_sort_config_static_selectorELNS0_4arch9wavefront6targetE0EEEvSG_: ; @_ZN7rocprim17ROCPRIM_400000_NS6detail17trampoline_kernelINS0_14default_configENS1_35radix_sort_onesweep_config_selectorIlNS0_10empty_typeEEEZZNS1_29radix_sort_onesweep_iterationIS3_Lb0EPKlPlPS5_SB_mNS0_19identity_decomposerENS1_16block_id_wrapperIjLb1EEEEE10hipError_tT1_PNSt15iterator_traitsISG_E10value_typeET2_T3_PNSH_ISM_E10value_typeET4_T5_PSR_SS_PNS1_23onesweep_lookback_stateEbbT6_jjT7_P12ihipStream_tbENKUlT_T0_SG_SL_E_clIS9_SA_SB_SB_EEDaSZ_S10_SG_SL_EUlSZ_E_NS1_11comp_targetILNS1_3genE9ELNS1_11target_archE1100ELNS1_3gpuE3ELNS1_3repE0EEENS1_47radix_sort_onesweep_sort_config_static_selectorELNS0_4arch9wavefront6targetE0EEEvSG_
; %bb.0:
	.section	.rodata,"a",@progbits
	.p2align	6, 0x0
	.amdhsa_kernel _ZN7rocprim17ROCPRIM_400000_NS6detail17trampoline_kernelINS0_14default_configENS1_35radix_sort_onesweep_config_selectorIlNS0_10empty_typeEEEZZNS1_29radix_sort_onesweep_iterationIS3_Lb0EPKlPlPS5_SB_mNS0_19identity_decomposerENS1_16block_id_wrapperIjLb1EEEEE10hipError_tT1_PNSt15iterator_traitsISG_E10value_typeET2_T3_PNSH_ISM_E10value_typeET4_T5_PSR_SS_PNS1_23onesweep_lookback_stateEbbT6_jjT7_P12ihipStream_tbENKUlT_T0_SG_SL_E_clIS9_SA_SB_SB_EEDaSZ_S10_SG_SL_EUlSZ_E_NS1_11comp_targetILNS1_3genE9ELNS1_11target_archE1100ELNS1_3gpuE3ELNS1_3repE0EEENS1_47radix_sort_onesweep_sort_config_static_selectorELNS0_4arch9wavefront6targetE0EEEvSG_
		.amdhsa_group_segment_fixed_size 0
		.amdhsa_private_segment_fixed_size 0
		.amdhsa_kernarg_size 88
		.amdhsa_user_sgpr_count 2
		.amdhsa_user_sgpr_dispatch_ptr 0
		.amdhsa_user_sgpr_queue_ptr 0
		.amdhsa_user_sgpr_kernarg_segment_ptr 1
		.amdhsa_user_sgpr_dispatch_id 0
		.amdhsa_user_sgpr_kernarg_preload_length 0
		.amdhsa_user_sgpr_kernarg_preload_offset 0
		.amdhsa_user_sgpr_private_segment_size 0
		.amdhsa_wavefront_size32 1
		.amdhsa_uses_dynamic_stack 0
		.amdhsa_enable_private_segment 0
		.amdhsa_system_sgpr_workgroup_id_x 1
		.amdhsa_system_sgpr_workgroup_id_y 0
		.amdhsa_system_sgpr_workgroup_id_z 0
		.amdhsa_system_sgpr_workgroup_info 0
		.amdhsa_system_vgpr_workitem_id 0
		.amdhsa_next_free_vgpr 1
		.amdhsa_next_free_sgpr 1
		.amdhsa_named_barrier_count 0
		.amdhsa_reserve_vcc 0
		.amdhsa_float_round_mode_32 0
		.amdhsa_float_round_mode_16_64 0
		.amdhsa_float_denorm_mode_32 3
		.amdhsa_float_denorm_mode_16_64 3
		.amdhsa_fp16_overflow 0
		.amdhsa_memory_ordered 1
		.amdhsa_forward_progress 1
		.amdhsa_inst_pref_size 0
		.amdhsa_round_robin_scheduling 0
		.amdhsa_exception_fp_ieee_invalid_op 0
		.amdhsa_exception_fp_denorm_src 0
		.amdhsa_exception_fp_ieee_div_zero 0
		.amdhsa_exception_fp_ieee_overflow 0
		.amdhsa_exception_fp_ieee_underflow 0
		.amdhsa_exception_fp_ieee_inexact 0
		.amdhsa_exception_int_div_zero 0
	.end_amdhsa_kernel
	.section	.text._ZN7rocprim17ROCPRIM_400000_NS6detail17trampoline_kernelINS0_14default_configENS1_35radix_sort_onesweep_config_selectorIlNS0_10empty_typeEEEZZNS1_29radix_sort_onesweep_iterationIS3_Lb0EPKlPlPS5_SB_mNS0_19identity_decomposerENS1_16block_id_wrapperIjLb1EEEEE10hipError_tT1_PNSt15iterator_traitsISG_E10value_typeET2_T3_PNSH_ISM_E10value_typeET4_T5_PSR_SS_PNS1_23onesweep_lookback_stateEbbT6_jjT7_P12ihipStream_tbENKUlT_T0_SG_SL_E_clIS9_SA_SB_SB_EEDaSZ_S10_SG_SL_EUlSZ_E_NS1_11comp_targetILNS1_3genE9ELNS1_11target_archE1100ELNS1_3gpuE3ELNS1_3repE0EEENS1_47radix_sort_onesweep_sort_config_static_selectorELNS0_4arch9wavefront6targetE0EEEvSG_,"axG",@progbits,_ZN7rocprim17ROCPRIM_400000_NS6detail17trampoline_kernelINS0_14default_configENS1_35radix_sort_onesweep_config_selectorIlNS0_10empty_typeEEEZZNS1_29radix_sort_onesweep_iterationIS3_Lb0EPKlPlPS5_SB_mNS0_19identity_decomposerENS1_16block_id_wrapperIjLb1EEEEE10hipError_tT1_PNSt15iterator_traitsISG_E10value_typeET2_T3_PNSH_ISM_E10value_typeET4_T5_PSR_SS_PNS1_23onesweep_lookback_stateEbbT6_jjT7_P12ihipStream_tbENKUlT_T0_SG_SL_E_clIS9_SA_SB_SB_EEDaSZ_S10_SG_SL_EUlSZ_E_NS1_11comp_targetILNS1_3genE9ELNS1_11target_archE1100ELNS1_3gpuE3ELNS1_3repE0EEENS1_47radix_sort_onesweep_sort_config_static_selectorELNS0_4arch9wavefront6targetE0EEEvSG_,comdat
.Lfunc_end1214:
	.size	_ZN7rocprim17ROCPRIM_400000_NS6detail17trampoline_kernelINS0_14default_configENS1_35radix_sort_onesweep_config_selectorIlNS0_10empty_typeEEEZZNS1_29radix_sort_onesweep_iterationIS3_Lb0EPKlPlPS5_SB_mNS0_19identity_decomposerENS1_16block_id_wrapperIjLb1EEEEE10hipError_tT1_PNSt15iterator_traitsISG_E10value_typeET2_T3_PNSH_ISM_E10value_typeET4_T5_PSR_SS_PNS1_23onesweep_lookback_stateEbbT6_jjT7_P12ihipStream_tbENKUlT_T0_SG_SL_E_clIS9_SA_SB_SB_EEDaSZ_S10_SG_SL_EUlSZ_E_NS1_11comp_targetILNS1_3genE9ELNS1_11target_archE1100ELNS1_3gpuE3ELNS1_3repE0EEENS1_47radix_sort_onesweep_sort_config_static_selectorELNS0_4arch9wavefront6targetE0EEEvSG_, .Lfunc_end1214-_ZN7rocprim17ROCPRIM_400000_NS6detail17trampoline_kernelINS0_14default_configENS1_35radix_sort_onesweep_config_selectorIlNS0_10empty_typeEEEZZNS1_29radix_sort_onesweep_iterationIS3_Lb0EPKlPlPS5_SB_mNS0_19identity_decomposerENS1_16block_id_wrapperIjLb1EEEEE10hipError_tT1_PNSt15iterator_traitsISG_E10value_typeET2_T3_PNSH_ISM_E10value_typeET4_T5_PSR_SS_PNS1_23onesweep_lookback_stateEbbT6_jjT7_P12ihipStream_tbENKUlT_T0_SG_SL_E_clIS9_SA_SB_SB_EEDaSZ_S10_SG_SL_EUlSZ_E_NS1_11comp_targetILNS1_3genE9ELNS1_11target_archE1100ELNS1_3gpuE3ELNS1_3repE0EEENS1_47radix_sort_onesweep_sort_config_static_selectorELNS0_4arch9wavefront6targetE0EEEvSG_
                                        ; -- End function
	.set _ZN7rocprim17ROCPRIM_400000_NS6detail17trampoline_kernelINS0_14default_configENS1_35radix_sort_onesweep_config_selectorIlNS0_10empty_typeEEEZZNS1_29radix_sort_onesweep_iterationIS3_Lb0EPKlPlPS5_SB_mNS0_19identity_decomposerENS1_16block_id_wrapperIjLb1EEEEE10hipError_tT1_PNSt15iterator_traitsISG_E10value_typeET2_T3_PNSH_ISM_E10value_typeET4_T5_PSR_SS_PNS1_23onesweep_lookback_stateEbbT6_jjT7_P12ihipStream_tbENKUlT_T0_SG_SL_E_clIS9_SA_SB_SB_EEDaSZ_S10_SG_SL_EUlSZ_E_NS1_11comp_targetILNS1_3genE9ELNS1_11target_archE1100ELNS1_3gpuE3ELNS1_3repE0EEENS1_47radix_sort_onesweep_sort_config_static_selectorELNS0_4arch9wavefront6targetE0EEEvSG_.num_vgpr, 0
	.set _ZN7rocprim17ROCPRIM_400000_NS6detail17trampoline_kernelINS0_14default_configENS1_35radix_sort_onesweep_config_selectorIlNS0_10empty_typeEEEZZNS1_29radix_sort_onesweep_iterationIS3_Lb0EPKlPlPS5_SB_mNS0_19identity_decomposerENS1_16block_id_wrapperIjLb1EEEEE10hipError_tT1_PNSt15iterator_traitsISG_E10value_typeET2_T3_PNSH_ISM_E10value_typeET4_T5_PSR_SS_PNS1_23onesweep_lookback_stateEbbT6_jjT7_P12ihipStream_tbENKUlT_T0_SG_SL_E_clIS9_SA_SB_SB_EEDaSZ_S10_SG_SL_EUlSZ_E_NS1_11comp_targetILNS1_3genE9ELNS1_11target_archE1100ELNS1_3gpuE3ELNS1_3repE0EEENS1_47radix_sort_onesweep_sort_config_static_selectorELNS0_4arch9wavefront6targetE0EEEvSG_.num_agpr, 0
	.set _ZN7rocprim17ROCPRIM_400000_NS6detail17trampoline_kernelINS0_14default_configENS1_35radix_sort_onesweep_config_selectorIlNS0_10empty_typeEEEZZNS1_29radix_sort_onesweep_iterationIS3_Lb0EPKlPlPS5_SB_mNS0_19identity_decomposerENS1_16block_id_wrapperIjLb1EEEEE10hipError_tT1_PNSt15iterator_traitsISG_E10value_typeET2_T3_PNSH_ISM_E10value_typeET4_T5_PSR_SS_PNS1_23onesweep_lookback_stateEbbT6_jjT7_P12ihipStream_tbENKUlT_T0_SG_SL_E_clIS9_SA_SB_SB_EEDaSZ_S10_SG_SL_EUlSZ_E_NS1_11comp_targetILNS1_3genE9ELNS1_11target_archE1100ELNS1_3gpuE3ELNS1_3repE0EEENS1_47radix_sort_onesweep_sort_config_static_selectorELNS0_4arch9wavefront6targetE0EEEvSG_.numbered_sgpr, 0
	.set _ZN7rocprim17ROCPRIM_400000_NS6detail17trampoline_kernelINS0_14default_configENS1_35radix_sort_onesweep_config_selectorIlNS0_10empty_typeEEEZZNS1_29radix_sort_onesweep_iterationIS3_Lb0EPKlPlPS5_SB_mNS0_19identity_decomposerENS1_16block_id_wrapperIjLb1EEEEE10hipError_tT1_PNSt15iterator_traitsISG_E10value_typeET2_T3_PNSH_ISM_E10value_typeET4_T5_PSR_SS_PNS1_23onesweep_lookback_stateEbbT6_jjT7_P12ihipStream_tbENKUlT_T0_SG_SL_E_clIS9_SA_SB_SB_EEDaSZ_S10_SG_SL_EUlSZ_E_NS1_11comp_targetILNS1_3genE9ELNS1_11target_archE1100ELNS1_3gpuE3ELNS1_3repE0EEENS1_47radix_sort_onesweep_sort_config_static_selectorELNS0_4arch9wavefront6targetE0EEEvSG_.num_named_barrier, 0
	.set _ZN7rocprim17ROCPRIM_400000_NS6detail17trampoline_kernelINS0_14default_configENS1_35radix_sort_onesweep_config_selectorIlNS0_10empty_typeEEEZZNS1_29radix_sort_onesweep_iterationIS3_Lb0EPKlPlPS5_SB_mNS0_19identity_decomposerENS1_16block_id_wrapperIjLb1EEEEE10hipError_tT1_PNSt15iterator_traitsISG_E10value_typeET2_T3_PNSH_ISM_E10value_typeET4_T5_PSR_SS_PNS1_23onesweep_lookback_stateEbbT6_jjT7_P12ihipStream_tbENKUlT_T0_SG_SL_E_clIS9_SA_SB_SB_EEDaSZ_S10_SG_SL_EUlSZ_E_NS1_11comp_targetILNS1_3genE9ELNS1_11target_archE1100ELNS1_3gpuE3ELNS1_3repE0EEENS1_47radix_sort_onesweep_sort_config_static_selectorELNS0_4arch9wavefront6targetE0EEEvSG_.private_seg_size, 0
	.set _ZN7rocprim17ROCPRIM_400000_NS6detail17trampoline_kernelINS0_14default_configENS1_35radix_sort_onesweep_config_selectorIlNS0_10empty_typeEEEZZNS1_29radix_sort_onesweep_iterationIS3_Lb0EPKlPlPS5_SB_mNS0_19identity_decomposerENS1_16block_id_wrapperIjLb1EEEEE10hipError_tT1_PNSt15iterator_traitsISG_E10value_typeET2_T3_PNSH_ISM_E10value_typeET4_T5_PSR_SS_PNS1_23onesweep_lookback_stateEbbT6_jjT7_P12ihipStream_tbENKUlT_T0_SG_SL_E_clIS9_SA_SB_SB_EEDaSZ_S10_SG_SL_EUlSZ_E_NS1_11comp_targetILNS1_3genE9ELNS1_11target_archE1100ELNS1_3gpuE3ELNS1_3repE0EEENS1_47radix_sort_onesweep_sort_config_static_selectorELNS0_4arch9wavefront6targetE0EEEvSG_.uses_vcc, 0
	.set _ZN7rocprim17ROCPRIM_400000_NS6detail17trampoline_kernelINS0_14default_configENS1_35radix_sort_onesweep_config_selectorIlNS0_10empty_typeEEEZZNS1_29radix_sort_onesweep_iterationIS3_Lb0EPKlPlPS5_SB_mNS0_19identity_decomposerENS1_16block_id_wrapperIjLb1EEEEE10hipError_tT1_PNSt15iterator_traitsISG_E10value_typeET2_T3_PNSH_ISM_E10value_typeET4_T5_PSR_SS_PNS1_23onesweep_lookback_stateEbbT6_jjT7_P12ihipStream_tbENKUlT_T0_SG_SL_E_clIS9_SA_SB_SB_EEDaSZ_S10_SG_SL_EUlSZ_E_NS1_11comp_targetILNS1_3genE9ELNS1_11target_archE1100ELNS1_3gpuE3ELNS1_3repE0EEENS1_47radix_sort_onesweep_sort_config_static_selectorELNS0_4arch9wavefront6targetE0EEEvSG_.uses_flat_scratch, 0
	.set _ZN7rocprim17ROCPRIM_400000_NS6detail17trampoline_kernelINS0_14default_configENS1_35radix_sort_onesweep_config_selectorIlNS0_10empty_typeEEEZZNS1_29radix_sort_onesweep_iterationIS3_Lb0EPKlPlPS5_SB_mNS0_19identity_decomposerENS1_16block_id_wrapperIjLb1EEEEE10hipError_tT1_PNSt15iterator_traitsISG_E10value_typeET2_T3_PNSH_ISM_E10value_typeET4_T5_PSR_SS_PNS1_23onesweep_lookback_stateEbbT6_jjT7_P12ihipStream_tbENKUlT_T0_SG_SL_E_clIS9_SA_SB_SB_EEDaSZ_S10_SG_SL_EUlSZ_E_NS1_11comp_targetILNS1_3genE9ELNS1_11target_archE1100ELNS1_3gpuE3ELNS1_3repE0EEENS1_47radix_sort_onesweep_sort_config_static_selectorELNS0_4arch9wavefront6targetE0EEEvSG_.has_dyn_sized_stack, 0
	.set _ZN7rocprim17ROCPRIM_400000_NS6detail17trampoline_kernelINS0_14default_configENS1_35radix_sort_onesweep_config_selectorIlNS0_10empty_typeEEEZZNS1_29radix_sort_onesweep_iterationIS3_Lb0EPKlPlPS5_SB_mNS0_19identity_decomposerENS1_16block_id_wrapperIjLb1EEEEE10hipError_tT1_PNSt15iterator_traitsISG_E10value_typeET2_T3_PNSH_ISM_E10value_typeET4_T5_PSR_SS_PNS1_23onesweep_lookback_stateEbbT6_jjT7_P12ihipStream_tbENKUlT_T0_SG_SL_E_clIS9_SA_SB_SB_EEDaSZ_S10_SG_SL_EUlSZ_E_NS1_11comp_targetILNS1_3genE9ELNS1_11target_archE1100ELNS1_3gpuE3ELNS1_3repE0EEENS1_47radix_sort_onesweep_sort_config_static_selectorELNS0_4arch9wavefront6targetE0EEEvSG_.has_recursion, 0
	.set _ZN7rocprim17ROCPRIM_400000_NS6detail17trampoline_kernelINS0_14default_configENS1_35radix_sort_onesweep_config_selectorIlNS0_10empty_typeEEEZZNS1_29radix_sort_onesweep_iterationIS3_Lb0EPKlPlPS5_SB_mNS0_19identity_decomposerENS1_16block_id_wrapperIjLb1EEEEE10hipError_tT1_PNSt15iterator_traitsISG_E10value_typeET2_T3_PNSH_ISM_E10value_typeET4_T5_PSR_SS_PNS1_23onesweep_lookback_stateEbbT6_jjT7_P12ihipStream_tbENKUlT_T0_SG_SL_E_clIS9_SA_SB_SB_EEDaSZ_S10_SG_SL_EUlSZ_E_NS1_11comp_targetILNS1_3genE9ELNS1_11target_archE1100ELNS1_3gpuE3ELNS1_3repE0EEENS1_47radix_sort_onesweep_sort_config_static_selectorELNS0_4arch9wavefront6targetE0EEEvSG_.has_indirect_call, 0
	.section	.AMDGPU.csdata,"",@progbits
; Kernel info:
; codeLenInByte = 0
; TotalNumSgprs: 0
; NumVgprs: 0
; ScratchSize: 0
; MemoryBound: 0
; FloatMode: 240
; IeeeMode: 1
; LDSByteSize: 0 bytes/workgroup (compile time only)
; SGPRBlocks: 0
; VGPRBlocks: 0
; NumSGPRsForWavesPerEU: 1
; NumVGPRsForWavesPerEU: 1
; NamedBarCnt: 0
; Occupancy: 16
; WaveLimiterHint : 0
; COMPUTE_PGM_RSRC2:SCRATCH_EN: 0
; COMPUTE_PGM_RSRC2:USER_SGPR: 2
; COMPUTE_PGM_RSRC2:TRAP_HANDLER: 0
; COMPUTE_PGM_RSRC2:TGID_X_EN: 1
; COMPUTE_PGM_RSRC2:TGID_Y_EN: 0
; COMPUTE_PGM_RSRC2:TGID_Z_EN: 0
; COMPUTE_PGM_RSRC2:TIDIG_COMP_CNT: 0
	.section	.text._ZN7rocprim17ROCPRIM_400000_NS6detail17trampoline_kernelINS0_14default_configENS1_35radix_sort_onesweep_config_selectorIlNS0_10empty_typeEEEZZNS1_29radix_sort_onesweep_iterationIS3_Lb0EPKlPlPS5_SB_mNS0_19identity_decomposerENS1_16block_id_wrapperIjLb1EEEEE10hipError_tT1_PNSt15iterator_traitsISG_E10value_typeET2_T3_PNSH_ISM_E10value_typeET4_T5_PSR_SS_PNS1_23onesweep_lookback_stateEbbT6_jjT7_P12ihipStream_tbENKUlT_T0_SG_SL_E_clIS9_SA_SB_SB_EEDaSZ_S10_SG_SL_EUlSZ_E_NS1_11comp_targetILNS1_3genE8ELNS1_11target_archE1030ELNS1_3gpuE2ELNS1_3repE0EEENS1_47radix_sort_onesweep_sort_config_static_selectorELNS0_4arch9wavefront6targetE0EEEvSG_,"axG",@progbits,_ZN7rocprim17ROCPRIM_400000_NS6detail17trampoline_kernelINS0_14default_configENS1_35radix_sort_onesweep_config_selectorIlNS0_10empty_typeEEEZZNS1_29radix_sort_onesweep_iterationIS3_Lb0EPKlPlPS5_SB_mNS0_19identity_decomposerENS1_16block_id_wrapperIjLb1EEEEE10hipError_tT1_PNSt15iterator_traitsISG_E10value_typeET2_T3_PNSH_ISM_E10value_typeET4_T5_PSR_SS_PNS1_23onesweep_lookback_stateEbbT6_jjT7_P12ihipStream_tbENKUlT_T0_SG_SL_E_clIS9_SA_SB_SB_EEDaSZ_S10_SG_SL_EUlSZ_E_NS1_11comp_targetILNS1_3genE8ELNS1_11target_archE1030ELNS1_3gpuE2ELNS1_3repE0EEENS1_47radix_sort_onesweep_sort_config_static_selectorELNS0_4arch9wavefront6targetE0EEEvSG_,comdat
	.protected	_ZN7rocprim17ROCPRIM_400000_NS6detail17trampoline_kernelINS0_14default_configENS1_35radix_sort_onesweep_config_selectorIlNS0_10empty_typeEEEZZNS1_29radix_sort_onesweep_iterationIS3_Lb0EPKlPlPS5_SB_mNS0_19identity_decomposerENS1_16block_id_wrapperIjLb1EEEEE10hipError_tT1_PNSt15iterator_traitsISG_E10value_typeET2_T3_PNSH_ISM_E10value_typeET4_T5_PSR_SS_PNS1_23onesweep_lookback_stateEbbT6_jjT7_P12ihipStream_tbENKUlT_T0_SG_SL_E_clIS9_SA_SB_SB_EEDaSZ_S10_SG_SL_EUlSZ_E_NS1_11comp_targetILNS1_3genE8ELNS1_11target_archE1030ELNS1_3gpuE2ELNS1_3repE0EEENS1_47radix_sort_onesweep_sort_config_static_selectorELNS0_4arch9wavefront6targetE0EEEvSG_ ; -- Begin function _ZN7rocprim17ROCPRIM_400000_NS6detail17trampoline_kernelINS0_14default_configENS1_35radix_sort_onesweep_config_selectorIlNS0_10empty_typeEEEZZNS1_29radix_sort_onesweep_iterationIS3_Lb0EPKlPlPS5_SB_mNS0_19identity_decomposerENS1_16block_id_wrapperIjLb1EEEEE10hipError_tT1_PNSt15iterator_traitsISG_E10value_typeET2_T3_PNSH_ISM_E10value_typeET4_T5_PSR_SS_PNS1_23onesweep_lookback_stateEbbT6_jjT7_P12ihipStream_tbENKUlT_T0_SG_SL_E_clIS9_SA_SB_SB_EEDaSZ_S10_SG_SL_EUlSZ_E_NS1_11comp_targetILNS1_3genE8ELNS1_11target_archE1030ELNS1_3gpuE2ELNS1_3repE0EEENS1_47radix_sort_onesweep_sort_config_static_selectorELNS0_4arch9wavefront6targetE0EEEvSG_
	.globl	_ZN7rocprim17ROCPRIM_400000_NS6detail17trampoline_kernelINS0_14default_configENS1_35radix_sort_onesweep_config_selectorIlNS0_10empty_typeEEEZZNS1_29radix_sort_onesweep_iterationIS3_Lb0EPKlPlPS5_SB_mNS0_19identity_decomposerENS1_16block_id_wrapperIjLb1EEEEE10hipError_tT1_PNSt15iterator_traitsISG_E10value_typeET2_T3_PNSH_ISM_E10value_typeET4_T5_PSR_SS_PNS1_23onesweep_lookback_stateEbbT6_jjT7_P12ihipStream_tbENKUlT_T0_SG_SL_E_clIS9_SA_SB_SB_EEDaSZ_S10_SG_SL_EUlSZ_E_NS1_11comp_targetILNS1_3genE8ELNS1_11target_archE1030ELNS1_3gpuE2ELNS1_3repE0EEENS1_47radix_sort_onesweep_sort_config_static_selectorELNS0_4arch9wavefront6targetE0EEEvSG_
	.p2align	8
	.type	_ZN7rocprim17ROCPRIM_400000_NS6detail17trampoline_kernelINS0_14default_configENS1_35radix_sort_onesweep_config_selectorIlNS0_10empty_typeEEEZZNS1_29radix_sort_onesweep_iterationIS3_Lb0EPKlPlPS5_SB_mNS0_19identity_decomposerENS1_16block_id_wrapperIjLb1EEEEE10hipError_tT1_PNSt15iterator_traitsISG_E10value_typeET2_T3_PNSH_ISM_E10value_typeET4_T5_PSR_SS_PNS1_23onesweep_lookback_stateEbbT6_jjT7_P12ihipStream_tbENKUlT_T0_SG_SL_E_clIS9_SA_SB_SB_EEDaSZ_S10_SG_SL_EUlSZ_E_NS1_11comp_targetILNS1_3genE8ELNS1_11target_archE1030ELNS1_3gpuE2ELNS1_3repE0EEENS1_47radix_sort_onesweep_sort_config_static_selectorELNS0_4arch9wavefront6targetE0EEEvSG_,@function
_ZN7rocprim17ROCPRIM_400000_NS6detail17trampoline_kernelINS0_14default_configENS1_35radix_sort_onesweep_config_selectorIlNS0_10empty_typeEEEZZNS1_29radix_sort_onesweep_iterationIS3_Lb0EPKlPlPS5_SB_mNS0_19identity_decomposerENS1_16block_id_wrapperIjLb1EEEEE10hipError_tT1_PNSt15iterator_traitsISG_E10value_typeET2_T3_PNSH_ISM_E10value_typeET4_T5_PSR_SS_PNS1_23onesweep_lookback_stateEbbT6_jjT7_P12ihipStream_tbENKUlT_T0_SG_SL_E_clIS9_SA_SB_SB_EEDaSZ_S10_SG_SL_EUlSZ_E_NS1_11comp_targetILNS1_3genE8ELNS1_11target_archE1030ELNS1_3gpuE2ELNS1_3repE0EEENS1_47radix_sort_onesweep_sort_config_static_selectorELNS0_4arch9wavefront6targetE0EEEvSG_: ; @_ZN7rocprim17ROCPRIM_400000_NS6detail17trampoline_kernelINS0_14default_configENS1_35radix_sort_onesweep_config_selectorIlNS0_10empty_typeEEEZZNS1_29radix_sort_onesweep_iterationIS3_Lb0EPKlPlPS5_SB_mNS0_19identity_decomposerENS1_16block_id_wrapperIjLb1EEEEE10hipError_tT1_PNSt15iterator_traitsISG_E10value_typeET2_T3_PNSH_ISM_E10value_typeET4_T5_PSR_SS_PNS1_23onesweep_lookback_stateEbbT6_jjT7_P12ihipStream_tbENKUlT_T0_SG_SL_E_clIS9_SA_SB_SB_EEDaSZ_S10_SG_SL_EUlSZ_E_NS1_11comp_targetILNS1_3genE8ELNS1_11target_archE1030ELNS1_3gpuE2ELNS1_3repE0EEENS1_47radix_sort_onesweep_sort_config_static_selectorELNS0_4arch9wavefront6targetE0EEEvSG_
; %bb.0:
	.section	.rodata,"a",@progbits
	.p2align	6, 0x0
	.amdhsa_kernel _ZN7rocprim17ROCPRIM_400000_NS6detail17trampoline_kernelINS0_14default_configENS1_35radix_sort_onesweep_config_selectorIlNS0_10empty_typeEEEZZNS1_29radix_sort_onesweep_iterationIS3_Lb0EPKlPlPS5_SB_mNS0_19identity_decomposerENS1_16block_id_wrapperIjLb1EEEEE10hipError_tT1_PNSt15iterator_traitsISG_E10value_typeET2_T3_PNSH_ISM_E10value_typeET4_T5_PSR_SS_PNS1_23onesweep_lookback_stateEbbT6_jjT7_P12ihipStream_tbENKUlT_T0_SG_SL_E_clIS9_SA_SB_SB_EEDaSZ_S10_SG_SL_EUlSZ_E_NS1_11comp_targetILNS1_3genE8ELNS1_11target_archE1030ELNS1_3gpuE2ELNS1_3repE0EEENS1_47radix_sort_onesweep_sort_config_static_selectorELNS0_4arch9wavefront6targetE0EEEvSG_
		.amdhsa_group_segment_fixed_size 0
		.amdhsa_private_segment_fixed_size 0
		.amdhsa_kernarg_size 88
		.amdhsa_user_sgpr_count 2
		.amdhsa_user_sgpr_dispatch_ptr 0
		.amdhsa_user_sgpr_queue_ptr 0
		.amdhsa_user_sgpr_kernarg_segment_ptr 1
		.amdhsa_user_sgpr_dispatch_id 0
		.amdhsa_user_sgpr_kernarg_preload_length 0
		.amdhsa_user_sgpr_kernarg_preload_offset 0
		.amdhsa_user_sgpr_private_segment_size 0
		.amdhsa_wavefront_size32 1
		.amdhsa_uses_dynamic_stack 0
		.amdhsa_enable_private_segment 0
		.amdhsa_system_sgpr_workgroup_id_x 1
		.amdhsa_system_sgpr_workgroup_id_y 0
		.amdhsa_system_sgpr_workgroup_id_z 0
		.amdhsa_system_sgpr_workgroup_info 0
		.amdhsa_system_vgpr_workitem_id 0
		.amdhsa_next_free_vgpr 1
		.amdhsa_next_free_sgpr 1
		.amdhsa_named_barrier_count 0
		.amdhsa_reserve_vcc 0
		.amdhsa_float_round_mode_32 0
		.amdhsa_float_round_mode_16_64 0
		.amdhsa_float_denorm_mode_32 3
		.amdhsa_float_denorm_mode_16_64 3
		.amdhsa_fp16_overflow 0
		.amdhsa_memory_ordered 1
		.amdhsa_forward_progress 1
		.amdhsa_inst_pref_size 0
		.amdhsa_round_robin_scheduling 0
		.amdhsa_exception_fp_ieee_invalid_op 0
		.amdhsa_exception_fp_denorm_src 0
		.amdhsa_exception_fp_ieee_div_zero 0
		.amdhsa_exception_fp_ieee_overflow 0
		.amdhsa_exception_fp_ieee_underflow 0
		.amdhsa_exception_fp_ieee_inexact 0
		.amdhsa_exception_int_div_zero 0
	.end_amdhsa_kernel
	.section	.text._ZN7rocprim17ROCPRIM_400000_NS6detail17trampoline_kernelINS0_14default_configENS1_35radix_sort_onesweep_config_selectorIlNS0_10empty_typeEEEZZNS1_29radix_sort_onesweep_iterationIS3_Lb0EPKlPlPS5_SB_mNS0_19identity_decomposerENS1_16block_id_wrapperIjLb1EEEEE10hipError_tT1_PNSt15iterator_traitsISG_E10value_typeET2_T3_PNSH_ISM_E10value_typeET4_T5_PSR_SS_PNS1_23onesweep_lookback_stateEbbT6_jjT7_P12ihipStream_tbENKUlT_T0_SG_SL_E_clIS9_SA_SB_SB_EEDaSZ_S10_SG_SL_EUlSZ_E_NS1_11comp_targetILNS1_3genE8ELNS1_11target_archE1030ELNS1_3gpuE2ELNS1_3repE0EEENS1_47radix_sort_onesweep_sort_config_static_selectorELNS0_4arch9wavefront6targetE0EEEvSG_,"axG",@progbits,_ZN7rocprim17ROCPRIM_400000_NS6detail17trampoline_kernelINS0_14default_configENS1_35radix_sort_onesweep_config_selectorIlNS0_10empty_typeEEEZZNS1_29radix_sort_onesweep_iterationIS3_Lb0EPKlPlPS5_SB_mNS0_19identity_decomposerENS1_16block_id_wrapperIjLb1EEEEE10hipError_tT1_PNSt15iterator_traitsISG_E10value_typeET2_T3_PNSH_ISM_E10value_typeET4_T5_PSR_SS_PNS1_23onesweep_lookback_stateEbbT6_jjT7_P12ihipStream_tbENKUlT_T0_SG_SL_E_clIS9_SA_SB_SB_EEDaSZ_S10_SG_SL_EUlSZ_E_NS1_11comp_targetILNS1_3genE8ELNS1_11target_archE1030ELNS1_3gpuE2ELNS1_3repE0EEENS1_47radix_sort_onesweep_sort_config_static_selectorELNS0_4arch9wavefront6targetE0EEEvSG_,comdat
.Lfunc_end1215:
	.size	_ZN7rocprim17ROCPRIM_400000_NS6detail17trampoline_kernelINS0_14default_configENS1_35radix_sort_onesweep_config_selectorIlNS0_10empty_typeEEEZZNS1_29radix_sort_onesweep_iterationIS3_Lb0EPKlPlPS5_SB_mNS0_19identity_decomposerENS1_16block_id_wrapperIjLb1EEEEE10hipError_tT1_PNSt15iterator_traitsISG_E10value_typeET2_T3_PNSH_ISM_E10value_typeET4_T5_PSR_SS_PNS1_23onesweep_lookback_stateEbbT6_jjT7_P12ihipStream_tbENKUlT_T0_SG_SL_E_clIS9_SA_SB_SB_EEDaSZ_S10_SG_SL_EUlSZ_E_NS1_11comp_targetILNS1_3genE8ELNS1_11target_archE1030ELNS1_3gpuE2ELNS1_3repE0EEENS1_47radix_sort_onesweep_sort_config_static_selectorELNS0_4arch9wavefront6targetE0EEEvSG_, .Lfunc_end1215-_ZN7rocprim17ROCPRIM_400000_NS6detail17trampoline_kernelINS0_14default_configENS1_35radix_sort_onesweep_config_selectorIlNS0_10empty_typeEEEZZNS1_29radix_sort_onesweep_iterationIS3_Lb0EPKlPlPS5_SB_mNS0_19identity_decomposerENS1_16block_id_wrapperIjLb1EEEEE10hipError_tT1_PNSt15iterator_traitsISG_E10value_typeET2_T3_PNSH_ISM_E10value_typeET4_T5_PSR_SS_PNS1_23onesweep_lookback_stateEbbT6_jjT7_P12ihipStream_tbENKUlT_T0_SG_SL_E_clIS9_SA_SB_SB_EEDaSZ_S10_SG_SL_EUlSZ_E_NS1_11comp_targetILNS1_3genE8ELNS1_11target_archE1030ELNS1_3gpuE2ELNS1_3repE0EEENS1_47radix_sort_onesweep_sort_config_static_selectorELNS0_4arch9wavefront6targetE0EEEvSG_
                                        ; -- End function
	.set _ZN7rocprim17ROCPRIM_400000_NS6detail17trampoline_kernelINS0_14default_configENS1_35radix_sort_onesweep_config_selectorIlNS0_10empty_typeEEEZZNS1_29radix_sort_onesweep_iterationIS3_Lb0EPKlPlPS5_SB_mNS0_19identity_decomposerENS1_16block_id_wrapperIjLb1EEEEE10hipError_tT1_PNSt15iterator_traitsISG_E10value_typeET2_T3_PNSH_ISM_E10value_typeET4_T5_PSR_SS_PNS1_23onesweep_lookback_stateEbbT6_jjT7_P12ihipStream_tbENKUlT_T0_SG_SL_E_clIS9_SA_SB_SB_EEDaSZ_S10_SG_SL_EUlSZ_E_NS1_11comp_targetILNS1_3genE8ELNS1_11target_archE1030ELNS1_3gpuE2ELNS1_3repE0EEENS1_47radix_sort_onesweep_sort_config_static_selectorELNS0_4arch9wavefront6targetE0EEEvSG_.num_vgpr, 0
	.set _ZN7rocprim17ROCPRIM_400000_NS6detail17trampoline_kernelINS0_14default_configENS1_35radix_sort_onesweep_config_selectorIlNS0_10empty_typeEEEZZNS1_29radix_sort_onesweep_iterationIS3_Lb0EPKlPlPS5_SB_mNS0_19identity_decomposerENS1_16block_id_wrapperIjLb1EEEEE10hipError_tT1_PNSt15iterator_traitsISG_E10value_typeET2_T3_PNSH_ISM_E10value_typeET4_T5_PSR_SS_PNS1_23onesweep_lookback_stateEbbT6_jjT7_P12ihipStream_tbENKUlT_T0_SG_SL_E_clIS9_SA_SB_SB_EEDaSZ_S10_SG_SL_EUlSZ_E_NS1_11comp_targetILNS1_3genE8ELNS1_11target_archE1030ELNS1_3gpuE2ELNS1_3repE0EEENS1_47radix_sort_onesweep_sort_config_static_selectorELNS0_4arch9wavefront6targetE0EEEvSG_.num_agpr, 0
	.set _ZN7rocprim17ROCPRIM_400000_NS6detail17trampoline_kernelINS0_14default_configENS1_35radix_sort_onesweep_config_selectorIlNS0_10empty_typeEEEZZNS1_29radix_sort_onesweep_iterationIS3_Lb0EPKlPlPS5_SB_mNS0_19identity_decomposerENS1_16block_id_wrapperIjLb1EEEEE10hipError_tT1_PNSt15iterator_traitsISG_E10value_typeET2_T3_PNSH_ISM_E10value_typeET4_T5_PSR_SS_PNS1_23onesweep_lookback_stateEbbT6_jjT7_P12ihipStream_tbENKUlT_T0_SG_SL_E_clIS9_SA_SB_SB_EEDaSZ_S10_SG_SL_EUlSZ_E_NS1_11comp_targetILNS1_3genE8ELNS1_11target_archE1030ELNS1_3gpuE2ELNS1_3repE0EEENS1_47radix_sort_onesweep_sort_config_static_selectorELNS0_4arch9wavefront6targetE0EEEvSG_.numbered_sgpr, 0
	.set _ZN7rocprim17ROCPRIM_400000_NS6detail17trampoline_kernelINS0_14default_configENS1_35radix_sort_onesweep_config_selectorIlNS0_10empty_typeEEEZZNS1_29radix_sort_onesweep_iterationIS3_Lb0EPKlPlPS5_SB_mNS0_19identity_decomposerENS1_16block_id_wrapperIjLb1EEEEE10hipError_tT1_PNSt15iterator_traitsISG_E10value_typeET2_T3_PNSH_ISM_E10value_typeET4_T5_PSR_SS_PNS1_23onesweep_lookback_stateEbbT6_jjT7_P12ihipStream_tbENKUlT_T0_SG_SL_E_clIS9_SA_SB_SB_EEDaSZ_S10_SG_SL_EUlSZ_E_NS1_11comp_targetILNS1_3genE8ELNS1_11target_archE1030ELNS1_3gpuE2ELNS1_3repE0EEENS1_47radix_sort_onesweep_sort_config_static_selectorELNS0_4arch9wavefront6targetE0EEEvSG_.num_named_barrier, 0
	.set _ZN7rocprim17ROCPRIM_400000_NS6detail17trampoline_kernelINS0_14default_configENS1_35radix_sort_onesweep_config_selectorIlNS0_10empty_typeEEEZZNS1_29radix_sort_onesweep_iterationIS3_Lb0EPKlPlPS5_SB_mNS0_19identity_decomposerENS1_16block_id_wrapperIjLb1EEEEE10hipError_tT1_PNSt15iterator_traitsISG_E10value_typeET2_T3_PNSH_ISM_E10value_typeET4_T5_PSR_SS_PNS1_23onesweep_lookback_stateEbbT6_jjT7_P12ihipStream_tbENKUlT_T0_SG_SL_E_clIS9_SA_SB_SB_EEDaSZ_S10_SG_SL_EUlSZ_E_NS1_11comp_targetILNS1_3genE8ELNS1_11target_archE1030ELNS1_3gpuE2ELNS1_3repE0EEENS1_47radix_sort_onesweep_sort_config_static_selectorELNS0_4arch9wavefront6targetE0EEEvSG_.private_seg_size, 0
	.set _ZN7rocprim17ROCPRIM_400000_NS6detail17trampoline_kernelINS0_14default_configENS1_35radix_sort_onesweep_config_selectorIlNS0_10empty_typeEEEZZNS1_29radix_sort_onesweep_iterationIS3_Lb0EPKlPlPS5_SB_mNS0_19identity_decomposerENS1_16block_id_wrapperIjLb1EEEEE10hipError_tT1_PNSt15iterator_traitsISG_E10value_typeET2_T3_PNSH_ISM_E10value_typeET4_T5_PSR_SS_PNS1_23onesweep_lookback_stateEbbT6_jjT7_P12ihipStream_tbENKUlT_T0_SG_SL_E_clIS9_SA_SB_SB_EEDaSZ_S10_SG_SL_EUlSZ_E_NS1_11comp_targetILNS1_3genE8ELNS1_11target_archE1030ELNS1_3gpuE2ELNS1_3repE0EEENS1_47radix_sort_onesweep_sort_config_static_selectorELNS0_4arch9wavefront6targetE0EEEvSG_.uses_vcc, 0
	.set _ZN7rocprim17ROCPRIM_400000_NS6detail17trampoline_kernelINS0_14default_configENS1_35radix_sort_onesweep_config_selectorIlNS0_10empty_typeEEEZZNS1_29radix_sort_onesweep_iterationIS3_Lb0EPKlPlPS5_SB_mNS0_19identity_decomposerENS1_16block_id_wrapperIjLb1EEEEE10hipError_tT1_PNSt15iterator_traitsISG_E10value_typeET2_T3_PNSH_ISM_E10value_typeET4_T5_PSR_SS_PNS1_23onesweep_lookback_stateEbbT6_jjT7_P12ihipStream_tbENKUlT_T0_SG_SL_E_clIS9_SA_SB_SB_EEDaSZ_S10_SG_SL_EUlSZ_E_NS1_11comp_targetILNS1_3genE8ELNS1_11target_archE1030ELNS1_3gpuE2ELNS1_3repE0EEENS1_47radix_sort_onesweep_sort_config_static_selectorELNS0_4arch9wavefront6targetE0EEEvSG_.uses_flat_scratch, 0
	.set _ZN7rocprim17ROCPRIM_400000_NS6detail17trampoline_kernelINS0_14default_configENS1_35radix_sort_onesweep_config_selectorIlNS0_10empty_typeEEEZZNS1_29radix_sort_onesweep_iterationIS3_Lb0EPKlPlPS5_SB_mNS0_19identity_decomposerENS1_16block_id_wrapperIjLb1EEEEE10hipError_tT1_PNSt15iterator_traitsISG_E10value_typeET2_T3_PNSH_ISM_E10value_typeET4_T5_PSR_SS_PNS1_23onesweep_lookback_stateEbbT6_jjT7_P12ihipStream_tbENKUlT_T0_SG_SL_E_clIS9_SA_SB_SB_EEDaSZ_S10_SG_SL_EUlSZ_E_NS1_11comp_targetILNS1_3genE8ELNS1_11target_archE1030ELNS1_3gpuE2ELNS1_3repE0EEENS1_47radix_sort_onesweep_sort_config_static_selectorELNS0_4arch9wavefront6targetE0EEEvSG_.has_dyn_sized_stack, 0
	.set _ZN7rocprim17ROCPRIM_400000_NS6detail17trampoline_kernelINS0_14default_configENS1_35radix_sort_onesweep_config_selectorIlNS0_10empty_typeEEEZZNS1_29radix_sort_onesweep_iterationIS3_Lb0EPKlPlPS5_SB_mNS0_19identity_decomposerENS1_16block_id_wrapperIjLb1EEEEE10hipError_tT1_PNSt15iterator_traitsISG_E10value_typeET2_T3_PNSH_ISM_E10value_typeET4_T5_PSR_SS_PNS1_23onesweep_lookback_stateEbbT6_jjT7_P12ihipStream_tbENKUlT_T0_SG_SL_E_clIS9_SA_SB_SB_EEDaSZ_S10_SG_SL_EUlSZ_E_NS1_11comp_targetILNS1_3genE8ELNS1_11target_archE1030ELNS1_3gpuE2ELNS1_3repE0EEENS1_47radix_sort_onesweep_sort_config_static_selectorELNS0_4arch9wavefront6targetE0EEEvSG_.has_recursion, 0
	.set _ZN7rocprim17ROCPRIM_400000_NS6detail17trampoline_kernelINS0_14default_configENS1_35radix_sort_onesweep_config_selectorIlNS0_10empty_typeEEEZZNS1_29radix_sort_onesweep_iterationIS3_Lb0EPKlPlPS5_SB_mNS0_19identity_decomposerENS1_16block_id_wrapperIjLb1EEEEE10hipError_tT1_PNSt15iterator_traitsISG_E10value_typeET2_T3_PNSH_ISM_E10value_typeET4_T5_PSR_SS_PNS1_23onesweep_lookback_stateEbbT6_jjT7_P12ihipStream_tbENKUlT_T0_SG_SL_E_clIS9_SA_SB_SB_EEDaSZ_S10_SG_SL_EUlSZ_E_NS1_11comp_targetILNS1_3genE8ELNS1_11target_archE1030ELNS1_3gpuE2ELNS1_3repE0EEENS1_47radix_sort_onesweep_sort_config_static_selectorELNS0_4arch9wavefront6targetE0EEEvSG_.has_indirect_call, 0
	.section	.AMDGPU.csdata,"",@progbits
; Kernel info:
; codeLenInByte = 0
; TotalNumSgprs: 0
; NumVgprs: 0
; ScratchSize: 0
; MemoryBound: 0
; FloatMode: 240
; IeeeMode: 1
; LDSByteSize: 0 bytes/workgroup (compile time only)
; SGPRBlocks: 0
; VGPRBlocks: 0
; NumSGPRsForWavesPerEU: 1
; NumVGPRsForWavesPerEU: 1
; NamedBarCnt: 0
; Occupancy: 16
; WaveLimiterHint : 0
; COMPUTE_PGM_RSRC2:SCRATCH_EN: 0
; COMPUTE_PGM_RSRC2:USER_SGPR: 2
; COMPUTE_PGM_RSRC2:TRAP_HANDLER: 0
; COMPUTE_PGM_RSRC2:TGID_X_EN: 1
; COMPUTE_PGM_RSRC2:TGID_Y_EN: 0
; COMPUTE_PGM_RSRC2:TGID_Z_EN: 0
; COMPUTE_PGM_RSRC2:TIDIG_COMP_CNT: 0
	.section	.text._ZN7rocprim17ROCPRIM_400000_NS6detail17trampoline_kernelINS0_14default_configENS1_35radix_sort_onesweep_config_selectorIlNS0_10empty_typeEEEZZNS1_29radix_sort_onesweep_iterationIS3_Lb0EPKlPlPS5_SB_mNS0_19identity_decomposerENS1_16block_id_wrapperIjLb1EEEEE10hipError_tT1_PNSt15iterator_traitsISG_E10value_typeET2_T3_PNSH_ISM_E10value_typeET4_T5_PSR_SS_PNS1_23onesweep_lookback_stateEbbT6_jjT7_P12ihipStream_tbENKUlT_T0_SG_SL_E_clISA_SA_SB_SB_EEDaSZ_S10_SG_SL_EUlSZ_E_NS1_11comp_targetILNS1_3genE0ELNS1_11target_archE4294967295ELNS1_3gpuE0ELNS1_3repE0EEENS1_47radix_sort_onesweep_sort_config_static_selectorELNS0_4arch9wavefront6targetE0EEEvSG_,"axG",@progbits,_ZN7rocprim17ROCPRIM_400000_NS6detail17trampoline_kernelINS0_14default_configENS1_35radix_sort_onesweep_config_selectorIlNS0_10empty_typeEEEZZNS1_29radix_sort_onesweep_iterationIS3_Lb0EPKlPlPS5_SB_mNS0_19identity_decomposerENS1_16block_id_wrapperIjLb1EEEEE10hipError_tT1_PNSt15iterator_traitsISG_E10value_typeET2_T3_PNSH_ISM_E10value_typeET4_T5_PSR_SS_PNS1_23onesweep_lookback_stateEbbT6_jjT7_P12ihipStream_tbENKUlT_T0_SG_SL_E_clISA_SA_SB_SB_EEDaSZ_S10_SG_SL_EUlSZ_E_NS1_11comp_targetILNS1_3genE0ELNS1_11target_archE4294967295ELNS1_3gpuE0ELNS1_3repE0EEENS1_47radix_sort_onesweep_sort_config_static_selectorELNS0_4arch9wavefront6targetE0EEEvSG_,comdat
	.protected	_ZN7rocprim17ROCPRIM_400000_NS6detail17trampoline_kernelINS0_14default_configENS1_35radix_sort_onesweep_config_selectorIlNS0_10empty_typeEEEZZNS1_29radix_sort_onesweep_iterationIS3_Lb0EPKlPlPS5_SB_mNS0_19identity_decomposerENS1_16block_id_wrapperIjLb1EEEEE10hipError_tT1_PNSt15iterator_traitsISG_E10value_typeET2_T3_PNSH_ISM_E10value_typeET4_T5_PSR_SS_PNS1_23onesweep_lookback_stateEbbT6_jjT7_P12ihipStream_tbENKUlT_T0_SG_SL_E_clISA_SA_SB_SB_EEDaSZ_S10_SG_SL_EUlSZ_E_NS1_11comp_targetILNS1_3genE0ELNS1_11target_archE4294967295ELNS1_3gpuE0ELNS1_3repE0EEENS1_47radix_sort_onesweep_sort_config_static_selectorELNS0_4arch9wavefront6targetE0EEEvSG_ ; -- Begin function _ZN7rocprim17ROCPRIM_400000_NS6detail17trampoline_kernelINS0_14default_configENS1_35radix_sort_onesweep_config_selectorIlNS0_10empty_typeEEEZZNS1_29radix_sort_onesweep_iterationIS3_Lb0EPKlPlPS5_SB_mNS0_19identity_decomposerENS1_16block_id_wrapperIjLb1EEEEE10hipError_tT1_PNSt15iterator_traitsISG_E10value_typeET2_T3_PNSH_ISM_E10value_typeET4_T5_PSR_SS_PNS1_23onesweep_lookback_stateEbbT6_jjT7_P12ihipStream_tbENKUlT_T0_SG_SL_E_clISA_SA_SB_SB_EEDaSZ_S10_SG_SL_EUlSZ_E_NS1_11comp_targetILNS1_3genE0ELNS1_11target_archE4294967295ELNS1_3gpuE0ELNS1_3repE0EEENS1_47radix_sort_onesweep_sort_config_static_selectorELNS0_4arch9wavefront6targetE0EEEvSG_
	.globl	_ZN7rocprim17ROCPRIM_400000_NS6detail17trampoline_kernelINS0_14default_configENS1_35radix_sort_onesweep_config_selectorIlNS0_10empty_typeEEEZZNS1_29radix_sort_onesweep_iterationIS3_Lb0EPKlPlPS5_SB_mNS0_19identity_decomposerENS1_16block_id_wrapperIjLb1EEEEE10hipError_tT1_PNSt15iterator_traitsISG_E10value_typeET2_T3_PNSH_ISM_E10value_typeET4_T5_PSR_SS_PNS1_23onesweep_lookback_stateEbbT6_jjT7_P12ihipStream_tbENKUlT_T0_SG_SL_E_clISA_SA_SB_SB_EEDaSZ_S10_SG_SL_EUlSZ_E_NS1_11comp_targetILNS1_3genE0ELNS1_11target_archE4294967295ELNS1_3gpuE0ELNS1_3repE0EEENS1_47radix_sort_onesweep_sort_config_static_selectorELNS0_4arch9wavefront6targetE0EEEvSG_
	.p2align	8
	.type	_ZN7rocprim17ROCPRIM_400000_NS6detail17trampoline_kernelINS0_14default_configENS1_35radix_sort_onesweep_config_selectorIlNS0_10empty_typeEEEZZNS1_29radix_sort_onesweep_iterationIS3_Lb0EPKlPlPS5_SB_mNS0_19identity_decomposerENS1_16block_id_wrapperIjLb1EEEEE10hipError_tT1_PNSt15iterator_traitsISG_E10value_typeET2_T3_PNSH_ISM_E10value_typeET4_T5_PSR_SS_PNS1_23onesweep_lookback_stateEbbT6_jjT7_P12ihipStream_tbENKUlT_T0_SG_SL_E_clISA_SA_SB_SB_EEDaSZ_S10_SG_SL_EUlSZ_E_NS1_11comp_targetILNS1_3genE0ELNS1_11target_archE4294967295ELNS1_3gpuE0ELNS1_3repE0EEENS1_47radix_sort_onesweep_sort_config_static_selectorELNS0_4arch9wavefront6targetE0EEEvSG_,@function
_ZN7rocprim17ROCPRIM_400000_NS6detail17trampoline_kernelINS0_14default_configENS1_35radix_sort_onesweep_config_selectorIlNS0_10empty_typeEEEZZNS1_29radix_sort_onesweep_iterationIS3_Lb0EPKlPlPS5_SB_mNS0_19identity_decomposerENS1_16block_id_wrapperIjLb1EEEEE10hipError_tT1_PNSt15iterator_traitsISG_E10value_typeET2_T3_PNSH_ISM_E10value_typeET4_T5_PSR_SS_PNS1_23onesweep_lookback_stateEbbT6_jjT7_P12ihipStream_tbENKUlT_T0_SG_SL_E_clISA_SA_SB_SB_EEDaSZ_S10_SG_SL_EUlSZ_E_NS1_11comp_targetILNS1_3genE0ELNS1_11target_archE4294967295ELNS1_3gpuE0ELNS1_3repE0EEENS1_47radix_sort_onesweep_sort_config_static_selectorELNS0_4arch9wavefront6targetE0EEEvSG_: ; @_ZN7rocprim17ROCPRIM_400000_NS6detail17trampoline_kernelINS0_14default_configENS1_35radix_sort_onesweep_config_selectorIlNS0_10empty_typeEEEZZNS1_29radix_sort_onesweep_iterationIS3_Lb0EPKlPlPS5_SB_mNS0_19identity_decomposerENS1_16block_id_wrapperIjLb1EEEEE10hipError_tT1_PNSt15iterator_traitsISG_E10value_typeET2_T3_PNSH_ISM_E10value_typeET4_T5_PSR_SS_PNS1_23onesweep_lookback_stateEbbT6_jjT7_P12ihipStream_tbENKUlT_T0_SG_SL_E_clISA_SA_SB_SB_EEDaSZ_S10_SG_SL_EUlSZ_E_NS1_11comp_targetILNS1_3genE0ELNS1_11target_archE4294967295ELNS1_3gpuE0ELNS1_3repE0EEENS1_47radix_sort_onesweep_sort_config_static_selectorELNS0_4arch9wavefront6targetE0EEEvSG_
; %bb.0:
	s_clause 0x1
	s_load_b128 s[8:11], s[0:1], 0x28
	s_load_b64 s[20:21], s[0:1], 0x38
	v_and_b32_e32 v32, 0x3ff, v0
	s_delay_alu instid0(VALU_DEP_1)
	v_cmp_eq_u32_e64 s2, 0, v32
	s_and_saveexec_b32 s3, s2
	s_cbranch_execz .LBB1216_4
; %bb.1:
	s_mov_b32 s5, exec_lo
	s_mov_b32 s4, exec_lo
	v_mbcnt_lo_u32_b32 v1, s5, 0
                                        ; implicit-def: $vgpr2
	s_delay_alu instid0(VALU_DEP_1)
	v_cmpx_eq_u32_e32 0, v1
	s_cbranch_execz .LBB1216_3
; %bb.2:
	s_load_b64 s[6:7], s[0:1], 0x50
	s_bcnt1_i32_b32 s5, s5
	s_delay_alu instid0(SALU_CYCLE_1)
	v_dual_mov_b32 v2, 0 :: v_dual_mov_b32 v3, s5
	s_wait_xcnt 0x0
	s_wait_kmcnt 0x0
	global_atomic_add_u32 v2, v2, v3, s[6:7] th:TH_ATOMIC_RETURN scope:SCOPE_DEV
.LBB1216_3:
	s_wait_xcnt 0x0
	s_or_b32 exec_lo, exec_lo, s4
	s_wait_loadcnt 0x0
	v_readfirstlane_b32 s4, v2
	s_delay_alu instid0(VALU_DEP_1)
	v_dual_mov_b32 v2, 0 :: v_dual_add_nc_u32 v1, s4, v1
	ds_store_b32 v2, v1 offset:18496
.LBB1216_4:
	s_or_b32 exec_lo, exec_lo, s3
	v_dual_mov_b32 v7, 0 :: v_dual_lshlrev_b32 v2, 3, v32
	s_clause 0x2
	s_load_b128 s[12:15], s[0:1], 0x0
	s_load_b32 s3, s[0:1], 0x20
	s_load_b96 s[16:18], s[0:1], 0x44
	s_wait_dscnt 0x0
	s_barrier_signal -1
	s_barrier_wait -1
	ds_load_b32 v1, v7 offset:18496
	v_mbcnt_lo_u32_b32 v33, -1, 0
	s_mov_b32 s4, -1
	s_add_nc_u64 s[22:23], s[0:1], 0x58
	s_getreg_b32 s7, hwreg(HW_REG_IB_STS2, 6, 4)
	s_wait_dscnt 0x0
	s_barrier_signal -1
	s_barrier_wait -1
	s_wait_kmcnt 0x0
	v_cmp_le_u32_e32 vcc_lo, s18, v1
	v_readfirstlane_b32 s19, v1
	s_cbranch_vccz .LBB1216_70
; %bb.5:
	s_lshl_b32 s4, s19, 12
	s_mov_b32 s5, 0
	v_lshlrev_b32_e32 v6, 3, v33
	s_lshl_b64 s[4:5], s[4:5], 3
	v_and_b32_e32 v1, 0x1f00, v2
	s_add_nc_u64 s[4:5], s[12:13], s[4:5]
	v_mov_b64_e32 v[4:5], -1
	v_add_nc_u64_e32 v[8:9], s[4:5], v[6:7]
	s_lshl_b32 s4, s18, 12
	v_dual_lshlrev_b32 v6, 3, v1 :: v_dual_bitop2_b32 v1, v33, v1 bitop3:0x54
	s_sub_co_i32 s18, s3, s4
	s_mov_b32 s3, exec_lo
	s_delay_alu instid0(VALU_DEP_1)
	v_add_nc_u64_e32 v[20:21], v[8:9], v[6:7]
	v_mov_b64_e32 v[6:7], -1
	v_cmpx_gt_u32_e64 s18, v1
	s_cbranch_execz .LBB1216_7
; %bb.6:
	global_load_b64 v[6:7], v[20:21], off
	s_wait_loadcnt 0x0
	v_xor_b32_e32 v7, 0x80000000, v7
.LBB1216_7:
	s_or_b32 exec_lo, exec_lo, s3
	v_or_b32_e32 v3, 32, v1
	s_mov_b32 s3, exec_lo
	s_delay_alu instid0(VALU_DEP_1)
	v_cmpx_gt_u32_e64 s18, v3
	s_cbranch_execz .LBB1216_9
; %bb.8:
	global_load_b64 v[4:5], v[20:21], off offset:256
	s_wait_loadcnt 0x0
	v_xor_b32_e32 v5, 0x80000000, v5
.LBB1216_9:
	s_or_b32 exec_lo, exec_lo, s3
	v_mov_b64_e32 v[8:9], -1
	v_mov_b64_e32 v[10:11], -1
	v_or_b32_e32 v3, 64, v1
	s_mov_b32 s3, exec_lo
	s_delay_alu instid0(VALU_DEP_1)
	v_cmpx_gt_u32_e64 s18, v3
	s_cbranch_execz .LBB1216_11
; %bb.10:
	global_load_b64 v[10:11], v[20:21], off offset:512
	s_wait_loadcnt 0x0
	v_xor_b32_e32 v11, 0x80000000, v11
.LBB1216_11:
	s_or_b32 exec_lo, exec_lo, s3
	v_or_b32_e32 v3, 0x60, v1
	s_mov_b32 s3, exec_lo
	s_delay_alu instid0(VALU_DEP_1)
	v_cmpx_gt_u32_e64 s18, v3
	s_cbranch_execz .LBB1216_13
; %bb.12:
	global_load_b64 v[8:9], v[20:21], off offset:768
	s_wait_loadcnt 0x0
	v_xor_b32_e32 v9, 0x80000000, v9
.LBB1216_13:
	s_or_b32 exec_lo, exec_lo, s3
	v_mov_b64_e32 v[12:13], -1
	v_mov_b64_e32 v[14:15], -1
	v_or_b32_e32 v3, 0x80, v1
	s_mov_b32 s3, exec_lo
	s_delay_alu instid0(VALU_DEP_1)
	v_cmpx_gt_u32_e64 s18, v3
	s_cbranch_execz .LBB1216_15
; %bb.14:
	global_load_b64 v[14:15], v[20:21], off offset:1024
	s_wait_loadcnt 0x0
	v_xor_b32_e32 v15, 0x80000000, v15
.LBB1216_15:
	;; [unrolled: 24-line block ×3, first 2 shown]
	s_or_b32 exec_lo, exec_lo, s3
	v_or_b32_e32 v1, 0xe0, v1
	s_mov_b32 s3, exec_lo
	s_delay_alu instid0(VALU_DEP_1)
	v_cmpx_gt_u32_e64 s18, v1
	s_cbranch_execz .LBB1216_21
; %bb.20:
	global_load_b64 v[16:17], v[20:21], off offset:1792
	s_wait_loadcnt 0x0
	v_xor_b32_e32 v17, 0x80000000, v17
.LBB1216_21:
	s_or_b32 exec_lo, exec_lo, s3
	s_clause 0x1
	s_load_b32 s24, s[0:1], 0x58
	s_load_u16 s3, s[0:1], 0x66
	s_bfe_u32 s4, ttmp6, 0x4000c
	s_and_b32 s5, ttmp6, 15
	s_add_co_i32 s4, s4, 1
	v_lshrrev_b64 v[20:21], s16, v[6:7]
	s_mul_i32 s4, ttmp9, s4
	v_bfe_u32 v1, v0, 10, 10
	s_add_co_i32 s5, s5, s4
	s_cmp_eq_u32 s7, 0
	v_bfe_u32 v3, v0, 20, 10
	s_cselect_b32 s4, ttmp9, s5
	s_mov_b32 s5, 0
	s_wait_kmcnt 0x0
	s_cmp_lt_u32 s4, s24
	v_mad_u32_u24 v1, v3, s3, v1
	s_cselect_b32 s4, 12, 18
	s_lshl_b32 s25, -1, s17
	s_add_nc_u64 s[4:5], s[22:23], s[4:5]
	v_bitop3_b32 v3, v20, 1, s25 bitop3:0x40
	v_bitop3_b32 v22, v20, s25, v20 bitop3:0x30
	s_load_u16 s26, s[4:5], 0x0
	s_not_b32 s25, s25
	s_delay_alu instid0(VALU_DEP_2) | instskip(NEXT) | instid1(VALU_DEP_1)
	v_add_co_u32 v3, s3, v3, -1
	v_cndmask_b32_e64 v20, 0, 1, s3
	v_dual_lshlrev_b32 v21, 30, v22 :: v_dual_lshlrev_b32 v23, 29, v22
	v_dual_lshlrev_b32 v24, 28, v22 :: v_dual_lshlrev_b32 v25, 27, v22
	s_delay_alu instid0(VALU_DEP_3) | instskip(NEXT) | instid1(VALU_DEP_3)
	v_cmp_ne_u32_e32 vcc_lo, 0, v20
	v_not_b32_e32 v20, v21
	v_lshlrev_b32_e32 v28, 24, v22
	v_cmp_gt_i32_e64 s3, 0, v21
	s_wait_xcnt 0x0
	v_cmp_gt_i32_e64 s4, 0, v23
	v_not_b32_e32 v21, v23
	v_not_b32_e32 v23, v24
	v_dual_ashrrev_i32 v20, 31, v20 :: v_dual_lshlrev_b32 v26, 26, v22
	v_lshlrev_b32_e32 v27, 25, v22
	v_cmp_gt_i32_e64 s5, 0, v24
	v_dual_ashrrev_i32 v21, 31, v21 :: v_dual_bitop2_b32 v3, vcc_lo, v3 bitop3:0x14
	s_delay_alu instid0(VALU_DEP_4)
	v_dual_ashrrev_i32 v23, 31, v23 :: v_dual_bitop2_b32 v20, s3, v20 bitop3:0x14
	v_cmp_gt_i32_e64 s6, 0, v25
	v_not_b32_e32 v24, v25
	v_not_b32_e32 v25, v26
	v_xor_b32_e32 v21, s4, v21
	v_xor_b32_e32 v23, s5, v23
	v_bitop3_b32 v3, v3, v20, exec_lo bitop3:0x80
	s_wait_kmcnt 0x0
	v_mad_u32 v1, v1, s26, v32
	v_cmp_gt_i32_e32 vcc_lo, 0, v26
	v_dual_ashrrev_i32 v20, 31, v24 :: v_dual_ashrrev_i32 v24, 31, v25
	v_not_b32_e32 v25, v27
	v_bitop3_b32 v21, v3, v23, v21 bitop3:0x80
	v_not_b32_e32 v3, v28
	s_delay_alu instid0(VALU_DEP_4)
	v_xor_b32_e32 v20, s6, v20
	v_xor_b32_e32 v23, vcc_lo, v24
	v_cmp_gt_i32_e32 vcc_lo, 0, v27
	v_ashrrev_i32_e32 v24, 31, v25
	v_cmp_gt_i32_e64 s3, 0, v28
	v_dual_ashrrev_i32 v25, 31, v3 :: v_dual_lshrrev_b32 v1, 5, v1
	v_bitop3_b32 v21, v21, v23, v20 bitop3:0x80
	s_delay_alu instid0(VALU_DEP_4) | instskip(SKIP_1) | instid1(VALU_DEP_4)
	v_xor_b32_e32 v23, vcc_lo, v24
	v_mul_u32_u24_e32 v3, 36, v32
	v_dual_mov_b32 v25, 0 :: v_dual_bitop2_b32 v24, s3, v25 bitop3:0x14
	v_lshlrev_b32_e32 v20, 2, v1
	ds_store_2addr_b32 v3, v25, v25 offset0:16 offset1:17
	ds_store_2addr_b32 v3, v25, v25 offset0:18 offset1:19
	;; [unrolled: 1-line block ×4, first 2 shown]
	v_bitop3_b32 v21, v21, v24, v23 bitop3:0x80
	v_mad_u32 v28, 0x44, v22, v20
	ds_store_b32 v3, v25 offset:96
	s_wait_dscnt 0x0
	s_barrier_signal -1
	v_mbcnt_lo_u32_b32 v1, v21, 0
	v_cmp_ne_u32_e64 s3, 0, v21
	s_barrier_wait -1
	s_delay_alu instid0(VALU_DEP_2) | instskip(SKIP_1) | instid1(SALU_CYCLE_1)
	v_cmp_eq_u32_e32 vcc_lo, 0, v1
	; wave barrier
	s_and_b32 s4, s3, vcc_lo
	s_and_saveexec_b32 s3, s4
; %bb.22:
	v_bcnt_u32_b32 v21, v21, 0
	ds_store_b32 v28, v21 offset:64
; %bb.23:
	s_or_b32 exec_lo, exec_lo, s3
	v_lshrrev_b64 v[22:23], s16, v[4:5]
	; wave barrier
	s_delay_alu instid0(VALU_DEP_1) | instskip(SKIP_1) | instid1(VALU_DEP_2)
	v_and_b32_e32 v21, s25, v22
	v_bitop3_b32 v22, v22, 1, s25 bitop3:0x80
	v_lshlrev_b32_e32 v24, 30, v21
	s_delay_alu instid0(VALU_DEP_2) | instskip(NEXT) | instid1(VALU_DEP_1)
	v_add_co_u32 v22, s3, v22, -1
	v_cndmask_b32_e64 v23, 0, 1, s3
	s_delay_alu instid0(VALU_DEP_1) | instskip(NEXT) | instid1(VALU_DEP_4)
	v_cmp_ne_u32_e32 vcc_lo, 0, v23
	v_not_b32_e32 v23, v24
	s_delay_alu instid0(VALU_DEP_1) | instskip(SKIP_4) | instid1(VALU_DEP_4)
	v_dual_ashrrev_i32 v23, 31, v23 :: v_dual_bitop2_b32 v22, vcc_lo, v22 bitop3:0x14
	v_dual_lshlrev_b32 v25, 29, v21 :: v_dual_lshlrev_b32 v26, 28, v21
	v_lshlrev_b32_e32 v27, 27, v21
	v_cmp_gt_i32_e64 s3, 0, v24
	v_mad_u32 v29, 0x44, v21, v20
	v_cmp_gt_i32_e64 s4, 0, v25
	v_not_b32_e32 v24, v25
	v_not_b32_e32 v25, v26
	v_dual_lshlrev_b32 v30, 26, v21 :: v_dual_lshlrev_b32 v31, 25, v21
	v_lshlrev_b32_e32 v21, 24, v21
	v_cmp_gt_i32_e64 s5, 0, v26
	v_not_b32_e32 v26, v27
	v_dual_ashrrev_i32 v24, 31, v24 :: v_dual_ashrrev_i32 v25, 31, v25
	v_xor_b32_e32 v23, s3, v23
	v_cmp_gt_i32_e64 s6, 0, v27
	v_not_b32_e32 v27, v30
	s_delay_alu instid0(VALU_DEP_4)
	v_dual_ashrrev_i32 v26, 31, v26 :: v_dual_bitop2_b32 v24, s4, v24 bitop3:0x14
	v_xor_b32_e32 v25, s5, v25
	v_bitop3_b32 v22, v22, v23, exec_lo bitop3:0x80
	v_cmp_gt_i32_e32 vcc_lo, 0, v30
	v_ashrrev_i32_e32 v23, 31, v27
	v_not_b32_e32 v27, v31
	v_xor_b32_e32 v26, s6, v26
	v_bitop3_b32 v22, v22, v25, v24 bitop3:0x80
	v_not_b32_e32 v24, v21
	v_xor_b32_e32 v23, vcc_lo, v23
	v_cmp_gt_i32_e32 vcc_lo, 0, v31
	v_ashrrev_i32_e32 v25, 31, v27
	v_cmp_gt_i32_e64 s3, 0, v21
	v_ashrrev_i32_e32 v21, 31, v24
	v_bitop3_b32 v22, v22, v23, v26 bitop3:0x80
	ds_load_b32 v34, v29 offset:64
	v_xor_b32_e32 v23, vcc_lo, v25
	v_xor_b32_e32 v21, s3, v21
	; wave barrier
	s_delay_alu instid0(VALU_DEP_1) | instskip(NEXT) | instid1(VALU_DEP_1)
	v_bitop3_b32 v21, v22, v21, v23 bitop3:0x80
	v_mbcnt_lo_u32_b32 v35, v21, 0
	v_cmp_ne_u32_e64 s3, 0, v21
	s_delay_alu instid0(VALU_DEP_2) | instskip(SKIP_1) | instid1(SALU_CYCLE_1)
	v_cmp_eq_u32_e32 vcc_lo, 0, v35
	s_and_b32 s4, s3, vcc_lo
	s_and_saveexec_b32 s3, s4
	s_cbranch_execz .LBB1216_25
; %bb.24:
	s_wait_dscnt 0x0
	v_bcnt_u32_b32 v21, v21, v34
	ds_store_b32 v29, v21 offset:64
.LBB1216_25:
	s_or_b32 exec_lo, exec_lo, s3
	v_lshrrev_b64 v[22:23], s16, v[10:11]
	; wave barrier
	s_delay_alu instid0(VALU_DEP_1) | instskip(SKIP_1) | instid1(VALU_DEP_2)
	v_and_b32_e32 v21, s25, v22
	v_bitop3_b32 v22, v22, 1, s25 bitop3:0x80
	v_lshlrev_b32_e32 v24, 30, v21
	s_delay_alu instid0(VALU_DEP_2) | instskip(NEXT) | instid1(VALU_DEP_1)
	v_add_co_u32 v22, s3, v22, -1
	v_cndmask_b32_e64 v23, 0, 1, s3
	s_delay_alu instid0(VALU_DEP_1) | instskip(NEXT) | instid1(VALU_DEP_4)
	v_cmp_ne_u32_e32 vcc_lo, 0, v23
	v_not_b32_e32 v23, v24
	s_delay_alu instid0(VALU_DEP_1) | instskip(SKIP_4) | instid1(VALU_DEP_4)
	v_dual_ashrrev_i32 v23, 31, v23 :: v_dual_bitop2_b32 v22, vcc_lo, v22 bitop3:0x14
	v_dual_lshlrev_b32 v25, 29, v21 :: v_dual_lshlrev_b32 v26, 28, v21
	v_lshlrev_b32_e32 v27, 27, v21
	v_cmp_gt_i32_e64 s3, 0, v24
	v_mad_u32 v30, 0x44, v21, v20
	v_cmp_gt_i32_e64 s4, 0, v25
	v_not_b32_e32 v24, v25
	v_not_b32_e32 v25, v26
	v_dual_lshlrev_b32 v31, 26, v21 :: v_dual_lshlrev_b32 v36, 25, v21
	v_lshlrev_b32_e32 v21, 24, v21
	v_cmp_gt_i32_e64 s5, 0, v26
	v_not_b32_e32 v26, v27
	v_dual_ashrrev_i32 v24, 31, v24 :: v_dual_ashrrev_i32 v25, 31, v25
	v_xor_b32_e32 v23, s3, v23
	v_cmp_gt_i32_e64 s6, 0, v27
	v_not_b32_e32 v27, v31
	s_delay_alu instid0(VALU_DEP_4)
	v_dual_ashrrev_i32 v26, 31, v26 :: v_dual_bitop2_b32 v24, s4, v24 bitop3:0x14
	v_xor_b32_e32 v25, s5, v25
	v_bitop3_b32 v22, v22, v23, exec_lo bitop3:0x80
	v_cmp_gt_i32_e32 vcc_lo, 0, v31
	v_ashrrev_i32_e32 v23, 31, v27
	v_not_b32_e32 v27, v36
	v_xor_b32_e32 v26, s6, v26
	v_bitop3_b32 v22, v22, v25, v24 bitop3:0x80
	v_not_b32_e32 v24, v21
	v_xor_b32_e32 v23, vcc_lo, v23
	v_cmp_gt_i32_e32 vcc_lo, 0, v36
	v_ashrrev_i32_e32 v25, 31, v27
	v_cmp_gt_i32_e64 s3, 0, v21
	v_ashrrev_i32_e32 v21, 31, v24
	v_bitop3_b32 v22, v22, v23, v26 bitop3:0x80
	ds_load_b32 v36, v30 offset:64
	v_xor_b32_e32 v23, vcc_lo, v25
	v_xor_b32_e32 v21, s3, v21
	; wave barrier
	s_delay_alu instid0(VALU_DEP_1) | instskip(NEXT) | instid1(VALU_DEP_1)
	v_bitop3_b32 v21, v22, v21, v23 bitop3:0x80
	v_mbcnt_lo_u32_b32 v37, v21, 0
	v_cmp_ne_u32_e64 s3, 0, v21
	s_delay_alu instid0(VALU_DEP_2) | instskip(SKIP_1) | instid1(SALU_CYCLE_1)
	v_cmp_eq_u32_e32 vcc_lo, 0, v37
	s_and_b32 s4, s3, vcc_lo
	s_and_saveexec_b32 s3, s4
	s_cbranch_execz .LBB1216_27
; %bb.26:
	s_wait_dscnt 0x0
	v_bcnt_u32_b32 v21, v21, v36
	ds_store_b32 v30, v21 offset:64
.LBB1216_27:
	;; [unrolled: 64-line block ×6, first 2 shown]
	s_or_b32 exec_lo, exec_lo, s3
	v_lshrrev_b64 v[22:23], s16, v[16:17]
	; wave barrier
	s_delay_alu instid0(VALU_DEP_1) | instskip(SKIP_1) | instid1(VALU_DEP_2)
	v_and_b32_e32 v21, s25, v22
	v_bitop3_b32 v22, v22, 1, s25 bitop3:0x80
	v_mad_u32 v51, 0x44, v21, v20
	s_delay_alu instid0(VALU_DEP_2) | instskip(NEXT) | instid1(VALU_DEP_1)
	v_add_co_u32 v20, s3, v22, -1
	v_cndmask_b32_e64 v22, 0, 1, s3
	v_lshlrev_b32_e32 v23, 30, v21
	s_delay_alu instid0(VALU_DEP_2) | instskip(NEXT) | instid1(VALU_DEP_2)
	v_cmp_ne_u32_e32 vcc_lo, 0, v22
	v_not_b32_e32 v22, v23
	s_delay_alu instid0(VALU_DEP_1) | instskip(SKIP_4) | instid1(VALU_DEP_4)
	v_dual_ashrrev_i32 v22, 31, v22 :: v_dual_bitop2_b32 v20, vcc_lo, v20 bitop3:0x14
	v_dual_lshlrev_b32 v24, 29, v21 :: v_dual_lshlrev_b32 v25, 28, v21
	v_lshlrev_b32_e32 v26, 27, v21
	v_cmp_gt_i32_e64 s3, 0, v23
	v_dual_lshlrev_b32 v27, 26, v21 :: v_dual_lshlrev_b32 v49, 25, v21
	v_cmp_gt_i32_e64 s4, 0, v24
	v_not_b32_e32 v23, v24
	v_not_b32_e32 v24, v25
	v_lshlrev_b32_e32 v21, 24, v21
	v_cmp_gt_i32_e64 s5, 0, v25
	v_not_b32_e32 v25, v26
	s_delay_alu instid0(VALU_DEP_4) | instskip(SKIP_3) | instid1(VALU_DEP_4)
	v_dual_ashrrev_i32 v23, 31, v23 :: v_dual_ashrrev_i32 v24, 31, v24
	v_xor_b32_e32 v22, s3, v22
	v_cmp_gt_i32_e64 s6, 0, v26
	v_not_b32_e32 v26, v27
	v_dual_ashrrev_i32 v25, 31, v25 :: v_dual_bitop2_b32 v23, s4, v23 bitop3:0x14
	v_xor_b32_e32 v24, s5, v24
	v_bitop3_b32 v20, v20, v22, exec_lo bitop3:0x80
	v_cmp_gt_i32_e32 vcc_lo, 0, v27
	v_ashrrev_i32_e32 v22, 31, v26
	v_not_b32_e32 v26, v49
	v_xor_b32_e32 v25, s6, v25
	v_bitop3_b32 v20, v20, v24, v23 bitop3:0x80
	v_not_b32_e32 v23, v21
	v_xor_b32_e32 v22, vcc_lo, v22
	v_cmp_gt_i32_e32 vcc_lo, 0, v49
	v_ashrrev_i32_e32 v24, 31, v26
	v_cmp_gt_i32_e64 s3, 0, v21
	v_ashrrev_i32_e32 v21, 31, v23
	v_bitop3_b32 v20, v20, v22, v25 bitop3:0x80
	ds_load_b32 v49, v51 offset:64
	v_xor_b32_e32 v22, vcc_lo, v24
	v_xor_b32_e32 v21, s3, v21
	; wave barrier
	s_delay_alu instid0(VALU_DEP_1) | instskip(NEXT) | instid1(VALU_DEP_1)
	v_bitop3_b32 v20, v20, v21, v22 bitop3:0x80
	v_mbcnt_lo_u32_b32 v50, v20, 0
	v_cmp_ne_u32_e64 s3, 0, v20
	s_delay_alu instid0(VALU_DEP_2) | instskip(SKIP_1) | instid1(SALU_CYCLE_1)
	v_cmp_eq_u32_e32 vcc_lo, 0, v50
	s_and_b32 s4, s3, vcc_lo
	s_and_saveexec_b32 s3, s4
	s_cbranch_execz .LBB1216_37
; %bb.36:
	s_wait_dscnt 0x0
	v_bcnt_u32_b32 v20, v20, v49
	ds_store_b32 v51, v20 offset:64
.LBB1216_37:
	s_or_b32 exec_lo, exec_lo, s3
	; wave barrier
	s_wait_dscnt 0x0
	s_barrier_signal -1
	s_barrier_wait -1
	ds_load_2addr_b32 v[26:27], v3 offset0:16 offset1:17
	ds_load_2addr_b32 v[24:25], v3 offset0:18 offset1:19
	;; [unrolled: 1-line block ×4, first 2 shown]
	ds_load_b32 v52, v3 offset:96
	v_bfe_i32 v55, v33, 4, 1
	s_mov_b32 s26, exec_lo
	s_wait_dscnt 0x3
	v_add3_u32 v53, v27, v26, v24
	s_wait_dscnt 0x2
	s_delay_alu instid0(VALU_DEP_1) | instskip(SKIP_1) | instid1(VALU_DEP_1)
	v_add3_u32 v53, v53, v25, v22
	s_wait_dscnt 0x1
	v_add3_u32 v53, v53, v23, v20
	s_wait_dscnt 0x0
	s_delay_alu instid0(VALU_DEP_1) | instskip(SKIP_1) | instid1(VALU_DEP_2)
	v_add3_u32 v52, v53, v21, v52
	v_and_b32_e32 v53, 15, v33
	v_mov_b32_dpp v54, v52 row_shr:1 row_mask:0xf bank_mask:0xf
	s_delay_alu instid0(VALU_DEP_2) | instskip(NEXT) | instid1(VALU_DEP_2)
	v_cmp_eq_u32_e32 vcc_lo, 0, v53
	v_cndmask_b32_e64 v54, v54, 0, vcc_lo
	s_delay_alu instid0(VALU_DEP_1) | instskip(SKIP_3) | instid1(VALU_DEP_4)
	v_add_nc_u32_e32 v52, v54, v52
	v_cmp_lt_u32_e64 s3, 1, v53
	v_cmp_lt_u32_e64 s4, 3, v53
	;; [unrolled: 1-line block ×3, first 2 shown]
	v_mov_b32_dpp v54, v52 row_shr:2 row_mask:0xf bank_mask:0xf
	s_delay_alu instid0(VALU_DEP_1) | instskip(NEXT) | instid1(VALU_DEP_1)
	v_cndmask_b32_e64 v54, 0, v54, s3
	v_add_nc_u32_e32 v52, v52, v54
	s_delay_alu instid0(VALU_DEP_1) | instskip(NEXT) | instid1(VALU_DEP_1)
	v_mov_b32_dpp v54, v52 row_shr:4 row_mask:0xf bank_mask:0xf
	v_cndmask_b32_e64 v54, 0, v54, s4
	s_delay_alu instid0(VALU_DEP_1) | instskip(NEXT) | instid1(VALU_DEP_1)
	v_add_nc_u32_e32 v52, v52, v54
	v_mov_b32_dpp v54, v52 row_shr:8 row_mask:0xf bank_mask:0xf
	s_delay_alu instid0(VALU_DEP_1) | instskip(SKIP_1) | instid1(VALU_DEP_2)
	v_cndmask_b32_e64 v53, 0, v54, s5
	v_and_b32_e32 v54, 0x3e0, v32
	v_add_nc_u32_e32 v52, v52, v53
	s_delay_alu instid0(VALU_DEP_2) | instskip(SKIP_3) | instid1(VALU_DEP_1)
	v_min_u32_e32 v54, 0x1e0, v54
	ds_swizzle_b32 v53, v52 offset:swizzle(BROADCAST,32,15)
	s_wait_dscnt 0x0
	v_dual_lshrrev_b32 v53, 5, v32 :: v_dual_bitop2_b32 v55, v55, v53 bitop3:0x40
	v_dual_add_nc_u32 v52, v52, v55 :: v_dual_bitop2_b32 v54, 31, v54 bitop3:0x54
	s_delay_alu instid0(VALU_DEP_1)
	v_cmpx_eq_u32_e64 v32, v54
; %bb.38:
	s_delay_alu instid0(VALU_DEP_3)
	v_lshlrev_b32_e32 v54, 2, v53
	ds_store_b32 v54, v52
; %bb.39:
	s_or_b32 exec_lo, exec_lo, s26
	s_delay_alu instid0(SALU_CYCLE_1)
	s_mov_b32 s26, exec_lo
	s_wait_dscnt 0x0
	s_barrier_signal -1
	s_barrier_wait -1
	v_cmpx_gt_u32_e32 16, v32
	s_cbranch_execz .LBB1216_41
; %bb.40:
	v_lshlrev_b32_e32 v54, 2, v32
	ds_load_b32 v55, v54
	s_wait_dscnt 0x0
	v_mov_b32_dpp v56, v55 row_shr:1 row_mask:0xf bank_mask:0xf
	s_delay_alu instid0(VALU_DEP_1) | instskip(NEXT) | instid1(VALU_DEP_1)
	v_cndmask_b32_e64 v56, v56, 0, vcc_lo
	v_add_nc_u32_e32 v55, v56, v55
	s_delay_alu instid0(VALU_DEP_1) | instskip(NEXT) | instid1(VALU_DEP_1)
	v_mov_b32_dpp v56, v55 row_shr:2 row_mask:0xf bank_mask:0xf
	v_cndmask_b32_e64 v56, 0, v56, s3
	s_delay_alu instid0(VALU_DEP_1) | instskip(NEXT) | instid1(VALU_DEP_1)
	v_add_nc_u32_e32 v55, v55, v56
	v_mov_b32_dpp v56, v55 row_shr:4 row_mask:0xf bank_mask:0xf
	s_delay_alu instid0(VALU_DEP_1) | instskip(NEXT) | instid1(VALU_DEP_1)
	v_cndmask_b32_e64 v56, 0, v56, s4
	v_add_nc_u32_e32 v55, v55, v56
	s_delay_alu instid0(VALU_DEP_1) | instskip(NEXT) | instid1(VALU_DEP_1)
	v_mov_b32_dpp v56, v55 row_shr:8 row_mask:0xf bank_mask:0xf
	v_cndmask_b32_e64 v56, 0, v56, s5
	s_delay_alu instid0(VALU_DEP_1)
	v_add_nc_u32_e32 v55, v55, v56
	ds_store_b32 v54, v55
.LBB1216_41:
	s_or_b32 exec_lo, exec_lo, s26
	v_mov_b32_e32 v54, 0
	s_mov_b32 s3, exec_lo
	s_wait_dscnt 0x0
	s_barrier_signal -1
	s_barrier_wait -1
	v_cmpx_lt_u32_e32 31, v32
; %bb.42:
	v_lshl_add_u32 v53, v53, 2, -4
	ds_load_b32 v54, v53
; %bb.43:
	s_or_b32 exec_lo, exec_lo, s3
	v_sub_co_u32 v53, vcc_lo, v33, 1
	s_wait_dscnt 0x0
	v_add_nc_u32_e32 v52, v54, v52
	s_delay_alu instid0(VALU_DEP_2) | instskip(NEXT) | instid1(VALU_DEP_1)
	v_cmp_gt_i32_e64 s3, 0, v53
	v_cndmask_b32_e64 v53, v53, v33, s3
	v_cmp_lt_u32_e64 s3, 0xff, v32
	s_delay_alu instid0(VALU_DEP_2) | instskip(SKIP_4) | instid1(VALU_DEP_2)
	v_lshlrev_b32_e32 v53, 2, v53
	ds_bpermute_b32 v52, v53, v52
	s_wait_dscnt 0x0
	v_cndmask_b32_e32 v52, v52, v54, vcc_lo
	v_cmp_gt_u32_e32 vcc_lo, 0x100, v32
	v_cndmask_b32_e64 v52, v52, 0, s2
	s_delay_alu instid0(VALU_DEP_1) | instskip(NEXT) | instid1(VALU_DEP_1)
	v_add_nc_u32_e32 v26, v52, v26
	v_add_nc_u32_e32 v27, v26, v27
	s_delay_alu instid0(VALU_DEP_1) | instskip(NEXT) | instid1(VALU_DEP_1)
	v_add_nc_u32_e32 v24, v27, v24
	v_add_nc_u32_e32 v25, v24, v25
	;; [unrolled: 3-line block ×4, first 2 shown]
	ds_store_2addr_b32 v3, v52, v26 offset0:16 offset1:17
	ds_store_2addr_b32 v3, v27, v24 offset0:18 offset1:19
	;; [unrolled: 1-line block ×4, first 2 shown]
	ds_store_b32 v3, v21 offset:96
	s_wait_dscnt 0x0
	s_barrier_signal -1
	s_barrier_wait -1
	ds_load_b32 v54, v28 offset:64
	ds_load_b32 v23, v29 offset:64
	;; [unrolled: 1-line block ×8, first 2 shown]
	v_mov_b64_e32 v[20:21], 0
                                        ; implicit-def: $vgpr22
	s_and_saveexec_b32 s5, vcc_lo
	s_cbranch_execz .LBB1216_47
; %bb.44:
	v_mul_u32_u24_e32 v3, 0x44, v32
	v_add_nc_u32_e32 v21, 1, v32
	s_mov_b32 s6, exec_lo
	ds_load_b32 v20, v3 offset:64
	v_mov_b32_e32 v3, 0x1000
	v_cmpx_ne_u32_e32 0x100, v21
; %bb.45:
	v_mul_u32_u24_e32 v3, 0x44, v21
	ds_load_b32 v3, v3 offset:64
; %bb.46:
	s_or_b32 exec_lo, exec_lo, s6
	s_wait_dscnt 0x0
	v_dual_mov_b32 v21, 0 :: v_dual_sub_nc_u32 v22, v3, v20
.LBB1216_47:
	s_or_b32 exec_lo, exec_lo, s5
	v_mov_b32_e32 v25, 0
	s_wait_dscnt 0x0
	s_barrier_signal -1
	s_barrier_wait -1
	s_and_saveexec_b32 s4, vcc_lo
	s_cbranch_execz .LBB1216_57
; %bb.48:
	v_lshl_add_u32 v24, s19, 8, v32
	v_dual_mov_b32 v28, 0 :: v_dual_bitop2_b32 v3, 2.0, v22 bitop3:0x54
	s_mov_b32 s5, 0
	s_mov_b32 s6, s19
	s_delay_alu instid0(VALU_DEP_2)
	v_lshl_add_u64 v[26:27], v[24:25], 2, s[20:21]
	global_store_b32 v24, v3, s[20:21] scale_offset scope:SCOPE_DEV
                                        ; implicit-def: $sgpr26
	s_branch .LBB1216_51
.LBB1216_49:                            ;   in Loop: Header=BB1216_51 Depth=1
	s_or_b32 exec_lo, exec_lo, s27
.LBB1216_50:                            ;   in Loop: Header=BB1216_51 Depth=1
	s_delay_alu instid0(SALU_CYCLE_1) | instskip(SKIP_2) | instid1(VALU_DEP_2)
	s_or_b32 exec_lo, exec_lo, s26
	v_and_b32_e32 v24, 0x3fffffff, v3
	v_cmp_gt_i32_e64 s26, -2.0, v3
	v_add_nc_u32_e32 v28, v24, v28
	s_and_b32 s27, exec_lo, s26
	s_delay_alu instid0(SALU_CYCLE_1) | instskip(NEXT) | instid1(SALU_CYCLE_1)
	s_or_b32 s5, s27, s5
	s_and_not1_b32 exec_lo, exec_lo, s5
	s_cbranch_execz .LBB1216_56
.LBB1216_51:                            ; =>This Loop Header: Depth=1
                                        ;     Child Loop BB1216_54 Depth 2
	s_or_b32 s26, s26, exec_lo
	s_cmp_eq_u32 s6, 0
	s_cbranch_scc1 .LBB1216_55
; %bb.52:                               ;   in Loop: Header=BB1216_51 Depth=1
	s_add_co_i32 s6, s6, -1
	s_mov_b32 s26, exec_lo
	s_wait_xcnt 0x0
	v_lshl_or_b32 v24, s6, 8, v32
	global_load_b32 v3, v24, s[20:21] scale_offset scope:SCOPE_DEV
	s_wait_loadcnt 0x0
	v_cmpx_gt_u32_e32 2.0, v3
	s_cbranch_execz .LBB1216_50
; %bb.53:                               ;   in Loop: Header=BB1216_51 Depth=1
	v_lshl_add_u64 v[30:31], v[24:25], 2, s[20:21]
	s_mov_b32 s27, 0
.LBB1216_54:                            ;   Parent Loop BB1216_51 Depth=1
                                        ; =>  This Inner Loop Header: Depth=2
	global_load_b32 v3, v[30:31], off scope:SCOPE_DEV
	s_wait_loadcnt 0x0
	v_cmp_lt_u32_e32 vcc_lo, 0x3fffffff, v3
	s_or_b32 s27, vcc_lo, s27
	s_wait_xcnt 0x0
	s_and_not1_b32 exec_lo, exec_lo, s27
	s_cbranch_execnz .LBB1216_54
	s_branch .LBB1216_49
.LBB1216_55:                            ;   in Loop: Header=BB1216_51 Depth=1
                                        ; implicit-def: $sgpr6
	s_and_b32 s27, exec_lo, s26
	s_delay_alu instid0(SALU_CYCLE_1)
	s_or_b32 s5, s27, s5
	s_wait_xcnt 0x0
	s_and_not1_b32 exec_lo, exec_lo, s5
	s_cbranch_execnz .LBB1216_51
.LBB1216_56:
	s_or_b32 exec_lo, exec_lo, s5
	v_dual_add_nc_u32 v3, v28, v22 :: v_dual_mov_b32 v29, 0
	s_delay_alu instid0(VALU_DEP_1)
	v_or_b32_e32 v3, 0x80000000, v3
	global_store_b32 v[26:27], v3, off scope:SCOPE_DEV
	global_load_b64 v[24:25], v32, s[8:9] scale_offset
	s_wait_xcnt 0x1
	v_sub_nc_u64_e32 v[26:27], v[28:29], v[20:21]
	s_wait_loadcnt 0x0
	s_delay_alu instid0(VALU_DEP_1)
	v_add_nc_u64_e32 v[24:25], v[26:27], v[24:25]
	ds_store_b64 v2, v[24:25]
.LBB1216_57:
	s_wait_xcnt 0x0
	s_or_b32 exec_lo, exec_lo, s4
	v_dual_mov_b32 v3, 0 :: v_dual_add_nc_u32 v1, v54, v1
	v_add3_u32 v26, v47, v48, v46
	v_add3_u32 v27, v44, v45, v42
	v_add3_u32 v28, v41, v43, v40
	s_delay_alu instid0(VALU_DEP_4)
	v_add_nc_u64_e32 v[24:25], s[14:15], v[2:3]
	v_add3_u32 v3, v50, v51, v49
	v_add3_u32 v29, v39, v53, v38
	;; [unrolled: 1-line block ×4, first 2 shown]
	v_mov_b32_e32 v31, v32
	s_mov_b32 s5, -1
	v_add_nc_u64_e32 v[24:25], 0x3000, v[24:25]
	s_mov_b32 s4, 0
	s_branch .LBB1216_59
.LBB1216_58:                            ;   in Loop: Header=BB1216_59 Depth=1
	s_wait_xcnt 0x0
	s_or_b32 exec_lo, exec_lo, s6
	v_add_nc_u64_e32 v[24:25], 0x4000, v[24:25]
	v_add_nc_u32_e32 v31, 0x800, v31
	s_xor_b32 s5, s5, -1
	s_addk_co_i32 s4, 0xf800
	s_and_b32 vcc_lo, exec_lo, s5
	s_mov_b32 s5, 0
	s_wait_storecnt 0x0
	s_barrier_signal -1
	s_barrier_wait -1
	s_cbranch_vccnz .LBB1216_67
.LBB1216_59:                            ; =>This Inner Loop Header: Depth=1
	v_add_min_u32_e64 v34, v1, s4, 0x800
	v_add_min_u32_e64 v35, v23, s4, 0x800
	v_add_min_u32_e64 v36, v30, s4, 0x800
	v_add_min_u32_e64 v37, v29, s4, 0x800
	v_add_min_u32_e64 v38, v28, s4, 0x800
	s_delay_alu instid0(VALU_DEP_4) | instskip(NEXT) | instid1(VALU_DEP_3)
	v_dual_lshlrev_b32 v34, 3, v34 :: v_dual_lshlrev_b32 v35, 3, v35
	v_dual_lshlrev_b32 v36, 3, v36 :: v_dual_lshlrev_b32 v37, 3, v37
	s_mov_b32 s6, exec_lo
	ds_store_b64 v34, v[6:7] offset:2048
	ds_store_b64 v35, v[4:5] offset:2048
	;; [unrolled: 1-line block ×3, first 2 shown]
	v_add_min_u32_e64 v34, v27, s4, 0x800
	v_add_min_u32_e64 v35, v26, s4, 0x800
	;; [unrolled: 1-line block ×3, first 2 shown]
	v_lshlrev_b32_e32 v38, 3, v38
	s_delay_alu instid0(VALU_DEP_3) | instskip(NEXT) | instid1(VALU_DEP_3)
	v_dual_lshlrev_b32 v34, 3, v34 :: v_dual_lshlrev_b32 v35, 3, v35
	v_lshlrev_b32_e32 v36, 3, v36
	ds_store_b64 v37, v[8:9] offset:2048
	ds_store_b64 v38, v[14:15] offset:2048
	;; [unrolled: 1-line block ×5, first 2 shown]
	s_wait_storecnt_dscnt 0x0
	s_barrier_signal -1
	s_barrier_wait -1
	v_cmpx_gt_u32_e64 s18, v31
	s_cbranch_execz .LBB1216_61
; %bb.60:                               ;   in Loop: Header=BB1216_59 Depth=1
	ds_load_b64 v[34:35], v2 offset:2048
	s_wait_dscnt 0x0
	v_lshrrev_b64 v[36:37], s16, v[34:35]
	v_xor_b32_e32 v35, 0x80000000, v35
	s_delay_alu instid0(VALU_DEP_2) | instskip(NEXT) | instid1(VALU_DEP_1)
	v_and_b32_e32 v36, s25, v36
	v_lshlrev_b32_e32 v36, 3, v36
	ds_load_b64 v[36:37], v36
	s_wait_dscnt 0x0
	v_lshl_add_u64 v[36:37], v[36:37], 3, v[24:25]
	global_store_b64 v[36:37], v[34:35], off offset:-12288
.LBB1216_61:                            ;   in Loop: Header=BB1216_59 Depth=1
	s_wait_xcnt 0x0
	s_or_b32 exec_lo, exec_lo, s6
	v_add_nc_u32_e32 v34, 0x200, v31
	s_mov_b32 s6, exec_lo
	s_delay_alu instid0(VALU_DEP_1)
	v_cmpx_gt_u32_e64 s18, v34
	s_cbranch_execz .LBB1216_63
; %bb.62:                               ;   in Loop: Header=BB1216_59 Depth=1
	ds_load_b64 v[34:35], v2 offset:6144
	s_wait_dscnt 0x0
	v_lshrrev_b64 v[36:37], s16, v[34:35]
	v_xor_b32_e32 v35, 0x80000000, v35
	s_delay_alu instid0(VALU_DEP_2) | instskip(NEXT) | instid1(VALU_DEP_1)
	v_and_b32_e32 v36, s25, v36
	v_lshlrev_b32_e32 v36, 3, v36
	ds_load_b64 v[36:37], v36
	s_wait_dscnt 0x0
	v_lshl_add_u64 v[36:37], v[36:37], 3, v[24:25]
	global_store_b64 v[36:37], v[34:35], off offset:-8192
.LBB1216_63:                            ;   in Loop: Header=BB1216_59 Depth=1
	s_wait_xcnt 0x0
	s_or_b32 exec_lo, exec_lo, s6
	v_add_nc_u32_e32 v34, 0x400, v31
	s_mov_b32 s6, exec_lo
	s_delay_alu instid0(VALU_DEP_1)
	;; [unrolled: 20-line block ×3, first 2 shown]
	v_cmpx_gt_u32_e64 s18, v34
	s_cbranch_execz .LBB1216_58
; %bb.66:                               ;   in Loop: Header=BB1216_59 Depth=1
	ds_load_b64 v[34:35], v2 offset:14336
	s_wait_dscnt 0x0
	v_lshrrev_b64 v[36:37], s16, v[34:35]
	v_xor_b32_e32 v35, 0x80000000, v35
	s_delay_alu instid0(VALU_DEP_2) | instskip(NEXT) | instid1(VALU_DEP_1)
	v_and_b32_e32 v36, s25, v36
	v_lshlrev_b32_e32 v36, 3, v36
	ds_load_b64 v[36:37], v36
	s_wait_dscnt 0x0
	v_lshl_add_u64 v[36:37], v[36:37], 3, v[24:25]
	global_store_b64 v[36:37], v[34:35], off
	s_branch .LBB1216_58
.LBB1216_67:
	s_add_co_i32 s24, s24, -1
	s_delay_alu instid0(SALU_CYCLE_1) | instskip(SKIP_2) | instid1(SALU_CYCLE_1)
	s_cmp_eq_u32 s19, s24
	s_cselect_b32 s4, -1, 0
	s_xor_b32 s3, s3, -1
	s_and_b32 s4, s3, s4
	s_delay_alu instid0(SALU_CYCLE_1)
	s_and_saveexec_b32 s3, s4
	s_cbranch_execz .LBB1216_69
; %bb.68:
	ds_load_b64 v[4:5], v2
	v_mov_b32_e32 v23, 0
	s_delay_alu instid0(VALU_DEP_1) | instskip(SKIP_1) | instid1(VALU_DEP_1)
	v_add_nc_u64_e32 v[6:7], v[20:21], v[22:23]
	s_wait_dscnt 0x0
	v_add_nc_u64_e32 v[4:5], v[6:7], v[4:5]
	global_store_b64 v32, v[4:5], s[10:11] scale_offset
.LBB1216_69:
	s_wait_xcnt 0x0
	s_or_b32 exec_lo, exec_lo, s3
	s_mov_b32 s4, 0
.LBB1216_70:
	s_delay_alu instid0(SALU_CYCLE_1)
	s_and_b32 vcc_lo, exec_lo, s4
	s_cbranch_vccz .LBB1216_111
; %bb.71:
	s_lshl_b32 s4, s19, 12
	s_mov_b32 s5, 0
	v_dual_mov_b32 v21, 0 :: v_dual_lshlrev_b32 v20, 3, v33
	s_lshl_b64 s[24:25], s[4:5], 3
	v_lshlrev_b32_e32 v1, 6, v32
	s_add_nc_u64 s[12:13], s[12:13], s[24:25]
	s_bfe_u32 s3, ttmp6, 0x4000c
	v_add_nc_u64_e32 v[4:5], s[12:13], v[20:21]
	s_add_co_i32 s3, s3, 1
	v_and_b32_e32 v20, 0xf800, v1
	s_and_b32 s4, ttmp6, 15
	s_mul_i32 s3, ttmp9, s3
	v_bfe_u32 v3, v0, 10, 10
	s_add_co_i32 s4, s4, s3
	v_add_nc_u64_e32 v[22:23], v[4:5], v[20:21]
	s_cmp_eq_u32 s7, 0
	v_bfe_u32 v20, v0, 20, 10
	s_cselect_b32 s3, ttmp9, s4
	s_clause 0x7
	global_load_b64 v[4:5], v[22:23], off
	global_load_b64 v[6:7], v[22:23], off offset:256
	global_load_b64 v[8:9], v[22:23], off offset:512
	;; [unrolled: 1-line block ×7, first 2 shown]
	s_clause 0x1
	s_load_b32 s12, s[0:1], 0x58
	s_load_u16 s6, s[0:1], 0x66
	s_wait_kmcnt 0x0
	s_cmp_lt_u32 s3, s12
	s_cselect_b32 s4, 12, 18
	s_lshl_b32 s13, -1, s17
	s_add_nc_u64 s[0:1], s[22:23], s[4:5]
	s_load_u16 s0, s[0:1], 0x0
	s_wait_loadcnt 0x7
	v_xor_b32_e32 v5, 0x80000000, v5
	s_delay_alu instid0(VALU_DEP_1) | instskip(SKIP_1) | instid1(VALU_DEP_2)
	v_lshrrev_b64 v[0:1], s16, v[4:5]
	v_mad_u32_u24 v1, v20, s6, v3
	v_bitop3_b32 v3, v0, 1, s13 bitop3:0x40
	v_bitop3_b32 v20, v0, s13, v0 bitop3:0x30
	s_wait_kmcnt 0x0
	s_delay_alu instid0(VALU_DEP_3) | instskip(NEXT) | instid1(VALU_DEP_3)
	v_mad_u32 v0, v1, s0, v32
	v_add_co_u32 v1, s0, v3, -1
	s_delay_alu instid0(VALU_DEP_1) | instskip(SKIP_2) | instid1(VALU_DEP_3)
	v_cndmask_b32_e64 v3, 0, 1, s0
	v_dual_lshlrev_b32 v22, 30, v20 :: v_dual_lshlrev_b32 v23, 29, v20
	v_dual_lshlrev_b32 v24, 28, v20 :: v_dual_lshlrev_b32 v25, 27, v20
	v_cmp_ne_u32_e32 vcc_lo, 0, v3
	s_delay_alu instid0(VALU_DEP_3)
	v_not_b32_e32 v3, v22
	v_dual_lshlrev_b32 v26, 26, v20 :: v_dual_lshlrev_b32 v27, 25, v20
	v_cmp_gt_i32_e64 s0, 0, v22
	v_cmp_gt_i32_e64 s1, 0, v23
	v_not_b32_e32 v22, v23
	v_not_b32_e32 v23, v24
	v_dual_ashrrev_i32 v3, 31, v3 :: v_dual_lshlrev_b32 v28, 24, v20
	v_xor_b32_e32 v1, vcc_lo, v1
	v_cmp_gt_i32_e64 s3, 0, v24
	v_cmp_gt_i32_e64 s4, 0, v25
	v_not_b32_e32 v24, v25
	v_not_b32_e32 v25, v26
	v_dual_ashrrev_i32 v22, 31, v22 :: v_dual_ashrrev_i32 v23, 31, v23
	s_delay_alu instid0(VALU_DEP_3)
	v_dual_ashrrev_i32 v24, 31, v24 :: v_dual_bitop2_b32 v3, s0, v3 bitop3:0x14
	v_cmp_gt_i32_e64 s5, 0, v26
	v_cmp_gt_i32_e64 s6, 0, v27
	v_not_b32_e32 v26, v27
	v_not_b32_e32 v27, v28
	v_dual_ashrrev_i32 v25, 31, v25 :: v_dual_bitop2_b32 v22, s1, v22 bitop3:0x14
	v_xor_b32_e32 v23, s3, v23
	v_bitop3_b32 v1, v1, v3, exec_lo bitop3:0x80
	v_cmp_gt_i32_e64 s7, 0, v28
	v_dual_ashrrev_i32 v3, 31, v26 :: v_dual_ashrrev_i32 v26, 31, v27
	v_xor_b32_e32 v24, s4, v24
	v_dual_lshrrev_b32 v0, 5, v0 :: v_dual_bitop2_b32 v25, s5, v25 bitop3:0x14
	v_bitop3_b32 v1, v1, v23, v22 bitop3:0x80
	s_delay_alu instid0(VALU_DEP_4)
	v_xor_b32_e32 v3, s6, v3
	v_xor_b32_e32 v22, s7, v26
	v_mul_u32_u24_e32 v26, 36, v32
	v_lshlrev_b32_e32 v0, 2, v0
	v_bitop3_b32 v1, v1, v25, v24 bitop3:0x80
	s_not_b32 s6, s13
	ds_store_2addr_b32 v26, v21, v21 offset0:16 offset1:17
	ds_store_2addr_b32 v26, v21, v21 offset0:18 offset1:19
	;; [unrolled: 1-line block ×4, first 2 shown]
	v_mad_u32 v27, 0x44, v20, v0
	v_bitop3_b32 v1, v1, v22, v3 bitop3:0x80
	ds_store_b32 v26, v21 offset:96
	s_wait_storecnt 0x0
	s_wait_loadcnt_dscnt 0x0
	s_barrier_signal -1
	s_barrier_wait -1
	v_mbcnt_lo_u32_b32 v3, v1, 0
	v_cmp_ne_u32_e64 s0, 0, v1
	; wave barrier
	s_delay_alu instid0(VALU_DEP_2) | instskip(SKIP_1) | instid1(SALU_CYCLE_1)
	v_cmp_eq_u32_e32 vcc_lo, 0, v3
	s_and_b32 s1, s0, vcc_lo
	s_and_saveexec_b32 s0, s1
; %bb.72:
	v_bcnt_u32_b32 v1, v1, 0
	ds_store_b32 v27, v1 offset:64
; %bb.73:
	s_or_b32 exec_lo, exec_lo, s0
	v_xor_b32_e32 v7, 0x80000000, v7
	; wave barrier
	s_delay_alu instid0(VALU_DEP_1) | instskip(NEXT) | instid1(VALU_DEP_1)
	v_lshrrev_b64 v[20:21], s16, v[6:7]
	v_and_b32_e32 v1, s6, v20
	v_bitop3_b32 v20, v20, 1, s6 bitop3:0x80
	s_delay_alu instid0(VALU_DEP_2) | instskip(NEXT) | instid1(VALU_DEP_2)
	v_lshlrev_b32_e32 v22, 30, v1
	v_add_co_u32 v20, s0, v20, -1
	s_delay_alu instid0(VALU_DEP_1) | instskip(NEXT) | instid1(VALU_DEP_1)
	v_cndmask_b32_e64 v21, 0, 1, s0
	v_cmp_ne_u32_e32 vcc_lo, 0, v21
	s_delay_alu instid0(VALU_DEP_4) | instskip(NEXT) | instid1(VALU_DEP_1)
	v_not_b32_e32 v21, v22
	v_dual_ashrrev_i32 v21, 31, v21 :: v_dual_bitop2_b32 v20, vcc_lo, v20 bitop3:0x14
	v_dual_lshlrev_b32 v23, 29, v1 :: v_dual_lshlrev_b32 v24, 28, v1
	v_dual_lshlrev_b32 v25, 27, v1 :: v_dual_lshlrev_b32 v29, 26, v1
	v_lshlrev_b32_e32 v30, 25, v1
	v_cmp_gt_i32_e64 s0, 0, v22
	s_delay_alu instid0(VALU_DEP_4)
	v_cmp_gt_i32_e64 s1, 0, v23
	v_not_b32_e32 v22, v23
	v_cmp_gt_i32_e64 s3, 0, v24
	v_not_b32_e32 v23, v24
	v_not_b32_e32 v24, v25
	v_mad_u32 v28, 0x44, v1, v0
	v_lshlrev_b32_e32 v1, 24, v1
	v_cmp_gt_i32_e64 s4, 0, v25
	v_not_b32_e32 v25, v29
	v_dual_ashrrev_i32 v22, 31, v22 :: v_dual_ashrrev_i32 v23, 31, v23
	v_dual_ashrrev_i32 v24, 31, v24 :: v_dual_bitop2_b32 v21, s0, v21 bitop3:0x14
	v_cmp_gt_i32_e64 s5, 0, v29
	v_not_b32_e32 v29, v30
	s_delay_alu instid0(VALU_DEP_4)
	v_dual_ashrrev_i32 v25, 31, v25 :: v_dual_bitop2_b32 v22, s1, v22 bitop3:0x14
	v_xor_b32_e32 v23, s3, v23
	v_bitop3_b32 v20, v20, v21, exec_lo bitop3:0x80
	v_not_b32_e32 v21, v1
	v_xor_b32_e32 v24, s4, v24
	v_xor_b32_e32 v25, s5, v25
	v_cmp_gt_i32_e32 vcc_lo, 0, v30
	v_ashrrev_i32_e32 v29, 31, v29
	v_cmp_gt_i32_e64 s0, 0, v1
	v_ashrrev_i32_e32 v1, 31, v21
	v_bitop3_b32 v20, v20, v23, v22 bitop3:0x80
	ds_load_b32 v30, v28 offset:64
	v_xor_b32_e32 v21, vcc_lo, v29
	v_xor_b32_e32 v1, s0, v1
	v_bitop3_b32 v20, v20, v25, v24 bitop3:0x80
	; wave barrier
	s_delay_alu instid0(VALU_DEP_1) | instskip(NEXT) | instid1(VALU_DEP_1)
	v_bitop3_b32 v1, v20, v1, v21 bitop3:0x80
	v_mbcnt_lo_u32_b32 v31, v1, 0
	v_cmp_ne_u32_e64 s0, 0, v1
	s_delay_alu instid0(VALU_DEP_2) | instskip(SKIP_1) | instid1(SALU_CYCLE_1)
	v_cmp_eq_u32_e32 vcc_lo, 0, v31
	s_and_b32 s1, s0, vcc_lo
	s_and_saveexec_b32 s0, s1
	s_cbranch_execz .LBB1216_75
; %bb.74:
	s_wait_dscnt 0x0
	v_bcnt_u32_b32 v1, v1, v30
	ds_store_b32 v28, v1 offset:64
.LBB1216_75:
	s_or_b32 exec_lo, exec_lo, s0
	v_xor_b32_e32 v9, 0x80000000, v9
	; wave barrier
	s_delay_alu instid0(VALU_DEP_1) | instskip(NEXT) | instid1(VALU_DEP_1)
	v_lshrrev_b64 v[20:21], s16, v[8:9]
	v_and_b32_e32 v1, s6, v20
	v_bitop3_b32 v20, v20, 1, s6 bitop3:0x80
	s_delay_alu instid0(VALU_DEP_2) | instskip(NEXT) | instid1(VALU_DEP_2)
	v_lshlrev_b32_e32 v22, 30, v1
	v_add_co_u32 v20, s0, v20, -1
	s_delay_alu instid0(VALU_DEP_1) | instskip(NEXT) | instid1(VALU_DEP_1)
	v_cndmask_b32_e64 v21, 0, 1, s0
	v_cmp_ne_u32_e32 vcc_lo, 0, v21
	s_delay_alu instid0(VALU_DEP_4) | instskip(NEXT) | instid1(VALU_DEP_1)
	v_not_b32_e32 v21, v22
	v_dual_ashrrev_i32 v21, 31, v21 :: v_dual_bitop2_b32 v20, vcc_lo, v20 bitop3:0x14
	v_dual_lshlrev_b32 v23, 29, v1 :: v_dual_lshlrev_b32 v24, 28, v1
	v_dual_lshlrev_b32 v25, 27, v1 :: v_dual_lshlrev_b32 v34, 26, v1
	v_lshlrev_b32_e32 v35, 25, v1
	v_cmp_gt_i32_e64 s0, 0, v22
	s_delay_alu instid0(VALU_DEP_4)
	v_cmp_gt_i32_e64 s1, 0, v23
	v_not_b32_e32 v22, v23
	v_cmp_gt_i32_e64 s3, 0, v24
	v_not_b32_e32 v23, v24
	v_not_b32_e32 v24, v25
	v_mad_u32 v29, 0x44, v1, v0
	v_lshlrev_b32_e32 v1, 24, v1
	v_cmp_gt_i32_e64 s4, 0, v25
	v_not_b32_e32 v25, v34
	v_dual_ashrrev_i32 v22, 31, v22 :: v_dual_ashrrev_i32 v23, 31, v23
	v_dual_ashrrev_i32 v24, 31, v24 :: v_dual_bitop2_b32 v21, s0, v21 bitop3:0x14
	v_cmp_gt_i32_e64 s5, 0, v34
	v_not_b32_e32 v34, v35
	s_delay_alu instid0(VALU_DEP_4)
	v_dual_ashrrev_i32 v25, 31, v25 :: v_dual_bitop2_b32 v22, s1, v22 bitop3:0x14
	v_xor_b32_e32 v23, s3, v23
	v_bitop3_b32 v20, v20, v21, exec_lo bitop3:0x80
	v_not_b32_e32 v21, v1
	v_xor_b32_e32 v24, s4, v24
	v_xor_b32_e32 v25, s5, v25
	v_cmp_gt_i32_e32 vcc_lo, 0, v35
	v_ashrrev_i32_e32 v34, 31, v34
	v_cmp_gt_i32_e64 s0, 0, v1
	v_ashrrev_i32_e32 v1, 31, v21
	v_bitop3_b32 v20, v20, v23, v22 bitop3:0x80
	s_delay_alu instid0(VALU_DEP_4) | instskip(SKIP_3) | instid1(VALU_DEP_1)
	v_xor_b32_e32 v21, vcc_lo, v34
	ds_load_b32 v34, v29 offset:64
	v_xor_b32_e32 v1, s0, v1
	v_bitop3_b32 v20, v20, v25, v24 bitop3:0x80
	; wave barrier
	v_bitop3_b32 v1, v20, v1, v21 bitop3:0x80
	s_delay_alu instid0(VALU_DEP_1) | instskip(SKIP_1) | instid1(VALU_DEP_2)
	v_mbcnt_lo_u32_b32 v35, v1, 0
	v_cmp_ne_u32_e64 s0, 0, v1
	v_cmp_eq_u32_e32 vcc_lo, 0, v35
	s_and_b32 s1, s0, vcc_lo
	s_delay_alu instid0(SALU_CYCLE_1)
	s_and_saveexec_b32 s0, s1
	s_cbranch_execz .LBB1216_77
; %bb.76:
	s_wait_dscnt 0x0
	v_bcnt_u32_b32 v1, v1, v34
	ds_store_b32 v29, v1 offset:64
.LBB1216_77:
	s_or_b32 exec_lo, exec_lo, s0
	v_xor_b32_e32 v11, 0x80000000, v11
	; wave barrier
	s_delay_alu instid0(VALU_DEP_1) | instskip(NEXT) | instid1(VALU_DEP_1)
	v_lshrrev_b64 v[20:21], s16, v[10:11]
	v_and_b32_e32 v1, s6, v20
	v_bitop3_b32 v20, v20, 1, s6 bitop3:0x80
	s_delay_alu instid0(VALU_DEP_2) | instskip(NEXT) | instid1(VALU_DEP_2)
	v_lshlrev_b32_e32 v22, 30, v1
	v_add_co_u32 v20, s0, v20, -1
	s_delay_alu instid0(VALU_DEP_1) | instskip(NEXT) | instid1(VALU_DEP_1)
	v_cndmask_b32_e64 v21, 0, 1, s0
	v_cmp_ne_u32_e32 vcc_lo, 0, v21
	s_delay_alu instid0(VALU_DEP_4) | instskip(NEXT) | instid1(VALU_DEP_1)
	v_not_b32_e32 v21, v22
	v_dual_ashrrev_i32 v21, 31, v21 :: v_dual_bitop2_b32 v20, vcc_lo, v20 bitop3:0x14
	v_dual_lshlrev_b32 v23, 29, v1 :: v_dual_lshlrev_b32 v24, 28, v1
	v_dual_lshlrev_b32 v25, 27, v1 :: v_dual_lshlrev_b32 v36, 26, v1
	v_lshlrev_b32_e32 v37, 25, v1
	v_cmp_gt_i32_e64 s0, 0, v22
	s_delay_alu instid0(VALU_DEP_4)
	v_cmp_gt_i32_e64 s1, 0, v23
	v_not_b32_e32 v22, v23
	v_cmp_gt_i32_e64 s3, 0, v24
	v_not_b32_e32 v23, v24
	v_not_b32_e32 v24, v25
	v_mad_u32 v38, 0x44, v1, v0
	v_lshlrev_b32_e32 v1, 24, v1
	v_cmp_gt_i32_e64 s4, 0, v25
	v_not_b32_e32 v25, v36
	v_dual_ashrrev_i32 v22, 31, v22 :: v_dual_ashrrev_i32 v23, 31, v23
	v_dual_ashrrev_i32 v24, 31, v24 :: v_dual_bitop2_b32 v21, s0, v21 bitop3:0x14
	v_cmp_gt_i32_e64 s5, 0, v36
	v_not_b32_e32 v36, v37
	s_delay_alu instid0(VALU_DEP_4)
	v_dual_ashrrev_i32 v25, 31, v25 :: v_dual_bitop2_b32 v22, s1, v22 bitop3:0x14
	v_xor_b32_e32 v23, s3, v23
	v_bitop3_b32 v20, v20, v21, exec_lo bitop3:0x80
	v_not_b32_e32 v21, v1
	v_xor_b32_e32 v24, s4, v24
	v_xor_b32_e32 v25, s5, v25
	v_cmp_gt_i32_e32 vcc_lo, 0, v37
	v_ashrrev_i32_e32 v36, 31, v36
	v_cmp_gt_i32_e64 s0, 0, v1
	v_ashrrev_i32_e32 v1, 31, v21
	v_bitop3_b32 v20, v20, v23, v22 bitop3:0x80
	s_delay_alu instid0(VALU_DEP_4) | instskip(SKIP_3) | instid1(VALU_DEP_1)
	v_xor_b32_e32 v21, vcc_lo, v36
	ds_load_b32 v36, v38 offset:64
	v_xor_b32_e32 v1, s0, v1
	v_bitop3_b32 v20, v20, v25, v24 bitop3:0x80
	; wave barrier
	v_bitop3_b32 v1, v20, v1, v21 bitop3:0x80
	s_delay_alu instid0(VALU_DEP_1) | instskip(SKIP_1) | instid1(VALU_DEP_2)
	v_mbcnt_lo_u32_b32 v37, v1, 0
	v_cmp_ne_u32_e64 s0, 0, v1
	v_cmp_eq_u32_e32 vcc_lo, 0, v37
	s_and_b32 s1, s0, vcc_lo
	s_delay_alu instid0(SALU_CYCLE_1)
	s_and_saveexec_b32 s0, s1
	s_cbranch_execz .LBB1216_79
; %bb.78:
	s_wait_dscnt 0x0
	v_bcnt_u32_b32 v1, v1, v36
	ds_store_b32 v38, v1 offset:64
.LBB1216_79:
	s_or_b32 exec_lo, exec_lo, s0
	v_xor_b32_e32 v13, 0x80000000, v13
	; wave barrier
	s_delay_alu instid0(VALU_DEP_1) | instskip(NEXT) | instid1(VALU_DEP_1)
	v_lshrrev_b64 v[20:21], s16, v[12:13]
	v_and_b32_e32 v1, s6, v20
	v_bitop3_b32 v20, v20, 1, s6 bitop3:0x80
	s_delay_alu instid0(VALU_DEP_2) | instskip(NEXT) | instid1(VALU_DEP_2)
	v_lshlrev_b32_e32 v22, 30, v1
	v_add_co_u32 v20, s0, v20, -1
	s_delay_alu instid0(VALU_DEP_1) | instskip(NEXT) | instid1(VALU_DEP_1)
	v_cndmask_b32_e64 v21, 0, 1, s0
	v_cmp_ne_u32_e32 vcc_lo, 0, v21
	s_delay_alu instid0(VALU_DEP_4) | instskip(NEXT) | instid1(VALU_DEP_1)
	v_not_b32_e32 v21, v22
	v_dual_ashrrev_i32 v21, 31, v21 :: v_dual_bitop2_b32 v20, vcc_lo, v20 bitop3:0x14
	v_dual_lshlrev_b32 v23, 29, v1 :: v_dual_lshlrev_b32 v24, 28, v1
	v_dual_lshlrev_b32 v25, 27, v1 :: v_dual_lshlrev_b32 v39, 26, v1
	v_lshlrev_b32_e32 v40, 25, v1
	v_cmp_gt_i32_e64 s0, 0, v22
	s_delay_alu instid0(VALU_DEP_4)
	v_cmp_gt_i32_e64 s1, 0, v23
	v_not_b32_e32 v22, v23
	v_cmp_gt_i32_e64 s3, 0, v24
	v_not_b32_e32 v23, v24
	v_not_b32_e32 v24, v25
	v_mad_u32 v41, 0x44, v1, v0
	v_lshlrev_b32_e32 v1, 24, v1
	v_cmp_gt_i32_e64 s4, 0, v25
	v_not_b32_e32 v25, v39
	v_dual_ashrrev_i32 v22, 31, v22 :: v_dual_ashrrev_i32 v23, 31, v23
	v_dual_ashrrev_i32 v24, 31, v24 :: v_dual_bitop2_b32 v21, s0, v21 bitop3:0x14
	v_cmp_gt_i32_e64 s5, 0, v39
	v_not_b32_e32 v39, v40
	s_delay_alu instid0(VALU_DEP_4) | instskip(NEXT) | instid1(VALU_DEP_4)
	v_dual_ashrrev_i32 v25, 31, v25 :: v_dual_bitop2_b32 v22, s1, v22 bitop3:0x14
	v_bitop3_b32 v20, v20, v21, exec_lo bitop3:0x80
	v_not_b32_e32 v21, v1
	v_xor_b32_e32 v23, s3, v23
	v_dual_ashrrev_i32 v39, 31, v39 :: v_dual_bitop2_b32 v24, s4, v24 bitop3:0x14
	v_xor_b32_e32 v25, s5, v25
	v_cmp_gt_i32_e32 vcc_lo, 0, v40
	v_cmp_gt_i32_e64 s0, 0, v1
	v_ashrrev_i32_e32 v1, 31, v21
	v_bitop3_b32 v20, v20, v23, v22 bitop3:0x80
	v_xor_b32_e32 v21, vcc_lo, v39
	ds_load_b32 v39, v41 offset:64
	v_xor_b32_e32 v1, s0, v1
	v_bitop3_b32 v20, v20, v25, v24 bitop3:0x80
	; wave barrier
	s_delay_alu instid0(VALU_DEP_1) | instskip(NEXT) | instid1(VALU_DEP_1)
	v_bitop3_b32 v1, v20, v1, v21 bitop3:0x80
	v_mbcnt_lo_u32_b32 v40, v1, 0
	v_cmp_ne_u32_e64 s0, 0, v1
	s_delay_alu instid0(VALU_DEP_2) | instskip(SKIP_1) | instid1(SALU_CYCLE_1)
	v_cmp_eq_u32_e32 vcc_lo, 0, v40
	s_and_b32 s1, s0, vcc_lo
	s_and_saveexec_b32 s0, s1
	s_cbranch_execz .LBB1216_81
; %bb.80:
	s_wait_dscnt 0x0
	v_bcnt_u32_b32 v1, v1, v39
	ds_store_b32 v41, v1 offset:64
.LBB1216_81:
	s_or_b32 exec_lo, exec_lo, s0
	v_xor_b32_e32 v15, 0x80000000, v15
	; wave barrier
	s_delay_alu instid0(VALU_DEP_1) | instskip(NEXT) | instid1(VALU_DEP_1)
	v_lshrrev_b64 v[20:21], s16, v[14:15]
	v_and_b32_e32 v1, s6, v20
	v_bitop3_b32 v20, v20, 1, s6 bitop3:0x80
	s_delay_alu instid0(VALU_DEP_2) | instskip(NEXT) | instid1(VALU_DEP_2)
	v_lshlrev_b32_e32 v22, 30, v1
	v_add_co_u32 v20, s0, v20, -1
	s_delay_alu instid0(VALU_DEP_1) | instskip(NEXT) | instid1(VALU_DEP_1)
	v_cndmask_b32_e64 v21, 0, 1, s0
	v_cmp_ne_u32_e32 vcc_lo, 0, v21
	s_delay_alu instid0(VALU_DEP_4) | instskip(NEXT) | instid1(VALU_DEP_1)
	v_not_b32_e32 v21, v22
	v_dual_ashrrev_i32 v21, 31, v21 :: v_dual_bitop2_b32 v20, vcc_lo, v20 bitop3:0x14
	v_dual_lshlrev_b32 v23, 29, v1 :: v_dual_lshlrev_b32 v24, 28, v1
	v_dual_lshlrev_b32 v25, 27, v1 :: v_dual_lshlrev_b32 v42, 26, v1
	v_lshlrev_b32_e32 v43, 25, v1
	v_cmp_gt_i32_e64 s0, 0, v22
	s_delay_alu instid0(VALU_DEP_4)
	v_cmp_gt_i32_e64 s1, 0, v23
	v_not_b32_e32 v22, v23
	v_cmp_gt_i32_e64 s3, 0, v24
	v_not_b32_e32 v23, v24
	v_not_b32_e32 v24, v25
	v_mad_u32 v44, 0x44, v1, v0
	v_lshlrev_b32_e32 v1, 24, v1
	v_cmp_gt_i32_e64 s4, 0, v25
	v_not_b32_e32 v25, v42
	v_dual_ashrrev_i32 v22, 31, v22 :: v_dual_ashrrev_i32 v23, 31, v23
	v_dual_ashrrev_i32 v24, 31, v24 :: v_dual_bitop2_b32 v21, s0, v21 bitop3:0x14
	v_cmp_gt_i32_e64 s5, 0, v42
	v_not_b32_e32 v42, v43
	s_delay_alu instid0(VALU_DEP_4)
	v_dual_ashrrev_i32 v25, 31, v25 :: v_dual_bitop2_b32 v22, s1, v22 bitop3:0x14
	v_xor_b32_e32 v23, s3, v23
	v_bitop3_b32 v20, v20, v21, exec_lo bitop3:0x80
	v_not_b32_e32 v21, v1
	v_xor_b32_e32 v24, s4, v24
	v_xor_b32_e32 v25, s5, v25
	v_cmp_gt_i32_e32 vcc_lo, 0, v43
	v_ashrrev_i32_e32 v42, 31, v42
	v_cmp_gt_i32_e64 s0, 0, v1
	v_ashrrev_i32_e32 v1, 31, v21
	v_bitop3_b32 v20, v20, v23, v22 bitop3:0x80
	s_delay_alu instid0(VALU_DEP_4) | instskip(SKIP_3) | instid1(VALU_DEP_1)
	v_xor_b32_e32 v21, vcc_lo, v42
	ds_load_b32 v42, v44 offset:64
	v_xor_b32_e32 v1, s0, v1
	v_bitop3_b32 v20, v20, v25, v24 bitop3:0x80
	; wave barrier
	v_bitop3_b32 v1, v20, v1, v21 bitop3:0x80
	s_delay_alu instid0(VALU_DEP_1) | instskip(SKIP_1) | instid1(VALU_DEP_2)
	v_mbcnt_lo_u32_b32 v43, v1, 0
	v_cmp_ne_u32_e64 s0, 0, v1
	v_cmp_eq_u32_e32 vcc_lo, 0, v43
	s_and_b32 s1, s0, vcc_lo
	s_delay_alu instid0(SALU_CYCLE_1)
	s_and_saveexec_b32 s0, s1
	s_cbranch_execz .LBB1216_83
; %bb.82:
	s_wait_dscnt 0x0
	v_bcnt_u32_b32 v1, v1, v42
	ds_store_b32 v44, v1 offset:64
.LBB1216_83:
	s_or_b32 exec_lo, exec_lo, s0
	v_xor_b32_e32 v17, 0x80000000, v17
	; wave barrier
	s_delay_alu instid0(VALU_DEP_1) | instskip(NEXT) | instid1(VALU_DEP_1)
	v_lshrrev_b64 v[20:21], s16, v[16:17]
	v_and_b32_e32 v1, s6, v20
	v_bitop3_b32 v20, v20, 1, s6 bitop3:0x80
	s_delay_alu instid0(VALU_DEP_2) | instskip(NEXT) | instid1(VALU_DEP_2)
	v_lshlrev_b32_e32 v22, 30, v1
	v_add_co_u32 v20, s0, v20, -1
	s_delay_alu instid0(VALU_DEP_1) | instskip(NEXT) | instid1(VALU_DEP_1)
	v_cndmask_b32_e64 v21, 0, 1, s0
	v_cmp_ne_u32_e32 vcc_lo, 0, v21
	s_delay_alu instid0(VALU_DEP_4) | instskip(NEXT) | instid1(VALU_DEP_1)
	v_not_b32_e32 v21, v22
	v_dual_ashrrev_i32 v21, 31, v21 :: v_dual_bitop2_b32 v20, vcc_lo, v20 bitop3:0x14
	v_dual_lshlrev_b32 v23, 29, v1 :: v_dual_lshlrev_b32 v24, 28, v1
	v_dual_lshlrev_b32 v25, 27, v1 :: v_dual_lshlrev_b32 v45, 26, v1
	v_lshlrev_b32_e32 v46, 25, v1
	v_cmp_gt_i32_e64 s0, 0, v22
	s_delay_alu instid0(VALU_DEP_4)
	v_cmp_gt_i32_e64 s1, 0, v23
	v_not_b32_e32 v22, v23
	v_cmp_gt_i32_e64 s3, 0, v24
	v_not_b32_e32 v23, v24
	v_not_b32_e32 v24, v25
	v_mad_u32 v47, 0x44, v1, v0
	v_lshlrev_b32_e32 v1, 24, v1
	v_cmp_gt_i32_e64 s4, 0, v25
	v_not_b32_e32 v25, v45
	v_dual_ashrrev_i32 v22, 31, v22 :: v_dual_ashrrev_i32 v23, 31, v23
	v_dual_ashrrev_i32 v24, 31, v24 :: v_dual_bitop2_b32 v21, s0, v21 bitop3:0x14
	v_cmp_gt_i32_e64 s5, 0, v45
	v_not_b32_e32 v45, v46
	s_delay_alu instid0(VALU_DEP_4)
	v_dual_ashrrev_i32 v25, 31, v25 :: v_dual_bitop2_b32 v22, s1, v22 bitop3:0x14
	v_xor_b32_e32 v23, s3, v23
	v_bitop3_b32 v20, v20, v21, exec_lo bitop3:0x80
	v_not_b32_e32 v21, v1
	v_xor_b32_e32 v24, s4, v24
	v_xor_b32_e32 v25, s5, v25
	v_cmp_gt_i32_e32 vcc_lo, 0, v46
	v_ashrrev_i32_e32 v45, 31, v45
	v_cmp_gt_i32_e64 s0, 0, v1
	v_ashrrev_i32_e32 v1, 31, v21
	v_bitop3_b32 v20, v20, v23, v22 bitop3:0x80
	s_delay_alu instid0(VALU_DEP_4) | instskip(SKIP_3) | instid1(VALU_DEP_1)
	v_xor_b32_e32 v21, vcc_lo, v45
	ds_load_b32 v45, v47 offset:64
	v_xor_b32_e32 v1, s0, v1
	v_bitop3_b32 v20, v20, v25, v24 bitop3:0x80
	; wave barrier
	v_bitop3_b32 v1, v20, v1, v21 bitop3:0x80
	s_delay_alu instid0(VALU_DEP_1) | instskip(SKIP_1) | instid1(VALU_DEP_2)
	v_mbcnt_lo_u32_b32 v46, v1, 0
	v_cmp_ne_u32_e64 s0, 0, v1
	v_cmp_eq_u32_e32 vcc_lo, 0, v46
	s_and_b32 s1, s0, vcc_lo
	s_delay_alu instid0(SALU_CYCLE_1)
	s_and_saveexec_b32 s0, s1
	s_cbranch_execz .LBB1216_85
; %bb.84:
	s_wait_dscnt 0x0
	v_bcnt_u32_b32 v1, v1, v45
	ds_store_b32 v47, v1 offset:64
.LBB1216_85:
	s_or_b32 exec_lo, exec_lo, s0
	v_xor_b32_e32 v19, 0x80000000, v19
	; wave barrier
	s_delay_alu instid0(VALU_DEP_1) | instskip(NEXT) | instid1(VALU_DEP_1)
	v_lshrrev_b64 v[20:21], s16, v[18:19]
	v_and_b32_e32 v1, s6, v20
	v_bitop3_b32 v20, v20, 1, s6 bitop3:0x80
	s_delay_alu instid0(VALU_DEP_2) | instskip(NEXT) | instid1(VALU_DEP_2)
	v_mad_u32 v50, 0x44, v1, v0
	v_add_co_u32 v0, s0, v20, -1
	s_delay_alu instid0(VALU_DEP_1) | instskip(SKIP_1) | instid1(VALU_DEP_2)
	v_cndmask_b32_e64 v20, 0, 1, s0
	v_lshlrev_b32_e32 v21, 30, v1
	v_cmp_ne_u32_e32 vcc_lo, 0, v20
	s_delay_alu instid0(VALU_DEP_2) | instskip(SKIP_1) | instid1(VALU_DEP_2)
	v_not_b32_e32 v20, v21
	v_xor_b32_e32 v0, vcc_lo, v0
	v_dual_ashrrev_i32 v20, 31, v20 :: v_dual_lshlrev_b32 v22, 29, v1
	v_dual_lshlrev_b32 v23, 28, v1 :: v_dual_lshlrev_b32 v24, 27, v1
	v_dual_lshlrev_b32 v25, 26, v1 :: v_dual_lshlrev_b32 v48, 25, v1
	v_cmp_gt_i32_e64 s0, 0, v21
	s_delay_alu instid0(VALU_DEP_4)
	v_cmp_gt_i32_e64 s1, 0, v22
	v_not_b32_e32 v21, v22
	v_cmp_gt_i32_e64 s3, 0, v23
	v_not_b32_e32 v22, v23
	v_not_b32_e32 v23, v24
	v_lshlrev_b32_e32 v1, 24, v1
	v_cmp_gt_i32_e64 s4, 0, v24
	v_not_b32_e32 v24, v25
	v_dual_ashrrev_i32 v21, 31, v21 :: v_dual_ashrrev_i32 v22, 31, v22
	v_dual_ashrrev_i32 v23, 31, v23 :: v_dual_bitop2_b32 v20, s0, v20 bitop3:0x14
	v_cmp_gt_i32_e64 s5, 0, v25
	v_not_b32_e32 v25, v48
	s_delay_alu instid0(VALU_DEP_4)
	v_dual_ashrrev_i32 v24, 31, v24 :: v_dual_bitop2_b32 v21, s1, v21 bitop3:0x14
	v_xor_b32_e32 v22, s3, v22
	v_bitop3_b32 v0, v0, v20, exec_lo bitop3:0x80
	v_not_b32_e32 v20, v1
	v_xor_b32_e32 v23, s4, v23
	v_xor_b32_e32 v24, s5, v24
	v_cmp_gt_i32_e32 vcc_lo, 0, v48
	v_ashrrev_i32_e32 v25, 31, v25
	v_cmp_gt_i32_e64 s0, 0, v1
	v_ashrrev_i32_e32 v1, 31, v20
	v_bitop3_b32 v0, v0, v22, v21 bitop3:0x80
	ds_load_b32 v48, v50 offset:64
	v_xor_b32_e32 v20, vcc_lo, v25
	v_xor_b32_e32 v1, s0, v1
	v_bitop3_b32 v0, v0, v24, v23 bitop3:0x80
	; wave barrier
	s_delay_alu instid0(VALU_DEP_1) | instskip(NEXT) | instid1(VALU_DEP_1)
	v_bitop3_b32 v0, v0, v1, v20 bitop3:0x80
	v_mbcnt_lo_u32_b32 v49, v0, 0
	v_cmp_ne_u32_e64 s0, 0, v0
	s_delay_alu instid0(VALU_DEP_2) | instskip(SKIP_1) | instid1(SALU_CYCLE_1)
	v_cmp_eq_u32_e32 vcc_lo, 0, v49
	s_and_b32 s1, s0, vcc_lo
	s_and_saveexec_b32 s0, s1
	s_cbranch_execz .LBB1216_87
; %bb.86:
	s_wait_dscnt 0x0
	v_bcnt_u32_b32 v0, v0, v48
	ds_store_b32 v50, v0 offset:64
.LBB1216_87:
	s_or_b32 exec_lo, exec_lo, s0
	; wave barrier
	s_wait_dscnt 0x0
	s_barrier_signal -1
	s_barrier_wait -1
	ds_load_2addr_b32 v[24:25], v26 offset0:16 offset1:17
	ds_load_2addr_b32 v[22:23], v26 offset0:18 offset1:19
	ds_load_2addr_b32 v[20:21], v26 offset0:20 offset1:21
	ds_load_2addr_b32 v[0:1], v26 offset0:22 offset1:23
	ds_load_b32 v51, v26 offset:96
	v_bfe_i32 v54, v33, 4, 1
	s_mov_b32 s5, exec_lo
	s_wait_dscnt 0x3
	v_add3_u32 v52, v25, v24, v22
	s_wait_dscnt 0x2
	s_delay_alu instid0(VALU_DEP_1) | instskip(SKIP_1) | instid1(VALU_DEP_1)
	v_add3_u32 v52, v52, v23, v20
	s_wait_dscnt 0x1
	v_add3_u32 v52, v52, v21, v0
	s_wait_dscnt 0x0
	s_delay_alu instid0(VALU_DEP_1) | instskip(SKIP_1) | instid1(VALU_DEP_2)
	v_add3_u32 v51, v52, v1, v51
	v_and_b32_e32 v52, 15, v33
	v_mov_b32_dpp v53, v51 row_shr:1 row_mask:0xf bank_mask:0xf
	s_delay_alu instid0(VALU_DEP_2) | instskip(NEXT) | instid1(VALU_DEP_2)
	v_cmp_eq_u32_e32 vcc_lo, 0, v52
	v_cndmask_b32_e64 v53, v53, 0, vcc_lo
	s_delay_alu instid0(VALU_DEP_1) | instskip(SKIP_3) | instid1(VALU_DEP_4)
	v_add_nc_u32_e32 v51, v53, v51
	v_cmp_lt_u32_e64 s0, 1, v52
	v_cmp_lt_u32_e64 s1, 3, v52
	;; [unrolled: 1-line block ×3, first 2 shown]
	v_mov_b32_dpp v53, v51 row_shr:2 row_mask:0xf bank_mask:0xf
	s_delay_alu instid0(VALU_DEP_1) | instskip(NEXT) | instid1(VALU_DEP_1)
	v_cndmask_b32_e64 v53, 0, v53, s0
	v_add_nc_u32_e32 v51, v51, v53
	s_delay_alu instid0(VALU_DEP_1) | instskip(NEXT) | instid1(VALU_DEP_1)
	v_mov_b32_dpp v53, v51 row_shr:4 row_mask:0xf bank_mask:0xf
	v_cndmask_b32_e64 v53, 0, v53, s1
	s_delay_alu instid0(VALU_DEP_1) | instskip(NEXT) | instid1(VALU_DEP_1)
	v_add_nc_u32_e32 v51, v51, v53
	v_mov_b32_dpp v53, v51 row_shr:8 row_mask:0xf bank_mask:0xf
	s_delay_alu instid0(VALU_DEP_1) | instskip(SKIP_1) | instid1(VALU_DEP_2)
	v_cndmask_b32_e64 v52, 0, v53, s3
	v_and_b32_e32 v53, 0x3e0, v32
	v_add_nc_u32_e32 v51, v51, v52
	s_delay_alu instid0(VALU_DEP_2) | instskip(SKIP_4) | instid1(VALU_DEP_1)
	v_min_u32_e32 v53, 0x1e0, v53
	ds_swizzle_b32 v52, v51 offset:swizzle(BROADCAST,32,15)
	v_or_b32_e32 v53, 31, v53
	s_wait_dscnt 0x0
	v_and_b32_e32 v54, v54, v52
	v_dual_lshrrev_b32 v52, 5, v32 :: v_dual_add_nc_u32 v51, v51, v54
	s_delay_alu instid0(VALU_DEP_3)
	v_cmpx_eq_u32_e64 v32, v53
; %bb.88:
	s_delay_alu instid0(VALU_DEP_2)
	v_lshlrev_b32_e32 v53, 2, v52
	ds_store_b32 v53, v51
; %bb.89:
	s_or_b32 exec_lo, exec_lo, s5
	s_delay_alu instid0(SALU_CYCLE_1)
	s_mov_b32 s5, exec_lo
	s_wait_dscnt 0x0
	s_barrier_signal -1
	s_barrier_wait -1
	v_cmpx_gt_u32_e32 16, v32
	s_cbranch_execz .LBB1216_91
; %bb.90:
	v_lshlrev_b32_e32 v53, 2, v32
	ds_load_b32 v54, v53
	s_wait_dscnt 0x0
	v_mov_b32_dpp v55, v54 row_shr:1 row_mask:0xf bank_mask:0xf
	s_delay_alu instid0(VALU_DEP_1) | instskip(NEXT) | instid1(VALU_DEP_1)
	v_cndmask_b32_e64 v55, v55, 0, vcc_lo
	v_add_nc_u32_e32 v54, v55, v54
	s_delay_alu instid0(VALU_DEP_1) | instskip(NEXT) | instid1(VALU_DEP_1)
	v_mov_b32_dpp v55, v54 row_shr:2 row_mask:0xf bank_mask:0xf
	v_cndmask_b32_e64 v55, 0, v55, s0
	s_delay_alu instid0(VALU_DEP_1) | instskip(NEXT) | instid1(VALU_DEP_1)
	v_add_nc_u32_e32 v54, v54, v55
	v_mov_b32_dpp v55, v54 row_shr:4 row_mask:0xf bank_mask:0xf
	s_delay_alu instid0(VALU_DEP_1) | instskip(NEXT) | instid1(VALU_DEP_1)
	v_cndmask_b32_e64 v55, 0, v55, s1
	v_add_nc_u32_e32 v54, v54, v55
	s_delay_alu instid0(VALU_DEP_1) | instskip(NEXT) | instid1(VALU_DEP_1)
	v_mov_b32_dpp v55, v54 row_shr:8 row_mask:0xf bank_mask:0xf
	v_cndmask_b32_e64 v55, 0, v55, s3
	s_delay_alu instid0(VALU_DEP_1)
	v_add_nc_u32_e32 v54, v54, v55
	ds_store_b32 v53, v54
.LBB1216_91:
	s_or_b32 exec_lo, exec_lo, s5
	v_mov_b32_e32 v53, 0
	s_mov_b32 s0, exec_lo
	s_wait_dscnt 0x0
	s_barrier_signal -1
	s_barrier_wait -1
	v_cmpx_lt_u32_e32 31, v32
; %bb.92:
	v_lshl_add_u32 v52, v52, 2, -4
	ds_load_b32 v53, v52
; %bb.93:
	s_or_b32 exec_lo, exec_lo, s0
	v_sub_co_u32 v52, vcc_lo, v33, 1
	s_wait_dscnt 0x0
	v_add_nc_u32_e32 v51, v53, v51
	s_delay_alu instid0(VALU_DEP_2) | instskip(NEXT) | instid1(VALU_DEP_1)
	v_cmp_gt_i32_e64 s0, 0, v52
	v_cndmask_b32_e64 v33, v52, v33, s0
	v_cmp_lt_u32_e64 s0, 0xff, v32
	s_delay_alu instid0(VALU_DEP_2) | instskip(SKIP_4) | instid1(VALU_DEP_2)
	v_lshlrev_b32_e32 v33, 2, v33
	ds_bpermute_b32 v33, v33, v51
	s_wait_dscnt 0x0
	v_cndmask_b32_e32 v33, v33, v53, vcc_lo
	v_cmp_gt_u32_e32 vcc_lo, 0x100, v32
	v_cndmask_b32_e64 v33, v33, 0, s2
	s_delay_alu instid0(VALU_DEP_1) | instskip(NEXT) | instid1(VALU_DEP_1)
	v_add_nc_u32_e32 v24, v33, v24
	v_add_nc_u32_e32 v25, v24, v25
	s_delay_alu instid0(VALU_DEP_1) | instskip(NEXT) | instid1(VALU_DEP_1)
	v_add_nc_u32_e32 v22, v25, v22
	v_add_nc_u32_e32 v23, v22, v23
	;; [unrolled: 3-line block ×4, first 2 shown]
	ds_store_2addr_b32 v26, v33, v24 offset0:16 offset1:17
	ds_store_2addr_b32 v26, v25, v22 offset0:18 offset1:19
	;; [unrolled: 1-line block ×4, first 2 shown]
	ds_store_b32 v26, v1 offset:96
	s_wait_dscnt 0x0
	s_barrier_signal -1
	s_barrier_wait -1
	ds_load_b32 v51, v27 offset:64
	ds_load_b32 v21, v28 offset:64
	;; [unrolled: 1-line block ×8, first 2 shown]
	v_mov_b64_e32 v[0:1], 0
                                        ; implicit-def: $vgpr20
	s_and_saveexec_b32 s2, vcc_lo
	s_cbranch_execz .LBB1216_97
; %bb.94:
	v_mul_u32_u24_e32 v0, 0x44, v32
	v_dual_mov_b32 v1, 0x1000 :: v_dual_add_nc_u32 v20, 1, v32
	s_mov_b32 s3, exec_lo
	ds_load_b32 v0, v0 offset:64
	v_cmpx_ne_u32_e32 0x100, v20
; %bb.95:
	v_mul_u32_u24_e32 v1, 0x44, v20
	ds_load_b32 v1, v1 offset:64
; %bb.96:
	s_or_b32 exec_lo, exec_lo, s3
	s_wait_dscnt 0x0
	v_dual_mov_b32 v1, 0 :: v_dual_sub_nc_u32 v20, v1, v0
.LBB1216_97:
	s_or_b32 exec_lo, exec_lo, s2
	v_mov_b32_e32 v23, 0
	s_wait_dscnt 0x0
	s_barrier_signal -1
	s_barrier_wait -1
	s_and_saveexec_b32 s1, vcc_lo
	s_cbranch_execz .LBB1216_107
; %bb.98:
	v_lshl_add_u32 v22, s19, 8, v32
	v_dual_mov_b32 v26, 0 :: v_dual_bitop2_b32 v27, 2.0, v20 bitop3:0x54
	s_mov_b32 s2, 0
	s_mov_b32 s3, s19
	s_delay_alu instid0(VALU_DEP_2)
	v_lshl_add_u64 v[24:25], v[22:23], 2, s[20:21]
	global_store_b32 v22, v27, s[20:21] scale_offset scope:SCOPE_DEV
                                        ; implicit-def: $sgpr4
	s_branch .LBB1216_101
.LBB1216_99:                            ;   in Loop: Header=BB1216_101 Depth=1
	s_or_b32 exec_lo, exec_lo, s5
.LBB1216_100:                           ;   in Loop: Header=BB1216_101 Depth=1
	s_delay_alu instid0(SALU_CYCLE_1) | instskip(SKIP_2) | instid1(VALU_DEP_2)
	s_or_b32 exec_lo, exec_lo, s4
	v_and_b32_e32 v22, 0x3fffffff, v27
	v_cmp_gt_i32_e64 s4, -2.0, v27
	v_add_nc_u32_e32 v26, v22, v26
	s_and_b32 s5, exec_lo, s4
	s_delay_alu instid0(SALU_CYCLE_1) | instskip(NEXT) | instid1(SALU_CYCLE_1)
	s_or_b32 s2, s5, s2
	s_and_not1_b32 exec_lo, exec_lo, s2
	s_cbranch_execz .LBB1216_106
.LBB1216_101:                           ; =>This Loop Header: Depth=1
                                        ;     Child Loop BB1216_104 Depth 2
	s_or_b32 s4, s4, exec_lo
	s_cmp_eq_u32 s3, 0
	s_cbranch_scc1 .LBB1216_105
; %bb.102:                              ;   in Loop: Header=BB1216_101 Depth=1
	s_add_co_i32 s3, s3, -1
	s_mov_b32 s4, exec_lo
	s_wait_xcnt 0x0
	v_lshl_or_b32 v22, s3, 8, v32
	global_load_b32 v27, v22, s[20:21] scale_offset scope:SCOPE_DEV
	s_wait_loadcnt 0x0
	v_cmpx_gt_u32_e32 2.0, v27
	s_cbranch_execz .LBB1216_100
; %bb.103:                              ;   in Loop: Header=BB1216_101 Depth=1
	v_lshl_add_u64 v[28:29], v[22:23], 2, s[20:21]
	s_mov_b32 s5, 0
.LBB1216_104:                           ;   Parent Loop BB1216_101 Depth=1
                                        ; =>  This Inner Loop Header: Depth=2
	global_load_b32 v27, v[28:29], off scope:SCOPE_DEV
	s_wait_loadcnt 0x0
	v_cmp_lt_u32_e32 vcc_lo, 0x3fffffff, v27
	s_or_b32 s5, vcc_lo, s5
	s_wait_xcnt 0x0
	s_and_not1_b32 exec_lo, exec_lo, s5
	s_cbranch_execnz .LBB1216_104
	s_branch .LBB1216_99
.LBB1216_105:                           ;   in Loop: Header=BB1216_101 Depth=1
                                        ; implicit-def: $sgpr3
	s_and_b32 s5, exec_lo, s4
	s_delay_alu instid0(SALU_CYCLE_1)
	s_or_b32 s2, s5, s2
	s_wait_xcnt 0x0
	s_and_not1_b32 exec_lo, exec_lo, s2
	s_cbranch_execnz .LBB1216_101
.LBB1216_106:
	s_or_b32 exec_lo, exec_lo, s2
	v_dual_mov_b32 v27, 0 :: v_dual_add_nc_u32 v22, v26, v20
	s_delay_alu instid0(VALU_DEP_1) | instskip(SKIP_4) | instid1(VALU_DEP_1)
	v_or_b32_e32 v22, 0x80000000, v22
	global_store_b32 v[24:25], v22, off scope:SCOPE_DEV
	global_load_b64 v[22:23], v32, s[8:9] scale_offset
	v_sub_nc_u64_e32 v[24:25], v[26:27], v[0:1]
	s_wait_loadcnt 0x0
	v_add_nc_u64_e32 v[22:23], v[24:25], v[22:23]
	ds_store_b64 v2, v[22:23]
.LBB1216_107:
	s_wait_xcnt 0x0
	s_or_b32 exec_lo, exec_lo, s1
	v_dual_mov_b32 v3, 0 :: v_dual_add_nc_u32 v24, v51, v3
	v_add3_u32 v25, v49, v50, v48
	v_add3_u32 v26, v46, v47, v45
	;; [unrolled: 1-line block ×4, first 2 shown]
	v_add_nc_u64_e32 v[22:23], s[14:15], v[2:3]
	v_add3_u32 v29, v37, v38, v36
	v_add3_u32 v3, v35, v33, v34
	;; [unrolled: 1-line block ×3, first 2 shown]
	s_mov_b32 s2, -1
	s_mov_b32 s1, 0
.LBB1216_108:                           ; =>This Inner Loop Header: Depth=1
	s_wait_xcnt 0x3
	v_add_min_u32_e64 v30, v24, s1, 0x800
	v_add_min_u32_e64 v31, v21, s1, 0x800
	;; [unrolled: 1-line block ×5, first 2 shown]
	s_wait_xcnt 0x2
	v_add_min_u32_e64 v36, v27, s1, 0x800
	v_add_min_u32_e64 v37, v26, s1, 0x800
	s_wait_xcnt 0x1
	v_add_min_u32_e64 v38, v25, s1, 0x800
	v_dual_lshlrev_b32 v30, 3, v30 :: v_dual_lshlrev_b32 v31, 3, v31
	v_dual_lshlrev_b32 v33, 3, v33 :: v_dual_lshlrev_b32 v34, 3, v34
	;; [unrolled: 1-line block ×3, first 2 shown]
	s_delay_alu instid0(VALU_DEP_4)
	v_dual_lshlrev_b32 v37, 3, v37 :: v_dual_lshlrev_b32 v38, 3, v38
	ds_store_b64 v30, v[4:5] offset:2048
	ds_store_b64 v31, v[6:7] offset:2048
	;; [unrolled: 1-line block ×8, first 2 shown]
	s_wait_storecnt_dscnt 0x0
	s_barrier_signal -1
	s_barrier_wait -1
	ds_load_2addr_stride64_b64 v[34:37], v2 offset0:4 offset1:12
	s_wait_xcnt 0x0
	ds_load_2addr_stride64_b64 v[38:41], v2 offset0:20 offset1:28
	s_addk_co_i32 s1, 0xf800
	s_and_b32 vcc_lo, exec_lo, s2
	s_mov_b32 s2, 0
	s_wait_dscnt 0x1
	v_lshrrev_b64 v[30:31], s16, v[34:35]
	s_wait_dscnt 0x0
	v_lshrrev_b64 v[44:45], s16, v[38:39]
	v_lshrrev_b64 v[42:43], s16, v[36:37]
	v_lshrrev_b64 v[46:47], s16, v[40:41]
	v_xor_b32_e32 v35, 0x80000000, v35
	v_xor_b32_e32 v37, 0x80000000, v37
	;; [unrolled: 1-line block ×4, first 2 shown]
	v_and_b32_e32 v33, s6, v44
	v_and_b32_e32 v31, s6, v42
	s_delay_alu instid0(VALU_DEP_2) | instskip(NEXT) | instid1(VALU_DEP_2)
	v_dual_lshlrev_b32 v33, 3, v33 :: v_dual_bitop2_b32 v42, s6, v46 bitop3:0x40
	v_dual_lshlrev_b32 v43, 3, v31 :: v_dual_bitop2_b32 v30, s6, v30 bitop3:0x40
	s_delay_alu instid0(VALU_DEP_2) | instskip(NEXT) | instid1(VALU_DEP_2)
	v_lshlrev_b32_e32 v46, 3, v42
	v_lshlrev_b32_e32 v30, 3, v30
	ds_load_b64 v[30:31], v30
	ds_load_b64 v[42:43], v43
	;; [unrolled: 1-line block ×4, first 2 shown]
	s_wait_dscnt 0x3
	v_lshl_add_u64 v[30:31], v[30:31], 3, v[22:23]
	s_wait_dscnt 0x2
	v_lshl_add_u64 v[42:43], v[42:43], 3, v[22:23]
	;; [unrolled: 2-line block ×4, first 2 shown]
	v_add_nc_u64_e32 v[22:23], 0x4000, v[22:23]
	s_clause 0x3
	global_store_b64 v[30:31], v[34:35], off
	global_store_b64 v[42:43], v[36:37], off offset:4096
	global_store_b64 v[44:45], v[38:39], off offset:8192
	;; [unrolled: 1-line block ×3, first 2 shown]
	s_wait_storecnt 0x0
	s_barrier_signal -1
	s_barrier_wait -1
	s_cbranch_vccnz .LBB1216_108
; %bb.109:
	s_add_co_i32 s12, s12, -1
	s_delay_alu instid0(SALU_CYCLE_1) | instskip(SKIP_2) | instid1(SALU_CYCLE_1)
	s_cmp_eq_u32 s19, s12
	s_cselect_b32 s1, -1, 0
	s_xor_b32 s0, s0, -1
	s_and_b32 s0, s0, s1
	s_wait_xcnt 0x0
	s_and_saveexec_b32 s1, s0
	s_cbranch_execz .LBB1216_111
; %bb.110:
	ds_load_b64 v[2:3], v2
	v_mov_b32_e32 v21, 0
	s_delay_alu instid0(VALU_DEP_1) | instskip(SKIP_1) | instid1(VALU_DEP_1)
	v_add_nc_u64_e32 v[0:1], v[0:1], v[20:21]
	s_wait_dscnt 0x0
	v_add_nc_u64_e32 v[0:1], v[0:1], v[2:3]
	global_store_b64 v32, v[0:1], s[10:11] scale_offset
.LBB1216_111:
	s_endpgm
	.section	.rodata,"a",@progbits
	.p2align	6, 0x0
	.amdhsa_kernel _ZN7rocprim17ROCPRIM_400000_NS6detail17trampoline_kernelINS0_14default_configENS1_35radix_sort_onesweep_config_selectorIlNS0_10empty_typeEEEZZNS1_29radix_sort_onesweep_iterationIS3_Lb0EPKlPlPS5_SB_mNS0_19identity_decomposerENS1_16block_id_wrapperIjLb1EEEEE10hipError_tT1_PNSt15iterator_traitsISG_E10value_typeET2_T3_PNSH_ISM_E10value_typeET4_T5_PSR_SS_PNS1_23onesweep_lookback_stateEbbT6_jjT7_P12ihipStream_tbENKUlT_T0_SG_SL_E_clISA_SA_SB_SB_EEDaSZ_S10_SG_SL_EUlSZ_E_NS1_11comp_targetILNS1_3genE0ELNS1_11target_archE4294967295ELNS1_3gpuE0ELNS1_3repE0EEENS1_47radix_sort_onesweep_sort_config_static_selectorELNS0_4arch9wavefront6targetE0EEEvSG_
		.amdhsa_group_segment_fixed_size 18504
		.amdhsa_private_segment_fixed_size 0
		.amdhsa_kernarg_size 344
		.amdhsa_user_sgpr_count 2
		.amdhsa_user_sgpr_dispatch_ptr 0
		.amdhsa_user_sgpr_queue_ptr 0
		.amdhsa_user_sgpr_kernarg_segment_ptr 1
		.amdhsa_user_sgpr_dispatch_id 0
		.amdhsa_user_sgpr_kernarg_preload_length 0
		.amdhsa_user_sgpr_kernarg_preload_offset 0
		.amdhsa_user_sgpr_private_segment_size 0
		.amdhsa_wavefront_size32 1
		.amdhsa_uses_dynamic_stack 0
		.amdhsa_enable_private_segment 0
		.amdhsa_system_sgpr_workgroup_id_x 1
		.amdhsa_system_sgpr_workgroup_id_y 0
		.amdhsa_system_sgpr_workgroup_id_z 0
		.amdhsa_system_sgpr_workgroup_info 0
		.amdhsa_system_vgpr_workitem_id 2
		.amdhsa_next_free_vgpr 57
		.amdhsa_next_free_sgpr 28
		.amdhsa_named_barrier_count 0
		.amdhsa_reserve_vcc 1
		.amdhsa_float_round_mode_32 0
		.amdhsa_float_round_mode_16_64 0
		.amdhsa_float_denorm_mode_32 3
		.amdhsa_float_denorm_mode_16_64 3
		.amdhsa_fp16_overflow 0
		.amdhsa_memory_ordered 1
		.amdhsa_forward_progress 1
		.amdhsa_inst_pref_size 89
		.amdhsa_round_robin_scheduling 0
		.amdhsa_exception_fp_ieee_invalid_op 0
		.amdhsa_exception_fp_denorm_src 0
		.amdhsa_exception_fp_ieee_div_zero 0
		.amdhsa_exception_fp_ieee_overflow 0
		.amdhsa_exception_fp_ieee_underflow 0
		.amdhsa_exception_fp_ieee_inexact 0
		.amdhsa_exception_int_div_zero 0
	.end_amdhsa_kernel
	.section	.text._ZN7rocprim17ROCPRIM_400000_NS6detail17trampoline_kernelINS0_14default_configENS1_35radix_sort_onesweep_config_selectorIlNS0_10empty_typeEEEZZNS1_29radix_sort_onesweep_iterationIS3_Lb0EPKlPlPS5_SB_mNS0_19identity_decomposerENS1_16block_id_wrapperIjLb1EEEEE10hipError_tT1_PNSt15iterator_traitsISG_E10value_typeET2_T3_PNSH_ISM_E10value_typeET4_T5_PSR_SS_PNS1_23onesweep_lookback_stateEbbT6_jjT7_P12ihipStream_tbENKUlT_T0_SG_SL_E_clISA_SA_SB_SB_EEDaSZ_S10_SG_SL_EUlSZ_E_NS1_11comp_targetILNS1_3genE0ELNS1_11target_archE4294967295ELNS1_3gpuE0ELNS1_3repE0EEENS1_47radix_sort_onesweep_sort_config_static_selectorELNS0_4arch9wavefront6targetE0EEEvSG_,"axG",@progbits,_ZN7rocprim17ROCPRIM_400000_NS6detail17trampoline_kernelINS0_14default_configENS1_35radix_sort_onesweep_config_selectorIlNS0_10empty_typeEEEZZNS1_29radix_sort_onesweep_iterationIS3_Lb0EPKlPlPS5_SB_mNS0_19identity_decomposerENS1_16block_id_wrapperIjLb1EEEEE10hipError_tT1_PNSt15iterator_traitsISG_E10value_typeET2_T3_PNSH_ISM_E10value_typeET4_T5_PSR_SS_PNS1_23onesweep_lookback_stateEbbT6_jjT7_P12ihipStream_tbENKUlT_T0_SG_SL_E_clISA_SA_SB_SB_EEDaSZ_S10_SG_SL_EUlSZ_E_NS1_11comp_targetILNS1_3genE0ELNS1_11target_archE4294967295ELNS1_3gpuE0ELNS1_3repE0EEENS1_47radix_sort_onesweep_sort_config_static_selectorELNS0_4arch9wavefront6targetE0EEEvSG_,comdat
.Lfunc_end1216:
	.size	_ZN7rocprim17ROCPRIM_400000_NS6detail17trampoline_kernelINS0_14default_configENS1_35radix_sort_onesweep_config_selectorIlNS0_10empty_typeEEEZZNS1_29radix_sort_onesweep_iterationIS3_Lb0EPKlPlPS5_SB_mNS0_19identity_decomposerENS1_16block_id_wrapperIjLb1EEEEE10hipError_tT1_PNSt15iterator_traitsISG_E10value_typeET2_T3_PNSH_ISM_E10value_typeET4_T5_PSR_SS_PNS1_23onesweep_lookback_stateEbbT6_jjT7_P12ihipStream_tbENKUlT_T0_SG_SL_E_clISA_SA_SB_SB_EEDaSZ_S10_SG_SL_EUlSZ_E_NS1_11comp_targetILNS1_3genE0ELNS1_11target_archE4294967295ELNS1_3gpuE0ELNS1_3repE0EEENS1_47radix_sort_onesweep_sort_config_static_selectorELNS0_4arch9wavefront6targetE0EEEvSG_, .Lfunc_end1216-_ZN7rocprim17ROCPRIM_400000_NS6detail17trampoline_kernelINS0_14default_configENS1_35radix_sort_onesweep_config_selectorIlNS0_10empty_typeEEEZZNS1_29radix_sort_onesweep_iterationIS3_Lb0EPKlPlPS5_SB_mNS0_19identity_decomposerENS1_16block_id_wrapperIjLb1EEEEE10hipError_tT1_PNSt15iterator_traitsISG_E10value_typeET2_T3_PNSH_ISM_E10value_typeET4_T5_PSR_SS_PNS1_23onesweep_lookback_stateEbbT6_jjT7_P12ihipStream_tbENKUlT_T0_SG_SL_E_clISA_SA_SB_SB_EEDaSZ_S10_SG_SL_EUlSZ_E_NS1_11comp_targetILNS1_3genE0ELNS1_11target_archE4294967295ELNS1_3gpuE0ELNS1_3repE0EEENS1_47radix_sort_onesweep_sort_config_static_selectorELNS0_4arch9wavefront6targetE0EEEvSG_
                                        ; -- End function
	.set _ZN7rocprim17ROCPRIM_400000_NS6detail17trampoline_kernelINS0_14default_configENS1_35radix_sort_onesweep_config_selectorIlNS0_10empty_typeEEEZZNS1_29radix_sort_onesweep_iterationIS3_Lb0EPKlPlPS5_SB_mNS0_19identity_decomposerENS1_16block_id_wrapperIjLb1EEEEE10hipError_tT1_PNSt15iterator_traitsISG_E10value_typeET2_T3_PNSH_ISM_E10value_typeET4_T5_PSR_SS_PNS1_23onesweep_lookback_stateEbbT6_jjT7_P12ihipStream_tbENKUlT_T0_SG_SL_E_clISA_SA_SB_SB_EEDaSZ_S10_SG_SL_EUlSZ_E_NS1_11comp_targetILNS1_3genE0ELNS1_11target_archE4294967295ELNS1_3gpuE0ELNS1_3repE0EEENS1_47radix_sort_onesweep_sort_config_static_selectorELNS0_4arch9wavefront6targetE0EEEvSG_.num_vgpr, 57
	.set _ZN7rocprim17ROCPRIM_400000_NS6detail17trampoline_kernelINS0_14default_configENS1_35radix_sort_onesweep_config_selectorIlNS0_10empty_typeEEEZZNS1_29radix_sort_onesweep_iterationIS3_Lb0EPKlPlPS5_SB_mNS0_19identity_decomposerENS1_16block_id_wrapperIjLb1EEEEE10hipError_tT1_PNSt15iterator_traitsISG_E10value_typeET2_T3_PNSH_ISM_E10value_typeET4_T5_PSR_SS_PNS1_23onesweep_lookback_stateEbbT6_jjT7_P12ihipStream_tbENKUlT_T0_SG_SL_E_clISA_SA_SB_SB_EEDaSZ_S10_SG_SL_EUlSZ_E_NS1_11comp_targetILNS1_3genE0ELNS1_11target_archE4294967295ELNS1_3gpuE0ELNS1_3repE0EEENS1_47radix_sort_onesweep_sort_config_static_selectorELNS0_4arch9wavefront6targetE0EEEvSG_.num_agpr, 0
	.set _ZN7rocprim17ROCPRIM_400000_NS6detail17trampoline_kernelINS0_14default_configENS1_35radix_sort_onesweep_config_selectorIlNS0_10empty_typeEEEZZNS1_29radix_sort_onesweep_iterationIS3_Lb0EPKlPlPS5_SB_mNS0_19identity_decomposerENS1_16block_id_wrapperIjLb1EEEEE10hipError_tT1_PNSt15iterator_traitsISG_E10value_typeET2_T3_PNSH_ISM_E10value_typeET4_T5_PSR_SS_PNS1_23onesweep_lookback_stateEbbT6_jjT7_P12ihipStream_tbENKUlT_T0_SG_SL_E_clISA_SA_SB_SB_EEDaSZ_S10_SG_SL_EUlSZ_E_NS1_11comp_targetILNS1_3genE0ELNS1_11target_archE4294967295ELNS1_3gpuE0ELNS1_3repE0EEENS1_47radix_sort_onesweep_sort_config_static_selectorELNS0_4arch9wavefront6targetE0EEEvSG_.numbered_sgpr, 28
	.set _ZN7rocprim17ROCPRIM_400000_NS6detail17trampoline_kernelINS0_14default_configENS1_35radix_sort_onesweep_config_selectorIlNS0_10empty_typeEEEZZNS1_29radix_sort_onesweep_iterationIS3_Lb0EPKlPlPS5_SB_mNS0_19identity_decomposerENS1_16block_id_wrapperIjLb1EEEEE10hipError_tT1_PNSt15iterator_traitsISG_E10value_typeET2_T3_PNSH_ISM_E10value_typeET4_T5_PSR_SS_PNS1_23onesweep_lookback_stateEbbT6_jjT7_P12ihipStream_tbENKUlT_T0_SG_SL_E_clISA_SA_SB_SB_EEDaSZ_S10_SG_SL_EUlSZ_E_NS1_11comp_targetILNS1_3genE0ELNS1_11target_archE4294967295ELNS1_3gpuE0ELNS1_3repE0EEENS1_47radix_sort_onesweep_sort_config_static_selectorELNS0_4arch9wavefront6targetE0EEEvSG_.num_named_barrier, 0
	.set _ZN7rocprim17ROCPRIM_400000_NS6detail17trampoline_kernelINS0_14default_configENS1_35radix_sort_onesweep_config_selectorIlNS0_10empty_typeEEEZZNS1_29radix_sort_onesweep_iterationIS3_Lb0EPKlPlPS5_SB_mNS0_19identity_decomposerENS1_16block_id_wrapperIjLb1EEEEE10hipError_tT1_PNSt15iterator_traitsISG_E10value_typeET2_T3_PNSH_ISM_E10value_typeET4_T5_PSR_SS_PNS1_23onesweep_lookback_stateEbbT6_jjT7_P12ihipStream_tbENKUlT_T0_SG_SL_E_clISA_SA_SB_SB_EEDaSZ_S10_SG_SL_EUlSZ_E_NS1_11comp_targetILNS1_3genE0ELNS1_11target_archE4294967295ELNS1_3gpuE0ELNS1_3repE0EEENS1_47radix_sort_onesweep_sort_config_static_selectorELNS0_4arch9wavefront6targetE0EEEvSG_.private_seg_size, 0
	.set _ZN7rocprim17ROCPRIM_400000_NS6detail17trampoline_kernelINS0_14default_configENS1_35radix_sort_onesweep_config_selectorIlNS0_10empty_typeEEEZZNS1_29radix_sort_onesweep_iterationIS3_Lb0EPKlPlPS5_SB_mNS0_19identity_decomposerENS1_16block_id_wrapperIjLb1EEEEE10hipError_tT1_PNSt15iterator_traitsISG_E10value_typeET2_T3_PNSH_ISM_E10value_typeET4_T5_PSR_SS_PNS1_23onesweep_lookback_stateEbbT6_jjT7_P12ihipStream_tbENKUlT_T0_SG_SL_E_clISA_SA_SB_SB_EEDaSZ_S10_SG_SL_EUlSZ_E_NS1_11comp_targetILNS1_3genE0ELNS1_11target_archE4294967295ELNS1_3gpuE0ELNS1_3repE0EEENS1_47radix_sort_onesweep_sort_config_static_selectorELNS0_4arch9wavefront6targetE0EEEvSG_.uses_vcc, 1
	.set _ZN7rocprim17ROCPRIM_400000_NS6detail17trampoline_kernelINS0_14default_configENS1_35radix_sort_onesweep_config_selectorIlNS0_10empty_typeEEEZZNS1_29radix_sort_onesweep_iterationIS3_Lb0EPKlPlPS5_SB_mNS0_19identity_decomposerENS1_16block_id_wrapperIjLb1EEEEE10hipError_tT1_PNSt15iterator_traitsISG_E10value_typeET2_T3_PNSH_ISM_E10value_typeET4_T5_PSR_SS_PNS1_23onesweep_lookback_stateEbbT6_jjT7_P12ihipStream_tbENKUlT_T0_SG_SL_E_clISA_SA_SB_SB_EEDaSZ_S10_SG_SL_EUlSZ_E_NS1_11comp_targetILNS1_3genE0ELNS1_11target_archE4294967295ELNS1_3gpuE0ELNS1_3repE0EEENS1_47radix_sort_onesweep_sort_config_static_selectorELNS0_4arch9wavefront6targetE0EEEvSG_.uses_flat_scratch, 0
	.set _ZN7rocprim17ROCPRIM_400000_NS6detail17trampoline_kernelINS0_14default_configENS1_35radix_sort_onesweep_config_selectorIlNS0_10empty_typeEEEZZNS1_29radix_sort_onesweep_iterationIS3_Lb0EPKlPlPS5_SB_mNS0_19identity_decomposerENS1_16block_id_wrapperIjLb1EEEEE10hipError_tT1_PNSt15iterator_traitsISG_E10value_typeET2_T3_PNSH_ISM_E10value_typeET4_T5_PSR_SS_PNS1_23onesweep_lookback_stateEbbT6_jjT7_P12ihipStream_tbENKUlT_T0_SG_SL_E_clISA_SA_SB_SB_EEDaSZ_S10_SG_SL_EUlSZ_E_NS1_11comp_targetILNS1_3genE0ELNS1_11target_archE4294967295ELNS1_3gpuE0ELNS1_3repE0EEENS1_47radix_sort_onesweep_sort_config_static_selectorELNS0_4arch9wavefront6targetE0EEEvSG_.has_dyn_sized_stack, 0
	.set _ZN7rocprim17ROCPRIM_400000_NS6detail17trampoline_kernelINS0_14default_configENS1_35radix_sort_onesweep_config_selectorIlNS0_10empty_typeEEEZZNS1_29radix_sort_onesweep_iterationIS3_Lb0EPKlPlPS5_SB_mNS0_19identity_decomposerENS1_16block_id_wrapperIjLb1EEEEE10hipError_tT1_PNSt15iterator_traitsISG_E10value_typeET2_T3_PNSH_ISM_E10value_typeET4_T5_PSR_SS_PNS1_23onesweep_lookback_stateEbbT6_jjT7_P12ihipStream_tbENKUlT_T0_SG_SL_E_clISA_SA_SB_SB_EEDaSZ_S10_SG_SL_EUlSZ_E_NS1_11comp_targetILNS1_3genE0ELNS1_11target_archE4294967295ELNS1_3gpuE0ELNS1_3repE0EEENS1_47radix_sort_onesweep_sort_config_static_selectorELNS0_4arch9wavefront6targetE0EEEvSG_.has_recursion, 0
	.set _ZN7rocprim17ROCPRIM_400000_NS6detail17trampoline_kernelINS0_14default_configENS1_35radix_sort_onesweep_config_selectorIlNS0_10empty_typeEEEZZNS1_29radix_sort_onesweep_iterationIS3_Lb0EPKlPlPS5_SB_mNS0_19identity_decomposerENS1_16block_id_wrapperIjLb1EEEEE10hipError_tT1_PNSt15iterator_traitsISG_E10value_typeET2_T3_PNSH_ISM_E10value_typeET4_T5_PSR_SS_PNS1_23onesweep_lookback_stateEbbT6_jjT7_P12ihipStream_tbENKUlT_T0_SG_SL_E_clISA_SA_SB_SB_EEDaSZ_S10_SG_SL_EUlSZ_E_NS1_11comp_targetILNS1_3genE0ELNS1_11target_archE4294967295ELNS1_3gpuE0ELNS1_3repE0EEENS1_47radix_sort_onesweep_sort_config_static_selectorELNS0_4arch9wavefront6targetE0EEEvSG_.has_indirect_call, 0
	.section	.AMDGPU.csdata,"",@progbits
; Kernel info:
; codeLenInByte = 11324
; TotalNumSgprs: 30
; NumVgprs: 57
; ScratchSize: 0
; MemoryBound: 1
; FloatMode: 240
; IeeeMode: 1
; LDSByteSize: 18504 bytes/workgroup (compile time only)
; SGPRBlocks: 0
; VGPRBlocks: 3
; NumSGPRsForWavesPerEU: 30
; NumVGPRsForWavesPerEU: 57
; NamedBarCnt: 0
; Occupancy: 16
; WaveLimiterHint : 1
; COMPUTE_PGM_RSRC2:SCRATCH_EN: 0
; COMPUTE_PGM_RSRC2:USER_SGPR: 2
; COMPUTE_PGM_RSRC2:TRAP_HANDLER: 0
; COMPUTE_PGM_RSRC2:TGID_X_EN: 1
; COMPUTE_PGM_RSRC2:TGID_Y_EN: 0
; COMPUTE_PGM_RSRC2:TGID_Z_EN: 0
; COMPUTE_PGM_RSRC2:TIDIG_COMP_CNT: 2
	.section	.text._ZN7rocprim17ROCPRIM_400000_NS6detail17trampoline_kernelINS0_14default_configENS1_35radix_sort_onesweep_config_selectorIlNS0_10empty_typeEEEZZNS1_29radix_sort_onesweep_iterationIS3_Lb0EPKlPlPS5_SB_mNS0_19identity_decomposerENS1_16block_id_wrapperIjLb1EEEEE10hipError_tT1_PNSt15iterator_traitsISG_E10value_typeET2_T3_PNSH_ISM_E10value_typeET4_T5_PSR_SS_PNS1_23onesweep_lookback_stateEbbT6_jjT7_P12ihipStream_tbENKUlT_T0_SG_SL_E_clISA_SA_SB_SB_EEDaSZ_S10_SG_SL_EUlSZ_E_NS1_11comp_targetILNS1_3genE6ELNS1_11target_archE950ELNS1_3gpuE13ELNS1_3repE0EEENS1_47radix_sort_onesweep_sort_config_static_selectorELNS0_4arch9wavefront6targetE0EEEvSG_,"axG",@progbits,_ZN7rocprim17ROCPRIM_400000_NS6detail17trampoline_kernelINS0_14default_configENS1_35radix_sort_onesweep_config_selectorIlNS0_10empty_typeEEEZZNS1_29radix_sort_onesweep_iterationIS3_Lb0EPKlPlPS5_SB_mNS0_19identity_decomposerENS1_16block_id_wrapperIjLb1EEEEE10hipError_tT1_PNSt15iterator_traitsISG_E10value_typeET2_T3_PNSH_ISM_E10value_typeET4_T5_PSR_SS_PNS1_23onesweep_lookback_stateEbbT6_jjT7_P12ihipStream_tbENKUlT_T0_SG_SL_E_clISA_SA_SB_SB_EEDaSZ_S10_SG_SL_EUlSZ_E_NS1_11comp_targetILNS1_3genE6ELNS1_11target_archE950ELNS1_3gpuE13ELNS1_3repE0EEENS1_47radix_sort_onesweep_sort_config_static_selectorELNS0_4arch9wavefront6targetE0EEEvSG_,comdat
	.protected	_ZN7rocprim17ROCPRIM_400000_NS6detail17trampoline_kernelINS0_14default_configENS1_35radix_sort_onesweep_config_selectorIlNS0_10empty_typeEEEZZNS1_29radix_sort_onesweep_iterationIS3_Lb0EPKlPlPS5_SB_mNS0_19identity_decomposerENS1_16block_id_wrapperIjLb1EEEEE10hipError_tT1_PNSt15iterator_traitsISG_E10value_typeET2_T3_PNSH_ISM_E10value_typeET4_T5_PSR_SS_PNS1_23onesweep_lookback_stateEbbT6_jjT7_P12ihipStream_tbENKUlT_T0_SG_SL_E_clISA_SA_SB_SB_EEDaSZ_S10_SG_SL_EUlSZ_E_NS1_11comp_targetILNS1_3genE6ELNS1_11target_archE950ELNS1_3gpuE13ELNS1_3repE0EEENS1_47radix_sort_onesweep_sort_config_static_selectorELNS0_4arch9wavefront6targetE0EEEvSG_ ; -- Begin function _ZN7rocprim17ROCPRIM_400000_NS6detail17trampoline_kernelINS0_14default_configENS1_35radix_sort_onesweep_config_selectorIlNS0_10empty_typeEEEZZNS1_29radix_sort_onesweep_iterationIS3_Lb0EPKlPlPS5_SB_mNS0_19identity_decomposerENS1_16block_id_wrapperIjLb1EEEEE10hipError_tT1_PNSt15iterator_traitsISG_E10value_typeET2_T3_PNSH_ISM_E10value_typeET4_T5_PSR_SS_PNS1_23onesweep_lookback_stateEbbT6_jjT7_P12ihipStream_tbENKUlT_T0_SG_SL_E_clISA_SA_SB_SB_EEDaSZ_S10_SG_SL_EUlSZ_E_NS1_11comp_targetILNS1_3genE6ELNS1_11target_archE950ELNS1_3gpuE13ELNS1_3repE0EEENS1_47radix_sort_onesweep_sort_config_static_selectorELNS0_4arch9wavefront6targetE0EEEvSG_
	.globl	_ZN7rocprim17ROCPRIM_400000_NS6detail17trampoline_kernelINS0_14default_configENS1_35radix_sort_onesweep_config_selectorIlNS0_10empty_typeEEEZZNS1_29radix_sort_onesweep_iterationIS3_Lb0EPKlPlPS5_SB_mNS0_19identity_decomposerENS1_16block_id_wrapperIjLb1EEEEE10hipError_tT1_PNSt15iterator_traitsISG_E10value_typeET2_T3_PNSH_ISM_E10value_typeET4_T5_PSR_SS_PNS1_23onesweep_lookback_stateEbbT6_jjT7_P12ihipStream_tbENKUlT_T0_SG_SL_E_clISA_SA_SB_SB_EEDaSZ_S10_SG_SL_EUlSZ_E_NS1_11comp_targetILNS1_3genE6ELNS1_11target_archE950ELNS1_3gpuE13ELNS1_3repE0EEENS1_47radix_sort_onesweep_sort_config_static_selectorELNS0_4arch9wavefront6targetE0EEEvSG_
	.p2align	8
	.type	_ZN7rocprim17ROCPRIM_400000_NS6detail17trampoline_kernelINS0_14default_configENS1_35radix_sort_onesweep_config_selectorIlNS0_10empty_typeEEEZZNS1_29radix_sort_onesweep_iterationIS3_Lb0EPKlPlPS5_SB_mNS0_19identity_decomposerENS1_16block_id_wrapperIjLb1EEEEE10hipError_tT1_PNSt15iterator_traitsISG_E10value_typeET2_T3_PNSH_ISM_E10value_typeET4_T5_PSR_SS_PNS1_23onesweep_lookback_stateEbbT6_jjT7_P12ihipStream_tbENKUlT_T0_SG_SL_E_clISA_SA_SB_SB_EEDaSZ_S10_SG_SL_EUlSZ_E_NS1_11comp_targetILNS1_3genE6ELNS1_11target_archE950ELNS1_3gpuE13ELNS1_3repE0EEENS1_47radix_sort_onesweep_sort_config_static_selectorELNS0_4arch9wavefront6targetE0EEEvSG_,@function
_ZN7rocprim17ROCPRIM_400000_NS6detail17trampoline_kernelINS0_14default_configENS1_35radix_sort_onesweep_config_selectorIlNS0_10empty_typeEEEZZNS1_29radix_sort_onesweep_iterationIS3_Lb0EPKlPlPS5_SB_mNS0_19identity_decomposerENS1_16block_id_wrapperIjLb1EEEEE10hipError_tT1_PNSt15iterator_traitsISG_E10value_typeET2_T3_PNSH_ISM_E10value_typeET4_T5_PSR_SS_PNS1_23onesweep_lookback_stateEbbT6_jjT7_P12ihipStream_tbENKUlT_T0_SG_SL_E_clISA_SA_SB_SB_EEDaSZ_S10_SG_SL_EUlSZ_E_NS1_11comp_targetILNS1_3genE6ELNS1_11target_archE950ELNS1_3gpuE13ELNS1_3repE0EEENS1_47radix_sort_onesweep_sort_config_static_selectorELNS0_4arch9wavefront6targetE0EEEvSG_: ; @_ZN7rocprim17ROCPRIM_400000_NS6detail17trampoline_kernelINS0_14default_configENS1_35radix_sort_onesweep_config_selectorIlNS0_10empty_typeEEEZZNS1_29radix_sort_onesweep_iterationIS3_Lb0EPKlPlPS5_SB_mNS0_19identity_decomposerENS1_16block_id_wrapperIjLb1EEEEE10hipError_tT1_PNSt15iterator_traitsISG_E10value_typeET2_T3_PNSH_ISM_E10value_typeET4_T5_PSR_SS_PNS1_23onesweep_lookback_stateEbbT6_jjT7_P12ihipStream_tbENKUlT_T0_SG_SL_E_clISA_SA_SB_SB_EEDaSZ_S10_SG_SL_EUlSZ_E_NS1_11comp_targetILNS1_3genE6ELNS1_11target_archE950ELNS1_3gpuE13ELNS1_3repE0EEENS1_47radix_sort_onesweep_sort_config_static_selectorELNS0_4arch9wavefront6targetE0EEEvSG_
; %bb.0:
	.section	.rodata,"a",@progbits
	.p2align	6, 0x0
	.amdhsa_kernel _ZN7rocprim17ROCPRIM_400000_NS6detail17trampoline_kernelINS0_14default_configENS1_35radix_sort_onesweep_config_selectorIlNS0_10empty_typeEEEZZNS1_29radix_sort_onesweep_iterationIS3_Lb0EPKlPlPS5_SB_mNS0_19identity_decomposerENS1_16block_id_wrapperIjLb1EEEEE10hipError_tT1_PNSt15iterator_traitsISG_E10value_typeET2_T3_PNSH_ISM_E10value_typeET4_T5_PSR_SS_PNS1_23onesweep_lookback_stateEbbT6_jjT7_P12ihipStream_tbENKUlT_T0_SG_SL_E_clISA_SA_SB_SB_EEDaSZ_S10_SG_SL_EUlSZ_E_NS1_11comp_targetILNS1_3genE6ELNS1_11target_archE950ELNS1_3gpuE13ELNS1_3repE0EEENS1_47radix_sort_onesweep_sort_config_static_selectorELNS0_4arch9wavefront6targetE0EEEvSG_
		.amdhsa_group_segment_fixed_size 0
		.amdhsa_private_segment_fixed_size 0
		.amdhsa_kernarg_size 88
		.amdhsa_user_sgpr_count 2
		.amdhsa_user_sgpr_dispatch_ptr 0
		.amdhsa_user_sgpr_queue_ptr 0
		.amdhsa_user_sgpr_kernarg_segment_ptr 1
		.amdhsa_user_sgpr_dispatch_id 0
		.amdhsa_user_sgpr_kernarg_preload_length 0
		.amdhsa_user_sgpr_kernarg_preload_offset 0
		.amdhsa_user_sgpr_private_segment_size 0
		.amdhsa_wavefront_size32 1
		.amdhsa_uses_dynamic_stack 0
		.amdhsa_enable_private_segment 0
		.amdhsa_system_sgpr_workgroup_id_x 1
		.amdhsa_system_sgpr_workgroup_id_y 0
		.amdhsa_system_sgpr_workgroup_id_z 0
		.amdhsa_system_sgpr_workgroup_info 0
		.amdhsa_system_vgpr_workitem_id 0
		.amdhsa_next_free_vgpr 1
		.amdhsa_next_free_sgpr 1
		.amdhsa_named_barrier_count 0
		.amdhsa_reserve_vcc 0
		.amdhsa_float_round_mode_32 0
		.amdhsa_float_round_mode_16_64 0
		.amdhsa_float_denorm_mode_32 3
		.amdhsa_float_denorm_mode_16_64 3
		.amdhsa_fp16_overflow 0
		.amdhsa_memory_ordered 1
		.amdhsa_forward_progress 1
		.amdhsa_inst_pref_size 0
		.amdhsa_round_robin_scheduling 0
		.amdhsa_exception_fp_ieee_invalid_op 0
		.amdhsa_exception_fp_denorm_src 0
		.amdhsa_exception_fp_ieee_div_zero 0
		.amdhsa_exception_fp_ieee_overflow 0
		.amdhsa_exception_fp_ieee_underflow 0
		.amdhsa_exception_fp_ieee_inexact 0
		.amdhsa_exception_int_div_zero 0
	.end_amdhsa_kernel
	.section	.text._ZN7rocprim17ROCPRIM_400000_NS6detail17trampoline_kernelINS0_14default_configENS1_35radix_sort_onesweep_config_selectorIlNS0_10empty_typeEEEZZNS1_29radix_sort_onesweep_iterationIS3_Lb0EPKlPlPS5_SB_mNS0_19identity_decomposerENS1_16block_id_wrapperIjLb1EEEEE10hipError_tT1_PNSt15iterator_traitsISG_E10value_typeET2_T3_PNSH_ISM_E10value_typeET4_T5_PSR_SS_PNS1_23onesweep_lookback_stateEbbT6_jjT7_P12ihipStream_tbENKUlT_T0_SG_SL_E_clISA_SA_SB_SB_EEDaSZ_S10_SG_SL_EUlSZ_E_NS1_11comp_targetILNS1_3genE6ELNS1_11target_archE950ELNS1_3gpuE13ELNS1_3repE0EEENS1_47radix_sort_onesweep_sort_config_static_selectorELNS0_4arch9wavefront6targetE0EEEvSG_,"axG",@progbits,_ZN7rocprim17ROCPRIM_400000_NS6detail17trampoline_kernelINS0_14default_configENS1_35radix_sort_onesweep_config_selectorIlNS0_10empty_typeEEEZZNS1_29radix_sort_onesweep_iterationIS3_Lb0EPKlPlPS5_SB_mNS0_19identity_decomposerENS1_16block_id_wrapperIjLb1EEEEE10hipError_tT1_PNSt15iterator_traitsISG_E10value_typeET2_T3_PNSH_ISM_E10value_typeET4_T5_PSR_SS_PNS1_23onesweep_lookback_stateEbbT6_jjT7_P12ihipStream_tbENKUlT_T0_SG_SL_E_clISA_SA_SB_SB_EEDaSZ_S10_SG_SL_EUlSZ_E_NS1_11comp_targetILNS1_3genE6ELNS1_11target_archE950ELNS1_3gpuE13ELNS1_3repE0EEENS1_47radix_sort_onesweep_sort_config_static_selectorELNS0_4arch9wavefront6targetE0EEEvSG_,comdat
.Lfunc_end1217:
	.size	_ZN7rocprim17ROCPRIM_400000_NS6detail17trampoline_kernelINS0_14default_configENS1_35radix_sort_onesweep_config_selectorIlNS0_10empty_typeEEEZZNS1_29radix_sort_onesweep_iterationIS3_Lb0EPKlPlPS5_SB_mNS0_19identity_decomposerENS1_16block_id_wrapperIjLb1EEEEE10hipError_tT1_PNSt15iterator_traitsISG_E10value_typeET2_T3_PNSH_ISM_E10value_typeET4_T5_PSR_SS_PNS1_23onesweep_lookback_stateEbbT6_jjT7_P12ihipStream_tbENKUlT_T0_SG_SL_E_clISA_SA_SB_SB_EEDaSZ_S10_SG_SL_EUlSZ_E_NS1_11comp_targetILNS1_3genE6ELNS1_11target_archE950ELNS1_3gpuE13ELNS1_3repE0EEENS1_47radix_sort_onesweep_sort_config_static_selectorELNS0_4arch9wavefront6targetE0EEEvSG_, .Lfunc_end1217-_ZN7rocprim17ROCPRIM_400000_NS6detail17trampoline_kernelINS0_14default_configENS1_35radix_sort_onesweep_config_selectorIlNS0_10empty_typeEEEZZNS1_29radix_sort_onesweep_iterationIS3_Lb0EPKlPlPS5_SB_mNS0_19identity_decomposerENS1_16block_id_wrapperIjLb1EEEEE10hipError_tT1_PNSt15iterator_traitsISG_E10value_typeET2_T3_PNSH_ISM_E10value_typeET4_T5_PSR_SS_PNS1_23onesweep_lookback_stateEbbT6_jjT7_P12ihipStream_tbENKUlT_T0_SG_SL_E_clISA_SA_SB_SB_EEDaSZ_S10_SG_SL_EUlSZ_E_NS1_11comp_targetILNS1_3genE6ELNS1_11target_archE950ELNS1_3gpuE13ELNS1_3repE0EEENS1_47radix_sort_onesweep_sort_config_static_selectorELNS0_4arch9wavefront6targetE0EEEvSG_
                                        ; -- End function
	.set _ZN7rocprim17ROCPRIM_400000_NS6detail17trampoline_kernelINS0_14default_configENS1_35radix_sort_onesweep_config_selectorIlNS0_10empty_typeEEEZZNS1_29radix_sort_onesweep_iterationIS3_Lb0EPKlPlPS5_SB_mNS0_19identity_decomposerENS1_16block_id_wrapperIjLb1EEEEE10hipError_tT1_PNSt15iterator_traitsISG_E10value_typeET2_T3_PNSH_ISM_E10value_typeET4_T5_PSR_SS_PNS1_23onesweep_lookback_stateEbbT6_jjT7_P12ihipStream_tbENKUlT_T0_SG_SL_E_clISA_SA_SB_SB_EEDaSZ_S10_SG_SL_EUlSZ_E_NS1_11comp_targetILNS1_3genE6ELNS1_11target_archE950ELNS1_3gpuE13ELNS1_3repE0EEENS1_47radix_sort_onesweep_sort_config_static_selectorELNS0_4arch9wavefront6targetE0EEEvSG_.num_vgpr, 0
	.set _ZN7rocprim17ROCPRIM_400000_NS6detail17trampoline_kernelINS0_14default_configENS1_35radix_sort_onesweep_config_selectorIlNS0_10empty_typeEEEZZNS1_29radix_sort_onesweep_iterationIS3_Lb0EPKlPlPS5_SB_mNS0_19identity_decomposerENS1_16block_id_wrapperIjLb1EEEEE10hipError_tT1_PNSt15iterator_traitsISG_E10value_typeET2_T3_PNSH_ISM_E10value_typeET4_T5_PSR_SS_PNS1_23onesweep_lookback_stateEbbT6_jjT7_P12ihipStream_tbENKUlT_T0_SG_SL_E_clISA_SA_SB_SB_EEDaSZ_S10_SG_SL_EUlSZ_E_NS1_11comp_targetILNS1_3genE6ELNS1_11target_archE950ELNS1_3gpuE13ELNS1_3repE0EEENS1_47radix_sort_onesweep_sort_config_static_selectorELNS0_4arch9wavefront6targetE0EEEvSG_.num_agpr, 0
	.set _ZN7rocprim17ROCPRIM_400000_NS6detail17trampoline_kernelINS0_14default_configENS1_35radix_sort_onesweep_config_selectorIlNS0_10empty_typeEEEZZNS1_29radix_sort_onesweep_iterationIS3_Lb0EPKlPlPS5_SB_mNS0_19identity_decomposerENS1_16block_id_wrapperIjLb1EEEEE10hipError_tT1_PNSt15iterator_traitsISG_E10value_typeET2_T3_PNSH_ISM_E10value_typeET4_T5_PSR_SS_PNS1_23onesweep_lookback_stateEbbT6_jjT7_P12ihipStream_tbENKUlT_T0_SG_SL_E_clISA_SA_SB_SB_EEDaSZ_S10_SG_SL_EUlSZ_E_NS1_11comp_targetILNS1_3genE6ELNS1_11target_archE950ELNS1_3gpuE13ELNS1_3repE0EEENS1_47radix_sort_onesweep_sort_config_static_selectorELNS0_4arch9wavefront6targetE0EEEvSG_.numbered_sgpr, 0
	.set _ZN7rocprim17ROCPRIM_400000_NS6detail17trampoline_kernelINS0_14default_configENS1_35radix_sort_onesweep_config_selectorIlNS0_10empty_typeEEEZZNS1_29radix_sort_onesweep_iterationIS3_Lb0EPKlPlPS5_SB_mNS0_19identity_decomposerENS1_16block_id_wrapperIjLb1EEEEE10hipError_tT1_PNSt15iterator_traitsISG_E10value_typeET2_T3_PNSH_ISM_E10value_typeET4_T5_PSR_SS_PNS1_23onesweep_lookback_stateEbbT6_jjT7_P12ihipStream_tbENKUlT_T0_SG_SL_E_clISA_SA_SB_SB_EEDaSZ_S10_SG_SL_EUlSZ_E_NS1_11comp_targetILNS1_3genE6ELNS1_11target_archE950ELNS1_3gpuE13ELNS1_3repE0EEENS1_47radix_sort_onesweep_sort_config_static_selectorELNS0_4arch9wavefront6targetE0EEEvSG_.num_named_barrier, 0
	.set _ZN7rocprim17ROCPRIM_400000_NS6detail17trampoline_kernelINS0_14default_configENS1_35radix_sort_onesweep_config_selectorIlNS0_10empty_typeEEEZZNS1_29radix_sort_onesweep_iterationIS3_Lb0EPKlPlPS5_SB_mNS0_19identity_decomposerENS1_16block_id_wrapperIjLb1EEEEE10hipError_tT1_PNSt15iterator_traitsISG_E10value_typeET2_T3_PNSH_ISM_E10value_typeET4_T5_PSR_SS_PNS1_23onesweep_lookback_stateEbbT6_jjT7_P12ihipStream_tbENKUlT_T0_SG_SL_E_clISA_SA_SB_SB_EEDaSZ_S10_SG_SL_EUlSZ_E_NS1_11comp_targetILNS1_3genE6ELNS1_11target_archE950ELNS1_3gpuE13ELNS1_3repE0EEENS1_47radix_sort_onesweep_sort_config_static_selectorELNS0_4arch9wavefront6targetE0EEEvSG_.private_seg_size, 0
	.set _ZN7rocprim17ROCPRIM_400000_NS6detail17trampoline_kernelINS0_14default_configENS1_35radix_sort_onesweep_config_selectorIlNS0_10empty_typeEEEZZNS1_29radix_sort_onesweep_iterationIS3_Lb0EPKlPlPS5_SB_mNS0_19identity_decomposerENS1_16block_id_wrapperIjLb1EEEEE10hipError_tT1_PNSt15iterator_traitsISG_E10value_typeET2_T3_PNSH_ISM_E10value_typeET4_T5_PSR_SS_PNS1_23onesweep_lookback_stateEbbT6_jjT7_P12ihipStream_tbENKUlT_T0_SG_SL_E_clISA_SA_SB_SB_EEDaSZ_S10_SG_SL_EUlSZ_E_NS1_11comp_targetILNS1_3genE6ELNS1_11target_archE950ELNS1_3gpuE13ELNS1_3repE0EEENS1_47radix_sort_onesweep_sort_config_static_selectorELNS0_4arch9wavefront6targetE0EEEvSG_.uses_vcc, 0
	.set _ZN7rocprim17ROCPRIM_400000_NS6detail17trampoline_kernelINS0_14default_configENS1_35radix_sort_onesweep_config_selectorIlNS0_10empty_typeEEEZZNS1_29radix_sort_onesweep_iterationIS3_Lb0EPKlPlPS5_SB_mNS0_19identity_decomposerENS1_16block_id_wrapperIjLb1EEEEE10hipError_tT1_PNSt15iterator_traitsISG_E10value_typeET2_T3_PNSH_ISM_E10value_typeET4_T5_PSR_SS_PNS1_23onesweep_lookback_stateEbbT6_jjT7_P12ihipStream_tbENKUlT_T0_SG_SL_E_clISA_SA_SB_SB_EEDaSZ_S10_SG_SL_EUlSZ_E_NS1_11comp_targetILNS1_3genE6ELNS1_11target_archE950ELNS1_3gpuE13ELNS1_3repE0EEENS1_47radix_sort_onesweep_sort_config_static_selectorELNS0_4arch9wavefront6targetE0EEEvSG_.uses_flat_scratch, 0
	.set _ZN7rocprim17ROCPRIM_400000_NS6detail17trampoline_kernelINS0_14default_configENS1_35radix_sort_onesweep_config_selectorIlNS0_10empty_typeEEEZZNS1_29radix_sort_onesweep_iterationIS3_Lb0EPKlPlPS5_SB_mNS0_19identity_decomposerENS1_16block_id_wrapperIjLb1EEEEE10hipError_tT1_PNSt15iterator_traitsISG_E10value_typeET2_T3_PNSH_ISM_E10value_typeET4_T5_PSR_SS_PNS1_23onesweep_lookback_stateEbbT6_jjT7_P12ihipStream_tbENKUlT_T0_SG_SL_E_clISA_SA_SB_SB_EEDaSZ_S10_SG_SL_EUlSZ_E_NS1_11comp_targetILNS1_3genE6ELNS1_11target_archE950ELNS1_3gpuE13ELNS1_3repE0EEENS1_47radix_sort_onesweep_sort_config_static_selectorELNS0_4arch9wavefront6targetE0EEEvSG_.has_dyn_sized_stack, 0
	.set _ZN7rocprim17ROCPRIM_400000_NS6detail17trampoline_kernelINS0_14default_configENS1_35radix_sort_onesweep_config_selectorIlNS0_10empty_typeEEEZZNS1_29radix_sort_onesweep_iterationIS3_Lb0EPKlPlPS5_SB_mNS0_19identity_decomposerENS1_16block_id_wrapperIjLb1EEEEE10hipError_tT1_PNSt15iterator_traitsISG_E10value_typeET2_T3_PNSH_ISM_E10value_typeET4_T5_PSR_SS_PNS1_23onesweep_lookback_stateEbbT6_jjT7_P12ihipStream_tbENKUlT_T0_SG_SL_E_clISA_SA_SB_SB_EEDaSZ_S10_SG_SL_EUlSZ_E_NS1_11comp_targetILNS1_3genE6ELNS1_11target_archE950ELNS1_3gpuE13ELNS1_3repE0EEENS1_47radix_sort_onesweep_sort_config_static_selectorELNS0_4arch9wavefront6targetE0EEEvSG_.has_recursion, 0
	.set _ZN7rocprim17ROCPRIM_400000_NS6detail17trampoline_kernelINS0_14default_configENS1_35radix_sort_onesweep_config_selectorIlNS0_10empty_typeEEEZZNS1_29radix_sort_onesweep_iterationIS3_Lb0EPKlPlPS5_SB_mNS0_19identity_decomposerENS1_16block_id_wrapperIjLb1EEEEE10hipError_tT1_PNSt15iterator_traitsISG_E10value_typeET2_T3_PNSH_ISM_E10value_typeET4_T5_PSR_SS_PNS1_23onesweep_lookback_stateEbbT6_jjT7_P12ihipStream_tbENKUlT_T0_SG_SL_E_clISA_SA_SB_SB_EEDaSZ_S10_SG_SL_EUlSZ_E_NS1_11comp_targetILNS1_3genE6ELNS1_11target_archE950ELNS1_3gpuE13ELNS1_3repE0EEENS1_47radix_sort_onesweep_sort_config_static_selectorELNS0_4arch9wavefront6targetE0EEEvSG_.has_indirect_call, 0
	.section	.AMDGPU.csdata,"",@progbits
; Kernel info:
; codeLenInByte = 0
; TotalNumSgprs: 0
; NumVgprs: 0
; ScratchSize: 0
; MemoryBound: 0
; FloatMode: 240
; IeeeMode: 1
; LDSByteSize: 0 bytes/workgroup (compile time only)
; SGPRBlocks: 0
; VGPRBlocks: 0
; NumSGPRsForWavesPerEU: 1
; NumVGPRsForWavesPerEU: 1
; NamedBarCnt: 0
; Occupancy: 16
; WaveLimiterHint : 0
; COMPUTE_PGM_RSRC2:SCRATCH_EN: 0
; COMPUTE_PGM_RSRC2:USER_SGPR: 2
; COMPUTE_PGM_RSRC2:TRAP_HANDLER: 0
; COMPUTE_PGM_RSRC2:TGID_X_EN: 1
; COMPUTE_PGM_RSRC2:TGID_Y_EN: 0
; COMPUTE_PGM_RSRC2:TGID_Z_EN: 0
; COMPUTE_PGM_RSRC2:TIDIG_COMP_CNT: 0
	.section	.text._ZN7rocprim17ROCPRIM_400000_NS6detail17trampoline_kernelINS0_14default_configENS1_35radix_sort_onesweep_config_selectorIlNS0_10empty_typeEEEZZNS1_29radix_sort_onesweep_iterationIS3_Lb0EPKlPlPS5_SB_mNS0_19identity_decomposerENS1_16block_id_wrapperIjLb1EEEEE10hipError_tT1_PNSt15iterator_traitsISG_E10value_typeET2_T3_PNSH_ISM_E10value_typeET4_T5_PSR_SS_PNS1_23onesweep_lookback_stateEbbT6_jjT7_P12ihipStream_tbENKUlT_T0_SG_SL_E_clISA_SA_SB_SB_EEDaSZ_S10_SG_SL_EUlSZ_E_NS1_11comp_targetILNS1_3genE5ELNS1_11target_archE942ELNS1_3gpuE9ELNS1_3repE0EEENS1_47radix_sort_onesweep_sort_config_static_selectorELNS0_4arch9wavefront6targetE0EEEvSG_,"axG",@progbits,_ZN7rocprim17ROCPRIM_400000_NS6detail17trampoline_kernelINS0_14default_configENS1_35radix_sort_onesweep_config_selectorIlNS0_10empty_typeEEEZZNS1_29radix_sort_onesweep_iterationIS3_Lb0EPKlPlPS5_SB_mNS0_19identity_decomposerENS1_16block_id_wrapperIjLb1EEEEE10hipError_tT1_PNSt15iterator_traitsISG_E10value_typeET2_T3_PNSH_ISM_E10value_typeET4_T5_PSR_SS_PNS1_23onesweep_lookback_stateEbbT6_jjT7_P12ihipStream_tbENKUlT_T0_SG_SL_E_clISA_SA_SB_SB_EEDaSZ_S10_SG_SL_EUlSZ_E_NS1_11comp_targetILNS1_3genE5ELNS1_11target_archE942ELNS1_3gpuE9ELNS1_3repE0EEENS1_47radix_sort_onesweep_sort_config_static_selectorELNS0_4arch9wavefront6targetE0EEEvSG_,comdat
	.protected	_ZN7rocprim17ROCPRIM_400000_NS6detail17trampoline_kernelINS0_14default_configENS1_35radix_sort_onesweep_config_selectorIlNS0_10empty_typeEEEZZNS1_29radix_sort_onesweep_iterationIS3_Lb0EPKlPlPS5_SB_mNS0_19identity_decomposerENS1_16block_id_wrapperIjLb1EEEEE10hipError_tT1_PNSt15iterator_traitsISG_E10value_typeET2_T3_PNSH_ISM_E10value_typeET4_T5_PSR_SS_PNS1_23onesweep_lookback_stateEbbT6_jjT7_P12ihipStream_tbENKUlT_T0_SG_SL_E_clISA_SA_SB_SB_EEDaSZ_S10_SG_SL_EUlSZ_E_NS1_11comp_targetILNS1_3genE5ELNS1_11target_archE942ELNS1_3gpuE9ELNS1_3repE0EEENS1_47radix_sort_onesweep_sort_config_static_selectorELNS0_4arch9wavefront6targetE0EEEvSG_ ; -- Begin function _ZN7rocprim17ROCPRIM_400000_NS6detail17trampoline_kernelINS0_14default_configENS1_35radix_sort_onesweep_config_selectorIlNS0_10empty_typeEEEZZNS1_29radix_sort_onesweep_iterationIS3_Lb0EPKlPlPS5_SB_mNS0_19identity_decomposerENS1_16block_id_wrapperIjLb1EEEEE10hipError_tT1_PNSt15iterator_traitsISG_E10value_typeET2_T3_PNSH_ISM_E10value_typeET4_T5_PSR_SS_PNS1_23onesweep_lookback_stateEbbT6_jjT7_P12ihipStream_tbENKUlT_T0_SG_SL_E_clISA_SA_SB_SB_EEDaSZ_S10_SG_SL_EUlSZ_E_NS1_11comp_targetILNS1_3genE5ELNS1_11target_archE942ELNS1_3gpuE9ELNS1_3repE0EEENS1_47radix_sort_onesweep_sort_config_static_selectorELNS0_4arch9wavefront6targetE0EEEvSG_
	.globl	_ZN7rocprim17ROCPRIM_400000_NS6detail17trampoline_kernelINS0_14default_configENS1_35radix_sort_onesweep_config_selectorIlNS0_10empty_typeEEEZZNS1_29radix_sort_onesweep_iterationIS3_Lb0EPKlPlPS5_SB_mNS0_19identity_decomposerENS1_16block_id_wrapperIjLb1EEEEE10hipError_tT1_PNSt15iterator_traitsISG_E10value_typeET2_T3_PNSH_ISM_E10value_typeET4_T5_PSR_SS_PNS1_23onesweep_lookback_stateEbbT6_jjT7_P12ihipStream_tbENKUlT_T0_SG_SL_E_clISA_SA_SB_SB_EEDaSZ_S10_SG_SL_EUlSZ_E_NS1_11comp_targetILNS1_3genE5ELNS1_11target_archE942ELNS1_3gpuE9ELNS1_3repE0EEENS1_47radix_sort_onesweep_sort_config_static_selectorELNS0_4arch9wavefront6targetE0EEEvSG_
	.p2align	8
	.type	_ZN7rocprim17ROCPRIM_400000_NS6detail17trampoline_kernelINS0_14default_configENS1_35radix_sort_onesweep_config_selectorIlNS0_10empty_typeEEEZZNS1_29radix_sort_onesweep_iterationIS3_Lb0EPKlPlPS5_SB_mNS0_19identity_decomposerENS1_16block_id_wrapperIjLb1EEEEE10hipError_tT1_PNSt15iterator_traitsISG_E10value_typeET2_T3_PNSH_ISM_E10value_typeET4_T5_PSR_SS_PNS1_23onesweep_lookback_stateEbbT6_jjT7_P12ihipStream_tbENKUlT_T0_SG_SL_E_clISA_SA_SB_SB_EEDaSZ_S10_SG_SL_EUlSZ_E_NS1_11comp_targetILNS1_3genE5ELNS1_11target_archE942ELNS1_3gpuE9ELNS1_3repE0EEENS1_47radix_sort_onesweep_sort_config_static_selectorELNS0_4arch9wavefront6targetE0EEEvSG_,@function
_ZN7rocprim17ROCPRIM_400000_NS6detail17trampoline_kernelINS0_14default_configENS1_35radix_sort_onesweep_config_selectorIlNS0_10empty_typeEEEZZNS1_29radix_sort_onesweep_iterationIS3_Lb0EPKlPlPS5_SB_mNS0_19identity_decomposerENS1_16block_id_wrapperIjLb1EEEEE10hipError_tT1_PNSt15iterator_traitsISG_E10value_typeET2_T3_PNSH_ISM_E10value_typeET4_T5_PSR_SS_PNS1_23onesweep_lookback_stateEbbT6_jjT7_P12ihipStream_tbENKUlT_T0_SG_SL_E_clISA_SA_SB_SB_EEDaSZ_S10_SG_SL_EUlSZ_E_NS1_11comp_targetILNS1_3genE5ELNS1_11target_archE942ELNS1_3gpuE9ELNS1_3repE0EEENS1_47radix_sort_onesweep_sort_config_static_selectorELNS0_4arch9wavefront6targetE0EEEvSG_: ; @_ZN7rocprim17ROCPRIM_400000_NS6detail17trampoline_kernelINS0_14default_configENS1_35radix_sort_onesweep_config_selectorIlNS0_10empty_typeEEEZZNS1_29radix_sort_onesweep_iterationIS3_Lb0EPKlPlPS5_SB_mNS0_19identity_decomposerENS1_16block_id_wrapperIjLb1EEEEE10hipError_tT1_PNSt15iterator_traitsISG_E10value_typeET2_T3_PNSH_ISM_E10value_typeET4_T5_PSR_SS_PNS1_23onesweep_lookback_stateEbbT6_jjT7_P12ihipStream_tbENKUlT_T0_SG_SL_E_clISA_SA_SB_SB_EEDaSZ_S10_SG_SL_EUlSZ_E_NS1_11comp_targetILNS1_3genE5ELNS1_11target_archE942ELNS1_3gpuE9ELNS1_3repE0EEENS1_47radix_sort_onesweep_sort_config_static_selectorELNS0_4arch9wavefront6targetE0EEEvSG_
; %bb.0:
	.section	.rodata,"a",@progbits
	.p2align	6, 0x0
	.amdhsa_kernel _ZN7rocprim17ROCPRIM_400000_NS6detail17trampoline_kernelINS0_14default_configENS1_35radix_sort_onesweep_config_selectorIlNS0_10empty_typeEEEZZNS1_29radix_sort_onesweep_iterationIS3_Lb0EPKlPlPS5_SB_mNS0_19identity_decomposerENS1_16block_id_wrapperIjLb1EEEEE10hipError_tT1_PNSt15iterator_traitsISG_E10value_typeET2_T3_PNSH_ISM_E10value_typeET4_T5_PSR_SS_PNS1_23onesweep_lookback_stateEbbT6_jjT7_P12ihipStream_tbENKUlT_T0_SG_SL_E_clISA_SA_SB_SB_EEDaSZ_S10_SG_SL_EUlSZ_E_NS1_11comp_targetILNS1_3genE5ELNS1_11target_archE942ELNS1_3gpuE9ELNS1_3repE0EEENS1_47radix_sort_onesweep_sort_config_static_selectorELNS0_4arch9wavefront6targetE0EEEvSG_
		.amdhsa_group_segment_fixed_size 0
		.amdhsa_private_segment_fixed_size 0
		.amdhsa_kernarg_size 88
		.amdhsa_user_sgpr_count 2
		.amdhsa_user_sgpr_dispatch_ptr 0
		.amdhsa_user_sgpr_queue_ptr 0
		.amdhsa_user_sgpr_kernarg_segment_ptr 1
		.amdhsa_user_sgpr_dispatch_id 0
		.amdhsa_user_sgpr_kernarg_preload_length 0
		.amdhsa_user_sgpr_kernarg_preload_offset 0
		.amdhsa_user_sgpr_private_segment_size 0
		.amdhsa_wavefront_size32 1
		.amdhsa_uses_dynamic_stack 0
		.amdhsa_enable_private_segment 0
		.amdhsa_system_sgpr_workgroup_id_x 1
		.amdhsa_system_sgpr_workgroup_id_y 0
		.amdhsa_system_sgpr_workgroup_id_z 0
		.amdhsa_system_sgpr_workgroup_info 0
		.amdhsa_system_vgpr_workitem_id 0
		.amdhsa_next_free_vgpr 1
		.amdhsa_next_free_sgpr 1
		.amdhsa_named_barrier_count 0
		.amdhsa_reserve_vcc 0
		.amdhsa_float_round_mode_32 0
		.amdhsa_float_round_mode_16_64 0
		.amdhsa_float_denorm_mode_32 3
		.amdhsa_float_denorm_mode_16_64 3
		.amdhsa_fp16_overflow 0
		.amdhsa_memory_ordered 1
		.amdhsa_forward_progress 1
		.amdhsa_inst_pref_size 0
		.amdhsa_round_robin_scheduling 0
		.amdhsa_exception_fp_ieee_invalid_op 0
		.amdhsa_exception_fp_denorm_src 0
		.amdhsa_exception_fp_ieee_div_zero 0
		.amdhsa_exception_fp_ieee_overflow 0
		.amdhsa_exception_fp_ieee_underflow 0
		.amdhsa_exception_fp_ieee_inexact 0
		.amdhsa_exception_int_div_zero 0
	.end_amdhsa_kernel
	.section	.text._ZN7rocprim17ROCPRIM_400000_NS6detail17trampoline_kernelINS0_14default_configENS1_35radix_sort_onesweep_config_selectorIlNS0_10empty_typeEEEZZNS1_29radix_sort_onesweep_iterationIS3_Lb0EPKlPlPS5_SB_mNS0_19identity_decomposerENS1_16block_id_wrapperIjLb1EEEEE10hipError_tT1_PNSt15iterator_traitsISG_E10value_typeET2_T3_PNSH_ISM_E10value_typeET4_T5_PSR_SS_PNS1_23onesweep_lookback_stateEbbT6_jjT7_P12ihipStream_tbENKUlT_T0_SG_SL_E_clISA_SA_SB_SB_EEDaSZ_S10_SG_SL_EUlSZ_E_NS1_11comp_targetILNS1_3genE5ELNS1_11target_archE942ELNS1_3gpuE9ELNS1_3repE0EEENS1_47radix_sort_onesweep_sort_config_static_selectorELNS0_4arch9wavefront6targetE0EEEvSG_,"axG",@progbits,_ZN7rocprim17ROCPRIM_400000_NS6detail17trampoline_kernelINS0_14default_configENS1_35radix_sort_onesweep_config_selectorIlNS0_10empty_typeEEEZZNS1_29radix_sort_onesweep_iterationIS3_Lb0EPKlPlPS5_SB_mNS0_19identity_decomposerENS1_16block_id_wrapperIjLb1EEEEE10hipError_tT1_PNSt15iterator_traitsISG_E10value_typeET2_T3_PNSH_ISM_E10value_typeET4_T5_PSR_SS_PNS1_23onesweep_lookback_stateEbbT6_jjT7_P12ihipStream_tbENKUlT_T0_SG_SL_E_clISA_SA_SB_SB_EEDaSZ_S10_SG_SL_EUlSZ_E_NS1_11comp_targetILNS1_3genE5ELNS1_11target_archE942ELNS1_3gpuE9ELNS1_3repE0EEENS1_47radix_sort_onesweep_sort_config_static_selectorELNS0_4arch9wavefront6targetE0EEEvSG_,comdat
.Lfunc_end1218:
	.size	_ZN7rocprim17ROCPRIM_400000_NS6detail17trampoline_kernelINS0_14default_configENS1_35radix_sort_onesweep_config_selectorIlNS0_10empty_typeEEEZZNS1_29radix_sort_onesweep_iterationIS3_Lb0EPKlPlPS5_SB_mNS0_19identity_decomposerENS1_16block_id_wrapperIjLb1EEEEE10hipError_tT1_PNSt15iterator_traitsISG_E10value_typeET2_T3_PNSH_ISM_E10value_typeET4_T5_PSR_SS_PNS1_23onesweep_lookback_stateEbbT6_jjT7_P12ihipStream_tbENKUlT_T0_SG_SL_E_clISA_SA_SB_SB_EEDaSZ_S10_SG_SL_EUlSZ_E_NS1_11comp_targetILNS1_3genE5ELNS1_11target_archE942ELNS1_3gpuE9ELNS1_3repE0EEENS1_47radix_sort_onesweep_sort_config_static_selectorELNS0_4arch9wavefront6targetE0EEEvSG_, .Lfunc_end1218-_ZN7rocprim17ROCPRIM_400000_NS6detail17trampoline_kernelINS0_14default_configENS1_35radix_sort_onesweep_config_selectorIlNS0_10empty_typeEEEZZNS1_29radix_sort_onesweep_iterationIS3_Lb0EPKlPlPS5_SB_mNS0_19identity_decomposerENS1_16block_id_wrapperIjLb1EEEEE10hipError_tT1_PNSt15iterator_traitsISG_E10value_typeET2_T3_PNSH_ISM_E10value_typeET4_T5_PSR_SS_PNS1_23onesweep_lookback_stateEbbT6_jjT7_P12ihipStream_tbENKUlT_T0_SG_SL_E_clISA_SA_SB_SB_EEDaSZ_S10_SG_SL_EUlSZ_E_NS1_11comp_targetILNS1_3genE5ELNS1_11target_archE942ELNS1_3gpuE9ELNS1_3repE0EEENS1_47radix_sort_onesweep_sort_config_static_selectorELNS0_4arch9wavefront6targetE0EEEvSG_
                                        ; -- End function
	.set _ZN7rocprim17ROCPRIM_400000_NS6detail17trampoline_kernelINS0_14default_configENS1_35radix_sort_onesweep_config_selectorIlNS0_10empty_typeEEEZZNS1_29radix_sort_onesweep_iterationIS3_Lb0EPKlPlPS5_SB_mNS0_19identity_decomposerENS1_16block_id_wrapperIjLb1EEEEE10hipError_tT1_PNSt15iterator_traitsISG_E10value_typeET2_T3_PNSH_ISM_E10value_typeET4_T5_PSR_SS_PNS1_23onesweep_lookback_stateEbbT6_jjT7_P12ihipStream_tbENKUlT_T0_SG_SL_E_clISA_SA_SB_SB_EEDaSZ_S10_SG_SL_EUlSZ_E_NS1_11comp_targetILNS1_3genE5ELNS1_11target_archE942ELNS1_3gpuE9ELNS1_3repE0EEENS1_47radix_sort_onesweep_sort_config_static_selectorELNS0_4arch9wavefront6targetE0EEEvSG_.num_vgpr, 0
	.set _ZN7rocprim17ROCPRIM_400000_NS6detail17trampoline_kernelINS0_14default_configENS1_35radix_sort_onesweep_config_selectorIlNS0_10empty_typeEEEZZNS1_29radix_sort_onesweep_iterationIS3_Lb0EPKlPlPS5_SB_mNS0_19identity_decomposerENS1_16block_id_wrapperIjLb1EEEEE10hipError_tT1_PNSt15iterator_traitsISG_E10value_typeET2_T3_PNSH_ISM_E10value_typeET4_T5_PSR_SS_PNS1_23onesweep_lookback_stateEbbT6_jjT7_P12ihipStream_tbENKUlT_T0_SG_SL_E_clISA_SA_SB_SB_EEDaSZ_S10_SG_SL_EUlSZ_E_NS1_11comp_targetILNS1_3genE5ELNS1_11target_archE942ELNS1_3gpuE9ELNS1_3repE0EEENS1_47radix_sort_onesweep_sort_config_static_selectorELNS0_4arch9wavefront6targetE0EEEvSG_.num_agpr, 0
	.set _ZN7rocprim17ROCPRIM_400000_NS6detail17trampoline_kernelINS0_14default_configENS1_35radix_sort_onesweep_config_selectorIlNS0_10empty_typeEEEZZNS1_29radix_sort_onesweep_iterationIS3_Lb0EPKlPlPS5_SB_mNS0_19identity_decomposerENS1_16block_id_wrapperIjLb1EEEEE10hipError_tT1_PNSt15iterator_traitsISG_E10value_typeET2_T3_PNSH_ISM_E10value_typeET4_T5_PSR_SS_PNS1_23onesweep_lookback_stateEbbT6_jjT7_P12ihipStream_tbENKUlT_T0_SG_SL_E_clISA_SA_SB_SB_EEDaSZ_S10_SG_SL_EUlSZ_E_NS1_11comp_targetILNS1_3genE5ELNS1_11target_archE942ELNS1_3gpuE9ELNS1_3repE0EEENS1_47radix_sort_onesweep_sort_config_static_selectorELNS0_4arch9wavefront6targetE0EEEvSG_.numbered_sgpr, 0
	.set _ZN7rocprim17ROCPRIM_400000_NS6detail17trampoline_kernelINS0_14default_configENS1_35radix_sort_onesweep_config_selectorIlNS0_10empty_typeEEEZZNS1_29radix_sort_onesweep_iterationIS3_Lb0EPKlPlPS5_SB_mNS0_19identity_decomposerENS1_16block_id_wrapperIjLb1EEEEE10hipError_tT1_PNSt15iterator_traitsISG_E10value_typeET2_T3_PNSH_ISM_E10value_typeET4_T5_PSR_SS_PNS1_23onesweep_lookback_stateEbbT6_jjT7_P12ihipStream_tbENKUlT_T0_SG_SL_E_clISA_SA_SB_SB_EEDaSZ_S10_SG_SL_EUlSZ_E_NS1_11comp_targetILNS1_3genE5ELNS1_11target_archE942ELNS1_3gpuE9ELNS1_3repE0EEENS1_47radix_sort_onesweep_sort_config_static_selectorELNS0_4arch9wavefront6targetE0EEEvSG_.num_named_barrier, 0
	.set _ZN7rocprim17ROCPRIM_400000_NS6detail17trampoline_kernelINS0_14default_configENS1_35radix_sort_onesweep_config_selectorIlNS0_10empty_typeEEEZZNS1_29radix_sort_onesweep_iterationIS3_Lb0EPKlPlPS5_SB_mNS0_19identity_decomposerENS1_16block_id_wrapperIjLb1EEEEE10hipError_tT1_PNSt15iterator_traitsISG_E10value_typeET2_T3_PNSH_ISM_E10value_typeET4_T5_PSR_SS_PNS1_23onesweep_lookback_stateEbbT6_jjT7_P12ihipStream_tbENKUlT_T0_SG_SL_E_clISA_SA_SB_SB_EEDaSZ_S10_SG_SL_EUlSZ_E_NS1_11comp_targetILNS1_3genE5ELNS1_11target_archE942ELNS1_3gpuE9ELNS1_3repE0EEENS1_47radix_sort_onesweep_sort_config_static_selectorELNS0_4arch9wavefront6targetE0EEEvSG_.private_seg_size, 0
	.set _ZN7rocprim17ROCPRIM_400000_NS6detail17trampoline_kernelINS0_14default_configENS1_35radix_sort_onesweep_config_selectorIlNS0_10empty_typeEEEZZNS1_29radix_sort_onesweep_iterationIS3_Lb0EPKlPlPS5_SB_mNS0_19identity_decomposerENS1_16block_id_wrapperIjLb1EEEEE10hipError_tT1_PNSt15iterator_traitsISG_E10value_typeET2_T3_PNSH_ISM_E10value_typeET4_T5_PSR_SS_PNS1_23onesweep_lookback_stateEbbT6_jjT7_P12ihipStream_tbENKUlT_T0_SG_SL_E_clISA_SA_SB_SB_EEDaSZ_S10_SG_SL_EUlSZ_E_NS1_11comp_targetILNS1_3genE5ELNS1_11target_archE942ELNS1_3gpuE9ELNS1_3repE0EEENS1_47radix_sort_onesweep_sort_config_static_selectorELNS0_4arch9wavefront6targetE0EEEvSG_.uses_vcc, 0
	.set _ZN7rocprim17ROCPRIM_400000_NS6detail17trampoline_kernelINS0_14default_configENS1_35radix_sort_onesweep_config_selectorIlNS0_10empty_typeEEEZZNS1_29radix_sort_onesweep_iterationIS3_Lb0EPKlPlPS5_SB_mNS0_19identity_decomposerENS1_16block_id_wrapperIjLb1EEEEE10hipError_tT1_PNSt15iterator_traitsISG_E10value_typeET2_T3_PNSH_ISM_E10value_typeET4_T5_PSR_SS_PNS1_23onesweep_lookback_stateEbbT6_jjT7_P12ihipStream_tbENKUlT_T0_SG_SL_E_clISA_SA_SB_SB_EEDaSZ_S10_SG_SL_EUlSZ_E_NS1_11comp_targetILNS1_3genE5ELNS1_11target_archE942ELNS1_3gpuE9ELNS1_3repE0EEENS1_47radix_sort_onesweep_sort_config_static_selectorELNS0_4arch9wavefront6targetE0EEEvSG_.uses_flat_scratch, 0
	.set _ZN7rocprim17ROCPRIM_400000_NS6detail17trampoline_kernelINS0_14default_configENS1_35radix_sort_onesweep_config_selectorIlNS0_10empty_typeEEEZZNS1_29radix_sort_onesweep_iterationIS3_Lb0EPKlPlPS5_SB_mNS0_19identity_decomposerENS1_16block_id_wrapperIjLb1EEEEE10hipError_tT1_PNSt15iterator_traitsISG_E10value_typeET2_T3_PNSH_ISM_E10value_typeET4_T5_PSR_SS_PNS1_23onesweep_lookback_stateEbbT6_jjT7_P12ihipStream_tbENKUlT_T0_SG_SL_E_clISA_SA_SB_SB_EEDaSZ_S10_SG_SL_EUlSZ_E_NS1_11comp_targetILNS1_3genE5ELNS1_11target_archE942ELNS1_3gpuE9ELNS1_3repE0EEENS1_47radix_sort_onesweep_sort_config_static_selectorELNS0_4arch9wavefront6targetE0EEEvSG_.has_dyn_sized_stack, 0
	.set _ZN7rocprim17ROCPRIM_400000_NS6detail17trampoline_kernelINS0_14default_configENS1_35radix_sort_onesweep_config_selectorIlNS0_10empty_typeEEEZZNS1_29radix_sort_onesweep_iterationIS3_Lb0EPKlPlPS5_SB_mNS0_19identity_decomposerENS1_16block_id_wrapperIjLb1EEEEE10hipError_tT1_PNSt15iterator_traitsISG_E10value_typeET2_T3_PNSH_ISM_E10value_typeET4_T5_PSR_SS_PNS1_23onesweep_lookback_stateEbbT6_jjT7_P12ihipStream_tbENKUlT_T0_SG_SL_E_clISA_SA_SB_SB_EEDaSZ_S10_SG_SL_EUlSZ_E_NS1_11comp_targetILNS1_3genE5ELNS1_11target_archE942ELNS1_3gpuE9ELNS1_3repE0EEENS1_47radix_sort_onesweep_sort_config_static_selectorELNS0_4arch9wavefront6targetE0EEEvSG_.has_recursion, 0
	.set _ZN7rocprim17ROCPRIM_400000_NS6detail17trampoline_kernelINS0_14default_configENS1_35radix_sort_onesweep_config_selectorIlNS0_10empty_typeEEEZZNS1_29radix_sort_onesweep_iterationIS3_Lb0EPKlPlPS5_SB_mNS0_19identity_decomposerENS1_16block_id_wrapperIjLb1EEEEE10hipError_tT1_PNSt15iterator_traitsISG_E10value_typeET2_T3_PNSH_ISM_E10value_typeET4_T5_PSR_SS_PNS1_23onesweep_lookback_stateEbbT6_jjT7_P12ihipStream_tbENKUlT_T0_SG_SL_E_clISA_SA_SB_SB_EEDaSZ_S10_SG_SL_EUlSZ_E_NS1_11comp_targetILNS1_3genE5ELNS1_11target_archE942ELNS1_3gpuE9ELNS1_3repE0EEENS1_47radix_sort_onesweep_sort_config_static_selectorELNS0_4arch9wavefront6targetE0EEEvSG_.has_indirect_call, 0
	.section	.AMDGPU.csdata,"",@progbits
; Kernel info:
; codeLenInByte = 0
; TotalNumSgprs: 0
; NumVgprs: 0
; ScratchSize: 0
; MemoryBound: 0
; FloatMode: 240
; IeeeMode: 1
; LDSByteSize: 0 bytes/workgroup (compile time only)
; SGPRBlocks: 0
; VGPRBlocks: 0
; NumSGPRsForWavesPerEU: 1
; NumVGPRsForWavesPerEU: 1
; NamedBarCnt: 0
; Occupancy: 16
; WaveLimiterHint : 0
; COMPUTE_PGM_RSRC2:SCRATCH_EN: 0
; COMPUTE_PGM_RSRC2:USER_SGPR: 2
; COMPUTE_PGM_RSRC2:TRAP_HANDLER: 0
; COMPUTE_PGM_RSRC2:TGID_X_EN: 1
; COMPUTE_PGM_RSRC2:TGID_Y_EN: 0
; COMPUTE_PGM_RSRC2:TGID_Z_EN: 0
; COMPUTE_PGM_RSRC2:TIDIG_COMP_CNT: 0
	.section	.text._ZN7rocprim17ROCPRIM_400000_NS6detail17trampoline_kernelINS0_14default_configENS1_35radix_sort_onesweep_config_selectorIlNS0_10empty_typeEEEZZNS1_29radix_sort_onesweep_iterationIS3_Lb0EPKlPlPS5_SB_mNS0_19identity_decomposerENS1_16block_id_wrapperIjLb1EEEEE10hipError_tT1_PNSt15iterator_traitsISG_E10value_typeET2_T3_PNSH_ISM_E10value_typeET4_T5_PSR_SS_PNS1_23onesweep_lookback_stateEbbT6_jjT7_P12ihipStream_tbENKUlT_T0_SG_SL_E_clISA_SA_SB_SB_EEDaSZ_S10_SG_SL_EUlSZ_E_NS1_11comp_targetILNS1_3genE2ELNS1_11target_archE906ELNS1_3gpuE6ELNS1_3repE0EEENS1_47radix_sort_onesweep_sort_config_static_selectorELNS0_4arch9wavefront6targetE0EEEvSG_,"axG",@progbits,_ZN7rocprim17ROCPRIM_400000_NS6detail17trampoline_kernelINS0_14default_configENS1_35radix_sort_onesweep_config_selectorIlNS0_10empty_typeEEEZZNS1_29radix_sort_onesweep_iterationIS3_Lb0EPKlPlPS5_SB_mNS0_19identity_decomposerENS1_16block_id_wrapperIjLb1EEEEE10hipError_tT1_PNSt15iterator_traitsISG_E10value_typeET2_T3_PNSH_ISM_E10value_typeET4_T5_PSR_SS_PNS1_23onesweep_lookback_stateEbbT6_jjT7_P12ihipStream_tbENKUlT_T0_SG_SL_E_clISA_SA_SB_SB_EEDaSZ_S10_SG_SL_EUlSZ_E_NS1_11comp_targetILNS1_3genE2ELNS1_11target_archE906ELNS1_3gpuE6ELNS1_3repE0EEENS1_47radix_sort_onesweep_sort_config_static_selectorELNS0_4arch9wavefront6targetE0EEEvSG_,comdat
	.protected	_ZN7rocprim17ROCPRIM_400000_NS6detail17trampoline_kernelINS0_14default_configENS1_35radix_sort_onesweep_config_selectorIlNS0_10empty_typeEEEZZNS1_29radix_sort_onesweep_iterationIS3_Lb0EPKlPlPS5_SB_mNS0_19identity_decomposerENS1_16block_id_wrapperIjLb1EEEEE10hipError_tT1_PNSt15iterator_traitsISG_E10value_typeET2_T3_PNSH_ISM_E10value_typeET4_T5_PSR_SS_PNS1_23onesweep_lookback_stateEbbT6_jjT7_P12ihipStream_tbENKUlT_T0_SG_SL_E_clISA_SA_SB_SB_EEDaSZ_S10_SG_SL_EUlSZ_E_NS1_11comp_targetILNS1_3genE2ELNS1_11target_archE906ELNS1_3gpuE6ELNS1_3repE0EEENS1_47radix_sort_onesweep_sort_config_static_selectorELNS0_4arch9wavefront6targetE0EEEvSG_ ; -- Begin function _ZN7rocprim17ROCPRIM_400000_NS6detail17trampoline_kernelINS0_14default_configENS1_35radix_sort_onesweep_config_selectorIlNS0_10empty_typeEEEZZNS1_29radix_sort_onesweep_iterationIS3_Lb0EPKlPlPS5_SB_mNS0_19identity_decomposerENS1_16block_id_wrapperIjLb1EEEEE10hipError_tT1_PNSt15iterator_traitsISG_E10value_typeET2_T3_PNSH_ISM_E10value_typeET4_T5_PSR_SS_PNS1_23onesweep_lookback_stateEbbT6_jjT7_P12ihipStream_tbENKUlT_T0_SG_SL_E_clISA_SA_SB_SB_EEDaSZ_S10_SG_SL_EUlSZ_E_NS1_11comp_targetILNS1_3genE2ELNS1_11target_archE906ELNS1_3gpuE6ELNS1_3repE0EEENS1_47radix_sort_onesweep_sort_config_static_selectorELNS0_4arch9wavefront6targetE0EEEvSG_
	.globl	_ZN7rocprim17ROCPRIM_400000_NS6detail17trampoline_kernelINS0_14default_configENS1_35radix_sort_onesweep_config_selectorIlNS0_10empty_typeEEEZZNS1_29radix_sort_onesweep_iterationIS3_Lb0EPKlPlPS5_SB_mNS0_19identity_decomposerENS1_16block_id_wrapperIjLb1EEEEE10hipError_tT1_PNSt15iterator_traitsISG_E10value_typeET2_T3_PNSH_ISM_E10value_typeET4_T5_PSR_SS_PNS1_23onesweep_lookback_stateEbbT6_jjT7_P12ihipStream_tbENKUlT_T0_SG_SL_E_clISA_SA_SB_SB_EEDaSZ_S10_SG_SL_EUlSZ_E_NS1_11comp_targetILNS1_3genE2ELNS1_11target_archE906ELNS1_3gpuE6ELNS1_3repE0EEENS1_47radix_sort_onesweep_sort_config_static_selectorELNS0_4arch9wavefront6targetE0EEEvSG_
	.p2align	8
	.type	_ZN7rocprim17ROCPRIM_400000_NS6detail17trampoline_kernelINS0_14default_configENS1_35radix_sort_onesweep_config_selectorIlNS0_10empty_typeEEEZZNS1_29radix_sort_onesweep_iterationIS3_Lb0EPKlPlPS5_SB_mNS0_19identity_decomposerENS1_16block_id_wrapperIjLb1EEEEE10hipError_tT1_PNSt15iterator_traitsISG_E10value_typeET2_T3_PNSH_ISM_E10value_typeET4_T5_PSR_SS_PNS1_23onesweep_lookback_stateEbbT6_jjT7_P12ihipStream_tbENKUlT_T0_SG_SL_E_clISA_SA_SB_SB_EEDaSZ_S10_SG_SL_EUlSZ_E_NS1_11comp_targetILNS1_3genE2ELNS1_11target_archE906ELNS1_3gpuE6ELNS1_3repE0EEENS1_47radix_sort_onesweep_sort_config_static_selectorELNS0_4arch9wavefront6targetE0EEEvSG_,@function
_ZN7rocprim17ROCPRIM_400000_NS6detail17trampoline_kernelINS0_14default_configENS1_35radix_sort_onesweep_config_selectorIlNS0_10empty_typeEEEZZNS1_29radix_sort_onesweep_iterationIS3_Lb0EPKlPlPS5_SB_mNS0_19identity_decomposerENS1_16block_id_wrapperIjLb1EEEEE10hipError_tT1_PNSt15iterator_traitsISG_E10value_typeET2_T3_PNSH_ISM_E10value_typeET4_T5_PSR_SS_PNS1_23onesweep_lookback_stateEbbT6_jjT7_P12ihipStream_tbENKUlT_T0_SG_SL_E_clISA_SA_SB_SB_EEDaSZ_S10_SG_SL_EUlSZ_E_NS1_11comp_targetILNS1_3genE2ELNS1_11target_archE906ELNS1_3gpuE6ELNS1_3repE0EEENS1_47radix_sort_onesweep_sort_config_static_selectorELNS0_4arch9wavefront6targetE0EEEvSG_: ; @_ZN7rocprim17ROCPRIM_400000_NS6detail17trampoline_kernelINS0_14default_configENS1_35radix_sort_onesweep_config_selectorIlNS0_10empty_typeEEEZZNS1_29radix_sort_onesweep_iterationIS3_Lb0EPKlPlPS5_SB_mNS0_19identity_decomposerENS1_16block_id_wrapperIjLb1EEEEE10hipError_tT1_PNSt15iterator_traitsISG_E10value_typeET2_T3_PNSH_ISM_E10value_typeET4_T5_PSR_SS_PNS1_23onesweep_lookback_stateEbbT6_jjT7_P12ihipStream_tbENKUlT_T0_SG_SL_E_clISA_SA_SB_SB_EEDaSZ_S10_SG_SL_EUlSZ_E_NS1_11comp_targetILNS1_3genE2ELNS1_11target_archE906ELNS1_3gpuE6ELNS1_3repE0EEENS1_47radix_sort_onesweep_sort_config_static_selectorELNS0_4arch9wavefront6targetE0EEEvSG_
; %bb.0:
	.section	.rodata,"a",@progbits
	.p2align	6, 0x0
	.amdhsa_kernel _ZN7rocprim17ROCPRIM_400000_NS6detail17trampoline_kernelINS0_14default_configENS1_35radix_sort_onesweep_config_selectorIlNS0_10empty_typeEEEZZNS1_29radix_sort_onesweep_iterationIS3_Lb0EPKlPlPS5_SB_mNS0_19identity_decomposerENS1_16block_id_wrapperIjLb1EEEEE10hipError_tT1_PNSt15iterator_traitsISG_E10value_typeET2_T3_PNSH_ISM_E10value_typeET4_T5_PSR_SS_PNS1_23onesweep_lookback_stateEbbT6_jjT7_P12ihipStream_tbENKUlT_T0_SG_SL_E_clISA_SA_SB_SB_EEDaSZ_S10_SG_SL_EUlSZ_E_NS1_11comp_targetILNS1_3genE2ELNS1_11target_archE906ELNS1_3gpuE6ELNS1_3repE0EEENS1_47radix_sort_onesweep_sort_config_static_selectorELNS0_4arch9wavefront6targetE0EEEvSG_
		.amdhsa_group_segment_fixed_size 0
		.amdhsa_private_segment_fixed_size 0
		.amdhsa_kernarg_size 88
		.amdhsa_user_sgpr_count 2
		.amdhsa_user_sgpr_dispatch_ptr 0
		.amdhsa_user_sgpr_queue_ptr 0
		.amdhsa_user_sgpr_kernarg_segment_ptr 1
		.amdhsa_user_sgpr_dispatch_id 0
		.amdhsa_user_sgpr_kernarg_preload_length 0
		.amdhsa_user_sgpr_kernarg_preload_offset 0
		.amdhsa_user_sgpr_private_segment_size 0
		.amdhsa_wavefront_size32 1
		.amdhsa_uses_dynamic_stack 0
		.amdhsa_enable_private_segment 0
		.amdhsa_system_sgpr_workgroup_id_x 1
		.amdhsa_system_sgpr_workgroup_id_y 0
		.amdhsa_system_sgpr_workgroup_id_z 0
		.amdhsa_system_sgpr_workgroup_info 0
		.amdhsa_system_vgpr_workitem_id 0
		.amdhsa_next_free_vgpr 1
		.amdhsa_next_free_sgpr 1
		.amdhsa_named_barrier_count 0
		.amdhsa_reserve_vcc 0
		.amdhsa_float_round_mode_32 0
		.amdhsa_float_round_mode_16_64 0
		.amdhsa_float_denorm_mode_32 3
		.amdhsa_float_denorm_mode_16_64 3
		.amdhsa_fp16_overflow 0
		.amdhsa_memory_ordered 1
		.amdhsa_forward_progress 1
		.amdhsa_inst_pref_size 0
		.amdhsa_round_robin_scheduling 0
		.amdhsa_exception_fp_ieee_invalid_op 0
		.amdhsa_exception_fp_denorm_src 0
		.amdhsa_exception_fp_ieee_div_zero 0
		.amdhsa_exception_fp_ieee_overflow 0
		.amdhsa_exception_fp_ieee_underflow 0
		.amdhsa_exception_fp_ieee_inexact 0
		.amdhsa_exception_int_div_zero 0
	.end_amdhsa_kernel
	.section	.text._ZN7rocprim17ROCPRIM_400000_NS6detail17trampoline_kernelINS0_14default_configENS1_35radix_sort_onesweep_config_selectorIlNS0_10empty_typeEEEZZNS1_29radix_sort_onesweep_iterationIS3_Lb0EPKlPlPS5_SB_mNS0_19identity_decomposerENS1_16block_id_wrapperIjLb1EEEEE10hipError_tT1_PNSt15iterator_traitsISG_E10value_typeET2_T3_PNSH_ISM_E10value_typeET4_T5_PSR_SS_PNS1_23onesweep_lookback_stateEbbT6_jjT7_P12ihipStream_tbENKUlT_T0_SG_SL_E_clISA_SA_SB_SB_EEDaSZ_S10_SG_SL_EUlSZ_E_NS1_11comp_targetILNS1_3genE2ELNS1_11target_archE906ELNS1_3gpuE6ELNS1_3repE0EEENS1_47radix_sort_onesweep_sort_config_static_selectorELNS0_4arch9wavefront6targetE0EEEvSG_,"axG",@progbits,_ZN7rocprim17ROCPRIM_400000_NS6detail17trampoline_kernelINS0_14default_configENS1_35radix_sort_onesweep_config_selectorIlNS0_10empty_typeEEEZZNS1_29radix_sort_onesweep_iterationIS3_Lb0EPKlPlPS5_SB_mNS0_19identity_decomposerENS1_16block_id_wrapperIjLb1EEEEE10hipError_tT1_PNSt15iterator_traitsISG_E10value_typeET2_T3_PNSH_ISM_E10value_typeET4_T5_PSR_SS_PNS1_23onesweep_lookback_stateEbbT6_jjT7_P12ihipStream_tbENKUlT_T0_SG_SL_E_clISA_SA_SB_SB_EEDaSZ_S10_SG_SL_EUlSZ_E_NS1_11comp_targetILNS1_3genE2ELNS1_11target_archE906ELNS1_3gpuE6ELNS1_3repE0EEENS1_47radix_sort_onesweep_sort_config_static_selectorELNS0_4arch9wavefront6targetE0EEEvSG_,comdat
.Lfunc_end1219:
	.size	_ZN7rocprim17ROCPRIM_400000_NS6detail17trampoline_kernelINS0_14default_configENS1_35radix_sort_onesweep_config_selectorIlNS0_10empty_typeEEEZZNS1_29radix_sort_onesweep_iterationIS3_Lb0EPKlPlPS5_SB_mNS0_19identity_decomposerENS1_16block_id_wrapperIjLb1EEEEE10hipError_tT1_PNSt15iterator_traitsISG_E10value_typeET2_T3_PNSH_ISM_E10value_typeET4_T5_PSR_SS_PNS1_23onesweep_lookback_stateEbbT6_jjT7_P12ihipStream_tbENKUlT_T0_SG_SL_E_clISA_SA_SB_SB_EEDaSZ_S10_SG_SL_EUlSZ_E_NS1_11comp_targetILNS1_3genE2ELNS1_11target_archE906ELNS1_3gpuE6ELNS1_3repE0EEENS1_47radix_sort_onesweep_sort_config_static_selectorELNS0_4arch9wavefront6targetE0EEEvSG_, .Lfunc_end1219-_ZN7rocprim17ROCPRIM_400000_NS6detail17trampoline_kernelINS0_14default_configENS1_35radix_sort_onesweep_config_selectorIlNS0_10empty_typeEEEZZNS1_29radix_sort_onesweep_iterationIS3_Lb0EPKlPlPS5_SB_mNS0_19identity_decomposerENS1_16block_id_wrapperIjLb1EEEEE10hipError_tT1_PNSt15iterator_traitsISG_E10value_typeET2_T3_PNSH_ISM_E10value_typeET4_T5_PSR_SS_PNS1_23onesweep_lookback_stateEbbT6_jjT7_P12ihipStream_tbENKUlT_T0_SG_SL_E_clISA_SA_SB_SB_EEDaSZ_S10_SG_SL_EUlSZ_E_NS1_11comp_targetILNS1_3genE2ELNS1_11target_archE906ELNS1_3gpuE6ELNS1_3repE0EEENS1_47radix_sort_onesweep_sort_config_static_selectorELNS0_4arch9wavefront6targetE0EEEvSG_
                                        ; -- End function
	.set _ZN7rocprim17ROCPRIM_400000_NS6detail17trampoline_kernelINS0_14default_configENS1_35radix_sort_onesweep_config_selectorIlNS0_10empty_typeEEEZZNS1_29radix_sort_onesweep_iterationIS3_Lb0EPKlPlPS5_SB_mNS0_19identity_decomposerENS1_16block_id_wrapperIjLb1EEEEE10hipError_tT1_PNSt15iterator_traitsISG_E10value_typeET2_T3_PNSH_ISM_E10value_typeET4_T5_PSR_SS_PNS1_23onesweep_lookback_stateEbbT6_jjT7_P12ihipStream_tbENKUlT_T0_SG_SL_E_clISA_SA_SB_SB_EEDaSZ_S10_SG_SL_EUlSZ_E_NS1_11comp_targetILNS1_3genE2ELNS1_11target_archE906ELNS1_3gpuE6ELNS1_3repE0EEENS1_47radix_sort_onesweep_sort_config_static_selectorELNS0_4arch9wavefront6targetE0EEEvSG_.num_vgpr, 0
	.set _ZN7rocprim17ROCPRIM_400000_NS6detail17trampoline_kernelINS0_14default_configENS1_35radix_sort_onesweep_config_selectorIlNS0_10empty_typeEEEZZNS1_29radix_sort_onesweep_iterationIS3_Lb0EPKlPlPS5_SB_mNS0_19identity_decomposerENS1_16block_id_wrapperIjLb1EEEEE10hipError_tT1_PNSt15iterator_traitsISG_E10value_typeET2_T3_PNSH_ISM_E10value_typeET4_T5_PSR_SS_PNS1_23onesweep_lookback_stateEbbT6_jjT7_P12ihipStream_tbENKUlT_T0_SG_SL_E_clISA_SA_SB_SB_EEDaSZ_S10_SG_SL_EUlSZ_E_NS1_11comp_targetILNS1_3genE2ELNS1_11target_archE906ELNS1_3gpuE6ELNS1_3repE0EEENS1_47radix_sort_onesweep_sort_config_static_selectorELNS0_4arch9wavefront6targetE0EEEvSG_.num_agpr, 0
	.set _ZN7rocprim17ROCPRIM_400000_NS6detail17trampoline_kernelINS0_14default_configENS1_35radix_sort_onesweep_config_selectorIlNS0_10empty_typeEEEZZNS1_29radix_sort_onesweep_iterationIS3_Lb0EPKlPlPS5_SB_mNS0_19identity_decomposerENS1_16block_id_wrapperIjLb1EEEEE10hipError_tT1_PNSt15iterator_traitsISG_E10value_typeET2_T3_PNSH_ISM_E10value_typeET4_T5_PSR_SS_PNS1_23onesweep_lookback_stateEbbT6_jjT7_P12ihipStream_tbENKUlT_T0_SG_SL_E_clISA_SA_SB_SB_EEDaSZ_S10_SG_SL_EUlSZ_E_NS1_11comp_targetILNS1_3genE2ELNS1_11target_archE906ELNS1_3gpuE6ELNS1_3repE0EEENS1_47radix_sort_onesweep_sort_config_static_selectorELNS0_4arch9wavefront6targetE0EEEvSG_.numbered_sgpr, 0
	.set _ZN7rocprim17ROCPRIM_400000_NS6detail17trampoline_kernelINS0_14default_configENS1_35radix_sort_onesweep_config_selectorIlNS0_10empty_typeEEEZZNS1_29radix_sort_onesweep_iterationIS3_Lb0EPKlPlPS5_SB_mNS0_19identity_decomposerENS1_16block_id_wrapperIjLb1EEEEE10hipError_tT1_PNSt15iterator_traitsISG_E10value_typeET2_T3_PNSH_ISM_E10value_typeET4_T5_PSR_SS_PNS1_23onesweep_lookback_stateEbbT6_jjT7_P12ihipStream_tbENKUlT_T0_SG_SL_E_clISA_SA_SB_SB_EEDaSZ_S10_SG_SL_EUlSZ_E_NS1_11comp_targetILNS1_3genE2ELNS1_11target_archE906ELNS1_3gpuE6ELNS1_3repE0EEENS1_47radix_sort_onesweep_sort_config_static_selectorELNS0_4arch9wavefront6targetE0EEEvSG_.num_named_barrier, 0
	.set _ZN7rocprim17ROCPRIM_400000_NS6detail17trampoline_kernelINS0_14default_configENS1_35radix_sort_onesweep_config_selectorIlNS0_10empty_typeEEEZZNS1_29radix_sort_onesweep_iterationIS3_Lb0EPKlPlPS5_SB_mNS0_19identity_decomposerENS1_16block_id_wrapperIjLb1EEEEE10hipError_tT1_PNSt15iterator_traitsISG_E10value_typeET2_T3_PNSH_ISM_E10value_typeET4_T5_PSR_SS_PNS1_23onesweep_lookback_stateEbbT6_jjT7_P12ihipStream_tbENKUlT_T0_SG_SL_E_clISA_SA_SB_SB_EEDaSZ_S10_SG_SL_EUlSZ_E_NS1_11comp_targetILNS1_3genE2ELNS1_11target_archE906ELNS1_3gpuE6ELNS1_3repE0EEENS1_47radix_sort_onesweep_sort_config_static_selectorELNS0_4arch9wavefront6targetE0EEEvSG_.private_seg_size, 0
	.set _ZN7rocprim17ROCPRIM_400000_NS6detail17trampoline_kernelINS0_14default_configENS1_35radix_sort_onesweep_config_selectorIlNS0_10empty_typeEEEZZNS1_29radix_sort_onesweep_iterationIS3_Lb0EPKlPlPS5_SB_mNS0_19identity_decomposerENS1_16block_id_wrapperIjLb1EEEEE10hipError_tT1_PNSt15iterator_traitsISG_E10value_typeET2_T3_PNSH_ISM_E10value_typeET4_T5_PSR_SS_PNS1_23onesweep_lookback_stateEbbT6_jjT7_P12ihipStream_tbENKUlT_T0_SG_SL_E_clISA_SA_SB_SB_EEDaSZ_S10_SG_SL_EUlSZ_E_NS1_11comp_targetILNS1_3genE2ELNS1_11target_archE906ELNS1_3gpuE6ELNS1_3repE0EEENS1_47radix_sort_onesweep_sort_config_static_selectorELNS0_4arch9wavefront6targetE0EEEvSG_.uses_vcc, 0
	.set _ZN7rocprim17ROCPRIM_400000_NS6detail17trampoline_kernelINS0_14default_configENS1_35radix_sort_onesweep_config_selectorIlNS0_10empty_typeEEEZZNS1_29radix_sort_onesweep_iterationIS3_Lb0EPKlPlPS5_SB_mNS0_19identity_decomposerENS1_16block_id_wrapperIjLb1EEEEE10hipError_tT1_PNSt15iterator_traitsISG_E10value_typeET2_T3_PNSH_ISM_E10value_typeET4_T5_PSR_SS_PNS1_23onesweep_lookback_stateEbbT6_jjT7_P12ihipStream_tbENKUlT_T0_SG_SL_E_clISA_SA_SB_SB_EEDaSZ_S10_SG_SL_EUlSZ_E_NS1_11comp_targetILNS1_3genE2ELNS1_11target_archE906ELNS1_3gpuE6ELNS1_3repE0EEENS1_47radix_sort_onesweep_sort_config_static_selectorELNS0_4arch9wavefront6targetE0EEEvSG_.uses_flat_scratch, 0
	.set _ZN7rocprim17ROCPRIM_400000_NS6detail17trampoline_kernelINS0_14default_configENS1_35radix_sort_onesweep_config_selectorIlNS0_10empty_typeEEEZZNS1_29radix_sort_onesweep_iterationIS3_Lb0EPKlPlPS5_SB_mNS0_19identity_decomposerENS1_16block_id_wrapperIjLb1EEEEE10hipError_tT1_PNSt15iterator_traitsISG_E10value_typeET2_T3_PNSH_ISM_E10value_typeET4_T5_PSR_SS_PNS1_23onesweep_lookback_stateEbbT6_jjT7_P12ihipStream_tbENKUlT_T0_SG_SL_E_clISA_SA_SB_SB_EEDaSZ_S10_SG_SL_EUlSZ_E_NS1_11comp_targetILNS1_3genE2ELNS1_11target_archE906ELNS1_3gpuE6ELNS1_3repE0EEENS1_47radix_sort_onesweep_sort_config_static_selectorELNS0_4arch9wavefront6targetE0EEEvSG_.has_dyn_sized_stack, 0
	.set _ZN7rocprim17ROCPRIM_400000_NS6detail17trampoline_kernelINS0_14default_configENS1_35radix_sort_onesweep_config_selectorIlNS0_10empty_typeEEEZZNS1_29radix_sort_onesweep_iterationIS3_Lb0EPKlPlPS5_SB_mNS0_19identity_decomposerENS1_16block_id_wrapperIjLb1EEEEE10hipError_tT1_PNSt15iterator_traitsISG_E10value_typeET2_T3_PNSH_ISM_E10value_typeET4_T5_PSR_SS_PNS1_23onesweep_lookback_stateEbbT6_jjT7_P12ihipStream_tbENKUlT_T0_SG_SL_E_clISA_SA_SB_SB_EEDaSZ_S10_SG_SL_EUlSZ_E_NS1_11comp_targetILNS1_3genE2ELNS1_11target_archE906ELNS1_3gpuE6ELNS1_3repE0EEENS1_47radix_sort_onesweep_sort_config_static_selectorELNS0_4arch9wavefront6targetE0EEEvSG_.has_recursion, 0
	.set _ZN7rocprim17ROCPRIM_400000_NS6detail17trampoline_kernelINS0_14default_configENS1_35radix_sort_onesweep_config_selectorIlNS0_10empty_typeEEEZZNS1_29radix_sort_onesweep_iterationIS3_Lb0EPKlPlPS5_SB_mNS0_19identity_decomposerENS1_16block_id_wrapperIjLb1EEEEE10hipError_tT1_PNSt15iterator_traitsISG_E10value_typeET2_T3_PNSH_ISM_E10value_typeET4_T5_PSR_SS_PNS1_23onesweep_lookback_stateEbbT6_jjT7_P12ihipStream_tbENKUlT_T0_SG_SL_E_clISA_SA_SB_SB_EEDaSZ_S10_SG_SL_EUlSZ_E_NS1_11comp_targetILNS1_3genE2ELNS1_11target_archE906ELNS1_3gpuE6ELNS1_3repE0EEENS1_47radix_sort_onesweep_sort_config_static_selectorELNS0_4arch9wavefront6targetE0EEEvSG_.has_indirect_call, 0
	.section	.AMDGPU.csdata,"",@progbits
; Kernel info:
; codeLenInByte = 0
; TotalNumSgprs: 0
; NumVgprs: 0
; ScratchSize: 0
; MemoryBound: 0
; FloatMode: 240
; IeeeMode: 1
; LDSByteSize: 0 bytes/workgroup (compile time only)
; SGPRBlocks: 0
; VGPRBlocks: 0
; NumSGPRsForWavesPerEU: 1
; NumVGPRsForWavesPerEU: 1
; NamedBarCnt: 0
; Occupancy: 16
; WaveLimiterHint : 0
; COMPUTE_PGM_RSRC2:SCRATCH_EN: 0
; COMPUTE_PGM_RSRC2:USER_SGPR: 2
; COMPUTE_PGM_RSRC2:TRAP_HANDLER: 0
; COMPUTE_PGM_RSRC2:TGID_X_EN: 1
; COMPUTE_PGM_RSRC2:TGID_Y_EN: 0
; COMPUTE_PGM_RSRC2:TGID_Z_EN: 0
; COMPUTE_PGM_RSRC2:TIDIG_COMP_CNT: 0
	.section	.text._ZN7rocprim17ROCPRIM_400000_NS6detail17trampoline_kernelINS0_14default_configENS1_35radix_sort_onesweep_config_selectorIlNS0_10empty_typeEEEZZNS1_29radix_sort_onesweep_iterationIS3_Lb0EPKlPlPS5_SB_mNS0_19identity_decomposerENS1_16block_id_wrapperIjLb1EEEEE10hipError_tT1_PNSt15iterator_traitsISG_E10value_typeET2_T3_PNSH_ISM_E10value_typeET4_T5_PSR_SS_PNS1_23onesweep_lookback_stateEbbT6_jjT7_P12ihipStream_tbENKUlT_T0_SG_SL_E_clISA_SA_SB_SB_EEDaSZ_S10_SG_SL_EUlSZ_E_NS1_11comp_targetILNS1_3genE4ELNS1_11target_archE910ELNS1_3gpuE8ELNS1_3repE0EEENS1_47radix_sort_onesweep_sort_config_static_selectorELNS0_4arch9wavefront6targetE0EEEvSG_,"axG",@progbits,_ZN7rocprim17ROCPRIM_400000_NS6detail17trampoline_kernelINS0_14default_configENS1_35radix_sort_onesweep_config_selectorIlNS0_10empty_typeEEEZZNS1_29radix_sort_onesweep_iterationIS3_Lb0EPKlPlPS5_SB_mNS0_19identity_decomposerENS1_16block_id_wrapperIjLb1EEEEE10hipError_tT1_PNSt15iterator_traitsISG_E10value_typeET2_T3_PNSH_ISM_E10value_typeET4_T5_PSR_SS_PNS1_23onesweep_lookback_stateEbbT6_jjT7_P12ihipStream_tbENKUlT_T0_SG_SL_E_clISA_SA_SB_SB_EEDaSZ_S10_SG_SL_EUlSZ_E_NS1_11comp_targetILNS1_3genE4ELNS1_11target_archE910ELNS1_3gpuE8ELNS1_3repE0EEENS1_47radix_sort_onesweep_sort_config_static_selectorELNS0_4arch9wavefront6targetE0EEEvSG_,comdat
	.protected	_ZN7rocprim17ROCPRIM_400000_NS6detail17trampoline_kernelINS0_14default_configENS1_35radix_sort_onesweep_config_selectorIlNS0_10empty_typeEEEZZNS1_29radix_sort_onesweep_iterationIS3_Lb0EPKlPlPS5_SB_mNS0_19identity_decomposerENS1_16block_id_wrapperIjLb1EEEEE10hipError_tT1_PNSt15iterator_traitsISG_E10value_typeET2_T3_PNSH_ISM_E10value_typeET4_T5_PSR_SS_PNS1_23onesweep_lookback_stateEbbT6_jjT7_P12ihipStream_tbENKUlT_T0_SG_SL_E_clISA_SA_SB_SB_EEDaSZ_S10_SG_SL_EUlSZ_E_NS1_11comp_targetILNS1_3genE4ELNS1_11target_archE910ELNS1_3gpuE8ELNS1_3repE0EEENS1_47radix_sort_onesweep_sort_config_static_selectorELNS0_4arch9wavefront6targetE0EEEvSG_ ; -- Begin function _ZN7rocprim17ROCPRIM_400000_NS6detail17trampoline_kernelINS0_14default_configENS1_35radix_sort_onesweep_config_selectorIlNS0_10empty_typeEEEZZNS1_29radix_sort_onesweep_iterationIS3_Lb0EPKlPlPS5_SB_mNS0_19identity_decomposerENS1_16block_id_wrapperIjLb1EEEEE10hipError_tT1_PNSt15iterator_traitsISG_E10value_typeET2_T3_PNSH_ISM_E10value_typeET4_T5_PSR_SS_PNS1_23onesweep_lookback_stateEbbT6_jjT7_P12ihipStream_tbENKUlT_T0_SG_SL_E_clISA_SA_SB_SB_EEDaSZ_S10_SG_SL_EUlSZ_E_NS1_11comp_targetILNS1_3genE4ELNS1_11target_archE910ELNS1_3gpuE8ELNS1_3repE0EEENS1_47radix_sort_onesweep_sort_config_static_selectorELNS0_4arch9wavefront6targetE0EEEvSG_
	.globl	_ZN7rocprim17ROCPRIM_400000_NS6detail17trampoline_kernelINS0_14default_configENS1_35radix_sort_onesweep_config_selectorIlNS0_10empty_typeEEEZZNS1_29radix_sort_onesweep_iterationIS3_Lb0EPKlPlPS5_SB_mNS0_19identity_decomposerENS1_16block_id_wrapperIjLb1EEEEE10hipError_tT1_PNSt15iterator_traitsISG_E10value_typeET2_T3_PNSH_ISM_E10value_typeET4_T5_PSR_SS_PNS1_23onesweep_lookback_stateEbbT6_jjT7_P12ihipStream_tbENKUlT_T0_SG_SL_E_clISA_SA_SB_SB_EEDaSZ_S10_SG_SL_EUlSZ_E_NS1_11comp_targetILNS1_3genE4ELNS1_11target_archE910ELNS1_3gpuE8ELNS1_3repE0EEENS1_47radix_sort_onesweep_sort_config_static_selectorELNS0_4arch9wavefront6targetE0EEEvSG_
	.p2align	8
	.type	_ZN7rocprim17ROCPRIM_400000_NS6detail17trampoline_kernelINS0_14default_configENS1_35radix_sort_onesweep_config_selectorIlNS0_10empty_typeEEEZZNS1_29radix_sort_onesweep_iterationIS3_Lb0EPKlPlPS5_SB_mNS0_19identity_decomposerENS1_16block_id_wrapperIjLb1EEEEE10hipError_tT1_PNSt15iterator_traitsISG_E10value_typeET2_T3_PNSH_ISM_E10value_typeET4_T5_PSR_SS_PNS1_23onesweep_lookback_stateEbbT6_jjT7_P12ihipStream_tbENKUlT_T0_SG_SL_E_clISA_SA_SB_SB_EEDaSZ_S10_SG_SL_EUlSZ_E_NS1_11comp_targetILNS1_3genE4ELNS1_11target_archE910ELNS1_3gpuE8ELNS1_3repE0EEENS1_47radix_sort_onesweep_sort_config_static_selectorELNS0_4arch9wavefront6targetE0EEEvSG_,@function
_ZN7rocprim17ROCPRIM_400000_NS6detail17trampoline_kernelINS0_14default_configENS1_35radix_sort_onesweep_config_selectorIlNS0_10empty_typeEEEZZNS1_29radix_sort_onesweep_iterationIS3_Lb0EPKlPlPS5_SB_mNS0_19identity_decomposerENS1_16block_id_wrapperIjLb1EEEEE10hipError_tT1_PNSt15iterator_traitsISG_E10value_typeET2_T3_PNSH_ISM_E10value_typeET4_T5_PSR_SS_PNS1_23onesweep_lookback_stateEbbT6_jjT7_P12ihipStream_tbENKUlT_T0_SG_SL_E_clISA_SA_SB_SB_EEDaSZ_S10_SG_SL_EUlSZ_E_NS1_11comp_targetILNS1_3genE4ELNS1_11target_archE910ELNS1_3gpuE8ELNS1_3repE0EEENS1_47radix_sort_onesweep_sort_config_static_selectorELNS0_4arch9wavefront6targetE0EEEvSG_: ; @_ZN7rocprim17ROCPRIM_400000_NS6detail17trampoline_kernelINS0_14default_configENS1_35radix_sort_onesweep_config_selectorIlNS0_10empty_typeEEEZZNS1_29radix_sort_onesweep_iterationIS3_Lb0EPKlPlPS5_SB_mNS0_19identity_decomposerENS1_16block_id_wrapperIjLb1EEEEE10hipError_tT1_PNSt15iterator_traitsISG_E10value_typeET2_T3_PNSH_ISM_E10value_typeET4_T5_PSR_SS_PNS1_23onesweep_lookback_stateEbbT6_jjT7_P12ihipStream_tbENKUlT_T0_SG_SL_E_clISA_SA_SB_SB_EEDaSZ_S10_SG_SL_EUlSZ_E_NS1_11comp_targetILNS1_3genE4ELNS1_11target_archE910ELNS1_3gpuE8ELNS1_3repE0EEENS1_47radix_sort_onesweep_sort_config_static_selectorELNS0_4arch9wavefront6targetE0EEEvSG_
; %bb.0:
	.section	.rodata,"a",@progbits
	.p2align	6, 0x0
	.amdhsa_kernel _ZN7rocprim17ROCPRIM_400000_NS6detail17trampoline_kernelINS0_14default_configENS1_35radix_sort_onesweep_config_selectorIlNS0_10empty_typeEEEZZNS1_29radix_sort_onesweep_iterationIS3_Lb0EPKlPlPS5_SB_mNS0_19identity_decomposerENS1_16block_id_wrapperIjLb1EEEEE10hipError_tT1_PNSt15iterator_traitsISG_E10value_typeET2_T3_PNSH_ISM_E10value_typeET4_T5_PSR_SS_PNS1_23onesweep_lookback_stateEbbT6_jjT7_P12ihipStream_tbENKUlT_T0_SG_SL_E_clISA_SA_SB_SB_EEDaSZ_S10_SG_SL_EUlSZ_E_NS1_11comp_targetILNS1_3genE4ELNS1_11target_archE910ELNS1_3gpuE8ELNS1_3repE0EEENS1_47radix_sort_onesweep_sort_config_static_selectorELNS0_4arch9wavefront6targetE0EEEvSG_
		.amdhsa_group_segment_fixed_size 0
		.amdhsa_private_segment_fixed_size 0
		.amdhsa_kernarg_size 88
		.amdhsa_user_sgpr_count 2
		.amdhsa_user_sgpr_dispatch_ptr 0
		.amdhsa_user_sgpr_queue_ptr 0
		.amdhsa_user_sgpr_kernarg_segment_ptr 1
		.amdhsa_user_sgpr_dispatch_id 0
		.amdhsa_user_sgpr_kernarg_preload_length 0
		.amdhsa_user_sgpr_kernarg_preload_offset 0
		.amdhsa_user_sgpr_private_segment_size 0
		.amdhsa_wavefront_size32 1
		.amdhsa_uses_dynamic_stack 0
		.amdhsa_enable_private_segment 0
		.amdhsa_system_sgpr_workgroup_id_x 1
		.amdhsa_system_sgpr_workgroup_id_y 0
		.amdhsa_system_sgpr_workgroup_id_z 0
		.amdhsa_system_sgpr_workgroup_info 0
		.amdhsa_system_vgpr_workitem_id 0
		.amdhsa_next_free_vgpr 1
		.amdhsa_next_free_sgpr 1
		.amdhsa_named_barrier_count 0
		.amdhsa_reserve_vcc 0
		.amdhsa_float_round_mode_32 0
		.amdhsa_float_round_mode_16_64 0
		.amdhsa_float_denorm_mode_32 3
		.amdhsa_float_denorm_mode_16_64 3
		.amdhsa_fp16_overflow 0
		.amdhsa_memory_ordered 1
		.amdhsa_forward_progress 1
		.amdhsa_inst_pref_size 0
		.amdhsa_round_robin_scheduling 0
		.amdhsa_exception_fp_ieee_invalid_op 0
		.amdhsa_exception_fp_denorm_src 0
		.amdhsa_exception_fp_ieee_div_zero 0
		.amdhsa_exception_fp_ieee_overflow 0
		.amdhsa_exception_fp_ieee_underflow 0
		.amdhsa_exception_fp_ieee_inexact 0
		.amdhsa_exception_int_div_zero 0
	.end_amdhsa_kernel
	.section	.text._ZN7rocprim17ROCPRIM_400000_NS6detail17trampoline_kernelINS0_14default_configENS1_35radix_sort_onesweep_config_selectorIlNS0_10empty_typeEEEZZNS1_29radix_sort_onesweep_iterationIS3_Lb0EPKlPlPS5_SB_mNS0_19identity_decomposerENS1_16block_id_wrapperIjLb1EEEEE10hipError_tT1_PNSt15iterator_traitsISG_E10value_typeET2_T3_PNSH_ISM_E10value_typeET4_T5_PSR_SS_PNS1_23onesweep_lookback_stateEbbT6_jjT7_P12ihipStream_tbENKUlT_T0_SG_SL_E_clISA_SA_SB_SB_EEDaSZ_S10_SG_SL_EUlSZ_E_NS1_11comp_targetILNS1_3genE4ELNS1_11target_archE910ELNS1_3gpuE8ELNS1_3repE0EEENS1_47radix_sort_onesweep_sort_config_static_selectorELNS0_4arch9wavefront6targetE0EEEvSG_,"axG",@progbits,_ZN7rocprim17ROCPRIM_400000_NS6detail17trampoline_kernelINS0_14default_configENS1_35radix_sort_onesweep_config_selectorIlNS0_10empty_typeEEEZZNS1_29radix_sort_onesweep_iterationIS3_Lb0EPKlPlPS5_SB_mNS0_19identity_decomposerENS1_16block_id_wrapperIjLb1EEEEE10hipError_tT1_PNSt15iterator_traitsISG_E10value_typeET2_T3_PNSH_ISM_E10value_typeET4_T5_PSR_SS_PNS1_23onesweep_lookback_stateEbbT6_jjT7_P12ihipStream_tbENKUlT_T0_SG_SL_E_clISA_SA_SB_SB_EEDaSZ_S10_SG_SL_EUlSZ_E_NS1_11comp_targetILNS1_3genE4ELNS1_11target_archE910ELNS1_3gpuE8ELNS1_3repE0EEENS1_47radix_sort_onesweep_sort_config_static_selectorELNS0_4arch9wavefront6targetE0EEEvSG_,comdat
.Lfunc_end1220:
	.size	_ZN7rocprim17ROCPRIM_400000_NS6detail17trampoline_kernelINS0_14default_configENS1_35radix_sort_onesweep_config_selectorIlNS0_10empty_typeEEEZZNS1_29radix_sort_onesweep_iterationIS3_Lb0EPKlPlPS5_SB_mNS0_19identity_decomposerENS1_16block_id_wrapperIjLb1EEEEE10hipError_tT1_PNSt15iterator_traitsISG_E10value_typeET2_T3_PNSH_ISM_E10value_typeET4_T5_PSR_SS_PNS1_23onesweep_lookback_stateEbbT6_jjT7_P12ihipStream_tbENKUlT_T0_SG_SL_E_clISA_SA_SB_SB_EEDaSZ_S10_SG_SL_EUlSZ_E_NS1_11comp_targetILNS1_3genE4ELNS1_11target_archE910ELNS1_3gpuE8ELNS1_3repE0EEENS1_47radix_sort_onesweep_sort_config_static_selectorELNS0_4arch9wavefront6targetE0EEEvSG_, .Lfunc_end1220-_ZN7rocprim17ROCPRIM_400000_NS6detail17trampoline_kernelINS0_14default_configENS1_35radix_sort_onesweep_config_selectorIlNS0_10empty_typeEEEZZNS1_29radix_sort_onesweep_iterationIS3_Lb0EPKlPlPS5_SB_mNS0_19identity_decomposerENS1_16block_id_wrapperIjLb1EEEEE10hipError_tT1_PNSt15iterator_traitsISG_E10value_typeET2_T3_PNSH_ISM_E10value_typeET4_T5_PSR_SS_PNS1_23onesweep_lookback_stateEbbT6_jjT7_P12ihipStream_tbENKUlT_T0_SG_SL_E_clISA_SA_SB_SB_EEDaSZ_S10_SG_SL_EUlSZ_E_NS1_11comp_targetILNS1_3genE4ELNS1_11target_archE910ELNS1_3gpuE8ELNS1_3repE0EEENS1_47radix_sort_onesweep_sort_config_static_selectorELNS0_4arch9wavefront6targetE0EEEvSG_
                                        ; -- End function
	.set _ZN7rocprim17ROCPRIM_400000_NS6detail17trampoline_kernelINS0_14default_configENS1_35radix_sort_onesweep_config_selectorIlNS0_10empty_typeEEEZZNS1_29radix_sort_onesweep_iterationIS3_Lb0EPKlPlPS5_SB_mNS0_19identity_decomposerENS1_16block_id_wrapperIjLb1EEEEE10hipError_tT1_PNSt15iterator_traitsISG_E10value_typeET2_T3_PNSH_ISM_E10value_typeET4_T5_PSR_SS_PNS1_23onesweep_lookback_stateEbbT6_jjT7_P12ihipStream_tbENKUlT_T0_SG_SL_E_clISA_SA_SB_SB_EEDaSZ_S10_SG_SL_EUlSZ_E_NS1_11comp_targetILNS1_3genE4ELNS1_11target_archE910ELNS1_3gpuE8ELNS1_3repE0EEENS1_47radix_sort_onesweep_sort_config_static_selectorELNS0_4arch9wavefront6targetE0EEEvSG_.num_vgpr, 0
	.set _ZN7rocprim17ROCPRIM_400000_NS6detail17trampoline_kernelINS0_14default_configENS1_35radix_sort_onesweep_config_selectorIlNS0_10empty_typeEEEZZNS1_29radix_sort_onesweep_iterationIS3_Lb0EPKlPlPS5_SB_mNS0_19identity_decomposerENS1_16block_id_wrapperIjLb1EEEEE10hipError_tT1_PNSt15iterator_traitsISG_E10value_typeET2_T3_PNSH_ISM_E10value_typeET4_T5_PSR_SS_PNS1_23onesweep_lookback_stateEbbT6_jjT7_P12ihipStream_tbENKUlT_T0_SG_SL_E_clISA_SA_SB_SB_EEDaSZ_S10_SG_SL_EUlSZ_E_NS1_11comp_targetILNS1_3genE4ELNS1_11target_archE910ELNS1_3gpuE8ELNS1_3repE0EEENS1_47radix_sort_onesweep_sort_config_static_selectorELNS0_4arch9wavefront6targetE0EEEvSG_.num_agpr, 0
	.set _ZN7rocprim17ROCPRIM_400000_NS6detail17trampoline_kernelINS0_14default_configENS1_35radix_sort_onesweep_config_selectorIlNS0_10empty_typeEEEZZNS1_29radix_sort_onesweep_iterationIS3_Lb0EPKlPlPS5_SB_mNS0_19identity_decomposerENS1_16block_id_wrapperIjLb1EEEEE10hipError_tT1_PNSt15iterator_traitsISG_E10value_typeET2_T3_PNSH_ISM_E10value_typeET4_T5_PSR_SS_PNS1_23onesweep_lookback_stateEbbT6_jjT7_P12ihipStream_tbENKUlT_T0_SG_SL_E_clISA_SA_SB_SB_EEDaSZ_S10_SG_SL_EUlSZ_E_NS1_11comp_targetILNS1_3genE4ELNS1_11target_archE910ELNS1_3gpuE8ELNS1_3repE0EEENS1_47radix_sort_onesweep_sort_config_static_selectorELNS0_4arch9wavefront6targetE0EEEvSG_.numbered_sgpr, 0
	.set _ZN7rocprim17ROCPRIM_400000_NS6detail17trampoline_kernelINS0_14default_configENS1_35radix_sort_onesweep_config_selectorIlNS0_10empty_typeEEEZZNS1_29radix_sort_onesweep_iterationIS3_Lb0EPKlPlPS5_SB_mNS0_19identity_decomposerENS1_16block_id_wrapperIjLb1EEEEE10hipError_tT1_PNSt15iterator_traitsISG_E10value_typeET2_T3_PNSH_ISM_E10value_typeET4_T5_PSR_SS_PNS1_23onesweep_lookback_stateEbbT6_jjT7_P12ihipStream_tbENKUlT_T0_SG_SL_E_clISA_SA_SB_SB_EEDaSZ_S10_SG_SL_EUlSZ_E_NS1_11comp_targetILNS1_3genE4ELNS1_11target_archE910ELNS1_3gpuE8ELNS1_3repE0EEENS1_47radix_sort_onesweep_sort_config_static_selectorELNS0_4arch9wavefront6targetE0EEEvSG_.num_named_barrier, 0
	.set _ZN7rocprim17ROCPRIM_400000_NS6detail17trampoline_kernelINS0_14default_configENS1_35radix_sort_onesweep_config_selectorIlNS0_10empty_typeEEEZZNS1_29radix_sort_onesweep_iterationIS3_Lb0EPKlPlPS5_SB_mNS0_19identity_decomposerENS1_16block_id_wrapperIjLb1EEEEE10hipError_tT1_PNSt15iterator_traitsISG_E10value_typeET2_T3_PNSH_ISM_E10value_typeET4_T5_PSR_SS_PNS1_23onesweep_lookback_stateEbbT6_jjT7_P12ihipStream_tbENKUlT_T0_SG_SL_E_clISA_SA_SB_SB_EEDaSZ_S10_SG_SL_EUlSZ_E_NS1_11comp_targetILNS1_3genE4ELNS1_11target_archE910ELNS1_3gpuE8ELNS1_3repE0EEENS1_47radix_sort_onesweep_sort_config_static_selectorELNS0_4arch9wavefront6targetE0EEEvSG_.private_seg_size, 0
	.set _ZN7rocprim17ROCPRIM_400000_NS6detail17trampoline_kernelINS0_14default_configENS1_35radix_sort_onesweep_config_selectorIlNS0_10empty_typeEEEZZNS1_29radix_sort_onesweep_iterationIS3_Lb0EPKlPlPS5_SB_mNS0_19identity_decomposerENS1_16block_id_wrapperIjLb1EEEEE10hipError_tT1_PNSt15iterator_traitsISG_E10value_typeET2_T3_PNSH_ISM_E10value_typeET4_T5_PSR_SS_PNS1_23onesweep_lookback_stateEbbT6_jjT7_P12ihipStream_tbENKUlT_T0_SG_SL_E_clISA_SA_SB_SB_EEDaSZ_S10_SG_SL_EUlSZ_E_NS1_11comp_targetILNS1_3genE4ELNS1_11target_archE910ELNS1_3gpuE8ELNS1_3repE0EEENS1_47radix_sort_onesweep_sort_config_static_selectorELNS0_4arch9wavefront6targetE0EEEvSG_.uses_vcc, 0
	.set _ZN7rocprim17ROCPRIM_400000_NS6detail17trampoline_kernelINS0_14default_configENS1_35radix_sort_onesweep_config_selectorIlNS0_10empty_typeEEEZZNS1_29radix_sort_onesweep_iterationIS3_Lb0EPKlPlPS5_SB_mNS0_19identity_decomposerENS1_16block_id_wrapperIjLb1EEEEE10hipError_tT1_PNSt15iterator_traitsISG_E10value_typeET2_T3_PNSH_ISM_E10value_typeET4_T5_PSR_SS_PNS1_23onesweep_lookback_stateEbbT6_jjT7_P12ihipStream_tbENKUlT_T0_SG_SL_E_clISA_SA_SB_SB_EEDaSZ_S10_SG_SL_EUlSZ_E_NS1_11comp_targetILNS1_3genE4ELNS1_11target_archE910ELNS1_3gpuE8ELNS1_3repE0EEENS1_47radix_sort_onesweep_sort_config_static_selectorELNS0_4arch9wavefront6targetE0EEEvSG_.uses_flat_scratch, 0
	.set _ZN7rocprim17ROCPRIM_400000_NS6detail17trampoline_kernelINS0_14default_configENS1_35radix_sort_onesweep_config_selectorIlNS0_10empty_typeEEEZZNS1_29radix_sort_onesweep_iterationIS3_Lb0EPKlPlPS5_SB_mNS0_19identity_decomposerENS1_16block_id_wrapperIjLb1EEEEE10hipError_tT1_PNSt15iterator_traitsISG_E10value_typeET2_T3_PNSH_ISM_E10value_typeET4_T5_PSR_SS_PNS1_23onesweep_lookback_stateEbbT6_jjT7_P12ihipStream_tbENKUlT_T0_SG_SL_E_clISA_SA_SB_SB_EEDaSZ_S10_SG_SL_EUlSZ_E_NS1_11comp_targetILNS1_3genE4ELNS1_11target_archE910ELNS1_3gpuE8ELNS1_3repE0EEENS1_47radix_sort_onesweep_sort_config_static_selectorELNS0_4arch9wavefront6targetE0EEEvSG_.has_dyn_sized_stack, 0
	.set _ZN7rocprim17ROCPRIM_400000_NS6detail17trampoline_kernelINS0_14default_configENS1_35radix_sort_onesweep_config_selectorIlNS0_10empty_typeEEEZZNS1_29radix_sort_onesweep_iterationIS3_Lb0EPKlPlPS5_SB_mNS0_19identity_decomposerENS1_16block_id_wrapperIjLb1EEEEE10hipError_tT1_PNSt15iterator_traitsISG_E10value_typeET2_T3_PNSH_ISM_E10value_typeET4_T5_PSR_SS_PNS1_23onesweep_lookback_stateEbbT6_jjT7_P12ihipStream_tbENKUlT_T0_SG_SL_E_clISA_SA_SB_SB_EEDaSZ_S10_SG_SL_EUlSZ_E_NS1_11comp_targetILNS1_3genE4ELNS1_11target_archE910ELNS1_3gpuE8ELNS1_3repE0EEENS1_47radix_sort_onesweep_sort_config_static_selectorELNS0_4arch9wavefront6targetE0EEEvSG_.has_recursion, 0
	.set _ZN7rocprim17ROCPRIM_400000_NS6detail17trampoline_kernelINS0_14default_configENS1_35radix_sort_onesweep_config_selectorIlNS0_10empty_typeEEEZZNS1_29radix_sort_onesweep_iterationIS3_Lb0EPKlPlPS5_SB_mNS0_19identity_decomposerENS1_16block_id_wrapperIjLb1EEEEE10hipError_tT1_PNSt15iterator_traitsISG_E10value_typeET2_T3_PNSH_ISM_E10value_typeET4_T5_PSR_SS_PNS1_23onesweep_lookback_stateEbbT6_jjT7_P12ihipStream_tbENKUlT_T0_SG_SL_E_clISA_SA_SB_SB_EEDaSZ_S10_SG_SL_EUlSZ_E_NS1_11comp_targetILNS1_3genE4ELNS1_11target_archE910ELNS1_3gpuE8ELNS1_3repE0EEENS1_47radix_sort_onesweep_sort_config_static_selectorELNS0_4arch9wavefront6targetE0EEEvSG_.has_indirect_call, 0
	.section	.AMDGPU.csdata,"",@progbits
; Kernel info:
; codeLenInByte = 0
; TotalNumSgprs: 0
; NumVgprs: 0
; ScratchSize: 0
; MemoryBound: 0
; FloatMode: 240
; IeeeMode: 1
; LDSByteSize: 0 bytes/workgroup (compile time only)
; SGPRBlocks: 0
; VGPRBlocks: 0
; NumSGPRsForWavesPerEU: 1
; NumVGPRsForWavesPerEU: 1
; NamedBarCnt: 0
; Occupancy: 16
; WaveLimiterHint : 0
; COMPUTE_PGM_RSRC2:SCRATCH_EN: 0
; COMPUTE_PGM_RSRC2:USER_SGPR: 2
; COMPUTE_PGM_RSRC2:TRAP_HANDLER: 0
; COMPUTE_PGM_RSRC2:TGID_X_EN: 1
; COMPUTE_PGM_RSRC2:TGID_Y_EN: 0
; COMPUTE_PGM_RSRC2:TGID_Z_EN: 0
; COMPUTE_PGM_RSRC2:TIDIG_COMP_CNT: 0
	.section	.text._ZN7rocprim17ROCPRIM_400000_NS6detail17trampoline_kernelINS0_14default_configENS1_35radix_sort_onesweep_config_selectorIlNS0_10empty_typeEEEZZNS1_29radix_sort_onesweep_iterationIS3_Lb0EPKlPlPS5_SB_mNS0_19identity_decomposerENS1_16block_id_wrapperIjLb1EEEEE10hipError_tT1_PNSt15iterator_traitsISG_E10value_typeET2_T3_PNSH_ISM_E10value_typeET4_T5_PSR_SS_PNS1_23onesweep_lookback_stateEbbT6_jjT7_P12ihipStream_tbENKUlT_T0_SG_SL_E_clISA_SA_SB_SB_EEDaSZ_S10_SG_SL_EUlSZ_E_NS1_11comp_targetILNS1_3genE3ELNS1_11target_archE908ELNS1_3gpuE7ELNS1_3repE0EEENS1_47radix_sort_onesweep_sort_config_static_selectorELNS0_4arch9wavefront6targetE0EEEvSG_,"axG",@progbits,_ZN7rocprim17ROCPRIM_400000_NS6detail17trampoline_kernelINS0_14default_configENS1_35radix_sort_onesweep_config_selectorIlNS0_10empty_typeEEEZZNS1_29radix_sort_onesweep_iterationIS3_Lb0EPKlPlPS5_SB_mNS0_19identity_decomposerENS1_16block_id_wrapperIjLb1EEEEE10hipError_tT1_PNSt15iterator_traitsISG_E10value_typeET2_T3_PNSH_ISM_E10value_typeET4_T5_PSR_SS_PNS1_23onesweep_lookback_stateEbbT6_jjT7_P12ihipStream_tbENKUlT_T0_SG_SL_E_clISA_SA_SB_SB_EEDaSZ_S10_SG_SL_EUlSZ_E_NS1_11comp_targetILNS1_3genE3ELNS1_11target_archE908ELNS1_3gpuE7ELNS1_3repE0EEENS1_47radix_sort_onesweep_sort_config_static_selectorELNS0_4arch9wavefront6targetE0EEEvSG_,comdat
	.protected	_ZN7rocprim17ROCPRIM_400000_NS6detail17trampoline_kernelINS0_14default_configENS1_35radix_sort_onesweep_config_selectorIlNS0_10empty_typeEEEZZNS1_29radix_sort_onesweep_iterationIS3_Lb0EPKlPlPS5_SB_mNS0_19identity_decomposerENS1_16block_id_wrapperIjLb1EEEEE10hipError_tT1_PNSt15iterator_traitsISG_E10value_typeET2_T3_PNSH_ISM_E10value_typeET4_T5_PSR_SS_PNS1_23onesweep_lookback_stateEbbT6_jjT7_P12ihipStream_tbENKUlT_T0_SG_SL_E_clISA_SA_SB_SB_EEDaSZ_S10_SG_SL_EUlSZ_E_NS1_11comp_targetILNS1_3genE3ELNS1_11target_archE908ELNS1_3gpuE7ELNS1_3repE0EEENS1_47radix_sort_onesweep_sort_config_static_selectorELNS0_4arch9wavefront6targetE0EEEvSG_ ; -- Begin function _ZN7rocprim17ROCPRIM_400000_NS6detail17trampoline_kernelINS0_14default_configENS1_35radix_sort_onesweep_config_selectorIlNS0_10empty_typeEEEZZNS1_29radix_sort_onesweep_iterationIS3_Lb0EPKlPlPS5_SB_mNS0_19identity_decomposerENS1_16block_id_wrapperIjLb1EEEEE10hipError_tT1_PNSt15iterator_traitsISG_E10value_typeET2_T3_PNSH_ISM_E10value_typeET4_T5_PSR_SS_PNS1_23onesweep_lookback_stateEbbT6_jjT7_P12ihipStream_tbENKUlT_T0_SG_SL_E_clISA_SA_SB_SB_EEDaSZ_S10_SG_SL_EUlSZ_E_NS1_11comp_targetILNS1_3genE3ELNS1_11target_archE908ELNS1_3gpuE7ELNS1_3repE0EEENS1_47radix_sort_onesweep_sort_config_static_selectorELNS0_4arch9wavefront6targetE0EEEvSG_
	.globl	_ZN7rocprim17ROCPRIM_400000_NS6detail17trampoline_kernelINS0_14default_configENS1_35radix_sort_onesweep_config_selectorIlNS0_10empty_typeEEEZZNS1_29radix_sort_onesweep_iterationIS3_Lb0EPKlPlPS5_SB_mNS0_19identity_decomposerENS1_16block_id_wrapperIjLb1EEEEE10hipError_tT1_PNSt15iterator_traitsISG_E10value_typeET2_T3_PNSH_ISM_E10value_typeET4_T5_PSR_SS_PNS1_23onesweep_lookback_stateEbbT6_jjT7_P12ihipStream_tbENKUlT_T0_SG_SL_E_clISA_SA_SB_SB_EEDaSZ_S10_SG_SL_EUlSZ_E_NS1_11comp_targetILNS1_3genE3ELNS1_11target_archE908ELNS1_3gpuE7ELNS1_3repE0EEENS1_47radix_sort_onesweep_sort_config_static_selectorELNS0_4arch9wavefront6targetE0EEEvSG_
	.p2align	8
	.type	_ZN7rocprim17ROCPRIM_400000_NS6detail17trampoline_kernelINS0_14default_configENS1_35radix_sort_onesweep_config_selectorIlNS0_10empty_typeEEEZZNS1_29radix_sort_onesweep_iterationIS3_Lb0EPKlPlPS5_SB_mNS0_19identity_decomposerENS1_16block_id_wrapperIjLb1EEEEE10hipError_tT1_PNSt15iterator_traitsISG_E10value_typeET2_T3_PNSH_ISM_E10value_typeET4_T5_PSR_SS_PNS1_23onesweep_lookback_stateEbbT6_jjT7_P12ihipStream_tbENKUlT_T0_SG_SL_E_clISA_SA_SB_SB_EEDaSZ_S10_SG_SL_EUlSZ_E_NS1_11comp_targetILNS1_3genE3ELNS1_11target_archE908ELNS1_3gpuE7ELNS1_3repE0EEENS1_47radix_sort_onesweep_sort_config_static_selectorELNS0_4arch9wavefront6targetE0EEEvSG_,@function
_ZN7rocprim17ROCPRIM_400000_NS6detail17trampoline_kernelINS0_14default_configENS1_35radix_sort_onesweep_config_selectorIlNS0_10empty_typeEEEZZNS1_29radix_sort_onesweep_iterationIS3_Lb0EPKlPlPS5_SB_mNS0_19identity_decomposerENS1_16block_id_wrapperIjLb1EEEEE10hipError_tT1_PNSt15iterator_traitsISG_E10value_typeET2_T3_PNSH_ISM_E10value_typeET4_T5_PSR_SS_PNS1_23onesweep_lookback_stateEbbT6_jjT7_P12ihipStream_tbENKUlT_T0_SG_SL_E_clISA_SA_SB_SB_EEDaSZ_S10_SG_SL_EUlSZ_E_NS1_11comp_targetILNS1_3genE3ELNS1_11target_archE908ELNS1_3gpuE7ELNS1_3repE0EEENS1_47radix_sort_onesweep_sort_config_static_selectorELNS0_4arch9wavefront6targetE0EEEvSG_: ; @_ZN7rocprim17ROCPRIM_400000_NS6detail17trampoline_kernelINS0_14default_configENS1_35radix_sort_onesweep_config_selectorIlNS0_10empty_typeEEEZZNS1_29radix_sort_onesweep_iterationIS3_Lb0EPKlPlPS5_SB_mNS0_19identity_decomposerENS1_16block_id_wrapperIjLb1EEEEE10hipError_tT1_PNSt15iterator_traitsISG_E10value_typeET2_T3_PNSH_ISM_E10value_typeET4_T5_PSR_SS_PNS1_23onesweep_lookback_stateEbbT6_jjT7_P12ihipStream_tbENKUlT_T0_SG_SL_E_clISA_SA_SB_SB_EEDaSZ_S10_SG_SL_EUlSZ_E_NS1_11comp_targetILNS1_3genE3ELNS1_11target_archE908ELNS1_3gpuE7ELNS1_3repE0EEENS1_47radix_sort_onesweep_sort_config_static_selectorELNS0_4arch9wavefront6targetE0EEEvSG_
; %bb.0:
	.section	.rodata,"a",@progbits
	.p2align	6, 0x0
	.amdhsa_kernel _ZN7rocprim17ROCPRIM_400000_NS6detail17trampoline_kernelINS0_14default_configENS1_35radix_sort_onesweep_config_selectorIlNS0_10empty_typeEEEZZNS1_29radix_sort_onesweep_iterationIS3_Lb0EPKlPlPS5_SB_mNS0_19identity_decomposerENS1_16block_id_wrapperIjLb1EEEEE10hipError_tT1_PNSt15iterator_traitsISG_E10value_typeET2_T3_PNSH_ISM_E10value_typeET4_T5_PSR_SS_PNS1_23onesweep_lookback_stateEbbT6_jjT7_P12ihipStream_tbENKUlT_T0_SG_SL_E_clISA_SA_SB_SB_EEDaSZ_S10_SG_SL_EUlSZ_E_NS1_11comp_targetILNS1_3genE3ELNS1_11target_archE908ELNS1_3gpuE7ELNS1_3repE0EEENS1_47radix_sort_onesweep_sort_config_static_selectorELNS0_4arch9wavefront6targetE0EEEvSG_
		.amdhsa_group_segment_fixed_size 0
		.amdhsa_private_segment_fixed_size 0
		.amdhsa_kernarg_size 88
		.amdhsa_user_sgpr_count 2
		.amdhsa_user_sgpr_dispatch_ptr 0
		.amdhsa_user_sgpr_queue_ptr 0
		.amdhsa_user_sgpr_kernarg_segment_ptr 1
		.amdhsa_user_sgpr_dispatch_id 0
		.amdhsa_user_sgpr_kernarg_preload_length 0
		.amdhsa_user_sgpr_kernarg_preload_offset 0
		.amdhsa_user_sgpr_private_segment_size 0
		.amdhsa_wavefront_size32 1
		.amdhsa_uses_dynamic_stack 0
		.amdhsa_enable_private_segment 0
		.amdhsa_system_sgpr_workgroup_id_x 1
		.amdhsa_system_sgpr_workgroup_id_y 0
		.amdhsa_system_sgpr_workgroup_id_z 0
		.amdhsa_system_sgpr_workgroup_info 0
		.amdhsa_system_vgpr_workitem_id 0
		.amdhsa_next_free_vgpr 1
		.amdhsa_next_free_sgpr 1
		.amdhsa_named_barrier_count 0
		.amdhsa_reserve_vcc 0
		.amdhsa_float_round_mode_32 0
		.amdhsa_float_round_mode_16_64 0
		.amdhsa_float_denorm_mode_32 3
		.amdhsa_float_denorm_mode_16_64 3
		.amdhsa_fp16_overflow 0
		.amdhsa_memory_ordered 1
		.amdhsa_forward_progress 1
		.amdhsa_inst_pref_size 0
		.amdhsa_round_robin_scheduling 0
		.amdhsa_exception_fp_ieee_invalid_op 0
		.amdhsa_exception_fp_denorm_src 0
		.amdhsa_exception_fp_ieee_div_zero 0
		.amdhsa_exception_fp_ieee_overflow 0
		.amdhsa_exception_fp_ieee_underflow 0
		.amdhsa_exception_fp_ieee_inexact 0
		.amdhsa_exception_int_div_zero 0
	.end_amdhsa_kernel
	.section	.text._ZN7rocprim17ROCPRIM_400000_NS6detail17trampoline_kernelINS0_14default_configENS1_35radix_sort_onesweep_config_selectorIlNS0_10empty_typeEEEZZNS1_29radix_sort_onesweep_iterationIS3_Lb0EPKlPlPS5_SB_mNS0_19identity_decomposerENS1_16block_id_wrapperIjLb1EEEEE10hipError_tT1_PNSt15iterator_traitsISG_E10value_typeET2_T3_PNSH_ISM_E10value_typeET4_T5_PSR_SS_PNS1_23onesweep_lookback_stateEbbT6_jjT7_P12ihipStream_tbENKUlT_T0_SG_SL_E_clISA_SA_SB_SB_EEDaSZ_S10_SG_SL_EUlSZ_E_NS1_11comp_targetILNS1_3genE3ELNS1_11target_archE908ELNS1_3gpuE7ELNS1_3repE0EEENS1_47radix_sort_onesweep_sort_config_static_selectorELNS0_4arch9wavefront6targetE0EEEvSG_,"axG",@progbits,_ZN7rocprim17ROCPRIM_400000_NS6detail17trampoline_kernelINS0_14default_configENS1_35radix_sort_onesweep_config_selectorIlNS0_10empty_typeEEEZZNS1_29radix_sort_onesweep_iterationIS3_Lb0EPKlPlPS5_SB_mNS0_19identity_decomposerENS1_16block_id_wrapperIjLb1EEEEE10hipError_tT1_PNSt15iterator_traitsISG_E10value_typeET2_T3_PNSH_ISM_E10value_typeET4_T5_PSR_SS_PNS1_23onesweep_lookback_stateEbbT6_jjT7_P12ihipStream_tbENKUlT_T0_SG_SL_E_clISA_SA_SB_SB_EEDaSZ_S10_SG_SL_EUlSZ_E_NS1_11comp_targetILNS1_3genE3ELNS1_11target_archE908ELNS1_3gpuE7ELNS1_3repE0EEENS1_47radix_sort_onesweep_sort_config_static_selectorELNS0_4arch9wavefront6targetE0EEEvSG_,comdat
.Lfunc_end1221:
	.size	_ZN7rocprim17ROCPRIM_400000_NS6detail17trampoline_kernelINS0_14default_configENS1_35radix_sort_onesweep_config_selectorIlNS0_10empty_typeEEEZZNS1_29radix_sort_onesweep_iterationIS3_Lb0EPKlPlPS5_SB_mNS0_19identity_decomposerENS1_16block_id_wrapperIjLb1EEEEE10hipError_tT1_PNSt15iterator_traitsISG_E10value_typeET2_T3_PNSH_ISM_E10value_typeET4_T5_PSR_SS_PNS1_23onesweep_lookback_stateEbbT6_jjT7_P12ihipStream_tbENKUlT_T0_SG_SL_E_clISA_SA_SB_SB_EEDaSZ_S10_SG_SL_EUlSZ_E_NS1_11comp_targetILNS1_3genE3ELNS1_11target_archE908ELNS1_3gpuE7ELNS1_3repE0EEENS1_47radix_sort_onesweep_sort_config_static_selectorELNS0_4arch9wavefront6targetE0EEEvSG_, .Lfunc_end1221-_ZN7rocprim17ROCPRIM_400000_NS6detail17trampoline_kernelINS0_14default_configENS1_35radix_sort_onesweep_config_selectorIlNS0_10empty_typeEEEZZNS1_29radix_sort_onesweep_iterationIS3_Lb0EPKlPlPS5_SB_mNS0_19identity_decomposerENS1_16block_id_wrapperIjLb1EEEEE10hipError_tT1_PNSt15iterator_traitsISG_E10value_typeET2_T3_PNSH_ISM_E10value_typeET4_T5_PSR_SS_PNS1_23onesweep_lookback_stateEbbT6_jjT7_P12ihipStream_tbENKUlT_T0_SG_SL_E_clISA_SA_SB_SB_EEDaSZ_S10_SG_SL_EUlSZ_E_NS1_11comp_targetILNS1_3genE3ELNS1_11target_archE908ELNS1_3gpuE7ELNS1_3repE0EEENS1_47radix_sort_onesweep_sort_config_static_selectorELNS0_4arch9wavefront6targetE0EEEvSG_
                                        ; -- End function
	.set _ZN7rocprim17ROCPRIM_400000_NS6detail17trampoline_kernelINS0_14default_configENS1_35radix_sort_onesweep_config_selectorIlNS0_10empty_typeEEEZZNS1_29radix_sort_onesweep_iterationIS3_Lb0EPKlPlPS5_SB_mNS0_19identity_decomposerENS1_16block_id_wrapperIjLb1EEEEE10hipError_tT1_PNSt15iterator_traitsISG_E10value_typeET2_T3_PNSH_ISM_E10value_typeET4_T5_PSR_SS_PNS1_23onesweep_lookback_stateEbbT6_jjT7_P12ihipStream_tbENKUlT_T0_SG_SL_E_clISA_SA_SB_SB_EEDaSZ_S10_SG_SL_EUlSZ_E_NS1_11comp_targetILNS1_3genE3ELNS1_11target_archE908ELNS1_3gpuE7ELNS1_3repE0EEENS1_47radix_sort_onesweep_sort_config_static_selectorELNS0_4arch9wavefront6targetE0EEEvSG_.num_vgpr, 0
	.set _ZN7rocprim17ROCPRIM_400000_NS6detail17trampoline_kernelINS0_14default_configENS1_35radix_sort_onesweep_config_selectorIlNS0_10empty_typeEEEZZNS1_29radix_sort_onesweep_iterationIS3_Lb0EPKlPlPS5_SB_mNS0_19identity_decomposerENS1_16block_id_wrapperIjLb1EEEEE10hipError_tT1_PNSt15iterator_traitsISG_E10value_typeET2_T3_PNSH_ISM_E10value_typeET4_T5_PSR_SS_PNS1_23onesweep_lookback_stateEbbT6_jjT7_P12ihipStream_tbENKUlT_T0_SG_SL_E_clISA_SA_SB_SB_EEDaSZ_S10_SG_SL_EUlSZ_E_NS1_11comp_targetILNS1_3genE3ELNS1_11target_archE908ELNS1_3gpuE7ELNS1_3repE0EEENS1_47radix_sort_onesweep_sort_config_static_selectorELNS0_4arch9wavefront6targetE0EEEvSG_.num_agpr, 0
	.set _ZN7rocprim17ROCPRIM_400000_NS6detail17trampoline_kernelINS0_14default_configENS1_35radix_sort_onesweep_config_selectorIlNS0_10empty_typeEEEZZNS1_29radix_sort_onesweep_iterationIS3_Lb0EPKlPlPS5_SB_mNS0_19identity_decomposerENS1_16block_id_wrapperIjLb1EEEEE10hipError_tT1_PNSt15iterator_traitsISG_E10value_typeET2_T3_PNSH_ISM_E10value_typeET4_T5_PSR_SS_PNS1_23onesweep_lookback_stateEbbT6_jjT7_P12ihipStream_tbENKUlT_T0_SG_SL_E_clISA_SA_SB_SB_EEDaSZ_S10_SG_SL_EUlSZ_E_NS1_11comp_targetILNS1_3genE3ELNS1_11target_archE908ELNS1_3gpuE7ELNS1_3repE0EEENS1_47radix_sort_onesweep_sort_config_static_selectorELNS0_4arch9wavefront6targetE0EEEvSG_.numbered_sgpr, 0
	.set _ZN7rocprim17ROCPRIM_400000_NS6detail17trampoline_kernelINS0_14default_configENS1_35radix_sort_onesweep_config_selectorIlNS0_10empty_typeEEEZZNS1_29radix_sort_onesweep_iterationIS3_Lb0EPKlPlPS5_SB_mNS0_19identity_decomposerENS1_16block_id_wrapperIjLb1EEEEE10hipError_tT1_PNSt15iterator_traitsISG_E10value_typeET2_T3_PNSH_ISM_E10value_typeET4_T5_PSR_SS_PNS1_23onesweep_lookback_stateEbbT6_jjT7_P12ihipStream_tbENKUlT_T0_SG_SL_E_clISA_SA_SB_SB_EEDaSZ_S10_SG_SL_EUlSZ_E_NS1_11comp_targetILNS1_3genE3ELNS1_11target_archE908ELNS1_3gpuE7ELNS1_3repE0EEENS1_47radix_sort_onesweep_sort_config_static_selectorELNS0_4arch9wavefront6targetE0EEEvSG_.num_named_barrier, 0
	.set _ZN7rocprim17ROCPRIM_400000_NS6detail17trampoline_kernelINS0_14default_configENS1_35radix_sort_onesweep_config_selectorIlNS0_10empty_typeEEEZZNS1_29radix_sort_onesweep_iterationIS3_Lb0EPKlPlPS5_SB_mNS0_19identity_decomposerENS1_16block_id_wrapperIjLb1EEEEE10hipError_tT1_PNSt15iterator_traitsISG_E10value_typeET2_T3_PNSH_ISM_E10value_typeET4_T5_PSR_SS_PNS1_23onesweep_lookback_stateEbbT6_jjT7_P12ihipStream_tbENKUlT_T0_SG_SL_E_clISA_SA_SB_SB_EEDaSZ_S10_SG_SL_EUlSZ_E_NS1_11comp_targetILNS1_3genE3ELNS1_11target_archE908ELNS1_3gpuE7ELNS1_3repE0EEENS1_47radix_sort_onesweep_sort_config_static_selectorELNS0_4arch9wavefront6targetE0EEEvSG_.private_seg_size, 0
	.set _ZN7rocprim17ROCPRIM_400000_NS6detail17trampoline_kernelINS0_14default_configENS1_35radix_sort_onesweep_config_selectorIlNS0_10empty_typeEEEZZNS1_29radix_sort_onesweep_iterationIS3_Lb0EPKlPlPS5_SB_mNS0_19identity_decomposerENS1_16block_id_wrapperIjLb1EEEEE10hipError_tT1_PNSt15iterator_traitsISG_E10value_typeET2_T3_PNSH_ISM_E10value_typeET4_T5_PSR_SS_PNS1_23onesweep_lookback_stateEbbT6_jjT7_P12ihipStream_tbENKUlT_T0_SG_SL_E_clISA_SA_SB_SB_EEDaSZ_S10_SG_SL_EUlSZ_E_NS1_11comp_targetILNS1_3genE3ELNS1_11target_archE908ELNS1_3gpuE7ELNS1_3repE0EEENS1_47radix_sort_onesweep_sort_config_static_selectorELNS0_4arch9wavefront6targetE0EEEvSG_.uses_vcc, 0
	.set _ZN7rocprim17ROCPRIM_400000_NS6detail17trampoline_kernelINS0_14default_configENS1_35radix_sort_onesweep_config_selectorIlNS0_10empty_typeEEEZZNS1_29radix_sort_onesweep_iterationIS3_Lb0EPKlPlPS5_SB_mNS0_19identity_decomposerENS1_16block_id_wrapperIjLb1EEEEE10hipError_tT1_PNSt15iterator_traitsISG_E10value_typeET2_T3_PNSH_ISM_E10value_typeET4_T5_PSR_SS_PNS1_23onesweep_lookback_stateEbbT6_jjT7_P12ihipStream_tbENKUlT_T0_SG_SL_E_clISA_SA_SB_SB_EEDaSZ_S10_SG_SL_EUlSZ_E_NS1_11comp_targetILNS1_3genE3ELNS1_11target_archE908ELNS1_3gpuE7ELNS1_3repE0EEENS1_47radix_sort_onesweep_sort_config_static_selectorELNS0_4arch9wavefront6targetE0EEEvSG_.uses_flat_scratch, 0
	.set _ZN7rocprim17ROCPRIM_400000_NS6detail17trampoline_kernelINS0_14default_configENS1_35radix_sort_onesweep_config_selectorIlNS0_10empty_typeEEEZZNS1_29radix_sort_onesweep_iterationIS3_Lb0EPKlPlPS5_SB_mNS0_19identity_decomposerENS1_16block_id_wrapperIjLb1EEEEE10hipError_tT1_PNSt15iterator_traitsISG_E10value_typeET2_T3_PNSH_ISM_E10value_typeET4_T5_PSR_SS_PNS1_23onesweep_lookback_stateEbbT6_jjT7_P12ihipStream_tbENKUlT_T0_SG_SL_E_clISA_SA_SB_SB_EEDaSZ_S10_SG_SL_EUlSZ_E_NS1_11comp_targetILNS1_3genE3ELNS1_11target_archE908ELNS1_3gpuE7ELNS1_3repE0EEENS1_47radix_sort_onesweep_sort_config_static_selectorELNS0_4arch9wavefront6targetE0EEEvSG_.has_dyn_sized_stack, 0
	.set _ZN7rocprim17ROCPRIM_400000_NS6detail17trampoline_kernelINS0_14default_configENS1_35radix_sort_onesweep_config_selectorIlNS0_10empty_typeEEEZZNS1_29radix_sort_onesweep_iterationIS3_Lb0EPKlPlPS5_SB_mNS0_19identity_decomposerENS1_16block_id_wrapperIjLb1EEEEE10hipError_tT1_PNSt15iterator_traitsISG_E10value_typeET2_T3_PNSH_ISM_E10value_typeET4_T5_PSR_SS_PNS1_23onesweep_lookback_stateEbbT6_jjT7_P12ihipStream_tbENKUlT_T0_SG_SL_E_clISA_SA_SB_SB_EEDaSZ_S10_SG_SL_EUlSZ_E_NS1_11comp_targetILNS1_3genE3ELNS1_11target_archE908ELNS1_3gpuE7ELNS1_3repE0EEENS1_47radix_sort_onesweep_sort_config_static_selectorELNS0_4arch9wavefront6targetE0EEEvSG_.has_recursion, 0
	.set _ZN7rocprim17ROCPRIM_400000_NS6detail17trampoline_kernelINS0_14default_configENS1_35radix_sort_onesweep_config_selectorIlNS0_10empty_typeEEEZZNS1_29radix_sort_onesweep_iterationIS3_Lb0EPKlPlPS5_SB_mNS0_19identity_decomposerENS1_16block_id_wrapperIjLb1EEEEE10hipError_tT1_PNSt15iterator_traitsISG_E10value_typeET2_T3_PNSH_ISM_E10value_typeET4_T5_PSR_SS_PNS1_23onesweep_lookback_stateEbbT6_jjT7_P12ihipStream_tbENKUlT_T0_SG_SL_E_clISA_SA_SB_SB_EEDaSZ_S10_SG_SL_EUlSZ_E_NS1_11comp_targetILNS1_3genE3ELNS1_11target_archE908ELNS1_3gpuE7ELNS1_3repE0EEENS1_47radix_sort_onesweep_sort_config_static_selectorELNS0_4arch9wavefront6targetE0EEEvSG_.has_indirect_call, 0
	.section	.AMDGPU.csdata,"",@progbits
; Kernel info:
; codeLenInByte = 0
; TotalNumSgprs: 0
; NumVgprs: 0
; ScratchSize: 0
; MemoryBound: 0
; FloatMode: 240
; IeeeMode: 1
; LDSByteSize: 0 bytes/workgroup (compile time only)
; SGPRBlocks: 0
; VGPRBlocks: 0
; NumSGPRsForWavesPerEU: 1
; NumVGPRsForWavesPerEU: 1
; NamedBarCnt: 0
; Occupancy: 16
; WaveLimiterHint : 0
; COMPUTE_PGM_RSRC2:SCRATCH_EN: 0
; COMPUTE_PGM_RSRC2:USER_SGPR: 2
; COMPUTE_PGM_RSRC2:TRAP_HANDLER: 0
; COMPUTE_PGM_RSRC2:TGID_X_EN: 1
; COMPUTE_PGM_RSRC2:TGID_Y_EN: 0
; COMPUTE_PGM_RSRC2:TGID_Z_EN: 0
; COMPUTE_PGM_RSRC2:TIDIG_COMP_CNT: 0
	.section	.text._ZN7rocprim17ROCPRIM_400000_NS6detail17trampoline_kernelINS0_14default_configENS1_35radix_sort_onesweep_config_selectorIlNS0_10empty_typeEEEZZNS1_29radix_sort_onesweep_iterationIS3_Lb0EPKlPlPS5_SB_mNS0_19identity_decomposerENS1_16block_id_wrapperIjLb1EEEEE10hipError_tT1_PNSt15iterator_traitsISG_E10value_typeET2_T3_PNSH_ISM_E10value_typeET4_T5_PSR_SS_PNS1_23onesweep_lookback_stateEbbT6_jjT7_P12ihipStream_tbENKUlT_T0_SG_SL_E_clISA_SA_SB_SB_EEDaSZ_S10_SG_SL_EUlSZ_E_NS1_11comp_targetILNS1_3genE10ELNS1_11target_archE1201ELNS1_3gpuE5ELNS1_3repE0EEENS1_47radix_sort_onesweep_sort_config_static_selectorELNS0_4arch9wavefront6targetE0EEEvSG_,"axG",@progbits,_ZN7rocprim17ROCPRIM_400000_NS6detail17trampoline_kernelINS0_14default_configENS1_35radix_sort_onesweep_config_selectorIlNS0_10empty_typeEEEZZNS1_29radix_sort_onesweep_iterationIS3_Lb0EPKlPlPS5_SB_mNS0_19identity_decomposerENS1_16block_id_wrapperIjLb1EEEEE10hipError_tT1_PNSt15iterator_traitsISG_E10value_typeET2_T3_PNSH_ISM_E10value_typeET4_T5_PSR_SS_PNS1_23onesweep_lookback_stateEbbT6_jjT7_P12ihipStream_tbENKUlT_T0_SG_SL_E_clISA_SA_SB_SB_EEDaSZ_S10_SG_SL_EUlSZ_E_NS1_11comp_targetILNS1_3genE10ELNS1_11target_archE1201ELNS1_3gpuE5ELNS1_3repE0EEENS1_47radix_sort_onesweep_sort_config_static_selectorELNS0_4arch9wavefront6targetE0EEEvSG_,comdat
	.protected	_ZN7rocprim17ROCPRIM_400000_NS6detail17trampoline_kernelINS0_14default_configENS1_35radix_sort_onesweep_config_selectorIlNS0_10empty_typeEEEZZNS1_29radix_sort_onesweep_iterationIS3_Lb0EPKlPlPS5_SB_mNS0_19identity_decomposerENS1_16block_id_wrapperIjLb1EEEEE10hipError_tT1_PNSt15iterator_traitsISG_E10value_typeET2_T3_PNSH_ISM_E10value_typeET4_T5_PSR_SS_PNS1_23onesweep_lookback_stateEbbT6_jjT7_P12ihipStream_tbENKUlT_T0_SG_SL_E_clISA_SA_SB_SB_EEDaSZ_S10_SG_SL_EUlSZ_E_NS1_11comp_targetILNS1_3genE10ELNS1_11target_archE1201ELNS1_3gpuE5ELNS1_3repE0EEENS1_47radix_sort_onesweep_sort_config_static_selectorELNS0_4arch9wavefront6targetE0EEEvSG_ ; -- Begin function _ZN7rocprim17ROCPRIM_400000_NS6detail17trampoline_kernelINS0_14default_configENS1_35radix_sort_onesweep_config_selectorIlNS0_10empty_typeEEEZZNS1_29radix_sort_onesweep_iterationIS3_Lb0EPKlPlPS5_SB_mNS0_19identity_decomposerENS1_16block_id_wrapperIjLb1EEEEE10hipError_tT1_PNSt15iterator_traitsISG_E10value_typeET2_T3_PNSH_ISM_E10value_typeET4_T5_PSR_SS_PNS1_23onesweep_lookback_stateEbbT6_jjT7_P12ihipStream_tbENKUlT_T0_SG_SL_E_clISA_SA_SB_SB_EEDaSZ_S10_SG_SL_EUlSZ_E_NS1_11comp_targetILNS1_3genE10ELNS1_11target_archE1201ELNS1_3gpuE5ELNS1_3repE0EEENS1_47radix_sort_onesweep_sort_config_static_selectorELNS0_4arch9wavefront6targetE0EEEvSG_
	.globl	_ZN7rocprim17ROCPRIM_400000_NS6detail17trampoline_kernelINS0_14default_configENS1_35radix_sort_onesweep_config_selectorIlNS0_10empty_typeEEEZZNS1_29radix_sort_onesweep_iterationIS3_Lb0EPKlPlPS5_SB_mNS0_19identity_decomposerENS1_16block_id_wrapperIjLb1EEEEE10hipError_tT1_PNSt15iterator_traitsISG_E10value_typeET2_T3_PNSH_ISM_E10value_typeET4_T5_PSR_SS_PNS1_23onesweep_lookback_stateEbbT6_jjT7_P12ihipStream_tbENKUlT_T0_SG_SL_E_clISA_SA_SB_SB_EEDaSZ_S10_SG_SL_EUlSZ_E_NS1_11comp_targetILNS1_3genE10ELNS1_11target_archE1201ELNS1_3gpuE5ELNS1_3repE0EEENS1_47radix_sort_onesweep_sort_config_static_selectorELNS0_4arch9wavefront6targetE0EEEvSG_
	.p2align	8
	.type	_ZN7rocprim17ROCPRIM_400000_NS6detail17trampoline_kernelINS0_14default_configENS1_35radix_sort_onesweep_config_selectorIlNS0_10empty_typeEEEZZNS1_29radix_sort_onesweep_iterationIS3_Lb0EPKlPlPS5_SB_mNS0_19identity_decomposerENS1_16block_id_wrapperIjLb1EEEEE10hipError_tT1_PNSt15iterator_traitsISG_E10value_typeET2_T3_PNSH_ISM_E10value_typeET4_T5_PSR_SS_PNS1_23onesweep_lookback_stateEbbT6_jjT7_P12ihipStream_tbENKUlT_T0_SG_SL_E_clISA_SA_SB_SB_EEDaSZ_S10_SG_SL_EUlSZ_E_NS1_11comp_targetILNS1_3genE10ELNS1_11target_archE1201ELNS1_3gpuE5ELNS1_3repE0EEENS1_47radix_sort_onesweep_sort_config_static_selectorELNS0_4arch9wavefront6targetE0EEEvSG_,@function
_ZN7rocprim17ROCPRIM_400000_NS6detail17trampoline_kernelINS0_14default_configENS1_35radix_sort_onesweep_config_selectorIlNS0_10empty_typeEEEZZNS1_29radix_sort_onesweep_iterationIS3_Lb0EPKlPlPS5_SB_mNS0_19identity_decomposerENS1_16block_id_wrapperIjLb1EEEEE10hipError_tT1_PNSt15iterator_traitsISG_E10value_typeET2_T3_PNSH_ISM_E10value_typeET4_T5_PSR_SS_PNS1_23onesweep_lookback_stateEbbT6_jjT7_P12ihipStream_tbENKUlT_T0_SG_SL_E_clISA_SA_SB_SB_EEDaSZ_S10_SG_SL_EUlSZ_E_NS1_11comp_targetILNS1_3genE10ELNS1_11target_archE1201ELNS1_3gpuE5ELNS1_3repE0EEENS1_47radix_sort_onesweep_sort_config_static_selectorELNS0_4arch9wavefront6targetE0EEEvSG_: ; @_ZN7rocprim17ROCPRIM_400000_NS6detail17trampoline_kernelINS0_14default_configENS1_35radix_sort_onesweep_config_selectorIlNS0_10empty_typeEEEZZNS1_29radix_sort_onesweep_iterationIS3_Lb0EPKlPlPS5_SB_mNS0_19identity_decomposerENS1_16block_id_wrapperIjLb1EEEEE10hipError_tT1_PNSt15iterator_traitsISG_E10value_typeET2_T3_PNSH_ISM_E10value_typeET4_T5_PSR_SS_PNS1_23onesweep_lookback_stateEbbT6_jjT7_P12ihipStream_tbENKUlT_T0_SG_SL_E_clISA_SA_SB_SB_EEDaSZ_S10_SG_SL_EUlSZ_E_NS1_11comp_targetILNS1_3genE10ELNS1_11target_archE1201ELNS1_3gpuE5ELNS1_3repE0EEENS1_47radix_sort_onesweep_sort_config_static_selectorELNS0_4arch9wavefront6targetE0EEEvSG_
; %bb.0:
	.section	.rodata,"a",@progbits
	.p2align	6, 0x0
	.amdhsa_kernel _ZN7rocprim17ROCPRIM_400000_NS6detail17trampoline_kernelINS0_14default_configENS1_35radix_sort_onesweep_config_selectorIlNS0_10empty_typeEEEZZNS1_29radix_sort_onesweep_iterationIS3_Lb0EPKlPlPS5_SB_mNS0_19identity_decomposerENS1_16block_id_wrapperIjLb1EEEEE10hipError_tT1_PNSt15iterator_traitsISG_E10value_typeET2_T3_PNSH_ISM_E10value_typeET4_T5_PSR_SS_PNS1_23onesweep_lookback_stateEbbT6_jjT7_P12ihipStream_tbENKUlT_T0_SG_SL_E_clISA_SA_SB_SB_EEDaSZ_S10_SG_SL_EUlSZ_E_NS1_11comp_targetILNS1_3genE10ELNS1_11target_archE1201ELNS1_3gpuE5ELNS1_3repE0EEENS1_47radix_sort_onesweep_sort_config_static_selectorELNS0_4arch9wavefront6targetE0EEEvSG_
		.amdhsa_group_segment_fixed_size 0
		.amdhsa_private_segment_fixed_size 0
		.amdhsa_kernarg_size 88
		.amdhsa_user_sgpr_count 2
		.amdhsa_user_sgpr_dispatch_ptr 0
		.amdhsa_user_sgpr_queue_ptr 0
		.amdhsa_user_sgpr_kernarg_segment_ptr 1
		.amdhsa_user_sgpr_dispatch_id 0
		.amdhsa_user_sgpr_kernarg_preload_length 0
		.amdhsa_user_sgpr_kernarg_preload_offset 0
		.amdhsa_user_sgpr_private_segment_size 0
		.amdhsa_wavefront_size32 1
		.amdhsa_uses_dynamic_stack 0
		.amdhsa_enable_private_segment 0
		.amdhsa_system_sgpr_workgroup_id_x 1
		.amdhsa_system_sgpr_workgroup_id_y 0
		.amdhsa_system_sgpr_workgroup_id_z 0
		.amdhsa_system_sgpr_workgroup_info 0
		.amdhsa_system_vgpr_workitem_id 0
		.amdhsa_next_free_vgpr 1
		.amdhsa_next_free_sgpr 1
		.amdhsa_named_barrier_count 0
		.amdhsa_reserve_vcc 0
		.amdhsa_float_round_mode_32 0
		.amdhsa_float_round_mode_16_64 0
		.amdhsa_float_denorm_mode_32 3
		.amdhsa_float_denorm_mode_16_64 3
		.amdhsa_fp16_overflow 0
		.amdhsa_memory_ordered 1
		.amdhsa_forward_progress 1
		.amdhsa_inst_pref_size 0
		.amdhsa_round_robin_scheduling 0
		.amdhsa_exception_fp_ieee_invalid_op 0
		.amdhsa_exception_fp_denorm_src 0
		.amdhsa_exception_fp_ieee_div_zero 0
		.amdhsa_exception_fp_ieee_overflow 0
		.amdhsa_exception_fp_ieee_underflow 0
		.amdhsa_exception_fp_ieee_inexact 0
		.amdhsa_exception_int_div_zero 0
	.end_amdhsa_kernel
	.section	.text._ZN7rocprim17ROCPRIM_400000_NS6detail17trampoline_kernelINS0_14default_configENS1_35radix_sort_onesweep_config_selectorIlNS0_10empty_typeEEEZZNS1_29radix_sort_onesweep_iterationIS3_Lb0EPKlPlPS5_SB_mNS0_19identity_decomposerENS1_16block_id_wrapperIjLb1EEEEE10hipError_tT1_PNSt15iterator_traitsISG_E10value_typeET2_T3_PNSH_ISM_E10value_typeET4_T5_PSR_SS_PNS1_23onesweep_lookback_stateEbbT6_jjT7_P12ihipStream_tbENKUlT_T0_SG_SL_E_clISA_SA_SB_SB_EEDaSZ_S10_SG_SL_EUlSZ_E_NS1_11comp_targetILNS1_3genE10ELNS1_11target_archE1201ELNS1_3gpuE5ELNS1_3repE0EEENS1_47radix_sort_onesweep_sort_config_static_selectorELNS0_4arch9wavefront6targetE0EEEvSG_,"axG",@progbits,_ZN7rocprim17ROCPRIM_400000_NS6detail17trampoline_kernelINS0_14default_configENS1_35radix_sort_onesweep_config_selectorIlNS0_10empty_typeEEEZZNS1_29radix_sort_onesweep_iterationIS3_Lb0EPKlPlPS5_SB_mNS0_19identity_decomposerENS1_16block_id_wrapperIjLb1EEEEE10hipError_tT1_PNSt15iterator_traitsISG_E10value_typeET2_T3_PNSH_ISM_E10value_typeET4_T5_PSR_SS_PNS1_23onesweep_lookback_stateEbbT6_jjT7_P12ihipStream_tbENKUlT_T0_SG_SL_E_clISA_SA_SB_SB_EEDaSZ_S10_SG_SL_EUlSZ_E_NS1_11comp_targetILNS1_3genE10ELNS1_11target_archE1201ELNS1_3gpuE5ELNS1_3repE0EEENS1_47radix_sort_onesweep_sort_config_static_selectorELNS0_4arch9wavefront6targetE0EEEvSG_,comdat
.Lfunc_end1222:
	.size	_ZN7rocprim17ROCPRIM_400000_NS6detail17trampoline_kernelINS0_14default_configENS1_35radix_sort_onesweep_config_selectorIlNS0_10empty_typeEEEZZNS1_29radix_sort_onesweep_iterationIS3_Lb0EPKlPlPS5_SB_mNS0_19identity_decomposerENS1_16block_id_wrapperIjLb1EEEEE10hipError_tT1_PNSt15iterator_traitsISG_E10value_typeET2_T3_PNSH_ISM_E10value_typeET4_T5_PSR_SS_PNS1_23onesweep_lookback_stateEbbT6_jjT7_P12ihipStream_tbENKUlT_T0_SG_SL_E_clISA_SA_SB_SB_EEDaSZ_S10_SG_SL_EUlSZ_E_NS1_11comp_targetILNS1_3genE10ELNS1_11target_archE1201ELNS1_3gpuE5ELNS1_3repE0EEENS1_47radix_sort_onesweep_sort_config_static_selectorELNS0_4arch9wavefront6targetE0EEEvSG_, .Lfunc_end1222-_ZN7rocprim17ROCPRIM_400000_NS6detail17trampoline_kernelINS0_14default_configENS1_35radix_sort_onesweep_config_selectorIlNS0_10empty_typeEEEZZNS1_29radix_sort_onesweep_iterationIS3_Lb0EPKlPlPS5_SB_mNS0_19identity_decomposerENS1_16block_id_wrapperIjLb1EEEEE10hipError_tT1_PNSt15iterator_traitsISG_E10value_typeET2_T3_PNSH_ISM_E10value_typeET4_T5_PSR_SS_PNS1_23onesweep_lookback_stateEbbT6_jjT7_P12ihipStream_tbENKUlT_T0_SG_SL_E_clISA_SA_SB_SB_EEDaSZ_S10_SG_SL_EUlSZ_E_NS1_11comp_targetILNS1_3genE10ELNS1_11target_archE1201ELNS1_3gpuE5ELNS1_3repE0EEENS1_47radix_sort_onesweep_sort_config_static_selectorELNS0_4arch9wavefront6targetE0EEEvSG_
                                        ; -- End function
	.set _ZN7rocprim17ROCPRIM_400000_NS6detail17trampoline_kernelINS0_14default_configENS1_35radix_sort_onesweep_config_selectorIlNS0_10empty_typeEEEZZNS1_29radix_sort_onesweep_iterationIS3_Lb0EPKlPlPS5_SB_mNS0_19identity_decomposerENS1_16block_id_wrapperIjLb1EEEEE10hipError_tT1_PNSt15iterator_traitsISG_E10value_typeET2_T3_PNSH_ISM_E10value_typeET4_T5_PSR_SS_PNS1_23onesweep_lookback_stateEbbT6_jjT7_P12ihipStream_tbENKUlT_T0_SG_SL_E_clISA_SA_SB_SB_EEDaSZ_S10_SG_SL_EUlSZ_E_NS1_11comp_targetILNS1_3genE10ELNS1_11target_archE1201ELNS1_3gpuE5ELNS1_3repE0EEENS1_47radix_sort_onesweep_sort_config_static_selectorELNS0_4arch9wavefront6targetE0EEEvSG_.num_vgpr, 0
	.set _ZN7rocprim17ROCPRIM_400000_NS6detail17trampoline_kernelINS0_14default_configENS1_35radix_sort_onesweep_config_selectorIlNS0_10empty_typeEEEZZNS1_29radix_sort_onesweep_iterationIS3_Lb0EPKlPlPS5_SB_mNS0_19identity_decomposerENS1_16block_id_wrapperIjLb1EEEEE10hipError_tT1_PNSt15iterator_traitsISG_E10value_typeET2_T3_PNSH_ISM_E10value_typeET4_T5_PSR_SS_PNS1_23onesweep_lookback_stateEbbT6_jjT7_P12ihipStream_tbENKUlT_T0_SG_SL_E_clISA_SA_SB_SB_EEDaSZ_S10_SG_SL_EUlSZ_E_NS1_11comp_targetILNS1_3genE10ELNS1_11target_archE1201ELNS1_3gpuE5ELNS1_3repE0EEENS1_47radix_sort_onesweep_sort_config_static_selectorELNS0_4arch9wavefront6targetE0EEEvSG_.num_agpr, 0
	.set _ZN7rocprim17ROCPRIM_400000_NS6detail17trampoline_kernelINS0_14default_configENS1_35radix_sort_onesweep_config_selectorIlNS0_10empty_typeEEEZZNS1_29radix_sort_onesweep_iterationIS3_Lb0EPKlPlPS5_SB_mNS0_19identity_decomposerENS1_16block_id_wrapperIjLb1EEEEE10hipError_tT1_PNSt15iterator_traitsISG_E10value_typeET2_T3_PNSH_ISM_E10value_typeET4_T5_PSR_SS_PNS1_23onesweep_lookback_stateEbbT6_jjT7_P12ihipStream_tbENKUlT_T0_SG_SL_E_clISA_SA_SB_SB_EEDaSZ_S10_SG_SL_EUlSZ_E_NS1_11comp_targetILNS1_3genE10ELNS1_11target_archE1201ELNS1_3gpuE5ELNS1_3repE0EEENS1_47radix_sort_onesweep_sort_config_static_selectorELNS0_4arch9wavefront6targetE0EEEvSG_.numbered_sgpr, 0
	.set _ZN7rocprim17ROCPRIM_400000_NS6detail17trampoline_kernelINS0_14default_configENS1_35radix_sort_onesweep_config_selectorIlNS0_10empty_typeEEEZZNS1_29radix_sort_onesweep_iterationIS3_Lb0EPKlPlPS5_SB_mNS0_19identity_decomposerENS1_16block_id_wrapperIjLb1EEEEE10hipError_tT1_PNSt15iterator_traitsISG_E10value_typeET2_T3_PNSH_ISM_E10value_typeET4_T5_PSR_SS_PNS1_23onesweep_lookback_stateEbbT6_jjT7_P12ihipStream_tbENKUlT_T0_SG_SL_E_clISA_SA_SB_SB_EEDaSZ_S10_SG_SL_EUlSZ_E_NS1_11comp_targetILNS1_3genE10ELNS1_11target_archE1201ELNS1_3gpuE5ELNS1_3repE0EEENS1_47radix_sort_onesweep_sort_config_static_selectorELNS0_4arch9wavefront6targetE0EEEvSG_.num_named_barrier, 0
	.set _ZN7rocprim17ROCPRIM_400000_NS6detail17trampoline_kernelINS0_14default_configENS1_35radix_sort_onesweep_config_selectorIlNS0_10empty_typeEEEZZNS1_29radix_sort_onesweep_iterationIS3_Lb0EPKlPlPS5_SB_mNS0_19identity_decomposerENS1_16block_id_wrapperIjLb1EEEEE10hipError_tT1_PNSt15iterator_traitsISG_E10value_typeET2_T3_PNSH_ISM_E10value_typeET4_T5_PSR_SS_PNS1_23onesweep_lookback_stateEbbT6_jjT7_P12ihipStream_tbENKUlT_T0_SG_SL_E_clISA_SA_SB_SB_EEDaSZ_S10_SG_SL_EUlSZ_E_NS1_11comp_targetILNS1_3genE10ELNS1_11target_archE1201ELNS1_3gpuE5ELNS1_3repE0EEENS1_47radix_sort_onesweep_sort_config_static_selectorELNS0_4arch9wavefront6targetE0EEEvSG_.private_seg_size, 0
	.set _ZN7rocprim17ROCPRIM_400000_NS6detail17trampoline_kernelINS0_14default_configENS1_35radix_sort_onesweep_config_selectorIlNS0_10empty_typeEEEZZNS1_29radix_sort_onesweep_iterationIS3_Lb0EPKlPlPS5_SB_mNS0_19identity_decomposerENS1_16block_id_wrapperIjLb1EEEEE10hipError_tT1_PNSt15iterator_traitsISG_E10value_typeET2_T3_PNSH_ISM_E10value_typeET4_T5_PSR_SS_PNS1_23onesweep_lookback_stateEbbT6_jjT7_P12ihipStream_tbENKUlT_T0_SG_SL_E_clISA_SA_SB_SB_EEDaSZ_S10_SG_SL_EUlSZ_E_NS1_11comp_targetILNS1_3genE10ELNS1_11target_archE1201ELNS1_3gpuE5ELNS1_3repE0EEENS1_47radix_sort_onesweep_sort_config_static_selectorELNS0_4arch9wavefront6targetE0EEEvSG_.uses_vcc, 0
	.set _ZN7rocprim17ROCPRIM_400000_NS6detail17trampoline_kernelINS0_14default_configENS1_35radix_sort_onesweep_config_selectorIlNS0_10empty_typeEEEZZNS1_29radix_sort_onesweep_iterationIS3_Lb0EPKlPlPS5_SB_mNS0_19identity_decomposerENS1_16block_id_wrapperIjLb1EEEEE10hipError_tT1_PNSt15iterator_traitsISG_E10value_typeET2_T3_PNSH_ISM_E10value_typeET4_T5_PSR_SS_PNS1_23onesweep_lookback_stateEbbT6_jjT7_P12ihipStream_tbENKUlT_T0_SG_SL_E_clISA_SA_SB_SB_EEDaSZ_S10_SG_SL_EUlSZ_E_NS1_11comp_targetILNS1_3genE10ELNS1_11target_archE1201ELNS1_3gpuE5ELNS1_3repE0EEENS1_47radix_sort_onesweep_sort_config_static_selectorELNS0_4arch9wavefront6targetE0EEEvSG_.uses_flat_scratch, 0
	.set _ZN7rocprim17ROCPRIM_400000_NS6detail17trampoline_kernelINS0_14default_configENS1_35radix_sort_onesweep_config_selectorIlNS0_10empty_typeEEEZZNS1_29radix_sort_onesweep_iterationIS3_Lb0EPKlPlPS5_SB_mNS0_19identity_decomposerENS1_16block_id_wrapperIjLb1EEEEE10hipError_tT1_PNSt15iterator_traitsISG_E10value_typeET2_T3_PNSH_ISM_E10value_typeET4_T5_PSR_SS_PNS1_23onesweep_lookback_stateEbbT6_jjT7_P12ihipStream_tbENKUlT_T0_SG_SL_E_clISA_SA_SB_SB_EEDaSZ_S10_SG_SL_EUlSZ_E_NS1_11comp_targetILNS1_3genE10ELNS1_11target_archE1201ELNS1_3gpuE5ELNS1_3repE0EEENS1_47radix_sort_onesweep_sort_config_static_selectorELNS0_4arch9wavefront6targetE0EEEvSG_.has_dyn_sized_stack, 0
	.set _ZN7rocprim17ROCPRIM_400000_NS6detail17trampoline_kernelINS0_14default_configENS1_35radix_sort_onesweep_config_selectorIlNS0_10empty_typeEEEZZNS1_29radix_sort_onesweep_iterationIS3_Lb0EPKlPlPS5_SB_mNS0_19identity_decomposerENS1_16block_id_wrapperIjLb1EEEEE10hipError_tT1_PNSt15iterator_traitsISG_E10value_typeET2_T3_PNSH_ISM_E10value_typeET4_T5_PSR_SS_PNS1_23onesweep_lookback_stateEbbT6_jjT7_P12ihipStream_tbENKUlT_T0_SG_SL_E_clISA_SA_SB_SB_EEDaSZ_S10_SG_SL_EUlSZ_E_NS1_11comp_targetILNS1_3genE10ELNS1_11target_archE1201ELNS1_3gpuE5ELNS1_3repE0EEENS1_47radix_sort_onesweep_sort_config_static_selectorELNS0_4arch9wavefront6targetE0EEEvSG_.has_recursion, 0
	.set _ZN7rocprim17ROCPRIM_400000_NS6detail17trampoline_kernelINS0_14default_configENS1_35radix_sort_onesweep_config_selectorIlNS0_10empty_typeEEEZZNS1_29radix_sort_onesweep_iterationIS3_Lb0EPKlPlPS5_SB_mNS0_19identity_decomposerENS1_16block_id_wrapperIjLb1EEEEE10hipError_tT1_PNSt15iterator_traitsISG_E10value_typeET2_T3_PNSH_ISM_E10value_typeET4_T5_PSR_SS_PNS1_23onesweep_lookback_stateEbbT6_jjT7_P12ihipStream_tbENKUlT_T0_SG_SL_E_clISA_SA_SB_SB_EEDaSZ_S10_SG_SL_EUlSZ_E_NS1_11comp_targetILNS1_3genE10ELNS1_11target_archE1201ELNS1_3gpuE5ELNS1_3repE0EEENS1_47radix_sort_onesweep_sort_config_static_selectorELNS0_4arch9wavefront6targetE0EEEvSG_.has_indirect_call, 0
	.section	.AMDGPU.csdata,"",@progbits
; Kernel info:
; codeLenInByte = 0
; TotalNumSgprs: 0
; NumVgprs: 0
; ScratchSize: 0
; MemoryBound: 0
; FloatMode: 240
; IeeeMode: 1
; LDSByteSize: 0 bytes/workgroup (compile time only)
; SGPRBlocks: 0
; VGPRBlocks: 0
; NumSGPRsForWavesPerEU: 1
; NumVGPRsForWavesPerEU: 1
; NamedBarCnt: 0
; Occupancy: 16
; WaveLimiterHint : 0
; COMPUTE_PGM_RSRC2:SCRATCH_EN: 0
; COMPUTE_PGM_RSRC2:USER_SGPR: 2
; COMPUTE_PGM_RSRC2:TRAP_HANDLER: 0
; COMPUTE_PGM_RSRC2:TGID_X_EN: 1
; COMPUTE_PGM_RSRC2:TGID_Y_EN: 0
; COMPUTE_PGM_RSRC2:TGID_Z_EN: 0
; COMPUTE_PGM_RSRC2:TIDIG_COMP_CNT: 0
	.section	.text._ZN7rocprim17ROCPRIM_400000_NS6detail17trampoline_kernelINS0_14default_configENS1_35radix_sort_onesweep_config_selectorIlNS0_10empty_typeEEEZZNS1_29radix_sort_onesweep_iterationIS3_Lb0EPKlPlPS5_SB_mNS0_19identity_decomposerENS1_16block_id_wrapperIjLb1EEEEE10hipError_tT1_PNSt15iterator_traitsISG_E10value_typeET2_T3_PNSH_ISM_E10value_typeET4_T5_PSR_SS_PNS1_23onesweep_lookback_stateEbbT6_jjT7_P12ihipStream_tbENKUlT_T0_SG_SL_E_clISA_SA_SB_SB_EEDaSZ_S10_SG_SL_EUlSZ_E_NS1_11comp_targetILNS1_3genE9ELNS1_11target_archE1100ELNS1_3gpuE3ELNS1_3repE0EEENS1_47radix_sort_onesweep_sort_config_static_selectorELNS0_4arch9wavefront6targetE0EEEvSG_,"axG",@progbits,_ZN7rocprim17ROCPRIM_400000_NS6detail17trampoline_kernelINS0_14default_configENS1_35radix_sort_onesweep_config_selectorIlNS0_10empty_typeEEEZZNS1_29radix_sort_onesweep_iterationIS3_Lb0EPKlPlPS5_SB_mNS0_19identity_decomposerENS1_16block_id_wrapperIjLb1EEEEE10hipError_tT1_PNSt15iterator_traitsISG_E10value_typeET2_T3_PNSH_ISM_E10value_typeET4_T5_PSR_SS_PNS1_23onesweep_lookback_stateEbbT6_jjT7_P12ihipStream_tbENKUlT_T0_SG_SL_E_clISA_SA_SB_SB_EEDaSZ_S10_SG_SL_EUlSZ_E_NS1_11comp_targetILNS1_3genE9ELNS1_11target_archE1100ELNS1_3gpuE3ELNS1_3repE0EEENS1_47radix_sort_onesweep_sort_config_static_selectorELNS0_4arch9wavefront6targetE0EEEvSG_,comdat
	.protected	_ZN7rocprim17ROCPRIM_400000_NS6detail17trampoline_kernelINS0_14default_configENS1_35radix_sort_onesweep_config_selectorIlNS0_10empty_typeEEEZZNS1_29radix_sort_onesweep_iterationIS3_Lb0EPKlPlPS5_SB_mNS0_19identity_decomposerENS1_16block_id_wrapperIjLb1EEEEE10hipError_tT1_PNSt15iterator_traitsISG_E10value_typeET2_T3_PNSH_ISM_E10value_typeET4_T5_PSR_SS_PNS1_23onesweep_lookback_stateEbbT6_jjT7_P12ihipStream_tbENKUlT_T0_SG_SL_E_clISA_SA_SB_SB_EEDaSZ_S10_SG_SL_EUlSZ_E_NS1_11comp_targetILNS1_3genE9ELNS1_11target_archE1100ELNS1_3gpuE3ELNS1_3repE0EEENS1_47radix_sort_onesweep_sort_config_static_selectorELNS0_4arch9wavefront6targetE0EEEvSG_ ; -- Begin function _ZN7rocprim17ROCPRIM_400000_NS6detail17trampoline_kernelINS0_14default_configENS1_35radix_sort_onesweep_config_selectorIlNS0_10empty_typeEEEZZNS1_29radix_sort_onesweep_iterationIS3_Lb0EPKlPlPS5_SB_mNS0_19identity_decomposerENS1_16block_id_wrapperIjLb1EEEEE10hipError_tT1_PNSt15iterator_traitsISG_E10value_typeET2_T3_PNSH_ISM_E10value_typeET4_T5_PSR_SS_PNS1_23onesweep_lookback_stateEbbT6_jjT7_P12ihipStream_tbENKUlT_T0_SG_SL_E_clISA_SA_SB_SB_EEDaSZ_S10_SG_SL_EUlSZ_E_NS1_11comp_targetILNS1_3genE9ELNS1_11target_archE1100ELNS1_3gpuE3ELNS1_3repE0EEENS1_47radix_sort_onesweep_sort_config_static_selectorELNS0_4arch9wavefront6targetE0EEEvSG_
	.globl	_ZN7rocprim17ROCPRIM_400000_NS6detail17trampoline_kernelINS0_14default_configENS1_35radix_sort_onesweep_config_selectorIlNS0_10empty_typeEEEZZNS1_29radix_sort_onesweep_iterationIS3_Lb0EPKlPlPS5_SB_mNS0_19identity_decomposerENS1_16block_id_wrapperIjLb1EEEEE10hipError_tT1_PNSt15iterator_traitsISG_E10value_typeET2_T3_PNSH_ISM_E10value_typeET4_T5_PSR_SS_PNS1_23onesweep_lookback_stateEbbT6_jjT7_P12ihipStream_tbENKUlT_T0_SG_SL_E_clISA_SA_SB_SB_EEDaSZ_S10_SG_SL_EUlSZ_E_NS1_11comp_targetILNS1_3genE9ELNS1_11target_archE1100ELNS1_3gpuE3ELNS1_3repE0EEENS1_47radix_sort_onesweep_sort_config_static_selectorELNS0_4arch9wavefront6targetE0EEEvSG_
	.p2align	8
	.type	_ZN7rocprim17ROCPRIM_400000_NS6detail17trampoline_kernelINS0_14default_configENS1_35radix_sort_onesweep_config_selectorIlNS0_10empty_typeEEEZZNS1_29radix_sort_onesweep_iterationIS3_Lb0EPKlPlPS5_SB_mNS0_19identity_decomposerENS1_16block_id_wrapperIjLb1EEEEE10hipError_tT1_PNSt15iterator_traitsISG_E10value_typeET2_T3_PNSH_ISM_E10value_typeET4_T5_PSR_SS_PNS1_23onesweep_lookback_stateEbbT6_jjT7_P12ihipStream_tbENKUlT_T0_SG_SL_E_clISA_SA_SB_SB_EEDaSZ_S10_SG_SL_EUlSZ_E_NS1_11comp_targetILNS1_3genE9ELNS1_11target_archE1100ELNS1_3gpuE3ELNS1_3repE0EEENS1_47radix_sort_onesweep_sort_config_static_selectorELNS0_4arch9wavefront6targetE0EEEvSG_,@function
_ZN7rocprim17ROCPRIM_400000_NS6detail17trampoline_kernelINS0_14default_configENS1_35radix_sort_onesweep_config_selectorIlNS0_10empty_typeEEEZZNS1_29radix_sort_onesweep_iterationIS3_Lb0EPKlPlPS5_SB_mNS0_19identity_decomposerENS1_16block_id_wrapperIjLb1EEEEE10hipError_tT1_PNSt15iterator_traitsISG_E10value_typeET2_T3_PNSH_ISM_E10value_typeET4_T5_PSR_SS_PNS1_23onesweep_lookback_stateEbbT6_jjT7_P12ihipStream_tbENKUlT_T0_SG_SL_E_clISA_SA_SB_SB_EEDaSZ_S10_SG_SL_EUlSZ_E_NS1_11comp_targetILNS1_3genE9ELNS1_11target_archE1100ELNS1_3gpuE3ELNS1_3repE0EEENS1_47radix_sort_onesweep_sort_config_static_selectorELNS0_4arch9wavefront6targetE0EEEvSG_: ; @_ZN7rocprim17ROCPRIM_400000_NS6detail17trampoline_kernelINS0_14default_configENS1_35radix_sort_onesweep_config_selectorIlNS0_10empty_typeEEEZZNS1_29radix_sort_onesweep_iterationIS3_Lb0EPKlPlPS5_SB_mNS0_19identity_decomposerENS1_16block_id_wrapperIjLb1EEEEE10hipError_tT1_PNSt15iterator_traitsISG_E10value_typeET2_T3_PNSH_ISM_E10value_typeET4_T5_PSR_SS_PNS1_23onesweep_lookback_stateEbbT6_jjT7_P12ihipStream_tbENKUlT_T0_SG_SL_E_clISA_SA_SB_SB_EEDaSZ_S10_SG_SL_EUlSZ_E_NS1_11comp_targetILNS1_3genE9ELNS1_11target_archE1100ELNS1_3gpuE3ELNS1_3repE0EEENS1_47radix_sort_onesweep_sort_config_static_selectorELNS0_4arch9wavefront6targetE0EEEvSG_
; %bb.0:
	.section	.rodata,"a",@progbits
	.p2align	6, 0x0
	.amdhsa_kernel _ZN7rocprim17ROCPRIM_400000_NS6detail17trampoline_kernelINS0_14default_configENS1_35radix_sort_onesweep_config_selectorIlNS0_10empty_typeEEEZZNS1_29radix_sort_onesweep_iterationIS3_Lb0EPKlPlPS5_SB_mNS0_19identity_decomposerENS1_16block_id_wrapperIjLb1EEEEE10hipError_tT1_PNSt15iterator_traitsISG_E10value_typeET2_T3_PNSH_ISM_E10value_typeET4_T5_PSR_SS_PNS1_23onesweep_lookback_stateEbbT6_jjT7_P12ihipStream_tbENKUlT_T0_SG_SL_E_clISA_SA_SB_SB_EEDaSZ_S10_SG_SL_EUlSZ_E_NS1_11comp_targetILNS1_3genE9ELNS1_11target_archE1100ELNS1_3gpuE3ELNS1_3repE0EEENS1_47radix_sort_onesweep_sort_config_static_selectorELNS0_4arch9wavefront6targetE0EEEvSG_
		.amdhsa_group_segment_fixed_size 0
		.amdhsa_private_segment_fixed_size 0
		.amdhsa_kernarg_size 88
		.amdhsa_user_sgpr_count 2
		.amdhsa_user_sgpr_dispatch_ptr 0
		.amdhsa_user_sgpr_queue_ptr 0
		.amdhsa_user_sgpr_kernarg_segment_ptr 1
		.amdhsa_user_sgpr_dispatch_id 0
		.amdhsa_user_sgpr_kernarg_preload_length 0
		.amdhsa_user_sgpr_kernarg_preload_offset 0
		.amdhsa_user_sgpr_private_segment_size 0
		.amdhsa_wavefront_size32 1
		.amdhsa_uses_dynamic_stack 0
		.amdhsa_enable_private_segment 0
		.amdhsa_system_sgpr_workgroup_id_x 1
		.amdhsa_system_sgpr_workgroup_id_y 0
		.amdhsa_system_sgpr_workgroup_id_z 0
		.amdhsa_system_sgpr_workgroup_info 0
		.amdhsa_system_vgpr_workitem_id 0
		.amdhsa_next_free_vgpr 1
		.amdhsa_next_free_sgpr 1
		.amdhsa_named_barrier_count 0
		.amdhsa_reserve_vcc 0
		.amdhsa_float_round_mode_32 0
		.amdhsa_float_round_mode_16_64 0
		.amdhsa_float_denorm_mode_32 3
		.amdhsa_float_denorm_mode_16_64 3
		.amdhsa_fp16_overflow 0
		.amdhsa_memory_ordered 1
		.amdhsa_forward_progress 1
		.amdhsa_inst_pref_size 0
		.amdhsa_round_robin_scheduling 0
		.amdhsa_exception_fp_ieee_invalid_op 0
		.amdhsa_exception_fp_denorm_src 0
		.amdhsa_exception_fp_ieee_div_zero 0
		.amdhsa_exception_fp_ieee_overflow 0
		.amdhsa_exception_fp_ieee_underflow 0
		.amdhsa_exception_fp_ieee_inexact 0
		.amdhsa_exception_int_div_zero 0
	.end_amdhsa_kernel
	.section	.text._ZN7rocprim17ROCPRIM_400000_NS6detail17trampoline_kernelINS0_14default_configENS1_35radix_sort_onesweep_config_selectorIlNS0_10empty_typeEEEZZNS1_29radix_sort_onesweep_iterationIS3_Lb0EPKlPlPS5_SB_mNS0_19identity_decomposerENS1_16block_id_wrapperIjLb1EEEEE10hipError_tT1_PNSt15iterator_traitsISG_E10value_typeET2_T3_PNSH_ISM_E10value_typeET4_T5_PSR_SS_PNS1_23onesweep_lookback_stateEbbT6_jjT7_P12ihipStream_tbENKUlT_T0_SG_SL_E_clISA_SA_SB_SB_EEDaSZ_S10_SG_SL_EUlSZ_E_NS1_11comp_targetILNS1_3genE9ELNS1_11target_archE1100ELNS1_3gpuE3ELNS1_3repE0EEENS1_47radix_sort_onesweep_sort_config_static_selectorELNS0_4arch9wavefront6targetE0EEEvSG_,"axG",@progbits,_ZN7rocprim17ROCPRIM_400000_NS6detail17trampoline_kernelINS0_14default_configENS1_35radix_sort_onesweep_config_selectorIlNS0_10empty_typeEEEZZNS1_29radix_sort_onesweep_iterationIS3_Lb0EPKlPlPS5_SB_mNS0_19identity_decomposerENS1_16block_id_wrapperIjLb1EEEEE10hipError_tT1_PNSt15iterator_traitsISG_E10value_typeET2_T3_PNSH_ISM_E10value_typeET4_T5_PSR_SS_PNS1_23onesweep_lookback_stateEbbT6_jjT7_P12ihipStream_tbENKUlT_T0_SG_SL_E_clISA_SA_SB_SB_EEDaSZ_S10_SG_SL_EUlSZ_E_NS1_11comp_targetILNS1_3genE9ELNS1_11target_archE1100ELNS1_3gpuE3ELNS1_3repE0EEENS1_47radix_sort_onesweep_sort_config_static_selectorELNS0_4arch9wavefront6targetE0EEEvSG_,comdat
.Lfunc_end1223:
	.size	_ZN7rocprim17ROCPRIM_400000_NS6detail17trampoline_kernelINS0_14default_configENS1_35radix_sort_onesweep_config_selectorIlNS0_10empty_typeEEEZZNS1_29radix_sort_onesweep_iterationIS3_Lb0EPKlPlPS5_SB_mNS0_19identity_decomposerENS1_16block_id_wrapperIjLb1EEEEE10hipError_tT1_PNSt15iterator_traitsISG_E10value_typeET2_T3_PNSH_ISM_E10value_typeET4_T5_PSR_SS_PNS1_23onesweep_lookback_stateEbbT6_jjT7_P12ihipStream_tbENKUlT_T0_SG_SL_E_clISA_SA_SB_SB_EEDaSZ_S10_SG_SL_EUlSZ_E_NS1_11comp_targetILNS1_3genE9ELNS1_11target_archE1100ELNS1_3gpuE3ELNS1_3repE0EEENS1_47radix_sort_onesweep_sort_config_static_selectorELNS0_4arch9wavefront6targetE0EEEvSG_, .Lfunc_end1223-_ZN7rocprim17ROCPRIM_400000_NS6detail17trampoline_kernelINS0_14default_configENS1_35radix_sort_onesweep_config_selectorIlNS0_10empty_typeEEEZZNS1_29radix_sort_onesweep_iterationIS3_Lb0EPKlPlPS5_SB_mNS0_19identity_decomposerENS1_16block_id_wrapperIjLb1EEEEE10hipError_tT1_PNSt15iterator_traitsISG_E10value_typeET2_T3_PNSH_ISM_E10value_typeET4_T5_PSR_SS_PNS1_23onesweep_lookback_stateEbbT6_jjT7_P12ihipStream_tbENKUlT_T0_SG_SL_E_clISA_SA_SB_SB_EEDaSZ_S10_SG_SL_EUlSZ_E_NS1_11comp_targetILNS1_3genE9ELNS1_11target_archE1100ELNS1_3gpuE3ELNS1_3repE0EEENS1_47radix_sort_onesweep_sort_config_static_selectorELNS0_4arch9wavefront6targetE0EEEvSG_
                                        ; -- End function
	.set _ZN7rocprim17ROCPRIM_400000_NS6detail17trampoline_kernelINS0_14default_configENS1_35radix_sort_onesweep_config_selectorIlNS0_10empty_typeEEEZZNS1_29radix_sort_onesweep_iterationIS3_Lb0EPKlPlPS5_SB_mNS0_19identity_decomposerENS1_16block_id_wrapperIjLb1EEEEE10hipError_tT1_PNSt15iterator_traitsISG_E10value_typeET2_T3_PNSH_ISM_E10value_typeET4_T5_PSR_SS_PNS1_23onesweep_lookback_stateEbbT6_jjT7_P12ihipStream_tbENKUlT_T0_SG_SL_E_clISA_SA_SB_SB_EEDaSZ_S10_SG_SL_EUlSZ_E_NS1_11comp_targetILNS1_3genE9ELNS1_11target_archE1100ELNS1_3gpuE3ELNS1_3repE0EEENS1_47radix_sort_onesweep_sort_config_static_selectorELNS0_4arch9wavefront6targetE0EEEvSG_.num_vgpr, 0
	.set _ZN7rocprim17ROCPRIM_400000_NS6detail17trampoline_kernelINS0_14default_configENS1_35radix_sort_onesweep_config_selectorIlNS0_10empty_typeEEEZZNS1_29radix_sort_onesweep_iterationIS3_Lb0EPKlPlPS5_SB_mNS0_19identity_decomposerENS1_16block_id_wrapperIjLb1EEEEE10hipError_tT1_PNSt15iterator_traitsISG_E10value_typeET2_T3_PNSH_ISM_E10value_typeET4_T5_PSR_SS_PNS1_23onesweep_lookback_stateEbbT6_jjT7_P12ihipStream_tbENKUlT_T0_SG_SL_E_clISA_SA_SB_SB_EEDaSZ_S10_SG_SL_EUlSZ_E_NS1_11comp_targetILNS1_3genE9ELNS1_11target_archE1100ELNS1_3gpuE3ELNS1_3repE0EEENS1_47radix_sort_onesweep_sort_config_static_selectorELNS0_4arch9wavefront6targetE0EEEvSG_.num_agpr, 0
	.set _ZN7rocprim17ROCPRIM_400000_NS6detail17trampoline_kernelINS0_14default_configENS1_35radix_sort_onesweep_config_selectorIlNS0_10empty_typeEEEZZNS1_29radix_sort_onesweep_iterationIS3_Lb0EPKlPlPS5_SB_mNS0_19identity_decomposerENS1_16block_id_wrapperIjLb1EEEEE10hipError_tT1_PNSt15iterator_traitsISG_E10value_typeET2_T3_PNSH_ISM_E10value_typeET4_T5_PSR_SS_PNS1_23onesweep_lookback_stateEbbT6_jjT7_P12ihipStream_tbENKUlT_T0_SG_SL_E_clISA_SA_SB_SB_EEDaSZ_S10_SG_SL_EUlSZ_E_NS1_11comp_targetILNS1_3genE9ELNS1_11target_archE1100ELNS1_3gpuE3ELNS1_3repE0EEENS1_47radix_sort_onesweep_sort_config_static_selectorELNS0_4arch9wavefront6targetE0EEEvSG_.numbered_sgpr, 0
	.set _ZN7rocprim17ROCPRIM_400000_NS6detail17trampoline_kernelINS0_14default_configENS1_35radix_sort_onesweep_config_selectorIlNS0_10empty_typeEEEZZNS1_29radix_sort_onesweep_iterationIS3_Lb0EPKlPlPS5_SB_mNS0_19identity_decomposerENS1_16block_id_wrapperIjLb1EEEEE10hipError_tT1_PNSt15iterator_traitsISG_E10value_typeET2_T3_PNSH_ISM_E10value_typeET4_T5_PSR_SS_PNS1_23onesweep_lookback_stateEbbT6_jjT7_P12ihipStream_tbENKUlT_T0_SG_SL_E_clISA_SA_SB_SB_EEDaSZ_S10_SG_SL_EUlSZ_E_NS1_11comp_targetILNS1_3genE9ELNS1_11target_archE1100ELNS1_3gpuE3ELNS1_3repE0EEENS1_47radix_sort_onesweep_sort_config_static_selectorELNS0_4arch9wavefront6targetE0EEEvSG_.num_named_barrier, 0
	.set _ZN7rocprim17ROCPRIM_400000_NS6detail17trampoline_kernelINS0_14default_configENS1_35radix_sort_onesweep_config_selectorIlNS0_10empty_typeEEEZZNS1_29radix_sort_onesweep_iterationIS3_Lb0EPKlPlPS5_SB_mNS0_19identity_decomposerENS1_16block_id_wrapperIjLb1EEEEE10hipError_tT1_PNSt15iterator_traitsISG_E10value_typeET2_T3_PNSH_ISM_E10value_typeET4_T5_PSR_SS_PNS1_23onesweep_lookback_stateEbbT6_jjT7_P12ihipStream_tbENKUlT_T0_SG_SL_E_clISA_SA_SB_SB_EEDaSZ_S10_SG_SL_EUlSZ_E_NS1_11comp_targetILNS1_3genE9ELNS1_11target_archE1100ELNS1_3gpuE3ELNS1_3repE0EEENS1_47radix_sort_onesweep_sort_config_static_selectorELNS0_4arch9wavefront6targetE0EEEvSG_.private_seg_size, 0
	.set _ZN7rocprim17ROCPRIM_400000_NS6detail17trampoline_kernelINS0_14default_configENS1_35radix_sort_onesweep_config_selectorIlNS0_10empty_typeEEEZZNS1_29radix_sort_onesweep_iterationIS3_Lb0EPKlPlPS5_SB_mNS0_19identity_decomposerENS1_16block_id_wrapperIjLb1EEEEE10hipError_tT1_PNSt15iterator_traitsISG_E10value_typeET2_T3_PNSH_ISM_E10value_typeET4_T5_PSR_SS_PNS1_23onesweep_lookback_stateEbbT6_jjT7_P12ihipStream_tbENKUlT_T0_SG_SL_E_clISA_SA_SB_SB_EEDaSZ_S10_SG_SL_EUlSZ_E_NS1_11comp_targetILNS1_3genE9ELNS1_11target_archE1100ELNS1_3gpuE3ELNS1_3repE0EEENS1_47radix_sort_onesweep_sort_config_static_selectorELNS0_4arch9wavefront6targetE0EEEvSG_.uses_vcc, 0
	.set _ZN7rocprim17ROCPRIM_400000_NS6detail17trampoline_kernelINS0_14default_configENS1_35radix_sort_onesweep_config_selectorIlNS0_10empty_typeEEEZZNS1_29radix_sort_onesweep_iterationIS3_Lb0EPKlPlPS5_SB_mNS0_19identity_decomposerENS1_16block_id_wrapperIjLb1EEEEE10hipError_tT1_PNSt15iterator_traitsISG_E10value_typeET2_T3_PNSH_ISM_E10value_typeET4_T5_PSR_SS_PNS1_23onesweep_lookback_stateEbbT6_jjT7_P12ihipStream_tbENKUlT_T0_SG_SL_E_clISA_SA_SB_SB_EEDaSZ_S10_SG_SL_EUlSZ_E_NS1_11comp_targetILNS1_3genE9ELNS1_11target_archE1100ELNS1_3gpuE3ELNS1_3repE0EEENS1_47radix_sort_onesweep_sort_config_static_selectorELNS0_4arch9wavefront6targetE0EEEvSG_.uses_flat_scratch, 0
	.set _ZN7rocprim17ROCPRIM_400000_NS6detail17trampoline_kernelINS0_14default_configENS1_35radix_sort_onesweep_config_selectorIlNS0_10empty_typeEEEZZNS1_29radix_sort_onesweep_iterationIS3_Lb0EPKlPlPS5_SB_mNS0_19identity_decomposerENS1_16block_id_wrapperIjLb1EEEEE10hipError_tT1_PNSt15iterator_traitsISG_E10value_typeET2_T3_PNSH_ISM_E10value_typeET4_T5_PSR_SS_PNS1_23onesweep_lookback_stateEbbT6_jjT7_P12ihipStream_tbENKUlT_T0_SG_SL_E_clISA_SA_SB_SB_EEDaSZ_S10_SG_SL_EUlSZ_E_NS1_11comp_targetILNS1_3genE9ELNS1_11target_archE1100ELNS1_3gpuE3ELNS1_3repE0EEENS1_47radix_sort_onesweep_sort_config_static_selectorELNS0_4arch9wavefront6targetE0EEEvSG_.has_dyn_sized_stack, 0
	.set _ZN7rocprim17ROCPRIM_400000_NS6detail17trampoline_kernelINS0_14default_configENS1_35radix_sort_onesweep_config_selectorIlNS0_10empty_typeEEEZZNS1_29radix_sort_onesweep_iterationIS3_Lb0EPKlPlPS5_SB_mNS0_19identity_decomposerENS1_16block_id_wrapperIjLb1EEEEE10hipError_tT1_PNSt15iterator_traitsISG_E10value_typeET2_T3_PNSH_ISM_E10value_typeET4_T5_PSR_SS_PNS1_23onesweep_lookback_stateEbbT6_jjT7_P12ihipStream_tbENKUlT_T0_SG_SL_E_clISA_SA_SB_SB_EEDaSZ_S10_SG_SL_EUlSZ_E_NS1_11comp_targetILNS1_3genE9ELNS1_11target_archE1100ELNS1_3gpuE3ELNS1_3repE0EEENS1_47radix_sort_onesweep_sort_config_static_selectorELNS0_4arch9wavefront6targetE0EEEvSG_.has_recursion, 0
	.set _ZN7rocprim17ROCPRIM_400000_NS6detail17trampoline_kernelINS0_14default_configENS1_35radix_sort_onesweep_config_selectorIlNS0_10empty_typeEEEZZNS1_29radix_sort_onesweep_iterationIS3_Lb0EPKlPlPS5_SB_mNS0_19identity_decomposerENS1_16block_id_wrapperIjLb1EEEEE10hipError_tT1_PNSt15iterator_traitsISG_E10value_typeET2_T3_PNSH_ISM_E10value_typeET4_T5_PSR_SS_PNS1_23onesweep_lookback_stateEbbT6_jjT7_P12ihipStream_tbENKUlT_T0_SG_SL_E_clISA_SA_SB_SB_EEDaSZ_S10_SG_SL_EUlSZ_E_NS1_11comp_targetILNS1_3genE9ELNS1_11target_archE1100ELNS1_3gpuE3ELNS1_3repE0EEENS1_47radix_sort_onesweep_sort_config_static_selectorELNS0_4arch9wavefront6targetE0EEEvSG_.has_indirect_call, 0
	.section	.AMDGPU.csdata,"",@progbits
; Kernel info:
; codeLenInByte = 0
; TotalNumSgprs: 0
; NumVgprs: 0
; ScratchSize: 0
; MemoryBound: 0
; FloatMode: 240
; IeeeMode: 1
; LDSByteSize: 0 bytes/workgroup (compile time only)
; SGPRBlocks: 0
; VGPRBlocks: 0
; NumSGPRsForWavesPerEU: 1
; NumVGPRsForWavesPerEU: 1
; NamedBarCnt: 0
; Occupancy: 16
; WaveLimiterHint : 0
; COMPUTE_PGM_RSRC2:SCRATCH_EN: 0
; COMPUTE_PGM_RSRC2:USER_SGPR: 2
; COMPUTE_PGM_RSRC2:TRAP_HANDLER: 0
; COMPUTE_PGM_RSRC2:TGID_X_EN: 1
; COMPUTE_PGM_RSRC2:TGID_Y_EN: 0
; COMPUTE_PGM_RSRC2:TGID_Z_EN: 0
; COMPUTE_PGM_RSRC2:TIDIG_COMP_CNT: 0
	.section	.text._ZN7rocprim17ROCPRIM_400000_NS6detail17trampoline_kernelINS0_14default_configENS1_35radix_sort_onesweep_config_selectorIlNS0_10empty_typeEEEZZNS1_29radix_sort_onesweep_iterationIS3_Lb0EPKlPlPS5_SB_mNS0_19identity_decomposerENS1_16block_id_wrapperIjLb1EEEEE10hipError_tT1_PNSt15iterator_traitsISG_E10value_typeET2_T3_PNSH_ISM_E10value_typeET4_T5_PSR_SS_PNS1_23onesweep_lookback_stateEbbT6_jjT7_P12ihipStream_tbENKUlT_T0_SG_SL_E_clISA_SA_SB_SB_EEDaSZ_S10_SG_SL_EUlSZ_E_NS1_11comp_targetILNS1_3genE8ELNS1_11target_archE1030ELNS1_3gpuE2ELNS1_3repE0EEENS1_47radix_sort_onesweep_sort_config_static_selectorELNS0_4arch9wavefront6targetE0EEEvSG_,"axG",@progbits,_ZN7rocprim17ROCPRIM_400000_NS6detail17trampoline_kernelINS0_14default_configENS1_35radix_sort_onesweep_config_selectorIlNS0_10empty_typeEEEZZNS1_29radix_sort_onesweep_iterationIS3_Lb0EPKlPlPS5_SB_mNS0_19identity_decomposerENS1_16block_id_wrapperIjLb1EEEEE10hipError_tT1_PNSt15iterator_traitsISG_E10value_typeET2_T3_PNSH_ISM_E10value_typeET4_T5_PSR_SS_PNS1_23onesweep_lookback_stateEbbT6_jjT7_P12ihipStream_tbENKUlT_T0_SG_SL_E_clISA_SA_SB_SB_EEDaSZ_S10_SG_SL_EUlSZ_E_NS1_11comp_targetILNS1_3genE8ELNS1_11target_archE1030ELNS1_3gpuE2ELNS1_3repE0EEENS1_47radix_sort_onesweep_sort_config_static_selectorELNS0_4arch9wavefront6targetE0EEEvSG_,comdat
	.protected	_ZN7rocprim17ROCPRIM_400000_NS6detail17trampoline_kernelINS0_14default_configENS1_35radix_sort_onesweep_config_selectorIlNS0_10empty_typeEEEZZNS1_29radix_sort_onesweep_iterationIS3_Lb0EPKlPlPS5_SB_mNS0_19identity_decomposerENS1_16block_id_wrapperIjLb1EEEEE10hipError_tT1_PNSt15iterator_traitsISG_E10value_typeET2_T3_PNSH_ISM_E10value_typeET4_T5_PSR_SS_PNS1_23onesweep_lookback_stateEbbT6_jjT7_P12ihipStream_tbENKUlT_T0_SG_SL_E_clISA_SA_SB_SB_EEDaSZ_S10_SG_SL_EUlSZ_E_NS1_11comp_targetILNS1_3genE8ELNS1_11target_archE1030ELNS1_3gpuE2ELNS1_3repE0EEENS1_47radix_sort_onesweep_sort_config_static_selectorELNS0_4arch9wavefront6targetE0EEEvSG_ ; -- Begin function _ZN7rocprim17ROCPRIM_400000_NS6detail17trampoline_kernelINS0_14default_configENS1_35radix_sort_onesweep_config_selectorIlNS0_10empty_typeEEEZZNS1_29radix_sort_onesweep_iterationIS3_Lb0EPKlPlPS5_SB_mNS0_19identity_decomposerENS1_16block_id_wrapperIjLb1EEEEE10hipError_tT1_PNSt15iterator_traitsISG_E10value_typeET2_T3_PNSH_ISM_E10value_typeET4_T5_PSR_SS_PNS1_23onesweep_lookback_stateEbbT6_jjT7_P12ihipStream_tbENKUlT_T0_SG_SL_E_clISA_SA_SB_SB_EEDaSZ_S10_SG_SL_EUlSZ_E_NS1_11comp_targetILNS1_3genE8ELNS1_11target_archE1030ELNS1_3gpuE2ELNS1_3repE0EEENS1_47radix_sort_onesweep_sort_config_static_selectorELNS0_4arch9wavefront6targetE0EEEvSG_
	.globl	_ZN7rocprim17ROCPRIM_400000_NS6detail17trampoline_kernelINS0_14default_configENS1_35radix_sort_onesweep_config_selectorIlNS0_10empty_typeEEEZZNS1_29radix_sort_onesweep_iterationIS3_Lb0EPKlPlPS5_SB_mNS0_19identity_decomposerENS1_16block_id_wrapperIjLb1EEEEE10hipError_tT1_PNSt15iterator_traitsISG_E10value_typeET2_T3_PNSH_ISM_E10value_typeET4_T5_PSR_SS_PNS1_23onesweep_lookback_stateEbbT6_jjT7_P12ihipStream_tbENKUlT_T0_SG_SL_E_clISA_SA_SB_SB_EEDaSZ_S10_SG_SL_EUlSZ_E_NS1_11comp_targetILNS1_3genE8ELNS1_11target_archE1030ELNS1_3gpuE2ELNS1_3repE0EEENS1_47radix_sort_onesweep_sort_config_static_selectorELNS0_4arch9wavefront6targetE0EEEvSG_
	.p2align	8
	.type	_ZN7rocprim17ROCPRIM_400000_NS6detail17trampoline_kernelINS0_14default_configENS1_35radix_sort_onesweep_config_selectorIlNS0_10empty_typeEEEZZNS1_29radix_sort_onesweep_iterationIS3_Lb0EPKlPlPS5_SB_mNS0_19identity_decomposerENS1_16block_id_wrapperIjLb1EEEEE10hipError_tT1_PNSt15iterator_traitsISG_E10value_typeET2_T3_PNSH_ISM_E10value_typeET4_T5_PSR_SS_PNS1_23onesweep_lookback_stateEbbT6_jjT7_P12ihipStream_tbENKUlT_T0_SG_SL_E_clISA_SA_SB_SB_EEDaSZ_S10_SG_SL_EUlSZ_E_NS1_11comp_targetILNS1_3genE8ELNS1_11target_archE1030ELNS1_3gpuE2ELNS1_3repE0EEENS1_47radix_sort_onesweep_sort_config_static_selectorELNS0_4arch9wavefront6targetE0EEEvSG_,@function
_ZN7rocprim17ROCPRIM_400000_NS6detail17trampoline_kernelINS0_14default_configENS1_35radix_sort_onesweep_config_selectorIlNS0_10empty_typeEEEZZNS1_29radix_sort_onesweep_iterationIS3_Lb0EPKlPlPS5_SB_mNS0_19identity_decomposerENS1_16block_id_wrapperIjLb1EEEEE10hipError_tT1_PNSt15iterator_traitsISG_E10value_typeET2_T3_PNSH_ISM_E10value_typeET4_T5_PSR_SS_PNS1_23onesweep_lookback_stateEbbT6_jjT7_P12ihipStream_tbENKUlT_T0_SG_SL_E_clISA_SA_SB_SB_EEDaSZ_S10_SG_SL_EUlSZ_E_NS1_11comp_targetILNS1_3genE8ELNS1_11target_archE1030ELNS1_3gpuE2ELNS1_3repE0EEENS1_47radix_sort_onesweep_sort_config_static_selectorELNS0_4arch9wavefront6targetE0EEEvSG_: ; @_ZN7rocprim17ROCPRIM_400000_NS6detail17trampoline_kernelINS0_14default_configENS1_35radix_sort_onesweep_config_selectorIlNS0_10empty_typeEEEZZNS1_29radix_sort_onesweep_iterationIS3_Lb0EPKlPlPS5_SB_mNS0_19identity_decomposerENS1_16block_id_wrapperIjLb1EEEEE10hipError_tT1_PNSt15iterator_traitsISG_E10value_typeET2_T3_PNSH_ISM_E10value_typeET4_T5_PSR_SS_PNS1_23onesweep_lookback_stateEbbT6_jjT7_P12ihipStream_tbENKUlT_T0_SG_SL_E_clISA_SA_SB_SB_EEDaSZ_S10_SG_SL_EUlSZ_E_NS1_11comp_targetILNS1_3genE8ELNS1_11target_archE1030ELNS1_3gpuE2ELNS1_3repE0EEENS1_47radix_sort_onesweep_sort_config_static_selectorELNS0_4arch9wavefront6targetE0EEEvSG_
; %bb.0:
	.section	.rodata,"a",@progbits
	.p2align	6, 0x0
	.amdhsa_kernel _ZN7rocprim17ROCPRIM_400000_NS6detail17trampoline_kernelINS0_14default_configENS1_35radix_sort_onesweep_config_selectorIlNS0_10empty_typeEEEZZNS1_29radix_sort_onesweep_iterationIS3_Lb0EPKlPlPS5_SB_mNS0_19identity_decomposerENS1_16block_id_wrapperIjLb1EEEEE10hipError_tT1_PNSt15iterator_traitsISG_E10value_typeET2_T3_PNSH_ISM_E10value_typeET4_T5_PSR_SS_PNS1_23onesweep_lookback_stateEbbT6_jjT7_P12ihipStream_tbENKUlT_T0_SG_SL_E_clISA_SA_SB_SB_EEDaSZ_S10_SG_SL_EUlSZ_E_NS1_11comp_targetILNS1_3genE8ELNS1_11target_archE1030ELNS1_3gpuE2ELNS1_3repE0EEENS1_47radix_sort_onesweep_sort_config_static_selectorELNS0_4arch9wavefront6targetE0EEEvSG_
		.amdhsa_group_segment_fixed_size 0
		.amdhsa_private_segment_fixed_size 0
		.amdhsa_kernarg_size 88
		.amdhsa_user_sgpr_count 2
		.amdhsa_user_sgpr_dispatch_ptr 0
		.amdhsa_user_sgpr_queue_ptr 0
		.amdhsa_user_sgpr_kernarg_segment_ptr 1
		.amdhsa_user_sgpr_dispatch_id 0
		.amdhsa_user_sgpr_kernarg_preload_length 0
		.amdhsa_user_sgpr_kernarg_preload_offset 0
		.amdhsa_user_sgpr_private_segment_size 0
		.amdhsa_wavefront_size32 1
		.amdhsa_uses_dynamic_stack 0
		.amdhsa_enable_private_segment 0
		.amdhsa_system_sgpr_workgroup_id_x 1
		.amdhsa_system_sgpr_workgroup_id_y 0
		.amdhsa_system_sgpr_workgroup_id_z 0
		.amdhsa_system_sgpr_workgroup_info 0
		.amdhsa_system_vgpr_workitem_id 0
		.amdhsa_next_free_vgpr 1
		.amdhsa_next_free_sgpr 1
		.amdhsa_named_barrier_count 0
		.amdhsa_reserve_vcc 0
		.amdhsa_float_round_mode_32 0
		.amdhsa_float_round_mode_16_64 0
		.amdhsa_float_denorm_mode_32 3
		.amdhsa_float_denorm_mode_16_64 3
		.amdhsa_fp16_overflow 0
		.amdhsa_memory_ordered 1
		.amdhsa_forward_progress 1
		.amdhsa_inst_pref_size 0
		.amdhsa_round_robin_scheduling 0
		.amdhsa_exception_fp_ieee_invalid_op 0
		.amdhsa_exception_fp_denorm_src 0
		.amdhsa_exception_fp_ieee_div_zero 0
		.amdhsa_exception_fp_ieee_overflow 0
		.amdhsa_exception_fp_ieee_underflow 0
		.amdhsa_exception_fp_ieee_inexact 0
		.amdhsa_exception_int_div_zero 0
	.end_amdhsa_kernel
	.section	.text._ZN7rocprim17ROCPRIM_400000_NS6detail17trampoline_kernelINS0_14default_configENS1_35radix_sort_onesweep_config_selectorIlNS0_10empty_typeEEEZZNS1_29radix_sort_onesweep_iterationIS3_Lb0EPKlPlPS5_SB_mNS0_19identity_decomposerENS1_16block_id_wrapperIjLb1EEEEE10hipError_tT1_PNSt15iterator_traitsISG_E10value_typeET2_T3_PNSH_ISM_E10value_typeET4_T5_PSR_SS_PNS1_23onesweep_lookback_stateEbbT6_jjT7_P12ihipStream_tbENKUlT_T0_SG_SL_E_clISA_SA_SB_SB_EEDaSZ_S10_SG_SL_EUlSZ_E_NS1_11comp_targetILNS1_3genE8ELNS1_11target_archE1030ELNS1_3gpuE2ELNS1_3repE0EEENS1_47radix_sort_onesweep_sort_config_static_selectorELNS0_4arch9wavefront6targetE0EEEvSG_,"axG",@progbits,_ZN7rocprim17ROCPRIM_400000_NS6detail17trampoline_kernelINS0_14default_configENS1_35radix_sort_onesweep_config_selectorIlNS0_10empty_typeEEEZZNS1_29radix_sort_onesweep_iterationIS3_Lb0EPKlPlPS5_SB_mNS0_19identity_decomposerENS1_16block_id_wrapperIjLb1EEEEE10hipError_tT1_PNSt15iterator_traitsISG_E10value_typeET2_T3_PNSH_ISM_E10value_typeET4_T5_PSR_SS_PNS1_23onesweep_lookback_stateEbbT6_jjT7_P12ihipStream_tbENKUlT_T0_SG_SL_E_clISA_SA_SB_SB_EEDaSZ_S10_SG_SL_EUlSZ_E_NS1_11comp_targetILNS1_3genE8ELNS1_11target_archE1030ELNS1_3gpuE2ELNS1_3repE0EEENS1_47radix_sort_onesweep_sort_config_static_selectorELNS0_4arch9wavefront6targetE0EEEvSG_,comdat
.Lfunc_end1224:
	.size	_ZN7rocprim17ROCPRIM_400000_NS6detail17trampoline_kernelINS0_14default_configENS1_35radix_sort_onesweep_config_selectorIlNS0_10empty_typeEEEZZNS1_29radix_sort_onesweep_iterationIS3_Lb0EPKlPlPS5_SB_mNS0_19identity_decomposerENS1_16block_id_wrapperIjLb1EEEEE10hipError_tT1_PNSt15iterator_traitsISG_E10value_typeET2_T3_PNSH_ISM_E10value_typeET4_T5_PSR_SS_PNS1_23onesweep_lookback_stateEbbT6_jjT7_P12ihipStream_tbENKUlT_T0_SG_SL_E_clISA_SA_SB_SB_EEDaSZ_S10_SG_SL_EUlSZ_E_NS1_11comp_targetILNS1_3genE8ELNS1_11target_archE1030ELNS1_3gpuE2ELNS1_3repE0EEENS1_47radix_sort_onesweep_sort_config_static_selectorELNS0_4arch9wavefront6targetE0EEEvSG_, .Lfunc_end1224-_ZN7rocprim17ROCPRIM_400000_NS6detail17trampoline_kernelINS0_14default_configENS1_35radix_sort_onesweep_config_selectorIlNS0_10empty_typeEEEZZNS1_29radix_sort_onesweep_iterationIS3_Lb0EPKlPlPS5_SB_mNS0_19identity_decomposerENS1_16block_id_wrapperIjLb1EEEEE10hipError_tT1_PNSt15iterator_traitsISG_E10value_typeET2_T3_PNSH_ISM_E10value_typeET4_T5_PSR_SS_PNS1_23onesweep_lookback_stateEbbT6_jjT7_P12ihipStream_tbENKUlT_T0_SG_SL_E_clISA_SA_SB_SB_EEDaSZ_S10_SG_SL_EUlSZ_E_NS1_11comp_targetILNS1_3genE8ELNS1_11target_archE1030ELNS1_3gpuE2ELNS1_3repE0EEENS1_47radix_sort_onesweep_sort_config_static_selectorELNS0_4arch9wavefront6targetE0EEEvSG_
                                        ; -- End function
	.set _ZN7rocprim17ROCPRIM_400000_NS6detail17trampoline_kernelINS0_14default_configENS1_35radix_sort_onesweep_config_selectorIlNS0_10empty_typeEEEZZNS1_29radix_sort_onesweep_iterationIS3_Lb0EPKlPlPS5_SB_mNS0_19identity_decomposerENS1_16block_id_wrapperIjLb1EEEEE10hipError_tT1_PNSt15iterator_traitsISG_E10value_typeET2_T3_PNSH_ISM_E10value_typeET4_T5_PSR_SS_PNS1_23onesweep_lookback_stateEbbT6_jjT7_P12ihipStream_tbENKUlT_T0_SG_SL_E_clISA_SA_SB_SB_EEDaSZ_S10_SG_SL_EUlSZ_E_NS1_11comp_targetILNS1_3genE8ELNS1_11target_archE1030ELNS1_3gpuE2ELNS1_3repE0EEENS1_47radix_sort_onesweep_sort_config_static_selectorELNS0_4arch9wavefront6targetE0EEEvSG_.num_vgpr, 0
	.set _ZN7rocprim17ROCPRIM_400000_NS6detail17trampoline_kernelINS0_14default_configENS1_35radix_sort_onesweep_config_selectorIlNS0_10empty_typeEEEZZNS1_29radix_sort_onesweep_iterationIS3_Lb0EPKlPlPS5_SB_mNS0_19identity_decomposerENS1_16block_id_wrapperIjLb1EEEEE10hipError_tT1_PNSt15iterator_traitsISG_E10value_typeET2_T3_PNSH_ISM_E10value_typeET4_T5_PSR_SS_PNS1_23onesweep_lookback_stateEbbT6_jjT7_P12ihipStream_tbENKUlT_T0_SG_SL_E_clISA_SA_SB_SB_EEDaSZ_S10_SG_SL_EUlSZ_E_NS1_11comp_targetILNS1_3genE8ELNS1_11target_archE1030ELNS1_3gpuE2ELNS1_3repE0EEENS1_47radix_sort_onesweep_sort_config_static_selectorELNS0_4arch9wavefront6targetE0EEEvSG_.num_agpr, 0
	.set _ZN7rocprim17ROCPRIM_400000_NS6detail17trampoline_kernelINS0_14default_configENS1_35radix_sort_onesweep_config_selectorIlNS0_10empty_typeEEEZZNS1_29radix_sort_onesweep_iterationIS3_Lb0EPKlPlPS5_SB_mNS0_19identity_decomposerENS1_16block_id_wrapperIjLb1EEEEE10hipError_tT1_PNSt15iterator_traitsISG_E10value_typeET2_T3_PNSH_ISM_E10value_typeET4_T5_PSR_SS_PNS1_23onesweep_lookback_stateEbbT6_jjT7_P12ihipStream_tbENKUlT_T0_SG_SL_E_clISA_SA_SB_SB_EEDaSZ_S10_SG_SL_EUlSZ_E_NS1_11comp_targetILNS1_3genE8ELNS1_11target_archE1030ELNS1_3gpuE2ELNS1_3repE0EEENS1_47radix_sort_onesweep_sort_config_static_selectorELNS0_4arch9wavefront6targetE0EEEvSG_.numbered_sgpr, 0
	.set _ZN7rocprim17ROCPRIM_400000_NS6detail17trampoline_kernelINS0_14default_configENS1_35radix_sort_onesweep_config_selectorIlNS0_10empty_typeEEEZZNS1_29radix_sort_onesweep_iterationIS3_Lb0EPKlPlPS5_SB_mNS0_19identity_decomposerENS1_16block_id_wrapperIjLb1EEEEE10hipError_tT1_PNSt15iterator_traitsISG_E10value_typeET2_T3_PNSH_ISM_E10value_typeET4_T5_PSR_SS_PNS1_23onesweep_lookback_stateEbbT6_jjT7_P12ihipStream_tbENKUlT_T0_SG_SL_E_clISA_SA_SB_SB_EEDaSZ_S10_SG_SL_EUlSZ_E_NS1_11comp_targetILNS1_3genE8ELNS1_11target_archE1030ELNS1_3gpuE2ELNS1_3repE0EEENS1_47radix_sort_onesweep_sort_config_static_selectorELNS0_4arch9wavefront6targetE0EEEvSG_.num_named_barrier, 0
	.set _ZN7rocprim17ROCPRIM_400000_NS6detail17trampoline_kernelINS0_14default_configENS1_35radix_sort_onesweep_config_selectorIlNS0_10empty_typeEEEZZNS1_29radix_sort_onesweep_iterationIS3_Lb0EPKlPlPS5_SB_mNS0_19identity_decomposerENS1_16block_id_wrapperIjLb1EEEEE10hipError_tT1_PNSt15iterator_traitsISG_E10value_typeET2_T3_PNSH_ISM_E10value_typeET4_T5_PSR_SS_PNS1_23onesweep_lookback_stateEbbT6_jjT7_P12ihipStream_tbENKUlT_T0_SG_SL_E_clISA_SA_SB_SB_EEDaSZ_S10_SG_SL_EUlSZ_E_NS1_11comp_targetILNS1_3genE8ELNS1_11target_archE1030ELNS1_3gpuE2ELNS1_3repE0EEENS1_47radix_sort_onesweep_sort_config_static_selectorELNS0_4arch9wavefront6targetE0EEEvSG_.private_seg_size, 0
	.set _ZN7rocprim17ROCPRIM_400000_NS6detail17trampoline_kernelINS0_14default_configENS1_35radix_sort_onesweep_config_selectorIlNS0_10empty_typeEEEZZNS1_29radix_sort_onesweep_iterationIS3_Lb0EPKlPlPS5_SB_mNS0_19identity_decomposerENS1_16block_id_wrapperIjLb1EEEEE10hipError_tT1_PNSt15iterator_traitsISG_E10value_typeET2_T3_PNSH_ISM_E10value_typeET4_T5_PSR_SS_PNS1_23onesweep_lookback_stateEbbT6_jjT7_P12ihipStream_tbENKUlT_T0_SG_SL_E_clISA_SA_SB_SB_EEDaSZ_S10_SG_SL_EUlSZ_E_NS1_11comp_targetILNS1_3genE8ELNS1_11target_archE1030ELNS1_3gpuE2ELNS1_3repE0EEENS1_47radix_sort_onesweep_sort_config_static_selectorELNS0_4arch9wavefront6targetE0EEEvSG_.uses_vcc, 0
	.set _ZN7rocprim17ROCPRIM_400000_NS6detail17trampoline_kernelINS0_14default_configENS1_35radix_sort_onesweep_config_selectorIlNS0_10empty_typeEEEZZNS1_29radix_sort_onesweep_iterationIS3_Lb0EPKlPlPS5_SB_mNS0_19identity_decomposerENS1_16block_id_wrapperIjLb1EEEEE10hipError_tT1_PNSt15iterator_traitsISG_E10value_typeET2_T3_PNSH_ISM_E10value_typeET4_T5_PSR_SS_PNS1_23onesweep_lookback_stateEbbT6_jjT7_P12ihipStream_tbENKUlT_T0_SG_SL_E_clISA_SA_SB_SB_EEDaSZ_S10_SG_SL_EUlSZ_E_NS1_11comp_targetILNS1_3genE8ELNS1_11target_archE1030ELNS1_3gpuE2ELNS1_3repE0EEENS1_47radix_sort_onesweep_sort_config_static_selectorELNS0_4arch9wavefront6targetE0EEEvSG_.uses_flat_scratch, 0
	.set _ZN7rocprim17ROCPRIM_400000_NS6detail17trampoline_kernelINS0_14default_configENS1_35radix_sort_onesweep_config_selectorIlNS0_10empty_typeEEEZZNS1_29radix_sort_onesweep_iterationIS3_Lb0EPKlPlPS5_SB_mNS0_19identity_decomposerENS1_16block_id_wrapperIjLb1EEEEE10hipError_tT1_PNSt15iterator_traitsISG_E10value_typeET2_T3_PNSH_ISM_E10value_typeET4_T5_PSR_SS_PNS1_23onesweep_lookback_stateEbbT6_jjT7_P12ihipStream_tbENKUlT_T0_SG_SL_E_clISA_SA_SB_SB_EEDaSZ_S10_SG_SL_EUlSZ_E_NS1_11comp_targetILNS1_3genE8ELNS1_11target_archE1030ELNS1_3gpuE2ELNS1_3repE0EEENS1_47radix_sort_onesweep_sort_config_static_selectorELNS0_4arch9wavefront6targetE0EEEvSG_.has_dyn_sized_stack, 0
	.set _ZN7rocprim17ROCPRIM_400000_NS6detail17trampoline_kernelINS0_14default_configENS1_35radix_sort_onesweep_config_selectorIlNS0_10empty_typeEEEZZNS1_29radix_sort_onesweep_iterationIS3_Lb0EPKlPlPS5_SB_mNS0_19identity_decomposerENS1_16block_id_wrapperIjLb1EEEEE10hipError_tT1_PNSt15iterator_traitsISG_E10value_typeET2_T3_PNSH_ISM_E10value_typeET4_T5_PSR_SS_PNS1_23onesweep_lookback_stateEbbT6_jjT7_P12ihipStream_tbENKUlT_T0_SG_SL_E_clISA_SA_SB_SB_EEDaSZ_S10_SG_SL_EUlSZ_E_NS1_11comp_targetILNS1_3genE8ELNS1_11target_archE1030ELNS1_3gpuE2ELNS1_3repE0EEENS1_47radix_sort_onesweep_sort_config_static_selectorELNS0_4arch9wavefront6targetE0EEEvSG_.has_recursion, 0
	.set _ZN7rocprim17ROCPRIM_400000_NS6detail17trampoline_kernelINS0_14default_configENS1_35radix_sort_onesweep_config_selectorIlNS0_10empty_typeEEEZZNS1_29radix_sort_onesweep_iterationIS3_Lb0EPKlPlPS5_SB_mNS0_19identity_decomposerENS1_16block_id_wrapperIjLb1EEEEE10hipError_tT1_PNSt15iterator_traitsISG_E10value_typeET2_T3_PNSH_ISM_E10value_typeET4_T5_PSR_SS_PNS1_23onesweep_lookback_stateEbbT6_jjT7_P12ihipStream_tbENKUlT_T0_SG_SL_E_clISA_SA_SB_SB_EEDaSZ_S10_SG_SL_EUlSZ_E_NS1_11comp_targetILNS1_3genE8ELNS1_11target_archE1030ELNS1_3gpuE2ELNS1_3repE0EEENS1_47radix_sort_onesweep_sort_config_static_selectorELNS0_4arch9wavefront6targetE0EEEvSG_.has_indirect_call, 0
	.section	.AMDGPU.csdata,"",@progbits
; Kernel info:
; codeLenInByte = 0
; TotalNumSgprs: 0
; NumVgprs: 0
; ScratchSize: 0
; MemoryBound: 0
; FloatMode: 240
; IeeeMode: 1
; LDSByteSize: 0 bytes/workgroup (compile time only)
; SGPRBlocks: 0
; VGPRBlocks: 0
; NumSGPRsForWavesPerEU: 1
; NumVGPRsForWavesPerEU: 1
; NamedBarCnt: 0
; Occupancy: 16
; WaveLimiterHint : 0
; COMPUTE_PGM_RSRC2:SCRATCH_EN: 0
; COMPUTE_PGM_RSRC2:USER_SGPR: 2
; COMPUTE_PGM_RSRC2:TRAP_HANDLER: 0
; COMPUTE_PGM_RSRC2:TGID_X_EN: 1
; COMPUTE_PGM_RSRC2:TGID_Y_EN: 0
; COMPUTE_PGM_RSRC2:TGID_Z_EN: 0
; COMPUTE_PGM_RSRC2:TIDIG_COMP_CNT: 0
	.section	.text._ZN7rocprim17ROCPRIM_400000_NS6detail17trampoline_kernelINS0_14default_configENS1_35radix_sort_onesweep_config_selectorIlNS0_10empty_typeEEEZZNS1_29radix_sort_onesweep_iterationIS3_Lb0EPKlPlPS5_SB_mNS0_19identity_decomposerENS1_16block_id_wrapperIjLb0EEEEE10hipError_tT1_PNSt15iterator_traitsISG_E10value_typeET2_T3_PNSH_ISM_E10value_typeET4_T5_PSR_SS_PNS1_23onesweep_lookback_stateEbbT6_jjT7_P12ihipStream_tbENKUlT_T0_SG_SL_E_clIS9_SA_SB_SB_EEDaSZ_S10_SG_SL_EUlSZ_E_NS1_11comp_targetILNS1_3genE0ELNS1_11target_archE4294967295ELNS1_3gpuE0ELNS1_3repE0EEENS1_47radix_sort_onesweep_sort_config_static_selectorELNS0_4arch9wavefront6targetE0EEEvSG_,"axG",@progbits,_ZN7rocprim17ROCPRIM_400000_NS6detail17trampoline_kernelINS0_14default_configENS1_35radix_sort_onesweep_config_selectorIlNS0_10empty_typeEEEZZNS1_29radix_sort_onesweep_iterationIS3_Lb0EPKlPlPS5_SB_mNS0_19identity_decomposerENS1_16block_id_wrapperIjLb0EEEEE10hipError_tT1_PNSt15iterator_traitsISG_E10value_typeET2_T3_PNSH_ISM_E10value_typeET4_T5_PSR_SS_PNS1_23onesweep_lookback_stateEbbT6_jjT7_P12ihipStream_tbENKUlT_T0_SG_SL_E_clIS9_SA_SB_SB_EEDaSZ_S10_SG_SL_EUlSZ_E_NS1_11comp_targetILNS1_3genE0ELNS1_11target_archE4294967295ELNS1_3gpuE0ELNS1_3repE0EEENS1_47radix_sort_onesweep_sort_config_static_selectorELNS0_4arch9wavefront6targetE0EEEvSG_,comdat
	.protected	_ZN7rocprim17ROCPRIM_400000_NS6detail17trampoline_kernelINS0_14default_configENS1_35radix_sort_onesweep_config_selectorIlNS0_10empty_typeEEEZZNS1_29radix_sort_onesweep_iterationIS3_Lb0EPKlPlPS5_SB_mNS0_19identity_decomposerENS1_16block_id_wrapperIjLb0EEEEE10hipError_tT1_PNSt15iterator_traitsISG_E10value_typeET2_T3_PNSH_ISM_E10value_typeET4_T5_PSR_SS_PNS1_23onesweep_lookback_stateEbbT6_jjT7_P12ihipStream_tbENKUlT_T0_SG_SL_E_clIS9_SA_SB_SB_EEDaSZ_S10_SG_SL_EUlSZ_E_NS1_11comp_targetILNS1_3genE0ELNS1_11target_archE4294967295ELNS1_3gpuE0ELNS1_3repE0EEENS1_47radix_sort_onesweep_sort_config_static_selectorELNS0_4arch9wavefront6targetE0EEEvSG_ ; -- Begin function _ZN7rocprim17ROCPRIM_400000_NS6detail17trampoline_kernelINS0_14default_configENS1_35radix_sort_onesweep_config_selectorIlNS0_10empty_typeEEEZZNS1_29radix_sort_onesweep_iterationIS3_Lb0EPKlPlPS5_SB_mNS0_19identity_decomposerENS1_16block_id_wrapperIjLb0EEEEE10hipError_tT1_PNSt15iterator_traitsISG_E10value_typeET2_T3_PNSH_ISM_E10value_typeET4_T5_PSR_SS_PNS1_23onesweep_lookback_stateEbbT6_jjT7_P12ihipStream_tbENKUlT_T0_SG_SL_E_clIS9_SA_SB_SB_EEDaSZ_S10_SG_SL_EUlSZ_E_NS1_11comp_targetILNS1_3genE0ELNS1_11target_archE4294967295ELNS1_3gpuE0ELNS1_3repE0EEENS1_47radix_sort_onesweep_sort_config_static_selectorELNS0_4arch9wavefront6targetE0EEEvSG_
	.globl	_ZN7rocprim17ROCPRIM_400000_NS6detail17trampoline_kernelINS0_14default_configENS1_35radix_sort_onesweep_config_selectorIlNS0_10empty_typeEEEZZNS1_29radix_sort_onesweep_iterationIS3_Lb0EPKlPlPS5_SB_mNS0_19identity_decomposerENS1_16block_id_wrapperIjLb0EEEEE10hipError_tT1_PNSt15iterator_traitsISG_E10value_typeET2_T3_PNSH_ISM_E10value_typeET4_T5_PSR_SS_PNS1_23onesweep_lookback_stateEbbT6_jjT7_P12ihipStream_tbENKUlT_T0_SG_SL_E_clIS9_SA_SB_SB_EEDaSZ_S10_SG_SL_EUlSZ_E_NS1_11comp_targetILNS1_3genE0ELNS1_11target_archE4294967295ELNS1_3gpuE0ELNS1_3repE0EEENS1_47radix_sort_onesweep_sort_config_static_selectorELNS0_4arch9wavefront6targetE0EEEvSG_
	.p2align	8
	.type	_ZN7rocprim17ROCPRIM_400000_NS6detail17trampoline_kernelINS0_14default_configENS1_35radix_sort_onesweep_config_selectorIlNS0_10empty_typeEEEZZNS1_29radix_sort_onesweep_iterationIS3_Lb0EPKlPlPS5_SB_mNS0_19identity_decomposerENS1_16block_id_wrapperIjLb0EEEEE10hipError_tT1_PNSt15iterator_traitsISG_E10value_typeET2_T3_PNSH_ISM_E10value_typeET4_T5_PSR_SS_PNS1_23onesweep_lookback_stateEbbT6_jjT7_P12ihipStream_tbENKUlT_T0_SG_SL_E_clIS9_SA_SB_SB_EEDaSZ_S10_SG_SL_EUlSZ_E_NS1_11comp_targetILNS1_3genE0ELNS1_11target_archE4294967295ELNS1_3gpuE0ELNS1_3repE0EEENS1_47radix_sort_onesweep_sort_config_static_selectorELNS0_4arch9wavefront6targetE0EEEvSG_,@function
_ZN7rocprim17ROCPRIM_400000_NS6detail17trampoline_kernelINS0_14default_configENS1_35radix_sort_onesweep_config_selectorIlNS0_10empty_typeEEEZZNS1_29radix_sort_onesweep_iterationIS3_Lb0EPKlPlPS5_SB_mNS0_19identity_decomposerENS1_16block_id_wrapperIjLb0EEEEE10hipError_tT1_PNSt15iterator_traitsISG_E10value_typeET2_T3_PNSH_ISM_E10value_typeET4_T5_PSR_SS_PNS1_23onesweep_lookback_stateEbbT6_jjT7_P12ihipStream_tbENKUlT_T0_SG_SL_E_clIS9_SA_SB_SB_EEDaSZ_S10_SG_SL_EUlSZ_E_NS1_11comp_targetILNS1_3genE0ELNS1_11target_archE4294967295ELNS1_3gpuE0ELNS1_3repE0EEENS1_47radix_sort_onesweep_sort_config_static_selectorELNS0_4arch9wavefront6targetE0EEEvSG_: ; @_ZN7rocprim17ROCPRIM_400000_NS6detail17trampoline_kernelINS0_14default_configENS1_35radix_sort_onesweep_config_selectorIlNS0_10empty_typeEEEZZNS1_29radix_sort_onesweep_iterationIS3_Lb0EPKlPlPS5_SB_mNS0_19identity_decomposerENS1_16block_id_wrapperIjLb0EEEEE10hipError_tT1_PNSt15iterator_traitsISG_E10value_typeET2_T3_PNSH_ISM_E10value_typeET4_T5_PSR_SS_PNS1_23onesweep_lookback_stateEbbT6_jjT7_P12ihipStream_tbENKUlT_T0_SG_SL_E_clIS9_SA_SB_SB_EEDaSZ_S10_SG_SL_EUlSZ_E_NS1_11comp_targetILNS1_3genE0ELNS1_11target_archE4294967295ELNS1_3gpuE0ELNS1_3repE0EEENS1_47radix_sort_onesweep_sort_config_static_selectorELNS0_4arch9wavefront6targetE0EEEvSG_
; %bb.0:
	s_clause 0x3
	s_load_b96 s[20:22], s[0:1], 0x44
	s_load_b64 s[10:11], s[0:1], 0x38
	s_load_b128 s[16:19], s[0:1], 0x0
	s_load_b128 s[12:15], s[0:1], 0x28
	s_bfe_u32 s2, ttmp6, 0x4000c
	s_and_b32 s3, ttmp6, 15
	s_add_co_i32 s2, s2, 1
	s_getreg_b32 s4, hwreg(HW_REG_IB_STS2, 6, 4)
	s_mul_i32 s2, ttmp9, s2
	v_and_b32_e32 v32, 0x3ff, v0
	s_add_co_i32 s2, s3, s2
	s_cmp_eq_u32 s4, 0
	v_mbcnt_lo_u32_b32 v33, -1, 0
	s_cselect_b32 s9, ttmp9, s2
	s_mov_b32 s3, 0
	s_mov_b32 s2, -1
	s_add_nc_u64 s[24:25], s[0:1], 0x58
	s_wait_kmcnt 0x0
	s_cmp_ge_u32 s9, s22
	s_cbranch_scc0 .LBB1225_66
; %bb.1:
	v_dual_lshlrev_b32 v2, 3, v32 :: v_dual_lshlrev_b32 v6, 3, v33
	s_load_b32 s4, s[0:1], 0x20
	s_lshl_b32 s2, s9, 12
	v_mov_b64_e32 v[4:5], -1
	s_delay_alu instid0(VALU_DEP_2) | instskip(SKIP_2) | instid1(SALU_CYCLE_1)
	v_and_b32_e32 v1, 0xf00, v2
	v_mov_b32_e32 v7, 0
	s_lshl_b64 s[2:3], s[2:3], 3
	s_add_nc_u64 s[2:3], s[16:17], s[2:3]
	s_delay_alu instid0(VALU_DEP_1) | instid1(SALU_CYCLE_1)
	v_add_nc_u64_e32 v[8:9], s[2:3], v[6:7]
	v_dual_lshlrev_b32 v6, 3, v1 :: v_dual_bitop2_b32 v1, v33, v1 bitop3:0x54
	s_lshl_b32 s2, s22, 12
	s_delay_alu instid0(VALU_DEP_1)
	v_add_nc_u64_e32 v[20:21], v[8:9], v[6:7]
	v_mov_b64_e32 v[6:7], -1
	s_wait_kmcnt 0x0
	s_sub_co_i32 s22, s4, s2
	s_mov_b32 s2, exec_lo
	v_cmpx_gt_u32_e64 s22, v1
	s_cbranch_execz .LBB1225_3
; %bb.2:
	global_load_b64 v[6:7], v[20:21], off
	s_wait_loadcnt 0x0
	v_xor_b32_e32 v7, 0x80000000, v7
.LBB1225_3:
	s_or_b32 exec_lo, exec_lo, s2
	v_or_b32_e32 v3, 32, v1
	s_mov_b32 s2, exec_lo
	s_delay_alu instid0(VALU_DEP_1)
	v_cmpx_gt_u32_e64 s22, v3
	s_cbranch_execz .LBB1225_5
; %bb.4:
	global_load_b64 v[4:5], v[20:21], off offset:256
	s_wait_loadcnt 0x0
	v_xor_b32_e32 v5, 0x80000000, v5
.LBB1225_5:
	s_or_b32 exec_lo, exec_lo, s2
	v_mov_b64_e32 v[8:9], -1
	v_mov_b64_e32 v[10:11], -1
	v_or_b32_e32 v3, 64, v1
	s_mov_b32 s2, exec_lo
	s_delay_alu instid0(VALU_DEP_1)
	v_cmpx_gt_u32_e64 s22, v3
	s_cbranch_execz .LBB1225_7
; %bb.6:
	global_load_b64 v[10:11], v[20:21], off offset:512
	s_wait_loadcnt 0x0
	v_xor_b32_e32 v11, 0x80000000, v11
.LBB1225_7:
	s_or_b32 exec_lo, exec_lo, s2
	v_or_b32_e32 v3, 0x60, v1
	s_mov_b32 s2, exec_lo
	s_delay_alu instid0(VALU_DEP_1)
	v_cmpx_gt_u32_e64 s22, v3
	s_cbranch_execz .LBB1225_9
; %bb.8:
	global_load_b64 v[8:9], v[20:21], off offset:768
	s_wait_loadcnt 0x0
	v_xor_b32_e32 v9, 0x80000000, v9
.LBB1225_9:
	s_or_b32 exec_lo, exec_lo, s2
	v_mov_b64_e32 v[12:13], -1
	v_mov_b64_e32 v[14:15], -1
	v_or_b32_e32 v3, 0x80, v1
	s_mov_b32 s2, exec_lo
	s_delay_alu instid0(VALU_DEP_1)
	v_cmpx_gt_u32_e64 s22, v3
	s_cbranch_execz .LBB1225_11
; %bb.10:
	global_load_b64 v[14:15], v[20:21], off offset:1024
	s_wait_loadcnt 0x0
	v_xor_b32_e32 v15, 0x80000000, v15
.LBB1225_11:
	;; [unrolled: 24-line block ×3, first 2 shown]
	s_or_b32 exec_lo, exec_lo, s2
	v_or_b32_e32 v1, 0xe0, v1
	s_mov_b32 s2, exec_lo
	s_delay_alu instid0(VALU_DEP_1)
	v_cmpx_gt_u32_e64 s22, v1
	s_cbranch_execz .LBB1225_17
; %bb.16:
	global_load_b64 v[16:17], v[20:21], off offset:1792
	s_wait_loadcnt 0x0
	v_xor_b32_e32 v17, 0x80000000, v17
.LBB1225_17:
	s_or_b32 exec_lo, exec_lo, s2
	s_clause 0x1
	s_load_b32 s23, s[0:1], 0x58
	s_load_u16 s4, s[0:1], 0x66
	v_lshrrev_b64 v[20:21], s20, v[6:7]
	v_bfe_u32 v1, v0, 10, 10
	v_bfe_u32 v3, v0, 20, 10
	s_mov_b32 s3, 0
	s_wait_kmcnt 0x0
	s_cmp_lt_u32 s9, s23
	s_delay_alu instid0(VALU_DEP_1)
	v_mad_u32_u24 v1, v3, s4, v1
	s_cselect_b32 s2, 12, 18
	s_lshl_b32 s26, -1, s21
	s_add_nc_u64 s[2:3], s[24:25], s[2:3]
	v_bitop3_b32 v3, v20, 1, s26 bitop3:0x40
	s_load_u16 s27, s[2:3], 0x0
	v_bitop3_b32 v22, v20, s26, v20 bitop3:0x30
	s_wait_xcnt 0x0
	s_delay_alu instid0(VALU_DEP_2) | instskip(NEXT) | instid1(VALU_DEP_1)
	v_add_co_u32 v3, s2, v3, -1
	v_cndmask_b32_e64 v20, 0, 1, s2
	s_delay_alu instid0(VALU_DEP_3) | instskip(SKIP_1) | instid1(VALU_DEP_3)
	v_dual_lshlrev_b32 v21, 30, v22 :: v_dual_lshlrev_b32 v23, 29, v22
	v_dual_lshlrev_b32 v24, 28, v22 :: v_dual_lshlrev_b32 v25, 27, v22
	v_cmp_ne_u32_e32 vcc_lo, 0, v20
	s_delay_alu instid0(VALU_DEP_3)
	v_not_b32_e32 v20, v21
	v_dual_lshlrev_b32 v26, 26, v22 :: v_dual_lshlrev_b32 v27, 25, v22
	v_lshlrev_b32_e32 v28, 24, v22
	v_cmp_gt_i32_e64 s2, 0, v21
	v_cmp_gt_i32_e64 s3, 0, v23
	v_not_b32_e32 v21, v23
	v_not_b32_e32 v23, v24
	v_ashrrev_i32_e32 v20, 31, v20
	s_wait_kmcnt 0x0
	v_mad_u32 v1, v1, s27, v32
	v_cmp_gt_i32_e64 s4, 0, v24
	v_cmp_gt_i32_e64 s5, 0, v25
	v_not_b32_e32 v24, v25
	v_not_b32_e32 v25, v26
	v_dual_ashrrev_i32 v21, 31, v21 :: v_dual_bitop2_b32 v3, vcc_lo, v3 bitop3:0x14
	s_delay_alu instid0(VALU_DEP_3) | instskip(NEXT) | instid1(VALU_DEP_3)
	v_dual_ashrrev_i32 v23, 31, v23 :: v_dual_ashrrev_i32 v24, 31, v24
	v_dual_ashrrev_i32 v25, 31, v25 :: v_dual_bitop2_b32 v20, s2, v20 bitop3:0x14
	v_cmp_gt_i32_e64 s6, 0, v26
	v_cmp_gt_i32_e64 s7, 0, v27
	v_not_b32_e32 v26, v27
	v_not_b32_e32 v27, v28
	v_xor_b32_e32 v21, s3, v21
	v_dual_lshrrev_b32 v1, 5, v1 :: v_dual_bitop2_b32 v23, s4, v23 bitop3:0x14
	v_bitop3_b32 v3, v3, v20, exec_lo bitop3:0x80
	v_cmp_gt_i32_e64 s8, 0, v28
	v_dual_ashrrev_i32 v20, 31, v26 :: v_dual_ashrrev_i32 v26, 31, v27
	v_xor_b32_e32 v24, s5, v24
	v_xor_b32_e32 v25, s6, v25
	v_bitop3_b32 v3, v3, v23, v21 bitop3:0x80
	s_delay_alu instid0(VALU_DEP_4) | instskip(SKIP_1) | instid1(VALU_DEP_3)
	v_dual_mov_b32 v23, 0 :: v_dual_bitop2_b32 v21, s7, v20 bitop3:0x14
	v_dual_lshlrev_b32 v20, 2, v1 :: v_dual_bitop2_b32 v26, s8, v26 bitop3:0x14
	v_bitop3_b32 v24, v3, v25, v24 bitop3:0x80
	v_mul_u32_u24_e32 v3, 36, v32
	s_not_b32 s6, s26
	s_delay_alu instid0(VALU_DEP_3)
	v_mad_u32 v28, 0x44, v22, v20
	ds_store_2addr_b32 v3, v23, v23 offset0:16 offset1:17
	ds_store_2addr_b32 v3, v23, v23 offset0:18 offset1:19
	;; [unrolled: 1-line block ×4, first 2 shown]
	v_bitop3_b32 v21, v24, v26, v21 bitop3:0x80
	ds_store_b32 v3, v23 offset:96
	s_wait_dscnt 0x0
	s_barrier_signal -1
	s_barrier_wait -1
	v_mbcnt_lo_u32_b32 v1, v21, 0
	v_cmp_ne_u32_e64 s2, 0, v21
	; wave barrier
	s_delay_alu instid0(VALU_DEP_2) | instskip(SKIP_1) | instid1(SALU_CYCLE_1)
	v_cmp_eq_u32_e32 vcc_lo, 0, v1
	s_and_b32 s3, s2, vcc_lo
	s_and_saveexec_b32 s2, s3
; %bb.18:
	v_bcnt_u32_b32 v21, v21, 0
	ds_store_b32 v28, v21 offset:64
; %bb.19:
	s_or_b32 exec_lo, exec_lo, s2
	v_lshrrev_b64 v[22:23], s20, v[4:5]
	; wave barrier
	s_delay_alu instid0(VALU_DEP_1) | instskip(SKIP_1) | instid1(VALU_DEP_2)
	v_and_b32_e32 v21, s6, v22
	v_bitop3_b32 v22, v22, 1, s6 bitop3:0x80
	v_lshlrev_b32_e32 v24, 30, v21
	s_delay_alu instid0(VALU_DEP_2) | instskip(NEXT) | instid1(VALU_DEP_1)
	v_add_co_u32 v22, s2, v22, -1
	v_cndmask_b32_e64 v23, 0, 1, s2
	s_delay_alu instid0(VALU_DEP_1) | instskip(NEXT) | instid1(VALU_DEP_4)
	v_cmp_ne_u32_e32 vcc_lo, 0, v23
	v_not_b32_e32 v23, v24
	s_delay_alu instid0(VALU_DEP_1) | instskip(SKIP_4) | instid1(VALU_DEP_4)
	v_dual_ashrrev_i32 v23, 31, v23 :: v_dual_bitop2_b32 v22, vcc_lo, v22 bitop3:0x14
	v_dual_lshlrev_b32 v25, 29, v21 :: v_dual_lshlrev_b32 v26, 28, v21
	v_lshlrev_b32_e32 v27, 27, v21
	v_cmp_gt_i32_e64 s2, 0, v24
	v_mad_u32 v29, 0x44, v21, v20
	v_cmp_gt_i32_e64 s3, 0, v25
	v_not_b32_e32 v24, v25
	v_not_b32_e32 v25, v26
	v_dual_lshlrev_b32 v30, 26, v21 :: v_dual_lshlrev_b32 v31, 25, v21
	v_lshlrev_b32_e32 v21, 24, v21
	v_cmp_gt_i32_e64 s4, 0, v26
	v_not_b32_e32 v26, v27
	v_dual_ashrrev_i32 v24, 31, v24 :: v_dual_ashrrev_i32 v25, 31, v25
	v_xor_b32_e32 v23, s2, v23
	v_cmp_gt_i32_e64 s5, 0, v27
	v_not_b32_e32 v27, v30
	s_delay_alu instid0(VALU_DEP_4)
	v_dual_ashrrev_i32 v26, 31, v26 :: v_dual_bitop2_b32 v24, s3, v24 bitop3:0x14
	v_xor_b32_e32 v25, s4, v25
	v_bitop3_b32 v22, v22, v23, exec_lo bitop3:0x80
	v_cmp_gt_i32_e32 vcc_lo, 0, v30
	v_ashrrev_i32_e32 v23, 31, v27
	v_not_b32_e32 v27, v31
	v_xor_b32_e32 v26, s5, v26
	v_bitop3_b32 v22, v22, v25, v24 bitop3:0x80
	v_not_b32_e32 v24, v21
	v_xor_b32_e32 v23, vcc_lo, v23
	v_cmp_gt_i32_e32 vcc_lo, 0, v31
	v_ashrrev_i32_e32 v25, 31, v27
	v_cmp_gt_i32_e64 s2, 0, v21
	v_ashrrev_i32_e32 v21, 31, v24
	v_bitop3_b32 v22, v22, v23, v26 bitop3:0x80
	ds_load_b32 v34, v29 offset:64
	v_xor_b32_e32 v23, vcc_lo, v25
	v_xor_b32_e32 v21, s2, v21
	; wave barrier
	s_delay_alu instid0(VALU_DEP_1) | instskip(NEXT) | instid1(VALU_DEP_1)
	v_bitop3_b32 v21, v22, v21, v23 bitop3:0x80
	v_mbcnt_lo_u32_b32 v35, v21, 0
	v_cmp_ne_u32_e64 s2, 0, v21
	s_delay_alu instid0(VALU_DEP_2) | instskip(SKIP_1) | instid1(SALU_CYCLE_1)
	v_cmp_eq_u32_e32 vcc_lo, 0, v35
	s_and_b32 s3, s2, vcc_lo
	s_and_saveexec_b32 s2, s3
	s_cbranch_execz .LBB1225_21
; %bb.20:
	s_wait_dscnt 0x0
	v_bcnt_u32_b32 v21, v21, v34
	ds_store_b32 v29, v21 offset:64
.LBB1225_21:
	s_or_b32 exec_lo, exec_lo, s2
	v_lshrrev_b64 v[22:23], s20, v[10:11]
	; wave barrier
	s_delay_alu instid0(VALU_DEP_1) | instskip(SKIP_1) | instid1(VALU_DEP_2)
	v_and_b32_e32 v21, s6, v22
	v_bitop3_b32 v22, v22, 1, s6 bitop3:0x80
	v_lshlrev_b32_e32 v24, 30, v21
	s_delay_alu instid0(VALU_DEP_2) | instskip(NEXT) | instid1(VALU_DEP_1)
	v_add_co_u32 v22, s2, v22, -1
	v_cndmask_b32_e64 v23, 0, 1, s2
	s_delay_alu instid0(VALU_DEP_1) | instskip(NEXT) | instid1(VALU_DEP_4)
	v_cmp_ne_u32_e32 vcc_lo, 0, v23
	v_not_b32_e32 v23, v24
	s_delay_alu instid0(VALU_DEP_1) | instskip(SKIP_4) | instid1(VALU_DEP_4)
	v_dual_ashrrev_i32 v23, 31, v23 :: v_dual_bitop2_b32 v22, vcc_lo, v22 bitop3:0x14
	v_dual_lshlrev_b32 v25, 29, v21 :: v_dual_lshlrev_b32 v26, 28, v21
	v_lshlrev_b32_e32 v27, 27, v21
	v_cmp_gt_i32_e64 s2, 0, v24
	v_mad_u32 v30, 0x44, v21, v20
	v_cmp_gt_i32_e64 s3, 0, v25
	v_not_b32_e32 v24, v25
	v_not_b32_e32 v25, v26
	v_dual_lshlrev_b32 v31, 26, v21 :: v_dual_lshlrev_b32 v36, 25, v21
	v_lshlrev_b32_e32 v21, 24, v21
	v_cmp_gt_i32_e64 s4, 0, v26
	v_not_b32_e32 v26, v27
	v_dual_ashrrev_i32 v24, 31, v24 :: v_dual_ashrrev_i32 v25, 31, v25
	v_xor_b32_e32 v23, s2, v23
	v_cmp_gt_i32_e64 s5, 0, v27
	v_not_b32_e32 v27, v31
	s_delay_alu instid0(VALU_DEP_4)
	v_dual_ashrrev_i32 v26, 31, v26 :: v_dual_bitop2_b32 v24, s3, v24 bitop3:0x14
	v_xor_b32_e32 v25, s4, v25
	v_bitop3_b32 v22, v22, v23, exec_lo bitop3:0x80
	v_cmp_gt_i32_e32 vcc_lo, 0, v31
	v_ashrrev_i32_e32 v23, 31, v27
	v_not_b32_e32 v27, v36
	v_xor_b32_e32 v26, s5, v26
	v_bitop3_b32 v22, v22, v25, v24 bitop3:0x80
	v_not_b32_e32 v24, v21
	v_xor_b32_e32 v23, vcc_lo, v23
	v_cmp_gt_i32_e32 vcc_lo, 0, v36
	v_ashrrev_i32_e32 v25, 31, v27
	v_cmp_gt_i32_e64 s2, 0, v21
	v_ashrrev_i32_e32 v21, 31, v24
	v_bitop3_b32 v22, v22, v23, v26 bitop3:0x80
	ds_load_b32 v36, v30 offset:64
	v_xor_b32_e32 v23, vcc_lo, v25
	v_xor_b32_e32 v21, s2, v21
	; wave barrier
	s_delay_alu instid0(VALU_DEP_1) | instskip(NEXT) | instid1(VALU_DEP_1)
	v_bitop3_b32 v21, v22, v21, v23 bitop3:0x80
	v_mbcnt_lo_u32_b32 v37, v21, 0
	v_cmp_ne_u32_e64 s2, 0, v21
	s_delay_alu instid0(VALU_DEP_2) | instskip(SKIP_1) | instid1(SALU_CYCLE_1)
	v_cmp_eq_u32_e32 vcc_lo, 0, v37
	s_and_b32 s3, s2, vcc_lo
	s_and_saveexec_b32 s2, s3
	s_cbranch_execz .LBB1225_23
; %bb.22:
	s_wait_dscnt 0x0
	v_bcnt_u32_b32 v21, v21, v36
	ds_store_b32 v30, v21 offset:64
.LBB1225_23:
	;; [unrolled: 64-line block ×6, first 2 shown]
	s_or_b32 exec_lo, exec_lo, s2
	v_lshrrev_b64 v[22:23], s20, v[16:17]
	; wave barrier
	s_delay_alu instid0(VALU_DEP_1) | instskip(SKIP_1) | instid1(VALU_DEP_2)
	v_and_b32_e32 v21, s6, v22
	v_bitop3_b32 v22, v22, 1, s6 bitop3:0x80
	v_mad_u32 v51, 0x44, v21, v20
	s_delay_alu instid0(VALU_DEP_2) | instskip(NEXT) | instid1(VALU_DEP_1)
	v_add_co_u32 v20, s2, v22, -1
	v_cndmask_b32_e64 v22, 0, 1, s2
	v_lshlrev_b32_e32 v23, 30, v21
	s_delay_alu instid0(VALU_DEP_2) | instskip(NEXT) | instid1(VALU_DEP_2)
	v_cmp_ne_u32_e32 vcc_lo, 0, v22
	v_not_b32_e32 v22, v23
	s_delay_alu instid0(VALU_DEP_1) | instskip(SKIP_4) | instid1(VALU_DEP_4)
	v_dual_ashrrev_i32 v22, 31, v22 :: v_dual_bitop2_b32 v20, vcc_lo, v20 bitop3:0x14
	v_dual_lshlrev_b32 v24, 29, v21 :: v_dual_lshlrev_b32 v25, 28, v21
	v_lshlrev_b32_e32 v26, 27, v21
	v_cmp_gt_i32_e64 s2, 0, v23
	v_dual_lshlrev_b32 v27, 26, v21 :: v_dual_lshlrev_b32 v49, 25, v21
	v_cmp_gt_i32_e64 s3, 0, v24
	v_not_b32_e32 v23, v24
	v_not_b32_e32 v24, v25
	v_lshlrev_b32_e32 v21, 24, v21
	v_cmp_gt_i32_e64 s4, 0, v25
	v_not_b32_e32 v25, v26
	s_delay_alu instid0(VALU_DEP_4) | instskip(SKIP_3) | instid1(VALU_DEP_4)
	v_dual_ashrrev_i32 v23, 31, v23 :: v_dual_ashrrev_i32 v24, 31, v24
	v_xor_b32_e32 v22, s2, v22
	v_cmp_gt_i32_e64 s5, 0, v26
	v_not_b32_e32 v26, v27
	v_dual_ashrrev_i32 v25, 31, v25 :: v_dual_bitop2_b32 v23, s3, v23 bitop3:0x14
	v_xor_b32_e32 v24, s4, v24
	v_bitop3_b32 v20, v20, v22, exec_lo bitop3:0x80
	v_cmp_gt_i32_e32 vcc_lo, 0, v27
	v_ashrrev_i32_e32 v22, 31, v26
	v_not_b32_e32 v26, v49
	v_xor_b32_e32 v25, s5, v25
	v_bitop3_b32 v20, v20, v24, v23 bitop3:0x80
	v_not_b32_e32 v23, v21
	v_xor_b32_e32 v22, vcc_lo, v22
	v_cmp_gt_i32_e32 vcc_lo, 0, v49
	v_ashrrev_i32_e32 v24, 31, v26
	v_cmp_gt_i32_e64 s2, 0, v21
	v_ashrrev_i32_e32 v21, 31, v23
	v_bitop3_b32 v20, v20, v22, v25 bitop3:0x80
	ds_load_b32 v49, v51 offset:64
	v_xor_b32_e32 v22, vcc_lo, v24
	v_xor_b32_e32 v21, s2, v21
	; wave barrier
	s_delay_alu instid0(VALU_DEP_1) | instskip(NEXT) | instid1(VALU_DEP_1)
	v_bitop3_b32 v20, v20, v21, v22 bitop3:0x80
	v_mbcnt_lo_u32_b32 v50, v20, 0
	v_cmp_ne_u32_e64 s2, 0, v20
	s_delay_alu instid0(VALU_DEP_2) | instskip(SKIP_1) | instid1(SALU_CYCLE_1)
	v_cmp_eq_u32_e32 vcc_lo, 0, v50
	s_and_b32 s3, s2, vcc_lo
	s_and_saveexec_b32 s2, s3
	s_cbranch_execz .LBB1225_33
; %bb.32:
	s_wait_dscnt 0x0
	v_bcnt_u32_b32 v20, v20, v49
	ds_store_b32 v51, v20 offset:64
.LBB1225_33:
	s_or_b32 exec_lo, exec_lo, s2
	; wave barrier
	s_wait_dscnt 0x0
	s_barrier_signal -1
	s_barrier_wait -1
	ds_load_2addr_b32 v[26:27], v3 offset0:16 offset1:17
	ds_load_2addr_b32 v[24:25], v3 offset0:18 offset1:19
	;; [unrolled: 1-line block ×4, first 2 shown]
	ds_load_b32 v52, v3 offset:96
	v_bfe_i32 v55, v33, 4, 1
	s_mov_b32 s7, exec_lo
	s_wait_dscnt 0x3
	v_add3_u32 v53, v27, v26, v24
	s_wait_dscnt 0x2
	s_delay_alu instid0(VALU_DEP_1) | instskip(SKIP_1) | instid1(VALU_DEP_1)
	v_add3_u32 v53, v53, v25, v22
	s_wait_dscnt 0x1
	v_add3_u32 v53, v53, v23, v20
	s_wait_dscnt 0x0
	s_delay_alu instid0(VALU_DEP_1) | instskip(SKIP_1) | instid1(VALU_DEP_2)
	v_add3_u32 v52, v53, v21, v52
	v_and_b32_e32 v53, 15, v33
	v_mov_b32_dpp v54, v52 row_shr:1 row_mask:0xf bank_mask:0xf
	s_delay_alu instid0(VALU_DEP_2) | instskip(NEXT) | instid1(VALU_DEP_2)
	v_cmp_eq_u32_e32 vcc_lo, 0, v53
	v_cndmask_b32_e64 v54, v54, 0, vcc_lo
	s_delay_alu instid0(VALU_DEP_1) | instskip(SKIP_3) | instid1(VALU_DEP_4)
	v_add_nc_u32_e32 v52, v54, v52
	v_cmp_lt_u32_e64 s2, 1, v53
	v_cmp_lt_u32_e64 s3, 3, v53
	;; [unrolled: 1-line block ×3, first 2 shown]
	v_mov_b32_dpp v54, v52 row_shr:2 row_mask:0xf bank_mask:0xf
	s_delay_alu instid0(VALU_DEP_1) | instskip(NEXT) | instid1(VALU_DEP_1)
	v_cndmask_b32_e64 v54, 0, v54, s2
	v_add_nc_u32_e32 v52, v52, v54
	s_delay_alu instid0(VALU_DEP_1) | instskip(NEXT) | instid1(VALU_DEP_1)
	v_mov_b32_dpp v54, v52 row_shr:4 row_mask:0xf bank_mask:0xf
	v_cndmask_b32_e64 v54, 0, v54, s3
	s_delay_alu instid0(VALU_DEP_1) | instskip(NEXT) | instid1(VALU_DEP_1)
	v_add_nc_u32_e32 v52, v52, v54
	v_mov_b32_dpp v54, v52 row_shr:8 row_mask:0xf bank_mask:0xf
	s_delay_alu instid0(VALU_DEP_1) | instskip(SKIP_1) | instid1(VALU_DEP_2)
	v_cndmask_b32_e64 v53, 0, v54, s4
	v_and_b32_e32 v54, 0x3e0, v32
	v_add_nc_u32_e32 v52, v52, v53
	s_delay_alu instid0(VALU_DEP_2) | instskip(SKIP_3) | instid1(VALU_DEP_1)
	v_min_u32_e32 v54, 0x1e0, v54
	ds_swizzle_b32 v53, v52 offset:swizzle(BROADCAST,32,15)
	s_wait_dscnt 0x0
	v_dual_lshrrev_b32 v53, 5, v32 :: v_dual_bitop2_b32 v55, v55, v53 bitop3:0x40
	v_dual_add_nc_u32 v52, v52, v55 :: v_dual_bitop2_b32 v54, 31, v54 bitop3:0x54
	s_delay_alu instid0(VALU_DEP_1)
	v_cmpx_eq_u32_e64 v32, v54
; %bb.34:
	s_delay_alu instid0(VALU_DEP_3)
	v_lshlrev_b32_e32 v54, 2, v53
	ds_store_b32 v54, v52
; %bb.35:
	s_or_b32 exec_lo, exec_lo, s7
	s_delay_alu instid0(SALU_CYCLE_1)
	s_mov_b32 s7, exec_lo
	s_wait_dscnt 0x0
	s_barrier_signal -1
	s_barrier_wait -1
	v_cmpx_gt_u32_e32 16, v32
	s_cbranch_execz .LBB1225_37
; %bb.36:
	v_lshlrev_b32_e32 v54, 2, v32
	ds_load_b32 v55, v54
	s_wait_dscnt 0x0
	v_mov_b32_dpp v56, v55 row_shr:1 row_mask:0xf bank_mask:0xf
	s_delay_alu instid0(VALU_DEP_1) | instskip(NEXT) | instid1(VALU_DEP_1)
	v_cndmask_b32_e64 v56, v56, 0, vcc_lo
	v_add_nc_u32_e32 v55, v56, v55
	s_delay_alu instid0(VALU_DEP_1) | instskip(NEXT) | instid1(VALU_DEP_1)
	v_mov_b32_dpp v56, v55 row_shr:2 row_mask:0xf bank_mask:0xf
	v_cndmask_b32_e64 v56, 0, v56, s2
	s_delay_alu instid0(VALU_DEP_1) | instskip(NEXT) | instid1(VALU_DEP_1)
	v_add_nc_u32_e32 v55, v55, v56
	v_mov_b32_dpp v56, v55 row_shr:4 row_mask:0xf bank_mask:0xf
	s_delay_alu instid0(VALU_DEP_1) | instskip(NEXT) | instid1(VALU_DEP_1)
	v_cndmask_b32_e64 v56, 0, v56, s3
	v_add_nc_u32_e32 v55, v55, v56
	s_delay_alu instid0(VALU_DEP_1) | instskip(NEXT) | instid1(VALU_DEP_1)
	v_mov_b32_dpp v56, v55 row_shr:8 row_mask:0xf bank_mask:0xf
	v_cndmask_b32_e64 v56, 0, v56, s4
	s_delay_alu instid0(VALU_DEP_1)
	v_add_nc_u32_e32 v55, v55, v56
	ds_store_b32 v54, v55
.LBB1225_37:
	s_or_b32 exec_lo, exec_lo, s7
	v_mov_b32_e32 v54, 0
	s_mov_b32 s2, exec_lo
	s_wait_dscnt 0x0
	s_barrier_signal -1
	s_barrier_wait -1
	v_cmpx_lt_u32_e32 31, v32
; %bb.38:
	v_lshl_add_u32 v53, v53, 2, -4
	ds_load_b32 v54, v53
; %bb.39:
	s_or_b32 exec_lo, exec_lo, s2
	v_sub_co_u32 v53, vcc_lo, v33, 1
	s_wait_dscnt 0x0
	v_add_nc_u32_e32 v52, v54, v52
	s_delay_alu instid0(VALU_DEP_2) | instskip(NEXT) | instid1(VALU_DEP_1)
	v_cmp_gt_i32_e64 s2, 0, v53
	v_cndmask_b32_e64 v53, v53, v33, s2
	v_cmp_lt_u32_e64 s2, 0xff, v32
	s_delay_alu instid0(VALU_DEP_2) | instskip(SKIP_4) | instid1(VALU_DEP_2)
	v_lshlrev_b32_e32 v53, 2, v53
	ds_bpermute_b32 v52, v53, v52
	s_wait_dscnt 0x0
	v_cndmask_b32_e32 v52, v52, v54, vcc_lo
	v_cmp_ne_u32_e32 vcc_lo, 0, v32
	v_cndmask_b32_e32 v52, 0, v52, vcc_lo
	v_cmp_gt_u32_e32 vcc_lo, 0x100, v32
	s_delay_alu instid0(VALU_DEP_2) | instskip(NEXT) | instid1(VALU_DEP_1)
	v_add_nc_u32_e32 v26, v52, v26
	v_add_nc_u32_e32 v27, v26, v27
	s_delay_alu instid0(VALU_DEP_1) | instskip(NEXT) | instid1(VALU_DEP_1)
	v_add_nc_u32_e32 v24, v27, v24
	v_add_nc_u32_e32 v25, v24, v25
	s_delay_alu instid0(VALU_DEP_1) | instskip(NEXT) | instid1(VALU_DEP_1)
	;; [unrolled: 3-line block ×3, first 2 shown]
	v_add_nc_u32_e32 v20, v23, v20
	v_add_nc_u32_e32 v21, v20, v21
	ds_store_2addr_b32 v3, v52, v26 offset0:16 offset1:17
	ds_store_2addr_b32 v3, v27, v24 offset0:18 offset1:19
	;; [unrolled: 1-line block ×4, first 2 shown]
	ds_store_b32 v3, v21 offset:96
	s_wait_dscnt 0x0
	s_barrier_signal -1
	s_barrier_wait -1
	ds_load_b32 v54, v28 offset:64
	ds_load_b32 v23, v29 offset:64
	;; [unrolled: 1-line block ×8, first 2 shown]
	v_mov_b64_e32 v[20:21], 0
                                        ; implicit-def: $vgpr22
	s_and_saveexec_b32 s4, vcc_lo
	s_cbranch_execz .LBB1225_43
; %bb.40:
	v_mul_u32_u24_e32 v3, 0x44, v32
	v_add_nc_u32_e32 v21, 1, v32
	s_mov_b32 s5, exec_lo
	ds_load_b32 v20, v3 offset:64
	v_mov_b32_e32 v3, 0x1000
	v_cmpx_ne_u32_e32 0x100, v21
; %bb.41:
	v_mul_u32_u24_e32 v3, 0x44, v21
	ds_load_b32 v3, v3 offset:64
; %bb.42:
	s_or_b32 exec_lo, exec_lo, s5
	s_wait_dscnt 0x0
	v_dual_mov_b32 v21, 0 :: v_dual_sub_nc_u32 v22, v3, v20
.LBB1225_43:
	s_or_b32 exec_lo, exec_lo, s4
	v_mov_b32_e32 v25, 0
	s_wait_dscnt 0x0
	s_barrier_signal -1
	s_barrier_wait -1
	s_and_saveexec_b32 s3, vcc_lo
	s_cbranch_execz .LBB1225_53
; %bb.44:
	v_lshl_add_u32 v24, s9, 8, v32
	v_dual_mov_b32 v28, 0 :: v_dual_bitop2_b32 v3, 2.0, v22 bitop3:0x54
	s_mov_b32 s4, 0
	s_mov_b32 s5, s9
	s_delay_alu instid0(VALU_DEP_2)
	v_lshl_add_u64 v[26:27], v[24:25], 2, s[10:11]
	global_store_b32 v24, v3, s[10:11] scale_offset scope:SCOPE_DEV
                                        ; implicit-def: $sgpr7
	s_branch .LBB1225_47
.LBB1225_45:                            ;   in Loop: Header=BB1225_47 Depth=1
	s_or_b32 exec_lo, exec_lo, s8
.LBB1225_46:                            ;   in Loop: Header=BB1225_47 Depth=1
	s_delay_alu instid0(SALU_CYCLE_1) | instskip(SKIP_2) | instid1(VALU_DEP_2)
	s_or_b32 exec_lo, exec_lo, s7
	v_and_b32_e32 v24, 0x3fffffff, v3
	v_cmp_gt_i32_e64 s7, -2.0, v3
	v_add_nc_u32_e32 v28, v24, v28
	s_and_b32 s8, exec_lo, s7
	s_delay_alu instid0(SALU_CYCLE_1) | instskip(NEXT) | instid1(SALU_CYCLE_1)
	s_or_b32 s4, s8, s4
	s_and_not1_b32 exec_lo, exec_lo, s4
	s_cbranch_execz .LBB1225_52
.LBB1225_47:                            ; =>This Loop Header: Depth=1
                                        ;     Child Loop BB1225_50 Depth 2
	s_or_b32 s7, s7, exec_lo
	s_cmp_eq_u32 s5, 0
	s_cbranch_scc1 .LBB1225_51
; %bb.48:                               ;   in Loop: Header=BB1225_47 Depth=1
	s_add_co_i32 s5, s5, -1
	s_mov_b32 s7, exec_lo
	s_wait_xcnt 0x0
	v_lshl_or_b32 v24, s5, 8, v32
	global_load_b32 v3, v24, s[10:11] scale_offset scope:SCOPE_DEV
	s_wait_loadcnt 0x0
	v_cmpx_gt_u32_e32 2.0, v3
	s_cbranch_execz .LBB1225_46
; %bb.49:                               ;   in Loop: Header=BB1225_47 Depth=1
	v_lshl_add_u64 v[30:31], v[24:25], 2, s[10:11]
	s_mov_b32 s8, 0
.LBB1225_50:                            ;   Parent Loop BB1225_47 Depth=1
                                        ; =>  This Inner Loop Header: Depth=2
	global_load_b32 v3, v[30:31], off scope:SCOPE_DEV
	s_wait_loadcnt 0x0
	v_cmp_lt_u32_e32 vcc_lo, 0x3fffffff, v3
	s_or_b32 s8, vcc_lo, s8
	s_wait_xcnt 0x0
	s_and_not1_b32 exec_lo, exec_lo, s8
	s_cbranch_execnz .LBB1225_50
	s_branch .LBB1225_45
.LBB1225_51:                            ;   in Loop: Header=BB1225_47 Depth=1
                                        ; implicit-def: $sgpr5
	s_and_b32 s8, exec_lo, s7
	s_delay_alu instid0(SALU_CYCLE_1)
	s_or_b32 s4, s8, s4
	s_wait_xcnt 0x0
	s_and_not1_b32 exec_lo, exec_lo, s4
	s_cbranch_execnz .LBB1225_47
.LBB1225_52:
	s_or_b32 exec_lo, exec_lo, s4
	v_dual_add_nc_u32 v3, v28, v22 :: v_dual_mov_b32 v29, 0
	s_delay_alu instid0(VALU_DEP_1)
	v_or_b32_e32 v3, 0x80000000, v3
	global_store_b32 v[26:27], v3, off scope:SCOPE_DEV
	global_load_b64 v[24:25], v32, s[12:13] scale_offset
	s_wait_xcnt 0x1
	v_sub_nc_u64_e32 v[26:27], v[28:29], v[20:21]
	s_wait_loadcnt 0x0
	s_delay_alu instid0(VALU_DEP_1)
	v_add_nc_u64_e32 v[24:25], v[26:27], v[24:25]
	ds_store_b64 v2, v[24:25]
.LBB1225_53:
	s_wait_xcnt 0x0
	s_or_b32 exec_lo, exec_lo, s3
	v_dual_mov_b32 v3, 0 :: v_dual_add_nc_u32 v1, v54, v1
	v_add3_u32 v26, v47, v48, v46
	v_add3_u32 v27, v44, v45, v42
	;; [unrolled: 1-line block ×3, first 2 shown]
	s_delay_alu instid0(VALU_DEP_4)
	v_add_nc_u64_e32 v[24:25], s[18:19], v[2:3]
	v_add3_u32 v3, v50, v51, v49
	v_add3_u32 v29, v39, v53, v38
	;; [unrolled: 1-line block ×4, first 2 shown]
	v_mov_b32_e32 v31, v32
	s_mov_b32 s4, -1
	v_add_nc_u64_e32 v[24:25], 0x3000, v[24:25]
	s_mov_b32 s3, 0
	s_branch .LBB1225_55
.LBB1225_54:                            ;   in Loop: Header=BB1225_55 Depth=1
	s_wait_xcnt 0x0
	s_or_b32 exec_lo, exec_lo, s5
	v_add_nc_u64_e32 v[24:25], 0x4000, v[24:25]
	v_add_nc_u32_e32 v31, 0x800, v31
	s_xor_b32 s4, s4, -1
	s_addk_co_i32 s3, 0xf800
	s_and_b32 vcc_lo, exec_lo, s4
	s_mov_b32 s4, 0
	s_wait_storecnt 0x0
	s_barrier_signal -1
	s_barrier_wait -1
	s_cbranch_vccnz .LBB1225_63
.LBB1225_55:                            ; =>This Inner Loop Header: Depth=1
	v_add_min_u32_e64 v34, v1, s3, 0x800
	v_add_min_u32_e64 v35, v23, s3, 0x800
	;; [unrolled: 1-line block ×5, first 2 shown]
	s_delay_alu instid0(VALU_DEP_4) | instskip(NEXT) | instid1(VALU_DEP_3)
	v_dual_lshlrev_b32 v34, 3, v34 :: v_dual_lshlrev_b32 v35, 3, v35
	v_dual_lshlrev_b32 v36, 3, v36 :: v_dual_lshlrev_b32 v37, 3, v37
	s_mov_b32 s5, exec_lo
	ds_store_b64 v34, v[6:7] offset:2048
	ds_store_b64 v35, v[4:5] offset:2048
	;; [unrolled: 1-line block ×3, first 2 shown]
	v_add_min_u32_e64 v34, v27, s3, 0x800
	v_add_min_u32_e64 v35, v26, s3, 0x800
	;; [unrolled: 1-line block ×3, first 2 shown]
	v_lshlrev_b32_e32 v38, 3, v38
	s_delay_alu instid0(VALU_DEP_3) | instskip(NEXT) | instid1(VALU_DEP_3)
	v_dual_lshlrev_b32 v34, 3, v34 :: v_dual_lshlrev_b32 v35, 3, v35
	v_lshlrev_b32_e32 v36, 3, v36
	ds_store_b64 v37, v[8:9] offset:2048
	ds_store_b64 v38, v[14:15] offset:2048
	;; [unrolled: 1-line block ×5, first 2 shown]
	s_wait_storecnt_dscnt 0x0
	s_barrier_signal -1
	s_barrier_wait -1
	v_cmpx_gt_u32_e64 s22, v31
	s_cbranch_execz .LBB1225_57
; %bb.56:                               ;   in Loop: Header=BB1225_55 Depth=1
	ds_load_b64 v[34:35], v2 offset:2048
	s_wait_dscnt 0x0
	v_lshrrev_b64 v[36:37], s20, v[34:35]
	v_xor_b32_e32 v35, 0x80000000, v35
	s_delay_alu instid0(VALU_DEP_2) | instskip(NEXT) | instid1(VALU_DEP_1)
	v_and_b32_e32 v36, s6, v36
	v_lshlrev_b32_e32 v36, 3, v36
	ds_load_b64 v[36:37], v36
	s_wait_dscnt 0x0
	v_lshl_add_u64 v[36:37], v[36:37], 3, v[24:25]
	global_store_b64 v[36:37], v[34:35], off offset:-12288
.LBB1225_57:                            ;   in Loop: Header=BB1225_55 Depth=1
	s_wait_xcnt 0x0
	s_or_b32 exec_lo, exec_lo, s5
	v_add_nc_u32_e32 v34, 0x200, v31
	s_mov_b32 s5, exec_lo
	s_delay_alu instid0(VALU_DEP_1)
	v_cmpx_gt_u32_e64 s22, v34
	s_cbranch_execz .LBB1225_59
; %bb.58:                               ;   in Loop: Header=BB1225_55 Depth=1
	ds_load_b64 v[34:35], v2 offset:6144
	s_wait_dscnt 0x0
	v_lshrrev_b64 v[36:37], s20, v[34:35]
	v_xor_b32_e32 v35, 0x80000000, v35
	s_delay_alu instid0(VALU_DEP_2) | instskip(NEXT) | instid1(VALU_DEP_1)
	v_and_b32_e32 v36, s6, v36
	v_lshlrev_b32_e32 v36, 3, v36
	ds_load_b64 v[36:37], v36
	s_wait_dscnt 0x0
	v_lshl_add_u64 v[36:37], v[36:37], 3, v[24:25]
	global_store_b64 v[36:37], v[34:35], off offset:-8192
.LBB1225_59:                            ;   in Loop: Header=BB1225_55 Depth=1
	s_wait_xcnt 0x0
	s_or_b32 exec_lo, exec_lo, s5
	v_add_nc_u32_e32 v34, 0x400, v31
	s_mov_b32 s5, exec_lo
	s_delay_alu instid0(VALU_DEP_1)
	;; [unrolled: 20-line block ×3, first 2 shown]
	v_cmpx_gt_u32_e64 s22, v34
	s_cbranch_execz .LBB1225_54
; %bb.62:                               ;   in Loop: Header=BB1225_55 Depth=1
	ds_load_b64 v[34:35], v2 offset:14336
	s_wait_dscnt 0x0
	v_lshrrev_b64 v[36:37], s20, v[34:35]
	v_xor_b32_e32 v35, 0x80000000, v35
	s_delay_alu instid0(VALU_DEP_2) | instskip(NEXT) | instid1(VALU_DEP_1)
	v_and_b32_e32 v36, s6, v36
	v_lshlrev_b32_e32 v36, 3, v36
	ds_load_b64 v[36:37], v36
	s_wait_dscnt 0x0
	v_lshl_add_u64 v[36:37], v[36:37], 3, v[24:25]
	global_store_b64 v[36:37], v[34:35], off
	s_branch .LBB1225_54
.LBB1225_63:
	s_add_co_i32 s23, s23, -1
	s_delay_alu instid0(SALU_CYCLE_1) | instskip(SKIP_2) | instid1(SALU_CYCLE_1)
	s_cmp_eq_u32 s9, s23
	s_cselect_b32 s3, -1, 0
	s_xor_b32 s2, s2, -1
	s_and_b32 s3, s2, s3
	s_delay_alu instid0(SALU_CYCLE_1)
	s_and_saveexec_b32 s2, s3
	s_cbranch_execz .LBB1225_65
; %bb.64:
	ds_load_b64 v[2:3], v2
	v_mov_b32_e32 v23, 0
	s_delay_alu instid0(VALU_DEP_1) | instskip(SKIP_1) | instid1(VALU_DEP_1)
	v_add_nc_u64_e32 v[4:5], v[20:21], v[22:23]
	s_wait_dscnt 0x0
	v_add_nc_u64_e32 v[2:3], v[4:5], v[2:3]
	global_store_b64 v32, v[2:3], s[14:15] scale_offset
.LBB1225_65:
	s_wait_xcnt 0x0
	s_or_b32 exec_lo, exec_lo, s2
	s_mov_b32 s2, 0
.LBB1225_66:
	s_delay_alu instid0(SALU_CYCLE_1)
	s_and_b32 vcc_lo, exec_lo, s2
	s_cbranch_vccz .LBB1225_107
; %bb.67:
	s_lshl_b32 s2, s9, 12
	s_mov_b32 s3, 0
	v_dual_mov_b32 v19, 0 :: v_dual_lshlrev_b32 v18, 3, v33
	s_lshl_b64 s[4:5], s[2:3], 3
	v_lshlrev_b32_e32 v1, 6, v32
	s_add_nc_u64 s[4:5], s[16:17], s[4:5]
	s_delay_alu instid0(VALU_DEP_2) | instid1(SALU_CYCLE_1)
	v_add_nc_u64_e32 v[2:3], s[4:5], v[18:19]
	s_delay_alu instid0(VALU_DEP_2) | instskip(NEXT) | instid1(VALU_DEP_1)
	v_and_b32_e32 v18, 0x7800, v1
	v_add_nc_u64_e32 v[20:21], v[2:3], v[18:19]
	v_bfe_u32 v18, v0, 10, 10
	s_clause 0x7
	global_load_b64 v[2:3], v[20:21], off
	global_load_b64 v[4:5], v[20:21], off offset:256
	global_load_b64 v[6:7], v[20:21], off offset:512
	;; [unrolled: 1-line block ×7, first 2 shown]
	s_clause 0x1
	s_load_b32 s7, s[0:1], 0x58
	s_load_u16 s4, s[0:1], 0x66
	v_bfe_u32 v20, v0, 20, 10
	s_wait_kmcnt 0x0
	s_cmp_lt_u32 s9, s7
	s_cselect_b32 s2, 12, 18
	s_lshl_b32 s8, -1, s21
	s_add_nc_u64 s[0:1], s[24:25], s[2:3]
	s_load_u16 s0, s[0:1], 0x0
	s_wait_loadcnt 0x7
	v_xor_b32_e32 v3, 0x80000000, v3
	s_delay_alu instid0(VALU_DEP_1) | instskip(SKIP_1) | instid1(VALU_DEP_2)
	v_lshrrev_b64 v[0:1], s20, v[2:3]
	v_mad_u32_u24 v1, v20, s4, v18
	v_bitop3_b32 v18, v0, 1, s8 bitop3:0x40
	v_bitop3_b32 v20, v0, s8, v0 bitop3:0x30
	s_wait_kmcnt 0x0
	s_delay_alu instid0(VALU_DEP_3) | instskip(NEXT) | instid1(VALU_DEP_3)
	v_mad_u32 v0, v1, s0, v32
	v_add_co_u32 v1, s0, v18, -1
	s_delay_alu instid0(VALU_DEP_1) | instskip(SKIP_2) | instid1(VALU_DEP_3)
	v_cndmask_b32_e64 v18, 0, 1, s0
	v_dual_lshlrev_b32 v21, 30, v20 :: v_dual_lshlrev_b32 v22, 29, v20
	v_dual_lshlrev_b32 v23, 28, v20 :: v_dual_lshlrev_b32 v24, 27, v20
	v_cmp_ne_u32_e32 vcc_lo, 0, v18
	s_delay_alu instid0(VALU_DEP_3)
	v_not_b32_e32 v18, v21
	v_dual_lshlrev_b32 v25, 26, v20 :: v_dual_lshlrev_b32 v26, 25, v20
	v_cmp_gt_i32_e64 s0, 0, v21
	v_cmp_gt_i32_e64 s1, 0, v22
	v_not_b32_e32 v21, v22
	v_not_b32_e32 v22, v23
	v_dual_ashrrev_i32 v18, 31, v18 :: v_dual_lshlrev_b32 v27, 24, v20
	v_xor_b32_e32 v1, vcc_lo, v1
	v_cmp_gt_i32_e64 s2, 0, v23
	v_cmp_gt_i32_e64 s3, 0, v24
	v_not_b32_e32 v23, v24
	v_not_b32_e32 v24, v25
	v_dual_ashrrev_i32 v21, 31, v21 :: v_dual_ashrrev_i32 v22, 31, v22
	s_delay_alu instid0(VALU_DEP_3)
	v_dual_ashrrev_i32 v23, 31, v23 :: v_dual_bitop2_b32 v18, s0, v18 bitop3:0x14
	v_cmp_gt_i32_e64 s4, 0, v25
	v_cmp_gt_i32_e64 s5, 0, v26
	v_not_b32_e32 v25, v26
	v_not_b32_e32 v26, v27
	v_dual_ashrrev_i32 v24, 31, v24 :: v_dual_bitop2_b32 v21, s1, v21 bitop3:0x14
	v_xor_b32_e32 v22, s2, v22
	v_bitop3_b32 v1, v1, v18, exec_lo bitop3:0x80
	v_cmp_gt_i32_e64 s6, 0, v27
	v_dual_ashrrev_i32 v18, 31, v25 :: v_dual_ashrrev_i32 v25, 31, v26
	v_xor_b32_e32 v23, s3, v23
	v_xor_b32_e32 v24, s4, v24
	v_bitop3_b32 v1, v1, v22, v21 bitop3:0x80
	s_delay_alu instid0(VALU_DEP_4) | instskip(SKIP_2) | instid1(VALU_DEP_3)
	v_dual_lshrrev_b32 v0, 5, v0 :: v_dual_bitop2_b32 v18, s5, v18 bitop3:0x14
	v_xor_b32_e32 v21, s6, v25
	s_not_b32 s5, s8
	v_bitop3_b32 v1, v1, v24, v23 bitop3:0x80
	s_delay_alu instid0(VALU_DEP_3)
	v_lshlrev_b32_e32 v0, 2, v0
	v_mul_u32_u24_e32 v24, 36, v32
	ds_store_2addr_b32 v24, v19, v19 offset0:16 offset1:17
	ds_store_2addr_b32 v24, v19, v19 offset0:18 offset1:19
	;; [unrolled: 1-line block ×4, first 2 shown]
	v_bitop3_b32 v1, v1, v21, v18 bitop3:0x80
	v_mad_u32 v25, 0x44, v20, v0
	ds_store_b32 v24, v19 offset:96
	s_wait_storecnt 0x0
	s_wait_loadcnt_dscnt 0x0
	s_barrier_signal -1
	v_mbcnt_lo_u32_b32 v30, v1, 0
	v_cmp_ne_u32_e64 s0, 0, v1
	s_barrier_wait -1
	s_delay_alu instid0(VALU_DEP_2) | instskip(SKIP_1) | instid1(SALU_CYCLE_1)
	v_cmp_eq_u32_e32 vcc_lo, 0, v30
	; wave barrier
	s_and_b32 s1, s0, vcc_lo
	s_and_saveexec_b32 s0, s1
; %bb.68:
	v_bcnt_u32_b32 v1, v1, 0
	ds_store_b32 v25, v1 offset:64
; %bb.69:
	s_or_b32 exec_lo, exec_lo, s0
	v_xor_b32_e32 v5, 0x80000000, v5
	; wave barrier
	s_delay_alu instid0(VALU_DEP_1) | instskip(NEXT) | instid1(VALU_DEP_1)
	v_lshrrev_b64 v[18:19], s20, v[4:5]
	v_and_b32_e32 v1, s5, v18
	v_bitop3_b32 v18, v18, 1, s5 bitop3:0x80
	s_delay_alu instid0(VALU_DEP_2) | instskip(NEXT) | instid1(VALU_DEP_2)
	v_lshlrev_b32_e32 v20, 30, v1
	v_add_co_u32 v18, s0, v18, -1
	s_delay_alu instid0(VALU_DEP_1) | instskip(NEXT) | instid1(VALU_DEP_1)
	v_cndmask_b32_e64 v19, 0, 1, s0
	v_cmp_ne_u32_e32 vcc_lo, 0, v19
	s_delay_alu instid0(VALU_DEP_4) | instskip(NEXT) | instid1(VALU_DEP_1)
	v_not_b32_e32 v19, v20
	v_dual_ashrrev_i32 v19, 31, v19 :: v_dual_bitop2_b32 v18, vcc_lo, v18 bitop3:0x14
	v_dual_lshlrev_b32 v21, 29, v1 :: v_dual_lshlrev_b32 v22, 28, v1
	v_dual_lshlrev_b32 v23, 27, v1 :: v_dual_lshlrev_b32 v27, 26, v1
	v_lshlrev_b32_e32 v28, 25, v1
	v_cmp_gt_i32_e64 s0, 0, v20
	s_delay_alu instid0(VALU_DEP_4)
	v_cmp_gt_i32_e64 s1, 0, v21
	v_not_b32_e32 v20, v21
	v_cmp_gt_i32_e64 s2, 0, v22
	v_not_b32_e32 v21, v22
	v_not_b32_e32 v22, v23
	v_mad_u32 v26, 0x44, v1, v0
	v_lshlrev_b32_e32 v1, 24, v1
	v_cmp_gt_i32_e64 s3, 0, v23
	v_not_b32_e32 v23, v27
	v_dual_ashrrev_i32 v20, 31, v20 :: v_dual_ashrrev_i32 v21, 31, v21
	v_dual_ashrrev_i32 v22, 31, v22 :: v_dual_bitop2_b32 v19, s0, v19 bitop3:0x14
	v_cmp_gt_i32_e64 s4, 0, v27
	v_not_b32_e32 v27, v28
	s_delay_alu instid0(VALU_DEP_4)
	v_dual_ashrrev_i32 v23, 31, v23 :: v_dual_bitop2_b32 v20, s1, v20 bitop3:0x14
	v_xor_b32_e32 v21, s2, v21
	v_bitop3_b32 v18, v18, v19, exec_lo bitop3:0x80
	v_not_b32_e32 v19, v1
	v_xor_b32_e32 v22, s3, v22
	v_xor_b32_e32 v23, s4, v23
	v_cmp_gt_i32_e32 vcc_lo, 0, v28
	v_ashrrev_i32_e32 v27, 31, v27
	v_cmp_gt_i32_e64 s0, 0, v1
	v_ashrrev_i32_e32 v1, 31, v19
	v_bitop3_b32 v18, v18, v21, v20 bitop3:0x80
	ds_load_b32 v31, v26 offset:64
	v_xor_b32_e32 v19, vcc_lo, v27
	v_xor_b32_e32 v1, s0, v1
	v_bitop3_b32 v18, v18, v23, v22 bitop3:0x80
	; wave barrier
	s_delay_alu instid0(VALU_DEP_1) | instskip(NEXT) | instid1(VALU_DEP_1)
	v_bitop3_b32 v1, v18, v1, v19 bitop3:0x80
	v_mbcnt_lo_u32_b32 v34, v1, 0
	v_cmp_ne_u32_e64 s0, 0, v1
	s_delay_alu instid0(VALU_DEP_2) | instskip(SKIP_1) | instid1(SALU_CYCLE_1)
	v_cmp_eq_u32_e32 vcc_lo, 0, v34
	s_and_b32 s1, s0, vcc_lo
	s_and_saveexec_b32 s0, s1
	s_cbranch_execz .LBB1225_71
; %bb.70:
	s_wait_dscnt 0x0
	v_bcnt_u32_b32 v1, v1, v31
	ds_store_b32 v26, v1 offset:64
.LBB1225_71:
	s_or_b32 exec_lo, exec_lo, s0
	v_xor_b32_e32 v7, 0x80000000, v7
	; wave barrier
	s_delay_alu instid0(VALU_DEP_1) | instskip(NEXT) | instid1(VALU_DEP_1)
	v_lshrrev_b64 v[18:19], s20, v[6:7]
	v_and_b32_e32 v1, s5, v18
	v_bitop3_b32 v18, v18, 1, s5 bitop3:0x80
	s_delay_alu instid0(VALU_DEP_2) | instskip(NEXT) | instid1(VALU_DEP_2)
	v_lshlrev_b32_e32 v20, 30, v1
	v_add_co_u32 v18, s0, v18, -1
	s_delay_alu instid0(VALU_DEP_1) | instskip(NEXT) | instid1(VALU_DEP_1)
	v_cndmask_b32_e64 v19, 0, 1, s0
	v_cmp_ne_u32_e32 vcc_lo, 0, v19
	s_delay_alu instid0(VALU_DEP_4) | instskip(NEXT) | instid1(VALU_DEP_1)
	v_not_b32_e32 v19, v20
	v_dual_ashrrev_i32 v19, 31, v19 :: v_dual_bitop2_b32 v18, vcc_lo, v18 bitop3:0x14
	v_dual_lshlrev_b32 v21, 29, v1 :: v_dual_lshlrev_b32 v22, 28, v1
	v_dual_lshlrev_b32 v23, 27, v1 :: v_dual_lshlrev_b32 v28, 26, v1
	v_lshlrev_b32_e32 v29, 25, v1
	v_cmp_gt_i32_e64 s0, 0, v20
	s_delay_alu instid0(VALU_DEP_4)
	v_cmp_gt_i32_e64 s1, 0, v21
	v_not_b32_e32 v20, v21
	v_cmp_gt_i32_e64 s2, 0, v22
	v_not_b32_e32 v21, v22
	v_not_b32_e32 v22, v23
	v_mad_u32 v27, 0x44, v1, v0
	v_lshlrev_b32_e32 v1, 24, v1
	v_cmp_gt_i32_e64 s3, 0, v23
	v_not_b32_e32 v23, v28
	v_dual_ashrrev_i32 v20, 31, v20 :: v_dual_ashrrev_i32 v21, 31, v21
	v_dual_ashrrev_i32 v22, 31, v22 :: v_dual_bitop2_b32 v19, s0, v19 bitop3:0x14
	v_cmp_gt_i32_e64 s4, 0, v28
	v_not_b32_e32 v28, v29
	s_delay_alu instid0(VALU_DEP_4)
	v_dual_ashrrev_i32 v23, 31, v23 :: v_dual_bitop2_b32 v20, s1, v20 bitop3:0x14
	v_xor_b32_e32 v21, s2, v21
	v_bitop3_b32 v18, v18, v19, exec_lo bitop3:0x80
	v_not_b32_e32 v19, v1
	v_xor_b32_e32 v22, s3, v22
	v_xor_b32_e32 v23, s4, v23
	v_cmp_gt_i32_e32 vcc_lo, 0, v29
	v_ashrrev_i32_e32 v28, 31, v28
	v_cmp_gt_i32_e64 s0, 0, v1
	v_ashrrev_i32_e32 v1, 31, v19
	v_bitop3_b32 v18, v18, v21, v20 bitop3:0x80
	ds_load_b32 v35, v27 offset:64
	v_xor_b32_e32 v19, vcc_lo, v28
	v_xor_b32_e32 v1, s0, v1
	v_bitop3_b32 v18, v18, v23, v22 bitop3:0x80
	; wave barrier
	s_delay_alu instid0(VALU_DEP_1) | instskip(NEXT) | instid1(VALU_DEP_1)
	v_bitop3_b32 v1, v18, v1, v19 bitop3:0x80
	v_mbcnt_lo_u32_b32 v36, v1, 0
	v_cmp_ne_u32_e64 s0, 0, v1
	s_delay_alu instid0(VALU_DEP_2) | instskip(SKIP_1) | instid1(SALU_CYCLE_1)
	v_cmp_eq_u32_e32 vcc_lo, 0, v36
	s_and_b32 s1, s0, vcc_lo
	s_and_saveexec_b32 s0, s1
	s_cbranch_execz .LBB1225_73
; %bb.72:
	s_wait_dscnt 0x0
	v_bcnt_u32_b32 v1, v1, v35
	ds_store_b32 v27, v1 offset:64
.LBB1225_73:
	s_or_b32 exec_lo, exec_lo, s0
	v_xor_b32_e32 v9, 0x80000000, v9
	; wave barrier
	s_delay_alu instid0(VALU_DEP_1) | instskip(NEXT) | instid1(VALU_DEP_1)
	v_lshrrev_b64 v[18:19], s20, v[8:9]
	v_and_b32_e32 v1, s5, v18
	v_bitop3_b32 v18, v18, 1, s5 bitop3:0x80
	s_delay_alu instid0(VALU_DEP_2) | instskip(NEXT) | instid1(VALU_DEP_2)
	v_lshlrev_b32_e32 v20, 30, v1
	v_add_co_u32 v18, s0, v18, -1
	s_delay_alu instid0(VALU_DEP_1) | instskip(NEXT) | instid1(VALU_DEP_1)
	v_cndmask_b32_e64 v19, 0, 1, s0
	v_cmp_ne_u32_e32 vcc_lo, 0, v19
	s_delay_alu instid0(VALU_DEP_4) | instskip(NEXT) | instid1(VALU_DEP_1)
	v_not_b32_e32 v19, v20
	v_dual_ashrrev_i32 v19, 31, v19 :: v_dual_bitop2_b32 v18, vcc_lo, v18 bitop3:0x14
	v_dual_lshlrev_b32 v21, 29, v1 :: v_dual_lshlrev_b32 v22, 28, v1
	v_dual_lshlrev_b32 v23, 27, v1 :: v_dual_lshlrev_b32 v29, 26, v1
	v_lshlrev_b32_e32 v37, 25, v1
	v_cmp_gt_i32_e64 s0, 0, v20
	s_delay_alu instid0(VALU_DEP_4)
	v_cmp_gt_i32_e64 s1, 0, v21
	v_not_b32_e32 v20, v21
	v_cmp_gt_i32_e64 s2, 0, v22
	v_not_b32_e32 v21, v22
	v_not_b32_e32 v22, v23
	v_mad_u32 v28, 0x44, v1, v0
	v_lshlrev_b32_e32 v1, 24, v1
	v_cmp_gt_i32_e64 s3, 0, v23
	v_not_b32_e32 v23, v29
	v_dual_ashrrev_i32 v20, 31, v20 :: v_dual_ashrrev_i32 v21, 31, v21
	v_dual_ashrrev_i32 v22, 31, v22 :: v_dual_bitop2_b32 v19, s0, v19 bitop3:0x14
	v_cmp_gt_i32_e64 s4, 0, v29
	v_not_b32_e32 v29, v37
	s_delay_alu instid0(VALU_DEP_4) | instskip(NEXT) | instid1(VALU_DEP_4)
	v_dual_ashrrev_i32 v23, 31, v23 :: v_dual_bitop2_b32 v20, s1, v20 bitop3:0x14
	v_bitop3_b32 v18, v18, v19, exec_lo bitop3:0x80
	v_not_b32_e32 v19, v1
	v_xor_b32_e32 v21, s2, v21
	v_dual_ashrrev_i32 v29, 31, v29 :: v_dual_bitop2_b32 v22, s3, v22 bitop3:0x14
	v_xor_b32_e32 v23, s4, v23
	v_cmp_gt_i32_e32 vcc_lo, 0, v37
	v_cmp_gt_i32_e64 s0, 0, v1
	v_ashrrev_i32_e32 v1, 31, v19
	v_bitop3_b32 v18, v18, v21, v20 bitop3:0x80
	ds_load_b32 v37, v28 offset:64
	v_xor_b32_e32 v19, vcc_lo, v29
	v_xor_b32_e32 v1, s0, v1
	v_bitop3_b32 v18, v18, v23, v22 bitop3:0x80
	; wave barrier
	s_delay_alu instid0(VALU_DEP_1) | instskip(NEXT) | instid1(VALU_DEP_1)
	v_bitop3_b32 v1, v18, v1, v19 bitop3:0x80
	v_mbcnt_lo_u32_b32 v38, v1, 0
	v_cmp_ne_u32_e64 s0, 0, v1
	s_delay_alu instid0(VALU_DEP_2) | instskip(SKIP_1) | instid1(SALU_CYCLE_1)
	v_cmp_eq_u32_e32 vcc_lo, 0, v38
	s_and_b32 s1, s0, vcc_lo
	s_and_saveexec_b32 s0, s1
	s_cbranch_execz .LBB1225_75
; %bb.74:
	s_wait_dscnt 0x0
	v_bcnt_u32_b32 v1, v1, v37
	ds_store_b32 v28, v1 offset:64
.LBB1225_75:
	s_or_b32 exec_lo, exec_lo, s0
	v_xor_b32_e32 v11, 0x80000000, v11
	; wave barrier
	s_delay_alu instid0(VALU_DEP_1) | instskip(NEXT) | instid1(VALU_DEP_1)
	v_lshrrev_b64 v[18:19], s20, v[10:11]
	v_and_b32_e32 v1, s5, v18
	v_bitop3_b32 v18, v18, 1, s5 bitop3:0x80
	s_delay_alu instid0(VALU_DEP_2) | instskip(NEXT) | instid1(VALU_DEP_2)
	v_lshlrev_b32_e32 v20, 30, v1
	v_add_co_u32 v18, s0, v18, -1
	s_delay_alu instid0(VALU_DEP_1) | instskip(NEXT) | instid1(VALU_DEP_1)
	v_cndmask_b32_e64 v19, 0, 1, s0
	v_cmp_ne_u32_e32 vcc_lo, 0, v19
	s_delay_alu instid0(VALU_DEP_4) | instskip(NEXT) | instid1(VALU_DEP_1)
	v_not_b32_e32 v19, v20
	v_dual_ashrrev_i32 v19, 31, v19 :: v_dual_bitop2_b32 v18, vcc_lo, v18 bitop3:0x14
	v_dual_lshlrev_b32 v21, 29, v1 :: v_dual_lshlrev_b32 v22, 28, v1
	v_dual_lshlrev_b32 v23, 27, v1 :: v_dual_lshlrev_b32 v39, 26, v1
	v_lshlrev_b32_e32 v40, 25, v1
	v_cmp_gt_i32_e64 s0, 0, v20
	s_delay_alu instid0(VALU_DEP_4)
	v_cmp_gt_i32_e64 s1, 0, v21
	v_not_b32_e32 v20, v21
	v_cmp_gt_i32_e64 s2, 0, v22
	v_not_b32_e32 v21, v22
	v_not_b32_e32 v22, v23
	v_mad_u32 v29, 0x44, v1, v0
	v_lshlrev_b32_e32 v1, 24, v1
	v_cmp_gt_i32_e64 s3, 0, v23
	v_not_b32_e32 v23, v39
	v_dual_ashrrev_i32 v20, 31, v20 :: v_dual_ashrrev_i32 v21, 31, v21
	v_dual_ashrrev_i32 v22, 31, v22 :: v_dual_bitop2_b32 v19, s0, v19 bitop3:0x14
	v_cmp_gt_i32_e64 s4, 0, v39
	v_not_b32_e32 v39, v40
	s_delay_alu instid0(VALU_DEP_4)
	v_dual_ashrrev_i32 v23, 31, v23 :: v_dual_bitop2_b32 v20, s1, v20 bitop3:0x14
	v_xor_b32_e32 v21, s2, v21
	v_bitop3_b32 v18, v18, v19, exec_lo bitop3:0x80
	v_not_b32_e32 v19, v1
	v_xor_b32_e32 v22, s3, v22
	v_xor_b32_e32 v23, s4, v23
	v_cmp_gt_i32_e32 vcc_lo, 0, v40
	v_ashrrev_i32_e32 v39, 31, v39
	v_cmp_gt_i32_e64 s0, 0, v1
	v_ashrrev_i32_e32 v1, 31, v19
	v_bitop3_b32 v18, v18, v21, v20 bitop3:0x80
	s_delay_alu instid0(VALU_DEP_4) | instskip(SKIP_3) | instid1(VALU_DEP_1)
	v_xor_b32_e32 v19, vcc_lo, v39
	ds_load_b32 v39, v29 offset:64
	v_xor_b32_e32 v1, s0, v1
	v_bitop3_b32 v18, v18, v23, v22 bitop3:0x80
	; wave barrier
	v_bitop3_b32 v1, v18, v1, v19 bitop3:0x80
	s_delay_alu instid0(VALU_DEP_1) | instskip(SKIP_1) | instid1(VALU_DEP_2)
	v_mbcnt_lo_u32_b32 v40, v1, 0
	v_cmp_ne_u32_e64 s0, 0, v1
	v_cmp_eq_u32_e32 vcc_lo, 0, v40
	s_and_b32 s1, s0, vcc_lo
	s_delay_alu instid0(SALU_CYCLE_1)
	s_and_saveexec_b32 s0, s1
	s_cbranch_execz .LBB1225_77
; %bb.76:
	s_wait_dscnt 0x0
	v_bcnt_u32_b32 v1, v1, v39
	ds_store_b32 v29, v1 offset:64
.LBB1225_77:
	s_or_b32 exec_lo, exec_lo, s0
	v_xor_b32_e32 v13, 0x80000000, v13
	; wave barrier
	s_delay_alu instid0(VALU_DEP_1) | instskip(NEXT) | instid1(VALU_DEP_1)
	v_lshrrev_b64 v[18:19], s20, v[12:13]
	v_and_b32_e32 v1, s5, v18
	v_bitop3_b32 v18, v18, 1, s5 bitop3:0x80
	s_delay_alu instid0(VALU_DEP_2) | instskip(NEXT) | instid1(VALU_DEP_2)
	v_lshlrev_b32_e32 v20, 30, v1
	v_add_co_u32 v18, s0, v18, -1
	s_delay_alu instid0(VALU_DEP_1) | instskip(NEXT) | instid1(VALU_DEP_1)
	v_cndmask_b32_e64 v19, 0, 1, s0
	v_cmp_ne_u32_e32 vcc_lo, 0, v19
	s_delay_alu instid0(VALU_DEP_4) | instskip(NEXT) | instid1(VALU_DEP_1)
	v_not_b32_e32 v19, v20
	v_dual_ashrrev_i32 v19, 31, v19 :: v_dual_bitop2_b32 v18, vcc_lo, v18 bitop3:0x14
	v_dual_lshlrev_b32 v21, 29, v1 :: v_dual_lshlrev_b32 v22, 28, v1
	v_dual_lshlrev_b32 v23, 27, v1 :: v_dual_lshlrev_b32 v41, 26, v1
	v_lshlrev_b32_e32 v42, 25, v1
	v_cmp_gt_i32_e64 s0, 0, v20
	s_delay_alu instid0(VALU_DEP_4)
	v_cmp_gt_i32_e64 s1, 0, v21
	v_not_b32_e32 v20, v21
	v_cmp_gt_i32_e64 s2, 0, v22
	v_not_b32_e32 v21, v22
	v_not_b32_e32 v22, v23
	v_mad_u32 v43, 0x44, v1, v0
	v_lshlrev_b32_e32 v1, 24, v1
	v_cmp_gt_i32_e64 s3, 0, v23
	v_not_b32_e32 v23, v41
	v_dual_ashrrev_i32 v20, 31, v20 :: v_dual_ashrrev_i32 v21, 31, v21
	v_dual_ashrrev_i32 v22, 31, v22 :: v_dual_bitop2_b32 v19, s0, v19 bitop3:0x14
	v_cmp_gt_i32_e64 s4, 0, v41
	v_not_b32_e32 v41, v42
	s_delay_alu instid0(VALU_DEP_4) | instskip(NEXT) | instid1(VALU_DEP_4)
	v_dual_ashrrev_i32 v23, 31, v23 :: v_dual_bitop2_b32 v20, s1, v20 bitop3:0x14
	v_bitop3_b32 v18, v18, v19, exec_lo bitop3:0x80
	v_not_b32_e32 v19, v1
	v_xor_b32_e32 v21, s2, v21
	v_dual_ashrrev_i32 v41, 31, v41 :: v_dual_bitop2_b32 v22, s3, v22 bitop3:0x14
	v_xor_b32_e32 v23, s4, v23
	v_cmp_gt_i32_e32 vcc_lo, 0, v42
	v_cmp_gt_i32_e64 s0, 0, v1
	v_ashrrev_i32_e32 v1, 31, v19
	v_bitop3_b32 v18, v18, v21, v20 bitop3:0x80
	v_xor_b32_e32 v19, vcc_lo, v41
	ds_load_b32 v41, v43 offset:64
	v_xor_b32_e32 v1, s0, v1
	v_bitop3_b32 v18, v18, v23, v22 bitop3:0x80
	; wave barrier
	s_delay_alu instid0(VALU_DEP_1) | instskip(NEXT) | instid1(VALU_DEP_1)
	v_bitop3_b32 v1, v18, v1, v19 bitop3:0x80
	v_mbcnt_lo_u32_b32 v42, v1, 0
	v_cmp_ne_u32_e64 s0, 0, v1
	s_delay_alu instid0(VALU_DEP_2) | instskip(SKIP_1) | instid1(SALU_CYCLE_1)
	v_cmp_eq_u32_e32 vcc_lo, 0, v42
	s_and_b32 s1, s0, vcc_lo
	s_and_saveexec_b32 s0, s1
	s_cbranch_execz .LBB1225_79
; %bb.78:
	s_wait_dscnt 0x0
	v_bcnt_u32_b32 v1, v1, v41
	ds_store_b32 v43, v1 offset:64
.LBB1225_79:
	s_or_b32 exec_lo, exec_lo, s0
	v_xor_b32_e32 v15, 0x80000000, v15
	; wave barrier
	s_delay_alu instid0(VALU_DEP_1) | instskip(NEXT) | instid1(VALU_DEP_1)
	v_lshrrev_b64 v[18:19], s20, v[14:15]
	v_and_b32_e32 v1, s5, v18
	v_bitop3_b32 v18, v18, 1, s5 bitop3:0x80
	s_delay_alu instid0(VALU_DEP_2) | instskip(NEXT) | instid1(VALU_DEP_2)
	v_lshlrev_b32_e32 v20, 30, v1
	v_add_co_u32 v18, s0, v18, -1
	s_delay_alu instid0(VALU_DEP_1) | instskip(NEXT) | instid1(VALU_DEP_1)
	v_cndmask_b32_e64 v19, 0, 1, s0
	v_cmp_ne_u32_e32 vcc_lo, 0, v19
	s_delay_alu instid0(VALU_DEP_4) | instskip(NEXT) | instid1(VALU_DEP_1)
	v_not_b32_e32 v19, v20
	v_dual_ashrrev_i32 v19, 31, v19 :: v_dual_bitop2_b32 v18, vcc_lo, v18 bitop3:0x14
	v_dual_lshlrev_b32 v21, 29, v1 :: v_dual_lshlrev_b32 v22, 28, v1
	v_dual_lshlrev_b32 v23, 27, v1 :: v_dual_lshlrev_b32 v44, 26, v1
	v_lshlrev_b32_e32 v45, 25, v1
	v_cmp_gt_i32_e64 s0, 0, v20
	s_delay_alu instid0(VALU_DEP_4)
	v_cmp_gt_i32_e64 s1, 0, v21
	v_not_b32_e32 v20, v21
	v_cmp_gt_i32_e64 s2, 0, v22
	v_not_b32_e32 v21, v22
	v_not_b32_e32 v22, v23
	v_mad_u32 v46, 0x44, v1, v0
	v_lshlrev_b32_e32 v1, 24, v1
	v_cmp_gt_i32_e64 s3, 0, v23
	v_not_b32_e32 v23, v44
	v_dual_ashrrev_i32 v20, 31, v20 :: v_dual_ashrrev_i32 v21, 31, v21
	v_dual_ashrrev_i32 v22, 31, v22 :: v_dual_bitop2_b32 v19, s0, v19 bitop3:0x14
	v_cmp_gt_i32_e64 s4, 0, v44
	v_not_b32_e32 v44, v45
	s_delay_alu instid0(VALU_DEP_4)
	v_dual_ashrrev_i32 v23, 31, v23 :: v_dual_bitop2_b32 v20, s1, v20 bitop3:0x14
	v_xor_b32_e32 v21, s2, v21
	v_bitop3_b32 v18, v18, v19, exec_lo bitop3:0x80
	v_not_b32_e32 v19, v1
	v_xor_b32_e32 v22, s3, v22
	v_xor_b32_e32 v23, s4, v23
	v_cmp_gt_i32_e32 vcc_lo, 0, v45
	v_ashrrev_i32_e32 v44, 31, v44
	v_cmp_gt_i32_e64 s0, 0, v1
	v_ashrrev_i32_e32 v1, 31, v19
	v_bitop3_b32 v18, v18, v21, v20 bitop3:0x80
	s_delay_alu instid0(VALU_DEP_4) | instskip(SKIP_3) | instid1(VALU_DEP_1)
	v_xor_b32_e32 v19, vcc_lo, v44
	ds_load_b32 v44, v46 offset:64
	v_xor_b32_e32 v1, s0, v1
	v_bitop3_b32 v18, v18, v23, v22 bitop3:0x80
	; wave barrier
	v_bitop3_b32 v1, v18, v1, v19 bitop3:0x80
	s_delay_alu instid0(VALU_DEP_1) | instskip(SKIP_1) | instid1(VALU_DEP_2)
	v_mbcnt_lo_u32_b32 v45, v1, 0
	v_cmp_ne_u32_e64 s0, 0, v1
	v_cmp_eq_u32_e32 vcc_lo, 0, v45
	s_and_b32 s1, s0, vcc_lo
	s_delay_alu instid0(SALU_CYCLE_1)
	s_and_saveexec_b32 s0, s1
	s_cbranch_execz .LBB1225_81
; %bb.80:
	s_wait_dscnt 0x0
	v_bcnt_u32_b32 v1, v1, v44
	ds_store_b32 v46, v1 offset:64
.LBB1225_81:
	s_or_b32 exec_lo, exec_lo, s0
	v_xor_b32_e32 v17, 0x80000000, v17
	; wave barrier
	s_delay_alu instid0(VALU_DEP_1) | instskip(NEXT) | instid1(VALU_DEP_1)
	v_lshrrev_b64 v[18:19], s20, v[16:17]
	v_and_b32_e32 v1, s5, v18
	v_bitop3_b32 v18, v18, 1, s5 bitop3:0x80
	s_delay_alu instid0(VALU_DEP_2) | instskip(NEXT) | instid1(VALU_DEP_2)
	v_mad_u32 v49, 0x44, v1, v0
	v_add_co_u32 v0, s0, v18, -1
	s_delay_alu instid0(VALU_DEP_1) | instskip(SKIP_1) | instid1(VALU_DEP_2)
	v_cndmask_b32_e64 v18, 0, 1, s0
	v_lshlrev_b32_e32 v19, 30, v1
	v_cmp_ne_u32_e32 vcc_lo, 0, v18
	s_delay_alu instid0(VALU_DEP_2) | instskip(NEXT) | instid1(VALU_DEP_1)
	v_not_b32_e32 v18, v19
	v_dual_ashrrev_i32 v18, 31, v18 :: v_dual_bitop2_b32 v0, vcc_lo, v0 bitop3:0x14
	v_dual_lshlrev_b32 v20, 29, v1 :: v_dual_lshlrev_b32 v21, 28, v1
	v_dual_lshlrev_b32 v22, 27, v1 :: v_dual_lshlrev_b32 v23, 26, v1
	v_lshlrev_b32_e32 v47, 25, v1
	v_cmp_gt_i32_e64 s0, 0, v19
	s_delay_alu instid0(VALU_DEP_4)
	v_cmp_gt_i32_e64 s1, 0, v20
	v_not_b32_e32 v19, v20
	v_cmp_gt_i32_e64 s2, 0, v21
	v_not_b32_e32 v20, v21
	v_not_b32_e32 v21, v22
	v_lshlrev_b32_e32 v1, 24, v1
	v_cmp_gt_i32_e64 s3, 0, v22
	v_not_b32_e32 v22, v23
	v_dual_ashrrev_i32 v19, 31, v19 :: v_dual_ashrrev_i32 v20, 31, v20
	v_dual_ashrrev_i32 v21, 31, v21 :: v_dual_bitop2_b32 v18, s0, v18 bitop3:0x14
	v_cmp_gt_i32_e64 s4, 0, v23
	v_not_b32_e32 v23, v47
	s_delay_alu instid0(VALU_DEP_4)
	v_dual_ashrrev_i32 v22, 31, v22 :: v_dual_bitop2_b32 v19, s1, v19 bitop3:0x14
	v_xor_b32_e32 v20, s2, v20
	v_bitop3_b32 v0, v0, v18, exec_lo bitop3:0x80
	v_not_b32_e32 v18, v1
	v_xor_b32_e32 v21, s3, v21
	v_xor_b32_e32 v22, s4, v22
	v_cmp_gt_i32_e32 vcc_lo, 0, v47
	v_ashrrev_i32_e32 v23, 31, v23
	v_cmp_gt_i32_e64 s0, 0, v1
	v_ashrrev_i32_e32 v1, 31, v18
	v_bitop3_b32 v0, v0, v20, v19 bitop3:0x80
	ds_load_b32 v47, v49 offset:64
	v_xor_b32_e32 v18, vcc_lo, v23
	v_xor_b32_e32 v1, s0, v1
	v_bitop3_b32 v0, v0, v22, v21 bitop3:0x80
	; wave barrier
	s_delay_alu instid0(VALU_DEP_1) | instskip(NEXT) | instid1(VALU_DEP_1)
	v_bitop3_b32 v0, v0, v1, v18 bitop3:0x80
	v_mbcnt_lo_u32_b32 v48, v0, 0
	v_cmp_ne_u32_e64 s0, 0, v0
	s_delay_alu instid0(VALU_DEP_2) | instskip(SKIP_1) | instid1(SALU_CYCLE_1)
	v_cmp_eq_u32_e32 vcc_lo, 0, v48
	s_and_b32 s1, s0, vcc_lo
	s_and_saveexec_b32 s0, s1
	s_cbranch_execz .LBB1225_83
; %bb.82:
	s_wait_dscnt 0x0
	v_bcnt_u32_b32 v0, v0, v47
	ds_store_b32 v49, v0 offset:64
.LBB1225_83:
	s_or_b32 exec_lo, exec_lo, s0
	; wave barrier
	s_wait_dscnt 0x0
	s_barrier_signal -1
	s_barrier_wait -1
	ds_load_2addr_b32 v[22:23], v24 offset0:16 offset1:17
	ds_load_2addr_b32 v[20:21], v24 offset0:18 offset1:19
	;; [unrolled: 1-line block ×4, first 2 shown]
	ds_load_b32 v50, v24 offset:96
	v_bfe_i32 v53, v33, 4, 1
	s_mov_b32 s4, exec_lo
	s_wait_dscnt 0x3
	v_add3_u32 v51, v23, v22, v20
	s_wait_dscnt 0x2
	s_delay_alu instid0(VALU_DEP_1) | instskip(SKIP_1) | instid1(VALU_DEP_1)
	v_add3_u32 v51, v51, v21, v18
	s_wait_dscnt 0x1
	v_add3_u32 v51, v51, v19, v0
	s_wait_dscnt 0x0
	s_delay_alu instid0(VALU_DEP_1) | instskip(SKIP_1) | instid1(VALU_DEP_2)
	v_add3_u32 v50, v51, v1, v50
	v_and_b32_e32 v51, 15, v33
	v_mov_b32_dpp v52, v50 row_shr:1 row_mask:0xf bank_mask:0xf
	s_delay_alu instid0(VALU_DEP_2) | instskip(NEXT) | instid1(VALU_DEP_2)
	v_cmp_eq_u32_e32 vcc_lo, 0, v51
	v_cndmask_b32_e64 v52, v52, 0, vcc_lo
	s_delay_alu instid0(VALU_DEP_1) | instskip(SKIP_3) | instid1(VALU_DEP_4)
	v_add_nc_u32_e32 v50, v52, v50
	v_cmp_lt_u32_e64 s0, 1, v51
	v_cmp_lt_u32_e64 s1, 3, v51
	v_cmp_lt_u32_e64 s2, 7, v51
	v_mov_b32_dpp v52, v50 row_shr:2 row_mask:0xf bank_mask:0xf
	s_delay_alu instid0(VALU_DEP_1) | instskip(NEXT) | instid1(VALU_DEP_1)
	v_cndmask_b32_e64 v52, 0, v52, s0
	v_add_nc_u32_e32 v50, v50, v52
	s_delay_alu instid0(VALU_DEP_1) | instskip(NEXT) | instid1(VALU_DEP_1)
	v_mov_b32_dpp v52, v50 row_shr:4 row_mask:0xf bank_mask:0xf
	v_cndmask_b32_e64 v52, 0, v52, s1
	s_delay_alu instid0(VALU_DEP_1) | instskip(NEXT) | instid1(VALU_DEP_1)
	v_add_nc_u32_e32 v50, v50, v52
	v_mov_b32_dpp v52, v50 row_shr:8 row_mask:0xf bank_mask:0xf
	s_delay_alu instid0(VALU_DEP_1) | instskip(SKIP_1) | instid1(VALU_DEP_2)
	v_cndmask_b32_e64 v51, 0, v52, s2
	v_and_b32_e32 v52, 0x3e0, v32
	v_add_nc_u32_e32 v50, v50, v51
	s_delay_alu instid0(VALU_DEP_2) | instskip(SKIP_3) | instid1(VALU_DEP_1)
	v_min_u32_e32 v52, 0x1e0, v52
	ds_swizzle_b32 v51, v50 offset:swizzle(BROADCAST,32,15)
	s_wait_dscnt 0x0
	v_dual_lshrrev_b32 v51, 5, v32 :: v_dual_bitop2_b32 v53, v53, v51 bitop3:0x40
	v_dual_add_nc_u32 v50, v50, v53 :: v_dual_bitop2_b32 v52, 31, v52 bitop3:0x54
	s_delay_alu instid0(VALU_DEP_1)
	v_cmpx_eq_u32_e64 v32, v52
; %bb.84:
	s_delay_alu instid0(VALU_DEP_3)
	v_lshlrev_b32_e32 v52, 2, v51
	ds_store_b32 v52, v50
; %bb.85:
	s_or_b32 exec_lo, exec_lo, s4
	s_delay_alu instid0(SALU_CYCLE_1)
	s_mov_b32 s4, exec_lo
	s_wait_dscnt 0x0
	s_barrier_signal -1
	s_barrier_wait -1
	v_cmpx_gt_u32_e32 16, v32
	s_cbranch_execz .LBB1225_87
; %bb.86:
	v_lshlrev_b32_e32 v52, 2, v32
	ds_load_b32 v53, v52
	s_wait_dscnt 0x0
	v_mov_b32_dpp v54, v53 row_shr:1 row_mask:0xf bank_mask:0xf
	s_delay_alu instid0(VALU_DEP_1) | instskip(NEXT) | instid1(VALU_DEP_1)
	v_cndmask_b32_e64 v54, v54, 0, vcc_lo
	v_add_nc_u32_e32 v53, v54, v53
	s_delay_alu instid0(VALU_DEP_1) | instskip(NEXT) | instid1(VALU_DEP_1)
	v_mov_b32_dpp v54, v53 row_shr:2 row_mask:0xf bank_mask:0xf
	v_cndmask_b32_e64 v54, 0, v54, s0
	s_delay_alu instid0(VALU_DEP_1) | instskip(NEXT) | instid1(VALU_DEP_1)
	v_add_nc_u32_e32 v53, v53, v54
	v_mov_b32_dpp v54, v53 row_shr:4 row_mask:0xf bank_mask:0xf
	s_delay_alu instid0(VALU_DEP_1) | instskip(NEXT) | instid1(VALU_DEP_1)
	v_cndmask_b32_e64 v54, 0, v54, s1
	v_add_nc_u32_e32 v53, v53, v54
	s_delay_alu instid0(VALU_DEP_1) | instskip(NEXT) | instid1(VALU_DEP_1)
	v_mov_b32_dpp v54, v53 row_shr:8 row_mask:0xf bank_mask:0xf
	v_cndmask_b32_e64 v54, 0, v54, s2
	s_delay_alu instid0(VALU_DEP_1)
	v_add_nc_u32_e32 v53, v53, v54
	ds_store_b32 v52, v53
.LBB1225_87:
	s_or_b32 exec_lo, exec_lo, s4
	v_mov_b32_e32 v52, 0
	s_mov_b32 s0, exec_lo
	s_wait_dscnt 0x0
	s_barrier_signal -1
	s_barrier_wait -1
	v_cmpx_lt_u32_e32 31, v32
; %bb.88:
	v_lshl_add_u32 v51, v51, 2, -4
	ds_load_b32 v52, v51
; %bb.89:
	s_or_b32 exec_lo, exec_lo, s0
	v_sub_co_u32 v51, vcc_lo, v33, 1
	s_wait_dscnt 0x0
	v_add_nc_u32_e32 v50, v52, v50
	s_delay_alu instid0(VALU_DEP_2) | instskip(NEXT) | instid1(VALU_DEP_1)
	v_cmp_gt_i32_e64 s0, 0, v51
	v_cndmask_b32_e64 v33, v51, v33, s0
	v_cmp_lt_u32_e64 s0, 0xff, v32
	s_delay_alu instid0(VALU_DEP_2) | instskip(SKIP_4) | instid1(VALU_DEP_2)
	v_lshlrev_b32_e32 v33, 2, v33
	ds_bpermute_b32 v33, v33, v50
	s_wait_dscnt 0x0
	v_cndmask_b32_e32 v33, v33, v52, vcc_lo
	v_cmp_ne_u32_e32 vcc_lo, 0, v32
	v_cndmask_b32_e32 v33, 0, v33, vcc_lo
	v_cmp_gt_u32_e32 vcc_lo, 0x100, v32
	s_delay_alu instid0(VALU_DEP_2) | instskip(NEXT) | instid1(VALU_DEP_1)
	v_add_nc_u32_e32 v22, v33, v22
	v_add_nc_u32_e32 v23, v22, v23
	s_delay_alu instid0(VALU_DEP_1) | instskip(NEXT) | instid1(VALU_DEP_1)
	v_add_nc_u32_e32 v20, v23, v20
	v_add_nc_u32_e32 v21, v20, v21
	s_delay_alu instid0(VALU_DEP_1) | instskip(NEXT) | instid1(VALU_DEP_1)
	;; [unrolled: 3-line block ×3, first 2 shown]
	v_add_nc_u32_e32 v0, v19, v0
	v_add_nc_u32_e32 v1, v0, v1
	ds_store_2addr_b32 v24, v33, v22 offset0:16 offset1:17
	ds_store_2addr_b32 v24, v23, v20 offset0:18 offset1:19
	;; [unrolled: 1-line block ×4, first 2 shown]
	ds_store_b32 v24, v1 offset:96
	s_wait_dscnt 0x0
	s_barrier_signal -1
	s_barrier_wait -1
	ds_load_b32 v21, v25 offset:64
	ds_load_b32 v19, v26 offset:64
	ds_load_b32 v33, v27 offset:64
	ds_load_b32 v50, v28 offset:64
	ds_load_b32 v51, v29 offset:64
	ds_load_b32 v43, v43 offset:64
	ds_load_b32 v46, v46 offset:64
	ds_load_b32 v49, v49 offset:64
	v_mov_b64_e32 v[0:1], 0
                                        ; implicit-def: $vgpr18
	s_and_saveexec_b32 s2, vcc_lo
	s_cbranch_execz .LBB1225_93
; %bb.90:
	v_mul_u32_u24_e32 v0, 0x44, v32
	v_dual_mov_b32 v1, 0x1000 :: v_dual_add_nc_u32 v18, 1, v32
	s_mov_b32 s3, exec_lo
	ds_load_b32 v0, v0 offset:64
	v_cmpx_ne_u32_e32 0x100, v18
; %bb.91:
	v_mul_u32_u24_e32 v1, 0x44, v18
	ds_load_b32 v1, v1 offset:64
; %bb.92:
	s_or_b32 exec_lo, exec_lo, s3
	s_wait_dscnt 0x0
	v_dual_mov_b32 v1, 0 :: v_dual_sub_nc_u32 v18, v1, v0
.LBB1225_93:
	s_or_b32 exec_lo, exec_lo, s2
	v_dual_mov_b32 v23, 0 :: v_dual_lshlrev_b32 v20, 3, v32
	s_wait_dscnt 0x0
	s_barrier_signal -1
	s_barrier_wait -1
	s_and_saveexec_b32 s1, vcc_lo
	s_cbranch_execz .LBB1225_103
; %bb.94:
	v_lshl_add_u32 v22, s9, 8, v32
	v_dual_mov_b32 v26, 0 :: v_dual_bitop2_b32 v27, 2.0, v18 bitop3:0x54
	s_mov_b32 s2, 0
	s_mov_b32 s3, s9
	s_delay_alu instid0(VALU_DEP_2)
	v_lshl_add_u64 v[24:25], v[22:23], 2, s[10:11]
	global_store_b32 v22, v27, s[10:11] scale_offset scope:SCOPE_DEV
                                        ; implicit-def: $sgpr4
	s_branch .LBB1225_97
.LBB1225_95:                            ;   in Loop: Header=BB1225_97 Depth=1
	s_or_b32 exec_lo, exec_lo, s6
.LBB1225_96:                            ;   in Loop: Header=BB1225_97 Depth=1
	s_delay_alu instid0(SALU_CYCLE_1) | instskip(SKIP_2) | instid1(VALU_DEP_2)
	s_or_b32 exec_lo, exec_lo, s4
	v_and_b32_e32 v22, 0x3fffffff, v27
	v_cmp_gt_i32_e64 s4, -2.0, v27
	v_add_nc_u32_e32 v26, v22, v26
	s_and_b32 s6, exec_lo, s4
	s_delay_alu instid0(SALU_CYCLE_1) | instskip(NEXT) | instid1(SALU_CYCLE_1)
	s_or_b32 s2, s6, s2
	s_and_not1_b32 exec_lo, exec_lo, s2
	s_cbranch_execz .LBB1225_102
.LBB1225_97:                            ; =>This Loop Header: Depth=1
                                        ;     Child Loop BB1225_100 Depth 2
	s_or_b32 s4, s4, exec_lo
	s_cmp_eq_u32 s3, 0
	s_cbranch_scc1 .LBB1225_101
; %bb.98:                               ;   in Loop: Header=BB1225_97 Depth=1
	s_add_co_i32 s3, s3, -1
	s_mov_b32 s4, exec_lo
	s_wait_xcnt 0x0
	v_lshl_or_b32 v22, s3, 8, v32
	global_load_b32 v27, v22, s[10:11] scale_offset scope:SCOPE_DEV
	s_wait_loadcnt 0x0
	v_cmpx_gt_u32_e32 2.0, v27
	s_cbranch_execz .LBB1225_96
; %bb.99:                               ;   in Loop: Header=BB1225_97 Depth=1
	v_lshl_add_u64 v[28:29], v[22:23], 2, s[10:11]
	s_mov_b32 s6, 0
.LBB1225_100:                           ;   Parent Loop BB1225_97 Depth=1
                                        ; =>  This Inner Loop Header: Depth=2
	global_load_b32 v27, v[28:29], off scope:SCOPE_DEV
	s_wait_loadcnt 0x0
	v_cmp_lt_u32_e32 vcc_lo, 0x3fffffff, v27
	s_or_b32 s6, vcc_lo, s6
	s_wait_xcnt 0x0
	s_and_not1_b32 exec_lo, exec_lo, s6
	s_cbranch_execnz .LBB1225_100
	s_branch .LBB1225_95
.LBB1225_101:                           ;   in Loop: Header=BB1225_97 Depth=1
                                        ; implicit-def: $sgpr3
	s_and_b32 s6, exec_lo, s4
	s_delay_alu instid0(SALU_CYCLE_1)
	s_or_b32 s2, s6, s2
	s_wait_xcnt 0x0
	s_and_not1_b32 exec_lo, exec_lo, s2
	s_cbranch_execnz .LBB1225_97
.LBB1225_102:
	s_or_b32 exec_lo, exec_lo, s2
	v_dual_mov_b32 v27, 0 :: v_dual_add_nc_u32 v22, v26, v18
	s_delay_alu instid0(VALU_DEP_1) | instskip(SKIP_4) | instid1(VALU_DEP_1)
	v_or_b32_e32 v22, 0x80000000, v22
	global_store_b32 v[24:25], v22, off scope:SCOPE_DEV
	global_load_b64 v[22:23], v32, s[12:13] scale_offset
	v_sub_nc_u64_e32 v[24:25], v[26:27], v[0:1]
	s_wait_loadcnt 0x0
	v_add_nc_u64_e32 v[22:23], v[24:25], v[22:23]
	ds_store_b64 v20, v[22:23]
.LBB1225_103:
	s_wait_xcnt 0x0
	s_or_b32 exec_lo, exec_lo, s1
	v_dual_mov_b32 v21, 0 :: v_dual_add_nc_u32 v24, v21, v30
	v_add3_u32 v25, v48, v49, v47
	v_add3_u32 v26, v45, v46, v44
	;; [unrolled: 1-line block ×4, first 2 shown]
	v_add_nc_u64_e32 v[22:23], s[18:19], v[20:21]
	v_add3_u32 v29, v38, v50, v37
	v_add3_u32 v21, v36, v33, v35
	;; [unrolled: 1-line block ×3, first 2 shown]
	s_mov_b32 s2, -1
	s_mov_b32 s1, 0
.LBB1225_104:                           ; =>This Inner Loop Header: Depth=1
	s_wait_xcnt 0x3
	v_add_min_u32_e64 v30, v24, s1, 0x800
	v_add_min_u32_e64 v31, v19, s1, 0x800
	;; [unrolled: 1-line block ×5, first 2 shown]
	s_wait_xcnt 0x2
	v_add_min_u32_e64 v36, v27, s1, 0x800
	v_add_min_u32_e64 v37, v26, s1, 0x800
	s_wait_xcnt 0x1
	v_add_min_u32_e64 v38, v25, s1, 0x800
	v_dual_lshlrev_b32 v30, 3, v30 :: v_dual_lshlrev_b32 v31, 3, v31
	v_dual_lshlrev_b32 v33, 3, v33 :: v_dual_lshlrev_b32 v34, 3, v34
	;; [unrolled: 1-line block ×3, first 2 shown]
	s_delay_alu instid0(VALU_DEP_4)
	v_dual_lshlrev_b32 v37, 3, v37 :: v_dual_lshlrev_b32 v38, 3, v38
	ds_store_b64 v30, v[2:3] offset:2048
	ds_store_b64 v31, v[4:5] offset:2048
	;; [unrolled: 1-line block ×8, first 2 shown]
	s_wait_storecnt_dscnt 0x0
	s_barrier_signal -1
	s_barrier_wait -1
	ds_load_2addr_stride64_b64 v[34:37], v20 offset0:4 offset1:12
	s_wait_xcnt 0x0
	ds_load_2addr_stride64_b64 v[38:41], v20 offset0:20 offset1:28
	s_addk_co_i32 s1, 0xf800
	s_and_b32 vcc_lo, exec_lo, s2
	s_mov_b32 s2, 0
	s_wait_dscnt 0x1
	v_lshrrev_b64 v[30:31], s20, v[34:35]
	s_wait_dscnt 0x0
	v_lshrrev_b64 v[44:45], s20, v[38:39]
	v_lshrrev_b64 v[42:43], s20, v[36:37]
	;; [unrolled: 1-line block ×3, first 2 shown]
	v_xor_b32_e32 v35, 0x80000000, v35
	v_xor_b32_e32 v37, 0x80000000, v37
	v_xor_b32_e32 v39, 0x80000000, v39
	v_xor_b32_e32 v41, 0x80000000, v41
	v_and_b32_e32 v33, s5, v44
	v_and_b32_e32 v31, s5, v42
	s_delay_alu instid0(VALU_DEP_2) | instskip(NEXT) | instid1(VALU_DEP_2)
	v_dual_lshlrev_b32 v33, 3, v33 :: v_dual_bitop2_b32 v42, s5, v46 bitop3:0x40
	v_dual_lshlrev_b32 v43, 3, v31 :: v_dual_bitop2_b32 v30, s5, v30 bitop3:0x40
	s_delay_alu instid0(VALU_DEP_2) | instskip(NEXT) | instid1(VALU_DEP_2)
	v_lshlrev_b32_e32 v46, 3, v42
	v_lshlrev_b32_e32 v30, 3, v30
	ds_load_b64 v[30:31], v30
	ds_load_b64 v[42:43], v43
	;; [unrolled: 1-line block ×4, first 2 shown]
	s_wait_dscnt 0x3
	v_lshl_add_u64 v[30:31], v[30:31], 3, v[22:23]
	s_wait_dscnt 0x2
	v_lshl_add_u64 v[42:43], v[42:43], 3, v[22:23]
	;; [unrolled: 2-line block ×4, first 2 shown]
	v_add_nc_u64_e32 v[22:23], 0x4000, v[22:23]
	s_clause 0x3
	global_store_b64 v[30:31], v[34:35], off
	global_store_b64 v[42:43], v[36:37], off offset:4096
	global_store_b64 v[44:45], v[38:39], off offset:8192
	;; [unrolled: 1-line block ×3, first 2 shown]
	s_wait_storecnt 0x0
	s_barrier_signal -1
	s_barrier_wait -1
	s_cbranch_vccnz .LBB1225_104
; %bb.105:
	s_add_co_i32 s7, s7, -1
	s_delay_alu instid0(SALU_CYCLE_1) | instskip(SKIP_2) | instid1(SALU_CYCLE_1)
	s_cmp_eq_u32 s9, s7
	s_cselect_b32 s1, -1, 0
	s_xor_b32 s0, s0, -1
	s_and_b32 s0, s0, s1
	s_wait_xcnt 0x0
	s_and_saveexec_b32 s1, s0
	s_cbranch_execz .LBB1225_107
; %bb.106:
	ds_load_b64 v[2:3], v20
	v_mov_b32_e32 v19, 0
	s_delay_alu instid0(VALU_DEP_1) | instskip(SKIP_1) | instid1(VALU_DEP_1)
	v_add_nc_u64_e32 v[0:1], v[0:1], v[18:19]
	s_wait_dscnt 0x0
	v_add_nc_u64_e32 v[0:1], v[0:1], v[2:3]
	global_store_b64 v32, v[0:1], s[14:15] scale_offset
.LBB1225_107:
	s_endpgm
	.section	.rodata,"a",@progbits
	.p2align	6, 0x0
	.amdhsa_kernel _ZN7rocprim17ROCPRIM_400000_NS6detail17trampoline_kernelINS0_14default_configENS1_35radix_sort_onesweep_config_selectorIlNS0_10empty_typeEEEZZNS1_29radix_sort_onesweep_iterationIS3_Lb0EPKlPlPS5_SB_mNS0_19identity_decomposerENS1_16block_id_wrapperIjLb0EEEEE10hipError_tT1_PNSt15iterator_traitsISG_E10value_typeET2_T3_PNSH_ISM_E10value_typeET4_T5_PSR_SS_PNS1_23onesweep_lookback_stateEbbT6_jjT7_P12ihipStream_tbENKUlT_T0_SG_SL_E_clIS9_SA_SB_SB_EEDaSZ_S10_SG_SL_EUlSZ_E_NS1_11comp_targetILNS1_3genE0ELNS1_11target_archE4294967295ELNS1_3gpuE0ELNS1_3repE0EEENS1_47radix_sort_onesweep_sort_config_static_selectorELNS0_4arch9wavefront6targetE0EEEvSG_
		.amdhsa_group_segment_fixed_size 18504
		.amdhsa_private_segment_fixed_size 0
		.amdhsa_kernarg_size 344
		.amdhsa_user_sgpr_count 2
		.amdhsa_user_sgpr_dispatch_ptr 0
		.amdhsa_user_sgpr_queue_ptr 0
		.amdhsa_user_sgpr_kernarg_segment_ptr 1
		.amdhsa_user_sgpr_dispatch_id 0
		.amdhsa_user_sgpr_kernarg_preload_length 0
		.amdhsa_user_sgpr_kernarg_preload_offset 0
		.amdhsa_user_sgpr_private_segment_size 0
		.amdhsa_wavefront_size32 1
		.amdhsa_uses_dynamic_stack 0
		.amdhsa_enable_private_segment 0
		.amdhsa_system_sgpr_workgroup_id_x 1
		.amdhsa_system_sgpr_workgroup_id_y 0
		.amdhsa_system_sgpr_workgroup_id_z 0
		.amdhsa_system_sgpr_workgroup_info 0
		.amdhsa_system_vgpr_workitem_id 2
		.amdhsa_next_free_vgpr 57
		.amdhsa_next_free_sgpr 28
		.amdhsa_named_barrier_count 0
		.amdhsa_reserve_vcc 1
		.amdhsa_float_round_mode_32 0
		.amdhsa_float_round_mode_16_64 0
		.amdhsa_float_denorm_mode_32 3
		.amdhsa_float_denorm_mode_16_64 3
		.amdhsa_fp16_overflow 0
		.amdhsa_memory_ordered 1
		.amdhsa_forward_progress 1
		.amdhsa_inst_pref_size 88
		.amdhsa_round_robin_scheduling 0
		.amdhsa_exception_fp_ieee_invalid_op 0
		.amdhsa_exception_fp_denorm_src 0
		.amdhsa_exception_fp_ieee_div_zero 0
		.amdhsa_exception_fp_ieee_overflow 0
		.amdhsa_exception_fp_ieee_underflow 0
		.amdhsa_exception_fp_ieee_inexact 0
		.amdhsa_exception_int_div_zero 0
	.end_amdhsa_kernel
	.section	.text._ZN7rocprim17ROCPRIM_400000_NS6detail17trampoline_kernelINS0_14default_configENS1_35radix_sort_onesweep_config_selectorIlNS0_10empty_typeEEEZZNS1_29radix_sort_onesweep_iterationIS3_Lb0EPKlPlPS5_SB_mNS0_19identity_decomposerENS1_16block_id_wrapperIjLb0EEEEE10hipError_tT1_PNSt15iterator_traitsISG_E10value_typeET2_T3_PNSH_ISM_E10value_typeET4_T5_PSR_SS_PNS1_23onesweep_lookback_stateEbbT6_jjT7_P12ihipStream_tbENKUlT_T0_SG_SL_E_clIS9_SA_SB_SB_EEDaSZ_S10_SG_SL_EUlSZ_E_NS1_11comp_targetILNS1_3genE0ELNS1_11target_archE4294967295ELNS1_3gpuE0ELNS1_3repE0EEENS1_47radix_sort_onesweep_sort_config_static_selectorELNS0_4arch9wavefront6targetE0EEEvSG_,"axG",@progbits,_ZN7rocprim17ROCPRIM_400000_NS6detail17trampoline_kernelINS0_14default_configENS1_35radix_sort_onesweep_config_selectorIlNS0_10empty_typeEEEZZNS1_29radix_sort_onesweep_iterationIS3_Lb0EPKlPlPS5_SB_mNS0_19identity_decomposerENS1_16block_id_wrapperIjLb0EEEEE10hipError_tT1_PNSt15iterator_traitsISG_E10value_typeET2_T3_PNSH_ISM_E10value_typeET4_T5_PSR_SS_PNS1_23onesweep_lookback_stateEbbT6_jjT7_P12ihipStream_tbENKUlT_T0_SG_SL_E_clIS9_SA_SB_SB_EEDaSZ_S10_SG_SL_EUlSZ_E_NS1_11comp_targetILNS1_3genE0ELNS1_11target_archE4294967295ELNS1_3gpuE0ELNS1_3repE0EEENS1_47radix_sort_onesweep_sort_config_static_selectorELNS0_4arch9wavefront6targetE0EEEvSG_,comdat
.Lfunc_end1225:
	.size	_ZN7rocprim17ROCPRIM_400000_NS6detail17trampoline_kernelINS0_14default_configENS1_35radix_sort_onesweep_config_selectorIlNS0_10empty_typeEEEZZNS1_29radix_sort_onesweep_iterationIS3_Lb0EPKlPlPS5_SB_mNS0_19identity_decomposerENS1_16block_id_wrapperIjLb0EEEEE10hipError_tT1_PNSt15iterator_traitsISG_E10value_typeET2_T3_PNSH_ISM_E10value_typeET4_T5_PSR_SS_PNS1_23onesweep_lookback_stateEbbT6_jjT7_P12ihipStream_tbENKUlT_T0_SG_SL_E_clIS9_SA_SB_SB_EEDaSZ_S10_SG_SL_EUlSZ_E_NS1_11comp_targetILNS1_3genE0ELNS1_11target_archE4294967295ELNS1_3gpuE0ELNS1_3repE0EEENS1_47radix_sort_onesweep_sort_config_static_selectorELNS0_4arch9wavefront6targetE0EEEvSG_, .Lfunc_end1225-_ZN7rocprim17ROCPRIM_400000_NS6detail17trampoline_kernelINS0_14default_configENS1_35radix_sort_onesweep_config_selectorIlNS0_10empty_typeEEEZZNS1_29radix_sort_onesweep_iterationIS3_Lb0EPKlPlPS5_SB_mNS0_19identity_decomposerENS1_16block_id_wrapperIjLb0EEEEE10hipError_tT1_PNSt15iterator_traitsISG_E10value_typeET2_T3_PNSH_ISM_E10value_typeET4_T5_PSR_SS_PNS1_23onesweep_lookback_stateEbbT6_jjT7_P12ihipStream_tbENKUlT_T0_SG_SL_E_clIS9_SA_SB_SB_EEDaSZ_S10_SG_SL_EUlSZ_E_NS1_11comp_targetILNS1_3genE0ELNS1_11target_archE4294967295ELNS1_3gpuE0ELNS1_3repE0EEENS1_47radix_sort_onesweep_sort_config_static_selectorELNS0_4arch9wavefront6targetE0EEEvSG_
                                        ; -- End function
	.set _ZN7rocprim17ROCPRIM_400000_NS6detail17trampoline_kernelINS0_14default_configENS1_35radix_sort_onesweep_config_selectorIlNS0_10empty_typeEEEZZNS1_29radix_sort_onesweep_iterationIS3_Lb0EPKlPlPS5_SB_mNS0_19identity_decomposerENS1_16block_id_wrapperIjLb0EEEEE10hipError_tT1_PNSt15iterator_traitsISG_E10value_typeET2_T3_PNSH_ISM_E10value_typeET4_T5_PSR_SS_PNS1_23onesweep_lookback_stateEbbT6_jjT7_P12ihipStream_tbENKUlT_T0_SG_SL_E_clIS9_SA_SB_SB_EEDaSZ_S10_SG_SL_EUlSZ_E_NS1_11comp_targetILNS1_3genE0ELNS1_11target_archE4294967295ELNS1_3gpuE0ELNS1_3repE0EEENS1_47radix_sort_onesweep_sort_config_static_selectorELNS0_4arch9wavefront6targetE0EEEvSG_.num_vgpr, 57
	.set _ZN7rocprim17ROCPRIM_400000_NS6detail17trampoline_kernelINS0_14default_configENS1_35radix_sort_onesweep_config_selectorIlNS0_10empty_typeEEEZZNS1_29radix_sort_onesweep_iterationIS3_Lb0EPKlPlPS5_SB_mNS0_19identity_decomposerENS1_16block_id_wrapperIjLb0EEEEE10hipError_tT1_PNSt15iterator_traitsISG_E10value_typeET2_T3_PNSH_ISM_E10value_typeET4_T5_PSR_SS_PNS1_23onesweep_lookback_stateEbbT6_jjT7_P12ihipStream_tbENKUlT_T0_SG_SL_E_clIS9_SA_SB_SB_EEDaSZ_S10_SG_SL_EUlSZ_E_NS1_11comp_targetILNS1_3genE0ELNS1_11target_archE4294967295ELNS1_3gpuE0ELNS1_3repE0EEENS1_47radix_sort_onesweep_sort_config_static_selectorELNS0_4arch9wavefront6targetE0EEEvSG_.num_agpr, 0
	.set _ZN7rocprim17ROCPRIM_400000_NS6detail17trampoline_kernelINS0_14default_configENS1_35radix_sort_onesweep_config_selectorIlNS0_10empty_typeEEEZZNS1_29radix_sort_onesweep_iterationIS3_Lb0EPKlPlPS5_SB_mNS0_19identity_decomposerENS1_16block_id_wrapperIjLb0EEEEE10hipError_tT1_PNSt15iterator_traitsISG_E10value_typeET2_T3_PNSH_ISM_E10value_typeET4_T5_PSR_SS_PNS1_23onesweep_lookback_stateEbbT6_jjT7_P12ihipStream_tbENKUlT_T0_SG_SL_E_clIS9_SA_SB_SB_EEDaSZ_S10_SG_SL_EUlSZ_E_NS1_11comp_targetILNS1_3genE0ELNS1_11target_archE4294967295ELNS1_3gpuE0ELNS1_3repE0EEENS1_47radix_sort_onesweep_sort_config_static_selectorELNS0_4arch9wavefront6targetE0EEEvSG_.numbered_sgpr, 28
	.set _ZN7rocprim17ROCPRIM_400000_NS6detail17trampoline_kernelINS0_14default_configENS1_35radix_sort_onesweep_config_selectorIlNS0_10empty_typeEEEZZNS1_29radix_sort_onesweep_iterationIS3_Lb0EPKlPlPS5_SB_mNS0_19identity_decomposerENS1_16block_id_wrapperIjLb0EEEEE10hipError_tT1_PNSt15iterator_traitsISG_E10value_typeET2_T3_PNSH_ISM_E10value_typeET4_T5_PSR_SS_PNS1_23onesweep_lookback_stateEbbT6_jjT7_P12ihipStream_tbENKUlT_T0_SG_SL_E_clIS9_SA_SB_SB_EEDaSZ_S10_SG_SL_EUlSZ_E_NS1_11comp_targetILNS1_3genE0ELNS1_11target_archE4294967295ELNS1_3gpuE0ELNS1_3repE0EEENS1_47radix_sort_onesweep_sort_config_static_selectorELNS0_4arch9wavefront6targetE0EEEvSG_.num_named_barrier, 0
	.set _ZN7rocprim17ROCPRIM_400000_NS6detail17trampoline_kernelINS0_14default_configENS1_35radix_sort_onesweep_config_selectorIlNS0_10empty_typeEEEZZNS1_29radix_sort_onesweep_iterationIS3_Lb0EPKlPlPS5_SB_mNS0_19identity_decomposerENS1_16block_id_wrapperIjLb0EEEEE10hipError_tT1_PNSt15iterator_traitsISG_E10value_typeET2_T3_PNSH_ISM_E10value_typeET4_T5_PSR_SS_PNS1_23onesweep_lookback_stateEbbT6_jjT7_P12ihipStream_tbENKUlT_T0_SG_SL_E_clIS9_SA_SB_SB_EEDaSZ_S10_SG_SL_EUlSZ_E_NS1_11comp_targetILNS1_3genE0ELNS1_11target_archE4294967295ELNS1_3gpuE0ELNS1_3repE0EEENS1_47radix_sort_onesweep_sort_config_static_selectorELNS0_4arch9wavefront6targetE0EEEvSG_.private_seg_size, 0
	.set _ZN7rocprim17ROCPRIM_400000_NS6detail17trampoline_kernelINS0_14default_configENS1_35radix_sort_onesweep_config_selectorIlNS0_10empty_typeEEEZZNS1_29radix_sort_onesweep_iterationIS3_Lb0EPKlPlPS5_SB_mNS0_19identity_decomposerENS1_16block_id_wrapperIjLb0EEEEE10hipError_tT1_PNSt15iterator_traitsISG_E10value_typeET2_T3_PNSH_ISM_E10value_typeET4_T5_PSR_SS_PNS1_23onesweep_lookback_stateEbbT6_jjT7_P12ihipStream_tbENKUlT_T0_SG_SL_E_clIS9_SA_SB_SB_EEDaSZ_S10_SG_SL_EUlSZ_E_NS1_11comp_targetILNS1_3genE0ELNS1_11target_archE4294967295ELNS1_3gpuE0ELNS1_3repE0EEENS1_47radix_sort_onesweep_sort_config_static_selectorELNS0_4arch9wavefront6targetE0EEEvSG_.uses_vcc, 1
	.set _ZN7rocprim17ROCPRIM_400000_NS6detail17trampoline_kernelINS0_14default_configENS1_35radix_sort_onesweep_config_selectorIlNS0_10empty_typeEEEZZNS1_29radix_sort_onesweep_iterationIS3_Lb0EPKlPlPS5_SB_mNS0_19identity_decomposerENS1_16block_id_wrapperIjLb0EEEEE10hipError_tT1_PNSt15iterator_traitsISG_E10value_typeET2_T3_PNSH_ISM_E10value_typeET4_T5_PSR_SS_PNS1_23onesweep_lookback_stateEbbT6_jjT7_P12ihipStream_tbENKUlT_T0_SG_SL_E_clIS9_SA_SB_SB_EEDaSZ_S10_SG_SL_EUlSZ_E_NS1_11comp_targetILNS1_3genE0ELNS1_11target_archE4294967295ELNS1_3gpuE0ELNS1_3repE0EEENS1_47radix_sort_onesweep_sort_config_static_selectorELNS0_4arch9wavefront6targetE0EEEvSG_.uses_flat_scratch, 0
	.set _ZN7rocprim17ROCPRIM_400000_NS6detail17trampoline_kernelINS0_14default_configENS1_35radix_sort_onesweep_config_selectorIlNS0_10empty_typeEEEZZNS1_29radix_sort_onesweep_iterationIS3_Lb0EPKlPlPS5_SB_mNS0_19identity_decomposerENS1_16block_id_wrapperIjLb0EEEEE10hipError_tT1_PNSt15iterator_traitsISG_E10value_typeET2_T3_PNSH_ISM_E10value_typeET4_T5_PSR_SS_PNS1_23onesweep_lookback_stateEbbT6_jjT7_P12ihipStream_tbENKUlT_T0_SG_SL_E_clIS9_SA_SB_SB_EEDaSZ_S10_SG_SL_EUlSZ_E_NS1_11comp_targetILNS1_3genE0ELNS1_11target_archE4294967295ELNS1_3gpuE0ELNS1_3repE0EEENS1_47radix_sort_onesweep_sort_config_static_selectorELNS0_4arch9wavefront6targetE0EEEvSG_.has_dyn_sized_stack, 0
	.set _ZN7rocprim17ROCPRIM_400000_NS6detail17trampoline_kernelINS0_14default_configENS1_35radix_sort_onesweep_config_selectorIlNS0_10empty_typeEEEZZNS1_29radix_sort_onesweep_iterationIS3_Lb0EPKlPlPS5_SB_mNS0_19identity_decomposerENS1_16block_id_wrapperIjLb0EEEEE10hipError_tT1_PNSt15iterator_traitsISG_E10value_typeET2_T3_PNSH_ISM_E10value_typeET4_T5_PSR_SS_PNS1_23onesweep_lookback_stateEbbT6_jjT7_P12ihipStream_tbENKUlT_T0_SG_SL_E_clIS9_SA_SB_SB_EEDaSZ_S10_SG_SL_EUlSZ_E_NS1_11comp_targetILNS1_3genE0ELNS1_11target_archE4294967295ELNS1_3gpuE0ELNS1_3repE0EEENS1_47radix_sort_onesweep_sort_config_static_selectorELNS0_4arch9wavefront6targetE0EEEvSG_.has_recursion, 0
	.set _ZN7rocprim17ROCPRIM_400000_NS6detail17trampoline_kernelINS0_14default_configENS1_35radix_sort_onesweep_config_selectorIlNS0_10empty_typeEEEZZNS1_29radix_sort_onesweep_iterationIS3_Lb0EPKlPlPS5_SB_mNS0_19identity_decomposerENS1_16block_id_wrapperIjLb0EEEEE10hipError_tT1_PNSt15iterator_traitsISG_E10value_typeET2_T3_PNSH_ISM_E10value_typeET4_T5_PSR_SS_PNS1_23onesweep_lookback_stateEbbT6_jjT7_P12ihipStream_tbENKUlT_T0_SG_SL_E_clIS9_SA_SB_SB_EEDaSZ_S10_SG_SL_EUlSZ_E_NS1_11comp_targetILNS1_3genE0ELNS1_11target_archE4294967295ELNS1_3gpuE0ELNS1_3repE0EEENS1_47radix_sort_onesweep_sort_config_static_selectorELNS0_4arch9wavefront6targetE0EEEvSG_.has_indirect_call, 0
	.section	.AMDGPU.csdata,"",@progbits
; Kernel info:
; codeLenInByte = 11176
; TotalNumSgprs: 30
; NumVgprs: 57
; ScratchSize: 0
; MemoryBound: 1
; FloatMode: 240
; IeeeMode: 1
; LDSByteSize: 18504 bytes/workgroup (compile time only)
; SGPRBlocks: 0
; VGPRBlocks: 3
; NumSGPRsForWavesPerEU: 30
; NumVGPRsForWavesPerEU: 57
; NamedBarCnt: 0
; Occupancy: 16
; WaveLimiterHint : 1
; COMPUTE_PGM_RSRC2:SCRATCH_EN: 0
; COMPUTE_PGM_RSRC2:USER_SGPR: 2
; COMPUTE_PGM_RSRC2:TRAP_HANDLER: 0
; COMPUTE_PGM_RSRC2:TGID_X_EN: 1
; COMPUTE_PGM_RSRC2:TGID_Y_EN: 0
; COMPUTE_PGM_RSRC2:TGID_Z_EN: 0
; COMPUTE_PGM_RSRC2:TIDIG_COMP_CNT: 2
	.section	.text._ZN7rocprim17ROCPRIM_400000_NS6detail17trampoline_kernelINS0_14default_configENS1_35radix_sort_onesweep_config_selectorIlNS0_10empty_typeEEEZZNS1_29radix_sort_onesweep_iterationIS3_Lb0EPKlPlPS5_SB_mNS0_19identity_decomposerENS1_16block_id_wrapperIjLb0EEEEE10hipError_tT1_PNSt15iterator_traitsISG_E10value_typeET2_T3_PNSH_ISM_E10value_typeET4_T5_PSR_SS_PNS1_23onesweep_lookback_stateEbbT6_jjT7_P12ihipStream_tbENKUlT_T0_SG_SL_E_clIS9_SA_SB_SB_EEDaSZ_S10_SG_SL_EUlSZ_E_NS1_11comp_targetILNS1_3genE6ELNS1_11target_archE950ELNS1_3gpuE13ELNS1_3repE0EEENS1_47radix_sort_onesweep_sort_config_static_selectorELNS0_4arch9wavefront6targetE0EEEvSG_,"axG",@progbits,_ZN7rocprim17ROCPRIM_400000_NS6detail17trampoline_kernelINS0_14default_configENS1_35radix_sort_onesweep_config_selectorIlNS0_10empty_typeEEEZZNS1_29radix_sort_onesweep_iterationIS3_Lb0EPKlPlPS5_SB_mNS0_19identity_decomposerENS1_16block_id_wrapperIjLb0EEEEE10hipError_tT1_PNSt15iterator_traitsISG_E10value_typeET2_T3_PNSH_ISM_E10value_typeET4_T5_PSR_SS_PNS1_23onesweep_lookback_stateEbbT6_jjT7_P12ihipStream_tbENKUlT_T0_SG_SL_E_clIS9_SA_SB_SB_EEDaSZ_S10_SG_SL_EUlSZ_E_NS1_11comp_targetILNS1_3genE6ELNS1_11target_archE950ELNS1_3gpuE13ELNS1_3repE0EEENS1_47radix_sort_onesweep_sort_config_static_selectorELNS0_4arch9wavefront6targetE0EEEvSG_,comdat
	.protected	_ZN7rocprim17ROCPRIM_400000_NS6detail17trampoline_kernelINS0_14default_configENS1_35radix_sort_onesweep_config_selectorIlNS0_10empty_typeEEEZZNS1_29radix_sort_onesweep_iterationIS3_Lb0EPKlPlPS5_SB_mNS0_19identity_decomposerENS1_16block_id_wrapperIjLb0EEEEE10hipError_tT1_PNSt15iterator_traitsISG_E10value_typeET2_T3_PNSH_ISM_E10value_typeET4_T5_PSR_SS_PNS1_23onesweep_lookback_stateEbbT6_jjT7_P12ihipStream_tbENKUlT_T0_SG_SL_E_clIS9_SA_SB_SB_EEDaSZ_S10_SG_SL_EUlSZ_E_NS1_11comp_targetILNS1_3genE6ELNS1_11target_archE950ELNS1_3gpuE13ELNS1_3repE0EEENS1_47radix_sort_onesweep_sort_config_static_selectorELNS0_4arch9wavefront6targetE0EEEvSG_ ; -- Begin function _ZN7rocprim17ROCPRIM_400000_NS6detail17trampoline_kernelINS0_14default_configENS1_35radix_sort_onesweep_config_selectorIlNS0_10empty_typeEEEZZNS1_29radix_sort_onesweep_iterationIS3_Lb0EPKlPlPS5_SB_mNS0_19identity_decomposerENS1_16block_id_wrapperIjLb0EEEEE10hipError_tT1_PNSt15iterator_traitsISG_E10value_typeET2_T3_PNSH_ISM_E10value_typeET4_T5_PSR_SS_PNS1_23onesweep_lookback_stateEbbT6_jjT7_P12ihipStream_tbENKUlT_T0_SG_SL_E_clIS9_SA_SB_SB_EEDaSZ_S10_SG_SL_EUlSZ_E_NS1_11comp_targetILNS1_3genE6ELNS1_11target_archE950ELNS1_3gpuE13ELNS1_3repE0EEENS1_47radix_sort_onesweep_sort_config_static_selectorELNS0_4arch9wavefront6targetE0EEEvSG_
	.globl	_ZN7rocprim17ROCPRIM_400000_NS6detail17trampoline_kernelINS0_14default_configENS1_35radix_sort_onesweep_config_selectorIlNS0_10empty_typeEEEZZNS1_29radix_sort_onesweep_iterationIS3_Lb0EPKlPlPS5_SB_mNS0_19identity_decomposerENS1_16block_id_wrapperIjLb0EEEEE10hipError_tT1_PNSt15iterator_traitsISG_E10value_typeET2_T3_PNSH_ISM_E10value_typeET4_T5_PSR_SS_PNS1_23onesweep_lookback_stateEbbT6_jjT7_P12ihipStream_tbENKUlT_T0_SG_SL_E_clIS9_SA_SB_SB_EEDaSZ_S10_SG_SL_EUlSZ_E_NS1_11comp_targetILNS1_3genE6ELNS1_11target_archE950ELNS1_3gpuE13ELNS1_3repE0EEENS1_47radix_sort_onesweep_sort_config_static_selectorELNS0_4arch9wavefront6targetE0EEEvSG_
	.p2align	8
	.type	_ZN7rocprim17ROCPRIM_400000_NS6detail17trampoline_kernelINS0_14default_configENS1_35radix_sort_onesweep_config_selectorIlNS0_10empty_typeEEEZZNS1_29radix_sort_onesweep_iterationIS3_Lb0EPKlPlPS5_SB_mNS0_19identity_decomposerENS1_16block_id_wrapperIjLb0EEEEE10hipError_tT1_PNSt15iterator_traitsISG_E10value_typeET2_T3_PNSH_ISM_E10value_typeET4_T5_PSR_SS_PNS1_23onesweep_lookback_stateEbbT6_jjT7_P12ihipStream_tbENKUlT_T0_SG_SL_E_clIS9_SA_SB_SB_EEDaSZ_S10_SG_SL_EUlSZ_E_NS1_11comp_targetILNS1_3genE6ELNS1_11target_archE950ELNS1_3gpuE13ELNS1_3repE0EEENS1_47radix_sort_onesweep_sort_config_static_selectorELNS0_4arch9wavefront6targetE0EEEvSG_,@function
_ZN7rocprim17ROCPRIM_400000_NS6detail17trampoline_kernelINS0_14default_configENS1_35radix_sort_onesweep_config_selectorIlNS0_10empty_typeEEEZZNS1_29radix_sort_onesweep_iterationIS3_Lb0EPKlPlPS5_SB_mNS0_19identity_decomposerENS1_16block_id_wrapperIjLb0EEEEE10hipError_tT1_PNSt15iterator_traitsISG_E10value_typeET2_T3_PNSH_ISM_E10value_typeET4_T5_PSR_SS_PNS1_23onesweep_lookback_stateEbbT6_jjT7_P12ihipStream_tbENKUlT_T0_SG_SL_E_clIS9_SA_SB_SB_EEDaSZ_S10_SG_SL_EUlSZ_E_NS1_11comp_targetILNS1_3genE6ELNS1_11target_archE950ELNS1_3gpuE13ELNS1_3repE0EEENS1_47radix_sort_onesweep_sort_config_static_selectorELNS0_4arch9wavefront6targetE0EEEvSG_: ; @_ZN7rocprim17ROCPRIM_400000_NS6detail17trampoline_kernelINS0_14default_configENS1_35radix_sort_onesweep_config_selectorIlNS0_10empty_typeEEEZZNS1_29radix_sort_onesweep_iterationIS3_Lb0EPKlPlPS5_SB_mNS0_19identity_decomposerENS1_16block_id_wrapperIjLb0EEEEE10hipError_tT1_PNSt15iterator_traitsISG_E10value_typeET2_T3_PNSH_ISM_E10value_typeET4_T5_PSR_SS_PNS1_23onesweep_lookback_stateEbbT6_jjT7_P12ihipStream_tbENKUlT_T0_SG_SL_E_clIS9_SA_SB_SB_EEDaSZ_S10_SG_SL_EUlSZ_E_NS1_11comp_targetILNS1_3genE6ELNS1_11target_archE950ELNS1_3gpuE13ELNS1_3repE0EEENS1_47radix_sort_onesweep_sort_config_static_selectorELNS0_4arch9wavefront6targetE0EEEvSG_
; %bb.0:
	.section	.rodata,"a",@progbits
	.p2align	6, 0x0
	.amdhsa_kernel _ZN7rocprim17ROCPRIM_400000_NS6detail17trampoline_kernelINS0_14default_configENS1_35radix_sort_onesweep_config_selectorIlNS0_10empty_typeEEEZZNS1_29radix_sort_onesweep_iterationIS3_Lb0EPKlPlPS5_SB_mNS0_19identity_decomposerENS1_16block_id_wrapperIjLb0EEEEE10hipError_tT1_PNSt15iterator_traitsISG_E10value_typeET2_T3_PNSH_ISM_E10value_typeET4_T5_PSR_SS_PNS1_23onesweep_lookback_stateEbbT6_jjT7_P12ihipStream_tbENKUlT_T0_SG_SL_E_clIS9_SA_SB_SB_EEDaSZ_S10_SG_SL_EUlSZ_E_NS1_11comp_targetILNS1_3genE6ELNS1_11target_archE950ELNS1_3gpuE13ELNS1_3repE0EEENS1_47radix_sort_onesweep_sort_config_static_selectorELNS0_4arch9wavefront6targetE0EEEvSG_
		.amdhsa_group_segment_fixed_size 0
		.amdhsa_private_segment_fixed_size 0
		.amdhsa_kernarg_size 88
		.amdhsa_user_sgpr_count 2
		.amdhsa_user_sgpr_dispatch_ptr 0
		.amdhsa_user_sgpr_queue_ptr 0
		.amdhsa_user_sgpr_kernarg_segment_ptr 1
		.amdhsa_user_sgpr_dispatch_id 0
		.amdhsa_user_sgpr_kernarg_preload_length 0
		.amdhsa_user_sgpr_kernarg_preload_offset 0
		.amdhsa_user_sgpr_private_segment_size 0
		.amdhsa_wavefront_size32 1
		.amdhsa_uses_dynamic_stack 0
		.amdhsa_enable_private_segment 0
		.amdhsa_system_sgpr_workgroup_id_x 1
		.amdhsa_system_sgpr_workgroup_id_y 0
		.amdhsa_system_sgpr_workgroup_id_z 0
		.amdhsa_system_sgpr_workgroup_info 0
		.amdhsa_system_vgpr_workitem_id 0
		.amdhsa_next_free_vgpr 1
		.amdhsa_next_free_sgpr 1
		.amdhsa_named_barrier_count 0
		.amdhsa_reserve_vcc 0
		.amdhsa_float_round_mode_32 0
		.amdhsa_float_round_mode_16_64 0
		.amdhsa_float_denorm_mode_32 3
		.amdhsa_float_denorm_mode_16_64 3
		.amdhsa_fp16_overflow 0
		.amdhsa_memory_ordered 1
		.amdhsa_forward_progress 1
		.amdhsa_inst_pref_size 0
		.amdhsa_round_robin_scheduling 0
		.amdhsa_exception_fp_ieee_invalid_op 0
		.amdhsa_exception_fp_denorm_src 0
		.amdhsa_exception_fp_ieee_div_zero 0
		.amdhsa_exception_fp_ieee_overflow 0
		.amdhsa_exception_fp_ieee_underflow 0
		.amdhsa_exception_fp_ieee_inexact 0
		.amdhsa_exception_int_div_zero 0
	.end_amdhsa_kernel
	.section	.text._ZN7rocprim17ROCPRIM_400000_NS6detail17trampoline_kernelINS0_14default_configENS1_35radix_sort_onesweep_config_selectorIlNS0_10empty_typeEEEZZNS1_29radix_sort_onesweep_iterationIS3_Lb0EPKlPlPS5_SB_mNS0_19identity_decomposerENS1_16block_id_wrapperIjLb0EEEEE10hipError_tT1_PNSt15iterator_traitsISG_E10value_typeET2_T3_PNSH_ISM_E10value_typeET4_T5_PSR_SS_PNS1_23onesweep_lookback_stateEbbT6_jjT7_P12ihipStream_tbENKUlT_T0_SG_SL_E_clIS9_SA_SB_SB_EEDaSZ_S10_SG_SL_EUlSZ_E_NS1_11comp_targetILNS1_3genE6ELNS1_11target_archE950ELNS1_3gpuE13ELNS1_3repE0EEENS1_47radix_sort_onesweep_sort_config_static_selectorELNS0_4arch9wavefront6targetE0EEEvSG_,"axG",@progbits,_ZN7rocprim17ROCPRIM_400000_NS6detail17trampoline_kernelINS0_14default_configENS1_35radix_sort_onesweep_config_selectorIlNS0_10empty_typeEEEZZNS1_29radix_sort_onesweep_iterationIS3_Lb0EPKlPlPS5_SB_mNS0_19identity_decomposerENS1_16block_id_wrapperIjLb0EEEEE10hipError_tT1_PNSt15iterator_traitsISG_E10value_typeET2_T3_PNSH_ISM_E10value_typeET4_T5_PSR_SS_PNS1_23onesweep_lookback_stateEbbT6_jjT7_P12ihipStream_tbENKUlT_T0_SG_SL_E_clIS9_SA_SB_SB_EEDaSZ_S10_SG_SL_EUlSZ_E_NS1_11comp_targetILNS1_3genE6ELNS1_11target_archE950ELNS1_3gpuE13ELNS1_3repE0EEENS1_47radix_sort_onesweep_sort_config_static_selectorELNS0_4arch9wavefront6targetE0EEEvSG_,comdat
.Lfunc_end1226:
	.size	_ZN7rocprim17ROCPRIM_400000_NS6detail17trampoline_kernelINS0_14default_configENS1_35radix_sort_onesweep_config_selectorIlNS0_10empty_typeEEEZZNS1_29radix_sort_onesweep_iterationIS3_Lb0EPKlPlPS5_SB_mNS0_19identity_decomposerENS1_16block_id_wrapperIjLb0EEEEE10hipError_tT1_PNSt15iterator_traitsISG_E10value_typeET2_T3_PNSH_ISM_E10value_typeET4_T5_PSR_SS_PNS1_23onesweep_lookback_stateEbbT6_jjT7_P12ihipStream_tbENKUlT_T0_SG_SL_E_clIS9_SA_SB_SB_EEDaSZ_S10_SG_SL_EUlSZ_E_NS1_11comp_targetILNS1_3genE6ELNS1_11target_archE950ELNS1_3gpuE13ELNS1_3repE0EEENS1_47radix_sort_onesweep_sort_config_static_selectorELNS0_4arch9wavefront6targetE0EEEvSG_, .Lfunc_end1226-_ZN7rocprim17ROCPRIM_400000_NS6detail17trampoline_kernelINS0_14default_configENS1_35radix_sort_onesweep_config_selectorIlNS0_10empty_typeEEEZZNS1_29radix_sort_onesweep_iterationIS3_Lb0EPKlPlPS5_SB_mNS0_19identity_decomposerENS1_16block_id_wrapperIjLb0EEEEE10hipError_tT1_PNSt15iterator_traitsISG_E10value_typeET2_T3_PNSH_ISM_E10value_typeET4_T5_PSR_SS_PNS1_23onesweep_lookback_stateEbbT6_jjT7_P12ihipStream_tbENKUlT_T0_SG_SL_E_clIS9_SA_SB_SB_EEDaSZ_S10_SG_SL_EUlSZ_E_NS1_11comp_targetILNS1_3genE6ELNS1_11target_archE950ELNS1_3gpuE13ELNS1_3repE0EEENS1_47radix_sort_onesweep_sort_config_static_selectorELNS0_4arch9wavefront6targetE0EEEvSG_
                                        ; -- End function
	.set _ZN7rocprim17ROCPRIM_400000_NS6detail17trampoline_kernelINS0_14default_configENS1_35radix_sort_onesweep_config_selectorIlNS0_10empty_typeEEEZZNS1_29radix_sort_onesweep_iterationIS3_Lb0EPKlPlPS5_SB_mNS0_19identity_decomposerENS1_16block_id_wrapperIjLb0EEEEE10hipError_tT1_PNSt15iterator_traitsISG_E10value_typeET2_T3_PNSH_ISM_E10value_typeET4_T5_PSR_SS_PNS1_23onesweep_lookback_stateEbbT6_jjT7_P12ihipStream_tbENKUlT_T0_SG_SL_E_clIS9_SA_SB_SB_EEDaSZ_S10_SG_SL_EUlSZ_E_NS1_11comp_targetILNS1_3genE6ELNS1_11target_archE950ELNS1_3gpuE13ELNS1_3repE0EEENS1_47radix_sort_onesweep_sort_config_static_selectorELNS0_4arch9wavefront6targetE0EEEvSG_.num_vgpr, 0
	.set _ZN7rocprim17ROCPRIM_400000_NS6detail17trampoline_kernelINS0_14default_configENS1_35radix_sort_onesweep_config_selectorIlNS0_10empty_typeEEEZZNS1_29radix_sort_onesweep_iterationIS3_Lb0EPKlPlPS5_SB_mNS0_19identity_decomposerENS1_16block_id_wrapperIjLb0EEEEE10hipError_tT1_PNSt15iterator_traitsISG_E10value_typeET2_T3_PNSH_ISM_E10value_typeET4_T5_PSR_SS_PNS1_23onesweep_lookback_stateEbbT6_jjT7_P12ihipStream_tbENKUlT_T0_SG_SL_E_clIS9_SA_SB_SB_EEDaSZ_S10_SG_SL_EUlSZ_E_NS1_11comp_targetILNS1_3genE6ELNS1_11target_archE950ELNS1_3gpuE13ELNS1_3repE0EEENS1_47radix_sort_onesweep_sort_config_static_selectorELNS0_4arch9wavefront6targetE0EEEvSG_.num_agpr, 0
	.set _ZN7rocprim17ROCPRIM_400000_NS6detail17trampoline_kernelINS0_14default_configENS1_35radix_sort_onesweep_config_selectorIlNS0_10empty_typeEEEZZNS1_29radix_sort_onesweep_iterationIS3_Lb0EPKlPlPS5_SB_mNS0_19identity_decomposerENS1_16block_id_wrapperIjLb0EEEEE10hipError_tT1_PNSt15iterator_traitsISG_E10value_typeET2_T3_PNSH_ISM_E10value_typeET4_T5_PSR_SS_PNS1_23onesweep_lookback_stateEbbT6_jjT7_P12ihipStream_tbENKUlT_T0_SG_SL_E_clIS9_SA_SB_SB_EEDaSZ_S10_SG_SL_EUlSZ_E_NS1_11comp_targetILNS1_3genE6ELNS1_11target_archE950ELNS1_3gpuE13ELNS1_3repE0EEENS1_47radix_sort_onesweep_sort_config_static_selectorELNS0_4arch9wavefront6targetE0EEEvSG_.numbered_sgpr, 0
	.set _ZN7rocprim17ROCPRIM_400000_NS6detail17trampoline_kernelINS0_14default_configENS1_35radix_sort_onesweep_config_selectorIlNS0_10empty_typeEEEZZNS1_29radix_sort_onesweep_iterationIS3_Lb0EPKlPlPS5_SB_mNS0_19identity_decomposerENS1_16block_id_wrapperIjLb0EEEEE10hipError_tT1_PNSt15iterator_traitsISG_E10value_typeET2_T3_PNSH_ISM_E10value_typeET4_T5_PSR_SS_PNS1_23onesweep_lookback_stateEbbT6_jjT7_P12ihipStream_tbENKUlT_T0_SG_SL_E_clIS9_SA_SB_SB_EEDaSZ_S10_SG_SL_EUlSZ_E_NS1_11comp_targetILNS1_3genE6ELNS1_11target_archE950ELNS1_3gpuE13ELNS1_3repE0EEENS1_47radix_sort_onesweep_sort_config_static_selectorELNS0_4arch9wavefront6targetE0EEEvSG_.num_named_barrier, 0
	.set _ZN7rocprim17ROCPRIM_400000_NS6detail17trampoline_kernelINS0_14default_configENS1_35radix_sort_onesweep_config_selectorIlNS0_10empty_typeEEEZZNS1_29radix_sort_onesweep_iterationIS3_Lb0EPKlPlPS5_SB_mNS0_19identity_decomposerENS1_16block_id_wrapperIjLb0EEEEE10hipError_tT1_PNSt15iterator_traitsISG_E10value_typeET2_T3_PNSH_ISM_E10value_typeET4_T5_PSR_SS_PNS1_23onesweep_lookback_stateEbbT6_jjT7_P12ihipStream_tbENKUlT_T0_SG_SL_E_clIS9_SA_SB_SB_EEDaSZ_S10_SG_SL_EUlSZ_E_NS1_11comp_targetILNS1_3genE6ELNS1_11target_archE950ELNS1_3gpuE13ELNS1_3repE0EEENS1_47radix_sort_onesweep_sort_config_static_selectorELNS0_4arch9wavefront6targetE0EEEvSG_.private_seg_size, 0
	.set _ZN7rocprim17ROCPRIM_400000_NS6detail17trampoline_kernelINS0_14default_configENS1_35radix_sort_onesweep_config_selectorIlNS0_10empty_typeEEEZZNS1_29radix_sort_onesweep_iterationIS3_Lb0EPKlPlPS5_SB_mNS0_19identity_decomposerENS1_16block_id_wrapperIjLb0EEEEE10hipError_tT1_PNSt15iterator_traitsISG_E10value_typeET2_T3_PNSH_ISM_E10value_typeET4_T5_PSR_SS_PNS1_23onesweep_lookback_stateEbbT6_jjT7_P12ihipStream_tbENKUlT_T0_SG_SL_E_clIS9_SA_SB_SB_EEDaSZ_S10_SG_SL_EUlSZ_E_NS1_11comp_targetILNS1_3genE6ELNS1_11target_archE950ELNS1_3gpuE13ELNS1_3repE0EEENS1_47radix_sort_onesweep_sort_config_static_selectorELNS0_4arch9wavefront6targetE0EEEvSG_.uses_vcc, 0
	.set _ZN7rocprim17ROCPRIM_400000_NS6detail17trampoline_kernelINS0_14default_configENS1_35radix_sort_onesweep_config_selectorIlNS0_10empty_typeEEEZZNS1_29radix_sort_onesweep_iterationIS3_Lb0EPKlPlPS5_SB_mNS0_19identity_decomposerENS1_16block_id_wrapperIjLb0EEEEE10hipError_tT1_PNSt15iterator_traitsISG_E10value_typeET2_T3_PNSH_ISM_E10value_typeET4_T5_PSR_SS_PNS1_23onesweep_lookback_stateEbbT6_jjT7_P12ihipStream_tbENKUlT_T0_SG_SL_E_clIS9_SA_SB_SB_EEDaSZ_S10_SG_SL_EUlSZ_E_NS1_11comp_targetILNS1_3genE6ELNS1_11target_archE950ELNS1_3gpuE13ELNS1_3repE0EEENS1_47radix_sort_onesweep_sort_config_static_selectorELNS0_4arch9wavefront6targetE0EEEvSG_.uses_flat_scratch, 0
	.set _ZN7rocprim17ROCPRIM_400000_NS6detail17trampoline_kernelINS0_14default_configENS1_35radix_sort_onesweep_config_selectorIlNS0_10empty_typeEEEZZNS1_29radix_sort_onesweep_iterationIS3_Lb0EPKlPlPS5_SB_mNS0_19identity_decomposerENS1_16block_id_wrapperIjLb0EEEEE10hipError_tT1_PNSt15iterator_traitsISG_E10value_typeET2_T3_PNSH_ISM_E10value_typeET4_T5_PSR_SS_PNS1_23onesweep_lookback_stateEbbT6_jjT7_P12ihipStream_tbENKUlT_T0_SG_SL_E_clIS9_SA_SB_SB_EEDaSZ_S10_SG_SL_EUlSZ_E_NS1_11comp_targetILNS1_3genE6ELNS1_11target_archE950ELNS1_3gpuE13ELNS1_3repE0EEENS1_47radix_sort_onesweep_sort_config_static_selectorELNS0_4arch9wavefront6targetE0EEEvSG_.has_dyn_sized_stack, 0
	.set _ZN7rocprim17ROCPRIM_400000_NS6detail17trampoline_kernelINS0_14default_configENS1_35radix_sort_onesweep_config_selectorIlNS0_10empty_typeEEEZZNS1_29radix_sort_onesweep_iterationIS3_Lb0EPKlPlPS5_SB_mNS0_19identity_decomposerENS1_16block_id_wrapperIjLb0EEEEE10hipError_tT1_PNSt15iterator_traitsISG_E10value_typeET2_T3_PNSH_ISM_E10value_typeET4_T5_PSR_SS_PNS1_23onesweep_lookback_stateEbbT6_jjT7_P12ihipStream_tbENKUlT_T0_SG_SL_E_clIS9_SA_SB_SB_EEDaSZ_S10_SG_SL_EUlSZ_E_NS1_11comp_targetILNS1_3genE6ELNS1_11target_archE950ELNS1_3gpuE13ELNS1_3repE0EEENS1_47radix_sort_onesweep_sort_config_static_selectorELNS0_4arch9wavefront6targetE0EEEvSG_.has_recursion, 0
	.set _ZN7rocprim17ROCPRIM_400000_NS6detail17trampoline_kernelINS0_14default_configENS1_35radix_sort_onesweep_config_selectorIlNS0_10empty_typeEEEZZNS1_29radix_sort_onesweep_iterationIS3_Lb0EPKlPlPS5_SB_mNS0_19identity_decomposerENS1_16block_id_wrapperIjLb0EEEEE10hipError_tT1_PNSt15iterator_traitsISG_E10value_typeET2_T3_PNSH_ISM_E10value_typeET4_T5_PSR_SS_PNS1_23onesweep_lookback_stateEbbT6_jjT7_P12ihipStream_tbENKUlT_T0_SG_SL_E_clIS9_SA_SB_SB_EEDaSZ_S10_SG_SL_EUlSZ_E_NS1_11comp_targetILNS1_3genE6ELNS1_11target_archE950ELNS1_3gpuE13ELNS1_3repE0EEENS1_47radix_sort_onesweep_sort_config_static_selectorELNS0_4arch9wavefront6targetE0EEEvSG_.has_indirect_call, 0
	.section	.AMDGPU.csdata,"",@progbits
; Kernel info:
; codeLenInByte = 0
; TotalNumSgprs: 0
; NumVgprs: 0
; ScratchSize: 0
; MemoryBound: 0
; FloatMode: 240
; IeeeMode: 1
; LDSByteSize: 0 bytes/workgroup (compile time only)
; SGPRBlocks: 0
; VGPRBlocks: 0
; NumSGPRsForWavesPerEU: 1
; NumVGPRsForWavesPerEU: 1
; NamedBarCnt: 0
; Occupancy: 16
; WaveLimiterHint : 0
; COMPUTE_PGM_RSRC2:SCRATCH_EN: 0
; COMPUTE_PGM_RSRC2:USER_SGPR: 2
; COMPUTE_PGM_RSRC2:TRAP_HANDLER: 0
; COMPUTE_PGM_RSRC2:TGID_X_EN: 1
; COMPUTE_PGM_RSRC2:TGID_Y_EN: 0
; COMPUTE_PGM_RSRC2:TGID_Z_EN: 0
; COMPUTE_PGM_RSRC2:TIDIG_COMP_CNT: 0
	.section	.text._ZN7rocprim17ROCPRIM_400000_NS6detail17trampoline_kernelINS0_14default_configENS1_35radix_sort_onesweep_config_selectorIlNS0_10empty_typeEEEZZNS1_29radix_sort_onesweep_iterationIS3_Lb0EPKlPlPS5_SB_mNS0_19identity_decomposerENS1_16block_id_wrapperIjLb0EEEEE10hipError_tT1_PNSt15iterator_traitsISG_E10value_typeET2_T3_PNSH_ISM_E10value_typeET4_T5_PSR_SS_PNS1_23onesweep_lookback_stateEbbT6_jjT7_P12ihipStream_tbENKUlT_T0_SG_SL_E_clIS9_SA_SB_SB_EEDaSZ_S10_SG_SL_EUlSZ_E_NS1_11comp_targetILNS1_3genE5ELNS1_11target_archE942ELNS1_3gpuE9ELNS1_3repE0EEENS1_47radix_sort_onesweep_sort_config_static_selectorELNS0_4arch9wavefront6targetE0EEEvSG_,"axG",@progbits,_ZN7rocprim17ROCPRIM_400000_NS6detail17trampoline_kernelINS0_14default_configENS1_35radix_sort_onesweep_config_selectorIlNS0_10empty_typeEEEZZNS1_29radix_sort_onesweep_iterationIS3_Lb0EPKlPlPS5_SB_mNS0_19identity_decomposerENS1_16block_id_wrapperIjLb0EEEEE10hipError_tT1_PNSt15iterator_traitsISG_E10value_typeET2_T3_PNSH_ISM_E10value_typeET4_T5_PSR_SS_PNS1_23onesweep_lookback_stateEbbT6_jjT7_P12ihipStream_tbENKUlT_T0_SG_SL_E_clIS9_SA_SB_SB_EEDaSZ_S10_SG_SL_EUlSZ_E_NS1_11comp_targetILNS1_3genE5ELNS1_11target_archE942ELNS1_3gpuE9ELNS1_3repE0EEENS1_47radix_sort_onesweep_sort_config_static_selectorELNS0_4arch9wavefront6targetE0EEEvSG_,comdat
	.protected	_ZN7rocprim17ROCPRIM_400000_NS6detail17trampoline_kernelINS0_14default_configENS1_35radix_sort_onesweep_config_selectorIlNS0_10empty_typeEEEZZNS1_29radix_sort_onesweep_iterationIS3_Lb0EPKlPlPS5_SB_mNS0_19identity_decomposerENS1_16block_id_wrapperIjLb0EEEEE10hipError_tT1_PNSt15iterator_traitsISG_E10value_typeET2_T3_PNSH_ISM_E10value_typeET4_T5_PSR_SS_PNS1_23onesweep_lookback_stateEbbT6_jjT7_P12ihipStream_tbENKUlT_T0_SG_SL_E_clIS9_SA_SB_SB_EEDaSZ_S10_SG_SL_EUlSZ_E_NS1_11comp_targetILNS1_3genE5ELNS1_11target_archE942ELNS1_3gpuE9ELNS1_3repE0EEENS1_47radix_sort_onesweep_sort_config_static_selectorELNS0_4arch9wavefront6targetE0EEEvSG_ ; -- Begin function _ZN7rocprim17ROCPRIM_400000_NS6detail17trampoline_kernelINS0_14default_configENS1_35radix_sort_onesweep_config_selectorIlNS0_10empty_typeEEEZZNS1_29radix_sort_onesweep_iterationIS3_Lb0EPKlPlPS5_SB_mNS0_19identity_decomposerENS1_16block_id_wrapperIjLb0EEEEE10hipError_tT1_PNSt15iterator_traitsISG_E10value_typeET2_T3_PNSH_ISM_E10value_typeET4_T5_PSR_SS_PNS1_23onesweep_lookback_stateEbbT6_jjT7_P12ihipStream_tbENKUlT_T0_SG_SL_E_clIS9_SA_SB_SB_EEDaSZ_S10_SG_SL_EUlSZ_E_NS1_11comp_targetILNS1_3genE5ELNS1_11target_archE942ELNS1_3gpuE9ELNS1_3repE0EEENS1_47radix_sort_onesweep_sort_config_static_selectorELNS0_4arch9wavefront6targetE0EEEvSG_
	.globl	_ZN7rocprim17ROCPRIM_400000_NS6detail17trampoline_kernelINS0_14default_configENS1_35radix_sort_onesweep_config_selectorIlNS0_10empty_typeEEEZZNS1_29radix_sort_onesweep_iterationIS3_Lb0EPKlPlPS5_SB_mNS0_19identity_decomposerENS1_16block_id_wrapperIjLb0EEEEE10hipError_tT1_PNSt15iterator_traitsISG_E10value_typeET2_T3_PNSH_ISM_E10value_typeET4_T5_PSR_SS_PNS1_23onesweep_lookback_stateEbbT6_jjT7_P12ihipStream_tbENKUlT_T0_SG_SL_E_clIS9_SA_SB_SB_EEDaSZ_S10_SG_SL_EUlSZ_E_NS1_11comp_targetILNS1_3genE5ELNS1_11target_archE942ELNS1_3gpuE9ELNS1_3repE0EEENS1_47radix_sort_onesweep_sort_config_static_selectorELNS0_4arch9wavefront6targetE0EEEvSG_
	.p2align	8
	.type	_ZN7rocprim17ROCPRIM_400000_NS6detail17trampoline_kernelINS0_14default_configENS1_35radix_sort_onesweep_config_selectorIlNS0_10empty_typeEEEZZNS1_29radix_sort_onesweep_iterationIS3_Lb0EPKlPlPS5_SB_mNS0_19identity_decomposerENS1_16block_id_wrapperIjLb0EEEEE10hipError_tT1_PNSt15iterator_traitsISG_E10value_typeET2_T3_PNSH_ISM_E10value_typeET4_T5_PSR_SS_PNS1_23onesweep_lookback_stateEbbT6_jjT7_P12ihipStream_tbENKUlT_T0_SG_SL_E_clIS9_SA_SB_SB_EEDaSZ_S10_SG_SL_EUlSZ_E_NS1_11comp_targetILNS1_3genE5ELNS1_11target_archE942ELNS1_3gpuE9ELNS1_3repE0EEENS1_47radix_sort_onesweep_sort_config_static_selectorELNS0_4arch9wavefront6targetE0EEEvSG_,@function
_ZN7rocprim17ROCPRIM_400000_NS6detail17trampoline_kernelINS0_14default_configENS1_35radix_sort_onesweep_config_selectorIlNS0_10empty_typeEEEZZNS1_29radix_sort_onesweep_iterationIS3_Lb0EPKlPlPS5_SB_mNS0_19identity_decomposerENS1_16block_id_wrapperIjLb0EEEEE10hipError_tT1_PNSt15iterator_traitsISG_E10value_typeET2_T3_PNSH_ISM_E10value_typeET4_T5_PSR_SS_PNS1_23onesweep_lookback_stateEbbT6_jjT7_P12ihipStream_tbENKUlT_T0_SG_SL_E_clIS9_SA_SB_SB_EEDaSZ_S10_SG_SL_EUlSZ_E_NS1_11comp_targetILNS1_3genE5ELNS1_11target_archE942ELNS1_3gpuE9ELNS1_3repE0EEENS1_47radix_sort_onesweep_sort_config_static_selectorELNS0_4arch9wavefront6targetE0EEEvSG_: ; @_ZN7rocprim17ROCPRIM_400000_NS6detail17trampoline_kernelINS0_14default_configENS1_35radix_sort_onesweep_config_selectorIlNS0_10empty_typeEEEZZNS1_29radix_sort_onesweep_iterationIS3_Lb0EPKlPlPS5_SB_mNS0_19identity_decomposerENS1_16block_id_wrapperIjLb0EEEEE10hipError_tT1_PNSt15iterator_traitsISG_E10value_typeET2_T3_PNSH_ISM_E10value_typeET4_T5_PSR_SS_PNS1_23onesweep_lookback_stateEbbT6_jjT7_P12ihipStream_tbENKUlT_T0_SG_SL_E_clIS9_SA_SB_SB_EEDaSZ_S10_SG_SL_EUlSZ_E_NS1_11comp_targetILNS1_3genE5ELNS1_11target_archE942ELNS1_3gpuE9ELNS1_3repE0EEENS1_47radix_sort_onesweep_sort_config_static_selectorELNS0_4arch9wavefront6targetE0EEEvSG_
; %bb.0:
	.section	.rodata,"a",@progbits
	.p2align	6, 0x0
	.amdhsa_kernel _ZN7rocprim17ROCPRIM_400000_NS6detail17trampoline_kernelINS0_14default_configENS1_35radix_sort_onesweep_config_selectorIlNS0_10empty_typeEEEZZNS1_29radix_sort_onesweep_iterationIS3_Lb0EPKlPlPS5_SB_mNS0_19identity_decomposerENS1_16block_id_wrapperIjLb0EEEEE10hipError_tT1_PNSt15iterator_traitsISG_E10value_typeET2_T3_PNSH_ISM_E10value_typeET4_T5_PSR_SS_PNS1_23onesweep_lookback_stateEbbT6_jjT7_P12ihipStream_tbENKUlT_T0_SG_SL_E_clIS9_SA_SB_SB_EEDaSZ_S10_SG_SL_EUlSZ_E_NS1_11comp_targetILNS1_3genE5ELNS1_11target_archE942ELNS1_3gpuE9ELNS1_3repE0EEENS1_47radix_sort_onesweep_sort_config_static_selectorELNS0_4arch9wavefront6targetE0EEEvSG_
		.amdhsa_group_segment_fixed_size 0
		.amdhsa_private_segment_fixed_size 0
		.amdhsa_kernarg_size 88
		.amdhsa_user_sgpr_count 2
		.amdhsa_user_sgpr_dispatch_ptr 0
		.amdhsa_user_sgpr_queue_ptr 0
		.amdhsa_user_sgpr_kernarg_segment_ptr 1
		.amdhsa_user_sgpr_dispatch_id 0
		.amdhsa_user_sgpr_kernarg_preload_length 0
		.amdhsa_user_sgpr_kernarg_preload_offset 0
		.amdhsa_user_sgpr_private_segment_size 0
		.amdhsa_wavefront_size32 1
		.amdhsa_uses_dynamic_stack 0
		.amdhsa_enable_private_segment 0
		.amdhsa_system_sgpr_workgroup_id_x 1
		.amdhsa_system_sgpr_workgroup_id_y 0
		.amdhsa_system_sgpr_workgroup_id_z 0
		.amdhsa_system_sgpr_workgroup_info 0
		.amdhsa_system_vgpr_workitem_id 0
		.amdhsa_next_free_vgpr 1
		.amdhsa_next_free_sgpr 1
		.amdhsa_named_barrier_count 0
		.amdhsa_reserve_vcc 0
		.amdhsa_float_round_mode_32 0
		.amdhsa_float_round_mode_16_64 0
		.amdhsa_float_denorm_mode_32 3
		.amdhsa_float_denorm_mode_16_64 3
		.amdhsa_fp16_overflow 0
		.amdhsa_memory_ordered 1
		.amdhsa_forward_progress 1
		.amdhsa_inst_pref_size 0
		.amdhsa_round_robin_scheduling 0
		.amdhsa_exception_fp_ieee_invalid_op 0
		.amdhsa_exception_fp_denorm_src 0
		.amdhsa_exception_fp_ieee_div_zero 0
		.amdhsa_exception_fp_ieee_overflow 0
		.amdhsa_exception_fp_ieee_underflow 0
		.amdhsa_exception_fp_ieee_inexact 0
		.amdhsa_exception_int_div_zero 0
	.end_amdhsa_kernel
	.section	.text._ZN7rocprim17ROCPRIM_400000_NS6detail17trampoline_kernelINS0_14default_configENS1_35radix_sort_onesweep_config_selectorIlNS0_10empty_typeEEEZZNS1_29radix_sort_onesweep_iterationIS3_Lb0EPKlPlPS5_SB_mNS0_19identity_decomposerENS1_16block_id_wrapperIjLb0EEEEE10hipError_tT1_PNSt15iterator_traitsISG_E10value_typeET2_T3_PNSH_ISM_E10value_typeET4_T5_PSR_SS_PNS1_23onesweep_lookback_stateEbbT6_jjT7_P12ihipStream_tbENKUlT_T0_SG_SL_E_clIS9_SA_SB_SB_EEDaSZ_S10_SG_SL_EUlSZ_E_NS1_11comp_targetILNS1_3genE5ELNS1_11target_archE942ELNS1_3gpuE9ELNS1_3repE0EEENS1_47radix_sort_onesweep_sort_config_static_selectorELNS0_4arch9wavefront6targetE0EEEvSG_,"axG",@progbits,_ZN7rocprim17ROCPRIM_400000_NS6detail17trampoline_kernelINS0_14default_configENS1_35radix_sort_onesweep_config_selectorIlNS0_10empty_typeEEEZZNS1_29radix_sort_onesweep_iterationIS3_Lb0EPKlPlPS5_SB_mNS0_19identity_decomposerENS1_16block_id_wrapperIjLb0EEEEE10hipError_tT1_PNSt15iterator_traitsISG_E10value_typeET2_T3_PNSH_ISM_E10value_typeET4_T5_PSR_SS_PNS1_23onesweep_lookback_stateEbbT6_jjT7_P12ihipStream_tbENKUlT_T0_SG_SL_E_clIS9_SA_SB_SB_EEDaSZ_S10_SG_SL_EUlSZ_E_NS1_11comp_targetILNS1_3genE5ELNS1_11target_archE942ELNS1_3gpuE9ELNS1_3repE0EEENS1_47radix_sort_onesweep_sort_config_static_selectorELNS0_4arch9wavefront6targetE0EEEvSG_,comdat
.Lfunc_end1227:
	.size	_ZN7rocprim17ROCPRIM_400000_NS6detail17trampoline_kernelINS0_14default_configENS1_35radix_sort_onesweep_config_selectorIlNS0_10empty_typeEEEZZNS1_29radix_sort_onesweep_iterationIS3_Lb0EPKlPlPS5_SB_mNS0_19identity_decomposerENS1_16block_id_wrapperIjLb0EEEEE10hipError_tT1_PNSt15iterator_traitsISG_E10value_typeET2_T3_PNSH_ISM_E10value_typeET4_T5_PSR_SS_PNS1_23onesweep_lookback_stateEbbT6_jjT7_P12ihipStream_tbENKUlT_T0_SG_SL_E_clIS9_SA_SB_SB_EEDaSZ_S10_SG_SL_EUlSZ_E_NS1_11comp_targetILNS1_3genE5ELNS1_11target_archE942ELNS1_3gpuE9ELNS1_3repE0EEENS1_47radix_sort_onesweep_sort_config_static_selectorELNS0_4arch9wavefront6targetE0EEEvSG_, .Lfunc_end1227-_ZN7rocprim17ROCPRIM_400000_NS6detail17trampoline_kernelINS0_14default_configENS1_35radix_sort_onesweep_config_selectorIlNS0_10empty_typeEEEZZNS1_29radix_sort_onesweep_iterationIS3_Lb0EPKlPlPS5_SB_mNS0_19identity_decomposerENS1_16block_id_wrapperIjLb0EEEEE10hipError_tT1_PNSt15iterator_traitsISG_E10value_typeET2_T3_PNSH_ISM_E10value_typeET4_T5_PSR_SS_PNS1_23onesweep_lookback_stateEbbT6_jjT7_P12ihipStream_tbENKUlT_T0_SG_SL_E_clIS9_SA_SB_SB_EEDaSZ_S10_SG_SL_EUlSZ_E_NS1_11comp_targetILNS1_3genE5ELNS1_11target_archE942ELNS1_3gpuE9ELNS1_3repE0EEENS1_47radix_sort_onesweep_sort_config_static_selectorELNS0_4arch9wavefront6targetE0EEEvSG_
                                        ; -- End function
	.set _ZN7rocprim17ROCPRIM_400000_NS6detail17trampoline_kernelINS0_14default_configENS1_35radix_sort_onesweep_config_selectorIlNS0_10empty_typeEEEZZNS1_29radix_sort_onesweep_iterationIS3_Lb0EPKlPlPS5_SB_mNS0_19identity_decomposerENS1_16block_id_wrapperIjLb0EEEEE10hipError_tT1_PNSt15iterator_traitsISG_E10value_typeET2_T3_PNSH_ISM_E10value_typeET4_T5_PSR_SS_PNS1_23onesweep_lookback_stateEbbT6_jjT7_P12ihipStream_tbENKUlT_T0_SG_SL_E_clIS9_SA_SB_SB_EEDaSZ_S10_SG_SL_EUlSZ_E_NS1_11comp_targetILNS1_3genE5ELNS1_11target_archE942ELNS1_3gpuE9ELNS1_3repE0EEENS1_47radix_sort_onesweep_sort_config_static_selectorELNS0_4arch9wavefront6targetE0EEEvSG_.num_vgpr, 0
	.set _ZN7rocprim17ROCPRIM_400000_NS6detail17trampoline_kernelINS0_14default_configENS1_35radix_sort_onesweep_config_selectorIlNS0_10empty_typeEEEZZNS1_29radix_sort_onesweep_iterationIS3_Lb0EPKlPlPS5_SB_mNS0_19identity_decomposerENS1_16block_id_wrapperIjLb0EEEEE10hipError_tT1_PNSt15iterator_traitsISG_E10value_typeET2_T3_PNSH_ISM_E10value_typeET4_T5_PSR_SS_PNS1_23onesweep_lookback_stateEbbT6_jjT7_P12ihipStream_tbENKUlT_T0_SG_SL_E_clIS9_SA_SB_SB_EEDaSZ_S10_SG_SL_EUlSZ_E_NS1_11comp_targetILNS1_3genE5ELNS1_11target_archE942ELNS1_3gpuE9ELNS1_3repE0EEENS1_47radix_sort_onesweep_sort_config_static_selectorELNS0_4arch9wavefront6targetE0EEEvSG_.num_agpr, 0
	.set _ZN7rocprim17ROCPRIM_400000_NS6detail17trampoline_kernelINS0_14default_configENS1_35radix_sort_onesweep_config_selectorIlNS0_10empty_typeEEEZZNS1_29radix_sort_onesweep_iterationIS3_Lb0EPKlPlPS5_SB_mNS0_19identity_decomposerENS1_16block_id_wrapperIjLb0EEEEE10hipError_tT1_PNSt15iterator_traitsISG_E10value_typeET2_T3_PNSH_ISM_E10value_typeET4_T5_PSR_SS_PNS1_23onesweep_lookback_stateEbbT6_jjT7_P12ihipStream_tbENKUlT_T0_SG_SL_E_clIS9_SA_SB_SB_EEDaSZ_S10_SG_SL_EUlSZ_E_NS1_11comp_targetILNS1_3genE5ELNS1_11target_archE942ELNS1_3gpuE9ELNS1_3repE0EEENS1_47radix_sort_onesweep_sort_config_static_selectorELNS0_4arch9wavefront6targetE0EEEvSG_.numbered_sgpr, 0
	.set _ZN7rocprim17ROCPRIM_400000_NS6detail17trampoline_kernelINS0_14default_configENS1_35radix_sort_onesweep_config_selectorIlNS0_10empty_typeEEEZZNS1_29radix_sort_onesweep_iterationIS3_Lb0EPKlPlPS5_SB_mNS0_19identity_decomposerENS1_16block_id_wrapperIjLb0EEEEE10hipError_tT1_PNSt15iterator_traitsISG_E10value_typeET2_T3_PNSH_ISM_E10value_typeET4_T5_PSR_SS_PNS1_23onesweep_lookback_stateEbbT6_jjT7_P12ihipStream_tbENKUlT_T0_SG_SL_E_clIS9_SA_SB_SB_EEDaSZ_S10_SG_SL_EUlSZ_E_NS1_11comp_targetILNS1_3genE5ELNS1_11target_archE942ELNS1_3gpuE9ELNS1_3repE0EEENS1_47radix_sort_onesweep_sort_config_static_selectorELNS0_4arch9wavefront6targetE0EEEvSG_.num_named_barrier, 0
	.set _ZN7rocprim17ROCPRIM_400000_NS6detail17trampoline_kernelINS0_14default_configENS1_35radix_sort_onesweep_config_selectorIlNS0_10empty_typeEEEZZNS1_29radix_sort_onesweep_iterationIS3_Lb0EPKlPlPS5_SB_mNS0_19identity_decomposerENS1_16block_id_wrapperIjLb0EEEEE10hipError_tT1_PNSt15iterator_traitsISG_E10value_typeET2_T3_PNSH_ISM_E10value_typeET4_T5_PSR_SS_PNS1_23onesweep_lookback_stateEbbT6_jjT7_P12ihipStream_tbENKUlT_T0_SG_SL_E_clIS9_SA_SB_SB_EEDaSZ_S10_SG_SL_EUlSZ_E_NS1_11comp_targetILNS1_3genE5ELNS1_11target_archE942ELNS1_3gpuE9ELNS1_3repE0EEENS1_47radix_sort_onesweep_sort_config_static_selectorELNS0_4arch9wavefront6targetE0EEEvSG_.private_seg_size, 0
	.set _ZN7rocprim17ROCPRIM_400000_NS6detail17trampoline_kernelINS0_14default_configENS1_35radix_sort_onesweep_config_selectorIlNS0_10empty_typeEEEZZNS1_29radix_sort_onesweep_iterationIS3_Lb0EPKlPlPS5_SB_mNS0_19identity_decomposerENS1_16block_id_wrapperIjLb0EEEEE10hipError_tT1_PNSt15iterator_traitsISG_E10value_typeET2_T3_PNSH_ISM_E10value_typeET4_T5_PSR_SS_PNS1_23onesweep_lookback_stateEbbT6_jjT7_P12ihipStream_tbENKUlT_T0_SG_SL_E_clIS9_SA_SB_SB_EEDaSZ_S10_SG_SL_EUlSZ_E_NS1_11comp_targetILNS1_3genE5ELNS1_11target_archE942ELNS1_3gpuE9ELNS1_3repE0EEENS1_47radix_sort_onesweep_sort_config_static_selectorELNS0_4arch9wavefront6targetE0EEEvSG_.uses_vcc, 0
	.set _ZN7rocprim17ROCPRIM_400000_NS6detail17trampoline_kernelINS0_14default_configENS1_35radix_sort_onesweep_config_selectorIlNS0_10empty_typeEEEZZNS1_29radix_sort_onesweep_iterationIS3_Lb0EPKlPlPS5_SB_mNS0_19identity_decomposerENS1_16block_id_wrapperIjLb0EEEEE10hipError_tT1_PNSt15iterator_traitsISG_E10value_typeET2_T3_PNSH_ISM_E10value_typeET4_T5_PSR_SS_PNS1_23onesweep_lookback_stateEbbT6_jjT7_P12ihipStream_tbENKUlT_T0_SG_SL_E_clIS9_SA_SB_SB_EEDaSZ_S10_SG_SL_EUlSZ_E_NS1_11comp_targetILNS1_3genE5ELNS1_11target_archE942ELNS1_3gpuE9ELNS1_3repE0EEENS1_47radix_sort_onesweep_sort_config_static_selectorELNS0_4arch9wavefront6targetE0EEEvSG_.uses_flat_scratch, 0
	.set _ZN7rocprim17ROCPRIM_400000_NS6detail17trampoline_kernelINS0_14default_configENS1_35radix_sort_onesweep_config_selectorIlNS0_10empty_typeEEEZZNS1_29radix_sort_onesweep_iterationIS3_Lb0EPKlPlPS5_SB_mNS0_19identity_decomposerENS1_16block_id_wrapperIjLb0EEEEE10hipError_tT1_PNSt15iterator_traitsISG_E10value_typeET2_T3_PNSH_ISM_E10value_typeET4_T5_PSR_SS_PNS1_23onesweep_lookback_stateEbbT6_jjT7_P12ihipStream_tbENKUlT_T0_SG_SL_E_clIS9_SA_SB_SB_EEDaSZ_S10_SG_SL_EUlSZ_E_NS1_11comp_targetILNS1_3genE5ELNS1_11target_archE942ELNS1_3gpuE9ELNS1_3repE0EEENS1_47radix_sort_onesweep_sort_config_static_selectorELNS0_4arch9wavefront6targetE0EEEvSG_.has_dyn_sized_stack, 0
	.set _ZN7rocprim17ROCPRIM_400000_NS6detail17trampoline_kernelINS0_14default_configENS1_35radix_sort_onesweep_config_selectorIlNS0_10empty_typeEEEZZNS1_29radix_sort_onesweep_iterationIS3_Lb0EPKlPlPS5_SB_mNS0_19identity_decomposerENS1_16block_id_wrapperIjLb0EEEEE10hipError_tT1_PNSt15iterator_traitsISG_E10value_typeET2_T3_PNSH_ISM_E10value_typeET4_T5_PSR_SS_PNS1_23onesweep_lookback_stateEbbT6_jjT7_P12ihipStream_tbENKUlT_T0_SG_SL_E_clIS9_SA_SB_SB_EEDaSZ_S10_SG_SL_EUlSZ_E_NS1_11comp_targetILNS1_3genE5ELNS1_11target_archE942ELNS1_3gpuE9ELNS1_3repE0EEENS1_47radix_sort_onesweep_sort_config_static_selectorELNS0_4arch9wavefront6targetE0EEEvSG_.has_recursion, 0
	.set _ZN7rocprim17ROCPRIM_400000_NS6detail17trampoline_kernelINS0_14default_configENS1_35radix_sort_onesweep_config_selectorIlNS0_10empty_typeEEEZZNS1_29radix_sort_onesweep_iterationIS3_Lb0EPKlPlPS5_SB_mNS0_19identity_decomposerENS1_16block_id_wrapperIjLb0EEEEE10hipError_tT1_PNSt15iterator_traitsISG_E10value_typeET2_T3_PNSH_ISM_E10value_typeET4_T5_PSR_SS_PNS1_23onesweep_lookback_stateEbbT6_jjT7_P12ihipStream_tbENKUlT_T0_SG_SL_E_clIS9_SA_SB_SB_EEDaSZ_S10_SG_SL_EUlSZ_E_NS1_11comp_targetILNS1_3genE5ELNS1_11target_archE942ELNS1_3gpuE9ELNS1_3repE0EEENS1_47radix_sort_onesweep_sort_config_static_selectorELNS0_4arch9wavefront6targetE0EEEvSG_.has_indirect_call, 0
	.section	.AMDGPU.csdata,"",@progbits
; Kernel info:
; codeLenInByte = 0
; TotalNumSgprs: 0
; NumVgprs: 0
; ScratchSize: 0
; MemoryBound: 0
; FloatMode: 240
; IeeeMode: 1
; LDSByteSize: 0 bytes/workgroup (compile time only)
; SGPRBlocks: 0
; VGPRBlocks: 0
; NumSGPRsForWavesPerEU: 1
; NumVGPRsForWavesPerEU: 1
; NamedBarCnt: 0
; Occupancy: 16
; WaveLimiterHint : 0
; COMPUTE_PGM_RSRC2:SCRATCH_EN: 0
; COMPUTE_PGM_RSRC2:USER_SGPR: 2
; COMPUTE_PGM_RSRC2:TRAP_HANDLER: 0
; COMPUTE_PGM_RSRC2:TGID_X_EN: 1
; COMPUTE_PGM_RSRC2:TGID_Y_EN: 0
; COMPUTE_PGM_RSRC2:TGID_Z_EN: 0
; COMPUTE_PGM_RSRC2:TIDIG_COMP_CNT: 0
	.section	.text._ZN7rocprim17ROCPRIM_400000_NS6detail17trampoline_kernelINS0_14default_configENS1_35radix_sort_onesweep_config_selectorIlNS0_10empty_typeEEEZZNS1_29radix_sort_onesweep_iterationIS3_Lb0EPKlPlPS5_SB_mNS0_19identity_decomposerENS1_16block_id_wrapperIjLb0EEEEE10hipError_tT1_PNSt15iterator_traitsISG_E10value_typeET2_T3_PNSH_ISM_E10value_typeET4_T5_PSR_SS_PNS1_23onesweep_lookback_stateEbbT6_jjT7_P12ihipStream_tbENKUlT_T0_SG_SL_E_clIS9_SA_SB_SB_EEDaSZ_S10_SG_SL_EUlSZ_E_NS1_11comp_targetILNS1_3genE2ELNS1_11target_archE906ELNS1_3gpuE6ELNS1_3repE0EEENS1_47radix_sort_onesweep_sort_config_static_selectorELNS0_4arch9wavefront6targetE0EEEvSG_,"axG",@progbits,_ZN7rocprim17ROCPRIM_400000_NS6detail17trampoline_kernelINS0_14default_configENS1_35radix_sort_onesweep_config_selectorIlNS0_10empty_typeEEEZZNS1_29radix_sort_onesweep_iterationIS3_Lb0EPKlPlPS5_SB_mNS0_19identity_decomposerENS1_16block_id_wrapperIjLb0EEEEE10hipError_tT1_PNSt15iterator_traitsISG_E10value_typeET2_T3_PNSH_ISM_E10value_typeET4_T5_PSR_SS_PNS1_23onesweep_lookback_stateEbbT6_jjT7_P12ihipStream_tbENKUlT_T0_SG_SL_E_clIS9_SA_SB_SB_EEDaSZ_S10_SG_SL_EUlSZ_E_NS1_11comp_targetILNS1_3genE2ELNS1_11target_archE906ELNS1_3gpuE6ELNS1_3repE0EEENS1_47radix_sort_onesweep_sort_config_static_selectorELNS0_4arch9wavefront6targetE0EEEvSG_,comdat
	.protected	_ZN7rocprim17ROCPRIM_400000_NS6detail17trampoline_kernelINS0_14default_configENS1_35radix_sort_onesweep_config_selectorIlNS0_10empty_typeEEEZZNS1_29radix_sort_onesweep_iterationIS3_Lb0EPKlPlPS5_SB_mNS0_19identity_decomposerENS1_16block_id_wrapperIjLb0EEEEE10hipError_tT1_PNSt15iterator_traitsISG_E10value_typeET2_T3_PNSH_ISM_E10value_typeET4_T5_PSR_SS_PNS1_23onesweep_lookback_stateEbbT6_jjT7_P12ihipStream_tbENKUlT_T0_SG_SL_E_clIS9_SA_SB_SB_EEDaSZ_S10_SG_SL_EUlSZ_E_NS1_11comp_targetILNS1_3genE2ELNS1_11target_archE906ELNS1_3gpuE6ELNS1_3repE0EEENS1_47radix_sort_onesweep_sort_config_static_selectorELNS0_4arch9wavefront6targetE0EEEvSG_ ; -- Begin function _ZN7rocprim17ROCPRIM_400000_NS6detail17trampoline_kernelINS0_14default_configENS1_35radix_sort_onesweep_config_selectorIlNS0_10empty_typeEEEZZNS1_29radix_sort_onesweep_iterationIS3_Lb0EPKlPlPS5_SB_mNS0_19identity_decomposerENS1_16block_id_wrapperIjLb0EEEEE10hipError_tT1_PNSt15iterator_traitsISG_E10value_typeET2_T3_PNSH_ISM_E10value_typeET4_T5_PSR_SS_PNS1_23onesweep_lookback_stateEbbT6_jjT7_P12ihipStream_tbENKUlT_T0_SG_SL_E_clIS9_SA_SB_SB_EEDaSZ_S10_SG_SL_EUlSZ_E_NS1_11comp_targetILNS1_3genE2ELNS1_11target_archE906ELNS1_3gpuE6ELNS1_3repE0EEENS1_47radix_sort_onesweep_sort_config_static_selectorELNS0_4arch9wavefront6targetE0EEEvSG_
	.globl	_ZN7rocprim17ROCPRIM_400000_NS6detail17trampoline_kernelINS0_14default_configENS1_35radix_sort_onesweep_config_selectorIlNS0_10empty_typeEEEZZNS1_29radix_sort_onesweep_iterationIS3_Lb0EPKlPlPS5_SB_mNS0_19identity_decomposerENS1_16block_id_wrapperIjLb0EEEEE10hipError_tT1_PNSt15iterator_traitsISG_E10value_typeET2_T3_PNSH_ISM_E10value_typeET4_T5_PSR_SS_PNS1_23onesweep_lookback_stateEbbT6_jjT7_P12ihipStream_tbENKUlT_T0_SG_SL_E_clIS9_SA_SB_SB_EEDaSZ_S10_SG_SL_EUlSZ_E_NS1_11comp_targetILNS1_3genE2ELNS1_11target_archE906ELNS1_3gpuE6ELNS1_3repE0EEENS1_47radix_sort_onesweep_sort_config_static_selectorELNS0_4arch9wavefront6targetE0EEEvSG_
	.p2align	8
	.type	_ZN7rocprim17ROCPRIM_400000_NS6detail17trampoline_kernelINS0_14default_configENS1_35radix_sort_onesweep_config_selectorIlNS0_10empty_typeEEEZZNS1_29radix_sort_onesweep_iterationIS3_Lb0EPKlPlPS5_SB_mNS0_19identity_decomposerENS1_16block_id_wrapperIjLb0EEEEE10hipError_tT1_PNSt15iterator_traitsISG_E10value_typeET2_T3_PNSH_ISM_E10value_typeET4_T5_PSR_SS_PNS1_23onesweep_lookback_stateEbbT6_jjT7_P12ihipStream_tbENKUlT_T0_SG_SL_E_clIS9_SA_SB_SB_EEDaSZ_S10_SG_SL_EUlSZ_E_NS1_11comp_targetILNS1_3genE2ELNS1_11target_archE906ELNS1_3gpuE6ELNS1_3repE0EEENS1_47radix_sort_onesweep_sort_config_static_selectorELNS0_4arch9wavefront6targetE0EEEvSG_,@function
_ZN7rocprim17ROCPRIM_400000_NS6detail17trampoline_kernelINS0_14default_configENS1_35radix_sort_onesweep_config_selectorIlNS0_10empty_typeEEEZZNS1_29radix_sort_onesweep_iterationIS3_Lb0EPKlPlPS5_SB_mNS0_19identity_decomposerENS1_16block_id_wrapperIjLb0EEEEE10hipError_tT1_PNSt15iterator_traitsISG_E10value_typeET2_T3_PNSH_ISM_E10value_typeET4_T5_PSR_SS_PNS1_23onesweep_lookback_stateEbbT6_jjT7_P12ihipStream_tbENKUlT_T0_SG_SL_E_clIS9_SA_SB_SB_EEDaSZ_S10_SG_SL_EUlSZ_E_NS1_11comp_targetILNS1_3genE2ELNS1_11target_archE906ELNS1_3gpuE6ELNS1_3repE0EEENS1_47radix_sort_onesweep_sort_config_static_selectorELNS0_4arch9wavefront6targetE0EEEvSG_: ; @_ZN7rocprim17ROCPRIM_400000_NS6detail17trampoline_kernelINS0_14default_configENS1_35radix_sort_onesweep_config_selectorIlNS0_10empty_typeEEEZZNS1_29radix_sort_onesweep_iterationIS3_Lb0EPKlPlPS5_SB_mNS0_19identity_decomposerENS1_16block_id_wrapperIjLb0EEEEE10hipError_tT1_PNSt15iterator_traitsISG_E10value_typeET2_T3_PNSH_ISM_E10value_typeET4_T5_PSR_SS_PNS1_23onesweep_lookback_stateEbbT6_jjT7_P12ihipStream_tbENKUlT_T0_SG_SL_E_clIS9_SA_SB_SB_EEDaSZ_S10_SG_SL_EUlSZ_E_NS1_11comp_targetILNS1_3genE2ELNS1_11target_archE906ELNS1_3gpuE6ELNS1_3repE0EEENS1_47radix_sort_onesweep_sort_config_static_selectorELNS0_4arch9wavefront6targetE0EEEvSG_
; %bb.0:
	.section	.rodata,"a",@progbits
	.p2align	6, 0x0
	.amdhsa_kernel _ZN7rocprim17ROCPRIM_400000_NS6detail17trampoline_kernelINS0_14default_configENS1_35radix_sort_onesweep_config_selectorIlNS0_10empty_typeEEEZZNS1_29radix_sort_onesweep_iterationIS3_Lb0EPKlPlPS5_SB_mNS0_19identity_decomposerENS1_16block_id_wrapperIjLb0EEEEE10hipError_tT1_PNSt15iterator_traitsISG_E10value_typeET2_T3_PNSH_ISM_E10value_typeET4_T5_PSR_SS_PNS1_23onesweep_lookback_stateEbbT6_jjT7_P12ihipStream_tbENKUlT_T0_SG_SL_E_clIS9_SA_SB_SB_EEDaSZ_S10_SG_SL_EUlSZ_E_NS1_11comp_targetILNS1_3genE2ELNS1_11target_archE906ELNS1_3gpuE6ELNS1_3repE0EEENS1_47radix_sort_onesweep_sort_config_static_selectorELNS0_4arch9wavefront6targetE0EEEvSG_
		.amdhsa_group_segment_fixed_size 0
		.amdhsa_private_segment_fixed_size 0
		.amdhsa_kernarg_size 88
		.amdhsa_user_sgpr_count 2
		.amdhsa_user_sgpr_dispatch_ptr 0
		.amdhsa_user_sgpr_queue_ptr 0
		.amdhsa_user_sgpr_kernarg_segment_ptr 1
		.amdhsa_user_sgpr_dispatch_id 0
		.amdhsa_user_sgpr_kernarg_preload_length 0
		.amdhsa_user_sgpr_kernarg_preload_offset 0
		.amdhsa_user_sgpr_private_segment_size 0
		.amdhsa_wavefront_size32 1
		.amdhsa_uses_dynamic_stack 0
		.amdhsa_enable_private_segment 0
		.amdhsa_system_sgpr_workgroup_id_x 1
		.amdhsa_system_sgpr_workgroup_id_y 0
		.amdhsa_system_sgpr_workgroup_id_z 0
		.amdhsa_system_sgpr_workgroup_info 0
		.amdhsa_system_vgpr_workitem_id 0
		.amdhsa_next_free_vgpr 1
		.amdhsa_next_free_sgpr 1
		.amdhsa_named_barrier_count 0
		.amdhsa_reserve_vcc 0
		.amdhsa_float_round_mode_32 0
		.amdhsa_float_round_mode_16_64 0
		.amdhsa_float_denorm_mode_32 3
		.amdhsa_float_denorm_mode_16_64 3
		.amdhsa_fp16_overflow 0
		.amdhsa_memory_ordered 1
		.amdhsa_forward_progress 1
		.amdhsa_inst_pref_size 0
		.amdhsa_round_robin_scheduling 0
		.amdhsa_exception_fp_ieee_invalid_op 0
		.amdhsa_exception_fp_denorm_src 0
		.amdhsa_exception_fp_ieee_div_zero 0
		.amdhsa_exception_fp_ieee_overflow 0
		.amdhsa_exception_fp_ieee_underflow 0
		.amdhsa_exception_fp_ieee_inexact 0
		.amdhsa_exception_int_div_zero 0
	.end_amdhsa_kernel
	.section	.text._ZN7rocprim17ROCPRIM_400000_NS6detail17trampoline_kernelINS0_14default_configENS1_35radix_sort_onesweep_config_selectorIlNS0_10empty_typeEEEZZNS1_29radix_sort_onesweep_iterationIS3_Lb0EPKlPlPS5_SB_mNS0_19identity_decomposerENS1_16block_id_wrapperIjLb0EEEEE10hipError_tT1_PNSt15iterator_traitsISG_E10value_typeET2_T3_PNSH_ISM_E10value_typeET4_T5_PSR_SS_PNS1_23onesweep_lookback_stateEbbT6_jjT7_P12ihipStream_tbENKUlT_T0_SG_SL_E_clIS9_SA_SB_SB_EEDaSZ_S10_SG_SL_EUlSZ_E_NS1_11comp_targetILNS1_3genE2ELNS1_11target_archE906ELNS1_3gpuE6ELNS1_3repE0EEENS1_47radix_sort_onesweep_sort_config_static_selectorELNS0_4arch9wavefront6targetE0EEEvSG_,"axG",@progbits,_ZN7rocprim17ROCPRIM_400000_NS6detail17trampoline_kernelINS0_14default_configENS1_35radix_sort_onesweep_config_selectorIlNS0_10empty_typeEEEZZNS1_29radix_sort_onesweep_iterationIS3_Lb0EPKlPlPS5_SB_mNS0_19identity_decomposerENS1_16block_id_wrapperIjLb0EEEEE10hipError_tT1_PNSt15iterator_traitsISG_E10value_typeET2_T3_PNSH_ISM_E10value_typeET4_T5_PSR_SS_PNS1_23onesweep_lookback_stateEbbT6_jjT7_P12ihipStream_tbENKUlT_T0_SG_SL_E_clIS9_SA_SB_SB_EEDaSZ_S10_SG_SL_EUlSZ_E_NS1_11comp_targetILNS1_3genE2ELNS1_11target_archE906ELNS1_3gpuE6ELNS1_3repE0EEENS1_47radix_sort_onesweep_sort_config_static_selectorELNS0_4arch9wavefront6targetE0EEEvSG_,comdat
.Lfunc_end1228:
	.size	_ZN7rocprim17ROCPRIM_400000_NS6detail17trampoline_kernelINS0_14default_configENS1_35radix_sort_onesweep_config_selectorIlNS0_10empty_typeEEEZZNS1_29radix_sort_onesweep_iterationIS3_Lb0EPKlPlPS5_SB_mNS0_19identity_decomposerENS1_16block_id_wrapperIjLb0EEEEE10hipError_tT1_PNSt15iterator_traitsISG_E10value_typeET2_T3_PNSH_ISM_E10value_typeET4_T5_PSR_SS_PNS1_23onesweep_lookback_stateEbbT6_jjT7_P12ihipStream_tbENKUlT_T0_SG_SL_E_clIS9_SA_SB_SB_EEDaSZ_S10_SG_SL_EUlSZ_E_NS1_11comp_targetILNS1_3genE2ELNS1_11target_archE906ELNS1_3gpuE6ELNS1_3repE0EEENS1_47radix_sort_onesweep_sort_config_static_selectorELNS0_4arch9wavefront6targetE0EEEvSG_, .Lfunc_end1228-_ZN7rocprim17ROCPRIM_400000_NS6detail17trampoline_kernelINS0_14default_configENS1_35radix_sort_onesweep_config_selectorIlNS0_10empty_typeEEEZZNS1_29radix_sort_onesweep_iterationIS3_Lb0EPKlPlPS5_SB_mNS0_19identity_decomposerENS1_16block_id_wrapperIjLb0EEEEE10hipError_tT1_PNSt15iterator_traitsISG_E10value_typeET2_T3_PNSH_ISM_E10value_typeET4_T5_PSR_SS_PNS1_23onesweep_lookback_stateEbbT6_jjT7_P12ihipStream_tbENKUlT_T0_SG_SL_E_clIS9_SA_SB_SB_EEDaSZ_S10_SG_SL_EUlSZ_E_NS1_11comp_targetILNS1_3genE2ELNS1_11target_archE906ELNS1_3gpuE6ELNS1_3repE0EEENS1_47radix_sort_onesweep_sort_config_static_selectorELNS0_4arch9wavefront6targetE0EEEvSG_
                                        ; -- End function
	.set _ZN7rocprim17ROCPRIM_400000_NS6detail17trampoline_kernelINS0_14default_configENS1_35radix_sort_onesweep_config_selectorIlNS0_10empty_typeEEEZZNS1_29radix_sort_onesweep_iterationIS3_Lb0EPKlPlPS5_SB_mNS0_19identity_decomposerENS1_16block_id_wrapperIjLb0EEEEE10hipError_tT1_PNSt15iterator_traitsISG_E10value_typeET2_T3_PNSH_ISM_E10value_typeET4_T5_PSR_SS_PNS1_23onesweep_lookback_stateEbbT6_jjT7_P12ihipStream_tbENKUlT_T0_SG_SL_E_clIS9_SA_SB_SB_EEDaSZ_S10_SG_SL_EUlSZ_E_NS1_11comp_targetILNS1_3genE2ELNS1_11target_archE906ELNS1_3gpuE6ELNS1_3repE0EEENS1_47radix_sort_onesweep_sort_config_static_selectorELNS0_4arch9wavefront6targetE0EEEvSG_.num_vgpr, 0
	.set _ZN7rocprim17ROCPRIM_400000_NS6detail17trampoline_kernelINS0_14default_configENS1_35radix_sort_onesweep_config_selectorIlNS0_10empty_typeEEEZZNS1_29radix_sort_onesweep_iterationIS3_Lb0EPKlPlPS5_SB_mNS0_19identity_decomposerENS1_16block_id_wrapperIjLb0EEEEE10hipError_tT1_PNSt15iterator_traitsISG_E10value_typeET2_T3_PNSH_ISM_E10value_typeET4_T5_PSR_SS_PNS1_23onesweep_lookback_stateEbbT6_jjT7_P12ihipStream_tbENKUlT_T0_SG_SL_E_clIS9_SA_SB_SB_EEDaSZ_S10_SG_SL_EUlSZ_E_NS1_11comp_targetILNS1_3genE2ELNS1_11target_archE906ELNS1_3gpuE6ELNS1_3repE0EEENS1_47radix_sort_onesweep_sort_config_static_selectorELNS0_4arch9wavefront6targetE0EEEvSG_.num_agpr, 0
	.set _ZN7rocprim17ROCPRIM_400000_NS6detail17trampoline_kernelINS0_14default_configENS1_35radix_sort_onesweep_config_selectorIlNS0_10empty_typeEEEZZNS1_29radix_sort_onesweep_iterationIS3_Lb0EPKlPlPS5_SB_mNS0_19identity_decomposerENS1_16block_id_wrapperIjLb0EEEEE10hipError_tT1_PNSt15iterator_traitsISG_E10value_typeET2_T3_PNSH_ISM_E10value_typeET4_T5_PSR_SS_PNS1_23onesweep_lookback_stateEbbT6_jjT7_P12ihipStream_tbENKUlT_T0_SG_SL_E_clIS9_SA_SB_SB_EEDaSZ_S10_SG_SL_EUlSZ_E_NS1_11comp_targetILNS1_3genE2ELNS1_11target_archE906ELNS1_3gpuE6ELNS1_3repE0EEENS1_47radix_sort_onesweep_sort_config_static_selectorELNS0_4arch9wavefront6targetE0EEEvSG_.numbered_sgpr, 0
	.set _ZN7rocprim17ROCPRIM_400000_NS6detail17trampoline_kernelINS0_14default_configENS1_35radix_sort_onesweep_config_selectorIlNS0_10empty_typeEEEZZNS1_29radix_sort_onesweep_iterationIS3_Lb0EPKlPlPS5_SB_mNS0_19identity_decomposerENS1_16block_id_wrapperIjLb0EEEEE10hipError_tT1_PNSt15iterator_traitsISG_E10value_typeET2_T3_PNSH_ISM_E10value_typeET4_T5_PSR_SS_PNS1_23onesweep_lookback_stateEbbT6_jjT7_P12ihipStream_tbENKUlT_T0_SG_SL_E_clIS9_SA_SB_SB_EEDaSZ_S10_SG_SL_EUlSZ_E_NS1_11comp_targetILNS1_3genE2ELNS1_11target_archE906ELNS1_3gpuE6ELNS1_3repE0EEENS1_47radix_sort_onesweep_sort_config_static_selectorELNS0_4arch9wavefront6targetE0EEEvSG_.num_named_barrier, 0
	.set _ZN7rocprim17ROCPRIM_400000_NS6detail17trampoline_kernelINS0_14default_configENS1_35radix_sort_onesweep_config_selectorIlNS0_10empty_typeEEEZZNS1_29radix_sort_onesweep_iterationIS3_Lb0EPKlPlPS5_SB_mNS0_19identity_decomposerENS1_16block_id_wrapperIjLb0EEEEE10hipError_tT1_PNSt15iterator_traitsISG_E10value_typeET2_T3_PNSH_ISM_E10value_typeET4_T5_PSR_SS_PNS1_23onesweep_lookback_stateEbbT6_jjT7_P12ihipStream_tbENKUlT_T0_SG_SL_E_clIS9_SA_SB_SB_EEDaSZ_S10_SG_SL_EUlSZ_E_NS1_11comp_targetILNS1_3genE2ELNS1_11target_archE906ELNS1_3gpuE6ELNS1_3repE0EEENS1_47radix_sort_onesweep_sort_config_static_selectorELNS0_4arch9wavefront6targetE0EEEvSG_.private_seg_size, 0
	.set _ZN7rocprim17ROCPRIM_400000_NS6detail17trampoline_kernelINS0_14default_configENS1_35radix_sort_onesweep_config_selectorIlNS0_10empty_typeEEEZZNS1_29radix_sort_onesweep_iterationIS3_Lb0EPKlPlPS5_SB_mNS0_19identity_decomposerENS1_16block_id_wrapperIjLb0EEEEE10hipError_tT1_PNSt15iterator_traitsISG_E10value_typeET2_T3_PNSH_ISM_E10value_typeET4_T5_PSR_SS_PNS1_23onesweep_lookback_stateEbbT6_jjT7_P12ihipStream_tbENKUlT_T0_SG_SL_E_clIS9_SA_SB_SB_EEDaSZ_S10_SG_SL_EUlSZ_E_NS1_11comp_targetILNS1_3genE2ELNS1_11target_archE906ELNS1_3gpuE6ELNS1_3repE0EEENS1_47radix_sort_onesweep_sort_config_static_selectorELNS0_4arch9wavefront6targetE0EEEvSG_.uses_vcc, 0
	.set _ZN7rocprim17ROCPRIM_400000_NS6detail17trampoline_kernelINS0_14default_configENS1_35radix_sort_onesweep_config_selectorIlNS0_10empty_typeEEEZZNS1_29radix_sort_onesweep_iterationIS3_Lb0EPKlPlPS5_SB_mNS0_19identity_decomposerENS1_16block_id_wrapperIjLb0EEEEE10hipError_tT1_PNSt15iterator_traitsISG_E10value_typeET2_T3_PNSH_ISM_E10value_typeET4_T5_PSR_SS_PNS1_23onesweep_lookback_stateEbbT6_jjT7_P12ihipStream_tbENKUlT_T0_SG_SL_E_clIS9_SA_SB_SB_EEDaSZ_S10_SG_SL_EUlSZ_E_NS1_11comp_targetILNS1_3genE2ELNS1_11target_archE906ELNS1_3gpuE6ELNS1_3repE0EEENS1_47radix_sort_onesweep_sort_config_static_selectorELNS0_4arch9wavefront6targetE0EEEvSG_.uses_flat_scratch, 0
	.set _ZN7rocprim17ROCPRIM_400000_NS6detail17trampoline_kernelINS0_14default_configENS1_35radix_sort_onesweep_config_selectorIlNS0_10empty_typeEEEZZNS1_29radix_sort_onesweep_iterationIS3_Lb0EPKlPlPS5_SB_mNS0_19identity_decomposerENS1_16block_id_wrapperIjLb0EEEEE10hipError_tT1_PNSt15iterator_traitsISG_E10value_typeET2_T3_PNSH_ISM_E10value_typeET4_T5_PSR_SS_PNS1_23onesweep_lookback_stateEbbT6_jjT7_P12ihipStream_tbENKUlT_T0_SG_SL_E_clIS9_SA_SB_SB_EEDaSZ_S10_SG_SL_EUlSZ_E_NS1_11comp_targetILNS1_3genE2ELNS1_11target_archE906ELNS1_3gpuE6ELNS1_3repE0EEENS1_47radix_sort_onesweep_sort_config_static_selectorELNS0_4arch9wavefront6targetE0EEEvSG_.has_dyn_sized_stack, 0
	.set _ZN7rocprim17ROCPRIM_400000_NS6detail17trampoline_kernelINS0_14default_configENS1_35radix_sort_onesweep_config_selectorIlNS0_10empty_typeEEEZZNS1_29radix_sort_onesweep_iterationIS3_Lb0EPKlPlPS5_SB_mNS0_19identity_decomposerENS1_16block_id_wrapperIjLb0EEEEE10hipError_tT1_PNSt15iterator_traitsISG_E10value_typeET2_T3_PNSH_ISM_E10value_typeET4_T5_PSR_SS_PNS1_23onesweep_lookback_stateEbbT6_jjT7_P12ihipStream_tbENKUlT_T0_SG_SL_E_clIS9_SA_SB_SB_EEDaSZ_S10_SG_SL_EUlSZ_E_NS1_11comp_targetILNS1_3genE2ELNS1_11target_archE906ELNS1_3gpuE6ELNS1_3repE0EEENS1_47radix_sort_onesweep_sort_config_static_selectorELNS0_4arch9wavefront6targetE0EEEvSG_.has_recursion, 0
	.set _ZN7rocprim17ROCPRIM_400000_NS6detail17trampoline_kernelINS0_14default_configENS1_35radix_sort_onesweep_config_selectorIlNS0_10empty_typeEEEZZNS1_29radix_sort_onesweep_iterationIS3_Lb0EPKlPlPS5_SB_mNS0_19identity_decomposerENS1_16block_id_wrapperIjLb0EEEEE10hipError_tT1_PNSt15iterator_traitsISG_E10value_typeET2_T3_PNSH_ISM_E10value_typeET4_T5_PSR_SS_PNS1_23onesweep_lookback_stateEbbT6_jjT7_P12ihipStream_tbENKUlT_T0_SG_SL_E_clIS9_SA_SB_SB_EEDaSZ_S10_SG_SL_EUlSZ_E_NS1_11comp_targetILNS1_3genE2ELNS1_11target_archE906ELNS1_3gpuE6ELNS1_3repE0EEENS1_47radix_sort_onesweep_sort_config_static_selectorELNS0_4arch9wavefront6targetE0EEEvSG_.has_indirect_call, 0
	.section	.AMDGPU.csdata,"",@progbits
; Kernel info:
; codeLenInByte = 0
; TotalNumSgprs: 0
; NumVgprs: 0
; ScratchSize: 0
; MemoryBound: 0
; FloatMode: 240
; IeeeMode: 1
; LDSByteSize: 0 bytes/workgroup (compile time only)
; SGPRBlocks: 0
; VGPRBlocks: 0
; NumSGPRsForWavesPerEU: 1
; NumVGPRsForWavesPerEU: 1
; NamedBarCnt: 0
; Occupancy: 16
; WaveLimiterHint : 0
; COMPUTE_PGM_RSRC2:SCRATCH_EN: 0
; COMPUTE_PGM_RSRC2:USER_SGPR: 2
; COMPUTE_PGM_RSRC2:TRAP_HANDLER: 0
; COMPUTE_PGM_RSRC2:TGID_X_EN: 1
; COMPUTE_PGM_RSRC2:TGID_Y_EN: 0
; COMPUTE_PGM_RSRC2:TGID_Z_EN: 0
; COMPUTE_PGM_RSRC2:TIDIG_COMP_CNT: 0
	.section	.text._ZN7rocprim17ROCPRIM_400000_NS6detail17trampoline_kernelINS0_14default_configENS1_35radix_sort_onesweep_config_selectorIlNS0_10empty_typeEEEZZNS1_29radix_sort_onesweep_iterationIS3_Lb0EPKlPlPS5_SB_mNS0_19identity_decomposerENS1_16block_id_wrapperIjLb0EEEEE10hipError_tT1_PNSt15iterator_traitsISG_E10value_typeET2_T3_PNSH_ISM_E10value_typeET4_T5_PSR_SS_PNS1_23onesweep_lookback_stateEbbT6_jjT7_P12ihipStream_tbENKUlT_T0_SG_SL_E_clIS9_SA_SB_SB_EEDaSZ_S10_SG_SL_EUlSZ_E_NS1_11comp_targetILNS1_3genE4ELNS1_11target_archE910ELNS1_3gpuE8ELNS1_3repE0EEENS1_47radix_sort_onesweep_sort_config_static_selectorELNS0_4arch9wavefront6targetE0EEEvSG_,"axG",@progbits,_ZN7rocprim17ROCPRIM_400000_NS6detail17trampoline_kernelINS0_14default_configENS1_35radix_sort_onesweep_config_selectorIlNS0_10empty_typeEEEZZNS1_29radix_sort_onesweep_iterationIS3_Lb0EPKlPlPS5_SB_mNS0_19identity_decomposerENS1_16block_id_wrapperIjLb0EEEEE10hipError_tT1_PNSt15iterator_traitsISG_E10value_typeET2_T3_PNSH_ISM_E10value_typeET4_T5_PSR_SS_PNS1_23onesweep_lookback_stateEbbT6_jjT7_P12ihipStream_tbENKUlT_T0_SG_SL_E_clIS9_SA_SB_SB_EEDaSZ_S10_SG_SL_EUlSZ_E_NS1_11comp_targetILNS1_3genE4ELNS1_11target_archE910ELNS1_3gpuE8ELNS1_3repE0EEENS1_47radix_sort_onesweep_sort_config_static_selectorELNS0_4arch9wavefront6targetE0EEEvSG_,comdat
	.protected	_ZN7rocprim17ROCPRIM_400000_NS6detail17trampoline_kernelINS0_14default_configENS1_35radix_sort_onesweep_config_selectorIlNS0_10empty_typeEEEZZNS1_29radix_sort_onesweep_iterationIS3_Lb0EPKlPlPS5_SB_mNS0_19identity_decomposerENS1_16block_id_wrapperIjLb0EEEEE10hipError_tT1_PNSt15iterator_traitsISG_E10value_typeET2_T3_PNSH_ISM_E10value_typeET4_T5_PSR_SS_PNS1_23onesweep_lookback_stateEbbT6_jjT7_P12ihipStream_tbENKUlT_T0_SG_SL_E_clIS9_SA_SB_SB_EEDaSZ_S10_SG_SL_EUlSZ_E_NS1_11comp_targetILNS1_3genE4ELNS1_11target_archE910ELNS1_3gpuE8ELNS1_3repE0EEENS1_47radix_sort_onesweep_sort_config_static_selectorELNS0_4arch9wavefront6targetE0EEEvSG_ ; -- Begin function _ZN7rocprim17ROCPRIM_400000_NS6detail17trampoline_kernelINS0_14default_configENS1_35radix_sort_onesweep_config_selectorIlNS0_10empty_typeEEEZZNS1_29radix_sort_onesweep_iterationIS3_Lb0EPKlPlPS5_SB_mNS0_19identity_decomposerENS1_16block_id_wrapperIjLb0EEEEE10hipError_tT1_PNSt15iterator_traitsISG_E10value_typeET2_T3_PNSH_ISM_E10value_typeET4_T5_PSR_SS_PNS1_23onesweep_lookback_stateEbbT6_jjT7_P12ihipStream_tbENKUlT_T0_SG_SL_E_clIS9_SA_SB_SB_EEDaSZ_S10_SG_SL_EUlSZ_E_NS1_11comp_targetILNS1_3genE4ELNS1_11target_archE910ELNS1_3gpuE8ELNS1_3repE0EEENS1_47radix_sort_onesweep_sort_config_static_selectorELNS0_4arch9wavefront6targetE0EEEvSG_
	.globl	_ZN7rocprim17ROCPRIM_400000_NS6detail17trampoline_kernelINS0_14default_configENS1_35radix_sort_onesweep_config_selectorIlNS0_10empty_typeEEEZZNS1_29radix_sort_onesweep_iterationIS3_Lb0EPKlPlPS5_SB_mNS0_19identity_decomposerENS1_16block_id_wrapperIjLb0EEEEE10hipError_tT1_PNSt15iterator_traitsISG_E10value_typeET2_T3_PNSH_ISM_E10value_typeET4_T5_PSR_SS_PNS1_23onesweep_lookback_stateEbbT6_jjT7_P12ihipStream_tbENKUlT_T0_SG_SL_E_clIS9_SA_SB_SB_EEDaSZ_S10_SG_SL_EUlSZ_E_NS1_11comp_targetILNS1_3genE4ELNS1_11target_archE910ELNS1_3gpuE8ELNS1_3repE0EEENS1_47radix_sort_onesweep_sort_config_static_selectorELNS0_4arch9wavefront6targetE0EEEvSG_
	.p2align	8
	.type	_ZN7rocprim17ROCPRIM_400000_NS6detail17trampoline_kernelINS0_14default_configENS1_35radix_sort_onesweep_config_selectorIlNS0_10empty_typeEEEZZNS1_29radix_sort_onesweep_iterationIS3_Lb0EPKlPlPS5_SB_mNS0_19identity_decomposerENS1_16block_id_wrapperIjLb0EEEEE10hipError_tT1_PNSt15iterator_traitsISG_E10value_typeET2_T3_PNSH_ISM_E10value_typeET4_T5_PSR_SS_PNS1_23onesweep_lookback_stateEbbT6_jjT7_P12ihipStream_tbENKUlT_T0_SG_SL_E_clIS9_SA_SB_SB_EEDaSZ_S10_SG_SL_EUlSZ_E_NS1_11comp_targetILNS1_3genE4ELNS1_11target_archE910ELNS1_3gpuE8ELNS1_3repE0EEENS1_47radix_sort_onesweep_sort_config_static_selectorELNS0_4arch9wavefront6targetE0EEEvSG_,@function
_ZN7rocprim17ROCPRIM_400000_NS6detail17trampoline_kernelINS0_14default_configENS1_35radix_sort_onesweep_config_selectorIlNS0_10empty_typeEEEZZNS1_29radix_sort_onesweep_iterationIS3_Lb0EPKlPlPS5_SB_mNS0_19identity_decomposerENS1_16block_id_wrapperIjLb0EEEEE10hipError_tT1_PNSt15iterator_traitsISG_E10value_typeET2_T3_PNSH_ISM_E10value_typeET4_T5_PSR_SS_PNS1_23onesweep_lookback_stateEbbT6_jjT7_P12ihipStream_tbENKUlT_T0_SG_SL_E_clIS9_SA_SB_SB_EEDaSZ_S10_SG_SL_EUlSZ_E_NS1_11comp_targetILNS1_3genE4ELNS1_11target_archE910ELNS1_3gpuE8ELNS1_3repE0EEENS1_47radix_sort_onesweep_sort_config_static_selectorELNS0_4arch9wavefront6targetE0EEEvSG_: ; @_ZN7rocprim17ROCPRIM_400000_NS6detail17trampoline_kernelINS0_14default_configENS1_35radix_sort_onesweep_config_selectorIlNS0_10empty_typeEEEZZNS1_29radix_sort_onesweep_iterationIS3_Lb0EPKlPlPS5_SB_mNS0_19identity_decomposerENS1_16block_id_wrapperIjLb0EEEEE10hipError_tT1_PNSt15iterator_traitsISG_E10value_typeET2_T3_PNSH_ISM_E10value_typeET4_T5_PSR_SS_PNS1_23onesweep_lookback_stateEbbT6_jjT7_P12ihipStream_tbENKUlT_T0_SG_SL_E_clIS9_SA_SB_SB_EEDaSZ_S10_SG_SL_EUlSZ_E_NS1_11comp_targetILNS1_3genE4ELNS1_11target_archE910ELNS1_3gpuE8ELNS1_3repE0EEENS1_47radix_sort_onesweep_sort_config_static_selectorELNS0_4arch9wavefront6targetE0EEEvSG_
; %bb.0:
	.section	.rodata,"a",@progbits
	.p2align	6, 0x0
	.amdhsa_kernel _ZN7rocprim17ROCPRIM_400000_NS6detail17trampoline_kernelINS0_14default_configENS1_35radix_sort_onesweep_config_selectorIlNS0_10empty_typeEEEZZNS1_29radix_sort_onesweep_iterationIS3_Lb0EPKlPlPS5_SB_mNS0_19identity_decomposerENS1_16block_id_wrapperIjLb0EEEEE10hipError_tT1_PNSt15iterator_traitsISG_E10value_typeET2_T3_PNSH_ISM_E10value_typeET4_T5_PSR_SS_PNS1_23onesweep_lookback_stateEbbT6_jjT7_P12ihipStream_tbENKUlT_T0_SG_SL_E_clIS9_SA_SB_SB_EEDaSZ_S10_SG_SL_EUlSZ_E_NS1_11comp_targetILNS1_3genE4ELNS1_11target_archE910ELNS1_3gpuE8ELNS1_3repE0EEENS1_47radix_sort_onesweep_sort_config_static_selectorELNS0_4arch9wavefront6targetE0EEEvSG_
		.amdhsa_group_segment_fixed_size 0
		.amdhsa_private_segment_fixed_size 0
		.amdhsa_kernarg_size 88
		.amdhsa_user_sgpr_count 2
		.amdhsa_user_sgpr_dispatch_ptr 0
		.amdhsa_user_sgpr_queue_ptr 0
		.amdhsa_user_sgpr_kernarg_segment_ptr 1
		.amdhsa_user_sgpr_dispatch_id 0
		.amdhsa_user_sgpr_kernarg_preload_length 0
		.amdhsa_user_sgpr_kernarg_preload_offset 0
		.amdhsa_user_sgpr_private_segment_size 0
		.amdhsa_wavefront_size32 1
		.amdhsa_uses_dynamic_stack 0
		.amdhsa_enable_private_segment 0
		.amdhsa_system_sgpr_workgroup_id_x 1
		.amdhsa_system_sgpr_workgroup_id_y 0
		.amdhsa_system_sgpr_workgroup_id_z 0
		.amdhsa_system_sgpr_workgroup_info 0
		.amdhsa_system_vgpr_workitem_id 0
		.amdhsa_next_free_vgpr 1
		.amdhsa_next_free_sgpr 1
		.amdhsa_named_barrier_count 0
		.amdhsa_reserve_vcc 0
		.amdhsa_float_round_mode_32 0
		.amdhsa_float_round_mode_16_64 0
		.amdhsa_float_denorm_mode_32 3
		.amdhsa_float_denorm_mode_16_64 3
		.amdhsa_fp16_overflow 0
		.amdhsa_memory_ordered 1
		.amdhsa_forward_progress 1
		.amdhsa_inst_pref_size 0
		.amdhsa_round_robin_scheduling 0
		.amdhsa_exception_fp_ieee_invalid_op 0
		.amdhsa_exception_fp_denorm_src 0
		.amdhsa_exception_fp_ieee_div_zero 0
		.amdhsa_exception_fp_ieee_overflow 0
		.amdhsa_exception_fp_ieee_underflow 0
		.amdhsa_exception_fp_ieee_inexact 0
		.amdhsa_exception_int_div_zero 0
	.end_amdhsa_kernel
	.section	.text._ZN7rocprim17ROCPRIM_400000_NS6detail17trampoline_kernelINS0_14default_configENS1_35radix_sort_onesweep_config_selectorIlNS0_10empty_typeEEEZZNS1_29radix_sort_onesweep_iterationIS3_Lb0EPKlPlPS5_SB_mNS0_19identity_decomposerENS1_16block_id_wrapperIjLb0EEEEE10hipError_tT1_PNSt15iterator_traitsISG_E10value_typeET2_T3_PNSH_ISM_E10value_typeET4_T5_PSR_SS_PNS1_23onesweep_lookback_stateEbbT6_jjT7_P12ihipStream_tbENKUlT_T0_SG_SL_E_clIS9_SA_SB_SB_EEDaSZ_S10_SG_SL_EUlSZ_E_NS1_11comp_targetILNS1_3genE4ELNS1_11target_archE910ELNS1_3gpuE8ELNS1_3repE0EEENS1_47radix_sort_onesweep_sort_config_static_selectorELNS0_4arch9wavefront6targetE0EEEvSG_,"axG",@progbits,_ZN7rocprim17ROCPRIM_400000_NS6detail17trampoline_kernelINS0_14default_configENS1_35radix_sort_onesweep_config_selectorIlNS0_10empty_typeEEEZZNS1_29radix_sort_onesweep_iterationIS3_Lb0EPKlPlPS5_SB_mNS0_19identity_decomposerENS1_16block_id_wrapperIjLb0EEEEE10hipError_tT1_PNSt15iterator_traitsISG_E10value_typeET2_T3_PNSH_ISM_E10value_typeET4_T5_PSR_SS_PNS1_23onesweep_lookback_stateEbbT6_jjT7_P12ihipStream_tbENKUlT_T0_SG_SL_E_clIS9_SA_SB_SB_EEDaSZ_S10_SG_SL_EUlSZ_E_NS1_11comp_targetILNS1_3genE4ELNS1_11target_archE910ELNS1_3gpuE8ELNS1_3repE0EEENS1_47radix_sort_onesweep_sort_config_static_selectorELNS0_4arch9wavefront6targetE0EEEvSG_,comdat
.Lfunc_end1229:
	.size	_ZN7rocprim17ROCPRIM_400000_NS6detail17trampoline_kernelINS0_14default_configENS1_35radix_sort_onesweep_config_selectorIlNS0_10empty_typeEEEZZNS1_29radix_sort_onesweep_iterationIS3_Lb0EPKlPlPS5_SB_mNS0_19identity_decomposerENS1_16block_id_wrapperIjLb0EEEEE10hipError_tT1_PNSt15iterator_traitsISG_E10value_typeET2_T3_PNSH_ISM_E10value_typeET4_T5_PSR_SS_PNS1_23onesweep_lookback_stateEbbT6_jjT7_P12ihipStream_tbENKUlT_T0_SG_SL_E_clIS9_SA_SB_SB_EEDaSZ_S10_SG_SL_EUlSZ_E_NS1_11comp_targetILNS1_3genE4ELNS1_11target_archE910ELNS1_3gpuE8ELNS1_3repE0EEENS1_47radix_sort_onesweep_sort_config_static_selectorELNS0_4arch9wavefront6targetE0EEEvSG_, .Lfunc_end1229-_ZN7rocprim17ROCPRIM_400000_NS6detail17trampoline_kernelINS0_14default_configENS1_35radix_sort_onesweep_config_selectorIlNS0_10empty_typeEEEZZNS1_29radix_sort_onesweep_iterationIS3_Lb0EPKlPlPS5_SB_mNS0_19identity_decomposerENS1_16block_id_wrapperIjLb0EEEEE10hipError_tT1_PNSt15iterator_traitsISG_E10value_typeET2_T3_PNSH_ISM_E10value_typeET4_T5_PSR_SS_PNS1_23onesweep_lookback_stateEbbT6_jjT7_P12ihipStream_tbENKUlT_T0_SG_SL_E_clIS9_SA_SB_SB_EEDaSZ_S10_SG_SL_EUlSZ_E_NS1_11comp_targetILNS1_3genE4ELNS1_11target_archE910ELNS1_3gpuE8ELNS1_3repE0EEENS1_47radix_sort_onesweep_sort_config_static_selectorELNS0_4arch9wavefront6targetE0EEEvSG_
                                        ; -- End function
	.set _ZN7rocprim17ROCPRIM_400000_NS6detail17trampoline_kernelINS0_14default_configENS1_35radix_sort_onesweep_config_selectorIlNS0_10empty_typeEEEZZNS1_29radix_sort_onesweep_iterationIS3_Lb0EPKlPlPS5_SB_mNS0_19identity_decomposerENS1_16block_id_wrapperIjLb0EEEEE10hipError_tT1_PNSt15iterator_traitsISG_E10value_typeET2_T3_PNSH_ISM_E10value_typeET4_T5_PSR_SS_PNS1_23onesweep_lookback_stateEbbT6_jjT7_P12ihipStream_tbENKUlT_T0_SG_SL_E_clIS9_SA_SB_SB_EEDaSZ_S10_SG_SL_EUlSZ_E_NS1_11comp_targetILNS1_3genE4ELNS1_11target_archE910ELNS1_3gpuE8ELNS1_3repE0EEENS1_47radix_sort_onesweep_sort_config_static_selectorELNS0_4arch9wavefront6targetE0EEEvSG_.num_vgpr, 0
	.set _ZN7rocprim17ROCPRIM_400000_NS6detail17trampoline_kernelINS0_14default_configENS1_35radix_sort_onesweep_config_selectorIlNS0_10empty_typeEEEZZNS1_29radix_sort_onesweep_iterationIS3_Lb0EPKlPlPS5_SB_mNS0_19identity_decomposerENS1_16block_id_wrapperIjLb0EEEEE10hipError_tT1_PNSt15iterator_traitsISG_E10value_typeET2_T3_PNSH_ISM_E10value_typeET4_T5_PSR_SS_PNS1_23onesweep_lookback_stateEbbT6_jjT7_P12ihipStream_tbENKUlT_T0_SG_SL_E_clIS9_SA_SB_SB_EEDaSZ_S10_SG_SL_EUlSZ_E_NS1_11comp_targetILNS1_3genE4ELNS1_11target_archE910ELNS1_3gpuE8ELNS1_3repE0EEENS1_47radix_sort_onesweep_sort_config_static_selectorELNS0_4arch9wavefront6targetE0EEEvSG_.num_agpr, 0
	.set _ZN7rocprim17ROCPRIM_400000_NS6detail17trampoline_kernelINS0_14default_configENS1_35radix_sort_onesweep_config_selectorIlNS0_10empty_typeEEEZZNS1_29radix_sort_onesweep_iterationIS3_Lb0EPKlPlPS5_SB_mNS0_19identity_decomposerENS1_16block_id_wrapperIjLb0EEEEE10hipError_tT1_PNSt15iterator_traitsISG_E10value_typeET2_T3_PNSH_ISM_E10value_typeET4_T5_PSR_SS_PNS1_23onesweep_lookback_stateEbbT6_jjT7_P12ihipStream_tbENKUlT_T0_SG_SL_E_clIS9_SA_SB_SB_EEDaSZ_S10_SG_SL_EUlSZ_E_NS1_11comp_targetILNS1_3genE4ELNS1_11target_archE910ELNS1_3gpuE8ELNS1_3repE0EEENS1_47radix_sort_onesweep_sort_config_static_selectorELNS0_4arch9wavefront6targetE0EEEvSG_.numbered_sgpr, 0
	.set _ZN7rocprim17ROCPRIM_400000_NS6detail17trampoline_kernelINS0_14default_configENS1_35radix_sort_onesweep_config_selectorIlNS0_10empty_typeEEEZZNS1_29radix_sort_onesweep_iterationIS3_Lb0EPKlPlPS5_SB_mNS0_19identity_decomposerENS1_16block_id_wrapperIjLb0EEEEE10hipError_tT1_PNSt15iterator_traitsISG_E10value_typeET2_T3_PNSH_ISM_E10value_typeET4_T5_PSR_SS_PNS1_23onesweep_lookback_stateEbbT6_jjT7_P12ihipStream_tbENKUlT_T0_SG_SL_E_clIS9_SA_SB_SB_EEDaSZ_S10_SG_SL_EUlSZ_E_NS1_11comp_targetILNS1_3genE4ELNS1_11target_archE910ELNS1_3gpuE8ELNS1_3repE0EEENS1_47radix_sort_onesweep_sort_config_static_selectorELNS0_4arch9wavefront6targetE0EEEvSG_.num_named_barrier, 0
	.set _ZN7rocprim17ROCPRIM_400000_NS6detail17trampoline_kernelINS0_14default_configENS1_35radix_sort_onesweep_config_selectorIlNS0_10empty_typeEEEZZNS1_29radix_sort_onesweep_iterationIS3_Lb0EPKlPlPS5_SB_mNS0_19identity_decomposerENS1_16block_id_wrapperIjLb0EEEEE10hipError_tT1_PNSt15iterator_traitsISG_E10value_typeET2_T3_PNSH_ISM_E10value_typeET4_T5_PSR_SS_PNS1_23onesweep_lookback_stateEbbT6_jjT7_P12ihipStream_tbENKUlT_T0_SG_SL_E_clIS9_SA_SB_SB_EEDaSZ_S10_SG_SL_EUlSZ_E_NS1_11comp_targetILNS1_3genE4ELNS1_11target_archE910ELNS1_3gpuE8ELNS1_3repE0EEENS1_47radix_sort_onesweep_sort_config_static_selectorELNS0_4arch9wavefront6targetE0EEEvSG_.private_seg_size, 0
	.set _ZN7rocprim17ROCPRIM_400000_NS6detail17trampoline_kernelINS0_14default_configENS1_35radix_sort_onesweep_config_selectorIlNS0_10empty_typeEEEZZNS1_29radix_sort_onesweep_iterationIS3_Lb0EPKlPlPS5_SB_mNS0_19identity_decomposerENS1_16block_id_wrapperIjLb0EEEEE10hipError_tT1_PNSt15iterator_traitsISG_E10value_typeET2_T3_PNSH_ISM_E10value_typeET4_T5_PSR_SS_PNS1_23onesweep_lookback_stateEbbT6_jjT7_P12ihipStream_tbENKUlT_T0_SG_SL_E_clIS9_SA_SB_SB_EEDaSZ_S10_SG_SL_EUlSZ_E_NS1_11comp_targetILNS1_3genE4ELNS1_11target_archE910ELNS1_3gpuE8ELNS1_3repE0EEENS1_47radix_sort_onesweep_sort_config_static_selectorELNS0_4arch9wavefront6targetE0EEEvSG_.uses_vcc, 0
	.set _ZN7rocprim17ROCPRIM_400000_NS6detail17trampoline_kernelINS0_14default_configENS1_35radix_sort_onesweep_config_selectorIlNS0_10empty_typeEEEZZNS1_29radix_sort_onesweep_iterationIS3_Lb0EPKlPlPS5_SB_mNS0_19identity_decomposerENS1_16block_id_wrapperIjLb0EEEEE10hipError_tT1_PNSt15iterator_traitsISG_E10value_typeET2_T3_PNSH_ISM_E10value_typeET4_T5_PSR_SS_PNS1_23onesweep_lookback_stateEbbT6_jjT7_P12ihipStream_tbENKUlT_T0_SG_SL_E_clIS9_SA_SB_SB_EEDaSZ_S10_SG_SL_EUlSZ_E_NS1_11comp_targetILNS1_3genE4ELNS1_11target_archE910ELNS1_3gpuE8ELNS1_3repE0EEENS1_47radix_sort_onesweep_sort_config_static_selectorELNS0_4arch9wavefront6targetE0EEEvSG_.uses_flat_scratch, 0
	.set _ZN7rocprim17ROCPRIM_400000_NS6detail17trampoline_kernelINS0_14default_configENS1_35radix_sort_onesweep_config_selectorIlNS0_10empty_typeEEEZZNS1_29radix_sort_onesweep_iterationIS3_Lb0EPKlPlPS5_SB_mNS0_19identity_decomposerENS1_16block_id_wrapperIjLb0EEEEE10hipError_tT1_PNSt15iterator_traitsISG_E10value_typeET2_T3_PNSH_ISM_E10value_typeET4_T5_PSR_SS_PNS1_23onesweep_lookback_stateEbbT6_jjT7_P12ihipStream_tbENKUlT_T0_SG_SL_E_clIS9_SA_SB_SB_EEDaSZ_S10_SG_SL_EUlSZ_E_NS1_11comp_targetILNS1_3genE4ELNS1_11target_archE910ELNS1_3gpuE8ELNS1_3repE0EEENS1_47radix_sort_onesweep_sort_config_static_selectorELNS0_4arch9wavefront6targetE0EEEvSG_.has_dyn_sized_stack, 0
	.set _ZN7rocprim17ROCPRIM_400000_NS6detail17trampoline_kernelINS0_14default_configENS1_35radix_sort_onesweep_config_selectorIlNS0_10empty_typeEEEZZNS1_29radix_sort_onesweep_iterationIS3_Lb0EPKlPlPS5_SB_mNS0_19identity_decomposerENS1_16block_id_wrapperIjLb0EEEEE10hipError_tT1_PNSt15iterator_traitsISG_E10value_typeET2_T3_PNSH_ISM_E10value_typeET4_T5_PSR_SS_PNS1_23onesweep_lookback_stateEbbT6_jjT7_P12ihipStream_tbENKUlT_T0_SG_SL_E_clIS9_SA_SB_SB_EEDaSZ_S10_SG_SL_EUlSZ_E_NS1_11comp_targetILNS1_3genE4ELNS1_11target_archE910ELNS1_3gpuE8ELNS1_3repE0EEENS1_47radix_sort_onesweep_sort_config_static_selectorELNS0_4arch9wavefront6targetE0EEEvSG_.has_recursion, 0
	.set _ZN7rocprim17ROCPRIM_400000_NS6detail17trampoline_kernelINS0_14default_configENS1_35radix_sort_onesweep_config_selectorIlNS0_10empty_typeEEEZZNS1_29radix_sort_onesweep_iterationIS3_Lb0EPKlPlPS5_SB_mNS0_19identity_decomposerENS1_16block_id_wrapperIjLb0EEEEE10hipError_tT1_PNSt15iterator_traitsISG_E10value_typeET2_T3_PNSH_ISM_E10value_typeET4_T5_PSR_SS_PNS1_23onesweep_lookback_stateEbbT6_jjT7_P12ihipStream_tbENKUlT_T0_SG_SL_E_clIS9_SA_SB_SB_EEDaSZ_S10_SG_SL_EUlSZ_E_NS1_11comp_targetILNS1_3genE4ELNS1_11target_archE910ELNS1_3gpuE8ELNS1_3repE0EEENS1_47radix_sort_onesweep_sort_config_static_selectorELNS0_4arch9wavefront6targetE0EEEvSG_.has_indirect_call, 0
	.section	.AMDGPU.csdata,"",@progbits
; Kernel info:
; codeLenInByte = 0
; TotalNumSgprs: 0
; NumVgprs: 0
; ScratchSize: 0
; MemoryBound: 0
; FloatMode: 240
; IeeeMode: 1
; LDSByteSize: 0 bytes/workgroup (compile time only)
; SGPRBlocks: 0
; VGPRBlocks: 0
; NumSGPRsForWavesPerEU: 1
; NumVGPRsForWavesPerEU: 1
; NamedBarCnt: 0
; Occupancy: 16
; WaveLimiterHint : 0
; COMPUTE_PGM_RSRC2:SCRATCH_EN: 0
; COMPUTE_PGM_RSRC2:USER_SGPR: 2
; COMPUTE_PGM_RSRC2:TRAP_HANDLER: 0
; COMPUTE_PGM_RSRC2:TGID_X_EN: 1
; COMPUTE_PGM_RSRC2:TGID_Y_EN: 0
; COMPUTE_PGM_RSRC2:TGID_Z_EN: 0
; COMPUTE_PGM_RSRC2:TIDIG_COMP_CNT: 0
	.section	.text._ZN7rocprim17ROCPRIM_400000_NS6detail17trampoline_kernelINS0_14default_configENS1_35radix_sort_onesweep_config_selectorIlNS0_10empty_typeEEEZZNS1_29radix_sort_onesweep_iterationIS3_Lb0EPKlPlPS5_SB_mNS0_19identity_decomposerENS1_16block_id_wrapperIjLb0EEEEE10hipError_tT1_PNSt15iterator_traitsISG_E10value_typeET2_T3_PNSH_ISM_E10value_typeET4_T5_PSR_SS_PNS1_23onesweep_lookback_stateEbbT6_jjT7_P12ihipStream_tbENKUlT_T0_SG_SL_E_clIS9_SA_SB_SB_EEDaSZ_S10_SG_SL_EUlSZ_E_NS1_11comp_targetILNS1_3genE3ELNS1_11target_archE908ELNS1_3gpuE7ELNS1_3repE0EEENS1_47radix_sort_onesweep_sort_config_static_selectorELNS0_4arch9wavefront6targetE0EEEvSG_,"axG",@progbits,_ZN7rocprim17ROCPRIM_400000_NS6detail17trampoline_kernelINS0_14default_configENS1_35radix_sort_onesweep_config_selectorIlNS0_10empty_typeEEEZZNS1_29radix_sort_onesweep_iterationIS3_Lb0EPKlPlPS5_SB_mNS0_19identity_decomposerENS1_16block_id_wrapperIjLb0EEEEE10hipError_tT1_PNSt15iterator_traitsISG_E10value_typeET2_T3_PNSH_ISM_E10value_typeET4_T5_PSR_SS_PNS1_23onesweep_lookback_stateEbbT6_jjT7_P12ihipStream_tbENKUlT_T0_SG_SL_E_clIS9_SA_SB_SB_EEDaSZ_S10_SG_SL_EUlSZ_E_NS1_11comp_targetILNS1_3genE3ELNS1_11target_archE908ELNS1_3gpuE7ELNS1_3repE0EEENS1_47radix_sort_onesweep_sort_config_static_selectorELNS0_4arch9wavefront6targetE0EEEvSG_,comdat
	.protected	_ZN7rocprim17ROCPRIM_400000_NS6detail17trampoline_kernelINS0_14default_configENS1_35radix_sort_onesweep_config_selectorIlNS0_10empty_typeEEEZZNS1_29radix_sort_onesweep_iterationIS3_Lb0EPKlPlPS5_SB_mNS0_19identity_decomposerENS1_16block_id_wrapperIjLb0EEEEE10hipError_tT1_PNSt15iterator_traitsISG_E10value_typeET2_T3_PNSH_ISM_E10value_typeET4_T5_PSR_SS_PNS1_23onesweep_lookback_stateEbbT6_jjT7_P12ihipStream_tbENKUlT_T0_SG_SL_E_clIS9_SA_SB_SB_EEDaSZ_S10_SG_SL_EUlSZ_E_NS1_11comp_targetILNS1_3genE3ELNS1_11target_archE908ELNS1_3gpuE7ELNS1_3repE0EEENS1_47radix_sort_onesweep_sort_config_static_selectorELNS0_4arch9wavefront6targetE0EEEvSG_ ; -- Begin function _ZN7rocprim17ROCPRIM_400000_NS6detail17trampoline_kernelINS0_14default_configENS1_35radix_sort_onesweep_config_selectorIlNS0_10empty_typeEEEZZNS1_29radix_sort_onesweep_iterationIS3_Lb0EPKlPlPS5_SB_mNS0_19identity_decomposerENS1_16block_id_wrapperIjLb0EEEEE10hipError_tT1_PNSt15iterator_traitsISG_E10value_typeET2_T3_PNSH_ISM_E10value_typeET4_T5_PSR_SS_PNS1_23onesweep_lookback_stateEbbT6_jjT7_P12ihipStream_tbENKUlT_T0_SG_SL_E_clIS9_SA_SB_SB_EEDaSZ_S10_SG_SL_EUlSZ_E_NS1_11comp_targetILNS1_3genE3ELNS1_11target_archE908ELNS1_3gpuE7ELNS1_3repE0EEENS1_47radix_sort_onesweep_sort_config_static_selectorELNS0_4arch9wavefront6targetE0EEEvSG_
	.globl	_ZN7rocprim17ROCPRIM_400000_NS6detail17trampoline_kernelINS0_14default_configENS1_35radix_sort_onesweep_config_selectorIlNS0_10empty_typeEEEZZNS1_29radix_sort_onesweep_iterationIS3_Lb0EPKlPlPS5_SB_mNS0_19identity_decomposerENS1_16block_id_wrapperIjLb0EEEEE10hipError_tT1_PNSt15iterator_traitsISG_E10value_typeET2_T3_PNSH_ISM_E10value_typeET4_T5_PSR_SS_PNS1_23onesweep_lookback_stateEbbT6_jjT7_P12ihipStream_tbENKUlT_T0_SG_SL_E_clIS9_SA_SB_SB_EEDaSZ_S10_SG_SL_EUlSZ_E_NS1_11comp_targetILNS1_3genE3ELNS1_11target_archE908ELNS1_3gpuE7ELNS1_3repE0EEENS1_47radix_sort_onesweep_sort_config_static_selectorELNS0_4arch9wavefront6targetE0EEEvSG_
	.p2align	8
	.type	_ZN7rocprim17ROCPRIM_400000_NS6detail17trampoline_kernelINS0_14default_configENS1_35radix_sort_onesweep_config_selectorIlNS0_10empty_typeEEEZZNS1_29radix_sort_onesweep_iterationIS3_Lb0EPKlPlPS5_SB_mNS0_19identity_decomposerENS1_16block_id_wrapperIjLb0EEEEE10hipError_tT1_PNSt15iterator_traitsISG_E10value_typeET2_T3_PNSH_ISM_E10value_typeET4_T5_PSR_SS_PNS1_23onesweep_lookback_stateEbbT6_jjT7_P12ihipStream_tbENKUlT_T0_SG_SL_E_clIS9_SA_SB_SB_EEDaSZ_S10_SG_SL_EUlSZ_E_NS1_11comp_targetILNS1_3genE3ELNS1_11target_archE908ELNS1_3gpuE7ELNS1_3repE0EEENS1_47radix_sort_onesweep_sort_config_static_selectorELNS0_4arch9wavefront6targetE0EEEvSG_,@function
_ZN7rocprim17ROCPRIM_400000_NS6detail17trampoline_kernelINS0_14default_configENS1_35radix_sort_onesweep_config_selectorIlNS0_10empty_typeEEEZZNS1_29radix_sort_onesweep_iterationIS3_Lb0EPKlPlPS5_SB_mNS0_19identity_decomposerENS1_16block_id_wrapperIjLb0EEEEE10hipError_tT1_PNSt15iterator_traitsISG_E10value_typeET2_T3_PNSH_ISM_E10value_typeET4_T5_PSR_SS_PNS1_23onesweep_lookback_stateEbbT6_jjT7_P12ihipStream_tbENKUlT_T0_SG_SL_E_clIS9_SA_SB_SB_EEDaSZ_S10_SG_SL_EUlSZ_E_NS1_11comp_targetILNS1_3genE3ELNS1_11target_archE908ELNS1_3gpuE7ELNS1_3repE0EEENS1_47radix_sort_onesweep_sort_config_static_selectorELNS0_4arch9wavefront6targetE0EEEvSG_: ; @_ZN7rocprim17ROCPRIM_400000_NS6detail17trampoline_kernelINS0_14default_configENS1_35radix_sort_onesweep_config_selectorIlNS0_10empty_typeEEEZZNS1_29radix_sort_onesweep_iterationIS3_Lb0EPKlPlPS5_SB_mNS0_19identity_decomposerENS1_16block_id_wrapperIjLb0EEEEE10hipError_tT1_PNSt15iterator_traitsISG_E10value_typeET2_T3_PNSH_ISM_E10value_typeET4_T5_PSR_SS_PNS1_23onesweep_lookback_stateEbbT6_jjT7_P12ihipStream_tbENKUlT_T0_SG_SL_E_clIS9_SA_SB_SB_EEDaSZ_S10_SG_SL_EUlSZ_E_NS1_11comp_targetILNS1_3genE3ELNS1_11target_archE908ELNS1_3gpuE7ELNS1_3repE0EEENS1_47radix_sort_onesweep_sort_config_static_selectorELNS0_4arch9wavefront6targetE0EEEvSG_
; %bb.0:
	.section	.rodata,"a",@progbits
	.p2align	6, 0x0
	.amdhsa_kernel _ZN7rocprim17ROCPRIM_400000_NS6detail17trampoline_kernelINS0_14default_configENS1_35radix_sort_onesweep_config_selectorIlNS0_10empty_typeEEEZZNS1_29radix_sort_onesweep_iterationIS3_Lb0EPKlPlPS5_SB_mNS0_19identity_decomposerENS1_16block_id_wrapperIjLb0EEEEE10hipError_tT1_PNSt15iterator_traitsISG_E10value_typeET2_T3_PNSH_ISM_E10value_typeET4_T5_PSR_SS_PNS1_23onesweep_lookback_stateEbbT6_jjT7_P12ihipStream_tbENKUlT_T0_SG_SL_E_clIS9_SA_SB_SB_EEDaSZ_S10_SG_SL_EUlSZ_E_NS1_11comp_targetILNS1_3genE3ELNS1_11target_archE908ELNS1_3gpuE7ELNS1_3repE0EEENS1_47radix_sort_onesweep_sort_config_static_selectorELNS0_4arch9wavefront6targetE0EEEvSG_
		.amdhsa_group_segment_fixed_size 0
		.amdhsa_private_segment_fixed_size 0
		.amdhsa_kernarg_size 88
		.amdhsa_user_sgpr_count 2
		.amdhsa_user_sgpr_dispatch_ptr 0
		.amdhsa_user_sgpr_queue_ptr 0
		.amdhsa_user_sgpr_kernarg_segment_ptr 1
		.amdhsa_user_sgpr_dispatch_id 0
		.amdhsa_user_sgpr_kernarg_preload_length 0
		.amdhsa_user_sgpr_kernarg_preload_offset 0
		.amdhsa_user_sgpr_private_segment_size 0
		.amdhsa_wavefront_size32 1
		.amdhsa_uses_dynamic_stack 0
		.amdhsa_enable_private_segment 0
		.amdhsa_system_sgpr_workgroup_id_x 1
		.amdhsa_system_sgpr_workgroup_id_y 0
		.amdhsa_system_sgpr_workgroup_id_z 0
		.amdhsa_system_sgpr_workgroup_info 0
		.amdhsa_system_vgpr_workitem_id 0
		.amdhsa_next_free_vgpr 1
		.amdhsa_next_free_sgpr 1
		.amdhsa_named_barrier_count 0
		.amdhsa_reserve_vcc 0
		.amdhsa_float_round_mode_32 0
		.amdhsa_float_round_mode_16_64 0
		.amdhsa_float_denorm_mode_32 3
		.amdhsa_float_denorm_mode_16_64 3
		.amdhsa_fp16_overflow 0
		.amdhsa_memory_ordered 1
		.amdhsa_forward_progress 1
		.amdhsa_inst_pref_size 0
		.amdhsa_round_robin_scheduling 0
		.amdhsa_exception_fp_ieee_invalid_op 0
		.amdhsa_exception_fp_denorm_src 0
		.amdhsa_exception_fp_ieee_div_zero 0
		.amdhsa_exception_fp_ieee_overflow 0
		.amdhsa_exception_fp_ieee_underflow 0
		.amdhsa_exception_fp_ieee_inexact 0
		.amdhsa_exception_int_div_zero 0
	.end_amdhsa_kernel
	.section	.text._ZN7rocprim17ROCPRIM_400000_NS6detail17trampoline_kernelINS0_14default_configENS1_35radix_sort_onesweep_config_selectorIlNS0_10empty_typeEEEZZNS1_29radix_sort_onesweep_iterationIS3_Lb0EPKlPlPS5_SB_mNS0_19identity_decomposerENS1_16block_id_wrapperIjLb0EEEEE10hipError_tT1_PNSt15iterator_traitsISG_E10value_typeET2_T3_PNSH_ISM_E10value_typeET4_T5_PSR_SS_PNS1_23onesweep_lookback_stateEbbT6_jjT7_P12ihipStream_tbENKUlT_T0_SG_SL_E_clIS9_SA_SB_SB_EEDaSZ_S10_SG_SL_EUlSZ_E_NS1_11comp_targetILNS1_3genE3ELNS1_11target_archE908ELNS1_3gpuE7ELNS1_3repE0EEENS1_47radix_sort_onesweep_sort_config_static_selectorELNS0_4arch9wavefront6targetE0EEEvSG_,"axG",@progbits,_ZN7rocprim17ROCPRIM_400000_NS6detail17trampoline_kernelINS0_14default_configENS1_35radix_sort_onesweep_config_selectorIlNS0_10empty_typeEEEZZNS1_29radix_sort_onesweep_iterationIS3_Lb0EPKlPlPS5_SB_mNS0_19identity_decomposerENS1_16block_id_wrapperIjLb0EEEEE10hipError_tT1_PNSt15iterator_traitsISG_E10value_typeET2_T3_PNSH_ISM_E10value_typeET4_T5_PSR_SS_PNS1_23onesweep_lookback_stateEbbT6_jjT7_P12ihipStream_tbENKUlT_T0_SG_SL_E_clIS9_SA_SB_SB_EEDaSZ_S10_SG_SL_EUlSZ_E_NS1_11comp_targetILNS1_3genE3ELNS1_11target_archE908ELNS1_3gpuE7ELNS1_3repE0EEENS1_47radix_sort_onesweep_sort_config_static_selectorELNS0_4arch9wavefront6targetE0EEEvSG_,comdat
.Lfunc_end1230:
	.size	_ZN7rocprim17ROCPRIM_400000_NS6detail17trampoline_kernelINS0_14default_configENS1_35radix_sort_onesweep_config_selectorIlNS0_10empty_typeEEEZZNS1_29radix_sort_onesweep_iterationIS3_Lb0EPKlPlPS5_SB_mNS0_19identity_decomposerENS1_16block_id_wrapperIjLb0EEEEE10hipError_tT1_PNSt15iterator_traitsISG_E10value_typeET2_T3_PNSH_ISM_E10value_typeET4_T5_PSR_SS_PNS1_23onesweep_lookback_stateEbbT6_jjT7_P12ihipStream_tbENKUlT_T0_SG_SL_E_clIS9_SA_SB_SB_EEDaSZ_S10_SG_SL_EUlSZ_E_NS1_11comp_targetILNS1_3genE3ELNS1_11target_archE908ELNS1_3gpuE7ELNS1_3repE0EEENS1_47radix_sort_onesweep_sort_config_static_selectorELNS0_4arch9wavefront6targetE0EEEvSG_, .Lfunc_end1230-_ZN7rocprim17ROCPRIM_400000_NS6detail17trampoline_kernelINS0_14default_configENS1_35radix_sort_onesweep_config_selectorIlNS0_10empty_typeEEEZZNS1_29radix_sort_onesweep_iterationIS3_Lb0EPKlPlPS5_SB_mNS0_19identity_decomposerENS1_16block_id_wrapperIjLb0EEEEE10hipError_tT1_PNSt15iterator_traitsISG_E10value_typeET2_T3_PNSH_ISM_E10value_typeET4_T5_PSR_SS_PNS1_23onesweep_lookback_stateEbbT6_jjT7_P12ihipStream_tbENKUlT_T0_SG_SL_E_clIS9_SA_SB_SB_EEDaSZ_S10_SG_SL_EUlSZ_E_NS1_11comp_targetILNS1_3genE3ELNS1_11target_archE908ELNS1_3gpuE7ELNS1_3repE0EEENS1_47radix_sort_onesweep_sort_config_static_selectorELNS0_4arch9wavefront6targetE0EEEvSG_
                                        ; -- End function
	.set _ZN7rocprim17ROCPRIM_400000_NS6detail17trampoline_kernelINS0_14default_configENS1_35radix_sort_onesweep_config_selectorIlNS0_10empty_typeEEEZZNS1_29radix_sort_onesweep_iterationIS3_Lb0EPKlPlPS5_SB_mNS0_19identity_decomposerENS1_16block_id_wrapperIjLb0EEEEE10hipError_tT1_PNSt15iterator_traitsISG_E10value_typeET2_T3_PNSH_ISM_E10value_typeET4_T5_PSR_SS_PNS1_23onesweep_lookback_stateEbbT6_jjT7_P12ihipStream_tbENKUlT_T0_SG_SL_E_clIS9_SA_SB_SB_EEDaSZ_S10_SG_SL_EUlSZ_E_NS1_11comp_targetILNS1_3genE3ELNS1_11target_archE908ELNS1_3gpuE7ELNS1_3repE0EEENS1_47radix_sort_onesweep_sort_config_static_selectorELNS0_4arch9wavefront6targetE0EEEvSG_.num_vgpr, 0
	.set _ZN7rocprim17ROCPRIM_400000_NS6detail17trampoline_kernelINS0_14default_configENS1_35radix_sort_onesweep_config_selectorIlNS0_10empty_typeEEEZZNS1_29radix_sort_onesweep_iterationIS3_Lb0EPKlPlPS5_SB_mNS0_19identity_decomposerENS1_16block_id_wrapperIjLb0EEEEE10hipError_tT1_PNSt15iterator_traitsISG_E10value_typeET2_T3_PNSH_ISM_E10value_typeET4_T5_PSR_SS_PNS1_23onesweep_lookback_stateEbbT6_jjT7_P12ihipStream_tbENKUlT_T0_SG_SL_E_clIS9_SA_SB_SB_EEDaSZ_S10_SG_SL_EUlSZ_E_NS1_11comp_targetILNS1_3genE3ELNS1_11target_archE908ELNS1_3gpuE7ELNS1_3repE0EEENS1_47radix_sort_onesweep_sort_config_static_selectorELNS0_4arch9wavefront6targetE0EEEvSG_.num_agpr, 0
	.set _ZN7rocprim17ROCPRIM_400000_NS6detail17trampoline_kernelINS0_14default_configENS1_35radix_sort_onesweep_config_selectorIlNS0_10empty_typeEEEZZNS1_29radix_sort_onesweep_iterationIS3_Lb0EPKlPlPS5_SB_mNS0_19identity_decomposerENS1_16block_id_wrapperIjLb0EEEEE10hipError_tT1_PNSt15iterator_traitsISG_E10value_typeET2_T3_PNSH_ISM_E10value_typeET4_T5_PSR_SS_PNS1_23onesweep_lookback_stateEbbT6_jjT7_P12ihipStream_tbENKUlT_T0_SG_SL_E_clIS9_SA_SB_SB_EEDaSZ_S10_SG_SL_EUlSZ_E_NS1_11comp_targetILNS1_3genE3ELNS1_11target_archE908ELNS1_3gpuE7ELNS1_3repE0EEENS1_47radix_sort_onesweep_sort_config_static_selectorELNS0_4arch9wavefront6targetE0EEEvSG_.numbered_sgpr, 0
	.set _ZN7rocprim17ROCPRIM_400000_NS6detail17trampoline_kernelINS0_14default_configENS1_35radix_sort_onesweep_config_selectorIlNS0_10empty_typeEEEZZNS1_29radix_sort_onesweep_iterationIS3_Lb0EPKlPlPS5_SB_mNS0_19identity_decomposerENS1_16block_id_wrapperIjLb0EEEEE10hipError_tT1_PNSt15iterator_traitsISG_E10value_typeET2_T3_PNSH_ISM_E10value_typeET4_T5_PSR_SS_PNS1_23onesweep_lookback_stateEbbT6_jjT7_P12ihipStream_tbENKUlT_T0_SG_SL_E_clIS9_SA_SB_SB_EEDaSZ_S10_SG_SL_EUlSZ_E_NS1_11comp_targetILNS1_3genE3ELNS1_11target_archE908ELNS1_3gpuE7ELNS1_3repE0EEENS1_47radix_sort_onesweep_sort_config_static_selectorELNS0_4arch9wavefront6targetE0EEEvSG_.num_named_barrier, 0
	.set _ZN7rocprim17ROCPRIM_400000_NS6detail17trampoline_kernelINS0_14default_configENS1_35radix_sort_onesweep_config_selectorIlNS0_10empty_typeEEEZZNS1_29radix_sort_onesweep_iterationIS3_Lb0EPKlPlPS5_SB_mNS0_19identity_decomposerENS1_16block_id_wrapperIjLb0EEEEE10hipError_tT1_PNSt15iterator_traitsISG_E10value_typeET2_T3_PNSH_ISM_E10value_typeET4_T5_PSR_SS_PNS1_23onesweep_lookback_stateEbbT6_jjT7_P12ihipStream_tbENKUlT_T0_SG_SL_E_clIS9_SA_SB_SB_EEDaSZ_S10_SG_SL_EUlSZ_E_NS1_11comp_targetILNS1_3genE3ELNS1_11target_archE908ELNS1_3gpuE7ELNS1_3repE0EEENS1_47radix_sort_onesweep_sort_config_static_selectorELNS0_4arch9wavefront6targetE0EEEvSG_.private_seg_size, 0
	.set _ZN7rocprim17ROCPRIM_400000_NS6detail17trampoline_kernelINS0_14default_configENS1_35radix_sort_onesweep_config_selectorIlNS0_10empty_typeEEEZZNS1_29radix_sort_onesweep_iterationIS3_Lb0EPKlPlPS5_SB_mNS0_19identity_decomposerENS1_16block_id_wrapperIjLb0EEEEE10hipError_tT1_PNSt15iterator_traitsISG_E10value_typeET2_T3_PNSH_ISM_E10value_typeET4_T5_PSR_SS_PNS1_23onesweep_lookback_stateEbbT6_jjT7_P12ihipStream_tbENKUlT_T0_SG_SL_E_clIS9_SA_SB_SB_EEDaSZ_S10_SG_SL_EUlSZ_E_NS1_11comp_targetILNS1_3genE3ELNS1_11target_archE908ELNS1_3gpuE7ELNS1_3repE0EEENS1_47radix_sort_onesweep_sort_config_static_selectorELNS0_4arch9wavefront6targetE0EEEvSG_.uses_vcc, 0
	.set _ZN7rocprim17ROCPRIM_400000_NS6detail17trampoline_kernelINS0_14default_configENS1_35radix_sort_onesweep_config_selectorIlNS0_10empty_typeEEEZZNS1_29radix_sort_onesweep_iterationIS3_Lb0EPKlPlPS5_SB_mNS0_19identity_decomposerENS1_16block_id_wrapperIjLb0EEEEE10hipError_tT1_PNSt15iterator_traitsISG_E10value_typeET2_T3_PNSH_ISM_E10value_typeET4_T5_PSR_SS_PNS1_23onesweep_lookback_stateEbbT6_jjT7_P12ihipStream_tbENKUlT_T0_SG_SL_E_clIS9_SA_SB_SB_EEDaSZ_S10_SG_SL_EUlSZ_E_NS1_11comp_targetILNS1_3genE3ELNS1_11target_archE908ELNS1_3gpuE7ELNS1_3repE0EEENS1_47radix_sort_onesweep_sort_config_static_selectorELNS0_4arch9wavefront6targetE0EEEvSG_.uses_flat_scratch, 0
	.set _ZN7rocprim17ROCPRIM_400000_NS6detail17trampoline_kernelINS0_14default_configENS1_35radix_sort_onesweep_config_selectorIlNS0_10empty_typeEEEZZNS1_29radix_sort_onesweep_iterationIS3_Lb0EPKlPlPS5_SB_mNS0_19identity_decomposerENS1_16block_id_wrapperIjLb0EEEEE10hipError_tT1_PNSt15iterator_traitsISG_E10value_typeET2_T3_PNSH_ISM_E10value_typeET4_T5_PSR_SS_PNS1_23onesweep_lookback_stateEbbT6_jjT7_P12ihipStream_tbENKUlT_T0_SG_SL_E_clIS9_SA_SB_SB_EEDaSZ_S10_SG_SL_EUlSZ_E_NS1_11comp_targetILNS1_3genE3ELNS1_11target_archE908ELNS1_3gpuE7ELNS1_3repE0EEENS1_47radix_sort_onesweep_sort_config_static_selectorELNS0_4arch9wavefront6targetE0EEEvSG_.has_dyn_sized_stack, 0
	.set _ZN7rocprim17ROCPRIM_400000_NS6detail17trampoline_kernelINS0_14default_configENS1_35radix_sort_onesweep_config_selectorIlNS0_10empty_typeEEEZZNS1_29radix_sort_onesweep_iterationIS3_Lb0EPKlPlPS5_SB_mNS0_19identity_decomposerENS1_16block_id_wrapperIjLb0EEEEE10hipError_tT1_PNSt15iterator_traitsISG_E10value_typeET2_T3_PNSH_ISM_E10value_typeET4_T5_PSR_SS_PNS1_23onesweep_lookback_stateEbbT6_jjT7_P12ihipStream_tbENKUlT_T0_SG_SL_E_clIS9_SA_SB_SB_EEDaSZ_S10_SG_SL_EUlSZ_E_NS1_11comp_targetILNS1_3genE3ELNS1_11target_archE908ELNS1_3gpuE7ELNS1_3repE0EEENS1_47radix_sort_onesweep_sort_config_static_selectorELNS0_4arch9wavefront6targetE0EEEvSG_.has_recursion, 0
	.set _ZN7rocprim17ROCPRIM_400000_NS6detail17trampoline_kernelINS0_14default_configENS1_35radix_sort_onesweep_config_selectorIlNS0_10empty_typeEEEZZNS1_29radix_sort_onesweep_iterationIS3_Lb0EPKlPlPS5_SB_mNS0_19identity_decomposerENS1_16block_id_wrapperIjLb0EEEEE10hipError_tT1_PNSt15iterator_traitsISG_E10value_typeET2_T3_PNSH_ISM_E10value_typeET4_T5_PSR_SS_PNS1_23onesweep_lookback_stateEbbT6_jjT7_P12ihipStream_tbENKUlT_T0_SG_SL_E_clIS9_SA_SB_SB_EEDaSZ_S10_SG_SL_EUlSZ_E_NS1_11comp_targetILNS1_3genE3ELNS1_11target_archE908ELNS1_3gpuE7ELNS1_3repE0EEENS1_47radix_sort_onesweep_sort_config_static_selectorELNS0_4arch9wavefront6targetE0EEEvSG_.has_indirect_call, 0
	.section	.AMDGPU.csdata,"",@progbits
; Kernel info:
; codeLenInByte = 0
; TotalNumSgprs: 0
; NumVgprs: 0
; ScratchSize: 0
; MemoryBound: 0
; FloatMode: 240
; IeeeMode: 1
; LDSByteSize: 0 bytes/workgroup (compile time only)
; SGPRBlocks: 0
; VGPRBlocks: 0
; NumSGPRsForWavesPerEU: 1
; NumVGPRsForWavesPerEU: 1
; NamedBarCnt: 0
; Occupancy: 16
; WaveLimiterHint : 0
; COMPUTE_PGM_RSRC2:SCRATCH_EN: 0
; COMPUTE_PGM_RSRC2:USER_SGPR: 2
; COMPUTE_PGM_RSRC2:TRAP_HANDLER: 0
; COMPUTE_PGM_RSRC2:TGID_X_EN: 1
; COMPUTE_PGM_RSRC2:TGID_Y_EN: 0
; COMPUTE_PGM_RSRC2:TGID_Z_EN: 0
; COMPUTE_PGM_RSRC2:TIDIG_COMP_CNT: 0
	.section	.text._ZN7rocprim17ROCPRIM_400000_NS6detail17trampoline_kernelINS0_14default_configENS1_35radix_sort_onesweep_config_selectorIlNS0_10empty_typeEEEZZNS1_29radix_sort_onesweep_iterationIS3_Lb0EPKlPlPS5_SB_mNS0_19identity_decomposerENS1_16block_id_wrapperIjLb0EEEEE10hipError_tT1_PNSt15iterator_traitsISG_E10value_typeET2_T3_PNSH_ISM_E10value_typeET4_T5_PSR_SS_PNS1_23onesweep_lookback_stateEbbT6_jjT7_P12ihipStream_tbENKUlT_T0_SG_SL_E_clIS9_SA_SB_SB_EEDaSZ_S10_SG_SL_EUlSZ_E_NS1_11comp_targetILNS1_3genE10ELNS1_11target_archE1201ELNS1_3gpuE5ELNS1_3repE0EEENS1_47radix_sort_onesweep_sort_config_static_selectorELNS0_4arch9wavefront6targetE0EEEvSG_,"axG",@progbits,_ZN7rocprim17ROCPRIM_400000_NS6detail17trampoline_kernelINS0_14default_configENS1_35radix_sort_onesweep_config_selectorIlNS0_10empty_typeEEEZZNS1_29radix_sort_onesweep_iterationIS3_Lb0EPKlPlPS5_SB_mNS0_19identity_decomposerENS1_16block_id_wrapperIjLb0EEEEE10hipError_tT1_PNSt15iterator_traitsISG_E10value_typeET2_T3_PNSH_ISM_E10value_typeET4_T5_PSR_SS_PNS1_23onesweep_lookback_stateEbbT6_jjT7_P12ihipStream_tbENKUlT_T0_SG_SL_E_clIS9_SA_SB_SB_EEDaSZ_S10_SG_SL_EUlSZ_E_NS1_11comp_targetILNS1_3genE10ELNS1_11target_archE1201ELNS1_3gpuE5ELNS1_3repE0EEENS1_47radix_sort_onesweep_sort_config_static_selectorELNS0_4arch9wavefront6targetE0EEEvSG_,comdat
	.protected	_ZN7rocprim17ROCPRIM_400000_NS6detail17trampoline_kernelINS0_14default_configENS1_35radix_sort_onesweep_config_selectorIlNS0_10empty_typeEEEZZNS1_29radix_sort_onesweep_iterationIS3_Lb0EPKlPlPS5_SB_mNS0_19identity_decomposerENS1_16block_id_wrapperIjLb0EEEEE10hipError_tT1_PNSt15iterator_traitsISG_E10value_typeET2_T3_PNSH_ISM_E10value_typeET4_T5_PSR_SS_PNS1_23onesweep_lookback_stateEbbT6_jjT7_P12ihipStream_tbENKUlT_T0_SG_SL_E_clIS9_SA_SB_SB_EEDaSZ_S10_SG_SL_EUlSZ_E_NS1_11comp_targetILNS1_3genE10ELNS1_11target_archE1201ELNS1_3gpuE5ELNS1_3repE0EEENS1_47radix_sort_onesweep_sort_config_static_selectorELNS0_4arch9wavefront6targetE0EEEvSG_ ; -- Begin function _ZN7rocprim17ROCPRIM_400000_NS6detail17trampoline_kernelINS0_14default_configENS1_35radix_sort_onesweep_config_selectorIlNS0_10empty_typeEEEZZNS1_29radix_sort_onesweep_iterationIS3_Lb0EPKlPlPS5_SB_mNS0_19identity_decomposerENS1_16block_id_wrapperIjLb0EEEEE10hipError_tT1_PNSt15iterator_traitsISG_E10value_typeET2_T3_PNSH_ISM_E10value_typeET4_T5_PSR_SS_PNS1_23onesweep_lookback_stateEbbT6_jjT7_P12ihipStream_tbENKUlT_T0_SG_SL_E_clIS9_SA_SB_SB_EEDaSZ_S10_SG_SL_EUlSZ_E_NS1_11comp_targetILNS1_3genE10ELNS1_11target_archE1201ELNS1_3gpuE5ELNS1_3repE0EEENS1_47radix_sort_onesweep_sort_config_static_selectorELNS0_4arch9wavefront6targetE0EEEvSG_
	.globl	_ZN7rocprim17ROCPRIM_400000_NS6detail17trampoline_kernelINS0_14default_configENS1_35radix_sort_onesweep_config_selectorIlNS0_10empty_typeEEEZZNS1_29radix_sort_onesweep_iterationIS3_Lb0EPKlPlPS5_SB_mNS0_19identity_decomposerENS1_16block_id_wrapperIjLb0EEEEE10hipError_tT1_PNSt15iterator_traitsISG_E10value_typeET2_T3_PNSH_ISM_E10value_typeET4_T5_PSR_SS_PNS1_23onesweep_lookback_stateEbbT6_jjT7_P12ihipStream_tbENKUlT_T0_SG_SL_E_clIS9_SA_SB_SB_EEDaSZ_S10_SG_SL_EUlSZ_E_NS1_11comp_targetILNS1_3genE10ELNS1_11target_archE1201ELNS1_3gpuE5ELNS1_3repE0EEENS1_47radix_sort_onesweep_sort_config_static_selectorELNS0_4arch9wavefront6targetE0EEEvSG_
	.p2align	8
	.type	_ZN7rocprim17ROCPRIM_400000_NS6detail17trampoline_kernelINS0_14default_configENS1_35radix_sort_onesweep_config_selectorIlNS0_10empty_typeEEEZZNS1_29radix_sort_onesweep_iterationIS3_Lb0EPKlPlPS5_SB_mNS0_19identity_decomposerENS1_16block_id_wrapperIjLb0EEEEE10hipError_tT1_PNSt15iterator_traitsISG_E10value_typeET2_T3_PNSH_ISM_E10value_typeET4_T5_PSR_SS_PNS1_23onesweep_lookback_stateEbbT6_jjT7_P12ihipStream_tbENKUlT_T0_SG_SL_E_clIS9_SA_SB_SB_EEDaSZ_S10_SG_SL_EUlSZ_E_NS1_11comp_targetILNS1_3genE10ELNS1_11target_archE1201ELNS1_3gpuE5ELNS1_3repE0EEENS1_47radix_sort_onesweep_sort_config_static_selectorELNS0_4arch9wavefront6targetE0EEEvSG_,@function
_ZN7rocprim17ROCPRIM_400000_NS6detail17trampoline_kernelINS0_14default_configENS1_35radix_sort_onesweep_config_selectorIlNS0_10empty_typeEEEZZNS1_29radix_sort_onesweep_iterationIS3_Lb0EPKlPlPS5_SB_mNS0_19identity_decomposerENS1_16block_id_wrapperIjLb0EEEEE10hipError_tT1_PNSt15iterator_traitsISG_E10value_typeET2_T3_PNSH_ISM_E10value_typeET4_T5_PSR_SS_PNS1_23onesweep_lookback_stateEbbT6_jjT7_P12ihipStream_tbENKUlT_T0_SG_SL_E_clIS9_SA_SB_SB_EEDaSZ_S10_SG_SL_EUlSZ_E_NS1_11comp_targetILNS1_3genE10ELNS1_11target_archE1201ELNS1_3gpuE5ELNS1_3repE0EEENS1_47radix_sort_onesweep_sort_config_static_selectorELNS0_4arch9wavefront6targetE0EEEvSG_: ; @_ZN7rocprim17ROCPRIM_400000_NS6detail17trampoline_kernelINS0_14default_configENS1_35radix_sort_onesweep_config_selectorIlNS0_10empty_typeEEEZZNS1_29radix_sort_onesweep_iterationIS3_Lb0EPKlPlPS5_SB_mNS0_19identity_decomposerENS1_16block_id_wrapperIjLb0EEEEE10hipError_tT1_PNSt15iterator_traitsISG_E10value_typeET2_T3_PNSH_ISM_E10value_typeET4_T5_PSR_SS_PNS1_23onesweep_lookback_stateEbbT6_jjT7_P12ihipStream_tbENKUlT_T0_SG_SL_E_clIS9_SA_SB_SB_EEDaSZ_S10_SG_SL_EUlSZ_E_NS1_11comp_targetILNS1_3genE10ELNS1_11target_archE1201ELNS1_3gpuE5ELNS1_3repE0EEENS1_47radix_sort_onesweep_sort_config_static_selectorELNS0_4arch9wavefront6targetE0EEEvSG_
; %bb.0:
	.section	.rodata,"a",@progbits
	.p2align	6, 0x0
	.amdhsa_kernel _ZN7rocprim17ROCPRIM_400000_NS6detail17trampoline_kernelINS0_14default_configENS1_35radix_sort_onesweep_config_selectorIlNS0_10empty_typeEEEZZNS1_29radix_sort_onesweep_iterationIS3_Lb0EPKlPlPS5_SB_mNS0_19identity_decomposerENS1_16block_id_wrapperIjLb0EEEEE10hipError_tT1_PNSt15iterator_traitsISG_E10value_typeET2_T3_PNSH_ISM_E10value_typeET4_T5_PSR_SS_PNS1_23onesweep_lookback_stateEbbT6_jjT7_P12ihipStream_tbENKUlT_T0_SG_SL_E_clIS9_SA_SB_SB_EEDaSZ_S10_SG_SL_EUlSZ_E_NS1_11comp_targetILNS1_3genE10ELNS1_11target_archE1201ELNS1_3gpuE5ELNS1_3repE0EEENS1_47radix_sort_onesweep_sort_config_static_selectorELNS0_4arch9wavefront6targetE0EEEvSG_
		.amdhsa_group_segment_fixed_size 0
		.amdhsa_private_segment_fixed_size 0
		.amdhsa_kernarg_size 88
		.amdhsa_user_sgpr_count 2
		.amdhsa_user_sgpr_dispatch_ptr 0
		.amdhsa_user_sgpr_queue_ptr 0
		.amdhsa_user_sgpr_kernarg_segment_ptr 1
		.amdhsa_user_sgpr_dispatch_id 0
		.amdhsa_user_sgpr_kernarg_preload_length 0
		.amdhsa_user_sgpr_kernarg_preload_offset 0
		.amdhsa_user_sgpr_private_segment_size 0
		.amdhsa_wavefront_size32 1
		.amdhsa_uses_dynamic_stack 0
		.amdhsa_enable_private_segment 0
		.amdhsa_system_sgpr_workgroup_id_x 1
		.amdhsa_system_sgpr_workgroup_id_y 0
		.amdhsa_system_sgpr_workgroup_id_z 0
		.amdhsa_system_sgpr_workgroup_info 0
		.amdhsa_system_vgpr_workitem_id 0
		.amdhsa_next_free_vgpr 1
		.amdhsa_next_free_sgpr 1
		.amdhsa_named_barrier_count 0
		.amdhsa_reserve_vcc 0
		.amdhsa_float_round_mode_32 0
		.amdhsa_float_round_mode_16_64 0
		.amdhsa_float_denorm_mode_32 3
		.amdhsa_float_denorm_mode_16_64 3
		.amdhsa_fp16_overflow 0
		.amdhsa_memory_ordered 1
		.amdhsa_forward_progress 1
		.amdhsa_inst_pref_size 0
		.amdhsa_round_robin_scheduling 0
		.amdhsa_exception_fp_ieee_invalid_op 0
		.amdhsa_exception_fp_denorm_src 0
		.amdhsa_exception_fp_ieee_div_zero 0
		.amdhsa_exception_fp_ieee_overflow 0
		.amdhsa_exception_fp_ieee_underflow 0
		.amdhsa_exception_fp_ieee_inexact 0
		.amdhsa_exception_int_div_zero 0
	.end_amdhsa_kernel
	.section	.text._ZN7rocprim17ROCPRIM_400000_NS6detail17trampoline_kernelINS0_14default_configENS1_35radix_sort_onesweep_config_selectorIlNS0_10empty_typeEEEZZNS1_29radix_sort_onesweep_iterationIS3_Lb0EPKlPlPS5_SB_mNS0_19identity_decomposerENS1_16block_id_wrapperIjLb0EEEEE10hipError_tT1_PNSt15iterator_traitsISG_E10value_typeET2_T3_PNSH_ISM_E10value_typeET4_T5_PSR_SS_PNS1_23onesweep_lookback_stateEbbT6_jjT7_P12ihipStream_tbENKUlT_T0_SG_SL_E_clIS9_SA_SB_SB_EEDaSZ_S10_SG_SL_EUlSZ_E_NS1_11comp_targetILNS1_3genE10ELNS1_11target_archE1201ELNS1_3gpuE5ELNS1_3repE0EEENS1_47radix_sort_onesweep_sort_config_static_selectorELNS0_4arch9wavefront6targetE0EEEvSG_,"axG",@progbits,_ZN7rocprim17ROCPRIM_400000_NS6detail17trampoline_kernelINS0_14default_configENS1_35radix_sort_onesweep_config_selectorIlNS0_10empty_typeEEEZZNS1_29radix_sort_onesweep_iterationIS3_Lb0EPKlPlPS5_SB_mNS0_19identity_decomposerENS1_16block_id_wrapperIjLb0EEEEE10hipError_tT1_PNSt15iterator_traitsISG_E10value_typeET2_T3_PNSH_ISM_E10value_typeET4_T5_PSR_SS_PNS1_23onesweep_lookback_stateEbbT6_jjT7_P12ihipStream_tbENKUlT_T0_SG_SL_E_clIS9_SA_SB_SB_EEDaSZ_S10_SG_SL_EUlSZ_E_NS1_11comp_targetILNS1_3genE10ELNS1_11target_archE1201ELNS1_3gpuE5ELNS1_3repE0EEENS1_47radix_sort_onesweep_sort_config_static_selectorELNS0_4arch9wavefront6targetE0EEEvSG_,comdat
.Lfunc_end1231:
	.size	_ZN7rocprim17ROCPRIM_400000_NS6detail17trampoline_kernelINS0_14default_configENS1_35radix_sort_onesweep_config_selectorIlNS0_10empty_typeEEEZZNS1_29radix_sort_onesweep_iterationIS3_Lb0EPKlPlPS5_SB_mNS0_19identity_decomposerENS1_16block_id_wrapperIjLb0EEEEE10hipError_tT1_PNSt15iterator_traitsISG_E10value_typeET2_T3_PNSH_ISM_E10value_typeET4_T5_PSR_SS_PNS1_23onesweep_lookback_stateEbbT6_jjT7_P12ihipStream_tbENKUlT_T0_SG_SL_E_clIS9_SA_SB_SB_EEDaSZ_S10_SG_SL_EUlSZ_E_NS1_11comp_targetILNS1_3genE10ELNS1_11target_archE1201ELNS1_3gpuE5ELNS1_3repE0EEENS1_47radix_sort_onesweep_sort_config_static_selectorELNS0_4arch9wavefront6targetE0EEEvSG_, .Lfunc_end1231-_ZN7rocprim17ROCPRIM_400000_NS6detail17trampoline_kernelINS0_14default_configENS1_35radix_sort_onesweep_config_selectorIlNS0_10empty_typeEEEZZNS1_29radix_sort_onesweep_iterationIS3_Lb0EPKlPlPS5_SB_mNS0_19identity_decomposerENS1_16block_id_wrapperIjLb0EEEEE10hipError_tT1_PNSt15iterator_traitsISG_E10value_typeET2_T3_PNSH_ISM_E10value_typeET4_T5_PSR_SS_PNS1_23onesweep_lookback_stateEbbT6_jjT7_P12ihipStream_tbENKUlT_T0_SG_SL_E_clIS9_SA_SB_SB_EEDaSZ_S10_SG_SL_EUlSZ_E_NS1_11comp_targetILNS1_3genE10ELNS1_11target_archE1201ELNS1_3gpuE5ELNS1_3repE0EEENS1_47radix_sort_onesweep_sort_config_static_selectorELNS0_4arch9wavefront6targetE0EEEvSG_
                                        ; -- End function
	.set _ZN7rocprim17ROCPRIM_400000_NS6detail17trampoline_kernelINS0_14default_configENS1_35radix_sort_onesweep_config_selectorIlNS0_10empty_typeEEEZZNS1_29radix_sort_onesweep_iterationIS3_Lb0EPKlPlPS5_SB_mNS0_19identity_decomposerENS1_16block_id_wrapperIjLb0EEEEE10hipError_tT1_PNSt15iterator_traitsISG_E10value_typeET2_T3_PNSH_ISM_E10value_typeET4_T5_PSR_SS_PNS1_23onesweep_lookback_stateEbbT6_jjT7_P12ihipStream_tbENKUlT_T0_SG_SL_E_clIS9_SA_SB_SB_EEDaSZ_S10_SG_SL_EUlSZ_E_NS1_11comp_targetILNS1_3genE10ELNS1_11target_archE1201ELNS1_3gpuE5ELNS1_3repE0EEENS1_47radix_sort_onesweep_sort_config_static_selectorELNS0_4arch9wavefront6targetE0EEEvSG_.num_vgpr, 0
	.set _ZN7rocprim17ROCPRIM_400000_NS6detail17trampoline_kernelINS0_14default_configENS1_35radix_sort_onesweep_config_selectorIlNS0_10empty_typeEEEZZNS1_29radix_sort_onesweep_iterationIS3_Lb0EPKlPlPS5_SB_mNS0_19identity_decomposerENS1_16block_id_wrapperIjLb0EEEEE10hipError_tT1_PNSt15iterator_traitsISG_E10value_typeET2_T3_PNSH_ISM_E10value_typeET4_T5_PSR_SS_PNS1_23onesweep_lookback_stateEbbT6_jjT7_P12ihipStream_tbENKUlT_T0_SG_SL_E_clIS9_SA_SB_SB_EEDaSZ_S10_SG_SL_EUlSZ_E_NS1_11comp_targetILNS1_3genE10ELNS1_11target_archE1201ELNS1_3gpuE5ELNS1_3repE0EEENS1_47radix_sort_onesweep_sort_config_static_selectorELNS0_4arch9wavefront6targetE0EEEvSG_.num_agpr, 0
	.set _ZN7rocprim17ROCPRIM_400000_NS6detail17trampoline_kernelINS0_14default_configENS1_35radix_sort_onesweep_config_selectorIlNS0_10empty_typeEEEZZNS1_29radix_sort_onesweep_iterationIS3_Lb0EPKlPlPS5_SB_mNS0_19identity_decomposerENS1_16block_id_wrapperIjLb0EEEEE10hipError_tT1_PNSt15iterator_traitsISG_E10value_typeET2_T3_PNSH_ISM_E10value_typeET4_T5_PSR_SS_PNS1_23onesweep_lookback_stateEbbT6_jjT7_P12ihipStream_tbENKUlT_T0_SG_SL_E_clIS9_SA_SB_SB_EEDaSZ_S10_SG_SL_EUlSZ_E_NS1_11comp_targetILNS1_3genE10ELNS1_11target_archE1201ELNS1_3gpuE5ELNS1_3repE0EEENS1_47radix_sort_onesweep_sort_config_static_selectorELNS0_4arch9wavefront6targetE0EEEvSG_.numbered_sgpr, 0
	.set _ZN7rocprim17ROCPRIM_400000_NS6detail17trampoline_kernelINS0_14default_configENS1_35radix_sort_onesweep_config_selectorIlNS0_10empty_typeEEEZZNS1_29radix_sort_onesweep_iterationIS3_Lb0EPKlPlPS5_SB_mNS0_19identity_decomposerENS1_16block_id_wrapperIjLb0EEEEE10hipError_tT1_PNSt15iterator_traitsISG_E10value_typeET2_T3_PNSH_ISM_E10value_typeET4_T5_PSR_SS_PNS1_23onesweep_lookback_stateEbbT6_jjT7_P12ihipStream_tbENKUlT_T0_SG_SL_E_clIS9_SA_SB_SB_EEDaSZ_S10_SG_SL_EUlSZ_E_NS1_11comp_targetILNS1_3genE10ELNS1_11target_archE1201ELNS1_3gpuE5ELNS1_3repE0EEENS1_47radix_sort_onesweep_sort_config_static_selectorELNS0_4arch9wavefront6targetE0EEEvSG_.num_named_barrier, 0
	.set _ZN7rocprim17ROCPRIM_400000_NS6detail17trampoline_kernelINS0_14default_configENS1_35radix_sort_onesweep_config_selectorIlNS0_10empty_typeEEEZZNS1_29radix_sort_onesweep_iterationIS3_Lb0EPKlPlPS5_SB_mNS0_19identity_decomposerENS1_16block_id_wrapperIjLb0EEEEE10hipError_tT1_PNSt15iterator_traitsISG_E10value_typeET2_T3_PNSH_ISM_E10value_typeET4_T5_PSR_SS_PNS1_23onesweep_lookback_stateEbbT6_jjT7_P12ihipStream_tbENKUlT_T0_SG_SL_E_clIS9_SA_SB_SB_EEDaSZ_S10_SG_SL_EUlSZ_E_NS1_11comp_targetILNS1_3genE10ELNS1_11target_archE1201ELNS1_3gpuE5ELNS1_3repE0EEENS1_47radix_sort_onesweep_sort_config_static_selectorELNS0_4arch9wavefront6targetE0EEEvSG_.private_seg_size, 0
	.set _ZN7rocprim17ROCPRIM_400000_NS6detail17trampoline_kernelINS0_14default_configENS1_35radix_sort_onesweep_config_selectorIlNS0_10empty_typeEEEZZNS1_29radix_sort_onesweep_iterationIS3_Lb0EPKlPlPS5_SB_mNS0_19identity_decomposerENS1_16block_id_wrapperIjLb0EEEEE10hipError_tT1_PNSt15iterator_traitsISG_E10value_typeET2_T3_PNSH_ISM_E10value_typeET4_T5_PSR_SS_PNS1_23onesweep_lookback_stateEbbT6_jjT7_P12ihipStream_tbENKUlT_T0_SG_SL_E_clIS9_SA_SB_SB_EEDaSZ_S10_SG_SL_EUlSZ_E_NS1_11comp_targetILNS1_3genE10ELNS1_11target_archE1201ELNS1_3gpuE5ELNS1_3repE0EEENS1_47radix_sort_onesweep_sort_config_static_selectorELNS0_4arch9wavefront6targetE0EEEvSG_.uses_vcc, 0
	.set _ZN7rocprim17ROCPRIM_400000_NS6detail17trampoline_kernelINS0_14default_configENS1_35radix_sort_onesweep_config_selectorIlNS0_10empty_typeEEEZZNS1_29radix_sort_onesweep_iterationIS3_Lb0EPKlPlPS5_SB_mNS0_19identity_decomposerENS1_16block_id_wrapperIjLb0EEEEE10hipError_tT1_PNSt15iterator_traitsISG_E10value_typeET2_T3_PNSH_ISM_E10value_typeET4_T5_PSR_SS_PNS1_23onesweep_lookback_stateEbbT6_jjT7_P12ihipStream_tbENKUlT_T0_SG_SL_E_clIS9_SA_SB_SB_EEDaSZ_S10_SG_SL_EUlSZ_E_NS1_11comp_targetILNS1_3genE10ELNS1_11target_archE1201ELNS1_3gpuE5ELNS1_3repE0EEENS1_47radix_sort_onesweep_sort_config_static_selectorELNS0_4arch9wavefront6targetE0EEEvSG_.uses_flat_scratch, 0
	.set _ZN7rocprim17ROCPRIM_400000_NS6detail17trampoline_kernelINS0_14default_configENS1_35radix_sort_onesweep_config_selectorIlNS0_10empty_typeEEEZZNS1_29radix_sort_onesweep_iterationIS3_Lb0EPKlPlPS5_SB_mNS0_19identity_decomposerENS1_16block_id_wrapperIjLb0EEEEE10hipError_tT1_PNSt15iterator_traitsISG_E10value_typeET2_T3_PNSH_ISM_E10value_typeET4_T5_PSR_SS_PNS1_23onesweep_lookback_stateEbbT6_jjT7_P12ihipStream_tbENKUlT_T0_SG_SL_E_clIS9_SA_SB_SB_EEDaSZ_S10_SG_SL_EUlSZ_E_NS1_11comp_targetILNS1_3genE10ELNS1_11target_archE1201ELNS1_3gpuE5ELNS1_3repE0EEENS1_47radix_sort_onesweep_sort_config_static_selectorELNS0_4arch9wavefront6targetE0EEEvSG_.has_dyn_sized_stack, 0
	.set _ZN7rocprim17ROCPRIM_400000_NS6detail17trampoline_kernelINS0_14default_configENS1_35radix_sort_onesweep_config_selectorIlNS0_10empty_typeEEEZZNS1_29radix_sort_onesweep_iterationIS3_Lb0EPKlPlPS5_SB_mNS0_19identity_decomposerENS1_16block_id_wrapperIjLb0EEEEE10hipError_tT1_PNSt15iterator_traitsISG_E10value_typeET2_T3_PNSH_ISM_E10value_typeET4_T5_PSR_SS_PNS1_23onesweep_lookback_stateEbbT6_jjT7_P12ihipStream_tbENKUlT_T0_SG_SL_E_clIS9_SA_SB_SB_EEDaSZ_S10_SG_SL_EUlSZ_E_NS1_11comp_targetILNS1_3genE10ELNS1_11target_archE1201ELNS1_3gpuE5ELNS1_3repE0EEENS1_47radix_sort_onesweep_sort_config_static_selectorELNS0_4arch9wavefront6targetE0EEEvSG_.has_recursion, 0
	.set _ZN7rocprim17ROCPRIM_400000_NS6detail17trampoline_kernelINS0_14default_configENS1_35radix_sort_onesweep_config_selectorIlNS0_10empty_typeEEEZZNS1_29radix_sort_onesweep_iterationIS3_Lb0EPKlPlPS5_SB_mNS0_19identity_decomposerENS1_16block_id_wrapperIjLb0EEEEE10hipError_tT1_PNSt15iterator_traitsISG_E10value_typeET2_T3_PNSH_ISM_E10value_typeET4_T5_PSR_SS_PNS1_23onesweep_lookback_stateEbbT6_jjT7_P12ihipStream_tbENKUlT_T0_SG_SL_E_clIS9_SA_SB_SB_EEDaSZ_S10_SG_SL_EUlSZ_E_NS1_11comp_targetILNS1_3genE10ELNS1_11target_archE1201ELNS1_3gpuE5ELNS1_3repE0EEENS1_47radix_sort_onesweep_sort_config_static_selectorELNS0_4arch9wavefront6targetE0EEEvSG_.has_indirect_call, 0
	.section	.AMDGPU.csdata,"",@progbits
; Kernel info:
; codeLenInByte = 0
; TotalNumSgprs: 0
; NumVgprs: 0
; ScratchSize: 0
; MemoryBound: 0
; FloatMode: 240
; IeeeMode: 1
; LDSByteSize: 0 bytes/workgroup (compile time only)
; SGPRBlocks: 0
; VGPRBlocks: 0
; NumSGPRsForWavesPerEU: 1
; NumVGPRsForWavesPerEU: 1
; NamedBarCnt: 0
; Occupancy: 16
; WaveLimiterHint : 0
; COMPUTE_PGM_RSRC2:SCRATCH_EN: 0
; COMPUTE_PGM_RSRC2:USER_SGPR: 2
; COMPUTE_PGM_RSRC2:TRAP_HANDLER: 0
; COMPUTE_PGM_RSRC2:TGID_X_EN: 1
; COMPUTE_PGM_RSRC2:TGID_Y_EN: 0
; COMPUTE_PGM_RSRC2:TGID_Z_EN: 0
; COMPUTE_PGM_RSRC2:TIDIG_COMP_CNT: 0
	.section	.text._ZN7rocprim17ROCPRIM_400000_NS6detail17trampoline_kernelINS0_14default_configENS1_35radix_sort_onesweep_config_selectorIlNS0_10empty_typeEEEZZNS1_29radix_sort_onesweep_iterationIS3_Lb0EPKlPlPS5_SB_mNS0_19identity_decomposerENS1_16block_id_wrapperIjLb0EEEEE10hipError_tT1_PNSt15iterator_traitsISG_E10value_typeET2_T3_PNSH_ISM_E10value_typeET4_T5_PSR_SS_PNS1_23onesweep_lookback_stateEbbT6_jjT7_P12ihipStream_tbENKUlT_T0_SG_SL_E_clIS9_SA_SB_SB_EEDaSZ_S10_SG_SL_EUlSZ_E_NS1_11comp_targetILNS1_3genE9ELNS1_11target_archE1100ELNS1_3gpuE3ELNS1_3repE0EEENS1_47radix_sort_onesweep_sort_config_static_selectorELNS0_4arch9wavefront6targetE0EEEvSG_,"axG",@progbits,_ZN7rocprim17ROCPRIM_400000_NS6detail17trampoline_kernelINS0_14default_configENS1_35radix_sort_onesweep_config_selectorIlNS0_10empty_typeEEEZZNS1_29radix_sort_onesweep_iterationIS3_Lb0EPKlPlPS5_SB_mNS0_19identity_decomposerENS1_16block_id_wrapperIjLb0EEEEE10hipError_tT1_PNSt15iterator_traitsISG_E10value_typeET2_T3_PNSH_ISM_E10value_typeET4_T5_PSR_SS_PNS1_23onesweep_lookback_stateEbbT6_jjT7_P12ihipStream_tbENKUlT_T0_SG_SL_E_clIS9_SA_SB_SB_EEDaSZ_S10_SG_SL_EUlSZ_E_NS1_11comp_targetILNS1_3genE9ELNS1_11target_archE1100ELNS1_3gpuE3ELNS1_3repE0EEENS1_47radix_sort_onesweep_sort_config_static_selectorELNS0_4arch9wavefront6targetE0EEEvSG_,comdat
	.protected	_ZN7rocprim17ROCPRIM_400000_NS6detail17trampoline_kernelINS0_14default_configENS1_35radix_sort_onesweep_config_selectorIlNS0_10empty_typeEEEZZNS1_29radix_sort_onesweep_iterationIS3_Lb0EPKlPlPS5_SB_mNS0_19identity_decomposerENS1_16block_id_wrapperIjLb0EEEEE10hipError_tT1_PNSt15iterator_traitsISG_E10value_typeET2_T3_PNSH_ISM_E10value_typeET4_T5_PSR_SS_PNS1_23onesweep_lookback_stateEbbT6_jjT7_P12ihipStream_tbENKUlT_T0_SG_SL_E_clIS9_SA_SB_SB_EEDaSZ_S10_SG_SL_EUlSZ_E_NS1_11comp_targetILNS1_3genE9ELNS1_11target_archE1100ELNS1_3gpuE3ELNS1_3repE0EEENS1_47radix_sort_onesweep_sort_config_static_selectorELNS0_4arch9wavefront6targetE0EEEvSG_ ; -- Begin function _ZN7rocprim17ROCPRIM_400000_NS6detail17trampoline_kernelINS0_14default_configENS1_35radix_sort_onesweep_config_selectorIlNS0_10empty_typeEEEZZNS1_29radix_sort_onesweep_iterationIS3_Lb0EPKlPlPS5_SB_mNS0_19identity_decomposerENS1_16block_id_wrapperIjLb0EEEEE10hipError_tT1_PNSt15iterator_traitsISG_E10value_typeET2_T3_PNSH_ISM_E10value_typeET4_T5_PSR_SS_PNS1_23onesweep_lookback_stateEbbT6_jjT7_P12ihipStream_tbENKUlT_T0_SG_SL_E_clIS9_SA_SB_SB_EEDaSZ_S10_SG_SL_EUlSZ_E_NS1_11comp_targetILNS1_3genE9ELNS1_11target_archE1100ELNS1_3gpuE3ELNS1_3repE0EEENS1_47radix_sort_onesweep_sort_config_static_selectorELNS0_4arch9wavefront6targetE0EEEvSG_
	.globl	_ZN7rocprim17ROCPRIM_400000_NS6detail17trampoline_kernelINS0_14default_configENS1_35radix_sort_onesweep_config_selectorIlNS0_10empty_typeEEEZZNS1_29radix_sort_onesweep_iterationIS3_Lb0EPKlPlPS5_SB_mNS0_19identity_decomposerENS1_16block_id_wrapperIjLb0EEEEE10hipError_tT1_PNSt15iterator_traitsISG_E10value_typeET2_T3_PNSH_ISM_E10value_typeET4_T5_PSR_SS_PNS1_23onesweep_lookback_stateEbbT6_jjT7_P12ihipStream_tbENKUlT_T0_SG_SL_E_clIS9_SA_SB_SB_EEDaSZ_S10_SG_SL_EUlSZ_E_NS1_11comp_targetILNS1_3genE9ELNS1_11target_archE1100ELNS1_3gpuE3ELNS1_3repE0EEENS1_47radix_sort_onesweep_sort_config_static_selectorELNS0_4arch9wavefront6targetE0EEEvSG_
	.p2align	8
	.type	_ZN7rocprim17ROCPRIM_400000_NS6detail17trampoline_kernelINS0_14default_configENS1_35radix_sort_onesweep_config_selectorIlNS0_10empty_typeEEEZZNS1_29radix_sort_onesweep_iterationIS3_Lb0EPKlPlPS5_SB_mNS0_19identity_decomposerENS1_16block_id_wrapperIjLb0EEEEE10hipError_tT1_PNSt15iterator_traitsISG_E10value_typeET2_T3_PNSH_ISM_E10value_typeET4_T5_PSR_SS_PNS1_23onesweep_lookback_stateEbbT6_jjT7_P12ihipStream_tbENKUlT_T0_SG_SL_E_clIS9_SA_SB_SB_EEDaSZ_S10_SG_SL_EUlSZ_E_NS1_11comp_targetILNS1_3genE9ELNS1_11target_archE1100ELNS1_3gpuE3ELNS1_3repE0EEENS1_47radix_sort_onesweep_sort_config_static_selectorELNS0_4arch9wavefront6targetE0EEEvSG_,@function
_ZN7rocprim17ROCPRIM_400000_NS6detail17trampoline_kernelINS0_14default_configENS1_35radix_sort_onesweep_config_selectorIlNS0_10empty_typeEEEZZNS1_29radix_sort_onesweep_iterationIS3_Lb0EPKlPlPS5_SB_mNS0_19identity_decomposerENS1_16block_id_wrapperIjLb0EEEEE10hipError_tT1_PNSt15iterator_traitsISG_E10value_typeET2_T3_PNSH_ISM_E10value_typeET4_T5_PSR_SS_PNS1_23onesweep_lookback_stateEbbT6_jjT7_P12ihipStream_tbENKUlT_T0_SG_SL_E_clIS9_SA_SB_SB_EEDaSZ_S10_SG_SL_EUlSZ_E_NS1_11comp_targetILNS1_3genE9ELNS1_11target_archE1100ELNS1_3gpuE3ELNS1_3repE0EEENS1_47radix_sort_onesweep_sort_config_static_selectorELNS0_4arch9wavefront6targetE0EEEvSG_: ; @_ZN7rocprim17ROCPRIM_400000_NS6detail17trampoline_kernelINS0_14default_configENS1_35radix_sort_onesweep_config_selectorIlNS0_10empty_typeEEEZZNS1_29radix_sort_onesweep_iterationIS3_Lb0EPKlPlPS5_SB_mNS0_19identity_decomposerENS1_16block_id_wrapperIjLb0EEEEE10hipError_tT1_PNSt15iterator_traitsISG_E10value_typeET2_T3_PNSH_ISM_E10value_typeET4_T5_PSR_SS_PNS1_23onesweep_lookback_stateEbbT6_jjT7_P12ihipStream_tbENKUlT_T0_SG_SL_E_clIS9_SA_SB_SB_EEDaSZ_S10_SG_SL_EUlSZ_E_NS1_11comp_targetILNS1_3genE9ELNS1_11target_archE1100ELNS1_3gpuE3ELNS1_3repE0EEENS1_47radix_sort_onesweep_sort_config_static_selectorELNS0_4arch9wavefront6targetE0EEEvSG_
; %bb.0:
	.section	.rodata,"a",@progbits
	.p2align	6, 0x0
	.amdhsa_kernel _ZN7rocprim17ROCPRIM_400000_NS6detail17trampoline_kernelINS0_14default_configENS1_35radix_sort_onesweep_config_selectorIlNS0_10empty_typeEEEZZNS1_29radix_sort_onesweep_iterationIS3_Lb0EPKlPlPS5_SB_mNS0_19identity_decomposerENS1_16block_id_wrapperIjLb0EEEEE10hipError_tT1_PNSt15iterator_traitsISG_E10value_typeET2_T3_PNSH_ISM_E10value_typeET4_T5_PSR_SS_PNS1_23onesweep_lookback_stateEbbT6_jjT7_P12ihipStream_tbENKUlT_T0_SG_SL_E_clIS9_SA_SB_SB_EEDaSZ_S10_SG_SL_EUlSZ_E_NS1_11comp_targetILNS1_3genE9ELNS1_11target_archE1100ELNS1_3gpuE3ELNS1_3repE0EEENS1_47radix_sort_onesweep_sort_config_static_selectorELNS0_4arch9wavefront6targetE0EEEvSG_
		.amdhsa_group_segment_fixed_size 0
		.amdhsa_private_segment_fixed_size 0
		.amdhsa_kernarg_size 88
		.amdhsa_user_sgpr_count 2
		.amdhsa_user_sgpr_dispatch_ptr 0
		.amdhsa_user_sgpr_queue_ptr 0
		.amdhsa_user_sgpr_kernarg_segment_ptr 1
		.amdhsa_user_sgpr_dispatch_id 0
		.amdhsa_user_sgpr_kernarg_preload_length 0
		.amdhsa_user_sgpr_kernarg_preload_offset 0
		.amdhsa_user_sgpr_private_segment_size 0
		.amdhsa_wavefront_size32 1
		.amdhsa_uses_dynamic_stack 0
		.amdhsa_enable_private_segment 0
		.amdhsa_system_sgpr_workgroup_id_x 1
		.amdhsa_system_sgpr_workgroup_id_y 0
		.amdhsa_system_sgpr_workgroup_id_z 0
		.amdhsa_system_sgpr_workgroup_info 0
		.amdhsa_system_vgpr_workitem_id 0
		.amdhsa_next_free_vgpr 1
		.amdhsa_next_free_sgpr 1
		.amdhsa_named_barrier_count 0
		.amdhsa_reserve_vcc 0
		.amdhsa_float_round_mode_32 0
		.amdhsa_float_round_mode_16_64 0
		.amdhsa_float_denorm_mode_32 3
		.amdhsa_float_denorm_mode_16_64 3
		.amdhsa_fp16_overflow 0
		.amdhsa_memory_ordered 1
		.amdhsa_forward_progress 1
		.amdhsa_inst_pref_size 0
		.amdhsa_round_robin_scheduling 0
		.amdhsa_exception_fp_ieee_invalid_op 0
		.amdhsa_exception_fp_denorm_src 0
		.amdhsa_exception_fp_ieee_div_zero 0
		.amdhsa_exception_fp_ieee_overflow 0
		.amdhsa_exception_fp_ieee_underflow 0
		.amdhsa_exception_fp_ieee_inexact 0
		.amdhsa_exception_int_div_zero 0
	.end_amdhsa_kernel
	.section	.text._ZN7rocprim17ROCPRIM_400000_NS6detail17trampoline_kernelINS0_14default_configENS1_35radix_sort_onesweep_config_selectorIlNS0_10empty_typeEEEZZNS1_29radix_sort_onesweep_iterationIS3_Lb0EPKlPlPS5_SB_mNS0_19identity_decomposerENS1_16block_id_wrapperIjLb0EEEEE10hipError_tT1_PNSt15iterator_traitsISG_E10value_typeET2_T3_PNSH_ISM_E10value_typeET4_T5_PSR_SS_PNS1_23onesweep_lookback_stateEbbT6_jjT7_P12ihipStream_tbENKUlT_T0_SG_SL_E_clIS9_SA_SB_SB_EEDaSZ_S10_SG_SL_EUlSZ_E_NS1_11comp_targetILNS1_3genE9ELNS1_11target_archE1100ELNS1_3gpuE3ELNS1_3repE0EEENS1_47radix_sort_onesweep_sort_config_static_selectorELNS0_4arch9wavefront6targetE0EEEvSG_,"axG",@progbits,_ZN7rocprim17ROCPRIM_400000_NS6detail17trampoline_kernelINS0_14default_configENS1_35radix_sort_onesweep_config_selectorIlNS0_10empty_typeEEEZZNS1_29radix_sort_onesweep_iterationIS3_Lb0EPKlPlPS5_SB_mNS0_19identity_decomposerENS1_16block_id_wrapperIjLb0EEEEE10hipError_tT1_PNSt15iterator_traitsISG_E10value_typeET2_T3_PNSH_ISM_E10value_typeET4_T5_PSR_SS_PNS1_23onesweep_lookback_stateEbbT6_jjT7_P12ihipStream_tbENKUlT_T0_SG_SL_E_clIS9_SA_SB_SB_EEDaSZ_S10_SG_SL_EUlSZ_E_NS1_11comp_targetILNS1_3genE9ELNS1_11target_archE1100ELNS1_3gpuE3ELNS1_3repE0EEENS1_47radix_sort_onesweep_sort_config_static_selectorELNS0_4arch9wavefront6targetE0EEEvSG_,comdat
.Lfunc_end1232:
	.size	_ZN7rocprim17ROCPRIM_400000_NS6detail17trampoline_kernelINS0_14default_configENS1_35radix_sort_onesweep_config_selectorIlNS0_10empty_typeEEEZZNS1_29radix_sort_onesweep_iterationIS3_Lb0EPKlPlPS5_SB_mNS0_19identity_decomposerENS1_16block_id_wrapperIjLb0EEEEE10hipError_tT1_PNSt15iterator_traitsISG_E10value_typeET2_T3_PNSH_ISM_E10value_typeET4_T5_PSR_SS_PNS1_23onesweep_lookback_stateEbbT6_jjT7_P12ihipStream_tbENKUlT_T0_SG_SL_E_clIS9_SA_SB_SB_EEDaSZ_S10_SG_SL_EUlSZ_E_NS1_11comp_targetILNS1_3genE9ELNS1_11target_archE1100ELNS1_3gpuE3ELNS1_3repE0EEENS1_47radix_sort_onesweep_sort_config_static_selectorELNS0_4arch9wavefront6targetE0EEEvSG_, .Lfunc_end1232-_ZN7rocprim17ROCPRIM_400000_NS6detail17trampoline_kernelINS0_14default_configENS1_35radix_sort_onesweep_config_selectorIlNS0_10empty_typeEEEZZNS1_29radix_sort_onesweep_iterationIS3_Lb0EPKlPlPS5_SB_mNS0_19identity_decomposerENS1_16block_id_wrapperIjLb0EEEEE10hipError_tT1_PNSt15iterator_traitsISG_E10value_typeET2_T3_PNSH_ISM_E10value_typeET4_T5_PSR_SS_PNS1_23onesweep_lookback_stateEbbT6_jjT7_P12ihipStream_tbENKUlT_T0_SG_SL_E_clIS9_SA_SB_SB_EEDaSZ_S10_SG_SL_EUlSZ_E_NS1_11comp_targetILNS1_3genE9ELNS1_11target_archE1100ELNS1_3gpuE3ELNS1_3repE0EEENS1_47radix_sort_onesweep_sort_config_static_selectorELNS0_4arch9wavefront6targetE0EEEvSG_
                                        ; -- End function
	.set _ZN7rocprim17ROCPRIM_400000_NS6detail17trampoline_kernelINS0_14default_configENS1_35radix_sort_onesweep_config_selectorIlNS0_10empty_typeEEEZZNS1_29radix_sort_onesweep_iterationIS3_Lb0EPKlPlPS5_SB_mNS0_19identity_decomposerENS1_16block_id_wrapperIjLb0EEEEE10hipError_tT1_PNSt15iterator_traitsISG_E10value_typeET2_T3_PNSH_ISM_E10value_typeET4_T5_PSR_SS_PNS1_23onesweep_lookback_stateEbbT6_jjT7_P12ihipStream_tbENKUlT_T0_SG_SL_E_clIS9_SA_SB_SB_EEDaSZ_S10_SG_SL_EUlSZ_E_NS1_11comp_targetILNS1_3genE9ELNS1_11target_archE1100ELNS1_3gpuE3ELNS1_3repE0EEENS1_47radix_sort_onesweep_sort_config_static_selectorELNS0_4arch9wavefront6targetE0EEEvSG_.num_vgpr, 0
	.set _ZN7rocprim17ROCPRIM_400000_NS6detail17trampoline_kernelINS0_14default_configENS1_35radix_sort_onesweep_config_selectorIlNS0_10empty_typeEEEZZNS1_29radix_sort_onesweep_iterationIS3_Lb0EPKlPlPS5_SB_mNS0_19identity_decomposerENS1_16block_id_wrapperIjLb0EEEEE10hipError_tT1_PNSt15iterator_traitsISG_E10value_typeET2_T3_PNSH_ISM_E10value_typeET4_T5_PSR_SS_PNS1_23onesweep_lookback_stateEbbT6_jjT7_P12ihipStream_tbENKUlT_T0_SG_SL_E_clIS9_SA_SB_SB_EEDaSZ_S10_SG_SL_EUlSZ_E_NS1_11comp_targetILNS1_3genE9ELNS1_11target_archE1100ELNS1_3gpuE3ELNS1_3repE0EEENS1_47radix_sort_onesweep_sort_config_static_selectorELNS0_4arch9wavefront6targetE0EEEvSG_.num_agpr, 0
	.set _ZN7rocprim17ROCPRIM_400000_NS6detail17trampoline_kernelINS0_14default_configENS1_35radix_sort_onesweep_config_selectorIlNS0_10empty_typeEEEZZNS1_29radix_sort_onesweep_iterationIS3_Lb0EPKlPlPS5_SB_mNS0_19identity_decomposerENS1_16block_id_wrapperIjLb0EEEEE10hipError_tT1_PNSt15iterator_traitsISG_E10value_typeET2_T3_PNSH_ISM_E10value_typeET4_T5_PSR_SS_PNS1_23onesweep_lookback_stateEbbT6_jjT7_P12ihipStream_tbENKUlT_T0_SG_SL_E_clIS9_SA_SB_SB_EEDaSZ_S10_SG_SL_EUlSZ_E_NS1_11comp_targetILNS1_3genE9ELNS1_11target_archE1100ELNS1_3gpuE3ELNS1_3repE0EEENS1_47radix_sort_onesweep_sort_config_static_selectorELNS0_4arch9wavefront6targetE0EEEvSG_.numbered_sgpr, 0
	.set _ZN7rocprim17ROCPRIM_400000_NS6detail17trampoline_kernelINS0_14default_configENS1_35radix_sort_onesweep_config_selectorIlNS0_10empty_typeEEEZZNS1_29radix_sort_onesweep_iterationIS3_Lb0EPKlPlPS5_SB_mNS0_19identity_decomposerENS1_16block_id_wrapperIjLb0EEEEE10hipError_tT1_PNSt15iterator_traitsISG_E10value_typeET2_T3_PNSH_ISM_E10value_typeET4_T5_PSR_SS_PNS1_23onesweep_lookback_stateEbbT6_jjT7_P12ihipStream_tbENKUlT_T0_SG_SL_E_clIS9_SA_SB_SB_EEDaSZ_S10_SG_SL_EUlSZ_E_NS1_11comp_targetILNS1_3genE9ELNS1_11target_archE1100ELNS1_3gpuE3ELNS1_3repE0EEENS1_47radix_sort_onesweep_sort_config_static_selectorELNS0_4arch9wavefront6targetE0EEEvSG_.num_named_barrier, 0
	.set _ZN7rocprim17ROCPRIM_400000_NS6detail17trampoline_kernelINS0_14default_configENS1_35radix_sort_onesweep_config_selectorIlNS0_10empty_typeEEEZZNS1_29radix_sort_onesweep_iterationIS3_Lb0EPKlPlPS5_SB_mNS0_19identity_decomposerENS1_16block_id_wrapperIjLb0EEEEE10hipError_tT1_PNSt15iterator_traitsISG_E10value_typeET2_T3_PNSH_ISM_E10value_typeET4_T5_PSR_SS_PNS1_23onesweep_lookback_stateEbbT6_jjT7_P12ihipStream_tbENKUlT_T0_SG_SL_E_clIS9_SA_SB_SB_EEDaSZ_S10_SG_SL_EUlSZ_E_NS1_11comp_targetILNS1_3genE9ELNS1_11target_archE1100ELNS1_3gpuE3ELNS1_3repE0EEENS1_47radix_sort_onesweep_sort_config_static_selectorELNS0_4arch9wavefront6targetE0EEEvSG_.private_seg_size, 0
	.set _ZN7rocprim17ROCPRIM_400000_NS6detail17trampoline_kernelINS0_14default_configENS1_35radix_sort_onesweep_config_selectorIlNS0_10empty_typeEEEZZNS1_29radix_sort_onesweep_iterationIS3_Lb0EPKlPlPS5_SB_mNS0_19identity_decomposerENS1_16block_id_wrapperIjLb0EEEEE10hipError_tT1_PNSt15iterator_traitsISG_E10value_typeET2_T3_PNSH_ISM_E10value_typeET4_T5_PSR_SS_PNS1_23onesweep_lookback_stateEbbT6_jjT7_P12ihipStream_tbENKUlT_T0_SG_SL_E_clIS9_SA_SB_SB_EEDaSZ_S10_SG_SL_EUlSZ_E_NS1_11comp_targetILNS1_3genE9ELNS1_11target_archE1100ELNS1_3gpuE3ELNS1_3repE0EEENS1_47radix_sort_onesweep_sort_config_static_selectorELNS0_4arch9wavefront6targetE0EEEvSG_.uses_vcc, 0
	.set _ZN7rocprim17ROCPRIM_400000_NS6detail17trampoline_kernelINS0_14default_configENS1_35radix_sort_onesweep_config_selectorIlNS0_10empty_typeEEEZZNS1_29radix_sort_onesweep_iterationIS3_Lb0EPKlPlPS5_SB_mNS0_19identity_decomposerENS1_16block_id_wrapperIjLb0EEEEE10hipError_tT1_PNSt15iterator_traitsISG_E10value_typeET2_T3_PNSH_ISM_E10value_typeET4_T5_PSR_SS_PNS1_23onesweep_lookback_stateEbbT6_jjT7_P12ihipStream_tbENKUlT_T0_SG_SL_E_clIS9_SA_SB_SB_EEDaSZ_S10_SG_SL_EUlSZ_E_NS1_11comp_targetILNS1_3genE9ELNS1_11target_archE1100ELNS1_3gpuE3ELNS1_3repE0EEENS1_47radix_sort_onesweep_sort_config_static_selectorELNS0_4arch9wavefront6targetE0EEEvSG_.uses_flat_scratch, 0
	.set _ZN7rocprim17ROCPRIM_400000_NS6detail17trampoline_kernelINS0_14default_configENS1_35radix_sort_onesweep_config_selectorIlNS0_10empty_typeEEEZZNS1_29radix_sort_onesweep_iterationIS3_Lb0EPKlPlPS5_SB_mNS0_19identity_decomposerENS1_16block_id_wrapperIjLb0EEEEE10hipError_tT1_PNSt15iterator_traitsISG_E10value_typeET2_T3_PNSH_ISM_E10value_typeET4_T5_PSR_SS_PNS1_23onesweep_lookback_stateEbbT6_jjT7_P12ihipStream_tbENKUlT_T0_SG_SL_E_clIS9_SA_SB_SB_EEDaSZ_S10_SG_SL_EUlSZ_E_NS1_11comp_targetILNS1_3genE9ELNS1_11target_archE1100ELNS1_3gpuE3ELNS1_3repE0EEENS1_47radix_sort_onesweep_sort_config_static_selectorELNS0_4arch9wavefront6targetE0EEEvSG_.has_dyn_sized_stack, 0
	.set _ZN7rocprim17ROCPRIM_400000_NS6detail17trampoline_kernelINS0_14default_configENS1_35radix_sort_onesweep_config_selectorIlNS0_10empty_typeEEEZZNS1_29radix_sort_onesweep_iterationIS3_Lb0EPKlPlPS5_SB_mNS0_19identity_decomposerENS1_16block_id_wrapperIjLb0EEEEE10hipError_tT1_PNSt15iterator_traitsISG_E10value_typeET2_T3_PNSH_ISM_E10value_typeET4_T5_PSR_SS_PNS1_23onesweep_lookback_stateEbbT6_jjT7_P12ihipStream_tbENKUlT_T0_SG_SL_E_clIS9_SA_SB_SB_EEDaSZ_S10_SG_SL_EUlSZ_E_NS1_11comp_targetILNS1_3genE9ELNS1_11target_archE1100ELNS1_3gpuE3ELNS1_3repE0EEENS1_47radix_sort_onesweep_sort_config_static_selectorELNS0_4arch9wavefront6targetE0EEEvSG_.has_recursion, 0
	.set _ZN7rocprim17ROCPRIM_400000_NS6detail17trampoline_kernelINS0_14default_configENS1_35radix_sort_onesweep_config_selectorIlNS0_10empty_typeEEEZZNS1_29radix_sort_onesweep_iterationIS3_Lb0EPKlPlPS5_SB_mNS0_19identity_decomposerENS1_16block_id_wrapperIjLb0EEEEE10hipError_tT1_PNSt15iterator_traitsISG_E10value_typeET2_T3_PNSH_ISM_E10value_typeET4_T5_PSR_SS_PNS1_23onesweep_lookback_stateEbbT6_jjT7_P12ihipStream_tbENKUlT_T0_SG_SL_E_clIS9_SA_SB_SB_EEDaSZ_S10_SG_SL_EUlSZ_E_NS1_11comp_targetILNS1_3genE9ELNS1_11target_archE1100ELNS1_3gpuE3ELNS1_3repE0EEENS1_47radix_sort_onesweep_sort_config_static_selectorELNS0_4arch9wavefront6targetE0EEEvSG_.has_indirect_call, 0
	.section	.AMDGPU.csdata,"",@progbits
; Kernel info:
; codeLenInByte = 0
; TotalNumSgprs: 0
; NumVgprs: 0
; ScratchSize: 0
; MemoryBound: 0
; FloatMode: 240
; IeeeMode: 1
; LDSByteSize: 0 bytes/workgroup (compile time only)
; SGPRBlocks: 0
; VGPRBlocks: 0
; NumSGPRsForWavesPerEU: 1
; NumVGPRsForWavesPerEU: 1
; NamedBarCnt: 0
; Occupancy: 16
; WaveLimiterHint : 0
; COMPUTE_PGM_RSRC2:SCRATCH_EN: 0
; COMPUTE_PGM_RSRC2:USER_SGPR: 2
; COMPUTE_PGM_RSRC2:TRAP_HANDLER: 0
; COMPUTE_PGM_RSRC2:TGID_X_EN: 1
; COMPUTE_PGM_RSRC2:TGID_Y_EN: 0
; COMPUTE_PGM_RSRC2:TGID_Z_EN: 0
; COMPUTE_PGM_RSRC2:TIDIG_COMP_CNT: 0
	.section	.text._ZN7rocprim17ROCPRIM_400000_NS6detail17trampoline_kernelINS0_14default_configENS1_35radix_sort_onesweep_config_selectorIlNS0_10empty_typeEEEZZNS1_29radix_sort_onesweep_iterationIS3_Lb0EPKlPlPS5_SB_mNS0_19identity_decomposerENS1_16block_id_wrapperIjLb0EEEEE10hipError_tT1_PNSt15iterator_traitsISG_E10value_typeET2_T3_PNSH_ISM_E10value_typeET4_T5_PSR_SS_PNS1_23onesweep_lookback_stateEbbT6_jjT7_P12ihipStream_tbENKUlT_T0_SG_SL_E_clIS9_SA_SB_SB_EEDaSZ_S10_SG_SL_EUlSZ_E_NS1_11comp_targetILNS1_3genE8ELNS1_11target_archE1030ELNS1_3gpuE2ELNS1_3repE0EEENS1_47radix_sort_onesweep_sort_config_static_selectorELNS0_4arch9wavefront6targetE0EEEvSG_,"axG",@progbits,_ZN7rocprim17ROCPRIM_400000_NS6detail17trampoline_kernelINS0_14default_configENS1_35radix_sort_onesweep_config_selectorIlNS0_10empty_typeEEEZZNS1_29radix_sort_onesweep_iterationIS3_Lb0EPKlPlPS5_SB_mNS0_19identity_decomposerENS1_16block_id_wrapperIjLb0EEEEE10hipError_tT1_PNSt15iterator_traitsISG_E10value_typeET2_T3_PNSH_ISM_E10value_typeET4_T5_PSR_SS_PNS1_23onesweep_lookback_stateEbbT6_jjT7_P12ihipStream_tbENKUlT_T0_SG_SL_E_clIS9_SA_SB_SB_EEDaSZ_S10_SG_SL_EUlSZ_E_NS1_11comp_targetILNS1_3genE8ELNS1_11target_archE1030ELNS1_3gpuE2ELNS1_3repE0EEENS1_47radix_sort_onesweep_sort_config_static_selectorELNS0_4arch9wavefront6targetE0EEEvSG_,comdat
	.protected	_ZN7rocprim17ROCPRIM_400000_NS6detail17trampoline_kernelINS0_14default_configENS1_35radix_sort_onesweep_config_selectorIlNS0_10empty_typeEEEZZNS1_29radix_sort_onesweep_iterationIS3_Lb0EPKlPlPS5_SB_mNS0_19identity_decomposerENS1_16block_id_wrapperIjLb0EEEEE10hipError_tT1_PNSt15iterator_traitsISG_E10value_typeET2_T3_PNSH_ISM_E10value_typeET4_T5_PSR_SS_PNS1_23onesweep_lookback_stateEbbT6_jjT7_P12ihipStream_tbENKUlT_T0_SG_SL_E_clIS9_SA_SB_SB_EEDaSZ_S10_SG_SL_EUlSZ_E_NS1_11comp_targetILNS1_3genE8ELNS1_11target_archE1030ELNS1_3gpuE2ELNS1_3repE0EEENS1_47radix_sort_onesweep_sort_config_static_selectorELNS0_4arch9wavefront6targetE0EEEvSG_ ; -- Begin function _ZN7rocprim17ROCPRIM_400000_NS6detail17trampoline_kernelINS0_14default_configENS1_35radix_sort_onesweep_config_selectorIlNS0_10empty_typeEEEZZNS1_29radix_sort_onesweep_iterationIS3_Lb0EPKlPlPS5_SB_mNS0_19identity_decomposerENS1_16block_id_wrapperIjLb0EEEEE10hipError_tT1_PNSt15iterator_traitsISG_E10value_typeET2_T3_PNSH_ISM_E10value_typeET4_T5_PSR_SS_PNS1_23onesweep_lookback_stateEbbT6_jjT7_P12ihipStream_tbENKUlT_T0_SG_SL_E_clIS9_SA_SB_SB_EEDaSZ_S10_SG_SL_EUlSZ_E_NS1_11comp_targetILNS1_3genE8ELNS1_11target_archE1030ELNS1_3gpuE2ELNS1_3repE0EEENS1_47radix_sort_onesweep_sort_config_static_selectorELNS0_4arch9wavefront6targetE0EEEvSG_
	.globl	_ZN7rocprim17ROCPRIM_400000_NS6detail17trampoline_kernelINS0_14default_configENS1_35radix_sort_onesweep_config_selectorIlNS0_10empty_typeEEEZZNS1_29radix_sort_onesweep_iterationIS3_Lb0EPKlPlPS5_SB_mNS0_19identity_decomposerENS1_16block_id_wrapperIjLb0EEEEE10hipError_tT1_PNSt15iterator_traitsISG_E10value_typeET2_T3_PNSH_ISM_E10value_typeET4_T5_PSR_SS_PNS1_23onesweep_lookback_stateEbbT6_jjT7_P12ihipStream_tbENKUlT_T0_SG_SL_E_clIS9_SA_SB_SB_EEDaSZ_S10_SG_SL_EUlSZ_E_NS1_11comp_targetILNS1_3genE8ELNS1_11target_archE1030ELNS1_3gpuE2ELNS1_3repE0EEENS1_47radix_sort_onesweep_sort_config_static_selectorELNS0_4arch9wavefront6targetE0EEEvSG_
	.p2align	8
	.type	_ZN7rocprim17ROCPRIM_400000_NS6detail17trampoline_kernelINS0_14default_configENS1_35radix_sort_onesweep_config_selectorIlNS0_10empty_typeEEEZZNS1_29radix_sort_onesweep_iterationIS3_Lb0EPKlPlPS5_SB_mNS0_19identity_decomposerENS1_16block_id_wrapperIjLb0EEEEE10hipError_tT1_PNSt15iterator_traitsISG_E10value_typeET2_T3_PNSH_ISM_E10value_typeET4_T5_PSR_SS_PNS1_23onesweep_lookback_stateEbbT6_jjT7_P12ihipStream_tbENKUlT_T0_SG_SL_E_clIS9_SA_SB_SB_EEDaSZ_S10_SG_SL_EUlSZ_E_NS1_11comp_targetILNS1_3genE8ELNS1_11target_archE1030ELNS1_3gpuE2ELNS1_3repE0EEENS1_47radix_sort_onesweep_sort_config_static_selectorELNS0_4arch9wavefront6targetE0EEEvSG_,@function
_ZN7rocprim17ROCPRIM_400000_NS6detail17trampoline_kernelINS0_14default_configENS1_35radix_sort_onesweep_config_selectorIlNS0_10empty_typeEEEZZNS1_29radix_sort_onesweep_iterationIS3_Lb0EPKlPlPS5_SB_mNS0_19identity_decomposerENS1_16block_id_wrapperIjLb0EEEEE10hipError_tT1_PNSt15iterator_traitsISG_E10value_typeET2_T3_PNSH_ISM_E10value_typeET4_T5_PSR_SS_PNS1_23onesweep_lookback_stateEbbT6_jjT7_P12ihipStream_tbENKUlT_T0_SG_SL_E_clIS9_SA_SB_SB_EEDaSZ_S10_SG_SL_EUlSZ_E_NS1_11comp_targetILNS1_3genE8ELNS1_11target_archE1030ELNS1_3gpuE2ELNS1_3repE0EEENS1_47radix_sort_onesweep_sort_config_static_selectorELNS0_4arch9wavefront6targetE0EEEvSG_: ; @_ZN7rocprim17ROCPRIM_400000_NS6detail17trampoline_kernelINS0_14default_configENS1_35radix_sort_onesweep_config_selectorIlNS0_10empty_typeEEEZZNS1_29radix_sort_onesweep_iterationIS3_Lb0EPKlPlPS5_SB_mNS0_19identity_decomposerENS1_16block_id_wrapperIjLb0EEEEE10hipError_tT1_PNSt15iterator_traitsISG_E10value_typeET2_T3_PNSH_ISM_E10value_typeET4_T5_PSR_SS_PNS1_23onesweep_lookback_stateEbbT6_jjT7_P12ihipStream_tbENKUlT_T0_SG_SL_E_clIS9_SA_SB_SB_EEDaSZ_S10_SG_SL_EUlSZ_E_NS1_11comp_targetILNS1_3genE8ELNS1_11target_archE1030ELNS1_3gpuE2ELNS1_3repE0EEENS1_47radix_sort_onesweep_sort_config_static_selectorELNS0_4arch9wavefront6targetE0EEEvSG_
; %bb.0:
	.section	.rodata,"a",@progbits
	.p2align	6, 0x0
	.amdhsa_kernel _ZN7rocprim17ROCPRIM_400000_NS6detail17trampoline_kernelINS0_14default_configENS1_35radix_sort_onesweep_config_selectorIlNS0_10empty_typeEEEZZNS1_29radix_sort_onesweep_iterationIS3_Lb0EPKlPlPS5_SB_mNS0_19identity_decomposerENS1_16block_id_wrapperIjLb0EEEEE10hipError_tT1_PNSt15iterator_traitsISG_E10value_typeET2_T3_PNSH_ISM_E10value_typeET4_T5_PSR_SS_PNS1_23onesweep_lookback_stateEbbT6_jjT7_P12ihipStream_tbENKUlT_T0_SG_SL_E_clIS9_SA_SB_SB_EEDaSZ_S10_SG_SL_EUlSZ_E_NS1_11comp_targetILNS1_3genE8ELNS1_11target_archE1030ELNS1_3gpuE2ELNS1_3repE0EEENS1_47radix_sort_onesweep_sort_config_static_selectorELNS0_4arch9wavefront6targetE0EEEvSG_
		.amdhsa_group_segment_fixed_size 0
		.amdhsa_private_segment_fixed_size 0
		.amdhsa_kernarg_size 88
		.amdhsa_user_sgpr_count 2
		.amdhsa_user_sgpr_dispatch_ptr 0
		.amdhsa_user_sgpr_queue_ptr 0
		.amdhsa_user_sgpr_kernarg_segment_ptr 1
		.amdhsa_user_sgpr_dispatch_id 0
		.amdhsa_user_sgpr_kernarg_preload_length 0
		.amdhsa_user_sgpr_kernarg_preload_offset 0
		.amdhsa_user_sgpr_private_segment_size 0
		.amdhsa_wavefront_size32 1
		.amdhsa_uses_dynamic_stack 0
		.amdhsa_enable_private_segment 0
		.amdhsa_system_sgpr_workgroup_id_x 1
		.amdhsa_system_sgpr_workgroup_id_y 0
		.amdhsa_system_sgpr_workgroup_id_z 0
		.amdhsa_system_sgpr_workgroup_info 0
		.amdhsa_system_vgpr_workitem_id 0
		.amdhsa_next_free_vgpr 1
		.amdhsa_next_free_sgpr 1
		.amdhsa_named_barrier_count 0
		.amdhsa_reserve_vcc 0
		.amdhsa_float_round_mode_32 0
		.amdhsa_float_round_mode_16_64 0
		.amdhsa_float_denorm_mode_32 3
		.amdhsa_float_denorm_mode_16_64 3
		.amdhsa_fp16_overflow 0
		.amdhsa_memory_ordered 1
		.amdhsa_forward_progress 1
		.amdhsa_inst_pref_size 0
		.amdhsa_round_robin_scheduling 0
		.amdhsa_exception_fp_ieee_invalid_op 0
		.amdhsa_exception_fp_denorm_src 0
		.amdhsa_exception_fp_ieee_div_zero 0
		.amdhsa_exception_fp_ieee_overflow 0
		.amdhsa_exception_fp_ieee_underflow 0
		.amdhsa_exception_fp_ieee_inexact 0
		.amdhsa_exception_int_div_zero 0
	.end_amdhsa_kernel
	.section	.text._ZN7rocprim17ROCPRIM_400000_NS6detail17trampoline_kernelINS0_14default_configENS1_35radix_sort_onesweep_config_selectorIlNS0_10empty_typeEEEZZNS1_29radix_sort_onesweep_iterationIS3_Lb0EPKlPlPS5_SB_mNS0_19identity_decomposerENS1_16block_id_wrapperIjLb0EEEEE10hipError_tT1_PNSt15iterator_traitsISG_E10value_typeET2_T3_PNSH_ISM_E10value_typeET4_T5_PSR_SS_PNS1_23onesweep_lookback_stateEbbT6_jjT7_P12ihipStream_tbENKUlT_T0_SG_SL_E_clIS9_SA_SB_SB_EEDaSZ_S10_SG_SL_EUlSZ_E_NS1_11comp_targetILNS1_3genE8ELNS1_11target_archE1030ELNS1_3gpuE2ELNS1_3repE0EEENS1_47radix_sort_onesweep_sort_config_static_selectorELNS0_4arch9wavefront6targetE0EEEvSG_,"axG",@progbits,_ZN7rocprim17ROCPRIM_400000_NS6detail17trampoline_kernelINS0_14default_configENS1_35radix_sort_onesweep_config_selectorIlNS0_10empty_typeEEEZZNS1_29radix_sort_onesweep_iterationIS3_Lb0EPKlPlPS5_SB_mNS0_19identity_decomposerENS1_16block_id_wrapperIjLb0EEEEE10hipError_tT1_PNSt15iterator_traitsISG_E10value_typeET2_T3_PNSH_ISM_E10value_typeET4_T5_PSR_SS_PNS1_23onesweep_lookback_stateEbbT6_jjT7_P12ihipStream_tbENKUlT_T0_SG_SL_E_clIS9_SA_SB_SB_EEDaSZ_S10_SG_SL_EUlSZ_E_NS1_11comp_targetILNS1_3genE8ELNS1_11target_archE1030ELNS1_3gpuE2ELNS1_3repE0EEENS1_47radix_sort_onesweep_sort_config_static_selectorELNS0_4arch9wavefront6targetE0EEEvSG_,comdat
.Lfunc_end1233:
	.size	_ZN7rocprim17ROCPRIM_400000_NS6detail17trampoline_kernelINS0_14default_configENS1_35radix_sort_onesweep_config_selectorIlNS0_10empty_typeEEEZZNS1_29radix_sort_onesweep_iterationIS3_Lb0EPKlPlPS5_SB_mNS0_19identity_decomposerENS1_16block_id_wrapperIjLb0EEEEE10hipError_tT1_PNSt15iterator_traitsISG_E10value_typeET2_T3_PNSH_ISM_E10value_typeET4_T5_PSR_SS_PNS1_23onesweep_lookback_stateEbbT6_jjT7_P12ihipStream_tbENKUlT_T0_SG_SL_E_clIS9_SA_SB_SB_EEDaSZ_S10_SG_SL_EUlSZ_E_NS1_11comp_targetILNS1_3genE8ELNS1_11target_archE1030ELNS1_3gpuE2ELNS1_3repE0EEENS1_47radix_sort_onesweep_sort_config_static_selectorELNS0_4arch9wavefront6targetE0EEEvSG_, .Lfunc_end1233-_ZN7rocprim17ROCPRIM_400000_NS6detail17trampoline_kernelINS0_14default_configENS1_35radix_sort_onesweep_config_selectorIlNS0_10empty_typeEEEZZNS1_29radix_sort_onesweep_iterationIS3_Lb0EPKlPlPS5_SB_mNS0_19identity_decomposerENS1_16block_id_wrapperIjLb0EEEEE10hipError_tT1_PNSt15iterator_traitsISG_E10value_typeET2_T3_PNSH_ISM_E10value_typeET4_T5_PSR_SS_PNS1_23onesweep_lookback_stateEbbT6_jjT7_P12ihipStream_tbENKUlT_T0_SG_SL_E_clIS9_SA_SB_SB_EEDaSZ_S10_SG_SL_EUlSZ_E_NS1_11comp_targetILNS1_3genE8ELNS1_11target_archE1030ELNS1_3gpuE2ELNS1_3repE0EEENS1_47radix_sort_onesweep_sort_config_static_selectorELNS0_4arch9wavefront6targetE0EEEvSG_
                                        ; -- End function
	.set _ZN7rocprim17ROCPRIM_400000_NS6detail17trampoline_kernelINS0_14default_configENS1_35radix_sort_onesweep_config_selectorIlNS0_10empty_typeEEEZZNS1_29radix_sort_onesweep_iterationIS3_Lb0EPKlPlPS5_SB_mNS0_19identity_decomposerENS1_16block_id_wrapperIjLb0EEEEE10hipError_tT1_PNSt15iterator_traitsISG_E10value_typeET2_T3_PNSH_ISM_E10value_typeET4_T5_PSR_SS_PNS1_23onesweep_lookback_stateEbbT6_jjT7_P12ihipStream_tbENKUlT_T0_SG_SL_E_clIS9_SA_SB_SB_EEDaSZ_S10_SG_SL_EUlSZ_E_NS1_11comp_targetILNS1_3genE8ELNS1_11target_archE1030ELNS1_3gpuE2ELNS1_3repE0EEENS1_47radix_sort_onesweep_sort_config_static_selectorELNS0_4arch9wavefront6targetE0EEEvSG_.num_vgpr, 0
	.set _ZN7rocprim17ROCPRIM_400000_NS6detail17trampoline_kernelINS0_14default_configENS1_35radix_sort_onesweep_config_selectorIlNS0_10empty_typeEEEZZNS1_29radix_sort_onesweep_iterationIS3_Lb0EPKlPlPS5_SB_mNS0_19identity_decomposerENS1_16block_id_wrapperIjLb0EEEEE10hipError_tT1_PNSt15iterator_traitsISG_E10value_typeET2_T3_PNSH_ISM_E10value_typeET4_T5_PSR_SS_PNS1_23onesweep_lookback_stateEbbT6_jjT7_P12ihipStream_tbENKUlT_T0_SG_SL_E_clIS9_SA_SB_SB_EEDaSZ_S10_SG_SL_EUlSZ_E_NS1_11comp_targetILNS1_3genE8ELNS1_11target_archE1030ELNS1_3gpuE2ELNS1_3repE0EEENS1_47radix_sort_onesweep_sort_config_static_selectorELNS0_4arch9wavefront6targetE0EEEvSG_.num_agpr, 0
	.set _ZN7rocprim17ROCPRIM_400000_NS6detail17trampoline_kernelINS0_14default_configENS1_35radix_sort_onesweep_config_selectorIlNS0_10empty_typeEEEZZNS1_29radix_sort_onesweep_iterationIS3_Lb0EPKlPlPS5_SB_mNS0_19identity_decomposerENS1_16block_id_wrapperIjLb0EEEEE10hipError_tT1_PNSt15iterator_traitsISG_E10value_typeET2_T3_PNSH_ISM_E10value_typeET4_T5_PSR_SS_PNS1_23onesweep_lookback_stateEbbT6_jjT7_P12ihipStream_tbENKUlT_T0_SG_SL_E_clIS9_SA_SB_SB_EEDaSZ_S10_SG_SL_EUlSZ_E_NS1_11comp_targetILNS1_3genE8ELNS1_11target_archE1030ELNS1_3gpuE2ELNS1_3repE0EEENS1_47radix_sort_onesweep_sort_config_static_selectorELNS0_4arch9wavefront6targetE0EEEvSG_.numbered_sgpr, 0
	.set _ZN7rocprim17ROCPRIM_400000_NS6detail17trampoline_kernelINS0_14default_configENS1_35radix_sort_onesweep_config_selectorIlNS0_10empty_typeEEEZZNS1_29radix_sort_onesweep_iterationIS3_Lb0EPKlPlPS5_SB_mNS0_19identity_decomposerENS1_16block_id_wrapperIjLb0EEEEE10hipError_tT1_PNSt15iterator_traitsISG_E10value_typeET2_T3_PNSH_ISM_E10value_typeET4_T5_PSR_SS_PNS1_23onesweep_lookback_stateEbbT6_jjT7_P12ihipStream_tbENKUlT_T0_SG_SL_E_clIS9_SA_SB_SB_EEDaSZ_S10_SG_SL_EUlSZ_E_NS1_11comp_targetILNS1_3genE8ELNS1_11target_archE1030ELNS1_3gpuE2ELNS1_3repE0EEENS1_47radix_sort_onesweep_sort_config_static_selectorELNS0_4arch9wavefront6targetE0EEEvSG_.num_named_barrier, 0
	.set _ZN7rocprim17ROCPRIM_400000_NS6detail17trampoline_kernelINS0_14default_configENS1_35radix_sort_onesweep_config_selectorIlNS0_10empty_typeEEEZZNS1_29radix_sort_onesweep_iterationIS3_Lb0EPKlPlPS5_SB_mNS0_19identity_decomposerENS1_16block_id_wrapperIjLb0EEEEE10hipError_tT1_PNSt15iterator_traitsISG_E10value_typeET2_T3_PNSH_ISM_E10value_typeET4_T5_PSR_SS_PNS1_23onesweep_lookback_stateEbbT6_jjT7_P12ihipStream_tbENKUlT_T0_SG_SL_E_clIS9_SA_SB_SB_EEDaSZ_S10_SG_SL_EUlSZ_E_NS1_11comp_targetILNS1_3genE8ELNS1_11target_archE1030ELNS1_3gpuE2ELNS1_3repE0EEENS1_47radix_sort_onesweep_sort_config_static_selectorELNS0_4arch9wavefront6targetE0EEEvSG_.private_seg_size, 0
	.set _ZN7rocprim17ROCPRIM_400000_NS6detail17trampoline_kernelINS0_14default_configENS1_35radix_sort_onesweep_config_selectorIlNS0_10empty_typeEEEZZNS1_29radix_sort_onesweep_iterationIS3_Lb0EPKlPlPS5_SB_mNS0_19identity_decomposerENS1_16block_id_wrapperIjLb0EEEEE10hipError_tT1_PNSt15iterator_traitsISG_E10value_typeET2_T3_PNSH_ISM_E10value_typeET4_T5_PSR_SS_PNS1_23onesweep_lookback_stateEbbT6_jjT7_P12ihipStream_tbENKUlT_T0_SG_SL_E_clIS9_SA_SB_SB_EEDaSZ_S10_SG_SL_EUlSZ_E_NS1_11comp_targetILNS1_3genE8ELNS1_11target_archE1030ELNS1_3gpuE2ELNS1_3repE0EEENS1_47radix_sort_onesweep_sort_config_static_selectorELNS0_4arch9wavefront6targetE0EEEvSG_.uses_vcc, 0
	.set _ZN7rocprim17ROCPRIM_400000_NS6detail17trampoline_kernelINS0_14default_configENS1_35radix_sort_onesweep_config_selectorIlNS0_10empty_typeEEEZZNS1_29radix_sort_onesweep_iterationIS3_Lb0EPKlPlPS5_SB_mNS0_19identity_decomposerENS1_16block_id_wrapperIjLb0EEEEE10hipError_tT1_PNSt15iterator_traitsISG_E10value_typeET2_T3_PNSH_ISM_E10value_typeET4_T5_PSR_SS_PNS1_23onesweep_lookback_stateEbbT6_jjT7_P12ihipStream_tbENKUlT_T0_SG_SL_E_clIS9_SA_SB_SB_EEDaSZ_S10_SG_SL_EUlSZ_E_NS1_11comp_targetILNS1_3genE8ELNS1_11target_archE1030ELNS1_3gpuE2ELNS1_3repE0EEENS1_47radix_sort_onesweep_sort_config_static_selectorELNS0_4arch9wavefront6targetE0EEEvSG_.uses_flat_scratch, 0
	.set _ZN7rocprim17ROCPRIM_400000_NS6detail17trampoline_kernelINS0_14default_configENS1_35radix_sort_onesweep_config_selectorIlNS0_10empty_typeEEEZZNS1_29radix_sort_onesweep_iterationIS3_Lb0EPKlPlPS5_SB_mNS0_19identity_decomposerENS1_16block_id_wrapperIjLb0EEEEE10hipError_tT1_PNSt15iterator_traitsISG_E10value_typeET2_T3_PNSH_ISM_E10value_typeET4_T5_PSR_SS_PNS1_23onesweep_lookback_stateEbbT6_jjT7_P12ihipStream_tbENKUlT_T0_SG_SL_E_clIS9_SA_SB_SB_EEDaSZ_S10_SG_SL_EUlSZ_E_NS1_11comp_targetILNS1_3genE8ELNS1_11target_archE1030ELNS1_3gpuE2ELNS1_3repE0EEENS1_47radix_sort_onesweep_sort_config_static_selectorELNS0_4arch9wavefront6targetE0EEEvSG_.has_dyn_sized_stack, 0
	.set _ZN7rocprim17ROCPRIM_400000_NS6detail17trampoline_kernelINS0_14default_configENS1_35radix_sort_onesweep_config_selectorIlNS0_10empty_typeEEEZZNS1_29radix_sort_onesweep_iterationIS3_Lb0EPKlPlPS5_SB_mNS0_19identity_decomposerENS1_16block_id_wrapperIjLb0EEEEE10hipError_tT1_PNSt15iterator_traitsISG_E10value_typeET2_T3_PNSH_ISM_E10value_typeET4_T5_PSR_SS_PNS1_23onesweep_lookback_stateEbbT6_jjT7_P12ihipStream_tbENKUlT_T0_SG_SL_E_clIS9_SA_SB_SB_EEDaSZ_S10_SG_SL_EUlSZ_E_NS1_11comp_targetILNS1_3genE8ELNS1_11target_archE1030ELNS1_3gpuE2ELNS1_3repE0EEENS1_47radix_sort_onesweep_sort_config_static_selectorELNS0_4arch9wavefront6targetE0EEEvSG_.has_recursion, 0
	.set _ZN7rocprim17ROCPRIM_400000_NS6detail17trampoline_kernelINS0_14default_configENS1_35radix_sort_onesweep_config_selectorIlNS0_10empty_typeEEEZZNS1_29radix_sort_onesweep_iterationIS3_Lb0EPKlPlPS5_SB_mNS0_19identity_decomposerENS1_16block_id_wrapperIjLb0EEEEE10hipError_tT1_PNSt15iterator_traitsISG_E10value_typeET2_T3_PNSH_ISM_E10value_typeET4_T5_PSR_SS_PNS1_23onesweep_lookback_stateEbbT6_jjT7_P12ihipStream_tbENKUlT_T0_SG_SL_E_clIS9_SA_SB_SB_EEDaSZ_S10_SG_SL_EUlSZ_E_NS1_11comp_targetILNS1_3genE8ELNS1_11target_archE1030ELNS1_3gpuE2ELNS1_3repE0EEENS1_47radix_sort_onesweep_sort_config_static_selectorELNS0_4arch9wavefront6targetE0EEEvSG_.has_indirect_call, 0
	.section	.AMDGPU.csdata,"",@progbits
; Kernel info:
; codeLenInByte = 0
; TotalNumSgprs: 0
; NumVgprs: 0
; ScratchSize: 0
; MemoryBound: 0
; FloatMode: 240
; IeeeMode: 1
; LDSByteSize: 0 bytes/workgroup (compile time only)
; SGPRBlocks: 0
; VGPRBlocks: 0
; NumSGPRsForWavesPerEU: 1
; NumVGPRsForWavesPerEU: 1
; NamedBarCnt: 0
; Occupancy: 16
; WaveLimiterHint : 0
; COMPUTE_PGM_RSRC2:SCRATCH_EN: 0
; COMPUTE_PGM_RSRC2:USER_SGPR: 2
; COMPUTE_PGM_RSRC2:TRAP_HANDLER: 0
; COMPUTE_PGM_RSRC2:TGID_X_EN: 1
; COMPUTE_PGM_RSRC2:TGID_Y_EN: 0
; COMPUTE_PGM_RSRC2:TGID_Z_EN: 0
; COMPUTE_PGM_RSRC2:TIDIG_COMP_CNT: 0
	.section	.text._ZN7rocprim17ROCPRIM_400000_NS6detail17trampoline_kernelINS0_14default_configENS1_35radix_sort_onesweep_config_selectorIlNS0_10empty_typeEEEZZNS1_29radix_sort_onesweep_iterationIS3_Lb0EPKlPlPS5_SB_mNS0_19identity_decomposerENS1_16block_id_wrapperIjLb0EEEEE10hipError_tT1_PNSt15iterator_traitsISG_E10value_typeET2_T3_PNSH_ISM_E10value_typeET4_T5_PSR_SS_PNS1_23onesweep_lookback_stateEbbT6_jjT7_P12ihipStream_tbENKUlT_T0_SG_SL_E_clISA_SA_SB_SB_EEDaSZ_S10_SG_SL_EUlSZ_E_NS1_11comp_targetILNS1_3genE0ELNS1_11target_archE4294967295ELNS1_3gpuE0ELNS1_3repE0EEENS1_47radix_sort_onesweep_sort_config_static_selectorELNS0_4arch9wavefront6targetE0EEEvSG_,"axG",@progbits,_ZN7rocprim17ROCPRIM_400000_NS6detail17trampoline_kernelINS0_14default_configENS1_35radix_sort_onesweep_config_selectorIlNS0_10empty_typeEEEZZNS1_29radix_sort_onesweep_iterationIS3_Lb0EPKlPlPS5_SB_mNS0_19identity_decomposerENS1_16block_id_wrapperIjLb0EEEEE10hipError_tT1_PNSt15iterator_traitsISG_E10value_typeET2_T3_PNSH_ISM_E10value_typeET4_T5_PSR_SS_PNS1_23onesweep_lookback_stateEbbT6_jjT7_P12ihipStream_tbENKUlT_T0_SG_SL_E_clISA_SA_SB_SB_EEDaSZ_S10_SG_SL_EUlSZ_E_NS1_11comp_targetILNS1_3genE0ELNS1_11target_archE4294967295ELNS1_3gpuE0ELNS1_3repE0EEENS1_47radix_sort_onesweep_sort_config_static_selectorELNS0_4arch9wavefront6targetE0EEEvSG_,comdat
	.protected	_ZN7rocprim17ROCPRIM_400000_NS6detail17trampoline_kernelINS0_14default_configENS1_35radix_sort_onesweep_config_selectorIlNS0_10empty_typeEEEZZNS1_29radix_sort_onesweep_iterationIS3_Lb0EPKlPlPS5_SB_mNS0_19identity_decomposerENS1_16block_id_wrapperIjLb0EEEEE10hipError_tT1_PNSt15iterator_traitsISG_E10value_typeET2_T3_PNSH_ISM_E10value_typeET4_T5_PSR_SS_PNS1_23onesweep_lookback_stateEbbT6_jjT7_P12ihipStream_tbENKUlT_T0_SG_SL_E_clISA_SA_SB_SB_EEDaSZ_S10_SG_SL_EUlSZ_E_NS1_11comp_targetILNS1_3genE0ELNS1_11target_archE4294967295ELNS1_3gpuE0ELNS1_3repE0EEENS1_47radix_sort_onesweep_sort_config_static_selectorELNS0_4arch9wavefront6targetE0EEEvSG_ ; -- Begin function _ZN7rocprim17ROCPRIM_400000_NS6detail17trampoline_kernelINS0_14default_configENS1_35radix_sort_onesweep_config_selectorIlNS0_10empty_typeEEEZZNS1_29radix_sort_onesweep_iterationIS3_Lb0EPKlPlPS5_SB_mNS0_19identity_decomposerENS1_16block_id_wrapperIjLb0EEEEE10hipError_tT1_PNSt15iterator_traitsISG_E10value_typeET2_T3_PNSH_ISM_E10value_typeET4_T5_PSR_SS_PNS1_23onesweep_lookback_stateEbbT6_jjT7_P12ihipStream_tbENKUlT_T0_SG_SL_E_clISA_SA_SB_SB_EEDaSZ_S10_SG_SL_EUlSZ_E_NS1_11comp_targetILNS1_3genE0ELNS1_11target_archE4294967295ELNS1_3gpuE0ELNS1_3repE0EEENS1_47radix_sort_onesweep_sort_config_static_selectorELNS0_4arch9wavefront6targetE0EEEvSG_
	.globl	_ZN7rocprim17ROCPRIM_400000_NS6detail17trampoline_kernelINS0_14default_configENS1_35radix_sort_onesweep_config_selectorIlNS0_10empty_typeEEEZZNS1_29radix_sort_onesweep_iterationIS3_Lb0EPKlPlPS5_SB_mNS0_19identity_decomposerENS1_16block_id_wrapperIjLb0EEEEE10hipError_tT1_PNSt15iterator_traitsISG_E10value_typeET2_T3_PNSH_ISM_E10value_typeET4_T5_PSR_SS_PNS1_23onesweep_lookback_stateEbbT6_jjT7_P12ihipStream_tbENKUlT_T0_SG_SL_E_clISA_SA_SB_SB_EEDaSZ_S10_SG_SL_EUlSZ_E_NS1_11comp_targetILNS1_3genE0ELNS1_11target_archE4294967295ELNS1_3gpuE0ELNS1_3repE0EEENS1_47radix_sort_onesweep_sort_config_static_selectorELNS0_4arch9wavefront6targetE0EEEvSG_
	.p2align	8
	.type	_ZN7rocprim17ROCPRIM_400000_NS6detail17trampoline_kernelINS0_14default_configENS1_35radix_sort_onesweep_config_selectorIlNS0_10empty_typeEEEZZNS1_29radix_sort_onesweep_iterationIS3_Lb0EPKlPlPS5_SB_mNS0_19identity_decomposerENS1_16block_id_wrapperIjLb0EEEEE10hipError_tT1_PNSt15iterator_traitsISG_E10value_typeET2_T3_PNSH_ISM_E10value_typeET4_T5_PSR_SS_PNS1_23onesweep_lookback_stateEbbT6_jjT7_P12ihipStream_tbENKUlT_T0_SG_SL_E_clISA_SA_SB_SB_EEDaSZ_S10_SG_SL_EUlSZ_E_NS1_11comp_targetILNS1_3genE0ELNS1_11target_archE4294967295ELNS1_3gpuE0ELNS1_3repE0EEENS1_47radix_sort_onesweep_sort_config_static_selectorELNS0_4arch9wavefront6targetE0EEEvSG_,@function
_ZN7rocprim17ROCPRIM_400000_NS6detail17trampoline_kernelINS0_14default_configENS1_35radix_sort_onesweep_config_selectorIlNS0_10empty_typeEEEZZNS1_29radix_sort_onesweep_iterationIS3_Lb0EPKlPlPS5_SB_mNS0_19identity_decomposerENS1_16block_id_wrapperIjLb0EEEEE10hipError_tT1_PNSt15iterator_traitsISG_E10value_typeET2_T3_PNSH_ISM_E10value_typeET4_T5_PSR_SS_PNS1_23onesweep_lookback_stateEbbT6_jjT7_P12ihipStream_tbENKUlT_T0_SG_SL_E_clISA_SA_SB_SB_EEDaSZ_S10_SG_SL_EUlSZ_E_NS1_11comp_targetILNS1_3genE0ELNS1_11target_archE4294967295ELNS1_3gpuE0ELNS1_3repE0EEENS1_47radix_sort_onesweep_sort_config_static_selectorELNS0_4arch9wavefront6targetE0EEEvSG_: ; @_ZN7rocprim17ROCPRIM_400000_NS6detail17trampoline_kernelINS0_14default_configENS1_35radix_sort_onesweep_config_selectorIlNS0_10empty_typeEEEZZNS1_29radix_sort_onesweep_iterationIS3_Lb0EPKlPlPS5_SB_mNS0_19identity_decomposerENS1_16block_id_wrapperIjLb0EEEEE10hipError_tT1_PNSt15iterator_traitsISG_E10value_typeET2_T3_PNSH_ISM_E10value_typeET4_T5_PSR_SS_PNS1_23onesweep_lookback_stateEbbT6_jjT7_P12ihipStream_tbENKUlT_T0_SG_SL_E_clISA_SA_SB_SB_EEDaSZ_S10_SG_SL_EUlSZ_E_NS1_11comp_targetILNS1_3genE0ELNS1_11target_archE4294967295ELNS1_3gpuE0ELNS1_3repE0EEENS1_47radix_sort_onesweep_sort_config_static_selectorELNS0_4arch9wavefront6targetE0EEEvSG_
; %bb.0:
	s_clause 0x3
	s_load_b96 s[20:22], s[0:1], 0x44
	s_load_b64 s[10:11], s[0:1], 0x38
	s_load_b128 s[16:19], s[0:1], 0x0
	s_load_b128 s[12:15], s[0:1], 0x28
	s_bfe_u32 s2, ttmp6, 0x4000c
	s_and_b32 s3, ttmp6, 15
	s_add_co_i32 s2, s2, 1
	s_getreg_b32 s4, hwreg(HW_REG_IB_STS2, 6, 4)
	s_mul_i32 s2, ttmp9, s2
	v_and_b32_e32 v32, 0x3ff, v0
	s_add_co_i32 s2, s3, s2
	s_cmp_eq_u32 s4, 0
	v_mbcnt_lo_u32_b32 v33, -1, 0
	s_cselect_b32 s9, ttmp9, s2
	s_mov_b32 s3, 0
	s_mov_b32 s2, -1
	s_add_nc_u64 s[24:25], s[0:1], 0x58
	s_wait_kmcnt 0x0
	s_cmp_ge_u32 s9, s22
	s_cbranch_scc0 .LBB1234_66
; %bb.1:
	v_dual_lshlrev_b32 v2, 3, v32 :: v_dual_lshlrev_b32 v6, 3, v33
	s_load_b32 s4, s[0:1], 0x20
	s_lshl_b32 s2, s9, 12
	v_mov_b64_e32 v[4:5], -1
	s_delay_alu instid0(VALU_DEP_2) | instskip(SKIP_2) | instid1(SALU_CYCLE_1)
	v_and_b32_e32 v1, 0xf00, v2
	v_mov_b32_e32 v7, 0
	s_lshl_b64 s[2:3], s[2:3], 3
	s_add_nc_u64 s[2:3], s[16:17], s[2:3]
	s_delay_alu instid0(VALU_DEP_1) | instid1(SALU_CYCLE_1)
	v_add_nc_u64_e32 v[8:9], s[2:3], v[6:7]
	v_dual_lshlrev_b32 v6, 3, v1 :: v_dual_bitop2_b32 v1, v33, v1 bitop3:0x54
	s_lshl_b32 s2, s22, 12
	s_delay_alu instid0(VALU_DEP_1)
	v_add_nc_u64_e32 v[20:21], v[8:9], v[6:7]
	v_mov_b64_e32 v[6:7], -1
	s_wait_kmcnt 0x0
	s_sub_co_i32 s22, s4, s2
	s_mov_b32 s2, exec_lo
	v_cmpx_gt_u32_e64 s22, v1
	s_cbranch_execz .LBB1234_3
; %bb.2:
	global_load_b64 v[6:7], v[20:21], off
	s_wait_loadcnt 0x0
	v_xor_b32_e32 v7, 0x80000000, v7
.LBB1234_3:
	s_or_b32 exec_lo, exec_lo, s2
	v_or_b32_e32 v3, 32, v1
	s_mov_b32 s2, exec_lo
	s_delay_alu instid0(VALU_DEP_1)
	v_cmpx_gt_u32_e64 s22, v3
	s_cbranch_execz .LBB1234_5
; %bb.4:
	global_load_b64 v[4:5], v[20:21], off offset:256
	s_wait_loadcnt 0x0
	v_xor_b32_e32 v5, 0x80000000, v5
.LBB1234_5:
	s_or_b32 exec_lo, exec_lo, s2
	v_mov_b64_e32 v[8:9], -1
	v_mov_b64_e32 v[10:11], -1
	v_or_b32_e32 v3, 64, v1
	s_mov_b32 s2, exec_lo
	s_delay_alu instid0(VALU_DEP_1)
	v_cmpx_gt_u32_e64 s22, v3
	s_cbranch_execz .LBB1234_7
; %bb.6:
	global_load_b64 v[10:11], v[20:21], off offset:512
	s_wait_loadcnt 0x0
	v_xor_b32_e32 v11, 0x80000000, v11
.LBB1234_7:
	s_or_b32 exec_lo, exec_lo, s2
	v_or_b32_e32 v3, 0x60, v1
	s_mov_b32 s2, exec_lo
	s_delay_alu instid0(VALU_DEP_1)
	v_cmpx_gt_u32_e64 s22, v3
	s_cbranch_execz .LBB1234_9
; %bb.8:
	global_load_b64 v[8:9], v[20:21], off offset:768
	s_wait_loadcnt 0x0
	v_xor_b32_e32 v9, 0x80000000, v9
.LBB1234_9:
	s_or_b32 exec_lo, exec_lo, s2
	v_mov_b64_e32 v[12:13], -1
	v_mov_b64_e32 v[14:15], -1
	v_or_b32_e32 v3, 0x80, v1
	s_mov_b32 s2, exec_lo
	s_delay_alu instid0(VALU_DEP_1)
	v_cmpx_gt_u32_e64 s22, v3
	s_cbranch_execz .LBB1234_11
; %bb.10:
	global_load_b64 v[14:15], v[20:21], off offset:1024
	s_wait_loadcnt 0x0
	v_xor_b32_e32 v15, 0x80000000, v15
.LBB1234_11:
	;; [unrolled: 24-line block ×3, first 2 shown]
	s_or_b32 exec_lo, exec_lo, s2
	v_or_b32_e32 v1, 0xe0, v1
	s_mov_b32 s2, exec_lo
	s_delay_alu instid0(VALU_DEP_1)
	v_cmpx_gt_u32_e64 s22, v1
	s_cbranch_execz .LBB1234_17
; %bb.16:
	global_load_b64 v[16:17], v[20:21], off offset:1792
	s_wait_loadcnt 0x0
	v_xor_b32_e32 v17, 0x80000000, v17
.LBB1234_17:
	s_or_b32 exec_lo, exec_lo, s2
	s_clause 0x1
	s_load_b32 s23, s[0:1], 0x58
	s_load_u16 s4, s[0:1], 0x66
	v_lshrrev_b64 v[20:21], s20, v[6:7]
	v_bfe_u32 v1, v0, 10, 10
	v_bfe_u32 v3, v0, 20, 10
	s_mov_b32 s3, 0
	s_wait_kmcnt 0x0
	s_cmp_lt_u32 s9, s23
	s_delay_alu instid0(VALU_DEP_1)
	v_mad_u32_u24 v1, v3, s4, v1
	s_cselect_b32 s2, 12, 18
	s_lshl_b32 s26, -1, s21
	s_add_nc_u64 s[2:3], s[24:25], s[2:3]
	v_bitop3_b32 v3, v20, 1, s26 bitop3:0x40
	s_load_u16 s27, s[2:3], 0x0
	v_bitop3_b32 v22, v20, s26, v20 bitop3:0x30
	s_wait_xcnt 0x0
	s_delay_alu instid0(VALU_DEP_2) | instskip(NEXT) | instid1(VALU_DEP_1)
	v_add_co_u32 v3, s2, v3, -1
	v_cndmask_b32_e64 v20, 0, 1, s2
	s_delay_alu instid0(VALU_DEP_3) | instskip(SKIP_1) | instid1(VALU_DEP_3)
	v_dual_lshlrev_b32 v21, 30, v22 :: v_dual_lshlrev_b32 v23, 29, v22
	v_dual_lshlrev_b32 v24, 28, v22 :: v_dual_lshlrev_b32 v25, 27, v22
	v_cmp_ne_u32_e32 vcc_lo, 0, v20
	s_delay_alu instid0(VALU_DEP_3)
	v_not_b32_e32 v20, v21
	v_dual_lshlrev_b32 v26, 26, v22 :: v_dual_lshlrev_b32 v27, 25, v22
	v_lshlrev_b32_e32 v28, 24, v22
	v_cmp_gt_i32_e64 s2, 0, v21
	v_cmp_gt_i32_e64 s3, 0, v23
	v_not_b32_e32 v21, v23
	v_not_b32_e32 v23, v24
	v_ashrrev_i32_e32 v20, 31, v20
	s_wait_kmcnt 0x0
	v_mad_u32 v1, v1, s27, v32
	v_cmp_gt_i32_e64 s4, 0, v24
	v_cmp_gt_i32_e64 s5, 0, v25
	v_not_b32_e32 v24, v25
	v_not_b32_e32 v25, v26
	v_dual_ashrrev_i32 v21, 31, v21 :: v_dual_bitop2_b32 v3, vcc_lo, v3 bitop3:0x14
	s_delay_alu instid0(VALU_DEP_3) | instskip(NEXT) | instid1(VALU_DEP_3)
	v_dual_ashrrev_i32 v23, 31, v23 :: v_dual_ashrrev_i32 v24, 31, v24
	v_dual_ashrrev_i32 v25, 31, v25 :: v_dual_bitop2_b32 v20, s2, v20 bitop3:0x14
	v_cmp_gt_i32_e64 s6, 0, v26
	v_cmp_gt_i32_e64 s7, 0, v27
	v_not_b32_e32 v26, v27
	v_not_b32_e32 v27, v28
	v_xor_b32_e32 v21, s3, v21
	v_dual_lshrrev_b32 v1, 5, v1 :: v_dual_bitop2_b32 v23, s4, v23 bitop3:0x14
	v_bitop3_b32 v3, v3, v20, exec_lo bitop3:0x80
	v_cmp_gt_i32_e64 s8, 0, v28
	v_dual_ashrrev_i32 v20, 31, v26 :: v_dual_ashrrev_i32 v26, 31, v27
	v_xor_b32_e32 v24, s5, v24
	v_xor_b32_e32 v25, s6, v25
	v_bitop3_b32 v3, v3, v23, v21 bitop3:0x80
	s_delay_alu instid0(VALU_DEP_4) | instskip(SKIP_1) | instid1(VALU_DEP_3)
	v_dual_mov_b32 v23, 0 :: v_dual_bitop2_b32 v21, s7, v20 bitop3:0x14
	v_dual_lshlrev_b32 v20, 2, v1 :: v_dual_bitop2_b32 v26, s8, v26 bitop3:0x14
	v_bitop3_b32 v24, v3, v25, v24 bitop3:0x80
	v_mul_u32_u24_e32 v3, 36, v32
	s_not_b32 s6, s26
	s_delay_alu instid0(VALU_DEP_3)
	v_mad_u32 v28, 0x44, v22, v20
	ds_store_2addr_b32 v3, v23, v23 offset0:16 offset1:17
	ds_store_2addr_b32 v3, v23, v23 offset0:18 offset1:19
	;; [unrolled: 1-line block ×4, first 2 shown]
	v_bitop3_b32 v21, v24, v26, v21 bitop3:0x80
	ds_store_b32 v3, v23 offset:96
	s_wait_dscnt 0x0
	s_barrier_signal -1
	s_barrier_wait -1
	v_mbcnt_lo_u32_b32 v1, v21, 0
	v_cmp_ne_u32_e64 s2, 0, v21
	; wave barrier
	s_delay_alu instid0(VALU_DEP_2) | instskip(SKIP_1) | instid1(SALU_CYCLE_1)
	v_cmp_eq_u32_e32 vcc_lo, 0, v1
	s_and_b32 s3, s2, vcc_lo
	s_and_saveexec_b32 s2, s3
; %bb.18:
	v_bcnt_u32_b32 v21, v21, 0
	ds_store_b32 v28, v21 offset:64
; %bb.19:
	s_or_b32 exec_lo, exec_lo, s2
	v_lshrrev_b64 v[22:23], s20, v[4:5]
	; wave barrier
	s_delay_alu instid0(VALU_DEP_1) | instskip(SKIP_1) | instid1(VALU_DEP_2)
	v_and_b32_e32 v21, s6, v22
	v_bitop3_b32 v22, v22, 1, s6 bitop3:0x80
	v_lshlrev_b32_e32 v24, 30, v21
	s_delay_alu instid0(VALU_DEP_2) | instskip(NEXT) | instid1(VALU_DEP_1)
	v_add_co_u32 v22, s2, v22, -1
	v_cndmask_b32_e64 v23, 0, 1, s2
	s_delay_alu instid0(VALU_DEP_1) | instskip(NEXT) | instid1(VALU_DEP_4)
	v_cmp_ne_u32_e32 vcc_lo, 0, v23
	v_not_b32_e32 v23, v24
	s_delay_alu instid0(VALU_DEP_1) | instskip(SKIP_4) | instid1(VALU_DEP_4)
	v_dual_ashrrev_i32 v23, 31, v23 :: v_dual_bitop2_b32 v22, vcc_lo, v22 bitop3:0x14
	v_dual_lshlrev_b32 v25, 29, v21 :: v_dual_lshlrev_b32 v26, 28, v21
	v_lshlrev_b32_e32 v27, 27, v21
	v_cmp_gt_i32_e64 s2, 0, v24
	v_mad_u32 v29, 0x44, v21, v20
	v_cmp_gt_i32_e64 s3, 0, v25
	v_not_b32_e32 v24, v25
	v_not_b32_e32 v25, v26
	v_dual_lshlrev_b32 v30, 26, v21 :: v_dual_lshlrev_b32 v31, 25, v21
	v_lshlrev_b32_e32 v21, 24, v21
	v_cmp_gt_i32_e64 s4, 0, v26
	v_not_b32_e32 v26, v27
	v_dual_ashrrev_i32 v24, 31, v24 :: v_dual_ashrrev_i32 v25, 31, v25
	v_xor_b32_e32 v23, s2, v23
	v_cmp_gt_i32_e64 s5, 0, v27
	v_not_b32_e32 v27, v30
	s_delay_alu instid0(VALU_DEP_4)
	v_dual_ashrrev_i32 v26, 31, v26 :: v_dual_bitop2_b32 v24, s3, v24 bitop3:0x14
	v_xor_b32_e32 v25, s4, v25
	v_bitop3_b32 v22, v22, v23, exec_lo bitop3:0x80
	v_cmp_gt_i32_e32 vcc_lo, 0, v30
	v_ashrrev_i32_e32 v23, 31, v27
	v_not_b32_e32 v27, v31
	v_xor_b32_e32 v26, s5, v26
	v_bitop3_b32 v22, v22, v25, v24 bitop3:0x80
	v_not_b32_e32 v24, v21
	v_xor_b32_e32 v23, vcc_lo, v23
	v_cmp_gt_i32_e32 vcc_lo, 0, v31
	v_ashrrev_i32_e32 v25, 31, v27
	v_cmp_gt_i32_e64 s2, 0, v21
	v_ashrrev_i32_e32 v21, 31, v24
	v_bitop3_b32 v22, v22, v23, v26 bitop3:0x80
	ds_load_b32 v34, v29 offset:64
	v_xor_b32_e32 v23, vcc_lo, v25
	v_xor_b32_e32 v21, s2, v21
	; wave barrier
	s_delay_alu instid0(VALU_DEP_1) | instskip(NEXT) | instid1(VALU_DEP_1)
	v_bitop3_b32 v21, v22, v21, v23 bitop3:0x80
	v_mbcnt_lo_u32_b32 v35, v21, 0
	v_cmp_ne_u32_e64 s2, 0, v21
	s_delay_alu instid0(VALU_DEP_2) | instskip(SKIP_1) | instid1(SALU_CYCLE_1)
	v_cmp_eq_u32_e32 vcc_lo, 0, v35
	s_and_b32 s3, s2, vcc_lo
	s_and_saveexec_b32 s2, s3
	s_cbranch_execz .LBB1234_21
; %bb.20:
	s_wait_dscnt 0x0
	v_bcnt_u32_b32 v21, v21, v34
	ds_store_b32 v29, v21 offset:64
.LBB1234_21:
	s_or_b32 exec_lo, exec_lo, s2
	v_lshrrev_b64 v[22:23], s20, v[10:11]
	; wave barrier
	s_delay_alu instid0(VALU_DEP_1) | instskip(SKIP_1) | instid1(VALU_DEP_2)
	v_and_b32_e32 v21, s6, v22
	v_bitop3_b32 v22, v22, 1, s6 bitop3:0x80
	v_lshlrev_b32_e32 v24, 30, v21
	s_delay_alu instid0(VALU_DEP_2) | instskip(NEXT) | instid1(VALU_DEP_1)
	v_add_co_u32 v22, s2, v22, -1
	v_cndmask_b32_e64 v23, 0, 1, s2
	s_delay_alu instid0(VALU_DEP_1) | instskip(NEXT) | instid1(VALU_DEP_4)
	v_cmp_ne_u32_e32 vcc_lo, 0, v23
	v_not_b32_e32 v23, v24
	s_delay_alu instid0(VALU_DEP_1) | instskip(SKIP_4) | instid1(VALU_DEP_4)
	v_dual_ashrrev_i32 v23, 31, v23 :: v_dual_bitop2_b32 v22, vcc_lo, v22 bitop3:0x14
	v_dual_lshlrev_b32 v25, 29, v21 :: v_dual_lshlrev_b32 v26, 28, v21
	v_lshlrev_b32_e32 v27, 27, v21
	v_cmp_gt_i32_e64 s2, 0, v24
	v_mad_u32 v30, 0x44, v21, v20
	v_cmp_gt_i32_e64 s3, 0, v25
	v_not_b32_e32 v24, v25
	v_not_b32_e32 v25, v26
	v_dual_lshlrev_b32 v31, 26, v21 :: v_dual_lshlrev_b32 v36, 25, v21
	v_lshlrev_b32_e32 v21, 24, v21
	v_cmp_gt_i32_e64 s4, 0, v26
	v_not_b32_e32 v26, v27
	v_dual_ashrrev_i32 v24, 31, v24 :: v_dual_ashrrev_i32 v25, 31, v25
	v_xor_b32_e32 v23, s2, v23
	v_cmp_gt_i32_e64 s5, 0, v27
	v_not_b32_e32 v27, v31
	s_delay_alu instid0(VALU_DEP_4)
	v_dual_ashrrev_i32 v26, 31, v26 :: v_dual_bitop2_b32 v24, s3, v24 bitop3:0x14
	v_xor_b32_e32 v25, s4, v25
	v_bitop3_b32 v22, v22, v23, exec_lo bitop3:0x80
	v_cmp_gt_i32_e32 vcc_lo, 0, v31
	v_ashrrev_i32_e32 v23, 31, v27
	v_not_b32_e32 v27, v36
	v_xor_b32_e32 v26, s5, v26
	v_bitop3_b32 v22, v22, v25, v24 bitop3:0x80
	v_not_b32_e32 v24, v21
	v_xor_b32_e32 v23, vcc_lo, v23
	v_cmp_gt_i32_e32 vcc_lo, 0, v36
	v_ashrrev_i32_e32 v25, 31, v27
	v_cmp_gt_i32_e64 s2, 0, v21
	v_ashrrev_i32_e32 v21, 31, v24
	v_bitop3_b32 v22, v22, v23, v26 bitop3:0x80
	ds_load_b32 v36, v30 offset:64
	v_xor_b32_e32 v23, vcc_lo, v25
	v_xor_b32_e32 v21, s2, v21
	; wave barrier
	s_delay_alu instid0(VALU_DEP_1) | instskip(NEXT) | instid1(VALU_DEP_1)
	v_bitop3_b32 v21, v22, v21, v23 bitop3:0x80
	v_mbcnt_lo_u32_b32 v37, v21, 0
	v_cmp_ne_u32_e64 s2, 0, v21
	s_delay_alu instid0(VALU_DEP_2) | instskip(SKIP_1) | instid1(SALU_CYCLE_1)
	v_cmp_eq_u32_e32 vcc_lo, 0, v37
	s_and_b32 s3, s2, vcc_lo
	s_and_saveexec_b32 s2, s3
	s_cbranch_execz .LBB1234_23
; %bb.22:
	s_wait_dscnt 0x0
	v_bcnt_u32_b32 v21, v21, v36
	ds_store_b32 v30, v21 offset:64
.LBB1234_23:
	;; [unrolled: 64-line block ×6, first 2 shown]
	s_or_b32 exec_lo, exec_lo, s2
	v_lshrrev_b64 v[22:23], s20, v[16:17]
	; wave barrier
	s_delay_alu instid0(VALU_DEP_1) | instskip(SKIP_1) | instid1(VALU_DEP_2)
	v_and_b32_e32 v21, s6, v22
	v_bitop3_b32 v22, v22, 1, s6 bitop3:0x80
	v_mad_u32 v51, 0x44, v21, v20
	s_delay_alu instid0(VALU_DEP_2) | instskip(NEXT) | instid1(VALU_DEP_1)
	v_add_co_u32 v20, s2, v22, -1
	v_cndmask_b32_e64 v22, 0, 1, s2
	v_lshlrev_b32_e32 v23, 30, v21
	s_delay_alu instid0(VALU_DEP_2) | instskip(NEXT) | instid1(VALU_DEP_2)
	v_cmp_ne_u32_e32 vcc_lo, 0, v22
	v_not_b32_e32 v22, v23
	s_delay_alu instid0(VALU_DEP_1) | instskip(SKIP_4) | instid1(VALU_DEP_4)
	v_dual_ashrrev_i32 v22, 31, v22 :: v_dual_bitop2_b32 v20, vcc_lo, v20 bitop3:0x14
	v_dual_lshlrev_b32 v24, 29, v21 :: v_dual_lshlrev_b32 v25, 28, v21
	v_lshlrev_b32_e32 v26, 27, v21
	v_cmp_gt_i32_e64 s2, 0, v23
	v_dual_lshlrev_b32 v27, 26, v21 :: v_dual_lshlrev_b32 v49, 25, v21
	v_cmp_gt_i32_e64 s3, 0, v24
	v_not_b32_e32 v23, v24
	v_not_b32_e32 v24, v25
	v_lshlrev_b32_e32 v21, 24, v21
	v_cmp_gt_i32_e64 s4, 0, v25
	v_not_b32_e32 v25, v26
	s_delay_alu instid0(VALU_DEP_4) | instskip(SKIP_3) | instid1(VALU_DEP_4)
	v_dual_ashrrev_i32 v23, 31, v23 :: v_dual_ashrrev_i32 v24, 31, v24
	v_xor_b32_e32 v22, s2, v22
	v_cmp_gt_i32_e64 s5, 0, v26
	v_not_b32_e32 v26, v27
	v_dual_ashrrev_i32 v25, 31, v25 :: v_dual_bitop2_b32 v23, s3, v23 bitop3:0x14
	v_xor_b32_e32 v24, s4, v24
	v_bitop3_b32 v20, v20, v22, exec_lo bitop3:0x80
	v_cmp_gt_i32_e32 vcc_lo, 0, v27
	v_ashrrev_i32_e32 v22, 31, v26
	v_not_b32_e32 v26, v49
	v_xor_b32_e32 v25, s5, v25
	v_bitop3_b32 v20, v20, v24, v23 bitop3:0x80
	v_not_b32_e32 v23, v21
	v_xor_b32_e32 v22, vcc_lo, v22
	v_cmp_gt_i32_e32 vcc_lo, 0, v49
	v_ashrrev_i32_e32 v24, 31, v26
	v_cmp_gt_i32_e64 s2, 0, v21
	v_ashrrev_i32_e32 v21, 31, v23
	v_bitop3_b32 v20, v20, v22, v25 bitop3:0x80
	ds_load_b32 v49, v51 offset:64
	v_xor_b32_e32 v22, vcc_lo, v24
	v_xor_b32_e32 v21, s2, v21
	; wave barrier
	s_delay_alu instid0(VALU_DEP_1) | instskip(NEXT) | instid1(VALU_DEP_1)
	v_bitop3_b32 v20, v20, v21, v22 bitop3:0x80
	v_mbcnt_lo_u32_b32 v50, v20, 0
	v_cmp_ne_u32_e64 s2, 0, v20
	s_delay_alu instid0(VALU_DEP_2) | instskip(SKIP_1) | instid1(SALU_CYCLE_1)
	v_cmp_eq_u32_e32 vcc_lo, 0, v50
	s_and_b32 s3, s2, vcc_lo
	s_and_saveexec_b32 s2, s3
	s_cbranch_execz .LBB1234_33
; %bb.32:
	s_wait_dscnt 0x0
	v_bcnt_u32_b32 v20, v20, v49
	ds_store_b32 v51, v20 offset:64
.LBB1234_33:
	s_or_b32 exec_lo, exec_lo, s2
	; wave barrier
	s_wait_dscnt 0x0
	s_barrier_signal -1
	s_barrier_wait -1
	ds_load_2addr_b32 v[26:27], v3 offset0:16 offset1:17
	ds_load_2addr_b32 v[24:25], v3 offset0:18 offset1:19
	;; [unrolled: 1-line block ×4, first 2 shown]
	ds_load_b32 v52, v3 offset:96
	v_bfe_i32 v55, v33, 4, 1
	s_mov_b32 s7, exec_lo
	s_wait_dscnt 0x3
	v_add3_u32 v53, v27, v26, v24
	s_wait_dscnt 0x2
	s_delay_alu instid0(VALU_DEP_1) | instskip(SKIP_1) | instid1(VALU_DEP_1)
	v_add3_u32 v53, v53, v25, v22
	s_wait_dscnt 0x1
	v_add3_u32 v53, v53, v23, v20
	s_wait_dscnt 0x0
	s_delay_alu instid0(VALU_DEP_1) | instskip(SKIP_1) | instid1(VALU_DEP_2)
	v_add3_u32 v52, v53, v21, v52
	v_and_b32_e32 v53, 15, v33
	v_mov_b32_dpp v54, v52 row_shr:1 row_mask:0xf bank_mask:0xf
	s_delay_alu instid0(VALU_DEP_2) | instskip(NEXT) | instid1(VALU_DEP_2)
	v_cmp_eq_u32_e32 vcc_lo, 0, v53
	v_cndmask_b32_e64 v54, v54, 0, vcc_lo
	s_delay_alu instid0(VALU_DEP_1) | instskip(SKIP_3) | instid1(VALU_DEP_4)
	v_add_nc_u32_e32 v52, v54, v52
	v_cmp_lt_u32_e64 s2, 1, v53
	v_cmp_lt_u32_e64 s3, 3, v53
	;; [unrolled: 1-line block ×3, first 2 shown]
	v_mov_b32_dpp v54, v52 row_shr:2 row_mask:0xf bank_mask:0xf
	s_delay_alu instid0(VALU_DEP_1) | instskip(NEXT) | instid1(VALU_DEP_1)
	v_cndmask_b32_e64 v54, 0, v54, s2
	v_add_nc_u32_e32 v52, v52, v54
	s_delay_alu instid0(VALU_DEP_1) | instskip(NEXT) | instid1(VALU_DEP_1)
	v_mov_b32_dpp v54, v52 row_shr:4 row_mask:0xf bank_mask:0xf
	v_cndmask_b32_e64 v54, 0, v54, s3
	s_delay_alu instid0(VALU_DEP_1) | instskip(NEXT) | instid1(VALU_DEP_1)
	v_add_nc_u32_e32 v52, v52, v54
	v_mov_b32_dpp v54, v52 row_shr:8 row_mask:0xf bank_mask:0xf
	s_delay_alu instid0(VALU_DEP_1) | instskip(SKIP_1) | instid1(VALU_DEP_2)
	v_cndmask_b32_e64 v53, 0, v54, s4
	v_and_b32_e32 v54, 0x3e0, v32
	v_add_nc_u32_e32 v52, v52, v53
	s_delay_alu instid0(VALU_DEP_2) | instskip(SKIP_3) | instid1(VALU_DEP_1)
	v_min_u32_e32 v54, 0x1e0, v54
	ds_swizzle_b32 v53, v52 offset:swizzle(BROADCAST,32,15)
	s_wait_dscnt 0x0
	v_dual_lshrrev_b32 v53, 5, v32 :: v_dual_bitop2_b32 v55, v55, v53 bitop3:0x40
	v_dual_add_nc_u32 v52, v52, v55 :: v_dual_bitop2_b32 v54, 31, v54 bitop3:0x54
	s_delay_alu instid0(VALU_DEP_1)
	v_cmpx_eq_u32_e64 v32, v54
; %bb.34:
	s_delay_alu instid0(VALU_DEP_3)
	v_lshlrev_b32_e32 v54, 2, v53
	ds_store_b32 v54, v52
; %bb.35:
	s_or_b32 exec_lo, exec_lo, s7
	s_delay_alu instid0(SALU_CYCLE_1)
	s_mov_b32 s7, exec_lo
	s_wait_dscnt 0x0
	s_barrier_signal -1
	s_barrier_wait -1
	v_cmpx_gt_u32_e32 16, v32
	s_cbranch_execz .LBB1234_37
; %bb.36:
	v_lshlrev_b32_e32 v54, 2, v32
	ds_load_b32 v55, v54
	s_wait_dscnt 0x0
	v_mov_b32_dpp v56, v55 row_shr:1 row_mask:0xf bank_mask:0xf
	s_delay_alu instid0(VALU_DEP_1) | instskip(NEXT) | instid1(VALU_DEP_1)
	v_cndmask_b32_e64 v56, v56, 0, vcc_lo
	v_add_nc_u32_e32 v55, v56, v55
	s_delay_alu instid0(VALU_DEP_1) | instskip(NEXT) | instid1(VALU_DEP_1)
	v_mov_b32_dpp v56, v55 row_shr:2 row_mask:0xf bank_mask:0xf
	v_cndmask_b32_e64 v56, 0, v56, s2
	s_delay_alu instid0(VALU_DEP_1) | instskip(NEXT) | instid1(VALU_DEP_1)
	v_add_nc_u32_e32 v55, v55, v56
	v_mov_b32_dpp v56, v55 row_shr:4 row_mask:0xf bank_mask:0xf
	s_delay_alu instid0(VALU_DEP_1) | instskip(NEXT) | instid1(VALU_DEP_1)
	v_cndmask_b32_e64 v56, 0, v56, s3
	v_add_nc_u32_e32 v55, v55, v56
	s_delay_alu instid0(VALU_DEP_1) | instskip(NEXT) | instid1(VALU_DEP_1)
	v_mov_b32_dpp v56, v55 row_shr:8 row_mask:0xf bank_mask:0xf
	v_cndmask_b32_e64 v56, 0, v56, s4
	s_delay_alu instid0(VALU_DEP_1)
	v_add_nc_u32_e32 v55, v55, v56
	ds_store_b32 v54, v55
.LBB1234_37:
	s_or_b32 exec_lo, exec_lo, s7
	v_mov_b32_e32 v54, 0
	s_mov_b32 s2, exec_lo
	s_wait_dscnt 0x0
	s_barrier_signal -1
	s_barrier_wait -1
	v_cmpx_lt_u32_e32 31, v32
; %bb.38:
	v_lshl_add_u32 v53, v53, 2, -4
	ds_load_b32 v54, v53
; %bb.39:
	s_or_b32 exec_lo, exec_lo, s2
	v_sub_co_u32 v53, vcc_lo, v33, 1
	s_wait_dscnt 0x0
	v_add_nc_u32_e32 v52, v54, v52
	s_delay_alu instid0(VALU_DEP_2) | instskip(NEXT) | instid1(VALU_DEP_1)
	v_cmp_gt_i32_e64 s2, 0, v53
	v_cndmask_b32_e64 v53, v53, v33, s2
	v_cmp_lt_u32_e64 s2, 0xff, v32
	s_delay_alu instid0(VALU_DEP_2) | instskip(SKIP_4) | instid1(VALU_DEP_2)
	v_lshlrev_b32_e32 v53, 2, v53
	ds_bpermute_b32 v52, v53, v52
	s_wait_dscnt 0x0
	v_cndmask_b32_e32 v52, v52, v54, vcc_lo
	v_cmp_ne_u32_e32 vcc_lo, 0, v32
	v_cndmask_b32_e32 v52, 0, v52, vcc_lo
	v_cmp_gt_u32_e32 vcc_lo, 0x100, v32
	s_delay_alu instid0(VALU_DEP_2) | instskip(NEXT) | instid1(VALU_DEP_1)
	v_add_nc_u32_e32 v26, v52, v26
	v_add_nc_u32_e32 v27, v26, v27
	s_delay_alu instid0(VALU_DEP_1) | instskip(NEXT) | instid1(VALU_DEP_1)
	v_add_nc_u32_e32 v24, v27, v24
	v_add_nc_u32_e32 v25, v24, v25
	s_delay_alu instid0(VALU_DEP_1) | instskip(NEXT) | instid1(VALU_DEP_1)
	;; [unrolled: 3-line block ×3, first 2 shown]
	v_add_nc_u32_e32 v20, v23, v20
	v_add_nc_u32_e32 v21, v20, v21
	ds_store_2addr_b32 v3, v52, v26 offset0:16 offset1:17
	ds_store_2addr_b32 v3, v27, v24 offset0:18 offset1:19
	;; [unrolled: 1-line block ×4, first 2 shown]
	ds_store_b32 v3, v21 offset:96
	s_wait_dscnt 0x0
	s_barrier_signal -1
	s_barrier_wait -1
	ds_load_b32 v54, v28 offset:64
	ds_load_b32 v23, v29 offset:64
	;; [unrolled: 1-line block ×8, first 2 shown]
	v_mov_b64_e32 v[20:21], 0
                                        ; implicit-def: $vgpr22
	s_and_saveexec_b32 s4, vcc_lo
	s_cbranch_execz .LBB1234_43
; %bb.40:
	v_mul_u32_u24_e32 v3, 0x44, v32
	v_add_nc_u32_e32 v21, 1, v32
	s_mov_b32 s5, exec_lo
	ds_load_b32 v20, v3 offset:64
	v_mov_b32_e32 v3, 0x1000
	v_cmpx_ne_u32_e32 0x100, v21
; %bb.41:
	v_mul_u32_u24_e32 v3, 0x44, v21
	ds_load_b32 v3, v3 offset:64
; %bb.42:
	s_or_b32 exec_lo, exec_lo, s5
	s_wait_dscnt 0x0
	v_dual_mov_b32 v21, 0 :: v_dual_sub_nc_u32 v22, v3, v20
.LBB1234_43:
	s_or_b32 exec_lo, exec_lo, s4
	v_mov_b32_e32 v25, 0
	s_wait_dscnt 0x0
	s_barrier_signal -1
	s_barrier_wait -1
	s_and_saveexec_b32 s3, vcc_lo
	s_cbranch_execz .LBB1234_53
; %bb.44:
	v_lshl_add_u32 v24, s9, 8, v32
	v_dual_mov_b32 v28, 0 :: v_dual_bitop2_b32 v3, 2.0, v22 bitop3:0x54
	s_mov_b32 s4, 0
	s_mov_b32 s5, s9
	s_delay_alu instid0(VALU_DEP_2)
	v_lshl_add_u64 v[26:27], v[24:25], 2, s[10:11]
	global_store_b32 v24, v3, s[10:11] scale_offset scope:SCOPE_DEV
                                        ; implicit-def: $sgpr7
	s_branch .LBB1234_47
.LBB1234_45:                            ;   in Loop: Header=BB1234_47 Depth=1
	s_or_b32 exec_lo, exec_lo, s8
.LBB1234_46:                            ;   in Loop: Header=BB1234_47 Depth=1
	s_delay_alu instid0(SALU_CYCLE_1) | instskip(SKIP_2) | instid1(VALU_DEP_2)
	s_or_b32 exec_lo, exec_lo, s7
	v_and_b32_e32 v24, 0x3fffffff, v3
	v_cmp_gt_i32_e64 s7, -2.0, v3
	v_add_nc_u32_e32 v28, v24, v28
	s_and_b32 s8, exec_lo, s7
	s_delay_alu instid0(SALU_CYCLE_1) | instskip(NEXT) | instid1(SALU_CYCLE_1)
	s_or_b32 s4, s8, s4
	s_and_not1_b32 exec_lo, exec_lo, s4
	s_cbranch_execz .LBB1234_52
.LBB1234_47:                            ; =>This Loop Header: Depth=1
                                        ;     Child Loop BB1234_50 Depth 2
	s_or_b32 s7, s7, exec_lo
	s_cmp_eq_u32 s5, 0
	s_cbranch_scc1 .LBB1234_51
; %bb.48:                               ;   in Loop: Header=BB1234_47 Depth=1
	s_add_co_i32 s5, s5, -1
	s_mov_b32 s7, exec_lo
	s_wait_xcnt 0x0
	v_lshl_or_b32 v24, s5, 8, v32
	global_load_b32 v3, v24, s[10:11] scale_offset scope:SCOPE_DEV
	s_wait_loadcnt 0x0
	v_cmpx_gt_u32_e32 2.0, v3
	s_cbranch_execz .LBB1234_46
; %bb.49:                               ;   in Loop: Header=BB1234_47 Depth=1
	v_lshl_add_u64 v[30:31], v[24:25], 2, s[10:11]
	s_mov_b32 s8, 0
.LBB1234_50:                            ;   Parent Loop BB1234_47 Depth=1
                                        ; =>  This Inner Loop Header: Depth=2
	global_load_b32 v3, v[30:31], off scope:SCOPE_DEV
	s_wait_loadcnt 0x0
	v_cmp_lt_u32_e32 vcc_lo, 0x3fffffff, v3
	s_or_b32 s8, vcc_lo, s8
	s_wait_xcnt 0x0
	s_and_not1_b32 exec_lo, exec_lo, s8
	s_cbranch_execnz .LBB1234_50
	s_branch .LBB1234_45
.LBB1234_51:                            ;   in Loop: Header=BB1234_47 Depth=1
                                        ; implicit-def: $sgpr5
	s_and_b32 s8, exec_lo, s7
	s_delay_alu instid0(SALU_CYCLE_1)
	s_or_b32 s4, s8, s4
	s_wait_xcnt 0x0
	s_and_not1_b32 exec_lo, exec_lo, s4
	s_cbranch_execnz .LBB1234_47
.LBB1234_52:
	s_or_b32 exec_lo, exec_lo, s4
	v_dual_add_nc_u32 v3, v28, v22 :: v_dual_mov_b32 v29, 0
	s_delay_alu instid0(VALU_DEP_1)
	v_or_b32_e32 v3, 0x80000000, v3
	global_store_b32 v[26:27], v3, off scope:SCOPE_DEV
	global_load_b64 v[24:25], v32, s[12:13] scale_offset
	s_wait_xcnt 0x1
	v_sub_nc_u64_e32 v[26:27], v[28:29], v[20:21]
	s_wait_loadcnt 0x0
	s_delay_alu instid0(VALU_DEP_1)
	v_add_nc_u64_e32 v[24:25], v[26:27], v[24:25]
	ds_store_b64 v2, v[24:25]
.LBB1234_53:
	s_wait_xcnt 0x0
	s_or_b32 exec_lo, exec_lo, s3
	v_dual_mov_b32 v3, 0 :: v_dual_add_nc_u32 v1, v54, v1
	v_add3_u32 v26, v47, v48, v46
	v_add3_u32 v27, v44, v45, v42
	;; [unrolled: 1-line block ×3, first 2 shown]
	s_delay_alu instid0(VALU_DEP_4)
	v_add_nc_u64_e32 v[24:25], s[18:19], v[2:3]
	v_add3_u32 v3, v50, v51, v49
	v_add3_u32 v29, v39, v53, v38
	;; [unrolled: 1-line block ×4, first 2 shown]
	v_mov_b32_e32 v31, v32
	s_mov_b32 s4, -1
	v_add_nc_u64_e32 v[24:25], 0x3000, v[24:25]
	s_mov_b32 s3, 0
	s_branch .LBB1234_55
.LBB1234_54:                            ;   in Loop: Header=BB1234_55 Depth=1
	s_wait_xcnt 0x0
	s_or_b32 exec_lo, exec_lo, s5
	v_add_nc_u64_e32 v[24:25], 0x4000, v[24:25]
	v_add_nc_u32_e32 v31, 0x800, v31
	s_xor_b32 s4, s4, -1
	s_addk_co_i32 s3, 0xf800
	s_and_b32 vcc_lo, exec_lo, s4
	s_mov_b32 s4, 0
	s_wait_storecnt 0x0
	s_barrier_signal -1
	s_barrier_wait -1
	s_cbranch_vccnz .LBB1234_63
.LBB1234_55:                            ; =>This Inner Loop Header: Depth=1
	v_add_min_u32_e64 v34, v1, s3, 0x800
	v_add_min_u32_e64 v35, v23, s3, 0x800
	;; [unrolled: 1-line block ×5, first 2 shown]
	s_delay_alu instid0(VALU_DEP_4) | instskip(NEXT) | instid1(VALU_DEP_3)
	v_dual_lshlrev_b32 v34, 3, v34 :: v_dual_lshlrev_b32 v35, 3, v35
	v_dual_lshlrev_b32 v36, 3, v36 :: v_dual_lshlrev_b32 v37, 3, v37
	s_mov_b32 s5, exec_lo
	ds_store_b64 v34, v[6:7] offset:2048
	ds_store_b64 v35, v[4:5] offset:2048
	;; [unrolled: 1-line block ×3, first 2 shown]
	v_add_min_u32_e64 v34, v27, s3, 0x800
	v_add_min_u32_e64 v35, v26, s3, 0x800
	;; [unrolled: 1-line block ×3, first 2 shown]
	v_lshlrev_b32_e32 v38, 3, v38
	s_delay_alu instid0(VALU_DEP_3) | instskip(NEXT) | instid1(VALU_DEP_3)
	v_dual_lshlrev_b32 v34, 3, v34 :: v_dual_lshlrev_b32 v35, 3, v35
	v_lshlrev_b32_e32 v36, 3, v36
	ds_store_b64 v37, v[8:9] offset:2048
	ds_store_b64 v38, v[14:15] offset:2048
	;; [unrolled: 1-line block ×5, first 2 shown]
	s_wait_storecnt_dscnt 0x0
	s_barrier_signal -1
	s_barrier_wait -1
	v_cmpx_gt_u32_e64 s22, v31
	s_cbranch_execz .LBB1234_57
; %bb.56:                               ;   in Loop: Header=BB1234_55 Depth=1
	ds_load_b64 v[34:35], v2 offset:2048
	s_wait_dscnt 0x0
	v_lshrrev_b64 v[36:37], s20, v[34:35]
	v_xor_b32_e32 v35, 0x80000000, v35
	s_delay_alu instid0(VALU_DEP_2) | instskip(NEXT) | instid1(VALU_DEP_1)
	v_and_b32_e32 v36, s6, v36
	v_lshlrev_b32_e32 v36, 3, v36
	ds_load_b64 v[36:37], v36
	s_wait_dscnt 0x0
	v_lshl_add_u64 v[36:37], v[36:37], 3, v[24:25]
	global_store_b64 v[36:37], v[34:35], off offset:-12288
.LBB1234_57:                            ;   in Loop: Header=BB1234_55 Depth=1
	s_wait_xcnt 0x0
	s_or_b32 exec_lo, exec_lo, s5
	v_add_nc_u32_e32 v34, 0x200, v31
	s_mov_b32 s5, exec_lo
	s_delay_alu instid0(VALU_DEP_1)
	v_cmpx_gt_u32_e64 s22, v34
	s_cbranch_execz .LBB1234_59
; %bb.58:                               ;   in Loop: Header=BB1234_55 Depth=1
	ds_load_b64 v[34:35], v2 offset:6144
	s_wait_dscnt 0x0
	v_lshrrev_b64 v[36:37], s20, v[34:35]
	v_xor_b32_e32 v35, 0x80000000, v35
	s_delay_alu instid0(VALU_DEP_2) | instskip(NEXT) | instid1(VALU_DEP_1)
	v_and_b32_e32 v36, s6, v36
	v_lshlrev_b32_e32 v36, 3, v36
	ds_load_b64 v[36:37], v36
	s_wait_dscnt 0x0
	v_lshl_add_u64 v[36:37], v[36:37], 3, v[24:25]
	global_store_b64 v[36:37], v[34:35], off offset:-8192
.LBB1234_59:                            ;   in Loop: Header=BB1234_55 Depth=1
	s_wait_xcnt 0x0
	s_or_b32 exec_lo, exec_lo, s5
	v_add_nc_u32_e32 v34, 0x400, v31
	s_mov_b32 s5, exec_lo
	s_delay_alu instid0(VALU_DEP_1)
	;; [unrolled: 20-line block ×3, first 2 shown]
	v_cmpx_gt_u32_e64 s22, v34
	s_cbranch_execz .LBB1234_54
; %bb.62:                               ;   in Loop: Header=BB1234_55 Depth=1
	ds_load_b64 v[34:35], v2 offset:14336
	s_wait_dscnt 0x0
	v_lshrrev_b64 v[36:37], s20, v[34:35]
	v_xor_b32_e32 v35, 0x80000000, v35
	s_delay_alu instid0(VALU_DEP_2) | instskip(NEXT) | instid1(VALU_DEP_1)
	v_and_b32_e32 v36, s6, v36
	v_lshlrev_b32_e32 v36, 3, v36
	ds_load_b64 v[36:37], v36
	s_wait_dscnt 0x0
	v_lshl_add_u64 v[36:37], v[36:37], 3, v[24:25]
	global_store_b64 v[36:37], v[34:35], off
	s_branch .LBB1234_54
.LBB1234_63:
	s_add_co_i32 s23, s23, -1
	s_delay_alu instid0(SALU_CYCLE_1) | instskip(SKIP_2) | instid1(SALU_CYCLE_1)
	s_cmp_eq_u32 s9, s23
	s_cselect_b32 s3, -1, 0
	s_xor_b32 s2, s2, -1
	s_and_b32 s3, s2, s3
	s_delay_alu instid0(SALU_CYCLE_1)
	s_and_saveexec_b32 s2, s3
	s_cbranch_execz .LBB1234_65
; %bb.64:
	ds_load_b64 v[2:3], v2
	v_mov_b32_e32 v23, 0
	s_delay_alu instid0(VALU_DEP_1) | instskip(SKIP_1) | instid1(VALU_DEP_1)
	v_add_nc_u64_e32 v[4:5], v[20:21], v[22:23]
	s_wait_dscnt 0x0
	v_add_nc_u64_e32 v[2:3], v[4:5], v[2:3]
	global_store_b64 v32, v[2:3], s[14:15] scale_offset
.LBB1234_65:
	s_wait_xcnt 0x0
	s_or_b32 exec_lo, exec_lo, s2
	s_mov_b32 s2, 0
.LBB1234_66:
	s_delay_alu instid0(SALU_CYCLE_1)
	s_and_b32 vcc_lo, exec_lo, s2
	s_cbranch_vccz .LBB1234_107
; %bb.67:
	s_lshl_b32 s2, s9, 12
	s_mov_b32 s3, 0
	v_dual_mov_b32 v19, 0 :: v_dual_lshlrev_b32 v18, 3, v33
	s_lshl_b64 s[4:5], s[2:3], 3
	v_lshlrev_b32_e32 v1, 6, v32
	s_add_nc_u64 s[4:5], s[16:17], s[4:5]
	s_delay_alu instid0(VALU_DEP_2) | instid1(SALU_CYCLE_1)
	v_add_nc_u64_e32 v[2:3], s[4:5], v[18:19]
	s_delay_alu instid0(VALU_DEP_2) | instskip(NEXT) | instid1(VALU_DEP_1)
	v_and_b32_e32 v18, 0x7800, v1
	v_add_nc_u64_e32 v[20:21], v[2:3], v[18:19]
	v_bfe_u32 v18, v0, 10, 10
	s_clause 0x7
	global_load_b64 v[2:3], v[20:21], off
	global_load_b64 v[4:5], v[20:21], off offset:256
	global_load_b64 v[6:7], v[20:21], off offset:512
	;; [unrolled: 1-line block ×7, first 2 shown]
	s_clause 0x1
	s_load_b32 s7, s[0:1], 0x58
	s_load_u16 s4, s[0:1], 0x66
	v_bfe_u32 v20, v0, 20, 10
	s_wait_kmcnt 0x0
	s_cmp_lt_u32 s9, s7
	s_cselect_b32 s2, 12, 18
	s_lshl_b32 s8, -1, s21
	s_add_nc_u64 s[0:1], s[24:25], s[2:3]
	s_load_u16 s0, s[0:1], 0x0
	s_wait_loadcnt 0x7
	v_xor_b32_e32 v3, 0x80000000, v3
	s_delay_alu instid0(VALU_DEP_1) | instskip(SKIP_1) | instid1(VALU_DEP_2)
	v_lshrrev_b64 v[0:1], s20, v[2:3]
	v_mad_u32_u24 v1, v20, s4, v18
	v_bitop3_b32 v18, v0, 1, s8 bitop3:0x40
	v_bitop3_b32 v20, v0, s8, v0 bitop3:0x30
	s_wait_kmcnt 0x0
	s_delay_alu instid0(VALU_DEP_3) | instskip(NEXT) | instid1(VALU_DEP_3)
	v_mad_u32 v0, v1, s0, v32
	v_add_co_u32 v1, s0, v18, -1
	s_delay_alu instid0(VALU_DEP_1) | instskip(SKIP_2) | instid1(VALU_DEP_3)
	v_cndmask_b32_e64 v18, 0, 1, s0
	v_dual_lshlrev_b32 v21, 30, v20 :: v_dual_lshlrev_b32 v22, 29, v20
	v_dual_lshlrev_b32 v23, 28, v20 :: v_dual_lshlrev_b32 v24, 27, v20
	v_cmp_ne_u32_e32 vcc_lo, 0, v18
	s_delay_alu instid0(VALU_DEP_3)
	v_not_b32_e32 v18, v21
	v_dual_lshlrev_b32 v25, 26, v20 :: v_dual_lshlrev_b32 v26, 25, v20
	v_cmp_gt_i32_e64 s0, 0, v21
	v_cmp_gt_i32_e64 s1, 0, v22
	v_not_b32_e32 v21, v22
	v_not_b32_e32 v22, v23
	v_dual_ashrrev_i32 v18, 31, v18 :: v_dual_lshlrev_b32 v27, 24, v20
	v_xor_b32_e32 v1, vcc_lo, v1
	v_cmp_gt_i32_e64 s2, 0, v23
	v_cmp_gt_i32_e64 s3, 0, v24
	v_not_b32_e32 v23, v24
	v_not_b32_e32 v24, v25
	v_dual_ashrrev_i32 v21, 31, v21 :: v_dual_ashrrev_i32 v22, 31, v22
	s_delay_alu instid0(VALU_DEP_3)
	v_dual_ashrrev_i32 v23, 31, v23 :: v_dual_bitop2_b32 v18, s0, v18 bitop3:0x14
	v_cmp_gt_i32_e64 s4, 0, v25
	v_cmp_gt_i32_e64 s5, 0, v26
	v_not_b32_e32 v25, v26
	v_not_b32_e32 v26, v27
	v_dual_ashrrev_i32 v24, 31, v24 :: v_dual_bitop2_b32 v21, s1, v21 bitop3:0x14
	v_xor_b32_e32 v22, s2, v22
	v_bitop3_b32 v1, v1, v18, exec_lo bitop3:0x80
	v_cmp_gt_i32_e64 s6, 0, v27
	v_dual_ashrrev_i32 v18, 31, v25 :: v_dual_ashrrev_i32 v25, 31, v26
	v_xor_b32_e32 v23, s3, v23
	v_xor_b32_e32 v24, s4, v24
	v_bitop3_b32 v1, v1, v22, v21 bitop3:0x80
	s_delay_alu instid0(VALU_DEP_4) | instskip(SKIP_2) | instid1(VALU_DEP_3)
	v_dual_lshrrev_b32 v0, 5, v0 :: v_dual_bitop2_b32 v18, s5, v18 bitop3:0x14
	v_xor_b32_e32 v21, s6, v25
	s_not_b32 s5, s8
	v_bitop3_b32 v1, v1, v24, v23 bitop3:0x80
	s_delay_alu instid0(VALU_DEP_3)
	v_lshlrev_b32_e32 v0, 2, v0
	v_mul_u32_u24_e32 v24, 36, v32
	ds_store_2addr_b32 v24, v19, v19 offset0:16 offset1:17
	ds_store_2addr_b32 v24, v19, v19 offset0:18 offset1:19
	;; [unrolled: 1-line block ×4, first 2 shown]
	v_bitop3_b32 v1, v1, v21, v18 bitop3:0x80
	v_mad_u32 v25, 0x44, v20, v0
	ds_store_b32 v24, v19 offset:96
	s_wait_storecnt 0x0
	s_wait_loadcnt_dscnt 0x0
	s_barrier_signal -1
	v_mbcnt_lo_u32_b32 v30, v1, 0
	v_cmp_ne_u32_e64 s0, 0, v1
	s_barrier_wait -1
	s_delay_alu instid0(VALU_DEP_2) | instskip(SKIP_1) | instid1(SALU_CYCLE_1)
	v_cmp_eq_u32_e32 vcc_lo, 0, v30
	; wave barrier
	s_and_b32 s1, s0, vcc_lo
	s_and_saveexec_b32 s0, s1
; %bb.68:
	v_bcnt_u32_b32 v1, v1, 0
	ds_store_b32 v25, v1 offset:64
; %bb.69:
	s_or_b32 exec_lo, exec_lo, s0
	v_xor_b32_e32 v5, 0x80000000, v5
	; wave barrier
	s_delay_alu instid0(VALU_DEP_1) | instskip(NEXT) | instid1(VALU_DEP_1)
	v_lshrrev_b64 v[18:19], s20, v[4:5]
	v_and_b32_e32 v1, s5, v18
	v_bitop3_b32 v18, v18, 1, s5 bitop3:0x80
	s_delay_alu instid0(VALU_DEP_2) | instskip(NEXT) | instid1(VALU_DEP_2)
	v_lshlrev_b32_e32 v20, 30, v1
	v_add_co_u32 v18, s0, v18, -1
	s_delay_alu instid0(VALU_DEP_1) | instskip(NEXT) | instid1(VALU_DEP_1)
	v_cndmask_b32_e64 v19, 0, 1, s0
	v_cmp_ne_u32_e32 vcc_lo, 0, v19
	s_delay_alu instid0(VALU_DEP_4) | instskip(NEXT) | instid1(VALU_DEP_1)
	v_not_b32_e32 v19, v20
	v_dual_ashrrev_i32 v19, 31, v19 :: v_dual_bitop2_b32 v18, vcc_lo, v18 bitop3:0x14
	v_dual_lshlrev_b32 v21, 29, v1 :: v_dual_lshlrev_b32 v22, 28, v1
	v_dual_lshlrev_b32 v23, 27, v1 :: v_dual_lshlrev_b32 v27, 26, v1
	v_lshlrev_b32_e32 v28, 25, v1
	v_cmp_gt_i32_e64 s0, 0, v20
	s_delay_alu instid0(VALU_DEP_4)
	v_cmp_gt_i32_e64 s1, 0, v21
	v_not_b32_e32 v20, v21
	v_cmp_gt_i32_e64 s2, 0, v22
	v_not_b32_e32 v21, v22
	v_not_b32_e32 v22, v23
	v_mad_u32 v26, 0x44, v1, v0
	v_lshlrev_b32_e32 v1, 24, v1
	v_cmp_gt_i32_e64 s3, 0, v23
	v_not_b32_e32 v23, v27
	v_dual_ashrrev_i32 v20, 31, v20 :: v_dual_ashrrev_i32 v21, 31, v21
	v_dual_ashrrev_i32 v22, 31, v22 :: v_dual_bitop2_b32 v19, s0, v19 bitop3:0x14
	v_cmp_gt_i32_e64 s4, 0, v27
	v_not_b32_e32 v27, v28
	s_delay_alu instid0(VALU_DEP_4)
	v_dual_ashrrev_i32 v23, 31, v23 :: v_dual_bitop2_b32 v20, s1, v20 bitop3:0x14
	v_xor_b32_e32 v21, s2, v21
	v_bitop3_b32 v18, v18, v19, exec_lo bitop3:0x80
	v_not_b32_e32 v19, v1
	v_xor_b32_e32 v22, s3, v22
	v_xor_b32_e32 v23, s4, v23
	v_cmp_gt_i32_e32 vcc_lo, 0, v28
	v_ashrrev_i32_e32 v27, 31, v27
	v_cmp_gt_i32_e64 s0, 0, v1
	v_ashrrev_i32_e32 v1, 31, v19
	v_bitop3_b32 v18, v18, v21, v20 bitop3:0x80
	ds_load_b32 v31, v26 offset:64
	v_xor_b32_e32 v19, vcc_lo, v27
	v_xor_b32_e32 v1, s0, v1
	v_bitop3_b32 v18, v18, v23, v22 bitop3:0x80
	; wave barrier
	s_delay_alu instid0(VALU_DEP_1) | instskip(NEXT) | instid1(VALU_DEP_1)
	v_bitop3_b32 v1, v18, v1, v19 bitop3:0x80
	v_mbcnt_lo_u32_b32 v34, v1, 0
	v_cmp_ne_u32_e64 s0, 0, v1
	s_delay_alu instid0(VALU_DEP_2) | instskip(SKIP_1) | instid1(SALU_CYCLE_1)
	v_cmp_eq_u32_e32 vcc_lo, 0, v34
	s_and_b32 s1, s0, vcc_lo
	s_and_saveexec_b32 s0, s1
	s_cbranch_execz .LBB1234_71
; %bb.70:
	s_wait_dscnt 0x0
	v_bcnt_u32_b32 v1, v1, v31
	ds_store_b32 v26, v1 offset:64
.LBB1234_71:
	s_or_b32 exec_lo, exec_lo, s0
	v_xor_b32_e32 v7, 0x80000000, v7
	; wave barrier
	s_delay_alu instid0(VALU_DEP_1) | instskip(NEXT) | instid1(VALU_DEP_1)
	v_lshrrev_b64 v[18:19], s20, v[6:7]
	v_and_b32_e32 v1, s5, v18
	v_bitop3_b32 v18, v18, 1, s5 bitop3:0x80
	s_delay_alu instid0(VALU_DEP_2) | instskip(NEXT) | instid1(VALU_DEP_2)
	v_lshlrev_b32_e32 v20, 30, v1
	v_add_co_u32 v18, s0, v18, -1
	s_delay_alu instid0(VALU_DEP_1) | instskip(NEXT) | instid1(VALU_DEP_1)
	v_cndmask_b32_e64 v19, 0, 1, s0
	v_cmp_ne_u32_e32 vcc_lo, 0, v19
	s_delay_alu instid0(VALU_DEP_4) | instskip(NEXT) | instid1(VALU_DEP_1)
	v_not_b32_e32 v19, v20
	v_dual_ashrrev_i32 v19, 31, v19 :: v_dual_bitop2_b32 v18, vcc_lo, v18 bitop3:0x14
	v_dual_lshlrev_b32 v21, 29, v1 :: v_dual_lshlrev_b32 v22, 28, v1
	v_dual_lshlrev_b32 v23, 27, v1 :: v_dual_lshlrev_b32 v28, 26, v1
	v_lshlrev_b32_e32 v29, 25, v1
	v_cmp_gt_i32_e64 s0, 0, v20
	s_delay_alu instid0(VALU_DEP_4)
	v_cmp_gt_i32_e64 s1, 0, v21
	v_not_b32_e32 v20, v21
	v_cmp_gt_i32_e64 s2, 0, v22
	v_not_b32_e32 v21, v22
	v_not_b32_e32 v22, v23
	v_mad_u32 v27, 0x44, v1, v0
	v_lshlrev_b32_e32 v1, 24, v1
	v_cmp_gt_i32_e64 s3, 0, v23
	v_not_b32_e32 v23, v28
	v_dual_ashrrev_i32 v20, 31, v20 :: v_dual_ashrrev_i32 v21, 31, v21
	v_dual_ashrrev_i32 v22, 31, v22 :: v_dual_bitop2_b32 v19, s0, v19 bitop3:0x14
	v_cmp_gt_i32_e64 s4, 0, v28
	v_not_b32_e32 v28, v29
	s_delay_alu instid0(VALU_DEP_4)
	v_dual_ashrrev_i32 v23, 31, v23 :: v_dual_bitop2_b32 v20, s1, v20 bitop3:0x14
	v_xor_b32_e32 v21, s2, v21
	v_bitop3_b32 v18, v18, v19, exec_lo bitop3:0x80
	v_not_b32_e32 v19, v1
	v_xor_b32_e32 v22, s3, v22
	v_xor_b32_e32 v23, s4, v23
	v_cmp_gt_i32_e32 vcc_lo, 0, v29
	v_ashrrev_i32_e32 v28, 31, v28
	v_cmp_gt_i32_e64 s0, 0, v1
	v_ashrrev_i32_e32 v1, 31, v19
	v_bitop3_b32 v18, v18, v21, v20 bitop3:0x80
	ds_load_b32 v35, v27 offset:64
	v_xor_b32_e32 v19, vcc_lo, v28
	v_xor_b32_e32 v1, s0, v1
	v_bitop3_b32 v18, v18, v23, v22 bitop3:0x80
	; wave barrier
	s_delay_alu instid0(VALU_DEP_1) | instskip(NEXT) | instid1(VALU_DEP_1)
	v_bitop3_b32 v1, v18, v1, v19 bitop3:0x80
	v_mbcnt_lo_u32_b32 v36, v1, 0
	v_cmp_ne_u32_e64 s0, 0, v1
	s_delay_alu instid0(VALU_DEP_2) | instskip(SKIP_1) | instid1(SALU_CYCLE_1)
	v_cmp_eq_u32_e32 vcc_lo, 0, v36
	s_and_b32 s1, s0, vcc_lo
	s_and_saveexec_b32 s0, s1
	s_cbranch_execz .LBB1234_73
; %bb.72:
	s_wait_dscnt 0x0
	v_bcnt_u32_b32 v1, v1, v35
	ds_store_b32 v27, v1 offset:64
.LBB1234_73:
	s_or_b32 exec_lo, exec_lo, s0
	v_xor_b32_e32 v9, 0x80000000, v9
	; wave barrier
	s_delay_alu instid0(VALU_DEP_1) | instskip(NEXT) | instid1(VALU_DEP_1)
	v_lshrrev_b64 v[18:19], s20, v[8:9]
	v_and_b32_e32 v1, s5, v18
	v_bitop3_b32 v18, v18, 1, s5 bitop3:0x80
	s_delay_alu instid0(VALU_DEP_2) | instskip(NEXT) | instid1(VALU_DEP_2)
	v_lshlrev_b32_e32 v20, 30, v1
	v_add_co_u32 v18, s0, v18, -1
	s_delay_alu instid0(VALU_DEP_1) | instskip(NEXT) | instid1(VALU_DEP_1)
	v_cndmask_b32_e64 v19, 0, 1, s0
	v_cmp_ne_u32_e32 vcc_lo, 0, v19
	s_delay_alu instid0(VALU_DEP_4) | instskip(NEXT) | instid1(VALU_DEP_1)
	v_not_b32_e32 v19, v20
	v_dual_ashrrev_i32 v19, 31, v19 :: v_dual_bitop2_b32 v18, vcc_lo, v18 bitop3:0x14
	v_dual_lshlrev_b32 v21, 29, v1 :: v_dual_lshlrev_b32 v22, 28, v1
	v_dual_lshlrev_b32 v23, 27, v1 :: v_dual_lshlrev_b32 v29, 26, v1
	v_lshlrev_b32_e32 v37, 25, v1
	v_cmp_gt_i32_e64 s0, 0, v20
	s_delay_alu instid0(VALU_DEP_4)
	v_cmp_gt_i32_e64 s1, 0, v21
	v_not_b32_e32 v20, v21
	v_cmp_gt_i32_e64 s2, 0, v22
	v_not_b32_e32 v21, v22
	v_not_b32_e32 v22, v23
	v_mad_u32 v28, 0x44, v1, v0
	v_lshlrev_b32_e32 v1, 24, v1
	v_cmp_gt_i32_e64 s3, 0, v23
	v_not_b32_e32 v23, v29
	v_dual_ashrrev_i32 v20, 31, v20 :: v_dual_ashrrev_i32 v21, 31, v21
	v_dual_ashrrev_i32 v22, 31, v22 :: v_dual_bitop2_b32 v19, s0, v19 bitop3:0x14
	v_cmp_gt_i32_e64 s4, 0, v29
	v_not_b32_e32 v29, v37
	s_delay_alu instid0(VALU_DEP_4) | instskip(NEXT) | instid1(VALU_DEP_4)
	v_dual_ashrrev_i32 v23, 31, v23 :: v_dual_bitop2_b32 v20, s1, v20 bitop3:0x14
	v_bitop3_b32 v18, v18, v19, exec_lo bitop3:0x80
	v_not_b32_e32 v19, v1
	v_xor_b32_e32 v21, s2, v21
	v_dual_ashrrev_i32 v29, 31, v29 :: v_dual_bitop2_b32 v22, s3, v22 bitop3:0x14
	v_xor_b32_e32 v23, s4, v23
	v_cmp_gt_i32_e32 vcc_lo, 0, v37
	v_cmp_gt_i32_e64 s0, 0, v1
	v_ashrrev_i32_e32 v1, 31, v19
	v_bitop3_b32 v18, v18, v21, v20 bitop3:0x80
	ds_load_b32 v37, v28 offset:64
	v_xor_b32_e32 v19, vcc_lo, v29
	v_xor_b32_e32 v1, s0, v1
	v_bitop3_b32 v18, v18, v23, v22 bitop3:0x80
	; wave barrier
	s_delay_alu instid0(VALU_DEP_1) | instskip(NEXT) | instid1(VALU_DEP_1)
	v_bitop3_b32 v1, v18, v1, v19 bitop3:0x80
	v_mbcnt_lo_u32_b32 v38, v1, 0
	v_cmp_ne_u32_e64 s0, 0, v1
	s_delay_alu instid0(VALU_DEP_2) | instskip(SKIP_1) | instid1(SALU_CYCLE_1)
	v_cmp_eq_u32_e32 vcc_lo, 0, v38
	s_and_b32 s1, s0, vcc_lo
	s_and_saveexec_b32 s0, s1
	s_cbranch_execz .LBB1234_75
; %bb.74:
	s_wait_dscnt 0x0
	v_bcnt_u32_b32 v1, v1, v37
	ds_store_b32 v28, v1 offset:64
.LBB1234_75:
	s_or_b32 exec_lo, exec_lo, s0
	v_xor_b32_e32 v11, 0x80000000, v11
	; wave barrier
	s_delay_alu instid0(VALU_DEP_1) | instskip(NEXT) | instid1(VALU_DEP_1)
	v_lshrrev_b64 v[18:19], s20, v[10:11]
	v_and_b32_e32 v1, s5, v18
	v_bitop3_b32 v18, v18, 1, s5 bitop3:0x80
	s_delay_alu instid0(VALU_DEP_2) | instskip(NEXT) | instid1(VALU_DEP_2)
	v_lshlrev_b32_e32 v20, 30, v1
	v_add_co_u32 v18, s0, v18, -1
	s_delay_alu instid0(VALU_DEP_1) | instskip(NEXT) | instid1(VALU_DEP_1)
	v_cndmask_b32_e64 v19, 0, 1, s0
	v_cmp_ne_u32_e32 vcc_lo, 0, v19
	s_delay_alu instid0(VALU_DEP_4) | instskip(NEXT) | instid1(VALU_DEP_1)
	v_not_b32_e32 v19, v20
	v_dual_ashrrev_i32 v19, 31, v19 :: v_dual_bitop2_b32 v18, vcc_lo, v18 bitop3:0x14
	v_dual_lshlrev_b32 v21, 29, v1 :: v_dual_lshlrev_b32 v22, 28, v1
	v_dual_lshlrev_b32 v23, 27, v1 :: v_dual_lshlrev_b32 v39, 26, v1
	v_lshlrev_b32_e32 v40, 25, v1
	v_cmp_gt_i32_e64 s0, 0, v20
	s_delay_alu instid0(VALU_DEP_4)
	v_cmp_gt_i32_e64 s1, 0, v21
	v_not_b32_e32 v20, v21
	v_cmp_gt_i32_e64 s2, 0, v22
	v_not_b32_e32 v21, v22
	v_not_b32_e32 v22, v23
	v_mad_u32 v29, 0x44, v1, v0
	v_lshlrev_b32_e32 v1, 24, v1
	v_cmp_gt_i32_e64 s3, 0, v23
	v_not_b32_e32 v23, v39
	v_dual_ashrrev_i32 v20, 31, v20 :: v_dual_ashrrev_i32 v21, 31, v21
	v_dual_ashrrev_i32 v22, 31, v22 :: v_dual_bitop2_b32 v19, s0, v19 bitop3:0x14
	v_cmp_gt_i32_e64 s4, 0, v39
	v_not_b32_e32 v39, v40
	s_delay_alu instid0(VALU_DEP_4)
	v_dual_ashrrev_i32 v23, 31, v23 :: v_dual_bitop2_b32 v20, s1, v20 bitop3:0x14
	v_xor_b32_e32 v21, s2, v21
	v_bitop3_b32 v18, v18, v19, exec_lo bitop3:0x80
	v_not_b32_e32 v19, v1
	v_xor_b32_e32 v22, s3, v22
	v_xor_b32_e32 v23, s4, v23
	v_cmp_gt_i32_e32 vcc_lo, 0, v40
	v_ashrrev_i32_e32 v39, 31, v39
	v_cmp_gt_i32_e64 s0, 0, v1
	v_ashrrev_i32_e32 v1, 31, v19
	v_bitop3_b32 v18, v18, v21, v20 bitop3:0x80
	s_delay_alu instid0(VALU_DEP_4) | instskip(SKIP_3) | instid1(VALU_DEP_1)
	v_xor_b32_e32 v19, vcc_lo, v39
	ds_load_b32 v39, v29 offset:64
	v_xor_b32_e32 v1, s0, v1
	v_bitop3_b32 v18, v18, v23, v22 bitop3:0x80
	; wave barrier
	v_bitop3_b32 v1, v18, v1, v19 bitop3:0x80
	s_delay_alu instid0(VALU_DEP_1) | instskip(SKIP_1) | instid1(VALU_DEP_2)
	v_mbcnt_lo_u32_b32 v40, v1, 0
	v_cmp_ne_u32_e64 s0, 0, v1
	v_cmp_eq_u32_e32 vcc_lo, 0, v40
	s_and_b32 s1, s0, vcc_lo
	s_delay_alu instid0(SALU_CYCLE_1)
	s_and_saveexec_b32 s0, s1
	s_cbranch_execz .LBB1234_77
; %bb.76:
	s_wait_dscnt 0x0
	v_bcnt_u32_b32 v1, v1, v39
	ds_store_b32 v29, v1 offset:64
.LBB1234_77:
	s_or_b32 exec_lo, exec_lo, s0
	v_xor_b32_e32 v13, 0x80000000, v13
	; wave barrier
	s_delay_alu instid0(VALU_DEP_1) | instskip(NEXT) | instid1(VALU_DEP_1)
	v_lshrrev_b64 v[18:19], s20, v[12:13]
	v_and_b32_e32 v1, s5, v18
	v_bitop3_b32 v18, v18, 1, s5 bitop3:0x80
	s_delay_alu instid0(VALU_DEP_2) | instskip(NEXT) | instid1(VALU_DEP_2)
	v_lshlrev_b32_e32 v20, 30, v1
	v_add_co_u32 v18, s0, v18, -1
	s_delay_alu instid0(VALU_DEP_1) | instskip(NEXT) | instid1(VALU_DEP_1)
	v_cndmask_b32_e64 v19, 0, 1, s0
	v_cmp_ne_u32_e32 vcc_lo, 0, v19
	s_delay_alu instid0(VALU_DEP_4) | instskip(NEXT) | instid1(VALU_DEP_1)
	v_not_b32_e32 v19, v20
	v_dual_ashrrev_i32 v19, 31, v19 :: v_dual_bitop2_b32 v18, vcc_lo, v18 bitop3:0x14
	v_dual_lshlrev_b32 v21, 29, v1 :: v_dual_lshlrev_b32 v22, 28, v1
	v_dual_lshlrev_b32 v23, 27, v1 :: v_dual_lshlrev_b32 v41, 26, v1
	v_lshlrev_b32_e32 v42, 25, v1
	v_cmp_gt_i32_e64 s0, 0, v20
	s_delay_alu instid0(VALU_DEP_4)
	v_cmp_gt_i32_e64 s1, 0, v21
	v_not_b32_e32 v20, v21
	v_cmp_gt_i32_e64 s2, 0, v22
	v_not_b32_e32 v21, v22
	v_not_b32_e32 v22, v23
	v_mad_u32 v43, 0x44, v1, v0
	v_lshlrev_b32_e32 v1, 24, v1
	v_cmp_gt_i32_e64 s3, 0, v23
	v_not_b32_e32 v23, v41
	v_dual_ashrrev_i32 v20, 31, v20 :: v_dual_ashrrev_i32 v21, 31, v21
	v_dual_ashrrev_i32 v22, 31, v22 :: v_dual_bitop2_b32 v19, s0, v19 bitop3:0x14
	v_cmp_gt_i32_e64 s4, 0, v41
	v_not_b32_e32 v41, v42
	s_delay_alu instid0(VALU_DEP_4) | instskip(NEXT) | instid1(VALU_DEP_4)
	v_dual_ashrrev_i32 v23, 31, v23 :: v_dual_bitop2_b32 v20, s1, v20 bitop3:0x14
	v_bitop3_b32 v18, v18, v19, exec_lo bitop3:0x80
	v_not_b32_e32 v19, v1
	v_xor_b32_e32 v21, s2, v21
	v_dual_ashrrev_i32 v41, 31, v41 :: v_dual_bitop2_b32 v22, s3, v22 bitop3:0x14
	v_xor_b32_e32 v23, s4, v23
	v_cmp_gt_i32_e32 vcc_lo, 0, v42
	v_cmp_gt_i32_e64 s0, 0, v1
	v_ashrrev_i32_e32 v1, 31, v19
	v_bitop3_b32 v18, v18, v21, v20 bitop3:0x80
	v_xor_b32_e32 v19, vcc_lo, v41
	ds_load_b32 v41, v43 offset:64
	v_xor_b32_e32 v1, s0, v1
	v_bitop3_b32 v18, v18, v23, v22 bitop3:0x80
	; wave barrier
	s_delay_alu instid0(VALU_DEP_1) | instskip(NEXT) | instid1(VALU_DEP_1)
	v_bitop3_b32 v1, v18, v1, v19 bitop3:0x80
	v_mbcnt_lo_u32_b32 v42, v1, 0
	v_cmp_ne_u32_e64 s0, 0, v1
	s_delay_alu instid0(VALU_DEP_2) | instskip(SKIP_1) | instid1(SALU_CYCLE_1)
	v_cmp_eq_u32_e32 vcc_lo, 0, v42
	s_and_b32 s1, s0, vcc_lo
	s_and_saveexec_b32 s0, s1
	s_cbranch_execz .LBB1234_79
; %bb.78:
	s_wait_dscnt 0x0
	v_bcnt_u32_b32 v1, v1, v41
	ds_store_b32 v43, v1 offset:64
.LBB1234_79:
	s_or_b32 exec_lo, exec_lo, s0
	v_xor_b32_e32 v15, 0x80000000, v15
	; wave barrier
	s_delay_alu instid0(VALU_DEP_1) | instskip(NEXT) | instid1(VALU_DEP_1)
	v_lshrrev_b64 v[18:19], s20, v[14:15]
	v_and_b32_e32 v1, s5, v18
	v_bitop3_b32 v18, v18, 1, s5 bitop3:0x80
	s_delay_alu instid0(VALU_DEP_2) | instskip(NEXT) | instid1(VALU_DEP_2)
	v_lshlrev_b32_e32 v20, 30, v1
	v_add_co_u32 v18, s0, v18, -1
	s_delay_alu instid0(VALU_DEP_1) | instskip(NEXT) | instid1(VALU_DEP_1)
	v_cndmask_b32_e64 v19, 0, 1, s0
	v_cmp_ne_u32_e32 vcc_lo, 0, v19
	s_delay_alu instid0(VALU_DEP_4) | instskip(NEXT) | instid1(VALU_DEP_1)
	v_not_b32_e32 v19, v20
	v_dual_ashrrev_i32 v19, 31, v19 :: v_dual_bitop2_b32 v18, vcc_lo, v18 bitop3:0x14
	v_dual_lshlrev_b32 v21, 29, v1 :: v_dual_lshlrev_b32 v22, 28, v1
	v_dual_lshlrev_b32 v23, 27, v1 :: v_dual_lshlrev_b32 v44, 26, v1
	v_lshlrev_b32_e32 v45, 25, v1
	v_cmp_gt_i32_e64 s0, 0, v20
	s_delay_alu instid0(VALU_DEP_4)
	v_cmp_gt_i32_e64 s1, 0, v21
	v_not_b32_e32 v20, v21
	v_cmp_gt_i32_e64 s2, 0, v22
	v_not_b32_e32 v21, v22
	v_not_b32_e32 v22, v23
	v_mad_u32 v46, 0x44, v1, v0
	v_lshlrev_b32_e32 v1, 24, v1
	v_cmp_gt_i32_e64 s3, 0, v23
	v_not_b32_e32 v23, v44
	v_dual_ashrrev_i32 v20, 31, v20 :: v_dual_ashrrev_i32 v21, 31, v21
	v_dual_ashrrev_i32 v22, 31, v22 :: v_dual_bitop2_b32 v19, s0, v19 bitop3:0x14
	v_cmp_gt_i32_e64 s4, 0, v44
	v_not_b32_e32 v44, v45
	s_delay_alu instid0(VALU_DEP_4)
	v_dual_ashrrev_i32 v23, 31, v23 :: v_dual_bitop2_b32 v20, s1, v20 bitop3:0x14
	v_xor_b32_e32 v21, s2, v21
	v_bitop3_b32 v18, v18, v19, exec_lo bitop3:0x80
	v_not_b32_e32 v19, v1
	v_xor_b32_e32 v22, s3, v22
	v_xor_b32_e32 v23, s4, v23
	v_cmp_gt_i32_e32 vcc_lo, 0, v45
	v_ashrrev_i32_e32 v44, 31, v44
	v_cmp_gt_i32_e64 s0, 0, v1
	v_ashrrev_i32_e32 v1, 31, v19
	v_bitop3_b32 v18, v18, v21, v20 bitop3:0x80
	s_delay_alu instid0(VALU_DEP_4) | instskip(SKIP_3) | instid1(VALU_DEP_1)
	v_xor_b32_e32 v19, vcc_lo, v44
	ds_load_b32 v44, v46 offset:64
	v_xor_b32_e32 v1, s0, v1
	v_bitop3_b32 v18, v18, v23, v22 bitop3:0x80
	; wave barrier
	v_bitop3_b32 v1, v18, v1, v19 bitop3:0x80
	s_delay_alu instid0(VALU_DEP_1) | instskip(SKIP_1) | instid1(VALU_DEP_2)
	v_mbcnt_lo_u32_b32 v45, v1, 0
	v_cmp_ne_u32_e64 s0, 0, v1
	v_cmp_eq_u32_e32 vcc_lo, 0, v45
	s_and_b32 s1, s0, vcc_lo
	s_delay_alu instid0(SALU_CYCLE_1)
	s_and_saveexec_b32 s0, s1
	s_cbranch_execz .LBB1234_81
; %bb.80:
	s_wait_dscnt 0x0
	v_bcnt_u32_b32 v1, v1, v44
	ds_store_b32 v46, v1 offset:64
.LBB1234_81:
	s_or_b32 exec_lo, exec_lo, s0
	v_xor_b32_e32 v17, 0x80000000, v17
	; wave barrier
	s_delay_alu instid0(VALU_DEP_1) | instskip(NEXT) | instid1(VALU_DEP_1)
	v_lshrrev_b64 v[18:19], s20, v[16:17]
	v_and_b32_e32 v1, s5, v18
	v_bitop3_b32 v18, v18, 1, s5 bitop3:0x80
	s_delay_alu instid0(VALU_DEP_2) | instskip(NEXT) | instid1(VALU_DEP_2)
	v_mad_u32 v49, 0x44, v1, v0
	v_add_co_u32 v0, s0, v18, -1
	s_delay_alu instid0(VALU_DEP_1) | instskip(SKIP_1) | instid1(VALU_DEP_2)
	v_cndmask_b32_e64 v18, 0, 1, s0
	v_lshlrev_b32_e32 v19, 30, v1
	v_cmp_ne_u32_e32 vcc_lo, 0, v18
	s_delay_alu instid0(VALU_DEP_2) | instskip(NEXT) | instid1(VALU_DEP_1)
	v_not_b32_e32 v18, v19
	v_dual_ashrrev_i32 v18, 31, v18 :: v_dual_bitop2_b32 v0, vcc_lo, v0 bitop3:0x14
	v_dual_lshlrev_b32 v20, 29, v1 :: v_dual_lshlrev_b32 v21, 28, v1
	v_dual_lshlrev_b32 v22, 27, v1 :: v_dual_lshlrev_b32 v23, 26, v1
	v_lshlrev_b32_e32 v47, 25, v1
	v_cmp_gt_i32_e64 s0, 0, v19
	s_delay_alu instid0(VALU_DEP_4)
	v_cmp_gt_i32_e64 s1, 0, v20
	v_not_b32_e32 v19, v20
	v_cmp_gt_i32_e64 s2, 0, v21
	v_not_b32_e32 v20, v21
	v_not_b32_e32 v21, v22
	v_lshlrev_b32_e32 v1, 24, v1
	v_cmp_gt_i32_e64 s3, 0, v22
	v_not_b32_e32 v22, v23
	v_dual_ashrrev_i32 v19, 31, v19 :: v_dual_ashrrev_i32 v20, 31, v20
	v_dual_ashrrev_i32 v21, 31, v21 :: v_dual_bitop2_b32 v18, s0, v18 bitop3:0x14
	v_cmp_gt_i32_e64 s4, 0, v23
	v_not_b32_e32 v23, v47
	s_delay_alu instid0(VALU_DEP_4)
	v_dual_ashrrev_i32 v22, 31, v22 :: v_dual_bitop2_b32 v19, s1, v19 bitop3:0x14
	v_xor_b32_e32 v20, s2, v20
	v_bitop3_b32 v0, v0, v18, exec_lo bitop3:0x80
	v_not_b32_e32 v18, v1
	v_xor_b32_e32 v21, s3, v21
	v_xor_b32_e32 v22, s4, v22
	v_cmp_gt_i32_e32 vcc_lo, 0, v47
	v_ashrrev_i32_e32 v23, 31, v23
	v_cmp_gt_i32_e64 s0, 0, v1
	v_ashrrev_i32_e32 v1, 31, v18
	v_bitop3_b32 v0, v0, v20, v19 bitop3:0x80
	ds_load_b32 v47, v49 offset:64
	v_xor_b32_e32 v18, vcc_lo, v23
	v_xor_b32_e32 v1, s0, v1
	v_bitop3_b32 v0, v0, v22, v21 bitop3:0x80
	; wave barrier
	s_delay_alu instid0(VALU_DEP_1) | instskip(NEXT) | instid1(VALU_DEP_1)
	v_bitop3_b32 v0, v0, v1, v18 bitop3:0x80
	v_mbcnt_lo_u32_b32 v48, v0, 0
	v_cmp_ne_u32_e64 s0, 0, v0
	s_delay_alu instid0(VALU_DEP_2) | instskip(SKIP_1) | instid1(SALU_CYCLE_1)
	v_cmp_eq_u32_e32 vcc_lo, 0, v48
	s_and_b32 s1, s0, vcc_lo
	s_and_saveexec_b32 s0, s1
	s_cbranch_execz .LBB1234_83
; %bb.82:
	s_wait_dscnt 0x0
	v_bcnt_u32_b32 v0, v0, v47
	ds_store_b32 v49, v0 offset:64
.LBB1234_83:
	s_or_b32 exec_lo, exec_lo, s0
	; wave barrier
	s_wait_dscnt 0x0
	s_barrier_signal -1
	s_barrier_wait -1
	ds_load_2addr_b32 v[22:23], v24 offset0:16 offset1:17
	ds_load_2addr_b32 v[20:21], v24 offset0:18 offset1:19
	;; [unrolled: 1-line block ×4, first 2 shown]
	ds_load_b32 v50, v24 offset:96
	v_bfe_i32 v53, v33, 4, 1
	s_mov_b32 s4, exec_lo
	s_wait_dscnt 0x3
	v_add3_u32 v51, v23, v22, v20
	s_wait_dscnt 0x2
	s_delay_alu instid0(VALU_DEP_1) | instskip(SKIP_1) | instid1(VALU_DEP_1)
	v_add3_u32 v51, v51, v21, v18
	s_wait_dscnt 0x1
	v_add3_u32 v51, v51, v19, v0
	s_wait_dscnt 0x0
	s_delay_alu instid0(VALU_DEP_1) | instskip(SKIP_1) | instid1(VALU_DEP_2)
	v_add3_u32 v50, v51, v1, v50
	v_and_b32_e32 v51, 15, v33
	v_mov_b32_dpp v52, v50 row_shr:1 row_mask:0xf bank_mask:0xf
	s_delay_alu instid0(VALU_DEP_2) | instskip(NEXT) | instid1(VALU_DEP_2)
	v_cmp_eq_u32_e32 vcc_lo, 0, v51
	v_cndmask_b32_e64 v52, v52, 0, vcc_lo
	s_delay_alu instid0(VALU_DEP_1) | instskip(SKIP_3) | instid1(VALU_DEP_4)
	v_add_nc_u32_e32 v50, v52, v50
	v_cmp_lt_u32_e64 s0, 1, v51
	v_cmp_lt_u32_e64 s1, 3, v51
	;; [unrolled: 1-line block ×3, first 2 shown]
	v_mov_b32_dpp v52, v50 row_shr:2 row_mask:0xf bank_mask:0xf
	s_delay_alu instid0(VALU_DEP_1) | instskip(NEXT) | instid1(VALU_DEP_1)
	v_cndmask_b32_e64 v52, 0, v52, s0
	v_add_nc_u32_e32 v50, v50, v52
	s_delay_alu instid0(VALU_DEP_1) | instskip(NEXT) | instid1(VALU_DEP_1)
	v_mov_b32_dpp v52, v50 row_shr:4 row_mask:0xf bank_mask:0xf
	v_cndmask_b32_e64 v52, 0, v52, s1
	s_delay_alu instid0(VALU_DEP_1) | instskip(NEXT) | instid1(VALU_DEP_1)
	v_add_nc_u32_e32 v50, v50, v52
	v_mov_b32_dpp v52, v50 row_shr:8 row_mask:0xf bank_mask:0xf
	s_delay_alu instid0(VALU_DEP_1) | instskip(SKIP_1) | instid1(VALU_DEP_2)
	v_cndmask_b32_e64 v51, 0, v52, s2
	v_and_b32_e32 v52, 0x3e0, v32
	v_add_nc_u32_e32 v50, v50, v51
	s_delay_alu instid0(VALU_DEP_2) | instskip(SKIP_3) | instid1(VALU_DEP_1)
	v_min_u32_e32 v52, 0x1e0, v52
	ds_swizzle_b32 v51, v50 offset:swizzle(BROADCAST,32,15)
	s_wait_dscnt 0x0
	v_dual_lshrrev_b32 v51, 5, v32 :: v_dual_bitop2_b32 v53, v53, v51 bitop3:0x40
	v_dual_add_nc_u32 v50, v50, v53 :: v_dual_bitop2_b32 v52, 31, v52 bitop3:0x54
	s_delay_alu instid0(VALU_DEP_1)
	v_cmpx_eq_u32_e64 v32, v52
; %bb.84:
	s_delay_alu instid0(VALU_DEP_3)
	v_lshlrev_b32_e32 v52, 2, v51
	ds_store_b32 v52, v50
; %bb.85:
	s_or_b32 exec_lo, exec_lo, s4
	s_delay_alu instid0(SALU_CYCLE_1)
	s_mov_b32 s4, exec_lo
	s_wait_dscnt 0x0
	s_barrier_signal -1
	s_barrier_wait -1
	v_cmpx_gt_u32_e32 16, v32
	s_cbranch_execz .LBB1234_87
; %bb.86:
	v_lshlrev_b32_e32 v52, 2, v32
	ds_load_b32 v53, v52
	s_wait_dscnt 0x0
	v_mov_b32_dpp v54, v53 row_shr:1 row_mask:0xf bank_mask:0xf
	s_delay_alu instid0(VALU_DEP_1) | instskip(NEXT) | instid1(VALU_DEP_1)
	v_cndmask_b32_e64 v54, v54, 0, vcc_lo
	v_add_nc_u32_e32 v53, v54, v53
	s_delay_alu instid0(VALU_DEP_1) | instskip(NEXT) | instid1(VALU_DEP_1)
	v_mov_b32_dpp v54, v53 row_shr:2 row_mask:0xf bank_mask:0xf
	v_cndmask_b32_e64 v54, 0, v54, s0
	s_delay_alu instid0(VALU_DEP_1) | instskip(NEXT) | instid1(VALU_DEP_1)
	v_add_nc_u32_e32 v53, v53, v54
	v_mov_b32_dpp v54, v53 row_shr:4 row_mask:0xf bank_mask:0xf
	s_delay_alu instid0(VALU_DEP_1) | instskip(NEXT) | instid1(VALU_DEP_1)
	v_cndmask_b32_e64 v54, 0, v54, s1
	v_add_nc_u32_e32 v53, v53, v54
	s_delay_alu instid0(VALU_DEP_1) | instskip(NEXT) | instid1(VALU_DEP_1)
	v_mov_b32_dpp v54, v53 row_shr:8 row_mask:0xf bank_mask:0xf
	v_cndmask_b32_e64 v54, 0, v54, s2
	s_delay_alu instid0(VALU_DEP_1)
	v_add_nc_u32_e32 v53, v53, v54
	ds_store_b32 v52, v53
.LBB1234_87:
	s_or_b32 exec_lo, exec_lo, s4
	v_mov_b32_e32 v52, 0
	s_mov_b32 s0, exec_lo
	s_wait_dscnt 0x0
	s_barrier_signal -1
	s_barrier_wait -1
	v_cmpx_lt_u32_e32 31, v32
; %bb.88:
	v_lshl_add_u32 v51, v51, 2, -4
	ds_load_b32 v52, v51
; %bb.89:
	s_or_b32 exec_lo, exec_lo, s0
	v_sub_co_u32 v51, vcc_lo, v33, 1
	s_wait_dscnt 0x0
	v_add_nc_u32_e32 v50, v52, v50
	s_delay_alu instid0(VALU_DEP_2) | instskip(NEXT) | instid1(VALU_DEP_1)
	v_cmp_gt_i32_e64 s0, 0, v51
	v_cndmask_b32_e64 v33, v51, v33, s0
	v_cmp_lt_u32_e64 s0, 0xff, v32
	s_delay_alu instid0(VALU_DEP_2) | instskip(SKIP_4) | instid1(VALU_DEP_2)
	v_lshlrev_b32_e32 v33, 2, v33
	ds_bpermute_b32 v33, v33, v50
	s_wait_dscnt 0x0
	v_cndmask_b32_e32 v33, v33, v52, vcc_lo
	v_cmp_ne_u32_e32 vcc_lo, 0, v32
	v_cndmask_b32_e32 v33, 0, v33, vcc_lo
	v_cmp_gt_u32_e32 vcc_lo, 0x100, v32
	s_delay_alu instid0(VALU_DEP_2) | instskip(NEXT) | instid1(VALU_DEP_1)
	v_add_nc_u32_e32 v22, v33, v22
	v_add_nc_u32_e32 v23, v22, v23
	s_delay_alu instid0(VALU_DEP_1) | instskip(NEXT) | instid1(VALU_DEP_1)
	v_add_nc_u32_e32 v20, v23, v20
	v_add_nc_u32_e32 v21, v20, v21
	s_delay_alu instid0(VALU_DEP_1) | instskip(NEXT) | instid1(VALU_DEP_1)
	;; [unrolled: 3-line block ×3, first 2 shown]
	v_add_nc_u32_e32 v0, v19, v0
	v_add_nc_u32_e32 v1, v0, v1
	ds_store_2addr_b32 v24, v33, v22 offset0:16 offset1:17
	ds_store_2addr_b32 v24, v23, v20 offset0:18 offset1:19
	;; [unrolled: 1-line block ×4, first 2 shown]
	ds_store_b32 v24, v1 offset:96
	s_wait_dscnt 0x0
	s_barrier_signal -1
	s_barrier_wait -1
	ds_load_b32 v21, v25 offset:64
	ds_load_b32 v19, v26 offset:64
	;; [unrolled: 1-line block ×8, first 2 shown]
	v_mov_b64_e32 v[0:1], 0
                                        ; implicit-def: $vgpr18
	s_and_saveexec_b32 s2, vcc_lo
	s_cbranch_execz .LBB1234_93
; %bb.90:
	v_mul_u32_u24_e32 v0, 0x44, v32
	v_dual_mov_b32 v1, 0x1000 :: v_dual_add_nc_u32 v18, 1, v32
	s_mov_b32 s3, exec_lo
	ds_load_b32 v0, v0 offset:64
	v_cmpx_ne_u32_e32 0x100, v18
; %bb.91:
	v_mul_u32_u24_e32 v1, 0x44, v18
	ds_load_b32 v1, v1 offset:64
; %bb.92:
	s_or_b32 exec_lo, exec_lo, s3
	s_wait_dscnt 0x0
	v_dual_mov_b32 v1, 0 :: v_dual_sub_nc_u32 v18, v1, v0
.LBB1234_93:
	s_or_b32 exec_lo, exec_lo, s2
	v_dual_mov_b32 v23, 0 :: v_dual_lshlrev_b32 v20, 3, v32
	s_wait_dscnt 0x0
	s_barrier_signal -1
	s_barrier_wait -1
	s_and_saveexec_b32 s1, vcc_lo
	s_cbranch_execz .LBB1234_103
; %bb.94:
	v_lshl_add_u32 v22, s9, 8, v32
	v_dual_mov_b32 v26, 0 :: v_dual_bitop2_b32 v27, 2.0, v18 bitop3:0x54
	s_mov_b32 s2, 0
	s_mov_b32 s3, s9
	s_delay_alu instid0(VALU_DEP_2)
	v_lshl_add_u64 v[24:25], v[22:23], 2, s[10:11]
	global_store_b32 v22, v27, s[10:11] scale_offset scope:SCOPE_DEV
                                        ; implicit-def: $sgpr4
	s_branch .LBB1234_97
.LBB1234_95:                            ;   in Loop: Header=BB1234_97 Depth=1
	s_or_b32 exec_lo, exec_lo, s6
.LBB1234_96:                            ;   in Loop: Header=BB1234_97 Depth=1
	s_delay_alu instid0(SALU_CYCLE_1) | instskip(SKIP_2) | instid1(VALU_DEP_2)
	s_or_b32 exec_lo, exec_lo, s4
	v_and_b32_e32 v22, 0x3fffffff, v27
	v_cmp_gt_i32_e64 s4, -2.0, v27
	v_add_nc_u32_e32 v26, v22, v26
	s_and_b32 s6, exec_lo, s4
	s_delay_alu instid0(SALU_CYCLE_1) | instskip(NEXT) | instid1(SALU_CYCLE_1)
	s_or_b32 s2, s6, s2
	s_and_not1_b32 exec_lo, exec_lo, s2
	s_cbranch_execz .LBB1234_102
.LBB1234_97:                            ; =>This Loop Header: Depth=1
                                        ;     Child Loop BB1234_100 Depth 2
	s_or_b32 s4, s4, exec_lo
	s_cmp_eq_u32 s3, 0
	s_cbranch_scc1 .LBB1234_101
; %bb.98:                               ;   in Loop: Header=BB1234_97 Depth=1
	s_add_co_i32 s3, s3, -1
	s_mov_b32 s4, exec_lo
	s_wait_xcnt 0x0
	v_lshl_or_b32 v22, s3, 8, v32
	global_load_b32 v27, v22, s[10:11] scale_offset scope:SCOPE_DEV
	s_wait_loadcnt 0x0
	v_cmpx_gt_u32_e32 2.0, v27
	s_cbranch_execz .LBB1234_96
; %bb.99:                               ;   in Loop: Header=BB1234_97 Depth=1
	v_lshl_add_u64 v[28:29], v[22:23], 2, s[10:11]
	s_mov_b32 s6, 0
.LBB1234_100:                           ;   Parent Loop BB1234_97 Depth=1
                                        ; =>  This Inner Loop Header: Depth=2
	global_load_b32 v27, v[28:29], off scope:SCOPE_DEV
	s_wait_loadcnt 0x0
	v_cmp_lt_u32_e32 vcc_lo, 0x3fffffff, v27
	s_or_b32 s6, vcc_lo, s6
	s_wait_xcnt 0x0
	s_and_not1_b32 exec_lo, exec_lo, s6
	s_cbranch_execnz .LBB1234_100
	s_branch .LBB1234_95
.LBB1234_101:                           ;   in Loop: Header=BB1234_97 Depth=1
                                        ; implicit-def: $sgpr3
	s_and_b32 s6, exec_lo, s4
	s_delay_alu instid0(SALU_CYCLE_1)
	s_or_b32 s2, s6, s2
	s_wait_xcnt 0x0
	s_and_not1_b32 exec_lo, exec_lo, s2
	s_cbranch_execnz .LBB1234_97
.LBB1234_102:
	s_or_b32 exec_lo, exec_lo, s2
	v_dual_mov_b32 v27, 0 :: v_dual_add_nc_u32 v22, v26, v18
	s_delay_alu instid0(VALU_DEP_1) | instskip(SKIP_4) | instid1(VALU_DEP_1)
	v_or_b32_e32 v22, 0x80000000, v22
	global_store_b32 v[24:25], v22, off scope:SCOPE_DEV
	global_load_b64 v[22:23], v32, s[12:13] scale_offset
	v_sub_nc_u64_e32 v[24:25], v[26:27], v[0:1]
	s_wait_loadcnt 0x0
	v_add_nc_u64_e32 v[22:23], v[24:25], v[22:23]
	ds_store_b64 v20, v[22:23]
.LBB1234_103:
	s_wait_xcnt 0x0
	s_or_b32 exec_lo, exec_lo, s1
	v_dual_mov_b32 v21, 0 :: v_dual_add_nc_u32 v24, v21, v30
	v_add3_u32 v25, v48, v49, v47
	v_add3_u32 v26, v45, v46, v44
	;; [unrolled: 1-line block ×4, first 2 shown]
	v_add_nc_u64_e32 v[22:23], s[18:19], v[20:21]
	v_add3_u32 v29, v38, v50, v37
	v_add3_u32 v21, v36, v33, v35
	;; [unrolled: 1-line block ×3, first 2 shown]
	s_mov_b32 s2, -1
	s_mov_b32 s1, 0
.LBB1234_104:                           ; =>This Inner Loop Header: Depth=1
	s_wait_xcnt 0x3
	v_add_min_u32_e64 v30, v24, s1, 0x800
	v_add_min_u32_e64 v31, v19, s1, 0x800
	;; [unrolled: 1-line block ×5, first 2 shown]
	s_wait_xcnt 0x2
	v_add_min_u32_e64 v36, v27, s1, 0x800
	v_add_min_u32_e64 v37, v26, s1, 0x800
	s_wait_xcnt 0x1
	v_add_min_u32_e64 v38, v25, s1, 0x800
	v_dual_lshlrev_b32 v30, 3, v30 :: v_dual_lshlrev_b32 v31, 3, v31
	v_dual_lshlrev_b32 v33, 3, v33 :: v_dual_lshlrev_b32 v34, 3, v34
	;; [unrolled: 1-line block ×3, first 2 shown]
	s_delay_alu instid0(VALU_DEP_4)
	v_dual_lshlrev_b32 v37, 3, v37 :: v_dual_lshlrev_b32 v38, 3, v38
	ds_store_b64 v30, v[2:3] offset:2048
	ds_store_b64 v31, v[4:5] offset:2048
	;; [unrolled: 1-line block ×8, first 2 shown]
	s_wait_storecnt_dscnt 0x0
	s_barrier_signal -1
	s_barrier_wait -1
	ds_load_2addr_stride64_b64 v[34:37], v20 offset0:4 offset1:12
	s_wait_xcnt 0x0
	ds_load_2addr_stride64_b64 v[38:41], v20 offset0:20 offset1:28
	s_addk_co_i32 s1, 0xf800
	s_and_b32 vcc_lo, exec_lo, s2
	s_mov_b32 s2, 0
	s_wait_dscnt 0x1
	v_lshrrev_b64 v[30:31], s20, v[34:35]
	s_wait_dscnt 0x0
	v_lshrrev_b64 v[44:45], s20, v[38:39]
	v_lshrrev_b64 v[42:43], s20, v[36:37]
	;; [unrolled: 1-line block ×3, first 2 shown]
	v_xor_b32_e32 v35, 0x80000000, v35
	v_xor_b32_e32 v37, 0x80000000, v37
	;; [unrolled: 1-line block ×4, first 2 shown]
	v_and_b32_e32 v33, s5, v44
	v_and_b32_e32 v31, s5, v42
	s_delay_alu instid0(VALU_DEP_2) | instskip(NEXT) | instid1(VALU_DEP_2)
	v_dual_lshlrev_b32 v33, 3, v33 :: v_dual_bitop2_b32 v42, s5, v46 bitop3:0x40
	v_dual_lshlrev_b32 v43, 3, v31 :: v_dual_bitop2_b32 v30, s5, v30 bitop3:0x40
	s_delay_alu instid0(VALU_DEP_2) | instskip(NEXT) | instid1(VALU_DEP_2)
	v_lshlrev_b32_e32 v46, 3, v42
	v_lshlrev_b32_e32 v30, 3, v30
	ds_load_b64 v[30:31], v30
	ds_load_b64 v[42:43], v43
	;; [unrolled: 1-line block ×4, first 2 shown]
	s_wait_dscnt 0x3
	v_lshl_add_u64 v[30:31], v[30:31], 3, v[22:23]
	s_wait_dscnt 0x2
	v_lshl_add_u64 v[42:43], v[42:43], 3, v[22:23]
	;; [unrolled: 2-line block ×4, first 2 shown]
	v_add_nc_u64_e32 v[22:23], 0x4000, v[22:23]
	s_clause 0x3
	global_store_b64 v[30:31], v[34:35], off
	global_store_b64 v[42:43], v[36:37], off offset:4096
	global_store_b64 v[44:45], v[38:39], off offset:8192
	;; [unrolled: 1-line block ×3, first 2 shown]
	s_wait_storecnt 0x0
	s_barrier_signal -1
	s_barrier_wait -1
	s_cbranch_vccnz .LBB1234_104
; %bb.105:
	s_add_co_i32 s7, s7, -1
	s_delay_alu instid0(SALU_CYCLE_1) | instskip(SKIP_2) | instid1(SALU_CYCLE_1)
	s_cmp_eq_u32 s9, s7
	s_cselect_b32 s1, -1, 0
	s_xor_b32 s0, s0, -1
	s_and_b32 s0, s0, s1
	s_wait_xcnt 0x0
	s_and_saveexec_b32 s1, s0
	s_cbranch_execz .LBB1234_107
; %bb.106:
	ds_load_b64 v[2:3], v20
	v_mov_b32_e32 v19, 0
	s_delay_alu instid0(VALU_DEP_1) | instskip(SKIP_1) | instid1(VALU_DEP_1)
	v_add_nc_u64_e32 v[0:1], v[0:1], v[18:19]
	s_wait_dscnt 0x0
	v_add_nc_u64_e32 v[0:1], v[0:1], v[2:3]
	global_store_b64 v32, v[0:1], s[14:15] scale_offset
.LBB1234_107:
	s_endpgm
	.section	.rodata,"a",@progbits
	.p2align	6, 0x0
	.amdhsa_kernel _ZN7rocprim17ROCPRIM_400000_NS6detail17trampoline_kernelINS0_14default_configENS1_35radix_sort_onesweep_config_selectorIlNS0_10empty_typeEEEZZNS1_29radix_sort_onesweep_iterationIS3_Lb0EPKlPlPS5_SB_mNS0_19identity_decomposerENS1_16block_id_wrapperIjLb0EEEEE10hipError_tT1_PNSt15iterator_traitsISG_E10value_typeET2_T3_PNSH_ISM_E10value_typeET4_T5_PSR_SS_PNS1_23onesweep_lookback_stateEbbT6_jjT7_P12ihipStream_tbENKUlT_T0_SG_SL_E_clISA_SA_SB_SB_EEDaSZ_S10_SG_SL_EUlSZ_E_NS1_11comp_targetILNS1_3genE0ELNS1_11target_archE4294967295ELNS1_3gpuE0ELNS1_3repE0EEENS1_47radix_sort_onesweep_sort_config_static_selectorELNS0_4arch9wavefront6targetE0EEEvSG_
		.amdhsa_group_segment_fixed_size 18504
		.amdhsa_private_segment_fixed_size 0
		.amdhsa_kernarg_size 344
		.amdhsa_user_sgpr_count 2
		.amdhsa_user_sgpr_dispatch_ptr 0
		.amdhsa_user_sgpr_queue_ptr 0
		.amdhsa_user_sgpr_kernarg_segment_ptr 1
		.amdhsa_user_sgpr_dispatch_id 0
		.amdhsa_user_sgpr_kernarg_preload_length 0
		.amdhsa_user_sgpr_kernarg_preload_offset 0
		.amdhsa_user_sgpr_private_segment_size 0
		.amdhsa_wavefront_size32 1
		.amdhsa_uses_dynamic_stack 0
		.amdhsa_enable_private_segment 0
		.amdhsa_system_sgpr_workgroup_id_x 1
		.amdhsa_system_sgpr_workgroup_id_y 0
		.amdhsa_system_sgpr_workgroup_id_z 0
		.amdhsa_system_sgpr_workgroup_info 0
		.amdhsa_system_vgpr_workitem_id 2
		.amdhsa_next_free_vgpr 57
		.amdhsa_next_free_sgpr 28
		.amdhsa_named_barrier_count 0
		.amdhsa_reserve_vcc 1
		.amdhsa_float_round_mode_32 0
		.amdhsa_float_round_mode_16_64 0
		.amdhsa_float_denorm_mode_32 3
		.amdhsa_float_denorm_mode_16_64 3
		.amdhsa_fp16_overflow 0
		.amdhsa_memory_ordered 1
		.amdhsa_forward_progress 1
		.amdhsa_inst_pref_size 88
		.amdhsa_round_robin_scheduling 0
		.amdhsa_exception_fp_ieee_invalid_op 0
		.amdhsa_exception_fp_denorm_src 0
		.amdhsa_exception_fp_ieee_div_zero 0
		.amdhsa_exception_fp_ieee_overflow 0
		.amdhsa_exception_fp_ieee_underflow 0
		.amdhsa_exception_fp_ieee_inexact 0
		.amdhsa_exception_int_div_zero 0
	.end_amdhsa_kernel
	.section	.text._ZN7rocprim17ROCPRIM_400000_NS6detail17trampoline_kernelINS0_14default_configENS1_35radix_sort_onesweep_config_selectorIlNS0_10empty_typeEEEZZNS1_29radix_sort_onesweep_iterationIS3_Lb0EPKlPlPS5_SB_mNS0_19identity_decomposerENS1_16block_id_wrapperIjLb0EEEEE10hipError_tT1_PNSt15iterator_traitsISG_E10value_typeET2_T3_PNSH_ISM_E10value_typeET4_T5_PSR_SS_PNS1_23onesweep_lookback_stateEbbT6_jjT7_P12ihipStream_tbENKUlT_T0_SG_SL_E_clISA_SA_SB_SB_EEDaSZ_S10_SG_SL_EUlSZ_E_NS1_11comp_targetILNS1_3genE0ELNS1_11target_archE4294967295ELNS1_3gpuE0ELNS1_3repE0EEENS1_47radix_sort_onesweep_sort_config_static_selectorELNS0_4arch9wavefront6targetE0EEEvSG_,"axG",@progbits,_ZN7rocprim17ROCPRIM_400000_NS6detail17trampoline_kernelINS0_14default_configENS1_35radix_sort_onesweep_config_selectorIlNS0_10empty_typeEEEZZNS1_29radix_sort_onesweep_iterationIS3_Lb0EPKlPlPS5_SB_mNS0_19identity_decomposerENS1_16block_id_wrapperIjLb0EEEEE10hipError_tT1_PNSt15iterator_traitsISG_E10value_typeET2_T3_PNSH_ISM_E10value_typeET4_T5_PSR_SS_PNS1_23onesweep_lookback_stateEbbT6_jjT7_P12ihipStream_tbENKUlT_T0_SG_SL_E_clISA_SA_SB_SB_EEDaSZ_S10_SG_SL_EUlSZ_E_NS1_11comp_targetILNS1_3genE0ELNS1_11target_archE4294967295ELNS1_3gpuE0ELNS1_3repE0EEENS1_47radix_sort_onesweep_sort_config_static_selectorELNS0_4arch9wavefront6targetE0EEEvSG_,comdat
.Lfunc_end1234:
	.size	_ZN7rocprim17ROCPRIM_400000_NS6detail17trampoline_kernelINS0_14default_configENS1_35radix_sort_onesweep_config_selectorIlNS0_10empty_typeEEEZZNS1_29radix_sort_onesweep_iterationIS3_Lb0EPKlPlPS5_SB_mNS0_19identity_decomposerENS1_16block_id_wrapperIjLb0EEEEE10hipError_tT1_PNSt15iterator_traitsISG_E10value_typeET2_T3_PNSH_ISM_E10value_typeET4_T5_PSR_SS_PNS1_23onesweep_lookback_stateEbbT6_jjT7_P12ihipStream_tbENKUlT_T0_SG_SL_E_clISA_SA_SB_SB_EEDaSZ_S10_SG_SL_EUlSZ_E_NS1_11comp_targetILNS1_3genE0ELNS1_11target_archE4294967295ELNS1_3gpuE0ELNS1_3repE0EEENS1_47radix_sort_onesweep_sort_config_static_selectorELNS0_4arch9wavefront6targetE0EEEvSG_, .Lfunc_end1234-_ZN7rocprim17ROCPRIM_400000_NS6detail17trampoline_kernelINS0_14default_configENS1_35radix_sort_onesweep_config_selectorIlNS0_10empty_typeEEEZZNS1_29radix_sort_onesweep_iterationIS3_Lb0EPKlPlPS5_SB_mNS0_19identity_decomposerENS1_16block_id_wrapperIjLb0EEEEE10hipError_tT1_PNSt15iterator_traitsISG_E10value_typeET2_T3_PNSH_ISM_E10value_typeET4_T5_PSR_SS_PNS1_23onesweep_lookback_stateEbbT6_jjT7_P12ihipStream_tbENKUlT_T0_SG_SL_E_clISA_SA_SB_SB_EEDaSZ_S10_SG_SL_EUlSZ_E_NS1_11comp_targetILNS1_3genE0ELNS1_11target_archE4294967295ELNS1_3gpuE0ELNS1_3repE0EEENS1_47radix_sort_onesweep_sort_config_static_selectorELNS0_4arch9wavefront6targetE0EEEvSG_
                                        ; -- End function
	.set _ZN7rocprim17ROCPRIM_400000_NS6detail17trampoline_kernelINS0_14default_configENS1_35radix_sort_onesweep_config_selectorIlNS0_10empty_typeEEEZZNS1_29radix_sort_onesweep_iterationIS3_Lb0EPKlPlPS5_SB_mNS0_19identity_decomposerENS1_16block_id_wrapperIjLb0EEEEE10hipError_tT1_PNSt15iterator_traitsISG_E10value_typeET2_T3_PNSH_ISM_E10value_typeET4_T5_PSR_SS_PNS1_23onesweep_lookback_stateEbbT6_jjT7_P12ihipStream_tbENKUlT_T0_SG_SL_E_clISA_SA_SB_SB_EEDaSZ_S10_SG_SL_EUlSZ_E_NS1_11comp_targetILNS1_3genE0ELNS1_11target_archE4294967295ELNS1_3gpuE0ELNS1_3repE0EEENS1_47radix_sort_onesweep_sort_config_static_selectorELNS0_4arch9wavefront6targetE0EEEvSG_.num_vgpr, 57
	.set _ZN7rocprim17ROCPRIM_400000_NS6detail17trampoline_kernelINS0_14default_configENS1_35radix_sort_onesweep_config_selectorIlNS0_10empty_typeEEEZZNS1_29radix_sort_onesweep_iterationIS3_Lb0EPKlPlPS5_SB_mNS0_19identity_decomposerENS1_16block_id_wrapperIjLb0EEEEE10hipError_tT1_PNSt15iterator_traitsISG_E10value_typeET2_T3_PNSH_ISM_E10value_typeET4_T5_PSR_SS_PNS1_23onesweep_lookback_stateEbbT6_jjT7_P12ihipStream_tbENKUlT_T0_SG_SL_E_clISA_SA_SB_SB_EEDaSZ_S10_SG_SL_EUlSZ_E_NS1_11comp_targetILNS1_3genE0ELNS1_11target_archE4294967295ELNS1_3gpuE0ELNS1_3repE0EEENS1_47radix_sort_onesweep_sort_config_static_selectorELNS0_4arch9wavefront6targetE0EEEvSG_.num_agpr, 0
	.set _ZN7rocprim17ROCPRIM_400000_NS6detail17trampoline_kernelINS0_14default_configENS1_35radix_sort_onesweep_config_selectorIlNS0_10empty_typeEEEZZNS1_29radix_sort_onesweep_iterationIS3_Lb0EPKlPlPS5_SB_mNS0_19identity_decomposerENS1_16block_id_wrapperIjLb0EEEEE10hipError_tT1_PNSt15iterator_traitsISG_E10value_typeET2_T3_PNSH_ISM_E10value_typeET4_T5_PSR_SS_PNS1_23onesweep_lookback_stateEbbT6_jjT7_P12ihipStream_tbENKUlT_T0_SG_SL_E_clISA_SA_SB_SB_EEDaSZ_S10_SG_SL_EUlSZ_E_NS1_11comp_targetILNS1_3genE0ELNS1_11target_archE4294967295ELNS1_3gpuE0ELNS1_3repE0EEENS1_47radix_sort_onesweep_sort_config_static_selectorELNS0_4arch9wavefront6targetE0EEEvSG_.numbered_sgpr, 28
	.set _ZN7rocprim17ROCPRIM_400000_NS6detail17trampoline_kernelINS0_14default_configENS1_35radix_sort_onesweep_config_selectorIlNS0_10empty_typeEEEZZNS1_29radix_sort_onesweep_iterationIS3_Lb0EPKlPlPS5_SB_mNS0_19identity_decomposerENS1_16block_id_wrapperIjLb0EEEEE10hipError_tT1_PNSt15iterator_traitsISG_E10value_typeET2_T3_PNSH_ISM_E10value_typeET4_T5_PSR_SS_PNS1_23onesweep_lookback_stateEbbT6_jjT7_P12ihipStream_tbENKUlT_T0_SG_SL_E_clISA_SA_SB_SB_EEDaSZ_S10_SG_SL_EUlSZ_E_NS1_11comp_targetILNS1_3genE0ELNS1_11target_archE4294967295ELNS1_3gpuE0ELNS1_3repE0EEENS1_47radix_sort_onesweep_sort_config_static_selectorELNS0_4arch9wavefront6targetE0EEEvSG_.num_named_barrier, 0
	.set _ZN7rocprim17ROCPRIM_400000_NS6detail17trampoline_kernelINS0_14default_configENS1_35radix_sort_onesweep_config_selectorIlNS0_10empty_typeEEEZZNS1_29radix_sort_onesweep_iterationIS3_Lb0EPKlPlPS5_SB_mNS0_19identity_decomposerENS1_16block_id_wrapperIjLb0EEEEE10hipError_tT1_PNSt15iterator_traitsISG_E10value_typeET2_T3_PNSH_ISM_E10value_typeET4_T5_PSR_SS_PNS1_23onesweep_lookback_stateEbbT6_jjT7_P12ihipStream_tbENKUlT_T0_SG_SL_E_clISA_SA_SB_SB_EEDaSZ_S10_SG_SL_EUlSZ_E_NS1_11comp_targetILNS1_3genE0ELNS1_11target_archE4294967295ELNS1_3gpuE0ELNS1_3repE0EEENS1_47radix_sort_onesweep_sort_config_static_selectorELNS0_4arch9wavefront6targetE0EEEvSG_.private_seg_size, 0
	.set _ZN7rocprim17ROCPRIM_400000_NS6detail17trampoline_kernelINS0_14default_configENS1_35radix_sort_onesweep_config_selectorIlNS0_10empty_typeEEEZZNS1_29radix_sort_onesweep_iterationIS3_Lb0EPKlPlPS5_SB_mNS0_19identity_decomposerENS1_16block_id_wrapperIjLb0EEEEE10hipError_tT1_PNSt15iterator_traitsISG_E10value_typeET2_T3_PNSH_ISM_E10value_typeET4_T5_PSR_SS_PNS1_23onesweep_lookback_stateEbbT6_jjT7_P12ihipStream_tbENKUlT_T0_SG_SL_E_clISA_SA_SB_SB_EEDaSZ_S10_SG_SL_EUlSZ_E_NS1_11comp_targetILNS1_3genE0ELNS1_11target_archE4294967295ELNS1_3gpuE0ELNS1_3repE0EEENS1_47radix_sort_onesweep_sort_config_static_selectorELNS0_4arch9wavefront6targetE0EEEvSG_.uses_vcc, 1
	.set _ZN7rocprim17ROCPRIM_400000_NS6detail17trampoline_kernelINS0_14default_configENS1_35radix_sort_onesweep_config_selectorIlNS0_10empty_typeEEEZZNS1_29radix_sort_onesweep_iterationIS3_Lb0EPKlPlPS5_SB_mNS0_19identity_decomposerENS1_16block_id_wrapperIjLb0EEEEE10hipError_tT1_PNSt15iterator_traitsISG_E10value_typeET2_T3_PNSH_ISM_E10value_typeET4_T5_PSR_SS_PNS1_23onesweep_lookback_stateEbbT6_jjT7_P12ihipStream_tbENKUlT_T0_SG_SL_E_clISA_SA_SB_SB_EEDaSZ_S10_SG_SL_EUlSZ_E_NS1_11comp_targetILNS1_3genE0ELNS1_11target_archE4294967295ELNS1_3gpuE0ELNS1_3repE0EEENS1_47radix_sort_onesweep_sort_config_static_selectorELNS0_4arch9wavefront6targetE0EEEvSG_.uses_flat_scratch, 0
	.set _ZN7rocprim17ROCPRIM_400000_NS6detail17trampoline_kernelINS0_14default_configENS1_35radix_sort_onesweep_config_selectorIlNS0_10empty_typeEEEZZNS1_29radix_sort_onesweep_iterationIS3_Lb0EPKlPlPS5_SB_mNS0_19identity_decomposerENS1_16block_id_wrapperIjLb0EEEEE10hipError_tT1_PNSt15iterator_traitsISG_E10value_typeET2_T3_PNSH_ISM_E10value_typeET4_T5_PSR_SS_PNS1_23onesweep_lookback_stateEbbT6_jjT7_P12ihipStream_tbENKUlT_T0_SG_SL_E_clISA_SA_SB_SB_EEDaSZ_S10_SG_SL_EUlSZ_E_NS1_11comp_targetILNS1_3genE0ELNS1_11target_archE4294967295ELNS1_3gpuE0ELNS1_3repE0EEENS1_47radix_sort_onesweep_sort_config_static_selectorELNS0_4arch9wavefront6targetE0EEEvSG_.has_dyn_sized_stack, 0
	.set _ZN7rocprim17ROCPRIM_400000_NS6detail17trampoline_kernelINS0_14default_configENS1_35radix_sort_onesweep_config_selectorIlNS0_10empty_typeEEEZZNS1_29radix_sort_onesweep_iterationIS3_Lb0EPKlPlPS5_SB_mNS0_19identity_decomposerENS1_16block_id_wrapperIjLb0EEEEE10hipError_tT1_PNSt15iterator_traitsISG_E10value_typeET2_T3_PNSH_ISM_E10value_typeET4_T5_PSR_SS_PNS1_23onesweep_lookback_stateEbbT6_jjT7_P12ihipStream_tbENKUlT_T0_SG_SL_E_clISA_SA_SB_SB_EEDaSZ_S10_SG_SL_EUlSZ_E_NS1_11comp_targetILNS1_3genE0ELNS1_11target_archE4294967295ELNS1_3gpuE0ELNS1_3repE0EEENS1_47radix_sort_onesweep_sort_config_static_selectorELNS0_4arch9wavefront6targetE0EEEvSG_.has_recursion, 0
	.set _ZN7rocprim17ROCPRIM_400000_NS6detail17trampoline_kernelINS0_14default_configENS1_35radix_sort_onesweep_config_selectorIlNS0_10empty_typeEEEZZNS1_29radix_sort_onesweep_iterationIS3_Lb0EPKlPlPS5_SB_mNS0_19identity_decomposerENS1_16block_id_wrapperIjLb0EEEEE10hipError_tT1_PNSt15iterator_traitsISG_E10value_typeET2_T3_PNSH_ISM_E10value_typeET4_T5_PSR_SS_PNS1_23onesweep_lookback_stateEbbT6_jjT7_P12ihipStream_tbENKUlT_T0_SG_SL_E_clISA_SA_SB_SB_EEDaSZ_S10_SG_SL_EUlSZ_E_NS1_11comp_targetILNS1_3genE0ELNS1_11target_archE4294967295ELNS1_3gpuE0ELNS1_3repE0EEENS1_47radix_sort_onesweep_sort_config_static_selectorELNS0_4arch9wavefront6targetE0EEEvSG_.has_indirect_call, 0
	.section	.AMDGPU.csdata,"",@progbits
; Kernel info:
; codeLenInByte = 11176
; TotalNumSgprs: 30
; NumVgprs: 57
; ScratchSize: 0
; MemoryBound: 1
; FloatMode: 240
; IeeeMode: 1
; LDSByteSize: 18504 bytes/workgroup (compile time only)
; SGPRBlocks: 0
; VGPRBlocks: 3
; NumSGPRsForWavesPerEU: 30
; NumVGPRsForWavesPerEU: 57
; NamedBarCnt: 0
; Occupancy: 16
; WaveLimiterHint : 1
; COMPUTE_PGM_RSRC2:SCRATCH_EN: 0
; COMPUTE_PGM_RSRC2:USER_SGPR: 2
; COMPUTE_PGM_RSRC2:TRAP_HANDLER: 0
; COMPUTE_PGM_RSRC2:TGID_X_EN: 1
; COMPUTE_PGM_RSRC2:TGID_Y_EN: 0
; COMPUTE_PGM_RSRC2:TGID_Z_EN: 0
; COMPUTE_PGM_RSRC2:TIDIG_COMP_CNT: 2
	.section	.text._ZN7rocprim17ROCPRIM_400000_NS6detail17trampoline_kernelINS0_14default_configENS1_35radix_sort_onesweep_config_selectorIlNS0_10empty_typeEEEZZNS1_29radix_sort_onesweep_iterationIS3_Lb0EPKlPlPS5_SB_mNS0_19identity_decomposerENS1_16block_id_wrapperIjLb0EEEEE10hipError_tT1_PNSt15iterator_traitsISG_E10value_typeET2_T3_PNSH_ISM_E10value_typeET4_T5_PSR_SS_PNS1_23onesweep_lookback_stateEbbT6_jjT7_P12ihipStream_tbENKUlT_T0_SG_SL_E_clISA_SA_SB_SB_EEDaSZ_S10_SG_SL_EUlSZ_E_NS1_11comp_targetILNS1_3genE6ELNS1_11target_archE950ELNS1_3gpuE13ELNS1_3repE0EEENS1_47radix_sort_onesweep_sort_config_static_selectorELNS0_4arch9wavefront6targetE0EEEvSG_,"axG",@progbits,_ZN7rocprim17ROCPRIM_400000_NS6detail17trampoline_kernelINS0_14default_configENS1_35radix_sort_onesweep_config_selectorIlNS0_10empty_typeEEEZZNS1_29radix_sort_onesweep_iterationIS3_Lb0EPKlPlPS5_SB_mNS0_19identity_decomposerENS1_16block_id_wrapperIjLb0EEEEE10hipError_tT1_PNSt15iterator_traitsISG_E10value_typeET2_T3_PNSH_ISM_E10value_typeET4_T5_PSR_SS_PNS1_23onesweep_lookback_stateEbbT6_jjT7_P12ihipStream_tbENKUlT_T0_SG_SL_E_clISA_SA_SB_SB_EEDaSZ_S10_SG_SL_EUlSZ_E_NS1_11comp_targetILNS1_3genE6ELNS1_11target_archE950ELNS1_3gpuE13ELNS1_3repE0EEENS1_47radix_sort_onesweep_sort_config_static_selectorELNS0_4arch9wavefront6targetE0EEEvSG_,comdat
	.protected	_ZN7rocprim17ROCPRIM_400000_NS6detail17trampoline_kernelINS0_14default_configENS1_35radix_sort_onesweep_config_selectorIlNS0_10empty_typeEEEZZNS1_29radix_sort_onesweep_iterationIS3_Lb0EPKlPlPS5_SB_mNS0_19identity_decomposerENS1_16block_id_wrapperIjLb0EEEEE10hipError_tT1_PNSt15iterator_traitsISG_E10value_typeET2_T3_PNSH_ISM_E10value_typeET4_T5_PSR_SS_PNS1_23onesweep_lookback_stateEbbT6_jjT7_P12ihipStream_tbENKUlT_T0_SG_SL_E_clISA_SA_SB_SB_EEDaSZ_S10_SG_SL_EUlSZ_E_NS1_11comp_targetILNS1_3genE6ELNS1_11target_archE950ELNS1_3gpuE13ELNS1_3repE0EEENS1_47radix_sort_onesweep_sort_config_static_selectorELNS0_4arch9wavefront6targetE0EEEvSG_ ; -- Begin function _ZN7rocprim17ROCPRIM_400000_NS6detail17trampoline_kernelINS0_14default_configENS1_35radix_sort_onesweep_config_selectorIlNS0_10empty_typeEEEZZNS1_29radix_sort_onesweep_iterationIS3_Lb0EPKlPlPS5_SB_mNS0_19identity_decomposerENS1_16block_id_wrapperIjLb0EEEEE10hipError_tT1_PNSt15iterator_traitsISG_E10value_typeET2_T3_PNSH_ISM_E10value_typeET4_T5_PSR_SS_PNS1_23onesweep_lookback_stateEbbT6_jjT7_P12ihipStream_tbENKUlT_T0_SG_SL_E_clISA_SA_SB_SB_EEDaSZ_S10_SG_SL_EUlSZ_E_NS1_11comp_targetILNS1_3genE6ELNS1_11target_archE950ELNS1_3gpuE13ELNS1_3repE0EEENS1_47radix_sort_onesweep_sort_config_static_selectorELNS0_4arch9wavefront6targetE0EEEvSG_
	.globl	_ZN7rocprim17ROCPRIM_400000_NS6detail17trampoline_kernelINS0_14default_configENS1_35radix_sort_onesweep_config_selectorIlNS0_10empty_typeEEEZZNS1_29radix_sort_onesweep_iterationIS3_Lb0EPKlPlPS5_SB_mNS0_19identity_decomposerENS1_16block_id_wrapperIjLb0EEEEE10hipError_tT1_PNSt15iterator_traitsISG_E10value_typeET2_T3_PNSH_ISM_E10value_typeET4_T5_PSR_SS_PNS1_23onesweep_lookback_stateEbbT6_jjT7_P12ihipStream_tbENKUlT_T0_SG_SL_E_clISA_SA_SB_SB_EEDaSZ_S10_SG_SL_EUlSZ_E_NS1_11comp_targetILNS1_3genE6ELNS1_11target_archE950ELNS1_3gpuE13ELNS1_3repE0EEENS1_47radix_sort_onesweep_sort_config_static_selectorELNS0_4arch9wavefront6targetE0EEEvSG_
	.p2align	8
	.type	_ZN7rocprim17ROCPRIM_400000_NS6detail17trampoline_kernelINS0_14default_configENS1_35radix_sort_onesweep_config_selectorIlNS0_10empty_typeEEEZZNS1_29radix_sort_onesweep_iterationIS3_Lb0EPKlPlPS5_SB_mNS0_19identity_decomposerENS1_16block_id_wrapperIjLb0EEEEE10hipError_tT1_PNSt15iterator_traitsISG_E10value_typeET2_T3_PNSH_ISM_E10value_typeET4_T5_PSR_SS_PNS1_23onesweep_lookback_stateEbbT6_jjT7_P12ihipStream_tbENKUlT_T0_SG_SL_E_clISA_SA_SB_SB_EEDaSZ_S10_SG_SL_EUlSZ_E_NS1_11comp_targetILNS1_3genE6ELNS1_11target_archE950ELNS1_3gpuE13ELNS1_3repE0EEENS1_47radix_sort_onesweep_sort_config_static_selectorELNS0_4arch9wavefront6targetE0EEEvSG_,@function
_ZN7rocprim17ROCPRIM_400000_NS6detail17trampoline_kernelINS0_14default_configENS1_35radix_sort_onesweep_config_selectorIlNS0_10empty_typeEEEZZNS1_29radix_sort_onesweep_iterationIS3_Lb0EPKlPlPS5_SB_mNS0_19identity_decomposerENS1_16block_id_wrapperIjLb0EEEEE10hipError_tT1_PNSt15iterator_traitsISG_E10value_typeET2_T3_PNSH_ISM_E10value_typeET4_T5_PSR_SS_PNS1_23onesweep_lookback_stateEbbT6_jjT7_P12ihipStream_tbENKUlT_T0_SG_SL_E_clISA_SA_SB_SB_EEDaSZ_S10_SG_SL_EUlSZ_E_NS1_11comp_targetILNS1_3genE6ELNS1_11target_archE950ELNS1_3gpuE13ELNS1_3repE0EEENS1_47radix_sort_onesweep_sort_config_static_selectorELNS0_4arch9wavefront6targetE0EEEvSG_: ; @_ZN7rocprim17ROCPRIM_400000_NS6detail17trampoline_kernelINS0_14default_configENS1_35radix_sort_onesweep_config_selectorIlNS0_10empty_typeEEEZZNS1_29radix_sort_onesweep_iterationIS3_Lb0EPKlPlPS5_SB_mNS0_19identity_decomposerENS1_16block_id_wrapperIjLb0EEEEE10hipError_tT1_PNSt15iterator_traitsISG_E10value_typeET2_T3_PNSH_ISM_E10value_typeET4_T5_PSR_SS_PNS1_23onesweep_lookback_stateEbbT6_jjT7_P12ihipStream_tbENKUlT_T0_SG_SL_E_clISA_SA_SB_SB_EEDaSZ_S10_SG_SL_EUlSZ_E_NS1_11comp_targetILNS1_3genE6ELNS1_11target_archE950ELNS1_3gpuE13ELNS1_3repE0EEENS1_47radix_sort_onesweep_sort_config_static_selectorELNS0_4arch9wavefront6targetE0EEEvSG_
; %bb.0:
	.section	.rodata,"a",@progbits
	.p2align	6, 0x0
	.amdhsa_kernel _ZN7rocprim17ROCPRIM_400000_NS6detail17trampoline_kernelINS0_14default_configENS1_35radix_sort_onesweep_config_selectorIlNS0_10empty_typeEEEZZNS1_29radix_sort_onesweep_iterationIS3_Lb0EPKlPlPS5_SB_mNS0_19identity_decomposerENS1_16block_id_wrapperIjLb0EEEEE10hipError_tT1_PNSt15iterator_traitsISG_E10value_typeET2_T3_PNSH_ISM_E10value_typeET4_T5_PSR_SS_PNS1_23onesweep_lookback_stateEbbT6_jjT7_P12ihipStream_tbENKUlT_T0_SG_SL_E_clISA_SA_SB_SB_EEDaSZ_S10_SG_SL_EUlSZ_E_NS1_11comp_targetILNS1_3genE6ELNS1_11target_archE950ELNS1_3gpuE13ELNS1_3repE0EEENS1_47radix_sort_onesweep_sort_config_static_selectorELNS0_4arch9wavefront6targetE0EEEvSG_
		.amdhsa_group_segment_fixed_size 0
		.amdhsa_private_segment_fixed_size 0
		.amdhsa_kernarg_size 88
		.amdhsa_user_sgpr_count 2
		.amdhsa_user_sgpr_dispatch_ptr 0
		.amdhsa_user_sgpr_queue_ptr 0
		.amdhsa_user_sgpr_kernarg_segment_ptr 1
		.amdhsa_user_sgpr_dispatch_id 0
		.amdhsa_user_sgpr_kernarg_preload_length 0
		.amdhsa_user_sgpr_kernarg_preload_offset 0
		.amdhsa_user_sgpr_private_segment_size 0
		.amdhsa_wavefront_size32 1
		.amdhsa_uses_dynamic_stack 0
		.amdhsa_enable_private_segment 0
		.amdhsa_system_sgpr_workgroup_id_x 1
		.amdhsa_system_sgpr_workgroup_id_y 0
		.amdhsa_system_sgpr_workgroup_id_z 0
		.amdhsa_system_sgpr_workgroup_info 0
		.amdhsa_system_vgpr_workitem_id 0
		.amdhsa_next_free_vgpr 1
		.amdhsa_next_free_sgpr 1
		.amdhsa_named_barrier_count 0
		.amdhsa_reserve_vcc 0
		.amdhsa_float_round_mode_32 0
		.amdhsa_float_round_mode_16_64 0
		.amdhsa_float_denorm_mode_32 3
		.amdhsa_float_denorm_mode_16_64 3
		.amdhsa_fp16_overflow 0
		.amdhsa_memory_ordered 1
		.amdhsa_forward_progress 1
		.amdhsa_inst_pref_size 0
		.amdhsa_round_robin_scheduling 0
		.amdhsa_exception_fp_ieee_invalid_op 0
		.amdhsa_exception_fp_denorm_src 0
		.amdhsa_exception_fp_ieee_div_zero 0
		.amdhsa_exception_fp_ieee_overflow 0
		.amdhsa_exception_fp_ieee_underflow 0
		.amdhsa_exception_fp_ieee_inexact 0
		.amdhsa_exception_int_div_zero 0
	.end_amdhsa_kernel
	.section	.text._ZN7rocprim17ROCPRIM_400000_NS6detail17trampoline_kernelINS0_14default_configENS1_35radix_sort_onesweep_config_selectorIlNS0_10empty_typeEEEZZNS1_29radix_sort_onesweep_iterationIS3_Lb0EPKlPlPS5_SB_mNS0_19identity_decomposerENS1_16block_id_wrapperIjLb0EEEEE10hipError_tT1_PNSt15iterator_traitsISG_E10value_typeET2_T3_PNSH_ISM_E10value_typeET4_T5_PSR_SS_PNS1_23onesweep_lookback_stateEbbT6_jjT7_P12ihipStream_tbENKUlT_T0_SG_SL_E_clISA_SA_SB_SB_EEDaSZ_S10_SG_SL_EUlSZ_E_NS1_11comp_targetILNS1_3genE6ELNS1_11target_archE950ELNS1_3gpuE13ELNS1_3repE0EEENS1_47radix_sort_onesweep_sort_config_static_selectorELNS0_4arch9wavefront6targetE0EEEvSG_,"axG",@progbits,_ZN7rocprim17ROCPRIM_400000_NS6detail17trampoline_kernelINS0_14default_configENS1_35radix_sort_onesweep_config_selectorIlNS0_10empty_typeEEEZZNS1_29radix_sort_onesweep_iterationIS3_Lb0EPKlPlPS5_SB_mNS0_19identity_decomposerENS1_16block_id_wrapperIjLb0EEEEE10hipError_tT1_PNSt15iterator_traitsISG_E10value_typeET2_T3_PNSH_ISM_E10value_typeET4_T5_PSR_SS_PNS1_23onesweep_lookback_stateEbbT6_jjT7_P12ihipStream_tbENKUlT_T0_SG_SL_E_clISA_SA_SB_SB_EEDaSZ_S10_SG_SL_EUlSZ_E_NS1_11comp_targetILNS1_3genE6ELNS1_11target_archE950ELNS1_3gpuE13ELNS1_3repE0EEENS1_47radix_sort_onesweep_sort_config_static_selectorELNS0_4arch9wavefront6targetE0EEEvSG_,comdat
.Lfunc_end1235:
	.size	_ZN7rocprim17ROCPRIM_400000_NS6detail17trampoline_kernelINS0_14default_configENS1_35radix_sort_onesweep_config_selectorIlNS0_10empty_typeEEEZZNS1_29radix_sort_onesweep_iterationIS3_Lb0EPKlPlPS5_SB_mNS0_19identity_decomposerENS1_16block_id_wrapperIjLb0EEEEE10hipError_tT1_PNSt15iterator_traitsISG_E10value_typeET2_T3_PNSH_ISM_E10value_typeET4_T5_PSR_SS_PNS1_23onesweep_lookback_stateEbbT6_jjT7_P12ihipStream_tbENKUlT_T0_SG_SL_E_clISA_SA_SB_SB_EEDaSZ_S10_SG_SL_EUlSZ_E_NS1_11comp_targetILNS1_3genE6ELNS1_11target_archE950ELNS1_3gpuE13ELNS1_3repE0EEENS1_47radix_sort_onesweep_sort_config_static_selectorELNS0_4arch9wavefront6targetE0EEEvSG_, .Lfunc_end1235-_ZN7rocprim17ROCPRIM_400000_NS6detail17trampoline_kernelINS0_14default_configENS1_35radix_sort_onesweep_config_selectorIlNS0_10empty_typeEEEZZNS1_29radix_sort_onesweep_iterationIS3_Lb0EPKlPlPS5_SB_mNS0_19identity_decomposerENS1_16block_id_wrapperIjLb0EEEEE10hipError_tT1_PNSt15iterator_traitsISG_E10value_typeET2_T3_PNSH_ISM_E10value_typeET4_T5_PSR_SS_PNS1_23onesweep_lookback_stateEbbT6_jjT7_P12ihipStream_tbENKUlT_T0_SG_SL_E_clISA_SA_SB_SB_EEDaSZ_S10_SG_SL_EUlSZ_E_NS1_11comp_targetILNS1_3genE6ELNS1_11target_archE950ELNS1_3gpuE13ELNS1_3repE0EEENS1_47radix_sort_onesweep_sort_config_static_selectorELNS0_4arch9wavefront6targetE0EEEvSG_
                                        ; -- End function
	.set _ZN7rocprim17ROCPRIM_400000_NS6detail17trampoline_kernelINS0_14default_configENS1_35radix_sort_onesweep_config_selectorIlNS0_10empty_typeEEEZZNS1_29radix_sort_onesweep_iterationIS3_Lb0EPKlPlPS5_SB_mNS0_19identity_decomposerENS1_16block_id_wrapperIjLb0EEEEE10hipError_tT1_PNSt15iterator_traitsISG_E10value_typeET2_T3_PNSH_ISM_E10value_typeET4_T5_PSR_SS_PNS1_23onesweep_lookback_stateEbbT6_jjT7_P12ihipStream_tbENKUlT_T0_SG_SL_E_clISA_SA_SB_SB_EEDaSZ_S10_SG_SL_EUlSZ_E_NS1_11comp_targetILNS1_3genE6ELNS1_11target_archE950ELNS1_3gpuE13ELNS1_3repE0EEENS1_47radix_sort_onesweep_sort_config_static_selectorELNS0_4arch9wavefront6targetE0EEEvSG_.num_vgpr, 0
	.set _ZN7rocprim17ROCPRIM_400000_NS6detail17trampoline_kernelINS0_14default_configENS1_35radix_sort_onesweep_config_selectorIlNS0_10empty_typeEEEZZNS1_29radix_sort_onesweep_iterationIS3_Lb0EPKlPlPS5_SB_mNS0_19identity_decomposerENS1_16block_id_wrapperIjLb0EEEEE10hipError_tT1_PNSt15iterator_traitsISG_E10value_typeET2_T3_PNSH_ISM_E10value_typeET4_T5_PSR_SS_PNS1_23onesweep_lookback_stateEbbT6_jjT7_P12ihipStream_tbENKUlT_T0_SG_SL_E_clISA_SA_SB_SB_EEDaSZ_S10_SG_SL_EUlSZ_E_NS1_11comp_targetILNS1_3genE6ELNS1_11target_archE950ELNS1_3gpuE13ELNS1_3repE0EEENS1_47radix_sort_onesweep_sort_config_static_selectorELNS0_4arch9wavefront6targetE0EEEvSG_.num_agpr, 0
	.set _ZN7rocprim17ROCPRIM_400000_NS6detail17trampoline_kernelINS0_14default_configENS1_35radix_sort_onesweep_config_selectorIlNS0_10empty_typeEEEZZNS1_29radix_sort_onesweep_iterationIS3_Lb0EPKlPlPS5_SB_mNS0_19identity_decomposerENS1_16block_id_wrapperIjLb0EEEEE10hipError_tT1_PNSt15iterator_traitsISG_E10value_typeET2_T3_PNSH_ISM_E10value_typeET4_T5_PSR_SS_PNS1_23onesweep_lookback_stateEbbT6_jjT7_P12ihipStream_tbENKUlT_T0_SG_SL_E_clISA_SA_SB_SB_EEDaSZ_S10_SG_SL_EUlSZ_E_NS1_11comp_targetILNS1_3genE6ELNS1_11target_archE950ELNS1_3gpuE13ELNS1_3repE0EEENS1_47radix_sort_onesweep_sort_config_static_selectorELNS0_4arch9wavefront6targetE0EEEvSG_.numbered_sgpr, 0
	.set _ZN7rocprim17ROCPRIM_400000_NS6detail17trampoline_kernelINS0_14default_configENS1_35radix_sort_onesweep_config_selectorIlNS0_10empty_typeEEEZZNS1_29radix_sort_onesweep_iterationIS3_Lb0EPKlPlPS5_SB_mNS0_19identity_decomposerENS1_16block_id_wrapperIjLb0EEEEE10hipError_tT1_PNSt15iterator_traitsISG_E10value_typeET2_T3_PNSH_ISM_E10value_typeET4_T5_PSR_SS_PNS1_23onesweep_lookback_stateEbbT6_jjT7_P12ihipStream_tbENKUlT_T0_SG_SL_E_clISA_SA_SB_SB_EEDaSZ_S10_SG_SL_EUlSZ_E_NS1_11comp_targetILNS1_3genE6ELNS1_11target_archE950ELNS1_3gpuE13ELNS1_3repE0EEENS1_47radix_sort_onesweep_sort_config_static_selectorELNS0_4arch9wavefront6targetE0EEEvSG_.num_named_barrier, 0
	.set _ZN7rocprim17ROCPRIM_400000_NS6detail17trampoline_kernelINS0_14default_configENS1_35radix_sort_onesweep_config_selectorIlNS0_10empty_typeEEEZZNS1_29radix_sort_onesweep_iterationIS3_Lb0EPKlPlPS5_SB_mNS0_19identity_decomposerENS1_16block_id_wrapperIjLb0EEEEE10hipError_tT1_PNSt15iterator_traitsISG_E10value_typeET2_T3_PNSH_ISM_E10value_typeET4_T5_PSR_SS_PNS1_23onesweep_lookback_stateEbbT6_jjT7_P12ihipStream_tbENKUlT_T0_SG_SL_E_clISA_SA_SB_SB_EEDaSZ_S10_SG_SL_EUlSZ_E_NS1_11comp_targetILNS1_3genE6ELNS1_11target_archE950ELNS1_3gpuE13ELNS1_3repE0EEENS1_47radix_sort_onesweep_sort_config_static_selectorELNS0_4arch9wavefront6targetE0EEEvSG_.private_seg_size, 0
	.set _ZN7rocprim17ROCPRIM_400000_NS6detail17trampoline_kernelINS0_14default_configENS1_35radix_sort_onesweep_config_selectorIlNS0_10empty_typeEEEZZNS1_29radix_sort_onesweep_iterationIS3_Lb0EPKlPlPS5_SB_mNS0_19identity_decomposerENS1_16block_id_wrapperIjLb0EEEEE10hipError_tT1_PNSt15iterator_traitsISG_E10value_typeET2_T3_PNSH_ISM_E10value_typeET4_T5_PSR_SS_PNS1_23onesweep_lookback_stateEbbT6_jjT7_P12ihipStream_tbENKUlT_T0_SG_SL_E_clISA_SA_SB_SB_EEDaSZ_S10_SG_SL_EUlSZ_E_NS1_11comp_targetILNS1_3genE6ELNS1_11target_archE950ELNS1_3gpuE13ELNS1_3repE0EEENS1_47radix_sort_onesweep_sort_config_static_selectorELNS0_4arch9wavefront6targetE0EEEvSG_.uses_vcc, 0
	.set _ZN7rocprim17ROCPRIM_400000_NS6detail17trampoline_kernelINS0_14default_configENS1_35radix_sort_onesweep_config_selectorIlNS0_10empty_typeEEEZZNS1_29radix_sort_onesweep_iterationIS3_Lb0EPKlPlPS5_SB_mNS0_19identity_decomposerENS1_16block_id_wrapperIjLb0EEEEE10hipError_tT1_PNSt15iterator_traitsISG_E10value_typeET2_T3_PNSH_ISM_E10value_typeET4_T5_PSR_SS_PNS1_23onesweep_lookback_stateEbbT6_jjT7_P12ihipStream_tbENKUlT_T0_SG_SL_E_clISA_SA_SB_SB_EEDaSZ_S10_SG_SL_EUlSZ_E_NS1_11comp_targetILNS1_3genE6ELNS1_11target_archE950ELNS1_3gpuE13ELNS1_3repE0EEENS1_47radix_sort_onesweep_sort_config_static_selectorELNS0_4arch9wavefront6targetE0EEEvSG_.uses_flat_scratch, 0
	.set _ZN7rocprim17ROCPRIM_400000_NS6detail17trampoline_kernelINS0_14default_configENS1_35radix_sort_onesweep_config_selectorIlNS0_10empty_typeEEEZZNS1_29radix_sort_onesweep_iterationIS3_Lb0EPKlPlPS5_SB_mNS0_19identity_decomposerENS1_16block_id_wrapperIjLb0EEEEE10hipError_tT1_PNSt15iterator_traitsISG_E10value_typeET2_T3_PNSH_ISM_E10value_typeET4_T5_PSR_SS_PNS1_23onesweep_lookback_stateEbbT6_jjT7_P12ihipStream_tbENKUlT_T0_SG_SL_E_clISA_SA_SB_SB_EEDaSZ_S10_SG_SL_EUlSZ_E_NS1_11comp_targetILNS1_3genE6ELNS1_11target_archE950ELNS1_3gpuE13ELNS1_3repE0EEENS1_47radix_sort_onesweep_sort_config_static_selectorELNS0_4arch9wavefront6targetE0EEEvSG_.has_dyn_sized_stack, 0
	.set _ZN7rocprim17ROCPRIM_400000_NS6detail17trampoline_kernelINS0_14default_configENS1_35radix_sort_onesweep_config_selectorIlNS0_10empty_typeEEEZZNS1_29radix_sort_onesweep_iterationIS3_Lb0EPKlPlPS5_SB_mNS0_19identity_decomposerENS1_16block_id_wrapperIjLb0EEEEE10hipError_tT1_PNSt15iterator_traitsISG_E10value_typeET2_T3_PNSH_ISM_E10value_typeET4_T5_PSR_SS_PNS1_23onesweep_lookback_stateEbbT6_jjT7_P12ihipStream_tbENKUlT_T0_SG_SL_E_clISA_SA_SB_SB_EEDaSZ_S10_SG_SL_EUlSZ_E_NS1_11comp_targetILNS1_3genE6ELNS1_11target_archE950ELNS1_3gpuE13ELNS1_3repE0EEENS1_47radix_sort_onesweep_sort_config_static_selectorELNS0_4arch9wavefront6targetE0EEEvSG_.has_recursion, 0
	.set _ZN7rocprim17ROCPRIM_400000_NS6detail17trampoline_kernelINS0_14default_configENS1_35radix_sort_onesweep_config_selectorIlNS0_10empty_typeEEEZZNS1_29radix_sort_onesweep_iterationIS3_Lb0EPKlPlPS5_SB_mNS0_19identity_decomposerENS1_16block_id_wrapperIjLb0EEEEE10hipError_tT1_PNSt15iterator_traitsISG_E10value_typeET2_T3_PNSH_ISM_E10value_typeET4_T5_PSR_SS_PNS1_23onesweep_lookback_stateEbbT6_jjT7_P12ihipStream_tbENKUlT_T0_SG_SL_E_clISA_SA_SB_SB_EEDaSZ_S10_SG_SL_EUlSZ_E_NS1_11comp_targetILNS1_3genE6ELNS1_11target_archE950ELNS1_3gpuE13ELNS1_3repE0EEENS1_47radix_sort_onesweep_sort_config_static_selectorELNS0_4arch9wavefront6targetE0EEEvSG_.has_indirect_call, 0
	.section	.AMDGPU.csdata,"",@progbits
; Kernel info:
; codeLenInByte = 0
; TotalNumSgprs: 0
; NumVgprs: 0
; ScratchSize: 0
; MemoryBound: 0
; FloatMode: 240
; IeeeMode: 1
; LDSByteSize: 0 bytes/workgroup (compile time only)
; SGPRBlocks: 0
; VGPRBlocks: 0
; NumSGPRsForWavesPerEU: 1
; NumVGPRsForWavesPerEU: 1
; NamedBarCnt: 0
; Occupancy: 16
; WaveLimiterHint : 0
; COMPUTE_PGM_RSRC2:SCRATCH_EN: 0
; COMPUTE_PGM_RSRC2:USER_SGPR: 2
; COMPUTE_PGM_RSRC2:TRAP_HANDLER: 0
; COMPUTE_PGM_RSRC2:TGID_X_EN: 1
; COMPUTE_PGM_RSRC2:TGID_Y_EN: 0
; COMPUTE_PGM_RSRC2:TGID_Z_EN: 0
; COMPUTE_PGM_RSRC2:TIDIG_COMP_CNT: 0
	.section	.text._ZN7rocprim17ROCPRIM_400000_NS6detail17trampoline_kernelINS0_14default_configENS1_35radix_sort_onesweep_config_selectorIlNS0_10empty_typeEEEZZNS1_29radix_sort_onesweep_iterationIS3_Lb0EPKlPlPS5_SB_mNS0_19identity_decomposerENS1_16block_id_wrapperIjLb0EEEEE10hipError_tT1_PNSt15iterator_traitsISG_E10value_typeET2_T3_PNSH_ISM_E10value_typeET4_T5_PSR_SS_PNS1_23onesweep_lookback_stateEbbT6_jjT7_P12ihipStream_tbENKUlT_T0_SG_SL_E_clISA_SA_SB_SB_EEDaSZ_S10_SG_SL_EUlSZ_E_NS1_11comp_targetILNS1_3genE5ELNS1_11target_archE942ELNS1_3gpuE9ELNS1_3repE0EEENS1_47radix_sort_onesweep_sort_config_static_selectorELNS0_4arch9wavefront6targetE0EEEvSG_,"axG",@progbits,_ZN7rocprim17ROCPRIM_400000_NS6detail17trampoline_kernelINS0_14default_configENS1_35radix_sort_onesweep_config_selectorIlNS0_10empty_typeEEEZZNS1_29radix_sort_onesweep_iterationIS3_Lb0EPKlPlPS5_SB_mNS0_19identity_decomposerENS1_16block_id_wrapperIjLb0EEEEE10hipError_tT1_PNSt15iterator_traitsISG_E10value_typeET2_T3_PNSH_ISM_E10value_typeET4_T5_PSR_SS_PNS1_23onesweep_lookback_stateEbbT6_jjT7_P12ihipStream_tbENKUlT_T0_SG_SL_E_clISA_SA_SB_SB_EEDaSZ_S10_SG_SL_EUlSZ_E_NS1_11comp_targetILNS1_3genE5ELNS1_11target_archE942ELNS1_3gpuE9ELNS1_3repE0EEENS1_47radix_sort_onesweep_sort_config_static_selectorELNS0_4arch9wavefront6targetE0EEEvSG_,comdat
	.protected	_ZN7rocprim17ROCPRIM_400000_NS6detail17trampoline_kernelINS0_14default_configENS1_35radix_sort_onesweep_config_selectorIlNS0_10empty_typeEEEZZNS1_29radix_sort_onesweep_iterationIS3_Lb0EPKlPlPS5_SB_mNS0_19identity_decomposerENS1_16block_id_wrapperIjLb0EEEEE10hipError_tT1_PNSt15iterator_traitsISG_E10value_typeET2_T3_PNSH_ISM_E10value_typeET4_T5_PSR_SS_PNS1_23onesweep_lookback_stateEbbT6_jjT7_P12ihipStream_tbENKUlT_T0_SG_SL_E_clISA_SA_SB_SB_EEDaSZ_S10_SG_SL_EUlSZ_E_NS1_11comp_targetILNS1_3genE5ELNS1_11target_archE942ELNS1_3gpuE9ELNS1_3repE0EEENS1_47radix_sort_onesweep_sort_config_static_selectorELNS0_4arch9wavefront6targetE0EEEvSG_ ; -- Begin function _ZN7rocprim17ROCPRIM_400000_NS6detail17trampoline_kernelINS0_14default_configENS1_35radix_sort_onesweep_config_selectorIlNS0_10empty_typeEEEZZNS1_29radix_sort_onesweep_iterationIS3_Lb0EPKlPlPS5_SB_mNS0_19identity_decomposerENS1_16block_id_wrapperIjLb0EEEEE10hipError_tT1_PNSt15iterator_traitsISG_E10value_typeET2_T3_PNSH_ISM_E10value_typeET4_T5_PSR_SS_PNS1_23onesweep_lookback_stateEbbT6_jjT7_P12ihipStream_tbENKUlT_T0_SG_SL_E_clISA_SA_SB_SB_EEDaSZ_S10_SG_SL_EUlSZ_E_NS1_11comp_targetILNS1_3genE5ELNS1_11target_archE942ELNS1_3gpuE9ELNS1_3repE0EEENS1_47radix_sort_onesweep_sort_config_static_selectorELNS0_4arch9wavefront6targetE0EEEvSG_
	.globl	_ZN7rocprim17ROCPRIM_400000_NS6detail17trampoline_kernelINS0_14default_configENS1_35radix_sort_onesweep_config_selectorIlNS0_10empty_typeEEEZZNS1_29radix_sort_onesweep_iterationIS3_Lb0EPKlPlPS5_SB_mNS0_19identity_decomposerENS1_16block_id_wrapperIjLb0EEEEE10hipError_tT1_PNSt15iterator_traitsISG_E10value_typeET2_T3_PNSH_ISM_E10value_typeET4_T5_PSR_SS_PNS1_23onesweep_lookback_stateEbbT6_jjT7_P12ihipStream_tbENKUlT_T0_SG_SL_E_clISA_SA_SB_SB_EEDaSZ_S10_SG_SL_EUlSZ_E_NS1_11comp_targetILNS1_3genE5ELNS1_11target_archE942ELNS1_3gpuE9ELNS1_3repE0EEENS1_47radix_sort_onesweep_sort_config_static_selectorELNS0_4arch9wavefront6targetE0EEEvSG_
	.p2align	8
	.type	_ZN7rocprim17ROCPRIM_400000_NS6detail17trampoline_kernelINS0_14default_configENS1_35radix_sort_onesweep_config_selectorIlNS0_10empty_typeEEEZZNS1_29radix_sort_onesweep_iterationIS3_Lb0EPKlPlPS5_SB_mNS0_19identity_decomposerENS1_16block_id_wrapperIjLb0EEEEE10hipError_tT1_PNSt15iterator_traitsISG_E10value_typeET2_T3_PNSH_ISM_E10value_typeET4_T5_PSR_SS_PNS1_23onesweep_lookback_stateEbbT6_jjT7_P12ihipStream_tbENKUlT_T0_SG_SL_E_clISA_SA_SB_SB_EEDaSZ_S10_SG_SL_EUlSZ_E_NS1_11comp_targetILNS1_3genE5ELNS1_11target_archE942ELNS1_3gpuE9ELNS1_3repE0EEENS1_47radix_sort_onesweep_sort_config_static_selectorELNS0_4arch9wavefront6targetE0EEEvSG_,@function
_ZN7rocprim17ROCPRIM_400000_NS6detail17trampoline_kernelINS0_14default_configENS1_35radix_sort_onesweep_config_selectorIlNS0_10empty_typeEEEZZNS1_29radix_sort_onesweep_iterationIS3_Lb0EPKlPlPS5_SB_mNS0_19identity_decomposerENS1_16block_id_wrapperIjLb0EEEEE10hipError_tT1_PNSt15iterator_traitsISG_E10value_typeET2_T3_PNSH_ISM_E10value_typeET4_T5_PSR_SS_PNS1_23onesweep_lookback_stateEbbT6_jjT7_P12ihipStream_tbENKUlT_T0_SG_SL_E_clISA_SA_SB_SB_EEDaSZ_S10_SG_SL_EUlSZ_E_NS1_11comp_targetILNS1_3genE5ELNS1_11target_archE942ELNS1_3gpuE9ELNS1_3repE0EEENS1_47radix_sort_onesweep_sort_config_static_selectorELNS0_4arch9wavefront6targetE0EEEvSG_: ; @_ZN7rocprim17ROCPRIM_400000_NS6detail17trampoline_kernelINS0_14default_configENS1_35radix_sort_onesweep_config_selectorIlNS0_10empty_typeEEEZZNS1_29radix_sort_onesweep_iterationIS3_Lb0EPKlPlPS5_SB_mNS0_19identity_decomposerENS1_16block_id_wrapperIjLb0EEEEE10hipError_tT1_PNSt15iterator_traitsISG_E10value_typeET2_T3_PNSH_ISM_E10value_typeET4_T5_PSR_SS_PNS1_23onesweep_lookback_stateEbbT6_jjT7_P12ihipStream_tbENKUlT_T0_SG_SL_E_clISA_SA_SB_SB_EEDaSZ_S10_SG_SL_EUlSZ_E_NS1_11comp_targetILNS1_3genE5ELNS1_11target_archE942ELNS1_3gpuE9ELNS1_3repE0EEENS1_47radix_sort_onesweep_sort_config_static_selectorELNS0_4arch9wavefront6targetE0EEEvSG_
; %bb.0:
	.section	.rodata,"a",@progbits
	.p2align	6, 0x0
	.amdhsa_kernel _ZN7rocprim17ROCPRIM_400000_NS6detail17trampoline_kernelINS0_14default_configENS1_35radix_sort_onesweep_config_selectorIlNS0_10empty_typeEEEZZNS1_29radix_sort_onesweep_iterationIS3_Lb0EPKlPlPS5_SB_mNS0_19identity_decomposerENS1_16block_id_wrapperIjLb0EEEEE10hipError_tT1_PNSt15iterator_traitsISG_E10value_typeET2_T3_PNSH_ISM_E10value_typeET4_T5_PSR_SS_PNS1_23onesweep_lookback_stateEbbT6_jjT7_P12ihipStream_tbENKUlT_T0_SG_SL_E_clISA_SA_SB_SB_EEDaSZ_S10_SG_SL_EUlSZ_E_NS1_11comp_targetILNS1_3genE5ELNS1_11target_archE942ELNS1_3gpuE9ELNS1_3repE0EEENS1_47radix_sort_onesweep_sort_config_static_selectorELNS0_4arch9wavefront6targetE0EEEvSG_
		.amdhsa_group_segment_fixed_size 0
		.amdhsa_private_segment_fixed_size 0
		.amdhsa_kernarg_size 88
		.amdhsa_user_sgpr_count 2
		.amdhsa_user_sgpr_dispatch_ptr 0
		.amdhsa_user_sgpr_queue_ptr 0
		.amdhsa_user_sgpr_kernarg_segment_ptr 1
		.amdhsa_user_sgpr_dispatch_id 0
		.amdhsa_user_sgpr_kernarg_preload_length 0
		.amdhsa_user_sgpr_kernarg_preload_offset 0
		.amdhsa_user_sgpr_private_segment_size 0
		.amdhsa_wavefront_size32 1
		.amdhsa_uses_dynamic_stack 0
		.amdhsa_enable_private_segment 0
		.amdhsa_system_sgpr_workgroup_id_x 1
		.amdhsa_system_sgpr_workgroup_id_y 0
		.amdhsa_system_sgpr_workgroup_id_z 0
		.amdhsa_system_sgpr_workgroup_info 0
		.amdhsa_system_vgpr_workitem_id 0
		.amdhsa_next_free_vgpr 1
		.amdhsa_next_free_sgpr 1
		.amdhsa_named_barrier_count 0
		.amdhsa_reserve_vcc 0
		.amdhsa_float_round_mode_32 0
		.amdhsa_float_round_mode_16_64 0
		.amdhsa_float_denorm_mode_32 3
		.amdhsa_float_denorm_mode_16_64 3
		.amdhsa_fp16_overflow 0
		.amdhsa_memory_ordered 1
		.amdhsa_forward_progress 1
		.amdhsa_inst_pref_size 0
		.amdhsa_round_robin_scheduling 0
		.amdhsa_exception_fp_ieee_invalid_op 0
		.amdhsa_exception_fp_denorm_src 0
		.amdhsa_exception_fp_ieee_div_zero 0
		.amdhsa_exception_fp_ieee_overflow 0
		.amdhsa_exception_fp_ieee_underflow 0
		.amdhsa_exception_fp_ieee_inexact 0
		.amdhsa_exception_int_div_zero 0
	.end_amdhsa_kernel
	.section	.text._ZN7rocprim17ROCPRIM_400000_NS6detail17trampoline_kernelINS0_14default_configENS1_35radix_sort_onesweep_config_selectorIlNS0_10empty_typeEEEZZNS1_29radix_sort_onesweep_iterationIS3_Lb0EPKlPlPS5_SB_mNS0_19identity_decomposerENS1_16block_id_wrapperIjLb0EEEEE10hipError_tT1_PNSt15iterator_traitsISG_E10value_typeET2_T3_PNSH_ISM_E10value_typeET4_T5_PSR_SS_PNS1_23onesweep_lookback_stateEbbT6_jjT7_P12ihipStream_tbENKUlT_T0_SG_SL_E_clISA_SA_SB_SB_EEDaSZ_S10_SG_SL_EUlSZ_E_NS1_11comp_targetILNS1_3genE5ELNS1_11target_archE942ELNS1_3gpuE9ELNS1_3repE0EEENS1_47radix_sort_onesweep_sort_config_static_selectorELNS0_4arch9wavefront6targetE0EEEvSG_,"axG",@progbits,_ZN7rocprim17ROCPRIM_400000_NS6detail17trampoline_kernelINS0_14default_configENS1_35radix_sort_onesweep_config_selectorIlNS0_10empty_typeEEEZZNS1_29radix_sort_onesweep_iterationIS3_Lb0EPKlPlPS5_SB_mNS0_19identity_decomposerENS1_16block_id_wrapperIjLb0EEEEE10hipError_tT1_PNSt15iterator_traitsISG_E10value_typeET2_T3_PNSH_ISM_E10value_typeET4_T5_PSR_SS_PNS1_23onesweep_lookback_stateEbbT6_jjT7_P12ihipStream_tbENKUlT_T0_SG_SL_E_clISA_SA_SB_SB_EEDaSZ_S10_SG_SL_EUlSZ_E_NS1_11comp_targetILNS1_3genE5ELNS1_11target_archE942ELNS1_3gpuE9ELNS1_3repE0EEENS1_47radix_sort_onesweep_sort_config_static_selectorELNS0_4arch9wavefront6targetE0EEEvSG_,comdat
.Lfunc_end1236:
	.size	_ZN7rocprim17ROCPRIM_400000_NS6detail17trampoline_kernelINS0_14default_configENS1_35radix_sort_onesweep_config_selectorIlNS0_10empty_typeEEEZZNS1_29radix_sort_onesweep_iterationIS3_Lb0EPKlPlPS5_SB_mNS0_19identity_decomposerENS1_16block_id_wrapperIjLb0EEEEE10hipError_tT1_PNSt15iterator_traitsISG_E10value_typeET2_T3_PNSH_ISM_E10value_typeET4_T5_PSR_SS_PNS1_23onesweep_lookback_stateEbbT6_jjT7_P12ihipStream_tbENKUlT_T0_SG_SL_E_clISA_SA_SB_SB_EEDaSZ_S10_SG_SL_EUlSZ_E_NS1_11comp_targetILNS1_3genE5ELNS1_11target_archE942ELNS1_3gpuE9ELNS1_3repE0EEENS1_47radix_sort_onesweep_sort_config_static_selectorELNS0_4arch9wavefront6targetE0EEEvSG_, .Lfunc_end1236-_ZN7rocprim17ROCPRIM_400000_NS6detail17trampoline_kernelINS0_14default_configENS1_35radix_sort_onesweep_config_selectorIlNS0_10empty_typeEEEZZNS1_29radix_sort_onesweep_iterationIS3_Lb0EPKlPlPS5_SB_mNS0_19identity_decomposerENS1_16block_id_wrapperIjLb0EEEEE10hipError_tT1_PNSt15iterator_traitsISG_E10value_typeET2_T3_PNSH_ISM_E10value_typeET4_T5_PSR_SS_PNS1_23onesweep_lookback_stateEbbT6_jjT7_P12ihipStream_tbENKUlT_T0_SG_SL_E_clISA_SA_SB_SB_EEDaSZ_S10_SG_SL_EUlSZ_E_NS1_11comp_targetILNS1_3genE5ELNS1_11target_archE942ELNS1_3gpuE9ELNS1_3repE0EEENS1_47radix_sort_onesweep_sort_config_static_selectorELNS0_4arch9wavefront6targetE0EEEvSG_
                                        ; -- End function
	.set _ZN7rocprim17ROCPRIM_400000_NS6detail17trampoline_kernelINS0_14default_configENS1_35radix_sort_onesweep_config_selectorIlNS0_10empty_typeEEEZZNS1_29radix_sort_onesweep_iterationIS3_Lb0EPKlPlPS5_SB_mNS0_19identity_decomposerENS1_16block_id_wrapperIjLb0EEEEE10hipError_tT1_PNSt15iterator_traitsISG_E10value_typeET2_T3_PNSH_ISM_E10value_typeET4_T5_PSR_SS_PNS1_23onesweep_lookback_stateEbbT6_jjT7_P12ihipStream_tbENKUlT_T0_SG_SL_E_clISA_SA_SB_SB_EEDaSZ_S10_SG_SL_EUlSZ_E_NS1_11comp_targetILNS1_3genE5ELNS1_11target_archE942ELNS1_3gpuE9ELNS1_3repE0EEENS1_47radix_sort_onesweep_sort_config_static_selectorELNS0_4arch9wavefront6targetE0EEEvSG_.num_vgpr, 0
	.set _ZN7rocprim17ROCPRIM_400000_NS6detail17trampoline_kernelINS0_14default_configENS1_35radix_sort_onesweep_config_selectorIlNS0_10empty_typeEEEZZNS1_29radix_sort_onesweep_iterationIS3_Lb0EPKlPlPS5_SB_mNS0_19identity_decomposerENS1_16block_id_wrapperIjLb0EEEEE10hipError_tT1_PNSt15iterator_traitsISG_E10value_typeET2_T3_PNSH_ISM_E10value_typeET4_T5_PSR_SS_PNS1_23onesweep_lookback_stateEbbT6_jjT7_P12ihipStream_tbENKUlT_T0_SG_SL_E_clISA_SA_SB_SB_EEDaSZ_S10_SG_SL_EUlSZ_E_NS1_11comp_targetILNS1_3genE5ELNS1_11target_archE942ELNS1_3gpuE9ELNS1_3repE0EEENS1_47radix_sort_onesweep_sort_config_static_selectorELNS0_4arch9wavefront6targetE0EEEvSG_.num_agpr, 0
	.set _ZN7rocprim17ROCPRIM_400000_NS6detail17trampoline_kernelINS0_14default_configENS1_35radix_sort_onesweep_config_selectorIlNS0_10empty_typeEEEZZNS1_29radix_sort_onesweep_iterationIS3_Lb0EPKlPlPS5_SB_mNS0_19identity_decomposerENS1_16block_id_wrapperIjLb0EEEEE10hipError_tT1_PNSt15iterator_traitsISG_E10value_typeET2_T3_PNSH_ISM_E10value_typeET4_T5_PSR_SS_PNS1_23onesweep_lookback_stateEbbT6_jjT7_P12ihipStream_tbENKUlT_T0_SG_SL_E_clISA_SA_SB_SB_EEDaSZ_S10_SG_SL_EUlSZ_E_NS1_11comp_targetILNS1_3genE5ELNS1_11target_archE942ELNS1_3gpuE9ELNS1_3repE0EEENS1_47radix_sort_onesweep_sort_config_static_selectorELNS0_4arch9wavefront6targetE0EEEvSG_.numbered_sgpr, 0
	.set _ZN7rocprim17ROCPRIM_400000_NS6detail17trampoline_kernelINS0_14default_configENS1_35radix_sort_onesweep_config_selectorIlNS0_10empty_typeEEEZZNS1_29radix_sort_onesweep_iterationIS3_Lb0EPKlPlPS5_SB_mNS0_19identity_decomposerENS1_16block_id_wrapperIjLb0EEEEE10hipError_tT1_PNSt15iterator_traitsISG_E10value_typeET2_T3_PNSH_ISM_E10value_typeET4_T5_PSR_SS_PNS1_23onesweep_lookback_stateEbbT6_jjT7_P12ihipStream_tbENKUlT_T0_SG_SL_E_clISA_SA_SB_SB_EEDaSZ_S10_SG_SL_EUlSZ_E_NS1_11comp_targetILNS1_3genE5ELNS1_11target_archE942ELNS1_3gpuE9ELNS1_3repE0EEENS1_47radix_sort_onesweep_sort_config_static_selectorELNS0_4arch9wavefront6targetE0EEEvSG_.num_named_barrier, 0
	.set _ZN7rocprim17ROCPRIM_400000_NS6detail17trampoline_kernelINS0_14default_configENS1_35radix_sort_onesweep_config_selectorIlNS0_10empty_typeEEEZZNS1_29radix_sort_onesweep_iterationIS3_Lb0EPKlPlPS5_SB_mNS0_19identity_decomposerENS1_16block_id_wrapperIjLb0EEEEE10hipError_tT1_PNSt15iterator_traitsISG_E10value_typeET2_T3_PNSH_ISM_E10value_typeET4_T5_PSR_SS_PNS1_23onesweep_lookback_stateEbbT6_jjT7_P12ihipStream_tbENKUlT_T0_SG_SL_E_clISA_SA_SB_SB_EEDaSZ_S10_SG_SL_EUlSZ_E_NS1_11comp_targetILNS1_3genE5ELNS1_11target_archE942ELNS1_3gpuE9ELNS1_3repE0EEENS1_47radix_sort_onesweep_sort_config_static_selectorELNS0_4arch9wavefront6targetE0EEEvSG_.private_seg_size, 0
	.set _ZN7rocprim17ROCPRIM_400000_NS6detail17trampoline_kernelINS0_14default_configENS1_35radix_sort_onesweep_config_selectorIlNS0_10empty_typeEEEZZNS1_29radix_sort_onesweep_iterationIS3_Lb0EPKlPlPS5_SB_mNS0_19identity_decomposerENS1_16block_id_wrapperIjLb0EEEEE10hipError_tT1_PNSt15iterator_traitsISG_E10value_typeET2_T3_PNSH_ISM_E10value_typeET4_T5_PSR_SS_PNS1_23onesweep_lookback_stateEbbT6_jjT7_P12ihipStream_tbENKUlT_T0_SG_SL_E_clISA_SA_SB_SB_EEDaSZ_S10_SG_SL_EUlSZ_E_NS1_11comp_targetILNS1_3genE5ELNS1_11target_archE942ELNS1_3gpuE9ELNS1_3repE0EEENS1_47radix_sort_onesweep_sort_config_static_selectorELNS0_4arch9wavefront6targetE0EEEvSG_.uses_vcc, 0
	.set _ZN7rocprim17ROCPRIM_400000_NS6detail17trampoline_kernelINS0_14default_configENS1_35radix_sort_onesweep_config_selectorIlNS0_10empty_typeEEEZZNS1_29radix_sort_onesweep_iterationIS3_Lb0EPKlPlPS5_SB_mNS0_19identity_decomposerENS1_16block_id_wrapperIjLb0EEEEE10hipError_tT1_PNSt15iterator_traitsISG_E10value_typeET2_T3_PNSH_ISM_E10value_typeET4_T5_PSR_SS_PNS1_23onesweep_lookback_stateEbbT6_jjT7_P12ihipStream_tbENKUlT_T0_SG_SL_E_clISA_SA_SB_SB_EEDaSZ_S10_SG_SL_EUlSZ_E_NS1_11comp_targetILNS1_3genE5ELNS1_11target_archE942ELNS1_3gpuE9ELNS1_3repE0EEENS1_47radix_sort_onesweep_sort_config_static_selectorELNS0_4arch9wavefront6targetE0EEEvSG_.uses_flat_scratch, 0
	.set _ZN7rocprim17ROCPRIM_400000_NS6detail17trampoline_kernelINS0_14default_configENS1_35radix_sort_onesweep_config_selectorIlNS0_10empty_typeEEEZZNS1_29radix_sort_onesweep_iterationIS3_Lb0EPKlPlPS5_SB_mNS0_19identity_decomposerENS1_16block_id_wrapperIjLb0EEEEE10hipError_tT1_PNSt15iterator_traitsISG_E10value_typeET2_T3_PNSH_ISM_E10value_typeET4_T5_PSR_SS_PNS1_23onesweep_lookback_stateEbbT6_jjT7_P12ihipStream_tbENKUlT_T0_SG_SL_E_clISA_SA_SB_SB_EEDaSZ_S10_SG_SL_EUlSZ_E_NS1_11comp_targetILNS1_3genE5ELNS1_11target_archE942ELNS1_3gpuE9ELNS1_3repE0EEENS1_47radix_sort_onesweep_sort_config_static_selectorELNS0_4arch9wavefront6targetE0EEEvSG_.has_dyn_sized_stack, 0
	.set _ZN7rocprim17ROCPRIM_400000_NS6detail17trampoline_kernelINS0_14default_configENS1_35radix_sort_onesweep_config_selectorIlNS0_10empty_typeEEEZZNS1_29radix_sort_onesweep_iterationIS3_Lb0EPKlPlPS5_SB_mNS0_19identity_decomposerENS1_16block_id_wrapperIjLb0EEEEE10hipError_tT1_PNSt15iterator_traitsISG_E10value_typeET2_T3_PNSH_ISM_E10value_typeET4_T5_PSR_SS_PNS1_23onesweep_lookback_stateEbbT6_jjT7_P12ihipStream_tbENKUlT_T0_SG_SL_E_clISA_SA_SB_SB_EEDaSZ_S10_SG_SL_EUlSZ_E_NS1_11comp_targetILNS1_3genE5ELNS1_11target_archE942ELNS1_3gpuE9ELNS1_3repE0EEENS1_47radix_sort_onesweep_sort_config_static_selectorELNS0_4arch9wavefront6targetE0EEEvSG_.has_recursion, 0
	.set _ZN7rocprim17ROCPRIM_400000_NS6detail17trampoline_kernelINS0_14default_configENS1_35radix_sort_onesweep_config_selectorIlNS0_10empty_typeEEEZZNS1_29radix_sort_onesweep_iterationIS3_Lb0EPKlPlPS5_SB_mNS0_19identity_decomposerENS1_16block_id_wrapperIjLb0EEEEE10hipError_tT1_PNSt15iterator_traitsISG_E10value_typeET2_T3_PNSH_ISM_E10value_typeET4_T5_PSR_SS_PNS1_23onesweep_lookback_stateEbbT6_jjT7_P12ihipStream_tbENKUlT_T0_SG_SL_E_clISA_SA_SB_SB_EEDaSZ_S10_SG_SL_EUlSZ_E_NS1_11comp_targetILNS1_3genE5ELNS1_11target_archE942ELNS1_3gpuE9ELNS1_3repE0EEENS1_47radix_sort_onesweep_sort_config_static_selectorELNS0_4arch9wavefront6targetE0EEEvSG_.has_indirect_call, 0
	.section	.AMDGPU.csdata,"",@progbits
; Kernel info:
; codeLenInByte = 0
; TotalNumSgprs: 0
; NumVgprs: 0
; ScratchSize: 0
; MemoryBound: 0
; FloatMode: 240
; IeeeMode: 1
; LDSByteSize: 0 bytes/workgroup (compile time only)
; SGPRBlocks: 0
; VGPRBlocks: 0
; NumSGPRsForWavesPerEU: 1
; NumVGPRsForWavesPerEU: 1
; NamedBarCnt: 0
; Occupancy: 16
; WaveLimiterHint : 0
; COMPUTE_PGM_RSRC2:SCRATCH_EN: 0
; COMPUTE_PGM_RSRC2:USER_SGPR: 2
; COMPUTE_PGM_RSRC2:TRAP_HANDLER: 0
; COMPUTE_PGM_RSRC2:TGID_X_EN: 1
; COMPUTE_PGM_RSRC2:TGID_Y_EN: 0
; COMPUTE_PGM_RSRC2:TGID_Z_EN: 0
; COMPUTE_PGM_RSRC2:TIDIG_COMP_CNT: 0
	.section	.text._ZN7rocprim17ROCPRIM_400000_NS6detail17trampoline_kernelINS0_14default_configENS1_35radix_sort_onesweep_config_selectorIlNS0_10empty_typeEEEZZNS1_29radix_sort_onesweep_iterationIS3_Lb0EPKlPlPS5_SB_mNS0_19identity_decomposerENS1_16block_id_wrapperIjLb0EEEEE10hipError_tT1_PNSt15iterator_traitsISG_E10value_typeET2_T3_PNSH_ISM_E10value_typeET4_T5_PSR_SS_PNS1_23onesweep_lookback_stateEbbT6_jjT7_P12ihipStream_tbENKUlT_T0_SG_SL_E_clISA_SA_SB_SB_EEDaSZ_S10_SG_SL_EUlSZ_E_NS1_11comp_targetILNS1_3genE2ELNS1_11target_archE906ELNS1_3gpuE6ELNS1_3repE0EEENS1_47radix_sort_onesweep_sort_config_static_selectorELNS0_4arch9wavefront6targetE0EEEvSG_,"axG",@progbits,_ZN7rocprim17ROCPRIM_400000_NS6detail17trampoline_kernelINS0_14default_configENS1_35radix_sort_onesweep_config_selectorIlNS0_10empty_typeEEEZZNS1_29radix_sort_onesweep_iterationIS3_Lb0EPKlPlPS5_SB_mNS0_19identity_decomposerENS1_16block_id_wrapperIjLb0EEEEE10hipError_tT1_PNSt15iterator_traitsISG_E10value_typeET2_T3_PNSH_ISM_E10value_typeET4_T5_PSR_SS_PNS1_23onesweep_lookback_stateEbbT6_jjT7_P12ihipStream_tbENKUlT_T0_SG_SL_E_clISA_SA_SB_SB_EEDaSZ_S10_SG_SL_EUlSZ_E_NS1_11comp_targetILNS1_3genE2ELNS1_11target_archE906ELNS1_3gpuE6ELNS1_3repE0EEENS1_47radix_sort_onesweep_sort_config_static_selectorELNS0_4arch9wavefront6targetE0EEEvSG_,comdat
	.protected	_ZN7rocprim17ROCPRIM_400000_NS6detail17trampoline_kernelINS0_14default_configENS1_35radix_sort_onesweep_config_selectorIlNS0_10empty_typeEEEZZNS1_29radix_sort_onesweep_iterationIS3_Lb0EPKlPlPS5_SB_mNS0_19identity_decomposerENS1_16block_id_wrapperIjLb0EEEEE10hipError_tT1_PNSt15iterator_traitsISG_E10value_typeET2_T3_PNSH_ISM_E10value_typeET4_T5_PSR_SS_PNS1_23onesweep_lookback_stateEbbT6_jjT7_P12ihipStream_tbENKUlT_T0_SG_SL_E_clISA_SA_SB_SB_EEDaSZ_S10_SG_SL_EUlSZ_E_NS1_11comp_targetILNS1_3genE2ELNS1_11target_archE906ELNS1_3gpuE6ELNS1_3repE0EEENS1_47radix_sort_onesweep_sort_config_static_selectorELNS0_4arch9wavefront6targetE0EEEvSG_ ; -- Begin function _ZN7rocprim17ROCPRIM_400000_NS6detail17trampoline_kernelINS0_14default_configENS1_35radix_sort_onesweep_config_selectorIlNS0_10empty_typeEEEZZNS1_29radix_sort_onesweep_iterationIS3_Lb0EPKlPlPS5_SB_mNS0_19identity_decomposerENS1_16block_id_wrapperIjLb0EEEEE10hipError_tT1_PNSt15iterator_traitsISG_E10value_typeET2_T3_PNSH_ISM_E10value_typeET4_T5_PSR_SS_PNS1_23onesweep_lookback_stateEbbT6_jjT7_P12ihipStream_tbENKUlT_T0_SG_SL_E_clISA_SA_SB_SB_EEDaSZ_S10_SG_SL_EUlSZ_E_NS1_11comp_targetILNS1_3genE2ELNS1_11target_archE906ELNS1_3gpuE6ELNS1_3repE0EEENS1_47radix_sort_onesweep_sort_config_static_selectorELNS0_4arch9wavefront6targetE0EEEvSG_
	.globl	_ZN7rocprim17ROCPRIM_400000_NS6detail17trampoline_kernelINS0_14default_configENS1_35radix_sort_onesweep_config_selectorIlNS0_10empty_typeEEEZZNS1_29radix_sort_onesweep_iterationIS3_Lb0EPKlPlPS5_SB_mNS0_19identity_decomposerENS1_16block_id_wrapperIjLb0EEEEE10hipError_tT1_PNSt15iterator_traitsISG_E10value_typeET2_T3_PNSH_ISM_E10value_typeET4_T5_PSR_SS_PNS1_23onesweep_lookback_stateEbbT6_jjT7_P12ihipStream_tbENKUlT_T0_SG_SL_E_clISA_SA_SB_SB_EEDaSZ_S10_SG_SL_EUlSZ_E_NS1_11comp_targetILNS1_3genE2ELNS1_11target_archE906ELNS1_3gpuE6ELNS1_3repE0EEENS1_47radix_sort_onesweep_sort_config_static_selectorELNS0_4arch9wavefront6targetE0EEEvSG_
	.p2align	8
	.type	_ZN7rocprim17ROCPRIM_400000_NS6detail17trampoline_kernelINS0_14default_configENS1_35radix_sort_onesweep_config_selectorIlNS0_10empty_typeEEEZZNS1_29radix_sort_onesweep_iterationIS3_Lb0EPKlPlPS5_SB_mNS0_19identity_decomposerENS1_16block_id_wrapperIjLb0EEEEE10hipError_tT1_PNSt15iterator_traitsISG_E10value_typeET2_T3_PNSH_ISM_E10value_typeET4_T5_PSR_SS_PNS1_23onesweep_lookback_stateEbbT6_jjT7_P12ihipStream_tbENKUlT_T0_SG_SL_E_clISA_SA_SB_SB_EEDaSZ_S10_SG_SL_EUlSZ_E_NS1_11comp_targetILNS1_3genE2ELNS1_11target_archE906ELNS1_3gpuE6ELNS1_3repE0EEENS1_47radix_sort_onesweep_sort_config_static_selectorELNS0_4arch9wavefront6targetE0EEEvSG_,@function
_ZN7rocprim17ROCPRIM_400000_NS6detail17trampoline_kernelINS0_14default_configENS1_35radix_sort_onesweep_config_selectorIlNS0_10empty_typeEEEZZNS1_29radix_sort_onesweep_iterationIS3_Lb0EPKlPlPS5_SB_mNS0_19identity_decomposerENS1_16block_id_wrapperIjLb0EEEEE10hipError_tT1_PNSt15iterator_traitsISG_E10value_typeET2_T3_PNSH_ISM_E10value_typeET4_T5_PSR_SS_PNS1_23onesweep_lookback_stateEbbT6_jjT7_P12ihipStream_tbENKUlT_T0_SG_SL_E_clISA_SA_SB_SB_EEDaSZ_S10_SG_SL_EUlSZ_E_NS1_11comp_targetILNS1_3genE2ELNS1_11target_archE906ELNS1_3gpuE6ELNS1_3repE0EEENS1_47radix_sort_onesweep_sort_config_static_selectorELNS0_4arch9wavefront6targetE0EEEvSG_: ; @_ZN7rocprim17ROCPRIM_400000_NS6detail17trampoline_kernelINS0_14default_configENS1_35radix_sort_onesweep_config_selectorIlNS0_10empty_typeEEEZZNS1_29radix_sort_onesweep_iterationIS3_Lb0EPKlPlPS5_SB_mNS0_19identity_decomposerENS1_16block_id_wrapperIjLb0EEEEE10hipError_tT1_PNSt15iterator_traitsISG_E10value_typeET2_T3_PNSH_ISM_E10value_typeET4_T5_PSR_SS_PNS1_23onesweep_lookback_stateEbbT6_jjT7_P12ihipStream_tbENKUlT_T0_SG_SL_E_clISA_SA_SB_SB_EEDaSZ_S10_SG_SL_EUlSZ_E_NS1_11comp_targetILNS1_3genE2ELNS1_11target_archE906ELNS1_3gpuE6ELNS1_3repE0EEENS1_47radix_sort_onesweep_sort_config_static_selectorELNS0_4arch9wavefront6targetE0EEEvSG_
; %bb.0:
	.section	.rodata,"a",@progbits
	.p2align	6, 0x0
	.amdhsa_kernel _ZN7rocprim17ROCPRIM_400000_NS6detail17trampoline_kernelINS0_14default_configENS1_35radix_sort_onesweep_config_selectorIlNS0_10empty_typeEEEZZNS1_29radix_sort_onesweep_iterationIS3_Lb0EPKlPlPS5_SB_mNS0_19identity_decomposerENS1_16block_id_wrapperIjLb0EEEEE10hipError_tT1_PNSt15iterator_traitsISG_E10value_typeET2_T3_PNSH_ISM_E10value_typeET4_T5_PSR_SS_PNS1_23onesweep_lookback_stateEbbT6_jjT7_P12ihipStream_tbENKUlT_T0_SG_SL_E_clISA_SA_SB_SB_EEDaSZ_S10_SG_SL_EUlSZ_E_NS1_11comp_targetILNS1_3genE2ELNS1_11target_archE906ELNS1_3gpuE6ELNS1_3repE0EEENS1_47radix_sort_onesweep_sort_config_static_selectorELNS0_4arch9wavefront6targetE0EEEvSG_
		.amdhsa_group_segment_fixed_size 0
		.amdhsa_private_segment_fixed_size 0
		.amdhsa_kernarg_size 88
		.amdhsa_user_sgpr_count 2
		.amdhsa_user_sgpr_dispatch_ptr 0
		.amdhsa_user_sgpr_queue_ptr 0
		.amdhsa_user_sgpr_kernarg_segment_ptr 1
		.amdhsa_user_sgpr_dispatch_id 0
		.amdhsa_user_sgpr_kernarg_preload_length 0
		.amdhsa_user_sgpr_kernarg_preload_offset 0
		.amdhsa_user_sgpr_private_segment_size 0
		.amdhsa_wavefront_size32 1
		.amdhsa_uses_dynamic_stack 0
		.amdhsa_enable_private_segment 0
		.amdhsa_system_sgpr_workgroup_id_x 1
		.amdhsa_system_sgpr_workgroup_id_y 0
		.amdhsa_system_sgpr_workgroup_id_z 0
		.amdhsa_system_sgpr_workgroup_info 0
		.amdhsa_system_vgpr_workitem_id 0
		.amdhsa_next_free_vgpr 1
		.amdhsa_next_free_sgpr 1
		.amdhsa_named_barrier_count 0
		.amdhsa_reserve_vcc 0
		.amdhsa_float_round_mode_32 0
		.amdhsa_float_round_mode_16_64 0
		.amdhsa_float_denorm_mode_32 3
		.amdhsa_float_denorm_mode_16_64 3
		.amdhsa_fp16_overflow 0
		.amdhsa_memory_ordered 1
		.amdhsa_forward_progress 1
		.amdhsa_inst_pref_size 0
		.amdhsa_round_robin_scheduling 0
		.amdhsa_exception_fp_ieee_invalid_op 0
		.amdhsa_exception_fp_denorm_src 0
		.amdhsa_exception_fp_ieee_div_zero 0
		.amdhsa_exception_fp_ieee_overflow 0
		.amdhsa_exception_fp_ieee_underflow 0
		.amdhsa_exception_fp_ieee_inexact 0
		.amdhsa_exception_int_div_zero 0
	.end_amdhsa_kernel
	.section	.text._ZN7rocprim17ROCPRIM_400000_NS6detail17trampoline_kernelINS0_14default_configENS1_35radix_sort_onesweep_config_selectorIlNS0_10empty_typeEEEZZNS1_29radix_sort_onesweep_iterationIS3_Lb0EPKlPlPS5_SB_mNS0_19identity_decomposerENS1_16block_id_wrapperIjLb0EEEEE10hipError_tT1_PNSt15iterator_traitsISG_E10value_typeET2_T3_PNSH_ISM_E10value_typeET4_T5_PSR_SS_PNS1_23onesweep_lookback_stateEbbT6_jjT7_P12ihipStream_tbENKUlT_T0_SG_SL_E_clISA_SA_SB_SB_EEDaSZ_S10_SG_SL_EUlSZ_E_NS1_11comp_targetILNS1_3genE2ELNS1_11target_archE906ELNS1_3gpuE6ELNS1_3repE0EEENS1_47radix_sort_onesweep_sort_config_static_selectorELNS0_4arch9wavefront6targetE0EEEvSG_,"axG",@progbits,_ZN7rocprim17ROCPRIM_400000_NS6detail17trampoline_kernelINS0_14default_configENS1_35radix_sort_onesweep_config_selectorIlNS0_10empty_typeEEEZZNS1_29radix_sort_onesweep_iterationIS3_Lb0EPKlPlPS5_SB_mNS0_19identity_decomposerENS1_16block_id_wrapperIjLb0EEEEE10hipError_tT1_PNSt15iterator_traitsISG_E10value_typeET2_T3_PNSH_ISM_E10value_typeET4_T5_PSR_SS_PNS1_23onesweep_lookback_stateEbbT6_jjT7_P12ihipStream_tbENKUlT_T0_SG_SL_E_clISA_SA_SB_SB_EEDaSZ_S10_SG_SL_EUlSZ_E_NS1_11comp_targetILNS1_3genE2ELNS1_11target_archE906ELNS1_3gpuE6ELNS1_3repE0EEENS1_47radix_sort_onesweep_sort_config_static_selectorELNS0_4arch9wavefront6targetE0EEEvSG_,comdat
.Lfunc_end1237:
	.size	_ZN7rocprim17ROCPRIM_400000_NS6detail17trampoline_kernelINS0_14default_configENS1_35radix_sort_onesweep_config_selectorIlNS0_10empty_typeEEEZZNS1_29radix_sort_onesweep_iterationIS3_Lb0EPKlPlPS5_SB_mNS0_19identity_decomposerENS1_16block_id_wrapperIjLb0EEEEE10hipError_tT1_PNSt15iterator_traitsISG_E10value_typeET2_T3_PNSH_ISM_E10value_typeET4_T5_PSR_SS_PNS1_23onesweep_lookback_stateEbbT6_jjT7_P12ihipStream_tbENKUlT_T0_SG_SL_E_clISA_SA_SB_SB_EEDaSZ_S10_SG_SL_EUlSZ_E_NS1_11comp_targetILNS1_3genE2ELNS1_11target_archE906ELNS1_3gpuE6ELNS1_3repE0EEENS1_47radix_sort_onesweep_sort_config_static_selectorELNS0_4arch9wavefront6targetE0EEEvSG_, .Lfunc_end1237-_ZN7rocprim17ROCPRIM_400000_NS6detail17trampoline_kernelINS0_14default_configENS1_35radix_sort_onesweep_config_selectorIlNS0_10empty_typeEEEZZNS1_29radix_sort_onesweep_iterationIS3_Lb0EPKlPlPS5_SB_mNS0_19identity_decomposerENS1_16block_id_wrapperIjLb0EEEEE10hipError_tT1_PNSt15iterator_traitsISG_E10value_typeET2_T3_PNSH_ISM_E10value_typeET4_T5_PSR_SS_PNS1_23onesweep_lookback_stateEbbT6_jjT7_P12ihipStream_tbENKUlT_T0_SG_SL_E_clISA_SA_SB_SB_EEDaSZ_S10_SG_SL_EUlSZ_E_NS1_11comp_targetILNS1_3genE2ELNS1_11target_archE906ELNS1_3gpuE6ELNS1_3repE0EEENS1_47radix_sort_onesweep_sort_config_static_selectorELNS0_4arch9wavefront6targetE0EEEvSG_
                                        ; -- End function
	.set _ZN7rocprim17ROCPRIM_400000_NS6detail17trampoline_kernelINS0_14default_configENS1_35radix_sort_onesweep_config_selectorIlNS0_10empty_typeEEEZZNS1_29radix_sort_onesweep_iterationIS3_Lb0EPKlPlPS5_SB_mNS0_19identity_decomposerENS1_16block_id_wrapperIjLb0EEEEE10hipError_tT1_PNSt15iterator_traitsISG_E10value_typeET2_T3_PNSH_ISM_E10value_typeET4_T5_PSR_SS_PNS1_23onesweep_lookback_stateEbbT6_jjT7_P12ihipStream_tbENKUlT_T0_SG_SL_E_clISA_SA_SB_SB_EEDaSZ_S10_SG_SL_EUlSZ_E_NS1_11comp_targetILNS1_3genE2ELNS1_11target_archE906ELNS1_3gpuE6ELNS1_3repE0EEENS1_47radix_sort_onesweep_sort_config_static_selectorELNS0_4arch9wavefront6targetE0EEEvSG_.num_vgpr, 0
	.set _ZN7rocprim17ROCPRIM_400000_NS6detail17trampoline_kernelINS0_14default_configENS1_35radix_sort_onesweep_config_selectorIlNS0_10empty_typeEEEZZNS1_29radix_sort_onesweep_iterationIS3_Lb0EPKlPlPS5_SB_mNS0_19identity_decomposerENS1_16block_id_wrapperIjLb0EEEEE10hipError_tT1_PNSt15iterator_traitsISG_E10value_typeET2_T3_PNSH_ISM_E10value_typeET4_T5_PSR_SS_PNS1_23onesweep_lookback_stateEbbT6_jjT7_P12ihipStream_tbENKUlT_T0_SG_SL_E_clISA_SA_SB_SB_EEDaSZ_S10_SG_SL_EUlSZ_E_NS1_11comp_targetILNS1_3genE2ELNS1_11target_archE906ELNS1_3gpuE6ELNS1_3repE0EEENS1_47radix_sort_onesweep_sort_config_static_selectorELNS0_4arch9wavefront6targetE0EEEvSG_.num_agpr, 0
	.set _ZN7rocprim17ROCPRIM_400000_NS6detail17trampoline_kernelINS0_14default_configENS1_35radix_sort_onesweep_config_selectorIlNS0_10empty_typeEEEZZNS1_29radix_sort_onesweep_iterationIS3_Lb0EPKlPlPS5_SB_mNS0_19identity_decomposerENS1_16block_id_wrapperIjLb0EEEEE10hipError_tT1_PNSt15iterator_traitsISG_E10value_typeET2_T3_PNSH_ISM_E10value_typeET4_T5_PSR_SS_PNS1_23onesweep_lookback_stateEbbT6_jjT7_P12ihipStream_tbENKUlT_T0_SG_SL_E_clISA_SA_SB_SB_EEDaSZ_S10_SG_SL_EUlSZ_E_NS1_11comp_targetILNS1_3genE2ELNS1_11target_archE906ELNS1_3gpuE6ELNS1_3repE0EEENS1_47radix_sort_onesweep_sort_config_static_selectorELNS0_4arch9wavefront6targetE0EEEvSG_.numbered_sgpr, 0
	.set _ZN7rocprim17ROCPRIM_400000_NS6detail17trampoline_kernelINS0_14default_configENS1_35radix_sort_onesweep_config_selectorIlNS0_10empty_typeEEEZZNS1_29radix_sort_onesweep_iterationIS3_Lb0EPKlPlPS5_SB_mNS0_19identity_decomposerENS1_16block_id_wrapperIjLb0EEEEE10hipError_tT1_PNSt15iterator_traitsISG_E10value_typeET2_T3_PNSH_ISM_E10value_typeET4_T5_PSR_SS_PNS1_23onesweep_lookback_stateEbbT6_jjT7_P12ihipStream_tbENKUlT_T0_SG_SL_E_clISA_SA_SB_SB_EEDaSZ_S10_SG_SL_EUlSZ_E_NS1_11comp_targetILNS1_3genE2ELNS1_11target_archE906ELNS1_3gpuE6ELNS1_3repE0EEENS1_47radix_sort_onesweep_sort_config_static_selectorELNS0_4arch9wavefront6targetE0EEEvSG_.num_named_barrier, 0
	.set _ZN7rocprim17ROCPRIM_400000_NS6detail17trampoline_kernelINS0_14default_configENS1_35radix_sort_onesweep_config_selectorIlNS0_10empty_typeEEEZZNS1_29radix_sort_onesweep_iterationIS3_Lb0EPKlPlPS5_SB_mNS0_19identity_decomposerENS1_16block_id_wrapperIjLb0EEEEE10hipError_tT1_PNSt15iterator_traitsISG_E10value_typeET2_T3_PNSH_ISM_E10value_typeET4_T5_PSR_SS_PNS1_23onesweep_lookback_stateEbbT6_jjT7_P12ihipStream_tbENKUlT_T0_SG_SL_E_clISA_SA_SB_SB_EEDaSZ_S10_SG_SL_EUlSZ_E_NS1_11comp_targetILNS1_3genE2ELNS1_11target_archE906ELNS1_3gpuE6ELNS1_3repE0EEENS1_47radix_sort_onesweep_sort_config_static_selectorELNS0_4arch9wavefront6targetE0EEEvSG_.private_seg_size, 0
	.set _ZN7rocprim17ROCPRIM_400000_NS6detail17trampoline_kernelINS0_14default_configENS1_35radix_sort_onesweep_config_selectorIlNS0_10empty_typeEEEZZNS1_29radix_sort_onesweep_iterationIS3_Lb0EPKlPlPS5_SB_mNS0_19identity_decomposerENS1_16block_id_wrapperIjLb0EEEEE10hipError_tT1_PNSt15iterator_traitsISG_E10value_typeET2_T3_PNSH_ISM_E10value_typeET4_T5_PSR_SS_PNS1_23onesweep_lookback_stateEbbT6_jjT7_P12ihipStream_tbENKUlT_T0_SG_SL_E_clISA_SA_SB_SB_EEDaSZ_S10_SG_SL_EUlSZ_E_NS1_11comp_targetILNS1_3genE2ELNS1_11target_archE906ELNS1_3gpuE6ELNS1_3repE0EEENS1_47radix_sort_onesweep_sort_config_static_selectorELNS0_4arch9wavefront6targetE0EEEvSG_.uses_vcc, 0
	.set _ZN7rocprim17ROCPRIM_400000_NS6detail17trampoline_kernelINS0_14default_configENS1_35radix_sort_onesweep_config_selectorIlNS0_10empty_typeEEEZZNS1_29radix_sort_onesweep_iterationIS3_Lb0EPKlPlPS5_SB_mNS0_19identity_decomposerENS1_16block_id_wrapperIjLb0EEEEE10hipError_tT1_PNSt15iterator_traitsISG_E10value_typeET2_T3_PNSH_ISM_E10value_typeET4_T5_PSR_SS_PNS1_23onesweep_lookback_stateEbbT6_jjT7_P12ihipStream_tbENKUlT_T0_SG_SL_E_clISA_SA_SB_SB_EEDaSZ_S10_SG_SL_EUlSZ_E_NS1_11comp_targetILNS1_3genE2ELNS1_11target_archE906ELNS1_3gpuE6ELNS1_3repE0EEENS1_47radix_sort_onesweep_sort_config_static_selectorELNS0_4arch9wavefront6targetE0EEEvSG_.uses_flat_scratch, 0
	.set _ZN7rocprim17ROCPRIM_400000_NS6detail17trampoline_kernelINS0_14default_configENS1_35radix_sort_onesweep_config_selectorIlNS0_10empty_typeEEEZZNS1_29radix_sort_onesweep_iterationIS3_Lb0EPKlPlPS5_SB_mNS0_19identity_decomposerENS1_16block_id_wrapperIjLb0EEEEE10hipError_tT1_PNSt15iterator_traitsISG_E10value_typeET2_T3_PNSH_ISM_E10value_typeET4_T5_PSR_SS_PNS1_23onesweep_lookback_stateEbbT6_jjT7_P12ihipStream_tbENKUlT_T0_SG_SL_E_clISA_SA_SB_SB_EEDaSZ_S10_SG_SL_EUlSZ_E_NS1_11comp_targetILNS1_3genE2ELNS1_11target_archE906ELNS1_3gpuE6ELNS1_3repE0EEENS1_47radix_sort_onesweep_sort_config_static_selectorELNS0_4arch9wavefront6targetE0EEEvSG_.has_dyn_sized_stack, 0
	.set _ZN7rocprim17ROCPRIM_400000_NS6detail17trampoline_kernelINS0_14default_configENS1_35radix_sort_onesweep_config_selectorIlNS0_10empty_typeEEEZZNS1_29radix_sort_onesweep_iterationIS3_Lb0EPKlPlPS5_SB_mNS0_19identity_decomposerENS1_16block_id_wrapperIjLb0EEEEE10hipError_tT1_PNSt15iterator_traitsISG_E10value_typeET2_T3_PNSH_ISM_E10value_typeET4_T5_PSR_SS_PNS1_23onesweep_lookback_stateEbbT6_jjT7_P12ihipStream_tbENKUlT_T0_SG_SL_E_clISA_SA_SB_SB_EEDaSZ_S10_SG_SL_EUlSZ_E_NS1_11comp_targetILNS1_3genE2ELNS1_11target_archE906ELNS1_3gpuE6ELNS1_3repE0EEENS1_47radix_sort_onesweep_sort_config_static_selectorELNS0_4arch9wavefront6targetE0EEEvSG_.has_recursion, 0
	.set _ZN7rocprim17ROCPRIM_400000_NS6detail17trampoline_kernelINS0_14default_configENS1_35radix_sort_onesweep_config_selectorIlNS0_10empty_typeEEEZZNS1_29radix_sort_onesweep_iterationIS3_Lb0EPKlPlPS5_SB_mNS0_19identity_decomposerENS1_16block_id_wrapperIjLb0EEEEE10hipError_tT1_PNSt15iterator_traitsISG_E10value_typeET2_T3_PNSH_ISM_E10value_typeET4_T5_PSR_SS_PNS1_23onesweep_lookback_stateEbbT6_jjT7_P12ihipStream_tbENKUlT_T0_SG_SL_E_clISA_SA_SB_SB_EEDaSZ_S10_SG_SL_EUlSZ_E_NS1_11comp_targetILNS1_3genE2ELNS1_11target_archE906ELNS1_3gpuE6ELNS1_3repE0EEENS1_47radix_sort_onesweep_sort_config_static_selectorELNS0_4arch9wavefront6targetE0EEEvSG_.has_indirect_call, 0
	.section	.AMDGPU.csdata,"",@progbits
; Kernel info:
; codeLenInByte = 0
; TotalNumSgprs: 0
; NumVgprs: 0
; ScratchSize: 0
; MemoryBound: 0
; FloatMode: 240
; IeeeMode: 1
; LDSByteSize: 0 bytes/workgroup (compile time only)
; SGPRBlocks: 0
; VGPRBlocks: 0
; NumSGPRsForWavesPerEU: 1
; NumVGPRsForWavesPerEU: 1
; NamedBarCnt: 0
; Occupancy: 16
; WaveLimiterHint : 0
; COMPUTE_PGM_RSRC2:SCRATCH_EN: 0
; COMPUTE_PGM_RSRC2:USER_SGPR: 2
; COMPUTE_PGM_RSRC2:TRAP_HANDLER: 0
; COMPUTE_PGM_RSRC2:TGID_X_EN: 1
; COMPUTE_PGM_RSRC2:TGID_Y_EN: 0
; COMPUTE_PGM_RSRC2:TGID_Z_EN: 0
; COMPUTE_PGM_RSRC2:TIDIG_COMP_CNT: 0
	.section	.text._ZN7rocprim17ROCPRIM_400000_NS6detail17trampoline_kernelINS0_14default_configENS1_35radix_sort_onesweep_config_selectorIlNS0_10empty_typeEEEZZNS1_29radix_sort_onesweep_iterationIS3_Lb0EPKlPlPS5_SB_mNS0_19identity_decomposerENS1_16block_id_wrapperIjLb0EEEEE10hipError_tT1_PNSt15iterator_traitsISG_E10value_typeET2_T3_PNSH_ISM_E10value_typeET4_T5_PSR_SS_PNS1_23onesweep_lookback_stateEbbT6_jjT7_P12ihipStream_tbENKUlT_T0_SG_SL_E_clISA_SA_SB_SB_EEDaSZ_S10_SG_SL_EUlSZ_E_NS1_11comp_targetILNS1_3genE4ELNS1_11target_archE910ELNS1_3gpuE8ELNS1_3repE0EEENS1_47radix_sort_onesweep_sort_config_static_selectorELNS0_4arch9wavefront6targetE0EEEvSG_,"axG",@progbits,_ZN7rocprim17ROCPRIM_400000_NS6detail17trampoline_kernelINS0_14default_configENS1_35radix_sort_onesweep_config_selectorIlNS0_10empty_typeEEEZZNS1_29radix_sort_onesweep_iterationIS3_Lb0EPKlPlPS5_SB_mNS0_19identity_decomposerENS1_16block_id_wrapperIjLb0EEEEE10hipError_tT1_PNSt15iterator_traitsISG_E10value_typeET2_T3_PNSH_ISM_E10value_typeET4_T5_PSR_SS_PNS1_23onesweep_lookback_stateEbbT6_jjT7_P12ihipStream_tbENKUlT_T0_SG_SL_E_clISA_SA_SB_SB_EEDaSZ_S10_SG_SL_EUlSZ_E_NS1_11comp_targetILNS1_3genE4ELNS1_11target_archE910ELNS1_3gpuE8ELNS1_3repE0EEENS1_47radix_sort_onesweep_sort_config_static_selectorELNS0_4arch9wavefront6targetE0EEEvSG_,comdat
	.protected	_ZN7rocprim17ROCPRIM_400000_NS6detail17trampoline_kernelINS0_14default_configENS1_35radix_sort_onesweep_config_selectorIlNS0_10empty_typeEEEZZNS1_29radix_sort_onesweep_iterationIS3_Lb0EPKlPlPS5_SB_mNS0_19identity_decomposerENS1_16block_id_wrapperIjLb0EEEEE10hipError_tT1_PNSt15iterator_traitsISG_E10value_typeET2_T3_PNSH_ISM_E10value_typeET4_T5_PSR_SS_PNS1_23onesweep_lookback_stateEbbT6_jjT7_P12ihipStream_tbENKUlT_T0_SG_SL_E_clISA_SA_SB_SB_EEDaSZ_S10_SG_SL_EUlSZ_E_NS1_11comp_targetILNS1_3genE4ELNS1_11target_archE910ELNS1_3gpuE8ELNS1_3repE0EEENS1_47radix_sort_onesweep_sort_config_static_selectorELNS0_4arch9wavefront6targetE0EEEvSG_ ; -- Begin function _ZN7rocprim17ROCPRIM_400000_NS6detail17trampoline_kernelINS0_14default_configENS1_35radix_sort_onesweep_config_selectorIlNS0_10empty_typeEEEZZNS1_29radix_sort_onesweep_iterationIS3_Lb0EPKlPlPS5_SB_mNS0_19identity_decomposerENS1_16block_id_wrapperIjLb0EEEEE10hipError_tT1_PNSt15iterator_traitsISG_E10value_typeET2_T3_PNSH_ISM_E10value_typeET4_T5_PSR_SS_PNS1_23onesweep_lookback_stateEbbT6_jjT7_P12ihipStream_tbENKUlT_T0_SG_SL_E_clISA_SA_SB_SB_EEDaSZ_S10_SG_SL_EUlSZ_E_NS1_11comp_targetILNS1_3genE4ELNS1_11target_archE910ELNS1_3gpuE8ELNS1_3repE0EEENS1_47radix_sort_onesweep_sort_config_static_selectorELNS0_4arch9wavefront6targetE0EEEvSG_
	.globl	_ZN7rocprim17ROCPRIM_400000_NS6detail17trampoline_kernelINS0_14default_configENS1_35radix_sort_onesweep_config_selectorIlNS0_10empty_typeEEEZZNS1_29radix_sort_onesweep_iterationIS3_Lb0EPKlPlPS5_SB_mNS0_19identity_decomposerENS1_16block_id_wrapperIjLb0EEEEE10hipError_tT1_PNSt15iterator_traitsISG_E10value_typeET2_T3_PNSH_ISM_E10value_typeET4_T5_PSR_SS_PNS1_23onesweep_lookback_stateEbbT6_jjT7_P12ihipStream_tbENKUlT_T0_SG_SL_E_clISA_SA_SB_SB_EEDaSZ_S10_SG_SL_EUlSZ_E_NS1_11comp_targetILNS1_3genE4ELNS1_11target_archE910ELNS1_3gpuE8ELNS1_3repE0EEENS1_47radix_sort_onesweep_sort_config_static_selectorELNS0_4arch9wavefront6targetE0EEEvSG_
	.p2align	8
	.type	_ZN7rocprim17ROCPRIM_400000_NS6detail17trampoline_kernelINS0_14default_configENS1_35radix_sort_onesweep_config_selectorIlNS0_10empty_typeEEEZZNS1_29radix_sort_onesweep_iterationIS3_Lb0EPKlPlPS5_SB_mNS0_19identity_decomposerENS1_16block_id_wrapperIjLb0EEEEE10hipError_tT1_PNSt15iterator_traitsISG_E10value_typeET2_T3_PNSH_ISM_E10value_typeET4_T5_PSR_SS_PNS1_23onesweep_lookback_stateEbbT6_jjT7_P12ihipStream_tbENKUlT_T0_SG_SL_E_clISA_SA_SB_SB_EEDaSZ_S10_SG_SL_EUlSZ_E_NS1_11comp_targetILNS1_3genE4ELNS1_11target_archE910ELNS1_3gpuE8ELNS1_3repE0EEENS1_47radix_sort_onesweep_sort_config_static_selectorELNS0_4arch9wavefront6targetE0EEEvSG_,@function
_ZN7rocprim17ROCPRIM_400000_NS6detail17trampoline_kernelINS0_14default_configENS1_35radix_sort_onesweep_config_selectorIlNS0_10empty_typeEEEZZNS1_29radix_sort_onesweep_iterationIS3_Lb0EPKlPlPS5_SB_mNS0_19identity_decomposerENS1_16block_id_wrapperIjLb0EEEEE10hipError_tT1_PNSt15iterator_traitsISG_E10value_typeET2_T3_PNSH_ISM_E10value_typeET4_T5_PSR_SS_PNS1_23onesweep_lookback_stateEbbT6_jjT7_P12ihipStream_tbENKUlT_T0_SG_SL_E_clISA_SA_SB_SB_EEDaSZ_S10_SG_SL_EUlSZ_E_NS1_11comp_targetILNS1_3genE4ELNS1_11target_archE910ELNS1_3gpuE8ELNS1_3repE0EEENS1_47radix_sort_onesweep_sort_config_static_selectorELNS0_4arch9wavefront6targetE0EEEvSG_: ; @_ZN7rocprim17ROCPRIM_400000_NS6detail17trampoline_kernelINS0_14default_configENS1_35radix_sort_onesweep_config_selectorIlNS0_10empty_typeEEEZZNS1_29radix_sort_onesweep_iterationIS3_Lb0EPKlPlPS5_SB_mNS0_19identity_decomposerENS1_16block_id_wrapperIjLb0EEEEE10hipError_tT1_PNSt15iterator_traitsISG_E10value_typeET2_T3_PNSH_ISM_E10value_typeET4_T5_PSR_SS_PNS1_23onesweep_lookback_stateEbbT6_jjT7_P12ihipStream_tbENKUlT_T0_SG_SL_E_clISA_SA_SB_SB_EEDaSZ_S10_SG_SL_EUlSZ_E_NS1_11comp_targetILNS1_3genE4ELNS1_11target_archE910ELNS1_3gpuE8ELNS1_3repE0EEENS1_47radix_sort_onesweep_sort_config_static_selectorELNS0_4arch9wavefront6targetE0EEEvSG_
; %bb.0:
	.section	.rodata,"a",@progbits
	.p2align	6, 0x0
	.amdhsa_kernel _ZN7rocprim17ROCPRIM_400000_NS6detail17trampoline_kernelINS0_14default_configENS1_35radix_sort_onesweep_config_selectorIlNS0_10empty_typeEEEZZNS1_29radix_sort_onesweep_iterationIS3_Lb0EPKlPlPS5_SB_mNS0_19identity_decomposerENS1_16block_id_wrapperIjLb0EEEEE10hipError_tT1_PNSt15iterator_traitsISG_E10value_typeET2_T3_PNSH_ISM_E10value_typeET4_T5_PSR_SS_PNS1_23onesweep_lookback_stateEbbT6_jjT7_P12ihipStream_tbENKUlT_T0_SG_SL_E_clISA_SA_SB_SB_EEDaSZ_S10_SG_SL_EUlSZ_E_NS1_11comp_targetILNS1_3genE4ELNS1_11target_archE910ELNS1_3gpuE8ELNS1_3repE0EEENS1_47radix_sort_onesweep_sort_config_static_selectorELNS0_4arch9wavefront6targetE0EEEvSG_
		.amdhsa_group_segment_fixed_size 0
		.amdhsa_private_segment_fixed_size 0
		.amdhsa_kernarg_size 88
		.amdhsa_user_sgpr_count 2
		.amdhsa_user_sgpr_dispatch_ptr 0
		.amdhsa_user_sgpr_queue_ptr 0
		.amdhsa_user_sgpr_kernarg_segment_ptr 1
		.amdhsa_user_sgpr_dispatch_id 0
		.amdhsa_user_sgpr_kernarg_preload_length 0
		.amdhsa_user_sgpr_kernarg_preload_offset 0
		.amdhsa_user_sgpr_private_segment_size 0
		.amdhsa_wavefront_size32 1
		.amdhsa_uses_dynamic_stack 0
		.amdhsa_enable_private_segment 0
		.amdhsa_system_sgpr_workgroup_id_x 1
		.amdhsa_system_sgpr_workgroup_id_y 0
		.amdhsa_system_sgpr_workgroup_id_z 0
		.amdhsa_system_sgpr_workgroup_info 0
		.amdhsa_system_vgpr_workitem_id 0
		.amdhsa_next_free_vgpr 1
		.amdhsa_next_free_sgpr 1
		.amdhsa_named_barrier_count 0
		.amdhsa_reserve_vcc 0
		.amdhsa_float_round_mode_32 0
		.amdhsa_float_round_mode_16_64 0
		.amdhsa_float_denorm_mode_32 3
		.amdhsa_float_denorm_mode_16_64 3
		.amdhsa_fp16_overflow 0
		.amdhsa_memory_ordered 1
		.amdhsa_forward_progress 1
		.amdhsa_inst_pref_size 0
		.amdhsa_round_robin_scheduling 0
		.amdhsa_exception_fp_ieee_invalid_op 0
		.amdhsa_exception_fp_denorm_src 0
		.amdhsa_exception_fp_ieee_div_zero 0
		.amdhsa_exception_fp_ieee_overflow 0
		.amdhsa_exception_fp_ieee_underflow 0
		.amdhsa_exception_fp_ieee_inexact 0
		.amdhsa_exception_int_div_zero 0
	.end_amdhsa_kernel
	.section	.text._ZN7rocprim17ROCPRIM_400000_NS6detail17trampoline_kernelINS0_14default_configENS1_35radix_sort_onesweep_config_selectorIlNS0_10empty_typeEEEZZNS1_29radix_sort_onesweep_iterationIS3_Lb0EPKlPlPS5_SB_mNS0_19identity_decomposerENS1_16block_id_wrapperIjLb0EEEEE10hipError_tT1_PNSt15iterator_traitsISG_E10value_typeET2_T3_PNSH_ISM_E10value_typeET4_T5_PSR_SS_PNS1_23onesweep_lookback_stateEbbT6_jjT7_P12ihipStream_tbENKUlT_T0_SG_SL_E_clISA_SA_SB_SB_EEDaSZ_S10_SG_SL_EUlSZ_E_NS1_11comp_targetILNS1_3genE4ELNS1_11target_archE910ELNS1_3gpuE8ELNS1_3repE0EEENS1_47radix_sort_onesweep_sort_config_static_selectorELNS0_4arch9wavefront6targetE0EEEvSG_,"axG",@progbits,_ZN7rocprim17ROCPRIM_400000_NS6detail17trampoline_kernelINS0_14default_configENS1_35radix_sort_onesweep_config_selectorIlNS0_10empty_typeEEEZZNS1_29radix_sort_onesweep_iterationIS3_Lb0EPKlPlPS5_SB_mNS0_19identity_decomposerENS1_16block_id_wrapperIjLb0EEEEE10hipError_tT1_PNSt15iterator_traitsISG_E10value_typeET2_T3_PNSH_ISM_E10value_typeET4_T5_PSR_SS_PNS1_23onesweep_lookback_stateEbbT6_jjT7_P12ihipStream_tbENKUlT_T0_SG_SL_E_clISA_SA_SB_SB_EEDaSZ_S10_SG_SL_EUlSZ_E_NS1_11comp_targetILNS1_3genE4ELNS1_11target_archE910ELNS1_3gpuE8ELNS1_3repE0EEENS1_47radix_sort_onesweep_sort_config_static_selectorELNS0_4arch9wavefront6targetE0EEEvSG_,comdat
.Lfunc_end1238:
	.size	_ZN7rocprim17ROCPRIM_400000_NS6detail17trampoline_kernelINS0_14default_configENS1_35radix_sort_onesweep_config_selectorIlNS0_10empty_typeEEEZZNS1_29radix_sort_onesweep_iterationIS3_Lb0EPKlPlPS5_SB_mNS0_19identity_decomposerENS1_16block_id_wrapperIjLb0EEEEE10hipError_tT1_PNSt15iterator_traitsISG_E10value_typeET2_T3_PNSH_ISM_E10value_typeET4_T5_PSR_SS_PNS1_23onesweep_lookback_stateEbbT6_jjT7_P12ihipStream_tbENKUlT_T0_SG_SL_E_clISA_SA_SB_SB_EEDaSZ_S10_SG_SL_EUlSZ_E_NS1_11comp_targetILNS1_3genE4ELNS1_11target_archE910ELNS1_3gpuE8ELNS1_3repE0EEENS1_47radix_sort_onesweep_sort_config_static_selectorELNS0_4arch9wavefront6targetE0EEEvSG_, .Lfunc_end1238-_ZN7rocprim17ROCPRIM_400000_NS6detail17trampoline_kernelINS0_14default_configENS1_35radix_sort_onesweep_config_selectorIlNS0_10empty_typeEEEZZNS1_29radix_sort_onesweep_iterationIS3_Lb0EPKlPlPS5_SB_mNS0_19identity_decomposerENS1_16block_id_wrapperIjLb0EEEEE10hipError_tT1_PNSt15iterator_traitsISG_E10value_typeET2_T3_PNSH_ISM_E10value_typeET4_T5_PSR_SS_PNS1_23onesweep_lookback_stateEbbT6_jjT7_P12ihipStream_tbENKUlT_T0_SG_SL_E_clISA_SA_SB_SB_EEDaSZ_S10_SG_SL_EUlSZ_E_NS1_11comp_targetILNS1_3genE4ELNS1_11target_archE910ELNS1_3gpuE8ELNS1_3repE0EEENS1_47radix_sort_onesweep_sort_config_static_selectorELNS0_4arch9wavefront6targetE0EEEvSG_
                                        ; -- End function
	.set _ZN7rocprim17ROCPRIM_400000_NS6detail17trampoline_kernelINS0_14default_configENS1_35radix_sort_onesweep_config_selectorIlNS0_10empty_typeEEEZZNS1_29radix_sort_onesweep_iterationIS3_Lb0EPKlPlPS5_SB_mNS0_19identity_decomposerENS1_16block_id_wrapperIjLb0EEEEE10hipError_tT1_PNSt15iterator_traitsISG_E10value_typeET2_T3_PNSH_ISM_E10value_typeET4_T5_PSR_SS_PNS1_23onesweep_lookback_stateEbbT6_jjT7_P12ihipStream_tbENKUlT_T0_SG_SL_E_clISA_SA_SB_SB_EEDaSZ_S10_SG_SL_EUlSZ_E_NS1_11comp_targetILNS1_3genE4ELNS1_11target_archE910ELNS1_3gpuE8ELNS1_3repE0EEENS1_47radix_sort_onesweep_sort_config_static_selectorELNS0_4arch9wavefront6targetE0EEEvSG_.num_vgpr, 0
	.set _ZN7rocprim17ROCPRIM_400000_NS6detail17trampoline_kernelINS0_14default_configENS1_35radix_sort_onesweep_config_selectorIlNS0_10empty_typeEEEZZNS1_29radix_sort_onesweep_iterationIS3_Lb0EPKlPlPS5_SB_mNS0_19identity_decomposerENS1_16block_id_wrapperIjLb0EEEEE10hipError_tT1_PNSt15iterator_traitsISG_E10value_typeET2_T3_PNSH_ISM_E10value_typeET4_T5_PSR_SS_PNS1_23onesweep_lookback_stateEbbT6_jjT7_P12ihipStream_tbENKUlT_T0_SG_SL_E_clISA_SA_SB_SB_EEDaSZ_S10_SG_SL_EUlSZ_E_NS1_11comp_targetILNS1_3genE4ELNS1_11target_archE910ELNS1_3gpuE8ELNS1_3repE0EEENS1_47radix_sort_onesweep_sort_config_static_selectorELNS0_4arch9wavefront6targetE0EEEvSG_.num_agpr, 0
	.set _ZN7rocprim17ROCPRIM_400000_NS6detail17trampoline_kernelINS0_14default_configENS1_35radix_sort_onesweep_config_selectorIlNS0_10empty_typeEEEZZNS1_29radix_sort_onesweep_iterationIS3_Lb0EPKlPlPS5_SB_mNS0_19identity_decomposerENS1_16block_id_wrapperIjLb0EEEEE10hipError_tT1_PNSt15iterator_traitsISG_E10value_typeET2_T3_PNSH_ISM_E10value_typeET4_T5_PSR_SS_PNS1_23onesweep_lookback_stateEbbT6_jjT7_P12ihipStream_tbENKUlT_T0_SG_SL_E_clISA_SA_SB_SB_EEDaSZ_S10_SG_SL_EUlSZ_E_NS1_11comp_targetILNS1_3genE4ELNS1_11target_archE910ELNS1_3gpuE8ELNS1_3repE0EEENS1_47radix_sort_onesweep_sort_config_static_selectorELNS0_4arch9wavefront6targetE0EEEvSG_.numbered_sgpr, 0
	.set _ZN7rocprim17ROCPRIM_400000_NS6detail17trampoline_kernelINS0_14default_configENS1_35radix_sort_onesweep_config_selectorIlNS0_10empty_typeEEEZZNS1_29radix_sort_onesweep_iterationIS3_Lb0EPKlPlPS5_SB_mNS0_19identity_decomposerENS1_16block_id_wrapperIjLb0EEEEE10hipError_tT1_PNSt15iterator_traitsISG_E10value_typeET2_T3_PNSH_ISM_E10value_typeET4_T5_PSR_SS_PNS1_23onesweep_lookback_stateEbbT6_jjT7_P12ihipStream_tbENKUlT_T0_SG_SL_E_clISA_SA_SB_SB_EEDaSZ_S10_SG_SL_EUlSZ_E_NS1_11comp_targetILNS1_3genE4ELNS1_11target_archE910ELNS1_3gpuE8ELNS1_3repE0EEENS1_47radix_sort_onesweep_sort_config_static_selectorELNS0_4arch9wavefront6targetE0EEEvSG_.num_named_barrier, 0
	.set _ZN7rocprim17ROCPRIM_400000_NS6detail17trampoline_kernelINS0_14default_configENS1_35radix_sort_onesweep_config_selectorIlNS0_10empty_typeEEEZZNS1_29radix_sort_onesweep_iterationIS3_Lb0EPKlPlPS5_SB_mNS0_19identity_decomposerENS1_16block_id_wrapperIjLb0EEEEE10hipError_tT1_PNSt15iterator_traitsISG_E10value_typeET2_T3_PNSH_ISM_E10value_typeET4_T5_PSR_SS_PNS1_23onesweep_lookback_stateEbbT6_jjT7_P12ihipStream_tbENKUlT_T0_SG_SL_E_clISA_SA_SB_SB_EEDaSZ_S10_SG_SL_EUlSZ_E_NS1_11comp_targetILNS1_3genE4ELNS1_11target_archE910ELNS1_3gpuE8ELNS1_3repE0EEENS1_47radix_sort_onesweep_sort_config_static_selectorELNS0_4arch9wavefront6targetE0EEEvSG_.private_seg_size, 0
	.set _ZN7rocprim17ROCPRIM_400000_NS6detail17trampoline_kernelINS0_14default_configENS1_35radix_sort_onesweep_config_selectorIlNS0_10empty_typeEEEZZNS1_29radix_sort_onesweep_iterationIS3_Lb0EPKlPlPS5_SB_mNS0_19identity_decomposerENS1_16block_id_wrapperIjLb0EEEEE10hipError_tT1_PNSt15iterator_traitsISG_E10value_typeET2_T3_PNSH_ISM_E10value_typeET4_T5_PSR_SS_PNS1_23onesweep_lookback_stateEbbT6_jjT7_P12ihipStream_tbENKUlT_T0_SG_SL_E_clISA_SA_SB_SB_EEDaSZ_S10_SG_SL_EUlSZ_E_NS1_11comp_targetILNS1_3genE4ELNS1_11target_archE910ELNS1_3gpuE8ELNS1_3repE0EEENS1_47radix_sort_onesweep_sort_config_static_selectorELNS0_4arch9wavefront6targetE0EEEvSG_.uses_vcc, 0
	.set _ZN7rocprim17ROCPRIM_400000_NS6detail17trampoline_kernelINS0_14default_configENS1_35radix_sort_onesweep_config_selectorIlNS0_10empty_typeEEEZZNS1_29radix_sort_onesweep_iterationIS3_Lb0EPKlPlPS5_SB_mNS0_19identity_decomposerENS1_16block_id_wrapperIjLb0EEEEE10hipError_tT1_PNSt15iterator_traitsISG_E10value_typeET2_T3_PNSH_ISM_E10value_typeET4_T5_PSR_SS_PNS1_23onesweep_lookback_stateEbbT6_jjT7_P12ihipStream_tbENKUlT_T0_SG_SL_E_clISA_SA_SB_SB_EEDaSZ_S10_SG_SL_EUlSZ_E_NS1_11comp_targetILNS1_3genE4ELNS1_11target_archE910ELNS1_3gpuE8ELNS1_3repE0EEENS1_47radix_sort_onesweep_sort_config_static_selectorELNS0_4arch9wavefront6targetE0EEEvSG_.uses_flat_scratch, 0
	.set _ZN7rocprim17ROCPRIM_400000_NS6detail17trampoline_kernelINS0_14default_configENS1_35radix_sort_onesweep_config_selectorIlNS0_10empty_typeEEEZZNS1_29radix_sort_onesweep_iterationIS3_Lb0EPKlPlPS5_SB_mNS0_19identity_decomposerENS1_16block_id_wrapperIjLb0EEEEE10hipError_tT1_PNSt15iterator_traitsISG_E10value_typeET2_T3_PNSH_ISM_E10value_typeET4_T5_PSR_SS_PNS1_23onesweep_lookback_stateEbbT6_jjT7_P12ihipStream_tbENKUlT_T0_SG_SL_E_clISA_SA_SB_SB_EEDaSZ_S10_SG_SL_EUlSZ_E_NS1_11comp_targetILNS1_3genE4ELNS1_11target_archE910ELNS1_3gpuE8ELNS1_3repE0EEENS1_47radix_sort_onesweep_sort_config_static_selectorELNS0_4arch9wavefront6targetE0EEEvSG_.has_dyn_sized_stack, 0
	.set _ZN7rocprim17ROCPRIM_400000_NS6detail17trampoline_kernelINS0_14default_configENS1_35radix_sort_onesweep_config_selectorIlNS0_10empty_typeEEEZZNS1_29radix_sort_onesweep_iterationIS3_Lb0EPKlPlPS5_SB_mNS0_19identity_decomposerENS1_16block_id_wrapperIjLb0EEEEE10hipError_tT1_PNSt15iterator_traitsISG_E10value_typeET2_T3_PNSH_ISM_E10value_typeET4_T5_PSR_SS_PNS1_23onesweep_lookback_stateEbbT6_jjT7_P12ihipStream_tbENKUlT_T0_SG_SL_E_clISA_SA_SB_SB_EEDaSZ_S10_SG_SL_EUlSZ_E_NS1_11comp_targetILNS1_3genE4ELNS1_11target_archE910ELNS1_3gpuE8ELNS1_3repE0EEENS1_47radix_sort_onesweep_sort_config_static_selectorELNS0_4arch9wavefront6targetE0EEEvSG_.has_recursion, 0
	.set _ZN7rocprim17ROCPRIM_400000_NS6detail17trampoline_kernelINS0_14default_configENS1_35radix_sort_onesweep_config_selectorIlNS0_10empty_typeEEEZZNS1_29radix_sort_onesweep_iterationIS3_Lb0EPKlPlPS5_SB_mNS0_19identity_decomposerENS1_16block_id_wrapperIjLb0EEEEE10hipError_tT1_PNSt15iterator_traitsISG_E10value_typeET2_T3_PNSH_ISM_E10value_typeET4_T5_PSR_SS_PNS1_23onesweep_lookback_stateEbbT6_jjT7_P12ihipStream_tbENKUlT_T0_SG_SL_E_clISA_SA_SB_SB_EEDaSZ_S10_SG_SL_EUlSZ_E_NS1_11comp_targetILNS1_3genE4ELNS1_11target_archE910ELNS1_3gpuE8ELNS1_3repE0EEENS1_47radix_sort_onesweep_sort_config_static_selectorELNS0_4arch9wavefront6targetE0EEEvSG_.has_indirect_call, 0
	.section	.AMDGPU.csdata,"",@progbits
; Kernel info:
; codeLenInByte = 0
; TotalNumSgprs: 0
; NumVgprs: 0
; ScratchSize: 0
; MemoryBound: 0
; FloatMode: 240
; IeeeMode: 1
; LDSByteSize: 0 bytes/workgroup (compile time only)
; SGPRBlocks: 0
; VGPRBlocks: 0
; NumSGPRsForWavesPerEU: 1
; NumVGPRsForWavesPerEU: 1
; NamedBarCnt: 0
; Occupancy: 16
; WaveLimiterHint : 0
; COMPUTE_PGM_RSRC2:SCRATCH_EN: 0
; COMPUTE_PGM_RSRC2:USER_SGPR: 2
; COMPUTE_PGM_RSRC2:TRAP_HANDLER: 0
; COMPUTE_PGM_RSRC2:TGID_X_EN: 1
; COMPUTE_PGM_RSRC2:TGID_Y_EN: 0
; COMPUTE_PGM_RSRC2:TGID_Z_EN: 0
; COMPUTE_PGM_RSRC2:TIDIG_COMP_CNT: 0
	.section	.text._ZN7rocprim17ROCPRIM_400000_NS6detail17trampoline_kernelINS0_14default_configENS1_35radix_sort_onesweep_config_selectorIlNS0_10empty_typeEEEZZNS1_29radix_sort_onesweep_iterationIS3_Lb0EPKlPlPS5_SB_mNS0_19identity_decomposerENS1_16block_id_wrapperIjLb0EEEEE10hipError_tT1_PNSt15iterator_traitsISG_E10value_typeET2_T3_PNSH_ISM_E10value_typeET4_T5_PSR_SS_PNS1_23onesweep_lookback_stateEbbT6_jjT7_P12ihipStream_tbENKUlT_T0_SG_SL_E_clISA_SA_SB_SB_EEDaSZ_S10_SG_SL_EUlSZ_E_NS1_11comp_targetILNS1_3genE3ELNS1_11target_archE908ELNS1_3gpuE7ELNS1_3repE0EEENS1_47radix_sort_onesweep_sort_config_static_selectorELNS0_4arch9wavefront6targetE0EEEvSG_,"axG",@progbits,_ZN7rocprim17ROCPRIM_400000_NS6detail17trampoline_kernelINS0_14default_configENS1_35radix_sort_onesweep_config_selectorIlNS0_10empty_typeEEEZZNS1_29radix_sort_onesweep_iterationIS3_Lb0EPKlPlPS5_SB_mNS0_19identity_decomposerENS1_16block_id_wrapperIjLb0EEEEE10hipError_tT1_PNSt15iterator_traitsISG_E10value_typeET2_T3_PNSH_ISM_E10value_typeET4_T5_PSR_SS_PNS1_23onesweep_lookback_stateEbbT6_jjT7_P12ihipStream_tbENKUlT_T0_SG_SL_E_clISA_SA_SB_SB_EEDaSZ_S10_SG_SL_EUlSZ_E_NS1_11comp_targetILNS1_3genE3ELNS1_11target_archE908ELNS1_3gpuE7ELNS1_3repE0EEENS1_47radix_sort_onesweep_sort_config_static_selectorELNS0_4arch9wavefront6targetE0EEEvSG_,comdat
	.protected	_ZN7rocprim17ROCPRIM_400000_NS6detail17trampoline_kernelINS0_14default_configENS1_35radix_sort_onesweep_config_selectorIlNS0_10empty_typeEEEZZNS1_29radix_sort_onesweep_iterationIS3_Lb0EPKlPlPS5_SB_mNS0_19identity_decomposerENS1_16block_id_wrapperIjLb0EEEEE10hipError_tT1_PNSt15iterator_traitsISG_E10value_typeET2_T3_PNSH_ISM_E10value_typeET4_T5_PSR_SS_PNS1_23onesweep_lookback_stateEbbT6_jjT7_P12ihipStream_tbENKUlT_T0_SG_SL_E_clISA_SA_SB_SB_EEDaSZ_S10_SG_SL_EUlSZ_E_NS1_11comp_targetILNS1_3genE3ELNS1_11target_archE908ELNS1_3gpuE7ELNS1_3repE0EEENS1_47radix_sort_onesweep_sort_config_static_selectorELNS0_4arch9wavefront6targetE0EEEvSG_ ; -- Begin function _ZN7rocprim17ROCPRIM_400000_NS6detail17trampoline_kernelINS0_14default_configENS1_35radix_sort_onesweep_config_selectorIlNS0_10empty_typeEEEZZNS1_29radix_sort_onesweep_iterationIS3_Lb0EPKlPlPS5_SB_mNS0_19identity_decomposerENS1_16block_id_wrapperIjLb0EEEEE10hipError_tT1_PNSt15iterator_traitsISG_E10value_typeET2_T3_PNSH_ISM_E10value_typeET4_T5_PSR_SS_PNS1_23onesweep_lookback_stateEbbT6_jjT7_P12ihipStream_tbENKUlT_T0_SG_SL_E_clISA_SA_SB_SB_EEDaSZ_S10_SG_SL_EUlSZ_E_NS1_11comp_targetILNS1_3genE3ELNS1_11target_archE908ELNS1_3gpuE7ELNS1_3repE0EEENS1_47radix_sort_onesweep_sort_config_static_selectorELNS0_4arch9wavefront6targetE0EEEvSG_
	.globl	_ZN7rocprim17ROCPRIM_400000_NS6detail17trampoline_kernelINS0_14default_configENS1_35radix_sort_onesweep_config_selectorIlNS0_10empty_typeEEEZZNS1_29radix_sort_onesweep_iterationIS3_Lb0EPKlPlPS5_SB_mNS0_19identity_decomposerENS1_16block_id_wrapperIjLb0EEEEE10hipError_tT1_PNSt15iterator_traitsISG_E10value_typeET2_T3_PNSH_ISM_E10value_typeET4_T5_PSR_SS_PNS1_23onesweep_lookback_stateEbbT6_jjT7_P12ihipStream_tbENKUlT_T0_SG_SL_E_clISA_SA_SB_SB_EEDaSZ_S10_SG_SL_EUlSZ_E_NS1_11comp_targetILNS1_3genE3ELNS1_11target_archE908ELNS1_3gpuE7ELNS1_3repE0EEENS1_47radix_sort_onesweep_sort_config_static_selectorELNS0_4arch9wavefront6targetE0EEEvSG_
	.p2align	8
	.type	_ZN7rocprim17ROCPRIM_400000_NS6detail17trampoline_kernelINS0_14default_configENS1_35radix_sort_onesweep_config_selectorIlNS0_10empty_typeEEEZZNS1_29radix_sort_onesweep_iterationIS3_Lb0EPKlPlPS5_SB_mNS0_19identity_decomposerENS1_16block_id_wrapperIjLb0EEEEE10hipError_tT1_PNSt15iterator_traitsISG_E10value_typeET2_T3_PNSH_ISM_E10value_typeET4_T5_PSR_SS_PNS1_23onesweep_lookback_stateEbbT6_jjT7_P12ihipStream_tbENKUlT_T0_SG_SL_E_clISA_SA_SB_SB_EEDaSZ_S10_SG_SL_EUlSZ_E_NS1_11comp_targetILNS1_3genE3ELNS1_11target_archE908ELNS1_3gpuE7ELNS1_3repE0EEENS1_47radix_sort_onesweep_sort_config_static_selectorELNS0_4arch9wavefront6targetE0EEEvSG_,@function
_ZN7rocprim17ROCPRIM_400000_NS6detail17trampoline_kernelINS0_14default_configENS1_35radix_sort_onesweep_config_selectorIlNS0_10empty_typeEEEZZNS1_29radix_sort_onesweep_iterationIS3_Lb0EPKlPlPS5_SB_mNS0_19identity_decomposerENS1_16block_id_wrapperIjLb0EEEEE10hipError_tT1_PNSt15iterator_traitsISG_E10value_typeET2_T3_PNSH_ISM_E10value_typeET4_T5_PSR_SS_PNS1_23onesweep_lookback_stateEbbT6_jjT7_P12ihipStream_tbENKUlT_T0_SG_SL_E_clISA_SA_SB_SB_EEDaSZ_S10_SG_SL_EUlSZ_E_NS1_11comp_targetILNS1_3genE3ELNS1_11target_archE908ELNS1_3gpuE7ELNS1_3repE0EEENS1_47radix_sort_onesweep_sort_config_static_selectorELNS0_4arch9wavefront6targetE0EEEvSG_: ; @_ZN7rocprim17ROCPRIM_400000_NS6detail17trampoline_kernelINS0_14default_configENS1_35radix_sort_onesweep_config_selectorIlNS0_10empty_typeEEEZZNS1_29radix_sort_onesweep_iterationIS3_Lb0EPKlPlPS5_SB_mNS0_19identity_decomposerENS1_16block_id_wrapperIjLb0EEEEE10hipError_tT1_PNSt15iterator_traitsISG_E10value_typeET2_T3_PNSH_ISM_E10value_typeET4_T5_PSR_SS_PNS1_23onesweep_lookback_stateEbbT6_jjT7_P12ihipStream_tbENKUlT_T0_SG_SL_E_clISA_SA_SB_SB_EEDaSZ_S10_SG_SL_EUlSZ_E_NS1_11comp_targetILNS1_3genE3ELNS1_11target_archE908ELNS1_3gpuE7ELNS1_3repE0EEENS1_47radix_sort_onesweep_sort_config_static_selectorELNS0_4arch9wavefront6targetE0EEEvSG_
; %bb.0:
	.section	.rodata,"a",@progbits
	.p2align	6, 0x0
	.amdhsa_kernel _ZN7rocprim17ROCPRIM_400000_NS6detail17trampoline_kernelINS0_14default_configENS1_35radix_sort_onesweep_config_selectorIlNS0_10empty_typeEEEZZNS1_29radix_sort_onesweep_iterationIS3_Lb0EPKlPlPS5_SB_mNS0_19identity_decomposerENS1_16block_id_wrapperIjLb0EEEEE10hipError_tT1_PNSt15iterator_traitsISG_E10value_typeET2_T3_PNSH_ISM_E10value_typeET4_T5_PSR_SS_PNS1_23onesweep_lookback_stateEbbT6_jjT7_P12ihipStream_tbENKUlT_T0_SG_SL_E_clISA_SA_SB_SB_EEDaSZ_S10_SG_SL_EUlSZ_E_NS1_11comp_targetILNS1_3genE3ELNS1_11target_archE908ELNS1_3gpuE7ELNS1_3repE0EEENS1_47radix_sort_onesweep_sort_config_static_selectorELNS0_4arch9wavefront6targetE0EEEvSG_
		.amdhsa_group_segment_fixed_size 0
		.amdhsa_private_segment_fixed_size 0
		.amdhsa_kernarg_size 88
		.amdhsa_user_sgpr_count 2
		.amdhsa_user_sgpr_dispatch_ptr 0
		.amdhsa_user_sgpr_queue_ptr 0
		.amdhsa_user_sgpr_kernarg_segment_ptr 1
		.amdhsa_user_sgpr_dispatch_id 0
		.amdhsa_user_sgpr_kernarg_preload_length 0
		.amdhsa_user_sgpr_kernarg_preload_offset 0
		.amdhsa_user_sgpr_private_segment_size 0
		.amdhsa_wavefront_size32 1
		.amdhsa_uses_dynamic_stack 0
		.amdhsa_enable_private_segment 0
		.amdhsa_system_sgpr_workgroup_id_x 1
		.amdhsa_system_sgpr_workgroup_id_y 0
		.amdhsa_system_sgpr_workgroup_id_z 0
		.amdhsa_system_sgpr_workgroup_info 0
		.amdhsa_system_vgpr_workitem_id 0
		.amdhsa_next_free_vgpr 1
		.amdhsa_next_free_sgpr 1
		.amdhsa_named_barrier_count 0
		.amdhsa_reserve_vcc 0
		.amdhsa_float_round_mode_32 0
		.amdhsa_float_round_mode_16_64 0
		.amdhsa_float_denorm_mode_32 3
		.amdhsa_float_denorm_mode_16_64 3
		.amdhsa_fp16_overflow 0
		.amdhsa_memory_ordered 1
		.amdhsa_forward_progress 1
		.amdhsa_inst_pref_size 0
		.amdhsa_round_robin_scheduling 0
		.amdhsa_exception_fp_ieee_invalid_op 0
		.amdhsa_exception_fp_denorm_src 0
		.amdhsa_exception_fp_ieee_div_zero 0
		.amdhsa_exception_fp_ieee_overflow 0
		.amdhsa_exception_fp_ieee_underflow 0
		.amdhsa_exception_fp_ieee_inexact 0
		.amdhsa_exception_int_div_zero 0
	.end_amdhsa_kernel
	.section	.text._ZN7rocprim17ROCPRIM_400000_NS6detail17trampoline_kernelINS0_14default_configENS1_35radix_sort_onesweep_config_selectorIlNS0_10empty_typeEEEZZNS1_29radix_sort_onesweep_iterationIS3_Lb0EPKlPlPS5_SB_mNS0_19identity_decomposerENS1_16block_id_wrapperIjLb0EEEEE10hipError_tT1_PNSt15iterator_traitsISG_E10value_typeET2_T3_PNSH_ISM_E10value_typeET4_T5_PSR_SS_PNS1_23onesweep_lookback_stateEbbT6_jjT7_P12ihipStream_tbENKUlT_T0_SG_SL_E_clISA_SA_SB_SB_EEDaSZ_S10_SG_SL_EUlSZ_E_NS1_11comp_targetILNS1_3genE3ELNS1_11target_archE908ELNS1_3gpuE7ELNS1_3repE0EEENS1_47radix_sort_onesweep_sort_config_static_selectorELNS0_4arch9wavefront6targetE0EEEvSG_,"axG",@progbits,_ZN7rocprim17ROCPRIM_400000_NS6detail17trampoline_kernelINS0_14default_configENS1_35radix_sort_onesweep_config_selectorIlNS0_10empty_typeEEEZZNS1_29radix_sort_onesweep_iterationIS3_Lb0EPKlPlPS5_SB_mNS0_19identity_decomposerENS1_16block_id_wrapperIjLb0EEEEE10hipError_tT1_PNSt15iterator_traitsISG_E10value_typeET2_T3_PNSH_ISM_E10value_typeET4_T5_PSR_SS_PNS1_23onesweep_lookback_stateEbbT6_jjT7_P12ihipStream_tbENKUlT_T0_SG_SL_E_clISA_SA_SB_SB_EEDaSZ_S10_SG_SL_EUlSZ_E_NS1_11comp_targetILNS1_3genE3ELNS1_11target_archE908ELNS1_3gpuE7ELNS1_3repE0EEENS1_47radix_sort_onesweep_sort_config_static_selectorELNS0_4arch9wavefront6targetE0EEEvSG_,comdat
.Lfunc_end1239:
	.size	_ZN7rocprim17ROCPRIM_400000_NS6detail17trampoline_kernelINS0_14default_configENS1_35radix_sort_onesweep_config_selectorIlNS0_10empty_typeEEEZZNS1_29radix_sort_onesweep_iterationIS3_Lb0EPKlPlPS5_SB_mNS0_19identity_decomposerENS1_16block_id_wrapperIjLb0EEEEE10hipError_tT1_PNSt15iterator_traitsISG_E10value_typeET2_T3_PNSH_ISM_E10value_typeET4_T5_PSR_SS_PNS1_23onesweep_lookback_stateEbbT6_jjT7_P12ihipStream_tbENKUlT_T0_SG_SL_E_clISA_SA_SB_SB_EEDaSZ_S10_SG_SL_EUlSZ_E_NS1_11comp_targetILNS1_3genE3ELNS1_11target_archE908ELNS1_3gpuE7ELNS1_3repE0EEENS1_47radix_sort_onesweep_sort_config_static_selectorELNS0_4arch9wavefront6targetE0EEEvSG_, .Lfunc_end1239-_ZN7rocprim17ROCPRIM_400000_NS6detail17trampoline_kernelINS0_14default_configENS1_35radix_sort_onesweep_config_selectorIlNS0_10empty_typeEEEZZNS1_29radix_sort_onesweep_iterationIS3_Lb0EPKlPlPS5_SB_mNS0_19identity_decomposerENS1_16block_id_wrapperIjLb0EEEEE10hipError_tT1_PNSt15iterator_traitsISG_E10value_typeET2_T3_PNSH_ISM_E10value_typeET4_T5_PSR_SS_PNS1_23onesweep_lookback_stateEbbT6_jjT7_P12ihipStream_tbENKUlT_T0_SG_SL_E_clISA_SA_SB_SB_EEDaSZ_S10_SG_SL_EUlSZ_E_NS1_11comp_targetILNS1_3genE3ELNS1_11target_archE908ELNS1_3gpuE7ELNS1_3repE0EEENS1_47radix_sort_onesweep_sort_config_static_selectorELNS0_4arch9wavefront6targetE0EEEvSG_
                                        ; -- End function
	.set _ZN7rocprim17ROCPRIM_400000_NS6detail17trampoline_kernelINS0_14default_configENS1_35radix_sort_onesweep_config_selectorIlNS0_10empty_typeEEEZZNS1_29radix_sort_onesweep_iterationIS3_Lb0EPKlPlPS5_SB_mNS0_19identity_decomposerENS1_16block_id_wrapperIjLb0EEEEE10hipError_tT1_PNSt15iterator_traitsISG_E10value_typeET2_T3_PNSH_ISM_E10value_typeET4_T5_PSR_SS_PNS1_23onesweep_lookback_stateEbbT6_jjT7_P12ihipStream_tbENKUlT_T0_SG_SL_E_clISA_SA_SB_SB_EEDaSZ_S10_SG_SL_EUlSZ_E_NS1_11comp_targetILNS1_3genE3ELNS1_11target_archE908ELNS1_3gpuE7ELNS1_3repE0EEENS1_47radix_sort_onesweep_sort_config_static_selectorELNS0_4arch9wavefront6targetE0EEEvSG_.num_vgpr, 0
	.set _ZN7rocprim17ROCPRIM_400000_NS6detail17trampoline_kernelINS0_14default_configENS1_35radix_sort_onesweep_config_selectorIlNS0_10empty_typeEEEZZNS1_29radix_sort_onesweep_iterationIS3_Lb0EPKlPlPS5_SB_mNS0_19identity_decomposerENS1_16block_id_wrapperIjLb0EEEEE10hipError_tT1_PNSt15iterator_traitsISG_E10value_typeET2_T3_PNSH_ISM_E10value_typeET4_T5_PSR_SS_PNS1_23onesweep_lookback_stateEbbT6_jjT7_P12ihipStream_tbENKUlT_T0_SG_SL_E_clISA_SA_SB_SB_EEDaSZ_S10_SG_SL_EUlSZ_E_NS1_11comp_targetILNS1_3genE3ELNS1_11target_archE908ELNS1_3gpuE7ELNS1_3repE0EEENS1_47radix_sort_onesweep_sort_config_static_selectorELNS0_4arch9wavefront6targetE0EEEvSG_.num_agpr, 0
	.set _ZN7rocprim17ROCPRIM_400000_NS6detail17trampoline_kernelINS0_14default_configENS1_35radix_sort_onesweep_config_selectorIlNS0_10empty_typeEEEZZNS1_29radix_sort_onesweep_iterationIS3_Lb0EPKlPlPS5_SB_mNS0_19identity_decomposerENS1_16block_id_wrapperIjLb0EEEEE10hipError_tT1_PNSt15iterator_traitsISG_E10value_typeET2_T3_PNSH_ISM_E10value_typeET4_T5_PSR_SS_PNS1_23onesweep_lookback_stateEbbT6_jjT7_P12ihipStream_tbENKUlT_T0_SG_SL_E_clISA_SA_SB_SB_EEDaSZ_S10_SG_SL_EUlSZ_E_NS1_11comp_targetILNS1_3genE3ELNS1_11target_archE908ELNS1_3gpuE7ELNS1_3repE0EEENS1_47radix_sort_onesweep_sort_config_static_selectorELNS0_4arch9wavefront6targetE0EEEvSG_.numbered_sgpr, 0
	.set _ZN7rocprim17ROCPRIM_400000_NS6detail17trampoline_kernelINS0_14default_configENS1_35radix_sort_onesweep_config_selectorIlNS0_10empty_typeEEEZZNS1_29radix_sort_onesweep_iterationIS3_Lb0EPKlPlPS5_SB_mNS0_19identity_decomposerENS1_16block_id_wrapperIjLb0EEEEE10hipError_tT1_PNSt15iterator_traitsISG_E10value_typeET2_T3_PNSH_ISM_E10value_typeET4_T5_PSR_SS_PNS1_23onesweep_lookback_stateEbbT6_jjT7_P12ihipStream_tbENKUlT_T0_SG_SL_E_clISA_SA_SB_SB_EEDaSZ_S10_SG_SL_EUlSZ_E_NS1_11comp_targetILNS1_3genE3ELNS1_11target_archE908ELNS1_3gpuE7ELNS1_3repE0EEENS1_47radix_sort_onesweep_sort_config_static_selectorELNS0_4arch9wavefront6targetE0EEEvSG_.num_named_barrier, 0
	.set _ZN7rocprim17ROCPRIM_400000_NS6detail17trampoline_kernelINS0_14default_configENS1_35radix_sort_onesweep_config_selectorIlNS0_10empty_typeEEEZZNS1_29radix_sort_onesweep_iterationIS3_Lb0EPKlPlPS5_SB_mNS0_19identity_decomposerENS1_16block_id_wrapperIjLb0EEEEE10hipError_tT1_PNSt15iterator_traitsISG_E10value_typeET2_T3_PNSH_ISM_E10value_typeET4_T5_PSR_SS_PNS1_23onesweep_lookback_stateEbbT6_jjT7_P12ihipStream_tbENKUlT_T0_SG_SL_E_clISA_SA_SB_SB_EEDaSZ_S10_SG_SL_EUlSZ_E_NS1_11comp_targetILNS1_3genE3ELNS1_11target_archE908ELNS1_3gpuE7ELNS1_3repE0EEENS1_47radix_sort_onesweep_sort_config_static_selectorELNS0_4arch9wavefront6targetE0EEEvSG_.private_seg_size, 0
	.set _ZN7rocprim17ROCPRIM_400000_NS6detail17trampoline_kernelINS0_14default_configENS1_35radix_sort_onesweep_config_selectorIlNS0_10empty_typeEEEZZNS1_29radix_sort_onesweep_iterationIS3_Lb0EPKlPlPS5_SB_mNS0_19identity_decomposerENS1_16block_id_wrapperIjLb0EEEEE10hipError_tT1_PNSt15iterator_traitsISG_E10value_typeET2_T3_PNSH_ISM_E10value_typeET4_T5_PSR_SS_PNS1_23onesweep_lookback_stateEbbT6_jjT7_P12ihipStream_tbENKUlT_T0_SG_SL_E_clISA_SA_SB_SB_EEDaSZ_S10_SG_SL_EUlSZ_E_NS1_11comp_targetILNS1_3genE3ELNS1_11target_archE908ELNS1_3gpuE7ELNS1_3repE0EEENS1_47radix_sort_onesweep_sort_config_static_selectorELNS0_4arch9wavefront6targetE0EEEvSG_.uses_vcc, 0
	.set _ZN7rocprim17ROCPRIM_400000_NS6detail17trampoline_kernelINS0_14default_configENS1_35radix_sort_onesweep_config_selectorIlNS0_10empty_typeEEEZZNS1_29radix_sort_onesweep_iterationIS3_Lb0EPKlPlPS5_SB_mNS0_19identity_decomposerENS1_16block_id_wrapperIjLb0EEEEE10hipError_tT1_PNSt15iterator_traitsISG_E10value_typeET2_T3_PNSH_ISM_E10value_typeET4_T5_PSR_SS_PNS1_23onesweep_lookback_stateEbbT6_jjT7_P12ihipStream_tbENKUlT_T0_SG_SL_E_clISA_SA_SB_SB_EEDaSZ_S10_SG_SL_EUlSZ_E_NS1_11comp_targetILNS1_3genE3ELNS1_11target_archE908ELNS1_3gpuE7ELNS1_3repE0EEENS1_47radix_sort_onesweep_sort_config_static_selectorELNS0_4arch9wavefront6targetE0EEEvSG_.uses_flat_scratch, 0
	.set _ZN7rocprim17ROCPRIM_400000_NS6detail17trampoline_kernelINS0_14default_configENS1_35radix_sort_onesweep_config_selectorIlNS0_10empty_typeEEEZZNS1_29radix_sort_onesweep_iterationIS3_Lb0EPKlPlPS5_SB_mNS0_19identity_decomposerENS1_16block_id_wrapperIjLb0EEEEE10hipError_tT1_PNSt15iterator_traitsISG_E10value_typeET2_T3_PNSH_ISM_E10value_typeET4_T5_PSR_SS_PNS1_23onesweep_lookback_stateEbbT6_jjT7_P12ihipStream_tbENKUlT_T0_SG_SL_E_clISA_SA_SB_SB_EEDaSZ_S10_SG_SL_EUlSZ_E_NS1_11comp_targetILNS1_3genE3ELNS1_11target_archE908ELNS1_3gpuE7ELNS1_3repE0EEENS1_47radix_sort_onesweep_sort_config_static_selectorELNS0_4arch9wavefront6targetE0EEEvSG_.has_dyn_sized_stack, 0
	.set _ZN7rocprim17ROCPRIM_400000_NS6detail17trampoline_kernelINS0_14default_configENS1_35radix_sort_onesweep_config_selectorIlNS0_10empty_typeEEEZZNS1_29radix_sort_onesweep_iterationIS3_Lb0EPKlPlPS5_SB_mNS0_19identity_decomposerENS1_16block_id_wrapperIjLb0EEEEE10hipError_tT1_PNSt15iterator_traitsISG_E10value_typeET2_T3_PNSH_ISM_E10value_typeET4_T5_PSR_SS_PNS1_23onesweep_lookback_stateEbbT6_jjT7_P12ihipStream_tbENKUlT_T0_SG_SL_E_clISA_SA_SB_SB_EEDaSZ_S10_SG_SL_EUlSZ_E_NS1_11comp_targetILNS1_3genE3ELNS1_11target_archE908ELNS1_3gpuE7ELNS1_3repE0EEENS1_47radix_sort_onesweep_sort_config_static_selectorELNS0_4arch9wavefront6targetE0EEEvSG_.has_recursion, 0
	.set _ZN7rocprim17ROCPRIM_400000_NS6detail17trampoline_kernelINS0_14default_configENS1_35radix_sort_onesweep_config_selectorIlNS0_10empty_typeEEEZZNS1_29radix_sort_onesweep_iterationIS3_Lb0EPKlPlPS5_SB_mNS0_19identity_decomposerENS1_16block_id_wrapperIjLb0EEEEE10hipError_tT1_PNSt15iterator_traitsISG_E10value_typeET2_T3_PNSH_ISM_E10value_typeET4_T5_PSR_SS_PNS1_23onesweep_lookback_stateEbbT6_jjT7_P12ihipStream_tbENKUlT_T0_SG_SL_E_clISA_SA_SB_SB_EEDaSZ_S10_SG_SL_EUlSZ_E_NS1_11comp_targetILNS1_3genE3ELNS1_11target_archE908ELNS1_3gpuE7ELNS1_3repE0EEENS1_47radix_sort_onesweep_sort_config_static_selectorELNS0_4arch9wavefront6targetE0EEEvSG_.has_indirect_call, 0
	.section	.AMDGPU.csdata,"",@progbits
; Kernel info:
; codeLenInByte = 0
; TotalNumSgprs: 0
; NumVgprs: 0
; ScratchSize: 0
; MemoryBound: 0
; FloatMode: 240
; IeeeMode: 1
; LDSByteSize: 0 bytes/workgroup (compile time only)
; SGPRBlocks: 0
; VGPRBlocks: 0
; NumSGPRsForWavesPerEU: 1
; NumVGPRsForWavesPerEU: 1
; NamedBarCnt: 0
; Occupancy: 16
; WaveLimiterHint : 0
; COMPUTE_PGM_RSRC2:SCRATCH_EN: 0
; COMPUTE_PGM_RSRC2:USER_SGPR: 2
; COMPUTE_PGM_RSRC2:TRAP_HANDLER: 0
; COMPUTE_PGM_RSRC2:TGID_X_EN: 1
; COMPUTE_PGM_RSRC2:TGID_Y_EN: 0
; COMPUTE_PGM_RSRC2:TGID_Z_EN: 0
; COMPUTE_PGM_RSRC2:TIDIG_COMP_CNT: 0
	.section	.text._ZN7rocprim17ROCPRIM_400000_NS6detail17trampoline_kernelINS0_14default_configENS1_35radix_sort_onesweep_config_selectorIlNS0_10empty_typeEEEZZNS1_29radix_sort_onesweep_iterationIS3_Lb0EPKlPlPS5_SB_mNS0_19identity_decomposerENS1_16block_id_wrapperIjLb0EEEEE10hipError_tT1_PNSt15iterator_traitsISG_E10value_typeET2_T3_PNSH_ISM_E10value_typeET4_T5_PSR_SS_PNS1_23onesweep_lookback_stateEbbT6_jjT7_P12ihipStream_tbENKUlT_T0_SG_SL_E_clISA_SA_SB_SB_EEDaSZ_S10_SG_SL_EUlSZ_E_NS1_11comp_targetILNS1_3genE10ELNS1_11target_archE1201ELNS1_3gpuE5ELNS1_3repE0EEENS1_47radix_sort_onesweep_sort_config_static_selectorELNS0_4arch9wavefront6targetE0EEEvSG_,"axG",@progbits,_ZN7rocprim17ROCPRIM_400000_NS6detail17trampoline_kernelINS0_14default_configENS1_35radix_sort_onesweep_config_selectorIlNS0_10empty_typeEEEZZNS1_29radix_sort_onesweep_iterationIS3_Lb0EPKlPlPS5_SB_mNS0_19identity_decomposerENS1_16block_id_wrapperIjLb0EEEEE10hipError_tT1_PNSt15iterator_traitsISG_E10value_typeET2_T3_PNSH_ISM_E10value_typeET4_T5_PSR_SS_PNS1_23onesweep_lookback_stateEbbT6_jjT7_P12ihipStream_tbENKUlT_T0_SG_SL_E_clISA_SA_SB_SB_EEDaSZ_S10_SG_SL_EUlSZ_E_NS1_11comp_targetILNS1_3genE10ELNS1_11target_archE1201ELNS1_3gpuE5ELNS1_3repE0EEENS1_47radix_sort_onesweep_sort_config_static_selectorELNS0_4arch9wavefront6targetE0EEEvSG_,comdat
	.protected	_ZN7rocprim17ROCPRIM_400000_NS6detail17trampoline_kernelINS0_14default_configENS1_35radix_sort_onesweep_config_selectorIlNS0_10empty_typeEEEZZNS1_29radix_sort_onesweep_iterationIS3_Lb0EPKlPlPS5_SB_mNS0_19identity_decomposerENS1_16block_id_wrapperIjLb0EEEEE10hipError_tT1_PNSt15iterator_traitsISG_E10value_typeET2_T3_PNSH_ISM_E10value_typeET4_T5_PSR_SS_PNS1_23onesweep_lookback_stateEbbT6_jjT7_P12ihipStream_tbENKUlT_T0_SG_SL_E_clISA_SA_SB_SB_EEDaSZ_S10_SG_SL_EUlSZ_E_NS1_11comp_targetILNS1_3genE10ELNS1_11target_archE1201ELNS1_3gpuE5ELNS1_3repE0EEENS1_47radix_sort_onesweep_sort_config_static_selectorELNS0_4arch9wavefront6targetE0EEEvSG_ ; -- Begin function _ZN7rocprim17ROCPRIM_400000_NS6detail17trampoline_kernelINS0_14default_configENS1_35radix_sort_onesweep_config_selectorIlNS0_10empty_typeEEEZZNS1_29radix_sort_onesweep_iterationIS3_Lb0EPKlPlPS5_SB_mNS0_19identity_decomposerENS1_16block_id_wrapperIjLb0EEEEE10hipError_tT1_PNSt15iterator_traitsISG_E10value_typeET2_T3_PNSH_ISM_E10value_typeET4_T5_PSR_SS_PNS1_23onesweep_lookback_stateEbbT6_jjT7_P12ihipStream_tbENKUlT_T0_SG_SL_E_clISA_SA_SB_SB_EEDaSZ_S10_SG_SL_EUlSZ_E_NS1_11comp_targetILNS1_3genE10ELNS1_11target_archE1201ELNS1_3gpuE5ELNS1_3repE0EEENS1_47radix_sort_onesweep_sort_config_static_selectorELNS0_4arch9wavefront6targetE0EEEvSG_
	.globl	_ZN7rocprim17ROCPRIM_400000_NS6detail17trampoline_kernelINS0_14default_configENS1_35radix_sort_onesweep_config_selectorIlNS0_10empty_typeEEEZZNS1_29radix_sort_onesweep_iterationIS3_Lb0EPKlPlPS5_SB_mNS0_19identity_decomposerENS1_16block_id_wrapperIjLb0EEEEE10hipError_tT1_PNSt15iterator_traitsISG_E10value_typeET2_T3_PNSH_ISM_E10value_typeET4_T5_PSR_SS_PNS1_23onesweep_lookback_stateEbbT6_jjT7_P12ihipStream_tbENKUlT_T0_SG_SL_E_clISA_SA_SB_SB_EEDaSZ_S10_SG_SL_EUlSZ_E_NS1_11comp_targetILNS1_3genE10ELNS1_11target_archE1201ELNS1_3gpuE5ELNS1_3repE0EEENS1_47radix_sort_onesweep_sort_config_static_selectorELNS0_4arch9wavefront6targetE0EEEvSG_
	.p2align	8
	.type	_ZN7rocprim17ROCPRIM_400000_NS6detail17trampoline_kernelINS0_14default_configENS1_35radix_sort_onesweep_config_selectorIlNS0_10empty_typeEEEZZNS1_29radix_sort_onesweep_iterationIS3_Lb0EPKlPlPS5_SB_mNS0_19identity_decomposerENS1_16block_id_wrapperIjLb0EEEEE10hipError_tT1_PNSt15iterator_traitsISG_E10value_typeET2_T3_PNSH_ISM_E10value_typeET4_T5_PSR_SS_PNS1_23onesweep_lookback_stateEbbT6_jjT7_P12ihipStream_tbENKUlT_T0_SG_SL_E_clISA_SA_SB_SB_EEDaSZ_S10_SG_SL_EUlSZ_E_NS1_11comp_targetILNS1_3genE10ELNS1_11target_archE1201ELNS1_3gpuE5ELNS1_3repE0EEENS1_47radix_sort_onesweep_sort_config_static_selectorELNS0_4arch9wavefront6targetE0EEEvSG_,@function
_ZN7rocprim17ROCPRIM_400000_NS6detail17trampoline_kernelINS0_14default_configENS1_35radix_sort_onesweep_config_selectorIlNS0_10empty_typeEEEZZNS1_29radix_sort_onesweep_iterationIS3_Lb0EPKlPlPS5_SB_mNS0_19identity_decomposerENS1_16block_id_wrapperIjLb0EEEEE10hipError_tT1_PNSt15iterator_traitsISG_E10value_typeET2_T3_PNSH_ISM_E10value_typeET4_T5_PSR_SS_PNS1_23onesweep_lookback_stateEbbT6_jjT7_P12ihipStream_tbENKUlT_T0_SG_SL_E_clISA_SA_SB_SB_EEDaSZ_S10_SG_SL_EUlSZ_E_NS1_11comp_targetILNS1_3genE10ELNS1_11target_archE1201ELNS1_3gpuE5ELNS1_3repE0EEENS1_47radix_sort_onesweep_sort_config_static_selectorELNS0_4arch9wavefront6targetE0EEEvSG_: ; @_ZN7rocprim17ROCPRIM_400000_NS6detail17trampoline_kernelINS0_14default_configENS1_35radix_sort_onesweep_config_selectorIlNS0_10empty_typeEEEZZNS1_29radix_sort_onesweep_iterationIS3_Lb0EPKlPlPS5_SB_mNS0_19identity_decomposerENS1_16block_id_wrapperIjLb0EEEEE10hipError_tT1_PNSt15iterator_traitsISG_E10value_typeET2_T3_PNSH_ISM_E10value_typeET4_T5_PSR_SS_PNS1_23onesweep_lookback_stateEbbT6_jjT7_P12ihipStream_tbENKUlT_T0_SG_SL_E_clISA_SA_SB_SB_EEDaSZ_S10_SG_SL_EUlSZ_E_NS1_11comp_targetILNS1_3genE10ELNS1_11target_archE1201ELNS1_3gpuE5ELNS1_3repE0EEENS1_47radix_sort_onesweep_sort_config_static_selectorELNS0_4arch9wavefront6targetE0EEEvSG_
; %bb.0:
	.section	.rodata,"a",@progbits
	.p2align	6, 0x0
	.amdhsa_kernel _ZN7rocprim17ROCPRIM_400000_NS6detail17trampoline_kernelINS0_14default_configENS1_35radix_sort_onesweep_config_selectorIlNS0_10empty_typeEEEZZNS1_29radix_sort_onesweep_iterationIS3_Lb0EPKlPlPS5_SB_mNS0_19identity_decomposerENS1_16block_id_wrapperIjLb0EEEEE10hipError_tT1_PNSt15iterator_traitsISG_E10value_typeET2_T3_PNSH_ISM_E10value_typeET4_T5_PSR_SS_PNS1_23onesweep_lookback_stateEbbT6_jjT7_P12ihipStream_tbENKUlT_T0_SG_SL_E_clISA_SA_SB_SB_EEDaSZ_S10_SG_SL_EUlSZ_E_NS1_11comp_targetILNS1_3genE10ELNS1_11target_archE1201ELNS1_3gpuE5ELNS1_3repE0EEENS1_47radix_sort_onesweep_sort_config_static_selectorELNS0_4arch9wavefront6targetE0EEEvSG_
		.amdhsa_group_segment_fixed_size 0
		.amdhsa_private_segment_fixed_size 0
		.amdhsa_kernarg_size 88
		.amdhsa_user_sgpr_count 2
		.amdhsa_user_sgpr_dispatch_ptr 0
		.amdhsa_user_sgpr_queue_ptr 0
		.amdhsa_user_sgpr_kernarg_segment_ptr 1
		.amdhsa_user_sgpr_dispatch_id 0
		.amdhsa_user_sgpr_kernarg_preload_length 0
		.amdhsa_user_sgpr_kernarg_preload_offset 0
		.amdhsa_user_sgpr_private_segment_size 0
		.amdhsa_wavefront_size32 1
		.amdhsa_uses_dynamic_stack 0
		.amdhsa_enable_private_segment 0
		.amdhsa_system_sgpr_workgroup_id_x 1
		.amdhsa_system_sgpr_workgroup_id_y 0
		.amdhsa_system_sgpr_workgroup_id_z 0
		.amdhsa_system_sgpr_workgroup_info 0
		.amdhsa_system_vgpr_workitem_id 0
		.amdhsa_next_free_vgpr 1
		.amdhsa_next_free_sgpr 1
		.amdhsa_named_barrier_count 0
		.amdhsa_reserve_vcc 0
		.amdhsa_float_round_mode_32 0
		.amdhsa_float_round_mode_16_64 0
		.amdhsa_float_denorm_mode_32 3
		.amdhsa_float_denorm_mode_16_64 3
		.amdhsa_fp16_overflow 0
		.amdhsa_memory_ordered 1
		.amdhsa_forward_progress 1
		.amdhsa_inst_pref_size 0
		.amdhsa_round_robin_scheduling 0
		.amdhsa_exception_fp_ieee_invalid_op 0
		.amdhsa_exception_fp_denorm_src 0
		.amdhsa_exception_fp_ieee_div_zero 0
		.amdhsa_exception_fp_ieee_overflow 0
		.amdhsa_exception_fp_ieee_underflow 0
		.amdhsa_exception_fp_ieee_inexact 0
		.amdhsa_exception_int_div_zero 0
	.end_amdhsa_kernel
	.section	.text._ZN7rocprim17ROCPRIM_400000_NS6detail17trampoline_kernelINS0_14default_configENS1_35radix_sort_onesweep_config_selectorIlNS0_10empty_typeEEEZZNS1_29radix_sort_onesweep_iterationIS3_Lb0EPKlPlPS5_SB_mNS0_19identity_decomposerENS1_16block_id_wrapperIjLb0EEEEE10hipError_tT1_PNSt15iterator_traitsISG_E10value_typeET2_T3_PNSH_ISM_E10value_typeET4_T5_PSR_SS_PNS1_23onesweep_lookback_stateEbbT6_jjT7_P12ihipStream_tbENKUlT_T0_SG_SL_E_clISA_SA_SB_SB_EEDaSZ_S10_SG_SL_EUlSZ_E_NS1_11comp_targetILNS1_3genE10ELNS1_11target_archE1201ELNS1_3gpuE5ELNS1_3repE0EEENS1_47radix_sort_onesweep_sort_config_static_selectorELNS0_4arch9wavefront6targetE0EEEvSG_,"axG",@progbits,_ZN7rocprim17ROCPRIM_400000_NS6detail17trampoline_kernelINS0_14default_configENS1_35radix_sort_onesweep_config_selectorIlNS0_10empty_typeEEEZZNS1_29radix_sort_onesweep_iterationIS3_Lb0EPKlPlPS5_SB_mNS0_19identity_decomposerENS1_16block_id_wrapperIjLb0EEEEE10hipError_tT1_PNSt15iterator_traitsISG_E10value_typeET2_T3_PNSH_ISM_E10value_typeET4_T5_PSR_SS_PNS1_23onesweep_lookback_stateEbbT6_jjT7_P12ihipStream_tbENKUlT_T0_SG_SL_E_clISA_SA_SB_SB_EEDaSZ_S10_SG_SL_EUlSZ_E_NS1_11comp_targetILNS1_3genE10ELNS1_11target_archE1201ELNS1_3gpuE5ELNS1_3repE0EEENS1_47radix_sort_onesweep_sort_config_static_selectorELNS0_4arch9wavefront6targetE0EEEvSG_,comdat
.Lfunc_end1240:
	.size	_ZN7rocprim17ROCPRIM_400000_NS6detail17trampoline_kernelINS0_14default_configENS1_35radix_sort_onesweep_config_selectorIlNS0_10empty_typeEEEZZNS1_29radix_sort_onesweep_iterationIS3_Lb0EPKlPlPS5_SB_mNS0_19identity_decomposerENS1_16block_id_wrapperIjLb0EEEEE10hipError_tT1_PNSt15iterator_traitsISG_E10value_typeET2_T3_PNSH_ISM_E10value_typeET4_T5_PSR_SS_PNS1_23onesweep_lookback_stateEbbT6_jjT7_P12ihipStream_tbENKUlT_T0_SG_SL_E_clISA_SA_SB_SB_EEDaSZ_S10_SG_SL_EUlSZ_E_NS1_11comp_targetILNS1_3genE10ELNS1_11target_archE1201ELNS1_3gpuE5ELNS1_3repE0EEENS1_47radix_sort_onesweep_sort_config_static_selectorELNS0_4arch9wavefront6targetE0EEEvSG_, .Lfunc_end1240-_ZN7rocprim17ROCPRIM_400000_NS6detail17trampoline_kernelINS0_14default_configENS1_35radix_sort_onesweep_config_selectorIlNS0_10empty_typeEEEZZNS1_29radix_sort_onesweep_iterationIS3_Lb0EPKlPlPS5_SB_mNS0_19identity_decomposerENS1_16block_id_wrapperIjLb0EEEEE10hipError_tT1_PNSt15iterator_traitsISG_E10value_typeET2_T3_PNSH_ISM_E10value_typeET4_T5_PSR_SS_PNS1_23onesweep_lookback_stateEbbT6_jjT7_P12ihipStream_tbENKUlT_T0_SG_SL_E_clISA_SA_SB_SB_EEDaSZ_S10_SG_SL_EUlSZ_E_NS1_11comp_targetILNS1_3genE10ELNS1_11target_archE1201ELNS1_3gpuE5ELNS1_3repE0EEENS1_47radix_sort_onesweep_sort_config_static_selectorELNS0_4arch9wavefront6targetE0EEEvSG_
                                        ; -- End function
	.set _ZN7rocprim17ROCPRIM_400000_NS6detail17trampoline_kernelINS0_14default_configENS1_35radix_sort_onesweep_config_selectorIlNS0_10empty_typeEEEZZNS1_29radix_sort_onesweep_iterationIS3_Lb0EPKlPlPS5_SB_mNS0_19identity_decomposerENS1_16block_id_wrapperIjLb0EEEEE10hipError_tT1_PNSt15iterator_traitsISG_E10value_typeET2_T3_PNSH_ISM_E10value_typeET4_T5_PSR_SS_PNS1_23onesweep_lookback_stateEbbT6_jjT7_P12ihipStream_tbENKUlT_T0_SG_SL_E_clISA_SA_SB_SB_EEDaSZ_S10_SG_SL_EUlSZ_E_NS1_11comp_targetILNS1_3genE10ELNS1_11target_archE1201ELNS1_3gpuE5ELNS1_3repE0EEENS1_47radix_sort_onesweep_sort_config_static_selectorELNS0_4arch9wavefront6targetE0EEEvSG_.num_vgpr, 0
	.set _ZN7rocprim17ROCPRIM_400000_NS6detail17trampoline_kernelINS0_14default_configENS1_35radix_sort_onesweep_config_selectorIlNS0_10empty_typeEEEZZNS1_29radix_sort_onesweep_iterationIS3_Lb0EPKlPlPS5_SB_mNS0_19identity_decomposerENS1_16block_id_wrapperIjLb0EEEEE10hipError_tT1_PNSt15iterator_traitsISG_E10value_typeET2_T3_PNSH_ISM_E10value_typeET4_T5_PSR_SS_PNS1_23onesweep_lookback_stateEbbT6_jjT7_P12ihipStream_tbENKUlT_T0_SG_SL_E_clISA_SA_SB_SB_EEDaSZ_S10_SG_SL_EUlSZ_E_NS1_11comp_targetILNS1_3genE10ELNS1_11target_archE1201ELNS1_3gpuE5ELNS1_3repE0EEENS1_47radix_sort_onesweep_sort_config_static_selectorELNS0_4arch9wavefront6targetE0EEEvSG_.num_agpr, 0
	.set _ZN7rocprim17ROCPRIM_400000_NS6detail17trampoline_kernelINS0_14default_configENS1_35radix_sort_onesweep_config_selectorIlNS0_10empty_typeEEEZZNS1_29radix_sort_onesweep_iterationIS3_Lb0EPKlPlPS5_SB_mNS0_19identity_decomposerENS1_16block_id_wrapperIjLb0EEEEE10hipError_tT1_PNSt15iterator_traitsISG_E10value_typeET2_T3_PNSH_ISM_E10value_typeET4_T5_PSR_SS_PNS1_23onesweep_lookback_stateEbbT6_jjT7_P12ihipStream_tbENKUlT_T0_SG_SL_E_clISA_SA_SB_SB_EEDaSZ_S10_SG_SL_EUlSZ_E_NS1_11comp_targetILNS1_3genE10ELNS1_11target_archE1201ELNS1_3gpuE5ELNS1_3repE0EEENS1_47radix_sort_onesweep_sort_config_static_selectorELNS0_4arch9wavefront6targetE0EEEvSG_.numbered_sgpr, 0
	.set _ZN7rocprim17ROCPRIM_400000_NS6detail17trampoline_kernelINS0_14default_configENS1_35radix_sort_onesweep_config_selectorIlNS0_10empty_typeEEEZZNS1_29radix_sort_onesweep_iterationIS3_Lb0EPKlPlPS5_SB_mNS0_19identity_decomposerENS1_16block_id_wrapperIjLb0EEEEE10hipError_tT1_PNSt15iterator_traitsISG_E10value_typeET2_T3_PNSH_ISM_E10value_typeET4_T5_PSR_SS_PNS1_23onesweep_lookback_stateEbbT6_jjT7_P12ihipStream_tbENKUlT_T0_SG_SL_E_clISA_SA_SB_SB_EEDaSZ_S10_SG_SL_EUlSZ_E_NS1_11comp_targetILNS1_3genE10ELNS1_11target_archE1201ELNS1_3gpuE5ELNS1_3repE0EEENS1_47radix_sort_onesweep_sort_config_static_selectorELNS0_4arch9wavefront6targetE0EEEvSG_.num_named_barrier, 0
	.set _ZN7rocprim17ROCPRIM_400000_NS6detail17trampoline_kernelINS0_14default_configENS1_35radix_sort_onesweep_config_selectorIlNS0_10empty_typeEEEZZNS1_29radix_sort_onesweep_iterationIS3_Lb0EPKlPlPS5_SB_mNS0_19identity_decomposerENS1_16block_id_wrapperIjLb0EEEEE10hipError_tT1_PNSt15iterator_traitsISG_E10value_typeET2_T3_PNSH_ISM_E10value_typeET4_T5_PSR_SS_PNS1_23onesweep_lookback_stateEbbT6_jjT7_P12ihipStream_tbENKUlT_T0_SG_SL_E_clISA_SA_SB_SB_EEDaSZ_S10_SG_SL_EUlSZ_E_NS1_11comp_targetILNS1_3genE10ELNS1_11target_archE1201ELNS1_3gpuE5ELNS1_3repE0EEENS1_47radix_sort_onesweep_sort_config_static_selectorELNS0_4arch9wavefront6targetE0EEEvSG_.private_seg_size, 0
	.set _ZN7rocprim17ROCPRIM_400000_NS6detail17trampoline_kernelINS0_14default_configENS1_35radix_sort_onesweep_config_selectorIlNS0_10empty_typeEEEZZNS1_29radix_sort_onesweep_iterationIS3_Lb0EPKlPlPS5_SB_mNS0_19identity_decomposerENS1_16block_id_wrapperIjLb0EEEEE10hipError_tT1_PNSt15iterator_traitsISG_E10value_typeET2_T3_PNSH_ISM_E10value_typeET4_T5_PSR_SS_PNS1_23onesweep_lookback_stateEbbT6_jjT7_P12ihipStream_tbENKUlT_T0_SG_SL_E_clISA_SA_SB_SB_EEDaSZ_S10_SG_SL_EUlSZ_E_NS1_11comp_targetILNS1_3genE10ELNS1_11target_archE1201ELNS1_3gpuE5ELNS1_3repE0EEENS1_47radix_sort_onesweep_sort_config_static_selectorELNS0_4arch9wavefront6targetE0EEEvSG_.uses_vcc, 0
	.set _ZN7rocprim17ROCPRIM_400000_NS6detail17trampoline_kernelINS0_14default_configENS1_35radix_sort_onesweep_config_selectorIlNS0_10empty_typeEEEZZNS1_29radix_sort_onesweep_iterationIS3_Lb0EPKlPlPS5_SB_mNS0_19identity_decomposerENS1_16block_id_wrapperIjLb0EEEEE10hipError_tT1_PNSt15iterator_traitsISG_E10value_typeET2_T3_PNSH_ISM_E10value_typeET4_T5_PSR_SS_PNS1_23onesweep_lookback_stateEbbT6_jjT7_P12ihipStream_tbENKUlT_T0_SG_SL_E_clISA_SA_SB_SB_EEDaSZ_S10_SG_SL_EUlSZ_E_NS1_11comp_targetILNS1_3genE10ELNS1_11target_archE1201ELNS1_3gpuE5ELNS1_3repE0EEENS1_47radix_sort_onesweep_sort_config_static_selectorELNS0_4arch9wavefront6targetE0EEEvSG_.uses_flat_scratch, 0
	.set _ZN7rocprim17ROCPRIM_400000_NS6detail17trampoline_kernelINS0_14default_configENS1_35radix_sort_onesweep_config_selectorIlNS0_10empty_typeEEEZZNS1_29radix_sort_onesweep_iterationIS3_Lb0EPKlPlPS5_SB_mNS0_19identity_decomposerENS1_16block_id_wrapperIjLb0EEEEE10hipError_tT1_PNSt15iterator_traitsISG_E10value_typeET2_T3_PNSH_ISM_E10value_typeET4_T5_PSR_SS_PNS1_23onesweep_lookback_stateEbbT6_jjT7_P12ihipStream_tbENKUlT_T0_SG_SL_E_clISA_SA_SB_SB_EEDaSZ_S10_SG_SL_EUlSZ_E_NS1_11comp_targetILNS1_3genE10ELNS1_11target_archE1201ELNS1_3gpuE5ELNS1_3repE0EEENS1_47radix_sort_onesweep_sort_config_static_selectorELNS0_4arch9wavefront6targetE0EEEvSG_.has_dyn_sized_stack, 0
	.set _ZN7rocprim17ROCPRIM_400000_NS6detail17trampoline_kernelINS0_14default_configENS1_35radix_sort_onesweep_config_selectorIlNS0_10empty_typeEEEZZNS1_29radix_sort_onesweep_iterationIS3_Lb0EPKlPlPS5_SB_mNS0_19identity_decomposerENS1_16block_id_wrapperIjLb0EEEEE10hipError_tT1_PNSt15iterator_traitsISG_E10value_typeET2_T3_PNSH_ISM_E10value_typeET4_T5_PSR_SS_PNS1_23onesweep_lookback_stateEbbT6_jjT7_P12ihipStream_tbENKUlT_T0_SG_SL_E_clISA_SA_SB_SB_EEDaSZ_S10_SG_SL_EUlSZ_E_NS1_11comp_targetILNS1_3genE10ELNS1_11target_archE1201ELNS1_3gpuE5ELNS1_3repE0EEENS1_47radix_sort_onesweep_sort_config_static_selectorELNS0_4arch9wavefront6targetE0EEEvSG_.has_recursion, 0
	.set _ZN7rocprim17ROCPRIM_400000_NS6detail17trampoline_kernelINS0_14default_configENS1_35radix_sort_onesweep_config_selectorIlNS0_10empty_typeEEEZZNS1_29radix_sort_onesweep_iterationIS3_Lb0EPKlPlPS5_SB_mNS0_19identity_decomposerENS1_16block_id_wrapperIjLb0EEEEE10hipError_tT1_PNSt15iterator_traitsISG_E10value_typeET2_T3_PNSH_ISM_E10value_typeET4_T5_PSR_SS_PNS1_23onesweep_lookback_stateEbbT6_jjT7_P12ihipStream_tbENKUlT_T0_SG_SL_E_clISA_SA_SB_SB_EEDaSZ_S10_SG_SL_EUlSZ_E_NS1_11comp_targetILNS1_3genE10ELNS1_11target_archE1201ELNS1_3gpuE5ELNS1_3repE0EEENS1_47radix_sort_onesweep_sort_config_static_selectorELNS0_4arch9wavefront6targetE0EEEvSG_.has_indirect_call, 0
	.section	.AMDGPU.csdata,"",@progbits
; Kernel info:
; codeLenInByte = 0
; TotalNumSgprs: 0
; NumVgprs: 0
; ScratchSize: 0
; MemoryBound: 0
; FloatMode: 240
; IeeeMode: 1
; LDSByteSize: 0 bytes/workgroup (compile time only)
; SGPRBlocks: 0
; VGPRBlocks: 0
; NumSGPRsForWavesPerEU: 1
; NumVGPRsForWavesPerEU: 1
; NamedBarCnt: 0
; Occupancy: 16
; WaveLimiterHint : 0
; COMPUTE_PGM_RSRC2:SCRATCH_EN: 0
; COMPUTE_PGM_RSRC2:USER_SGPR: 2
; COMPUTE_PGM_RSRC2:TRAP_HANDLER: 0
; COMPUTE_PGM_RSRC2:TGID_X_EN: 1
; COMPUTE_PGM_RSRC2:TGID_Y_EN: 0
; COMPUTE_PGM_RSRC2:TGID_Z_EN: 0
; COMPUTE_PGM_RSRC2:TIDIG_COMP_CNT: 0
	.section	.text._ZN7rocprim17ROCPRIM_400000_NS6detail17trampoline_kernelINS0_14default_configENS1_35radix_sort_onesweep_config_selectorIlNS0_10empty_typeEEEZZNS1_29radix_sort_onesweep_iterationIS3_Lb0EPKlPlPS5_SB_mNS0_19identity_decomposerENS1_16block_id_wrapperIjLb0EEEEE10hipError_tT1_PNSt15iterator_traitsISG_E10value_typeET2_T3_PNSH_ISM_E10value_typeET4_T5_PSR_SS_PNS1_23onesweep_lookback_stateEbbT6_jjT7_P12ihipStream_tbENKUlT_T0_SG_SL_E_clISA_SA_SB_SB_EEDaSZ_S10_SG_SL_EUlSZ_E_NS1_11comp_targetILNS1_3genE9ELNS1_11target_archE1100ELNS1_3gpuE3ELNS1_3repE0EEENS1_47radix_sort_onesweep_sort_config_static_selectorELNS0_4arch9wavefront6targetE0EEEvSG_,"axG",@progbits,_ZN7rocprim17ROCPRIM_400000_NS6detail17trampoline_kernelINS0_14default_configENS1_35radix_sort_onesweep_config_selectorIlNS0_10empty_typeEEEZZNS1_29radix_sort_onesweep_iterationIS3_Lb0EPKlPlPS5_SB_mNS0_19identity_decomposerENS1_16block_id_wrapperIjLb0EEEEE10hipError_tT1_PNSt15iterator_traitsISG_E10value_typeET2_T3_PNSH_ISM_E10value_typeET4_T5_PSR_SS_PNS1_23onesweep_lookback_stateEbbT6_jjT7_P12ihipStream_tbENKUlT_T0_SG_SL_E_clISA_SA_SB_SB_EEDaSZ_S10_SG_SL_EUlSZ_E_NS1_11comp_targetILNS1_3genE9ELNS1_11target_archE1100ELNS1_3gpuE3ELNS1_3repE0EEENS1_47radix_sort_onesweep_sort_config_static_selectorELNS0_4arch9wavefront6targetE0EEEvSG_,comdat
	.protected	_ZN7rocprim17ROCPRIM_400000_NS6detail17trampoline_kernelINS0_14default_configENS1_35radix_sort_onesweep_config_selectorIlNS0_10empty_typeEEEZZNS1_29radix_sort_onesweep_iterationIS3_Lb0EPKlPlPS5_SB_mNS0_19identity_decomposerENS1_16block_id_wrapperIjLb0EEEEE10hipError_tT1_PNSt15iterator_traitsISG_E10value_typeET2_T3_PNSH_ISM_E10value_typeET4_T5_PSR_SS_PNS1_23onesweep_lookback_stateEbbT6_jjT7_P12ihipStream_tbENKUlT_T0_SG_SL_E_clISA_SA_SB_SB_EEDaSZ_S10_SG_SL_EUlSZ_E_NS1_11comp_targetILNS1_3genE9ELNS1_11target_archE1100ELNS1_3gpuE3ELNS1_3repE0EEENS1_47radix_sort_onesweep_sort_config_static_selectorELNS0_4arch9wavefront6targetE0EEEvSG_ ; -- Begin function _ZN7rocprim17ROCPRIM_400000_NS6detail17trampoline_kernelINS0_14default_configENS1_35radix_sort_onesweep_config_selectorIlNS0_10empty_typeEEEZZNS1_29radix_sort_onesweep_iterationIS3_Lb0EPKlPlPS5_SB_mNS0_19identity_decomposerENS1_16block_id_wrapperIjLb0EEEEE10hipError_tT1_PNSt15iterator_traitsISG_E10value_typeET2_T3_PNSH_ISM_E10value_typeET4_T5_PSR_SS_PNS1_23onesweep_lookback_stateEbbT6_jjT7_P12ihipStream_tbENKUlT_T0_SG_SL_E_clISA_SA_SB_SB_EEDaSZ_S10_SG_SL_EUlSZ_E_NS1_11comp_targetILNS1_3genE9ELNS1_11target_archE1100ELNS1_3gpuE3ELNS1_3repE0EEENS1_47radix_sort_onesweep_sort_config_static_selectorELNS0_4arch9wavefront6targetE0EEEvSG_
	.globl	_ZN7rocprim17ROCPRIM_400000_NS6detail17trampoline_kernelINS0_14default_configENS1_35radix_sort_onesweep_config_selectorIlNS0_10empty_typeEEEZZNS1_29radix_sort_onesweep_iterationIS3_Lb0EPKlPlPS5_SB_mNS0_19identity_decomposerENS1_16block_id_wrapperIjLb0EEEEE10hipError_tT1_PNSt15iterator_traitsISG_E10value_typeET2_T3_PNSH_ISM_E10value_typeET4_T5_PSR_SS_PNS1_23onesweep_lookback_stateEbbT6_jjT7_P12ihipStream_tbENKUlT_T0_SG_SL_E_clISA_SA_SB_SB_EEDaSZ_S10_SG_SL_EUlSZ_E_NS1_11comp_targetILNS1_3genE9ELNS1_11target_archE1100ELNS1_3gpuE3ELNS1_3repE0EEENS1_47radix_sort_onesweep_sort_config_static_selectorELNS0_4arch9wavefront6targetE0EEEvSG_
	.p2align	8
	.type	_ZN7rocprim17ROCPRIM_400000_NS6detail17trampoline_kernelINS0_14default_configENS1_35radix_sort_onesweep_config_selectorIlNS0_10empty_typeEEEZZNS1_29radix_sort_onesweep_iterationIS3_Lb0EPKlPlPS5_SB_mNS0_19identity_decomposerENS1_16block_id_wrapperIjLb0EEEEE10hipError_tT1_PNSt15iterator_traitsISG_E10value_typeET2_T3_PNSH_ISM_E10value_typeET4_T5_PSR_SS_PNS1_23onesweep_lookback_stateEbbT6_jjT7_P12ihipStream_tbENKUlT_T0_SG_SL_E_clISA_SA_SB_SB_EEDaSZ_S10_SG_SL_EUlSZ_E_NS1_11comp_targetILNS1_3genE9ELNS1_11target_archE1100ELNS1_3gpuE3ELNS1_3repE0EEENS1_47radix_sort_onesweep_sort_config_static_selectorELNS0_4arch9wavefront6targetE0EEEvSG_,@function
_ZN7rocprim17ROCPRIM_400000_NS6detail17trampoline_kernelINS0_14default_configENS1_35radix_sort_onesweep_config_selectorIlNS0_10empty_typeEEEZZNS1_29radix_sort_onesweep_iterationIS3_Lb0EPKlPlPS5_SB_mNS0_19identity_decomposerENS1_16block_id_wrapperIjLb0EEEEE10hipError_tT1_PNSt15iterator_traitsISG_E10value_typeET2_T3_PNSH_ISM_E10value_typeET4_T5_PSR_SS_PNS1_23onesweep_lookback_stateEbbT6_jjT7_P12ihipStream_tbENKUlT_T0_SG_SL_E_clISA_SA_SB_SB_EEDaSZ_S10_SG_SL_EUlSZ_E_NS1_11comp_targetILNS1_3genE9ELNS1_11target_archE1100ELNS1_3gpuE3ELNS1_3repE0EEENS1_47radix_sort_onesweep_sort_config_static_selectorELNS0_4arch9wavefront6targetE0EEEvSG_: ; @_ZN7rocprim17ROCPRIM_400000_NS6detail17trampoline_kernelINS0_14default_configENS1_35radix_sort_onesweep_config_selectorIlNS0_10empty_typeEEEZZNS1_29radix_sort_onesweep_iterationIS3_Lb0EPKlPlPS5_SB_mNS0_19identity_decomposerENS1_16block_id_wrapperIjLb0EEEEE10hipError_tT1_PNSt15iterator_traitsISG_E10value_typeET2_T3_PNSH_ISM_E10value_typeET4_T5_PSR_SS_PNS1_23onesweep_lookback_stateEbbT6_jjT7_P12ihipStream_tbENKUlT_T0_SG_SL_E_clISA_SA_SB_SB_EEDaSZ_S10_SG_SL_EUlSZ_E_NS1_11comp_targetILNS1_3genE9ELNS1_11target_archE1100ELNS1_3gpuE3ELNS1_3repE0EEENS1_47radix_sort_onesweep_sort_config_static_selectorELNS0_4arch9wavefront6targetE0EEEvSG_
; %bb.0:
	.section	.rodata,"a",@progbits
	.p2align	6, 0x0
	.amdhsa_kernel _ZN7rocprim17ROCPRIM_400000_NS6detail17trampoline_kernelINS0_14default_configENS1_35radix_sort_onesweep_config_selectorIlNS0_10empty_typeEEEZZNS1_29radix_sort_onesweep_iterationIS3_Lb0EPKlPlPS5_SB_mNS0_19identity_decomposerENS1_16block_id_wrapperIjLb0EEEEE10hipError_tT1_PNSt15iterator_traitsISG_E10value_typeET2_T3_PNSH_ISM_E10value_typeET4_T5_PSR_SS_PNS1_23onesweep_lookback_stateEbbT6_jjT7_P12ihipStream_tbENKUlT_T0_SG_SL_E_clISA_SA_SB_SB_EEDaSZ_S10_SG_SL_EUlSZ_E_NS1_11comp_targetILNS1_3genE9ELNS1_11target_archE1100ELNS1_3gpuE3ELNS1_3repE0EEENS1_47radix_sort_onesweep_sort_config_static_selectorELNS0_4arch9wavefront6targetE0EEEvSG_
		.amdhsa_group_segment_fixed_size 0
		.amdhsa_private_segment_fixed_size 0
		.amdhsa_kernarg_size 88
		.amdhsa_user_sgpr_count 2
		.amdhsa_user_sgpr_dispatch_ptr 0
		.amdhsa_user_sgpr_queue_ptr 0
		.amdhsa_user_sgpr_kernarg_segment_ptr 1
		.amdhsa_user_sgpr_dispatch_id 0
		.amdhsa_user_sgpr_kernarg_preload_length 0
		.amdhsa_user_sgpr_kernarg_preload_offset 0
		.amdhsa_user_sgpr_private_segment_size 0
		.amdhsa_wavefront_size32 1
		.amdhsa_uses_dynamic_stack 0
		.amdhsa_enable_private_segment 0
		.amdhsa_system_sgpr_workgroup_id_x 1
		.amdhsa_system_sgpr_workgroup_id_y 0
		.amdhsa_system_sgpr_workgroup_id_z 0
		.amdhsa_system_sgpr_workgroup_info 0
		.amdhsa_system_vgpr_workitem_id 0
		.amdhsa_next_free_vgpr 1
		.amdhsa_next_free_sgpr 1
		.amdhsa_named_barrier_count 0
		.amdhsa_reserve_vcc 0
		.amdhsa_float_round_mode_32 0
		.amdhsa_float_round_mode_16_64 0
		.amdhsa_float_denorm_mode_32 3
		.amdhsa_float_denorm_mode_16_64 3
		.amdhsa_fp16_overflow 0
		.amdhsa_memory_ordered 1
		.amdhsa_forward_progress 1
		.amdhsa_inst_pref_size 0
		.amdhsa_round_robin_scheduling 0
		.amdhsa_exception_fp_ieee_invalid_op 0
		.amdhsa_exception_fp_denorm_src 0
		.amdhsa_exception_fp_ieee_div_zero 0
		.amdhsa_exception_fp_ieee_overflow 0
		.amdhsa_exception_fp_ieee_underflow 0
		.amdhsa_exception_fp_ieee_inexact 0
		.amdhsa_exception_int_div_zero 0
	.end_amdhsa_kernel
	.section	.text._ZN7rocprim17ROCPRIM_400000_NS6detail17trampoline_kernelINS0_14default_configENS1_35radix_sort_onesweep_config_selectorIlNS0_10empty_typeEEEZZNS1_29radix_sort_onesweep_iterationIS3_Lb0EPKlPlPS5_SB_mNS0_19identity_decomposerENS1_16block_id_wrapperIjLb0EEEEE10hipError_tT1_PNSt15iterator_traitsISG_E10value_typeET2_T3_PNSH_ISM_E10value_typeET4_T5_PSR_SS_PNS1_23onesweep_lookback_stateEbbT6_jjT7_P12ihipStream_tbENKUlT_T0_SG_SL_E_clISA_SA_SB_SB_EEDaSZ_S10_SG_SL_EUlSZ_E_NS1_11comp_targetILNS1_3genE9ELNS1_11target_archE1100ELNS1_3gpuE3ELNS1_3repE0EEENS1_47radix_sort_onesweep_sort_config_static_selectorELNS0_4arch9wavefront6targetE0EEEvSG_,"axG",@progbits,_ZN7rocprim17ROCPRIM_400000_NS6detail17trampoline_kernelINS0_14default_configENS1_35radix_sort_onesweep_config_selectorIlNS0_10empty_typeEEEZZNS1_29radix_sort_onesweep_iterationIS3_Lb0EPKlPlPS5_SB_mNS0_19identity_decomposerENS1_16block_id_wrapperIjLb0EEEEE10hipError_tT1_PNSt15iterator_traitsISG_E10value_typeET2_T3_PNSH_ISM_E10value_typeET4_T5_PSR_SS_PNS1_23onesweep_lookback_stateEbbT6_jjT7_P12ihipStream_tbENKUlT_T0_SG_SL_E_clISA_SA_SB_SB_EEDaSZ_S10_SG_SL_EUlSZ_E_NS1_11comp_targetILNS1_3genE9ELNS1_11target_archE1100ELNS1_3gpuE3ELNS1_3repE0EEENS1_47radix_sort_onesweep_sort_config_static_selectorELNS0_4arch9wavefront6targetE0EEEvSG_,comdat
.Lfunc_end1241:
	.size	_ZN7rocprim17ROCPRIM_400000_NS6detail17trampoline_kernelINS0_14default_configENS1_35radix_sort_onesweep_config_selectorIlNS0_10empty_typeEEEZZNS1_29radix_sort_onesweep_iterationIS3_Lb0EPKlPlPS5_SB_mNS0_19identity_decomposerENS1_16block_id_wrapperIjLb0EEEEE10hipError_tT1_PNSt15iterator_traitsISG_E10value_typeET2_T3_PNSH_ISM_E10value_typeET4_T5_PSR_SS_PNS1_23onesweep_lookback_stateEbbT6_jjT7_P12ihipStream_tbENKUlT_T0_SG_SL_E_clISA_SA_SB_SB_EEDaSZ_S10_SG_SL_EUlSZ_E_NS1_11comp_targetILNS1_3genE9ELNS1_11target_archE1100ELNS1_3gpuE3ELNS1_3repE0EEENS1_47radix_sort_onesweep_sort_config_static_selectorELNS0_4arch9wavefront6targetE0EEEvSG_, .Lfunc_end1241-_ZN7rocprim17ROCPRIM_400000_NS6detail17trampoline_kernelINS0_14default_configENS1_35radix_sort_onesweep_config_selectorIlNS0_10empty_typeEEEZZNS1_29radix_sort_onesweep_iterationIS3_Lb0EPKlPlPS5_SB_mNS0_19identity_decomposerENS1_16block_id_wrapperIjLb0EEEEE10hipError_tT1_PNSt15iterator_traitsISG_E10value_typeET2_T3_PNSH_ISM_E10value_typeET4_T5_PSR_SS_PNS1_23onesweep_lookback_stateEbbT6_jjT7_P12ihipStream_tbENKUlT_T0_SG_SL_E_clISA_SA_SB_SB_EEDaSZ_S10_SG_SL_EUlSZ_E_NS1_11comp_targetILNS1_3genE9ELNS1_11target_archE1100ELNS1_3gpuE3ELNS1_3repE0EEENS1_47radix_sort_onesweep_sort_config_static_selectorELNS0_4arch9wavefront6targetE0EEEvSG_
                                        ; -- End function
	.set _ZN7rocprim17ROCPRIM_400000_NS6detail17trampoline_kernelINS0_14default_configENS1_35radix_sort_onesweep_config_selectorIlNS0_10empty_typeEEEZZNS1_29radix_sort_onesweep_iterationIS3_Lb0EPKlPlPS5_SB_mNS0_19identity_decomposerENS1_16block_id_wrapperIjLb0EEEEE10hipError_tT1_PNSt15iterator_traitsISG_E10value_typeET2_T3_PNSH_ISM_E10value_typeET4_T5_PSR_SS_PNS1_23onesweep_lookback_stateEbbT6_jjT7_P12ihipStream_tbENKUlT_T0_SG_SL_E_clISA_SA_SB_SB_EEDaSZ_S10_SG_SL_EUlSZ_E_NS1_11comp_targetILNS1_3genE9ELNS1_11target_archE1100ELNS1_3gpuE3ELNS1_3repE0EEENS1_47radix_sort_onesweep_sort_config_static_selectorELNS0_4arch9wavefront6targetE0EEEvSG_.num_vgpr, 0
	.set _ZN7rocprim17ROCPRIM_400000_NS6detail17trampoline_kernelINS0_14default_configENS1_35radix_sort_onesweep_config_selectorIlNS0_10empty_typeEEEZZNS1_29radix_sort_onesweep_iterationIS3_Lb0EPKlPlPS5_SB_mNS0_19identity_decomposerENS1_16block_id_wrapperIjLb0EEEEE10hipError_tT1_PNSt15iterator_traitsISG_E10value_typeET2_T3_PNSH_ISM_E10value_typeET4_T5_PSR_SS_PNS1_23onesweep_lookback_stateEbbT6_jjT7_P12ihipStream_tbENKUlT_T0_SG_SL_E_clISA_SA_SB_SB_EEDaSZ_S10_SG_SL_EUlSZ_E_NS1_11comp_targetILNS1_3genE9ELNS1_11target_archE1100ELNS1_3gpuE3ELNS1_3repE0EEENS1_47radix_sort_onesweep_sort_config_static_selectorELNS0_4arch9wavefront6targetE0EEEvSG_.num_agpr, 0
	.set _ZN7rocprim17ROCPRIM_400000_NS6detail17trampoline_kernelINS0_14default_configENS1_35radix_sort_onesweep_config_selectorIlNS0_10empty_typeEEEZZNS1_29radix_sort_onesweep_iterationIS3_Lb0EPKlPlPS5_SB_mNS0_19identity_decomposerENS1_16block_id_wrapperIjLb0EEEEE10hipError_tT1_PNSt15iterator_traitsISG_E10value_typeET2_T3_PNSH_ISM_E10value_typeET4_T5_PSR_SS_PNS1_23onesweep_lookback_stateEbbT6_jjT7_P12ihipStream_tbENKUlT_T0_SG_SL_E_clISA_SA_SB_SB_EEDaSZ_S10_SG_SL_EUlSZ_E_NS1_11comp_targetILNS1_3genE9ELNS1_11target_archE1100ELNS1_3gpuE3ELNS1_3repE0EEENS1_47radix_sort_onesweep_sort_config_static_selectorELNS0_4arch9wavefront6targetE0EEEvSG_.numbered_sgpr, 0
	.set _ZN7rocprim17ROCPRIM_400000_NS6detail17trampoline_kernelINS0_14default_configENS1_35radix_sort_onesweep_config_selectorIlNS0_10empty_typeEEEZZNS1_29radix_sort_onesweep_iterationIS3_Lb0EPKlPlPS5_SB_mNS0_19identity_decomposerENS1_16block_id_wrapperIjLb0EEEEE10hipError_tT1_PNSt15iterator_traitsISG_E10value_typeET2_T3_PNSH_ISM_E10value_typeET4_T5_PSR_SS_PNS1_23onesweep_lookback_stateEbbT6_jjT7_P12ihipStream_tbENKUlT_T0_SG_SL_E_clISA_SA_SB_SB_EEDaSZ_S10_SG_SL_EUlSZ_E_NS1_11comp_targetILNS1_3genE9ELNS1_11target_archE1100ELNS1_3gpuE3ELNS1_3repE0EEENS1_47radix_sort_onesweep_sort_config_static_selectorELNS0_4arch9wavefront6targetE0EEEvSG_.num_named_barrier, 0
	.set _ZN7rocprim17ROCPRIM_400000_NS6detail17trampoline_kernelINS0_14default_configENS1_35radix_sort_onesweep_config_selectorIlNS0_10empty_typeEEEZZNS1_29radix_sort_onesweep_iterationIS3_Lb0EPKlPlPS5_SB_mNS0_19identity_decomposerENS1_16block_id_wrapperIjLb0EEEEE10hipError_tT1_PNSt15iterator_traitsISG_E10value_typeET2_T3_PNSH_ISM_E10value_typeET4_T5_PSR_SS_PNS1_23onesweep_lookback_stateEbbT6_jjT7_P12ihipStream_tbENKUlT_T0_SG_SL_E_clISA_SA_SB_SB_EEDaSZ_S10_SG_SL_EUlSZ_E_NS1_11comp_targetILNS1_3genE9ELNS1_11target_archE1100ELNS1_3gpuE3ELNS1_3repE0EEENS1_47radix_sort_onesweep_sort_config_static_selectorELNS0_4arch9wavefront6targetE0EEEvSG_.private_seg_size, 0
	.set _ZN7rocprim17ROCPRIM_400000_NS6detail17trampoline_kernelINS0_14default_configENS1_35radix_sort_onesweep_config_selectorIlNS0_10empty_typeEEEZZNS1_29radix_sort_onesweep_iterationIS3_Lb0EPKlPlPS5_SB_mNS0_19identity_decomposerENS1_16block_id_wrapperIjLb0EEEEE10hipError_tT1_PNSt15iterator_traitsISG_E10value_typeET2_T3_PNSH_ISM_E10value_typeET4_T5_PSR_SS_PNS1_23onesweep_lookback_stateEbbT6_jjT7_P12ihipStream_tbENKUlT_T0_SG_SL_E_clISA_SA_SB_SB_EEDaSZ_S10_SG_SL_EUlSZ_E_NS1_11comp_targetILNS1_3genE9ELNS1_11target_archE1100ELNS1_3gpuE3ELNS1_3repE0EEENS1_47radix_sort_onesweep_sort_config_static_selectorELNS0_4arch9wavefront6targetE0EEEvSG_.uses_vcc, 0
	.set _ZN7rocprim17ROCPRIM_400000_NS6detail17trampoline_kernelINS0_14default_configENS1_35radix_sort_onesweep_config_selectorIlNS0_10empty_typeEEEZZNS1_29radix_sort_onesweep_iterationIS3_Lb0EPKlPlPS5_SB_mNS0_19identity_decomposerENS1_16block_id_wrapperIjLb0EEEEE10hipError_tT1_PNSt15iterator_traitsISG_E10value_typeET2_T3_PNSH_ISM_E10value_typeET4_T5_PSR_SS_PNS1_23onesweep_lookback_stateEbbT6_jjT7_P12ihipStream_tbENKUlT_T0_SG_SL_E_clISA_SA_SB_SB_EEDaSZ_S10_SG_SL_EUlSZ_E_NS1_11comp_targetILNS1_3genE9ELNS1_11target_archE1100ELNS1_3gpuE3ELNS1_3repE0EEENS1_47radix_sort_onesweep_sort_config_static_selectorELNS0_4arch9wavefront6targetE0EEEvSG_.uses_flat_scratch, 0
	.set _ZN7rocprim17ROCPRIM_400000_NS6detail17trampoline_kernelINS0_14default_configENS1_35radix_sort_onesweep_config_selectorIlNS0_10empty_typeEEEZZNS1_29radix_sort_onesweep_iterationIS3_Lb0EPKlPlPS5_SB_mNS0_19identity_decomposerENS1_16block_id_wrapperIjLb0EEEEE10hipError_tT1_PNSt15iterator_traitsISG_E10value_typeET2_T3_PNSH_ISM_E10value_typeET4_T5_PSR_SS_PNS1_23onesweep_lookback_stateEbbT6_jjT7_P12ihipStream_tbENKUlT_T0_SG_SL_E_clISA_SA_SB_SB_EEDaSZ_S10_SG_SL_EUlSZ_E_NS1_11comp_targetILNS1_3genE9ELNS1_11target_archE1100ELNS1_3gpuE3ELNS1_3repE0EEENS1_47radix_sort_onesweep_sort_config_static_selectorELNS0_4arch9wavefront6targetE0EEEvSG_.has_dyn_sized_stack, 0
	.set _ZN7rocprim17ROCPRIM_400000_NS6detail17trampoline_kernelINS0_14default_configENS1_35radix_sort_onesweep_config_selectorIlNS0_10empty_typeEEEZZNS1_29radix_sort_onesweep_iterationIS3_Lb0EPKlPlPS5_SB_mNS0_19identity_decomposerENS1_16block_id_wrapperIjLb0EEEEE10hipError_tT1_PNSt15iterator_traitsISG_E10value_typeET2_T3_PNSH_ISM_E10value_typeET4_T5_PSR_SS_PNS1_23onesweep_lookback_stateEbbT6_jjT7_P12ihipStream_tbENKUlT_T0_SG_SL_E_clISA_SA_SB_SB_EEDaSZ_S10_SG_SL_EUlSZ_E_NS1_11comp_targetILNS1_3genE9ELNS1_11target_archE1100ELNS1_3gpuE3ELNS1_3repE0EEENS1_47radix_sort_onesweep_sort_config_static_selectorELNS0_4arch9wavefront6targetE0EEEvSG_.has_recursion, 0
	.set _ZN7rocprim17ROCPRIM_400000_NS6detail17trampoline_kernelINS0_14default_configENS1_35radix_sort_onesweep_config_selectorIlNS0_10empty_typeEEEZZNS1_29radix_sort_onesweep_iterationIS3_Lb0EPKlPlPS5_SB_mNS0_19identity_decomposerENS1_16block_id_wrapperIjLb0EEEEE10hipError_tT1_PNSt15iterator_traitsISG_E10value_typeET2_T3_PNSH_ISM_E10value_typeET4_T5_PSR_SS_PNS1_23onesweep_lookback_stateEbbT6_jjT7_P12ihipStream_tbENKUlT_T0_SG_SL_E_clISA_SA_SB_SB_EEDaSZ_S10_SG_SL_EUlSZ_E_NS1_11comp_targetILNS1_3genE9ELNS1_11target_archE1100ELNS1_3gpuE3ELNS1_3repE0EEENS1_47radix_sort_onesweep_sort_config_static_selectorELNS0_4arch9wavefront6targetE0EEEvSG_.has_indirect_call, 0
	.section	.AMDGPU.csdata,"",@progbits
; Kernel info:
; codeLenInByte = 0
; TotalNumSgprs: 0
; NumVgprs: 0
; ScratchSize: 0
; MemoryBound: 0
; FloatMode: 240
; IeeeMode: 1
; LDSByteSize: 0 bytes/workgroup (compile time only)
; SGPRBlocks: 0
; VGPRBlocks: 0
; NumSGPRsForWavesPerEU: 1
; NumVGPRsForWavesPerEU: 1
; NamedBarCnt: 0
; Occupancy: 16
; WaveLimiterHint : 0
; COMPUTE_PGM_RSRC2:SCRATCH_EN: 0
; COMPUTE_PGM_RSRC2:USER_SGPR: 2
; COMPUTE_PGM_RSRC2:TRAP_HANDLER: 0
; COMPUTE_PGM_RSRC2:TGID_X_EN: 1
; COMPUTE_PGM_RSRC2:TGID_Y_EN: 0
; COMPUTE_PGM_RSRC2:TGID_Z_EN: 0
; COMPUTE_PGM_RSRC2:TIDIG_COMP_CNT: 0
	.section	.text._ZN7rocprim17ROCPRIM_400000_NS6detail17trampoline_kernelINS0_14default_configENS1_35radix_sort_onesweep_config_selectorIlNS0_10empty_typeEEEZZNS1_29radix_sort_onesweep_iterationIS3_Lb0EPKlPlPS5_SB_mNS0_19identity_decomposerENS1_16block_id_wrapperIjLb0EEEEE10hipError_tT1_PNSt15iterator_traitsISG_E10value_typeET2_T3_PNSH_ISM_E10value_typeET4_T5_PSR_SS_PNS1_23onesweep_lookback_stateEbbT6_jjT7_P12ihipStream_tbENKUlT_T0_SG_SL_E_clISA_SA_SB_SB_EEDaSZ_S10_SG_SL_EUlSZ_E_NS1_11comp_targetILNS1_3genE8ELNS1_11target_archE1030ELNS1_3gpuE2ELNS1_3repE0EEENS1_47radix_sort_onesweep_sort_config_static_selectorELNS0_4arch9wavefront6targetE0EEEvSG_,"axG",@progbits,_ZN7rocprim17ROCPRIM_400000_NS6detail17trampoline_kernelINS0_14default_configENS1_35radix_sort_onesweep_config_selectorIlNS0_10empty_typeEEEZZNS1_29radix_sort_onesweep_iterationIS3_Lb0EPKlPlPS5_SB_mNS0_19identity_decomposerENS1_16block_id_wrapperIjLb0EEEEE10hipError_tT1_PNSt15iterator_traitsISG_E10value_typeET2_T3_PNSH_ISM_E10value_typeET4_T5_PSR_SS_PNS1_23onesweep_lookback_stateEbbT6_jjT7_P12ihipStream_tbENKUlT_T0_SG_SL_E_clISA_SA_SB_SB_EEDaSZ_S10_SG_SL_EUlSZ_E_NS1_11comp_targetILNS1_3genE8ELNS1_11target_archE1030ELNS1_3gpuE2ELNS1_3repE0EEENS1_47radix_sort_onesweep_sort_config_static_selectorELNS0_4arch9wavefront6targetE0EEEvSG_,comdat
	.protected	_ZN7rocprim17ROCPRIM_400000_NS6detail17trampoline_kernelINS0_14default_configENS1_35radix_sort_onesweep_config_selectorIlNS0_10empty_typeEEEZZNS1_29radix_sort_onesweep_iterationIS3_Lb0EPKlPlPS5_SB_mNS0_19identity_decomposerENS1_16block_id_wrapperIjLb0EEEEE10hipError_tT1_PNSt15iterator_traitsISG_E10value_typeET2_T3_PNSH_ISM_E10value_typeET4_T5_PSR_SS_PNS1_23onesweep_lookback_stateEbbT6_jjT7_P12ihipStream_tbENKUlT_T0_SG_SL_E_clISA_SA_SB_SB_EEDaSZ_S10_SG_SL_EUlSZ_E_NS1_11comp_targetILNS1_3genE8ELNS1_11target_archE1030ELNS1_3gpuE2ELNS1_3repE0EEENS1_47radix_sort_onesweep_sort_config_static_selectorELNS0_4arch9wavefront6targetE0EEEvSG_ ; -- Begin function _ZN7rocprim17ROCPRIM_400000_NS6detail17trampoline_kernelINS0_14default_configENS1_35radix_sort_onesweep_config_selectorIlNS0_10empty_typeEEEZZNS1_29radix_sort_onesweep_iterationIS3_Lb0EPKlPlPS5_SB_mNS0_19identity_decomposerENS1_16block_id_wrapperIjLb0EEEEE10hipError_tT1_PNSt15iterator_traitsISG_E10value_typeET2_T3_PNSH_ISM_E10value_typeET4_T5_PSR_SS_PNS1_23onesweep_lookback_stateEbbT6_jjT7_P12ihipStream_tbENKUlT_T0_SG_SL_E_clISA_SA_SB_SB_EEDaSZ_S10_SG_SL_EUlSZ_E_NS1_11comp_targetILNS1_3genE8ELNS1_11target_archE1030ELNS1_3gpuE2ELNS1_3repE0EEENS1_47radix_sort_onesweep_sort_config_static_selectorELNS0_4arch9wavefront6targetE0EEEvSG_
	.globl	_ZN7rocprim17ROCPRIM_400000_NS6detail17trampoline_kernelINS0_14default_configENS1_35radix_sort_onesweep_config_selectorIlNS0_10empty_typeEEEZZNS1_29radix_sort_onesweep_iterationIS3_Lb0EPKlPlPS5_SB_mNS0_19identity_decomposerENS1_16block_id_wrapperIjLb0EEEEE10hipError_tT1_PNSt15iterator_traitsISG_E10value_typeET2_T3_PNSH_ISM_E10value_typeET4_T5_PSR_SS_PNS1_23onesweep_lookback_stateEbbT6_jjT7_P12ihipStream_tbENKUlT_T0_SG_SL_E_clISA_SA_SB_SB_EEDaSZ_S10_SG_SL_EUlSZ_E_NS1_11comp_targetILNS1_3genE8ELNS1_11target_archE1030ELNS1_3gpuE2ELNS1_3repE0EEENS1_47radix_sort_onesweep_sort_config_static_selectorELNS0_4arch9wavefront6targetE0EEEvSG_
	.p2align	8
	.type	_ZN7rocprim17ROCPRIM_400000_NS6detail17trampoline_kernelINS0_14default_configENS1_35radix_sort_onesweep_config_selectorIlNS0_10empty_typeEEEZZNS1_29radix_sort_onesweep_iterationIS3_Lb0EPKlPlPS5_SB_mNS0_19identity_decomposerENS1_16block_id_wrapperIjLb0EEEEE10hipError_tT1_PNSt15iterator_traitsISG_E10value_typeET2_T3_PNSH_ISM_E10value_typeET4_T5_PSR_SS_PNS1_23onesweep_lookback_stateEbbT6_jjT7_P12ihipStream_tbENKUlT_T0_SG_SL_E_clISA_SA_SB_SB_EEDaSZ_S10_SG_SL_EUlSZ_E_NS1_11comp_targetILNS1_3genE8ELNS1_11target_archE1030ELNS1_3gpuE2ELNS1_3repE0EEENS1_47radix_sort_onesweep_sort_config_static_selectorELNS0_4arch9wavefront6targetE0EEEvSG_,@function
_ZN7rocprim17ROCPRIM_400000_NS6detail17trampoline_kernelINS0_14default_configENS1_35radix_sort_onesweep_config_selectorIlNS0_10empty_typeEEEZZNS1_29radix_sort_onesweep_iterationIS3_Lb0EPKlPlPS5_SB_mNS0_19identity_decomposerENS1_16block_id_wrapperIjLb0EEEEE10hipError_tT1_PNSt15iterator_traitsISG_E10value_typeET2_T3_PNSH_ISM_E10value_typeET4_T5_PSR_SS_PNS1_23onesweep_lookback_stateEbbT6_jjT7_P12ihipStream_tbENKUlT_T0_SG_SL_E_clISA_SA_SB_SB_EEDaSZ_S10_SG_SL_EUlSZ_E_NS1_11comp_targetILNS1_3genE8ELNS1_11target_archE1030ELNS1_3gpuE2ELNS1_3repE0EEENS1_47radix_sort_onesweep_sort_config_static_selectorELNS0_4arch9wavefront6targetE0EEEvSG_: ; @_ZN7rocprim17ROCPRIM_400000_NS6detail17trampoline_kernelINS0_14default_configENS1_35radix_sort_onesweep_config_selectorIlNS0_10empty_typeEEEZZNS1_29radix_sort_onesweep_iterationIS3_Lb0EPKlPlPS5_SB_mNS0_19identity_decomposerENS1_16block_id_wrapperIjLb0EEEEE10hipError_tT1_PNSt15iterator_traitsISG_E10value_typeET2_T3_PNSH_ISM_E10value_typeET4_T5_PSR_SS_PNS1_23onesweep_lookback_stateEbbT6_jjT7_P12ihipStream_tbENKUlT_T0_SG_SL_E_clISA_SA_SB_SB_EEDaSZ_S10_SG_SL_EUlSZ_E_NS1_11comp_targetILNS1_3genE8ELNS1_11target_archE1030ELNS1_3gpuE2ELNS1_3repE0EEENS1_47radix_sort_onesweep_sort_config_static_selectorELNS0_4arch9wavefront6targetE0EEEvSG_
; %bb.0:
	.section	.rodata,"a",@progbits
	.p2align	6, 0x0
	.amdhsa_kernel _ZN7rocprim17ROCPRIM_400000_NS6detail17trampoline_kernelINS0_14default_configENS1_35radix_sort_onesweep_config_selectorIlNS0_10empty_typeEEEZZNS1_29radix_sort_onesweep_iterationIS3_Lb0EPKlPlPS5_SB_mNS0_19identity_decomposerENS1_16block_id_wrapperIjLb0EEEEE10hipError_tT1_PNSt15iterator_traitsISG_E10value_typeET2_T3_PNSH_ISM_E10value_typeET4_T5_PSR_SS_PNS1_23onesweep_lookback_stateEbbT6_jjT7_P12ihipStream_tbENKUlT_T0_SG_SL_E_clISA_SA_SB_SB_EEDaSZ_S10_SG_SL_EUlSZ_E_NS1_11comp_targetILNS1_3genE8ELNS1_11target_archE1030ELNS1_3gpuE2ELNS1_3repE0EEENS1_47radix_sort_onesweep_sort_config_static_selectorELNS0_4arch9wavefront6targetE0EEEvSG_
		.amdhsa_group_segment_fixed_size 0
		.amdhsa_private_segment_fixed_size 0
		.amdhsa_kernarg_size 88
		.amdhsa_user_sgpr_count 2
		.amdhsa_user_sgpr_dispatch_ptr 0
		.amdhsa_user_sgpr_queue_ptr 0
		.amdhsa_user_sgpr_kernarg_segment_ptr 1
		.amdhsa_user_sgpr_dispatch_id 0
		.amdhsa_user_sgpr_kernarg_preload_length 0
		.amdhsa_user_sgpr_kernarg_preload_offset 0
		.amdhsa_user_sgpr_private_segment_size 0
		.amdhsa_wavefront_size32 1
		.amdhsa_uses_dynamic_stack 0
		.amdhsa_enable_private_segment 0
		.amdhsa_system_sgpr_workgroup_id_x 1
		.amdhsa_system_sgpr_workgroup_id_y 0
		.amdhsa_system_sgpr_workgroup_id_z 0
		.amdhsa_system_sgpr_workgroup_info 0
		.amdhsa_system_vgpr_workitem_id 0
		.amdhsa_next_free_vgpr 1
		.amdhsa_next_free_sgpr 1
		.amdhsa_named_barrier_count 0
		.amdhsa_reserve_vcc 0
		.amdhsa_float_round_mode_32 0
		.amdhsa_float_round_mode_16_64 0
		.amdhsa_float_denorm_mode_32 3
		.amdhsa_float_denorm_mode_16_64 3
		.amdhsa_fp16_overflow 0
		.amdhsa_memory_ordered 1
		.amdhsa_forward_progress 1
		.amdhsa_inst_pref_size 0
		.amdhsa_round_robin_scheduling 0
		.amdhsa_exception_fp_ieee_invalid_op 0
		.amdhsa_exception_fp_denorm_src 0
		.amdhsa_exception_fp_ieee_div_zero 0
		.amdhsa_exception_fp_ieee_overflow 0
		.amdhsa_exception_fp_ieee_underflow 0
		.amdhsa_exception_fp_ieee_inexact 0
		.amdhsa_exception_int_div_zero 0
	.end_amdhsa_kernel
	.section	.text._ZN7rocprim17ROCPRIM_400000_NS6detail17trampoline_kernelINS0_14default_configENS1_35radix_sort_onesweep_config_selectorIlNS0_10empty_typeEEEZZNS1_29radix_sort_onesweep_iterationIS3_Lb0EPKlPlPS5_SB_mNS0_19identity_decomposerENS1_16block_id_wrapperIjLb0EEEEE10hipError_tT1_PNSt15iterator_traitsISG_E10value_typeET2_T3_PNSH_ISM_E10value_typeET4_T5_PSR_SS_PNS1_23onesweep_lookback_stateEbbT6_jjT7_P12ihipStream_tbENKUlT_T0_SG_SL_E_clISA_SA_SB_SB_EEDaSZ_S10_SG_SL_EUlSZ_E_NS1_11comp_targetILNS1_3genE8ELNS1_11target_archE1030ELNS1_3gpuE2ELNS1_3repE0EEENS1_47radix_sort_onesweep_sort_config_static_selectorELNS0_4arch9wavefront6targetE0EEEvSG_,"axG",@progbits,_ZN7rocprim17ROCPRIM_400000_NS6detail17trampoline_kernelINS0_14default_configENS1_35radix_sort_onesweep_config_selectorIlNS0_10empty_typeEEEZZNS1_29radix_sort_onesweep_iterationIS3_Lb0EPKlPlPS5_SB_mNS0_19identity_decomposerENS1_16block_id_wrapperIjLb0EEEEE10hipError_tT1_PNSt15iterator_traitsISG_E10value_typeET2_T3_PNSH_ISM_E10value_typeET4_T5_PSR_SS_PNS1_23onesweep_lookback_stateEbbT6_jjT7_P12ihipStream_tbENKUlT_T0_SG_SL_E_clISA_SA_SB_SB_EEDaSZ_S10_SG_SL_EUlSZ_E_NS1_11comp_targetILNS1_3genE8ELNS1_11target_archE1030ELNS1_3gpuE2ELNS1_3repE0EEENS1_47radix_sort_onesweep_sort_config_static_selectorELNS0_4arch9wavefront6targetE0EEEvSG_,comdat
.Lfunc_end1242:
	.size	_ZN7rocprim17ROCPRIM_400000_NS6detail17trampoline_kernelINS0_14default_configENS1_35radix_sort_onesweep_config_selectorIlNS0_10empty_typeEEEZZNS1_29radix_sort_onesweep_iterationIS3_Lb0EPKlPlPS5_SB_mNS0_19identity_decomposerENS1_16block_id_wrapperIjLb0EEEEE10hipError_tT1_PNSt15iterator_traitsISG_E10value_typeET2_T3_PNSH_ISM_E10value_typeET4_T5_PSR_SS_PNS1_23onesweep_lookback_stateEbbT6_jjT7_P12ihipStream_tbENKUlT_T0_SG_SL_E_clISA_SA_SB_SB_EEDaSZ_S10_SG_SL_EUlSZ_E_NS1_11comp_targetILNS1_3genE8ELNS1_11target_archE1030ELNS1_3gpuE2ELNS1_3repE0EEENS1_47radix_sort_onesweep_sort_config_static_selectorELNS0_4arch9wavefront6targetE0EEEvSG_, .Lfunc_end1242-_ZN7rocprim17ROCPRIM_400000_NS6detail17trampoline_kernelINS0_14default_configENS1_35radix_sort_onesweep_config_selectorIlNS0_10empty_typeEEEZZNS1_29radix_sort_onesweep_iterationIS3_Lb0EPKlPlPS5_SB_mNS0_19identity_decomposerENS1_16block_id_wrapperIjLb0EEEEE10hipError_tT1_PNSt15iterator_traitsISG_E10value_typeET2_T3_PNSH_ISM_E10value_typeET4_T5_PSR_SS_PNS1_23onesweep_lookback_stateEbbT6_jjT7_P12ihipStream_tbENKUlT_T0_SG_SL_E_clISA_SA_SB_SB_EEDaSZ_S10_SG_SL_EUlSZ_E_NS1_11comp_targetILNS1_3genE8ELNS1_11target_archE1030ELNS1_3gpuE2ELNS1_3repE0EEENS1_47radix_sort_onesweep_sort_config_static_selectorELNS0_4arch9wavefront6targetE0EEEvSG_
                                        ; -- End function
	.set _ZN7rocprim17ROCPRIM_400000_NS6detail17trampoline_kernelINS0_14default_configENS1_35radix_sort_onesweep_config_selectorIlNS0_10empty_typeEEEZZNS1_29radix_sort_onesweep_iterationIS3_Lb0EPKlPlPS5_SB_mNS0_19identity_decomposerENS1_16block_id_wrapperIjLb0EEEEE10hipError_tT1_PNSt15iterator_traitsISG_E10value_typeET2_T3_PNSH_ISM_E10value_typeET4_T5_PSR_SS_PNS1_23onesweep_lookback_stateEbbT6_jjT7_P12ihipStream_tbENKUlT_T0_SG_SL_E_clISA_SA_SB_SB_EEDaSZ_S10_SG_SL_EUlSZ_E_NS1_11comp_targetILNS1_3genE8ELNS1_11target_archE1030ELNS1_3gpuE2ELNS1_3repE0EEENS1_47radix_sort_onesweep_sort_config_static_selectorELNS0_4arch9wavefront6targetE0EEEvSG_.num_vgpr, 0
	.set _ZN7rocprim17ROCPRIM_400000_NS6detail17trampoline_kernelINS0_14default_configENS1_35radix_sort_onesweep_config_selectorIlNS0_10empty_typeEEEZZNS1_29radix_sort_onesweep_iterationIS3_Lb0EPKlPlPS5_SB_mNS0_19identity_decomposerENS1_16block_id_wrapperIjLb0EEEEE10hipError_tT1_PNSt15iterator_traitsISG_E10value_typeET2_T3_PNSH_ISM_E10value_typeET4_T5_PSR_SS_PNS1_23onesweep_lookback_stateEbbT6_jjT7_P12ihipStream_tbENKUlT_T0_SG_SL_E_clISA_SA_SB_SB_EEDaSZ_S10_SG_SL_EUlSZ_E_NS1_11comp_targetILNS1_3genE8ELNS1_11target_archE1030ELNS1_3gpuE2ELNS1_3repE0EEENS1_47radix_sort_onesweep_sort_config_static_selectorELNS0_4arch9wavefront6targetE0EEEvSG_.num_agpr, 0
	.set _ZN7rocprim17ROCPRIM_400000_NS6detail17trampoline_kernelINS0_14default_configENS1_35radix_sort_onesweep_config_selectorIlNS0_10empty_typeEEEZZNS1_29radix_sort_onesweep_iterationIS3_Lb0EPKlPlPS5_SB_mNS0_19identity_decomposerENS1_16block_id_wrapperIjLb0EEEEE10hipError_tT1_PNSt15iterator_traitsISG_E10value_typeET2_T3_PNSH_ISM_E10value_typeET4_T5_PSR_SS_PNS1_23onesweep_lookback_stateEbbT6_jjT7_P12ihipStream_tbENKUlT_T0_SG_SL_E_clISA_SA_SB_SB_EEDaSZ_S10_SG_SL_EUlSZ_E_NS1_11comp_targetILNS1_3genE8ELNS1_11target_archE1030ELNS1_3gpuE2ELNS1_3repE0EEENS1_47radix_sort_onesweep_sort_config_static_selectorELNS0_4arch9wavefront6targetE0EEEvSG_.numbered_sgpr, 0
	.set _ZN7rocprim17ROCPRIM_400000_NS6detail17trampoline_kernelINS0_14default_configENS1_35radix_sort_onesweep_config_selectorIlNS0_10empty_typeEEEZZNS1_29radix_sort_onesweep_iterationIS3_Lb0EPKlPlPS5_SB_mNS0_19identity_decomposerENS1_16block_id_wrapperIjLb0EEEEE10hipError_tT1_PNSt15iterator_traitsISG_E10value_typeET2_T3_PNSH_ISM_E10value_typeET4_T5_PSR_SS_PNS1_23onesweep_lookback_stateEbbT6_jjT7_P12ihipStream_tbENKUlT_T0_SG_SL_E_clISA_SA_SB_SB_EEDaSZ_S10_SG_SL_EUlSZ_E_NS1_11comp_targetILNS1_3genE8ELNS1_11target_archE1030ELNS1_3gpuE2ELNS1_3repE0EEENS1_47radix_sort_onesweep_sort_config_static_selectorELNS0_4arch9wavefront6targetE0EEEvSG_.num_named_barrier, 0
	.set _ZN7rocprim17ROCPRIM_400000_NS6detail17trampoline_kernelINS0_14default_configENS1_35radix_sort_onesweep_config_selectorIlNS0_10empty_typeEEEZZNS1_29radix_sort_onesweep_iterationIS3_Lb0EPKlPlPS5_SB_mNS0_19identity_decomposerENS1_16block_id_wrapperIjLb0EEEEE10hipError_tT1_PNSt15iterator_traitsISG_E10value_typeET2_T3_PNSH_ISM_E10value_typeET4_T5_PSR_SS_PNS1_23onesweep_lookback_stateEbbT6_jjT7_P12ihipStream_tbENKUlT_T0_SG_SL_E_clISA_SA_SB_SB_EEDaSZ_S10_SG_SL_EUlSZ_E_NS1_11comp_targetILNS1_3genE8ELNS1_11target_archE1030ELNS1_3gpuE2ELNS1_3repE0EEENS1_47radix_sort_onesweep_sort_config_static_selectorELNS0_4arch9wavefront6targetE0EEEvSG_.private_seg_size, 0
	.set _ZN7rocprim17ROCPRIM_400000_NS6detail17trampoline_kernelINS0_14default_configENS1_35radix_sort_onesweep_config_selectorIlNS0_10empty_typeEEEZZNS1_29radix_sort_onesweep_iterationIS3_Lb0EPKlPlPS5_SB_mNS0_19identity_decomposerENS1_16block_id_wrapperIjLb0EEEEE10hipError_tT1_PNSt15iterator_traitsISG_E10value_typeET2_T3_PNSH_ISM_E10value_typeET4_T5_PSR_SS_PNS1_23onesweep_lookback_stateEbbT6_jjT7_P12ihipStream_tbENKUlT_T0_SG_SL_E_clISA_SA_SB_SB_EEDaSZ_S10_SG_SL_EUlSZ_E_NS1_11comp_targetILNS1_3genE8ELNS1_11target_archE1030ELNS1_3gpuE2ELNS1_3repE0EEENS1_47radix_sort_onesweep_sort_config_static_selectorELNS0_4arch9wavefront6targetE0EEEvSG_.uses_vcc, 0
	.set _ZN7rocprim17ROCPRIM_400000_NS6detail17trampoline_kernelINS0_14default_configENS1_35radix_sort_onesweep_config_selectorIlNS0_10empty_typeEEEZZNS1_29radix_sort_onesweep_iterationIS3_Lb0EPKlPlPS5_SB_mNS0_19identity_decomposerENS1_16block_id_wrapperIjLb0EEEEE10hipError_tT1_PNSt15iterator_traitsISG_E10value_typeET2_T3_PNSH_ISM_E10value_typeET4_T5_PSR_SS_PNS1_23onesweep_lookback_stateEbbT6_jjT7_P12ihipStream_tbENKUlT_T0_SG_SL_E_clISA_SA_SB_SB_EEDaSZ_S10_SG_SL_EUlSZ_E_NS1_11comp_targetILNS1_3genE8ELNS1_11target_archE1030ELNS1_3gpuE2ELNS1_3repE0EEENS1_47radix_sort_onesweep_sort_config_static_selectorELNS0_4arch9wavefront6targetE0EEEvSG_.uses_flat_scratch, 0
	.set _ZN7rocprim17ROCPRIM_400000_NS6detail17trampoline_kernelINS0_14default_configENS1_35radix_sort_onesweep_config_selectorIlNS0_10empty_typeEEEZZNS1_29radix_sort_onesweep_iterationIS3_Lb0EPKlPlPS5_SB_mNS0_19identity_decomposerENS1_16block_id_wrapperIjLb0EEEEE10hipError_tT1_PNSt15iterator_traitsISG_E10value_typeET2_T3_PNSH_ISM_E10value_typeET4_T5_PSR_SS_PNS1_23onesweep_lookback_stateEbbT6_jjT7_P12ihipStream_tbENKUlT_T0_SG_SL_E_clISA_SA_SB_SB_EEDaSZ_S10_SG_SL_EUlSZ_E_NS1_11comp_targetILNS1_3genE8ELNS1_11target_archE1030ELNS1_3gpuE2ELNS1_3repE0EEENS1_47radix_sort_onesweep_sort_config_static_selectorELNS0_4arch9wavefront6targetE0EEEvSG_.has_dyn_sized_stack, 0
	.set _ZN7rocprim17ROCPRIM_400000_NS6detail17trampoline_kernelINS0_14default_configENS1_35radix_sort_onesweep_config_selectorIlNS0_10empty_typeEEEZZNS1_29radix_sort_onesweep_iterationIS3_Lb0EPKlPlPS5_SB_mNS0_19identity_decomposerENS1_16block_id_wrapperIjLb0EEEEE10hipError_tT1_PNSt15iterator_traitsISG_E10value_typeET2_T3_PNSH_ISM_E10value_typeET4_T5_PSR_SS_PNS1_23onesweep_lookback_stateEbbT6_jjT7_P12ihipStream_tbENKUlT_T0_SG_SL_E_clISA_SA_SB_SB_EEDaSZ_S10_SG_SL_EUlSZ_E_NS1_11comp_targetILNS1_3genE8ELNS1_11target_archE1030ELNS1_3gpuE2ELNS1_3repE0EEENS1_47radix_sort_onesweep_sort_config_static_selectorELNS0_4arch9wavefront6targetE0EEEvSG_.has_recursion, 0
	.set _ZN7rocprim17ROCPRIM_400000_NS6detail17trampoline_kernelINS0_14default_configENS1_35radix_sort_onesweep_config_selectorIlNS0_10empty_typeEEEZZNS1_29radix_sort_onesweep_iterationIS3_Lb0EPKlPlPS5_SB_mNS0_19identity_decomposerENS1_16block_id_wrapperIjLb0EEEEE10hipError_tT1_PNSt15iterator_traitsISG_E10value_typeET2_T3_PNSH_ISM_E10value_typeET4_T5_PSR_SS_PNS1_23onesweep_lookback_stateEbbT6_jjT7_P12ihipStream_tbENKUlT_T0_SG_SL_E_clISA_SA_SB_SB_EEDaSZ_S10_SG_SL_EUlSZ_E_NS1_11comp_targetILNS1_3genE8ELNS1_11target_archE1030ELNS1_3gpuE2ELNS1_3repE0EEENS1_47radix_sort_onesweep_sort_config_static_selectorELNS0_4arch9wavefront6targetE0EEEvSG_.has_indirect_call, 0
	.section	.AMDGPU.csdata,"",@progbits
; Kernel info:
; codeLenInByte = 0
; TotalNumSgprs: 0
; NumVgprs: 0
; ScratchSize: 0
; MemoryBound: 0
; FloatMode: 240
; IeeeMode: 1
; LDSByteSize: 0 bytes/workgroup (compile time only)
; SGPRBlocks: 0
; VGPRBlocks: 0
; NumSGPRsForWavesPerEU: 1
; NumVGPRsForWavesPerEU: 1
; NamedBarCnt: 0
; Occupancy: 16
; WaveLimiterHint : 0
; COMPUTE_PGM_RSRC2:SCRATCH_EN: 0
; COMPUTE_PGM_RSRC2:USER_SGPR: 2
; COMPUTE_PGM_RSRC2:TRAP_HANDLER: 0
; COMPUTE_PGM_RSRC2:TGID_X_EN: 1
; COMPUTE_PGM_RSRC2:TGID_Y_EN: 0
; COMPUTE_PGM_RSRC2:TGID_Z_EN: 0
; COMPUTE_PGM_RSRC2:TIDIG_COMP_CNT: 0
	.section	.text._ZN7rocprim17ROCPRIM_400000_NS6detail17trampoline_kernelINS0_13kernel_configILj256ELj4ELj4294967295EEENS1_37radix_sort_block_sort_config_selectorIfNS0_10empty_typeEEEZNS1_21radix_sort_block_sortIS4_Lb1EPKfPfPS6_SC_NS0_19identity_decomposerEEE10hipError_tT1_T2_T3_T4_jRjT5_jjP12ihipStream_tbEUlT_E_NS1_11comp_targetILNS1_3genE0ELNS1_11target_archE4294967295ELNS1_3gpuE0ELNS1_3repE0EEENS1_44radix_sort_block_sort_config_static_selectorELNS0_4arch9wavefront6targetE0EEEvSF_,"axG",@progbits,_ZN7rocprim17ROCPRIM_400000_NS6detail17trampoline_kernelINS0_13kernel_configILj256ELj4ELj4294967295EEENS1_37radix_sort_block_sort_config_selectorIfNS0_10empty_typeEEEZNS1_21radix_sort_block_sortIS4_Lb1EPKfPfPS6_SC_NS0_19identity_decomposerEEE10hipError_tT1_T2_T3_T4_jRjT5_jjP12ihipStream_tbEUlT_E_NS1_11comp_targetILNS1_3genE0ELNS1_11target_archE4294967295ELNS1_3gpuE0ELNS1_3repE0EEENS1_44radix_sort_block_sort_config_static_selectorELNS0_4arch9wavefront6targetE0EEEvSF_,comdat
	.protected	_ZN7rocprim17ROCPRIM_400000_NS6detail17trampoline_kernelINS0_13kernel_configILj256ELj4ELj4294967295EEENS1_37radix_sort_block_sort_config_selectorIfNS0_10empty_typeEEEZNS1_21radix_sort_block_sortIS4_Lb1EPKfPfPS6_SC_NS0_19identity_decomposerEEE10hipError_tT1_T2_T3_T4_jRjT5_jjP12ihipStream_tbEUlT_E_NS1_11comp_targetILNS1_3genE0ELNS1_11target_archE4294967295ELNS1_3gpuE0ELNS1_3repE0EEENS1_44radix_sort_block_sort_config_static_selectorELNS0_4arch9wavefront6targetE0EEEvSF_ ; -- Begin function _ZN7rocprim17ROCPRIM_400000_NS6detail17trampoline_kernelINS0_13kernel_configILj256ELj4ELj4294967295EEENS1_37radix_sort_block_sort_config_selectorIfNS0_10empty_typeEEEZNS1_21radix_sort_block_sortIS4_Lb1EPKfPfPS6_SC_NS0_19identity_decomposerEEE10hipError_tT1_T2_T3_T4_jRjT5_jjP12ihipStream_tbEUlT_E_NS1_11comp_targetILNS1_3genE0ELNS1_11target_archE4294967295ELNS1_3gpuE0ELNS1_3repE0EEENS1_44radix_sort_block_sort_config_static_selectorELNS0_4arch9wavefront6targetE0EEEvSF_
	.globl	_ZN7rocprim17ROCPRIM_400000_NS6detail17trampoline_kernelINS0_13kernel_configILj256ELj4ELj4294967295EEENS1_37radix_sort_block_sort_config_selectorIfNS0_10empty_typeEEEZNS1_21radix_sort_block_sortIS4_Lb1EPKfPfPS6_SC_NS0_19identity_decomposerEEE10hipError_tT1_T2_T3_T4_jRjT5_jjP12ihipStream_tbEUlT_E_NS1_11comp_targetILNS1_3genE0ELNS1_11target_archE4294967295ELNS1_3gpuE0ELNS1_3repE0EEENS1_44radix_sort_block_sort_config_static_selectorELNS0_4arch9wavefront6targetE0EEEvSF_
	.p2align	8
	.type	_ZN7rocprim17ROCPRIM_400000_NS6detail17trampoline_kernelINS0_13kernel_configILj256ELj4ELj4294967295EEENS1_37radix_sort_block_sort_config_selectorIfNS0_10empty_typeEEEZNS1_21radix_sort_block_sortIS4_Lb1EPKfPfPS6_SC_NS0_19identity_decomposerEEE10hipError_tT1_T2_T3_T4_jRjT5_jjP12ihipStream_tbEUlT_E_NS1_11comp_targetILNS1_3genE0ELNS1_11target_archE4294967295ELNS1_3gpuE0ELNS1_3repE0EEENS1_44radix_sort_block_sort_config_static_selectorELNS0_4arch9wavefront6targetE0EEEvSF_,@function
_ZN7rocprim17ROCPRIM_400000_NS6detail17trampoline_kernelINS0_13kernel_configILj256ELj4ELj4294967295EEENS1_37radix_sort_block_sort_config_selectorIfNS0_10empty_typeEEEZNS1_21radix_sort_block_sortIS4_Lb1EPKfPfPS6_SC_NS0_19identity_decomposerEEE10hipError_tT1_T2_T3_T4_jRjT5_jjP12ihipStream_tbEUlT_E_NS1_11comp_targetILNS1_3genE0ELNS1_11target_archE4294967295ELNS1_3gpuE0ELNS1_3repE0EEENS1_44radix_sort_block_sort_config_static_selectorELNS0_4arch9wavefront6targetE0EEEvSF_: ; @_ZN7rocprim17ROCPRIM_400000_NS6detail17trampoline_kernelINS0_13kernel_configILj256ELj4ELj4294967295EEENS1_37radix_sort_block_sort_config_selectorIfNS0_10empty_typeEEEZNS1_21radix_sort_block_sortIS4_Lb1EPKfPfPS6_SC_NS0_19identity_decomposerEEE10hipError_tT1_T2_T3_T4_jRjT5_jjP12ihipStream_tbEUlT_E_NS1_11comp_targetILNS1_3genE0ELNS1_11target_archE4294967295ELNS1_3gpuE0ELNS1_3repE0EEENS1_44radix_sort_block_sort_config_static_selectorELNS0_4arch9wavefront6targetE0EEEvSF_
; %bb.0:
	s_clause 0x1
	s_load_b32 s4, s[0:1], 0x20
	s_load_b128 s[16:19], s[0:1], 0x0
	s_bfe_u32 s5, ttmp6, 0x4000c
	s_and_b32 s2, ttmp6, 15
	s_add_co_i32 s5, s5, 1
	s_getreg_b32 s6, hwreg(HW_REG_IB_STS2, 6, 4)
	s_mul_i32 s5, ttmp9, s5
	v_and_b32_e32 v14, 0x3ff, v0
	s_add_co_i32 s2, s2, s5
	s_cmp_eq_u32 s6, 0
	v_mbcnt_lo_u32_b32 v12, -1, 0
	s_cselect_b32 s5, ttmp9, s2
	v_dual_mov_b32 v7, 0 :: v_dual_lshlrev_b32 v8, 2, v14
	s_lshl_b32 s2, s5, 10
	s_mov_b32 s3, 0
	v_lshlrev_b32_e32 v6, 2, v12
	s_delay_alu instid0(VALU_DEP_2) | instskip(SKIP_2) | instid1(SALU_CYCLE_1)
	v_and_b32_e32 v1, 0x380, v8
	s_wait_kmcnt 0x0
	s_lshr_b32 s8, s4, 10
	s_cmp_lg_u32 s5, s8
	s_cselect_b32 s25, -1, 0
	s_lshl_b64 s[20:21], s[2:3], 2
	s_cmp_eq_u32 s5, s8
	s_add_nc_u64 s[6:7], s[16:17], s[20:21]
	s_mov_b32 s5, -1
	v_add_nc_u64_e32 v[2:3], s[6:7], v[6:7]
	v_lshlrev_b32_e32 v6, 2, v1
	s_delay_alu instid0(VALU_DEP_1)
	v_add_nc_u64_e32 v[10:11], v[2:3], v[6:7]
                                        ; implicit-def: $vgpr2_vgpr3_vgpr4_vgpr5
	s_cbranch_scc0 .LBB1243_26
; %bb.1:
	s_load_b64 s[22:23], s[0:1], 0x28
	s_and_not1_b32 vcc_lo, exec_lo, s5
	s_sub_co_i32 s24, s4, s2
	s_cbranch_vccz .LBB1243_27
.LBB1243_2:
	s_and_saveexec_b32 s2, s3
	s_cbranch_execz .LBB1243_4
.LBB1243_3:
	global_load_b32 v5, v[10:11], off offset:384
.LBB1243_4:
	s_wait_xcnt 0x0
	s_or_b32 exec_lo, exec_lo, s2
	s_load_b32 s3, s[0:1], 0x3c
	s_wait_loadcnt 0x2
	v_cmp_gt_i32_e32 vcc_lo, 0, v2
	v_bfe_u32 v13, v0, 10, 10
	v_bfe_u32 v0, v0, 20, 10
	v_dual_lshrrev_b32 v18, 3, v14 :: v_dual_bitop2_b32 v16, 16, v12 bitop3:0x40
	v_cndmask_b32_e64 v1, 0x7fffffff, 0, vcc_lo
	s_wait_loadcnt 0x0
	v_cmp_gt_i32_e32 vcc_lo, 0, v3
	v_and_b32_e32 v17, 0x3e0, v14
	s_get_pc_i64 s[4:5]
	s_add_nc_u64 s[4:5], s[4:5], _ZN7rocprim17ROCPRIM_400000_NS16block_radix_sortIfLj256ELj4ENS0_10empty_typeELj1ELj1ELj0ELNS0_26block_radix_rank_algorithmE1ELNS0_18block_padding_hintE2ELNS0_4arch9wavefront6targetE0EE19radix_bits_per_passE@rel64+4
	v_and_b32_e32 v18, 0x7c, v18
	s_load_b32 s26, s[4:5], 0x0
	v_cndmask_b32_e64 v7, 0x7fffffff, 0, vcc_lo
	v_cmp_gt_i32_e32 vcc_lo, 0, v4
	s_mov_b32 s14, 0
	v_dual_lshlrev_b32 v9, 5, v14 :: v_dual_bitop2_b32 v15, 15, v12 bitop3:0x40
	s_mov_b32 s15, s14
	v_cndmask_b32_e64 v10, 0x7fffffff, 0, vcc_lo
	v_cmp_gt_i32_e32 vcc_lo, 0, v5
	s_wait_kmcnt 0x0
	s_lshr_b32 s2, s3, 16
	s_and_b32 s3, s3, 0xffff
	v_mad_u32_u24 v0, v0, s2, v13
	v_sub_co_u32 v13, s2, v12, 1
	v_cndmask_b32_e64 v11, 0x7fffffff, 0, vcc_lo
	s_mov_b32 s16, s14
	s_delay_alu instid0(VALU_DEP_3) | instskip(NEXT) | instid1(VALU_DEP_3)
	v_mad_u32 v20, v0, s3, v14
	v_cmp_gt_i32_e32 vcc_lo, 0, v13
	v_and_b32_e32 v19, 7, v12
	v_xor_b32_e32 v0, v1, v2
	v_xor_b32_e32 v1, v7, v3
	s_mov_b32 s17, s14
	v_cndmask_b32_e32 v7, v13, v12, vcc_lo
	v_xor_b32_e32 v2, v10, v4
	v_min_u32_e32 v4, 0xe0, v17
	v_cmp_gt_u32_e64 s0, 8, v14
	v_cmp_lt_u32_e64 s1, 31, v14
	v_cmp_eq_u32_e64 s3, 0, v15
	v_cmp_lt_u32_e64 s4, 1, v15
	v_or_b32_e32 v4, 31, v4
	v_cmp_lt_u32_e64 s5, 3, v15
	v_cmp_lt_u32_e64 s6, 7, v15
	v_cmp_eq_u32_e64 s7, 0, v16
	v_lshlrev_b32_e32 v17, 2, v7
	v_cmp_eq_u32_e64 s8, v14, v4
	v_mul_i32_i24_e32 v4, 0xffffffe4, v14
	v_dual_lshrrev_b32 v5, 3, v20 :: v_dual_bitop2_b32 v3, v11, v5 bitop3:0x14
	v_lshl_add_u32 v20, v12, 2, v6
	v_mov_b64_e32 v[10:11], s[14:15]
	v_mov_b64_e32 v[12:13], s[16:17]
	v_cmp_eq_u32_e64 s9, 0, v14
	v_and_b32_e32 v15, 0x1ffffffc, v5
	v_cmp_eq_u32_e64 s10, 0, v19
	v_cmp_lt_u32_e64 s11, 1, v19
	v_cmp_lt_u32_e64 s12, 3, v19
	v_dual_add_nc_u32 v19, -4, v18 :: v_dual_add_nc_u32 v16, v9, v4
	s_add_co_i32 s27, s23, s22
	s_branch .LBB1243_6
.LBB1243_5:                             ;   in Loop: Header=BB1243_6 Depth=1
	s_and_not1_b32 vcc_lo, exec_lo, s13
	s_cbranch_vccz .LBB1243_22
.LBB1243_6:                             ; =>This Inner Loop Header: Depth=1
	v_mov_b32_e32 v21, v0
	s_min_u32 s13, s26, s23
	ds_store_2addr_b64 v9, v[10:11], v[12:13] offset0:4 offset1:5
	ds_store_2addr_b64 v9, v[10:11], v[12:13] offset0:6 offset1:7
	s_lshl_b32 s28, -1, s13
	s_wait_dscnt 0x0
	v_cmp_ne_u32_e32 vcc_lo, 0x80000000, v21
	s_barrier_signal -1
	s_barrier_wait -1
	v_cndmask_b32_e32 v0, 0x7fffffff, v21, vcc_lo
	; wave barrier
	s_delay_alu instid0(VALU_DEP_1) | instskip(NEXT) | instid1(VALU_DEP_1)
	v_lshrrev_b32_e32 v0, s22, v0
	v_bitop3_b32 v4, v0, 1, s28 bitop3:0x40
	v_bitop3_b32 v5, v0, s28, v0 bitop3:0x30
	s_delay_alu instid0(VALU_DEP_2) | instskip(NEXT) | instid1(VALU_DEP_1)
	v_add_co_u32 v0, s13, v4, -1
	v_cndmask_b32_e64 v4, 0, 1, s13
	s_delay_alu instid0(VALU_DEP_3) | instskip(SKIP_1) | instid1(VALU_DEP_3)
	v_dual_lshlrev_b32 v6, 30, v5 :: v_dual_lshlrev_b32 v7, 29, v5
	v_dual_lshlrev_b32 v22, 28, v5 :: v_dual_lshlrev_b32 v23, 27, v5
	v_cmp_ne_u32_e32 vcc_lo, 0, v4
	s_delay_alu instid0(VALU_DEP_3)
	v_not_b32_e32 v4, v6
	v_dual_lshlrev_b32 v24, 26, v5 :: v_dual_lshlrev_b32 v25, 25, v5
	v_lshlrev_b32_e32 v26, 24, v5
	v_cmp_gt_i32_e64 s13, 0, v6
	v_cmp_gt_i32_e64 s14, 0, v7
	v_not_b32_e32 v6, v7
	v_cmp_gt_i32_e64 s15, 0, v22
	v_not_b32_e32 v7, v22
	v_not_b32_e32 v22, v23
	v_ashrrev_i32_e32 v4, 31, v4
	v_cmp_gt_i32_e64 s16, 0, v23
	v_not_b32_e32 v23, v24
	v_dual_ashrrev_i32 v6, 31, v6 :: v_dual_bitop2_b32 v0, vcc_lo, v0 bitop3:0x14
	v_dual_ashrrev_i32 v7, 31, v7 :: v_dual_ashrrev_i32 v22, 31, v22
	v_xor_b32_e32 v4, s13, v4
	v_cmp_gt_i32_e64 s17, 0, v24
	v_not_b32_e32 v24, v25
	v_dual_ashrrev_i32 v23, 31, v23 :: v_dual_bitop2_b32 v6, s14, v6 bitop3:0x14
	v_xor_b32_e32 v7, s15, v7
	v_bitop3_b32 v0, v0, v4, exec_lo bitop3:0x80
	v_not_b32_e32 v4, v26
	v_xor_b32_e32 v22, s16, v22
	v_xor_b32_e32 v23, s17, v23
	v_cmp_gt_i32_e32 vcc_lo, 0, v25
	v_ashrrev_i32_e32 v24, 31, v24
	v_cmp_gt_i32_e64 s13, 0, v26
	v_ashrrev_i32_e32 v4, 31, v4
	v_bitop3_b32 v0, v0, v7, v6 bitop3:0x80
	s_delay_alu instid0(VALU_DEP_4) | instskip(NEXT) | instid1(VALU_DEP_3)
	v_dual_mov_b32 v24, v1 :: v_dual_bitop2_b32 v6, vcc_lo, v24 bitop3:0x14
	v_xor_b32_e32 v4, s13, v4
	s_delay_alu instid0(VALU_DEP_3) | instskip(SKIP_2) | instid1(VALU_DEP_3)
	v_bitop3_b32 v0, v0, v23, v22 bitop3:0x80
	v_dual_mov_b32 v23, v2 :: v_dual_lshlrev_b32 v1, 5, v5
	v_mov_b32_e32 v22, v3
	v_bitop3_b32 v0, v0, v4, v6 bitop3:0x80
	s_delay_alu instid0(VALU_DEP_3) | instskip(NEXT) | instid1(VALU_DEP_2)
	v_add_nc_u32_e32 v26, v15, v1
	v_mbcnt_lo_u32_b32 v25, v0, 0
	v_cmp_ne_u32_e64 s13, 0, v0
	s_delay_alu instid0(VALU_DEP_2) | instskip(SKIP_1) | instid1(SALU_CYCLE_1)
	v_cmp_eq_u32_e32 vcc_lo, 0, v25
	s_and_b32 s14, s13, vcc_lo
	s_and_saveexec_b32 s13, s14
; %bb.7:                                ;   in Loop: Header=BB1243_6 Depth=1
	v_bcnt_u32_b32 v0, v0, 0
	ds_store_b32 v26, v0 offset:32
; %bb.8:                                ;   in Loop: Header=BB1243_6 Depth=1
	s_or_b32 exec_lo, exec_lo, s13
	v_cmp_ne_u32_e32 vcc_lo, 0x80000000, v24
	s_not_b32 s28, s28
	; wave barrier
	v_cndmask_b32_e32 v0, 0x7fffffff, v24, vcc_lo
	s_delay_alu instid0(VALU_DEP_1) | instskip(NEXT) | instid1(VALU_DEP_1)
	v_lshrrev_b32_e32 v0, s22, v0
	v_and_b32_e32 v1, s28, v0
	s_delay_alu instid0(VALU_DEP_1) | instskip(SKIP_2) | instid1(VALU_DEP_2)
	v_lshlrev_b32_e32 v2, 5, v1
	v_bitop3_b32 v0, v0, 1, s28 bitop3:0x80
	v_lshlrev_b32_e32 v4, 30, v1
	v_add_co_u32 v0, s13, v0, -1
	s_delay_alu instid0(VALU_DEP_1) | instskip(NEXT) | instid1(VALU_DEP_1)
	v_cndmask_b32_e64 v3, 0, 1, s13
	v_cmp_ne_u32_e32 vcc_lo, 0, v3
	s_delay_alu instid0(VALU_DEP_4) | instskip(NEXT) | instid1(VALU_DEP_1)
	v_not_b32_e32 v3, v4
	v_dual_ashrrev_i32 v3, 31, v3 :: v_dual_lshlrev_b32 v5, 29, v1
	v_dual_lshlrev_b32 v6, 28, v1 :: v_dual_lshlrev_b32 v7, 27, v1
	v_lshlrev_b32_e32 v27, 26, v1
	v_cmp_gt_i32_e64 s13, 0, v4
	s_delay_alu instid0(VALU_DEP_4)
	v_cmp_gt_i32_e64 s14, 0, v5
	v_not_b32_e32 v4, v5
	v_not_b32_e32 v5, v6
	v_cmp_gt_i32_e64 s15, 0, v6
	v_not_b32_e32 v6, v7
	v_xor_b32_e32 v0, vcc_lo, v0
	v_dual_ashrrev_i32 v4, 31, v4 :: v_dual_bitop2_b32 v3, s13, v3 bitop3:0x14
	v_ashrrev_i32_e32 v5, 31, v5
	v_dual_lshlrev_b32 v28, 25, v1 :: v_dual_lshlrev_b32 v1, 24, v1
	v_cmp_gt_i32_e64 s16, 0, v7
	v_not_b32_e32 v7, v27
	v_dual_ashrrev_i32 v6, 31, v6 :: v_dual_bitop2_b32 v4, s14, v4 bitop3:0x14
	v_xor_b32_e32 v5, s15, v5
	v_bitop3_b32 v0, v0, v3, exec_lo bitop3:0x80
	v_cmp_gt_i32_e32 vcc_lo, 0, v27
	v_ashrrev_i32_e32 v3, 31, v7
	v_not_b32_e32 v7, v28
	v_xor_b32_e32 v6, s16, v6
	v_bitop3_b32 v0, v0, v5, v4 bitop3:0x80
	v_not_b32_e32 v4, v1
	v_xor_b32_e32 v3, vcc_lo, v3
	v_cmp_gt_i32_e32 vcc_lo, 0, v28
	v_ashrrev_i32_e32 v5, 31, v7
	v_cmp_gt_i32_e64 s13, 0, v1
	v_dual_ashrrev_i32 v1, 31, v4 :: v_dual_add_nc_u32 v28, v15, v2
	v_bitop3_b32 v0, v0, v3, v6 bitop3:0x80
	s_delay_alu instid0(VALU_DEP_4) | instskip(NEXT) | instid1(VALU_DEP_3)
	v_xor_b32_e32 v2, vcc_lo, v5
	v_xor_b32_e32 v1, s13, v1
	ds_load_b32 v27, v28 offset:32
	; wave barrier
	v_bitop3_b32 v0, v0, v1, v2 bitop3:0x80
	s_delay_alu instid0(VALU_DEP_1) | instskip(SKIP_1) | instid1(VALU_DEP_2)
	v_mbcnt_lo_u32_b32 v29, v0, 0
	v_cmp_ne_u32_e64 s13, 0, v0
	v_cmp_eq_u32_e32 vcc_lo, 0, v29
	s_and_b32 s14, s13, vcc_lo
	s_delay_alu instid0(SALU_CYCLE_1)
	s_and_saveexec_b32 s13, s14
	s_cbranch_execz .LBB1243_10
; %bb.9:                                ;   in Loop: Header=BB1243_6 Depth=1
	s_wait_dscnt 0x0
	v_bcnt_u32_b32 v0, v0, v27
	ds_store_b32 v28, v0 offset:32
.LBB1243_10:                            ;   in Loop: Header=BB1243_6 Depth=1
	s_or_b32 exec_lo, exec_lo, s13
	v_cmp_ne_u32_e32 vcc_lo, 0x80000000, v23
	; wave barrier
	v_cndmask_b32_e32 v0, 0x7fffffff, v23, vcc_lo
	s_delay_alu instid0(VALU_DEP_1) | instskip(NEXT) | instid1(VALU_DEP_1)
	v_lshrrev_b32_e32 v0, s22, v0
	v_and_b32_e32 v1, s28, v0
	s_delay_alu instid0(VALU_DEP_1) | instskip(SKIP_2) | instid1(VALU_DEP_2)
	v_lshlrev_b32_e32 v2, 5, v1
	v_bitop3_b32 v0, v0, 1, s28 bitop3:0x80
	v_lshlrev_b32_e32 v4, 30, v1
	v_add_co_u32 v0, s13, v0, -1
	s_delay_alu instid0(VALU_DEP_1) | instskip(NEXT) | instid1(VALU_DEP_1)
	v_cndmask_b32_e64 v3, 0, 1, s13
	v_cmp_ne_u32_e32 vcc_lo, 0, v3
	s_delay_alu instid0(VALU_DEP_4) | instskip(NEXT) | instid1(VALU_DEP_1)
	v_not_b32_e32 v3, v4
	v_dual_ashrrev_i32 v3, 31, v3 :: v_dual_lshlrev_b32 v5, 29, v1
	v_dual_lshlrev_b32 v6, 28, v1 :: v_dual_lshlrev_b32 v7, 27, v1
	v_lshlrev_b32_e32 v30, 26, v1
	v_cmp_gt_i32_e64 s13, 0, v4
	s_delay_alu instid0(VALU_DEP_4)
	v_cmp_gt_i32_e64 s14, 0, v5
	v_not_b32_e32 v4, v5
	v_not_b32_e32 v5, v6
	v_dual_lshlrev_b32 v31, 25, v1 :: v_dual_lshlrev_b32 v1, 24, v1
	v_cmp_gt_i32_e64 s15, 0, v6
	v_cmp_gt_i32_e64 s16, 0, v7
	v_not_b32_e32 v6, v7
	v_dual_ashrrev_i32 v5, 31, v5 :: v_dual_bitop2_b32 v0, vcc_lo, v0 bitop3:0x14
	v_dual_ashrrev_i32 v4, 31, v4 :: v_dual_bitop2_b32 v3, s13, v3 bitop3:0x14
	v_not_b32_e32 v7, v30
	v_cmp_gt_i32_e64 s17, 0, v30
	s_delay_alu instid0(VALU_DEP_3)
	v_dual_ashrrev_i32 v6, 31, v6 :: v_dual_bitop2_b32 v4, s14, v4 bitop3:0x14
	v_xor_b32_e32 v5, s15, v5
	v_bitop3_b32 v0, v0, v3, exec_lo bitop3:0x80
	v_ashrrev_i32_e32 v3, 31, v7
	v_not_b32_e32 v7, v31
	v_not_b32_e32 v30, v1
	v_xor_b32_e32 v6, s16, v6
	v_bitop3_b32 v0, v0, v5, v4 bitop3:0x80
	v_xor_b32_e32 v3, s17, v3
	v_cmp_gt_i32_e32 vcc_lo, 0, v31
	v_ashrrev_i32_e32 v4, 31, v7
	v_cmp_gt_i32_e64 s13, 0, v1
	v_ashrrev_i32_e32 v1, 31, v30
	v_add_nc_u32_e32 v32, v15, v2
	v_bitop3_b32 v0, v0, v3, v6 bitop3:0x80
	v_xor_b32_e32 v2, vcc_lo, v4
	s_delay_alu instid0(VALU_DEP_4) | instskip(SKIP_2) | instid1(VALU_DEP_1)
	v_xor_b32_e32 v1, s13, v1
	ds_load_b32 v30, v32 offset:32
	; wave barrier
	v_bitop3_b32 v0, v0, v1, v2 bitop3:0x80
	v_mbcnt_lo_u32_b32 v31, v0, 0
	v_cmp_ne_u32_e64 s13, 0, v0
	s_delay_alu instid0(VALU_DEP_2) | instskip(SKIP_1) | instid1(SALU_CYCLE_1)
	v_cmp_eq_u32_e32 vcc_lo, 0, v31
	s_and_b32 s14, s13, vcc_lo
	s_and_saveexec_b32 s13, s14
	s_cbranch_execz .LBB1243_12
; %bb.11:                               ;   in Loop: Header=BB1243_6 Depth=1
	s_wait_dscnt 0x0
	v_bcnt_u32_b32 v0, v0, v30
	ds_store_b32 v32, v0 offset:32
.LBB1243_12:                            ;   in Loop: Header=BB1243_6 Depth=1
	s_or_b32 exec_lo, exec_lo, s13
	v_cmp_ne_u32_e32 vcc_lo, 0x80000000, v22
	; wave barrier
	v_cndmask_b32_e32 v0, 0x7fffffff, v22, vcc_lo
	s_delay_alu instid0(VALU_DEP_1) | instskip(NEXT) | instid1(VALU_DEP_1)
	v_lshrrev_b32_e32 v0, s22, v0
	v_and_b32_e32 v1, s28, v0
	s_delay_alu instid0(VALU_DEP_1) | instskip(SKIP_2) | instid1(VALU_DEP_2)
	v_lshlrev_b32_e32 v2, 5, v1
	v_bitop3_b32 v0, v0, 1, s28 bitop3:0x80
	v_lshlrev_b32_e32 v4, 30, v1
	v_add_co_u32 v0, s13, v0, -1
	s_delay_alu instid0(VALU_DEP_1) | instskip(NEXT) | instid1(VALU_DEP_1)
	v_cndmask_b32_e64 v3, 0, 1, s13
	v_cmp_ne_u32_e32 vcc_lo, 0, v3
	s_delay_alu instid0(VALU_DEP_4) | instskip(NEXT) | instid1(VALU_DEP_1)
	v_not_b32_e32 v3, v4
	v_dual_ashrrev_i32 v3, 31, v3 :: v_dual_lshlrev_b32 v5, 29, v1
	v_dual_lshlrev_b32 v6, 28, v1 :: v_dual_lshlrev_b32 v7, 27, v1
	v_lshlrev_b32_e32 v33, 26, v1
	v_cmp_gt_i32_e64 s13, 0, v4
	s_delay_alu instid0(VALU_DEP_4)
	v_cmp_gt_i32_e64 s14, 0, v5
	v_not_b32_e32 v4, v5
	v_not_b32_e32 v5, v6
	v_dual_lshlrev_b32 v34, 25, v1 :: v_dual_lshlrev_b32 v1, 24, v1
	v_cmp_gt_i32_e64 s15, 0, v6
	v_cmp_gt_i32_e64 s16, 0, v7
	v_not_b32_e32 v6, v7
	v_dual_ashrrev_i32 v5, 31, v5 :: v_dual_bitop2_b32 v0, vcc_lo, v0 bitop3:0x14
	v_dual_ashrrev_i32 v4, 31, v4 :: v_dual_bitop2_b32 v3, s13, v3 bitop3:0x14
	v_not_b32_e32 v7, v33
	v_cmp_gt_i32_e64 s17, 0, v33
	s_delay_alu instid0(VALU_DEP_3)
	v_dual_ashrrev_i32 v6, 31, v6 :: v_dual_bitop2_b32 v4, s14, v4 bitop3:0x14
	v_xor_b32_e32 v5, s15, v5
	v_bitop3_b32 v0, v0, v3, exec_lo bitop3:0x80
	v_ashrrev_i32_e32 v3, 31, v7
	v_not_b32_e32 v7, v34
	v_not_b32_e32 v33, v1
	v_xor_b32_e32 v6, s16, v6
	v_bitop3_b32 v0, v0, v5, v4 bitop3:0x80
	v_xor_b32_e32 v3, s17, v3
	v_cmp_gt_i32_e32 vcc_lo, 0, v34
	v_ashrrev_i32_e32 v4, 31, v7
	v_cmp_gt_i32_e64 s13, 0, v1
	v_dual_ashrrev_i32 v1, 31, v33 :: v_dual_add_nc_u32 v35, v15, v2
	v_bitop3_b32 v0, v0, v3, v6 bitop3:0x80
	s_delay_alu instid0(VALU_DEP_4) | instskip(NEXT) | instid1(VALU_DEP_3)
	v_xor_b32_e32 v2, vcc_lo, v4
	v_xor_b32_e32 v1, s13, v1
	ds_load_b32 v33, v35 offset:32
	; wave barrier
	v_bitop3_b32 v0, v0, v1, v2 bitop3:0x80
	s_delay_alu instid0(VALU_DEP_1) | instskip(SKIP_1) | instid1(VALU_DEP_2)
	v_mbcnt_lo_u32_b32 v34, v0, 0
	v_cmp_ne_u32_e64 s13, 0, v0
	v_cmp_eq_u32_e32 vcc_lo, 0, v34
	s_and_b32 s14, s13, vcc_lo
	s_delay_alu instid0(SALU_CYCLE_1)
	s_and_saveexec_b32 s13, s14
	s_cbranch_execz .LBB1243_14
; %bb.13:                               ;   in Loop: Header=BB1243_6 Depth=1
	s_wait_dscnt 0x0
	v_bcnt_u32_b32 v0, v0, v33
	ds_store_b32 v35, v0 offset:32
.LBB1243_14:                            ;   in Loop: Header=BB1243_6 Depth=1
	s_or_b32 exec_lo, exec_lo, s13
	; wave barrier
	s_wait_dscnt 0x0
	s_barrier_signal -1
	s_barrier_wait -1
	ds_load_2addr_b64 v[4:7], v9 offset0:4 offset1:5
	ds_load_2addr_b64 v[0:3], v9 offset0:6 offset1:7
	s_wait_dscnt 0x1
	v_add_nc_u32_e32 v36, v5, v4
	s_delay_alu instid0(VALU_DEP_1) | instskip(SKIP_1) | instid1(VALU_DEP_1)
	v_add3_u32 v36, v36, v6, v7
	s_wait_dscnt 0x0
	v_add3_u32 v36, v36, v0, v1
	s_delay_alu instid0(VALU_DEP_1) | instskip(NEXT) | instid1(VALU_DEP_1)
	v_add3_u32 v3, v36, v2, v3
	v_mov_b32_dpp v36, v3 row_shr:1 row_mask:0xf bank_mask:0xf
	s_delay_alu instid0(VALU_DEP_1) | instskip(NEXT) | instid1(VALU_DEP_1)
	v_cndmask_b32_e64 v36, v36, 0, s3
	v_add_nc_u32_e32 v3, v36, v3
	s_delay_alu instid0(VALU_DEP_1) | instskip(NEXT) | instid1(VALU_DEP_1)
	v_mov_b32_dpp v36, v3 row_shr:2 row_mask:0xf bank_mask:0xf
	v_cndmask_b32_e64 v36, 0, v36, s4
	s_delay_alu instid0(VALU_DEP_1) | instskip(NEXT) | instid1(VALU_DEP_1)
	v_add_nc_u32_e32 v3, v3, v36
	v_mov_b32_dpp v36, v3 row_shr:4 row_mask:0xf bank_mask:0xf
	s_delay_alu instid0(VALU_DEP_1) | instskip(NEXT) | instid1(VALU_DEP_1)
	v_cndmask_b32_e64 v36, 0, v36, s5
	v_add_nc_u32_e32 v3, v3, v36
	s_delay_alu instid0(VALU_DEP_1) | instskip(NEXT) | instid1(VALU_DEP_1)
	v_mov_b32_dpp v36, v3 row_shr:8 row_mask:0xf bank_mask:0xf
	v_cndmask_b32_e64 v36, 0, v36, s6
	s_delay_alu instid0(VALU_DEP_1) | instskip(SKIP_3) | instid1(VALU_DEP_1)
	v_add_nc_u32_e32 v3, v3, v36
	ds_swizzle_b32 v36, v3 offset:swizzle(BROADCAST,32,15)
	s_wait_dscnt 0x0
	v_cndmask_b32_e64 v36, v36, 0, s7
	v_add_nc_u32_e32 v3, v3, v36
	s_and_saveexec_b32 s13, s8
; %bb.15:                               ;   in Loop: Header=BB1243_6 Depth=1
	ds_store_b32 v18, v3
; %bb.16:                               ;   in Loop: Header=BB1243_6 Depth=1
	s_or_b32 exec_lo, exec_lo, s13
	s_wait_dscnt 0x0
	s_barrier_signal -1
	s_barrier_wait -1
	s_and_saveexec_b32 s13, s0
	s_cbranch_execz .LBB1243_18
; %bb.17:                               ;   in Loop: Header=BB1243_6 Depth=1
	ds_load_b32 v36, v16
	s_wait_dscnt 0x0
	v_mov_b32_dpp v37, v36 row_shr:1 row_mask:0xf bank_mask:0xf
	s_delay_alu instid0(VALU_DEP_1) | instskip(NEXT) | instid1(VALU_DEP_1)
	v_cndmask_b32_e64 v37, v37, 0, s10
	v_add_nc_u32_e32 v36, v37, v36
	s_delay_alu instid0(VALU_DEP_1) | instskip(NEXT) | instid1(VALU_DEP_1)
	v_mov_b32_dpp v37, v36 row_shr:2 row_mask:0xf bank_mask:0xf
	v_cndmask_b32_e64 v37, 0, v37, s11
	s_delay_alu instid0(VALU_DEP_1) | instskip(NEXT) | instid1(VALU_DEP_1)
	v_add_nc_u32_e32 v36, v36, v37
	v_mov_b32_dpp v37, v36 row_shr:4 row_mask:0xf bank_mask:0xf
	s_delay_alu instid0(VALU_DEP_1) | instskip(NEXT) | instid1(VALU_DEP_1)
	v_cndmask_b32_e64 v37, 0, v37, s12
	v_add_nc_u32_e32 v36, v36, v37
	ds_store_b32 v16, v36
.LBB1243_18:                            ;   in Loop: Header=BB1243_6 Depth=1
	s_or_b32 exec_lo, exec_lo, s13
	v_mov_b32_e32 v36, 0
	s_wait_dscnt 0x0
	s_barrier_signal -1
	s_barrier_wait -1
	s_and_saveexec_b32 s13, s1
; %bb.19:                               ;   in Loop: Header=BB1243_6 Depth=1
	ds_load_b32 v36, v19
; %bb.20:                               ;   in Loop: Header=BB1243_6 Depth=1
	s_or_b32 exec_lo, exec_lo, s13
	s_wait_dscnt 0x0
	v_add_nc_u32_e32 v3, v36, v3
	s_add_co_i32 s22, s22, 8
	s_mov_b32 s13, -1
	s_cmp_ge_u32 s22, s27
	ds_bpermute_b32 v3, v17, v3
	s_wait_dscnt 0x0
	v_cndmask_b32_e64 v3, v3, v36, s2
	s_delay_alu instid0(VALU_DEP_1) | instskip(NEXT) | instid1(VALU_DEP_1)
	v_cndmask_b32_e64 v36, v3, 0, s9
	v_add_nc_u32_e32 v37, v36, v4
	s_delay_alu instid0(VALU_DEP_1) | instskip(NEXT) | instid1(VALU_DEP_1)
	v_add_nc_u32_e32 v4, v37, v5
	v_add_nc_u32_e32 v5, v4, v6
	s_delay_alu instid0(VALU_DEP_1) | instskip(NEXT) | instid1(VALU_DEP_1)
	v_add_nc_u32_e32 v6, v5, v7
	;; [unrolled: 3-line block ×3, first 2 shown]
	v_add_nc_u32_e32 v1, v0, v2
	ds_store_2addr_b64 v9, v[36:37], v[4:5] offset0:4 offset1:5
	ds_store_2addr_b64 v9, v[6:7], v[0:1] offset0:6 offset1:7
	s_wait_dscnt 0x0
	s_barrier_signal -1
	s_barrier_wait -1
	ds_load_b32 v0, v28 offset:32
	ds_load_b32 v1, v32 offset:32
	;; [unrolled: 1-line block ×4, first 2 shown]
	v_lshlrev_b32_e32 v4, 2, v25
	v_dual_lshlrev_b32 v5, 2, v29 :: v_dual_lshlrev_b32 v6, 2, v27
	v_dual_lshlrev_b32 v7, 2, v31 :: v_dual_lshlrev_b32 v25, 2, v30
	;; [unrolled: 1-line block ×3, first 2 shown]
	s_wait_dscnt 0x0
	v_dual_lshlrev_b32 v0, 2, v0 :: v_dual_lshlrev_b32 v1, 2, v1
	v_lshlrev_b32_e32 v2, 2, v2
	v_lshl_add_u32 v4, v3, 2, v4
	s_delay_alu instid0(VALU_DEP_3) | instskip(NEXT) | instid1(VALU_DEP_4)
	v_add3_u32 v5, v5, v6, v0
	v_add3_u32 v6, v7, v25, v1
	s_delay_alu instid0(VALU_DEP_4)
	v_add3_u32 v7, v26, v27, v2
                                        ; implicit-def: $vgpr3
                                        ; implicit-def: $vgpr1
	s_cbranch_scc1 .LBB1243_5
; %bb.21:                               ;   in Loop: Header=BB1243_6 Depth=1
	s_barrier_signal -1
	s_barrier_wait -1
	ds_store_b32 v4, v21
	ds_store_b32 v5, v24
	ds_store_b32 v6, v23
	ds_store_b32 v7, v22
	s_wait_dscnt 0x0
	s_barrier_signal -1
	s_barrier_wait -1
	ds_load_2addr_b32 v[0:1], v20 offset1:32
	ds_load_2addr_b32 v[2:3], v20 offset0:64 offset1:96
	s_add_co_i32 s23, s23, -8
	s_mov_b32 s13, 0
	s_wait_dscnt 0x0
	s_barrier_signal -1
	s_barrier_wait -1
	s_branch .LBB1243_5
.LBB1243_22:
	s_barrier_signal -1
	s_barrier_wait -1
	ds_store_b32 v4, v21
	ds_store_b32 v5, v24
	;; [unrolled: 1-line block ×4, first 2 shown]
	s_wait_dscnt 0x0
	s_barrier_signal -1
	s_barrier_wait -1
	ds_load_2addr_stride64_b32 v[6:7], v16 offset1:4
	ds_load_2addr_stride64_b32 v[0:1], v16 offset0:8 offset1:12
	s_add_nc_u64 s[0:1], s[18:19], s[20:21]
	s_wait_dscnt 0x1
	v_cmp_gt_i32_e32 vcc_lo, 0, v6
	v_cndmask_b32_e64 v4, 0x7fffffff, 0, vcc_lo
	v_cmp_gt_i32_e32 vcc_lo, 0, v7
	s_delay_alu instid0(VALU_DEP_2) | instskip(SKIP_3) | instid1(VALU_DEP_3)
	v_dual_mov_b32 v9, 0 :: v_dual_bitop2_b32 v5, v4, v6 bitop3:0x14
	v_cndmask_b32_e64 v10, 0x7fffffff, 0, vcc_lo
	s_wait_dscnt 0x0
	v_cmp_gt_i32_e32 vcc_lo, 0, v0
	v_add_nc_u64_e32 v[2:3], s[0:1], v[8:9]
	s_mov_b32 s0, 0
	s_mov_b32 s1, -1
	v_xor_b32_e32 v4, v10, v7
	v_cndmask_b32_e64 v11, 0x7fffffff, 0, vcc_lo
	s_and_not1_b32 vcc_lo, exec_lo, s25
	s_delay_alu instid0(VALU_DEP_1)
	v_xor_b32_e32 v0, v11, v0
	s_cbranch_vccz .LBB1243_34
; %bb.23:
	s_and_not1_b32 vcc_lo, exec_lo, s1
	s_cbranch_vccz .LBB1243_35
.LBB1243_24:
	s_wait_xcnt 0x0
	s_and_saveexec_b32 s1, s0
	s_cbranch_execnz .LBB1243_42
.LBB1243_25:
	s_endpgm
.LBB1243_26:
	s_clause 0x2
	global_load_b32 v2, v[10:11], off
	global_load_b32 v3, v[10:11], off offset:128
	global_load_b32 v4, v[10:11], off offset:256
	s_mov_b32 s3, -1
	s_load_b64 s[22:23], s[0:1], 0x28
	s_sub_co_i32 s24, s4, s2
	s_cbranch_execnz .LBB1243_2
.LBB1243_27:
	s_wait_loadcnt 0x2
	v_dual_mov_b32 v2, -1 :: v_dual_bitop2_b32 v1, v12, v1 bitop3:0x54
	s_mov_b32 s2, exec_lo
	s_wait_loadcnt 0x0
	s_delay_alu instid0(VALU_DEP_1)
	v_dual_mov_b32 v3, v2 :: v_dual_mov_b32 v4, v2
	v_mov_b32_e32 v5, v2
	v_cmpx_gt_u32_e64 s24, v1
	s_cbranch_execz .LBB1243_29
; %bb.28:
	global_load_b32 v16, v[10:11], off
	v_dual_mov_b32 v17, v2 :: v_dual_mov_b32 v18, v2
	v_mov_b32_e32 v19, v2
	s_wait_loadcnt 0x0
	s_delay_alu instid0(VALU_DEP_2) | instskip(NEXT) | instid1(VALU_DEP_2)
	v_mov_b64_e32 v[2:3], v[16:17]
	v_mov_b64_e32 v[4:5], v[18:19]
.LBB1243_29:
	s_or_b32 exec_lo, exec_lo, s2
	v_or_b32_e32 v7, 32, v1
	s_mov_b32 s2, exec_lo
	s_delay_alu instid0(VALU_DEP_1)
	v_cmpx_gt_u32_e64 s24, v7
	s_cbranch_execz .LBB1243_31
; %bb.30:
	global_load_b32 v3, v[10:11], off offset:128
.LBB1243_31:
	s_wait_xcnt 0x0
	s_or_b32 exec_lo, exec_lo, s2
	v_or_b32_e32 v7, 64, v1
	s_mov_b32 s2, exec_lo
	s_delay_alu instid0(VALU_DEP_1)
	v_cmpx_gt_u32_e64 s24, v7
	s_cbranch_execz .LBB1243_33
; %bb.32:
	global_load_b32 v4, v[10:11], off offset:256
.LBB1243_33:
	s_wait_xcnt 0x0
	s_or_b32 exec_lo, exec_lo, s2
	v_or_b32_e32 v1, 0x60, v1
	s_delay_alu instid0(VALU_DEP_1)
	v_cmp_gt_u32_e64 s3, s24, v1
	s_and_saveexec_b32 s2, s3
	s_cbranch_execnz .LBB1243_3
	s_branch .LBB1243_4
.LBB1243_34:
	s_mov_b32 s0, -1
	s_clause 0x2
	global_store_b32 v[2:3], v5, off
	global_store_b32 v[2:3], v4, off offset:1024
	global_store_b32 v[2:3], v0, off offset:2048
	s_cbranch_execnz .LBB1243_24
.LBB1243_35:
	s_mov_b32 s0, exec_lo
	s_wait_xcnt 0x0
	v_cmpx_gt_u32_e64 s24, v14
	s_cbranch_execz .LBB1243_37
; %bb.36:
	global_store_b32 v[2:3], v5, off
.LBB1243_37:
	s_wait_xcnt 0x0
	s_or_b32 exec_lo, exec_lo, s0
	v_add_nc_u32_e32 v5, 0x100, v14
	s_mov_b32 s0, exec_lo
	s_delay_alu instid0(VALU_DEP_1)
	v_cmpx_gt_u32_e64 s24, v5
	s_cbranch_execz .LBB1243_39
; %bb.38:
	global_store_b32 v[2:3], v4, off offset:1024
.LBB1243_39:
	s_wait_xcnt 0x0
	s_or_b32 exec_lo, exec_lo, s0
	v_add_nc_u32_e32 v4, 0x200, v14
	s_mov_b32 s0, exec_lo
	s_delay_alu instid0(VALU_DEP_1)
	v_cmpx_gt_u32_e64 s24, v4
	s_cbranch_execz .LBB1243_41
; %bb.40:
	global_store_b32 v[2:3], v0, off offset:2048
.LBB1243_41:
	s_wait_xcnt 0x0
	s_or_b32 exec_lo, exec_lo, s0
	v_add_nc_u32_e32 v0, 0x300, v14
	s_delay_alu instid0(VALU_DEP_1)
	v_cmp_gt_u32_e64 s0, s24, v0
	s_and_saveexec_b32 s1, s0
	s_cbranch_execz .LBB1243_25
.LBB1243_42:
	v_cmp_gt_i32_e32 vcc_lo, 0, v1
	v_cndmask_b32_e64 v0, 0x7fffffff, 0, vcc_lo
	s_delay_alu instid0(VALU_DEP_1)
	v_xor_b32_e32 v0, v0, v1
	global_store_b32 v[2:3], v0, off offset:3072
	s_endpgm
	.section	.rodata,"a",@progbits
	.p2align	6, 0x0
	.amdhsa_kernel _ZN7rocprim17ROCPRIM_400000_NS6detail17trampoline_kernelINS0_13kernel_configILj256ELj4ELj4294967295EEENS1_37radix_sort_block_sort_config_selectorIfNS0_10empty_typeEEEZNS1_21radix_sort_block_sortIS4_Lb1EPKfPfPS6_SC_NS0_19identity_decomposerEEE10hipError_tT1_T2_T3_T4_jRjT5_jjP12ihipStream_tbEUlT_E_NS1_11comp_targetILNS1_3genE0ELNS1_11target_archE4294967295ELNS1_3gpuE0ELNS1_3repE0EEENS1_44radix_sort_block_sort_config_static_selectorELNS0_4arch9wavefront6targetE0EEEvSF_
		.amdhsa_group_segment_fixed_size 8224
		.amdhsa_private_segment_fixed_size 0
		.amdhsa_kernarg_size 304
		.amdhsa_user_sgpr_count 2
		.amdhsa_user_sgpr_dispatch_ptr 0
		.amdhsa_user_sgpr_queue_ptr 0
		.amdhsa_user_sgpr_kernarg_segment_ptr 1
		.amdhsa_user_sgpr_dispatch_id 0
		.amdhsa_user_sgpr_kernarg_preload_length 0
		.amdhsa_user_sgpr_kernarg_preload_offset 0
		.amdhsa_user_sgpr_private_segment_size 0
		.amdhsa_wavefront_size32 1
		.amdhsa_uses_dynamic_stack 0
		.amdhsa_enable_private_segment 0
		.amdhsa_system_sgpr_workgroup_id_x 1
		.amdhsa_system_sgpr_workgroup_id_y 0
		.amdhsa_system_sgpr_workgroup_id_z 0
		.amdhsa_system_sgpr_workgroup_info 0
		.amdhsa_system_vgpr_workitem_id 2
		.amdhsa_next_free_vgpr 38
		.amdhsa_next_free_sgpr 29
		.amdhsa_named_barrier_count 0
		.amdhsa_reserve_vcc 1
		.amdhsa_float_round_mode_32 0
		.amdhsa_float_round_mode_16_64 0
		.amdhsa_float_denorm_mode_32 3
		.amdhsa_float_denorm_mode_16_64 3
		.amdhsa_fp16_overflow 0
		.amdhsa_memory_ordered 1
		.amdhsa_forward_progress 1
		.amdhsa_inst_pref_size 29
		.amdhsa_round_robin_scheduling 0
		.amdhsa_exception_fp_ieee_invalid_op 0
		.amdhsa_exception_fp_denorm_src 0
		.amdhsa_exception_fp_ieee_div_zero 0
		.amdhsa_exception_fp_ieee_overflow 0
		.amdhsa_exception_fp_ieee_underflow 0
		.amdhsa_exception_fp_ieee_inexact 0
		.amdhsa_exception_int_div_zero 0
	.end_amdhsa_kernel
	.section	.text._ZN7rocprim17ROCPRIM_400000_NS6detail17trampoline_kernelINS0_13kernel_configILj256ELj4ELj4294967295EEENS1_37radix_sort_block_sort_config_selectorIfNS0_10empty_typeEEEZNS1_21radix_sort_block_sortIS4_Lb1EPKfPfPS6_SC_NS0_19identity_decomposerEEE10hipError_tT1_T2_T3_T4_jRjT5_jjP12ihipStream_tbEUlT_E_NS1_11comp_targetILNS1_3genE0ELNS1_11target_archE4294967295ELNS1_3gpuE0ELNS1_3repE0EEENS1_44radix_sort_block_sort_config_static_selectorELNS0_4arch9wavefront6targetE0EEEvSF_,"axG",@progbits,_ZN7rocprim17ROCPRIM_400000_NS6detail17trampoline_kernelINS0_13kernel_configILj256ELj4ELj4294967295EEENS1_37radix_sort_block_sort_config_selectorIfNS0_10empty_typeEEEZNS1_21radix_sort_block_sortIS4_Lb1EPKfPfPS6_SC_NS0_19identity_decomposerEEE10hipError_tT1_T2_T3_T4_jRjT5_jjP12ihipStream_tbEUlT_E_NS1_11comp_targetILNS1_3genE0ELNS1_11target_archE4294967295ELNS1_3gpuE0ELNS1_3repE0EEENS1_44radix_sort_block_sort_config_static_selectorELNS0_4arch9wavefront6targetE0EEEvSF_,comdat
.Lfunc_end1243:
	.size	_ZN7rocprim17ROCPRIM_400000_NS6detail17trampoline_kernelINS0_13kernel_configILj256ELj4ELj4294967295EEENS1_37radix_sort_block_sort_config_selectorIfNS0_10empty_typeEEEZNS1_21radix_sort_block_sortIS4_Lb1EPKfPfPS6_SC_NS0_19identity_decomposerEEE10hipError_tT1_T2_T3_T4_jRjT5_jjP12ihipStream_tbEUlT_E_NS1_11comp_targetILNS1_3genE0ELNS1_11target_archE4294967295ELNS1_3gpuE0ELNS1_3repE0EEENS1_44radix_sort_block_sort_config_static_selectorELNS0_4arch9wavefront6targetE0EEEvSF_, .Lfunc_end1243-_ZN7rocprim17ROCPRIM_400000_NS6detail17trampoline_kernelINS0_13kernel_configILj256ELj4ELj4294967295EEENS1_37radix_sort_block_sort_config_selectorIfNS0_10empty_typeEEEZNS1_21radix_sort_block_sortIS4_Lb1EPKfPfPS6_SC_NS0_19identity_decomposerEEE10hipError_tT1_T2_T3_T4_jRjT5_jjP12ihipStream_tbEUlT_E_NS1_11comp_targetILNS1_3genE0ELNS1_11target_archE4294967295ELNS1_3gpuE0ELNS1_3repE0EEENS1_44radix_sort_block_sort_config_static_selectorELNS0_4arch9wavefront6targetE0EEEvSF_
                                        ; -- End function
	.set _ZN7rocprim17ROCPRIM_400000_NS6detail17trampoline_kernelINS0_13kernel_configILj256ELj4ELj4294967295EEENS1_37radix_sort_block_sort_config_selectorIfNS0_10empty_typeEEEZNS1_21radix_sort_block_sortIS4_Lb1EPKfPfPS6_SC_NS0_19identity_decomposerEEE10hipError_tT1_T2_T3_T4_jRjT5_jjP12ihipStream_tbEUlT_E_NS1_11comp_targetILNS1_3genE0ELNS1_11target_archE4294967295ELNS1_3gpuE0ELNS1_3repE0EEENS1_44radix_sort_block_sort_config_static_selectorELNS0_4arch9wavefront6targetE0EEEvSF_.num_vgpr, 38
	.set _ZN7rocprim17ROCPRIM_400000_NS6detail17trampoline_kernelINS0_13kernel_configILj256ELj4ELj4294967295EEENS1_37radix_sort_block_sort_config_selectorIfNS0_10empty_typeEEEZNS1_21radix_sort_block_sortIS4_Lb1EPKfPfPS6_SC_NS0_19identity_decomposerEEE10hipError_tT1_T2_T3_T4_jRjT5_jjP12ihipStream_tbEUlT_E_NS1_11comp_targetILNS1_3genE0ELNS1_11target_archE4294967295ELNS1_3gpuE0ELNS1_3repE0EEENS1_44radix_sort_block_sort_config_static_selectorELNS0_4arch9wavefront6targetE0EEEvSF_.num_agpr, 0
	.set _ZN7rocprim17ROCPRIM_400000_NS6detail17trampoline_kernelINS0_13kernel_configILj256ELj4ELj4294967295EEENS1_37radix_sort_block_sort_config_selectorIfNS0_10empty_typeEEEZNS1_21radix_sort_block_sortIS4_Lb1EPKfPfPS6_SC_NS0_19identity_decomposerEEE10hipError_tT1_T2_T3_T4_jRjT5_jjP12ihipStream_tbEUlT_E_NS1_11comp_targetILNS1_3genE0ELNS1_11target_archE4294967295ELNS1_3gpuE0ELNS1_3repE0EEENS1_44radix_sort_block_sort_config_static_selectorELNS0_4arch9wavefront6targetE0EEEvSF_.numbered_sgpr, 29
	.set _ZN7rocprim17ROCPRIM_400000_NS6detail17trampoline_kernelINS0_13kernel_configILj256ELj4ELj4294967295EEENS1_37radix_sort_block_sort_config_selectorIfNS0_10empty_typeEEEZNS1_21radix_sort_block_sortIS4_Lb1EPKfPfPS6_SC_NS0_19identity_decomposerEEE10hipError_tT1_T2_T3_T4_jRjT5_jjP12ihipStream_tbEUlT_E_NS1_11comp_targetILNS1_3genE0ELNS1_11target_archE4294967295ELNS1_3gpuE0ELNS1_3repE0EEENS1_44radix_sort_block_sort_config_static_selectorELNS0_4arch9wavefront6targetE0EEEvSF_.num_named_barrier, 0
	.set _ZN7rocprim17ROCPRIM_400000_NS6detail17trampoline_kernelINS0_13kernel_configILj256ELj4ELj4294967295EEENS1_37radix_sort_block_sort_config_selectorIfNS0_10empty_typeEEEZNS1_21radix_sort_block_sortIS4_Lb1EPKfPfPS6_SC_NS0_19identity_decomposerEEE10hipError_tT1_T2_T3_T4_jRjT5_jjP12ihipStream_tbEUlT_E_NS1_11comp_targetILNS1_3genE0ELNS1_11target_archE4294967295ELNS1_3gpuE0ELNS1_3repE0EEENS1_44radix_sort_block_sort_config_static_selectorELNS0_4arch9wavefront6targetE0EEEvSF_.private_seg_size, 0
	.set _ZN7rocprim17ROCPRIM_400000_NS6detail17trampoline_kernelINS0_13kernel_configILj256ELj4ELj4294967295EEENS1_37radix_sort_block_sort_config_selectorIfNS0_10empty_typeEEEZNS1_21radix_sort_block_sortIS4_Lb1EPKfPfPS6_SC_NS0_19identity_decomposerEEE10hipError_tT1_T2_T3_T4_jRjT5_jjP12ihipStream_tbEUlT_E_NS1_11comp_targetILNS1_3genE0ELNS1_11target_archE4294967295ELNS1_3gpuE0ELNS1_3repE0EEENS1_44radix_sort_block_sort_config_static_selectorELNS0_4arch9wavefront6targetE0EEEvSF_.uses_vcc, 1
	.set _ZN7rocprim17ROCPRIM_400000_NS6detail17trampoline_kernelINS0_13kernel_configILj256ELj4ELj4294967295EEENS1_37radix_sort_block_sort_config_selectorIfNS0_10empty_typeEEEZNS1_21radix_sort_block_sortIS4_Lb1EPKfPfPS6_SC_NS0_19identity_decomposerEEE10hipError_tT1_T2_T3_T4_jRjT5_jjP12ihipStream_tbEUlT_E_NS1_11comp_targetILNS1_3genE0ELNS1_11target_archE4294967295ELNS1_3gpuE0ELNS1_3repE0EEENS1_44radix_sort_block_sort_config_static_selectorELNS0_4arch9wavefront6targetE0EEEvSF_.uses_flat_scratch, 0
	.set _ZN7rocprim17ROCPRIM_400000_NS6detail17trampoline_kernelINS0_13kernel_configILj256ELj4ELj4294967295EEENS1_37radix_sort_block_sort_config_selectorIfNS0_10empty_typeEEEZNS1_21radix_sort_block_sortIS4_Lb1EPKfPfPS6_SC_NS0_19identity_decomposerEEE10hipError_tT1_T2_T3_T4_jRjT5_jjP12ihipStream_tbEUlT_E_NS1_11comp_targetILNS1_3genE0ELNS1_11target_archE4294967295ELNS1_3gpuE0ELNS1_3repE0EEENS1_44radix_sort_block_sort_config_static_selectorELNS0_4arch9wavefront6targetE0EEEvSF_.has_dyn_sized_stack, 0
	.set _ZN7rocprim17ROCPRIM_400000_NS6detail17trampoline_kernelINS0_13kernel_configILj256ELj4ELj4294967295EEENS1_37radix_sort_block_sort_config_selectorIfNS0_10empty_typeEEEZNS1_21radix_sort_block_sortIS4_Lb1EPKfPfPS6_SC_NS0_19identity_decomposerEEE10hipError_tT1_T2_T3_T4_jRjT5_jjP12ihipStream_tbEUlT_E_NS1_11comp_targetILNS1_3genE0ELNS1_11target_archE4294967295ELNS1_3gpuE0ELNS1_3repE0EEENS1_44radix_sort_block_sort_config_static_selectorELNS0_4arch9wavefront6targetE0EEEvSF_.has_recursion, 0
	.set _ZN7rocprim17ROCPRIM_400000_NS6detail17trampoline_kernelINS0_13kernel_configILj256ELj4ELj4294967295EEENS1_37radix_sort_block_sort_config_selectorIfNS0_10empty_typeEEEZNS1_21radix_sort_block_sortIS4_Lb1EPKfPfPS6_SC_NS0_19identity_decomposerEEE10hipError_tT1_T2_T3_T4_jRjT5_jjP12ihipStream_tbEUlT_E_NS1_11comp_targetILNS1_3genE0ELNS1_11target_archE4294967295ELNS1_3gpuE0ELNS1_3repE0EEENS1_44radix_sort_block_sort_config_static_selectorELNS0_4arch9wavefront6targetE0EEEvSF_.has_indirect_call, 0
	.section	.AMDGPU.csdata,"",@progbits
; Kernel info:
; codeLenInByte = 3652
; TotalNumSgprs: 31
; NumVgprs: 38
; ScratchSize: 0
; MemoryBound: 0
; FloatMode: 240
; IeeeMode: 1
; LDSByteSize: 8224 bytes/workgroup (compile time only)
; SGPRBlocks: 0
; VGPRBlocks: 2
; NumSGPRsForWavesPerEU: 31
; NumVGPRsForWavesPerEU: 38
; NamedBarCnt: 0
; Occupancy: 16
; WaveLimiterHint : 1
; COMPUTE_PGM_RSRC2:SCRATCH_EN: 0
; COMPUTE_PGM_RSRC2:USER_SGPR: 2
; COMPUTE_PGM_RSRC2:TRAP_HANDLER: 0
; COMPUTE_PGM_RSRC2:TGID_X_EN: 1
; COMPUTE_PGM_RSRC2:TGID_Y_EN: 0
; COMPUTE_PGM_RSRC2:TGID_Z_EN: 0
; COMPUTE_PGM_RSRC2:TIDIG_COMP_CNT: 2
	.section	.text._ZN7rocprim17ROCPRIM_400000_NS6detail17trampoline_kernelINS0_13kernel_configILj256ELj4ELj4294967295EEENS1_37radix_sort_block_sort_config_selectorIfNS0_10empty_typeEEEZNS1_21radix_sort_block_sortIS4_Lb1EPKfPfPS6_SC_NS0_19identity_decomposerEEE10hipError_tT1_T2_T3_T4_jRjT5_jjP12ihipStream_tbEUlT_E_NS1_11comp_targetILNS1_3genE5ELNS1_11target_archE942ELNS1_3gpuE9ELNS1_3repE0EEENS1_44radix_sort_block_sort_config_static_selectorELNS0_4arch9wavefront6targetE0EEEvSF_,"axG",@progbits,_ZN7rocprim17ROCPRIM_400000_NS6detail17trampoline_kernelINS0_13kernel_configILj256ELj4ELj4294967295EEENS1_37radix_sort_block_sort_config_selectorIfNS0_10empty_typeEEEZNS1_21radix_sort_block_sortIS4_Lb1EPKfPfPS6_SC_NS0_19identity_decomposerEEE10hipError_tT1_T2_T3_T4_jRjT5_jjP12ihipStream_tbEUlT_E_NS1_11comp_targetILNS1_3genE5ELNS1_11target_archE942ELNS1_3gpuE9ELNS1_3repE0EEENS1_44radix_sort_block_sort_config_static_selectorELNS0_4arch9wavefront6targetE0EEEvSF_,comdat
	.protected	_ZN7rocprim17ROCPRIM_400000_NS6detail17trampoline_kernelINS0_13kernel_configILj256ELj4ELj4294967295EEENS1_37radix_sort_block_sort_config_selectorIfNS0_10empty_typeEEEZNS1_21radix_sort_block_sortIS4_Lb1EPKfPfPS6_SC_NS0_19identity_decomposerEEE10hipError_tT1_T2_T3_T4_jRjT5_jjP12ihipStream_tbEUlT_E_NS1_11comp_targetILNS1_3genE5ELNS1_11target_archE942ELNS1_3gpuE9ELNS1_3repE0EEENS1_44radix_sort_block_sort_config_static_selectorELNS0_4arch9wavefront6targetE0EEEvSF_ ; -- Begin function _ZN7rocprim17ROCPRIM_400000_NS6detail17trampoline_kernelINS0_13kernel_configILj256ELj4ELj4294967295EEENS1_37radix_sort_block_sort_config_selectorIfNS0_10empty_typeEEEZNS1_21radix_sort_block_sortIS4_Lb1EPKfPfPS6_SC_NS0_19identity_decomposerEEE10hipError_tT1_T2_T3_T4_jRjT5_jjP12ihipStream_tbEUlT_E_NS1_11comp_targetILNS1_3genE5ELNS1_11target_archE942ELNS1_3gpuE9ELNS1_3repE0EEENS1_44radix_sort_block_sort_config_static_selectorELNS0_4arch9wavefront6targetE0EEEvSF_
	.globl	_ZN7rocprim17ROCPRIM_400000_NS6detail17trampoline_kernelINS0_13kernel_configILj256ELj4ELj4294967295EEENS1_37radix_sort_block_sort_config_selectorIfNS0_10empty_typeEEEZNS1_21radix_sort_block_sortIS4_Lb1EPKfPfPS6_SC_NS0_19identity_decomposerEEE10hipError_tT1_T2_T3_T4_jRjT5_jjP12ihipStream_tbEUlT_E_NS1_11comp_targetILNS1_3genE5ELNS1_11target_archE942ELNS1_3gpuE9ELNS1_3repE0EEENS1_44radix_sort_block_sort_config_static_selectorELNS0_4arch9wavefront6targetE0EEEvSF_
	.p2align	8
	.type	_ZN7rocprim17ROCPRIM_400000_NS6detail17trampoline_kernelINS0_13kernel_configILj256ELj4ELj4294967295EEENS1_37radix_sort_block_sort_config_selectorIfNS0_10empty_typeEEEZNS1_21radix_sort_block_sortIS4_Lb1EPKfPfPS6_SC_NS0_19identity_decomposerEEE10hipError_tT1_T2_T3_T4_jRjT5_jjP12ihipStream_tbEUlT_E_NS1_11comp_targetILNS1_3genE5ELNS1_11target_archE942ELNS1_3gpuE9ELNS1_3repE0EEENS1_44radix_sort_block_sort_config_static_selectorELNS0_4arch9wavefront6targetE0EEEvSF_,@function
_ZN7rocprim17ROCPRIM_400000_NS6detail17trampoline_kernelINS0_13kernel_configILj256ELj4ELj4294967295EEENS1_37radix_sort_block_sort_config_selectorIfNS0_10empty_typeEEEZNS1_21radix_sort_block_sortIS4_Lb1EPKfPfPS6_SC_NS0_19identity_decomposerEEE10hipError_tT1_T2_T3_T4_jRjT5_jjP12ihipStream_tbEUlT_E_NS1_11comp_targetILNS1_3genE5ELNS1_11target_archE942ELNS1_3gpuE9ELNS1_3repE0EEENS1_44radix_sort_block_sort_config_static_selectorELNS0_4arch9wavefront6targetE0EEEvSF_: ; @_ZN7rocprim17ROCPRIM_400000_NS6detail17trampoline_kernelINS0_13kernel_configILj256ELj4ELj4294967295EEENS1_37radix_sort_block_sort_config_selectorIfNS0_10empty_typeEEEZNS1_21radix_sort_block_sortIS4_Lb1EPKfPfPS6_SC_NS0_19identity_decomposerEEE10hipError_tT1_T2_T3_T4_jRjT5_jjP12ihipStream_tbEUlT_E_NS1_11comp_targetILNS1_3genE5ELNS1_11target_archE942ELNS1_3gpuE9ELNS1_3repE0EEENS1_44radix_sort_block_sort_config_static_selectorELNS0_4arch9wavefront6targetE0EEEvSF_
; %bb.0:
	.section	.rodata,"a",@progbits
	.p2align	6, 0x0
	.amdhsa_kernel _ZN7rocprim17ROCPRIM_400000_NS6detail17trampoline_kernelINS0_13kernel_configILj256ELj4ELj4294967295EEENS1_37radix_sort_block_sort_config_selectorIfNS0_10empty_typeEEEZNS1_21radix_sort_block_sortIS4_Lb1EPKfPfPS6_SC_NS0_19identity_decomposerEEE10hipError_tT1_T2_T3_T4_jRjT5_jjP12ihipStream_tbEUlT_E_NS1_11comp_targetILNS1_3genE5ELNS1_11target_archE942ELNS1_3gpuE9ELNS1_3repE0EEENS1_44radix_sort_block_sort_config_static_selectorELNS0_4arch9wavefront6targetE0EEEvSF_
		.amdhsa_group_segment_fixed_size 0
		.amdhsa_private_segment_fixed_size 0
		.amdhsa_kernarg_size 48
		.amdhsa_user_sgpr_count 2
		.amdhsa_user_sgpr_dispatch_ptr 0
		.amdhsa_user_sgpr_queue_ptr 0
		.amdhsa_user_sgpr_kernarg_segment_ptr 1
		.amdhsa_user_sgpr_dispatch_id 0
		.amdhsa_user_sgpr_kernarg_preload_length 0
		.amdhsa_user_sgpr_kernarg_preload_offset 0
		.amdhsa_user_sgpr_private_segment_size 0
		.amdhsa_wavefront_size32 1
		.amdhsa_uses_dynamic_stack 0
		.amdhsa_enable_private_segment 0
		.amdhsa_system_sgpr_workgroup_id_x 1
		.amdhsa_system_sgpr_workgroup_id_y 0
		.amdhsa_system_sgpr_workgroup_id_z 0
		.amdhsa_system_sgpr_workgroup_info 0
		.amdhsa_system_vgpr_workitem_id 0
		.amdhsa_next_free_vgpr 1
		.amdhsa_next_free_sgpr 1
		.amdhsa_named_barrier_count 0
		.amdhsa_reserve_vcc 0
		.amdhsa_float_round_mode_32 0
		.amdhsa_float_round_mode_16_64 0
		.amdhsa_float_denorm_mode_32 3
		.amdhsa_float_denorm_mode_16_64 3
		.amdhsa_fp16_overflow 0
		.amdhsa_memory_ordered 1
		.amdhsa_forward_progress 1
		.amdhsa_inst_pref_size 0
		.amdhsa_round_robin_scheduling 0
		.amdhsa_exception_fp_ieee_invalid_op 0
		.amdhsa_exception_fp_denorm_src 0
		.amdhsa_exception_fp_ieee_div_zero 0
		.amdhsa_exception_fp_ieee_overflow 0
		.amdhsa_exception_fp_ieee_underflow 0
		.amdhsa_exception_fp_ieee_inexact 0
		.amdhsa_exception_int_div_zero 0
	.end_amdhsa_kernel
	.section	.text._ZN7rocprim17ROCPRIM_400000_NS6detail17trampoline_kernelINS0_13kernel_configILj256ELj4ELj4294967295EEENS1_37radix_sort_block_sort_config_selectorIfNS0_10empty_typeEEEZNS1_21radix_sort_block_sortIS4_Lb1EPKfPfPS6_SC_NS0_19identity_decomposerEEE10hipError_tT1_T2_T3_T4_jRjT5_jjP12ihipStream_tbEUlT_E_NS1_11comp_targetILNS1_3genE5ELNS1_11target_archE942ELNS1_3gpuE9ELNS1_3repE0EEENS1_44radix_sort_block_sort_config_static_selectorELNS0_4arch9wavefront6targetE0EEEvSF_,"axG",@progbits,_ZN7rocprim17ROCPRIM_400000_NS6detail17trampoline_kernelINS0_13kernel_configILj256ELj4ELj4294967295EEENS1_37radix_sort_block_sort_config_selectorIfNS0_10empty_typeEEEZNS1_21radix_sort_block_sortIS4_Lb1EPKfPfPS6_SC_NS0_19identity_decomposerEEE10hipError_tT1_T2_T3_T4_jRjT5_jjP12ihipStream_tbEUlT_E_NS1_11comp_targetILNS1_3genE5ELNS1_11target_archE942ELNS1_3gpuE9ELNS1_3repE0EEENS1_44radix_sort_block_sort_config_static_selectorELNS0_4arch9wavefront6targetE0EEEvSF_,comdat
.Lfunc_end1244:
	.size	_ZN7rocprim17ROCPRIM_400000_NS6detail17trampoline_kernelINS0_13kernel_configILj256ELj4ELj4294967295EEENS1_37radix_sort_block_sort_config_selectorIfNS0_10empty_typeEEEZNS1_21radix_sort_block_sortIS4_Lb1EPKfPfPS6_SC_NS0_19identity_decomposerEEE10hipError_tT1_T2_T3_T4_jRjT5_jjP12ihipStream_tbEUlT_E_NS1_11comp_targetILNS1_3genE5ELNS1_11target_archE942ELNS1_3gpuE9ELNS1_3repE0EEENS1_44radix_sort_block_sort_config_static_selectorELNS0_4arch9wavefront6targetE0EEEvSF_, .Lfunc_end1244-_ZN7rocprim17ROCPRIM_400000_NS6detail17trampoline_kernelINS0_13kernel_configILj256ELj4ELj4294967295EEENS1_37radix_sort_block_sort_config_selectorIfNS0_10empty_typeEEEZNS1_21radix_sort_block_sortIS4_Lb1EPKfPfPS6_SC_NS0_19identity_decomposerEEE10hipError_tT1_T2_T3_T4_jRjT5_jjP12ihipStream_tbEUlT_E_NS1_11comp_targetILNS1_3genE5ELNS1_11target_archE942ELNS1_3gpuE9ELNS1_3repE0EEENS1_44radix_sort_block_sort_config_static_selectorELNS0_4arch9wavefront6targetE0EEEvSF_
                                        ; -- End function
	.set _ZN7rocprim17ROCPRIM_400000_NS6detail17trampoline_kernelINS0_13kernel_configILj256ELj4ELj4294967295EEENS1_37radix_sort_block_sort_config_selectorIfNS0_10empty_typeEEEZNS1_21radix_sort_block_sortIS4_Lb1EPKfPfPS6_SC_NS0_19identity_decomposerEEE10hipError_tT1_T2_T3_T4_jRjT5_jjP12ihipStream_tbEUlT_E_NS1_11comp_targetILNS1_3genE5ELNS1_11target_archE942ELNS1_3gpuE9ELNS1_3repE0EEENS1_44radix_sort_block_sort_config_static_selectorELNS0_4arch9wavefront6targetE0EEEvSF_.num_vgpr, 0
	.set _ZN7rocprim17ROCPRIM_400000_NS6detail17trampoline_kernelINS0_13kernel_configILj256ELj4ELj4294967295EEENS1_37radix_sort_block_sort_config_selectorIfNS0_10empty_typeEEEZNS1_21radix_sort_block_sortIS4_Lb1EPKfPfPS6_SC_NS0_19identity_decomposerEEE10hipError_tT1_T2_T3_T4_jRjT5_jjP12ihipStream_tbEUlT_E_NS1_11comp_targetILNS1_3genE5ELNS1_11target_archE942ELNS1_3gpuE9ELNS1_3repE0EEENS1_44radix_sort_block_sort_config_static_selectorELNS0_4arch9wavefront6targetE0EEEvSF_.num_agpr, 0
	.set _ZN7rocprim17ROCPRIM_400000_NS6detail17trampoline_kernelINS0_13kernel_configILj256ELj4ELj4294967295EEENS1_37radix_sort_block_sort_config_selectorIfNS0_10empty_typeEEEZNS1_21radix_sort_block_sortIS4_Lb1EPKfPfPS6_SC_NS0_19identity_decomposerEEE10hipError_tT1_T2_T3_T4_jRjT5_jjP12ihipStream_tbEUlT_E_NS1_11comp_targetILNS1_3genE5ELNS1_11target_archE942ELNS1_3gpuE9ELNS1_3repE0EEENS1_44radix_sort_block_sort_config_static_selectorELNS0_4arch9wavefront6targetE0EEEvSF_.numbered_sgpr, 0
	.set _ZN7rocprim17ROCPRIM_400000_NS6detail17trampoline_kernelINS0_13kernel_configILj256ELj4ELj4294967295EEENS1_37radix_sort_block_sort_config_selectorIfNS0_10empty_typeEEEZNS1_21radix_sort_block_sortIS4_Lb1EPKfPfPS6_SC_NS0_19identity_decomposerEEE10hipError_tT1_T2_T3_T4_jRjT5_jjP12ihipStream_tbEUlT_E_NS1_11comp_targetILNS1_3genE5ELNS1_11target_archE942ELNS1_3gpuE9ELNS1_3repE0EEENS1_44radix_sort_block_sort_config_static_selectorELNS0_4arch9wavefront6targetE0EEEvSF_.num_named_barrier, 0
	.set _ZN7rocprim17ROCPRIM_400000_NS6detail17trampoline_kernelINS0_13kernel_configILj256ELj4ELj4294967295EEENS1_37radix_sort_block_sort_config_selectorIfNS0_10empty_typeEEEZNS1_21radix_sort_block_sortIS4_Lb1EPKfPfPS6_SC_NS0_19identity_decomposerEEE10hipError_tT1_T2_T3_T4_jRjT5_jjP12ihipStream_tbEUlT_E_NS1_11comp_targetILNS1_3genE5ELNS1_11target_archE942ELNS1_3gpuE9ELNS1_3repE0EEENS1_44radix_sort_block_sort_config_static_selectorELNS0_4arch9wavefront6targetE0EEEvSF_.private_seg_size, 0
	.set _ZN7rocprim17ROCPRIM_400000_NS6detail17trampoline_kernelINS0_13kernel_configILj256ELj4ELj4294967295EEENS1_37radix_sort_block_sort_config_selectorIfNS0_10empty_typeEEEZNS1_21radix_sort_block_sortIS4_Lb1EPKfPfPS6_SC_NS0_19identity_decomposerEEE10hipError_tT1_T2_T3_T4_jRjT5_jjP12ihipStream_tbEUlT_E_NS1_11comp_targetILNS1_3genE5ELNS1_11target_archE942ELNS1_3gpuE9ELNS1_3repE0EEENS1_44radix_sort_block_sort_config_static_selectorELNS0_4arch9wavefront6targetE0EEEvSF_.uses_vcc, 0
	.set _ZN7rocprim17ROCPRIM_400000_NS6detail17trampoline_kernelINS0_13kernel_configILj256ELj4ELj4294967295EEENS1_37radix_sort_block_sort_config_selectorIfNS0_10empty_typeEEEZNS1_21radix_sort_block_sortIS4_Lb1EPKfPfPS6_SC_NS0_19identity_decomposerEEE10hipError_tT1_T2_T3_T4_jRjT5_jjP12ihipStream_tbEUlT_E_NS1_11comp_targetILNS1_3genE5ELNS1_11target_archE942ELNS1_3gpuE9ELNS1_3repE0EEENS1_44radix_sort_block_sort_config_static_selectorELNS0_4arch9wavefront6targetE0EEEvSF_.uses_flat_scratch, 0
	.set _ZN7rocprim17ROCPRIM_400000_NS6detail17trampoline_kernelINS0_13kernel_configILj256ELj4ELj4294967295EEENS1_37radix_sort_block_sort_config_selectorIfNS0_10empty_typeEEEZNS1_21radix_sort_block_sortIS4_Lb1EPKfPfPS6_SC_NS0_19identity_decomposerEEE10hipError_tT1_T2_T3_T4_jRjT5_jjP12ihipStream_tbEUlT_E_NS1_11comp_targetILNS1_3genE5ELNS1_11target_archE942ELNS1_3gpuE9ELNS1_3repE0EEENS1_44radix_sort_block_sort_config_static_selectorELNS0_4arch9wavefront6targetE0EEEvSF_.has_dyn_sized_stack, 0
	.set _ZN7rocprim17ROCPRIM_400000_NS6detail17trampoline_kernelINS0_13kernel_configILj256ELj4ELj4294967295EEENS1_37radix_sort_block_sort_config_selectorIfNS0_10empty_typeEEEZNS1_21radix_sort_block_sortIS4_Lb1EPKfPfPS6_SC_NS0_19identity_decomposerEEE10hipError_tT1_T2_T3_T4_jRjT5_jjP12ihipStream_tbEUlT_E_NS1_11comp_targetILNS1_3genE5ELNS1_11target_archE942ELNS1_3gpuE9ELNS1_3repE0EEENS1_44radix_sort_block_sort_config_static_selectorELNS0_4arch9wavefront6targetE0EEEvSF_.has_recursion, 0
	.set _ZN7rocprim17ROCPRIM_400000_NS6detail17trampoline_kernelINS0_13kernel_configILj256ELj4ELj4294967295EEENS1_37radix_sort_block_sort_config_selectorIfNS0_10empty_typeEEEZNS1_21radix_sort_block_sortIS4_Lb1EPKfPfPS6_SC_NS0_19identity_decomposerEEE10hipError_tT1_T2_T3_T4_jRjT5_jjP12ihipStream_tbEUlT_E_NS1_11comp_targetILNS1_3genE5ELNS1_11target_archE942ELNS1_3gpuE9ELNS1_3repE0EEENS1_44radix_sort_block_sort_config_static_selectorELNS0_4arch9wavefront6targetE0EEEvSF_.has_indirect_call, 0
	.section	.AMDGPU.csdata,"",@progbits
; Kernel info:
; codeLenInByte = 0
; TotalNumSgprs: 0
; NumVgprs: 0
; ScratchSize: 0
; MemoryBound: 0
; FloatMode: 240
; IeeeMode: 1
; LDSByteSize: 0 bytes/workgroup (compile time only)
; SGPRBlocks: 0
; VGPRBlocks: 0
; NumSGPRsForWavesPerEU: 1
; NumVGPRsForWavesPerEU: 1
; NamedBarCnt: 0
; Occupancy: 16
; WaveLimiterHint : 0
; COMPUTE_PGM_RSRC2:SCRATCH_EN: 0
; COMPUTE_PGM_RSRC2:USER_SGPR: 2
; COMPUTE_PGM_RSRC2:TRAP_HANDLER: 0
; COMPUTE_PGM_RSRC2:TGID_X_EN: 1
; COMPUTE_PGM_RSRC2:TGID_Y_EN: 0
; COMPUTE_PGM_RSRC2:TGID_Z_EN: 0
; COMPUTE_PGM_RSRC2:TIDIG_COMP_CNT: 0
	.section	.text._ZN7rocprim17ROCPRIM_400000_NS6detail17trampoline_kernelINS0_13kernel_configILj256ELj4ELj4294967295EEENS1_37radix_sort_block_sort_config_selectorIfNS0_10empty_typeEEEZNS1_21radix_sort_block_sortIS4_Lb1EPKfPfPS6_SC_NS0_19identity_decomposerEEE10hipError_tT1_T2_T3_T4_jRjT5_jjP12ihipStream_tbEUlT_E_NS1_11comp_targetILNS1_3genE4ELNS1_11target_archE910ELNS1_3gpuE8ELNS1_3repE0EEENS1_44radix_sort_block_sort_config_static_selectorELNS0_4arch9wavefront6targetE0EEEvSF_,"axG",@progbits,_ZN7rocprim17ROCPRIM_400000_NS6detail17trampoline_kernelINS0_13kernel_configILj256ELj4ELj4294967295EEENS1_37radix_sort_block_sort_config_selectorIfNS0_10empty_typeEEEZNS1_21radix_sort_block_sortIS4_Lb1EPKfPfPS6_SC_NS0_19identity_decomposerEEE10hipError_tT1_T2_T3_T4_jRjT5_jjP12ihipStream_tbEUlT_E_NS1_11comp_targetILNS1_3genE4ELNS1_11target_archE910ELNS1_3gpuE8ELNS1_3repE0EEENS1_44radix_sort_block_sort_config_static_selectorELNS0_4arch9wavefront6targetE0EEEvSF_,comdat
	.protected	_ZN7rocprim17ROCPRIM_400000_NS6detail17trampoline_kernelINS0_13kernel_configILj256ELj4ELj4294967295EEENS1_37radix_sort_block_sort_config_selectorIfNS0_10empty_typeEEEZNS1_21radix_sort_block_sortIS4_Lb1EPKfPfPS6_SC_NS0_19identity_decomposerEEE10hipError_tT1_T2_T3_T4_jRjT5_jjP12ihipStream_tbEUlT_E_NS1_11comp_targetILNS1_3genE4ELNS1_11target_archE910ELNS1_3gpuE8ELNS1_3repE0EEENS1_44radix_sort_block_sort_config_static_selectorELNS0_4arch9wavefront6targetE0EEEvSF_ ; -- Begin function _ZN7rocprim17ROCPRIM_400000_NS6detail17trampoline_kernelINS0_13kernel_configILj256ELj4ELj4294967295EEENS1_37radix_sort_block_sort_config_selectorIfNS0_10empty_typeEEEZNS1_21radix_sort_block_sortIS4_Lb1EPKfPfPS6_SC_NS0_19identity_decomposerEEE10hipError_tT1_T2_T3_T4_jRjT5_jjP12ihipStream_tbEUlT_E_NS1_11comp_targetILNS1_3genE4ELNS1_11target_archE910ELNS1_3gpuE8ELNS1_3repE0EEENS1_44radix_sort_block_sort_config_static_selectorELNS0_4arch9wavefront6targetE0EEEvSF_
	.globl	_ZN7rocprim17ROCPRIM_400000_NS6detail17trampoline_kernelINS0_13kernel_configILj256ELj4ELj4294967295EEENS1_37radix_sort_block_sort_config_selectorIfNS0_10empty_typeEEEZNS1_21radix_sort_block_sortIS4_Lb1EPKfPfPS6_SC_NS0_19identity_decomposerEEE10hipError_tT1_T2_T3_T4_jRjT5_jjP12ihipStream_tbEUlT_E_NS1_11comp_targetILNS1_3genE4ELNS1_11target_archE910ELNS1_3gpuE8ELNS1_3repE0EEENS1_44radix_sort_block_sort_config_static_selectorELNS0_4arch9wavefront6targetE0EEEvSF_
	.p2align	8
	.type	_ZN7rocprim17ROCPRIM_400000_NS6detail17trampoline_kernelINS0_13kernel_configILj256ELj4ELj4294967295EEENS1_37radix_sort_block_sort_config_selectorIfNS0_10empty_typeEEEZNS1_21radix_sort_block_sortIS4_Lb1EPKfPfPS6_SC_NS0_19identity_decomposerEEE10hipError_tT1_T2_T3_T4_jRjT5_jjP12ihipStream_tbEUlT_E_NS1_11comp_targetILNS1_3genE4ELNS1_11target_archE910ELNS1_3gpuE8ELNS1_3repE0EEENS1_44radix_sort_block_sort_config_static_selectorELNS0_4arch9wavefront6targetE0EEEvSF_,@function
_ZN7rocprim17ROCPRIM_400000_NS6detail17trampoline_kernelINS0_13kernel_configILj256ELj4ELj4294967295EEENS1_37radix_sort_block_sort_config_selectorIfNS0_10empty_typeEEEZNS1_21radix_sort_block_sortIS4_Lb1EPKfPfPS6_SC_NS0_19identity_decomposerEEE10hipError_tT1_T2_T3_T4_jRjT5_jjP12ihipStream_tbEUlT_E_NS1_11comp_targetILNS1_3genE4ELNS1_11target_archE910ELNS1_3gpuE8ELNS1_3repE0EEENS1_44radix_sort_block_sort_config_static_selectorELNS0_4arch9wavefront6targetE0EEEvSF_: ; @_ZN7rocprim17ROCPRIM_400000_NS6detail17trampoline_kernelINS0_13kernel_configILj256ELj4ELj4294967295EEENS1_37radix_sort_block_sort_config_selectorIfNS0_10empty_typeEEEZNS1_21radix_sort_block_sortIS4_Lb1EPKfPfPS6_SC_NS0_19identity_decomposerEEE10hipError_tT1_T2_T3_T4_jRjT5_jjP12ihipStream_tbEUlT_E_NS1_11comp_targetILNS1_3genE4ELNS1_11target_archE910ELNS1_3gpuE8ELNS1_3repE0EEENS1_44radix_sort_block_sort_config_static_selectorELNS0_4arch9wavefront6targetE0EEEvSF_
; %bb.0:
	.section	.rodata,"a",@progbits
	.p2align	6, 0x0
	.amdhsa_kernel _ZN7rocprim17ROCPRIM_400000_NS6detail17trampoline_kernelINS0_13kernel_configILj256ELj4ELj4294967295EEENS1_37radix_sort_block_sort_config_selectorIfNS0_10empty_typeEEEZNS1_21radix_sort_block_sortIS4_Lb1EPKfPfPS6_SC_NS0_19identity_decomposerEEE10hipError_tT1_T2_T3_T4_jRjT5_jjP12ihipStream_tbEUlT_E_NS1_11comp_targetILNS1_3genE4ELNS1_11target_archE910ELNS1_3gpuE8ELNS1_3repE0EEENS1_44radix_sort_block_sort_config_static_selectorELNS0_4arch9wavefront6targetE0EEEvSF_
		.amdhsa_group_segment_fixed_size 0
		.amdhsa_private_segment_fixed_size 0
		.amdhsa_kernarg_size 48
		.amdhsa_user_sgpr_count 2
		.amdhsa_user_sgpr_dispatch_ptr 0
		.amdhsa_user_sgpr_queue_ptr 0
		.amdhsa_user_sgpr_kernarg_segment_ptr 1
		.amdhsa_user_sgpr_dispatch_id 0
		.amdhsa_user_sgpr_kernarg_preload_length 0
		.amdhsa_user_sgpr_kernarg_preload_offset 0
		.amdhsa_user_sgpr_private_segment_size 0
		.amdhsa_wavefront_size32 1
		.amdhsa_uses_dynamic_stack 0
		.amdhsa_enable_private_segment 0
		.amdhsa_system_sgpr_workgroup_id_x 1
		.amdhsa_system_sgpr_workgroup_id_y 0
		.amdhsa_system_sgpr_workgroup_id_z 0
		.amdhsa_system_sgpr_workgroup_info 0
		.amdhsa_system_vgpr_workitem_id 0
		.amdhsa_next_free_vgpr 1
		.amdhsa_next_free_sgpr 1
		.amdhsa_named_barrier_count 0
		.amdhsa_reserve_vcc 0
		.amdhsa_float_round_mode_32 0
		.amdhsa_float_round_mode_16_64 0
		.amdhsa_float_denorm_mode_32 3
		.amdhsa_float_denorm_mode_16_64 3
		.amdhsa_fp16_overflow 0
		.amdhsa_memory_ordered 1
		.amdhsa_forward_progress 1
		.amdhsa_inst_pref_size 0
		.amdhsa_round_robin_scheduling 0
		.amdhsa_exception_fp_ieee_invalid_op 0
		.amdhsa_exception_fp_denorm_src 0
		.amdhsa_exception_fp_ieee_div_zero 0
		.amdhsa_exception_fp_ieee_overflow 0
		.amdhsa_exception_fp_ieee_underflow 0
		.amdhsa_exception_fp_ieee_inexact 0
		.amdhsa_exception_int_div_zero 0
	.end_amdhsa_kernel
	.section	.text._ZN7rocprim17ROCPRIM_400000_NS6detail17trampoline_kernelINS0_13kernel_configILj256ELj4ELj4294967295EEENS1_37radix_sort_block_sort_config_selectorIfNS0_10empty_typeEEEZNS1_21radix_sort_block_sortIS4_Lb1EPKfPfPS6_SC_NS0_19identity_decomposerEEE10hipError_tT1_T2_T3_T4_jRjT5_jjP12ihipStream_tbEUlT_E_NS1_11comp_targetILNS1_3genE4ELNS1_11target_archE910ELNS1_3gpuE8ELNS1_3repE0EEENS1_44radix_sort_block_sort_config_static_selectorELNS0_4arch9wavefront6targetE0EEEvSF_,"axG",@progbits,_ZN7rocprim17ROCPRIM_400000_NS6detail17trampoline_kernelINS0_13kernel_configILj256ELj4ELj4294967295EEENS1_37radix_sort_block_sort_config_selectorIfNS0_10empty_typeEEEZNS1_21radix_sort_block_sortIS4_Lb1EPKfPfPS6_SC_NS0_19identity_decomposerEEE10hipError_tT1_T2_T3_T4_jRjT5_jjP12ihipStream_tbEUlT_E_NS1_11comp_targetILNS1_3genE4ELNS1_11target_archE910ELNS1_3gpuE8ELNS1_3repE0EEENS1_44radix_sort_block_sort_config_static_selectorELNS0_4arch9wavefront6targetE0EEEvSF_,comdat
.Lfunc_end1245:
	.size	_ZN7rocprim17ROCPRIM_400000_NS6detail17trampoline_kernelINS0_13kernel_configILj256ELj4ELj4294967295EEENS1_37radix_sort_block_sort_config_selectorIfNS0_10empty_typeEEEZNS1_21radix_sort_block_sortIS4_Lb1EPKfPfPS6_SC_NS0_19identity_decomposerEEE10hipError_tT1_T2_T3_T4_jRjT5_jjP12ihipStream_tbEUlT_E_NS1_11comp_targetILNS1_3genE4ELNS1_11target_archE910ELNS1_3gpuE8ELNS1_3repE0EEENS1_44radix_sort_block_sort_config_static_selectorELNS0_4arch9wavefront6targetE0EEEvSF_, .Lfunc_end1245-_ZN7rocprim17ROCPRIM_400000_NS6detail17trampoline_kernelINS0_13kernel_configILj256ELj4ELj4294967295EEENS1_37radix_sort_block_sort_config_selectorIfNS0_10empty_typeEEEZNS1_21radix_sort_block_sortIS4_Lb1EPKfPfPS6_SC_NS0_19identity_decomposerEEE10hipError_tT1_T2_T3_T4_jRjT5_jjP12ihipStream_tbEUlT_E_NS1_11comp_targetILNS1_3genE4ELNS1_11target_archE910ELNS1_3gpuE8ELNS1_3repE0EEENS1_44radix_sort_block_sort_config_static_selectorELNS0_4arch9wavefront6targetE0EEEvSF_
                                        ; -- End function
	.set _ZN7rocprim17ROCPRIM_400000_NS6detail17trampoline_kernelINS0_13kernel_configILj256ELj4ELj4294967295EEENS1_37radix_sort_block_sort_config_selectorIfNS0_10empty_typeEEEZNS1_21radix_sort_block_sortIS4_Lb1EPKfPfPS6_SC_NS0_19identity_decomposerEEE10hipError_tT1_T2_T3_T4_jRjT5_jjP12ihipStream_tbEUlT_E_NS1_11comp_targetILNS1_3genE4ELNS1_11target_archE910ELNS1_3gpuE8ELNS1_3repE0EEENS1_44radix_sort_block_sort_config_static_selectorELNS0_4arch9wavefront6targetE0EEEvSF_.num_vgpr, 0
	.set _ZN7rocprim17ROCPRIM_400000_NS6detail17trampoline_kernelINS0_13kernel_configILj256ELj4ELj4294967295EEENS1_37radix_sort_block_sort_config_selectorIfNS0_10empty_typeEEEZNS1_21radix_sort_block_sortIS4_Lb1EPKfPfPS6_SC_NS0_19identity_decomposerEEE10hipError_tT1_T2_T3_T4_jRjT5_jjP12ihipStream_tbEUlT_E_NS1_11comp_targetILNS1_3genE4ELNS1_11target_archE910ELNS1_3gpuE8ELNS1_3repE0EEENS1_44radix_sort_block_sort_config_static_selectorELNS0_4arch9wavefront6targetE0EEEvSF_.num_agpr, 0
	.set _ZN7rocprim17ROCPRIM_400000_NS6detail17trampoline_kernelINS0_13kernel_configILj256ELj4ELj4294967295EEENS1_37radix_sort_block_sort_config_selectorIfNS0_10empty_typeEEEZNS1_21radix_sort_block_sortIS4_Lb1EPKfPfPS6_SC_NS0_19identity_decomposerEEE10hipError_tT1_T2_T3_T4_jRjT5_jjP12ihipStream_tbEUlT_E_NS1_11comp_targetILNS1_3genE4ELNS1_11target_archE910ELNS1_3gpuE8ELNS1_3repE0EEENS1_44radix_sort_block_sort_config_static_selectorELNS0_4arch9wavefront6targetE0EEEvSF_.numbered_sgpr, 0
	.set _ZN7rocprim17ROCPRIM_400000_NS6detail17trampoline_kernelINS0_13kernel_configILj256ELj4ELj4294967295EEENS1_37radix_sort_block_sort_config_selectorIfNS0_10empty_typeEEEZNS1_21radix_sort_block_sortIS4_Lb1EPKfPfPS6_SC_NS0_19identity_decomposerEEE10hipError_tT1_T2_T3_T4_jRjT5_jjP12ihipStream_tbEUlT_E_NS1_11comp_targetILNS1_3genE4ELNS1_11target_archE910ELNS1_3gpuE8ELNS1_3repE0EEENS1_44radix_sort_block_sort_config_static_selectorELNS0_4arch9wavefront6targetE0EEEvSF_.num_named_barrier, 0
	.set _ZN7rocprim17ROCPRIM_400000_NS6detail17trampoline_kernelINS0_13kernel_configILj256ELj4ELj4294967295EEENS1_37radix_sort_block_sort_config_selectorIfNS0_10empty_typeEEEZNS1_21radix_sort_block_sortIS4_Lb1EPKfPfPS6_SC_NS0_19identity_decomposerEEE10hipError_tT1_T2_T3_T4_jRjT5_jjP12ihipStream_tbEUlT_E_NS1_11comp_targetILNS1_3genE4ELNS1_11target_archE910ELNS1_3gpuE8ELNS1_3repE0EEENS1_44radix_sort_block_sort_config_static_selectorELNS0_4arch9wavefront6targetE0EEEvSF_.private_seg_size, 0
	.set _ZN7rocprim17ROCPRIM_400000_NS6detail17trampoline_kernelINS0_13kernel_configILj256ELj4ELj4294967295EEENS1_37radix_sort_block_sort_config_selectorIfNS0_10empty_typeEEEZNS1_21radix_sort_block_sortIS4_Lb1EPKfPfPS6_SC_NS0_19identity_decomposerEEE10hipError_tT1_T2_T3_T4_jRjT5_jjP12ihipStream_tbEUlT_E_NS1_11comp_targetILNS1_3genE4ELNS1_11target_archE910ELNS1_3gpuE8ELNS1_3repE0EEENS1_44radix_sort_block_sort_config_static_selectorELNS0_4arch9wavefront6targetE0EEEvSF_.uses_vcc, 0
	.set _ZN7rocprim17ROCPRIM_400000_NS6detail17trampoline_kernelINS0_13kernel_configILj256ELj4ELj4294967295EEENS1_37radix_sort_block_sort_config_selectorIfNS0_10empty_typeEEEZNS1_21radix_sort_block_sortIS4_Lb1EPKfPfPS6_SC_NS0_19identity_decomposerEEE10hipError_tT1_T2_T3_T4_jRjT5_jjP12ihipStream_tbEUlT_E_NS1_11comp_targetILNS1_3genE4ELNS1_11target_archE910ELNS1_3gpuE8ELNS1_3repE0EEENS1_44radix_sort_block_sort_config_static_selectorELNS0_4arch9wavefront6targetE0EEEvSF_.uses_flat_scratch, 0
	.set _ZN7rocprim17ROCPRIM_400000_NS6detail17trampoline_kernelINS0_13kernel_configILj256ELj4ELj4294967295EEENS1_37radix_sort_block_sort_config_selectorIfNS0_10empty_typeEEEZNS1_21radix_sort_block_sortIS4_Lb1EPKfPfPS6_SC_NS0_19identity_decomposerEEE10hipError_tT1_T2_T3_T4_jRjT5_jjP12ihipStream_tbEUlT_E_NS1_11comp_targetILNS1_3genE4ELNS1_11target_archE910ELNS1_3gpuE8ELNS1_3repE0EEENS1_44radix_sort_block_sort_config_static_selectorELNS0_4arch9wavefront6targetE0EEEvSF_.has_dyn_sized_stack, 0
	.set _ZN7rocprim17ROCPRIM_400000_NS6detail17trampoline_kernelINS0_13kernel_configILj256ELj4ELj4294967295EEENS1_37radix_sort_block_sort_config_selectorIfNS0_10empty_typeEEEZNS1_21radix_sort_block_sortIS4_Lb1EPKfPfPS6_SC_NS0_19identity_decomposerEEE10hipError_tT1_T2_T3_T4_jRjT5_jjP12ihipStream_tbEUlT_E_NS1_11comp_targetILNS1_3genE4ELNS1_11target_archE910ELNS1_3gpuE8ELNS1_3repE0EEENS1_44radix_sort_block_sort_config_static_selectorELNS0_4arch9wavefront6targetE0EEEvSF_.has_recursion, 0
	.set _ZN7rocprim17ROCPRIM_400000_NS6detail17trampoline_kernelINS0_13kernel_configILj256ELj4ELj4294967295EEENS1_37radix_sort_block_sort_config_selectorIfNS0_10empty_typeEEEZNS1_21radix_sort_block_sortIS4_Lb1EPKfPfPS6_SC_NS0_19identity_decomposerEEE10hipError_tT1_T2_T3_T4_jRjT5_jjP12ihipStream_tbEUlT_E_NS1_11comp_targetILNS1_3genE4ELNS1_11target_archE910ELNS1_3gpuE8ELNS1_3repE0EEENS1_44radix_sort_block_sort_config_static_selectorELNS0_4arch9wavefront6targetE0EEEvSF_.has_indirect_call, 0
	.section	.AMDGPU.csdata,"",@progbits
; Kernel info:
; codeLenInByte = 0
; TotalNumSgprs: 0
; NumVgprs: 0
; ScratchSize: 0
; MemoryBound: 0
; FloatMode: 240
; IeeeMode: 1
; LDSByteSize: 0 bytes/workgroup (compile time only)
; SGPRBlocks: 0
; VGPRBlocks: 0
; NumSGPRsForWavesPerEU: 1
; NumVGPRsForWavesPerEU: 1
; NamedBarCnt: 0
; Occupancy: 16
; WaveLimiterHint : 0
; COMPUTE_PGM_RSRC2:SCRATCH_EN: 0
; COMPUTE_PGM_RSRC2:USER_SGPR: 2
; COMPUTE_PGM_RSRC2:TRAP_HANDLER: 0
; COMPUTE_PGM_RSRC2:TGID_X_EN: 1
; COMPUTE_PGM_RSRC2:TGID_Y_EN: 0
; COMPUTE_PGM_RSRC2:TGID_Z_EN: 0
; COMPUTE_PGM_RSRC2:TIDIG_COMP_CNT: 0
	.section	.text._ZN7rocprim17ROCPRIM_400000_NS6detail17trampoline_kernelINS0_13kernel_configILj256ELj4ELj4294967295EEENS1_37radix_sort_block_sort_config_selectorIfNS0_10empty_typeEEEZNS1_21radix_sort_block_sortIS4_Lb1EPKfPfPS6_SC_NS0_19identity_decomposerEEE10hipError_tT1_T2_T3_T4_jRjT5_jjP12ihipStream_tbEUlT_E_NS1_11comp_targetILNS1_3genE3ELNS1_11target_archE908ELNS1_3gpuE7ELNS1_3repE0EEENS1_44radix_sort_block_sort_config_static_selectorELNS0_4arch9wavefront6targetE0EEEvSF_,"axG",@progbits,_ZN7rocprim17ROCPRIM_400000_NS6detail17trampoline_kernelINS0_13kernel_configILj256ELj4ELj4294967295EEENS1_37radix_sort_block_sort_config_selectorIfNS0_10empty_typeEEEZNS1_21radix_sort_block_sortIS4_Lb1EPKfPfPS6_SC_NS0_19identity_decomposerEEE10hipError_tT1_T2_T3_T4_jRjT5_jjP12ihipStream_tbEUlT_E_NS1_11comp_targetILNS1_3genE3ELNS1_11target_archE908ELNS1_3gpuE7ELNS1_3repE0EEENS1_44radix_sort_block_sort_config_static_selectorELNS0_4arch9wavefront6targetE0EEEvSF_,comdat
	.protected	_ZN7rocprim17ROCPRIM_400000_NS6detail17trampoline_kernelINS0_13kernel_configILj256ELj4ELj4294967295EEENS1_37radix_sort_block_sort_config_selectorIfNS0_10empty_typeEEEZNS1_21radix_sort_block_sortIS4_Lb1EPKfPfPS6_SC_NS0_19identity_decomposerEEE10hipError_tT1_T2_T3_T4_jRjT5_jjP12ihipStream_tbEUlT_E_NS1_11comp_targetILNS1_3genE3ELNS1_11target_archE908ELNS1_3gpuE7ELNS1_3repE0EEENS1_44radix_sort_block_sort_config_static_selectorELNS0_4arch9wavefront6targetE0EEEvSF_ ; -- Begin function _ZN7rocprim17ROCPRIM_400000_NS6detail17trampoline_kernelINS0_13kernel_configILj256ELj4ELj4294967295EEENS1_37radix_sort_block_sort_config_selectorIfNS0_10empty_typeEEEZNS1_21radix_sort_block_sortIS4_Lb1EPKfPfPS6_SC_NS0_19identity_decomposerEEE10hipError_tT1_T2_T3_T4_jRjT5_jjP12ihipStream_tbEUlT_E_NS1_11comp_targetILNS1_3genE3ELNS1_11target_archE908ELNS1_3gpuE7ELNS1_3repE0EEENS1_44radix_sort_block_sort_config_static_selectorELNS0_4arch9wavefront6targetE0EEEvSF_
	.globl	_ZN7rocprim17ROCPRIM_400000_NS6detail17trampoline_kernelINS0_13kernel_configILj256ELj4ELj4294967295EEENS1_37radix_sort_block_sort_config_selectorIfNS0_10empty_typeEEEZNS1_21radix_sort_block_sortIS4_Lb1EPKfPfPS6_SC_NS0_19identity_decomposerEEE10hipError_tT1_T2_T3_T4_jRjT5_jjP12ihipStream_tbEUlT_E_NS1_11comp_targetILNS1_3genE3ELNS1_11target_archE908ELNS1_3gpuE7ELNS1_3repE0EEENS1_44radix_sort_block_sort_config_static_selectorELNS0_4arch9wavefront6targetE0EEEvSF_
	.p2align	8
	.type	_ZN7rocprim17ROCPRIM_400000_NS6detail17trampoline_kernelINS0_13kernel_configILj256ELj4ELj4294967295EEENS1_37radix_sort_block_sort_config_selectorIfNS0_10empty_typeEEEZNS1_21radix_sort_block_sortIS4_Lb1EPKfPfPS6_SC_NS0_19identity_decomposerEEE10hipError_tT1_T2_T3_T4_jRjT5_jjP12ihipStream_tbEUlT_E_NS1_11comp_targetILNS1_3genE3ELNS1_11target_archE908ELNS1_3gpuE7ELNS1_3repE0EEENS1_44radix_sort_block_sort_config_static_selectorELNS0_4arch9wavefront6targetE0EEEvSF_,@function
_ZN7rocprim17ROCPRIM_400000_NS6detail17trampoline_kernelINS0_13kernel_configILj256ELj4ELj4294967295EEENS1_37radix_sort_block_sort_config_selectorIfNS0_10empty_typeEEEZNS1_21radix_sort_block_sortIS4_Lb1EPKfPfPS6_SC_NS0_19identity_decomposerEEE10hipError_tT1_T2_T3_T4_jRjT5_jjP12ihipStream_tbEUlT_E_NS1_11comp_targetILNS1_3genE3ELNS1_11target_archE908ELNS1_3gpuE7ELNS1_3repE0EEENS1_44radix_sort_block_sort_config_static_selectorELNS0_4arch9wavefront6targetE0EEEvSF_: ; @_ZN7rocprim17ROCPRIM_400000_NS6detail17trampoline_kernelINS0_13kernel_configILj256ELj4ELj4294967295EEENS1_37radix_sort_block_sort_config_selectorIfNS0_10empty_typeEEEZNS1_21radix_sort_block_sortIS4_Lb1EPKfPfPS6_SC_NS0_19identity_decomposerEEE10hipError_tT1_T2_T3_T4_jRjT5_jjP12ihipStream_tbEUlT_E_NS1_11comp_targetILNS1_3genE3ELNS1_11target_archE908ELNS1_3gpuE7ELNS1_3repE0EEENS1_44radix_sort_block_sort_config_static_selectorELNS0_4arch9wavefront6targetE0EEEvSF_
; %bb.0:
	.section	.rodata,"a",@progbits
	.p2align	6, 0x0
	.amdhsa_kernel _ZN7rocprim17ROCPRIM_400000_NS6detail17trampoline_kernelINS0_13kernel_configILj256ELj4ELj4294967295EEENS1_37radix_sort_block_sort_config_selectorIfNS0_10empty_typeEEEZNS1_21radix_sort_block_sortIS4_Lb1EPKfPfPS6_SC_NS0_19identity_decomposerEEE10hipError_tT1_T2_T3_T4_jRjT5_jjP12ihipStream_tbEUlT_E_NS1_11comp_targetILNS1_3genE3ELNS1_11target_archE908ELNS1_3gpuE7ELNS1_3repE0EEENS1_44radix_sort_block_sort_config_static_selectorELNS0_4arch9wavefront6targetE0EEEvSF_
		.amdhsa_group_segment_fixed_size 0
		.amdhsa_private_segment_fixed_size 0
		.amdhsa_kernarg_size 48
		.amdhsa_user_sgpr_count 2
		.amdhsa_user_sgpr_dispatch_ptr 0
		.amdhsa_user_sgpr_queue_ptr 0
		.amdhsa_user_sgpr_kernarg_segment_ptr 1
		.amdhsa_user_sgpr_dispatch_id 0
		.amdhsa_user_sgpr_kernarg_preload_length 0
		.amdhsa_user_sgpr_kernarg_preload_offset 0
		.amdhsa_user_sgpr_private_segment_size 0
		.amdhsa_wavefront_size32 1
		.amdhsa_uses_dynamic_stack 0
		.amdhsa_enable_private_segment 0
		.amdhsa_system_sgpr_workgroup_id_x 1
		.amdhsa_system_sgpr_workgroup_id_y 0
		.amdhsa_system_sgpr_workgroup_id_z 0
		.amdhsa_system_sgpr_workgroup_info 0
		.amdhsa_system_vgpr_workitem_id 0
		.amdhsa_next_free_vgpr 1
		.amdhsa_next_free_sgpr 1
		.amdhsa_named_barrier_count 0
		.amdhsa_reserve_vcc 0
		.amdhsa_float_round_mode_32 0
		.amdhsa_float_round_mode_16_64 0
		.amdhsa_float_denorm_mode_32 3
		.amdhsa_float_denorm_mode_16_64 3
		.amdhsa_fp16_overflow 0
		.amdhsa_memory_ordered 1
		.amdhsa_forward_progress 1
		.amdhsa_inst_pref_size 0
		.amdhsa_round_robin_scheduling 0
		.amdhsa_exception_fp_ieee_invalid_op 0
		.amdhsa_exception_fp_denorm_src 0
		.amdhsa_exception_fp_ieee_div_zero 0
		.amdhsa_exception_fp_ieee_overflow 0
		.amdhsa_exception_fp_ieee_underflow 0
		.amdhsa_exception_fp_ieee_inexact 0
		.amdhsa_exception_int_div_zero 0
	.end_amdhsa_kernel
	.section	.text._ZN7rocprim17ROCPRIM_400000_NS6detail17trampoline_kernelINS0_13kernel_configILj256ELj4ELj4294967295EEENS1_37radix_sort_block_sort_config_selectorIfNS0_10empty_typeEEEZNS1_21radix_sort_block_sortIS4_Lb1EPKfPfPS6_SC_NS0_19identity_decomposerEEE10hipError_tT1_T2_T3_T4_jRjT5_jjP12ihipStream_tbEUlT_E_NS1_11comp_targetILNS1_3genE3ELNS1_11target_archE908ELNS1_3gpuE7ELNS1_3repE0EEENS1_44radix_sort_block_sort_config_static_selectorELNS0_4arch9wavefront6targetE0EEEvSF_,"axG",@progbits,_ZN7rocprim17ROCPRIM_400000_NS6detail17trampoline_kernelINS0_13kernel_configILj256ELj4ELj4294967295EEENS1_37radix_sort_block_sort_config_selectorIfNS0_10empty_typeEEEZNS1_21radix_sort_block_sortIS4_Lb1EPKfPfPS6_SC_NS0_19identity_decomposerEEE10hipError_tT1_T2_T3_T4_jRjT5_jjP12ihipStream_tbEUlT_E_NS1_11comp_targetILNS1_3genE3ELNS1_11target_archE908ELNS1_3gpuE7ELNS1_3repE0EEENS1_44radix_sort_block_sort_config_static_selectorELNS0_4arch9wavefront6targetE0EEEvSF_,comdat
.Lfunc_end1246:
	.size	_ZN7rocprim17ROCPRIM_400000_NS6detail17trampoline_kernelINS0_13kernel_configILj256ELj4ELj4294967295EEENS1_37radix_sort_block_sort_config_selectorIfNS0_10empty_typeEEEZNS1_21radix_sort_block_sortIS4_Lb1EPKfPfPS6_SC_NS0_19identity_decomposerEEE10hipError_tT1_T2_T3_T4_jRjT5_jjP12ihipStream_tbEUlT_E_NS1_11comp_targetILNS1_3genE3ELNS1_11target_archE908ELNS1_3gpuE7ELNS1_3repE0EEENS1_44radix_sort_block_sort_config_static_selectorELNS0_4arch9wavefront6targetE0EEEvSF_, .Lfunc_end1246-_ZN7rocprim17ROCPRIM_400000_NS6detail17trampoline_kernelINS0_13kernel_configILj256ELj4ELj4294967295EEENS1_37radix_sort_block_sort_config_selectorIfNS0_10empty_typeEEEZNS1_21radix_sort_block_sortIS4_Lb1EPKfPfPS6_SC_NS0_19identity_decomposerEEE10hipError_tT1_T2_T3_T4_jRjT5_jjP12ihipStream_tbEUlT_E_NS1_11comp_targetILNS1_3genE3ELNS1_11target_archE908ELNS1_3gpuE7ELNS1_3repE0EEENS1_44radix_sort_block_sort_config_static_selectorELNS0_4arch9wavefront6targetE0EEEvSF_
                                        ; -- End function
	.set _ZN7rocprim17ROCPRIM_400000_NS6detail17trampoline_kernelINS0_13kernel_configILj256ELj4ELj4294967295EEENS1_37radix_sort_block_sort_config_selectorIfNS0_10empty_typeEEEZNS1_21radix_sort_block_sortIS4_Lb1EPKfPfPS6_SC_NS0_19identity_decomposerEEE10hipError_tT1_T2_T3_T4_jRjT5_jjP12ihipStream_tbEUlT_E_NS1_11comp_targetILNS1_3genE3ELNS1_11target_archE908ELNS1_3gpuE7ELNS1_3repE0EEENS1_44radix_sort_block_sort_config_static_selectorELNS0_4arch9wavefront6targetE0EEEvSF_.num_vgpr, 0
	.set _ZN7rocprim17ROCPRIM_400000_NS6detail17trampoline_kernelINS0_13kernel_configILj256ELj4ELj4294967295EEENS1_37radix_sort_block_sort_config_selectorIfNS0_10empty_typeEEEZNS1_21radix_sort_block_sortIS4_Lb1EPKfPfPS6_SC_NS0_19identity_decomposerEEE10hipError_tT1_T2_T3_T4_jRjT5_jjP12ihipStream_tbEUlT_E_NS1_11comp_targetILNS1_3genE3ELNS1_11target_archE908ELNS1_3gpuE7ELNS1_3repE0EEENS1_44radix_sort_block_sort_config_static_selectorELNS0_4arch9wavefront6targetE0EEEvSF_.num_agpr, 0
	.set _ZN7rocprim17ROCPRIM_400000_NS6detail17trampoline_kernelINS0_13kernel_configILj256ELj4ELj4294967295EEENS1_37radix_sort_block_sort_config_selectorIfNS0_10empty_typeEEEZNS1_21radix_sort_block_sortIS4_Lb1EPKfPfPS6_SC_NS0_19identity_decomposerEEE10hipError_tT1_T2_T3_T4_jRjT5_jjP12ihipStream_tbEUlT_E_NS1_11comp_targetILNS1_3genE3ELNS1_11target_archE908ELNS1_3gpuE7ELNS1_3repE0EEENS1_44radix_sort_block_sort_config_static_selectorELNS0_4arch9wavefront6targetE0EEEvSF_.numbered_sgpr, 0
	.set _ZN7rocprim17ROCPRIM_400000_NS6detail17trampoline_kernelINS0_13kernel_configILj256ELj4ELj4294967295EEENS1_37radix_sort_block_sort_config_selectorIfNS0_10empty_typeEEEZNS1_21radix_sort_block_sortIS4_Lb1EPKfPfPS6_SC_NS0_19identity_decomposerEEE10hipError_tT1_T2_T3_T4_jRjT5_jjP12ihipStream_tbEUlT_E_NS1_11comp_targetILNS1_3genE3ELNS1_11target_archE908ELNS1_3gpuE7ELNS1_3repE0EEENS1_44radix_sort_block_sort_config_static_selectorELNS0_4arch9wavefront6targetE0EEEvSF_.num_named_barrier, 0
	.set _ZN7rocprim17ROCPRIM_400000_NS6detail17trampoline_kernelINS0_13kernel_configILj256ELj4ELj4294967295EEENS1_37radix_sort_block_sort_config_selectorIfNS0_10empty_typeEEEZNS1_21radix_sort_block_sortIS4_Lb1EPKfPfPS6_SC_NS0_19identity_decomposerEEE10hipError_tT1_T2_T3_T4_jRjT5_jjP12ihipStream_tbEUlT_E_NS1_11comp_targetILNS1_3genE3ELNS1_11target_archE908ELNS1_3gpuE7ELNS1_3repE0EEENS1_44radix_sort_block_sort_config_static_selectorELNS0_4arch9wavefront6targetE0EEEvSF_.private_seg_size, 0
	.set _ZN7rocprim17ROCPRIM_400000_NS6detail17trampoline_kernelINS0_13kernel_configILj256ELj4ELj4294967295EEENS1_37radix_sort_block_sort_config_selectorIfNS0_10empty_typeEEEZNS1_21radix_sort_block_sortIS4_Lb1EPKfPfPS6_SC_NS0_19identity_decomposerEEE10hipError_tT1_T2_T3_T4_jRjT5_jjP12ihipStream_tbEUlT_E_NS1_11comp_targetILNS1_3genE3ELNS1_11target_archE908ELNS1_3gpuE7ELNS1_3repE0EEENS1_44radix_sort_block_sort_config_static_selectorELNS0_4arch9wavefront6targetE0EEEvSF_.uses_vcc, 0
	.set _ZN7rocprim17ROCPRIM_400000_NS6detail17trampoline_kernelINS0_13kernel_configILj256ELj4ELj4294967295EEENS1_37radix_sort_block_sort_config_selectorIfNS0_10empty_typeEEEZNS1_21radix_sort_block_sortIS4_Lb1EPKfPfPS6_SC_NS0_19identity_decomposerEEE10hipError_tT1_T2_T3_T4_jRjT5_jjP12ihipStream_tbEUlT_E_NS1_11comp_targetILNS1_3genE3ELNS1_11target_archE908ELNS1_3gpuE7ELNS1_3repE0EEENS1_44radix_sort_block_sort_config_static_selectorELNS0_4arch9wavefront6targetE0EEEvSF_.uses_flat_scratch, 0
	.set _ZN7rocprim17ROCPRIM_400000_NS6detail17trampoline_kernelINS0_13kernel_configILj256ELj4ELj4294967295EEENS1_37radix_sort_block_sort_config_selectorIfNS0_10empty_typeEEEZNS1_21radix_sort_block_sortIS4_Lb1EPKfPfPS6_SC_NS0_19identity_decomposerEEE10hipError_tT1_T2_T3_T4_jRjT5_jjP12ihipStream_tbEUlT_E_NS1_11comp_targetILNS1_3genE3ELNS1_11target_archE908ELNS1_3gpuE7ELNS1_3repE0EEENS1_44radix_sort_block_sort_config_static_selectorELNS0_4arch9wavefront6targetE0EEEvSF_.has_dyn_sized_stack, 0
	.set _ZN7rocprim17ROCPRIM_400000_NS6detail17trampoline_kernelINS0_13kernel_configILj256ELj4ELj4294967295EEENS1_37radix_sort_block_sort_config_selectorIfNS0_10empty_typeEEEZNS1_21radix_sort_block_sortIS4_Lb1EPKfPfPS6_SC_NS0_19identity_decomposerEEE10hipError_tT1_T2_T3_T4_jRjT5_jjP12ihipStream_tbEUlT_E_NS1_11comp_targetILNS1_3genE3ELNS1_11target_archE908ELNS1_3gpuE7ELNS1_3repE0EEENS1_44radix_sort_block_sort_config_static_selectorELNS0_4arch9wavefront6targetE0EEEvSF_.has_recursion, 0
	.set _ZN7rocprim17ROCPRIM_400000_NS6detail17trampoline_kernelINS0_13kernel_configILj256ELj4ELj4294967295EEENS1_37radix_sort_block_sort_config_selectorIfNS0_10empty_typeEEEZNS1_21radix_sort_block_sortIS4_Lb1EPKfPfPS6_SC_NS0_19identity_decomposerEEE10hipError_tT1_T2_T3_T4_jRjT5_jjP12ihipStream_tbEUlT_E_NS1_11comp_targetILNS1_3genE3ELNS1_11target_archE908ELNS1_3gpuE7ELNS1_3repE0EEENS1_44radix_sort_block_sort_config_static_selectorELNS0_4arch9wavefront6targetE0EEEvSF_.has_indirect_call, 0
	.section	.AMDGPU.csdata,"",@progbits
; Kernel info:
; codeLenInByte = 0
; TotalNumSgprs: 0
; NumVgprs: 0
; ScratchSize: 0
; MemoryBound: 0
; FloatMode: 240
; IeeeMode: 1
; LDSByteSize: 0 bytes/workgroup (compile time only)
; SGPRBlocks: 0
; VGPRBlocks: 0
; NumSGPRsForWavesPerEU: 1
; NumVGPRsForWavesPerEU: 1
; NamedBarCnt: 0
; Occupancy: 16
; WaveLimiterHint : 0
; COMPUTE_PGM_RSRC2:SCRATCH_EN: 0
; COMPUTE_PGM_RSRC2:USER_SGPR: 2
; COMPUTE_PGM_RSRC2:TRAP_HANDLER: 0
; COMPUTE_PGM_RSRC2:TGID_X_EN: 1
; COMPUTE_PGM_RSRC2:TGID_Y_EN: 0
; COMPUTE_PGM_RSRC2:TGID_Z_EN: 0
; COMPUTE_PGM_RSRC2:TIDIG_COMP_CNT: 0
	.section	.text._ZN7rocprim17ROCPRIM_400000_NS6detail17trampoline_kernelINS0_13kernel_configILj256ELj4ELj4294967295EEENS1_37radix_sort_block_sort_config_selectorIfNS0_10empty_typeEEEZNS1_21radix_sort_block_sortIS4_Lb1EPKfPfPS6_SC_NS0_19identity_decomposerEEE10hipError_tT1_T2_T3_T4_jRjT5_jjP12ihipStream_tbEUlT_E_NS1_11comp_targetILNS1_3genE2ELNS1_11target_archE906ELNS1_3gpuE6ELNS1_3repE0EEENS1_44radix_sort_block_sort_config_static_selectorELNS0_4arch9wavefront6targetE0EEEvSF_,"axG",@progbits,_ZN7rocprim17ROCPRIM_400000_NS6detail17trampoline_kernelINS0_13kernel_configILj256ELj4ELj4294967295EEENS1_37radix_sort_block_sort_config_selectorIfNS0_10empty_typeEEEZNS1_21radix_sort_block_sortIS4_Lb1EPKfPfPS6_SC_NS0_19identity_decomposerEEE10hipError_tT1_T2_T3_T4_jRjT5_jjP12ihipStream_tbEUlT_E_NS1_11comp_targetILNS1_3genE2ELNS1_11target_archE906ELNS1_3gpuE6ELNS1_3repE0EEENS1_44radix_sort_block_sort_config_static_selectorELNS0_4arch9wavefront6targetE0EEEvSF_,comdat
	.protected	_ZN7rocprim17ROCPRIM_400000_NS6detail17trampoline_kernelINS0_13kernel_configILj256ELj4ELj4294967295EEENS1_37radix_sort_block_sort_config_selectorIfNS0_10empty_typeEEEZNS1_21radix_sort_block_sortIS4_Lb1EPKfPfPS6_SC_NS0_19identity_decomposerEEE10hipError_tT1_T2_T3_T4_jRjT5_jjP12ihipStream_tbEUlT_E_NS1_11comp_targetILNS1_3genE2ELNS1_11target_archE906ELNS1_3gpuE6ELNS1_3repE0EEENS1_44radix_sort_block_sort_config_static_selectorELNS0_4arch9wavefront6targetE0EEEvSF_ ; -- Begin function _ZN7rocprim17ROCPRIM_400000_NS6detail17trampoline_kernelINS0_13kernel_configILj256ELj4ELj4294967295EEENS1_37radix_sort_block_sort_config_selectorIfNS0_10empty_typeEEEZNS1_21radix_sort_block_sortIS4_Lb1EPKfPfPS6_SC_NS0_19identity_decomposerEEE10hipError_tT1_T2_T3_T4_jRjT5_jjP12ihipStream_tbEUlT_E_NS1_11comp_targetILNS1_3genE2ELNS1_11target_archE906ELNS1_3gpuE6ELNS1_3repE0EEENS1_44radix_sort_block_sort_config_static_selectorELNS0_4arch9wavefront6targetE0EEEvSF_
	.globl	_ZN7rocprim17ROCPRIM_400000_NS6detail17trampoline_kernelINS0_13kernel_configILj256ELj4ELj4294967295EEENS1_37radix_sort_block_sort_config_selectorIfNS0_10empty_typeEEEZNS1_21radix_sort_block_sortIS4_Lb1EPKfPfPS6_SC_NS0_19identity_decomposerEEE10hipError_tT1_T2_T3_T4_jRjT5_jjP12ihipStream_tbEUlT_E_NS1_11comp_targetILNS1_3genE2ELNS1_11target_archE906ELNS1_3gpuE6ELNS1_3repE0EEENS1_44radix_sort_block_sort_config_static_selectorELNS0_4arch9wavefront6targetE0EEEvSF_
	.p2align	8
	.type	_ZN7rocprim17ROCPRIM_400000_NS6detail17trampoline_kernelINS0_13kernel_configILj256ELj4ELj4294967295EEENS1_37radix_sort_block_sort_config_selectorIfNS0_10empty_typeEEEZNS1_21radix_sort_block_sortIS4_Lb1EPKfPfPS6_SC_NS0_19identity_decomposerEEE10hipError_tT1_T2_T3_T4_jRjT5_jjP12ihipStream_tbEUlT_E_NS1_11comp_targetILNS1_3genE2ELNS1_11target_archE906ELNS1_3gpuE6ELNS1_3repE0EEENS1_44radix_sort_block_sort_config_static_selectorELNS0_4arch9wavefront6targetE0EEEvSF_,@function
_ZN7rocprim17ROCPRIM_400000_NS6detail17trampoline_kernelINS0_13kernel_configILj256ELj4ELj4294967295EEENS1_37radix_sort_block_sort_config_selectorIfNS0_10empty_typeEEEZNS1_21radix_sort_block_sortIS4_Lb1EPKfPfPS6_SC_NS0_19identity_decomposerEEE10hipError_tT1_T2_T3_T4_jRjT5_jjP12ihipStream_tbEUlT_E_NS1_11comp_targetILNS1_3genE2ELNS1_11target_archE906ELNS1_3gpuE6ELNS1_3repE0EEENS1_44radix_sort_block_sort_config_static_selectorELNS0_4arch9wavefront6targetE0EEEvSF_: ; @_ZN7rocprim17ROCPRIM_400000_NS6detail17trampoline_kernelINS0_13kernel_configILj256ELj4ELj4294967295EEENS1_37radix_sort_block_sort_config_selectorIfNS0_10empty_typeEEEZNS1_21radix_sort_block_sortIS4_Lb1EPKfPfPS6_SC_NS0_19identity_decomposerEEE10hipError_tT1_T2_T3_T4_jRjT5_jjP12ihipStream_tbEUlT_E_NS1_11comp_targetILNS1_3genE2ELNS1_11target_archE906ELNS1_3gpuE6ELNS1_3repE0EEENS1_44radix_sort_block_sort_config_static_selectorELNS0_4arch9wavefront6targetE0EEEvSF_
; %bb.0:
	.section	.rodata,"a",@progbits
	.p2align	6, 0x0
	.amdhsa_kernel _ZN7rocprim17ROCPRIM_400000_NS6detail17trampoline_kernelINS0_13kernel_configILj256ELj4ELj4294967295EEENS1_37radix_sort_block_sort_config_selectorIfNS0_10empty_typeEEEZNS1_21radix_sort_block_sortIS4_Lb1EPKfPfPS6_SC_NS0_19identity_decomposerEEE10hipError_tT1_T2_T3_T4_jRjT5_jjP12ihipStream_tbEUlT_E_NS1_11comp_targetILNS1_3genE2ELNS1_11target_archE906ELNS1_3gpuE6ELNS1_3repE0EEENS1_44radix_sort_block_sort_config_static_selectorELNS0_4arch9wavefront6targetE0EEEvSF_
		.amdhsa_group_segment_fixed_size 0
		.amdhsa_private_segment_fixed_size 0
		.amdhsa_kernarg_size 48
		.amdhsa_user_sgpr_count 2
		.amdhsa_user_sgpr_dispatch_ptr 0
		.amdhsa_user_sgpr_queue_ptr 0
		.amdhsa_user_sgpr_kernarg_segment_ptr 1
		.amdhsa_user_sgpr_dispatch_id 0
		.amdhsa_user_sgpr_kernarg_preload_length 0
		.amdhsa_user_sgpr_kernarg_preload_offset 0
		.amdhsa_user_sgpr_private_segment_size 0
		.amdhsa_wavefront_size32 1
		.amdhsa_uses_dynamic_stack 0
		.amdhsa_enable_private_segment 0
		.amdhsa_system_sgpr_workgroup_id_x 1
		.amdhsa_system_sgpr_workgroup_id_y 0
		.amdhsa_system_sgpr_workgroup_id_z 0
		.amdhsa_system_sgpr_workgroup_info 0
		.amdhsa_system_vgpr_workitem_id 0
		.amdhsa_next_free_vgpr 1
		.amdhsa_next_free_sgpr 1
		.amdhsa_named_barrier_count 0
		.amdhsa_reserve_vcc 0
		.amdhsa_float_round_mode_32 0
		.amdhsa_float_round_mode_16_64 0
		.amdhsa_float_denorm_mode_32 3
		.amdhsa_float_denorm_mode_16_64 3
		.amdhsa_fp16_overflow 0
		.amdhsa_memory_ordered 1
		.amdhsa_forward_progress 1
		.amdhsa_inst_pref_size 0
		.amdhsa_round_robin_scheduling 0
		.amdhsa_exception_fp_ieee_invalid_op 0
		.amdhsa_exception_fp_denorm_src 0
		.amdhsa_exception_fp_ieee_div_zero 0
		.amdhsa_exception_fp_ieee_overflow 0
		.amdhsa_exception_fp_ieee_underflow 0
		.amdhsa_exception_fp_ieee_inexact 0
		.amdhsa_exception_int_div_zero 0
	.end_amdhsa_kernel
	.section	.text._ZN7rocprim17ROCPRIM_400000_NS6detail17trampoline_kernelINS0_13kernel_configILj256ELj4ELj4294967295EEENS1_37radix_sort_block_sort_config_selectorIfNS0_10empty_typeEEEZNS1_21radix_sort_block_sortIS4_Lb1EPKfPfPS6_SC_NS0_19identity_decomposerEEE10hipError_tT1_T2_T3_T4_jRjT5_jjP12ihipStream_tbEUlT_E_NS1_11comp_targetILNS1_3genE2ELNS1_11target_archE906ELNS1_3gpuE6ELNS1_3repE0EEENS1_44radix_sort_block_sort_config_static_selectorELNS0_4arch9wavefront6targetE0EEEvSF_,"axG",@progbits,_ZN7rocprim17ROCPRIM_400000_NS6detail17trampoline_kernelINS0_13kernel_configILj256ELj4ELj4294967295EEENS1_37radix_sort_block_sort_config_selectorIfNS0_10empty_typeEEEZNS1_21radix_sort_block_sortIS4_Lb1EPKfPfPS6_SC_NS0_19identity_decomposerEEE10hipError_tT1_T2_T3_T4_jRjT5_jjP12ihipStream_tbEUlT_E_NS1_11comp_targetILNS1_3genE2ELNS1_11target_archE906ELNS1_3gpuE6ELNS1_3repE0EEENS1_44radix_sort_block_sort_config_static_selectorELNS0_4arch9wavefront6targetE0EEEvSF_,comdat
.Lfunc_end1247:
	.size	_ZN7rocprim17ROCPRIM_400000_NS6detail17trampoline_kernelINS0_13kernel_configILj256ELj4ELj4294967295EEENS1_37radix_sort_block_sort_config_selectorIfNS0_10empty_typeEEEZNS1_21radix_sort_block_sortIS4_Lb1EPKfPfPS6_SC_NS0_19identity_decomposerEEE10hipError_tT1_T2_T3_T4_jRjT5_jjP12ihipStream_tbEUlT_E_NS1_11comp_targetILNS1_3genE2ELNS1_11target_archE906ELNS1_3gpuE6ELNS1_3repE0EEENS1_44radix_sort_block_sort_config_static_selectorELNS0_4arch9wavefront6targetE0EEEvSF_, .Lfunc_end1247-_ZN7rocprim17ROCPRIM_400000_NS6detail17trampoline_kernelINS0_13kernel_configILj256ELj4ELj4294967295EEENS1_37radix_sort_block_sort_config_selectorIfNS0_10empty_typeEEEZNS1_21radix_sort_block_sortIS4_Lb1EPKfPfPS6_SC_NS0_19identity_decomposerEEE10hipError_tT1_T2_T3_T4_jRjT5_jjP12ihipStream_tbEUlT_E_NS1_11comp_targetILNS1_3genE2ELNS1_11target_archE906ELNS1_3gpuE6ELNS1_3repE0EEENS1_44radix_sort_block_sort_config_static_selectorELNS0_4arch9wavefront6targetE0EEEvSF_
                                        ; -- End function
	.set _ZN7rocprim17ROCPRIM_400000_NS6detail17trampoline_kernelINS0_13kernel_configILj256ELj4ELj4294967295EEENS1_37radix_sort_block_sort_config_selectorIfNS0_10empty_typeEEEZNS1_21radix_sort_block_sortIS4_Lb1EPKfPfPS6_SC_NS0_19identity_decomposerEEE10hipError_tT1_T2_T3_T4_jRjT5_jjP12ihipStream_tbEUlT_E_NS1_11comp_targetILNS1_3genE2ELNS1_11target_archE906ELNS1_3gpuE6ELNS1_3repE0EEENS1_44radix_sort_block_sort_config_static_selectorELNS0_4arch9wavefront6targetE0EEEvSF_.num_vgpr, 0
	.set _ZN7rocprim17ROCPRIM_400000_NS6detail17trampoline_kernelINS0_13kernel_configILj256ELj4ELj4294967295EEENS1_37radix_sort_block_sort_config_selectorIfNS0_10empty_typeEEEZNS1_21radix_sort_block_sortIS4_Lb1EPKfPfPS6_SC_NS0_19identity_decomposerEEE10hipError_tT1_T2_T3_T4_jRjT5_jjP12ihipStream_tbEUlT_E_NS1_11comp_targetILNS1_3genE2ELNS1_11target_archE906ELNS1_3gpuE6ELNS1_3repE0EEENS1_44radix_sort_block_sort_config_static_selectorELNS0_4arch9wavefront6targetE0EEEvSF_.num_agpr, 0
	.set _ZN7rocprim17ROCPRIM_400000_NS6detail17trampoline_kernelINS0_13kernel_configILj256ELj4ELj4294967295EEENS1_37radix_sort_block_sort_config_selectorIfNS0_10empty_typeEEEZNS1_21radix_sort_block_sortIS4_Lb1EPKfPfPS6_SC_NS0_19identity_decomposerEEE10hipError_tT1_T2_T3_T4_jRjT5_jjP12ihipStream_tbEUlT_E_NS1_11comp_targetILNS1_3genE2ELNS1_11target_archE906ELNS1_3gpuE6ELNS1_3repE0EEENS1_44radix_sort_block_sort_config_static_selectorELNS0_4arch9wavefront6targetE0EEEvSF_.numbered_sgpr, 0
	.set _ZN7rocprim17ROCPRIM_400000_NS6detail17trampoline_kernelINS0_13kernel_configILj256ELj4ELj4294967295EEENS1_37radix_sort_block_sort_config_selectorIfNS0_10empty_typeEEEZNS1_21radix_sort_block_sortIS4_Lb1EPKfPfPS6_SC_NS0_19identity_decomposerEEE10hipError_tT1_T2_T3_T4_jRjT5_jjP12ihipStream_tbEUlT_E_NS1_11comp_targetILNS1_3genE2ELNS1_11target_archE906ELNS1_3gpuE6ELNS1_3repE0EEENS1_44radix_sort_block_sort_config_static_selectorELNS0_4arch9wavefront6targetE0EEEvSF_.num_named_barrier, 0
	.set _ZN7rocprim17ROCPRIM_400000_NS6detail17trampoline_kernelINS0_13kernel_configILj256ELj4ELj4294967295EEENS1_37radix_sort_block_sort_config_selectorIfNS0_10empty_typeEEEZNS1_21radix_sort_block_sortIS4_Lb1EPKfPfPS6_SC_NS0_19identity_decomposerEEE10hipError_tT1_T2_T3_T4_jRjT5_jjP12ihipStream_tbEUlT_E_NS1_11comp_targetILNS1_3genE2ELNS1_11target_archE906ELNS1_3gpuE6ELNS1_3repE0EEENS1_44radix_sort_block_sort_config_static_selectorELNS0_4arch9wavefront6targetE0EEEvSF_.private_seg_size, 0
	.set _ZN7rocprim17ROCPRIM_400000_NS6detail17trampoline_kernelINS0_13kernel_configILj256ELj4ELj4294967295EEENS1_37radix_sort_block_sort_config_selectorIfNS0_10empty_typeEEEZNS1_21radix_sort_block_sortIS4_Lb1EPKfPfPS6_SC_NS0_19identity_decomposerEEE10hipError_tT1_T2_T3_T4_jRjT5_jjP12ihipStream_tbEUlT_E_NS1_11comp_targetILNS1_3genE2ELNS1_11target_archE906ELNS1_3gpuE6ELNS1_3repE0EEENS1_44radix_sort_block_sort_config_static_selectorELNS0_4arch9wavefront6targetE0EEEvSF_.uses_vcc, 0
	.set _ZN7rocprim17ROCPRIM_400000_NS6detail17trampoline_kernelINS0_13kernel_configILj256ELj4ELj4294967295EEENS1_37radix_sort_block_sort_config_selectorIfNS0_10empty_typeEEEZNS1_21radix_sort_block_sortIS4_Lb1EPKfPfPS6_SC_NS0_19identity_decomposerEEE10hipError_tT1_T2_T3_T4_jRjT5_jjP12ihipStream_tbEUlT_E_NS1_11comp_targetILNS1_3genE2ELNS1_11target_archE906ELNS1_3gpuE6ELNS1_3repE0EEENS1_44radix_sort_block_sort_config_static_selectorELNS0_4arch9wavefront6targetE0EEEvSF_.uses_flat_scratch, 0
	.set _ZN7rocprim17ROCPRIM_400000_NS6detail17trampoline_kernelINS0_13kernel_configILj256ELj4ELj4294967295EEENS1_37radix_sort_block_sort_config_selectorIfNS0_10empty_typeEEEZNS1_21radix_sort_block_sortIS4_Lb1EPKfPfPS6_SC_NS0_19identity_decomposerEEE10hipError_tT1_T2_T3_T4_jRjT5_jjP12ihipStream_tbEUlT_E_NS1_11comp_targetILNS1_3genE2ELNS1_11target_archE906ELNS1_3gpuE6ELNS1_3repE0EEENS1_44radix_sort_block_sort_config_static_selectorELNS0_4arch9wavefront6targetE0EEEvSF_.has_dyn_sized_stack, 0
	.set _ZN7rocprim17ROCPRIM_400000_NS6detail17trampoline_kernelINS0_13kernel_configILj256ELj4ELj4294967295EEENS1_37radix_sort_block_sort_config_selectorIfNS0_10empty_typeEEEZNS1_21radix_sort_block_sortIS4_Lb1EPKfPfPS6_SC_NS0_19identity_decomposerEEE10hipError_tT1_T2_T3_T4_jRjT5_jjP12ihipStream_tbEUlT_E_NS1_11comp_targetILNS1_3genE2ELNS1_11target_archE906ELNS1_3gpuE6ELNS1_3repE0EEENS1_44radix_sort_block_sort_config_static_selectorELNS0_4arch9wavefront6targetE0EEEvSF_.has_recursion, 0
	.set _ZN7rocprim17ROCPRIM_400000_NS6detail17trampoline_kernelINS0_13kernel_configILj256ELj4ELj4294967295EEENS1_37radix_sort_block_sort_config_selectorIfNS0_10empty_typeEEEZNS1_21radix_sort_block_sortIS4_Lb1EPKfPfPS6_SC_NS0_19identity_decomposerEEE10hipError_tT1_T2_T3_T4_jRjT5_jjP12ihipStream_tbEUlT_E_NS1_11comp_targetILNS1_3genE2ELNS1_11target_archE906ELNS1_3gpuE6ELNS1_3repE0EEENS1_44radix_sort_block_sort_config_static_selectorELNS0_4arch9wavefront6targetE0EEEvSF_.has_indirect_call, 0
	.section	.AMDGPU.csdata,"",@progbits
; Kernel info:
; codeLenInByte = 0
; TotalNumSgprs: 0
; NumVgprs: 0
; ScratchSize: 0
; MemoryBound: 0
; FloatMode: 240
; IeeeMode: 1
; LDSByteSize: 0 bytes/workgroup (compile time only)
; SGPRBlocks: 0
; VGPRBlocks: 0
; NumSGPRsForWavesPerEU: 1
; NumVGPRsForWavesPerEU: 1
; NamedBarCnt: 0
; Occupancy: 16
; WaveLimiterHint : 0
; COMPUTE_PGM_RSRC2:SCRATCH_EN: 0
; COMPUTE_PGM_RSRC2:USER_SGPR: 2
; COMPUTE_PGM_RSRC2:TRAP_HANDLER: 0
; COMPUTE_PGM_RSRC2:TGID_X_EN: 1
; COMPUTE_PGM_RSRC2:TGID_Y_EN: 0
; COMPUTE_PGM_RSRC2:TGID_Z_EN: 0
; COMPUTE_PGM_RSRC2:TIDIG_COMP_CNT: 0
	.section	.text._ZN7rocprim17ROCPRIM_400000_NS6detail17trampoline_kernelINS0_13kernel_configILj256ELj4ELj4294967295EEENS1_37radix_sort_block_sort_config_selectorIfNS0_10empty_typeEEEZNS1_21radix_sort_block_sortIS4_Lb1EPKfPfPS6_SC_NS0_19identity_decomposerEEE10hipError_tT1_T2_T3_T4_jRjT5_jjP12ihipStream_tbEUlT_E_NS1_11comp_targetILNS1_3genE10ELNS1_11target_archE1201ELNS1_3gpuE5ELNS1_3repE0EEENS1_44radix_sort_block_sort_config_static_selectorELNS0_4arch9wavefront6targetE0EEEvSF_,"axG",@progbits,_ZN7rocprim17ROCPRIM_400000_NS6detail17trampoline_kernelINS0_13kernel_configILj256ELj4ELj4294967295EEENS1_37radix_sort_block_sort_config_selectorIfNS0_10empty_typeEEEZNS1_21radix_sort_block_sortIS4_Lb1EPKfPfPS6_SC_NS0_19identity_decomposerEEE10hipError_tT1_T2_T3_T4_jRjT5_jjP12ihipStream_tbEUlT_E_NS1_11comp_targetILNS1_3genE10ELNS1_11target_archE1201ELNS1_3gpuE5ELNS1_3repE0EEENS1_44radix_sort_block_sort_config_static_selectorELNS0_4arch9wavefront6targetE0EEEvSF_,comdat
	.protected	_ZN7rocprim17ROCPRIM_400000_NS6detail17trampoline_kernelINS0_13kernel_configILj256ELj4ELj4294967295EEENS1_37radix_sort_block_sort_config_selectorIfNS0_10empty_typeEEEZNS1_21radix_sort_block_sortIS4_Lb1EPKfPfPS6_SC_NS0_19identity_decomposerEEE10hipError_tT1_T2_T3_T4_jRjT5_jjP12ihipStream_tbEUlT_E_NS1_11comp_targetILNS1_3genE10ELNS1_11target_archE1201ELNS1_3gpuE5ELNS1_3repE0EEENS1_44radix_sort_block_sort_config_static_selectorELNS0_4arch9wavefront6targetE0EEEvSF_ ; -- Begin function _ZN7rocprim17ROCPRIM_400000_NS6detail17trampoline_kernelINS0_13kernel_configILj256ELj4ELj4294967295EEENS1_37radix_sort_block_sort_config_selectorIfNS0_10empty_typeEEEZNS1_21radix_sort_block_sortIS4_Lb1EPKfPfPS6_SC_NS0_19identity_decomposerEEE10hipError_tT1_T2_T3_T4_jRjT5_jjP12ihipStream_tbEUlT_E_NS1_11comp_targetILNS1_3genE10ELNS1_11target_archE1201ELNS1_3gpuE5ELNS1_3repE0EEENS1_44radix_sort_block_sort_config_static_selectorELNS0_4arch9wavefront6targetE0EEEvSF_
	.globl	_ZN7rocprim17ROCPRIM_400000_NS6detail17trampoline_kernelINS0_13kernel_configILj256ELj4ELj4294967295EEENS1_37radix_sort_block_sort_config_selectorIfNS0_10empty_typeEEEZNS1_21radix_sort_block_sortIS4_Lb1EPKfPfPS6_SC_NS0_19identity_decomposerEEE10hipError_tT1_T2_T3_T4_jRjT5_jjP12ihipStream_tbEUlT_E_NS1_11comp_targetILNS1_3genE10ELNS1_11target_archE1201ELNS1_3gpuE5ELNS1_3repE0EEENS1_44radix_sort_block_sort_config_static_selectorELNS0_4arch9wavefront6targetE0EEEvSF_
	.p2align	8
	.type	_ZN7rocprim17ROCPRIM_400000_NS6detail17trampoline_kernelINS0_13kernel_configILj256ELj4ELj4294967295EEENS1_37radix_sort_block_sort_config_selectorIfNS0_10empty_typeEEEZNS1_21radix_sort_block_sortIS4_Lb1EPKfPfPS6_SC_NS0_19identity_decomposerEEE10hipError_tT1_T2_T3_T4_jRjT5_jjP12ihipStream_tbEUlT_E_NS1_11comp_targetILNS1_3genE10ELNS1_11target_archE1201ELNS1_3gpuE5ELNS1_3repE0EEENS1_44radix_sort_block_sort_config_static_selectorELNS0_4arch9wavefront6targetE0EEEvSF_,@function
_ZN7rocprim17ROCPRIM_400000_NS6detail17trampoline_kernelINS0_13kernel_configILj256ELj4ELj4294967295EEENS1_37radix_sort_block_sort_config_selectorIfNS0_10empty_typeEEEZNS1_21radix_sort_block_sortIS4_Lb1EPKfPfPS6_SC_NS0_19identity_decomposerEEE10hipError_tT1_T2_T3_T4_jRjT5_jjP12ihipStream_tbEUlT_E_NS1_11comp_targetILNS1_3genE10ELNS1_11target_archE1201ELNS1_3gpuE5ELNS1_3repE0EEENS1_44radix_sort_block_sort_config_static_selectorELNS0_4arch9wavefront6targetE0EEEvSF_: ; @_ZN7rocprim17ROCPRIM_400000_NS6detail17trampoline_kernelINS0_13kernel_configILj256ELj4ELj4294967295EEENS1_37radix_sort_block_sort_config_selectorIfNS0_10empty_typeEEEZNS1_21radix_sort_block_sortIS4_Lb1EPKfPfPS6_SC_NS0_19identity_decomposerEEE10hipError_tT1_T2_T3_T4_jRjT5_jjP12ihipStream_tbEUlT_E_NS1_11comp_targetILNS1_3genE10ELNS1_11target_archE1201ELNS1_3gpuE5ELNS1_3repE0EEENS1_44radix_sort_block_sort_config_static_selectorELNS0_4arch9wavefront6targetE0EEEvSF_
; %bb.0:
	.section	.rodata,"a",@progbits
	.p2align	6, 0x0
	.amdhsa_kernel _ZN7rocprim17ROCPRIM_400000_NS6detail17trampoline_kernelINS0_13kernel_configILj256ELj4ELj4294967295EEENS1_37radix_sort_block_sort_config_selectorIfNS0_10empty_typeEEEZNS1_21radix_sort_block_sortIS4_Lb1EPKfPfPS6_SC_NS0_19identity_decomposerEEE10hipError_tT1_T2_T3_T4_jRjT5_jjP12ihipStream_tbEUlT_E_NS1_11comp_targetILNS1_3genE10ELNS1_11target_archE1201ELNS1_3gpuE5ELNS1_3repE0EEENS1_44radix_sort_block_sort_config_static_selectorELNS0_4arch9wavefront6targetE0EEEvSF_
		.amdhsa_group_segment_fixed_size 0
		.amdhsa_private_segment_fixed_size 0
		.amdhsa_kernarg_size 48
		.amdhsa_user_sgpr_count 2
		.amdhsa_user_sgpr_dispatch_ptr 0
		.amdhsa_user_sgpr_queue_ptr 0
		.amdhsa_user_sgpr_kernarg_segment_ptr 1
		.amdhsa_user_sgpr_dispatch_id 0
		.amdhsa_user_sgpr_kernarg_preload_length 0
		.amdhsa_user_sgpr_kernarg_preload_offset 0
		.amdhsa_user_sgpr_private_segment_size 0
		.amdhsa_wavefront_size32 1
		.amdhsa_uses_dynamic_stack 0
		.amdhsa_enable_private_segment 0
		.amdhsa_system_sgpr_workgroup_id_x 1
		.amdhsa_system_sgpr_workgroup_id_y 0
		.amdhsa_system_sgpr_workgroup_id_z 0
		.amdhsa_system_sgpr_workgroup_info 0
		.amdhsa_system_vgpr_workitem_id 0
		.amdhsa_next_free_vgpr 1
		.amdhsa_next_free_sgpr 1
		.amdhsa_named_barrier_count 0
		.amdhsa_reserve_vcc 0
		.amdhsa_float_round_mode_32 0
		.amdhsa_float_round_mode_16_64 0
		.amdhsa_float_denorm_mode_32 3
		.amdhsa_float_denorm_mode_16_64 3
		.amdhsa_fp16_overflow 0
		.amdhsa_memory_ordered 1
		.amdhsa_forward_progress 1
		.amdhsa_inst_pref_size 0
		.amdhsa_round_robin_scheduling 0
		.amdhsa_exception_fp_ieee_invalid_op 0
		.amdhsa_exception_fp_denorm_src 0
		.amdhsa_exception_fp_ieee_div_zero 0
		.amdhsa_exception_fp_ieee_overflow 0
		.amdhsa_exception_fp_ieee_underflow 0
		.amdhsa_exception_fp_ieee_inexact 0
		.amdhsa_exception_int_div_zero 0
	.end_amdhsa_kernel
	.section	.text._ZN7rocprim17ROCPRIM_400000_NS6detail17trampoline_kernelINS0_13kernel_configILj256ELj4ELj4294967295EEENS1_37radix_sort_block_sort_config_selectorIfNS0_10empty_typeEEEZNS1_21radix_sort_block_sortIS4_Lb1EPKfPfPS6_SC_NS0_19identity_decomposerEEE10hipError_tT1_T2_T3_T4_jRjT5_jjP12ihipStream_tbEUlT_E_NS1_11comp_targetILNS1_3genE10ELNS1_11target_archE1201ELNS1_3gpuE5ELNS1_3repE0EEENS1_44radix_sort_block_sort_config_static_selectorELNS0_4arch9wavefront6targetE0EEEvSF_,"axG",@progbits,_ZN7rocprim17ROCPRIM_400000_NS6detail17trampoline_kernelINS0_13kernel_configILj256ELj4ELj4294967295EEENS1_37radix_sort_block_sort_config_selectorIfNS0_10empty_typeEEEZNS1_21radix_sort_block_sortIS4_Lb1EPKfPfPS6_SC_NS0_19identity_decomposerEEE10hipError_tT1_T2_T3_T4_jRjT5_jjP12ihipStream_tbEUlT_E_NS1_11comp_targetILNS1_3genE10ELNS1_11target_archE1201ELNS1_3gpuE5ELNS1_3repE0EEENS1_44radix_sort_block_sort_config_static_selectorELNS0_4arch9wavefront6targetE0EEEvSF_,comdat
.Lfunc_end1248:
	.size	_ZN7rocprim17ROCPRIM_400000_NS6detail17trampoline_kernelINS0_13kernel_configILj256ELj4ELj4294967295EEENS1_37radix_sort_block_sort_config_selectorIfNS0_10empty_typeEEEZNS1_21radix_sort_block_sortIS4_Lb1EPKfPfPS6_SC_NS0_19identity_decomposerEEE10hipError_tT1_T2_T3_T4_jRjT5_jjP12ihipStream_tbEUlT_E_NS1_11comp_targetILNS1_3genE10ELNS1_11target_archE1201ELNS1_3gpuE5ELNS1_3repE0EEENS1_44radix_sort_block_sort_config_static_selectorELNS0_4arch9wavefront6targetE0EEEvSF_, .Lfunc_end1248-_ZN7rocprim17ROCPRIM_400000_NS6detail17trampoline_kernelINS0_13kernel_configILj256ELj4ELj4294967295EEENS1_37radix_sort_block_sort_config_selectorIfNS0_10empty_typeEEEZNS1_21radix_sort_block_sortIS4_Lb1EPKfPfPS6_SC_NS0_19identity_decomposerEEE10hipError_tT1_T2_T3_T4_jRjT5_jjP12ihipStream_tbEUlT_E_NS1_11comp_targetILNS1_3genE10ELNS1_11target_archE1201ELNS1_3gpuE5ELNS1_3repE0EEENS1_44radix_sort_block_sort_config_static_selectorELNS0_4arch9wavefront6targetE0EEEvSF_
                                        ; -- End function
	.set _ZN7rocprim17ROCPRIM_400000_NS6detail17trampoline_kernelINS0_13kernel_configILj256ELj4ELj4294967295EEENS1_37radix_sort_block_sort_config_selectorIfNS0_10empty_typeEEEZNS1_21radix_sort_block_sortIS4_Lb1EPKfPfPS6_SC_NS0_19identity_decomposerEEE10hipError_tT1_T2_T3_T4_jRjT5_jjP12ihipStream_tbEUlT_E_NS1_11comp_targetILNS1_3genE10ELNS1_11target_archE1201ELNS1_3gpuE5ELNS1_3repE0EEENS1_44radix_sort_block_sort_config_static_selectorELNS0_4arch9wavefront6targetE0EEEvSF_.num_vgpr, 0
	.set _ZN7rocprim17ROCPRIM_400000_NS6detail17trampoline_kernelINS0_13kernel_configILj256ELj4ELj4294967295EEENS1_37radix_sort_block_sort_config_selectorIfNS0_10empty_typeEEEZNS1_21radix_sort_block_sortIS4_Lb1EPKfPfPS6_SC_NS0_19identity_decomposerEEE10hipError_tT1_T2_T3_T4_jRjT5_jjP12ihipStream_tbEUlT_E_NS1_11comp_targetILNS1_3genE10ELNS1_11target_archE1201ELNS1_3gpuE5ELNS1_3repE0EEENS1_44radix_sort_block_sort_config_static_selectorELNS0_4arch9wavefront6targetE0EEEvSF_.num_agpr, 0
	.set _ZN7rocprim17ROCPRIM_400000_NS6detail17trampoline_kernelINS0_13kernel_configILj256ELj4ELj4294967295EEENS1_37radix_sort_block_sort_config_selectorIfNS0_10empty_typeEEEZNS1_21radix_sort_block_sortIS4_Lb1EPKfPfPS6_SC_NS0_19identity_decomposerEEE10hipError_tT1_T2_T3_T4_jRjT5_jjP12ihipStream_tbEUlT_E_NS1_11comp_targetILNS1_3genE10ELNS1_11target_archE1201ELNS1_3gpuE5ELNS1_3repE0EEENS1_44radix_sort_block_sort_config_static_selectorELNS0_4arch9wavefront6targetE0EEEvSF_.numbered_sgpr, 0
	.set _ZN7rocprim17ROCPRIM_400000_NS6detail17trampoline_kernelINS0_13kernel_configILj256ELj4ELj4294967295EEENS1_37radix_sort_block_sort_config_selectorIfNS0_10empty_typeEEEZNS1_21radix_sort_block_sortIS4_Lb1EPKfPfPS6_SC_NS0_19identity_decomposerEEE10hipError_tT1_T2_T3_T4_jRjT5_jjP12ihipStream_tbEUlT_E_NS1_11comp_targetILNS1_3genE10ELNS1_11target_archE1201ELNS1_3gpuE5ELNS1_3repE0EEENS1_44radix_sort_block_sort_config_static_selectorELNS0_4arch9wavefront6targetE0EEEvSF_.num_named_barrier, 0
	.set _ZN7rocprim17ROCPRIM_400000_NS6detail17trampoline_kernelINS0_13kernel_configILj256ELj4ELj4294967295EEENS1_37radix_sort_block_sort_config_selectorIfNS0_10empty_typeEEEZNS1_21radix_sort_block_sortIS4_Lb1EPKfPfPS6_SC_NS0_19identity_decomposerEEE10hipError_tT1_T2_T3_T4_jRjT5_jjP12ihipStream_tbEUlT_E_NS1_11comp_targetILNS1_3genE10ELNS1_11target_archE1201ELNS1_3gpuE5ELNS1_3repE0EEENS1_44radix_sort_block_sort_config_static_selectorELNS0_4arch9wavefront6targetE0EEEvSF_.private_seg_size, 0
	.set _ZN7rocprim17ROCPRIM_400000_NS6detail17trampoline_kernelINS0_13kernel_configILj256ELj4ELj4294967295EEENS1_37radix_sort_block_sort_config_selectorIfNS0_10empty_typeEEEZNS1_21radix_sort_block_sortIS4_Lb1EPKfPfPS6_SC_NS0_19identity_decomposerEEE10hipError_tT1_T2_T3_T4_jRjT5_jjP12ihipStream_tbEUlT_E_NS1_11comp_targetILNS1_3genE10ELNS1_11target_archE1201ELNS1_3gpuE5ELNS1_3repE0EEENS1_44radix_sort_block_sort_config_static_selectorELNS0_4arch9wavefront6targetE0EEEvSF_.uses_vcc, 0
	.set _ZN7rocprim17ROCPRIM_400000_NS6detail17trampoline_kernelINS0_13kernel_configILj256ELj4ELj4294967295EEENS1_37radix_sort_block_sort_config_selectorIfNS0_10empty_typeEEEZNS1_21radix_sort_block_sortIS4_Lb1EPKfPfPS6_SC_NS0_19identity_decomposerEEE10hipError_tT1_T2_T3_T4_jRjT5_jjP12ihipStream_tbEUlT_E_NS1_11comp_targetILNS1_3genE10ELNS1_11target_archE1201ELNS1_3gpuE5ELNS1_3repE0EEENS1_44radix_sort_block_sort_config_static_selectorELNS0_4arch9wavefront6targetE0EEEvSF_.uses_flat_scratch, 0
	.set _ZN7rocprim17ROCPRIM_400000_NS6detail17trampoline_kernelINS0_13kernel_configILj256ELj4ELj4294967295EEENS1_37radix_sort_block_sort_config_selectorIfNS0_10empty_typeEEEZNS1_21radix_sort_block_sortIS4_Lb1EPKfPfPS6_SC_NS0_19identity_decomposerEEE10hipError_tT1_T2_T3_T4_jRjT5_jjP12ihipStream_tbEUlT_E_NS1_11comp_targetILNS1_3genE10ELNS1_11target_archE1201ELNS1_3gpuE5ELNS1_3repE0EEENS1_44radix_sort_block_sort_config_static_selectorELNS0_4arch9wavefront6targetE0EEEvSF_.has_dyn_sized_stack, 0
	.set _ZN7rocprim17ROCPRIM_400000_NS6detail17trampoline_kernelINS0_13kernel_configILj256ELj4ELj4294967295EEENS1_37radix_sort_block_sort_config_selectorIfNS0_10empty_typeEEEZNS1_21radix_sort_block_sortIS4_Lb1EPKfPfPS6_SC_NS0_19identity_decomposerEEE10hipError_tT1_T2_T3_T4_jRjT5_jjP12ihipStream_tbEUlT_E_NS1_11comp_targetILNS1_3genE10ELNS1_11target_archE1201ELNS1_3gpuE5ELNS1_3repE0EEENS1_44radix_sort_block_sort_config_static_selectorELNS0_4arch9wavefront6targetE0EEEvSF_.has_recursion, 0
	.set _ZN7rocprim17ROCPRIM_400000_NS6detail17trampoline_kernelINS0_13kernel_configILj256ELj4ELj4294967295EEENS1_37radix_sort_block_sort_config_selectorIfNS0_10empty_typeEEEZNS1_21radix_sort_block_sortIS4_Lb1EPKfPfPS6_SC_NS0_19identity_decomposerEEE10hipError_tT1_T2_T3_T4_jRjT5_jjP12ihipStream_tbEUlT_E_NS1_11comp_targetILNS1_3genE10ELNS1_11target_archE1201ELNS1_3gpuE5ELNS1_3repE0EEENS1_44radix_sort_block_sort_config_static_selectorELNS0_4arch9wavefront6targetE0EEEvSF_.has_indirect_call, 0
	.section	.AMDGPU.csdata,"",@progbits
; Kernel info:
; codeLenInByte = 0
; TotalNumSgprs: 0
; NumVgprs: 0
; ScratchSize: 0
; MemoryBound: 0
; FloatMode: 240
; IeeeMode: 1
; LDSByteSize: 0 bytes/workgroup (compile time only)
; SGPRBlocks: 0
; VGPRBlocks: 0
; NumSGPRsForWavesPerEU: 1
; NumVGPRsForWavesPerEU: 1
; NamedBarCnt: 0
; Occupancy: 16
; WaveLimiterHint : 0
; COMPUTE_PGM_RSRC2:SCRATCH_EN: 0
; COMPUTE_PGM_RSRC2:USER_SGPR: 2
; COMPUTE_PGM_RSRC2:TRAP_HANDLER: 0
; COMPUTE_PGM_RSRC2:TGID_X_EN: 1
; COMPUTE_PGM_RSRC2:TGID_Y_EN: 0
; COMPUTE_PGM_RSRC2:TGID_Z_EN: 0
; COMPUTE_PGM_RSRC2:TIDIG_COMP_CNT: 0
	.section	.text._ZN7rocprim17ROCPRIM_400000_NS6detail17trampoline_kernelINS0_13kernel_configILj256ELj4ELj4294967295EEENS1_37radix_sort_block_sort_config_selectorIfNS0_10empty_typeEEEZNS1_21radix_sort_block_sortIS4_Lb1EPKfPfPS6_SC_NS0_19identity_decomposerEEE10hipError_tT1_T2_T3_T4_jRjT5_jjP12ihipStream_tbEUlT_E_NS1_11comp_targetILNS1_3genE10ELNS1_11target_archE1200ELNS1_3gpuE4ELNS1_3repE0EEENS1_44radix_sort_block_sort_config_static_selectorELNS0_4arch9wavefront6targetE0EEEvSF_,"axG",@progbits,_ZN7rocprim17ROCPRIM_400000_NS6detail17trampoline_kernelINS0_13kernel_configILj256ELj4ELj4294967295EEENS1_37radix_sort_block_sort_config_selectorIfNS0_10empty_typeEEEZNS1_21radix_sort_block_sortIS4_Lb1EPKfPfPS6_SC_NS0_19identity_decomposerEEE10hipError_tT1_T2_T3_T4_jRjT5_jjP12ihipStream_tbEUlT_E_NS1_11comp_targetILNS1_3genE10ELNS1_11target_archE1200ELNS1_3gpuE4ELNS1_3repE0EEENS1_44radix_sort_block_sort_config_static_selectorELNS0_4arch9wavefront6targetE0EEEvSF_,comdat
	.protected	_ZN7rocprim17ROCPRIM_400000_NS6detail17trampoline_kernelINS0_13kernel_configILj256ELj4ELj4294967295EEENS1_37radix_sort_block_sort_config_selectorIfNS0_10empty_typeEEEZNS1_21radix_sort_block_sortIS4_Lb1EPKfPfPS6_SC_NS0_19identity_decomposerEEE10hipError_tT1_T2_T3_T4_jRjT5_jjP12ihipStream_tbEUlT_E_NS1_11comp_targetILNS1_3genE10ELNS1_11target_archE1200ELNS1_3gpuE4ELNS1_3repE0EEENS1_44radix_sort_block_sort_config_static_selectorELNS0_4arch9wavefront6targetE0EEEvSF_ ; -- Begin function _ZN7rocprim17ROCPRIM_400000_NS6detail17trampoline_kernelINS0_13kernel_configILj256ELj4ELj4294967295EEENS1_37radix_sort_block_sort_config_selectorIfNS0_10empty_typeEEEZNS1_21radix_sort_block_sortIS4_Lb1EPKfPfPS6_SC_NS0_19identity_decomposerEEE10hipError_tT1_T2_T3_T4_jRjT5_jjP12ihipStream_tbEUlT_E_NS1_11comp_targetILNS1_3genE10ELNS1_11target_archE1200ELNS1_3gpuE4ELNS1_3repE0EEENS1_44radix_sort_block_sort_config_static_selectorELNS0_4arch9wavefront6targetE0EEEvSF_
	.globl	_ZN7rocprim17ROCPRIM_400000_NS6detail17trampoline_kernelINS0_13kernel_configILj256ELj4ELj4294967295EEENS1_37radix_sort_block_sort_config_selectorIfNS0_10empty_typeEEEZNS1_21radix_sort_block_sortIS4_Lb1EPKfPfPS6_SC_NS0_19identity_decomposerEEE10hipError_tT1_T2_T3_T4_jRjT5_jjP12ihipStream_tbEUlT_E_NS1_11comp_targetILNS1_3genE10ELNS1_11target_archE1200ELNS1_3gpuE4ELNS1_3repE0EEENS1_44radix_sort_block_sort_config_static_selectorELNS0_4arch9wavefront6targetE0EEEvSF_
	.p2align	8
	.type	_ZN7rocprim17ROCPRIM_400000_NS6detail17trampoline_kernelINS0_13kernel_configILj256ELj4ELj4294967295EEENS1_37radix_sort_block_sort_config_selectorIfNS0_10empty_typeEEEZNS1_21radix_sort_block_sortIS4_Lb1EPKfPfPS6_SC_NS0_19identity_decomposerEEE10hipError_tT1_T2_T3_T4_jRjT5_jjP12ihipStream_tbEUlT_E_NS1_11comp_targetILNS1_3genE10ELNS1_11target_archE1200ELNS1_3gpuE4ELNS1_3repE0EEENS1_44radix_sort_block_sort_config_static_selectorELNS0_4arch9wavefront6targetE0EEEvSF_,@function
_ZN7rocprim17ROCPRIM_400000_NS6detail17trampoline_kernelINS0_13kernel_configILj256ELj4ELj4294967295EEENS1_37radix_sort_block_sort_config_selectorIfNS0_10empty_typeEEEZNS1_21radix_sort_block_sortIS4_Lb1EPKfPfPS6_SC_NS0_19identity_decomposerEEE10hipError_tT1_T2_T3_T4_jRjT5_jjP12ihipStream_tbEUlT_E_NS1_11comp_targetILNS1_3genE10ELNS1_11target_archE1200ELNS1_3gpuE4ELNS1_3repE0EEENS1_44radix_sort_block_sort_config_static_selectorELNS0_4arch9wavefront6targetE0EEEvSF_: ; @_ZN7rocprim17ROCPRIM_400000_NS6detail17trampoline_kernelINS0_13kernel_configILj256ELj4ELj4294967295EEENS1_37radix_sort_block_sort_config_selectorIfNS0_10empty_typeEEEZNS1_21radix_sort_block_sortIS4_Lb1EPKfPfPS6_SC_NS0_19identity_decomposerEEE10hipError_tT1_T2_T3_T4_jRjT5_jjP12ihipStream_tbEUlT_E_NS1_11comp_targetILNS1_3genE10ELNS1_11target_archE1200ELNS1_3gpuE4ELNS1_3repE0EEENS1_44radix_sort_block_sort_config_static_selectorELNS0_4arch9wavefront6targetE0EEEvSF_
; %bb.0:
	.section	.rodata,"a",@progbits
	.p2align	6, 0x0
	.amdhsa_kernel _ZN7rocprim17ROCPRIM_400000_NS6detail17trampoline_kernelINS0_13kernel_configILj256ELj4ELj4294967295EEENS1_37radix_sort_block_sort_config_selectorIfNS0_10empty_typeEEEZNS1_21radix_sort_block_sortIS4_Lb1EPKfPfPS6_SC_NS0_19identity_decomposerEEE10hipError_tT1_T2_T3_T4_jRjT5_jjP12ihipStream_tbEUlT_E_NS1_11comp_targetILNS1_3genE10ELNS1_11target_archE1200ELNS1_3gpuE4ELNS1_3repE0EEENS1_44radix_sort_block_sort_config_static_selectorELNS0_4arch9wavefront6targetE0EEEvSF_
		.amdhsa_group_segment_fixed_size 0
		.amdhsa_private_segment_fixed_size 0
		.amdhsa_kernarg_size 48
		.amdhsa_user_sgpr_count 2
		.amdhsa_user_sgpr_dispatch_ptr 0
		.amdhsa_user_sgpr_queue_ptr 0
		.amdhsa_user_sgpr_kernarg_segment_ptr 1
		.amdhsa_user_sgpr_dispatch_id 0
		.amdhsa_user_sgpr_kernarg_preload_length 0
		.amdhsa_user_sgpr_kernarg_preload_offset 0
		.amdhsa_user_sgpr_private_segment_size 0
		.amdhsa_wavefront_size32 1
		.amdhsa_uses_dynamic_stack 0
		.amdhsa_enable_private_segment 0
		.amdhsa_system_sgpr_workgroup_id_x 1
		.amdhsa_system_sgpr_workgroup_id_y 0
		.amdhsa_system_sgpr_workgroup_id_z 0
		.amdhsa_system_sgpr_workgroup_info 0
		.amdhsa_system_vgpr_workitem_id 0
		.amdhsa_next_free_vgpr 1
		.amdhsa_next_free_sgpr 1
		.amdhsa_named_barrier_count 0
		.amdhsa_reserve_vcc 0
		.amdhsa_float_round_mode_32 0
		.amdhsa_float_round_mode_16_64 0
		.amdhsa_float_denorm_mode_32 3
		.amdhsa_float_denorm_mode_16_64 3
		.amdhsa_fp16_overflow 0
		.amdhsa_memory_ordered 1
		.amdhsa_forward_progress 1
		.amdhsa_inst_pref_size 0
		.amdhsa_round_robin_scheduling 0
		.amdhsa_exception_fp_ieee_invalid_op 0
		.amdhsa_exception_fp_denorm_src 0
		.amdhsa_exception_fp_ieee_div_zero 0
		.amdhsa_exception_fp_ieee_overflow 0
		.amdhsa_exception_fp_ieee_underflow 0
		.amdhsa_exception_fp_ieee_inexact 0
		.amdhsa_exception_int_div_zero 0
	.end_amdhsa_kernel
	.section	.text._ZN7rocprim17ROCPRIM_400000_NS6detail17trampoline_kernelINS0_13kernel_configILj256ELj4ELj4294967295EEENS1_37radix_sort_block_sort_config_selectorIfNS0_10empty_typeEEEZNS1_21radix_sort_block_sortIS4_Lb1EPKfPfPS6_SC_NS0_19identity_decomposerEEE10hipError_tT1_T2_T3_T4_jRjT5_jjP12ihipStream_tbEUlT_E_NS1_11comp_targetILNS1_3genE10ELNS1_11target_archE1200ELNS1_3gpuE4ELNS1_3repE0EEENS1_44radix_sort_block_sort_config_static_selectorELNS0_4arch9wavefront6targetE0EEEvSF_,"axG",@progbits,_ZN7rocprim17ROCPRIM_400000_NS6detail17trampoline_kernelINS0_13kernel_configILj256ELj4ELj4294967295EEENS1_37radix_sort_block_sort_config_selectorIfNS0_10empty_typeEEEZNS1_21radix_sort_block_sortIS4_Lb1EPKfPfPS6_SC_NS0_19identity_decomposerEEE10hipError_tT1_T2_T3_T4_jRjT5_jjP12ihipStream_tbEUlT_E_NS1_11comp_targetILNS1_3genE10ELNS1_11target_archE1200ELNS1_3gpuE4ELNS1_3repE0EEENS1_44radix_sort_block_sort_config_static_selectorELNS0_4arch9wavefront6targetE0EEEvSF_,comdat
.Lfunc_end1249:
	.size	_ZN7rocprim17ROCPRIM_400000_NS6detail17trampoline_kernelINS0_13kernel_configILj256ELj4ELj4294967295EEENS1_37radix_sort_block_sort_config_selectorIfNS0_10empty_typeEEEZNS1_21radix_sort_block_sortIS4_Lb1EPKfPfPS6_SC_NS0_19identity_decomposerEEE10hipError_tT1_T2_T3_T4_jRjT5_jjP12ihipStream_tbEUlT_E_NS1_11comp_targetILNS1_3genE10ELNS1_11target_archE1200ELNS1_3gpuE4ELNS1_3repE0EEENS1_44radix_sort_block_sort_config_static_selectorELNS0_4arch9wavefront6targetE0EEEvSF_, .Lfunc_end1249-_ZN7rocprim17ROCPRIM_400000_NS6detail17trampoline_kernelINS0_13kernel_configILj256ELj4ELj4294967295EEENS1_37radix_sort_block_sort_config_selectorIfNS0_10empty_typeEEEZNS1_21radix_sort_block_sortIS4_Lb1EPKfPfPS6_SC_NS0_19identity_decomposerEEE10hipError_tT1_T2_T3_T4_jRjT5_jjP12ihipStream_tbEUlT_E_NS1_11comp_targetILNS1_3genE10ELNS1_11target_archE1200ELNS1_3gpuE4ELNS1_3repE0EEENS1_44radix_sort_block_sort_config_static_selectorELNS0_4arch9wavefront6targetE0EEEvSF_
                                        ; -- End function
	.set _ZN7rocprim17ROCPRIM_400000_NS6detail17trampoline_kernelINS0_13kernel_configILj256ELj4ELj4294967295EEENS1_37radix_sort_block_sort_config_selectorIfNS0_10empty_typeEEEZNS1_21radix_sort_block_sortIS4_Lb1EPKfPfPS6_SC_NS0_19identity_decomposerEEE10hipError_tT1_T2_T3_T4_jRjT5_jjP12ihipStream_tbEUlT_E_NS1_11comp_targetILNS1_3genE10ELNS1_11target_archE1200ELNS1_3gpuE4ELNS1_3repE0EEENS1_44radix_sort_block_sort_config_static_selectorELNS0_4arch9wavefront6targetE0EEEvSF_.num_vgpr, 0
	.set _ZN7rocprim17ROCPRIM_400000_NS6detail17trampoline_kernelINS0_13kernel_configILj256ELj4ELj4294967295EEENS1_37radix_sort_block_sort_config_selectorIfNS0_10empty_typeEEEZNS1_21radix_sort_block_sortIS4_Lb1EPKfPfPS6_SC_NS0_19identity_decomposerEEE10hipError_tT1_T2_T3_T4_jRjT5_jjP12ihipStream_tbEUlT_E_NS1_11comp_targetILNS1_3genE10ELNS1_11target_archE1200ELNS1_3gpuE4ELNS1_3repE0EEENS1_44radix_sort_block_sort_config_static_selectorELNS0_4arch9wavefront6targetE0EEEvSF_.num_agpr, 0
	.set _ZN7rocprim17ROCPRIM_400000_NS6detail17trampoline_kernelINS0_13kernel_configILj256ELj4ELj4294967295EEENS1_37radix_sort_block_sort_config_selectorIfNS0_10empty_typeEEEZNS1_21radix_sort_block_sortIS4_Lb1EPKfPfPS6_SC_NS0_19identity_decomposerEEE10hipError_tT1_T2_T3_T4_jRjT5_jjP12ihipStream_tbEUlT_E_NS1_11comp_targetILNS1_3genE10ELNS1_11target_archE1200ELNS1_3gpuE4ELNS1_3repE0EEENS1_44radix_sort_block_sort_config_static_selectorELNS0_4arch9wavefront6targetE0EEEvSF_.numbered_sgpr, 0
	.set _ZN7rocprim17ROCPRIM_400000_NS6detail17trampoline_kernelINS0_13kernel_configILj256ELj4ELj4294967295EEENS1_37radix_sort_block_sort_config_selectorIfNS0_10empty_typeEEEZNS1_21radix_sort_block_sortIS4_Lb1EPKfPfPS6_SC_NS0_19identity_decomposerEEE10hipError_tT1_T2_T3_T4_jRjT5_jjP12ihipStream_tbEUlT_E_NS1_11comp_targetILNS1_3genE10ELNS1_11target_archE1200ELNS1_3gpuE4ELNS1_3repE0EEENS1_44radix_sort_block_sort_config_static_selectorELNS0_4arch9wavefront6targetE0EEEvSF_.num_named_barrier, 0
	.set _ZN7rocprim17ROCPRIM_400000_NS6detail17trampoline_kernelINS0_13kernel_configILj256ELj4ELj4294967295EEENS1_37radix_sort_block_sort_config_selectorIfNS0_10empty_typeEEEZNS1_21radix_sort_block_sortIS4_Lb1EPKfPfPS6_SC_NS0_19identity_decomposerEEE10hipError_tT1_T2_T3_T4_jRjT5_jjP12ihipStream_tbEUlT_E_NS1_11comp_targetILNS1_3genE10ELNS1_11target_archE1200ELNS1_3gpuE4ELNS1_3repE0EEENS1_44radix_sort_block_sort_config_static_selectorELNS0_4arch9wavefront6targetE0EEEvSF_.private_seg_size, 0
	.set _ZN7rocprim17ROCPRIM_400000_NS6detail17trampoline_kernelINS0_13kernel_configILj256ELj4ELj4294967295EEENS1_37radix_sort_block_sort_config_selectorIfNS0_10empty_typeEEEZNS1_21radix_sort_block_sortIS4_Lb1EPKfPfPS6_SC_NS0_19identity_decomposerEEE10hipError_tT1_T2_T3_T4_jRjT5_jjP12ihipStream_tbEUlT_E_NS1_11comp_targetILNS1_3genE10ELNS1_11target_archE1200ELNS1_3gpuE4ELNS1_3repE0EEENS1_44radix_sort_block_sort_config_static_selectorELNS0_4arch9wavefront6targetE0EEEvSF_.uses_vcc, 0
	.set _ZN7rocprim17ROCPRIM_400000_NS6detail17trampoline_kernelINS0_13kernel_configILj256ELj4ELj4294967295EEENS1_37radix_sort_block_sort_config_selectorIfNS0_10empty_typeEEEZNS1_21radix_sort_block_sortIS4_Lb1EPKfPfPS6_SC_NS0_19identity_decomposerEEE10hipError_tT1_T2_T3_T4_jRjT5_jjP12ihipStream_tbEUlT_E_NS1_11comp_targetILNS1_3genE10ELNS1_11target_archE1200ELNS1_3gpuE4ELNS1_3repE0EEENS1_44radix_sort_block_sort_config_static_selectorELNS0_4arch9wavefront6targetE0EEEvSF_.uses_flat_scratch, 0
	.set _ZN7rocprim17ROCPRIM_400000_NS6detail17trampoline_kernelINS0_13kernel_configILj256ELj4ELj4294967295EEENS1_37radix_sort_block_sort_config_selectorIfNS0_10empty_typeEEEZNS1_21radix_sort_block_sortIS4_Lb1EPKfPfPS6_SC_NS0_19identity_decomposerEEE10hipError_tT1_T2_T3_T4_jRjT5_jjP12ihipStream_tbEUlT_E_NS1_11comp_targetILNS1_3genE10ELNS1_11target_archE1200ELNS1_3gpuE4ELNS1_3repE0EEENS1_44radix_sort_block_sort_config_static_selectorELNS0_4arch9wavefront6targetE0EEEvSF_.has_dyn_sized_stack, 0
	.set _ZN7rocprim17ROCPRIM_400000_NS6detail17trampoline_kernelINS0_13kernel_configILj256ELj4ELj4294967295EEENS1_37radix_sort_block_sort_config_selectorIfNS0_10empty_typeEEEZNS1_21radix_sort_block_sortIS4_Lb1EPKfPfPS6_SC_NS0_19identity_decomposerEEE10hipError_tT1_T2_T3_T4_jRjT5_jjP12ihipStream_tbEUlT_E_NS1_11comp_targetILNS1_3genE10ELNS1_11target_archE1200ELNS1_3gpuE4ELNS1_3repE0EEENS1_44radix_sort_block_sort_config_static_selectorELNS0_4arch9wavefront6targetE0EEEvSF_.has_recursion, 0
	.set _ZN7rocprim17ROCPRIM_400000_NS6detail17trampoline_kernelINS0_13kernel_configILj256ELj4ELj4294967295EEENS1_37radix_sort_block_sort_config_selectorIfNS0_10empty_typeEEEZNS1_21radix_sort_block_sortIS4_Lb1EPKfPfPS6_SC_NS0_19identity_decomposerEEE10hipError_tT1_T2_T3_T4_jRjT5_jjP12ihipStream_tbEUlT_E_NS1_11comp_targetILNS1_3genE10ELNS1_11target_archE1200ELNS1_3gpuE4ELNS1_3repE0EEENS1_44radix_sort_block_sort_config_static_selectorELNS0_4arch9wavefront6targetE0EEEvSF_.has_indirect_call, 0
	.section	.AMDGPU.csdata,"",@progbits
; Kernel info:
; codeLenInByte = 0
; TotalNumSgprs: 0
; NumVgprs: 0
; ScratchSize: 0
; MemoryBound: 0
; FloatMode: 240
; IeeeMode: 1
; LDSByteSize: 0 bytes/workgroup (compile time only)
; SGPRBlocks: 0
; VGPRBlocks: 0
; NumSGPRsForWavesPerEU: 1
; NumVGPRsForWavesPerEU: 1
; NamedBarCnt: 0
; Occupancy: 16
; WaveLimiterHint : 0
; COMPUTE_PGM_RSRC2:SCRATCH_EN: 0
; COMPUTE_PGM_RSRC2:USER_SGPR: 2
; COMPUTE_PGM_RSRC2:TRAP_HANDLER: 0
; COMPUTE_PGM_RSRC2:TGID_X_EN: 1
; COMPUTE_PGM_RSRC2:TGID_Y_EN: 0
; COMPUTE_PGM_RSRC2:TGID_Z_EN: 0
; COMPUTE_PGM_RSRC2:TIDIG_COMP_CNT: 0
	.section	.text._ZN7rocprim17ROCPRIM_400000_NS6detail17trampoline_kernelINS0_13kernel_configILj256ELj4ELj4294967295EEENS1_37radix_sort_block_sort_config_selectorIfNS0_10empty_typeEEEZNS1_21radix_sort_block_sortIS4_Lb1EPKfPfPS6_SC_NS0_19identity_decomposerEEE10hipError_tT1_T2_T3_T4_jRjT5_jjP12ihipStream_tbEUlT_E_NS1_11comp_targetILNS1_3genE9ELNS1_11target_archE1100ELNS1_3gpuE3ELNS1_3repE0EEENS1_44radix_sort_block_sort_config_static_selectorELNS0_4arch9wavefront6targetE0EEEvSF_,"axG",@progbits,_ZN7rocprim17ROCPRIM_400000_NS6detail17trampoline_kernelINS0_13kernel_configILj256ELj4ELj4294967295EEENS1_37radix_sort_block_sort_config_selectorIfNS0_10empty_typeEEEZNS1_21radix_sort_block_sortIS4_Lb1EPKfPfPS6_SC_NS0_19identity_decomposerEEE10hipError_tT1_T2_T3_T4_jRjT5_jjP12ihipStream_tbEUlT_E_NS1_11comp_targetILNS1_3genE9ELNS1_11target_archE1100ELNS1_3gpuE3ELNS1_3repE0EEENS1_44radix_sort_block_sort_config_static_selectorELNS0_4arch9wavefront6targetE0EEEvSF_,comdat
	.protected	_ZN7rocprim17ROCPRIM_400000_NS6detail17trampoline_kernelINS0_13kernel_configILj256ELj4ELj4294967295EEENS1_37radix_sort_block_sort_config_selectorIfNS0_10empty_typeEEEZNS1_21radix_sort_block_sortIS4_Lb1EPKfPfPS6_SC_NS0_19identity_decomposerEEE10hipError_tT1_T2_T3_T4_jRjT5_jjP12ihipStream_tbEUlT_E_NS1_11comp_targetILNS1_3genE9ELNS1_11target_archE1100ELNS1_3gpuE3ELNS1_3repE0EEENS1_44radix_sort_block_sort_config_static_selectorELNS0_4arch9wavefront6targetE0EEEvSF_ ; -- Begin function _ZN7rocprim17ROCPRIM_400000_NS6detail17trampoline_kernelINS0_13kernel_configILj256ELj4ELj4294967295EEENS1_37radix_sort_block_sort_config_selectorIfNS0_10empty_typeEEEZNS1_21radix_sort_block_sortIS4_Lb1EPKfPfPS6_SC_NS0_19identity_decomposerEEE10hipError_tT1_T2_T3_T4_jRjT5_jjP12ihipStream_tbEUlT_E_NS1_11comp_targetILNS1_3genE9ELNS1_11target_archE1100ELNS1_3gpuE3ELNS1_3repE0EEENS1_44radix_sort_block_sort_config_static_selectorELNS0_4arch9wavefront6targetE0EEEvSF_
	.globl	_ZN7rocprim17ROCPRIM_400000_NS6detail17trampoline_kernelINS0_13kernel_configILj256ELj4ELj4294967295EEENS1_37radix_sort_block_sort_config_selectorIfNS0_10empty_typeEEEZNS1_21radix_sort_block_sortIS4_Lb1EPKfPfPS6_SC_NS0_19identity_decomposerEEE10hipError_tT1_T2_T3_T4_jRjT5_jjP12ihipStream_tbEUlT_E_NS1_11comp_targetILNS1_3genE9ELNS1_11target_archE1100ELNS1_3gpuE3ELNS1_3repE0EEENS1_44radix_sort_block_sort_config_static_selectorELNS0_4arch9wavefront6targetE0EEEvSF_
	.p2align	8
	.type	_ZN7rocprim17ROCPRIM_400000_NS6detail17trampoline_kernelINS0_13kernel_configILj256ELj4ELj4294967295EEENS1_37radix_sort_block_sort_config_selectorIfNS0_10empty_typeEEEZNS1_21radix_sort_block_sortIS4_Lb1EPKfPfPS6_SC_NS0_19identity_decomposerEEE10hipError_tT1_T2_T3_T4_jRjT5_jjP12ihipStream_tbEUlT_E_NS1_11comp_targetILNS1_3genE9ELNS1_11target_archE1100ELNS1_3gpuE3ELNS1_3repE0EEENS1_44radix_sort_block_sort_config_static_selectorELNS0_4arch9wavefront6targetE0EEEvSF_,@function
_ZN7rocprim17ROCPRIM_400000_NS6detail17trampoline_kernelINS0_13kernel_configILj256ELj4ELj4294967295EEENS1_37radix_sort_block_sort_config_selectorIfNS0_10empty_typeEEEZNS1_21radix_sort_block_sortIS4_Lb1EPKfPfPS6_SC_NS0_19identity_decomposerEEE10hipError_tT1_T2_T3_T4_jRjT5_jjP12ihipStream_tbEUlT_E_NS1_11comp_targetILNS1_3genE9ELNS1_11target_archE1100ELNS1_3gpuE3ELNS1_3repE0EEENS1_44radix_sort_block_sort_config_static_selectorELNS0_4arch9wavefront6targetE0EEEvSF_: ; @_ZN7rocprim17ROCPRIM_400000_NS6detail17trampoline_kernelINS0_13kernel_configILj256ELj4ELj4294967295EEENS1_37radix_sort_block_sort_config_selectorIfNS0_10empty_typeEEEZNS1_21radix_sort_block_sortIS4_Lb1EPKfPfPS6_SC_NS0_19identity_decomposerEEE10hipError_tT1_T2_T3_T4_jRjT5_jjP12ihipStream_tbEUlT_E_NS1_11comp_targetILNS1_3genE9ELNS1_11target_archE1100ELNS1_3gpuE3ELNS1_3repE0EEENS1_44radix_sort_block_sort_config_static_selectorELNS0_4arch9wavefront6targetE0EEEvSF_
; %bb.0:
	.section	.rodata,"a",@progbits
	.p2align	6, 0x0
	.amdhsa_kernel _ZN7rocprim17ROCPRIM_400000_NS6detail17trampoline_kernelINS0_13kernel_configILj256ELj4ELj4294967295EEENS1_37radix_sort_block_sort_config_selectorIfNS0_10empty_typeEEEZNS1_21radix_sort_block_sortIS4_Lb1EPKfPfPS6_SC_NS0_19identity_decomposerEEE10hipError_tT1_T2_T3_T4_jRjT5_jjP12ihipStream_tbEUlT_E_NS1_11comp_targetILNS1_3genE9ELNS1_11target_archE1100ELNS1_3gpuE3ELNS1_3repE0EEENS1_44radix_sort_block_sort_config_static_selectorELNS0_4arch9wavefront6targetE0EEEvSF_
		.amdhsa_group_segment_fixed_size 0
		.amdhsa_private_segment_fixed_size 0
		.amdhsa_kernarg_size 48
		.amdhsa_user_sgpr_count 2
		.amdhsa_user_sgpr_dispatch_ptr 0
		.amdhsa_user_sgpr_queue_ptr 0
		.amdhsa_user_sgpr_kernarg_segment_ptr 1
		.amdhsa_user_sgpr_dispatch_id 0
		.amdhsa_user_sgpr_kernarg_preload_length 0
		.amdhsa_user_sgpr_kernarg_preload_offset 0
		.amdhsa_user_sgpr_private_segment_size 0
		.amdhsa_wavefront_size32 1
		.amdhsa_uses_dynamic_stack 0
		.amdhsa_enable_private_segment 0
		.amdhsa_system_sgpr_workgroup_id_x 1
		.amdhsa_system_sgpr_workgroup_id_y 0
		.amdhsa_system_sgpr_workgroup_id_z 0
		.amdhsa_system_sgpr_workgroup_info 0
		.amdhsa_system_vgpr_workitem_id 0
		.amdhsa_next_free_vgpr 1
		.amdhsa_next_free_sgpr 1
		.amdhsa_named_barrier_count 0
		.amdhsa_reserve_vcc 0
		.amdhsa_float_round_mode_32 0
		.amdhsa_float_round_mode_16_64 0
		.amdhsa_float_denorm_mode_32 3
		.amdhsa_float_denorm_mode_16_64 3
		.amdhsa_fp16_overflow 0
		.amdhsa_memory_ordered 1
		.amdhsa_forward_progress 1
		.amdhsa_inst_pref_size 0
		.amdhsa_round_robin_scheduling 0
		.amdhsa_exception_fp_ieee_invalid_op 0
		.amdhsa_exception_fp_denorm_src 0
		.amdhsa_exception_fp_ieee_div_zero 0
		.amdhsa_exception_fp_ieee_overflow 0
		.amdhsa_exception_fp_ieee_underflow 0
		.amdhsa_exception_fp_ieee_inexact 0
		.amdhsa_exception_int_div_zero 0
	.end_amdhsa_kernel
	.section	.text._ZN7rocprim17ROCPRIM_400000_NS6detail17trampoline_kernelINS0_13kernel_configILj256ELj4ELj4294967295EEENS1_37radix_sort_block_sort_config_selectorIfNS0_10empty_typeEEEZNS1_21radix_sort_block_sortIS4_Lb1EPKfPfPS6_SC_NS0_19identity_decomposerEEE10hipError_tT1_T2_T3_T4_jRjT5_jjP12ihipStream_tbEUlT_E_NS1_11comp_targetILNS1_3genE9ELNS1_11target_archE1100ELNS1_3gpuE3ELNS1_3repE0EEENS1_44radix_sort_block_sort_config_static_selectorELNS0_4arch9wavefront6targetE0EEEvSF_,"axG",@progbits,_ZN7rocprim17ROCPRIM_400000_NS6detail17trampoline_kernelINS0_13kernel_configILj256ELj4ELj4294967295EEENS1_37radix_sort_block_sort_config_selectorIfNS0_10empty_typeEEEZNS1_21radix_sort_block_sortIS4_Lb1EPKfPfPS6_SC_NS0_19identity_decomposerEEE10hipError_tT1_T2_T3_T4_jRjT5_jjP12ihipStream_tbEUlT_E_NS1_11comp_targetILNS1_3genE9ELNS1_11target_archE1100ELNS1_3gpuE3ELNS1_3repE0EEENS1_44radix_sort_block_sort_config_static_selectorELNS0_4arch9wavefront6targetE0EEEvSF_,comdat
.Lfunc_end1250:
	.size	_ZN7rocprim17ROCPRIM_400000_NS6detail17trampoline_kernelINS0_13kernel_configILj256ELj4ELj4294967295EEENS1_37radix_sort_block_sort_config_selectorIfNS0_10empty_typeEEEZNS1_21radix_sort_block_sortIS4_Lb1EPKfPfPS6_SC_NS0_19identity_decomposerEEE10hipError_tT1_T2_T3_T4_jRjT5_jjP12ihipStream_tbEUlT_E_NS1_11comp_targetILNS1_3genE9ELNS1_11target_archE1100ELNS1_3gpuE3ELNS1_3repE0EEENS1_44radix_sort_block_sort_config_static_selectorELNS0_4arch9wavefront6targetE0EEEvSF_, .Lfunc_end1250-_ZN7rocprim17ROCPRIM_400000_NS6detail17trampoline_kernelINS0_13kernel_configILj256ELj4ELj4294967295EEENS1_37radix_sort_block_sort_config_selectorIfNS0_10empty_typeEEEZNS1_21radix_sort_block_sortIS4_Lb1EPKfPfPS6_SC_NS0_19identity_decomposerEEE10hipError_tT1_T2_T3_T4_jRjT5_jjP12ihipStream_tbEUlT_E_NS1_11comp_targetILNS1_3genE9ELNS1_11target_archE1100ELNS1_3gpuE3ELNS1_3repE0EEENS1_44radix_sort_block_sort_config_static_selectorELNS0_4arch9wavefront6targetE0EEEvSF_
                                        ; -- End function
	.set _ZN7rocprim17ROCPRIM_400000_NS6detail17trampoline_kernelINS0_13kernel_configILj256ELj4ELj4294967295EEENS1_37radix_sort_block_sort_config_selectorIfNS0_10empty_typeEEEZNS1_21radix_sort_block_sortIS4_Lb1EPKfPfPS6_SC_NS0_19identity_decomposerEEE10hipError_tT1_T2_T3_T4_jRjT5_jjP12ihipStream_tbEUlT_E_NS1_11comp_targetILNS1_3genE9ELNS1_11target_archE1100ELNS1_3gpuE3ELNS1_3repE0EEENS1_44radix_sort_block_sort_config_static_selectorELNS0_4arch9wavefront6targetE0EEEvSF_.num_vgpr, 0
	.set _ZN7rocprim17ROCPRIM_400000_NS6detail17trampoline_kernelINS0_13kernel_configILj256ELj4ELj4294967295EEENS1_37radix_sort_block_sort_config_selectorIfNS0_10empty_typeEEEZNS1_21radix_sort_block_sortIS4_Lb1EPKfPfPS6_SC_NS0_19identity_decomposerEEE10hipError_tT1_T2_T3_T4_jRjT5_jjP12ihipStream_tbEUlT_E_NS1_11comp_targetILNS1_3genE9ELNS1_11target_archE1100ELNS1_3gpuE3ELNS1_3repE0EEENS1_44radix_sort_block_sort_config_static_selectorELNS0_4arch9wavefront6targetE0EEEvSF_.num_agpr, 0
	.set _ZN7rocprim17ROCPRIM_400000_NS6detail17trampoline_kernelINS0_13kernel_configILj256ELj4ELj4294967295EEENS1_37radix_sort_block_sort_config_selectorIfNS0_10empty_typeEEEZNS1_21radix_sort_block_sortIS4_Lb1EPKfPfPS6_SC_NS0_19identity_decomposerEEE10hipError_tT1_T2_T3_T4_jRjT5_jjP12ihipStream_tbEUlT_E_NS1_11comp_targetILNS1_3genE9ELNS1_11target_archE1100ELNS1_3gpuE3ELNS1_3repE0EEENS1_44radix_sort_block_sort_config_static_selectorELNS0_4arch9wavefront6targetE0EEEvSF_.numbered_sgpr, 0
	.set _ZN7rocprim17ROCPRIM_400000_NS6detail17trampoline_kernelINS0_13kernel_configILj256ELj4ELj4294967295EEENS1_37radix_sort_block_sort_config_selectorIfNS0_10empty_typeEEEZNS1_21radix_sort_block_sortIS4_Lb1EPKfPfPS6_SC_NS0_19identity_decomposerEEE10hipError_tT1_T2_T3_T4_jRjT5_jjP12ihipStream_tbEUlT_E_NS1_11comp_targetILNS1_3genE9ELNS1_11target_archE1100ELNS1_3gpuE3ELNS1_3repE0EEENS1_44radix_sort_block_sort_config_static_selectorELNS0_4arch9wavefront6targetE0EEEvSF_.num_named_barrier, 0
	.set _ZN7rocprim17ROCPRIM_400000_NS6detail17trampoline_kernelINS0_13kernel_configILj256ELj4ELj4294967295EEENS1_37radix_sort_block_sort_config_selectorIfNS0_10empty_typeEEEZNS1_21radix_sort_block_sortIS4_Lb1EPKfPfPS6_SC_NS0_19identity_decomposerEEE10hipError_tT1_T2_T3_T4_jRjT5_jjP12ihipStream_tbEUlT_E_NS1_11comp_targetILNS1_3genE9ELNS1_11target_archE1100ELNS1_3gpuE3ELNS1_3repE0EEENS1_44radix_sort_block_sort_config_static_selectorELNS0_4arch9wavefront6targetE0EEEvSF_.private_seg_size, 0
	.set _ZN7rocprim17ROCPRIM_400000_NS6detail17trampoline_kernelINS0_13kernel_configILj256ELj4ELj4294967295EEENS1_37radix_sort_block_sort_config_selectorIfNS0_10empty_typeEEEZNS1_21radix_sort_block_sortIS4_Lb1EPKfPfPS6_SC_NS0_19identity_decomposerEEE10hipError_tT1_T2_T3_T4_jRjT5_jjP12ihipStream_tbEUlT_E_NS1_11comp_targetILNS1_3genE9ELNS1_11target_archE1100ELNS1_3gpuE3ELNS1_3repE0EEENS1_44radix_sort_block_sort_config_static_selectorELNS0_4arch9wavefront6targetE0EEEvSF_.uses_vcc, 0
	.set _ZN7rocprim17ROCPRIM_400000_NS6detail17trampoline_kernelINS0_13kernel_configILj256ELj4ELj4294967295EEENS1_37radix_sort_block_sort_config_selectorIfNS0_10empty_typeEEEZNS1_21radix_sort_block_sortIS4_Lb1EPKfPfPS6_SC_NS0_19identity_decomposerEEE10hipError_tT1_T2_T3_T4_jRjT5_jjP12ihipStream_tbEUlT_E_NS1_11comp_targetILNS1_3genE9ELNS1_11target_archE1100ELNS1_3gpuE3ELNS1_3repE0EEENS1_44radix_sort_block_sort_config_static_selectorELNS0_4arch9wavefront6targetE0EEEvSF_.uses_flat_scratch, 0
	.set _ZN7rocprim17ROCPRIM_400000_NS6detail17trampoline_kernelINS0_13kernel_configILj256ELj4ELj4294967295EEENS1_37radix_sort_block_sort_config_selectorIfNS0_10empty_typeEEEZNS1_21radix_sort_block_sortIS4_Lb1EPKfPfPS6_SC_NS0_19identity_decomposerEEE10hipError_tT1_T2_T3_T4_jRjT5_jjP12ihipStream_tbEUlT_E_NS1_11comp_targetILNS1_3genE9ELNS1_11target_archE1100ELNS1_3gpuE3ELNS1_3repE0EEENS1_44radix_sort_block_sort_config_static_selectorELNS0_4arch9wavefront6targetE0EEEvSF_.has_dyn_sized_stack, 0
	.set _ZN7rocprim17ROCPRIM_400000_NS6detail17trampoline_kernelINS0_13kernel_configILj256ELj4ELj4294967295EEENS1_37radix_sort_block_sort_config_selectorIfNS0_10empty_typeEEEZNS1_21radix_sort_block_sortIS4_Lb1EPKfPfPS6_SC_NS0_19identity_decomposerEEE10hipError_tT1_T2_T3_T4_jRjT5_jjP12ihipStream_tbEUlT_E_NS1_11comp_targetILNS1_3genE9ELNS1_11target_archE1100ELNS1_3gpuE3ELNS1_3repE0EEENS1_44radix_sort_block_sort_config_static_selectorELNS0_4arch9wavefront6targetE0EEEvSF_.has_recursion, 0
	.set _ZN7rocprim17ROCPRIM_400000_NS6detail17trampoline_kernelINS0_13kernel_configILj256ELj4ELj4294967295EEENS1_37radix_sort_block_sort_config_selectorIfNS0_10empty_typeEEEZNS1_21radix_sort_block_sortIS4_Lb1EPKfPfPS6_SC_NS0_19identity_decomposerEEE10hipError_tT1_T2_T3_T4_jRjT5_jjP12ihipStream_tbEUlT_E_NS1_11comp_targetILNS1_3genE9ELNS1_11target_archE1100ELNS1_3gpuE3ELNS1_3repE0EEENS1_44radix_sort_block_sort_config_static_selectorELNS0_4arch9wavefront6targetE0EEEvSF_.has_indirect_call, 0
	.section	.AMDGPU.csdata,"",@progbits
; Kernel info:
; codeLenInByte = 0
; TotalNumSgprs: 0
; NumVgprs: 0
; ScratchSize: 0
; MemoryBound: 0
; FloatMode: 240
; IeeeMode: 1
; LDSByteSize: 0 bytes/workgroup (compile time only)
; SGPRBlocks: 0
; VGPRBlocks: 0
; NumSGPRsForWavesPerEU: 1
; NumVGPRsForWavesPerEU: 1
; NamedBarCnt: 0
; Occupancy: 16
; WaveLimiterHint : 0
; COMPUTE_PGM_RSRC2:SCRATCH_EN: 0
; COMPUTE_PGM_RSRC2:USER_SGPR: 2
; COMPUTE_PGM_RSRC2:TRAP_HANDLER: 0
; COMPUTE_PGM_RSRC2:TGID_X_EN: 1
; COMPUTE_PGM_RSRC2:TGID_Y_EN: 0
; COMPUTE_PGM_RSRC2:TGID_Z_EN: 0
; COMPUTE_PGM_RSRC2:TIDIG_COMP_CNT: 0
	.section	.text._ZN7rocprim17ROCPRIM_400000_NS6detail17trampoline_kernelINS0_13kernel_configILj256ELj4ELj4294967295EEENS1_37radix_sort_block_sort_config_selectorIfNS0_10empty_typeEEEZNS1_21radix_sort_block_sortIS4_Lb1EPKfPfPS6_SC_NS0_19identity_decomposerEEE10hipError_tT1_T2_T3_T4_jRjT5_jjP12ihipStream_tbEUlT_E_NS1_11comp_targetILNS1_3genE8ELNS1_11target_archE1030ELNS1_3gpuE2ELNS1_3repE0EEENS1_44radix_sort_block_sort_config_static_selectorELNS0_4arch9wavefront6targetE0EEEvSF_,"axG",@progbits,_ZN7rocprim17ROCPRIM_400000_NS6detail17trampoline_kernelINS0_13kernel_configILj256ELj4ELj4294967295EEENS1_37radix_sort_block_sort_config_selectorIfNS0_10empty_typeEEEZNS1_21radix_sort_block_sortIS4_Lb1EPKfPfPS6_SC_NS0_19identity_decomposerEEE10hipError_tT1_T2_T3_T4_jRjT5_jjP12ihipStream_tbEUlT_E_NS1_11comp_targetILNS1_3genE8ELNS1_11target_archE1030ELNS1_3gpuE2ELNS1_3repE0EEENS1_44radix_sort_block_sort_config_static_selectorELNS0_4arch9wavefront6targetE0EEEvSF_,comdat
	.protected	_ZN7rocprim17ROCPRIM_400000_NS6detail17trampoline_kernelINS0_13kernel_configILj256ELj4ELj4294967295EEENS1_37radix_sort_block_sort_config_selectorIfNS0_10empty_typeEEEZNS1_21radix_sort_block_sortIS4_Lb1EPKfPfPS6_SC_NS0_19identity_decomposerEEE10hipError_tT1_T2_T3_T4_jRjT5_jjP12ihipStream_tbEUlT_E_NS1_11comp_targetILNS1_3genE8ELNS1_11target_archE1030ELNS1_3gpuE2ELNS1_3repE0EEENS1_44radix_sort_block_sort_config_static_selectorELNS0_4arch9wavefront6targetE0EEEvSF_ ; -- Begin function _ZN7rocprim17ROCPRIM_400000_NS6detail17trampoline_kernelINS0_13kernel_configILj256ELj4ELj4294967295EEENS1_37radix_sort_block_sort_config_selectorIfNS0_10empty_typeEEEZNS1_21radix_sort_block_sortIS4_Lb1EPKfPfPS6_SC_NS0_19identity_decomposerEEE10hipError_tT1_T2_T3_T4_jRjT5_jjP12ihipStream_tbEUlT_E_NS1_11comp_targetILNS1_3genE8ELNS1_11target_archE1030ELNS1_3gpuE2ELNS1_3repE0EEENS1_44radix_sort_block_sort_config_static_selectorELNS0_4arch9wavefront6targetE0EEEvSF_
	.globl	_ZN7rocprim17ROCPRIM_400000_NS6detail17trampoline_kernelINS0_13kernel_configILj256ELj4ELj4294967295EEENS1_37radix_sort_block_sort_config_selectorIfNS0_10empty_typeEEEZNS1_21radix_sort_block_sortIS4_Lb1EPKfPfPS6_SC_NS0_19identity_decomposerEEE10hipError_tT1_T2_T3_T4_jRjT5_jjP12ihipStream_tbEUlT_E_NS1_11comp_targetILNS1_3genE8ELNS1_11target_archE1030ELNS1_3gpuE2ELNS1_3repE0EEENS1_44radix_sort_block_sort_config_static_selectorELNS0_4arch9wavefront6targetE0EEEvSF_
	.p2align	8
	.type	_ZN7rocprim17ROCPRIM_400000_NS6detail17trampoline_kernelINS0_13kernel_configILj256ELj4ELj4294967295EEENS1_37radix_sort_block_sort_config_selectorIfNS0_10empty_typeEEEZNS1_21radix_sort_block_sortIS4_Lb1EPKfPfPS6_SC_NS0_19identity_decomposerEEE10hipError_tT1_T2_T3_T4_jRjT5_jjP12ihipStream_tbEUlT_E_NS1_11comp_targetILNS1_3genE8ELNS1_11target_archE1030ELNS1_3gpuE2ELNS1_3repE0EEENS1_44radix_sort_block_sort_config_static_selectorELNS0_4arch9wavefront6targetE0EEEvSF_,@function
_ZN7rocprim17ROCPRIM_400000_NS6detail17trampoline_kernelINS0_13kernel_configILj256ELj4ELj4294967295EEENS1_37radix_sort_block_sort_config_selectorIfNS0_10empty_typeEEEZNS1_21radix_sort_block_sortIS4_Lb1EPKfPfPS6_SC_NS0_19identity_decomposerEEE10hipError_tT1_T2_T3_T4_jRjT5_jjP12ihipStream_tbEUlT_E_NS1_11comp_targetILNS1_3genE8ELNS1_11target_archE1030ELNS1_3gpuE2ELNS1_3repE0EEENS1_44radix_sort_block_sort_config_static_selectorELNS0_4arch9wavefront6targetE0EEEvSF_: ; @_ZN7rocprim17ROCPRIM_400000_NS6detail17trampoline_kernelINS0_13kernel_configILj256ELj4ELj4294967295EEENS1_37radix_sort_block_sort_config_selectorIfNS0_10empty_typeEEEZNS1_21radix_sort_block_sortIS4_Lb1EPKfPfPS6_SC_NS0_19identity_decomposerEEE10hipError_tT1_T2_T3_T4_jRjT5_jjP12ihipStream_tbEUlT_E_NS1_11comp_targetILNS1_3genE8ELNS1_11target_archE1030ELNS1_3gpuE2ELNS1_3repE0EEENS1_44radix_sort_block_sort_config_static_selectorELNS0_4arch9wavefront6targetE0EEEvSF_
; %bb.0:
	.section	.rodata,"a",@progbits
	.p2align	6, 0x0
	.amdhsa_kernel _ZN7rocprim17ROCPRIM_400000_NS6detail17trampoline_kernelINS0_13kernel_configILj256ELj4ELj4294967295EEENS1_37radix_sort_block_sort_config_selectorIfNS0_10empty_typeEEEZNS1_21radix_sort_block_sortIS4_Lb1EPKfPfPS6_SC_NS0_19identity_decomposerEEE10hipError_tT1_T2_T3_T4_jRjT5_jjP12ihipStream_tbEUlT_E_NS1_11comp_targetILNS1_3genE8ELNS1_11target_archE1030ELNS1_3gpuE2ELNS1_3repE0EEENS1_44radix_sort_block_sort_config_static_selectorELNS0_4arch9wavefront6targetE0EEEvSF_
		.amdhsa_group_segment_fixed_size 0
		.amdhsa_private_segment_fixed_size 0
		.amdhsa_kernarg_size 48
		.amdhsa_user_sgpr_count 2
		.amdhsa_user_sgpr_dispatch_ptr 0
		.amdhsa_user_sgpr_queue_ptr 0
		.amdhsa_user_sgpr_kernarg_segment_ptr 1
		.amdhsa_user_sgpr_dispatch_id 0
		.amdhsa_user_sgpr_kernarg_preload_length 0
		.amdhsa_user_sgpr_kernarg_preload_offset 0
		.amdhsa_user_sgpr_private_segment_size 0
		.amdhsa_wavefront_size32 1
		.amdhsa_uses_dynamic_stack 0
		.amdhsa_enable_private_segment 0
		.amdhsa_system_sgpr_workgroup_id_x 1
		.amdhsa_system_sgpr_workgroup_id_y 0
		.amdhsa_system_sgpr_workgroup_id_z 0
		.amdhsa_system_sgpr_workgroup_info 0
		.amdhsa_system_vgpr_workitem_id 0
		.amdhsa_next_free_vgpr 1
		.amdhsa_next_free_sgpr 1
		.amdhsa_named_barrier_count 0
		.amdhsa_reserve_vcc 0
		.amdhsa_float_round_mode_32 0
		.amdhsa_float_round_mode_16_64 0
		.amdhsa_float_denorm_mode_32 3
		.amdhsa_float_denorm_mode_16_64 3
		.amdhsa_fp16_overflow 0
		.amdhsa_memory_ordered 1
		.amdhsa_forward_progress 1
		.amdhsa_inst_pref_size 0
		.amdhsa_round_robin_scheduling 0
		.amdhsa_exception_fp_ieee_invalid_op 0
		.amdhsa_exception_fp_denorm_src 0
		.amdhsa_exception_fp_ieee_div_zero 0
		.amdhsa_exception_fp_ieee_overflow 0
		.amdhsa_exception_fp_ieee_underflow 0
		.amdhsa_exception_fp_ieee_inexact 0
		.amdhsa_exception_int_div_zero 0
	.end_amdhsa_kernel
	.section	.text._ZN7rocprim17ROCPRIM_400000_NS6detail17trampoline_kernelINS0_13kernel_configILj256ELj4ELj4294967295EEENS1_37radix_sort_block_sort_config_selectorIfNS0_10empty_typeEEEZNS1_21radix_sort_block_sortIS4_Lb1EPKfPfPS6_SC_NS0_19identity_decomposerEEE10hipError_tT1_T2_T3_T4_jRjT5_jjP12ihipStream_tbEUlT_E_NS1_11comp_targetILNS1_3genE8ELNS1_11target_archE1030ELNS1_3gpuE2ELNS1_3repE0EEENS1_44radix_sort_block_sort_config_static_selectorELNS0_4arch9wavefront6targetE0EEEvSF_,"axG",@progbits,_ZN7rocprim17ROCPRIM_400000_NS6detail17trampoline_kernelINS0_13kernel_configILj256ELj4ELj4294967295EEENS1_37radix_sort_block_sort_config_selectorIfNS0_10empty_typeEEEZNS1_21radix_sort_block_sortIS4_Lb1EPKfPfPS6_SC_NS0_19identity_decomposerEEE10hipError_tT1_T2_T3_T4_jRjT5_jjP12ihipStream_tbEUlT_E_NS1_11comp_targetILNS1_3genE8ELNS1_11target_archE1030ELNS1_3gpuE2ELNS1_3repE0EEENS1_44radix_sort_block_sort_config_static_selectorELNS0_4arch9wavefront6targetE0EEEvSF_,comdat
.Lfunc_end1251:
	.size	_ZN7rocprim17ROCPRIM_400000_NS6detail17trampoline_kernelINS0_13kernel_configILj256ELj4ELj4294967295EEENS1_37radix_sort_block_sort_config_selectorIfNS0_10empty_typeEEEZNS1_21radix_sort_block_sortIS4_Lb1EPKfPfPS6_SC_NS0_19identity_decomposerEEE10hipError_tT1_T2_T3_T4_jRjT5_jjP12ihipStream_tbEUlT_E_NS1_11comp_targetILNS1_3genE8ELNS1_11target_archE1030ELNS1_3gpuE2ELNS1_3repE0EEENS1_44radix_sort_block_sort_config_static_selectorELNS0_4arch9wavefront6targetE0EEEvSF_, .Lfunc_end1251-_ZN7rocprim17ROCPRIM_400000_NS6detail17trampoline_kernelINS0_13kernel_configILj256ELj4ELj4294967295EEENS1_37radix_sort_block_sort_config_selectorIfNS0_10empty_typeEEEZNS1_21radix_sort_block_sortIS4_Lb1EPKfPfPS6_SC_NS0_19identity_decomposerEEE10hipError_tT1_T2_T3_T4_jRjT5_jjP12ihipStream_tbEUlT_E_NS1_11comp_targetILNS1_3genE8ELNS1_11target_archE1030ELNS1_3gpuE2ELNS1_3repE0EEENS1_44radix_sort_block_sort_config_static_selectorELNS0_4arch9wavefront6targetE0EEEvSF_
                                        ; -- End function
	.set _ZN7rocprim17ROCPRIM_400000_NS6detail17trampoline_kernelINS0_13kernel_configILj256ELj4ELj4294967295EEENS1_37radix_sort_block_sort_config_selectorIfNS0_10empty_typeEEEZNS1_21radix_sort_block_sortIS4_Lb1EPKfPfPS6_SC_NS0_19identity_decomposerEEE10hipError_tT1_T2_T3_T4_jRjT5_jjP12ihipStream_tbEUlT_E_NS1_11comp_targetILNS1_3genE8ELNS1_11target_archE1030ELNS1_3gpuE2ELNS1_3repE0EEENS1_44radix_sort_block_sort_config_static_selectorELNS0_4arch9wavefront6targetE0EEEvSF_.num_vgpr, 0
	.set _ZN7rocprim17ROCPRIM_400000_NS6detail17trampoline_kernelINS0_13kernel_configILj256ELj4ELj4294967295EEENS1_37radix_sort_block_sort_config_selectorIfNS0_10empty_typeEEEZNS1_21radix_sort_block_sortIS4_Lb1EPKfPfPS6_SC_NS0_19identity_decomposerEEE10hipError_tT1_T2_T3_T4_jRjT5_jjP12ihipStream_tbEUlT_E_NS1_11comp_targetILNS1_3genE8ELNS1_11target_archE1030ELNS1_3gpuE2ELNS1_3repE0EEENS1_44radix_sort_block_sort_config_static_selectorELNS0_4arch9wavefront6targetE0EEEvSF_.num_agpr, 0
	.set _ZN7rocprim17ROCPRIM_400000_NS6detail17trampoline_kernelINS0_13kernel_configILj256ELj4ELj4294967295EEENS1_37radix_sort_block_sort_config_selectorIfNS0_10empty_typeEEEZNS1_21radix_sort_block_sortIS4_Lb1EPKfPfPS6_SC_NS0_19identity_decomposerEEE10hipError_tT1_T2_T3_T4_jRjT5_jjP12ihipStream_tbEUlT_E_NS1_11comp_targetILNS1_3genE8ELNS1_11target_archE1030ELNS1_3gpuE2ELNS1_3repE0EEENS1_44radix_sort_block_sort_config_static_selectorELNS0_4arch9wavefront6targetE0EEEvSF_.numbered_sgpr, 0
	.set _ZN7rocprim17ROCPRIM_400000_NS6detail17trampoline_kernelINS0_13kernel_configILj256ELj4ELj4294967295EEENS1_37radix_sort_block_sort_config_selectorIfNS0_10empty_typeEEEZNS1_21radix_sort_block_sortIS4_Lb1EPKfPfPS6_SC_NS0_19identity_decomposerEEE10hipError_tT1_T2_T3_T4_jRjT5_jjP12ihipStream_tbEUlT_E_NS1_11comp_targetILNS1_3genE8ELNS1_11target_archE1030ELNS1_3gpuE2ELNS1_3repE0EEENS1_44radix_sort_block_sort_config_static_selectorELNS0_4arch9wavefront6targetE0EEEvSF_.num_named_barrier, 0
	.set _ZN7rocprim17ROCPRIM_400000_NS6detail17trampoline_kernelINS0_13kernel_configILj256ELj4ELj4294967295EEENS1_37radix_sort_block_sort_config_selectorIfNS0_10empty_typeEEEZNS1_21radix_sort_block_sortIS4_Lb1EPKfPfPS6_SC_NS0_19identity_decomposerEEE10hipError_tT1_T2_T3_T4_jRjT5_jjP12ihipStream_tbEUlT_E_NS1_11comp_targetILNS1_3genE8ELNS1_11target_archE1030ELNS1_3gpuE2ELNS1_3repE0EEENS1_44radix_sort_block_sort_config_static_selectorELNS0_4arch9wavefront6targetE0EEEvSF_.private_seg_size, 0
	.set _ZN7rocprim17ROCPRIM_400000_NS6detail17trampoline_kernelINS0_13kernel_configILj256ELj4ELj4294967295EEENS1_37radix_sort_block_sort_config_selectorIfNS0_10empty_typeEEEZNS1_21radix_sort_block_sortIS4_Lb1EPKfPfPS6_SC_NS0_19identity_decomposerEEE10hipError_tT1_T2_T3_T4_jRjT5_jjP12ihipStream_tbEUlT_E_NS1_11comp_targetILNS1_3genE8ELNS1_11target_archE1030ELNS1_3gpuE2ELNS1_3repE0EEENS1_44radix_sort_block_sort_config_static_selectorELNS0_4arch9wavefront6targetE0EEEvSF_.uses_vcc, 0
	.set _ZN7rocprim17ROCPRIM_400000_NS6detail17trampoline_kernelINS0_13kernel_configILj256ELj4ELj4294967295EEENS1_37radix_sort_block_sort_config_selectorIfNS0_10empty_typeEEEZNS1_21radix_sort_block_sortIS4_Lb1EPKfPfPS6_SC_NS0_19identity_decomposerEEE10hipError_tT1_T2_T3_T4_jRjT5_jjP12ihipStream_tbEUlT_E_NS1_11comp_targetILNS1_3genE8ELNS1_11target_archE1030ELNS1_3gpuE2ELNS1_3repE0EEENS1_44radix_sort_block_sort_config_static_selectorELNS0_4arch9wavefront6targetE0EEEvSF_.uses_flat_scratch, 0
	.set _ZN7rocprim17ROCPRIM_400000_NS6detail17trampoline_kernelINS0_13kernel_configILj256ELj4ELj4294967295EEENS1_37radix_sort_block_sort_config_selectorIfNS0_10empty_typeEEEZNS1_21radix_sort_block_sortIS4_Lb1EPKfPfPS6_SC_NS0_19identity_decomposerEEE10hipError_tT1_T2_T3_T4_jRjT5_jjP12ihipStream_tbEUlT_E_NS1_11comp_targetILNS1_3genE8ELNS1_11target_archE1030ELNS1_3gpuE2ELNS1_3repE0EEENS1_44radix_sort_block_sort_config_static_selectorELNS0_4arch9wavefront6targetE0EEEvSF_.has_dyn_sized_stack, 0
	.set _ZN7rocprim17ROCPRIM_400000_NS6detail17trampoline_kernelINS0_13kernel_configILj256ELj4ELj4294967295EEENS1_37radix_sort_block_sort_config_selectorIfNS0_10empty_typeEEEZNS1_21radix_sort_block_sortIS4_Lb1EPKfPfPS6_SC_NS0_19identity_decomposerEEE10hipError_tT1_T2_T3_T4_jRjT5_jjP12ihipStream_tbEUlT_E_NS1_11comp_targetILNS1_3genE8ELNS1_11target_archE1030ELNS1_3gpuE2ELNS1_3repE0EEENS1_44radix_sort_block_sort_config_static_selectorELNS0_4arch9wavefront6targetE0EEEvSF_.has_recursion, 0
	.set _ZN7rocprim17ROCPRIM_400000_NS6detail17trampoline_kernelINS0_13kernel_configILj256ELj4ELj4294967295EEENS1_37radix_sort_block_sort_config_selectorIfNS0_10empty_typeEEEZNS1_21radix_sort_block_sortIS4_Lb1EPKfPfPS6_SC_NS0_19identity_decomposerEEE10hipError_tT1_T2_T3_T4_jRjT5_jjP12ihipStream_tbEUlT_E_NS1_11comp_targetILNS1_3genE8ELNS1_11target_archE1030ELNS1_3gpuE2ELNS1_3repE0EEENS1_44radix_sort_block_sort_config_static_selectorELNS0_4arch9wavefront6targetE0EEEvSF_.has_indirect_call, 0
	.section	.AMDGPU.csdata,"",@progbits
; Kernel info:
; codeLenInByte = 0
; TotalNumSgprs: 0
; NumVgprs: 0
; ScratchSize: 0
; MemoryBound: 0
; FloatMode: 240
; IeeeMode: 1
; LDSByteSize: 0 bytes/workgroup (compile time only)
; SGPRBlocks: 0
; VGPRBlocks: 0
; NumSGPRsForWavesPerEU: 1
; NumVGPRsForWavesPerEU: 1
; NamedBarCnt: 0
; Occupancy: 16
; WaveLimiterHint : 0
; COMPUTE_PGM_RSRC2:SCRATCH_EN: 0
; COMPUTE_PGM_RSRC2:USER_SGPR: 2
; COMPUTE_PGM_RSRC2:TRAP_HANDLER: 0
; COMPUTE_PGM_RSRC2:TGID_X_EN: 1
; COMPUTE_PGM_RSRC2:TGID_Y_EN: 0
; COMPUTE_PGM_RSRC2:TGID_Z_EN: 0
; COMPUTE_PGM_RSRC2:TIDIG_COMP_CNT: 0
	.section	.text._ZN7rocprim17ROCPRIM_400000_NS6detail44device_merge_sort_compile_time_verifier_archINS1_11comp_targetILNS1_3genE0ELNS1_11target_archE4294967295ELNS1_3gpuE0ELNS1_3repE0EEES8_NS1_28merge_sort_block_sort_configILj256ELj4ELNS0_20block_sort_algorithmE0EEENS0_14default_configENS1_37merge_sort_block_sort_config_selectorIfNS0_10empty_typeEEENS1_38merge_sort_block_merge_config_selectorIfSE_EEEEvv,"axG",@progbits,_ZN7rocprim17ROCPRIM_400000_NS6detail44device_merge_sort_compile_time_verifier_archINS1_11comp_targetILNS1_3genE0ELNS1_11target_archE4294967295ELNS1_3gpuE0ELNS1_3repE0EEES8_NS1_28merge_sort_block_sort_configILj256ELj4ELNS0_20block_sort_algorithmE0EEENS0_14default_configENS1_37merge_sort_block_sort_config_selectorIfNS0_10empty_typeEEENS1_38merge_sort_block_merge_config_selectorIfSE_EEEEvv,comdat
	.protected	_ZN7rocprim17ROCPRIM_400000_NS6detail44device_merge_sort_compile_time_verifier_archINS1_11comp_targetILNS1_3genE0ELNS1_11target_archE4294967295ELNS1_3gpuE0ELNS1_3repE0EEES8_NS1_28merge_sort_block_sort_configILj256ELj4ELNS0_20block_sort_algorithmE0EEENS0_14default_configENS1_37merge_sort_block_sort_config_selectorIfNS0_10empty_typeEEENS1_38merge_sort_block_merge_config_selectorIfSE_EEEEvv ; -- Begin function _ZN7rocprim17ROCPRIM_400000_NS6detail44device_merge_sort_compile_time_verifier_archINS1_11comp_targetILNS1_3genE0ELNS1_11target_archE4294967295ELNS1_3gpuE0ELNS1_3repE0EEES8_NS1_28merge_sort_block_sort_configILj256ELj4ELNS0_20block_sort_algorithmE0EEENS0_14default_configENS1_37merge_sort_block_sort_config_selectorIfNS0_10empty_typeEEENS1_38merge_sort_block_merge_config_selectorIfSE_EEEEvv
	.globl	_ZN7rocprim17ROCPRIM_400000_NS6detail44device_merge_sort_compile_time_verifier_archINS1_11comp_targetILNS1_3genE0ELNS1_11target_archE4294967295ELNS1_3gpuE0ELNS1_3repE0EEES8_NS1_28merge_sort_block_sort_configILj256ELj4ELNS0_20block_sort_algorithmE0EEENS0_14default_configENS1_37merge_sort_block_sort_config_selectorIfNS0_10empty_typeEEENS1_38merge_sort_block_merge_config_selectorIfSE_EEEEvv
	.p2align	8
	.type	_ZN7rocprim17ROCPRIM_400000_NS6detail44device_merge_sort_compile_time_verifier_archINS1_11comp_targetILNS1_3genE0ELNS1_11target_archE4294967295ELNS1_3gpuE0ELNS1_3repE0EEES8_NS1_28merge_sort_block_sort_configILj256ELj4ELNS0_20block_sort_algorithmE0EEENS0_14default_configENS1_37merge_sort_block_sort_config_selectorIfNS0_10empty_typeEEENS1_38merge_sort_block_merge_config_selectorIfSE_EEEEvv,@function
_ZN7rocprim17ROCPRIM_400000_NS6detail44device_merge_sort_compile_time_verifier_archINS1_11comp_targetILNS1_3genE0ELNS1_11target_archE4294967295ELNS1_3gpuE0ELNS1_3repE0EEES8_NS1_28merge_sort_block_sort_configILj256ELj4ELNS0_20block_sort_algorithmE0EEENS0_14default_configENS1_37merge_sort_block_sort_config_selectorIfNS0_10empty_typeEEENS1_38merge_sort_block_merge_config_selectorIfSE_EEEEvv: ; @_ZN7rocprim17ROCPRIM_400000_NS6detail44device_merge_sort_compile_time_verifier_archINS1_11comp_targetILNS1_3genE0ELNS1_11target_archE4294967295ELNS1_3gpuE0ELNS1_3repE0EEES8_NS1_28merge_sort_block_sort_configILj256ELj4ELNS0_20block_sort_algorithmE0EEENS0_14default_configENS1_37merge_sort_block_sort_config_selectorIfNS0_10empty_typeEEENS1_38merge_sort_block_merge_config_selectorIfSE_EEEEvv
; %bb.0:
	s_endpgm
	.section	.rodata,"a",@progbits
	.p2align	6, 0x0
	.amdhsa_kernel _ZN7rocprim17ROCPRIM_400000_NS6detail44device_merge_sort_compile_time_verifier_archINS1_11comp_targetILNS1_3genE0ELNS1_11target_archE4294967295ELNS1_3gpuE0ELNS1_3repE0EEES8_NS1_28merge_sort_block_sort_configILj256ELj4ELNS0_20block_sort_algorithmE0EEENS0_14default_configENS1_37merge_sort_block_sort_config_selectorIfNS0_10empty_typeEEENS1_38merge_sort_block_merge_config_selectorIfSE_EEEEvv
		.amdhsa_group_segment_fixed_size 0
		.amdhsa_private_segment_fixed_size 0
		.amdhsa_kernarg_size 0
		.amdhsa_user_sgpr_count 0
		.amdhsa_user_sgpr_dispatch_ptr 0
		.amdhsa_user_sgpr_queue_ptr 0
		.amdhsa_user_sgpr_kernarg_segment_ptr 0
		.amdhsa_user_sgpr_dispatch_id 0
		.amdhsa_user_sgpr_kernarg_preload_length 0
		.amdhsa_user_sgpr_kernarg_preload_offset 0
		.amdhsa_user_sgpr_private_segment_size 0
		.amdhsa_wavefront_size32 1
		.amdhsa_uses_dynamic_stack 0
		.amdhsa_enable_private_segment 0
		.amdhsa_system_sgpr_workgroup_id_x 1
		.amdhsa_system_sgpr_workgroup_id_y 0
		.amdhsa_system_sgpr_workgroup_id_z 0
		.amdhsa_system_sgpr_workgroup_info 0
		.amdhsa_system_vgpr_workitem_id 0
		.amdhsa_next_free_vgpr 1
		.amdhsa_next_free_sgpr 1
		.amdhsa_named_barrier_count 0
		.amdhsa_reserve_vcc 0
		.amdhsa_float_round_mode_32 0
		.amdhsa_float_round_mode_16_64 0
		.amdhsa_float_denorm_mode_32 3
		.amdhsa_float_denorm_mode_16_64 3
		.amdhsa_fp16_overflow 0
		.amdhsa_memory_ordered 1
		.amdhsa_forward_progress 1
		.amdhsa_inst_pref_size 1
		.amdhsa_round_robin_scheduling 0
		.amdhsa_exception_fp_ieee_invalid_op 0
		.amdhsa_exception_fp_denorm_src 0
		.amdhsa_exception_fp_ieee_div_zero 0
		.amdhsa_exception_fp_ieee_overflow 0
		.amdhsa_exception_fp_ieee_underflow 0
		.amdhsa_exception_fp_ieee_inexact 0
		.amdhsa_exception_int_div_zero 0
	.end_amdhsa_kernel
	.section	.text._ZN7rocprim17ROCPRIM_400000_NS6detail44device_merge_sort_compile_time_verifier_archINS1_11comp_targetILNS1_3genE0ELNS1_11target_archE4294967295ELNS1_3gpuE0ELNS1_3repE0EEES8_NS1_28merge_sort_block_sort_configILj256ELj4ELNS0_20block_sort_algorithmE0EEENS0_14default_configENS1_37merge_sort_block_sort_config_selectorIfNS0_10empty_typeEEENS1_38merge_sort_block_merge_config_selectorIfSE_EEEEvv,"axG",@progbits,_ZN7rocprim17ROCPRIM_400000_NS6detail44device_merge_sort_compile_time_verifier_archINS1_11comp_targetILNS1_3genE0ELNS1_11target_archE4294967295ELNS1_3gpuE0ELNS1_3repE0EEES8_NS1_28merge_sort_block_sort_configILj256ELj4ELNS0_20block_sort_algorithmE0EEENS0_14default_configENS1_37merge_sort_block_sort_config_selectorIfNS0_10empty_typeEEENS1_38merge_sort_block_merge_config_selectorIfSE_EEEEvv,comdat
.Lfunc_end1252:
	.size	_ZN7rocprim17ROCPRIM_400000_NS6detail44device_merge_sort_compile_time_verifier_archINS1_11comp_targetILNS1_3genE0ELNS1_11target_archE4294967295ELNS1_3gpuE0ELNS1_3repE0EEES8_NS1_28merge_sort_block_sort_configILj256ELj4ELNS0_20block_sort_algorithmE0EEENS0_14default_configENS1_37merge_sort_block_sort_config_selectorIfNS0_10empty_typeEEENS1_38merge_sort_block_merge_config_selectorIfSE_EEEEvv, .Lfunc_end1252-_ZN7rocprim17ROCPRIM_400000_NS6detail44device_merge_sort_compile_time_verifier_archINS1_11comp_targetILNS1_3genE0ELNS1_11target_archE4294967295ELNS1_3gpuE0ELNS1_3repE0EEES8_NS1_28merge_sort_block_sort_configILj256ELj4ELNS0_20block_sort_algorithmE0EEENS0_14default_configENS1_37merge_sort_block_sort_config_selectorIfNS0_10empty_typeEEENS1_38merge_sort_block_merge_config_selectorIfSE_EEEEvv
                                        ; -- End function
	.set _ZN7rocprim17ROCPRIM_400000_NS6detail44device_merge_sort_compile_time_verifier_archINS1_11comp_targetILNS1_3genE0ELNS1_11target_archE4294967295ELNS1_3gpuE0ELNS1_3repE0EEES8_NS1_28merge_sort_block_sort_configILj256ELj4ELNS0_20block_sort_algorithmE0EEENS0_14default_configENS1_37merge_sort_block_sort_config_selectorIfNS0_10empty_typeEEENS1_38merge_sort_block_merge_config_selectorIfSE_EEEEvv.num_vgpr, 0
	.set _ZN7rocprim17ROCPRIM_400000_NS6detail44device_merge_sort_compile_time_verifier_archINS1_11comp_targetILNS1_3genE0ELNS1_11target_archE4294967295ELNS1_3gpuE0ELNS1_3repE0EEES8_NS1_28merge_sort_block_sort_configILj256ELj4ELNS0_20block_sort_algorithmE0EEENS0_14default_configENS1_37merge_sort_block_sort_config_selectorIfNS0_10empty_typeEEENS1_38merge_sort_block_merge_config_selectorIfSE_EEEEvv.num_agpr, 0
	.set _ZN7rocprim17ROCPRIM_400000_NS6detail44device_merge_sort_compile_time_verifier_archINS1_11comp_targetILNS1_3genE0ELNS1_11target_archE4294967295ELNS1_3gpuE0ELNS1_3repE0EEES8_NS1_28merge_sort_block_sort_configILj256ELj4ELNS0_20block_sort_algorithmE0EEENS0_14default_configENS1_37merge_sort_block_sort_config_selectorIfNS0_10empty_typeEEENS1_38merge_sort_block_merge_config_selectorIfSE_EEEEvv.numbered_sgpr, 0
	.set _ZN7rocprim17ROCPRIM_400000_NS6detail44device_merge_sort_compile_time_verifier_archINS1_11comp_targetILNS1_3genE0ELNS1_11target_archE4294967295ELNS1_3gpuE0ELNS1_3repE0EEES8_NS1_28merge_sort_block_sort_configILj256ELj4ELNS0_20block_sort_algorithmE0EEENS0_14default_configENS1_37merge_sort_block_sort_config_selectorIfNS0_10empty_typeEEENS1_38merge_sort_block_merge_config_selectorIfSE_EEEEvv.num_named_barrier, 0
	.set _ZN7rocprim17ROCPRIM_400000_NS6detail44device_merge_sort_compile_time_verifier_archINS1_11comp_targetILNS1_3genE0ELNS1_11target_archE4294967295ELNS1_3gpuE0ELNS1_3repE0EEES8_NS1_28merge_sort_block_sort_configILj256ELj4ELNS0_20block_sort_algorithmE0EEENS0_14default_configENS1_37merge_sort_block_sort_config_selectorIfNS0_10empty_typeEEENS1_38merge_sort_block_merge_config_selectorIfSE_EEEEvv.private_seg_size, 0
	.set _ZN7rocprim17ROCPRIM_400000_NS6detail44device_merge_sort_compile_time_verifier_archINS1_11comp_targetILNS1_3genE0ELNS1_11target_archE4294967295ELNS1_3gpuE0ELNS1_3repE0EEES8_NS1_28merge_sort_block_sort_configILj256ELj4ELNS0_20block_sort_algorithmE0EEENS0_14default_configENS1_37merge_sort_block_sort_config_selectorIfNS0_10empty_typeEEENS1_38merge_sort_block_merge_config_selectorIfSE_EEEEvv.uses_vcc, 0
	.set _ZN7rocprim17ROCPRIM_400000_NS6detail44device_merge_sort_compile_time_verifier_archINS1_11comp_targetILNS1_3genE0ELNS1_11target_archE4294967295ELNS1_3gpuE0ELNS1_3repE0EEES8_NS1_28merge_sort_block_sort_configILj256ELj4ELNS0_20block_sort_algorithmE0EEENS0_14default_configENS1_37merge_sort_block_sort_config_selectorIfNS0_10empty_typeEEENS1_38merge_sort_block_merge_config_selectorIfSE_EEEEvv.uses_flat_scratch, 0
	.set _ZN7rocprim17ROCPRIM_400000_NS6detail44device_merge_sort_compile_time_verifier_archINS1_11comp_targetILNS1_3genE0ELNS1_11target_archE4294967295ELNS1_3gpuE0ELNS1_3repE0EEES8_NS1_28merge_sort_block_sort_configILj256ELj4ELNS0_20block_sort_algorithmE0EEENS0_14default_configENS1_37merge_sort_block_sort_config_selectorIfNS0_10empty_typeEEENS1_38merge_sort_block_merge_config_selectorIfSE_EEEEvv.has_dyn_sized_stack, 0
	.set _ZN7rocprim17ROCPRIM_400000_NS6detail44device_merge_sort_compile_time_verifier_archINS1_11comp_targetILNS1_3genE0ELNS1_11target_archE4294967295ELNS1_3gpuE0ELNS1_3repE0EEES8_NS1_28merge_sort_block_sort_configILj256ELj4ELNS0_20block_sort_algorithmE0EEENS0_14default_configENS1_37merge_sort_block_sort_config_selectorIfNS0_10empty_typeEEENS1_38merge_sort_block_merge_config_selectorIfSE_EEEEvv.has_recursion, 0
	.set _ZN7rocprim17ROCPRIM_400000_NS6detail44device_merge_sort_compile_time_verifier_archINS1_11comp_targetILNS1_3genE0ELNS1_11target_archE4294967295ELNS1_3gpuE0ELNS1_3repE0EEES8_NS1_28merge_sort_block_sort_configILj256ELj4ELNS0_20block_sort_algorithmE0EEENS0_14default_configENS1_37merge_sort_block_sort_config_selectorIfNS0_10empty_typeEEENS1_38merge_sort_block_merge_config_selectorIfSE_EEEEvv.has_indirect_call, 0
	.section	.AMDGPU.csdata,"",@progbits
; Kernel info:
; codeLenInByte = 4
; TotalNumSgprs: 0
; NumVgprs: 0
; ScratchSize: 0
; MemoryBound: 0
; FloatMode: 240
; IeeeMode: 1
; LDSByteSize: 0 bytes/workgroup (compile time only)
; SGPRBlocks: 0
; VGPRBlocks: 0
; NumSGPRsForWavesPerEU: 1
; NumVGPRsForWavesPerEU: 1
; NamedBarCnt: 0
; Occupancy: 16
; WaveLimiterHint : 0
; COMPUTE_PGM_RSRC2:SCRATCH_EN: 0
; COMPUTE_PGM_RSRC2:USER_SGPR: 0
; COMPUTE_PGM_RSRC2:TRAP_HANDLER: 0
; COMPUTE_PGM_RSRC2:TGID_X_EN: 1
; COMPUTE_PGM_RSRC2:TGID_Y_EN: 0
; COMPUTE_PGM_RSRC2:TGID_Z_EN: 0
; COMPUTE_PGM_RSRC2:TIDIG_COMP_CNT: 0
	.section	.text._ZN7rocprim17ROCPRIM_400000_NS6detail44device_merge_sort_compile_time_verifier_archINS1_11comp_targetILNS1_3genE5ELNS1_11target_archE942ELNS1_3gpuE9ELNS1_3repE0EEES8_NS1_28merge_sort_block_sort_configILj256ELj4ELNS0_20block_sort_algorithmE0EEENS0_14default_configENS1_37merge_sort_block_sort_config_selectorIfNS0_10empty_typeEEENS1_38merge_sort_block_merge_config_selectorIfSE_EEEEvv,"axG",@progbits,_ZN7rocprim17ROCPRIM_400000_NS6detail44device_merge_sort_compile_time_verifier_archINS1_11comp_targetILNS1_3genE5ELNS1_11target_archE942ELNS1_3gpuE9ELNS1_3repE0EEES8_NS1_28merge_sort_block_sort_configILj256ELj4ELNS0_20block_sort_algorithmE0EEENS0_14default_configENS1_37merge_sort_block_sort_config_selectorIfNS0_10empty_typeEEENS1_38merge_sort_block_merge_config_selectorIfSE_EEEEvv,comdat
	.protected	_ZN7rocprim17ROCPRIM_400000_NS6detail44device_merge_sort_compile_time_verifier_archINS1_11comp_targetILNS1_3genE5ELNS1_11target_archE942ELNS1_3gpuE9ELNS1_3repE0EEES8_NS1_28merge_sort_block_sort_configILj256ELj4ELNS0_20block_sort_algorithmE0EEENS0_14default_configENS1_37merge_sort_block_sort_config_selectorIfNS0_10empty_typeEEENS1_38merge_sort_block_merge_config_selectorIfSE_EEEEvv ; -- Begin function _ZN7rocprim17ROCPRIM_400000_NS6detail44device_merge_sort_compile_time_verifier_archINS1_11comp_targetILNS1_3genE5ELNS1_11target_archE942ELNS1_3gpuE9ELNS1_3repE0EEES8_NS1_28merge_sort_block_sort_configILj256ELj4ELNS0_20block_sort_algorithmE0EEENS0_14default_configENS1_37merge_sort_block_sort_config_selectorIfNS0_10empty_typeEEENS1_38merge_sort_block_merge_config_selectorIfSE_EEEEvv
	.globl	_ZN7rocprim17ROCPRIM_400000_NS6detail44device_merge_sort_compile_time_verifier_archINS1_11comp_targetILNS1_3genE5ELNS1_11target_archE942ELNS1_3gpuE9ELNS1_3repE0EEES8_NS1_28merge_sort_block_sort_configILj256ELj4ELNS0_20block_sort_algorithmE0EEENS0_14default_configENS1_37merge_sort_block_sort_config_selectorIfNS0_10empty_typeEEENS1_38merge_sort_block_merge_config_selectorIfSE_EEEEvv
	.p2align	8
	.type	_ZN7rocprim17ROCPRIM_400000_NS6detail44device_merge_sort_compile_time_verifier_archINS1_11comp_targetILNS1_3genE5ELNS1_11target_archE942ELNS1_3gpuE9ELNS1_3repE0EEES8_NS1_28merge_sort_block_sort_configILj256ELj4ELNS0_20block_sort_algorithmE0EEENS0_14default_configENS1_37merge_sort_block_sort_config_selectorIfNS0_10empty_typeEEENS1_38merge_sort_block_merge_config_selectorIfSE_EEEEvv,@function
_ZN7rocprim17ROCPRIM_400000_NS6detail44device_merge_sort_compile_time_verifier_archINS1_11comp_targetILNS1_3genE5ELNS1_11target_archE942ELNS1_3gpuE9ELNS1_3repE0EEES8_NS1_28merge_sort_block_sort_configILj256ELj4ELNS0_20block_sort_algorithmE0EEENS0_14default_configENS1_37merge_sort_block_sort_config_selectorIfNS0_10empty_typeEEENS1_38merge_sort_block_merge_config_selectorIfSE_EEEEvv: ; @_ZN7rocprim17ROCPRIM_400000_NS6detail44device_merge_sort_compile_time_verifier_archINS1_11comp_targetILNS1_3genE5ELNS1_11target_archE942ELNS1_3gpuE9ELNS1_3repE0EEES8_NS1_28merge_sort_block_sort_configILj256ELj4ELNS0_20block_sort_algorithmE0EEENS0_14default_configENS1_37merge_sort_block_sort_config_selectorIfNS0_10empty_typeEEENS1_38merge_sort_block_merge_config_selectorIfSE_EEEEvv
; %bb.0:
	s_endpgm
	.section	.rodata,"a",@progbits
	.p2align	6, 0x0
	.amdhsa_kernel _ZN7rocprim17ROCPRIM_400000_NS6detail44device_merge_sort_compile_time_verifier_archINS1_11comp_targetILNS1_3genE5ELNS1_11target_archE942ELNS1_3gpuE9ELNS1_3repE0EEES8_NS1_28merge_sort_block_sort_configILj256ELj4ELNS0_20block_sort_algorithmE0EEENS0_14default_configENS1_37merge_sort_block_sort_config_selectorIfNS0_10empty_typeEEENS1_38merge_sort_block_merge_config_selectorIfSE_EEEEvv
		.amdhsa_group_segment_fixed_size 0
		.amdhsa_private_segment_fixed_size 0
		.amdhsa_kernarg_size 0
		.amdhsa_user_sgpr_count 0
		.amdhsa_user_sgpr_dispatch_ptr 0
		.amdhsa_user_sgpr_queue_ptr 0
		.amdhsa_user_sgpr_kernarg_segment_ptr 0
		.amdhsa_user_sgpr_dispatch_id 0
		.amdhsa_user_sgpr_kernarg_preload_length 0
		.amdhsa_user_sgpr_kernarg_preload_offset 0
		.amdhsa_user_sgpr_private_segment_size 0
		.amdhsa_wavefront_size32 1
		.amdhsa_uses_dynamic_stack 0
		.amdhsa_enable_private_segment 0
		.amdhsa_system_sgpr_workgroup_id_x 1
		.amdhsa_system_sgpr_workgroup_id_y 0
		.amdhsa_system_sgpr_workgroup_id_z 0
		.amdhsa_system_sgpr_workgroup_info 0
		.amdhsa_system_vgpr_workitem_id 0
		.amdhsa_next_free_vgpr 1
		.amdhsa_next_free_sgpr 1
		.amdhsa_named_barrier_count 0
		.amdhsa_reserve_vcc 0
		.amdhsa_float_round_mode_32 0
		.amdhsa_float_round_mode_16_64 0
		.amdhsa_float_denorm_mode_32 3
		.amdhsa_float_denorm_mode_16_64 3
		.amdhsa_fp16_overflow 0
		.amdhsa_memory_ordered 1
		.amdhsa_forward_progress 1
		.amdhsa_inst_pref_size 1
		.amdhsa_round_robin_scheduling 0
		.amdhsa_exception_fp_ieee_invalid_op 0
		.amdhsa_exception_fp_denorm_src 0
		.amdhsa_exception_fp_ieee_div_zero 0
		.amdhsa_exception_fp_ieee_overflow 0
		.amdhsa_exception_fp_ieee_underflow 0
		.amdhsa_exception_fp_ieee_inexact 0
		.amdhsa_exception_int_div_zero 0
	.end_amdhsa_kernel
	.section	.text._ZN7rocprim17ROCPRIM_400000_NS6detail44device_merge_sort_compile_time_verifier_archINS1_11comp_targetILNS1_3genE5ELNS1_11target_archE942ELNS1_3gpuE9ELNS1_3repE0EEES8_NS1_28merge_sort_block_sort_configILj256ELj4ELNS0_20block_sort_algorithmE0EEENS0_14default_configENS1_37merge_sort_block_sort_config_selectorIfNS0_10empty_typeEEENS1_38merge_sort_block_merge_config_selectorIfSE_EEEEvv,"axG",@progbits,_ZN7rocprim17ROCPRIM_400000_NS6detail44device_merge_sort_compile_time_verifier_archINS1_11comp_targetILNS1_3genE5ELNS1_11target_archE942ELNS1_3gpuE9ELNS1_3repE0EEES8_NS1_28merge_sort_block_sort_configILj256ELj4ELNS0_20block_sort_algorithmE0EEENS0_14default_configENS1_37merge_sort_block_sort_config_selectorIfNS0_10empty_typeEEENS1_38merge_sort_block_merge_config_selectorIfSE_EEEEvv,comdat
.Lfunc_end1253:
	.size	_ZN7rocprim17ROCPRIM_400000_NS6detail44device_merge_sort_compile_time_verifier_archINS1_11comp_targetILNS1_3genE5ELNS1_11target_archE942ELNS1_3gpuE9ELNS1_3repE0EEES8_NS1_28merge_sort_block_sort_configILj256ELj4ELNS0_20block_sort_algorithmE0EEENS0_14default_configENS1_37merge_sort_block_sort_config_selectorIfNS0_10empty_typeEEENS1_38merge_sort_block_merge_config_selectorIfSE_EEEEvv, .Lfunc_end1253-_ZN7rocprim17ROCPRIM_400000_NS6detail44device_merge_sort_compile_time_verifier_archINS1_11comp_targetILNS1_3genE5ELNS1_11target_archE942ELNS1_3gpuE9ELNS1_3repE0EEES8_NS1_28merge_sort_block_sort_configILj256ELj4ELNS0_20block_sort_algorithmE0EEENS0_14default_configENS1_37merge_sort_block_sort_config_selectorIfNS0_10empty_typeEEENS1_38merge_sort_block_merge_config_selectorIfSE_EEEEvv
                                        ; -- End function
	.set _ZN7rocprim17ROCPRIM_400000_NS6detail44device_merge_sort_compile_time_verifier_archINS1_11comp_targetILNS1_3genE5ELNS1_11target_archE942ELNS1_3gpuE9ELNS1_3repE0EEES8_NS1_28merge_sort_block_sort_configILj256ELj4ELNS0_20block_sort_algorithmE0EEENS0_14default_configENS1_37merge_sort_block_sort_config_selectorIfNS0_10empty_typeEEENS1_38merge_sort_block_merge_config_selectorIfSE_EEEEvv.num_vgpr, 0
	.set _ZN7rocprim17ROCPRIM_400000_NS6detail44device_merge_sort_compile_time_verifier_archINS1_11comp_targetILNS1_3genE5ELNS1_11target_archE942ELNS1_3gpuE9ELNS1_3repE0EEES8_NS1_28merge_sort_block_sort_configILj256ELj4ELNS0_20block_sort_algorithmE0EEENS0_14default_configENS1_37merge_sort_block_sort_config_selectorIfNS0_10empty_typeEEENS1_38merge_sort_block_merge_config_selectorIfSE_EEEEvv.num_agpr, 0
	.set _ZN7rocprim17ROCPRIM_400000_NS6detail44device_merge_sort_compile_time_verifier_archINS1_11comp_targetILNS1_3genE5ELNS1_11target_archE942ELNS1_3gpuE9ELNS1_3repE0EEES8_NS1_28merge_sort_block_sort_configILj256ELj4ELNS0_20block_sort_algorithmE0EEENS0_14default_configENS1_37merge_sort_block_sort_config_selectorIfNS0_10empty_typeEEENS1_38merge_sort_block_merge_config_selectorIfSE_EEEEvv.numbered_sgpr, 0
	.set _ZN7rocprim17ROCPRIM_400000_NS6detail44device_merge_sort_compile_time_verifier_archINS1_11comp_targetILNS1_3genE5ELNS1_11target_archE942ELNS1_3gpuE9ELNS1_3repE0EEES8_NS1_28merge_sort_block_sort_configILj256ELj4ELNS0_20block_sort_algorithmE0EEENS0_14default_configENS1_37merge_sort_block_sort_config_selectorIfNS0_10empty_typeEEENS1_38merge_sort_block_merge_config_selectorIfSE_EEEEvv.num_named_barrier, 0
	.set _ZN7rocprim17ROCPRIM_400000_NS6detail44device_merge_sort_compile_time_verifier_archINS1_11comp_targetILNS1_3genE5ELNS1_11target_archE942ELNS1_3gpuE9ELNS1_3repE0EEES8_NS1_28merge_sort_block_sort_configILj256ELj4ELNS0_20block_sort_algorithmE0EEENS0_14default_configENS1_37merge_sort_block_sort_config_selectorIfNS0_10empty_typeEEENS1_38merge_sort_block_merge_config_selectorIfSE_EEEEvv.private_seg_size, 0
	.set _ZN7rocprim17ROCPRIM_400000_NS6detail44device_merge_sort_compile_time_verifier_archINS1_11comp_targetILNS1_3genE5ELNS1_11target_archE942ELNS1_3gpuE9ELNS1_3repE0EEES8_NS1_28merge_sort_block_sort_configILj256ELj4ELNS0_20block_sort_algorithmE0EEENS0_14default_configENS1_37merge_sort_block_sort_config_selectorIfNS0_10empty_typeEEENS1_38merge_sort_block_merge_config_selectorIfSE_EEEEvv.uses_vcc, 0
	.set _ZN7rocprim17ROCPRIM_400000_NS6detail44device_merge_sort_compile_time_verifier_archINS1_11comp_targetILNS1_3genE5ELNS1_11target_archE942ELNS1_3gpuE9ELNS1_3repE0EEES8_NS1_28merge_sort_block_sort_configILj256ELj4ELNS0_20block_sort_algorithmE0EEENS0_14default_configENS1_37merge_sort_block_sort_config_selectorIfNS0_10empty_typeEEENS1_38merge_sort_block_merge_config_selectorIfSE_EEEEvv.uses_flat_scratch, 0
	.set _ZN7rocprim17ROCPRIM_400000_NS6detail44device_merge_sort_compile_time_verifier_archINS1_11comp_targetILNS1_3genE5ELNS1_11target_archE942ELNS1_3gpuE9ELNS1_3repE0EEES8_NS1_28merge_sort_block_sort_configILj256ELj4ELNS0_20block_sort_algorithmE0EEENS0_14default_configENS1_37merge_sort_block_sort_config_selectorIfNS0_10empty_typeEEENS1_38merge_sort_block_merge_config_selectorIfSE_EEEEvv.has_dyn_sized_stack, 0
	.set _ZN7rocprim17ROCPRIM_400000_NS6detail44device_merge_sort_compile_time_verifier_archINS1_11comp_targetILNS1_3genE5ELNS1_11target_archE942ELNS1_3gpuE9ELNS1_3repE0EEES8_NS1_28merge_sort_block_sort_configILj256ELj4ELNS0_20block_sort_algorithmE0EEENS0_14default_configENS1_37merge_sort_block_sort_config_selectorIfNS0_10empty_typeEEENS1_38merge_sort_block_merge_config_selectorIfSE_EEEEvv.has_recursion, 0
	.set _ZN7rocprim17ROCPRIM_400000_NS6detail44device_merge_sort_compile_time_verifier_archINS1_11comp_targetILNS1_3genE5ELNS1_11target_archE942ELNS1_3gpuE9ELNS1_3repE0EEES8_NS1_28merge_sort_block_sort_configILj256ELj4ELNS0_20block_sort_algorithmE0EEENS0_14default_configENS1_37merge_sort_block_sort_config_selectorIfNS0_10empty_typeEEENS1_38merge_sort_block_merge_config_selectorIfSE_EEEEvv.has_indirect_call, 0
	.section	.AMDGPU.csdata,"",@progbits
; Kernel info:
; codeLenInByte = 4
; TotalNumSgprs: 0
; NumVgprs: 0
; ScratchSize: 0
; MemoryBound: 0
; FloatMode: 240
; IeeeMode: 1
; LDSByteSize: 0 bytes/workgroup (compile time only)
; SGPRBlocks: 0
; VGPRBlocks: 0
; NumSGPRsForWavesPerEU: 1
; NumVGPRsForWavesPerEU: 1
; NamedBarCnt: 0
; Occupancy: 16
; WaveLimiterHint : 0
; COMPUTE_PGM_RSRC2:SCRATCH_EN: 0
; COMPUTE_PGM_RSRC2:USER_SGPR: 0
; COMPUTE_PGM_RSRC2:TRAP_HANDLER: 0
; COMPUTE_PGM_RSRC2:TGID_X_EN: 1
; COMPUTE_PGM_RSRC2:TGID_Y_EN: 0
; COMPUTE_PGM_RSRC2:TGID_Z_EN: 0
; COMPUTE_PGM_RSRC2:TIDIG_COMP_CNT: 0
	.section	.text._ZN7rocprim17ROCPRIM_400000_NS6detail44device_merge_sort_compile_time_verifier_archINS1_11comp_targetILNS1_3genE4ELNS1_11target_archE910ELNS1_3gpuE8ELNS1_3repE0EEES8_NS1_28merge_sort_block_sort_configILj256ELj4ELNS0_20block_sort_algorithmE0EEENS0_14default_configENS1_37merge_sort_block_sort_config_selectorIfNS0_10empty_typeEEENS1_38merge_sort_block_merge_config_selectorIfSE_EEEEvv,"axG",@progbits,_ZN7rocprim17ROCPRIM_400000_NS6detail44device_merge_sort_compile_time_verifier_archINS1_11comp_targetILNS1_3genE4ELNS1_11target_archE910ELNS1_3gpuE8ELNS1_3repE0EEES8_NS1_28merge_sort_block_sort_configILj256ELj4ELNS0_20block_sort_algorithmE0EEENS0_14default_configENS1_37merge_sort_block_sort_config_selectorIfNS0_10empty_typeEEENS1_38merge_sort_block_merge_config_selectorIfSE_EEEEvv,comdat
	.protected	_ZN7rocprim17ROCPRIM_400000_NS6detail44device_merge_sort_compile_time_verifier_archINS1_11comp_targetILNS1_3genE4ELNS1_11target_archE910ELNS1_3gpuE8ELNS1_3repE0EEES8_NS1_28merge_sort_block_sort_configILj256ELj4ELNS0_20block_sort_algorithmE0EEENS0_14default_configENS1_37merge_sort_block_sort_config_selectorIfNS0_10empty_typeEEENS1_38merge_sort_block_merge_config_selectorIfSE_EEEEvv ; -- Begin function _ZN7rocprim17ROCPRIM_400000_NS6detail44device_merge_sort_compile_time_verifier_archINS1_11comp_targetILNS1_3genE4ELNS1_11target_archE910ELNS1_3gpuE8ELNS1_3repE0EEES8_NS1_28merge_sort_block_sort_configILj256ELj4ELNS0_20block_sort_algorithmE0EEENS0_14default_configENS1_37merge_sort_block_sort_config_selectorIfNS0_10empty_typeEEENS1_38merge_sort_block_merge_config_selectorIfSE_EEEEvv
	.globl	_ZN7rocprim17ROCPRIM_400000_NS6detail44device_merge_sort_compile_time_verifier_archINS1_11comp_targetILNS1_3genE4ELNS1_11target_archE910ELNS1_3gpuE8ELNS1_3repE0EEES8_NS1_28merge_sort_block_sort_configILj256ELj4ELNS0_20block_sort_algorithmE0EEENS0_14default_configENS1_37merge_sort_block_sort_config_selectorIfNS0_10empty_typeEEENS1_38merge_sort_block_merge_config_selectorIfSE_EEEEvv
	.p2align	8
	.type	_ZN7rocprim17ROCPRIM_400000_NS6detail44device_merge_sort_compile_time_verifier_archINS1_11comp_targetILNS1_3genE4ELNS1_11target_archE910ELNS1_3gpuE8ELNS1_3repE0EEES8_NS1_28merge_sort_block_sort_configILj256ELj4ELNS0_20block_sort_algorithmE0EEENS0_14default_configENS1_37merge_sort_block_sort_config_selectorIfNS0_10empty_typeEEENS1_38merge_sort_block_merge_config_selectorIfSE_EEEEvv,@function
_ZN7rocprim17ROCPRIM_400000_NS6detail44device_merge_sort_compile_time_verifier_archINS1_11comp_targetILNS1_3genE4ELNS1_11target_archE910ELNS1_3gpuE8ELNS1_3repE0EEES8_NS1_28merge_sort_block_sort_configILj256ELj4ELNS0_20block_sort_algorithmE0EEENS0_14default_configENS1_37merge_sort_block_sort_config_selectorIfNS0_10empty_typeEEENS1_38merge_sort_block_merge_config_selectorIfSE_EEEEvv: ; @_ZN7rocprim17ROCPRIM_400000_NS6detail44device_merge_sort_compile_time_verifier_archINS1_11comp_targetILNS1_3genE4ELNS1_11target_archE910ELNS1_3gpuE8ELNS1_3repE0EEES8_NS1_28merge_sort_block_sort_configILj256ELj4ELNS0_20block_sort_algorithmE0EEENS0_14default_configENS1_37merge_sort_block_sort_config_selectorIfNS0_10empty_typeEEENS1_38merge_sort_block_merge_config_selectorIfSE_EEEEvv
; %bb.0:
	s_endpgm
	.section	.rodata,"a",@progbits
	.p2align	6, 0x0
	.amdhsa_kernel _ZN7rocprim17ROCPRIM_400000_NS6detail44device_merge_sort_compile_time_verifier_archINS1_11comp_targetILNS1_3genE4ELNS1_11target_archE910ELNS1_3gpuE8ELNS1_3repE0EEES8_NS1_28merge_sort_block_sort_configILj256ELj4ELNS0_20block_sort_algorithmE0EEENS0_14default_configENS1_37merge_sort_block_sort_config_selectorIfNS0_10empty_typeEEENS1_38merge_sort_block_merge_config_selectorIfSE_EEEEvv
		.amdhsa_group_segment_fixed_size 0
		.amdhsa_private_segment_fixed_size 0
		.amdhsa_kernarg_size 0
		.amdhsa_user_sgpr_count 0
		.amdhsa_user_sgpr_dispatch_ptr 0
		.amdhsa_user_sgpr_queue_ptr 0
		.amdhsa_user_sgpr_kernarg_segment_ptr 0
		.amdhsa_user_sgpr_dispatch_id 0
		.amdhsa_user_sgpr_kernarg_preload_length 0
		.amdhsa_user_sgpr_kernarg_preload_offset 0
		.amdhsa_user_sgpr_private_segment_size 0
		.amdhsa_wavefront_size32 1
		.amdhsa_uses_dynamic_stack 0
		.amdhsa_enable_private_segment 0
		.amdhsa_system_sgpr_workgroup_id_x 1
		.amdhsa_system_sgpr_workgroup_id_y 0
		.amdhsa_system_sgpr_workgroup_id_z 0
		.amdhsa_system_sgpr_workgroup_info 0
		.amdhsa_system_vgpr_workitem_id 0
		.amdhsa_next_free_vgpr 1
		.amdhsa_next_free_sgpr 1
		.amdhsa_named_barrier_count 0
		.amdhsa_reserve_vcc 0
		.amdhsa_float_round_mode_32 0
		.amdhsa_float_round_mode_16_64 0
		.amdhsa_float_denorm_mode_32 3
		.amdhsa_float_denorm_mode_16_64 3
		.amdhsa_fp16_overflow 0
		.amdhsa_memory_ordered 1
		.amdhsa_forward_progress 1
		.amdhsa_inst_pref_size 1
		.amdhsa_round_robin_scheduling 0
		.amdhsa_exception_fp_ieee_invalid_op 0
		.amdhsa_exception_fp_denorm_src 0
		.amdhsa_exception_fp_ieee_div_zero 0
		.amdhsa_exception_fp_ieee_overflow 0
		.amdhsa_exception_fp_ieee_underflow 0
		.amdhsa_exception_fp_ieee_inexact 0
		.amdhsa_exception_int_div_zero 0
	.end_amdhsa_kernel
	.section	.text._ZN7rocprim17ROCPRIM_400000_NS6detail44device_merge_sort_compile_time_verifier_archINS1_11comp_targetILNS1_3genE4ELNS1_11target_archE910ELNS1_3gpuE8ELNS1_3repE0EEES8_NS1_28merge_sort_block_sort_configILj256ELj4ELNS0_20block_sort_algorithmE0EEENS0_14default_configENS1_37merge_sort_block_sort_config_selectorIfNS0_10empty_typeEEENS1_38merge_sort_block_merge_config_selectorIfSE_EEEEvv,"axG",@progbits,_ZN7rocprim17ROCPRIM_400000_NS6detail44device_merge_sort_compile_time_verifier_archINS1_11comp_targetILNS1_3genE4ELNS1_11target_archE910ELNS1_3gpuE8ELNS1_3repE0EEES8_NS1_28merge_sort_block_sort_configILj256ELj4ELNS0_20block_sort_algorithmE0EEENS0_14default_configENS1_37merge_sort_block_sort_config_selectorIfNS0_10empty_typeEEENS1_38merge_sort_block_merge_config_selectorIfSE_EEEEvv,comdat
.Lfunc_end1254:
	.size	_ZN7rocprim17ROCPRIM_400000_NS6detail44device_merge_sort_compile_time_verifier_archINS1_11comp_targetILNS1_3genE4ELNS1_11target_archE910ELNS1_3gpuE8ELNS1_3repE0EEES8_NS1_28merge_sort_block_sort_configILj256ELj4ELNS0_20block_sort_algorithmE0EEENS0_14default_configENS1_37merge_sort_block_sort_config_selectorIfNS0_10empty_typeEEENS1_38merge_sort_block_merge_config_selectorIfSE_EEEEvv, .Lfunc_end1254-_ZN7rocprim17ROCPRIM_400000_NS6detail44device_merge_sort_compile_time_verifier_archINS1_11comp_targetILNS1_3genE4ELNS1_11target_archE910ELNS1_3gpuE8ELNS1_3repE0EEES8_NS1_28merge_sort_block_sort_configILj256ELj4ELNS0_20block_sort_algorithmE0EEENS0_14default_configENS1_37merge_sort_block_sort_config_selectorIfNS0_10empty_typeEEENS1_38merge_sort_block_merge_config_selectorIfSE_EEEEvv
                                        ; -- End function
	.set _ZN7rocprim17ROCPRIM_400000_NS6detail44device_merge_sort_compile_time_verifier_archINS1_11comp_targetILNS1_3genE4ELNS1_11target_archE910ELNS1_3gpuE8ELNS1_3repE0EEES8_NS1_28merge_sort_block_sort_configILj256ELj4ELNS0_20block_sort_algorithmE0EEENS0_14default_configENS1_37merge_sort_block_sort_config_selectorIfNS0_10empty_typeEEENS1_38merge_sort_block_merge_config_selectorIfSE_EEEEvv.num_vgpr, 0
	.set _ZN7rocprim17ROCPRIM_400000_NS6detail44device_merge_sort_compile_time_verifier_archINS1_11comp_targetILNS1_3genE4ELNS1_11target_archE910ELNS1_3gpuE8ELNS1_3repE0EEES8_NS1_28merge_sort_block_sort_configILj256ELj4ELNS0_20block_sort_algorithmE0EEENS0_14default_configENS1_37merge_sort_block_sort_config_selectorIfNS0_10empty_typeEEENS1_38merge_sort_block_merge_config_selectorIfSE_EEEEvv.num_agpr, 0
	.set _ZN7rocprim17ROCPRIM_400000_NS6detail44device_merge_sort_compile_time_verifier_archINS1_11comp_targetILNS1_3genE4ELNS1_11target_archE910ELNS1_3gpuE8ELNS1_3repE0EEES8_NS1_28merge_sort_block_sort_configILj256ELj4ELNS0_20block_sort_algorithmE0EEENS0_14default_configENS1_37merge_sort_block_sort_config_selectorIfNS0_10empty_typeEEENS1_38merge_sort_block_merge_config_selectorIfSE_EEEEvv.numbered_sgpr, 0
	.set _ZN7rocprim17ROCPRIM_400000_NS6detail44device_merge_sort_compile_time_verifier_archINS1_11comp_targetILNS1_3genE4ELNS1_11target_archE910ELNS1_3gpuE8ELNS1_3repE0EEES8_NS1_28merge_sort_block_sort_configILj256ELj4ELNS0_20block_sort_algorithmE0EEENS0_14default_configENS1_37merge_sort_block_sort_config_selectorIfNS0_10empty_typeEEENS1_38merge_sort_block_merge_config_selectorIfSE_EEEEvv.num_named_barrier, 0
	.set _ZN7rocprim17ROCPRIM_400000_NS6detail44device_merge_sort_compile_time_verifier_archINS1_11comp_targetILNS1_3genE4ELNS1_11target_archE910ELNS1_3gpuE8ELNS1_3repE0EEES8_NS1_28merge_sort_block_sort_configILj256ELj4ELNS0_20block_sort_algorithmE0EEENS0_14default_configENS1_37merge_sort_block_sort_config_selectorIfNS0_10empty_typeEEENS1_38merge_sort_block_merge_config_selectorIfSE_EEEEvv.private_seg_size, 0
	.set _ZN7rocprim17ROCPRIM_400000_NS6detail44device_merge_sort_compile_time_verifier_archINS1_11comp_targetILNS1_3genE4ELNS1_11target_archE910ELNS1_3gpuE8ELNS1_3repE0EEES8_NS1_28merge_sort_block_sort_configILj256ELj4ELNS0_20block_sort_algorithmE0EEENS0_14default_configENS1_37merge_sort_block_sort_config_selectorIfNS0_10empty_typeEEENS1_38merge_sort_block_merge_config_selectorIfSE_EEEEvv.uses_vcc, 0
	.set _ZN7rocprim17ROCPRIM_400000_NS6detail44device_merge_sort_compile_time_verifier_archINS1_11comp_targetILNS1_3genE4ELNS1_11target_archE910ELNS1_3gpuE8ELNS1_3repE0EEES8_NS1_28merge_sort_block_sort_configILj256ELj4ELNS0_20block_sort_algorithmE0EEENS0_14default_configENS1_37merge_sort_block_sort_config_selectorIfNS0_10empty_typeEEENS1_38merge_sort_block_merge_config_selectorIfSE_EEEEvv.uses_flat_scratch, 0
	.set _ZN7rocprim17ROCPRIM_400000_NS6detail44device_merge_sort_compile_time_verifier_archINS1_11comp_targetILNS1_3genE4ELNS1_11target_archE910ELNS1_3gpuE8ELNS1_3repE0EEES8_NS1_28merge_sort_block_sort_configILj256ELj4ELNS0_20block_sort_algorithmE0EEENS0_14default_configENS1_37merge_sort_block_sort_config_selectorIfNS0_10empty_typeEEENS1_38merge_sort_block_merge_config_selectorIfSE_EEEEvv.has_dyn_sized_stack, 0
	.set _ZN7rocprim17ROCPRIM_400000_NS6detail44device_merge_sort_compile_time_verifier_archINS1_11comp_targetILNS1_3genE4ELNS1_11target_archE910ELNS1_3gpuE8ELNS1_3repE0EEES8_NS1_28merge_sort_block_sort_configILj256ELj4ELNS0_20block_sort_algorithmE0EEENS0_14default_configENS1_37merge_sort_block_sort_config_selectorIfNS0_10empty_typeEEENS1_38merge_sort_block_merge_config_selectorIfSE_EEEEvv.has_recursion, 0
	.set _ZN7rocprim17ROCPRIM_400000_NS6detail44device_merge_sort_compile_time_verifier_archINS1_11comp_targetILNS1_3genE4ELNS1_11target_archE910ELNS1_3gpuE8ELNS1_3repE0EEES8_NS1_28merge_sort_block_sort_configILj256ELj4ELNS0_20block_sort_algorithmE0EEENS0_14default_configENS1_37merge_sort_block_sort_config_selectorIfNS0_10empty_typeEEENS1_38merge_sort_block_merge_config_selectorIfSE_EEEEvv.has_indirect_call, 0
	.section	.AMDGPU.csdata,"",@progbits
; Kernel info:
; codeLenInByte = 4
; TotalNumSgprs: 0
; NumVgprs: 0
; ScratchSize: 0
; MemoryBound: 0
; FloatMode: 240
; IeeeMode: 1
; LDSByteSize: 0 bytes/workgroup (compile time only)
; SGPRBlocks: 0
; VGPRBlocks: 0
; NumSGPRsForWavesPerEU: 1
; NumVGPRsForWavesPerEU: 1
; NamedBarCnt: 0
; Occupancy: 16
; WaveLimiterHint : 0
; COMPUTE_PGM_RSRC2:SCRATCH_EN: 0
; COMPUTE_PGM_RSRC2:USER_SGPR: 0
; COMPUTE_PGM_RSRC2:TRAP_HANDLER: 0
; COMPUTE_PGM_RSRC2:TGID_X_EN: 1
; COMPUTE_PGM_RSRC2:TGID_Y_EN: 0
; COMPUTE_PGM_RSRC2:TGID_Z_EN: 0
; COMPUTE_PGM_RSRC2:TIDIG_COMP_CNT: 0
	.section	.text._ZN7rocprim17ROCPRIM_400000_NS6detail44device_merge_sort_compile_time_verifier_archINS1_11comp_targetILNS1_3genE3ELNS1_11target_archE908ELNS1_3gpuE7ELNS1_3repE0EEES8_NS1_28merge_sort_block_sort_configILj256ELj4ELNS0_20block_sort_algorithmE0EEENS0_14default_configENS1_37merge_sort_block_sort_config_selectorIfNS0_10empty_typeEEENS1_38merge_sort_block_merge_config_selectorIfSE_EEEEvv,"axG",@progbits,_ZN7rocprim17ROCPRIM_400000_NS6detail44device_merge_sort_compile_time_verifier_archINS1_11comp_targetILNS1_3genE3ELNS1_11target_archE908ELNS1_3gpuE7ELNS1_3repE0EEES8_NS1_28merge_sort_block_sort_configILj256ELj4ELNS0_20block_sort_algorithmE0EEENS0_14default_configENS1_37merge_sort_block_sort_config_selectorIfNS0_10empty_typeEEENS1_38merge_sort_block_merge_config_selectorIfSE_EEEEvv,comdat
	.protected	_ZN7rocprim17ROCPRIM_400000_NS6detail44device_merge_sort_compile_time_verifier_archINS1_11comp_targetILNS1_3genE3ELNS1_11target_archE908ELNS1_3gpuE7ELNS1_3repE0EEES8_NS1_28merge_sort_block_sort_configILj256ELj4ELNS0_20block_sort_algorithmE0EEENS0_14default_configENS1_37merge_sort_block_sort_config_selectorIfNS0_10empty_typeEEENS1_38merge_sort_block_merge_config_selectorIfSE_EEEEvv ; -- Begin function _ZN7rocprim17ROCPRIM_400000_NS6detail44device_merge_sort_compile_time_verifier_archINS1_11comp_targetILNS1_3genE3ELNS1_11target_archE908ELNS1_3gpuE7ELNS1_3repE0EEES8_NS1_28merge_sort_block_sort_configILj256ELj4ELNS0_20block_sort_algorithmE0EEENS0_14default_configENS1_37merge_sort_block_sort_config_selectorIfNS0_10empty_typeEEENS1_38merge_sort_block_merge_config_selectorIfSE_EEEEvv
	.globl	_ZN7rocprim17ROCPRIM_400000_NS6detail44device_merge_sort_compile_time_verifier_archINS1_11comp_targetILNS1_3genE3ELNS1_11target_archE908ELNS1_3gpuE7ELNS1_3repE0EEES8_NS1_28merge_sort_block_sort_configILj256ELj4ELNS0_20block_sort_algorithmE0EEENS0_14default_configENS1_37merge_sort_block_sort_config_selectorIfNS0_10empty_typeEEENS1_38merge_sort_block_merge_config_selectorIfSE_EEEEvv
	.p2align	8
	.type	_ZN7rocprim17ROCPRIM_400000_NS6detail44device_merge_sort_compile_time_verifier_archINS1_11comp_targetILNS1_3genE3ELNS1_11target_archE908ELNS1_3gpuE7ELNS1_3repE0EEES8_NS1_28merge_sort_block_sort_configILj256ELj4ELNS0_20block_sort_algorithmE0EEENS0_14default_configENS1_37merge_sort_block_sort_config_selectorIfNS0_10empty_typeEEENS1_38merge_sort_block_merge_config_selectorIfSE_EEEEvv,@function
_ZN7rocprim17ROCPRIM_400000_NS6detail44device_merge_sort_compile_time_verifier_archINS1_11comp_targetILNS1_3genE3ELNS1_11target_archE908ELNS1_3gpuE7ELNS1_3repE0EEES8_NS1_28merge_sort_block_sort_configILj256ELj4ELNS0_20block_sort_algorithmE0EEENS0_14default_configENS1_37merge_sort_block_sort_config_selectorIfNS0_10empty_typeEEENS1_38merge_sort_block_merge_config_selectorIfSE_EEEEvv: ; @_ZN7rocprim17ROCPRIM_400000_NS6detail44device_merge_sort_compile_time_verifier_archINS1_11comp_targetILNS1_3genE3ELNS1_11target_archE908ELNS1_3gpuE7ELNS1_3repE0EEES8_NS1_28merge_sort_block_sort_configILj256ELj4ELNS0_20block_sort_algorithmE0EEENS0_14default_configENS1_37merge_sort_block_sort_config_selectorIfNS0_10empty_typeEEENS1_38merge_sort_block_merge_config_selectorIfSE_EEEEvv
; %bb.0:
	s_endpgm
	.section	.rodata,"a",@progbits
	.p2align	6, 0x0
	.amdhsa_kernel _ZN7rocprim17ROCPRIM_400000_NS6detail44device_merge_sort_compile_time_verifier_archINS1_11comp_targetILNS1_3genE3ELNS1_11target_archE908ELNS1_3gpuE7ELNS1_3repE0EEES8_NS1_28merge_sort_block_sort_configILj256ELj4ELNS0_20block_sort_algorithmE0EEENS0_14default_configENS1_37merge_sort_block_sort_config_selectorIfNS0_10empty_typeEEENS1_38merge_sort_block_merge_config_selectorIfSE_EEEEvv
		.amdhsa_group_segment_fixed_size 0
		.amdhsa_private_segment_fixed_size 0
		.amdhsa_kernarg_size 0
		.amdhsa_user_sgpr_count 0
		.amdhsa_user_sgpr_dispatch_ptr 0
		.amdhsa_user_sgpr_queue_ptr 0
		.amdhsa_user_sgpr_kernarg_segment_ptr 0
		.amdhsa_user_sgpr_dispatch_id 0
		.amdhsa_user_sgpr_kernarg_preload_length 0
		.amdhsa_user_sgpr_kernarg_preload_offset 0
		.amdhsa_user_sgpr_private_segment_size 0
		.amdhsa_wavefront_size32 1
		.amdhsa_uses_dynamic_stack 0
		.amdhsa_enable_private_segment 0
		.amdhsa_system_sgpr_workgroup_id_x 1
		.amdhsa_system_sgpr_workgroup_id_y 0
		.amdhsa_system_sgpr_workgroup_id_z 0
		.amdhsa_system_sgpr_workgroup_info 0
		.amdhsa_system_vgpr_workitem_id 0
		.amdhsa_next_free_vgpr 1
		.amdhsa_next_free_sgpr 1
		.amdhsa_named_barrier_count 0
		.amdhsa_reserve_vcc 0
		.amdhsa_float_round_mode_32 0
		.amdhsa_float_round_mode_16_64 0
		.amdhsa_float_denorm_mode_32 3
		.amdhsa_float_denorm_mode_16_64 3
		.amdhsa_fp16_overflow 0
		.amdhsa_memory_ordered 1
		.amdhsa_forward_progress 1
		.amdhsa_inst_pref_size 1
		.amdhsa_round_robin_scheduling 0
		.amdhsa_exception_fp_ieee_invalid_op 0
		.amdhsa_exception_fp_denorm_src 0
		.amdhsa_exception_fp_ieee_div_zero 0
		.amdhsa_exception_fp_ieee_overflow 0
		.amdhsa_exception_fp_ieee_underflow 0
		.amdhsa_exception_fp_ieee_inexact 0
		.amdhsa_exception_int_div_zero 0
	.end_amdhsa_kernel
	.section	.text._ZN7rocprim17ROCPRIM_400000_NS6detail44device_merge_sort_compile_time_verifier_archINS1_11comp_targetILNS1_3genE3ELNS1_11target_archE908ELNS1_3gpuE7ELNS1_3repE0EEES8_NS1_28merge_sort_block_sort_configILj256ELj4ELNS0_20block_sort_algorithmE0EEENS0_14default_configENS1_37merge_sort_block_sort_config_selectorIfNS0_10empty_typeEEENS1_38merge_sort_block_merge_config_selectorIfSE_EEEEvv,"axG",@progbits,_ZN7rocprim17ROCPRIM_400000_NS6detail44device_merge_sort_compile_time_verifier_archINS1_11comp_targetILNS1_3genE3ELNS1_11target_archE908ELNS1_3gpuE7ELNS1_3repE0EEES8_NS1_28merge_sort_block_sort_configILj256ELj4ELNS0_20block_sort_algorithmE0EEENS0_14default_configENS1_37merge_sort_block_sort_config_selectorIfNS0_10empty_typeEEENS1_38merge_sort_block_merge_config_selectorIfSE_EEEEvv,comdat
.Lfunc_end1255:
	.size	_ZN7rocprim17ROCPRIM_400000_NS6detail44device_merge_sort_compile_time_verifier_archINS1_11comp_targetILNS1_3genE3ELNS1_11target_archE908ELNS1_3gpuE7ELNS1_3repE0EEES8_NS1_28merge_sort_block_sort_configILj256ELj4ELNS0_20block_sort_algorithmE0EEENS0_14default_configENS1_37merge_sort_block_sort_config_selectorIfNS0_10empty_typeEEENS1_38merge_sort_block_merge_config_selectorIfSE_EEEEvv, .Lfunc_end1255-_ZN7rocprim17ROCPRIM_400000_NS6detail44device_merge_sort_compile_time_verifier_archINS1_11comp_targetILNS1_3genE3ELNS1_11target_archE908ELNS1_3gpuE7ELNS1_3repE0EEES8_NS1_28merge_sort_block_sort_configILj256ELj4ELNS0_20block_sort_algorithmE0EEENS0_14default_configENS1_37merge_sort_block_sort_config_selectorIfNS0_10empty_typeEEENS1_38merge_sort_block_merge_config_selectorIfSE_EEEEvv
                                        ; -- End function
	.set _ZN7rocprim17ROCPRIM_400000_NS6detail44device_merge_sort_compile_time_verifier_archINS1_11comp_targetILNS1_3genE3ELNS1_11target_archE908ELNS1_3gpuE7ELNS1_3repE0EEES8_NS1_28merge_sort_block_sort_configILj256ELj4ELNS0_20block_sort_algorithmE0EEENS0_14default_configENS1_37merge_sort_block_sort_config_selectorIfNS0_10empty_typeEEENS1_38merge_sort_block_merge_config_selectorIfSE_EEEEvv.num_vgpr, 0
	.set _ZN7rocprim17ROCPRIM_400000_NS6detail44device_merge_sort_compile_time_verifier_archINS1_11comp_targetILNS1_3genE3ELNS1_11target_archE908ELNS1_3gpuE7ELNS1_3repE0EEES8_NS1_28merge_sort_block_sort_configILj256ELj4ELNS0_20block_sort_algorithmE0EEENS0_14default_configENS1_37merge_sort_block_sort_config_selectorIfNS0_10empty_typeEEENS1_38merge_sort_block_merge_config_selectorIfSE_EEEEvv.num_agpr, 0
	.set _ZN7rocprim17ROCPRIM_400000_NS6detail44device_merge_sort_compile_time_verifier_archINS1_11comp_targetILNS1_3genE3ELNS1_11target_archE908ELNS1_3gpuE7ELNS1_3repE0EEES8_NS1_28merge_sort_block_sort_configILj256ELj4ELNS0_20block_sort_algorithmE0EEENS0_14default_configENS1_37merge_sort_block_sort_config_selectorIfNS0_10empty_typeEEENS1_38merge_sort_block_merge_config_selectorIfSE_EEEEvv.numbered_sgpr, 0
	.set _ZN7rocprim17ROCPRIM_400000_NS6detail44device_merge_sort_compile_time_verifier_archINS1_11comp_targetILNS1_3genE3ELNS1_11target_archE908ELNS1_3gpuE7ELNS1_3repE0EEES8_NS1_28merge_sort_block_sort_configILj256ELj4ELNS0_20block_sort_algorithmE0EEENS0_14default_configENS1_37merge_sort_block_sort_config_selectorIfNS0_10empty_typeEEENS1_38merge_sort_block_merge_config_selectorIfSE_EEEEvv.num_named_barrier, 0
	.set _ZN7rocprim17ROCPRIM_400000_NS6detail44device_merge_sort_compile_time_verifier_archINS1_11comp_targetILNS1_3genE3ELNS1_11target_archE908ELNS1_3gpuE7ELNS1_3repE0EEES8_NS1_28merge_sort_block_sort_configILj256ELj4ELNS0_20block_sort_algorithmE0EEENS0_14default_configENS1_37merge_sort_block_sort_config_selectorIfNS0_10empty_typeEEENS1_38merge_sort_block_merge_config_selectorIfSE_EEEEvv.private_seg_size, 0
	.set _ZN7rocprim17ROCPRIM_400000_NS6detail44device_merge_sort_compile_time_verifier_archINS1_11comp_targetILNS1_3genE3ELNS1_11target_archE908ELNS1_3gpuE7ELNS1_3repE0EEES8_NS1_28merge_sort_block_sort_configILj256ELj4ELNS0_20block_sort_algorithmE0EEENS0_14default_configENS1_37merge_sort_block_sort_config_selectorIfNS0_10empty_typeEEENS1_38merge_sort_block_merge_config_selectorIfSE_EEEEvv.uses_vcc, 0
	.set _ZN7rocprim17ROCPRIM_400000_NS6detail44device_merge_sort_compile_time_verifier_archINS1_11comp_targetILNS1_3genE3ELNS1_11target_archE908ELNS1_3gpuE7ELNS1_3repE0EEES8_NS1_28merge_sort_block_sort_configILj256ELj4ELNS0_20block_sort_algorithmE0EEENS0_14default_configENS1_37merge_sort_block_sort_config_selectorIfNS0_10empty_typeEEENS1_38merge_sort_block_merge_config_selectorIfSE_EEEEvv.uses_flat_scratch, 0
	.set _ZN7rocprim17ROCPRIM_400000_NS6detail44device_merge_sort_compile_time_verifier_archINS1_11comp_targetILNS1_3genE3ELNS1_11target_archE908ELNS1_3gpuE7ELNS1_3repE0EEES8_NS1_28merge_sort_block_sort_configILj256ELj4ELNS0_20block_sort_algorithmE0EEENS0_14default_configENS1_37merge_sort_block_sort_config_selectorIfNS0_10empty_typeEEENS1_38merge_sort_block_merge_config_selectorIfSE_EEEEvv.has_dyn_sized_stack, 0
	.set _ZN7rocprim17ROCPRIM_400000_NS6detail44device_merge_sort_compile_time_verifier_archINS1_11comp_targetILNS1_3genE3ELNS1_11target_archE908ELNS1_3gpuE7ELNS1_3repE0EEES8_NS1_28merge_sort_block_sort_configILj256ELj4ELNS0_20block_sort_algorithmE0EEENS0_14default_configENS1_37merge_sort_block_sort_config_selectorIfNS0_10empty_typeEEENS1_38merge_sort_block_merge_config_selectorIfSE_EEEEvv.has_recursion, 0
	.set _ZN7rocprim17ROCPRIM_400000_NS6detail44device_merge_sort_compile_time_verifier_archINS1_11comp_targetILNS1_3genE3ELNS1_11target_archE908ELNS1_3gpuE7ELNS1_3repE0EEES8_NS1_28merge_sort_block_sort_configILj256ELj4ELNS0_20block_sort_algorithmE0EEENS0_14default_configENS1_37merge_sort_block_sort_config_selectorIfNS0_10empty_typeEEENS1_38merge_sort_block_merge_config_selectorIfSE_EEEEvv.has_indirect_call, 0
	.section	.AMDGPU.csdata,"",@progbits
; Kernel info:
; codeLenInByte = 4
; TotalNumSgprs: 0
; NumVgprs: 0
; ScratchSize: 0
; MemoryBound: 0
; FloatMode: 240
; IeeeMode: 1
; LDSByteSize: 0 bytes/workgroup (compile time only)
; SGPRBlocks: 0
; VGPRBlocks: 0
; NumSGPRsForWavesPerEU: 1
; NumVGPRsForWavesPerEU: 1
; NamedBarCnt: 0
; Occupancy: 16
; WaveLimiterHint : 0
; COMPUTE_PGM_RSRC2:SCRATCH_EN: 0
; COMPUTE_PGM_RSRC2:USER_SGPR: 0
; COMPUTE_PGM_RSRC2:TRAP_HANDLER: 0
; COMPUTE_PGM_RSRC2:TGID_X_EN: 1
; COMPUTE_PGM_RSRC2:TGID_Y_EN: 0
; COMPUTE_PGM_RSRC2:TGID_Z_EN: 0
; COMPUTE_PGM_RSRC2:TIDIG_COMP_CNT: 0
	.section	.text._ZN7rocprim17ROCPRIM_400000_NS6detail44device_merge_sort_compile_time_verifier_archINS1_11comp_targetILNS1_3genE2ELNS1_11target_archE906ELNS1_3gpuE6ELNS1_3repE0EEES8_NS1_28merge_sort_block_sort_configILj256ELj4ELNS0_20block_sort_algorithmE0EEENS0_14default_configENS1_37merge_sort_block_sort_config_selectorIfNS0_10empty_typeEEENS1_38merge_sort_block_merge_config_selectorIfSE_EEEEvv,"axG",@progbits,_ZN7rocprim17ROCPRIM_400000_NS6detail44device_merge_sort_compile_time_verifier_archINS1_11comp_targetILNS1_3genE2ELNS1_11target_archE906ELNS1_3gpuE6ELNS1_3repE0EEES8_NS1_28merge_sort_block_sort_configILj256ELj4ELNS0_20block_sort_algorithmE0EEENS0_14default_configENS1_37merge_sort_block_sort_config_selectorIfNS0_10empty_typeEEENS1_38merge_sort_block_merge_config_selectorIfSE_EEEEvv,comdat
	.protected	_ZN7rocprim17ROCPRIM_400000_NS6detail44device_merge_sort_compile_time_verifier_archINS1_11comp_targetILNS1_3genE2ELNS1_11target_archE906ELNS1_3gpuE6ELNS1_3repE0EEES8_NS1_28merge_sort_block_sort_configILj256ELj4ELNS0_20block_sort_algorithmE0EEENS0_14default_configENS1_37merge_sort_block_sort_config_selectorIfNS0_10empty_typeEEENS1_38merge_sort_block_merge_config_selectorIfSE_EEEEvv ; -- Begin function _ZN7rocprim17ROCPRIM_400000_NS6detail44device_merge_sort_compile_time_verifier_archINS1_11comp_targetILNS1_3genE2ELNS1_11target_archE906ELNS1_3gpuE6ELNS1_3repE0EEES8_NS1_28merge_sort_block_sort_configILj256ELj4ELNS0_20block_sort_algorithmE0EEENS0_14default_configENS1_37merge_sort_block_sort_config_selectorIfNS0_10empty_typeEEENS1_38merge_sort_block_merge_config_selectorIfSE_EEEEvv
	.globl	_ZN7rocprim17ROCPRIM_400000_NS6detail44device_merge_sort_compile_time_verifier_archINS1_11comp_targetILNS1_3genE2ELNS1_11target_archE906ELNS1_3gpuE6ELNS1_3repE0EEES8_NS1_28merge_sort_block_sort_configILj256ELj4ELNS0_20block_sort_algorithmE0EEENS0_14default_configENS1_37merge_sort_block_sort_config_selectorIfNS0_10empty_typeEEENS1_38merge_sort_block_merge_config_selectorIfSE_EEEEvv
	.p2align	8
	.type	_ZN7rocprim17ROCPRIM_400000_NS6detail44device_merge_sort_compile_time_verifier_archINS1_11comp_targetILNS1_3genE2ELNS1_11target_archE906ELNS1_3gpuE6ELNS1_3repE0EEES8_NS1_28merge_sort_block_sort_configILj256ELj4ELNS0_20block_sort_algorithmE0EEENS0_14default_configENS1_37merge_sort_block_sort_config_selectorIfNS0_10empty_typeEEENS1_38merge_sort_block_merge_config_selectorIfSE_EEEEvv,@function
_ZN7rocprim17ROCPRIM_400000_NS6detail44device_merge_sort_compile_time_verifier_archINS1_11comp_targetILNS1_3genE2ELNS1_11target_archE906ELNS1_3gpuE6ELNS1_3repE0EEES8_NS1_28merge_sort_block_sort_configILj256ELj4ELNS0_20block_sort_algorithmE0EEENS0_14default_configENS1_37merge_sort_block_sort_config_selectorIfNS0_10empty_typeEEENS1_38merge_sort_block_merge_config_selectorIfSE_EEEEvv: ; @_ZN7rocprim17ROCPRIM_400000_NS6detail44device_merge_sort_compile_time_verifier_archINS1_11comp_targetILNS1_3genE2ELNS1_11target_archE906ELNS1_3gpuE6ELNS1_3repE0EEES8_NS1_28merge_sort_block_sort_configILj256ELj4ELNS0_20block_sort_algorithmE0EEENS0_14default_configENS1_37merge_sort_block_sort_config_selectorIfNS0_10empty_typeEEENS1_38merge_sort_block_merge_config_selectorIfSE_EEEEvv
; %bb.0:
	s_endpgm
	.section	.rodata,"a",@progbits
	.p2align	6, 0x0
	.amdhsa_kernel _ZN7rocprim17ROCPRIM_400000_NS6detail44device_merge_sort_compile_time_verifier_archINS1_11comp_targetILNS1_3genE2ELNS1_11target_archE906ELNS1_3gpuE6ELNS1_3repE0EEES8_NS1_28merge_sort_block_sort_configILj256ELj4ELNS0_20block_sort_algorithmE0EEENS0_14default_configENS1_37merge_sort_block_sort_config_selectorIfNS0_10empty_typeEEENS1_38merge_sort_block_merge_config_selectorIfSE_EEEEvv
		.amdhsa_group_segment_fixed_size 0
		.amdhsa_private_segment_fixed_size 0
		.amdhsa_kernarg_size 0
		.amdhsa_user_sgpr_count 0
		.amdhsa_user_sgpr_dispatch_ptr 0
		.amdhsa_user_sgpr_queue_ptr 0
		.amdhsa_user_sgpr_kernarg_segment_ptr 0
		.amdhsa_user_sgpr_dispatch_id 0
		.amdhsa_user_sgpr_kernarg_preload_length 0
		.amdhsa_user_sgpr_kernarg_preload_offset 0
		.amdhsa_user_sgpr_private_segment_size 0
		.amdhsa_wavefront_size32 1
		.amdhsa_uses_dynamic_stack 0
		.amdhsa_enable_private_segment 0
		.amdhsa_system_sgpr_workgroup_id_x 1
		.amdhsa_system_sgpr_workgroup_id_y 0
		.amdhsa_system_sgpr_workgroup_id_z 0
		.amdhsa_system_sgpr_workgroup_info 0
		.amdhsa_system_vgpr_workitem_id 0
		.amdhsa_next_free_vgpr 1
		.amdhsa_next_free_sgpr 1
		.amdhsa_named_barrier_count 0
		.amdhsa_reserve_vcc 0
		.amdhsa_float_round_mode_32 0
		.amdhsa_float_round_mode_16_64 0
		.amdhsa_float_denorm_mode_32 3
		.amdhsa_float_denorm_mode_16_64 3
		.amdhsa_fp16_overflow 0
		.amdhsa_memory_ordered 1
		.amdhsa_forward_progress 1
		.amdhsa_inst_pref_size 1
		.amdhsa_round_robin_scheduling 0
		.amdhsa_exception_fp_ieee_invalid_op 0
		.amdhsa_exception_fp_denorm_src 0
		.amdhsa_exception_fp_ieee_div_zero 0
		.amdhsa_exception_fp_ieee_overflow 0
		.amdhsa_exception_fp_ieee_underflow 0
		.amdhsa_exception_fp_ieee_inexact 0
		.amdhsa_exception_int_div_zero 0
	.end_amdhsa_kernel
	.section	.text._ZN7rocprim17ROCPRIM_400000_NS6detail44device_merge_sort_compile_time_verifier_archINS1_11comp_targetILNS1_3genE2ELNS1_11target_archE906ELNS1_3gpuE6ELNS1_3repE0EEES8_NS1_28merge_sort_block_sort_configILj256ELj4ELNS0_20block_sort_algorithmE0EEENS0_14default_configENS1_37merge_sort_block_sort_config_selectorIfNS0_10empty_typeEEENS1_38merge_sort_block_merge_config_selectorIfSE_EEEEvv,"axG",@progbits,_ZN7rocprim17ROCPRIM_400000_NS6detail44device_merge_sort_compile_time_verifier_archINS1_11comp_targetILNS1_3genE2ELNS1_11target_archE906ELNS1_3gpuE6ELNS1_3repE0EEES8_NS1_28merge_sort_block_sort_configILj256ELj4ELNS0_20block_sort_algorithmE0EEENS0_14default_configENS1_37merge_sort_block_sort_config_selectorIfNS0_10empty_typeEEENS1_38merge_sort_block_merge_config_selectorIfSE_EEEEvv,comdat
.Lfunc_end1256:
	.size	_ZN7rocprim17ROCPRIM_400000_NS6detail44device_merge_sort_compile_time_verifier_archINS1_11comp_targetILNS1_3genE2ELNS1_11target_archE906ELNS1_3gpuE6ELNS1_3repE0EEES8_NS1_28merge_sort_block_sort_configILj256ELj4ELNS0_20block_sort_algorithmE0EEENS0_14default_configENS1_37merge_sort_block_sort_config_selectorIfNS0_10empty_typeEEENS1_38merge_sort_block_merge_config_selectorIfSE_EEEEvv, .Lfunc_end1256-_ZN7rocprim17ROCPRIM_400000_NS6detail44device_merge_sort_compile_time_verifier_archINS1_11comp_targetILNS1_3genE2ELNS1_11target_archE906ELNS1_3gpuE6ELNS1_3repE0EEES8_NS1_28merge_sort_block_sort_configILj256ELj4ELNS0_20block_sort_algorithmE0EEENS0_14default_configENS1_37merge_sort_block_sort_config_selectorIfNS0_10empty_typeEEENS1_38merge_sort_block_merge_config_selectorIfSE_EEEEvv
                                        ; -- End function
	.set _ZN7rocprim17ROCPRIM_400000_NS6detail44device_merge_sort_compile_time_verifier_archINS1_11comp_targetILNS1_3genE2ELNS1_11target_archE906ELNS1_3gpuE6ELNS1_3repE0EEES8_NS1_28merge_sort_block_sort_configILj256ELj4ELNS0_20block_sort_algorithmE0EEENS0_14default_configENS1_37merge_sort_block_sort_config_selectorIfNS0_10empty_typeEEENS1_38merge_sort_block_merge_config_selectorIfSE_EEEEvv.num_vgpr, 0
	.set _ZN7rocprim17ROCPRIM_400000_NS6detail44device_merge_sort_compile_time_verifier_archINS1_11comp_targetILNS1_3genE2ELNS1_11target_archE906ELNS1_3gpuE6ELNS1_3repE0EEES8_NS1_28merge_sort_block_sort_configILj256ELj4ELNS0_20block_sort_algorithmE0EEENS0_14default_configENS1_37merge_sort_block_sort_config_selectorIfNS0_10empty_typeEEENS1_38merge_sort_block_merge_config_selectorIfSE_EEEEvv.num_agpr, 0
	.set _ZN7rocprim17ROCPRIM_400000_NS6detail44device_merge_sort_compile_time_verifier_archINS1_11comp_targetILNS1_3genE2ELNS1_11target_archE906ELNS1_3gpuE6ELNS1_3repE0EEES8_NS1_28merge_sort_block_sort_configILj256ELj4ELNS0_20block_sort_algorithmE0EEENS0_14default_configENS1_37merge_sort_block_sort_config_selectorIfNS0_10empty_typeEEENS1_38merge_sort_block_merge_config_selectorIfSE_EEEEvv.numbered_sgpr, 0
	.set _ZN7rocprim17ROCPRIM_400000_NS6detail44device_merge_sort_compile_time_verifier_archINS1_11comp_targetILNS1_3genE2ELNS1_11target_archE906ELNS1_3gpuE6ELNS1_3repE0EEES8_NS1_28merge_sort_block_sort_configILj256ELj4ELNS0_20block_sort_algorithmE0EEENS0_14default_configENS1_37merge_sort_block_sort_config_selectorIfNS0_10empty_typeEEENS1_38merge_sort_block_merge_config_selectorIfSE_EEEEvv.num_named_barrier, 0
	.set _ZN7rocprim17ROCPRIM_400000_NS6detail44device_merge_sort_compile_time_verifier_archINS1_11comp_targetILNS1_3genE2ELNS1_11target_archE906ELNS1_3gpuE6ELNS1_3repE0EEES8_NS1_28merge_sort_block_sort_configILj256ELj4ELNS0_20block_sort_algorithmE0EEENS0_14default_configENS1_37merge_sort_block_sort_config_selectorIfNS0_10empty_typeEEENS1_38merge_sort_block_merge_config_selectorIfSE_EEEEvv.private_seg_size, 0
	.set _ZN7rocprim17ROCPRIM_400000_NS6detail44device_merge_sort_compile_time_verifier_archINS1_11comp_targetILNS1_3genE2ELNS1_11target_archE906ELNS1_3gpuE6ELNS1_3repE0EEES8_NS1_28merge_sort_block_sort_configILj256ELj4ELNS0_20block_sort_algorithmE0EEENS0_14default_configENS1_37merge_sort_block_sort_config_selectorIfNS0_10empty_typeEEENS1_38merge_sort_block_merge_config_selectorIfSE_EEEEvv.uses_vcc, 0
	.set _ZN7rocprim17ROCPRIM_400000_NS6detail44device_merge_sort_compile_time_verifier_archINS1_11comp_targetILNS1_3genE2ELNS1_11target_archE906ELNS1_3gpuE6ELNS1_3repE0EEES8_NS1_28merge_sort_block_sort_configILj256ELj4ELNS0_20block_sort_algorithmE0EEENS0_14default_configENS1_37merge_sort_block_sort_config_selectorIfNS0_10empty_typeEEENS1_38merge_sort_block_merge_config_selectorIfSE_EEEEvv.uses_flat_scratch, 0
	.set _ZN7rocprim17ROCPRIM_400000_NS6detail44device_merge_sort_compile_time_verifier_archINS1_11comp_targetILNS1_3genE2ELNS1_11target_archE906ELNS1_3gpuE6ELNS1_3repE0EEES8_NS1_28merge_sort_block_sort_configILj256ELj4ELNS0_20block_sort_algorithmE0EEENS0_14default_configENS1_37merge_sort_block_sort_config_selectorIfNS0_10empty_typeEEENS1_38merge_sort_block_merge_config_selectorIfSE_EEEEvv.has_dyn_sized_stack, 0
	.set _ZN7rocprim17ROCPRIM_400000_NS6detail44device_merge_sort_compile_time_verifier_archINS1_11comp_targetILNS1_3genE2ELNS1_11target_archE906ELNS1_3gpuE6ELNS1_3repE0EEES8_NS1_28merge_sort_block_sort_configILj256ELj4ELNS0_20block_sort_algorithmE0EEENS0_14default_configENS1_37merge_sort_block_sort_config_selectorIfNS0_10empty_typeEEENS1_38merge_sort_block_merge_config_selectorIfSE_EEEEvv.has_recursion, 0
	.set _ZN7rocprim17ROCPRIM_400000_NS6detail44device_merge_sort_compile_time_verifier_archINS1_11comp_targetILNS1_3genE2ELNS1_11target_archE906ELNS1_3gpuE6ELNS1_3repE0EEES8_NS1_28merge_sort_block_sort_configILj256ELj4ELNS0_20block_sort_algorithmE0EEENS0_14default_configENS1_37merge_sort_block_sort_config_selectorIfNS0_10empty_typeEEENS1_38merge_sort_block_merge_config_selectorIfSE_EEEEvv.has_indirect_call, 0
	.section	.AMDGPU.csdata,"",@progbits
; Kernel info:
; codeLenInByte = 4
; TotalNumSgprs: 0
; NumVgprs: 0
; ScratchSize: 0
; MemoryBound: 0
; FloatMode: 240
; IeeeMode: 1
; LDSByteSize: 0 bytes/workgroup (compile time only)
; SGPRBlocks: 0
; VGPRBlocks: 0
; NumSGPRsForWavesPerEU: 1
; NumVGPRsForWavesPerEU: 1
; NamedBarCnt: 0
; Occupancy: 16
; WaveLimiterHint : 0
; COMPUTE_PGM_RSRC2:SCRATCH_EN: 0
; COMPUTE_PGM_RSRC2:USER_SGPR: 0
; COMPUTE_PGM_RSRC2:TRAP_HANDLER: 0
; COMPUTE_PGM_RSRC2:TGID_X_EN: 1
; COMPUTE_PGM_RSRC2:TGID_Y_EN: 0
; COMPUTE_PGM_RSRC2:TGID_Z_EN: 0
; COMPUTE_PGM_RSRC2:TIDIG_COMP_CNT: 0
	.section	.text._ZN7rocprim17ROCPRIM_400000_NS6detail44device_merge_sort_compile_time_verifier_archINS1_11comp_targetILNS1_3genE10ELNS1_11target_archE1201ELNS1_3gpuE5ELNS1_3repE0EEES8_NS1_28merge_sort_block_sort_configILj256ELj4ELNS0_20block_sort_algorithmE0EEENS0_14default_configENS1_37merge_sort_block_sort_config_selectorIfNS0_10empty_typeEEENS1_38merge_sort_block_merge_config_selectorIfSE_EEEEvv,"axG",@progbits,_ZN7rocprim17ROCPRIM_400000_NS6detail44device_merge_sort_compile_time_verifier_archINS1_11comp_targetILNS1_3genE10ELNS1_11target_archE1201ELNS1_3gpuE5ELNS1_3repE0EEES8_NS1_28merge_sort_block_sort_configILj256ELj4ELNS0_20block_sort_algorithmE0EEENS0_14default_configENS1_37merge_sort_block_sort_config_selectorIfNS0_10empty_typeEEENS1_38merge_sort_block_merge_config_selectorIfSE_EEEEvv,comdat
	.protected	_ZN7rocprim17ROCPRIM_400000_NS6detail44device_merge_sort_compile_time_verifier_archINS1_11comp_targetILNS1_3genE10ELNS1_11target_archE1201ELNS1_3gpuE5ELNS1_3repE0EEES8_NS1_28merge_sort_block_sort_configILj256ELj4ELNS0_20block_sort_algorithmE0EEENS0_14default_configENS1_37merge_sort_block_sort_config_selectorIfNS0_10empty_typeEEENS1_38merge_sort_block_merge_config_selectorIfSE_EEEEvv ; -- Begin function _ZN7rocprim17ROCPRIM_400000_NS6detail44device_merge_sort_compile_time_verifier_archINS1_11comp_targetILNS1_3genE10ELNS1_11target_archE1201ELNS1_3gpuE5ELNS1_3repE0EEES8_NS1_28merge_sort_block_sort_configILj256ELj4ELNS0_20block_sort_algorithmE0EEENS0_14default_configENS1_37merge_sort_block_sort_config_selectorIfNS0_10empty_typeEEENS1_38merge_sort_block_merge_config_selectorIfSE_EEEEvv
	.globl	_ZN7rocprim17ROCPRIM_400000_NS6detail44device_merge_sort_compile_time_verifier_archINS1_11comp_targetILNS1_3genE10ELNS1_11target_archE1201ELNS1_3gpuE5ELNS1_3repE0EEES8_NS1_28merge_sort_block_sort_configILj256ELj4ELNS0_20block_sort_algorithmE0EEENS0_14default_configENS1_37merge_sort_block_sort_config_selectorIfNS0_10empty_typeEEENS1_38merge_sort_block_merge_config_selectorIfSE_EEEEvv
	.p2align	8
	.type	_ZN7rocprim17ROCPRIM_400000_NS6detail44device_merge_sort_compile_time_verifier_archINS1_11comp_targetILNS1_3genE10ELNS1_11target_archE1201ELNS1_3gpuE5ELNS1_3repE0EEES8_NS1_28merge_sort_block_sort_configILj256ELj4ELNS0_20block_sort_algorithmE0EEENS0_14default_configENS1_37merge_sort_block_sort_config_selectorIfNS0_10empty_typeEEENS1_38merge_sort_block_merge_config_selectorIfSE_EEEEvv,@function
_ZN7rocprim17ROCPRIM_400000_NS6detail44device_merge_sort_compile_time_verifier_archINS1_11comp_targetILNS1_3genE10ELNS1_11target_archE1201ELNS1_3gpuE5ELNS1_3repE0EEES8_NS1_28merge_sort_block_sort_configILj256ELj4ELNS0_20block_sort_algorithmE0EEENS0_14default_configENS1_37merge_sort_block_sort_config_selectorIfNS0_10empty_typeEEENS1_38merge_sort_block_merge_config_selectorIfSE_EEEEvv: ; @_ZN7rocprim17ROCPRIM_400000_NS6detail44device_merge_sort_compile_time_verifier_archINS1_11comp_targetILNS1_3genE10ELNS1_11target_archE1201ELNS1_3gpuE5ELNS1_3repE0EEES8_NS1_28merge_sort_block_sort_configILj256ELj4ELNS0_20block_sort_algorithmE0EEENS0_14default_configENS1_37merge_sort_block_sort_config_selectorIfNS0_10empty_typeEEENS1_38merge_sort_block_merge_config_selectorIfSE_EEEEvv
; %bb.0:
	s_endpgm
	.section	.rodata,"a",@progbits
	.p2align	6, 0x0
	.amdhsa_kernel _ZN7rocprim17ROCPRIM_400000_NS6detail44device_merge_sort_compile_time_verifier_archINS1_11comp_targetILNS1_3genE10ELNS1_11target_archE1201ELNS1_3gpuE5ELNS1_3repE0EEES8_NS1_28merge_sort_block_sort_configILj256ELj4ELNS0_20block_sort_algorithmE0EEENS0_14default_configENS1_37merge_sort_block_sort_config_selectorIfNS0_10empty_typeEEENS1_38merge_sort_block_merge_config_selectorIfSE_EEEEvv
		.amdhsa_group_segment_fixed_size 0
		.amdhsa_private_segment_fixed_size 0
		.amdhsa_kernarg_size 0
		.amdhsa_user_sgpr_count 0
		.amdhsa_user_sgpr_dispatch_ptr 0
		.amdhsa_user_sgpr_queue_ptr 0
		.amdhsa_user_sgpr_kernarg_segment_ptr 0
		.amdhsa_user_sgpr_dispatch_id 0
		.amdhsa_user_sgpr_kernarg_preload_length 0
		.amdhsa_user_sgpr_kernarg_preload_offset 0
		.amdhsa_user_sgpr_private_segment_size 0
		.amdhsa_wavefront_size32 1
		.amdhsa_uses_dynamic_stack 0
		.amdhsa_enable_private_segment 0
		.amdhsa_system_sgpr_workgroup_id_x 1
		.amdhsa_system_sgpr_workgroup_id_y 0
		.amdhsa_system_sgpr_workgroup_id_z 0
		.amdhsa_system_sgpr_workgroup_info 0
		.amdhsa_system_vgpr_workitem_id 0
		.amdhsa_next_free_vgpr 1
		.amdhsa_next_free_sgpr 1
		.amdhsa_named_barrier_count 0
		.amdhsa_reserve_vcc 0
		.amdhsa_float_round_mode_32 0
		.amdhsa_float_round_mode_16_64 0
		.amdhsa_float_denorm_mode_32 3
		.amdhsa_float_denorm_mode_16_64 3
		.amdhsa_fp16_overflow 0
		.amdhsa_memory_ordered 1
		.amdhsa_forward_progress 1
		.amdhsa_inst_pref_size 1
		.amdhsa_round_robin_scheduling 0
		.amdhsa_exception_fp_ieee_invalid_op 0
		.amdhsa_exception_fp_denorm_src 0
		.amdhsa_exception_fp_ieee_div_zero 0
		.amdhsa_exception_fp_ieee_overflow 0
		.amdhsa_exception_fp_ieee_underflow 0
		.amdhsa_exception_fp_ieee_inexact 0
		.amdhsa_exception_int_div_zero 0
	.end_amdhsa_kernel
	.section	.text._ZN7rocprim17ROCPRIM_400000_NS6detail44device_merge_sort_compile_time_verifier_archINS1_11comp_targetILNS1_3genE10ELNS1_11target_archE1201ELNS1_3gpuE5ELNS1_3repE0EEES8_NS1_28merge_sort_block_sort_configILj256ELj4ELNS0_20block_sort_algorithmE0EEENS0_14default_configENS1_37merge_sort_block_sort_config_selectorIfNS0_10empty_typeEEENS1_38merge_sort_block_merge_config_selectorIfSE_EEEEvv,"axG",@progbits,_ZN7rocprim17ROCPRIM_400000_NS6detail44device_merge_sort_compile_time_verifier_archINS1_11comp_targetILNS1_3genE10ELNS1_11target_archE1201ELNS1_3gpuE5ELNS1_3repE0EEES8_NS1_28merge_sort_block_sort_configILj256ELj4ELNS0_20block_sort_algorithmE0EEENS0_14default_configENS1_37merge_sort_block_sort_config_selectorIfNS0_10empty_typeEEENS1_38merge_sort_block_merge_config_selectorIfSE_EEEEvv,comdat
.Lfunc_end1257:
	.size	_ZN7rocprim17ROCPRIM_400000_NS6detail44device_merge_sort_compile_time_verifier_archINS1_11comp_targetILNS1_3genE10ELNS1_11target_archE1201ELNS1_3gpuE5ELNS1_3repE0EEES8_NS1_28merge_sort_block_sort_configILj256ELj4ELNS0_20block_sort_algorithmE0EEENS0_14default_configENS1_37merge_sort_block_sort_config_selectorIfNS0_10empty_typeEEENS1_38merge_sort_block_merge_config_selectorIfSE_EEEEvv, .Lfunc_end1257-_ZN7rocprim17ROCPRIM_400000_NS6detail44device_merge_sort_compile_time_verifier_archINS1_11comp_targetILNS1_3genE10ELNS1_11target_archE1201ELNS1_3gpuE5ELNS1_3repE0EEES8_NS1_28merge_sort_block_sort_configILj256ELj4ELNS0_20block_sort_algorithmE0EEENS0_14default_configENS1_37merge_sort_block_sort_config_selectorIfNS0_10empty_typeEEENS1_38merge_sort_block_merge_config_selectorIfSE_EEEEvv
                                        ; -- End function
	.set _ZN7rocprim17ROCPRIM_400000_NS6detail44device_merge_sort_compile_time_verifier_archINS1_11comp_targetILNS1_3genE10ELNS1_11target_archE1201ELNS1_3gpuE5ELNS1_3repE0EEES8_NS1_28merge_sort_block_sort_configILj256ELj4ELNS0_20block_sort_algorithmE0EEENS0_14default_configENS1_37merge_sort_block_sort_config_selectorIfNS0_10empty_typeEEENS1_38merge_sort_block_merge_config_selectorIfSE_EEEEvv.num_vgpr, 0
	.set _ZN7rocprim17ROCPRIM_400000_NS6detail44device_merge_sort_compile_time_verifier_archINS1_11comp_targetILNS1_3genE10ELNS1_11target_archE1201ELNS1_3gpuE5ELNS1_3repE0EEES8_NS1_28merge_sort_block_sort_configILj256ELj4ELNS0_20block_sort_algorithmE0EEENS0_14default_configENS1_37merge_sort_block_sort_config_selectorIfNS0_10empty_typeEEENS1_38merge_sort_block_merge_config_selectorIfSE_EEEEvv.num_agpr, 0
	.set _ZN7rocprim17ROCPRIM_400000_NS6detail44device_merge_sort_compile_time_verifier_archINS1_11comp_targetILNS1_3genE10ELNS1_11target_archE1201ELNS1_3gpuE5ELNS1_3repE0EEES8_NS1_28merge_sort_block_sort_configILj256ELj4ELNS0_20block_sort_algorithmE0EEENS0_14default_configENS1_37merge_sort_block_sort_config_selectorIfNS0_10empty_typeEEENS1_38merge_sort_block_merge_config_selectorIfSE_EEEEvv.numbered_sgpr, 0
	.set _ZN7rocprim17ROCPRIM_400000_NS6detail44device_merge_sort_compile_time_verifier_archINS1_11comp_targetILNS1_3genE10ELNS1_11target_archE1201ELNS1_3gpuE5ELNS1_3repE0EEES8_NS1_28merge_sort_block_sort_configILj256ELj4ELNS0_20block_sort_algorithmE0EEENS0_14default_configENS1_37merge_sort_block_sort_config_selectorIfNS0_10empty_typeEEENS1_38merge_sort_block_merge_config_selectorIfSE_EEEEvv.num_named_barrier, 0
	.set _ZN7rocprim17ROCPRIM_400000_NS6detail44device_merge_sort_compile_time_verifier_archINS1_11comp_targetILNS1_3genE10ELNS1_11target_archE1201ELNS1_3gpuE5ELNS1_3repE0EEES8_NS1_28merge_sort_block_sort_configILj256ELj4ELNS0_20block_sort_algorithmE0EEENS0_14default_configENS1_37merge_sort_block_sort_config_selectorIfNS0_10empty_typeEEENS1_38merge_sort_block_merge_config_selectorIfSE_EEEEvv.private_seg_size, 0
	.set _ZN7rocprim17ROCPRIM_400000_NS6detail44device_merge_sort_compile_time_verifier_archINS1_11comp_targetILNS1_3genE10ELNS1_11target_archE1201ELNS1_3gpuE5ELNS1_3repE0EEES8_NS1_28merge_sort_block_sort_configILj256ELj4ELNS0_20block_sort_algorithmE0EEENS0_14default_configENS1_37merge_sort_block_sort_config_selectorIfNS0_10empty_typeEEENS1_38merge_sort_block_merge_config_selectorIfSE_EEEEvv.uses_vcc, 0
	.set _ZN7rocprim17ROCPRIM_400000_NS6detail44device_merge_sort_compile_time_verifier_archINS1_11comp_targetILNS1_3genE10ELNS1_11target_archE1201ELNS1_3gpuE5ELNS1_3repE0EEES8_NS1_28merge_sort_block_sort_configILj256ELj4ELNS0_20block_sort_algorithmE0EEENS0_14default_configENS1_37merge_sort_block_sort_config_selectorIfNS0_10empty_typeEEENS1_38merge_sort_block_merge_config_selectorIfSE_EEEEvv.uses_flat_scratch, 0
	.set _ZN7rocprim17ROCPRIM_400000_NS6detail44device_merge_sort_compile_time_verifier_archINS1_11comp_targetILNS1_3genE10ELNS1_11target_archE1201ELNS1_3gpuE5ELNS1_3repE0EEES8_NS1_28merge_sort_block_sort_configILj256ELj4ELNS0_20block_sort_algorithmE0EEENS0_14default_configENS1_37merge_sort_block_sort_config_selectorIfNS0_10empty_typeEEENS1_38merge_sort_block_merge_config_selectorIfSE_EEEEvv.has_dyn_sized_stack, 0
	.set _ZN7rocprim17ROCPRIM_400000_NS6detail44device_merge_sort_compile_time_verifier_archINS1_11comp_targetILNS1_3genE10ELNS1_11target_archE1201ELNS1_3gpuE5ELNS1_3repE0EEES8_NS1_28merge_sort_block_sort_configILj256ELj4ELNS0_20block_sort_algorithmE0EEENS0_14default_configENS1_37merge_sort_block_sort_config_selectorIfNS0_10empty_typeEEENS1_38merge_sort_block_merge_config_selectorIfSE_EEEEvv.has_recursion, 0
	.set _ZN7rocprim17ROCPRIM_400000_NS6detail44device_merge_sort_compile_time_verifier_archINS1_11comp_targetILNS1_3genE10ELNS1_11target_archE1201ELNS1_3gpuE5ELNS1_3repE0EEES8_NS1_28merge_sort_block_sort_configILj256ELj4ELNS0_20block_sort_algorithmE0EEENS0_14default_configENS1_37merge_sort_block_sort_config_selectorIfNS0_10empty_typeEEENS1_38merge_sort_block_merge_config_selectorIfSE_EEEEvv.has_indirect_call, 0
	.section	.AMDGPU.csdata,"",@progbits
; Kernel info:
; codeLenInByte = 4
; TotalNumSgprs: 0
; NumVgprs: 0
; ScratchSize: 0
; MemoryBound: 0
; FloatMode: 240
; IeeeMode: 1
; LDSByteSize: 0 bytes/workgroup (compile time only)
; SGPRBlocks: 0
; VGPRBlocks: 0
; NumSGPRsForWavesPerEU: 1
; NumVGPRsForWavesPerEU: 1
; NamedBarCnt: 0
; Occupancy: 16
; WaveLimiterHint : 0
; COMPUTE_PGM_RSRC2:SCRATCH_EN: 0
; COMPUTE_PGM_RSRC2:USER_SGPR: 0
; COMPUTE_PGM_RSRC2:TRAP_HANDLER: 0
; COMPUTE_PGM_RSRC2:TGID_X_EN: 1
; COMPUTE_PGM_RSRC2:TGID_Y_EN: 0
; COMPUTE_PGM_RSRC2:TGID_Z_EN: 0
; COMPUTE_PGM_RSRC2:TIDIG_COMP_CNT: 0
	.section	.text._ZN7rocprim17ROCPRIM_400000_NS6detail44device_merge_sort_compile_time_verifier_archINS1_11comp_targetILNS1_3genE10ELNS1_11target_archE1200ELNS1_3gpuE4ELNS1_3repE0EEENS3_ILS4_10ELS5_1201ELS6_5ELS7_0EEENS1_28merge_sort_block_sort_configILj256ELj4ELNS0_20block_sort_algorithmE0EEENS0_14default_configENS1_37merge_sort_block_sort_config_selectorIfNS0_10empty_typeEEENS1_38merge_sort_block_merge_config_selectorIfSF_EEEEvv,"axG",@progbits,_ZN7rocprim17ROCPRIM_400000_NS6detail44device_merge_sort_compile_time_verifier_archINS1_11comp_targetILNS1_3genE10ELNS1_11target_archE1200ELNS1_3gpuE4ELNS1_3repE0EEENS3_ILS4_10ELS5_1201ELS6_5ELS7_0EEENS1_28merge_sort_block_sort_configILj256ELj4ELNS0_20block_sort_algorithmE0EEENS0_14default_configENS1_37merge_sort_block_sort_config_selectorIfNS0_10empty_typeEEENS1_38merge_sort_block_merge_config_selectorIfSF_EEEEvv,comdat
	.protected	_ZN7rocprim17ROCPRIM_400000_NS6detail44device_merge_sort_compile_time_verifier_archINS1_11comp_targetILNS1_3genE10ELNS1_11target_archE1200ELNS1_3gpuE4ELNS1_3repE0EEENS3_ILS4_10ELS5_1201ELS6_5ELS7_0EEENS1_28merge_sort_block_sort_configILj256ELj4ELNS0_20block_sort_algorithmE0EEENS0_14default_configENS1_37merge_sort_block_sort_config_selectorIfNS0_10empty_typeEEENS1_38merge_sort_block_merge_config_selectorIfSF_EEEEvv ; -- Begin function _ZN7rocprim17ROCPRIM_400000_NS6detail44device_merge_sort_compile_time_verifier_archINS1_11comp_targetILNS1_3genE10ELNS1_11target_archE1200ELNS1_3gpuE4ELNS1_3repE0EEENS3_ILS4_10ELS5_1201ELS6_5ELS7_0EEENS1_28merge_sort_block_sort_configILj256ELj4ELNS0_20block_sort_algorithmE0EEENS0_14default_configENS1_37merge_sort_block_sort_config_selectorIfNS0_10empty_typeEEENS1_38merge_sort_block_merge_config_selectorIfSF_EEEEvv
	.globl	_ZN7rocprim17ROCPRIM_400000_NS6detail44device_merge_sort_compile_time_verifier_archINS1_11comp_targetILNS1_3genE10ELNS1_11target_archE1200ELNS1_3gpuE4ELNS1_3repE0EEENS3_ILS4_10ELS5_1201ELS6_5ELS7_0EEENS1_28merge_sort_block_sort_configILj256ELj4ELNS0_20block_sort_algorithmE0EEENS0_14default_configENS1_37merge_sort_block_sort_config_selectorIfNS0_10empty_typeEEENS1_38merge_sort_block_merge_config_selectorIfSF_EEEEvv
	.p2align	8
	.type	_ZN7rocprim17ROCPRIM_400000_NS6detail44device_merge_sort_compile_time_verifier_archINS1_11comp_targetILNS1_3genE10ELNS1_11target_archE1200ELNS1_3gpuE4ELNS1_3repE0EEENS3_ILS4_10ELS5_1201ELS6_5ELS7_0EEENS1_28merge_sort_block_sort_configILj256ELj4ELNS0_20block_sort_algorithmE0EEENS0_14default_configENS1_37merge_sort_block_sort_config_selectorIfNS0_10empty_typeEEENS1_38merge_sort_block_merge_config_selectorIfSF_EEEEvv,@function
_ZN7rocprim17ROCPRIM_400000_NS6detail44device_merge_sort_compile_time_verifier_archINS1_11comp_targetILNS1_3genE10ELNS1_11target_archE1200ELNS1_3gpuE4ELNS1_3repE0EEENS3_ILS4_10ELS5_1201ELS6_5ELS7_0EEENS1_28merge_sort_block_sort_configILj256ELj4ELNS0_20block_sort_algorithmE0EEENS0_14default_configENS1_37merge_sort_block_sort_config_selectorIfNS0_10empty_typeEEENS1_38merge_sort_block_merge_config_selectorIfSF_EEEEvv: ; @_ZN7rocprim17ROCPRIM_400000_NS6detail44device_merge_sort_compile_time_verifier_archINS1_11comp_targetILNS1_3genE10ELNS1_11target_archE1200ELNS1_3gpuE4ELNS1_3repE0EEENS3_ILS4_10ELS5_1201ELS6_5ELS7_0EEENS1_28merge_sort_block_sort_configILj256ELj4ELNS0_20block_sort_algorithmE0EEENS0_14default_configENS1_37merge_sort_block_sort_config_selectorIfNS0_10empty_typeEEENS1_38merge_sort_block_merge_config_selectorIfSF_EEEEvv
; %bb.0:
	s_endpgm
	.section	.rodata,"a",@progbits
	.p2align	6, 0x0
	.amdhsa_kernel _ZN7rocprim17ROCPRIM_400000_NS6detail44device_merge_sort_compile_time_verifier_archINS1_11comp_targetILNS1_3genE10ELNS1_11target_archE1200ELNS1_3gpuE4ELNS1_3repE0EEENS3_ILS4_10ELS5_1201ELS6_5ELS7_0EEENS1_28merge_sort_block_sort_configILj256ELj4ELNS0_20block_sort_algorithmE0EEENS0_14default_configENS1_37merge_sort_block_sort_config_selectorIfNS0_10empty_typeEEENS1_38merge_sort_block_merge_config_selectorIfSF_EEEEvv
		.amdhsa_group_segment_fixed_size 0
		.amdhsa_private_segment_fixed_size 0
		.amdhsa_kernarg_size 0
		.amdhsa_user_sgpr_count 0
		.amdhsa_user_sgpr_dispatch_ptr 0
		.amdhsa_user_sgpr_queue_ptr 0
		.amdhsa_user_sgpr_kernarg_segment_ptr 0
		.amdhsa_user_sgpr_dispatch_id 0
		.amdhsa_user_sgpr_kernarg_preload_length 0
		.amdhsa_user_sgpr_kernarg_preload_offset 0
		.amdhsa_user_sgpr_private_segment_size 0
		.amdhsa_wavefront_size32 1
		.amdhsa_uses_dynamic_stack 0
		.amdhsa_enable_private_segment 0
		.amdhsa_system_sgpr_workgroup_id_x 1
		.amdhsa_system_sgpr_workgroup_id_y 0
		.amdhsa_system_sgpr_workgroup_id_z 0
		.amdhsa_system_sgpr_workgroup_info 0
		.amdhsa_system_vgpr_workitem_id 0
		.amdhsa_next_free_vgpr 1
		.amdhsa_next_free_sgpr 1
		.amdhsa_named_barrier_count 0
		.amdhsa_reserve_vcc 0
		.amdhsa_float_round_mode_32 0
		.amdhsa_float_round_mode_16_64 0
		.amdhsa_float_denorm_mode_32 3
		.amdhsa_float_denorm_mode_16_64 3
		.amdhsa_fp16_overflow 0
		.amdhsa_memory_ordered 1
		.amdhsa_forward_progress 1
		.amdhsa_inst_pref_size 1
		.amdhsa_round_robin_scheduling 0
		.amdhsa_exception_fp_ieee_invalid_op 0
		.amdhsa_exception_fp_denorm_src 0
		.amdhsa_exception_fp_ieee_div_zero 0
		.amdhsa_exception_fp_ieee_overflow 0
		.amdhsa_exception_fp_ieee_underflow 0
		.amdhsa_exception_fp_ieee_inexact 0
		.amdhsa_exception_int_div_zero 0
	.end_amdhsa_kernel
	.section	.text._ZN7rocprim17ROCPRIM_400000_NS6detail44device_merge_sort_compile_time_verifier_archINS1_11comp_targetILNS1_3genE10ELNS1_11target_archE1200ELNS1_3gpuE4ELNS1_3repE0EEENS3_ILS4_10ELS5_1201ELS6_5ELS7_0EEENS1_28merge_sort_block_sort_configILj256ELj4ELNS0_20block_sort_algorithmE0EEENS0_14default_configENS1_37merge_sort_block_sort_config_selectorIfNS0_10empty_typeEEENS1_38merge_sort_block_merge_config_selectorIfSF_EEEEvv,"axG",@progbits,_ZN7rocprim17ROCPRIM_400000_NS6detail44device_merge_sort_compile_time_verifier_archINS1_11comp_targetILNS1_3genE10ELNS1_11target_archE1200ELNS1_3gpuE4ELNS1_3repE0EEENS3_ILS4_10ELS5_1201ELS6_5ELS7_0EEENS1_28merge_sort_block_sort_configILj256ELj4ELNS0_20block_sort_algorithmE0EEENS0_14default_configENS1_37merge_sort_block_sort_config_selectorIfNS0_10empty_typeEEENS1_38merge_sort_block_merge_config_selectorIfSF_EEEEvv,comdat
.Lfunc_end1258:
	.size	_ZN7rocprim17ROCPRIM_400000_NS6detail44device_merge_sort_compile_time_verifier_archINS1_11comp_targetILNS1_3genE10ELNS1_11target_archE1200ELNS1_3gpuE4ELNS1_3repE0EEENS3_ILS4_10ELS5_1201ELS6_5ELS7_0EEENS1_28merge_sort_block_sort_configILj256ELj4ELNS0_20block_sort_algorithmE0EEENS0_14default_configENS1_37merge_sort_block_sort_config_selectorIfNS0_10empty_typeEEENS1_38merge_sort_block_merge_config_selectorIfSF_EEEEvv, .Lfunc_end1258-_ZN7rocprim17ROCPRIM_400000_NS6detail44device_merge_sort_compile_time_verifier_archINS1_11comp_targetILNS1_3genE10ELNS1_11target_archE1200ELNS1_3gpuE4ELNS1_3repE0EEENS3_ILS4_10ELS5_1201ELS6_5ELS7_0EEENS1_28merge_sort_block_sort_configILj256ELj4ELNS0_20block_sort_algorithmE0EEENS0_14default_configENS1_37merge_sort_block_sort_config_selectorIfNS0_10empty_typeEEENS1_38merge_sort_block_merge_config_selectorIfSF_EEEEvv
                                        ; -- End function
	.set _ZN7rocprim17ROCPRIM_400000_NS6detail44device_merge_sort_compile_time_verifier_archINS1_11comp_targetILNS1_3genE10ELNS1_11target_archE1200ELNS1_3gpuE4ELNS1_3repE0EEENS3_ILS4_10ELS5_1201ELS6_5ELS7_0EEENS1_28merge_sort_block_sort_configILj256ELj4ELNS0_20block_sort_algorithmE0EEENS0_14default_configENS1_37merge_sort_block_sort_config_selectorIfNS0_10empty_typeEEENS1_38merge_sort_block_merge_config_selectorIfSF_EEEEvv.num_vgpr, 0
	.set _ZN7rocprim17ROCPRIM_400000_NS6detail44device_merge_sort_compile_time_verifier_archINS1_11comp_targetILNS1_3genE10ELNS1_11target_archE1200ELNS1_3gpuE4ELNS1_3repE0EEENS3_ILS4_10ELS5_1201ELS6_5ELS7_0EEENS1_28merge_sort_block_sort_configILj256ELj4ELNS0_20block_sort_algorithmE0EEENS0_14default_configENS1_37merge_sort_block_sort_config_selectorIfNS0_10empty_typeEEENS1_38merge_sort_block_merge_config_selectorIfSF_EEEEvv.num_agpr, 0
	.set _ZN7rocprim17ROCPRIM_400000_NS6detail44device_merge_sort_compile_time_verifier_archINS1_11comp_targetILNS1_3genE10ELNS1_11target_archE1200ELNS1_3gpuE4ELNS1_3repE0EEENS3_ILS4_10ELS5_1201ELS6_5ELS7_0EEENS1_28merge_sort_block_sort_configILj256ELj4ELNS0_20block_sort_algorithmE0EEENS0_14default_configENS1_37merge_sort_block_sort_config_selectorIfNS0_10empty_typeEEENS1_38merge_sort_block_merge_config_selectorIfSF_EEEEvv.numbered_sgpr, 0
	.set _ZN7rocprim17ROCPRIM_400000_NS6detail44device_merge_sort_compile_time_verifier_archINS1_11comp_targetILNS1_3genE10ELNS1_11target_archE1200ELNS1_3gpuE4ELNS1_3repE0EEENS3_ILS4_10ELS5_1201ELS6_5ELS7_0EEENS1_28merge_sort_block_sort_configILj256ELj4ELNS0_20block_sort_algorithmE0EEENS0_14default_configENS1_37merge_sort_block_sort_config_selectorIfNS0_10empty_typeEEENS1_38merge_sort_block_merge_config_selectorIfSF_EEEEvv.num_named_barrier, 0
	.set _ZN7rocprim17ROCPRIM_400000_NS6detail44device_merge_sort_compile_time_verifier_archINS1_11comp_targetILNS1_3genE10ELNS1_11target_archE1200ELNS1_3gpuE4ELNS1_3repE0EEENS3_ILS4_10ELS5_1201ELS6_5ELS7_0EEENS1_28merge_sort_block_sort_configILj256ELj4ELNS0_20block_sort_algorithmE0EEENS0_14default_configENS1_37merge_sort_block_sort_config_selectorIfNS0_10empty_typeEEENS1_38merge_sort_block_merge_config_selectorIfSF_EEEEvv.private_seg_size, 0
	.set _ZN7rocprim17ROCPRIM_400000_NS6detail44device_merge_sort_compile_time_verifier_archINS1_11comp_targetILNS1_3genE10ELNS1_11target_archE1200ELNS1_3gpuE4ELNS1_3repE0EEENS3_ILS4_10ELS5_1201ELS6_5ELS7_0EEENS1_28merge_sort_block_sort_configILj256ELj4ELNS0_20block_sort_algorithmE0EEENS0_14default_configENS1_37merge_sort_block_sort_config_selectorIfNS0_10empty_typeEEENS1_38merge_sort_block_merge_config_selectorIfSF_EEEEvv.uses_vcc, 0
	.set _ZN7rocprim17ROCPRIM_400000_NS6detail44device_merge_sort_compile_time_verifier_archINS1_11comp_targetILNS1_3genE10ELNS1_11target_archE1200ELNS1_3gpuE4ELNS1_3repE0EEENS3_ILS4_10ELS5_1201ELS6_5ELS7_0EEENS1_28merge_sort_block_sort_configILj256ELj4ELNS0_20block_sort_algorithmE0EEENS0_14default_configENS1_37merge_sort_block_sort_config_selectorIfNS0_10empty_typeEEENS1_38merge_sort_block_merge_config_selectorIfSF_EEEEvv.uses_flat_scratch, 0
	.set _ZN7rocprim17ROCPRIM_400000_NS6detail44device_merge_sort_compile_time_verifier_archINS1_11comp_targetILNS1_3genE10ELNS1_11target_archE1200ELNS1_3gpuE4ELNS1_3repE0EEENS3_ILS4_10ELS5_1201ELS6_5ELS7_0EEENS1_28merge_sort_block_sort_configILj256ELj4ELNS0_20block_sort_algorithmE0EEENS0_14default_configENS1_37merge_sort_block_sort_config_selectorIfNS0_10empty_typeEEENS1_38merge_sort_block_merge_config_selectorIfSF_EEEEvv.has_dyn_sized_stack, 0
	.set _ZN7rocprim17ROCPRIM_400000_NS6detail44device_merge_sort_compile_time_verifier_archINS1_11comp_targetILNS1_3genE10ELNS1_11target_archE1200ELNS1_3gpuE4ELNS1_3repE0EEENS3_ILS4_10ELS5_1201ELS6_5ELS7_0EEENS1_28merge_sort_block_sort_configILj256ELj4ELNS0_20block_sort_algorithmE0EEENS0_14default_configENS1_37merge_sort_block_sort_config_selectorIfNS0_10empty_typeEEENS1_38merge_sort_block_merge_config_selectorIfSF_EEEEvv.has_recursion, 0
	.set _ZN7rocprim17ROCPRIM_400000_NS6detail44device_merge_sort_compile_time_verifier_archINS1_11comp_targetILNS1_3genE10ELNS1_11target_archE1200ELNS1_3gpuE4ELNS1_3repE0EEENS3_ILS4_10ELS5_1201ELS6_5ELS7_0EEENS1_28merge_sort_block_sort_configILj256ELj4ELNS0_20block_sort_algorithmE0EEENS0_14default_configENS1_37merge_sort_block_sort_config_selectorIfNS0_10empty_typeEEENS1_38merge_sort_block_merge_config_selectorIfSF_EEEEvv.has_indirect_call, 0
	.section	.AMDGPU.csdata,"",@progbits
; Kernel info:
; codeLenInByte = 4
; TotalNumSgprs: 0
; NumVgprs: 0
; ScratchSize: 0
; MemoryBound: 0
; FloatMode: 240
; IeeeMode: 1
; LDSByteSize: 0 bytes/workgroup (compile time only)
; SGPRBlocks: 0
; VGPRBlocks: 0
; NumSGPRsForWavesPerEU: 1
; NumVGPRsForWavesPerEU: 1
; NamedBarCnt: 0
; Occupancy: 16
; WaveLimiterHint : 0
; COMPUTE_PGM_RSRC2:SCRATCH_EN: 0
; COMPUTE_PGM_RSRC2:USER_SGPR: 0
; COMPUTE_PGM_RSRC2:TRAP_HANDLER: 0
; COMPUTE_PGM_RSRC2:TGID_X_EN: 1
; COMPUTE_PGM_RSRC2:TGID_Y_EN: 0
; COMPUTE_PGM_RSRC2:TGID_Z_EN: 0
; COMPUTE_PGM_RSRC2:TIDIG_COMP_CNT: 0
	.section	.text._ZN7rocprim17ROCPRIM_400000_NS6detail44device_merge_sort_compile_time_verifier_archINS1_11comp_targetILNS1_3genE9ELNS1_11target_archE1100ELNS1_3gpuE3ELNS1_3repE0EEES8_NS1_28merge_sort_block_sort_configILj256ELj4ELNS0_20block_sort_algorithmE0EEENS0_14default_configENS1_37merge_sort_block_sort_config_selectorIfNS0_10empty_typeEEENS1_38merge_sort_block_merge_config_selectorIfSE_EEEEvv,"axG",@progbits,_ZN7rocprim17ROCPRIM_400000_NS6detail44device_merge_sort_compile_time_verifier_archINS1_11comp_targetILNS1_3genE9ELNS1_11target_archE1100ELNS1_3gpuE3ELNS1_3repE0EEES8_NS1_28merge_sort_block_sort_configILj256ELj4ELNS0_20block_sort_algorithmE0EEENS0_14default_configENS1_37merge_sort_block_sort_config_selectorIfNS0_10empty_typeEEENS1_38merge_sort_block_merge_config_selectorIfSE_EEEEvv,comdat
	.protected	_ZN7rocprim17ROCPRIM_400000_NS6detail44device_merge_sort_compile_time_verifier_archINS1_11comp_targetILNS1_3genE9ELNS1_11target_archE1100ELNS1_3gpuE3ELNS1_3repE0EEES8_NS1_28merge_sort_block_sort_configILj256ELj4ELNS0_20block_sort_algorithmE0EEENS0_14default_configENS1_37merge_sort_block_sort_config_selectorIfNS0_10empty_typeEEENS1_38merge_sort_block_merge_config_selectorIfSE_EEEEvv ; -- Begin function _ZN7rocprim17ROCPRIM_400000_NS6detail44device_merge_sort_compile_time_verifier_archINS1_11comp_targetILNS1_3genE9ELNS1_11target_archE1100ELNS1_3gpuE3ELNS1_3repE0EEES8_NS1_28merge_sort_block_sort_configILj256ELj4ELNS0_20block_sort_algorithmE0EEENS0_14default_configENS1_37merge_sort_block_sort_config_selectorIfNS0_10empty_typeEEENS1_38merge_sort_block_merge_config_selectorIfSE_EEEEvv
	.globl	_ZN7rocprim17ROCPRIM_400000_NS6detail44device_merge_sort_compile_time_verifier_archINS1_11comp_targetILNS1_3genE9ELNS1_11target_archE1100ELNS1_3gpuE3ELNS1_3repE0EEES8_NS1_28merge_sort_block_sort_configILj256ELj4ELNS0_20block_sort_algorithmE0EEENS0_14default_configENS1_37merge_sort_block_sort_config_selectorIfNS0_10empty_typeEEENS1_38merge_sort_block_merge_config_selectorIfSE_EEEEvv
	.p2align	8
	.type	_ZN7rocprim17ROCPRIM_400000_NS6detail44device_merge_sort_compile_time_verifier_archINS1_11comp_targetILNS1_3genE9ELNS1_11target_archE1100ELNS1_3gpuE3ELNS1_3repE0EEES8_NS1_28merge_sort_block_sort_configILj256ELj4ELNS0_20block_sort_algorithmE0EEENS0_14default_configENS1_37merge_sort_block_sort_config_selectorIfNS0_10empty_typeEEENS1_38merge_sort_block_merge_config_selectorIfSE_EEEEvv,@function
_ZN7rocprim17ROCPRIM_400000_NS6detail44device_merge_sort_compile_time_verifier_archINS1_11comp_targetILNS1_3genE9ELNS1_11target_archE1100ELNS1_3gpuE3ELNS1_3repE0EEES8_NS1_28merge_sort_block_sort_configILj256ELj4ELNS0_20block_sort_algorithmE0EEENS0_14default_configENS1_37merge_sort_block_sort_config_selectorIfNS0_10empty_typeEEENS1_38merge_sort_block_merge_config_selectorIfSE_EEEEvv: ; @_ZN7rocprim17ROCPRIM_400000_NS6detail44device_merge_sort_compile_time_verifier_archINS1_11comp_targetILNS1_3genE9ELNS1_11target_archE1100ELNS1_3gpuE3ELNS1_3repE0EEES8_NS1_28merge_sort_block_sort_configILj256ELj4ELNS0_20block_sort_algorithmE0EEENS0_14default_configENS1_37merge_sort_block_sort_config_selectorIfNS0_10empty_typeEEENS1_38merge_sort_block_merge_config_selectorIfSE_EEEEvv
; %bb.0:
	s_endpgm
	.section	.rodata,"a",@progbits
	.p2align	6, 0x0
	.amdhsa_kernel _ZN7rocprim17ROCPRIM_400000_NS6detail44device_merge_sort_compile_time_verifier_archINS1_11comp_targetILNS1_3genE9ELNS1_11target_archE1100ELNS1_3gpuE3ELNS1_3repE0EEES8_NS1_28merge_sort_block_sort_configILj256ELj4ELNS0_20block_sort_algorithmE0EEENS0_14default_configENS1_37merge_sort_block_sort_config_selectorIfNS0_10empty_typeEEENS1_38merge_sort_block_merge_config_selectorIfSE_EEEEvv
		.amdhsa_group_segment_fixed_size 0
		.amdhsa_private_segment_fixed_size 0
		.amdhsa_kernarg_size 0
		.amdhsa_user_sgpr_count 0
		.amdhsa_user_sgpr_dispatch_ptr 0
		.amdhsa_user_sgpr_queue_ptr 0
		.amdhsa_user_sgpr_kernarg_segment_ptr 0
		.amdhsa_user_sgpr_dispatch_id 0
		.amdhsa_user_sgpr_kernarg_preload_length 0
		.amdhsa_user_sgpr_kernarg_preload_offset 0
		.amdhsa_user_sgpr_private_segment_size 0
		.amdhsa_wavefront_size32 1
		.amdhsa_uses_dynamic_stack 0
		.amdhsa_enable_private_segment 0
		.amdhsa_system_sgpr_workgroup_id_x 1
		.amdhsa_system_sgpr_workgroup_id_y 0
		.amdhsa_system_sgpr_workgroup_id_z 0
		.amdhsa_system_sgpr_workgroup_info 0
		.amdhsa_system_vgpr_workitem_id 0
		.amdhsa_next_free_vgpr 1
		.amdhsa_next_free_sgpr 1
		.amdhsa_named_barrier_count 0
		.amdhsa_reserve_vcc 0
		.amdhsa_float_round_mode_32 0
		.amdhsa_float_round_mode_16_64 0
		.amdhsa_float_denorm_mode_32 3
		.amdhsa_float_denorm_mode_16_64 3
		.amdhsa_fp16_overflow 0
		.amdhsa_memory_ordered 1
		.amdhsa_forward_progress 1
		.amdhsa_inst_pref_size 1
		.amdhsa_round_robin_scheduling 0
		.amdhsa_exception_fp_ieee_invalid_op 0
		.amdhsa_exception_fp_denorm_src 0
		.amdhsa_exception_fp_ieee_div_zero 0
		.amdhsa_exception_fp_ieee_overflow 0
		.amdhsa_exception_fp_ieee_underflow 0
		.amdhsa_exception_fp_ieee_inexact 0
		.amdhsa_exception_int_div_zero 0
	.end_amdhsa_kernel
	.section	.text._ZN7rocprim17ROCPRIM_400000_NS6detail44device_merge_sort_compile_time_verifier_archINS1_11comp_targetILNS1_3genE9ELNS1_11target_archE1100ELNS1_3gpuE3ELNS1_3repE0EEES8_NS1_28merge_sort_block_sort_configILj256ELj4ELNS0_20block_sort_algorithmE0EEENS0_14default_configENS1_37merge_sort_block_sort_config_selectorIfNS0_10empty_typeEEENS1_38merge_sort_block_merge_config_selectorIfSE_EEEEvv,"axG",@progbits,_ZN7rocprim17ROCPRIM_400000_NS6detail44device_merge_sort_compile_time_verifier_archINS1_11comp_targetILNS1_3genE9ELNS1_11target_archE1100ELNS1_3gpuE3ELNS1_3repE0EEES8_NS1_28merge_sort_block_sort_configILj256ELj4ELNS0_20block_sort_algorithmE0EEENS0_14default_configENS1_37merge_sort_block_sort_config_selectorIfNS0_10empty_typeEEENS1_38merge_sort_block_merge_config_selectorIfSE_EEEEvv,comdat
.Lfunc_end1259:
	.size	_ZN7rocprim17ROCPRIM_400000_NS6detail44device_merge_sort_compile_time_verifier_archINS1_11comp_targetILNS1_3genE9ELNS1_11target_archE1100ELNS1_3gpuE3ELNS1_3repE0EEES8_NS1_28merge_sort_block_sort_configILj256ELj4ELNS0_20block_sort_algorithmE0EEENS0_14default_configENS1_37merge_sort_block_sort_config_selectorIfNS0_10empty_typeEEENS1_38merge_sort_block_merge_config_selectorIfSE_EEEEvv, .Lfunc_end1259-_ZN7rocprim17ROCPRIM_400000_NS6detail44device_merge_sort_compile_time_verifier_archINS1_11comp_targetILNS1_3genE9ELNS1_11target_archE1100ELNS1_3gpuE3ELNS1_3repE0EEES8_NS1_28merge_sort_block_sort_configILj256ELj4ELNS0_20block_sort_algorithmE0EEENS0_14default_configENS1_37merge_sort_block_sort_config_selectorIfNS0_10empty_typeEEENS1_38merge_sort_block_merge_config_selectorIfSE_EEEEvv
                                        ; -- End function
	.set _ZN7rocprim17ROCPRIM_400000_NS6detail44device_merge_sort_compile_time_verifier_archINS1_11comp_targetILNS1_3genE9ELNS1_11target_archE1100ELNS1_3gpuE3ELNS1_3repE0EEES8_NS1_28merge_sort_block_sort_configILj256ELj4ELNS0_20block_sort_algorithmE0EEENS0_14default_configENS1_37merge_sort_block_sort_config_selectorIfNS0_10empty_typeEEENS1_38merge_sort_block_merge_config_selectorIfSE_EEEEvv.num_vgpr, 0
	.set _ZN7rocprim17ROCPRIM_400000_NS6detail44device_merge_sort_compile_time_verifier_archINS1_11comp_targetILNS1_3genE9ELNS1_11target_archE1100ELNS1_3gpuE3ELNS1_3repE0EEES8_NS1_28merge_sort_block_sort_configILj256ELj4ELNS0_20block_sort_algorithmE0EEENS0_14default_configENS1_37merge_sort_block_sort_config_selectorIfNS0_10empty_typeEEENS1_38merge_sort_block_merge_config_selectorIfSE_EEEEvv.num_agpr, 0
	.set _ZN7rocprim17ROCPRIM_400000_NS6detail44device_merge_sort_compile_time_verifier_archINS1_11comp_targetILNS1_3genE9ELNS1_11target_archE1100ELNS1_3gpuE3ELNS1_3repE0EEES8_NS1_28merge_sort_block_sort_configILj256ELj4ELNS0_20block_sort_algorithmE0EEENS0_14default_configENS1_37merge_sort_block_sort_config_selectorIfNS0_10empty_typeEEENS1_38merge_sort_block_merge_config_selectorIfSE_EEEEvv.numbered_sgpr, 0
	.set _ZN7rocprim17ROCPRIM_400000_NS6detail44device_merge_sort_compile_time_verifier_archINS1_11comp_targetILNS1_3genE9ELNS1_11target_archE1100ELNS1_3gpuE3ELNS1_3repE0EEES8_NS1_28merge_sort_block_sort_configILj256ELj4ELNS0_20block_sort_algorithmE0EEENS0_14default_configENS1_37merge_sort_block_sort_config_selectorIfNS0_10empty_typeEEENS1_38merge_sort_block_merge_config_selectorIfSE_EEEEvv.num_named_barrier, 0
	.set _ZN7rocprim17ROCPRIM_400000_NS6detail44device_merge_sort_compile_time_verifier_archINS1_11comp_targetILNS1_3genE9ELNS1_11target_archE1100ELNS1_3gpuE3ELNS1_3repE0EEES8_NS1_28merge_sort_block_sort_configILj256ELj4ELNS0_20block_sort_algorithmE0EEENS0_14default_configENS1_37merge_sort_block_sort_config_selectorIfNS0_10empty_typeEEENS1_38merge_sort_block_merge_config_selectorIfSE_EEEEvv.private_seg_size, 0
	.set _ZN7rocprim17ROCPRIM_400000_NS6detail44device_merge_sort_compile_time_verifier_archINS1_11comp_targetILNS1_3genE9ELNS1_11target_archE1100ELNS1_3gpuE3ELNS1_3repE0EEES8_NS1_28merge_sort_block_sort_configILj256ELj4ELNS0_20block_sort_algorithmE0EEENS0_14default_configENS1_37merge_sort_block_sort_config_selectorIfNS0_10empty_typeEEENS1_38merge_sort_block_merge_config_selectorIfSE_EEEEvv.uses_vcc, 0
	.set _ZN7rocprim17ROCPRIM_400000_NS6detail44device_merge_sort_compile_time_verifier_archINS1_11comp_targetILNS1_3genE9ELNS1_11target_archE1100ELNS1_3gpuE3ELNS1_3repE0EEES8_NS1_28merge_sort_block_sort_configILj256ELj4ELNS0_20block_sort_algorithmE0EEENS0_14default_configENS1_37merge_sort_block_sort_config_selectorIfNS0_10empty_typeEEENS1_38merge_sort_block_merge_config_selectorIfSE_EEEEvv.uses_flat_scratch, 0
	.set _ZN7rocprim17ROCPRIM_400000_NS6detail44device_merge_sort_compile_time_verifier_archINS1_11comp_targetILNS1_3genE9ELNS1_11target_archE1100ELNS1_3gpuE3ELNS1_3repE0EEES8_NS1_28merge_sort_block_sort_configILj256ELj4ELNS0_20block_sort_algorithmE0EEENS0_14default_configENS1_37merge_sort_block_sort_config_selectorIfNS0_10empty_typeEEENS1_38merge_sort_block_merge_config_selectorIfSE_EEEEvv.has_dyn_sized_stack, 0
	.set _ZN7rocprim17ROCPRIM_400000_NS6detail44device_merge_sort_compile_time_verifier_archINS1_11comp_targetILNS1_3genE9ELNS1_11target_archE1100ELNS1_3gpuE3ELNS1_3repE0EEES8_NS1_28merge_sort_block_sort_configILj256ELj4ELNS0_20block_sort_algorithmE0EEENS0_14default_configENS1_37merge_sort_block_sort_config_selectorIfNS0_10empty_typeEEENS1_38merge_sort_block_merge_config_selectorIfSE_EEEEvv.has_recursion, 0
	.set _ZN7rocprim17ROCPRIM_400000_NS6detail44device_merge_sort_compile_time_verifier_archINS1_11comp_targetILNS1_3genE9ELNS1_11target_archE1100ELNS1_3gpuE3ELNS1_3repE0EEES8_NS1_28merge_sort_block_sort_configILj256ELj4ELNS0_20block_sort_algorithmE0EEENS0_14default_configENS1_37merge_sort_block_sort_config_selectorIfNS0_10empty_typeEEENS1_38merge_sort_block_merge_config_selectorIfSE_EEEEvv.has_indirect_call, 0
	.section	.AMDGPU.csdata,"",@progbits
; Kernel info:
; codeLenInByte = 4
; TotalNumSgprs: 0
; NumVgprs: 0
; ScratchSize: 0
; MemoryBound: 0
; FloatMode: 240
; IeeeMode: 1
; LDSByteSize: 0 bytes/workgroup (compile time only)
; SGPRBlocks: 0
; VGPRBlocks: 0
; NumSGPRsForWavesPerEU: 1
; NumVGPRsForWavesPerEU: 1
; NamedBarCnt: 0
; Occupancy: 16
; WaveLimiterHint : 0
; COMPUTE_PGM_RSRC2:SCRATCH_EN: 0
; COMPUTE_PGM_RSRC2:USER_SGPR: 0
; COMPUTE_PGM_RSRC2:TRAP_HANDLER: 0
; COMPUTE_PGM_RSRC2:TGID_X_EN: 1
; COMPUTE_PGM_RSRC2:TGID_Y_EN: 0
; COMPUTE_PGM_RSRC2:TGID_Z_EN: 0
; COMPUTE_PGM_RSRC2:TIDIG_COMP_CNT: 0
	.section	.text._ZN7rocprim17ROCPRIM_400000_NS6detail44device_merge_sort_compile_time_verifier_archINS1_11comp_targetILNS1_3genE8ELNS1_11target_archE1030ELNS1_3gpuE2ELNS1_3repE0EEES8_NS1_28merge_sort_block_sort_configILj256ELj4ELNS0_20block_sort_algorithmE0EEENS0_14default_configENS1_37merge_sort_block_sort_config_selectorIfNS0_10empty_typeEEENS1_38merge_sort_block_merge_config_selectorIfSE_EEEEvv,"axG",@progbits,_ZN7rocprim17ROCPRIM_400000_NS6detail44device_merge_sort_compile_time_verifier_archINS1_11comp_targetILNS1_3genE8ELNS1_11target_archE1030ELNS1_3gpuE2ELNS1_3repE0EEES8_NS1_28merge_sort_block_sort_configILj256ELj4ELNS0_20block_sort_algorithmE0EEENS0_14default_configENS1_37merge_sort_block_sort_config_selectorIfNS0_10empty_typeEEENS1_38merge_sort_block_merge_config_selectorIfSE_EEEEvv,comdat
	.protected	_ZN7rocprim17ROCPRIM_400000_NS6detail44device_merge_sort_compile_time_verifier_archINS1_11comp_targetILNS1_3genE8ELNS1_11target_archE1030ELNS1_3gpuE2ELNS1_3repE0EEES8_NS1_28merge_sort_block_sort_configILj256ELj4ELNS0_20block_sort_algorithmE0EEENS0_14default_configENS1_37merge_sort_block_sort_config_selectorIfNS0_10empty_typeEEENS1_38merge_sort_block_merge_config_selectorIfSE_EEEEvv ; -- Begin function _ZN7rocprim17ROCPRIM_400000_NS6detail44device_merge_sort_compile_time_verifier_archINS1_11comp_targetILNS1_3genE8ELNS1_11target_archE1030ELNS1_3gpuE2ELNS1_3repE0EEES8_NS1_28merge_sort_block_sort_configILj256ELj4ELNS0_20block_sort_algorithmE0EEENS0_14default_configENS1_37merge_sort_block_sort_config_selectorIfNS0_10empty_typeEEENS1_38merge_sort_block_merge_config_selectorIfSE_EEEEvv
	.globl	_ZN7rocprim17ROCPRIM_400000_NS6detail44device_merge_sort_compile_time_verifier_archINS1_11comp_targetILNS1_3genE8ELNS1_11target_archE1030ELNS1_3gpuE2ELNS1_3repE0EEES8_NS1_28merge_sort_block_sort_configILj256ELj4ELNS0_20block_sort_algorithmE0EEENS0_14default_configENS1_37merge_sort_block_sort_config_selectorIfNS0_10empty_typeEEENS1_38merge_sort_block_merge_config_selectorIfSE_EEEEvv
	.p2align	8
	.type	_ZN7rocprim17ROCPRIM_400000_NS6detail44device_merge_sort_compile_time_verifier_archINS1_11comp_targetILNS1_3genE8ELNS1_11target_archE1030ELNS1_3gpuE2ELNS1_3repE0EEES8_NS1_28merge_sort_block_sort_configILj256ELj4ELNS0_20block_sort_algorithmE0EEENS0_14default_configENS1_37merge_sort_block_sort_config_selectorIfNS0_10empty_typeEEENS1_38merge_sort_block_merge_config_selectorIfSE_EEEEvv,@function
_ZN7rocprim17ROCPRIM_400000_NS6detail44device_merge_sort_compile_time_verifier_archINS1_11comp_targetILNS1_3genE8ELNS1_11target_archE1030ELNS1_3gpuE2ELNS1_3repE0EEES8_NS1_28merge_sort_block_sort_configILj256ELj4ELNS0_20block_sort_algorithmE0EEENS0_14default_configENS1_37merge_sort_block_sort_config_selectorIfNS0_10empty_typeEEENS1_38merge_sort_block_merge_config_selectorIfSE_EEEEvv: ; @_ZN7rocprim17ROCPRIM_400000_NS6detail44device_merge_sort_compile_time_verifier_archINS1_11comp_targetILNS1_3genE8ELNS1_11target_archE1030ELNS1_3gpuE2ELNS1_3repE0EEES8_NS1_28merge_sort_block_sort_configILj256ELj4ELNS0_20block_sort_algorithmE0EEENS0_14default_configENS1_37merge_sort_block_sort_config_selectorIfNS0_10empty_typeEEENS1_38merge_sort_block_merge_config_selectorIfSE_EEEEvv
; %bb.0:
	s_endpgm
	.section	.rodata,"a",@progbits
	.p2align	6, 0x0
	.amdhsa_kernel _ZN7rocprim17ROCPRIM_400000_NS6detail44device_merge_sort_compile_time_verifier_archINS1_11comp_targetILNS1_3genE8ELNS1_11target_archE1030ELNS1_3gpuE2ELNS1_3repE0EEES8_NS1_28merge_sort_block_sort_configILj256ELj4ELNS0_20block_sort_algorithmE0EEENS0_14default_configENS1_37merge_sort_block_sort_config_selectorIfNS0_10empty_typeEEENS1_38merge_sort_block_merge_config_selectorIfSE_EEEEvv
		.amdhsa_group_segment_fixed_size 0
		.amdhsa_private_segment_fixed_size 0
		.amdhsa_kernarg_size 0
		.amdhsa_user_sgpr_count 0
		.amdhsa_user_sgpr_dispatch_ptr 0
		.amdhsa_user_sgpr_queue_ptr 0
		.amdhsa_user_sgpr_kernarg_segment_ptr 0
		.amdhsa_user_sgpr_dispatch_id 0
		.amdhsa_user_sgpr_kernarg_preload_length 0
		.amdhsa_user_sgpr_kernarg_preload_offset 0
		.amdhsa_user_sgpr_private_segment_size 0
		.amdhsa_wavefront_size32 1
		.amdhsa_uses_dynamic_stack 0
		.amdhsa_enable_private_segment 0
		.amdhsa_system_sgpr_workgroup_id_x 1
		.amdhsa_system_sgpr_workgroup_id_y 0
		.amdhsa_system_sgpr_workgroup_id_z 0
		.amdhsa_system_sgpr_workgroup_info 0
		.amdhsa_system_vgpr_workitem_id 0
		.amdhsa_next_free_vgpr 1
		.amdhsa_next_free_sgpr 1
		.amdhsa_named_barrier_count 0
		.amdhsa_reserve_vcc 0
		.amdhsa_float_round_mode_32 0
		.amdhsa_float_round_mode_16_64 0
		.amdhsa_float_denorm_mode_32 3
		.amdhsa_float_denorm_mode_16_64 3
		.amdhsa_fp16_overflow 0
		.amdhsa_memory_ordered 1
		.amdhsa_forward_progress 1
		.amdhsa_inst_pref_size 1
		.amdhsa_round_robin_scheduling 0
		.amdhsa_exception_fp_ieee_invalid_op 0
		.amdhsa_exception_fp_denorm_src 0
		.amdhsa_exception_fp_ieee_div_zero 0
		.amdhsa_exception_fp_ieee_overflow 0
		.amdhsa_exception_fp_ieee_underflow 0
		.amdhsa_exception_fp_ieee_inexact 0
		.amdhsa_exception_int_div_zero 0
	.end_amdhsa_kernel
	.section	.text._ZN7rocprim17ROCPRIM_400000_NS6detail44device_merge_sort_compile_time_verifier_archINS1_11comp_targetILNS1_3genE8ELNS1_11target_archE1030ELNS1_3gpuE2ELNS1_3repE0EEES8_NS1_28merge_sort_block_sort_configILj256ELj4ELNS0_20block_sort_algorithmE0EEENS0_14default_configENS1_37merge_sort_block_sort_config_selectorIfNS0_10empty_typeEEENS1_38merge_sort_block_merge_config_selectorIfSE_EEEEvv,"axG",@progbits,_ZN7rocprim17ROCPRIM_400000_NS6detail44device_merge_sort_compile_time_verifier_archINS1_11comp_targetILNS1_3genE8ELNS1_11target_archE1030ELNS1_3gpuE2ELNS1_3repE0EEES8_NS1_28merge_sort_block_sort_configILj256ELj4ELNS0_20block_sort_algorithmE0EEENS0_14default_configENS1_37merge_sort_block_sort_config_selectorIfNS0_10empty_typeEEENS1_38merge_sort_block_merge_config_selectorIfSE_EEEEvv,comdat
.Lfunc_end1260:
	.size	_ZN7rocprim17ROCPRIM_400000_NS6detail44device_merge_sort_compile_time_verifier_archINS1_11comp_targetILNS1_3genE8ELNS1_11target_archE1030ELNS1_3gpuE2ELNS1_3repE0EEES8_NS1_28merge_sort_block_sort_configILj256ELj4ELNS0_20block_sort_algorithmE0EEENS0_14default_configENS1_37merge_sort_block_sort_config_selectorIfNS0_10empty_typeEEENS1_38merge_sort_block_merge_config_selectorIfSE_EEEEvv, .Lfunc_end1260-_ZN7rocprim17ROCPRIM_400000_NS6detail44device_merge_sort_compile_time_verifier_archINS1_11comp_targetILNS1_3genE8ELNS1_11target_archE1030ELNS1_3gpuE2ELNS1_3repE0EEES8_NS1_28merge_sort_block_sort_configILj256ELj4ELNS0_20block_sort_algorithmE0EEENS0_14default_configENS1_37merge_sort_block_sort_config_selectorIfNS0_10empty_typeEEENS1_38merge_sort_block_merge_config_selectorIfSE_EEEEvv
                                        ; -- End function
	.set _ZN7rocprim17ROCPRIM_400000_NS6detail44device_merge_sort_compile_time_verifier_archINS1_11comp_targetILNS1_3genE8ELNS1_11target_archE1030ELNS1_3gpuE2ELNS1_3repE0EEES8_NS1_28merge_sort_block_sort_configILj256ELj4ELNS0_20block_sort_algorithmE0EEENS0_14default_configENS1_37merge_sort_block_sort_config_selectorIfNS0_10empty_typeEEENS1_38merge_sort_block_merge_config_selectorIfSE_EEEEvv.num_vgpr, 0
	.set _ZN7rocprim17ROCPRIM_400000_NS6detail44device_merge_sort_compile_time_verifier_archINS1_11comp_targetILNS1_3genE8ELNS1_11target_archE1030ELNS1_3gpuE2ELNS1_3repE0EEES8_NS1_28merge_sort_block_sort_configILj256ELj4ELNS0_20block_sort_algorithmE0EEENS0_14default_configENS1_37merge_sort_block_sort_config_selectorIfNS0_10empty_typeEEENS1_38merge_sort_block_merge_config_selectorIfSE_EEEEvv.num_agpr, 0
	.set _ZN7rocprim17ROCPRIM_400000_NS6detail44device_merge_sort_compile_time_verifier_archINS1_11comp_targetILNS1_3genE8ELNS1_11target_archE1030ELNS1_3gpuE2ELNS1_3repE0EEES8_NS1_28merge_sort_block_sort_configILj256ELj4ELNS0_20block_sort_algorithmE0EEENS0_14default_configENS1_37merge_sort_block_sort_config_selectorIfNS0_10empty_typeEEENS1_38merge_sort_block_merge_config_selectorIfSE_EEEEvv.numbered_sgpr, 0
	.set _ZN7rocprim17ROCPRIM_400000_NS6detail44device_merge_sort_compile_time_verifier_archINS1_11comp_targetILNS1_3genE8ELNS1_11target_archE1030ELNS1_3gpuE2ELNS1_3repE0EEES8_NS1_28merge_sort_block_sort_configILj256ELj4ELNS0_20block_sort_algorithmE0EEENS0_14default_configENS1_37merge_sort_block_sort_config_selectorIfNS0_10empty_typeEEENS1_38merge_sort_block_merge_config_selectorIfSE_EEEEvv.num_named_barrier, 0
	.set _ZN7rocprim17ROCPRIM_400000_NS6detail44device_merge_sort_compile_time_verifier_archINS1_11comp_targetILNS1_3genE8ELNS1_11target_archE1030ELNS1_3gpuE2ELNS1_3repE0EEES8_NS1_28merge_sort_block_sort_configILj256ELj4ELNS0_20block_sort_algorithmE0EEENS0_14default_configENS1_37merge_sort_block_sort_config_selectorIfNS0_10empty_typeEEENS1_38merge_sort_block_merge_config_selectorIfSE_EEEEvv.private_seg_size, 0
	.set _ZN7rocprim17ROCPRIM_400000_NS6detail44device_merge_sort_compile_time_verifier_archINS1_11comp_targetILNS1_3genE8ELNS1_11target_archE1030ELNS1_3gpuE2ELNS1_3repE0EEES8_NS1_28merge_sort_block_sort_configILj256ELj4ELNS0_20block_sort_algorithmE0EEENS0_14default_configENS1_37merge_sort_block_sort_config_selectorIfNS0_10empty_typeEEENS1_38merge_sort_block_merge_config_selectorIfSE_EEEEvv.uses_vcc, 0
	.set _ZN7rocprim17ROCPRIM_400000_NS6detail44device_merge_sort_compile_time_verifier_archINS1_11comp_targetILNS1_3genE8ELNS1_11target_archE1030ELNS1_3gpuE2ELNS1_3repE0EEES8_NS1_28merge_sort_block_sort_configILj256ELj4ELNS0_20block_sort_algorithmE0EEENS0_14default_configENS1_37merge_sort_block_sort_config_selectorIfNS0_10empty_typeEEENS1_38merge_sort_block_merge_config_selectorIfSE_EEEEvv.uses_flat_scratch, 0
	.set _ZN7rocprim17ROCPRIM_400000_NS6detail44device_merge_sort_compile_time_verifier_archINS1_11comp_targetILNS1_3genE8ELNS1_11target_archE1030ELNS1_3gpuE2ELNS1_3repE0EEES8_NS1_28merge_sort_block_sort_configILj256ELj4ELNS0_20block_sort_algorithmE0EEENS0_14default_configENS1_37merge_sort_block_sort_config_selectorIfNS0_10empty_typeEEENS1_38merge_sort_block_merge_config_selectorIfSE_EEEEvv.has_dyn_sized_stack, 0
	.set _ZN7rocprim17ROCPRIM_400000_NS6detail44device_merge_sort_compile_time_verifier_archINS1_11comp_targetILNS1_3genE8ELNS1_11target_archE1030ELNS1_3gpuE2ELNS1_3repE0EEES8_NS1_28merge_sort_block_sort_configILj256ELj4ELNS0_20block_sort_algorithmE0EEENS0_14default_configENS1_37merge_sort_block_sort_config_selectorIfNS0_10empty_typeEEENS1_38merge_sort_block_merge_config_selectorIfSE_EEEEvv.has_recursion, 0
	.set _ZN7rocprim17ROCPRIM_400000_NS6detail44device_merge_sort_compile_time_verifier_archINS1_11comp_targetILNS1_3genE8ELNS1_11target_archE1030ELNS1_3gpuE2ELNS1_3repE0EEES8_NS1_28merge_sort_block_sort_configILj256ELj4ELNS0_20block_sort_algorithmE0EEENS0_14default_configENS1_37merge_sort_block_sort_config_selectorIfNS0_10empty_typeEEENS1_38merge_sort_block_merge_config_selectorIfSE_EEEEvv.has_indirect_call, 0
	.section	.AMDGPU.csdata,"",@progbits
; Kernel info:
; codeLenInByte = 4
; TotalNumSgprs: 0
; NumVgprs: 0
; ScratchSize: 0
; MemoryBound: 0
; FloatMode: 240
; IeeeMode: 1
; LDSByteSize: 0 bytes/workgroup (compile time only)
; SGPRBlocks: 0
; VGPRBlocks: 0
; NumSGPRsForWavesPerEU: 1
; NumVGPRsForWavesPerEU: 1
; NamedBarCnt: 0
; Occupancy: 16
; WaveLimiterHint : 0
; COMPUTE_PGM_RSRC2:SCRATCH_EN: 0
; COMPUTE_PGM_RSRC2:USER_SGPR: 0
; COMPUTE_PGM_RSRC2:TRAP_HANDLER: 0
; COMPUTE_PGM_RSRC2:TGID_X_EN: 1
; COMPUTE_PGM_RSRC2:TGID_Y_EN: 0
; COMPUTE_PGM_RSRC2:TGID_Z_EN: 0
; COMPUTE_PGM_RSRC2:TIDIG_COMP_CNT: 0
	.section	.text._ZN7rocprim17ROCPRIM_400000_NS6detail17trampoline_kernelINS0_14default_configENS1_38merge_sort_block_merge_config_selectorIfNS0_10empty_typeEEEZZNS1_27merge_sort_block_merge_implIS3_PfPS5_jNS1_19radix_merge_compareILb1ELb0EfNS0_19identity_decomposerEEEEE10hipError_tT0_T1_T2_jT3_P12ihipStream_tbPNSt15iterator_traitsISE_E10value_typeEPNSK_ISF_E10value_typeEPSG_NS1_7vsmem_tEENKUlT_SE_SF_SG_E_clIS8_S8_S9_S9_EESD_ST_SE_SF_SG_EUlST_E_NS1_11comp_targetILNS1_3genE0ELNS1_11target_archE4294967295ELNS1_3gpuE0ELNS1_3repE0EEENS1_48merge_mergepath_partition_config_static_selectorELNS0_4arch9wavefront6targetE0EEEvSF_,"axG",@progbits,_ZN7rocprim17ROCPRIM_400000_NS6detail17trampoline_kernelINS0_14default_configENS1_38merge_sort_block_merge_config_selectorIfNS0_10empty_typeEEEZZNS1_27merge_sort_block_merge_implIS3_PfPS5_jNS1_19radix_merge_compareILb1ELb0EfNS0_19identity_decomposerEEEEE10hipError_tT0_T1_T2_jT3_P12ihipStream_tbPNSt15iterator_traitsISE_E10value_typeEPNSK_ISF_E10value_typeEPSG_NS1_7vsmem_tEENKUlT_SE_SF_SG_E_clIS8_S8_S9_S9_EESD_ST_SE_SF_SG_EUlST_E_NS1_11comp_targetILNS1_3genE0ELNS1_11target_archE4294967295ELNS1_3gpuE0ELNS1_3repE0EEENS1_48merge_mergepath_partition_config_static_selectorELNS0_4arch9wavefront6targetE0EEEvSF_,comdat
	.protected	_ZN7rocprim17ROCPRIM_400000_NS6detail17trampoline_kernelINS0_14default_configENS1_38merge_sort_block_merge_config_selectorIfNS0_10empty_typeEEEZZNS1_27merge_sort_block_merge_implIS3_PfPS5_jNS1_19radix_merge_compareILb1ELb0EfNS0_19identity_decomposerEEEEE10hipError_tT0_T1_T2_jT3_P12ihipStream_tbPNSt15iterator_traitsISE_E10value_typeEPNSK_ISF_E10value_typeEPSG_NS1_7vsmem_tEENKUlT_SE_SF_SG_E_clIS8_S8_S9_S9_EESD_ST_SE_SF_SG_EUlST_E_NS1_11comp_targetILNS1_3genE0ELNS1_11target_archE4294967295ELNS1_3gpuE0ELNS1_3repE0EEENS1_48merge_mergepath_partition_config_static_selectorELNS0_4arch9wavefront6targetE0EEEvSF_ ; -- Begin function _ZN7rocprim17ROCPRIM_400000_NS6detail17trampoline_kernelINS0_14default_configENS1_38merge_sort_block_merge_config_selectorIfNS0_10empty_typeEEEZZNS1_27merge_sort_block_merge_implIS3_PfPS5_jNS1_19radix_merge_compareILb1ELb0EfNS0_19identity_decomposerEEEEE10hipError_tT0_T1_T2_jT3_P12ihipStream_tbPNSt15iterator_traitsISE_E10value_typeEPNSK_ISF_E10value_typeEPSG_NS1_7vsmem_tEENKUlT_SE_SF_SG_E_clIS8_S8_S9_S9_EESD_ST_SE_SF_SG_EUlST_E_NS1_11comp_targetILNS1_3genE0ELNS1_11target_archE4294967295ELNS1_3gpuE0ELNS1_3repE0EEENS1_48merge_mergepath_partition_config_static_selectorELNS0_4arch9wavefront6targetE0EEEvSF_
	.globl	_ZN7rocprim17ROCPRIM_400000_NS6detail17trampoline_kernelINS0_14default_configENS1_38merge_sort_block_merge_config_selectorIfNS0_10empty_typeEEEZZNS1_27merge_sort_block_merge_implIS3_PfPS5_jNS1_19radix_merge_compareILb1ELb0EfNS0_19identity_decomposerEEEEE10hipError_tT0_T1_T2_jT3_P12ihipStream_tbPNSt15iterator_traitsISE_E10value_typeEPNSK_ISF_E10value_typeEPSG_NS1_7vsmem_tEENKUlT_SE_SF_SG_E_clIS8_S8_S9_S9_EESD_ST_SE_SF_SG_EUlST_E_NS1_11comp_targetILNS1_3genE0ELNS1_11target_archE4294967295ELNS1_3gpuE0ELNS1_3repE0EEENS1_48merge_mergepath_partition_config_static_selectorELNS0_4arch9wavefront6targetE0EEEvSF_
	.p2align	8
	.type	_ZN7rocprim17ROCPRIM_400000_NS6detail17trampoline_kernelINS0_14default_configENS1_38merge_sort_block_merge_config_selectorIfNS0_10empty_typeEEEZZNS1_27merge_sort_block_merge_implIS3_PfPS5_jNS1_19radix_merge_compareILb1ELb0EfNS0_19identity_decomposerEEEEE10hipError_tT0_T1_T2_jT3_P12ihipStream_tbPNSt15iterator_traitsISE_E10value_typeEPNSK_ISF_E10value_typeEPSG_NS1_7vsmem_tEENKUlT_SE_SF_SG_E_clIS8_S8_S9_S9_EESD_ST_SE_SF_SG_EUlST_E_NS1_11comp_targetILNS1_3genE0ELNS1_11target_archE4294967295ELNS1_3gpuE0ELNS1_3repE0EEENS1_48merge_mergepath_partition_config_static_selectorELNS0_4arch9wavefront6targetE0EEEvSF_,@function
_ZN7rocprim17ROCPRIM_400000_NS6detail17trampoline_kernelINS0_14default_configENS1_38merge_sort_block_merge_config_selectorIfNS0_10empty_typeEEEZZNS1_27merge_sort_block_merge_implIS3_PfPS5_jNS1_19radix_merge_compareILb1ELb0EfNS0_19identity_decomposerEEEEE10hipError_tT0_T1_T2_jT3_P12ihipStream_tbPNSt15iterator_traitsISE_E10value_typeEPNSK_ISF_E10value_typeEPSG_NS1_7vsmem_tEENKUlT_SE_SF_SG_E_clIS8_S8_S9_S9_EESD_ST_SE_SF_SG_EUlST_E_NS1_11comp_targetILNS1_3genE0ELNS1_11target_archE4294967295ELNS1_3gpuE0ELNS1_3repE0EEENS1_48merge_mergepath_partition_config_static_selectorELNS0_4arch9wavefront6targetE0EEEvSF_: ; @_ZN7rocprim17ROCPRIM_400000_NS6detail17trampoline_kernelINS0_14default_configENS1_38merge_sort_block_merge_config_selectorIfNS0_10empty_typeEEEZZNS1_27merge_sort_block_merge_implIS3_PfPS5_jNS1_19radix_merge_compareILb1ELb0EfNS0_19identity_decomposerEEEEE10hipError_tT0_T1_T2_jT3_P12ihipStream_tbPNSt15iterator_traitsISE_E10value_typeEPNSK_ISF_E10value_typeEPSG_NS1_7vsmem_tEENKUlT_SE_SF_SG_E_clIS8_S8_S9_S9_EESD_ST_SE_SF_SG_EUlST_E_NS1_11comp_targetILNS1_3genE0ELNS1_11target_archE4294967295ELNS1_3gpuE0ELNS1_3repE0EEENS1_48merge_mergepath_partition_config_static_selectorELNS0_4arch9wavefront6targetE0EEEvSF_
; %bb.0:
	s_load_b32 s2, s[0:1], 0x0
	s_bfe_u32 s3, ttmp6, 0x4000c
	s_and_b32 s4, ttmp6, 15
	s_add_co_i32 s3, s3, 1
	s_getreg_b32 s5, hwreg(HW_REG_IB_STS2, 6, 4)
	s_mul_i32 s3, ttmp9, s3
	s_delay_alu instid0(SALU_CYCLE_1) | instskip(SKIP_2) | instid1(SALU_CYCLE_1)
	s_add_co_i32 s4, s4, s3
	s_cmp_eq_u32 s5, 0
	s_cselect_b32 s3, ttmp9, s4
	v_lshl_or_b32 v8, s3, 7, v0
	s_wait_kmcnt 0x0
	s_delay_alu instid0(VALU_DEP_1)
	v_cmp_gt_u32_e32 vcc_lo, s2, v8
	s_and_saveexec_b32 s2, vcc_lo
	s_cbranch_execz .LBB1261_6
; %bb.1:
	s_load_b64 s[2:3], s[0:1], 0x4
	s_wait_kmcnt 0x0
	s_lshr_b32 s4, s2, 9
	s_delay_alu instid0(SALU_CYCLE_1) | instskip(NEXT) | instid1(SALU_CYCLE_1)
	s_and_b32 s4, s4, 0x7ffffe
	s_sub_co_i32 s5, 0, s4
	s_add_co_i32 s4, s4, -1
	s_delay_alu instid0(SALU_CYCLE_1) | instskip(SKIP_2) | instid1(VALU_DEP_1)
	v_and_b32_e32 v1, s4, v8
	v_and_b32_e32 v0, s5, v8
	s_mov_b32 s4, exec_lo
	v_dual_lshlrev_b32 v1, 10, v1 :: v_dual_lshlrev_b32 v0, 10, v0
	s_delay_alu instid0(VALU_DEP_1) | instskip(SKIP_1) | instid1(VALU_DEP_2)
	v_add_min_u32_e64 v2, v0, s2, s3
	v_min_u32_e32 v0, s3, v0
	v_add_min_u32_e64 v3, v2, s2, s3
	s_load_b64 s[2:3], s[0:1], 0x20
	s_delay_alu instid0(VALU_DEP_1) | instskip(NEXT) | instid1(VALU_DEP_1)
	v_dual_sub_nc_u32 v4, v3, v0 :: v_dual_sub_nc_u32 v3, v3, v2
	v_min_u32_e32 v10, v4, v1
	v_sub_nc_u32_e32 v1, v2, v0
	s_delay_alu instid0(VALU_DEP_2) | instskip(NEXT) | instid1(VALU_DEP_2)
	v_sub_nc_u32_e64 v9, v10, v3 clamp
	v_min_u32_e32 v11, v10, v1
	s_delay_alu instid0(VALU_DEP_1)
	v_cmpx_lt_u32_e64 v9, v11
	s_cbranch_execz .LBB1261_5
; %bb.2:
	s_wait_xcnt 0x0
	s_load_b64 s[0:1], s[0:1], 0x10
	v_mov_b32_e32 v3, 0
	s_delay_alu instid0(VALU_DEP_1) | instskip(SKIP_1) | instid1(VALU_DEP_1)
	v_mov_b32_e32 v1, v3
	s_wait_kmcnt 0x0
	v_lshl_add_u64 v[4:5], v[0:1], 2, s[0:1]
	v_lshl_add_u64 v[6:7], v[2:3], 2, s[0:1]
	s_mov_b32 s0, 0
.LBB1261_3:                             ; =>This Inner Loop Header: Depth=1
	v_add_nc_u32_e32 v1, v11, v9
	s_delay_alu instid0(VALU_DEP_1) | instskip(NEXT) | instid1(VALU_DEP_1)
	v_dual_mov_b32 v13, v3 :: v_dual_lshrrev_b32 v2, 1, v1
	v_xad_u32 v12, v2, -1, v10
	v_lshl_add_u64 v[14:15], v[2:3], 2, v[4:5]
	s_delay_alu instid0(VALU_DEP_2)
	v_lshl_add_u64 v[12:13], v[12:13], 2, v[6:7]
	s_clause 0x1
	global_load_b32 v17, v[14:15], off
	global_load_b32 v16, v[12:13], off
	s_wait_loadcnt 0x0
	v_pk_add_f32 v[12:13], v[16:17], 0 op_sel_hi:[1,0]
	s_delay_alu instid0(VALU_DEP_1) | instskip(NEXT) | instid1(VALU_DEP_1)
	v_ashrrev_i32_e32 v14, 31, v12
	v_or_b32_e32 v14, 0x80000000, v14
	s_delay_alu instid0(VALU_DEP_1) | instskip(NEXT) | instid1(VALU_DEP_1)
	v_dual_ashrrev_i32 v1, 31, v13 :: v_dual_bitop2_b32 v12, v14, v12 bitop3:0x14
	v_or_b32_e32 v1, 0x80000000, v1
	s_delay_alu instid0(VALU_DEP_1) | instskip(NEXT) | instid1(VALU_DEP_1)
	v_dual_add_nc_u32 v13, 1, v2 :: v_dual_bitop2_b32 v1, v1, v13 bitop3:0x14
	v_cmp_gt_u32_e32 vcc_lo, v12, v1
	s_delay_alu instid0(VALU_DEP_2) | instskip(NEXT) | instid1(VALU_DEP_1)
	v_dual_cndmask_b32 v11, v11, v2, vcc_lo :: v_dual_cndmask_b32 v9, v13, v9, vcc_lo
	v_cmp_ge_u32_e32 vcc_lo, v9, v11
	s_or_b32 s0, vcc_lo, s0
	s_delay_alu instid0(SALU_CYCLE_1)
	s_and_not1_b32 exec_lo, exec_lo, s0
	s_cbranch_execnz .LBB1261_3
; %bb.4:
	s_or_b32 exec_lo, exec_lo, s0
.LBB1261_5:
	s_delay_alu instid0(SALU_CYCLE_1)
	s_or_b32 exec_lo, exec_lo, s4
	v_add_nc_u32_e32 v0, v9, v0
	s_wait_kmcnt 0x0
	global_store_b32 v8, v0, s[2:3] scale_offset
.LBB1261_6:
	s_endpgm
	.section	.rodata,"a",@progbits
	.p2align	6, 0x0
	.amdhsa_kernel _ZN7rocprim17ROCPRIM_400000_NS6detail17trampoline_kernelINS0_14default_configENS1_38merge_sort_block_merge_config_selectorIfNS0_10empty_typeEEEZZNS1_27merge_sort_block_merge_implIS3_PfPS5_jNS1_19radix_merge_compareILb1ELb0EfNS0_19identity_decomposerEEEEE10hipError_tT0_T1_T2_jT3_P12ihipStream_tbPNSt15iterator_traitsISE_E10value_typeEPNSK_ISF_E10value_typeEPSG_NS1_7vsmem_tEENKUlT_SE_SF_SG_E_clIS8_S8_S9_S9_EESD_ST_SE_SF_SG_EUlST_E_NS1_11comp_targetILNS1_3genE0ELNS1_11target_archE4294967295ELNS1_3gpuE0ELNS1_3repE0EEENS1_48merge_mergepath_partition_config_static_selectorELNS0_4arch9wavefront6targetE0EEEvSF_
		.amdhsa_group_segment_fixed_size 0
		.amdhsa_private_segment_fixed_size 0
		.amdhsa_kernarg_size 40
		.amdhsa_user_sgpr_count 2
		.amdhsa_user_sgpr_dispatch_ptr 0
		.amdhsa_user_sgpr_queue_ptr 0
		.amdhsa_user_sgpr_kernarg_segment_ptr 1
		.amdhsa_user_sgpr_dispatch_id 0
		.amdhsa_user_sgpr_kernarg_preload_length 0
		.amdhsa_user_sgpr_kernarg_preload_offset 0
		.amdhsa_user_sgpr_private_segment_size 0
		.amdhsa_wavefront_size32 1
		.amdhsa_uses_dynamic_stack 0
		.amdhsa_enable_private_segment 0
		.amdhsa_system_sgpr_workgroup_id_x 1
		.amdhsa_system_sgpr_workgroup_id_y 0
		.amdhsa_system_sgpr_workgroup_id_z 0
		.amdhsa_system_sgpr_workgroup_info 0
		.amdhsa_system_vgpr_workitem_id 0
		.amdhsa_next_free_vgpr 18
		.amdhsa_next_free_sgpr 6
		.amdhsa_named_barrier_count 0
		.amdhsa_reserve_vcc 1
		.amdhsa_float_round_mode_32 0
		.amdhsa_float_round_mode_16_64 0
		.amdhsa_float_denorm_mode_32 3
		.amdhsa_float_denorm_mode_16_64 3
		.amdhsa_fp16_overflow 0
		.amdhsa_memory_ordered 1
		.amdhsa_forward_progress 1
		.amdhsa_inst_pref_size 4
		.amdhsa_round_robin_scheduling 0
		.amdhsa_exception_fp_ieee_invalid_op 0
		.amdhsa_exception_fp_denorm_src 0
		.amdhsa_exception_fp_ieee_div_zero 0
		.amdhsa_exception_fp_ieee_overflow 0
		.amdhsa_exception_fp_ieee_underflow 0
		.amdhsa_exception_fp_ieee_inexact 0
		.amdhsa_exception_int_div_zero 0
	.end_amdhsa_kernel
	.section	.text._ZN7rocprim17ROCPRIM_400000_NS6detail17trampoline_kernelINS0_14default_configENS1_38merge_sort_block_merge_config_selectorIfNS0_10empty_typeEEEZZNS1_27merge_sort_block_merge_implIS3_PfPS5_jNS1_19radix_merge_compareILb1ELb0EfNS0_19identity_decomposerEEEEE10hipError_tT0_T1_T2_jT3_P12ihipStream_tbPNSt15iterator_traitsISE_E10value_typeEPNSK_ISF_E10value_typeEPSG_NS1_7vsmem_tEENKUlT_SE_SF_SG_E_clIS8_S8_S9_S9_EESD_ST_SE_SF_SG_EUlST_E_NS1_11comp_targetILNS1_3genE0ELNS1_11target_archE4294967295ELNS1_3gpuE0ELNS1_3repE0EEENS1_48merge_mergepath_partition_config_static_selectorELNS0_4arch9wavefront6targetE0EEEvSF_,"axG",@progbits,_ZN7rocprim17ROCPRIM_400000_NS6detail17trampoline_kernelINS0_14default_configENS1_38merge_sort_block_merge_config_selectorIfNS0_10empty_typeEEEZZNS1_27merge_sort_block_merge_implIS3_PfPS5_jNS1_19radix_merge_compareILb1ELb0EfNS0_19identity_decomposerEEEEE10hipError_tT0_T1_T2_jT3_P12ihipStream_tbPNSt15iterator_traitsISE_E10value_typeEPNSK_ISF_E10value_typeEPSG_NS1_7vsmem_tEENKUlT_SE_SF_SG_E_clIS8_S8_S9_S9_EESD_ST_SE_SF_SG_EUlST_E_NS1_11comp_targetILNS1_3genE0ELNS1_11target_archE4294967295ELNS1_3gpuE0ELNS1_3repE0EEENS1_48merge_mergepath_partition_config_static_selectorELNS0_4arch9wavefront6targetE0EEEvSF_,comdat
.Lfunc_end1261:
	.size	_ZN7rocprim17ROCPRIM_400000_NS6detail17trampoline_kernelINS0_14default_configENS1_38merge_sort_block_merge_config_selectorIfNS0_10empty_typeEEEZZNS1_27merge_sort_block_merge_implIS3_PfPS5_jNS1_19radix_merge_compareILb1ELb0EfNS0_19identity_decomposerEEEEE10hipError_tT0_T1_T2_jT3_P12ihipStream_tbPNSt15iterator_traitsISE_E10value_typeEPNSK_ISF_E10value_typeEPSG_NS1_7vsmem_tEENKUlT_SE_SF_SG_E_clIS8_S8_S9_S9_EESD_ST_SE_SF_SG_EUlST_E_NS1_11comp_targetILNS1_3genE0ELNS1_11target_archE4294967295ELNS1_3gpuE0ELNS1_3repE0EEENS1_48merge_mergepath_partition_config_static_selectorELNS0_4arch9wavefront6targetE0EEEvSF_, .Lfunc_end1261-_ZN7rocprim17ROCPRIM_400000_NS6detail17trampoline_kernelINS0_14default_configENS1_38merge_sort_block_merge_config_selectorIfNS0_10empty_typeEEEZZNS1_27merge_sort_block_merge_implIS3_PfPS5_jNS1_19radix_merge_compareILb1ELb0EfNS0_19identity_decomposerEEEEE10hipError_tT0_T1_T2_jT3_P12ihipStream_tbPNSt15iterator_traitsISE_E10value_typeEPNSK_ISF_E10value_typeEPSG_NS1_7vsmem_tEENKUlT_SE_SF_SG_E_clIS8_S8_S9_S9_EESD_ST_SE_SF_SG_EUlST_E_NS1_11comp_targetILNS1_3genE0ELNS1_11target_archE4294967295ELNS1_3gpuE0ELNS1_3repE0EEENS1_48merge_mergepath_partition_config_static_selectorELNS0_4arch9wavefront6targetE0EEEvSF_
                                        ; -- End function
	.set _ZN7rocprim17ROCPRIM_400000_NS6detail17trampoline_kernelINS0_14default_configENS1_38merge_sort_block_merge_config_selectorIfNS0_10empty_typeEEEZZNS1_27merge_sort_block_merge_implIS3_PfPS5_jNS1_19radix_merge_compareILb1ELb0EfNS0_19identity_decomposerEEEEE10hipError_tT0_T1_T2_jT3_P12ihipStream_tbPNSt15iterator_traitsISE_E10value_typeEPNSK_ISF_E10value_typeEPSG_NS1_7vsmem_tEENKUlT_SE_SF_SG_E_clIS8_S8_S9_S9_EESD_ST_SE_SF_SG_EUlST_E_NS1_11comp_targetILNS1_3genE0ELNS1_11target_archE4294967295ELNS1_3gpuE0ELNS1_3repE0EEENS1_48merge_mergepath_partition_config_static_selectorELNS0_4arch9wavefront6targetE0EEEvSF_.num_vgpr, 18
	.set _ZN7rocprim17ROCPRIM_400000_NS6detail17trampoline_kernelINS0_14default_configENS1_38merge_sort_block_merge_config_selectorIfNS0_10empty_typeEEEZZNS1_27merge_sort_block_merge_implIS3_PfPS5_jNS1_19radix_merge_compareILb1ELb0EfNS0_19identity_decomposerEEEEE10hipError_tT0_T1_T2_jT3_P12ihipStream_tbPNSt15iterator_traitsISE_E10value_typeEPNSK_ISF_E10value_typeEPSG_NS1_7vsmem_tEENKUlT_SE_SF_SG_E_clIS8_S8_S9_S9_EESD_ST_SE_SF_SG_EUlST_E_NS1_11comp_targetILNS1_3genE0ELNS1_11target_archE4294967295ELNS1_3gpuE0ELNS1_3repE0EEENS1_48merge_mergepath_partition_config_static_selectorELNS0_4arch9wavefront6targetE0EEEvSF_.num_agpr, 0
	.set _ZN7rocprim17ROCPRIM_400000_NS6detail17trampoline_kernelINS0_14default_configENS1_38merge_sort_block_merge_config_selectorIfNS0_10empty_typeEEEZZNS1_27merge_sort_block_merge_implIS3_PfPS5_jNS1_19radix_merge_compareILb1ELb0EfNS0_19identity_decomposerEEEEE10hipError_tT0_T1_T2_jT3_P12ihipStream_tbPNSt15iterator_traitsISE_E10value_typeEPNSK_ISF_E10value_typeEPSG_NS1_7vsmem_tEENKUlT_SE_SF_SG_E_clIS8_S8_S9_S9_EESD_ST_SE_SF_SG_EUlST_E_NS1_11comp_targetILNS1_3genE0ELNS1_11target_archE4294967295ELNS1_3gpuE0ELNS1_3repE0EEENS1_48merge_mergepath_partition_config_static_selectorELNS0_4arch9wavefront6targetE0EEEvSF_.numbered_sgpr, 6
	.set _ZN7rocprim17ROCPRIM_400000_NS6detail17trampoline_kernelINS0_14default_configENS1_38merge_sort_block_merge_config_selectorIfNS0_10empty_typeEEEZZNS1_27merge_sort_block_merge_implIS3_PfPS5_jNS1_19radix_merge_compareILb1ELb0EfNS0_19identity_decomposerEEEEE10hipError_tT0_T1_T2_jT3_P12ihipStream_tbPNSt15iterator_traitsISE_E10value_typeEPNSK_ISF_E10value_typeEPSG_NS1_7vsmem_tEENKUlT_SE_SF_SG_E_clIS8_S8_S9_S9_EESD_ST_SE_SF_SG_EUlST_E_NS1_11comp_targetILNS1_3genE0ELNS1_11target_archE4294967295ELNS1_3gpuE0ELNS1_3repE0EEENS1_48merge_mergepath_partition_config_static_selectorELNS0_4arch9wavefront6targetE0EEEvSF_.num_named_barrier, 0
	.set _ZN7rocprim17ROCPRIM_400000_NS6detail17trampoline_kernelINS0_14default_configENS1_38merge_sort_block_merge_config_selectorIfNS0_10empty_typeEEEZZNS1_27merge_sort_block_merge_implIS3_PfPS5_jNS1_19radix_merge_compareILb1ELb0EfNS0_19identity_decomposerEEEEE10hipError_tT0_T1_T2_jT3_P12ihipStream_tbPNSt15iterator_traitsISE_E10value_typeEPNSK_ISF_E10value_typeEPSG_NS1_7vsmem_tEENKUlT_SE_SF_SG_E_clIS8_S8_S9_S9_EESD_ST_SE_SF_SG_EUlST_E_NS1_11comp_targetILNS1_3genE0ELNS1_11target_archE4294967295ELNS1_3gpuE0ELNS1_3repE0EEENS1_48merge_mergepath_partition_config_static_selectorELNS0_4arch9wavefront6targetE0EEEvSF_.private_seg_size, 0
	.set _ZN7rocprim17ROCPRIM_400000_NS6detail17trampoline_kernelINS0_14default_configENS1_38merge_sort_block_merge_config_selectorIfNS0_10empty_typeEEEZZNS1_27merge_sort_block_merge_implIS3_PfPS5_jNS1_19radix_merge_compareILb1ELb0EfNS0_19identity_decomposerEEEEE10hipError_tT0_T1_T2_jT3_P12ihipStream_tbPNSt15iterator_traitsISE_E10value_typeEPNSK_ISF_E10value_typeEPSG_NS1_7vsmem_tEENKUlT_SE_SF_SG_E_clIS8_S8_S9_S9_EESD_ST_SE_SF_SG_EUlST_E_NS1_11comp_targetILNS1_3genE0ELNS1_11target_archE4294967295ELNS1_3gpuE0ELNS1_3repE0EEENS1_48merge_mergepath_partition_config_static_selectorELNS0_4arch9wavefront6targetE0EEEvSF_.uses_vcc, 1
	.set _ZN7rocprim17ROCPRIM_400000_NS6detail17trampoline_kernelINS0_14default_configENS1_38merge_sort_block_merge_config_selectorIfNS0_10empty_typeEEEZZNS1_27merge_sort_block_merge_implIS3_PfPS5_jNS1_19radix_merge_compareILb1ELb0EfNS0_19identity_decomposerEEEEE10hipError_tT0_T1_T2_jT3_P12ihipStream_tbPNSt15iterator_traitsISE_E10value_typeEPNSK_ISF_E10value_typeEPSG_NS1_7vsmem_tEENKUlT_SE_SF_SG_E_clIS8_S8_S9_S9_EESD_ST_SE_SF_SG_EUlST_E_NS1_11comp_targetILNS1_3genE0ELNS1_11target_archE4294967295ELNS1_3gpuE0ELNS1_3repE0EEENS1_48merge_mergepath_partition_config_static_selectorELNS0_4arch9wavefront6targetE0EEEvSF_.uses_flat_scratch, 0
	.set _ZN7rocprim17ROCPRIM_400000_NS6detail17trampoline_kernelINS0_14default_configENS1_38merge_sort_block_merge_config_selectorIfNS0_10empty_typeEEEZZNS1_27merge_sort_block_merge_implIS3_PfPS5_jNS1_19radix_merge_compareILb1ELb0EfNS0_19identity_decomposerEEEEE10hipError_tT0_T1_T2_jT3_P12ihipStream_tbPNSt15iterator_traitsISE_E10value_typeEPNSK_ISF_E10value_typeEPSG_NS1_7vsmem_tEENKUlT_SE_SF_SG_E_clIS8_S8_S9_S9_EESD_ST_SE_SF_SG_EUlST_E_NS1_11comp_targetILNS1_3genE0ELNS1_11target_archE4294967295ELNS1_3gpuE0ELNS1_3repE0EEENS1_48merge_mergepath_partition_config_static_selectorELNS0_4arch9wavefront6targetE0EEEvSF_.has_dyn_sized_stack, 0
	.set _ZN7rocprim17ROCPRIM_400000_NS6detail17trampoline_kernelINS0_14default_configENS1_38merge_sort_block_merge_config_selectorIfNS0_10empty_typeEEEZZNS1_27merge_sort_block_merge_implIS3_PfPS5_jNS1_19radix_merge_compareILb1ELb0EfNS0_19identity_decomposerEEEEE10hipError_tT0_T1_T2_jT3_P12ihipStream_tbPNSt15iterator_traitsISE_E10value_typeEPNSK_ISF_E10value_typeEPSG_NS1_7vsmem_tEENKUlT_SE_SF_SG_E_clIS8_S8_S9_S9_EESD_ST_SE_SF_SG_EUlST_E_NS1_11comp_targetILNS1_3genE0ELNS1_11target_archE4294967295ELNS1_3gpuE0ELNS1_3repE0EEENS1_48merge_mergepath_partition_config_static_selectorELNS0_4arch9wavefront6targetE0EEEvSF_.has_recursion, 0
	.set _ZN7rocprim17ROCPRIM_400000_NS6detail17trampoline_kernelINS0_14default_configENS1_38merge_sort_block_merge_config_selectorIfNS0_10empty_typeEEEZZNS1_27merge_sort_block_merge_implIS3_PfPS5_jNS1_19radix_merge_compareILb1ELb0EfNS0_19identity_decomposerEEEEE10hipError_tT0_T1_T2_jT3_P12ihipStream_tbPNSt15iterator_traitsISE_E10value_typeEPNSK_ISF_E10value_typeEPSG_NS1_7vsmem_tEENKUlT_SE_SF_SG_E_clIS8_S8_S9_S9_EESD_ST_SE_SF_SG_EUlST_E_NS1_11comp_targetILNS1_3genE0ELNS1_11target_archE4294967295ELNS1_3gpuE0ELNS1_3repE0EEENS1_48merge_mergepath_partition_config_static_selectorELNS0_4arch9wavefront6targetE0EEEvSF_.has_indirect_call, 0
	.section	.AMDGPU.csdata,"",@progbits
; Kernel info:
; codeLenInByte = 492
; TotalNumSgprs: 8
; NumVgprs: 18
; ScratchSize: 0
; MemoryBound: 0
; FloatMode: 240
; IeeeMode: 1
; LDSByteSize: 0 bytes/workgroup (compile time only)
; SGPRBlocks: 0
; VGPRBlocks: 1
; NumSGPRsForWavesPerEU: 8
; NumVGPRsForWavesPerEU: 18
; NamedBarCnt: 0
; Occupancy: 16
; WaveLimiterHint : 0
; COMPUTE_PGM_RSRC2:SCRATCH_EN: 0
; COMPUTE_PGM_RSRC2:USER_SGPR: 2
; COMPUTE_PGM_RSRC2:TRAP_HANDLER: 0
; COMPUTE_PGM_RSRC2:TGID_X_EN: 1
; COMPUTE_PGM_RSRC2:TGID_Y_EN: 0
; COMPUTE_PGM_RSRC2:TGID_Z_EN: 0
; COMPUTE_PGM_RSRC2:TIDIG_COMP_CNT: 0
	.section	.text._ZN7rocprim17ROCPRIM_400000_NS6detail17trampoline_kernelINS0_14default_configENS1_38merge_sort_block_merge_config_selectorIfNS0_10empty_typeEEEZZNS1_27merge_sort_block_merge_implIS3_PfPS5_jNS1_19radix_merge_compareILb1ELb0EfNS0_19identity_decomposerEEEEE10hipError_tT0_T1_T2_jT3_P12ihipStream_tbPNSt15iterator_traitsISE_E10value_typeEPNSK_ISF_E10value_typeEPSG_NS1_7vsmem_tEENKUlT_SE_SF_SG_E_clIS8_S8_S9_S9_EESD_ST_SE_SF_SG_EUlST_E_NS1_11comp_targetILNS1_3genE10ELNS1_11target_archE1201ELNS1_3gpuE5ELNS1_3repE0EEENS1_48merge_mergepath_partition_config_static_selectorELNS0_4arch9wavefront6targetE0EEEvSF_,"axG",@progbits,_ZN7rocprim17ROCPRIM_400000_NS6detail17trampoline_kernelINS0_14default_configENS1_38merge_sort_block_merge_config_selectorIfNS0_10empty_typeEEEZZNS1_27merge_sort_block_merge_implIS3_PfPS5_jNS1_19radix_merge_compareILb1ELb0EfNS0_19identity_decomposerEEEEE10hipError_tT0_T1_T2_jT3_P12ihipStream_tbPNSt15iterator_traitsISE_E10value_typeEPNSK_ISF_E10value_typeEPSG_NS1_7vsmem_tEENKUlT_SE_SF_SG_E_clIS8_S8_S9_S9_EESD_ST_SE_SF_SG_EUlST_E_NS1_11comp_targetILNS1_3genE10ELNS1_11target_archE1201ELNS1_3gpuE5ELNS1_3repE0EEENS1_48merge_mergepath_partition_config_static_selectorELNS0_4arch9wavefront6targetE0EEEvSF_,comdat
	.protected	_ZN7rocprim17ROCPRIM_400000_NS6detail17trampoline_kernelINS0_14default_configENS1_38merge_sort_block_merge_config_selectorIfNS0_10empty_typeEEEZZNS1_27merge_sort_block_merge_implIS3_PfPS5_jNS1_19radix_merge_compareILb1ELb0EfNS0_19identity_decomposerEEEEE10hipError_tT0_T1_T2_jT3_P12ihipStream_tbPNSt15iterator_traitsISE_E10value_typeEPNSK_ISF_E10value_typeEPSG_NS1_7vsmem_tEENKUlT_SE_SF_SG_E_clIS8_S8_S9_S9_EESD_ST_SE_SF_SG_EUlST_E_NS1_11comp_targetILNS1_3genE10ELNS1_11target_archE1201ELNS1_3gpuE5ELNS1_3repE0EEENS1_48merge_mergepath_partition_config_static_selectorELNS0_4arch9wavefront6targetE0EEEvSF_ ; -- Begin function _ZN7rocprim17ROCPRIM_400000_NS6detail17trampoline_kernelINS0_14default_configENS1_38merge_sort_block_merge_config_selectorIfNS0_10empty_typeEEEZZNS1_27merge_sort_block_merge_implIS3_PfPS5_jNS1_19radix_merge_compareILb1ELb0EfNS0_19identity_decomposerEEEEE10hipError_tT0_T1_T2_jT3_P12ihipStream_tbPNSt15iterator_traitsISE_E10value_typeEPNSK_ISF_E10value_typeEPSG_NS1_7vsmem_tEENKUlT_SE_SF_SG_E_clIS8_S8_S9_S9_EESD_ST_SE_SF_SG_EUlST_E_NS1_11comp_targetILNS1_3genE10ELNS1_11target_archE1201ELNS1_3gpuE5ELNS1_3repE0EEENS1_48merge_mergepath_partition_config_static_selectorELNS0_4arch9wavefront6targetE0EEEvSF_
	.globl	_ZN7rocprim17ROCPRIM_400000_NS6detail17trampoline_kernelINS0_14default_configENS1_38merge_sort_block_merge_config_selectorIfNS0_10empty_typeEEEZZNS1_27merge_sort_block_merge_implIS3_PfPS5_jNS1_19radix_merge_compareILb1ELb0EfNS0_19identity_decomposerEEEEE10hipError_tT0_T1_T2_jT3_P12ihipStream_tbPNSt15iterator_traitsISE_E10value_typeEPNSK_ISF_E10value_typeEPSG_NS1_7vsmem_tEENKUlT_SE_SF_SG_E_clIS8_S8_S9_S9_EESD_ST_SE_SF_SG_EUlST_E_NS1_11comp_targetILNS1_3genE10ELNS1_11target_archE1201ELNS1_3gpuE5ELNS1_3repE0EEENS1_48merge_mergepath_partition_config_static_selectorELNS0_4arch9wavefront6targetE0EEEvSF_
	.p2align	8
	.type	_ZN7rocprim17ROCPRIM_400000_NS6detail17trampoline_kernelINS0_14default_configENS1_38merge_sort_block_merge_config_selectorIfNS0_10empty_typeEEEZZNS1_27merge_sort_block_merge_implIS3_PfPS5_jNS1_19radix_merge_compareILb1ELb0EfNS0_19identity_decomposerEEEEE10hipError_tT0_T1_T2_jT3_P12ihipStream_tbPNSt15iterator_traitsISE_E10value_typeEPNSK_ISF_E10value_typeEPSG_NS1_7vsmem_tEENKUlT_SE_SF_SG_E_clIS8_S8_S9_S9_EESD_ST_SE_SF_SG_EUlST_E_NS1_11comp_targetILNS1_3genE10ELNS1_11target_archE1201ELNS1_3gpuE5ELNS1_3repE0EEENS1_48merge_mergepath_partition_config_static_selectorELNS0_4arch9wavefront6targetE0EEEvSF_,@function
_ZN7rocprim17ROCPRIM_400000_NS6detail17trampoline_kernelINS0_14default_configENS1_38merge_sort_block_merge_config_selectorIfNS0_10empty_typeEEEZZNS1_27merge_sort_block_merge_implIS3_PfPS5_jNS1_19radix_merge_compareILb1ELb0EfNS0_19identity_decomposerEEEEE10hipError_tT0_T1_T2_jT3_P12ihipStream_tbPNSt15iterator_traitsISE_E10value_typeEPNSK_ISF_E10value_typeEPSG_NS1_7vsmem_tEENKUlT_SE_SF_SG_E_clIS8_S8_S9_S9_EESD_ST_SE_SF_SG_EUlST_E_NS1_11comp_targetILNS1_3genE10ELNS1_11target_archE1201ELNS1_3gpuE5ELNS1_3repE0EEENS1_48merge_mergepath_partition_config_static_selectorELNS0_4arch9wavefront6targetE0EEEvSF_: ; @_ZN7rocprim17ROCPRIM_400000_NS6detail17trampoline_kernelINS0_14default_configENS1_38merge_sort_block_merge_config_selectorIfNS0_10empty_typeEEEZZNS1_27merge_sort_block_merge_implIS3_PfPS5_jNS1_19radix_merge_compareILb1ELb0EfNS0_19identity_decomposerEEEEE10hipError_tT0_T1_T2_jT3_P12ihipStream_tbPNSt15iterator_traitsISE_E10value_typeEPNSK_ISF_E10value_typeEPSG_NS1_7vsmem_tEENKUlT_SE_SF_SG_E_clIS8_S8_S9_S9_EESD_ST_SE_SF_SG_EUlST_E_NS1_11comp_targetILNS1_3genE10ELNS1_11target_archE1201ELNS1_3gpuE5ELNS1_3repE0EEENS1_48merge_mergepath_partition_config_static_selectorELNS0_4arch9wavefront6targetE0EEEvSF_
; %bb.0:
	.section	.rodata,"a",@progbits
	.p2align	6, 0x0
	.amdhsa_kernel _ZN7rocprim17ROCPRIM_400000_NS6detail17trampoline_kernelINS0_14default_configENS1_38merge_sort_block_merge_config_selectorIfNS0_10empty_typeEEEZZNS1_27merge_sort_block_merge_implIS3_PfPS5_jNS1_19radix_merge_compareILb1ELb0EfNS0_19identity_decomposerEEEEE10hipError_tT0_T1_T2_jT3_P12ihipStream_tbPNSt15iterator_traitsISE_E10value_typeEPNSK_ISF_E10value_typeEPSG_NS1_7vsmem_tEENKUlT_SE_SF_SG_E_clIS8_S8_S9_S9_EESD_ST_SE_SF_SG_EUlST_E_NS1_11comp_targetILNS1_3genE10ELNS1_11target_archE1201ELNS1_3gpuE5ELNS1_3repE0EEENS1_48merge_mergepath_partition_config_static_selectorELNS0_4arch9wavefront6targetE0EEEvSF_
		.amdhsa_group_segment_fixed_size 0
		.amdhsa_private_segment_fixed_size 0
		.amdhsa_kernarg_size 40
		.amdhsa_user_sgpr_count 2
		.amdhsa_user_sgpr_dispatch_ptr 0
		.amdhsa_user_sgpr_queue_ptr 0
		.amdhsa_user_sgpr_kernarg_segment_ptr 1
		.amdhsa_user_sgpr_dispatch_id 0
		.amdhsa_user_sgpr_kernarg_preload_length 0
		.amdhsa_user_sgpr_kernarg_preload_offset 0
		.amdhsa_user_sgpr_private_segment_size 0
		.amdhsa_wavefront_size32 1
		.amdhsa_uses_dynamic_stack 0
		.amdhsa_enable_private_segment 0
		.amdhsa_system_sgpr_workgroup_id_x 1
		.amdhsa_system_sgpr_workgroup_id_y 0
		.amdhsa_system_sgpr_workgroup_id_z 0
		.amdhsa_system_sgpr_workgroup_info 0
		.amdhsa_system_vgpr_workitem_id 0
		.amdhsa_next_free_vgpr 1
		.amdhsa_next_free_sgpr 1
		.amdhsa_named_barrier_count 0
		.amdhsa_reserve_vcc 0
		.amdhsa_float_round_mode_32 0
		.amdhsa_float_round_mode_16_64 0
		.amdhsa_float_denorm_mode_32 3
		.amdhsa_float_denorm_mode_16_64 3
		.amdhsa_fp16_overflow 0
		.amdhsa_memory_ordered 1
		.amdhsa_forward_progress 1
		.amdhsa_inst_pref_size 0
		.amdhsa_round_robin_scheduling 0
		.amdhsa_exception_fp_ieee_invalid_op 0
		.amdhsa_exception_fp_denorm_src 0
		.amdhsa_exception_fp_ieee_div_zero 0
		.amdhsa_exception_fp_ieee_overflow 0
		.amdhsa_exception_fp_ieee_underflow 0
		.amdhsa_exception_fp_ieee_inexact 0
		.amdhsa_exception_int_div_zero 0
	.end_amdhsa_kernel
	.section	.text._ZN7rocprim17ROCPRIM_400000_NS6detail17trampoline_kernelINS0_14default_configENS1_38merge_sort_block_merge_config_selectorIfNS0_10empty_typeEEEZZNS1_27merge_sort_block_merge_implIS3_PfPS5_jNS1_19radix_merge_compareILb1ELb0EfNS0_19identity_decomposerEEEEE10hipError_tT0_T1_T2_jT3_P12ihipStream_tbPNSt15iterator_traitsISE_E10value_typeEPNSK_ISF_E10value_typeEPSG_NS1_7vsmem_tEENKUlT_SE_SF_SG_E_clIS8_S8_S9_S9_EESD_ST_SE_SF_SG_EUlST_E_NS1_11comp_targetILNS1_3genE10ELNS1_11target_archE1201ELNS1_3gpuE5ELNS1_3repE0EEENS1_48merge_mergepath_partition_config_static_selectorELNS0_4arch9wavefront6targetE0EEEvSF_,"axG",@progbits,_ZN7rocprim17ROCPRIM_400000_NS6detail17trampoline_kernelINS0_14default_configENS1_38merge_sort_block_merge_config_selectorIfNS0_10empty_typeEEEZZNS1_27merge_sort_block_merge_implIS3_PfPS5_jNS1_19radix_merge_compareILb1ELb0EfNS0_19identity_decomposerEEEEE10hipError_tT0_T1_T2_jT3_P12ihipStream_tbPNSt15iterator_traitsISE_E10value_typeEPNSK_ISF_E10value_typeEPSG_NS1_7vsmem_tEENKUlT_SE_SF_SG_E_clIS8_S8_S9_S9_EESD_ST_SE_SF_SG_EUlST_E_NS1_11comp_targetILNS1_3genE10ELNS1_11target_archE1201ELNS1_3gpuE5ELNS1_3repE0EEENS1_48merge_mergepath_partition_config_static_selectorELNS0_4arch9wavefront6targetE0EEEvSF_,comdat
.Lfunc_end1262:
	.size	_ZN7rocprim17ROCPRIM_400000_NS6detail17trampoline_kernelINS0_14default_configENS1_38merge_sort_block_merge_config_selectorIfNS0_10empty_typeEEEZZNS1_27merge_sort_block_merge_implIS3_PfPS5_jNS1_19radix_merge_compareILb1ELb0EfNS0_19identity_decomposerEEEEE10hipError_tT0_T1_T2_jT3_P12ihipStream_tbPNSt15iterator_traitsISE_E10value_typeEPNSK_ISF_E10value_typeEPSG_NS1_7vsmem_tEENKUlT_SE_SF_SG_E_clIS8_S8_S9_S9_EESD_ST_SE_SF_SG_EUlST_E_NS1_11comp_targetILNS1_3genE10ELNS1_11target_archE1201ELNS1_3gpuE5ELNS1_3repE0EEENS1_48merge_mergepath_partition_config_static_selectorELNS0_4arch9wavefront6targetE0EEEvSF_, .Lfunc_end1262-_ZN7rocprim17ROCPRIM_400000_NS6detail17trampoline_kernelINS0_14default_configENS1_38merge_sort_block_merge_config_selectorIfNS0_10empty_typeEEEZZNS1_27merge_sort_block_merge_implIS3_PfPS5_jNS1_19radix_merge_compareILb1ELb0EfNS0_19identity_decomposerEEEEE10hipError_tT0_T1_T2_jT3_P12ihipStream_tbPNSt15iterator_traitsISE_E10value_typeEPNSK_ISF_E10value_typeEPSG_NS1_7vsmem_tEENKUlT_SE_SF_SG_E_clIS8_S8_S9_S9_EESD_ST_SE_SF_SG_EUlST_E_NS1_11comp_targetILNS1_3genE10ELNS1_11target_archE1201ELNS1_3gpuE5ELNS1_3repE0EEENS1_48merge_mergepath_partition_config_static_selectorELNS0_4arch9wavefront6targetE0EEEvSF_
                                        ; -- End function
	.set _ZN7rocprim17ROCPRIM_400000_NS6detail17trampoline_kernelINS0_14default_configENS1_38merge_sort_block_merge_config_selectorIfNS0_10empty_typeEEEZZNS1_27merge_sort_block_merge_implIS3_PfPS5_jNS1_19radix_merge_compareILb1ELb0EfNS0_19identity_decomposerEEEEE10hipError_tT0_T1_T2_jT3_P12ihipStream_tbPNSt15iterator_traitsISE_E10value_typeEPNSK_ISF_E10value_typeEPSG_NS1_7vsmem_tEENKUlT_SE_SF_SG_E_clIS8_S8_S9_S9_EESD_ST_SE_SF_SG_EUlST_E_NS1_11comp_targetILNS1_3genE10ELNS1_11target_archE1201ELNS1_3gpuE5ELNS1_3repE0EEENS1_48merge_mergepath_partition_config_static_selectorELNS0_4arch9wavefront6targetE0EEEvSF_.num_vgpr, 0
	.set _ZN7rocprim17ROCPRIM_400000_NS6detail17trampoline_kernelINS0_14default_configENS1_38merge_sort_block_merge_config_selectorIfNS0_10empty_typeEEEZZNS1_27merge_sort_block_merge_implIS3_PfPS5_jNS1_19radix_merge_compareILb1ELb0EfNS0_19identity_decomposerEEEEE10hipError_tT0_T1_T2_jT3_P12ihipStream_tbPNSt15iterator_traitsISE_E10value_typeEPNSK_ISF_E10value_typeEPSG_NS1_7vsmem_tEENKUlT_SE_SF_SG_E_clIS8_S8_S9_S9_EESD_ST_SE_SF_SG_EUlST_E_NS1_11comp_targetILNS1_3genE10ELNS1_11target_archE1201ELNS1_3gpuE5ELNS1_3repE0EEENS1_48merge_mergepath_partition_config_static_selectorELNS0_4arch9wavefront6targetE0EEEvSF_.num_agpr, 0
	.set _ZN7rocprim17ROCPRIM_400000_NS6detail17trampoline_kernelINS0_14default_configENS1_38merge_sort_block_merge_config_selectorIfNS0_10empty_typeEEEZZNS1_27merge_sort_block_merge_implIS3_PfPS5_jNS1_19radix_merge_compareILb1ELb0EfNS0_19identity_decomposerEEEEE10hipError_tT0_T1_T2_jT3_P12ihipStream_tbPNSt15iterator_traitsISE_E10value_typeEPNSK_ISF_E10value_typeEPSG_NS1_7vsmem_tEENKUlT_SE_SF_SG_E_clIS8_S8_S9_S9_EESD_ST_SE_SF_SG_EUlST_E_NS1_11comp_targetILNS1_3genE10ELNS1_11target_archE1201ELNS1_3gpuE5ELNS1_3repE0EEENS1_48merge_mergepath_partition_config_static_selectorELNS0_4arch9wavefront6targetE0EEEvSF_.numbered_sgpr, 0
	.set _ZN7rocprim17ROCPRIM_400000_NS6detail17trampoline_kernelINS0_14default_configENS1_38merge_sort_block_merge_config_selectorIfNS0_10empty_typeEEEZZNS1_27merge_sort_block_merge_implIS3_PfPS5_jNS1_19radix_merge_compareILb1ELb0EfNS0_19identity_decomposerEEEEE10hipError_tT0_T1_T2_jT3_P12ihipStream_tbPNSt15iterator_traitsISE_E10value_typeEPNSK_ISF_E10value_typeEPSG_NS1_7vsmem_tEENKUlT_SE_SF_SG_E_clIS8_S8_S9_S9_EESD_ST_SE_SF_SG_EUlST_E_NS1_11comp_targetILNS1_3genE10ELNS1_11target_archE1201ELNS1_3gpuE5ELNS1_3repE0EEENS1_48merge_mergepath_partition_config_static_selectorELNS0_4arch9wavefront6targetE0EEEvSF_.num_named_barrier, 0
	.set _ZN7rocprim17ROCPRIM_400000_NS6detail17trampoline_kernelINS0_14default_configENS1_38merge_sort_block_merge_config_selectorIfNS0_10empty_typeEEEZZNS1_27merge_sort_block_merge_implIS3_PfPS5_jNS1_19radix_merge_compareILb1ELb0EfNS0_19identity_decomposerEEEEE10hipError_tT0_T1_T2_jT3_P12ihipStream_tbPNSt15iterator_traitsISE_E10value_typeEPNSK_ISF_E10value_typeEPSG_NS1_7vsmem_tEENKUlT_SE_SF_SG_E_clIS8_S8_S9_S9_EESD_ST_SE_SF_SG_EUlST_E_NS1_11comp_targetILNS1_3genE10ELNS1_11target_archE1201ELNS1_3gpuE5ELNS1_3repE0EEENS1_48merge_mergepath_partition_config_static_selectorELNS0_4arch9wavefront6targetE0EEEvSF_.private_seg_size, 0
	.set _ZN7rocprim17ROCPRIM_400000_NS6detail17trampoline_kernelINS0_14default_configENS1_38merge_sort_block_merge_config_selectorIfNS0_10empty_typeEEEZZNS1_27merge_sort_block_merge_implIS3_PfPS5_jNS1_19radix_merge_compareILb1ELb0EfNS0_19identity_decomposerEEEEE10hipError_tT0_T1_T2_jT3_P12ihipStream_tbPNSt15iterator_traitsISE_E10value_typeEPNSK_ISF_E10value_typeEPSG_NS1_7vsmem_tEENKUlT_SE_SF_SG_E_clIS8_S8_S9_S9_EESD_ST_SE_SF_SG_EUlST_E_NS1_11comp_targetILNS1_3genE10ELNS1_11target_archE1201ELNS1_3gpuE5ELNS1_3repE0EEENS1_48merge_mergepath_partition_config_static_selectorELNS0_4arch9wavefront6targetE0EEEvSF_.uses_vcc, 0
	.set _ZN7rocprim17ROCPRIM_400000_NS6detail17trampoline_kernelINS0_14default_configENS1_38merge_sort_block_merge_config_selectorIfNS0_10empty_typeEEEZZNS1_27merge_sort_block_merge_implIS3_PfPS5_jNS1_19radix_merge_compareILb1ELb0EfNS0_19identity_decomposerEEEEE10hipError_tT0_T1_T2_jT3_P12ihipStream_tbPNSt15iterator_traitsISE_E10value_typeEPNSK_ISF_E10value_typeEPSG_NS1_7vsmem_tEENKUlT_SE_SF_SG_E_clIS8_S8_S9_S9_EESD_ST_SE_SF_SG_EUlST_E_NS1_11comp_targetILNS1_3genE10ELNS1_11target_archE1201ELNS1_3gpuE5ELNS1_3repE0EEENS1_48merge_mergepath_partition_config_static_selectorELNS0_4arch9wavefront6targetE0EEEvSF_.uses_flat_scratch, 0
	.set _ZN7rocprim17ROCPRIM_400000_NS6detail17trampoline_kernelINS0_14default_configENS1_38merge_sort_block_merge_config_selectorIfNS0_10empty_typeEEEZZNS1_27merge_sort_block_merge_implIS3_PfPS5_jNS1_19radix_merge_compareILb1ELb0EfNS0_19identity_decomposerEEEEE10hipError_tT0_T1_T2_jT3_P12ihipStream_tbPNSt15iterator_traitsISE_E10value_typeEPNSK_ISF_E10value_typeEPSG_NS1_7vsmem_tEENKUlT_SE_SF_SG_E_clIS8_S8_S9_S9_EESD_ST_SE_SF_SG_EUlST_E_NS1_11comp_targetILNS1_3genE10ELNS1_11target_archE1201ELNS1_3gpuE5ELNS1_3repE0EEENS1_48merge_mergepath_partition_config_static_selectorELNS0_4arch9wavefront6targetE0EEEvSF_.has_dyn_sized_stack, 0
	.set _ZN7rocprim17ROCPRIM_400000_NS6detail17trampoline_kernelINS0_14default_configENS1_38merge_sort_block_merge_config_selectorIfNS0_10empty_typeEEEZZNS1_27merge_sort_block_merge_implIS3_PfPS5_jNS1_19radix_merge_compareILb1ELb0EfNS0_19identity_decomposerEEEEE10hipError_tT0_T1_T2_jT3_P12ihipStream_tbPNSt15iterator_traitsISE_E10value_typeEPNSK_ISF_E10value_typeEPSG_NS1_7vsmem_tEENKUlT_SE_SF_SG_E_clIS8_S8_S9_S9_EESD_ST_SE_SF_SG_EUlST_E_NS1_11comp_targetILNS1_3genE10ELNS1_11target_archE1201ELNS1_3gpuE5ELNS1_3repE0EEENS1_48merge_mergepath_partition_config_static_selectorELNS0_4arch9wavefront6targetE0EEEvSF_.has_recursion, 0
	.set _ZN7rocprim17ROCPRIM_400000_NS6detail17trampoline_kernelINS0_14default_configENS1_38merge_sort_block_merge_config_selectorIfNS0_10empty_typeEEEZZNS1_27merge_sort_block_merge_implIS3_PfPS5_jNS1_19radix_merge_compareILb1ELb0EfNS0_19identity_decomposerEEEEE10hipError_tT0_T1_T2_jT3_P12ihipStream_tbPNSt15iterator_traitsISE_E10value_typeEPNSK_ISF_E10value_typeEPSG_NS1_7vsmem_tEENKUlT_SE_SF_SG_E_clIS8_S8_S9_S9_EESD_ST_SE_SF_SG_EUlST_E_NS1_11comp_targetILNS1_3genE10ELNS1_11target_archE1201ELNS1_3gpuE5ELNS1_3repE0EEENS1_48merge_mergepath_partition_config_static_selectorELNS0_4arch9wavefront6targetE0EEEvSF_.has_indirect_call, 0
	.section	.AMDGPU.csdata,"",@progbits
; Kernel info:
; codeLenInByte = 0
; TotalNumSgprs: 0
; NumVgprs: 0
; ScratchSize: 0
; MemoryBound: 0
; FloatMode: 240
; IeeeMode: 1
; LDSByteSize: 0 bytes/workgroup (compile time only)
; SGPRBlocks: 0
; VGPRBlocks: 0
; NumSGPRsForWavesPerEU: 1
; NumVGPRsForWavesPerEU: 1
; NamedBarCnt: 0
; Occupancy: 16
; WaveLimiterHint : 0
; COMPUTE_PGM_RSRC2:SCRATCH_EN: 0
; COMPUTE_PGM_RSRC2:USER_SGPR: 2
; COMPUTE_PGM_RSRC2:TRAP_HANDLER: 0
; COMPUTE_PGM_RSRC2:TGID_X_EN: 1
; COMPUTE_PGM_RSRC2:TGID_Y_EN: 0
; COMPUTE_PGM_RSRC2:TGID_Z_EN: 0
; COMPUTE_PGM_RSRC2:TIDIG_COMP_CNT: 0
	.section	.text._ZN7rocprim17ROCPRIM_400000_NS6detail17trampoline_kernelINS0_14default_configENS1_38merge_sort_block_merge_config_selectorIfNS0_10empty_typeEEEZZNS1_27merge_sort_block_merge_implIS3_PfPS5_jNS1_19radix_merge_compareILb1ELb0EfNS0_19identity_decomposerEEEEE10hipError_tT0_T1_T2_jT3_P12ihipStream_tbPNSt15iterator_traitsISE_E10value_typeEPNSK_ISF_E10value_typeEPSG_NS1_7vsmem_tEENKUlT_SE_SF_SG_E_clIS8_S8_S9_S9_EESD_ST_SE_SF_SG_EUlST_E_NS1_11comp_targetILNS1_3genE5ELNS1_11target_archE942ELNS1_3gpuE9ELNS1_3repE0EEENS1_48merge_mergepath_partition_config_static_selectorELNS0_4arch9wavefront6targetE0EEEvSF_,"axG",@progbits,_ZN7rocprim17ROCPRIM_400000_NS6detail17trampoline_kernelINS0_14default_configENS1_38merge_sort_block_merge_config_selectorIfNS0_10empty_typeEEEZZNS1_27merge_sort_block_merge_implIS3_PfPS5_jNS1_19radix_merge_compareILb1ELb0EfNS0_19identity_decomposerEEEEE10hipError_tT0_T1_T2_jT3_P12ihipStream_tbPNSt15iterator_traitsISE_E10value_typeEPNSK_ISF_E10value_typeEPSG_NS1_7vsmem_tEENKUlT_SE_SF_SG_E_clIS8_S8_S9_S9_EESD_ST_SE_SF_SG_EUlST_E_NS1_11comp_targetILNS1_3genE5ELNS1_11target_archE942ELNS1_3gpuE9ELNS1_3repE0EEENS1_48merge_mergepath_partition_config_static_selectorELNS0_4arch9wavefront6targetE0EEEvSF_,comdat
	.protected	_ZN7rocprim17ROCPRIM_400000_NS6detail17trampoline_kernelINS0_14default_configENS1_38merge_sort_block_merge_config_selectorIfNS0_10empty_typeEEEZZNS1_27merge_sort_block_merge_implIS3_PfPS5_jNS1_19radix_merge_compareILb1ELb0EfNS0_19identity_decomposerEEEEE10hipError_tT0_T1_T2_jT3_P12ihipStream_tbPNSt15iterator_traitsISE_E10value_typeEPNSK_ISF_E10value_typeEPSG_NS1_7vsmem_tEENKUlT_SE_SF_SG_E_clIS8_S8_S9_S9_EESD_ST_SE_SF_SG_EUlST_E_NS1_11comp_targetILNS1_3genE5ELNS1_11target_archE942ELNS1_3gpuE9ELNS1_3repE0EEENS1_48merge_mergepath_partition_config_static_selectorELNS0_4arch9wavefront6targetE0EEEvSF_ ; -- Begin function _ZN7rocprim17ROCPRIM_400000_NS6detail17trampoline_kernelINS0_14default_configENS1_38merge_sort_block_merge_config_selectorIfNS0_10empty_typeEEEZZNS1_27merge_sort_block_merge_implIS3_PfPS5_jNS1_19radix_merge_compareILb1ELb0EfNS0_19identity_decomposerEEEEE10hipError_tT0_T1_T2_jT3_P12ihipStream_tbPNSt15iterator_traitsISE_E10value_typeEPNSK_ISF_E10value_typeEPSG_NS1_7vsmem_tEENKUlT_SE_SF_SG_E_clIS8_S8_S9_S9_EESD_ST_SE_SF_SG_EUlST_E_NS1_11comp_targetILNS1_3genE5ELNS1_11target_archE942ELNS1_3gpuE9ELNS1_3repE0EEENS1_48merge_mergepath_partition_config_static_selectorELNS0_4arch9wavefront6targetE0EEEvSF_
	.globl	_ZN7rocprim17ROCPRIM_400000_NS6detail17trampoline_kernelINS0_14default_configENS1_38merge_sort_block_merge_config_selectorIfNS0_10empty_typeEEEZZNS1_27merge_sort_block_merge_implIS3_PfPS5_jNS1_19radix_merge_compareILb1ELb0EfNS0_19identity_decomposerEEEEE10hipError_tT0_T1_T2_jT3_P12ihipStream_tbPNSt15iterator_traitsISE_E10value_typeEPNSK_ISF_E10value_typeEPSG_NS1_7vsmem_tEENKUlT_SE_SF_SG_E_clIS8_S8_S9_S9_EESD_ST_SE_SF_SG_EUlST_E_NS1_11comp_targetILNS1_3genE5ELNS1_11target_archE942ELNS1_3gpuE9ELNS1_3repE0EEENS1_48merge_mergepath_partition_config_static_selectorELNS0_4arch9wavefront6targetE0EEEvSF_
	.p2align	8
	.type	_ZN7rocprim17ROCPRIM_400000_NS6detail17trampoline_kernelINS0_14default_configENS1_38merge_sort_block_merge_config_selectorIfNS0_10empty_typeEEEZZNS1_27merge_sort_block_merge_implIS3_PfPS5_jNS1_19radix_merge_compareILb1ELb0EfNS0_19identity_decomposerEEEEE10hipError_tT0_T1_T2_jT3_P12ihipStream_tbPNSt15iterator_traitsISE_E10value_typeEPNSK_ISF_E10value_typeEPSG_NS1_7vsmem_tEENKUlT_SE_SF_SG_E_clIS8_S8_S9_S9_EESD_ST_SE_SF_SG_EUlST_E_NS1_11comp_targetILNS1_3genE5ELNS1_11target_archE942ELNS1_3gpuE9ELNS1_3repE0EEENS1_48merge_mergepath_partition_config_static_selectorELNS0_4arch9wavefront6targetE0EEEvSF_,@function
_ZN7rocprim17ROCPRIM_400000_NS6detail17trampoline_kernelINS0_14default_configENS1_38merge_sort_block_merge_config_selectorIfNS0_10empty_typeEEEZZNS1_27merge_sort_block_merge_implIS3_PfPS5_jNS1_19radix_merge_compareILb1ELb0EfNS0_19identity_decomposerEEEEE10hipError_tT0_T1_T2_jT3_P12ihipStream_tbPNSt15iterator_traitsISE_E10value_typeEPNSK_ISF_E10value_typeEPSG_NS1_7vsmem_tEENKUlT_SE_SF_SG_E_clIS8_S8_S9_S9_EESD_ST_SE_SF_SG_EUlST_E_NS1_11comp_targetILNS1_3genE5ELNS1_11target_archE942ELNS1_3gpuE9ELNS1_3repE0EEENS1_48merge_mergepath_partition_config_static_selectorELNS0_4arch9wavefront6targetE0EEEvSF_: ; @_ZN7rocprim17ROCPRIM_400000_NS6detail17trampoline_kernelINS0_14default_configENS1_38merge_sort_block_merge_config_selectorIfNS0_10empty_typeEEEZZNS1_27merge_sort_block_merge_implIS3_PfPS5_jNS1_19radix_merge_compareILb1ELb0EfNS0_19identity_decomposerEEEEE10hipError_tT0_T1_T2_jT3_P12ihipStream_tbPNSt15iterator_traitsISE_E10value_typeEPNSK_ISF_E10value_typeEPSG_NS1_7vsmem_tEENKUlT_SE_SF_SG_E_clIS8_S8_S9_S9_EESD_ST_SE_SF_SG_EUlST_E_NS1_11comp_targetILNS1_3genE5ELNS1_11target_archE942ELNS1_3gpuE9ELNS1_3repE0EEENS1_48merge_mergepath_partition_config_static_selectorELNS0_4arch9wavefront6targetE0EEEvSF_
; %bb.0:
	.section	.rodata,"a",@progbits
	.p2align	6, 0x0
	.amdhsa_kernel _ZN7rocprim17ROCPRIM_400000_NS6detail17trampoline_kernelINS0_14default_configENS1_38merge_sort_block_merge_config_selectorIfNS0_10empty_typeEEEZZNS1_27merge_sort_block_merge_implIS3_PfPS5_jNS1_19radix_merge_compareILb1ELb0EfNS0_19identity_decomposerEEEEE10hipError_tT0_T1_T2_jT3_P12ihipStream_tbPNSt15iterator_traitsISE_E10value_typeEPNSK_ISF_E10value_typeEPSG_NS1_7vsmem_tEENKUlT_SE_SF_SG_E_clIS8_S8_S9_S9_EESD_ST_SE_SF_SG_EUlST_E_NS1_11comp_targetILNS1_3genE5ELNS1_11target_archE942ELNS1_3gpuE9ELNS1_3repE0EEENS1_48merge_mergepath_partition_config_static_selectorELNS0_4arch9wavefront6targetE0EEEvSF_
		.amdhsa_group_segment_fixed_size 0
		.amdhsa_private_segment_fixed_size 0
		.amdhsa_kernarg_size 40
		.amdhsa_user_sgpr_count 2
		.amdhsa_user_sgpr_dispatch_ptr 0
		.amdhsa_user_sgpr_queue_ptr 0
		.amdhsa_user_sgpr_kernarg_segment_ptr 1
		.amdhsa_user_sgpr_dispatch_id 0
		.amdhsa_user_sgpr_kernarg_preload_length 0
		.amdhsa_user_sgpr_kernarg_preload_offset 0
		.amdhsa_user_sgpr_private_segment_size 0
		.amdhsa_wavefront_size32 1
		.amdhsa_uses_dynamic_stack 0
		.amdhsa_enable_private_segment 0
		.amdhsa_system_sgpr_workgroup_id_x 1
		.amdhsa_system_sgpr_workgroup_id_y 0
		.amdhsa_system_sgpr_workgroup_id_z 0
		.amdhsa_system_sgpr_workgroup_info 0
		.amdhsa_system_vgpr_workitem_id 0
		.amdhsa_next_free_vgpr 1
		.amdhsa_next_free_sgpr 1
		.amdhsa_named_barrier_count 0
		.amdhsa_reserve_vcc 0
		.amdhsa_float_round_mode_32 0
		.amdhsa_float_round_mode_16_64 0
		.amdhsa_float_denorm_mode_32 3
		.amdhsa_float_denorm_mode_16_64 3
		.amdhsa_fp16_overflow 0
		.amdhsa_memory_ordered 1
		.amdhsa_forward_progress 1
		.amdhsa_inst_pref_size 0
		.amdhsa_round_robin_scheduling 0
		.amdhsa_exception_fp_ieee_invalid_op 0
		.amdhsa_exception_fp_denorm_src 0
		.amdhsa_exception_fp_ieee_div_zero 0
		.amdhsa_exception_fp_ieee_overflow 0
		.amdhsa_exception_fp_ieee_underflow 0
		.amdhsa_exception_fp_ieee_inexact 0
		.amdhsa_exception_int_div_zero 0
	.end_amdhsa_kernel
	.section	.text._ZN7rocprim17ROCPRIM_400000_NS6detail17trampoline_kernelINS0_14default_configENS1_38merge_sort_block_merge_config_selectorIfNS0_10empty_typeEEEZZNS1_27merge_sort_block_merge_implIS3_PfPS5_jNS1_19radix_merge_compareILb1ELb0EfNS0_19identity_decomposerEEEEE10hipError_tT0_T1_T2_jT3_P12ihipStream_tbPNSt15iterator_traitsISE_E10value_typeEPNSK_ISF_E10value_typeEPSG_NS1_7vsmem_tEENKUlT_SE_SF_SG_E_clIS8_S8_S9_S9_EESD_ST_SE_SF_SG_EUlST_E_NS1_11comp_targetILNS1_3genE5ELNS1_11target_archE942ELNS1_3gpuE9ELNS1_3repE0EEENS1_48merge_mergepath_partition_config_static_selectorELNS0_4arch9wavefront6targetE0EEEvSF_,"axG",@progbits,_ZN7rocprim17ROCPRIM_400000_NS6detail17trampoline_kernelINS0_14default_configENS1_38merge_sort_block_merge_config_selectorIfNS0_10empty_typeEEEZZNS1_27merge_sort_block_merge_implIS3_PfPS5_jNS1_19radix_merge_compareILb1ELb0EfNS0_19identity_decomposerEEEEE10hipError_tT0_T1_T2_jT3_P12ihipStream_tbPNSt15iterator_traitsISE_E10value_typeEPNSK_ISF_E10value_typeEPSG_NS1_7vsmem_tEENKUlT_SE_SF_SG_E_clIS8_S8_S9_S9_EESD_ST_SE_SF_SG_EUlST_E_NS1_11comp_targetILNS1_3genE5ELNS1_11target_archE942ELNS1_3gpuE9ELNS1_3repE0EEENS1_48merge_mergepath_partition_config_static_selectorELNS0_4arch9wavefront6targetE0EEEvSF_,comdat
.Lfunc_end1263:
	.size	_ZN7rocprim17ROCPRIM_400000_NS6detail17trampoline_kernelINS0_14default_configENS1_38merge_sort_block_merge_config_selectorIfNS0_10empty_typeEEEZZNS1_27merge_sort_block_merge_implIS3_PfPS5_jNS1_19radix_merge_compareILb1ELb0EfNS0_19identity_decomposerEEEEE10hipError_tT0_T1_T2_jT3_P12ihipStream_tbPNSt15iterator_traitsISE_E10value_typeEPNSK_ISF_E10value_typeEPSG_NS1_7vsmem_tEENKUlT_SE_SF_SG_E_clIS8_S8_S9_S9_EESD_ST_SE_SF_SG_EUlST_E_NS1_11comp_targetILNS1_3genE5ELNS1_11target_archE942ELNS1_3gpuE9ELNS1_3repE0EEENS1_48merge_mergepath_partition_config_static_selectorELNS0_4arch9wavefront6targetE0EEEvSF_, .Lfunc_end1263-_ZN7rocprim17ROCPRIM_400000_NS6detail17trampoline_kernelINS0_14default_configENS1_38merge_sort_block_merge_config_selectorIfNS0_10empty_typeEEEZZNS1_27merge_sort_block_merge_implIS3_PfPS5_jNS1_19radix_merge_compareILb1ELb0EfNS0_19identity_decomposerEEEEE10hipError_tT0_T1_T2_jT3_P12ihipStream_tbPNSt15iterator_traitsISE_E10value_typeEPNSK_ISF_E10value_typeEPSG_NS1_7vsmem_tEENKUlT_SE_SF_SG_E_clIS8_S8_S9_S9_EESD_ST_SE_SF_SG_EUlST_E_NS1_11comp_targetILNS1_3genE5ELNS1_11target_archE942ELNS1_3gpuE9ELNS1_3repE0EEENS1_48merge_mergepath_partition_config_static_selectorELNS0_4arch9wavefront6targetE0EEEvSF_
                                        ; -- End function
	.set _ZN7rocprim17ROCPRIM_400000_NS6detail17trampoline_kernelINS0_14default_configENS1_38merge_sort_block_merge_config_selectorIfNS0_10empty_typeEEEZZNS1_27merge_sort_block_merge_implIS3_PfPS5_jNS1_19radix_merge_compareILb1ELb0EfNS0_19identity_decomposerEEEEE10hipError_tT0_T1_T2_jT3_P12ihipStream_tbPNSt15iterator_traitsISE_E10value_typeEPNSK_ISF_E10value_typeEPSG_NS1_7vsmem_tEENKUlT_SE_SF_SG_E_clIS8_S8_S9_S9_EESD_ST_SE_SF_SG_EUlST_E_NS1_11comp_targetILNS1_3genE5ELNS1_11target_archE942ELNS1_3gpuE9ELNS1_3repE0EEENS1_48merge_mergepath_partition_config_static_selectorELNS0_4arch9wavefront6targetE0EEEvSF_.num_vgpr, 0
	.set _ZN7rocprim17ROCPRIM_400000_NS6detail17trampoline_kernelINS0_14default_configENS1_38merge_sort_block_merge_config_selectorIfNS0_10empty_typeEEEZZNS1_27merge_sort_block_merge_implIS3_PfPS5_jNS1_19radix_merge_compareILb1ELb0EfNS0_19identity_decomposerEEEEE10hipError_tT0_T1_T2_jT3_P12ihipStream_tbPNSt15iterator_traitsISE_E10value_typeEPNSK_ISF_E10value_typeEPSG_NS1_7vsmem_tEENKUlT_SE_SF_SG_E_clIS8_S8_S9_S9_EESD_ST_SE_SF_SG_EUlST_E_NS1_11comp_targetILNS1_3genE5ELNS1_11target_archE942ELNS1_3gpuE9ELNS1_3repE0EEENS1_48merge_mergepath_partition_config_static_selectorELNS0_4arch9wavefront6targetE0EEEvSF_.num_agpr, 0
	.set _ZN7rocprim17ROCPRIM_400000_NS6detail17trampoline_kernelINS0_14default_configENS1_38merge_sort_block_merge_config_selectorIfNS0_10empty_typeEEEZZNS1_27merge_sort_block_merge_implIS3_PfPS5_jNS1_19radix_merge_compareILb1ELb0EfNS0_19identity_decomposerEEEEE10hipError_tT0_T1_T2_jT3_P12ihipStream_tbPNSt15iterator_traitsISE_E10value_typeEPNSK_ISF_E10value_typeEPSG_NS1_7vsmem_tEENKUlT_SE_SF_SG_E_clIS8_S8_S9_S9_EESD_ST_SE_SF_SG_EUlST_E_NS1_11comp_targetILNS1_3genE5ELNS1_11target_archE942ELNS1_3gpuE9ELNS1_3repE0EEENS1_48merge_mergepath_partition_config_static_selectorELNS0_4arch9wavefront6targetE0EEEvSF_.numbered_sgpr, 0
	.set _ZN7rocprim17ROCPRIM_400000_NS6detail17trampoline_kernelINS0_14default_configENS1_38merge_sort_block_merge_config_selectorIfNS0_10empty_typeEEEZZNS1_27merge_sort_block_merge_implIS3_PfPS5_jNS1_19radix_merge_compareILb1ELb0EfNS0_19identity_decomposerEEEEE10hipError_tT0_T1_T2_jT3_P12ihipStream_tbPNSt15iterator_traitsISE_E10value_typeEPNSK_ISF_E10value_typeEPSG_NS1_7vsmem_tEENKUlT_SE_SF_SG_E_clIS8_S8_S9_S9_EESD_ST_SE_SF_SG_EUlST_E_NS1_11comp_targetILNS1_3genE5ELNS1_11target_archE942ELNS1_3gpuE9ELNS1_3repE0EEENS1_48merge_mergepath_partition_config_static_selectorELNS0_4arch9wavefront6targetE0EEEvSF_.num_named_barrier, 0
	.set _ZN7rocprim17ROCPRIM_400000_NS6detail17trampoline_kernelINS0_14default_configENS1_38merge_sort_block_merge_config_selectorIfNS0_10empty_typeEEEZZNS1_27merge_sort_block_merge_implIS3_PfPS5_jNS1_19radix_merge_compareILb1ELb0EfNS0_19identity_decomposerEEEEE10hipError_tT0_T1_T2_jT3_P12ihipStream_tbPNSt15iterator_traitsISE_E10value_typeEPNSK_ISF_E10value_typeEPSG_NS1_7vsmem_tEENKUlT_SE_SF_SG_E_clIS8_S8_S9_S9_EESD_ST_SE_SF_SG_EUlST_E_NS1_11comp_targetILNS1_3genE5ELNS1_11target_archE942ELNS1_3gpuE9ELNS1_3repE0EEENS1_48merge_mergepath_partition_config_static_selectorELNS0_4arch9wavefront6targetE0EEEvSF_.private_seg_size, 0
	.set _ZN7rocprim17ROCPRIM_400000_NS6detail17trampoline_kernelINS0_14default_configENS1_38merge_sort_block_merge_config_selectorIfNS0_10empty_typeEEEZZNS1_27merge_sort_block_merge_implIS3_PfPS5_jNS1_19radix_merge_compareILb1ELb0EfNS0_19identity_decomposerEEEEE10hipError_tT0_T1_T2_jT3_P12ihipStream_tbPNSt15iterator_traitsISE_E10value_typeEPNSK_ISF_E10value_typeEPSG_NS1_7vsmem_tEENKUlT_SE_SF_SG_E_clIS8_S8_S9_S9_EESD_ST_SE_SF_SG_EUlST_E_NS1_11comp_targetILNS1_3genE5ELNS1_11target_archE942ELNS1_3gpuE9ELNS1_3repE0EEENS1_48merge_mergepath_partition_config_static_selectorELNS0_4arch9wavefront6targetE0EEEvSF_.uses_vcc, 0
	.set _ZN7rocprim17ROCPRIM_400000_NS6detail17trampoline_kernelINS0_14default_configENS1_38merge_sort_block_merge_config_selectorIfNS0_10empty_typeEEEZZNS1_27merge_sort_block_merge_implIS3_PfPS5_jNS1_19radix_merge_compareILb1ELb0EfNS0_19identity_decomposerEEEEE10hipError_tT0_T1_T2_jT3_P12ihipStream_tbPNSt15iterator_traitsISE_E10value_typeEPNSK_ISF_E10value_typeEPSG_NS1_7vsmem_tEENKUlT_SE_SF_SG_E_clIS8_S8_S9_S9_EESD_ST_SE_SF_SG_EUlST_E_NS1_11comp_targetILNS1_3genE5ELNS1_11target_archE942ELNS1_3gpuE9ELNS1_3repE0EEENS1_48merge_mergepath_partition_config_static_selectorELNS0_4arch9wavefront6targetE0EEEvSF_.uses_flat_scratch, 0
	.set _ZN7rocprim17ROCPRIM_400000_NS6detail17trampoline_kernelINS0_14default_configENS1_38merge_sort_block_merge_config_selectorIfNS0_10empty_typeEEEZZNS1_27merge_sort_block_merge_implIS3_PfPS5_jNS1_19radix_merge_compareILb1ELb0EfNS0_19identity_decomposerEEEEE10hipError_tT0_T1_T2_jT3_P12ihipStream_tbPNSt15iterator_traitsISE_E10value_typeEPNSK_ISF_E10value_typeEPSG_NS1_7vsmem_tEENKUlT_SE_SF_SG_E_clIS8_S8_S9_S9_EESD_ST_SE_SF_SG_EUlST_E_NS1_11comp_targetILNS1_3genE5ELNS1_11target_archE942ELNS1_3gpuE9ELNS1_3repE0EEENS1_48merge_mergepath_partition_config_static_selectorELNS0_4arch9wavefront6targetE0EEEvSF_.has_dyn_sized_stack, 0
	.set _ZN7rocprim17ROCPRIM_400000_NS6detail17trampoline_kernelINS0_14default_configENS1_38merge_sort_block_merge_config_selectorIfNS0_10empty_typeEEEZZNS1_27merge_sort_block_merge_implIS3_PfPS5_jNS1_19radix_merge_compareILb1ELb0EfNS0_19identity_decomposerEEEEE10hipError_tT0_T1_T2_jT3_P12ihipStream_tbPNSt15iterator_traitsISE_E10value_typeEPNSK_ISF_E10value_typeEPSG_NS1_7vsmem_tEENKUlT_SE_SF_SG_E_clIS8_S8_S9_S9_EESD_ST_SE_SF_SG_EUlST_E_NS1_11comp_targetILNS1_3genE5ELNS1_11target_archE942ELNS1_3gpuE9ELNS1_3repE0EEENS1_48merge_mergepath_partition_config_static_selectorELNS0_4arch9wavefront6targetE0EEEvSF_.has_recursion, 0
	.set _ZN7rocprim17ROCPRIM_400000_NS6detail17trampoline_kernelINS0_14default_configENS1_38merge_sort_block_merge_config_selectorIfNS0_10empty_typeEEEZZNS1_27merge_sort_block_merge_implIS3_PfPS5_jNS1_19radix_merge_compareILb1ELb0EfNS0_19identity_decomposerEEEEE10hipError_tT0_T1_T2_jT3_P12ihipStream_tbPNSt15iterator_traitsISE_E10value_typeEPNSK_ISF_E10value_typeEPSG_NS1_7vsmem_tEENKUlT_SE_SF_SG_E_clIS8_S8_S9_S9_EESD_ST_SE_SF_SG_EUlST_E_NS1_11comp_targetILNS1_3genE5ELNS1_11target_archE942ELNS1_3gpuE9ELNS1_3repE0EEENS1_48merge_mergepath_partition_config_static_selectorELNS0_4arch9wavefront6targetE0EEEvSF_.has_indirect_call, 0
	.section	.AMDGPU.csdata,"",@progbits
; Kernel info:
; codeLenInByte = 0
; TotalNumSgprs: 0
; NumVgprs: 0
; ScratchSize: 0
; MemoryBound: 0
; FloatMode: 240
; IeeeMode: 1
; LDSByteSize: 0 bytes/workgroup (compile time only)
; SGPRBlocks: 0
; VGPRBlocks: 0
; NumSGPRsForWavesPerEU: 1
; NumVGPRsForWavesPerEU: 1
; NamedBarCnt: 0
; Occupancy: 16
; WaveLimiterHint : 0
; COMPUTE_PGM_RSRC2:SCRATCH_EN: 0
; COMPUTE_PGM_RSRC2:USER_SGPR: 2
; COMPUTE_PGM_RSRC2:TRAP_HANDLER: 0
; COMPUTE_PGM_RSRC2:TGID_X_EN: 1
; COMPUTE_PGM_RSRC2:TGID_Y_EN: 0
; COMPUTE_PGM_RSRC2:TGID_Z_EN: 0
; COMPUTE_PGM_RSRC2:TIDIG_COMP_CNT: 0
	.section	.text._ZN7rocprim17ROCPRIM_400000_NS6detail17trampoline_kernelINS0_14default_configENS1_38merge_sort_block_merge_config_selectorIfNS0_10empty_typeEEEZZNS1_27merge_sort_block_merge_implIS3_PfPS5_jNS1_19radix_merge_compareILb1ELb0EfNS0_19identity_decomposerEEEEE10hipError_tT0_T1_T2_jT3_P12ihipStream_tbPNSt15iterator_traitsISE_E10value_typeEPNSK_ISF_E10value_typeEPSG_NS1_7vsmem_tEENKUlT_SE_SF_SG_E_clIS8_S8_S9_S9_EESD_ST_SE_SF_SG_EUlST_E_NS1_11comp_targetILNS1_3genE4ELNS1_11target_archE910ELNS1_3gpuE8ELNS1_3repE0EEENS1_48merge_mergepath_partition_config_static_selectorELNS0_4arch9wavefront6targetE0EEEvSF_,"axG",@progbits,_ZN7rocprim17ROCPRIM_400000_NS6detail17trampoline_kernelINS0_14default_configENS1_38merge_sort_block_merge_config_selectorIfNS0_10empty_typeEEEZZNS1_27merge_sort_block_merge_implIS3_PfPS5_jNS1_19radix_merge_compareILb1ELb0EfNS0_19identity_decomposerEEEEE10hipError_tT0_T1_T2_jT3_P12ihipStream_tbPNSt15iterator_traitsISE_E10value_typeEPNSK_ISF_E10value_typeEPSG_NS1_7vsmem_tEENKUlT_SE_SF_SG_E_clIS8_S8_S9_S9_EESD_ST_SE_SF_SG_EUlST_E_NS1_11comp_targetILNS1_3genE4ELNS1_11target_archE910ELNS1_3gpuE8ELNS1_3repE0EEENS1_48merge_mergepath_partition_config_static_selectorELNS0_4arch9wavefront6targetE0EEEvSF_,comdat
	.protected	_ZN7rocprim17ROCPRIM_400000_NS6detail17trampoline_kernelINS0_14default_configENS1_38merge_sort_block_merge_config_selectorIfNS0_10empty_typeEEEZZNS1_27merge_sort_block_merge_implIS3_PfPS5_jNS1_19radix_merge_compareILb1ELb0EfNS0_19identity_decomposerEEEEE10hipError_tT0_T1_T2_jT3_P12ihipStream_tbPNSt15iterator_traitsISE_E10value_typeEPNSK_ISF_E10value_typeEPSG_NS1_7vsmem_tEENKUlT_SE_SF_SG_E_clIS8_S8_S9_S9_EESD_ST_SE_SF_SG_EUlST_E_NS1_11comp_targetILNS1_3genE4ELNS1_11target_archE910ELNS1_3gpuE8ELNS1_3repE0EEENS1_48merge_mergepath_partition_config_static_selectorELNS0_4arch9wavefront6targetE0EEEvSF_ ; -- Begin function _ZN7rocprim17ROCPRIM_400000_NS6detail17trampoline_kernelINS0_14default_configENS1_38merge_sort_block_merge_config_selectorIfNS0_10empty_typeEEEZZNS1_27merge_sort_block_merge_implIS3_PfPS5_jNS1_19radix_merge_compareILb1ELb0EfNS0_19identity_decomposerEEEEE10hipError_tT0_T1_T2_jT3_P12ihipStream_tbPNSt15iterator_traitsISE_E10value_typeEPNSK_ISF_E10value_typeEPSG_NS1_7vsmem_tEENKUlT_SE_SF_SG_E_clIS8_S8_S9_S9_EESD_ST_SE_SF_SG_EUlST_E_NS1_11comp_targetILNS1_3genE4ELNS1_11target_archE910ELNS1_3gpuE8ELNS1_3repE0EEENS1_48merge_mergepath_partition_config_static_selectorELNS0_4arch9wavefront6targetE0EEEvSF_
	.globl	_ZN7rocprim17ROCPRIM_400000_NS6detail17trampoline_kernelINS0_14default_configENS1_38merge_sort_block_merge_config_selectorIfNS0_10empty_typeEEEZZNS1_27merge_sort_block_merge_implIS3_PfPS5_jNS1_19radix_merge_compareILb1ELb0EfNS0_19identity_decomposerEEEEE10hipError_tT0_T1_T2_jT3_P12ihipStream_tbPNSt15iterator_traitsISE_E10value_typeEPNSK_ISF_E10value_typeEPSG_NS1_7vsmem_tEENKUlT_SE_SF_SG_E_clIS8_S8_S9_S9_EESD_ST_SE_SF_SG_EUlST_E_NS1_11comp_targetILNS1_3genE4ELNS1_11target_archE910ELNS1_3gpuE8ELNS1_3repE0EEENS1_48merge_mergepath_partition_config_static_selectorELNS0_4arch9wavefront6targetE0EEEvSF_
	.p2align	8
	.type	_ZN7rocprim17ROCPRIM_400000_NS6detail17trampoline_kernelINS0_14default_configENS1_38merge_sort_block_merge_config_selectorIfNS0_10empty_typeEEEZZNS1_27merge_sort_block_merge_implIS3_PfPS5_jNS1_19radix_merge_compareILb1ELb0EfNS0_19identity_decomposerEEEEE10hipError_tT0_T1_T2_jT3_P12ihipStream_tbPNSt15iterator_traitsISE_E10value_typeEPNSK_ISF_E10value_typeEPSG_NS1_7vsmem_tEENKUlT_SE_SF_SG_E_clIS8_S8_S9_S9_EESD_ST_SE_SF_SG_EUlST_E_NS1_11comp_targetILNS1_3genE4ELNS1_11target_archE910ELNS1_3gpuE8ELNS1_3repE0EEENS1_48merge_mergepath_partition_config_static_selectorELNS0_4arch9wavefront6targetE0EEEvSF_,@function
_ZN7rocprim17ROCPRIM_400000_NS6detail17trampoline_kernelINS0_14default_configENS1_38merge_sort_block_merge_config_selectorIfNS0_10empty_typeEEEZZNS1_27merge_sort_block_merge_implIS3_PfPS5_jNS1_19radix_merge_compareILb1ELb0EfNS0_19identity_decomposerEEEEE10hipError_tT0_T1_T2_jT3_P12ihipStream_tbPNSt15iterator_traitsISE_E10value_typeEPNSK_ISF_E10value_typeEPSG_NS1_7vsmem_tEENKUlT_SE_SF_SG_E_clIS8_S8_S9_S9_EESD_ST_SE_SF_SG_EUlST_E_NS1_11comp_targetILNS1_3genE4ELNS1_11target_archE910ELNS1_3gpuE8ELNS1_3repE0EEENS1_48merge_mergepath_partition_config_static_selectorELNS0_4arch9wavefront6targetE0EEEvSF_: ; @_ZN7rocprim17ROCPRIM_400000_NS6detail17trampoline_kernelINS0_14default_configENS1_38merge_sort_block_merge_config_selectorIfNS0_10empty_typeEEEZZNS1_27merge_sort_block_merge_implIS3_PfPS5_jNS1_19radix_merge_compareILb1ELb0EfNS0_19identity_decomposerEEEEE10hipError_tT0_T1_T2_jT3_P12ihipStream_tbPNSt15iterator_traitsISE_E10value_typeEPNSK_ISF_E10value_typeEPSG_NS1_7vsmem_tEENKUlT_SE_SF_SG_E_clIS8_S8_S9_S9_EESD_ST_SE_SF_SG_EUlST_E_NS1_11comp_targetILNS1_3genE4ELNS1_11target_archE910ELNS1_3gpuE8ELNS1_3repE0EEENS1_48merge_mergepath_partition_config_static_selectorELNS0_4arch9wavefront6targetE0EEEvSF_
; %bb.0:
	.section	.rodata,"a",@progbits
	.p2align	6, 0x0
	.amdhsa_kernel _ZN7rocprim17ROCPRIM_400000_NS6detail17trampoline_kernelINS0_14default_configENS1_38merge_sort_block_merge_config_selectorIfNS0_10empty_typeEEEZZNS1_27merge_sort_block_merge_implIS3_PfPS5_jNS1_19radix_merge_compareILb1ELb0EfNS0_19identity_decomposerEEEEE10hipError_tT0_T1_T2_jT3_P12ihipStream_tbPNSt15iterator_traitsISE_E10value_typeEPNSK_ISF_E10value_typeEPSG_NS1_7vsmem_tEENKUlT_SE_SF_SG_E_clIS8_S8_S9_S9_EESD_ST_SE_SF_SG_EUlST_E_NS1_11comp_targetILNS1_3genE4ELNS1_11target_archE910ELNS1_3gpuE8ELNS1_3repE0EEENS1_48merge_mergepath_partition_config_static_selectorELNS0_4arch9wavefront6targetE0EEEvSF_
		.amdhsa_group_segment_fixed_size 0
		.amdhsa_private_segment_fixed_size 0
		.amdhsa_kernarg_size 40
		.amdhsa_user_sgpr_count 2
		.amdhsa_user_sgpr_dispatch_ptr 0
		.amdhsa_user_sgpr_queue_ptr 0
		.amdhsa_user_sgpr_kernarg_segment_ptr 1
		.amdhsa_user_sgpr_dispatch_id 0
		.amdhsa_user_sgpr_kernarg_preload_length 0
		.amdhsa_user_sgpr_kernarg_preload_offset 0
		.amdhsa_user_sgpr_private_segment_size 0
		.amdhsa_wavefront_size32 1
		.amdhsa_uses_dynamic_stack 0
		.amdhsa_enable_private_segment 0
		.amdhsa_system_sgpr_workgroup_id_x 1
		.amdhsa_system_sgpr_workgroup_id_y 0
		.amdhsa_system_sgpr_workgroup_id_z 0
		.amdhsa_system_sgpr_workgroup_info 0
		.amdhsa_system_vgpr_workitem_id 0
		.amdhsa_next_free_vgpr 1
		.amdhsa_next_free_sgpr 1
		.amdhsa_named_barrier_count 0
		.amdhsa_reserve_vcc 0
		.amdhsa_float_round_mode_32 0
		.amdhsa_float_round_mode_16_64 0
		.amdhsa_float_denorm_mode_32 3
		.amdhsa_float_denorm_mode_16_64 3
		.amdhsa_fp16_overflow 0
		.amdhsa_memory_ordered 1
		.amdhsa_forward_progress 1
		.amdhsa_inst_pref_size 0
		.amdhsa_round_robin_scheduling 0
		.amdhsa_exception_fp_ieee_invalid_op 0
		.amdhsa_exception_fp_denorm_src 0
		.amdhsa_exception_fp_ieee_div_zero 0
		.amdhsa_exception_fp_ieee_overflow 0
		.amdhsa_exception_fp_ieee_underflow 0
		.amdhsa_exception_fp_ieee_inexact 0
		.amdhsa_exception_int_div_zero 0
	.end_amdhsa_kernel
	.section	.text._ZN7rocprim17ROCPRIM_400000_NS6detail17trampoline_kernelINS0_14default_configENS1_38merge_sort_block_merge_config_selectorIfNS0_10empty_typeEEEZZNS1_27merge_sort_block_merge_implIS3_PfPS5_jNS1_19radix_merge_compareILb1ELb0EfNS0_19identity_decomposerEEEEE10hipError_tT0_T1_T2_jT3_P12ihipStream_tbPNSt15iterator_traitsISE_E10value_typeEPNSK_ISF_E10value_typeEPSG_NS1_7vsmem_tEENKUlT_SE_SF_SG_E_clIS8_S8_S9_S9_EESD_ST_SE_SF_SG_EUlST_E_NS1_11comp_targetILNS1_3genE4ELNS1_11target_archE910ELNS1_3gpuE8ELNS1_3repE0EEENS1_48merge_mergepath_partition_config_static_selectorELNS0_4arch9wavefront6targetE0EEEvSF_,"axG",@progbits,_ZN7rocprim17ROCPRIM_400000_NS6detail17trampoline_kernelINS0_14default_configENS1_38merge_sort_block_merge_config_selectorIfNS0_10empty_typeEEEZZNS1_27merge_sort_block_merge_implIS3_PfPS5_jNS1_19radix_merge_compareILb1ELb0EfNS0_19identity_decomposerEEEEE10hipError_tT0_T1_T2_jT3_P12ihipStream_tbPNSt15iterator_traitsISE_E10value_typeEPNSK_ISF_E10value_typeEPSG_NS1_7vsmem_tEENKUlT_SE_SF_SG_E_clIS8_S8_S9_S9_EESD_ST_SE_SF_SG_EUlST_E_NS1_11comp_targetILNS1_3genE4ELNS1_11target_archE910ELNS1_3gpuE8ELNS1_3repE0EEENS1_48merge_mergepath_partition_config_static_selectorELNS0_4arch9wavefront6targetE0EEEvSF_,comdat
.Lfunc_end1264:
	.size	_ZN7rocprim17ROCPRIM_400000_NS6detail17trampoline_kernelINS0_14default_configENS1_38merge_sort_block_merge_config_selectorIfNS0_10empty_typeEEEZZNS1_27merge_sort_block_merge_implIS3_PfPS5_jNS1_19radix_merge_compareILb1ELb0EfNS0_19identity_decomposerEEEEE10hipError_tT0_T1_T2_jT3_P12ihipStream_tbPNSt15iterator_traitsISE_E10value_typeEPNSK_ISF_E10value_typeEPSG_NS1_7vsmem_tEENKUlT_SE_SF_SG_E_clIS8_S8_S9_S9_EESD_ST_SE_SF_SG_EUlST_E_NS1_11comp_targetILNS1_3genE4ELNS1_11target_archE910ELNS1_3gpuE8ELNS1_3repE0EEENS1_48merge_mergepath_partition_config_static_selectorELNS0_4arch9wavefront6targetE0EEEvSF_, .Lfunc_end1264-_ZN7rocprim17ROCPRIM_400000_NS6detail17trampoline_kernelINS0_14default_configENS1_38merge_sort_block_merge_config_selectorIfNS0_10empty_typeEEEZZNS1_27merge_sort_block_merge_implIS3_PfPS5_jNS1_19radix_merge_compareILb1ELb0EfNS0_19identity_decomposerEEEEE10hipError_tT0_T1_T2_jT3_P12ihipStream_tbPNSt15iterator_traitsISE_E10value_typeEPNSK_ISF_E10value_typeEPSG_NS1_7vsmem_tEENKUlT_SE_SF_SG_E_clIS8_S8_S9_S9_EESD_ST_SE_SF_SG_EUlST_E_NS1_11comp_targetILNS1_3genE4ELNS1_11target_archE910ELNS1_3gpuE8ELNS1_3repE0EEENS1_48merge_mergepath_partition_config_static_selectorELNS0_4arch9wavefront6targetE0EEEvSF_
                                        ; -- End function
	.set _ZN7rocprim17ROCPRIM_400000_NS6detail17trampoline_kernelINS0_14default_configENS1_38merge_sort_block_merge_config_selectorIfNS0_10empty_typeEEEZZNS1_27merge_sort_block_merge_implIS3_PfPS5_jNS1_19radix_merge_compareILb1ELb0EfNS0_19identity_decomposerEEEEE10hipError_tT0_T1_T2_jT3_P12ihipStream_tbPNSt15iterator_traitsISE_E10value_typeEPNSK_ISF_E10value_typeEPSG_NS1_7vsmem_tEENKUlT_SE_SF_SG_E_clIS8_S8_S9_S9_EESD_ST_SE_SF_SG_EUlST_E_NS1_11comp_targetILNS1_3genE4ELNS1_11target_archE910ELNS1_3gpuE8ELNS1_3repE0EEENS1_48merge_mergepath_partition_config_static_selectorELNS0_4arch9wavefront6targetE0EEEvSF_.num_vgpr, 0
	.set _ZN7rocprim17ROCPRIM_400000_NS6detail17trampoline_kernelINS0_14default_configENS1_38merge_sort_block_merge_config_selectorIfNS0_10empty_typeEEEZZNS1_27merge_sort_block_merge_implIS3_PfPS5_jNS1_19radix_merge_compareILb1ELb0EfNS0_19identity_decomposerEEEEE10hipError_tT0_T1_T2_jT3_P12ihipStream_tbPNSt15iterator_traitsISE_E10value_typeEPNSK_ISF_E10value_typeEPSG_NS1_7vsmem_tEENKUlT_SE_SF_SG_E_clIS8_S8_S9_S9_EESD_ST_SE_SF_SG_EUlST_E_NS1_11comp_targetILNS1_3genE4ELNS1_11target_archE910ELNS1_3gpuE8ELNS1_3repE0EEENS1_48merge_mergepath_partition_config_static_selectorELNS0_4arch9wavefront6targetE0EEEvSF_.num_agpr, 0
	.set _ZN7rocprim17ROCPRIM_400000_NS6detail17trampoline_kernelINS0_14default_configENS1_38merge_sort_block_merge_config_selectorIfNS0_10empty_typeEEEZZNS1_27merge_sort_block_merge_implIS3_PfPS5_jNS1_19radix_merge_compareILb1ELb0EfNS0_19identity_decomposerEEEEE10hipError_tT0_T1_T2_jT3_P12ihipStream_tbPNSt15iterator_traitsISE_E10value_typeEPNSK_ISF_E10value_typeEPSG_NS1_7vsmem_tEENKUlT_SE_SF_SG_E_clIS8_S8_S9_S9_EESD_ST_SE_SF_SG_EUlST_E_NS1_11comp_targetILNS1_3genE4ELNS1_11target_archE910ELNS1_3gpuE8ELNS1_3repE0EEENS1_48merge_mergepath_partition_config_static_selectorELNS0_4arch9wavefront6targetE0EEEvSF_.numbered_sgpr, 0
	.set _ZN7rocprim17ROCPRIM_400000_NS6detail17trampoline_kernelINS0_14default_configENS1_38merge_sort_block_merge_config_selectorIfNS0_10empty_typeEEEZZNS1_27merge_sort_block_merge_implIS3_PfPS5_jNS1_19radix_merge_compareILb1ELb0EfNS0_19identity_decomposerEEEEE10hipError_tT0_T1_T2_jT3_P12ihipStream_tbPNSt15iterator_traitsISE_E10value_typeEPNSK_ISF_E10value_typeEPSG_NS1_7vsmem_tEENKUlT_SE_SF_SG_E_clIS8_S8_S9_S9_EESD_ST_SE_SF_SG_EUlST_E_NS1_11comp_targetILNS1_3genE4ELNS1_11target_archE910ELNS1_3gpuE8ELNS1_3repE0EEENS1_48merge_mergepath_partition_config_static_selectorELNS0_4arch9wavefront6targetE0EEEvSF_.num_named_barrier, 0
	.set _ZN7rocprim17ROCPRIM_400000_NS6detail17trampoline_kernelINS0_14default_configENS1_38merge_sort_block_merge_config_selectorIfNS0_10empty_typeEEEZZNS1_27merge_sort_block_merge_implIS3_PfPS5_jNS1_19radix_merge_compareILb1ELb0EfNS0_19identity_decomposerEEEEE10hipError_tT0_T1_T2_jT3_P12ihipStream_tbPNSt15iterator_traitsISE_E10value_typeEPNSK_ISF_E10value_typeEPSG_NS1_7vsmem_tEENKUlT_SE_SF_SG_E_clIS8_S8_S9_S9_EESD_ST_SE_SF_SG_EUlST_E_NS1_11comp_targetILNS1_3genE4ELNS1_11target_archE910ELNS1_3gpuE8ELNS1_3repE0EEENS1_48merge_mergepath_partition_config_static_selectorELNS0_4arch9wavefront6targetE0EEEvSF_.private_seg_size, 0
	.set _ZN7rocprim17ROCPRIM_400000_NS6detail17trampoline_kernelINS0_14default_configENS1_38merge_sort_block_merge_config_selectorIfNS0_10empty_typeEEEZZNS1_27merge_sort_block_merge_implIS3_PfPS5_jNS1_19radix_merge_compareILb1ELb0EfNS0_19identity_decomposerEEEEE10hipError_tT0_T1_T2_jT3_P12ihipStream_tbPNSt15iterator_traitsISE_E10value_typeEPNSK_ISF_E10value_typeEPSG_NS1_7vsmem_tEENKUlT_SE_SF_SG_E_clIS8_S8_S9_S9_EESD_ST_SE_SF_SG_EUlST_E_NS1_11comp_targetILNS1_3genE4ELNS1_11target_archE910ELNS1_3gpuE8ELNS1_3repE0EEENS1_48merge_mergepath_partition_config_static_selectorELNS0_4arch9wavefront6targetE0EEEvSF_.uses_vcc, 0
	.set _ZN7rocprim17ROCPRIM_400000_NS6detail17trampoline_kernelINS0_14default_configENS1_38merge_sort_block_merge_config_selectorIfNS0_10empty_typeEEEZZNS1_27merge_sort_block_merge_implIS3_PfPS5_jNS1_19radix_merge_compareILb1ELb0EfNS0_19identity_decomposerEEEEE10hipError_tT0_T1_T2_jT3_P12ihipStream_tbPNSt15iterator_traitsISE_E10value_typeEPNSK_ISF_E10value_typeEPSG_NS1_7vsmem_tEENKUlT_SE_SF_SG_E_clIS8_S8_S9_S9_EESD_ST_SE_SF_SG_EUlST_E_NS1_11comp_targetILNS1_3genE4ELNS1_11target_archE910ELNS1_3gpuE8ELNS1_3repE0EEENS1_48merge_mergepath_partition_config_static_selectorELNS0_4arch9wavefront6targetE0EEEvSF_.uses_flat_scratch, 0
	.set _ZN7rocprim17ROCPRIM_400000_NS6detail17trampoline_kernelINS0_14default_configENS1_38merge_sort_block_merge_config_selectorIfNS0_10empty_typeEEEZZNS1_27merge_sort_block_merge_implIS3_PfPS5_jNS1_19radix_merge_compareILb1ELb0EfNS0_19identity_decomposerEEEEE10hipError_tT0_T1_T2_jT3_P12ihipStream_tbPNSt15iterator_traitsISE_E10value_typeEPNSK_ISF_E10value_typeEPSG_NS1_7vsmem_tEENKUlT_SE_SF_SG_E_clIS8_S8_S9_S9_EESD_ST_SE_SF_SG_EUlST_E_NS1_11comp_targetILNS1_3genE4ELNS1_11target_archE910ELNS1_3gpuE8ELNS1_3repE0EEENS1_48merge_mergepath_partition_config_static_selectorELNS0_4arch9wavefront6targetE0EEEvSF_.has_dyn_sized_stack, 0
	.set _ZN7rocprim17ROCPRIM_400000_NS6detail17trampoline_kernelINS0_14default_configENS1_38merge_sort_block_merge_config_selectorIfNS0_10empty_typeEEEZZNS1_27merge_sort_block_merge_implIS3_PfPS5_jNS1_19radix_merge_compareILb1ELb0EfNS0_19identity_decomposerEEEEE10hipError_tT0_T1_T2_jT3_P12ihipStream_tbPNSt15iterator_traitsISE_E10value_typeEPNSK_ISF_E10value_typeEPSG_NS1_7vsmem_tEENKUlT_SE_SF_SG_E_clIS8_S8_S9_S9_EESD_ST_SE_SF_SG_EUlST_E_NS1_11comp_targetILNS1_3genE4ELNS1_11target_archE910ELNS1_3gpuE8ELNS1_3repE0EEENS1_48merge_mergepath_partition_config_static_selectorELNS0_4arch9wavefront6targetE0EEEvSF_.has_recursion, 0
	.set _ZN7rocprim17ROCPRIM_400000_NS6detail17trampoline_kernelINS0_14default_configENS1_38merge_sort_block_merge_config_selectorIfNS0_10empty_typeEEEZZNS1_27merge_sort_block_merge_implIS3_PfPS5_jNS1_19radix_merge_compareILb1ELb0EfNS0_19identity_decomposerEEEEE10hipError_tT0_T1_T2_jT3_P12ihipStream_tbPNSt15iterator_traitsISE_E10value_typeEPNSK_ISF_E10value_typeEPSG_NS1_7vsmem_tEENKUlT_SE_SF_SG_E_clIS8_S8_S9_S9_EESD_ST_SE_SF_SG_EUlST_E_NS1_11comp_targetILNS1_3genE4ELNS1_11target_archE910ELNS1_3gpuE8ELNS1_3repE0EEENS1_48merge_mergepath_partition_config_static_selectorELNS0_4arch9wavefront6targetE0EEEvSF_.has_indirect_call, 0
	.section	.AMDGPU.csdata,"",@progbits
; Kernel info:
; codeLenInByte = 0
; TotalNumSgprs: 0
; NumVgprs: 0
; ScratchSize: 0
; MemoryBound: 0
; FloatMode: 240
; IeeeMode: 1
; LDSByteSize: 0 bytes/workgroup (compile time only)
; SGPRBlocks: 0
; VGPRBlocks: 0
; NumSGPRsForWavesPerEU: 1
; NumVGPRsForWavesPerEU: 1
; NamedBarCnt: 0
; Occupancy: 16
; WaveLimiterHint : 0
; COMPUTE_PGM_RSRC2:SCRATCH_EN: 0
; COMPUTE_PGM_RSRC2:USER_SGPR: 2
; COMPUTE_PGM_RSRC2:TRAP_HANDLER: 0
; COMPUTE_PGM_RSRC2:TGID_X_EN: 1
; COMPUTE_PGM_RSRC2:TGID_Y_EN: 0
; COMPUTE_PGM_RSRC2:TGID_Z_EN: 0
; COMPUTE_PGM_RSRC2:TIDIG_COMP_CNT: 0
	.section	.text._ZN7rocprim17ROCPRIM_400000_NS6detail17trampoline_kernelINS0_14default_configENS1_38merge_sort_block_merge_config_selectorIfNS0_10empty_typeEEEZZNS1_27merge_sort_block_merge_implIS3_PfPS5_jNS1_19radix_merge_compareILb1ELb0EfNS0_19identity_decomposerEEEEE10hipError_tT0_T1_T2_jT3_P12ihipStream_tbPNSt15iterator_traitsISE_E10value_typeEPNSK_ISF_E10value_typeEPSG_NS1_7vsmem_tEENKUlT_SE_SF_SG_E_clIS8_S8_S9_S9_EESD_ST_SE_SF_SG_EUlST_E_NS1_11comp_targetILNS1_3genE3ELNS1_11target_archE908ELNS1_3gpuE7ELNS1_3repE0EEENS1_48merge_mergepath_partition_config_static_selectorELNS0_4arch9wavefront6targetE0EEEvSF_,"axG",@progbits,_ZN7rocprim17ROCPRIM_400000_NS6detail17trampoline_kernelINS0_14default_configENS1_38merge_sort_block_merge_config_selectorIfNS0_10empty_typeEEEZZNS1_27merge_sort_block_merge_implIS3_PfPS5_jNS1_19radix_merge_compareILb1ELb0EfNS0_19identity_decomposerEEEEE10hipError_tT0_T1_T2_jT3_P12ihipStream_tbPNSt15iterator_traitsISE_E10value_typeEPNSK_ISF_E10value_typeEPSG_NS1_7vsmem_tEENKUlT_SE_SF_SG_E_clIS8_S8_S9_S9_EESD_ST_SE_SF_SG_EUlST_E_NS1_11comp_targetILNS1_3genE3ELNS1_11target_archE908ELNS1_3gpuE7ELNS1_3repE0EEENS1_48merge_mergepath_partition_config_static_selectorELNS0_4arch9wavefront6targetE0EEEvSF_,comdat
	.protected	_ZN7rocprim17ROCPRIM_400000_NS6detail17trampoline_kernelINS0_14default_configENS1_38merge_sort_block_merge_config_selectorIfNS0_10empty_typeEEEZZNS1_27merge_sort_block_merge_implIS3_PfPS5_jNS1_19radix_merge_compareILb1ELb0EfNS0_19identity_decomposerEEEEE10hipError_tT0_T1_T2_jT3_P12ihipStream_tbPNSt15iterator_traitsISE_E10value_typeEPNSK_ISF_E10value_typeEPSG_NS1_7vsmem_tEENKUlT_SE_SF_SG_E_clIS8_S8_S9_S9_EESD_ST_SE_SF_SG_EUlST_E_NS1_11comp_targetILNS1_3genE3ELNS1_11target_archE908ELNS1_3gpuE7ELNS1_3repE0EEENS1_48merge_mergepath_partition_config_static_selectorELNS0_4arch9wavefront6targetE0EEEvSF_ ; -- Begin function _ZN7rocprim17ROCPRIM_400000_NS6detail17trampoline_kernelINS0_14default_configENS1_38merge_sort_block_merge_config_selectorIfNS0_10empty_typeEEEZZNS1_27merge_sort_block_merge_implIS3_PfPS5_jNS1_19radix_merge_compareILb1ELb0EfNS0_19identity_decomposerEEEEE10hipError_tT0_T1_T2_jT3_P12ihipStream_tbPNSt15iterator_traitsISE_E10value_typeEPNSK_ISF_E10value_typeEPSG_NS1_7vsmem_tEENKUlT_SE_SF_SG_E_clIS8_S8_S9_S9_EESD_ST_SE_SF_SG_EUlST_E_NS1_11comp_targetILNS1_3genE3ELNS1_11target_archE908ELNS1_3gpuE7ELNS1_3repE0EEENS1_48merge_mergepath_partition_config_static_selectorELNS0_4arch9wavefront6targetE0EEEvSF_
	.globl	_ZN7rocprim17ROCPRIM_400000_NS6detail17trampoline_kernelINS0_14default_configENS1_38merge_sort_block_merge_config_selectorIfNS0_10empty_typeEEEZZNS1_27merge_sort_block_merge_implIS3_PfPS5_jNS1_19radix_merge_compareILb1ELb0EfNS0_19identity_decomposerEEEEE10hipError_tT0_T1_T2_jT3_P12ihipStream_tbPNSt15iterator_traitsISE_E10value_typeEPNSK_ISF_E10value_typeEPSG_NS1_7vsmem_tEENKUlT_SE_SF_SG_E_clIS8_S8_S9_S9_EESD_ST_SE_SF_SG_EUlST_E_NS1_11comp_targetILNS1_3genE3ELNS1_11target_archE908ELNS1_3gpuE7ELNS1_3repE0EEENS1_48merge_mergepath_partition_config_static_selectorELNS0_4arch9wavefront6targetE0EEEvSF_
	.p2align	8
	.type	_ZN7rocprim17ROCPRIM_400000_NS6detail17trampoline_kernelINS0_14default_configENS1_38merge_sort_block_merge_config_selectorIfNS0_10empty_typeEEEZZNS1_27merge_sort_block_merge_implIS3_PfPS5_jNS1_19radix_merge_compareILb1ELb0EfNS0_19identity_decomposerEEEEE10hipError_tT0_T1_T2_jT3_P12ihipStream_tbPNSt15iterator_traitsISE_E10value_typeEPNSK_ISF_E10value_typeEPSG_NS1_7vsmem_tEENKUlT_SE_SF_SG_E_clIS8_S8_S9_S9_EESD_ST_SE_SF_SG_EUlST_E_NS1_11comp_targetILNS1_3genE3ELNS1_11target_archE908ELNS1_3gpuE7ELNS1_3repE0EEENS1_48merge_mergepath_partition_config_static_selectorELNS0_4arch9wavefront6targetE0EEEvSF_,@function
_ZN7rocprim17ROCPRIM_400000_NS6detail17trampoline_kernelINS0_14default_configENS1_38merge_sort_block_merge_config_selectorIfNS0_10empty_typeEEEZZNS1_27merge_sort_block_merge_implIS3_PfPS5_jNS1_19radix_merge_compareILb1ELb0EfNS0_19identity_decomposerEEEEE10hipError_tT0_T1_T2_jT3_P12ihipStream_tbPNSt15iterator_traitsISE_E10value_typeEPNSK_ISF_E10value_typeEPSG_NS1_7vsmem_tEENKUlT_SE_SF_SG_E_clIS8_S8_S9_S9_EESD_ST_SE_SF_SG_EUlST_E_NS1_11comp_targetILNS1_3genE3ELNS1_11target_archE908ELNS1_3gpuE7ELNS1_3repE0EEENS1_48merge_mergepath_partition_config_static_selectorELNS0_4arch9wavefront6targetE0EEEvSF_: ; @_ZN7rocprim17ROCPRIM_400000_NS6detail17trampoline_kernelINS0_14default_configENS1_38merge_sort_block_merge_config_selectorIfNS0_10empty_typeEEEZZNS1_27merge_sort_block_merge_implIS3_PfPS5_jNS1_19radix_merge_compareILb1ELb0EfNS0_19identity_decomposerEEEEE10hipError_tT0_T1_T2_jT3_P12ihipStream_tbPNSt15iterator_traitsISE_E10value_typeEPNSK_ISF_E10value_typeEPSG_NS1_7vsmem_tEENKUlT_SE_SF_SG_E_clIS8_S8_S9_S9_EESD_ST_SE_SF_SG_EUlST_E_NS1_11comp_targetILNS1_3genE3ELNS1_11target_archE908ELNS1_3gpuE7ELNS1_3repE0EEENS1_48merge_mergepath_partition_config_static_selectorELNS0_4arch9wavefront6targetE0EEEvSF_
; %bb.0:
	.section	.rodata,"a",@progbits
	.p2align	6, 0x0
	.amdhsa_kernel _ZN7rocprim17ROCPRIM_400000_NS6detail17trampoline_kernelINS0_14default_configENS1_38merge_sort_block_merge_config_selectorIfNS0_10empty_typeEEEZZNS1_27merge_sort_block_merge_implIS3_PfPS5_jNS1_19radix_merge_compareILb1ELb0EfNS0_19identity_decomposerEEEEE10hipError_tT0_T1_T2_jT3_P12ihipStream_tbPNSt15iterator_traitsISE_E10value_typeEPNSK_ISF_E10value_typeEPSG_NS1_7vsmem_tEENKUlT_SE_SF_SG_E_clIS8_S8_S9_S9_EESD_ST_SE_SF_SG_EUlST_E_NS1_11comp_targetILNS1_3genE3ELNS1_11target_archE908ELNS1_3gpuE7ELNS1_3repE0EEENS1_48merge_mergepath_partition_config_static_selectorELNS0_4arch9wavefront6targetE0EEEvSF_
		.amdhsa_group_segment_fixed_size 0
		.amdhsa_private_segment_fixed_size 0
		.amdhsa_kernarg_size 40
		.amdhsa_user_sgpr_count 2
		.amdhsa_user_sgpr_dispatch_ptr 0
		.amdhsa_user_sgpr_queue_ptr 0
		.amdhsa_user_sgpr_kernarg_segment_ptr 1
		.amdhsa_user_sgpr_dispatch_id 0
		.amdhsa_user_sgpr_kernarg_preload_length 0
		.amdhsa_user_sgpr_kernarg_preload_offset 0
		.amdhsa_user_sgpr_private_segment_size 0
		.amdhsa_wavefront_size32 1
		.amdhsa_uses_dynamic_stack 0
		.amdhsa_enable_private_segment 0
		.amdhsa_system_sgpr_workgroup_id_x 1
		.amdhsa_system_sgpr_workgroup_id_y 0
		.amdhsa_system_sgpr_workgroup_id_z 0
		.amdhsa_system_sgpr_workgroup_info 0
		.amdhsa_system_vgpr_workitem_id 0
		.amdhsa_next_free_vgpr 1
		.amdhsa_next_free_sgpr 1
		.amdhsa_named_barrier_count 0
		.amdhsa_reserve_vcc 0
		.amdhsa_float_round_mode_32 0
		.amdhsa_float_round_mode_16_64 0
		.amdhsa_float_denorm_mode_32 3
		.amdhsa_float_denorm_mode_16_64 3
		.amdhsa_fp16_overflow 0
		.amdhsa_memory_ordered 1
		.amdhsa_forward_progress 1
		.amdhsa_inst_pref_size 0
		.amdhsa_round_robin_scheduling 0
		.amdhsa_exception_fp_ieee_invalid_op 0
		.amdhsa_exception_fp_denorm_src 0
		.amdhsa_exception_fp_ieee_div_zero 0
		.amdhsa_exception_fp_ieee_overflow 0
		.amdhsa_exception_fp_ieee_underflow 0
		.amdhsa_exception_fp_ieee_inexact 0
		.amdhsa_exception_int_div_zero 0
	.end_amdhsa_kernel
	.section	.text._ZN7rocprim17ROCPRIM_400000_NS6detail17trampoline_kernelINS0_14default_configENS1_38merge_sort_block_merge_config_selectorIfNS0_10empty_typeEEEZZNS1_27merge_sort_block_merge_implIS3_PfPS5_jNS1_19radix_merge_compareILb1ELb0EfNS0_19identity_decomposerEEEEE10hipError_tT0_T1_T2_jT3_P12ihipStream_tbPNSt15iterator_traitsISE_E10value_typeEPNSK_ISF_E10value_typeEPSG_NS1_7vsmem_tEENKUlT_SE_SF_SG_E_clIS8_S8_S9_S9_EESD_ST_SE_SF_SG_EUlST_E_NS1_11comp_targetILNS1_3genE3ELNS1_11target_archE908ELNS1_3gpuE7ELNS1_3repE0EEENS1_48merge_mergepath_partition_config_static_selectorELNS0_4arch9wavefront6targetE0EEEvSF_,"axG",@progbits,_ZN7rocprim17ROCPRIM_400000_NS6detail17trampoline_kernelINS0_14default_configENS1_38merge_sort_block_merge_config_selectorIfNS0_10empty_typeEEEZZNS1_27merge_sort_block_merge_implIS3_PfPS5_jNS1_19radix_merge_compareILb1ELb0EfNS0_19identity_decomposerEEEEE10hipError_tT0_T1_T2_jT3_P12ihipStream_tbPNSt15iterator_traitsISE_E10value_typeEPNSK_ISF_E10value_typeEPSG_NS1_7vsmem_tEENKUlT_SE_SF_SG_E_clIS8_S8_S9_S9_EESD_ST_SE_SF_SG_EUlST_E_NS1_11comp_targetILNS1_3genE3ELNS1_11target_archE908ELNS1_3gpuE7ELNS1_3repE0EEENS1_48merge_mergepath_partition_config_static_selectorELNS0_4arch9wavefront6targetE0EEEvSF_,comdat
.Lfunc_end1265:
	.size	_ZN7rocprim17ROCPRIM_400000_NS6detail17trampoline_kernelINS0_14default_configENS1_38merge_sort_block_merge_config_selectorIfNS0_10empty_typeEEEZZNS1_27merge_sort_block_merge_implIS3_PfPS5_jNS1_19radix_merge_compareILb1ELb0EfNS0_19identity_decomposerEEEEE10hipError_tT0_T1_T2_jT3_P12ihipStream_tbPNSt15iterator_traitsISE_E10value_typeEPNSK_ISF_E10value_typeEPSG_NS1_7vsmem_tEENKUlT_SE_SF_SG_E_clIS8_S8_S9_S9_EESD_ST_SE_SF_SG_EUlST_E_NS1_11comp_targetILNS1_3genE3ELNS1_11target_archE908ELNS1_3gpuE7ELNS1_3repE0EEENS1_48merge_mergepath_partition_config_static_selectorELNS0_4arch9wavefront6targetE0EEEvSF_, .Lfunc_end1265-_ZN7rocprim17ROCPRIM_400000_NS6detail17trampoline_kernelINS0_14default_configENS1_38merge_sort_block_merge_config_selectorIfNS0_10empty_typeEEEZZNS1_27merge_sort_block_merge_implIS3_PfPS5_jNS1_19radix_merge_compareILb1ELb0EfNS0_19identity_decomposerEEEEE10hipError_tT0_T1_T2_jT3_P12ihipStream_tbPNSt15iterator_traitsISE_E10value_typeEPNSK_ISF_E10value_typeEPSG_NS1_7vsmem_tEENKUlT_SE_SF_SG_E_clIS8_S8_S9_S9_EESD_ST_SE_SF_SG_EUlST_E_NS1_11comp_targetILNS1_3genE3ELNS1_11target_archE908ELNS1_3gpuE7ELNS1_3repE0EEENS1_48merge_mergepath_partition_config_static_selectorELNS0_4arch9wavefront6targetE0EEEvSF_
                                        ; -- End function
	.set _ZN7rocprim17ROCPRIM_400000_NS6detail17trampoline_kernelINS0_14default_configENS1_38merge_sort_block_merge_config_selectorIfNS0_10empty_typeEEEZZNS1_27merge_sort_block_merge_implIS3_PfPS5_jNS1_19radix_merge_compareILb1ELb0EfNS0_19identity_decomposerEEEEE10hipError_tT0_T1_T2_jT3_P12ihipStream_tbPNSt15iterator_traitsISE_E10value_typeEPNSK_ISF_E10value_typeEPSG_NS1_7vsmem_tEENKUlT_SE_SF_SG_E_clIS8_S8_S9_S9_EESD_ST_SE_SF_SG_EUlST_E_NS1_11comp_targetILNS1_3genE3ELNS1_11target_archE908ELNS1_3gpuE7ELNS1_3repE0EEENS1_48merge_mergepath_partition_config_static_selectorELNS0_4arch9wavefront6targetE0EEEvSF_.num_vgpr, 0
	.set _ZN7rocprim17ROCPRIM_400000_NS6detail17trampoline_kernelINS0_14default_configENS1_38merge_sort_block_merge_config_selectorIfNS0_10empty_typeEEEZZNS1_27merge_sort_block_merge_implIS3_PfPS5_jNS1_19radix_merge_compareILb1ELb0EfNS0_19identity_decomposerEEEEE10hipError_tT0_T1_T2_jT3_P12ihipStream_tbPNSt15iterator_traitsISE_E10value_typeEPNSK_ISF_E10value_typeEPSG_NS1_7vsmem_tEENKUlT_SE_SF_SG_E_clIS8_S8_S9_S9_EESD_ST_SE_SF_SG_EUlST_E_NS1_11comp_targetILNS1_3genE3ELNS1_11target_archE908ELNS1_3gpuE7ELNS1_3repE0EEENS1_48merge_mergepath_partition_config_static_selectorELNS0_4arch9wavefront6targetE0EEEvSF_.num_agpr, 0
	.set _ZN7rocprim17ROCPRIM_400000_NS6detail17trampoline_kernelINS0_14default_configENS1_38merge_sort_block_merge_config_selectorIfNS0_10empty_typeEEEZZNS1_27merge_sort_block_merge_implIS3_PfPS5_jNS1_19radix_merge_compareILb1ELb0EfNS0_19identity_decomposerEEEEE10hipError_tT0_T1_T2_jT3_P12ihipStream_tbPNSt15iterator_traitsISE_E10value_typeEPNSK_ISF_E10value_typeEPSG_NS1_7vsmem_tEENKUlT_SE_SF_SG_E_clIS8_S8_S9_S9_EESD_ST_SE_SF_SG_EUlST_E_NS1_11comp_targetILNS1_3genE3ELNS1_11target_archE908ELNS1_3gpuE7ELNS1_3repE0EEENS1_48merge_mergepath_partition_config_static_selectorELNS0_4arch9wavefront6targetE0EEEvSF_.numbered_sgpr, 0
	.set _ZN7rocprim17ROCPRIM_400000_NS6detail17trampoline_kernelINS0_14default_configENS1_38merge_sort_block_merge_config_selectorIfNS0_10empty_typeEEEZZNS1_27merge_sort_block_merge_implIS3_PfPS5_jNS1_19radix_merge_compareILb1ELb0EfNS0_19identity_decomposerEEEEE10hipError_tT0_T1_T2_jT3_P12ihipStream_tbPNSt15iterator_traitsISE_E10value_typeEPNSK_ISF_E10value_typeEPSG_NS1_7vsmem_tEENKUlT_SE_SF_SG_E_clIS8_S8_S9_S9_EESD_ST_SE_SF_SG_EUlST_E_NS1_11comp_targetILNS1_3genE3ELNS1_11target_archE908ELNS1_3gpuE7ELNS1_3repE0EEENS1_48merge_mergepath_partition_config_static_selectorELNS0_4arch9wavefront6targetE0EEEvSF_.num_named_barrier, 0
	.set _ZN7rocprim17ROCPRIM_400000_NS6detail17trampoline_kernelINS0_14default_configENS1_38merge_sort_block_merge_config_selectorIfNS0_10empty_typeEEEZZNS1_27merge_sort_block_merge_implIS3_PfPS5_jNS1_19radix_merge_compareILb1ELb0EfNS0_19identity_decomposerEEEEE10hipError_tT0_T1_T2_jT3_P12ihipStream_tbPNSt15iterator_traitsISE_E10value_typeEPNSK_ISF_E10value_typeEPSG_NS1_7vsmem_tEENKUlT_SE_SF_SG_E_clIS8_S8_S9_S9_EESD_ST_SE_SF_SG_EUlST_E_NS1_11comp_targetILNS1_3genE3ELNS1_11target_archE908ELNS1_3gpuE7ELNS1_3repE0EEENS1_48merge_mergepath_partition_config_static_selectorELNS0_4arch9wavefront6targetE0EEEvSF_.private_seg_size, 0
	.set _ZN7rocprim17ROCPRIM_400000_NS6detail17trampoline_kernelINS0_14default_configENS1_38merge_sort_block_merge_config_selectorIfNS0_10empty_typeEEEZZNS1_27merge_sort_block_merge_implIS3_PfPS5_jNS1_19radix_merge_compareILb1ELb0EfNS0_19identity_decomposerEEEEE10hipError_tT0_T1_T2_jT3_P12ihipStream_tbPNSt15iterator_traitsISE_E10value_typeEPNSK_ISF_E10value_typeEPSG_NS1_7vsmem_tEENKUlT_SE_SF_SG_E_clIS8_S8_S9_S9_EESD_ST_SE_SF_SG_EUlST_E_NS1_11comp_targetILNS1_3genE3ELNS1_11target_archE908ELNS1_3gpuE7ELNS1_3repE0EEENS1_48merge_mergepath_partition_config_static_selectorELNS0_4arch9wavefront6targetE0EEEvSF_.uses_vcc, 0
	.set _ZN7rocprim17ROCPRIM_400000_NS6detail17trampoline_kernelINS0_14default_configENS1_38merge_sort_block_merge_config_selectorIfNS0_10empty_typeEEEZZNS1_27merge_sort_block_merge_implIS3_PfPS5_jNS1_19radix_merge_compareILb1ELb0EfNS0_19identity_decomposerEEEEE10hipError_tT0_T1_T2_jT3_P12ihipStream_tbPNSt15iterator_traitsISE_E10value_typeEPNSK_ISF_E10value_typeEPSG_NS1_7vsmem_tEENKUlT_SE_SF_SG_E_clIS8_S8_S9_S9_EESD_ST_SE_SF_SG_EUlST_E_NS1_11comp_targetILNS1_3genE3ELNS1_11target_archE908ELNS1_3gpuE7ELNS1_3repE0EEENS1_48merge_mergepath_partition_config_static_selectorELNS0_4arch9wavefront6targetE0EEEvSF_.uses_flat_scratch, 0
	.set _ZN7rocprim17ROCPRIM_400000_NS6detail17trampoline_kernelINS0_14default_configENS1_38merge_sort_block_merge_config_selectorIfNS0_10empty_typeEEEZZNS1_27merge_sort_block_merge_implIS3_PfPS5_jNS1_19radix_merge_compareILb1ELb0EfNS0_19identity_decomposerEEEEE10hipError_tT0_T1_T2_jT3_P12ihipStream_tbPNSt15iterator_traitsISE_E10value_typeEPNSK_ISF_E10value_typeEPSG_NS1_7vsmem_tEENKUlT_SE_SF_SG_E_clIS8_S8_S9_S9_EESD_ST_SE_SF_SG_EUlST_E_NS1_11comp_targetILNS1_3genE3ELNS1_11target_archE908ELNS1_3gpuE7ELNS1_3repE0EEENS1_48merge_mergepath_partition_config_static_selectorELNS0_4arch9wavefront6targetE0EEEvSF_.has_dyn_sized_stack, 0
	.set _ZN7rocprim17ROCPRIM_400000_NS6detail17trampoline_kernelINS0_14default_configENS1_38merge_sort_block_merge_config_selectorIfNS0_10empty_typeEEEZZNS1_27merge_sort_block_merge_implIS3_PfPS5_jNS1_19radix_merge_compareILb1ELb0EfNS0_19identity_decomposerEEEEE10hipError_tT0_T1_T2_jT3_P12ihipStream_tbPNSt15iterator_traitsISE_E10value_typeEPNSK_ISF_E10value_typeEPSG_NS1_7vsmem_tEENKUlT_SE_SF_SG_E_clIS8_S8_S9_S9_EESD_ST_SE_SF_SG_EUlST_E_NS1_11comp_targetILNS1_3genE3ELNS1_11target_archE908ELNS1_3gpuE7ELNS1_3repE0EEENS1_48merge_mergepath_partition_config_static_selectorELNS0_4arch9wavefront6targetE0EEEvSF_.has_recursion, 0
	.set _ZN7rocprim17ROCPRIM_400000_NS6detail17trampoline_kernelINS0_14default_configENS1_38merge_sort_block_merge_config_selectorIfNS0_10empty_typeEEEZZNS1_27merge_sort_block_merge_implIS3_PfPS5_jNS1_19radix_merge_compareILb1ELb0EfNS0_19identity_decomposerEEEEE10hipError_tT0_T1_T2_jT3_P12ihipStream_tbPNSt15iterator_traitsISE_E10value_typeEPNSK_ISF_E10value_typeEPSG_NS1_7vsmem_tEENKUlT_SE_SF_SG_E_clIS8_S8_S9_S9_EESD_ST_SE_SF_SG_EUlST_E_NS1_11comp_targetILNS1_3genE3ELNS1_11target_archE908ELNS1_3gpuE7ELNS1_3repE0EEENS1_48merge_mergepath_partition_config_static_selectorELNS0_4arch9wavefront6targetE0EEEvSF_.has_indirect_call, 0
	.section	.AMDGPU.csdata,"",@progbits
; Kernel info:
; codeLenInByte = 0
; TotalNumSgprs: 0
; NumVgprs: 0
; ScratchSize: 0
; MemoryBound: 0
; FloatMode: 240
; IeeeMode: 1
; LDSByteSize: 0 bytes/workgroup (compile time only)
; SGPRBlocks: 0
; VGPRBlocks: 0
; NumSGPRsForWavesPerEU: 1
; NumVGPRsForWavesPerEU: 1
; NamedBarCnt: 0
; Occupancy: 16
; WaveLimiterHint : 0
; COMPUTE_PGM_RSRC2:SCRATCH_EN: 0
; COMPUTE_PGM_RSRC2:USER_SGPR: 2
; COMPUTE_PGM_RSRC2:TRAP_HANDLER: 0
; COMPUTE_PGM_RSRC2:TGID_X_EN: 1
; COMPUTE_PGM_RSRC2:TGID_Y_EN: 0
; COMPUTE_PGM_RSRC2:TGID_Z_EN: 0
; COMPUTE_PGM_RSRC2:TIDIG_COMP_CNT: 0
	.section	.text._ZN7rocprim17ROCPRIM_400000_NS6detail17trampoline_kernelINS0_14default_configENS1_38merge_sort_block_merge_config_selectorIfNS0_10empty_typeEEEZZNS1_27merge_sort_block_merge_implIS3_PfPS5_jNS1_19radix_merge_compareILb1ELb0EfNS0_19identity_decomposerEEEEE10hipError_tT0_T1_T2_jT3_P12ihipStream_tbPNSt15iterator_traitsISE_E10value_typeEPNSK_ISF_E10value_typeEPSG_NS1_7vsmem_tEENKUlT_SE_SF_SG_E_clIS8_S8_S9_S9_EESD_ST_SE_SF_SG_EUlST_E_NS1_11comp_targetILNS1_3genE2ELNS1_11target_archE906ELNS1_3gpuE6ELNS1_3repE0EEENS1_48merge_mergepath_partition_config_static_selectorELNS0_4arch9wavefront6targetE0EEEvSF_,"axG",@progbits,_ZN7rocprim17ROCPRIM_400000_NS6detail17trampoline_kernelINS0_14default_configENS1_38merge_sort_block_merge_config_selectorIfNS0_10empty_typeEEEZZNS1_27merge_sort_block_merge_implIS3_PfPS5_jNS1_19radix_merge_compareILb1ELb0EfNS0_19identity_decomposerEEEEE10hipError_tT0_T1_T2_jT3_P12ihipStream_tbPNSt15iterator_traitsISE_E10value_typeEPNSK_ISF_E10value_typeEPSG_NS1_7vsmem_tEENKUlT_SE_SF_SG_E_clIS8_S8_S9_S9_EESD_ST_SE_SF_SG_EUlST_E_NS1_11comp_targetILNS1_3genE2ELNS1_11target_archE906ELNS1_3gpuE6ELNS1_3repE0EEENS1_48merge_mergepath_partition_config_static_selectorELNS0_4arch9wavefront6targetE0EEEvSF_,comdat
	.protected	_ZN7rocprim17ROCPRIM_400000_NS6detail17trampoline_kernelINS0_14default_configENS1_38merge_sort_block_merge_config_selectorIfNS0_10empty_typeEEEZZNS1_27merge_sort_block_merge_implIS3_PfPS5_jNS1_19radix_merge_compareILb1ELb0EfNS0_19identity_decomposerEEEEE10hipError_tT0_T1_T2_jT3_P12ihipStream_tbPNSt15iterator_traitsISE_E10value_typeEPNSK_ISF_E10value_typeEPSG_NS1_7vsmem_tEENKUlT_SE_SF_SG_E_clIS8_S8_S9_S9_EESD_ST_SE_SF_SG_EUlST_E_NS1_11comp_targetILNS1_3genE2ELNS1_11target_archE906ELNS1_3gpuE6ELNS1_3repE0EEENS1_48merge_mergepath_partition_config_static_selectorELNS0_4arch9wavefront6targetE0EEEvSF_ ; -- Begin function _ZN7rocprim17ROCPRIM_400000_NS6detail17trampoline_kernelINS0_14default_configENS1_38merge_sort_block_merge_config_selectorIfNS0_10empty_typeEEEZZNS1_27merge_sort_block_merge_implIS3_PfPS5_jNS1_19radix_merge_compareILb1ELb0EfNS0_19identity_decomposerEEEEE10hipError_tT0_T1_T2_jT3_P12ihipStream_tbPNSt15iterator_traitsISE_E10value_typeEPNSK_ISF_E10value_typeEPSG_NS1_7vsmem_tEENKUlT_SE_SF_SG_E_clIS8_S8_S9_S9_EESD_ST_SE_SF_SG_EUlST_E_NS1_11comp_targetILNS1_3genE2ELNS1_11target_archE906ELNS1_3gpuE6ELNS1_3repE0EEENS1_48merge_mergepath_partition_config_static_selectorELNS0_4arch9wavefront6targetE0EEEvSF_
	.globl	_ZN7rocprim17ROCPRIM_400000_NS6detail17trampoline_kernelINS0_14default_configENS1_38merge_sort_block_merge_config_selectorIfNS0_10empty_typeEEEZZNS1_27merge_sort_block_merge_implIS3_PfPS5_jNS1_19radix_merge_compareILb1ELb0EfNS0_19identity_decomposerEEEEE10hipError_tT0_T1_T2_jT3_P12ihipStream_tbPNSt15iterator_traitsISE_E10value_typeEPNSK_ISF_E10value_typeEPSG_NS1_7vsmem_tEENKUlT_SE_SF_SG_E_clIS8_S8_S9_S9_EESD_ST_SE_SF_SG_EUlST_E_NS1_11comp_targetILNS1_3genE2ELNS1_11target_archE906ELNS1_3gpuE6ELNS1_3repE0EEENS1_48merge_mergepath_partition_config_static_selectorELNS0_4arch9wavefront6targetE0EEEvSF_
	.p2align	8
	.type	_ZN7rocprim17ROCPRIM_400000_NS6detail17trampoline_kernelINS0_14default_configENS1_38merge_sort_block_merge_config_selectorIfNS0_10empty_typeEEEZZNS1_27merge_sort_block_merge_implIS3_PfPS5_jNS1_19radix_merge_compareILb1ELb0EfNS0_19identity_decomposerEEEEE10hipError_tT0_T1_T2_jT3_P12ihipStream_tbPNSt15iterator_traitsISE_E10value_typeEPNSK_ISF_E10value_typeEPSG_NS1_7vsmem_tEENKUlT_SE_SF_SG_E_clIS8_S8_S9_S9_EESD_ST_SE_SF_SG_EUlST_E_NS1_11comp_targetILNS1_3genE2ELNS1_11target_archE906ELNS1_3gpuE6ELNS1_3repE0EEENS1_48merge_mergepath_partition_config_static_selectorELNS0_4arch9wavefront6targetE0EEEvSF_,@function
_ZN7rocprim17ROCPRIM_400000_NS6detail17trampoline_kernelINS0_14default_configENS1_38merge_sort_block_merge_config_selectorIfNS0_10empty_typeEEEZZNS1_27merge_sort_block_merge_implIS3_PfPS5_jNS1_19radix_merge_compareILb1ELb0EfNS0_19identity_decomposerEEEEE10hipError_tT0_T1_T2_jT3_P12ihipStream_tbPNSt15iterator_traitsISE_E10value_typeEPNSK_ISF_E10value_typeEPSG_NS1_7vsmem_tEENKUlT_SE_SF_SG_E_clIS8_S8_S9_S9_EESD_ST_SE_SF_SG_EUlST_E_NS1_11comp_targetILNS1_3genE2ELNS1_11target_archE906ELNS1_3gpuE6ELNS1_3repE0EEENS1_48merge_mergepath_partition_config_static_selectorELNS0_4arch9wavefront6targetE0EEEvSF_: ; @_ZN7rocprim17ROCPRIM_400000_NS6detail17trampoline_kernelINS0_14default_configENS1_38merge_sort_block_merge_config_selectorIfNS0_10empty_typeEEEZZNS1_27merge_sort_block_merge_implIS3_PfPS5_jNS1_19radix_merge_compareILb1ELb0EfNS0_19identity_decomposerEEEEE10hipError_tT0_T1_T2_jT3_P12ihipStream_tbPNSt15iterator_traitsISE_E10value_typeEPNSK_ISF_E10value_typeEPSG_NS1_7vsmem_tEENKUlT_SE_SF_SG_E_clIS8_S8_S9_S9_EESD_ST_SE_SF_SG_EUlST_E_NS1_11comp_targetILNS1_3genE2ELNS1_11target_archE906ELNS1_3gpuE6ELNS1_3repE0EEENS1_48merge_mergepath_partition_config_static_selectorELNS0_4arch9wavefront6targetE0EEEvSF_
; %bb.0:
	.section	.rodata,"a",@progbits
	.p2align	6, 0x0
	.amdhsa_kernel _ZN7rocprim17ROCPRIM_400000_NS6detail17trampoline_kernelINS0_14default_configENS1_38merge_sort_block_merge_config_selectorIfNS0_10empty_typeEEEZZNS1_27merge_sort_block_merge_implIS3_PfPS5_jNS1_19radix_merge_compareILb1ELb0EfNS0_19identity_decomposerEEEEE10hipError_tT0_T1_T2_jT3_P12ihipStream_tbPNSt15iterator_traitsISE_E10value_typeEPNSK_ISF_E10value_typeEPSG_NS1_7vsmem_tEENKUlT_SE_SF_SG_E_clIS8_S8_S9_S9_EESD_ST_SE_SF_SG_EUlST_E_NS1_11comp_targetILNS1_3genE2ELNS1_11target_archE906ELNS1_3gpuE6ELNS1_3repE0EEENS1_48merge_mergepath_partition_config_static_selectorELNS0_4arch9wavefront6targetE0EEEvSF_
		.amdhsa_group_segment_fixed_size 0
		.amdhsa_private_segment_fixed_size 0
		.amdhsa_kernarg_size 40
		.amdhsa_user_sgpr_count 2
		.amdhsa_user_sgpr_dispatch_ptr 0
		.amdhsa_user_sgpr_queue_ptr 0
		.amdhsa_user_sgpr_kernarg_segment_ptr 1
		.amdhsa_user_sgpr_dispatch_id 0
		.amdhsa_user_sgpr_kernarg_preload_length 0
		.amdhsa_user_sgpr_kernarg_preload_offset 0
		.amdhsa_user_sgpr_private_segment_size 0
		.amdhsa_wavefront_size32 1
		.amdhsa_uses_dynamic_stack 0
		.amdhsa_enable_private_segment 0
		.amdhsa_system_sgpr_workgroup_id_x 1
		.amdhsa_system_sgpr_workgroup_id_y 0
		.amdhsa_system_sgpr_workgroup_id_z 0
		.amdhsa_system_sgpr_workgroup_info 0
		.amdhsa_system_vgpr_workitem_id 0
		.amdhsa_next_free_vgpr 1
		.amdhsa_next_free_sgpr 1
		.amdhsa_named_barrier_count 0
		.amdhsa_reserve_vcc 0
		.amdhsa_float_round_mode_32 0
		.amdhsa_float_round_mode_16_64 0
		.amdhsa_float_denorm_mode_32 3
		.amdhsa_float_denorm_mode_16_64 3
		.amdhsa_fp16_overflow 0
		.amdhsa_memory_ordered 1
		.amdhsa_forward_progress 1
		.amdhsa_inst_pref_size 0
		.amdhsa_round_robin_scheduling 0
		.amdhsa_exception_fp_ieee_invalid_op 0
		.amdhsa_exception_fp_denorm_src 0
		.amdhsa_exception_fp_ieee_div_zero 0
		.amdhsa_exception_fp_ieee_overflow 0
		.amdhsa_exception_fp_ieee_underflow 0
		.amdhsa_exception_fp_ieee_inexact 0
		.amdhsa_exception_int_div_zero 0
	.end_amdhsa_kernel
	.section	.text._ZN7rocprim17ROCPRIM_400000_NS6detail17trampoline_kernelINS0_14default_configENS1_38merge_sort_block_merge_config_selectorIfNS0_10empty_typeEEEZZNS1_27merge_sort_block_merge_implIS3_PfPS5_jNS1_19radix_merge_compareILb1ELb0EfNS0_19identity_decomposerEEEEE10hipError_tT0_T1_T2_jT3_P12ihipStream_tbPNSt15iterator_traitsISE_E10value_typeEPNSK_ISF_E10value_typeEPSG_NS1_7vsmem_tEENKUlT_SE_SF_SG_E_clIS8_S8_S9_S9_EESD_ST_SE_SF_SG_EUlST_E_NS1_11comp_targetILNS1_3genE2ELNS1_11target_archE906ELNS1_3gpuE6ELNS1_3repE0EEENS1_48merge_mergepath_partition_config_static_selectorELNS0_4arch9wavefront6targetE0EEEvSF_,"axG",@progbits,_ZN7rocprim17ROCPRIM_400000_NS6detail17trampoline_kernelINS0_14default_configENS1_38merge_sort_block_merge_config_selectorIfNS0_10empty_typeEEEZZNS1_27merge_sort_block_merge_implIS3_PfPS5_jNS1_19radix_merge_compareILb1ELb0EfNS0_19identity_decomposerEEEEE10hipError_tT0_T1_T2_jT3_P12ihipStream_tbPNSt15iterator_traitsISE_E10value_typeEPNSK_ISF_E10value_typeEPSG_NS1_7vsmem_tEENKUlT_SE_SF_SG_E_clIS8_S8_S9_S9_EESD_ST_SE_SF_SG_EUlST_E_NS1_11comp_targetILNS1_3genE2ELNS1_11target_archE906ELNS1_3gpuE6ELNS1_3repE0EEENS1_48merge_mergepath_partition_config_static_selectorELNS0_4arch9wavefront6targetE0EEEvSF_,comdat
.Lfunc_end1266:
	.size	_ZN7rocprim17ROCPRIM_400000_NS6detail17trampoline_kernelINS0_14default_configENS1_38merge_sort_block_merge_config_selectorIfNS0_10empty_typeEEEZZNS1_27merge_sort_block_merge_implIS3_PfPS5_jNS1_19radix_merge_compareILb1ELb0EfNS0_19identity_decomposerEEEEE10hipError_tT0_T1_T2_jT3_P12ihipStream_tbPNSt15iterator_traitsISE_E10value_typeEPNSK_ISF_E10value_typeEPSG_NS1_7vsmem_tEENKUlT_SE_SF_SG_E_clIS8_S8_S9_S9_EESD_ST_SE_SF_SG_EUlST_E_NS1_11comp_targetILNS1_3genE2ELNS1_11target_archE906ELNS1_3gpuE6ELNS1_3repE0EEENS1_48merge_mergepath_partition_config_static_selectorELNS0_4arch9wavefront6targetE0EEEvSF_, .Lfunc_end1266-_ZN7rocprim17ROCPRIM_400000_NS6detail17trampoline_kernelINS0_14default_configENS1_38merge_sort_block_merge_config_selectorIfNS0_10empty_typeEEEZZNS1_27merge_sort_block_merge_implIS3_PfPS5_jNS1_19radix_merge_compareILb1ELb0EfNS0_19identity_decomposerEEEEE10hipError_tT0_T1_T2_jT3_P12ihipStream_tbPNSt15iterator_traitsISE_E10value_typeEPNSK_ISF_E10value_typeEPSG_NS1_7vsmem_tEENKUlT_SE_SF_SG_E_clIS8_S8_S9_S9_EESD_ST_SE_SF_SG_EUlST_E_NS1_11comp_targetILNS1_3genE2ELNS1_11target_archE906ELNS1_3gpuE6ELNS1_3repE0EEENS1_48merge_mergepath_partition_config_static_selectorELNS0_4arch9wavefront6targetE0EEEvSF_
                                        ; -- End function
	.set _ZN7rocprim17ROCPRIM_400000_NS6detail17trampoline_kernelINS0_14default_configENS1_38merge_sort_block_merge_config_selectorIfNS0_10empty_typeEEEZZNS1_27merge_sort_block_merge_implIS3_PfPS5_jNS1_19radix_merge_compareILb1ELb0EfNS0_19identity_decomposerEEEEE10hipError_tT0_T1_T2_jT3_P12ihipStream_tbPNSt15iterator_traitsISE_E10value_typeEPNSK_ISF_E10value_typeEPSG_NS1_7vsmem_tEENKUlT_SE_SF_SG_E_clIS8_S8_S9_S9_EESD_ST_SE_SF_SG_EUlST_E_NS1_11comp_targetILNS1_3genE2ELNS1_11target_archE906ELNS1_3gpuE6ELNS1_3repE0EEENS1_48merge_mergepath_partition_config_static_selectorELNS0_4arch9wavefront6targetE0EEEvSF_.num_vgpr, 0
	.set _ZN7rocprim17ROCPRIM_400000_NS6detail17trampoline_kernelINS0_14default_configENS1_38merge_sort_block_merge_config_selectorIfNS0_10empty_typeEEEZZNS1_27merge_sort_block_merge_implIS3_PfPS5_jNS1_19radix_merge_compareILb1ELb0EfNS0_19identity_decomposerEEEEE10hipError_tT0_T1_T2_jT3_P12ihipStream_tbPNSt15iterator_traitsISE_E10value_typeEPNSK_ISF_E10value_typeEPSG_NS1_7vsmem_tEENKUlT_SE_SF_SG_E_clIS8_S8_S9_S9_EESD_ST_SE_SF_SG_EUlST_E_NS1_11comp_targetILNS1_3genE2ELNS1_11target_archE906ELNS1_3gpuE6ELNS1_3repE0EEENS1_48merge_mergepath_partition_config_static_selectorELNS0_4arch9wavefront6targetE0EEEvSF_.num_agpr, 0
	.set _ZN7rocprim17ROCPRIM_400000_NS6detail17trampoline_kernelINS0_14default_configENS1_38merge_sort_block_merge_config_selectorIfNS0_10empty_typeEEEZZNS1_27merge_sort_block_merge_implIS3_PfPS5_jNS1_19radix_merge_compareILb1ELb0EfNS0_19identity_decomposerEEEEE10hipError_tT0_T1_T2_jT3_P12ihipStream_tbPNSt15iterator_traitsISE_E10value_typeEPNSK_ISF_E10value_typeEPSG_NS1_7vsmem_tEENKUlT_SE_SF_SG_E_clIS8_S8_S9_S9_EESD_ST_SE_SF_SG_EUlST_E_NS1_11comp_targetILNS1_3genE2ELNS1_11target_archE906ELNS1_3gpuE6ELNS1_3repE0EEENS1_48merge_mergepath_partition_config_static_selectorELNS0_4arch9wavefront6targetE0EEEvSF_.numbered_sgpr, 0
	.set _ZN7rocprim17ROCPRIM_400000_NS6detail17trampoline_kernelINS0_14default_configENS1_38merge_sort_block_merge_config_selectorIfNS0_10empty_typeEEEZZNS1_27merge_sort_block_merge_implIS3_PfPS5_jNS1_19radix_merge_compareILb1ELb0EfNS0_19identity_decomposerEEEEE10hipError_tT0_T1_T2_jT3_P12ihipStream_tbPNSt15iterator_traitsISE_E10value_typeEPNSK_ISF_E10value_typeEPSG_NS1_7vsmem_tEENKUlT_SE_SF_SG_E_clIS8_S8_S9_S9_EESD_ST_SE_SF_SG_EUlST_E_NS1_11comp_targetILNS1_3genE2ELNS1_11target_archE906ELNS1_3gpuE6ELNS1_3repE0EEENS1_48merge_mergepath_partition_config_static_selectorELNS0_4arch9wavefront6targetE0EEEvSF_.num_named_barrier, 0
	.set _ZN7rocprim17ROCPRIM_400000_NS6detail17trampoline_kernelINS0_14default_configENS1_38merge_sort_block_merge_config_selectorIfNS0_10empty_typeEEEZZNS1_27merge_sort_block_merge_implIS3_PfPS5_jNS1_19radix_merge_compareILb1ELb0EfNS0_19identity_decomposerEEEEE10hipError_tT0_T1_T2_jT3_P12ihipStream_tbPNSt15iterator_traitsISE_E10value_typeEPNSK_ISF_E10value_typeEPSG_NS1_7vsmem_tEENKUlT_SE_SF_SG_E_clIS8_S8_S9_S9_EESD_ST_SE_SF_SG_EUlST_E_NS1_11comp_targetILNS1_3genE2ELNS1_11target_archE906ELNS1_3gpuE6ELNS1_3repE0EEENS1_48merge_mergepath_partition_config_static_selectorELNS0_4arch9wavefront6targetE0EEEvSF_.private_seg_size, 0
	.set _ZN7rocprim17ROCPRIM_400000_NS6detail17trampoline_kernelINS0_14default_configENS1_38merge_sort_block_merge_config_selectorIfNS0_10empty_typeEEEZZNS1_27merge_sort_block_merge_implIS3_PfPS5_jNS1_19radix_merge_compareILb1ELb0EfNS0_19identity_decomposerEEEEE10hipError_tT0_T1_T2_jT3_P12ihipStream_tbPNSt15iterator_traitsISE_E10value_typeEPNSK_ISF_E10value_typeEPSG_NS1_7vsmem_tEENKUlT_SE_SF_SG_E_clIS8_S8_S9_S9_EESD_ST_SE_SF_SG_EUlST_E_NS1_11comp_targetILNS1_3genE2ELNS1_11target_archE906ELNS1_3gpuE6ELNS1_3repE0EEENS1_48merge_mergepath_partition_config_static_selectorELNS0_4arch9wavefront6targetE0EEEvSF_.uses_vcc, 0
	.set _ZN7rocprim17ROCPRIM_400000_NS6detail17trampoline_kernelINS0_14default_configENS1_38merge_sort_block_merge_config_selectorIfNS0_10empty_typeEEEZZNS1_27merge_sort_block_merge_implIS3_PfPS5_jNS1_19radix_merge_compareILb1ELb0EfNS0_19identity_decomposerEEEEE10hipError_tT0_T1_T2_jT3_P12ihipStream_tbPNSt15iterator_traitsISE_E10value_typeEPNSK_ISF_E10value_typeEPSG_NS1_7vsmem_tEENKUlT_SE_SF_SG_E_clIS8_S8_S9_S9_EESD_ST_SE_SF_SG_EUlST_E_NS1_11comp_targetILNS1_3genE2ELNS1_11target_archE906ELNS1_3gpuE6ELNS1_3repE0EEENS1_48merge_mergepath_partition_config_static_selectorELNS0_4arch9wavefront6targetE0EEEvSF_.uses_flat_scratch, 0
	.set _ZN7rocprim17ROCPRIM_400000_NS6detail17trampoline_kernelINS0_14default_configENS1_38merge_sort_block_merge_config_selectorIfNS0_10empty_typeEEEZZNS1_27merge_sort_block_merge_implIS3_PfPS5_jNS1_19radix_merge_compareILb1ELb0EfNS0_19identity_decomposerEEEEE10hipError_tT0_T1_T2_jT3_P12ihipStream_tbPNSt15iterator_traitsISE_E10value_typeEPNSK_ISF_E10value_typeEPSG_NS1_7vsmem_tEENKUlT_SE_SF_SG_E_clIS8_S8_S9_S9_EESD_ST_SE_SF_SG_EUlST_E_NS1_11comp_targetILNS1_3genE2ELNS1_11target_archE906ELNS1_3gpuE6ELNS1_3repE0EEENS1_48merge_mergepath_partition_config_static_selectorELNS0_4arch9wavefront6targetE0EEEvSF_.has_dyn_sized_stack, 0
	.set _ZN7rocprim17ROCPRIM_400000_NS6detail17trampoline_kernelINS0_14default_configENS1_38merge_sort_block_merge_config_selectorIfNS0_10empty_typeEEEZZNS1_27merge_sort_block_merge_implIS3_PfPS5_jNS1_19radix_merge_compareILb1ELb0EfNS0_19identity_decomposerEEEEE10hipError_tT0_T1_T2_jT3_P12ihipStream_tbPNSt15iterator_traitsISE_E10value_typeEPNSK_ISF_E10value_typeEPSG_NS1_7vsmem_tEENKUlT_SE_SF_SG_E_clIS8_S8_S9_S9_EESD_ST_SE_SF_SG_EUlST_E_NS1_11comp_targetILNS1_3genE2ELNS1_11target_archE906ELNS1_3gpuE6ELNS1_3repE0EEENS1_48merge_mergepath_partition_config_static_selectorELNS0_4arch9wavefront6targetE0EEEvSF_.has_recursion, 0
	.set _ZN7rocprim17ROCPRIM_400000_NS6detail17trampoline_kernelINS0_14default_configENS1_38merge_sort_block_merge_config_selectorIfNS0_10empty_typeEEEZZNS1_27merge_sort_block_merge_implIS3_PfPS5_jNS1_19radix_merge_compareILb1ELb0EfNS0_19identity_decomposerEEEEE10hipError_tT0_T1_T2_jT3_P12ihipStream_tbPNSt15iterator_traitsISE_E10value_typeEPNSK_ISF_E10value_typeEPSG_NS1_7vsmem_tEENKUlT_SE_SF_SG_E_clIS8_S8_S9_S9_EESD_ST_SE_SF_SG_EUlST_E_NS1_11comp_targetILNS1_3genE2ELNS1_11target_archE906ELNS1_3gpuE6ELNS1_3repE0EEENS1_48merge_mergepath_partition_config_static_selectorELNS0_4arch9wavefront6targetE0EEEvSF_.has_indirect_call, 0
	.section	.AMDGPU.csdata,"",@progbits
; Kernel info:
; codeLenInByte = 0
; TotalNumSgprs: 0
; NumVgprs: 0
; ScratchSize: 0
; MemoryBound: 0
; FloatMode: 240
; IeeeMode: 1
; LDSByteSize: 0 bytes/workgroup (compile time only)
; SGPRBlocks: 0
; VGPRBlocks: 0
; NumSGPRsForWavesPerEU: 1
; NumVGPRsForWavesPerEU: 1
; NamedBarCnt: 0
; Occupancy: 16
; WaveLimiterHint : 0
; COMPUTE_PGM_RSRC2:SCRATCH_EN: 0
; COMPUTE_PGM_RSRC2:USER_SGPR: 2
; COMPUTE_PGM_RSRC2:TRAP_HANDLER: 0
; COMPUTE_PGM_RSRC2:TGID_X_EN: 1
; COMPUTE_PGM_RSRC2:TGID_Y_EN: 0
; COMPUTE_PGM_RSRC2:TGID_Z_EN: 0
; COMPUTE_PGM_RSRC2:TIDIG_COMP_CNT: 0
	.section	.text._ZN7rocprim17ROCPRIM_400000_NS6detail17trampoline_kernelINS0_14default_configENS1_38merge_sort_block_merge_config_selectorIfNS0_10empty_typeEEEZZNS1_27merge_sort_block_merge_implIS3_PfPS5_jNS1_19radix_merge_compareILb1ELb0EfNS0_19identity_decomposerEEEEE10hipError_tT0_T1_T2_jT3_P12ihipStream_tbPNSt15iterator_traitsISE_E10value_typeEPNSK_ISF_E10value_typeEPSG_NS1_7vsmem_tEENKUlT_SE_SF_SG_E_clIS8_S8_S9_S9_EESD_ST_SE_SF_SG_EUlST_E_NS1_11comp_targetILNS1_3genE9ELNS1_11target_archE1100ELNS1_3gpuE3ELNS1_3repE0EEENS1_48merge_mergepath_partition_config_static_selectorELNS0_4arch9wavefront6targetE0EEEvSF_,"axG",@progbits,_ZN7rocprim17ROCPRIM_400000_NS6detail17trampoline_kernelINS0_14default_configENS1_38merge_sort_block_merge_config_selectorIfNS0_10empty_typeEEEZZNS1_27merge_sort_block_merge_implIS3_PfPS5_jNS1_19radix_merge_compareILb1ELb0EfNS0_19identity_decomposerEEEEE10hipError_tT0_T1_T2_jT3_P12ihipStream_tbPNSt15iterator_traitsISE_E10value_typeEPNSK_ISF_E10value_typeEPSG_NS1_7vsmem_tEENKUlT_SE_SF_SG_E_clIS8_S8_S9_S9_EESD_ST_SE_SF_SG_EUlST_E_NS1_11comp_targetILNS1_3genE9ELNS1_11target_archE1100ELNS1_3gpuE3ELNS1_3repE0EEENS1_48merge_mergepath_partition_config_static_selectorELNS0_4arch9wavefront6targetE0EEEvSF_,comdat
	.protected	_ZN7rocprim17ROCPRIM_400000_NS6detail17trampoline_kernelINS0_14default_configENS1_38merge_sort_block_merge_config_selectorIfNS0_10empty_typeEEEZZNS1_27merge_sort_block_merge_implIS3_PfPS5_jNS1_19radix_merge_compareILb1ELb0EfNS0_19identity_decomposerEEEEE10hipError_tT0_T1_T2_jT3_P12ihipStream_tbPNSt15iterator_traitsISE_E10value_typeEPNSK_ISF_E10value_typeEPSG_NS1_7vsmem_tEENKUlT_SE_SF_SG_E_clIS8_S8_S9_S9_EESD_ST_SE_SF_SG_EUlST_E_NS1_11comp_targetILNS1_3genE9ELNS1_11target_archE1100ELNS1_3gpuE3ELNS1_3repE0EEENS1_48merge_mergepath_partition_config_static_selectorELNS0_4arch9wavefront6targetE0EEEvSF_ ; -- Begin function _ZN7rocprim17ROCPRIM_400000_NS6detail17trampoline_kernelINS0_14default_configENS1_38merge_sort_block_merge_config_selectorIfNS0_10empty_typeEEEZZNS1_27merge_sort_block_merge_implIS3_PfPS5_jNS1_19radix_merge_compareILb1ELb0EfNS0_19identity_decomposerEEEEE10hipError_tT0_T1_T2_jT3_P12ihipStream_tbPNSt15iterator_traitsISE_E10value_typeEPNSK_ISF_E10value_typeEPSG_NS1_7vsmem_tEENKUlT_SE_SF_SG_E_clIS8_S8_S9_S9_EESD_ST_SE_SF_SG_EUlST_E_NS1_11comp_targetILNS1_3genE9ELNS1_11target_archE1100ELNS1_3gpuE3ELNS1_3repE0EEENS1_48merge_mergepath_partition_config_static_selectorELNS0_4arch9wavefront6targetE0EEEvSF_
	.globl	_ZN7rocprim17ROCPRIM_400000_NS6detail17trampoline_kernelINS0_14default_configENS1_38merge_sort_block_merge_config_selectorIfNS0_10empty_typeEEEZZNS1_27merge_sort_block_merge_implIS3_PfPS5_jNS1_19radix_merge_compareILb1ELb0EfNS0_19identity_decomposerEEEEE10hipError_tT0_T1_T2_jT3_P12ihipStream_tbPNSt15iterator_traitsISE_E10value_typeEPNSK_ISF_E10value_typeEPSG_NS1_7vsmem_tEENKUlT_SE_SF_SG_E_clIS8_S8_S9_S9_EESD_ST_SE_SF_SG_EUlST_E_NS1_11comp_targetILNS1_3genE9ELNS1_11target_archE1100ELNS1_3gpuE3ELNS1_3repE0EEENS1_48merge_mergepath_partition_config_static_selectorELNS0_4arch9wavefront6targetE0EEEvSF_
	.p2align	8
	.type	_ZN7rocprim17ROCPRIM_400000_NS6detail17trampoline_kernelINS0_14default_configENS1_38merge_sort_block_merge_config_selectorIfNS0_10empty_typeEEEZZNS1_27merge_sort_block_merge_implIS3_PfPS5_jNS1_19radix_merge_compareILb1ELb0EfNS0_19identity_decomposerEEEEE10hipError_tT0_T1_T2_jT3_P12ihipStream_tbPNSt15iterator_traitsISE_E10value_typeEPNSK_ISF_E10value_typeEPSG_NS1_7vsmem_tEENKUlT_SE_SF_SG_E_clIS8_S8_S9_S9_EESD_ST_SE_SF_SG_EUlST_E_NS1_11comp_targetILNS1_3genE9ELNS1_11target_archE1100ELNS1_3gpuE3ELNS1_3repE0EEENS1_48merge_mergepath_partition_config_static_selectorELNS0_4arch9wavefront6targetE0EEEvSF_,@function
_ZN7rocprim17ROCPRIM_400000_NS6detail17trampoline_kernelINS0_14default_configENS1_38merge_sort_block_merge_config_selectorIfNS0_10empty_typeEEEZZNS1_27merge_sort_block_merge_implIS3_PfPS5_jNS1_19radix_merge_compareILb1ELb0EfNS0_19identity_decomposerEEEEE10hipError_tT0_T1_T2_jT3_P12ihipStream_tbPNSt15iterator_traitsISE_E10value_typeEPNSK_ISF_E10value_typeEPSG_NS1_7vsmem_tEENKUlT_SE_SF_SG_E_clIS8_S8_S9_S9_EESD_ST_SE_SF_SG_EUlST_E_NS1_11comp_targetILNS1_3genE9ELNS1_11target_archE1100ELNS1_3gpuE3ELNS1_3repE0EEENS1_48merge_mergepath_partition_config_static_selectorELNS0_4arch9wavefront6targetE0EEEvSF_: ; @_ZN7rocprim17ROCPRIM_400000_NS6detail17trampoline_kernelINS0_14default_configENS1_38merge_sort_block_merge_config_selectorIfNS0_10empty_typeEEEZZNS1_27merge_sort_block_merge_implIS3_PfPS5_jNS1_19radix_merge_compareILb1ELb0EfNS0_19identity_decomposerEEEEE10hipError_tT0_T1_T2_jT3_P12ihipStream_tbPNSt15iterator_traitsISE_E10value_typeEPNSK_ISF_E10value_typeEPSG_NS1_7vsmem_tEENKUlT_SE_SF_SG_E_clIS8_S8_S9_S9_EESD_ST_SE_SF_SG_EUlST_E_NS1_11comp_targetILNS1_3genE9ELNS1_11target_archE1100ELNS1_3gpuE3ELNS1_3repE0EEENS1_48merge_mergepath_partition_config_static_selectorELNS0_4arch9wavefront6targetE0EEEvSF_
; %bb.0:
	.section	.rodata,"a",@progbits
	.p2align	6, 0x0
	.amdhsa_kernel _ZN7rocprim17ROCPRIM_400000_NS6detail17trampoline_kernelINS0_14default_configENS1_38merge_sort_block_merge_config_selectorIfNS0_10empty_typeEEEZZNS1_27merge_sort_block_merge_implIS3_PfPS5_jNS1_19radix_merge_compareILb1ELb0EfNS0_19identity_decomposerEEEEE10hipError_tT0_T1_T2_jT3_P12ihipStream_tbPNSt15iterator_traitsISE_E10value_typeEPNSK_ISF_E10value_typeEPSG_NS1_7vsmem_tEENKUlT_SE_SF_SG_E_clIS8_S8_S9_S9_EESD_ST_SE_SF_SG_EUlST_E_NS1_11comp_targetILNS1_3genE9ELNS1_11target_archE1100ELNS1_3gpuE3ELNS1_3repE0EEENS1_48merge_mergepath_partition_config_static_selectorELNS0_4arch9wavefront6targetE0EEEvSF_
		.amdhsa_group_segment_fixed_size 0
		.amdhsa_private_segment_fixed_size 0
		.amdhsa_kernarg_size 40
		.amdhsa_user_sgpr_count 2
		.amdhsa_user_sgpr_dispatch_ptr 0
		.amdhsa_user_sgpr_queue_ptr 0
		.amdhsa_user_sgpr_kernarg_segment_ptr 1
		.amdhsa_user_sgpr_dispatch_id 0
		.amdhsa_user_sgpr_kernarg_preload_length 0
		.amdhsa_user_sgpr_kernarg_preload_offset 0
		.amdhsa_user_sgpr_private_segment_size 0
		.amdhsa_wavefront_size32 1
		.amdhsa_uses_dynamic_stack 0
		.amdhsa_enable_private_segment 0
		.amdhsa_system_sgpr_workgroup_id_x 1
		.amdhsa_system_sgpr_workgroup_id_y 0
		.amdhsa_system_sgpr_workgroup_id_z 0
		.amdhsa_system_sgpr_workgroup_info 0
		.amdhsa_system_vgpr_workitem_id 0
		.amdhsa_next_free_vgpr 1
		.amdhsa_next_free_sgpr 1
		.amdhsa_named_barrier_count 0
		.amdhsa_reserve_vcc 0
		.amdhsa_float_round_mode_32 0
		.amdhsa_float_round_mode_16_64 0
		.amdhsa_float_denorm_mode_32 3
		.amdhsa_float_denorm_mode_16_64 3
		.amdhsa_fp16_overflow 0
		.amdhsa_memory_ordered 1
		.amdhsa_forward_progress 1
		.amdhsa_inst_pref_size 0
		.amdhsa_round_robin_scheduling 0
		.amdhsa_exception_fp_ieee_invalid_op 0
		.amdhsa_exception_fp_denorm_src 0
		.amdhsa_exception_fp_ieee_div_zero 0
		.amdhsa_exception_fp_ieee_overflow 0
		.amdhsa_exception_fp_ieee_underflow 0
		.amdhsa_exception_fp_ieee_inexact 0
		.amdhsa_exception_int_div_zero 0
	.end_amdhsa_kernel
	.section	.text._ZN7rocprim17ROCPRIM_400000_NS6detail17trampoline_kernelINS0_14default_configENS1_38merge_sort_block_merge_config_selectorIfNS0_10empty_typeEEEZZNS1_27merge_sort_block_merge_implIS3_PfPS5_jNS1_19radix_merge_compareILb1ELb0EfNS0_19identity_decomposerEEEEE10hipError_tT0_T1_T2_jT3_P12ihipStream_tbPNSt15iterator_traitsISE_E10value_typeEPNSK_ISF_E10value_typeEPSG_NS1_7vsmem_tEENKUlT_SE_SF_SG_E_clIS8_S8_S9_S9_EESD_ST_SE_SF_SG_EUlST_E_NS1_11comp_targetILNS1_3genE9ELNS1_11target_archE1100ELNS1_3gpuE3ELNS1_3repE0EEENS1_48merge_mergepath_partition_config_static_selectorELNS0_4arch9wavefront6targetE0EEEvSF_,"axG",@progbits,_ZN7rocprim17ROCPRIM_400000_NS6detail17trampoline_kernelINS0_14default_configENS1_38merge_sort_block_merge_config_selectorIfNS0_10empty_typeEEEZZNS1_27merge_sort_block_merge_implIS3_PfPS5_jNS1_19radix_merge_compareILb1ELb0EfNS0_19identity_decomposerEEEEE10hipError_tT0_T1_T2_jT3_P12ihipStream_tbPNSt15iterator_traitsISE_E10value_typeEPNSK_ISF_E10value_typeEPSG_NS1_7vsmem_tEENKUlT_SE_SF_SG_E_clIS8_S8_S9_S9_EESD_ST_SE_SF_SG_EUlST_E_NS1_11comp_targetILNS1_3genE9ELNS1_11target_archE1100ELNS1_3gpuE3ELNS1_3repE0EEENS1_48merge_mergepath_partition_config_static_selectorELNS0_4arch9wavefront6targetE0EEEvSF_,comdat
.Lfunc_end1267:
	.size	_ZN7rocprim17ROCPRIM_400000_NS6detail17trampoline_kernelINS0_14default_configENS1_38merge_sort_block_merge_config_selectorIfNS0_10empty_typeEEEZZNS1_27merge_sort_block_merge_implIS3_PfPS5_jNS1_19radix_merge_compareILb1ELb0EfNS0_19identity_decomposerEEEEE10hipError_tT0_T1_T2_jT3_P12ihipStream_tbPNSt15iterator_traitsISE_E10value_typeEPNSK_ISF_E10value_typeEPSG_NS1_7vsmem_tEENKUlT_SE_SF_SG_E_clIS8_S8_S9_S9_EESD_ST_SE_SF_SG_EUlST_E_NS1_11comp_targetILNS1_3genE9ELNS1_11target_archE1100ELNS1_3gpuE3ELNS1_3repE0EEENS1_48merge_mergepath_partition_config_static_selectorELNS0_4arch9wavefront6targetE0EEEvSF_, .Lfunc_end1267-_ZN7rocprim17ROCPRIM_400000_NS6detail17trampoline_kernelINS0_14default_configENS1_38merge_sort_block_merge_config_selectorIfNS0_10empty_typeEEEZZNS1_27merge_sort_block_merge_implIS3_PfPS5_jNS1_19radix_merge_compareILb1ELb0EfNS0_19identity_decomposerEEEEE10hipError_tT0_T1_T2_jT3_P12ihipStream_tbPNSt15iterator_traitsISE_E10value_typeEPNSK_ISF_E10value_typeEPSG_NS1_7vsmem_tEENKUlT_SE_SF_SG_E_clIS8_S8_S9_S9_EESD_ST_SE_SF_SG_EUlST_E_NS1_11comp_targetILNS1_3genE9ELNS1_11target_archE1100ELNS1_3gpuE3ELNS1_3repE0EEENS1_48merge_mergepath_partition_config_static_selectorELNS0_4arch9wavefront6targetE0EEEvSF_
                                        ; -- End function
	.set _ZN7rocprim17ROCPRIM_400000_NS6detail17trampoline_kernelINS0_14default_configENS1_38merge_sort_block_merge_config_selectorIfNS0_10empty_typeEEEZZNS1_27merge_sort_block_merge_implIS3_PfPS5_jNS1_19radix_merge_compareILb1ELb0EfNS0_19identity_decomposerEEEEE10hipError_tT0_T1_T2_jT3_P12ihipStream_tbPNSt15iterator_traitsISE_E10value_typeEPNSK_ISF_E10value_typeEPSG_NS1_7vsmem_tEENKUlT_SE_SF_SG_E_clIS8_S8_S9_S9_EESD_ST_SE_SF_SG_EUlST_E_NS1_11comp_targetILNS1_3genE9ELNS1_11target_archE1100ELNS1_3gpuE3ELNS1_3repE0EEENS1_48merge_mergepath_partition_config_static_selectorELNS0_4arch9wavefront6targetE0EEEvSF_.num_vgpr, 0
	.set _ZN7rocprim17ROCPRIM_400000_NS6detail17trampoline_kernelINS0_14default_configENS1_38merge_sort_block_merge_config_selectorIfNS0_10empty_typeEEEZZNS1_27merge_sort_block_merge_implIS3_PfPS5_jNS1_19radix_merge_compareILb1ELb0EfNS0_19identity_decomposerEEEEE10hipError_tT0_T1_T2_jT3_P12ihipStream_tbPNSt15iterator_traitsISE_E10value_typeEPNSK_ISF_E10value_typeEPSG_NS1_7vsmem_tEENKUlT_SE_SF_SG_E_clIS8_S8_S9_S9_EESD_ST_SE_SF_SG_EUlST_E_NS1_11comp_targetILNS1_3genE9ELNS1_11target_archE1100ELNS1_3gpuE3ELNS1_3repE0EEENS1_48merge_mergepath_partition_config_static_selectorELNS0_4arch9wavefront6targetE0EEEvSF_.num_agpr, 0
	.set _ZN7rocprim17ROCPRIM_400000_NS6detail17trampoline_kernelINS0_14default_configENS1_38merge_sort_block_merge_config_selectorIfNS0_10empty_typeEEEZZNS1_27merge_sort_block_merge_implIS3_PfPS5_jNS1_19radix_merge_compareILb1ELb0EfNS0_19identity_decomposerEEEEE10hipError_tT0_T1_T2_jT3_P12ihipStream_tbPNSt15iterator_traitsISE_E10value_typeEPNSK_ISF_E10value_typeEPSG_NS1_7vsmem_tEENKUlT_SE_SF_SG_E_clIS8_S8_S9_S9_EESD_ST_SE_SF_SG_EUlST_E_NS1_11comp_targetILNS1_3genE9ELNS1_11target_archE1100ELNS1_3gpuE3ELNS1_3repE0EEENS1_48merge_mergepath_partition_config_static_selectorELNS0_4arch9wavefront6targetE0EEEvSF_.numbered_sgpr, 0
	.set _ZN7rocprim17ROCPRIM_400000_NS6detail17trampoline_kernelINS0_14default_configENS1_38merge_sort_block_merge_config_selectorIfNS0_10empty_typeEEEZZNS1_27merge_sort_block_merge_implIS3_PfPS5_jNS1_19radix_merge_compareILb1ELb0EfNS0_19identity_decomposerEEEEE10hipError_tT0_T1_T2_jT3_P12ihipStream_tbPNSt15iterator_traitsISE_E10value_typeEPNSK_ISF_E10value_typeEPSG_NS1_7vsmem_tEENKUlT_SE_SF_SG_E_clIS8_S8_S9_S9_EESD_ST_SE_SF_SG_EUlST_E_NS1_11comp_targetILNS1_3genE9ELNS1_11target_archE1100ELNS1_3gpuE3ELNS1_3repE0EEENS1_48merge_mergepath_partition_config_static_selectorELNS0_4arch9wavefront6targetE0EEEvSF_.num_named_barrier, 0
	.set _ZN7rocprim17ROCPRIM_400000_NS6detail17trampoline_kernelINS0_14default_configENS1_38merge_sort_block_merge_config_selectorIfNS0_10empty_typeEEEZZNS1_27merge_sort_block_merge_implIS3_PfPS5_jNS1_19radix_merge_compareILb1ELb0EfNS0_19identity_decomposerEEEEE10hipError_tT0_T1_T2_jT3_P12ihipStream_tbPNSt15iterator_traitsISE_E10value_typeEPNSK_ISF_E10value_typeEPSG_NS1_7vsmem_tEENKUlT_SE_SF_SG_E_clIS8_S8_S9_S9_EESD_ST_SE_SF_SG_EUlST_E_NS1_11comp_targetILNS1_3genE9ELNS1_11target_archE1100ELNS1_3gpuE3ELNS1_3repE0EEENS1_48merge_mergepath_partition_config_static_selectorELNS0_4arch9wavefront6targetE0EEEvSF_.private_seg_size, 0
	.set _ZN7rocprim17ROCPRIM_400000_NS6detail17trampoline_kernelINS0_14default_configENS1_38merge_sort_block_merge_config_selectorIfNS0_10empty_typeEEEZZNS1_27merge_sort_block_merge_implIS3_PfPS5_jNS1_19radix_merge_compareILb1ELb0EfNS0_19identity_decomposerEEEEE10hipError_tT0_T1_T2_jT3_P12ihipStream_tbPNSt15iterator_traitsISE_E10value_typeEPNSK_ISF_E10value_typeEPSG_NS1_7vsmem_tEENKUlT_SE_SF_SG_E_clIS8_S8_S9_S9_EESD_ST_SE_SF_SG_EUlST_E_NS1_11comp_targetILNS1_3genE9ELNS1_11target_archE1100ELNS1_3gpuE3ELNS1_3repE0EEENS1_48merge_mergepath_partition_config_static_selectorELNS0_4arch9wavefront6targetE0EEEvSF_.uses_vcc, 0
	.set _ZN7rocprim17ROCPRIM_400000_NS6detail17trampoline_kernelINS0_14default_configENS1_38merge_sort_block_merge_config_selectorIfNS0_10empty_typeEEEZZNS1_27merge_sort_block_merge_implIS3_PfPS5_jNS1_19radix_merge_compareILb1ELb0EfNS0_19identity_decomposerEEEEE10hipError_tT0_T1_T2_jT3_P12ihipStream_tbPNSt15iterator_traitsISE_E10value_typeEPNSK_ISF_E10value_typeEPSG_NS1_7vsmem_tEENKUlT_SE_SF_SG_E_clIS8_S8_S9_S9_EESD_ST_SE_SF_SG_EUlST_E_NS1_11comp_targetILNS1_3genE9ELNS1_11target_archE1100ELNS1_3gpuE3ELNS1_3repE0EEENS1_48merge_mergepath_partition_config_static_selectorELNS0_4arch9wavefront6targetE0EEEvSF_.uses_flat_scratch, 0
	.set _ZN7rocprim17ROCPRIM_400000_NS6detail17trampoline_kernelINS0_14default_configENS1_38merge_sort_block_merge_config_selectorIfNS0_10empty_typeEEEZZNS1_27merge_sort_block_merge_implIS3_PfPS5_jNS1_19radix_merge_compareILb1ELb0EfNS0_19identity_decomposerEEEEE10hipError_tT0_T1_T2_jT3_P12ihipStream_tbPNSt15iterator_traitsISE_E10value_typeEPNSK_ISF_E10value_typeEPSG_NS1_7vsmem_tEENKUlT_SE_SF_SG_E_clIS8_S8_S9_S9_EESD_ST_SE_SF_SG_EUlST_E_NS1_11comp_targetILNS1_3genE9ELNS1_11target_archE1100ELNS1_3gpuE3ELNS1_3repE0EEENS1_48merge_mergepath_partition_config_static_selectorELNS0_4arch9wavefront6targetE0EEEvSF_.has_dyn_sized_stack, 0
	.set _ZN7rocprim17ROCPRIM_400000_NS6detail17trampoline_kernelINS0_14default_configENS1_38merge_sort_block_merge_config_selectorIfNS0_10empty_typeEEEZZNS1_27merge_sort_block_merge_implIS3_PfPS5_jNS1_19radix_merge_compareILb1ELb0EfNS0_19identity_decomposerEEEEE10hipError_tT0_T1_T2_jT3_P12ihipStream_tbPNSt15iterator_traitsISE_E10value_typeEPNSK_ISF_E10value_typeEPSG_NS1_7vsmem_tEENKUlT_SE_SF_SG_E_clIS8_S8_S9_S9_EESD_ST_SE_SF_SG_EUlST_E_NS1_11comp_targetILNS1_3genE9ELNS1_11target_archE1100ELNS1_3gpuE3ELNS1_3repE0EEENS1_48merge_mergepath_partition_config_static_selectorELNS0_4arch9wavefront6targetE0EEEvSF_.has_recursion, 0
	.set _ZN7rocprim17ROCPRIM_400000_NS6detail17trampoline_kernelINS0_14default_configENS1_38merge_sort_block_merge_config_selectorIfNS0_10empty_typeEEEZZNS1_27merge_sort_block_merge_implIS3_PfPS5_jNS1_19radix_merge_compareILb1ELb0EfNS0_19identity_decomposerEEEEE10hipError_tT0_T1_T2_jT3_P12ihipStream_tbPNSt15iterator_traitsISE_E10value_typeEPNSK_ISF_E10value_typeEPSG_NS1_7vsmem_tEENKUlT_SE_SF_SG_E_clIS8_S8_S9_S9_EESD_ST_SE_SF_SG_EUlST_E_NS1_11comp_targetILNS1_3genE9ELNS1_11target_archE1100ELNS1_3gpuE3ELNS1_3repE0EEENS1_48merge_mergepath_partition_config_static_selectorELNS0_4arch9wavefront6targetE0EEEvSF_.has_indirect_call, 0
	.section	.AMDGPU.csdata,"",@progbits
; Kernel info:
; codeLenInByte = 0
; TotalNumSgprs: 0
; NumVgprs: 0
; ScratchSize: 0
; MemoryBound: 0
; FloatMode: 240
; IeeeMode: 1
; LDSByteSize: 0 bytes/workgroup (compile time only)
; SGPRBlocks: 0
; VGPRBlocks: 0
; NumSGPRsForWavesPerEU: 1
; NumVGPRsForWavesPerEU: 1
; NamedBarCnt: 0
; Occupancy: 16
; WaveLimiterHint : 0
; COMPUTE_PGM_RSRC2:SCRATCH_EN: 0
; COMPUTE_PGM_RSRC2:USER_SGPR: 2
; COMPUTE_PGM_RSRC2:TRAP_HANDLER: 0
; COMPUTE_PGM_RSRC2:TGID_X_EN: 1
; COMPUTE_PGM_RSRC2:TGID_Y_EN: 0
; COMPUTE_PGM_RSRC2:TGID_Z_EN: 0
; COMPUTE_PGM_RSRC2:TIDIG_COMP_CNT: 0
	.section	.text._ZN7rocprim17ROCPRIM_400000_NS6detail17trampoline_kernelINS0_14default_configENS1_38merge_sort_block_merge_config_selectorIfNS0_10empty_typeEEEZZNS1_27merge_sort_block_merge_implIS3_PfPS5_jNS1_19radix_merge_compareILb1ELb0EfNS0_19identity_decomposerEEEEE10hipError_tT0_T1_T2_jT3_P12ihipStream_tbPNSt15iterator_traitsISE_E10value_typeEPNSK_ISF_E10value_typeEPSG_NS1_7vsmem_tEENKUlT_SE_SF_SG_E_clIS8_S8_S9_S9_EESD_ST_SE_SF_SG_EUlST_E_NS1_11comp_targetILNS1_3genE8ELNS1_11target_archE1030ELNS1_3gpuE2ELNS1_3repE0EEENS1_48merge_mergepath_partition_config_static_selectorELNS0_4arch9wavefront6targetE0EEEvSF_,"axG",@progbits,_ZN7rocprim17ROCPRIM_400000_NS6detail17trampoline_kernelINS0_14default_configENS1_38merge_sort_block_merge_config_selectorIfNS0_10empty_typeEEEZZNS1_27merge_sort_block_merge_implIS3_PfPS5_jNS1_19radix_merge_compareILb1ELb0EfNS0_19identity_decomposerEEEEE10hipError_tT0_T1_T2_jT3_P12ihipStream_tbPNSt15iterator_traitsISE_E10value_typeEPNSK_ISF_E10value_typeEPSG_NS1_7vsmem_tEENKUlT_SE_SF_SG_E_clIS8_S8_S9_S9_EESD_ST_SE_SF_SG_EUlST_E_NS1_11comp_targetILNS1_3genE8ELNS1_11target_archE1030ELNS1_3gpuE2ELNS1_3repE0EEENS1_48merge_mergepath_partition_config_static_selectorELNS0_4arch9wavefront6targetE0EEEvSF_,comdat
	.protected	_ZN7rocprim17ROCPRIM_400000_NS6detail17trampoline_kernelINS0_14default_configENS1_38merge_sort_block_merge_config_selectorIfNS0_10empty_typeEEEZZNS1_27merge_sort_block_merge_implIS3_PfPS5_jNS1_19radix_merge_compareILb1ELb0EfNS0_19identity_decomposerEEEEE10hipError_tT0_T1_T2_jT3_P12ihipStream_tbPNSt15iterator_traitsISE_E10value_typeEPNSK_ISF_E10value_typeEPSG_NS1_7vsmem_tEENKUlT_SE_SF_SG_E_clIS8_S8_S9_S9_EESD_ST_SE_SF_SG_EUlST_E_NS1_11comp_targetILNS1_3genE8ELNS1_11target_archE1030ELNS1_3gpuE2ELNS1_3repE0EEENS1_48merge_mergepath_partition_config_static_selectorELNS0_4arch9wavefront6targetE0EEEvSF_ ; -- Begin function _ZN7rocprim17ROCPRIM_400000_NS6detail17trampoline_kernelINS0_14default_configENS1_38merge_sort_block_merge_config_selectorIfNS0_10empty_typeEEEZZNS1_27merge_sort_block_merge_implIS3_PfPS5_jNS1_19radix_merge_compareILb1ELb0EfNS0_19identity_decomposerEEEEE10hipError_tT0_T1_T2_jT3_P12ihipStream_tbPNSt15iterator_traitsISE_E10value_typeEPNSK_ISF_E10value_typeEPSG_NS1_7vsmem_tEENKUlT_SE_SF_SG_E_clIS8_S8_S9_S9_EESD_ST_SE_SF_SG_EUlST_E_NS1_11comp_targetILNS1_3genE8ELNS1_11target_archE1030ELNS1_3gpuE2ELNS1_3repE0EEENS1_48merge_mergepath_partition_config_static_selectorELNS0_4arch9wavefront6targetE0EEEvSF_
	.globl	_ZN7rocprim17ROCPRIM_400000_NS6detail17trampoline_kernelINS0_14default_configENS1_38merge_sort_block_merge_config_selectorIfNS0_10empty_typeEEEZZNS1_27merge_sort_block_merge_implIS3_PfPS5_jNS1_19radix_merge_compareILb1ELb0EfNS0_19identity_decomposerEEEEE10hipError_tT0_T1_T2_jT3_P12ihipStream_tbPNSt15iterator_traitsISE_E10value_typeEPNSK_ISF_E10value_typeEPSG_NS1_7vsmem_tEENKUlT_SE_SF_SG_E_clIS8_S8_S9_S9_EESD_ST_SE_SF_SG_EUlST_E_NS1_11comp_targetILNS1_3genE8ELNS1_11target_archE1030ELNS1_3gpuE2ELNS1_3repE0EEENS1_48merge_mergepath_partition_config_static_selectorELNS0_4arch9wavefront6targetE0EEEvSF_
	.p2align	8
	.type	_ZN7rocprim17ROCPRIM_400000_NS6detail17trampoline_kernelINS0_14default_configENS1_38merge_sort_block_merge_config_selectorIfNS0_10empty_typeEEEZZNS1_27merge_sort_block_merge_implIS3_PfPS5_jNS1_19radix_merge_compareILb1ELb0EfNS0_19identity_decomposerEEEEE10hipError_tT0_T1_T2_jT3_P12ihipStream_tbPNSt15iterator_traitsISE_E10value_typeEPNSK_ISF_E10value_typeEPSG_NS1_7vsmem_tEENKUlT_SE_SF_SG_E_clIS8_S8_S9_S9_EESD_ST_SE_SF_SG_EUlST_E_NS1_11comp_targetILNS1_3genE8ELNS1_11target_archE1030ELNS1_3gpuE2ELNS1_3repE0EEENS1_48merge_mergepath_partition_config_static_selectorELNS0_4arch9wavefront6targetE0EEEvSF_,@function
_ZN7rocprim17ROCPRIM_400000_NS6detail17trampoline_kernelINS0_14default_configENS1_38merge_sort_block_merge_config_selectorIfNS0_10empty_typeEEEZZNS1_27merge_sort_block_merge_implIS3_PfPS5_jNS1_19radix_merge_compareILb1ELb0EfNS0_19identity_decomposerEEEEE10hipError_tT0_T1_T2_jT3_P12ihipStream_tbPNSt15iterator_traitsISE_E10value_typeEPNSK_ISF_E10value_typeEPSG_NS1_7vsmem_tEENKUlT_SE_SF_SG_E_clIS8_S8_S9_S9_EESD_ST_SE_SF_SG_EUlST_E_NS1_11comp_targetILNS1_3genE8ELNS1_11target_archE1030ELNS1_3gpuE2ELNS1_3repE0EEENS1_48merge_mergepath_partition_config_static_selectorELNS0_4arch9wavefront6targetE0EEEvSF_: ; @_ZN7rocprim17ROCPRIM_400000_NS6detail17trampoline_kernelINS0_14default_configENS1_38merge_sort_block_merge_config_selectorIfNS0_10empty_typeEEEZZNS1_27merge_sort_block_merge_implIS3_PfPS5_jNS1_19radix_merge_compareILb1ELb0EfNS0_19identity_decomposerEEEEE10hipError_tT0_T1_T2_jT3_P12ihipStream_tbPNSt15iterator_traitsISE_E10value_typeEPNSK_ISF_E10value_typeEPSG_NS1_7vsmem_tEENKUlT_SE_SF_SG_E_clIS8_S8_S9_S9_EESD_ST_SE_SF_SG_EUlST_E_NS1_11comp_targetILNS1_3genE8ELNS1_11target_archE1030ELNS1_3gpuE2ELNS1_3repE0EEENS1_48merge_mergepath_partition_config_static_selectorELNS0_4arch9wavefront6targetE0EEEvSF_
; %bb.0:
	.section	.rodata,"a",@progbits
	.p2align	6, 0x0
	.amdhsa_kernel _ZN7rocprim17ROCPRIM_400000_NS6detail17trampoline_kernelINS0_14default_configENS1_38merge_sort_block_merge_config_selectorIfNS0_10empty_typeEEEZZNS1_27merge_sort_block_merge_implIS3_PfPS5_jNS1_19radix_merge_compareILb1ELb0EfNS0_19identity_decomposerEEEEE10hipError_tT0_T1_T2_jT3_P12ihipStream_tbPNSt15iterator_traitsISE_E10value_typeEPNSK_ISF_E10value_typeEPSG_NS1_7vsmem_tEENKUlT_SE_SF_SG_E_clIS8_S8_S9_S9_EESD_ST_SE_SF_SG_EUlST_E_NS1_11comp_targetILNS1_3genE8ELNS1_11target_archE1030ELNS1_3gpuE2ELNS1_3repE0EEENS1_48merge_mergepath_partition_config_static_selectorELNS0_4arch9wavefront6targetE0EEEvSF_
		.amdhsa_group_segment_fixed_size 0
		.amdhsa_private_segment_fixed_size 0
		.amdhsa_kernarg_size 40
		.amdhsa_user_sgpr_count 2
		.amdhsa_user_sgpr_dispatch_ptr 0
		.amdhsa_user_sgpr_queue_ptr 0
		.amdhsa_user_sgpr_kernarg_segment_ptr 1
		.amdhsa_user_sgpr_dispatch_id 0
		.amdhsa_user_sgpr_kernarg_preload_length 0
		.amdhsa_user_sgpr_kernarg_preload_offset 0
		.amdhsa_user_sgpr_private_segment_size 0
		.amdhsa_wavefront_size32 1
		.amdhsa_uses_dynamic_stack 0
		.amdhsa_enable_private_segment 0
		.amdhsa_system_sgpr_workgroup_id_x 1
		.amdhsa_system_sgpr_workgroup_id_y 0
		.amdhsa_system_sgpr_workgroup_id_z 0
		.amdhsa_system_sgpr_workgroup_info 0
		.amdhsa_system_vgpr_workitem_id 0
		.amdhsa_next_free_vgpr 1
		.amdhsa_next_free_sgpr 1
		.amdhsa_named_barrier_count 0
		.amdhsa_reserve_vcc 0
		.amdhsa_float_round_mode_32 0
		.amdhsa_float_round_mode_16_64 0
		.amdhsa_float_denorm_mode_32 3
		.amdhsa_float_denorm_mode_16_64 3
		.amdhsa_fp16_overflow 0
		.amdhsa_memory_ordered 1
		.amdhsa_forward_progress 1
		.amdhsa_inst_pref_size 0
		.amdhsa_round_robin_scheduling 0
		.amdhsa_exception_fp_ieee_invalid_op 0
		.amdhsa_exception_fp_denorm_src 0
		.amdhsa_exception_fp_ieee_div_zero 0
		.amdhsa_exception_fp_ieee_overflow 0
		.amdhsa_exception_fp_ieee_underflow 0
		.amdhsa_exception_fp_ieee_inexact 0
		.amdhsa_exception_int_div_zero 0
	.end_amdhsa_kernel
	.section	.text._ZN7rocprim17ROCPRIM_400000_NS6detail17trampoline_kernelINS0_14default_configENS1_38merge_sort_block_merge_config_selectorIfNS0_10empty_typeEEEZZNS1_27merge_sort_block_merge_implIS3_PfPS5_jNS1_19radix_merge_compareILb1ELb0EfNS0_19identity_decomposerEEEEE10hipError_tT0_T1_T2_jT3_P12ihipStream_tbPNSt15iterator_traitsISE_E10value_typeEPNSK_ISF_E10value_typeEPSG_NS1_7vsmem_tEENKUlT_SE_SF_SG_E_clIS8_S8_S9_S9_EESD_ST_SE_SF_SG_EUlST_E_NS1_11comp_targetILNS1_3genE8ELNS1_11target_archE1030ELNS1_3gpuE2ELNS1_3repE0EEENS1_48merge_mergepath_partition_config_static_selectorELNS0_4arch9wavefront6targetE0EEEvSF_,"axG",@progbits,_ZN7rocprim17ROCPRIM_400000_NS6detail17trampoline_kernelINS0_14default_configENS1_38merge_sort_block_merge_config_selectorIfNS0_10empty_typeEEEZZNS1_27merge_sort_block_merge_implIS3_PfPS5_jNS1_19radix_merge_compareILb1ELb0EfNS0_19identity_decomposerEEEEE10hipError_tT0_T1_T2_jT3_P12ihipStream_tbPNSt15iterator_traitsISE_E10value_typeEPNSK_ISF_E10value_typeEPSG_NS1_7vsmem_tEENKUlT_SE_SF_SG_E_clIS8_S8_S9_S9_EESD_ST_SE_SF_SG_EUlST_E_NS1_11comp_targetILNS1_3genE8ELNS1_11target_archE1030ELNS1_3gpuE2ELNS1_3repE0EEENS1_48merge_mergepath_partition_config_static_selectorELNS0_4arch9wavefront6targetE0EEEvSF_,comdat
.Lfunc_end1268:
	.size	_ZN7rocprim17ROCPRIM_400000_NS6detail17trampoline_kernelINS0_14default_configENS1_38merge_sort_block_merge_config_selectorIfNS0_10empty_typeEEEZZNS1_27merge_sort_block_merge_implIS3_PfPS5_jNS1_19radix_merge_compareILb1ELb0EfNS0_19identity_decomposerEEEEE10hipError_tT0_T1_T2_jT3_P12ihipStream_tbPNSt15iterator_traitsISE_E10value_typeEPNSK_ISF_E10value_typeEPSG_NS1_7vsmem_tEENKUlT_SE_SF_SG_E_clIS8_S8_S9_S9_EESD_ST_SE_SF_SG_EUlST_E_NS1_11comp_targetILNS1_3genE8ELNS1_11target_archE1030ELNS1_3gpuE2ELNS1_3repE0EEENS1_48merge_mergepath_partition_config_static_selectorELNS0_4arch9wavefront6targetE0EEEvSF_, .Lfunc_end1268-_ZN7rocprim17ROCPRIM_400000_NS6detail17trampoline_kernelINS0_14default_configENS1_38merge_sort_block_merge_config_selectorIfNS0_10empty_typeEEEZZNS1_27merge_sort_block_merge_implIS3_PfPS5_jNS1_19radix_merge_compareILb1ELb0EfNS0_19identity_decomposerEEEEE10hipError_tT0_T1_T2_jT3_P12ihipStream_tbPNSt15iterator_traitsISE_E10value_typeEPNSK_ISF_E10value_typeEPSG_NS1_7vsmem_tEENKUlT_SE_SF_SG_E_clIS8_S8_S9_S9_EESD_ST_SE_SF_SG_EUlST_E_NS1_11comp_targetILNS1_3genE8ELNS1_11target_archE1030ELNS1_3gpuE2ELNS1_3repE0EEENS1_48merge_mergepath_partition_config_static_selectorELNS0_4arch9wavefront6targetE0EEEvSF_
                                        ; -- End function
	.set _ZN7rocprim17ROCPRIM_400000_NS6detail17trampoline_kernelINS0_14default_configENS1_38merge_sort_block_merge_config_selectorIfNS0_10empty_typeEEEZZNS1_27merge_sort_block_merge_implIS3_PfPS5_jNS1_19radix_merge_compareILb1ELb0EfNS0_19identity_decomposerEEEEE10hipError_tT0_T1_T2_jT3_P12ihipStream_tbPNSt15iterator_traitsISE_E10value_typeEPNSK_ISF_E10value_typeEPSG_NS1_7vsmem_tEENKUlT_SE_SF_SG_E_clIS8_S8_S9_S9_EESD_ST_SE_SF_SG_EUlST_E_NS1_11comp_targetILNS1_3genE8ELNS1_11target_archE1030ELNS1_3gpuE2ELNS1_3repE0EEENS1_48merge_mergepath_partition_config_static_selectorELNS0_4arch9wavefront6targetE0EEEvSF_.num_vgpr, 0
	.set _ZN7rocprim17ROCPRIM_400000_NS6detail17trampoline_kernelINS0_14default_configENS1_38merge_sort_block_merge_config_selectorIfNS0_10empty_typeEEEZZNS1_27merge_sort_block_merge_implIS3_PfPS5_jNS1_19radix_merge_compareILb1ELb0EfNS0_19identity_decomposerEEEEE10hipError_tT0_T1_T2_jT3_P12ihipStream_tbPNSt15iterator_traitsISE_E10value_typeEPNSK_ISF_E10value_typeEPSG_NS1_7vsmem_tEENKUlT_SE_SF_SG_E_clIS8_S8_S9_S9_EESD_ST_SE_SF_SG_EUlST_E_NS1_11comp_targetILNS1_3genE8ELNS1_11target_archE1030ELNS1_3gpuE2ELNS1_3repE0EEENS1_48merge_mergepath_partition_config_static_selectorELNS0_4arch9wavefront6targetE0EEEvSF_.num_agpr, 0
	.set _ZN7rocprim17ROCPRIM_400000_NS6detail17trampoline_kernelINS0_14default_configENS1_38merge_sort_block_merge_config_selectorIfNS0_10empty_typeEEEZZNS1_27merge_sort_block_merge_implIS3_PfPS5_jNS1_19radix_merge_compareILb1ELb0EfNS0_19identity_decomposerEEEEE10hipError_tT0_T1_T2_jT3_P12ihipStream_tbPNSt15iterator_traitsISE_E10value_typeEPNSK_ISF_E10value_typeEPSG_NS1_7vsmem_tEENKUlT_SE_SF_SG_E_clIS8_S8_S9_S9_EESD_ST_SE_SF_SG_EUlST_E_NS1_11comp_targetILNS1_3genE8ELNS1_11target_archE1030ELNS1_3gpuE2ELNS1_3repE0EEENS1_48merge_mergepath_partition_config_static_selectorELNS0_4arch9wavefront6targetE0EEEvSF_.numbered_sgpr, 0
	.set _ZN7rocprim17ROCPRIM_400000_NS6detail17trampoline_kernelINS0_14default_configENS1_38merge_sort_block_merge_config_selectorIfNS0_10empty_typeEEEZZNS1_27merge_sort_block_merge_implIS3_PfPS5_jNS1_19radix_merge_compareILb1ELb0EfNS0_19identity_decomposerEEEEE10hipError_tT0_T1_T2_jT3_P12ihipStream_tbPNSt15iterator_traitsISE_E10value_typeEPNSK_ISF_E10value_typeEPSG_NS1_7vsmem_tEENKUlT_SE_SF_SG_E_clIS8_S8_S9_S9_EESD_ST_SE_SF_SG_EUlST_E_NS1_11comp_targetILNS1_3genE8ELNS1_11target_archE1030ELNS1_3gpuE2ELNS1_3repE0EEENS1_48merge_mergepath_partition_config_static_selectorELNS0_4arch9wavefront6targetE0EEEvSF_.num_named_barrier, 0
	.set _ZN7rocprim17ROCPRIM_400000_NS6detail17trampoline_kernelINS0_14default_configENS1_38merge_sort_block_merge_config_selectorIfNS0_10empty_typeEEEZZNS1_27merge_sort_block_merge_implIS3_PfPS5_jNS1_19radix_merge_compareILb1ELb0EfNS0_19identity_decomposerEEEEE10hipError_tT0_T1_T2_jT3_P12ihipStream_tbPNSt15iterator_traitsISE_E10value_typeEPNSK_ISF_E10value_typeEPSG_NS1_7vsmem_tEENKUlT_SE_SF_SG_E_clIS8_S8_S9_S9_EESD_ST_SE_SF_SG_EUlST_E_NS1_11comp_targetILNS1_3genE8ELNS1_11target_archE1030ELNS1_3gpuE2ELNS1_3repE0EEENS1_48merge_mergepath_partition_config_static_selectorELNS0_4arch9wavefront6targetE0EEEvSF_.private_seg_size, 0
	.set _ZN7rocprim17ROCPRIM_400000_NS6detail17trampoline_kernelINS0_14default_configENS1_38merge_sort_block_merge_config_selectorIfNS0_10empty_typeEEEZZNS1_27merge_sort_block_merge_implIS3_PfPS5_jNS1_19radix_merge_compareILb1ELb0EfNS0_19identity_decomposerEEEEE10hipError_tT0_T1_T2_jT3_P12ihipStream_tbPNSt15iterator_traitsISE_E10value_typeEPNSK_ISF_E10value_typeEPSG_NS1_7vsmem_tEENKUlT_SE_SF_SG_E_clIS8_S8_S9_S9_EESD_ST_SE_SF_SG_EUlST_E_NS1_11comp_targetILNS1_3genE8ELNS1_11target_archE1030ELNS1_3gpuE2ELNS1_3repE0EEENS1_48merge_mergepath_partition_config_static_selectorELNS0_4arch9wavefront6targetE0EEEvSF_.uses_vcc, 0
	.set _ZN7rocprim17ROCPRIM_400000_NS6detail17trampoline_kernelINS0_14default_configENS1_38merge_sort_block_merge_config_selectorIfNS0_10empty_typeEEEZZNS1_27merge_sort_block_merge_implIS3_PfPS5_jNS1_19radix_merge_compareILb1ELb0EfNS0_19identity_decomposerEEEEE10hipError_tT0_T1_T2_jT3_P12ihipStream_tbPNSt15iterator_traitsISE_E10value_typeEPNSK_ISF_E10value_typeEPSG_NS1_7vsmem_tEENKUlT_SE_SF_SG_E_clIS8_S8_S9_S9_EESD_ST_SE_SF_SG_EUlST_E_NS1_11comp_targetILNS1_3genE8ELNS1_11target_archE1030ELNS1_3gpuE2ELNS1_3repE0EEENS1_48merge_mergepath_partition_config_static_selectorELNS0_4arch9wavefront6targetE0EEEvSF_.uses_flat_scratch, 0
	.set _ZN7rocprim17ROCPRIM_400000_NS6detail17trampoline_kernelINS0_14default_configENS1_38merge_sort_block_merge_config_selectorIfNS0_10empty_typeEEEZZNS1_27merge_sort_block_merge_implIS3_PfPS5_jNS1_19radix_merge_compareILb1ELb0EfNS0_19identity_decomposerEEEEE10hipError_tT0_T1_T2_jT3_P12ihipStream_tbPNSt15iterator_traitsISE_E10value_typeEPNSK_ISF_E10value_typeEPSG_NS1_7vsmem_tEENKUlT_SE_SF_SG_E_clIS8_S8_S9_S9_EESD_ST_SE_SF_SG_EUlST_E_NS1_11comp_targetILNS1_3genE8ELNS1_11target_archE1030ELNS1_3gpuE2ELNS1_3repE0EEENS1_48merge_mergepath_partition_config_static_selectorELNS0_4arch9wavefront6targetE0EEEvSF_.has_dyn_sized_stack, 0
	.set _ZN7rocprim17ROCPRIM_400000_NS6detail17trampoline_kernelINS0_14default_configENS1_38merge_sort_block_merge_config_selectorIfNS0_10empty_typeEEEZZNS1_27merge_sort_block_merge_implIS3_PfPS5_jNS1_19radix_merge_compareILb1ELb0EfNS0_19identity_decomposerEEEEE10hipError_tT0_T1_T2_jT3_P12ihipStream_tbPNSt15iterator_traitsISE_E10value_typeEPNSK_ISF_E10value_typeEPSG_NS1_7vsmem_tEENKUlT_SE_SF_SG_E_clIS8_S8_S9_S9_EESD_ST_SE_SF_SG_EUlST_E_NS1_11comp_targetILNS1_3genE8ELNS1_11target_archE1030ELNS1_3gpuE2ELNS1_3repE0EEENS1_48merge_mergepath_partition_config_static_selectorELNS0_4arch9wavefront6targetE0EEEvSF_.has_recursion, 0
	.set _ZN7rocprim17ROCPRIM_400000_NS6detail17trampoline_kernelINS0_14default_configENS1_38merge_sort_block_merge_config_selectorIfNS0_10empty_typeEEEZZNS1_27merge_sort_block_merge_implIS3_PfPS5_jNS1_19radix_merge_compareILb1ELb0EfNS0_19identity_decomposerEEEEE10hipError_tT0_T1_T2_jT3_P12ihipStream_tbPNSt15iterator_traitsISE_E10value_typeEPNSK_ISF_E10value_typeEPSG_NS1_7vsmem_tEENKUlT_SE_SF_SG_E_clIS8_S8_S9_S9_EESD_ST_SE_SF_SG_EUlST_E_NS1_11comp_targetILNS1_3genE8ELNS1_11target_archE1030ELNS1_3gpuE2ELNS1_3repE0EEENS1_48merge_mergepath_partition_config_static_selectorELNS0_4arch9wavefront6targetE0EEEvSF_.has_indirect_call, 0
	.section	.AMDGPU.csdata,"",@progbits
; Kernel info:
; codeLenInByte = 0
; TotalNumSgprs: 0
; NumVgprs: 0
; ScratchSize: 0
; MemoryBound: 0
; FloatMode: 240
; IeeeMode: 1
; LDSByteSize: 0 bytes/workgroup (compile time only)
; SGPRBlocks: 0
; VGPRBlocks: 0
; NumSGPRsForWavesPerEU: 1
; NumVGPRsForWavesPerEU: 1
; NamedBarCnt: 0
; Occupancy: 16
; WaveLimiterHint : 0
; COMPUTE_PGM_RSRC2:SCRATCH_EN: 0
; COMPUTE_PGM_RSRC2:USER_SGPR: 2
; COMPUTE_PGM_RSRC2:TRAP_HANDLER: 0
; COMPUTE_PGM_RSRC2:TGID_X_EN: 1
; COMPUTE_PGM_RSRC2:TGID_Y_EN: 0
; COMPUTE_PGM_RSRC2:TGID_Z_EN: 0
; COMPUTE_PGM_RSRC2:TIDIG_COMP_CNT: 0
	.section	.text._ZN7rocprim17ROCPRIM_400000_NS6detail17trampoline_kernelINS0_14default_configENS1_38merge_sort_block_merge_config_selectorIfNS0_10empty_typeEEEZZNS1_27merge_sort_block_merge_implIS3_PfPS5_jNS1_19radix_merge_compareILb1ELb0EfNS0_19identity_decomposerEEEEE10hipError_tT0_T1_T2_jT3_P12ihipStream_tbPNSt15iterator_traitsISE_E10value_typeEPNSK_ISF_E10value_typeEPSG_NS1_7vsmem_tEENKUlT_SE_SF_SG_E_clIS8_S8_S9_S9_EESD_ST_SE_SF_SG_EUlST_E0_NS1_11comp_targetILNS1_3genE0ELNS1_11target_archE4294967295ELNS1_3gpuE0ELNS1_3repE0EEENS1_38merge_mergepath_config_static_selectorELNS0_4arch9wavefront6targetE0EEEvSF_,"axG",@progbits,_ZN7rocprim17ROCPRIM_400000_NS6detail17trampoline_kernelINS0_14default_configENS1_38merge_sort_block_merge_config_selectorIfNS0_10empty_typeEEEZZNS1_27merge_sort_block_merge_implIS3_PfPS5_jNS1_19radix_merge_compareILb1ELb0EfNS0_19identity_decomposerEEEEE10hipError_tT0_T1_T2_jT3_P12ihipStream_tbPNSt15iterator_traitsISE_E10value_typeEPNSK_ISF_E10value_typeEPSG_NS1_7vsmem_tEENKUlT_SE_SF_SG_E_clIS8_S8_S9_S9_EESD_ST_SE_SF_SG_EUlST_E0_NS1_11comp_targetILNS1_3genE0ELNS1_11target_archE4294967295ELNS1_3gpuE0ELNS1_3repE0EEENS1_38merge_mergepath_config_static_selectorELNS0_4arch9wavefront6targetE0EEEvSF_,comdat
	.protected	_ZN7rocprim17ROCPRIM_400000_NS6detail17trampoline_kernelINS0_14default_configENS1_38merge_sort_block_merge_config_selectorIfNS0_10empty_typeEEEZZNS1_27merge_sort_block_merge_implIS3_PfPS5_jNS1_19radix_merge_compareILb1ELb0EfNS0_19identity_decomposerEEEEE10hipError_tT0_T1_T2_jT3_P12ihipStream_tbPNSt15iterator_traitsISE_E10value_typeEPNSK_ISF_E10value_typeEPSG_NS1_7vsmem_tEENKUlT_SE_SF_SG_E_clIS8_S8_S9_S9_EESD_ST_SE_SF_SG_EUlST_E0_NS1_11comp_targetILNS1_3genE0ELNS1_11target_archE4294967295ELNS1_3gpuE0ELNS1_3repE0EEENS1_38merge_mergepath_config_static_selectorELNS0_4arch9wavefront6targetE0EEEvSF_ ; -- Begin function _ZN7rocprim17ROCPRIM_400000_NS6detail17trampoline_kernelINS0_14default_configENS1_38merge_sort_block_merge_config_selectorIfNS0_10empty_typeEEEZZNS1_27merge_sort_block_merge_implIS3_PfPS5_jNS1_19radix_merge_compareILb1ELb0EfNS0_19identity_decomposerEEEEE10hipError_tT0_T1_T2_jT3_P12ihipStream_tbPNSt15iterator_traitsISE_E10value_typeEPNSK_ISF_E10value_typeEPSG_NS1_7vsmem_tEENKUlT_SE_SF_SG_E_clIS8_S8_S9_S9_EESD_ST_SE_SF_SG_EUlST_E0_NS1_11comp_targetILNS1_3genE0ELNS1_11target_archE4294967295ELNS1_3gpuE0ELNS1_3repE0EEENS1_38merge_mergepath_config_static_selectorELNS0_4arch9wavefront6targetE0EEEvSF_
	.globl	_ZN7rocprim17ROCPRIM_400000_NS6detail17trampoline_kernelINS0_14default_configENS1_38merge_sort_block_merge_config_selectorIfNS0_10empty_typeEEEZZNS1_27merge_sort_block_merge_implIS3_PfPS5_jNS1_19radix_merge_compareILb1ELb0EfNS0_19identity_decomposerEEEEE10hipError_tT0_T1_T2_jT3_P12ihipStream_tbPNSt15iterator_traitsISE_E10value_typeEPNSK_ISF_E10value_typeEPSG_NS1_7vsmem_tEENKUlT_SE_SF_SG_E_clIS8_S8_S9_S9_EESD_ST_SE_SF_SG_EUlST_E0_NS1_11comp_targetILNS1_3genE0ELNS1_11target_archE4294967295ELNS1_3gpuE0ELNS1_3repE0EEENS1_38merge_mergepath_config_static_selectorELNS0_4arch9wavefront6targetE0EEEvSF_
	.p2align	8
	.type	_ZN7rocprim17ROCPRIM_400000_NS6detail17trampoline_kernelINS0_14default_configENS1_38merge_sort_block_merge_config_selectorIfNS0_10empty_typeEEEZZNS1_27merge_sort_block_merge_implIS3_PfPS5_jNS1_19radix_merge_compareILb1ELb0EfNS0_19identity_decomposerEEEEE10hipError_tT0_T1_T2_jT3_P12ihipStream_tbPNSt15iterator_traitsISE_E10value_typeEPNSK_ISF_E10value_typeEPSG_NS1_7vsmem_tEENKUlT_SE_SF_SG_E_clIS8_S8_S9_S9_EESD_ST_SE_SF_SG_EUlST_E0_NS1_11comp_targetILNS1_3genE0ELNS1_11target_archE4294967295ELNS1_3gpuE0ELNS1_3repE0EEENS1_38merge_mergepath_config_static_selectorELNS0_4arch9wavefront6targetE0EEEvSF_,@function
_ZN7rocprim17ROCPRIM_400000_NS6detail17trampoline_kernelINS0_14default_configENS1_38merge_sort_block_merge_config_selectorIfNS0_10empty_typeEEEZZNS1_27merge_sort_block_merge_implIS3_PfPS5_jNS1_19radix_merge_compareILb1ELb0EfNS0_19identity_decomposerEEEEE10hipError_tT0_T1_T2_jT3_P12ihipStream_tbPNSt15iterator_traitsISE_E10value_typeEPNSK_ISF_E10value_typeEPSG_NS1_7vsmem_tEENKUlT_SE_SF_SG_E_clIS8_S8_S9_S9_EESD_ST_SE_SF_SG_EUlST_E0_NS1_11comp_targetILNS1_3genE0ELNS1_11target_archE4294967295ELNS1_3gpuE0ELNS1_3repE0EEENS1_38merge_mergepath_config_static_selectorELNS0_4arch9wavefront6targetE0EEEvSF_: ; @_ZN7rocprim17ROCPRIM_400000_NS6detail17trampoline_kernelINS0_14default_configENS1_38merge_sort_block_merge_config_selectorIfNS0_10empty_typeEEEZZNS1_27merge_sort_block_merge_implIS3_PfPS5_jNS1_19radix_merge_compareILb1ELb0EfNS0_19identity_decomposerEEEEE10hipError_tT0_T1_T2_jT3_P12ihipStream_tbPNSt15iterator_traitsISE_E10value_typeEPNSK_ISF_E10value_typeEPSG_NS1_7vsmem_tEENKUlT_SE_SF_SG_E_clIS8_S8_S9_S9_EESD_ST_SE_SF_SG_EUlST_E0_NS1_11comp_targetILNS1_3genE0ELNS1_11target_archE4294967295ELNS1_3gpuE0ELNS1_3repE0EEENS1_38merge_mergepath_config_static_selectorELNS0_4arch9wavefront6targetE0EEEvSF_
; %bb.0:
	s_bfe_u32 s2, ttmp6, 0x40010
	s_and_b32 s4, ttmp7, 0xffff
	s_add_co_i32 s5, s2, 1
	s_clause 0x1
	s_load_b32 s6, s[0:1], 0x30
	s_load_b64 s[2:3], s[0:1], 0x40
	s_bfe_u32 s8, ttmp6, 0x4000c
	s_mul_i32 s5, s4, s5
	s_bfe_u32 s7, ttmp6, 0x40004
	s_add_co_i32 s8, s8, 1
	s_bfe_u32 s9, ttmp6, 0x40014
	s_add_co_i32 s7, s7, s5
	s_and_b32 s5, ttmp6, 15
	s_mul_i32 s8, ttmp9, s8
	s_lshr_b32 s10, ttmp7, 16
	s_add_co_i32 s9, s9, 1
	s_add_co_i32 s5, s5, s8
	s_mul_i32 s8, s10, s9
	s_bfe_u32 s9, ttmp6, 0x40008
	s_getreg_b32 s11, hwreg(HW_REG_IB_STS2, 6, 4)
	s_add_co_i32 s9, s9, s8
	s_cmp_eq_u32 s11, 0
	s_cselect_b32 s8, s10, s9
	s_cselect_b32 s4, s4, s7
	s_wait_kmcnt 0x0
	s_mul_i32 s8, s3, s8
	s_cselect_b32 s3, ttmp9, s5
	s_add_co_i32 s4, s8, s4
	s_mov_b32 s5, 0
	s_mul_i32 s4, s4, s2
	s_delay_alu instid0(SALU_CYCLE_1) | instskip(NEXT) | instid1(SALU_CYCLE_1)
	s_add_co_i32 s4, s4, s3
	s_cmp_ge_u32 s4, s6
	s_cbranch_scc1 .LBB1269_73
; %bb.1:
	v_mov_b32_e32 v11, 0
	s_add_nc_u64 s[10:11], s[0:1], 64
	v_lshlrev_b32_e32 v10, 2, v0
	global_load_b32 v1, v11, s[10:11] offset:14
	s_clause 0x2
	s_load_b64 s[6:7], s[0:1], 0x28
	s_load_b64 s[8:9], s[0:1], 0x38
	;; [unrolled: 1-line block ×3, first 2 shown]
	s_wait_kmcnt 0x0
	s_lshr_b32 s15, s6, 10
	s_delay_alu instid0(SALU_CYCLE_1) | instskip(SKIP_2) | instid1(SALU_CYCLE_1)
	s_cmp_lg_u32 s4, s15
	s_cselect_b32 s14, -1, 0
	s_lshl_b64 s[12:13], s[4:5], 2
	s_add_nc_u64 s[8:9], s[8:9], s[12:13]
	s_load_b64 s[12:13], s[8:9], 0x0
	s_wait_xcnt 0x0
	s_lshr_b32 s8, s7, 9
	s_delay_alu instid0(SALU_CYCLE_1) | instskip(NEXT) | instid1(SALU_CYCLE_1)
	s_and_b32 s8, s8, 0x7ffffe
	s_sub_co_i32 s9, 0, s8
	s_lshl_b32 s8, s4, 10
	s_and_b32 s18, s4, s9
	s_or_b32 s9, s4, s9
	s_lshl_b32 s19, s18, 11
	s_lshl_b32 s18, s18, 10
	s_add_co_i32 s19, s19, s7
	s_sub_co_i32 s20, s8, s18
	s_sub_co_i32 s18, s19, s18
	s_add_co_i32 s19, s19, s20
	s_min_u32 s20, s6, s18
	s_add_co_i32 s7, s18, s7
	s_wait_kmcnt 0x0
	s_sub_co_i32 s18, s19, s12
	s_sub_co_i32 s19, s19, s13
	s_min_u32 s18, s6, s18
	s_add_co_i32 s21, s19, 0x400
	s_cmp_eq_u32 s9, -1
	s_mov_b32 s19, s5
	s_cselect_b32 s7, s7, s21
	s_cselect_b32 s9, s20, s13
	s_mov_b32 s13, s5
	s_lshl_b64 s[20:21], s[18:19], 2
	s_min_u32 s19, s7, s6
	s_sub_co_i32 s7, s9, s12
	s_lshl_b64 s[12:13], s[12:13], 2
	s_sub_co_i32 s9, s19, s18
	s_cmp_lt_u32 s3, s2
	s_mov_b32 s3, s5
	s_cselect_b32 s2, 12, 18
	s_add_nc_u64 s[12:13], s[16:17], s[12:13]
	s_add_nc_u64 s[2:3], s[10:11], s[2:3]
	s_cmp_eq_u32 s4, s15
	s_load_u16 s2, s[2:3], 0x0
	s_add_nc_u64 s[10:11], s[16:17], s[20:21]
	s_wait_loadcnt 0x0
	v_lshrrev_b32_e32 v2, 16, v1
	v_and_b32_e32 v1, 0xffff, v1
	s_delay_alu instid0(VALU_DEP_1) | instskip(SKIP_1) | instid1(VALU_DEP_1)
	v_mul_lo_u32 v1, v1, v2
	s_wait_kmcnt 0x0
	v_mul_lo_u32 v1, v1, s2
	s_mov_b32 s2, -1
	s_delay_alu instid0(VALU_DEP_1) | instskip(NEXT) | instid1(VALU_DEP_1)
	v_add_nc_u32_e32 v14, v1, v0
	v_add_nc_u32_e32 v12, v14, v1
	s_cbranch_scc1 .LBB1269_3
; %bb.2:
	v_sub_co_u32 v4, vcc_lo, v0, s7
	v_dual_mov_b32 v5, v11 :: v_dual_mov_b32 v15, v11
	v_add_nc_u64_e32 v[2:3], s[12:13], v[10:11]
	v_sub_co_u32 v8, s2, v14, s7
	s_delay_alu instid0(VALU_DEP_3) | instskip(SKIP_3) | instid1(VALU_DEP_4)
	v_lshl_add_u64 v[4:5], v[4:5], 2, s[10:11]
	v_dual_mov_b32 v9, v11 :: v_dual_mov_b32 v13, v11
	v_lshl_add_u64 v[6:7], v[14:15], 2, s[12:13]
	v_dual_mov_b32 v17, v11 :: v_dual_add_nc_u32 v18, v12, v1
	v_dual_cndmask_b32 v3, v5, v3 :: v_dual_cndmask_b32 v2, v4, v2
	s_delay_alu instid0(VALU_DEP_4) | instskip(SKIP_3) | instid1(VALU_DEP_4)
	v_lshl_add_u64 v[4:5], v[8:9], 2, s[10:11]
	v_sub_co_u32 v16, vcc_lo, v12, s7
	v_mov_b32_e32 v19, v11
	v_lshl_add_u64 v[8:9], v[12:13], 2, s[12:13]
	v_dual_cndmask_b32 v5, v5, v7, s2 :: v_dual_cndmask_b32 v4, v4, v6, s2
	v_mov_b32_e32 v21, v11
	v_lshl_add_u64 v[6:7], v[16:17], 2, s[10:11]
	v_lshl_add_u64 v[16:17], v[18:19], 2, s[12:13]
	v_sub_co_u32 v20, s2, v18, s7
	v_dual_mov_b32 v23, v11 :: v_dual_add_nc_u32 v18, v18, v1
	global_load_b32 v2, v[2:3], off
	global_load_b32 v3, v[4:5], off
	s_wait_xcnt 0x0
	v_dual_cndmask_b32 v5, v7, v9 :: v_dual_cndmask_b32 v4, v6, v8
	v_lshl_add_u64 v[6:7], v[20:21], 2, s[10:11]
	v_lshl_add_u64 v[8:9], v[18:19], 2, s[12:13]
	v_sub_co_u32 v20, vcc_lo, v18, s7
	v_dual_mov_b32 v25, v11 :: v_dual_add_nc_u32 v18, v18, v1
	s_delay_alu instid0(VALU_DEP_4) | instskip(NEXT) | instid1(VALU_DEP_3)
	v_dual_cndmask_b32 v17, v7, v17, s2 :: v_dual_cndmask_b32 v16, v6, v16, s2
	v_lshl_add_u64 v[6:7], v[20:21], 2, s[10:11]
	s_delay_alu instid0(VALU_DEP_3) | instskip(SKIP_2) | instid1(VALU_DEP_4)
	v_lshl_add_u64 v[20:21], v[18:19], 2, s[12:13]
	v_add_nc_u32_e32 v22, v18, v1
	v_sub_co_u32 v18, s2, v18, s7
	v_dual_cndmask_b32 v31, v7, v9 :: v_dual_cndmask_b32 v30, v6, v8
	global_load_b32 v4, v[4:5], off
	v_lshl_add_u64 v[18:19], v[18:19], 2, s[10:11]
	s_delay_alu instid0(VALU_DEP_1) | instskip(SKIP_3) | instid1(VALU_DEP_1)
	v_cndmask_b32_e64 v18, v18, v20, s2
	v_lshl_add_u64 v[26:27], v[22:23], 2, s[12:13]
	v_add_nc_u32_e32 v24, v22, v1
	v_sub_co_u32 v22, s3, v22, s7
	v_lshl_add_u64 v[22:23], v[22:23], 2, s[10:11]
	v_cndmask_b32_e64 v19, v19, v21, s2
	s_delay_alu instid0(VALU_DEP_2) | instskip(SKIP_3) | instid1(VALU_DEP_2)
	v_cndmask_b32_e64 v21, v23, v27, s3
	v_lshl_add_u64 v[28:29], v[24:25], 2, s[12:13]
	v_sub_co_u32 v24, s4, v24, s7
	v_cndmask_b32_e64 v20, v22, v26, s3
	v_lshl_add_u64 v[6:7], v[24:25], 2, s[10:11]
	s_delay_alu instid0(VALU_DEP_1)
	v_dual_cndmask_b32 v23, v7, v29, s4 :: v_dual_cndmask_b32 v22, v6, v28, s4
	global_load_b32 v5, v[16:17], off
	global_load_b32 v6, v[30:31], off
	;; [unrolled: 1-line block ×5, first 2 shown]
	s_add_co_i32 s4, s9, s7
	s_cbranch_execz .LBB1269_4
	s_branch .LBB1269_19
.LBB1269_3:
                                        ; implicit-def: $vgpr2_vgpr3_vgpr4_vgpr5_vgpr6_vgpr7_vgpr8_vgpr9
                                        ; implicit-def: $sgpr4
	s_and_not1_b32 vcc_lo, exec_lo, s2
	s_cbranch_vccnz .LBB1269_19
.LBB1269_4:
	s_wait_loadcnt 0x7
	v_mov_b32_e32 v2, 0
	s_add_co_i32 s4, s9, s7
	s_mov_b32 s2, exec_lo
	s_wait_loadcnt 0x5
	s_delay_alu instid0(VALU_DEP_1)
	v_dual_mov_b32 v3, v2 :: v_dual_mov_b32 v4, v2
	s_wait_loadcnt 0x3
	v_dual_mov_b32 v5, v2 :: v_dual_mov_b32 v6, v2
	s_wait_loadcnt 0x1
	;; [unrolled: 2-line block ×3, first 2 shown]
	v_mov_b32_e32 v9, v2
	v_cmpx_gt_u32_e64 s4, v0
	s_cbranch_execnz .LBB1269_74
; %bb.5:
	s_or_b32 exec_lo, exec_lo, s2
	s_delay_alu instid0(SALU_CYCLE_1)
	s_mov_b32 s2, exec_lo
	v_cmpx_gt_u32_e64 s4, v14
	s_cbranch_execnz .LBB1269_75
.LBB1269_6:
	s_or_b32 exec_lo, exec_lo, s2
	s_delay_alu instid0(SALU_CYCLE_1)
	s_mov_b32 s2, exec_lo
	v_cmpx_gt_u32_e64 s4, v12
	s_cbranch_execz .LBB1269_8
.LBB1269_7:
	v_sub_co_u32 v16, vcc_lo, v12, s7
	v_mov_b32_e32 v13, 0
	s_delay_alu instid0(VALU_DEP_1) | instskip(SKIP_1) | instid1(VALU_DEP_1)
	v_lshl_add_u64 v[14:15], v[12:13], 2, s[12:13]
	v_mov_b32_e32 v17, v13
	v_lshl_add_u64 v[16:17], v[16:17], 2, s[10:11]
	s_delay_alu instid0(VALU_DEP_1)
	v_dual_cndmask_b32 v15, v17, v15 :: v_dual_cndmask_b32 v14, v16, v14
	global_load_b32 v4, v[14:15], off
.LBB1269_8:
	s_wait_xcnt 0x0
	s_or_b32 exec_lo, exec_lo, s2
	v_add_nc_u32_e32 v12, v12, v1
	s_mov_b32 s2, exec_lo
	s_delay_alu instid0(VALU_DEP_1)
	v_cmpx_gt_u32_e64 s4, v12
	s_cbranch_execz .LBB1269_10
; %bb.9:
	v_sub_co_u32 v16, vcc_lo, v12, s7
	v_mov_b32_e32 v13, 0
	s_delay_alu instid0(VALU_DEP_1) | instskip(SKIP_1) | instid1(VALU_DEP_1)
	v_lshl_add_u64 v[14:15], v[12:13], 2, s[12:13]
	v_mov_b32_e32 v17, v13
	v_lshl_add_u64 v[16:17], v[16:17], 2, s[10:11]
	s_delay_alu instid0(VALU_DEP_1)
	v_dual_cndmask_b32 v15, v17, v15 :: v_dual_cndmask_b32 v14, v16, v14
	global_load_b32 v5, v[14:15], off
.LBB1269_10:
	s_wait_xcnt 0x0
	s_or_b32 exec_lo, exec_lo, s2
	v_add_nc_u32_e32 v12, v12, v1
	s_mov_b32 s2, exec_lo
	s_delay_alu instid0(VALU_DEP_1)
	v_cmpx_gt_u32_e64 s4, v12
	s_cbranch_execz .LBB1269_12
; %bb.11:
	v_sub_co_u32 v16, vcc_lo, v12, s7
	v_mov_b32_e32 v13, 0
	s_delay_alu instid0(VALU_DEP_1) | instskip(SKIP_1) | instid1(VALU_DEP_1)
	v_lshl_add_u64 v[14:15], v[12:13], 2, s[12:13]
	v_mov_b32_e32 v17, v13
	v_lshl_add_u64 v[16:17], v[16:17], 2, s[10:11]
	s_delay_alu instid0(VALU_DEP_1)
	v_dual_cndmask_b32 v15, v17, v15 :: v_dual_cndmask_b32 v14, v16, v14
	global_load_b32 v6, v[14:15], off
.LBB1269_12:
	;; [unrolled: 18-line block ×4, first 2 shown]
	s_wait_xcnt 0x0
	s_or_b32 exec_lo, exec_lo, s2
	v_add_nc_u32_e32 v12, v12, v1
	s_mov_b32 s2, exec_lo
	s_delay_alu instid0(VALU_DEP_1)
	v_cmpx_gt_u32_e64 s4, v12
	s_cbranch_execz .LBB1269_18
; %bb.17:
	v_mov_b32_e32 v13, 0
	s_delay_alu instid0(VALU_DEP_1) | instskip(SKIP_1) | instid1(VALU_DEP_1)
	v_lshl_add_u64 v[14:15], v[12:13], 2, s[12:13]
	v_sub_co_u32 v12, vcc_lo, v12, s7
	v_lshl_add_u64 v[12:13], v[12:13], 2, s[10:11]
	s_delay_alu instid0(VALU_DEP_1)
	v_dual_cndmask_b32 v13, v13, v15 :: v_dual_cndmask_b32 v12, v12, v14
	global_load_b32 v9, v[12:13], off
.LBB1269_18:
	s_wait_xcnt 0x0
	s_or_b32 exec_lo, exec_lo, s2
.LBB1269_19:
	s_load_b64 s[2:3], s[0:1], 0x10
	v_lshlrev_b32_e32 v1, 3, v0
	s_wait_xcnt 0x0
	s_mov_b32 s0, exec_lo
	s_wait_loadcnt 0x0
	ds_store_2addr_stride64_b32 v10, v2, v3 offset1:2
	ds_store_2addr_stride64_b32 v10, v4, v5 offset0:4 offset1:6
	ds_store_2addr_stride64_b32 v10, v6, v7 offset0:8 offset1:10
	ds_store_2addr_stride64_b32 v10, v8, v9 offset0:12 offset1:14
	s_wait_dscnt 0x0
	s_barrier_signal -1
	v_min_u32_e32 v12, s4, v1
	s_barrier_wait -1
	s_delay_alu instid0(VALU_DEP_1) | instskip(SKIP_1) | instid1(VALU_DEP_1)
	v_sub_nc_u32_e64 v11, v12, s9 clamp
	v_min_u32_e32 v13, s7, v12
	v_cmpx_lt_u32_e64 v11, v13
	s_cbranch_execz .LBB1269_23
; %bb.20:
	v_lshlrev_b32_e32 v14, 2, v12
	s_mov_b32 s1, 0
	s_delay_alu instid0(VALU_DEP_1)
	v_lshl_add_u32 v14, s7, 2, v14
.LBB1269_21:                            ; =>This Inner Loop Header: Depth=1
	v_add_nc_u32_e32 v15, v13, v11
	s_delay_alu instid0(VALU_DEP_1) | instskip(NEXT) | instid1(VALU_DEP_1)
	v_lshrrev_b32_e32 v15, 1, v15
	v_not_b32_e32 v16, v15
	v_lshlrev_b32_e32 v17, 2, v15
	s_delay_alu instid0(VALU_DEP_2) | instskip(SKIP_4) | instid1(VALU_DEP_1)
	v_lshl_add_u32 v16, v16, 2, v14
	ds_load_b32 v17, v17
	ds_load_b32 v16, v16
	s_wait_dscnt 0x0
	v_pk_add_f32 v[16:17], v[16:17], 0 op_sel_hi:[1,0]
	v_dual_ashrrev_i32 v18, 31, v17 :: v_dual_ashrrev_i32 v19, 31, v16
	s_delay_alu instid0(VALU_DEP_1) | instskip(NEXT) | instid1(VALU_DEP_2)
	v_or_b32_e32 v18, 0x80000000, v18
	v_or_b32_e32 v19, 0x80000000, v19
	s_delay_alu instid0(VALU_DEP_2) | instskip(NEXT) | instid1(VALU_DEP_2)
	v_dual_add_nc_u32 v18, 1, v15 :: v_dual_bitop2_b32 v17, v18, v17 bitop3:0x14
	v_xor_b32_e32 v16, v19, v16
	s_delay_alu instid0(VALU_DEP_1) | instskip(SKIP_1) | instid1(VALU_DEP_4)
	v_cmp_gt_u32_e32 vcc_lo, v16, v17
	v_cndmask_b32_e32 v13, v13, v15, vcc_lo
	v_cndmask_b32_e32 v11, v18, v11, vcc_lo
	s_delay_alu instid0(VALU_DEP_1) | instskip(SKIP_1) | instid1(SALU_CYCLE_1)
	v_cmp_ge_u32_e32 vcc_lo, v11, v13
	s_or_b32 s1, vcc_lo, s1
	s_and_not1_b32 exec_lo, exec_lo, s1
	s_cbranch_execnz .LBB1269_21
; %bb.22:
	s_or_b32 exec_lo, exec_lo, s1
.LBB1269_23:
	s_delay_alu instid0(SALU_CYCLE_1) | instskip(SKIP_2) | instid1(VALU_DEP_2)
	s_or_b32 exec_lo, exec_lo, s0
	v_sub_nc_u32_e32 v12, v12, v11
	v_cmp_ge_u32_e32 vcc_lo, s7, v11
	v_add_nc_u32_e32 v12, s7, v12
	s_delay_alu instid0(VALU_DEP_1) | instskip(SKIP_1) | instid1(SALU_CYCLE_1)
	v_cmp_ge_u32_e64 s0, s4, v12
	s_or_b32 s0, vcc_lo, s0
	s_and_saveexec_b32 s1, s0
	s_delay_alu instid0(SALU_CYCLE_1)
	s_xor_b32 s1, exec_lo, s1
	s_cbranch_execz .LBB1269_59
; %bb.24:
	s_mov_b32 s5, exec_lo
	v_cmp_le_u32_e32 vcc_lo, s7, v11
                                        ; implicit-def: $vgpr9
	v_cmpx_gt_u32_e64 s7, v11
; %bb.25:
	v_lshlrev_b32_e32 v2, 2, v11
	ds_load_b32 v9, v2
; %bb.26:
	s_or_b32 exec_lo, exec_lo, s5
	v_cmp_le_u32_e64 s5, s4, v12
	s_mov_b32 s9, exec_lo
	v_cmpx_gt_u32_e64 s4, v12
; %bb.27:
	v_lshlrev_b32_e32 v2, 2, v12
	ds_load_b32 v8, v2
; %bb.28:
	s_or_b32 exec_lo, exec_lo, s9
	s_nor_b32 s9, vcc_lo, s5
	s_delay_alu instid0(SALU_CYCLE_1)
	s_and_saveexec_b32 s0, s9
	s_cbranch_execz .LBB1269_30
; %bb.29:
	s_wait_dscnt 0x0
	v_pk_add_f32 v[2:3], v[8:9], 0 op_sel_hi:[1,0]
	s_and_not1_b32 s5, s5, exec_lo
	s_delay_alu instid0(VALU_DEP_1) | instskip(NEXT) | instid1(VALU_DEP_1)
	v_dual_ashrrev_i32 v4, 31, v3 :: v_dual_ashrrev_i32 v5, 31, v2
	v_or_b32_e32 v4, 0x80000000, v4
	s_delay_alu instid0(VALU_DEP_2) | instskip(NEXT) | instid1(VALU_DEP_2)
	v_or_b32_e32 v5, 0x80000000, v5
	v_xor_b32_e32 v3, v4, v3
	s_delay_alu instid0(VALU_DEP_2) | instskip(NEXT) | instid1(VALU_DEP_1)
	v_xor_b32_e32 v2, v5, v2
	v_cmp_le_u32_e32 vcc_lo, v2, v3
	s_and_b32 s9, vcc_lo, exec_lo
	s_delay_alu instid0(SALU_CYCLE_1)
	s_or_b32 s5, s5, s9
.LBB1269_30:
	s_or_b32 exec_lo, exec_lo, s0
	v_dual_mov_b32 v2, s7 :: v_dual_cndmask_b32 v3, v12, v11, s5
	s_mov_b32 s9, -1
	s_mov_b32 s0, -1
	s_mov_b32 s10, exec_lo
	s_delay_alu instid0(VALU_DEP_1) | instskip(NEXT) | instid1(VALU_DEP_1)
	v_dual_cndmask_b32 v2, s4, v2, s5 :: v_dual_add_nc_u32 v3, 1, v3
	v_add_min_u32_e64 v2, v2, -1, v3
	s_delay_alu instid0(VALU_DEP_1)
	v_dual_cndmask_b32 v4, v3, v12, s5 :: v_dual_lshlrev_b32 v2, 2, v2
	ds_load_b32 v6, v2
	s_wait_dscnt 0x0
	v_dual_cndmask_b32 v5, v11, v3, s5 :: v_dual_cndmask_b32 v2, v6, v8, s5
	v_cndmask_b32_e64 v3, v9, v6, s5
	v_cmpx_gt_u32_e64 s4, v4
	s_cbranch_execz .LBB1269_34
; %bb.31:
	s_mov_b32 s11, 0
	s_mov_b32 s0, exec_lo
	v_cmpx_gt_u32_e64 s7, v5
; %bb.32:
	v_dual_add_f32 v6, 0, v2 :: v_dual_add_f32 v7, 0, v3
	s_delay_alu instid0(VALU_DEP_1) | instskip(NEXT) | instid1(VALU_DEP_1)
	v_dual_ashrrev_i32 v11, 31, v6 :: v_dual_ashrrev_i32 v12, 31, v7
	v_bitop3_b32 v6, v11, v6, 0x80000000 bitop3:0x36
	s_delay_alu instid0(VALU_DEP_2) | instskip(NEXT) | instid1(VALU_DEP_1)
	v_bitop3_b32 v7, v12, v7, 0x80000000 bitop3:0x36
	v_cmp_le_u32_e32 vcc_lo, v6, v7
	s_and_b32 s11, vcc_lo, exec_lo
; %bb.33:
	s_or_b32 exec_lo, exec_lo, s0
	s_delay_alu instid0(SALU_CYCLE_1)
	s_or_not1_b32 s0, s11, exec_lo
.LBB1269_34:
	s_or_b32 exec_lo, exec_lo, s10
	v_dual_mov_b32 v6, s7 :: v_dual_cndmask_b32 v7, v4, v5, s0
	s_mov_b32 s10, exec_lo
	s_delay_alu instid0(VALU_DEP_1) | instskip(NEXT) | instid1(VALU_DEP_1)
	v_dual_cndmask_b32 v6, s4, v6, s0 :: v_dual_add_nc_u32 v7, 1, v7
	v_add_min_u32_e64 v6, v6, -1, v7
	s_delay_alu instid0(VALU_DEP_1)
	v_dual_cndmask_b32 v5, v5, v7, s0 :: v_dual_lshlrev_b32 v6, 2, v6
	ds_load_b32 v11, v6
	v_cndmask_b32_e64 v6, v7, v4, s0
	s_wait_dscnt 0x0
	v_cndmask_b32_e64 v4, v11, v2, s0
	v_cndmask_b32_e64 v11, v3, v11, s0
	s_delay_alu instid0(VALU_DEP_3)
	v_cmpx_gt_u32_e64 s4, v6
	s_cbranch_execz .LBB1269_38
; %bb.35:
	s_mov_b32 s11, 0
	s_mov_b32 s9, exec_lo
	v_cmpx_gt_u32_e64 s7, v5
; %bb.36:
	v_dual_add_f32 v7, 0, v4 :: v_dual_add_f32 v12, 0, v11
	s_delay_alu instid0(VALU_DEP_1) | instskip(NEXT) | instid1(VALU_DEP_1)
	v_dual_ashrrev_i32 v13, 31, v7 :: v_dual_ashrrev_i32 v14, 31, v12
	v_bitop3_b32 v7, v13, v7, 0x80000000 bitop3:0x36
	s_delay_alu instid0(VALU_DEP_2) | instskip(NEXT) | instid1(VALU_DEP_1)
	v_bitop3_b32 v12, v14, v12, 0x80000000 bitop3:0x36
	v_cmp_le_u32_e32 vcc_lo, v7, v12
	s_and_b32 s11, vcc_lo, exec_lo
; %bb.37:
	s_or_b32 exec_lo, exec_lo, s9
	s_delay_alu instid0(SALU_CYCLE_1)
	s_or_not1_b32 s9, s11, exec_lo
.LBB1269_38:
	s_or_b32 exec_lo, exec_lo, s10
	v_dual_mov_b32 v7, s7 :: v_dual_cndmask_b32 v12, v6, v5, s9
	s_mov_b32 s11, -1
	s_mov_b32 s10, -1
	s_mov_b32 s12, exec_lo
	s_delay_alu instid0(VALU_DEP_1) | instskip(NEXT) | instid1(VALU_DEP_1)
	v_dual_cndmask_b32 v7, s4, v7, s9 :: v_dual_add_nc_u32 v12, 1, v12
	v_add_min_u32_e64 v7, v7, -1, v12
	s_delay_alu instid0(VALU_DEP_1)
	v_dual_cndmask_b32 v6, v12, v6, s9 :: v_dual_lshlrev_b32 v7, 2, v7
	ds_load_b32 v13, v7
	s_wait_dscnt 0x0
	v_dual_cndmask_b32 v7, v5, v12, s9 :: v_dual_cndmask_b32 v12, v11, v13, s9
	v_cndmask_b32_e64 v5, v13, v4, s9
	v_cmpx_gt_u32_e64 s4, v6
	s_cbranch_execz .LBB1269_42
; %bb.39:
	s_mov_b32 s13, 0
	s_mov_b32 s10, exec_lo
	v_cmpx_gt_u32_e64 s7, v7
; %bb.40:
	v_dual_add_f32 v13, 0, v5 :: v_dual_add_f32 v14, 0, v12
	s_delay_alu instid0(VALU_DEP_1) | instskip(NEXT) | instid1(VALU_DEP_1)
	v_dual_ashrrev_i32 v15, 31, v13 :: v_dual_ashrrev_i32 v16, 31, v14
	v_bitop3_b32 v13, v15, v13, 0x80000000 bitop3:0x36
	s_delay_alu instid0(VALU_DEP_2) | instskip(NEXT) | instid1(VALU_DEP_1)
	v_bitop3_b32 v14, v16, v14, 0x80000000 bitop3:0x36
	v_cmp_le_u32_e32 vcc_lo, v13, v14
	s_and_b32 s13, vcc_lo, exec_lo
; %bb.41:
	s_or_b32 exec_lo, exec_lo, s10
	s_delay_alu instid0(SALU_CYCLE_1)
	s_or_not1_b32 s10, s13, exec_lo
.LBB1269_42:
	s_or_b32 exec_lo, exec_lo, s12
	v_dual_mov_b32 v13, s7 :: v_dual_cndmask_b32 v14, v6, v7, s10
	s_mov_b32 s12, exec_lo
	s_delay_alu instid0(VALU_DEP_1) | instskip(NEXT) | instid1(VALU_DEP_1)
	v_dual_cndmask_b32 v13, s4, v13, s10 :: v_dual_add_nc_u32 v15, 1, v14
	v_add_min_u32_e64 v13, v13, -1, v15
	s_delay_alu instid0(VALU_DEP_1)
	v_dual_cndmask_b32 v14, v15, v6, s10 :: v_dual_lshlrev_b32 v13, 2, v13
	ds_load_b32 v13, v13
	s_wait_dscnt 0x0
	v_dual_cndmask_b32 v7, v7, v15, s10 :: v_dual_cndmask_b32 v6, v13, v5, s10
	v_cndmask_b32_e64 v13, v12, v13, s10
	v_cmpx_gt_u32_e64 s4, v14
	s_cbranch_execz .LBB1269_46
; %bb.43:
	s_mov_b32 s13, 0
	s_mov_b32 s11, exec_lo
	v_cmpx_gt_u32_e64 s7, v7
; %bb.44:
	v_dual_add_f32 v15, 0, v6 :: v_dual_add_f32 v16, 0, v13
	s_delay_alu instid0(VALU_DEP_1) | instskip(NEXT) | instid1(VALU_DEP_1)
	v_dual_ashrrev_i32 v17, 31, v15 :: v_dual_ashrrev_i32 v18, 31, v16
	v_bitop3_b32 v15, v17, v15, 0x80000000 bitop3:0x36
	s_delay_alu instid0(VALU_DEP_2) | instskip(NEXT) | instid1(VALU_DEP_1)
	v_bitop3_b32 v16, v18, v16, 0x80000000 bitop3:0x36
	v_cmp_le_u32_e32 vcc_lo, v15, v16
	s_and_b32 s13, vcc_lo, exec_lo
; %bb.45:
	s_or_b32 exec_lo, exec_lo, s11
	s_delay_alu instid0(SALU_CYCLE_1)
	s_or_not1_b32 s11, s13, exec_lo
.LBB1269_46:
	s_or_b32 exec_lo, exec_lo, s12
	v_dual_mov_b32 v15, s7 :: v_dual_cndmask_b32 v16, v14, v7, s11
	s_mov_b32 s12, -1
	s_mov_b32 s13, -1
	s_mov_b32 s15, exec_lo
	s_delay_alu instid0(VALU_DEP_1) | instskip(NEXT) | instid1(VALU_DEP_1)
	v_dual_cndmask_b32 v15, s4, v15, s11 :: v_dual_add_nc_u32 v16, 1, v16
	v_add_min_u32_e64 v15, v15, -1, v16
	s_delay_alu instid0(VALU_DEP_1)
	v_lshlrev_b32_e32 v15, 2, v15
	ds_load_b32 v17, v15
	v_dual_cndmask_b32 v15, v16, v14, s11 :: v_dual_cndmask_b32 v16, v7, v16, s11
	s_wait_dscnt 0x0
	v_cndmask_b32_e64 v7, v17, v6, s11
	v_cndmask_b32_e64 v14, v13, v17, s11
	s_delay_alu instid0(VALU_DEP_3)
	v_cmpx_gt_u32_e64 s4, v15
	s_cbranch_execz .LBB1269_50
; %bb.47:
	s_mov_b32 s16, 0
	s_mov_b32 s13, exec_lo
	v_cmpx_gt_u32_e64 s7, v16
; %bb.48:
	v_dual_add_f32 v17, 0, v7 :: v_dual_add_f32 v18, 0, v14
	s_delay_alu instid0(VALU_DEP_1) | instskip(NEXT) | instid1(VALU_DEP_1)
	v_dual_ashrrev_i32 v19, 31, v17 :: v_dual_ashrrev_i32 v20, 31, v18
	v_bitop3_b32 v17, v19, v17, 0x80000000 bitop3:0x36
	s_delay_alu instid0(VALU_DEP_2) | instskip(NEXT) | instid1(VALU_DEP_1)
	v_bitop3_b32 v18, v20, v18, 0x80000000 bitop3:0x36
	v_cmp_le_u32_e32 vcc_lo, v17, v18
	s_and_b32 s16, vcc_lo, exec_lo
; %bb.49:
	s_or_b32 exec_lo, exec_lo, s13
	s_delay_alu instid0(SALU_CYCLE_1)
	s_or_not1_b32 s13, s16, exec_lo
.LBB1269_50:
	s_or_b32 exec_lo, exec_lo, s15
	v_dual_mov_b32 v17, s7 :: v_dual_cndmask_b32 v18, v15, v16, s13
	s_mov_b32 s15, exec_lo
	s_delay_alu instid0(VALU_DEP_1) | instskip(NEXT) | instid1(VALU_DEP_1)
	v_dual_cndmask_b32 v17, s4, v17, s13 :: v_dual_add_nc_u32 v19, 1, v18
	v_add_min_u32_e64 v17, v17, -1, v19
	s_delay_alu instid0(VALU_DEP_1)
	v_dual_cndmask_b32 v18, v19, v15, s13 :: v_dual_lshlrev_b32 v17, 2, v17
	ds_load_b32 v20, v17
	s_wait_dscnt 0x0
	v_dual_cndmask_b32 v17, v16, v19, s13 :: v_dual_cndmask_b32 v16, v14, v20, s13
	v_cndmask_b32_e64 v15, v20, v7, s13
	v_cmpx_gt_u32_e64 s4, v18
	s_cbranch_execz .LBB1269_54
; %bb.51:
	s_mov_b32 s16, 0
	s_mov_b32 s12, exec_lo
	v_cmpx_gt_u32_e64 s7, v17
; %bb.52:
	v_dual_add_f32 v19, 0, v15 :: v_dual_add_f32 v20, 0, v16
	s_delay_alu instid0(VALU_DEP_1) | instskip(NEXT) | instid1(VALU_DEP_1)
	v_dual_ashrrev_i32 v21, 31, v19 :: v_dual_ashrrev_i32 v22, 31, v20
	v_bitop3_b32 v19, v21, v19, 0x80000000 bitop3:0x36
	s_delay_alu instid0(VALU_DEP_2) | instskip(NEXT) | instid1(VALU_DEP_1)
	v_bitop3_b32 v20, v22, v20, 0x80000000 bitop3:0x36
	v_cmp_le_u32_e32 vcc_lo, v19, v20
	s_and_b32 s16, vcc_lo, exec_lo
; %bb.53:
	s_or_b32 exec_lo, exec_lo, s12
	s_delay_alu instid0(SALU_CYCLE_1)
	s_or_not1_b32 s12, s16, exec_lo
.LBB1269_54:
	s_or_b32 exec_lo, exec_lo, s15
	v_dual_mov_b32 v19, s7 :: v_dual_cndmask_b32 v20, v18, v17, s12
	v_dual_cndmask_b32 v6, v6, v13, s11 :: v_dual_cndmask_b32 v5, v5, v12, s10
	v_dual_cndmask_b32 v3, v2, v3, s0 :: v_dual_cndmask_b32 v2, v8, v9, s5
	s_delay_alu instid0(VALU_DEP_3) | instskip(SKIP_2) | instid1(VALU_DEP_2)
	v_dual_cndmask_b32 v21, s4, v19, s12 :: v_dual_add_nc_u32 v19, 1, v20
	s_mov_b32 s0, exec_lo
	v_dual_cndmask_b32 v4, v4, v11, s9 :: v_dual_cndmask_b32 v7, v7, v14, s13
	v_add_min_u32_e64 v20, v21, -1, v19
	s_delay_alu instid0(VALU_DEP_1)
	v_dual_cndmask_b32 v12, v19, v18, s12 :: v_dual_lshlrev_b32 v20, 2, v20
	ds_load_b32 v20, v20
	s_wait_dscnt 0x0
	v_cndmask_b32_e64 v9, v16, v20, s12
	v_cmpx_gt_u32_e64 s4, v12
	s_cbranch_execz .LBB1269_58
; %bb.55:
	v_cndmask_b32_e64 v11, v17, v19, s12
	v_cndmask_b32_e64 v8, v20, v15, s12
	s_mov_b32 s4, exec_lo
	s_delay_alu instid0(VALU_DEP_2)
	v_cmpx_gt_u32_e64 s7, v11
; %bb.56:
	s_delay_alu instid0(VALU_DEP_2) | instskip(NEXT) | instid1(VALU_DEP_1)
	v_dual_add_f32 v11, 0, v8 :: v_dual_add_f32 v12, 0, v9
	v_dual_ashrrev_i32 v13, 31, v11 :: v_dual_ashrrev_i32 v14, 31, v12
	s_delay_alu instid0(VALU_DEP_1) | instskip(NEXT) | instid1(VALU_DEP_2)
	v_bitop3_b32 v11, v13, v11, 0x80000000 bitop3:0x36
	v_bitop3_b32 v12, v14, v12, 0x80000000 bitop3:0x36
	s_delay_alu instid0(VALU_DEP_1)
	v_cmp_gt_u32_e32 vcc_lo, v11, v12
	v_cndmask_b32_e32 v8, v9, v8, vcc_lo
; %bb.57:
	s_or_b32 exec_lo, exec_lo, s4
	s_delay_alu instid0(VALU_DEP_1)
	v_mov_b32_e32 v9, v8
.LBB1269_58:
	s_or_b32 exec_lo, exec_lo, s0
	v_cndmask_b32_e64 v8, v15, v16, s12
.LBB1269_59:
	s_and_not1_saveexec_b32 s0, s1
	s_delay_alu instid0(SALU_CYCLE_1) | instskip(SKIP_4) | instid1(VALU_DEP_3)
	s_or_b32 exec_lo, exec_lo, s0
	v_or_b32_e32 v14, 0x80, v0
	v_or_b32_e32 v12, 0x100, v0
	v_and_b32_e32 v11, 0x7c, v0
	v_lshrrev_b32_e32 v13, 3, v0
	v_dual_lshrrev_b32 v15, 3, v14 :: v_dual_lshrrev_b32 v16, 3, v12
	s_delay_alu instid0(VALU_DEP_3) | instskip(NEXT) | instid1(VALU_DEP_3)
	v_lshl_add_u32 v1, v1, 2, v11
	v_and_b32_e32 v11, 12, v13
	v_or_b32_e32 v13, 0x180, v0
	s_barrier_signal -1
	s_barrier_wait -1
	s_barrier_signal -1
	s_barrier_wait -1
	v_and_b32_e32 v15, 28, v15
	ds_store_2addr_b32 v1, v2, v3 offset1:1
	ds_store_2addr_b32 v1, v4, v5 offset0:2 offset1:3
	ds_store_2addr_b32 v1, v6, v7 offset0:4 offset1:5
	;; [unrolled: 1-line block ×3, first 2 shown]
	v_dual_add_nc_u32 v8, v11, v10 :: v_dual_bitop2_b32 v16, 44, v16 bitop3:0x40
	v_lshrrev_b32_e32 v1, 3, v13
	v_or_b32_e32 v6, 0x200, v0
	v_or_b32_e32 v5, 0x280, v0
	;; [unrolled: 1-line block ×3, first 2 shown]
	v_dual_add_nc_u32 v9, v15, v10 :: v_dual_add_nc_u32 v15, v16, v10
	s_delay_alu instid0(VALU_DEP_4) | instskip(SKIP_1) | instid1(VALU_DEP_4)
	v_dual_lshrrev_b32 v3, 3, v6 :: v_dual_bitop2_b32 v2, 60, v1 bitop3:0x40
	v_or_b32_e32 v1, 0x380, v0
	v_dual_lshrrev_b32 v7, 3, v5 :: v_dual_lshrrev_b32 v11, 3, v4
	s_delay_alu instid0(VALU_DEP_3) | instskip(SKIP_1) | instid1(VALU_DEP_3)
	v_add_nc_u32_e32 v16, v2, v10
	s_mov_b32 s9, 0
	v_lshrrev_b32_e32 v2, 3, v1
	v_and_b32_e32 v3, 0x4c, v3
	v_and_b32_e32 v19, 0x6c, v11
	v_mov_b32_e32 v11, 0
	s_lshl_b64 s[0:1], s[8:9], 2
	v_and_b32_e32 v7, 0x5c, v7
	v_and_b32_e32 v20, 0x7c, v2
	s_wait_kmcnt 0x0
	s_add_nc_u64 s[0:1], s[2:3], s[0:1]
	v_add_nc_u32_e32 v17, v3, v10
	v_add_nc_u64_e32 v[2:3], s[0:1], v[10:11]
	v_add_nc_u32_e32 v18, v7, v10
	v_dual_add_nc_u32 v19, v19, v10 :: v_dual_add_nc_u32 v10, v20, v10
	s_and_b32 vcc_lo, exec_lo, s14
	s_wait_dscnt 0x0
	s_cbranch_vccz .LBB1269_61
; %bb.60:
	s_barrier_signal -1
	s_barrier_wait -1
	ds_load_b32 v11, v8
	ds_load_b32 v20, v9 offset:512
	ds_load_b32 v21, v15 offset:1024
	;; [unrolled: 1-line block ×7, first 2 shown]
	s_mov_b32 s9, -1
	s_wait_dscnt 0x7
	global_store_b32 v[2:3], v11, off
	s_wait_dscnt 0x6
	global_store_b32 v[2:3], v20, off offset:512
	s_wait_dscnt 0x5
	global_store_b32 v[2:3], v21, off offset:1024
	;; [unrolled: 2-line block ×6, first 2 shown]
	s_cbranch_execz .LBB1269_62
	s_branch .LBB1269_71
.LBB1269_61:
                                        ; implicit-def: $vgpr7
.LBB1269_62:
	s_barrier_signal -1
	s_barrier_wait -1
	s_wait_storecnt_dscnt 0x0
	s_wait_xcnt 0x4
	ds_load_b32 v21, v9 offset:512
	ds_load_b32 v20, v15 offset:1024
	;; [unrolled: 1-line block ×7, first 2 shown]
	s_sub_co_i32 s0, s6, s8
	s_mov_b32 s1, exec_lo
	s_wait_xcnt 0x0
	v_cmpx_gt_u32_e64 s0, v0
	s_cbranch_execnz .LBB1269_76
; %bb.63:
	s_or_b32 exec_lo, exec_lo, s1
	s_delay_alu instid0(SALU_CYCLE_1)
	s_mov_b32 s1, exec_lo
	v_cmpx_gt_u32_e64 s0, v14
	s_cbranch_execnz .LBB1269_77
.LBB1269_64:
	s_or_b32 exec_lo, exec_lo, s1
	s_delay_alu instid0(SALU_CYCLE_1)
	s_mov_b32 s1, exec_lo
	v_cmpx_gt_u32_e64 s0, v12
	s_cbranch_execnz .LBB1269_78
.LBB1269_65:
	s_or_b32 exec_lo, exec_lo, s1
	s_delay_alu instid0(SALU_CYCLE_1)
	s_mov_b32 s1, exec_lo
	v_cmpx_gt_u32_e64 s0, v13
	s_cbranch_execnz .LBB1269_79
.LBB1269_66:
	s_or_b32 exec_lo, exec_lo, s1
	s_delay_alu instid0(SALU_CYCLE_1)
	s_mov_b32 s1, exec_lo
	v_cmpx_gt_u32_e64 s0, v6
	s_cbranch_execnz .LBB1269_80
.LBB1269_67:
	s_or_b32 exec_lo, exec_lo, s1
	s_delay_alu instid0(SALU_CYCLE_1)
	s_mov_b32 s1, exec_lo
	v_cmpx_gt_u32_e64 s0, v5
	s_cbranch_execnz .LBB1269_81
.LBB1269_68:
	s_or_b32 exec_lo, exec_lo, s1
	s_delay_alu instid0(SALU_CYCLE_1)
	s_mov_b32 s1, exec_lo
	v_cmpx_gt_u32_e64 s0, v4
	s_cbranch_execz .LBB1269_70
.LBB1269_69:
	s_wait_dscnt 0x1
	global_store_b32 v[2:3], v9, off offset:3072
.LBB1269_70:
	s_wait_xcnt 0x0
	s_or_b32 exec_lo, exec_lo, s1
	v_cmp_gt_u32_e64 s9, s0, v1
.LBB1269_71:
	s_wait_xcnt 0x0
	s_delay_alu instid0(VALU_DEP_1)
	s_and_saveexec_b32 s0, s9
	s_cbranch_execz .LBB1269_73
; %bb.72:
	s_wait_dscnt 0x0
	global_store_b32 v[2:3], v7, off offset:3584
.LBB1269_73:
	s_endpgm
.LBB1269_74:
	v_dual_mov_b32 v11, v2 :: v_dual_mov_b32 v5, v2
	v_sub_co_u32 v4, vcc_lo, v0, s7
	v_dual_mov_b32 v17, v2 :: v_dual_mov_b32 v18, v2
	s_delay_alu instid0(VALU_DEP_3) | instskip(NEXT) | instid1(VALU_DEP_3)
	v_add_nc_u64_e32 v[6:7], s[12:13], v[10:11]
	v_lshl_add_u64 v[4:5], v[4:5], 2, s[10:11]
	v_dual_mov_b32 v19, v2 :: v_dual_mov_b32 v20, v2
	v_dual_mov_b32 v21, v2 :: v_dual_mov_b32 v22, v2
	s_delay_alu instid0(VALU_DEP_3) | instskip(NEXT) | instid1(VALU_DEP_4)
	v_dual_mov_b32 v23, v2 :: v_dual_cndmask_b32 v5, v5, v7, vcc_lo
	v_cndmask_b32_e32 v4, v4, v6, vcc_lo
	global_load_b32 v16, v[4:5], off
	s_wait_loadcnt 0x0
	v_mov_b64_e32 v[2:3], v[16:17]
	v_mov_b64_e32 v[4:5], v[18:19]
	;; [unrolled: 1-line block ×4, first 2 shown]
	s_or_b32 exec_lo, exec_lo, s2
	s_delay_alu instid0(SALU_CYCLE_1)
	s_mov_b32 s2, exec_lo
	v_cmpx_gt_u32_e64 s4, v14
	s_cbranch_execz .LBB1269_6
.LBB1269_75:
	v_mov_b32_e32 v15, 0
	s_delay_alu instid0(VALU_DEP_1) | instskip(SKIP_1) | instid1(VALU_DEP_1)
	v_lshl_add_u64 v[16:17], v[14:15], 2, s[12:13]
	v_sub_co_u32 v14, vcc_lo, v14, s7
	v_lshl_add_u64 v[14:15], v[14:15], 2, s[10:11]
	s_delay_alu instid0(VALU_DEP_1) | instskip(SKIP_3) | instid1(SALU_CYCLE_1)
	v_dual_cndmask_b32 v15, v15, v17 :: v_dual_cndmask_b32 v14, v14, v16
	global_load_b32 v3, v[14:15], off
	s_wait_xcnt 0x0
	s_or_b32 exec_lo, exec_lo, s2
	s_mov_b32 s2, exec_lo
	v_cmpx_gt_u32_e64 s4, v12
	s_cbranch_execnz .LBB1269_7
	s_branch .LBB1269_8
.LBB1269_76:
	ds_load_b32 v0, v8
	s_wait_dscnt 0x0
	global_store_b32 v[2:3], v0, off
	s_wait_xcnt 0x0
	s_or_b32 exec_lo, exec_lo, s1
	s_delay_alu instid0(SALU_CYCLE_1)
	s_mov_b32 s1, exec_lo
	v_cmpx_gt_u32_e64 s0, v14
	s_cbranch_execz .LBB1269_64
.LBB1269_77:
	s_wait_dscnt 0x6
	global_store_b32 v[2:3], v21, off offset:512
	s_wait_xcnt 0x0
	s_or_b32 exec_lo, exec_lo, s1
	s_delay_alu instid0(SALU_CYCLE_1)
	s_mov_b32 s1, exec_lo
	v_cmpx_gt_u32_e64 s0, v12
	s_cbranch_execz .LBB1269_65
.LBB1269_78:
	s_wait_dscnt 0x5
	global_store_b32 v[2:3], v20, off offset:1024
	s_wait_xcnt 0x0
	s_or_b32 exec_lo, exec_lo, s1
	s_delay_alu instid0(SALU_CYCLE_1)
	s_mov_b32 s1, exec_lo
	v_cmpx_gt_u32_e64 s0, v13
	s_cbranch_execz .LBB1269_66
.LBB1269_79:
	s_wait_dscnt 0x4
	global_store_b32 v[2:3], v16, off offset:1536
	s_wait_xcnt 0x0
	s_or_b32 exec_lo, exec_lo, s1
	s_delay_alu instid0(SALU_CYCLE_1)
	s_mov_b32 s1, exec_lo
	v_cmpx_gt_u32_e64 s0, v6
	s_cbranch_execz .LBB1269_67
.LBB1269_80:
	s_wait_dscnt 0x3
	global_store_b32 v[2:3], v15, off offset:2048
	s_wait_xcnt 0x0
	s_or_b32 exec_lo, exec_lo, s1
	s_delay_alu instid0(SALU_CYCLE_1)
	s_mov_b32 s1, exec_lo
	v_cmpx_gt_u32_e64 s0, v5
	s_cbranch_execz .LBB1269_68
.LBB1269_81:
	s_wait_dscnt 0x2
	global_store_b32 v[2:3], v11, off offset:2560
	s_wait_xcnt 0x0
	s_or_b32 exec_lo, exec_lo, s1
	s_delay_alu instid0(SALU_CYCLE_1)
	s_mov_b32 s1, exec_lo
	v_cmpx_gt_u32_e64 s0, v4
	s_cbranch_execnz .LBB1269_69
	s_branch .LBB1269_70
	.section	.rodata,"a",@progbits
	.p2align	6, 0x0
	.amdhsa_kernel _ZN7rocprim17ROCPRIM_400000_NS6detail17trampoline_kernelINS0_14default_configENS1_38merge_sort_block_merge_config_selectorIfNS0_10empty_typeEEEZZNS1_27merge_sort_block_merge_implIS3_PfPS5_jNS1_19radix_merge_compareILb1ELb0EfNS0_19identity_decomposerEEEEE10hipError_tT0_T1_T2_jT3_P12ihipStream_tbPNSt15iterator_traitsISE_E10value_typeEPNSK_ISF_E10value_typeEPSG_NS1_7vsmem_tEENKUlT_SE_SF_SG_E_clIS8_S8_S9_S9_EESD_ST_SE_SF_SG_EUlST_E0_NS1_11comp_targetILNS1_3genE0ELNS1_11target_archE4294967295ELNS1_3gpuE0ELNS1_3repE0EEENS1_38merge_mergepath_config_static_selectorELNS0_4arch9wavefront6targetE0EEEvSF_
		.amdhsa_group_segment_fixed_size 4224
		.amdhsa_private_segment_fixed_size 0
		.amdhsa_kernarg_size 320
		.amdhsa_user_sgpr_count 2
		.amdhsa_user_sgpr_dispatch_ptr 0
		.amdhsa_user_sgpr_queue_ptr 0
		.amdhsa_user_sgpr_kernarg_segment_ptr 1
		.amdhsa_user_sgpr_dispatch_id 0
		.amdhsa_user_sgpr_kernarg_preload_length 0
		.amdhsa_user_sgpr_kernarg_preload_offset 0
		.amdhsa_user_sgpr_private_segment_size 0
		.amdhsa_wavefront_size32 1
		.amdhsa_uses_dynamic_stack 0
		.amdhsa_enable_private_segment 0
		.amdhsa_system_sgpr_workgroup_id_x 1
		.amdhsa_system_sgpr_workgroup_id_y 1
		.amdhsa_system_sgpr_workgroup_id_z 1
		.amdhsa_system_sgpr_workgroup_info 0
		.amdhsa_system_vgpr_workitem_id 0
		.amdhsa_next_free_vgpr 32
		.amdhsa_next_free_sgpr 22
		.amdhsa_named_barrier_count 0
		.amdhsa_reserve_vcc 1
		.amdhsa_float_round_mode_32 0
		.amdhsa_float_round_mode_16_64 0
		.amdhsa_float_denorm_mode_32 3
		.amdhsa_float_denorm_mode_16_64 3
		.amdhsa_fp16_overflow 0
		.amdhsa_memory_ordered 1
		.amdhsa_forward_progress 1
		.amdhsa_inst_pref_size 38
		.amdhsa_round_robin_scheduling 0
		.amdhsa_exception_fp_ieee_invalid_op 0
		.amdhsa_exception_fp_denorm_src 0
		.amdhsa_exception_fp_ieee_div_zero 0
		.amdhsa_exception_fp_ieee_overflow 0
		.amdhsa_exception_fp_ieee_underflow 0
		.amdhsa_exception_fp_ieee_inexact 0
		.amdhsa_exception_int_div_zero 0
	.end_amdhsa_kernel
	.section	.text._ZN7rocprim17ROCPRIM_400000_NS6detail17trampoline_kernelINS0_14default_configENS1_38merge_sort_block_merge_config_selectorIfNS0_10empty_typeEEEZZNS1_27merge_sort_block_merge_implIS3_PfPS5_jNS1_19radix_merge_compareILb1ELb0EfNS0_19identity_decomposerEEEEE10hipError_tT0_T1_T2_jT3_P12ihipStream_tbPNSt15iterator_traitsISE_E10value_typeEPNSK_ISF_E10value_typeEPSG_NS1_7vsmem_tEENKUlT_SE_SF_SG_E_clIS8_S8_S9_S9_EESD_ST_SE_SF_SG_EUlST_E0_NS1_11comp_targetILNS1_3genE0ELNS1_11target_archE4294967295ELNS1_3gpuE0ELNS1_3repE0EEENS1_38merge_mergepath_config_static_selectorELNS0_4arch9wavefront6targetE0EEEvSF_,"axG",@progbits,_ZN7rocprim17ROCPRIM_400000_NS6detail17trampoline_kernelINS0_14default_configENS1_38merge_sort_block_merge_config_selectorIfNS0_10empty_typeEEEZZNS1_27merge_sort_block_merge_implIS3_PfPS5_jNS1_19radix_merge_compareILb1ELb0EfNS0_19identity_decomposerEEEEE10hipError_tT0_T1_T2_jT3_P12ihipStream_tbPNSt15iterator_traitsISE_E10value_typeEPNSK_ISF_E10value_typeEPSG_NS1_7vsmem_tEENKUlT_SE_SF_SG_E_clIS8_S8_S9_S9_EESD_ST_SE_SF_SG_EUlST_E0_NS1_11comp_targetILNS1_3genE0ELNS1_11target_archE4294967295ELNS1_3gpuE0ELNS1_3repE0EEENS1_38merge_mergepath_config_static_selectorELNS0_4arch9wavefront6targetE0EEEvSF_,comdat
.Lfunc_end1269:
	.size	_ZN7rocprim17ROCPRIM_400000_NS6detail17trampoline_kernelINS0_14default_configENS1_38merge_sort_block_merge_config_selectorIfNS0_10empty_typeEEEZZNS1_27merge_sort_block_merge_implIS3_PfPS5_jNS1_19radix_merge_compareILb1ELb0EfNS0_19identity_decomposerEEEEE10hipError_tT0_T1_T2_jT3_P12ihipStream_tbPNSt15iterator_traitsISE_E10value_typeEPNSK_ISF_E10value_typeEPSG_NS1_7vsmem_tEENKUlT_SE_SF_SG_E_clIS8_S8_S9_S9_EESD_ST_SE_SF_SG_EUlST_E0_NS1_11comp_targetILNS1_3genE0ELNS1_11target_archE4294967295ELNS1_3gpuE0ELNS1_3repE0EEENS1_38merge_mergepath_config_static_selectorELNS0_4arch9wavefront6targetE0EEEvSF_, .Lfunc_end1269-_ZN7rocprim17ROCPRIM_400000_NS6detail17trampoline_kernelINS0_14default_configENS1_38merge_sort_block_merge_config_selectorIfNS0_10empty_typeEEEZZNS1_27merge_sort_block_merge_implIS3_PfPS5_jNS1_19radix_merge_compareILb1ELb0EfNS0_19identity_decomposerEEEEE10hipError_tT0_T1_T2_jT3_P12ihipStream_tbPNSt15iterator_traitsISE_E10value_typeEPNSK_ISF_E10value_typeEPSG_NS1_7vsmem_tEENKUlT_SE_SF_SG_E_clIS8_S8_S9_S9_EESD_ST_SE_SF_SG_EUlST_E0_NS1_11comp_targetILNS1_3genE0ELNS1_11target_archE4294967295ELNS1_3gpuE0ELNS1_3repE0EEENS1_38merge_mergepath_config_static_selectorELNS0_4arch9wavefront6targetE0EEEvSF_
                                        ; -- End function
	.set _ZN7rocprim17ROCPRIM_400000_NS6detail17trampoline_kernelINS0_14default_configENS1_38merge_sort_block_merge_config_selectorIfNS0_10empty_typeEEEZZNS1_27merge_sort_block_merge_implIS3_PfPS5_jNS1_19radix_merge_compareILb1ELb0EfNS0_19identity_decomposerEEEEE10hipError_tT0_T1_T2_jT3_P12ihipStream_tbPNSt15iterator_traitsISE_E10value_typeEPNSK_ISF_E10value_typeEPSG_NS1_7vsmem_tEENKUlT_SE_SF_SG_E_clIS8_S8_S9_S9_EESD_ST_SE_SF_SG_EUlST_E0_NS1_11comp_targetILNS1_3genE0ELNS1_11target_archE4294967295ELNS1_3gpuE0ELNS1_3repE0EEENS1_38merge_mergepath_config_static_selectorELNS0_4arch9wavefront6targetE0EEEvSF_.num_vgpr, 32
	.set _ZN7rocprim17ROCPRIM_400000_NS6detail17trampoline_kernelINS0_14default_configENS1_38merge_sort_block_merge_config_selectorIfNS0_10empty_typeEEEZZNS1_27merge_sort_block_merge_implIS3_PfPS5_jNS1_19radix_merge_compareILb1ELb0EfNS0_19identity_decomposerEEEEE10hipError_tT0_T1_T2_jT3_P12ihipStream_tbPNSt15iterator_traitsISE_E10value_typeEPNSK_ISF_E10value_typeEPSG_NS1_7vsmem_tEENKUlT_SE_SF_SG_E_clIS8_S8_S9_S9_EESD_ST_SE_SF_SG_EUlST_E0_NS1_11comp_targetILNS1_3genE0ELNS1_11target_archE4294967295ELNS1_3gpuE0ELNS1_3repE0EEENS1_38merge_mergepath_config_static_selectorELNS0_4arch9wavefront6targetE0EEEvSF_.num_agpr, 0
	.set _ZN7rocprim17ROCPRIM_400000_NS6detail17trampoline_kernelINS0_14default_configENS1_38merge_sort_block_merge_config_selectorIfNS0_10empty_typeEEEZZNS1_27merge_sort_block_merge_implIS3_PfPS5_jNS1_19radix_merge_compareILb1ELb0EfNS0_19identity_decomposerEEEEE10hipError_tT0_T1_T2_jT3_P12ihipStream_tbPNSt15iterator_traitsISE_E10value_typeEPNSK_ISF_E10value_typeEPSG_NS1_7vsmem_tEENKUlT_SE_SF_SG_E_clIS8_S8_S9_S9_EESD_ST_SE_SF_SG_EUlST_E0_NS1_11comp_targetILNS1_3genE0ELNS1_11target_archE4294967295ELNS1_3gpuE0ELNS1_3repE0EEENS1_38merge_mergepath_config_static_selectorELNS0_4arch9wavefront6targetE0EEEvSF_.numbered_sgpr, 22
	.set _ZN7rocprim17ROCPRIM_400000_NS6detail17trampoline_kernelINS0_14default_configENS1_38merge_sort_block_merge_config_selectorIfNS0_10empty_typeEEEZZNS1_27merge_sort_block_merge_implIS3_PfPS5_jNS1_19radix_merge_compareILb1ELb0EfNS0_19identity_decomposerEEEEE10hipError_tT0_T1_T2_jT3_P12ihipStream_tbPNSt15iterator_traitsISE_E10value_typeEPNSK_ISF_E10value_typeEPSG_NS1_7vsmem_tEENKUlT_SE_SF_SG_E_clIS8_S8_S9_S9_EESD_ST_SE_SF_SG_EUlST_E0_NS1_11comp_targetILNS1_3genE0ELNS1_11target_archE4294967295ELNS1_3gpuE0ELNS1_3repE0EEENS1_38merge_mergepath_config_static_selectorELNS0_4arch9wavefront6targetE0EEEvSF_.num_named_barrier, 0
	.set _ZN7rocprim17ROCPRIM_400000_NS6detail17trampoline_kernelINS0_14default_configENS1_38merge_sort_block_merge_config_selectorIfNS0_10empty_typeEEEZZNS1_27merge_sort_block_merge_implIS3_PfPS5_jNS1_19radix_merge_compareILb1ELb0EfNS0_19identity_decomposerEEEEE10hipError_tT0_T1_T2_jT3_P12ihipStream_tbPNSt15iterator_traitsISE_E10value_typeEPNSK_ISF_E10value_typeEPSG_NS1_7vsmem_tEENKUlT_SE_SF_SG_E_clIS8_S8_S9_S9_EESD_ST_SE_SF_SG_EUlST_E0_NS1_11comp_targetILNS1_3genE0ELNS1_11target_archE4294967295ELNS1_3gpuE0ELNS1_3repE0EEENS1_38merge_mergepath_config_static_selectorELNS0_4arch9wavefront6targetE0EEEvSF_.private_seg_size, 0
	.set _ZN7rocprim17ROCPRIM_400000_NS6detail17trampoline_kernelINS0_14default_configENS1_38merge_sort_block_merge_config_selectorIfNS0_10empty_typeEEEZZNS1_27merge_sort_block_merge_implIS3_PfPS5_jNS1_19radix_merge_compareILb1ELb0EfNS0_19identity_decomposerEEEEE10hipError_tT0_T1_T2_jT3_P12ihipStream_tbPNSt15iterator_traitsISE_E10value_typeEPNSK_ISF_E10value_typeEPSG_NS1_7vsmem_tEENKUlT_SE_SF_SG_E_clIS8_S8_S9_S9_EESD_ST_SE_SF_SG_EUlST_E0_NS1_11comp_targetILNS1_3genE0ELNS1_11target_archE4294967295ELNS1_3gpuE0ELNS1_3repE0EEENS1_38merge_mergepath_config_static_selectorELNS0_4arch9wavefront6targetE0EEEvSF_.uses_vcc, 1
	.set _ZN7rocprim17ROCPRIM_400000_NS6detail17trampoline_kernelINS0_14default_configENS1_38merge_sort_block_merge_config_selectorIfNS0_10empty_typeEEEZZNS1_27merge_sort_block_merge_implIS3_PfPS5_jNS1_19radix_merge_compareILb1ELb0EfNS0_19identity_decomposerEEEEE10hipError_tT0_T1_T2_jT3_P12ihipStream_tbPNSt15iterator_traitsISE_E10value_typeEPNSK_ISF_E10value_typeEPSG_NS1_7vsmem_tEENKUlT_SE_SF_SG_E_clIS8_S8_S9_S9_EESD_ST_SE_SF_SG_EUlST_E0_NS1_11comp_targetILNS1_3genE0ELNS1_11target_archE4294967295ELNS1_3gpuE0ELNS1_3repE0EEENS1_38merge_mergepath_config_static_selectorELNS0_4arch9wavefront6targetE0EEEvSF_.uses_flat_scratch, 0
	.set _ZN7rocprim17ROCPRIM_400000_NS6detail17trampoline_kernelINS0_14default_configENS1_38merge_sort_block_merge_config_selectorIfNS0_10empty_typeEEEZZNS1_27merge_sort_block_merge_implIS3_PfPS5_jNS1_19radix_merge_compareILb1ELb0EfNS0_19identity_decomposerEEEEE10hipError_tT0_T1_T2_jT3_P12ihipStream_tbPNSt15iterator_traitsISE_E10value_typeEPNSK_ISF_E10value_typeEPSG_NS1_7vsmem_tEENKUlT_SE_SF_SG_E_clIS8_S8_S9_S9_EESD_ST_SE_SF_SG_EUlST_E0_NS1_11comp_targetILNS1_3genE0ELNS1_11target_archE4294967295ELNS1_3gpuE0ELNS1_3repE0EEENS1_38merge_mergepath_config_static_selectorELNS0_4arch9wavefront6targetE0EEEvSF_.has_dyn_sized_stack, 0
	.set _ZN7rocprim17ROCPRIM_400000_NS6detail17trampoline_kernelINS0_14default_configENS1_38merge_sort_block_merge_config_selectorIfNS0_10empty_typeEEEZZNS1_27merge_sort_block_merge_implIS3_PfPS5_jNS1_19radix_merge_compareILb1ELb0EfNS0_19identity_decomposerEEEEE10hipError_tT0_T1_T2_jT3_P12ihipStream_tbPNSt15iterator_traitsISE_E10value_typeEPNSK_ISF_E10value_typeEPSG_NS1_7vsmem_tEENKUlT_SE_SF_SG_E_clIS8_S8_S9_S9_EESD_ST_SE_SF_SG_EUlST_E0_NS1_11comp_targetILNS1_3genE0ELNS1_11target_archE4294967295ELNS1_3gpuE0ELNS1_3repE0EEENS1_38merge_mergepath_config_static_selectorELNS0_4arch9wavefront6targetE0EEEvSF_.has_recursion, 0
	.set _ZN7rocprim17ROCPRIM_400000_NS6detail17trampoline_kernelINS0_14default_configENS1_38merge_sort_block_merge_config_selectorIfNS0_10empty_typeEEEZZNS1_27merge_sort_block_merge_implIS3_PfPS5_jNS1_19radix_merge_compareILb1ELb0EfNS0_19identity_decomposerEEEEE10hipError_tT0_T1_T2_jT3_P12ihipStream_tbPNSt15iterator_traitsISE_E10value_typeEPNSK_ISF_E10value_typeEPSG_NS1_7vsmem_tEENKUlT_SE_SF_SG_E_clIS8_S8_S9_S9_EESD_ST_SE_SF_SG_EUlST_E0_NS1_11comp_targetILNS1_3genE0ELNS1_11target_archE4294967295ELNS1_3gpuE0ELNS1_3repE0EEENS1_38merge_mergepath_config_static_selectorELNS0_4arch9wavefront6targetE0EEEvSF_.has_indirect_call, 0
	.section	.AMDGPU.csdata,"",@progbits
; Kernel info:
; codeLenInByte = 4864
; TotalNumSgprs: 24
; NumVgprs: 32
; ScratchSize: 0
; MemoryBound: 0
; FloatMode: 240
; IeeeMode: 1
; LDSByteSize: 4224 bytes/workgroup (compile time only)
; SGPRBlocks: 0
; VGPRBlocks: 1
; NumSGPRsForWavesPerEU: 24
; NumVGPRsForWavesPerEU: 32
; NamedBarCnt: 0
; Occupancy: 16
; WaveLimiterHint : 1
; COMPUTE_PGM_RSRC2:SCRATCH_EN: 0
; COMPUTE_PGM_RSRC2:USER_SGPR: 2
; COMPUTE_PGM_RSRC2:TRAP_HANDLER: 0
; COMPUTE_PGM_RSRC2:TGID_X_EN: 1
; COMPUTE_PGM_RSRC2:TGID_Y_EN: 1
; COMPUTE_PGM_RSRC2:TGID_Z_EN: 1
; COMPUTE_PGM_RSRC2:TIDIG_COMP_CNT: 0
	.section	.text._ZN7rocprim17ROCPRIM_400000_NS6detail17trampoline_kernelINS0_14default_configENS1_38merge_sort_block_merge_config_selectorIfNS0_10empty_typeEEEZZNS1_27merge_sort_block_merge_implIS3_PfPS5_jNS1_19radix_merge_compareILb1ELb0EfNS0_19identity_decomposerEEEEE10hipError_tT0_T1_T2_jT3_P12ihipStream_tbPNSt15iterator_traitsISE_E10value_typeEPNSK_ISF_E10value_typeEPSG_NS1_7vsmem_tEENKUlT_SE_SF_SG_E_clIS8_S8_S9_S9_EESD_ST_SE_SF_SG_EUlST_E0_NS1_11comp_targetILNS1_3genE10ELNS1_11target_archE1201ELNS1_3gpuE5ELNS1_3repE0EEENS1_38merge_mergepath_config_static_selectorELNS0_4arch9wavefront6targetE0EEEvSF_,"axG",@progbits,_ZN7rocprim17ROCPRIM_400000_NS6detail17trampoline_kernelINS0_14default_configENS1_38merge_sort_block_merge_config_selectorIfNS0_10empty_typeEEEZZNS1_27merge_sort_block_merge_implIS3_PfPS5_jNS1_19radix_merge_compareILb1ELb0EfNS0_19identity_decomposerEEEEE10hipError_tT0_T1_T2_jT3_P12ihipStream_tbPNSt15iterator_traitsISE_E10value_typeEPNSK_ISF_E10value_typeEPSG_NS1_7vsmem_tEENKUlT_SE_SF_SG_E_clIS8_S8_S9_S9_EESD_ST_SE_SF_SG_EUlST_E0_NS1_11comp_targetILNS1_3genE10ELNS1_11target_archE1201ELNS1_3gpuE5ELNS1_3repE0EEENS1_38merge_mergepath_config_static_selectorELNS0_4arch9wavefront6targetE0EEEvSF_,comdat
	.protected	_ZN7rocprim17ROCPRIM_400000_NS6detail17trampoline_kernelINS0_14default_configENS1_38merge_sort_block_merge_config_selectorIfNS0_10empty_typeEEEZZNS1_27merge_sort_block_merge_implIS3_PfPS5_jNS1_19radix_merge_compareILb1ELb0EfNS0_19identity_decomposerEEEEE10hipError_tT0_T1_T2_jT3_P12ihipStream_tbPNSt15iterator_traitsISE_E10value_typeEPNSK_ISF_E10value_typeEPSG_NS1_7vsmem_tEENKUlT_SE_SF_SG_E_clIS8_S8_S9_S9_EESD_ST_SE_SF_SG_EUlST_E0_NS1_11comp_targetILNS1_3genE10ELNS1_11target_archE1201ELNS1_3gpuE5ELNS1_3repE0EEENS1_38merge_mergepath_config_static_selectorELNS0_4arch9wavefront6targetE0EEEvSF_ ; -- Begin function _ZN7rocprim17ROCPRIM_400000_NS6detail17trampoline_kernelINS0_14default_configENS1_38merge_sort_block_merge_config_selectorIfNS0_10empty_typeEEEZZNS1_27merge_sort_block_merge_implIS3_PfPS5_jNS1_19radix_merge_compareILb1ELb0EfNS0_19identity_decomposerEEEEE10hipError_tT0_T1_T2_jT3_P12ihipStream_tbPNSt15iterator_traitsISE_E10value_typeEPNSK_ISF_E10value_typeEPSG_NS1_7vsmem_tEENKUlT_SE_SF_SG_E_clIS8_S8_S9_S9_EESD_ST_SE_SF_SG_EUlST_E0_NS1_11comp_targetILNS1_3genE10ELNS1_11target_archE1201ELNS1_3gpuE5ELNS1_3repE0EEENS1_38merge_mergepath_config_static_selectorELNS0_4arch9wavefront6targetE0EEEvSF_
	.globl	_ZN7rocprim17ROCPRIM_400000_NS6detail17trampoline_kernelINS0_14default_configENS1_38merge_sort_block_merge_config_selectorIfNS0_10empty_typeEEEZZNS1_27merge_sort_block_merge_implIS3_PfPS5_jNS1_19radix_merge_compareILb1ELb0EfNS0_19identity_decomposerEEEEE10hipError_tT0_T1_T2_jT3_P12ihipStream_tbPNSt15iterator_traitsISE_E10value_typeEPNSK_ISF_E10value_typeEPSG_NS1_7vsmem_tEENKUlT_SE_SF_SG_E_clIS8_S8_S9_S9_EESD_ST_SE_SF_SG_EUlST_E0_NS1_11comp_targetILNS1_3genE10ELNS1_11target_archE1201ELNS1_3gpuE5ELNS1_3repE0EEENS1_38merge_mergepath_config_static_selectorELNS0_4arch9wavefront6targetE0EEEvSF_
	.p2align	8
	.type	_ZN7rocprim17ROCPRIM_400000_NS6detail17trampoline_kernelINS0_14default_configENS1_38merge_sort_block_merge_config_selectorIfNS0_10empty_typeEEEZZNS1_27merge_sort_block_merge_implIS3_PfPS5_jNS1_19radix_merge_compareILb1ELb0EfNS0_19identity_decomposerEEEEE10hipError_tT0_T1_T2_jT3_P12ihipStream_tbPNSt15iterator_traitsISE_E10value_typeEPNSK_ISF_E10value_typeEPSG_NS1_7vsmem_tEENKUlT_SE_SF_SG_E_clIS8_S8_S9_S9_EESD_ST_SE_SF_SG_EUlST_E0_NS1_11comp_targetILNS1_3genE10ELNS1_11target_archE1201ELNS1_3gpuE5ELNS1_3repE0EEENS1_38merge_mergepath_config_static_selectorELNS0_4arch9wavefront6targetE0EEEvSF_,@function
_ZN7rocprim17ROCPRIM_400000_NS6detail17trampoline_kernelINS0_14default_configENS1_38merge_sort_block_merge_config_selectorIfNS0_10empty_typeEEEZZNS1_27merge_sort_block_merge_implIS3_PfPS5_jNS1_19radix_merge_compareILb1ELb0EfNS0_19identity_decomposerEEEEE10hipError_tT0_T1_T2_jT3_P12ihipStream_tbPNSt15iterator_traitsISE_E10value_typeEPNSK_ISF_E10value_typeEPSG_NS1_7vsmem_tEENKUlT_SE_SF_SG_E_clIS8_S8_S9_S9_EESD_ST_SE_SF_SG_EUlST_E0_NS1_11comp_targetILNS1_3genE10ELNS1_11target_archE1201ELNS1_3gpuE5ELNS1_3repE0EEENS1_38merge_mergepath_config_static_selectorELNS0_4arch9wavefront6targetE0EEEvSF_: ; @_ZN7rocprim17ROCPRIM_400000_NS6detail17trampoline_kernelINS0_14default_configENS1_38merge_sort_block_merge_config_selectorIfNS0_10empty_typeEEEZZNS1_27merge_sort_block_merge_implIS3_PfPS5_jNS1_19radix_merge_compareILb1ELb0EfNS0_19identity_decomposerEEEEE10hipError_tT0_T1_T2_jT3_P12ihipStream_tbPNSt15iterator_traitsISE_E10value_typeEPNSK_ISF_E10value_typeEPSG_NS1_7vsmem_tEENKUlT_SE_SF_SG_E_clIS8_S8_S9_S9_EESD_ST_SE_SF_SG_EUlST_E0_NS1_11comp_targetILNS1_3genE10ELNS1_11target_archE1201ELNS1_3gpuE5ELNS1_3repE0EEENS1_38merge_mergepath_config_static_selectorELNS0_4arch9wavefront6targetE0EEEvSF_
; %bb.0:
	.section	.rodata,"a",@progbits
	.p2align	6, 0x0
	.amdhsa_kernel _ZN7rocprim17ROCPRIM_400000_NS6detail17trampoline_kernelINS0_14default_configENS1_38merge_sort_block_merge_config_selectorIfNS0_10empty_typeEEEZZNS1_27merge_sort_block_merge_implIS3_PfPS5_jNS1_19radix_merge_compareILb1ELb0EfNS0_19identity_decomposerEEEEE10hipError_tT0_T1_T2_jT3_P12ihipStream_tbPNSt15iterator_traitsISE_E10value_typeEPNSK_ISF_E10value_typeEPSG_NS1_7vsmem_tEENKUlT_SE_SF_SG_E_clIS8_S8_S9_S9_EESD_ST_SE_SF_SG_EUlST_E0_NS1_11comp_targetILNS1_3genE10ELNS1_11target_archE1201ELNS1_3gpuE5ELNS1_3repE0EEENS1_38merge_mergepath_config_static_selectorELNS0_4arch9wavefront6targetE0EEEvSF_
		.amdhsa_group_segment_fixed_size 0
		.amdhsa_private_segment_fixed_size 0
		.amdhsa_kernarg_size 64
		.amdhsa_user_sgpr_count 2
		.amdhsa_user_sgpr_dispatch_ptr 0
		.amdhsa_user_sgpr_queue_ptr 0
		.amdhsa_user_sgpr_kernarg_segment_ptr 1
		.amdhsa_user_sgpr_dispatch_id 0
		.amdhsa_user_sgpr_kernarg_preload_length 0
		.amdhsa_user_sgpr_kernarg_preload_offset 0
		.amdhsa_user_sgpr_private_segment_size 0
		.amdhsa_wavefront_size32 1
		.amdhsa_uses_dynamic_stack 0
		.amdhsa_enable_private_segment 0
		.amdhsa_system_sgpr_workgroup_id_x 1
		.amdhsa_system_sgpr_workgroup_id_y 0
		.amdhsa_system_sgpr_workgroup_id_z 0
		.amdhsa_system_sgpr_workgroup_info 0
		.amdhsa_system_vgpr_workitem_id 0
		.amdhsa_next_free_vgpr 1
		.amdhsa_next_free_sgpr 1
		.amdhsa_named_barrier_count 0
		.amdhsa_reserve_vcc 0
		.amdhsa_float_round_mode_32 0
		.amdhsa_float_round_mode_16_64 0
		.amdhsa_float_denorm_mode_32 3
		.amdhsa_float_denorm_mode_16_64 3
		.amdhsa_fp16_overflow 0
		.amdhsa_memory_ordered 1
		.amdhsa_forward_progress 1
		.amdhsa_inst_pref_size 0
		.amdhsa_round_robin_scheduling 0
		.amdhsa_exception_fp_ieee_invalid_op 0
		.amdhsa_exception_fp_denorm_src 0
		.amdhsa_exception_fp_ieee_div_zero 0
		.amdhsa_exception_fp_ieee_overflow 0
		.amdhsa_exception_fp_ieee_underflow 0
		.amdhsa_exception_fp_ieee_inexact 0
		.amdhsa_exception_int_div_zero 0
	.end_amdhsa_kernel
	.section	.text._ZN7rocprim17ROCPRIM_400000_NS6detail17trampoline_kernelINS0_14default_configENS1_38merge_sort_block_merge_config_selectorIfNS0_10empty_typeEEEZZNS1_27merge_sort_block_merge_implIS3_PfPS5_jNS1_19radix_merge_compareILb1ELb0EfNS0_19identity_decomposerEEEEE10hipError_tT0_T1_T2_jT3_P12ihipStream_tbPNSt15iterator_traitsISE_E10value_typeEPNSK_ISF_E10value_typeEPSG_NS1_7vsmem_tEENKUlT_SE_SF_SG_E_clIS8_S8_S9_S9_EESD_ST_SE_SF_SG_EUlST_E0_NS1_11comp_targetILNS1_3genE10ELNS1_11target_archE1201ELNS1_3gpuE5ELNS1_3repE0EEENS1_38merge_mergepath_config_static_selectorELNS0_4arch9wavefront6targetE0EEEvSF_,"axG",@progbits,_ZN7rocprim17ROCPRIM_400000_NS6detail17trampoline_kernelINS0_14default_configENS1_38merge_sort_block_merge_config_selectorIfNS0_10empty_typeEEEZZNS1_27merge_sort_block_merge_implIS3_PfPS5_jNS1_19radix_merge_compareILb1ELb0EfNS0_19identity_decomposerEEEEE10hipError_tT0_T1_T2_jT3_P12ihipStream_tbPNSt15iterator_traitsISE_E10value_typeEPNSK_ISF_E10value_typeEPSG_NS1_7vsmem_tEENKUlT_SE_SF_SG_E_clIS8_S8_S9_S9_EESD_ST_SE_SF_SG_EUlST_E0_NS1_11comp_targetILNS1_3genE10ELNS1_11target_archE1201ELNS1_3gpuE5ELNS1_3repE0EEENS1_38merge_mergepath_config_static_selectorELNS0_4arch9wavefront6targetE0EEEvSF_,comdat
.Lfunc_end1270:
	.size	_ZN7rocprim17ROCPRIM_400000_NS6detail17trampoline_kernelINS0_14default_configENS1_38merge_sort_block_merge_config_selectorIfNS0_10empty_typeEEEZZNS1_27merge_sort_block_merge_implIS3_PfPS5_jNS1_19radix_merge_compareILb1ELb0EfNS0_19identity_decomposerEEEEE10hipError_tT0_T1_T2_jT3_P12ihipStream_tbPNSt15iterator_traitsISE_E10value_typeEPNSK_ISF_E10value_typeEPSG_NS1_7vsmem_tEENKUlT_SE_SF_SG_E_clIS8_S8_S9_S9_EESD_ST_SE_SF_SG_EUlST_E0_NS1_11comp_targetILNS1_3genE10ELNS1_11target_archE1201ELNS1_3gpuE5ELNS1_3repE0EEENS1_38merge_mergepath_config_static_selectorELNS0_4arch9wavefront6targetE0EEEvSF_, .Lfunc_end1270-_ZN7rocprim17ROCPRIM_400000_NS6detail17trampoline_kernelINS0_14default_configENS1_38merge_sort_block_merge_config_selectorIfNS0_10empty_typeEEEZZNS1_27merge_sort_block_merge_implIS3_PfPS5_jNS1_19radix_merge_compareILb1ELb0EfNS0_19identity_decomposerEEEEE10hipError_tT0_T1_T2_jT3_P12ihipStream_tbPNSt15iterator_traitsISE_E10value_typeEPNSK_ISF_E10value_typeEPSG_NS1_7vsmem_tEENKUlT_SE_SF_SG_E_clIS8_S8_S9_S9_EESD_ST_SE_SF_SG_EUlST_E0_NS1_11comp_targetILNS1_3genE10ELNS1_11target_archE1201ELNS1_3gpuE5ELNS1_3repE0EEENS1_38merge_mergepath_config_static_selectorELNS0_4arch9wavefront6targetE0EEEvSF_
                                        ; -- End function
	.set _ZN7rocprim17ROCPRIM_400000_NS6detail17trampoline_kernelINS0_14default_configENS1_38merge_sort_block_merge_config_selectorIfNS0_10empty_typeEEEZZNS1_27merge_sort_block_merge_implIS3_PfPS5_jNS1_19radix_merge_compareILb1ELb0EfNS0_19identity_decomposerEEEEE10hipError_tT0_T1_T2_jT3_P12ihipStream_tbPNSt15iterator_traitsISE_E10value_typeEPNSK_ISF_E10value_typeEPSG_NS1_7vsmem_tEENKUlT_SE_SF_SG_E_clIS8_S8_S9_S9_EESD_ST_SE_SF_SG_EUlST_E0_NS1_11comp_targetILNS1_3genE10ELNS1_11target_archE1201ELNS1_3gpuE5ELNS1_3repE0EEENS1_38merge_mergepath_config_static_selectorELNS0_4arch9wavefront6targetE0EEEvSF_.num_vgpr, 0
	.set _ZN7rocprim17ROCPRIM_400000_NS6detail17trampoline_kernelINS0_14default_configENS1_38merge_sort_block_merge_config_selectorIfNS0_10empty_typeEEEZZNS1_27merge_sort_block_merge_implIS3_PfPS5_jNS1_19radix_merge_compareILb1ELb0EfNS0_19identity_decomposerEEEEE10hipError_tT0_T1_T2_jT3_P12ihipStream_tbPNSt15iterator_traitsISE_E10value_typeEPNSK_ISF_E10value_typeEPSG_NS1_7vsmem_tEENKUlT_SE_SF_SG_E_clIS8_S8_S9_S9_EESD_ST_SE_SF_SG_EUlST_E0_NS1_11comp_targetILNS1_3genE10ELNS1_11target_archE1201ELNS1_3gpuE5ELNS1_3repE0EEENS1_38merge_mergepath_config_static_selectorELNS0_4arch9wavefront6targetE0EEEvSF_.num_agpr, 0
	.set _ZN7rocprim17ROCPRIM_400000_NS6detail17trampoline_kernelINS0_14default_configENS1_38merge_sort_block_merge_config_selectorIfNS0_10empty_typeEEEZZNS1_27merge_sort_block_merge_implIS3_PfPS5_jNS1_19radix_merge_compareILb1ELb0EfNS0_19identity_decomposerEEEEE10hipError_tT0_T1_T2_jT3_P12ihipStream_tbPNSt15iterator_traitsISE_E10value_typeEPNSK_ISF_E10value_typeEPSG_NS1_7vsmem_tEENKUlT_SE_SF_SG_E_clIS8_S8_S9_S9_EESD_ST_SE_SF_SG_EUlST_E0_NS1_11comp_targetILNS1_3genE10ELNS1_11target_archE1201ELNS1_3gpuE5ELNS1_3repE0EEENS1_38merge_mergepath_config_static_selectorELNS0_4arch9wavefront6targetE0EEEvSF_.numbered_sgpr, 0
	.set _ZN7rocprim17ROCPRIM_400000_NS6detail17trampoline_kernelINS0_14default_configENS1_38merge_sort_block_merge_config_selectorIfNS0_10empty_typeEEEZZNS1_27merge_sort_block_merge_implIS3_PfPS5_jNS1_19radix_merge_compareILb1ELb0EfNS0_19identity_decomposerEEEEE10hipError_tT0_T1_T2_jT3_P12ihipStream_tbPNSt15iterator_traitsISE_E10value_typeEPNSK_ISF_E10value_typeEPSG_NS1_7vsmem_tEENKUlT_SE_SF_SG_E_clIS8_S8_S9_S9_EESD_ST_SE_SF_SG_EUlST_E0_NS1_11comp_targetILNS1_3genE10ELNS1_11target_archE1201ELNS1_3gpuE5ELNS1_3repE0EEENS1_38merge_mergepath_config_static_selectorELNS0_4arch9wavefront6targetE0EEEvSF_.num_named_barrier, 0
	.set _ZN7rocprim17ROCPRIM_400000_NS6detail17trampoline_kernelINS0_14default_configENS1_38merge_sort_block_merge_config_selectorIfNS0_10empty_typeEEEZZNS1_27merge_sort_block_merge_implIS3_PfPS5_jNS1_19radix_merge_compareILb1ELb0EfNS0_19identity_decomposerEEEEE10hipError_tT0_T1_T2_jT3_P12ihipStream_tbPNSt15iterator_traitsISE_E10value_typeEPNSK_ISF_E10value_typeEPSG_NS1_7vsmem_tEENKUlT_SE_SF_SG_E_clIS8_S8_S9_S9_EESD_ST_SE_SF_SG_EUlST_E0_NS1_11comp_targetILNS1_3genE10ELNS1_11target_archE1201ELNS1_3gpuE5ELNS1_3repE0EEENS1_38merge_mergepath_config_static_selectorELNS0_4arch9wavefront6targetE0EEEvSF_.private_seg_size, 0
	.set _ZN7rocprim17ROCPRIM_400000_NS6detail17trampoline_kernelINS0_14default_configENS1_38merge_sort_block_merge_config_selectorIfNS0_10empty_typeEEEZZNS1_27merge_sort_block_merge_implIS3_PfPS5_jNS1_19radix_merge_compareILb1ELb0EfNS0_19identity_decomposerEEEEE10hipError_tT0_T1_T2_jT3_P12ihipStream_tbPNSt15iterator_traitsISE_E10value_typeEPNSK_ISF_E10value_typeEPSG_NS1_7vsmem_tEENKUlT_SE_SF_SG_E_clIS8_S8_S9_S9_EESD_ST_SE_SF_SG_EUlST_E0_NS1_11comp_targetILNS1_3genE10ELNS1_11target_archE1201ELNS1_3gpuE5ELNS1_3repE0EEENS1_38merge_mergepath_config_static_selectorELNS0_4arch9wavefront6targetE0EEEvSF_.uses_vcc, 0
	.set _ZN7rocprim17ROCPRIM_400000_NS6detail17trampoline_kernelINS0_14default_configENS1_38merge_sort_block_merge_config_selectorIfNS0_10empty_typeEEEZZNS1_27merge_sort_block_merge_implIS3_PfPS5_jNS1_19radix_merge_compareILb1ELb0EfNS0_19identity_decomposerEEEEE10hipError_tT0_T1_T2_jT3_P12ihipStream_tbPNSt15iterator_traitsISE_E10value_typeEPNSK_ISF_E10value_typeEPSG_NS1_7vsmem_tEENKUlT_SE_SF_SG_E_clIS8_S8_S9_S9_EESD_ST_SE_SF_SG_EUlST_E0_NS1_11comp_targetILNS1_3genE10ELNS1_11target_archE1201ELNS1_3gpuE5ELNS1_3repE0EEENS1_38merge_mergepath_config_static_selectorELNS0_4arch9wavefront6targetE0EEEvSF_.uses_flat_scratch, 0
	.set _ZN7rocprim17ROCPRIM_400000_NS6detail17trampoline_kernelINS0_14default_configENS1_38merge_sort_block_merge_config_selectorIfNS0_10empty_typeEEEZZNS1_27merge_sort_block_merge_implIS3_PfPS5_jNS1_19radix_merge_compareILb1ELb0EfNS0_19identity_decomposerEEEEE10hipError_tT0_T1_T2_jT3_P12ihipStream_tbPNSt15iterator_traitsISE_E10value_typeEPNSK_ISF_E10value_typeEPSG_NS1_7vsmem_tEENKUlT_SE_SF_SG_E_clIS8_S8_S9_S9_EESD_ST_SE_SF_SG_EUlST_E0_NS1_11comp_targetILNS1_3genE10ELNS1_11target_archE1201ELNS1_3gpuE5ELNS1_3repE0EEENS1_38merge_mergepath_config_static_selectorELNS0_4arch9wavefront6targetE0EEEvSF_.has_dyn_sized_stack, 0
	.set _ZN7rocprim17ROCPRIM_400000_NS6detail17trampoline_kernelINS0_14default_configENS1_38merge_sort_block_merge_config_selectorIfNS0_10empty_typeEEEZZNS1_27merge_sort_block_merge_implIS3_PfPS5_jNS1_19radix_merge_compareILb1ELb0EfNS0_19identity_decomposerEEEEE10hipError_tT0_T1_T2_jT3_P12ihipStream_tbPNSt15iterator_traitsISE_E10value_typeEPNSK_ISF_E10value_typeEPSG_NS1_7vsmem_tEENKUlT_SE_SF_SG_E_clIS8_S8_S9_S9_EESD_ST_SE_SF_SG_EUlST_E0_NS1_11comp_targetILNS1_3genE10ELNS1_11target_archE1201ELNS1_3gpuE5ELNS1_3repE0EEENS1_38merge_mergepath_config_static_selectorELNS0_4arch9wavefront6targetE0EEEvSF_.has_recursion, 0
	.set _ZN7rocprim17ROCPRIM_400000_NS6detail17trampoline_kernelINS0_14default_configENS1_38merge_sort_block_merge_config_selectorIfNS0_10empty_typeEEEZZNS1_27merge_sort_block_merge_implIS3_PfPS5_jNS1_19radix_merge_compareILb1ELb0EfNS0_19identity_decomposerEEEEE10hipError_tT0_T1_T2_jT3_P12ihipStream_tbPNSt15iterator_traitsISE_E10value_typeEPNSK_ISF_E10value_typeEPSG_NS1_7vsmem_tEENKUlT_SE_SF_SG_E_clIS8_S8_S9_S9_EESD_ST_SE_SF_SG_EUlST_E0_NS1_11comp_targetILNS1_3genE10ELNS1_11target_archE1201ELNS1_3gpuE5ELNS1_3repE0EEENS1_38merge_mergepath_config_static_selectorELNS0_4arch9wavefront6targetE0EEEvSF_.has_indirect_call, 0
	.section	.AMDGPU.csdata,"",@progbits
; Kernel info:
; codeLenInByte = 0
; TotalNumSgprs: 0
; NumVgprs: 0
; ScratchSize: 0
; MemoryBound: 0
; FloatMode: 240
; IeeeMode: 1
; LDSByteSize: 0 bytes/workgroup (compile time only)
; SGPRBlocks: 0
; VGPRBlocks: 0
; NumSGPRsForWavesPerEU: 1
; NumVGPRsForWavesPerEU: 1
; NamedBarCnt: 0
; Occupancy: 16
; WaveLimiterHint : 0
; COMPUTE_PGM_RSRC2:SCRATCH_EN: 0
; COMPUTE_PGM_RSRC2:USER_SGPR: 2
; COMPUTE_PGM_RSRC2:TRAP_HANDLER: 0
; COMPUTE_PGM_RSRC2:TGID_X_EN: 1
; COMPUTE_PGM_RSRC2:TGID_Y_EN: 0
; COMPUTE_PGM_RSRC2:TGID_Z_EN: 0
; COMPUTE_PGM_RSRC2:TIDIG_COMP_CNT: 0
	.section	.text._ZN7rocprim17ROCPRIM_400000_NS6detail17trampoline_kernelINS0_14default_configENS1_38merge_sort_block_merge_config_selectorIfNS0_10empty_typeEEEZZNS1_27merge_sort_block_merge_implIS3_PfPS5_jNS1_19radix_merge_compareILb1ELb0EfNS0_19identity_decomposerEEEEE10hipError_tT0_T1_T2_jT3_P12ihipStream_tbPNSt15iterator_traitsISE_E10value_typeEPNSK_ISF_E10value_typeEPSG_NS1_7vsmem_tEENKUlT_SE_SF_SG_E_clIS8_S8_S9_S9_EESD_ST_SE_SF_SG_EUlST_E0_NS1_11comp_targetILNS1_3genE5ELNS1_11target_archE942ELNS1_3gpuE9ELNS1_3repE0EEENS1_38merge_mergepath_config_static_selectorELNS0_4arch9wavefront6targetE0EEEvSF_,"axG",@progbits,_ZN7rocprim17ROCPRIM_400000_NS6detail17trampoline_kernelINS0_14default_configENS1_38merge_sort_block_merge_config_selectorIfNS0_10empty_typeEEEZZNS1_27merge_sort_block_merge_implIS3_PfPS5_jNS1_19radix_merge_compareILb1ELb0EfNS0_19identity_decomposerEEEEE10hipError_tT0_T1_T2_jT3_P12ihipStream_tbPNSt15iterator_traitsISE_E10value_typeEPNSK_ISF_E10value_typeEPSG_NS1_7vsmem_tEENKUlT_SE_SF_SG_E_clIS8_S8_S9_S9_EESD_ST_SE_SF_SG_EUlST_E0_NS1_11comp_targetILNS1_3genE5ELNS1_11target_archE942ELNS1_3gpuE9ELNS1_3repE0EEENS1_38merge_mergepath_config_static_selectorELNS0_4arch9wavefront6targetE0EEEvSF_,comdat
	.protected	_ZN7rocprim17ROCPRIM_400000_NS6detail17trampoline_kernelINS0_14default_configENS1_38merge_sort_block_merge_config_selectorIfNS0_10empty_typeEEEZZNS1_27merge_sort_block_merge_implIS3_PfPS5_jNS1_19radix_merge_compareILb1ELb0EfNS0_19identity_decomposerEEEEE10hipError_tT0_T1_T2_jT3_P12ihipStream_tbPNSt15iterator_traitsISE_E10value_typeEPNSK_ISF_E10value_typeEPSG_NS1_7vsmem_tEENKUlT_SE_SF_SG_E_clIS8_S8_S9_S9_EESD_ST_SE_SF_SG_EUlST_E0_NS1_11comp_targetILNS1_3genE5ELNS1_11target_archE942ELNS1_3gpuE9ELNS1_3repE0EEENS1_38merge_mergepath_config_static_selectorELNS0_4arch9wavefront6targetE0EEEvSF_ ; -- Begin function _ZN7rocprim17ROCPRIM_400000_NS6detail17trampoline_kernelINS0_14default_configENS1_38merge_sort_block_merge_config_selectorIfNS0_10empty_typeEEEZZNS1_27merge_sort_block_merge_implIS3_PfPS5_jNS1_19radix_merge_compareILb1ELb0EfNS0_19identity_decomposerEEEEE10hipError_tT0_T1_T2_jT3_P12ihipStream_tbPNSt15iterator_traitsISE_E10value_typeEPNSK_ISF_E10value_typeEPSG_NS1_7vsmem_tEENKUlT_SE_SF_SG_E_clIS8_S8_S9_S9_EESD_ST_SE_SF_SG_EUlST_E0_NS1_11comp_targetILNS1_3genE5ELNS1_11target_archE942ELNS1_3gpuE9ELNS1_3repE0EEENS1_38merge_mergepath_config_static_selectorELNS0_4arch9wavefront6targetE0EEEvSF_
	.globl	_ZN7rocprim17ROCPRIM_400000_NS6detail17trampoline_kernelINS0_14default_configENS1_38merge_sort_block_merge_config_selectorIfNS0_10empty_typeEEEZZNS1_27merge_sort_block_merge_implIS3_PfPS5_jNS1_19radix_merge_compareILb1ELb0EfNS0_19identity_decomposerEEEEE10hipError_tT0_T1_T2_jT3_P12ihipStream_tbPNSt15iterator_traitsISE_E10value_typeEPNSK_ISF_E10value_typeEPSG_NS1_7vsmem_tEENKUlT_SE_SF_SG_E_clIS8_S8_S9_S9_EESD_ST_SE_SF_SG_EUlST_E0_NS1_11comp_targetILNS1_3genE5ELNS1_11target_archE942ELNS1_3gpuE9ELNS1_3repE0EEENS1_38merge_mergepath_config_static_selectorELNS0_4arch9wavefront6targetE0EEEvSF_
	.p2align	8
	.type	_ZN7rocprim17ROCPRIM_400000_NS6detail17trampoline_kernelINS0_14default_configENS1_38merge_sort_block_merge_config_selectorIfNS0_10empty_typeEEEZZNS1_27merge_sort_block_merge_implIS3_PfPS5_jNS1_19radix_merge_compareILb1ELb0EfNS0_19identity_decomposerEEEEE10hipError_tT0_T1_T2_jT3_P12ihipStream_tbPNSt15iterator_traitsISE_E10value_typeEPNSK_ISF_E10value_typeEPSG_NS1_7vsmem_tEENKUlT_SE_SF_SG_E_clIS8_S8_S9_S9_EESD_ST_SE_SF_SG_EUlST_E0_NS1_11comp_targetILNS1_3genE5ELNS1_11target_archE942ELNS1_3gpuE9ELNS1_3repE0EEENS1_38merge_mergepath_config_static_selectorELNS0_4arch9wavefront6targetE0EEEvSF_,@function
_ZN7rocprim17ROCPRIM_400000_NS6detail17trampoline_kernelINS0_14default_configENS1_38merge_sort_block_merge_config_selectorIfNS0_10empty_typeEEEZZNS1_27merge_sort_block_merge_implIS3_PfPS5_jNS1_19radix_merge_compareILb1ELb0EfNS0_19identity_decomposerEEEEE10hipError_tT0_T1_T2_jT3_P12ihipStream_tbPNSt15iterator_traitsISE_E10value_typeEPNSK_ISF_E10value_typeEPSG_NS1_7vsmem_tEENKUlT_SE_SF_SG_E_clIS8_S8_S9_S9_EESD_ST_SE_SF_SG_EUlST_E0_NS1_11comp_targetILNS1_3genE5ELNS1_11target_archE942ELNS1_3gpuE9ELNS1_3repE0EEENS1_38merge_mergepath_config_static_selectorELNS0_4arch9wavefront6targetE0EEEvSF_: ; @_ZN7rocprim17ROCPRIM_400000_NS6detail17trampoline_kernelINS0_14default_configENS1_38merge_sort_block_merge_config_selectorIfNS0_10empty_typeEEEZZNS1_27merge_sort_block_merge_implIS3_PfPS5_jNS1_19radix_merge_compareILb1ELb0EfNS0_19identity_decomposerEEEEE10hipError_tT0_T1_T2_jT3_P12ihipStream_tbPNSt15iterator_traitsISE_E10value_typeEPNSK_ISF_E10value_typeEPSG_NS1_7vsmem_tEENKUlT_SE_SF_SG_E_clIS8_S8_S9_S9_EESD_ST_SE_SF_SG_EUlST_E0_NS1_11comp_targetILNS1_3genE5ELNS1_11target_archE942ELNS1_3gpuE9ELNS1_3repE0EEENS1_38merge_mergepath_config_static_selectorELNS0_4arch9wavefront6targetE0EEEvSF_
; %bb.0:
	.section	.rodata,"a",@progbits
	.p2align	6, 0x0
	.amdhsa_kernel _ZN7rocprim17ROCPRIM_400000_NS6detail17trampoline_kernelINS0_14default_configENS1_38merge_sort_block_merge_config_selectorIfNS0_10empty_typeEEEZZNS1_27merge_sort_block_merge_implIS3_PfPS5_jNS1_19radix_merge_compareILb1ELb0EfNS0_19identity_decomposerEEEEE10hipError_tT0_T1_T2_jT3_P12ihipStream_tbPNSt15iterator_traitsISE_E10value_typeEPNSK_ISF_E10value_typeEPSG_NS1_7vsmem_tEENKUlT_SE_SF_SG_E_clIS8_S8_S9_S9_EESD_ST_SE_SF_SG_EUlST_E0_NS1_11comp_targetILNS1_3genE5ELNS1_11target_archE942ELNS1_3gpuE9ELNS1_3repE0EEENS1_38merge_mergepath_config_static_selectorELNS0_4arch9wavefront6targetE0EEEvSF_
		.amdhsa_group_segment_fixed_size 0
		.amdhsa_private_segment_fixed_size 0
		.amdhsa_kernarg_size 64
		.amdhsa_user_sgpr_count 2
		.amdhsa_user_sgpr_dispatch_ptr 0
		.amdhsa_user_sgpr_queue_ptr 0
		.amdhsa_user_sgpr_kernarg_segment_ptr 1
		.amdhsa_user_sgpr_dispatch_id 0
		.amdhsa_user_sgpr_kernarg_preload_length 0
		.amdhsa_user_sgpr_kernarg_preload_offset 0
		.amdhsa_user_sgpr_private_segment_size 0
		.amdhsa_wavefront_size32 1
		.amdhsa_uses_dynamic_stack 0
		.amdhsa_enable_private_segment 0
		.amdhsa_system_sgpr_workgroup_id_x 1
		.amdhsa_system_sgpr_workgroup_id_y 0
		.amdhsa_system_sgpr_workgroup_id_z 0
		.amdhsa_system_sgpr_workgroup_info 0
		.amdhsa_system_vgpr_workitem_id 0
		.amdhsa_next_free_vgpr 1
		.amdhsa_next_free_sgpr 1
		.amdhsa_named_barrier_count 0
		.amdhsa_reserve_vcc 0
		.amdhsa_float_round_mode_32 0
		.amdhsa_float_round_mode_16_64 0
		.amdhsa_float_denorm_mode_32 3
		.amdhsa_float_denorm_mode_16_64 3
		.amdhsa_fp16_overflow 0
		.amdhsa_memory_ordered 1
		.amdhsa_forward_progress 1
		.amdhsa_inst_pref_size 0
		.amdhsa_round_robin_scheduling 0
		.amdhsa_exception_fp_ieee_invalid_op 0
		.amdhsa_exception_fp_denorm_src 0
		.amdhsa_exception_fp_ieee_div_zero 0
		.amdhsa_exception_fp_ieee_overflow 0
		.amdhsa_exception_fp_ieee_underflow 0
		.amdhsa_exception_fp_ieee_inexact 0
		.amdhsa_exception_int_div_zero 0
	.end_amdhsa_kernel
	.section	.text._ZN7rocprim17ROCPRIM_400000_NS6detail17trampoline_kernelINS0_14default_configENS1_38merge_sort_block_merge_config_selectorIfNS0_10empty_typeEEEZZNS1_27merge_sort_block_merge_implIS3_PfPS5_jNS1_19radix_merge_compareILb1ELb0EfNS0_19identity_decomposerEEEEE10hipError_tT0_T1_T2_jT3_P12ihipStream_tbPNSt15iterator_traitsISE_E10value_typeEPNSK_ISF_E10value_typeEPSG_NS1_7vsmem_tEENKUlT_SE_SF_SG_E_clIS8_S8_S9_S9_EESD_ST_SE_SF_SG_EUlST_E0_NS1_11comp_targetILNS1_3genE5ELNS1_11target_archE942ELNS1_3gpuE9ELNS1_3repE0EEENS1_38merge_mergepath_config_static_selectorELNS0_4arch9wavefront6targetE0EEEvSF_,"axG",@progbits,_ZN7rocprim17ROCPRIM_400000_NS6detail17trampoline_kernelINS0_14default_configENS1_38merge_sort_block_merge_config_selectorIfNS0_10empty_typeEEEZZNS1_27merge_sort_block_merge_implIS3_PfPS5_jNS1_19radix_merge_compareILb1ELb0EfNS0_19identity_decomposerEEEEE10hipError_tT0_T1_T2_jT3_P12ihipStream_tbPNSt15iterator_traitsISE_E10value_typeEPNSK_ISF_E10value_typeEPSG_NS1_7vsmem_tEENKUlT_SE_SF_SG_E_clIS8_S8_S9_S9_EESD_ST_SE_SF_SG_EUlST_E0_NS1_11comp_targetILNS1_3genE5ELNS1_11target_archE942ELNS1_3gpuE9ELNS1_3repE0EEENS1_38merge_mergepath_config_static_selectorELNS0_4arch9wavefront6targetE0EEEvSF_,comdat
.Lfunc_end1271:
	.size	_ZN7rocprim17ROCPRIM_400000_NS6detail17trampoline_kernelINS0_14default_configENS1_38merge_sort_block_merge_config_selectorIfNS0_10empty_typeEEEZZNS1_27merge_sort_block_merge_implIS3_PfPS5_jNS1_19radix_merge_compareILb1ELb0EfNS0_19identity_decomposerEEEEE10hipError_tT0_T1_T2_jT3_P12ihipStream_tbPNSt15iterator_traitsISE_E10value_typeEPNSK_ISF_E10value_typeEPSG_NS1_7vsmem_tEENKUlT_SE_SF_SG_E_clIS8_S8_S9_S9_EESD_ST_SE_SF_SG_EUlST_E0_NS1_11comp_targetILNS1_3genE5ELNS1_11target_archE942ELNS1_3gpuE9ELNS1_3repE0EEENS1_38merge_mergepath_config_static_selectorELNS0_4arch9wavefront6targetE0EEEvSF_, .Lfunc_end1271-_ZN7rocprim17ROCPRIM_400000_NS6detail17trampoline_kernelINS0_14default_configENS1_38merge_sort_block_merge_config_selectorIfNS0_10empty_typeEEEZZNS1_27merge_sort_block_merge_implIS3_PfPS5_jNS1_19radix_merge_compareILb1ELb0EfNS0_19identity_decomposerEEEEE10hipError_tT0_T1_T2_jT3_P12ihipStream_tbPNSt15iterator_traitsISE_E10value_typeEPNSK_ISF_E10value_typeEPSG_NS1_7vsmem_tEENKUlT_SE_SF_SG_E_clIS8_S8_S9_S9_EESD_ST_SE_SF_SG_EUlST_E0_NS1_11comp_targetILNS1_3genE5ELNS1_11target_archE942ELNS1_3gpuE9ELNS1_3repE0EEENS1_38merge_mergepath_config_static_selectorELNS0_4arch9wavefront6targetE0EEEvSF_
                                        ; -- End function
	.set _ZN7rocprim17ROCPRIM_400000_NS6detail17trampoline_kernelINS0_14default_configENS1_38merge_sort_block_merge_config_selectorIfNS0_10empty_typeEEEZZNS1_27merge_sort_block_merge_implIS3_PfPS5_jNS1_19radix_merge_compareILb1ELb0EfNS0_19identity_decomposerEEEEE10hipError_tT0_T1_T2_jT3_P12ihipStream_tbPNSt15iterator_traitsISE_E10value_typeEPNSK_ISF_E10value_typeEPSG_NS1_7vsmem_tEENKUlT_SE_SF_SG_E_clIS8_S8_S9_S9_EESD_ST_SE_SF_SG_EUlST_E0_NS1_11comp_targetILNS1_3genE5ELNS1_11target_archE942ELNS1_3gpuE9ELNS1_3repE0EEENS1_38merge_mergepath_config_static_selectorELNS0_4arch9wavefront6targetE0EEEvSF_.num_vgpr, 0
	.set _ZN7rocprim17ROCPRIM_400000_NS6detail17trampoline_kernelINS0_14default_configENS1_38merge_sort_block_merge_config_selectorIfNS0_10empty_typeEEEZZNS1_27merge_sort_block_merge_implIS3_PfPS5_jNS1_19radix_merge_compareILb1ELb0EfNS0_19identity_decomposerEEEEE10hipError_tT0_T1_T2_jT3_P12ihipStream_tbPNSt15iterator_traitsISE_E10value_typeEPNSK_ISF_E10value_typeEPSG_NS1_7vsmem_tEENKUlT_SE_SF_SG_E_clIS8_S8_S9_S9_EESD_ST_SE_SF_SG_EUlST_E0_NS1_11comp_targetILNS1_3genE5ELNS1_11target_archE942ELNS1_3gpuE9ELNS1_3repE0EEENS1_38merge_mergepath_config_static_selectorELNS0_4arch9wavefront6targetE0EEEvSF_.num_agpr, 0
	.set _ZN7rocprim17ROCPRIM_400000_NS6detail17trampoline_kernelINS0_14default_configENS1_38merge_sort_block_merge_config_selectorIfNS0_10empty_typeEEEZZNS1_27merge_sort_block_merge_implIS3_PfPS5_jNS1_19radix_merge_compareILb1ELb0EfNS0_19identity_decomposerEEEEE10hipError_tT0_T1_T2_jT3_P12ihipStream_tbPNSt15iterator_traitsISE_E10value_typeEPNSK_ISF_E10value_typeEPSG_NS1_7vsmem_tEENKUlT_SE_SF_SG_E_clIS8_S8_S9_S9_EESD_ST_SE_SF_SG_EUlST_E0_NS1_11comp_targetILNS1_3genE5ELNS1_11target_archE942ELNS1_3gpuE9ELNS1_3repE0EEENS1_38merge_mergepath_config_static_selectorELNS0_4arch9wavefront6targetE0EEEvSF_.numbered_sgpr, 0
	.set _ZN7rocprim17ROCPRIM_400000_NS6detail17trampoline_kernelINS0_14default_configENS1_38merge_sort_block_merge_config_selectorIfNS0_10empty_typeEEEZZNS1_27merge_sort_block_merge_implIS3_PfPS5_jNS1_19radix_merge_compareILb1ELb0EfNS0_19identity_decomposerEEEEE10hipError_tT0_T1_T2_jT3_P12ihipStream_tbPNSt15iterator_traitsISE_E10value_typeEPNSK_ISF_E10value_typeEPSG_NS1_7vsmem_tEENKUlT_SE_SF_SG_E_clIS8_S8_S9_S9_EESD_ST_SE_SF_SG_EUlST_E0_NS1_11comp_targetILNS1_3genE5ELNS1_11target_archE942ELNS1_3gpuE9ELNS1_3repE0EEENS1_38merge_mergepath_config_static_selectorELNS0_4arch9wavefront6targetE0EEEvSF_.num_named_barrier, 0
	.set _ZN7rocprim17ROCPRIM_400000_NS6detail17trampoline_kernelINS0_14default_configENS1_38merge_sort_block_merge_config_selectorIfNS0_10empty_typeEEEZZNS1_27merge_sort_block_merge_implIS3_PfPS5_jNS1_19radix_merge_compareILb1ELb0EfNS0_19identity_decomposerEEEEE10hipError_tT0_T1_T2_jT3_P12ihipStream_tbPNSt15iterator_traitsISE_E10value_typeEPNSK_ISF_E10value_typeEPSG_NS1_7vsmem_tEENKUlT_SE_SF_SG_E_clIS8_S8_S9_S9_EESD_ST_SE_SF_SG_EUlST_E0_NS1_11comp_targetILNS1_3genE5ELNS1_11target_archE942ELNS1_3gpuE9ELNS1_3repE0EEENS1_38merge_mergepath_config_static_selectorELNS0_4arch9wavefront6targetE0EEEvSF_.private_seg_size, 0
	.set _ZN7rocprim17ROCPRIM_400000_NS6detail17trampoline_kernelINS0_14default_configENS1_38merge_sort_block_merge_config_selectorIfNS0_10empty_typeEEEZZNS1_27merge_sort_block_merge_implIS3_PfPS5_jNS1_19radix_merge_compareILb1ELb0EfNS0_19identity_decomposerEEEEE10hipError_tT0_T1_T2_jT3_P12ihipStream_tbPNSt15iterator_traitsISE_E10value_typeEPNSK_ISF_E10value_typeEPSG_NS1_7vsmem_tEENKUlT_SE_SF_SG_E_clIS8_S8_S9_S9_EESD_ST_SE_SF_SG_EUlST_E0_NS1_11comp_targetILNS1_3genE5ELNS1_11target_archE942ELNS1_3gpuE9ELNS1_3repE0EEENS1_38merge_mergepath_config_static_selectorELNS0_4arch9wavefront6targetE0EEEvSF_.uses_vcc, 0
	.set _ZN7rocprim17ROCPRIM_400000_NS6detail17trampoline_kernelINS0_14default_configENS1_38merge_sort_block_merge_config_selectorIfNS0_10empty_typeEEEZZNS1_27merge_sort_block_merge_implIS3_PfPS5_jNS1_19radix_merge_compareILb1ELb0EfNS0_19identity_decomposerEEEEE10hipError_tT0_T1_T2_jT3_P12ihipStream_tbPNSt15iterator_traitsISE_E10value_typeEPNSK_ISF_E10value_typeEPSG_NS1_7vsmem_tEENKUlT_SE_SF_SG_E_clIS8_S8_S9_S9_EESD_ST_SE_SF_SG_EUlST_E0_NS1_11comp_targetILNS1_3genE5ELNS1_11target_archE942ELNS1_3gpuE9ELNS1_3repE0EEENS1_38merge_mergepath_config_static_selectorELNS0_4arch9wavefront6targetE0EEEvSF_.uses_flat_scratch, 0
	.set _ZN7rocprim17ROCPRIM_400000_NS6detail17trampoline_kernelINS0_14default_configENS1_38merge_sort_block_merge_config_selectorIfNS0_10empty_typeEEEZZNS1_27merge_sort_block_merge_implIS3_PfPS5_jNS1_19radix_merge_compareILb1ELb0EfNS0_19identity_decomposerEEEEE10hipError_tT0_T1_T2_jT3_P12ihipStream_tbPNSt15iterator_traitsISE_E10value_typeEPNSK_ISF_E10value_typeEPSG_NS1_7vsmem_tEENKUlT_SE_SF_SG_E_clIS8_S8_S9_S9_EESD_ST_SE_SF_SG_EUlST_E0_NS1_11comp_targetILNS1_3genE5ELNS1_11target_archE942ELNS1_3gpuE9ELNS1_3repE0EEENS1_38merge_mergepath_config_static_selectorELNS0_4arch9wavefront6targetE0EEEvSF_.has_dyn_sized_stack, 0
	.set _ZN7rocprim17ROCPRIM_400000_NS6detail17trampoline_kernelINS0_14default_configENS1_38merge_sort_block_merge_config_selectorIfNS0_10empty_typeEEEZZNS1_27merge_sort_block_merge_implIS3_PfPS5_jNS1_19radix_merge_compareILb1ELb0EfNS0_19identity_decomposerEEEEE10hipError_tT0_T1_T2_jT3_P12ihipStream_tbPNSt15iterator_traitsISE_E10value_typeEPNSK_ISF_E10value_typeEPSG_NS1_7vsmem_tEENKUlT_SE_SF_SG_E_clIS8_S8_S9_S9_EESD_ST_SE_SF_SG_EUlST_E0_NS1_11comp_targetILNS1_3genE5ELNS1_11target_archE942ELNS1_3gpuE9ELNS1_3repE0EEENS1_38merge_mergepath_config_static_selectorELNS0_4arch9wavefront6targetE0EEEvSF_.has_recursion, 0
	.set _ZN7rocprim17ROCPRIM_400000_NS6detail17trampoline_kernelINS0_14default_configENS1_38merge_sort_block_merge_config_selectorIfNS0_10empty_typeEEEZZNS1_27merge_sort_block_merge_implIS3_PfPS5_jNS1_19radix_merge_compareILb1ELb0EfNS0_19identity_decomposerEEEEE10hipError_tT0_T1_T2_jT3_P12ihipStream_tbPNSt15iterator_traitsISE_E10value_typeEPNSK_ISF_E10value_typeEPSG_NS1_7vsmem_tEENKUlT_SE_SF_SG_E_clIS8_S8_S9_S9_EESD_ST_SE_SF_SG_EUlST_E0_NS1_11comp_targetILNS1_3genE5ELNS1_11target_archE942ELNS1_3gpuE9ELNS1_3repE0EEENS1_38merge_mergepath_config_static_selectorELNS0_4arch9wavefront6targetE0EEEvSF_.has_indirect_call, 0
	.section	.AMDGPU.csdata,"",@progbits
; Kernel info:
; codeLenInByte = 0
; TotalNumSgprs: 0
; NumVgprs: 0
; ScratchSize: 0
; MemoryBound: 0
; FloatMode: 240
; IeeeMode: 1
; LDSByteSize: 0 bytes/workgroup (compile time only)
; SGPRBlocks: 0
; VGPRBlocks: 0
; NumSGPRsForWavesPerEU: 1
; NumVGPRsForWavesPerEU: 1
; NamedBarCnt: 0
; Occupancy: 16
; WaveLimiterHint : 0
; COMPUTE_PGM_RSRC2:SCRATCH_EN: 0
; COMPUTE_PGM_RSRC2:USER_SGPR: 2
; COMPUTE_PGM_RSRC2:TRAP_HANDLER: 0
; COMPUTE_PGM_RSRC2:TGID_X_EN: 1
; COMPUTE_PGM_RSRC2:TGID_Y_EN: 0
; COMPUTE_PGM_RSRC2:TGID_Z_EN: 0
; COMPUTE_PGM_RSRC2:TIDIG_COMP_CNT: 0
	.section	.text._ZN7rocprim17ROCPRIM_400000_NS6detail17trampoline_kernelINS0_14default_configENS1_38merge_sort_block_merge_config_selectorIfNS0_10empty_typeEEEZZNS1_27merge_sort_block_merge_implIS3_PfPS5_jNS1_19radix_merge_compareILb1ELb0EfNS0_19identity_decomposerEEEEE10hipError_tT0_T1_T2_jT3_P12ihipStream_tbPNSt15iterator_traitsISE_E10value_typeEPNSK_ISF_E10value_typeEPSG_NS1_7vsmem_tEENKUlT_SE_SF_SG_E_clIS8_S8_S9_S9_EESD_ST_SE_SF_SG_EUlST_E0_NS1_11comp_targetILNS1_3genE4ELNS1_11target_archE910ELNS1_3gpuE8ELNS1_3repE0EEENS1_38merge_mergepath_config_static_selectorELNS0_4arch9wavefront6targetE0EEEvSF_,"axG",@progbits,_ZN7rocprim17ROCPRIM_400000_NS6detail17trampoline_kernelINS0_14default_configENS1_38merge_sort_block_merge_config_selectorIfNS0_10empty_typeEEEZZNS1_27merge_sort_block_merge_implIS3_PfPS5_jNS1_19radix_merge_compareILb1ELb0EfNS0_19identity_decomposerEEEEE10hipError_tT0_T1_T2_jT3_P12ihipStream_tbPNSt15iterator_traitsISE_E10value_typeEPNSK_ISF_E10value_typeEPSG_NS1_7vsmem_tEENKUlT_SE_SF_SG_E_clIS8_S8_S9_S9_EESD_ST_SE_SF_SG_EUlST_E0_NS1_11comp_targetILNS1_3genE4ELNS1_11target_archE910ELNS1_3gpuE8ELNS1_3repE0EEENS1_38merge_mergepath_config_static_selectorELNS0_4arch9wavefront6targetE0EEEvSF_,comdat
	.protected	_ZN7rocprim17ROCPRIM_400000_NS6detail17trampoline_kernelINS0_14default_configENS1_38merge_sort_block_merge_config_selectorIfNS0_10empty_typeEEEZZNS1_27merge_sort_block_merge_implIS3_PfPS5_jNS1_19radix_merge_compareILb1ELb0EfNS0_19identity_decomposerEEEEE10hipError_tT0_T1_T2_jT3_P12ihipStream_tbPNSt15iterator_traitsISE_E10value_typeEPNSK_ISF_E10value_typeEPSG_NS1_7vsmem_tEENKUlT_SE_SF_SG_E_clIS8_S8_S9_S9_EESD_ST_SE_SF_SG_EUlST_E0_NS1_11comp_targetILNS1_3genE4ELNS1_11target_archE910ELNS1_3gpuE8ELNS1_3repE0EEENS1_38merge_mergepath_config_static_selectorELNS0_4arch9wavefront6targetE0EEEvSF_ ; -- Begin function _ZN7rocprim17ROCPRIM_400000_NS6detail17trampoline_kernelINS0_14default_configENS1_38merge_sort_block_merge_config_selectorIfNS0_10empty_typeEEEZZNS1_27merge_sort_block_merge_implIS3_PfPS5_jNS1_19radix_merge_compareILb1ELb0EfNS0_19identity_decomposerEEEEE10hipError_tT0_T1_T2_jT3_P12ihipStream_tbPNSt15iterator_traitsISE_E10value_typeEPNSK_ISF_E10value_typeEPSG_NS1_7vsmem_tEENKUlT_SE_SF_SG_E_clIS8_S8_S9_S9_EESD_ST_SE_SF_SG_EUlST_E0_NS1_11comp_targetILNS1_3genE4ELNS1_11target_archE910ELNS1_3gpuE8ELNS1_3repE0EEENS1_38merge_mergepath_config_static_selectorELNS0_4arch9wavefront6targetE0EEEvSF_
	.globl	_ZN7rocprim17ROCPRIM_400000_NS6detail17trampoline_kernelINS0_14default_configENS1_38merge_sort_block_merge_config_selectorIfNS0_10empty_typeEEEZZNS1_27merge_sort_block_merge_implIS3_PfPS5_jNS1_19radix_merge_compareILb1ELb0EfNS0_19identity_decomposerEEEEE10hipError_tT0_T1_T2_jT3_P12ihipStream_tbPNSt15iterator_traitsISE_E10value_typeEPNSK_ISF_E10value_typeEPSG_NS1_7vsmem_tEENKUlT_SE_SF_SG_E_clIS8_S8_S9_S9_EESD_ST_SE_SF_SG_EUlST_E0_NS1_11comp_targetILNS1_3genE4ELNS1_11target_archE910ELNS1_3gpuE8ELNS1_3repE0EEENS1_38merge_mergepath_config_static_selectorELNS0_4arch9wavefront6targetE0EEEvSF_
	.p2align	8
	.type	_ZN7rocprim17ROCPRIM_400000_NS6detail17trampoline_kernelINS0_14default_configENS1_38merge_sort_block_merge_config_selectorIfNS0_10empty_typeEEEZZNS1_27merge_sort_block_merge_implIS3_PfPS5_jNS1_19radix_merge_compareILb1ELb0EfNS0_19identity_decomposerEEEEE10hipError_tT0_T1_T2_jT3_P12ihipStream_tbPNSt15iterator_traitsISE_E10value_typeEPNSK_ISF_E10value_typeEPSG_NS1_7vsmem_tEENKUlT_SE_SF_SG_E_clIS8_S8_S9_S9_EESD_ST_SE_SF_SG_EUlST_E0_NS1_11comp_targetILNS1_3genE4ELNS1_11target_archE910ELNS1_3gpuE8ELNS1_3repE0EEENS1_38merge_mergepath_config_static_selectorELNS0_4arch9wavefront6targetE0EEEvSF_,@function
_ZN7rocprim17ROCPRIM_400000_NS6detail17trampoline_kernelINS0_14default_configENS1_38merge_sort_block_merge_config_selectorIfNS0_10empty_typeEEEZZNS1_27merge_sort_block_merge_implIS3_PfPS5_jNS1_19radix_merge_compareILb1ELb0EfNS0_19identity_decomposerEEEEE10hipError_tT0_T1_T2_jT3_P12ihipStream_tbPNSt15iterator_traitsISE_E10value_typeEPNSK_ISF_E10value_typeEPSG_NS1_7vsmem_tEENKUlT_SE_SF_SG_E_clIS8_S8_S9_S9_EESD_ST_SE_SF_SG_EUlST_E0_NS1_11comp_targetILNS1_3genE4ELNS1_11target_archE910ELNS1_3gpuE8ELNS1_3repE0EEENS1_38merge_mergepath_config_static_selectorELNS0_4arch9wavefront6targetE0EEEvSF_: ; @_ZN7rocprim17ROCPRIM_400000_NS6detail17trampoline_kernelINS0_14default_configENS1_38merge_sort_block_merge_config_selectorIfNS0_10empty_typeEEEZZNS1_27merge_sort_block_merge_implIS3_PfPS5_jNS1_19radix_merge_compareILb1ELb0EfNS0_19identity_decomposerEEEEE10hipError_tT0_T1_T2_jT3_P12ihipStream_tbPNSt15iterator_traitsISE_E10value_typeEPNSK_ISF_E10value_typeEPSG_NS1_7vsmem_tEENKUlT_SE_SF_SG_E_clIS8_S8_S9_S9_EESD_ST_SE_SF_SG_EUlST_E0_NS1_11comp_targetILNS1_3genE4ELNS1_11target_archE910ELNS1_3gpuE8ELNS1_3repE0EEENS1_38merge_mergepath_config_static_selectorELNS0_4arch9wavefront6targetE0EEEvSF_
; %bb.0:
	.section	.rodata,"a",@progbits
	.p2align	6, 0x0
	.amdhsa_kernel _ZN7rocprim17ROCPRIM_400000_NS6detail17trampoline_kernelINS0_14default_configENS1_38merge_sort_block_merge_config_selectorIfNS0_10empty_typeEEEZZNS1_27merge_sort_block_merge_implIS3_PfPS5_jNS1_19radix_merge_compareILb1ELb0EfNS0_19identity_decomposerEEEEE10hipError_tT0_T1_T2_jT3_P12ihipStream_tbPNSt15iterator_traitsISE_E10value_typeEPNSK_ISF_E10value_typeEPSG_NS1_7vsmem_tEENKUlT_SE_SF_SG_E_clIS8_S8_S9_S9_EESD_ST_SE_SF_SG_EUlST_E0_NS1_11comp_targetILNS1_3genE4ELNS1_11target_archE910ELNS1_3gpuE8ELNS1_3repE0EEENS1_38merge_mergepath_config_static_selectorELNS0_4arch9wavefront6targetE0EEEvSF_
		.amdhsa_group_segment_fixed_size 0
		.amdhsa_private_segment_fixed_size 0
		.amdhsa_kernarg_size 64
		.amdhsa_user_sgpr_count 2
		.amdhsa_user_sgpr_dispatch_ptr 0
		.amdhsa_user_sgpr_queue_ptr 0
		.amdhsa_user_sgpr_kernarg_segment_ptr 1
		.amdhsa_user_sgpr_dispatch_id 0
		.amdhsa_user_sgpr_kernarg_preload_length 0
		.amdhsa_user_sgpr_kernarg_preload_offset 0
		.amdhsa_user_sgpr_private_segment_size 0
		.amdhsa_wavefront_size32 1
		.amdhsa_uses_dynamic_stack 0
		.amdhsa_enable_private_segment 0
		.amdhsa_system_sgpr_workgroup_id_x 1
		.amdhsa_system_sgpr_workgroup_id_y 0
		.amdhsa_system_sgpr_workgroup_id_z 0
		.amdhsa_system_sgpr_workgroup_info 0
		.amdhsa_system_vgpr_workitem_id 0
		.amdhsa_next_free_vgpr 1
		.amdhsa_next_free_sgpr 1
		.amdhsa_named_barrier_count 0
		.amdhsa_reserve_vcc 0
		.amdhsa_float_round_mode_32 0
		.amdhsa_float_round_mode_16_64 0
		.amdhsa_float_denorm_mode_32 3
		.amdhsa_float_denorm_mode_16_64 3
		.amdhsa_fp16_overflow 0
		.amdhsa_memory_ordered 1
		.amdhsa_forward_progress 1
		.amdhsa_inst_pref_size 0
		.amdhsa_round_robin_scheduling 0
		.amdhsa_exception_fp_ieee_invalid_op 0
		.amdhsa_exception_fp_denorm_src 0
		.amdhsa_exception_fp_ieee_div_zero 0
		.amdhsa_exception_fp_ieee_overflow 0
		.amdhsa_exception_fp_ieee_underflow 0
		.amdhsa_exception_fp_ieee_inexact 0
		.amdhsa_exception_int_div_zero 0
	.end_amdhsa_kernel
	.section	.text._ZN7rocprim17ROCPRIM_400000_NS6detail17trampoline_kernelINS0_14default_configENS1_38merge_sort_block_merge_config_selectorIfNS0_10empty_typeEEEZZNS1_27merge_sort_block_merge_implIS3_PfPS5_jNS1_19radix_merge_compareILb1ELb0EfNS0_19identity_decomposerEEEEE10hipError_tT0_T1_T2_jT3_P12ihipStream_tbPNSt15iterator_traitsISE_E10value_typeEPNSK_ISF_E10value_typeEPSG_NS1_7vsmem_tEENKUlT_SE_SF_SG_E_clIS8_S8_S9_S9_EESD_ST_SE_SF_SG_EUlST_E0_NS1_11comp_targetILNS1_3genE4ELNS1_11target_archE910ELNS1_3gpuE8ELNS1_3repE0EEENS1_38merge_mergepath_config_static_selectorELNS0_4arch9wavefront6targetE0EEEvSF_,"axG",@progbits,_ZN7rocprim17ROCPRIM_400000_NS6detail17trampoline_kernelINS0_14default_configENS1_38merge_sort_block_merge_config_selectorIfNS0_10empty_typeEEEZZNS1_27merge_sort_block_merge_implIS3_PfPS5_jNS1_19radix_merge_compareILb1ELb0EfNS0_19identity_decomposerEEEEE10hipError_tT0_T1_T2_jT3_P12ihipStream_tbPNSt15iterator_traitsISE_E10value_typeEPNSK_ISF_E10value_typeEPSG_NS1_7vsmem_tEENKUlT_SE_SF_SG_E_clIS8_S8_S9_S9_EESD_ST_SE_SF_SG_EUlST_E0_NS1_11comp_targetILNS1_3genE4ELNS1_11target_archE910ELNS1_3gpuE8ELNS1_3repE0EEENS1_38merge_mergepath_config_static_selectorELNS0_4arch9wavefront6targetE0EEEvSF_,comdat
.Lfunc_end1272:
	.size	_ZN7rocprim17ROCPRIM_400000_NS6detail17trampoline_kernelINS0_14default_configENS1_38merge_sort_block_merge_config_selectorIfNS0_10empty_typeEEEZZNS1_27merge_sort_block_merge_implIS3_PfPS5_jNS1_19radix_merge_compareILb1ELb0EfNS0_19identity_decomposerEEEEE10hipError_tT0_T1_T2_jT3_P12ihipStream_tbPNSt15iterator_traitsISE_E10value_typeEPNSK_ISF_E10value_typeEPSG_NS1_7vsmem_tEENKUlT_SE_SF_SG_E_clIS8_S8_S9_S9_EESD_ST_SE_SF_SG_EUlST_E0_NS1_11comp_targetILNS1_3genE4ELNS1_11target_archE910ELNS1_3gpuE8ELNS1_3repE0EEENS1_38merge_mergepath_config_static_selectorELNS0_4arch9wavefront6targetE0EEEvSF_, .Lfunc_end1272-_ZN7rocprim17ROCPRIM_400000_NS6detail17trampoline_kernelINS0_14default_configENS1_38merge_sort_block_merge_config_selectorIfNS0_10empty_typeEEEZZNS1_27merge_sort_block_merge_implIS3_PfPS5_jNS1_19radix_merge_compareILb1ELb0EfNS0_19identity_decomposerEEEEE10hipError_tT0_T1_T2_jT3_P12ihipStream_tbPNSt15iterator_traitsISE_E10value_typeEPNSK_ISF_E10value_typeEPSG_NS1_7vsmem_tEENKUlT_SE_SF_SG_E_clIS8_S8_S9_S9_EESD_ST_SE_SF_SG_EUlST_E0_NS1_11comp_targetILNS1_3genE4ELNS1_11target_archE910ELNS1_3gpuE8ELNS1_3repE0EEENS1_38merge_mergepath_config_static_selectorELNS0_4arch9wavefront6targetE0EEEvSF_
                                        ; -- End function
	.set _ZN7rocprim17ROCPRIM_400000_NS6detail17trampoline_kernelINS0_14default_configENS1_38merge_sort_block_merge_config_selectorIfNS0_10empty_typeEEEZZNS1_27merge_sort_block_merge_implIS3_PfPS5_jNS1_19radix_merge_compareILb1ELb0EfNS0_19identity_decomposerEEEEE10hipError_tT0_T1_T2_jT3_P12ihipStream_tbPNSt15iterator_traitsISE_E10value_typeEPNSK_ISF_E10value_typeEPSG_NS1_7vsmem_tEENKUlT_SE_SF_SG_E_clIS8_S8_S9_S9_EESD_ST_SE_SF_SG_EUlST_E0_NS1_11comp_targetILNS1_3genE4ELNS1_11target_archE910ELNS1_3gpuE8ELNS1_3repE0EEENS1_38merge_mergepath_config_static_selectorELNS0_4arch9wavefront6targetE0EEEvSF_.num_vgpr, 0
	.set _ZN7rocprim17ROCPRIM_400000_NS6detail17trampoline_kernelINS0_14default_configENS1_38merge_sort_block_merge_config_selectorIfNS0_10empty_typeEEEZZNS1_27merge_sort_block_merge_implIS3_PfPS5_jNS1_19radix_merge_compareILb1ELb0EfNS0_19identity_decomposerEEEEE10hipError_tT0_T1_T2_jT3_P12ihipStream_tbPNSt15iterator_traitsISE_E10value_typeEPNSK_ISF_E10value_typeEPSG_NS1_7vsmem_tEENKUlT_SE_SF_SG_E_clIS8_S8_S9_S9_EESD_ST_SE_SF_SG_EUlST_E0_NS1_11comp_targetILNS1_3genE4ELNS1_11target_archE910ELNS1_3gpuE8ELNS1_3repE0EEENS1_38merge_mergepath_config_static_selectorELNS0_4arch9wavefront6targetE0EEEvSF_.num_agpr, 0
	.set _ZN7rocprim17ROCPRIM_400000_NS6detail17trampoline_kernelINS0_14default_configENS1_38merge_sort_block_merge_config_selectorIfNS0_10empty_typeEEEZZNS1_27merge_sort_block_merge_implIS3_PfPS5_jNS1_19radix_merge_compareILb1ELb0EfNS0_19identity_decomposerEEEEE10hipError_tT0_T1_T2_jT3_P12ihipStream_tbPNSt15iterator_traitsISE_E10value_typeEPNSK_ISF_E10value_typeEPSG_NS1_7vsmem_tEENKUlT_SE_SF_SG_E_clIS8_S8_S9_S9_EESD_ST_SE_SF_SG_EUlST_E0_NS1_11comp_targetILNS1_3genE4ELNS1_11target_archE910ELNS1_3gpuE8ELNS1_3repE0EEENS1_38merge_mergepath_config_static_selectorELNS0_4arch9wavefront6targetE0EEEvSF_.numbered_sgpr, 0
	.set _ZN7rocprim17ROCPRIM_400000_NS6detail17trampoline_kernelINS0_14default_configENS1_38merge_sort_block_merge_config_selectorIfNS0_10empty_typeEEEZZNS1_27merge_sort_block_merge_implIS3_PfPS5_jNS1_19radix_merge_compareILb1ELb0EfNS0_19identity_decomposerEEEEE10hipError_tT0_T1_T2_jT3_P12ihipStream_tbPNSt15iterator_traitsISE_E10value_typeEPNSK_ISF_E10value_typeEPSG_NS1_7vsmem_tEENKUlT_SE_SF_SG_E_clIS8_S8_S9_S9_EESD_ST_SE_SF_SG_EUlST_E0_NS1_11comp_targetILNS1_3genE4ELNS1_11target_archE910ELNS1_3gpuE8ELNS1_3repE0EEENS1_38merge_mergepath_config_static_selectorELNS0_4arch9wavefront6targetE0EEEvSF_.num_named_barrier, 0
	.set _ZN7rocprim17ROCPRIM_400000_NS6detail17trampoline_kernelINS0_14default_configENS1_38merge_sort_block_merge_config_selectorIfNS0_10empty_typeEEEZZNS1_27merge_sort_block_merge_implIS3_PfPS5_jNS1_19radix_merge_compareILb1ELb0EfNS0_19identity_decomposerEEEEE10hipError_tT0_T1_T2_jT3_P12ihipStream_tbPNSt15iterator_traitsISE_E10value_typeEPNSK_ISF_E10value_typeEPSG_NS1_7vsmem_tEENKUlT_SE_SF_SG_E_clIS8_S8_S9_S9_EESD_ST_SE_SF_SG_EUlST_E0_NS1_11comp_targetILNS1_3genE4ELNS1_11target_archE910ELNS1_3gpuE8ELNS1_3repE0EEENS1_38merge_mergepath_config_static_selectorELNS0_4arch9wavefront6targetE0EEEvSF_.private_seg_size, 0
	.set _ZN7rocprim17ROCPRIM_400000_NS6detail17trampoline_kernelINS0_14default_configENS1_38merge_sort_block_merge_config_selectorIfNS0_10empty_typeEEEZZNS1_27merge_sort_block_merge_implIS3_PfPS5_jNS1_19radix_merge_compareILb1ELb0EfNS0_19identity_decomposerEEEEE10hipError_tT0_T1_T2_jT3_P12ihipStream_tbPNSt15iterator_traitsISE_E10value_typeEPNSK_ISF_E10value_typeEPSG_NS1_7vsmem_tEENKUlT_SE_SF_SG_E_clIS8_S8_S9_S9_EESD_ST_SE_SF_SG_EUlST_E0_NS1_11comp_targetILNS1_3genE4ELNS1_11target_archE910ELNS1_3gpuE8ELNS1_3repE0EEENS1_38merge_mergepath_config_static_selectorELNS0_4arch9wavefront6targetE0EEEvSF_.uses_vcc, 0
	.set _ZN7rocprim17ROCPRIM_400000_NS6detail17trampoline_kernelINS0_14default_configENS1_38merge_sort_block_merge_config_selectorIfNS0_10empty_typeEEEZZNS1_27merge_sort_block_merge_implIS3_PfPS5_jNS1_19radix_merge_compareILb1ELb0EfNS0_19identity_decomposerEEEEE10hipError_tT0_T1_T2_jT3_P12ihipStream_tbPNSt15iterator_traitsISE_E10value_typeEPNSK_ISF_E10value_typeEPSG_NS1_7vsmem_tEENKUlT_SE_SF_SG_E_clIS8_S8_S9_S9_EESD_ST_SE_SF_SG_EUlST_E0_NS1_11comp_targetILNS1_3genE4ELNS1_11target_archE910ELNS1_3gpuE8ELNS1_3repE0EEENS1_38merge_mergepath_config_static_selectorELNS0_4arch9wavefront6targetE0EEEvSF_.uses_flat_scratch, 0
	.set _ZN7rocprim17ROCPRIM_400000_NS6detail17trampoline_kernelINS0_14default_configENS1_38merge_sort_block_merge_config_selectorIfNS0_10empty_typeEEEZZNS1_27merge_sort_block_merge_implIS3_PfPS5_jNS1_19radix_merge_compareILb1ELb0EfNS0_19identity_decomposerEEEEE10hipError_tT0_T1_T2_jT3_P12ihipStream_tbPNSt15iterator_traitsISE_E10value_typeEPNSK_ISF_E10value_typeEPSG_NS1_7vsmem_tEENKUlT_SE_SF_SG_E_clIS8_S8_S9_S9_EESD_ST_SE_SF_SG_EUlST_E0_NS1_11comp_targetILNS1_3genE4ELNS1_11target_archE910ELNS1_3gpuE8ELNS1_3repE0EEENS1_38merge_mergepath_config_static_selectorELNS0_4arch9wavefront6targetE0EEEvSF_.has_dyn_sized_stack, 0
	.set _ZN7rocprim17ROCPRIM_400000_NS6detail17trampoline_kernelINS0_14default_configENS1_38merge_sort_block_merge_config_selectorIfNS0_10empty_typeEEEZZNS1_27merge_sort_block_merge_implIS3_PfPS5_jNS1_19radix_merge_compareILb1ELb0EfNS0_19identity_decomposerEEEEE10hipError_tT0_T1_T2_jT3_P12ihipStream_tbPNSt15iterator_traitsISE_E10value_typeEPNSK_ISF_E10value_typeEPSG_NS1_7vsmem_tEENKUlT_SE_SF_SG_E_clIS8_S8_S9_S9_EESD_ST_SE_SF_SG_EUlST_E0_NS1_11comp_targetILNS1_3genE4ELNS1_11target_archE910ELNS1_3gpuE8ELNS1_3repE0EEENS1_38merge_mergepath_config_static_selectorELNS0_4arch9wavefront6targetE0EEEvSF_.has_recursion, 0
	.set _ZN7rocprim17ROCPRIM_400000_NS6detail17trampoline_kernelINS0_14default_configENS1_38merge_sort_block_merge_config_selectorIfNS0_10empty_typeEEEZZNS1_27merge_sort_block_merge_implIS3_PfPS5_jNS1_19radix_merge_compareILb1ELb0EfNS0_19identity_decomposerEEEEE10hipError_tT0_T1_T2_jT3_P12ihipStream_tbPNSt15iterator_traitsISE_E10value_typeEPNSK_ISF_E10value_typeEPSG_NS1_7vsmem_tEENKUlT_SE_SF_SG_E_clIS8_S8_S9_S9_EESD_ST_SE_SF_SG_EUlST_E0_NS1_11comp_targetILNS1_3genE4ELNS1_11target_archE910ELNS1_3gpuE8ELNS1_3repE0EEENS1_38merge_mergepath_config_static_selectorELNS0_4arch9wavefront6targetE0EEEvSF_.has_indirect_call, 0
	.section	.AMDGPU.csdata,"",@progbits
; Kernel info:
; codeLenInByte = 0
; TotalNumSgprs: 0
; NumVgprs: 0
; ScratchSize: 0
; MemoryBound: 0
; FloatMode: 240
; IeeeMode: 1
; LDSByteSize: 0 bytes/workgroup (compile time only)
; SGPRBlocks: 0
; VGPRBlocks: 0
; NumSGPRsForWavesPerEU: 1
; NumVGPRsForWavesPerEU: 1
; NamedBarCnt: 0
; Occupancy: 16
; WaveLimiterHint : 0
; COMPUTE_PGM_RSRC2:SCRATCH_EN: 0
; COMPUTE_PGM_RSRC2:USER_SGPR: 2
; COMPUTE_PGM_RSRC2:TRAP_HANDLER: 0
; COMPUTE_PGM_RSRC2:TGID_X_EN: 1
; COMPUTE_PGM_RSRC2:TGID_Y_EN: 0
; COMPUTE_PGM_RSRC2:TGID_Z_EN: 0
; COMPUTE_PGM_RSRC2:TIDIG_COMP_CNT: 0
	.section	.text._ZN7rocprim17ROCPRIM_400000_NS6detail17trampoline_kernelINS0_14default_configENS1_38merge_sort_block_merge_config_selectorIfNS0_10empty_typeEEEZZNS1_27merge_sort_block_merge_implIS3_PfPS5_jNS1_19radix_merge_compareILb1ELb0EfNS0_19identity_decomposerEEEEE10hipError_tT0_T1_T2_jT3_P12ihipStream_tbPNSt15iterator_traitsISE_E10value_typeEPNSK_ISF_E10value_typeEPSG_NS1_7vsmem_tEENKUlT_SE_SF_SG_E_clIS8_S8_S9_S9_EESD_ST_SE_SF_SG_EUlST_E0_NS1_11comp_targetILNS1_3genE3ELNS1_11target_archE908ELNS1_3gpuE7ELNS1_3repE0EEENS1_38merge_mergepath_config_static_selectorELNS0_4arch9wavefront6targetE0EEEvSF_,"axG",@progbits,_ZN7rocprim17ROCPRIM_400000_NS6detail17trampoline_kernelINS0_14default_configENS1_38merge_sort_block_merge_config_selectorIfNS0_10empty_typeEEEZZNS1_27merge_sort_block_merge_implIS3_PfPS5_jNS1_19radix_merge_compareILb1ELb0EfNS0_19identity_decomposerEEEEE10hipError_tT0_T1_T2_jT3_P12ihipStream_tbPNSt15iterator_traitsISE_E10value_typeEPNSK_ISF_E10value_typeEPSG_NS1_7vsmem_tEENKUlT_SE_SF_SG_E_clIS8_S8_S9_S9_EESD_ST_SE_SF_SG_EUlST_E0_NS1_11comp_targetILNS1_3genE3ELNS1_11target_archE908ELNS1_3gpuE7ELNS1_3repE0EEENS1_38merge_mergepath_config_static_selectorELNS0_4arch9wavefront6targetE0EEEvSF_,comdat
	.protected	_ZN7rocprim17ROCPRIM_400000_NS6detail17trampoline_kernelINS0_14default_configENS1_38merge_sort_block_merge_config_selectorIfNS0_10empty_typeEEEZZNS1_27merge_sort_block_merge_implIS3_PfPS5_jNS1_19radix_merge_compareILb1ELb0EfNS0_19identity_decomposerEEEEE10hipError_tT0_T1_T2_jT3_P12ihipStream_tbPNSt15iterator_traitsISE_E10value_typeEPNSK_ISF_E10value_typeEPSG_NS1_7vsmem_tEENKUlT_SE_SF_SG_E_clIS8_S8_S9_S9_EESD_ST_SE_SF_SG_EUlST_E0_NS1_11comp_targetILNS1_3genE3ELNS1_11target_archE908ELNS1_3gpuE7ELNS1_3repE0EEENS1_38merge_mergepath_config_static_selectorELNS0_4arch9wavefront6targetE0EEEvSF_ ; -- Begin function _ZN7rocprim17ROCPRIM_400000_NS6detail17trampoline_kernelINS0_14default_configENS1_38merge_sort_block_merge_config_selectorIfNS0_10empty_typeEEEZZNS1_27merge_sort_block_merge_implIS3_PfPS5_jNS1_19radix_merge_compareILb1ELb0EfNS0_19identity_decomposerEEEEE10hipError_tT0_T1_T2_jT3_P12ihipStream_tbPNSt15iterator_traitsISE_E10value_typeEPNSK_ISF_E10value_typeEPSG_NS1_7vsmem_tEENKUlT_SE_SF_SG_E_clIS8_S8_S9_S9_EESD_ST_SE_SF_SG_EUlST_E0_NS1_11comp_targetILNS1_3genE3ELNS1_11target_archE908ELNS1_3gpuE7ELNS1_3repE0EEENS1_38merge_mergepath_config_static_selectorELNS0_4arch9wavefront6targetE0EEEvSF_
	.globl	_ZN7rocprim17ROCPRIM_400000_NS6detail17trampoline_kernelINS0_14default_configENS1_38merge_sort_block_merge_config_selectorIfNS0_10empty_typeEEEZZNS1_27merge_sort_block_merge_implIS3_PfPS5_jNS1_19radix_merge_compareILb1ELb0EfNS0_19identity_decomposerEEEEE10hipError_tT0_T1_T2_jT3_P12ihipStream_tbPNSt15iterator_traitsISE_E10value_typeEPNSK_ISF_E10value_typeEPSG_NS1_7vsmem_tEENKUlT_SE_SF_SG_E_clIS8_S8_S9_S9_EESD_ST_SE_SF_SG_EUlST_E0_NS1_11comp_targetILNS1_3genE3ELNS1_11target_archE908ELNS1_3gpuE7ELNS1_3repE0EEENS1_38merge_mergepath_config_static_selectorELNS0_4arch9wavefront6targetE0EEEvSF_
	.p2align	8
	.type	_ZN7rocprim17ROCPRIM_400000_NS6detail17trampoline_kernelINS0_14default_configENS1_38merge_sort_block_merge_config_selectorIfNS0_10empty_typeEEEZZNS1_27merge_sort_block_merge_implIS3_PfPS5_jNS1_19radix_merge_compareILb1ELb0EfNS0_19identity_decomposerEEEEE10hipError_tT0_T1_T2_jT3_P12ihipStream_tbPNSt15iterator_traitsISE_E10value_typeEPNSK_ISF_E10value_typeEPSG_NS1_7vsmem_tEENKUlT_SE_SF_SG_E_clIS8_S8_S9_S9_EESD_ST_SE_SF_SG_EUlST_E0_NS1_11comp_targetILNS1_3genE3ELNS1_11target_archE908ELNS1_3gpuE7ELNS1_3repE0EEENS1_38merge_mergepath_config_static_selectorELNS0_4arch9wavefront6targetE0EEEvSF_,@function
_ZN7rocprim17ROCPRIM_400000_NS6detail17trampoline_kernelINS0_14default_configENS1_38merge_sort_block_merge_config_selectorIfNS0_10empty_typeEEEZZNS1_27merge_sort_block_merge_implIS3_PfPS5_jNS1_19radix_merge_compareILb1ELb0EfNS0_19identity_decomposerEEEEE10hipError_tT0_T1_T2_jT3_P12ihipStream_tbPNSt15iterator_traitsISE_E10value_typeEPNSK_ISF_E10value_typeEPSG_NS1_7vsmem_tEENKUlT_SE_SF_SG_E_clIS8_S8_S9_S9_EESD_ST_SE_SF_SG_EUlST_E0_NS1_11comp_targetILNS1_3genE3ELNS1_11target_archE908ELNS1_3gpuE7ELNS1_3repE0EEENS1_38merge_mergepath_config_static_selectorELNS0_4arch9wavefront6targetE0EEEvSF_: ; @_ZN7rocprim17ROCPRIM_400000_NS6detail17trampoline_kernelINS0_14default_configENS1_38merge_sort_block_merge_config_selectorIfNS0_10empty_typeEEEZZNS1_27merge_sort_block_merge_implIS3_PfPS5_jNS1_19radix_merge_compareILb1ELb0EfNS0_19identity_decomposerEEEEE10hipError_tT0_T1_T2_jT3_P12ihipStream_tbPNSt15iterator_traitsISE_E10value_typeEPNSK_ISF_E10value_typeEPSG_NS1_7vsmem_tEENKUlT_SE_SF_SG_E_clIS8_S8_S9_S9_EESD_ST_SE_SF_SG_EUlST_E0_NS1_11comp_targetILNS1_3genE3ELNS1_11target_archE908ELNS1_3gpuE7ELNS1_3repE0EEENS1_38merge_mergepath_config_static_selectorELNS0_4arch9wavefront6targetE0EEEvSF_
; %bb.0:
	.section	.rodata,"a",@progbits
	.p2align	6, 0x0
	.amdhsa_kernel _ZN7rocprim17ROCPRIM_400000_NS6detail17trampoline_kernelINS0_14default_configENS1_38merge_sort_block_merge_config_selectorIfNS0_10empty_typeEEEZZNS1_27merge_sort_block_merge_implIS3_PfPS5_jNS1_19radix_merge_compareILb1ELb0EfNS0_19identity_decomposerEEEEE10hipError_tT0_T1_T2_jT3_P12ihipStream_tbPNSt15iterator_traitsISE_E10value_typeEPNSK_ISF_E10value_typeEPSG_NS1_7vsmem_tEENKUlT_SE_SF_SG_E_clIS8_S8_S9_S9_EESD_ST_SE_SF_SG_EUlST_E0_NS1_11comp_targetILNS1_3genE3ELNS1_11target_archE908ELNS1_3gpuE7ELNS1_3repE0EEENS1_38merge_mergepath_config_static_selectorELNS0_4arch9wavefront6targetE0EEEvSF_
		.amdhsa_group_segment_fixed_size 0
		.amdhsa_private_segment_fixed_size 0
		.amdhsa_kernarg_size 64
		.amdhsa_user_sgpr_count 2
		.amdhsa_user_sgpr_dispatch_ptr 0
		.amdhsa_user_sgpr_queue_ptr 0
		.amdhsa_user_sgpr_kernarg_segment_ptr 1
		.amdhsa_user_sgpr_dispatch_id 0
		.amdhsa_user_sgpr_kernarg_preload_length 0
		.amdhsa_user_sgpr_kernarg_preload_offset 0
		.amdhsa_user_sgpr_private_segment_size 0
		.amdhsa_wavefront_size32 1
		.amdhsa_uses_dynamic_stack 0
		.amdhsa_enable_private_segment 0
		.amdhsa_system_sgpr_workgroup_id_x 1
		.amdhsa_system_sgpr_workgroup_id_y 0
		.amdhsa_system_sgpr_workgroup_id_z 0
		.amdhsa_system_sgpr_workgroup_info 0
		.amdhsa_system_vgpr_workitem_id 0
		.amdhsa_next_free_vgpr 1
		.amdhsa_next_free_sgpr 1
		.amdhsa_named_barrier_count 0
		.amdhsa_reserve_vcc 0
		.amdhsa_float_round_mode_32 0
		.amdhsa_float_round_mode_16_64 0
		.amdhsa_float_denorm_mode_32 3
		.amdhsa_float_denorm_mode_16_64 3
		.amdhsa_fp16_overflow 0
		.amdhsa_memory_ordered 1
		.amdhsa_forward_progress 1
		.amdhsa_inst_pref_size 0
		.amdhsa_round_robin_scheduling 0
		.amdhsa_exception_fp_ieee_invalid_op 0
		.amdhsa_exception_fp_denorm_src 0
		.amdhsa_exception_fp_ieee_div_zero 0
		.amdhsa_exception_fp_ieee_overflow 0
		.amdhsa_exception_fp_ieee_underflow 0
		.amdhsa_exception_fp_ieee_inexact 0
		.amdhsa_exception_int_div_zero 0
	.end_amdhsa_kernel
	.section	.text._ZN7rocprim17ROCPRIM_400000_NS6detail17trampoline_kernelINS0_14default_configENS1_38merge_sort_block_merge_config_selectorIfNS0_10empty_typeEEEZZNS1_27merge_sort_block_merge_implIS3_PfPS5_jNS1_19radix_merge_compareILb1ELb0EfNS0_19identity_decomposerEEEEE10hipError_tT0_T1_T2_jT3_P12ihipStream_tbPNSt15iterator_traitsISE_E10value_typeEPNSK_ISF_E10value_typeEPSG_NS1_7vsmem_tEENKUlT_SE_SF_SG_E_clIS8_S8_S9_S9_EESD_ST_SE_SF_SG_EUlST_E0_NS1_11comp_targetILNS1_3genE3ELNS1_11target_archE908ELNS1_3gpuE7ELNS1_3repE0EEENS1_38merge_mergepath_config_static_selectorELNS0_4arch9wavefront6targetE0EEEvSF_,"axG",@progbits,_ZN7rocprim17ROCPRIM_400000_NS6detail17trampoline_kernelINS0_14default_configENS1_38merge_sort_block_merge_config_selectorIfNS0_10empty_typeEEEZZNS1_27merge_sort_block_merge_implIS3_PfPS5_jNS1_19radix_merge_compareILb1ELb0EfNS0_19identity_decomposerEEEEE10hipError_tT0_T1_T2_jT3_P12ihipStream_tbPNSt15iterator_traitsISE_E10value_typeEPNSK_ISF_E10value_typeEPSG_NS1_7vsmem_tEENKUlT_SE_SF_SG_E_clIS8_S8_S9_S9_EESD_ST_SE_SF_SG_EUlST_E0_NS1_11comp_targetILNS1_3genE3ELNS1_11target_archE908ELNS1_3gpuE7ELNS1_3repE0EEENS1_38merge_mergepath_config_static_selectorELNS0_4arch9wavefront6targetE0EEEvSF_,comdat
.Lfunc_end1273:
	.size	_ZN7rocprim17ROCPRIM_400000_NS6detail17trampoline_kernelINS0_14default_configENS1_38merge_sort_block_merge_config_selectorIfNS0_10empty_typeEEEZZNS1_27merge_sort_block_merge_implIS3_PfPS5_jNS1_19radix_merge_compareILb1ELb0EfNS0_19identity_decomposerEEEEE10hipError_tT0_T1_T2_jT3_P12ihipStream_tbPNSt15iterator_traitsISE_E10value_typeEPNSK_ISF_E10value_typeEPSG_NS1_7vsmem_tEENKUlT_SE_SF_SG_E_clIS8_S8_S9_S9_EESD_ST_SE_SF_SG_EUlST_E0_NS1_11comp_targetILNS1_3genE3ELNS1_11target_archE908ELNS1_3gpuE7ELNS1_3repE0EEENS1_38merge_mergepath_config_static_selectorELNS0_4arch9wavefront6targetE0EEEvSF_, .Lfunc_end1273-_ZN7rocprim17ROCPRIM_400000_NS6detail17trampoline_kernelINS0_14default_configENS1_38merge_sort_block_merge_config_selectorIfNS0_10empty_typeEEEZZNS1_27merge_sort_block_merge_implIS3_PfPS5_jNS1_19radix_merge_compareILb1ELb0EfNS0_19identity_decomposerEEEEE10hipError_tT0_T1_T2_jT3_P12ihipStream_tbPNSt15iterator_traitsISE_E10value_typeEPNSK_ISF_E10value_typeEPSG_NS1_7vsmem_tEENKUlT_SE_SF_SG_E_clIS8_S8_S9_S9_EESD_ST_SE_SF_SG_EUlST_E0_NS1_11comp_targetILNS1_3genE3ELNS1_11target_archE908ELNS1_3gpuE7ELNS1_3repE0EEENS1_38merge_mergepath_config_static_selectorELNS0_4arch9wavefront6targetE0EEEvSF_
                                        ; -- End function
	.set _ZN7rocprim17ROCPRIM_400000_NS6detail17trampoline_kernelINS0_14default_configENS1_38merge_sort_block_merge_config_selectorIfNS0_10empty_typeEEEZZNS1_27merge_sort_block_merge_implIS3_PfPS5_jNS1_19radix_merge_compareILb1ELb0EfNS0_19identity_decomposerEEEEE10hipError_tT0_T1_T2_jT3_P12ihipStream_tbPNSt15iterator_traitsISE_E10value_typeEPNSK_ISF_E10value_typeEPSG_NS1_7vsmem_tEENKUlT_SE_SF_SG_E_clIS8_S8_S9_S9_EESD_ST_SE_SF_SG_EUlST_E0_NS1_11comp_targetILNS1_3genE3ELNS1_11target_archE908ELNS1_3gpuE7ELNS1_3repE0EEENS1_38merge_mergepath_config_static_selectorELNS0_4arch9wavefront6targetE0EEEvSF_.num_vgpr, 0
	.set _ZN7rocprim17ROCPRIM_400000_NS6detail17trampoline_kernelINS0_14default_configENS1_38merge_sort_block_merge_config_selectorIfNS0_10empty_typeEEEZZNS1_27merge_sort_block_merge_implIS3_PfPS5_jNS1_19radix_merge_compareILb1ELb0EfNS0_19identity_decomposerEEEEE10hipError_tT0_T1_T2_jT3_P12ihipStream_tbPNSt15iterator_traitsISE_E10value_typeEPNSK_ISF_E10value_typeEPSG_NS1_7vsmem_tEENKUlT_SE_SF_SG_E_clIS8_S8_S9_S9_EESD_ST_SE_SF_SG_EUlST_E0_NS1_11comp_targetILNS1_3genE3ELNS1_11target_archE908ELNS1_3gpuE7ELNS1_3repE0EEENS1_38merge_mergepath_config_static_selectorELNS0_4arch9wavefront6targetE0EEEvSF_.num_agpr, 0
	.set _ZN7rocprim17ROCPRIM_400000_NS6detail17trampoline_kernelINS0_14default_configENS1_38merge_sort_block_merge_config_selectorIfNS0_10empty_typeEEEZZNS1_27merge_sort_block_merge_implIS3_PfPS5_jNS1_19radix_merge_compareILb1ELb0EfNS0_19identity_decomposerEEEEE10hipError_tT0_T1_T2_jT3_P12ihipStream_tbPNSt15iterator_traitsISE_E10value_typeEPNSK_ISF_E10value_typeEPSG_NS1_7vsmem_tEENKUlT_SE_SF_SG_E_clIS8_S8_S9_S9_EESD_ST_SE_SF_SG_EUlST_E0_NS1_11comp_targetILNS1_3genE3ELNS1_11target_archE908ELNS1_3gpuE7ELNS1_3repE0EEENS1_38merge_mergepath_config_static_selectorELNS0_4arch9wavefront6targetE0EEEvSF_.numbered_sgpr, 0
	.set _ZN7rocprim17ROCPRIM_400000_NS6detail17trampoline_kernelINS0_14default_configENS1_38merge_sort_block_merge_config_selectorIfNS0_10empty_typeEEEZZNS1_27merge_sort_block_merge_implIS3_PfPS5_jNS1_19radix_merge_compareILb1ELb0EfNS0_19identity_decomposerEEEEE10hipError_tT0_T1_T2_jT3_P12ihipStream_tbPNSt15iterator_traitsISE_E10value_typeEPNSK_ISF_E10value_typeEPSG_NS1_7vsmem_tEENKUlT_SE_SF_SG_E_clIS8_S8_S9_S9_EESD_ST_SE_SF_SG_EUlST_E0_NS1_11comp_targetILNS1_3genE3ELNS1_11target_archE908ELNS1_3gpuE7ELNS1_3repE0EEENS1_38merge_mergepath_config_static_selectorELNS0_4arch9wavefront6targetE0EEEvSF_.num_named_barrier, 0
	.set _ZN7rocprim17ROCPRIM_400000_NS6detail17trampoline_kernelINS0_14default_configENS1_38merge_sort_block_merge_config_selectorIfNS0_10empty_typeEEEZZNS1_27merge_sort_block_merge_implIS3_PfPS5_jNS1_19radix_merge_compareILb1ELb0EfNS0_19identity_decomposerEEEEE10hipError_tT0_T1_T2_jT3_P12ihipStream_tbPNSt15iterator_traitsISE_E10value_typeEPNSK_ISF_E10value_typeEPSG_NS1_7vsmem_tEENKUlT_SE_SF_SG_E_clIS8_S8_S9_S9_EESD_ST_SE_SF_SG_EUlST_E0_NS1_11comp_targetILNS1_3genE3ELNS1_11target_archE908ELNS1_3gpuE7ELNS1_3repE0EEENS1_38merge_mergepath_config_static_selectorELNS0_4arch9wavefront6targetE0EEEvSF_.private_seg_size, 0
	.set _ZN7rocprim17ROCPRIM_400000_NS6detail17trampoline_kernelINS0_14default_configENS1_38merge_sort_block_merge_config_selectorIfNS0_10empty_typeEEEZZNS1_27merge_sort_block_merge_implIS3_PfPS5_jNS1_19radix_merge_compareILb1ELb0EfNS0_19identity_decomposerEEEEE10hipError_tT0_T1_T2_jT3_P12ihipStream_tbPNSt15iterator_traitsISE_E10value_typeEPNSK_ISF_E10value_typeEPSG_NS1_7vsmem_tEENKUlT_SE_SF_SG_E_clIS8_S8_S9_S9_EESD_ST_SE_SF_SG_EUlST_E0_NS1_11comp_targetILNS1_3genE3ELNS1_11target_archE908ELNS1_3gpuE7ELNS1_3repE0EEENS1_38merge_mergepath_config_static_selectorELNS0_4arch9wavefront6targetE0EEEvSF_.uses_vcc, 0
	.set _ZN7rocprim17ROCPRIM_400000_NS6detail17trampoline_kernelINS0_14default_configENS1_38merge_sort_block_merge_config_selectorIfNS0_10empty_typeEEEZZNS1_27merge_sort_block_merge_implIS3_PfPS5_jNS1_19radix_merge_compareILb1ELb0EfNS0_19identity_decomposerEEEEE10hipError_tT0_T1_T2_jT3_P12ihipStream_tbPNSt15iterator_traitsISE_E10value_typeEPNSK_ISF_E10value_typeEPSG_NS1_7vsmem_tEENKUlT_SE_SF_SG_E_clIS8_S8_S9_S9_EESD_ST_SE_SF_SG_EUlST_E0_NS1_11comp_targetILNS1_3genE3ELNS1_11target_archE908ELNS1_3gpuE7ELNS1_3repE0EEENS1_38merge_mergepath_config_static_selectorELNS0_4arch9wavefront6targetE0EEEvSF_.uses_flat_scratch, 0
	.set _ZN7rocprim17ROCPRIM_400000_NS6detail17trampoline_kernelINS0_14default_configENS1_38merge_sort_block_merge_config_selectorIfNS0_10empty_typeEEEZZNS1_27merge_sort_block_merge_implIS3_PfPS5_jNS1_19radix_merge_compareILb1ELb0EfNS0_19identity_decomposerEEEEE10hipError_tT0_T1_T2_jT3_P12ihipStream_tbPNSt15iterator_traitsISE_E10value_typeEPNSK_ISF_E10value_typeEPSG_NS1_7vsmem_tEENKUlT_SE_SF_SG_E_clIS8_S8_S9_S9_EESD_ST_SE_SF_SG_EUlST_E0_NS1_11comp_targetILNS1_3genE3ELNS1_11target_archE908ELNS1_3gpuE7ELNS1_3repE0EEENS1_38merge_mergepath_config_static_selectorELNS0_4arch9wavefront6targetE0EEEvSF_.has_dyn_sized_stack, 0
	.set _ZN7rocprim17ROCPRIM_400000_NS6detail17trampoline_kernelINS0_14default_configENS1_38merge_sort_block_merge_config_selectorIfNS0_10empty_typeEEEZZNS1_27merge_sort_block_merge_implIS3_PfPS5_jNS1_19radix_merge_compareILb1ELb0EfNS0_19identity_decomposerEEEEE10hipError_tT0_T1_T2_jT3_P12ihipStream_tbPNSt15iterator_traitsISE_E10value_typeEPNSK_ISF_E10value_typeEPSG_NS1_7vsmem_tEENKUlT_SE_SF_SG_E_clIS8_S8_S9_S9_EESD_ST_SE_SF_SG_EUlST_E0_NS1_11comp_targetILNS1_3genE3ELNS1_11target_archE908ELNS1_3gpuE7ELNS1_3repE0EEENS1_38merge_mergepath_config_static_selectorELNS0_4arch9wavefront6targetE0EEEvSF_.has_recursion, 0
	.set _ZN7rocprim17ROCPRIM_400000_NS6detail17trampoline_kernelINS0_14default_configENS1_38merge_sort_block_merge_config_selectorIfNS0_10empty_typeEEEZZNS1_27merge_sort_block_merge_implIS3_PfPS5_jNS1_19radix_merge_compareILb1ELb0EfNS0_19identity_decomposerEEEEE10hipError_tT0_T1_T2_jT3_P12ihipStream_tbPNSt15iterator_traitsISE_E10value_typeEPNSK_ISF_E10value_typeEPSG_NS1_7vsmem_tEENKUlT_SE_SF_SG_E_clIS8_S8_S9_S9_EESD_ST_SE_SF_SG_EUlST_E0_NS1_11comp_targetILNS1_3genE3ELNS1_11target_archE908ELNS1_3gpuE7ELNS1_3repE0EEENS1_38merge_mergepath_config_static_selectorELNS0_4arch9wavefront6targetE0EEEvSF_.has_indirect_call, 0
	.section	.AMDGPU.csdata,"",@progbits
; Kernel info:
; codeLenInByte = 0
; TotalNumSgprs: 0
; NumVgprs: 0
; ScratchSize: 0
; MemoryBound: 0
; FloatMode: 240
; IeeeMode: 1
; LDSByteSize: 0 bytes/workgroup (compile time only)
; SGPRBlocks: 0
; VGPRBlocks: 0
; NumSGPRsForWavesPerEU: 1
; NumVGPRsForWavesPerEU: 1
; NamedBarCnt: 0
; Occupancy: 16
; WaveLimiterHint : 0
; COMPUTE_PGM_RSRC2:SCRATCH_EN: 0
; COMPUTE_PGM_RSRC2:USER_SGPR: 2
; COMPUTE_PGM_RSRC2:TRAP_HANDLER: 0
; COMPUTE_PGM_RSRC2:TGID_X_EN: 1
; COMPUTE_PGM_RSRC2:TGID_Y_EN: 0
; COMPUTE_PGM_RSRC2:TGID_Z_EN: 0
; COMPUTE_PGM_RSRC2:TIDIG_COMP_CNT: 0
	.section	.text._ZN7rocprim17ROCPRIM_400000_NS6detail17trampoline_kernelINS0_14default_configENS1_38merge_sort_block_merge_config_selectorIfNS0_10empty_typeEEEZZNS1_27merge_sort_block_merge_implIS3_PfPS5_jNS1_19radix_merge_compareILb1ELb0EfNS0_19identity_decomposerEEEEE10hipError_tT0_T1_T2_jT3_P12ihipStream_tbPNSt15iterator_traitsISE_E10value_typeEPNSK_ISF_E10value_typeEPSG_NS1_7vsmem_tEENKUlT_SE_SF_SG_E_clIS8_S8_S9_S9_EESD_ST_SE_SF_SG_EUlST_E0_NS1_11comp_targetILNS1_3genE2ELNS1_11target_archE906ELNS1_3gpuE6ELNS1_3repE0EEENS1_38merge_mergepath_config_static_selectorELNS0_4arch9wavefront6targetE0EEEvSF_,"axG",@progbits,_ZN7rocprim17ROCPRIM_400000_NS6detail17trampoline_kernelINS0_14default_configENS1_38merge_sort_block_merge_config_selectorIfNS0_10empty_typeEEEZZNS1_27merge_sort_block_merge_implIS3_PfPS5_jNS1_19radix_merge_compareILb1ELb0EfNS0_19identity_decomposerEEEEE10hipError_tT0_T1_T2_jT3_P12ihipStream_tbPNSt15iterator_traitsISE_E10value_typeEPNSK_ISF_E10value_typeEPSG_NS1_7vsmem_tEENKUlT_SE_SF_SG_E_clIS8_S8_S9_S9_EESD_ST_SE_SF_SG_EUlST_E0_NS1_11comp_targetILNS1_3genE2ELNS1_11target_archE906ELNS1_3gpuE6ELNS1_3repE0EEENS1_38merge_mergepath_config_static_selectorELNS0_4arch9wavefront6targetE0EEEvSF_,comdat
	.protected	_ZN7rocprim17ROCPRIM_400000_NS6detail17trampoline_kernelINS0_14default_configENS1_38merge_sort_block_merge_config_selectorIfNS0_10empty_typeEEEZZNS1_27merge_sort_block_merge_implIS3_PfPS5_jNS1_19radix_merge_compareILb1ELb0EfNS0_19identity_decomposerEEEEE10hipError_tT0_T1_T2_jT3_P12ihipStream_tbPNSt15iterator_traitsISE_E10value_typeEPNSK_ISF_E10value_typeEPSG_NS1_7vsmem_tEENKUlT_SE_SF_SG_E_clIS8_S8_S9_S9_EESD_ST_SE_SF_SG_EUlST_E0_NS1_11comp_targetILNS1_3genE2ELNS1_11target_archE906ELNS1_3gpuE6ELNS1_3repE0EEENS1_38merge_mergepath_config_static_selectorELNS0_4arch9wavefront6targetE0EEEvSF_ ; -- Begin function _ZN7rocprim17ROCPRIM_400000_NS6detail17trampoline_kernelINS0_14default_configENS1_38merge_sort_block_merge_config_selectorIfNS0_10empty_typeEEEZZNS1_27merge_sort_block_merge_implIS3_PfPS5_jNS1_19radix_merge_compareILb1ELb0EfNS0_19identity_decomposerEEEEE10hipError_tT0_T1_T2_jT3_P12ihipStream_tbPNSt15iterator_traitsISE_E10value_typeEPNSK_ISF_E10value_typeEPSG_NS1_7vsmem_tEENKUlT_SE_SF_SG_E_clIS8_S8_S9_S9_EESD_ST_SE_SF_SG_EUlST_E0_NS1_11comp_targetILNS1_3genE2ELNS1_11target_archE906ELNS1_3gpuE6ELNS1_3repE0EEENS1_38merge_mergepath_config_static_selectorELNS0_4arch9wavefront6targetE0EEEvSF_
	.globl	_ZN7rocprim17ROCPRIM_400000_NS6detail17trampoline_kernelINS0_14default_configENS1_38merge_sort_block_merge_config_selectorIfNS0_10empty_typeEEEZZNS1_27merge_sort_block_merge_implIS3_PfPS5_jNS1_19radix_merge_compareILb1ELb0EfNS0_19identity_decomposerEEEEE10hipError_tT0_T1_T2_jT3_P12ihipStream_tbPNSt15iterator_traitsISE_E10value_typeEPNSK_ISF_E10value_typeEPSG_NS1_7vsmem_tEENKUlT_SE_SF_SG_E_clIS8_S8_S9_S9_EESD_ST_SE_SF_SG_EUlST_E0_NS1_11comp_targetILNS1_3genE2ELNS1_11target_archE906ELNS1_3gpuE6ELNS1_3repE0EEENS1_38merge_mergepath_config_static_selectorELNS0_4arch9wavefront6targetE0EEEvSF_
	.p2align	8
	.type	_ZN7rocprim17ROCPRIM_400000_NS6detail17trampoline_kernelINS0_14default_configENS1_38merge_sort_block_merge_config_selectorIfNS0_10empty_typeEEEZZNS1_27merge_sort_block_merge_implIS3_PfPS5_jNS1_19radix_merge_compareILb1ELb0EfNS0_19identity_decomposerEEEEE10hipError_tT0_T1_T2_jT3_P12ihipStream_tbPNSt15iterator_traitsISE_E10value_typeEPNSK_ISF_E10value_typeEPSG_NS1_7vsmem_tEENKUlT_SE_SF_SG_E_clIS8_S8_S9_S9_EESD_ST_SE_SF_SG_EUlST_E0_NS1_11comp_targetILNS1_3genE2ELNS1_11target_archE906ELNS1_3gpuE6ELNS1_3repE0EEENS1_38merge_mergepath_config_static_selectorELNS0_4arch9wavefront6targetE0EEEvSF_,@function
_ZN7rocprim17ROCPRIM_400000_NS6detail17trampoline_kernelINS0_14default_configENS1_38merge_sort_block_merge_config_selectorIfNS0_10empty_typeEEEZZNS1_27merge_sort_block_merge_implIS3_PfPS5_jNS1_19radix_merge_compareILb1ELb0EfNS0_19identity_decomposerEEEEE10hipError_tT0_T1_T2_jT3_P12ihipStream_tbPNSt15iterator_traitsISE_E10value_typeEPNSK_ISF_E10value_typeEPSG_NS1_7vsmem_tEENKUlT_SE_SF_SG_E_clIS8_S8_S9_S9_EESD_ST_SE_SF_SG_EUlST_E0_NS1_11comp_targetILNS1_3genE2ELNS1_11target_archE906ELNS1_3gpuE6ELNS1_3repE0EEENS1_38merge_mergepath_config_static_selectorELNS0_4arch9wavefront6targetE0EEEvSF_: ; @_ZN7rocprim17ROCPRIM_400000_NS6detail17trampoline_kernelINS0_14default_configENS1_38merge_sort_block_merge_config_selectorIfNS0_10empty_typeEEEZZNS1_27merge_sort_block_merge_implIS3_PfPS5_jNS1_19radix_merge_compareILb1ELb0EfNS0_19identity_decomposerEEEEE10hipError_tT0_T1_T2_jT3_P12ihipStream_tbPNSt15iterator_traitsISE_E10value_typeEPNSK_ISF_E10value_typeEPSG_NS1_7vsmem_tEENKUlT_SE_SF_SG_E_clIS8_S8_S9_S9_EESD_ST_SE_SF_SG_EUlST_E0_NS1_11comp_targetILNS1_3genE2ELNS1_11target_archE906ELNS1_3gpuE6ELNS1_3repE0EEENS1_38merge_mergepath_config_static_selectorELNS0_4arch9wavefront6targetE0EEEvSF_
; %bb.0:
	.section	.rodata,"a",@progbits
	.p2align	6, 0x0
	.amdhsa_kernel _ZN7rocprim17ROCPRIM_400000_NS6detail17trampoline_kernelINS0_14default_configENS1_38merge_sort_block_merge_config_selectorIfNS0_10empty_typeEEEZZNS1_27merge_sort_block_merge_implIS3_PfPS5_jNS1_19radix_merge_compareILb1ELb0EfNS0_19identity_decomposerEEEEE10hipError_tT0_T1_T2_jT3_P12ihipStream_tbPNSt15iterator_traitsISE_E10value_typeEPNSK_ISF_E10value_typeEPSG_NS1_7vsmem_tEENKUlT_SE_SF_SG_E_clIS8_S8_S9_S9_EESD_ST_SE_SF_SG_EUlST_E0_NS1_11comp_targetILNS1_3genE2ELNS1_11target_archE906ELNS1_3gpuE6ELNS1_3repE0EEENS1_38merge_mergepath_config_static_selectorELNS0_4arch9wavefront6targetE0EEEvSF_
		.amdhsa_group_segment_fixed_size 0
		.amdhsa_private_segment_fixed_size 0
		.amdhsa_kernarg_size 64
		.amdhsa_user_sgpr_count 2
		.amdhsa_user_sgpr_dispatch_ptr 0
		.amdhsa_user_sgpr_queue_ptr 0
		.amdhsa_user_sgpr_kernarg_segment_ptr 1
		.amdhsa_user_sgpr_dispatch_id 0
		.amdhsa_user_sgpr_kernarg_preload_length 0
		.amdhsa_user_sgpr_kernarg_preload_offset 0
		.amdhsa_user_sgpr_private_segment_size 0
		.amdhsa_wavefront_size32 1
		.amdhsa_uses_dynamic_stack 0
		.amdhsa_enable_private_segment 0
		.amdhsa_system_sgpr_workgroup_id_x 1
		.amdhsa_system_sgpr_workgroup_id_y 0
		.amdhsa_system_sgpr_workgroup_id_z 0
		.amdhsa_system_sgpr_workgroup_info 0
		.amdhsa_system_vgpr_workitem_id 0
		.amdhsa_next_free_vgpr 1
		.amdhsa_next_free_sgpr 1
		.amdhsa_named_barrier_count 0
		.amdhsa_reserve_vcc 0
		.amdhsa_float_round_mode_32 0
		.amdhsa_float_round_mode_16_64 0
		.amdhsa_float_denorm_mode_32 3
		.amdhsa_float_denorm_mode_16_64 3
		.amdhsa_fp16_overflow 0
		.amdhsa_memory_ordered 1
		.amdhsa_forward_progress 1
		.amdhsa_inst_pref_size 0
		.amdhsa_round_robin_scheduling 0
		.amdhsa_exception_fp_ieee_invalid_op 0
		.amdhsa_exception_fp_denorm_src 0
		.amdhsa_exception_fp_ieee_div_zero 0
		.amdhsa_exception_fp_ieee_overflow 0
		.amdhsa_exception_fp_ieee_underflow 0
		.amdhsa_exception_fp_ieee_inexact 0
		.amdhsa_exception_int_div_zero 0
	.end_amdhsa_kernel
	.section	.text._ZN7rocprim17ROCPRIM_400000_NS6detail17trampoline_kernelINS0_14default_configENS1_38merge_sort_block_merge_config_selectorIfNS0_10empty_typeEEEZZNS1_27merge_sort_block_merge_implIS3_PfPS5_jNS1_19radix_merge_compareILb1ELb0EfNS0_19identity_decomposerEEEEE10hipError_tT0_T1_T2_jT3_P12ihipStream_tbPNSt15iterator_traitsISE_E10value_typeEPNSK_ISF_E10value_typeEPSG_NS1_7vsmem_tEENKUlT_SE_SF_SG_E_clIS8_S8_S9_S9_EESD_ST_SE_SF_SG_EUlST_E0_NS1_11comp_targetILNS1_3genE2ELNS1_11target_archE906ELNS1_3gpuE6ELNS1_3repE0EEENS1_38merge_mergepath_config_static_selectorELNS0_4arch9wavefront6targetE0EEEvSF_,"axG",@progbits,_ZN7rocprim17ROCPRIM_400000_NS6detail17trampoline_kernelINS0_14default_configENS1_38merge_sort_block_merge_config_selectorIfNS0_10empty_typeEEEZZNS1_27merge_sort_block_merge_implIS3_PfPS5_jNS1_19radix_merge_compareILb1ELb0EfNS0_19identity_decomposerEEEEE10hipError_tT0_T1_T2_jT3_P12ihipStream_tbPNSt15iterator_traitsISE_E10value_typeEPNSK_ISF_E10value_typeEPSG_NS1_7vsmem_tEENKUlT_SE_SF_SG_E_clIS8_S8_S9_S9_EESD_ST_SE_SF_SG_EUlST_E0_NS1_11comp_targetILNS1_3genE2ELNS1_11target_archE906ELNS1_3gpuE6ELNS1_3repE0EEENS1_38merge_mergepath_config_static_selectorELNS0_4arch9wavefront6targetE0EEEvSF_,comdat
.Lfunc_end1274:
	.size	_ZN7rocprim17ROCPRIM_400000_NS6detail17trampoline_kernelINS0_14default_configENS1_38merge_sort_block_merge_config_selectorIfNS0_10empty_typeEEEZZNS1_27merge_sort_block_merge_implIS3_PfPS5_jNS1_19radix_merge_compareILb1ELb0EfNS0_19identity_decomposerEEEEE10hipError_tT0_T1_T2_jT3_P12ihipStream_tbPNSt15iterator_traitsISE_E10value_typeEPNSK_ISF_E10value_typeEPSG_NS1_7vsmem_tEENKUlT_SE_SF_SG_E_clIS8_S8_S9_S9_EESD_ST_SE_SF_SG_EUlST_E0_NS1_11comp_targetILNS1_3genE2ELNS1_11target_archE906ELNS1_3gpuE6ELNS1_3repE0EEENS1_38merge_mergepath_config_static_selectorELNS0_4arch9wavefront6targetE0EEEvSF_, .Lfunc_end1274-_ZN7rocprim17ROCPRIM_400000_NS6detail17trampoline_kernelINS0_14default_configENS1_38merge_sort_block_merge_config_selectorIfNS0_10empty_typeEEEZZNS1_27merge_sort_block_merge_implIS3_PfPS5_jNS1_19radix_merge_compareILb1ELb0EfNS0_19identity_decomposerEEEEE10hipError_tT0_T1_T2_jT3_P12ihipStream_tbPNSt15iterator_traitsISE_E10value_typeEPNSK_ISF_E10value_typeEPSG_NS1_7vsmem_tEENKUlT_SE_SF_SG_E_clIS8_S8_S9_S9_EESD_ST_SE_SF_SG_EUlST_E0_NS1_11comp_targetILNS1_3genE2ELNS1_11target_archE906ELNS1_3gpuE6ELNS1_3repE0EEENS1_38merge_mergepath_config_static_selectorELNS0_4arch9wavefront6targetE0EEEvSF_
                                        ; -- End function
	.set _ZN7rocprim17ROCPRIM_400000_NS6detail17trampoline_kernelINS0_14default_configENS1_38merge_sort_block_merge_config_selectorIfNS0_10empty_typeEEEZZNS1_27merge_sort_block_merge_implIS3_PfPS5_jNS1_19radix_merge_compareILb1ELb0EfNS0_19identity_decomposerEEEEE10hipError_tT0_T1_T2_jT3_P12ihipStream_tbPNSt15iterator_traitsISE_E10value_typeEPNSK_ISF_E10value_typeEPSG_NS1_7vsmem_tEENKUlT_SE_SF_SG_E_clIS8_S8_S9_S9_EESD_ST_SE_SF_SG_EUlST_E0_NS1_11comp_targetILNS1_3genE2ELNS1_11target_archE906ELNS1_3gpuE6ELNS1_3repE0EEENS1_38merge_mergepath_config_static_selectorELNS0_4arch9wavefront6targetE0EEEvSF_.num_vgpr, 0
	.set _ZN7rocprim17ROCPRIM_400000_NS6detail17trampoline_kernelINS0_14default_configENS1_38merge_sort_block_merge_config_selectorIfNS0_10empty_typeEEEZZNS1_27merge_sort_block_merge_implIS3_PfPS5_jNS1_19radix_merge_compareILb1ELb0EfNS0_19identity_decomposerEEEEE10hipError_tT0_T1_T2_jT3_P12ihipStream_tbPNSt15iterator_traitsISE_E10value_typeEPNSK_ISF_E10value_typeEPSG_NS1_7vsmem_tEENKUlT_SE_SF_SG_E_clIS8_S8_S9_S9_EESD_ST_SE_SF_SG_EUlST_E0_NS1_11comp_targetILNS1_3genE2ELNS1_11target_archE906ELNS1_3gpuE6ELNS1_3repE0EEENS1_38merge_mergepath_config_static_selectorELNS0_4arch9wavefront6targetE0EEEvSF_.num_agpr, 0
	.set _ZN7rocprim17ROCPRIM_400000_NS6detail17trampoline_kernelINS0_14default_configENS1_38merge_sort_block_merge_config_selectorIfNS0_10empty_typeEEEZZNS1_27merge_sort_block_merge_implIS3_PfPS5_jNS1_19radix_merge_compareILb1ELb0EfNS0_19identity_decomposerEEEEE10hipError_tT0_T1_T2_jT3_P12ihipStream_tbPNSt15iterator_traitsISE_E10value_typeEPNSK_ISF_E10value_typeEPSG_NS1_7vsmem_tEENKUlT_SE_SF_SG_E_clIS8_S8_S9_S9_EESD_ST_SE_SF_SG_EUlST_E0_NS1_11comp_targetILNS1_3genE2ELNS1_11target_archE906ELNS1_3gpuE6ELNS1_3repE0EEENS1_38merge_mergepath_config_static_selectorELNS0_4arch9wavefront6targetE0EEEvSF_.numbered_sgpr, 0
	.set _ZN7rocprim17ROCPRIM_400000_NS6detail17trampoline_kernelINS0_14default_configENS1_38merge_sort_block_merge_config_selectorIfNS0_10empty_typeEEEZZNS1_27merge_sort_block_merge_implIS3_PfPS5_jNS1_19radix_merge_compareILb1ELb0EfNS0_19identity_decomposerEEEEE10hipError_tT0_T1_T2_jT3_P12ihipStream_tbPNSt15iterator_traitsISE_E10value_typeEPNSK_ISF_E10value_typeEPSG_NS1_7vsmem_tEENKUlT_SE_SF_SG_E_clIS8_S8_S9_S9_EESD_ST_SE_SF_SG_EUlST_E0_NS1_11comp_targetILNS1_3genE2ELNS1_11target_archE906ELNS1_3gpuE6ELNS1_3repE0EEENS1_38merge_mergepath_config_static_selectorELNS0_4arch9wavefront6targetE0EEEvSF_.num_named_barrier, 0
	.set _ZN7rocprim17ROCPRIM_400000_NS6detail17trampoline_kernelINS0_14default_configENS1_38merge_sort_block_merge_config_selectorIfNS0_10empty_typeEEEZZNS1_27merge_sort_block_merge_implIS3_PfPS5_jNS1_19radix_merge_compareILb1ELb0EfNS0_19identity_decomposerEEEEE10hipError_tT0_T1_T2_jT3_P12ihipStream_tbPNSt15iterator_traitsISE_E10value_typeEPNSK_ISF_E10value_typeEPSG_NS1_7vsmem_tEENKUlT_SE_SF_SG_E_clIS8_S8_S9_S9_EESD_ST_SE_SF_SG_EUlST_E0_NS1_11comp_targetILNS1_3genE2ELNS1_11target_archE906ELNS1_3gpuE6ELNS1_3repE0EEENS1_38merge_mergepath_config_static_selectorELNS0_4arch9wavefront6targetE0EEEvSF_.private_seg_size, 0
	.set _ZN7rocprim17ROCPRIM_400000_NS6detail17trampoline_kernelINS0_14default_configENS1_38merge_sort_block_merge_config_selectorIfNS0_10empty_typeEEEZZNS1_27merge_sort_block_merge_implIS3_PfPS5_jNS1_19radix_merge_compareILb1ELb0EfNS0_19identity_decomposerEEEEE10hipError_tT0_T1_T2_jT3_P12ihipStream_tbPNSt15iterator_traitsISE_E10value_typeEPNSK_ISF_E10value_typeEPSG_NS1_7vsmem_tEENKUlT_SE_SF_SG_E_clIS8_S8_S9_S9_EESD_ST_SE_SF_SG_EUlST_E0_NS1_11comp_targetILNS1_3genE2ELNS1_11target_archE906ELNS1_3gpuE6ELNS1_3repE0EEENS1_38merge_mergepath_config_static_selectorELNS0_4arch9wavefront6targetE0EEEvSF_.uses_vcc, 0
	.set _ZN7rocprim17ROCPRIM_400000_NS6detail17trampoline_kernelINS0_14default_configENS1_38merge_sort_block_merge_config_selectorIfNS0_10empty_typeEEEZZNS1_27merge_sort_block_merge_implIS3_PfPS5_jNS1_19radix_merge_compareILb1ELb0EfNS0_19identity_decomposerEEEEE10hipError_tT0_T1_T2_jT3_P12ihipStream_tbPNSt15iterator_traitsISE_E10value_typeEPNSK_ISF_E10value_typeEPSG_NS1_7vsmem_tEENKUlT_SE_SF_SG_E_clIS8_S8_S9_S9_EESD_ST_SE_SF_SG_EUlST_E0_NS1_11comp_targetILNS1_3genE2ELNS1_11target_archE906ELNS1_3gpuE6ELNS1_3repE0EEENS1_38merge_mergepath_config_static_selectorELNS0_4arch9wavefront6targetE0EEEvSF_.uses_flat_scratch, 0
	.set _ZN7rocprim17ROCPRIM_400000_NS6detail17trampoline_kernelINS0_14default_configENS1_38merge_sort_block_merge_config_selectorIfNS0_10empty_typeEEEZZNS1_27merge_sort_block_merge_implIS3_PfPS5_jNS1_19radix_merge_compareILb1ELb0EfNS0_19identity_decomposerEEEEE10hipError_tT0_T1_T2_jT3_P12ihipStream_tbPNSt15iterator_traitsISE_E10value_typeEPNSK_ISF_E10value_typeEPSG_NS1_7vsmem_tEENKUlT_SE_SF_SG_E_clIS8_S8_S9_S9_EESD_ST_SE_SF_SG_EUlST_E0_NS1_11comp_targetILNS1_3genE2ELNS1_11target_archE906ELNS1_3gpuE6ELNS1_3repE0EEENS1_38merge_mergepath_config_static_selectorELNS0_4arch9wavefront6targetE0EEEvSF_.has_dyn_sized_stack, 0
	.set _ZN7rocprim17ROCPRIM_400000_NS6detail17trampoline_kernelINS0_14default_configENS1_38merge_sort_block_merge_config_selectorIfNS0_10empty_typeEEEZZNS1_27merge_sort_block_merge_implIS3_PfPS5_jNS1_19radix_merge_compareILb1ELb0EfNS0_19identity_decomposerEEEEE10hipError_tT0_T1_T2_jT3_P12ihipStream_tbPNSt15iterator_traitsISE_E10value_typeEPNSK_ISF_E10value_typeEPSG_NS1_7vsmem_tEENKUlT_SE_SF_SG_E_clIS8_S8_S9_S9_EESD_ST_SE_SF_SG_EUlST_E0_NS1_11comp_targetILNS1_3genE2ELNS1_11target_archE906ELNS1_3gpuE6ELNS1_3repE0EEENS1_38merge_mergepath_config_static_selectorELNS0_4arch9wavefront6targetE0EEEvSF_.has_recursion, 0
	.set _ZN7rocprim17ROCPRIM_400000_NS6detail17trampoline_kernelINS0_14default_configENS1_38merge_sort_block_merge_config_selectorIfNS0_10empty_typeEEEZZNS1_27merge_sort_block_merge_implIS3_PfPS5_jNS1_19radix_merge_compareILb1ELb0EfNS0_19identity_decomposerEEEEE10hipError_tT0_T1_T2_jT3_P12ihipStream_tbPNSt15iterator_traitsISE_E10value_typeEPNSK_ISF_E10value_typeEPSG_NS1_7vsmem_tEENKUlT_SE_SF_SG_E_clIS8_S8_S9_S9_EESD_ST_SE_SF_SG_EUlST_E0_NS1_11comp_targetILNS1_3genE2ELNS1_11target_archE906ELNS1_3gpuE6ELNS1_3repE0EEENS1_38merge_mergepath_config_static_selectorELNS0_4arch9wavefront6targetE0EEEvSF_.has_indirect_call, 0
	.section	.AMDGPU.csdata,"",@progbits
; Kernel info:
; codeLenInByte = 0
; TotalNumSgprs: 0
; NumVgprs: 0
; ScratchSize: 0
; MemoryBound: 0
; FloatMode: 240
; IeeeMode: 1
; LDSByteSize: 0 bytes/workgroup (compile time only)
; SGPRBlocks: 0
; VGPRBlocks: 0
; NumSGPRsForWavesPerEU: 1
; NumVGPRsForWavesPerEU: 1
; NamedBarCnt: 0
; Occupancy: 16
; WaveLimiterHint : 0
; COMPUTE_PGM_RSRC2:SCRATCH_EN: 0
; COMPUTE_PGM_RSRC2:USER_SGPR: 2
; COMPUTE_PGM_RSRC2:TRAP_HANDLER: 0
; COMPUTE_PGM_RSRC2:TGID_X_EN: 1
; COMPUTE_PGM_RSRC2:TGID_Y_EN: 0
; COMPUTE_PGM_RSRC2:TGID_Z_EN: 0
; COMPUTE_PGM_RSRC2:TIDIG_COMP_CNT: 0
	.section	.text._ZN7rocprim17ROCPRIM_400000_NS6detail17trampoline_kernelINS0_14default_configENS1_38merge_sort_block_merge_config_selectorIfNS0_10empty_typeEEEZZNS1_27merge_sort_block_merge_implIS3_PfPS5_jNS1_19radix_merge_compareILb1ELb0EfNS0_19identity_decomposerEEEEE10hipError_tT0_T1_T2_jT3_P12ihipStream_tbPNSt15iterator_traitsISE_E10value_typeEPNSK_ISF_E10value_typeEPSG_NS1_7vsmem_tEENKUlT_SE_SF_SG_E_clIS8_S8_S9_S9_EESD_ST_SE_SF_SG_EUlST_E0_NS1_11comp_targetILNS1_3genE9ELNS1_11target_archE1100ELNS1_3gpuE3ELNS1_3repE0EEENS1_38merge_mergepath_config_static_selectorELNS0_4arch9wavefront6targetE0EEEvSF_,"axG",@progbits,_ZN7rocprim17ROCPRIM_400000_NS6detail17trampoline_kernelINS0_14default_configENS1_38merge_sort_block_merge_config_selectorIfNS0_10empty_typeEEEZZNS1_27merge_sort_block_merge_implIS3_PfPS5_jNS1_19radix_merge_compareILb1ELb0EfNS0_19identity_decomposerEEEEE10hipError_tT0_T1_T2_jT3_P12ihipStream_tbPNSt15iterator_traitsISE_E10value_typeEPNSK_ISF_E10value_typeEPSG_NS1_7vsmem_tEENKUlT_SE_SF_SG_E_clIS8_S8_S9_S9_EESD_ST_SE_SF_SG_EUlST_E0_NS1_11comp_targetILNS1_3genE9ELNS1_11target_archE1100ELNS1_3gpuE3ELNS1_3repE0EEENS1_38merge_mergepath_config_static_selectorELNS0_4arch9wavefront6targetE0EEEvSF_,comdat
	.protected	_ZN7rocprim17ROCPRIM_400000_NS6detail17trampoline_kernelINS0_14default_configENS1_38merge_sort_block_merge_config_selectorIfNS0_10empty_typeEEEZZNS1_27merge_sort_block_merge_implIS3_PfPS5_jNS1_19radix_merge_compareILb1ELb0EfNS0_19identity_decomposerEEEEE10hipError_tT0_T1_T2_jT3_P12ihipStream_tbPNSt15iterator_traitsISE_E10value_typeEPNSK_ISF_E10value_typeEPSG_NS1_7vsmem_tEENKUlT_SE_SF_SG_E_clIS8_S8_S9_S9_EESD_ST_SE_SF_SG_EUlST_E0_NS1_11comp_targetILNS1_3genE9ELNS1_11target_archE1100ELNS1_3gpuE3ELNS1_3repE0EEENS1_38merge_mergepath_config_static_selectorELNS0_4arch9wavefront6targetE0EEEvSF_ ; -- Begin function _ZN7rocprim17ROCPRIM_400000_NS6detail17trampoline_kernelINS0_14default_configENS1_38merge_sort_block_merge_config_selectorIfNS0_10empty_typeEEEZZNS1_27merge_sort_block_merge_implIS3_PfPS5_jNS1_19radix_merge_compareILb1ELb0EfNS0_19identity_decomposerEEEEE10hipError_tT0_T1_T2_jT3_P12ihipStream_tbPNSt15iterator_traitsISE_E10value_typeEPNSK_ISF_E10value_typeEPSG_NS1_7vsmem_tEENKUlT_SE_SF_SG_E_clIS8_S8_S9_S9_EESD_ST_SE_SF_SG_EUlST_E0_NS1_11comp_targetILNS1_3genE9ELNS1_11target_archE1100ELNS1_3gpuE3ELNS1_3repE0EEENS1_38merge_mergepath_config_static_selectorELNS0_4arch9wavefront6targetE0EEEvSF_
	.globl	_ZN7rocprim17ROCPRIM_400000_NS6detail17trampoline_kernelINS0_14default_configENS1_38merge_sort_block_merge_config_selectorIfNS0_10empty_typeEEEZZNS1_27merge_sort_block_merge_implIS3_PfPS5_jNS1_19radix_merge_compareILb1ELb0EfNS0_19identity_decomposerEEEEE10hipError_tT0_T1_T2_jT3_P12ihipStream_tbPNSt15iterator_traitsISE_E10value_typeEPNSK_ISF_E10value_typeEPSG_NS1_7vsmem_tEENKUlT_SE_SF_SG_E_clIS8_S8_S9_S9_EESD_ST_SE_SF_SG_EUlST_E0_NS1_11comp_targetILNS1_3genE9ELNS1_11target_archE1100ELNS1_3gpuE3ELNS1_3repE0EEENS1_38merge_mergepath_config_static_selectorELNS0_4arch9wavefront6targetE0EEEvSF_
	.p2align	8
	.type	_ZN7rocprim17ROCPRIM_400000_NS6detail17trampoline_kernelINS0_14default_configENS1_38merge_sort_block_merge_config_selectorIfNS0_10empty_typeEEEZZNS1_27merge_sort_block_merge_implIS3_PfPS5_jNS1_19radix_merge_compareILb1ELb0EfNS0_19identity_decomposerEEEEE10hipError_tT0_T1_T2_jT3_P12ihipStream_tbPNSt15iterator_traitsISE_E10value_typeEPNSK_ISF_E10value_typeEPSG_NS1_7vsmem_tEENKUlT_SE_SF_SG_E_clIS8_S8_S9_S9_EESD_ST_SE_SF_SG_EUlST_E0_NS1_11comp_targetILNS1_3genE9ELNS1_11target_archE1100ELNS1_3gpuE3ELNS1_3repE0EEENS1_38merge_mergepath_config_static_selectorELNS0_4arch9wavefront6targetE0EEEvSF_,@function
_ZN7rocprim17ROCPRIM_400000_NS6detail17trampoline_kernelINS0_14default_configENS1_38merge_sort_block_merge_config_selectorIfNS0_10empty_typeEEEZZNS1_27merge_sort_block_merge_implIS3_PfPS5_jNS1_19radix_merge_compareILb1ELb0EfNS0_19identity_decomposerEEEEE10hipError_tT0_T1_T2_jT3_P12ihipStream_tbPNSt15iterator_traitsISE_E10value_typeEPNSK_ISF_E10value_typeEPSG_NS1_7vsmem_tEENKUlT_SE_SF_SG_E_clIS8_S8_S9_S9_EESD_ST_SE_SF_SG_EUlST_E0_NS1_11comp_targetILNS1_3genE9ELNS1_11target_archE1100ELNS1_3gpuE3ELNS1_3repE0EEENS1_38merge_mergepath_config_static_selectorELNS0_4arch9wavefront6targetE0EEEvSF_: ; @_ZN7rocprim17ROCPRIM_400000_NS6detail17trampoline_kernelINS0_14default_configENS1_38merge_sort_block_merge_config_selectorIfNS0_10empty_typeEEEZZNS1_27merge_sort_block_merge_implIS3_PfPS5_jNS1_19radix_merge_compareILb1ELb0EfNS0_19identity_decomposerEEEEE10hipError_tT0_T1_T2_jT3_P12ihipStream_tbPNSt15iterator_traitsISE_E10value_typeEPNSK_ISF_E10value_typeEPSG_NS1_7vsmem_tEENKUlT_SE_SF_SG_E_clIS8_S8_S9_S9_EESD_ST_SE_SF_SG_EUlST_E0_NS1_11comp_targetILNS1_3genE9ELNS1_11target_archE1100ELNS1_3gpuE3ELNS1_3repE0EEENS1_38merge_mergepath_config_static_selectorELNS0_4arch9wavefront6targetE0EEEvSF_
; %bb.0:
	.section	.rodata,"a",@progbits
	.p2align	6, 0x0
	.amdhsa_kernel _ZN7rocprim17ROCPRIM_400000_NS6detail17trampoline_kernelINS0_14default_configENS1_38merge_sort_block_merge_config_selectorIfNS0_10empty_typeEEEZZNS1_27merge_sort_block_merge_implIS3_PfPS5_jNS1_19radix_merge_compareILb1ELb0EfNS0_19identity_decomposerEEEEE10hipError_tT0_T1_T2_jT3_P12ihipStream_tbPNSt15iterator_traitsISE_E10value_typeEPNSK_ISF_E10value_typeEPSG_NS1_7vsmem_tEENKUlT_SE_SF_SG_E_clIS8_S8_S9_S9_EESD_ST_SE_SF_SG_EUlST_E0_NS1_11comp_targetILNS1_3genE9ELNS1_11target_archE1100ELNS1_3gpuE3ELNS1_3repE0EEENS1_38merge_mergepath_config_static_selectorELNS0_4arch9wavefront6targetE0EEEvSF_
		.amdhsa_group_segment_fixed_size 0
		.amdhsa_private_segment_fixed_size 0
		.amdhsa_kernarg_size 64
		.amdhsa_user_sgpr_count 2
		.amdhsa_user_sgpr_dispatch_ptr 0
		.amdhsa_user_sgpr_queue_ptr 0
		.amdhsa_user_sgpr_kernarg_segment_ptr 1
		.amdhsa_user_sgpr_dispatch_id 0
		.amdhsa_user_sgpr_kernarg_preload_length 0
		.amdhsa_user_sgpr_kernarg_preload_offset 0
		.amdhsa_user_sgpr_private_segment_size 0
		.amdhsa_wavefront_size32 1
		.amdhsa_uses_dynamic_stack 0
		.amdhsa_enable_private_segment 0
		.amdhsa_system_sgpr_workgroup_id_x 1
		.amdhsa_system_sgpr_workgroup_id_y 0
		.amdhsa_system_sgpr_workgroup_id_z 0
		.amdhsa_system_sgpr_workgroup_info 0
		.amdhsa_system_vgpr_workitem_id 0
		.amdhsa_next_free_vgpr 1
		.amdhsa_next_free_sgpr 1
		.amdhsa_named_barrier_count 0
		.amdhsa_reserve_vcc 0
		.amdhsa_float_round_mode_32 0
		.amdhsa_float_round_mode_16_64 0
		.amdhsa_float_denorm_mode_32 3
		.amdhsa_float_denorm_mode_16_64 3
		.amdhsa_fp16_overflow 0
		.amdhsa_memory_ordered 1
		.amdhsa_forward_progress 1
		.amdhsa_inst_pref_size 0
		.amdhsa_round_robin_scheduling 0
		.amdhsa_exception_fp_ieee_invalid_op 0
		.amdhsa_exception_fp_denorm_src 0
		.amdhsa_exception_fp_ieee_div_zero 0
		.amdhsa_exception_fp_ieee_overflow 0
		.amdhsa_exception_fp_ieee_underflow 0
		.amdhsa_exception_fp_ieee_inexact 0
		.amdhsa_exception_int_div_zero 0
	.end_amdhsa_kernel
	.section	.text._ZN7rocprim17ROCPRIM_400000_NS6detail17trampoline_kernelINS0_14default_configENS1_38merge_sort_block_merge_config_selectorIfNS0_10empty_typeEEEZZNS1_27merge_sort_block_merge_implIS3_PfPS5_jNS1_19radix_merge_compareILb1ELb0EfNS0_19identity_decomposerEEEEE10hipError_tT0_T1_T2_jT3_P12ihipStream_tbPNSt15iterator_traitsISE_E10value_typeEPNSK_ISF_E10value_typeEPSG_NS1_7vsmem_tEENKUlT_SE_SF_SG_E_clIS8_S8_S9_S9_EESD_ST_SE_SF_SG_EUlST_E0_NS1_11comp_targetILNS1_3genE9ELNS1_11target_archE1100ELNS1_3gpuE3ELNS1_3repE0EEENS1_38merge_mergepath_config_static_selectorELNS0_4arch9wavefront6targetE0EEEvSF_,"axG",@progbits,_ZN7rocprim17ROCPRIM_400000_NS6detail17trampoline_kernelINS0_14default_configENS1_38merge_sort_block_merge_config_selectorIfNS0_10empty_typeEEEZZNS1_27merge_sort_block_merge_implIS3_PfPS5_jNS1_19radix_merge_compareILb1ELb0EfNS0_19identity_decomposerEEEEE10hipError_tT0_T1_T2_jT3_P12ihipStream_tbPNSt15iterator_traitsISE_E10value_typeEPNSK_ISF_E10value_typeEPSG_NS1_7vsmem_tEENKUlT_SE_SF_SG_E_clIS8_S8_S9_S9_EESD_ST_SE_SF_SG_EUlST_E0_NS1_11comp_targetILNS1_3genE9ELNS1_11target_archE1100ELNS1_3gpuE3ELNS1_3repE0EEENS1_38merge_mergepath_config_static_selectorELNS0_4arch9wavefront6targetE0EEEvSF_,comdat
.Lfunc_end1275:
	.size	_ZN7rocprim17ROCPRIM_400000_NS6detail17trampoline_kernelINS0_14default_configENS1_38merge_sort_block_merge_config_selectorIfNS0_10empty_typeEEEZZNS1_27merge_sort_block_merge_implIS3_PfPS5_jNS1_19radix_merge_compareILb1ELb0EfNS0_19identity_decomposerEEEEE10hipError_tT0_T1_T2_jT3_P12ihipStream_tbPNSt15iterator_traitsISE_E10value_typeEPNSK_ISF_E10value_typeEPSG_NS1_7vsmem_tEENKUlT_SE_SF_SG_E_clIS8_S8_S9_S9_EESD_ST_SE_SF_SG_EUlST_E0_NS1_11comp_targetILNS1_3genE9ELNS1_11target_archE1100ELNS1_3gpuE3ELNS1_3repE0EEENS1_38merge_mergepath_config_static_selectorELNS0_4arch9wavefront6targetE0EEEvSF_, .Lfunc_end1275-_ZN7rocprim17ROCPRIM_400000_NS6detail17trampoline_kernelINS0_14default_configENS1_38merge_sort_block_merge_config_selectorIfNS0_10empty_typeEEEZZNS1_27merge_sort_block_merge_implIS3_PfPS5_jNS1_19radix_merge_compareILb1ELb0EfNS0_19identity_decomposerEEEEE10hipError_tT0_T1_T2_jT3_P12ihipStream_tbPNSt15iterator_traitsISE_E10value_typeEPNSK_ISF_E10value_typeEPSG_NS1_7vsmem_tEENKUlT_SE_SF_SG_E_clIS8_S8_S9_S9_EESD_ST_SE_SF_SG_EUlST_E0_NS1_11comp_targetILNS1_3genE9ELNS1_11target_archE1100ELNS1_3gpuE3ELNS1_3repE0EEENS1_38merge_mergepath_config_static_selectorELNS0_4arch9wavefront6targetE0EEEvSF_
                                        ; -- End function
	.set _ZN7rocprim17ROCPRIM_400000_NS6detail17trampoline_kernelINS0_14default_configENS1_38merge_sort_block_merge_config_selectorIfNS0_10empty_typeEEEZZNS1_27merge_sort_block_merge_implIS3_PfPS5_jNS1_19radix_merge_compareILb1ELb0EfNS0_19identity_decomposerEEEEE10hipError_tT0_T1_T2_jT3_P12ihipStream_tbPNSt15iterator_traitsISE_E10value_typeEPNSK_ISF_E10value_typeEPSG_NS1_7vsmem_tEENKUlT_SE_SF_SG_E_clIS8_S8_S9_S9_EESD_ST_SE_SF_SG_EUlST_E0_NS1_11comp_targetILNS1_3genE9ELNS1_11target_archE1100ELNS1_3gpuE3ELNS1_3repE0EEENS1_38merge_mergepath_config_static_selectorELNS0_4arch9wavefront6targetE0EEEvSF_.num_vgpr, 0
	.set _ZN7rocprim17ROCPRIM_400000_NS6detail17trampoline_kernelINS0_14default_configENS1_38merge_sort_block_merge_config_selectorIfNS0_10empty_typeEEEZZNS1_27merge_sort_block_merge_implIS3_PfPS5_jNS1_19radix_merge_compareILb1ELb0EfNS0_19identity_decomposerEEEEE10hipError_tT0_T1_T2_jT3_P12ihipStream_tbPNSt15iterator_traitsISE_E10value_typeEPNSK_ISF_E10value_typeEPSG_NS1_7vsmem_tEENKUlT_SE_SF_SG_E_clIS8_S8_S9_S9_EESD_ST_SE_SF_SG_EUlST_E0_NS1_11comp_targetILNS1_3genE9ELNS1_11target_archE1100ELNS1_3gpuE3ELNS1_3repE0EEENS1_38merge_mergepath_config_static_selectorELNS0_4arch9wavefront6targetE0EEEvSF_.num_agpr, 0
	.set _ZN7rocprim17ROCPRIM_400000_NS6detail17trampoline_kernelINS0_14default_configENS1_38merge_sort_block_merge_config_selectorIfNS0_10empty_typeEEEZZNS1_27merge_sort_block_merge_implIS3_PfPS5_jNS1_19radix_merge_compareILb1ELb0EfNS0_19identity_decomposerEEEEE10hipError_tT0_T1_T2_jT3_P12ihipStream_tbPNSt15iterator_traitsISE_E10value_typeEPNSK_ISF_E10value_typeEPSG_NS1_7vsmem_tEENKUlT_SE_SF_SG_E_clIS8_S8_S9_S9_EESD_ST_SE_SF_SG_EUlST_E0_NS1_11comp_targetILNS1_3genE9ELNS1_11target_archE1100ELNS1_3gpuE3ELNS1_3repE0EEENS1_38merge_mergepath_config_static_selectorELNS0_4arch9wavefront6targetE0EEEvSF_.numbered_sgpr, 0
	.set _ZN7rocprim17ROCPRIM_400000_NS6detail17trampoline_kernelINS0_14default_configENS1_38merge_sort_block_merge_config_selectorIfNS0_10empty_typeEEEZZNS1_27merge_sort_block_merge_implIS3_PfPS5_jNS1_19radix_merge_compareILb1ELb0EfNS0_19identity_decomposerEEEEE10hipError_tT0_T1_T2_jT3_P12ihipStream_tbPNSt15iterator_traitsISE_E10value_typeEPNSK_ISF_E10value_typeEPSG_NS1_7vsmem_tEENKUlT_SE_SF_SG_E_clIS8_S8_S9_S9_EESD_ST_SE_SF_SG_EUlST_E0_NS1_11comp_targetILNS1_3genE9ELNS1_11target_archE1100ELNS1_3gpuE3ELNS1_3repE0EEENS1_38merge_mergepath_config_static_selectorELNS0_4arch9wavefront6targetE0EEEvSF_.num_named_barrier, 0
	.set _ZN7rocprim17ROCPRIM_400000_NS6detail17trampoline_kernelINS0_14default_configENS1_38merge_sort_block_merge_config_selectorIfNS0_10empty_typeEEEZZNS1_27merge_sort_block_merge_implIS3_PfPS5_jNS1_19radix_merge_compareILb1ELb0EfNS0_19identity_decomposerEEEEE10hipError_tT0_T1_T2_jT3_P12ihipStream_tbPNSt15iterator_traitsISE_E10value_typeEPNSK_ISF_E10value_typeEPSG_NS1_7vsmem_tEENKUlT_SE_SF_SG_E_clIS8_S8_S9_S9_EESD_ST_SE_SF_SG_EUlST_E0_NS1_11comp_targetILNS1_3genE9ELNS1_11target_archE1100ELNS1_3gpuE3ELNS1_3repE0EEENS1_38merge_mergepath_config_static_selectorELNS0_4arch9wavefront6targetE0EEEvSF_.private_seg_size, 0
	.set _ZN7rocprim17ROCPRIM_400000_NS6detail17trampoline_kernelINS0_14default_configENS1_38merge_sort_block_merge_config_selectorIfNS0_10empty_typeEEEZZNS1_27merge_sort_block_merge_implIS3_PfPS5_jNS1_19radix_merge_compareILb1ELb0EfNS0_19identity_decomposerEEEEE10hipError_tT0_T1_T2_jT3_P12ihipStream_tbPNSt15iterator_traitsISE_E10value_typeEPNSK_ISF_E10value_typeEPSG_NS1_7vsmem_tEENKUlT_SE_SF_SG_E_clIS8_S8_S9_S9_EESD_ST_SE_SF_SG_EUlST_E0_NS1_11comp_targetILNS1_3genE9ELNS1_11target_archE1100ELNS1_3gpuE3ELNS1_3repE0EEENS1_38merge_mergepath_config_static_selectorELNS0_4arch9wavefront6targetE0EEEvSF_.uses_vcc, 0
	.set _ZN7rocprim17ROCPRIM_400000_NS6detail17trampoline_kernelINS0_14default_configENS1_38merge_sort_block_merge_config_selectorIfNS0_10empty_typeEEEZZNS1_27merge_sort_block_merge_implIS3_PfPS5_jNS1_19radix_merge_compareILb1ELb0EfNS0_19identity_decomposerEEEEE10hipError_tT0_T1_T2_jT3_P12ihipStream_tbPNSt15iterator_traitsISE_E10value_typeEPNSK_ISF_E10value_typeEPSG_NS1_7vsmem_tEENKUlT_SE_SF_SG_E_clIS8_S8_S9_S9_EESD_ST_SE_SF_SG_EUlST_E0_NS1_11comp_targetILNS1_3genE9ELNS1_11target_archE1100ELNS1_3gpuE3ELNS1_3repE0EEENS1_38merge_mergepath_config_static_selectorELNS0_4arch9wavefront6targetE0EEEvSF_.uses_flat_scratch, 0
	.set _ZN7rocprim17ROCPRIM_400000_NS6detail17trampoline_kernelINS0_14default_configENS1_38merge_sort_block_merge_config_selectorIfNS0_10empty_typeEEEZZNS1_27merge_sort_block_merge_implIS3_PfPS5_jNS1_19radix_merge_compareILb1ELb0EfNS0_19identity_decomposerEEEEE10hipError_tT0_T1_T2_jT3_P12ihipStream_tbPNSt15iterator_traitsISE_E10value_typeEPNSK_ISF_E10value_typeEPSG_NS1_7vsmem_tEENKUlT_SE_SF_SG_E_clIS8_S8_S9_S9_EESD_ST_SE_SF_SG_EUlST_E0_NS1_11comp_targetILNS1_3genE9ELNS1_11target_archE1100ELNS1_3gpuE3ELNS1_3repE0EEENS1_38merge_mergepath_config_static_selectorELNS0_4arch9wavefront6targetE0EEEvSF_.has_dyn_sized_stack, 0
	.set _ZN7rocprim17ROCPRIM_400000_NS6detail17trampoline_kernelINS0_14default_configENS1_38merge_sort_block_merge_config_selectorIfNS0_10empty_typeEEEZZNS1_27merge_sort_block_merge_implIS3_PfPS5_jNS1_19radix_merge_compareILb1ELb0EfNS0_19identity_decomposerEEEEE10hipError_tT0_T1_T2_jT3_P12ihipStream_tbPNSt15iterator_traitsISE_E10value_typeEPNSK_ISF_E10value_typeEPSG_NS1_7vsmem_tEENKUlT_SE_SF_SG_E_clIS8_S8_S9_S9_EESD_ST_SE_SF_SG_EUlST_E0_NS1_11comp_targetILNS1_3genE9ELNS1_11target_archE1100ELNS1_3gpuE3ELNS1_3repE0EEENS1_38merge_mergepath_config_static_selectorELNS0_4arch9wavefront6targetE0EEEvSF_.has_recursion, 0
	.set _ZN7rocprim17ROCPRIM_400000_NS6detail17trampoline_kernelINS0_14default_configENS1_38merge_sort_block_merge_config_selectorIfNS0_10empty_typeEEEZZNS1_27merge_sort_block_merge_implIS3_PfPS5_jNS1_19radix_merge_compareILb1ELb0EfNS0_19identity_decomposerEEEEE10hipError_tT0_T1_T2_jT3_P12ihipStream_tbPNSt15iterator_traitsISE_E10value_typeEPNSK_ISF_E10value_typeEPSG_NS1_7vsmem_tEENKUlT_SE_SF_SG_E_clIS8_S8_S9_S9_EESD_ST_SE_SF_SG_EUlST_E0_NS1_11comp_targetILNS1_3genE9ELNS1_11target_archE1100ELNS1_3gpuE3ELNS1_3repE0EEENS1_38merge_mergepath_config_static_selectorELNS0_4arch9wavefront6targetE0EEEvSF_.has_indirect_call, 0
	.section	.AMDGPU.csdata,"",@progbits
; Kernel info:
; codeLenInByte = 0
; TotalNumSgprs: 0
; NumVgprs: 0
; ScratchSize: 0
; MemoryBound: 0
; FloatMode: 240
; IeeeMode: 1
; LDSByteSize: 0 bytes/workgroup (compile time only)
; SGPRBlocks: 0
; VGPRBlocks: 0
; NumSGPRsForWavesPerEU: 1
; NumVGPRsForWavesPerEU: 1
; NamedBarCnt: 0
; Occupancy: 16
; WaveLimiterHint : 0
; COMPUTE_PGM_RSRC2:SCRATCH_EN: 0
; COMPUTE_PGM_RSRC2:USER_SGPR: 2
; COMPUTE_PGM_RSRC2:TRAP_HANDLER: 0
; COMPUTE_PGM_RSRC2:TGID_X_EN: 1
; COMPUTE_PGM_RSRC2:TGID_Y_EN: 0
; COMPUTE_PGM_RSRC2:TGID_Z_EN: 0
; COMPUTE_PGM_RSRC2:TIDIG_COMP_CNT: 0
	.section	.text._ZN7rocprim17ROCPRIM_400000_NS6detail17trampoline_kernelINS0_14default_configENS1_38merge_sort_block_merge_config_selectorIfNS0_10empty_typeEEEZZNS1_27merge_sort_block_merge_implIS3_PfPS5_jNS1_19radix_merge_compareILb1ELb0EfNS0_19identity_decomposerEEEEE10hipError_tT0_T1_T2_jT3_P12ihipStream_tbPNSt15iterator_traitsISE_E10value_typeEPNSK_ISF_E10value_typeEPSG_NS1_7vsmem_tEENKUlT_SE_SF_SG_E_clIS8_S8_S9_S9_EESD_ST_SE_SF_SG_EUlST_E0_NS1_11comp_targetILNS1_3genE8ELNS1_11target_archE1030ELNS1_3gpuE2ELNS1_3repE0EEENS1_38merge_mergepath_config_static_selectorELNS0_4arch9wavefront6targetE0EEEvSF_,"axG",@progbits,_ZN7rocprim17ROCPRIM_400000_NS6detail17trampoline_kernelINS0_14default_configENS1_38merge_sort_block_merge_config_selectorIfNS0_10empty_typeEEEZZNS1_27merge_sort_block_merge_implIS3_PfPS5_jNS1_19radix_merge_compareILb1ELb0EfNS0_19identity_decomposerEEEEE10hipError_tT0_T1_T2_jT3_P12ihipStream_tbPNSt15iterator_traitsISE_E10value_typeEPNSK_ISF_E10value_typeEPSG_NS1_7vsmem_tEENKUlT_SE_SF_SG_E_clIS8_S8_S9_S9_EESD_ST_SE_SF_SG_EUlST_E0_NS1_11comp_targetILNS1_3genE8ELNS1_11target_archE1030ELNS1_3gpuE2ELNS1_3repE0EEENS1_38merge_mergepath_config_static_selectorELNS0_4arch9wavefront6targetE0EEEvSF_,comdat
	.protected	_ZN7rocprim17ROCPRIM_400000_NS6detail17trampoline_kernelINS0_14default_configENS1_38merge_sort_block_merge_config_selectorIfNS0_10empty_typeEEEZZNS1_27merge_sort_block_merge_implIS3_PfPS5_jNS1_19radix_merge_compareILb1ELb0EfNS0_19identity_decomposerEEEEE10hipError_tT0_T1_T2_jT3_P12ihipStream_tbPNSt15iterator_traitsISE_E10value_typeEPNSK_ISF_E10value_typeEPSG_NS1_7vsmem_tEENKUlT_SE_SF_SG_E_clIS8_S8_S9_S9_EESD_ST_SE_SF_SG_EUlST_E0_NS1_11comp_targetILNS1_3genE8ELNS1_11target_archE1030ELNS1_3gpuE2ELNS1_3repE0EEENS1_38merge_mergepath_config_static_selectorELNS0_4arch9wavefront6targetE0EEEvSF_ ; -- Begin function _ZN7rocprim17ROCPRIM_400000_NS6detail17trampoline_kernelINS0_14default_configENS1_38merge_sort_block_merge_config_selectorIfNS0_10empty_typeEEEZZNS1_27merge_sort_block_merge_implIS3_PfPS5_jNS1_19radix_merge_compareILb1ELb0EfNS0_19identity_decomposerEEEEE10hipError_tT0_T1_T2_jT3_P12ihipStream_tbPNSt15iterator_traitsISE_E10value_typeEPNSK_ISF_E10value_typeEPSG_NS1_7vsmem_tEENKUlT_SE_SF_SG_E_clIS8_S8_S9_S9_EESD_ST_SE_SF_SG_EUlST_E0_NS1_11comp_targetILNS1_3genE8ELNS1_11target_archE1030ELNS1_3gpuE2ELNS1_3repE0EEENS1_38merge_mergepath_config_static_selectorELNS0_4arch9wavefront6targetE0EEEvSF_
	.globl	_ZN7rocprim17ROCPRIM_400000_NS6detail17trampoline_kernelINS0_14default_configENS1_38merge_sort_block_merge_config_selectorIfNS0_10empty_typeEEEZZNS1_27merge_sort_block_merge_implIS3_PfPS5_jNS1_19radix_merge_compareILb1ELb0EfNS0_19identity_decomposerEEEEE10hipError_tT0_T1_T2_jT3_P12ihipStream_tbPNSt15iterator_traitsISE_E10value_typeEPNSK_ISF_E10value_typeEPSG_NS1_7vsmem_tEENKUlT_SE_SF_SG_E_clIS8_S8_S9_S9_EESD_ST_SE_SF_SG_EUlST_E0_NS1_11comp_targetILNS1_3genE8ELNS1_11target_archE1030ELNS1_3gpuE2ELNS1_3repE0EEENS1_38merge_mergepath_config_static_selectorELNS0_4arch9wavefront6targetE0EEEvSF_
	.p2align	8
	.type	_ZN7rocprim17ROCPRIM_400000_NS6detail17trampoline_kernelINS0_14default_configENS1_38merge_sort_block_merge_config_selectorIfNS0_10empty_typeEEEZZNS1_27merge_sort_block_merge_implIS3_PfPS5_jNS1_19radix_merge_compareILb1ELb0EfNS0_19identity_decomposerEEEEE10hipError_tT0_T1_T2_jT3_P12ihipStream_tbPNSt15iterator_traitsISE_E10value_typeEPNSK_ISF_E10value_typeEPSG_NS1_7vsmem_tEENKUlT_SE_SF_SG_E_clIS8_S8_S9_S9_EESD_ST_SE_SF_SG_EUlST_E0_NS1_11comp_targetILNS1_3genE8ELNS1_11target_archE1030ELNS1_3gpuE2ELNS1_3repE0EEENS1_38merge_mergepath_config_static_selectorELNS0_4arch9wavefront6targetE0EEEvSF_,@function
_ZN7rocprim17ROCPRIM_400000_NS6detail17trampoline_kernelINS0_14default_configENS1_38merge_sort_block_merge_config_selectorIfNS0_10empty_typeEEEZZNS1_27merge_sort_block_merge_implIS3_PfPS5_jNS1_19radix_merge_compareILb1ELb0EfNS0_19identity_decomposerEEEEE10hipError_tT0_T1_T2_jT3_P12ihipStream_tbPNSt15iterator_traitsISE_E10value_typeEPNSK_ISF_E10value_typeEPSG_NS1_7vsmem_tEENKUlT_SE_SF_SG_E_clIS8_S8_S9_S9_EESD_ST_SE_SF_SG_EUlST_E0_NS1_11comp_targetILNS1_3genE8ELNS1_11target_archE1030ELNS1_3gpuE2ELNS1_3repE0EEENS1_38merge_mergepath_config_static_selectorELNS0_4arch9wavefront6targetE0EEEvSF_: ; @_ZN7rocprim17ROCPRIM_400000_NS6detail17trampoline_kernelINS0_14default_configENS1_38merge_sort_block_merge_config_selectorIfNS0_10empty_typeEEEZZNS1_27merge_sort_block_merge_implIS3_PfPS5_jNS1_19radix_merge_compareILb1ELb0EfNS0_19identity_decomposerEEEEE10hipError_tT0_T1_T2_jT3_P12ihipStream_tbPNSt15iterator_traitsISE_E10value_typeEPNSK_ISF_E10value_typeEPSG_NS1_7vsmem_tEENKUlT_SE_SF_SG_E_clIS8_S8_S9_S9_EESD_ST_SE_SF_SG_EUlST_E0_NS1_11comp_targetILNS1_3genE8ELNS1_11target_archE1030ELNS1_3gpuE2ELNS1_3repE0EEENS1_38merge_mergepath_config_static_selectorELNS0_4arch9wavefront6targetE0EEEvSF_
; %bb.0:
	.section	.rodata,"a",@progbits
	.p2align	6, 0x0
	.amdhsa_kernel _ZN7rocprim17ROCPRIM_400000_NS6detail17trampoline_kernelINS0_14default_configENS1_38merge_sort_block_merge_config_selectorIfNS0_10empty_typeEEEZZNS1_27merge_sort_block_merge_implIS3_PfPS5_jNS1_19radix_merge_compareILb1ELb0EfNS0_19identity_decomposerEEEEE10hipError_tT0_T1_T2_jT3_P12ihipStream_tbPNSt15iterator_traitsISE_E10value_typeEPNSK_ISF_E10value_typeEPSG_NS1_7vsmem_tEENKUlT_SE_SF_SG_E_clIS8_S8_S9_S9_EESD_ST_SE_SF_SG_EUlST_E0_NS1_11comp_targetILNS1_3genE8ELNS1_11target_archE1030ELNS1_3gpuE2ELNS1_3repE0EEENS1_38merge_mergepath_config_static_selectorELNS0_4arch9wavefront6targetE0EEEvSF_
		.amdhsa_group_segment_fixed_size 0
		.amdhsa_private_segment_fixed_size 0
		.amdhsa_kernarg_size 64
		.amdhsa_user_sgpr_count 2
		.amdhsa_user_sgpr_dispatch_ptr 0
		.amdhsa_user_sgpr_queue_ptr 0
		.amdhsa_user_sgpr_kernarg_segment_ptr 1
		.amdhsa_user_sgpr_dispatch_id 0
		.amdhsa_user_sgpr_kernarg_preload_length 0
		.amdhsa_user_sgpr_kernarg_preload_offset 0
		.amdhsa_user_sgpr_private_segment_size 0
		.amdhsa_wavefront_size32 1
		.amdhsa_uses_dynamic_stack 0
		.amdhsa_enable_private_segment 0
		.amdhsa_system_sgpr_workgroup_id_x 1
		.amdhsa_system_sgpr_workgroup_id_y 0
		.amdhsa_system_sgpr_workgroup_id_z 0
		.amdhsa_system_sgpr_workgroup_info 0
		.amdhsa_system_vgpr_workitem_id 0
		.amdhsa_next_free_vgpr 1
		.amdhsa_next_free_sgpr 1
		.amdhsa_named_barrier_count 0
		.amdhsa_reserve_vcc 0
		.amdhsa_float_round_mode_32 0
		.amdhsa_float_round_mode_16_64 0
		.amdhsa_float_denorm_mode_32 3
		.amdhsa_float_denorm_mode_16_64 3
		.amdhsa_fp16_overflow 0
		.amdhsa_memory_ordered 1
		.amdhsa_forward_progress 1
		.amdhsa_inst_pref_size 0
		.amdhsa_round_robin_scheduling 0
		.amdhsa_exception_fp_ieee_invalid_op 0
		.amdhsa_exception_fp_denorm_src 0
		.amdhsa_exception_fp_ieee_div_zero 0
		.amdhsa_exception_fp_ieee_overflow 0
		.amdhsa_exception_fp_ieee_underflow 0
		.amdhsa_exception_fp_ieee_inexact 0
		.amdhsa_exception_int_div_zero 0
	.end_amdhsa_kernel
	.section	.text._ZN7rocprim17ROCPRIM_400000_NS6detail17trampoline_kernelINS0_14default_configENS1_38merge_sort_block_merge_config_selectorIfNS0_10empty_typeEEEZZNS1_27merge_sort_block_merge_implIS3_PfPS5_jNS1_19radix_merge_compareILb1ELb0EfNS0_19identity_decomposerEEEEE10hipError_tT0_T1_T2_jT3_P12ihipStream_tbPNSt15iterator_traitsISE_E10value_typeEPNSK_ISF_E10value_typeEPSG_NS1_7vsmem_tEENKUlT_SE_SF_SG_E_clIS8_S8_S9_S9_EESD_ST_SE_SF_SG_EUlST_E0_NS1_11comp_targetILNS1_3genE8ELNS1_11target_archE1030ELNS1_3gpuE2ELNS1_3repE0EEENS1_38merge_mergepath_config_static_selectorELNS0_4arch9wavefront6targetE0EEEvSF_,"axG",@progbits,_ZN7rocprim17ROCPRIM_400000_NS6detail17trampoline_kernelINS0_14default_configENS1_38merge_sort_block_merge_config_selectorIfNS0_10empty_typeEEEZZNS1_27merge_sort_block_merge_implIS3_PfPS5_jNS1_19radix_merge_compareILb1ELb0EfNS0_19identity_decomposerEEEEE10hipError_tT0_T1_T2_jT3_P12ihipStream_tbPNSt15iterator_traitsISE_E10value_typeEPNSK_ISF_E10value_typeEPSG_NS1_7vsmem_tEENKUlT_SE_SF_SG_E_clIS8_S8_S9_S9_EESD_ST_SE_SF_SG_EUlST_E0_NS1_11comp_targetILNS1_3genE8ELNS1_11target_archE1030ELNS1_3gpuE2ELNS1_3repE0EEENS1_38merge_mergepath_config_static_selectorELNS0_4arch9wavefront6targetE0EEEvSF_,comdat
.Lfunc_end1276:
	.size	_ZN7rocprim17ROCPRIM_400000_NS6detail17trampoline_kernelINS0_14default_configENS1_38merge_sort_block_merge_config_selectorIfNS0_10empty_typeEEEZZNS1_27merge_sort_block_merge_implIS3_PfPS5_jNS1_19radix_merge_compareILb1ELb0EfNS0_19identity_decomposerEEEEE10hipError_tT0_T1_T2_jT3_P12ihipStream_tbPNSt15iterator_traitsISE_E10value_typeEPNSK_ISF_E10value_typeEPSG_NS1_7vsmem_tEENKUlT_SE_SF_SG_E_clIS8_S8_S9_S9_EESD_ST_SE_SF_SG_EUlST_E0_NS1_11comp_targetILNS1_3genE8ELNS1_11target_archE1030ELNS1_3gpuE2ELNS1_3repE0EEENS1_38merge_mergepath_config_static_selectorELNS0_4arch9wavefront6targetE0EEEvSF_, .Lfunc_end1276-_ZN7rocprim17ROCPRIM_400000_NS6detail17trampoline_kernelINS0_14default_configENS1_38merge_sort_block_merge_config_selectorIfNS0_10empty_typeEEEZZNS1_27merge_sort_block_merge_implIS3_PfPS5_jNS1_19radix_merge_compareILb1ELb0EfNS0_19identity_decomposerEEEEE10hipError_tT0_T1_T2_jT3_P12ihipStream_tbPNSt15iterator_traitsISE_E10value_typeEPNSK_ISF_E10value_typeEPSG_NS1_7vsmem_tEENKUlT_SE_SF_SG_E_clIS8_S8_S9_S9_EESD_ST_SE_SF_SG_EUlST_E0_NS1_11comp_targetILNS1_3genE8ELNS1_11target_archE1030ELNS1_3gpuE2ELNS1_3repE0EEENS1_38merge_mergepath_config_static_selectorELNS0_4arch9wavefront6targetE0EEEvSF_
                                        ; -- End function
	.set _ZN7rocprim17ROCPRIM_400000_NS6detail17trampoline_kernelINS0_14default_configENS1_38merge_sort_block_merge_config_selectorIfNS0_10empty_typeEEEZZNS1_27merge_sort_block_merge_implIS3_PfPS5_jNS1_19radix_merge_compareILb1ELb0EfNS0_19identity_decomposerEEEEE10hipError_tT0_T1_T2_jT3_P12ihipStream_tbPNSt15iterator_traitsISE_E10value_typeEPNSK_ISF_E10value_typeEPSG_NS1_7vsmem_tEENKUlT_SE_SF_SG_E_clIS8_S8_S9_S9_EESD_ST_SE_SF_SG_EUlST_E0_NS1_11comp_targetILNS1_3genE8ELNS1_11target_archE1030ELNS1_3gpuE2ELNS1_3repE0EEENS1_38merge_mergepath_config_static_selectorELNS0_4arch9wavefront6targetE0EEEvSF_.num_vgpr, 0
	.set _ZN7rocprim17ROCPRIM_400000_NS6detail17trampoline_kernelINS0_14default_configENS1_38merge_sort_block_merge_config_selectorIfNS0_10empty_typeEEEZZNS1_27merge_sort_block_merge_implIS3_PfPS5_jNS1_19radix_merge_compareILb1ELb0EfNS0_19identity_decomposerEEEEE10hipError_tT0_T1_T2_jT3_P12ihipStream_tbPNSt15iterator_traitsISE_E10value_typeEPNSK_ISF_E10value_typeEPSG_NS1_7vsmem_tEENKUlT_SE_SF_SG_E_clIS8_S8_S9_S9_EESD_ST_SE_SF_SG_EUlST_E0_NS1_11comp_targetILNS1_3genE8ELNS1_11target_archE1030ELNS1_3gpuE2ELNS1_3repE0EEENS1_38merge_mergepath_config_static_selectorELNS0_4arch9wavefront6targetE0EEEvSF_.num_agpr, 0
	.set _ZN7rocprim17ROCPRIM_400000_NS6detail17trampoline_kernelINS0_14default_configENS1_38merge_sort_block_merge_config_selectorIfNS0_10empty_typeEEEZZNS1_27merge_sort_block_merge_implIS3_PfPS5_jNS1_19radix_merge_compareILb1ELb0EfNS0_19identity_decomposerEEEEE10hipError_tT0_T1_T2_jT3_P12ihipStream_tbPNSt15iterator_traitsISE_E10value_typeEPNSK_ISF_E10value_typeEPSG_NS1_7vsmem_tEENKUlT_SE_SF_SG_E_clIS8_S8_S9_S9_EESD_ST_SE_SF_SG_EUlST_E0_NS1_11comp_targetILNS1_3genE8ELNS1_11target_archE1030ELNS1_3gpuE2ELNS1_3repE0EEENS1_38merge_mergepath_config_static_selectorELNS0_4arch9wavefront6targetE0EEEvSF_.numbered_sgpr, 0
	.set _ZN7rocprim17ROCPRIM_400000_NS6detail17trampoline_kernelINS0_14default_configENS1_38merge_sort_block_merge_config_selectorIfNS0_10empty_typeEEEZZNS1_27merge_sort_block_merge_implIS3_PfPS5_jNS1_19radix_merge_compareILb1ELb0EfNS0_19identity_decomposerEEEEE10hipError_tT0_T1_T2_jT3_P12ihipStream_tbPNSt15iterator_traitsISE_E10value_typeEPNSK_ISF_E10value_typeEPSG_NS1_7vsmem_tEENKUlT_SE_SF_SG_E_clIS8_S8_S9_S9_EESD_ST_SE_SF_SG_EUlST_E0_NS1_11comp_targetILNS1_3genE8ELNS1_11target_archE1030ELNS1_3gpuE2ELNS1_3repE0EEENS1_38merge_mergepath_config_static_selectorELNS0_4arch9wavefront6targetE0EEEvSF_.num_named_barrier, 0
	.set _ZN7rocprim17ROCPRIM_400000_NS6detail17trampoline_kernelINS0_14default_configENS1_38merge_sort_block_merge_config_selectorIfNS0_10empty_typeEEEZZNS1_27merge_sort_block_merge_implIS3_PfPS5_jNS1_19radix_merge_compareILb1ELb0EfNS0_19identity_decomposerEEEEE10hipError_tT0_T1_T2_jT3_P12ihipStream_tbPNSt15iterator_traitsISE_E10value_typeEPNSK_ISF_E10value_typeEPSG_NS1_7vsmem_tEENKUlT_SE_SF_SG_E_clIS8_S8_S9_S9_EESD_ST_SE_SF_SG_EUlST_E0_NS1_11comp_targetILNS1_3genE8ELNS1_11target_archE1030ELNS1_3gpuE2ELNS1_3repE0EEENS1_38merge_mergepath_config_static_selectorELNS0_4arch9wavefront6targetE0EEEvSF_.private_seg_size, 0
	.set _ZN7rocprim17ROCPRIM_400000_NS6detail17trampoline_kernelINS0_14default_configENS1_38merge_sort_block_merge_config_selectorIfNS0_10empty_typeEEEZZNS1_27merge_sort_block_merge_implIS3_PfPS5_jNS1_19radix_merge_compareILb1ELb0EfNS0_19identity_decomposerEEEEE10hipError_tT0_T1_T2_jT3_P12ihipStream_tbPNSt15iterator_traitsISE_E10value_typeEPNSK_ISF_E10value_typeEPSG_NS1_7vsmem_tEENKUlT_SE_SF_SG_E_clIS8_S8_S9_S9_EESD_ST_SE_SF_SG_EUlST_E0_NS1_11comp_targetILNS1_3genE8ELNS1_11target_archE1030ELNS1_3gpuE2ELNS1_3repE0EEENS1_38merge_mergepath_config_static_selectorELNS0_4arch9wavefront6targetE0EEEvSF_.uses_vcc, 0
	.set _ZN7rocprim17ROCPRIM_400000_NS6detail17trampoline_kernelINS0_14default_configENS1_38merge_sort_block_merge_config_selectorIfNS0_10empty_typeEEEZZNS1_27merge_sort_block_merge_implIS3_PfPS5_jNS1_19radix_merge_compareILb1ELb0EfNS0_19identity_decomposerEEEEE10hipError_tT0_T1_T2_jT3_P12ihipStream_tbPNSt15iterator_traitsISE_E10value_typeEPNSK_ISF_E10value_typeEPSG_NS1_7vsmem_tEENKUlT_SE_SF_SG_E_clIS8_S8_S9_S9_EESD_ST_SE_SF_SG_EUlST_E0_NS1_11comp_targetILNS1_3genE8ELNS1_11target_archE1030ELNS1_3gpuE2ELNS1_3repE0EEENS1_38merge_mergepath_config_static_selectorELNS0_4arch9wavefront6targetE0EEEvSF_.uses_flat_scratch, 0
	.set _ZN7rocprim17ROCPRIM_400000_NS6detail17trampoline_kernelINS0_14default_configENS1_38merge_sort_block_merge_config_selectorIfNS0_10empty_typeEEEZZNS1_27merge_sort_block_merge_implIS3_PfPS5_jNS1_19radix_merge_compareILb1ELb0EfNS0_19identity_decomposerEEEEE10hipError_tT0_T1_T2_jT3_P12ihipStream_tbPNSt15iterator_traitsISE_E10value_typeEPNSK_ISF_E10value_typeEPSG_NS1_7vsmem_tEENKUlT_SE_SF_SG_E_clIS8_S8_S9_S9_EESD_ST_SE_SF_SG_EUlST_E0_NS1_11comp_targetILNS1_3genE8ELNS1_11target_archE1030ELNS1_3gpuE2ELNS1_3repE0EEENS1_38merge_mergepath_config_static_selectorELNS0_4arch9wavefront6targetE0EEEvSF_.has_dyn_sized_stack, 0
	.set _ZN7rocprim17ROCPRIM_400000_NS6detail17trampoline_kernelINS0_14default_configENS1_38merge_sort_block_merge_config_selectorIfNS0_10empty_typeEEEZZNS1_27merge_sort_block_merge_implIS3_PfPS5_jNS1_19radix_merge_compareILb1ELb0EfNS0_19identity_decomposerEEEEE10hipError_tT0_T1_T2_jT3_P12ihipStream_tbPNSt15iterator_traitsISE_E10value_typeEPNSK_ISF_E10value_typeEPSG_NS1_7vsmem_tEENKUlT_SE_SF_SG_E_clIS8_S8_S9_S9_EESD_ST_SE_SF_SG_EUlST_E0_NS1_11comp_targetILNS1_3genE8ELNS1_11target_archE1030ELNS1_3gpuE2ELNS1_3repE0EEENS1_38merge_mergepath_config_static_selectorELNS0_4arch9wavefront6targetE0EEEvSF_.has_recursion, 0
	.set _ZN7rocprim17ROCPRIM_400000_NS6detail17trampoline_kernelINS0_14default_configENS1_38merge_sort_block_merge_config_selectorIfNS0_10empty_typeEEEZZNS1_27merge_sort_block_merge_implIS3_PfPS5_jNS1_19radix_merge_compareILb1ELb0EfNS0_19identity_decomposerEEEEE10hipError_tT0_T1_T2_jT3_P12ihipStream_tbPNSt15iterator_traitsISE_E10value_typeEPNSK_ISF_E10value_typeEPSG_NS1_7vsmem_tEENKUlT_SE_SF_SG_E_clIS8_S8_S9_S9_EESD_ST_SE_SF_SG_EUlST_E0_NS1_11comp_targetILNS1_3genE8ELNS1_11target_archE1030ELNS1_3gpuE2ELNS1_3repE0EEENS1_38merge_mergepath_config_static_selectorELNS0_4arch9wavefront6targetE0EEEvSF_.has_indirect_call, 0
	.section	.AMDGPU.csdata,"",@progbits
; Kernel info:
; codeLenInByte = 0
; TotalNumSgprs: 0
; NumVgprs: 0
; ScratchSize: 0
; MemoryBound: 0
; FloatMode: 240
; IeeeMode: 1
; LDSByteSize: 0 bytes/workgroup (compile time only)
; SGPRBlocks: 0
; VGPRBlocks: 0
; NumSGPRsForWavesPerEU: 1
; NumVGPRsForWavesPerEU: 1
; NamedBarCnt: 0
; Occupancy: 16
; WaveLimiterHint : 0
; COMPUTE_PGM_RSRC2:SCRATCH_EN: 0
; COMPUTE_PGM_RSRC2:USER_SGPR: 2
; COMPUTE_PGM_RSRC2:TRAP_HANDLER: 0
; COMPUTE_PGM_RSRC2:TGID_X_EN: 1
; COMPUTE_PGM_RSRC2:TGID_Y_EN: 0
; COMPUTE_PGM_RSRC2:TGID_Z_EN: 0
; COMPUTE_PGM_RSRC2:TIDIG_COMP_CNT: 0
	.section	.text._ZN7rocprim17ROCPRIM_400000_NS6detail17trampoline_kernelINS0_14default_configENS1_38merge_sort_block_merge_config_selectorIfNS0_10empty_typeEEEZZNS1_27merge_sort_block_merge_implIS3_PfPS5_jNS1_19radix_merge_compareILb1ELb0EfNS0_19identity_decomposerEEEEE10hipError_tT0_T1_T2_jT3_P12ihipStream_tbPNSt15iterator_traitsISE_E10value_typeEPNSK_ISF_E10value_typeEPSG_NS1_7vsmem_tEENKUlT_SE_SF_SG_E_clIS8_S8_S9_S9_EESD_ST_SE_SF_SG_EUlST_E1_NS1_11comp_targetILNS1_3genE0ELNS1_11target_archE4294967295ELNS1_3gpuE0ELNS1_3repE0EEENS1_36merge_oddeven_config_static_selectorELNS0_4arch9wavefront6targetE0EEEvSF_,"axG",@progbits,_ZN7rocprim17ROCPRIM_400000_NS6detail17trampoline_kernelINS0_14default_configENS1_38merge_sort_block_merge_config_selectorIfNS0_10empty_typeEEEZZNS1_27merge_sort_block_merge_implIS3_PfPS5_jNS1_19radix_merge_compareILb1ELb0EfNS0_19identity_decomposerEEEEE10hipError_tT0_T1_T2_jT3_P12ihipStream_tbPNSt15iterator_traitsISE_E10value_typeEPNSK_ISF_E10value_typeEPSG_NS1_7vsmem_tEENKUlT_SE_SF_SG_E_clIS8_S8_S9_S9_EESD_ST_SE_SF_SG_EUlST_E1_NS1_11comp_targetILNS1_3genE0ELNS1_11target_archE4294967295ELNS1_3gpuE0ELNS1_3repE0EEENS1_36merge_oddeven_config_static_selectorELNS0_4arch9wavefront6targetE0EEEvSF_,comdat
	.protected	_ZN7rocprim17ROCPRIM_400000_NS6detail17trampoline_kernelINS0_14default_configENS1_38merge_sort_block_merge_config_selectorIfNS0_10empty_typeEEEZZNS1_27merge_sort_block_merge_implIS3_PfPS5_jNS1_19radix_merge_compareILb1ELb0EfNS0_19identity_decomposerEEEEE10hipError_tT0_T1_T2_jT3_P12ihipStream_tbPNSt15iterator_traitsISE_E10value_typeEPNSK_ISF_E10value_typeEPSG_NS1_7vsmem_tEENKUlT_SE_SF_SG_E_clIS8_S8_S9_S9_EESD_ST_SE_SF_SG_EUlST_E1_NS1_11comp_targetILNS1_3genE0ELNS1_11target_archE4294967295ELNS1_3gpuE0ELNS1_3repE0EEENS1_36merge_oddeven_config_static_selectorELNS0_4arch9wavefront6targetE0EEEvSF_ ; -- Begin function _ZN7rocprim17ROCPRIM_400000_NS6detail17trampoline_kernelINS0_14default_configENS1_38merge_sort_block_merge_config_selectorIfNS0_10empty_typeEEEZZNS1_27merge_sort_block_merge_implIS3_PfPS5_jNS1_19radix_merge_compareILb1ELb0EfNS0_19identity_decomposerEEEEE10hipError_tT0_T1_T2_jT3_P12ihipStream_tbPNSt15iterator_traitsISE_E10value_typeEPNSK_ISF_E10value_typeEPSG_NS1_7vsmem_tEENKUlT_SE_SF_SG_E_clIS8_S8_S9_S9_EESD_ST_SE_SF_SG_EUlST_E1_NS1_11comp_targetILNS1_3genE0ELNS1_11target_archE4294967295ELNS1_3gpuE0ELNS1_3repE0EEENS1_36merge_oddeven_config_static_selectorELNS0_4arch9wavefront6targetE0EEEvSF_
	.globl	_ZN7rocprim17ROCPRIM_400000_NS6detail17trampoline_kernelINS0_14default_configENS1_38merge_sort_block_merge_config_selectorIfNS0_10empty_typeEEEZZNS1_27merge_sort_block_merge_implIS3_PfPS5_jNS1_19radix_merge_compareILb1ELb0EfNS0_19identity_decomposerEEEEE10hipError_tT0_T1_T2_jT3_P12ihipStream_tbPNSt15iterator_traitsISE_E10value_typeEPNSK_ISF_E10value_typeEPSG_NS1_7vsmem_tEENKUlT_SE_SF_SG_E_clIS8_S8_S9_S9_EESD_ST_SE_SF_SG_EUlST_E1_NS1_11comp_targetILNS1_3genE0ELNS1_11target_archE4294967295ELNS1_3gpuE0ELNS1_3repE0EEENS1_36merge_oddeven_config_static_selectorELNS0_4arch9wavefront6targetE0EEEvSF_
	.p2align	8
	.type	_ZN7rocprim17ROCPRIM_400000_NS6detail17trampoline_kernelINS0_14default_configENS1_38merge_sort_block_merge_config_selectorIfNS0_10empty_typeEEEZZNS1_27merge_sort_block_merge_implIS3_PfPS5_jNS1_19radix_merge_compareILb1ELb0EfNS0_19identity_decomposerEEEEE10hipError_tT0_T1_T2_jT3_P12ihipStream_tbPNSt15iterator_traitsISE_E10value_typeEPNSK_ISF_E10value_typeEPSG_NS1_7vsmem_tEENKUlT_SE_SF_SG_E_clIS8_S8_S9_S9_EESD_ST_SE_SF_SG_EUlST_E1_NS1_11comp_targetILNS1_3genE0ELNS1_11target_archE4294967295ELNS1_3gpuE0ELNS1_3repE0EEENS1_36merge_oddeven_config_static_selectorELNS0_4arch9wavefront6targetE0EEEvSF_,@function
_ZN7rocprim17ROCPRIM_400000_NS6detail17trampoline_kernelINS0_14default_configENS1_38merge_sort_block_merge_config_selectorIfNS0_10empty_typeEEEZZNS1_27merge_sort_block_merge_implIS3_PfPS5_jNS1_19radix_merge_compareILb1ELb0EfNS0_19identity_decomposerEEEEE10hipError_tT0_T1_T2_jT3_P12ihipStream_tbPNSt15iterator_traitsISE_E10value_typeEPNSK_ISF_E10value_typeEPSG_NS1_7vsmem_tEENKUlT_SE_SF_SG_E_clIS8_S8_S9_S9_EESD_ST_SE_SF_SG_EUlST_E1_NS1_11comp_targetILNS1_3genE0ELNS1_11target_archE4294967295ELNS1_3gpuE0ELNS1_3repE0EEENS1_36merge_oddeven_config_static_selectorELNS0_4arch9wavefront6targetE0EEEvSF_: ; @_ZN7rocprim17ROCPRIM_400000_NS6detail17trampoline_kernelINS0_14default_configENS1_38merge_sort_block_merge_config_selectorIfNS0_10empty_typeEEEZZNS1_27merge_sort_block_merge_implIS3_PfPS5_jNS1_19radix_merge_compareILb1ELb0EfNS0_19identity_decomposerEEEEE10hipError_tT0_T1_T2_jT3_P12ihipStream_tbPNSt15iterator_traitsISE_E10value_typeEPNSK_ISF_E10value_typeEPSG_NS1_7vsmem_tEENKUlT_SE_SF_SG_E_clIS8_S8_S9_S9_EESD_ST_SE_SF_SG_EUlST_E1_NS1_11comp_targetILNS1_3genE0ELNS1_11target_archE4294967295ELNS1_3gpuE0ELNS1_3repE0EEENS1_36merge_oddeven_config_static_selectorELNS0_4arch9wavefront6targetE0EEEvSF_
; %bb.0:
	s_load_b32 s10, s[0:1], 0x20
	s_bfe_u32 s2, ttmp6, 0x4000c
	s_and_b32 s3, ttmp6, 15
	s_add_co_i32 s2, s2, 1
	s_getreg_b32 s4, hwreg(HW_REG_IB_STS2, 6, 4)
	s_mul_i32 s2, ttmp9, s2
	s_mov_b32 s9, 0
	s_add_co_i32 s3, s3, s2
	s_cmp_eq_u32 s4, 0
	s_cselect_b32 s13, ttmp9, s3
	s_wait_kmcnt 0x0
	s_lshr_b32 s2, s10, 8
	s_delay_alu instid0(SALU_CYCLE_1) | instskip(SKIP_4) | instid1(SALU_CYCLE_1)
	s_cmp_lg_u32 s13, s2
	s_cselect_b32 s3, -1, 0
	s_cmp_eq_u32 s13, s2
	s_cselect_b32 s11, -1, 0
	s_lshl_b32 s8, s13, 8
	s_sub_co_i32 s2, s10, s8
	s_delay_alu instid0(SALU_CYCLE_1) | instskip(SKIP_1) | instid1(SALU_CYCLE_1)
	v_cmp_gt_u32_e64 s2, s2, v0
	s_or_b32 s4, s3, s2
	s_and_saveexec_b32 s5, s4
	s_cbranch_execz .LBB1277_20
; %bb.1:
	s_clause 0x1
	s_load_b128 s[4:7], s[0:1], 0x0
	s_load_b32 s12, s[0:1], 0x24
	s_lshl_b64 s[14:15], s[8:9], 2
	v_add_nc_u32_e32 v3, s8, v0
	s_wait_kmcnt 0x0
	s_add_nc_u64 s[0:1], s[4:5], s[14:15]
	global_load_b32 v1, v0, s[0:1] scale_offset
	s_wait_xcnt 0x0
	s_lshr_b32 s0, s12, 8
	s_delay_alu instid0(SALU_CYCLE_1) | instskip(NEXT) | instid1(SALU_CYCLE_1)
	s_sub_co_i32 s1, 0, s0
	s_and_b32 s1, s13, s1
	s_delay_alu instid0(SALU_CYCLE_1) | instskip(SKIP_4) | instid1(SALU_CYCLE_1)
	s_and_b32 s0, s1, s0
	s_lshl_b32 s13, s1, 8
	s_sub_co_i32 s1, 0, s12
	s_cmp_eq_u32 s0, 0
	s_cselect_b32 s0, -1, 0
	s_and_b32 s14, s0, exec_lo
	s_cselect_b32 s1, s12, s1
	s_delay_alu instid0(SALU_CYCLE_1) | instskip(NEXT) | instid1(SALU_CYCLE_1)
	s_add_co_i32 s1, s1, s13
	s_cmp_gt_u32 s10, s1
	s_cbranch_scc1 .LBB1277_3
; %bb.2:
	v_cmp_gt_u32_e32 vcc_lo, s10, v3
	s_or_b32 s8, vcc_lo, s3
	s_delay_alu instid0(SALU_CYCLE_1)
	s_and_b32 s9, s8, exec_lo
	s_cbranch_execz .LBB1277_4
	s_branch .LBB1277_18
.LBB1277_3:
.LBB1277_4:
	s_min_u32 s3, s1, s10
	s_and_b32 vcc_lo, exec_lo, s11
	s_add_co_i32 s8, s13, s3
	s_add_co_i32 s12, s3, s12
	v_subrev_nc_u32_e32 v0, s8, v3
	s_min_u32 s8, s13, s3
	s_wait_loadcnt 0x0
	s_delay_alu instid0(VALU_DEP_1) | instskip(SKIP_1) | instid1(VALU_DEP_1)
	v_dual_add_f32 v2, 0, v1 :: v_dual_add_nc_u32 v0, s8, v0
	s_min_u32 s8, s12, s10
	v_ashrrev_i32_e32 v3, 31, v2
	s_delay_alu instid0(VALU_DEP_1)
	v_bitop3_b32 v2, v3, v2, 0x80000000 bitop3:0x36
	s_cbranch_vccz .LBB1277_12
; %bb.5:
                                        ; implicit-def: $vgpr3
	s_and_saveexec_b32 s10, s2
	s_cbranch_execz .LBB1277_11
; %bb.6:
	v_mov_b32_e32 v3, s3
	s_cmp_ge_u32 s1, s8
	s_cbranch_scc1 .LBB1277_10
; %bb.7:
	v_dual_mov_b32 v4, s8 :: v_dual_mov_b32 v3, s3
	s_mov_b32 s2, 0
.LBB1277_8:                             ; =>This Inner Loop Header: Depth=1
	s_delay_alu instid0(VALU_DEP_1) | instskip(NEXT) | instid1(VALU_DEP_1)
	v_add_nc_u32_e32 v5, v3, v4
	v_lshrrev_b32_e32 v5, 1, v5
	global_load_b32 v6, v5, s[4:5] scale_offset
	s_wait_loadcnt 0x0
	v_add_f32_e32 v6, 0, v6
	s_delay_alu instid0(VALU_DEP_1) | instskip(NEXT) | instid1(VALU_DEP_1)
	v_ashrrev_i32_e32 v7, 31, v6
	v_bitop3_b32 v6, v7, v6, 0x80000000 bitop3:0x36
	s_delay_alu instid0(VALU_DEP_1) | instskip(SKIP_3) | instid1(VALU_DEP_1)
	v_cmp_gt_u32_e32 vcc_lo, v6, v2
	v_cndmask_b32_e64 v7, 0, 1, vcc_lo
	v_cmp_le_u32_e32 vcc_lo, v2, v6
	v_cndmask_b32_e64 v6, 0, 1, vcc_lo
	v_dual_cndmask_b32 v6, v6, v7, s0 :: v_dual_add_nc_u32 v7, 1, v5
	s_delay_alu instid0(VALU_DEP_1) | instskip(NEXT) | instid1(VALU_DEP_1)
	v_and_b32_e32 v6, 1, v6
	v_cmp_eq_u32_e32 vcc_lo, 1, v6
	s_delay_alu instid0(VALU_DEP_3) | instskip(NEXT) | instid1(VALU_DEP_1)
	v_dual_cndmask_b32 v4, v5, v4 :: v_dual_cndmask_b32 v3, v3, v7
	v_cmp_ge_u32_e32 vcc_lo, v3, v4
	s_or_b32 s2, vcc_lo, s2
	s_delay_alu instid0(SALU_CYCLE_1)
	s_and_not1_b32 exec_lo, exec_lo, s2
	s_cbranch_execnz .LBB1277_8
; %bb.9:
	s_or_b32 exec_lo, exec_lo, s2
.LBB1277_10:
	s_delay_alu instid0(VALU_DEP_1)
	v_add_nc_u32_e32 v3, v3, v0
	s_or_b32 s9, s9, exec_lo
.LBB1277_11:
	s_or_b32 exec_lo, exec_lo, s10
	s_branch .LBB1277_18
.LBB1277_12:
                                        ; implicit-def: $vgpr3
	s_cbranch_execz .LBB1277_18
; %bb.13:
	v_mov_b32_e32 v3, s3
	s_cmp_ge_u32 s1, s8
	s_cbranch_scc1 .LBB1277_17
; %bb.14:
	v_dual_mov_b32 v4, s8 :: v_dual_mov_b32 v3, s3
	s_mov_b32 s1, 0
.LBB1277_15:                            ; =>This Inner Loop Header: Depth=1
	s_delay_alu instid0(VALU_DEP_1) | instskip(NEXT) | instid1(VALU_DEP_1)
	v_add_nc_u32_e32 v5, v3, v4
	v_lshrrev_b32_e32 v5, 1, v5
	global_load_b32 v6, v5, s[4:5] scale_offset
	s_wait_loadcnt 0x0
	v_add_f32_e32 v6, 0, v6
	s_delay_alu instid0(VALU_DEP_1) | instskip(NEXT) | instid1(VALU_DEP_1)
	v_ashrrev_i32_e32 v7, 31, v6
	v_bitop3_b32 v6, v7, v6, 0x80000000 bitop3:0x36
	s_delay_alu instid0(VALU_DEP_1) | instskip(SKIP_3) | instid1(VALU_DEP_1)
	v_cmp_gt_u32_e32 vcc_lo, v6, v2
	v_cndmask_b32_e64 v7, 0, 1, vcc_lo
	v_cmp_le_u32_e32 vcc_lo, v2, v6
	v_cndmask_b32_e64 v6, 0, 1, vcc_lo
	v_dual_cndmask_b32 v6, v6, v7, s0 :: v_dual_add_nc_u32 v7, 1, v5
	s_delay_alu instid0(VALU_DEP_1) | instskip(NEXT) | instid1(VALU_DEP_1)
	v_and_b32_e32 v6, 1, v6
	v_cmp_eq_u32_e32 vcc_lo, 1, v6
	s_delay_alu instid0(VALU_DEP_3) | instskip(NEXT) | instid1(VALU_DEP_1)
	v_dual_cndmask_b32 v4, v5, v4 :: v_dual_cndmask_b32 v3, v3, v7
	v_cmp_ge_u32_e32 vcc_lo, v3, v4
	s_or_b32 s1, vcc_lo, s1
	s_delay_alu instid0(SALU_CYCLE_1)
	s_and_not1_b32 exec_lo, exec_lo, s1
	s_cbranch_execnz .LBB1277_15
; %bb.16:
	s_or_b32 exec_lo, exec_lo, s1
.LBB1277_17:
	s_delay_alu instid0(VALU_DEP_1)
	v_add_nc_u32_e32 v3, v3, v0
	s_mov_b32 s9, -1
.LBB1277_18:
	s_delay_alu instid0(SALU_CYCLE_1)
	s_and_b32 exec_lo, exec_lo, s9
	s_cbranch_execz .LBB1277_20
; %bb.19:
	s_wait_loadcnt 0x0
	global_store_b32 v3, v1, s[6:7] scale_offset
.LBB1277_20:
	s_endpgm
	.section	.rodata,"a",@progbits
	.p2align	6, 0x0
	.amdhsa_kernel _ZN7rocprim17ROCPRIM_400000_NS6detail17trampoline_kernelINS0_14default_configENS1_38merge_sort_block_merge_config_selectorIfNS0_10empty_typeEEEZZNS1_27merge_sort_block_merge_implIS3_PfPS5_jNS1_19radix_merge_compareILb1ELb0EfNS0_19identity_decomposerEEEEE10hipError_tT0_T1_T2_jT3_P12ihipStream_tbPNSt15iterator_traitsISE_E10value_typeEPNSK_ISF_E10value_typeEPSG_NS1_7vsmem_tEENKUlT_SE_SF_SG_E_clIS8_S8_S9_S9_EESD_ST_SE_SF_SG_EUlST_E1_NS1_11comp_targetILNS1_3genE0ELNS1_11target_archE4294967295ELNS1_3gpuE0ELNS1_3repE0EEENS1_36merge_oddeven_config_static_selectorELNS0_4arch9wavefront6targetE0EEEvSF_
		.amdhsa_group_segment_fixed_size 0
		.amdhsa_private_segment_fixed_size 0
		.amdhsa_kernarg_size 48
		.amdhsa_user_sgpr_count 2
		.amdhsa_user_sgpr_dispatch_ptr 0
		.amdhsa_user_sgpr_queue_ptr 0
		.amdhsa_user_sgpr_kernarg_segment_ptr 1
		.amdhsa_user_sgpr_dispatch_id 0
		.amdhsa_user_sgpr_kernarg_preload_length 0
		.amdhsa_user_sgpr_kernarg_preload_offset 0
		.amdhsa_user_sgpr_private_segment_size 0
		.amdhsa_wavefront_size32 1
		.amdhsa_uses_dynamic_stack 0
		.amdhsa_enable_private_segment 0
		.amdhsa_system_sgpr_workgroup_id_x 1
		.amdhsa_system_sgpr_workgroup_id_y 0
		.amdhsa_system_sgpr_workgroup_id_z 0
		.amdhsa_system_sgpr_workgroup_info 0
		.amdhsa_system_vgpr_workitem_id 0
		.amdhsa_next_free_vgpr 8
		.amdhsa_next_free_sgpr 16
		.amdhsa_named_barrier_count 0
		.amdhsa_reserve_vcc 1
		.amdhsa_float_round_mode_32 0
		.amdhsa_float_round_mode_16_64 0
		.amdhsa_float_denorm_mode_32 3
		.amdhsa_float_denorm_mode_16_64 3
		.amdhsa_fp16_overflow 0
		.amdhsa_memory_ordered 1
		.amdhsa_forward_progress 1
		.amdhsa_inst_pref_size 6
		.amdhsa_round_robin_scheduling 0
		.amdhsa_exception_fp_ieee_invalid_op 0
		.amdhsa_exception_fp_denorm_src 0
		.amdhsa_exception_fp_ieee_div_zero 0
		.amdhsa_exception_fp_ieee_overflow 0
		.amdhsa_exception_fp_ieee_underflow 0
		.amdhsa_exception_fp_ieee_inexact 0
		.amdhsa_exception_int_div_zero 0
	.end_amdhsa_kernel
	.section	.text._ZN7rocprim17ROCPRIM_400000_NS6detail17trampoline_kernelINS0_14default_configENS1_38merge_sort_block_merge_config_selectorIfNS0_10empty_typeEEEZZNS1_27merge_sort_block_merge_implIS3_PfPS5_jNS1_19radix_merge_compareILb1ELb0EfNS0_19identity_decomposerEEEEE10hipError_tT0_T1_T2_jT3_P12ihipStream_tbPNSt15iterator_traitsISE_E10value_typeEPNSK_ISF_E10value_typeEPSG_NS1_7vsmem_tEENKUlT_SE_SF_SG_E_clIS8_S8_S9_S9_EESD_ST_SE_SF_SG_EUlST_E1_NS1_11comp_targetILNS1_3genE0ELNS1_11target_archE4294967295ELNS1_3gpuE0ELNS1_3repE0EEENS1_36merge_oddeven_config_static_selectorELNS0_4arch9wavefront6targetE0EEEvSF_,"axG",@progbits,_ZN7rocprim17ROCPRIM_400000_NS6detail17trampoline_kernelINS0_14default_configENS1_38merge_sort_block_merge_config_selectorIfNS0_10empty_typeEEEZZNS1_27merge_sort_block_merge_implIS3_PfPS5_jNS1_19radix_merge_compareILb1ELb0EfNS0_19identity_decomposerEEEEE10hipError_tT0_T1_T2_jT3_P12ihipStream_tbPNSt15iterator_traitsISE_E10value_typeEPNSK_ISF_E10value_typeEPSG_NS1_7vsmem_tEENKUlT_SE_SF_SG_E_clIS8_S8_S9_S9_EESD_ST_SE_SF_SG_EUlST_E1_NS1_11comp_targetILNS1_3genE0ELNS1_11target_archE4294967295ELNS1_3gpuE0ELNS1_3repE0EEENS1_36merge_oddeven_config_static_selectorELNS0_4arch9wavefront6targetE0EEEvSF_,comdat
.Lfunc_end1277:
	.size	_ZN7rocprim17ROCPRIM_400000_NS6detail17trampoline_kernelINS0_14default_configENS1_38merge_sort_block_merge_config_selectorIfNS0_10empty_typeEEEZZNS1_27merge_sort_block_merge_implIS3_PfPS5_jNS1_19radix_merge_compareILb1ELb0EfNS0_19identity_decomposerEEEEE10hipError_tT0_T1_T2_jT3_P12ihipStream_tbPNSt15iterator_traitsISE_E10value_typeEPNSK_ISF_E10value_typeEPSG_NS1_7vsmem_tEENKUlT_SE_SF_SG_E_clIS8_S8_S9_S9_EESD_ST_SE_SF_SG_EUlST_E1_NS1_11comp_targetILNS1_3genE0ELNS1_11target_archE4294967295ELNS1_3gpuE0ELNS1_3repE0EEENS1_36merge_oddeven_config_static_selectorELNS0_4arch9wavefront6targetE0EEEvSF_, .Lfunc_end1277-_ZN7rocprim17ROCPRIM_400000_NS6detail17trampoline_kernelINS0_14default_configENS1_38merge_sort_block_merge_config_selectorIfNS0_10empty_typeEEEZZNS1_27merge_sort_block_merge_implIS3_PfPS5_jNS1_19radix_merge_compareILb1ELb0EfNS0_19identity_decomposerEEEEE10hipError_tT0_T1_T2_jT3_P12ihipStream_tbPNSt15iterator_traitsISE_E10value_typeEPNSK_ISF_E10value_typeEPSG_NS1_7vsmem_tEENKUlT_SE_SF_SG_E_clIS8_S8_S9_S9_EESD_ST_SE_SF_SG_EUlST_E1_NS1_11comp_targetILNS1_3genE0ELNS1_11target_archE4294967295ELNS1_3gpuE0ELNS1_3repE0EEENS1_36merge_oddeven_config_static_selectorELNS0_4arch9wavefront6targetE0EEEvSF_
                                        ; -- End function
	.set _ZN7rocprim17ROCPRIM_400000_NS6detail17trampoline_kernelINS0_14default_configENS1_38merge_sort_block_merge_config_selectorIfNS0_10empty_typeEEEZZNS1_27merge_sort_block_merge_implIS3_PfPS5_jNS1_19radix_merge_compareILb1ELb0EfNS0_19identity_decomposerEEEEE10hipError_tT0_T1_T2_jT3_P12ihipStream_tbPNSt15iterator_traitsISE_E10value_typeEPNSK_ISF_E10value_typeEPSG_NS1_7vsmem_tEENKUlT_SE_SF_SG_E_clIS8_S8_S9_S9_EESD_ST_SE_SF_SG_EUlST_E1_NS1_11comp_targetILNS1_3genE0ELNS1_11target_archE4294967295ELNS1_3gpuE0ELNS1_3repE0EEENS1_36merge_oddeven_config_static_selectorELNS0_4arch9wavefront6targetE0EEEvSF_.num_vgpr, 8
	.set _ZN7rocprim17ROCPRIM_400000_NS6detail17trampoline_kernelINS0_14default_configENS1_38merge_sort_block_merge_config_selectorIfNS0_10empty_typeEEEZZNS1_27merge_sort_block_merge_implIS3_PfPS5_jNS1_19radix_merge_compareILb1ELb0EfNS0_19identity_decomposerEEEEE10hipError_tT0_T1_T2_jT3_P12ihipStream_tbPNSt15iterator_traitsISE_E10value_typeEPNSK_ISF_E10value_typeEPSG_NS1_7vsmem_tEENKUlT_SE_SF_SG_E_clIS8_S8_S9_S9_EESD_ST_SE_SF_SG_EUlST_E1_NS1_11comp_targetILNS1_3genE0ELNS1_11target_archE4294967295ELNS1_3gpuE0ELNS1_3repE0EEENS1_36merge_oddeven_config_static_selectorELNS0_4arch9wavefront6targetE0EEEvSF_.num_agpr, 0
	.set _ZN7rocprim17ROCPRIM_400000_NS6detail17trampoline_kernelINS0_14default_configENS1_38merge_sort_block_merge_config_selectorIfNS0_10empty_typeEEEZZNS1_27merge_sort_block_merge_implIS3_PfPS5_jNS1_19radix_merge_compareILb1ELb0EfNS0_19identity_decomposerEEEEE10hipError_tT0_T1_T2_jT3_P12ihipStream_tbPNSt15iterator_traitsISE_E10value_typeEPNSK_ISF_E10value_typeEPSG_NS1_7vsmem_tEENKUlT_SE_SF_SG_E_clIS8_S8_S9_S9_EESD_ST_SE_SF_SG_EUlST_E1_NS1_11comp_targetILNS1_3genE0ELNS1_11target_archE4294967295ELNS1_3gpuE0ELNS1_3repE0EEENS1_36merge_oddeven_config_static_selectorELNS0_4arch9wavefront6targetE0EEEvSF_.numbered_sgpr, 16
	.set _ZN7rocprim17ROCPRIM_400000_NS6detail17trampoline_kernelINS0_14default_configENS1_38merge_sort_block_merge_config_selectorIfNS0_10empty_typeEEEZZNS1_27merge_sort_block_merge_implIS3_PfPS5_jNS1_19radix_merge_compareILb1ELb0EfNS0_19identity_decomposerEEEEE10hipError_tT0_T1_T2_jT3_P12ihipStream_tbPNSt15iterator_traitsISE_E10value_typeEPNSK_ISF_E10value_typeEPSG_NS1_7vsmem_tEENKUlT_SE_SF_SG_E_clIS8_S8_S9_S9_EESD_ST_SE_SF_SG_EUlST_E1_NS1_11comp_targetILNS1_3genE0ELNS1_11target_archE4294967295ELNS1_3gpuE0ELNS1_3repE0EEENS1_36merge_oddeven_config_static_selectorELNS0_4arch9wavefront6targetE0EEEvSF_.num_named_barrier, 0
	.set _ZN7rocprim17ROCPRIM_400000_NS6detail17trampoline_kernelINS0_14default_configENS1_38merge_sort_block_merge_config_selectorIfNS0_10empty_typeEEEZZNS1_27merge_sort_block_merge_implIS3_PfPS5_jNS1_19radix_merge_compareILb1ELb0EfNS0_19identity_decomposerEEEEE10hipError_tT0_T1_T2_jT3_P12ihipStream_tbPNSt15iterator_traitsISE_E10value_typeEPNSK_ISF_E10value_typeEPSG_NS1_7vsmem_tEENKUlT_SE_SF_SG_E_clIS8_S8_S9_S9_EESD_ST_SE_SF_SG_EUlST_E1_NS1_11comp_targetILNS1_3genE0ELNS1_11target_archE4294967295ELNS1_3gpuE0ELNS1_3repE0EEENS1_36merge_oddeven_config_static_selectorELNS0_4arch9wavefront6targetE0EEEvSF_.private_seg_size, 0
	.set _ZN7rocprim17ROCPRIM_400000_NS6detail17trampoline_kernelINS0_14default_configENS1_38merge_sort_block_merge_config_selectorIfNS0_10empty_typeEEEZZNS1_27merge_sort_block_merge_implIS3_PfPS5_jNS1_19radix_merge_compareILb1ELb0EfNS0_19identity_decomposerEEEEE10hipError_tT0_T1_T2_jT3_P12ihipStream_tbPNSt15iterator_traitsISE_E10value_typeEPNSK_ISF_E10value_typeEPSG_NS1_7vsmem_tEENKUlT_SE_SF_SG_E_clIS8_S8_S9_S9_EESD_ST_SE_SF_SG_EUlST_E1_NS1_11comp_targetILNS1_3genE0ELNS1_11target_archE4294967295ELNS1_3gpuE0ELNS1_3repE0EEENS1_36merge_oddeven_config_static_selectorELNS0_4arch9wavefront6targetE0EEEvSF_.uses_vcc, 1
	.set _ZN7rocprim17ROCPRIM_400000_NS6detail17trampoline_kernelINS0_14default_configENS1_38merge_sort_block_merge_config_selectorIfNS0_10empty_typeEEEZZNS1_27merge_sort_block_merge_implIS3_PfPS5_jNS1_19radix_merge_compareILb1ELb0EfNS0_19identity_decomposerEEEEE10hipError_tT0_T1_T2_jT3_P12ihipStream_tbPNSt15iterator_traitsISE_E10value_typeEPNSK_ISF_E10value_typeEPSG_NS1_7vsmem_tEENKUlT_SE_SF_SG_E_clIS8_S8_S9_S9_EESD_ST_SE_SF_SG_EUlST_E1_NS1_11comp_targetILNS1_3genE0ELNS1_11target_archE4294967295ELNS1_3gpuE0ELNS1_3repE0EEENS1_36merge_oddeven_config_static_selectorELNS0_4arch9wavefront6targetE0EEEvSF_.uses_flat_scratch, 0
	.set _ZN7rocprim17ROCPRIM_400000_NS6detail17trampoline_kernelINS0_14default_configENS1_38merge_sort_block_merge_config_selectorIfNS0_10empty_typeEEEZZNS1_27merge_sort_block_merge_implIS3_PfPS5_jNS1_19radix_merge_compareILb1ELb0EfNS0_19identity_decomposerEEEEE10hipError_tT0_T1_T2_jT3_P12ihipStream_tbPNSt15iterator_traitsISE_E10value_typeEPNSK_ISF_E10value_typeEPSG_NS1_7vsmem_tEENKUlT_SE_SF_SG_E_clIS8_S8_S9_S9_EESD_ST_SE_SF_SG_EUlST_E1_NS1_11comp_targetILNS1_3genE0ELNS1_11target_archE4294967295ELNS1_3gpuE0ELNS1_3repE0EEENS1_36merge_oddeven_config_static_selectorELNS0_4arch9wavefront6targetE0EEEvSF_.has_dyn_sized_stack, 0
	.set _ZN7rocprim17ROCPRIM_400000_NS6detail17trampoline_kernelINS0_14default_configENS1_38merge_sort_block_merge_config_selectorIfNS0_10empty_typeEEEZZNS1_27merge_sort_block_merge_implIS3_PfPS5_jNS1_19radix_merge_compareILb1ELb0EfNS0_19identity_decomposerEEEEE10hipError_tT0_T1_T2_jT3_P12ihipStream_tbPNSt15iterator_traitsISE_E10value_typeEPNSK_ISF_E10value_typeEPSG_NS1_7vsmem_tEENKUlT_SE_SF_SG_E_clIS8_S8_S9_S9_EESD_ST_SE_SF_SG_EUlST_E1_NS1_11comp_targetILNS1_3genE0ELNS1_11target_archE4294967295ELNS1_3gpuE0ELNS1_3repE0EEENS1_36merge_oddeven_config_static_selectorELNS0_4arch9wavefront6targetE0EEEvSF_.has_recursion, 0
	.set _ZN7rocprim17ROCPRIM_400000_NS6detail17trampoline_kernelINS0_14default_configENS1_38merge_sort_block_merge_config_selectorIfNS0_10empty_typeEEEZZNS1_27merge_sort_block_merge_implIS3_PfPS5_jNS1_19radix_merge_compareILb1ELb0EfNS0_19identity_decomposerEEEEE10hipError_tT0_T1_T2_jT3_P12ihipStream_tbPNSt15iterator_traitsISE_E10value_typeEPNSK_ISF_E10value_typeEPSG_NS1_7vsmem_tEENKUlT_SE_SF_SG_E_clIS8_S8_S9_S9_EESD_ST_SE_SF_SG_EUlST_E1_NS1_11comp_targetILNS1_3genE0ELNS1_11target_archE4294967295ELNS1_3gpuE0ELNS1_3repE0EEENS1_36merge_oddeven_config_static_selectorELNS0_4arch9wavefront6targetE0EEEvSF_.has_indirect_call, 0
	.section	.AMDGPU.csdata,"",@progbits
; Kernel info:
; codeLenInByte = 724
; TotalNumSgprs: 18
; NumVgprs: 8
; ScratchSize: 0
; MemoryBound: 0
; FloatMode: 240
; IeeeMode: 1
; LDSByteSize: 0 bytes/workgroup (compile time only)
; SGPRBlocks: 0
; VGPRBlocks: 0
; NumSGPRsForWavesPerEU: 18
; NumVGPRsForWavesPerEU: 8
; NamedBarCnt: 0
; Occupancy: 16
; WaveLimiterHint : 0
; COMPUTE_PGM_RSRC2:SCRATCH_EN: 0
; COMPUTE_PGM_RSRC2:USER_SGPR: 2
; COMPUTE_PGM_RSRC2:TRAP_HANDLER: 0
; COMPUTE_PGM_RSRC2:TGID_X_EN: 1
; COMPUTE_PGM_RSRC2:TGID_Y_EN: 0
; COMPUTE_PGM_RSRC2:TGID_Z_EN: 0
; COMPUTE_PGM_RSRC2:TIDIG_COMP_CNT: 0
	.section	.text._ZN7rocprim17ROCPRIM_400000_NS6detail17trampoline_kernelINS0_14default_configENS1_38merge_sort_block_merge_config_selectorIfNS0_10empty_typeEEEZZNS1_27merge_sort_block_merge_implIS3_PfPS5_jNS1_19radix_merge_compareILb1ELb0EfNS0_19identity_decomposerEEEEE10hipError_tT0_T1_T2_jT3_P12ihipStream_tbPNSt15iterator_traitsISE_E10value_typeEPNSK_ISF_E10value_typeEPSG_NS1_7vsmem_tEENKUlT_SE_SF_SG_E_clIS8_S8_S9_S9_EESD_ST_SE_SF_SG_EUlST_E1_NS1_11comp_targetILNS1_3genE10ELNS1_11target_archE1201ELNS1_3gpuE5ELNS1_3repE0EEENS1_36merge_oddeven_config_static_selectorELNS0_4arch9wavefront6targetE0EEEvSF_,"axG",@progbits,_ZN7rocprim17ROCPRIM_400000_NS6detail17trampoline_kernelINS0_14default_configENS1_38merge_sort_block_merge_config_selectorIfNS0_10empty_typeEEEZZNS1_27merge_sort_block_merge_implIS3_PfPS5_jNS1_19radix_merge_compareILb1ELb0EfNS0_19identity_decomposerEEEEE10hipError_tT0_T1_T2_jT3_P12ihipStream_tbPNSt15iterator_traitsISE_E10value_typeEPNSK_ISF_E10value_typeEPSG_NS1_7vsmem_tEENKUlT_SE_SF_SG_E_clIS8_S8_S9_S9_EESD_ST_SE_SF_SG_EUlST_E1_NS1_11comp_targetILNS1_3genE10ELNS1_11target_archE1201ELNS1_3gpuE5ELNS1_3repE0EEENS1_36merge_oddeven_config_static_selectorELNS0_4arch9wavefront6targetE0EEEvSF_,comdat
	.protected	_ZN7rocprim17ROCPRIM_400000_NS6detail17trampoline_kernelINS0_14default_configENS1_38merge_sort_block_merge_config_selectorIfNS0_10empty_typeEEEZZNS1_27merge_sort_block_merge_implIS3_PfPS5_jNS1_19radix_merge_compareILb1ELb0EfNS0_19identity_decomposerEEEEE10hipError_tT0_T1_T2_jT3_P12ihipStream_tbPNSt15iterator_traitsISE_E10value_typeEPNSK_ISF_E10value_typeEPSG_NS1_7vsmem_tEENKUlT_SE_SF_SG_E_clIS8_S8_S9_S9_EESD_ST_SE_SF_SG_EUlST_E1_NS1_11comp_targetILNS1_3genE10ELNS1_11target_archE1201ELNS1_3gpuE5ELNS1_3repE0EEENS1_36merge_oddeven_config_static_selectorELNS0_4arch9wavefront6targetE0EEEvSF_ ; -- Begin function _ZN7rocprim17ROCPRIM_400000_NS6detail17trampoline_kernelINS0_14default_configENS1_38merge_sort_block_merge_config_selectorIfNS0_10empty_typeEEEZZNS1_27merge_sort_block_merge_implIS3_PfPS5_jNS1_19radix_merge_compareILb1ELb0EfNS0_19identity_decomposerEEEEE10hipError_tT0_T1_T2_jT3_P12ihipStream_tbPNSt15iterator_traitsISE_E10value_typeEPNSK_ISF_E10value_typeEPSG_NS1_7vsmem_tEENKUlT_SE_SF_SG_E_clIS8_S8_S9_S9_EESD_ST_SE_SF_SG_EUlST_E1_NS1_11comp_targetILNS1_3genE10ELNS1_11target_archE1201ELNS1_3gpuE5ELNS1_3repE0EEENS1_36merge_oddeven_config_static_selectorELNS0_4arch9wavefront6targetE0EEEvSF_
	.globl	_ZN7rocprim17ROCPRIM_400000_NS6detail17trampoline_kernelINS0_14default_configENS1_38merge_sort_block_merge_config_selectorIfNS0_10empty_typeEEEZZNS1_27merge_sort_block_merge_implIS3_PfPS5_jNS1_19radix_merge_compareILb1ELb0EfNS0_19identity_decomposerEEEEE10hipError_tT0_T1_T2_jT3_P12ihipStream_tbPNSt15iterator_traitsISE_E10value_typeEPNSK_ISF_E10value_typeEPSG_NS1_7vsmem_tEENKUlT_SE_SF_SG_E_clIS8_S8_S9_S9_EESD_ST_SE_SF_SG_EUlST_E1_NS1_11comp_targetILNS1_3genE10ELNS1_11target_archE1201ELNS1_3gpuE5ELNS1_3repE0EEENS1_36merge_oddeven_config_static_selectorELNS0_4arch9wavefront6targetE0EEEvSF_
	.p2align	8
	.type	_ZN7rocprim17ROCPRIM_400000_NS6detail17trampoline_kernelINS0_14default_configENS1_38merge_sort_block_merge_config_selectorIfNS0_10empty_typeEEEZZNS1_27merge_sort_block_merge_implIS3_PfPS5_jNS1_19radix_merge_compareILb1ELb0EfNS0_19identity_decomposerEEEEE10hipError_tT0_T1_T2_jT3_P12ihipStream_tbPNSt15iterator_traitsISE_E10value_typeEPNSK_ISF_E10value_typeEPSG_NS1_7vsmem_tEENKUlT_SE_SF_SG_E_clIS8_S8_S9_S9_EESD_ST_SE_SF_SG_EUlST_E1_NS1_11comp_targetILNS1_3genE10ELNS1_11target_archE1201ELNS1_3gpuE5ELNS1_3repE0EEENS1_36merge_oddeven_config_static_selectorELNS0_4arch9wavefront6targetE0EEEvSF_,@function
_ZN7rocprim17ROCPRIM_400000_NS6detail17trampoline_kernelINS0_14default_configENS1_38merge_sort_block_merge_config_selectorIfNS0_10empty_typeEEEZZNS1_27merge_sort_block_merge_implIS3_PfPS5_jNS1_19radix_merge_compareILb1ELb0EfNS0_19identity_decomposerEEEEE10hipError_tT0_T1_T2_jT3_P12ihipStream_tbPNSt15iterator_traitsISE_E10value_typeEPNSK_ISF_E10value_typeEPSG_NS1_7vsmem_tEENKUlT_SE_SF_SG_E_clIS8_S8_S9_S9_EESD_ST_SE_SF_SG_EUlST_E1_NS1_11comp_targetILNS1_3genE10ELNS1_11target_archE1201ELNS1_3gpuE5ELNS1_3repE0EEENS1_36merge_oddeven_config_static_selectorELNS0_4arch9wavefront6targetE0EEEvSF_: ; @_ZN7rocprim17ROCPRIM_400000_NS6detail17trampoline_kernelINS0_14default_configENS1_38merge_sort_block_merge_config_selectorIfNS0_10empty_typeEEEZZNS1_27merge_sort_block_merge_implIS3_PfPS5_jNS1_19radix_merge_compareILb1ELb0EfNS0_19identity_decomposerEEEEE10hipError_tT0_T1_T2_jT3_P12ihipStream_tbPNSt15iterator_traitsISE_E10value_typeEPNSK_ISF_E10value_typeEPSG_NS1_7vsmem_tEENKUlT_SE_SF_SG_E_clIS8_S8_S9_S9_EESD_ST_SE_SF_SG_EUlST_E1_NS1_11comp_targetILNS1_3genE10ELNS1_11target_archE1201ELNS1_3gpuE5ELNS1_3repE0EEENS1_36merge_oddeven_config_static_selectorELNS0_4arch9wavefront6targetE0EEEvSF_
; %bb.0:
	.section	.rodata,"a",@progbits
	.p2align	6, 0x0
	.amdhsa_kernel _ZN7rocprim17ROCPRIM_400000_NS6detail17trampoline_kernelINS0_14default_configENS1_38merge_sort_block_merge_config_selectorIfNS0_10empty_typeEEEZZNS1_27merge_sort_block_merge_implIS3_PfPS5_jNS1_19radix_merge_compareILb1ELb0EfNS0_19identity_decomposerEEEEE10hipError_tT0_T1_T2_jT3_P12ihipStream_tbPNSt15iterator_traitsISE_E10value_typeEPNSK_ISF_E10value_typeEPSG_NS1_7vsmem_tEENKUlT_SE_SF_SG_E_clIS8_S8_S9_S9_EESD_ST_SE_SF_SG_EUlST_E1_NS1_11comp_targetILNS1_3genE10ELNS1_11target_archE1201ELNS1_3gpuE5ELNS1_3repE0EEENS1_36merge_oddeven_config_static_selectorELNS0_4arch9wavefront6targetE0EEEvSF_
		.amdhsa_group_segment_fixed_size 0
		.amdhsa_private_segment_fixed_size 0
		.amdhsa_kernarg_size 48
		.amdhsa_user_sgpr_count 2
		.amdhsa_user_sgpr_dispatch_ptr 0
		.amdhsa_user_sgpr_queue_ptr 0
		.amdhsa_user_sgpr_kernarg_segment_ptr 1
		.amdhsa_user_sgpr_dispatch_id 0
		.amdhsa_user_sgpr_kernarg_preload_length 0
		.amdhsa_user_sgpr_kernarg_preload_offset 0
		.amdhsa_user_sgpr_private_segment_size 0
		.amdhsa_wavefront_size32 1
		.amdhsa_uses_dynamic_stack 0
		.amdhsa_enable_private_segment 0
		.amdhsa_system_sgpr_workgroup_id_x 1
		.amdhsa_system_sgpr_workgroup_id_y 0
		.amdhsa_system_sgpr_workgroup_id_z 0
		.amdhsa_system_sgpr_workgroup_info 0
		.amdhsa_system_vgpr_workitem_id 0
		.amdhsa_next_free_vgpr 1
		.amdhsa_next_free_sgpr 1
		.amdhsa_named_barrier_count 0
		.amdhsa_reserve_vcc 0
		.amdhsa_float_round_mode_32 0
		.amdhsa_float_round_mode_16_64 0
		.amdhsa_float_denorm_mode_32 3
		.amdhsa_float_denorm_mode_16_64 3
		.amdhsa_fp16_overflow 0
		.amdhsa_memory_ordered 1
		.amdhsa_forward_progress 1
		.amdhsa_inst_pref_size 0
		.amdhsa_round_robin_scheduling 0
		.amdhsa_exception_fp_ieee_invalid_op 0
		.amdhsa_exception_fp_denorm_src 0
		.amdhsa_exception_fp_ieee_div_zero 0
		.amdhsa_exception_fp_ieee_overflow 0
		.amdhsa_exception_fp_ieee_underflow 0
		.amdhsa_exception_fp_ieee_inexact 0
		.amdhsa_exception_int_div_zero 0
	.end_amdhsa_kernel
	.section	.text._ZN7rocprim17ROCPRIM_400000_NS6detail17trampoline_kernelINS0_14default_configENS1_38merge_sort_block_merge_config_selectorIfNS0_10empty_typeEEEZZNS1_27merge_sort_block_merge_implIS3_PfPS5_jNS1_19radix_merge_compareILb1ELb0EfNS0_19identity_decomposerEEEEE10hipError_tT0_T1_T2_jT3_P12ihipStream_tbPNSt15iterator_traitsISE_E10value_typeEPNSK_ISF_E10value_typeEPSG_NS1_7vsmem_tEENKUlT_SE_SF_SG_E_clIS8_S8_S9_S9_EESD_ST_SE_SF_SG_EUlST_E1_NS1_11comp_targetILNS1_3genE10ELNS1_11target_archE1201ELNS1_3gpuE5ELNS1_3repE0EEENS1_36merge_oddeven_config_static_selectorELNS0_4arch9wavefront6targetE0EEEvSF_,"axG",@progbits,_ZN7rocprim17ROCPRIM_400000_NS6detail17trampoline_kernelINS0_14default_configENS1_38merge_sort_block_merge_config_selectorIfNS0_10empty_typeEEEZZNS1_27merge_sort_block_merge_implIS3_PfPS5_jNS1_19radix_merge_compareILb1ELb0EfNS0_19identity_decomposerEEEEE10hipError_tT0_T1_T2_jT3_P12ihipStream_tbPNSt15iterator_traitsISE_E10value_typeEPNSK_ISF_E10value_typeEPSG_NS1_7vsmem_tEENKUlT_SE_SF_SG_E_clIS8_S8_S9_S9_EESD_ST_SE_SF_SG_EUlST_E1_NS1_11comp_targetILNS1_3genE10ELNS1_11target_archE1201ELNS1_3gpuE5ELNS1_3repE0EEENS1_36merge_oddeven_config_static_selectorELNS0_4arch9wavefront6targetE0EEEvSF_,comdat
.Lfunc_end1278:
	.size	_ZN7rocprim17ROCPRIM_400000_NS6detail17trampoline_kernelINS0_14default_configENS1_38merge_sort_block_merge_config_selectorIfNS0_10empty_typeEEEZZNS1_27merge_sort_block_merge_implIS3_PfPS5_jNS1_19radix_merge_compareILb1ELb0EfNS0_19identity_decomposerEEEEE10hipError_tT0_T1_T2_jT3_P12ihipStream_tbPNSt15iterator_traitsISE_E10value_typeEPNSK_ISF_E10value_typeEPSG_NS1_7vsmem_tEENKUlT_SE_SF_SG_E_clIS8_S8_S9_S9_EESD_ST_SE_SF_SG_EUlST_E1_NS1_11comp_targetILNS1_3genE10ELNS1_11target_archE1201ELNS1_3gpuE5ELNS1_3repE0EEENS1_36merge_oddeven_config_static_selectorELNS0_4arch9wavefront6targetE0EEEvSF_, .Lfunc_end1278-_ZN7rocprim17ROCPRIM_400000_NS6detail17trampoline_kernelINS0_14default_configENS1_38merge_sort_block_merge_config_selectorIfNS0_10empty_typeEEEZZNS1_27merge_sort_block_merge_implIS3_PfPS5_jNS1_19radix_merge_compareILb1ELb0EfNS0_19identity_decomposerEEEEE10hipError_tT0_T1_T2_jT3_P12ihipStream_tbPNSt15iterator_traitsISE_E10value_typeEPNSK_ISF_E10value_typeEPSG_NS1_7vsmem_tEENKUlT_SE_SF_SG_E_clIS8_S8_S9_S9_EESD_ST_SE_SF_SG_EUlST_E1_NS1_11comp_targetILNS1_3genE10ELNS1_11target_archE1201ELNS1_3gpuE5ELNS1_3repE0EEENS1_36merge_oddeven_config_static_selectorELNS0_4arch9wavefront6targetE0EEEvSF_
                                        ; -- End function
	.set _ZN7rocprim17ROCPRIM_400000_NS6detail17trampoline_kernelINS0_14default_configENS1_38merge_sort_block_merge_config_selectorIfNS0_10empty_typeEEEZZNS1_27merge_sort_block_merge_implIS3_PfPS5_jNS1_19radix_merge_compareILb1ELb0EfNS0_19identity_decomposerEEEEE10hipError_tT0_T1_T2_jT3_P12ihipStream_tbPNSt15iterator_traitsISE_E10value_typeEPNSK_ISF_E10value_typeEPSG_NS1_7vsmem_tEENKUlT_SE_SF_SG_E_clIS8_S8_S9_S9_EESD_ST_SE_SF_SG_EUlST_E1_NS1_11comp_targetILNS1_3genE10ELNS1_11target_archE1201ELNS1_3gpuE5ELNS1_3repE0EEENS1_36merge_oddeven_config_static_selectorELNS0_4arch9wavefront6targetE0EEEvSF_.num_vgpr, 0
	.set _ZN7rocprim17ROCPRIM_400000_NS6detail17trampoline_kernelINS0_14default_configENS1_38merge_sort_block_merge_config_selectorIfNS0_10empty_typeEEEZZNS1_27merge_sort_block_merge_implIS3_PfPS5_jNS1_19radix_merge_compareILb1ELb0EfNS0_19identity_decomposerEEEEE10hipError_tT0_T1_T2_jT3_P12ihipStream_tbPNSt15iterator_traitsISE_E10value_typeEPNSK_ISF_E10value_typeEPSG_NS1_7vsmem_tEENKUlT_SE_SF_SG_E_clIS8_S8_S9_S9_EESD_ST_SE_SF_SG_EUlST_E1_NS1_11comp_targetILNS1_3genE10ELNS1_11target_archE1201ELNS1_3gpuE5ELNS1_3repE0EEENS1_36merge_oddeven_config_static_selectorELNS0_4arch9wavefront6targetE0EEEvSF_.num_agpr, 0
	.set _ZN7rocprim17ROCPRIM_400000_NS6detail17trampoline_kernelINS0_14default_configENS1_38merge_sort_block_merge_config_selectorIfNS0_10empty_typeEEEZZNS1_27merge_sort_block_merge_implIS3_PfPS5_jNS1_19radix_merge_compareILb1ELb0EfNS0_19identity_decomposerEEEEE10hipError_tT0_T1_T2_jT3_P12ihipStream_tbPNSt15iterator_traitsISE_E10value_typeEPNSK_ISF_E10value_typeEPSG_NS1_7vsmem_tEENKUlT_SE_SF_SG_E_clIS8_S8_S9_S9_EESD_ST_SE_SF_SG_EUlST_E1_NS1_11comp_targetILNS1_3genE10ELNS1_11target_archE1201ELNS1_3gpuE5ELNS1_3repE0EEENS1_36merge_oddeven_config_static_selectorELNS0_4arch9wavefront6targetE0EEEvSF_.numbered_sgpr, 0
	.set _ZN7rocprim17ROCPRIM_400000_NS6detail17trampoline_kernelINS0_14default_configENS1_38merge_sort_block_merge_config_selectorIfNS0_10empty_typeEEEZZNS1_27merge_sort_block_merge_implIS3_PfPS5_jNS1_19radix_merge_compareILb1ELb0EfNS0_19identity_decomposerEEEEE10hipError_tT0_T1_T2_jT3_P12ihipStream_tbPNSt15iterator_traitsISE_E10value_typeEPNSK_ISF_E10value_typeEPSG_NS1_7vsmem_tEENKUlT_SE_SF_SG_E_clIS8_S8_S9_S9_EESD_ST_SE_SF_SG_EUlST_E1_NS1_11comp_targetILNS1_3genE10ELNS1_11target_archE1201ELNS1_3gpuE5ELNS1_3repE0EEENS1_36merge_oddeven_config_static_selectorELNS0_4arch9wavefront6targetE0EEEvSF_.num_named_barrier, 0
	.set _ZN7rocprim17ROCPRIM_400000_NS6detail17trampoline_kernelINS0_14default_configENS1_38merge_sort_block_merge_config_selectorIfNS0_10empty_typeEEEZZNS1_27merge_sort_block_merge_implIS3_PfPS5_jNS1_19radix_merge_compareILb1ELb0EfNS0_19identity_decomposerEEEEE10hipError_tT0_T1_T2_jT3_P12ihipStream_tbPNSt15iterator_traitsISE_E10value_typeEPNSK_ISF_E10value_typeEPSG_NS1_7vsmem_tEENKUlT_SE_SF_SG_E_clIS8_S8_S9_S9_EESD_ST_SE_SF_SG_EUlST_E1_NS1_11comp_targetILNS1_3genE10ELNS1_11target_archE1201ELNS1_3gpuE5ELNS1_3repE0EEENS1_36merge_oddeven_config_static_selectorELNS0_4arch9wavefront6targetE0EEEvSF_.private_seg_size, 0
	.set _ZN7rocprim17ROCPRIM_400000_NS6detail17trampoline_kernelINS0_14default_configENS1_38merge_sort_block_merge_config_selectorIfNS0_10empty_typeEEEZZNS1_27merge_sort_block_merge_implIS3_PfPS5_jNS1_19radix_merge_compareILb1ELb0EfNS0_19identity_decomposerEEEEE10hipError_tT0_T1_T2_jT3_P12ihipStream_tbPNSt15iterator_traitsISE_E10value_typeEPNSK_ISF_E10value_typeEPSG_NS1_7vsmem_tEENKUlT_SE_SF_SG_E_clIS8_S8_S9_S9_EESD_ST_SE_SF_SG_EUlST_E1_NS1_11comp_targetILNS1_3genE10ELNS1_11target_archE1201ELNS1_3gpuE5ELNS1_3repE0EEENS1_36merge_oddeven_config_static_selectorELNS0_4arch9wavefront6targetE0EEEvSF_.uses_vcc, 0
	.set _ZN7rocprim17ROCPRIM_400000_NS6detail17trampoline_kernelINS0_14default_configENS1_38merge_sort_block_merge_config_selectorIfNS0_10empty_typeEEEZZNS1_27merge_sort_block_merge_implIS3_PfPS5_jNS1_19radix_merge_compareILb1ELb0EfNS0_19identity_decomposerEEEEE10hipError_tT0_T1_T2_jT3_P12ihipStream_tbPNSt15iterator_traitsISE_E10value_typeEPNSK_ISF_E10value_typeEPSG_NS1_7vsmem_tEENKUlT_SE_SF_SG_E_clIS8_S8_S9_S9_EESD_ST_SE_SF_SG_EUlST_E1_NS1_11comp_targetILNS1_3genE10ELNS1_11target_archE1201ELNS1_3gpuE5ELNS1_3repE0EEENS1_36merge_oddeven_config_static_selectorELNS0_4arch9wavefront6targetE0EEEvSF_.uses_flat_scratch, 0
	.set _ZN7rocprim17ROCPRIM_400000_NS6detail17trampoline_kernelINS0_14default_configENS1_38merge_sort_block_merge_config_selectorIfNS0_10empty_typeEEEZZNS1_27merge_sort_block_merge_implIS3_PfPS5_jNS1_19radix_merge_compareILb1ELb0EfNS0_19identity_decomposerEEEEE10hipError_tT0_T1_T2_jT3_P12ihipStream_tbPNSt15iterator_traitsISE_E10value_typeEPNSK_ISF_E10value_typeEPSG_NS1_7vsmem_tEENKUlT_SE_SF_SG_E_clIS8_S8_S9_S9_EESD_ST_SE_SF_SG_EUlST_E1_NS1_11comp_targetILNS1_3genE10ELNS1_11target_archE1201ELNS1_3gpuE5ELNS1_3repE0EEENS1_36merge_oddeven_config_static_selectorELNS0_4arch9wavefront6targetE0EEEvSF_.has_dyn_sized_stack, 0
	.set _ZN7rocprim17ROCPRIM_400000_NS6detail17trampoline_kernelINS0_14default_configENS1_38merge_sort_block_merge_config_selectorIfNS0_10empty_typeEEEZZNS1_27merge_sort_block_merge_implIS3_PfPS5_jNS1_19radix_merge_compareILb1ELb0EfNS0_19identity_decomposerEEEEE10hipError_tT0_T1_T2_jT3_P12ihipStream_tbPNSt15iterator_traitsISE_E10value_typeEPNSK_ISF_E10value_typeEPSG_NS1_7vsmem_tEENKUlT_SE_SF_SG_E_clIS8_S8_S9_S9_EESD_ST_SE_SF_SG_EUlST_E1_NS1_11comp_targetILNS1_3genE10ELNS1_11target_archE1201ELNS1_3gpuE5ELNS1_3repE0EEENS1_36merge_oddeven_config_static_selectorELNS0_4arch9wavefront6targetE0EEEvSF_.has_recursion, 0
	.set _ZN7rocprim17ROCPRIM_400000_NS6detail17trampoline_kernelINS0_14default_configENS1_38merge_sort_block_merge_config_selectorIfNS0_10empty_typeEEEZZNS1_27merge_sort_block_merge_implIS3_PfPS5_jNS1_19radix_merge_compareILb1ELb0EfNS0_19identity_decomposerEEEEE10hipError_tT0_T1_T2_jT3_P12ihipStream_tbPNSt15iterator_traitsISE_E10value_typeEPNSK_ISF_E10value_typeEPSG_NS1_7vsmem_tEENKUlT_SE_SF_SG_E_clIS8_S8_S9_S9_EESD_ST_SE_SF_SG_EUlST_E1_NS1_11comp_targetILNS1_3genE10ELNS1_11target_archE1201ELNS1_3gpuE5ELNS1_3repE0EEENS1_36merge_oddeven_config_static_selectorELNS0_4arch9wavefront6targetE0EEEvSF_.has_indirect_call, 0
	.section	.AMDGPU.csdata,"",@progbits
; Kernel info:
; codeLenInByte = 0
; TotalNumSgprs: 0
; NumVgprs: 0
; ScratchSize: 0
; MemoryBound: 0
; FloatMode: 240
; IeeeMode: 1
; LDSByteSize: 0 bytes/workgroup (compile time only)
; SGPRBlocks: 0
; VGPRBlocks: 0
; NumSGPRsForWavesPerEU: 1
; NumVGPRsForWavesPerEU: 1
; NamedBarCnt: 0
; Occupancy: 16
; WaveLimiterHint : 0
; COMPUTE_PGM_RSRC2:SCRATCH_EN: 0
; COMPUTE_PGM_RSRC2:USER_SGPR: 2
; COMPUTE_PGM_RSRC2:TRAP_HANDLER: 0
; COMPUTE_PGM_RSRC2:TGID_X_EN: 1
; COMPUTE_PGM_RSRC2:TGID_Y_EN: 0
; COMPUTE_PGM_RSRC2:TGID_Z_EN: 0
; COMPUTE_PGM_RSRC2:TIDIG_COMP_CNT: 0
	.section	.text._ZN7rocprim17ROCPRIM_400000_NS6detail17trampoline_kernelINS0_14default_configENS1_38merge_sort_block_merge_config_selectorIfNS0_10empty_typeEEEZZNS1_27merge_sort_block_merge_implIS3_PfPS5_jNS1_19radix_merge_compareILb1ELb0EfNS0_19identity_decomposerEEEEE10hipError_tT0_T1_T2_jT3_P12ihipStream_tbPNSt15iterator_traitsISE_E10value_typeEPNSK_ISF_E10value_typeEPSG_NS1_7vsmem_tEENKUlT_SE_SF_SG_E_clIS8_S8_S9_S9_EESD_ST_SE_SF_SG_EUlST_E1_NS1_11comp_targetILNS1_3genE5ELNS1_11target_archE942ELNS1_3gpuE9ELNS1_3repE0EEENS1_36merge_oddeven_config_static_selectorELNS0_4arch9wavefront6targetE0EEEvSF_,"axG",@progbits,_ZN7rocprim17ROCPRIM_400000_NS6detail17trampoline_kernelINS0_14default_configENS1_38merge_sort_block_merge_config_selectorIfNS0_10empty_typeEEEZZNS1_27merge_sort_block_merge_implIS3_PfPS5_jNS1_19radix_merge_compareILb1ELb0EfNS0_19identity_decomposerEEEEE10hipError_tT0_T1_T2_jT3_P12ihipStream_tbPNSt15iterator_traitsISE_E10value_typeEPNSK_ISF_E10value_typeEPSG_NS1_7vsmem_tEENKUlT_SE_SF_SG_E_clIS8_S8_S9_S9_EESD_ST_SE_SF_SG_EUlST_E1_NS1_11comp_targetILNS1_3genE5ELNS1_11target_archE942ELNS1_3gpuE9ELNS1_3repE0EEENS1_36merge_oddeven_config_static_selectorELNS0_4arch9wavefront6targetE0EEEvSF_,comdat
	.protected	_ZN7rocprim17ROCPRIM_400000_NS6detail17trampoline_kernelINS0_14default_configENS1_38merge_sort_block_merge_config_selectorIfNS0_10empty_typeEEEZZNS1_27merge_sort_block_merge_implIS3_PfPS5_jNS1_19radix_merge_compareILb1ELb0EfNS0_19identity_decomposerEEEEE10hipError_tT0_T1_T2_jT3_P12ihipStream_tbPNSt15iterator_traitsISE_E10value_typeEPNSK_ISF_E10value_typeEPSG_NS1_7vsmem_tEENKUlT_SE_SF_SG_E_clIS8_S8_S9_S9_EESD_ST_SE_SF_SG_EUlST_E1_NS1_11comp_targetILNS1_3genE5ELNS1_11target_archE942ELNS1_3gpuE9ELNS1_3repE0EEENS1_36merge_oddeven_config_static_selectorELNS0_4arch9wavefront6targetE0EEEvSF_ ; -- Begin function _ZN7rocprim17ROCPRIM_400000_NS6detail17trampoline_kernelINS0_14default_configENS1_38merge_sort_block_merge_config_selectorIfNS0_10empty_typeEEEZZNS1_27merge_sort_block_merge_implIS3_PfPS5_jNS1_19radix_merge_compareILb1ELb0EfNS0_19identity_decomposerEEEEE10hipError_tT0_T1_T2_jT3_P12ihipStream_tbPNSt15iterator_traitsISE_E10value_typeEPNSK_ISF_E10value_typeEPSG_NS1_7vsmem_tEENKUlT_SE_SF_SG_E_clIS8_S8_S9_S9_EESD_ST_SE_SF_SG_EUlST_E1_NS1_11comp_targetILNS1_3genE5ELNS1_11target_archE942ELNS1_3gpuE9ELNS1_3repE0EEENS1_36merge_oddeven_config_static_selectorELNS0_4arch9wavefront6targetE0EEEvSF_
	.globl	_ZN7rocprim17ROCPRIM_400000_NS6detail17trampoline_kernelINS0_14default_configENS1_38merge_sort_block_merge_config_selectorIfNS0_10empty_typeEEEZZNS1_27merge_sort_block_merge_implIS3_PfPS5_jNS1_19radix_merge_compareILb1ELb0EfNS0_19identity_decomposerEEEEE10hipError_tT0_T1_T2_jT3_P12ihipStream_tbPNSt15iterator_traitsISE_E10value_typeEPNSK_ISF_E10value_typeEPSG_NS1_7vsmem_tEENKUlT_SE_SF_SG_E_clIS8_S8_S9_S9_EESD_ST_SE_SF_SG_EUlST_E1_NS1_11comp_targetILNS1_3genE5ELNS1_11target_archE942ELNS1_3gpuE9ELNS1_3repE0EEENS1_36merge_oddeven_config_static_selectorELNS0_4arch9wavefront6targetE0EEEvSF_
	.p2align	8
	.type	_ZN7rocprim17ROCPRIM_400000_NS6detail17trampoline_kernelINS0_14default_configENS1_38merge_sort_block_merge_config_selectorIfNS0_10empty_typeEEEZZNS1_27merge_sort_block_merge_implIS3_PfPS5_jNS1_19radix_merge_compareILb1ELb0EfNS0_19identity_decomposerEEEEE10hipError_tT0_T1_T2_jT3_P12ihipStream_tbPNSt15iterator_traitsISE_E10value_typeEPNSK_ISF_E10value_typeEPSG_NS1_7vsmem_tEENKUlT_SE_SF_SG_E_clIS8_S8_S9_S9_EESD_ST_SE_SF_SG_EUlST_E1_NS1_11comp_targetILNS1_3genE5ELNS1_11target_archE942ELNS1_3gpuE9ELNS1_3repE0EEENS1_36merge_oddeven_config_static_selectorELNS0_4arch9wavefront6targetE0EEEvSF_,@function
_ZN7rocprim17ROCPRIM_400000_NS6detail17trampoline_kernelINS0_14default_configENS1_38merge_sort_block_merge_config_selectorIfNS0_10empty_typeEEEZZNS1_27merge_sort_block_merge_implIS3_PfPS5_jNS1_19radix_merge_compareILb1ELb0EfNS0_19identity_decomposerEEEEE10hipError_tT0_T1_T2_jT3_P12ihipStream_tbPNSt15iterator_traitsISE_E10value_typeEPNSK_ISF_E10value_typeEPSG_NS1_7vsmem_tEENKUlT_SE_SF_SG_E_clIS8_S8_S9_S9_EESD_ST_SE_SF_SG_EUlST_E1_NS1_11comp_targetILNS1_3genE5ELNS1_11target_archE942ELNS1_3gpuE9ELNS1_3repE0EEENS1_36merge_oddeven_config_static_selectorELNS0_4arch9wavefront6targetE0EEEvSF_: ; @_ZN7rocprim17ROCPRIM_400000_NS6detail17trampoline_kernelINS0_14default_configENS1_38merge_sort_block_merge_config_selectorIfNS0_10empty_typeEEEZZNS1_27merge_sort_block_merge_implIS3_PfPS5_jNS1_19radix_merge_compareILb1ELb0EfNS0_19identity_decomposerEEEEE10hipError_tT0_T1_T2_jT3_P12ihipStream_tbPNSt15iterator_traitsISE_E10value_typeEPNSK_ISF_E10value_typeEPSG_NS1_7vsmem_tEENKUlT_SE_SF_SG_E_clIS8_S8_S9_S9_EESD_ST_SE_SF_SG_EUlST_E1_NS1_11comp_targetILNS1_3genE5ELNS1_11target_archE942ELNS1_3gpuE9ELNS1_3repE0EEENS1_36merge_oddeven_config_static_selectorELNS0_4arch9wavefront6targetE0EEEvSF_
; %bb.0:
	.section	.rodata,"a",@progbits
	.p2align	6, 0x0
	.amdhsa_kernel _ZN7rocprim17ROCPRIM_400000_NS6detail17trampoline_kernelINS0_14default_configENS1_38merge_sort_block_merge_config_selectorIfNS0_10empty_typeEEEZZNS1_27merge_sort_block_merge_implIS3_PfPS5_jNS1_19radix_merge_compareILb1ELb0EfNS0_19identity_decomposerEEEEE10hipError_tT0_T1_T2_jT3_P12ihipStream_tbPNSt15iterator_traitsISE_E10value_typeEPNSK_ISF_E10value_typeEPSG_NS1_7vsmem_tEENKUlT_SE_SF_SG_E_clIS8_S8_S9_S9_EESD_ST_SE_SF_SG_EUlST_E1_NS1_11comp_targetILNS1_3genE5ELNS1_11target_archE942ELNS1_3gpuE9ELNS1_3repE0EEENS1_36merge_oddeven_config_static_selectorELNS0_4arch9wavefront6targetE0EEEvSF_
		.amdhsa_group_segment_fixed_size 0
		.amdhsa_private_segment_fixed_size 0
		.amdhsa_kernarg_size 48
		.amdhsa_user_sgpr_count 2
		.amdhsa_user_sgpr_dispatch_ptr 0
		.amdhsa_user_sgpr_queue_ptr 0
		.amdhsa_user_sgpr_kernarg_segment_ptr 1
		.amdhsa_user_sgpr_dispatch_id 0
		.amdhsa_user_sgpr_kernarg_preload_length 0
		.amdhsa_user_sgpr_kernarg_preload_offset 0
		.amdhsa_user_sgpr_private_segment_size 0
		.amdhsa_wavefront_size32 1
		.amdhsa_uses_dynamic_stack 0
		.amdhsa_enable_private_segment 0
		.amdhsa_system_sgpr_workgroup_id_x 1
		.amdhsa_system_sgpr_workgroup_id_y 0
		.amdhsa_system_sgpr_workgroup_id_z 0
		.amdhsa_system_sgpr_workgroup_info 0
		.amdhsa_system_vgpr_workitem_id 0
		.amdhsa_next_free_vgpr 1
		.amdhsa_next_free_sgpr 1
		.amdhsa_named_barrier_count 0
		.amdhsa_reserve_vcc 0
		.amdhsa_float_round_mode_32 0
		.amdhsa_float_round_mode_16_64 0
		.amdhsa_float_denorm_mode_32 3
		.amdhsa_float_denorm_mode_16_64 3
		.amdhsa_fp16_overflow 0
		.amdhsa_memory_ordered 1
		.amdhsa_forward_progress 1
		.amdhsa_inst_pref_size 0
		.amdhsa_round_robin_scheduling 0
		.amdhsa_exception_fp_ieee_invalid_op 0
		.amdhsa_exception_fp_denorm_src 0
		.amdhsa_exception_fp_ieee_div_zero 0
		.amdhsa_exception_fp_ieee_overflow 0
		.amdhsa_exception_fp_ieee_underflow 0
		.amdhsa_exception_fp_ieee_inexact 0
		.amdhsa_exception_int_div_zero 0
	.end_amdhsa_kernel
	.section	.text._ZN7rocprim17ROCPRIM_400000_NS6detail17trampoline_kernelINS0_14default_configENS1_38merge_sort_block_merge_config_selectorIfNS0_10empty_typeEEEZZNS1_27merge_sort_block_merge_implIS3_PfPS5_jNS1_19radix_merge_compareILb1ELb0EfNS0_19identity_decomposerEEEEE10hipError_tT0_T1_T2_jT3_P12ihipStream_tbPNSt15iterator_traitsISE_E10value_typeEPNSK_ISF_E10value_typeEPSG_NS1_7vsmem_tEENKUlT_SE_SF_SG_E_clIS8_S8_S9_S9_EESD_ST_SE_SF_SG_EUlST_E1_NS1_11comp_targetILNS1_3genE5ELNS1_11target_archE942ELNS1_3gpuE9ELNS1_3repE0EEENS1_36merge_oddeven_config_static_selectorELNS0_4arch9wavefront6targetE0EEEvSF_,"axG",@progbits,_ZN7rocprim17ROCPRIM_400000_NS6detail17trampoline_kernelINS0_14default_configENS1_38merge_sort_block_merge_config_selectorIfNS0_10empty_typeEEEZZNS1_27merge_sort_block_merge_implIS3_PfPS5_jNS1_19radix_merge_compareILb1ELb0EfNS0_19identity_decomposerEEEEE10hipError_tT0_T1_T2_jT3_P12ihipStream_tbPNSt15iterator_traitsISE_E10value_typeEPNSK_ISF_E10value_typeEPSG_NS1_7vsmem_tEENKUlT_SE_SF_SG_E_clIS8_S8_S9_S9_EESD_ST_SE_SF_SG_EUlST_E1_NS1_11comp_targetILNS1_3genE5ELNS1_11target_archE942ELNS1_3gpuE9ELNS1_3repE0EEENS1_36merge_oddeven_config_static_selectorELNS0_4arch9wavefront6targetE0EEEvSF_,comdat
.Lfunc_end1279:
	.size	_ZN7rocprim17ROCPRIM_400000_NS6detail17trampoline_kernelINS0_14default_configENS1_38merge_sort_block_merge_config_selectorIfNS0_10empty_typeEEEZZNS1_27merge_sort_block_merge_implIS3_PfPS5_jNS1_19radix_merge_compareILb1ELb0EfNS0_19identity_decomposerEEEEE10hipError_tT0_T1_T2_jT3_P12ihipStream_tbPNSt15iterator_traitsISE_E10value_typeEPNSK_ISF_E10value_typeEPSG_NS1_7vsmem_tEENKUlT_SE_SF_SG_E_clIS8_S8_S9_S9_EESD_ST_SE_SF_SG_EUlST_E1_NS1_11comp_targetILNS1_3genE5ELNS1_11target_archE942ELNS1_3gpuE9ELNS1_3repE0EEENS1_36merge_oddeven_config_static_selectorELNS0_4arch9wavefront6targetE0EEEvSF_, .Lfunc_end1279-_ZN7rocprim17ROCPRIM_400000_NS6detail17trampoline_kernelINS0_14default_configENS1_38merge_sort_block_merge_config_selectorIfNS0_10empty_typeEEEZZNS1_27merge_sort_block_merge_implIS3_PfPS5_jNS1_19radix_merge_compareILb1ELb0EfNS0_19identity_decomposerEEEEE10hipError_tT0_T1_T2_jT3_P12ihipStream_tbPNSt15iterator_traitsISE_E10value_typeEPNSK_ISF_E10value_typeEPSG_NS1_7vsmem_tEENKUlT_SE_SF_SG_E_clIS8_S8_S9_S9_EESD_ST_SE_SF_SG_EUlST_E1_NS1_11comp_targetILNS1_3genE5ELNS1_11target_archE942ELNS1_3gpuE9ELNS1_3repE0EEENS1_36merge_oddeven_config_static_selectorELNS0_4arch9wavefront6targetE0EEEvSF_
                                        ; -- End function
	.set _ZN7rocprim17ROCPRIM_400000_NS6detail17trampoline_kernelINS0_14default_configENS1_38merge_sort_block_merge_config_selectorIfNS0_10empty_typeEEEZZNS1_27merge_sort_block_merge_implIS3_PfPS5_jNS1_19radix_merge_compareILb1ELb0EfNS0_19identity_decomposerEEEEE10hipError_tT0_T1_T2_jT3_P12ihipStream_tbPNSt15iterator_traitsISE_E10value_typeEPNSK_ISF_E10value_typeEPSG_NS1_7vsmem_tEENKUlT_SE_SF_SG_E_clIS8_S8_S9_S9_EESD_ST_SE_SF_SG_EUlST_E1_NS1_11comp_targetILNS1_3genE5ELNS1_11target_archE942ELNS1_3gpuE9ELNS1_3repE0EEENS1_36merge_oddeven_config_static_selectorELNS0_4arch9wavefront6targetE0EEEvSF_.num_vgpr, 0
	.set _ZN7rocprim17ROCPRIM_400000_NS6detail17trampoline_kernelINS0_14default_configENS1_38merge_sort_block_merge_config_selectorIfNS0_10empty_typeEEEZZNS1_27merge_sort_block_merge_implIS3_PfPS5_jNS1_19radix_merge_compareILb1ELb0EfNS0_19identity_decomposerEEEEE10hipError_tT0_T1_T2_jT3_P12ihipStream_tbPNSt15iterator_traitsISE_E10value_typeEPNSK_ISF_E10value_typeEPSG_NS1_7vsmem_tEENKUlT_SE_SF_SG_E_clIS8_S8_S9_S9_EESD_ST_SE_SF_SG_EUlST_E1_NS1_11comp_targetILNS1_3genE5ELNS1_11target_archE942ELNS1_3gpuE9ELNS1_3repE0EEENS1_36merge_oddeven_config_static_selectorELNS0_4arch9wavefront6targetE0EEEvSF_.num_agpr, 0
	.set _ZN7rocprim17ROCPRIM_400000_NS6detail17trampoline_kernelINS0_14default_configENS1_38merge_sort_block_merge_config_selectorIfNS0_10empty_typeEEEZZNS1_27merge_sort_block_merge_implIS3_PfPS5_jNS1_19radix_merge_compareILb1ELb0EfNS0_19identity_decomposerEEEEE10hipError_tT0_T1_T2_jT3_P12ihipStream_tbPNSt15iterator_traitsISE_E10value_typeEPNSK_ISF_E10value_typeEPSG_NS1_7vsmem_tEENKUlT_SE_SF_SG_E_clIS8_S8_S9_S9_EESD_ST_SE_SF_SG_EUlST_E1_NS1_11comp_targetILNS1_3genE5ELNS1_11target_archE942ELNS1_3gpuE9ELNS1_3repE0EEENS1_36merge_oddeven_config_static_selectorELNS0_4arch9wavefront6targetE0EEEvSF_.numbered_sgpr, 0
	.set _ZN7rocprim17ROCPRIM_400000_NS6detail17trampoline_kernelINS0_14default_configENS1_38merge_sort_block_merge_config_selectorIfNS0_10empty_typeEEEZZNS1_27merge_sort_block_merge_implIS3_PfPS5_jNS1_19radix_merge_compareILb1ELb0EfNS0_19identity_decomposerEEEEE10hipError_tT0_T1_T2_jT3_P12ihipStream_tbPNSt15iterator_traitsISE_E10value_typeEPNSK_ISF_E10value_typeEPSG_NS1_7vsmem_tEENKUlT_SE_SF_SG_E_clIS8_S8_S9_S9_EESD_ST_SE_SF_SG_EUlST_E1_NS1_11comp_targetILNS1_3genE5ELNS1_11target_archE942ELNS1_3gpuE9ELNS1_3repE0EEENS1_36merge_oddeven_config_static_selectorELNS0_4arch9wavefront6targetE0EEEvSF_.num_named_barrier, 0
	.set _ZN7rocprim17ROCPRIM_400000_NS6detail17trampoline_kernelINS0_14default_configENS1_38merge_sort_block_merge_config_selectorIfNS0_10empty_typeEEEZZNS1_27merge_sort_block_merge_implIS3_PfPS5_jNS1_19radix_merge_compareILb1ELb0EfNS0_19identity_decomposerEEEEE10hipError_tT0_T1_T2_jT3_P12ihipStream_tbPNSt15iterator_traitsISE_E10value_typeEPNSK_ISF_E10value_typeEPSG_NS1_7vsmem_tEENKUlT_SE_SF_SG_E_clIS8_S8_S9_S9_EESD_ST_SE_SF_SG_EUlST_E1_NS1_11comp_targetILNS1_3genE5ELNS1_11target_archE942ELNS1_3gpuE9ELNS1_3repE0EEENS1_36merge_oddeven_config_static_selectorELNS0_4arch9wavefront6targetE0EEEvSF_.private_seg_size, 0
	.set _ZN7rocprim17ROCPRIM_400000_NS6detail17trampoline_kernelINS0_14default_configENS1_38merge_sort_block_merge_config_selectorIfNS0_10empty_typeEEEZZNS1_27merge_sort_block_merge_implIS3_PfPS5_jNS1_19radix_merge_compareILb1ELb0EfNS0_19identity_decomposerEEEEE10hipError_tT0_T1_T2_jT3_P12ihipStream_tbPNSt15iterator_traitsISE_E10value_typeEPNSK_ISF_E10value_typeEPSG_NS1_7vsmem_tEENKUlT_SE_SF_SG_E_clIS8_S8_S9_S9_EESD_ST_SE_SF_SG_EUlST_E1_NS1_11comp_targetILNS1_3genE5ELNS1_11target_archE942ELNS1_3gpuE9ELNS1_3repE0EEENS1_36merge_oddeven_config_static_selectorELNS0_4arch9wavefront6targetE0EEEvSF_.uses_vcc, 0
	.set _ZN7rocprim17ROCPRIM_400000_NS6detail17trampoline_kernelINS0_14default_configENS1_38merge_sort_block_merge_config_selectorIfNS0_10empty_typeEEEZZNS1_27merge_sort_block_merge_implIS3_PfPS5_jNS1_19radix_merge_compareILb1ELb0EfNS0_19identity_decomposerEEEEE10hipError_tT0_T1_T2_jT3_P12ihipStream_tbPNSt15iterator_traitsISE_E10value_typeEPNSK_ISF_E10value_typeEPSG_NS1_7vsmem_tEENKUlT_SE_SF_SG_E_clIS8_S8_S9_S9_EESD_ST_SE_SF_SG_EUlST_E1_NS1_11comp_targetILNS1_3genE5ELNS1_11target_archE942ELNS1_3gpuE9ELNS1_3repE0EEENS1_36merge_oddeven_config_static_selectorELNS0_4arch9wavefront6targetE0EEEvSF_.uses_flat_scratch, 0
	.set _ZN7rocprim17ROCPRIM_400000_NS6detail17trampoline_kernelINS0_14default_configENS1_38merge_sort_block_merge_config_selectorIfNS0_10empty_typeEEEZZNS1_27merge_sort_block_merge_implIS3_PfPS5_jNS1_19radix_merge_compareILb1ELb0EfNS0_19identity_decomposerEEEEE10hipError_tT0_T1_T2_jT3_P12ihipStream_tbPNSt15iterator_traitsISE_E10value_typeEPNSK_ISF_E10value_typeEPSG_NS1_7vsmem_tEENKUlT_SE_SF_SG_E_clIS8_S8_S9_S9_EESD_ST_SE_SF_SG_EUlST_E1_NS1_11comp_targetILNS1_3genE5ELNS1_11target_archE942ELNS1_3gpuE9ELNS1_3repE0EEENS1_36merge_oddeven_config_static_selectorELNS0_4arch9wavefront6targetE0EEEvSF_.has_dyn_sized_stack, 0
	.set _ZN7rocprim17ROCPRIM_400000_NS6detail17trampoline_kernelINS0_14default_configENS1_38merge_sort_block_merge_config_selectorIfNS0_10empty_typeEEEZZNS1_27merge_sort_block_merge_implIS3_PfPS5_jNS1_19radix_merge_compareILb1ELb0EfNS0_19identity_decomposerEEEEE10hipError_tT0_T1_T2_jT3_P12ihipStream_tbPNSt15iterator_traitsISE_E10value_typeEPNSK_ISF_E10value_typeEPSG_NS1_7vsmem_tEENKUlT_SE_SF_SG_E_clIS8_S8_S9_S9_EESD_ST_SE_SF_SG_EUlST_E1_NS1_11comp_targetILNS1_3genE5ELNS1_11target_archE942ELNS1_3gpuE9ELNS1_3repE0EEENS1_36merge_oddeven_config_static_selectorELNS0_4arch9wavefront6targetE0EEEvSF_.has_recursion, 0
	.set _ZN7rocprim17ROCPRIM_400000_NS6detail17trampoline_kernelINS0_14default_configENS1_38merge_sort_block_merge_config_selectorIfNS0_10empty_typeEEEZZNS1_27merge_sort_block_merge_implIS3_PfPS5_jNS1_19radix_merge_compareILb1ELb0EfNS0_19identity_decomposerEEEEE10hipError_tT0_T1_T2_jT3_P12ihipStream_tbPNSt15iterator_traitsISE_E10value_typeEPNSK_ISF_E10value_typeEPSG_NS1_7vsmem_tEENKUlT_SE_SF_SG_E_clIS8_S8_S9_S9_EESD_ST_SE_SF_SG_EUlST_E1_NS1_11comp_targetILNS1_3genE5ELNS1_11target_archE942ELNS1_3gpuE9ELNS1_3repE0EEENS1_36merge_oddeven_config_static_selectorELNS0_4arch9wavefront6targetE0EEEvSF_.has_indirect_call, 0
	.section	.AMDGPU.csdata,"",@progbits
; Kernel info:
; codeLenInByte = 0
; TotalNumSgprs: 0
; NumVgprs: 0
; ScratchSize: 0
; MemoryBound: 0
; FloatMode: 240
; IeeeMode: 1
; LDSByteSize: 0 bytes/workgroup (compile time only)
; SGPRBlocks: 0
; VGPRBlocks: 0
; NumSGPRsForWavesPerEU: 1
; NumVGPRsForWavesPerEU: 1
; NamedBarCnt: 0
; Occupancy: 16
; WaveLimiterHint : 0
; COMPUTE_PGM_RSRC2:SCRATCH_EN: 0
; COMPUTE_PGM_RSRC2:USER_SGPR: 2
; COMPUTE_PGM_RSRC2:TRAP_HANDLER: 0
; COMPUTE_PGM_RSRC2:TGID_X_EN: 1
; COMPUTE_PGM_RSRC2:TGID_Y_EN: 0
; COMPUTE_PGM_RSRC2:TGID_Z_EN: 0
; COMPUTE_PGM_RSRC2:TIDIG_COMP_CNT: 0
	.section	.text._ZN7rocprim17ROCPRIM_400000_NS6detail17trampoline_kernelINS0_14default_configENS1_38merge_sort_block_merge_config_selectorIfNS0_10empty_typeEEEZZNS1_27merge_sort_block_merge_implIS3_PfPS5_jNS1_19radix_merge_compareILb1ELb0EfNS0_19identity_decomposerEEEEE10hipError_tT0_T1_T2_jT3_P12ihipStream_tbPNSt15iterator_traitsISE_E10value_typeEPNSK_ISF_E10value_typeEPSG_NS1_7vsmem_tEENKUlT_SE_SF_SG_E_clIS8_S8_S9_S9_EESD_ST_SE_SF_SG_EUlST_E1_NS1_11comp_targetILNS1_3genE4ELNS1_11target_archE910ELNS1_3gpuE8ELNS1_3repE0EEENS1_36merge_oddeven_config_static_selectorELNS0_4arch9wavefront6targetE0EEEvSF_,"axG",@progbits,_ZN7rocprim17ROCPRIM_400000_NS6detail17trampoline_kernelINS0_14default_configENS1_38merge_sort_block_merge_config_selectorIfNS0_10empty_typeEEEZZNS1_27merge_sort_block_merge_implIS3_PfPS5_jNS1_19radix_merge_compareILb1ELb0EfNS0_19identity_decomposerEEEEE10hipError_tT0_T1_T2_jT3_P12ihipStream_tbPNSt15iterator_traitsISE_E10value_typeEPNSK_ISF_E10value_typeEPSG_NS1_7vsmem_tEENKUlT_SE_SF_SG_E_clIS8_S8_S9_S9_EESD_ST_SE_SF_SG_EUlST_E1_NS1_11comp_targetILNS1_3genE4ELNS1_11target_archE910ELNS1_3gpuE8ELNS1_3repE0EEENS1_36merge_oddeven_config_static_selectorELNS0_4arch9wavefront6targetE0EEEvSF_,comdat
	.protected	_ZN7rocprim17ROCPRIM_400000_NS6detail17trampoline_kernelINS0_14default_configENS1_38merge_sort_block_merge_config_selectorIfNS0_10empty_typeEEEZZNS1_27merge_sort_block_merge_implIS3_PfPS5_jNS1_19radix_merge_compareILb1ELb0EfNS0_19identity_decomposerEEEEE10hipError_tT0_T1_T2_jT3_P12ihipStream_tbPNSt15iterator_traitsISE_E10value_typeEPNSK_ISF_E10value_typeEPSG_NS1_7vsmem_tEENKUlT_SE_SF_SG_E_clIS8_S8_S9_S9_EESD_ST_SE_SF_SG_EUlST_E1_NS1_11comp_targetILNS1_3genE4ELNS1_11target_archE910ELNS1_3gpuE8ELNS1_3repE0EEENS1_36merge_oddeven_config_static_selectorELNS0_4arch9wavefront6targetE0EEEvSF_ ; -- Begin function _ZN7rocprim17ROCPRIM_400000_NS6detail17trampoline_kernelINS0_14default_configENS1_38merge_sort_block_merge_config_selectorIfNS0_10empty_typeEEEZZNS1_27merge_sort_block_merge_implIS3_PfPS5_jNS1_19radix_merge_compareILb1ELb0EfNS0_19identity_decomposerEEEEE10hipError_tT0_T1_T2_jT3_P12ihipStream_tbPNSt15iterator_traitsISE_E10value_typeEPNSK_ISF_E10value_typeEPSG_NS1_7vsmem_tEENKUlT_SE_SF_SG_E_clIS8_S8_S9_S9_EESD_ST_SE_SF_SG_EUlST_E1_NS1_11comp_targetILNS1_3genE4ELNS1_11target_archE910ELNS1_3gpuE8ELNS1_3repE0EEENS1_36merge_oddeven_config_static_selectorELNS0_4arch9wavefront6targetE0EEEvSF_
	.globl	_ZN7rocprim17ROCPRIM_400000_NS6detail17trampoline_kernelINS0_14default_configENS1_38merge_sort_block_merge_config_selectorIfNS0_10empty_typeEEEZZNS1_27merge_sort_block_merge_implIS3_PfPS5_jNS1_19radix_merge_compareILb1ELb0EfNS0_19identity_decomposerEEEEE10hipError_tT0_T1_T2_jT3_P12ihipStream_tbPNSt15iterator_traitsISE_E10value_typeEPNSK_ISF_E10value_typeEPSG_NS1_7vsmem_tEENKUlT_SE_SF_SG_E_clIS8_S8_S9_S9_EESD_ST_SE_SF_SG_EUlST_E1_NS1_11comp_targetILNS1_3genE4ELNS1_11target_archE910ELNS1_3gpuE8ELNS1_3repE0EEENS1_36merge_oddeven_config_static_selectorELNS0_4arch9wavefront6targetE0EEEvSF_
	.p2align	8
	.type	_ZN7rocprim17ROCPRIM_400000_NS6detail17trampoline_kernelINS0_14default_configENS1_38merge_sort_block_merge_config_selectorIfNS0_10empty_typeEEEZZNS1_27merge_sort_block_merge_implIS3_PfPS5_jNS1_19radix_merge_compareILb1ELb0EfNS0_19identity_decomposerEEEEE10hipError_tT0_T1_T2_jT3_P12ihipStream_tbPNSt15iterator_traitsISE_E10value_typeEPNSK_ISF_E10value_typeEPSG_NS1_7vsmem_tEENKUlT_SE_SF_SG_E_clIS8_S8_S9_S9_EESD_ST_SE_SF_SG_EUlST_E1_NS1_11comp_targetILNS1_3genE4ELNS1_11target_archE910ELNS1_3gpuE8ELNS1_3repE0EEENS1_36merge_oddeven_config_static_selectorELNS0_4arch9wavefront6targetE0EEEvSF_,@function
_ZN7rocprim17ROCPRIM_400000_NS6detail17trampoline_kernelINS0_14default_configENS1_38merge_sort_block_merge_config_selectorIfNS0_10empty_typeEEEZZNS1_27merge_sort_block_merge_implIS3_PfPS5_jNS1_19radix_merge_compareILb1ELb0EfNS0_19identity_decomposerEEEEE10hipError_tT0_T1_T2_jT3_P12ihipStream_tbPNSt15iterator_traitsISE_E10value_typeEPNSK_ISF_E10value_typeEPSG_NS1_7vsmem_tEENKUlT_SE_SF_SG_E_clIS8_S8_S9_S9_EESD_ST_SE_SF_SG_EUlST_E1_NS1_11comp_targetILNS1_3genE4ELNS1_11target_archE910ELNS1_3gpuE8ELNS1_3repE0EEENS1_36merge_oddeven_config_static_selectorELNS0_4arch9wavefront6targetE0EEEvSF_: ; @_ZN7rocprim17ROCPRIM_400000_NS6detail17trampoline_kernelINS0_14default_configENS1_38merge_sort_block_merge_config_selectorIfNS0_10empty_typeEEEZZNS1_27merge_sort_block_merge_implIS3_PfPS5_jNS1_19radix_merge_compareILb1ELb0EfNS0_19identity_decomposerEEEEE10hipError_tT0_T1_T2_jT3_P12ihipStream_tbPNSt15iterator_traitsISE_E10value_typeEPNSK_ISF_E10value_typeEPSG_NS1_7vsmem_tEENKUlT_SE_SF_SG_E_clIS8_S8_S9_S9_EESD_ST_SE_SF_SG_EUlST_E1_NS1_11comp_targetILNS1_3genE4ELNS1_11target_archE910ELNS1_3gpuE8ELNS1_3repE0EEENS1_36merge_oddeven_config_static_selectorELNS0_4arch9wavefront6targetE0EEEvSF_
; %bb.0:
	.section	.rodata,"a",@progbits
	.p2align	6, 0x0
	.amdhsa_kernel _ZN7rocprim17ROCPRIM_400000_NS6detail17trampoline_kernelINS0_14default_configENS1_38merge_sort_block_merge_config_selectorIfNS0_10empty_typeEEEZZNS1_27merge_sort_block_merge_implIS3_PfPS5_jNS1_19radix_merge_compareILb1ELb0EfNS0_19identity_decomposerEEEEE10hipError_tT0_T1_T2_jT3_P12ihipStream_tbPNSt15iterator_traitsISE_E10value_typeEPNSK_ISF_E10value_typeEPSG_NS1_7vsmem_tEENKUlT_SE_SF_SG_E_clIS8_S8_S9_S9_EESD_ST_SE_SF_SG_EUlST_E1_NS1_11comp_targetILNS1_3genE4ELNS1_11target_archE910ELNS1_3gpuE8ELNS1_3repE0EEENS1_36merge_oddeven_config_static_selectorELNS0_4arch9wavefront6targetE0EEEvSF_
		.amdhsa_group_segment_fixed_size 0
		.amdhsa_private_segment_fixed_size 0
		.amdhsa_kernarg_size 48
		.amdhsa_user_sgpr_count 2
		.amdhsa_user_sgpr_dispatch_ptr 0
		.amdhsa_user_sgpr_queue_ptr 0
		.amdhsa_user_sgpr_kernarg_segment_ptr 1
		.amdhsa_user_sgpr_dispatch_id 0
		.amdhsa_user_sgpr_kernarg_preload_length 0
		.amdhsa_user_sgpr_kernarg_preload_offset 0
		.amdhsa_user_sgpr_private_segment_size 0
		.amdhsa_wavefront_size32 1
		.amdhsa_uses_dynamic_stack 0
		.amdhsa_enable_private_segment 0
		.amdhsa_system_sgpr_workgroup_id_x 1
		.amdhsa_system_sgpr_workgroup_id_y 0
		.amdhsa_system_sgpr_workgroup_id_z 0
		.amdhsa_system_sgpr_workgroup_info 0
		.amdhsa_system_vgpr_workitem_id 0
		.amdhsa_next_free_vgpr 1
		.amdhsa_next_free_sgpr 1
		.amdhsa_named_barrier_count 0
		.amdhsa_reserve_vcc 0
		.amdhsa_float_round_mode_32 0
		.amdhsa_float_round_mode_16_64 0
		.amdhsa_float_denorm_mode_32 3
		.amdhsa_float_denorm_mode_16_64 3
		.amdhsa_fp16_overflow 0
		.amdhsa_memory_ordered 1
		.amdhsa_forward_progress 1
		.amdhsa_inst_pref_size 0
		.amdhsa_round_robin_scheduling 0
		.amdhsa_exception_fp_ieee_invalid_op 0
		.amdhsa_exception_fp_denorm_src 0
		.amdhsa_exception_fp_ieee_div_zero 0
		.amdhsa_exception_fp_ieee_overflow 0
		.amdhsa_exception_fp_ieee_underflow 0
		.amdhsa_exception_fp_ieee_inexact 0
		.amdhsa_exception_int_div_zero 0
	.end_amdhsa_kernel
	.section	.text._ZN7rocprim17ROCPRIM_400000_NS6detail17trampoline_kernelINS0_14default_configENS1_38merge_sort_block_merge_config_selectorIfNS0_10empty_typeEEEZZNS1_27merge_sort_block_merge_implIS3_PfPS5_jNS1_19radix_merge_compareILb1ELb0EfNS0_19identity_decomposerEEEEE10hipError_tT0_T1_T2_jT3_P12ihipStream_tbPNSt15iterator_traitsISE_E10value_typeEPNSK_ISF_E10value_typeEPSG_NS1_7vsmem_tEENKUlT_SE_SF_SG_E_clIS8_S8_S9_S9_EESD_ST_SE_SF_SG_EUlST_E1_NS1_11comp_targetILNS1_3genE4ELNS1_11target_archE910ELNS1_3gpuE8ELNS1_3repE0EEENS1_36merge_oddeven_config_static_selectorELNS0_4arch9wavefront6targetE0EEEvSF_,"axG",@progbits,_ZN7rocprim17ROCPRIM_400000_NS6detail17trampoline_kernelINS0_14default_configENS1_38merge_sort_block_merge_config_selectorIfNS0_10empty_typeEEEZZNS1_27merge_sort_block_merge_implIS3_PfPS5_jNS1_19radix_merge_compareILb1ELb0EfNS0_19identity_decomposerEEEEE10hipError_tT0_T1_T2_jT3_P12ihipStream_tbPNSt15iterator_traitsISE_E10value_typeEPNSK_ISF_E10value_typeEPSG_NS1_7vsmem_tEENKUlT_SE_SF_SG_E_clIS8_S8_S9_S9_EESD_ST_SE_SF_SG_EUlST_E1_NS1_11comp_targetILNS1_3genE4ELNS1_11target_archE910ELNS1_3gpuE8ELNS1_3repE0EEENS1_36merge_oddeven_config_static_selectorELNS0_4arch9wavefront6targetE0EEEvSF_,comdat
.Lfunc_end1280:
	.size	_ZN7rocprim17ROCPRIM_400000_NS6detail17trampoline_kernelINS0_14default_configENS1_38merge_sort_block_merge_config_selectorIfNS0_10empty_typeEEEZZNS1_27merge_sort_block_merge_implIS3_PfPS5_jNS1_19radix_merge_compareILb1ELb0EfNS0_19identity_decomposerEEEEE10hipError_tT0_T1_T2_jT3_P12ihipStream_tbPNSt15iterator_traitsISE_E10value_typeEPNSK_ISF_E10value_typeEPSG_NS1_7vsmem_tEENKUlT_SE_SF_SG_E_clIS8_S8_S9_S9_EESD_ST_SE_SF_SG_EUlST_E1_NS1_11comp_targetILNS1_3genE4ELNS1_11target_archE910ELNS1_3gpuE8ELNS1_3repE0EEENS1_36merge_oddeven_config_static_selectorELNS0_4arch9wavefront6targetE0EEEvSF_, .Lfunc_end1280-_ZN7rocprim17ROCPRIM_400000_NS6detail17trampoline_kernelINS0_14default_configENS1_38merge_sort_block_merge_config_selectorIfNS0_10empty_typeEEEZZNS1_27merge_sort_block_merge_implIS3_PfPS5_jNS1_19radix_merge_compareILb1ELb0EfNS0_19identity_decomposerEEEEE10hipError_tT0_T1_T2_jT3_P12ihipStream_tbPNSt15iterator_traitsISE_E10value_typeEPNSK_ISF_E10value_typeEPSG_NS1_7vsmem_tEENKUlT_SE_SF_SG_E_clIS8_S8_S9_S9_EESD_ST_SE_SF_SG_EUlST_E1_NS1_11comp_targetILNS1_3genE4ELNS1_11target_archE910ELNS1_3gpuE8ELNS1_3repE0EEENS1_36merge_oddeven_config_static_selectorELNS0_4arch9wavefront6targetE0EEEvSF_
                                        ; -- End function
	.set _ZN7rocprim17ROCPRIM_400000_NS6detail17trampoline_kernelINS0_14default_configENS1_38merge_sort_block_merge_config_selectorIfNS0_10empty_typeEEEZZNS1_27merge_sort_block_merge_implIS3_PfPS5_jNS1_19radix_merge_compareILb1ELb0EfNS0_19identity_decomposerEEEEE10hipError_tT0_T1_T2_jT3_P12ihipStream_tbPNSt15iterator_traitsISE_E10value_typeEPNSK_ISF_E10value_typeEPSG_NS1_7vsmem_tEENKUlT_SE_SF_SG_E_clIS8_S8_S9_S9_EESD_ST_SE_SF_SG_EUlST_E1_NS1_11comp_targetILNS1_3genE4ELNS1_11target_archE910ELNS1_3gpuE8ELNS1_3repE0EEENS1_36merge_oddeven_config_static_selectorELNS0_4arch9wavefront6targetE0EEEvSF_.num_vgpr, 0
	.set _ZN7rocprim17ROCPRIM_400000_NS6detail17trampoline_kernelINS0_14default_configENS1_38merge_sort_block_merge_config_selectorIfNS0_10empty_typeEEEZZNS1_27merge_sort_block_merge_implIS3_PfPS5_jNS1_19radix_merge_compareILb1ELb0EfNS0_19identity_decomposerEEEEE10hipError_tT0_T1_T2_jT3_P12ihipStream_tbPNSt15iterator_traitsISE_E10value_typeEPNSK_ISF_E10value_typeEPSG_NS1_7vsmem_tEENKUlT_SE_SF_SG_E_clIS8_S8_S9_S9_EESD_ST_SE_SF_SG_EUlST_E1_NS1_11comp_targetILNS1_3genE4ELNS1_11target_archE910ELNS1_3gpuE8ELNS1_3repE0EEENS1_36merge_oddeven_config_static_selectorELNS0_4arch9wavefront6targetE0EEEvSF_.num_agpr, 0
	.set _ZN7rocprim17ROCPRIM_400000_NS6detail17trampoline_kernelINS0_14default_configENS1_38merge_sort_block_merge_config_selectorIfNS0_10empty_typeEEEZZNS1_27merge_sort_block_merge_implIS3_PfPS5_jNS1_19radix_merge_compareILb1ELb0EfNS0_19identity_decomposerEEEEE10hipError_tT0_T1_T2_jT3_P12ihipStream_tbPNSt15iterator_traitsISE_E10value_typeEPNSK_ISF_E10value_typeEPSG_NS1_7vsmem_tEENKUlT_SE_SF_SG_E_clIS8_S8_S9_S9_EESD_ST_SE_SF_SG_EUlST_E1_NS1_11comp_targetILNS1_3genE4ELNS1_11target_archE910ELNS1_3gpuE8ELNS1_3repE0EEENS1_36merge_oddeven_config_static_selectorELNS0_4arch9wavefront6targetE0EEEvSF_.numbered_sgpr, 0
	.set _ZN7rocprim17ROCPRIM_400000_NS6detail17trampoline_kernelINS0_14default_configENS1_38merge_sort_block_merge_config_selectorIfNS0_10empty_typeEEEZZNS1_27merge_sort_block_merge_implIS3_PfPS5_jNS1_19radix_merge_compareILb1ELb0EfNS0_19identity_decomposerEEEEE10hipError_tT0_T1_T2_jT3_P12ihipStream_tbPNSt15iterator_traitsISE_E10value_typeEPNSK_ISF_E10value_typeEPSG_NS1_7vsmem_tEENKUlT_SE_SF_SG_E_clIS8_S8_S9_S9_EESD_ST_SE_SF_SG_EUlST_E1_NS1_11comp_targetILNS1_3genE4ELNS1_11target_archE910ELNS1_3gpuE8ELNS1_3repE0EEENS1_36merge_oddeven_config_static_selectorELNS0_4arch9wavefront6targetE0EEEvSF_.num_named_barrier, 0
	.set _ZN7rocprim17ROCPRIM_400000_NS6detail17trampoline_kernelINS0_14default_configENS1_38merge_sort_block_merge_config_selectorIfNS0_10empty_typeEEEZZNS1_27merge_sort_block_merge_implIS3_PfPS5_jNS1_19radix_merge_compareILb1ELb0EfNS0_19identity_decomposerEEEEE10hipError_tT0_T1_T2_jT3_P12ihipStream_tbPNSt15iterator_traitsISE_E10value_typeEPNSK_ISF_E10value_typeEPSG_NS1_7vsmem_tEENKUlT_SE_SF_SG_E_clIS8_S8_S9_S9_EESD_ST_SE_SF_SG_EUlST_E1_NS1_11comp_targetILNS1_3genE4ELNS1_11target_archE910ELNS1_3gpuE8ELNS1_3repE0EEENS1_36merge_oddeven_config_static_selectorELNS0_4arch9wavefront6targetE0EEEvSF_.private_seg_size, 0
	.set _ZN7rocprim17ROCPRIM_400000_NS6detail17trampoline_kernelINS0_14default_configENS1_38merge_sort_block_merge_config_selectorIfNS0_10empty_typeEEEZZNS1_27merge_sort_block_merge_implIS3_PfPS5_jNS1_19radix_merge_compareILb1ELb0EfNS0_19identity_decomposerEEEEE10hipError_tT0_T1_T2_jT3_P12ihipStream_tbPNSt15iterator_traitsISE_E10value_typeEPNSK_ISF_E10value_typeEPSG_NS1_7vsmem_tEENKUlT_SE_SF_SG_E_clIS8_S8_S9_S9_EESD_ST_SE_SF_SG_EUlST_E1_NS1_11comp_targetILNS1_3genE4ELNS1_11target_archE910ELNS1_3gpuE8ELNS1_3repE0EEENS1_36merge_oddeven_config_static_selectorELNS0_4arch9wavefront6targetE0EEEvSF_.uses_vcc, 0
	.set _ZN7rocprim17ROCPRIM_400000_NS6detail17trampoline_kernelINS0_14default_configENS1_38merge_sort_block_merge_config_selectorIfNS0_10empty_typeEEEZZNS1_27merge_sort_block_merge_implIS3_PfPS5_jNS1_19radix_merge_compareILb1ELb0EfNS0_19identity_decomposerEEEEE10hipError_tT0_T1_T2_jT3_P12ihipStream_tbPNSt15iterator_traitsISE_E10value_typeEPNSK_ISF_E10value_typeEPSG_NS1_7vsmem_tEENKUlT_SE_SF_SG_E_clIS8_S8_S9_S9_EESD_ST_SE_SF_SG_EUlST_E1_NS1_11comp_targetILNS1_3genE4ELNS1_11target_archE910ELNS1_3gpuE8ELNS1_3repE0EEENS1_36merge_oddeven_config_static_selectorELNS0_4arch9wavefront6targetE0EEEvSF_.uses_flat_scratch, 0
	.set _ZN7rocprim17ROCPRIM_400000_NS6detail17trampoline_kernelINS0_14default_configENS1_38merge_sort_block_merge_config_selectorIfNS0_10empty_typeEEEZZNS1_27merge_sort_block_merge_implIS3_PfPS5_jNS1_19radix_merge_compareILb1ELb0EfNS0_19identity_decomposerEEEEE10hipError_tT0_T1_T2_jT3_P12ihipStream_tbPNSt15iterator_traitsISE_E10value_typeEPNSK_ISF_E10value_typeEPSG_NS1_7vsmem_tEENKUlT_SE_SF_SG_E_clIS8_S8_S9_S9_EESD_ST_SE_SF_SG_EUlST_E1_NS1_11comp_targetILNS1_3genE4ELNS1_11target_archE910ELNS1_3gpuE8ELNS1_3repE0EEENS1_36merge_oddeven_config_static_selectorELNS0_4arch9wavefront6targetE0EEEvSF_.has_dyn_sized_stack, 0
	.set _ZN7rocprim17ROCPRIM_400000_NS6detail17trampoline_kernelINS0_14default_configENS1_38merge_sort_block_merge_config_selectorIfNS0_10empty_typeEEEZZNS1_27merge_sort_block_merge_implIS3_PfPS5_jNS1_19radix_merge_compareILb1ELb0EfNS0_19identity_decomposerEEEEE10hipError_tT0_T1_T2_jT3_P12ihipStream_tbPNSt15iterator_traitsISE_E10value_typeEPNSK_ISF_E10value_typeEPSG_NS1_7vsmem_tEENKUlT_SE_SF_SG_E_clIS8_S8_S9_S9_EESD_ST_SE_SF_SG_EUlST_E1_NS1_11comp_targetILNS1_3genE4ELNS1_11target_archE910ELNS1_3gpuE8ELNS1_3repE0EEENS1_36merge_oddeven_config_static_selectorELNS0_4arch9wavefront6targetE0EEEvSF_.has_recursion, 0
	.set _ZN7rocprim17ROCPRIM_400000_NS6detail17trampoline_kernelINS0_14default_configENS1_38merge_sort_block_merge_config_selectorIfNS0_10empty_typeEEEZZNS1_27merge_sort_block_merge_implIS3_PfPS5_jNS1_19radix_merge_compareILb1ELb0EfNS0_19identity_decomposerEEEEE10hipError_tT0_T1_T2_jT3_P12ihipStream_tbPNSt15iterator_traitsISE_E10value_typeEPNSK_ISF_E10value_typeEPSG_NS1_7vsmem_tEENKUlT_SE_SF_SG_E_clIS8_S8_S9_S9_EESD_ST_SE_SF_SG_EUlST_E1_NS1_11comp_targetILNS1_3genE4ELNS1_11target_archE910ELNS1_3gpuE8ELNS1_3repE0EEENS1_36merge_oddeven_config_static_selectorELNS0_4arch9wavefront6targetE0EEEvSF_.has_indirect_call, 0
	.section	.AMDGPU.csdata,"",@progbits
; Kernel info:
; codeLenInByte = 0
; TotalNumSgprs: 0
; NumVgprs: 0
; ScratchSize: 0
; MemoryBound: 0
; FloatMode: 240
; IeeeMode: 1
; LDSByteSize: 0 bytes/workgroup (compile time only)
; SGPRBlocks: 0
; VGPRBlocks: 0
; NumSGPRsForWavesPerEU: 1
; NumVGPRsForWavesPerEU: 1
; NamedBarCnt: 0
; Occupancy: 16
; WaveLimiterHint : 0
; COMPUTE_PGM_RSRC2:SCRATCH_EN: 0
; COMPUTE_PGM_RSRC2:USER_SGPR: 2
; COMPUTE_PGM_RSRC2:TRAP_HANDLER: 0
; COMPUTE_PGM_RSRC2:TGID_X_EN: 1
; COMPUTE_PGM_RSRC2:TGID_Y_EN: 0
; COMPUTE_PGM_RSRC2:TGID_Z_EN: 0
; COMPUTE_PGM_RSRC2:TIDIG_COMP_CNT: 0
	.section	.text._ZN7rocprim17ROCPRIM_400000_NS6detail17trampoline_kernelINS0_14default_configENS1_38merge_sort_block_merge_config_selectorIfNS0_10empty_typeEEEZZNS1_27merge_sort_block_merge_implIS3_PfPS5_jNS1_19radix_merge_compareILb1ELb0EfNS0_19identity_decomposerEEEEE10hipError_tT0_T1_T2_jT3_P12ihipStream_tbPNSt15iterator_traitsISE_E10value_typeEPNSK_ISF_E10value_typeEPSG_NS1_7vsmem_tEENKUlT_SE_SF_SG_E_clIS8_S8_S9_S9_EESD_ST_SE_SF_SG_EUlST_E1_NS1_11comp_targetILNS1_3genE3ELNS1_11target_archE908ELNS1_3gpuE7ELNS1_3repE0EEENS1_36merge_oddeven_config_static_selectorELNS0_4arch9wavefront6targetE0EEEvSF_,"axG",@progbits,_ZN7rocprim17ROCPRIM_400000_NS6detail17trampoline_kernelINS0_14default_configENS1_38merge_sort_block_merge_config_selectorIfNS0_10empty_typeEEEZZNS1_27merge_sort_block_merge_implIS3_PfPS5_jNS1_19radix_merge_compareILb1ELb0EfNS0_19identity_decomposerEEEEE10hipError_tT0_T1_T2_jT3_P12ihipStream_tbPNSt15iterator_traitsISE_E10value_typeEPNSK_ISF_E10value_typeEPSG_NS1_7vsmem_tEENKUlT_SE_SF_SG_E_clIS8_S8_S9_S9_EESD_ST_SE_SF_SG_EUlST_E1_NS1_11comp_targetILNS1_3genE3ELNS1_11target_archE908ELNS1_3gpuE7ELNS1_3repE0EEENS1_36merge_oddeven_config_static_selectorELNS0_4arch9wavefront6targetE0EEEvSF_,comdat
	.protected	_ZN7rocprim17ROCPRIM_400000_NS6detail17trampoline_kernelINS0_14default_configENS1_38merge_sort_block_merge_config_selectorIfNS0_10empty_typeEEEZZNS1_27merge_sort_block_merge_implIS3_PfPS5_jNS1_19radix_merge_compareILb1ELb0EfNS0_19identity_decomposerEEEEE10hipError_tT0_T1_T2_jT3_P12ihipStream_tbPNSt15iterator_traitsISE_E10value_typeEPNSK_ISF_E10value_typeEPSG_NS1_7vsmem_tEENKUlT_SE_SF_SG_E_clIS8_S8_S9_S9_EESD_ST_SE_SF_SG_EUlST_E1_NS1_11comp_targetILNS1_3genE3ELNS1_11target_archE908ELNS1_3gpuE7ELNS1_3repE0EEENS1_36merge_oddeven_config_static_selectorELNS0_4arch9wavefront6targetE0EEEvSF_ ; -- Begin function _ZN7rocprim17ROCPRIM_400000_NS6detail17trampoline_kernelINS0_14default_configENS1_38merge_sort_block_merge_config_selectorIfNS0_10empty_typeEEEZZNS1_27merge_sort_block_merge_implIS3_PfPS5_jNS1_19radix_merge_compareILb1ELb0EfNS0_19identity_decomposerEEEEE10hipError_tT0_T1_T2_jT3_P12ihipStream_tbPNSt15iterator_traitsISE_E10value_typeEPNSK_ISF_E10value_typeEPSG_NS1_7vsmem_tEENKUlT_SE_SF_SG_E_clIS8_S8_S9_S9_EESD_ST_SE_SF_SG_EUlST_E1_NS1_11comp_targetILNS1_3genE3ELNS1_11target_archE908ELNS1_3gpuE7ELNS1_3repE0EEENS1_36merge_oddeven_config_static_selectorELNS0_4arch9wavefront6targetE0EEEvSF_
	.globl	_ZN7rocprim17ROCPRIM_400000_NS6detail17trampoline_kernelINS0_14default_configENS1_38merge_sort_block_merge_config_selectorIfNS0_10empty_typeEEEZZNS1_27merge_sort_block_merge_implIS3_PfPS5_jNS1_19radix_merge_compareILb1ELb0EfNS0_19identity_decomposerEEEEE10hipError_tT0_T1_T2_jT3_P12ihipStream_tbPNSt15iterator_traitsISE_E10value_typeEPNSK_ISF_E10value_typeEPSG_NS1_7vsmem_tEENKUlT_SE_SF_SG_E_clIS8_S8_S9_S9_EESD_ST_SE_SF_SG_EUlST_E1_NS1_11comp_targetILNS1_3genE3ELNS1_11target_archE908ELNS1_3gpuE7ELNS1_3repE0EEENS1_36merge_oddeven_config_static_selectorELNS0_4arch9wavefront6targetE0EEEvSF_
	.p2align	8
	.type	_ZN7rocprim17ROCPRIM_400000_NS6detail17trampoline_kernelINS0_14default_configENS1_38merge_sort_block_merge_config_selectorIfNS0_10empty_typeEEEZZNS1_27merge_sort_block_merge_implIS3_PfPS5_jNS1_19radix_merge_compareILb1ELb0EfNS0_19identity_decomposerEEEEE10hipError_tT0_T1_T2_jT3_P12ihipStream_tbPNSt15iterator_traitsISE_E10value_typeEPNSK_ISF_E10value_typeEPSG_NS1_7vsmem_tEENKUlT_SE_SF_SG_E_clIS8_S8_S9_S9_EESD_ST_SE_SF_SG_EUlST_E1_NS1_11comp_targetILNS1_3genE3ELNS1_11target_archE908ELNS1_3gpuE7ELNS1_3repE0EEENS1_36merge_oddeven_config_static_selectorELNS0_4arch9wavefront6targetE0EEEvSF_,@function
_ZN7rocprim17ROCPRIM_400000_NS6detail17trampoline_kernelINS0_14default_configENS1_38merge_sort_block_merge_config_selectorIfNS0_10empty_typeEEEZZNS1_27merge_sort_block_merge_implIS3_PfPS5_jNS1_19radix_merge_compareILb1ELb0EfNS0_19identity_decomposerEEEEE10hipError_tT0_T1_T2_jT3_P12ihipStream_tbPNSt15iterator_traitsISE_E10value_typeEPNSK_ISF_E10value_typeEPSG_NS1_7vsmem_tEENKUlT_SE_SF_SG_E_clIS8_S8_S9_S9_EESD_ST_SE_SF_SG_EUlST_E1_NS1_11comp_targetILNS1_3genE3ELNS1_11target_archE908ELNS1_3gpuE7ELNS1_3repE0EEENS1_36merge_oddeven_config_static_selectorELNS0_4arch9wavefront6targetE0EEEvSF_: ; @_ZN7rocprim17ROCPRIM_400000_NS6detail17trampoline_kernelINS0_14default_configENS1_38merge_sort_block_merge_config_selectorIfNS0_10empty_typeEEEZZNS1_27merge_sort_block_merge_implIS3_PfPS5_jNS1_19radix_merge_compareILb1ELb0EfNS0_19identity_decomposerEEEEE10hipError_tT0_T1_T2_jT3_P12ihipStream_tbPNSt15iterator_traitsISE_E10value_typeEPNSK_ISF_E10value_typeEPSG_NS1_7vsmem_tEENKUlT_SE_SF_SG_E_clIS8_S8_S9_S9_EESD_ST_SE_SF_SG_EUlST_E1_NS1_11comp_targetILNS1_3genE3ELNS1_11target_archE908ELNS1_3gpuE7ELNS1_3repE0EEENS1_36merge_oddeven_config_static_selectorELNS0_4arch9wavefront6targetE0EEEvSF_
; %bb.0:
	.section	.rodata,"a",@progbits
	.p2align	6, 0x0
	.amdhsa_kernel _ZN7rocprim17ROCPRIM_400000_NS6detail17trampoline_kernelINS0_14default_configENS1_38merge_sort_block_merge_config_selectorIfNS0_10empty_typeEEEZZNS1_27merge_sort_block_merge_implIS3_PfPS5_jNS1_19radix_merge_compareILb1ELb0EfNS0_19identity_decomposerEEEEE10hipError_tT0_T1_T2_jT3_P12ihipStream_tbPNSt15iterator_traitsISE_E10value_typeEPNSK_ISF_E10value_typeEPSG_NS1_7vsmem_tEENKUlT_SE_SF_SG_E_clIS8_S8_S9_S9_EESD_ST_SE_SF_SG_EUlST_E1_NS1_11comp_targetILNS1_3genE3ELNS1_11target_archE908ELNS1_3gpuE7ELNS1_3repE0EEENS1_36merge_oddeven_config_static_selectorELNS0_4arch9wavefront6targetE0EEEvSF_
		.amdhsa_group_segment_fixed_size 0
		.amdhsa_private_segment_fixed_size 0
		.amdhsa_kernarg_size 48
		.amdhsa_user_sgpr_count 2
		.amdhsa_user_sgpr_dispatch_ptr 0
		.amdhsa_user_sgpr_queue_ptr 0
		.amdhsa_user_sgpr_kernarg_segment_ptr 1
		.amdhsa_user_sgpr_dispatch_id 0
		.amdhsa_user_sgpr_kernarg_preload_length 0
		.amdhsa_user_sgpr_kernarg_preload_offset 0
		.amdhsa_user_sgpr_private_segment_size 0
		.amdhsa_wavefront_size32 1
		.amdhsa_uses_dynamic_stack 0
		.amdhsa_enable_private_segment 0
		.amdhsa_system_sgpr_workgroup_id_x 1
		.amdhsa_system_sgpr_workgroup_id_y 0
		.amdhsa_system_sgpr_workgroup_id_z 0
		.amdhsa_system_sgpr_workgroup_info 0
		.amdhsa_system_vgpr_workitem_id 0
		.amdhsa_next_free_vgpr 1
		.amdhsa_next_free_sgpr 1
		.amdhsa_named_barrier_count 0
		.amdhsa_reserve_vcc 0
		.amdhsa_float_round_mode_32 0
		.amdhsa_float_round_mode_16_64 0
		.amdhsa_float_denorm_mode_32 3
		.amdhsa_float_denorm_mode_16_64 3
		.amdhsa_fp16_overflow 0
		.amdhsa_memory_ordered 1
		.amdhsa_forward_progress 1
		.amdhsa_inst_pref_size 0
		.amdhsa_round_robin_scheduling 0
		.amdhsa_exception_fp_ieee_invalid_op 0
		.amdhsa_exception_fp_denorm_src 0
		.amdhsa_exception_fp_ieee_div_zero 0
		.amdhsa_exception_fp_ieee_overflow 0
		.amdhsa_exception_fp_ieee_underflow 0
		.amdhsa_exception_fp_ieee_inexact 0
		.amdhsa_exception_int_div_zero 0
	.end_amdhsa_kernel
	.section	.text._ZN7rocprim17ROCPRIM_400000_NS6detail17trampoline_kernelINS0_14default_configENS1_38merge_sort_block_merge_config_selectorIfNS0_10empty_typeEEEZZNS1_27merge_sort_block_merge_implIS3_PfPS5_jNS1_19radix_merge_compareILb1ELb0EfNS0_19identity_decomposerEEEEE10hipError_tT0_T1_T2_jT3_P12ihipStream_tbPNSt15iterator_traitsISE_E10value_typeEPNSK_ISF_E10value_typeEPSG_NS1_7vsmem_tEENKUlT_SE_SF_SG_E_clIS8_S8_S9_S9_EESD_ST_SE_SF_SG_EUlST_E1_NS1_11comp_targetILNS1_3genE3ELNS1_11target_archE908ELNS1_3gpuE7ELNS1_3repE0EEENS1_36merge_oddeven_config_static_selectorELNS0_4arch9wavefront6targetE0EEEvSF_,"axG",@progbits,_ZN7rocprim17ROCPRIM_400000_NS6detail17trampoline_kernelINS0_14default_configENS1_38merge_sort_block_merge_config_selectorIfNS0_10empty_typeEEEZZNS1_27merge_sort_block_merge_implIS3_PfPS5_jNS1_19radix_merge_compareILb1ELb0EfNS0_19identity_decomposerEEEEE10hipError_tT0_T1_T2_jT3_P12ihipStream_tbPNSt15iterator_traitsISE_E10value_typeEPNSK_ISF_E10value_typeEPSG_NS1_7vsmem_tEENKUlT_SE_SF_SG_E_clIS8_S8_S9_S9_EESD_ST_SE_SF_SG_EUlST_E1_NS1_11comp_targetILNS1_3genE3ELNS1_11target_archE908ELNS1_3gpuE7ELNS1_3repE0EEENS1_36merge_oddeven_config_static_selectorELNS0_4arch9wavefront6targetE0EEEvSF_,comdat
.Lfunc_end1281:
	.size	_ZN7rocprim17ROCPRIM_400000_NS6detail17trampoline_kernelINS0_14default_configENS1_38merge_sort_block_merge_config_selectorIfNS0_10empty_typeEEEZZNS1_27merge_sort_block_merge_implIS3_PfPS5_jNS1_19radix_merge_compareILb1ELb0EfNS0_19identity_decomposerEEEEE10hipError_tT0_T1_T2_jT3_P12ihipStream_tbPNSt15iterator_traitsISE_E10value_typeEPNSK_ISF_E10value_typeEPSG_NS1_7vsmem_tEENKUlT_SE_SF_SG_E_clIS8_S8_S9_S9_EESD_ST_SE_SF_SG_EUlST_E1_NS1_11comp_targetILNS1_3genE3ELNS1_11target_archE908ELNS1_3gpuE7ELNS1_3repE0EEENS1_36merge_oddeven_config_static_selectorELNS0_4arch9wavefront6targetE0EEEvSF_, .Lfunc_end1281-_ZN7rocprim17ROCPRIM_400000_NS6detail17trampoline_kernelINS0_14default_configENS1_38merge_sort_block_merge_config_selectorIfNS0_10empty_typeEEEZZNS1_27merge_sort_block_merge_implIS3_PfPS5_jNS1_19radix_merge_compareILb1ELb0EfNS0_19identity_decomposerEEEEE10hipError_tT0_T1_T2_jT3_P12ihipStream_tbPNSt15iterator_traitsISE_E10value_typeEPNSK_ISF_E10value_typeEPSG_NS1_7vsmem_tEENKUlT_SE_SF_SG_E_clIS8_S8_S9_S9_EESD_ST_SE_SF_SG_EUlST_E1_NS1_11comp_targetILNS1_3genE3ELNS1_11target_archE908ELNS1_3gpuE7ELNS1_3repE0EEENS1_36merge_oddeven_config_static_selectorELNS0_4arch9wavefront6targetE0EEEvSF_
                                        ; -- End function
	.set _ZN7rocprim17ROCPRIM_400000_NS6detail17trampoline_kernelINS0_14default_configENS1_38merge_sort_block_merge_config_selectorIfNS0_10empty_typeEEEZZNS1_27merge_sort_block_merge_implIS3_PfPS5_jNS1_19radix_merge_compareILb1ELb0EfNS0_19identity_decomposerEEEEE10hipError_tT0_T1_T2_jT3_P12ihipStream_tbPNSt15iterator_traitsISE_E10value_typeEPNSK_ISF_E10value_typeEPSG_NS1_7vsmem_tEENKUlT_SE_SF_SG_E_clIS8_S8_S9_S9_EESD_ST_SE_SF_SG_EUlST_E1_NS1_11comp_targetILNS1_3genE3ELNS1_11target_archE908ELNS1_3gpuE7ELNS1_3repE0EEENS1_36merge_oddeven_config_static_selectorELNS0_4arch9wavefront6targetE0EEEvSF_.num_vgpr, 0
	.set _ZN7rocprim17ROCPRIM_400000_NS6detail17trampoline_kernelINS0_14default_configENS1_38merge_sort_block_merge_config_selectorIfNS0_10empty_typeEEEZZNS1_27merge_sort_block_merge_implIS3_PfPS5_jNS1_19radix_merge_compareILb1ELb0EfNS0_19identity_decomposerEEEEE10hipError_tT0_T1_T2_jT3_P12ihipStream_tbPNSt15iterator_traitsISE_E10value_typeEPNSK_ISF_E10value_typeEPSG_NS1_7vsmem_tEENKUlT_SE_SF_SG_E_clIS8_S8_S9_S9_EESD_ST_SE_SF_SG_EUlST_E1_NS1_11comp_targetILNS1_3genE3ELNS1_11target_archE908ELNS1_3gpuE7ELNS1_3repE0EEENS1_36merge_oddeven_config_static_selectorELNS0_4arch9wavefront6targetE0EEEvSF_.num_agpr, 0
	.set _ZN7rocprim17ROCPRIM_400000_NS6detail17trampoline_kernelINS0_14default_configENS1_38merge_sort_block_merge_config_selectorIfNS0_10empty_typeEEEZZNS1_27merge_sort_block_merge_implIS3_PfPS5_jNS1_19radix_merge_compareILb1ELb0EfNS0_19identity_decomposerEEEEE10hipError_tT0_T1_T2_jT3_P12ihipStream_tbPNSt15iterator_traitsISE_E10value_typeEPNSK_ISF_E10value_typeEPSG_NS1_7vsmem_tEENKUlT_SE_SF_SG_E_clIS8_S8_S9_S9_EESD_ST_SE_SF_SG_EUlST_E1_NS1_11comp_targetILNS1_3genE3ELNS1_11target_archE908ELNS1_3gpuE7ELNS1_3repE0EEENS1_36merge_oddeven_config_static_selectorELNS0_4arch9wavefront6targetE0EEEvSF_.numbered_sgpr, 0
	.set _ZN7rocprim17ROCPRIM_400000_NS6detail17trampoline_kernelINS0_14default_configENS1_38merge_sort_block_merge_config_selectorIfNS0_10empty_typeEEEZZNS1_27merge_sort_block_merge_implIS3_PfPS5_jNS1_19radix_merge_compareILb1ELb0EfNS0_19identity_decomposerEEEEE10hipError_tT0_T1_T2_jT3_P12ihipStream_tbPNSt15iterator_traitsISE_E10value_typeEPNSK_ISF_E10value_typeEPSG_NS1_7vsmem_tEENKUlT_SE_SF_SG_E_clIS8_S8_S9_S9_EESD_ST_SE_SF_SG_EUlST_E1_NS1_11comp_targetILNS1_3genE3ELNS1_11target_archE908ELNS1_3gpuE7ELNS1_3repE0EEENS1_36merge_oddeven_config_static_selectorELNS0_4arch9wavefront6targetE0EEEvSF_.num_named_barrier, 0
	.set _ZN7rocprim17ROCPRIM_400000_NS6detail17trampoline_kernelINS0_14default_configENS1_38merge_sort_block_merge_config_selectorIfNS0_10empty_typeEEEZZNS1_27merge_sort_block_merge_implIS3_PfPS5_jNS1_19radix_merge_compareILb1ELb0EfNS0_19identity_decomposerEEEEE10hipError_tT0_T1_T2_jT3_P12ihipStream_tbPNSt15iterator_traitsISE_E10value_typeEPNSK_ISF_E10value_typeEPSG_NS1_7vsmem_tEENKUlT_SE_SF_SG_E_clIS8_S8_S9_S9_EESD_ST_SE_SF_SG_EUlST_E1_NS1_11comp_targetILNS1_3genE3ELNS1_11target_archE908ELNS1_3gpuE7ELNS1_3repE0EEENS1_36merge_oddeven_config_static_selectorELNS0_4arch9wavefront6targetE0EEEvSF_.private_seg_size, 0
	.set _ZN7rocprim17ROCPRIM_400000_NS6detail17trampoline_kernelINS0_14default_configENS1_38merge_sort_block_merge_config_selectorIfNS0_10empty_typeEEEZZNS1_27merge_sort_block_merge_implIS3_PfPS5_jNS1_19radix_merge_compareILb1ELb0EfNS0_19identity_decomposerEEEEE10hipError_tT0_T1_T2_jT3_P12ihipStream_tbPNSt15iterator_traitsISE_E10value_typeEPNSK_ISF_E10value_typeEPSG_NS1_7vsmem_tEENKUlT_SE_SF_SG_E_clIS8_S8_S9_S9_EESD_ST_SE_SF_SG_EUlST_E1_NS1_11comp_targetILNS1_3genE3ELNS1_11target_archE908ELNS1_3gpuE7ELNS1_3repE0EEENS1_36merge_oddeven_config_static_selectorELNS0_4arch9wavefront6targetE0EEEvSF_.uses_vcc, 0
	.set _ZN7rocprim17ROCPRIM_400000_NS6detail17trampoline_kernelINS0_14default_configENS1_38merge_sort_block_merge_config_selectorIfNS0_10empty_typeEEEZZNS1_27merge_sort_block_merge_implIS3_PfPS5_jNS1_19radix_merge_compareILb1ELb0EfNS0_19identity_decomposerEEEEE10hipError_tT0_T1_T2_jT3_P12ihipStream_tbPNSt15iterator_traitsISE_E10value_typeEPNSK_ISF_E10value_typeEPSG_NS1_7vsmem_tEENKUlT_SE_SF_SG_E_clIS8_S8_S9_S9_EESD_ST_SE_SF_SG_EUlST_E1_NS1_11comp_targetILNS1_3genE3ELNS1_11target_archE908ELNS1_3gpuE7ELNS1_3repE0EEENS1_36merge_oddeven_config_static_selectorELNS0_4arch9wavefront6targetE0EEEvSF_.uses_flat_scratch, 0
	.set _ZN7rocprim17ROCPRIM_400000_NS6detail17trampoline_kernelINS0_14default_configENS1_38merge_sort_block_merge_config_selectorIfNS0_10empty_typeEEEZZNS1_27merge_sort_block_merge_implIS3_PfPS5_jNS1_19radix_merge_compareILb1ELb0EfNS0_19identity_decomposerEEEEE10hipError_tT0_T1_T2_jT3_P12ihipStream_tbPNSt15iterator_traitsISE_E10value_typeEPNSK_ISF_E10value_typeEPSG_NS1_7vsmem_tEENKUlT_SE_SF_SG_E_clIS8_S8_S9_S9_EESD_ST_SE_SF_SG_EUlST_E1_NS1_11comp_targetILNS1_3genE3ELNS1_11target_archE908ELNS1_3gpuE7ELNS1_3repE0EEENS1_36merge_oddeven_config_static_selectorELNS0_4arch9wavefront6targetE0EEEvSF_.has_dyn_sized_stack, 0
	.set _ZN7rocprim17ROCPRIM_400000_NS6detail17trampoline_kernelINS0_14default_configENS1_38merge_sort_block_merge_config_selectorIfNS0_10empty_typeEEEZZNS1_27merge_sort_block_merge_implIS3_PfPS5_jNS1_19radix_merge_compareILb1ELb0EfNS0_19identity_decomposerEEEEE10hipError_tT0_T1_T2_jT3_P12ihipStream_tbPNSt15iterator_traitsISE_E10value_typeEPNSK_ISF_E10value_typeEPSG_NS1_7vsmem_tEENKUlT_SE_SF_SG_E_clIS8_S8_S9_S9_EESD_ST_SE_SF_SG_EUlST_E1_NS1_11comp_targetILNS1_3genE3ELNS1_11target_archE908ELNS1_3gpuE7ELNS1_3repE0EEENS1_36merge_oddeven_config_static_selectorELNS0_4arch9wavefront6targetE0EEEvSF_.has_recursion, 0
	.set _ZN7rocprim17ROCPRIM_400000_NS6detail17trampoline_kernelINS0_14default_configENS1_38merge_sort_block_merge_config_selectorIfNS0_10empty_typeEEEZZNS1_27merge_sort_block_merge_implIS3_PfPS5_jNS1_19radix_merge_compareILb1ELb0EfNS0_19identity_decomposerEEEEE10hipError_tT0_T1_T2_jT3_P12ihipStream_tbPNSt15iterator_traitsISE_E10value_typeEPNSK_ISF_E10value_typeEPSG_NS1_7vsmem_tEENKUlT_SE_SF_SG_E_clIS8_S8_S9_S9_EESD_ST_SE_SF_SG_EUlST_E1_NS1_11comp_targetILNS1_3genE3ELNS1_11target_archE908ELNS1_3gpuE7ELNS1_3repE0EEENS1_36merge_oddeven_config_static_selectorELNS0_4arch9wavefront6targetE0EEEvSF_.has_indirect_call, 0
	.section	.AMDGPU.csdata,"",@progbits
; Kernel info:
; codeLenInByte = 0
; TotalNumSgprs: 0
; NumVgprs: 0
; ScratchSize: 0
; MemoryBound: 0
; FloatMode: 240
; IeeeMode: 1
; LDSByteSize: 0 bytes/workgroup (compile time only)
; SGPRBlocks: 0
; VGPRBlocks: 0
; NumSGPRsForWavesPerEU: 1
; NumVGPRsForWavesPerEU: 1
; NamedBarCnt: 0
; Occupancy: 16
; WaveLimiterHint : 0
; COMPUTE_PGM_RSRC2:SCRATCH_EN: 0
; COMPUTE_PGM_RSRC2:USER_SGPR: 2
; COMPUTE_PGM_RSRC2:TRAP_HANDLER: 0
; COMPUTE_PGM_RSRC2:TGID_X_EN: 1
; COMPUTE_PGM_RSRC2:TGID_Y_EN: 0
; COMPUTE_PGM_RSRC2:TGID_Z_EN: 0
; COMPUTE_PGM_RSRC2:TIDIG_COMP_CNT: 0
	.section	.text._ZN7rocprim17ROCPRIM_400000_NS6detail17trampoline_kernelINS0_14default_configENS1_38merge_sort_block_merge_config_selectorIfNS0_10empty_typeEEEZZNS1_27merge_sort_block_merge_implIS3_PfPS5_jNS1_19radix_merge_compareILb1ELb0EfNS0_19identity_decomposerEEEEE10hipError_tT0_T1_T2_jT3_P12ihipStream_tbPNSt15iterator_traitsISE_E10value_typeEPNSK_ISF_E10value_typeEPSG_NS1_7vsmem_tEENKUlT_SE_SF_SG_E_clIS8_S8_S9_S9_EESD_ST_SE_SF_SG_EUlST_E1_NS1_11comp_targetILNS1_3genE2ELNS1_11target_archE906ELNS1_3gpuE6ELNS1_3repE0EEENS1_36merge_oddeven_config_static_selectorELNS0_4arch9wavefront6targetE0EEEvSF_,"axG",@progbits,_ZN7rocprim17ROCPRIM_400000_NS6detail17trampoline_kernelINS0_14default_configENS1_38merge_sort_block_merge_config_selectorIfNS0_10empty_typeEEEZZNS1_27merge_sort_block_merge_implIS3_PfPS5_jNS1_19radix_merge_compareILb1ELb0EfNS0_19identity_decomposerEEEEE10hipError_tT0_T1_T2_jT3_P12ihipStream_tbPNSt15iterator_traitsISE_E10value_typeEPNSK_ISF_E10value_typeEPSG_NS1_7vsmem_tEENKUlT_SE_SF_SG_E_clIS8_S8_S9_S9_EESD_ST_SE_SF_SG_EUlST_E1_NS1_11comp_targetILNS1_3genE2ELNS1_11target_archE906ELNS1_3gpuE6ELNS1_3repE0EEENS1_36merge_oddeven_config_static_selectorELNS0_4arch9wavefront6targetE0EEEvSF_,comdat
	.protected	_ZN7rocprim17ROCPRIM_400000_NS6detail17trampoline_kernelINS0_14default_configENS1_38merge_sort_block_merge_config_selectorIfNS0_10empty_typeEEEZZNS1_27merge_sort_block_merge_implIS3_PfPS5_jNS1_19radix_merge_compareILb1ELb0EfNS0_19identity_decomposerEEEEE10hipError_tT0_T1_T2_jT3_P12ihipStream_tbPNSt15iterator_traitsISE_E10value_typeEPNSK_ISF_E10value_typeEPSG_NS1_7vsmem_tEENKUlT_SE_SF_SG_E_clIS8_S8_S9_S9_EESD_ST_SE_SF_SG_EUlST_E1_NS1_11comp_targetILNS1_3genE2ELNS1_11target_archE906ELNS1_3gpuE6ELNS1_3repE0EEENS1_36merge_oddeven_config_static_selectorELNS0_4arch9wavefront6targetE0EEEvSF_ ; -- Begin function _ZN7rocprim17ROCPRIM_400000_NS6detail17trampoline_kernelINS0_14default_configENS1_38merge_sort_block_merge_config_selectorIfNS0_10empty_typeEEEZZNS1_27merge_sort_block_merge_implIS3_PfPS5_jNS1_19radix_merge_compareILb1ELb0EfNS0_19identity_decomposerEEEEE10hipError_tT0_T1_T2_jT3_P12ihipStream_tbPNSt15iterator_traitsISE_E10value_typeEPNSK_ISF_E10value_typeEPSG_NS1_7vsmem_tEENKUlT_SE_SF_SG_E_clIS8_S8_S9_S9_EESD_ST_SE_SF_SG_EUlST_E1_NS1_11comp_targetILNS1_3genE2ELNS1_11target_archE906ELNS1_3gpuE6ELNS1_3repE0EEENS1_36merge_oddeven_config_static_selectorELNS0_4arch9wavefront6targetE0EEEvSF_
	.globl	_ZN7rocprim17ROCPRIM_400000_NS6detail17trampoline_kernelINS0_14default_configENS1_38merge_sort_block_merge_config_selectorIfNS0_10empty_typeEEEZZNS1_27merge_sort_block_merge_implIS3_PfPS5_jNS1_19radix_merge_compareILb1ELb0EfNS0_19identity_decomposerEEEEE10hipError_tT0_T1_T2_jT3_P12ihipStream_tbPNSt15iterator_traitsISE_E10value_typeEPNSK_ISF_E10value_typeEPSG_NS1_7vsmem_tEENKUlT_SE_SF_SG_E_clIS8_S8_S9_S9_EESD_ST_SE_SF_SG_EUlST_E1_NS1_11comp_targetILNS1_3genE2ELNS1_11target_archE906ELNS1_3gpuE6ELNS1_3repE0EEENS1_36merge_oddeven_config_static_selectorELNS0_4arch9wavefront6targetE0EEEvSF_
	.p2align	8
	.type	_ZN7rocprim17ROCPRIM_400000_NS6detail17trampoline_kernelINS0_14default_configENS1_38merge_sort_block_merge_config_selectorIfNS0_10empty_typeEEEZZNS1_27merge_sort_block_merge_implIS3_PfPS5_jNS1_19radix_merge_compareILb1ELb0EfNS0_19identity_decomposerEEEEE10hipError_tT0_T1_T2_jT3_P12ihipStream_tbPNSt15iterator_traitsISE_E10value_typeEPNSK_ISF_E10value_typeEPSG_NS1_7vsmem_tEENKUlT_SE_SF_SG_E_clIS8_S8_S9_S9_EESD_ST_SE_SF_SG_EUlST_E1_NS1_11comp_targetILNS1_3genE2ELNS1_11target_archE906ELNS1_3gpuE6ELNS1_3repE0EEENS1_36merge_oddeven_config_static_selectorELNS0_4arch9wavefront6targetE0EEEvSF_,@function
_ZN7rocprim17ROCPRIM_400000_NS6detail17trampoline_kernelINS0_14default_configENS1_38merge_sort_block_merge_config_selectorIfNS0_10empty_typeEEEZZNS1_27merge_sort_block_merge_implIS3_PfPS5_jNS1_19radix_merge_compareILb1ELb0EfNS0_19identity_decomposerEEEEE10hipError_tT0_T1_T2_jT3_P12ihipStream_tbPNSt15iterator_traitsISE_E10value_typeEPNSK_ISF_E10value_typeEPSG_NS1_7vsmem_tEENKUlT_SE_SF_SG_E_clIS8_S8_S9_S9_EESD_ST_SE_SF_SG_EUlST_E1_NS1_11comp_targetILNS1_3genE2ELNS1_11target_archE906ELNS1_3gpuE6ELNS1_3repE0EEENS1_36merge_oddeven_config_static_selectorELNS0_4arch9wavefront6targetE0EEEvSF_: ; @_ZN7rocprim17ROCPRIM_400000_NS6detail17trampoline_kernelINS0_14default_configENS1_38merge_sort_block_merge_config_selectorIfNS0_10empty_typeEEEZZNS1_27merge_sort_block_merge_implIS3_PfPS5_jNS1_19radix_merge_compareILb1ELb0EfNS0_19identity_decomposerEEEEE10hipError_tT0_T1_T2_jT3_P12ihipStream_tbPNSt15iterator_traitsISE_E10value_typeEPNSK_ISF_E10value_typeEPSG_NS1_7vsmem_tEENKUlT_SE_SF_SG_E_clIS8_S8_S9_S9_EESD_ST_SE_SF_SG_EUlST_E1_NS1_11comp_targetILNS1_3genE2ELNS1_11target_archE906ELNS1_3gpuE6ELNS1_3repE0EEENS1_36merge_oddeven_config_static_selectorELNS0_4arch9wavefront6targetE0EEEvSF_
; %bb.0:
	.section	.rodata,"a",@progbits
	.p2align	6, 0x0
	.amdhsa_kernel _ZN7rocprim17ROCPRIM_400000_NS6detail17trampoline_kernelINS0_14default_configENS1_38merge_sort_block_merge_config_selectorIfNS0_10empty_typeEEEZZNS1_27merge_sort_block_merge_implIS3_PfPS5_jNS1_19radix_merge_compareILb1ELb0EfNS0_19identity_decomposerEEEEE10hipError_tT0_T1_T2_jT3_P12ihipStream_tbPNSt15iterator_traitsISE_E10value_typeEPNSK_ISF_E10value_typeEPSG_NS1_7vsmem_tEENKUlT_SE_SF_SG_E_clIS8_S8_S9_S9_EESD_ST_SE_SF_SG_EUlST_E1_NS1_11comp_targetILNS1_3genE2ELNS1_11target_archE906ELNS1_3gpuE6ELNS1_3repE0EEENS1_36merge_oddeven_config_static_selectorELNS0_4arch9wavefront6targetE0EEEvSF_
		.amdhsa_group_segment_fixed_size 0
		.amdhsa_private_segment_fixed_size 0
		.amdhsa_kernarg_size 48
		.amdhsa_user_sgpr_count 2
		.amdhsa_user_sgpr_dispatch_ptr 0
		.amdhsa_user_sgpr_queue_ptr 0
		.amdhsa_user_sgpr_kernarg_segment_ptr 1
		.amdhsa_user_sgpr_dispatch_id 0
		.amdhsa_user_sgpr_kernarg_preload_length 0
		.amdhsa_user_sgpr_kernarg_preload_offset 0
		.amdhsa_user_sgpr_private_segment_size 0
		.amdhsa_wavefront_size32 1
		.amdhsa_uses_dynamic_stack 0
		.amdhsa_enable_private_segment 0
		.amdhsa_system_sgpr_workgroup_id_x 1
		.amdhsa_system_sgpr_workgroup_id_y 0
		.amdhsa_system_sgpr_workgroup_id_z 0
		.amdhsa_system_sgpr_workgroup_info 0
		.amdhsa_system_vgpr_workitem_id 0
		.amdhsa_next_free_vgpr 1
		.amdhsa_next_free_sgpr 1
		.amdhsa_named_barrier_count 0
		.amdhsa_reserve_vcc 0
		.amdhsa_float_round_mode_32 0
		.amdhsa_float_round_mode_16_64 0
		.amdhsa_float_denorm_mode_32 3
		.amdhsa_float_denorm_mode_16_64 3
		.amdhsa_fp16_overflow 0
		.amdhsa_memory_ordered 1
		.amdhsa_forward_progress 1
		.amdhsa_inst_pref_size 0
		.amdhsa_round_robin_scheduling 0
		.amdhsa_exception_fp_ieee_invalid_op 0
		.amdhsa_exception_fp_denorm_src 0
		.amdhsa_exception_fp_ieee_div_zero 0
		.amdhsa_exception_fp_ieee_overflow 0
		.amdhsa_exception_fp_ieee_underflow 0
		.amdhsa_exception_fp_ieee_inexact 0
		.amdhsa_exception_int_div_zero 0
	.end_amdhsa_kernel
	.section	.text._ZN7rocprim17ROCPRIM_400000_NS6detail17trampoline_kernelINS0_14default_configENS1_38merge_sort_block_merge_config_selectorIfNS0_10empty_typeEEEZZNS1_27merge_sort_block_merge_implIS3_PfPS5_jNS1_19radix_merge_compareILb1ELb0EfNS0_19identity_decomposerEEEEE10hipError_tT0_T1_T2_jT3_P12ihipStream_tbPNSt15iterator_traitsISE_E10value_typeEPNSK_ISF_E10value_typeEPSG_NS1_7vsmem_tEENKUlT_SE_SF_SG_E_clIS8_S8_S9_S9_EESD_ST_SE_SF_SG_EUlST_E1_NS1_11comp_targetILNS1_3genE2ELNS1_11target_archE906ELNS1_3gpuE6ELNS1_3repE0EEENS1_36merge_oddeven_config_static_selectorELNS0_4arch9wavefront6targetE0EEEvSF_,"axG",@progbits,_ZN7rocprim17ROCPRIM_400000_NS6detail17trampoline_kernelINS0_14default_configENS1_38merge_sort_block_merge_config_selectorIfNS0_10empty_typeEEEZZNS1_27merge_sort_block_merge_implIS3_PfPS5_jNS1_19radix_merge_compareILb1ELb0EfNS0_19identity_decomposerEEEEE10hipError_tT0_T1_T2_jT3_P12ihipStream_tbPNSt15iterator_traitsISE_E10value_typeEPNSK_ISF_E10value_typeEPSG_NS1_7vsmem_tEENKUlT_SE_SF_SG_E_clIS8_S8_S9_S9_EESD_ST_SE_SF_SG_EUlST_E1_NS1_11comp_targetILNS1_3genE2ELNS1_11target_archE906ELNS1_3gpuE6ELNS1_3repE0EEENS1_36merge_oddeven_config_static_selectorELNS0_4arch9wavefront6targetE0EEEvSF_,comdat
.Lfunc_end1282:
	.size	_ZN7rocprim17ROCPRIM_400000_NS6detail17trampoline_kernelINS0_14default_configENS1_38merge_sort_block_merge_config_selectorIfNS0_10empty_typeEEEZZNS1_27merge_sort_block_merge_implIS3_PfPS5_jNS1_19radix_merge_compareILb1ELb0EfNS0_19identity_decomposerEEEEE10hipError_tT0_T1_T2_jT3_P12ihipStream_tbPNSt15iterator_traitsISE_E10value_typeEPNSK_ISF_E10value_typeEPSG_NS1_7vsmem_tEENKUlT_SE_SF_SG_E_clIS8_S8_S9_S9_EESD_ST_SE_SF_SG_EUlST_E1_NS1_11comp_targetILNS1_3genE2ELNS1_11target_archE906ELNS1_3gpuE6ELNS1_3repE0EEENS1_36merge_oddeven_config_static_selectorELNS0_4arch9wavefront6targetE0EEEvSF_, .Lfunc_end1282-_ZN7rocprim17ROCPRIM_400000_NS6detail17trampoline_kernelINS0_14default_configENS1_38merge_sort_block_merge_config_selectorIfNS0_10empty_typeEEEZZNS1_27merge_sort_block_merge_implIS3_PfPS5_jNS1_19radix_merge_compareILb1ELb0EfNS0_19identity_decomposerEEEEE10hipError_tT0_T1_T2_jT3_P12ihipStream_tbPNSt15iterator_traitsISE_E10value_typeEPNSK_ISF_E10value_typeEPSG_NS1_7vsmem_tEENKUlT_SE_SF_SG_E_clIS8_S8_S9_S9_EESD_ST_SE_SF_SG_EUlST_E1_NS1_11comp_targetILNS1_3genE2ELNS1_11target_archE906ELNS1_3gpuE6ELNS1_3repE0EEENS1_36merge_oddeven_config_static_selectorELNS0_4arch9wavefront6targetE0EEEvSF_
                                        ; -- End function
	.set _ZN7rocprim17ROCPRIM_400000_NS6detail17trampoline_kernelINS0_14default_configENS1_38merge_sort_block_merge_config_selectorIfNS0_10empty_typeEEEZZNS1_27merge_sort_block_merge_implIS3_PfPS5_jNS1_19radix_merge_compareILb1ELb0EfNS0_19identity_decomposerEEEEE10hipError_tT0_T1_T2_jT3_P12ihipStream_tbPNSt15iterator_traitsISE_E10value_typeEPNSK_ISF_E10value_typeEPSG_NS1_7vsmem_tEENKUlT_SE_SF_SG_E_clIS8_S8_S9_S9_EESD_ST_SE_SF_SG_EUlST_E1_NS1_11comp_targetILNS1_3genE2ELNS1_11target_archE906ELNS1_3gpuE6ELNS1_3repE0EEENS1_36merge_oddeven_config_static_selectorELNS0_4arch9wavefront6targetE0EEEvSF_.num_vgpr, 0
	.set _ZN7rocprim17ROCPRIM_400000_NS6detail17trampoline_kernelINS0_14default_configENS1_38merge_sort_block_merge_config_selectorIfNS0_10empty_typeEEEZZNS1_27merge_sort_block_merge_implIS3_PfPS5_jNS1_19radix_merge_compareILb1ELb0EfNS0_19identity_decomposerEEEEE10hipError_tT0_T1_T2_jT3_P12ihipStream_tbPNSt15iterator_traitsISE_E10value_typeEPNSK_ISF_E10value_typeEPSG_NS1_7vsmem_tEENKUlT_SE_SF_SG_E_clIS8_S8_S9_S9_EESD_ST_SE_SF_SG_EUlST_E1_NS1_11comp_targetILNS1_3genE2ELNS1_11target_archE906ELNS1_3gpuE6ELNS1_3repE0EEENS1_36merge_oddeven_config_static_selectorELNS0_4arch9wavefront6targetE0EEEvSF_.num_agpr, 0
	.set _ZN7rocprim17ROCPRIM_400000_NS6detail17trampoline_kernelINS0_14default_configENS1_38merge_sort_block_merge_config_selectorIfNS0_10empty_typeEEEZZNS1_27merge_sort_block_merge_implIS3_PfPS5_jNS1_19radix_merge_compareILb1ELb0EfNS0_19identity_decomposerEEEEE10hipError_tT0_T1_T2_jT3_P12ihipStream_tbPNSt15iterator_traitsISE_E10value_typeEPNSK_ISF_E10value_typeEPSG_NS1_7vsmem_tEENKUlT_SE_SF_SG_E_clIS8_S8_S9_S9_EESD_ST_SE_SF_SG_EUlST_E1_NS1_11comp_targetILNS1_3genE2ELNS1_11target_archE906ELNS1_3gpuE6ELNS1_3repE0EEENS1_36merge_oddeven_config_static_selectorELNS0_4arch9wavefront6targetE0EEEvSF_.numbered_sgpr, 0
	.set _ZN7rocprim17ROCPRIM_400000_NS6detail17trampoline_kernelINS0_14default_configENS1_38merge_sort_block_merge_config_selectorIfNS0_10empty_typeEEEZZNS1_27merge_sort_block_merge_implIS3_PfPS5_jNS1_19radix_merge_compareILb1ELb0EfNS0_19identity_decomposerEEEEE10hipError_tT0_T1_T2_jT3_P12ihipStream_tbPNSt15iterator_traitsISE_E10value_typeEPNSK_ISF_E10value_typeEPSG_NS1_7vsmem_tEENKUlT_SE_SF_SG_E_clIS8_S8_S9_S9_EESD_ST_SE_SF_SG_EUlST_E1_NS1_11comp_targetILNS1_3genE2ELNS1_11target_archE906ELNS1_3gpuE6ELNS1_3repE0EEENS1_36merge_oddeven_config_static_selectorELNS0_4arch9wavefront6targetE0EEEvSF_.num_named_barrier, 0
	.set _ZN7rocprim17ROCPRIM_400000_NS6detail17trampoline_kernelINS0_14default_configENS1_38merge_sort_block_merge_config_selectorIfNS0_10empty_typeEEEZZNS1_27merge_sort_block_merge_implIS3_PfPS5_jNS1_19radix_merge_compareILb1ELb0EfNS0_19identity_decomposerEEEEE10hipError_tT0_T1_T2_jT3_P12ihipStream_tbPNSt15iterator_traitsISE_E10value_typeEPNSK_ISF_E10value_typeEPSG_NS1_7vsmem_tEENKUlT_SE_SF_SG_E_clIS8_S8_S9_S9_EESD_ST_SE_SF_SG_EUlST_E1_NS1_11comp_targetILNS1_3genE2ELNS1_11target_archE906ELNS1_3gpuE6ELNS1_3repE0EEENS1_36merge_oddeven_config_static_selectorELNS0_4arch9wavefront6targetE0EEEvSF_.private_seg_size, 0
	.set _ZN7rocprim17ROCPRIM_400000_NS6detail17trampoline_kernelINS0_14default_configENS1_38merge_sort_block_merge_config_selectorIfNS0_10empty_typeEEEZZNS1_27merge_sort_block_merge_implIS3_PfPS5_jNS1_19radix_merge_compareILb1ELb0EfNS0_19identity_decomposerEEEEE10hipError_tT0_T1_T2_jT3_P12ihipStream_tbPNSt15iterator_traitsISE_E10value_typeEPNSK_ISF_E10value_typeEPSG_NS1_7vsmem_tEENKUlT_SE_SF_SG_E_clIS8_S8_S9_S9_EESD_ST_SE_SF_SG_EUlST_E1_NS1_11comp_targetILNS1_3genE2ELNS1_11target_archE906ELNS1_3gpuE6ELNS1_3repE0EEENS1_36merge_oddeven_config_static_selectorELNS0_4arch9wavefront6targetE0EEEvSF_.uses_vcc, 0
	.set _ZN7rocprim17ROCPRIM_400000_NS6detail17trampoline_kernelINS0_14default_configENS1_38merge_sort_block_merge_config_selectorIfNS0_10empty_typeEEEZZNS1_27merge_sort_block_merge_implIS3_PfPS5_jNS1_19radix_merge_compareILb1ELb0EfNS0_19identity_decomposerEEEEE10hipError_tT0_T1_T2_jT3_P12ihipStream_tbPNSt15iterator_traitsISE_E10value_typeEPNSK_ISF_E10value_typeEPSG_NS1_7vsmem_tEENKUlT_SE_SF_SG_E_clIS8_S8_S9_S9_EESD_ST_SE_SF_SG_EUlST_E1_NS1_11comp_targetILNS1_3genE2ELNS1_11target_archE906ELNS1_3gpuE6ELNS1_3repE0EEENS1_36merge_oddeven_config_static_selectorELNS0_4arch9wavefront6targetE0EEEvSF_.uses_flat_scratch, 0
	.set _ZN7rocprim17ROCPRIM_400000_NS6detail17trampoline_kernelINS0_14default_configENS1_38merge_sort_block_merge_config_selectorIfNS0_10empty_typeEEEZZNS1_27merge_sort_block_merge_implIS3_PfPS5_jNS1_19radix_merge_compareILb1ELb0EfNS0_19identity_decomposerEEEEE10hipError_tT0_T1_T2_jT3_P12ihipStream_tbPNSt15iterator_traitsISE_E10value_typeEPNSK_ISF_E10value_typeEPSG_NS1_7vsmem_tEENKUlT_SE_SF_SG_E_clIS8_S8_S9_S9_EESD_ST_SE_SF_SG_EUlST_E1_NS1_11comp_targetILNS1_3genE2ELNS1_11target_archE906ELNS1_3gpuE6ELNS1_3repE0EEENS1_36merge_oddeven_config_static_selectorELNS0_4arch9wavefront6targetE0EEEvSF_.has_dyn_sized_stack, 0
	.set _ZN7rocprim17ROCPRIM_400000_NS6detail17trampoline_kernelINS0_14default_configENS1_38merge_sort_block_merge_config_selectorIfNS0_10empty_typeEEEZZNS1_27merge_sort_block_merge_implIS3_PfPS5_jNS1_19radix_merge_compareILb1ELb0EfNS0_19identity_decomposerEEEEE10hipError_tT0_T1_T2_jT3_P12ihipStream_tbPNSt15iterator_traitsISE_E10value_typeEPNSK_ISF_E10value_typeEPSG_NS1_7vsmem_tEENKUlT_SE_SF_SG_E_clIS8_S8_S9_S9_EESD_ST_SE_SF_SG_EUlST_E1_NS1_11comp_targetILNS1_3genE2ELNS1_11target_archE906ELNS1_3gpuE6ELNS1_3repE0EEENS1_36merge_oddeven_config_static_selectorELNS0_4arch9wavefront6targetE0EEEvSF_.has_recursion, 0
	.set _ZN7rocprim17ROCPRIM_400000_NS6detail17trampoline_kernelINS0_14default_configENS1_38merge_sort_block_merge_config_selectorIfNS0_10empty_typeEEEZZNS1_27merge_sort_block_merge_implIS3_PfPS5_jNS1_19radix_merge_compareILb1ELb0EfNS0_19identity_decomposerEEEEE10hipError_tT0_T1_T2_jT3_P12ihipStream_tbPNSt15iterator_traitsISE_E10value_typeEPNSK_ISF_E10value_typeEPSG_NS1_7vsmem_tEENKUlT_SE_SF_SG_E_clIS8_S8_S9_S9_EESD_ST_SE_SF_SG_EUlST_E1_NS1_11comp_targetILNS1_3genE2ELNS1_11target_archE906ELNS1_3gpuE6ELNS1_3repE0EEENS1_36merge_oddeven_config_static_selectorELNS0_4arch9wavefront6targetE0EEEvSF_.has_indirect_call, 0
	.section	.AMDGPU.csdata,"",@progbits
; Kernel info:
; codeLenInByte = 0
; TotalNumSgprs: 0
; NumVgprs: 0
; ScratchSize: 0
; MemoryBound: 0
; FloatMode: 240
; IeeeMode: 1
; LDSByteSize: 0 bytes/workgroup (compile time only)
; SGPRBlocks: 0
; VGPRBlocks: 0
; NumSGPRsForWavesPerEU: 1
; NumVGPRsForWavesPerEU: 1
; NamedBarCnt: 0
; Occupancy: 16
; WaveLimiterHint : 0
; COMPUTE_PGM_RSRC2:SCRATCH_EN: 0
; COMPUTE_PGM_RSRC2:USER_SGPR: 2
; COMPUTE_PGM_RSRC2:TRAP_HANDLER: 0
; COMPUTE_PGM_RSRC2:TGID_X_EN: 1
; COMPUTE_PGM_RSRC2:TGID_Y_EN: 0
; COMPUTE_PGM_RSRC2:TGID_Z_EN: 0
; COMPUTE_PGM_RSRC2:TIDIG_COMP_CNT: 0
	.section	.text._ZN7rocprim17ROCPRIM_400000_NS6detail17trampoline_kernelINS0_14default_configENS1_38merge_sort_block_merge_config_selectorIfNS0_10empty_typeEEEZZNS1_27merge_sort_block_merge_implIS3_PfPS5_jNS1_19radix_merge_compareILb1ELb0EfNS0_19identity_decomposerEEEEE10hipError_tT0_T1_T2_jT3_P12ihipStream_tbPNSt15iterator_traitsISE_E10value_typeEPNSK_ISF_E10value_typeEPSG_NS1_7vsmem_tEENKUlT_SE_SF_SG_E_clIS8_S8_S9_S9_EESD_ST_SE_SF_SG_EUlST_E1_NS1_11comp_targetILNS1_3genE9ELNS1_11target_archE1100ELNS1_3gpuE3ELNS1_3repE0EEENS1_36merge_oddeven_config_static_selectorELNS0_4arch9wavefront6targetE0EEEvSF_,"axG",@progbits,_ZN7rocprim17ROCPRIM_400000_NS6detail17trampoline_kernelINS0_14default_configENS1_38merge_sort_block_merge_config_selectorIfNS0_10empty_typeEEEZZNS1_27merge_sort_block_merge_implIS3_PfPS5_jNS1_19radix_merge_compareILb1ELb0EfNS0_19identity_decomposerEEEEE10hipError_tT0_T1_T2_jT3_P12ihipStream_tbPNSt15iterator_traitsISE_E10value_typeEPNSK_ISF_E10value_typeEPSG_NS1_7vsmem_tEENKUlT_SE_SF_SG_E_clIS8_S8_S9_S9_EESD_ST_SE_SF_SG_EUlST_E1_NS1_11comp_targetILNS1_3genE9ELNS1_11target_archE1100ELNS1_3gpuE3ELNS1_3repE0EEENS1_36merge_oddeven_config_static_selectorELNS0_4arch9wavefront6targetE0EEEvSF_,comdat
	.protected	_ZN7rocprim17ROCPRIM_400000_NS6detail17trampoline_kernelINS0_14default_configENS1_38merge_sort_block_merge_config_selectorIfNS0_10empty_typeEEEZZNS1_27merge_sort_block_merge_implIS3_PfPS5_jNS1_19radix_merge_compareILb1ELb0EfNS0_19identity_decomposerEEEEE10hipError_tT0_T1_T2_jT3_P12ihipStream_tbPNSt15iterator_traitsISE_E10value_typeEPNSK_ISF_E10value_typeEPSG_NS1_7vsmem_tEENKUlT_SE_SF_SG_E_clIS8_S8_S9_S9_EESD_ST_SE_SF_SG_EUlST_E1_NS1_11comp_targetILNS1_3genE9ELNS1_11target_archE1100ELNS1_3gpuE3ELNS1_3repE0EEENS1_36merge_oddeven_config_static_selectorELNS0_4arch9wavefront6targetE0EEEvSF_ ; -- Begin function _ZN7rocprim17ROCPRIM_400000_NS6detail17trampoline_kernelINS0_14default_configENS1_38merge_sort_block_merge_config_selectorIfNS0_10empty_typeEEEZZNS1_27merge_sort_block_merge_implIS3_PfPS5_jNS1_19radix_merge_compareILb1ELb0EfNS0_19identity_decomposerEEEEE10hipError_tT0_T1_T2_jT3_P12ihipStream_tbPNSt15iterator_traitsISE_E10value_typeEPNSK_ISF_E10value_typeEPSG_NS1_7vsmem_tEENKUlT_SE_SF_SG_E_clIS8_S8_S9_S9_EESD_ST_SE_SF_SG_EUlST_E1_NS1_11comp_targetILNS1_3genE9ELNS1_11target_archE1100ELNS1_3gpuE3ELNS1_3repE0EEENS1_36merge_oddeven_config_static_selectorELNS0_4arch9wavefront6targetE0EEEvSF_
	.globl	_ZN7rocprim17ROCPRIM_400000_NS6detail17trampoline_kernelINS0_14default_configENS1_38merge_sort_block_merge_config_selectorIfNS0_10empty_typeEEEZZNS1_27merge_sort_block_merge_implIS3_PfPS5_jNS1_19radix_merge_compareILb1ELb0EfNS0_19identity_decomposerEEEEE10hipError_tT0_T1_T2_jT3_P12ihipStream_tbPNSt15iterator_traitsISE_E10value_typeEPNSK_ISF_E10value_typeEPSG_NS1_7vsmem_tEENKUlT_SE_SF_SG_E_clIS8_S8_S9_S9_EESD_ST_SE_SF_SG_EUlST_E1_NS1_11comp_targetILNS1_3genE9ELNS1_11target_archE1100ELNS1_3gpuE3ELNS1_3repE0EEENS1_36merge_oddeven_config_static_selectorELNS0_4arch9wavefront6targetE0EEEvSF_
	.p2align	8
	.type	_ZN7rocprim17ROCPRIM_400000_NS6detail17trampoline_kernelINS0_14default_configENS1_38merge_sort_block_merge_config_selectorIfNS0_10empty_typeEEEZZNS1_27merge_sort_block_merge_implIS3_PfPS5_jNS1_19radix_merge_compareILb1ELb0EfNS0_19identity_decomposerEEEEE10hipError_tT0_T1_T2_jT3_P12ihipStream_tbPNSt15iterator_traitsISE_E10value_typeEPNSK_ISF_E10value_typeEPSG_NS1_7vsmem_tEENKUlT_SE_SF_SG_E_clIS8_S8_S9_S9_EESD_ST_SE_SF_SG_EUlST_E1_NS1_11comp_targetILNS1_3genE9ELNS1_11target_archE1100ELNS1_3gpuE3ELNS1_3repE0EEENS1_36merge_oddeven_config_static_selectorELNS0_4arch9wavefront6targetE0EEEvSF_,@function
_ZN7rocprim17ROCPRIM_400000_NS6detail17trampoline_kernelINS0_14default_configENS1_38merge_sort_block_merge_config_selectorIfNS0_10empty_typeEEEZZNS1_27merge_sort_block_merge_implIS3_PfPS5_jNS1_19radix_merge_compareILb1ELb0EfNS0_19identity_decomposerEEEEE10hipError_tT0_T1_T2_jT3_P12ihipStream_tbPNSt15iterator_traitsISE_E10value_typeEPNSK_ISF_E10value_typeEPSG_NS1_7vsmem_tEENKUlT_SE_SF_SG_E_clIS8_S8_S9_S9_EESD_ST_SE_SF_SG_EUlST_E1_NS1_11comp_targetILNS1_3genE9ELNS1_11target_archE1100ELNS1_3gpuE3ELNS1_3repE0EEENS1_36merge_oddeven_config_static_selectorELNS0_4arch9wavefront6targetE0EEEvSF_: ; @_ZN7rocprim17ROCPRIM_400000_NS6detail17trampoline_kernelINS0_14default_configENS1_38merge_sort_block_merge_config_selectorIfNS0_10empty_typeEEEZZNS1_27merge_sort_block_merge_implIS3_PfPS5_jNS1_19radix_merge_compareILb1ELb0EfNS0_19identity_decomposerEEEEE10hipError_tT0_T1_T2_jT3_P12ihipStream_tbPNSt15iterator_traitsISE_E10value_typeEPNSK_ISF_E10value_typeEPSG_NS1_7vsmem_tEENKUlT_SE_SF_SG_E_clIS8_S8_S9_S9_EESD_ST_SE_SF_SG_EUlST_E1_NS1_11comp_targetILNS1_3genE9ELNS1_11target_archE1100ELNS1_3gpuE3ELNS1_3repE0EEENS1_36merge_oddeven_config_static_selectorELNS0_4arch9wavefront6targetE0EEEvSF_
; %bb.0:
	.section	.rodata,"a",@progbits
	.p2align	6, 0x0
	.amdhsa_kernel _ZN7rocprim17ROCPRIM_400000_NS6detail17trampoline_kernelINS0_14default_configENS1_38merge_sort_block_merge_config_selectorIfNS0_10empty_typeEEEZZNS1_27merge_sort_block_merge_implIS3_PfPS5_jNS1_19radix_merge_compareILb1ELb0EfNS0_19identity_decomposerEEEEE10hipError_tT0_T1_T2_jT3_P12ihipStream_tbPNSt15iterator_traitsISE_E10value_typeEPNSK_ISF_E10value_typeEPSG_NS1_7vsmem_tEENKUlT_SE_SF_SG_E_clIS8_S8_S9_S9_EESD_ST_SE_SF_SG_EUlST_E1_NS1_11comp_targetILNS1_3genE9ELNS1_11target_archE1100ELNS1_3gpuE3ELNS1_3repE0EEENS1_36merge_oddeven_config_static_selectorELNS0_4arch9wavefront6targetE0EEEvSF_
		.amdhsa_group_segment_fixed_size 0
		.amdhsa_private_segment_fixed_size 0
		.amdhsa_kernarg_size 48
		.amdhsa_user_sgpr_count 2
		.amdhsa_user_sgpr_dispatch_ptr 0
		.amdhsa_user_sgpr_queue_ptr 0
		.amdhsa_user_sgpr_kernarg_segment_ptr 1
		.amdhsa_user_sgpr_dispatch_id 0
		.amdhsa_user_sgpr_kernarg_preload_length 0
		.amdhsa_user_sgpr_kernarg_preload_offset 0
		.amdhsa_user_sgpr_private_segment_size 0
		.amdhsa_wavefront_size32 1
		.amdhsa_uses_dynamic_stack 0
		.amdhsa_enable_private_segment 0
		.amdhsa_system_sgpr_workgroup_id_x 1
		.amdhsa_system_sgpr_workgroup_id_y 0
		.amdhsa_system_sgpr_workgroup_id_z 0
		.amdhsa_system_sgpr_workgroup_info 0
		.amdhsa_system_vgpr_workitem_id 0
		.amdhsa_next_free_vgpr 1
		.amdhsa_next_free_sgpr 1
		.amdhsa_named_barrier_count 0
		.amdhsa_reserve_vcc 0
		.amdhsa_float_round_mode_32 0
		.amdhsa_float_round_mode_16_64 0
		.amdhsa_float_denorm_mode_32 3
		.amdhsa_float_denorm_mode_16_64 3
		.amdhsa_fp16_overflow 0
		.amdhsa_memory_ordered 1
		.amdhsa_forward_progress 1
		.amdhsa_inst_pref_size 0
		.amdhsa_round_robin_scheduling 0
		.amdhsa_exception_fp_ieee_invalid_op 0
		.amdhsa_exception_fp_denorm_src 0
		.amdhsa_exception_fp_ieee_div_zero 0
		.amdhsa_exception_fp_ieee_overflow 0
		.amdhsa_exception_fp_ieee_underflow 0
		.amdhsa_exception_fp_ieee_inexact 0
		.amdhsa_exception_int_div_zero 0
	.end_amdhsa_kernel
	.section	.text._ZN7rocprim17ROCPRIM_400000_NS6detail17trampoline_kernelINS0_14default_configENS1_38merge_sort_block_merge_config_selectorIfNS0_10empty_typeEEEZZNS1_27merge_sort_block_merge_implIS3_PfPS5_jNS1_19radix_merge_compareILb1ELb0EfNS0_19identity_decomposerEEEEE10hipError_tT0_T1_T2_jT3_P12ihipStream_tbPNSt15iterator_traitsISE_E10value_typeEPNSK_ISF_E10value_typeEPSG_NS1_7vsmem_tEENKUlT_SE_SF_SG_E_clIS8_S8_S9_S9_EESD_ST_SE_SF_SG_EUlST_E1_NS1_11comp_targetILNS1_3genE9ELNS1_11target_archE1100ELNS1_3gpuE3ELNS1_3repE0EEENS1_36merge_oddeven_config_static_selectorELNS0_4arch9wavefront6targetE0EEEvSF_,"axG",@progbits,_ZN7rocprim17ROCPRIM_400000_NS6detail17trampoline_kernelINS0_14default_configENS1_38merge_sort_block_merge_config_selectorIfNS0_10empty_typeEEEZZNS1_27merge_sort_block_merge_implIS3_PfPS5_jNS1_19radix_merge_compareILb1ELb0EfNS0_19identity_decomposerEEEEE10hipError_tT0_T1_T2_jT3_P12ihipStream_tbPNSt15iterator_traitsISE_E10value_typeEPNSK_ISF_E10value_typeEPSG_NS1_7vsmem_tEENKUlT_SE_SF_SG_E_clIS8_S8_S9_S9_EESD_ST_SE_SF_SG_EUlST_E1_NS1_11comp_targetILNS1_3genE9ELNS1_11target_archE1100ELNS1_3gpuE3ELNS1_3repE0EEENS1_36merge_oddeven_config_static_selectorELNS0_4arch9wavefront6targetE0EEEvSF_,comdat
.Lfunc_end1283:
	.size	_ZN7rocprim17ROCPRIM_400000_NS6detail17trampoline_kernelINS0_14default_configENS1_38merge_sort_block_merge_config_selectorIfNS0_10empty_typeEEEZZNS1_27merge_sort_block_merge_implIS3_PfPS5_jNS1_19radix_merge_compareILb1ELb0EfNS0_19identity_decomposerEEEEE10hipError_tT0_T1_T2_jT3_P12ihipStream_tbPNSt15iterator_traitsISE_E10value_typeEPNSK_ISF_E10value_typeEPSG_NS1_7vsmem_tEENKUlT_SE_SF_SG_E_clIS8_S8_S9_S9_EESD_ST_SE_SF_SG_EUlST_E1_NS1_11comp_targetILNS1_3genE9ELNS1_11target_archE1100ELNS1_3gpuE3ELNS1_3repE0EEENS1_36merge_oddeven_config_static_selectorELNS0_4arch9wavefront6targetE0EEEvSF_, .Lfunc_end1283-_ZN7rocprim17ROCPRIM_400000_NS6detail17trampoline_kernelINS0_14default_configENS1_38merge_sort_block_merge_config_selectorIfNS0_10empty_typeEEEZZNS1_27merge_sort_block_merge_implIS3_PfPS5_jNS1_19radix_merge_compareILb1ELb0EfNS0_19identity_decomposerEEEEE10hipError_tT0_T1_T2_jT3_P12ihipStream_tbPNSt15iterator_traitsISE_E10value_typeEPNSK_ISF_E10value_typeEPSG_NS1_7vsmem_tEENKUlT_SE_SF_SG_E_clIS8_S8_S9_S9_EESD_ST_SE_SF_SG_EUlST_E1_NS1_11comp_targetILNS1_3genE9ELNS1_11target_archE1100ELNS1_3gpuE3ELNS1_3repE0EEENS1_36merge_oddeven_config_static_selectorELNS0_4arch9wavefront6targetE0EEEvSF_
                                        ; -- End function
	.set _ZN7rocprim17ROCPRIM_400000_NS6detail17trampoline_kernelINS0_14default_configENS1_38merge_sort_block_merge_config_selectorIfNS0_10empty_typeEEEZZNS1_27merge_sort_block_merge_implIS3_PfPS5_jNS1_19radix_merge_compareILb1ELb0EfNS0_19identity_decomposerEEEEE10hipError_tT0_T1_T2_jT3_P12ihipStream_tbPNSt15iterator_traitsISE_E10value_typeEPNSK_ISF_E10value_typeEPSG_NS1_7vsmem_tEENKUlT_SE_SF_SG_E_clIS8_S8_S9_S9_EESD_ST_SE_SF_SG_EUlST_E1_NS1_11comp_targetILNS1_3genE9ELNS1_11target_archE1100ELNS1_3gpuE3ELNS1_3repE0EEENS1_36merge_oddeven_config_static_selectorELNS0_4arch9wavefront6targetE0EEEvSF_.num_vgpr, 0
	.set _ZN7rocprim17ROCPRIM_400000_NS6detail17trampoline_kernelINS0_14default_configENS1_38merge_sort_block_merge_config_selectorIfNS0_10empty_typeEEEZZNS1_27merge_sort_block_merge_implIS3_PfPS5_jNS1_19radix_merge_compareILb1ELb0EfNS0_19identity_decomposerEEEEE10hipError_tT0_T1_T2_jT3_P12ihipStream_tbPNSt15iterator_traitsISE_E10value_typeEPNSK_ISF_E10value_typeEPSG_NS1_7vsmem_tEENKUlT_SE_SF_SG_E_clIS8_S8_S9_S9_EESD_ST_SE_SF_SG_EUlST_E1_NS1_11comp_targetILNS1_3genE9ELNS1_11target_archE1100ELNS1_3gpuE3ELNS1_3repE0EEENS1_36merge_oddeven_config_static_selectorELNS0_4arch9wavefront6targetE0EEEvSF_.num_agpr, 0
	.set _ZN7rocprim17ROCPRIM_400000_NS6detail17trampoline_kernelINS0_14default_configENS1_38merge_sort_block_merge_config_selectorIfNS0_10empty_typeEEEZZNS1_27merge_sort_block_merge_implIS3_PfPS5_jNS1_19radix_merge_compareILb1ELb0EfNS0_19identity_decomposerEEEEE10hipError_tT0_T1_T2_jT3_P12ihipStream_tbPNSt15iterator_traitsISE_E10value_typeEPNSK_ISF_E10value_typeEPSG_NS1_7vsmem_tEENKUlT_SE_SF_SG_E_clIS8_S8_S9_S9_EESD_ST_SE_SF_SG_EUlST_E1_NS1_11comp_targetILNS1_3genE9ELNS1_11target_archE1100ELNS1_3gpuE3ELNS1_3repE0EEENS1_36merge_oddeven_config_static_selectorELNS0_4arch9wavefront6targetE0EEEvSF_.numbered_sgpr, 0
	.set _ZN7rocprim17ROCPRIM_400000_NS6detail17trampoline_kernelINS0_14default_configENS1_38merge_sort_block_merge_config_selectorIfNS0_10empty_typeEEEZZNS1_27merge_sort_block_merge_implIS3_PfPS5_jNS1_19radix_merge_compareILb1ELb0EfNS0_19identity_decomposerEEEEE10hipError_tT0_T1_T2_jT3_P12ihipStream_tbPNSt15iterator_traitsISE_E10value_typeEPNSK_ISF_E10value_typeEPSG_NS1_7vsmem_tEENKUlT_SE_SF_SG_E_clIS8_S8_S9_S9_EESD_ST_SE_SF_SG_EUlST_E1_NS1_11comp_targetILNS1_3genE9ELNS1_11target_archE1100ELNS1_3gpuE3ELNS1_3repE0EEENS1_36merge_oddeven_config_static_selectorELNS0_4arch9wavefront6targetE0EEEvSF_.num_named_barrier, 0
	.set _ZN7rocprim17ROCPRIM_400000_NS6detail17trampoline_kernelINS0_14default_configENS1_38merge_sort_block_merge_config_selectorIfNS0_10empty_typeEEEZZNS1_27merge_sort_block_merge_implIS3_PfPS5_jNS1_19radix_merge_compareILb1ELb0EfNS0_19identity_decomposerEEEEE10hipError_tT0_T1_T2_jT3_P12ihipStream_tbPNSt15iterator_traitsISE_E10value_typeEPNSK_ISF_E10value_typeEPSG_NS1_7vsmem_tEENKUlT_SE_SF_SG_E_clIS8_S8_S9_S9_EESD_ST_SE_SF_SG_EUlST_E1_NS1_11comp_targetILNS1_3genE9ELNS1_11target_archE1100ELNS1_3gpuE3ELNS1_3repE0EEENS1_36merge_oddeven_config_static_selectorELNS0_4arch9wavefront6targetE0EEEvSF_.private_seg_size, 0
	.set _ZN7rocprim17ROCPRIM_400000_NS6detail17trampoline_kernelINS0_14default_configENS1_38merge_sort_block_merge_config_selectorIfNS0_10empty_typeEEEZZNS1_27merge_sort_block_merge_implIS3_PfPS5_jNS1_19radix_merge_compareILb1ELb0EfNS0_19identity_decomposerEEEEE10hipError_tT0_T1_T2_jT3_P12ihipStream_tbPNSt15iterator_traitsISE_E10value_typeEPNSK_ISF_E10value_typeEPSG_NS1_7vsmem_tEENKUlT_SE_SF_SG_E_clIS8_S8_S9_S9_EESD_ST_SE_SF_SG_EUlST_E1_NS1_11comp_targetILNS1_3genE9ELNS1_11target_archE1100ELNS1_3gpuE3ELNS1_3repE0EEENS1_36merge_oddeven_config_static_selectorELNS0_4arch9wavefront6targetE0EEEvSF_.uses_vcc, 0
	.set _ZN7rocprim17ROCPRIM_400000_NS6detail17trampoline_kernelINS0_14default_configENS1_38merge_sort_block_merge_config_selectorIfNS0_10empty_typeEEEZZNS1_27merge_sort_block_merge_implIS3_PfPS5_jNS1_19radix_merge_compareILb1ELb0EfNS0_19identity_decomposerEEEEE10hipError_tT0_T1_T2_jT3_P12ihipStream_tbPNSt15iterator_traitsISE_E10value_typeEPNSK_ISF_E10value_typeEPSG_NS1_7vsmem_tEENKUlT_SE_SF_SG_E_clIS8_S8_S9_S9_EESD_ST_SE_SF_SG_EUlST_E1_NS1_11comp_targetILNS1_3genE9ELNS1_11target_archE1100ELNS1_3gpuE3ELNS1_3repE0EEENS1_36merge_oddeven_config_static_selectorELNS0_4arch9wavefront6targetE0EEEvSF_.uses_flat_scratch, 0
	.set _ZN7rocprim17ROCPRIM_400000_NS6detail17trampoline_kernelINS0_14default_configENS1_38merge_sort_block_merge_config_selectorIfNS0_10empty_typeEEEZZNS1_27merge_sort_block_merge_implIS3_PfPS5_jNS1_19radix_merge_compareILb1ELb0EfNS0_19identity_decomposerEEEEE10hipError_tT0_T1_T2_jT3_P12ihipStream_tbPNSt15iterator_traitsISE_E10value_typeEPNSK_ISF_E10value_typeEPSG_NS1_7vsmem_tEENKUlT_SE_SF_SG_E_clIS8_S8_S9_S9_EESD_ST_SE_SF_SG_EUlST_E1_NS1_11comp_targetILNS1_3genE9ELNS1_11target_archE1100ELNS1_3gpuE3ELNS1_3repE0EEENS1_36merge_oddeven_config_static_selectorELNS0_4arch9wavefront6targetE0EEEvSF_.has_dyn_sized_stack, 0
	.set _ZN7rocprim17ROCPRIM_400000_NS6detail17trampoline_kernelINS0_14default_configENS1_38merge_sort_block_merge_config_selectorIfNS0_10empty_typeEEEZZNS1_27merge_sort_block_merge_implIS3_PfPS5_jNS1_19radix_merge_compareILb1ELb0EfNS0_19identity_decomposerEEEEE10hipError_tT0_T1_T2_jT3_P12ihipStream_tbPNSt15iterator_traitsISE_E10value_typeEPNSK_ISF_E10value_typeEPSG_NS1_7vsmem_tEENKUlT_SE_SF_SG_E_clIS8_S8_S9_S9_EESD_ST_SE_SF_SG_EUlST_E1_NS1_11comp_targetILNS1_3genE9ELNS1_11target_archE1100ELNS1_3gpuE3ELNS1_3repE0EEENS1_36merge_oddeven_config_static_selectorELNS0_4arch9wavefront6targetE0EEEvSF_.has_recursion, 0
	.set _ZN7rocprim17ROCPRIM_400000_NS6detail17trampoline_kernelINS0_14default_configENS1_38merge_sort_block_merge_config_selectorIfNS0_10empty_typeEEEZZNS1_27merge_sort_block_merge_implIS3_PfPS5_jNS1_19radix_merge_compareILb1ELb0EfNS0_19identity_decomposerEEEEE10hipError_tT0_T1_T2_jT3_P12ihipStream_tbPNSt15iterator_traitsISE_E10value_typeEPNSK_ISF_E10value_typeEPSG_NS1_7vsmem_tEENKUlT_SE_SF_SG_E_clIS8_S8_S9_S9_EESD_ST_SE_SF_SG_EUlST_E1_NS1_11comp_targetILNS1_3genE9ELNS1_11target_archE1100ELNS1_3gpuE3ELNS1_3repE0EEENS1_36merge_oddeven_config_static_selectorELNS0_4arch9wavefront6targetE0EEEvSF_.has_indirect_call, 0
	.section	.AMDGPU.csdata,"",@progbits
; Kernel info:
; codeLenInByte = 0
; TotalNumSgprs: 0
; NumVgprs: 0
; ScratchSize: 0
; MemoryBound: 0
; FloatMode: 240
; IeeeMode: 1
; LDSByteSize: 0 bytes/workgroup (compile time only)
; SGPRBlocks: 0
; VGPRBlocks: 0
; NumSGPRsForWavesPerEU: 1
; NumVGPRsForWavesPerEU: 1
; NamedBarCnt: 0
; Occupancy: 16
; WaveLimiterHint : 0
; COMPUTE_PGM_RSRC2:SCRATCH_EN: 0
; COMPUTE_PGM_RSRC2:USER_SGPR: 2
; COMPUTE_PGM_RSRC2:TRAP_HANDLER: 0
; COMPUTE_PGM_RSRC2:TGID_X_EN: 1
; COMPUTE_PGM_RSRC2:TGID_Y_EN: 0
; COMPUTE_PGM_RSRC2:TGID_Z_EN: 0
; COMPUTE_PGM_RSRC2:TIDIG_COMP_CNT: 0
	.section	.text._ZN7rocprim17ROCPRIM_400000_NS6detail17trampoline_kernelINS0_14default_configENS1_38merge_sort_block_merge_config_selectorIfNS0_10empty_typeEEEZZNS1_27merge_sort_block_merge_implIS3_PfPS5_jNS1_19radix_merge_compareILb1ELb0EfNS0_19identity_decomposerEEEEE10hipError_tT0_T1_T2_jT3_P12ihipStream_tbPNSt15iterator_traitsISE_E10value_typeEPNSK_ISF_E10value_typeEPSG_NS1_7vsmem_tEENKUlT_SE_SF_SG_E_clIS8_S8_S9_S9_EESD_ST_SE_SF_SG_EUlST_E1_NS1_11comp_targetILNS1_3genE8ELNS1_11target_archE1030ELNS1_3gpuE2ELNS1_3repE0EEENS1_36merge_oddeven_config_static_selectorELNS0_4arch9wavefront6targetE0EEEvSF_,"axG",@progbits,_ZN7rocprim17ROCPRIM_400000_NS6detail17trampoline_kernelINS0_14default_configENS1_38merge_sort_block_merge_config_selectorIfNS0_10empty_typeEEEZZNS1_27merge_sort_block_merge_implIS3_PfPS5_jNS1_19radix_merge_compareILb1ELb0EfNS0_19identity_decomposerEEEEE10hipError_tT0_T1_T2_jT3_P12ihipStream_tbPNSt15iterator_traitsISE_E10value_typeEPNSK_ISF_E10value_typeEPSG_NS1_7vsmem_tEENKUlT_SE_SF_SG_E_clIS8_S8_S9_S9_EESD_ST_SE_SF_SG_EUlST_E1_NS1_11comp_targetILNS1_3genE8ELNS1_11target_archE1030ELNS1_3gpuE2ELNS1_3repE0EEENS1_36merge_oddeven_config_static_selectorELNS0_4arch9wavefront6targetE0EEEvSF_,comdat
	.protected	_ZN7rocprim17ROCPRIM_400000_NS6detail17trampoline_kernelINS0_14default_configENS1_38merge_sort_block_merge_config_selectorIfNS0_10empty_typeEEEZZNS1_27merge_sort_block_merge_implIS3_PfPS5_jNS1_19radix_merge_compareILb1ELb0EfNS0_19identity_decomposerEEEEE10hipError_tT0_T1_T2_jT3_P12ihipStream_tbPNSt15iterator_traitsISE_E10value_typeEPNSK_ISF_E10value_typeEPSG_NS1_7vsmem_tEENKUlT_SE_SF_SG_E_clIS8_S8_S9_S9_EESD_ST_SE_SF_SG_EUlST_E1_NS1_11comp_targetILNS1_3genE8ELNS1_11target_archE1030ELNS1_3gpuE2ELNS1_3repE0EEENS1_36merge_oddeven_config_static_selectorELNS0_4arch9wavefront6targetE0EEEvSF_ ; -- Begin function _ZN7rocprim17ROCPRIM_400000_NS6detail17trampoline_kernelINS0_14default_configENS1_38merge_sort_block_merge_config_selectorIfNS0_10empty_typeEEEZZNS1_27merge_sort_block_merge_implIS3_PfPS5_jNS1_19radix_merge_compareILb1ELb0EfNS0_19identity_decomposerEEEEE10hipError_tT0_T1_T2_jT3_P12ihipStream_tbPNSt15iterator_traitsISE_E10value_typeEPNSK_ISF_E10value_typeEPSG_NS1_7vsmem_tEENKUlT_SE_SF_SG_E_clIS8_S8_S9_S9_EESD_ST_SE_SF_SG_EUlST_E1_NS1_11comp_targetILNS1_3genE8ELNS1_11target_archE1030ELNS1_3gpuE2ELNS1_3repE0EEENS1_36merge_oddeven_config_static_selectorELNS0_4arch9wavefront6targetE0EEEvSF_
	.globl	_ZN7rocprim17ROCPRIM_400000_NS6detail17trampoline_kernelINS0_14default_configENS1_38merge_sort_block_merge_config_selectorIfNS0_10empty_typeEEEZZNS1_27merge_sort_block_merge_implIS3_PfPS5_jNS1_19radix_merge_compareILb1ELb0EfNS0_19identity_decomposerEEEEE10hipError_tT0_T1_T2_jT3_P12ihipStream_tbPNSt15iterator_traitsISE_E10value_typeEPNSK_ISF_E10value_typeEPSG_NS1_7vsmem_tEENKUlT_SE_SF_SG_E_clIS8_S8_S9_S9_EESD_ST_SE_SF_SG_EUlST_E1_NS1_11comp_targetILNS1_3genE8ELNS1_11target_archE1030ELNS1_3gpuE2ELNS1_3repE0EEENS1_36merge_oddeven_config_static_selectorELNS0_4arch9wavefront6targetE0EEEvSF_
	.p2align	8
	.type	_ZN7rocprim17ROCPRIM_400000_NS6detail17trampoline_kernelINS0_14default_configENS1_38merge_sort_block_merge_config_selectorIfNS0_10empty_typeEEEZZNS1_27merge_sort_block_merge_implIS3_PfPS5_jNS1_19radix_merge_compareILb1ELb0EfNS0_19identity_decomposerEEEEE10hipError_tT0_T1_T2_jT3_P12ihipStream_tbPNSt15iterator_traitsISE_E10value_typeEPNSK_ISF_E10value_typeEPSG_NS1_7vsmem_tEENKUlT_SE_SF_SG_E_clIS8_S8_S9_S9_EESD_ST_SE_SF_SG_EUlST_E1_NS1_11comp_targetILNS1_3genE8ELNS1_11target_archE1030ELNS1_3gpuE2ELNS1_3repE0EEENS1_36merge_oddeven_config_static_selectorELNS0_4arch9wavefront6targetE0EEEvSF_,@function
_ZN7rocprim17ROCPRIM_400000_NS6detail17trampoline_kernelINS0_14default_configENS1_38merge_sort_block_merge_config_selectorIfNS0_10empty_typeEEEZZNS1_27merge_sort_block_merge_implIS3_PfPS5_jNS1_19radix_merge_compareILb1ELb0EfNS0_19identity_decomposerEEEEE10hipError_tT0_T1_T2_jT3_P12ihipStream_tbPNSt15iterator_traitsISE_E10value_typeEPNSK_ISF_E10value_typeEPSG_NS1_7vsmem_tEENKUlT_SE_SF_SG_E_clIS8_S8_S9_S9_EESD_ST_SE_SF_SG_EUlST_E1_NS1_11comp_targetILNS1_3genE8ELNS1_11target_archE1030ELNS1_3gpuE2ELNS1_3repE0EEENS1_36merge_oddeven_config_static_selectorELNS0_4arch9wavefront6targetE0EEEvSF_: ; @_ZN7rocprim17ROCPRIM_400000_NS6detail17trampoline_kernelINS0_14default_configENS1_38merge_sort_block_merge_config_selectorIfNS0_10empty_typeEEEZZNS1_27merge_sort_block_merge_implIS3_PfPS5_jNS1_19radix_merge_compareILb1ELb0EfNS0_19identity_decomposerEEEEE10hipError_tT0_T1_T2_jT3_P12ihipStream_tbPNSt15iterator_traitsISE_E10value_typeEPNSK_ISF_E10value_typeEPSG_NS1_7vsmem_tEENKUlT_SE_SF_SG_E_clIS8_S8_S9_S9_EESD_ST_SE_SF_SG_EUlST_E1_NS1_11comp_targetILNS1_3genE8ELNS1_11target_archE1030ELNS1_3gpuE2ELNS1_3repE0EEENS1_36merge_oddeven_config_static_selectorELNS0_4arch9wavefront6targetE0EEEvSF_
; %bb.0:
	.section	.rodata,"a",@progbits
	.p2align	6, 0x0
	.amdhsa_kernel _ZN7rocprim17ROCPRIM_400000_NS6detail17trampoline_kernelINS0_14default_configENS1_38merge_sort_block_merge_config_selectorIfNS0_10empty_typeEEEZZNS1_27merge_sort_block_merge_implIS3_PfPS5_jNS1_19radix_merge_compareILb1ELb0EfNS0_19identity_decomposerEEEEE10hipError_tT0_T1_T2_jT3_P12ihipStream_tbPNSt15iterator_traitsISE_E10value_typeEPNSK_ISF_E10value_typeEPSG_NS1_7vsmem_tEENKUlT_SE_SF_SG_E_clIS8_S8_S9_S9_EESD_ST_SE_SF_SG_EUlST_E1_NS1_11comp_targetILNS1_3genE8ELNS1_11target_archE1030ELNS1_3gpuE2ELNS1_3repE0EEENS1_36merge_oddeven_config_static_selectorELNS0_4arch9wavefront6targetE0EEEvSF_
		.amdhsa_group_segment_fixed_size 0
		.amdhsa_private_segment_fixed_size 0
		.amdhsa_kernarg_size 48
		.amdhsa_user_sgpr_count 2
		.amdhsa_user_sgpr_dispatch_ptr 0
		.amdhsa_user_sgpr_queue_ptr 0
		.amdhsa_user_sgpr_kernarg_segment_ptr 1
		.amdhsa_user_sgpr_dispatch_id 0
		.amdhsa_user_sgpr_kernarg_preload_length 0
		.amdhsa_user_sgpr_kernarg_preload_offset 0
		.amdhsa_user_sgpr_private_segment_size 0
		.amdhsa_wavefront_size32 1
		.amdhsa_uses_dynamic_stack 0
		.amdhsa_enable_private_segment 0
		.amdhsa_system_sgpr_workgroup_id_x 1
		.amdhsa_system_sgpr_workgroup_id_y 0
		.amdhsa_system_sgpr_workgroup_id_z 0
		.amdhsa_system_sgpr_workgroup_info 0
		.amdhsa_system_vgpr_workitem_id 0
		.amdhsa_next_free_vgpr 1
		.amdhsa_next_free_sgpr 1
		.amdhsa_named_barrier_count 0
		.amdhsa_reserve_vcc 0
		.amdhsa_float_round_mode_32 0
		.amdhsa_float_round_mode_16_64 0
		.amdhsa_float_denorm_mode_32 3
		.amdhsa_float_denorm_mode_16_64 3
		.amdhsa_fp16_overflow 0
		.amdhsa_memory_ordered 1
		.amdhsa_forward_progress 1
		.amdhsa_inst_pref_size 0
		.amdhsa_round_robin_scheduling 0
		.amdhsa_exception_fp_ieee_invalid_op 0
		.amdhsa_exception_fp_denorm_src 0
		.amdhsa_exception_fp_ieee_div_zero 0
		.amdhsa_exception_fp_ieee_overflow 0
		.amdhsa_exception_fp_ieee_underflow 0
		.amdhsa_exception_fp_ieee_inexact 0
		.amdhsa_exception_int_div_zero 0
	.end_amdhsa_kernel
	.section	.text._ZN7rocprim17ROCPRIM_400000_NS6detail17trampoline_kernelINS0_14default_configENS1_38merge_sort_block_merge_config_selectorIfNS0_10empty_typeEEEZZNS1_27merge_sort_block_merge_implIS3_PfPS5_jNS1_19radix_merge_compareILb1ELb0EfNS0_19identity_decomposerEEEEE10hipError_tT0_T1_T2_jT3_P12ihipStream_tbPNSt15iterator_traitsISE_E10value_typeEPNSK_ISF_E10value_typeEPSG_NS1_7vsmem_tEENKUlT_SE_SF_SG_E_clIS8_S8_S9_S9_EESD_ST_SE_SF_SG_EUlST_E1_NS1_11comp_targetILNS1_3genE8ELNS1_11target_archE1030ELNS1_3gpuE2ELNS1_3repE0EEENS1_36merge_oddeven_config_static_selectorELNS0_4arch9wavefront6targetE0EEEvSF_,"axG",@progbits,_ZN7rocprim17ROCPRIM_400000_NS6detail17trampoline_kernelINS0_14default_configENS1_38merge_sort_block_merge_config_selectorIfNS0_10empty_typeEEEZZNS1_27merge_sort_block_merge_implIS3_PfPS5_jNS1_19radix_merge_compareILb1ELb0EfNS0_19identity_decomposerEEEEE10hipError_tT0_T1_T2_jT3_P12ihipStream_tbPNSt15iterator_traitsISE_E10value_typeEPNSK_ISF_E10value_typeEPSG_NS1_7vsmem_tEENKUlT_SE_SF_SG_E_clIS8_S8_S9_S9_EESD_ST_SE_SF_SG_EUlST_E1_NS1_11comp_targetILNS1_3genE8ELNS1_11target_archE1030ELNS1_3gpuE2ELNS1_3repE0EEENS1_36merge_oddeven_config_static_selectorELNS0_4arch9wavefront6targetE0EEEvSF_,comdat
.Lfunc_end1284:
	.size	_ZN7rocprim17ROCPRIM_400000_NS6detail17trampoline_kernelINS0_14default_configENS1_38merge_sort_block_merge_config_selectorIfNS0_10empty_typeEEEZZNS1_27merge_sort_block_merge_implIS3_PfPS5_jNS1_19radix_merge_compareILb1ELb0EfNS0_19identity_decomposerEEEEE10hipError_tT0_T1_T2_jT3_P12ihipStream_tbPNSt15iterator_traitsISE_E10value_typeEPNSK_ISF_E10value_typeEPSG_NS1_7vsmem_tEENKUlT_SE_SF_SG_E_clIS8_S8_S9_S9_EESD_ST_SE_SF_SG_EUlST_E1_NS1_11comp_targetILNS1_3genE8ELNS1_11target_archE1030ELNS1_3gpuE2ELNS1_3repE0EEENS1_36merge_oddeven_config_static_selectorELNS0_4arch9wavefront6targetE0EEEvSF_, .Lfunc_end1284-_ZN7rocprim17ROCPRIM_400000_NS6detail17trampoline_kernelINS0_14default_configENS1_38merge_sort_block_merge_config_selectorIfNS0_10empty_typeEEEZZNS1_27merge_sort_block_merge_implIS3_PfPS5_jNS1_19radix_merge_compareILb1ELb0EfNS0_19identity_decomposerEEEEE10hipError_tT0_T1_T2_jT3_P12ihipStream_tbPNSt15iterator_traitsISE_E10value_typeEPNSK_ISF_E10value_typeEPSG_NS1_7vsmem_tEENKUlT_SE_SF_SG_E_clIS8_S8_S9_S9_EESD_ST_SE_SF_SG_EUlST_E1_NS1_11comp_targetILNS1_3genE8ELNS1_11target_archE1030ELNS1_3gpuE2ELNS1_3repE0EEENS1_36merge_oddeven_config_static_selectorELNS0_4arch9wavefront6targetE0EEEvSF_
                                        ; -- End function
	.set _ZN7rocprim17ROCPRIM_400000_NS6detail17trampoline_kernelINS0_14default_configENS1_38merge_sort_block_merge_config_selectorIfNS0_10empty_typeEEEZZNS1_27merge_sort_block_merge_implIS3_PfPS5_jNS1_19radix_merge_compareILb1ELb0EfNS0_19identity_decomposerEEEEE10hipError_tT0_T1_T2_jT3_P12ihipStream_tbPNSt15iterator_traitsISE_E10value_typeEPNSK_ISF_E10value_typeEPSG_NS1_7vsmem_tEENKUlT_SE_SF_SG_E_clIS8_S8_S9_S9_EESD_ST_SE_SF_SG_EUlST_E1_NS1_11comp_targetILNS1_3genE8ELNS1_11target_archE1030ELNS1_3gpuE2ELNS1_3repE0EEENS1_36merge_oddeven_config_static_selectorELNS0_4arch9wavefront6targetE0EEEvSF_.num_vgpr, 0
	.set _ZN7rocprim17ROCPRIM_400000_NS6detail17trampoline_kernelINS0_14default_configENS1_38merge_sort_block_merge_config_selectorIfNS0_10empty_typeEEEZZNS1_27merge_sort_block_merge_implIS3_PfPS5_jNS1_19radix_merge_compareILb1ELb0EfNS0_19identity_decomposerEEEEE10hipError_tT0_T1_T2_jT3_P12ihipStream_tbPNSt15iterator_traitsISE_E10value_typeEPNSK_ISF_E10value_typeEPSG_NS1_7vsmem_tEENKUlT_SE_SF_SG_E_clIS8_S8_S9_S9_EESD_ST_SE_SF_SG_EUlST_E1_NS1_11comp_targetILNS1_3genE8ELNS1_11target_archE1030ELNS1_3gpuE2ELNS1_3repE0EEENS1_36merge_oddeven_config_static_selectorELNS0_4arch9wavefront6targetE0EEEvSF_.num_agpr, 0
	.set _ZN7rocprim17ROCPRIM_400000_NS6detail17trampoline_kernelINS0_14default_configENS1_38merge_sort_block_merge_config_selectorIfNS0_10empty_typeEEEZZNS1_27merge_sort_block_merge_implIS3_PfPS5_jNS1_19radix_merge_compareILb1ELb0EfNS0_19identity_decomposerEEEEE10hipError_tT0_T1_T2_jT3_P12ihipStream_tbPNSt15iterator_traitsISE_E10value_typeEPNSK_ISF_E10value_typeEPSG_NS1_7vsmem_tEENKUlT_SE_SF_SG_E_clIS8_S8_S9_S9_EESD_ST_SE_SF_SG_EUlST_E1_NS1_11comp_targetILNS1_3genE8ELNS1_11target_archE1030ELNS1_3gpuE2ELNS1_3repE0EEENS1_36merge_oddeven_config_static_selectorELNS0_4arch9wavefront6targetE0EEEvSF_.numbered_sgpr, 0
	.set _ZN7rocprim17ROCPRIM_400000_NS6detail17trampoline_kernelINS0_14default_configENS1_38merge_sort_block_merge_config_selectorIfNS0_10empty_typeEEEZZNS1_27merge_sort_block_merge_implIS3_PfPS5_jNS1_19radix_merge_compareILb1ELb0EfNS0_19identity_decomposerEEEEE10hipError_tT0_T1_T2_jT3_P12ihipStream_tbPNSt15iterator_traitsISE_E10value_typeEPNSK_ISF_E10value_typeEPSG_NS1_7vsmem_tEENKUlT_SE_SF_SG_E_clIS8_S8_S9_S9_EESD_ST_SE_SF_SG_EUlST_E1_NS1_11comp_targetILNS1_3genE8ELNS1_11target_archE1030ELNS1_3gpuE2ELNS1_3repE0EEENS1_36merge_oddeven_config_static_selectorELNS0_4arch9wavefront6targetE0EEEvSF_.num_named_barrier, 0
	.set _ZN7rocprim17ROCPRIM_400000_NS6detail17trampoline_kernelINS0_14default_configENS1_38merge_sort_block_merge_config_selectorIfNS0_10empty_typeEEEZZNS1_27merge_sort_block_merge_implIS3_PfPS5_jNS1_19radix_merge_compareILb1ELb0EfNS0_19identity_decomposerEEEEE10hipError_tT0_T1_T2_jT3_P12ihipStream_tbPNSt15iterator_traitsISE_E10value_typeEPNSK_ISF_E10value_typeEPSG_NS1_7vsmem_tEENKUlT_SE_SF_SG_E_clIS8_S8_S9_S9_EESD_ST_SE_SF_SG_EUlST_E1_NS1_11comp_targetILNS1_3genE8ELNS1_11target_archE1030ELNS1_3gpuE2ELNS1_3repE0EEENS1_36merge_oddeven_config_static_selectorELNS0_4arch9wavefront6targetE0EEEvSF_.private_seg_size, 0
	.set _ZN7rocprim17ROCPRIM_400000_NS6detail17trampoline_kernelINS0_14default_configENS1_38merge_sort_block_merge_config_selectorIfNS0_10empty_typeEEEZZNS1_27merge_sort_block_merge_implIS3_PfPS5_jNS1_19radix_merge_compareILb1ELb0EfNS0_19identity_decomposerEEEEE10hipError_tT0_T1_T2_jT3_P12ihipStream_tbPNSt15iterator_traitsISE_E10value_typeEPNSK_ISF_E10value_typeEPSG_NS1_7vsmem_tEENKUlT_SE_SF_SG_E_clIS8_S8_S9_S9_EESD_ST_SE_SF_SG_EUlST_E1_NS1_11comp_targetILNS1_3genE8ELNS1_11target_archE1030ELNS1_3gpuE2ELNS1_3repE0EEENS1_36merge_oddeven_config_static_selectorELNS0_4arch9wavefront6targetE0EEEvSF_.uses_vcc, 0
	.set _ZN7rocprim17ROCPRIM_400000_NS6detail17trampoline_kernelINS0_14default_configENS1_38merge_sort_block_merge_config_selectorIfNS0_10empty_typeEEEZZNS1_27merge_sort_block_merge_implIS3_PfPS5_jNS1_19radix_merge_compareILb1ELb0EfNS0_19identity_decomposerEEEEE10hipError_tT0_T1_T2_jT3_P12ihipStream_tbPNSt15iterator_traitsISE_E10value_typeEPNSK_ISF_E10value_typeEPSG_NS1_7vsmem_tEENKUlT_SE_SF_SG_E_clIS8_S8_S9_S9_EESD_ST_SE_SF_SG_EUlST_E1_NS1_11comp_targetILNS1_3genE8ELNS1_11target_archE1030ELNS1_3gpuE2ELNS1_3repE0EEENS1_36merge_oddeven_config_static_selectorELNS0_4arch9wavefront6targetE0EEEvSF_.uses_flat_scratch, 0
	.set _ZN7rocprim17ROCPRIM_400000_NS6detail17trampoline_kernelINS0_14default_configENS1_38merge_sort_block_merge_config_selectorIfNS0_10empty_typeEEEZZNS1_27merge_sort_block_merge_implIS3_PfPS5_jNS1_19radix_merge_compareILb1ELb0EfNS0_19identity_decomposerEEEEE10hipError_tT0_T1_T2_jT3_P12ihipStream_tbPNSt15iterator_traitsISE_E10value_typeEPNSK_ISF_E10value_typeEPSG_NS1_7vsmem_tEENKUlT_SE_SF_SG_E_clIS8_S8_S9_S9_EESD_ST_SE_SF_SG_EUlST_E1_NS1_11comp_targetILNS1_3genE8ELNS1_11target_archE1030ELNS1_3gpuE2ELNS1_3repE0EEENS1_36merge_oddeven_config_static_selectorELNS0_4arch9wavefront6targetE0EEEvSF_.has_dyn_sized_stack, 0
	.set _ZN7rocprim17ROCPRIM_400000_NS6detail17trampoline_kernelINS0_14default_configENS1_38merge_sort_block_merge_config_selectorIfNS0_10empty_typeEEEZZNS1_27merge_sort_block_merge_implIS3_PfPS5_jNS1_19radix_merge_compareILb1ELb0EfNS0_19identity_decomposerEEEEE10hipError_tT0_T1_T2_jT3_P12ihipStream_tbPNSt15iterator_traitsISE_E10value_typeEPNSK_ISF_E10value_typeEPSG_NS1_7vsmem_tEENKUlT_SE_SF_SG_E_clIS8_S8_S9_S9_EESD_ST_SE_SF_SG_EUlST_E1_NS1_11comp_targetILNS1_3genE8ELNS1_11target_archE1030ELNS1_3gpuE2ELNS1_3repE0EEENS1_36merge_oddeven_config_static_selectorELNS0_4arch9wavefront6targetE0EEEvSF_.has_recursion, 0
	.set _ZN7rocprim17ROCPRIM_400000_NS6detail17trampoline_kernelINS0_14default_configENS1_38merge_sort_block_merge_config_selectorIfNS0_10empty_typeEEEZZNS1_27merge_sort_block_merge_implIS3_PfPS5_jNS1_19radix_merge_compareILb1ELb0EfNS0_19identity_decomposerEEEEE10hipError_tT0_T1_T2_jT3_P12ihipStream_tbPNSt15iterator_traitsISE_E10value_typeEPNSK_ISF_E10value_typeEPSG_NS1_7vsmem_tEENKUlT_SE_SF_SG_E_clIS8_S8_S9_S9_EESD_ST_SE_SF_SG_EUlST_E1_NS1_11comp_targetILNS1_3genE8ELNS1_11target_archE1030ELNS1_3gpuE2ELNS1_3repE0EEENS1_36merge_oddeven_config_static_selectorELNS0_4arch9wavefront6targetE0EEEvSF_.has_indirect_call, 0
	.section	.AMDGPU.csdata,"",@progbits
; Kernel info:
; codeLenInByte = 0
; TotalNumSgprs: 0
; NumVgprs: 0
; ScratchSize: 0
; MemoryBound: 0
; FloatMode: 240
; IeeeMode: 1
; LDSByteSize: 0 bytes/workgroup (compile time only)
; SGPRBlocks: 0
; VGPRBlocks: 0
; NumSGPRsForWavesPerEU: 1
; NumVGPRsForWavesPerEU: 1
; NamedBarCnt: 0
; Occupancy: 16
; WaveLimiterHint : 0
; COMPUTE_PGM_RSRC2:SCRATCH_EN: 0
; COMPUTE_PGM_RSRC2:USER_SGPR: 2
; COMPUTE_PGM_RSRC2:TRAP_HANDLER: 0
; COMPUTE_PGM_RSRC2:TGID_X_EN: 1
; COMPUTE_PGM_RSRC2:TGID_Y_EN: 0
; COMPUTE_PGM_RSRC2:TGID_Z_EN: 0
; COMPUTE_PGM_RSRC2:TIDIG_COMP_CNT: 0
	.section	.text._ZN7rocprim17ROCPRIM_400000_NS6detail17trampoline_kernelINS0_14default_configENS1_25transform_config_selectorIfLb1EEEZNS1_14transform_implILb1ES3_S5_PfS7_NS0_8identityIfEEEE10hipError_tT2_T3_mT4_P12ihipStream_tbEUlT_E_NS1_11comp_targetILNS1_3genE0ELNS1_11target_archE4294967295ELNS1_3gpuE0ELNS1_3repE0EEENS1_30default_config_static_selectorELNS0_4arch9wavefront6targetE0EEEvT1_,"axG",@progbits,_ZN7rocprim17ROCPRIM_400000_NS6detail17trampoline_kernelINS0_14default_configENS1_25transform_config_selectorIfLb1EEEZNS1_14transform_implILb1ES3_S5_PfS7_NS0_8identityIfEEEE10hipError_tT2_T3_mT4_P12ihipStream_tbEUlT_E_NS1_11comp_targetILNS1_3genE0ELNS1_11target_archE4294967295ELNS1_3gpuE0ELNS1_3repE0EEENS1_30default_config_static_selectorELNS0_4arch9wavefront6targetE0EEEvT1_,comdat
	.protected	_ZN7rocprim17ROCPRIM_400000_NS6detail17trampoline_kernelINS0_14default_configENS1_25transform_config_selectorIfLb1EEEZNS1_14transform_implILb1ES3_S5_PfS7_NS0_8identityIfEEEE10hipError_tT2_T3_mT4_P12ihipStream_tbEUlT_E_NS1_11comp_targetILNS1_3genE0ELNS1_11target_archE4294967295ELNS1_3gpuE0ELNS1_3repE0EEENS1_30default_config_static_selectorELNS0_4arch9wavefront6targetE0EEEvT1_ ; -- Begin function _ZN7rocprim17ROCPRIM_400000_NS6detail17trampoline_kernelINS0_14default_configENS1_25transform_config_selectorIfLb1EEEZNS1_14transform_implILb1ES3_S5_PfS7_NS0_8identityIfEEEE10hipError_tT2_T3_mT4_P12ihipStream_tbEUlT_E_NS1_11comp_targetILNS1_3genE0ELNS1_11target_archE4294967295ELNS1_3gpuE0ELNS1_3repE0EEENS1_30default_config_static_selectorELNS0_4arch9wavefront6targetE0EEEvT1_
	.globl	_ZN7rocprim17ROCPRIM_400000_NS6detail17trampoline_kernelINS0_14default_configENS1_25transform_config_selectorIfLb1EEEZNS1_14transform_implILb1ES3_S5_PfS7_NS0_8identityIfEEEE10hipError_tT2_T3_mT4_P12ihipStream_tbEUlT_E_NS1_11comp_targetILNS1_3genE0ELNS1_11target_archE4294967295ELNS1_3gpuE0ELNS1_3repE0EEENS1_30default_config_static_selectorELNS0_4arch9wavefront6targetE0EEEvT1_
	.p2align	8
	.type	_ZN7rocprim17ROCPRIM_400000_NS6detail17trampoline_kernelINS0_14default_configENS1_25transform_config_selectorIfLb1EEEZNS1_14transform_implILb1ES3_S5_PfS7_NS0_8identityIfEEEE10hipError_tT2_T3_mT4_P12ihipStream_tbEUlT_E_NS1_11comp_targetILNS1_3genE0ELNS1_11target_archE4294967295ELNS1_3gpuE0ELNS1_3repE0EEENS1_30default_config_static_selectorELNS0_4arch9wavefront6targetE0EEEvT1_,@function
_ZN7rocprim17ROCPRIM_400000_NS6detail17trampoline_kernelINS0_14default_configENS1_25transform_config_selectorIfLb1EEEZNS1_14transform_implILb1ES3_S5_PfS7_NS0_8identityIfEEEE10hipError_tT2_T3_mT4_P12ihipStream_tbEUlT_E_NS1_11comp_targetILNS1_3genE0ELNS1_11target_archE4294967295ELNS1_3gpuE0ELNS1_3repE0EEENS1_30default_config_static_selectorELNS0_4arch9wavefront6targetE0EEEvT1_: ; @_ZN7rocprim17ROCPRIM_400000_NS6detail17trampoline_kernelINS0_14default_configENS1_25transform_config_selectorIfLb1EEEZNS1_14transform_implILb1ES3_S5_PfS7_NS0_8identityIfEEEE10hipError_tT2_T3_mT4_P12ihipStream_tbEUlT_E_NS1_11comp_targetILNS1_3genE0ELNS1_11target_archE4294967295ELNS1_3gpuE0ELNS1_3repE0EEENS1_30default_config_static_selectorELNS0_4arch9wavefront6targetE0EEEvT1_
; %bb.0:
	s_clause 0x1
	s_load_b256 s[4:11], s[0:1], 0x0
	s_load_b32 s12, s[0:1], 0x28
	s_wait_xcnt 0x0
	s_bfe_u32 s0, ttmp6, 0x4000c
	s_and_b32 s2, ttmp6, 15
	s_add_co_i32 s0, s0, 1
	s_wait_kmcnt 0x0
	s_getreg_b32 s9, hwreg(HW_REG_IB_STS2, 6, 4)
	s_mul_i32 s0, ttmp9, s0
	s_mov_b32 s1, 0
	s_add_co_i32 s0, s2, s0
	s_lshl_b64 s[2:3], s[6:7], 2
	s_cmp_eq_u32 s9, 0
	s_add_nc_u64 s[6:7], s[4:5], s[2:3]
	s_cselect_b32 s13, ttmp9, s0
	s_add_co_i32 s12, s12, -1
	s_lshl_b32 s0, s13, 8
	s_add_nc_u64 s[2:3], s[10:11], s[2:3]
	s_lshl_b64 s[4:5], s[0:1], 2
	s_mov_b32 s9, -1
	s_cmp_lg_u32 s13, s12
	s_add_nc_u64 s[6:7], s[6:7], s[4:5]
	s_cbranch_scc0 .LBB1285_2
; %bb.1:
	global_load_b64 v[2:3], v0, s[6:7] scale_offset
	s_add_nc_u64 s[10:11], s[2:3], s[4:5]
	s_mov_b32 s9, 0
	s_wait_loadcnt 0x0
	global_store_b64 v0, v[2:3], s[10:11] scale_offset
.LBB1285_2:
	s_and_not1_b32 vcc_lo, exec_lo, s9
	s_cbranch_vccnz .LBB1285_11
; %bb.3:
	s_sub_co_i32 s1, s8, s0
	s_wait_xcnt 0x0
	v_mov_b64_e32 v[2:3], 0
	v_cmp_gt_u32_e32 vcc_lo, s1, v0
	s_and_saveexec_b32 s0, vcc_lo
	s_cbranch_execz .LBB1285_5
; %bb.4:
	global_load_b32 v2, v0, s[6:7] scale_offset
	v_mov_b32_e32 v3, 0
.LBB1285_5:
	s_wait_xcnt 0x0
	s_or_b32 exec_lo, exec_lo, s0
	v_or_b32_e32 v1, 0x80, v0
	s_delay_alu instid0(VALU_DEP_1) | instskip(SKIP_2) | instid1(SALU_CYCLE_1)
	v_cmp_gt_u32_e64 s0, s1, v1
	v_cmp_le_u32_e64 s1, s1, v1
	s_and_saveexec_b32 s8, s1
	s_xor_b32 s1, exec_lo, s8
	s_delay_alu instid0(SALU_CYCLE_1)
	s_and_not1_saveexec_b32 s1, s1
	s_cbranch_execz .LBB1285_7
; %bb.6:
	global_load_b32 v3, v0, s[6:7] offset:512 scale_offset
.LBB1285_7:
	s_wait_xcnt 0x0
	s_or_b32 exec_lo, exec_lo, s1
	v_dual_mov_b32 v1, 0 :: v_dual_lshlrev_b32 v0, 2, v0
	s_add_nc_u64 s[2:3], s[2:3], s[4:5]
	s_wait_loadcnt 0x0
	v_cndmask_b32_e32 v2, 0, v2, vcc_lo
	s_delay_alu instid0(VALU_DEP_2)
	v_add_nc_u64_e32 v[0:1], s[2:3], v[0:1]
	s_and_saveexec_b32 s1, vcc_lo
	s_cbranch_execz .LBB1285_9
; %bb.8:
	global_store_b32 v[0:1], v2, off
.LBB1285_9:
	s_wait_xcnt 0x0
	s_or_b32 exec_lo, exec_lo, s1
	s_and_saveexec_b32 s1, s0
	s_cbranch_execz .LBB1285_11
; %bb.10:
	v_cndmask_b32_e64 v2, 0, v3, s0
	global_store_b32 v[0:1], v2, off offset:512
.LBB1285_11:
	s_endpgm
	.section	.rodata,"a",@progbits
	.p2align	6, 0x0
	.amdhsa_kernel _ZN7rocprim17ROCPRIM_400000_NS6detail17trampoline_kernelINS0_14default_configENS1_25transform_config_selectorIfLb1EEEZNS1_14transform_implILb1ES3_S5_PfS7_NS0_8identityIfEEEE10hipError_tT2_T3_mT4_P12ihipStream_tbEUlT_E_NS1_11comp_targetILNS1_3genE0ELNS1_11target_archE4294967295ELNS1_3gpuE0ELNS1_3repE0EEENS1_30default_config_static_selectorELNS0_4arch9wavefront6targetE0EEEvT1_
		.amdhsa_group_segment_fixed_size 0
		.amdhsa_private_segment_fixed_size 0
		.amdhsa_kernarg_size 296
		.amdhsa_user_sgpr_count 2
		.amdhsa_user_sgpr_dispatch_ptr 0
		.amdhsa_user_sgpr_queue_ptr 0
		.amdhsa_user_sgpr_kernarg_segment_ptr 1
		.amdhsa_user_sgpr_dispatch_id 0
		.amdhsa_user_sgpr_kernarg_preload_length 0
		.amdhsa_user_sgpr_kernarg_preload_offset 0
		.amdhsa_user_sgpr_private_segment_size 0
		.amdhsa_wavefront_size32 1
		.amdhsa_uses_dynamic_stack 0
		.amdhsa_enable_private_segment 0
		.amdhsa_system_sgpr_workgroup_id_x 1
		.amdhsa_system_sgpr_workgroup_id_y 0
		.amdhsa_system_sgpr_workgroup_id_z 0
		.amdhsa_system_sgpr_workgroup_info 0
		.amdhsa_system_vgpr_workitem_id 0
		.amdhsa_next_free_vgpr 4
		.amdhsa_next_free_sgpr 14
		.amdhsa_named_barrier_count 0
		.amdhsa_reserve_vcc 1
		.amdhsa_float_round_mode_32 0
		.amdhsa_float_round_mode_16_64 0
		.amdhsa_float_denorm_mode_32 3
		.amdhsa_float_denorm_mode_16_64 3
		.amdhsa_fp16_overflow 0
		.amdhsa_memory_ordered 1
		.amdhsa_forward_progress 1
		.amdhsa_inst_pref_size 3
		.amdhsa_round_robin_scheduling 0
		.amdhsa_exception_fp_ieee_invalid_op 0
		.amdhsa_exception_fp_denorm_src 0
		.amdhsa_exception_fp_ieee_div_zero 0
		.amdhsa_exception_fp_ieee_overflow 0
		.amdhsa_exception_fp_ieee_underflow 0
		.amdhsa_exception_fp_ieee_inexact 0
		.amdhsa_exception_int_div_zero 0
	.end_amdhsa_kernel
	.section	.text._ZN7rocprim17ROCPRIM_400000_NS6detail17trampoline_kernelINS0_14default_configENS1_25transform_config_selectorIfLb1EEEZNS1_14transform_implILb1ES3_S5_PfS7_NS0_8identityIfEEEE10hipError_tT2_T3_mT4_P12ihipStream_tbEUlT_E_NS1_11comp_targetILNS1_3genE0ELNS1_11target_archE4294967295ELNS1_3gpuE0ELNS1_3repE0EEENS1_30default_config_static_selectorELNS0_4arch9wavefront6targetE0EEEvT1_,"axG",@progbits,_ZN7rocprim17ROCPRIM_400000_NS6detail17trampoline_kernelINS0_14default_configENS1_25transform_config_selectorIfLb1EEEZNS1_14transform_implILb1ES3_S5_PfS7_NS0_8identityIfEEEE10hipError_tT2_T3_mT4_P12ihipStream_tbEUlT_E_NS1_11comp_targetILNS1_3genE0ELNS1_11target_archE4294967295ELNS1_3gpuE0ELNS1_3repE0EEENS1_30default_config_static_selectorELNS0_4arch9wavefront6targetE0EEEvT1_,comdat
.Lfunc_end1285:
	.size	_ZN7rocprim17ROCPRIM_400000_NS6detail17trampoline_kernelINS0_14default_configENS1_25transform_config_selectorIfLb1EEEZNS1_14transform_implILb1ES3_S5_PfS7_NS0_8identityIfEEEE10hipError_tT2_T3_mT4_P12ihipStream_tbEUlT_E_NS1_11comp_targetILNS1_3genE0ELNS1_11target_archE4294967295ELNS1_3gpuE0ELNS1_3repE0EEENS1_30default_config_static_selectorELNS0_4arch9wavefront6targetE0EEEvT1_, .Lfunc_end1285-_ZN7rocprim17ROCPRIM_400000_NS6detail17trampoline_kernelINS0_14default_configENS1_25transform_config_selectorIfLb1EEEZNS1_14transform_implILb1ES3_S5_PfS7_NS0_8identityIfEEEE10hipError_tT2_T3_mT4_P12ihipStream_tbEUlT_E_NS1_11comp_targetILNS1_3genE0ELNS1_11target_archE4294967295ELNS1_3gpuE0ELNS1_3repE0EEENS1_30default_config_static_selectorELNS0_4arch9wavefront6targetE0EEEvT1_
                                        ; -- End function
	.set _ZN7rocprim17ROCPRIM_400000_NS6detail17trampoline_kernelINS0_14default_configENS1_25transform_config_selectorIfLb1EEEZNS1_14transform_implILb1ES3_S5_PfS7_NS0_8identityIfEEEE10hipError_tT2_T3_mT4_P12ihipStream_tbEUlT_E_NS1_11comp_targetILNS1_3genE0ELNS1_11target_archE4294967295ELNS1_3gpuE0ELNS1_3repE0EEENS1_30default_config_static_selectorELNS0_4arch9wavefront6targetE0EEEvT1_.num_vgpr, 4
	.set _ZN7rocprim17ROCPRIM_400000_NS6detail17trampoline_kernelINS0_14default_configENS1_25transform_config_selectorIfLb1EEEZNS1_14transform_implILb1ES3_S5_PfS7_NS0_8identityIfEEEE10hipError_tT2_T3_mT4_P12ihipStream_tbEUlT_E_NS1_11comp_targetILNS1_3genE0ELNS1_11target_archE4294967295ELNS1_3gpuE0ELNS1_3repE0EEENS1_30default_config_static_selectorELNS0_4arch9wavefront6targetE0EEEvT1_.num_agpr, 0
	.set _ZN7rocprim17ROCPRIM_400000_NS6detail17trampoline_kernelINS0_14default_configENS1_25transform_config_selectorIfLb1EEEZNS1_14transform_implILb1ES3_S5_PfS7_NS0_8identityIfEEEE10hipError_tT2_T3_mT4_P12ihipStream_tbEUlT_E_NS1_11comp_targetILNS1_3genE0ELNS1_11target_archE4294967295ELNS1_3gpuE0ELNS1_3repE0EEENS1_30default_config_static_selectorELNS0_4arch9wavefront6targetE0EEEvT1_.numbered_sgpr, 14
	.set _ZN7rocprim17ROCPRIM_400000_NS6detail17trampoline_kernelINS0_14default_configENS1_25transform_config_selectorIfLb1EEEZNS1_14transform_implILb1ES3_S5_PfS7_NS0_8identityIfEEEE10hipError_tT2_T3_mT4_P12ihipStream_tbEUlT_E_NS1_11comp_targetILNS1_3genE0ELNS1_11target_archE4294967295ELNS1_3gpuE0ELNS1_3repE0EEENS1_30default_config_static_selectorELNS0_4arch9wavefront6targetE0EEEvT1_.num_named_barrier, 0
	.set _ZN7rocprim17ROCPRIM_400000_NS6detail17trampoline_kernelINS0_14default_configENS1_25transform_config_selectorIfLb1EEEZNS1_14transform_implILb1ES3_S5_PfS7_NS0_8identityIfEEEE10hipError_tT2_T3_mT4_P12ihipStream_tbEUlT_E_NS1_11comp_targetILNS1_3genE0ELNS1_11target_archE4294967295ELNS1_3gpuE0ELNS1_3repE0EEENS1_30default_config_static_selectorELNS0_4arch9wavefront6targetE0EEEvT1_.private_seg_size, 0
	.set _ZN7rocprim17ROCPRIM_400000_NS6detail17trampoline_kernelINS0_14default_configENS1_25transform_config_selectorIfLb1EEEZNS1_14transform_implILb1ES3_S5_PfS7_NS0_8identityIfEEEE10hipError_tT2_T3_mT4_P12ihipStream_tbEUlT_E_NS1_11comp_targetILNS1_3genE0ELNS1_11target_archE4294967295ELNS1_3gpuE0ELNS1_3repE0EEENS1_30default_config_static_selectorELNS0_4arch9wavefront6targetE0EEEvT1_.uses_vcc, 1
	.set _ZN7rocprim17ROCPRIM_400000_NS6detail17trampoline_kernelINS0_14default_configENS1_25transform_config_selectorIfLb1EEEZNS1_14transform_implILb1ES3_S5_PfS7_NS0_8identityIfEEEE10hipError_tT2_T3_mT4_P12ihipStream_tbEUlT_E_NS1_11comp_targetILNS1_3genE0ELNS1_11target_archE4294967295ELNS1_3gpuE0ELNS1_3repE0EEENS1_30default_config_static_selectorELNS0_4arch9wavefront6targetE0EEEvT1_.uses_flat_scratch, 0
	.set _ZN7rocprim17ROCPRIM_400000_NS6detail17trampoline_kernelINS0_14default_configENS1_25transform_config_selectorIfLb1EEEZNS1_14transform_implILb1ES3_S5_PfS7_NS0_8identityIfEEEE10hipError_tT2_T3_mT4_P12ihipStream_tbEUlT_E_NS1_11comp_targetILNS1_3genE0ELNS1_11target_archE4294967295ELNS1_3gpuE0ELNS1_3repE0EEENS1_30default_config_static_selectorELNS0_4arch9wavefront6targetE0EEEvT1_.has_dyn_sized_stack, 0
	.set _ZN7rocprim17ROCPRIM_400000_NS6detail17trampoline_kernelINS0_14default_configENS1_25transform_config_selectorIfLb1EEEZNS1_14transform_implILb1ES3_S5_PfS7_NS0_8identityIfEEEE10hipError_tT2_T3_mT4_P12ihipStream_tbEUlT_E_NS1_11comp_targetILNS1_3genE0ELNS1_11target_archE4294967295ELNS1_3gpuE0ELNS1_3repE0EEENS1_30default_config_static_selectorELNS0_4arch9wavefront6targetE0EEEvT1_.has_recursion, 0
	.set _ZN7rocprim17ROCPRIM_400000_NS6detail17trampoline_kernelINS0_14default_configENS1_25transform_config_selectorIfLb1EEEZNS1_14transform_implILb1ES3_S5_PfS7_NS0_8identityIfEEEE10hipError_tT2_T3_mT4_P12ihipStream_tbEUlT_E_NS1_11comp_targetILNS1_3genE0ELNS1_11target_archE4294967295ELNS1_3gpuE0ELNS1_3repE0EEENS1_30default_config_static_selectorELNS0_4arch9wavefront6targetE0EEEvT1_.has_indirect_call, 0
	.section	.AMDGPU.csdata,"",@progbits
; Kernel info:
; codeLenInByte = 356
; TotalNumSgprs: 16
; NumVgprs: 4
; ScratchSize: 0
; MemoryBound: 0
; FloatMode: 240
; IeeeMode: 1
; LDSByteSize: 0 bytes/workgroup (compile time only)
; SGPRBlocks: 0
; VGPRBlocks: 0
; NumSGPRsForWavesPerEU: 16
; NumVGPRsForWavesPerEU: 4
; NamedBarCnt: 0
; Occupancy: 16
; WaveLimiterHint : 0
; COMPUTE_PGM_RSRC2:SCRATCH_EN: 0
; COMPUTE_PGM_RSRC2:USER_SGPR: 2
; COMPUTE_PGM_RSRC2:TRAP_HANDLER: 0
; COMPUTE_PGM_RSRC2:TGID_X_EN: 1
; COMPUTE_PGM_RSRC2:TGID_Y_EN: 0
; COMPUTE_PGM_RSRC2:TGID_Z_EN: 0
; COMPUTE_PGM_RSRC2:TIDIG_COMP_CNT: 0
	.section	.text._ZN7rocprim17ROCPRIM_400000_NS6detail17trampoline_kernelINS0_14default_configENS1_25transform_config_selectorIfLb1EEEZNS1_14transform_implILb1ES3_S5_PfS7_NS0_8identityIfEEEE10hipError_tT2_T3_mT4_P12ihipStream_tbEUlT_E_NS1_11comp_targetILNS1_3genE10ELNS1_11target_archE1201ELNS1_3gpuE5ELNS1_3repE0EEENS1_30default_config_static_selectorELNS0_4arch9wavefront6targetE0EEEvT1_,"axG",@progbits,_ZN7rocprim17ROCPRIM_400000_NS6detail17trampoline_kernelINS0_14default_configENS1_25transform_config_selectorIfLb1EEEZNS1_14transform_implILb1ES3_S5_PfS7_NS0_8identityIfEEEE10hipError_tT2_T3_mT4_P12ihipStream_tbEUlT_E_NS1_11comp_targetILNS1_3genE10ELNS1_11target_archE1201ELNS1_3gpuE5ELNS1_3repE0EEENS1_30default_config_static_selectorELNS0_4arch9wavefront6targetE0EEEvT1_,comdat
	.protected	_ZN7rocprim17ROCPRIM_400000_NS6detail17trampoline_kernelINS0_14default_configENS1_25transform_config_selectorIfLb1EEEZNS1_14transform_implILb1ES3_S5_PfS7_NS0_8identityIfEEEE10hipError_tT2_T3_mT4_P12ihipStream_tbEUlT_E_NS1_11comp_targetILNS1_3genE10ELNS1_11target_archE1201ELNS1_3gpuE5ELNS1_3repE0EEENS1_30default_config_static_selectorELNS0_4arch9wavefront6targetE0EEEvT1_ ; -- Begin function _ZN7rocprim17ROCPRIM_400000_NS6detail17trampoline_kernelINS0_14default_configENS1_25transform_config_selectorIfLb1EEEZNS1_14transform_implILb1ES3_S5_PfS7_NS0_8identityIfEEEE10hipError_tT2_T3_mT4_P12ihipStream_tbEUlT_E_NS1_11comp_targetILNS1_3genE10ELNS1_11target_archE1201ELNS1_3gpuE5ELNS1_3repE0EEENS1_30default_config_static_selectorELNS0_4arch9wavefront6targetE0EEEvT1_
	.globl	_ZN7rocprim17ROCPRIM_400000_NS6detail17trampoline_kernelINS0_14default_configENS1_25transform_config_selectorIfLb1EEEZNS1_14transform_implILb1ES3_S5_PfS7_NS0_8identityIfEEEE10hipError_tT2_T3_mT4_P12ihipStream_tbEUlT_E_NS1_11comp_targetILNS1_3genE10ELNS1_11target_archE1201ELNS1_3gpuE5ELNS1_3repE0EEENS1_30default_config_static_selectorELNS0_4arch9wavefront6targetE0EEEvT1_
	.p2align	8
	.type	_ZN7rocprim17ROCPRIM_400000_NS6detail17trampoline_kernelINS0_14default_configENS1_25transform_config_selectorIfLb1EEEZNS1_14transform_implILb1ES3_S5_PfS7_NS0_8identityIfEEEE10hipError_tT2_T3_mT4_P12ihipStream_tbEUlT_E_NS1_11comp_targetILNS1_3genE10ELNS1_11target_archE1201ELNS1_3gpuE5ELNS1_3repE0EEENS1_30default_config_static_selectorELNS0_4arch9wavefront6targetE0EEEvT1_,@function
_ZN7rocprim17ROCPRIM_400000_NS6detail17trampoline_kernelINS0_14default_configENS1_25transform_config_selectorIfLb1EEEZNS1_14transform_implILb1ES3_S5_PfS7_NS0_8identityIfEEEE10hipError_tT2_T3_mT4_P12ihipStream_tbEUlT_E_NS1_11comp_targetILNS1_3genE10ELNS1_11target_archE1201ELNS1_3gpuE5ELNS1_3repE0EEENS1_30default_config_static_selectorELNS0_4arch9wavefront6targetE0EEEvT1_: ; @_ZN7rocprim17ROCPRIM_400000_NS6detail17trampoline_kernelINS0_14default_configENS1_25transform_config_selectorIfLb1EEEZNS1_14transform_implILb1ES3_S5_PfS7_NS0_8identityIfEEEE10hipError_tT2_T3_mT4_P12ihipStream_tbEUlT_E_NS1_11comp_targetILNS1_3genE10ELNS1_11target_archE1201ELNS1_3gpuE5ELNS1_3repE0EEENS1_30default_config_static_selectorELNS0_4arch9wavefront6targetE0EEEvT1_
; %bb.0:
	.section	.rodata,"a",@progbits
	.p2align	6, 0x0
	.amdhsa_kernel _ZN7rocprim17ROCPRIM_400000_NS6detail17trampoline_kernelINS0_14default_configENS1_25transform_config_selectorIfLb1EEEZNS1_14transform_implILb1ES3_S5_PfS7_NS0_8identityIfEEEE10hipError_tT2_T3_mT4_P12ihipStream_tbEUlT_E_NS1_11comp_targetILNS1_3genE10ELNS1_11target_archE1201ELNS1_3gpuE5ELNS1_3repE0EEENS1_30default_config_static_selectorELNS0_4arch9wavefront6targetE0EEEvT1_
		.amdhsa_group_segment_fixed_size 0
		.amdhsa_private_segment_fixed_size 0
		.amdhsa_kernarg_size 40
		.amdhsa_user_sgpr_count 2
		.amdhsa_user_sgpr_dispatch_ptr 0
		.amdhsa_user_sgpr_queue_ptr 0
		.amdhsa_user_sgpr_kernarg_segment_ptr 1
		.amdhsa_user_sgpr_dispatch_id 0
		.amdhsa_user_sgpr_kernarg_preload_length 0
		.amdhsa_user_sgpr_kernarg_preload_offset 0
		.amdhsa_user_sgpr_private_segment_size 0
		.amdhsa_wavefront_size32 1
		.amdhsa_uses_dynamic_stack 0
		.amdhsa_enable_private_segment 0
		.amdhsa_system_sgpr_workgroup_id_x 1
		.amdhsa_system_sgpr_workgroup_id_y 0
		.amdhsa_system_sgpr_workgroup_id_z 0
		.amdhsa_system_sgpr_workgroup_info 0
		.amdhsa_system_vgpr_workitem_id 0
		.amdhsa_next_free_vgpr 1
		.amdhsa_next_free_sgpr 1
		.amdhsa_named_barrier_count 0
		.amdhsa_reserve_vcc 0
		.amdhsa_float_round_mode_32 0
		.amdhsa_float_round_mode_16_64 0
		.amdhsa_float_denorm_mode_32 3
		.amdhsa_float_denorm_mode_16_64 3
		.amdhsa_fp16_overflow 0
		.amdhsa_memory_ordered 1
		.amdhsa_forward_progress 1
		.amdhsa_inst_pref_size 0
		.amdhsa_round_robin_scheduling 0
		.amdhsa_exception_fp_ieee_invalid_op 0
		.amdhsa_exception_fp_denorm_src 0
		.amdhsa_exception_fp_ieee_div_zero 0
		.amdhsa_exception_fp_ieee_overflow 0
		.amdhsa_exception_fp_ieee_underflow 0
		.amdhsa_exception_fp_ieee_inexact 0
		.amdhsa_exception_int_div_zero 0
	.end_amdhsa_kernel
	.section	.text._ZN7rocprim17ROCPRIM_400000_NS6detail17trampoline_kernelINS0_14default_configENS1_25transform_config_selectorIfLb1EEEZNS1_14transform_implILb1ES3_S5_PfS7_NS0_8identityIfEEEE10hipError_tT2_T3_mT4_P12ihipStream_tbEUlT_E_NS1_11comp_targetILNS1_3genE10ELNS1_11target_archE1201ELNS1_3gpuE5ELNS1_3repE0EEENS1_30default_config_static_selectorELNS0_4arch9wavefront6targetE0EEEvT1_,"axG",@progbits,_ZN7rocprim17ROCPRIM_400000_NS6detail17trampoline_kernelINS0_14default_configENS1_25transform_config_selectorIfLb1EEEZNS1_14transform_implILb1ES3_S5_PfS7_NS0_8identityIfEEEE10hipError_tT2_T3_mT4_P12ihipStream_tbEUlT_E_NS1_11comp_targetILNS1_3genE10ELNS1_11target_archE1201ELNS1_3gpuE5ELNS1_3repE0EEENS1_30default_config_static_selectorELNS0_4arch9wavefront6targetE0EEEvT1_,comdat
.Lfunc_end1286:
	.size	_ZN7rocprim17ROCPRIM_400000_NS6detail17trampoline_kernelINS0_14default_configENS1_25transform_config_selectorIfLb1EEEZNS1_14transform_implILb1ES3_S5_PfS7_NS0_8identityIfEEEE10hipError_tT2_T3_mT4_P12ihipStream_tbEUlT_E_NS1_11comp_targetILNS1_3genE10ELNS1_11target_archE1201ELNS1_3gpuE5ELNS1_3repE0EEENS1_30default_config_static_selectorELNS0_4arch9wavefront6targetE0EEEvT1_, .Lfunc_end1286-_ZN7rocprim17ROCPRIM_400000_NS6detail17trampoline_kernelINS0_14default_configENS1_25transform_config_selectorIfLb1EEEZNS1_14transform_implILb1ES3_S5_PfS7_NS0_8identityIfEEEE10hipError_tT2_T3_mT4_P12ihipStream_tbEUlT_E_NS1_11comp_targetILNS1_3genE10ELNS1_11target_archE1201ELNS1_3gpuE5ELNS1_3repE0EEENS1_30default_config_static_selectorELNS0_4arch9wavefront6targetE0EEEvT1_
                                        ; -- End function
	.set _ZN7rocprim17ROCPRIM_400000_NS6detail17trampoline_kernelINS0_14default_configENS1_25transform_config_selectorIfLb1EEEZNS1_14transform_implILb1ES3_S5_PfS7_NS0_8identityIfEEEE10hipError_tT2_T3_mT4_P12ihipStream_tbEUlT_E_NS1_11comp_targetILNS1_3genE10ELNS1_11target_archE1201ELNS1_3gpuE5ELNS1_3repE0EEENS1_30default_config_static_selectorELNS0_4arch9wavefront6targetE0EEEvT1_.num_vgpr, 0
	.set _ZN7rocprim17ROCPRIM_400000_NS6detail17trampoline_kernelINS0_14default_configENS1_25transform_config_selectorIfLb1EEEZNS1_14transform_implILb1ES3_S5_PfS7_NS0_8identityIfEEEE10hipError_tT2_T3_mT4_P12ihipStream_tbEUlT_E_NS1_11comp_targetILNS1_3genE10ELNS1_11target_archE1201ELNS1_3gpuE5ELNS1_3repE0EEENS1_30default_config_static_selectorELNS0_4arch9wavefront6targetE0EEEvT1_.num_agpr, 0
	.set _ZN7rocprim17ROCPRIM_400000_NS6detail17trampoline_kernelINS0_14default_configENS1_25transform_config_selectorIfLb1EEEZNS1_14transform_implILb1ES3_S5_PfS7_NS0_8identityIfEEEE10hipError_tT2_T3_mT4_P12ihipStream_tbEUlT_E_NS1_11comp_targetILNS1_3genE10ELNS1_11target_archE1201ELNS1_3gpuE5ELNS1_3repE0EEENS1_30default_config_static_selectorELNS0_4arch9wavefront6targetE0EEEvT1_.numbered_sgpr, 0
	.set _ZN7rocprim17ROCPRIM_400000_NS6detail17trampoline_kernelINS0_14default_configENS1_25transform_config_selectorIfLb1EEEZNS1_14transform_implILb1ES3_S5_PfS7_NS0_8identityIfEEEE10hipError_tT2_T3_mT4_P12ihipStream_tbEUlT_E_NS1_11comp_targetILNS1_3genE10ELNS1_11target_archE1201ELNS1_3gpuE5ELNS1_3repE0EEENS1_30default_config_static_selectorELNS0_4arch9wavefront6targetE0EEEvT1_.num_named_barrier, 0
	.set _ZN7rocprim17ROCPRIM_400000_NS6detail17trampoline_kernelINS0_14default_configENS1_25transform_config_selectorIfLb1EEEZNS1_14transform_implILb1ES3_S5_PfS7_NS0_8identityIfEEEE10hipError_tT2_T3_mT4_P12ihipStream_tbEUlT_E_NS1_11comp_targetILNS1_3genE10ELNS1_11target_archE1201ELNS1_3gpuE5ELNS1_3repE0EEENS1_30default_config_static_selectorELNS0_4arch9wavefront6targetE0EEEvT1_.private_seg_size, 0
	.set _ZN7rocprim17ROCPRIM_400000_NS6detail17trampoline_kernelINS0_14default_configENS1_25transform_config_selectorIfLb1EEEZNS1_14transform_implILb1ES3_S5_PfS7_NS0_8identityIfEEEE10hipError_tT2_T3_mT4_P12ihipStream_tbEUlT_E_NS1_11comp_targetILNS1_3genE10ELNS1_11target_archE1201ELNS1_3gpuE5ELNS1_3repE0EEENS1_30default_config_static_selectorELNS0_4arch9wavefront6targetE0EEEvT1_.uses_vcc, 0
	.set _ZN7rocprim17ROCPRIM_400000_NS6detail17trampoline_kernelINS0_14default_configENS1_25transform_config_selectorIfLb1EEEZNS1_14transform_implILb1ES3_S5_PfS7_NS0_8identityIfEEEE10hipError_tT2_T3_mT4_P12ihipStream_tbEUlT_E_NS1_11comp_targetILNS1_3genE10ELNS1_11target_archE1201ELNS1_3gpuE5ELNS1_3repE0EEENS1_30default_config_static_selectorELNS0_4arch9wavefront6targetE0EEEvT1_.uses_flat_scratch, 0
	.set _ZN7rocprim17ROCPRIM_400000_NS6detail17trampoline_kernelINS0_14default_configENS1_25transform_config_selectorIfLb1EEEZNS1_14transform_implILb1ES3_S5_PfS7_NS0_8identityIfEEEE10hipError_tT2_T3_mT4_P12ihipStream_tbEUlT_E_NS1_11comp_targetILNS1_3genE10ELNS1_11target_archE1201ELNS1_3gpuE5ELNS1_3repE0EEENS1_30default_config_static_selectorELNS0_4arch9wavefront6targetE0EEEvT1_.has_dyn_sized_stack, 0
	.set _ZN7rocprim17ROCPRIM_400000_NS6detail17trampoline_kernelINS0_14default_configENS1_25transform_config_selectorIfLb1EEEZNS1_14transform_implILb1ES3_S5_PfS7_NS0_8identityIfEEEE10hipError_tT2_T3_mT4_P12ihipStream_tbEUlT_E_NS1_11comp_targetILNS1_3genE10ELNS1_11target_archE1201ELNS1_3gpuE5ELNS1_3repE0EEENS1_30default_config_static_selectorELNS0_4arch9wavefront6targetE0EEEvT1_.has_recursion, 0
	.set _ZN7rocprim17ROCPRIM_400000_NS6detail17trampoline_kernelINS0_14default_configENS1_25transform_config_selectorIfLb1EEEZNS1_14transform_implILb1ES3_S5_PfS7_NS0_8identityIfEEEE10hipError_tT2_T3_mT4_P12ihipStream_tbEUlT_E_NS1_11comp_targetILNS1_3genE10ELNS1_11target_archE1201ELNS1_3gpuE5ELNS1_3repE0EEENS1_30default_config_static_selectorELNS0_4arch9wavefront6targetE0EEEvT1_.has_indirect_call, 0
	.section	.AMDGPU.csdata,"",@progbits
; Kernel info:
; codeLenInByte = 0
; TotalNumSgprs: 0
; NumVgprs: 0
; ScratchSize: 0
; MemoryBound: 0
; FloatMode: 240
; IeeeMode: 1
; LDSByteSize: 0 bytes/workgroup (compile time only)
; SGPRBlocks: 0
; VGPRBlocks: 0
; NumSGPRsForWavesPerEU: 1
; NumVGPRsForWavesPerEU: 1
; NamedBarCnt: 0
; Occupancy: 16
; WaveLimiterHint : 0
; COMPUTE_PGM_RSRC2:SCRATCH_EN: 0
; COMPUTE_PGM_RSRC2:USER_SGPR: 2
; COMPUTE_PGM_RSRC2:TRAP_HANDLER: 0
; COMPUTE_PGM_RSRC2:TGID_X_EN: 1
; COMPUTE_PGM_RSRC2:TGID_Y_EN: 0
; COMPUTE_PGM_RSRC2:TGID_Z_EN: 0
; COMPUTE_PGM_RSRC2:TIDIG_COMP_CNT: 0
	.section	.text._ZN7rocprim17ROCPRIM_400000_NS6detail17trampoline_kernelINS0_14default_configENS1_25transform_config_selectorIfLb1EEEZNS1_14transform_implILb1ES3_S5_PfS7_NS0_8identityIfEEEE10hipError_tT2_T3_mT4_P12ihipStream_tbEUlT_E_NS1_11comp_targetILNS1_3genE5ELNS1_11target_archE942ELNS1_3gpuE9ELNS1_3repE0EEENS1_30default_config_static_selectorELNS0_4arch9wavefront6targetE0EEEvT1_,"axG",@progbits,_ZN7rocprim17ROCPRIM_400000_NS6detail17trampoline_kernelINS0_14default_configENS1_25transform_config_selectorIfLb1EEEZNS1_14transform_implILb1ES3_S5_PfS7_NS0_8identityIfEEEE10hipError_tT2_T3_mT4_P12ihipStream_tbEUlT_E_NS1_11comp_targetILNS1_3genE5ELNS1_11target_archE942ELNS1_3gpuE9ELNS1_3repE0EEENS1_30default_config_static_selectorELNS0_4arch9wavefront6targetE0EEEvT1_,comdat
	.protected	_ZN7rocprim17ROCPRIM_400000_NS6detail17trampoline_kernelINS0_14default_configENS1_25transform_config_selectorIfLb1EEEZNS1_14transform_implILb1ES3_S5_PfS7_NS0_8identityIfEEEE10hipError_tT2_T3_mT4_P12ihipStream_tbEUlT_E_NS1_11comp_targetILNS1_3genE5ELNS1_11target_archE942ELNS1_3gpuE9ELNS1_3repE0EEENS1_30default_config_static_selectorELNS0_4arch9wavefront6targetE0EEEvT1_ ; -- Begin function _ZN7rocprim17ROCPRIM_400000_NS6detail17trampoline_kernelINS0_14default_configENS1_25transform_config_selectorIfLb1EEEZNS1_14transform_implILb1ES3_S5_PfS7_NS0_8identityIfEEEE10hipError_tT2_T3_mT4_P12ihipStream_tbEUlT_E_NS1_11comp_targetILNS1_3genE5ELNS1_11target_archE942ELNS1_3gpuE9ELNS1_3repE0EEENS1_30default_config_static_selectorELNS0_4arch9wavefront6targetE0EEEvT1_
	.globl	_ZN7rocprim17ROCPRIM_400000_NS6detail17trampoline_kernelINS0_14default_configENS1_25transform_config_selectorIfLb1EEEZNS1_14transform_implILb1ES3_S5_PfS7_NS0_8identityIfEEEE10hipError_tT2_T3_mT4_P12ihipStream_tbEUlT_E_NS1_11comp_targetILNS1_3genE5ELNS1_11target_archE942ELNS1_3gpuE9ELNS1_3repE0EEENS1_30default_config_static_selectorELNS0_4arch9wavefront6targetE0EEEvT1_
	.p2align	8
	.type	_ZN7rocprim17ROCPRIM_400000_NS6detail17trampoline_kernelINS0_14default_configENS1_25transform_config_selectorIfLb1EEEZNS1_14transform_implILb1ES3_S5_PfS7_NS0_8identityIfEEEE10hipError_tT2_T3_mT4_P12ihipStream_tbEUlT_E_NS1_11comp_targetILNS1_3genE5ELNS1_11target_archE942ELNS1_3gpuE9ELNS1_3repE0EEENS1_30default_config_static_selectorELNS0_4arch9wavefront6targetE0EEEvT1_,@function
_ZN7rocprim17ROCPRIM_400000_NS6detail17trampoline_kernelINS0_14default_configENS1_25transform_config_selectorIfLb1EEEZNS1_14transform_implILb1ES3_S5_PfS7_NS0_8identityIfEEEE10hipError_tT2_T3_mT4_P12ihipStream_tbEUlT_E_NS1_11comp_targetILNS1_3genE5ELNS1_11target_archE942ELNS1_3gpuE9ELNS1_3repE0EEENS1_30default_config_static_selectorELNS0_4arch9wavefront6targetE0EEEvT1_: ; @_ZN7rocprim17ROCPRIM_400000_NS6detail17trampoline_kernelINS0_14default_configENS1_25transform_config_selectorIfLb1EEEZNS1_14transform_implILb1ES3_S5_PfS7_NS0_8identityIfEEEE10hipError_tT2_T3_mT4_P12ihipStream_tbEUlT_E_NS1_11comp_targetILNS1_3genE5ELNS1_11target_archE942ELNS1_3gpuE9ELNS1_3repE0EEENS1_30default_config_static_selectorELNS0_4arch9wavefront6targetE0EEEvT1_
; %bb.0:
	.section	.rodata,"a",@progbits
	.p2align	6, 0x0
	.amdhsa_kernel _ZN7rocprim17ROCPRIM_400000_NS6detail17trampoline_kernelINS0_14default_configENS1_25transform_config_selectorIfLb1EEEZNS1_14transform_implILb1ES3_S5_PfS7_NS0_8identityIfEEEE10hipError_tT2_T3_mT4_P12ihipStream_tbEUlT_E_NS1_11comp_targetILNS1_3genE5ELNS1_11target_archE942ELNS1_3gpuE9ELNS1_3repE0EEENS1_30default_config_static_selectorELNS0_4arch9wavefront6targetE0EEEvT1_
		.amdhsa_group_segment_fixed_size 0
		.amdhsa_private_segment_fixed_size 0
		.amdhsa_kernarg_size 40
		.amdhsa_user_sgpr_count 2
		.amdhsa_user_sgpr_dispatch_ptr 0
		.amdhsa_user_sgpr_queue_ptr 0
		.amdhsa_user_sgpr_kernarg_segment_ptr 1
		.amdhsa_user_sgpr_dispatch_id 0
		.amdhsa_user_sgpr_kernarg_preload_length 0
		.amdhsa_user_sgpr_kernarg_preload_offset 0
		.amdhsa_user_sgpr_private_segment_size 0
		.amdhsa_wavefront_size32 1
		.amdhsa_uses_dynamic_stack 0
		.amdhsa_enable_private_segment 0
		.amdhsa_system_sgpr_workgroup_id_x 1
		.amdhsa_system_sgpr_workgroup_id_y 0
		.amdhsa_system_sgpr_workgroup_id_z 0
		.amdhsa_system_sgpr_workgroup_info 0
		.amdhsa_system_vgpr_workitem_id 0
		.amdhsa_next_free_vgpr 1
		.amdhsa_next_free_sgpr 1
		.amdhsa_named_barrier_count 0
		.amdhsa_reserve_vcc 0
		.amdhsa_float_round_mode_32 0
		.amdhsa_float_round_mode_16_64 0
		.amdhsa_float_denorm_mode_32 3
		.amdhsa_float_denorm_mode_16_64 3
		.amdhsa_fp16_overflow 0
		.amdhsa_memory_ordered 1
		.amdhsa_forward_progress 1
		.amdhsa_inst_pref_size 0
		.amdhsa_round_robin_scheduling 0
		.amdhsa_exception_fp_ieee_invalid_op 0
		.amdhsa_exception_fp_denorm_src 0
		.amdhsa_exception_fp_ieee_div_zero 0
		.amdhsa_exception_fp_ieee_overflow 0
		.amdhsa_exception_fp_ieee_underflow 0
		.amdhsa_exception_fp_ieee_inexact 0
		.amdhsa_exception_int_div_zero 0
	.end_amdhsa_kernel
	.section	.text._ZN7rocprim17ROCPRIM_400000_NS6detail17trampoline_kernelINS0_14default_configENS1_25transform_config_selectorIfLb1EEEZNS1_14transform_implILb1ES3_S5_PfS7_NS0_8identityIfEEEE10hipError_tT2_T3_mT4_P12ihipStream_tbEUlT_E_NS1_11comp_targetILNS1_3genE5ELNS1_11target_archE942ELNS1_3gpuE9ELNS1_3repE0EEENS1_30default_config_static_selectorELNS0_4arch9wavefront6targetE0EEEvT1_,"axG",@progbits,_ZN7rocprim17ROCPRIM_400000_NS6detail17trampoline_kernelINS0_14default_configENS1_25transform_config_selectorIfLb1EEEZNS1_14transform_implILb1ES3_S5_PfS7_NS0_8identityIfEEEE10hipError_tT2_T3_mT4_P12ihipStream_tbEUlT_E_NS1_11comp_targetILNS1_3genE5ELNS1_11target_archE942ELNS1_3gpuE9ELNS1_3repE0EEENS1_30default_config_static_selectorELNS0_4arch9wavefront6targetE0EEEvT1_,comdat
.Lfunc_end1287:
	.size	_ZN7rocprim17ROCPRIM_400000_NS6detail17trampoline_kernelINS0_14default_configENS1_25transform_config_selectorIfLb1EEEZNS1_14transform_implILb1ES3_S5_PfS7_NS0_8identityIfEEEE10hipError_tT2_T3_mT4_P12ihipStream_tbEUlT_E_NS1_11comp_targetILNS1_3genE5ELNS1_11target_archE942ELNS1_3gpuE9ELNS1_3repE0EEENS1_30default_config_static_selectorELNS0_4arch9wavefront6targetE0EEEvT1_, .Lfunc_end1287-_ZN7rocprim17ROCPRIM_400000_NS6detail17trampoline_kernelINS0_14default_configENS1_25transform_config_selectorIfLb1EEEZNS1_14transform_implILb1ES3_S5_PfS7_NS0_8identityIfEEEE10hipError_tT2_T3_mT4_P12ihipStream_tbEUlT_E_NS1_11comp_targetILNS1_3genE5ELNS1_11target_archE942ELNS1_3gpuE9ELNS1_3repE0EEENS1_30default_config_static_selectorELNS0_4arch9wavefront6targetE0EEEvT1_
                                        ; -- End function
	.set _ZN7rocprim17ROCPRIM_400000_NS6detail17trampoline_kernelINS0_14default_configENS1_25transform_config_selectorIfLb1EEEZNS1_14transform_implILb1ES3_S5_PfS7_NS0_8identityIfEEEE10hipError_tT2_T3_mT4_P12ihipStream_tbEUlT_E_NS1_11comp_targetILNS1_3genE5ELNS1_11target_archE942ELNS1_3gpuE9ELNS1_3repE0EEENS1_30default_config_static_selectorELNS0_4arch9wavefront6targetE0EEEvT1_.num_vgpr, 0
	.set _ZN7rocprim17ROCPRIM_400000_NS6detail17trampoline_kernelINS0_14default_configENS1_25transform_config_selectorIfLb1EEEZNS1_14transform_implILb1ES3_S5_PfS7_NS0_8identityIfEEEE10hipError_tT2_T3_mT4_P12ihipStream_tbEUlT_E_NS1_11comp_targetILNS1_3genE5ELNS1_11target_archE942ELNS1_3gpuE9ELNS1_3repE0EEENS1_30default_config_static_selectorELNS0_4arch9wavefront6targetE0EEEvT1_.num_agpr, 0
	.set _ZN7rocprim17ROCPRIM_400000_NS6detail17trampoline_kernelINS0_14default_configENS1_25transform_config_selectorIfLb1EEEZNS1_14transform_implILb1ES3_S5_PfS7_NS0_8identityIfEEEE10hipError_tT2_T3_mT4_P12ihipStream_tbEUlT_E_NS1_11comp_targetILNS1_3genE5ELNS1_11target_archE942ELNS1_3gpuE9ELNS1_3repE0EEENS1_30default_config_static_selectorELNS0_4arch9wavefront6targetE0EEEvT1_.numbered_sgpr, 0
	.set _ZN7rocprim17ROCPRIM_400000_NS6detail17trampoline_kernelINS0_14default_configENS1_25transform_config_selectorIfLb1EEEZNS1_14transform_implILb1ES3_S5_PfS7_NS0_8identityIfEEEE10hipError_tT2_T3_mT4_P12ihipStream_tbEUlT_E_NS1_11comp_targetILNS1_3genE5ELNS1_11target_archE942ELNS1_3gpuE9ELNS1_3repE0EEENS1_30default_config_static_selectorELNS0_4arch9wavefront6targetE0EEEvT1_.num_named_barrier, 0
	.set _ZN7rocprim17ROCPRIM_400000_NS6detail17trampoline_kernelINS0_14default_configENS1_25transform_config_selectorIfLb1EEEZNS1_14transform_implILb1ES3_S5_PfS7_NS0_8identityIfEEEE10hipError_tT2_T3_mT4_P12ihipStream_tbEUlT_E_NS1_11comp_targetILNS1_3genE5ELNS1_11target_archE942ELNS1_3gpuE9ELNS1_3repE0EEENS1_30default_config_static_selectorELNS0_4arch9wavefront6targetE0EEEvT1_.private_seg_size, 0
	.set _ZN7rocprim17ROCPRIM_400000_NS6detail17trampoline_kernelINS0_14default_configENS1_25transform_config_selectorIfLb1EEEZNS1_14transform_implILb1ES3_S5_PfS7_NS0_8identityIfEEEE10hipError_tT2_T3_mT4_P12ihipStream_tbEUlT_E_NS1_11comp_targetILNS1_3genE5ELNS1_11target_archE942ELNS1_3gpuE9ELNS1_3repE0EEENS1_30default_config_static_selectorELNS0_4arch9wavefront6targetE0EEEvT1_.uses_vcc, 0
	.set _ZN7rocprim17ROCPRIM_400000_NS6detail17trampoline_kernelINS0_14default_configENS1_25transform_config_selectorIfLb1EEEZNS1_14transform_implILb1ES3_S5_PfS7_NS0_8identityIfEEEE10hipError_tT2_T3_mT4_P12ihipStream_tbEUlT_E_NS1_11comp_targetILNS1_3genE5ELNS1_11target_archE942ELNS1_3gpuE9ELNS1_3repE0EEENS1_30default_config_static_selectorELNS0_4arch9wavefront6targetE0EEEvT1_.uses_flat_scratch, 0
	.set _ZN7rocprim17ROCPRIM_400000_NS6detail17trampoline_kernelINS0_14default_configENS1_25transform_config_selectorIfLb1EEEZNS1_14transform_implILb1ES3_S5_PfS7_NS0_8identityIfEEEE10hipError_tT2_T3_mT4_P12ihipStream_tbEUlT_E_NS1_11comp_targetILNS1_3genE5ELNS1_11target_archE942ELNS1_3gpuE9ELNS1_3repE0EEENS1_30default_config_static_selectorELNS0_4arch9wavefront6targetE0EEEvT1_.has_dyn_sized_stack, 0
	.set _ZN7rocprim17ROCPRIM_400000_NS6detail17trampoline_kernelINS0_14default_configENS1_25transform_config_selectorIfLb1EEEZNS1_14transform_implILb1ES3_S5_PfS7_NS0_8identityIfEEEE10hipError_tT2_T3_mT4_P12ihipStream_tbEUlT_E_NS1_11comp_targetILNS1_3genE5ELNS1_11target_archE942ELNS1_3gpuE9ELNS1_3repE0EEENS1_30default_config_static_selectorELNS0_4arch9wavefront6targetE0EEEvT1_.has_recursion, 0
	.set _ZN7rocprim17ROCPRIM_400000_NS6detail17trampoline_kernelINS0_14default_configENS1_25transform_config_selectorIfLb1EEEZNS1_14transform_implILb1ES3_S5_PfS7_NS0_8identityIfEEEE10hipError_tT2_T3_mT4_P12ihipStream_tbEUlT_E_NS1_11comp_targetILNS1_3genE5ELNS1_11target_archE942ELNS1_3gpuE9ELNS1_3repE0EEENS1_30default_config_static_selectorELNS0_4arch9wavefront6targetE0EEEvT1_.has_indirect_call, 0
	.section	.AMDGPU.csdata,"",@progbits
; Kernel info:
; codeLenInByte = 0
; TotalNumSgprs: 0
; NumVgprs: 0
; ScratchSize: 0
; MemoryBound: 0
; FloatMode: 240
; IeeeMode: 1
; LDSByteSize: 0 bytes/workgroup (compile time only)
; SGPRBlocks: 0
; VGPRBlocks: 0
; NumSGPRsForWavesPerEU: 1
; NumVGPRsForWavesPerEU: 1
; NamedBarCnt: 0
; Occupancy: 16
; WaveLimiterHint : 0
; COMPUTE_PGM_RSRC2:SCRATCH_EN: 0
; COMPUTE_PGM_RSRC2:USER_SGPR: 2
; COMPUTE_PGM_RSRC2:TRAP_HANDLER: 0
; COMPUTE_PGM_RSRC2:TGID_X_EN: 1
; COMPUTE_PGM_RSRC2:TGID_Y_EN: 0
; COMPUTE_PGM_RSRC2:TGID_Z_EN: 0
; COMPUTE_PGM_RSRC2:TIDIG_COMP_CNT: 0
	.section	.text._ZN7rocprim17ROCPRIM_400000_NS6detail17trampoline_kernelINS0_14default_configENS1_25transform_config_selectorIfLb1EEEZNS1_14transform_implILb1ES3_S5_PfS7_NS0_8identityIfEEEE10hipError_tT2_T3_mT4_P12ihipStream_tbEUlT_E_NS1_11comp_targetILNS1_3genE4ELNS1_11target_archE910ELNS1_3gpuE8ELNS1_3repE0EEENS1_30default_config_static_selectorELNS0_4arch9wavefront6targetE0EEEvT1_,"axG",@progbits,_ZN7rocprim17ROCPRIM_400000_NS6detail17trampoline_kernelINS0_14default_configENS1_25transform_config_selectorIfLb1EEEZNS1_14transform_implILb1ES3_S5_PfS7_NS0_8identityIfEEEE10hipError_tT2_T3_mT4_P12ihipStream_tbEUlT_E_NS1_11comp_targetILNS1_3genE4ELNS1_11target_archE910ELNS1_3gpuE8ELNS1_3repE0EEENS1_30default_config_static_selectorELNS0_4arch9wavefront6targetE0EEEvT1_,comdat
	.protected	_ZN7rocprim17ROCPRIM_400000_NS6detail17trampoline_kernelINS0_14default_configENS1_25transform_config_selectorIfLb1EEEZNS1_14transform_implILb1ES3_S5_PfS7_NS0_8identityIfEEEE10hipError_tT2_T3_mT4_P12ihipStream_tbEUlT_E_NS1_11comp_targetILNS1_3genE4ELNS1_11target_archE910ELNS1_3gpuE8ELNS1_3repE0EEENS1_30default_config_static_selectorELNS0_4arch9wavefront6targetE0EEEvT1_ ; -- Begin function _ZN7rocprim17ROCPRIM_400000_NS6detail17trampoline_kernelINS0_14default_configENS1_25transform_config_selectorIfLb1EEEZNS1_14transform_implILb1ES3_S5_PfS7_NS0_8identityIfEEEE10hipError_tT2_T3_mT4_P12ihipStream_tbEUlT_E_NS1_11comp_targetILNS1_3genE4ELNS1_11target_archE910ELNS1_3gpuE8ELNS1_3repE0EEENS1_30default_config_static_selectorELNS0_4arch9wavefront6targetE0EEEvT1_
	.globl	_ZN7rocprim17ROCPRIM_400000_NS6detail17trampoline_kernelINS0_14default_configENS1_25transform_config_selectorIfLb1EEEZNS1_14transform_implILb1ES3_S5_PfS7_NS0_8identityIfEEEE10hipError_tT2_T3_mT4_P12ihipStream_tbEUlT_E_NS1_11comp_targetILNS1_3genE4ELNS1_11target_archE910ELNS1_3gpuE8ELNS1_3repE0EEENS1_30default_config_static_selectorELNS0_4arch9wavefront6targetE0EEEvT1_
	.p2align	8
	.type	_ZN7rocprim17ROCPRIM_400000_NS6detail17trampoline_kernelINS0_14default_configENS1_25transform_config_selectorIfLb1EEEZNS1_14transform_implILb1ES3_S5_PfS7_NS0_8identityIfEEEE10hipError_tT2_T3_mT4_P12ihipStream_tbEUlT_E_NS1_11comp_targetILNS1_3genE4ELNS1_11target_archE910ELNS1_3gpuE8ELNS1_3repE0EEENS1_30default_config_static_selectorELNS0_4arch9wavefront6targetE0EEEvT1_,@function
_ZN7rocprim17ROCPRIM_400000_NS6detail17trampoline_kernelINS0_14default_configENS1_25transform_config_selectorIfLb1EEEZNS1_14transform_implILb1ES3_S5_PfS7_NS0_8identityIfEEEE10hipError_tT2_T3_mT4_P12ihipStream_tbEUlT_E_NS1_11comp_targetILNS1_3genE4ELNS1_11target_archE910ELNS1_3gpuE8ELNS1_3repE0EEENS1_30default_config_static_selectorELNS0_4arch9wavefront6targetE0EEEvT1_: ; @_ZN7rocprim17ROCPRIM_400000_NS6detail17trampoline_kernelINS0_14default_configENS1_25transform_config_selectorIfLb1EEEZNS1_14transform_implILb1ES3_S5_PfS7_NS0_8identityIfEEEE10hipError_tT2_T3_mT4_P12ihipStream_tbEUlT_E_NS1_11comp_targetILNS1_3genE4ELNS1_11target_archE910ELNS1_3gpuE8ELNS1_3repE0EEENS1_30default_config_static_selectorELNS0_4arch9wavefront6targetE0EEEvT1_
; %bb.0:
	.section	.rodata,"a",@progbits
	.p2align	6, 0x0
	.amdhsa_kernel _ZN7rocprim17ROCPRIM_400000_NS6detail17trampoline_kernelINS0_14default_configENS1_25transform_config_selectorIfLb1EEEZNS1_14transform_implILb1ES3_S5_PfS7_NS0_8identityIfEEEE10hipError_tT2_T3_mT4_P12ihipStream_tbEUlT_E_NS1_11comp_targetILNS1_3genE4ELNS1_11target_archE910ELNS1_3gpuE8ELNS1_3repE0EEENS1_30default_config_static_selectorELNS0_4arch9wavefront6targetE0EEEvT1_
		.amdhsa_group_segment_fixed_size 0
		.amdhsa_private_segment_fixed_size 0
		.amdhsa_kernarg_size 40
		.amdhsa_user_sgpr_count 2
		.amdhsa_user_sgpr_dispatch_ptr 0
		.amdhsa_user_sgpr_queue_ptr 0
		.amdhsa_user_sgpr_kernarg_segment_ptr 1
		.amdhsa_user_sgpr_dispatch_id 0
		.amdhsa_user_sgpr_kernarg_preload_length 0
		.amdhsa_user_sgpr_kernarg_preload_offset 0
		.amdhsa_user_sgpr_private_segment_size 0
		.amdhsa_wavefront_size32 1
		.amdhsa_uses_dynamic_stack 0
		.amdhsa_enable_private_segment 0
		.amdhsa_system_sgpr_workgroup_id_x 1
		.amdhsa_system_sgpr_workgroup_id_y 0
		.amdhsa_system_sgpr_workgroup_id_z 0
		.amdhsa_system_sgpr_workgroup_info 0
		.amdhsa_system_vgpr_workitem_id 0
		.amdhsa_next_free_vgpr 1
		.amdhsa_next_free_sgpr 1
		.amdhsa_named_barrier_count 0
		.amdhsa_reserve_vcc 0
		.amdhsa_float_round_mode_32 0
		.amdhsa_float_round_mode_16_64 0
		.amdhsa_float_denorm_mode_32 3
		.amdhsa_float_denorm_mode_16_64 3
		.amdhsa_fp16_overflow 0
		.amdhsa_memory_ordered 1
		.amdhsa_forward_progress 1
		.amdhsa_inst_pref_size 0
		.amdhsa_round_robin_scheduling 0
		.amdhsa_exception_fp_ieee_invalid_op 0
		.amdhsa_exception_fp_denorm_src 0
		.amdhsa_exception_fp_ieee_div_zero 0
		.amdhsa_exception_fp_ieee_overflow 0
		.amdhsa_exception_fp_ieee_underflow 0
		.amdhsa_exception_fp_ieee_inexact 0
		.amdhsa_exception_int_div_zero 0
	.end_amdhsa_kernel
	.section	.text._ZN7rocprim17ROCPRIM_400000_NS6detail17trampoline_kernelINS0_14default_configENS1_25transform_config_selectorIfLb1EEEZNS1_14transform_implILb1ES3_S5_PfS7_NS0_8identityIfEEEE10hipError_tT2_T3_mT4_P12ihipStream_tbEUlT_E_NS1_11comp_targetILNS1_3genE4ELNS1_11target_archE910ELNS1_3gpuE8ELNS1_3repE0EEENS1_30default_config_static_selectorELNS0_4arch9wavefront6targetE0EEEvT1_,"axG",@progbits,_ZN7rocprim17ROCPRIM_400000_NS6detail17trampoline_kernelINS0_14default_configENS1_25transform_config_selectorIfLb1EEEZNS1_14transform_implILb1ES3_S5_PfS7_NS0_8identityIfEEEE10hipError_tT2_T3_mT4_P12ihipStream_tbEUlT_E_NS1_11comp_targetILNS1_3genE4ELNS1_11target_archE910ELNS1_3gpuE8ELNS1_3repE0EEENS1_30default_config_static_selectorELNS0_4arch9wavefront6targetE0EEEvT1_,comdat
.Lfunc_end1288:
	.size	_ZN7rocprim17ROCPRIM_400000_NS6detail17trampoline_kernelINS0_14default_configENS1_25transform_config_selectorIfLb1EEEZNS1_14transform_implILb1ES3_S5_PfS7_NS0_8identityIfEEEE10hipError_tT2_T3_mT4_P12ihipStream_tbEUlT_E_NS1_11comp_targetILNS1_3genE4ELNS1_11target_archE910ELNS1_3gpuE8ELNS1_3repE0EEENS1_30default_config_static_selectorELNS0_4arch9wavefront6targetE0EEEvT1_, .Lfunc_end1288-_ZN7rocprim17ROCPRIM_400000_NS6detail17trampoline_kernelINS0_14default_configENS1_25transform_config_selectorIfLb1EEEZNS1_14transform_implILb1ES3_S5_PfS7_NS0_8identityIfEEEE10hipError_tT2_T3_mT4_P12ihipStream_tbEUlT_E_NS1_11comp_targetILNS1_3genE4ELNS1_11target_archE910ELNS1_3gpuE8ELNS1_3repE0EEENS1_30default_config_static_selectorELNS0_4arch9wavefront6targetE0EEEvT1_
                                        ; -- End function
	.set _ZN7rocprim17ROCPRIM_400000_NS6detail17trampoline_kernelINS0_14default_configENS1_25transform_config_selectorIfLb1EEEZNS1_14transform_implILb1ES3_S5_PfS7_NS0_8identityIfEEEE10hipError_tT2_T3_mT4_P12ihipStream_tbEUlT_E_NS1_11comp_targetILNS1_3genE4ELNS1_11target_archE910ELNS1_3gpuE8ELNS1_3repE0EEENS1_30default_config_static_selectorELNS0_4arch9wavefront6targetE0EEEvT1_.num_vgpr, 0
	.set _ZN7rocprim17ROCPRIM_400000_NS6detail17trampoline_kernelINS0_14default_configENS1_25transform_config_selectorIfLb1EEEZNS1_14transform_implILb1ES3_S5_PfS7_NS0_8identityIfEEEE10hipError_tT2_T3_mT4_P12ihipStream_tbEUlT_E_NS1_11comp_targetILNS1_3genE4ELNS1_11target_archE910ELNS1_3gpuE8ELNS1_3repE0EEENS1_30default_config_static_selectorELNS0_4arch9wavefront6targetE0EEEvT1_.num_agpr, 0
	.set _ZN7rocprim17ROCPRIM_400000_NS6detail17trampoline_kernelINS0_14default_configENS1_25transform_config_selectorIfLb1EEEZNS1_14transform_implILb1ES3_S5_PfS7_NS0_8identityIfEEEE10hipError_tT2_T3_mT4_P12ihipStream_tbEUlT_E_NS1_11comp_targetILNS1_3genE4ELNS1_11target_archE910ELNS1_3gpuE8ELNS1_3repE0EEENS1_30default_config_static_selectorELNS0_4arch9wavefront6targetE0EEEvT1_.numbered_sgpr, 0
	.set _ZN7rocprim17ROCPRIM_400000_NS6detail17trampoline_kernelINS0_14default_configENS1_25transform_config_selectorIfLb1EEEZNS1_14transform_implILb1ES3_S5_PfS7_NS0_8identityIfEEEE10hipError_tT2_T3_mT4_P12ihipStream_tbEUlT_E_NS1_11comp_targetILNS1_3genE4ELNS1_11target_archE910ELNS1_3gpuE8ELNS1_3repE0EEENS1_30default_config_static_selectorELNS0_4arch9wavefront6targetE0EEEvT1_.num_named_barrier, 0
	.set _ZN7rocprim17ROCPRIM_400000_NS6detail17trampoline_kernelINS0_14default_configENS1_25transform_config_selectorIfLb1EEEZNS1_14transform_implILb1ES3_S5_PfS7_NS0_8identityIfEEEE10hipError_tT2_T3_mT4_P12ihipStream_tbEUlT_E_NS1_11comp_targetILNS1_3genE4ELNS1_11target_archE910ELNS1_3gpuE8ELNS1_3repE0EEENS1_30default_config_static_selectorELNS0_4arch9wavefront6targetE0EEEvT1_.private_seg_size, 0
	.set _ZN7rocprim17ROCPRIM_400000_NS6detail17trampoline_kernelINS0_14default_configENS1_25transform_config_selectorIfLb1EEEZNS1_14transform_implILb1ES3_S5_PfS7_NS0_8identityIfEEEE10hipError_tT2_T3_mT4_P12ihipStream_tbEUlT_E_NS1_11comp_targetILNS1_3genE4ELNS1_11target_archE910ELNS1_3gpuE8ELNS1_3repE0EEENS1_30default_config_static_selectorELNS0_4arch9wavefront6targetE0EEEvT1_.uses_vcc, 0
	.set _ZN7rocprim17ROCPRIM_400000_NS6detail17trampoline_kernelINS0_14default_configENS1_25transform_config_selectorIfLb1EEEZNS1_14transform_implILb1ES3_S5_PfS7_NS0_8identityIfEEEE10hipError_tT2_T3_mT4_P12ihipStream_tbEUlT_E_NS1_11comp_targetILNS1_3genE4ELNS1_11target_archE910ELNS1_3gpuE8ELNS1_3repE0EEENS1_30default_config_static_selectorELNS0_4arch9wavefront6targetE0EEEvT1_.uses_flat_scratch, 0
	.set _ZN7rocprim17ROCPRIM_400000_NS6detail17trampoline_kernelINS0_14default_configENS1_25transform_config_selectorIfLb1EEEZNS1_14transform_implILb1ES3_S5_PfS7_NS0_8identityIfEEEE10hipError_tT2_T3_mT4_P12ihipStream_tbEUlT_E_NS1_11comp_targetILNS1_3genE4ELNS1_11target_archE910ELNS1_3gpuE8ELNS1_3repE0EEENS1_30default_config_static_selectorELNS0_4arch9wavefront6targetE0EEEvT1_.has_dyn_sized_stack, 0
	.set _ZN7rocprim17ROCPRIM_400000_NS6detail17trampoline_kernelINS0_14default_configENS1_25transform_config_selectorIfLb1EEEZNS1_14transform_implILb1ES3_S5_PfS7_NS0_8identityIfEEEE10hipError_tT2_T3_mT4_P12ihipStream_tbEUlT_E_NS1_11comp_targetILNS1_3genE4ELNS1_11target_archE910ELNS1_3gpuE8ELNS1_3repE0EEENS1_30default_config_static_selectorELNS0_4arch9wavefront6targetE0EEEvT1_.has_recursion, 0
	.set _ZN7rocprim17ROCPRIM_400000_NS6detail17trampoline_kernelINS0_14default_configENS1_25transform_config_selectorIfLb1EEEZNS1_14transform_implILb1ES3_S5_PfS7_NS0_8identityIfEEEE10hipError_tT2_T3_mT4_P12ihipStream_tbEUlT_E_NS1_11comp_targetILNS1_3genE4ELNS1_11target_archE910ELNS1_3gpuE8ELNS1_3repE0EEENS1_30default_config_static_selectorELNS0_4arch9wavefront6targetE0EEEvT1_.has_indirect_call, 0
	.section	.AMDGPU.csdata,"",@progbits
; Kernel info:
; codeLenInByte = 0
; TotalNumSgprs: 0
; NumVgprs: 0
; ScratchSize: 0
; MemoryBound: 0
; FloatMode: 240
; IeeeMode: 1
; LDSByteSize: 0 bytes/workgroup (compile time only)
; SGPRBlocks: 0
; VGPRBlocks: 0
; NumSGPRsForWavesPerEU: 1
; NumVGPRsForWavesPerEU: 1
; NamedBarCnt: 0
; Occupancy: 16
; WaveLimiterHint : 0
; COMPUTE_PGM_RSRC2:SCRATCH_EN: 0
; COMPUTE_PGM_RSRC2:USER_SGPR: 2
; COMPUTE_PGM_RSRC2:TRAP_HANDLER: 0
; COMPUTE_PGM_RSRC2:TGID_X_EN: 1
; COMPUTE_PGM_RSRC2:TGID_Y_EN: 0
; COMPUTE_PGM_RSRC2:TGID_Z_EN: 0
; COMPUTE_PGM_RSRC2:TIDIG_COMP_CNT: 0
	.section	.text._ZN7rocprim17ROCPRIM_400000_NS6detail17trampoline_kernelINS0_14default_configENS1_25transform_config_selectorIfLb1EEEZNS1_14transform_implILb1ES3_S5_PfS7_NS0_8identityIfEEEE10hipError_tT2_T3_mT4_P12ihipStream_tbEUlT_E_NS1_11comp_targetILNS1_3genE3ELNS1_11target_archE908ELNS1_3gpuE7ELNS1_3repE0EEENS1_30default_config_static_selectorELNS0_4arch9wavefront6targetE0EEEvT1_,"axG",@progbits,_ZN7rocprim17ROCPRIM_400000_NS6detail17trampoline_kernelINS0_14default_configENS1_25transform_config_selectorIfLb1EEEZNS1_14transform_implILb1ES3_S5_PfS7_NS0_8identityIfEEEE10hipError_tT2_T3_mT4_P12ihipStream_tbEUlT_E_NS1_11comp_targetILNS1_3genE3ELNS1_11target_archE908ELNS1_3gpuE7ELNS1_3repE0EEENS1_30default_config_static_selectorELNS0_4arch9wavefront6targetE0EEEvT1_,comdat
	.protected	_ZN7rocprim17ROCPRIM_400000_NS6detail17trampoline_kernelINS0_14default_configENS1_25transform_config_selectorIfLb1EEEZNS1_14transform_implILb1ES3_S5_PfS7_NS0_8identityIfEEEE10hipError_tT2_T3_mT4_P12ihipStream_tbEUlT_E_NS1_11comp_targetILNS1_3genE3ELNS1_11target_archE908ELNS1_3gpuE7ELNS1_3repE0EEENS1_30default_config_static_selectorELNS0_4arch9wavefront6targetE0EEEvT1_ ; -- Begin function _ZN7rocprim17ROCPRIM_400000_NS6detail17trampoline_kernelINS0_14default_configENS1_25transform_config_selectorIfLb1EEEZNS1_14transform_implILb1ES3_S5_PfS7_NS0_8identityIfEEEE10hipError_tT2_T3_mT4_P12ihipStream_tbEUlT_E_NS1_11comp_targetILNS1_3genE3ELNS1_11target_archE908ELNS1_3gpuE7ELNS1_3repE0EEENS1_30default_config_static_selectorELNS0_4arch9wavefront6targetE0EEEvT1_
	.globl	_ZN7rocprim17ROCPRIM_400000_NS6detail17trampoline_kernelINS0_14default_configENS1_25transform_config_selectorIfLb1EEEZNS1_14transform_implILb1ES3_S5_PfS7_NS0_8identityIfEEEE10hipError_tT2_T3_mT4_P12ihipStream_tbEUlT_E_NS1_11comp_targetILNS1_3genE3ELNS1_11target_archE908ELNS1_3gpuE7ELNS1_3repE0EEENS1_30default_config_static_selectorELNS0_4arch9wavefront6targetE0EEEvT1_
	.p2align	8
	.type	_ZN7rocprim17ROCPRIM_400000_NS6detail17trampoline_kernelINS0_14default_configENS1_25transform_config_selectorIfLb1EEEZNS1_14transform_implILb1ES3_S5_PfS7_NS0_8identityIfEEEE10hipError_tT2_T3_mT4_P12ihipStream_tbEUlT_E_NS1_11comp_targetILNS1_3genE3ELNS1_11target_archE908ELNS1_3gpuE7ELNS1_3repE0EEENS1_30default_config_static_selectorELNS0_4arch9wavefront6targetE0EEEvT1_,@function
_ZN7rocprim17ROCPRIM_400000_NS6detail17trampoline_kernelINS0_14default_configENS1_25transform_config_selectorIfLb1EEEZNS1_14transform_implILb1ES3_S5_PfS7_NS0_8identityIfEEEE10hipError_tT2_T3_mT4_P12ihipStream_tbEUlT_E_NS1_11comp_targetILNS1_3genE3ELNS1_11target_archE908ELNS1_3gpuE7ELNS1_3repE0EEENS1_30default_config_static_selectorELNS0_4arch9wavefront6targetE0EEEvT1_: ; @_ZN7rocprim17ROCPRIM_400000_NS6detail17trampoline_kernelINS0_14default_configENS1_25transform_config_selectorIfLb1EEEZNS1_14transform_implILb1ES3_S5_PfS7_NS0_8identityIfEEEE10hipError_tT2_T3_mT4_P12ihipStream_tbEUlT_E_NS1_11comp_targetILNS1_3genE3ELNS1_11target_archE908ELNS1_3gpuE7ELNS1_3repE0EEENS1_30default_config_static_selectorELNS0_4arch9wavefront6targetE0EEEvT1_
; %bb.0:
	.section	.rodata,"a",@progbits
	.p2align	6, 0x0
	.amdhsa_kernel _ZN7rocprim17ROCPRIM_400000_NS6detail17trampoline_kernelINS0_14default_configENS1_25transform_config_selectorIfLb1EEEZNS1_14transform_implILb1ES3_S5_PfS7_NS0_8identityIfEEEE10hipError_tT2_T3_mT4_P12ihipStream_tbEUlT_E_NS1_11comp_targetILNS1_3genE3ELNS1_11target_archE908ELNS1_3gpuE7ELNS1_3repE0EEENS1_30default_config_static_selectorELNS0_4arch9wavefront6targetE0EEEvT1_
		.amdhsa_group_segment_fixed_size 0
		.amdhsa_private_segment_fixed_size 0
		.amdhsa_kernarg_size 40
		.amdhsa_user_sgpr_count 2
		.amdhsa_user_sgpr_dispatch_ptr 0
		.amdhsa_user_sgpr_queue_ptr 0
		.amdhsa_user_sgpr_kernarg_segment_ptr 1
		.amdhsa_user_sgpr_dispatch_id 0
		.amdhsa_user_sgpr_kernarg_preload_length 0
		.amdhsa_user_sgpr_kernarg_preload_offset 0
		.amdhsa_user_sgpr_private_segment_size 0
		.amdhsa_wavefront_size32 1
		.amdhsa_uses_dynamic_stack 0
		.amdhsa_enable_private_segment 0
		.amdhsa_system_sgpr_workgroup_id_x 1
		.amdhsa_system_sgpr_workgroup_id_y 0
		.amdhsa_system_sgpr_workgroup_id_z 0
		.amdhsa_system_sgpr_workgroup_info 0
		.amdhsa_system_vgpr_workitem_id 0
		.amdhsa_next_free_vgpr 1
		.amdhsa_next_free_sgpr 1
		.amdhsa_named_barrier_count 0
		.amdhsa_reserve_vcc 0
		.amdhsa_float_round_mode_32 0
		.amdhsa_float_round_mode_16_64 0
		.amdhsa_float_denorm_mode_32 3
		.amdhsa_float_denorm_mode_16_64 3
		.amdhsa_fp16_overflow 0
		.amdhsa_memory_ordered 1
		.amdhsa_forward_progress 1
		.amdhsa_inst_pref_size 0
		.amdhsa_round_robin_scheduling 0
		.amdhsa_exception_fp_ieee_invalid_op 0
		.amdhsa_exception_fp_denorm_src 0
		.amdhsa_exception_fp_ieee_div_zero 0
		.amdhsa_exception_fp_ieee_overflow 0
		.amdhsa_exception_fp_ieee_underflow 0
		.amdhsa_exception_fp_ieee_inexact 0
		.amdhsa_exception_int_div_zero 0
	.end_amdhsa_kernel
	.section	.text._ZN7rocprim17ROCPRIM_400000_NS6detail17trampoline_kernelINS0_14default_configENS1_25transform_config_selectorIfLb1EEEZNS1_14transform_implILb1ES3_S5_PfS7_NS0_8identityIfEEEE10hipError_tT2_T3_mT4_P12ihipStream_tbEUlT_E_NS1_11comp_targetILNS1_3genE3ELNS1_11target_archE908ELNS1_3gpuE7ELNS1_3repE0EEENS1_30default_config_static_selectorELNS0_4arch9wavefront6targetE0EEEvT1_,"axG",@progbits,_ZN7rocprim17ROCPRIM_400000_NS6detail17trampoline_kernelINS0_14default_configENS1_25transform_config_selectorIfLb1EEEZNS1_14transform_implILb1ES3_S5_PfS7_NS0_8identityIfEEEE10hipError_tT2_T3_mT4_P12ihipStream_tbEUlT_E_NS1_11comp_targetILNS1_3genE3ELNS1_11target_archE908ELNS1_3gpuE7ELNS1_3repE0EEENS1_30default_config_static_selectorELNS0_4arch9wavefront6targetE0EEEvT1_,comdat
.Lfunc_end1289:
	.size	_ZN7rocprim17ROCPRIM_400000_NS6detail17trampoline_kernelINS0_14default_configENS1_25transform_config_selectorIfLb1EEEZNS1_14transform_implILb1ES3_S5_PfS7_NS0_8identityIfEEEE10hipError_tT2_T3_mT4_P12ihipStream_tbEUlT_E_NS1_11comp_targetILNS1_3genE3ELNS1_11target_archE908ELNS1_3gpuE7ELNS1_3repE0EEENS1_30default_config_static_selectorELNS0_4arch9wavefront6targetE0EEEvT1_, .Lfunc_end1289-_ZN7rocprim17ROCPRIM_400000_NS6detail17trampoline_kernelINS0_14default_configENS1_25transform_config_selectorIfLb1EEEZNS1_14transform_implILb1ES3_S5_PfS7_NS0_8identityIfEEEE10hipError_tT2_T3_mT4_P12ihipStream_tbEUlT_E_NS1_11comp_targetILNS1_3genE3ELNS1_11target_archE908ELNS1_3gpuE7ELNS1_3repE0EEENS1_30default_config_static_selectorELNS0_4arch9wavefront6targetE0EEEvT1_
                                        ; -- End function
	.set _ZN7rocprim17ROCPRIM_400000_NS6detail17trampoline_kernelINS0_14default_configENS1_25transform_config_selectorIfLb1EEEZNS1_14transform_implILb1ES3_S5_PfS7_NS0_8identityIfEEEE10hipError_tT2_T3_mT4_P12ihipStream_tbEUlT_E_NS1_11comp_targetILNS1_3genE3ELNS1_11target_archE908ELNS1_3gpuE7ELNS1_3repE0EEENS1_30default_config_static_selectorELNS0_4arch9wavefront6targetE0EEEvT1_.num_vgpr, 0
	.set _ZN7rocprim17ROCPRIM_400000_NS6detail17trampoline_kernelINS0_14default_configENS1_25transform_config_selectorIfLb1EEEZNS1_14transform_implILb1ES3_S5_PfS7_NS0_8identityIfEEEE10hipError_tT2_T3_mT4_P12ihipStream_tbEUlT_E_NS1_11comp_targetILNS1_3genE3ELNS1_11target_archE908ELNS1_3gpuE7ELNS1_3repE0EEENS1_30default_config_static_selectorELNS0_4arch9wavefront6targetE0EEEvT1_.num_agpr, 0
	.set _ZN7rocprim17ROCPRIM_400000_NS6detail17trampoline_kernelINS0_14default_configENS1_25transform_config_selectorIfLb1EEEZNS1_14transform_implILb1ES3_S5_PfS7_NS0_8identityIfEEEE10hipError_tT2_T3_mT4_P12ihipStream_tbEUlT_E_NS1_11comp_targetILNS1_3genE3ELNS1_11target_archE908ELNS1_3gpuE7ELNS1_3repE0EEENS1_30default_config_static_selectorELNS0_4arch9wavefront6targetE0EEEvT1_.numbered_sgpr, 0
	.set _ZN7rocprim17ROCPRIM_400000_NS6detail17trampoline_kernelINS0_14default_configENS1_25transform_config_selectorIfLb1EEEZNS1_14transform_implILb1ES3_S5_PfS7_NS0_8identityIfEEEE10hipError_tT2_T3_mT4_P12ihipStream_tbEUlT_E_NS1_11comp_targetILNS1_3genE3ELNS1_11target_archE908ELNS1_3gpuE7ELNS1_3repE0EEENS1_30default_config_static_selectorELNS0_4arch9wavefront6targetE0EEEvT1_.num_named_barrier, 0
	.set _ZN7rocprim17ROCPRIM_400000_NS6detail17trampoline_kernelINS0_14default_configENS1_25transform_config_selectorIfLb1EEEZNS1_14transform_implILb1ES3_S5_PfS7_NS0_8identityIfEEEE10hipError_tT2_T3_mT4_P12ihipStream_tbEUlT_E_NS1_11comp_targetILNS1_3genE3ELNS1_11target_archE908ELNS1_3gpuE7ELNS1_3repE0EEENS1_30default_config_static_selectorELNS0_4arch9wavefront6targetE0EEEvT1_.private_seg_size, 0
	.set _ZN7rocprim17ROCPRIM_400000_NS6detail17trampoline_kernelINS0_14default_configENS1_25transform_config_selectorIfLb1EEEZNS1_14transform_implILb1ES3_S5_PfS7_NS0_8identityIfEEEE10hipError_tT2_T3_mT4_P12ihipStream_tbEUlT_E_NS1_11comp_targetILNS1_3genE3ELNS1_11target_archE908ELNS1_3gpuE7ELNS1_3repE0EEENS1_30default_config_static_selectorELNS0_4arch9wavefront6targetE0EEEvT1_.uses_vcc, 0
	.set _ZN7rocprim17ROCPRIM_400000_NS6detail17trampoline_kernelINS0_14default_configENS1_25transform_config_selectorIfLb1EEEZNS1_14transform_implILb1ES3_S5_PfS7_NS0_8identityIfEEEE10hipError_tT2_T3_mT4_P12ihipStream_tbEUlT_E_NS1_11comp_targetILNS1_3genE3ELNS1_11target_archE908ELNS1_3gpuE7ELNS1_3repE0EEENS1_30default_config_static_selectorELNS0_4arch9wavefront6targetE0EEEvT1_.uses_flat_scratch, 0
	.set _ZN7rocprim17ROCPRIM_400000_NS6detail17trampoline_kernelINS0_14default_configENS1_25transform_config_selectorIfLb1EEEZNS1_14transform_implILb1ES3_S5_PfS7_NS0_8identityIfEEEE10hipError_tT2_T3_mT4_P12ihipStream_tbEUlT_E_NS1_11comp_targetILNS1_3genE3ELNS1_11target_archE908ELNS1_3gpuE7ELNS1_3repE0EEENS1_30default_config_static_selectorELNS0_4arch9wavefront6targetE0EEEvT1_.has_dyn_sized_stack, 0
	.set _ZN7rocprim17ROCPRIM_400000_NS6detail17trampoline_kernelINS0_14default_configENS1_25transform_config_selectorIfLb1EEEZNS1_14transform_implILb1ES3_S5_PfS7_NS0_8identityIfEEEE10hipError_tT2_T3_mT4_P12ihipStream_tbEUlT_E_NS1_11comp_targetILNS1_3genE3ELNS1_11target_archE908ELNS1_3gpuE7ELNS1_3repE0EEENS1_30default_config_static_selectorELNS0_4arch9wavefront6targetE0EEEvT1_.has_recursion, 0
	.set _ZN7rocprim17ROCPRIM_400000_NS6detail17trampoline_kernelINS0_14default_configENS1_25transform_config_selectorIfLb1EEEZNS1_14transform_implILb1ES3_S5_PfS7_NS0_8identityIfEEEE10hipError_tT2_T3_mT4_P12ihipStream_tbEUlT_E_NS1_11comp_targetILNS1_3genE3ELNS1_11target_archE908ELNS1_3gpuE7ELNS1_3repE0EEENS1_30default_config_static_selectorELNS0_4arch9wavefront6targetE0EEEvT1_.has_indirect_call, 0
	.section	.AMDGPU.csdata,"",@progbits
; Kernel info:
; codeLenInByte = 0
; TotalNumSgprs: 0
; NumVgprs: 0
; ScratchSize: 0
; MemoryBound: 0
; FloatMode: 240
; IeeeMode: 1
; LDSByteSize: 0 bytes/workgroup (compile time only)
; SGPRBlocks: 0
; VGPRBlocks: 0
; NumSGPRsForWavesPerEU: 1
; NumVGPRsForWavesPerEU: 1
; NamedBarCnt: 0
; Occupancy: 16
; WaveLimiterHint : 0
; COMPUTE_PGM_RSRC2:SCRATCH_EN: 0
; COMPUTE_PGM_RSRC2:USER_SGPR: 2
; COMPUTE_PGM_RSRC2:TRAP_HANDLER: 0
; COMPUTE_PGM_RSRC2:TGID_X_EN: 1
; COMPUTE_PGM_RSRC2:TGID_Y_EN: 0
; COMPUTE_PGM_RSRC2:TGID_Z_EN: 0
; COMPUTE_PGM_RSRC2:TIDIG_COMP_CNT: 0
	.section	.text._ZN7rocprim17ROCPRIM_400000_NS6detail17trampoline_kernelINS0_14default_configENS1_25transform_config_selectorIfLb1EEEZNS1_14transform_implILb1ES3_S5_PfS7_NS0_8identityIfEEEE10hipError_tT2_T3_mT4_P12ihipStream_tbEUlT_E_NS1_11comp_targetILNS1_3genE2ELNS1_11target_archE906ELNS1_3gpuE6ELNS1_3repE0EEENS1_30default_config_static_selectorELNS0_4arch9wavefront6targetE0EEEvT1_,"axG",@progbits,_ZN7rocprim17ROCPRIM_400000_NS6detail17trampoline_kernelINS0_14default_configENS1_25transform_config_selectorIfLb1EEEZNS1_14transform_implILb1ES3_S5_PfS7_NS0_8identityIfEEEE10hipError_tT2_T3_mT4_P12ihipStream_tbEUlT_E_NS1_11comp_targetILNS1_3genE2ELNS1_11target_archE906ELNS1_3gpuE6ELNS1_3repE0EEENS1_30default_config_static_selectorELNS0_4arch9wavefront6targetE0EEEvT1_,comdat
	.protected	_ZN7rocprim17ROCPRIM_400000_NS6detail17trampoline_kernelINS0_14default_configENS1_25transform_config_selectorIfLb1EEEZNS1_14transform_implILb1ES3_S5_PfS7_NS0_8identityIfEEEE10hipError_tT2_T3_mT4_P12ihipStream_tbEUlT_E_NS1_11comp_targetILNS1_3genE2ELNS1_11target_archE906ELNS1_3gpuE6ELNS1_3repE0EEENS1_30default_config_static_selectorELNS0_4arch9wavefront6targetE0EEEvT1_ ; -- Begin function _ZN7rocprim17ROCPRIM_400000_NS6detail17trampoline_kernelINS0_14default_configENS1_25transform_config_selectorIfLb1EEEZNS1_14transform_implILb1ES3_S5_PfS7_NS0_8identityIfEEEE10hipError_tT2_T3_mT4_P12ihipStream_tbEUlT_E_NS1_11comp_targetILNS1_3genE2ELNS1_11target_archE906ELNS1_3gpuE6ELNS1_3repE0EEENS1_30default_config_static_selectorELNS0_4arch9wavefront6targetE0EEEvT1_
	.globl	_ZN7rocprim17ROCPRIM_400000_NS6detail17trampoline_kernelINS0_14default_configENS1_25transform_config_selectorIfLb1EEEZNS1_14transform_implILb1ES3_S5_PfS7_NS0_8identityIfEEEE10hipError_tT2_T3_mT4_P12ihipStream_tbEUlT_E_NS1_11comp_targetILNS1_3genE2ELNS1_11target_archE906ELNS1_3gpuE6ELNS1_3repE0EEENS1_30default_config_static_selectorELNS0_4arch9wavefront6targetE0EEEvT1_
	.p2align	8
	.type	_ZN7rocprim17ROCPRIM_400000_NS6detail17trampoline_kernelINS0_14default_configENS1_25transform_config_selectorIfLb1EEEZNS1_14transform_implILb1ES3_S5_PfS7_NS0_8identityIfEEEE10hipError_tT2_T3_mT4_P12ihipStream_tbEUlT_E_NS1_11comp_targetILNS1_3genE2ELNS1_11target_archE906ELNS1_3gpuE6ELNS1_3repE0EEENS1_30default_config_static_selectorELNS0_4arch9wavefront6targetE0EEEvT1_,@function
_ZN7rocprim17ROCPRIM_400000_NS6detail17trampoline_kernelINS0_14default_configENS1_25transform_config_selectorIfLb1EEEZNS1_14transform_implILb1ES3_S5_PfS7_NS0_8identityIfEEEE10hipError_tT2_T3_mT4_P12ihipStream_tbEUlT_E_NS1_11comp_targetILNS1_3genE2ELNS1_11target_archE906ELNS1_3gpuE6ELNS1_3repE0EEENS1_30default_config_static_selectorELNS0_4arch9wavefront6targetE0EEEvT1_: ; @_ZN7rocprim17ROCPRIM_400000_NS6detail17trampoline_kernelINS0_14default_configENS1_25transform_config_selectorIfLb1EEEZNS1_14transform_implILb1ES3_S5_PfS7_NS0_8identityIfEEEE10hipError_tT2_T3_mT4_P12ihipStream_tbEUlT_E_NS1_11comp_targetILNS1_3genE2ELNS1_11target_archE906ELNS1_3gpuE6ELNS1_3repE0EEENS1_30default_config_static_selectorELNS0_4arch9wavefront6targetE0EEEvT1_
; %bb.0:
	.section	.rodata,"a",@progbits
	.p2align	6, 0x0
	.amdhsa_kernel _ZN7rocprim17ROCPRIM_400000_NS6detail17trampoline_kernelINS0_14default_configENS1_25transform_config_selectorIfLb1EEEZNS1_14transform_implILb1ES3_S5_PfS7_NS0_8identityIfEEEE10hipError_tT2_T3_mT4_P12ihipStream_tbEUlT_E_NS1_11comp_targetILNS1_3genE2ELNS1_11target_archE906ELNS1_3gpuE6ELNS1_3repE0EEENS1_30default_config_static_selectorELNS0_4arch9wavefront6targetE0EEEvT1_
		.amdhsa_group_segment_fixed_size 0
		.amdhsa_private_segment_fixed_size 0
		.amdhsa_kernarg_size 40
		.amdhsa_user_sgpr_count 2
		.amdhsa_user_sgpr_dispatch_ptr 0
		.amdhsa_user_sgpr_queue_ptr 0
		.amdhsa_user_sgpr_kernarg_segment_ptr 1
		.amdhsa_user_sgpr_dispatch_id 0
		.amdhsa_user_sgpr_kernarg_preload_length 0
		.amdhsa_user_sgpr_kernarg_preload_offset 0
		.amdhsa_user_sgpr_private_segment_size 0
		.amdhsa_wavefront_size32 1
		.amdhsa_uses_dynamic_stack 0
		.amdhsa_enable_private_segment 0
		.amdhsa_system_sgpr_workgroup_id_x 1
		.amdhsa_system_sgpr_workgroup_id_y 0
		.amdhsa_system_sgpr_workgroup_id_z 0
		.amdhsa_system_sgpr_workgroup_info 0
		.amdhsa_system_vgpr_workitem_id 0
		.amdhsa_next_free_vgpr 1
		.amdhsa_next_free_sgpr 1
		.amdhsa_named_barrier_count 0
		.amdhsa_reserve_vcc 0
		.amdhsa_float_round_mode_32 0
		.amdhsa_float_round_mode_16_64 0
		.amdhsa_float_denorm_mode_32 3
		.amdhsa_float_denorm_mode_16_64 3
		.amdhsa_fp16_overflow 0
		.amdhsa_memory_ordered 1
		.amdhsa_forward_progress 1
		.amdhsa_inst_pref_size 0
		.amdhsa_round_robin_scheduling 0
		.amdhsa_exception_fp_ieee_invalid_op 0
		.amdhsa_exception_fp_denorm_src 0
		.amdhsa_exception_fp_ieee_div_zero 0
		.amdhsa_exception_fp_ieee_overflow 0
		.amdhsa_exception_fp_ieee_underflow 0
		.amdhsa_exception_fp_ieee_inexact 0
		.amdhsa_exception_int_div_zero 0
	.end_amdhsa_kernel
	.section	.text._ZN7rocprim17ROCPRIM_400000_NS6detail17trampoline_kernelINS0_14default_configENS1_25transform_config_selectorIfLb1EEEZNS1_14transform_implILb1ES3_S5_PfS7_NS0_8identityIfEEEE10hipError_tT2_T3_mT4_P12ihipStream_tbEUlT_E_NS1_11comp_targetILNS1_3genE2ELNS1_11target_archE906ELNS1_3gpuE6ELNS1_3repE0EEENS1_30default_config_static_selectorELNS0_4arch9wavefront6targetE0EEEvT1_,"axG",@progbits,_ZN7rocprim17ROCPRIM_400000_NS6detail17trampoline_kernelINS0_14default_configENS1_25transform_config_selectorIfLb1EEEZNS1_14transform_implILb1ES3_S5_PfS7_NS0_8identityIfEEEE10hipError_tT2_T3_mT4_P12ihipStream_tbEUlT_E_NS1_11comp_targetILNS1_3genE2ELNS1_11target_archE906ELNS1_3gpuE6ELNS1_3repE0EEENS1_30default_config_static_selectorELNS0_4arch9wavefront6targetE0EEEvT1_,comdat
.Lfunc_end1290:
	.size	_ZN7rocprim17ROCPRIM_400000_NS6detail17trampoline_kernelINS0_14default_configENS1_25transform_config_selectorIfLb1EEEZNS1_14transform_implILb1ES3_S5_PfS7_NS0_8identityIfEEEE10hipError_tT2_T3_mT4_P12ihipStream_tbEUlT_E_NS1_11comp_targetILNS1_3genE2ELNS1_11target_archE906ELNS1_3gpuE6ELNS1_3repE0EEENS1_30default_config_static_selectorELNS0_4arch9wavefront6targetE0EEEvT1_, .Lfunc_end1290-_ZN7rocprim17ROCPRIM_400000_NS6detail17trampoline_kernelINS0_14default_configENS1_25transform_config_selectorIfLb1EEEZNS1_14transform_implILb1ES3_S5_PfS7_NS0_8identityIfEEEE10hipError_tT2_T3_mT4_P12ihipStream_tbEUlT_E_NS1_11comp_targetILNS1_3genE2ELNS1_11target_archE906ELNS1_3gpuE6ELNS1_3repE0EEENS1_30default_config_static_selectorELNS0_4arch9wavefront6targetE0EEEvT1_
                                        ; -- End function
	.set _ZN7rocprim17ROCPRIM_400000_NS6detail17trampoline_kernelINS0_14default_configENS1_25transform_config_selectorIfLb1EEEZNS1_14transform_implILb1ES3_S5_PfS7_NS0_8identityIfEEEE10hipError_tT2_T3_mT4_P12ihipStream_tbEUlT_E_NS1_11comp_targetILNS1_3genE2ELNS1_11target_archE906ELNS1_3gpuE6ELNS1_3repE0EEENS1_30default_config_static_selectorELNS0_4arch9wavefront6targetE0EEEvT1_.num_vgpr, 0
	.set _ZN7rocprim17ROCPRIM_400000_NS6detail17trampoline_kernelINS0_14default_configENS1_25transform_config_selectorIfLb1EEEZNS1_14transform_implILb1ES3_S5_PfS7_NS0_8identityIfEEEE10hipError_tT2_T3_mT4_P12ihipStream_tbEUlT_E_NS1_11comp_targetILNS1_3genE2ELNS1_11target_archE906ELNS1_3gpuE6ELNS1_3repE0EEENS1_30default_config_static_selectorELNS0_4arch9wavefront6targetE0EEEvT1_.num_agpr, 0
	.set _ZN7rocprim17ROCPRIM_400000_NS6detail17trampoline_kernelINS0_14default_configENS1_25transform_config_selectorIfLb1EEEZNS1_14transform_implILb1ES3_S5_PfS7_NS0_8identityIfEEEE10hipError_tT2_T3_mT4_P12ihipStream_tbEUlT_E_NS1_11comp_targetILNS1_3genE2ELNS1_11target_archE906ELNS1_3gpuE6ELNS1_3repE0EEENS1_30default_config_static_selectorELNS0_4arch9wavefront6targetE0EEEvT1_.numbered_sgpr, 0
	.set _ZN7rocprim17ROCPRIM_400000_NS6detail17trampoline_kernelINS0_14default_configENS1_25transform_config_selectorIfLb1EEEZNS1_14transform_implILb1ES3_S5_PfS7_NS0_8identityIfEEEE10hipError_tT2_T3_mT4_P12ihipStream_tbEUlT_E_NS1_11comp_targetILNS1_3genE2ELNS1_11target_archE906ELNS1_3gpuE6ELNS1_3repE0EEENS1_30default_config_static_selectorELNS0_4arch9wavefront6targetE0EEEvT1_.num_named_barrier, 0
	.set _ZN7rocprim17ROCPRIM_400000_NS6detail17trampoline_kernelINS0_14default_configENS1_25transform_config_selectorIfLb1EEEZNS1_14transform_implILb1ES3_S5_PfS7_NS0_8identityIfEEEE10hipError_tT2_T3_mT4_P12ihipStream_tbEUlT_E_NS1_11comp_targetILNS1_3genE2ELNS1_11target_archE906ELNS1_3gpuE6ELNS1_3repE0EEENS1_30default_config_static_selectorELNS0_4arch9wavefront6targetE0EEEvT1_.private_seg_size, 0
	.set _ZN7rocprim17ROCPRIM_400000_NS6detail17trampoline_kernelINS0_14default_configENS1_25transform_config_selectorIfLb1EEEZNS1_14transform_implILb1ES3_S5_PfS7_NS0_8identityIfEEEE10hipError_tT2_T3_mT4_P12ihipStream_tbEUlT_E_NS1_11comp_targetILNS1_3genE2ELNS1_11target_archE906ELNS1_3gpuE6ELNS1_3repE0EEENS1_30default_config_static_selectorELNS0_4arch9wavefront6targetE0EEEvT1_.uses_vcc, 0
	.set _ZN7rocprim17ROCPRIM_400000_NS6detail17trampoline_kernelINS0_14default_configENS1_25transform_config_selectorIfLb1EEEZNS1_14transform_implILb1ES3_S5_PfS7_NS0_8identityIfEEEE10hipError_tT2_T3_mT4_P12ihipStream_tbEUlT_E_NS1_11comp_targetILNS1_3genE2ELNS1_11target_archE906ELNS1_3gpuE6ELNS1_3repE0EEENS1_30default_config_static_selectorELNS0_4arch9wavefront6targetE0EEEvT1_.uses_flat_scratch, 0
	.set _ZN7rocprim17ROCPRIM_400000_NS6detail17trampoline_kernelINS0_14default_configENS1_25transform_config_selectorIfLb1EEEZNS1_14transform_implILb1ES3_S5_PfS7_NS0_8identityIfEEEE10hipError_tT2_T3_mT4_P12ihipStream_tbEUlT_E_NS1_11comp_targetILNS1_3genE2ELNS1_11target_archE906ELNS1_3gpuE6ELNS1_3repE0EEENS1_30default_config_static_selectorELNS0_4arch9wavefront6targetE0EEEvT1_.has_dyn_sized_stack, 0
	.set _ZN7rocprim17ROCPRIM_400000_NS6detail17trampoline_kernelINS0_14default_configENS1_25transform_config_selectorIfLb1EEEZNS1_14transform_implILb1ES3_S5_PfS7_NS0_8identityIfEEEE10hipError_tT2_T3_mT4_P12ihipStream_tbEUlT_E_NS1_11comp_targetILNS1_3genE2ELNS1_11target_archE906ELNS1_3gpuE6ELNS1_3repE0EEENS1_30default_config_static_selectorELNS0_4arch9wavefront6targetE0EEEvT1_.has_recursion, 0
	.set _ZN7rocprim17ROCPRIM_400000_NS6detail17trampoline_kernelINS0_14default_configENS1_25transform_config_selectorIfLb1EEEZNS1_14transform_implILb1ES3_S5_PfS7_NS0_8identityIfEEEE10hipError_tT2_T3_mT4_P12ihipStream_tbEUlT_E_NS1_11comp_targetILNS1_3genE2ELNS1_11target_archE906ELNS1_3gpuE6ELNS1_3repE0EEENS1_30default_config_static_selectorELNS0_4arch9wavefront6targetE0EEEvT1_.has_indirect_call, 0
	.section	.AMDGPU.csdata,"",@progbits
; Kernel info:
; codeLenInByte = 0
; TotalNumSgprs: 0
; NumVgprs: 0
; ScratchSize: 0
; MemoryBound: 0
; FloatMode: 240
; IeeeMode: 1
; LDSByteSize: 0 bytes/workgroup (compile time only)
; SGPRBlocks: 0
; VGPRBlocks: 0
; NumSGPRsForWavesPerEU: 1
; NumVGPRsForWavesPerEU: 1
; NamedBarCnt: 0
; Occupancy: 16
; WaveLimiterHint : 0
; COMPUTE_PGM_RSRC2:SCRATCH_EN: 0
; COMPUTE_PGM_RSRC2:USER_SGPR: 2
; COMPUTE_PGM_RSRC2:TRAP_HANDLER: 0
; COMPUTE_PGM_RSRC2:TGID_X_EN: 1
; COMPUTE_PGM_RSRC2:TGID_Y_EN: 0
; COMPUTE_PGM_RSRC2:TGID_Z_EN: 0
; COMPUTE_PGM_RSRC2:TIDIG_COMP_CNT: 0
	.section	.text._ZN7rocprim17ROCPRIM_400000_NS6detail17trampoline_kernelINS0_14default_configENS1_25transform_config_selectorIfLb1EEEZNS1_14transform_implILb1ES3_S5_PfS7_NS0_8identityIfEEEE10hipError_tT2_T3_mT4_P12ihipStream_tbEUlT_E_NS1_11comp_targetILNS1_3genE9ELNS1_11target_archE1100ELNS1_3gpuE3ELNS1_3repE0EEENS1_30default_config_static_selectorELNS0_4arch9wavefront6targetE0EEEvT1_,"axG",@progbits,_ZN7rocprim17ROCPRIM_400000_NS6detail17trampoline_kernelINS0_14default_configENS1_25transform_config_selectorIfLb1EEEZNS1_14transform_implILb1ES3_S5_PfS7_NS0_8identityIfEEEE10hipError_tT2_T3_mT4_P12ihipStream_tbEUlT_E_NS1_11comp_targetILNS1_3genE9ELNS1_11target_archE1100ELNS1_3gpuE3ELNS1_3repE0EEENS1_30default_config_static_selectorELNS0_4arch9wavefront6targetE0EEEvT1_,comdat
	.protected	_ZN7rocprim17ROCPRIM_400000_NS6detail17trampoline_kernelINS0_14default_configENS1_25transform_config_selectorIfLb1EEEZNS1_14transform_implILb1ES3_S5_PfS7_NS0_8identityIfEEEE10hipError_tT2_T3_mT4_P12ihipStream_tbEUlT_E_NS1_11comp_targetILNS1_3genE9ELNS1_11target_archE1100ELNS1_3gpuE3ELNS1_3repE0EEENS1_30default_config_static_selectorELNS0_4arch9wavefront6targetE0EEEvT1_ ; -- Begin function _ZN7rocprim17ROCPRIM_400000_NS6detail17trampoline_kernelINS0_14default_configENS1_25transform_config_selectorIfLb1EEEZNS1_14transform_implILb1ES3_S5_PfS7_NS0_8identityIfEEEE10hipError_tT2_T3_mT4_P12ihipStream_tbEUlT_E_NS1_11comp_targetILNS1_3genE9ELNS1_11target_archE1100ELNS1_3gpuE3ELNS1_3repE0EEENS1_30default_config_static_selectorELNS0_4arch9wavefront6targetE0EEEvT1_
	.globl	_ZN7rocprim17ROCPRIM_400000_NS6detail17trampoline_kernelINS0_14default_configENS1_25transform_config_selectorIfLb1EEEZNS1_14transform_implILb1ES3_S5_PfS7_NS0_8identityIfEEEE10hipError_tT2_T3_mT4_P12ihipStream_tbEUlT_E_NS1_11comp_targetILNS1_3genE9ELNS1_11target_archE1100ELNS1_3gpuE3ELNS1_3repE0EEENS1_30default_config_static_selectorELNS0_4arch9wavefront6targetE0EEEvT1_
	.p2align	8
	.type	_ZN7rocprim17ROCPRIM_400000_NS6detail17trampoline_kernelINS0_14default_configENS1_25transform_config_selectorIfLb1EEEZNS1_14transform_implILb1ES3_S5_PfS7_NS0_8identityIfEEEE10hipError_tT2_T3_mT4_P12ihipStream_tbEUlT_E_NS1_11comp_targetILNS1_3genE9ELNS1_11target_archE1100ELNS1_3gpuE3ELNS1_3repE0EEENS1_30default_config_static_selectorELNS0_4arch9wavefront6targetE0EEEvT1_,@function
_ZN7rocprim17ROCPRIM_400000_NS6detail17trampoline_kernelINS0_14default_configENS1_25transform_config_selectorIfLb1EEEZNS1_14transform_implILb1ES3_S5_PfS7_NS0_8identityIfEEEE10hipError_tT2_T3_mT4_P12ihipStream_tbEUlT_E_NS1_11comp_targetILNS1_3genE9ELNS1_11target_archE1100ELNS1_3gpuE3ELNS1_3repE0EEENS1_30default_config_static_selectorELNS0_4arch9wavefront6targetE0EEEvT1_: ; @_ZN7rocprim17ROCPRIM_400000_NS6detail17trampoline_kernelINS0_14default_configENS1_25transform_config_selectorIfLb1EEEZNS1_14transform_implILb1ES3_S5_PfS7_NS0_8identityIfEEEE10hipError_tT2_T3_mT4_P12ihipStream_tbEUlT_E_NS1_11comp_targetILNS1_3genE9ELNS1_11target_archE1100ELNS1_3gpuE3ELNS1_3repE0EEENS1_30default_config_static_selectorELNS0_4arch9wavefront6targetE0EEEvT1_
; %bb.0:
	.section	.rodata,"a",@progbits
	.p2align	6, 0x0
	.amdhsa_kernel _ZN7rocprim17ROCPRIM_400000_NS6detail17trampoline_kernelINS0_14default_configENS1_25transform_config_selectorIfLb1EEEZNS1_14transform_implILb1ES3_S5_PfS7_NS0_8identityIfEEEE10hipError_tT2_T3_mT4_P12ihipStream_tbEUlT_E_NS1_11comp_targetILNS1_3genE9ELNS1_11target_archE1100ELNS1_3gpuE3ELNS1_3repE0EEENS1_30default_config_static_selectorELNS0_4arch9wavefront6targetE0EEEvT1_
		.amdhsa_group_segment_fixed_size 0
		.amdhsa_private_segment_fixed_size 0
		.amdhsa_kernarg_size 40
		.amdhsa_user_sgpr_count 2
		.amdhsa_user_sgpr_dispatch_ptr 0
		.amdhsa_user_sgpr_queue_ptr 0
		.amdhsa_user_sgpr_kernarg_segment_ptr 1
		.amdhsa_user_sgpr_dispatch_id 0
		.amdhsa_user_sgpr_kernarg_preload_length 0
		.amdhsa_user_sgpr_kernarg_preload_offset 0
		.amdhsa_user_sgpr_private_segment_size 0
		.amdhsa_wavefront_size32 1
		.amdhsa_uses_dynamic_stack 0
		.amdhsa_enable_private_segment 0
		.amdhsa_system_sgpr_workgroup_id_x 1
		.amdhsa_system_sgpr_workgroup_id_y 0
		.amdhsa_system_sgpr_workgroup_id_z 0
		.amdhsa_system_sgpr_workgroup_info 0
		.amdhsa_system_vgpr_workitem_id 0
		.amdhsa_next_free_vgpr 1
		.amdhsa_next_free_sgpr 1
		.amdhsa_named_barrier_count 0
		.amdhsa_reserve_vcc 0
		.amdhsa_float_round_mode_32 0
		.amdhsa_float_round_mode_16_64 0
		.amdhsa_float_denorm_mode_32 3
		.amdhsa_float_denorm_mode_16_64 3
		.amdhsa_fp16_overflow 0
		.amdhsa_memory_ordered 1
		.amdhsa_forward_progress 1
		.amdhsa_inst_pref_size 0
		.amdhsa_round_robin_scheduling 0
		.amdhsa_exception_fp_ieee_invalid_op 0
		.amdhsa_exception_fp_denorm_src 0
		.amdhsa_exception_fp_ieee_div_zero 0
		.amdhsa_exception_fp_ieee_overflow 0
		.amdhsa_exception_fp_ieee_underflow 0
		.amdhsa_exception_fp_ieee_inexact 0
		.amdhsa_exception_int_div_zero 0
	.end_amdhsa_kernel
	.section	.text._ZN7rocprim17ROCPRIM_400000_NS6detail17trampoline_kernelINS0_14default_configENS1_25transform_config_selectorIfLb1EEEZNS1_14transform_implILb1ES3_S5_PfS7_NS0_8identityIfEEEE10hipError_tT2_T3_mT4_P12ihipStream_tbEUlT_E_NS1_11comp_targetILNS1_3genE9ELNS1_11target_archE1100ELNS1_3gpuE3ELNS1_3repE0EEENS1_30default_config_static_selectorELNS0_4arch9wavefront6targetE0EEEvT1_,"axG",@progbits,_ZN7rocprim17ROCPRIM_400000_NS6detail17trampoline_kernelINS0_14default_configENS1_25transform_config_selectorIfLb1EEEZNS1_14transform_implILb1ES3_S5_PfS7_NS0_8identityIfEEEE10hipError_tT2_T3_mT4_P12ihipStream_tbEUlT_E_NS1_11comp_targetILNS1_3genE9ELNS1_11target_archE1100ELNS1_3gpuE3ELNS1_3repE0EEENS1_30default_config_static_selectorELNS0_4arch9wavefront6targetE0EEEvT1_,comdat
.Lfunc_end1291:
	.size	_ZN7rocprim17ROCPRIM_400000_NS6detail17trampoline_kernelINS0_14default_configENS1_25transform_config_selectorIfLb1EEEZNS1_14transform_implILb1ES3_S5_PfS7_NS0_8identityIfEEEE10hipError_tT2_T3_mT4_P12ihipStream_tbEUlT_E_NS1_11comp_targetILNS1_3genE9ELNS1_11target_archE1100ELNS1_3gpuE3ELNS1_3repE0EEENS1_30default_config_static_selectorELNS0_4arch9wavefront6targetE0EEEvT1_, .Lfunc_end1291-_ZN7rocprim17ROCPRIM_400000_NS6detail17trampoline_kernelINS0_14default_configENS1_25transform_config_selectorIfLb1EEEZNS1_14transform_implILb1ES3_S5_PfS7_NS0_8identityIfEEEE10hipError_tT2_T3_mT4_P12ihipStream_tbEUlT_E_NS1_11comp_targetILNS1_3genE9ELNS1_11target_archE1100ELNS1_3gpuE3ELNS1_3repE0EEENS1_30default_config_static_selectorELNS0_4arch9wavefront6targetE0EEEvT1_
                                        ; -- End function
	.set _ZN7rocprim17ROCPRIM_400000_NS6detail17trampoline_kernelINS0_14default_configENS1_25transform_config_selectorIfLb1EEEZNS1_14transform_implILb1ES3_S5_PfS7_NS0_8identityIfEEEE10hipError_tT2_T3_mT4_P12ihipStream_tbEUlT_E_NS1_11comp_targetILNS1_3genE9ELNS1_11target_archE1100ELNS1_3gpuE3ELNS1_3repE0EEENS1_30default_config_static_selectorELNS0_4arch9wavefront6targetE0EEEvT1_.num_vgpr, 0
	.set _ZN7rocprim17ROCPRIM_400000_NS6detail17trampoline_kernelINS0_14default_configENS1_25transform_config_selectorIfLb1EEEZNS1_14transform_implILb1ES3_S5_PfS7_NS0_8identityIfEEEE10hipError_tT2_T3_mT4_P12ihipStream_tbEUlT_E_NS1_11comp_targetILNS1_3genE9ELNS1_11target_archE1100ELNS1_3gpuE3ELNS1_3repE0EEENS1_30default_config_static_selectorELNS0_4arch9wavefront6targetE0EEEvT1_.num_agpr, 0
	.set _ZN7rocprim17ROCPRIM_400000_NS6detail17trampoline_kernelINS0_14default_configENS1_25transform_config_selectorIfLb1EEEZNS1_14transform_implILb1ES3_S5_PfS7_NS0_8identityIfEEEE10hipError_tT2_T3_mT4_P12ihipStream_tbEUlT_E_NS1_11comp_targetILNS1_3genE9ELNS1_11target_archE1100ELNS1_3gpuE3ELNS1_3repE0EEENS1_30default_config_static_selectorELNS0_4arch9wavefront6targetE0EEEvT1_.numbered_sgpr, 0
	.set _ZN7rocprim17ROCPRIM_400000_NS6detail17trampoline_kernelINS0_14default_configENS1_25transform_config_selectorIfLb1EEEZNS1_14transform_implILb1ES3_S5_PfS7_NS0_8identityIfEEEE10hipError_tT2_T3_mT4_P12ihipStream_tbEUlT_E_NS1_11comp_targetILNS1_3genE9ELNS1_11target_archE1100ELNS1_3gpuE3ELNS1_3repE0EEENS1_30default_config_static_selectorELNS0_4arch9wavefront6targetE0EEEvT1_.num_named_barrier, 0
	.set _ZN7rocprim17ROCPRIM_400000_NS6detail17trampoline_kernelINS0_14default_configENS1_25transform_config_selectorIfLb1EEEZNS1_14transform_implILb1ES3_S5_PfS7_NS0_8identityIfEEEE10hipError_tT2_T3_mT4_P12ihipStream_tbEUlT_E_NS1_11comp_targetILNS1_3genE9ELNS1_11target_archE1100ELNS1_3gpuE3ELNS1_3repE0EEENS1_30default_config_static_selectorELNS0_4arch9wavefront6targetE0EEEvT1_.private_seg_size, 0
	.set _ZN7rocprim17ROCPRIM_400000_NS6detail17trampoline_kernelINS0_14default_configENS1_25transform_config_selectorIfLb1EEEZNS1_14transform_implILb1ES3_S5_PfS7_NS0_8identityIfEEEE10hipError_tT2_T3_mT4_P12ihipStream_tbEUlT_E_NS1_11comp_targetILNS1_3genE9ELNS1_11target_archE1100ELNS1_3gpuE3ELNS1_3repE0EEENS1_30default_config_static_selectorELNS0_4arch9wavefront6targetE0EEEvT1_.uses_vcc, 0
	.set _ZN7rocprim17ROCPRIM_400000_NS6detail17trampoline_kernelINS0_14default_configENS1_25transform_config_selectorIfLb1EEEZNS1_14transform_implILb1ES3_S5_PfS7_NS0_8identityIfEEEE10hipError_tT2_T3_mT4_P12ihipStream_tbEUlT_E_NS1_11comp_targetILNS1_3genE9ELNS1_11target_archE1100ELNS1_3gpuE3ELNS1_3repE0EEENS1_30default_config_static_selectorELNS0_4arch9wavefront6targetE0EEEvT1_.uses_flat_scratch, 0
	.set _ZN7rocprim17ROCPRIM_400000_NS6detail17trampoline_kernelINS0_14default_configENS1_25transform_config_selectorIfLb1EEEZNS1_14transform_implILb1ES3_S5_PfS7_NS0_8identityIfEEEE10hipError_tT2_T3_mT4_P12ihipStream_tbEUlT_E_NS1_11comp_targetILNS1_3genE9ELNS1_11target_archE1100ELNS1_3gpuE3ELNS1_3repE0EEENS1_30default_config_static_selectorELNS0_4arch9wavefront6targetE0EEEvT1_.has_dyn_sized_stack, 0
	.set _ZN7rocprim17ROCPRIM_400000_NS6detail17trampoline_kernelINS0_14default_configENS1_25transform_config_selectorIfLb1EEEZNS1_14transform_implILb1ES3_S5_PfS7_NS0_8identityIfEEEE10hipError_tT2_T3_mT4_P12ihipStream_tbEUlT_E_NS1_11comp_targetILNS1_3genE9ELNS1_11target_archE1100ELNS1_3gpuE3ELNS1_3repE0EEENS1_30default_config_static_selectorELNS0_4arch9wavefront6targetE0EEEvT1_.has_recursion, 0
	.set _ZN7rocprim17ROCPRIM_400000_NS6detail17trampoline_kernelINS0_14default_configENS1_25transform_config_selectorIfLb1EEEZNS1_14transform_implILb1ES3_S5_PfS7_NS0_8identityIfEEEE10hipError_tT2_T3_mT4_P12ihipStream_tbEUlT_E_NS1_11comp_targetILNS1_3genE9ELNS1_11target_archE1100ELNS1_3gpuE3ELNS1_3repE0EEENS1_30default_config_static_selectorELNS0_4arch9wavefront6targetE0EEEvT1_.has_indirect_call, 0
	.section	.AMDGPU.csdata,"",@progbits
; Kernel info:
; codeLenInByte = 0
; TotalNumSgprs: 0
; NumVgprs: 0
; ScratchSize: 0
; MemoryBound: 0
; FloatMode: 240
; IeeeMode: 1
; LDSByteSize: 0 bytes/workgroup (compile time only)
; SGPRBlocks: 0
; VGPRBlocks: 0
; NumSGPRsForWavesPerEU: 1
; NumVGPRsForWavesPerEU: 1
; NamedBarCnt: 0
; Occupancy: 16
; WaveLimiterHint : 0
; COMPUTE_PGM_RSRC2:SCRATCH_EN: 0
; COMPUTE_PGM_RSRC2:USER_SGPR: 2
; COMPUTE_PGM_RSRC2:TRAP_HANDLER: 0
; COMPUTE_PGM_RSRC2:TGID_X_EN: 1
; COMPUTE_PGM_RSRC2:TGID_Y_EN: 0
; COMPUTE_PGM_RSRC2:TGID_Z_EN: 0
; COMPUTE_PGM_RSRC2:TIDIG_COMP_CNT: 0
	.section	.text._ZN7rocprim17ROCPRIM_400000_NS6detail17trampoline_kernelINS0_14default_configENS1_25transform_config_selectorIfLb1EEEZNS1_14transform_implILb1ES3_S5_PfS7_NS0_8identityIfEEEE10hipError_tT2_T3_mT4_P12ihipStream_tbEUlT_E_NS1_11comp_targetILNS1_3genE8ELNS1_11target_archE1030ELNS1_3gpuE2ELNS1_3repE0EEENS1_30default_config_static_selectorELNS0_4arch9wavefront6targetE0EEEvT1_,"axG",@progbits,_ZN7rocprim17ROCPRIM_400000_NS6detail17trampoline_kernelINS0_14default_configENS1_25transform_config_selectorIfLb1EEEZNS1_14transform_implILb1ES3_S5_PfS7_NS0_8identityIfEEEE10hipError_tT2_T3_mT4_P12ihipStream_tbEUlT_E_NS1_11comp_targetILNS1_3genE8ELNS1_11target_archE1030ELNS1_3gpuE2ELNS1_3repE0EEENS1_30default_config_static_selectorELNS0_4arch9wavefront6targetE0EEEvT1_,comdat
	.protected	_ZN7rocprim17ROCPRIM_400000_NS6detail17trampoline_kernelINS0_14default_configENS1_25transform_config_selectorIfLb1EEEZNS1_14transform_implILb1ES3_S5_PfS7_NS0_8identityIfEEEE10hipError_tT2_T3_mT4_P12ihipStream_tbEUlT_E_NS1_11comp_targetILNS1_3genE8ELNS1_11target_archE1030ELNS1_3gpuE2ELNS1_3repE0EEENS1_30default_config_static_selectorELNS0_4arch9wavefront6targetE0EEEvT1_ ; -- Begin function _ZN7rocprim17ROCPRIM_400000_NS6detail17trampoline_kernelINS0_14default_configENS1_25transform_config_selectorIfLb1EEEZNS1_14transform_implILb1ES3_S5_PfS7_NS0_8identityIfEEEE10hipError_tT2_T3_mT4_P12ihipStream_tbEUlT_E_NS1_11comp_targetILNS1_3genE8ELNS1_11target_archE1030ELNS1_3gpuE2ELNS1_3repE0EEENS1_30default_config_static_selectorELNS0_4arch9wavefront6targetE0EEEvT1_
	.globl	_ZN7rocprim17ROCPRIM_400000_NS6detail17trampoline_kernelINS0_14default_configENS1_25transform_config_selectorIfLb1EEEZNS1_14transform_implILb1ES3_S5_PfS7_NS0_8identityIfEEEE10hipError_tT2_T3_mT4_P12ihipStream_tbEUlT_E_NS1_11comp_targetILNS1_3genE8ELNS1_11target_archE1030ELNS1_3gpuE2ELNS1_3repE0EEENS1_30default_config_static_selectorELNS0_4arch9wavefront6targetE0EEEvT1_
	.p2align	8
	.type	_ZN7rocprim17ROCPRIM_400000_NS6detail17trampoline_kernelINS0_14default_configENS1_25transform_config_selectorIfLb1EEEZNS1_14transform_implILb1ES3_S5_PfS7_NS0_8identityIfEEEE10hipError_tT2_T3_mT4_P12ihipStream_tbEUlT_E_NS1_11comp_targetILNS1_3genE8ELNS1_11target_archE1030ELNS1_3gpuE2ELNS1_3repE0EEENS1_30default_config_static_selectorELNS0_4arch9wavefront6targetE0EEEvT1_,@function
_ZN7rocprim17ROCPRIM_400000_NS6detail17trampoline_kernelINS0_14default_configENS1_25transform_config_selectorIfLb1EEEZNS1_14transform_implILb1ES3_S5_PfS7_NS0_8identityIfEEEE10hipError_tT2_T3_mT4_P12ihipStream_tbEUlT_E_NS1_11comp_targetILNS1_3genE8ELNS1_11target_archE1030ELNS1_3gpuE2ELNS1_3repE0EEENS1_30default_config_static_selectorELNS0_4arch9wavefront6targetE0EEEvT1_: ; @_ZN7rocprim17ROCPRIM_400000_NS6detail17trampoline_kernelINS0_14default_configENS1_25transform_config_selectorIfLb1EEEZNS1_14transform_implILb1ES3_S5_PfS7_NS0_8identityIfEEEE10hipError_tT2_T3_mT4_P12ihipStream_tbEUlT_E_NS1_11comp_targetILNS1_3genE8ELNS1_11target_archE1030ELNS1_3gpuE2ELNS1_3repE0EEENS1_30default_config_static_selectorELNS0_4arch9wavefront6targetE0EEEvT1_
; %bb.0:
	.section	.rodata,"a",@progbits
	.p2align	6, 0x0
	.amdhsa_kernel _ZN7rocprim17ROCPRIM_400000_NS6detail17trampoline_kernelINS0_14default_configENS1_25transform_config_selectorIfLb1EEEZNS1_14transform_implILb1ES3_S5_PfS7_NS0_8identityIfEEEE10hipError_tT2_T3_mT4_P12ihipStream_tbEUlT_E_NS1_11comp_targetILNS1_3genE8ELNS1_11target_archE1030ELNS1_3gpuE2ELNS1_3repE0EEENS1_30default_config_static_selectorELNS0_4arch9wavefront6targetE0EEEvT1_
		.amdhsa_group_segment_fixed_size 0
		.amdhsa_private_segment_fixed_size 0
		.amdhsa_kernarg_size 40
		.amdhsa_user_sgpr_count 2
		.amdhsa_user_sgpr_dispatch_ptr 0
		.amdhsa_user_sgpr_queue_ptr 0
		.amdhsa_user_sgpr_kernarg_segment_ptr 1
		.amdhsa_user_sgpr_dispatch_id 0
		.amdhsa_user_sgpr_kernarg_preload_length 0
		.amdhsa_user_sgpr_kernarg_preload_offset 0
		.amdhsa_user_sgpr_private_segment_size 0
		.amdhsa_wavefront_size32 1
		.amdhsa_uses_dynamic_stack 0
		.amdhsa_enable_private_segment 0
		.amdhsa_system_sgpr_workgroup_id_x 1
		.amdhsa_system_sgpr_workgroup_id_y 0
		.amdhsa_system_sgpr_workgroup_id_z 0
		.amdhsa_system_sgpr_workgroup_info 0
		.amdhsa_system_vgpr_workitem_id 0
		.amdhsa_next_free_vgpr 1
		.amdhsa_next_free_sgpr 1
		.amdhsa_named_barrier_count 0
		.amdhsa_reserve_vcc 0
		.amdhsa_float_round_mode_32 0
		.amdhsa_float_round_mode_16_64 0
		.amdhsa_float_denorm_mode_32 3
		.amdhsa_float_denorm_mode_16_64 3
		.amdhsa_fp16_overflow 0
		.amdhsa_memory_ordered 1
		.amdhsa_forward_progress 1
		.amdhsa_inst_pref_size 0
		.amdhsa_round_robin_scheduling 0
		.amdhsa_exception_fp_ieee_invalid_op 0
		.amdhsa_exception_fp_denorm_src 0
		.amdhsa_exception_fp_ieee_div_zero 0
		.amdhsa_exception_fp_ieee_overflow 0
		.amdhsa_exception_fp_ieee_underflow 0
		.amdhsa_exception_fp_ieee_inexact 0
		.amdhsa_exception_int_div_zero 0
	.end_amdhsa_kernel
	.section	.text._ZN7rocprim17ROCPRIM_400000_NS6detail17trampoline_kernelINS0_14default_configENS1_25transform_config_selectorIfLb1EEEZNS1_14transform_implILb1ES3_S5_PfS7_NS0_8identityIfEEEE10hipError_tT2_T3_mT4_P12ihipStream_tbEUlT_E_NS1_11comp_targetILNS1_3genE8ELNS1_11target_archE1030ELNS1_3gpuE2ELNS1_3repE0EEENS1_30default_config_static_selectorELNS0_4arch9wavefront6targetE0EEEvT1_,"axG",@progbits,_ZN7rocprim17ROCPRIM_400000_NS6detail17trampoline_kernelINS0_14default_configENS1_25transform_config_selectorIfLb1EEEZNS1_14transform_implILb1ES3_S5_PfS7_NS0_8identityIfEEEE10hipError_tT2_T3_mT4_P12ihipStream_tbEUlT_E_NS1_11comp_targetILNS1_3genE8ELNS1_11target_archE1030ELNS1_3gpuE2ELNS1_3repE0EEENS1_30default_config_static_selectorELNS0_4arch9wavefront6targetE0EEEvT1_,comdat
.Lfunc_end1292:
	.size	_ZN7rocprim17ROCPRIM_400000_NS6detail17trampoline_kernelINS0_14default_configENS1_25transform_config_selectorIfLb1EEEZNS1_14transform_implILb1ES3_S5_PfS7_NS0_8identityIfEEEE10hipError_tT2_T3_mT4_P12ihipStream_tbEUlT_E_NS1_11comp_targetILNS1_3genE8ELNS1_11target_archE1030ELNS1_3gpuE2ELNS1_3repE0EEENS1_30default_config_static_selectorELNS0_4arch9wavefront6targetE0EEEvT1_, .Lfunc_end1292-_ZN7rocprim17ROCPRIM_400000_NS6detail17trampoline_kernelINS0_14default_configENS1_25transform_config_selectorIfLb1EEEZNS1_14transform_implILb1ES3_S5_PfS7_NS0_8identityIfEEEE10hipError_tT2_T3_mT4_P12ihipStream_tbEUlT_E_NS1_11comp_targetILNS1_3genE8ELNS1_11target_archE1030ELNS1_3gpuE2ELNS1_3repE0EEENS1_30default_config_static_selectorELNS0_4arch9wavefront6targetE0EEEvT1_
                                        ; -- End function
	.set _ZN7rocprim17ROCPRIM_400000_NS6detail17trampoline_kernelINS0_14default_configENS1_25transform_config_selectorIfLb1EEEZNS1_14transform_implILb1ES3_S5_PfS7_NS0_8identityIfEEEE10hipError_tT2_T3_mT4_P12ihipStream_tbEUlT_E_NS1_11comp_targetILNS1_3genE8ELNS1_11target_archE1030ELNS1_3gpuE2ELNS1_3repE0EEENS1_30default_config_static_selectorELNS0_4arch9wavefront6targetE0EEEvT1_.num_vgpr, 0
	.set _ZN7rocprim17ROCPRIM_400000_NS6detail17trampoline_kernelINS0_14default_configENS1_25transform_config_selectorIfLb1EEEZNS1_14transform_implILb1ES3_S5_PfS7_NS0_8identityIfEEEE10hipError_tT2_T3_mT4_P12ihipStream_tbEUlT_E_NS1_11comp_targetILNS1_3genE8ELNS1_11target_archE1030ELNS1_3gpuE2ELNS1_3repE0EEENS1_30default_config_static_selectorELNS0_4arch9wavefront6targetE0EEEvT1_.num_agpr, 0
	.set _ZN7rocprim17ROCPRIM_400000_NS6detail17trampoline_kernelINS0_14default_configENS1_25transform_config_selectorIfLb1EEEZNS1_14transform_implILb1ES3_S5_PfS7_NS0_8identityIfEEEE10hipError_tT2_T3_mT4_P12ihipStream_tbEUlT_E_NS1_11comp_targetILNS1_3genE8ELNS1_11target_archE1030ELNS1_3gpuE2ELNS1_3repE0EEENS1_30default_config_static_selectorELNS0_4arch9wavefront6targetE0EEEvT1_.numbered_sgpr, 0
	.set _ZN7rocprim17ROCPRIM_400000_NS6detail17trampoline_kernelINS0_14default_configENS1_25transform_config_selectorIfLb1EEEZNS1_14transform_implILb1ES3_S5_PfS7_NS0_8identityIfEEEE10hipError_tT2_T3_mT4_P12ihipStream_tbEUlT_E_NS1_11comp_targetILNS1_3genE8ELNS1_11target_archE1030ELNS1_3gpuE2ELNS1_3repE0EEENS1_30default_config_static_selectorELNS0_4arch9wavefront6targetE0EEEvT1_.num_named_barrier, 0
	.set _ZN7rocprim17ROCPRIM_400000_NS6detail17trampoline_kernelINS0_14default_configENS1_25transform_config_selectorIfLb1EEEZNS1_14transform_implILb1ES3_S5_PfS7_NS0_8identityIfEEEE10hipError_tT2_T3_mT4_P12ihipStream_tbEUlT_E_NS1_11comp_targetILNS1_3genE8ELNS1_11target_archE1030ELNS1_3gpuE2ELNS1_3repE0EEENS1_30default_config_static_selectorELNS0_4arch9wavefront6targetE0EEEvT1_.private_seg_size, 0
	.set _ZN7rocprim17ROCPRIM_400000_NS6detail17trampoline_kernelINS0_14default_configENS1_25transform_config_selectorIfLb1EEEZNS1_14transform_implILb1ES3_S5_PfS7_NS0_8identityIfEEEE10hipError_tT2_T3_mT4_P12ihipStream_tbEUlT_E_NS1_11comp_targetILNS1_3genE8ELNS1_11target_archE1030ELNS1_3gpuE2ELNS1_3repE0EEENS1_30default_config_static_selectorELNS0_4arch9wavefront6targetE0EEEvT1_.uses_vcc, 0
	.set _ZN7rocprim17ROCPRIM_400000_NS6detail17trampoline_kernelINS0_14default_configENS1_25transform_config_selectorIfLb1EEEZNS1_14transform_implILb1ES3_S5_PfS7_NS0_8identityIfEEEE10hipError_tT2_T3_mT4_P12ihipStream_tbEUlT_E_NS1_11comp_targetILNS1_3genE8ELNS1_11target_archE1030ELNS1_3gpuE2ELNS1_3repE0EEENS1_30default_config_static_selectorELNS0_4arch9wavefront6targetE0EEEvT1_.uses_flat_scratch, 0
	.set _ZN7rocprim17ROCPRIM_400000_NS6detail17trampoline_kernelINS0_14default_configENS1_25transform_config_selectorIfLb1EEEZNS1_14transform_implILb1ES3_S5_PfS7_NS0_8identityIfEEEE10hipError_tT2_T3_mT4_P12ihipStream_tbEUlT_E_NS1_11comp_targetILNS1_3genE8ELNS1_11target_archE1030ELNS1_3gpuE2ELNS1_3repE0EEENS1_30default_config_static_selectorELNS0_4arch9wavefront6targetE0EEEvT1_.has_dyn_sized_stack, 0
	.set _ZN7rocprim17ROCPRIM_400000_NS6detail17trampoline_kernelINS0_14default_configENS1_25transform_config_selectorIfLb1EEEZNS1_14transform_implILb1ES3_S5_PfS7_NS0_8identityIfEEEE10hipError_tT2_T3_mT4_P12ihipStream_tbEUlT_E_NS1_11comp_targetILNS1_3genE8ELNS1_11target_archE1030ELNS1_3gpuE2ELNS1_3repE0EEENS1_30default_config_static_selectorELNS0_4arch9wavefront6targetE0EEEvT1_.has_recursion, 0
	.set _ZN7rocprim17ROCPRIM_400000_NS6detail17trampoline_kernelINS0_14default_configENS1_25transform_config_selectorIfLb1EEEZNS1_14transform_implILb1ES3_S5_PfS7_NS0_8identityIfEEEE10hipError_tT2_T3_mT4_P12ihipStream_tbEUlT_E_NS1_11comp_targetILNS1_3genE8ELNS1_11target_archE1030ELNS1_3gpuE2ELNS1_3repE0EEENS1_30default_config_static_selectorELNS0_4arch9wavefront6targetE0EEEvT1_.has_indirect_call, 0
	.section	.AMDGPU.csdata,"",@progbits
; Kernel info:
; codeLenInByte = 0
; TotalNumSgprs: 0
; NumVgprs: 0
; ScratchSize: 0
; MemoryBound: 0
; FloatMode: 240
; IeeeMode: 1
; LDSByteSize: 0 bytes/workgroup (compile time only)
; SGPRBlocks: 0
; VGPRBlocks: 0
; NumSGPRsForWavesPerEU: 1
; NumVGPRsForWavesPerEU: 1
; NamedBarCnt: 0
; Occupancy: 16
; WaveLimiterHint : 0
; COMPUTE_PGM_RSRC2:SCRATCH_EN: 0
; COMPUTE_PGM_RSRC2:USER_SGPR: 2
; COMPUTE_PGM_RSRC2:TRAP_HANDLER: 0
; COMPUTE_PGM_RSRC2:TGID_X_EN: 1
; COMPUTE_PGM_RSRC2:TGID_Y_EN: 0
; COMPUTE_PGM_RSRC2:TGID_Z_EN: 0
; COMPUTE_PGM_RSRC2:TIDIG_COMP_CNT: 0
	.section	.text._ZN7rocprim17ROCPRIM_400000_NS6detail17trampoline_kernelINS0_14default_configENS1_35radix_sort_onesweep_config_selectorIfNS0_10empty_typeEEEZNS1_34radix_sort_onesweep_global_offsetsIS3_Lb1EPKfPS5_mNS0_19identity_decomposerEEE10hipError_tT1_T2_PT3_SF_jT4_jjP12ihipStream_tbEUlT_E_NS1_11comp_targetILNS1_3genE0ELNS1_11target_archE4294967295ELNS1_3gpuE0ELNS1_3repE0EEENS1_52radix_sort_onesweep_histogram_config_static_selectorELNS0_4arch9wavefront6targetE0EEEvSD_,"axG",@progbits,_ZN7rocprim17ROCPRIM_400000_NS6detail17trampoline_kernelINS0_14default_configENS1_35radix_sort_onesweep_config_selectorIfNS0_10empty_typeEEEZNS1_34radix_sort_onesweep_global_offsetsIS3_Lb1EPKfPS5_mNS0_19identity_decomposerEEE10hipError_tT1_T2_PT3_SF_jT4_jjP12ihipStream_tbEUlT_E_NS1_11comp_targetILNS1_3genE0ELNS1_11target_archE4294967295ELNS1_3gpuE0ELNS1_3repE0EEENS1_52radix_sort_onesweep_histogram_config_static_selectorELNS0_4arch9wavefront6targetE0EEEvSD_,comdat
	.protected	_ZN7rocprim17ROCPRIM_400000_NS6detail17trampoline_kernelINS0_14default_configENS1_35radix_sort_onesweep_config_selectorIfNS0_10empty_typeEEEZNS1_34radix_sort_onesweep_global_offsetsIS3_Lb1EPKfPS5_mNS0_19identity_decomposerEEE10hipError_tT1_T2_PT3_SF_jT4_jjP12ihipStream_tbEUlT_E_NS1_11comp_targetILNS1_3genE0ELNS1_11target_archE4294967295ELNS1_3gpuE0ELNS1_3repE0EEENS1_52radix_sort_onesweep_histogram_config_static_selectorELNS0_4arch9wavefront6targetE0EEEvSD_ ; -- Begin function _ZN7rocprim17ROCPRIM_400000_NS6detail17trampoline_kernelINS0_14default_configENS1_35radix_sort_onesweep_config_selectorIfNS0_10empty_typeEEEZNS1_34radix_sort_onesweep_global_offsetsIS3_Lb1EPKfPS5_mNS0_19identity_decomposerEEE10hipError_tT1_T2_PT3_SF_jT4_jjP12ihipStream_tbEUlT_E_NS1_11comp_targetILNS1_3genE0ELNS1_11target_archE4294967295ELNS1_3gpuE0ELNS1_3repE0EEENS1_52radix_sort_onesweep_histogram_config_static_selectorELNS0_4arch9wavefront6targetE0EEEvSD_
	.globl	_ZN7rocprim17ROCPRIM_400000_NS6detail17trampoline_kernelINS0_14default_configENS1_35radix_sort_onesweep_config_selectorIfNS0_10empty_typeEEEZNS1_34radix_sort_onesweep_global_offsetsIS3_Lb1EPKfPS5_mNS0_19identity_decomposerEEE10hipError_tT1_T2_PT3_SF_jT4_jjP12ihipStream_tbEUlT_E_NS1_11comp_targetILNS1_3genE0ELNS1_11target_archE4294967295ELNS1_3gpuE0ELNS1_3repE0EEENS1_52radix_sort_onesweep_histogram_config_static_selectorELNS0_4arch9wavefront6targetE0EEEvSD_
	.p2align	8
	.type	_ZN7rocprim17ROCPRIM_400000_NS6detail17trampoline_kernelINS0_14default_configENS1_35radix_sort_onesweep_config_selectorIfNS0_10empty_typeEEEZNS1_34radix_sort_onesweep_global_offsetsIS3_Lb1EPKfPS5_mNS0_19identity_decomposerEEE10hipError_tT1_T2_PT3_SF_jT4_jjP12ihipStream_tbEUlT_E_NS1_11comp_targetILNS1_3genE0ELNS1_11target_archE4294967295ELNS1_3gpuE0ELNS1_3repE0EEENS1_52radix_sort_onesweep_histogram_config_static_selectorELNS0_4arch9wavefront6targetE0EEEvSD_,@function
_ZN7rocprim17ROCPRIM_400000_NS6detail17trampoline_kernelINS0_14default_configENS1_35radix_sort_onesweep_config_selectorIfNS0_10empty_typeEEEZNS1_34radix_sort_onesweep_global_offsetsIS3_Lb1EPKfPS5_mNS0_19identity_decomposerEEE10hipError_tT1_T2_PT3_SF_jT4_jjP12ihipStream_tbEUlT_E_NS1_11comp_targetILNS1_3genE0ELNS1_11target_archE4294967295ELNS1_3gpuE0ELNS1_3repE0EEENS1_52radix_sort_onesweep_histogram_config_static_selectorELNS0_4arch9wavefront6targetE0EEEvSD_: ; @_ZN7rocprim17ROCPRIM_400000_NS6detail17trampoline_kernelINS0_14default_configENS1_35radix_sort_onesweep_config_selectorIfNS0_10empty_typeEEEZNS1_34radix_sort_onesweep_global_offsetsIS3_Lb1EPKfPS5_mNS0_19identity_decomposerEEE10hipError_tT1_T2_PT3_SF_jT4_jjP12ihipStream_tbEUlT_E_NS1_11comp_targetILNS1_3genE0ELNS1_11target_archE4294967295ELNS1_3gpuE0ELNS1_3repE0EEENS1_52radix_sort_onesweep_histogram_config_static_selectorELNS0_4arch9wavefront6targetE0EEEvSD_
; %bb.0:
	s_clause 0x1
	s_load_b64 s[8:9], s[0:1], 0x18
	s_load_b128 s[4:7], s[0:1], 0x0
	s_bfe_u32 s10, ttmp6, 0x4000c
	s_load_b64 s[2:3], s[0:1], 0x24
	s_add_co_i32 s10, s10, 1
	s_and_b32 s11, ttmp6, 15
	s_mul_i32 s10, ttmp9, s10
	s_getreg_b32 s12, hwreg(HW_REG_IB_STS2, 6, 4)
	s_add_co_i32 s10, s11, s10
	s_cmp_eq_u32 s12, 0
	s_mov_b32 s11, 0
	s_cselect_b32 s10, ttmp9, s10
	s_wait_kmcnt 0x0
	v_cmp_le_u64_e64 s9, s[8:9], s[10:11]
	s_mul_u64 s[10:11], s[10:11], 0x6000
	s_delay_alu instid0(SALU_CYCLE_1)
	s_add_nc_u64 s[4:5], s[4:5], s[10:11]
	s_and_b32 vcc_lo, exec_lo, s9
	s_mov_b32 s9, -1
	s_cbranch_vccz .LBB1293_243
; %bb.1:
	s_load_b32 s1, s[0:1], 0x10
	s_wait_xcnt 0x0
	s_mul_i32 s0, s8, 0xffffe800
                                        ; implicit-def: $vgpr25
	s_wait_kmcnt 0x0
	s_add_co_i32 s1, s1, s0
	s_mov_b32 s0, exec_lo
	v_cmpx_gt_u32_e64 s1, v0
	s_cbranch_execz .LBB1293_3
; %bb.2:
	global_load_b32 v25, v0, s[4:5] scale_offset
.LBB1293_3:
	s_wait_xcnt 0x0
	s_or_b32 exec_lo, exec_lo, s0
	v_or_b32_e32 v23, 0x200, v0
	s_mov_b32 s0, exec_lo
                                        ; implicit-def: $vgpr24
	s_delay_alu instid0(VALU_DEP_1)
	v_cmpx_gt_u32_e64 s1, v23
	s_cbranch_execz .LBB1293_5
; %bb.4:
	global_load_b32 v24, v0, s[4:5] offset:2048 scale_offset
.LBB1293_5:
	s_wait_xcnt 0x0
	s_or_b32 exec_lo, exec_lo, s0
	v_or_b32_e32 v21, 0x400, v0
	s_mov_b32 s0, exec_lo
                                        ; implicit-def: $vgpr22
	s_delay_alu instid0(VALU_DEP_1)
	v_cmpx_gt_u32_e64 s1, v21
	s_cbranch_execz .LBB1293_7
; %bb.6:
	global_load_b32 v22, v0, s[4:5] offset:4096 scale_offset
.LBB1293_7:
	s_wait_xcnt 0x0
	s_or_b32 exec_lo, exec_lo, s0
	v_or_b32_e32 v19, 0x600, v0
	s_mov_b32 s0, exec_lo
                                        ; implicit-def: $vgpr20
	s_delay_alu instid0(VALU_DEP_1)
	v_cmpx_gt_u32_e64 s1, v19
	s_cbranch_execz .LBB1293_9
; %bb.8:
	global_load_b32 v20, v0, s[4:5] offset:6144 scale_offset
.LBB1293_9:
	s_wait_xcnt 0x0
	s_or_b32 exec_lo, exec_lo, s0
	v_or_b32_e32 v17, 0x800, v0
	s_mov_b32 s0, exec_lo
                                        ; implicit-def: $vgpr18
	s_delay_alu instid0(VALU_DEP_1)
	v_cmpx_gt_u32_e64 s1, v17
	s_cbranch_execz .LBB1293_11
; %bb.10:
	global_load_b32 v18, v0, s[4:5] offset:8192 scale_offset
.LBB1293_11:
	s_wait_xcnt 0x0
	s_or_b32 exec_lo, exec_lo, s0
	v_or_b32_e32 v15, 0xa00, v0
	s_mov_b32 s0, exec_lo
                                        ; implicit-def: $vgpr16
	s_delay_alu instid0(VALU_DEP_1)
	v_cmpx_gt_u32_e64 s1, v15
	s_cbranch_execz .LBB1293_13
; %bb.12:
	global_load_b32 v16, v0, s[4:5] offset:10240 scale_offset
.LBB1293_13:
	s_wait_xcnt 0x0
	s_or_b32 exec_lo, exec_lo, s0
	v_or_b32_e32 v13, 0xc00, v0
	s_mov_b32 s0, exec_lo
                                        ; implicit-def: $vgpr14
	s_delay_alu instid0(VALU_DEP_1)
	v_cmpx_gt_u32_e64 s1, v13
	s_cbranch_execz .LBB1293_15
; %bb.14:
	global_load_b32 v14, v0, s[4:5] offset:12288 scale_offset
.LBB1293_15:
	s_wait_xcnt 0x0
	s_or_b32 exec_lo, exec_lo, s0
	v_or_b32_e32 v11, 0xe00, v0
	s_mov_b32 s0, exec_lo
                                        ; implicit-def: $vgpr12
	s_delay_alu instid0(VALU_DEP_1)
	v_cmpx_gt_u32_e64 s1, v11
	s_cbranch_execz .LBB1293_17
; %bb.16:
	global_load_b32 v12, v0, s[4:5] offset:14336 scale_offset
.LBB1293_17:
	s_wait_xcnt 0x0
	s_or_b32 exec_lo, exec_lo, s0
	v_or_b32_e32 v9, 0x1000, v0
	s_mov_b32 s0, exec_lo
                                        ; implicit-def: $vgpr10
	s_delay_alu instid0(VALU_DEP_1)
	v_cmpx_gt_u32_e64 s1, v9
	s_cbranch_execz .LBB1293_19
; %bb.18:
	global_load_b32 v10, v0, s[4:5] offset:16384 scale_offset
.LBB1293_19:
	s_wait_xcnt 0x0
	s_or_b32 exec_lo, exec_lo, s0
	v_or_b32_e32 v7, 0x1200, v0
	s_mov_b32 s0, exec_lo
                                        ; implicit-def: $vgpr8
	s_delay_alu instid0(VALU_DEP_1)
	v_cmpx_gt_u32_e64 s1, v7
	s_cbranch_execz .LBB1293_21
; %bb.20:
	global_load_b32 v8, v0, s[4:5] offset:18432 scale_offset
.LBB1293_21:
	s_wait_xcnt 0x0
	s_or_b32 exec_lo, exec_lo, s0
	v_or_b32_e32 v5, 0x1400, v0
	s_mov_b32 s0, exec_lo
                                        ; implicit-def: $vgpr6
	s_delay_alu instid0(VALU_DEP_1)
	v_cmpx_gt_u32_e64 s1, v5
	s_cbranch_execz .LBB1293_23
; %bb.22:
	global_load_b32 v6, v0, s[4:5] offset:20480 scale_offset
.LBB1293_23:
	s_wait_xcnt 0x0
	s_or_b32 exec_lo, exec_lo, s0
	v_or_b32_e32 v3, 0x1600, v0
	s_mov_b32 s0, exec_lo
                                        ; implicit-def: $vgpr4
	s_delay_alu instid0(VALU_DEP_1)
	v_cmpx_gt_u32_e64 s1, v3
	s_cbranch_execz .LBB1293_25
; %bb.24:
	global_load_b32 v4, v0, s[4:5] offset:22528 scale_offset
.LBB1293_25:
	s_wait_xcnt 0x0
	s_or_b32 exec_lo, exec_lo, s0
	v_dual_mov_b32 v2, 0 :: v_dual_lshlrev_b32 v1, 2, v0
	s_mov_b32 s0, -1
	ds_store_2addr_stride64_b32 v1, v2, v2 offset1:8
	ds_store_2addr_stride64_b32 v1, v2, v2 offset0:16 offset1:24
	s_and_saveexec_b32 s8, s0
; %bb.26:
	ds_store_b32 v1, v2 offset:8192
; %bb.27:
	s_or_b32 exec_lo, exec_lo, s8
	s_and_saveexec_b32 s8, s0
; %bb.28:
	v_mov_b32_e32 v2, 0
	ds_store_b32 v1, v2 offset:10240
; %bb.29:
	s_or_b32 exec_lo, exec_lo, s8
	v_cmp_gt_u32_e64 s0, 7, 6
	s_mov_b32 s8, exec_lo
	v_cmpx_gt_u32_e64 7, 5
; %bb.30:
	v_mov_b32_e32 v2, 0
	ds_store_b32 v1, v2 offset:12288
; %bb.31:
	s_or_b32 exec_lo, exec_lo, s8
	s_and_saveexec_b32 s8, s0
; %bb.32:
	v_mov_b32_e32 v2, 0
	ds_store_b32 v1, v2 offset:14336
; %bb.33:
	s_or_b32 exec_lo, exec_lo, s8
	s_wait_loadcnt 0x0
	v_cmp_gt_i32_e32 vcc_lo, 0, v25
	s_cmp_le_u32 s3, s2
	s_wait_dscnt 0x0
	s_cselect_b32 s8, -1, 0
	s_barrier_signal -1
	v_cndmask_b32_e64 v26, 0x7fffffff, 0, vcc_lo
	s_and_b32 s0, s8, exec_lo
	v_cmp_le_u32_e32 vcc_lo, s1, v0
	s_cselect_b32 s9, 8, 10
	v_and_b32_e32 v2, 3, v0
	v_dual_mov_b32 v26, s9 :: v_dual_bitop2_b32 v25, v26, v25 bitop3:0x14
	s_nor_b32 s0, s8, vcc_lo
	s_barrier_wait -1
	s_and_saveexec_b32 s10, s0
	s_cbranch_execz .LBB1293_35
; %bb.34:
	v_cmp_ne_u32_e64 s0, 0x80000000, v25
	v_lshlrev_b32_e32 v27, 2, v2
	s_delay_alu instid0(VALU_DEP_2) | instskip(SKIP_1) | instid1(SALU_CYCLE_1)
	v_cndmask_b32_e64 v26, 0x7fffffff, v25, s0
	s_sub_co_i32 s0, s3, s2
	s_min_u32 s0, s0, 8
	s_delay_alu instid0(VALU_DEP_1) | instskip(NEXT) | instid1(VALU_DEP_1)
	v_lshrrev_b32_e32 v26, s2, v26
	v_bfe_u32 v26, v26, 0, s0
	s_delay_alu instid0(VALU_DEP_1)
	v_lshl_or_b32 v26, v26, 4, v27
	v_mov_b32_e32 v27, 1
	ds_add_u32 v26, v27
	v_mov_b32_e32 v26, 0
.LBB1293_35:
	s_or_b32 exec_lo, exec_lo, s10
	s_mov_b32 s11, -1
	s_mov_b32 s10, exec_lo
	s_delay_alu instid0(VALU_DEP_1)
	v_cmpx_gt_i32_e32 10, v26
; %bb.36:
	v_cmp_eq_u32_e64 s0, 0, v26
	s_or_not1_b32 s11, s0, exec_lo
; %bb.37:
	s_or_b32 exec_lo, exec_lo, s10
	s_and_saveexec_b32 s10, s11
	s_cbranch_execz .LBB1293_50
; %bb.38:
	s_add_co_i32 s12, s2, 8
	s_delay_alu instid0(SALU_CYCLE_1) | instskip(SKIP_1) | instid1(SALU_CYCLE_1)
	s_cmp_le_u32 s3, s12
	s_cselect_b32 s0, -1, 0
	s_and_b32 s11, s0, exec_lo
	s_cselect_b32 s11, 8, 10
	s_nor_b32 s0, s0, vcc_lo
	v_mov_b32_e32 v26, s11
	s_and_saveexec_b32 s11, s0
	s_cbranch_execz .LBB1293_40
; %bb.39:
	v_cmp_ne_u32_e64 s0, 0x80000000, v25
	v_lshlrev_b32_e32 v27, 2, v2
	s_delay_alu instid0(VALU_DEP_2) | instskip(SKIP_1) | instid1(SALU_CYCLE_1)
	v_cndmask_b32_e64 v26, 0x7fffffff, v25, s0
	s_sub_co_i32 s0, s3, s12
	s_min_u32 s0, s0, 8
	s_delay_alu instid0(VALU_DEP_1) | instskip(NEXT) | instid1(VALU_DEP_1)
	v_lshrrev_b32_e32 v26, s12, v26
	v_bfe_u32 v26, v26, 0, s0
	s_delay_alu instid0(VALU_DEP_1)
	v_lshl_or_b32 v26, v26, 4, v27
	v_mov_b32_e32 v27, 1
	ds_add_u32 v26, v27 offset:4096
	v_mov_b32_e32 v26, 0
.LBB1293_40:
	s_or_b32 exec_lo, exec_lo, s11
	s_mov_b32 s11, -1
	s_mov_b32 s12, exec_lo
	s_delay_alu instid0(VALU_DEP_1)
	v_cmpx_gt_i32_e32 10, v26
; %bb.41:
	v_cmp_eq_u32_e64 s0, 0, v26
	s_or_not1_b32 s11, s0, exec_lo
; %bb.42:
	s_or_b32 exec_lo, exec_lo, s12
	s_delay_alu instid0(SALU_CYCLE_1)
	s_and_b32 exec_lo, exec_lo, s11
	s_cbranch_execz .LBB1293_50
; %bb.43:
	s_add_co_i32 s12, s2, 16
	s_delay_alu instid0(SALU_CYCLE_1) | instskip(SKIP_1) | instid1(SALU_CYCLE_1)
	s_cmp_le_u32 s3, s12
	s_cselect_b32 s0, -1, 0
	s_and_b32 s11, s0, exec_lo
	s_cselect_b32 s11, 8, 10
	s_nor_b32 s0, s0, vcc_lo
	v_mov_b32_e32 v26, s11
	s_and_saveexec_b32 s11, s0
	s_cbranch_execz .LBB1293_45
; %bb.44:
	v_cmp_ne_u32_e64 s0, 0x80000000, v25
	v_lshlrev_b32_e32 v27, 2, v2
	s_delay_alu instid0(VALU_DEP_2) | instskip(SKIP_1) | instid1(SALU_CYCLE_1)
	v_cndmask_b32_e64 v26, 0x7fffffff, v25, s0
	s_sub_co_i32 s0, s3, s12
	s_min_u32 s0, s0, 8
	s_delay_alu instid0(VALU_DEP_1) | instskip(NEXT) | instid1(VALU_DEP_1)
	v_lshrrev_b32_e32 v26, s12, v26
	v_bfe_u32 v26, v26, 0, s0
	s_delay_alu instid0(VALU_DEP_1)
	v_lshl_or_b32 v26, v26, 4, v27
	v_mov_b32_e32 v27, 1
	ds_add_u32 v26, v27 offset:8192
	v_mov_b32_e32 v26, 0
.LBB1293_45:
	s_or_b32 exec_lo, exec_lo, s11
	s_mov_b32 s11, -1
	s_mov_b32 s12, exec_lo
	s_delay_alu instid0(VALU_DEP_1)
	v_cmpx_gt_i32_e32 10, v26
; %bb.46:
	v_cmp_eq_u32_e64 s0, 0, v26
	s_or_not1_b32 s11, s0, exec_lo
; %bb.47:
	s_or_b32 exec_lo, exec_lo, s12
	s_delay_alu instid0(SALU_CYCLE_1)
	s_and_b32 exec_lo, exec_lo, s11
	s_cbranch_execz .LBB1293_50
; %bb.48:
	s_add_co_i32 s0, s2, 24
	s_delay_alu instid0(SALU_CYCLE_1) | instskip(SKIP_2) | instid1(SALU_CYCLE_1)
	s_cmp_gt_u32 s3, s0
	s_cselect_b32 s11, -1, 0
	s_xor_b32 s12, vcc_lo, -1
	s_and_b32 s11, s11, s12
	s_delay_alu instid0(SALU_CYCLE_1)
	s_and_b32 exec_lo, exec_lo, s11
	s_cbranch_execz .LBB1293_50
; %bb.49:
	v_cmp_ne_u32_e32 vcc_lo, 0x80000000, v25
	v_dual_cndmask_b32 v25, 0x7fffffff, v25 :: v_dual_lshlrev_b32 v26, 2, v2
	s_delay_alu instid0(VALU_DEP_1) | instskip(SKIP_1) | instid1(SALU_CYCLE_1)
	v_lshrrev_b32_e32 v25, s0, v25
	s_sub_co_i32 s0, s3, s0
	s_min_u32 s0, s0, 8
	s_delay_alu instid0(VALU_DEP_1) | instid1(SALU_CYCLE_1)
	v_bfe_u32 v25, v25, 0, s0
	s_delay_alu instid0(VALU_DEP_1)
	v_lshl_or_b32 v25, v25, 4, v26
	v_mov_b32_e32 v26, 1
	ds_add_u32 v25, v26 offset:12288
.LBB1293_50:
	s_or_b32 exec_lo, exec_lo, s10
	v_cmp_gt_i32_e32 vcc_lo, 0, v24
	v_cndmask_b32_e64 v25, 0x7fffffff, 0, vcc_lo
	v_cmp_le_u32_e32 vcc_lo, s1, v23
	s_delay_alu instid0(VALU_DEP_2) | instskip(SKIP_1) | instid1(SALU_CYCLE_1)
	v_dual_mov_b32 v24, s9 :: v_dual_bitop2_b32 v23, v25, v24 bitop3:0x14
	s_nor_b32 s0, s8, vcc_lo
	s_and_saveexec_b32 s10, s0
	s_cbranch_execz .LBB1293_52
; %bb.51:
	s_delay_alu instid0(VALU_DEP_1) | instskip(SKIP_1) | instid1(VALU_DEP_2)
	v_cmp_ne_u32_e64 s0, 0x80000000, v23
	v_lshlrev_b32_e32 v25, 2, v2
	v_cndmask_b32_e64 v24, 0x7fffffff, v23, s0
	s_sub_co_i32 s0, s3, s2
	s_delay_alu instid0(SALU_CYCLE_1) | instskip(NEXT) | instid1(VALU_DEP_1)
	s_min_u32 s0, s0, 8
	v_lshrrev_b32_e32 v24, s2, v24
	s_delay_alu instid0(VALU_DEP_1) | instskip(NEXT) | instid1(VALU_DEP_1)
	v_bfe_u32 v24, v24, 0, s0
	v_lshl_or_b32 v24, v24, 4, v25
	v_mov_b32_e32 v25, 1
	ds_add_u32 v24, v25
	v_mov_b32_e32 v24, 0
.LBB1293_52:
	s_or_b32 exec_lo, exec_lo, s10
	s_mov_b32 s11, -1
	s_mov_b32 s10, exec_lo
	s_delay_alu instid0(VALU_DEP_1)
	v_cmpx_gt_i32_e32 10, v24
; %bb.53:
	v_cmp_eq_u32_e64 s0, 0, v24
	s_or_not1_b32 s11, s0, exec_lo
; %bb.54:
	s_or_b32 exec_lo, exec_lo, s10
	s_and_saveexec_b32 s10, s11
	s_cbranch_execz .LBB1293_67
; %bb.55:
	s_add_co_i32 s12, s2, 8
	s_delay_alu instid0(SALU_CYCLE_1) | instskip(SKIP_1) | instid1(SALU_CYCLE_1)
	s_cmp_le_u32 s3, s12
	s_cselect_b32 s0, -1, 0
	s_and_b32 s11, s0, exec_lo
	s_cselect_b32 s11, 8, 10
	s_nor_b32 s0, s0, vcc_lo
	v_mov_b32_e32 v24, s11
	s_and_saveexec_b32 s11, s0
	s_cbranch_execz .LBB1293_57
; %bb.56:
	v_cmp_ne_u32_e64 s0, 0x80000000, v23
	v_lshlrev_b32_e32 v25, 2, v2
	s_delay_alu instid0(VALU_DEP_2) | instskip(SKIP_1) | instid1(SALU_CYCLE_1)
	v_cndmask_b32_e64 v24, 0x7fffffff, v23, s0
	s_sub_co_i32 s0, s3, s12
	s_min_u32 s0, s0, 8
	s_delay_alu instid0(VALU_DEP_1) | instskip(NEXT) | instid1(VALU_DEP_1)
	v_lshrrev_b32_e32 v24, s12, v24
	v_bfe_u32 v24, v24, 0, s0
	s_delay_alu instid0(VALU_DEP_1)
	v_lshl_or_b32 v24, v24, 4, v25
	v_mov_b32_e32 v25, 1
	ds_add_u32 v24, v25 offset:4096
	v_mov_b32_e32 v24, 0
.LBB1293_57:
	s_or_b32 exec_lo, exec_lo, s11
	s_mov_b32 s11, -1
	s_mov_b32 s12, exec_lo
	s_delay_alu instid0(VALU_DEP_1)
	v_cmpx_gt_i32_e32 10, v24
; %bb.58:
	v_cmp_eq_u32_e64 s0, 0, v24
	s_or_not1_b32 s11, s0, exec_lo
; %bb.59:
	s_or_b32 exec_lo, exec_lo, s12
	s_delay_alu instid0(SALU_CYCLE_1)
	s_and_b32 exec_lo, exec_lo, s11
	s_cbranch_execz .LBB1293_67
; %bb.60:
	s_add_co_i32 s12, s2, 16
	s_delay_alu instid0(SALU_CYCLE_1) | instskip(SKIP_1) | instid1(SALU_CYCLE_1)
	s_cmp_le_u32 s3, s12
	s_cselect_b32 s0, -1, 0
	s_and_b32 s11, s0, exec_lo
	s_cselect_b32 s11, 8, 10
	s_nor_b32 s0, s0, vcc_lo
	v_mov_b32_e32 v24, s11
	s_and_saveexec_b32 s11, s0
	s_cbranch_execz .LBB1293_62
; %bb.61:
	v_cmp_ne_u32_e64 s0, 0x80000000, v23
	v_lshlrev_b32_e32 v25, 2, v2
	s_delay_alu instid0(VALU_DEP_2) | instskip(SKIP_1) | instid1(SALU_CYCLE_1)
	v_cndmask_b32_e64 v24, 0x7fffffff, v23, s0
	s_sub_co_i32 s0, s3, s12
	s_min_u32 s0, s0, 8
	s_delay_alu instid0(VALU_DEP_1) | instskip(NEXT) | instid1(VALU_DEP_1)
	v_lshrrev_b32_e32 v24, s12, v24
	v_bfe_u32 v24, v24, 0, s0
	s_delay_alu instid0(VALU_DEP_1)
	v_lshl_or_b32 v24, v24, 4, v25
	v_mov_b32_e32 v25, 1
	ds_add_u32 v24, v25 offset:8192
	v_mov_b32_e32 v24, 0
.LBB1293_62:
	s_or_b32 exec_lo, exec_lo, s11
	s_mov_b32 s11, -1
	s_mov_b32 s12, exec_lo
	s_delay_alu instid0(VALU_DEP_1)
	v_cmpx_gt_i32_e32 10, v24
; %bb.63:
	v_cmp_eq_u32_e64 s0, 0, v24
	s_or_not1_b32 s11, s0, exec_lo
; %bb.64:
	s_or_b32 exec_lo, exec_lo, s12
	s_delay_alu instid0(SALU_CYCLE_1)
	s_and_b32 exec_lo, exec_lo, s11
	s_cbranch_execz .LBB1293_67
; %bb.65:
	s_add_co_i32 s0, s2, 24
	s_delay_alu instid0(SALU_CYCLE_1) | instskip(SKIP_2) | instid1(SALU_CYCLE_1)
	s_cmp_gt_u32 s3, s0
	s_cselect_b32 s11, -1, 0
	s_xor_b32 s12, vcc_lo, -1
	s_and_b32 s11, s11, s12
	s_delay_alu instid0(SALU_CYCLE_1)
	s_and_b32 exec_lo, exec_lo, s11
	s_cbranch_execz .LBB1293_67
; %bb.66:
	v_cmp_ne_u32_e32 vcc_lo, 0x80000000, v23
	v_dual_cndmask_b32 v23, 0x7fffffff, v23 :: v_dual_lshlrev_b32 v24, 2, v2
	s_delay_alu instid0(VALU_DEP_1) | instskip(SKIP_1) | instid1(SALU_CYCLE_1)
	v_lshrrev_b32_e32 v23, s0, v23
	s_sub_co_i32 s0, s3, s0
	s_min_u32 s0, s0, 8
	s_delay_alu instid0(VALU_DEP_1) | instid1(SALU_CYCLE_1)
	v_bfe_u32 v23, v23, 0, s0
	s_delay_alu instid0(VALU_DEP_1)
	v_lshl_or_b32 v23, v23, 4, v24
	v_mov_b32_e32 v24, 1
	ds_add_u32 v23, v24 offset:12288
.LBB1293_67:
	s_or_b32 exec_lo, exec_lo, s10
	v_cmp_gt_i32_e32 vcc_lo, 0, v22
	v_cndmask_b32_e64 v23, 0x7fffffff, 0, vcc_lo
	v_cmp_le_u32_e32 vcc_lo, s1, v21
	s_delay_alu instid0(VALU_DEP_2) | instskip(SKIP_1) | instid1(SALU_CYCLE_1)
	v_dual_mov_b32 v22, s9 :: v_dual_bitop2_b32 v21, v23, v22 bitop3:0x14
	s_nor_b32 s0, s8, vcc_lo
	s_and_saveexec_b32 s10, s0
	s_cbranch_execz .LBB1293_69
; %bb.68:
	s_delay_alu instid0(VALU_DEP_1) | instskip(SKIP_1) | instid1(VALU_DEP_2)
	v_cmp_ne_u32_e64 s0, 0x80000000, v21
	v_lshlrev_b32_e32 v23, 2, v2
	v_cndmask_b32_e64 v22, 0x7fffffff, v21, s0
	s_sub_co_i32 s0, s3, s2
	s_delay_alu instid0(SALU_CYCLE_1) | instskip(NEXT) | instid1(VALU_DEP_1)
	s_min_u32 s0, s0, 8
	v_lshrrev_b32_e32 v22, s2, v22
	s_delay_alu instid0(VALU_DEP_1) | instskip(NEXT) | instid1(VALU_DEP_1)
	v_bfe_u32 v22, v22, 0, s0
	v_lshl_or_b32 v22, v22, 4, v23
	v_mov_b32_e32 v23, 1
	ds_add_u32 v22, v23
	v_mov_b32_e32 v22, 0
.LBB1293_69:
	s_or_b32 exec_lo, exec_lo, s10
	s_mov_b32 s11, -1
	s_mov_b32 s10, exec_lo
	s_delay_alu instid0(VALU_DEP_1)
	v_cmpx_gt_i32_e32 10, v22
; %bb.70:
	v_cmp_eq_u32_e64 s0, 0, v22
	s_or_not1_b32 s11, s0, exec_lo
; %bb.71:
	s_or_b32 exec_lo, exec_lo, s10
	s_and_saveexec_b32 s10, s11
	s_cbranch_execz .LBB1293_84
; %bb.72:
	s_add_co_i32 s12, s2, 8
	s_delay_alu instid0(SALU_CYCLE_1) | instskip(SKIP_1) | instid1(SALU_CYCLE_1)
	s_cmp_le_u32 s3, s12
	s_cselect_b32 s0, -1, 0
	s_and_b32 s11, s0, exec_lo
	s_cselect_b32 s11, 8, 10
	s_nor_b32 s0, s0, vcc_lo
	v_mov_b32_e32 v22, s11
	s_and_saveexec_b32 s11, s0
	s_cbranch_execz .LBB1293_74
; %bb.73:
	v_cmp_ne_u32_e64 s0, 0x80000000, v21
	v_lshlrev_b32_e32 v23, 2, v2
	s_delay_alu instid0(VALU_DEP_2) | instskip(SKIP_1) | instid1(SALU_CYCLE_1)
	v_cndmask_b32_e64 v22, 0x7fffffff, v21, s0
	s_sub_co_i32 s0, s3, s12
	s_min_u32 s0, s0, 8
	s_delay_alu instid0(VALU_DEP_1) | instskip(NEXT) | instid1(VALU_DEP_1)
	v_lshrrev_b32_e32 v22, s12, v22
	v_bfe_u32 v22, v22, 0, s0
	s_delay_alu instid0(VALU_DEP_1)
	v_lshl_or_b32 v22, v22, 4, v23
	v_mov_b32_e32 v23, 1
	ds_add_u32 v22, v23 offset:4096
	v_mov_b32_e32 v22, 0
.LBB1293_74:
	s_or_b32 exec_lo, exec_lo, s11
	s_mov_b32 s11, -1
	s_mov_b32 s12, exec_lo
	s_delay_alu instid0(VALU_DEP_1)
	v_cmpx_gt_i32_e32 10, v22
; %bb.75:
	v_cmp_eq_u32_e64 s0, 0, v22
	s_or_not1_b32 s11, s0, exec_lo
; %bb.76:
	s_or_b32 exec_lo, exec_lo, s12
	s_delay_alu instid0(SALU_CYCLE_1)
	s_and_b32 exec_lo, exec_lo, s11
	s_cbranch_execz .LBB1293_84
; %bb.77:
	s_add_co_i32 s12, s2, 16
	s_delay_alu instid0(SALU_CYCLE_1) | instskip(SKIP_1) | instid1(SALU_CYCLE_1)
	s_cmp_le_u32 s3, s12
	s_cselect_b32 s0, -1, 0
	s_and_b32 s11, s0, exec_lo
	s_cselect_b32 s11, 8, 10
	s_nor_b32 s0, s0, vcc_lo
	v_mov_b32_e32 v22, s11
	s_and_saveexec_b32 s11, s0
	s_cbranch_execz .LBB1293_79
; %bb.78:
	v_cmp_ne_u32_e64 s0, 0x80000000, v21
	v_lshlrev_b32_e32 v23, 2, v2
	s_delay_alu instid0(VALU_DEP_2) | instskip(SKIP_1) | instid1(SALU_CYCLE_1)
	v_cndmask_b32_e64 v22, 0x7fffffff, v21, s0
	s_sub_co_i32 s0, s3, s12
	s_min_u32 s0, s0, 8
	s_delay_alu instid0(VALU_DEP_1) | instskip(NEXT) | instid1(VALU_DEP_1)
	v_lshrrev_b32_e32 v22, s12, v22
	v_bfe_u32 v22, v22, 0, s0
	s_delay_alu instid0(VALU_DEP_1)
	v_lshl_or_b32 v22, v22, 4, v23
	v_mov_b32_e32 v23, 1
	ds_add_u32 v22, v23 offset:8192
	v_mov_b32_e32 v22, 0
.LBB1293_79:
	s_or_b32 exec_lo, exec_lo, s11
	s_mov_b32 s11, -1
	s_mov_b32 s12, exec_lo
	s_delay_alu instid0(VALU_DEP_1)
	v_cmpx_gt_i32_e32 10, v22
; %bb.80:
	v_cmp_eq_u32_e64 s0, 0, v22
	s_or_not1_b32 s11, s0, exec_lo
; %bb.81:
	s_or_b32 exec_lo, exec_lo, s12
	s_delay_alu instid0(SALU_CYCLE_1)
	s_and_b32 exec_lo, exec_lo, s11
	s_cbranch_execz .LBB1293_84
; %bb.82:
	s_add_co_i32 s0, s2, 24
	s_delay_alu instid0(SALU_CYCLE_1) | instskip(SKIP_2) | instid1(SALU_CYCLE_1)
	s_cmp_gt_u32 s3, s0
	s_cselect_b32 s11, -1, 0
	s_xor_b32 s12, vcc_lo, -1
	s_and_b32 s11, s11, s12
	s_delay_alu instid0(SALU_CYCLE_1)
	s_and_b32 exec_lo, exec_lo, s11
	s_cbranch_execz .LBB1293_84
; %bb.83:
	v_cmp_ne_u32_e32 vcc_lo, 0x80000000, v21
	v_dual_cndmask_b32 v21, 0x7fffffff, v21 :: v_dual_lshlrev_b32 v22, 2, v2
	s_delay_alu instid0(VALU_DEP_1) | instskip(SKIP_1) | instid1(SALU_CYCLE_1)
	v_lshrrev_b32_e32 v21, s0, v21
	s_sub_co_i32 s0, s3, s0
	s_min_u32 s0, s0, 8
	s_delay_alu instid0(VALU_DEP_1) | instid1(SALU_CYCLE_1)
	v_bfe_u32 v21, v21, 0, s0
	s_delay_alu instid0(VALU_DEP_1)
	v_lshl_or_b32 v21, v21, 4, v22
	v_mov_b32_e32 v22, 1
	ds_add_u32 v21, v22 offset:12288
.LBB1293_84:
	s_or_b32 exec_lo, exec_lo, s10
	v_cmp_gt_i32_e32 vcc_lo, 0, v20
	v_cndmask_b32_e64 v21, 0x7fffffff, 0, vcc_lo
	v_cmp_le_u32_e32 vcc_lo, s1, v19
	s_delay_alu instid0(VALU_DEP_2) | instskip(SKIP_1) | instid1(SALU_CYCLE_1)
	v_dual_mov_b32 v20, s9 :: v_dual_bitop2_b32 v19, v21, v20 bitop3:0x14
	s_nor_b32 s0, s8, vcc_lo
	s_and_saveexec_b32 s10, s0
	s_cbranch_execz .LBB1293_86
; %bb.85:
	s_delay_alu instid0(VALU_DEP_1) | instskip(SKIP_1) | instid1(VALU_DEP_2)
	v_cmp_ne_u32_e64 s0, 0x80000000, v19
	v_lshlrev_b32_e32 v21, 2, v2
	v_cndmask_b32_e64 v20, 0x7fffffff, v19, s0
	s_sub_co_i32 s0, s3, s2
	s_delay_alu instid0(SALU_CYCLE_1) | instskip(NEXT) | instid1(VALU_DEP_1)
	s_min_u32 s0, s0, 8
	v_lshrrev_b32_e32 v20, s2, v20
	s_delay_alu instid0(VALU_DEP_1) | instskip(NEXT) | instid1(VALU_DEP_1)
	v_bfe_u32 v20, v20, 0, s0
	v_lshl_or_b32 v20, v20, 4, v21
	v_mov_b32_e32 v21, 1
	ds_add_u32 v20, v21
	v_mov_b32_e32 v20, 0
.LBB1293_86:
	s_or_b32 exec_lo, exec_lo, s10
	s_mov_b32 s11, -1
	s_mov_b32 s10, exec_lo
	s_delay_alu instid0(VALU_DEP_1)
	v_cmpx_gt_i32_e32 10, v20
; %bb.87:
	v_cmp_eq_u32_e64 s0, 0, v20
	s_or_not1_b32 s11, s0, exec_lo
; %bb.88:
	s_or_b32 exec_lo, exec_lo, s10
	s_and_saveexec_b32 s10, s11
	s_cbranch_execz .LBB1293_101
; %bb.89:
	s_add_co_i32 s12, s2, 8
	s_delay_alu instid0(SALU_CYCLE_1) | instskip(SKIP_1) | instid1(SALU_CYCLE_1)
	s_cmp_le_u32 s3, s12
	s_cselect_b32 s0, -1, 0
	s_and_b32 s11, s0, exec_lo
	s_cselect_b32 s11, 8, 10
	s_nor_b32 s0, s0, vcc_lo
	v_mov_b32_e32 v20, s11
	s_and_saveexec_b32 s11, s0
	s_cbranch_execz .LBB1293_91
; %bb.90:
	v_cmp_ne_u32_e64 s0, 0x80000000, v19
	v_lshlrev_b32_e32 v21, 2, v2
	s_delay_alu instid0(VALU_DEP_2) | instskip(SKIP_1) | instid1(SALU_CYCLE_1)
	v_cndmask_b32_e64 v20, 0x7fffffff, v19, s0
	s_sub_co_i32 s0, s3, s12
	s_min_u32 s0, s0, 8
	s_delay_alu instid0(VALU_DEP_1) | instskip(NEXT) | instid1(VALU_DEP_1)
	v_lshrrev_b32_e32 v20, s12, v20
	v_bfe_u32 v20, v20, 0, s0
	s_delay_alu instid0(VALU_DEP_1)
	v_lshl_or_b32 v20, v20, 4, v21
	v_mov_b32_e32 v21, 1
	ds_add_u32 v20, v21 offset:4096
	v_mov_b32_e32 v20, 0
.LBB1293_91:
	s_or_b32 exec_lo, exec_lo, s11
	s_mov_b32 s11, -1
	s_mov_b32 s12, exec_lo
	s_delay_alu instid0(VALU_DEP_1)
	v_cmpx_gt_i32_e32 10, v20
; %bb.92:
	v_cmp_eq_u32_e64 s0, 0, v20
	s_or_not1_b32 s11, s0, exec_lo
; %bb.93:
	s_or_b32 exec_lo, exec_lo, s12
	s_delay_alu instid0(SALU_CYCLE_1)
	s_and_b32 exec_lo, exec_lo, s11
	s_cbranch_execz .LBB1293_101
; %bb.94:
	s_add_co_i32 s12, s2, 16
	s_delay_alu instid0(SALU_CYCLE_1) | instskip(SKIP_1) | instid1(SALU_CYCLE_1)
	s_cmp_le_u32 s3, s12
	s_cselect_b32 s0, -1, 0
	s_and_b32 s11, s0, exec_lo
	s_cselect_b32 s11, 8, 10
	s_nor_b32 s0, s0, vcc_lo
	v_mov_b32_e32 v20, s11
	s_and_saveexec_b32 s11, s0
	s_cbranch_execz .LBB1293_96
; %bb.95:
	v_cmp_ne_u32_e64 s0, 0x80000000, v19
	v_lshlrev_b32_e32 v21, 2, v2
	s_delay_alu instid0(VALU_DEP_2) | instskip(SKIP_1) | instid1(SALU_CYCLE_1)
	v_cndmask_b32_e64 v20, 0x7fffffff, v19, s0
	s_sub_co_i32 s0, s3, s12
	s_min_u32 s0, s0, 8
	s_delay_alu instid0(VALU_DEP_1) | instskip(NEXT) | instid1(VALU_DEP_1)
	v_lshrrev_b32_e32 v20, s12, v20
	v_bfe_u32 v20, v20, 0, s0
	s_delay_alu instid0(VALU_DEP_1)
	v_lshl_or_b32 v20, v20, 4, v21
	v_mov_b32_e32 v21, 1
	ds_add_u32 v20, v21 offset:8192
	v_mov_b32_e32 v20, 0
.LBB1293_96:
	s_or_b32 exec_lo, exec_lo, s11
	s_mov_b32 s11, -1
	s_mov_b32 s12, exec_lo
	s_delay_alu instid0(VALU_DEP_1)
	v_cmpx_gt_i32_e32 10, v20
; %bb.97:
	v_cmp_eq_u32_e64 s0, 0, v20
	s_or_not1_b32 s11, s0, exec_lo
; %bb.98:
	s_or_b32 exec_lo, exec_lo, s12
	s_delay_alu instid0(SALU_CYCLE_1)
	s_and_b32 exec_lo, exec_lo, s11
	s_cbranch_execz .LBB1293_101
; %bb.99:
	s_add_co_i32 s0, s2, 24
	s_delay_alu instid0(SALU_CYCLE_1) | instskip(SKIP_2) | instid1(SALU_CYCLE_1)
	s_cmp_gt_u32 s3, s0
	s_cselect_b32 s11, -1, 0
	s_xor_b32 s12, vcc_lo, -1
	s_and_b32 s11, s11, s12
	s_delay_alu instid0(SALU_CYCLE_1)
	s_and_b32 exec_lo, exec_lo, s11
	s_cbranch_execz .LBB1293_101
; %bb.100:
	v_cmp_ne_u32_e32 vcc_lo, 0x80000000, v19
	v_dual_cndmask_b32 v19, 0x7fffffff, v19 :: v_dual_lshlrev_b32 v20, 2, v2
	s_delay_alu instid0(VALU_DEP_1) | instskip(SKIP_1) | instid1(SALU_CYCLE_1)
	v_lshrrev_b32_e32 v19, s0, v19
	s_sub_co_i32 s0, s3, s0
	s_min_u32 s0, s0, 8
	s_delay_alu instid0(VALU_DEP_1) | instid1(SALU_CYCLE_1)
	v_bfe_u32 v19, v19, 0, s0
	s_delay_alu instid0(VALU_DEP_1)
	v_lshl_or_b32 v19, v19, 4, v20
	v_mov_b32_e32 v20, 1
	ds_add_u32 v19, v20 offset:12288
.LBB1293_101:
	s_or_b32 exec_lo, exec_lo, s10
	v_cmp_gt_i32_e32 vcc_lo, 0, v18
	v_cndmask_b32_e64 v19, 0x7fffffff, 0, vcc_lo
	v_cmp_le_u32_e32 vcc_lo, s1, v17
	s_delay_alu instid0(VALU_DEP_2) | instskip(SKIP_1) | instid1(SALU_CYCLE_1)
	v_dual_mov_b32 v18, s9 :: v_dual_bitop2_b32 v17, v19, v18 bitop3:0x14
	s_nor_b32 s0, s8, vcc_lo
	s_and_saveexec_b32 s10, s0
	s_cbranch_execz .LBB1293_103
; %bb.102:
	s_delay_alu instid0(VALU_DEP_1) | instskip(SKIP_1) | instid1(VALU_DEP_2)
	v_cmp_ne_u32_e64 s0, 0x80000000, v17
	v_lshlrev_b32_e32 v19, 2, v2
	v_cndmask_b32_e64 v18, 0x7fffffff, v17, s0
	s_sub_co_i32 s0, s3, s2
	s_delay_alu instid0(SALU_CYCLE_1) | instskip(NEXT) | instid1(VALU_DEP_1)
	s_min_u32 s0, s0, 8
	v_lshrrev_b32_e32 v18, s2, v18
	s_delay_alu instid0(VALU_DEP_1) | instskip(NEXT) | instid1(VALU_DEP_1)
	v_bfe_u32 v18, v18, 0, s0
	v_lshl_or_b32 v18, v18, 4, v19
	v_mov_b32_e32 v19, 1
	ds_add_u32 v18, v19
	v_mov_b32_e32 v18, 0
.LBB1293_103:
	s_or_b32 exec_lo, exec_lo, s10
	s_mov_b32 s11, -1
	s_mov_b32 s10, exec_lo
	s_delay_alu instid0(VALU_DEP_1)
	v_cmpx_gt_i32_e32 10, v18
; %bb.104:
	v_cmp_eq_u32_e64 s0, 0, v18
	s_or_not1_b32 s11, s0, exec_lo
; %bb.105:
	s_or_b32 exec_lo, exec_lo, s10
	s_and_saveexec_b32 s10, s11
	s_cbranch_execz .LBB1293_118
; %bb.106:
	s_add_co_i32 s12, s2, 8
	s_delay_alu instid0(SALU_CYCLE_1) | instskip(SKIP_1) | instid1(SALU_CYCLE_1)
	s_cmp_le_u32 s3, s12
	s_cselect_b32 s0, -1, 0
	s_and_b32 s11, s0, exec_lo
	s_cselect_b32 s11, 8, 10
	s_nor_b32 s0, s0, vcc_lo
	v_mov_b32_e32 v18, s11
	s_and_saveexec_b32 s11, s0
	s_cbranch_execz .LBB1293_108
; %bb.107:
	v_cmp_ne_u32_e64 s0, 0x80000000, v17
	v_lshlrev_b32_e32 v19, 2, v2
	s_delay_alu instid0(VALU_DEP_2) | instskip(SKIP_1) | instid1(SALU_CYCLE_1)
	v_cndmask_b32_e64 v18, 0x7fffffff, v17, s0
	s_sub_co_i32 s0, s3, s12
	s_min_u32 s0, s0, 8
	s_delay_alu instid0(VALU_DEP_1) | instskip(NEXT) | instid1(VALU_DEP_1)
	v_lshrrev_b32_e32 v18, s12, v18
	v_bfe_u32 v18, v18, 0, s0
	s_delay_alu instid0(VALU_DEP_1)
	v_lshl_or_b32 v18, v18, 4, v19
	v_mov_b32_e32 v19, 1
	ds_add_u32 v18, v19 offset:4096
	v_mov_b32_e32 v18, 0
.LBB1293_108:
	s_or_b32 exec_lo, exec_lo, s11
	s_mov_b32 s11, -1
	s_mov_b32 s12, exec_lo
	s_delay_alu instid0(VALU_DEP_1)
	v_cmpx_gt_i32_e32 10, v18
; %bb.109:
	v_cmp_eq_u32_e64 s0, 0, v18
	s_or_not1_b32 s11, s0, exec_lo
; %bb.110:
	s_or_b32 exec_lo, exec_lo, s12
	s_delay_alu instid0(SALU_CYCLE_1)
	s_and_b32 exec_lo, exec_lo, s11
	s_cbranch_execz .LBB1293_118
; %bb.111:
	s_add_co_i32 s12, s2, 16
	s_delay_alu instid0(SALU_CYCLE_1) | instskip(SKIP_1) | instid1(SALU_CYCLE_1)
	s_cmp_le_u32 s3, s12
	s_cselect_b32 s0, -1, 0
	s_and_b32 s11, s0, exec_lo
	s_cselect_b32 s11, 8, 10
	s_nor_b32 s0, s0, vcc_lo
	v_mov_b32_e32 v18, s11
	s_and_saveexec_b32 s11, s0
	s_cbranch_execz .LBB1293_113
; %bb.112:
	v_cmp_ne_u32_e64 s0, 0x80000000, v17
	v_lshlrev_b32_e32 v19, 2, v2
	s_delay_alu instid0(VALU_DEP_2) | instskip(SKIP_1) | instid1(SALU_CYCLE_1)
	v_cndmask_b32_e64 v18, 0x7fffffff, v17, s0
	s_sub_co_i32 s0, s3, s12
	s_min_u32 s0, s0, 8
	s_delay_alu instid0(VALU_DEP_1) | instskip(NEXT) | instid1(VALU_DEP_1)
	v_lshrrev_b32_e32 v18, s12, v18
	v_bfe_u32 v18, v18, 0, s0
	s_delay_alu instid0(VALU_DEP_1)
	v_lshl_or_b32 v18, v18, 4, v19
	v_mov_b32_e32 v19, 1
	ds_add_u32 v18, v19 offset:8192
	v_mov_b32_e32 v18, 0
.LBB1293_113:
	s_or_b32 exec_lo, exec_lo, s11
	s_mov_b32 s11, -1
	s_mov_b32 s12, exec_lo
	s_delay_alu instid0(VALU_DEP_1)
	v_cmpx_gt_i32_e32 10, v18
; %bb.114:
	v_cmp_eq_u32_e64 s0, 0, v18
	s_or_not1_b32 s11, s0, exec_lo
; %bb.115:
	s_or_b32 exec_lo, exec_lo, s12
	s_delay_alu instid0(SALU_CYCLE_1)
	s_and_b32 exec_lo, exec_lo, s11
	s_cbranch_execz .LBB1293_118
; %bb.116:
	s_add_co_i32 s0, s2, 24
	s_delay_alu instid0(SALU_CYCLE_1) | instskip(SKIP_2) | instid1(SALU_CYCLE_1)
	s_cmp_gt_u32 s3, s0
	s_cselect_b32 s11, -1, 0
	s_xor_b32 s12, vcc_lo, -1
	s_and_b32 s11, s11, s12
	s_delay_alu instid0(SALU_CYCLE_1)
	s_and_b32 exec_lo, exec_lo, s11
	s_cbranch_execz .LBB1293_118
; %bb.117:
	v_cmp_ne_u32_e32 vcc_lo, 0x80000000, v17
	v_dual_cndmask_b32 v17, 0x7fffffff, v17 :: v_dual_lshlrev_b32 v18, 2, v2
	s_delay_alu instid0(VALU_DEP_1) | instskip(SKIP_1) | instid1(SALU_CYCLE_1)
	v_lshrrev_b32_e32 v17, s0, v17
	s_sub_co_i32 s0, s3, s0
	s_min_u32 s0, s0, 8
	s_delay_alu instid0(VALU_DEP_1) | instid1(SALU_CYCLE_1)
	v_bfe_u32 v17, v17, 0, s0
	s_delay_alu instid0(VALU_DEP_1)
	v_lshl_or_b32 v17, v17, 4, v18
	v_mov_b32_e32 v18, 1
	ds_add_u32 v17, v18 offset:12288
.LBB1293_118:
	s_or_b32 exec_lo, exec_lo, s10
	v_cmp_gt_i32_e32 vcc_lo, 0, v16
	v_cndmask_b32_e64 v17, 0x7fffffff, 0, vcc_lo
	v_cmp_le_u32_e32 vcc_lo, s1, v15
	s_delay_alu instid0(VALU_DEP_2) | instskip(SKIP_1) | instid1(SALU_CYCLE_1)
	v_dual_mov_b32 v16, s9 :: v_dual_bitop2_b32 v15, v17, v16 bitop3:0x14
	s_nor_b32 s0, s8, vcc_lo
	s_and_saveexec_b32 s10, s0
	s_cbranch_execz .LBB1293_120
; %bb.119:
	s_delay_alu instid0(VALU_DEP_1) | instskip(SKIP_1) | instid1(VALU_DEP_2)
	v_cmp_ne_u32_e64 s0, 0x80000000, v15
	v_lshlrev_b32_e32 v17, 2, v2
	v_cndmask_b32_e64 v16, 0x7fffffff, v15, s0
	s_sub_co_i32 s0, s3, s2
	s_delay_alu instid0(SALU_CYCLE_1) | instskip(NEXT) | instid1(VALU_DEP_1)
	s_min_u32 s0, s0, 8
	v_lshrrev_b32_e32 v16, s2, v16
	s_delay_alu instid0(VALU_DEP_1) | instskip(NEXT) | instid1(VALU_DEP_1)
	v_bfe_u32 v16, v16, 0, s0
	v_lshl_or_b32 v16, v16, 4, v17
	v_mov_b32_e32 v17, 1
	ds_add_u32 v16, v17
	v_mov_b32_e32 v16, 0
.LBB1293_120:
	s_or_b32 exec_lo, exec_lo, s10
	s_mov_b32 s11, -1
	s_mov_b32 s10, exec_lo
	s_delay_alu instid0(VALU_DEP_1)
	v_cmpx_gt_i32_e32 10, v16
; %bb.121:
	v_cmp_eq_u32_e64 s0, 0, v16
	s_or_not1_b32 s11, s0, exec_lo
; %bb.122:
	s_or_b32 exec_lo, exec_lo, s10
	s_and_saveexec_b32 s10, s11
	s_cbranch_execz .LBB1293_135
; %bb.123:
	s_add_co_i32 s12, s2, 8
	s_delay_alu instid0(SALU_CYCLE_1) | instskip(SKIP_1) | instid1(SALU_CYCLE_1)
	s_cmp_le_u32 s3, s12
	s_cselect_b32 s0, -1, 0
	s_and_b32 s11, s0, exec_lo
	s_cselect_b32 s11, 8, 10
	s_nor_b32 s0, s0, vcc_lo
	v_mov_b32_e32 v16, s11
	s_and_saveexec_b32 s11, s0
	s_cbranch_execz .LBB1293_125
; %bb.124:
	v_cmp_ne_u32_e64 s0, 0x80000000, v15
	v_lshlrev_b32_e32 v17, 2, v2
	s_delay_alu instid0(VALU_DEP_2) | instskip(SKIP_1) | instid1(SALU_CYCLE_1)
	v_cndmask_b32_e64 v16, 0x7fffffff, v15, s0
	s_sub_co_i32 s0, s3, s12
	s_min_u32 s0, s0, 8
	s_delay_alu instid0(VALU_DEP_1) | instskip(NEXT) | instid1(VALU_DEP_1)
	v_lshrrev_b32_e32 v16, s12, v16
	v_bfe_u32 v16, v16, 0, s0
	s_delay_alu instid0(VALU_DEP_1)
	v_lshl_or_b32 v16, v16, 4, v17
	v_mov_b32_e32 v17, 1
	ds_add_u32 v16, v17 offset:4096
	v_mov_b32_e32 v16, 0
.LBB1293_125:
	s_or_b32 exec_lo, exec_lo, s11
	s_mov_b32 s11, -1
	s_mov_b32 s12, exec_lo
	s_delay_alu instid0(VALU_DEP_1)
	v_cmpx_gt_i32_e32 10, v16
; %bb.126:
	v_cmp_eq_u32_e64 s0, 0, v16
	s_or_not1_b32 s11, s0, exec_lo
; %bb.127:
	s_or_b32 exec_lo, exec_lo, s12
	s_delay_alu instid0(SALU_CYCLE_1)
	s_and_b32 exec_lo, exec_lo, s11
	s_cbranch_execz .LBB1293_135
; %bb.128:
	s_add_co_i32 s12, s2, 16
	s_delay_alu instid0(SALU_CYCLE_1) | instskip(SKIP_1) | instid1(SALU_CYCLE_1)
	s_cmp_le_u32 s3, s12
	s_cselect_b32 s0, -1, 0
	s_and_b32 s11, s0, exec_lo
	s_cselect_b32 s11, 8, 10
	s_nor_b32 s0, s0, vcc_lo
	v_mov_b32_e32 v16, s11
	s_and_saveexec_b32 s11, s0
	s_cbranch_execz .LBB1293_130
; %bb.129:
	v_cmp_ne_u32_e64 s0, 0x80000000, v15
	v_lshlrev_b32_e32 v17, 2, v2
	s_delay_alu instid0(VALU_DEP_2) | instskip(SKIP_1) | instid1(SALU_CYCLE_1)
	v_cndmask_b32_e64 v16, 0x7fffffff, v15, s0
	s_sub_co_i32 s0, s3, s12
	s_min_u32 s0, s0, 8
	s_delay_alu instid0(VALU_DEP_1) | instskip(NEXT) | instid1(VALU_DEP_1)
	v_lshrrev_b32_e32 v16, s12, v16
	v_bfe_u32 v16, v16, 0, s0
	s_delay_alu instid0(VALU_DEP_1)
	v_lshl_or_b32 v16, v16, 4, v17
	v_mov_b32_e32 v17, 1
	ds_add_u32 v16, v17 offset:8192
	v_mov_b32_e32 v16, 0
.LBB1293_130:
	s_or_b32 exec_lo, exec_lo, s11
	s_mov_b32 s11, -1
	s_mov_b32 s12, exec_lo
	s_delay_alu instid0(VALU_DEP_1)
	v_cmpx_gt_i32_e32 10, v16
; %bb.131:
	v_cmp_eq_u32_e64 s0, 0, v16
	s_or_not1_b32 s11, s0, exec_lo
; %bb.132:
	s_or_b32 exec_lo, exec_lo, s12
	s_delay_alu instid0(SALU_CYCLE_1)
	s_and_b32 exec_lo, exec_lo, s11
	s_cbranch_execz .LBB1293_135
; %bb.133:
	s_add_co_i32 s0, s2, 24
	s_delay_alu instid0(SALU_CYCLE_1) | instskip(SKIP_2) | instid1(SALU_CYCLE_1)
	s_cmp_gt_u32 s3, s0
	s_cselect_b32 s11, -1, 0
	s_xor_b32 s12, vcc_lo, -1
	s_and_b32 s11, s11, s12
	s_delay_alu instid0(SALU_CYCLE_1)
	s_and_b32 exec_lo, exec_lo, s11
	s_cbranch_execz .LBB1293_135
; %bb.134:
	v_cmp_ne_u32_e32 vcc_lo, 0x80000000, v15
	v_dual_cndmask_b32 v15, 0x7fffffff, v15 :: v_dual_lshlrev_b32 v16, 2, v2
	s_delay_alu instid0(VALU_DEP_1) | instskip(SKIP_1) | instid1(SALU_CYCLE_1)
	v_lshrrev_b32_e32 v15, s0, v15
	s_sub_co_i32 s0, s3, s0
	s_min_u32 s0, s0, 8
	s_delay_alu instid0(VALU_DEP_1) | instid1(SALU_CYCLE_1)
	v_bfe_u32 v15, v15, 0, s0
	s_delay_alu instid0(VALU_DEP_1)
	v_lshl_or_b32 v15, v15, 4, v16
	v_mov_b32_e32 v16, 1
	ds_add_u32 v15, v16 offset:12288
.LBB1293_135:
	s_or_b32 exec_lo, exec_lo, s10
	v_cmp_gt_i32_e32 vcc_lo, 0, v14
	v_cndmask_b32_e64 v15, 0x7fffffff, 0, vcc_lo
	v_cmp_le_u32_e32 vcc_lo, s1, v13
	s_delay_alu instid0(VALU_DEP_2) | instskip(SKIP_1) | instid1(SALU_CYCLE_1)
	v_dual_mov_b32 v14, s9 :: v_dual_bitop2_b32 v13, v15, v14 bitop3:0x14
	s_nor_b32 s0, s8, vcc_lo
	s_and_saveexec_b32 s10, s0
	s_cbranch_execz .LBB1293_137
; %bb.136:
	s_delay_alu instid0(VALU_DEP_1) | instskip(SKIP_1) | instid1(VALU_DEP_2)
	v_cmp_ne_u32_e64 s0, 0x80000000, v13
	v_lshlrev_b32_e32 v15, 2, v2
	v_cndmask_b32_e64 v14, 0x7fffffff, v13, s0
	s_sub_co_i32 s0, s3, s2
	s_delay_alu instid0(SALU_CYCLE_1) | instskip(NEXT) | instid1(VALU_DEP_1)
	s_min_u32 s0, s0, 8
	v_lshrrev_b32_e32 v14, s2, v14
	s_delay_alu instid0(VALU_DEP_1) | instskip(NEXT) | instid1(VALU_DEP_1)
	v_bfe_u32 v14, v14, 0, s0
	v_lshl_or_b32 v14, v14, 4, v15
	v_mov_b32_e32 v15, 1
	ds_add_u32 v14, v15
	v_mov_b32_e32 v14, 0
.LBB1293_137:
	s_or_b32 exec_lo, exec_lo, s10
	s_mov_b32 s11, -1
	s_mov_b32 s10, exec_lo
	s_delay_alu instid0(VALU_DEP_1)
	v_cmpx_gt_i32_e32 10, v14
; %bb.138:
	v_cmp_eq_u32_e64 s0, 0, v14
	s_or_not1_b32 s11, s0, exec_lo
; %bb.139:
	s_or_b32 exec_lo, exec_lo, s10
	s_and_saveexec_b32 s10, s11
	s_cbranch_execz .LBB1293_152
; %bb.140:
	s_add_co_i32 s12, s2, 8
	s_delay_alu instid0(SALU_CYCLE_1) | instskip(SKIP_1) | instid1(SALU_CYCLE_1)
	s_cmp_le_u32 s3, s12
	s_cselect_b32 s0, -1, 0
	s_and_b32 s11, s0, exec_lo
	s_cselect_b32 s11, 8, 10
	s_nor_b32 s0, s0, vcc_lo
	v_mov_b32_e32 v14, s11
	s_and_saveexec_b32 s11, s0
	s_cbranch_execz .LBB1293_142
; %bb.141:
	v_cmp_ne_u32_e64 s0, 0x80000000, v13
	v_lshlrev_b32_e32 v15, 2, v2
	s_delay_alu instid0(VALU_DEP_2) | instskip(SKIP_1) | instid1(SALU_CYCLE_1)
	v_cndmask_b32_e64 v14, 0x7fffffff, v13, s0
	s_sub_co_i32 s0, s3, s12
	s_min_u32 s0, s0, 8
	s_delay_alu instid0(VALU_DEP_1) | instskip(NEXT) | instid1(VALU_DEP_1)
	v_lshrrev_b32_e32 v14, s12, v14
	v_bfe_u32 v14, v14, 0, s0
	s_delay_alu instid0(VALU_DEP_1)
	v_lshl_or_b32 v14, v14, 4, v15
	v_mov_b32_e32 v15, 1
	ds_add_u32 v14, v15 offset:4096
	v_mov_b32_e32 v14, 0
.LBB1293_142:
	s_or_b32 exec_lo, exec_lo, s11
	s_mov_b32 s11, -1
	s_mov_b32 s12, exec_lo
	s_delay_alu instid0(VALU_DEP_1)
	v_cmpx_gt_i32_e32 10, v14
; %bb.143:
	v_cmp_eq_u32_e64 s0, 0, v14
	s_or_not1_b32 s11, s0, exec_lo
; %bb.144:
	s_or_b32 exec_lo, exec_lo, s12
	s_delay_alu instid0(SALU_CYCLE_1)
	s_and_b32 exec_lo, exec_lo, s11
	s_cbranch_execz .LBB1293_152
; %bb.145:
	s_add_co_i32 s12, s2, 16
	s_delay_alu instid0(SALU_CYCLE_1) | instskip(SKIP_1) | instid1(SALU_CYCLE_1)
	s_cmp_le_u32 s3, s12
	s_cselect_b32 s0, -1, 0
	s_and_b32 s11, s0, exec_lo
	s_cselect_b32 s11, 8, 10
	s_nor_b32 s0, s0, vcc_lo
	v_mov_b32_e32 v14, s11
	s_and_saveexec_b32 s11, s0
	s_cbranch_execz .LBB1293_147
; %bb.146:
	v_cmp_ne_u32_e64 s0, 0x80000000, v13
	v_lshlrev_b32_e32 v15, 2, v2
	s_delay_alu instid0(VALU_DEP_2) | instskip(SKIP_1) | instid1(SALU_CYCLE_1)
	v_cndmask_b32_e64 v14, 0x7fffffff, v13, s0
	s_sub_co_i32 s0, s3, s12
	s_min_u32 s0, s0, 8
	s_delay_alu instid0(VALU_DEP_1) | instskip(NEXT) | instid1(VALU_DEP_1)
	v_lshrrev_b32_e32 v14, s12, v14
	v_bfe_u32 v14, v14, 0, s0
	s_delay_alu instid0(VALU_DEP_1)
	v_lshl_or_b32 v14, v14, 4, v15
	v_mov_b32_e32 v15, 1
	ds_add_u32 v14, v15 offset:8192
	v_mov_b32_e32 v14, 0
.LBB1293_147:
	s_or_b32 exec_lo, exec_lo, s11
	s_mov_b32 s11, -1
	s_mov_b32 s12, exec_lo
	s_delay_alu instid0(VALU_DEP_1)
	v_cmpx_gt_i32_e32 10, v14
; %bb.148:
	v_cmp_eq_u32_e64 s0, 0, v14
	s_or_not1_b32 s11, s0, exec_lo
; %bb.149:
	s_or_b32 exec_lo, exec_lo, s12
	s_delay_alu instid0(SALU_CYCLE_1)
	s_and_b32 exec_lo, exec_lo, s11
	s_cbranch_execz .LBB1293_152
; %bb.150:
	s_add_co_i32 s0, s2, 24
	s_delay_alu instid0(SALU_CYCLE_1) | instskip(SKIP_2) | instid1(SALU_CYCLE_1)
	s_cmp_gt_u32 s3, s0
	s_cselect_b32 s11, -1, 0
	s_xor_b32 s12, vcc_lo, -1
	s_and_b32 s11, s11, s12
	s_delay_alu instid0(SALU_CYCLE_1)
	s_and_b32 exec_lo, exec_lo, s11
	s_cbranch_execz .LBB1293_152
; %bb.151:
	v_cmp_ne_u32_e32 vcc_lo, 0x80000000, v13
	v_dual_cndmask_b32 v13, 0x7fffffff, v13 :: v_dual_lshlrev_b32 v14, 2, v2
	s_delay_alu instid0(VALU_DEP_1) | instskip(SKIP_1) | instid1(SALU_CYCLE_1)
	v_lshrrev_b32_e32 v13, s0, v13
	s_sub_co_i32 s0, s3, s0
	s_min_u32 s0, s0, 8
	s_delay_alu instid0(VALU_DEP_1) | instid1(SALU_CYCLE_1)
	v_bfe_u32 v13, v13, 0, s0
	s_delay_alu instid0(VALU_DEP_1)
	v_lshl_or_b32 v13, v13, 4, v14
	v_mov_b32_e32 v14, 1
	ds_add_u32 v13, v14 offset:12288
.LBB1293_152:
	s_or_b32 exec_lo, exec_lo, s10
	v_cmp_gt_i32_e32 vcc_lo, 0, v12
	v_cndmask_b32_e64 v13, 0x7fffffff, 0, vcc_lo
	v_cmp_le_u32_e32 vcc_lo, s1, v11
	s_delay_alu instid0(VALU_DEP_2) | instskip(SKIP_1) | instid1(SALU_CYCLE_1)
	v_dual_mov_b32 v12, s9 :: v_dual_bitop2_b32 v11, v13, v12 bitop3:0x14
	s_nor_b32 s0, s8, vcc_lo
	s_and_saveexec_b32 s10, s0
	s_cbranch_execz .LBB1293_154
; %bb.153:
	s_delay_alu instid0(VALU_DEP_1) | instskip(SKIP_1) | instid1(VALU_DEP_2)
	v_cmp_ne_u32_e64 s0, 0x80000000, v11
	v_lshlrev_b32_e32 v13, 2, v2
	v_cndmask_b32_e64 v12, 0x7fffffff, v11, s0
	s_sub_co_i32 s0, s3, s2
	s_delay_alu instid0(SALU_CYCLE_1) | instskip(NEXT) | instid1(VALU_DEP_1)
	s_min_u32 s0, s0, 8
	v_lshrrev_b32_e32 v12, s2, v12
	s_delay_alu instid0(VALU_DEP_1) | instskip(NEXT) | instid1(VALU_DEP_1)
	v_bfe_u32 v12, v12, 0, s0
	v_lshl_or_b32 v12, v12, 4, v13
	v_mov_b32_e32 v13, 1
	ds_add_u32 v12, v13
	v_mov_b32_e32 v12, 0
.LBB1293_154:
	s_or_b32 exec_lo, exec_lo, s10
	s_mov_b32 s11, -1
	s_mov_b32 s10, exec_lo
	s_delay_alu instid0(VALU_DEP_1)
	v_cmpx_gt_i32_e32 10, v12
; %bb.155:
	v_cmp_eq_u32_e64 s0, 0, v12
	s_or_not1_b32 s11, s0, exec_lo
; %bb.156:
	s_or_b32 exec_lo, exec_lo, s10
	s_and_saveexec_b32 s10, s11
	s_cbranch_execz .LBB1293_169
; %bb.157:
	s_add_co_i32 s12, s2, 8
	s_delay_alu instid0(SALU_CYCLE_1) | instskip(SKIP_1) | instid1(SALU_CYCLE_1)
	s_cmp_le_u32 s3, s12
	s_cselect_b32 s0, -1, 0
	s_and_b32 s11, s0, exec_lo
	s_cselect_b32 s11, 8, 10
	s_nor_b32 s0, s0, vcc_lo
	v_mov_b32_e32 v12, s11
	s_and_saveexec_b32 s11, s0
	s_cbranch_execz .LBB1293_159
; %bb.158:
	v_cmp_ne_u32_e64 s0, 0x80000000, v11
	v_lshlrev_b32_e32 v13, 2, v2
	s_delay_alu instid0(VALU_DEP_2) | instskip(SKIP_1) | instid1(SALU_CYCLE_1)
	v_cndmask_b32_e64 v12, 0x7fffffff, v11, s0
	s_sub_co_i32 s0, s3, s12
	s_min_u32 s0, s0, 8
	s_delay_alu instid0(VALU_DEP_1) | instskip(NEXT) | instid1(VALU_DEP_1)
	v_lshrrev_b32_e32 v12, s12, v12
	v_bfe_u32 v12, v12, 0, s0
	s_delay_alu instid0(VALU_DEP_1)
	v_lshl_or_b32 v12, v12, 4, v13
	v_mov_b32_e32 v13, 1
	ds_add_u32 v12, v13 offset:4096
	v_mov_b32_e32 v12, 0
.LBB1293_159:
	s_or_b32 exec_lo, exec_lo, s11
	s_mov_b32 s11, -1
	s_mov_b32 s12, exec_lo
	s_delay_alu instid0(VALU_DEP_1)
	v_cmpx_gt_i32_e32 10, v12
; %bb.160:
	v_cmp_eq_u32_e64 s0, 0, v12
	s_or_not1_b32 s11, s0, exec_lo
; %bb.161:
	s_or_b32 exec_lo, exec_lo, s12
	s_delay_alu instid0(SALU_CYCLE_1)
	s_and_b32 exec_lo, exec_lo, s11
	s_cbranch_execz .LBB1293_169
; %bb.162:
	s_add_co_i32 s12, s2, 16
	s_delay_alu instid0(SALU_CYCLE_1) | instskip(SKIP_1) | instid1(SALU_CYCLE_1)
	s_cmp_le_u32 s3, s12
	s_cselect_b32 s0, -1, 0
	s_and_b32 s11, s0, exec_lo
	s_cselect_b32 s11, 8, 10
	s_nor_b32 s0, s0, vcc_lo
	v_mov_b32_e32 v12, s11
	s_and_saveexec_b32 s11, s0
	s_cbranch_execz .LBB1293_164
; %bb.163:
	v_cmp_ne_u32_e64 s0, 0x80000000, v11
	v_lshlrev_b32_e32 v13, 2, v2
	s_delay_alu instid0(VALU_DEP_2) | instskip(SKIP_1) | instid1(SALU_CYCLE_1)
	v_cndmask_b32_e64 v12, 0x7fffffff, v11, s0
	s_sub_co_i32 s0, s3, s12
	s_min_u32 s0, s0, 8
	s_delay_alu instid0(VALU_DEP_1) | instskip(NEXT) | instid1(VALU_DEP_1)
	v_lshrrev_b32_e32 v12, s12, v12
	v_bfe_u32 v12, v12, 0, s0
	s_delay_alu instid0(VALU_DEP_1)
	v_lshl_or_b32 v12, v12, 4, v13
	v_mov_b32_e32 v13, 1
	ds_add_u32 v12, v13 offset:8192
	v_mov_b32_e32 v12, 0
.LBB1293_164:
	s_or_b32 exec_lo, exec_lo, s11
	s_mov_b32 s11, -1
	s_mov_b32 s12, exec_lo
	s_delay_alu instid0(VALU_DEP_1)
	v_cmpx_gt_i32_e32 10, v12
; %bb.165:
	v_cmp_eq_u32_e64 s0, 0, v12
	s_or_not1_b32 s11, s0, exec_lo
; %bb.166:
	s_or_b32 exec_lo, exec_lo, s12
	s_delay_alu instid0(SALU_CYCLE_1)
	s_and_b32 exec_lo, exec_lo, s11
	s_cbranch_execz .LBB1293_169
; %bb.167:
	s_add_co_i32 s0, s2, 24
	s_delay_alu instid0(SALU_CYCLE_1) | instskip(SKIP_2) | instid1(SALU_CYCLE_1)
	s_cmp_gt_u32 s3, s0
	s_cselect_b32 s11, -1, 0
	s_xor_b32 s12, vcc_lo, -1
	s_and_b32 s11, s11, s12
	s_delay_alu instid0(SALU_CYCLE_1)
	s_and_b32 exec_lo, exec_lo, s11
	s_cbranch_execz .LBB1293_169
; %bb.168:
	v_cmp_ne_u32_e32 vcc_lo, 0x80000000, v11
	v_dual_cndmask_b32 v11, 0x7fffffff, v11 :: v_dual_lshlrev_b32 v12, 2, v2
	s_delay_alu instid0(VALU_DEP_1) | instskip(SKIP_1) | instid1(SALU_CYCLE_1)
	v_lshrrev_b32_e32 v11, s0, v11
	s_sub_co_i32 s0, s3, s0
	s_min_u32 s0, s0, 8
	s_delay_alu instid0(VALU_DEP_1) | instid1(SALU_CYCLE_1)
	v_bfe_u32 v11, v11, 0, s0
	s_delay_alu instid0(VALU_DEP_1)
	v_lshl_or_b32 v11, v11, 4, v12
	v_mov_b32_e32 v12, 1
	ds_add_u32 v11, v12 offset:12288
.LBB1293_169:
	s_or_b32 exec_lo, exec_lo, s10
	v_cmp_gt_i32_e32 vcc_lo, 0, v10
	v_cndmask_b32_e64 v11, 0x7fffffff, 0, vcc_lo
	v_cmp_le_u32_e32 vcc_lo, s1, v9
	s_delay_alu instid0(VALU_DEP_2) | instskip(SKIP_1) | instid1(SALU_CYCLE_1)
	v_dual_mov_b32 v10, s9 :: v_dual_bitop2_b32 v9, v11, v10 bitop3:0x14
	s_nor_b32 s0, s8, vcc_lo
	s_and_saveexec_b32 s10, s0
	s_cbranch_execz .LBB1293_171
; %bb.170:
	s_delay_alu instid0(VALU_DEP_1) | instskip(SKIP_1) | instid1(VALU_DEP_2)
	v_cmp_ne_u32_e64 s0, 0x80000000, v9
	v_lshlrev_b32_e32 v11, 2, v2
	v_cndmask_b32_e64 v10, 0x7fffffff, v9, s0
	s_sub_co_i32 s0, s3, s2
	s_delay_alu instid0(SALU_CYCLE_1) | instskip(NEXT) | instid1(VALU_DEP_1)
	s_min_u32 s0, s0, 8
	v_lshrrev_b32_e32 v10, s2, v10
	s_delay_alu instid0(VALU_DEP_1) | instskip(NEXT) | instid1(VALU_DEP_1)
	v_bfe_u32 v10, v10, 0, s0
	v_lshl_or_b32 v10, v10, 4, v11
	v_mov_b32_e32 v11, 1
	ds_add_u32 v10, v11
	v_mov_b32_e32 v10, 0
.LBB1293_171:
	s_or_b32 exec_lo, exec_lo, s10
	s_mov_b32 s11, -1
	s_mov_b32 s10, exec_lo
	s_delay_alu instid0(VALU_DEP_1)
	v_cmpx_gt_i32_e32 10, v10
; %bb.172:
	v_cmp_eq_u32_e64 s0, 0, v10
	s_or_not1_b32 s11, s0, exec_lo
; %bb.173:
	s_or_b32 exec_lo, exec_lo, s10
	s_and_saveexec_b32 s10, s11
	s_cbranch_execz .LBB1293_186
; %bb.174:
	s_add_co_i32 s12, s2, 8
	s_delay_alu instid0(SALU_CYCLE_1) | instskip(SKIP_1) | instid1(SALU_CYCLE_1)
	s_cmp_le_u32 s3, s12
	s_cselect_b32 s0, -1, 0
	s_and_b32 s11, s0, exec_lo
	s_cselect_b32 s11, 8, 10
	s_nor_b32 s0, s0, vcc_lo
	v_mov_b32_e32 v10, s11
	s_and_saveexec_b32 s11, s0
	s_cbranch_execz .LBB1293_176
; %bb.175:
	v_cmp_ne_u32_e64 s0, 0x80000000, v9
	v_lshlrev_b32_e32 v11, 2, v2
	s_delay_alu instid0(VALU_DEP_2) | instskip(SKIP_1) | instid1(SALU_CYCLE_1)
	v_cndmask_b32_e64 v10, 0x7fffffff, v9, s0
	s_sub_co_i32 s0, s3, s12
	s_min_u32 s0, s0, 8
	s_delay_alu instid0(VALU_DEP_1) | instskip(NEXT) | instid1(VALU_DEP_1)
	v_lshrrev_b32_e32 v10, s12, v10
	v_bfe_u32 v10, v10, 0, s0
	s_delay_alu instid0(VALU_DEP_1)
	v_lshl_or_b32 v10, v10, 4, v11
	v_mov_b32_e32 v11, 1
	ds_add_u32 v10, v11 offset:4096
	v_mov_b32_e32 v10, 0
.LBB1293_176:
	s_or_b32 exec_lo, exec_lo, s11
	s_mov_b32 s11, -1
	s_mov_b32 s12, exec_lo
	s_delay_alu instid0(VALU_DEP_1)
	v_cmpx_gt_i32_e32 10, v10
; %bb.177:
	v_cmp_eq_u32_e64 s0, 0, v10
	s_or_not1_b32 s11, s0, exec_lo
; %bb.178:
	s_or_b32 exec_lo, exec_lo, s12
	s_delay_alu instid0(SALU_CYCLE_1)
	s_and_b32 exec_lo, exec_lo, s11
	s_cbranch_execz .LBB1293_186
; %bb.179:
	s_add_co_i32 s12, s2, 16
	s_delay_alu instid0(SALU_CYCLE_1) | instskip(SKIP_1) | instid1(SALU_CYCLE_1)
	s_cmp_le_u32 s3, s12
	s_cselect_b32 s0, -1, 0
	s_and_b32 s11, s0, exec_lo
	s_cselect_b32 s11, 8, 10
	s_nor_b32 s0, s0, vcc_lo
	v_mov_b32_e32 v10, s11
	s_and_saveexec_b32 s11, s0
	s_cbranch_execz .LBB1293_181
; %bb.180:
	v_cmp_ne_u32_e64 s0, 0x80000000, v9
	v_lshlrev_b32_e32 v11, 2, v2
	s_delay_alu instid0(VALU_DEP_2) | instskip(SKIP_1) | instid1(SALU_CYCLE_1)
	v_cndmask_b32_e64 v10, 0x7fffffff, v9, s0
	s_sub_co_i32 s0, s3, s12
	s_min_u32 s0, s0, 8
	s_delay_alu instid0(VALU_DEP_1) | instskip(NEXT) | instid1(VALU_DEP_1)
	v_lshrrev_b32_e32 v10, s12, v10
	v_bfe_u32 v10, v10, 0, s0
	s_delay_alu instid0(VALU_DEP_1)
	v_lshl_or_b32 v10, v10, 4, v11
	v_mov_b32_e32 v11, 1
	ds_add_u32 v10, v11 offset:8192
	v_mov_b32_e32 v10, 0
.LBB1293_181:
	s_or_b32 exec_lo, exec_lo, s11
	s_mov_b32 s11, -1
	s_mov_b32 s12, exec_lo
	s_delay_alu instid0(VALU_DEP_1)
	v_cmpx_gt_i32_e32 10, v10
; %bb.182:
	v_cmp_eq_u32_e64 s0, 0, v10
	s_or_not1_b32 s11, s0, exec_lo
; %bb.183:
	s_or_b32 exec_lo, exec_lo, s12
	s_delay_alu instid0(SALU_CYCLE_1)
	s_and_b32 exec_lo, exec_lo, s11
	s_cbranch_execz .LBB1293_186
; %bb.184:
	s_add_co_i32 s0, s2, 24
	s_delay_alu instid0(SALU_CYCLE_1) | instskip(SKIP_2) | instid1(SALU_CYCLE_1)
	s_cmp_gt_u32 s3, s0
	s_cselect_b32 s11, -1, 0
	s_xor_b32 s12, vcc_lo, -1
	s_and_b32 s11, s11, s12
	s_delay_alu instid0(SALU_CYCLE_1)
	s_and_b32 exec_lo, exec_lo, s11
	s_cbranch_execz .LBB1293_186
; %bb.185:
	v_cmp_ne_u32_e32 vcc_lo, 0x80000000, v9
	v_dual_cndmask_b32 v9, 0x7fffffff, v9 :: v_dual_lshlrev_b32 v10, 2, v2
	s_delay_alu instid0(VALU_DEP_1) | instskip(SKIP_1) | instid1(SALU_CYCLE_1)
	v_lshrrev_b32_e32 v9, s0, v9
	s_sub_co_i32 s0, s3, s0
	s_min_u32 s0, s0, 8
	s_delay_alu instid0(VALU_DEP_1) | instid1(SALU_CYCLE_1)
	v_bfe_u32 v9, v9, 0, s0
	s_delay_alu instid0(VALU_DEP_1)
	v_lshl_or_b32 v9, v9, 4, v10
	v_mov_b32_e32 v10, 1
	ds_add_u32 v9, v10 offset:12288
.LBB1293_186:
	s_or_b32 exec_lo, exec_lo, s10
	v_cmp_gt_i32_e32 vcc_lo, 0, v8
	v_cndmask_b32_e64 v9, 0x7fffffff, 0, vcc_lo
	v_cmp_le_u32_e32 vcc_lo, s1, v7
	s_delay_alu instid0(VALU_DEP_2) | instskip(SKIP_1) | instid1(SALU_CYCLE_1)
	v_dual_mov_b32 v8, s9 :: v_dual_bitop2_b32 v7, v9, v8 bitop3:0x14
	s_nor_b32 s0, s8, vcc_lo
	s_and_saveexec_b32 s10, s0
	s_cbranch_execz .LBB1293_188
; %bb.187:
	s_delay_alu instid0(VALU_DEP_1) | instskip(SKIP_1) | instid1(VALU_DEP_2)
	v_cmp_ne_u32_e64 s0, 0x80000000, v7
	v_lshlrev_b32_e32 v9, 2, v2
	v_cndmask_b32_e64 v8, 0x7fffffff, v7, s0
	s_sub_co_i32 s0, s3, s2
	s_delay_alu instid0(SALU_CYCLE_1) | instskip(NEXT) | instid1(VALU_DEP_1)
	s_min_u32 s0, s0, 8
	v_lshrrev_b32_e32 v8, s2, v8
	s_delay_alu instid0(VALU_DEP_1) | instskip(NEXT) | instid1(VALU_DEP_1)
	v_bfe_u32 v8, v8, 0, s0
	v_lshl_or_b32 v8, v8, 4, v9
	v_mov_b32_e32 v9, 1
	ds_add_u32 v8, v9
	v_mov_b32_e32 v8, 0
.LBB1293_188:
	s_or_b32 exec_lo, exec_lo, s10
	s_mov_b32 s11, -1
	s_mov_b32 s10, exec_lo
	s_delay_alu instid0(VALU_DEP_1)
	v_cmpx_gt_i32_e32 10, v8
; %bb.189:
	v_cmp_eq_u32_e64 s0, 0, v8
	s_or_not1_b32 s11, s0, exec_lo
; %bb.190:
	s_or_b32 exec_lo, exec_lo, s10
	s_and_saveexec_b32 s10, s11
	s_cbranch_execz .LBB1293_203
; %bb.191:
	s_add_co_i32 s12, s2, 8
	s_delay_alu instid0(SALU_CYCLE_1) | instskip(SKIP_1) | instid1(SALU_CYCLE_1)
	s_cmp_le_u32 s3, s12
	s_cselect_b32 s0, -1, 0
	s_and_b32 s11, s0, exec_lo
	s_cselect_b32 s11, 8, 10
	s_nor_b32 s0, s0, vcc_lo
	v_mov_b32_e32 v8, s11
	s_and_saveexec_b32 s11, s0
	s_cbranch_execz .LBB1293_193
; %bb.192:
	v_cmp_ne_u32_e64 s0, 0x80000000, v7
	v_lshlrev_b32_e32 v9, 2, v2
	s_delay_alu instid0(VALU_DEP_2) | instskip(SKIP_1) | instid1(SALU_CYCLE_1)
	v_cndmask_b32_e64 v8, 0x7fffffff, v7, s0
	s_sub_co_i32 s0, s3, s12
	s_min_u32 s0, s0, 8
	s_delay_alu instid0(VALU_DEP_1) | instskip(NEXT) | instid1(VALU_DEP_1)
	v_lshrrev_b32_e32 v8, s12, v8
	v_bfe_u32 v8, v8, 0, s0
	s_delay_alu instid0(VALU_DEP_1)
	v_lshl_or_b32 v8, v8, 4, v9
	v_mov_b32_e32 v9, 1
	ds_add_u32 v8, v9 offset:4096
	v_mov_b32_e32 v8, 0
.LBB1293_193:
	s_or_b32 exec_lo, exec_lo, s11
	s_mov_b32 s11, -1
	s_mov_b32 s12, exec_lo
	s_delay_alu instid0(VALU_DEP_1)
	v_cmpx_gt_i32_e32 10, v8
; %bb.194:
	v_cmp_eq_u32_e64 s0, 0, v8
	s_or_not1_b32 s11, s0, exec_lo
; %bb.195:
	s_or_b32 exec_lo, exec_lo, s12
	s_delay_alu instid0(SALU_CYCLE_1)
	s_and_b32 exec_lo, exec_lo, s11
	s_cbranch_execz .LBB1293_203
; %bb.196:
	s_add_co_i32 s12, s2, 16
	s_delay_alu instid0(SALU_CYCLE_1) | instskip(SKIP_1) | instid1(SALU_CYCLE_1)
	s_cmp_le_u32 s3, s12
	s_cselect_b32 s0, -1, 0
	s_and_b32 s11, s0, exec_lo
	s_cselect_b32 s11, 8, 10
	s_nor_b32 s0, s0, vcc_lo
	v_mov_b32_e32 v8, s11
	s_and_saveexec_b32 s11, s0
	s_cbranch_execz .LBB1293_198
; %bb.197:
	v_cmp_ne_u32_e64 s0, 0x80000000, v7
	v_lshlrev_b32_e32 v9, 2, v2
	s_delay_alu instid0(VALU_DEP_2) | instskip(SKIP_1) | instid1(SALU_CYCLE_1)
	v_cndmask_b32_e64 v8, 0x7fffffff, v7, s0
	s_sub_co_i32 s0, s3, s12
	s_min_u32 s0, s0, 8
	s_delay_alu instid0(VALU_DEP_1) | instskip(NEXT) | instid1(VALU_DEP_1)
	v_lshrrev_b32_e32 v8, s12, v8
	v_bfe_u32 v8, v8, 0, s0
	s_delay_alu instid0(VALU_DEP_1)
	v_lshl_or_b32 v8, v8, 4, v9
	v_mov_b32_e32 v9, 1
	ds_add_u32 v8, v9 offset:8192
	v_mov_b32_e32 v8, 0
.LBB1293_198:
	s_or_b32 exec_lo, exec_lo, s11
	s_mov_b32 s11, -1
	s_mov_b32 s12, exec_lo
	s_delay_alu instid0(VALU_DEP_1)
	v_cmpx_gt_i32_e32 10, v8
; %bb.199:
	v_cmp_eq_u32_e64 s0, 0, v8
	s_or_not1_b32 s11, s0, exec_lo
; %bb.200:
	s_or_b32 exec_lo, exec_lo, s12
	s_delay_alu instid0(SALU_CYCLE_1)
	s_and_b32 exec_lo, exec_lo, s11
	s_cbranch_execz .LBB1293_203
; %bb.201:
	s_add_co_i32 s0, s2, 24
	s_delay_alu instid0(SALU_CYCLE_1) | instskip(SKIP_2) | instid1(SALU_CYCLE_1)
	s_cmp_gt_u32 s3, s0
	s_cselect_b32 s11, -1, 0
	s_xor_b32 s12, vcc_lo, -1
	s_and_b32 s11, s11, s12
	s_delay_alu instid0(SALU_CYCLE_1)
	s_and_b32 exec_lo, exec_lo, s11
	s_cbranch_execz .LBB1293_203
; %bb.202:
	v_cmp_ne_u32_e32 vcc_lo, 0x80000000, v7
	v_dual_cndmask_b32 v7, 0x7fffffff, v7 :: v_dual_lshlrev_b32 v8, 2, v2
	s_delay_alu instid0(VALU_DEP_1) | instskip(SKIP_1) | instid1(SALU_CYCLE_1)
	v_lshrrev_b32_e32 v7, s0, v7
	s_sub_co_i32 s0, s3, s0
	s_min_u32 s0, s0, 8
	s_delay_alu instid0(VALU_DEP_1) | instid1(SALU_CYCLE_1)
	v_bfe_u32 v7, v7, 0, s0
	s_delay_alu instid0(VALU_DEP_1)
	v_lshl_or_b32 v7, v7, 4, v8
	v_mov_b32_e32 v8, 1
	ds_add_u32 v7, v8 offset:12288
.LBB1293_203:
	s_or_b32 exec_lo, exec_lo, s10
	v_cmp_gt_i32_e32 vcc_lo, 0, v6
	v_cndmask_b32_e64 v7, 0x7fffffff, 0, vcc_lo
	v_cmp_le_u32_e32 vcc_lo, s1, v5
	s_delay_alu instid0(VALU_DEP_2) | instskip(SKIP_1) | instid1(SALU_CYCLE_1)
	v_dual_mov_b32 v6, s9 :: v_dual_bitop2_b32 v5, v7, v6 bitop3:0x14
	s_nor_b32 s0, s8, vcc_lo
	s_and_saveexec_b32 s10, s0
	s_cbranch_execz .LBB1293_205
; %bb.204:
	s_delay_alu instid0(VALU_DEP_1) | instskip(SKIP_1) | instid1(VALU_DEP_2)
	v_cmp_ne_u32_e64 s0, 0x80000000, v5
	v_lshlrev_b32_e32 v7, 2, v2
	v_cndmask_b32_e64 v6, 0x7fffffff, v5, s0
	s_sub_co_i32 s0, s3, s2
	s_delay_alu instid0(SALU_CYCLE_1) | instskip(NEXT) | instid1(VALU_DEP_1)
	s_min_u32 s0, s0, 8
	v_lshrrev_b32_e32 v6, s2, v6
	s_delay_alu instid0(VALU_DEP_1) | instskip(NEXT) | instid1(VALU_DEP_1)
	v_bfe_u32 v6, v6, 0, s0
	v_lshl_or_b32 v6, v6, 4, v7
	v_mov_b32_e32 v7, 1
	ds_add_u32 v6, v7
	v_mov_b32_e32 v6, 0
.LBB1293_205:
	s_or_b32 exec_lo, exec_lo, s10
	s_mov_b32 s11, -1
	s_mov_b32 s10, exec_lo
	s_delay_alu instid0(VALU_DEP_1)
	v_cmpx_gt_i32_e32 10, v6
; %bb.206:
	v_cmp_eq_u32_e64 s0, 0, v6
	s_or_not1_b32 s11, s0, exec_lo
; %bb.207:
	s_or_b32 exec_lo, exec_lo, s10
	s_and_saveexec_b32 s10, s11
	s_cbranch_execz .LBB1293_220
; %bb.208:
	s_add_co_i32 s12, s2, 8
	s_delay_alu instid0(SALU_CYCLE_1) | instskip(SKIP_1) | instid1(SALU_CYCLE_1)
	s_cmp_le_u32 s3, s12
	s_cselect_b32 s0, -1, 0
	s_and_b32 s11, s0, exec_lo
	s_cselect_b32 s11, 8, 10
	s_nor_b32 s0, s0, vcc_lo
	v_mov_b32_e32 v6, s11
	s_and_saveexec_b32 s11, s0
	s_cbranch_execz .LBB1293_210
; %bb.209:
	v_cmp_ne_u32_e64 s0, 0x80000000, v5
	v_lshlrev_b32_e32 v7, 2, v2
	s_delay_alu instid0(VALU_DEP_2) | instskip(SKIP_1) | instid1(SALU_CYCLE_1)
	v_cndmask_b32_e64 v6, 0x7fffffff, v5, s0
	s_sub_co_i32 s0, s3, s12
	s_min_u32 s0, s0, 8
	s_delay_alu instid0(VALU_DEP_1) | instskip(NEXT) | instid1(VALU_DEP_1)
	v_lshrrev_b32_e32 v6, s12, v6
	v_bfe_u32 v6, v6, 0, s0
	s_delay_alu instid0(VALU_DEP_1)
	v_lshl_or_b32 v6, v6, 4, v7
	v_mov_b32_e32 v7, 1
	ds_add_u32 v6, v7 offset:4096
	v_mov_b32_e32 v6, 0
.LBB1293_210:
	s_or_b32 exec_lo, exec_lo, s11
	s_mov_b32 s11, -1
	s_mov_b32 s12, exec_lo
	s_delay_alu instid0(VALU_DEP_1)
	v_cmpx_gt_i32_e32 10, v6
; %bb.211:
	v_cmp_eq_u32_e64 s0, 0, v6
	s_or_not1_b32 s11, s0, exec_lo
; %bb.212:
	s_or_b32 exec_lo, exec_lo, s12
	s_delay_alu instid0(SALU_CYCLE_1)
	s_and_b32 exec_lo, exec_lo, s11
	s_cbranch_execz .LBB1293_220
; %bb.213:
	s_add_co_i32 s12, s2, 16
	s_delay_alu instid0(SALU_CYCLE_1) | instskip(SKIP_1) | instid1(SALU_CYCLE_1)
	s_cmp_le_u32 s3, s12
	s_cselect_b32 s0, -1, 0
	s_and_b32 s11, s0, exec_lo
	s_cselect_b32 s11, 8, 10
	s_nor_b32 s0, s0, vcc_lo
	v_mov_b32_e32 v6, s11
	s_and_saveexec_b32 s11, s0
	s_cbranch_execz .LBB1293_215
; %bb.214:
	v_cmp_ne_u32_e64 s0, 0x80000000, v5
	v_lshlrev_b32_e32 v7, 2, v2
	s_delay_alu instid0(VALU_DEP_2) | instskip(SKIP_1) | instid1(SALU_CYCLE_1)
	v_cndmask_b32_e64 v6, 0x7fffffff, v5, s0
	s_sub_co_i32 s0, s3, s12
	s_min_u32 s0, s0, 8
	s_delay_alu instid0(VALU_DEP_1) | instskip(NEXT) | instid1(VALU_DEP_1)
	v_lshrrev_b32_e32 v6, s12, v6
	v_bfe_u32 v6, v6, 0, s0
	s_delay_alu instid0(VALU_DEP_1)
	v_lshl_or_b32 v6, v6, 4, v7
	v_mov_b32_e32 v7, 1
	ds_add_u32 v6, v7 offset:8192
	v_mov_b32_e32 v6, 0
.LBB1293_215:
	s_or_b32 exec_lo, exec_lo, s11
	s_mov_b32 s11, -1
	s_mov_b32 s12, exec_lo
	s_delay_alu instid0(VALU_DEP_1)
	v_cmpx_gt_i32_e32 10, v6
; %bb.216:
	v_cmp_eq_u32_e64 s0, 0, v6
	s_or_not1_b32 s11, s0, exec_lo
; %bb.217:
	s_or_b32 exec_lo, exec_lo, s12
	s_delay_alu instid0(SALU_CYCLE_1)
	s_and_b32 exec_lo, exec_lo, s11
	s_cbranch_execz .LBB1293_220
; %bb.218:
	s_add_co_i32 s0, s2, 24
	s_delay_alu instid0(SALU_CYCLE_1) | instskip(SKIP_2) | instid1(SALU_CYCLE_1)
	s_cmp_gt_u32 s3, s0
	s_cselect_b32 s11, -1, 0
	s_xor_b32 s12, vcc_lo, -1
	s_and_b32 s11, s11, s12
	s_delay_alu instid0(SALU_CYCLE_1)
	s_and_b32 exec_lo, exec_lo, s11
	s_cbranch_execz .LBB1293_220
; %bb.219:
	v_cmp_ne_u32_e32 vcc_lo, 0x80000000, v5
	v_dual_cndmask_b32 v5, 0x7fffffff, v5 :: v_dual_lshlrev_b32 v6, 2, v2
	s_delay_alu instid0(VALU_DEP_1) | instskip(SKIP_1) | instid1(SALU_CYCLE_1)
	v_lshrrev_b32_e32 v5, s0, v5
	s_sub_co_i32 s0, s3, s0
	s_min_u32 s0, s0, 8
	s_delay_alu instid0(VALU_DEP_1) | instid1(SALU_CYCLE_1)
	v_bfe_u32 v5, v5, 0, s0
	s_delay_alu instid0(VALU_DEP_1)
	v_lshl_or_b32 v5, v5, 4, v6
	v_mov_b32_e32 v6, 1
	ds_add_u32 v5, v6 offset:12288
.LBB1293_220:
	s_or_b32 exec_lo, exec_lo, s10
	v_cmp_gt_i32_e32 vcc_lo, 0, v4
	v_cndmask_b32_e64 v5, 0x7fffffff, 0, vcc_lo
	v_cmp_le_u32_e32 vcc_lo, s1, v3
	s_delay_alu instid0(VALU_DEP_2) | instskip(SKIP_1) | instid1(SALU_CYCLE_1)
	v_dual_mov_b32 v4, s9 :: v_dual_bitop2_b32 v3, v5, v4 bitop3:0x14
	s_nor_b32 s0, s8, vcc_lo
	s_and_saveexec_b32 s1, s0
	s_cbranch_execz .LBB1293_222
; %bb.221:
	s_delay_alu instid0(VALU_DEP_1) | instskip(SKIP_1) | instid1(VALU_DEP_2)
	v_cmp_ne_u32_e64 s0, 0x80000000, v3
	v_lshlrev_b32_e32 v5, 2, v2
	v_cndmask_b32_e64 v4, 0x7fffffff, v3, s0
	s_sub_co_i32 s0, s3, s2
	s_delay_alu instid0(SALU_CYCLE_1) | instskip(NEXT) | instid1(VALU_DEP_1)
	s_min_u32 s0, s0, 8
	v_lshrrev_b32_e32 v4, s2, v4
	s_delay_alu instid0(VALU_DEP_1) | instskip(NEXT) | instid1(VALU_DEP_1)
	v_bfe_u32 v4, v4, 0, s0
	v_lshl_or_b32 v4, v4, 4, v5
	v_mov_b32_e32 v5, 1
	ds_add_u32 v4, v5
	v_mov_b32_e32 v4, 0
.LBB1293_222:
	s_or_b32 exec_lo, exec_lo, s1
	s_mov_b32 s8, -1
	s_mov_b32 s1, exec_lo
	s_delay_alu instid0(VALU_DEP_1)
	v_cmpx_gt_i32_e32 10, v4
; %bb.223:
	v_cmp_eq_u32_e64 s0, 0, v4
	s_or_not1_b32 s8, s0, exec_lo
; %bb.224:
	s_or_b32 exec_lo, exec_lo, s1
	s_and_saveexec_b32 s1, s8
	s_cbranch_execz .LBB1293_237
; %bb.225:
	s_add_co_i32 s9, s2, 8
	s_delay_alu instid0(SALU_CYCLE_1) | instskip(SKIP_1) | instid1(SALU_CYCLE_1)
	s_cmp_le_u32 s3, s9
	s_cselect_b32 s0, -1, 0
	s_and_b32 s8, s0, exec_lo
	s_cselect_b32 s8, 8, 10
	s_nor_b32 s0, s0, vcc_lo
	v_mov_b32_e32 v4, s8
	s_and_saveexec_b32 s8, s0
	s_cbranch_execz .LBB1293_227
; %bb.226:
	v_cmp_ne_u32_e64 s0, 0x80000000, v3
	v_lshlrev_b32_e32 v5, 2, v2
	s_delay_alu instid0(VALU_DEP_2) | instskip(SKIP_1) | instid1(SALU_CYCLE_1)
	v_cndmask_b32_e64 v4, 0x7fffffff, v3, s0
	s_sub_co_i32 s0, s3, s9
	s_min_u32 s0, s0, 8
	s_delay_alu instid0(VALU_DEP_1) | instskip(NEXT) | instid1(VALU_DEP_1)
	v_lshrrev_b32_e32 v4, s9, v4
	v_bfe_u32 v4, v4, 0, s0
	s_delay_alu instid0(VALU_DEP_1)
	v_lshl_or_b32 v4, v4, 4, v5
	v_mov_b32_e32 v5, 1
	ds_add_u32 v4, v5 offset:4096
	v_mov_b32_e32 v4, 0
.LBB1293_227:
	s_or_b32 exec_lo, exec_lo, s8
	s_mov_b32 s8, -1
	s_mov_b32 s9, exec_lo
	s_delay_alu instid0(VALU_DEP_1)
	v_cmpx_gt_i32_e32 10, v4
; %bb.228:
	v_cmp_eq_u32_e64 s0, 0, v4
	s_or_not1_b32 s8, s0, exec_lo
; %bb.229:
	s_or_b32 exec_lo, exec_lo, s9
	s_delay_alu instid0(SALU_CYCLE_1)
	s_and_b32 exec_lo, exec_lo, s8
	s_cbranch_execz .LBB1293_237
; %bb.230:
	s_add_co_i32 s9, s2, 16
	s_delay_alu instid0(SALU_CYCLE_1) | instskip(SKIP_1) | instid1(SALU_CYCLE_1)
	s_cmp_le_u32 s3, s9
	s_cselect_b32 s0, -1, 0
	s_and_b32 s8, s0, exec_lo
	s_cselect_b32 s8, 8, 10
	s_nor_b32 s0, s0, vcc_lo
	v_mov_b32_e32 v4, s8
	s_and_saveexec_b32 s8, s0
	s_cbranch_execz .LBB1293_232
; %bb.231:
	v_cmp_ne_u32_e64 s0, 0x80000000, v3
	v_lshlrev_b32_e32 v5, 2, v2
	s_delay_alu instid0(VALU_DEP_2) | instskip(SKIP_1) | instid1(SALU_CYCLE_1)
	v_cndmask_b32_e64 v4, 0x7fffffff, v3, s0
	s_sub_co_i32 s0, s3, s9
	s_min_u32 s0, s0, 8
	s_delay_alu instid0(VALU_DEP_1) | instskip(NEXT) | instid1(VALU_DEP_1)
	v_lshrrev_b32_e32 v4, s9, v4
	v_bfe_u32 v4, v4, 0, s0
	s_delay_alu instid0(VALU_DEP_1)
	v_lshl_or_b32 v4, v4, 4, v5
	v_mov_b32_e32 v5, 1
	ds_add_u32 v4, v5 offset:8192
	v_mov_b32_e32 v4, 0
.LBB1293_232:
	s_or_b32 exec_lo, exec_lo, s8
	s_mov_b32 s8, -1
	s_mov_b32 s9, exec_lo
	s_delay_alu instid0(VALU_DEP_1)
	v_cmpx_gt_i32_e32 10, v4
; %bb.233:
	v_cmp_eq_u32_e64 s0, 0, v4
	s_or_not1_b32 s8, s0, exec_lo
; %bb.234:
	s_or_b32 exec_lo, exec_lo, s9
	s_delay_alu instid0(SALU_CYCLE_1)
	s_and_b32 exec_lo, exec_lo, s8
	s_cbranch_execz .LBB1293_237
; %bb.235:
	s_add_co_i32 s0, s2, 24
	s_delay_alu instid0(SALU_CYCLE_1) | instskip(SKIP_2) | instid1(SALU_CYCLE_1)
	s_cmp_gt_u32 s3, s0
	s_cselect_b32 s8, -1, 0
	s_xor_b32 s9, vcc_lo, -1
	s_and_b32 s8, s8, s9
	s_delay_alu instid0(SALU_CYCLE_1)
	s_and_b32 exec_lo, exec_lo, s8
	s_cbranch_execz .LBB1293_237
; %bb.236:
	v_cmp_ne_u32_e32 vcc_lo, 0x80000000, v3
	v_dual_cndmask_b32 v3, 0x7fffffff, v3 :: v_dual_lshlrev_b32 v2, 2, v2
	s_delay_alu instid0(VALU_DEP_1) | instskip(SKIP_1) | instid1(SALU_CYCLE_1)
	v_lshrrev_b32_e32 v3, s0, v3
	s_sub_co_i32 s0, s3, s0
	s_min_u32 s0, s0, 8
	s_delay_alu instid0(VALU_DEP_1) | instid1(SALU_CYCLE_1)
	v_bfe_u32 v3, v3, 0, s0
	s_delay_alu instid0(VALU_DEP_1)
	v_lshl_or_b32 v2, v3, 4, v2
	v_mov_b32_e32 v3, 1
	ds_add_u32 v2, v3 offset:12288
.LBB1293_237:
	s_or_b32 exec_lo, exec_lo, s1
	s_cmp_gt_u32 s3, s2
	s_wait_dscnt 0x0
	s_barrier_signal -1
	s_barrier_wait -1
	s_cbranch_scc0 .LBB1293_242
; %bb.238:
	v_mad_u32_u24 v1, v0, 12, v1
	v_dual_mov_b32 v3, 0 :: v_dual_mov_b32 v4, v0
	s_mov_b32 s0, s2
	v_cmp_gt_u32_e32 vcc_lo, 0x100, v0
	s_branch .LBB1293_240
.LBB1293_239:                           ;   in Loop: Header=BB1293_240 Depth=1
	s_wait_xcnt 0x0
	s_or_b32 exec_lo, exec_lo, s1
	v_add_nc_u32_e32 v4, 0x100, v4
	v_add_nc_u32_e32 v1, 0x1000, v1
	s_add_co_i32 s0, s0, 8
	s_delay_alu instid0(SALU_CYCLE_1)
	s_cmp_lt_u32 s0, s3
	s_cbranch_scc0 .LBB1293_242
.LBB1293_240:                           ; =>This Inner Loop Header: Depth=1
	s_and_saveexec_b32 s1, vcc_lo
	s_cbranch_execz .LBB1293_239
; %bb.241:                              ;   in Loop: Header=BB1293_240 Depth=1
	ds_load_2addr_b32 v[6:7], v1 offset1:1
	ds_load_2addr_b32 v[8:9], v1 offset0:2 offset1:3
	s_wait_dscnt 0x1
	v_add_nc_u32_e32 v2, v7, v6
	s_wait_dscnt 0x0
	s_delay_alu instid0(VALU_DEP_1)
	v_add3_u32 v2, v2, v8, v9
	global_atomic_add_u64 v4, v[2:3], s[6:7] scale_offset scope:SCOPE_DEV
	s_branch .LBB1293_239
.LBB1293_242:
	s_mov_b32 s9, 0
.LBB1293_243:
	s_delay_alu instid0(SALU_CYCLE_1)
	s_and_b32 vcc_lo, exec_lo, s9
	s_cbranch_vccz .LBB1293_343
; %bb.244:
	s_clause 0xb
	global_load_b32 v10, v0, s[4:5] scale_offset
	global_load_b32 v11, v0, s[4:5] offset:2048 scale_offset
	global_load_b32 v12, v0, s[4:5] offset:4096 scale_offset
	;; [unrolled: 1-line block ×11, first 2 shown]
	s_cmp_eq_u32 s2, 0
	v_dual_mov_b32 v2, 0 :: v_dual_lshlrev_b32 v15, 2, v0
	s_cselect_b32 s0, -1, 0
	s_cmp_eq_u32 s3, 32
	s_wait_xcnt 0x0
	v_cmp_gt_u32_e64 s4, 7, 3
	s_cselect_b32 s1, -1, 0
	s_delay_alu instid0(SALU_CYCLE_1)
	s_and_b32 s0, s0, s1
	s_mov_b32 s1, -1
	s_and_b32 vcc_lo, exec_lo, s0
	v_cmp_gt_u32_e64 s0, 7, 4
	s_cbranch_vccnz .LBB1293_332
; %bb.245:
	ds_store_2addr_stride64_b32 v15, v2, v2 offset1:8
	ds_store_2addr_stride64_b32 v15, v2, v2 offset0:16 offset1:24
	s_and_saveexec_b32 s1, s4
; %bb.246:
	v_mov_b32_e32 v2, 0
	ds_store_b32 v15, v2 offset:8192
; %bb.247:
	s_or_b32 exec_lo, exec_lo, s1
	s_and_saveexec_b32 s1, s0
; %bb.248:
	v_mov_b32_e32 v2, 0
	ds_store_b32 v15, v2 offset:10240
; %bb.249:
	s_or_b32 exec_lo, exec_lo, s1
	v_cmp_gt_u32_e64 s0, 7, 6
	s_mov_b32 s1, exec_lo
	v_cmpx_gt_u32_e64 7, 5
; %bb.250:
	v_mov_b32_e32 v2, 0
	ds_store_b32 v15, v2 offset:12288
; %bb.251:
	s_or_b32 exec_lo, exec_lo, s1
	s_and_saveexec_b32 s1, s0
; %bb.252:
	v_mov_b32_e32 v2, 0
	ds_store_b32 v15, v2 offset:14336
; %bb.253:
	s_or_b32 exec_lo, exec_lo, s1
	s_cmp_gt_u32 s3, s2
	s_wait_storecnt 0x0
	s_wait_loadcnt_dscnt 0x0
	s_cselect_b32 s1, -1, 0
	s_barrier_signal -1
	s_and_b32 vcc_lo, exec_lo, s1
	s_barrier_wait -1
	s_cbranch_vccz .LBB1293_326
; %bb.254:
	v_cmp_gt_i32_e32 vcc_lo, 0, v10
	s_sub_co_i32 s0, s3, s2
	s_add_co_i32 s5, s2, 8
	s_min_u32 s0, s0, 8
	s_mov_b32 s9, 0
	v_cndmask_b32_e64 v2, 0x7fffffff, 0, vcc_lo
	s_lshl_b32 s0, -1, s0
	s_mov_b32 s10, -1
	s_not_b32 s4, s0
	s_cmp_le_u32 s3, s5
	v_xor_b32_e32 v2, v2, v10
	s_cselect_b32 s8, -1, 0
	v_mov_b32_e32 v18, 1
	s_delay_alu instid0(VALU_DEP_2) | instskip(SKIP_3) | instid1(VALU_DEP_2)
	v_cmp_ne_u32_e32 vcc_lo, 0x80000000, v2
	v_cndmask_b32_e32 v16, 0x7fffffff, v2, vcc_lo
	v_and_b32_e32 v2, 3, v0
	v_cmp_gt_i32_e32 vcc_lo, 0, v11
	v_dual_lshlrev_b32 v3, 2, v2 :: v_dual_lshrrev_b32 v17, s2, v16
	s_delay_alu instid0(VALU_DEP_1) | instskip(NEXT) | instid1(VALU_DEP_1)
	v_bitop3_b32 v17, v17, s0, v17 bitop3:0x30
	v_lshl_or_b32 v17, v17, 4, v3
	ds_add_u32 v17, v18
	v_cndmask_b32_e64 v17, 0x7fffffff, 0, vcc_lo
	s_and_b32 vcc_lo, exec_lo, s8
                                        ; implicit-def: $vgpr18
	s_delay_alu instid0(VALU_DEP_1) | instskip(NEXT) | instid1(VALU_DEP_1)
	v_xor_b32_e32 v17, v17, v11
	v_cmp_ne_u32_e64 s0, 0x80000000, v17
	s_cbranch_vccz .LBB1293_256
; %bb.255:
	v_cndmask_b32_e64 v18, 0x7fffffff, v17, s0
	s_mov_b32 s10, 0
	s_mov_b32 s9, -1
	s_delay_alu instid0(VALU_DEP_1) | instskip(NEXT) | instid1(VALU_DEP_1)
	v_lshrrev_b32_e32 v18, s2, v18
	v_and_b32_e32 v18, s4, v18
	s_delay_alu instid0(VALU_DEP_1)
	v_lshlrev_b32_e32 v18, 4, v18
.LBB1293_256:
	s_and_not1_b32 vcc_lo, exec_lo, s10
	s_cbranch_vccnz .LBB1293_264
; %bb.257:
	s_sub_co_i32 s0, s3, s5
	v_lshrrev_b32_e32 v18, s5, v16
	s_min_u32 s0, s0, 8
	s_delay_alu instid0(SALU_CYCLE_1) | instskip(SKIP_1) | instid1(VALU_DEP_1)
	s_lshl_b32 s10, -1, s0
	s_add_co_i32 s0, s2, 16
	v_bitop3_b32 v18, v18, s10, v18 bitop3:0x30
	s_not_b32 s11, s10
	s_cmp_gt_u32 s3, s0
	s_cselect_b32 s10, -1, 0
	s_delay_alu instid0(VALU_DEP_1)
	v_lshl_or_b32 v19, v18, 4, v3
	v_mov_b32_e32 v18, 1
	s_cmp_le_u32 s3, s0
	ds_add_u32 v19, v18 offset:4096
	s_cbranch_scc1 .LBB1293_260
; %bb.258:
	v_lshrrev_b32_e32 v19, s0, v16
	s_sub_co_i32 s12, s3, s0
	s_delay_alu instid0(SALU_CYCLE_1)
	s_min_u32 s12, s12, 8
	s_delay_alu instid0(VALU_DEP_1) | instid1(SALU_CYCLE_1)
	v_bfe_u32 v19, v19, 0, s12
	s_add_co_i32 s12, s2, 24
	s_delay_alu instid0(SALU_CYCLE_1) | instskip(NEXT) | instid1(VALU_DEP_1)
	s_cmp_le_u32 s3, s12
	v_lshl_or_b32 v19, v19, 4, v3
	ds_add_u32 v19, v18 offset:8192
	s_cbranch_scc1 .LBB1293_260
; %bb.259:
	v_dual_mov_b32 v19, 1 :: v_dual_lshrrev_b32 v16, s12, v16
	s_sub_co_i32 s12, s3, s12
	s_delay_alu instid0(SALU_CYCLE_1)
	s_min_u32 s12, s12, 8
	s_delay_alu instid0(VALU_DEP_1) | instid1(SALU_CYCLE_1)
	v_bfe_u32 v16, v16, 0, s12
	s_delay_alu instid0(VALU_DEP_1)
	v_lshl_or_b32 v16, v16, 4, v3
	ds_add_u32 v16, v19 offset:12288
.LBB1293_260:
	v_cmp_ne_u32_e32 vcc_lo, 0x80000000, v17
	v_cndmask_b32_e32 v16, 0x7fffffff, v17, vcc_lo
	s_and_not1_b32 vcc_lo, exec_lo, s10
	s_delay_alu instid0(VALU_DEP_1) | instskip(NEXT) | instid1(VALU_DEP_1)
	v_dual_lshrrev_b32 v17, s2, v16 :: v_dual_lshrrev_b32 v19, s5, v16
	v_and_b32_e32 v17, s4, v17
	s_delay_alu instid0(VALU_DEP_2) | instskip(NEXT) | instid1(VALU_DEP_2)
	v_and_b32_e32 v19, s11, v19
	v_lshl_or_b32 v17, v17, 4, v3
	s_delay_alu instid0(VALU_DEP_2)
	v_lshl_or_b32 v19, v19, 4, v3
	ds_add_u32 v17, v18
	ds_add_u32 v19, v18 offset:4096
	s_cbranch_vccnz .LBB1293_263
; %bb.261:
	v_dual_mov_b32 v18, 1 :: v_dual_lshrrev_b32 v17, s0, v16
	s_sub_co_i32 s0, s3, s0
	s_delay_alu instid0(SALU_CYCLE_1)
	s_min_u32 s0, s0, 8
	s_delay_alu instid0(VALU_DEP_1) | instid1(SALU_CYCLE_1)
	v_bfe_u32 v17, v17, 0, s0
	s_add_co_i32 s0, s2, 24
	s_delay_alu instid0(SALU_CYCLE_1) | instskip(NEXT) | instid1(VALU_DEP_1)
	s_cmp_gt_u32 s3, s0
	v_lshl_or_b32 v17, v17, 4, v3
	ds_add_u32 v17, v18 offset:8192
                                        ; implicit-def: $vgpr18
	s_cbranch_scc0 .LBB1293_264
; %bb.262:
	v_lshrrev_b32_e32 v16, s0, v16
	s_sub_co_i32 s0, s3, s0
	s_mov_b32 s9, -1
	s_min_u32 s0, s0, 8
	s_delay_alu instid0(VALU_DEP_1) | instid1(SALU_CYCLE_1)
	v_bfe_u32 v16, v16, 0, s0
	s_delay_alu instid0(VALU_DEP_1)
	v_lshl_add_u32 v18, v16, 4, 0x3000
	s_branch .LBB1293_264
.LBB1293_263:
                                        ; implicit-def: $vgpr18
.LBB1293_264:
	s_and_b32 vcc_lo, exec_lo, s9
	s_cbranch_vccz .LBB1293_266
; %bb.265:
	s_delay_alu instid0(VALU_DEP_1)
	v_lshl_add_u32 v16, v2, 2, v18
	v_mov_b32_e32 v17, 1
	ds_add_u32 v16, v17
.LBB1293_266:
	v_cmp_gt_i32_e32 vcc_lo, 0, v12
	s_mov_b32 s9, 0
	v_mov_b32_e32 v18, 1
	v_cndmask_b32_e64 v16, 0x7fffffff, 0, vcc_lo
	s_delay_alu instid0(VALU_DEP_1) | instskip(NEXT) | instid1(VALU_DEP_1)
	v_xor_b32_e32 v16, v16, v12
	v_cmp_ne_u32_e32 vcc_lo, 0x80000000, v16
	v_cndmask_b32_e32 v17, 0x7fffffff, v16, vcc_lo
	v_cmp_gt_i32_e32 vcc_lo, 0, v13
	s_delay_alu instid0(VALU_DEP_2) | instskip(NEXT) | instid1(VALU_DEP_1)
	v_lshrrev_b32_e32 v16, s2, v17
	v_and_b32_e32 v16, s4, v16
	s_delay_alu instid0(VALU_DEP_1) | instskip(SKIP_3) | instid1(VALU_DEP_1)
	v_lshl_or_b32 v16, v16, 4, v3
	ds_add_u32 v16, v18
	v_cndmask_b32_e64 v16, 0x7fffffff, 0, vcc_lo
	s_and_b32 vcc_lo, exec_lo, s8
	v_xor_b32_e32 v16, v16, v13
	s_delay_alu instid0(VALU_DEP_1)
	v_cmp_ne_u32_e64 s0, 0x80000000, v16
	s_cbranch_vccz .LBB1293_268
; %bb.267:
	v_cndmask_b32_e64 v18, 0x7fffffff, v16, s0
	s_mov_b32 s9, -1
	s_delay_alu instid0(VALU_DEP_1) | instskip(NEXT) | instid1(VALU_DEP_1)
	v_lshrrev_b32_e32 v18, s2, v18
	v_and_b32_e32 v18, s4, v18
	s_delay_alu instid0(VALU_DEP_1)
	v_lshlrev_b32_e32 v18, 4, v18
	s_cbranch_execz .LBB1293_269
	s_branch .LBB1293_276
.LBB1293_268:
                                        ; implicit-def: $vgpr18
.LBB1293_269:
	s_sub_co_i32 s0, s3, s5
	v_lshrrev_b32_e32 v18, s5, v17
	s_min_u32 s0, s0, 8
	s_delay_alu instid0(SALU_CYCLE_1) | instskip(SKIP_1) | instid1(VALU_DEP_1)
	s_lshl_b32 s10, -1, s0
	s_add_co_i32 s0, s2, 16
	v_bitop3_b32 v18, v18, s10, v18 bitop3:0x30
	s_not_b32 s11, s10
	s_cmp_gt_u32 s3, s0
	s_cselect_b32 s10, -1, 0
	s_delay_alu instid0(VALU_DEP_1)
	v_lshl_or_b32 v19, v18, 4, v3
	v_mov_b32_e32 v18, 1
	s_cmp_le_u32 s3, s0
	ds_add_u32 v19, v18 offset:4096
	s_cbranch_scc1 .LBB1293_272
; %bb.270:
	v_lshrrev_b32_e32 v19, s0, v17
	s_sub_co_i32 s12, s3, s0
	s_delay_alu instid0(SALU_CYCLE_1)
	s_min_u32 s12, s12, 8
	s_delay_alu instid0(VALU_DEP_1) | instid1(SALU_CYCLE_1)
	v_bfe_u32 v19, v19, 0, s12
	s_add_co_i32 s12, s2, 24
	s_delay_alu instid0(SALU_CYCLE_1) | instskip(NEXT) | instid1(VALU_DEP_1)
	s_cmp_le_u32 s3, s12
	v_lshl_or_b32 v19, v19, 4, v3
	ds_add_u32 v19, v18 offset:8192
	s_cbranch_scc1 .LBB1293_272
; %bb.271:
	v_dual_lshrrev_b32 v17, s12, v17 :: v_dual_mov_b32 v19, 1
	s_sub_co_i32 s12, s3, s12
	s_delay_alu instid0(SALU_CYCLE_1)
	s_min_u32 s12, s12, 8
	s_delay_alu instid0(VALU_DEP_1) | instid1(SALU_CYCLE_1)
	v_bfe_u32 v17, v17, 0, s12
	s_delay_alu instid0(VALU_DEP_1)
	v_lshl_or_b32 v17, v17, 4, v3
	ds_add_u32 v17, v19 offset:12288
.LBB1293_272:
	v_cmp_ne_u32_e32 vcc_lo, 0x80000000, v16
	v_cndmask_b32_e32 v16, 0x7fffffff, v16, vcc_lo
	s_and_not1_b32 vcc_lo, exec_lo, s10
	s_delay_alu instid0(VALU_DEP_1) | instskip(NEXT) | instid1(VALU_DEP_1)
	v_dual_lshrrev_b32 v17, s2, v16 :: v_dual_lshrrev_b32 v19, s5, v16
	v_and_b32_e32 v17, s4, v17
	s_delay_alu instid0(VALU_DEP_2) | instskip(NEXT) | instid1(VALU_DEP_2)
	v_and_b32_e32 v19, s11, v19
	v_lshl_or_b32 v17, v17, 4, v3
	s_delay_alu instid0(VALU_DEP_2)
	v_lshl_or_b32 v19, v19, 4, v3
	ds_add_u32 v17, v18
	ds_add_u32 v19, v18 offset:4096
	s_cbranch_vccnz .LBB1293_275
; %bb.273:
	v_dual_mov_b32 v18, 1 :: v_dual_lshrrev_b32 v17, s0, v16
	s_sub_co_i32 s0, s3, s0
	s_delay_alu instid0(SALU_CYCLE_1)
	s_min_u32 s0, s0, 8
	s_delay_alu instid0(VALU_DEP_1) | instid1(SALU_CYCLE_1)
	v_bfe_u32 v17, v17, 0, s0
	s_add_co_i32 s0, s2, 24
	s_delay_alu instid0(SALU_CYCLE_1) | instskip(NEXT) | instid1(VALU_DEP_1)
	s_cmp_gt_u32 s3, s0
	v_lshl_or_b32 v17, v17, 4, v3
	ds_add_u32 v17, v18 offset:8192
                                        ; implicit-def: $vgpr18
	s_cbranch_scc0 .LBB1293_276
; %bb.274:
	v_lshrrev_b32_e32 v16, s0, v16
	s_sub_co_i32 s0, s3, s0
	s_mov_b32 s9, -1
	s_min_u32 s0, s0, 8
	s_delay_alu instid0(VALU_DEP_1) | instid1(SALU_CYCLE_1)
	v_bfe_u32 v16, v16, 0, s0
	s_delay_alu instid0(VALU_DEP_1)
	v_lshl_add_u32 v18, v16, 4, 0x3000
	s_branch .LBB1293_276
.LBB1293_275:
                                        ; implicit-def: $vgpr18
.LBB1293_276:
	s_and_b32 vcc_lo, exec_lo, s9
	s_cbranch_vccz .LBB1293_278
; %bb.277:
	s_delay_alu instid0(VALU_DEP_1)
	v_lshl_add_u32 v16, v2, 2, v18
	v_mov_b32_e32 v17, 1
	ds_add_u32 v16, v17
.LBB1293_278:
	v_cmp_gt_i32_e32 vcc_lo, 0, v14
	s_mov_b32 s9, 0
	v_mov_b32_e32 v18, 1
	v_cndmask_b32_e64 v16, 0x7fffffff, 0, vcc_lo
	s_delay_alu instid0(VALU_DEP_1) | instskip(NEXT) | instid1(VALU_DEP_1)
	v_xor_b32_e32 v16, v16, v14
	v_cmp_ne_u32_e32 vcc_lo, 0x80000000, v16
	v_cndmask_b32_e32 v17, 0x7fffffff, v16, vcc_lo
	v_cmp_gt_i32_e32 vcc_lo, 0, v5
	s_delay_alu instid0(VALU_DEP_2) | instskip(NEXT) | instid1(VALU_DEP_1)
	v_lshrrev_b32_e32 v16, s2, v17
	v_and_b32_e32 v16, s4, v16
	s_delay_alu instid0(VALU_DEP_1) | instskip(SKIP_3) | instid1(VALU_DEP_1)
	v_lshl_or_b32 v16, v16, 4, v3
	ds_add_u32 v16, v18
	v_cndmask_b32_e64 v16, 0x7fffffff, 0, vcc_lo
	s_and_b32 vcc_lo, exec_lo, s8
	v_xor_b32_e32 v16, v16, v5
	s_delay_alu instid0(VALU_DEP_1)
	v_cmp_ne_u32_e64 s0, 0x80000000, v16
	s_cbranch_vccz .LBB1293_280
; %bb.279:
	v_cndmask_b32_e64 v18, 0x7fffffff, v16, s0
	s_mov_b32 s9, -1
	s_delay_alu instid0(VALU_DEP_1) | instskip(NEXT) | instid1(VALU_DEP_1)
	v_lshrrev_b32_e32 v18, s2, v18
	v_and_b32_e32 v18, s4, v18
	s_delay_alu instid0(VALU_DEP_1)
	v_lshlrev_b32_e32 v18, 4, v18
	s_cbranch_execz .LBB1293_281
	s_branch .LBB1293_288
.LBB1293_280:
                                        ; implicit-def: $vgpr18
.LBB1293_281:
	s_sub_co_i32 s0, s3, s5
	v_lshrrev_b32_e32 v18, s5, v17
	s_min_u32 s0, s0, 8
	s_delay_alu instid0(SALU_CYCLE_1) | instskip(SKIP_1) | instid1(VALU_DEP_1)
	s_lshl_b32 s10, -1, s0
	s_add_co_i32 s0, s2, 16
	v_bitop3_b32 v18, v18, s10, v18 bitop3:0x30
	s_not_b32 s11, s10
	s_cmp_gt_u32 s3, s0
	s_cselect_b32 s10, -1, 0
	s_delay_alu instid0(VALU_DEP_1)
	v_lshl_or_b32 v19, v18, 4, v3
	v_mov_b32_e32 v18, 1
	s_cmp_le_u32 s3, s0
	ds_add_u32 v19, v18 offset:4096
	s_cbranch_scc1 .LBB1293_284
; %bb.282:
	v_lshrrev_b32_e32 v19, s0, v17
	s_sub_co_i32 s12, s3, s0
	s_delay_alu instid0(SALU_CYCLE_1)
	s_min_u32 s12, s12, 8
	s_delay_alu instid0(VALU_DEP_1) | instid1(SALU_CYCLE_1)
	v_bfe_u32 v19, v19, 0, s12
	s_add_co_i32 s12, s2, 24
	s_delay_alu instid0(SALU_CYCLE_1) | instskip(NEXT) | instid1(VALU_DEP_1)
	s_cmp_le_u32 s3, s12
	v_lshl_or_b32 v19, v19, 4, v3
	ds_add_u32 v19, v18 offset:8192
	s_cbranch_scc1 .LBB1293_284
; %bb.283:
	v_dual_lshrrev_b32 v17, s12, v17 :: v_dual_mov_b32 v19, 1
	s_sub_co_i32 s12, s3, s12
	s_delay_alu instid0(SALU_CYCLE_1)
	s_min_u32 s12, s12, 8
	s_delay_alu instid0(VALU_DEP_1) | instid1(SALU_CYCLE_1)
	v_bfe_u32 v17, v17, 0, s12
	s_delay_alu instid0(VALU_DEP_1)
	v_lshl_or_b32 v17, v17, 4, v3
	ds_add_u32 v17, v19 offset:12288
.LBB1293_284:
	v_cmp_ne_u32_e32 vcc_lo, 0x80000000, v16
	v_cndmask_b32_e32 v16, 0x7fffffff, v16, vcc_lo
	s_and_not1_b32 vcc_lo, exec_lo, s10
	s_delay_alu instid0(VALU_DEP_1) | instskip(NEXT) | instid1(VALU_DEP_1)
	v_dual_lshrrev_b32 v17, s2, v16 :: v_dual_lshrrev_b32 v19, s5, v16
	v_and_b32_e32 v17, s4, v17
	s_delay_alu instid0(VALU_DEP_2) | instskip(NEXT) | instid1(VALU_DEP_2)
	v_and_b32_e32 v19, s11, v19
	v_lshl_or_b32 v17, v17, 4, v3
	s_delay_alu instid0(VALU_DEP_2)
	v_lshl_or_b32 v19, v19, 4, v3
	ds_add_u32 v17, v18
	ds_add_u32 v19, v18 offset:4096
	s_cbranch_vccnz .LBB1293_287
; %bb.285:
	v_dual_mov_b32 v18, 1 :: v_dual_lshrrev_b32 v17, s0, v16
	s_sub_co_i32 s0, s3, s0
	s_delay_alu instid0(SALU_CYCLE_1)
	s_min_u32 s0, s0, 8
	s_delay_alu instid0(VALU_DEP_1) | instid1(SALU_CYCLE_1)
	v_bfe_u32 v17, v17, 0, s0
	s_add_co_i32 s0, s2, 24
	s_delay_alu instid0(SALU_CYCLE_1) | instskip(NEXT) | instid1(VALU_DEP_1)
	s_cmp_gt_u32 s3, s0
	v_lshl_or_b32 v17, v17, 4, v3
	ds_add_u32 v17, v18 offset:8192
                                        ; implicit-def: $vgpr18
	s_cbranch_scc0 .LBB1293_288
; %bb.286:
	v_lshrrev_b32_e32 v16, s0, v16
	s_sub_co_i32 s0, s3, s0
	s_mov_b32 s9, -1
	s_min_u32 s0, s0, 8
	s_delay_alu instid0(VALU_DEP_1) | instid1(SALU_CYCLE_1)
	v_bfe_u32 v16, v16, 0, s0
	s_delay_alu instid0(VALU_DEP_1)
	v_lshl_add_u32 v18, v16, 4, 0x3000
	s_branch .LBB1293_288
.LBB1293_287:
                                        ; implicit-def: $vgpr18
.LBB1293_288:
	s_and_b32 vcc_lo, exec_lo, s9
	s_cbranch_vccz .LBB1293_290
; %bb.289:
	s_delay_alu instid0(VALU_DEP_1)
	v_lshl_add_u32 v16, v2, 2, v18
	v_mov_b32_e32 v17, 1
	ds_add_u32 v16, v17
.LBB1293_290:
	v_cmp_gt_i32_e32 vcc_lo, 0, v6
	s_mov_b32 s9, 0
	v_mov_b32_e32 v18, 1
	v_cndmask_b32_e64 v16, 0x7fffffff, 0, vcc_lo
	s_delay_alu instid0(VALU_DEP_1) | instskip(NEXT) | instid1(VALU_DEP_1)
	v_xor_b32_e32 v16, v16, v6
	v_cmp_ne_u32_e32 vcc_lo, 0x80000000, v16
	v_cndmask_b32_e32 v17, 0x7fffffff, v16, vcc_lo
	v_cmp_gt_i32_e32 vcc_lo, 0, v7
	s_delay_alu instid0(VALU_DEP_2) | instskip(NEXT) | instid1(VALU_DEP_1)
	v_lshrrev_b32_e32 v16, s2, v17
	v_and_b32_e32 v16, s4, v16
	s_delay_alu instid0(VALU_DEP_1) | instskip(SKIP_3) | instid1(VALU_DEP_1)
	v_lshl_or_b32 v16, v16, 4, v3
	ds_add_u32 v16, v18
	v_cndmask_b32_e64 v16, 0x7fffffff, 0, vcc_lo
	s_and_b32 vcc_lo, exec_lo, s8
	v_xor_b32_e32 v16, v16, v7
	s_delay_alu instid0(VALU_DEP_1)
	v_cmp_ne_u32_e64 s0, 0x80000000, v16
	s_cbranch_vccz .LBB1293_292
; %bb.291:
	v_cndmask_b32_e64 v18, 0x7fffffff, v16, s0
	s_mov_b32 s9, -1
	s_delay_alu instid0(VALU_DEP_1) | instskip(NEXT) | instid1(VALU_DEP_1)
	v_lshrrev_b32_e32 v18, s2, v18
	v_and_b32_e32 v18, s4, v18
	s_delay_alu instid0(VALU_DEP_1)
	v_lshlrev_b32_e32 v18, 4, v18
	s_cbranch_execz .LBB1293_293
	s_branch .LBB1293_300
.LBB1293_292:
                                        ; implicit-def: $vgpr18
.LBB1293_293:
	s_sub_co_i32 s0, s3, s5
	v_lshrrev_b32_e32 v18, s5, v17
	s_min_u32 s0, s0, 8
	s_delay_alu instid0(SALU_CYCLE_1) | instskip(SKIP_1) | instid1(VALU_DEP_1)
	s_lshl_b32 s10, -1, s0
	s_add_co_i32 s0, s2, 16
	v_bitop3_b32 v18, v18, s10, v18 bitop3:0x30
	s_not_b32 s11, s10
	s_cmp_gt_u32 s3, s0
	s_cselect_b32 s10, -1, 0
	s_delay_alu instid0(VALU_DEP_1)
	v_lshl_or_b32 v19, v18, 4, v3
	v_mov_b32_e32 v18, 1
	s_cmp_le_u32 s3, s0
	ds_add_u32 v19, v18 offset:4096
	s_cbranch_scc1 .LBB1293_296
; %bb.294:
	v_lshrrev_b32_e32 v19, s0, v17
	s_sub_co_i32 s12, s3, s0
	s_delay_alu instid0(SALU_CYCLE_1)
	s_min_u32 s12, s12, 8
	s_delay_alu instid0(VALU_DEP_1) | instid1(SALU_CYCLE_1)
	v_bfe_u32 v19, v19, 0, s12
	s_add_co_i32 s12, s2, 24
	s_delay_alu instid0(SALU_CYCLE_1) | instskip(NEXT) | instid1(VALU_DEP_1)
	s_cmp_le_u32 s3, s12
	v_lshl_or_b32 v19, v19, 4, v3
	ds_add_u32 v19, v18 offset:8192
	s_cbranch_scc1 .LBB1293_296
; %bb.295:
	v_dual_lshrrev_b32 v17, s12, v17 :: v_dual_mov_b32 v19, 1
	s_sub_co_i32 s12, s3, s12
	s_delay_alu instid0(SALU_CYCLE_1)
	s_min_u32 s12, s12, 8
	s_delay_alu instid0(VALU_DEP_1) | instid1(SALU_CYCLE_1)
	v_bfe_u32 v17, v17, 0, s12
	s_delay_alu instid0(VALU_DEP_1)
	v_lshl_or_b32 v17, v17, 4, v3
	ds_add_u32 v17, v19 offset:12288
.LBB1293_296:
	v_cmp_ne_u32_e32 vcc_lo, 0x80000000, v16
	v_cndmask_b32_e32 v16, 0x7fffffff, v16, vcc_lo
	s_and_not1_b32 vcc_lo, exec_lo, s10
	s_delay_alu instid0(VALU_DEP_1) | instskip(NEXT) | instid1(VALU_DEP_1)
	v_dual_lshrrev_b32 v17, s2, v16 :: v_dual_lshrrev_b32 v19, s5, v16
	v_and_b32_e32 v17, s4, v17
	s_delay_alu instid0(VALU_DEP_2) | instskip(NEXT) | instid1(VALU_DEP_2)
	v_and_b32_e32 v19, s11, v19
	v_lshl_or_b32 v17, v17, 4, v3
	s_delay_alu instid0(VALU_DEP_2)
	v_lshl_or_b32 v19, v19, 4, v3
	ds_add_u32 v17, v18
	ds_add_u32 v19, v18 offset:4096
	s_cbranch_vccnz .LBB1293_299
; %bb.297:
	v_dual_mov_b32 v18, 1 :: v_dual_lshrrev_b32 v17, s0, v16
	s_sub_co_i32 s0, s3, s0
	s_delay_alu instid0(SALU_CYCLE_1)
	s_min_u32 s0, s0, 8
	s_delay_alu instid0(VALU_DEP_1) | instid1(SALU_CYCLE_1)
	v_bfe_u32 v17, v17, 0, s0
	s_add_co_i32 s0, s2, 24
	s_delay_alu instid0(SALU_CYCLE_1) | instskip(NEXT) | instid1(VALU_DEP_1)
	s_cmp_gt_u32 s3, s0
	v_lshl_or_b32 v17, v17, 4, v3
	ds_add_u32 v17, v18 offset:8192
                                        ; implicit-def: $vgpr18
	s_cbranch_scc0 .LBB1293_300
; %bb.298:
	v_lshrrev_b32_e32 v16, s0, v16
	s_sub_co_i32 s0, s3, s0
	s_mov_b32 s9, -1
	s_min_u32 s0, s0, 8
	s_delay_alu instid0(VALU_DEP_1) | instid1(SALU_CYCLE_1)
	v_bfe_u32 v16, v16, 0, s0
	s_delay_alu instid0(VALU_DEP_1)
	v_lshl_add_u32 v18, v16, 4, 0x3000
	s_branch .LBB1293_300
.LBB1293_299:
                                        ; implicit-def: $vgpr18
.LBB1293_300:
	s_and_b32 vcc_lo, exec_lo, s9
	s_cbranch_vccz .LBB1293_302
; %bb.301:
	s_delay_alu instid0(VALU_DEP_1)
	v_lshl_add_u32 v16, v2, 2, v18
	v_mov_b32_e32 v17, 1
	ds_add_u32 v16, v17
.LBB1293_302:
	v_cmp_gt_i32_e32 vcc_lo, 0, v8
	s_mov_b32 s9, 0
	v_mov_b32_e32 v18, 1
	v_cndmask_b32_e64 v16, 0x7fffffff, 0, vcc_lo
	s_delay_alu instid0(VALU_DEP_1) | instskip(NEXT) | instid1(VALU_DEP_1)
	v_xor_b32_e32 v16, v16, v8
	v_cmp_ne_u32_e32 vcc_lo, 0x80000000, v16
	v_cndmask_b32_e32 v17, 0x7fffffff, v16, vcc_lo
	v_cmp_gt_i32_e32 vcc_lo, 0, v9
	s_delay_alu instid0(VALU_DEP_2) | instskip(NEXT) | instid1(VALU_DEP_1)
	v_lshrrev_b32_e32 v16, s2, v17
	v_and_b32_e32 v16, s4, v16
	s_delay_alu instid0(VALU_DEP_1) | instskip(SKIP_3) | instid1(VALU_DEP_1)
	v_lshl_or_b32 v16, v16, 4, v3
	ds_add_u32 v16, v18
	v_cndmask_b32_e64 v16, 0x7fffffff, 0, vcc_lo
	s_and_b32 vcc_lo, exec_lo, s8
	v_xor_b32_e32 v16, v16, v9
	s_delay_alu instid0(VALU_DEP_1)
	v_cmp_ne_u32_e64 s0, 0x80000000, v16
	s_cbranch_vccz .LBB1293_304
; %bb.303:
	v_cndmask_b32_e64 v18, 0x7fffffff, v16, s0
	s_mov_b32 s9, -1
	s_delay_alu instid0(VALU_DEP_1) | instskip(NEXT) | instid1(VALU_DEP_1)
	v_lshrrev_b32_e32 v18, s2, v18
	v_and_b32_e32 v18, s4, v18
	s_delay_alu instid0(VALU_DEP_1)
	v_lshlrev_b32_e32 v18, 4, v18
	s_cbranch_execz .LBB1293_305
	s_branch .LBB1293_312
.LBB1293_304:
                                        ; implicit-def: $vgpr18
.LBB1293_305:
	s_sub_co_i32 s0, s3, s5
	v_lshrrev_b32_e32 v18, s5, v17
	s_min_u32 s0, s0, 8
	s_delay_alu instid0(SALU_CYCLE_1) | instskip(SKIP_1) | instid1(VALU_DEP_1)
	s_lshl_b32 s10, -1, s0
	s_add_co_i32 s0, s2, 16
	v_bitop3_b32 v18, v18, s10, v18 bitop3:0x30
	s_not_b32 s11, s10
	s_cmp_gt_u32 s3, s0
	s_cselect_b32 s10, -1, 0
	s_delay_alu instid0(VALU_DEP_1)
	v_lshl_or_b32 v19, v18, 4, v3
	v_mov_b32_e32 v18, 1
	s_cmp_le_u32 s3, s0
	ds_add_u32 v19, v18 offset:4096
	s_cbranch_scc1 .LBB1293_308
; %bb.306:
	v_lshrrev_b32_e32 v19, s0, v17
	s_sub_co_i32 s12, s3, s0
	s_delay_alu instid0(SALU_CYCLE_1)
	s_min_u32 s12, s12, 8
	s_delay_alu instid0(VALU_DEP_1) | instid1(SALU_CYCLE_1)
	v_bfe_u32 v19, v19, 0, s12
	s_add_co_i32 s12, s2, 24
	s_delay_alu instid0(SALU_CYCLE_1) | instskip(NEXT) | instid1(VALU_DEP_1)
	s_cmp_le_u32 s3, s12
	v_lshl_or_b32 v19, v19, 4, v3
	ds_add_u32 v19, v18 offset:8192
	s_cbranch_scc1 .LBB1293_308
; %bb.307:
	v_dual_lshrrev_b32 v17, s12, v17 :: v_dual_mov_b32 v19, 1
	s_sub_co_i32 s12, s3, s12
	s_delay_alu instid0(SALU_CYCLE_1)
	s_min_u32 s12, s12, 8
	s_delay_alu instid0(VALU_DEP_1) | instid1(SALU_CYCLE_1)
	v_bfe_u32 v17, v17, 0, s12
	s_delay_alu instid0(VALU_DEP_1)
	v_lshl_or_b32 v17, v17, 4, v3
	ds_add_u32 v17, v19 offset:12288
.LBB1293_308:
	v_cmp_ne_u32_e32 vcc_lo, 0x80000000, v16
	v_cndmask_b32_e32 v16, 0x7fffffff, v16, vcc_lo
	s_and_not1_b32 vcc_lo, exec_lo, s10
	s_delay_alu instid0(VALU_DEP_1) | instskip(NEXT) | instid1(VALU_DEP_1)
	v_dual_lshrrev_b32 v17, s2, v16 :: v_dual_lshrrev_b32 v19, s5, v16
	v_and_b32_e32 v17, s4, v17
	s_delay_alu instid0(VALU_DEP_2) | instskip(NEXT) | instid1(VALU_DEP_2)
	v_and_b32_e32 v19, s11, v19
	v_lshl_or_b32 v17, v17, 4, v3
	s_delay_alu instid0(VALU_DEP_2)
	v_lshl_or_b32 v19, v19, 4, v3
	ds_add_u32 v17, v18
	ds_add_u32 v19, v18 offset:4096
	s_cbranch_vccnz .LBB1293_311
; %bb.309:
	v_dual_mov_b32 v18, 1 :: v_dual_lshrrev_b32 v17, s0, v16
	s_sub_co_i32 s0, s3, s0
	s_delay_alu instid0(SALU_CYCLE_1)
	s_min_u32 s0, s0, 8
	s_delay_alu instid0(VALU_DEP_1) | instid1(SALU_CYCLE_1)
	v_bfe_u32 v17, v17, 0, s0
	s_add_co_i32 s0, s2, 24
	s_delay_alu instid0(SALU_CYCLE_1) | instskip(NEXT) | instid1(VALU_DEP_1)
	s_cmp_gt_u32 s3, s0
	v_lshl_or_b32 v17, v17, 4, v3
	ds_add_u32 v17, v18 offset:8192
                                        ; implicit-def: $vgpr18
	s_cbranch_scc0 .LBB1293_312
; %bb.310:
	v_lshrrev_b32_e32 v16, s0, v16
	s_sub_co_i32 s0, s3, s0
	s_mov_b32 s9, -1
	s_min_u32 s0, s0, 8
	s_delay_alu instid0(VALU_DEP_1) | instid1(SALU_CYCLE_1)
	v_bfe_u32 v16, v16, 0, s0
	s_delay_alu instid0(VALU_DEP_1)
	v_lshl_add_u32 v18, v16, 4, 0x3000
	s_branch .LBB1293_312
.LBB1293_311:
                                        ; implicit-def: $vgpr18
.LBB1293_312:
	s_and_b32 vcc_lo, exec_lo, s9
	s_cbranch_vccz .LBB1293_314
; %bb.313:
	s_delay_alu instid0(VALU_DEP_1)
	v_lshl_add_u32 v16, v2, 2, v18
	v_mov_b32_e32 v17, 1
	ds_add_u32 v16, v17
.LBB1293_314:
	v_cmp_gt_i32_e32 vcc_lo, 0, v4
	v_mov_b32_e32 v18, 1
	v_cndmask_b32_e64 v16, 0x7fffffff, 0, vcc_lo
	s_delay_alu instid0(VALU_DEP_1) | instskip(NEXT) | instid1(VALU_DEP_1)
	v_xor_b32_e32 v16, v16, v4
	v_cmp_ne_u32_e32 vcc_lo, 0x80000000, v16
	v_cndmask_b32_e32 v17, 0x7fffffff, v16, vcc_lo
	v_cmp_gt_i32_e32 vcc_lo, 0, v1
	s_delay_alu instid0(VALU_DEP_2) | instskip(NEXT) | instid1(VALU_DEP_1)
	v_lshrrev_b32_e32 v16, s2, v17
	v_and_b32_e32 v16, s4, v16
	s_delay_alu instid0(VALU_DEP_1) | instskip(SKIP_4) | instid1(VALU_DEP_1)
	v_lshl_or_b32 v16, v16, 4, v3
	ds_add_u32 v16, v18
	v_cndmask_b32_e64 v16, 0x7fffffff, 0, vcc_lo
	s_and_b32 vcc_lo, exec_lo, s8
	s_mov_b32 s8, 0
	v_xor_b32_e32 v16, v16, v1
	s_delay_alu instid0(VALU_DEP_1)
	v_cmp_ne_u32_e64 s0, 0x80000000, v16
	s_cbranch_vccz .LBB1293_316
; %bb.315:
	v_cndmask_b32_e64 v18, 0x7fffffff, v16, s0
	s_mov_b32 s8, -1
	s_delay_alu instid0(VALU_DEP_1) | instskip(NEXT) | instid1(VALU_DEP_1)
	v_lshrrev_b32_e32 v18, s2, v18
	v_and_b32_e32 v18, s4, v18
	s_delay_alu instid0(VALU_DEP_1)
	v_lshlrev_b32_e32 v18, 4, v18
	s_cbranch_execz .LBB1293_317
	s_branch .LBB1293_324
.LBB1293_316:
                                        ; implicit-def: $vgpr18
.LBB1293_317:
	s_sub_co_i32 s0, s3, s5
	v_lshrrev_b32_e32 v18, s5, v17
	s_min_u32 s0, s0, 8
	s_delay_alu instid0(SALU_CYCLE_1) | instskip(SKIP_1) | instid1(VALU_DEP_1)
	s_lshl_b32 s9, -1, s0
	s_add_co_i32 s0, s2, 16
	v_bitop3_b32 v18, v18, s9, v18 bitop3:0x30
	s_not_b32 s10, s9
	s_cmp_gt_u32 s3, s0
	s_cselect_b32 s9, -1, 0
	s_delay_alu instid0(VALU_DEP_1)
	v_lshl_or_b32 v19, v18, 4, v3
	v_mov_b32_e32 v18, 1
	s_cmp_le_u32 s3, s0
	ds_add_u32 v19, v18 offset:4096
	s_cbranch_scc1 .LBB1293_320
; %bb.318:
	v_lshrrev_b32_e32 v19, s0, v17
	s_sub_co_i32 s11, s3, s0
	s_delay_alu instid0(SALU_CYCLE_1)
	s_min_u32 s11, s11, 8
	s_delay_alu instid0(VALU_DEP_1) | instid1(SALU_CYCLE_1)
	v_bfe_u32 v19, v19, 0, s11
	s_add_co_i32 s11, s2, 24
	s_delay_alu instid0(SALU_CYCLE_1) | instskip(NEXT) | instid1(VALU_DEP_1)
	s_cmp_le_u32 s3, s11
	v_lshl_or_b32 v19, v19, 4, v3
	ds_add_u32 v19, v18 offset:8192
	s_cbranch_scc1 .LBB1293_320
; %bb.319:
	v_dual_lshrrev_b32 v17, s11, v17 :: v_dual_mov_b32 v19, 1
	s_sub_co_i32 s11, s3, s11
	s_delay_alu instid0(SALU_CYCLE_1)
	s_min_u32 s11, s11, 8
	s_delay_alu instid0(VALU_DEP_1) | instid1(SALU_CYCLE_1)
	v_bfe_u32 v17, v17, 0, s11
	s_delay_alu instid0(VALU_DEP_1)
	v_lshl_or_b32 v17, v17, 4, v3
	ds_add_u32 v17, v19 offset:12288
.LBB1293_320:
	v_cmp_ne_u32_e32 vcc_lo, 0x80000000, v16
	v_cndmask_b32_e32 v16, 0x7fffffff, v16, vcc_lo
	s_and_not1_b32 vcc_lo, exec_lo, s9
	s_delay_alu instid0(VALU_DEP_1) | instskip(NEXT) | instid1(VALU_DEP_1)
	v_dual_lshrrev_b32 v17, s2, v16 :: v_dual_lshrrev_b32 v19, s5, v16
	v_and_b32_e32 v17, s4, v17
	s_delay_alu instid0(VALU_DEP_2) | instskip(NEXT) | instid1(VALU_DEP_2)
	v_and_b32_e32 v19, s10, v19
	v_lshl_or_b32 v17, v17, 4, v3
	s_delay_alu instid0(VALU_DEP_2)
	v_lshl_or_b32 v19, v19, 4, v3
	ds_add_u32 v17, v18
	ds_add_u32 v19, v18 offset:4096
	s_cbranch_vccnz .LBB1293_323
; %bb.321:
	v_lshrrev_b32_e32 v17, s0, v16
	s_sub_co_i32 s0, s3, s0
                                        ; implicit-def: $vgpr18
	s_delay_alu instid0(SALU_CYCLE_1)
	s_min_u32 s0, s0, 8
	s_delay_alu instid0(VALU_DEP_1) | instid1(SALU_CYCLE_1)
	v_bfe_u32 v17, v17, 0, s0
	s_add_co_i32 s0, s2, 24
	s_delay_alu instid0(SALU_CYCLE_1) | instskip(NEXT) | instid1(VALU_DEP_1)
	s_cmp_gt_u32 s3, s0
	v_lshl_or_b32 v3, v17, 4, v3
	v_mov_b32_e32 v17, 1
	ds_add_u32 v3, v17 offset:8192
	s_cbranch_scc0 .LBB1293_324
; %bb.322:
	v_lshrrev_b32_e32 v3, s0, v16
	s_sub_co_i32 s0, s3, s0
	s_mov_b32 s8, -1
	s_min_u32 s0, s0, 8
	s_delay_alu instid0(VALU_DEP_1) | instid1(SALU_CYCLE_1)
	v_bfe_u32 v3, v3, 0, s0
	s_delay_alu instid0(VALU_DEP_1)
	v_lshl_add_u32 v18, v3, 4, 0x3000
	s_branch .LBB1293_324
.LBB1293_323:
                                        ; implicit-def: $vgpr18
.LBB1293_324:
	s_and_b32 vcc_lo, exec_lo, s8
	s_cbranch_vccz .LBB1293_326
; %bb.325:
	s_delay_alu instid0(VALU_DEP_1)
	v_lshl_add_u32 v2, v2, 2, v18
	v_mov_b32_e32 v3, 1
	ds_add_u32 v2, v3
.LBB1293_326:
	s_and_b32 vcc_lo, exec_lo, s1
	s_wait_dscnt 0x0
	s_barrier_signal -1
	s_barrier_wait -1
	s_cbranch_vccz .LBB1293_331
; %bb.327:
	v_dual_mov_b32 v3, 0 :: v_dual_lshlrev_b32 v16, 4, v0
	v_mov_b32_e32 v17, v0
	v_cmp_gt_u32_e32 vcc_lo, 0x100, v0
	s_branch .LBB1293_329
.LBB1293_328:                           ;   in Loop: Header=BB1293_329 Depth=1
	s_wait_xcnt 0x0
	s_or_b32 exec_lo, exec_lo, s0
	v_add_nc_u32_e32 v17, 0x100, v17
	v_add_nc_u32_e32 v16, 0x1000, v16
	s_add_co_i32 s2, s2, 8
	s_delay_alu instid0(SALU_CYCLE_1)
	s_cmp_ge_u32 s2, s3
	s_cbranch_scc1 .LBB1293_331
.LBB1293_329:                           ; =>This Inner Loop Header: Depth=1
	s_and_saveexec_b32 s0, vcc_lo
	s_cbranch_execz .LBB1293_328
; %bb.330:                              ;   in Loop: Header=BB1293_329 Depth=1
	ds_load_2addr_b32 v[18:19], v16 offset1:1
	ds_load_2addr_b32 v[20:21], v16 offset0:2 offset1:3
	s_wait_dscnt 0x1
	v_add_nc_u32_e32 v2, v19, v18
	s_wait_dscnt 0x0
	s_delay_alu instid0(VALU_DEP_1)
	v_add3_u32 v2, v2, v20, v21
	global_atomic_add_u64 v17, v[2:3], s[6:7] scale_offset scope:SCOPE_DEV
	s_branch .LBB1293_328
.LBB1293_331:
	s_mov_b32 s1, 0
.LBB1293_332:
	s_delay_alu instid0(SALU_CYCLE_1)
	s_and_b32 vcc_lo, exec_lo, s1
	s_cbranch_vccz .LBB1293_343
; %bb.333:
	v_mov_b32_e32 v2, 0
	v_cmp_gt_u32_e64 s0, 7, 4
	s_mov_b32 s1, exec_lo
	ds_store_2addr_stride64_b32 v15, v2, v2 offset1:8
	ds_store_2addr_stride64_b32 v15, v2, v2 offset0:16 offset1:24
	v_cmpx_gt_u32_e64 7, 3
; %bb.334:
	ds_store_b32 v15, v2 offset:8192
; %bb.335:
	s_or_b32 exec_lo, exec_lo, s1
	s_and_saveexec_b32 s1, s0
; %bb.336:
	v_mov_b32_e32 v2, 0
	ds_store_b32 v15, v2 offset:10240
; %bb.337:
	s_or_b32 exec_lo, exec_lo, s1
	v_cmp_gt_u32_e64 s0, 7, 6
	s_mov_b32 s1, exec_lo
	v_cmpx_gt_u32_e64 7, 5
; %bb.338:
	v_mov_b32_e32 v2, 0
	ds_store_b32 v15, v2 offset:12288
; %bb.339:
	s_or_b32 exec_lo, exec_lo, s1
	s_and_saveexec_b32 s1, s0
; %bb.340:
	v_mov_b32_e32 v2, 0
	ds_store_b32 v15, v2 offset:14336
; %bb.341:
	s_or_b32 exec_lo, exec_lo, s1
	s_wait_loadcnt 0xb
	v_cmp_gt_i32_e32 vcc_lo, 0, v10
	s_wait_storecnt 0x0
	s_wait_loadcnt_dscnt 0x0
	s_barrier_signal -1
	s_barrier_wait -1
	v_cndmask_b32_e64 v2, 0x7fffffff, 0, vcc_lo
	v_cmp_gt_i32_e32 vcc_lo, 0, v11
	s_mov_b32 s0, exec_lo
	v_cndmask_b32_e64 v3, 0x7fffffff, 0, vcc_lo
	v_cmp_gt_i32_e32 vcc_lo, 0, v12
	s_delay_alu instid0(VALU_DEP_2) | instskip(SKIP_4) | instid1(VALU_DEP_2)
	v_xor_b32_e32 v3, v3, v11
	v_cndmask_b32_e64 v15, 0x7fffffff, 0, vcc_lo
	v_cmp_gt_i32_e32 vcc_lo, 0, v13
	v_cndmask_b32_e64 v16, 0x7fffffff, 0, vcc_lo
	v_cmp_gt_i32_e32 vcc_lo, 0, v14
	v_xor_b32_e32 v11, v16, v13
	v_cndmask_b32_e64 v17, 0x7fffffff, 0, vcc_lo
	v_cmp_gt_i32_e32 vcc_lo, 0, v5
	v_cndmask_b32_e64 v13, 0x7fffffff, 0, vcc_lo
	v_cmp_gt_i32_e32 vcc_lo, 0, v6
	s_delay_alu instid0(VALU_DEP_2)
	v_xor_b32_e32 v5, v13, v5
	v_and_b32_e32 v13, 3, v0
	v_xor_b32_e32 v2, v2, v10
	v_xor_b32_e32 v10, v15, v12
	v_xor_b32_e32 v12, v17, v14
	v_cndmask_b32_e64 v14, 0x7fffffff, 0, vcc_lo
	v_cmp_gt_i32_e32 vcc_lo, 0, v7
	s_delay_alu instid0(VALU_DEP_2) | instskip(SKIP_2) | instid1(VALU_DEP_2)
	v_dual_lshlrev_b32 v13, 2, v13 :: v_dual_bitop2_b32 v6, v14, v6 bitop3:0x14
	v_cndmask_b32_e64 v15, 0x7fffffff, 0, vcc_lo
	v_cmp_gt_i32_e32 vcc_lo, 0, v8
	v_xor_b32_e32 v7, v15, v7
	v_cndmask_b32_e64 v16, 0x7fffffff, 0, vcc_lo
	v_cmp_gt_i32_e32 vcc_lo, 0, v9
	s_delay_alu instid0(VALU_DEP_2) | instskip(SKIP_4) | instid1(VALU_DEP_2)
	v_xor_b32_e32 v8, v16, v8
	v_cndmask_b32_e64 v17, 0x7fffffff, 0, vcc_lo
	v_cmp_ne_u32_e32 vcc_lo, 0x80000000, v2
	v_cndmask_b32_e32 v2, 0x7fffffff, v2, vcc_lo
	v_cmp_gt_i32_e32 vcc_lo, 0, v4
	v_lshlrev_b32_e32 v16, 4, v2
	v_cndmask_b32_e64 v14, 0x7fffffff, 0, vcc_lo
	v_cmp_gt_i32_e32 vcc_lo, 0, v1
	s_delay_alu instid0(VALU_DEP_2)
	v_xor_b32_e32 v4, v14, v4
	v_cndmask_b32_e64 v15, 0x7fffffff, 0, vcc_lo
	v_cmp_ne_u32_e32 vcc_lo, 0x80000000, v3
	v_dual_cndmask_b32 v3, 0x7fffffff, v3 :: v_dual_lshrrev_b32 v14, 4, v2
	v_cmp_ne_u32_e32 vcc_lo, 0x80000000, v10
	v_dual_lshrrev_b32 v17, 12, v2 :: v_dual_bitop2_b32 v9, v17, v9 bitop3:0x14
	v_lshrrev_b32_e32 v2, 20, v2
	s_delay_alu instid0(VALU_DEP_4)
	v_and_or_b32 v14, 0xff0, v14, v13
	v_cndmask_b32_e32 v10, 0x7fffffff, v10, vcc_lo
	v_xor_b32_e32 v1, v15, v1
	v_and_or_b32 v15, 0xff0, v16, v13
	v_mov_b32_e32 v16, 1
	v_and_or_b32 v17, 0xff0, v17, v13
	ds_add_u32 v15, v16
	ds_add_u32 v14, v16 offset:4096
	ds_add_u32 v17, v16 offset:8192
	v_and_or_b32 v2, 0xff0, v2, v13
	v_dual_lshlrev_b32 v14, 4, v3 :: v_dual_lshrrev_b32 v15, 4, v3
	v_dual_lshrrev_b32 v17, 12, v3 :: v_dual_lshrrev_b32 v3, 20, v3
	ds_add_u32 v2, v16 offset:12288
	v_and_or_b32 v2, 0xff0, v14, v13
	v_cmp_ne_u32_e32 vcc_lo, 0x80000000, v11
	v_and_or_b32 v14, 0xff0, v15, v13
	v_and_or_b32 v15, 0xff0, v17, v13
	v_and_or_b32 v3, 0xff0, v3, v13
	ds_add_u32 v2, v16
	ds_add_u32 v14, v16 offset:4096
	ds_add_u32 v15, v16 offset:8192
	;; [unrolled: 1-line block ×3, first 2 shown]
	v_dual_cndmask_b32 v11, 0x7fffffff, v11 :: v_dual_lshlrev_b32 v2, 4, v10
	v_cmp_ne_u32_e32 vcc_lo, 0x80000000, v12
	v_dual_lshrrev_b32 v3, 4, v10 :: v_dual_lshrrev_b32 v14, 12, v10
	v_lshrrev_b32_e32 v10, 20, v10
	s_delay_alu instid0(VALU_DEP_4) | instskip(SKIP_1) | instid1(VALU_DEP_4)
	v_and_or_b32 v2, 0xff0, v2, v13
	v_cndmask_b32_e32 v12, 0x7fffffff, v12, vcc_lo
	v_and_or_b32 v3, 0xff0, v3, v13
	v_and_or_b32 v14, 0xff0, v14, v13
	;; [unrolled: 1-line block ×3, first 2 shown]
	ds_add_u32 v2, v16
	ds_add_u32 v3, v16 offset:4096
	ds_add_u32 v14, v16 offset:8192
	;; [unrolled: 1-line block ×3, first 2 shown]
	v_dual_lshrrev_b32 v14, 4, v12 :: v_dual_lshlrev_b32 v15, 4, v11
	v_dual_lshrrev_b32 v3, 4, v11 :: v_dual_lshrrev_b32 v10, 12, v11
	v_lshrrev_b32_e32 v11, 20, v11
	v_cmp_ne_u32_e32 vcc_lo, 0x80000000, v5
	s_delay_alu instid0(VALU_DEP_4)
	v_and_or_b32 v2, 0xff0, v15, v13
	v_cndmask_b32_e32 v5, 0x7fffffff, v5, vcc_lo
	ds_add_u32 v2, v16
	v_and_or_b32 v2, 0xff0, v3, v13
	v_and_or_b32 v3, 0xff0, v10, v13
	;; [unrolled: 1-line block ×3, first 2 shown]
	v_lshlrev_b32_e32 v11, 4, v12
	ds_add_u32 v2, v16 offset:4096
	ds_add_u32 v3, v16 offset:8192
	;; [unrolled: 1-line block ×3, first 2 shown]
	v_and_or_b32 v3, 0xff0, v14, v13
	v_cmp_ne_u32_e32 vcc_lo, 0x80000000, v6
	v_and_or_b32 v2, 0xff0, v11, v13
	v_lshrrev_b32_e32 v11, 20, v12
	ds_add_u32 v2, v16
	ds_add_u32 v3, v16 offset:4096
	v_and_or_b32 v3, 0xff0, v11, v13
	v_dual_lshrrev_b32 v11, 4, v5 :: v_dual_lshrrev_b32 v10, 12, v12
	v_lshrrev_b32_e32 v12, 12, v5
	v_cndmask_b32_e32 v6, 0x7fffffff, v6, vcc_lo
	v_cmp_ne_u32_e32 vcc_lo, 0x80000000, v7
	s_delay_alu instid0(VALU_DEP_4)
	v_and_or_b32 v2, 0xff0, v10, v13
	v_lshlrev_b32_e32 v10, 4, v5
	ds_add_u32 v2, v16 offset:8192
	ds_add_u32 v3, v16 offset:12288
	v_and_or_b32 v2, 0xff0, v10, v13
	v_and_or_b32 v3, 0xff0, v11, v13
	;; [unrolled: 1-line block ×3, first 2 shown]
	ds_add_u32 v2, v16
	ds_add_u32 v3, v16 offset:4096
	ds_add_u32 v10, v16 offset:8192
	v_dual_lshrrev_b32 v10, 12, v6 :: v_dual_lshrrev_b32 v5, 20, v5
	v_lshlrev_b32_e32 v3, 4, v6
	v_cndmask_b32_e32 v7, 0x7fffffff, v7, vcc_lo
	v_cmp_ne_u32_e32 vcc_lo, 0x80000000, v8
	s_delay_alu instid0(VALU_DEP_4)
	v_and_or_b32 v2, 0xff0, v5, v13
	v_dual_lshrrev_b32 v5, 4, v6 :: v_dual_lshrrev_b32 v6, 20, v6
	ds_add_u32 v2, v16 offset:12288
	v_and_or_b32 v2, 0xff0, v3, v13
	v_and_or_b32 v3, 0xff0, v5, v13
	;; [unrolled: 1-line block ×4, first 2 shown]
	ds_add_u32 v2, v16
	ds_add_u32 v3, v16 offset:4096
	ds_add_u32 v5, v16 offset:8192
	;; [unrolled: 1-line block ×3, first 2 shown]
	v_dual_lshlrev_b32 v2, 4, v7 :: v_dual_lshrrev_b32 v5, 12, v7
	v_dual_lshrrev_b32 v3, 4, v7 :: v_dual_lshrrev_b32 v6, 20, v7
	v_cndmask_b32_e32 v7, 0x7fffffff, v8, vcc_lo
	s_delay_alu instid0(VALU_DEP_3) | instskip(SKIP_1) | instid1(VALU_DEP_4)
	v_and_or_b32 v2, 0xff0, v2, v13
	v_cmp_ne_u32_e32 vcc_lo, 0x80000000, v9
	v_and_or_b32 v3, 0xff0, v3, v13
	v_and_or_b32 v5, 0xff0, v5, v13
	v_lshlrev_b32_e32 v8, 4, v7
	v_and_or_b32 v6, 0xff0, v6, v13
	ds_add_u32 v2, v16
	ds_add_u32 v3, v16 offset:4096
	ds_add_u32 v5, v16 offset:8192
	;; [unrolled: 1-line block ×3, first 2 shown]
	v_lshrrev_b32_e32 v3, 4, v7
	v_and_or_b32 v2, 0xff0, v8, v13
	v_dual_lshrrev_b32 v5, 12, v7 :: v_dual_lshrrev_b32 v6, 20, v7
	v_cndmask_b32_e32 v7, 0x7fffffff, v9, vcc_lo
	v_cmp_ne_u32_e32 vcc_lo, 0x80000000, v4
	ds_add_u32 v2, v16
	v_and_or_b32 v2, 0xff0, v3, v13
	v_and_or_b32 v3, 0xff0, v5, v13
	;; [unrolled: 1-line block ×3, first 2 shown]
	v_dual_lshlrev_b32 v6, 4, v7 :: v_dual_lshrrev_b32 v8, 4, v7
	ds_add_u32 v2, v16 offset:4096
	ds_add_u32 v3, v16 offset:8192
	;; [unrolled: 1-line block ×3, first 2 shown]
	v_cndmask_b32_e32 v4, 0x7fffffff, v4, vcc_lo
	v_cmp_ne_u32_e32 vcc_lo, 0x80000000, v1
	v_and_or_b32 v2, 0xff0, v6, v13
	v_lshrrev_b32_e32 v6, 20, v7
	v_and_or_b32 v3, 0xff0, v8, v13
	ds_add_u32 v2, v16
	ds_add_u32 v3, v16 offset:4096
	v_and_or_b32 v3, 0xff0, v6, v13
	v_dual_lshrrev_b32 v6, 4, v4 :: v_dual_lshrrev_b32 v5, 12, v7
	v_lshrrev_b32_e32 v7, 12, v4
	v_cndmask_b32_e32 v1, 0x7fffffff, v1, vcc_lo
	s_delay_alu instid0(VALU_DEP_3)
	v_and_or_b32 v2, 0xff0, v5, v13
	v_lshlrev_b32_e32 v5, 4, v4
	ds_add_u32 v2, v16 offset:8192
	ds_add_u32 v3, v16 offset:12288
	v_and_or_b32 v2, 0xff0, v5, v13
	v_and_or_b32 v3, 0xff0, v6, v13
	;; [unrolled: 1-line block ×3, first 2 shown]
	ds_add_u32 v2, v16
	ds_add_u32 v3, v16 offset:4096
	ds_add_u32 v5, v16 offset:8192
	v_dual_lshlrev_b32 v3, 4, v1 :: v_dual_lshrrev_b32 v2, 20, v4
	v_dual_lshrrev_b32 v4, 4, v1 :: v_dual_lshrrev_b32 v5, 12, v1
	v_lshrrev_b32_e32 v1, 20, v1
	s_delay_alu instid0(VALU_DEP_3) | instskip(NEXT) | instid1(VALU_DEP_4)
	v_and_or_b32 v3, 0xff0, v3, v13
	v_and_or_b32 v2, 0xff0, v2, v13
	s_delay_alu instid0(VALU_DEP_4)
	v_and_or_b32 v4, 0xff0, v4, v13
	v_and_or_b32 v5, 0xff0, v5, v13
	;; [unrolled: 1-line block ×3, first 2 shown]
	ds_add_u32 v2, v16 offset:12288
	ds_add_u32 v3, v16
	ds_add_u32 v4, v16 offset:4096
	ds_add_u32 v5, v16 offset:8192
	;; [unrolled: 1-line block ×3, first 2 shown]
	s_wait_dscnt 0x0
	s_barrier_signal -1
	s_barrier_wait -1
	v_cmpx_gt_u32_e32 0x100, v0
	s_cbranch_execz .LBB1293_343
; %bb.342:
	v_lshlrev_b32_e32 v1, 4, v0
	ds_load_2addr_b32 v[2:3], v1 offset1:1
	ds_load_2addr_b32 v[4:5], v1 offset0:2 offset1:3
	s_wait_dscnt 0x1
	v_dual_mov_b32 v3, 0 :: v_dual_add_nc_u32 v2, v3, v2
	v_add_nc_u32_e32 v6, 0x1008, v1
	s_wait_dscnt 0x0
	s_delay_alu instid0(VALU_DEP_2)
	v_add3_u32 v2, v2, v4, v5
	v_add_nc_u32_e32 v4, 0x1000, v1
	global_atomic_add_u64 v0, v[2:3], s[6:7] scale_offset scope:SCOPE_DEV
	ds_load_2addr_b32 v[4:5], v4 offset1:1
	ds_load_2addr_b32 v[6:7], v6 offset1:1
	s_wait_dscnt 0x1
	s_wait_xcnt 0x0
	v_add_nc_u32_e32 v2, v5, v4
	v_or_b32_e32 v4, 0x2000, v1
	s_wait_dscnt 0x0
	s_delay_alu instid0(VALU_DEP_2)
	v_add3_u32 v2, v2, v6, v7
	v_or_b32_e32 v6, 0x2008, v1
	global_atomic_add_u64 v0, v[2:3], s[6:7] offset:2048 scale_offset scope:SCOPE_DEV
	ds_load_2addr_b32 v[4:5], v4 offset1:1
	ds_load_2addr_b32 v[6:7], v6 offset1:1
	s_wait_dscnt 0x1
	s_wait_xcnt 0x0
	v_add_nc_u32_e32 v2, v5, v4
	v_add_nc_u32_e32 v4, 0x3000, v1
	;; [unrolled: 1-line block ×3, first 2 shown]
	s_wait_dscnt 0x0
	s_delay_alu instid0(VALU_DEP_3)
	v_add3_u32 v2, v2, v6, v7
	global_atomic_add_u64 v0, v[2:3], s[6:7] offset:4096 scale_offset scope:SCOPE_DEV
	ds_load_2addr_b32 v[4:5], v4 offset1:1
	ds_load_2addr_b32 v[6:7], v1 offset1:1
	s_wait_dscnt 0x1
	v_add_nc_u32_e32 v1, v5, v4
	s_wait_dscnt 0x0
	s_wait_xcnt 0x0
	s_delay_alu instid0(VALU_DEP_1)
	v_add3_u32 v2, v1, v6, v7
	global_atomic_add_u64 v0, v[2:3], s[6:7] offset:6144 scale_offset scope:SCOPE_DEV
.LBB1293_343:
	s_endpgm
	.section	.rodata,"a",@progbits
	.p2align	6, 0x0
	.amdhsa_kernel _ZN7rocprim17ROCPRIM_400000_NS6detail17trampoline_kernelINS0_14default_configENS1_35radix_sort_onesweep_config_selectorIfNS0_10empty_typeEEEZNS1_34radix_sort_onesweep_global_offsetsIS3_Lb1EPKfPS5_mNS0_19identity_decomposerEEE10hipError_tT1_T2_PT3_SF_jT4_jjP12ihipStream_tbEUlT_E_NS1_11comp_targetILNS1_3genE0ELNS1_11target_archE4294967295ELNS1_3gpuE0ELNS1_3repE0EEENS1_52radix_sort_onesweep_histogram_config_static_selectorELNS0_4arch9wavefront6targetE0EEEvSD_
		.amdhsa_group_segment_fixed_size 16384
		.amdhsa_private_segment_fixed_size 0
		.amdhsa_kernarg_size 48
		.amdhsa_user_sgpr_count 2
		.amdhsa_user_sgpr_dispatch_ptr 0
		.amdhsa_user_sgpr_queue_ptr 0
		.amdhsa_user_sgpr_kernarg_segment_ptr 1
		.amdhsa_user_sgpr_dispatch_id 0
		.amdhsa_user_sgpr_kernarg_preload_length 0
		.amdhsa_user_sgpr_kernarg_preload_offset 0
		.amdhsa_user_sgpr_private_segment_size 0
		.amdhsa_wavefront_size32 1
		.amdhsa_uses_dynamic_stack 0
		.amdhsa_enable_private_segment 0
		.amdhsa_system_sgpr_workgroup_id_x 1
		.amdhsa_system_sgpr_workgroup_id_y 0
		.amdhsa_system_sgpr_workgroup_id_z 0
		.amdhsa_system_sgpr_workgroup_info 0
		.amdhsa_system_vgpr_workitem_id 0
		.amdhsa_next_free_vgpr 28
		.amdhsa_next_free_sgpr 13
		.amdhsa_named_barrier_count 0
		.amdhsa_reserve_vcc 1
		.amdhsa_float_round_mode_32 0
		.amdhsa_float_round_mode_16_64 0
		.amdhsa_float_denorm_mode_32 3
		.amdhsa_float_denorm_mode_16_64 3
		.amdhsa_fp16_overflow 0
		.amdhsa_memory_ordered 1
		.amdhsa_forward_progress 1
		.amdhsa_inst_pref_size 117
		.amdhsa_round_robin_scheduling 0
		.amdhsa_exception_fp_ieee_invalid_op 0
		.amdhsa_exception_fp_denorm_src 0
		.amdhsa_exception_fp_ieee_div_zero 0
		.amdhsa_exception_fp_ieee_overflow 0
		.amdhsa_exception_fp_ieee_underflow 0
		.amdhsa_exception_fp_ieee_inexact 0
		.amdhsa_exception_int_div_zero 0
	.end_amdhsa_kernel
	.section	.text._ZN7rocprim17ROCPRIM_400000_NS6detail17trampoline_kernelINS0_14default_configENS1_35radix_sort_onesweep_config_selectorIfNS0_10empty_typeEEEZNS1_34radix_sort_onesweep_global_offsetsIS3_Lb1EPKfPS5_mNS0_19identity_decomposerEEE10hipError_tT1_T2_PT3_SF_jT4_jjP12ihipStream_tbEUlT_E_NS1_11comp_targetILNS1_3genE0ELNS1_11target_archE4294967295ELNS1_3gpuE0ELNS1_3repE0EEENS1_52radix_sort_onesweep_histogram_config_static_selectorELNS0_4arch9wavefront6targetE0EEEvSD_,"axG",@progbits,_ZN7rocprim17ROCPRIM_400000_NS6detail17trampoline_kernelINS0_14default_configENS1_35radix_sort_onesweep_config_selectorIfNS0_10empty_typeEEEZNS1_34radix_sort_onesweep_global_offsetsIS3_Lb1EPKfPS5_mNS0_19identity_decomposerEEE10hipError_tT1_T2_PT3_SF_jT4_jjP12ihipStream_tbEUlT_E_NS1_11comp_targetILNS1_3genE0ELNS1_11target_archE4294967295ELNS1_3gpuE0ELNS1_3repE0EEENS1_52radix_sort_onesweep_histogram_config_static_selectorELNS0_4arch9wavefront6targetE0EEEvSD_,comdat
.Lfunc_end1293:
	.size	_ZN7rocprim17ROCPRIM_400000_NS6detail17trampoline_kernelINS0_14default_configENS1_35radix_sort_onesweep_config_selectorIfNS0_10empty_typeEEEZNS1_34radix_sort_onesweep_global_offsetsIS3_Lb1EPKfPS5_mNS0_19identity_decomposerEEE10hipError_tT1_T2_PT3_SF_jT4_jjP12ihipStream_tbEUlT_E_NS1_11comp_targetILNS1_3genE0ELNS1_11target_archE4294967295ELNS1_3gpuE0ELNS1_3repE0EEENS1_52radix_sort_onesweep_histogram_config_static_selectorELNS0_4arch9wavefront6targetE0EEEvSD_, .Lfunc_end1293-_ZN7rocprim17ROCPRIM_400000_NS6detail17trampoline_kernelINS0_14default_configENS1_35radix_sort_onesweep_config_selectorIfNS0_10empty_typeEEEZNS1_34radix_sort_onesweep_global_offsetsIS3_Lb1EPKfPS5_mNS0_19identity_decomposerEEE10hipError_tT1_T2_PT3_SF_jT4_jjP12ihipStream_tbEUlT_E_NS1_11comp_targetILNS1_3genE0ELNS1_11target_archE4294967295ELNS1_3gpuE0ELNS1_3repE0EEENS1_52radix_sort_onesweep_histogram_config_static_selectorELNS0_4arch9wavefront6targetE0EEEvSD_
                                        ; -- End function
	.set _ZN7rocprim17ROCPRIM_400000_NS6detail17trampoline_kernelINS0_14default_configENS1_35radix_sort_onesweep_config_selectorIfNS0_10empty_typeEEEZNS1_34radix_sort_onesweep_global_offsetsIS3_Lb1EPKfPS5_mNS0_19identity_decomposerEEE10hipError_tT1_T2_PT3_SF_jT4_jjP12ihipStream_tbEUlT_E_NS1_11comp_targetILNS1_3genE0ELNS1_11target_archE4294967295ELNS1_3gpuE0ELNS1_3repE0EEENS1_52radix_sort_onesweep_histogram_config_static_selectorELNS0_4arch9wavefront6targetE0EEEvSD_.num_vgpr, 28
	.set _ZN7rocprim17ROCPRIM_400000_NS6detail17trampoline_kernelINS0_14default_configENS1_35radix_sort_onesweep_config_selectorIfNS0_10empty_typeEEEZNS1_34radix_sort_onesweep_global_offsetsIS3_Lb1EPKfPS5_mNS0_19identity_decomposerEEE10hipError_tT1_T2_PT3_SF_jT4_jjP12ihipStream_tbEUlT_E_NS1_11comp_targetILNS1_3genE0ELNS1_11target_archE4294967295ELNS1_3gpuE0ELNS1_3repE0EEENS1_52radix_sort_onesweep_histogram_config_static_selectorELNS0_4arch9wavefront6targetE0EEEvSD_.num_agpr, 0
	.set _ZN7rocprim17ROCPRIM_400000_NS6detail17trampoline_kernelINS0_14default_configENS1_35radix_sort_onesweep_config_selectorIfNS0_10empty_typeEEEZNS1_34radix_sort_onesweep_global_offsetsIS3_Lb1EPKfPS5_mNS0_19identity_decomposerEEE10hipError_tT1_T2_PT3_SF_jT4_jjP12ihipStream_tbEUlT_E_NS1_11comp_targetILNS1_3genE0ELNS1_11target_archE4294967295ELNS1_3gpuE0ELNS1_3repE0EEENS1_52radix_sort_onesweep_histogram_config_static_selectorELNS0_4arch9wavefront6targetE0EEEvSD_.numbered_sgpr, 13
	.set _ZN7rocprim17ROCPRIM_400000_NS6detail17trampoline_kernelINS0_14default_configENS1_35radix_sort_onesweep_config_selectorIfNS0_10empty_typeEEEZNS1_34radix_sort_onesweep_global_offsetsIS3_Lb1EPKfPS5_mNS0_19identity_decomposerEEE10hipError_tT1_T2_PT3_SF_jT4_jjP12ihipStream_tbEUlT_E_NS1_11comp_targetILNS1_3genE0ELNS1_11target_archE4294967295ELNS1_3gpuE0ELNS1_3repE0EEENS1_52radix_sort_onesweep_histogram_config_static_selectorELNS0_4arch9wavefront6targetE0EEEvSD_.num_named_barrier, 0
	.set _ZN7rocprim17ROCPRIM_400000_NS6detail17trampoline_kernelINS0_14default_configENS1_35radix_sort_onesweep_config_selectorIfNS0_10empty_typeEEEZNS1_34radix_sort_onesweep_global_offsetsIS3_Lb1EPKfPS5_mNS0_19identity_decomposerEEE10hipError_tT1_T2_PT3_SF_jT4_jjP12ihipStream_tbEUlT_E_NS1_11comp_targetILNS1_3genE0ELNS1_11target_archE4294967295ELNS1_3gpuE0ELNS1_3repE0EEENS1_52radix_sort_onesweep_histogram_config_static_selectorELNS0_4arch9wavefront6targetE0EEEvSD_.private_seg_size, 0
	.set _ZN7rocprim17ROCPRIM_400000_NS6detail17trampoline_kernelINS0_14default_configENS1_35radix_sort_onesweep_config_selectorIfNS0_10empty_typeEEEZNS1_34radix_sort_onesweep_global_offsetsIS3_Lb1EPKfPS5_mNS0_19identity_decomposerEEE10hipError_tT1_T2_PT3_SF_jT4_jjP12ihipStream_tbEUlT_E_NS1_11comp_targetILNS1_3genE0ELNS1_11target_archE4294967295ELNS1_3gpuE0ELNS1_3repE0EEENS1_52radix_sort_onesweep_histogram_config_static_selectorELNS0_4arch9wavefront6targetE0EEEvSD_.uses_vcc, 1
	.set _ZN7rocprim17ROCPRIM_400000_NS6detail17trampoline_kernelINS0_14default_configENS1_35radix_sort_onesweep_config_selectorIfNS0_10empty_typeEEEZNS1_34radix_sort_onesweep_global_offsetsIS3_Lb1EPKfPS5_mNS0_19identity_decomposerEEE10hipError_tT1_T2_PT3_SF_jT4_jjP12ihipStream_tbEUlT_E_NS1_11comp_targetILNS1_3genE0ELNS1_11target_archE4294967295ELNS1_3gpuE0ELNS1_3repE0EEENS1_52radix_sort_onesweep_histogram_config_static_selectorELNS0_4arch9wavefront6targetE0EEEvSD_.uses_flat_scratch, 0
	.set _ZN7rocprim17ROCPRIM_400000_NS6detail17trampoline_kernelINS0_14default_configENS1_35radix_sort_onesweep_config_selectorIfNS0_10empty_typeEEEZNS1_34radix_sort_onesweep_global_offsetsIS3_Lb1EPKfPS5_mNS0_19identity_decomposerEEE10hipError_tT1_T2_PT3_SF_jT4_jjP12ihipStream_tbEUlT_E_NS1_11comp_targetILNS1_3genE0ELNS1_11target_archE4294967295ELNS1_3gpuE0ELNS1_3repE0EEENS1_52radix_sort_onesweep_histogram_config_static_selectorELNS0_4arch9wavefront6targetE0EEEvSD_.has_dyn_sized_stack, 0
	.set _ZN7rocprim17ROCPRIM_400000_NS6detail17trampoline_kernelINS0_14default_configENS1_35radix_sort_onesweep_config_selectorIfNS0_10empty_typeEEEZNS1_34radix_sort_onesweep_global_offsetsIS3_Lb1EPKfPS5_mNS0_19identity_decomposerEEE10hipError_tT1_T2_PT3_SF_jT4_jjP12ihipStream_tbEUlT_E_NS1_11comp_targetILNS1_3genE0ELNS1_11target_archE4294967295ELNS1_3gpuE0ELNS1_3repE0EEENS1_52radix_sort_onesweep_histogram_config_static_selectorELNS0_4arch9wavefront6targetE0EEEvSD_.has_recursion, 0
	.set _ZN7rocprim17ROCPRIM_400000_NS6detail17trampoline_kernelINS0_14default_configENS1_35radix_sort_onesweep_config_selectorIfNS0_10empty_typeEEEZNS1_34radix_sort_onesweep_global_offsetsIS3_Lb1EPKfPS5_mNS0_19identity_decomposerEEE10hipError_tT1_T2_PT3_SF_jT4_jjP12ihipStream_tbEUlT_E_NS1_11comp_targetILNS1_3genE0ELNS1_11target_archE4294967295ELNS1_3gpuE0ELNS1_3repE0EEENS1_52radix_sort_onesweep_histogram_config_static_selectorELNS0_4arch9wavefront6targetE0EEEvSD_.has_indirect_call, 0
	.section	.AMDGPU.csdata,"",@progbits
; Kernel info:
; codeLenInByte = 14900
; TotalNumSgprs: 15
; NumVgprs: 28
; ScratchSize: 0
; MemoryBound: 0
; FloatMode: 240
; IeeeMode: 1
; LDSByteSize: 16384 bytes/workgroup (compile time only)
; SGPRBlocks: 0
; VGPRBlocks: 1
; NumSGPRsForWavesPerEU: 15
; NumVGPRsForWavesPerEU: 28
; NamedBarCnt: 0
; Occupancy: 16
; WaveLimiterHint : 1
; COMPUTE_PGM_RSRC2:SCRATCH_EN: 0
; COMPUTE_PGM_RSRC2:USER_SGPR: 2
; COMPUTE_PGM_RSRC2:TRAP_HANDLER: 0
; COMPUTE_PGM_RSRC2:TGID_X_EN: 1
; COMPUTE_PGM_RSRC2:TGID_Y_EN: 0
; COMPUTE_PGM_RSRC2:TGID_Z_EN: 0
; COMPUTE_PGM_RSRC2:TIDIG_COMP_CNT: 0
	.section	.text._ZN7rocprim17ROCPRIM_400000_NS6detail17trampoline_kernelINS0_14default_configENS1_35radix_sort_onesweep_config_selectorIfNS0_10empty_typeEEEZNS1_34radix_sort_onesweep_global_offsetsIS3_Lb1EPKfPS5_mNS0_19identity_decomposerEEE10hipError_tT1_T2_PT3_SF_jT4_jjP12ihipStream_tbEUlT_E_NS1_11comp_targetILNS1_3genE6ELNS1_11target_archE950ELNS1_3gpuE13ELNS1_3repE0EEENS1_52radix_sort_onesweep_histogram_config_static_selectorELNS0_4arch9wavefront6targetE0EEEvSD_,"axG",@progbits,_ZN7rocprim17ROCPRIM_400000_NS6detail17trampoline_kernelINS0_14default_configENS1_35radix_sort_onesweep_config_selectorIfNS0_10empty_typeEEEZNS1_34radix_sort_onesweep_global_offsetsIS3_Lb1EPKfPS5_mNS0_19identity_decomposerEEE10hipError_tT1_T2_PT3_SF_jT4_jjP12ihipStream_tbEUlT_E_NS1_11comp_targetILNS1_3genE6ELNS1_11target_archE950ELNS1_3gpuE13ELNS1_3repE0EEENS1_52radix_sort_onesweep_histogram_config_static_selectorELNS0_4arch9wavefront6targetE0EEEvSD_,comdat
	.protected	_ZN7rocprim17ROCPRIM_400000_NS6detail17trampoline_kernelINS0_14default_configENS1_35radix_sort_onesweep_config_selectorIfNS0_10empty_typeEEEZNS1_34radix_sort_onesweep_global_offsetsIS3_Lb1EPKfPS5_mNS0_19identity_decomposerEEE10hipError_tT1_T2_PT3_SF_jT4_jjP12ihipStream_tbEUlT_E_NS1_11comp_targetILNS1_3genE6ELNS1_11target_archE950ELNS1_3gpuE13ELNS1_3repE0EEENS1_52radix_sort_onesweep_histogram_config_static_selectorELNS0_4arch9wavefront6targetE0EEEvSD_ ; -- Begin function _ZN7rocprim17ROCPRIM_400000_NS6detail17trampoline_kernelINS0_14default_configENS1_35radix_sort_onesweep_config_selectorIfNS0_10empty_typeEEEZNS1_34radix_sort_onesweep_global_offsetsIS3_Lb1EPKfPS5_mNS0_19identity_decomposerEEE10hipError_tT1_T2_PT3_SF_jT4_jjP12ihipStream_tbEUlT_E_NS1_11comp_targetILNS1_3genE6ELNS1_11target_archE950ELNS1_3gpuE13ELNS1_3repE0EEENS1_52radix_sort_onesweep_histogram_config_static_selectorELNS0_4arch9wavefront6targetE0EEEvSD_
	.globl	_ZN7rocprim17ROCPRIM_400000_NS6detail17trampoline_kernelINS0_14default_configENS1_35radix_sort_onesweep_config_selectorIfNS0_10empty_typeEEEZNS1_34radix_sort_onesweep_global_offsetsIS3_Lb1EPKfPS5_mNS0_19identity_decomposerEEE10hipError_tT1_T2_PT3_SF_jT4_jjP12ihipStream_tbEUlT_E_NS1_11comp_targetILNS1_3genE6ELNS1_11target_archE950ELNS1_3gpuE13ELNS1_3repE0EEENS1_52radix_sort_onesweep_histogram_config_static_selectorELNS0_4arch9wavefront6targetE0EEEvSD_
	.p2align	8
	.type	_ZN7rocprim17ROCPRIM_400000_NS6detail17trampoline_kernelINS0_14default_configENS1_35radix_sort_onesweep_config_selectorIfNS0_10empty_typeEEEZNS1_34radix_sort_onesweep_global_offsetsIS3_Lb1EPKfPS5_mNS0_19identity_decomposerEEE10hipError_tT1_T2_PT3_SF_jT4_jjP12ihipStream_tbEUlT_E_NS1_11comp_targetILNS1_3genE6ELNS1_11target_archE950ELNS1_3gpuE13ELNS1_3repE0EEENS1_52radix_sort_onesweep_histogram_config_static_selectorELNS0_4arch9wavefront6targetE0EEEvSD_,@function
_ZN7rocprim17ROCPRIM_400000_NS6detail17trampoline_kernelINS0_14default_configENS1_35radix_sort_onesweep_config_selectorIfNS0_10empty_typeEEEZNS1_34radix_sort_onesweep_global_offsetsIS3_Lb1EPKfPS5_mNS0_19identity_decomposerEEE10hipError_tT1_T2_PT3_SF_jT4_jjP12ihipStream_tbEUlT_E_NS1_11comp_targetILNS1_3genE6ELNS1_11target_archE950ELNS1_3gpuE13ELNS1_3repE0EEENS1_52radix_sort_onesweep_histogram_config_static_selectorELNS0_4arch9wavefront6targetE0EEEvSD_: ; @_ZN7rocprim17ROCPRIM_400000_NS6detail17trampoline_kernelINS0_14default_configENS1_35radix_sort_onesweep_config_selectorIfNS0_10empty_typeEEEZNS1_34radix_sort_onesweep_global_offsetsIS3_Lb1EPKfPS5_mNS0_19identity_decomposerEEE10hipError_tT1_T2_PT3_SF_jT4_jjP12ihipStream_tbEUlT_E_NS1_11comp_targetILNS1_3genE6ELNS1_11target_archE950ELNS1_3gpuE13ELNS1_3repE0EEENS1_52radix_sort_onesweep_histogram_config_static_selectorELNS0_4arch9wavefront6targetE0EEEvSD_
; %bb.0:
	.section	.rodata,"a",@progbits
	.p2align	6, 0x0
	.amdhsa_kernel _ZN7rocprim17ROCPRIM_400000_NS6detail17trampoline_kernelINS0_14default_configENS1_35radix_sort_onesweep_config_selectorIfNS0_10empty_typeEEEZNS1_34radix_sort_onesweep_global_offsetsIS3_Lb1EPKfPS5_mNS0_19identity_decomposerEEE10hipError_tT1_T2_PT3_SF_jT4_jjP12ihipStream_tbEUlT_E_NS1_11comp_targetILNS1_3genE6ELNS1_11target_archE950ELNS1_3gpuE13ELNS1_3repE0EEENS1_52radix_sort_onesweep_histogram_config_static_selectorELNS0_4arch9wavefront6targetE0EEEvSD_
		.amdhsa_group_segment_fixed_size 0
		.amdhsa_private_segment_fixed_size 0
		.amdhsa_kernarg_size 48
		.amdhsa_user_sgpr_count 2
		.amdhsa_user_sgpr_dispatch_ptr 0
		.amdhsa_user_sgpr_queue_ptr 0
		.amdhsa_user_sgpr_kernarg_segment_ptr 1
		.amdhsa_user_sgpr_dispatch_id 0
		.amdhsa_user_sgpr_kernarg_preload_length 0
		.amdhsa_user_sgpr_kernarg_preload_offset 0
		.amdhsa_user_sgpr_private_segment_size 0
		.amdhsa_wavefront_size32 1
		.amdhsa_uses_dynamic_stack 0
		.amdhsa_enable_private_segment 0
		.amdhsa_system_sgpr_workgroup_id_x 1
		.amdhsa_system_sgpr_workgroup_id_y 0
		.amdhsa_system_sgpr_workgroup_id_z 0
		.amdhsa_system_sgpr_workgroup_info 0
		.amdhsa_system_vgpr_workitem_id 0
		.amdhsa_next_free_vgpr 1
		.amdhsa_next_free_sgpr 1
		.amdhsa_named_barrier_count 0
		.amdhsa_reserve_vcc 0
		.amdhsa_float_round_mode_32 0
		.amdhsa_float_round_mode_16_64 0
		.amdhsa_float_denorm_mode_32 3
		.amdhsa_float_denorm_mode_16_64 3
		.amdhsa_fp16_overflow 0
		.amdhsa_memory_ordered 1
		.amdhsa_forward_progress 1
		.amdhsa_inst_pref_size 0
		.amdhsa_round_robin_scheduling 0
		.amdhsa_exception_fp_ieee_invalid_op 0
		.amdhsa_exception_fp_denorm_src 0
		.amdhsa_exception_fp_ieee_div_zero 0
		.amdhsa_exception_fp_ieee_overflow 0
		.amdhsa_exception_fp_ieee_underflow 0
		.amdhsa_exception_fp_ieee_inexact 0
		.amdhsa_exception_int_div_zero 0
	.end_amdhsa_kernel
	.section	.text._ZN7rocprim17ROCPRIM_400000_NS6detail17trampoline_kernelINS0_14default_configENS1_35radix_sort_onesweep_config_selectorIfNS0_10empty_typeEEEZNS1_34radix_sort_onesweep_global_offsetsIS3_Lb1EPKfPS5_mNS0_19identity_decomposerEEE10hipError_tT1_T2_PT3_SF_jT4_jjP12ihipStream_tbEUlT_E_NS1_11comp_targetILNS1_3genE6ELNS1_11target_archE950ELNS1_3gpuE13ELNS1_3repE0EEENS1_52radix_sort_onesweep_histogram_config_static_selectorELNS0_4arch9wavefront6targetE0EEEvSD_,"axG",@progbits,_ZN7rocprim17ROCPRIM_400000_NS6detail17trampoline_kernelINS0_14default_configENS1_35radix_sort_onesweep_config_selectorIfNS0_10empty_typeEEEZNS1_34radix_sort_onesweep_global_offsetsIS3_Lb1EPKfPS5_mNS0_19identity_decomposerEEE10hipError_tT1_T2_PT3_SF_jT4_jjP12ihipStream_tbEUlT_E_NS1_11comp_targetILNS1_3genE6ELNS1_11target_archE950ELNS1_3gpuE13ELNS1_3repE0EEENS1_52radix_sort_onesweep_histogram_config_static_selectorELNS0_4arch9wavefront6targetE0EEEvSD_,comdat
.Lfunc_end1294:
	.size	_ZN7rocprim17ROCPRIM_400000_NS6detail17trampoline_kernelINS0_14default_configENS1_35radix_sort_onesweep_config_selectorIfNS0_10empty_typeEEEZNS1_34radix_sort_onesweep_global_offsetsIS3_Lb1EPKfPS5_mNS0_19identity_decomposerEEE10hipError_tT1_T2_PT3_SF_jT4_jjP12ihipStream_tbEUlT_E_NS1_11comp_targetILNS1_3genE6ELNS1_11target_archE950ELNS1_3gpuE13ELNS1_3repE0EEENS1_52radix_sort_onesweep_histogram_config_static_selectorELNS0_4arch9wavefront6targetE0EEEvSD_, .Lfunc_end1294-_ZN7rocprim17ROCPRIM_400000_NS6detail17trampoline_kernelINS0_14default_configENS1_35radix_sort_onesweep_config_selectorIfNS0_10empty_typeEEEZNS1_34radix_sort_onesweep_global_offsetsIS3_Lb1EPKfPS5_mNS0_19identity_decomposerEEE10hipError_tT1_T2_PT3_SF_jT4_jjP12ihipStream_tbEUlT_E_NS1_11comp_targetILNS1_3genE6ELNS1_11target_archE950ELNS1_3gpuE13ELNS1_3repE0EEENS1_52radix_sort_onesweep_histogram_config_static_selectorELNS0_4arch9wavefront6targetE0EEEvSD_
                                        ; -- End function
	.set _ZN7rocprim17ROCPRIM_400000_NS6detail17trampoline_kernelINS0_14default_configENS1_35radix_sort_onesweep_config_selectorIfNS0_10empty_typeEEEZNS1_34radix_sort_onesweep_global_offsetsIS3_Lb1EPKfPS5_mNS0_19identity_decomposerEEE10hipError_tT1_T2_PT3_SF_jT4_jjP12ihipStream_tbEUlT_E_NS1_11comp_targetILNS1_3genE6ELNS1_11target_archE950ELNS1_3gpuE13ELNS1_3repE0EEENS1_52radix_sort_onesweep_histogram_config_static_selectorELNS0_4arch9wavefront6targetE0EEEvSD_.num_vgpr, 0
	.set _ZN7rocprim17ROCPRIM_400000_NS6detail17trampoline_kernelINS0_14default_configENS1_35radix_sort_onesweep_config_selectorIfNS0_10empty_typeEEEZNS1_34radix_sort_onesweep_global_offsetsIS3_Lb1EPKfPS5_mNS0_19identity_decomposerEEE10hipError_tT1_T2_PT3_SF_jT4_jjP12ihipStream_tbEUlT_E_NS1_11comp_targetILNS1_3genE6ELNS1_11target_archE950ELNS1_3gpuE13ELNS1_3repE0EEENS1_52radix_sort_onesweep_histogram_config_static_selectorELNS0_4arch9wavefront6targetE0EEEvSD_.num_agpr, 0
	.set _ZN7rocprim17ROCPRIM_400000_NS6detail17trampoline_kernelINS0_14default_configENS1_35radix_sort_onesweep_config_selectorIfNS0_10empty_typeEEEZNS1_34radix_sort_onesweep_global_offsetsIS3_Lb1EPKfPS5_mNS0_19identity_decomposerEEE10hipError_tT1_T2_PT3_SF_jT4_jjP12ihipStream_tbEUlT_E_NS1_11comp_targetILNS1_3genE6ELNS1_11target_archE950ELNS1_3gpuE13ELNS1_3repE0EEENS1_52radix_sort_onesweep_histogram_config_static_selectorELNS0_4arch9wavefront6targetE0EEEvSD_.numbered_sgpr, 0
	.set _ZN7rocprim17ROCPRIM_400000_NS6detail17trampoline_kernelINS0_14default_configENS1_35radix_sort_onesweep_config_selectorIfNS0_10empty_typeEEEZNS1_34radix_sort_onesweep_global_offsetsIS3_Lb1EPKfPS5_mNS0_19identity_decomposerEEE10hipError_tT1_T2_PT3_SF_jT4_jjP12ihipStream_tbEUlT_E_NS1_11comp_targetILNS1_3genE6ELNS1_11target_archE950ELNS1_3gpuE13ELNS1_3repE0EEENS1_52radix_sort_onesweep_histogram_config_static_selectorELNS0_4arch9wavefront6targetE0EEEvSD_.num_named_barrier, 0
	.set _ZN7rocprim17ROCPRIM_400000_NS6detail17trampoline_kernelINS0_14default_configENS1_35radix_sort_onesweep_config_selectorIfNS0_10empty_typeEEEZNS1_34radix_sort_onesweep_global_offsetsIS3_Lb1EPKfPS5_mNS0_19identity_decomposerEEE10hipError_tT1_T2_PT3_SF_jT4_jjP12ihipStream_tbEUlT_E_NS1_11comp_targetILNS1_3genE6ELNS1_11target_archE950ELNS1_3gpuE13ELNS1_3repE0EEENS1_52radix_sort_onesweep_histogram_config_static_selectorELNS0_4arch9wavefront6targetE0EEEvSD_.private_seg_size, 0
	.set _ZN7rocprim17ROCPRIM_400000_NS6detail17trampoline_kernelINS0_14default_configENS1_35radix_sort_onesweep_config_selectorIfNS0_10empty_typeEEEZNS1_34radix_sort_onesweep_global_offsetsIS3_Lb1EPKfPS5_mNS0_19identity_decomposerEEE10hipError_tT1_T2_PT3_SF_jT4_jjP12ihipStream_tbEUlT_E_NS1_11comp_targetILNS1_3genE6ELNS1_11target_archE950ELNS1_3gpuE13ELNS1_3repE0EEENS1_52radix_sort_onesweep_histogram_config_static_selectorELNS0_4arch9wavefront6targetE0EEEvSD_.uses_vcc, 0
	.set _ZN7rocprim17ROCPRIM_400000_NS6detail17trampoline_kernelINS0_14default_configENS1_35radix_sort_onesweep_config_selectorIfNS0_10empty_typeEEEZNS1_34radix_sort_onesweep_global_offsetsIS3_Lb1EPKfPS5_mNS0_19identity_decomposerEEE10hipError_tT1_T2_PT3_SF_jT4_jjP12ihipStream_tbEUlT_E_NS1_11comp_targetILNS1_3genE6ELNS1_11target_archE950ELNS1_3gpuE13ELNS1_3repE0EEENS1_52radix_sort_onesweep_histogram_config_static_selectorELNS0_4arch9wavefront6targetE0EEEvSD_.uses_flat_scratch, 0
	.set _ZN7rocprim17ROCPRIM_400000_NS6detail17trampoline_kernelINS0_14default_configENS1_35radix_sort_onesweep_config_selectorIfNS0_10empty_typeEEEZNS1_34radix_sort_onesweep_global_offsetsIS3_Lb1EPKfPS5_mNS0_19identity_decomposerEEE10hipError_tT1_T2_PT3_SF_jT4_jjP12ihipStream_tbEUlT_E_NS1_11comp_targetILNS1_3genE6ELNS1_11target_archE950ELNS1_3gpuE13ELNS1_3repE0EEENS1_52radix_sort_onesweep_histogram_config_static_selectorELNS0_4arch9wavefront6targetE0EEEvSD_.has_dyn_sized_stack, 0
	.set _ZN7rocprim17ROCPRIM_400000_NS6detail17trampoline_kernelINS0_14default_configENS1_35radix_sort_onesweep_config_selectorIfNS0_10empty_typeEEEZNS1_34radix_sort_onesweep_global_offsetsIS3_Lb1EPKfPS5_mNS0_19identity_decomposerEEE10hipError_tT1_T2_PT3_SF_jT4_jjP12ihipStream_tbEUlT_E_NS1_11comp_targetILNS1_3genE6ELNS1_11target_archE950ELNS1_3gpuE13ELNS1_3repE0EEENS1_52radix_sort_onesweep_histogram_config_static_selectorELNS0_4arch9wavefront6targetE0EEEvSD_.has_recursion, 0
	.set _ZN7rocprim17ROCPRIM_400000_NS6detail17trampoline_kernelINS0_14default_configENS1_35radix_sort_onesweep_config_selectorIfNS0_10empty_typeEEEZNS1_34radix_sort_onesweep_global_offsetsIS3_Lb1EPKfPS5_mNS0_19identity_decomposerEEE10hipError_tT1_T2_PT3_SF_jT4_jjP12ihipStream_tbEUlT_E_NS1_11comp_targetILNS1_3genE6ELNS1_11target_archE950ELNS1_3gpuE13ELNS1_3repE0EEENS1_52radix_sort_onesweep_histogram_config_static_selectorELNS0_4arch9wavefront6targetE0EEEvSD_.has_indirect_call, 0
	.section	.AMDGPU.csdata,"",@progbits
; Kernel info:
; codeLenInByte = 0
; TotalNumSgprs: 0
; NumVgprs: 0
; ScratchSize: 0
; MemoryBound: 0
; FloatMode: 240
; IeeeMode: 1
; LDSByteSize: 0 bytes/workgroup (compile time only)
; SGPRBlocks: 0
; VGPRBlocks: 0
; NumSGPRsForWavesPerEU: 1
; NumVGPRsForWavesPerEU: 1
; NamedBarCnt: 0
; Occupancy: 16
; WaveLimiterHint : 0
; COMPUTE_PGM_RSRC2:SCRATCH_EN: 0
; COMPUTE_PGM_RSRC2:USER_SGPR: 2
; COMPUTE_PGM_RSRC2:TRAP_HANDLER: 0
; COMPUTE_PGM_RSRC2:TGID_X_EN: 1
; COMPUTE_PGM_RSRC2:TGID_Y_EN: 0
; COMPUTE_PGM_RSRC2:TGID_Z_EN: 0
; COMPUTE_PGM_RSRC2:TIDIG_COMP_CNT: 0
	.section	.text._ZN7rocprim17ROCPRIM_400000_NS6detail17trampoline_kernelINS0_14default_configENS1_35radix_sort_onesweep_config_selectorIfNS0_10empty_typeEEEZNS1_34radix_sort_onesweep_global_offsetsIS3_Lb1EPKfPS5_mNS0_19identity_decomposerEEE10hipError_tT1_T2_PT3_SF_jT4_jjP12ihipStream_tbEUlT_E_NS1_11comp_targetILNS1_3genE5ELNS1_11target_archE942ELNS1_3gpuE9ELNS1_3repE0EEENS1_52radix_sort_onesweep_histogram_config_static_selectorELNS0_4arch9wavefront6targetE0EEEvSD_,"axG",@progbits,_ZN7rocprim17ROCPRIM_400000_NS6detail17trampoline_kernelINS0_14default_configENS1_35radix_sort_onesweep_config_selectorIfNS0_10empty_typeEEEZNS1_34radix_sort_onesweep_global_offsetsIS3_Lb1EPKfPS5_mNS0_19identity_decomposerEEE10hipError_tT1_T2_PT3_SF_jT4_jjP12ihipStream_tbEUlT_E_NS1_11comp_targetILNS1_3genE5ELNS1_11target_archE942ELNS1_3gpuE9ELNS1_3repE0EEENS1_52radix_sort_onesweep_histogram_config_static_selectorELNS0_4arch9wavefront6targetE0EEEvSD_,comdat
	.protected	_ZN7rocprim17ROCPRIM_400000_NS6detail17trampoline_kernelINS0_14default_configENS1_35radix_sort_onesweep_config_selectorIfNS0_10empty_typeEEEZNS1_34radix_sort_onesweep_global_offsetsIS3_Lb1EPKfPS5_mNS0_19identity_decomposerEEE10hipError_tT1_T2_PT3_SF_jT4_jjP12ihipStream_tbEUlT_E_NS1_11comp_targetILNS1_3genE5ELNS1_11target_archE942ELNS1_3gpuE9ELNS1_3repE0EEENS1_52radix_sort_onesweep_histogram_config_static_selectorELNS0_4arch9wavefront6targetE0EEEvSD_ ; -- Begin function _ZN7rocprim17ROCPRIM_400000_NS6detail17trampoline_kernelINS0_14default_configENS1_35radix_sort_onesweep_config_selectorIfNS0_10empty_typeEEEZNS1_34radix_sort_onesweep_global_offsetsIS3_Lb1EPKfPS5_mNS0_19identity_decomposerEEE10hipError_tT1_T2_PT3_SF_jT4_jjP12ihipStream_tbEUlT_E_NS1_11comp_targetILNS1_3genE5ELNS1_11target_archE942ELNS1_3gpuE9ELNS1_3repE0EEENS1_52radix_sort_onesweep_histogram_config_static_selectorELNS0_4arch9wavefront6targetE0EEEvSD_
	.globl	_ZN7rocprim17ROCPRIM_400000_NS6detail17trampoline_kernelINS0_14default_configENS1_35radix_sort_onesweep_config_selectorIfNS0_10empty_typeEEEZNS1_34radix_sort_onesweep_global_offsetsIS3_Lb1EPKfPS5_mNS0_19identity_decomposerEEE10hipError_tT1_T2_PT3_SF_jT4_jjP12ihipStream_tbEUlT_E_NS1_11comp_targetILNS1_3genE5ELNS1_11target_archE942ELNS1_3gpuE9ELNS1_3repE0EEENS1_52radix_sort_onesweep_histogram_config_static_selectorELNS0_4arch9wavefront6targetE0EEEvSD_
	.p2align	8
	.type	_ZN7rocprim17ROCPRIM_400000_NS6detail17trampoline_kernelINS0_14default_configENS1_35radix_sort_onesweep_config_selectorIfNS0_10empty_typeEEEZNS1_34radix_sort_onesweep_global_offsetsIS3_Lb1EPKfPS5_mNS0_19identity_decomposerEEE10hipError_tT1_T2_PT3_SF_jT4_jjP12ihipStream_tbEUlT_E_NS1_11comp_targetILNS1_3genE5ELNS1_11target_archE942ELNS1_3gpuE9ELNS1_3repE0EEENS1_52radix_sort_onesweep_histogram_config_static_selectorELNS0_4arch9wavefront6targetE0EEEvSD_,@function
_ZN7rocprim17ROCPRIM_400000_NS6detail17trampoline_kernelINS0_14default_configENS1_35radix_sort_onesweep_config_selectorIfNS0_10empty_typeEEEZNS1_34radix_sort_onesweep_global_offsetsIS3_Lb1EPKfPS5_mNS0_19identity_decomposerEEE10hipError_tT1_T2_PT3_SF_jT4_jjP12ihipStream_tbEUlT_E_NS1_11comp_targetILNS1_3genE5ELNS1_11target_archE942ELNS1_3gpuE9ELNS1_3repE0EEENS1_52radix_sort_onesweep_histogram_config_static_selectorELNS0_4arch9wavefront6targetE0EEEvSD_: ; @_ZN7rocprim17ROCPRIM_400000_NS6detail17trampoline_kernelINS0_14default_configENS1_35radix_sort_onesweep_config_selectorIfNS0_10empty_typeEEEZNS1_34radix_sort_onesweep_global_offsetsIS3_Lb1EPKfPS5_mNS0_19identity_decomposerEEE10hipError_tT1_T2_PT3_SF_jT4_jjP12ihipStream_tbEUlT_E_NS1_11comp_targetILNS1_3genE5ELNS1_11target_archE942ELNS1_3gpuE9ELNS1_3repE0EEENS1_52radix_sort_onesweep_histogram_config_static_selectorELNS0_4arch9wavefront6targetE0EEEvSD_
; %bb.0:
	.section	.rodata,"a",@progbits
	.p2align	6, 0x0
	.amdhsa_kernel _ZN7rocprim17ROCPRIM_400000_NS6detail17trampoline_kernelINS0_14default_configENS1_35radix_sort_onesweep_config_selectorIfNS0_10empty_typeEEEZNS1_34radix_sort_onesweep_global_offsetsIS3_Lb1EPKfPS5_mNS0_19identity_decomposerEEE10hipError_tT1_T2_PT3_SF_jT4_jjP12ihipStream_tbEUlT_E_NS1_11comp_targetILNS1_3genE5ELNS1_11target_archE942ELNS1_3gpuE9ELNS1_3repE0EEENS1_52radix_sort_onesweep_histogram_config_static_selectorELNS0_4arch9wavefront6targetE0EEEvSD_
		.amdhsa_group_segment_fixed_size 0
		.amdhsa_private_segment_fixed_size 0
		.amdhsa_kernarg_size 48
		.amdhsa_user_sgpr_count 2
		.amdhsa_user_sgpr_dispatch_ptr 0
		.amdhsa_user_sgpr_queue_ptr 0
		.amdhsa_user_sgpr_kernarg_segment_ptr 1
		.amdhsa_user_sgpr_dispatch_id 0
		.amdhsa_user_sgpr_kernarg_preload_length 0
		.amdhsa_user_sgpr_kernarg_preload_offset 0
		.amdhsa_user_sgpr_private_segment_size 0
		.amdhsa_wavefront_size32 1
		.amdhsa_uses_dynamic_stack 0
		.amdhsa_enable_private_segment 0
		.amdhsa_system_sgpr_workgroup_id_x 1
		.amdhsa_system_sgpr_workgroup_id_y 0
		.amdhsa_system_sgpr_workgroup_id_z 0
		.amdhsa_system_sgpr_workgroup_info 0
		.amdhsa_system_vgpr_workitem_id 0
		.amdhsa_next_free_vgpr 1
		.amdhsa_next_free_sgpr 1
		.amdhsa_named_barrier_count 0
		.amdhsa_reserve_vcc 0
		.amdhsa_float_round_mode_32 0
		.amdhsa_float_round_mode_16_64 0
		.amdhsa_float_denorm_mode_32 3
		.amdhsa_float_denorm_mode_16_64 3
		.amdhsa_fp16_overflow 0
		.amdhsa_memory_ordered 1
		.amdhsa_forward_progress 1
		.amdhsa_inst_pref_size 0
		.amdhsa_round_robin_scheduling 0
		.amdhsa_exception_fp_ieee_invalid_op 0
		.amdhsa_exception_fp_denorm_src 0
		.amdhsa_exception_fp_ieee_div_zero 0
		.amdhsa_exception_fp_ieee_overflow 0
		.amdhsa_exception_fp_ieee_underflow 0
		.amdhsa_exception_fp_ieee_inexact 0
		.amdhsa_exception_int_div_zero 0
	.end_amdhsa_kernel
	.section	.text._ZN7rocprim17ROCPRIM_400000_NS6detail17trampoline_kernelINS0_14default_configENS1_35radix_sort_onesweep_config_selectorIfNS0_10empty_typeEEEZNS1_34radix_sort_onesweep_global_offsetsIS3_Lb1EPKfPS5_mNS0_19identity_decomposerEEE10hipError_tT1_T2_PT3_SF_jT4_jjP12ihipStream_tbEUlT_E_NS1_11comp_targetILNS1_3genE5ELNS1_11target_archE942ELNS1_3gpuE9ELNS1_3repE0EEENS1_52radix_sort_onesweep_histogram_config_static_selectorELNS0_4arch9wavefront6targetE0EEEvSD_,"axG",@progbits,_ZN7rocprim17ROCPRIM_400000_NS6detail17trampoline_kernelINS0_14default_configENS1_35radix_sort_onesweep_config_selectorIfNS0_10empty_typeEEEZNS1_34radix_sort_onesweep_global_offsetsIS3_Lb1EPKfPS5_mNS0_19identity_decomposerEEE10hipError_tT1_T2_PT3_SF_jT4_jjP12ihipStream_tbEUlT_E_NS1_11comp_targetILNS1_3genE5ELNS1_11target_archE942ELNS1_3gpuE9ELNS1_3repE0EEENS1_52radix_sort_onesweep_histogram_config_static_selectorELNS0_4arch9wavefront6targetE0EEEvSD_,comdat
.Lfunc_end1295:
	.size	_ZN7rocprim17ROCPRIM_400000_NS6detail17trampoline_kernelINS0_14default_configENS1_35radix_sort_onesweep_config_selectorIfNS0_10empty_typeEEEZNS1_34radix_sort_onesweep_global_offsetsIS3_Lb1EPKfPS5_mNS0_19identity_decomposerEEE10hipError_tT1_T2_PT3_SF_jT4_jjP12ihipStream_tbEUlT_E_NS1_11comp_targetILNS1_3genE5ELNS1_11target_archE942ELNS1_3gpuE9ELNS1_3repE0EEENS1_52radix_sort_onesweep_histogram_config_static_selectorELNS0_4arch9wavefront6targetE0EEEvSD_, .Lfunc_end1295-_ZN7rocprim17ROCPRIM_400000_NS6detail17trampoline_kernelINS0_14default_configENS1_35radix_sort_onesweep_config_selectorIfNS0_10empty_typeEEEZNS1_34radix_sort_onesweep_global_offsetsIS3_Lb1EPKfPS5_mNS0_19identity_decomposerEEE10hipError_tT1_T2_PT3_SF_jT4_jjP12ihipStream_tbEUlT_E_NS1_11comp_targetILNS1_3genE5ELNS1_11target_archE942ELNS1_3gpuE9ELNS1_3repE0EEENS1_52radix_sort_onesweep_histogram_config_static_selectorELNS0_4arch9wavefront6targetE0EEEvSD_
                                        ; -- End function
	.set _ZN7rocprim17ROCPRIM_400000_NS6detail17trampoline_kernelINS0_14default_configENS1_35radix_sort_onesweep_config_selectorIfNS0_10empty_typeEEEZNS1_34radix_sort_onesweep_global_offsetsIS3_Lb1EPKfPS5_mNS0_19identity_decomposerEEE10hipError_tT1_T2_PT3_SF_jT4_jjP12ihipStream_tbEUlT_E_NS1_11comp_targetILNS1_3genE5ELNS1_11target_archE942ELNS1_3gpuE9ELNS1_3repE0EEENS1_52radix_sort_onesweep_histogram_config_static_selectorELNS0_4arch9wavefront6targetE0EEEvSD_.num_vgpr, 0
	.set _ZN7rocprim17ROCPRIM_400000_NS6detail17trampoline_kernelINS0_14default_configENS1_35radix_sort_onesweep_config_selectorIfNS0_10empty_typeEEEZNS1_34radix_sort_onesweep_global_offsetsIS3_Lb1EPKfPS5_mNS0_19identity_decomposerEEE10hipError_tT1_T2_PT3_SF_jT4_jjP12ihipStream_tbEUlT_E_NS1_11comp_targetILNS1_3genE5ELNS1_11target_archE942ELNS1_3gpuE9ELNS1_3repE0EEENS1_52radix_sort_onesweep_histogram_config_static_selectorELNS0_4arch9wavefront6targetE0EEEvSD_.num_agpr, 0
	.set _ZN7rocprim17ROCPRIM_400000_NS6detail17trampoline_kernelINS0_14default_configENS1_35radix_sort_onesweep_config_selectorIfNS0_10empty_typeEEEZNS1_34radix_sort_onesweep_global_offsetsIS3_Lb1EPKfPS5_mNS0_19identity_decomposerEEE10hipError_tT1_T2_PT3_SF_jT4_jjP12ihipStream_tbEUlT_E_NS1_11comp_targetILNS1_3genE5ELNS1_11target_archE942ELNS1_3gpuE9ELNS1_3repE0EEENS1_52radix_sort_onesweep_histogram_config_static_selectorELNS0_4arch9wavefront6targetE0EEEvSD_.numbered_sgpr, 0
	.set _ZN7rocprim17ROCPRIM_400000_NS6detail17trampoline_kernelINS0_14default_configENS1_35radix_sort_onesweep_config_selectorIfNS0_10empty_typeEEEZNS1_34radix_sort_onesweep_global_offsetsIS3_Lb1EPKfPS5_mNS0_19identity_decomposerEEE10hipError_tT1_T2_PT3_SF_jT4_jjP12ihipStream_tbEUlT_E_NS1_11comp_targetILNS1_3genE5ELNS1_11target_archE942ELNS1_3gpuE9ELNS1_3repE0EEENS1_52radix_sort_onesweep_histogram_config_static_selectorELNS0_4arch9wavefront6targetE0EEEvSD_.num_named_barrier, 0
	.set _ZN7rocprim17ROCPRIM_400000_NS6detail17trampoline_kernelINS0_14default_configENS1_35radix_sort_onesweep_config_selectorIfNS0_10empty_typeEEEZNS1_34radix_sort_onesweep_global_offsetsIS3_Lb1EPKfPS5_mNS0_19identity_decomposerEEE10hipError_tT1_T2_PT3_SF_jT4_jjP12ihipStream_tbEUlT_E_NS1_11comp_targetILNS1_3genE5ELNS1_11target_archE942ELNS1_3gpuE9ELNS1_3repE0EEENS1_52radix_sort_onesweep_histogram_config_static_selectorELNS0_4arch9wavefront6targetE0EEEvSD_.private_seg_size, 0
	.set _ZN7rocprim17ROCPRIM_400000_NS6detail17trampoline_kernelINS0_14default_configENS1_35radix_sort_onesweep_config_selectorIfNS0_10empty_typeEEEZNS1_34radix_sort_onesweep_global_offsetsIS3_Lb1EPKfPS5_mNS0_19identity_decomposerEEE10hipError_tT1_T2_PT3_SF_jT4_jjP12ihipStream_tbEUlT_E_NS1_11comp_targetILNS1_3genE5ELNS1_11target_archE942ELNS1_3gpuE9ELNS1_3repE0EEENS1_52radix_sort_onesweep_histogram_config_static_selectorELNS0_4arch9wavefront6targetE0EEEvSD_.uses_vcc, 0
	.set _ZN7rocprim17ROCPRIM_400000_NS6detail17trampoline_kernelINS0_14default_configENS1_35radix_sort_onesweep_config_selectorIfNS0_10empty_typeEEEZNS1_34radix_sort_onesweep_global_offsetsIS3_Lb1EPKfPS5_mNS0_19identity_decomposerEEE10hipError_tT1_T2_PT3_SF_jT4_jjP12ihipStream_tbEUlT_E_NS1_11comp_targetILNS1_3genE5ELNS1_11target_archE942ELNS1_3gpuE9ELNS1_3repE0EEENS1_52radix_sort_onesweep_histogram_config_static_selectorELNS0_4arch9wavefront6targetE0EEEvSD_.uses_flat_scratch, 0
	.set _ZN7rocprim17ROCPRIM_400000_NS6detail17trampoline_kernelINS0_14default_configENS1_35radix_sort_onesweep_config_selectorIfNS0_10empty_typeEEEZNS1_34radix_sort_onesweep_global_offsetsIS3_Lb1EPKfPS5_mNS0_19identity_decomposerEEE10hipError_tT1_T2_PT3_SF_jT4_jjP12ihipStream_tbEUlT_E_NS1_11comp_targetILNS1_3genE5ELNS1_11target_archE942ELNS1_3gpuE9ELNS1_3repE0EEENS1_52radix_sort_onesweep_histogram_config_static_selectorELNS0_4arch9wavefront6targetE0EEEvSD_.has_dyn_sized_stack, 0
	.set _ZN7rocprim17ROCPRIM_400000_NS6detail17trampoline_kernelINS0_14default_configENS1_35radix_sort_onesweep_config_selectorIfNS0_10empty_typeEEEZNS1_34radix_sort_onesweep_global_offsetsIS3_Lb1EPKfPS5_mNS0_19identity_decomposerEEE10hipError_tT1_T2_PT3_SF_jT4_jjP12ihipStream_tbEUlT_E_NS1_11comp_targetILNS1_3genE5ELNS1_11target_archE942ELNS1_3gpuE9ELNS1_3repE0EEENS1_52radix_sort_onesweep_histogram_config_static_selectorELNS0_4arch9wavefront6targetE0EEEvSD_.has_recursion, 0
	.set _ZN7rocprim17ROCPRIM_400000_NS6detail17trampoline_kernelINS0_14default_configENS1_35radix_sort_onesweep_config_selectorIfNS0_10empty_typeEEEZNS1_34radix_sort_onesweep_global_offsetsIS3_Lb1EPKfPS5_mNS0_19identity_decomposerEEE10hipError_tT1_T2_PT3_SF_jT4_jjP12ihipStream_tbEUlT_E_NS1_11comp_targetILNS1_3genE5ELNS1_11target_archE942ELNS1_3gpuE9ELNS1_3repE0EEENS1_52radix_sort_onesweep_histogram_config_static_selectorELNS0_4arch9wavefront6targetE0EEEvSD_.has_indirect_call, 0
	.section	.AMDGPU.csdata,"",@progbits
; Kernel info:
; codeLenInByte = 0
; TotalNumSgprs: 0
; NumVgprs: 0
; ScratchSize: 0
; MemoryBound: 0
; FloatMode: 240
; IeeeMode: 1
; LDSByteSize: 0 bytes/workgroup (compile time only)
; SGPRBlocks: 0
; VGPRBlocks: 0
; NumSGPRsForWavesPerEU: 1
; NumVGPRsForWavesPerEU: 1
; NamedBarCnt: 0
; Occupancy: 16
; WaveLimiterHint : 0
; COMPUTE_PGM_RSRC2:SCRATCH_EN: 0
; COMPUTE_PGM_RSRC2:USER_SGPR: 2
; COMPUTE_PGM_RSRC2:TRAP_HANDLER: 0
; COMPUTE_PGM_RSRC2:TGID_X_EN: 1
; COMPUTE_PGM_RSRC2:TGID_Y_EN: 0
; COMPUTE_PGM_RSRC2:TGID_Z_EN: 0
; COMPUTE_PGM_RSRC2:TIDIG_COMP_CNT: 0
	.section	.text._ZN7rocprim17ROCPRIM_400000_NS6detail17trampoline_kernelINS0_14default_configENS1_35radix_sort_onesweep_config_selectorIfNS0_10empty_typeEEEZNS1_34radix_sort_onesweep_global_offsetsIS3_Lb1EPKfPS5_mNS0_19identity_decomposerEEE10hipError_tT1_T2_PT3_SF_jT4_jjP12ihipStream_tbEUlT_E_NS1_11comp_targetILNS1_3genE2ELNS1_11target_archE906ELNS1_3gpuE6ELNS1_3repE0EEENS1_52radix_sort_onesweep_histogram_config_static_selectorELNS0_4arch9wavefront6targetE0EEEvSD_,"axG",@progbits,_ZN7rocprim17ROCPRIM_400000_NS6detail17trampoline_kernelINS0_14default_configENS1_35radix_sort_onesweep_config_selectorIfNS0_10empty_typeEEEZNS1_34radix_sort_onesweep_global_offsetsIS3_Lb1EPKfPS5_mNS0_19identity_decomposerEEE10hipError_tT1_T2_PT3_SF_jT4_jjP12ihipStream_tbEUlT_E_NS1_11comp_targetILNS1_3genE2ELNS1_11target_archE906ELNS1_3gpuE6ELNS1_3repE0EEENS1_52radix_sort_onesweep_histogram_config_static_selectorELNS0_4arch9wavefront6targetE0EEEvSD_,comdat
	.protected	_ZN7rocprim17ROCPRIM_400000_NS6detail17trampoline_kernelINS0_14default_configENS1_35radix_sort_onesweep_config_selectorIfNS0_10empty_typeEEEZNS1_34radix_sort_onesweep_global_offsetsIS3_Lb1EPKfPS5_mNS0_19identity_decomposerEEE10hipError_tT1_T2_PT3_SF_jT4_jjP12ihipStream_tbEUlT_E_NS1_11comp_targetILNS1_3genE2ELNS1_11target_archE906ELNS1_3gpuE6ELNS1_3repE0EEENS1_52radix_sort_onesweep_histogram_config_static_selectorELNS0_4arch9wavefront6targetE0EEEvSD_ ; -- Begin function _ZN7rocprim17ROCPRIM_400000_NS6detail17trampoline_kernelINS0_14default_configENS1_35radix_sort_onesweep_config_selectorIfNS0_10empty_typeEEEZNS1_34radix_sort_onesweep_global_offsetsIS3_Lb1EPKfPS5_mNS0_19identity_decomposerEEE10hipError_tT1_T2_PT3_SF_jT4_jjP12ihipStream_tbEUlT_E_NS1_11comp_targetILNS1_3genE2ELNS1_11target_archE906ELNS1_3gpuE6ELNS1_3repE0EEENS1_52radix_sort_onesweep_histogram_config_static_selectorELNS0_4arch9wavefront6targetE0EEEvSD_
	.globl	_ZN7rocprim17ROCPRIM_400000_NS6detail17trampoline_kernelINS0_14default_configENS1_35radix_sort_onesweep_config_selectorIfNS0_10empty_typeEEEZNS1_34radix_sort_onesweep_global_offsetsIS3_Lb1EPKfPS5_mNS0_19identity_decomposerEEE10hipError_tT1_T2_PT3_SF_jT4_jjP12ihipStream_tbEUlT_E_NS1_11comp_targetILNS1_3genE2ELNS1_11target_archE906ELNS1_3gpuE6ELNS1_3repE0EEENS1_52radix_sort_onesweep_histogram_config_static_selectorELNS0_4arch9wavefront6targetE0EEEvSD_
	.p2align	8
	.type	_ZN7rocprim17ROCPRIM_400000_NS6detail17trampoline_kernelINS0_14default_configENS1_35radix_sort_onesweep_config_selectorIfNS0_10empty_typeEEEZNS1_34radix_sort_onesweep_global_offsetsIS3_Lb1EPKfPS5_mNS0_19identity_decomposerEEE10hipError_tT1_T2_PT3_SF_jT4_jjP12ihipStream_tbEUlT_E_NS1_11comp_targetILNS1_3genE2ELNS1_11target_archE906ELNS1_3gpuE6ELNS1_3repE0EEENS1_52radix_sort_onesweep_histogram_config_static_selectorELNS0_4arch9wavefront6targetE0EEEvSD_,@function
_ZN7rocprim17ROCPRIM_400000_NS6detail17trampoline_kernelINS0_14default_configENS1_35radix_sort_onesweep_config_selectorIfNS0_10empty_typeEEEZNS1_34radix_sort_onesweep_global_offsetsIS3_Lb1EPKfPS5_mNS0_19identity_decomposerEEE10hipError_tT1_T2_PT3_SF_jT4_jjP12ihipStream_tbEUlT_E_NS1_11comp_targetILNS1_3genE2ELNS1_11target_archE906ELNS1_3gpuE6ELNS1_3repE0EEENS1_52radix_sort_onesweep_histogram_config_static_selectorELNS0_4arch9wavefront6targetE0EEEvSD_: ; @_ZN7rocprim17ROCPRIM_400000_NS6detail17trampoline_kernelINS0_14default_configENS1_35radix_sort_onesweep_config_selectorIfNS0_10empty_typeEEEZNS1_34radix_sort_onesweep_global_offsetsIS3_Lb1EPKfPS5_mNS0_19identity_decomposerEEE10hipError_tT1_T2_PT3_SF_jT4_jjP12ihipStream_tbEUlT_E_NS1_11comp_targetILNS1_3genE2ELNS1_11target_archE906ELNS1_3gpuE6ELNS1_3repE0EEENS1_52radix_sort_onesweep_histogram_config_static_selectorELNS0_4arch9wavefront6targetE0EEEvSD_
; %bb.0:
	.section	.rodata,"a",@progbits
	.p2align	6, 0x0
	.amdhsa_kernel _ZN7rocprim17ROCPRIM_400000_NS6detail17trampoline_kernelINS0_14default_configENS1_35radix_sort_onesweep_config_selectorIfNS0_10empty_typeEEEZNS1_34radix_sort_onesweep_global_offsetsIS3_Lb1EPKfPS5_mNS0_19identity_decomposerEEE10hipError_tT1_T2_PT3_SF_jT4_jjP12ihipStream_tbEUlT_E_NS1_11comp_targetILNS1_3genE2ELNS1_11target_archE906ELNS1_3gpuE6ELNS1_3repE0EEENS1_52radix_sort_onesweep_histogram_config_static_selectorELNS0_4arch9wavefront6targetE0EEEvSD_
		.amdhsa_group_segment_fixed_size 0
		.amdhsa_private_segment_fixed_size 0
		.amdhsa_kernarg_size 48
		.amdhsa_user_sgpr_count 2
		.amdhsa_user_sgpr_dispatch_ptr 0
		.amdhsa_user_sgpr_queue_ptr 0
		.amdhsa_user_sgpr_kernarg_segment_ptr 1
		.amdhsa_user_sgpr_dispatch_id 0
		.amdhsa_user_sgpr_kernarg_preload_length 0
		.amdhsa_user_sgpr_kernarg_preload_offset 0
		.amdhsa_user_sgpr_private_segment_size 0
		.amdhsa_wavefront_size32 1
		.amdhsa_uses_dynamic_stack 0
		.amdhsa_enable_private_segment 0
		.amdhsa_system_sgpr_workgroup_id_x 1
		.amdhsa_system_sgpr_workgroup_id_y 0
		.amdhsa_system_sgpr_workgroup_id_z 0
		.amdhsa_system_sgpr_workgroup_info 0
		.amdhsa_system_vgpr_workitem_id 0
		.amdhsa_next_free_vgpr 1
		.amdhsa_next_free_sgpr 1
		.amdhsa_named_barrier_count 0
		.amdhsa_reserve_vcc 0
		.amdhsa_float_round_mode_32 0
		.amdhsa_float_round_mode_16_64 0
		.amdhsa_float_denorm_mode_32 3
		.amdhsa_float_denorm_mode_16_64 3
		.amdhsa_fp16_overflow 0
		.amdhsa_memory_ordered 1
		.amdhsa_forward_progress 1
		.amdhsa_inst_pref_size 0
		.amdhsa_round_robin_scheduling 0
		.amdhsa_exception_fp_ieee_invalid_op 0
		.amdhsa_exception_fp_denorm_src 0
		.amdhsa_exception_fp_ieee_div_zero 0
		.amdhsa_exception_fp_ieee_overflow 0
		.amdhsa_exception_fp_ieee_underflow 0
		.amdhsa_exception_fp_ieee_inexact 0
		.amdhsa_exception_int_div_zero 0
	.end_amdhsa_kernel
	.section	.text._ZN7rocprim17ROCPRIM_400000_NS6detail17trampoline_kernelINS0_14default_configENS1_35radix_sort_onesweep_config_selectorIfNS0_10empty_typeEEEZNS1_34radix_sort_onesweep_global_offsetsIS3_Lb1EPKfPS5_mNS0_19identity_decomposerEEE10hipError_tT1_T2_PT3_SF_jT4_jjP12ihipStream_tbEUlT_E_NS1_11comp_targetILNS1_3genE2ELNS1_11target_archE906ELNS1_3gpuE6ELNS1_3repE0EEENS1_52radix_sort_onesweep_histogram_config_static_selectorELNS0_4arch9wavefront6targetE0EEEvSD_,"axG",@progbits,_ZN7rocprim17ROCPRIM_400000_NS6detail17trampoline_kernelINS0_14default_configENS1_35radix_sort_onesweep_config_selectorIfNS0_10empty_typeEEEZNS1_34radix_sort_onesweep_global_offsetsIS3_Lb1EPKfPS5_mNS0_19identity_decomposerEEE10hipError_tT1_T2_PT3_SF_jT4_jjP12ihipStream_tbEUlT_E_NS1_11comp_targetILNS1_3genE2ELNS1_11target_archE906ELNS1_3gpuE6ELNS1_3repE0EEENS1_52radix_sort_onesweep_histogram_config_static_selectorELNS0_4arch9wavefront6targetE0EEEvSD_,comdat
.Lfunc_end1296:
	.size	_ZN7rocprim17ROCPRIM_400000_NS6detail17trampoline_kernelINS0_14default_configENS1_35radix_sort_onesweep_config_selectorIfNS0_10empty_typeEEEZNS1_34radix_sort_onesweep_global_offsetsIS3_Lb1EPKfPS5_mNS0_19identity_decomposerEEE10hipError_tT1_T2_PT3_SF_jT4_jjP12ihipStream_tbEUlT_E_NS1_11comp_targetILNS1_3genE2ELNS1_11target_archE906ELNS1_3gpuE6ELNS1_3repE0EEENS1_52radix_sort_onesweep_histogram_config_static_selectorELNS0_4arch9wavefront6targetE0EEEvSD_, .Lfunc_end1296-_ZN7rocprim17ROCPRIM_400000_NS6detail17trampoline_kernelINS0_14default_configENS1_35radix_sort_onesweep_config_selectorIfNS0_10empty_typeEEEZNS1_34radix_sort_onesweep_global_offsetsIS3_Lb1EPKfPS5_mNS0_19identity_decomposerEEE10hipError_tT1_T2_PT3_SF_jT4_jjP12ihipStream_tbEUlT_E_NS1_11comp_targetILNS1_3genE2ELNS1_11target_archE906ELNS1_3gpuE6ELNS1_3repE0EEENS1_52radix_sort_onesweep_histogram_config_static_selectorELNS0_4arch9wavefront6targetE0EEEvSD_
                                        ; -- End function
	.set _ZN7rocprim17ROCPRIM_400000_NS6detail17trampoline_kernelINS0_14default_configENS1_35radix_sort_onesweep_config_selectorIfNS0_10empty_typeEEEZNS1_34radix_sort_onesweep_global_offsetsIS3_Lb1EPKfPS5_mNS0_19identity_decomposerEEE10hipError_tT1_T2_PT3_SF_jT4_jjP12ihipStream_tbEUlT_E_NS1_11comp_targetILNS1_3genE2ELNS1_11target_archE906ELNS1_3gpuE6ELNS1_3repE0EEENS1_52radix_sort_onesweep_histogram_config_static_selectorELNS0_4arch9wavefront6targetE0EEEvSD_.num_vgpr, 0
	.set _ZN7rocprim17ROCPRIM_400000_NS6detail17trampoline_kernelINS0_14default_configENS1_35radix_sort_onesweep_config_selectorIfNS0_10empty_typeEEEZNS1_34radix_sort_onesweep_global_offsetsIS3_Lb1EPKfPS5_mNS0_19identity_decomposerEEE10hipError_tT1_T2_PT3_SF_jT4_jjP12ihipStream_tbEUlT_E_NS1_11comp_targetILNS1_3genE2ELNS1_11target_archE906ELNS1_3gpuE6ELNS1_3repE0EEENS1_52radix_sort_onesweep_histogram_config_static_selectorELNS0_4arch9wavefront6targetE0EEEvSD_.num_agpr, 0
	.set _ZN7rocprim17ROCPRIM_400000_NS6detail17trampoline_kernelINS0_14default_configENS1_35radix_sort_onesweep_config_selectorIfNS0_10empty_typeEEEZNS1_34radix_sort_onesweep_global_offsetsIS3_Lb1EPKfPS5_mNS0_19identity_decomposerEEE10hipError_tT1_T2_PT3_SF_jT4_jjP12ihipStream_tbEUlT_E_NS1_11comp_targetILNS1_3genE2ELNS1_11target_archE906ELNS1_3gpuE6ELNS1_3repE0EEENS1_52radix_sort_onesweep_histogram_config_static_selectorELNS0_4arch9wavefront6targetE0EEEvSD_.numbered_sgpr, 0
	.set _ZN7rocprim17ROCPRIM_400000_NS6detail17trampoline_kernelINS0_14default_configENS1_35radix_sort_onesweep_config_selectorIfNS0_10empty_typeEEEZNS1_34radix_sort_onesweep_global_offsetsIS3_Lb1EPKfPS5_mNS0_19identity_decomposerEEE10hipError_tT1_T2_PT3_SF_jT4_jjP12ihipStream_tbEUlT_E_NS1_11comp_targetILNS1_3genE2ELNS1_11target_archE906ELNS1_3gpuE6ELNS1_3repE0EEENS1_52radix_sort_onesweep_histogram_config_static_selectorELNS0_4arch9wavefront6targetE0EEEvSD_.num_named_barrier, 0
	.set _ZN7rocprim17ROCPRIM_400000_NS6detail17trampoline_kernelINS0_14default_configENS1_35radix_sort_onesweep_config_selectorIfNS0_10empty_typeEEEZNS1_34radix_sort_onesweep_global_offsetsIS3_Lb1EPKfPS5_mNS0_19identity_decomposerEEE10hipError_tT1_T2_PT3_SF_jT4_jjP12ihipStream_tbEUlT_E_NS1_11comp_targetILNS1_3genE2ELNS1_11target_archE906ELNS1_3gpuE6ELNS1_3repE0EEENS1_52radix_sort_onesweep_histogram_config_static_selectorELNS0_4arch9wavefront6targetE0EEEvSD_.private_seg_size, 0
	.set _ZN7rocprim17ROCPRIM_400000_NS6detail17trampoline_kernelINS0_14default_configENS1_35radix_sort_onesweep_config_selectorIfNS0_10empty_typeEEEZNS1_34radix_sort_onesweep_global_offsetsIS3_Lb1EPKfPS5_mNS0_19identity_decomposerEEE10hipError_tT1_T2_PT3_SF_jT4_jjP12ihipStream_tbEUlT_E_NS1_11comp_targetILNS1_3genE2ELNS1_11target_archE906ELNS1_3gpuE6ELNS1_3repE0EEENS1_52radix_sort_onesweep_histogram_config_static_selectorELNS0_4arch9wavefront6targetE0EEEvSD_.uses_vcc, 0
	.set _ZN7rocprim17ROCPRIM_400000_NS6detail17trampoline_kernelINS0_14default_configENS1_35radix_sort_onesweep_config_selectorIfNS0_10empty_typeEEEZNS1_34radix_sort_onesweep_global_offsetsIS3_Lb1EPKfPS5_mNS0_19identity_decomposerEEE10hipError_tT1_T2_PT3_SF_jT4_jjP12ihipStream_tbEUlT_E_NS1_11comp_targetILNS1_3genE2ELNS1_11target_archE906ELNS1_3gpuE6ELNS1_3repE0EEENS1_52radix_sort_onesweep_histogram_config_static_selectorELNS0_4arch9wavefront6targetE0EEEvSD_.uses_flat_scratch, 0
	.set _ZN7rocprim17ROCPRIM_400000_NS6detail17trampoline_kernelINS0_14default_configENS1_35radix_sort_onesweep_config_selectorIfNS0_10empty_typeEEEZNS1_34radix_sort_onesweep_global_offsetsIS3_Lb1EPKfPS5_mNS0_19identity_decomposerEEE10hipError_tT1_T2_PT3_SF_jT4_jjP12ihipStream_tbEUlT_E_NS1_11comp_targetILNS1_3genE2ELNS1_11target_archE906ELNS1_3gpuE6ELNS1_3repE0EEENS1_52radix_sort_onesweep_histogram_config_static_selectorELNS0_4arch9wavefront6targetE0EEEvSD_.has_dyn_sized_stack, 0
	.set _ZN7rocprim17ROCPRIM_400000_NS6detail17trampoline_kernelINS0_14default_configENS1_35radix_sort_onesweep_config_selectorIfNS0_10empty_typeEEEZNS1_34radix_sort_onesweep_global_offsetsIS3_Lb1EPKfPS5_mNS0_19identity_decomposerEEE10hipError_tT1_T2_PT3_SF_jT4_jjP12ihipStream_tbEUlT_E_NS1_11comp_targetILNS1_3genE2ELNS1_11target_archE906ELNS1_3gpuE6ELNS1_3repE0EEENS1_52radix_sort_onesweep_histogram_config_static_selectorELNS0_4arch9wavefront6targetE0EEEvSD_.has_recursion, 0
	.set _ZN7rocprim17ROCPRIM_400000_NS6detail17trampoline_kernelINS0_14default_configENS1_35radix_sort_onesweep_config_selectorIfNS0_10empty_typeEEEZNS1_34radix_sort_onesweep_global_offsetsIS3_Lb1EPKfPS5_mNS0_19identity_decomposerEEE10hipError_tT1_T2_PT3_SF_jT4_jjP12ihipStream_tbEUlT_E_NS1_11comp_targetILNS1_3genE2ELNS1_11target_archE906ELNS1_3gpuE6ELNS1_3repE0EEENS1_52radix_sort_onesweep_histogram_config_static_selectorELNS0_4arch9wavefront6targetE0EEEvSD_.has_indirect_call, 0
	.section	.AMDGPU.csdata,"",@progbits
; Kernel info:
; codeLenInByte = 0
; TotalNumSgprs: 0
; NumVgprs: 0
; ScratchSize: 0
; MemoryBound: 0
; FloatMode: 240
; IeeeMode: 1
; LDSByteSize: 0 bytes/workgroup (compile time only)
; SGPRBlocks: 0
; VGPRBlocks: 0
; NumSGPRsForWavesPerEU: 1
; NumVGPRsForWavesPerEU: 1
; NamedBarCnt: 0
; Occupancy: 16
; WaveLimiterHint : 0
; COMPUTE_PGM_RSRC2:SCRATCH_EN: 0
; COMPUTE_PGM_RSRC2:USER_SGPR: 2
; COMPUTE_PGM_RSRC2:TRAP_HANDLER: 0
; COMPUTE_PGM_RSRC2:TGID_X_EN: 1
; COMPUTE_PGM_RSRC2:TGID_Y_EN: 0
; COMPUTE_PGM_RSRC2:TGID_Z_EN: 0
; COMPUTE_PGM_RSRC2:TIDIG_COMP_CNT: 0
	.section	.text._ZN7rocprim17ROCPRIM_400000_NS6detail17trampoline_kernelINS0_14default_configENS1_35radix_sort_onesweep_config_selectorIfNS0_10empty_typeEEEZNS1_34radix_sort_onesweep_global_offsetsIS3_Lb1EPKfPS5_mNS0_19identity_decomposerEEE10hipError_tT1_T2_PT3_SF_jT4_jjP12ihipStream_tbEUlT_E_NS1_11comp_targetILNS1_3genE4ELNS1_11target_archE910ELNS1_3gpuE8ELNS1_3repE0EEENS1_52radix_sort_onesweep_histogram_config_static_selectorELNS0_4arch9wavefront6targetE0EEEvSD_,"axG",@progbits,_ZN7rocprim17ROCPRIM_400000_NS6detail17trampoline_kernelINS0_14default_configENS1_35radix_sort_onesweep_config_selectorIfNS0_10empty_typeEEEZNS1_34radix_sort_onesweep_global_offsetsIS3_Lb1EPKfPS5_mNS0_19identity_decomposerEEE10hipError_tT1_T2_PT3_SF_jT4_jjP12ihipStream_tbEUlT_E_NS1_11comp_targetILNS1_3genE4ELNS1_11target_archE910ELNS1_3gpuE8ELNS1_3repE0EEENS1_52radix_sort_onesweep_histogram_config_static_selectorELNS0_4arch9wavefront6targetE0EEEvSD_,comdat
	.protected	_ZN7rocprim17ROCPRIM_400000_NS6detail17trampoline_kernelINS0_14default_configENS1_35radix_sort_onesweep_config_selectorIfNS0_10empty_typeEEEZNS1_34radix_sort_onesweep_global_offsetsIS3_Lb1EPKfPS5_mNS0_19identity_decomposerEEE10hipError_tT1_T2_PT3_SF_jT4_jjP12ihipStream_tbEUlT_E_NS1_11comp_targetILNS1_3genE4ELNS1_11target_archE910ELNS1_3gpuE8ELNS1_3repE0EEENS1_52radix_sort_onesweep_histogram_config_static_selectorELNS0_4arch9wavefront6targetE0EEEvSD_ ; -- Begin function _ZN7rocprim17ROCPRIM_400000_NS6detail17trampoline_kernelINS0_14default_configENS1_35radix_sort_onesweep_config_selectorIfNS0_10empty_typeEEEZNS1_34radix_sort_onesweep_global_offsetsIS3_Lb1EPKfPS5_mNS0_19identity_decomposerEEE10hipError_tT1_T2_PT3_SF_jT4_jjP12ihipStream_tbEUlT_E_NS1_11comp_targetILNS1_3genE4ELNS1_11target_archE910ELNS1_3gpuE8ELNS1_3repE0EEENS1_52radix_sort_onesweep_histogram_config_static_selectorELNS0_4arch9wavefront6targetE0EEEvSD_
	.globl	_ZN7rocprim17ROCPRIM_400000_NS6detail17trampoline_kernelINS0_14default_configENS1_35radix_sort_onesweep_config_selectorIfNS0_10empty_typeEEEZNS1_34radix_sort_onesweep_global_offsetsIS3_Lb1EPKfPS5_mNS0_19identity_decomposerEEE10hipError_tT1_T2_PT3_SF_jT4_jjP12ihipStream_tbEUlT_E_NS1_11comp_targetILNS1_3genE4ELNS1_11target_archE910ELNS1_3gpuE8ELNS1_3repE0EEENS1_52radix_sort_onesweep_histogram_config_static_selectorELNS0_4arch9wavefront6targetE0EEEvSD_
	.p2align	8
	.type	_ZN7rocprim17ROCPRIM_400000_NS6detail17trampoline_kernelINS0_14default_configENS1_35radix_sort_onesweep_config_selectorIfNS0_10empty_typeEEEZNS1_34radix_sort_onesweep_global_offsetsIS3_Lb1EPKfPS5_mNS0_19identity_decomposerEEE10hipError_tT1_T2_PT3_SF_jT4_jjP12ihipStream_tbEUlT_E_NS1_11comp_targetILNS1_3genE4ELNS1_11target_archE910ELNS1_3gpuE8ELNS1_3repE0EEENS1_52radix_sort_onesweep_histogram_config_static_selectorELNS0_4arch9wavefront6targetE0EEEvSD_,@function
_ZN7rocprim17ROCPRIM_400000_NS6detail17trampoline_kernelINS0_14default_configENS1_35radix_sort_onesweep_config_selectorIfNS0_10empty_typeEEEZNS1_34radix_sort_onesweep_global_offsetsIS3_Lb1EPKfPS5_mNS0_19identity_decomposerEEE10hipError_tT1_T2_PT3_SF_jT4_jjP12ihipStream_tbEUlT_E_NS1_11comp_targetILNS1_3genE4ELNS1_11target_archE910ELNS1_3gpuE8ELNS1_3repE0EEENS1_52radix_sort_onesweep_histogram_config_static_selectorELNS0_4arch9wavefront6targetE0EEEvSD_: ; @_ZN7rocprim17ROCPRIM_400000_NS6detail17trampoline_kernelINS0_14default_configENS1_35radix_sort_onesweep_config_selectorIfNS0_10empty_typeEEEZNS1_34radix_sort_onesweep_global_offsetsIS3_Lb1EPKfPS5_mNS0_19identity_decomposerEEE10hipError_tT1_T2_PT3_SF_jT4_jjP12ihipStream_tbEUlT_E_NS1_11comp_targetILNS1_3genE4ELNS1_11target_archE910ELNS1_3gpuE8ELNS1_3repE0EEENS1_52radix_sort_onesweep_histogram_config_static_selectorELNS0_4arch9wavefront6targetE0EEEvSD_
; %bb.0:
	.section	.rodata,"a",@progbits
	.p2align	6, 0x0
	.amdhsa_kernel _ZN7rocprim17ROCPRIM_400000_NS6detail17trampoline_kernelINS0_14default_configENS1_35radix_sort_onesweep_config_selectorIfNS0_10empty_typeEEEZNS1_34radix_sort_onesweep_global_offsetsIS3_Lb1EPKfPS5_mNS0_19identity_decomposerEEE10hipError_tT1_T2_PT3_SF_jT4_jjP12ihipStream_tbEUlT_E_NS1_11comp_targetILNS1_3genE4ELNS1_11target_archE910ELNS1_3gpuE8ELNS1_3repE0EEENS1_52radix_sort_onesweep_histogram_config_static_selectorELNS0_4arch9wavefront6targetE0EEEvSD_
		.amdhsa_group_segment_fixed_size 0
		.amdhsa_private_segment_fixed_size 0
		.amdhsa_kernarg_size 48
		.amdhsa_user_sgpr_count 2
		.amdhsa_user_sgpr_dispatch_ptr 0
		.amdhsa_user_sgpr_queue_ptr 0
		.amdhsa_user_sgpr_kernarg_segment_ptr 1
		.amdhsa_user_sgpr_dispatch_id 0
		.amdhsa_user_sgpr_kernarg_preload_length 0
		.amdhsa_user_sgpr_kernarg_preload_offset 0
		.amdhsa_user_sgpr_private_segment_size 0
		.amdhsa_wavefront_size32 1
		.amdhsa_uses_dynamic_stack 0
		.amdhsa_enable_private_segment 0
		.amdhsa_system_sgpr_workgroup_id_x 1
		.amdhsa_system_sgpr_workgroup_id_y 0
		.amdhsa_system_sgpr_workgroup_id_z 0
		.amdhsa_system_sgpr_workgroup_info 0
		.amdhsa_system_vgpr_workitem_id 0
		.amdhsa_next_free_vgpr 1
		.amdhsa_next_free_sgpr 1
		.amdhsa_named_barrier_count 0
		.amdhsa_reserve_vcc 0
		.amdhsa_float_round_mode_32 0
		.amdhsa_float_round_mode_16_64 0
		.amdhsa_float_denorm_mode_32 3
		.amdhsa_float_denorm_mode_16_64 3
		.amdhsa_fp16_overflow 0
		.amdhsa_memory_ordered 1
		.amdhsa_forward_progress 1
		.amdhsa_inst_pref_size 0
		.amdhsa_round_robin_scheduling 0
		.amdhsa_exception_fp_ieee_invalid_op 0
		.amdhsa_exception_fp_denorm_src 0
		.amdhsa_exception_fp_ieee_div_zero 0
		.amdhsa_exception_fp_ieee_overflow 0
		.amdhsa_exception_fp_ieee_underflow 0
		.amdhsa_exception_fp_ieee_inexact 0
		.amdhsa_exception_int_div_zero 0
	.end_amdhsa_kernel
	.section	.text._ZN7rocprim17ROCPRIM_400000_NS6detail17trampoline_kernelINS0_14default_configENS1_35radix_sort_onesweep_config_selectorIfNS0_10empty_typeEEEZNS1_34radix_sort_onesweep_global_offsetsIS3_Lb1EPKfPS5_mNS0_19identity_decomposerEEE10hipError_tT1_T2_PT3_SF_jT4_jjP12ihipStream_tbEUlT_E_NS1_11comp_targetILNS1_3genE4ELNS1_11target_archE910ELNS1_3gpuE8ELNS1_3repE0EEENS1_52radix_sort_onesweep_histogram_config_static_selectorELNS0_4arch9wavefront6targetE0EEEvSD_,"axG",@progbits,_ZN7rocprim17ROCPRIM_400000_NS6detail17trampoline_kernelINS0_14default_configENS1_35radix_sort_onesweep_config_selectorIfNS0_10empty_typeEEEZNS1_34radix_sort_onesweep_global_offsetsIS3_Lb1EPKfPS5_mNS0_19identity_decomposerEEE10hipError_tT1_T2_PT3_SF_jT4_jjP12ihipStream_tbEUlT_E_NS1_11comp_targetILNS1_3genE4ELNS1_11target_archE910ELNS1_3gpuE8ELNS1_3repE0EEENS1_52radix_sort_onesweep_histogram_config_static_selectorELNS0_4arch9wavefront6targetE0EEEvSD_,comdat
.Lfunc_end1297:
	.size	_ZN7rocprim17ROCPRIM_400000_NS6detail17trampoline_kernelINS0_14default_configENS1_35radix_sort_onesweep_config_selectorIfNS0_10empty_typeEEEZNS1_34radix_sort_onesweep_global_offsetsIS3_Lb1EPKfPS5_mNS0_19identity_decomposerEEE10hipError_tT1_T2_PT3_SF_jT4_jjP12ihipStream_tbEUlT_E_NS1_11comp_targetILNS1_3genE4ELNS1_11target_archE910ELNS1_3gpuE8ELNS1_3repE0EEENS1_52radix_sort_onesweep_histogram_config_static_selectorELNS0_4arch9wavefront6targetE0EEEvSD_, .Lfunc_end1297-_ZN7rocprim17ROCPRIM_400000_NS6detail17trampoline_kernelINS0_14default_configENS1_35radix_sort_onesweep_config_selectorIfNS0_10empty_typeEEEZNS1_34radix_sort_onesweep_global_offsetsIS3_Lb1EPKfPS5_mNS0_19identity_decomposerEEE10hipError_tT1_T2_PT3_SF_jT4_jjP12ihipStream_tbEUlT_E_NS1_11comp_targetILNS1_3genE4ELNS1_11target_archE910ELNS1_3gpuE8ELNS1_3repE0EEENS1_52radix_sort_onesweep_histogram_config_static_selectorELNS0_4arch9wavefront6targetE0EEEvSD_
                                        ; -- End function
	.set _ZN7rocprim17ROCPRIM_400000_NS6detail17trampoline_kernelINS0_14default_configENS1_35radix_sort_onesweep_config_selectorIfNS0_10empty_typeEEEZNS1_34radix_sort_onesweep_global_offsetsIS3_Lb1EPKfPS5_mNS0_19identity_decomposerEEE10hipError_tT1_T2_PT3_SF_jT4_jjP12ihipStream_tbEUlT_E_NS1_11comp_targetILNS1_3genE4ELNS1_11target_archE910ELNS1_3gpuE8ELNS1_3repE0EEENS1_52radix_sort_onesweep_histogram_config_static_selectorELNS0_4arch9wavefront6targetE0EEEvSD_.num_vgpr, 0
	.set _ZN7rocprim17ROCPRIM_400000_NS6detail17trampoline_kernelINS0_14default_configENS1_35radix_sort_onesweep_config_selectorIfNS0_10empty_typeEEEZNS1_34radix_sort_onesweep_global_offsetsIS3_Lb1EPKfPS5_mNS0_19identity_decomposerEEE10hipError_tT1_T2_PT3_SF_jT4_jjP12ihipStream_tbEUlT_E_NS1_11comp_targetILNS1_3genE4ELNS1_11target_archE910ELNS1_3gpuE8ELNS1_3repE0EEENS1_52radix_sort_onesweep_histogram_config_static_selectorELNS0_4arch9wavefront6targetE0EEEvSD_.num_agpr, 0
	.set _ZN7rocprim17ROCPRIM_400000_NS6detail17trampoline_kernelINS0_14default_configENS1_35radix_sort_onesweep_config_selectorIfNS0_10empty_typeEEEZNS1_34radix_sort_onesweep_global_offsetsIS3_Lb1EPKfPS5_mNS0_19identity_decomposerEEE10hipError_tT1_T2_PT3_SF_jT4_jjP12ihipStream_tbEUlT_E_NS1_11comp_targetILNS1_3genE4ELNS1_11target_archE910ELNS1_3gpuE8ELNS1_3repE0EEENS1_52radix_sort_onesweep_histogram_config_static_selectorELNS0_4arch9wavefront6targetE0EEEvSD_.numbered_sgpr, 0
	.set _ZN7rocprim17ROCPRIM_400000_NS6detail17trampoline_kernelINS0_14default_configENS1_35radix_sort_onesweep_config_selectorIfNS0_10empty_typeEEEZNS1_34radix_sort_onesweep_global_offsetsIS3_Lb1EPKfPS5_mNS0_19identity_decomposerEEE10hipError_tT1_T2_PT3_SF_jT4_jjP12ihipStream_tbEUlT_E_NS1_11comp_targetILNS1_3genE4ELNS1_11target_archE910ELNS1_3gpuE8ELNS1_3repE0EEENS1_52radix_sort_onesweep_histogram_config_static_selectorELNS0_4arch9wavefront6targetE0EEEvSD_.num_named_barrier, 0
	.set _ZN7rocprim17ROCPRIM_400000_NS6detail17trampoline_kernelINS0_14default_configENS1_35radix_sort_onesweep_config_selectorIfNS0_10empty_typeEEEZNS1_34radix_sort_onesweep_global_offsetsIS3_Lb1EPKfPS5_mNS0_19identity_decomposerEEE10hipError_tT1_T2_PT3_SF_jT4_jjP12ihipStream_tbEUlT_E_NS1_11comp_targetILNS1_3genE4ELNS1_11target_archE910ELNS1_3gpuE8ELNS1_3repE0EEENS1_52radix_sort_onesweep_histogram_config_static_selectorELNS0_4arch9wavefront6targetE0EEEvSD_.private_seg_size, 0
	.set _ZN7rocprim17ROCPRIM_400000_NS6detail17trampoline_kernelINS0_14default_configENS1_35radix_sort_onesweep_config_selectorIfNS0_10empty_typeEEEZNS1_34radix_sort_onesweep_global_offsetsIS3_Lb1EPKfPS5_mNS0_19identity_decomposerEEE10hipError_tT1_T2_PT3_SF_jT4_jjP12ihipStream_tbEUlT_E_NS1_11comp_targetILNS1_3genE4ELNS1_11target_archE910ELNS1_3gpuE8ELNS1_3repE0EEENS1_52radix_sort_onesweep_histogram_config_static_selectorELNS0_4arch9wavefront6targetE0EEEvSD_.uses_vcc, 0
	.set _ZN7rocprim17ROCPRIM_400000_NS6detail17trampoline_kernelINS0_14default_configENS1_35radix_sort_onesweep_config_selectorIfNS0_10empty_typeEEEZNS1_34radix_sort_onesweep_global_offsetsIS3_Lb1EPKfPS5_mNS0_19identity_decomposerEEE10hipError_tT1_T2_PT3_SF_jT4_jjP12ihipStream_tbEUlT_E_NS1_11comp_targetILNS1_3genE4ELNS1_11target_archE910ELNS1_3gpuE8ELNS1_3repE0EEENS1_52radix_sort_onesweep_histogram_config_static_selectorELNS0_4arch9wavefront6targetE0EEEvSD_.uses_flat_scratch, 0
	.set _ZN7rocprim17ROCPRIM_400000_NS6detail17trampoline_kernelINS0_14default_configENS1_35radix_sort_onesweep_config_selectorIfNS0_10empty_typeEEEZNS1_34radix_sort_onesweep_global_offsetsIS3_Lb1EPKfPS5_mNS0_19identity_decomposerEEE10hipError_tT1_T2_PT3_SF_jT4_jjP12ihipStream_tbEUlT_E_NS1_11comp_targetILNS1_3genE4ELNS1_11target_archE910ELNS1_3gpuE8ELNS1_3repE0EEENS1_52radix_sort_onesweep_histogram_config_static_selectorELNS0_4arch9wavefront6targetE0EEEvSD_.has_dyn_sized_stack, 0
	.set _ZN7rocprim17ROCPRIM_400000_NS6detail17trampoline_kernelINS0_14default_configENS1_35radix_sort_onesweep_config_selectorIfNS0_10empty_typeEEEZNS1_34radix_sort_onesweep_global_offsetsIS3_Lb1EPKfPS5_mNS0_19identity_decomposerEEE10hipError_tT1_T2_PT3_SF_jT4_jjP12ihipStream_tbEUlT_E_NS1_11comp_targetILNS1_3genE4ELNS1_11target_archE910ELNS1_3gpuE8ELNS1_3repE0EEENS1_52radix_sort_onesweep_histogram_config_static_selectorELNS0_4arch9wavefront6targetE0EEEvSD_.has_recursion, 0
	.set _ZN7rocprim17ROCPRIM_400000_NS6detail17trampoline_kernelINS0_14default_configENS1_35radix_sort_onesweep_config_selectorIfNS0_10empty_typeEEEZNS1_34radix_sort_onesweep_global_offsetsIS3_Lb1EPKfPS5_mNS0_19identity_decomposerEEE10hipError_tT1_T2_PT3_SF_jT4_jjP12ihipStream_tbEUlT_E_NS1_11comp_targetILNS1_3genE4ELNS1_11target_archE910ELNS1_3gpuE8ELNS1_3repE0EEENS1_52radix_sort_onesweep_histogram_config_static_selectorELNS0_4arch9wavefront6targetE0EEEvSD_.has_indirect_call, 0
	.section	.AMDGPU.csdata,"",@progbits
; Kernel info:
; codeLenInByte = 0
; TotalNumSgprs: 0
; NumVgprs: 0
; ScratchSize: 0
; MemoryBound: 0
; FloatMode: 240
; IeeeMode: 1
; LDSByteSize: 0 bytes/workgroup (compile time only)
; SGPRBlocks: 0
; VGPRBlocks: 0
; NumSGPRsForWavesPerEU: 1
; NumVGPRsForWavesPerEU: 1
; NamedBarCnt: 0
; Occupancy: 16
; WaveLimiterHint : 0
; COMPUTE_PGM_RSRC2:SCRATCH_EN: 0
; COMPUTE_PGM_RSRC2:USER_SGPR: 2
; COMPUTE_PGM_RSRC2:TRAP_HANDLER: 0
; COMPUTE_PGM_RSRC2:TGID_X_EN: 1
; COMPUTE_PGM_RSRC2:TGID_Y_EN: 0
; COMPUTE_PGM_RSRC2:TGID_Z_EN: 0
; COMPUTE_PGM_RSRC2:TIDIG_COMP_CNT: 0
	.section	.text._ZN7rocprim17ROCPRIM_400000_NS6detail17trampoline_kernelINS0_14default_configENS1_35radix_sort_onesweep_config_selectorIfNS0_10empty_typeEEEZNS1_34radix_sort_onesweep_global_offsetsIS3_Lb1EPKfPS5_mNS0_19identity_decomposerEEE10hipError_tT1_T2_PT3_SF_jT4_jjP12ihipStream_tbEUlT_E_NS1_11comp_targetILNS1_3genE3ELNS1_11target_archE908ELNS1_3gpuE7ELNS1_3repE0EEENS1_52radix_sort_onesweep_histogram_config_static_selectorELNS0_4arch9wavefront6targetE0EEEvSD_,"axG",@progbits,_ZN7rocprim17ROCPRIM_400000_NS6detail17trampoline_kernelINS0_14default_configENS1_35radix_sort_onesweep_config_selectorIfNS0_10empty_typeEEEZNS1_34radix_sort_onesweep_global_offsetsIS3_Lb1EPKfPS5_mNS0_19identity_decomposerEEE10hipError_tT1_T2_PT3_SF_jT4_jjP12ihipStream_tbEUlT_E_NS1_11comp_targetILNS1_3genE3ELNS1_11target_archE908ELNS1_3gpuE7ELNS1_3repE0EEENS1_52radix_sort_onesweep_histogram_config_static_selectorELNS0_4arch9wavefront6targetE0EEEvSD_,comdat
	.protected	_ZN7rocprim17ROCPRIM_400000_NS6detail17trampoline_kernelINS0_14default_configENS1_35radix_sort_onesweep_config_selectorIfNS0_10empty_typeEEEZNS1_34radix_sort_onesweep_global_offsetsIS3_Lb1EPKfPS5_mNS0_19identity_decomposerEEE10hipError_tT1_T2_PT3_SF_jT4_jjP12ihipStream_tbEUlT_E_NS1_11comp_targetILNS1_3genE3ELNS1_11target_archE908ELNS1_3gpuE7ELNS1_3repE0EEENS1_52radix_sort_onesweep_histogram_config_static_selectorELNS0_4arch9wavefront6targetE0EEEvSD_ ; -- Begin function _ZN7rocprim17ROCPRIM_400000_NS6detail17trampoline_kernelINS0_14default_configENS1_35radix_sort_onesweep_config_selectorIfNS0_10empty_typeEEEZNS1_34radix_sort_onesweep_global_offsetsIS3_Lb1EPKfPS5_mNS0_19identity_decomposerEEE10hipError_tT1_T2_PT3_SF_jT4_jjP12ihipStream_tbEUlT_E_NS1_11comp_targetILNS1_3genE3ELNS1_11target_archE908ELNS1_3gpuE7ELNS1_3repE0EEENS1_52radix_sort_onesweep_histogram_config_static_selectorELNS0_4arch9wavefront6targetE0EEEvSD_
	.globl	_ZN7rocprim17ROCPRIM_400000_NS6detail17trampoline_kernelINS0_14default_configENS1_35radix_sort_onesweep_config_selectorIfNS0_10empty_typeEEEZNS1_34radix_sort_onesweep_global_offsetsIS3_Lb1EPKfPS5_mNS0_19identity_decomposerEEE10hipError_tT1_T2_PT3_SF_jT4_jjP12ihipStream_tbEUlT_E_NS1_11comp_targetILNS1_3genE3ELNS1_11target_archE908ELNS1_3gpuE7ELNS1_3repE0EEENS1_52radix_sort_onesweep_histogram_config_static_selectorELNS0_4arch9wavefront6targetE0EEEvSD_
	.p2align	8
	.type	_ZN7rocprim17ROCPRIM_400000_NS6detail17trampoline_kernelINS0_14default_configENS1_35radix_sort_onesweep_config_selectorIfNS0_10empty_typeEEEZNS1_34radix_sort_onesweep_global_offsetsIS3_Lb1EPKfPS5_mNS0_19identity_decomposerEEE10hipError_tT1_T2_PT3_SF_jT4_jjP12ihipStream_tbEUlT_E_NS1_11comp_targetILNS1_3genE3ELNS1_11target_archE908ELNS1_3gpuE7ELNS1_3repE0EEENS1_52radix_sort_onesweep_histogram_config_static_selectorELNS0_4arch9wavefront6targetE0EEEvSD_,@function
_ZN7rocprim17ROCPRIM_400000_NS6detail17trampoline_kernelINS0_14default_configENS1_35radix_sort_onesweep_config_selectorIfNS0_10empty_typeEEEZNS1_34radix_sort_onesweep_global_offsetsIS3_Lb1EPKfPS5_mNS0_19identity_decomposerEEE10hipError_tT1_T2_PT3_SF_jT4_jjP12ihipStream_tbEUlT_E_NS1_11comp_targetILNS1_3genE3ELNS1_11target_archE908ELNS1_3gpuE7ELNS1_3repE0EEENS1_52radix_sort_onesweep_histogram_config_static_selectorELNS0_4arch9wavefront6targetE0EEEvSD_: ; @_ZN7rocprim17ROCPRIM_400000_NS6detail17trampoline_kernelINS0_14default_configENS1_35radix_sort_onesweep_config_selectorIfNS0_10empty_typeEEEZNS1_34radix_sort_onesweep_global_offsetsIS3_Lb1EPKfPS5_mNS0_19identity_decomposerEEE10hipError_tT1_T2_PT3_SF_jT4_jjP12ihipStream_tbEUlT_E_NS1_11comp_targetILNS1_3genE3ELNS1_11target_archE908ELNS1_3gpuE7ELNS1_3repE0EEENS1_52radix_sort_onesweep_histogram_config_static_selectorELNS0_4arch9wavefront6targetE0EEEvSD_
; %bb.0:
	.section	.rodata,"a",@progbits
	.p2align	6, 0x0
	.amdhsa_kernel _ZN7rocprim17ROCPRIM_400000_NS6detail17trampoline_kernelINS0_14default_configENS1_35radix_sort_onesweep_config_selectorIfNS0_10empty_typeEEEZNS1_34radix_sort_onesweep_global_offsetsIS3_Lb1EPKfPS5_mNS0_19identity_decomposerEEE10hipError_tT1_T2_PT3_SF_jT4_jjP12ihipStream_tbEUlT_E_NS1_11comp_targetILNS1_3genE3ELNS1_11target_archE908ELNS1_3gpuE7ELNS1_3repE0EEENS1_52radix_sort_onesweep_histogram_config_static_selectorELNS0_4arch9wavefront6targetE0EEEvSD_
		.amdhsa_group_segment_fixed_size 0
		.amdhsa_private_segment_fixed_size 0
		.amdhsa_kernarg_size 48
		.amdhsa_user_sgpr_count 2
		.amdhsa_user_sgpr_dispatch_ptr 0
		.amdhsa_user_sgpr_queue_ptr 0
		.amdhsa_user_sgpr_kernarg_segment_ptr 1
		.amdhsa_user_sgpr_dispatch_id 0
		.amdhsa_user_sgpr_kernarg_preload_length 0
		.amdhsa_user_sgpr_kernarg_preload_offset 0
		.amdhsa_user_sgpr_private_segment_size 0
		.amdhsa_wavefront_size32 1
		.amdhsa_uses_dynamic_stack 0
		.amdhsa_enable_private_segment 0
		.amdhsa_system_sgpr_workgroup_id_x 1
		.amdhsa_system_sgpr_workgroup_id_y 0
		.amdhsa_system_sgpr_workgroup_id_z 0
		.amdhsa_system_sgpr_workgroup_info 0
		.amdhsa_system_vgpr_workitem_id 0
		.amdhsa_next_free_vgpr 1
		.amdhsa_next_free_sgpr 1
		.amdhsa_named_barrier_count 0
		.amdhsa_reserve_vcc 0
		.amdhsa_float_round_mode_32 0
		.amdhsa_float_round_mode_16_64 0
		.amdhsa_float_denorm_mode_32 3
		.amdhsa_float_denorm_mode_16_64 3
		.amdhsa_fp16_overflow 0
		.amdhsa_memory_ordered 1
		.amdhsa_forward_progress 1
		.amdhsa_inst_pref_size 0
		.amdhsa_round_robin_scheduling 0
		.amdhsa_exception_fp_ieee_invalid_op 0
		.amdhsa_exception_fp_denorm_src 0
		.amdhsa_exception_fp_ieee_div_zero 0
		.amdhsa_exception_fp_ieee_overflow 0
		.amdhsa_exception_fp_ieee_underflow 0
		.amdhsa_exception_fp_ieee_inexact 0
		.amdhsa_exception_int_div_zero 0
	.end_amdhsa_kernel
	.section	.text._ZN7rocprim17ROCPRIM_400000_NS6detail17trampoline_kernelINS0_14default_configENS1_35radix_sort_onesweep_config_selectorIfNS0_10empty_typeEEEZNS1_34radix_sort_onesweep_global_offsetsIS3_Lb1EPKfPS5_mNS0_19identity_decomposerEEE10hipError_tT1_T2_PT3_SF_jT4_jjP12ihipStream_tbEUlT_E_NS1_11comp_targetILNS1_3genE3ELNS1_11target_archE908ELNS1_3gpuE7ELNS1_3repE0EEENS1_52radix_sort_onesweep_histogram_config_static_selectorELNS0_4arch9wavefront6targetE0EEEvSD_,"axG",@progbits,_ZN7rocprim17ROCPRIM_400000_NS6detail17trampoline_kernelINS0_14default_configENS1_35radix_sort_onesweep_config_selectorIfNS0_10empty_typeEEEZNS1_34radix_sort_onesweep_global_offsetsIS3_Lb1EPKfPS5_mNS0_19identity_decomposerEEE10hipError_tT1_T2_PT3_SF_jT4_jjP12ihipStream_tbEUlT_E_NS1_11comp_targetILNS1_3genE3ELNS1_11target_archE908ELNS1_3gpuE7ELNS1_3repE0EEENS1_52radix_sort_onesweep_histogram_config_static_selectorELNS0_4arch9wavefront6targetE0EEEvSD_,comdat
.Lfunc_end1298:
	.size	_ZN7rocprim17ROCPRIM_400000_NS6detail17trampoline_kernelINS0_14default_configENS1_35radix_sort_onesweep_config_selectorIfNS0_10empty_typeEEEZNS1_34radix_sort_onesweep_global_offsetsIS3_Lb1EPKfPS5_mNS0_19identity_decomposerEEE10hipError_tT1_T2_PT3_SF_jT4_jjP12ihipStream_tbEUlT_E_NS1_11comp_targetILNS1_3genE3ELNS1_11target_archE908ELNS1_3gpuE7ELNS1_3repE0EEENS1_52radix_sort_onesweep_histogram_config_static_selectorELNS0_4arch9wavefront6targetE0EEEvSD_, .Lfunc_end1298-_ZN7rocprim17ROCPRIM_400000_NS6detail17trampoline_kernelINS0_14default_configENS1_35radix_sort_onesweep_config_selectorIfNS0_10empty_typeEEEZNS1_34radix_sort_onesweep_global_offsetsIS3_Lb1EPKfPS5_mNS0_19identity_decomposerEEE10hipError_tT1_T2_PT3_SF_jT4_jjP12ihipStream_tbEUlT_E_NS1_11comp_targetILNS1_3genE3ELNS1_11target_archE908ELNS1_3gpuE7ELNS1_3repE0EEENS1_52radix_sort_onesweep_histogram_config_static_selectorELNS0_4arch9wavefront6targetE0EEEvSD_
                                        ; -- End function
	.set _ZN7rocprim17ROCPRIM_400000_NS6detail17trampoline_kernelINS0_14default_configENS1_35radix_sort_onesweep_config_selectorIfNS0_10empty_typeEEEZNS1_34radix_sort_onesweep_global_offsetsIS3_Lb1EPKfPS5_mNS0_19identity_decomposerEEE10hipError_tT1_T2_PT3_SF_jT4_jjP12ihipStream_tbEUlT_E_NS1_11comp_targetILNS1_3genE3ELNS1_11target_archE908ELNS1_3gpuE7ELNS1_3repE0EEENS1_52radix_sort_onesweep_histogram_config_static_selectorELNS0_4arch9wavefront6targetE0EEEvSD_.num_vgpr, 0
	.set _ZN7rocprim17ROCPRIM_400000_NS6detail17trampoline_kernelINS0_14default_configENS1_35radix_sort_onesweep_config_selectorIfNS0_10empty_typeEEEZNS1_34radix_sort_onesweep_global_offsetsIS3_Lb1EPKfPS5_mNS0_19identity_decomposerEEE10hipError_tT1_T2_PT3_SF_jT4_jjP12ihipStream_tbEUlT_E_NS1_11comp_targetILNS1_3genE3ELNS1_11target_archE908ELNS1_3gpuE7ELNS1_3repE0EEENS1_52radix_sort_onesweep_histogram_config_static_selectorELNS0_4arch9wavefront6targetE0EEEvSD_.num_agpr, 0
	.set _ZN7rocprim17ROCPRIM_400000_NS6detail17trampoline_kernelINS0_14default_configENS1_35radix_sort_onesweep_config_selectorIfNS0_10empty_typeEEEZNS1_34radix_sort_onesweep_global_offsetsIS3_Lb1EPKfPS5_mNS0_19identity_decomposerEEE10hipError_tT1_T2_PT3_SF_jT4_jjP12ihipStream_tbEUlT_E_NS1_11comp_targetILNS1_3genE3ELNS1_11target_archE908ELNS1_3gpuE7ELNS1_3repE0EEENS1_52radix_sort_onesweep_histogram_config_static_selectorELNS0_4arch9wavefront6targetE0EEEvSD_.numbered_sgpr, 0
	.set _ZN7rocprim17ROCPRIM_400000_NS6detail17trampoline_kernelINS0_14default_configENS1_35radix_sort_onesweep_config_selectorIfNS0_10empty_typeEEEZNS1_34radix_sort_onesweep_global_offsetsIS3_Lb1EPKfPS5_mNS0_19identity_decomposerEEE10hipError_tT1_T2_PT3_SF_jT4_jjP12ihipStream_tbEUlT_E_NS1_11comp_targetILNS1_3genE3ELNS1_11target_archE908ELNS1_3gpuE7ELNS1_3repE0EEENS1_52radix_sort_onesweep_histogram_config_static_selectorELNS0_4arch9wavefront6targetE0EEEvSD_.num_named_barrier, 0
	.set _ZN7rocprim17ROCPRIM_400000_NS6detail17trampoline_kernelINS0_14default_configENS1_35radix_sort_onesweep_config_selectorIfNS0_10empty_typeEEEZNS1_34radix_sort_onesweep_global_offsetsIS3_Lb1EPKfPS5_mNS0_19identity_decomposerEEE10hipError_tT1_T2_PT3_SF_jT4_jjP12ihipStream_tbEUlT_E_NS1_11comp_targetILNS1_3genE3ELNS1_11target_archE908ELNS1_3gpuE7ELNS1_3repE0EEENS1_52radix_sort_onesweep_histogram_config_static_selectorELNS0_4arch9wavefront6targetE0EEEvSD_.private_seg_size, 0
	.set _ZN7rocprim17ROCPRIM_400000_NS6detail17trampoline_kernelINS0_14default_configENS1_35radix_sort_onesweep_config_selectorIfNS0_10empty_typeEEEZNS1_34radix_sort_onesweep_global_offsetsIS3_Lb1EPKfPS5_mNS0_19identity_decomposerEEE10hipError_tT1_T2_PT3_SF_jT4_jjP12ihipStream_tbEUlT_E_NS1_11comp_targetILNS1_3genE3ELNS1_11target_archE908ELNS1_3gpuE7ELNS1_3repE0EEENS1_52radix_sort_onesweep_histogram_config_static_selectorELNS0_4arch9wavefront6targetE0EEEvSD_.uses_vcc, 0
	.set _ZN7rocprim17ROCPRIM_400000_NS6detail17trampoline_kernelINS0_14default_configENS1_35radix_sort_onesweep_config_selectorIfNS0_10empty_typeEEEZNS1_34radix_sort_onesweep_global_offsetsIS3_Lb1EPKfPS5_mNS0_19identity_decomposerEEE10hipError_tT1_T2_PT3_SF_jT4_jjP12ihipStream_tbEUlT_E_NS1_11comp_targetILNS1_3genE3ELNS1_11target_archE908ELNS1_3gpuE7ELNS1_3repE0EEENS1_52radix_sort_onesweep_histogram_config_static_selectorELNS0_4arch9wavefront6targetE0EEEvSD_.uses_flat_scratch, 0
	.set _ZN7rocprim17ROCPRIM_400000_NS6detail17trampoline_kernelINS0_14default_configENS1_35radix_sort_onesweep_config_selectorIfNS0_10empty_typeEEEZNS1_34radix_sort_onesweep_global_offsetsIS3_Lb1EPKfPS5_mNS0_19identity_decomposerEEE10hipError_tT1_T2_PT3_SF_jT4_jjP12ihipStream_tbEUlT_E_NS1_11comp_targetILNS1_3genE3ELNS1_11target_archE908ELNS1_3gpuE7ELNS1_3repE0EEENS1_52radix_sort_onesweep_histogram_config_static_selectorELNS0_4arch9wavefront6targetE0EEEvSD_.has_dyn_sized_stack, 0
	.set _ZN7rocprim17ROCPRIM_400000_NS6detail17trampoline_kernelINS0_14default_configENS1_35radix_sort_onesweep_config_selectorIfNS0_10empty_typeEEEZNS1_34radix_sort_onesweep_global_offsetsIS3_Lb1EPKfPS5_mNS0_19identity_decomposerEEE10hipError_tT1_T2_PT3_SF_jT4_jjP12ihipStream_tbEUlT_E_NS1_11comp_targetILNS1_3genE3ELNS1_11target_archE908ELNS1_3gpuE7ELNS1_3repE0EEENS1_52radix_sort_onesweep_histogram_config_static_selectorELNS0_4arch9wavefront6targetE0EEEvSD_.has_recursion, 0
	.set _ZN7rocprim17ROCPRIM_400000_NS6detail17trampoline_kernelINS0_14default_configENS1_35radix_sort_onesweep_config_selectorIfNS0_10empty_typeEEEZNS1_34radix_sort_onesweep_global_offsetsIS3_Lb1EPKfPS5_mNS0_19identity_decomposerEEE10hipError_tT1_T2_PT3_SF_jT4_jjP12ihipStream_tbEUlT_E_NS1_11comp_targetILNS1_3genE3ELNS1_11target_archE908ELNS1_3gpuE7ELNS1_3repE0EEENS1_52radix_sort_onesweep_histogram_config_static_selectorELNS0_4arch9wavefront6targetE0EEEvSD_.has_indirect_call, 0
	.section	.AMDGPU.csdata,"",@progbits
; Kernel info:
; codeLenInByte = 0
; TotalNumSgprs: 0
; NumVgprs: 0
; ScratchSize: 0
; MemoryBound: 0
; FloatMode: 240
; IeeeMode: 1
; LDSByteSize: 0 bytes/workgroup (compile time only)
; SGPRBlocks: 0
; VGPRBlocks: 0
; NumSGPRsForWavesPerEU: 1
; NumVGPRsForWavesPerEU: 1
; NamedBarCnt: 0
; Occupancy: 16
; WaveLimiterHint : 0
; COMPUTE_PGM_RSRC2:SCRATCH_EN: 0
; COMPUTE_PGM_RSRC2:USER_SGPR: 2
; COMPUTE_PGM_RSRC2:TRAP_HANDLER: 0
; COMPUTE_PGM_RSRC2:TGID_X_EN: 1
; COMPUTE_PGM_RSRC2:TGID_Y_EN: 0
; COMPUTE_PGM_RSRC2:TGID_Z_EN: 0
; COMPUTE_PGM_RSRC2:TIDIG_COMP_CNT: 0
	.section	.text._ZN7rocprim17ROCPRIM_400000_NS6detail17trampoline_kernelINS0_14default_configENS1_35radix_sort_onesweep_config_selectorIfNS0_10empty_typeEEEZNS1_34radix_sort_onesweep_global_offsetsIS3_Lb1EPKfPS5_mNS0_19identity_decomposerEEE10hipError_tT1_T2_PT3_SF_jT4_jjP12ihipStream_tbEUlT_E_NS1_11comp_targetILNS1_3genE10ELNS1_11target_archE1201ELNS1_3gpuE5ELNS1_3repE0EEENS1_52radix_sort_onesweep_histogram_config_static_selectorELNS0_4arch9wavefront6targetE0EEEvSD_,"axG",@progbits,_ZN7rocprim17ROCPRIM_400000_NS6detail17trampoline_kernelINS0_14default_configENS1_35radix_sort_onesweep_config_selectorIfNS0_10empty_typeEEEZNS1_34radix_sort_onesweep_global_offsetsIS3_Lb1EPKfPS5_mNS0_19identity_decomposerEEE10hipError_tT1_T2_PT3_SF_jT4_jjP12ihipStream_tbEUlT_E_NS1_11comp_targetILNS1_3genE10ELNS1_11target_archE1201ELNS1_3gpuE5ELNS1_3repE0EEENS1_52radix_sort_onesweep_histogram_config_static_selectorELNS0_4arch9wavefront6targetE0EEEvSD_,comdat
	.protected	_ZN7rocprim17ROCPRIM_400000_NS6detail17trampoline_kernelINS0_14default_configENS1_35radix_sort_onesweep_config_selectorIfNS0_10empty_typeEEEZNS1_34radix_sort_onesweep_global_offsetsIS3_Lb1EPKfPS5_mNS0_19identity_decomposerEEE10hipError_tT1_T2_PT3_SF_jT4_jjP12ihipStream_tbEUlT_E_NS1_11comp_targetILNS1_3genE10ELNS1_11target_archE1201ELNS1_3gpuE5ELNS1_3repE0EEENS1_52radix_sort_onesweep_histogram_config_static_selectorELNS0_4arch9wavefront6targetE0EEEvSD_ ; -- Begin function _ZN7rocprim17ROCPRIM_400000_NS6detail17trampoline_kernelINS0_14default_configENS1_35radix_sort_onesweep_config_selectorIfNS0_10empty_typeEEEZNS1_34radix_sort_onesweep_global_offsetsIS3_Lb1EPKfPS5_mNS0_19identity_decomposerEEE10hipError_tT1_T2_PT3_SF_jT4_jjP12ihipStream_tbEUlT_E_NS1_11comp_targetILNS1_3genE10ELNS1_11target_archE1201ELNS1_3gpuE5ELNS1_3repE0EEENS1_52radix_sort_onesweep_histogram_config_static_selectorELNS0_4arch9wavefront6targetE0EEEvSD_
	.globl	_ZN7rocprim17ROCPRIM_400000_NS6detail17trampoline_kernelINS0_14default_configENS1_35radix_sort_onesweep_config_selectorIfNS0_10empty_typeEEEZNS1_34radix_sort_onesweep_global_offsetsIS3_Lb1EPKfPS5_mNS0_19identity_decomposerEEE10hipError_tT1_T2_PT3_SF_jT4_jjP12ihipStream_tbEUlT_E_NS1_11comp_targetILNS1_3genE10ELNS1_11target_archE1201ELNS1_3gpuE5ELNS1_3repE0EEENS1_52radix_sort_onesweep_histogram_config_static_selectorELNS0_4arch9wavefront6targetE0EEEvSD_
	.p2align	8
	.type	_ZN7rocprim17ROCPRIM_400000_NS6detail17trampoline_kernelINS0_14default_configENS1_35radix_sort_onesweep_config_selectorIfNS0_10empty_typeEEEZNS1_34radix_sort_onesweep_global_offsetsIS3_Lb1EPKfPS5_mNS0_19identity_decomposerEEE10hipError_tT1_T2_PT3_SF_jT4_jjP12ihipStream_tbEUlT_E_NS1_11comp_targetILNS1_3genE10ELNS1_11target_archE1201ELNS1_3gpuE5ELNS1_3repE0EEENS1_52radix_sort_onesweep_histogram_config_static_selectorELNS0_4arch9wavefront6targetE0EEEvSD_,@function
_ZN7rocprim17ROCPRIM_400000_NS6detail17trampoline_kernelINS0_14default_configENS1_35radix_sort_onesweep_config_selectorIfNS0_10empty_typeEEEZNS1_34radix_sort_onesweep_global_offsetsIS3_Lb1EPKfPS5_mNS0_19identity_decomposerEEE10hipError_tT1_T2_PT3_SF_jT4_jjP12ihipStream_tbEUlT_E_NS1_11comp_targetILNS1_3genE10ELNS1_11target_archE1201ELNS1_3gpuE5ELNS1_3repE0EEENS1_52radix_sort_onesweep_histogram_config_static_selectorELNS0_4arch9wavefront6targetE0EEEvSD_: ; @_ZN7rocprim17ROCPRIM_400000_NS6detail17trampoline_kernelINS0_14default_configENS1_35radix_sort_onesweep_config_selectorIfNS0_10empty_typeEEEZNS1_34radix_sort_onesweep_global_offsetsIS3_Lb1EPKfPS5_mNS0_19identity_decomposerEEE10hipError_tT1_T2_PT3_SF_jT4_jjP12ihipStream_tbEUlT_E_NS1_11comp_targetILNS1_3genE10ELNS1_11target_archE1201ELNS1_3gpuE5ELNS1_3repE0EEENS1_52radix_sort_onesweep_histogram_config_static_selectorELNS0_4arch9wavefront6targetE0EEEvSD_
; %bb.0:
	.section	.rodata,"a",@progbits
	.p2align	6, 0x0
	.amdhsa_kernel _ZN7rocprim17ROCPRIM_400000_NS6detail17trampoline_kernelINS0_14default_configENS1_35radix_sort_onesweep_config_selectorIfNS0_10empty_typeEEEZNS1_34radix_sort_onesweep_global_offsetsIS3_Lb1EPKfPS5_mNS0_19identity_decomposerEEE10hipError_tT1_T2_PT3_SF_jT4_jjP12ihipStream_tbEUlT_E_NS1_11comp_targetILNS1_3genE10ELNS1_11target_archE1201ELNS1_3gpuE5ELNS1_3repE0EEENS1_52radix_sort_onesweep_histogram_config_static_selectorELNS0_4arch9wavefront6targetE0EEEvSD_
		.amdhsa_group_segment_fixed_size 0
		.amdhsa_private_segment_fixed_size 0
		.amdhsa_kernarg_size 48
		.amdhsa_user_sgpr_count 2
		.amdhsa_user_sgpr_dispatch_ptr 0
		.amdhsa_user_sgpr_queue_ptr 0
		.amdhsa_user_sgpr_kernarg_segment_ptr 1
		.amdhsa_user_sgpr_dispatch_id 0
		.amdhsa_user_sgpr_kernarg_preload_length 0
		.amdhsa_user_sgpr_kernarg_preload_offset 0
		.amdhsa_user_sgpr_private_segment_size 0
		.amdhsa_wavefront_size32 1
		.amdhsa_uses_dynamic_stack 0
		.amdhsa_enable_private_segment 0
		.amdhsa_system_sgpr_workgroup_id_x 1
		.amdhsa_system_sgpr_workgroup_id_y 0
		.amdhsa_system_sgpr_workgroup_id_z 0
		.amdhsa_system_sgpr_workgroup_info 0
		.amdhsa_system_vgpr_workitem_id 0
		.amdhsa_next_free_vgpr 1
		.amdhsa_next_free_sgpr 1
		.amdhsa_named_barrier_count 0
		.amdhsa_reserve_vcc 0
		.amdhsa_float_round_mode_32 0
		.amdhsa_float_round_mode_16_64 0
		.amdhsa_float_denorm_mode_32 3
		.amdhsa_float_denorm_mode_16_64 3
		.amdhsa_fp16_overflow 0
		.amdhsa_memory_ordered 1
		.amdhsa_forward_progress 1
		.amdhsa_inst_pref_size 0
		.amdhsa_round_robin_scheduling 0
		.amdhsa_exception_fp_ieee_invalid_op 0
		.amdhsa_exception_fp_denorm_src 0
		.amdhsa_exception_fp_ieee_div_zero 0
		.amdhsa_exception_fp_ieee_overflow 0
		.amdhsa_exception_fp_ieee_underflow 0
		.amdhsa_exception_fp_ieee_inexact 0
		.amdhsa_exception_int_div_zero 0
	.end_amdhsa_kernel
	.section	.text._ZN7rocprim17ROCPRIM_400000_NS6detail17trampoline_kernelINS0_14default_configENS1_35radix_sort_onesweep_config_selectorIfNS0_10empty_typeEEEZNS1_34radix_sort_onesweep_global_offsetsIS3_Lb1EPKfPS5_mNS0_19identity_decomposerEEE10hipError_tT1_T2_PT3_SF_jT4_jjP12ihipStream_tbEUlT_E_NS1_11comp_targetILNS1_3genE10ELNS1_11target_archE1201ELNS1_3gpuE5ELNS1_3repE0EEENS1_52radix_sort_onesweep_histogram_config_static_selectorELNS0_4arch9wavefront6targetE0EEEvSD_,"axG",@progbits,_ZN7rocprim17ROCPRIM_400000_NS6detail17trampoline_kernelINS0_14default_configENS1_35radix_sort_onesweep_config_selectorIfNS0_10empty_typeEEEZNS1_34radix_sort_onesweep_global_offsetsIS3_Lb1EPKfPS5_mNS0_19identity_decomposerEEE10hipError_tT1_T2_PT3_SF_jT4_jjP12ihipStream_tbEUlT_E_NS1_11comp_targetILNS1_3genE10ELNS1_11target_archE1201ELNS1_3gpuE5ELNS1_3repE0EEENS1_52radix_sort_onesweep_histogram_config_static_selectorELNS0_4arch9wavefront6targetE0EEEvSD_,comdat
.Lfunc_end1299:
	.size	_ZN7rocprim17ROCPRIM_400000_NS6detail17trampoline_kernelINS0_14default_configENS1_35radix_sort_onesweep_config_selectorIfNS0_10empty_typeEEEZNS1_34radix_sort_onesweep_global_offsetsIS3_Lb1EPKfPS5_mNS0_19identity_decomposerEEE10hipError_tT1_T2_PT3_SF_jT4_jjP12ihipStream_tbEUlT_E_NS1_11comp_targetILNS1_3genE10ELNS1_11target_archE1201ELNS1_3gpuE5ELNS1_3repE0EEENS1_52radix_sort_onesweep_histogram_config_static_selectorELNS0_4arch9wavefront6targetE0EEEvSD_, .Lfunc_end1299-_ZN7rocprim17ROCPRIM_400000_NS6detail17trampoline_kernelINS0_14default_configENS1_35radix_sort_onesweep_config_selectorIfNS0_10empty_typeEEEZNS1_34radix_sort_onesweep_global_offsetsIS3_Lb1EPKfPS5_mNS0_19identity_decomposerEEE10hipError_tT1_T2_PT3_SF_jT4_jjP12ihipStream_tbEUlT_E_NS1_11comp_targetILNS1_3genE10ELNS1_11target_archE1201ELNS1_3gpuE5ELNS1_3repE0EEENS1_52radix_sort_onesweep_histogram_config_static_selectorELNS0_4arch9wavefront6targetE0EEEvSD_
                                        ; -- End function
	.set _ZN7rocprim17ROCPRIM_400000_NS6detail17trampoline_kernelINS0_14default_configENS1_35radix_sort_onesweep_config_selectorIfNS0_10empty_typeEEEZNS1_34radix_sort_onesweep_global_offsetsIS3_Lb1EPKfPS5_mNS0_19identity_decomposerEEE10hipError_tT1_T2_PT3_SF_jT4_jjP12ihipStream_tbEUlT_E_NS1_11comp_targetILNS1_3genE10ELNS1_11target_archE1201ELNS1_3gpuE5ELNS1_3repE0EEENS1_52radix_sort_onesweep_histogram_config_static_selectorELNS0_4arch9wavefront6targetE0EEEvSD_.num_vgpr, 0
	.set _ZN7rocprim17ROCPRIM_400000_NS6detail17trampoline_kernelINS0_14default_configENS1_35radix_sort_onesweep_config_selectorIfNS0_10empty_typeEEEZNS1_34radix_sort_onesweep_global_offsetsIS3_Lb1EPKfPS5_mNS0_19identity_decomposerEEE10hipError_tT1_T2_PT3_SF_jT4_jjP12ihipStream_tbEUlT_E_NS1_11comp_targetILNS1_3genE10ELNS1_11target_archE1201ELNS1_3gpuE5ELNS1_3repE0EEENS1_52radix_sort_onesweep_histogram_config_static_selectorELNS0_4arch9wavefront6targetE0EEEvSD_.num_agpr, 0
	.set _ZN7rocprim17ROCPRIM_400000_NS6detail17trampoline_kernelINS0_14default_configENS1_35radix_sort_onesweep_config_selectorIfNS0_10empty_typeEEEZNS1_34radix_sort_onesweep_global_offsetsIS3_Lb1EPKfPS5_mNS0_19identity_decomposerEEE10hipError_tT1_T2_PT3_SF_jT4_jjP12ihipStream_tbEUlT_E_NS1_11comp_targetILNS1_3genE10ELNS1_11target_archE1201ELNS1_3gpuE5ELNS1_3repE0EEENS1_52radix_sort_onesweep_histogram_config_static_selectorELNS0_4arch9wavefront6targetE0EEEvSD_.numbered_sgpr, 0
	.set _ZN7rocprim17ROCPRIM_400000_NS6detail17trampoline_kernelINS0_14default_configENS1_35radix_sort_onesweep_config_selectorIfNS0_10empty_typeEEEZNS1_34radix_sort_onesweep_global_offsetsIS3_Lb1EPKfPS5_mNS0_19identity_decomposerEEE10hipError_tT1_T2_PT3_SF_jT4_jjP12ihipStream_tbEUlT_E_NS1_11comp_targetILNS1_3genE10ELNS1_11target_archE1201ELNS1_3gpuE5ELNS1_3repE0EEENS1_52radix_sort_onesweep_histogram_config_static_selectorELNS0_4arch9wavefront6targetE0EEEvSD_.num_named_barrier, 0
	.set _ZN7rocprim17ROCPRIM_400000_NS6detail17trampoline_kernelINS0_14default_configENS1_35radix_sort_onesweep_config_selectorIfNS0_10empty_typeEEEZNS1_34radix_sort_onesweep_global_offsetsIS3_Lb1EPKfPS5_mNS0_19identity_decomposerEEE10hipError_tT1_T2_PT3_SF_jT4_jjP12ihipStream_tbEUlT_E_NS1_11comp_targetILNS1_3genE10ELNS1_11target_archE1201ELNS1_3gpuE5ELNS1_3repE0EEENS1_52radix_sort_onesweep_histogram_config_static_selectorELNS0_4arch9wavefront6targetE0EEEvSD_.private_seg_size, 0
	.set _ZN7rocprim17ROCPRIM_400000_NS6detail17trampoline_kernelINS0_14default_configENS1_35radix_sort_onesweep_config_selectorIfNS0_10empty_typeEEEZNS1_34radix_sort_onesweep_global_offsetsIS3_Lb1EPKfPS5_mNS0_19identity_decomposerEEE10hipError_tT1_T2_PT3_SF_jT4_jjP12ihipStream_tbEUlT_E_NS1_11comp_targetILNS1_3genE10ELNS1_11target_archE1201ELNS1_3gpuE5ELNS1_3repE0EEENS1_52radix_sort_onesweep_histogram_config_static_selectorELNS0_4arch9wavefront6targetE0EEEvSD_.uses_vcc, 0
	.set _ZN7rocprim17ROCPRIM_400000_NS6detail17trampoline_kernelINS0_14default_configENS1_35radix_sort_onesweep_config_selectorIfNS0_10empty_typeEEEZNS1_34radix_sort_onesweep_global_offsetsIS3_Lb1EPKfPS5_mNS0_19identity_decomposerEEE10hipError_tT1_T2_PT3_SF_jT4_jjP12ihipStream_tbEUlT_E_NS1_11comp_targetILNS1_3genE10ELNS1_11target_archE1201ELNS1_3gpuE5ELNS1_3repE0EEENS1_52radix_sort_onesweep_histogram_config_static_selectorELNS0_4arch9wavefront6targetE0EEEvSD_.uses_flat_scratch, 0
	.set _ZN7rocprim17ROCPRIM_400000_NS6detail17trampoline_kernelINS0_14default_configENS1_35radix_sort_onesweep_config_selectorIfNS0_10empty_typeEEEZNS1_34radix_sort_onesweep_global_offsetsIS3_Lb1EPKfPS5_mNS0_19identity_decomposerEEE10hipError_tT1_T2_PT3_SF_jT4_jjP12ihipStream_tbEUlT_E_NS1_11comp_targetILNS1_3genE10ELNS1_11target_archE1201ELNS1_3gpuE5ELNS1_3repE0EEENS1_52radix_sort_onesweep_histogram_config_static_selectorELNS0_4arch9wavefront6targetE0EEEvSD_.has_dyn_sized_stack, 0
	.set _ZN7rocprim17ROCPRIM_400000_NS6detail17trampoline_kernelINS0_14default_configENS1_35radix_sort_onesweep_config_selectorIfNS0_10empty_typeEEEZNS1_34radix_sort_onesweep_global_offsetsIS3_Lb1EPKfPS5_mNS0_19identity_decomposerEEE10hipError_tT1_T2_PT3_SF_jT4_jjP12ihipStream_tbEUlT_E_NS1_11comp_targetILNS1_3genE10ELNS1_11target_archE1201ELNS1_3gpuE5ELNS1_3repE0EEENS1_52radix_sort_onesweep_histogram_config_static_selectorELNS0_4arch9wavefront6targetE0EEEvSD_.has_recursion, 0
	.set _ZN7rocprim17ROCPRIM_400000_NS6detail17trampoline_kernelINS0_14default_configENS1_35radix_sort_onesweep_config_selectorIfNS0_10empty_typeEEEZNS1_34radix_sort_onesweep_global_offsetsIS3_Lb1EPKfPS5_mNS0_19identity_decomposerEEE10hipError_tT1_T2_PT3_SF_jT4_jjP12ihipStream_tbEUlT_E_NS1_11comp_targetILNS1_3genE10ELNS1_11target_archE1201ELNS1_3gpuE5ELNS1_3repE0EEENS1_52radix_sort_onesweep_histogram_config_static_selectorELNS0_4arch9wavefront6targetE0EEEvSD_.has_indirect_call, 0
	.section	.AMDGPU.csdata,"",@progbits
; Kernel info:
; codeLenInByte = 0
; TotalNumSgprs: 0
; NumVgprs: 0
; ScratchSize: 0
; MemoryBound: 0
; FloatMode: 240
; IeeeMode: 1
; LDSByteSize: 0 bytes/workgroup (compile time only)
; SGPRBlocks: 0
; VGPRBlocks: 0
; NumSGPRsForWavesPerEU: 1
; NumVGPRsForWavesPerEU: 1
; NamedBarCnt: 0
; Occupancy: 16
; WaveLimiterHint : 0
; COMPUTE_PGM_RSRC2:SCRATCH_EN: 0
; COMPUTE_PGM_RSRC2:USER_SGPR: 2
; COMPUTE_PGM_RSRC2:TRAP_HANDLER: 0
; COMPUTE_PGM_RSRC2:TGID_X_EN: 1
; COMPUTE_PGM_RSRC2:TGID_Y_EN: 0
; COMPUTE_PGM_RSRC2:TGID_Z_EN: 0
; COMPUTE_PGM_RSRC2:TIDIG_COMP_CNT: 0
	.section	.text._ZN7rocprim17ROCPRIM_400000_NS6detail17trampoline_kernelINS0_14default_configENS1_35radix_sort_onesweep_config_selectorIfNS0_10empty_typeEEEZNS1_34radix_sort_onesweep_global_offsetsIS3_Lb1EPKfPS5_mNS0_19identity_decomposerEEE10hipError_tT1_T2_PT3_SF_jT4_jjP12ihipStream_tbEUlT_E_NS1_11comp_targetILNS1_3genE9ELNS1_11target_archE1100ELNS1_3gpuE3ELNS1_3repE0EEENS1_52radix_sort_onesweep_histogram_config_static_selectorELNS0_4arch9wavefront6targetE0EEEvSD_,"axG",@progbits,_ZN7rocprim17ROCPRIM_400000_NS6detail17trampoline_kernelINS0_14default_configENS1_35radix_sort_onesweep_config_selectorIfNS0_10empty_typeEEEZNS1_34radix_sort_onesweep_global_offsetsIS3_Lb1EPKfPS5_mNS0_19identity_decomposerEEE10hipError_tT1_T2_PT3_SF_jT4_jjP12ihipStream_tbEUlT_E_NS1_11comp_targetILNS1_3genE9ELNS1_11target_archE1100ELNS1_3gpuE3ELNS1_3repE0EEENS1_52radix_sort_onesweep_histogram_config_static_selectorELNS0_4arch9wavefront6targetE0EEEvSD_,comdat
	.protected	_ZN7rocprim17ROCPRIM_400000_NS6detail17trampoline_kernelINS0_14default_configENS1_35radix_sort_onesweep_config_selectorIfNS0_10empty_typeEEEZNS1_34radix_sort_onesweep_global_offsetsIS3_Lb1EPKfPS5_mNS0_19identity_decomposerEEE10hipError_tT1_T2_PT3_SF_jT4_jjP12ihipStream_tbEUlT_E_NS1_11comp_targetILNS1_3genE9ELNS1_11target_archE1100ELNS1_3gpuE3ELNS1_3repE0EEENS1_52radix_sort_onesweep_histogram_config_static_selectorELNS0_4arch9wavefront6targetE0EEEvSD_ ; -- Begin function _ZN7rocprim17ROCPRIM_400000_NS6detail17trampoline_kernelINS0_14default_configENS1_35radix_sort_onesweep_config_selectorIfNS0_10empty_typeEEEZNS1_34radix_sort_onesweep_global_offsetsIS3_Lb1EPKfPS5_mNS0_19identity_decomposerEEE10hipError_tT1_T2_PT3_SF_jT4_jjP12ihipStream_tbEUlT_E_NS1_11comp_targetILNS1_3genE9ELNS1_11target_archE1100ELNS1_3gpuE3ELNS1_3repE0EEENS1_52radix_sort_onesweep_histogram_config_static_selectorELNS0_4arch9wavefront6targetE0EEEvSD_
	.globl	_ZN7rocprim17ROCPRIM_400000_NS6detail17trampoline_kernelINS0_14default_configENS1_35radix_sort_onesweep_config_selectorIfNS0_10empty_typeEEEZNS1_34radix_sort_onesweep_global_offsetsIS3_Lb1EPKfPS5_mNS0_19identity_decomposerEEE10hipError_tT1_T2_PT3_SF_jT4_jjP12ihipStream_tbEUlT_E_NS1_11comp_targetILNS1_3genE9ELNS1_11target_archE1100ELNS1_3gpuE3ELNS1_3repE0EEENS1_52radix_sort_onesweep_histogram_config_static_selectorELNS0_4arch9wavefront6targetE0EEEvSD_
	.p2align	8
	.type	_ZN7rocprim17ROCPRIM_400000_NS6detail17trampoline_kernelINS0_14default_configENS1_35radix_sort_onesweep_config_selectorIfNS0_10empty_typeEEEZNS1_34radix_sort_onesweep_global_offsetsIS3_Lb1EPKfPS5_mNS0_19identity_decomposerEEE10hipError_tT1_T2_PT3_SF_jT4_jjP12ihipStream_tbEUlT_E_NS1_11comp_targetILNS1_3genE9ELNS1_11target_archE1100ELNS1_3gpuE3ELNS1_3repE0EEENS1_52radix_sort_onesweep_histogram_config_static_selectorELNS0_4arch9wavefront6targetE0EEEvSD_,@function
_ZN7rocprim17ROCPRIM_400000_NS6detail17trampoline_kernelINS0_14default_configENS1_35radix_sort_onesweep_config_selectorIfNS0_10empty_typeEEEZNS1_34radix_sort_onesweep_global_offsetsIS3_Lb1EPKfPS5_mNS0_19identity_decomposerEEE10hipError_tT1_T2_PT3_SF_jT4_jjP12ihipStream_tbEUlT_E_NS1_11comp_targetILNS1_3genE9ELNS1_11target_archE1100ELNS1_3gpuE3ELNS1_3repE0EEENS1_52radix_sort_onesweep_histogram_config_static_selectorELNS0_4arch9wavefront6targetE0EEEvSD_: ; @_ZN7rocprim17ROCPRIM_400000_NS6detail17trampoline_kernelINS0_14default_configENS1_35radix_sort_onesweep_config_selectorIfNS0_10empty_typeEEEZNS1_34radix_sort_onesweep_global_offsetsIS3_Lb1EPKfPS5_mNS0_19identity_decomposerEEE10hipError_tT1_T2_PT3_SF_jT4_jjP12ihipStream_tbEUlT_E_NS1_11comp_targetILNS1_3genE9ELNS1_11target_archE1100ELNS1_3gpuE3ELNS1_3repE0EEENS1_52radix_sort_onesweep_histogram_config_static_selectorELNS0_4arch9wavefront6targetE0EEEvSD_
; %bb.0:
	.section	.rodata,"a",@progbits
	.p2align	6, 0x0
	.amdhsa_kernel _ZN7rocprim17ROCPRIM_400000_NS6detail17trampoline_kernelINS0_14default_configENS1_35radix_sort_onesweep_config_selectorIfNS0_10empty_typeEEEZNS1_34radix_sort_onesweep_global_offsetsIS3_Lb1EPKfPS5_mNS0_19identity_decomposerEEE10hipError_tT1_T2_PT3_SF_jT4_jjP12ihipStream_tbEUlT_E_NS1_11comp_targetILNS1_3genE9ELNS1_11target_archE1100ELNS1_3gpuE3ELNS1_3repE0EEENS1_52radix_sort_onesweep_histogram_config_static_selectorELNS0_4arch9wavefront6targetE0EEEvSD_
		.amdhsa_group_segment_fixed_size 0
		.amdhsa_private_segment_fixed_size 0
		.amdhsa_kernarg_size 48
		.amdhsa_user_sgpr_count 2
		.amdhsa_user_sgpr_dispatch_ptr 0
		.amdhsa_user_sgpr_queue_ptr 0
		.amdhsa_user_sgpr_kernarg_segment_ptr 1
		.amdhsa_user_sgpr_dispatch_id 0
		.amdhsa_user_sgpr_kernarg_preload_length 0
		.amdhsa_user_sgpr_kernarg_preload_offset 0
		.amdhsa_user_sgpr_private_segment_size 0
		.amdhsa_wavefront_size32 1
		.amdhsa_uses_dynamic_stack 0
		.amdhsa_enable_private_segment 0
		.amdhsa_system_sgpr_workgroup_id_x 1
		.amdhsa_system_sgpr_workgroup_id_y 0
		.amdhsa_system_sgpr_workgroup_id_z 0
		.amdhsa_system_sgpr_workgroup_info 0
		.amdhsa_system_vgpr_workitem_id 0
		.amdhsa_next_free_vgpr 1
		.amdhsa_next_free_sgpr 1
		.amdhsa_named_barrier_count 0
		.amdhsa_reserve_vcc 0
		.amdhsa_float_round_mode_32 0
		.amdhsa_float_round_mode_16_64 0
		.amdhsa_float_denorm_mode_32 3
		.amdhsa_float_denorm_mode_16_64 3
		.amdhsa_fp16_overflow 0
		.amdhsa_memory_ordered 1
		.amdhsa_forward_progress 1
		.amdhsa_inst_pref_size 0
		.amdhsa_round_robin_scheduling 0
		.amdhsa_exception_fp_ieee_invalid_op 0
		.amdhsa_exception_fp_denorm_src 0
		.amdhsa_exception_fp_ieee_div_zero 0
		.amdhsa_exception_fp_ieee_overflow 0
		.amdhsa_exception_fp_ieee_underflow 0
		.amdhsa_exception_fp_ieee_inexact 0
		.amdhsa_exception_int_div_zero 0
	.end_amdhsa_kernel
	.section	.text._ZN7rocprim17ROCPRIM_400000_NS6detail17trampoline_kernelINS0_14default_configENS1_35radix_sort_onesweep_config_selectorIfNS0_10empty_typeEEEZNS1_34radix_sort_onesweep_global_offsetsIS3_Lb1EPKfPS5_mNS0_19identity_decomposerEEE10hipError_tT1_T2_PT3_SF_jT4_jjP12ihipStream_tbEUlT_E_NS1_11comp_targetILNS1_3genE9ELNS1_11target_archE1100ELNS1_3gpuE3ELNS1_3repE0EEENS1_52radix_sort_onesweep_histogram_config_static_selectorELNS0_4arch9wavefront6targetE0EEEvSD_,"axG",@progbits,_ZN7rocprim17ROCPRIM_400000_NS6detail17trampoline_kernelINS0_14default_configENS1_35radix_sort_onesweep_config_selectorIfNS0_10empty_typeEEEZNS1_34radix_sort_onesweep_global_offsetsIS3_Lb1EPKfPS5_mNS0_19identity_decomposerEEE10hipError_tT1_T2_PT3_SF_jT4_jjP12ihipStream_tbEUlT_E_NS1_11comp_targetILNS1_3genE9ELNS1_11target_archE1100ELNS1_3gpuE3ELNS1_3repE0EEENS1_52radix_sort_onesweep_histogram_config_static_selectorELNS0_4arch9wavefront6targetE0EEEvSD_,comdat
.Lfunc_end1300:
	.size	_ZN7rocprim17ROCPRIM_400000_NS6detail17trampoline_kernelINS0_14default_configENS1_35radix_sort_onesweep_config_selectorIfNS0_10empty_typeEEEZNS1_34radix_sort_onesweep_global_offsetsIS3_Lb1EPKfPS5_mNS0_19identity_decomposerEEE10hipError_tT1_T2_PT3_SF_jT4_jjP12ihipStream_tbEUlT_E_NS1_11comp_targetILNS1_3genE9ELNS1_11target_archE1100ELNS1_3gpuE3ELNS1_3repE0EEENS1_52radix_sort_onesweep_histogram_config_static_selectorELNS0_4arch9wavefront6targetE0EEEvSD_, .Lfunc_end1300-_ZN7rocprim17ROCPRIM_400000_NS6detail17trampoline_kernelINS0_14default_configENS1_35radix_sort_onesweep_config_selectorIfNS0_10empty_typeEEEZNS1_34radix_sort_onesweep_global_offsetsIS3_Lb1EPKfPS5_mNS0_19identity_decomposerEEE10hipError_tT1_T2_PT3_SF_jT4_jjP12ihipStream_tbEUlT_E_NS1_11comp_targetILNS1_3genE9ELNS1_11target_archE1100ELNS1_3gpuE3ELNS1_3repE0EEENS1_52radix_sort_onesweep_histogram_config_static_selectorELNS0_4arch9wavefront6targetE0EEEvSD_
                                        ; -- End function
	.set _ZN7rocprim17ROCPRIM_400000_NS6detail17trampoline_kernelINS0_14default_configENS1_35radix_sort_onesweep_config_selectorIfNS0_10empty_typeEEEZNS1_34radix_sort_onesweep_global_offsetsIS3_Lb1EPKfPS5_mNS0_19identity_decomposerEEE10hipError_tT1_T2_PT3_SF_jT4_jjP12ihipStream_tbEUlT_E_NS1_11comp_targetILNS1_3genE9ELNS1_11target_archE1100ELNS1_3gpuE3ELNS1_3repE0EEENS1_52radix_sort_onesweep_histogram_config_static_selectorELNS0_4arch9wavefront6targetE0EEEvSD_.num_vgpr, 0
	.set _ZN7rocprim17ROCPRIM_400000_NS6detail17trampoline_kernelINS0_14default_configENS1_35radix_sort_onesweep_config_selectorIfNS0_10empty_typeEEEZNS1_34radix_sort_onesweep_global_offsetsIS3_Lb1EPKfPS5_mNS0_19identity_decomposerEEE10hipError_tT1_T2_PT3_SF_jT4_jjP12ihipStream_tbEUlT_E_NS1_11comp_targetILNS1_3genE9ELNS1_11target_archE1100ELNS1_3gpuE3ELNS1_3repE0EEENS1_52radix_sort_onesweep_histogram_config_static_selectorELNS0_4arch9wavefront6targetE0EEEvSD_.num_agpr, 0
	.set _ZN7rocprim17ROCPRIM_400000_NS6detail17trampoline_kernelINS0_14default_configENS1_35radix_sort_onesweep_config_selectorIfNS0_10empty_typeEEEZNS1_34radix_sort_onesweep_global_offsetsIS3_Lb1EPKfPS5_mNS0_19identity_decomposerEEE10hipError_tT1_T2_PT3_SF_jT4_jjP12ihipStream_tbEUlT_E_NS1_11comp_targetILNS1_3genE9ELNS1_11target_archE1100ELNS1_3gpuE3ELNS1_3repE0EEENS1_52radix_sort_onesweep_histogram_config_static_selectorELNS0_4arch9wavefront6targetE0EEEvSD_.numbered_sgpr, 0
	.set _ZN7rocprim17ROCPRIM_400000_NS6detail17trampoline_kernelINS0_14default_configENS1_35radix_sort_onesweep_config_selectorIfNS0_10empty_typeEEEZNS1_34radix_sort_onesweep_global_offsetsIS3_Lb1EPKfPS5_mNS0_19identity_decomposerEEE10hipError_tT1_T2_PT3_SF_jT4_jjP12ihipStream_tbEUlT_E_NS1_11comp_targetILNS1_3genE9ELNS1_11target_archE1100ELNS1_3gpuE3ELNS1_3repE0EEENS1_52radix_sort_onesweep_histogram_config_static_selectorELNS0_4arch9wavefront6targetE0EEEvSD_.num_named_barrier, 0
	.set _ZN7rocprim17ROCPRIM_400000_NS6detail17trampoline_kernelINS0_14default_configENS1_35radix_sort_onesweep_config_selectorIfNS0_10empty_typeEEEZNS1_34radix_sort_onesweep_global_offsetsIS3_Lb1EPKfPS5_mNS0_19identity_decomposerEEE10hipError_tT1_T2_PT3_SF_jT4_jjP12ihipStream_tbEUlT_E_NS1_11comp_targetILNS1_3genE9ELNS1_11target_archE1100ELNS1_3gpuE3ELNS1_3repE0EEENS1_52radix_sort_onesweep_histogram_config_static_selectorELNS0_4arch9wavefront6targetE0EEEvSD_.private_seg_size, 0
	.set _ZN7rocprim17ROCPRIM_400000_NS6detail17trampoline_kernelINS0_14default_configENS1_35radix_sort_onesweep_config_selectorIfNS0_10empty_typeEEEZNS1_34radix_sort_onesweep_global_offsetsIS3_Lb1EPKfPS5_mNS0_19identity_decomposerEEE10hipError_tT1_T2_PT3_SF_jT4_jjP12ihipStream_tbEUlT_E_NS1_11comp_targetILNS1_3genE9ELNS1_11target_archE1100ELNS1_3gpuE3ELNS1_3repE0EEENS1_52radix_sort_onesweep_histogram_config_static_selectorELNS0_4arch9wavefront6targetE0EEEvSD_.uses_vcc, 0
	.set _ZN7rocprim17ROCPRIM_400000_NS6detail17trampoline_kernelINS0_14default_configENS1_35radix_sort_onesweep_config_selectorIfNS0_10empty_typeEEEZNS1_34radix_sort_onesweep_global_offsetsIS3_Lb1EPKfPS5_mNS0_19identity_decomposerEEE10hipError_tT1_T2_PT3_SF_jT4_jjP12ihipStream_tbEUlT_E_NS1_11comp_targetILNS1_3genE9ELNS1_11target_archE1100ELNS1_3gpuE3ELNS1_3repE0EEENS1_52radix_sort_onesweep_histogram_config_static_selectorELNS0_4arch9wavefront6targetE0EEEvSD_.uses_flat_scratch, 0
	.set _ZN7rocprim17ROCPRIM_400000_NS6detail17trampoline_kernelINS0_14default_configENS1_35radix_sort_onesweep_config_selectorIfNS0_10empty_typeEEEZNS1_34radix_sort_onesweep_global_offsetsIS3_Lb1EPKfPS5_mNS0_19identity_decomposerEEE10hipError_tT1_T2_PT3_SF_jT4_jjP12ihipStream_tbEUlT_E_NS1_11comp_targetILNS1_3genE9ELNS1_11target_archE1100ELNS1_3gpuE3ELNS1_3repE0EEENS1_52radix_sort_onesweep_histogram_config_static_selectorELNS0_4arch9wavefront6targetE0EEEvSD_.has_dyn_sized_stack, 0
	.set _ZN7rocprim17ROCPRIM_400000_NS6detail17trampoline_kernelINS0_14default_configENS1_35radix_sort_onesweep_config_selectorIfNS0_10empty_typeEEEZNS1_34radix_sort_onesweep_global_offsetsIS3_Lb1EPKfPS5_mNS0_19identity_decomposerEEE10hipError_tT1_T2_PT3_SF_jT4_jjP12ihipStream_tbEUlT_E_NS1_11comp_targetILNS1_3genE9ELNS1_11target_archE1100ELNS1_3gpuE3ELNS1_3repE0EEENS1_52radix_sort_onesweep_histogram_config_static_selectorELNS0_4arch9wavefront6targetE0EEEvSD_.has_recursion, 0
	.set _ZN7rocprim17ROCPRIM_400000_NS6detail17trampoline_kernelINS0_14default_configENS1_35radix_sort_onesweep_config_selectorIfNS0_10empty_typeEEEZNS1_34radix_sort_onesweep_global_offsetsIS3_Lb1EPKfPS5_mNS0_19identity_decomposerEEE10hipError_tT1_T2_PT3_SF_jT4_jjP12ihipStream_tbEUlT_E_NS1_11comp_targetILNS1_3genE9ELNS1_11target_archE1100ELNS1_3gpuE3ELNS1_3repE0EEENS1_52radix_sort_onesweep_histogram_config_static_selectorELNS0_4arch9wavefront6targetE0EEEvSD_.has_indirect_call, 0
	.section	.AMDGPU.csdata,"",@progbits
; Kernel info:
; codeLenInByte = 0
; TotalNumSgprs: 0
; NumVgprs: 0
; ScratchSize: 0
; MemoryBound: 0
; FloatMode: 240
; IeeeMode: 1
; LDSByteSize: 0 bytes/workgroup (compile time only)
; SGPRBlocks: 0
; VGPRBlocks: 0
; NumSGPRsForWavesPerEU: 1
; NumVGPRsForWavesPerEU: 1
; NamedBarCnt: 0
; Occupancy: 16
; WaveLimiterHint : 0
; COMPUTE_PGM_RSRC2:SCRATCH_EN: 0
; COMPUTE_PGM_RSRC2:USER_SGPR: 2
; COMPUTE_PGM_RSRC2:TRAP_HANDLER: 0
; COMPUTE_PGM_RSRC2:TGID_X_EN: 1
; COMPUTE_PGM_RSRC2:TGID_Y_EN: 0
; COMPUTE_PGM_RSRC2:TGID_Z_EN: 0
; COMPUTE_PGM_RSRC2:TIDIG_COMP_CNT: 0
	.section	.text._ZN7rocprim17ROCPRIM_400000_NS6detail17trampoline_kernelINS0_14default_configENS1_35radix_sort_onesweep_config_selectorIfNS0_10empty_typeEEEZNS1_34radix_sort_onesweep_global_offsetsIS3_Lb1EPKfPS5_mNS0_19identity_decomposerEEE10hipError_tT1_T2_PT3_SF_jT4_jjP12ihipStream_tbEUlT_E_NS1_11comp_targetILNS1_3genE8ELNS1_11target_archE1030ELNS1_3gpuE2ELNS1_3repE0EEENS1_52radix_sort_onesweep_histogram_config_static_selectorELNS0_4arch9wavefront6targetE0EEEvSD_,"axG",@progbits,_ZN7rocprim17ROCPRIM_400000_NS6detail17trampoline_kernelINS0_14default_configENS1_35radix_sort_onesweep_config_selectorIfNS0_10empty_typeEEEZNS1_34radix_sort_onesweep_global_offsetsIS3_Lb1EPKfPS5_mNS0_19identity_decomposerEEE10hipError_tT1_T2_PT3_SF_jT4_jjP12ihipStream_tbEUlT_E_NS1_11comp_targetILNS1_3genE8ELNS1_11target_archE1030ELNS1_3gpuE2ELNS1_3repE0EEENS1_52radix_sort_onesweep_histogram_config_static_selectorELNS0_4arch9wavefront6targetE0EEEvSD_,comdat
	.protected	_ZN7rocprim17ROCPRIM_400000_NS6detail17trampoline_kernelINS0_14default_configENS1_35radix_sort_onesweep_config_selectorIfNS0_10empty_typeEEEZNS1_34radix_sort_onesweep_global_offsetsIS3_Lb1EPKfPS5_mNS0_19identity_decomposerEEE10hipError_tT1_T2_PT3_SF_jT4_jjP12ihipStream_tbEUlT_E_NS1_11comp_targetILNS1_3genE8ELNS1_11target_archE1030ELNS1_3gpuE2ELNS1_3repE0EEENS1_52radix_sort_onesweep_histogram_config_static_selectorELNS0_4arch9wavefront6targetE0EEEvSD_ ; -- Begin function _ZN7rocprim17ROCPRIM_400000_NS6detail17trampoline_kernelINS0_14default_configENS1_35radix_sort_onesweep_config_selectorIfNS0_10empty_typeEEEZNS1_34radix_sort_onesweep_global_offsetsIS3_Lb1EPKfPS5_mNS0_19identity_decomposerEEE10hipError_tT1_T2_PT3_SF_jT4_jjP12ihipStream_tbEUlT_E_NS1_11comp_targetILNS1_3genE8ELNS1_11target_archE1030ELNS1_3gpuE2ELNS1_3repE0EEENS1_52radix_sort_onesweep_histogram_config_static_selectorELNS0_4arch9wavefront6targetE0EEEvSD_
	.globl	_ZN7rocprim17ROCPRIM_400000_NS6detail17trampoline_kernelINS0_14default_configENS1_35radix_sort_onesweep_config_selectorIfNS0_10empty_typeEEEZNS1_34radix_sort_onesweep_global_offsetsIS3_Lb1EPKfPS5_mNS0_19identity_decomposerEEE10hipError_tT1_T2_PT3_SF_jT4_jjP12ihipStream_tbEUlT_E_NS1_11comp_targetILNS1_3genE8ELNS1_11target_archE1030ELNS1_3gpuE2ELNS1_3repE0EEENS1_52radix_sort_onesweep_histogram_config_static_selectorELNS0_4arch9wavefront6targetE0EEEvSD_
	.p2align	8
	.type	_ZN7rocprim17ROCPRIM_400000_NS6detail17trampoline_kernelINS0_14default_configENS1_35radix_sort_onesweep_config_selectorIfNS0_10empty_typeEEEZNS1_34radix_sort_onesweep_global_offsetsIS3_Lb1EPKfPS5_mNS0_19identity_decomposerEEE10hipError_tT1_T2_PT3_SF_jT4_jjP12ihipStream_tbEUlT_E_NS1_11comp_targetILNS1_3genE8ELNS1_11target_archE1030ELNS1_3gpuE2ELNS1_3repE0EEENS1_52radix_sort_onesweep_histogram_config_static_selectorELNS0_4arch9wavefront6targetE0EEEvSD_,@function
_ZN7rocprim17ROCPRIM_400000_NS6detail17trampoline_kernelINS0_14default_configENS1_35radix_sort_onesweep_config_selectorIfNS0_10empty_typeEEEZNS1_34radix_sort_onesweep_global_offsetsIS3_Lb1EPKfPS5_mNS0_19identity_decomposerEEE10hipError_tT1_T2_PT3_SF_jT4_jjP12ihipStream_tbEUlT_E_NS1_11comp_targetILNS1_3genE8ELNS1_11target_archE1030ELNS1_3gpuE2ELNS1_3repE0EEENS1_52radix_sort_onesweep_histogram_config_static_selectorELNS0_4arch9wavefront6targetE0EEEvSD_: ; @_ZN7rocprim17ROCPRIM_400000_NS6detail17trampoline_kernelINS0_14default_configENS1_35radix_sort_onesweep_config_selectorIfNS0_10empty_typeEEEZNS1_34radix_sort_onesweep_global_offsetsIS3_Lb1EPKfPS5_mNS0_19identity_decomposerEEE10hipError_tT1_T2_PT3_SF_jT4_jjP12ihipStream_tbEUlT_E_NS1_11comp_targetILNS1_3genE8ELNS1_11target_archE1030ELNS1_3gpuE2ELNS1_3repE0EEENS1_52radix_sort_onesweep_histogram_config_static_selectorELNS0_4arch9wavefront6targetE0EEEvSD_
; %bb.0:
	.section	.rodata,"a",@progbits
	.p2align	6, 0x0
	.amdhsa_kernel _ZN7rocprim17ROCPRIM_400000_NS6detail17trampoline_kernelINS0_14default_configENS1_35radix_sort_onesweep_config_selectorIfNS0_10empty_typeEEEZNS1_34radix_sort_onesweep_global_offsetsIS3_Lb1EPKfPS5_mNS0_19identity_decomposerEEE10hipError_tT1_T2_PT3_SF_jT4_jjP12ihipStream_tbEUlT_E_NS1_11comp_targetILNS1_3genE8ELNS1_11target_archE1030ELNS1_3gpuE2ELNS1_3repE0EEENS1_52radix_sort_onesweep_histogram_config_static_selectorELNS0_4arch9wavefront6targetE0EEEvSD_
		.amdhsa_group_segment_fixed_size 0
		.amdhsa_private_segment_fixed_size 0
		.amdhsa_kernarg_size 48
		.amdhsa_user_sgpr_count 2
		.amdhsa_user_sgpr_dispatch_ptr 0
		.amdhsa_user_sgpr_queue_ptr 0
		.amdhsa_user_sgpr_kernarg_segment_ptr 1
		.amdhsa_user_sgpr_dispatch_id 0
		.amdhsa_user_sgpr_kernarg_preload_length 0
		.amdhsa_user_sgpr_kernarg_preload_offset 0
		.amdhsa_user_sgpr_private_segment_size 0
		.amdhsa_wavefront_size32 1
		.amdhsa_uses_dynamic_stack 0
		.amdhsa_enable_private_segment 0
		.amdhsa_system_sgpr_workgroup_id_x 1
		.amdhsa_system_sgpr_workgroup_id_y 0
		.amdhsa_system_sgpr_workgroup_id_z 0
		.amdhsa_system_sgpr_workgroup_info 0
		.amdhsa_system_vgpr_workitem_id 0
		.amdhsa_next_free_vgpr 1
		.amdhsa_next_free_sgpr 1
		.amdhsa_named_barrier_count 0
		.amdhsa_reserve_vcc 0
		.amdhsa_float_round_mode_32 0
		.amdhsa_float_round_mode_16_64 0
		.amdhsa_float_denorm_mode_32 3
		.amdhsa_float_denorm_mode_16_64 3
		.amdhsa_fp16_overflow 0
		.amdhsa_memory_ordered 1
		.amdhsa_forward_progress 1
		.amdhsa_inst_pref_size 0
		.amdhsa_round_robin_scheduling 0
		.amdhsa_exception_fp_ieee_invalid_op 0
		.amdhsa_exception_fp_denorm_src 0
		.amdhsa_exception_fp_ieee_div_zero 0
		.amdhsa_exception_fp_ieee_overflow 0
		.amdhsa_exception_fp_ieee_underflow 0
		.amdhsa_exception_fp_ieee_inexact 0
		.amdhsa_exception_int_div_zero 0
	.end_amdhsa_kernel
	.section	.text._ZN7rocprim17ROCPRIM_400000_NS6detail17trampoline_kernelINS0_14default_configENS1_35radix_sort_onesweep_config_selectorIfNS0_10empty_typeEEEZNS1_34radix_sort_onesweep_global_offsetsIS3_Lb1EPKfPS5_mNS0_19identity_decomposerEEE10hipError_tT1_T2_PT3_SF_jT4_jjP12ihipStream_tbEUlT_E_NS1_11comp_targetILNS1_3genE8ELNS1_11target_archE1030ELNS1_3gpuE2ELNS1_3repE0EEENS1_52radix_sort_onesweep_histogram_config_static_selectorELNS0_4arch9wavefront6targetE0EEEvSD_,"axG",@progbits,_ZN7rocprim17ROCPRIM_400000_NS6detail17trampoline_kernelINS0_14default_configENS1_35radix_sort_onesweep_config_selectorIfNS0_10empty_typeEEEZNS1_34radix_sort_onesweep_global_offsetsIS3_Lb1EPKfPS5_mNS0_19identity_decomposerEEE10hipError_tT1_T2_PT3_SF_jT4_jjP12ihipStream_tbEUlT_E_NS1_11comp_targetILNS1_3genE8ELNS1_11target_archE1030ELNS1_3gpuE2ELNS1_3repE0EEENS1_52radix_sort_onesweep_histogram_config_static_selectorELNS0_4arch9wavefront6targetE0EEEvSD_,comdat
.Lfunc_end1301:
	.size	_ZN7rocprim17ROCPRIM_400000_NS6detail17trampoline_kernelINS0_14default_configENS1_35radix_sort_onesweep_config_selectorIfNS0_10empty_typeEEEZNS1_34radix_sort_onesweep_global_offsetsIS3_Lb1EPKfPS5_mNS0_19identity_decomposerEEE10hipError_tT1_T2_PT3_SF_jT4_jjP12ihipStream_tbEUlT_E_NS1_11comp_targetILNS1_3genE8ELNS1_11target_archE1030ELNS1_3gpuE2ELNS1_3repE0EEENS1_52radix_sort_onesweep_histogram_config_static_selectorELNS0_4arch9wavefront6targetE0EEEvSD_, .Lfunc_end1301-_ZN7rocprim17ROCPRIM_400000_NS6detail17trampoline_kernelINS0_14default_configENS1_35radix_sort_onesweep_config_selectorIfNS0_10empty_typeEEEZNS1_34radix_sort_onesweep_global_offsetsIS3_Lb1EPKfPS5_mNS0_19identity_decomposerEEE10hipError_tT1_T2_PT3_SF_jT4_jjP12ihipStream_tbEUlT_E_NS1_11comp_targetILNS1_3genE8ELNS1_11target_archE1030ELNS1_3gpuE2ELNS1_3repE0EEENS1_52radix_sort_onesweep_histogram_config_static_selectorELNS0_4arch9wavefront6targetE0EEEvSD_
                                        ; -- End function
	.set _ZN7rocprim17ROCPRIM_400000_NS6detail17trampoline_kernelINS0_14default_configENS1_35radix_sort_onesweep_config_selectorIfNS0_10empty_typeEEEZNS1_34radix_sort_onesweep_global_offsetsIS3_Lb1EPKfPS5_mNS0_19identity_decomposerEEE10hipError_tT1_T2_PT3_SF_jT4_jjP12ihipStream_tbEUlT_E_NS1_11comp_targetILNS1_3genE8ELNS1_11target_archE1030ELNS1_3gpuE2ELNS1_3repE0EEENS1_52radix_sort_onesweep_histogram_config_static_selectorELNS0_4arch9wavefront6targetE0EEEvSD_.num_vgpr, 0
	.set _ZN7rocprim17ROCPRIM_400000_NS6detail17trampoline_kernelINS0_14default_configENS1_35radix_sort_onesweep_config_selectorIfNS0_10empty_typeEEEZNS1_34radix_sort_onesweep_global_offsetsIS3_Lb1EPKfPS5_mNS0_19identity_decomposerEEE10hipError_tT1_T2_PT3_SF_jT4_jjP12ihipStream_tbEUlT_E_NS1_11comp_targetILNS1_3genE8ELNS1_11target_archE1030ELNS1_3gpuE2ELNS1_3repE0EEENS1_52radix_sort_onesweep_histogram_config_static_selectorELNS0_4arch9wavefront6targetE0EEEvSD_.num_agpr, 0
	.set _ZN7rocprim17ROCPRIM_400000_NS6detail17trampoline_kernelINS0_14default_configENS1_35radix_sort_onesweep_config_selectorIfNS0_10empty_typeEEEZNS1_34radix_sort_onesweep_global_offsetsIS3_Lb1EPKfPS5_mNS0_19identity_decomposerEEE10hipError_tT1_T2_PT3_SF_jT4_jjP12ihipStream_tbEUlT_E_NS1_11comp_targetILNS1_3genE8ELNS1_11target_archE1030ELNS1_3gpuE2ELNS1_3repE0EEENS1_52radix_sort_onesweep_histogram_config_static_selectorELNS0_4arch9wavefront6targetE0EEEvSD_.numbered_sgpr, 0
	.set _ZN7rocprim17ROCPRIM_400000_NS6detail17trampoline_kernelINS0_14default_configENS1_35radix_sort_onesweep_config_selectorIfNS0_10empty_typeEEEZNS1_34radix_sort_onesweep_global_offsetsIS3_Lb1EPKfPS5_mNS0_19identity_decomposerEEE10hipError_tT1_T2_PT3_SF_jT4_jjP12ihipStream_tbEUlT_E_NS1_11comp_targetILNS1_3genE8ELNS1_11target_archE1030ELNS1_3gpuE2ELNS1_3repE0EEENS1_52radix_sort_onesweep_histogram_config_static_selectorELNS0_4arch9wavefront6targetE0EEEvSD_.num_named_barrier, 0
	.set _ZN7rocprim17ROCPRIM_400000_NS6detail17trampoline_kernelINS0_14default_configENS1_35radix_sort_onesweep_config_selectorIfNS0_10empty_typeEEEZNS1_34radix_sort_onesweep_global_offsetsIS3_Lb1EPKfPS5_mNS0_19identity_decomposerEEE10hipError_tT1_T2_PT3_SF_jT4_jjP12ihipStream_tbEUlT_E_NS1_11comp_targetILNS1_3genE8ELNS1_11target_archE1030ELNS1_3gpuE2ELNS1_3repE0EEENS1_52radix_sort_onesweep_histogram_config_static_selectorELNS0_4arch9wavefront6targetE0EEEvSD_.private_seg_size, 0
	.set _ZN7rocprim17ROCPRIM_400000_NS6detail17trampoline_kernelINS0_14default_configENS1_35radix_sort_onesweep_config_selectorIfNS0_10empty_typeEEEZNS1_34radix_sort_onesweep_global_offsetsIS3_Lb1EPKfPS5_mNS0_19identity_decomposerEEE10hipError_tT1_T2_PT3_SF_jT4_jjP12ihipStream_tbEUlT_E_NS1_11comp_targetILNS1_3genE8ELNS1_11target_archE1030ELNS1_3gpuE2ELNS1_3repE0EEENS1_52radix_sort_onesweep_histogram_config_static_selectorELNS0_4arch9wavefront6targetE0EEEvSD_.uses_vcc, 0
	.set _ZN7rocprim17ROCPRIM_400000_NS6detail17trampoline_kernelINS0_14default_configENS1_35radix_sort_onesweep_config_selectorIfNS0_10empty_typeEEEZNS1_34radix_sort_onesweep_global_offsetsIS3_Lb1EPKfPS5_mNS0_19identity_decomposerEEE10hipError_tT1_T2_PT3_SF_jT4_jjP12ihipStream_tbEUlT_E_NS1_11comp_targetILNS1_3genE8ELNS1_11target_archE1030ELNS1_3gpuE2ELNS1_3repE0EEENS1_52radix_sort_onesweep_histogram_config_static_selectorELNS0_4arch9wavefront6targetE0EEEvSD_.uses_flat_scratch, 0
	.set _ZN7rocprim17ROCPRIM_400000_NS6detail17trampoline_kernelINS0_14default_configENS1_35radix_sort_onesweep_config_selectorIfNS0_10empty_typeEEEZNS1_34radix_sort_onesweep_global_offsetsIS3_Lb1EPKfPS5_mNS0_19identity_decomposerEEE10hipError_tT1_T2_PT3_SF_jT4_jjP12ihipStream_tbEUlT_E_NS1_11comp_targetILNS1_3genE8ELNS1_11target_archE1030ELNS1_3gpuE2ELNS1_3repE0EEENS1_52radix_sort_onesweep_histogram_config_static_selectorELNS0_4arch9wavefront6targetE0EEEvSD_.has_dyn_sized_stack, 0
	.set _ZN7rocprim17ROCPRIM_400000_NS6detail17trampoline_kernelINS0_14default_configENS1_35radix_sort_onesweep_config_selectorIfNS0_10empty_typeEEEZNS1_34radix_sort_onesweep_global_offsetsIS3_Lb1EPKfPS5_mNS0_19identity_decomposerEEE10hipError_tT1_T2_PT3_SF_jT4_jjP12ihipStream_tbEUlT_E_NS1_11comp_targetILNS1_3genE8ELNS1_11target_archE1030ELNS1_3gpuE2ELNS1_3repE0EEENS1_52radix_sort_onesweep_histogram_config_static_selectorELNS0_4arch9wavefront6targetE0EEEvSD_.has_recursion, 0
	.set _ZN7rocprim17ROCPRIM_400000_NS6detail17trampoline_kernelINS0_14default_configENS1_35radix_sort_onesweep_config_selectorIfNS0_10empty_typeEEEZNS1_34radix_sort_onesweep_global_offsetsIS3_Lb1EPKfPS5_mNS0_19identity_decomposerEEE10hipError_tT1_T2_PT3_SF_jT4_jjP12ihipStream_tbEUlT_E_NS1_11comp_targetILNS1_3genE8ELNS1_11target_archE1030ELNS1_3gpuE2ELNS1_3repE0EEENS1_52radix_sort_onesweep_histogram_config_static_selectorELNS0_4arch9wavefront6targetE0EEEvSD_.has_indirect_call, 0
	.section	.AMDGPU.csdata,"",@progbits
; Kernel info:
; codeLenInByte = 0
; TotalNumSgprs: 0
; NumVgprs: 0
; ScratchSize: 0
; MemoryBound: 0
; FloatMode: 240
; IeeeMode: 1
; LDSByteSize: 0 bytes/workgroup (compile time only)
; SGPRBlocks: 0
; VGPRBlocks: 0
; NumSGPRsForWavesPerEU: 1
; NumVGPRsForWavesPerEU: 1
; NamedBarCnt: 0
; Occupancy: 16
; WaveLimiterHint : 0
; COMPUTE_PGM_RSRC2:SCRATCH_EN: 0
; COMPUTE_PGM_RSRC2:USER_SGPR: 2
; COMPUTE_PGM_RSRC2:TRAP_HANDLER: 0
; COMPUTE_PGM_RSRC2:TGID_X_EN: 1
; COMPUTE_PGM_RSRC2:TGID_Y_EN: 0
; COMPUTE_PGM_RSRC2:TGID_Z_EN: 0
; COMPUTE_PGM_RSRC2:TIDIG_COMP_CNT: 0
	.section	.text._ZN7rocprim17ROCPRIM_400000_NS6detail17trampoline_kernelINS0_14default_configENS1_35radix_sort_onesweep_config_selectorIfNS0_10empty_typeEEEZNS1_34radix_sort_onesweep_global_offsetsIS3_Lb1EPKfPS5_mNS0_19identity_decomposerEEE10hipError_tT1_T2_PT3_SF_jT4_jjP12ihipStream_tbEUlT_E0_NS1_11comp_targetILNS1_3genE0ELNS1_11target_archE4294967295ELNS1_3gpuE0ELNS1_3repE0EEENS1_52radix_sort_onesweep_histogram_config_static_selectorELNS0_4arch9wavefront6targetE0EEEvSD_,"axG",@progbits,_ZN7rocprim17ROCPRIM_400000_NS6detail17trampoline_kernelINS0_14default_configENS1_35radix_sort_onesweep_config_selectorIfNS0_10empty_typeEEEZNS1_34radix_sort_onesweep_global_offsetsIS3_Lb1EPKfPS5_mNS0_19identity_decomposerEEE10hipError_tT1_T2_PT3_SF_jT4_jjP12ihipStream_tbEUlT_E0_NS1_11comp_targetILNS1_3genE0ELNS1_11target_archE4294967295ELNS1_3gpuE0ELNS1_3repE0EEENS1_52radix_sort_onesweep_histogram_config_static_selectorELNS0_4arch9wavefront6targetE0EEEvSD_,comdat
	.protected	_ZN7rocprim17ROCPRIM_400000_NS6detail17trampoline_kernelINS0_14default_configENS1_35radix_sort_onesweep_config_selectorIfNS0_10empty_typeEEEZNS1_34radix_sort_onesweep_global_offsetsIS3_Lb1EPKfPS5_mNS0_19identity_decomposerEEE10hipError_tT1_T2_PT3_SF_jT4_jjP12ihipStream_tbEUlT_E0_NS1_11comp_targetILNS1_3genE0ELNS1_11target_archE4294967295ELNS1_3gpuE0ELNS1_3repE0EEENS1_52radix_sort_onesweep_histogram_config_static_selectorELNS0_4arch9wavefront6targetE0EEEvSD_ ; -- Begin function _ZN7rocprim17ROCPRIM_400000_NS6detail17trampoline_kernelINS0_14default_configENS1_35radix_sort_onesweep_config_selectorIfNS0_10empty_typeEEEZNS1_34radix_sort_onesweep_global_offsetsIS3_Lb1EPKfPS5_mNS0_19identity_decomposerEEE10hipError_tT1_T2_PT3_SF_jT4_jjP12ihipStream_tbEUlT_E0_NS1_11comp_targetILNS1_3genE0ELNS1_11target_archE4294967295ELNS1_3gpuE0ELNS1_3repE0EEENS1_52radix_sort_onesweep_histogram_config_static_selectorELNS0_4arch9wavefront6targetE0EEEvSD_
	.globl	_ZN7rocprim17ROCPRIM_400000_NS6detail17trampoline_kernelINS0_14default_configENS1_35radix_sort_onesweep_config_selectorIfNS0_10empty_typeEEEZNS1_34radix_sort_onesweep_global_offsetsIS3_Lb1EPKfPS5_mNS0_19identity_decomposerEEE10hipError_tT1_T2_PT3_SF_jT4_jjP12ihipStream_tbEUlT_E0_NS1_11comp_targetILNS1_3genE0ELNS1_11target_archE4294967295ELNS1_3gpuE0ELNS1_3repE0EEENS1_52radix_sort_onesweep_histogram_config_static_selectorELNS0_4arch9wavefront6targetE0EEEvSD_
	.p2align	8
	.type	_ZN7rocprim17ROCPRIM_400000_NS6detail17trampoline_kernelINS0_14default_configENS1_35radix_sort_onesweep_config_selectorIfNS0_10empty_typeEEEZNS1_34radix_sort_onesweep_global_offsetsIS3_Lb1EPKfPS5_mNS0_19identity_decomposerEEE10hipError_tT1_T2_PT3_SF_jT4_jjP12ihipStream_tbEUlT_E0_NS1_11comp_targetILNS1_3genE0ELNS1_11target_archE4294967295ELNS1_3gpuE0ELNS1_3repE0EEENS1_52radix_sort_onesweep_histogram_config_static_selectorELNS0_4arch9wavefront6targetE0EEEvSD_,@function
_ZN7rocprim17ROCPRIM_400000_NS6detail17trampoline_kernelINS0_14default_configENS1_35radix_sort_onesweep_config_selectorIfNS0_10empty_typeEEEZNS1_34radix_sort_onesweep_global_offsetsIS3_Lb1EPKfPS5_mNS0_19identity_decomposerEEE10hipError_tT1_T2_PT3_SF_jT4_jjP12ihipStream_tbEUlT_E0_NS1_11comp_targetILNS1_3genE0ELNS1_11target_archE4294967295ELNS1_3gpuE0ELNS1_3repE0EEENS1_52radix_sort_onesweep_histogram_config_static_selectorELNS0_4arch9wavefront6targetE0EEEvSD_: ; @_ZN7rocprim17ROCPRIM_400000_NS6detail17trampoline_kernelINS0_14default_configENS1_35radix_sort_onesweep_config_selectorIfNS0_10empty_typeEEEZNS1_34radix_sort_onesweep_global_offsetsIS3_Lb1EPKfPS5_mNS0_19identity_decomposerEEE10hipError_tT1_T2_PT3_SF_jT4_jjP12ihipStream_tbEUlT_E0_NS1_11comp_targetILNS1_3genE0ELNS1_11target_archE4294967295ELNS1_3gpuE0ELNS1_3repE0EEENS1_52radix_sort_onesweep_histogram_config_static_selectorELNS0_4arch9wavefront6targetE0EEEvSD_
; %bb.0:
	s_load_b64 s[0:1], s[0:1], 0x0
	s_bfe_u32 s2, ttmp6, 0x4000c
	s_and_b32 s3, ttmp6, 15
	s_add_co_i32 s2, s2, 1
	s_getreg_b32 s4, hwreg(HW_REG_IB_STS2, 6, 4)
	s_mul_i32 s2, ttmp9, s2
	v_cmp_gt_u32_e32 vcc_lo, 0x100, v0
	s_add_co_i32 s3, s3, s2
	s_cmp_eq_u32 s4, 0
                                        ; implicit-def: $vgpr2_vgpr3
	s_cselect_b32 s2, ttmp9, s3
	s_mov_b32 s3, 0
	s_lshl_b32 s2, s2, 8
	s_delay_alu instid0(SALU_CYCLE_1)
	s_lshl_b64 s[2:3], s[2:3], 3
	s_wait_kmcnt 0x0
	s_add_nc_u64 s[6:7], s[0:1], s[2:3]
	s_and_saveexec_b32 s0, vcc_lo
	s_cbranch_execz .LBB1302_2
; %bb.1:
	global_load_b64 v[2:3], v0, s[6:7] scale_offset
.LBB1302_2:
	s_wait_xcnt 0x0
	s_or_b32 exec_lo, exec_lo, s0
	v_mbcnt_lo_u32_b32 v1, -1, 0
	s_wait_loadcnt 0x0
	v_mov_b32_dpp v6, v2 row_shr:1 row_mask:0xf bank_mask:0xf
	v_mov_b32_dpp v9, v3 row_shr:1 row_mask:0xf bank_mask:0xf
	s_delay_alu instid0(VALU_DEP_3) | instskip(NEXT) | instid1(VALU_DEP_1)
	v_dual_mov_b32 v4, v2 :: v_dual_bitop2_b32 v10, 15, v1 bitop3:0x40
	v_cmp_ne_u32_e64 s0, 0, v10
	s_and_saveexec_b32 s1, s0
; %bb.3:
	v_mov_b32_e32 v8, 0
	s_delay_alu instid0(VALU_DEP_1) | instskip(NEXT) | instid1(VALU_DEP_1)
	v_mov_b32_e32 v7, v8
	v_add_nc_u64_e32 v[4:5], v[2:3], v[6:7]
	s_delay_alu instid0(VALU_DEP_1)
	v_add_nc_u64_e32 v[2:3], v[8:9], v[4:5]
; %bb.4:
	s_or_b32 exec_lo, exec_lo, s1
	v_mov_b32_dpp v6, v4 row_shr:2 row_mask:0xf bank_mask:0xf
	s_delay_alu instid0(VALU_DEP_2)
	v_mov_b32_dpp v9, v3 row_shr:2 row_mask:0xf bank_mask:0xf
	v_cmp_lt_u32_e64 s1, 1, v10
	s_and_saveexec_b32 s2, s1
; %bb.5:
	v_mov_b32_e32 v8, 0
	s_delay_alu instid0(VALU_DEP_1) | instskip(NEXT) | instid1(VALU_DEP_1)
	v_mov_b32_e32 v7, v8
	v_add_nc_u64_e32 v[4:5], v[2:3], v[6:7]
	s_delay_alu instid0(VALU_DEP_1)
	v_add_nc_u64_e32 v[2:3], v[8:9], v[4:5]
; %bb.6:
	s_or_b32 exec_lo, exec_lo, s2
	v_mov_b32_dpp v6, v4 row_shr:4 row_mask:0xf bank_mask:0xf
	s_delay_alu instid0(VALU_DEP_2)
	v_mov_b32_dpp v9, v3 row_shr:4 row_mask:0xf bank_mask:0xf
	v_cmp_lt_u32_e64 s2, 3, v10
	;; [unrolled: 14-line block ×3, first 2 shown]
	s_and_saveexec_b32 s4, s3
; %bb.9:
	v_mov_b32_e32 v8, 0
	s_delay_alu instid0(VALU_DEP_1) | instskip(NEXT) | instid1(VALU_DEP_1)
	v_mov_b32_e32 v7, v8
	v_add_nc_u64_e32 v[4:5], v[2:3], v[6:7]
	s_delay_alu instid0(VALU_DEP_1)
	v_add_nc_u64_e32 v[2:3], v[8:9], v[4:5]
; %bb.10:
	s_or_b32 exec_lo, exec_lo, s4
	ds_swizzle_b32 v4, v4 offset:swizzle(BROADCAST,32,15)
	ds_swizzle_b32 v7, v3 offset:swizzle(BROADCAST,32,15)
	v_and_b32_e32 v5, 16, v1
	s_mov_b32 s5, exec_lo
	s_delay_alu instid0(VALU_DEP_1)
	v_cmpx_ne_u32_e32 0, v5
	s_cbranch_execz .LBB1302_12
; %bb.11:
	v_mov_b32_e32 v6, 0
	s_delay_alu instid0(VALU_DEP_1) | instskip(SKIP_1) | instid1(VALU_DEP_1)
	v_mov_b32_e32 v5, v6
	s_wait_dscnt 0x1
	v_add_nc_u64_e32 v[2:3], v[2:3], v[4:5]
	s_wait_dscnt 0x0
	s_delay_alu instid0(VALU_DEP_1)
	v_add_nc_u64_e32 v[2:3], v[2:3], v[6:7]
.LBB1302_12:
	s_or_b32 exec_lo, exec_lo, s5
	s_wait_dscnt 0x1
	v_dual_lshrrev_b32 v12, 5, v0 :: v_dual_bitop2_b32 v4, 31, v0 bitop3:0x54
	s_mov_b32 s5, exec_lo
	s_delay_alu instid0(VALU_DEP_1)
	v_cmpx_eq_u32_e64 v0, v4
; %bb.13:
	s_delay_alu instid0(VALU_DEP_2)
	v_lshlrev_b32_e32 v4, 3, v12
	ds_store_b64 v4, v[2:3]
; %bb.14:
	s_or_b32 exec_lo, exec_lo, s5
	s_delay_alu instid0(SALU_CYCLE_1)
	s_mov_b32 s5, exec_lo
	s_wait_dscnt 0x0
	s_barrier_signal -1
	s_barrier_wait -1
	v_cmpx_gt_u32_e32 16, v0
	s_cbranch_execz .LBB1302_24
; %bb.15:
	v_lshlrev_b32_e32 v13, 3, v0
	ds_load_b64 v[4:5], v13
	s_wait_dscnt 0x0
	v_mov_b32_dpp v8, v4 row_shr:1 row_mask:0xf bank_mask:0xf
	v_mov_b32_dpp v11, v5 row_shr:1 row_mask:0xf bank_mask:0xf
	v_mov_b32_e32 v6, v4
	s_and_saveexec_b32 s4, s0
; %bb.16:
	v_mov_b32_e32 v10, 0
	s_delay_alu instid0(VALU_DEP_1) | instskip(NEXT) | instid1(VALU_DEP_1)
	v_mov_b32_e32 v9, v10
	v_add_nc_u64_e32 v[6:7], v[4:5], v[8:9]
	s_delay_alu instid0(VALU_DEP_1)
	v_add_nc_u64_e32 v[4:5], v[10:11], v[6:7]
; %bb.17:
	s_or_b32 exec_lo, exec_lo, s4
	v_mov_b32_dpp v8, v6 row_shr:2 row_mask:0xf bank_mask:0xf
	s_delay_alu instid0(VALU_DEP_2)
	v_mov_b32_dpp v11, v5 row_shr:2 row_mask:0xf bank_mask:0xf
	s_and_saveexec_b32 s0, s1
; %bb.18:
	v_mov_b32_e32 v10, 0
	s_delay_alu instid0(VALU_DEP_1) | instskip(NEXT) | instid1(VALU_DEP_1)
	v_mov_b32_e32 v9, v10
	v_add_nc_u64_e32 v[6:7], v[4:5], v[8:9]
	s_delay_alu instid0(VALU_DEP_1)
	v_add_nc_u64_e32 v[4:5], v[10:11], v[6:7]
; %bb.19:
	s_or_b32 exec_lo, exec_lo, s0
	v_mov_b32_dpp v8, v6 row_shr:4 row_mask:0xf bank_mask:0xf
	s_delay_alu instid0(VALU_DEP_2)
	v_mov_b32_dpp v11, v5 row_shr:4 row_mask:0xf bank_mask:0xf
	;; [unrolled: 13-line block ×3, first 2 shown]
	s_and_saveexec_b32 s0, s3
; %bb.22:
	v_mov_b32_e32 v8, 0
	s_delay_alu instid0(VALU_DEP_1) | instskip(NEXT) | instid1(VALU_DEP_1)
	v_mov_b32_e32 v7, v8
	v_add_nc_u64_e32 v[4:5], v[4:5], v[6:7]
	s_delay_alu instid0(VALU_DEP_1)
	v_add_nc_u64_e32 v[4:5], v[4:5], v[8:9]
; %bb.23:
	s_or_b32 exec_lo, exec_lo, s0
	ds_store_b64 v13, v[4:5]
.LBB1302_24:
	s_or_b32 exec_lo, exec_lo, s5
	v_mov_b64_e32 v[4:5], 0
	s_mov_b32 s1, exec_lo
	s_wait_dscnt 0x0
	s_barrier_signal -1
	s_barrier_wait -1
	v_cmpx_lt_u32_e32 31, v0
; %bb.25:
	v_lshl_add_u32 v4, v12, 3, -8
	ds_load_b64 v[4:5], v4
; %bb.26:
	s_or_b32 exec_lo, exec_lo, s1
	v_add_nc_u32_e32 v6, -1, v1
	s_wait_dscnt 0x0
	v_add_nc_u64_e32 v[2:3], v[4:5], v[2:3]
	s_delay_alu instid0(VALU_DEP_2) | instskip(NEXT) | instid1(VALU_DEP_1)
	v_cmp_gt_i32_e64 s0, 0, v6
	v_cndmask_b32_e64 v6, v6, v1, s0
	s_delay_alu instid0(VALU_DEP_1)
	v_lshlrev_b32_e32 v6, 2, v6
	ds_bpermute_b32 v2, v6, v2
	ds_bpermute_b32 v3, v6, v3
	s_and_saveexec_b32 s0, vcc_lo
	s_cbranch_execz .LBB1302_28
; %bb.27:
	v_cmp_eq_u32_e32 vcc_lo, 0, v1
	s_wait_dscnt 0x0
	v_dual_cndmask_b32 v3, v3, v5 :: v_dual_cndmask_b32 v2, v2, v4
	global_store_b64 v0, v[2:3], s[6:7] scale_offset
.LBB1302_28:
	s_endpgm
	.section	.rodata,"a",@progbits
	.p2align	6, 0x0
	.amdhsa_kernel _ZN7rocprim17ROCPRIM_400000_NS6detail17trampoline_kernelINS0_14default_configENS1_35radix_sort_onesweep_config_selectorIfNS0_10empty_typeEEEZNS1_34radix_sort_onesweep_global_offsetsIS3_Lb1EPKfPS5_mNS0_19identity_decomposerEEE10hipError_tT1_T2_PT3_SF_jT4_jjP12ihipStream_tbEUlT_E0_NS1_11comp_targetILNS1_3genE0ELNS1_11target_archE4294967295ELNS1_3gpuE0ELNS1_3repE0EEENS1_52radix_sort_onesweep_histogram_config_static_selectorELNS0_4arch9wavefront6targetE0EEEvSD_
		.amdhsa_group_segment_fixed_size 128
		.amdhsa_private_segment_fixed_size 0
		.amdhsa_kernarg_size 8
		.amdhsa_user_sgpr_count 2
		.amdhsa_user_sgpr_dispatch_ptr 0
		.amdhsa_user_sgpr_queue_ptr 0
		.amdhsa_user_sgpr_kernarg_segment_ptr 1
		.amdhsa_user_sgpr_dispatch_id 0
		.amdhsa_user_sgpr_kernarg_preload_length 0
		.amdhsa_user_sgpr_kernarg_preload_offset 0
		.amdhsa_user_sgpr_private_segment_size 0
		.amdhsa_wavefront_size32 1
		.amdhsa_uses_dynamic_stack 0
		.amdhsa_enable_private_segment 0
		.amdhsa_system_sgpr_workgroup_id_x 1
		.amdhsa_system_sgpr_workgroup_id_y 0
		.amdhsa_system_sgpr_workgroup_id_z 0
		.amdhsa_system_sgpr_workgroup_info 0
		.amdhsa_system_vgpr_workitem_id 0
		.amdhsa_next_free_vgpr 14
		.amdhsa_next_free_sgpr 8
		.amdhsa_named_barrier_count 0
		.amdhsa_reserve_vcc 1
		.amdhsa_float_round_mode_32 0
		.amdhsa_float_round_mode_16_64 0
		.amdhsa_float_denorm_mode_32 3
		.amdhsa_float_denorm_mode_16_64 3
		.amdhsa_fp16_overflow 0
		.amdhsa_memory_ordered 1
		.amdhsa_forward_progress 1
		.amdhsa_inst_pref_size 7
		.amdhsa_round_robin_scheduling 0
		.amdhsa_exception_fp_ieee_invalid_op 0
		.amdhsa_exception_fp_denorm_src 0
		.amdhsa_exception_fp_ieee_div_zero 0
		.amdhsa_exception_fp_ieee_overflow 0
		.amdhsa_exception_fp_ieee_underflow 0
		.amdhsa_exception_fp_ieee_inexact 0
		.amdhsa_exception_int_div_zero 0
	.end_amdhsa_kernel
	.section	.text._ZN7rocprim17ROCPRIM_400000_NS6detail17trampoline_kernelINS0_14default_configENS1_35radix_sort_onesweep_config_selectorIfNS0_10empty_typeEEEZNS1_34radix_sort_onesweep_global_offsetsIS3_Lb1EPKfPS5_mNS0_19identity_decomposerEEE10hipError_tT1_T2_PT3_SF_jT4_jjP12ihipStream_tbEUlT_E0_NS1_11comp_targetILNS1_3genE0ELNS1_11target_archE4294967295ELNS1_3gpuE0ELNS1_3repE0EEENS1_52radix_sort_onesweep_histogram_config_static_selectorELNS0_4arch9wavefront6targetE0EEEvSD_,"axG",@progbits,_ZN7rocprim17ROCPRIM_400000_NS6detail17trampoline_kernelINS0_14default_configENS1_35radix_sort_onesweep_config_selectorIfNS0_10empty_typeEEEZNS1_34radix_sort_onesweep_global_offsetsIS3_Lb1EPKfPS5_mNS0_19identity_decomposerEEE10hipError_tT1_T2_PT3_SF_jT4_jjP12ihipStream_tbEUlT_E0_NS1_11comp_targetILNS1_3genE0ELNS1_11target_archE4294967295ELNS1_3gpuE0ELNS1_3repE0EEENS1_52radix_sort_onesweep_histogram_config_static_selectorELNS0_4arch9wavefront6targetE0EEEvSD_,comdat
.Lfunc_end1302:
	.size	_ZN7rocprim17ROCPRIM_400000_NS6detail17trampoline_kernelINS0_14default_configENS1_35radix_sort_onesweep_config_selectorIfNS0_10empty_typeEEEZNS1_34radix_sort_onesweep_global_offsetsIS3_Lb1EPKfPS5_mNS0_19identity_decomposerEEE10hipError_tT1_T2_PT3_SF_jT4_jjP12ihipStream_tbEUlT_E0_NS1_11comp_targetILNS1_3genE0ELNS1_11target_archE4294967295ELNS1_3gpuE0ELNS1_3repE0EEENS1_52radix_sort_onesweep_histogram_config_static_selectorELNS0_4arch9wavefront6targetE0EEEvSD_, .Lfunc_end1302-_ZN7rocprim17ROCPRIM_400000_NS6detail17trampoline_kernelINS0_14default_configENS1_35radix_sort_onesweep_config_selectorIfNS0_10empty_typeEEEZNS1_34radix_sort_onesweep_global_offsetsIS3_Lb1EPKfPS5_mNS0_19identity_decomposerEEE10hipError_tT1_T2_PT3_SF_jT4_jjP12ihipStream_tbEUlT_E0_NS1_11comp_targetILNS1_3genE0ELNS1_11target_archE4294967295ELNS1_3gpuE0ELNS1_3repE0EEENS1_52radix_sort_onesweep_histogram_config_static_selectorELNS0_4arch9wavefront6targetE0EEEvSD_
                                        ; -- End function
	.set _ZN7rocprim17ROCPRIM_400000_NS6detail17trampoline_kernelINS0_14default_configENS1_35radix_sort_onesweep_config_selectorIfNS0_10empty_typeEEEZNS1_34radix_sort_onesweep_global_offsetsIS3_Lb1EPKfPS5_mNS0_19identity_decomposerEEE10hipError_tT1_T2_PT3_SF_jT4_jjP12ihipStream_tbEUlT_E0_NS1_11comp_targetILNS1_3genE0ELNS1_11target_archE4294967295ELNS1_3gpuE0ELNS1_3repE0EEENS1_52radix_sort_onesweep_histogram_config_static_selectorELNS0_4arch9wavefront6targetE0EEEvSD_.num_vgpr, 14
	.set _ZN7rocprim17ROCPRIM_400000_NS6detail17trampoline_kernelINS0_14default_configENS1_35radix_sort_onesweep_config_selectorIfNS0_10empty_typeEEEZNS1_34radix_sort_onesweep_global_offsetsIS3_Lb1EPKfPS5_mNS0_19identity_decomposerEEE10hipError_tT1_T2_PT3_SF_jT4_jjP12ihipStream_tbEUlT_E0_NS1_11comp_targetILNS1_3genE0ELNS1_11target_archE4294967295ELNS1_3gpuE0ELNS1_3repE0EEENS1_52radix_sort_onesweep_histogram_config_static_selectorELNS0_4arch9wavefront6targetE0EEEvSD_.num_agpr, 0
	.set _ZN7rocprim17ROCPRIM_400000_NS6detail17trampoline_kernelINS0_14default_configENS1_35radix_sort_onesweep_config_selectorIfNS0_10empty_typeEEEZNS1_34radix_sort_onesweep_global_offsetsIS3_Lb1EPKfPS5_mNS0_19identity_decomposerEEE10hipError_tT1_T2_PT3_SF_jT4_jjP12ihipStream_tbEUlT_E0_NS1_11comp_targetILNS1_3genE0ELNS1_11target_archE4294967295ELNS1_3gpuE0ELNS1_3repE0EEENS1_52radix_sort_onesweep_histogram_config_static_selectorELNS0_4arch9wavefront6targetE0EEEvSD_.numbered_sgpr, 8
	.set _ZN7rocprim17ROCPRIM_400000_NS6detail17trampoline_kernelINS0_14default_configENS1_35radix_sort_onesweep_config_selectorIfNS0_10empty_typeEEEZNS1_34radix_sort_onesweep_global_offsetsIS3_Lb1EPKfPS5_mNS0_19identity_decomposerEEE10hipError_tT1_T2_PT3_SF_jT4_jjP12ihipStream_tbEUlT_E0_NS1_11comp_targetILNS1_3genE0ELNS1_11target_archE4294967295ELNS1_3gpuE0ELNS1_3repE0EEENS1_52radix_sort_onesweep_histogram_config_static_selectorELNS0_4arch9wavefront6targetE0EEEvSD_.num_named_barrier, 0
	.set _ZN7rocprim17ROCPRIM_400000_NS6detail17trampoline_kernelINS0_14default_configENS1_35radix_sort_onesweep_config_selectorIfNS0_10empty_typeEEEZNS1_34radix_sort_onesweep_global_offsetsIS3_Lb1EPKfPS5_mNS0_19identity_decomposerEEE10hipError_tT1_T2_PT3_SF_jT4_jjP12ihipStream_tbEUlT_E0_NS1_11comp_targetILNS1_3genE0ELNS1_11target_archE4294967295ELNS1_3gpuE0ELNS1_3repE0EEENS1_52radix_sort_onesweep_histogram_config_static_selectorELNS0_4arch9wavefront6targetE0EEEvSD_.private_seg_size, 0
	.set _ZN7rocprim17ROCPRIM_400000_NS6detail17trampoline_kernelINS0_14default_configENS1_35radix_sort_onesweep_config_selectorIfNS0_10empty_typeEEEZNS1_34radix_sort_onesweep_global_offsetsIS3_Lb1EPKfPS5_mNS0_19identity_decomposerEEE10hipError_tT1_T2_PT3_SF_jT4_jjP12ihipStream_tbEUlT_E0_NS1_11comp_targetILNS1_3genE0ELNS1_11target_archE4294967295ELNS1_3gpuE0ELNS1_3repE0EEENS1_52radix_sort_onesweep_histogram_config_static_selectorELNS0_4arch9wavefront6targetE0EEEvSD_.uses_vcc, 1
	.set _ZN7rocprim17ROCPRIM_400000_NS6detail17trampoline_kernelINS0_14default_configENS1_35radix_sort_onesweep_config_selectorIfNS0_10empty_typeEEEZNS1_34radix_sort_onesweep_global_offsetsIS3_Lb1EPKfPS5_mNS0_19identity_decomposerEEE10hipError_tT1_T2_PT3_SF_jT4_jjP12ihipStream_tbEUlT_E0_NS1_11comp_targetILNS1_3genE0ELNS1_11target_archE4294967295ELNS1_3gpuE0ELNS1_3repE0EEENS1_52radix_sort_onesweep_histogram_config_static_selectorELNS0_4arch9wavefront6targetE0EEEvSD_.uses_flat_scratch, 0
	.set _ZN7rocprim17ROCPRIM_400000_NS6detail17trampoline_kernelINS0_14default_configENS1_35radix_sort_onesweep_config_selectorIfNS0_10empty_typeEEEZNS1_34radix_sort_onesweep_global_offsetsIS3_Lb1EPKfPS5_mNS0_19identity_decomposerEEE10hipError_tT1_T2_PT3_SF_jT4_jjP12ihipStream_tbEUlT_E0_NS1_11comp_targetILNS1_3genE0ELNS1_11target_archE4294967295ELNS1_3gpuE0ELNS1_3repE0EEENS1_52radix_sort_onesweep_histogram_config_static_selectorELNS0_4arch9wavefront6targetE0EEEvSD_.has_dyn_sized_stack, 0
	.set _ZN7rocprim17ROCPRIM_400000_NS6detail17trampoline_kernelINS0_14default_configENS1_35radix_sort_onesweep_config_selectorIfNS0_10empty_typeEEEZNS1_34radix_sort_onesweep_global_offsetsIS3_Lb1EPKfPS5_mNS0_19identity_decomposerEEE10hipError_tT1_T2_PT3_SF_jT4_jjP12ihipStream_tbEUlT_E0_NS1_11comp_targetILNS1_3genE0ELNS1_11target_archE4294967295ELNS1_3gpuE0ELNS1_3repE0EEENS1_52radix_sort_onesweep_histogram_config_static_selectorELNS0_4arch9wavefront6targetE0EEEvSD_.has_recursion, 0
	.set _ZN7rocprim17ROCPRIM_400000_NS6detail17trampoline_kernelINS0_14default_configENS1_35radix_sort_onesweep_config_selectorIfNS0_10empty_typeEEEZNS1_34radix_sort_onesweep_global_offsetsIS3_Lb1EPKfPS5_mNS0_19identity_decomposerEEE10hipError_tT1_T2_PT3_SF_jT4_jjP12ihipStream_tbEUlT_E0_NS1_11comp_targetILNS1_3genE0ELNS1_11target_archE4294967295ELNS1_3gpuE0ELNS1_3repE0EEENS1_52radix_sort_onesweep_histogram_config_static_selectorELNS0_4arch9wavefront6targetE0EEEvSD_.has_indirect_call, 0
	.section	.AMDGPU.csdata,"",@progbits
; Kernel info:
; codeLenInByte = 896
; TotalNumSgprs: 10
; NumVgprs: 14
; ScratchSize: 0
; MemoryBound: 0
; FloatMode: 240
; IeeeMode: 1
; LDSByteSize: 128 bytes/workgroup (compile time only)
; SGPRBlocks: 0
; VGPRBlocks: 0
; NumSGPRsForWavesPerEU: 10
; NumVGPRsForWavesPerEU: 14
; NamedBarCnt: 0
; Occupancy: 16
; WaveLimiterHint : 0
; COMPUTE_PGM_RSRC2:SCRATCH_EN: 0
; COMPUTE_PGM_RSRC2:USER_SGPR: 2
; COMPUTE_PGM_RSRC2:TRAP_HANDLER: 0
; COMPUTE_PGM_RSRC2:TGID_X_EN: 1
; COMPUTE_PGM_RSRC2:TGID_Y_EN: 0
; COMPUTE_PGM_RSRC2:TGID_Z_EN: 0
; COMPUTE_PGM_RSRC2:TIDIG_COMP_CNT: 0
	.section	.text._ZN7rocprim17ROCPRIM_400000_NS6detail17trampoline_kernelINS0_14default_configENS1_35radix_sort_onesweep_config_selectorIfNS0_10empty_typeEEEZNS1_34radix_sort_onesweep_global_offsetsIS3_Lb1EPKfPS5_mNS0_19identity_decomposerEEE10hipError_tT1_T2_PT3_SF_jT4_jjP12ihipStream_tbEUlT_E0_NS1_11comp_targetILNS1_3genE6ELNS1_11target_archE950ELNS1_3gpuE13ELNS1_3repE0EEENS1_52radix_sort_onesweep_histogram_config_static_selectorELNS0_4arch9wavefront6targetE0EEEvSD_,"axG",@progbits,_ZN7rocprim17ROCPRIM_400000_NS6detail17trampoline_kernelINS0_14default_configENS1_35radix_sort_onesweep_config_selectorIfNS0_10empty_typeEEEZNS1_34radix_sort_onesweep_global_offsetsIS3_Lb1EPKfPS5_mNS0_19identity_decomposerEEE10hipError_tT1_T2_PT3_SF_jT4_jjP12ihipStream_tbEUlT_E0_NS1_11comp_targetILNS1_3genE6ELNS1_11target_archE950ELNS1_3gpuE13ELNS1_3repE0EEENS1_52radix_sort_onesweep_histogram_config_static_selectorELNS0_4arch9wavefront6targetE0EEEvSD_,comdat
	.protected	_ZN7rocprim17ROCPRIM_400000_NS6detail17trampoline_kernelINS0_14default_configENS1_35radix_sort_onesweep_config_selectorIfNS0_10empty_typeEEEZNS1_34radix_sort_onesweep_global_offsetsIS3_Lb1EPKfPS5_mNS0_19identity_decomposerEEE10hipError_tT1_T2_PT3_SF_jT4_jjP12ihipStream_tbEUlT_E0_NS1_11comp_targetILNS1_3genE6ELNS1_11target_archE950ELNS1_3gpuE13ELNS1_3repE0EEENS1_52radix_sort_onesweep_histogram_config_static_selectorELNS0_4arch9wavefront6targetE0EEEvSD_ ; -- Begin function _ZN7rocprim17ROCPRIM_400000_NS6detail17trampoline_kernelINS0_14default_configENS1_35radix_sort_onesweep_config_selectorIfNS0_10empty_typeEEEZNS1_34radix_sort_onesweep_global_offsetsIS3_Lb1EPKfPS5_mNS0_19identity_decomposerEEE10hipError_tT1_T2_PT3_SF_jT4_jjP12ihipStream_tbEUlT_E0_NS1_11comp_targetILNS1_3genE6ELNS1_11target_archE950ELNS1_3gpuE13ELNS1_3repE0EEENS1_52radix_sort_onesweep_histogram_config_static_selectorELNS0_4arch9wavefront6targetE0EEEvSD_
	.globl	_ZN7rocprim17ROCPRIM_400000_NS6detail17trampoline_kernelINS0_14default_configENS1_35radix_sort_onesweep_config_selectorIfNS0_10empty_typeEEEZNS1_34radix_sort_onesweep_global_offsetsIS3_Lb1EPKfPS5_mNS0_19identity_decomposerEEE10hipError_tT1_T2_PT3_SF_jT4_jjP12ihipStream_tbEUlT_E0_NS1_11comp_targetILNS1_3genE6ELNS1_11target_archE950ELNS1_3gpuE13ELNS1_3repE0EEENS1_52radix_sort_onesweep_histogram_config_static_selectorELNS0_4arch9wavefront6targetE0EEEvSD_
	.p2align	8
	.type	_ZN7rocprim17ROCPRIM_400000_NS6detail17trampoline_kernelINS0_14default_configENS1_35radix_sort_onesweep_config_selectorIfNS0_10empty_typeEEEZNS1_34radix_sort_onesweep_global_offsetsIS3_Lb1EPKfPS5_mNS0_19identity_decomposerEEE10hipError_tT1_T2_PT3_SF_jT4_jjP12ihipStream_tbEUlT_E0_NS1_11comp_targetILNS1_3genE6ELNS1_11target_archE950ELNS1_3gpuE13ELNS1_3repE0EEENS1_52radix_sort_onesweep_histogram_config_static_selectorELNS0_4arch9wavefront6targetE0EEEvSD_,@function
_ZN7rocprim17ROCPRIM_400000_NS6detail17trampoline_kernelINS0_14default_configENS1_35radix_sort_onesweep_config_selectorIfNS0_10empty_typeEEEZNS1_34radix_sort_onesweep_global_offsetsIS3_Lb1EPKfPS5_mNS0_19identity_decomposerEEE10hipError_tT1_T2_PT3_SF_jT4_jjP12ihipStream_tbEUlT_E0_NS1_11comp_targetILNS1_3genE6ELNS1_11target_archE950ELNS1_3gpuE13ELNS1_3repE0EEENS1_52radix_sort_onesweep_histogram_config_static_selectorELNS0_4arch9wavefront6targetE0EEEvSD_: ; @_ZN7rocprim17ROCPRIM_400000_NS6detail17trampoline_kernelINS0_14default_configENS1_35radix_sort_onesweep_config_selectorIfNS0_10empty_typeEEEZNS1_34radix_sort_onesweep_global_offsetsIS3_Lb1EPKfPS5_mNS0_19identity_decomposerEEE10hipError_tT1_T2_PT3_SF_jT4_jjP12ihipStream_tbEUlT_E0_NS1_11comp_targetILNS1_3genE6ELNS1_11target_archE950ELNS1_3gpuE13ELNS1_3repE0EEENS1_52radix_sort_onesweep_histogram_config_static_selectorELNS0_4arch9wavefront6targetE0EEEvSD_
; %bb.0:
	.section	.rodata,"a",@progbits
	.p2align	6, 0x0
	.amdhsa_kernel _ZN7rocprim17ROCPRIM_400000_NS6detail17trampoline_kernelINS0_14default_configENS1_35radix_sort_onesweep_config_selectorIfNS0_10empty_typeEEEZNS1_34radix_sort_onesweep_global_offsetsIS3_Lb1EPKfPS5_mNS0_19identity_decomposerEEE10hipError_tT1_T2_PT3_SF_jT4_jjP12ihipStream_tbEUlT_E0_NS1_11comp_targetILNS1_3genE6ELNS1_11target_archE950ELNS1_3gpuE13ELNS1_3repE0EEENS1_52radix_sort_onesweep_histogram_config_static_selectorELNS0_4arch9wavefront6targetE0EEEvSD_
		.amdhsa_group_segment_fixed_size 0
		.amdhsa_private_segment_fixed_size 0
		.amdhsa_kernarg_size 8
		.amdhsa_user_sgpr_count 2
		.amdhsa_user_sgpr_dispatch_ptr 0
		.amdhsa_user_sgpr_queue_ptr 0
		.amdhsa_user_sgpr_kernarg_segment_ptr 1
		.amdhsa_user_sgpr_dispatch_id 0
		.amdhsa_user_sgpr_kernarg_preload_length 0
		.amdhsa_user_sgpr_kernarg_preload_offset 0
		.amdhsa_user_sgpr_private_segment_size 0
		.amdhsa_wavefront_size32 1
		.amdhsa_uses_dynamic_stack 0
		.amdhsa_enable_private_segment 0
		.amdhsa_system_sgpr_workgroup_id_x 1
		.amdhsa_system_sgpr_workgroup_id_y 0
		.amdhsa_system_sgpr_workgroup_id_z 0
		.amdhsa_system_sgpr_workgroup_info 0
		.amdhsa_system_vgpr_workitem_id 0
		.amdhsa_next_free_vgpr 1
		.amdhsa_next_free_sgpr 1
		.amdhsa_named_barrier_count 0
		.amdhsa_reserve_vcc 0
		.amdhsa_float_round_mode_32 0
		.amdhsa_float_round_mode_16_64 0
		.amdhsa_float_denorm_mode_32 3
		.amdhsa_float_denorm_mode_16_64 3
		.amdhsa_fp16_overflow 0
		.amdhsa_memory_ordered 1
		.amdhsa_forward_progress 1
		.amdhsa_inst_pref_size 0
		.amdhsa_round_robin_scheduling 0
		.amdhsa_exception_fp_ieee_invalid_op 0
		.amdhsa_exception_fp_denorm_src 0
		.amdhsa_exception_fp_ieee_div_zero 0
		.amdhsa_exception_fp_ieee_overflow 0
		.amdhsa_exception_fp_ieee_underflow 0
		.amdhsa_exception_fp_ieee_inexact 0
		.amdhsa_exception_int_div_zero 0
	.end_amdhsa_kernel
	.section	.text._ZN7rocprim17ROCPRIM_400000_NS6detail17trampoline_kernelINS0_14default_configENS1_35radix_sort_onesweep_config_selectorIfNS0_10empty_typeEEEZNS1_34radix_sort_onesweep_global_offsetsIS3_Lb1EPKfPS5_mNS0_19identity_decomposerEEE10hipError_tT1_T2_PT3_SF_jT4_jjP12ihipStream_tbEUlT_E0_NS1_11comp_targetILNS1_3genE6ELNS1_11target_archE950ELNS1_3gpuE13ELNS1_3repE0EEENS1_52radix_sort_onesweep_histogram_config_static_selectorELNS0_4arch9wavefront6targetE0EEEvSD_,"axG",@progbits,_ZN7rocprim17ROCPRIM_400000_NS6detail17trampoline_kernelINS0_14default_configENS1_35radix_sort_onesweep_config_selectorIfNS0_10empty_typeEEEZNS1_34radix_sort_onesweep_global_offsetsIS3_Lb1EPKfPS5_mNS0_19identity_decomposerEEE10hipError_tT1_T2_PT3_SF_jT4_jjP12ihipStream_tbEUlT_E0_NS1_11comp_targetILNS1_3genE6ELNS1_11target_archE950ELNS1_3gpuE13ELNS1_3repE0EEENS1_52radix_sort_onesweep_histogram_config_static_selectorELNS0_4arch9wavefront6targetE0EEEvSD_,comdat
.Lfunc_end1303:
	.size	_ZN7rocprim17ROCPRIM_400000_NS6detail17trampoline_kernelINS0_14default_configENS1_35radix_sort_onesweep_config_selectorIfNS0_10empty_typeEEEZNS1_34radix_sort_onesweep_global_offsetsIS3_Lb1EPKfPS5_mNS0_19identity_decomposerEEE10hipError_tT1_T2_PT3_SF_jT4_jjP12ihipStream_tbEUlT_E0_NS1_11comp_targetILNS1_3genE6ELNS1_11target_archE950ELNS1_3gpuE13ELNS1_3repE0EEENS1_52radix_sort_onesweep_histogram_config_static_selectorELNS0_4arch9wavefront6targetE0EEEvSD_, .Lfunc_end1303-_ZN7rocprim17ROCPRIM_400000_NS6detail17trampoline_kernelINS0_14default_configENS1_35radix_sort_onesweep_config_selectorIfNS0_10empty_typeEEEZNS1_34radix_sort_onesweep_global_offsetsIS3_Lb1EPKfPS5_mNS0_19identity_decomposerEEE10hipError_tT1_T2_PT3_SF_jT4_jjP12ihipStream_tbEUlT_E0_NS1_11comp_targetILNS1_3genE6ELNS1_11target_archE950ELNS1_3gpuE13ELNS1_3repE0EEENS1_52radix_sort_onesweep_histogram_config_static_selectorELNS0_4arch9wavefront6targetE0EEEvSD_
                                        ; -- End function
	.set _ZN7rocprim17ROCPRIM_400000_NS6detail17trampoline_kernelINS0_14default_configENS1_35radix_sort_onesweep_config_selectorIfNS0_10empty_typeEEEZNS1_34radix_sort_onesweep_global_offsetsIS3_Lb1EPKfPS5_mNS0_19identity_decomposerEEE10hipError_tT1_T2_PT3_SF_jT4_jjP12ihipStream_tbEUlT_E0_NS1_11comp_targetILNS1_3genE6ELNS1_11target_archE950ELNS1_3gpuE13ELNS1_3repE0EEENS1_52radix_sort_onesweep_histogram_config_static_selectorELNS0_4arch9wavefront6targetE0EEEvSD_.num_vgpr, 0
	.set _ZN7rocprim17ROCPRIM_400000_NS6detail17trampoline_kernelINS0_14default_configENS1_35radix_sort_onesweep_config_selectorIfNS0_10empty_typeEEEZNS1_34radix_sort_onesweep_global_offsetsIS3_Lb1EPKfPS5_mNS0_19identity_decomposerEEE10hipError_tT1_T2_PT3_SF_jT4_jjP12ihipStream_tbEUlT_E0_NS1_11comp_targetILNS1_3genE6ELNS1_11target_archE950ELNS1_3gpuE13ELNS1_3repE0EEENS1_52radix_sort_onesweep_histogram_config_static_selectorELNS0_4arch9wavefront6targetE0EEEvSD_.num_agpr, 0
	.set _ZN7rocprim17ROCPRIM_400000_NS6detail17trampoline_kernelINS0_14default_configENS1_35radix_sort_onesweep_config_selectorIfNS0_10empty_typeEEEZNS1_34radix_sort_onesweep_global_offsetsIS3_Lb1EPKfPS5_mNS0_19identity_decomposerEEE10hipError_tT1_T2_PT3_SF_jT4_jjP12ihipStream_tbEUlT_E0_NS1_11comp_targetILNS1_3genE6ELNS1_11target_archE950ELNS1_3gpuE13ELNS1_3repE0EEENS1_52radix_sort_onesweep_histogram_config_static_selectorELNS0_4arch9wavefront6targetE0EEEvSD_.numbered_sgpr, 0
	.set _ZN7rocprim17ROCPRIM_400000_NS6detail17trampoline_kernelINS0_14default_configENS1_35radix_sort_onesweep_config_selectorIfNS0_10empty_typeEEEZNS1_34radix_sort_onesweep_global_offsetsIS3_Lb1EPKfPS5_mNS0_19identity_decomposerEEE10hipError_tT1_T2_PT3_SF_jT4_jjP12ihipStream_tbEUlT_E0_NS1_11comp_targetILNS1_3genE6ELNS1_11target_archE950ELNS1_3gpuE13ELNS1_3repE0EEENS1_52radix_sort_onesweep_histogram_config_static_selectorELNS0_4arch9wavefront6targetE0EEEvSD_.num_named_barrier, 0
	.set _ZN7rocprim17ROCPRIM_400000_NS6detail17trampoline_kernelINS0_14default_configENS1_35radix_sort_onesweep_config_selectorIfNS0_10empty_typeEEEZNS1_34radix_sort_onesweep_global_offsetsIS3_Lb1EPKfPS5_mNS0_19identity_decomposerEEE10hipError_tT1_T2_PT3_SF_jT4_jjP12ihipStream_tbEUlT_E0_NS1_11comp_targetILNS1_3genE6ELNS1_11target_archE950ELNS1_3gpuE13ELNS1_3repE0EEENS1_52radix_sort_onesweep_histogram_config_static_selectorELNS0_4arch9wavefront6targetE0EEEvSD_.private_seg_size, 0
	.set _ZN7rocprim17ROCPRIM_400000_NS6detail17trampoline_kernelINS0_14default_configENS1_35radix_sort_onesweep_config_selectorIfNS0_10empty_typeEEEZNS1_34radix_sort_onesweep_global_offsetsIS3_Lb1EPKfPS5_mNS0_19identity_decomposerEEE10hipError_tT1_T2_PT3_SF_jT4_jjP12ihipStream_tbEUlT_E0_NS1_11comp_targetILNS1_3genE6ELNS1_11target_archE950ELNS1_3gpuE13ELNS1_3repE0EEENS1_52radix_sort_onesweep_histogram_config_static_selectorELNS0_4arch9wavefront6targetE0EEEvSD_.uses_vcc, 0
	.set _ZN7rocprim17ROCPRIM_400000_NS6detail17trampoline_kernelINS0_14default_configENS1_35radix_sort_onesweep_config_selectorIfNS0_10empty_typeEEEZNS1_34radix_sort_onesweep_global_offsetsIS3_Lb1EPKfPS5_mNS0_19identity_decomposerEEE10hipError_tT1_T2_PT3_SF_jT4_jjP12ihipStream_tbEUlT_E0_NS1_11comp_targetILNS1_3genE6ELNS1_11target_archE950ELNS1_3gpuE13ELNS1_3repE0EEENS1_52radix_sort_onesweep_histogram_config_static_selectorELNS0_4arch9wavefront6targetE0EEEvSD_.uses_flat_scratch, 0
	.set _ZN7rocprim17ROCPRIM_400000_NS6detail17trampoline_kernelINS0_14default_configENS1_35radix_sort_onesweep_config_selectorIfNS0_10empty_typeEEEZNS1_34radix_sort_onesweep_global_offsetsIS3_Lb1EPKfPS5_mNS0_19identity_decomposerEEE10hipError_tT1_T2_PT3_SF_jT4_jjP12ihipStream_tbEUlT_E0_NS1_11comp_targetILNS1_3genE6ELNS1_11target_archE950ELNS1_3gpuE13ELNS1_3repE0EEENS1_52radix_sort_onesweep_histogram_config_static_selectorELNS0_4arch9wavefront6targetE0EEEvSD_.has_dyn_sized_stack, 0
	.set _ZN7rocprim17ROCPRIM_400000_NS6detail17trampoline_kernelINS0_14default_configENS1_35radix_sort_onesweep_config_selectorIfNS0_10empty_typeEEEZNS1_34radix_sort_onesweep_global_offsetsIS3_Lb1EPKfPS5_mNS0_19identity_decomposerEEE10hipError_tT1_T2_PT3_SF_jT4_jjP12ihipStream_tbEUlT_E0_NS1_11comp_targetILNS1_3genE6ELNS1_11target_archE950ELNS1_3gpuE13ELNS1_3repE0EEENS1_52radix_sort_onesweep_histogram_config_static_selectorELNS0_4arch9wavefront6targetE0EEEvSD_.has_recursion, 0
	.set _ZN7rocprim17ROCPRIM_400000_NS6detail17trampoline_kernelINS0_14default_configENS1_35radix_sort_onesweep_config_selectorIfNS0_10empty_typeEEEZNS1_34radix_sort_onesweep_global_offsetsIS3_Lb1EPKfPS5_mNS0_19identity_decomposerEEE10hipError_tT1_T2_PT3_SF_jT4_jjP12ihipStream_tbEUlT_E0_NS1_11comp_targetILNS1_3genE6ELNS1_11target_archE950ELNS1_3gpuE13ELNS1_3repE0EEENS1_52radix_sort_onesweep_histogram_config_static_selectorELNS0_4arch9wavefront6targetE0EEEvSD_.has_indirect_call, 0
	.section	.AMDGPU.csdata,"",@progbits
; Kernel info:
; codeLenInByte = 0
; TotalNumSgprs: 0
; NumVgprs: 0
; ScratchSize: 0
; MemoryBound: 0
; FloatMode: 240
; IeeeMode: 1
; LDSByteSize: 0 bytes/workgroup (compile time only)
; SGPRBlocks: 0
; VGPRBlocks: 0
; NumSGPRsForWavesPerEU: 1
; NumVGPRsForWavesPerEU: 1
; NamedBarCnt: 0
; Occupancy: 16
; WaveLimiterHint : 0
; COMPUTE_PGM_RSRC2:SCRATCH_EN: 0
; COMPUTE_PGM_RSRC2:USER_SGPR: 2
; COMPUTE_PGM_RSRC2:TRAP_HANDLER: 0
; COMPUTE_PGM_RSRC2:TGID_X_EN: 1
; COMPUTE_PGM_RSRC2:TGID_Y_EN: 0
; COMPUTE_PGM_RSRC2:TGID_Z_EN: 0
; COMPUTE_PGM_RSRC2:TIDIG_COMP_CNT: 0
	.section	.text._ZN7rocprim17ROCPRIM_400000_NS6detail17trampoline_kernelINS0_14default_configENS1_35radix_sort_onesweep_config_selectorIfNS0_10empty_typeEEEZNS1_34radix_sort_onesweep_global_offsetsIS3_Lb1EPKfPS5_mNS0_19identity_decomposerEEE10hipError_tT1_T2_PT3_SF_jT4_jjP12ihipStream_tbEUlT_E0_NS1_11comp_targetILNS1_3genE5ELNS1_11target_archE942ELNS1_3gpuE9ELNS1_3repE0EEENS1_52radix_sort_onesweep_histogram_config_static_selectorELNS0_4arch9wavefront6targetE0EEEvSD_,"axG",@progbits,_ZN7rocprim17ROCPRIM_400000_NS6detail17trampoline_kernelINS0_14default_configENS1_35radix_sort_onesweep_config_selectorIfNS0_10empty_typeEEEZNS1_34radix_sort_onesweep_global_offsetsIS3_Lb1EPKfPS5_mNS0_19identity_decomposerEEE10hipError_tT1_T2_PT3_SF_jT4_jjP12ihipStream_tbEUlT_E0_NS1_11comp_targetILNS1_3genE5ELNS1_11target_archE942ELNS1_3gpuE9ELNS1_3repE0EEENS1_52radix_sort_onesweep_histogram_config_static_selectorELNS0_4arch9wavefront6targetE0EEEvSD_,comdat
	.protected	_ZN7rocprim17ROCPRIM_400000_NS6detail17trampoline_kernelINS0_14default_configENS1_35radix_sort_onesweep_config_selectorIfNS0_10empty_typeEEEZNS1_34radix_sort_onesweep_global_offsetsIS3_Lb1EPKfPS5_mNS0_19identity_decomposerEEE10hipError_tT1_T2_PT3_SF_jT4_jjP12ihipStream_tbEUlT_E0_NS1_11comp_targetILNS1_3genE5ELNS1_11target_archE942ELNS1_3gpuE9ELNS1_3repE0EEENS1_52radix_sort_onesweep_histogram_config_static_selectorELNS0_4arch9wavefront6targetE0EEEvSD_ ; -- Begin function _ZN7rocprim17ROCPRIM_400000_NS6detail17trampoline_kernelINS0_14default_configENS1_35radix_sort_onesweep_config_selectorIfNS0_10empty_typeEEEZNS1_34radix_sort_onesweep_global_offsetsIS3_Lb1EPKfPS5_mNS0_19identity_decomposerEEE10hipError_tT1_T2_PT3_SF_jT4_jjP12ihipStream_tbEUlT_E0_NS1_11comp_targetILNS1_3genE5ELNS1_11target_archE942ELNS1_3gpuE9ELNS1_3repE0EEENS1_52radix_sort_onesweep_histogram_config_static_selectorELNS0_4arch9wavefront6targetE0EEEvSD_
	.globl	_ZN7rocprim17ROCPRIM_400000_NS6detail17trampoline_kernelINS0_14default_configENS1_35radix_sort_onesweep_config_selectorIfNS0_10empty_typeEEEZNS1_34radix_sort_onesweep_global_offsetsIS3_Lb1EPKfPS5_mNS0_19identity_decomposerEEE10hipError_tT1_T2_PT3_SF_jT4_jjP12ihipStream_tbEUlT_E0_NS1_11comp_targetILNS1_3genE5ELNS1_11target_archE942ELNS1_3gpuE9ELNS1_3repE0EEENS1_52radix_sort_onesweep_histogram_config_static_selectorELNS0_4arch9wavefront6targetE0EEEvSD_
	.p2align	8
	.type	_ZN7rocprim17ROCPRIM_400000_NS6detail17trampoline_kernelINS0_14default_configENS1_35radix_sort_onesweep_config_selectorIfNS0_10empty_typeEEEZNS1_34radix_sort_onesweep_global_offsetsIS3_Lb1EPKfPS5_mNS0_19identity_decomposerEEE10hipError_tT1_T2_PT3_SF_jT4_jjP12ihipStream_tbEUlT_E0_NS1_11comp_targetILNS1_3genE5ELNS1_11target_archE942ELNS1_3gpuE9ELNS1_3repE0EEENS1_52radix_sort_onesweep_histogram_config_static_selectorELNS0_4arch9wavefront6targetE0EEEvSD_,@function
_ZN7rocprim17ROCPRIM_400000_NS6detail17trampoline_kernelINS0_14default_configENS1_35radix_sort_onesweep_config_selectorIfNS0_10empty_typeEEEZNS1_34radix_sort_onesweep_global_offsetsIS3_Lb1EPKfPS5_mNS0_19identity_decomposerEEE10hipError_tT1_T2_PT3_SF_jT4_jjP12ihipStream_tbEUlT_E0_NS1_11comp_targetILNS1_3genE5ELNS1_11target_archE942ELNS1_3gpuE9ELNS1_3repE0EEENS1_52radix_sort_onesweep_histogram_config_static_selectorELNS0_4arch9wavefront6targetE0EEEvSD_: ; @_ZN7rocprim17ROCPRIM_400000_NS6detail17trampoline_kernelINS0_14default_configENS1_35radix_sort_onesweep_config_selectorIfNS0_10empty_typeEEEZNS1_34radix_sort_onesweep_global_offsetsIS3_Lb1EPKfPS5_mNS0_19identity_decomposerEEE10hipError_tT1_T2_PT3_SF_jT4_jjP12ihipStream_tbEUlT_E0_NS1_11comp_targetILNS1_3genE5ELNS1_11target_archE942ELNS1_3gpuE9ELNS1_3repE0EEENS1_52radix_sort_onesweep_histogram_config_static_selectorELNS0_4arch9wavefront6targetE0EEEvSD_
; %bb.0:
	.section	.rodata,"a",@progbits
	.p2align	6, 0x0
	.amdhsa_kernel _ZN7rocprim17ROCPRIM_400000_NS6detail17trampoline_kernelINS0_14default_configENS1_35radix_sort_onesweep_config_selectorIfNS0_10empty_typeEEEZNS1_34radix_sort_onesweep_global_offsetsIS3_Lb1EPKfPS5_mNS0_19identity_decomposerEEE10hipError_tT1_T2_PT3_SF_jT4_jjP12ihipStream_tbEUlT_E0_NS1_11comp_targetILNS1_3genE5ELNS1_11target_archE942ELNS1_3gpuE9ELNS1_3repE0EEENS1_52radix_sort_onesweep_histogram_config_static_selectorELNS0_4arch9wavefront6targetE0EEEvSD_
		.amdhsa_group_segment_fixed_size 0
		.amdhsa_private_segment_fixed_size 0
		.amdhsa_kernarg_size 8
		.amdhsa_user_sgpr_count 2
		.amdhsa_user_sgpr_dispatch_ptr 0
		.amdhsa_user_sgpr_queue_ptr 0
		.amdhsa_user_sgpr_kernarg_segment_ptr 1
		.amdhsa_user_sgpr_dispatch_id 0
		.amdhsa_user_sgpr_kernarg_preload_length 0
		.amdhsa_user_sgpr_kernarg_preload_offset 0
		.amdhsa_user_sgpr_private_segment_size 0
		.amdhsa_wavefront_size32 1
		.amdhsa_uses_dynamic_stack 0
		.amdhsa_enable_private_segment 0
		.amdhsa_system_sgpr_workgroup_id_x 1
		.amdhsa_system_sgpr_workgroup_id_y 0
		.amdhsa_system_sgpr_workgroup_id_z 0
		.amdhsa_system_sgpr_workgroup_info 0
		.amdhsa_system_vgpr_workitem_id 0
		.amdhsa_next_free_vgpr 1
		.amdhsa_next_free_sgpr 1
		.amdhsa_named_barrier_count 0
		.amdhsa_reserve_vcc 0
		.amdhsa_float_round_mode_32 0
		.amdhsa_float_round_mode_16_64 0
		.amdhsa_float_denorm_mode_32 3
		.amdhsa_float_denorm_mode_16_64 3
		.amdhsa_fp16_overflow 0
		.amdhsa_memory_ordered 1
		.amdhsa_forward_progress 1
		.amdhsa_inst_pref_size 0
		.amdhsa_round_robin_scheduling 0
		.amdhsa_exception_fp_ieee_invalid_op 0
		.amdhsa_exception_fp_denorm_src 0
		.amdhsa_exception_fp_ieee_div_zero 0
		.amdhsa_exception_fp_ieee_overflow 0
		.amdhsa_exception_fp_ieee_underflow 0
		.amdhsa_exception_fp_ieee_inexact 0
		.amdhsa_exception_int_div_zero 0
	.end_amdhsa_kernel
	.section	.text._ZN7rocprim17ROCPRIM_400000_NS6detail17trampoline_kernelINS0_14default_configENS1_35radix_sort_onesweep_config_selectorIfNS0_10empty_typeEEEZNS1_34radix_sort_onesweep_global_offsetsIS3_Lb1EPKfPS5_mNS0_19identity_decomposerEEE10hipError_tT1_T2_PT3_SF_jT4_jjP12ihipStream_tbEUlT_E0_NS1_11comp_targetILNS1_3genE5ELNS1_11target_archE942ELNS1_3gpuE9ELNS1_3repE0EEENS1_52radix_sort_onesweep_histogram_config_static_selectorELNS0_4arch9wavefront6targetE0EEEvSD_,"axG",@progbits,_ZN7rocprim17ROCPRIM_400000_NS6detail17trampoline_kernelINS0_14default_configENS1_35radix_sort_onesweep_config_selectorIfNS0_10empty_typeEEEZNS1_34radix_sort_onesweep_global_offsetsIS3_Lb1EPKfPS5_mNS0_19identity_decomposerEEE10hipError_tT1_T2_PT3_SF_jT4_jjP12ihipStream_tbEUlT_E0_NS1_11comp_targetILNS1_3genE5ELNS1_11target_archE942ELNS1_3gpuE9ELNS1_3repE0EEENS1_52radix_sort_onesweep_histogram_config_static_selectorELNS0_4arch9wavefront6targetE0EEEvSD_,comdat
.Lfunc_end1304:
	.size	_ZN7rocprim17ROCPRIM_400000_NS6detail17trampoline_kernelINS0_14default_configENS1_35radix_sort_onesweep_config_selectorIfNS0_10empty_typeEEEZNS1_34radix_sort_onesweep_global_offsetsIS3_Lb1EPKfPS5_mNS0_19identity_decomposerEEE10hipError_tT1_T2_PT3_SF_jT4_jjP12ihipStream_tbEUlT_E0_NS1_11comp_targetILNS1_3genE5ELNS1_11target_archE942ELNS1_3gpuE9ELNS1_3repE0EEENS1_52radix_sort_onesweep_histogram_config_static_selectorELNS0_4arch9wavefront6targetE0EEEvSD_, .Lfunc_end1304-_ZN7rocprim17ROCPRIM_400000_NS6detail17trampoline_kernelINS0_14default_configENS1_35radix_sort_onesweep_config_selectorIfNS0_10empty_typeEEEZNS1_34radix_sort_onesweep_global_offsetsIS3_Lb1EPKfPS5_mNS0_19identity_decomposerEEE10hipError_tT1_T2_PT3_SF_jT4_jjP12ihipStream_tbEUlT_E0_NS1_11comp_targetILNS1_3genE5ELNS1_11target_archE942ELNS1_3gpuE9ELNS1_3repE0EEENS1_52radix_sort_onesweep_histogram_config_static_selectorELNS0_4arch9wavefront6targetE0EEEvSD_
                                        ; -- End function
	.set _ZN7rocprim17ROCPRIM_400000_NS6detail17trampoline_kernelINS0_14default_configENS1_35radix_sort_onesweep_config_selectorIfNS0_10empty_typeEEEZNS1_34radix_sort_onesweep_global_offsetsIS3_Lb1EPKfPS5_mNS0_19identity_decomposerEEE10hipError_tT1_T2_PT3_SF_jT4_jjP12ihipStream_tbEUlT_E0_NS1_11comp_targetILNS1_3genE5ELNS1_11target_archE942ELNS1_3gpuE9ELNS1_3repE0EEENS1_52radix_sort_onesweep_histogram_config_static_selectorELNS0_4arch9wavefront6targetE0EEEvSD_.num_vgpr, 0
	.set _ZN7rocprim17ROCPRIM_400000_NS6detail17trampoline_kernelINS0_14default_configENS1_35radix_sort_onesweep_config_selectorIfNS0_10empty_typeEEEZNS1_34radix_sort_onesweep_global_offsetsIS3_Lb1EPKfPS5_mNS0_19identity_decomposerEEE10hipError_tT1_T2_PT3_SF_jT4_jjP12ihipStream_tbEUlT_E0_NS1_11comp_targetILNS1_3genE5ELNS1_11target_archE942ELNS1_3gpuE9ELNS1_3repE0EEENS1_52radix_sort_onesweep_histogram_config_static_selectorELNS0_4arch9wavefront6targetE0EEEvSD_.num_agpr, 0
	.set _ZN7rocprim17ROCPRIM_400000_NS6detail17trampoline_kernelINS0_14default_configENS1_35radix_sort_onesweep_config_selectorIfNS0_10empty_typeEEEZNS1_34radix_sort_onesweep_global_offsetsIS3_Lb1EPKfPS5_mNS0_19identity_decomposerEEE10hipError_tT1_T2_PT3_SF_jT4_jjP12ihipStream_tbEUlT_E0_NS1_11comp_targetILNS1_3genE5ELNS1_11target_archE942ELNS1_3gpuE9ELNS1_3repE0EEENS1_52radix_sort_onesweep_histogram_config_static_selectorELNS0_4arch9wavefront6targetE0EEEvSD_.numbered_sgpr, 0
	.set _ZN7rocprim17ROCPRIM_400000_NS6detail17trampoline_kernelINS0_14default_configENS1_35radix_sort_onesweep_config_selectorIfNS0_10empty_typeEEEZNS1_34radix_sort_onesweep_global_offsetsIS3_Lb1EPKfPS5_mNS0_19identity_decomposerEEE10hipError_tT1_T2_PT3_SF_jT4_jjP12ihipStream_tbEUlT_E0_NS1_11comp_targetILNS1_3genE5ELNS1_11target_archE942ELNS1_3gpuE9ELNS1_3repE0EEENS1_52radix_sort_onesweep_histogram_config_static_selectorELNS0_4arch9wavefront6targetE0EEEvSD_.num_named_barrier, 0
	.set _ZN7rocprim17ROCPRIM_400000_NS6detail17trampoline_kernelINS0_14default_configENS1_35radix_sort_onesweep_config_selectorIfNS0_10empty_typeEEEZNS1_34radix_sort_onesweep_global_offsetsIS3_Lb1EPKfPS5_mNS0_19identity_decomposerEEE10hipError_tT1_T2_PT3_SF_jT4_jjP12ihipStream_tbEUlT_E0_NS1_11comp_targetILNS1_3genE5ELNS1_11target_archE942ELNS1_3gpuE9ELNS1_3repE0EEENS1_52radix_sort_onesweep_histogram_config_static_selectorELNS0_4arch9wavefront6targetE0EEEvSD_.private_seg_size, 0
	.set _ZN7rocprim17ROCPRIM_400000_NS6detail17trampoline_kernelINS0_14default_configENS1_35radix_sort_onesweep_config_selectorIfNS0_10empty_typeEEEZNS1_34radix_sort_onesweep_global_offsetsIS3_Lb1EPKfPS5_mNS0_19identity_decomposerEEE10hipError_tT1_T2_PT3_SF_jT4_jjP12ihipStream_tbEUlT_E0_NS1_11comp_targetILNS1_3genE5ELNS1_11target_archE942ELNS1_3gpuE9ELNS1_3repE0EEENS1_52radix_sort_onesweep_histogram_config_static_selectorELNS0_4arch9wavefront6targetE0EEEvSD_.uses_vcc, 0
	.set _ZN7rocprim17ROCPRIM_400000_NS6detail17trampoline_kernelINS0_14default_configENS1_35radix_sort_onesweep_config_selectorIfNS0_10empty_typeEEEZNS1_34radix_sort_onesweep_global_offsetsIS3_Lb1EPKfPS5_mNS0_19identity_decomposerEEE10hipError_tT1_T2_PT3_SF_jT4_jjP12ihipStream_tbEUlT_E0_NS1_11comp_targetILNS1_3genE5ELNS1_11target_archE942ELNS1_3gpuE9ELNS1_3repE0EEENS1_52radix_sort_onesweep_histogram_config_static_selectorELNS0_4arch9wavefront6targetE0EEEvSD_.uses_flat_scratch, 0
	.set _ZN7rocprim17ROCPRIM_400000_NS6detail17trampoline_kernelINS0_14default_configENS1_35radix_sort_onesweep_config_selectorIfNS0_10empty_typeEEEZNS1_34radix_sort_onesweep_global_offsetsIS3_Lb1EPKfPS5_mNS0_19identity_decomposerEEE10hipError_tT1_T2_PT3_SF_jT4_jjP12ihipStream_tbEUlT_E0_NS1_11comp_targetILNS1_3genE5ELNS1_11target_archE942ELNS1_3gpuE9ELNS1_3repE0EEENS1_52radix_sort_onesweep_histogram_config_static_selectorELNS0_4arch9wavefront6targetE0EEEvSD_.has_dyn_sized_stack, 0
	.set _ZN7rocprim17ROCPRIM_400000_NS6detail17trampoline_kernelINS0_14default_configENS1_35radix_sort_onesweep_config_selectorIfNS0_10empty_typeEEEZNS1_34radix_sort_onesweep_global_offsetsIS3_Lb1EPKfPS5_mNS0_19identity_decomposerEEE10hipError_tT1_T2_PT3_SF_jT4_jjP12ihipStream_tbEUlT_E0_NS1_11comp_targetILNS1_3genE5ELNS1_11target_archE942ELNS1_3gpuE9ELNS1_3repE0EEENS1_52radix_sort_onesweep_histogram_config_static_selectorELNS0_4arch9wavefront6targetE0EEEvSD_.has_recursion, 0
	.set _ZN7rocprim17ROCPRIM_400000_NS6detail17trampoline_kernelINS0_14default_configENS1_35radix_sort_onesweep_config_selectorIfNS0_10empty_typeEEEZNS1_34radix_sort_onesweep_global_offsetsIS3_Lb1EPKfPS5_mNS0_19identity_decomposerEEE10hipError_tT1_T2_PT3_SF_jT4_jjP12ihipStream_tbEUlT_E0_NS1_11comp_targetILNS1_3genE5ELNS1_11target_archE942ELNS1_3gpuE9ELNS1_3repE0EEENS1_52radix_sort_onesweep_histogram_config_static_selectorELNS0_4arch9wavefront6targetE0EEEvSD_.has_indirect_call, 0
	.section	.AMDGPU.csdata,"",@progbits
; Kernel info:
; codeLenInByte = 0
; TotalNumSgprs: 0
; NumVgprs: 0
; ScratchSize: 0
; MemoryBound: 0
; FloatMode: 240
; IeeeMode: 1
; LDSByteSize: 0 bytes/workgroup (compile time only)
; SGPRBlocks: 0
; VGPRBlocks: 0
; NumSGPRsForWavesPerEU: 1
; NumVGPRsForWavesPerEU: 1
; NamedBarCnt: 0
; Occupancy: 16
; WaveLimiterHint : 0
; COMPUTE_PGM_RSRC2:SCRATCH_EN: 0
; COMPUTE_PGM_RSRC2:USER_SGPR: 2
; COMPUTE_PGM_RSRC2:TRAP_HANDLER: 0
; COMPUTE_PGM_RSRC2:TGID_X_EN: 1
; COMPUTE_PGM_RSRC2:TGID_Y_EN: 0
; COMPUTE_PGM_RSRC2:TGID_Z_EN: 0
; COMPUTE_PGM_RSRC2:TIDIG_COMP_CNT: 0
	.section	.text._ZN7rocprim17ROCPRIM_400000_NS6detail17trampoline_kernelINS0_14default_configENS1_35radix_sort_onesweep_config_selectorIfNS0_10empty_typeEEEZNS1_34radix_sort_onesweep_global_offsetsIS3_Lb1EPKfPS5_mNS0_19identity_decomposerEEE10hipError_tT1_T2_PT3_SF_jT4_jjP12ihipStream_tbEUlT_E0_NS1_11comp_targetILNS1_3genE2ELNS1_11target_archE906ELNS1_3gpuE6ELNS1_3repE0EEENS1_52radix_sort_onesweep_histogram_config_static_selectorELNS0_4arch9wavefront6targetE0EEEvSD_,"axG",@progbits,_ZN7rocprim17ROCPRIM_400000_NS6detail17trampoline_kernelINS0_14default_configENS1_35radix_sort_onesweep_config_selectorIfNS0_10empty_typeEEEZNS1_34radix_sort_onesweep_global_offsetsIS3_Lb1EPKfPS5_mNS0_19identity_decomposerEEE10hipError_tT1_T2_PT3_SF_jT4_jjP12ihipStream_tbEUlT_E0_NS1_11comp_targetILNS1_3genE2ELNS1_11target_archE906ELNS1_3gpuE6ELNS1_3repE0EEENS1_52radix_sort_onesweep_histogram_config_static_selectorELNS0_4arch9wavefront6targetE0EEEvSD_,comdat
	.protected	_ZN7rocprim17ROCPRIM_400000_NS6detail17trampoline_kernelINS0_14default_configENS1_35radix_sort_onesweep_config_selectorIfNS0_10empty_typeEEEZNS1_34radix_sort_onesweep_global_offsetsIS3_Lb1EPKfPS5_mNS0_19identity_decomposerEEE10hipError_tT1_T2_PT3_SF_jT4_jjP12ihipStream_tbEUlT_E0_NS1_11comp_targetILNS1_3genE2ELNS1_11target_archE906ELNS1_3gpuE6ELNS1_3repE0EEENS1_52radix_sort_onesweep_histogram_config_static_selectorELNS0_4arch9wavefront6targetE0EEEvSD_ ; -- Begin function _ZN7rocprim17ROCPRIM_400000_NS6detail17trampoline_kernelINS0_14default_configENS1_35radix_sort_onesweep_config_selectorIfNS0_10empty_typeEEEZNS1_34radix_sort_onesweep_global_offsetsIS3_Lb1EPKfPS5_mNS0_19identity_decomposerEEE10hipError_tT1_T2_PT3_SF_jT4_jjP12ihipStream_tbEUlT_E0_NS1_11comp_targetILNS1_3genE2ELNS1_11target_archE906ELNS1_3gpuE6ELNS1_3repE0EEENS1_52radix_sort_onesweep_histogram_config_static_selectorELNS0_4arch9wavefront6targetE0EEEvSD_
	.globl	_ZN7rocprim17ROCPRIM_400000_NS6detail17trampoline_kernelINS0_14default_configENS1_35radix_sort_onesweep_config_selectorIfNS0_10empty_typeEEEZNS1_34radix_sort_onesweep_global_offsetsIS3_Lb1EPKfPS5_mNS0_19identity_decomposerEEE10hipError_tT1_T2_PT3_SF_jT4_jjP12ihipStream_tbEUlT_E0_NS1_11comp_targetILNS1_3genE2ELNS1_11target_archE906ELNS1_3gpuE6ELNS1_3repE0EEENS1_52radix_sort_onesweep_histogram_config_static_selectorELNS0_4arch9wavefront6targetE0EEEvSD_
	.p2align	8
	.type	_ZN7rocprim17ROCPRIM_400000_NS6detail17trampoline_kernelINS0_14default_configENS1_35radix_sort_onesweep_config_selectorIfNS0_10empty_typeEEEZNS1_34radix_sort_onesweep_global_offsetsIS3_Lb1EPKfPS5_mNS0_19identity_decomposerEEE10hipError_tT1_T2_PT3_SF_jT4_jjP12ihipStream_tbEUlT_E0_NS1_11comp_targetILNS1_3genE2ELNS1_11target_archE906ELNS1_3gpuE6ELNS1_3repE0EEENS1_52radix_sort_onesweep_histogram_config_static_selectorELNS0_4arch9wavefront6targetE0EEEvSD_,@function
_ZN7rocprim17ROCPRIM_400000_NS6detail17trampoline_kernelINS0_14default_configENS1_35radix_sort_onesweep_config_selectorIfNS0_10empty_typeEEEZNS1_34radix_sort_onesweep_global_offsetsIS3_Lb1EPKfPS5_mNS0_19identity_decomposerEEE10hipError_tT1_T2_PT3_SF_jT4_jjP12ihipStream_tbEUlT_E0_NS1_11comp_targetILNS1_3genE2ELNS1_11target_archE906ELNS1_3gpuE6ELNS1_3repE0EEENS1_52radix_sort_onesweep_histogram_config_static_selectorELNS0_4arch9wavefront6targetE0EEEvSD_: ; @_ZN7rocprim17ROCPRIM_400000_NS6detail17trampoline_kernelINS0_14default_configENS1_35radix_sort_onesweep_config_selectorIfNS0_10empty_typeEEEZNS1_34radix_sort_onesweep_global_offsetsIS3_Lb1EPKfPS5_mNS0_19identity_decomposerEEE10hipError_tT1_T2_PT3_SF_jT4_jjP12ihipStream_tbEUlT_E0_NS1_11comp_targetILNS1_3genE2ELNS1_11target_archE906ELNS1_3gpuE6ELNS1_3repE0EEENS1_52radix_sort_onesweep_histogram_config_static_selectorELNS0_4arch9wavefront6targetE0EEEvSD_
; %bb.0:
	.section	.rodata,"a",@progbits
	.p2align	6, 0x0
	.amdhsa_kernel _ZN7rocprim17ROCPRIM_400000_NS6detail17trampoline_kernelINS0_14default_configENS1_35radix_sort_onesweep_config_selectorIfNS0_10empty_typeEEEZNS1_34radix_sort_onesweep_global_offsetsIS3_Lb1EPKfPS5_mNS0_19identity_decomposerEEE10hipError_tT1_T2_PT3_SF_jT4_jjP12ihipStream_tbEUlT_E0_NS1_11comp_targetILNS1_3genE2ELNS1_11target_archE906ELNS1_3gpuE6ELNS1_3repE0EEENS1_52radix_sort_onesweep_histogram_config_static_selectorELNS0_4arch9wavefront6targetE0EEEvSD_
		.amdhsa_group_segment_fixed_size 0
		.amdhsa_private_segment_fixed_size 0
		.amdhsa_kernarg_size 8
		.amdhsa_user_sgpr_count 2
		.amdhsa_user_sgpr_dispatch_ptr 0
		.amdhsa_user_sgpr_queue_ptr 0
		.amdhsa_user_sgpr_kernarg_segment_ptr 1
		.amdhsa_user_sgpr_dispatch_id 0
		.amdhsa_user_sgpr_kernarg_preload_length 0
		.amdhsa_user_sgpr_kernarg_preload_offset 0
		.amdhsa_user_sgpr_private_segment_size 0
		.amdhsa_wavefront_size32 1
		.amdhsa_uses_dynamic_stack 0
		.amdhsa_enable_private_segment 0
		.amdhsa_system_sgpr_workgroup_id_x 1
		.amdhsa_system_sgpr_workgroup_id_y 0
		.amdhsa_system_sgpr_workgroup_id_z 0
		.amdhsa_system_sgpr_workgroup_info 0
		.amdhsa_system_vgpr_workitem_id 0
		.amdhsa_next_free_vgpr 1
		.amdhsa_next_free_sgpr 1
		.amdhsa_named_barrier_count 0
		.amdhsa_reserve_vcc 0
		.amdhsa_float_round_mode_32 0
		.amdhsa_float_round_mode_16_64 0
		.amdhsa_float_denorm_mode_32 3
		.amdhsa_float_denorm_mode_16_64 3
		.amdhsa_fp16_overflow 0
		.amdhsa_memory_ordered 1
		.amdhsa_forward_progress 1
		.amdhsa_inst_pref_size 0
		.amdhsa_round_robin_scheduling 0
		.amdhsa_exception_fp_ieee_invalid_op 0
		.amdhsa_exception_fp_denorm_src 0
		.amdhsa_exception_fp_ieee_div_zero 0
		.amdhsa_exception_fp_ieee_overflow 0
		.amdhsa_exception_fp_ieee_underflow 0
		.amdhsa_exception_fp_ieee_inexact 0
		.amdhsa_exception_int_div_zero 0
	.end_amdhsa_kernel
	.section	.text._ZN7rocprim17ROCPRIM_400000_NS6detail17trampoline_kernelINS0_14default_configENS1_35radix_sort_onesweep_config_selectorIfNS0_10empty_typeEEEZNS1_34radix_sort_onesweep_global_offsetsIS3_Lb1EPKfPS5_mNS0_19identity_decomposerEEE10hipError_tT1_T2_PT3_SF_jT4_jjP12ihipStream_tbEUlT_E0_NS1_11comp_targetILNS1_3genE2ELNS1_11target_archE906ELNS1_3gpuE6ELNS1_3repE0EEENS1_52radix_sort_onesweep_histogram_config_static_selectorELNS0_4arch9wavefront6targetE0EEEvSD_,"axG",@progbits,_ZN7rocprim17ROCPRIM_400000_NS6detail17trampoline_kernelINS0_14default_configENS1_35radix_sort_onesweep_config_selectorIfNS0_10empty_typeEEEZNS1_34radix_sort_onesweep_global_offsetsIS3_Lb1EPKfPS5_mNS0_19identity_decomposerEEE10hipError_tT1_T2_PT3_SF_jT4_jjP12ihipStream_tbEUlT_E0_NS1_11comp_targetILNS1_3genE2ELNS1_11target_archE906ELNS1_3gpuE6ELNS1_3repE0EEENS1_52radix_sort_onesweep_histogram_config_static_selectorELNS0_4arch9wavefront6targetE0EEEvSD_,comdat
.Lfunc_end1305:
	.size	_ZN7rocprim17ROCPRIM_400000_NS6detail17trampoline_kernelINS0_14default_configENS1_35radix_sort_onesweep_config_selectorIfNS0_10empty_typeEEEZNS1_34radix_sort_onesweep_global_offsetsIS3_Lb1EPKfPS5_mNS0_19identity_decomposerEEE10hipError_tT1_T2_PT3_SF_jT4_jjP12ihipStream_tbEUlT_E0_NS1_11comp_targetILNS1_3genE2ELNS1_11target_archE906ELNS1_3gpuE6ELNS1_3repE0EEENS1_52radix_sort_onesweep_histogram_config_static_selectorELNS0_4arch9wavefront6targetE0EEEvSD_, .Lfunc_end1305-_ZN7rocprim17ROCPRIM_400000_NS6detail17trampoline_kernelINS0_14default_configENS1_35radix_sort_onesweep_config_selectorIfNS0_10empty_typeEEEZNS1_34radix_sort_onesweep_global_offsetsIS3_Lb1EPKfPS5_mNS0_19identity_decomposerEEE10hipError_tT1_T2_PT3_SF_jT4_jjP12ihipStream_tbEUlT_E0_NS1_11comp_targetILNS1_3genE2ELNS1_11target_archE906ELNS1_3gpuE6ELNS1_3repE0EEENS1_52radix_sort_onesweep_histogram_config_static_selectorELNS0_4arch9wavefront6targetE0EEEvSD_
                                        ; -- End function
	.set _ZN7rocprim17ROCPRIM_400000_NS6detail17trampoline_kernelINS0_14default_configENS1_35radix_sort_onesweep_config_selectorIfNS0_10empty_typeEEEZNS1_34radix_sort_onesweep_global_offsetsIS3_Lb1EPKfPS5_mNS0_19identity_decomposerEEE10hipError_tT1_T2_PT3_SF_jT4_jjP12ihipStream_tbEUlT_E0_NS1_11comp_targetILNS1_3genE2ELNS1_11target_archE906ELNS1_3gpuE6ELNS1_3repE0EEENS1_52radix_sort_onesweep_histogram_config_static_selectorELNS0_4arch9wavefront6targetE0EEEvSD_.num_vgpr, 0
	.set _ZN7rocprim17ROCPRIM_400000_NS6detail17trampoline_kernelINS0_14default_configENS1_35radix_sort_onesweep_config_selectorIfNS0_10empty_typeEEEZNS1_34radix_sort_onesweep_global_offsetsIS3_Lb1EPKfPS5_mNS0_19identity_decomposerEEE10hipError_tT1_T2_PT3_SF_jT4_jjP12ihipStream_tbEUlT_E0_NS1_11comp_targetILNS1_3genE2ELNS1_11target_archE906ELNS1_3gpuE6ELNS1_3repE0EEENS1_52radix_sort_onesweep_histogram_config_static_selectorELNS0_4arch9wavefront6targetE0EEEvSD_.num_agpr, 0
	.set _ZN7rocprim17ROCPRIM_400000_NS6detail17trampoline_kernelINS0_14default_configENS1_35radix_sort_onesweep_config_selectorIfNS0_10empty_typeEEEZNS1_34radix_sort_onesweep_global_offsetsIS3_Lb1EPKfPS5_mNS0_19identity_decomposerEEE10hipError_tT1_T2_PT3_SF_jT4_jjP12ihipStream_tbEUlT_E0_NS1_11comp_targetILNS1_3genE2ELNS1_11target_archE906ELNS1_3gpuE6ELNS1_3repE0EEENS1_52radix_sort_onesweep_histogram_config_static_selectorELNS0_4arch9wavefront6targetE0EEEvSD_.numbered_sgpr, 0
	.set _ZN7rocprim17ROCPRIM_400000_NS6detail17trampoline_kernelINS0_14default_configENS1_35radix_sort_onesweep_config_selectorIfNS0_10empty_typeEEEZNS1_34radix_sort_onesweep_global_offsetsIS3_Lb1EPKfPS5_mNS0_19identity_decomposerEEE10hipError_tT1_T2_PT3_SF_jT4_jjP12ihipStream_tbEUlT_E0_NS1_11comp_targetILNS1_3genE2ELNS1_11target_archE906ELNS1_3gpuE6ELNS1_3repE0EEENS1_52radix_sort_onesweep_histogram_config_static_selectorELNS0_4arch9wavefront6targetE0EEEvSD_.num_named_barrier, 0
	.set _ZN7rocprim17ROCPRIM_400000_NS6detail17trampoline_kernelINS0_14default_configENS1_35radix_sort_onesweep_config_selectorIfNS0_10empty_typeEEEZNS1_34radix_sort_onesweep_global_offsetsIS3_Lb1EPKfPS5_mNS0_19identity_decomposerEEE10hipError_tT1_T2_PT3_SF_jT4_jjP12ihipStream_tbEUlT_E0_NS1_11comp_targetILNS1_3genE2ELNS1_11target_archE906ELNS1_3gpuE6ELNS1_3repE0EEENS1_52radix_sort_onesweep_histogram_config_static_selectorELNS0_4arch9wavefront6targetE0EEEvSD_.private_seg_size, 0
	.set _ZN7rocprim17ROCPRIM_400000_NS6detail17trampoline_kernelINS0_14default_configENS1_35radix_sort_onesweep_config_selectorIfNS0_10empty_typeEEEZNS1_34radix_sort_onesweep_global_offsetsIS3_Lb1EPKfPS5_mNS0_19identity_decomposerEEE10hipError_tT1_T2_PT3_SF_jT4_jjP12ihipStream_tbEUlT_E0_NS1_11comp_targetILNS1_3genE2ELNS1_11target_archE906ELNS1_3gpuE6ELNS1_3repE0EEENS1_52radix_sort_onesweep_histogram_config_static_selectorELNS0_4arch9wavefront6targetE0EEEvSD_.uses_vcc, 0
	.set _ZN7rocprim17ROCPRIM_400000_NS6detail17trampoline_kernelINS0_14default_configENS1_35radix_sort_onesweep_config_selectorIfNS0_10empty_typeEEEZNS1_34radix_sort_onesweep_global_offsetsIS3_Lb1EPKfPS5_mNS0_19identity_decomposerEEE10hipError_tT1_T2_PT3_SF_jT4_jjP12ihipStream_tbEUlT_E0_NS1_11comp_targetILNS1_3genE2ELNS1_11target_archE906ELNS1_3gpuE6ELNS1_3repE0EEENS1_52radix_sort_onesweep_histogram_config_static_selectorELNS0_4arch9wavefront6targetE0EEEvSD_.uses_flat_scratch, 0
	.set _ZN7rocprim17ROCPRIM_400000_NS6detail17trampoline_kernelINS0_14default_configENS1_35radix_sort_onesweep_config_selectorIfNS0_10empty_typeEEEZNS1_34radix_sort_onesweep_global_offsetsIS3_Lb1EPKfPS5_mNS0_19identity_decomposerEEE10hipError_tT1_T2_PT3_SF_jT4_jjP12ihipStream_tbEUlT_E0_NS1_11comp_targetILNS1_3genE2ELNS1_11target_archE906ELNS1_3gpuE6ELNS1_3repE0EEENS1_52radix_sort_onesweep_histogram_config_static_selectorELNS0_4arch9wavefront6targetE0EEEvSD_.has_dyn_sized_stack, 0
	.set _ZN7rocprim17ROCPRIM_400000_NS6detail17trampoline_kernelINS0_14default_configENS1_35radix_sort_onesweep_config_selectorIfNS0_10empty_typeEEEZNS1_34radix_sort_onesweep_global_offsetsIS3_Lb1EPKfPS5_mNS0_19identity_decomposerEEE10hipError_tT1_T2_PT3_SF_jT4_jjP12ihipStream_tbEUlT_E0_NS1_11comp_targetILNS1_3genE2ELNS1_11target_archE906ELNS1_3gpuE6ELNS1_3repE0EEENS1_52radix_sort_onesweep_histogram_config_static_selectorELNS0_4arch9wavefront6targetE0EEEvSD_.has_recursion, 0
	.set _ZN7rocprim17ROCPRIM_400000_NS6detail17trampoline_kernelINS0_14default_configENS1_35radix_sort_onesweep_config_selectorIfNS0_10empty_typeEEEZNS1_34radix_sort_onesweep_global_offsetsIS3_Lb1EPKfPS5_mNS0_19identity_decomposerEEE10hipError_tT1_T2_PT3_SF_jT4_jjP12ihipStream_tbEUlT_E0_NS1_11comp_targetILNS1_3genE2ELNS1_11target_archE906ELNS1_3gpuE6ELNS1_3repE0EEENS1_52radix_sort_onesweep_histogram_config_static_selectorELNS0_4arch9wavefront6targetE0EEEvSD_.has_indirect_call, 0
	.section	.AMDGPU.csdata,"",@progbits
; Kernel info:
; codeLenInByte = 0
; TotalNumSgprs: 0
; NumVgprs: 0
; ScratchSize: 0
; MemoryBound: 0
; FloatMode: 240
; IeeeMode: 1
; LDSByteSize: 0 bytes/workgroup (compile time only)
; SGPRBlocks: 0
; VGPRBlocks: 0
; NumSGPRsForWavesPerEU: 1
; NumVGPRsForWavesPerEU: 1
; NamedBarCnt: 0
; Occupancy: 16
; WaveLimiterHint : 0
; COMPUTE_PGM_RSRC2:SCRATCH_EN: 0
; COMPUTE_PGM_RSRC2:USER_SGPR: 2
; COMPUTE_PGM_RSRC2:TRAP_HANDLER: 0
; COMPUTE_PGM_RSRC2:TGID_X_EN: 1
; COMPUTE_PGM_RSRC2:TGID_Y_EN: 0
; COMPUTE_PGM_RSRC2:TGID_Z_EN: 0
; COMPUTE_PGM_RSRC2:TIDIG_COMP_CNT: 0
	.section	.text._ZN7rocprim17ROCPRIM_400000_NS6detail17trampoline_kernelINS0_14default_configENS1_35radix_sort_onesweep_config_selectorIfNS0_10empty_typeEEEZNS1_34radix_sort_onesweep_global_offsetsIS3_Lb1EPKfPS5_mNS0_19identity_decomposerEEE10hipError_tT1_T2_PT3_SF_jT4_jjP12ihipStream_tbEUlT_E0_NS1_11comp_targetILNS1_3genE4ELNS1_11target_archE910ELNS1_3gpuE8ELNS1_3repE0EEENS1_52radix_sort_onesweep_histogram_config_static_selectorELNS0_4arch9wavefront6targetE0EEEvSD_,"axG",@progbits,_ZN7rocprim17ROCPRIM_400000_NS6detail17trampoline_kernelINS0_14default_configENS1_35radix_sort_onesweep_config_selectorIfNS0_10empty_typeEEEZNS1_34radix_sort_onesweep_global_offsetsIS3_Lb1EPKfPS5_mNS0_19identity_decomposerEEE10hipError_tT1_T2_PT3_SF_jT4_jjP12ihipStream_tbEUlT_E0_NS1_11comp_targetILNS1_3genE4ELNS1_11target_archE910ELNS1_3gpuE8ELNS1_3repE0EEENS1_52radix_sort_onesweep_histogram_config_static_selectorELNS0_4arch9wavefront6targetE0EEEvSD_,comdat
	.protected	_ZN7rocprim17ROCPRIM_400000_NS6detail17trampoline_kernelINS0_14default_configENS1_35radix_sort_onesweep_config_selectorIfNS0_10empty_typeEEEZNS1_34radix_sort_onesweep_global_offsetsIS3_Lb1EPKfPS5_mNS0_19identity_decomposerEEE10hipError_tT1_T2_PT3_SF_jT4_jjP12ihipStream_tbEUlT_E0_NS1_11comp_targetILNS1_3genE4ELNS1_11target_archE910ELNS1_3gpuE8ELNS1_3repE0EEENS1_52radix_sort_onesweep_histogram_config_static_selectorELNS0_4arch9wavefront6targetE0EEEvSD_ ; -- Begin function _ZN7rocprim17ROCPRIM_400000_NS6detail17trampoline_kernelINS0_14default_configENS1_35radix_sort_onesweep_config_selectorIfNS0_10empty_typeEEEZNS1_34radix_sort_onesweep_global_offsetsIS3_Lb1EPKfPS5_mNS0_19identity_decomposerEEE10hipError_tT1_T2_PT3_SF_jT4_jjP12ihipStream_tbEUlT_E0_NS1_11comp_targetILNS1_3genE4ELNS1_11target_archE910ELNS1_3gpuE8ELNS1_3repE0EEENS1_52radix_sort_onesweep_histogram_config_static_selectorELNS0_4arch9wavefront6targetE0EEEvSD_
	.globl	_ZN7rocprim17ROCPRIM_400000_NS6detail17trampoline_kernelINS0_14default_configENS1_35radix_sort_onesweep_config_selectorIfNS0_10empty_typeEEEZNS1_34radix_sort_onesweep_global_offsetsIS3_Lb1EPKfPS5_mNS0_19identity_decomposerEEE10hipError_tT1_T2_PT3_SF_jT4_jjP12ihipStream_tbEUlT_E0_NS1_11comp_targetILNS1_3genE4ELNS1_11target_archE910ELNS1_3gpuE8ELNS1_3repE0EEENS1_52radix_sort_onesweep_histogram_config_static_selectorELNS0_4arch9wavefront6targetE0EEEvSD_
	.p2align	8
	.type	_ZN7rocprim17ROCPRIM_400000_NS6detail17trampoline_kernelINS0_14default_configENS1_35radix_sort_onesweep_config_selectorIfNS0_10empty_typeEEEZNS1_34radix_sort_onesweep_global_offsetsIS3_Lb1EPKfPS5_mNS0_19identity_decomposerEEE10hipError_tT1_T2_PT3_SF_jT4_jjP12ihipStream_tbEUlT_E0_NS1_11comp_targetILNS1_3genE4ELNS1_11target_archE910ELNS1_3gpuE8ELNS1_3repE0EEENS1_52radix_sort_onesweep_histogram_config_static_selectorELNS0_4arch9wavefront6targetE0EEEvSD_,@function
_ZN7rocprim17ROCPRIM_400000_NS6detail17trampoline_kernelINS0_14default_configENS1_35radix_sort_onesweep_config_selectorIfNS0_10empty_typeEEEZNS1_34radix_sort_onesweep_global_offsetsIS3_Lb1EPKfPS5_mNS0_19identity_decomposerEEE10hipError_tT1_T2_PT3_SF_jT4_jjP12ihipStream_tbEUlT_E0_NS1_11comp_targetILNS1_3genE4ELNS1_11target_archE910ELNS1_3gpuE8ELNS1_3repE0EEENS1_52radix_sort_onesweep_histogram_config_static_selectorELNS0_4arch9wavefront6targetE0EEEvSD_: ; @_ZN7rocprim17ROCPRIM_400000_NS6detail17trampoline_kernelINS0_14default_configENS1_35radix_sort_onesweep_config_selectorIfNS0_10empty_typeEEEZNS1_34radix_sort_onesweep_global_offsetsIS3_Lb1EPKfPS5_mNS0_19identity_decomposerEEE10hipError_tT1_T2_PT3_SF_jT4_jjP12ihipStream_tbEUlT_E0_NS1_11comp_targetILNS1_3genE4ELNS1_11target_archE910ELNS1_3gpuE8ELNS1_3repE0EEENS1_52radix_sort_onesweep_histogram_config_static_selectorELNS0_4arch9wavefront6targetE0EEEvSD_
; %bb.0:
	.section	.rodata,"a",@progbits
	.p2align	6, 0x0
	.amdhsa_kernel _ZN7rocprim17ROCPRIM_400000_NS6detail17trampoline_kernelINS0_14default_configENS1_35radix_sort_onesweep_config_selectorIfNS0_10empty_typeEEEZNS1_34radix_sort_onesweep_global_offsetsIS3_Lb1EPKfPS5_mNS0_19identity_decomposerEEE10hipError_tT1_T2_PT3_SF_jT4_jjP12ihipStream_tbEUlT_E0_NS1_11comp_targetILNS1_3genE4ELNS1_11target_archE910ELNS1_3gpuE8ELNS1_3repE0EEENS1_52radix_sort_onesweep_histogram_config_static_selectorELNS0_4arch9wavefront6targetE0EEEvSD_
		.amdhsa_group_segment_fixed_size 0
		.amdhsa_private_segment_fixed_size 0
		.amdhsa_kernarg_size 8
		.amdhsa_user_sgpr_count 2
		.amdhsa_user_sgpr_dispatch_ptr 0
		.amdhsa_user_sgpr_queue_ptr 0
		.amdhsa_user_sgpr_kernarg_segment_ptr 1
		.amdhsa_user_sgpr_dispatch_id 0
		.amdhsa_user_sgpr_kernarg_preload_length 0
		.amdhsa_user_sgpr_kernarg_preload_offset 0
		.amdhsa_user_sgpr_private_segment_size 0
		.amdhsa_wavefront_size32 1
		.amdhsa_uses_dynamic_stack 0
		.amdhsa_enable_private_segment 0
		.amdhsa_system_sgpr_workgroup_id_x 1
		.amdhsa_system_sgpr_workgroup_id_y 0
		.amdhsa_system_sgpr_workgroup_id_z 0
		.amdhsa_system_sgpr_workgroup_info 0
		.amdhsa_system_vgpr_workitem_id 0
		.amdhsa_next_free_vgpr 1
		.amdhsa_next_free_sgpr 1
		.amdhsa_named_barrier_count 0
		.amdhsa_reserve_vcc 0
		.amdhsa_float_round_mode_32 0
		.amdhsa_float_round_mode_16_64 0
		.amdhsa_float_denorm_mode_32 3
		.amdhsa_float_denorm_mode_16_64 3
		.amdhsa_fp16_overflow 0
		.amdhsa_memory_ordered 1
		.amdhsa_forward_progress 1
		.amdhsa_inst_pref_size 0
		.amdhsa_round_robin_scheduling 0
		.amdhsa_exception_fp_ieee_invalid_op 0
		.amdhsa_exception_fp_denorm_src 0
		.amdhsa_exception_fp_ieee_div_zero 0
		.amdhsa_exception_fp_ieee_overflow 0
		.amdhsa_exception_fp_ieee_underflow 0
		.amdhsa_exception_fp_ieee_inexact 0
		.amdhsa_exception_int_div_zero 0
	.end_amdhsa_kernel
	.section	.text._ZN7rocprim17ROCPRIM_400000_NS6detail17trampoline_kernelINS0_14default_configENS1_35radix_sort_onesweep_config_selectorIfNS0_10empty_typeEEEZNS1_34radix_sort_onesweep_global_offsetsIS3_Lb1EPKfPS5_mNS0_19identity_decomposerEEE10hipError_tT1_T2_PT3_SF_jT4_jjP12ihipStream_tbEUlT_E0_NS1_11comp_targetILNS1_3genE4ELNS1_11target_archE910ELNS1_3gpuE8ELNS1_3repE0EEENS1_52radix_sort_onesweep_histogram_config_static_selectorELNS0_4arch9wavefront6targetE0EEEvSD_,"axG",@progbits,_ZN7rocprim17ROCPRIM_400000_NS6detail17trampoline_kernelINS0_14default_configENS1_35radix_sort_onesweep_config_selectorIfNS0_10empty_typeEEEZNS1_34radix_sort_onesweep_global_offsetsIS3_Lb1EPKfPS5_mNS0_19identity_decomposerEEE10hipError_tT1_T2_PT3_SF_jT4_jjP12ihipStream_tbEUlT_E0_NS1_11comp_targetILNS1_3genE4ELNS1_11target_archE910ELNS1_3gpuE8ELNS1_3repE0EEENS1_52radix_sort_onesweep_histogram_config_static_selectorELNS0_4arch9wavefront6targetE0EEEvSD_,comdat
.Lfunc_end1306:
	.size	_ZN7rocprim17ROCPRIM_400000_NS6detail17trampoline_kernelINS0_14default_configENS1_35radix_sort_onesweep_config_selectorIfNS0_10empty_typeEEEZNS1_34radix_sort_onesweep_global_offsetsIS3_Lb1EPKfPS5_mNS0_19identity_decomposerEEE10hipError_tT1_T2_PT3_SF_jT4_jjP12ihipStream_tbEUlT_E0_NS1_11comp_targetILNS1_3genE4ELNS1_11target_archE910ELNS1_3gpuE8ELNS1_3repE0EEENS1_52radix_sort_onesweep_histogram_config_static_selectorELNS0_4arch9wavefront6targetE0EEEvSD_, .Lfunc_end1306-_ZN7rocprim17ROCPRIM_400000_NS6detail17trampoline_kernelINS0_14default_configENS1_35radix_sort_onesweep_config_selectorIfNS0_10empty_typeEEEZNS1_34radix_sort_onesweep_global_offsetsIS3_Lb1EPKfPS5_mNS0_19identity_decomposerEEE10hipError_tT1_T2_PT3_SF_jT4_jjP12ihipStream_tbEUlT_E0_NS1_11comp_targetILNS1_3genE4ELNS1_11target_archE910ELNS1_3gpuE8ELNS1_3repE0EEENS1_52radix_sort_onesweep_histogram_config_static_selectorELNS0_4arch9wavefront6targetE0EEEvSD_
                                        ; -- End function
	.set _ZN7rocprim17ROCPRIM_400000_NS6detail17trampoline_kernelINS0_14default_configENS1_35radix_sort_onesweep_config_selectorIfNS0_10empty_typeEEEZNS1_34radix_sort_onesweep_global_offsetsIS3_Lb1EPKfPS5_mNS0_19identity_decomposerEEE10hipError_tT1_T2_PT3_SF_jT4_jjP12ihipStream_tbEUlT_E0_NS1_11comp_targetILNS1_3genE4ELNS1_11target_archE910ELNS1_3gpuE8ELNS1_3repE0EEENS1_52radix_sort_onesweep_histogram_config_static_selectorELNS0_4arch9wavefront6targetE0EEEvSD_.num_vgpr, 0
	.set _ZN7rocprim17ROCPRIM_400000_NS6detail17trampoline_kernelINS0_14default_configENS1_35radix_sort_onesweep_config_selectorIfNS0_10empty_typeEEEZNS1_34radix_sort_onesweep_global_offsetsIS3_Lb1EPKfPS5_mNS0_19identity_decomposerEEE10hipError_tT1_T2_PT3_SF_jT4_jjP12ihipStream_tbEUlT_E0_NS1_11comp_targetILNS1_3genE4ELNS1_11target_archE910ELNS1_3gpuE8ELNS1_3repE0EEENS1_52radix_sort_onesweep_histogram_config_static_selectorELNS0_4arch9wavefront6targetE0EEEvSD_.num_agpr, 0
	.set _ZN7rocprim17ROCPRIM_400000_NS6detail17trampoline_kernelINS0_14default_configENS1_35radix_sort_onesweep_config_selectorIfNS0_10empty_typeEEEZNS1_34radix_sort_onesweep_global_offsetsIS3_Lb1EPKfPS5_mNS0_19identity_decomposerEEE10hipError_tT1_T2_PT3_SF_jT4_jjP12ihipStream_tbEUlT_E0_NS1_11comp_targetILNS1_3genE4ELNS1_11target_archE910ELNS1_3gpuE8ELNS1_3repE0EEENS1_52radix_sort_onesweep_histogram_config_static_selectorELNS0_4arch9wavefront6targetE0EEEvSD_.numbered_sgpr, 0
	.set _ZN7rocprim17ROCPRIM_400000_NS6detail17trampoline_kernelINS0_14default_configENS1_35radix_sort_onesweep_config_selectorIfNS0_10empty_typeEEEZNS1_34radix_sort_onesweep_global_offsetsIS3_Lb1EPKfPS5_mNS0_19identity_decomposerEEE10hipError_tT1_T2_PT3_SF_jT4_jjP12ihipStream_tbEUlT_E0_NS1_11comp_targetILNS1_3genE4ELNS1_11target_archE910ELNS1_3gpuE8ELNS1_3repE0EEENS1_52radix_sort_onesweep_histogram_config_static_selectorELNS0_4arch9wavefront6targetE0EEEvSD_.num_named_barrier, 0
	.set _ZN7rocprim17ROCPRIM_400000_NS6detail17trampoline_kernelINS0_14default_configENS1_35radix_sort_onesweep_config_selectorIfNS0_10empty_typeEEEZNS1_34radix_sort_onesweep_global_offsetsIS3_Lb1EPKfPS5_mNS0_19identity_decomposerEEE10hipError_tT1_T2_PT3_SF_jT4_jjP12ihipStream_tbEUlT_E0_NS1_11comp_targetILNS1_3genE4ELNS1_11target_archE910ELNS1_3gpuE8ELNS1_3repE0EEENS1_52radix_sort_onesweep_histogram_config_static_selectorELNS0_4arch9wavefront6targetE0EEEvSD_.private_seg_size, 0
	.set _ZN7rocprim17ROCPRIM_400000_NS6detail17trampoline_kernelINS0_14default_configENS1_35radix_sort_onesweep_config_selectorIfNS0_10empty_typeEEEZNS1_34radix_sort_onesweep_global_offsetsIS3_Lb1EPKfPS5_mNS0_19identity_decomposerEEE10hipError_tT1_T2_PT3_SF_jT4_jjP12ihipStream_tbEUlT_E0_NS1_11comp_targetILNS1_3genE4ELNS1_11target_archE910ELNS1_3gpuE8ELNS1_3repE0EEENS1_52radix_sort_onesweep_histogram_config_static_selectorELNS0_4arch9wavefront6targetE0EEEvSD_.uses_vcc, 0
	.set _ZN7rocprim17ROCPRIM_400000_NS6detail17trampoline_kernelINS0_14default_configENS1_35radix_sort_onesweep_config_selectorIfNS0_10empty_typeEEEZNS1_34radix_sort_onesweep_global_offsetsIS3_Lb1EPKfPS5_mNS0_19identity_decomposerEEE10hipError_tT1_T2_PT3_SF_jT4_jjP12ihipStream_tbEUlT_E0_NS1_11comp_targetILNS1_3genE4ELNS1_11target_archE910ELNS1_3gpuE8ELNS1_3repE0EEENS1_52radix_sort_onesweep_histogram_config_static_selectorELNS0_4arch9wavefront6targetE0EEEvSD_.uses_flat_scratch, 0
	.set _ZN7rocprim17ROCPRIM_400000_NS6detail17trampoline_kernelINS0_14default_configENS1_35radix_sort_onesweep_config_selectorIfNS0_10empty_typeEEEZNS1_34radix_sort_onesweep_global_offsetsIS3_Lb1EPKfPS5_mNS0_19identity_decomposerEEE10hipError_tT1_T2_PT3_SF_jT4_jjP12ihipStream_tbEUlT_E0_NS1_11comp_targetILNS1_3genE4ELNS1_11target_archE910ELNS1_3gpuE8ELNS1_3repE0EEENS1_52radix_sort_onesweep_histogram_config_static_selectorELNS0_4arch9wavefront6targetE0EEEvSD_.has_dyn_sized_stack, 0
	.set _ZN7rocprim17ROCPRIM_400000_NS6detail17trampoline_kernelINS0_14default_configENS1_35radix_sort_onesweep_config_selectorIfNS0_10empty_typeEEEZNS1_34radix_sort_onesweep_global_offsetsIS3_Lb1EPKfPS5_mNS0_19identity_decomposerEEE10hipError_tT1_T2_PT3_SF_jT4_jjP12ihipStream_tbEUlT_E0_NS1_11comp_targetILNS1_3genE4ELNS1_11target_archE910ELNS1_3gpuE8ELNS1_3repE0EEENS1_52radix_sort_onesweep_histogram_config_static_selectorELNS0_4arch9wavefront6targetE0EEEvSD_.has_recursion, 0
	.set _ZN7rocprim17ROCPRIM_400000_NS6detail17trampoline_kernelINS0_14default_configENS1_35radix_sort_onesweep_config_selectorIfNS0_10empty_typeEEEZNS1_34radix_sort_onesweep_global_offsetsIS3_Lb1EPKfPS5_mNS0_19identity_decomposerEEE10hipError_tT1_T2_PT3_SF_jT4_jjP12ihipStream_tbEUlT_E0_NS1_11comp_targetILNS1_3genE4ELNS1_11target_archE910ELNS1_3gpuE8ELNS1_3repE0EEENS1_52radix_sort_onesweep_histogram_config_static_selectorELNS0_4arch9wavefront6targetE0EEEvSD_.has_indirect_call, 0
	.section	.AMDGPU.csdata,"",@progbits
; Kernel info:
; codeLenInByte = 0
; TotalNumSgprs: 0
; NumVgprs: 0
; ScratchSize: 0
; MemoryBound: 0
; FloatMode: 240
; IeeeMode: 1
; LDSByteSize: 0 bytes/workgroup (compile time only)
; SGPRBlocks: 0
; VGPRBlocks: 0
; NumSGPRsForWavesPerEU: 1
; NumVGPRsForWavesPerEU: 1
; NamedBarCnt: 0
; Occupancy: 16
; WaveLimiterHint : 0
; COMPUTE_PGM_RSRC2:SCRATCH_EN: 0
; COMPUTE_PGM_RSRC2:USER_SGPR: 2
; COMPUTE_PGM_RSRC2:TRAP_HANDLER: 0
; COMPUTE_PGM_RSRC2:TGID_X_EN: 1
; COMPUTE_PGM_RSRC2:TGID_Y_EN: 0
; COMPUTE_PGM_RSRC2:TGID_Z_EN: 0
; COMPUTE_PGM_RSRC2:TIDIG_COMP_CNT: 0
	.section	.text._ZN7rocprim17ROCPRIM_400000_NS6detail17trampoline_kernelINS0_14default_configENS1_35radix_sort_onesweep_config_selectorIfNS0_10empty_typeEEEZNS1_34radix_sort_onesweep_global_offsetsIS3_Lb1EPKfPS5_mNS0_19identity_decomposerEEE10hipError_tT1_T2_PT3_SF_jT4_jjP12ihipStream_tbEUlT_E0_NS1_11comp_targetILNS1_3genE3ELNS1_11target_archE908ELNS1_3gpuE7ELNS1_3repE0EEENS1_52radix_sort_onesweep_histogram_config_static_selectorELNS0_4arch9wavefront6targetE0EEEvSD_,"axG",@progbits,_ZN7rocprim17ROCPRIM_400000_NS6detail17trampoline_kernelINS0_14default_configENS1_35radix_sort_onesweep_config_selectorIfNS0_10empty_typeEEEZNS1_34radix_sort_onesweep_global_offsetsIS3_Lb1EPKfPS5_mNS0_19identity_decomposerEEE10hipError_tT1_T2_PT3_SF_jT4_jjP12ihipStream_tbEUlT_E0_NS1_11comp_targetILNS1_3genE3ELNS1_11target_archE908ELNS1_3gpuE7ELNS1_3repE0EEENS1_52radix_sort_onesweep_histogram_config_static_selectorELNS0_4arch9wavefront6targetE0EEEvSD_,comdat
	.protected	_ZN7rocprim17ROCPRIM_400000_NS6detail17trampoline_kernelINS0_14default_configENS1_35radix_sort_onesweep_config_selectorIfNS0_10empty_typeEEEZNS1_34radix_sort_onesweep_global_offsetsIS3_Lb1EPKfPS5_mNS0_19identity_decomposerEEE10hipError_tT1_T2_PT3_SF_jT4_jjP12ihipStream_tbEUlT_E0_NS1_11comp_targetILNS1_3genE3ELNS1_11target_archE908ELNS1_3gpuE7ELNS1_3repE0EEENS1_52radix_sort_onesweep_histogram_config_static_selectorELNS0_4arch9wavefront6targetE0EEEvSD_ ; -- Begin function _ZN7rocprim17ROCPRIM_400000_NS6detail17trampoline_kernelINS0_14default_configENS1_35radix_sort_onesweep_config_selectorIfNS0_10empty_typeEEEZNS1_34radix_sort_onesweep_global_offsetsIS3_Lb1EPKfPS5_mNS0_19identity_decomposerEEE10hipError_tT1_T2_PT3_SF_jT4_jjP12ihipStream_tbEUlT_E0_NS1_11comp_targetILNS1_3genE3ELNS1_11target_archE908ELNS1_3gpuE7ELNS1_3repE0EEENS1_52radix_sort_onesweep_histogram_config_static_selectorELNS0_4arch9wavefront6targetE0EEEvSD_
	.globl	_ZN7rocprim17ROCPRIM_400000_NS6detail17trampoline_kernelINS0_14default_configENS1_35radix_sort_onesweep_config_selectorIfNS0_10empty_typeEEEZNS1_34radix_sort_onesweep_global_offsetsIS3_Lb1EPKfPS5_mNS0_19identity_decomposerEEE10hipError_tT1_T2_PT3_SF_jT4_jjP12ihipStream_tbEUlT_E0_NS1_11comp_targetILNS1_3genE3ELNS1_11target_archE908ELNS1_3gpuE7ELNS1_3repE0EEENS1_52radix_sort_onesweep_histogram_config_static_selectorELNS0_4arch9wavefront6targetE0EEEvSD_
	.p2align	8
	.type	_ZN7rocprim17ROCPRIM_400000_NS6detail17trampoline_kernelINS0_14default_configENS1_35radix_sort_onesweep_config_selectorIfNS0_10empty_typeEEEZNS1_34radix_sort_onesweep_global_offsetsIS3_Lb1EPKfPS5_mNS0_19identity_decomposerEEE10hipError_tT1_T2_PT3_SF_jT4_jjP12ihipStream_tbEUlT_E0_NS1_11comp_targetILNS1_3genE3ELNS1_11target_archE908ELNS1_3gpuE7ELNS1_3repE0EEENS1_52radix_sort_onesweep_histogram_config_static_selectorELNS0_4arch9wavefront6targetE0EEEvSD_,@function
_ZN7rocprim17ROCPRIM_400000_NS6detail17trampoline_kernelINS0_14default_configENS1_35radix_sort_onesweep_config_selectorIfNS0_10empty_typeEEEZNS1_34radix_sort_onesweep_global_offsetsIS3_Lb1EPKfPS5_mNS0_19identity_decomposerEEE10hipError_tT1_T2_PT3_SF_jT4_jjP12ihipStream_tbEUlT_E0_NS1_11comp_targetILNS1_3genE3ELNS1_11target_archE908ELNS1_3gpuE7ELNS1_3repE0EEENS1_52radix_sort_onesweep_histogram_config_static_selectorELNS0_4arch9wavefront6targetE0EEEvSD_: ; @_ZN7rocprim17ROCPRIM_400000_NS6detail17trampoline_kernelINS0_14default_configENS1_35radix_sort_onesweep_config_selectorIfNS0_10empty_typeEEEZNS1_34radix_sort_onesweep_global_offsetsIS3_Lb1EPKfPS5_mNS0_19identity_decomposerEEE10hipError_tT1_T2_PT3_SF_jT4_jjP12ihipStream_tbEUlT_E0_NS1_11comp_targetILNS1_3genE3ELNS1_11target_archE908ELNS1_3gpuE7ELNS1_3repE0EEENS1_52radix_sort_onesweep_histogram_config_static_selectorELNS0_4arch9wavefront6targetE0EEEvSD_
; %bb.0:
	.section	.rodata,"a",@progbits
	.p2align	6, 0x0
	.amdhsa_kernel _ZN7rocprim17ROCPRIM_400000_NS6detail17trampoline_kernelINS0_14default_configENS1_35radix_sort_onesweep_config_selectorIfNS0_10empty_typeEEEZNS1_34radix_sort_onesweep_global_offsetsIS3_Lb1EPKfPS5_mNS0_19identity_decomposerEEE10hipError_tT1_T2_PT3_SF_jT4_jjP12ihipStream_tbEUlT_E0_NS1_11comp_targetILNS1_3genE3ELNS1_11target_archE908ELNS1_3gpuE7ELNS1_3repE0EEENS1_52radix_sort_onesweep_histogram_config_static_selectorELNS0_4arch9wavefront6targetE0EEEvSD_
		.amdhsa_group_segment_fixed_size 0
		.amdhsa_private_segment_fixed_size 0
		.amdhsa_kernarg_size 8
		.amdhsa_user_sgpr_count 2
		.amdhsa_user_sgpr_dispatch_ptr 0
		.amdhsa_user_sgpr_queue_ptr 0
		.amdhsa_user_sgpr_kernarg_segment_ptr 1
		.amdhsa_user_sgpr_dispatch_id 0
		.amdhsa_user_sgpr_kernarg_preload_length 0
		.amdhsa_user_sgpr_kernarg_preload_offset 0
		.amdhsa_user_sgpr_private_segment_size 0
		.amdhsa_wavefront_size32 1
		.amdhsa_uses_dynamic_stack 0
		.amdhsa_enable_private_segment 0
		.amdhsa_system_sgpr_workgroup_id_x 1
		.amdhsa_system_sgpr_workgroup_id_y 0
		.amdhsa_system_sgpr_workgroup_id_z 0
		.amdhsa_system_sgpr_workgroup_info 0
		.amdhsa_system_vgpr_workitem_id 0
		.amdhsa_next_free_vgpr 1
		.amdhsa_next_free_sgpr 1
		.amdhsa_named_barrier_count 0
		.amdhsa_reserve_vcc 0
		.amdhsa_float_round_mode_32 0
		.amdhsa_float_round_mode_16_64 0
		.amdhsa_float_denorm_mode_32 3
		.amdhsa_float_denorm_mode_16_64 3
		.amdhsa_fp16_overflow 0
		.amdhsa_memory_ordered 1
		.amdhsa_forward_progress 1
		.amdhsa_inst_pref_size 0
		.amdhsa_round_robin_scheduling 0
		.amdhsa_exception_fp_ieee_invalid_op 0
		.amdhsa_exception_fp_denorm_src 0
		.amdhsa_exception_fp_ieee_div_zero 0
		.amdhsa_exception_fp_ieee_overflow 0
		.amdhsa_exception_fp_ieee_underflow 0
		.amdhsa_exception_fp_ieee_inexact 0
		.amdhsa_exception_int_div_zero 0
	.end_amdhsa_kernel
	.section	.text._ZN7rocprim17ROCPRIM_400000_NS6detail17trampoline_kernelINS0_14default_configENS1_35radix_sort_onesweep_config_selectorIfNS0_10empty_typeEEEZNS1_34radix_sort_onesweep_global_offsetsIS3_Lb1EPKfPS5_mNS0_19identity_decomposerEEE10hipError_tT1_T2_PT3_SF_jT4_jjP12ihipStream_tbEUlT_E0_NS1_11comp_targetILNS1_3genE3ELNS1_11target_archE908ELNS1_3gpuE7ELNS1_3repE0EEENS1_52radix_sort_onesweep_histogram_config_static_selectorELNS0_4arch9wavefront6targetE0EEEvSD_,"axG",@progbits,_ZN7rocprim17ROCPRIM_400000_NS6detail17trampoline_kernelINS0_14default_configENS1_35radix_sort_onesweep_config_selectorIfNS0_10empty_typeEEEZNS1_34radix_sort_onesweep_global_offsetsIS3_Lb1EPKfPS5_mNS0_19identity_decomposerEEE10hipError_tT1_T2_PT3_SF_jT4_jjP12ihipStream_tbEUlT_E0_NS1_11comp_targetILNS1_3genE3ELNS1_11target_archE908ELNS1_3gpuE7ELNS1_3repE0EEENS1_52radix_sort_onesweep_histogram_config_static_selectorELNS0_4arch9wavefront6targetE0EEEvSD_,comdat
.Lfunc_end1307:
	.size	_ZN7rocprim17ROCPRIM_400000_NS6detail17trampoline_kernelINS0_14default_configENS1_35radix_sort_onesweep_config_selectorIfNS0_10empty_typeEEEZNS1_34radix_sort_onesweep_global_offsetsIS3_Lb1EPKfPS5_mNS0_19identity_decomposerEEE10hipError_tT1_T2_PT3_SF_jT4_jjP12ihipStream_tbEUlT_E0_NS1_11comp_targetILNS1_3genE3ELNS1_11target_archE908ELNS1_3gpuE7ELNS1_3repE0EEENS1_52radix_sort_onesweep_histogram_config_static_selectorELNS0_4arch9wavefront6targetE0EEEvSD_, .Lfunc_end1307-_ZN7rocprim17ROCPRIM_400000_NS6detail17trampoline_kernelINS0_14default_configENS1_35radix_sort_onesweep_config_selectorIfNS0_10empty_typeEEEZNS1_34radix_sort_onesweep_global_offsetsIS3_Lb1EPKfPS5_mNS0_19identity_decomposerEEE10hipError_tT1_T2_PT3_SF_jT4_jjP12ihipStream_tbEUlT_E0_NS1_11comp_targetILNS1_3genE3ELNS1_11target_archE908ELNS1_3gpuE7ELNS1_3repE0EEENS1_52radix_sort_onesweep_histogram_config_static_selectorELNS0_4arch9wavefront6targetE0EEEvSD_
                                        ; -- End function
	.set _ZN7rocprim17ROCPRIM_400000_NS6detail17trampoline_kernelINS0_14default_configENS1_35radix_sort_onesweep_config_selectorIfNS0_10empty_typeEEEZNS1_34radix_sort_onesweep_global_offsetsIS3_Lb1EPKfPS5_mNS0_19identity_decomposerEEE10hipError_tT1_T2_PT3_SF_jT4_jjP12ihipStream_tbEUlT_E0_NS1_11comp_targetILNS1_3genE3ELNS1_11target_archE908ELNS1_3gpuE7ELNS1_3repE0EEENS1_52radix_sort_onesweep_histogram_config_static_selectorELNS0_4arch9wavefront6targetE0EEEvSD_.num_vgpr, 0
	.set _ZN7rocprim17ROCPRIM_400000_NS6detail17trampoline_kernelINS0_14default_configENS1_35radix_sort_onesweep_config_selectorIfNS0_10empty_typeEEEZNS1_34radix_sort_onesweep_global_offsetsIS3_Lb1EPKfPS5_mNS0_19identity_decomposerEEE10hipError_tT1_T2_PT3_SF_jT4_jjP12ihipStream_tbEUlT_E0_NS1_11comp_targetILNS1_3genE3ELNS1_11target_archE908ELNS1_3gpuE7ELNS1_3repE0EEENS1_52radix_sort_onesweep_histogram_config_static_selectorELNS0_4arch9wavefront6targetE0EEEvSD_.num_agpr, 0
	.set _ZN7rocprim17ROCPRIM_400000_NS6detail17trampoline_kernelINS0_14default_configENS1_35radix_sort_onesweep_config_selectorIfNS0_10empty_typeEEEZNS1_34radix_sort_onesweep_global_offsetsIS3_Lb1EPKfPS5_mNS0_19identity_decomposerEEE10hipError_tT1_T2_PT3_SF_jT4_jjP12ihipStream_tbEUlT_E0_NS1_11comp_targetILNS1_3genE3ELNS1_11target_archE908ELNS1_3gpuE7ELNS1_3repE0EEENS1_52radix_sort_onesweep_histogram_config_static_selectorELNS0_4arch9wavefront6targetE0EEEvSD_.numbered_sgpr, 0
	.set _ZN7rocprim17ROCPRIM_400000_NS6detail17trampoline_kernelINS0_14default_configENS1_35radix_sort_onesweep_config_selectorIfNS0_10empty_typeEEEZNS1_34radix_sort_onesweep_global_offsetsIS3_Lb1EPKfPS5_mNS0_19identity_decomposerEEE10hipError_tT1_T2_PT3_SF_jT4_jjP12ihipStream_tbEUlT_E0_NS1_11comp_targetILNS1_3genE3ELNS1_11target_archE908ELNS1_3gpuE7ELNS1_3repE0EEENS1_52radix_sort_onesweep_histogram_config_static_selectorELNS0_4arch9wavefront6targetE0EEEvSD_.num_named_barrier, 0
	.set _ZN7rocprim17ROCPRIM_400000_NS6detail17trampoline_kernelINS0_14default_configENS1_35radix_sort_onesweep_config_selectorIfNS0_10empty_typeEEEZNS1_34radix_sort_onesweep_global_offsetsIS3_Lb1EPKfPS5_mNS0_19identity_decomposerEEE10hipError_tT1_T2_PT3_SF_jT4_jjP12ihipStream_tbEUlT_E0_NS1_11comp_targetILNS1_3genE3ELNS1_11target_archE908ELNS1_3gpuE7ELNS1_3repE0EEENS1_52radix_sort_onesweep_histogram_config_static_selectorELNS0_4arch9wavefront6targetE0EEEvSD_.private_seg_size, 0
	.set _ZN7rocprim17ROCPRIM_400000_NS6detail17trampoline_kernelINS0_14default_configENS1_35radix_sort_onesweep_config_selectorIfNS0_10empty_typeEEEZNS1_34radix_sort_onesweep_global_offsetsIS3_Lb1EPKfPS5_mNS0_19identity_decomposerEEE10hipError_tT1_T2_PT3_SF_jT4_jjP12ihipStream_tbEUlT_E0_NS1_11comp_targetILNS1_3genE3ELNS1_11target_archE908ELNS1_3gpuE7ELNS1_3repE0EEENS1_52radix_sort_onesweep_histogram_config_static_selectorELNS0_4arch9wavefront6targetE0EEEvSD_.uses_vcc, 0
	.set _ZN7rocprim17ROCPRIM_400000_NS6detail17trampoline_kernelINS0_14default_configENS1_35radix_sort_onesweep_config_selectorIfNS0_10empty_typeEEEZNS1_34radix_sort_onesweep_global_offsetsIS3_Lb1EPKfPS5_mNS0_19identity_decomposerEEE10hipError_tT1_T2_PT3_SF_jT4_jjP12ihipStream_tbEUlT_E0_NS1_11comp_targetILNS1_3genE3ELNS1_11target_archE908ELNS1_3gpuE7ELNS1_3repE0EEENS1_52radix_sort_onesweep_histogram_config_static_selectorELNS0_4arch9wavefront6targetE0EEEvSD_.uses_flat_scratch, 0
	.set _ZN7rocprim17ROCPRIM_400000_NS6detail17trampoline_kernelINS0_14default_configENS1_35radix_sort_onesweep_config_selectorIfNS0_10empty_typeEEEZNS1_34radix_sort_onesweep_global_offsetsIS3_Lb1EPKfPS5_mNS0_19identity_decomposerEEE10hipError_tT1_T2_PT3_SF_jT4_jjP12ihipStream_tbEUlT_E0_NS1_11comp_targetILNS1_3genE3ELNS1_11target_archE908ELNS1_3gpuE7ELNS1_3repE0EEENS1_52radix_sort_onesweep_histogram_config_static_selectorELNS0_4arch9wavefront6targetE0EEEvSD_.has_dyn_sized_stack, 0
	.set _ZN7rocprim17ROCPRIM_400000_NS6detail17trampoline_kernelINS0_14default_configENS1_35radix_sort_onesweep_config_selectorIfNS0_10empty_typeEEEZNS1_34radix_sort_onesweep_global_offsetsIS3_Lb1EPKfPS5_mNS0_19identity_decomposerEEE10hipError_tT1_T2_PT3_SF_jT4_jjP12ihipStream_tbEUlT_E0_NS1_11comp_targetILNS1_3genE3ELNS1_11target_archE908ELNS1_3gpuE7ELNS1_3repE0EEENS1_52radix_sort_onesweep_histogram_config_static_selectorELNS0_4arch9wavefront6targetE0EEEvSD_.has_recursion, 0
	.set _ZN7rocprim17ROCPRIM_400000_NS6detail17trampoline_kernelINS0_14default_configENS1_35radix_sort_onesweep_config_selectorIfNS0_10empty_typeEEEZNS1_34radix_sort_onesweep_global_offsetsIS3_Lb1EPKfPS5_mNS0_19identity_decomposerEEE10hipError_tT1_T2_PT3_SF_jT4_jjP12ihipStream_tbEUlT_E0_NS1_11comp_targetILNS1_3genE3ELNS1_11target_archE908ELNS1_3gpuE7ELNS1_3repE0EEENS1_52radix_sort_onesweep_histogram_config_static_selectorELNS0_4arch9wavefront6targetE0EEEvSD_.has_indirect_call, 0
	.section	.AMDGPU.csdata,"",@progbits
; Kernel info:
; codeLenInByte = 0
; TotalNumSgprs: 0
; NumVgprs: 0
; ScratchSize: 0
; MemoryBound: 0
; FloatMode: 240
; IeeeMode: 1
; LDSByteSize: 0 bytes/workgroup (compile time only)
; SGPRBlocks: 0
; VGPRBlocks: 0
; NumSGPRsForWavesPerEU: 1
; NumVGPRsForWavesPerEU: 1
; NamedBarCnt: 0
; Occupancy: 16
; WaveLimiterHint : 0
; COMPUTE_PGM_RSRC2:SCRATCH_EN: 0
; COMPUTE_PGM_RSRC2:USER_SGPR: 2
; COMPUTE_PGM_RSRC2:TRAP_HANDLER: 0
; COMPUTE_PGM_RSRC2:TGID_X_EN: 1
; COMPUTE_PGM_RSRC2:TGID_Y_EN: 0
; COMPUTE_PGM_RSRC2:TGID_Z_EN: 0
; COMPUTE_PGM_RSRC2:TIDIG_COMP_CNT: 0
	.section	.text._ZN7rocprim17ROCPRIM_400000_NS6detail17trampoline_kernelINS0_14default_configENS1_35radix_sort_onesweep_config_selectorIfNS0_10empty_typeEEEZNS1_34radix_sort_onesweep_global_offsetsIS3_Lb1EPKfPS5_mNS0_19identity_decomposerEEE10hipError_tT1_T2_PT3_SF_jT4_jjP12ihipStream_tbEUlT_E0_NS1_11comp_targetILNS1_3genE10ELNS1_11target_archE1201ELNS1_3gpuE5ELNS1_3repE0EEENS1_52radix_sort_onesweep_histogram_config_static_selectorELNS0_4arch9wavefront6targetE0EEEvSD_,"axG",@progbits,_ZN7rocprim17ROCPRIM_400000_NS6detail17trampoline_kernelINS0_14default_configENS1_35radix_sort_onesweep_config_selectorIfNS0_10empty_typeEEEZNS1_34radix_sort_onesweep_global_offsetsIS3_Lb1EPKfPS5_mNS0_19identity_decomposerEEE10hipError_tT1_T2_PT3_SF_jT4_jjP12ihipStream_tbEUlT_E0_NS1_11comp_targetILNS1_3genE10ELNS1_11target_archE1201ELNS1_3gpuE5ELNS1_3repE0EEENS1_52radix_sort_onesweep_histogram_config_static_selectorELNS0_4arch9wavefront6targetE0EEEvSD_,comdat
	.protected	_ZN7rocprim17ROCPRIM_400000_NS6detail17trampoline_kernelINS0_14default_configENS1_35radix_sort_onesweep_config_selectorIfNS0_10empty_typeEEEZNS1_34radix_sort_onesweep_global_offsetsIS3_Lb1EPKfPS5_mNS0_19identity_decomposerEEE10hipError_tT1_T2_PT3_SF_jT4_jjP12ihipStream_tbEUlT_E0_NS1_11comp_targetILNS1_3genE10ELNS1_11target_archE1201ELNS1_3gpuE5ELNS1_3repE0EEENS1_52radix_sort_onesweep_histogram_config_static_selectorELNS0_4arch9wavefront6targetE0EEEvSD_ ; -- Begin function _ZN7rocprim17ROCPRIM_400000_NS6detail17trampoline_kernelINS0_14default_configENS1_35radix_sort_onesweep_config_selectorIfNS0_10empty_typeEEEZNS1_34radix_sort_onesweep_global_offsetsIS3_Lb1EPKfPS5_mNS0_19identity_decomposerEEE10hipError_tT1_T2_PT3_SF_jT4_jjP12ihipStream_tbEUlT_E0_NS1_11comp_targetILNS1_3genE10ELNS1_11target_archE1201ELNS1_3gpuE5ELNS1_3repE0EEENS1_52radix_sort_onesweep_histogram_config_static_selectorELNS0_4arch9wavefront6targetE0EEEvSD_
	.globl	_ZN7rocprim17ROCPRIM_400000_NS6detail17trampoline_kernelINS0_14default_configENS1_35radix_sort_onesweep_config_selectorIfNS0_10empty_typeEEEZNS1_34radix_sort_onesweep_global_offsetsIS3_Lb1EPKfPS5_mNS0_19identity_decomposerEEE10hipError_tT1_T2_PT3_SF_jT4_jjP12ihipStream_tbEUlT_E0_NS1_11comp_targetILNS1_3genE10ELNS1_11target_archE1201ELNS1_3gpuE5ELNS1_3repE0EEENS1_52radix_sort_onesweep_histogram_config_static_selectorELNS0_4arch9wavefront6targetE0EEEvSD_
	.p2align	8
	.type	_ZN7rocprim17ROCPRIM_400000_NS6detail17trampoline_kernelINS0_14default_configENS1_35radix_sort_onesweep_config_selectorIfNS0_10empty_typeEEEZNS1_34radix_sort_onesweep_global_offsetsIS3_Lb1EPKfPS5_mNS0_19identity_decomposerEEE10hipError_tT1_T2_PT3_SF_jT4_jjP12ihipStream_tbEUlT_E0_NS1_11comp_targetILNS1_3genE10ELNS1_11target_archE1201ELNS1_3gpuE5ELNS1_3repE0EEENS1_52radix_sort_onesweep_histogram_config_static_selectorELNS0_4arch9wavefront6targetE0EEEvSD_,@function
_ZN7rocprim17ROCPRIM_400000_NS6detail17trampoline_kernelINS0_14default_configENS1_35radix_sort_onesweep_config_selectorIfNS0_10empty_typeEEEZNS1_34radix_sort_onesweep_global_offsetsIS3_Lb1EPKfPS5_mNS0_19identity_decomposerEEE10hipError_tT1_T2_PT3_SF_jT4_jjP12ihipStream_tbEUlT_E0_NS1_11comp_targetILNS1_3genE10ELNS1_11target_archE1201ELNS1_3gpuE5ELNS1_3repE0EEENS1_52radix_sort_onesweep_histogram_config_static_selectorELNS0_4arch9wavefront6targetE0EEEvSD_: ; @_ZN7rocprim17ROCPRIM_400000_NS6detail17trampoline_kernelINS0_14default_configENS1_35radix_sort_onesweep_config_selectorIfNS0_10empty_typeEEEZNS1_34radix_sort_onesweep_global_offsetsIS3_Lb1EPKfPS5_mNS0_19identity_decomposerEEE10hipError_tT1_T2_PT3_SF_jT4_jjP12ihipStream_tbEUlT_E0_NS1_11comp_targetILNS1_3genE10ELNS1_11target_archE1201ELNS1_3gpuE5ELNS1_3repE0EEENS1_52radix_sort_onesweep_histogram_config_static_selectorELNS0_4arch9wavefront6targetE0EEEvSD_
; %bb.0:
	.section	.rodata,"a",@progbits
	.p2align	6, 0x0
	.amdhsa_kernel _ZN7rocprim17ROCPRIM_400000_NS6detail17trampoline_kernelINS0_14default_configENS1_35radix_sort_onesweep_config_selectorIfNS0_10empty_typeEEEZNS1_34radix_sort_onesweep_global_offsetsIS3_Lb1EPKfPS5_mNS0_19identity_decomposerEEE10hipError_tT1_T2_PT3_SF_jT4_jjP12ihipStream_tbEUlT_E0_NS1_11comp_targetILNS1_3genE10ELNS1_11target_archE1201ELNS1_3gpuE5ELNS1_3repE0EEENS1_52radix_sort_onesweep_histogram_config_static_selectorELNS0_4arch9wavefront6targetE0EEEvSD_
		.amdhsa_group_segment_fixed_size 0
		.amdhsa_private_segment_fixed_size 0
		.amdhsa_kernarg_size 8
		.amdhsa_user_sgpr_count 2
		.amdhsa_user_sgpr_dispatch_ptr 0
		.amdhsa_user_sgpr_queue_ptr 0
		.amdhsa_user_sgpr_kernarg_segment_ptr 1
		.amdhsa_user_sgpr_dispatch_id 0
		.amdhsa_user_sgpr_kernarg_preload_length 0
		.amdhsa_user_sgpr_kernarg_preload_offset 0
		.amdhsa_user_sgpr_private_segment_size 0
		.amdhsa_wavefront_size32 1
		.amdhsa_uses_dynamic_stack 0
		.amdhsa_enable_private_segment 0
		.amdhsa_system_sgpr_workgroup_id_x 1
		.amdhsa_system_sgpr_workgroup_id_y 0
		.amdhsa_system_sgpr_workgroup_id_z 0
		.amdhsa_system_sgpr_workgroup_info 0
		.amdhsa_system_vgpr_workitem_id 0
		.amdhsa_next_free_vgpr 1
		.amdhsa_next_free_sgpr 1
		.amdhsa_named_barrier_count 0
		.amdhsa_reserve_vcc 0
		.amdhsa_float_round_mode_32 0
		.amdhsa_float_round_mode_16_64 0
		.amdhsa_float_denorm_mode_32 3
		.amdhsa_float_denorm_mode_16_64 3
		.amdhsa_fp16_overflow 0
		.amdhsa_memory_ordered 1
		.amdhsa_forward_progress 1
		.amdhsa_inst_pref_size 0
		.amdhsa_round_robin_scheduling 0
		.amdhsa_exception_fp_ieee_invalid_op 0
		.amdhsa_exception_fp_denorm_src 0
		.amdhsa_exception_fp_ieee_div_zero 0
		.amdhsa_exception_fp_ieee_overflow 0
		.amdhsa_exception_fp_ieee_underflow 0
		.amdhsa_exception_fp_ieee_inexact 0
		.amdhsa_exception_int_div_zero 0
	.end_amdhsa_kernel
	.section	.text._ZN7rocprim17ROCPRIM_400000_NS6detail17trampoline_kernelINS0_14default_configENS1_35radix_sort_onesweep_config_selectorIfNS0_10empty_typeEEEZNS1_34radix_sort_onesweep_global_offsetsIS3_Lb1EPKfPS5_mNS0_19identity_decomposerEEE10hipError_tT1_T2_PT3_SF_jT4_jjP12ihipStream_tbEUlT_E0_NS1_11comp_targetILNS1_3genE10ELNS1_11target_archE1201ELNS1_3gpuE5ELNS1_3repE0EEENS1_52radix_sort_onesweep_histogram_config_static_selectorELNS0_4arch9wavefront6targetE0EEEvSD_,"axG",@progbits,_ZN7rocprim17ROCPRIM_400000_NS6detail17trampoline_kernelINS0_14default_configENS1_35radix_sort_onesweep_config_selectorIfNS0_10empty_typeEEEZNS1_34radix_sort_onesweep_global_offsetsIS3_Lb1EPKfPS5_mNS0_19identity_decomposerEEE10hipError_tT1_T2_PT3_SF_jT4_jjP12ihipStream_tbEUlT_E0_NS1_11comp_targetILNS1_3genE10ELNS1_11target_archE1201ELNS1_3gpuE5ELNS1_3repE0EEENS1_52radix_sort_onesweep_histogram_config_static_selectorELNS0_4arch9wavefront6targetE0EEEvSD_,comdat
.Lfunc_end1308:
	.size	_ZN7rocprim17ROCPRIM_400000_NS6detail17trampoline_kernelINS0_14default_configENS1_35radix_sort_onesweep_config_selectorIfNS0_10empty_typeEEEZNS1_34radix_sort_onesweep_global_offsetsIS3_Lb1EPKfPS5_mNS0_19identity_decomposerEEE10hipError_tT1_T2_PT3_SF_jT4_jjP12ihipStream_tbEUlT_E0_NS1_11comp_targetILNS1_3genE10ELNS1_11target_archE1201ELNS1_3gpuE5ELNS1_3repE0EEENS1_52radix_sort_onesweep_histogram_config_static_selectorELNS0_4arch9wavefront6targetE0EEEvSD_, .Lfunc_end1308-_ZN7rocprim17ROCPRIM_400000_NS6detail17trampoline_kernelINS0_14default_configENS1_35radix_sort_onesweep_config_selectorIfNS0_10empty_typeEEEZNS1_34radix_sort_onesweep_global_offsetsIS3_Lb1EPKfPS5_mNS0_19identity_decomposerEEE10hipError_tT1_T2_PT3_SF_jT4_jjP12ihipStream_tbEUlT_E0_NS1_11comp_targetILNS1_3genE10ELNS1_11target_archE1201ELNS1_3gpuE5ELNS1_3repE0EEENS1_52radix_sort_onesweep_histogram_config_static_selectorELNS0_4arch9wavefront6targetE0EEEvSD_
                                        ; -- End function
	.set _ZN7rocprim17ROCPRIM_400000_NS6detail17trampoline_kernelINS0_14default_configENS1_35radix_sort_onesweep_config_selectorIfNS0_10empty_typeEEEZNS1_34radix_sort_onesweep_global_offsetsIS3_Lb1EPKfPS5_mNS0_19identity_decomposerEEE10hipError_tT1_T2_PT3_SF_jT4_jjP12ihipStream_tbEUlT_E0_NS1_11comp_targetILNS1_3genE10ELNS1_11target_archE1201ELNS1_3gpuE5ELNS1_3repE0EEENS1_52radix_sort_onesweep_histogram_config_static_selectorELNS0_4arch9wavefront6targetE0EEEvSD_.num_vgpr, 0
	.set _ZN7rocprim17ROCPRIM_400000_NS6detail17trampoline_kernelINS0_14default_configENS1_35radix_sort_onesweep_config_selectorIfNS0_10empty_typeEEEZNS1_34radix_sort_onesweep_global_offsetsIS3_Lb1EPKfPS5_mNS0_19identity_decomposerEEE10hipError_tT1_T2_PT3_SF_jT4_jjP12ihipStream_tbEUlT_E0_NS1_11comp_targetILNS1_3genE10ELNS1_11target_archE1201ELNS1_3gpuE5ELNS1_3repE0EEENS1_52radix_sort_onesweep_histogram_config_static_selectorELNS0_4arch9wavefront6targetE0EEEvSD_.num_agpr, 0
	.set _ZN7rocprim17ROCPRIM_400000_NS6detail17trampoline_kernelINS0_14default_configENS1_35radix_sort_onesweep_config_selectorIfNS0_10empty_typeEEEZNS1_34radix_sort_onesweep_global_offsetsIS3_Lb1EPKfPS5_mNS0_19identity_decomposerEEE10hipError_tT1_T2_PT3_SF_jT4_jjP12ihipStream_tbEUlT_E0_NS1_11comp_targetILNS1_3genE10ELNS1_11target_archE1201ELNS1_3gpuE5ELNS1_3repE0EEENS1_52radix_sort_onesweep_histogram_config_static_selectorELNS0_4arch9wavefront6targetE0EEEvSD_.numbered_sgpr, 0
	.set _ZN7rocprim17ROCPRIM_400000_NS6detail17trampoline_kernelINS0_14default_configENS1_35radix_sort_onesweep_config_selectorIfNS0_10empty_typeEEEZNS1_34radix_sort_onesweep_global_offsetsIS3_Lb1EPKfPS5_mNS0_19identity_decomposerEEE10hipError_tT1_T2_PT3_SF_jT4_jjP12ihipStream_tbEUlT_E0_NS1_11comp_targetILNS1_3genE10ELNS1_11target_archE1201ELNS1_3gpuE5ELNS1_3repE0EEENS1_52radix_sort_onesweep_histogram_config_static_selectorELNS0_4arch9wavefront6targetE0EEEvSD_.num_named_barrier, 0
	.set _ZN7rocprim17ROCPRIM_400000_NS6detail17trampoline_kernelINS0_14default_configENS1_35radix_sort_onesweep_config_selectorIfNS0_10empty_typeEEEZNS1_34radix_sort_onesweep_global_offsetsIS3_Lb1EPKfPS5_mNS0_19identity_decomposerEEE10hipError_tT1_T2_PT3_SF_jT4_jjP12ihipStream_tbEUlT_E0_NS1_11comp_targetILNS1_3genE10ELNS1_11target_archE1201ELNS1_3gpuE5ELNS1_3repE0EEENS1_52radix_sort_onesweep_histogram_config_static_selectorELNS0_4arch9wavefront6targetE0EEEvSD_.private_seg_size, 0
	.set _ZN7rocprim17ROCPRIM_400000_NS6detail17trampoline_kernelINS0_14default_configENS1_35radix_sort_onesweep_config_selectorIfNS0_10empty_typeEEEZNS1_34radix_sort_onesweep_global_offsetsIS3_Lb1EPKfPS5_mNS0_19identity_decomposerEEE10hipError_tT1_T2_PT3_SF_jT4_jjP12ihipStream_tbEUlT_E0_NS1_11comp_targetILNS1_3genE10ELNS1_11target_archE1201ELNS1_3gpuE5ELNS1_3repE0EEENS1_52radix_sort_onesweep_histogram_config_static_selectorELNS0_4arch9wavefront6targetE0EEEvSD_.uses_vcc, 0
	.set _ZN7rocprim17ROCPRIM_400000_NS6detail17trampoline_kernelINS0_14default_configENS1_35radix_sort_onesweep_config_selectorIfNS0_10empty_typeEEEZNS1_34radix_sort_onesweep_global_offsetsIS3_Lb1EPKfPS5_mNS0_19identity_decomposerEEE10hipError_tT1_T2_PT3_SF_jT4_jjP12ihipStream_tbEUlT_E0_NS1_11comp_targetILNS1_3genE10ELNS1_11target_archE1201ELNS1_3gpuE5ELNS1_3repE0EEENS1_52radix_sort_onesweep_histogram_config_static_selectorELNS0_4arch9wavefront6targetE0EEEvSD_.uses_flat_scratch, 0
	.set _ZN7rocprim17ROCPRIM_400000_NS6detail17trampoline_kernelINS0_14default_configENS1_35radix_sort_onesweep_config_selectorIfNS0_10empty_typeEEEZNS1_34radix_sort_onesweep_global_offsetsIS3_Lb1EPKfPS5_mNS0_19identity_decomposerEEE10hipError_tT1_T2_PT3_SF_jT4_jjP12ihipStream_tbEUlT_E0_NS1_11comp_targetILNS1_3genE10ELNS1_11target_archE1201ELNS1_3gpuE5ELNS1_3repE0EEENS1_52radix_sort_onesweep_histogram_config_static_selectorELNS0_4arch9wavefront6targetE0EEEvSD_.has_dyn_sized_stack, 0
	.set _ZN7rocprim17ROCPRIM_400000_NS6detail17trampoline_kernelINS0_14default_configENS1_35radix_sort_onesweep_config_selectorIfNS0_10empty_typeEEEZNS1_34radix_sort_onesweep_global_offsetsIS3_Lb1EPKfPS5_mNS0_19identity_decomposerEEE10hipError_tT1_T2_PT3_SF_jT4_jjP12ihipStream_tbEUlT_E0_NS1_11comp_targetILNS1_3genE10ELNS1_11target_archE1201ELNS1_3gpuE5ELNS1_3repE0EEENS1_52radix_sort_onesweep_histogram_config_static_selectorELNS0_4arch9wavefront6targetE0EEEvSD_.has_recursion, 0
	.set _ZN7rocprim17ROCPRIM_400000_NS6detail17trampoline_kernelINS0_14default_configENS1_35radix_sort_onesweep_config_selectorIfNS0_10empty_typeEEEZNS1_34radix_sort_onesweep_global_offsetsIS3_Lb1EPKfPS5_mNS0_19identity_decomposerEEE10hipError_tT1_T2_PT3_SF_jT4_jjP12ihipStream_tbEUlT_E0_NS1_11comp_targetILNS1_3genE10ELNS1_11target_archE1201ELNS1_3gpuE5ELNS1_3repE0EEENS1_52radix_sort_onesweep_histogram_config_static_selectorELNS0_4arch9wavefront6targetE0EEEvSD_.has_indirect_call, 0
	.section	.AMDGPU.csdata,"",@progbits
; Kernel info:
; codeLenInByte = 0
; TotalNumSgprs: 0
; NumVgprs: 0
; ScratchSize: 0
; MemoryBound: 0
; FloatMode: 240
; IeeeMode: 1
; LDSByteSize: 0 bytes/workgroup (compile time only)
; SGPRBlocks: 0
; VGPRBlocks: 0
; NumSGPRsForWavesPerEU: 1
; NumVGPRsForWavesPerEU: 1
; NamedBarCnt: 0
; Occupancy: 16
; WaveLimiterHint : 0
; COMPUTE_PGM_RSRC2:SCRATCH_EN: 0
; COMPUTE_PGM_RSRC2:USER_SGPR: 2
; COMPUTE_PGM_RSRC2:TRAP_HANDLER: 0
; COMPUTE_PGM_RSRC2:TGID_X_EN: 1
; COMPUTE_PGM_RSRC2:TGID_Y_EN: 0
; COMPUTE_PGM_RSRC2:TGID_Z_EN: 0
; COMPUTE_PGM_RSRC2:TIDIG_COMP_CNT: 0
	.section	.text._ZN7rocprim17ROCPRIM_400000_NS6detail17trampoline_kernelINS0_14default_configENS1_35radix_sort_onesweep_config_selectorIfNS0_10empty_typeEEEZNS1_34radix_sort_onesweep_global_offsetsIS3_Lb1EPKfPS5_mNS0_19identity_decomposerEEE10hipError_tT1_T2_PT3_SF_jT4_jjP12ihipStream_tbEUlT_E0_NS1_11comp_targetILNS1_3genE9ELNS1_11target_archE1100ELNS1_3gpuE3ELNS1_3repE0EEENS1_52radix_sort_onesweep_histogram_config_static_selectorELNS0_4arch9wavefront6targetE0EEEvSD_,"axG",@progbits,_ZN7rocprim17ROCPRIM_400000_NS6detail17trampoline_kernelINS0_14default_configENS1_35radix_sort_onesweep_config_selectorIfNS0_10empty_typeEEEZNS1_34radix_sort_onesweep_global_offsetsIS3_Lb1EPKfPS5_mNS0_19identity_decomposerEEE10hipError_tT1_T2_PT3_SF_jT4_jjP12ihipStream_tbEUlT_E0_NS1_11comp_targetILNS1_3genE9ELNS1_11target_archE1100ELNS1_3gpuE3ELNS1_3repE0EEENS1_52radix_sort_onesweep_histogram_config_static_selectorELNS0_4arch9wavefront6targetE0EEEvSD_,comdat
	.protected	_ZN7rocprim17ROCPRIM_400000_NS6detail17trampoline_kernelINS0_14default_configENS1_35radix_sort_onesweep_config_selectorIfNS0_10empty_typeEEEZNS1_34radix_sort_onesweep_global_offsetsIS3_Lb1EPKfPS5_mNS0_19identity_decomposerEEE10hipError_tT1_T2_PT3_SF_jT4_jjP12ihipStream_tbEUlT_E0_NS1_11comp_targetILNS1_3genE9ELNS1_11target_archE1100ELNS1_3gpuE3ELNS1_3repE0EEENS1_52radix_sort_onesweep_histogram_config_static_selectorELNS0_4arch9wavefront6targetE0EEEvSD_ ; -- Begin function _ZN7rocprim17ROCPRIM_400000_NS6detail17trampoline_kernelINS0_14default_configENS1_35radix_sort_onesweep_config_selectorIfNS0_10empty_typeEEEZNS1_34radix_sort_onesweep_global_offsetsIS3_Lb1EPKfPS5_mNS0_19identity_decomposerEEE10hipError_tT1_T2_PT3_SF_jT4_jjP12ihipStream_tbEUlT_E0_NS1_11comp_targetILNS1_3genE9ELNS1_11target_archE1100ELNS1_3gpuE3ELNS1_3repE0EEENS1_52radix_sort_onesweep_histogram_config_static_selectorELNS0_4arch9wavefront6targetE0EEEvSD_
	.globl	_ZN7rocprim17ROCPRIM_400000_NS6detail17trampoline_kernelINS0_14default_configENS1_35radix_sort_onesweep_config_selectorIfNS0_10empty_typeEEEZNS1_34radix_sort_onesweep_global_offsetsIS3_Lb1EPKfPS5_mNS0_19identity_decomposerEEE10hipError_tT1_T2_PT3_SF_jT4_jjP12ihipStream_tbEUlT_E0_NS1_11comp_targetILNS1_3genE9ELNS1_11target_archE1100ELNS1_3gpuE3ELNS1_3repE0EEENS1_52radix_sort_onesweep_histogram_config_static_selectorELNS0_4arch9wavefront6targetE0EEEvSD_
	.p2align	8
	.type	_ZN7rocprim17ROCPRIM_400000_NS6detail17trampoline_kernelINS0_14default_configENS1_35radix_sort_onesweep_config_selectorIfNS0_10empty_typeEEEZNS1_34radix_sort_onesweep_global_offsetsIS3_Lb1EPKfPS5_mNS0_19identity_decomposerEEE10hipError_tT1_T2_PT3_SF_jT4_jjP12ihipStream_tbEUlT_E0_NS1_11comp_targetILNS1_3genE9ELNS1_11target_archE1100ELNS1_3gpuE3ELNS1_3repE0EEENS1_52radix_sort_onesweep_histogram_config_static_selectorELNS0_4arch9wavefront6targetE0EEEvSD_,@function
_ZN7rocprim17ROCPRIM_400000_NS6detail17trampoline_kernelINS0_14default_configENS1_35radix_sort_onesweep_config_selectorIfNS0_10empty_typeEEEZNS1_34radix_sort_onesweep_global_offsetsIS3_Lb1EPKfPS5_mNS0_19identity_decomposerEEE10hipError_tT1_T2_PT3_SF_jT4_jjP12ihipStream_tbEUlT_E0_NS1_11comp_targetILNS1_3genE9ELNS1_11target_archE1100ELNS1_3gpuE3ELNS1_3repE0EEENS1_52radix_sort_onesweep_histogram_config_static_selectorELNS0_4arch9wavefront6targetE0EEEvSD_: ; @_ZN7rocprim17ROCPRIM_400000_NS6detail17trampoline_kernelINS0_14default_configENS1_35radix_sort_onesweep_config_selectorIfNS0_10empty_typeEEEZNS1_34radix_sort_onesweep_global_offsetsIS3_Lb1EPKfPS5_mNS0_19identity_decomposerEEE10hipError_tT1_T2_PT3_SF_jT4_jjP12ihipStream_tbEUlT_E0_NS1_11comp_targetILNS1_3genE9ELNS1_11target_archE1100ELNS1_3gpuE3ELNS1_3repE0EEENS1_52radix_sort_onesweep_histogram_config_static_selectorELNS0_4arch9wavefront6targetE0EEEvSD_
; %bb.0:
	.section	.rodata,"a",@progbits
	.p2align	6, 0x0
	.amdhsa_kernel _ZN7rocprim17ROCPRIM_400000_NS6detail17trampoline_kernelINS0_14default_configENS1_35radix_sort_onesweep_config_selectorIfNS0_10empty_typeEEEZNS1_34radix_sort_onesweep_global_offsetsIS3_Lb1EPKfPS5_mNS0_19identity_decomposerEEE10hipError_tT1_T2_PT3_SF_jT4_jjP12ihipStream_tbEUlT_E0_NS1_11comp_targetILNS1_3genE9ELNS1_11target_archE1100ELNS1_3gpuE3ELNS1_3repE0EEENS1_52radix_sort_onesweep_histogram_config_static_selectorELNS0_4arch9wavefront6targetE0EEEvSD_
		.amdhsa_group_segment_fixed_size 0
		.amdhsa_private_segment_fixed_size 0
		.amdhsa_kernarg_size 8
		.amdhsa_user_sgpr_count 2
		.amdhsa_user_sgpr_dispatch_ptr 0
		.amdhsa_user_sgpr_queue_ptr 0
		.amdhsa_user_sgpr_kernarg_segment_ptr 1
		.amdhsa_user_sgpr_dispatch_id 0
		.amdhsa_user_sgpr_kernarg_preload_length 0
		.amdhsa_user_sgpr_kernarg_preload_offset 0
		.amdhsa_user_sgpr_private_segment_size 0
		.amdhsa_wavefront_size32 1
		.amdhsa_uses_dynamic_stack 0
		.amdhsa_enable_private_segment 0
		.amdhsa_system_sgpr_workgroup_id_x 1
		.amdhsa_system_sgpr_workgroup_id_y 0
		.amdhsa_system_sgpr_workgroup_id_z 0
		.amdhsa_system_sgpr_workgroup_info 0
		.amdhsa_system_vgpr_workitem_id 0
		.amdhsa_next_free_vgpr 1
		.amdhsa_next_free_sgpr 1
		.amdhsa_named_barrier_count 0
		.amdhsa_reserve_vcc 0
		.amdhsa_float_round_mode_32 0
		.amdhsa_float_round_mode_16_64 0
		.amdhsa_float_denorm_mode_32 3
		.amdhsa_float_denorm_mode_16_64 3
		.amdhsa_fp16_overflow 0
		.amdhsa_memory_ordered 1
		.amdhsa_forward_progress 1
		.amdhsa_inst_pref_size 0
		.amdhsa_round_robin_scheduling 0
		.amdhsa_exception_fp_ieee_invalid_op 0
		.amdhsa_exception_fp_denorm_src 0
		.amdhsa_exception_fp_ieee_div_zero 0
		.amdhsa_exception_fp_ieee_overflow 0
		.amdhsa_exception_fp_ieee_underflow 0
		.amdhsa_exception_fp_ieee_inexact 0
		.amdhsa_exception_int_div_zero 0
	.end_amdhsa_kernel
	.section	.text._ZN7rocprim17ROCPRIM_400000_NS6detail17trampoline_kernelINS0_14default_configENS1_35radix_sort_onesweep_config_selectorIfNS0_10empty_typeEEEZNS1_34radix_sort_onesweep_global_offsetsIS3_Lb1EPKfPS5_mNS0_19identity_decomposerEEE10hipError_tT1_T2_PT3_SF_jT4_jjP12ihipStream_tbEUlT_E0_NS1_11comp_targetILNS1_3genE9ELNS1_11target_archE1100ELNS1_3gpuE3ELNS1_3repE0EEENS1_52radix_sort_onesweep_histogram_config_static_selectorELNS0_4arch9wavefront6targetE0EEEvSD_,"axG",@progbits,_ZN7rocprim17ROCPRIM_400000_NS6detail17trampoline_kernelINS0_14default_configENS1_35radix_sort_onesweep_config_selectorIfNS0_10empty_typeEEEZNS1_34radix_sort_onesweep_global_offsetsIS3_Lb1EPKfPS5_mNS0_19identity_decomposerEEE10hipError_tT1_T2_PT3_SF_jT4_jjP12ihipStream_tbEUlT_E0_NS1_11comp_targetILNS1_3genE9ELNS1_11target_archE1100ELNS1_3gpuE3ELNS1_3repE0EEENS1_52radix_sort_onesweep_histogram_config_static_selectorELNS0_4arch9wavefront6targetE0EEEvSD_,comdat
.Lfunc_end1309:
	.size	_ZN7rocprim17ROCPRIM_400000_NS6detail17trampoline_kernelINS0_14default_configENS1_35radix_sort_onesweep_config_selectorIfNS0_10empty_typeEEEZNS1_34radix_sort_onesweep_global_offsetsIS3_Lb1EPKfPS5_mNS0_19identity_decomposerEEE10hipError_tT1_T2_PT3_SF_jT4_jjP12ihipStream_tbEUlT_E0_NS1_11comp_targetILNS1_3genE9ELNS1_11target_archE1100ELNS1_3gpuE3ELNS1_3repE0EEENS1_52radix_sort_onesweep_histogram_config_static_selectorELNS0_4arch9wavefront6targetE0EEEvSD_, .Lfunc_end1309-_ZN7rocprim17ROCPRIM_400000_NS6detail17trampoline_kernelINS0_14default_configENS1_35radix_sort_onesweep_config_selectorIfNS0_10empty_typeEEEZNS1_34radix_sort_onesweep_global_offsetsIS3_Lb1EPKfPS5_mNS0_19identity_decomposerEEE10hipError_tT1_T2_PT3_SF_jT4_jjP12ihipStream_tbEUlT_E0_NS1_11comp_targetILNS1_3genE9ELNS1_11target_archE1100ELNS1_3gpuE3ELNS1_3repE0EEENS1_52radix_sort_onesweep_histogram_config_static_selectorELNS0_4arch9wavefront6targetE0EEEvSD_
                                        ; -- End function
	.set _ZN7rocprim17ROCPRIM_400000_NS6detail17trampoline_kernelINS0_14default_configENS1_35radix_sort_onesweep_config_selectorIfNS0_10empty_typeEEEZNS1_34radix_sort_onesweep_global_offsetsIS3_Lb1EPKfPS5_mNS0_19identity_decomposerEEE10hipError_tT1_T2_PT3_SF_jT4_jjP12ihipStream_tbEUlT_E0_NS1_11comp_targetILNS1_3genE9ELNS1_11target_archE1100ELNS1_3gpuE3ELNS1_3repE0EEENS1_52radix_sort_onesweep_histogram_config_static_selectorELNS0_4arch9wavefront6targetE0EEEvSD_.num_vgpr, 0
	.set _ZN7rocprim17ROCPRIM_400000_NS6detail17trampoline_kernelINS0_14default_configENS1_35radix_sort_onesweep_config_selectorIfNS0_10empty_typeEEEZNS1_34radix_sort_onesweep_global_offsetsIS3_Lb1EPKfPS5_mNS0_19identity_decomposerEEE10hipError_tT1_T2_PT3_SF_jT4_jjP12ihipStream_tbEUlT_E0_NS1_11comp_targetILNS1_3genE9ELNS1_11target_archE1100ELNS1_3gpuE3ELNS1_3repE0EEENS1_52radix_sort_onesweep_histogram_config_static_selectorELNS0_4arch9wavefront6targetE0EEEvSD_.num_agpr, 0
	.set _ZN7rocprim17ROCPRIM_400000_NS6detail17trampoline_kernelINS0_14default_configENS1_35radix_sort_onesweep_config_selectorIfNS0_10empty_typeEEEZNS1_34radix_sort_onesweep_global_offsetsIS3_Lb1EPKfPS5_mNS0_19identity_decomposerEEE10hipError_tT1_T2_PT3_SF_jT4_jjP12ihipStream_tbEUlT_E0_NS1_11comp_targetILNS1_3genE9ELNS1_11target_archE1100ELNS1_3gpuE3ELNS1_3repE0EEENS1_52radix_sort_onesweep_histogram_config_static_selectorELNS0_4arch9wavefront6targetE0EEEvSD_.numbered_sgpr, 0
	.set _ZN7rocprim17ROCPRIM_400000_NS6detail17trampoline_kernelINS0_14default_configENS1_35radix_sort_onesweep_config_selectorIfNS0_10empty_typeEEEZNS1_34radix_sort_onesweep_global_offsetsIS3_Lb1EPKfPS5_mNS0_19identity_decomposerEEE10hipError_tT1_T2_PT3_SF_jT4_jjP12ihipStream_tbEUlT_E0_NS1_11comp_targetILNS1_3genE9ELNS1_11target_archE1100ELNS1_3gpuE3ELNS1_3repE0EEENS1_52radix_sort_onesweep_histogram_config_static_selectorELNS0_4arch9wavefront6targetE0EEEvSD_.num_named_barrier, 0
	.set _ZN7rocprim17ROCPRIM_400000_NS6detail17trampoline_kernelINS0_14default_configENS1_35radix_sort_onesweep_config_selectorIfNS0_10empty_typeEEEZNS1_34radix_sort_onesweep_global_offsetsIS3_Lb1EPKfPS5_mNS0_19identity_decomposerEEE10hipError_tT1_T2_PT3_SF_jT4_jjP12ihipStream_tbEUlT_E0_NS1_11comp_targetILNS1_3genE9ELNS1_11target_archE1100ELNS1_3gpuE3ELNS1_3repE0EEENS1_52radix_sort_onesweep_histogram_config_static_selectorELNS0_4arch9wavefront6targetE0EEEvSD_.private_seg_size, 0
	.set _ZN7rocprim17ROCPRIM_400000_NS6detail17trampoline_kernelINS0_14default_configENS1_35radix_sort_onesweep_config_selectorIfNS0_10empty_typeEEEZNS1_34radix_sort_onesweep_global_offsetsIS3_Lb1EPKfPS5_mNS0_19identity_decomposerEEE10hipError_tT1_T2_PT3_SF_jT4_jjP12ihipStream_tbEUlT_E0_NS1_11comp_targetILNS1_3genE9ELNS1_11target_archE1100ELNS1_3gpuE3ELNS1_3repE0EEENS1_52radix_sort_onesweep_histogram_config_static_selectorELNS0_4arch9wavefront6targetE0EEEvSD_.uses_vcc, 0
	.set _ZN7rocprim17ROCPRIM_400000_NS6detail17trampoline_kernelINS0_14default_configENS1_35radix_sort_onesweep_config_selectorIfNS0_10empty_typeEEEZNS1_34radix_sort_onesweep_global_offsetsIS3_Lb1EPKfPS5_mNS0_19identity_decomposerEEE10hipError_tT1_T2_PT3_SF_jT4_jjP12ihipStream_tbEUlT_E0_NS1_11comp_targetILNS1_3genE9ELNS1_11target_archE1100ELNS1_3gpuE3ELNS1_3repE0EEENS1_52radix_sort_onesweep_histogram_config_static_selectorELNS0_4arch9wavefront6targetE0EEEvSD_.uses_flat_scratch, 0
	.set _ZN7rocprim17ROCPRIM_400000_NS6detail17trampoline_kernelINS0_14default_configENS1_35radix_sort_onesweep_config_selectorIfNS0_10empty_typeEEEZNS1_34radix_sort_onesweep_global_offsetsIS3_Lb1EPKfPS5_mNS0_19identity_decomposerEEE10hipError_tT1_T2_PT3_SF_jT4_jjP12ihipStream_tbEUlT_E0_NS1_11comp_targetILNS1_3genE9ELNS1_11target_archE1100ELNS1_3gpuE3ELNS1_3repE0EEENS1_52radix_sort_onesweep_histogram_config_static_selectorELNS0_4arch9wavefront6targetE0EEEvSD_.has_dyn_sized_stack, 0
	.set _ZN7rocprim17ROCPRIM_400000_NS6detail17trampoline_kernelINS0_14default_configENS1_35radix_sort_onesweep_config_selectorIfNS0_10empty_typeEEEZNS1_34radix_sort_onesweep_global_offsetsIS3_Lb1EPKfPS5_mNS0_19identity_decomposerEEE10hipError_tT1_T2_PT3_SF_jT4_jjP12ihipStream_tbEUlT_E0_NS1_11comp_targetILNS1_3genE9ELNS1_11target_archE1100ELNS1_3gpuE3ELNS1_3repE0EEENS1_52radix_sort_onesweep_histogram_config_static_selectorELNS0_4arch9wavefront6targetE0EEEvSD_.has_recursion, 0
	.set _ZN7rocprim17ROCPRIM_400000_NS6detail17trampoline_kernelINS0_14default_configENS1_35radix_sort_onesweep_config_selectorIfNS0_10empty_typeEEEZNS1_34radix_sort_onesweep_global_offsetsIS3_Lb1EPKfPS5_mNS0_19identity_decomposerEEE10hipError_tT1_T2_PT3_SF_jT4_jjP12ihipStream_tbEUlT_E0_NS1_11comp_targetILNS1_3genE9ELNS1_11target_archE1100ELNS1_3gpuE3ELNS1_3repE0EEENS1_52radix_sort_onesweep_histogram_config_static_selectorELNS0_4arch9wavefront6targetE0EEEvSD_.has_indirect_call, 0
	.section	.AMDGPU.csdata,"",@progbits
; Kernel info:
; codeLenInByte = 0
; TotalNumSgprs: 0
; NumVgprs: 0
; ScratchSize: 0
; MemoryBound: 0
; FloatMode: 240
; IeeeMode: 1
; LDSByteSize: 0 bytes/workgroup (compile time only)
; SGPRBlocks: 0
; VGPRBlocks: 0
; NumSGPRsForWavesPerEU: 1
; NumVGPRsForWavesPerEU: 1
; NamedBarCnt: 0
; Occupancy: 16
; WaveLimiterHint : 0
; COMPUTE_PGM_RSRC2:SCRATCH_EN: 0
; COMPUTE_PGM_RSRC2:USER_SGPR: 2
; COMPUTE_PGM_RSRC2:TRAP_HANDLER: 0
; COMPUTE_PGM_RSRC2:TGID_X_EN: 1
; COMPUTE_PGM_RSRC2:TGID_Y_EN: 0
; COMPUTE_PGM_RSRC2:TGID_Z_EN: 0
; COMPUTE_PGM_RSRC2:TIDIG_COMP_CNT: 0
	.section	.text._ZN7rocprim17ROCPRIM_400000_NS6detail17trampoline_kernelINS0_14default_configENS1_35radix_sort_onesweep_config_selectorIfNS0_10empty_typeEEEZNS1_34radix_sort_onesweep_global_offsetsIS3_Lb1EPKfPS5_mNS0_19identity_decomposerEEE10hipError_tT1_T2_PT3_SF_jT4_jjP12ihipStream_tbEUlT_E0_NS1_11comp_targetILNS1_3genE8ELNS1_11target_archE1030ELNS1_3gpuE2ELNS1_3repE0EEENS1_52radix_sort_onesweep_histogram_config_static_selectorELNS0_4arch9wavefront6targetE0EEEvSD_,"axG",@progbits,_ZN7rocprim17ROCPRIM_400000_NS6detail17trampoline_kernelINS0_14default_configENS1_35radix_sort_onesweep_config_selectorIfNS0_10empty_typeEEEZNS1_34radix_sort_onesweep_global_offsetsIS3_Lb1EPKfPS5_mNS0_19identity_decomposerEEE10hipError_tT1_T2_PT3_SF_jT4_jjP12ihipStream_tbEUlT_E0_NS1_11comp_targetILNS1_3genE8ELNS1_11target_archE1030ELNS1_3gpuE2ELNS1_3repE0EEENS1_52radix_sort_onesweep_histogram_config_static_selectorELNS0_4arch9wavefront6targetE0EEEvSD_,comdat
	.protected	_ZN7rocprim17ROCPRIM_400000_NS6detail17trampoline_kernelINS0_14default_configENS1_35radix_sort_onesweep_config_selectorIfNS0_10empty_typeEEEZNS1_34radix_sort_onesweep_global_offsetsIS3_Lb1EPKfPS5_mNS0_19identity_decomposerEEE10hipError_tT1_T2_PT3_SF_jT4_jjP12ihipStream_tbEUlT_E0_NS1_11comp_targetILNS1_3genE8ELNS1_11target_archE1030ELNS1_3gpuE2ELNS1_3repE0EEENS1_52radix_sort_onesweep_histogram_config_static_selectorELNS0_4arch9wavefront6targetE0EEEvSD_ ; -- Begin function _ZN7rocprim17ROCPRIM_400000_NS6detail17trampoline_kernelINS0_14default_configENS1_35radix_sort_onesweep_config_selectorIfNS0_10empty_typeEEEZNS1_34radix_sort_onesweep_global_offsetsIS3_Lb1EPKfPS5_mNS0_19identity_decomposerEEE10hipError_tT1_T2_PT3_SF_jT4_jjP12ihipStream_tbEUlT_E0_NS1_11comp_targetILNS1_3genE8ELNS1_11target_archE1030ELNS1_3gpuE2ELNS1_3repE0EEENS1_52radix_sort_onesweep_histogram_config_static_selectorELNS0_4arch9wavefront6targetE0EEEvSD_
	.globl	_ZN7rocprim17ROCPRIM_400000_NS6detail17trampoline_kernelINS0_14default_configENS1_35radix_sort_onesweep_config_selectorIfNS0_10empty_typeEEEZNS1_34radix_sort_onesweep_global_offsetsIS3_Lb1EPKfPS5_mNS0_19identity_decomposerEEE10hipError_tT1_T2_PT3_SF_jT4_jjP12ihipStream_tbEUlT_E0_NS1_11comp_targetILNS1_3genE8ELNS1_11target_archE1030ELNS1_3gpuE2ELNS1_3repE0EEENS1_52radix_sort_onesweep_histogram_config_static_selectorELNS0_4arch9wavefront6targetE0EEEvSD_
	.p2align	8
	.type	_ZN7rocprim17ROCPRIM_400000_NS6detail17trampoline_kernelINS0_14default_configENS1_35radix_sort_onesweep_config_selectorIfNS0_10empty_typeEEEZNS1_34radix_sort_onesweep_global_offsetsIS3_Lb1EPKfPS5_mNS0_19identity_decomposerEEE10hipError_tT1_T2_PT3_SF_jT4_jjP12ihipStream_tbEUlT_E0_NS1_11comp_targetILNS1_3genE8ELNS1_11target_archE1030ELNS1_3gpuE2ELNS1_3repE0EEENS1_52radix_sort_onesweep_histogram_config_static_selectorELNS0_4arch9wavefront6targetE0EEEvSD_,@function
_ZN7rocprim17ROCPRIM_400000_NS6detail17trampoline_kernelINS0_14default_configENS1_35radix_sort_onesweep_config_selectorIfNS0_10empty_typeEEEZNS1_34radix_sort_onesweep_global_offsetsIS3_Lb1EPKfPS5_mNS0_19identity_decomposerEEE10hipError_tT1_T2_PT3_SF_jT4_jjP12ihipStream_tbEUlT_E0_NS1_11comp_targetILNS1_3genE8ELNS1_11target_archE1030ELNS1_3gpuE2ELNS1_3repE0EEENS1_52radix_sort_onesweep_histogram_config_static_selectorELNS0_4arch9wavefront6targetE0EEEvSD_: ; @_ZN7rocprim17ROCPRIM_400000_NS6detail17trampoline_kernelINS0_14default_configENS1_35radix_sort_onesweep_config_selectorIfNS0_10empty_typeEEEZNS1_34radix_sort_onesweep_global_offsetsIS3_Lb1EPKfPS5_mNS0_19identity_decomposerEEE10hipError_tT1_T2_PT3_SF_jT4_jjP12ihipStream_tbEUlT_E0_NS1_11comp_targetILNS1_3genE8ELNS1_11target_archE1030ELNS1_3gpuE2ELNS1_3repE0EEENS1_52radix_sort_onesweep_histogram_config_static_selectorELNS0_4arch9wavefront6targetE0EEEvSD_
; %bb.0:
	.section	.rodata,"a",@progbits
	.p2align	6, 0x0
	.amdhsa_kernel _ZN7rocprim17ROCPRIM_400000_NS6detail17trampoline_kernelINS0_14default_configENS1_35radix_sort_onesweep_config_selectorIfNS0_10empty_typeEEEZNS1_34radix_sort_onesweep_global_offsetsIS3_Lb1EPKfPS5_mNS0_19identity_decomposerEEE10hipError_tT1_T2_PT3_SF_jT4_jjP12ihipStream_tbEUlT_E0_NS1_11comp_targetILNS1_3genE8ELNS1_11target_archE1030ELNS1_3gpuE2ELNS1_3repE0EEENS1_52radix_sort_onesweep_histogram_config_static_selectorELNS0_4arch9wavefront6targetE0EEEvSD_
		.amdhsa_group_segment_fixed_size 0
		.amdhsa_private_segment_fixed_size 0
		.amdhsa_kernarg_size 8
		.amdhsa_user_sgpr_count 2
		.amdhsa_user_sgpr_dispatch_ptr 0
		.amdhsa_user_sgpr_queue_ptr 0
		.amdhsa_user_sgpr_kernarg_segment_ptr 1
		.amdhsa_user_sgpr_dispatch_id 0
		.amdhsa_user_sgpr_kernarg_preload_length 0
		.amdhsa_user_sgpr_kernarg_preload_offset 0
		.amdhsa_user_sgpr_private_segment_size 0
		.amdhsa_wavefront_size32 1
		.amdhsa_uses_dynamic_stack 0
		.amdhsa_enable_private_segment 0
		.amdhsa_system_sgpr_workgroup_id_x 1
		.amdhsa_system_sgpr_workgroup_id_y 0
		.amdhsa_system_sgpr_workgroup_id_z 0
		.amdhsa_system_sgpr_workgroup_info 0
		.amdhsa_system_vgpr_workitem_id 0
		.amdhsa_next_free_vgpr 1
		.amdhsa_next_free_sgpr 1
		.amdhsa_named_barrier_count 0
		.amdhsa_reserve_vcc 0
		.amdhsa_float_round_mode_32 0
		.amdhsa_float_round_mode_16_64 0
		.amdhsa_float_denorm_mode_32 3
		.amdhsa_float_denorm_mode_16_64 3
		.amdhsa_fp16_overflow 0
		.amdhsa_memory_ordered 1
		.amdhsa_forward_progress 1
		.amdhsa_inst_pref_size 0
		.amdhsa_round_robin_scheduling 0
		.amdhsa_exception_fp_ieee_invalid_op 0
		.amdhsa_exception_fp_denorm_src 0
		.amdhsa_exception_fp_ieee_div_zero 0
		.amdhsa_exception_fp_ieee_overflow 0
		.amdhsa_exception_fp_ieee_underflow 0
		.amdhsa_exception_fp_ieee_inexact 0
		.amdhsa_exception_int_div_zero 0
	.end_amdhsa_kernel
	.section	.text._ZN7rocprim17ROCPRIM_400000_NS6detail17trampoline_kernelINS0_14default_configENS1_35radix_sort_onesweep_config_selectorIfNS0_10empty_typeEEEZNS1_34radix_sort_onesweep_global_offsetsIS3_Lb1EPKfPS5_mNS0_19identity_decomposerEEE10hipError_tT1_T2_PT3_SF_jT4_jjP12ihipStream_tbEUlT_E0_NS1_11comp_targetILNS1_3genE8ELNS1_11target_archE1030ELNS1_3gpuE2ELNS1_3repE0EEENS1_52radix_sort_onesweep_histogram_config_static_selectorELNS0_4arch9wavefront6targetE0EEEvSD_,"axG",@progbits,_ZN7rocprim17ROCPRIM_400000_NS6detail17trampoline_kernelINS0_14default_configENS1_35radix_sort_onesweep_config_selectorIfNS0_10empty_typeEEEZNS1_34radix_sort_onesweep_global_offsetsIS3_Lb1EPKfPS5_mNS0_19identity_decomposerEEE10hipError_tT1_T2_PT3_SF_jT4_jjP12ihipStream_tbEUlT_E0_NS1_11comp_targetILNS1_3genE8ELNS1_11target_archE1030ELNS1_3gpuE2ELNS1_3repE0EEENS1_52radix_sort_onesweep_histogram_config_static_selectorELNS0_4arch9wavefront6targetE0EEEvSD_,comdat
.Lfunc_end1310:
	.size	_ZN7rocprim17ROCPRIM_400000_NS6detail17trampoline_kernelINS0_14default_configENS1_35radix_sort_onesweep_config_selectorIfNS0_10empty_typeEEEZNS1_34radix_sort_onesweep_global_offsetsIS3_Lb1EPKfPS5_mNS0_19identity_decomposerEEE10hipError_tT1_T2_PT3_SF_jT4_jjP12ihipStream_tbEUlT_E0_NS1_11comp_targetILNS1_3genE8ELNS1_11target_archE1030ELNS1_3gpuE2ELNS1_3repE0EEENS1_52radix_sort_onesweep_histogram_config_static_selectorELNS0_4arch9wavefront6targetE0EEEvSD_, .Lfunc_end1310-_ZN7rocprim17ROCPRIM_400000_NS6detail17trampoline_kernelINS0_14default_configENS1_35radix_sort_onesweep_config_selectorIfNS0_10empty_typeEEEZNS1_34radix_sort_onesweep_global_offsetsIS3_Lb1EPKfPS5_mNS0_19identity_decomposerEEE10hipError_tT1_T2_PT3_SF_jT4_jjP12ihipStream_tbEUlT_E0_NS1_11comp_targetILNS1_3genE8ELNS1_11target_archE1030ELNS1_3gpuE2ELNS1_3repE0EEENS1_52radix_sort_onesweep_histogram_config_static_selectorELNS0_4arch9wavefront6targetE0EEEvSD_
                                        ; -- End function
	.set _ZN7rocprim17ROCPRIM_400000_NS6detail17trampoline_kernelINS0_14default_configENS1_35radix_sort_onesweep_config_selectorIfNS0_10empty_typeEEEZNS1_34radix_sort_onesweep_global_offsetsIS3_Lb1EPKfPS5_mNS0_19identity_decomposerEEE10hipError_tT1_T2_PT3_SF_jT4_jjP12ihipStream_tbEUlT_E0_NS1_11comp_targetILNS1_3genE8ELNS1_11target_archE1030ELNS1_3gpuE2ELNS1_3repE0EEENS1_52radix_sort_onesweep_histogram_config_static_selectorELNS0_4arch9wavefront6targetE0EEEvSD_.num_vgpr, 0
	.set _ZN7rocprim17ROCPRIM_400000_NS6detail17trampoline_kernelINS0_14default_configENS1_35radix_sort_onesweep_config_selectorIfNS0_10empty_typeEEEZNS1_34radix_sort_onesweep_global_offsetsIS3_Lb1EPKfPS5_mNS0_19identity_decomposerEEE10hipError_tT1_T2_PT3_SF_jT4_jjP12ihipStream_tbEUlT_E0_NS1_11comp_targetILNS1_3genE8ELNS1_11target_archE1030ELNS1_3gpuE2ELNS1_3repE0EEENS1_52radix_sort_onesweep_histogram_config_static_selectorELNS0_4arch9wavefront6targetE0EEEvSD_.num_agpr, 0
	.set _ZN7rocprim17ROCPRIM_400000_NS6detail17trampoline_kernelINS0_14default_configENS1_35radix_sort_onesweep_config_selectorIfNS0_10empty_typeEEEZNS1_34radix_sort_onesweep_global_offsetsIS3_Lb1EPKfPS5_mNS0_19identity_decomposerEEE10hipError_tT1_T2_PT3_SF_jT4_jjP12ihipStream_tbEUlT_E0_NS1_11comp_targetILNS1_3genE8ELNS1_11target_archE1030ELNS1_3gpuE2ELNS1_3repE0EEENS1_52radix_sort_onesweep_histogram_config_static_selectorELNS0_4arch9wavefront6targetE0EEEvSD_.numbered_sgpr, 0
	.set _ZN7rocprim17ROCPRIM_400000_NS6detail17trampoline_kernelINS0_14default_configENS1_35radix_sort_onesweep_config_selectorIfNS0_10empty_typeEEEZNS1_34radix_sort_onesweep_global_offsetsIS3_Lb1EPKfPS5_mNS0_19identity_decomposerEEE10hipError_tT1_T2_PT3_SF_jT4_jjP12ihipStream_tbEUlT_E0_NS1_11comp_targetILNS1_3genE8ELNS1_11target_archE1030ELNS1_3gpuE2ELNS1_3repE0EEENS1_52radix_sort_onesweep_histogram_config_static_selectorELNS0_4arch9wavefront6targetE0EEEvSD_.num_named_barrier, 0
	.set _ZN7rocprim17ROCPRIM_400000_NS6detail17trampoline_kernelINS0_14default_configENS1_35radix_sort_onesweep_config_selectorIfNS0_10empty_typeEEEZNS1_34radix_sort_onesweep_global_offsetsIS3_Lb1EPKfPS5_mNS0_19identity_decomposerEEE10hipError_tT1_T2_PT3_SF_jT4_jjP12ihipStream_tbEUlT_E0_NS1_11comp_targetILNS1_3genE8ELNS1_11target_archE1030ELNS1_3gpuE2ELNS1_3repE0EEENS1_52radix_sort_onesweep_histogram_config_static_selectorELNS0_4arch9wavefront6targetE0EEEvSD_.private_seg_size, 0
	.set _ZN7rocprim17ROCPRIM_400000_NS6detail17trampoline_kernelINS0_14default_configENS1_35radix_sort_onesweep_config_selectorIfNS0_10empty_typeEEEZNS1_34radix_sort_onesweep_global_offsetsIS3_Lb1EPKfPS5_mNS0_19identity_decomposerEEE10hipError_tT1_T2_PT3_SF_jT4_jjP12ihipStream_tbEUlT_E0_NS1_11comp_targetILNS1_3genE8ELNS1_11target_archE1030ELNS1_3gpuE2ELNS1_3repE0EEENS1_52radix_sort_onesweep_histogram_config_static_selectorELNS0_4arch9wavefront6targetE0EEEvSD_.uses_vcc, 0
	.set _ZN7rocprim17ROCPRIM_400000_NS6detail17trampoline_kernelINS0_14default_configENS1_35radix_sort_onesweep_config_selectorIfNS0_10empty_typeEEEZNS1_34radix_sort_onesweep_global_offsetsIS3_Lb1EPKfPS5_mNS0_19identity_decomposerEEE10hipError_tT1_T2_PT3_SF_jT4_jjP12ihipStream_tbEUlT_E0_NS1_11comp_targetILNS1_3genE8ELNS1_11target_archE1030ELNS1_3gpuE2ELNS1_3repE0EEENS1_52radix_sort_onesweep_histogram_config_static_selectorELNS0_4arch9wavefront6targetE0EEEvSD_.uses_flat_scratch, 0
	.set _ZN7rocprim17ROCPRIM_400000_NS6detail17trampoline_kernelINS0_14default_configENS1_35radix_sort_onesweep_config_selectorIfNS0_10empty_typeEEEZNS1_34radix_sort_onesweep_global_offsetsIS3_Lb1EPKfPS5_mNS0_19identity_decomposerEEE10hipError_tT1_T2_PT3_SF_jT4_jjP12ihipStream_tbEUlT_E0_NS1_11comp_targetILNS1_3genE8ELNS1_11target_archE1030ELNS1_3gpuE2ELNS1_3repE0EEENS1_52radix_sort_onesweep_histogram_config_static_selectorELNS0_4arch9wavefront6targetE0EEEvSD_.has_dyn_sized_stack, 0
	.set _ZN7rocprim17ROCPRIM_400000_NS6detail17trampoline_kernelINS0_14default_configENS1_35radix_sort_onesweep_config_selectorIfNS0_10empty_typeEEEZNS1_34radix_sort_onesweep_global_offsetsIS3_Lb1EPKfPS5_mNS0_19identity_decomposerEEE10hipError_tT1_T2_PT3_SF_jT4_jjP12ihipStream_tbEUlT_E0_NS1_11comp_targetILNS1_3genE8ELNS1_11target_archE1030ELNS1_3gpuE2ELNS1_3repE0EEENS1_52radix_sort_onesweep_histogram_config_static_selectorELNS0_4arch9wavefront6targetE0EEEvSD_.has_recursion, 0
	.set _ZN7rocprim17ROCPRIM_400000_NS6detail17trampoline_kernelINS0_14default_configENS1_35radix_sort_onesweep_config_selectorIfNS0_10empty_typeEEEZNS1_34radix_sort_onesweep_global_offsetsIS3_Lb1EPKfPS5_mNS0_19identity_decomposerEEE10hipError_tT1_T2_PT3_SF_jT4_jjP12ihipStream_tbEUlT_E0_NS1_11comp_targetILNS1_3genE8ELNS1_11target_archE1030ELNS1_3gpuE2ELNS1_3repE0EEENS1_52radix_sort_onesweep_histogram_config_static_selectorELNS0_4arch9wavefront6targetE0EEEvSD_.has_indirect_call, 0
	.section	.AMDGPU.csdata,"",@progbits
; Kernel info:
; codeLenInByte = 0
; TotalNumSgprs: 0
; NumVgprs: 0
; ScratchSize: 0
; MemoryBound: 0
; FloatMode: 240
; IeeeMode: 1
; LDSByteSize: 0 bytes/workgroup (compile time only)
; SGPRBlocks: 0
; VGPRBlocks: 0
; NumSGPRsForWavesPerEU: 1
; NumVGPRsForWavesPerEU: 1
; NamedBarCnt: 0
; Occupancy: 16
; WaveLimiterHint : 0
; COMPUTE_PGM_RSRC2:SCRATCH_EN: 0
; COMPUTE_PGM_RSRC2:USER_SGPR: 2
; COMPUTE_PGM_RSRC2:TRAP_HANDLER: 0
; COMPUTE_PGM_RSRC2:TGID_X_EN: 1
; COMPUTE_PGM_RSRC2:TGID_Y_EN: 0
; COMPUTE_PGM_RSRC2:TGID_Z_EN: 0
; COMPUTE_PGM_RSRC2:TIDIG_COMP_CNT: 0
	.section	.text._ZN7rocprim17ROCPRIM_400000_NS6detail17trampoline_kernelINS0_14default_configENS1_25transform_config_selectorIfLb1EEEZNS1_14transform_implILb1ES3_S5_PKfPfNS0_8identityIfEEEE10hipError_tT2_T3_mT4_P12ihipStream_tbEUlT_E_NS1_11comp_targetILNS1_3genE0ELNS1_11target_archE4294967295ELNS1_3gpuE0ELNS1_3repE0EEENS1_30default_config_static_selectorELNS0_4arch9wavefront6targetE0EEEvT1_,"axG",@progbits,_ZN7rocprim17ROCPRIM_400000_NS6detail17trampoline_kernelINS0_14default_configENS1_25transform_config_selectorIfLb1EEEZNS1_14transform_implILb1ES3_S5_PKfPfNS0_8identityIfEEEE10hipError_tT2_T3_mT4_P12ihipStream_tbEUlT_E_NS1_11comp_targetILNS1_3genE0ELNS1_11target_archE4294967295ELNS1_3gpuE0ELNS1_3repE0EEENS1_30default_config_static_selectorELNS0_4arch9wavefront6targetE0EEEvT1_,comdat
	.protected	_ZN7rocprim17ROCPRIM_400000_NS6detail17trampoline_kernelINS0_14default_configENS1_25transform_config_selectorIfLb1EEEZNS1_14transform_implILb1ES3_S5_PKfPfNS0_8identityIfEEEE10hipError_tT2_T3_mT4_P12ihipStream_tbEUlT_E_NS1_11comp_targetILNS1_3genE0ELNS1_11target_archE4294967295ELNS1_3gpuE0ELNS1_3repE0EEENS1_30default_config_static_selectorELNS0_4arch9wavefront6targetE0EEEvT1_ ; -- Begin function _ZN7rocprim17ROCPRIM_400000_NS6detail17trampoline_kernelINS0_14default_configENS1_25transform_config_selectorIfLb1EEEZNS1_14transform_implILb1ES3_S5_PKfPfNS0_8identityIfEEEE10hipError_tT2_T3_mT4_P12ihipStream_tbEUlT_E_NS1_11comp_targetILNS1_3genE0ELNS1_11target_archE4294967295ELNS1_3gpuE0ELNS1_3repE0EEENS1_30default_config_static_selectorELNS0_4arch9wavefront6targetE0EEEvT1_
	.globl	_ZN7rocprim17ROCPRIM_400000_NS6detail17trampoline_kernelINS0_14default_configENS1_25transform_config_selectorIfLb1EEEZNS1_14transform_implILb1ES3_S5_PKfPfNS0_8identityIfEEEE10hipError_tT2_T3_mT4_P12ihipStream_tbEUlT_E_NS1_11comp_targetILNS1_3genE0ELNS1_11target_archE4294967295ELNS1_3gpuE0ELNS1_3repE0EEENS1_30default_config_static_selectorELNS0_4arch9wavefront6targetE0EEEvT1_
	.p2align	8
	.type	_ZN7rocprim17ROCPRIM_400000_NS6detail17trampoline_kernelINS0_14default_configENS1_25transform_config_selectorIfLb1EEEZNS1_14transform_implILb1ES3_S5_PKfPfNS0_8identityIfEEEE10hipError_tT2_T3_mT4_P12ihipStream_tbEUlT_E_NS1_11comp_targetILNS1_3genE0ELNS1_11target_archE4294967295ELNS1_3gpuE0ELNS1_3repE0EEENS1_30default_config_static_selectorELNS0_4arch9wavefront6targetE0EEEvT1_,@function
_ZN7rocprim17ROCPRIM_400000_NS6detail17trampoline_kernelINS0_14default_configENS1_25transform_config_selectorIfLb1EEEZNS1_14transform_implILb1ES3_S5_PKfPfNS0_8identityIfEEEE10hipError_tT2_T3_mT4_P12ihipStream_tbEUlT_E_NS1_11comp_targetILNS1_3genE0ELNS1_11target_archE4294967295ELNS1_3gpuE0ELNS1_3repE0EEENS1_30default_config_static_selectorELNS0_4arch9wavefront6targetE0EEEvT1_: ; @_ZN7rocprim17ROCPRIM_400000_NS6detail17trampoline_kernelINS0_14default_configENS1_25transform_config_selectorIfLb1EEEZNS1_14transform_implILb1ES3_S5_PKfPfNS0_8identityIfEEEE10hipError_tT2_T3_mT4_P12ihipStream_tbEUlT_E_NS1_11comp_targetILNS1_3genE0ELNS1_11target_archE4294967295ELNS1_3gpuE0ELNS1_3repE0EEENS1_30default_config_static_selectorELNS0_4arch9wavefront6targetE0EEEvT1_
; %bb.0:
	s_clause 0x1
	s_load_b256 s[4:11], s[0:1], 0x0
	s_load_b32 s12, s[0:1], 0x28
	s_wait_xcnt 0x0
	s_bfe_u32 s0, ttmp6, 0x4000c
	s_and_b32 s2, ttmp6, 15
	s_add_co_i32 s0, s0, 1
	s_wait_kmcnt 0x0
	s_getreg_b32 s9, hwreg(HW_REG_IB_STS2, 6, 4)
	s_mul_i32 s0, ttmp9, s0
	s_mov_b32 s1, 0
	s_add_co_i32 s0, s2, s0
	s_lshl_b64 s[2:3], s[6:7], 2
	s_cmp_eq_u32 s9, 0
	s_add_nc_u64 s[6:7], s[4:5], s[2:3]
	s_cselect_b32 s13, ttmp9, s0
	s_add_co_i32 s12, s12, -1
	s_lshl_b32 s0, s13, 8
	s_add_nc_u64 s[2:3], s[10:11], s[2:3]
	s_lshl_b64 s[4:5], s[0:1], 2
	s_mov_b32 s9, -1
	s_cmp_lg_u32 s13, s12
	s_add_nc_u64 s[6:7], s[6:7], s[4:5]
	s_cbranch_scc0 .LBB1311_2
; %bb.1:
	global_load_b64 v[2:3], v0, s[6:7] scale_offset
	s_add_nc_u64 s[10:11], s[2:3], s[4:5]
	s_mov_b32 s9, 0
	s_wait_loadcnt 0x0
	global_store_b64 v0, v[2:3], s[10:11] scale_offset
.LBB1311_2:
	s_and_not1_b32 vcc_lo, exec_lo, s9
	s_cbranch_vccnz .LBB1311_11
; %bb.3:
	s_sub_co_i32 s1, s8, s0
	s_wait_xcnt 0x0
	v_mov_b64_e32 v[2:3], 0
	v_cmp_gt_u32_e32 vcc_lo, s1, v0
	s_and_saveexec_b32 s0, vcc_lo
	s_cbranch_execz .LBB1311_5
; %bb.4:
	global_load_b32 v2, v0, s[6:7] scale_offset
	v_mov_b32_e32 v3, 0
.LBB1311_5:
	s_wait_xcnt 0x0
	s_or_b32 exec_lo, exec_lo, s0
	v_or_b32_e32 v1, 0x80, v0
	s_delay_alu instid0(VALU_DEP_1) | instskip(SKIP_2) | instid1(SALU_CYCLE_1)
	v_cmp_gt_u32_e64 s0, s1, v1
	v_cmp_le_u32_e64 s1, s1, v1
	s_and_saveexec_b32 s8, s1
	s_xor_b32 s1, exec_lo, s8
	s_delay_alu instid0(SALU_CYCLE_1)
	s_and_not1_saveexec_b32 s1, s1
	s_cbranch_execz .LBB1311_7
; %bb.6:
	global_load_b32 v3, v0, s[6:7] offset:512 scale_offset
.LBB1311_7:
	s_wait_xcnt 0x0
	s_or_b32 exec_lo, exec_lo, s1
	v_dual_mov_b32 v1, 0 :: v_dual_lshlrev_b32 v0, 2, v0
	s_add_nc_u64 s[2:3], s[2:3], s[4:5]
	s_wait_loadcnt 0x0
	v_cndmask_b32_e32 v2, 0, v2, vcc_lo
	s_delay_alu instid0(VALU_DEP_2)
	v_add_nc_u64_e32 v[0:1], s[2:3], v[0:1]
	s_and_saveexec_b32 s1, vcc_lo
	s_cbranch_execz .LBB1311_9
; %bb.8:
	global_store_b32 v[0:1], v2, off
.LBB1311_9:
	s_wait_xcnt 0x0
	s_or_b32 exec_lo, exec_lo, s1
	s_and_saveexec_b32 s1, s0
	s_cbranch_execz .LBB1311_11
; %bb.10:
	v_cndmask_b32_e64 v2, 0, v3, s0
	global_store_b32 v[0:1], v2, off offset:512
.LBB1311_11:
	s_endpgm
	.section	.rodata,"a",@progbits
	.p2align	6, 0x0
	.amdhsa_kernel _ZN7rocprim17ROCPRIM_400000_NS6detail17trampoline_kernelINS0_14default_configENS1_25transform_config_selectorIfLb1EEEZNS1_14transform_implILb1ES3_S5_PKfPfNS0_8identityIfEEEE10hipError_tT2_T3_mT4_P12ihipStream_tbEUlT_E_NS1_11comp_targetILNS1_3genE0ELNS1_11target_archE4294967295ELNS1_3gpuE0ELNS1_3repE0EEENS1_30default_config_static_selectorELNS0_4arch9wavefront6targetE0EEEvT1_
		.amdhsa_group_segment_fixed_size 0
		.amdhsa_private_segment_fixed_size 0
		.amdhsa_kernarg_size 296
		.amdhsa_user_sgpr_count 2
		.amdhsa_user_sgpr_dispatch_ptr 0
		.amdhsa_user_sgpr_queue_ptr 0
		.amdhsa_user_sgpr_kernarg_segment_ptr 1
		.amdhsa_user_sgpr_dispatch_id 0
		.amdhsa_user_sgpr_kernarg_preload_length 0
		.amdhsa_user_sgpr_kernarg_preload_offset 0
		.amdhsa_user_sgpr_private_segment_size 0
		.amdhsa_wavefront_size32 1
		.amdhsa_uses_dynamic_stack 0
		.amdhsa_enable_private_segment 0
		.amdhsa_system_sgpr_workgroup_id_x 1
		.amdhsa_system_sgpr_workgroup_id_y 0
		.amdhsa_system_sgpr_workgroup_id_z 0
		.amdhsa_system_sgpr_workgroup_info 0
		.amdhsa_system_vgpr_workitem_id 0
		.amdhsa_next_free_vgpr 4
		.amdhsa_next_free_sgpr 14
		.amdhsa_named_barrier_count 0
		.amdhsa_reserve_vcc 1
		.amdhsa_float_round_mode_32 0
		.amdhsa_float_round_mode_16_64 0
		.amdhsa_float_denorm_mode_32 3
		.amdhsa_float_denorm_mode_16_64 3
		.amdhsa_fp16_overflow 0
		.amdhsa_memory_ordered 1
		.amdhsa_forward_progress 1
		.amdhsa_inst_pref_size 3
		.amdhsa_round_robin_scheduling 0
		.amdhsa_exception_fp_ieee_invalid_op 0
		.amdhsa_exception_fp_denorm_src 0
		.amdhsa_exception_fp_ieee_div_zero 0
		.amdhsa_exception_fp_ieee_overflow 0
		.amdhsa_exception_fp_ieee_underflow 0
		.amdhsa_exception_fp_ieee_inexact 0
		.amdhsa_exception_int_div_zero 0
	.end_amdhsa_kernel
	.section	.text._ZN7rocprim17ROCPRIM_400000_NS6detail17trampoline_kernelINS0_14default_configENS1_25transform_config_selectorIfLb1EEEZNS1_14transform_implILb1ES3_S5_PKfPfNS0_8identityIfEEEE10hipError_tT2_T3_mT4_P12ihipStream_tbEUlT_E_NS1_11comp_targetILNS1_3genE0ELNS1_11target_archE4294967295ELNS1_3gpuE0ELNS1_3repE0EEENS1_30default_config_static_selectorELNS0_4arch9wavefront6targetE0EEEvT1_,"axG",@progbits,_ZN7rocprim17ROCPRIM_400000_NS6detail17trampoline_kernelINS0_14default_configENS1_25transform_config_selectorIfLb1EEEZNS1_14transform_implILb1ES3_S5_PKfPfNS0_8identityIfEEEE10hipError_tT2_T3_mT4_P12ihipStream_tbEUlT_E_NS1_11comp_targetILNS1_3genE0ELNS1_11target_archE4294967295ELNS1_3gpuE0ELNS1_3repE0EEENS1_30default_config_static_selectorELNS0_4arch9wavefront6targetE0EEEvT1_,comdat
.Lfunc_end1311:
	.size	_ZN7rocprim17ROCPRIM_400000_NS6detail17trampoline_kernelINS0_14default_configENS1_25transform_config_selectorIfLb1EEEZNS1_14transform_implILb1ES3_S5_PKfPfNS0_8identityIfEEEE10hipError_tT2_T3_mT4_P12ihipStream_tbEUlT_E_NS1_11comp_targetILNS1_3genE0ELNS1_11target_archE4294967295ELNS1_3gpuE0ELNS1_3repE0EEENS1_30default_config_static_selectorELNS0_4arch9wavefront6targetE0EEEvT1_, .Lfunc_end1311-_ZN7rocprim17ROCPRIM_400000_NS6detail17trampoline_kernelINS0_14default_configENS1_25transform_config_selectorIfLb1EEEZNS1_14transform_implILb1ES3_S5_PKfPfNS0_8identityIfEEEE10hipError_tT2_T3_mT4_P12ihipStream_tbEUlT_E_NS1_11comp_targetILNS1_3genE0ELNS1_11target_archE4294967295ELNS1_3gpuE0ELNS1_3repE0EEENS1_30default_config_static_selectorELNS0_4arch9wavefront6targetE0EEEvT1_
                                        ; -- End function
	.set _ZN7rocprim17ROCPRIM_400000_NS6detail17trampoline_kernelINS0_14default_configENS1_25transform_config_selectorIfLb1EEEZNS1_14transform_implILb1ES3_S5_PKfPfNS0_8identityIfEEEE10hipError_tT2_T3_mT4_P12ihipStream_tbEUlT_E_NS1_11comp_targetILNS1_3genE0ELNS1_11target_archE4294967295ELNS1_3gpuE0ELNS1_3repE0EEENS1_30default_config_static_selectorELNS0_4arch9wavefront6targetE0EEEvT1_.num_vgpr, 4
	.set _ZN7rocprim17ROCPRIM_400000_NS6detail17trampoline_kernelINS0_14default_configENS1_25transform_config_selectorIfLb1EEEZNS1_14transform_implILb1ES3_S5_PKfPfNS0_8identityIfEEEE10hipError_tT2_T3_mT4_P12ihipStream_tbEUlT_E_NS1_11comp_targetILNS1_3genE0ELNS1_11target_archE4294967295ELNS1_3gpuE0ELNS1_3repE0EEENS1_30default_config_static_selectorELNS0_4arch9wavefront6targetE0EEEvT1_.num_agpr, 0
	.set _ZN7rocprim17ROCPRIM_400000_NS6detail17trampoline_kernelINS0_14default_configENS1_25transform_config_selectorIfLb1EEEZNS1_14transform_implILb1ES3_S5_PKfPfNS0_8identityIfEEEE10hipError_tT2_T3_mT4_P12ihipStream_tbEUlT_E_NS1_11comp_targetILNS1_3genE0ELNS1_11target_archE4294967295ELNS1_3gpuE0ELNS1_3repE0EEENS1_30default_config_static_selectorELNS0_4arch9wavefront6targetE0EEEvT1_.numbered_sgpr, 14
	.set _ZN7rocprim17ROCPRIM_400000_NS6detail17trampoline_kernelINS0_14default_configENS1_25transform_config_selectorIfLb1EEEZNS1_14transform_implILb1ES3_S5_PKfPfNS0_8identityIfEEEE10hipError_tT2_T3_mT4_P12ihipStream_tbEUlT_E_NS1_11comp_targetILNS1_3genE0ELNS1_11target_archE4294967295ELNS1_3gpuE0ELNS1_3repE0EEENS1_30default_config_static_selectorELNS0_4arch9wavefront6targetE0EEEvT1_.num_named_barrier, 0
	.set _ZN7rocprim17ROCPRIM_400000_NS6detail17trampoline_kernelINS0_14default_configENS1_25transform_config_selectorIfLb1EEEZNS1_14transform_implILb1ES3_S5_PKfPfNS0_8identityIfEEEE10hipError_tT2_T3_mT4_P12ihipStream_tbEUlT_E_NS1_11comp_targetILNS1_3genE0ELNS1_11target_archE4294967295ELNS1_3gpuE0ELNS1_3repE0EEENS1_30default_config_static_selectorELNS0_4arch9wavefront6targetE0EEEvT1_.private_seg_size, 0
	.set _ZN7rocprim17ROCPRIM_400000_NS6detail17trampoline_kernelINS0_14default_configENS1_25transform_config_selectorIfLb1EEEZNS1_14transform_implILb1ES3_S5_PKfPfNS0_8identityIfEEEE10hipError_tT2_T3_mT4_P12ihipStream_tbEUlT_E_NS1_11comp_targetILNS1_3genE0ELNS1_11target_archE4294967295ELNS1_3gpuE0ELNS1_3repE0EEENS1_30default_config_static_selectorELNS0_4arch9wavefront6targetE0EEEvT1_.uses_vcc, 1
	.set _ZN7rocprim17ROCPRIM_400000_NS6detail17trampoline_kernelINS0_14default_configENS1_25transform_config_selectorIfLb1EEEZNS1_14transform_implILb1ES3_S5_PKfPfNS0_8identityIfEEEE10hipError_tT2_T3_mT4_P12ihipStream_tbEUlT_E_NS1_11comp_targetILNS1_3genE0ELNS1_11target_archE4294967295ELNS1_3gpuE0ELNS1_3repE0EEENS1_30default_config_static_selectorELNS0_4arch9wavefront6targetE0EEEvT1_.uses_flat_scratch, 0
	.set _ZN7rocprim17ROCPRIM_400000_NS6detail17trampoline_kernelINS0_14default_configENS1_25transform_config_selectorIfLb1EEEZNS1_14transform_implILb1ES3_S5_PKfPfNS0_8identityIfEEEE10hipError_tT2_T3_mT4_P12ihipStream_tbEUlT_E_NS1_11comp_targetILNS1_3genE0ELNS1_11target_archE4294967295ELNS1_3gpuE0ELNS1_3repE0EEENS1_30default_config_static_selectorELNS0_4arch9wavefront6targetE0EEEvT1_.has_dyn_sized_stack, 0
	.set _ZN7rocprim17ROCPRIM_400000_NS6detail17trampoline_kernelINS0_14default_configENS1_25transform_config_selectorIfLb1EEEZNS1_14transform_implILb1ES3_S5_PKfPfNS0_8identityIfEEEE10hipError_tT2_T3_mT4_P12ihipStream_tbEUlT_E_NS1_11comp_targetILNS1_3genE0ELNS1_11target_archE4294967295ELNS1_3gpuE0ELNS1_3repE0EEENS1_30default_config_static_selectorELNS0_4arch9wavefront6targetE0EEEvT1_.has_recursion, 0
	.set _ZN7rocprim17ROCPRIM_400000_NS6detail17trampoline_kernelINS0_14default_configENS1_25transform_config_selectorIfLb1EEEZNS1_14transform_implILb1ES3_S5_PKfPfNS0_8identityIfEEEE10hipError_tT2_T3_mT4_P12ihipStream_tbEUlT_E_NS1_11comp_targetILNS1_3genE0ELNS1_11target_archE4294967295ELNS1_3gpuE0ELNS1_3repE0EEENS1_30default_config_static_selectorELNS0_4arch9wavefront6targetE0EEEvT1_.has_indirect_call, 0
	.section	.AMDGPU.csdata,"",@progbits
; Kernel info:
; codeLenInByte = 356
; TotalNumSgprs: 16
; NumVgprs: 4
; ScratchSize: 0
; MemoryBound: 0
; FloatMode: 240
; IeeeMode: 1
; LDSByteSize: 0 bytes/workgroup (compile time only)
; SGPRBlocks: 0
; VGPRBlocks: 0
; NumSGPRsForWavesPerEU: 16
; NumVGPRsForWavesPerEU: 4
; NamedBarCnt: 0
; Occupancy: 16
; WaveLimiterHint : 0
; COMPUTE_PGM_RSRC2:SCRATCH_EN: 0
; COMPUTE_PGM_RSRC2:USER_SGPR: 2
; COMPUTE_PGM_RSRC2:TRAP_HANDLER: 0
; COMPUTE_PGM_RSRC2:TGID_X_EN: 1
; COMPUTE_PGM_RSRC2:TGID_Y_EN: 0
; COMPUTE_PGM_RSRC2:TGID_Z_EN: 0
; COMPUTE_PGM_RSRC2:TIDIG_COMP_CNT: 0
	.section	.text._ZN7rocprim17ROCPRIM_400000_NS6detail17trampoline_kernelINS0_14default_configENS1_25transform_config_selectorIfLb1EEEZNS1_14transform_implILb1ES3_S5_PKfPfNS0_8identityIfEEEE10hipError_tT2_T3_mT4_P12ihipStream_tbEUlT_E_NS1_11comp_targetILNS1_3genE10ELNS1_11target_archE1201ELNS1_3gpuE5ELNS1_3repE0EEENS1_30default_config_static_selectorELNS0_4arch9wavefront6targetE0EEEvT1_,"axG",@progbits,_ZN7rocprim17ROCPRIM_400000_NS6detail17trampoline_kernelINS0_14default_configENS1_25transform_config_selectorIfLb1EEEZNS1_14transform_implILb1ES3_S5_PKfPfNS0_8identityIfEEEE10hipError_tT2_T3_mT4_P12ihipStream_tbEUlT_E_NS1_11comp_targetILNS1_3genE10ELNS1_11target_archE1201ELNS1_3gpuE5ELNS1_3repE0EEENS1_30default_config_static_selectorELNS0_4arch9wavefront6targetE0EEEvT1_,comdat
	.protected	_ZN7rocprim17ROCPRIM_400000_NS6detail17trampoline_kernelINS0_14default_configENS1_25transform_config_selectorIfLb1EEEZNS1_14transform_implILb1ES3_S5_PKfPfNS0_8identityIfEEEE10hipError_tT2_T3_mT4_P12ihipStream_tbEUlT_E_NS1_11comp_targetILNS1_3genE10ELNS1_11target_archE1201ELNS1_3gpuE5ELNS1_3repE0EEENS1_30default_config_static_selectorELNS0_4arch9wavefront6targetE0EEEvT1_ ; -- Begin function _ZN7rocprim17ROCPRIM_400000_NS6detail17trampoline_kernelINS0_14default_configENS1_25transform_config_selectorIfLb1EEEZNS1_14transform_implILb1ES3_S5_PKfPfNS0_8identityIfEEEE10hipError_tT2_T3_mT4_P12ihipStream_tbEUlT_E_NS1_11comp_targetILNS1_3genE10ELNS1_11target_archE1201ELNS1_3gpuE5ELNS1_3repE0EEENS1_30default_config_static_selectorELNS0_4arch9wavefront6targetE0EEEvT1_
	.globl	_ZN7rocprim17ROCPRIM_400000_NS6detail17trampoline_kernelINS0_14default_configENS1_25transform_config_selectorIfLb1EEEZNS1_14transform_implILb1ES3_S5_PKfPfNS0_8identityIfEEEE10hipError_tT2_T3_mT4_P12ihipStream_tbEUlT_E_NS1_11comp_targetILNS1_3genE10ELNS1_11target_archE1201ELNS1_3gpuE5ELNS1_3repE0EEENS1_30default_config_static_selectorELNS0_4arch9wavefront6targetE0EEEvT1_
	.p2align	8
	.type	_ZN7rocprim17ROCPRIM_400000_NS6detail17trampoline_kernelINS0_14default_configENS1_25transform_config_selectorIfLb1EEEZNS1_14transform_implILb1ES3_S5_PKfPfNS0_8identityIfEEEE10hipError_tT2_T3_mT4_P12ihipStream_tbEUlT_E_NS1_11comp_targetILNS1_3genE10ELNS1_11target_archE1201ELNS1_3gpuE5ELNS1_3repE0EEENS1_30default_config_static_selectorELNS0_4arch9wavefront6targetE0EEEvT1_,@function
_ZN7rocprim17ROCPRIM_400000_NS6detail17trampoline_kernelINS0_14default_configENS1_25transform_config_selectorIfLb1EEEZNS1_14transform_implILb1ES3_S5_PKfPfNS0_8identityIfEEEE10hipError_tT2_T3_mT4_P12ihipStream_tbEUlT_E_NS1_11comp_targetILNS1_3genE10ELNS1_11target_archE1201ELNS1_3gpuE5ELNS1_3repE0EEENS1_30default_config_static_selectorELNS0_4arch9wavefront6targetE0EEEvT1_: ; @_ZN7rocprim17ROCPRIM_400000_NS6detail17trampoline_kernelINS0_14default_configENS1_25transform_config_selectorIfLb1EEEZNS1_14transform_implILb1ES3_S5_PKfPfNS0_8identityIfEEEE10hipError_tT2_T3_mT4_P12ihipStream_tbEUlT_E_NS1_11comp_targetILNS1_3genE10ELNS1_11target_archE1201ELNS1_3gpuE5ELNS1_3repE0EEENS1_30default_config_static_selectorELNS0_4arch9wavefront6targetE0EEEvT1_
; %bb.0:
	.section	.rodata,"a",@progbits
	.p2align	6, 0x0
	.amdhsa_kernel _ZN7rocprim17ROCPRIM_400000_NS6detail17trampoline_kernelINS0_14default_configENS1_25transform_config_selectorIfLb1EEEZNS1_14transform_implILb1ES3_S5_PKfPfNS0_8identityIfEEEE10hipError_tT2_T3_mT4_P12ihipStream_tbEUlT_E_NS1_11comp_targetILNS1_3genE10ELNS1_11target_archE1201ELNS1_3gpuE5ELNS1_3repE0EEENS1_30default_config_static_selectorELNS0_4arch9wavefront6targetE0EEEvT1_
		.amdhsa_group_segment_fixed_size 0
		.amdhsa_private_segment_fixed_size 0
		.amdhsa_kernarg_size 40
		.amdhsa_user_sgpr_count 2
		.amdhsa_user_sgpr_dispatch_ptr 0
		.amdhsa_user_sgpr_queue_ptr 0
		.amdhsa_user_sgpr_kernarg_segment_ptr 1
		.amdhsa_user_sgpr_dispatch_id 0
		.amdhsa_user_sgpr_kernarg_preload_length 0
		.amdhsa_user_sgpr_kernarg_preload_offset 0
		.amdhsa_user_sgpr_private_segment_size 0
		.amdhsa_wavefront_size32 1
		.amdhsa_uses_dynamic_stack 0
		.amdhsa_enable_private_segment 0
		.amdhsa_system_sgpr_workgroup_id_x 1
		.amdhsa_system_sgpr_workgroup_id_y 0
		.amdhsa_system_sgpr_workgroup_id_z 0
		.amdhsa_system_sgpr_workgroup_info 0
		.amdhsa_system_vgpr_workitem_id 0
		.amdhsa_next_free_vgpr 1
		.amdhsa_next_free_sgpr 1
		.amdhsa_named_barrier_count 0
		.amdhsa_reserve_vcc 0
		.amdhsa_float_round_mode_32 0
		.amdhsa_float_round_mode_16_64 0
		.amdhsa_float_denorm_mode_32 3
		.amdhsa_float_denorm_mode_16_64 3
		.amdhsa_fp16_overflow 0
		.amdhsa_memory_ordered 1
		.amdhsa_forward_progress 1
		.amdhsa_inst_pref_size 0
		.amdhsa_round_robin_scheduling 0
		.amdhsa_exception_fp_ieee_invalid_op 0
		.amdhsa_exception_fp_denorm_src 0
		.amdhsa_exception_fp_ieee_div_zero 0
		.amdhsa_exception_fp_ieee_overflow 0
		.amdhsa_exception_fp_ieee_underflow 0
		.amdhsa_exception_fp_ieee_inexact 0
		.amdhsa_exception_int_div_zero 0
	.end_amdhsa_kernel
	.section	.text._ZN7rocprim17ROCPRIM_400000_NS6detail17trampoline_kernelINS0_14default_configENS1_25transform_config_selectorIfLb1EEEZNS1_14transform_implILb1ES3_S5_PKfPfNS0_8identityIfEEEE10hipError_tT2_T3_mT4_P12ihipStream_tbEUlT_E_NS1_11comp_targetILNS1_3genE10ELNS1_11target_archE1201ELNS1_3gpuE5ELNS1_3repE0EEENS1_30default_config_static_selectorELNS0_4arch9wavefront6targetE0EEEvT1_,"axG",@progbits,_ZN7rocprim17ROCPRIM_400000_NS6detail17trampoline_kernelINS0_14default_configENS1_25transform_config_selectorIfLb1EEEZNS1_14transform_implILb1ES3_S5_PKfPfNS0_8identityIfEEEE10hipError_tT2_T3_mT4_P12ihipStream_tbEUlT_E_NS1_11comp_targetILNS1_3genE10ELNS1_11target_archE1201ELNS1_3gpuE5ELNS1_3repE0EEENS1_30default_config_static_selectorELNS0_4arch9wavefront6targetE0EEEvT1_,comdat
.Lfunc_end1312:
	.size	_ZN7rocprim17ROCPRIM_400000_NS6detail17trampoline_kernelINS0_14default_configENS1_25transform_config_selectorIfLb1EEEZNS1_14transform_implILb1ES3_S5_PKfPfNS0_8identityIfEEEE10hipError_tT2_T3_mT4_P12ihipStream_tbEUlT_E_NS1_11comp_targetILNS1_3genE10ELNS1_11target_archE1201ELNS1_3gpuE5ELNS1_3repE0EEENS1_30default_config_static_selectorELNS0_4arch9wavefront6targetE0EEEvT1_, .Lfunc_end1312-_ZN7rocprim17ROCPRIM_400000_NS6detail17trampoline_kernelINS0_14default_configENS1_25transform_config_selectorIfLb1EEEZNS1_14transform_implILb1ES3_S5_PKfPfNS0_8identityIfEEEE10hipError_tT2_T3_mT4_P12ihipStream_tbEUlT_E_NS1_11comp_targetILNS1_3genE10ELNS1_11target_archE1201ELNS1_3gpuE5ELNS1_3repE0EEENS1_30default_config_static_selectorELNS0_4arch9wavefront6targetE0EEEvT1_
                                        ; -- End function
	.set _ZN7rocprim17ROCPRIM_400000_NS6detail17trampoline_kernelINS0_14default_configENS1_25transform_config_selectorIfLb1EEEZNS1_14transform_implILb1ES3_S5_PKfPfNS0_8identityIfEEEE10hipError_tT2_T3_mT4_P12ihipStream_tbEUlT_E_NS1_11comp_targetILNS1_3genE10ELNS1_11target_archE1201ELNS1_3gpuE5ELNS1_3repE0EEENS1_30default_config_static_selectorELNS0_4arch9wavefront6targetE0EEEvT1_.num_vgpr, 0
	.set _ZN7rocprim17ROCPRIM_400000_NS6detail17trampoline_kernelINS0_14default_configENS1_25transform_config_selectorIfLb1EEEZNS1_14transform_implILb1ES3_S5_PKfPfNS0_8identityIfEEEE10hipError_tT2_T3_mT4_P12ihipStream_tbEUlT_E_NS1_11comp_targetILNS1_3genE10ELNS1_11target_archE1201ELNS1_3gpuE5ELNS1_3repE0EEENS1_30default_config_static_selectorELNS0_4arch9wavefront6targetE0EEEvT1_.num_agpr, 0
	.set _ZN7rocprim17ROCPRIM_400000_NS6detail17trampoline_kernelINS0_14default_configENS1_25transform_config_selectorIfLb1EEEZNS1_14transform_implILb1ES3_S5_PKfPfNS0_8identityIfEEEE10hipError_tT2_T3_mT4_P12ihipStream_tbEUlT_E_NS1_11comp_targetILNS1_3genE10ELNS1_11target_archE1201ELNS1_3gpuE5ELNS1_3repE0EEENS1_30default_config_static_selectorELNS0_4arch9wavefront6targetE0EEEvT1_.numbered_sgpr, 0
	.set _ZN7rocprim17ROCPRIM_400000_NS6detail17trampoline_kernelINS0_14default_configENS1_25transform_config_selectorIfLb1EEEZNS1_14transform_implILb1ES3_S5_PKfPfNS0_8identityIfEEEE10hipError_tT2_T3_mT4_P12ihipStream_tbEUlT_E_NS1_11comp_targetILNS1_3genE10ELNS1_11target_archE1201ELNS1_3gpuE5ELNS1_3repE0EEENS1_30default_config_static_selectorELNS0_4arch9wavefront6targetE0EEEvT1_.num_named_barrier, 0
	.set _ZN7rocprim17ROCPRIM_400000_NS6detail17trampoline_kernelINS0_14default_configENS1_25transform_config_selectorIfLb1EEEZNS1_14transform_implILb1ES3_S5_PKfPfNS0_8identityIfEEEE10hipError_tT2_T3_mT4_P12ihipStream_tbEUlT_E_NS1_11comp_targetILNS1_3genE10ELNS1_11target_archE1201ELNS1_3gpuE5ELNS1_3repE0EEENS1_30default_config_static_selectorELNS0_4arch9wavefront6targetE0EEEvT1_.private_seg_size, 0
	.set _ZN7rocprim17ROCPRIM_400000_NS6detail17trampoline_kernelINS0_14default_configENS1_25transform_config_selectorIfLb1EEEZNS1_14transform_implILb1ES3_S5_PKfPfNS0_8identityIfEEEE10hipError_tT2_T3_mT4_P12ihipStream_tbEUlT_E_NS1_11comp_targetILNS1_3genE10ELNS1_11target_archE1201ELNS1_3gpuE5ELNS1_3repE0EEENS1_30default_config_static_selectorELNS0_4arch9wavefront6targetE0EEEvT1_.uses_vcc, 0
	.set _ZN7rocprim17ROCPRIM_400000_NS6detail17trampoline_kernelINS0_14default_configENS1_25transform_config_selectorIfLb1EEEZNS1_14transform_implILb1ES3_S5_PKfPfNS0_8identityIfEEEE10hipError_tT2_T3_mT4_P12ihipStream_tbEUlT_E_NS1_11comp_targetILNS1_3genE10ELNS1_11target_archE1201ELNS1_3gpuE5ELNS1_3repE0EEENS1_30default_config_static_selectorELNS0_4arch9wavefront6targetE0EEEvT1_.uses_flat_scratch, 0
	.set _ZN7rocprim17ROCPRIM_400000_NS6detail17trampoline_kernelINS0_14default_configENS1_25transform_config_selectorIfLb1EEEZNS1_14transform_implILb1ES3_S5_PKfPfNS0_8identityIfEEEE10hipError_tT2_T3_mT4_P12ihipStream_tbEUlT_E_NS1_11comp_targetILNS1_3genE10ELNS1_11target_archE1201ELNS1_3gpuE5ELNS1_3repE0EEENS1_30default_config_static_selectorELNS0_4arch9wavefront6targetE0EEEvT1_.has_dyn_sized_stack, 0
	.set _ZN7rocprim17ROCPRIM_400000_NS6detail17trampoline_kernelINS0_14default_configENS1_25transform_config_selectorIfLb1EEEZNS1_14transform_implILb1ES3_S5_PKfPfNS0_8identityIfEEEE10hipError_tT2_T3_mT4_P12ihipStream_tbEUlT_E_NS1_11comp_targetILNS1_3genE10ELNS1_11target_archE1201ELNS1_3gpuE5ELNS1_3repE0EEENS1_30default_config_static_selectorELNS0_4arch9wavefront6targetE0EEEvT1_.has_recursion, 0
	.set _ZN7rocprim17ROCPRIM_400000_NS6detail17trampoline_kernelINS0_14default_configENS1_25transform_config_selectorIfLb1EEEZNS1_14transform_implILb1ES3_S5_PKfPfNS0_8identityIfEEEE10hipError_tT2_T3_mT4_P12ihipStream_tbEUlT_E_NS1_11comp_targetILNS1_3genE10ELNS1_11target_archE1201ELNS1_3gpuE5ELNS1_3repE0EEENS1_30default_config_static_selectorELNS0_4arch9wavefront6targetE0EEEvT1_.has_indirect_call, 0
	.section	.AMDGPU.csdata,"",@progbits
; Kernel info:
; codeLenInByte = 0
; TotalNumSgprs: 0
; NumVgprs: 0
; ScratchSize: 0
; MemoryBound: 0
; FloatMode: 240
; IeeeMode: 1
; LDSByteSize: 0 bytes/workgroup (compile time only)
; SGPRBlocks: 0
; VGPRBlocks: 0
; NumSGPRsForWavesPerEU: 1
; NumVGPRsForWavesPerEU: 1
; NamedBarCnt: 0
; Occupancy: 16
; WaveLimiterHint : 0
; COMPUTE_PGM_RSRC2:SCRATCH_EN: 0
; COMPUTE_PGM_RSRC2:USER_SGPR: 2
; COMPUTE_PGM_RSRC2:TRAP_HANDLER: 0
; COMPUTE_PGM_RSRC2:TGID_X_EN: 1
; COMPUTE_PGM_RSRC2:TGID_Y_EN: 0
; COMPUTE_PGM_RSRC2:TGID_Z_EN: 0
; COMPUTE_PGM_RSRC2:TIDIG_COMP_CNT: 0
	.section	.text._ZN7rocprim17ROCPRIM_400000_NS6detail17trampoline_kernelINS0_14default_configENS1_25transform_config_selectorIfLb1EEEZNS1_14transform_implILb1ES3_S5_PKfPfNS0_8identityIfEEEE10hipError_tT2_T3_mT4_P12ihipStream_tbEUlT_E_NS1_11comp_targetILNS1_3genE5ELNS1_11target_archE942ELNS1_3gpuE9ELNS1_3repE0EEENS1_30default_config_static_selectorELNS0_4arch9wavefront6targetE0EEEvT1_,"axG",@progbits,_ZN7rocprim17ROCPRIM_400000_NS6detail17trampoline_kernelINS0_14default_configENS1_25transform_config_selectorIfLb1EEEZNS1_14transform_implILb1ES3_S5_PKfPfNS0_8identityIfEEEE10hipError_tT2_T3_mT4_P12ihipStream_tbEUlT_E_NS1_11comp_targetILNS1_3genE5ELNS1_11target_archE942ELNS1_3gpuE9ELNS1_3repE0EEENS1_30default_config_static_selectorELNS0_4arch9wavefront6targetE0EEEvT1_,comdat
	.protected	_ZN7rocprim17ROCPRIM_400000_NS6detail17trampoline_kernelINS0_14default_configENS1_25transform_config_selectorIfLb1EEEZNS1_14transform_implILb1ES3_S5_PKfPfNS0_8identityIfEEEE10hipError_tT2_T3_mT4_P12ihipStream_tbEUlT_E_NS1_11comp_targetILNS1_3genE5ELNS1_11target_archE942ELNS1_3gpuE9ELNS1_3repE0EEENS1_30default_config_static_selectorELNS0_4arch9wavefront6targetE0EEEvT1_ ; -- Begin function _ZN7rocprim17ROCPRIM_400000_NS6detail17trampoline_kernelINS0_14default_configENS1_25transform_config_selectorIfLb1EEEZNS1_14transform_implILb1ES3_S5_PKfPfNS0_8identityIfEEEE10hipError_tT2_T3_mT4_P12ihipStream_tbEUlT_E_NS1_11comp_targetILNS1_3genE5ELNS1_11target_archE942ELNS1_3gpuE9ELNS1_3repE0EEENS1_30default_config_static_selectorELNS0_4arch9wavefront6targetE0EEEvT1_
	.globl	_ZN7rocprim17ROCPRIM_400000_NS6detail17trampoline_kernelINS0_14default_configENS1_25transform_config_selectorIfLb1EEEZNS1_14transform_implILb1ES3_S5_PKfPfNS0_8identityIfEEEE10hipError_tT2_T3_mT4_P12ihipStream_tbEUlT_E_NS1_11comp_targetILNS1_3genE5ELNS1_11target_archE942ELNS1_3gpuE9ELNS1_3repE0EEENS1_30default_config_static_selectorELNS0_4arch9wavefront6targetE0EEEvT1_
	.p2align	8
	.type	_ZN7rocprim17ROCPRIM_400000_NS6detail17trampoline_kernelINS0_14default_configENS1_25transform_config_selectorIfLb1EEEZNS1_14transform_implILb1ES3_S5_PKfPfNS0_8identityIfEEEE10hipError_tT2_T3_mT4_P12ihipStream_tbEUlT_E_NS1_11comp_targetILNS1_3genE5ELNS1_11target_archE942ELNS1_3gpuE9ELNS1_3repE0EEENS1_30default_config_static_selectorELNS0_4arch9wavefront6targetE0EEEvT1_,@function
_ZN7rocprim17ROCPRIM_400000_NS6detail17trampoline_kernelINS0_14default_configENS1_25transform_config_selectorIfLb1EEEZNS1_14transform_implILb1ES3_S5_PKfPfNS0_8identityIfEEEE10hipError_tT2_T3_mT4_P12ihipStream_tbEUlT_E_NS1_11comp_targetILNS1_3genE5ELNS1_11target_archE942ELNS1_3gpuE9ELNS1_3repE0EEENS1_30default_config_static_selectorELNS0_4arch9wavefront6targetE0EEEvT1_: ; @_ZN7rocprim17ROCPRIM_400000_NS6detail17trampoline_kernelINS0_14default_configENS1_25transform_config_selectorIfLb1EEEZNS1_14transform_implILb1ES3_S5_PKfPfNS0_8identityIfEEEE10hipError_tT2_T3_mT4_P12ihipStream_tbEUlT_E_NS1_11comp_targetILNS1_3genE5ELNS1_11target_archE942ELNS1_3gpuE9ELNS1_3repE0EEENS1_30default_config_static_selectorELNS0_4arch9wavefront6targetE0EEEvT1_
; %bb.0:
	.section	.rodata,"a",@progbits
	.p2align	6, 0x0
	.amdhsa_kernel _ZN7rocprim17ROCPRIM_400000_NS6detail17trampoline_kernelINS0_14default_configENS1_25transform_config_selectorIfLb1EEEZNS1_14transform_implILb1ES3_S5_PKfPfNS0_8identityIfEEEE10hipError_tT2_T3_mT4_P12ihipStream_tbEUlT_E_NS1_11comp_targetILNS1_3genE5ELNS1_11target_archE942ELNS1_3gpuE9ELNS1_3repE0EEENS1_30default_config_static_selectorELNS0_4arch9wavefront6targetE0EEEvT1_
		.amdhsa_group_segment_fixed_size 0
		.amdhsa_private_segment_fixed_size 0
		.amdhsa_kernarg_size 40
		.amdhsa_user_sgpr_count 2
		.amdhsa_user_sgpr_dispatch_ptr 0
		.amdhsa_user_sgpr_queue_ptr 0
		.amdhsa_user_sgpr_kernarg_segment_ptr 1
		.amdhsa_user_sgpr_dispatch_id 0
		.amdhsa_user_sgpr_kernarg_preload_length 0
		.amdhsa_user_sgpr_kernarg_preload_offset 0
		.amdhsa_user_sgpr_private_segment_size 0
		.amdhsa_wavefront_size32 1
		.amdhsa_uses_dynamic_stack 0
		.amdhsa_enable_private_segment 0
		.amdhsa_system_sgpr_workgroup_id_x 1
		.amdhsa_system_sgpr_workgroup_id_y 0
		.amdhsa_system_sgpr_workgroup_id_z 0
		.amdhsa_system_sgpr_workgroup_info 0
		.amdhsa_system_vgpr_workitem_id 0
		.amdhsa_next_free_vgpr 1
		.amdhsa_next_free_sgpr 1
		.amdhsa_named_barrier_count 0
		.amdhsa_reserve_vcc 0
		.amdhsa_float_round_mode_32 0
		.amdhsa_float_round_mode_16_64 0
		.amdhsa_float_denorm_mode_32 3
		.amdhsa_float_denorm_mode_16_64 3
		.amdhsa_fp16_overflow 0
		.amdhsa_memory_ordered 1
		.amdhsa_forward_progress 1
		.amdhsa_inst_pref_size 0
		.amdhsa_round_robin_scheduling 0
		.amdhsa_exception_fp_ieee_invalid_op 0
		.amdhsa_exception_fp_denorm_src 0
		.amdhsa_exception_fp_ieee_div_zero 0
		.amdhsa_exception_fp_ieee_overflow 0
		.amdhsa_exception_fp_ieee_underflow 0
		.amdhsa_exception_fp_ieee_inexact 0
		.amdhsa_exception_int_div_zero 0
	.end_amdhsa_kernel
	.section	.text._ZN7rocprim17ROCPRIM_400000_NS6detail17trampoline_kernelINS0_14default_configENS1_25transform_config_selectorIfLb1EEEZNS1_14transform_implILb1ES3_S5_PKfPfNS0_8identityIfEEEE10hipError_tT2_T3_mT4_P12ihipStream_tbEUlT_E_NS1_11comp_targetILNS1_3genE5ELNS1_11target_archE942ELNS1_3gpuE9ELNS1_3repE0EEENS1_30default_config_static_selectorELNS0_4arch9wavefront6targetE0EEEvT1_,"axG",@progbits,_ZN7rocprim17ROCPRIM_400000_NS6detail17trampoline_kernelINS0_14default_configENS1_25transform_config_selectorIfLb1EEEZNS1_14transform_implILb1ES3_S5_PKfPfNS0_8identityIfEEEE10hipError_tT2_T3_mT4_P12ihipStream_tbEUlT_E_NS1_11comp_targetILNS1_3genE5ELNS1_11target_archE942ELNS1_3gpuE9ELNS1_3repE0EEENS1_30default_config_static_selectorELNS0_4arch9wavefront6targetE0EEEvT1_,comdat
.Lfunc_end1313:
	.size	_ZN7rocprim17ROCPRIM_400000_NS6detail17trampoline_kernelINS0_14default_configENS1_25transform_config_selectorIfLb1EEEZNS1_14transform_implILb1ES3_S5_PKfPfNS0_8identityIfEEEE10hipError_tT2_T3_mT4_P12ihipStream_tbEUlT_E_NS1_11comp_targetILNS1_3genE5ELNS1_11target_archE942ELNS1_3gpuE9ELNS1_3repE0EEENS1_30default_config_static_selectorELNS0_4arch9wavefront6targetE0EEEvT1_, .Lfunc_end1313-_ZN7rocprim17ROCPRIM_400000_NS6detail17trampoline_kernelINS0_14default_configENS1_25transform_config_selectorIfLb1EEEZNS1_14transform_implILb1ES3_S5_PKfPfNS0_8identityIfEEEE10hipError_tT2_T3_mT4_P12ihipStream_tbEUlT_E_NS1_11comp_targetILNS1_3genE5ELNS1_11target_archE942ELNS1_3gpuE9ELNS1_3repE0EEENS1_30default_config_static_selectorELNS0_4arch9wavefront6targetE0EEEvT1_
                                        ; -- End function
	.set _ZN7rocprim17ROCPRIM_400000_NS6detail17trampoline_kernelINS0_14default_configENS1_25transform_config_selectorIfLb1EEEZNS1_14transform_implILb1ES3_S5_PKfPfNS0_8identityIfEEEE10hipError_tT2_T3_mT4_P12ihipStream_tbEUlT_E_NS1_11comp_targetILNS1_3genE5ELNS1_11target_archE942ELNS1_3gpuE9ELNS1_3repE0EEENS1_30default_config_static_selectorELNS0_4arch9wavefront6targetE0EEEvT1_.num_vgpr, 0
	.set _ZN7rocprim17ROCPRIM_400000_NS6detail17trampoline_kernelINS0_14default_configENS1_25transform_config_selectorIfLb1EEEZNS1_14transform_implILb1ES3_S5_PKfPfNS0_8identityIfEEEE10hipError_tT2_T3_mT4_P12ihipStream_tbEUlT_E_NS1_11comp_targetILNS1_3genE5ELNS1_11target_archE942ELNS1_3gpuE9ELNS1_3repE0EEENS1_30default_config_static_selectorELNS0_4arch9wavefront6targetE0EEEvT1_.num_agpr, 0
	.set _ZN7rocprim17ROCPRIM_400000_NS6detail17trampoline_kernelINS0_14default_configENS1_25transform_config_selectorIfLb1EEEZNS1_14transform_implILb1ES3_S5_PKfPfNS0_8identityIfEEEE10hipError_tT2_T3_mT4_P12ihipStream_tbEUlT_E_NS1_11comp_targetILNS1_3genE5ELNS1_11target_archE942ELNS1_3gpuE9ELNS1_3repE0EEENS1_30default_config_static_selectorELNS0_4arch9wavefront6targetE0EEEvT1_.numbered_sgpr, 0
	.set _ZN7rocprim17ROCPRIM_400000_NS6detail17trampoline_kernelINS0_14default_configENS1_25transform_config_selectorIfLb1EEEZNS1_14transform_implILb1ES3_S5_PKfPfNS0_8identityIfEEEE10hipError_tT2_T3_mT4_P12ihipStream_tbEUlT_E_NS1_11comp_targetILNS1_3genE5ELNS1_11target_archE942ELNS1_3gpuE9ELNS1_3repE0EEENS1_30default_config_static_selectorELNS0_4arch9wavefront6targetE0EEEvT1_.num_named_barrier, 0
	.set _ZN7rocprim17ROCPRIM_400000_NS6detail17trampoline_kernelINS0_14default_configENS1_25transform_config_selectorIfLb1EEEZNS1_14transform_implILb1ES3_S5_PKfPfNS0_8identityIfEEEE10hipError_tT2_T3_mT4_P12ihipStream_tbEUlT_E_NS1_11comp_targetILNS1_3genE5ELNS1_11target_archE942ELNS1_3gpuE9ELNS1_3repE0EEENS1_30default_config_static_selectorELNS0_4arch9wavefront6targetE0EEEvT1_.private_seg_size, 0
	.set _ZN7rocprim17ROCPRIM_400000_NS6detail17trampoline_kernelINS0_14default_configENS1_25transform_config_selectorIfLb1EEEZNS1_14transform_implILb1ES3_S5_PKfPfNS0_8identityIfEEEE10hipError_tT2_T3_mT4_P12ihipStream_tbEUlT_E_NS1_11comp_targetILNS1_3genE5ELNS1_11target_archE942ELNS1_3gpuE9ELNS1_3repE0EEENS1_30default_config_static_selectorELNS0_4arch9wavefront6targetE0EEEvT1_.uses_vcc, 0
	.set _ZN7rocprim17ROCPRIM_400000_NS6detail17trampoline_kernelINS0_14default_configENS1_25transform_config_selectorIfLb1EEEZNS1_14transform_implILb1ES3_S5_PKfPfNS0_8identityIfEEEE10hipError_tT2_T3_mT4_P12ihipStream_tbEUlT_E_NS1_11comp_targetILNS1_3genE5ELNS1_11target_archE942ELNS1_3gpuE9ELNS1_3repE0EEENS1_30default_config_static_selectorELNS0_4arch9wavefront6targetE0EEEvT1_.uses_flat_scratch, 0
	.set _ZN7rocprim17ROCPRIM_400000_NS6detail17trampoline_kernelINS0_14default_configENS1_25transform_config_selectorIfLb1EEEZNS1_14transform_implILb1ES3_S5_PKfPfNS0_8identityIfEEEE10hipError_tT2_T3_mT4_P12ihipStream_tbEUlT_E_NS1_11comp_targetILNS1_3genE5ELNS1_11target_archE942ELNS1_3gpuE9ELNS1_3repE0EEENS1_30default_config_static_selectorELNS0_4arch9wavefront6targetE0EEEvT1_.has_dyn_sized_stack, 0
	.set _ZN7rocprim17ROCPRIM_400000_NS6detail17trampoline_kernelINS0_14default_configENS1_25transform_config_selectorIfLb1EEEZNS1_14transform_implILb1ES3_S5_PKfPfNS0_8identityIfEEEE10hipError_tT2_T3_mT4_P12ihipStream_tbEUlT_E_NS1_11comp_targetILNS1_3genE5ELNS1_11target_archE942ELNS1_3gpuE9ELNS1_3repE0EEENS1_30default_config_static_selectorELNS0_4arch9wavefront6targetE0EEEvT1_.has_recursion, 0
	.set _ZN7rocprim17ROCPRIM_400000_NS6detail17trampoline_kernelINS0_14default_configENS1_25transform_config_selectorIfLb1EEEZNS1_14transform_implILb1ES3_S5_PKfPfNS0_8identityIfEEEE10hipError_tT2_T3_mT4_P12ihipStream_tbEUlT_E_NS1_11comp_targetILNS1_3genE5ELNS1_11target_archE942ELNS1_3gpuE9ELNS1_3repE0EEENS1_30default_config_static_selectorELNS0_4arch9wavefront6targetE0EEEvT1_.has_indirect_call, 0
	.section	.AMDGPU.csdata,"",@progbits
; Kernel info:
; codeLenInByte = 0
; TotalNumSgprs: 0
; NumVgprs: 0
; ScratchSize: 0
; MemoryBound: 0
; FloatMode: 240
; IeeeMode: 1
; LDSByteSize: 0 bytes/workgroup (compile time only)
; SGPRBlocks: 0
; VGPRBlocks: 0
; NumSGPRsForWavesPerEU: 1
; NumVGPRsForWavesPerEU: 1
; NamedBarCnt: 0
; Occupancy: 16
; WaveLimiterHint : 0
; COMPUTE_PGM_RSRC2:SCRATCH_EN: 0
; COMPUTE_PGM_RSRC2:USER_SGPR: 2
; COMPUTE_PGM_RSRC2:TRAP_HANDLER: 0
; COMPUTE_PGM_RSRC2:TGID_X_EN: 1
; COMPUTE_PGM_RSRC2:TGID_Y_EN: 0
; COMPUTE_PGM_RSRC2:TGID_Z_EN: 0
; COMPUTE_PGM_RSRC2:TIDIG_COMP_CNT: 0
	.section	.text._ZN7rocprim17ROCPRIM_400000_NS6detail17trampoline_kernelINS0_14default_configENS1_25transform_config_selectorIfLb1EEEZNS1_14transform_implILb1ES3_S5_PKfPfNS0_8identityIfEEEE10hipError_tT2_T3_mT4_P12ihipStream_tbEUlT_E_NS1_11comp_targetILNS1_3genE4ELNS1_11target_archE910ELNS1_3gpuE8ELNS1_3repE0EEENS1_30default_config_static_selectorELNS0_4arch9wavefront6targetE0EEEvT1_,"axG",@progbits,_ZN7rocprim17ROCPRIM_400000_NS6detail17trampoline_kernelINS0_14default_configENS1_25transform_config_selectorIfLb1EEEZNS1_14transform_implILb1ES3_S5_PKfPfNS0_8identityIfEEEE10hipError_tT2_T3_mT4_P12ihipStream_tbEUlT_E_NS1_11comp_targetILNS1_3genE4ELNS1_11target_archE910ELNS1_3gpuE8ELNS1_3repE0EEENS1_30default_config_static_selectorELNS0_4arch9wavefront6targetE0EEEvT1_,comdat
	.protected	_ZN7rocprim17ROCPRIM_400000_NS6detail17trampoline_kernelINS0_14default_configENS1_25transform_config_selectorIfLb1EEEZNS1_14transform_implILb1ES3_S5_PKfPfNS0_8identityIfEEEE10hipError_tT2_T3_mT4_P12ihipStream_tbEUlT_E_NS1_11comp_targetILNS1_3genE4ELNS1_11target_archE910ELNS1_3gpuE8ELNS1_3repE0EEENS1_30default_config_static_selectorELNS0_4arch9wavefront6targetE0EEEvT1_ ; -- Begin function _ZN7rocprim17ROCPRIM_400000_NS6detail17trampoline_kernelINS0_14default_configENS1_25transform_config_selectorIfLb1EEEZNS1_14transform_implILb1ES3_S5_PKfPfNS0_8identityIfEEEE10hipError_tT2_T3_mT4_P12ihipStream_tbEUlT_E_NS1_11comp_targetILNS1_3genE4ELNS1_11target_archE910ELNS1_3gpuE8ELNS1_3repE0EEENS1_30default_config_static_selectorELNS0_4arch9wavefront6targetE0EEEvT1_
	.globl	_ZN7rocprim17ROCPRIM_400000_NS6detail17trampoline_kernelINS0_14default_configENS1_25transform_config_selectorIfLb1EEEZNS1_14transform_implILb1ES3_S5_PKfPfNS0_8identityIfEEEE10hipError_tT2_T3_mT4_P12ihipStream_tbEUlT_E_NS1_11comp_targetILNS1_3genE4ELNS1_11target_archE910ELNS1_3gpuE8ELNS1_3repE0EEENS1_30default_config_static_selectorELNS0_4arch9wavefront6targetE0EEEvT1_
	.p2align	8
	.type	_ZN7rocprim17ROCPRIM_400000_NS6detail17trampoline_kernelINS0_14default_configENS1_25transform_config_selectorIfLb1EEEZNS1_14transform_implILb1ES3_S5_PKfPfNS0_8identityIfEEEE10hipError_tT2_T3_mT4_P12ihipStream_tbEUlT_E_NS1_11comp_targetILNS1_3genE4ELNS1_11target_archE910ELNS1_3gpuE8ELNS1_3repE0EEENS1_30default_config_static_selectorELNS0_4arch9wavefront6targetE0EEEvT1_,@function
_ZN7rocprim17ROCPRIM_400000_NS6detail17trampoline_kernelINS0_14default_configENS1_25transform_config_selectorIfLb1EEEZNS1_14transform_implILb1ES3_S5_PKfPfNS0_8identityIfEEEE10hipError_tT2_T3_mT4_P12ihipStream_tbEUlT_E_NS1_11comp_targetILNS1_3genE4ELNS1_11target_archE910ELNS1_3gpuE8ELNS1_3repE0EEENS1_30default_config_static_selectorELNS0_4arch9wavefront6targetE0EEEvT1_: ; @_ZN7rocprim17ROCPRIM_400000_NS6detail17trampoline_kernelINS0_14default_configENS1_25transform_config_selectorIfLb1EEEZNS1_14transform_implILb1ES3_S5_PKfPfNS0_8identityIfEEEE10hipError_tT2_T3_mT4_P12ihipStream_tbEUlT_E_NS1_11comp_targetILNS1_3genE4ELNS1_11target_archE910ELNS1_3gpuE8ELNS1_3repE0EEENS1_30default_config_static_selectorELNS0_4arch9wavefront6targetE0EEEvT1_
; %bb.0:
	.section	.rodata,"a",@progbits
	.p2align	6, 0x0
	.amdhsa_kernel _ZN7rocprim17ROCPRIM_400000_NS6detail17trampoline_kernelINS0_14default_configENS1_25transform_config_selectorIfLb1EEEZNS1_14transform_implILb1ES3_S5_PKfPfNS0_8identityIfEEEE10hipError_tT2_T3_mT4_P12ihipStream_tbEUlT_E_NS1_11comp_targetILNS1_3genE4ELNS1_11target_archE910ELNS1_3gpuE8ELNS1_3repE0EEENS1_30default_config_static_selectorELNS0_4arch9wavefront6targetE0EEEvT1_
		.amdhsa_group_segment_fixed_size 0
		.amdhsa_private_segment_fixed_size 0
		.amdhsa_kernarg_size 40
		.amdhsa_user_sgpr_count 2
		.amdhsa_user_sgpr_dispatch_ptr 0
		.amdhsa_user_sgpr_queue_ptr 0
		.amdhsa_user_sgpr_kernarg_segment_ptr 1
		.amdhsa_user_sgpr_dispatch_id 0
		.amdhsa_user_sgpr_kernarg_preload_length 0
		.amdhsa_user_sgpr_kernarg_preload_offset 0
		.amdhsa_user_sgpr_private_segment_size 0
		.amdhsa_wavefront_size32 1
		.amdhsa_uses_dynamic_stack 0
		.amdhsa_enable_private_segment 0
		.amdhsa_system_sgpr_workgroup_id_x 1
		.amdhsa_system_sgpr_workgroup_id_y 0
		.amdhsa_system_sgpr_workgroup_id_z 0
		.amdhsa_system_sgpr_workgroup_info 0
		.amdhsa_system_vgpr_workitem_id 0
		.amdhsa_next_free_vgpr 1
		.amdhsa_next_free_sgpr 1
		.amdhsa_named_barrier_count 0
		.amdhsa_reserve_vcc 0
		.amdhsa_float_round_mode_32 0
		.amdhsa_float_round_mode_16_64 0
		.amdhsa_float_denorm_mode_32 3
		.amdhsa_float_denorm_mode_16_64 3
		.amdhsa_fp16_overflow 0
		.amdhsa_memory_ordered 1
		.amdhsa_forward_progress 1
		.amdhsa_inst_pref_size 0
		.amdhsa_round_robin_scheduling 0
		.amdhsa_exception_fp_ieee_invalid_op 0
		.amdhsa_exception_fp_denorm_src 0
		.amdhsa_exception_fp_ieee_div_zero 0
		.amdhsa_exception_fp_ieee_overflow 0
		.amdhsa_exception_fp_ieee_underflow 0
		.amdhsa_exception_fp_ieee_inexact 0
		.amdhsa_exception_int_div_zero 0
	.end_amdhsa_kernel
	.section	.text._ZN7rocprim17ROCPRIM_400000_NS6detail17trampoline_kernelINS0_14default_configENS1_25transform_config_selectorIfLb1EEEZNS1_14transform_implILb1ES3_S5_PKfPfNS0_8identityIfEEEE10hipError_tT2_T3_mT4_P12ihipStream_tbEUlT_E_NS1_11comp_targetILNS1_3genE4ELNS1_11target_archE910ELNS1_3gpuE8ELNS1_3repE0EEENS1_30default_config_static_selectorELNS0_4arch9wavefront6targetE0EEEvT1_,"axG",@progbits,_ZN7rocprim17ROCPRIM_400000_NS6detail17trampoline_kernelINS0_14default_configENS1_25transform_config_selectorIfLb1EEEZNS1_14transform_implILb1ES3_S5_PKfPfNS0_8identityIfEEEE10hipError_tT2_T3_mT4_P12ihipStream_tbEUlT_E_NS1_11comp_targetILNS1_3genE4ELNS1_11target_archE910ELNS1_3gpuE8ELNS1_3repE0EEENS1_30default_config_static_selectorELNS0_4arch9wavefront6targetE0EEEvT1_,comdat
.Lfunc_end1314:
	.size	_ZN7rocprim17ROCPRIM_400000_NS6detail17trampoline_kernelINS0_14default_configENS1_25transform_config_selectorIfLb1EEEZNS1_14transform_implILb1ES3_S5_PKfPfNS0_8identityIfEEEE10hipError_tT2_T3_mT4_P12ihipStream_tbEUlT_E_NS1_11comp_targetILNS1_3genE4ELNS1_11target_archE910ELNS1_3gpuE8ELNS1_3repE0EEENS1_30default_config_static_selectorELNS0_4arch9wavefront6targetE0EEEvT1_, .Lfunc_end1314-_ZN7rocprim17ROCPRIM_400000_NS6detail17trampoline_kernelINS0_14default_configENS1_25transform_config_selectorIfLb1EEEZNS1_14transform_implILb1ES3_S5_PKfPfNS0_8identityIfEEEE10hipError_tT2_T3_mT4_P12ihipStream_tbEUlT_E_NS1_11comp_targetILNS1_3genE4ELNS1_11target_archE910ELNS1_3gpuE8ELNS1_3repE0EEENS1_30default_config_static_selectorELNS0_4arch9wavefront6targetE0EEEvT1_
                                        ; -- End function
	.set _ZN7rocprim17ROCPRIM_400000_NS6detail17trampoline_kernelINS0_14default_configENS1_25transform_config_selectorIfLb1EEEZNS1_14transform_implILb1ES3_S5_PKfPfNS0_8identityIfEEEE10hipError_tT2_T3_mT4_P12ihipStream_tbEUlT_E_NS1_11comp_targetILNS1_3genE4ELNS1_11target_archE910ELNS1_3gpuE8ELNS1_3repE0EEENS1_30default_config_static_selectorELNS0_4arch9wavefront6targetE0EEEvT1_.num_vgpr, 0
	.set _ZN7rocprim17ROCPRIM_400000_NS6detail17trampoline_kernelINS0_14default_configENS1_25transform_config_selectorIfLb1EEEZNS1_14transform_implILb1ES3_S5_PKfPfNS0_8identityIfEEEE10hipError_tT2_T3_mT4_P12ihipStream_tbEUlT_E_NS1_11comp_targetILNS1_3genE4ELNS1_11target_archE910ELNS1_3gpuE8ELNS1_3repE0EEENS1_30default_config_static_selectorELNS0_4arch9wavefront6targetE0EEEvT1_.num_agpr, 0
	.set _ZN7rocprim17ROCPRIM_400000_NS6detail17trampoline_kernelINS0_14default_configENS1_25transform_config_selectorIfLb1EEEZNS1_14transform_implILb1ES3_S5_PKfPfNS0_8identityIfEEEE10hipError_tT2_T3_mT4_P12ihipStream_tbEUlT_E_NS1_11comp_targetILNS1_3genE4ELNS1_11target_archE910ELNS1_3gpuE8ELNS1_3repE0EEENS1_30default_config_static_selectorELNS0_4arch9wavefront6targetE0EEEvT1_.numbered_sgpr, 0
	.set _ZN7rocprim17ROCPRIM_400000_NS6detail17trampoline_kernelINS0_14default_configENS1_25transform_config_selectorIfLb1EEEZNS1_14transform_implILb1ES3_S5_PKfPfNS0_8identityIfEEEE10hipError_tT2_T3_mT4_P12ihipStream_tbEUlT_E_NS1_11comp_targetILNS1_3genE4ELNS1_11target_archE910ELNS1_3gpuE8ELNS1_3repE0EEENS1_30default_config_static_selectorELNS0_4arch9wavefront6targetE0EEEvT1_.num_named_barrier, 0
	.set _ZN7rocprim17ROCPRIM_400000_NS6detail17trampoline_kernelINS0_14default_configENS1_25transform_config_selectorIfLb1EEEZNS1_14transform_implILb1ES3_S5_PKfPfNS0_8identityIfEEEE10hipError_tT2_T3_mT4_P12ihipStream_tbEUlT_E_NS1_11comp_targetILNS1_3genE4ELNS1_11target_archE910ELNS1_3gpuE8ELNS1_3repE0EEENS1_30default_config_static_selectorELNS0_4arch9wavefront6targetE0EEEvT1_.private_seg_size, 0
	.set _ZN7rocprim17ROCPRIM_400000_NS6detail17trampoline_kernelINS0_14default_configENS1_25transform_config_selectorIfLb1EEEZNS1_14transform_implILb1ES3_S5_PKfPfNS0_8identityIfEEEE10hipError_tT2_T3_mT4_P12ihipStream_tbEUlT_E_NS1_11comp_targetILNS1_3genE4ELNS1_11target_archE910ELNS1_3gpuE8ELNS1_3repE0EEENS1_30default_config_static_selectorELNS0_4arch9wavefront6targetE0EEEvT1_.uses_vcc, 0
	.set _ZN7rocprim17ROCPRIM_400000_NS6detail17trampoline_kernelINS0_14default_configENS1_25transform_config_selectorIfLb1EEEZNS1_14transform_implILb1ES3_S5_PKfPfNS0_8identityIfEEEE10hipError_tT2_T3_mT4_P12ihipStream_tbEUlT_E_NS1_11comp_targetILNS1_3genE4ELNS1_11target_archE910ELNS1_3gpuE8ELNS1_3repE0EEENS1_30default_config_static_selectorELNS0_4arch9wavefront6targetE0EEEvT1_.uses_flat_scratch, 0
	.set _ZN7rocprim17ROCPRIM_400000_NS6detail17trampoline_kernelINS0_14default_configENS1_25transform_config_selectorIfLb1EEEZNS1_14transform_implILb1ES3_S5_PKfPfNS0_8identityIfEEEE10hipError_tT2_T3_mT4_P12ihipStream_tbEUlT_E_NS1_11comp_targetILNS1_3genE4ELNS1_11target_archE910ELNS1_3gpuE8ELNS1_3repE0EEENS1_30default_config_static_selectorELNS0_4arch9wavefront6targetE0EEEvT1_.has_dyn_sized_stack, 0
	.set _ZN7rocprim17ROCPRIM_400000_NS6detail17trampoline_kernelINS0_14default_configENS1_25transform_config_selectorIfLb1EEEZNS1_14transform_implILb1ES3_S5_PKfPfNS0_8identityIfEEEE10hipError_tT2_T3_mT4_P12ihipStream_tbEUlT_E_NS1_11comp_targetILNS1_3genE4ELNS1_11target_archE910ELNS1_3gpuE8ELNS1_3repE0EEENS1_30default_config_static_selectorELNS0_4arch9wavefront6targetE0EEEvT1_.has_recursion, 0
	.set _ZN7rocprim17ROCPRIM_400000_NS6detail17trampoline_kernelINS0_14default_configENS1_25transform_config_selectorIfLb1EEEZNS1_14transform_implILb1ES3_S5_PKfPfNS0_8identityIfEEEE10hipError_tT2_T3_mT4_P12ihipStream_tbEUlT_E_NS1_11comp_targetILNS1_3genE4ELNS1_11target_archE910ELNS1_3gpuE8ELNS1_3repE0EEENS1_30default_config_static_selectorELNS0_4arch9wavefront6targetE0EEEvT1_.has_indirect_call, 0
	.section	.AMDGPU.csdata,"",@progbits
; Kernel info:
; codeLenInByte = 0
; TotalNumSgprs: 0
; NumVgprs: 0
; ScratchSize: 0
; MemoryBound: 0
; FloatMode: 240
; IeeeMode: 1
; LDSByteSize: 0 bytes/workgroup (compile time only)
; SGPRBlocks: 0
; VGPRBlocks: 0
; NumSGPRsForWavesPerEU: 1
; NumVGPRsForWavesPerEU: 1
; NamedBarCnt: 0
; Occupancy: 16
; WaveLimiterHint : 0
; COMPUTE_PGM_RSRC2:SCRATCH_EN: 0
; COMPUTE_PGM_RSRC2:USER_SGPR: 2
; COMPUTE_PGM_RSRC2:TRAP_HANDLER: 0
; COMPUTE_PGM_RSRC2:TGID_X_EN: 1
; COMPUTE_PGM_RSRC2:TGID_Y_EN: 0
; COMPUTE_PGM_RSRC2:TGID_Z_EN: 0
; COMPUTE_PGM_RSRC2:TIDIG_COMP_CNT: 0
	.section	.text._ZN7rocprim17ROCPRIM_400000_NS6detail17trampoline_kernelINS0_14default_configENS1_25transform_config_selectorIfLb1EEEZNS1_14transform_implILb1ES3_S5_PKfPfNS0_8identityIfEEEE10hipError_tT2_T3_mT4_P12ihipStream_tbEUlT_E_NS1_11comp_targetILNS1_3genE3ELNS1_11target_archE908ELNS1_3gpuE7ELNS1_3repE0EEENS1_30default_config_static_selectorELNS0_4arch9wavefront6targetE0EEEvT1_,"axG",@progbits,_ZN7rocprim17ROCPRIM_400000_NS6detail17trampoline_kernelINS0_14default_configENS1_25transform_config_selectorIfLb1EEEZNS1_14transform_implILb1ES3_S5_PKfPfNS0_8identityIfEEEE10hipError_tT2_T3_mT4_P12ihipStream_tbEUlT_E_NS1_11comp_targetILNS1_3genE3ELNS1_11target_archE908ELNS1_3gpuE7ELNS1_3repE0EEENS1_30default_config_static_selectorELNS0_4arch9wavefront6targetE0EEEvT1_,comdat
	.protected	_ZN7rocprim17ROCPRIM_400000_NS6detail17trampoline_kernelINS0_14default_configENS1_25transform_config_selectorIfLb1EEEZNS1_14transform_implILb1ES3_S5_PKfPfNS0_8identityIfEEEE10hipError_tT2_T3_mT4_P12ihipStream_tbEUlT_E_NS1_11comp_targetILNS1_3genE3ELNS1_11target_archE908ELNS1_3gpuE7ELNS1_3repE0EEENS1_30default_config_static_selectorELNS0_4arch9wavefront6targetE0EEEvT1_ ; -- Begin function _ZN7rocprim17ROCPRIM_400000_NS6detail17trampoline_kernelINS0_14default_configENS1_25transform_config_selectorIfLb1EEEZNS1_14transform_implILb1ES3_S5_PKfPfNS0_8identityIfEEEE10hipError_tT2_T3_mT4_P12ihipStream_tbEUlT_E_NS1_11comp_targetILNS1_3genE3ELNS1_11target_archE908ELNS1_3gpuE7ELNS1_3repE0EEENS1_30default_config_static_selectorELNS0_4arch9wavefront6targetE0EEEvT1_
	.globl	_ZN7rocprim17ROCPRIM_400000_NS6detail17trampoline_kernelINS0_14default_configENS1_25transform_config_selectorIfLb1EEEZNS1_14transform_implILb1ES3_S5_PKfPfNS0_8identityIfEEEE10hipError_tT2_T3_mT4_P12ihipStream_tbEUlT_E_NS1_11comp_targetILNS1_3genE3ELNS1_11target_archE908ELNS1_3gpuE7ELNS1_3repE0EEENS1_30default_config_static_selectorELNS0_4arch9wavefront6targetE0EEEvT1_
	.p2align	8
	.type	_ZN7rocprim17ROCPRIM_400000_NS6detail17trampoline_kernelINS0_14default_configENS1_25transform_config_selectorIfLb1EEEZNS1_14transform_implILb1ES3_S5_PKfPfNS0_8identityIfEEEE10hipError_tT2_T3_mT4_P12ihipStream_tbEUlT_E_NS1_11comp_targetILNS1_3genE3ELNS1_11target_archE908ELNS1_3gpuE7ELNS1_3repE0EEENS1_30default_config_static_selectorELNS0_4arch9wavefront6targetE0EEEvT1_,@function
_ZN7rocprim17ROCPRIM_400000_NS6detail17trampoline_kernelINS0_14default_configENS1_25transform_config_selectorIfLb1EEEZNS1_14transform_implILb1ES3_S5_PKfPfNS0_8identityIfEEEE10hipError_tT2_T3_mT4_P12ihipStream_tbEUlT_E_NS1_11comp_targetILNS1_3genE3ELNS1_11target_archE908ELNS1_3gpuE7ELNS1_3repE0EEENS1_30default_config_static_selectorELNS0_4arch9wavefront6targetE0EEEvT1_: ; @_ZN7rocprim17ROCPRIM_400000_NS6detail17trampoline_kernelINS0_14default_configENS1_25transform_config_selectorIfLb1EEEZNS1_14transform_implILb1ES3_S5_PKfPfNS0_8identityIfEEEE10hipError_tT2_T3_mT4_P12ihipStream_tbEUlT_E_NS1_11comp_targetILNS1_3genE3ELNS1_11target_archE908ELNS1_3gpuE7ELNS1_3repE0EEENS1_30default_config_static_selectorELNS0_4arch9wavefront6targetE0EEEvT1_
; %bb.0:
	.section	.rodata,"a",@progbits
	.p2align	6, 0x0
	.amdhsa_kernel _ZN7rocprim17ROCPRIM_400000_NS6detail17trampoline_kernelINS0_14default_configENS1_25transform_config_selectorIfLb1EEEZNS1_14transform_implILb1ES3_S5_PKfPfNS0_8identityIfEEEE10hipError_tT2_T3_mT4_P12ihipStream_tbEUlT_E_NS1_11comp_targetILNS1_3genE3ELNS1_11target_archE908ELNS1_3gpuE7ELNS1_3repE0EEENS1_30default_config_static_selectorELNS0_4arch9wavefront6targetE0EEEvT1_
		.amdhsa_group_segment_fixed_size 0
		.amdhsa_private_segment_fixed_size 0
		.amdhsa_kernarg_size 40
		.amdhsa_user_sgpr_count 2
		.amdhsa_user_sgpr_dispatch_ptr 0
		.amdhsa_user_sgpr_queue_ptr 0
		.amdhsa_user_sgpr_kernarg_segment_ptr 1
		.amdhsa_user_sgpr_dispatch_id 0
		.amdhsa_user_sgpr_kernarg_preload_length 0
		.amdhsa_user_sgpr_kernarg_preload_offset 0
		.amdhsa_user_sgpr_private_segment_size 0
		.amdhsa_wavefront_size32 1
		.amdhsa_uses_dynamic_stack 0
		.amdhsa_enable_private_segment 0
		.amdhsa_system_sgpr_workgroup_id_x 1
		.amdhsa_system_sgpr_workgroup_id_y 0
		.amdhsa_system_sgpr_workgroup_id_z 0
		.amdhsa_system_sgpr_workgroup_info 0
		.amdhsa_system_vgpr_workitem_id 0
		.amdhsa_next_free_vgpr 1
		.amdhsa_next_free_sgpr 1
		.amdhsa_named_barrier_count 0
		.amdhsa_reserve_vcc 0
		.amdhsa_float_round_mode_32 0
		.amdhsa_float_round_mode_16_64 0
		.amdhsa_float_denorm_mode_32 3
		.amdhsa_float_denorm_mode_16_64 3
		.amdhsa_fp16_overflow 0
		.amdhsa_memory_ordered 1
		.amdhsa_forward_progress 1
		.amdhsa_inst_pref_size 0
		.amdhsa_round_robin_scheduling 0
		.amdhsa_exception_fp_ieee_invalid_op 0
		.amdhsa_exception_fp_denorm_src 0
		.amdhsa_exception_fp_ieee_div_zero 0
		.amdhsa_exception_fp_ieee_overflow 0
		.amdhsa_exception_fp_ieee_underflow 0
		.amdhsa_exception_fp_ieee_inexact 0
		.amdhsa_exception_int_div_zero 0
	.end_amdhsa_kernel
	.section	.text._ZN7rocprim17ROCPRIM_400000_NS6detail17trampoline_kernelINS0_14default_configENS1_25transform_config_selectorIfLb1EEEZNS1_14transform_implILb1ES3_S5_PKfPfNS0_8identityIfEEEE10hipError_tT2_T3_mT4_P12ihipStream_tbEUlT_E_NS1_11comp_targetILNS1_3genE3ELNS1_11target_archE908ELNS1_3gpuE7ELNS1_3repE0EEENS1_30default_config_static_selectorELNS0_4arch9wavefront6targetE0EEEvT1_,"axG",@progbits,_ZN7rocprim17ROCPRIM_400000_NS6detail17trampoline_kernelINS0_14default_configENS1_25transform_config_selectorIfLb1EEEZNS1_14transform_implILb1ES3_S5_PKfPfNS0_8identityIfEEEE10hipError_tT2_T3_mT4_P12ihipStream_tbEUlT_E_NS1_11comp_targetILNS1_3genE3ELNS1_11target_archE908ELNS1_3gpuE7ELNS1_3repE0EEENS1_30default_config_static_selectorELNS0_4arch9wavefront6targetE0EEEvT1_,comdat
.Lfunc_end1315:
	.size	_ZN7rocprim17ROCPRIM_400000_NS6detail17trampoline_kernelINS0_14default_configENS1_25transform_config_selectorIfLb1EEEZNS1_14transform_implILb1ES3_S5_PKfPfNS0_8identityIfEEEE10hipError_tT2_T3_mT4_P12ihipStream_tbEUlT_E_NS1_11comp_targetILNS1_3genE3ELNS1_11target_archE908ELNS1_3gpuE7ELNS1_3repE0EEENS1_30default_config_static_selectorELNS0_4arch9wavefront6targetE0EEEvT1_, .Lfunc_end1315-_ZN7rocprim17ROCPRIM_400000_NS6detail17trampoline_kernelINS0_14default_configENS1_25transform_config_selectorIfLb1EEEZNS1_14transform_implILb1ES3_S5_PKfPfNS0_8identityIfEEEE10hipError_tT2_T3_mT4_P12ihipStream_tbEUlT_E_NS1_11comp_targetILNS1_3genE3ELNS1_11target_archE908ELNS1_3gpuE7ELNS1_3repE0EEENS1_30default_config_static_selectorELNS0_4arch9wavefront6targetE0EEEvT1_
                                        ; -- End function
	.set _ZN7rocprim17ROCPRIM_400000_NS6detail17trampoline_kernelINS0_14default_configENS1_25transform_config_selectorIfLb1EEEZNS1_14transform_implILb1ES3_S5_PKfPfNS0_8identityIfEEEE10hipError_tT2_T3_mT4_P12ihipStream_tbEUlT_E_NS1_11comp_targetILNS1_3genE3ELNS1_11target_archE908ELNS1_3gpuE7ELNS1_3repE0EEENS1_30default_config_static_selectorELNS0_4arch9wavefront6targetE0EEEvT1_.num_vgpr, 0
	.set _ZN7rocprim17ROCPRIM_400000_NS6detail17trampoline_kernelINS0_14default_configENS1_25transform_config_selectorIfLb1EEEZNS1_14transform_implILb1ES3_S5_PKfPfNS0_8identityIfEEEE10hipError_tT2_T3_mT4_P12ihipStream_tbEUlT_E_NS1_11comp_targetILNS1_3genE3ELNS1_11target_archE908ELNS1_3gpuE7ELNS1_3repE0EEENS1_30default_config_static_selectorELNS0_4arch9wavefront6targetE0EEEvT1_.num_agpr, 0
	.set _ZN7rocprim17ROCPRIM_400000_NS6detail17trampoline_kernelINS0_14default_configENS1_25transform_config_selectorIfLb1EEEZNS1_14transform_implILb1ES3_S5_PKfPfNS0_8identityIfEEEE10hipError_tT2_T3_mT4_P12ihipStream_tbEUlT_E_NS1_11comp_targetILNS1_3genE3ELNS1_11target_archE908ELNS1_3gpuE7ELNS1_3repE0EEENS1_30default_config_static_selectorELNS0_4arch9wavefront6targetE0EEEvT1_.numbered_sgpr, 0
	.set _ZN7rocprim17ROCPRIM_400000_NS6detail17trampoline_kernelINS0_14default_configENS1_25transform_config_selectorIfLb1EEEZNS1_14transform_implILb1ES3_S5_PKfPfNS0_8identityIfEEEE10hipError_tT2_T3_mT4_P12ihipStream_tbEUlT_E_NS1_11comp_targetILNS1_3genE3ELNS1_11target_archE908ELNS1_3gpuE7ELNS1_3repE0EEENS1_30default_config_static_selectorELNS0_4arch9wavefront6targetE0EEEvT1_.num_named_barrier, 0
	.set _ZN7rocprim17ROCPRIM_400000_NS6detail17trampoline_kernelINS0_14default_configENS1_25transform_config_selectorIfLb1EEEZNS1_14transform_implILb1ES3_S5_PKfPfNS0_8identityIfEEEE10hipError_tT2_T3_mT4_P12ihipStream_tbEUlT_E_NS1_11comp_targetILNS1_3genE3ELNS1_11target_archE908ELNS1_3gpuE7ELNS1_3repE0EEENS1_30default_config_static_selectorELNS0_4arch9wavefront6targetE0EEEvT1_.private_seg_size, 0
	.set _ZN7rocprim17ROCPRIM_400000_NS6detail17trampoline_kernelINS0_14default_configENS1_25transform_config_selectorIfLb1EEEZNS1_14transform_implILb1ES3_S5_PKfPfNS0_8identityIfEEEE10hipError_tT2_T3_mT4_P12ihipStream_tbEUlT_E_NS1_11comp_targetILNS1_3genE3ELNS1_11target_archE908ELNS1_3gpuE7ELNS1_3repE0EEENS1_30default_config_static_selectorELNS0_4arch9wavefront6targetE0EEEvT1_.uses_vcc, 0
	.set _ZN7rocprim17ROCPRIM_400000_NS6detail17trampoline_kernelINS0_14default_configENS1_25transform_config_selectorIfLb1EEEZNS1_14transform_implILb1ES3_S5_PKfPfNS0_8identityIfEEEE10hipError_tT2_T3_mT4_P12ihipStream_tbEUlT_E_NS1_11comp_targetILNS1_3genE3ELNS1_11target_archE908ELNS1_3gpuE7ELNS1_3repE0EEENS1_30default_config_static_selectorELNS0_4arch9wavefront6targetE0EEEvT1_.uses_flat_scratch, 0
	.set _ZN7rocprim17ROCPRIM_400000_NS6detail17trampoline_kernelINS0_14default_configENS1_25transform_config_selectorIfLb1EEEZNS1_14transform_implILb1ES3_S5_PKfPfNS0_8identityIfEEEE10hipError_tT2_T3_mT4_P12ihipStream_tbEUlT_E_NS1_11comp_targetILNS1_3genE3ELNS1_11target_archE908ELNS1_3gpuE7ELNS1_3repE0EEENS1_30default_config_static_selectorELNS0_4arch9wavefront6targetE0EEEvT1_.has_dyn_sized_stack, 0
	.set _ZN7rocprim17ROCPRIM_400000_NS6detail17trampoline_kernelINS0_14default_configENS1_25transform_config_selectorIfLb1EEEZNS1_14transform_implILb1ES3_S5_PKfPfNS0_8identityIfEEEE10hipError_tT2_T3_mT4_P12ihipStream_tbEUlT_E_NS1_11comp_targetILNS1_3genE3ELNS1_11target_archE908ELNS1_3gpuE7ELNS1_3repE0EEENS1_30default_config_static_selectorELNS0_4arch9wavefront6targetE0EEEvT1_.has_recursion, 0
	.set _ZN7rocprim17ROCPRIM_400000_NS6detail17trampoline_kernelINS0_14default_configENS1_25transform_config_selectorIfLb1EEEZNS1_14transform_implILb1ES3_S5_PKfPfNS0_8identityIfEEEE10hipError_tT2_T3_mT4_P12ihipStream_tbEUlT_E_NS1_11comp_targetILNS1_3genE3ELNS1_11target_archE908ELNS1_3gpuE7ELNS1_3repE0EEENS1_30default_config_static_selectorELNS0_4arch9wavefront6targetE0EEEvT1_.has_indirect_call, 0
	.section	.AMDGPU.csdata,"",@progbits
; Kernel info:
; codeLenInByte = 0
; TotalNumSgprs: 0
; NumVgprs: 0
; ScratchSize: 0
; MemoryBound: 0
; FloatMode: 240
; IeeeMode: 1
; LDSByteSize: 0 bytes/workgroup (compile time only)
; SGPRBlocks: 0
; VGPRBlocks: 0
; NumSGPRsForWavesPerEU: 1
; NumVGPRsForWavesPerEU: 1
; NamedBarCnt: 0
; Occupancy: 16
; WaveLimiterHint : 0
; COMPUTE_PGM_RSRC2:SCRATCH_EN: 0
; COMPUTE_PGM_RSRC2:USER_SGPR: 2
; COMPUTE_PGM_RSRC2:TRAP_HANDLER: 0
; COMPUTE_PGM_RSRC2:TGID_X_EN: 1
; COMPUTE_PGM_RSRC2:TGID_Y_EN: 0
; COMPUTE_PGM_RSRC2:TGID_Z_EN: 0
; COMPUTE_PGM_RSRC2:TIDIG_COMP_CNT: 0
	.section	.text._ZN7rocprim17ROCPRIM_400000_NS6detail17trampoline_kernelINS0_14default_configENS1_25transform_config_selectorIfLb1EEEZNS1_14transform_implILb1ES3_S5_PKfPfNS0_8identityIfEEEE10hipError_tT2_T3_mT4_P12ihipStream_tbEUlT_E_NS1_11comp_targetILNS1_3genE2ELNS1_11target_archE906ELNS1_3gpuE6ELNS1_3repE0EEENS1_30default_config_static_selectorELNS0_4arch9wavefront6targetE0EEEvT1_,"axG",@progbits,_ZN7rocprim17ROCPRIM_400000_NS6detail17trampoline_kernelINS0_14default_configENS1_25transform_config_selectorIfLb1EEEZNS1_14transform_implILb1ES3_S5_PKfPfNS0_8identityIfEEEE10hipError_tT2_T3_mT4_P12ihipStream_tbEUlT_E_NS1_11comp_targetILNS1_3genE2ELNS1_11target_archE906ELNS1_3gpuE6ELNS1_3repE0EEENS1_30default_config_static_selectorELNS0_4arch9wavefront6targetE0EEEvT1_,comdat
	.protected	_ZN7rocprim17ROCPRIM_400000_NS6detail17trampoline_kernelINS0_14default_configENS1_25transform_config_selectorIfLb1EEEZNS1_14transform_implILb1ES3_S5_PKfPfNS0_8identityIfEEEE10hipError_tT2_T3_mT4_P12ihipStream_tbEUlT_E_NS1_11comp_targetILNS1_3genE2ELNS1_11target_archE906ELNS1_3gpuE6ELNS1_3repE0EEENS1_30default_config_static_selectorELNS0_4arch9wavefront6targetE0EEEvT1_ ; -- Begin function _ZN7rocprim17ROCPRIM_400000_NS6detail17trampoline_kernelINS0_14default_configENS1_25transform_config_selectorIfLb1EEEZNS1_14transform_implILb1ES3_S5_PKfPfNS0_8identityIfEEEE10hipError_tT2_T3_mT4_P12ihipStream_tbEUlT_E_NS1_11comp_targetILNS1_3genE2ELNS1_11target_archE906ELNS1_3gpuE6ELNS1_3repE0EEENS1_30default_config_static_selectorELNS0_4arch9wavefront6targetE0EEEvT1_
	.globl	_ZN7rocprim17ROCPRIM_400000_NS6detail17trampoline_kernelINS0_14default_configENS1_25transform_config_selectorIfLb1EEEZNS1_14transform_implILb1ES3_S5_PKfPfNS0_8identityIfEEEE10hipError_tT2_T3_mT4_P12ihipStream_tbEUlT_E_NS1_11comp_targetILNS1_3genE2ELNS1_11target_archE906ELNS1_3gpuE6ELNS1_3repE0EEENS1_30default_config_static_selectorELNS0_4arch9wavefront6targetE0EEEvT1_
	.p2align	8
	.type	_ZN7rocprim17ROCPRIM_400000_NS6detail17trampoline_kernelINS0_14default_configENS1_25transform_config_selectorIfLb1EEEZNS1_14transform_implILb1ES3_S5_PKfPfNS0_8identityIfEEEE10hipError_tT2_T3_mT4_P12ihipStream_tbEUlT_E_NS1_11comp_targetILNS1_3genE2ELNS1_11target_archE906ELNS1_3gpuE6ELNS1_3repE0EEENS1_30default_config_static_selectorELNS0_4arch9wavefront6targetE0EEEvT1_,@function
_ZN7rocprim17ROCPRIM_400000_NS6detail17trampoline_kernelINS0_14default_configENS1_25transform_config_selectorIfLb1EEEZNS1_14transform_implILb1ES3_S5_PKfPfNS0_8identityIfEEEE10hipError_tT2_T3_mT4_P12ihipStream_tbEUlT_E_NS1_11comp_targetILNS1_3genE2ELNS1_11target_archE906ELNS1_3gpuE6ELNS1_3repE0EEENS1_30default_config_static_selectorELNS0_4arch9wavefront6targetE0EEEvT1_: ; @_ZN7rocprim17ROCPRIM_400000_NS6detail17trampoline_kernelINS0_14default_configENS1_25transform_config_selectorIfLb1EEEZNS1_14transform_implILb1ES3_S5_PKfPfNS0_8identityIfEEEE10hipError_tT2_T3_mT4_P12ihipStream_tbEUlT_E_NS1_11comp_targetILNS1_3genE2ELNS1_11target_archE906ELNS1_3gpuE6ELNS1_3repE0EEENS1_30default_config_static_selectorELNS0_4arch9wavefront6targetE0EEEvT1_
; %bb.0:
	.section	.rodata,"a",@progbits
	.p2align	6, 0x0
	.amdhsa_kernel _ZN7rocprim17ROCPRIM_400000_NS6detail17trampoline_kernelINS0_14default_configENS1_25transform_config_selectorIfLb1EEEZNS1_14transform_implILb1ES3_S5_PKfPfNS0_8identityIfEEEE10hipError_tT2_T3_mT4_P12ihipStream_tbEUlT_E_NS1_11comp_targetILNS1_3genE2ELNS1_11target_archE906ELNS1_3gpuE6ELNS1_3repE0EEENS1_30default_config_static_selectorELNS0_4arch9wavefront6targetE0EEEvT1_
		.amdhsa_group_segment_fixed_size 0
		.amdhsa_private_segment_fixed_size 0
		.amdhsa_kernarg_size 40
		.amdhsa_user_sgpr_count 2
		.amdhsa_user_sgpr_dispatch_ptr 0
		.amdhsa_user_sgpr_queue_ptr 0
		.amdhsa_user_sgpr_kernarg_segment_ptr 1
		.amdhsa_user_sgpr_dispatch_id 0
		.amdhsa_user_sgpr_kernarg_preload_length 0
		.amdhsa_user_sgpr_kernarg_preload_offset 0
		.amdhsa_user_sgpr_private_segment_size 0
		.amdhsa_wavefront_size32 1
		.amdhsa_uses_dynamic_stack 0
		.amdhsa_enable_private_segment 0
		.amdhsa_system_sgpr_workgroup_id_x 1
		.amdhsa_system_sgpr_workgroup_id_y 0
		.amdhsa_system_sgpr_workgroup_id_z 0
		.amdhsa_system_sgpr_workgroup_info 0
		.amdhsa_system_vgpr_workitem_id 0
		.amdhsa_next_free_vgpr 1
		.amdhsa_next_free_sgpr 1
		.amdhsa_named_barrier_count 0
		.amdhsa_reserve_vcc 0
		.amdhsa_float_round_mode_32 0
		.amdhsa_float_round_mode_16_64 0
		.amdhsa_float_denorm_mode_32 3
		.amdhsa_float_denorm_mode_16_64 3
		.amdhsa_fp16_overflow 0
		.amdhsa_memory_ordered 1
		.amdhsa_forward_progress 1
		.amdhsa_inst_pref_size 0
		.amdhsa_round_robin_scheduling 0
		.amdhsa_exception_fp_ieee_invalid_op 0
		.amdhsa_exception_fp_denorm_src 0
		.amdhsa_exception_fp_ieee_div_zero 0
		.amdhsa_exception_fp_ieee_overflow 0
		.amdhsa_exception_fp_ieee_underflow 0
		.amdhsa_exception_fp_ieee_inexact 0
		.amdhsa_exception_int_div_zero 0
	.end_amdhsa_kernel
	.section	.text._ZN7rocprim17ROCPRIM_400000_NS6detail17trampoline_kernelINS0_14default_configENS1_25transform_config_selectorIfLb1EEEZNS1_14transform_implILb1ES3_S5_PKfPfNS0_8identityIfEEEE10hipError_tT2_T3_mT4_P12ihipStream_tbEUlT_E_NS1_11comp_targetILNS1_3genE2ELNS1_11target_archE906ELNS1_3gpuE6ELNS1_3repE0EEENS1_30default_config_static_selectorELNS0_4arch9wavefront6targetE0EEEvT1_,"axG",@progbits,_ZN7rocprim17ROCPRIM_400000_NS6detail17trampoline_kernelINS0_14default_configENS1_25transform_config_selectorIfLb1EEEZNS1_14transform_implILb1ES3_S5_PKfPfNS0_8identityIfEEEE10hipError_tT2_T3_mT4_P12ihipStream_tbEUlT_E_NS1_11comp_targetILNS1_3genE2ELNS1_11target_archE906ELNS1_3gpuE6ELNS1_3repE0EEENS1_30default_config_static_selectorELNS0_4arch9wavefront6targetE0EEEvT1_,comdat
.Lfunc_end1316:
	.size	_ZN7rocprim17ROCPRIM_400000_NS6detail17trampoline_kernelINS0_14default_configENS1_25transform_config_selectorIfLb1EEEZNS1_14transform_implILb1ES3_S5_PKfPfNS0_8identityIfEEEE10hipError_tT2_T3_mT4_P12ihipStream_tbEUlT_E_NS1_11comp_targetILNS1_3genE2ELNS1_11target_archE906ELNS1_3gpuE6ELNS1_3repE0EEENS1_30default_config_static_selectorELNS0_4arch9wavefront6targetE0EEEvT1_, .Lfunc_end1316-_ZN7rocprim17ROCPRIM_400000_NS6detail17trampoline_kernelINS0_14default_configENS1_25transform_config_selectorIfLb1EEEZNS1_14transform_implILb1ES3_S5_PKfPfNS0_8identityIfEEEE10hipError_tT2_T3_mT4_P12ihipStream_tbEUlT_E_NS1_11comp_targetILNS1_3genE2ELNS1_11target_archE906ELNS1_3gpuE6ELNS1_3repE0EEENS1_30default_config_static_selectorELNS0_4arch9wavefront6targetE0EEEvT1_
                                        ; -- End function
	.set _ZN7rocprim17ROCPRIM_400000_NS6detail17trampoline_kernelINS0_14default_configENS1_25transform_config_selectorIfLb1EEEZNS1_14transform_implILb1ES3_S5_PKfPfNS0_8identityIfEEEE10hipError_tT2_T3_mT4_P12ihipStream_tbEUlT_E_NS1_11comp_targetILNS1_3genE2ELNS1_11target_archE906ELNS1_3gpuE6ELNS1_3repE0EEENS1_30default_config_static_selectorELNS0_4arch9wavefront6targetE0EEEvT1_.num_vgpr, 0
	.set _ZN7rocprim17ROCPRIM_400000_NS6detail17trampoline_kernelINS0_14default_configENS1_25transform_config_selectorIfLb1EEEZNS1_14transform_implILb1ES3_S5_PKfPfNS0_8identityIfEEEE10hipError_tT2_T3_mT4_P12ihipStream_tbEUlT_E_NS1_11comp_targetILNS1_3genE2ELNS1_11target_archE906ELNS1_3gpuE6ELNS1_3repE0EEENS1_30default_config_static_selectorELNS0_4arch9wavefront6targetE0EEEvT1_.num_agpr, 0
	.set _ZN7rocprim17ROCPRIM_400000_NS6detail17trampoline_kernelINS0_14default_configENS1_25transform_config_selectorIfLb1EEEZNS1_14transform_implILb1ES3_S5_PKfPfNS0_8identityIfEEEE10hipError_tT2_T3_mT4_P12ihipStream_tbEUlT_E_NS1_11comp_targetILNS1_3genE2ELNS1_11target_archE906ELNS1_3gpuE6ELNS1_3repE0EEENS1_30default_config_static_selectorELNS0_4arch9wavefront6targetE0EEEvT1_.numbered_sgpr, 0
	.set _ZN7rocprim17ROCPRIM_400000_NS6detail17trampoline_kernelINS0_14default_configENS1_25transform_config_selectorIfLb1EEEZNS1_14transform_implILb1ES3_S5_PKfPfNS0_8identityIfEEEE10hipError_tT2_T3_mT4_P12ihipStream_tbEUlT_E_NS1_11comp_targetILNS1_3genE2ELNS1_11target_archE906ELNS1_3gpuE6ELNS1_3repE0EEENS1_30default_config_static_selectorELNS0_4arch9wavefront6targetE0EEEvT1_.num_named_barrier, 0
	.set _ZN7rocprim17ROCPRIM_400000_NS6detail17trampoline_kernelINS0_14default_configENS1_25transform_config_selectorIfLb1EEEZNS1_14transform_implILb1ES3_S5_PKfPfNS0_8identityIfEEEE10hipError_tT2_T3_mT4_P12ihipStream_tbEUlT_E_NS1_11comp_targetILNS1_3genE2ELNS1_11target_archE906ELNS1_3gpuE6ELNS1_3repE0EEENS1_30default_config_static_selectorELNS0_4arch9wavefront6targetE0EEEvT1_.private_seg_size, 0
	.set _ZN7rocprim17ROCPRIM_400000_NS6detail17trampoline_kernelINS0_14default_configENS1_25transform_config_selectorIfLb1EEEZNS1_14transform_implILb1ES3_S5_PKfPfNS0_8identityIfEEEE10hipError_tT2_T3_mT4_P12ihipStream_tbEUlT_E_NS1_11comp_targetILNS1_3genE2ELNS1_11target_archE906ELNS1_3gpuE6ELNS1_3repE0EEENS1_30default_config_static_selectorELNS0_4arch9wavefront6targetE0EEEvT1_.uses_vcc, 0
	.set _ZN7rocprim17ROCPRIM_400000_NS6detail17trampoline_kernelINS0_14default_configENS1_25transform_config_selectorIfLb1EEEZNS1_14transform_implILb1ES3_S5_PKfPfNS0_8identityIfEEEE10hipError_tT2_T3_mT4_P12ihipStream_tbEUlT_E_NS1_11comp_targetILNS1_3genE2ELNS1_11target_archE906ELNS1_3gpuE6ELNS1_3repE0EEENS1_30default_config_static_selectorELNS0_4arch9wavefront6targetE0EEEvT1_.uses_flat_scratch, 0
	.set _ZN7rocprim17ROCPRIM_400000_NS6detail17trampoline_kernelINS0_14default_configENS1_25transform_config_selectorIfLb1EEEZNS1_14transform_implILb1ES3_S5_PKfPfNS0_8identityIfEEEE10hipError_tT2_T3_mT4_P12ihipStream_tbEUlT_E_NS1_11comp_targetILNS1_3genE2ELNS1_11target_archE906ELNS1_3gpuE6ELNS1_3repE0EEENS1_30default_config_static_selectorELNS0_4arch9wavefront6targetE0EEEvT1_.has_dyn_sized_stack, 0
	.set _ZN7rocprim17ROCPRIM_400000_NS6detail17trampoline_kernelINS0_14default_configENS1_25transform_config_selectorIfLb1EEEZNS1_14transform_implILb1ES3_S5_PKfPfNS0_8identityIfEEEE10hipError_tT2_T3_mT4_P12ihipStream_tbEUlT_E_NS1_11comp_targetILNS1_3genE2ELNS1_11target_archE906ELNS1_3gpuE6ELNS1_3repE0EEENS1_30default_config_static_selectorELNS0_4arch9wavefront6targetE0EEEvT1_.has_recursion, 0
	.set _ZN7rocprim17ROCPRIM_400000_NS6detail17trampoline_kernelINS0_14default_configENS1_25transform_config_selectorIfLb1EEEZNS1_14transform_implILb1ES3_S5_PKfPfNS0_8identityIfEEEE10hipError_tT2_T3_mT4_P12ihipStream_tbEUlT_E_NS1_11comp_targetILNS1_3genE2ELNS1_11target_archE906ELNS1_3gpuE6ELNS1_3repE0EEENS1_30default_config_static_selectorELNS0_4arch9wavefront6targetE0EEEvT1_.has_indirect_call, 0
	.section	.AMDGPU.csdata,"",@progbits
; Kernel info:
; codeLenInByte = 0
; TotalNumSgprs: 0
; NumVgprs: 0
; ScratchSize: 0
; MemoryBound: 0
; FloatMode: 240
; IeeeMode: 1
; LDSByteSize: 0 bytes/workgroup (compile time only)
; SGPRBlocks: 0
; VGPRBlocks: 0
; NumSGPRsForWavesPerEU: 1
; NumVGPRsForWavesPerEU: 1
; NamedBarCnt: 0
; Occupancy: 16
; WaveLimiterHint : 0
; COMPUTE_PGM_RSRC2:SCRATCH_EN: 0
; COMPUTE_PGM_RSRC2:USER_SGPR: 2
; COMPUTE_PGM_RSRC2:TRAP_HANDLER: 0
; COMPUTE_PGM_RSRC2:TGID_X_EN: 1
; COMPUTE_PGM_RSRC2:TGID_Y_EN: 0
; COMPUTE_PGM_RSRC2:TGID_Z_EN: 0
; COMPUTE_PGM_RSRC2:TIDIG_COMP_CNT: 0
	.section	.text._ZN7rocprim17ROCPRIM_400000_NS6detail17trampoline_kernelINS0_14default_configENS1_25transform_config_selectorIfLb1EEEZNS1_14transform_implILb1ES3_S5_PKfPfNS0_8identityIfEEEE10hipError_tT2_T3_mT4_P12ihipStream_tbEUlT_E_NS1_11comp_targetILNS1_3genE9ELNS1_11target_archE1100ELNS1_3gpuE3ELNS1_3repE0EEENS1_30default_config_static_selectorELNS0_4arch9wavefront6targetE0EEEvT1_,"axG",@progbits,_ZN7rocprim17ROCPRIM_400000_NS6detail17trampoline_kernelINS0_14default_configENS1_25transform_config_selectorIfLb1EEEZNS1_14transform_implILb1ES3_S5_PKfPfNS0_8identityIfEEEE10hipError_tT2_T3_mT4_P12ihipStream_tbEUlT_E_NS1_11comp_targetILNS1_3genE9ELNS1_11target_archE1100ELNS1_3gpuE3ELNS1_3repE0EEENS1_30default_config_static_selectorELNS0_4arch9wavefront6targetE0EEEvT1_,comdat
	.protected	_ZN7rocprim17ROCPRIM_400000_NS6detail17trampoline_kernelINS0_14default_configENS1_25transform_config_selectorIfLb1EEEZNS1_14transform_implILb1ES3_S5_PKfPfNS0_8identityIfEEEE10hipError_tT2_T3_mT4_P12ihipStream_tbEUlT_E_NS1_11comp_targetILNS1_3genE9ELNS1_11target_archE1100ELNS1_3gpuE3ELNS1_3repE0EEENS1_30default_config_static_selectorELNS0_4arch9wavefront6targetE0EEEvT1_ ; -- Begin function _ZN7rocprim17ROCPRIM_400000_NS6detail17trampoline_kernelINS0_14default_configENS1_25transform_config_selectorIfLb1EEEZNS1_14transform_implILb1ES3_S5_PKfPfNS0_8identityIfEEEE10hipError_tT2_T3_mT4_P12ihipStream_tbEUlT_E_NS1_11comp_targetILNS1_3genE9ELNS1_11target_archE1100ELNS1_3gpuE3ELNS1_3repE0EEENS1_30default_config_static_selectorELNS0_4arch9wavefront6targetE0EEEvT1_
	.globl	_ZN7rocprim17ROCPRIM_400000_NS6detail17trampoline_kernelINS0_14default_configENS1_25transform_config_selectorIfLb1EEEZNS1_14transform_implILb1ES3_S5_PKfPfNS0_8identityIfEEEE10hipError_tT2_T3_mT4_P12ihipStream_tbEUlT_E_NS1_11comp_targetILNS1_3genE9ELNS1_11target_archE1100ELNS1_3gpuE3ELNS1_3repE0EEENS1_30default_config_static_selectorELNS0_4arch9wavefront6targetE0EEEvT1_
	.p2align	8
	.type	_ZN7rocprim17ROCPRIM_400000_NS6detail17trampoline_kernelINS0_14default_configENS1_25transform_config_selectorIfLb1EEEZNS1_14transform_implILb1ES3_S5_PKfPfNS0_8identityIfEEEE10hipError_tT2_T3_mT4_P12ihipStream_tbEUlT_E_NS1_11comp_targetILNS1_3genE9ELNS1_11target_archE1100ELNS1_3gpuE3ELNS1_3repE0EEENS1_30default_config_static_selectorELNS0_4arch9wavefront6targetE0EEEvT1_,@function
_ZN7rocprim17ROCPRIM_400000_NS6detail17trampoline_kernelINS0_14default_configENS1_25transform_config_selectorIfLb1EEEZNS1_14transform_implILb1ES3_S5_PKfPfNS0_8identityIfEEEE10hipError_tT2_T3_mT4_P12ihipStream_tbEUlT_E_NS1_11comp_targetILNS1_3genE9ELNS1_11target_archE1100ELNS1_3gpuE3ELNS1_3repE0EEENS1_30default_config_static_selectorELNS0_4arch9wavefront6targetE0EEEvT1_: ; @_ZN7rocprim17ROCPRIM_400000_NS6detail17trampoline_kernelINS0_14default_configENS1_25transform_config_selectorIfLb1EEEZNS1_14transform_implILb1ES3_S5_PKfPfNS0_8identityIfEEEE10hipError_tT2_T3_mT4_P12ihipStream_tbEUlT_E_NS1_11comp_targetILNS1_3genE9ELNS1_11target_archE1100ELNS1_3gpuE3ELNS1_3repE0EEENS1_30default_config_static_selectorELNS0_4arch9wavefront6targetE0EEEvT1_
; %bb.0:
	.section	.rodata,"a",@progbits
	.p2align	6, 0x0
	.amdhsa_kernel _ZN7rocprim17ROCPRIM_400000_NS6detail17trampoline_kernelINS0_14default_configENS1_25transform_config_selectorIfLb1EEEZNS1_14transform_implILb1ES3_S5_PKfPfNS0_8identityIfEEEE10hipError_tT2_T3_mT4_P12ihipStream_tbEUlT_E_NS1_11comp_targetILNS1_3genE9ELNS1_11target_archE1100ELNS1_3gpuE3ELNS1_3repE0EEENS1_30default_config_static_selectorELNS0_4arch9wavefront6targetE0EEEvT1_
		.amdhsa_group_segment_fixed_size 0
		.amdhsa_private_segment_fixed_size 0
		.amdhsa_kernarg_size 40
		.amdhsa_user_sgpr_count 2
		.amdhsa_user_sgpr_dispatch_ptr 0
		.amdhsa_user_sgpr_queue_ptr 0
		.amdhsa_user_sgpr_kernarg_segment_ptr 1
		.amdhsa_user_sgpr_dispatch_id 0
		.amdhsa_user_sgpr_kernarg_preload_length 0
		.amdhsa_user_sgpr_kernarg_preload_offset 0
		.amdhsa_user_sgpr_private_segment_size 0
		.amdhsa_wavefront_size32 1
		.amdhsa_uses_dynamic_stack 0
		.amdhsa_enable_private_segment 0
		.amdhsa_system_sgpr_workgroup_id_x 1
		.amdhsa_system_sgpr_workgroup_id_y 0
		.amdhsa_system_sgpr_workgroup_id_z 0
		.amdhsa_system_sgpr_workgroup_info 0
		.amdhsa_system_vgpr_workitem_id 0
		.amdhsa_next_free_vgpr 1
		.amdhsa_next_free_sgpr 1
		.amdhsa_named_barrier_count 0
		.amdhsa_reserve_vcc 0
		.amdhsa_float_round_mode_32 0
		.amdhsa_float_round_mode_16_64 0
		.amdhsa_float_denorm_mode_32 3
		.amdhsa_float_denorm_mode_16_64 3
		.amdhsa_fp16_overflow 0
		.amdhsa_memory_ordered 1
		.amdhsa_forward_progress 1
		.amdhsa_inst_pref_size 0
		.amdhsa_round_robin_scheduling 0
		.amdhsa_exception_fp_ieee_invalid_op 0
		.amdhsa_exception_fp_denorm_src 0
		.amdhsa_exception_fp_ieee_div_zero 0
		.amdhsa_exception_fp_ieee_overflow 0
		.amdhsa_exception_fp_ieee_underflow 0
		.amdhsa_exception_fp_ieee_inexact 0
		.amdhsa_exception_int_div_zero 0
	.end_amdhsa_kernel
	.section	.text._ZN7rocprim17ROCPRIM_400000_NS6detail17trampoline_kernelINS0_14default_configENS1_25transform_config_selectorIfLb1EEEZNS1_14transform_implILb1ES3_S5_PKfPfNS0_8identityIfEEEE10hipError_tT2_T3_mT4_P12ihipStream_tbEUlT_E_NS1_11comp_targetILNS1_3genE9ELNS1_11target_archE1100ELNS1_3gpuE3ELNS1_3repE0EEENS1_30default_config_static_selectorELNS0_4arch9wavefront6targetE0EEEvT1_,"axG",@progbits,_ZN7rocprim17ROCPRIM_400000_NS6detail17trampoline_kernelINS0_14default_configENS1_25transform_config_selectorIfLb1EEEZNS1_14transform_implILb1ES3_S5_PKfPfNS0_8identityIfEEEE10hipError_tT2_T3_mT4_P12ihipStream_tbEUlT_E_NS1_11comp_targetILNS1_3genE9ELNS1_11target_archE1100ELNS1_3gpuE3ELNS1_3repE0EEENS1_30default_config_static_selectorELNS0_4arch9wavefront6targetE0EEEvT1_,comdat
.Lfunc_end1317:
	.size	_ZN7rocprim17ROCPRIM_400000_NS6detail17trampoline_kernelINS0_14default_configENS1_25transform_config_selectorIfLb1EEEZNS1_14transform_implILb1ES3_S5_PKfPfNS0_8identityIfEEEE10hipError_tT2_T3_mT4_P12ihipStream_tbEUlT_E_NS1_11comp_targetILNS1_3genE9ELNS1_11target_archE1100ELNS1_3gpuE3ELNS1_3repE0EEENS1_30default_config_static_selectorELNS0_4arch9wavefront6targetE0EEEvT1_, .Lfunc_end1317-_ZN7rocprim17ROCPRIM_400000_NS6detail17trampoline_kernelINS0_14default_configENS1_25transform_config_selectorIfLb1EEEZNS1_14transform_implILb1ES3_S5_PKfPfNS0_8identityIfEEEE10hipError_tT2_T3_mT4_P12ihipStream_tbEUlT_E_NS1_11comp_targetILNS1_3genE9ELNS1_11target_archE1100ELNS1_3gpuE3ELNS1_3repE0EEENS1_30default_config_static_selectorELNS0_4arch9wavefront6targetE0EEEvT1_
                                        ; -- End function
	.set _ZN7rocprim17ROCPRIM_400000_NS6detail17trampoline_kernelINS0_14default_configENS1_25transform_config_selectorIfLb1EEEZNS1_14transform_implILb1ES3_S5_PKfPfNS0_8identityIfEEEE10hipError_tT2_T3_mT4_P12ihipStream_tbEUlT_E_NS1_11comp_targetILNS1_3genE9ELNS1_11target_archE1100ELNS1_3gpuE3ELNS1_3repE0EEENS1_30default_config_static_selectorELNS0_4arch9wavefront6targetE0EEEvT1_.num_vgpr, 0
	.set _ZN7rocprim17ROCPRIM_400000_NS6detail17trampoline_kernelINS0_14default_configENS1_25transform_config_selectorIfLb1EEEZNS1_14transform_implILb1ES3_S5_PKfPfNS0_8identityIfEEEE10hipError_tT2_T3_mT4_P12ihipStream_tbEUlT_E_NS1_11comp_targetILNS1_3genE9ELNS1_11target_archE1100ELNS1_3gpuE3ELNS1_3repE0EEENS1_30default_config_static_selectorELNS0_4arch9wavefront6targetE0EEEvT1_.num_agpr, 0
	.set _ZN7rocprim17ROCPRIM_400000_NS6detail17trampoline_kernelINS0_14default_configENS1_25transform_config_selectorIfLb1EEEZNS1_14transform_implILb1ES3_S5_PKfPfNS0_8identityIfEEEE10hipError_tT2_T3_mT4_P12ihipStream_tbEUlT_E_NS1_11comp_targetILNS1_3genE9ELNS1_11target_archE1100ELNS1_3gpuE3ELNS1_3repE0EEENS1_30default_config_static_selectorELNS0_4arch9wavefront6targetE0EEEvT1_.numbered_sgpr, 0
	.set _ZN7rocprim17ROCPRIM_400000_NS6detail17trampoline_kernelINS0_14default_configENS1_25transform_config_selectorIfLb1EEEZNS1_14transform_implILb1ES3_S5_PKfPfNS0_8identityIfEEEE10hipError_tT2_T3_mT4_P12ihipStream_tbEUlT_E_NS1_11comp_targetILNS1_3genE9ELNS1_11target_archE1100ELNS1_3gpuE3ELNS1_3repE0EEENS1_30default_config_static_selectorELNS0_4arch9wavefront6targetE0EEEvT1_.num_named_barrier, 0
	.set _ZN7rocprim17ROCPRIM_400000_NS6detail17trampoline_kernelINS0_14default_configENS1_25transform_config_selectorIfLb1EEEZNS1_14transform_implILb1ES3_S5_PKfPfNS0_8identityIfEEEE10hipError_tT2_T3_mT4_P12ihipStream_tbEUlT_E_NS1_11comp_targetILNS1_3genE9ELNS1_11target_archE1100ELNS1_3gpuE3ELNS1_3repE0EEENS1_30default_config_static_selectorELNS0_4arch9wavefront6targetE0EEEvT1_.private_seg_size, 0
	.set _ZN7rocprim17ROCPRIM_400000_NS6detail17trampoline_kernelINS0_14default_configENS1_25transform_config_selectorIfLb1EEEZNS1_14transform_implILb1ES3_S5_PKfPfNS0_8identityIfEEEE10hipError_tT2_T3_mT4_P12ihipStream_tbEUlT_E_NS1_11comp_targetILNS1_3genE9ELNS1_11target_archE1100ELNS1_3gpuE3ELNS1_3repE0EEENS1_30default_config_static_selectorELNS0_4arch9wavefront6targetE0EEEvT1_.uses_vcc, 0
	.set _ZN7rocprim17ROCPRIM_400000_NS6detail17trampoline_kernelINS0_14default_configENS1_25transform_config_selectorIfLb1EEEZNS1_14transform_implILb1ES3_S5_PKfPfNS0_8identityIfEEEE10hipError_tT2_T3_mT4_P12ihipStream_tbEUlT_E_NS1_11comp_targetILNS1_3genE9ELNS1_11target_archE1100ELNS1_3gpuE3ELNS1_3repE0EEENS1_30default_config_static_selectorELNS0_4arch9wavefront6targetE0EEEvT1_.uses_flat_scratch, 0
	.set _ZN7rocprim17ROCPRIM_400000_NS6detail17trampoline_kernelINS0_14default_configENS1_25transform_config_selectorIfLb1EEEZNS1_14transform_implILb1ES3_S5_PKfPfNS0_8identityIfEEEE10hipError_tT2_T3_mT4_P12ihipStream_tbEUlT_E_NS1_11comp_targetILNS1_3genE9ELNS1_11target_archE1100ELNS1_3gpuE3ELNS1_3repE0EEENS1_30default_config_static_selectorELNS0_4arch9wavefront6targetE0EEEvT1_.has_dyn_sized_stack, 0
	.set _ZN7rocprim17ROCPRIM_400000_NS6detail17trampoline_kernelINS0_14default_configENS1_25transform_config_selectorIfLb1EEEZNS1_14transform_implILb1ES3_S5_PKfPfNS0_8identityIfEEEE10hipError_tT2_T3_mT4_P12ihipStream_tbEUlT_E_NS1_11comp_targetILNS1_3genE9ELNS1_11target_archE1100ELNS1_3gpuE3ELNS1_3repE0EEENS1_30default_config_static_selectorELNS0_4arch9wavefront6targetE0EEEvT1_.has_recursion, 0
	.set _ZN7rocprim17ROCPRIM_400000_NS6detail17trampoline_kernelINS0_14default_configENS1_25transform_config_selectorIfLb1EEEZNS1_14transform_implILb1ES3_S5_PKfPfNS0_8identityIfEEEE10hipError_tT2_T3_mT4_P12ihipStream_tbEUlT_E_NS1_11comp_targetILNS1_3genE9ELNS1_11target_archE1100ELNS1_3gpuE3ELNS1_3repE0EEENS1_30default_config_static_selectorELNS0_4arch9wavefront6targetE0EEEvT1_.has_indirect_call, 0
	.section	.AMDGPU.csdata,"",@progbits
; Kernel info:
; codeLenInByte = 0
; TotalNumSgprs: 0
; NumVgprs: 0
; ScratchSize: 0
; MemoryBound: 0
; FloatMode: 240
; IeeeMode: 1
; LDSByteSize: 0 bytes/workgroup (compile time only)
; SGPRBlocks: 0
; VGPRBlocks: 0
; NumSGPRsForWavesPerEU: 1
; NumVGPRsForWavesPerEU: 1
; NamedBarCnt: 0
; Occupancy: 16
; WaveLimiterHint : 0
; COMPUTE_PGM_RSRC2:SCRATCH_EN: 0
; COMPUTE_PGM_RSRC2:USER_SGPR: 2
; COMPUTE_PGM_RSRC2:TRAP_HANDLER: 0
; COMPUTE_PGM_RSRC2:TGID_X_EN: 1
; COMPUTE_PGM_RSRC2:TGID_Y_EN: 0
; COMPUTE_PGM_RSRC2:TGID_Z_EN: 0
; COMPUTE_PGM_RSRC2:TIDIG_COMP_CNT: 0
	.section	.text._ZN7rocprim17ROCPRIM_400000_NS6detail17trampoline_kernelINS0_14default_configENS1_25transform_config_selectorIfLb1EEEZNS1_14transform_implILb1ES3_S5_PKfPfNS0_8identityIfEEEE10hipError_tT2_T3_mT4_P12ihipStream_tbEUlT_E_NS1_11comp_targetILNS1_3genE8ELNS1_11target_archE1030ELNS1_3gpuE2ELNS1_3repE0EEENS1_30default_config_static_selectorELNS0_4arch9wavefront6targetE0EEEvT1_,"axG",@progbits,_ZN7rocprim17ROCPRIM_400000_NS6detail17trampoline_kernelINS0_14default_configENS1_25transform_config_selectorIfLb1EEEZNS1_14transform_implILb1ES3_S5_PKfPfNS0_8identityIfEEEE10hipError_tT2_T3_mT4_P12ihipStream_tbEUlT_E_NS1_11comp_targetILNS1_3genE8ELNS1_11target_archE1030ELNS1_3gpuE2ELNS1_3repE0EEENS1_30default_config_static_selectorELNS0_4arch9wavefront6targetE0EEEvT1_,comdat
	.protected	_ZN7rocprim17ROCPRIM_400000_NS6detail17trampoline_kernelINS0_14default_configENS1_25transform_config_selectorIfLb1EEEZNS1_14transform_implILb1ES3_S5_PKfPfNS0_8identityIfEEEE10hipError_tT2_T3_mT4_P12ihipStream_tbEUlT_E_NS1_11comp_targetILNS1_3genE8ELNS1_11target_archE1030ELNS1_3gpuE2ELNS1_3repE0EEENS1_30default_config_static_selectorELNS0_4arch9wavefront6targetE0EEEvT1_ ; -- Begin function _ZN7rocprim17ROCPRIM_400000_NS6detail17trampoline_kernelINS0_14default_configENS1_25transform_config_selectorIfLb1EEEZNS1_14transform_implILb1ES3_S5_PKfPfNS0_8identityIfEEEE10hipError_tT2_T3_mT4_P12ihipStream_tbEUlT_E_NS1_11comp_targetILNS1_3genE8ELNS1_11target_archE1030ELNS1_3gpuE2ELNS1_3repE0EEENS1_30default_config_static_selectorELNS0_4arch9wavefront6targetE0EEEvT1_
	.globl	_ZN7rocprim17ROCPRIM_400000_NS6detail17trampoline_kernelINS0_14default_configENS1_25transform_config_selectorIfLb1EEEZNS1_14transform_implILb1ES3_S5_PKfPfNS0_8identityIfEEEE10hipError_tT2_T3_mT4_P12ihipStream_tbEUlT_E_NS1_11comp_targetILNS1_3genE8ELNS1_11target_archE1030ELNS1_3gpuE2ELNS1_3repE0EEENS1_30default_config_static_selectorELNS0_4arch9wavefront6targetE0EEEvT1_
	.p2align	8
	.type	_ZN7rocprim17ROCPRIM_400000_NS6detail17trampoline_kernelINS0_14default_configENS1_25transform_config_selectorIfLb1EEEZNS1_14transform_implILb1ES3_S5_PKfPfNS0_8identityIfEEEE10hipError_tT2_T3_mT4_P12ihipStream_tbEUlT_E_NS1_11comp_targetILNS1_3genE8ELNS1_11target_archE1030ELNS1_3gpuE2ELNS1_3repE0EEENS1_30default_config_static_selectorELNS0_4arch9wavefront6targetE0EEEvT1_,@function
_ZN7rocprim17ROCPRIM_400000_NS6detail17trampoline_kernelINS0_14default_configENS1_25transform_config_selectorIfLb1EEEZNS1_14transform_implILb1ES3_S5_PKfPfNS0_8identityIfEEEE10hipError_tT2_T3_mT4_P12ihipStream_tbEUlT_E_NS1_11comp_targetILNS1_3genE8ELNS1_11target_archE1030ELNS1_3gpuE2ELNS1_3repE0EEENS1_30default_config_static_selectorELNS0_4arch9wavefront6targetE0EEEvT1_: ; @_ZN7rocprim17ROCPRIM_400000_NS6detail17trampoline_kernelINS0_14default_configENS1_25transform_config_selectorIfLb1EEEZNS1_14transform_implILb1ES3_S5_PKfPfNS0_8identityIfEEEE10hipError_tT2_T3_mT4_P12ihipStream_tbEUlT_E_NS1_11comp_targetILNS1_3genE8ELNS1_11target_archE1030ELNS1_3gpuE2ELNS1_3repE0EEENS1_30default_config_static_selectorELNS0_4arch9wavefront6targetE0EEEvT1_
; %bb.0:
	.section	.rodata,"a",@progbits
	.p2align	6, 0x0
	.amdhsa_kernel _ZN7rocprim17ROCPRIM_400000_NS6detail17trampoline_kernelINS0_14default_configENS1_25transform_config_selectorIfLb1EEEZNS1_14transform_implILb1ES3_S5_PKfPfNS0_8identityIfEEEE10hipError_tT2_T3_mT4_P12ihipStream_tbEUlT_E_NS1_11comp_targetILNS1_3genE8ELNS1_11target_archE1030ELNS1_3gpuE2ELNS1_3repE0EEENS1_30default_config_static_selectorELNS0_4arch9wavefront6targetE0EEEvT1_
		.amdhsa_group_segment_fixed_size 0
		.amdhsa_private_segment_fixed_size 0
		.amdhsa_kernarg_size 40
		.amdhsa_user_sgpr_count 2
		.amdhsa_user_sgpr_dispatch_ptr 0
		.amdhsa_user_sgpr_queue_ptr 0
		.amdhsa_user_sgpr_kernarg_segment_ptr 1
		.amdhsa_user_sgpr_dispatch_id 0
		.amdhsa_user_sgpr_kernarg_preload_length 0
		.amdhsa_user_sgpr_kernarg_preload_offset 0
		.amdhsa_user_sgpr_private_segment_size 0
		.amdhsa_wavefront_size32 1
		.amdhsa_uses_dynamic_stack 0
		.amdhsa_enable_private_segment 0
		.amdhsa_system_sgpr_workgroup_id_x 1
		.amdhsa_system_sgpr_workgroup_id_y 0
		.amdhsa_system_sgpr_workgroup_id_z 0
		.amdhsa_system_sgpr_workgroup_info 0
		.amdhsa_system_vgpr_workitem_id 0
		.amdhsa_next_free_vgpr 1
		.amdhsa_next_free_sgpr 1
		.amdhsa_named_barrier_count 0
		.amdhsa_reserve_vcc 0
		.amdhsa_float_round_mode_32 0
		.amdhsa_float_round_mode_16_64 0
		.amdhsa_float_denorm_mode_32 3
		.amdhsa_float_denorm_mode_16_64 3
		.amdhsa_fp16_overflow 0
		.amdhsa_memory_ordered 1
		.amdhsa_forward_progress 1
		.amdhsa_inst_pref_size 0
		.amdhsa_round_robin_scheduling 0
		.amdhsa_exception_fp_ieee_invalid_op 0
		.amdhsa_exception_fp_denorm_src 0
		.amdhsa_exception_fp_ieee_div_zero 0
		.amdhsa_exception_fp_ieee_overflow 0
		.amdhsa_exception_fp_ieee_underflow 0
		.amdhsa_exception_fp_ieee_inexact 0
		.amdhsa_exception_int_div_zero 0
	.end_amdhsa_kernel
	.section	.text._ZN7rocprim17ROCPRIM_400000_NS6detail17trampoline_kernelINS0_14default_configENS1_25transform_config_selectorIfLb1EEEZNS1_14transform_implILb1ES3_S5_PKfPfNS0_8identityIfEEEE10hipError_tT2_T3_mT4_P12ihipStream_tbEUlT_E_NS1_11comp_targetILNS1_3genE8ELNS1_11target_archE1030ELNS1_3gpuE2ELNS1_3repE0EEENS1_30default_config_static_selectorELNS0_4arch9wavefront6targetE0EEEvT1_,"axG",@progbits,_ZN7rocprim17ROCPRIM_400000_NS6detail17trampoline_kernelINS0_14default_configENS1_25transform_config_selectorIfLb1EEEZNS1_14transform_implILb1ES3_S5_PKfPfNS0_8identityIfEEEE10hipError_tT2_T3_mT4_P12ihipStream_tbEUlT_E_NS1_11comp_targetILNS1_3genE8ELNS1_11target_archE1030ELNS1_3gpuE2ELNS1_3repE0EEENS1_30default_config_static_selectorELNS0_4arch9wavefront6targetE0EEEvT1_,comdat
.Lfunc_end1318:
	.size	_ZN7rocprim17ROCPRIM_400000_NS6detail17trampoline_kernelINS0_14default_configENS1_25transform_config_selectorIfLb1EEEZNS1_14transform_implILb1ES3_S5_PKfPfNS0_8identityIfEEEE10hipError_tT2_T3_mT4_P12ihipStream_tbEUlT_E_NS1_11comp_targetILNS1_3genE8ELNS1_11target_archE1030ELNS1_3gpuE2ELNS1_3repE0EEENS1_30default_config_static_selectorELNS0_4arch9wavefront6targetE0EEEvT1_, .Lfunc_end1318-_ZN7rocprim17ROCPRIM_400000_NS6detail17trampoline_kernelINS0_14default_configENS1_25transform_config_selectorIfLb1EEEZNS1_14transform_implILb1ES3_S5_PKfPfNS0_8identityIfEEEE10hipError_tT2_T3_mT4_P12ihipStream_tbEUlT_E_NS1_11comp_targetILNS1_3genE8ELNS1_11target_archE1030ELNS1_3gpuE2ELNS1_3repE0EEENS1_30default_config_static_selectorELNS0_4arch9wavefront6targetE0EEEvT1_
                                        ; -- End function
	.set _ZN7rocprim17ROCPRIM_400000_NS6detail17trampoline_kernelINS0_14default_configENS1_25transform_config_selectorIfLb1EEEZNS1_14transform_implILb1ES3_S5_PKfPfNS0_8identityIfEEEE10hipError_tT2_T3_mT4_P12ihipStream_tbEUlT_E_NS1_11comp_targetILNS1_3genE8ELNS1_11target_archE1030ELNS1_3gpuE2ELNS1_3repE0EEENS1_30default_config_static_selectorELNS0_4arch9wavefront6targetE0EEEvT1_.num_vgpr, 0
	.set _ZN7rocprim17ROCPRIM_400000_NS6detail17trampoline_kernelINS0_14default_configENS1_25transform_config_selectorIfLb1EEEZNS1_14transform_implILb1ES3_S5_PKfPfNS0_8identityIfEEEE10hipError_tT2_T3_mT4_P12ihipStream_tbEUlT_E_NS1_11comp_targetILNS1_3genE8ELNS1_11target_archE1030ELNS1_3gpuE2ELNS1_3repE0EEENS1_30default_config_static_selectorELNS0_4arch9wavefront6targetE0EEEvT1_.num_agpr, 0
	.set _ZN7rocprim17ROCPRIM_400000_NS6detail17trampoline_kernelINS0_14default_configENS1_25transform_config_selectorIfLb1EEEZNS1_14transform_implILb1ES3_S5_PKfPfNS0_8identityIfEEEE10hipError_tT2_T3_mT4_P12ihipStream_tbEUlT_E_NS1_11comp_targetILNS1_3genE8ELNS1_11target_archE1030ELNS1_3gpuE2ELNS1_3repE0EEENS1_30default_config_static_selectorELNS0_4arch9wavefront6targetE0EEEvT1_.numbered_sgpr, 0
	.set _ZN7rocprim17ROCPRIM_400000_NS6detail17trampoline_kernelINS0_14default_configENS1_25transform_config_selectorIfLb1EEEZNS1_14transform_implILb1ES3_S5_PKfPfNS0_8identityIfEEEE10hipError_tT2_T3_mT4_P12ihipStream_tbEUlT_E_NS1_11comp_targetILNS1_3genE8ELNS1_11target_archE1030ELNS1_3gpuE2ELNS1_3repE0EEENS1_30default_config_static_selectorELNS0_4arch9wavefront6targetE0EEEvT1_.num_named_barrier, 0
	.set _ZN7rocprim17ROCPRIM_400000_NS6detail17trampoline_kernelINS0_14default_configENS1_25transform_config_selectorIfLb1EEEZNS1_14transform_implILb1ES3_S5_PKfPfNS0_8identityIfEEEE10hipError_tT2_T3_mT4_P12ihipStream_tbEUlT_E_NS1_11comp_targetILNS1_3genE8ELNS1_11target_archE1030ELNS1_3gpuE2ELNS1_3repE0EEENS1_30default_config_static_selectorELNS0_4arch9wavefront6targetE0EEEvT1_.private_seg_size, 0
	.set _ZN7rocprim17ROCPRIM_400000_NS6detail17trampoline_kernelINS0_14default_configENS1_25transform_config_selectorIfLb1EEEZNS1_14transform_implILb1ES3_S5_PKfPfNS0_8identityIfEEEE10hipError_tT2_T3_mT4_P12ihipStream_tbEUlT_E_NS1_11comp_targetILNS1_3genE8ELNS1_11target_archE1030ELNS1_3gpuE2ELNS1_3repE0EEENS1_30default_config_static_selectorELNS0_4arch9wavefront6targetE0EEEvT1_.uses_vcc, 0
	.set _ZN7rocprim17ROCPRIM_400000_NS6detail17trampoline_kernelINS0_14default_configENS1_25transform_config_selectorIfLb1EEEZNS1_14transform_implILb1ES3_S5_PKfPfNS0_8identityIfEEEE10hipError_tT2_T3_mT4_P12ihipStream_tbEUlT_E_NS1_11comp_targetILNS1_3genE8ELNS1_11target_archE1030ELNS1_3gpuE2ELNS1_3repE0EEENS1_30default_config_static_selectorELNS0_4arch9wavefront6targetE0EEEvT1_.uses_flat_scratch, 0
	.set _ZN7rocprim17ROCPRIM_400000_NS6detail17trampoline_kernelINS0_14default_configENS1_25transform_config_selectorIfLb1EEEZNS1_14transform_implILb1ES3_S5_PKfPfNS0_8identityIfEEEE10hipError_tT2_T3_mT4_P12ihipStream_tbEUlT_E_NS1_11comp_targetILNS1_3genE8ELNS1_11target_archE1030ELNS1_3gpuE2ELNS1_3repE0EEENS1_30default_config_static_selectorELNS0_4arch9wavefront6targetE0EEEvT1_.has_dyn_sized_stack, 0
	.set _ZN7rocprim17ROCPRIM_400000_NS6detail17trampoline_kernelINS0_14default_configENS1_25transform_config_selectorIfLb1EEEZNS1_14transform_implILb1ES3_S5_PKfPfNS0_8identityIfEEEE10hipError_tT2_T3_mT4_P12ihipStream_tbEUlT_E_NS1_11comp_targetILNS1_3genE8ELNS1_11target_archE1030ELNS1_3gpuE2ELNS1_3repE0EEENS1_30default_config_static_selectorELNS0_4arch9wavefront6targetE0EEEvT1_.has_recursion, 0
	.set _ZN7rocprim17ROCPRIM_400000_NS6detail17trampoline_kernelINS0_14default_configENS1_25transform_config_selectorIfLb1EEEZNS1_14transform_implILb1ES3_S5_PKfPfNS0_8identityIfEEEE10hipError_tT2_T3_mT4_P12ihipStream_tbEUlT_E_NS1_11comp_targetILNS1_3genE8ELNS1_11target_archE1030ELNS1_3gpuE2ELNS1_3repE0EEENS1_30default_config_static_selectorELNS0_4arch9wavefront6targetE0EEEvT1_.has_indirect_call, 0
	.section	.AMDGPU.csdata,"",@progbits
; Kernel info:
; codeLenInByte = 0
; TotalNumSgprs: 0
; NumVgprs: 0
; ScratchSize: 0
; MemoryBound: 0
; FloatMode: 240
; IeeeMode: 1
; LDSByteSize: 0 bytes/workgroup (compile time only)
; SGPRBlocks: 0
; VGPRBlocks: 0
; NumSGPRsForWavesPerEU: 1
; NumVGPRsForWavesPerEU: 1
; NamedBarCnt: 0
; Occupancy: 16
; WaveLimiterHint : 0
; COMPUTE_PGM_RSRC2:SCRATCH_EN: 0
; COMPUTE_PGM_RSRC2:USER_SGPR: 2
; COMPUTE_PGM_RSRC2:TRAP_HANDLER: 0
; COMPUTE_PGM_RSRC2:TGID_X_EN: 1
; COMPUTE_PGM_RSRC2:TGID_Y_EN: 0
; COMPUTE_PGM_RSRC2:TGID_Z_EN: 0
; COMPUTE_PGM_RSRC2:TIDIG_COMP_CNT: 0
	.section	.text._ZN7rocprim17ROCPRIM_400000_NS6detail17trampoline_kernelINS0_14default_configENS1_35radix_sort_onesweep_config_selectorIfNS0_10empty_typeEEEZZNS1_29radix_sort_onesweep_iterationIS3_Lb1EPKfPfPS5_SB_mNS0_19identity_decomposerENS1_16block_id_wrapperIjLb1EEEEE10hipError_tT1_PNSt15iterator_traitsISG_E10value_typeET2_T3_PNSH_ISM_E10value_typeET4_T5_PSR_SS_PNS1_23onesweep_lookback_stateEbbT6_jjT7_P12ihipStream_tbENKUlT_T0_SG_SL_E_clIS9_SA_SB_SB_EEDaSZ_S10_SG_SL_EUlSZ_E_NS1_11comp_targetILNS1_3genE0ELNS1_11target_archE4294967295ELNS1_3gpuE0ELNS1_3repE0EEENS1_47radix_sort_onesweep_sort_config_static_selectorELNS0_4arch9wavefront6targetE0EEEvSG_,"axG",@progbits,_ZN7rocprim17ROCPRIM_400000_NS6detail17trampoline_kernelINS0_14default_configENS1_35radix_sort_onesweep_config_selectorIfNS0_10empty_typeEEEZZNS1_29radix_sort_onesweep_iterationIS3_Lb1EPKfPfPS5_SB_mNS0_19identity_decomposerENS1_16block_id_wrapperIjLb1EEEEE10hipError_tT1_PNSt15iterator_traitsISG_E10value_typeET2_T3_PNSH_ISM_E10value_typeET4_T5_PSR_SS_PNS1_23onesweep_lookback_stateEbbT6_jjT7_P12ihipStream_tbENKUlT_T0_SG_SL_E_clIS9_SA_SB_SB_EEDaSZ_S10_SG_SL_EUlSZ_E_NS1_11comp_targetILNS1_3genE0ELNS1_11target_archE4294967295ELNS1_3gpuE0ELNS1_3repE0EEENS1_47radix_sort_onesweep_sort_config_static_selectorELNS0_4arch9wavefront6targetE0EEEvSG_,comdat
	.protected	_ZN7rocprim17ROCPRIM_400000_NS6detail17trampoline_kernelINS0_14default_configENS1_35radix_sort_onesweep_config_selectorIfNS0_10empty_typeEEEZZNS1_29radix_sort_onesweep_iterationIS3_Lb1EPKfPfPS5_SB_mNS0_19identity_decomposerENS1_16block_id_wrapperIjLb1EEEEE10hipError_tT1_PNSt15iterator_traitsISG_E10value_typeET2_T3_PNSH_ISM_E10value_typeET4_T5_PSR_SS_PNS1_23onesweep_lookback_stateEbbT6_jjT7_P12ihipStream_tbENKUlT_T0_SG_SL_E_clIS9_SA_SB_SB_EEDaSZ_S10_SG_SL_EUlSZ_E_NS1_11comp_targetILNS1_3genE0ELNS1_11target_archE4294967295ELNS1_3gpuE0ELNS1_3repE0EEENS1_47radix_sort_onesweep_sort_config_static_selectorELNS0_4arch9wavefront6targetE0EEEvSG_ ; -- Begin function _ZN7rocprim17ROCPRIM_400000_NS6detail17trampoline_kernelINS0_14default_configENS1_35radix_sort_onesweep_config_selectorIfNS0_10empty_typeEEEZZNS1_29radix_sort_onesweep_iterationIS3_Lb1EPKfPfPS5_SB_mNS0_19identity_decomposerENS1_16block_id_wrapperIjLb1EEEEE10hipError_tT1_PNSt15iterator_traitsISG_E10value_typeET2_T3_PNSH_ISM_E10value_typeET4_T5_PSR_SS_PNS1_23onesweep_lookback_stateEbbT6_jjT7_P12ihipStream_tbENKUlT_T0_SG_SL_E_clIS9_SA_SB_SB_EEDaSZ_S10_SG_SL_EUlSZ_E_NS1_11comp_targetILNS1_3genE0ELNS1_11target_archE4294967295ELNS1_3gpuE0ELNS1_3repE0EEENS1_47radix_sort_onesweep_sort_config_static_selectorELNS0_4arch9wavefront6targetE0EEEvSG_
	.globl	_ZN7rocprim17ROCPRIM_400000_NS6detail17trampoline_kernelINS0_14default_configENS1_35radix_sort_onesweep_config_selectorIfNS0_10empty_typeEEEZZNS1_29radix_sort_onesweep_iterationIS3_Lb1EPKfPfPS5_SB_mNS0_19identity_decomposerENS1_16block_id_wrapperIjLb1EEEEE10hipError_tT1_PNSt15iterator_traitsISG_E10value_typeET2_T3_PNSH_ISM_E10value_typeET4_T5_PSR_SS_PNS1_23onesweep_lookback_stateEbbT6_jjT7_P12ihipStream_tbENKUlT_T0_SG_SL_E_clIS9_SA_SB_SB_EEDaSZ_S10_SG_SL_EUlSZ_E_NS1_11comp_targetILNS1_3genE0ELNS1_11target_archE4294967295ELNS1_3gpuE0ELNS1_3repE0EEENS1_47radix_sort_onesweep_sort_config_static_selectorELNS0_4arch9wavefront6targetE0EEEvSG_
	.p2align	8
	.type	_ZN7rocprim17ROCPRIM_400000_NS6detail17trampoline_kernelINS0_14default_configENS1_35radix_sort_onesweep_config_selectorIfNS0_10empty_typeEEEZZNS1_29radix_sort_onesweep_iterationIS3_Lb1EPKfPfPS5_SB_mNS0_19identity_decomposerENS1_16block_id_wrapperIjLb1EEEEE10hipError_tT1_PNSt15iterator_traitsISG_E10value_typeET2_T3_PNSH_ISM_E10value_typeET4_T5_PSR_SS_PNS1_23onesweep_lookback_stateEbbT6_jjT7_P12ihipStream_tbENKUlT_T0_SG_SL_E_clIS9_SA_SB_SB_EEDaSZ_S10_SG_SL_EUlSZ_E_NS1_11comp_targetILNS1_3genE0ELNS1_11target_archE4294967295ELNS1_3gpuE0ELNS1_3repE0EEENS1_47radix_sort_onesweep_sort_config_static_selectorELNS0_4arch9wavefront6targetE0EEEvSG_,@function
_ZN7rocprim17ROCPRIM_400000_NS6detail17trampoline_kernelINS0_14default_configENS1_35radix_sort_onesweep_config_selectorIfNS0_10empty_typeEEEZZNS1_29radix_sort_onesweep_iterationIS3_Lb1EPKfPfPS5_SB_mNS0_19identity_decomposerENS1_16block_id_wrapperIjLb1EEEEE10hipError_tT1_PNSt15iterator_traitsISG_E10value_typeET2_T3_PNSH_ISM_E10value_typeET4_T5_PSR_SS_PNS1_23onesweep_lookback_stateEbbT6_jjT7_P12ihipStream_tbENKUlT_T0_SG_SL_E_clIS9_SA_SB_SB_EEDaSZ_S10_SG_SL_EUlSZ_E_NS1_11comp_targetILNS1_3genE0ELNS1_11target_archE4294967295ELNS1_3gpuE0ELNS1_3repE0EEENS1_47radix_sort_onesweep_sort_config_static_selectorELNS0_4arch9wavefront6targetE0EEEvSG_: ; @_ZN7rocprim17ROCPRIM_400000_NS6detail17trampoline_kernelINS0_14default_configENS1_35radix_sort_onesweep_config_selectorIfNS0_10empty_typeEEEZZNS1_29radix_sort_onesweep_iterationIS3_Lb1EPKfPfPS5_SB_mNS0_19identity_decomposerENS1_16block_id_wrapperIjLb1EEEEE10hipError_tT1_PNSt15iterator_traitsISG_E10value_typeET2_T3_PNSH_ISM_E10value_typeET4_T5_PSR_SS_PNS1_23onesweep_lookback_stateEbbT6_jjT7_P12ihipStream_tbENKUlT_T0_SG_SL_E_clIS9_SA_SB_SB_EEDaSZ_S10_SG_SL_EUlSZ_E_NS1_11comp_targetILNS1_3genE0ELNS1_11target_archE4294967295ELNS1_3gpuE0ELNS1_3repE0EEENS1_47radix_sort_onesweep_sort_config_static_selectorELNS0_4arch9wavefront6targetE0EEEvSG_
; %bb.0:
	s_clause 0x1
	s_load_b128 s[12:15], s[0:1], 0x28
	s_load_b64 s[10:11], s[0:1], 0x38
	v_and_b32_e32 v14, 0x3ff, v0
	s_delay_alu instid0(VALU_DEP_1)
	v_cmp_eq_u32_e64 s2, 0, v14
	s_and_saveexec_b32 s3, s2
	s_cbranch_execz .LBB1319_4
; %bb.1:
	s_mov_b32 s5, exec_lo
	s_mov_b32 s4, exec_lo
	v_mbcnt_lo_u32_b32 v1, s5, 0
                                        ; implicit-def: $vgpr2
	s_delay_alu instid0(VALU_DEP_1)
	v_cmpx_eq_u32_e32 0, v1
	s_cbranch_execz .LBB1319_3
; %bb.2:
	s_load_b64 s[6:7], s[0:1], 0x50
	s_bcnt1_i32_b32 s5, s5
	s_delay_alu instid0(SALU_CYCLE_1)
	v_dual_mov_b32 v2, 0 :: v_dual_mov_b32 v3, s5
	s_wait_xcnt 0x0
	s_wait_kmcnt 0x0
	global_atomic_add_u32 v2, v2, v3, s[6:7] th:TH_ATOMIC_RETURN scope:SCOPE_DEV
.LBB1319_3:
	s_wait_xcnt 0x0
	s_or_b32 exec_lo, exec_lo, s4
	s_wait_loadcnt 0x0
	v_readfirstlane_b32 s4, v2
	s_delay_alu instid0(VALU_DEP_1)
	v_dual_mov_b32 v2, 0 :: v_dual_add_nc_u32 v1, s4, v1
	ds_store_b32 v2, v1 offset:18496
.LBB1319_4:
	s_or_b32 exec_lo, exec_lo, s3
	v_mov_b32_e32 v3, 0
	s_clause 0x2
	s_load_b128 s[16:19], s[0:1], 0x0
	s_load_b32 s3, s[0:1], 0x20
	s_load_b96 s[20:22], s[0:1], 0x44
	s_wait_dscnt 0x0
	s_barrier_signal -1
	s_barrier_wait -1
	ds_load_b32 v1, v3 offset:18496
	v_mbcnt_lo_u32_b32 v15, -1, 0
	v_and_b32_e32 v16, 0x3e0, v14
	s_mov_b32 s4, -1
	s_add_nc_u64 s[26:27], s[0:1], 0x58
	s_getreg_b32 s28, hwreg(HW_REG_IB_STS2, 6, 4)
	s_wait_dscnt 0x0
	s_barrier_signal -1
	s_barrier_wait -1
	s_wait_kmcnt 0x0
	v_cmp_le_u32_e32 vcc_lo, s22, v1
	v_readfirstlane_b32 s23, v1
	s_mul_i32 s24, s23, 0x1800
	s_cbranch_vccz .LBB1319_94
; %bb.5:
	s_mov_b32 s25, 0
	v_mul_u32_u24_e32 v1, 12, v16
	v_lshlrev_b32_e32 v2, 2, v15
	s_lshl_b64 s[4:5], s[24:25], 2
	s_mulk_i32 s22, 0xe800
	s_add_nc_u64 s[4:5], s[16:17], s[4:5]
	v_or_b32_e32 v10, v15, v1
	v_add_nc_u64_e32 v[4:5], s[4:5], v[2:3]
	v_dual_lshlrev_b32 v2, 2, v1 :: v_dual_mov_b32 v12, -1
	v_mov_b32_e32 v1, -1
	s_add_co_i32 s22, s22, s3
	s_mov_b32 s3, exec_lo
	s_delay_alu instid0(VALU_DEP_2)
	v_add_nc_u64_e32 v[2:3], v[4:5], v[2:3]
	v_cmpx_gt_u32_e64 s22, v10
	s_cbranch_execz .LBB1319_7
; %bb.6:
	global_load_b32 v1, v[2:3], off
.LBB1319_7:
	s_wait_xcnt 0x0
	s_or_b32 exec_lo, exec_lo, s3
	v_or_b32_e32 v4, 32, v10
	s_mov_b32 s3, exec_lo
	s_delay_alu instid0(VALU_DEP_1)
	v_cmpx_gt_u32_e64 s22, v4
	s_cbranch_execz .LBB1319_9
; %bb.8:
	global_load_b32 v12, v[2:3], off offset:128
.LBB1319_9:
	s_wait_xcnt 0x0
	s_or_b32 exec_lo, exec_lo, s3
	v_dual_mov_b32 v19, -1 :: v_dual_bitop2_b32 v4, 64, v10 bitop3:0x54
	v_mov_b32_e32 v13, -1
	s_mov_b32 s3, exec_lo
	s_delay_alu instid0(VALU_DEP_2)
	v_cmpx_gt_u32_e64 s22, v4
	s_cbranch_execz .LBB1319_11
; %bb.10:
	global_load_b32 v13, v[2:3], off offset:256
.LBB1319_11:
	s_wait_xcnt 0x0
	s_or_b32 exec_lo, exec_lo, s3
	v_or_b32_e32 v4, 0x60, v10
	s_mov_b32 s3, exec_lo
	s_delay_alu instid0(VALU_DEP_1)
	v_cmpx_gt_u32_e64 s22, v4
	s_cbranch_execz .LBB1319_13
; %bb.12:
	global_load_b32 v19, v[2:3], off offset:384
.LBB1319_13:
	s_wait_xcnt 0x0
	s_or_b32 exec_lo, exec_lo, s3
	v_dual_mov_b32 v21, -1 :: v_dual_add_nc_u32 v4, 0x80, v10
	v_mov_b32_e32 v24, -1
	s_mov_b32 s3, exec_lo
	s_delay_alu instid0(VALU_DEP_2)
	v_cmpx_gt_u32_e64 s22, v4
	s_cbranch_execz .LBB1319_15
; %bb.14:
	global_load_b32 v21, v[2:3], off offset:512
.LBB1319_15:
	s_wait_xcnt 0x0
	s_or_b32 exec_lo, exec_lo, s3
	v_add_nc_u32_e32 v4, 0xa0, v10
	s_mov_b32 s3, exec_lo
	s_delay_alu instid0(VALU_DEP_1)
	v_cmpx_gt_u32_e64 s22, v4
	s_cbranch_execz .LBB1319_17
; %bb.16:
	global_load_b32 v24, v[2:3], off offset:640
.LBB1319_17:
	s_wait_xcnt 0x0
	s_or_b32 exec_lo, exec_lo, s3
	v_dual_mov_b32 v9, -1 :: v_dual_add_nc_u32 v4, 0xc0, v10
	v_mov_b32_e32 v8, -1
	s_mov_b32 s3, exec_lo
	s_delay_alu instid0(VALU_DEP_2)
	v_cmpx_gt_u32_e64 s22, v4
	s_cbranch_execz .LBB1319_19
; %bb.18:
	global_load_b32 v9, v[2:3], off offset:768
.LBB1319_19:
	s_wait_xcnt 0x0
	s_or_b32 exec_lo, exec_lo, s3
	v_add_nc_u32_e32 v4, 0xe0, v10
	;; [unrolled: 21-line block ×3, first 2 shown]
	s_mov_b32 s3, exec_lo
	s_delay_alu instid0(VALU_DEP_1)
	v_cmpx_gt_u32_e64 s22, v4
	s_cbranch_execz .LBB1319_25
; %bb.24:
	global_load_b32 v6, v[2:3], off offset:1152
.LBB1319_25:
	s_wait_xcnt 0x0
	s_or_b32 exec_lo, exec_lo, s3
	v_dual_mov_b32 v4, -1 :: v_dual_add_nc_u32 v5, 0x140, v10
	s_delay_alu instid0(VALU_DEP_1)
	v_cmp_gt_u32_e32 vcc_lo, s22, v5
	v_mov_b32_e32 v5, -1
	s_and_saveexec_b32 s3, vcc_lo
	s_cbranch_execz .LBB1319_27
; %bb.26:
	global_load_b32 v5, v[2:3], off offset:1280
.LBB1319_27:
	s_wait_xcnt 0x0
	s_or_b32 exec_lo, exec_lo, s3
	v_add_nc_u32_e32 v10, 0x160, v10
	s_mov_b32 s3, exec_lo
	s_delay_alu instid0(VALU_DEP_1)
	v_cmpx_gt_u32_e64 s22, v10
	s_cbranch_execz .LBB1319_29
; %bb.28:
	global_load_b32 v4, v[2:3], off offset:1408
.LBB1319_29:
	s_wait_xcnt 0x0
	s_or_b32 exec_lo, exec_lo, s3
	s_wait_loadcnt 0x0
	v_cmp_gt_i32_e32 vcc_lo, 0, v1
	s_clause 0x1
	s_load_b32 s25, s[0:1], 0x58
	s_load_u16 s3, s[0:1], 0x66
	s_bfe_u32 s4, ttmp6, 0x4000c
	s_and_b32 s5, ttmp6, 15
	v_cndmask_b32_e64 v2, 0x7fffffff, 0, vcc_lo
	s_add_co_i32 s4, s4, 1
	v_bfe_u32 v10, v0, 20, 10
	s_mul_i32 s4, ttmp9, s4
	s_delay_alu instid0(SALU_CYCLE_1)
	s_add_co_i32 s5, s5, s4
	v_xor_b32_e32 v1, v2, v1
	s_cmp_eq_u32 s28, 0
	v_bfe_u32 v2, v0, 10, 10
	s_cselect_b32 s4, ttmp9, s5
	s_mov_b32 s5, 0
	v_cmp_ne_u32_e32 vcc_lo, 0x80000000, v1
	v_cndmask_b32_e32 v3, 0x7fffffff, v1, vcc_lo
	s_wait_kmcnt 0x0
	s_cmp_lt_u32 s4, s25
	v_mad_u32_u24 v2, v10, s3, v2
	s_cselect_b32 s4, 12, 18
	s_lshl_b32 s6, -1, s21
	v_lshrrev_b32_e32 v3, s20, v3
	s_add_nc_u64 s[4:5], s[26:27], s[4:5]
	s_not_b32 s29, s6
	s_load_u16 s7, s[4:5], 0x0
	s_delay_alu instid0(VALU_DEP_1) | instskip(SKIP_1) | instid1(VALU_DEP_2)
	v_bitop3_b32 v11, v3, s6, v3 bitop3:0x30
	v_bitop3_b32 v10, v3, 1, s6 bitop3:0x40
	v_dual_lshlrev_b32 v17, 30, v11 :: v_dual_lshlrev_b32 v20, 28, v11
	s_delay_alu instid0(VALU_DEP_2) | instskip(NEXT) | instid1(VALU_DEP_1)
	v_add_co_u32 v3, s3, v10, -1
	v_cndmask_b32_e64 v10, 0, 1, s3
	v_lshlrev_b32_e32 v18, 29, v11
	s_delay_alu instid0(VALU_DEP_4) | instskip(SKIP_1) | instid1(VALU_DEP_4)
	v_not_b32_e32 v25, v17
	v_dual_lshlrev_b32 v22, 27, v11 :: v_dual_lshlrev_b32 v23, 26, v11
	v_cmp_ne_u32_e32 vcc_lo, 0, v10
	v_cmp_gt_i32_e64 s3, 0, v17
	v_not_b32_e32 v10, v18
	s_wait_xcnt 0x0
	v_cmp_gt_i32_e64 s4, 0, v18
	v_ashrrev_i32_e32 v17, 31, v25
	v_not_b32_e32 v18, v20
	v_cmp_gt_i32_e64 s5, 0, v20
	v_dual_ashrrev_i32 v10, 31, v10 :: v_dual_bitop2_b32 v3, vcc_lo, v3 bitop3:0x14
	v_not_b32_e32 v20, v22
	s_delay_alu instid0(VALU_DEP_4) | instskip(NEXT) | instid1(VALU_DEP_3)
	v_dual_ashrrev_i32 v18, 31, v18 :: v_dual_bitop2_b32 v17, s3, v17 bitop3:0x14
	v_xor_b32_e32 v10, s4, v10
	v_cmp_gt_i32_e32 vcc_lo, 0, v22
	s_delay_alu instid0(VALU_DEP_4) | instskip(NEXT) | instid1(VALU_DEP_4)
	v_ashrrev_i32_e32 v20, 31, v20
	v_bitop3_b32 v3, v3, v17, exec_lo bitop3:0x80
	v_xor_b32_e32 v17, s5, v18
	v_not_b32_e32 v18, v23
	v_lshlrev_b32_e32 v22, 25, v11
	v_cmp_gt_i32_e64 s3, 0, v23
	v_lshlrev_b32_e32 v23, 24, v11
	s_wait_kmcnt 0x0
	v_mad_u32 v2, v2, s7, v14
	v_ashrrev_i32_e32 v18, 31, v18
	v_bitop3_b32 v3, v3, v17, v10 bitop3:0x80
	v_not_b32_e32 v10, v22
	v_xor_b32_e32 v17, vcc_lo, v20
	v_not_b32_e32 v20, v23
	v_xor_b32_e32 v18, s3, v18
	v_cmp_gt_i32_e32 vcc_lo, 0, v22
	v_cmp_gt_i32_e64 s3, 0, v23
	s_delay_alu instid0(VALU_DEP_4) | instskip(NEXT) | instid1(VALU_DEP_4)
	v_dual_ashrrev_i32 v20, 31, v20 :: v_dual_ashrrev_i32 v22, 31, v10
	v_bitop3_b32 v3, v3, v18, v17 bitop3:0x80
	v_lshrrev_b32_e32 v2, 5, v2
	v_mul_u32_u24_e32 v10, 36, v14
	s_delay_alu instid0(VALU_DEP_4) | instskip(SKIP_1) | instid1(VALU_DEP_4)
	v_xor_b32_e32 v18, s3, v20
	v_dual_mov_b32 v22, 0 :: v_dual_bitop2_b32 v17, vcc_lo, v22 bitop3:0x14
	v_lshlrev_b32_e32 v2, 2, v2
	ds_store_2addr_b32 v10, v22, v22 offset0:16 offset1:17
	ds_store_2addr_b32 v10, v22, v22 offset0:18 offset1:19
	;; [unrolled: 1-line block ×4, first 2 shown]
	v_bitop3_b32 v3, v3, v18, v17 bitop3:0x80
	v_mad_u32 v11, 0x44, v11, v2
	ds_store_b32 v10, v22 offset:96
	s_wait_dscnt 0x0
	s_barrier_signal -1
	v_mbcnt_lo_u32_b32 v20, v3, 0
	v_cmp_ne_u32_e64 s3, 0, v3
	s_barrier_wait -1
	s_delay_alu instid0(VALU_DEP_2) | instskip(SKIP_1) | instid1(SALU_CYCLE_1)
	v_cmp_eq_u32_e32 vcc_lo, 0, v20
	; wave barrier
	s_and_b32 s4, s3, vcc_lo
	s_and_saveexec_b32 s3, s4
; %bb.30:
	v_bcnt_u32_b32 v3, v3, 0
	ds_store_b32 v11, v3 offset:64
; %bb.31:
	s_or_b32 exec_lo, exec_lo, s3
	v_cmp_gt_i32_e32 vcc_lo, 0, v12
	; wave barrier
	v_cndmask_b32_e64 v3, 0x7fffffff, 0, vcc_lo
	s_delay_alu instid0(VALU_DEP_1) | instskip(NEXT) | instid1(VALU_DEP_1)
	v_xor_b32_e32 v17, v3, v12
	v_cmp_ne_u32_e32 vcc_lo, 0x80000000, v17
	v_cndmask_b32_e32 v3, 0x7fffffff, v17, vcc_lo
	s_delay_alu instid0(VALU_DEP_1) | instskip(NEXT) | instid1(VALU_DEP_1)
	v_lshrrev_b32_e32 v3, s20, v3
	v_and_b32_e32 v18, s29, v3
	v_bitop3_b32 v3, v3, 1, s29 bitop3:0x80
	s_delay_alu instid0(VALU_DEP_2) | instskip(NEXT) | instid1(VALU_DEP_2)
	v_lshlrev_b32_e32 v23, 30, v18
	v_add_co_u32 v3, s3, v3, -1
	s_delay_alu instid0(VALU_DEP_1) | instskip(NEXT) | instid1(VALU_DEP_1)
	v_cndmask_b32_e64 v22, 0, 1, s3
	v_cmp_ne_u32_e32 vcc_lo, 0, v22
	s_delay_alu instid0(VALU_DEP_4) | instskip(NEXT) | instid1(VALU_DEP_1)
	v_not_b32_e32 v22, v23
	v_ashrrev_i32_e32 v22, 31, v22
	v_dual_lshlrev_b32 v25, 29, v18 :: v_dual_lshlrev_b32 v26, 28, v18
	v_dual_lshlrev_b32 v27, 27, v18 :: v_dual_lshlrev_b32 v28, 26, v18
	v_cmp_gt_i32_e64 s3, 0, v23
	s_delay_alu instid0(VALU_DEP_3)
	v_cmp_gt_i32_e64 s4, 0, v25
	v_not_b32_e32 v23, v25
	v_not_b32_e32 v25, v26
	v_mad_u32 v12, 0x44, v18, v2
	v_dual_lshlrev_b32 v29, 25, v18 :: v_dual_lshlrev_b32 v18, 24, v18
	v_cmp_gt_i32_e64 s5, 0, v26
	v_cmp_gt_i32_e64 s6, 0, v27
	v_not_b32_e32 v26, v27
	v_not_b32_e32 v27, v28
	v_dual_ashrrev_i32 v25, 31, v25 :: v_dual_bitop2_b32 v3, vcc_lo, v3 bitop3:0x14
	v_dual_ashrrev_i32 v23, 31, v23 :: v_dual_bitop2_b32 v22, s3, v22 bitop3:0x14
	v_cmp_gt_i32_e64 s7, 0, v28
	v_not_b32_e32 v28, v29
	v_cmp_gt_i32_e64 s9, 0, v18
	v_not_b32_e32 v18, v18
	v_dual_ashrrev_i32 v26, 31, v26 :: v_dual_ashrrev_i32 v27, 31, v27
	v_xor_b32_e32 v23, s4, v23
	s_delay_alu instid0(VALU_DEP_3) | instskip(SKIP_4) | instid1(VALU_DEP_4)
	v_dual_ashrrev_i32 v18, 31, v18 :: v_dual_bitop2_b32 v25, s5, v25 bitop3:0x14
	v_bitop3_b32 v3, v3, v22, exec_lo bitop3:0x80
	v_cmp_gt_i32_e64 s8, 0, v29
	v_dual_ashrrev_i32 v22, 31, v28 :: v_dual_bitop2_b32 v26, s6, v26 bitop3:0x14
	v_xor_b32_e32 v27, s7, v27
	v_bitop3_b32 v3, v3, v25, v23 bitop3:0x80
	v_xor_b32_e32 v18, s9, v18
	s_delay_alu instid0(VALU_DEP_4) | instskip(SKIP_2) | instid1(VALU_DEP_1)
	v_xor_b32_e32 v23, s8, v22
	ds_load_b32 v22, v12 offset:64
	v_bitop3_b32 v3, v3, v27, v26 bitop3:0x80
	; wave barrier
	v_bitop3_b32 v3, v3, v18, v23 bitop3:0x80
	s_delay_alu instid0(VALU_DEP_1) | instskip(SKIP_1) | instid1(VALU_DEP_2)
	v_mbcnt_lo_u32_b32 v23, v3, 0
	v_cmp_ne_u32_e64 s3, 0, v3
	v_cmp_eq_u32_e32 vcc_lo, 0, v23
	s_and_b32 s4, s3, vcc_lo
	s_delay_alu instid0(SALU_CYCLE_1)
	s_and_saveexec_b32 s3, s4
	s_cbranch_execz .LBB1319_33
; %bb.32:
	s_wait_dscnt 0x0
	v_bcnt_u32_b32 v3, v3, v22
	ds_store_b32 v12, v3 offset:64
.LBB1319_33:
	s_or_b32 exec_lo, exec_lo, s3
	v_cmp_gt_i32_e32 vcc_lo, 0, v13
	; wave barrier
	v_cndmask_b32_e64 v3, 0x7fffffff, 0, vcc_lo
	s_delay_alu instid0(VALU_DEP_1) | instskip(NEXT) | instid1(VALU_DEP_1)
	v_xor_b32_e32 v18, v3, v13
	v_cmp_ne_u32_e32 vcc_lo, 0x80000000, v18
	v_cndmask_b32_e32 v3, 0x7fffffff, v18, vcc_lo
	s_delay_alu instid0(VALU_DEP_1) | instskip(NEXT) | instid1(VALU_DEP_1)
	v_lshrrev_b32_e32 v3, s20, v3
	v_and_b32_e32 v25, s29, v3
	v_bitop3_b32 v3, v3, 1, s29 bitop3:0x80
	s_delay_alu instid0(VALU_DEP_2) | instskip(NEXT) | instid1(VALU_DEP_2)
	v_lshlrev_b32_e32 v27, 30, v25
	v_add_co_u32 v3, s3, v3, -1
	s_delay_alu instid0(VALU_DEP_1) | instskip(NEXT) | instid1(VALU_DEP_1)
	v_cndmask_b32_e64 v26, 0, 1, s3
	v_cmp_ne_u32_e32 vcc_lo, 0, v26
	s_delay_alu instid0(VALU_DEP_4) | instskip(NEXT) | instid1(VALU_DEP_1)
	v_not_b32_e32 v26, v27
	v_dual_ashrrev_i32 v26, 31, v26 :: v_dual_lshlrev_b32 v28, 29, v25
	v_dual_lshlrev_b32 v29, 28, v25 :: v_dual_lshlrev_b32 v30, 27, v25
	v_lshlrev_b32_e32 v31, 26, v25
	v_cmp_gt_i32_e64 s3, 0, v27
	s_delay_alu instid0(VALU_DEP_4)
	v_cmp_gt_i32_e64 s4, 0, v28
	v_not_b32_e32 v27, v28
	v_not_b32_e32 v28, v29
	v_mad_u32 v13, 0x44, v25, v2
	v_dual_lshlrev_b32 v32, 25, v25 :: v_dual_lshlrev_b32 v25, 24, v25
	v_cmp_gt_i32_e64 s5, 0, v29
	v_cmp_gt_i32_e64 s6, 0, v30
	v_not_b32_e32 v29, v30
	v_not_b32_e32 v30, v31
	v_dual_ashrrev_i32 v28, 31, v28 :: v_dual_bitop2_b32 v3, vcc_lo, v3 bitop3:0x14
	v_dual_ashrrev_i32 v27, 31, v27 :: v_dual_bitop2_b32 v26, s3, v26 bitop3:0x14
	v_cmp_gt_i32_e64 s7, 0, v31
	v_not_b32_e32 v31, v32
	v_cmp_gt_i32_e64 s9, 0, v25
	v_not_b32_e32 v25, v25
	v_dual_ashrrev_i32 v29, 31, v29 :: v_dual_ashrrev_i32 v30, 31, v30
	v_xor_b32_e32 v27, s4, v27
	v_xor_b32_e32 v28, s5, v28
	v_bitop3_b32 v3, v3, v26, exec_lo bitop3:0x80
	v_cmp_gt_i32_e64 s8, 0, v32
	v_dual_ashrrev_i32 v26, 31, v31 :: v_dual_ashrrev_i32 v25, 31, v25
	v_xor_b32_e32 v29, s6, v29
	v_xor_b32_e32 v30, s7, v30
	v_bitop3_b32 v3, v3, v28, v27 bitop3:0x80
	s_delay_alu instid0(VALU_DEP_4) | instskip(SKIP_3) | instid1(VALU_DEP_1)
	v_xor_b32_e32 v26, s8, v26
	v_xor_b32_e32 v27, s9, v25
	ds_load_b32 v25, v13 offset:64
	v_bitop3_b32 v3, v3, v30, v29 bitop3:0x80
	; wave barrier
	v_bitop3_b32 v3, v3, v27, v26 bitop3:0x80
	s_delay_alu instid0(VALU_DEP_1) | instskip(SKIP_1) | instid1(VALU_DEP_2)
	v_mbcnt_lo_u32_b32 v26, v3, 0
	v_cmp_ne_u32_e64 s3, 0, v3
	v_cmp_eq_u32_e32 vcc_lo, 0, v26
	s_and_b32 s4, s3, vcc_lo
	s_delay_alu instid0(SALU_CYCLE_1)
	s_and_saveexec_b32 s3, s4
	s_cbranch_execz .LBB1319_35
; %bb.34:
	s_wait_dscnt 0x0
	v_bcnt_u32_b32 v3, v3, v25
	ds_store_b32 v13, v3 offset:64
.LBB1319_35:
	s_or_b32 exec_lo, exec_lo, s3
	v_cmp_gt_i32_e32 vcc_lo, 0, v19
	; wave barrier
	v_cndmask_b32_e64 v3, 0x7fffffff, 0, vcc_lo
	s_delay_alu instid0(VALU_DEP_1) | instskip(NEXT) | instid1(VALU_DEP_1)
	v_xor_b32_e32 v19, v3, v19
	v_cmp_ne_u32_e32 vcc_lo, 0x80000000, v19
	v_cndmask_b32_e32 v3, 0x7fffffff, v19, vcc_lo
	s_delay_alu instid0(VALU_DEP_1) | instskip(NEXT) | instid1(VALU_DEP_1)
	v_lshrrev_b32_e32 v3, s20, v3
	v_and_b32_e32 v27, s29, v3
	v_bitop3_b32 v3, v3, 1, s29 bitop3:0x80
	s_delay_alu instid0(VALU_DEP_2) | instskip(NEXT) | instid1(VALU_DEP_2)
	v_dual_lshlrev_b32 v29, 30, v27 :: v_dual_lshlrev_b32 v30, 29, v27
	v_add_co_u32 v3, s3, v3, -1
	s_delay_alu instid0(VALU_DEP_1) | instskip(SKIP_3) | instid1(VALU_DEP_4)
	v_cndmask_b32_e64 v28, 0, 1, s3
	v_dual_lshlrev_b32 v31, 28, v27 :: v_dual_lshlrev_b32 v32, 27, v27
	v_lshlrev_b32_e32 v34, 26, v27
	v_cmp_gt_i32_e64 s3, 0, v29
	v_cmp_ne_u32_e32 vcc_lo, 0, v28
	v_not_b32_e32 v28, v29
	v_cmp_gt_i32_e64 s4, 0, v30
	v_not_b32_e32 v29, v30
	v_cmp_gt_i32_e64 s5, 0, v31
	;; [unrolled: 2-line block ×3, first 2 shown]
	v_not_b32_e32 v31, v32
	v_not_b32_e32 v32, v34
	v_dual_ashrrev_i32 v28, 31, v28 :: v_dual_ashrrev_i32 v29, 31, v29
	s_delay_alu instid0(VALU_DEP_3) | instskip(NEXT) | instid1(VALU_DEP_3)
	v_dual_ashrrev_i32 v30, 31, v30 :: v_dual_ashrrev_i32 v31, 31, v31
	v_dual_ashrrev_i32 v32, 31, v32 :: v_dual_lshlrev_b32 v35, 25, v27
	v_mad_u32 v33, 0x44, v27, v2
	s_delay_alu instid0(VALU_DEP_4) | instskip(SKIP_1) | instid1(VALU_DEP_4)
	v_dual_lshlrev_b32 v27, 24, v27 :: v_dual_bitop2_b32 v28, s3, v28 bitop3:0x14
	v_cmp_gt_i32_e64 s7, 0, v34
	v_not_b32_e32 v34, v35
	v_xor_b32_e32 v3, vcc_lo, v3
	s_delay_alu instid0(VALU_DEP_4)
	v_cmp_gt_i32_e64 s9, 0, v27
	v_not_b32_e32 v27, v27
	v_xor_b32_e32 v29, s4, v29
	v_xor_b32_e32 v30, s5, v30
	v_bitop3_b32 v3, v3, v28, exec_lo bitop3:0x80
	v_cmp_gt_i32_e64 s8, 0, v35
	v_dual_ashrrev_i32 v28, 31, v34 :: v_dual_ashrrev_i32 v27, 31, v27
	v_xor_b32_e32 v31, s6, v31
	v_xor_b32_e32 v32, s7, v32
	v_bitop3_b32 v3, v3, v30, v29 bitop3:0x80
	s_delay_alu instid0(VALU_DEP_4) | instskip(SKIP_3) | instid1(VALU_DEP_1)
	v_xor_b32_e32 v29, s8, v28
	v_xor_b32_e32 v27, s9, v27
	ds_load_b32 v28, v33 offset:64
	v_bitop3_b32 v3, v3, v32, v31 bitop3:0x80
	; wave barrier
	v_bitop3_b32 v3, v3, v27, v29 bitop3:0x80
	s_delay_alu instid0(VALU_DEP_1) | instskip(SKIP_1) | instid1(VALU_DEP_2)
	v_mbcnt_lo_u32_b32 v29, v3, 0
	v_cmp_ne_u32_e64 s3, 0, v3
	v_cmp_eq_u32_e32 vcc_lo, 0, v29
	s_and_b32 s4, s3, vcc_lo
	s_delay_alu instid0(SALU_CYCLE_1)
	s_and_saveexec_b32 s3, s4
	s_cbranch_execz .LBB1319_37
; %bb.36:
	s_wait_dscnt 0x0
	v_bcnt_u32_b32 v3, v3, v28
	ds_store_b32 v33, v3 offset:64
.LBB1319_37:
	s_or_b32 exec_lo, exec_lo, s3
	v_cmp_gt_i32_e32 vcc_lo, 0, v21
	; wave barrier
	v_cndmask_b32_e64 v3, 0x7fffffff, 0, vcc_lo
	s_delay_alu instid0(VALU_DEP_1) | instskip(NEXT) | instid1(VALU_DEP_1)
	v_xor_b32_e32 v21, v3, v21
	v_cmp_ne_u32_e32 vcc_lo, 0x80000000, v21
	v_cndmask_b32_e32 v3, 0x7fffffff, v21, vcc_lo
	s_delay_alu instid0(VALU_DEP_1) | instskip(NEXT) | instid1(VALU_DEP_1)
	v_lshrrev_b32_e32 v3, s20, v3
	v_and_b32_e32 v27, s29, v3
	v_bitop3_b32 v3, v3, 1, s29 bitop3:0x80
	s_delay_alu instid0(VALU_DEP_2) | instskip(NEXT) | instid1(VALU_DEP_2)
	v_lshlrev_b32_e32 v31, 30, v27
	v_add_co_u32 v3, s3, v3, -1
	s_delay_alu instid0(VALU_DEP_1) | instskip(NEXT) | instid1(VALU_DEP_1)
	v_cndmask_b32_e64 v30, 0, 1, s3
	v_cmp_ne_u32_e32 vcc_lo, 0, v30
	s_delay_alu instid0(VALU_DEP_4) | instskip(NEXT) | instid1(VALU_DEP_1)
	v_not_b32_e32 v30, v31
	v_dual_ashrrev_i32 v30, 31, v30 :: v_dual_lshlrev_b32 v32, 29, v27
	v_dual_lshlrev_b32 v34, 28, v27 :: v_dual_lshlrev_b32 v35, 27, v27
	v_lshlrev_b32_e32 v36, 26, v27
	v_cmp_gt_i32_e64 s3, 0, v31
	s_delay_alu instid0(VALU_DEP_4)
	v_cmp_gt_i32_e64 s4, 0, v32
	v_not_b32_e32 v31, v32
	v_not_b32_e32 v32, v34
	v_mad_u32 v37, 0x44, v27, v2
	v_dual_lshlrev_b32 v38, 25, v27 :: v_dual_lshlrev_b32 v27, 24, v27
	v_cmp_gt_i32_e64 s5, 0, v34
	v_cmp_gt_i32_e64 s6, 0, v35
	v_not_b32_e32 v34, v35
	v_not_b32_e32 v35, v36
	v_dual_ashrrev_i32 v32, 31, v32 :: v_dual_bitop2_b32 v3, vcc_lo, v3 bitop3:0x14
	v_dual_ashrrev_i32 v31, 31, v31 :: v_dual_bitop2_b32 v30, s3, v30 bitop3:0x14
	v_cmp_gt_i32_e64 s7, 0, v36
	v_not_b32_e32 v36, v38
	v_cmp_gt_i32_e64 s9, 0, v27
	v_not_b32_e32 v27, v27
	v_dual_ashrrev_i32 v34, 31, v34 :: v_dual_ashrrev_i32 v35, 31, v35
	v_xor_b32_e32 v31, s4, v31
	s_delay_alu instid0(VALU_DEP_3) | instskip(SKIP_4) | instid1(VALU_DEP_4)
	v_dual_ashrrev_i32 v27, 31, v27 :: v_dual_bitop2_b32 v32, s5, v32 bitop3:0x14
	v_bitop3_b32 v3, v3, v30, exec_lo bitop3:0x80
	v_cmp_gt_i32_e64 s8, 0, v38
	v_dual_ashrrev_i32 v30, 31, v36 :: v_dual_bitop2_b32 v34, s6, v34 bitop3:0x14
	v_xor_b32_e32 v35, s7, v35
	v_bitop3_b32 v3, v3, v32, v31 bitop3:0x80
	v_xor_b32_e32 v27, s9, v27
	s_delay_alu instid0(VALU_DEP_4) | instskip(SKIP_2) | instid1(VALU_DEP_1)
	v_xor_b32_e32 v30, s8, v30
	ds_load_b32 v31, v37 offset:64
	v_bitop3_b32 v3, v3, v35, v34 bitop3:0x80
	; wave barrier
	v_bitop3_b32 v3, v3, v27, v30 bitop3:0x80
	s_delay_alu instid0(VALU_DEP_1) | instskip(SKIP_1) | instid1(VALU_DEP_2)
	v_mbcnt_lo_u32_b32 v32, v3, 0
	v_cmp_ne_u32_e64 s3, 0, v3
	v_cmp_eq_u32_e32 vcc_lo, 0, v32
	s_and_b32 s4, s3, vcc_lo
	s_delay_alu instid0(SALU_CYCLE_1)
	s_and_saveexec_b32 s3, s4
	s_cbranch_execz .LBB1319_39
; %bb.38:
	s_wait_dscnt 0x0
	v_bcnt_u32_b32 v3, v3, v31
	ds_store_b32 v37, v3 offset:64
.LBB1319_39:
	s_or_b32 exec_lo, exec_lo, s3
	v_cmp_gt_i32_e32 vcc_lo, 0, v24
	; wave barrier
	v_cndmask_b32_e64 v3, 0x7fffffff, 0, vcc_lo
	s_delay_alu instid0(VALU_DEP_1) | instskip(NEXT) | instid1(VALU_DEP_1)
	v_xor_b32_e32 v24, v3, v24
	v_cmp_ne_u32_e32 vcc_lo, 0x80000000, v24
	v_cndmask_b32_e32 v3, 0x7fffffff, v24, vcc_lo
	s_delay_alu instid0(VALU_DEP_1) | instskip(NEXT) | instid1(VALU_DEP_1)
	v_lshrrev_b32_e32 v3, s20, v3
	v_and_b32_e32 v27, s29, v3
	v_bitop3_b32 v3, v3, 1, s29 bitop3:0x80
	s_delay_alu instid0(VALU_DEP_2) | instskip(NEXT) | instid1(VALU_DEP_2)
	v_lshlrev_b32_e32 v34, 30, v27
	v_add_co_u32 v3, s3, v3, -1
	s_delay_alu instid0(VALU_DEP_1) | instskip(NEXT) | instid1(VALU_DEP_3)
	v_cndmask_b32_e64 v30, 0, 1, s3
	v_cmp_gt_i32_e64 s3, 0, v34
	s_delay_alu instid0(VALU_DEP_2) | instskip(SKIP_1) | instid1(VALU_DEP_1)
	v_cmp_ne_u32_e32 vcc_lo, 0, v30
	v_not_b32_e32 v30, v34
	v_dual_ashrrev_i32 v30, 31, v30 :: v_dual_lshlrev_b32 v35, 29, v27
	v_dual_lshlrev_b32 v36, 28, v27 :: v_dual_lshlrev_b32 v38, 27, v27
	v_lshlrev_b32_e32 v39, 26, v27
	v_mad_u32 v41, 0x44, v27, v2
	s_delay_alu instid0(VALU_DEP_4)
	v_cmp_gt_i32_e64 s4, 0, v35
	v_not_b32_e32 v34, v35
	v_not_b32_e32 v35, v36
	v_dual_lshlrev_b32 v40, 25, v27 :: v_dual_lshlrev_b32 v27, 24, v27
	v_cmp_gt_i32_e64 s5, 0, v36
	v_cmp_gt_i32_e64 s6, 0, v38
	v_not_b32_e32 v36, v38
	v_not_b32_e32 v38, v39
	v_dual_ashrrev_i32 v34, 31, v34 :: v_dual_bitop2_b32 v3, vcc_lo, v3 bitop3:0x14
	v_dual_ashrrev_i32 v35, 31, v35 :: v_dual_bitop2_b32 v30, s3, v30 bitop3:0x14
	v_cmp_gt_i32_e64 s7, 0, v39
	v_not_b32_e32 v39, v40
	v_cmp_gt_i32_e64 s9, 0, v27
	v_not_b32_e32 v27, v27
	v_dual_ashrrev_i32 v36, 31, v36 :: v_dual_ashrrev_i32 v38, 31, v38
	v_xor_b32_e32 v34, s4, v34
	v_xor_b32_e32 v35, s5, v35
	v_bitop3_b32 v3, v3, v30, exec_lo bitop3:0x80
	v_cmp_gt_i32_e64 s8, 0, v40
	v_ashrrev_i32_e32 v30, 31, v39
	v_dual_ashrrev_i32 v27, 31, v27 :: v_dual_bitop2_b32 v36, s6, v36 bitop3:0x14
	v_xor_b32_e32 v38, s7, v38
	v_bitop3_b32 v3, v3, v35, v34 bitop3:0x80
	s_delay_alu instid0(VALU_DEP_4) | instskip(NEXT) | instid1(VALU_DEP_4)
	v_xor_b32_e32 v30, s8, v30
	v_xor_b32_e32 v27, s9, v27
	ds_load_b32 v35, v41 offset:64
	v_bitop3_b32 v3, v3, v38, v36 bitop3:0x80
	; wave barrier
	s_delay_alu instid0(VALU_DEP_1) | instskip(NEXT) | instid1(VALU_DEP_1)
	v_bitop3_b32 v3, v3, v27, v30 bitop3:0x80
	v_mbcnt_lo_u32_b32 v36, v3, 0
	v_cmp_ne_u32_e64 s3, 0, v3
	s_delay_alu instid0(VALU_DEP_2) | instskip(SKIP_1) | instid1(SALU_CYCLE_1)
	v_cmp_eq_u32_e32 vcc_lo, 0, v36
	s_and_b32 s4, s3, vcc_lo
	s_and_saveexec_b32 s3, s4
	s_cbranch_execz .LBB1319_41
; %bb.40:
	s_wait_dscnt 0x0
	v_bcnt_u32_b32 v3, v3, v35
	ds_store_b32 v41, v3 offset:64
.LBB1319_41:
	s_or_b32 exec_lo, exec_lo, s3
	v_cmp_gt_i32_e32 vcc_lo, 0, v9
	; wave barrier
	v_cndmask_b32_e64 v3, 0x7fffffff, 0, vcc_lo
	s_delay_alu instid0(VALU_DEP_1) | instskip(NEXT) | instid1(VALU_DEP_1)
	v_xor_b32_e32 v27, v3, v9
	v_cmp_ne_u32_e32 vcc_lo, 0x80000000, v27
	v_cndmask_b32_e32 v3, 0x7fffffff, v27, vcc_lo
	s_delay_alu instid0(VALU_DEP_1) | instskip(NEXT) | instid1(VALU_DEP_1)
	v_lshrrev_b32_e32 v3, s20, v3
	v_and_b32_e32 v9, s29, v3
	v_bitop3_b32 v3, v3, 1, s29 bitop3:0x80
	s_delay_alu instid0(VALU_DEP_2) | instskip(NEXT) | instid1(VALU_DEP_2)
	v_lshlrev_b32_e32 v34, 30, v9
	v_add_co_u32 v3, s3, v3, -1
	s_delay_alu instid0(VALU_DEP_1) | instskip(NEXT) | instid1(VALU_DEP_3)
	v_cndmask_b32_e64 v30, 0, 1, s3
	v_cmp_gt_i32_e64 s3, 0, v34
	s_delay_alu instid0(VALU_DEP_2) | instskip(SKIP_1) | instid1(VALU_DEP_1)
	v_cmp_ne_u32_e32 vcc_lo, 0, v30
	v_not_b32_e32 v30, v34
	v_dual_ashrrev_i32 v30, 31, v30 :: v_dual_lshlrev_b32 v38, 29, v9
	v_dual_lshlrev_b32 v39, 28, v9 :: v_dual_lshlrev_b32 v40, 27, v9
	v_lshlrev_b32_e32 v42, 26, v9
	v_mad_u32 v45, 0x44, v9, v2
	s_delay_alu instid0(VALU_DEP_4)
	v_cmp_gt_i32_e64 s4, 0, v38
	v_not_b32_e32 v34, v38
	v_not_b32_e32 v38, v39
	v_dual_lshlrev_b32 v43, 25, v9 :: v_dual_lshlrev_b32 v9, 24, v9
	v_cmp_gt_i32_e64 s5, 0, v39
	v_cmp_gt_i32_e64 s6, 0, v40
	v_not_b32_e32 v39, v40
	v_not_b32_e32 v40, v42
	v_dual_ashrrev_i32 v34, 31, v34 :: v_dual_bitop2_b32 v3, vcc_lo, v3 bitop3:0x14
	s_delay_alu instid0(VALU_DEP_3) | instskip(NEXT) | instid1(VALU_DEP_3)
	v_dual_ashrrev_i32 v38, 31, v38 :: v_dual_ashrrev_i32 v39, 31, v39
	v_dual_ashrrev_i32 v40, 31, v40 :: v_dual_bitop2_b32 v30, s3, v30 bitop3:0x14
	v_cmp_gt_i32_e64 s7, 0, v42
	v_not_b32_e32 v42, v43
	v_cmp_gt_i32_e64 s9, 0, v9
	v_not_b32_e32 v9, v9
	v_xor_b32_e32 v34, s4, v34
	v_xor_b32_e32 v38, s5, v38
	v_bitop3_b32 v3, v3, v30, exec_lo bitop3:0x80
	v_cmp_gt_i32_e64 s8, 0, v43
	v_dual_ashrrev_i32 v30, 31, v42 :: v_dual_bitop2_b32 v39, s6, v39 bitop3:0x14
	v_dual_ashrrev_i32 v9, 31, v9 :: v_dual_bitop2_b32 v40, s7, v40 bitop3:0x14
	s_delay_alu instid0(VALU_DEP_4) | instskip(NEXT) | instid1(VALU_DEP_3)
	v_bitop3_b32 v3, v3, v38, v34 bitop3:0x80
	v_xor_b32_e32 v30, s8, v30
	s_delay_alu instid0(VALU_DEP_3) | instskip(NEXT) | instid1(VALU_DEP_3)
	v_xor_b32_e32 v9, s9, v9
	v_bitop3_b32 v3, v3, v40, v39 bitop3:0x80
	ds_load_b32 v39, v45 offset:64
	; wave barrier
	v_bitop3_b32 v3, v3, v9, v30 bitop3:0x80
	s_delay_alu instid0(VALU_DEP_1) | instskip(SKIP_1) | instid1(VALU_DEP_2)
	v_mbcnt_lo_u32_b32 v40, v3, 0
	v_cmp_ne_u32_e64 s3, 0, v3
	v_cmp_eq_u32_e32 vcc_lo, 0, v40
	s_and_b32 s4, s3, vcc_lo
	s_delay_alu instid0(SALU_CYCLE_1)
	s_and_saveexec_b32 s3, s4
	s_cbranch_execz .LBB1319_43
; %bb.42:
	s_wait_dscnt 0x0
	v_bcnt_u32_b32 v3, v3, v39
	ds_store_b32 v45, v3 offset:64
.LBB1319_43:
	s_or_b32 exec_lo, exec_lo, s3
	v_cmp_gt_i32_e32 vcc_lo, 0, v8
	; wave barrier
	v_cndmask_b32_e64 v3, 0x7fffffff, 0, vcc_lo
	s_delay_alu instid0(VALU_DEP_1) | instskip(NEXT) | instid1(VALU_DEP_1)
	v_xor_b32_e32 v30, v3, v8
	v_cmp_ne_u32_e32 vcc_lo, 0x80000000, v30
	v_cndmask_b32_e32 v3, 0x7fffffff, v30, vcc_lo
	s_delay_alu instid0(VALU_DEP_1) | instskip(NEXT) | instid1(VALU_DEP_1)
	v_lshrrev_b32_e32 v3, s20, v3
	v_and_b32_e32 v8, s29, v3
	v_bitop3_b32 v3, v3, 1, s29 bitop3:0x80
	s_delay_alu instid0(VALU_DEP_2) | instskip(NEXT) | instid1(VALU_DEP_2)
	v_lshlrev_b32_e32 v34, 30, v8
	v_add_co_u32 v3, s3, v3, -1
	s_delay_alu instid0(VALU_DEP_1) | instskip(NEXT) | instid1(VALU_DEP_3)
	v_cndmask_b32_e64 v9, 0, 1, s3
	v_cmp_gt_i32_e64 s3, 0, v34
	s_delay_alu instid0(VALU_DEP_2) | instskip(SKIP_1) | instid1(VALU_DEP_1)
	v_cmp_ne_u32_e32 vcc_lo, 0, v9
	v_not_b32_e32 v9, v34
	v_dual_ashrrev_i32 v9, 31, v9 :: v_dual_lshlrev_b32 v38, 29, v8
	v_dual_lshlrev_b32 v42, 28, v8 :: v_dual_lshlrev_b32 v43, 27, v8
	v_lshlrev_b32_e32 v44, 26, v8
	v_mad_u32 v48, 0x44, v8, v2
	s_delay_alu instid0(VALU_DEP_4)
	v_cmp_gt_i32_e64 s4, 0, v38
	v_not_b32_e32 v34, v38
	v_not_b32_e32 v38, v42
	v_dual_lshlrev_b32 v46, 25, v8 :: v_dual_lshlrev_b32 v8, 24, v8
	v_cmp_gt_i32_e64 s5, 0, v42
	v_cmp_gt_i32_e64 s6, 0, v43
	v_not_b32_e32 v42, v43
	v_not_b32_e32 v43, v44
	v_dual_ashrrev_i32 v34, 31, v34 :: v_dual_bitop2_b32 v3, vcc_lo, v3 bitop3:0x14
	v_dual_ashrrev_i32 v38, 31, v38 :: v_dual_bitop2_b32 v9, s3, v9 bitop3:0x14
	v_cmp_gt_i32_e64 s7, 0, v44
	v_not_b32_e32 v44, v46
	v_cmp_gt_i32_e64 s9, 0, v8
	v_not_b32_e32 v8, v8
	v_dual_ashrrev_i32 v42, 31, v42 :: v_dual_ashrrev_i32 v43, 31, v43
	v_xor_b32_e32 v34, s4, v34
	s_delay_alu instid0(VALU_DEP_3) | instskip(SKIP_4) | instid1(VALU_DEP_4)
	v_dual_ashrrev_i32 v8, 31, v8 :: v_dual_bitop2_b32 v38, s5, v38 bitop3:0x14
	v_bitop3_b32 v3, v3, v9, exec_lo bitop3:0x80
	v_cmp_gt_i32_e64 s8, 0, v46
	v_dual_ashrrev_i32 v9, 31, v44 :: v_dual_bitop2_b32 v42, s6, v42 bitop3:0x14
	v_xor_b32_e32 v43, s7, v43
	v_bitop3_b32 v3, v3, v38, v34 bitop3:0x80
	v_xor_b32_e32 v8, s9, v8
	s_delay_alu instid0(VALU_DEP_4) | instskip(NEXT) | instid1(VALU_DEP_3)
	v_xor_b32_e32 v9, s8, v9
	v_bitop3_b32 v3, v3, v43, v42 bitop3:0x80
	ds_load_b32 v43, v48 offset:64
	; wave barrier
	v_bitop3_b32 v3, v3, v8, v9 bitop3:0x80
	s_delay_alu instid0(VALU_DEP_1) | instskip(SKIP_1) | instid1(VALU_DEP_2)
	v_mbcnt_lo_u32_b32 v44, v3, 0
	v_cmp_ne_u32_e64 s3, 0, v3
	v_cmp_eq_u32_e32 vcc_lo, 0, v44
	s_and_b32 s4, s3, vcc_lo
	s_delay_alu instid0(SALU_CYCLE_1)
	s_and_saveexec_b32 s3, s4
	s_cbranch_execz .LBB1319_45
; %bb.44:
	s_wait_dscnt 0x0
	v_bcnt_u32_b32 v3, v3, v43
	ds_store_b32 v48, v3 offset:64
.LBB1319_45:
	s_or_b32 exec_lo, exec_lo, s3
	v_cmp_gt_i32_e32 vcc_lo, 0, v7
	; wave barrier
	v_cndmask_b32_e64 v3, 0x7fffffff, 0, vcc_lo
	s_delay_alu instid0(VALU_DEP_1) | instskip(NEXT) | instid1(VALU_DEP_1)
	v_xor_b32_e32 v34, v3, v7
	v_cmp_ne_u32_e32 vcc_lo, 0x80000000, v34
	v_cndmask_b32_e32 v3, 0x7fffffff, v34, vcc_lo
	s_delay_alu instid0(VALU_DEP_1) | instskip(NEXT) | instid1(VALU_DEP_1)
	v_lshrrev_b32_e32 v3, s20, v3
	v_and_b32_e32 v7, s29, v3
	v_bitop3_b32 v3, v3, 1, s29 bitop3:0x80
	s_delay_alu instid0(VALU_DEP_2) | instskip(NEXT) | instid1(VALU_DEP_2)
	v_lshlrev_b32_e32 v9, 30, v7
	v_add_co_u32 v3, s3, v3, -1
	s_delay_alu instid0(VALU_DEP_1) | instskip(SKIP_1) | instid1(VALU_DEP_4)
	v_cndmask_b32_e64 v8, 0, 1, s3
	v_lshlrev_b32_e32 v38, 29, v7
	v_cmp_gt_i32_e64 s3, 0, v9
	s_delay_alu instid0(VALU_DEP_3) | instskip(SKIP_1) | instid1(VALU_DEP_4)
	v_cmp_ne_u32_e32 vcc_lo, 0, v8
	v_not_b32_e32 v8, v9
	v_not_b32_e32 v9, v38
	v_cmp_gt_i32_e64 s4, 0, v38
	s_delay_alu instid0(VALU_DEP_2) | instskip(SKIP_3) | instid1(VALU_DEP_3)
	v_dual_ashrrev_i32 v8, 31, v8 :: v_dual_ashrrev_i32 v9, 31, v9
	v_dual_lshlrev_b32 v42, 28, v7 :: v_dual_lshlrev_b32 v46, 27, v7
	v_dual_lshlrev_b32 v47, 26, v7 :: v_dual_lshlrev_b32 v49, 25, v7
	v_mad_u32 v51, 0x44, v7, v2
	v_not_b32_e32 v38, v42
	v_lshlrev_b32_e32 v7, 24, v7
	v_cmp_gt_i32_e64 s5, 0, v42
	v_cmp_gt_i32_e64 s6, 0, v46
	v_not_b32_e32 v42, v46
	v_not_b32_e32 v46, v47
	v_dual_ashrrev_i32 v38, 31, v38 :: v_dual_bitop2_b32 v3, vcc_lo, v3 bitop3:0x14
	v_xor_b32_e32 v8, s3, v8
	v_cmp_gt_i32_e64 s7, 0, v47
	v_not_b32_e32 v47, v49
	v_cmp_gt_i32_e64 s9, 0, v7
	v_not_b32_e32 v7, v7
	v_ashrrev_i32_e32 v42, 31, v42
	v_dual_ashrrev_i32 v46, 31, v46 :: v_dual_bitop2_b32 v9, s4, v9 bitop3:0x14
	s_delay_alu instid0(VALU_DEP_3) | instskip(SKIP_4) | instid1(VALU_DEP_4)
	v_dual_ashrrev_i32 v7, 31, v7 :: v_dual_bitop2_b32 v38, s5, v38 bitop3:0x14
	v_bitop3_b32 v3, v3, v8, exec_lo bitop3:0x80
	v_cmp_gt_i32_e64 s8, 0, v49
	v_dual_ashrrev_i32 v8, 31, v47 :: v_dual_bitop2_b32 v42, s6, v42 bitop3:0x14
	v_xor_b32_e32 v46, s7, v46
	v_bitop3_b32 v3, v3, v38, v9 bitop3:0x80
	v_xor_b32_e32 v7, s9, v7
	s_delay_alu instid0(VALU_DEP_4) | instskip(SKIP_2) | instid1(VALU_DEP_1)
	v_xor_b32_e32 v8, s8, v8
	ds_load_b32 v47, v51 offset:64
	v_bitop3_b32 v3, v3, v46, v42 bitop3:0x80
	; wave barrier
	v_bitop3_b32 v3, v3, v7, v8 bitop3:0x80
	s_delay_alu instid0(VALU_DEP_1) | instskip(SKIP_1) | instid1(VALU_DEP_2)
	v_mbcnt_lo_u32_b32 v49, v3, 0
	v_cmp_ne_u32_e64 s3, 0, v3
	v_cmp_eq_u32_e32 vcc_lo, 0, v49
	s_and_b32 s4, s3, vcc_lo
	s_delay_alu instid0(SALU_CYCLE_1)
	s_and_saveexec_b32 s3, s4
	s_cbranch_execz .LBB1319_47
; %bb.46:
	s_wait_dscnt 0x0
	v_bcnt_u32_b32 v3, v3, v47
	ds_store_b32 v51, v3 offset:64
.LBB1319_47:
	s_or_b32 exec_lo, exec_lo, s3
	v_cmp_gt_i32_e32 vcc_lo, 0, v6
	; wave barrier
	v_cndmask_b32_e64 v3, 0x7fffffff, 0, vcc_lo
	s_delay_alu instid0(VALU_DEP_1) | instskip(NEXT) | instid1(VALU_DEP_1)
	v_xor_b32_e32 v38, v3, v6
	v_cmp_ne_u32_e32 vcc_lo, 0x80000000, v38
	v_cndmask_b32_e32 v3, 0x7fffffff, v38, vcc_lo
	s_delay_alu instid0(VALU_DEP_1) | instskip(NEXT) | instid1(VALU_DEP_1)
	v_lshrrev_b32_e32 v3, s20, v3
	v_and_b32_e32 v6, s29, v3
	v_bitop3_b32 v3, v3, 1, s29 bitop3:0x80
	s_delay_alu instid0(VALU_DEP_2) | instskip(NEXT) | instid1(VALU_DEP_2)
	v_dual_lshlrev_b32 v8, 30, v6 :: v_dual_lshlrev_b32 v9, 29, v6
	v_add_co_u32 v3, s3, v3, -1
	s_delay_alu instid0(VALU_DEP_1) | instskip(SKIP_1) | instid1(VALU_DEP_4)
	v_cndmask_b32_e64 v7, 0, 1, s3
	v_lshlrev_b32_e32 v42, 28, v6
	v_cmp_gt_i32_e64 s3, 0, v8
	v_cmp_gt_i32_e64 s4, 0, v9
	s_delay_alu instid0(VALU_DEP_4) | instskip(SKIP_3) | instid1(VALU_DEP_2)
	v_cmp_ne_u32_e32 vcc_lo, 0, v7
	v_not_b32_e32 v7, v8
	v_not_b32_e32 v8, v9
	v_not_b32_e32 v9, v42
	v_dual_ashrrev_i32 v7, 31, v7 :: v_dual_ashrrev_i32 v8, 31, v8
	s_delay_alu instid0(VALU_DEP_2) | instskip(SKIP_4) | instid1(VALU_DEP_3)
	v_ashrrev_i32_e32 v9, 31, v9
	v_mad_u32 v53, 0x44, v6, v2
	v_dual_lshlrev_b32 v46, 27, v6 :: v_dual_lshlrev_b32 v50, 26, v6
	v_dual_lshlrev_b32 v52, 25, v6 :: v_dual_lshlrev_b32 v6, 24, v6
	v_cmp_gt_i32_e64 s5, 0, v42
	v_cmp_gt_i32_e64 s6, 0, v46
	v_not_b32_e32 v42, v46
	v_not_b32_e32 v46, v50
	v_xor_b32_e32 v3, vcc_lo, v3
	v_xor_b32_e32 v7, s3, v7
	v_cmp_gt_i32_e64 s7, 0, v50
	v_not_b32_e32 v50, v52
	v_cmp_gt_i32_e64 s9, 0, v6
	v_not_b32_e32 v6, v6
	v_ashrrev_i32_e32 v42, 31, v42
	v_dual_ashrrev_i32 v46, 31, v46 :: v_dual_bitop2_b32 v8, s4, v8 bitop3:0x14
	s_delay_alu instid0(VALU_DEP_3)
	v_dual_ashrrev_i32 v6, 31, v6 :: v_dual_bitop2_b32 v9, s5, v9 bitop3:0x14
	v_bitop3_b32 v3, v3, v7, exec_lo bitop3:0x80
	v_cmp_gt_i32_e64 s8, 0, v52
	v_ashrrev_i32_e32 v7, 31, v50
	v_xor_b32_e32 v42, s6, v42
	v_xor_b32_e32 v46, s7, v46
	v_bitop3_b32 v3, v3, v9, v8 bitop3:0x80
	v_xor_b32_e32 v6, s9, v6
	v_xor_b32_e32 v7, s8, v7
	ds_load_b32 v50, v53 offset:64
	v_bitop3_b32 v3, v3, v46, v42 bitop3:0x80
	; wave barrier
	s_delay_alu instid0(VALU_DEP_1) | instskip(NEXT) | instid1(VALU_DEP_1)
	v_bitop3_b32 v3, v3, v6, v7 bitop3:0x80
	v_mbcnt_lo_u32_b32 v52, v3, 0
	v_cmp_ne_u32_e64 s3, 0, v3
	s_delay_alu instid0(VALU_DEP_2) | instskip(SKIP_1) | instid1(SALU_CYCLE_1)
	v_cmp_eq_u32_e32 vcc_lo, 0, v52
	s_and_b32 s4, s3, vcc_lo
	s_and_saveexec_b32 s3, s4
	s_cbranch_execz .LBB1319_49
; %bb.48:
	s_wait_dscnt 0x0
	v_bcnt_u32_b32 v3, v3, v50
	ds_store_b32 v53, v3 offset:64
.LBB1319_49:
	s_or_b32 exec_lo, exec_lo, s3
	v_cmp_gt_i32_e32 vcc_lo, 0, v5
	; wave barrier
	v_cndmask_b32_e64 v3, 0x7fffffff, 0, vcc_lo
	s_delay_alu instid0(VALU_DEP_1) | instskip(NEXT) | instid1(VALU_DEP_1)
	v_xor_b32_e32 v42, v3, v5
	v_cmp_ne_u32_e32 vcc_lo, 0x80000000, v42
	v_cndmask_b32_e32 v3, 0x7fffffff, v42, vcc_lo
	s_delay_alu instid0(VALU_DEP_1) | instskip(NEXT) | instid1(VALU_DEP_1)
	v_lshrrev_b32_e32 v3, s20, v3
	v_and_b32_e32 v5, s29, v3
	v_bitop3_b32 v3, v3, 1, s29 bitop3:0x80
	s_delay_alu instid0(VALU_DEP_2) | instskip(NEXT) | instid1(VALU_DEP_2)
	v_lshlrev_b32_e32 v7, 30, v5
	v_add_co_u32 v3, s3, v3, -1
	s_delay_alu instid0(VALU_DEP_1) | instskip(NEXT) | instid1(VALU_DEP_1)
	v_cndmask_b32_e64 v6, 0, 1, s3
	v_cmp_ne_u32_e32 vcc_lo, 0, v6
	s_delay_alu instid0(VALU_DEP_4) | instskip(NEXT) | instid1(VALU_DEP_1)
	v_not_b32_e32 v6, v7
	v_dual_ashrrev_i32 v6, 31, v6 :: v_dual_lshlrev_b32 v8, 29, v5
	v_dual_lshlrev_b32 v9, 28, v5 :: v_dual_lshlrev_b32 v46, 27, v5
	v_lshlrev_b32_e32 v54, 26, v5
	v_cmp_gt_i32_e64 s3, 0, v7
	s_delay_alu instid0(VALU_DEP_4)
	v_cmp_gt_i32_e64 s4, 0, v8
	v_not_b32_e32 v7, v8
	v_not_b32_e32 v8, v9
	v_mad_u32 v56, 0x44, v5, v2
	v_dual_lshlrev_b32 v55, 25, v5 :: v_dual_lshlrev_b32 v5, 24, v5
	v_cmp_gt_i32_e64 s5, 0, v9
	v_cmp_gt_i32_e64 s6, 0, v46
	v_not_b32_e32 v9, v46
	v_not_b32_e32 v46, v54
	v_dual_ashrrev_i32 v8, 31, v8 :: v_dual_bitop2_b32 v3, vcc_lo, v3 bitop3:0x14
	v_dual_ashrrev_i32 v7, 31, v7 :: v_dual_bitop2_b32 v6, s3, v6 bitop3:0x14
	v_cmp_gt_i32_e64 s7, 0, v54
	v_not_b32_e32 v54, v55
	v_cmp_gt_i32_e64 s9, 0, v5
	v_not_b32_e32 v5, v5
	v_dual_ashrrev_i32 v9, 31, v9 :: v_dual_ashrrev_i32 v46, 31, v46
	v_xor_b32_e32 v7, s4, v7
	s_delay_alu instid0(VALU_DEP_3) | instskip(SKIP_4) | instid1(VALU_DEP_4)
	v_dual_ashrrev_i32 v5, 31, v5 :: v_dual_bitop2_b32 v8, s5, v8 bitop3:0x14
	v_bitop3_b32 v3, v3, v6, exec_lo bitop3:0x80
	v_cmp_gt_i32_e64 s8, 0, v55
	v_dual_ashrrev_i32 v6, 31, v54 :: v_dual_bitop2_b32 v9, s6, v9 bitop3:0x14
	v_xor_b32_e32 v46, s7, v46
	v_bitop3_b32 v3, v3, v8, v7 bitop3:0x80
	v_xor_b32_e32 v5, s9, v5
	s_delay_alu instid0(VALU_DEP_4) | instskip(SKIP_2) | instid1(VALU_DEP_1)
	v_xor_b32_e32 v6, s8, v6
	ds_load_b32 v54, v56 offset:64
	v_bitop3_b32 v3, v3, v46, v9 bitop3:0x80
	; wave barrier
	v_bitop3_b32 v3, v3, v5, v6 bitop3:0x80
	s_delay_alu instid0(VALU_DEP_1) | instskip(SKIP_1) | instid1(VALU_DEP_2)
	v_mbcnt_lo_u32_b32 v55, v3, 0
	v_cmp_ne_u32_e64 s3, 0, v3
	v_cmp_eq_u32_e32 vcc_lo, 0, v55
	s_and_b32 s4, s3, vcc_lo
	s_delay_alu instid0(SALU_CYCLE_1)
	s_and_saveexec_b32 s3, s4
	s_cbranch_execz .LBB1319_51
; %bb.50:
	s_wait_dscnt 0x0
	v_bcnt_u32_b32 v3, v3, v54
	ds_store_b32 v56, v3 offset:64
.LBB1319_51:
	s_or_b32 exec_lo, exec_lo, s3
	v_cmp_gt_i32_e32 vcc_lo, 0, v4
	; wave barrier
	v_cndmask_b32_e64 v3, 0x7fffffff, 0, vcc_lo
	s_delay_alu instid0(VALU_DEP_1) | instskip(NEXT) | instid1(VALU_DEP_1)
	v_xor_b32_e32 v46, v3, v4
	v_cmp_ne_u32_e32 vcc_lo, 0x80000000, v46
	v_cndmask_b32_e32 v3, 0x7fffffff, v46, vcc_lo
	s_delay_alu instid0(VALU_DEP_1) | instskip(NEXT) | instid1(VALU_DEP_1)
	v_lshrrev_b32_e32 v3, s20, v3
	v_and_b32_e32 v4, s29, v3
	v_bitop3_b32 v3, v3, 1, s29 bitop3:0x80
	s_delay_alu instid0(VALU_DEP_2) | instskip(NEXT) | instid1(VALU_DEP_2)
	v_mad_u32 v59, 0x44, v4, v2
	v_add_co_u32 v2, s3, v3, -1
	s_delay_alu instid0(VALU_DEP_1) | instskip(SKIP_1) | instid1(VALU_DEP_2)
	v_cndmask_b32_e64 v3, 0, 1, s3
	v_lshlrev_b32_e32 v5, 30, v4
	v_cmp_ne_u32_e32 vcc_lo, 0, v3
	s_delay_alu instid0(VALU_DEP_2) | instskip(NEXT) | instid1(VALU_DEP_1)
	v_not_b32_e32 v3, v5
	v_dual_ashrrev_i32 v3, 31, v3 :: v_dual_lshlrev_b32 v6, 29, v4
	v_dual_lshlrev_b32 v7, 28, v4 :: v_dual_lshlrev_b32 v8, 27, v4
	v_lshlrev_b32_e32 v9, 26, v4
	v_cmp_gt_i32_e64 s3, 0, v5
	s_delay_alu instid0(VALU_DEP_4)
	v_cmp_gt_i32_e64 s4, 0, v6
	v_not_b32_e32 v5, v6
	v_not_b32_e32 v6, v7
	v_dual_lshlrev_b32 v57, 25, v4 :: v_dual_lshlrev_b32 v4, 24, v4
	v_cmp_gt_i32_e64 s5, 0, v7
	v_cmp_gt_i32_e64 s6, 0, v8
	v_not_b32_e32 v7, v8
	v_not_b32_e32 v8, v9
	v_dual_ashrrev_i32 v5, 31, v5 :: v_dual_bitop2_b32 v2, vcc_lo, v2 bitop3:0x14
	v_dual_ashrrev_i32 v6, 31, v6 :: v_dual_bitop2_b32 v3, s3, v3 bitop3:0x14
	v_cmp_gt_i32_e64 s7, 0, v9
	v_not_b32_e32 v9, v57
	v_cmp_gt_i32_e64 s9, 0, v4
	v_not_b32_e32 v4, v4
	v_dual_ashrrev_i32 v7, 31, v7 :: v_dual_ashrrev_i32 v8, 31, v8
	v_xor_b32_e32 v5, s4, v5
	v_xor_b32_e32 v6, s5, v6
	v_bitop3_b32 v2, v2, v3, exec_lo bitop3:0x80
	v_cmp_gt_i32_e64 s8, 0, v57
	v_dual_ashrrev_i32 v3, 31, v9 :: v_dual_ashrrev_i32 v4, 31, v4
	v_xor_b32_e32 v7, s6, v7
	v_xor_b32_e32 v8, s7, v8
	v_bitop3_b32 v2, v2, v6, v5 bitop3:0x80
	s_delay_alu instid0(VALU_DEP_4) | instskip(SKIP_3) | instid1(VALU_DEP_1)
	v_xor_b32_e32 v3, s8, v3
	v_xor_b32_e32 v4, s9, v4
	ds_load_b32 v57, v59 offset:64
	v_bitop3_b32 v2, v2, v8, v7 bitop3:0x80
	; wave barrier
	v_bitop3_b32 v2, v2, v4, v3 bitop3:0x80
	s_delay_alu instid0(VALU_DEP_1) | instskip(SKIP_1) | instid1(VALU_DEP_2)
	v_mbcnt_lo_u32_b32 v58, v2, 0
	v_cmp_ne_u32_e64 s3, 0, v2
	v_cmp_eq_u32_e32 vcc_lo, 0, v58
	s_and_b32 s4, s3, vcc_lo
	s_delay_alu instid0(SALU_CYCLE_1)
	s_and_saveexec_b32 s3, s4
	s_cbranch_execz .LBB1319_53
; %bb.52:
	s_wait_dscnt 0x0
	v_bcnt_u32_b32 v2, v2, v57
	ds_store_b32 v59, v2 offset:64
.LBB1319_53:
	s_or_b32 exec_lo, exec_lo, s3
	; wave barrier
	s_wait_dscnt 0x0
	s_barrier_signal -1
	s_barrier_wait -1
	ds_load_2addr_b32 v[8:9], v10 offset0:16 offset1:17
	ds_load_2addr_b32 v[6:7], v10 offset0:18 offset1:19
	;; [unrolled: 1-line block ×4, first 2 shown]
	ds_load_b32 v60, v10 offset:96
	v_min_u32_e32 v63, 0x1e0, v16
	s_mov_b32 s7, exec_lo
	s_wait_dscnt 0x3
	v_add3_u32 v61, v9, v8, v6
	s_wait_dscnt 0x2
	s_delay_alu instid0(VALU_DEP_1) | instskip(SKIP_1) | instid1(VALU_DEP_1)
	v_add3_u32 v61, v61, v7, v4
	s_wait_dscnt 0x1
	v_add3_u32 v61, v61, v5, v2
	s_wait_dscnt 0x0
	s_delay_alu instid0(VALU_DEP_1) | instskip(SKIP_1) | instid1(VALU_DEP_2)
	v_add3_u32 v60, v61, v3, v60
	v_and_b32_e32 v61, 15, v15
	v_mov_b32_dpp v62, v60 row_shr:1 row_mask:0xf bank_mask:0xf
	s_delay_alu instid0(VALU_DEP_2) | instskip(NEXT) | instid1(VALU_DEP_2)
	v_cmp_eq_u32_e32 vcc_lo, 0, v61
	v_cndmask_b32_e64 v62, v62, 0, vcc_lo
	s_delay_alu instid0(VALU_DEP_1) | instskip(SKIP_3) | instid1(VALU_DEP_4)
	v_add_nc_u32_e32 v60, v62, v60
	v_cmp_lt_u32_e64 s3, 1, v61
	v_cmp_lt_u32_e64 s4, 3, v61
	;; [unrolled: 1-line block ×3, first 2 shown]
	v_mov_b32_dpp v62, v60 row_shr:2 row_mask:0xf bank_mask:0xf
	s_delay_alu instid0(VALU_DEP_1) | instskip(NEXT) | instid1(VALU_DEP_1)
	v_cndmask_b32_e64 v62, 0, v62, s3
	v_add_nc_u32_e32 v60, v60, v62
	s_delay_alu instid0(VALU_DEP_1) | instskip(NEXT) | instid1(VALU_DEP_1)
	v_mov_b32_dpp v62, v60 row_shr:4 row_mask:0xf bank_mask:0xf
	v_cndmask_b32_e64 v62, 0, v62, s4
	s_delay_alu instid0(VALU_DEP_1) | instskip(NEXT) | instid1(VALU_DEP_1)
	v_add_nc_u32_e32 v60, v60, v62
	v_mov_b32_dpp v62, v60 row_shr:8 row_mask:0xf bank_mask:0xf
	s_delay_alu instid0(VALU_DEP_1) | instskip(SKIP_1) | instid1(VALU_DEP_2)
	v_cndmask_b32_e64 v61, 0, v62, s5
	v_bfe_i32 v62, v15, 4, 1
	v_add_nc_u32_e32 v60, v60, v61
	ds_swizzle_b32 v61, v60 offset:swizzle(BROADCAST,32,15)
	s_wait_dscnt 0x0
	v_dual_lshrrev_b32 v61, 5, v14 :: v_dual_bitop2_b32 v62, v62, v61 bitop3:0x40
	s_delay_alu instid0(VALU_DEP_1) | instskip(NEXT) | instid1(VALU_DEP_1)
	v_dual_add_nc_u32 v60, v60, v62 :: v_dual_bitop2_b32 v63, 31, v63 bitop3:0x54
	v_cmpx_eq_u32_e64 v14, v63
; %bb.54:
	s_delay_alu instid0(VALU_DEP_3)
	v_lshlrev_b32_e32 v62, 2, v61
	ds_store_b32 v62, v60
; %bb.55:
	s_or_b32 exec_lo, exec_lo, s7
	s_delay_alu instid0(SALU_CYCLE_1)
	s_mov_b32 s7, exec_lo
	s_wait_dscnt 0x0
	s_barrier_signal -1
	s_barrier_wait -1
	v_cmpx_gt_u32_e32 16, v14
	s_cbranch_execz .LBB1319_57
; %bb.56:
	v_lshlrev_b32_e32 v62, 2, v14
	ds_load_b32 v63, v62
	s_wait_dscnt 0x0
	v_mov_b32_dpp v64, v63 row_shr:1 row_mask:0xf bank_mask:0xf
	s_delay_alu instid0(VALU_DEP_1) | instskip(NEXT) | instid1(VALU_DEP_1)
	v_cndmask_b32_e64 v64, v64, 0, vcc_lo
	v_add_nc_u32_e32 v63, v64, v63
	s_delay_alu instid0(VALU_DEP_1) | instskip(NEXT) | instid1(VALU_DEP_1)
	v_mov_b32_dpp v64, v63 row_shr:2 row_mask:0xf bank_mask:0xf
	v_cndmask_b32_e64 v64, 0, v64, s3
	s_delay_alu instid0(VALU_DEP_1) | instskip(NEXT) | instid1(VALU_DEP_1)
	v_add_nc_u32_e32 v63, v63, v64
	v_mov_b32_dpp v64, v63 row_shr:4 row_mask:0xf bank_mask:0xf
	s_delay_alu instid0(VALU_DEP_1) | instskip(NEXT) | instid1(VALU_DEP_1)
	v_cndmask_b32_e64 v64, 0, v64, s4
	v_add_nc_u32_e32 v63, v63, v64
	s_delay_alu instid0(VALU_DEP_1) | instskip(NEXT) | instid1(VALU_DEP_1)
	v_mov_b32_dpp v64, v63 row_shr:8 row_mask:0xf bank_mask:0xf
	v_cndmask_b32_e64 v64, 0, v64, s5
	s_delay_alu instid0(VALU_DEP_1)
	v_add_nc_u32_e32 v63, v63, v64
	ds_store_b32 v62, v63
.LBB1319_57:
	s_or_b32 exec_lo, exec_lo, s7
	v_mov_b32_e32 v62, 0
	s_mov_b32 s3, exec_lo
	s_wait_dscnt 0x0
	s_barrier_signal -1
	s_barrier_wait -1
	v_cmpx_lt_u32_e32 31, v14
; %bb.58:
	v_lshl_add_u32 v61, v61, 2, -4
	ds_load_b32 v62, v61
; %bb.59:
	s_or_b32 exec_lo, exec_lo, s3
	v_sub_co_u32 v61, vcc_lo, v15, 1
	s_wait_dscnt 0x0
	v_add_nc_u32_e32 v60, v62, v60
	s_delay_alu instid0(VALU_DEP_2) | instskip(NEXT) | instid1(VALU_DEP_1)
	v_cmp_gt_i32_e64 s3, 0, v61
	v_cndmask_b32_e64 v61, v61, v15, s3
	v_cmp_lt_u32_e64 s3, 0xff, v14
	s_delay_alu instid0(VALU_DEP_2) | instskip(SKIP_4) | instid1(VALU_DEP_2)
	v_lshlrev_b32_e32 v61, 2, v61
	ds_bpermute_b32 v60, v61, v60
	s_wait_dscnt 0x0
	v_cndmask_b32_e32 v60, v60, v62, vcc_lo
	v_cmp_gt_u32_e32 vcc_lo, 0x100, v14
	v_cndmask_b32_e64 v60, v60, 0, s2
	s_delay_alu instid0(VALU_DEP_1) | instskip(NEXT) | instid1(VALU_DEP_1)
	v_add_nc_u32_e32 v8, v60, v8
	v_add_nc_u32_e32 v9, v8, v9
	s_delay_alu instid0(VALU_DEP_1) | instskip(NEXT) | instid1(VALU_DEP_1)
	v_add_nc_u32_e32 v6, v9, v6
	v_add_nc_u32_e32 v7, v6, v7
	;; [unrolled: 3-line block ×4, first 2 shown]
	ds_store_2addr_b32 v10, v60, v8 offset0:16 offset1:17
	ds_store_2addr_b32 v10, v9, v6 offset0:18 offset1:19
	;; [unrolled: 1-line block ×4, first 2 shown]
	ds_store_b32 v10, v3 offset:96
	s_wait_dscnt 0x0
	s_barrier_signal -1
	s_barrier_wait -1
	ds_load_b32 v63, v11 offset:64
	ds_load_b32 v60, v12 offset:64
	;; [unrolled: 1-line block ×12, first 2 shown]
	v_mov_b64_e32 v[2:3], 0
                                        ; implicit-def: $vgpr4
	s_and_saveexec_b32 s5, vcc_lo
	s_cbranch_execz .LBB1319_63
; %bb.60:
	v_mul_u32_u24_e32 v2, 0x44, v14
	v_dual_mov_b32 v3, 0x1800 :: v_dual_add_nc_u32 v4, 1, v14
	s_mov_b32 s6, exec_lo
	ds_load_b32 v2, v2 offset:64
	v_cmpx_ne_u32_e32 0x100, v4
; %bb.61:
	v_mul_u32_u24_e32 v3, 0x44, v4
	ds_load_b32 v3, v3 offset:64
; %bb.62:
	s_or_b32 exec_lo, exec_lo, s6
	s_wait_dscnt 0x0
	v_dual_mov_b32 v3, 0 :: v_dual_sub_nc_u32 v4, v3, v2
.LBB1319_63:
	s_or_b32 exec_lo, exec_lo, s5
	v_dual_mov_b32 v7, 0 :: v_dual_lshlrev_b32 v5, 3, v14
	s_wait_dscnt 0x0
	s_barrier_signal -1
	s_barrier_wait -1
	s_and_saveexec_b32 s4, vcc_lo
	s_cbranch_execz .LBB1319_73
; %bb.64:
	v_lshl_add_u32 v6, s23, 8, v14
	v_dual_mov_b32 v10, 0 :: v_dual_bitop2_b32 v11, 2.0, v4 bitop3:0x54
	s_mov_b32 s5, 0
	s_mov_b32 s6, s23
	s_delay_alu instid0(VALU_DEP_2)
	v_lshl_add_u64 v[8:9], v[6:7], 2, s[10:11]
	global_store_b32 v6, v11, s[10:11] scale_offset scope:SCOPE_DEV
                                        ; implicit-def: $sgpr7
	s_branch .LBB1319_67
.LBB1319_65:                            ;   in Loop: Header=BB1319_67 Depth=1
	s_or_b32 exec_lo, exec_lo, s8
.LBB1319_66:                            ;   in Loop: Header=BB1319_67 Depth=1
	s_delay_alu instid0(SALU_CYCLE_1) | instskip(SKIP_2) | instid1(VALU_DEP_2)
	s_or_b32 exec_lo, exec_lo, s7
	v_and_b32_e32 v6, 0x3fffffff, v11
	v_cmp_gt_i32_e64 s7, -2.0, v11
	v_add_nc_u32_e32 v10, v6, v10
	s_and_b32 s8, exec_lo, s7
	s_delay_alu instid0(SALU_CYCLE_1) | instskip(NEXT) | instid1(SALU_CYCLE_1)
	s_or_b32 s5, s8, s5
	s_and_not1_b32 exec_lo, exec_lo, s5
	s_cbranch_execz .LBB1319_72
.LBB1319_67:                            ; =>This Loop Header: Depth=1
                                        ;     Child Loop BB1319_70 Depth 2
	s_or_b32 s7, s7, exec_lo
	s_cmp_eq_u32 s6, 0
	s_cbranch_scc1 .LBB1319_71
; %bb.68:                               ;   in Loop: Header=BB1319_67 Depth=1
	s_add_co_i32 s6, s6, -1
	s_mov_b32 s7, exec_lo
	s_wait_xcnt 0x0
	v_lshl_or_b32 v6, s6, 8, v14
	global_load_b32 v11, v6, s[10:11] scale_offset scope:SCOPE_DEV
	s_wait_loadcnt 0x0
	v_cmpx_gt_u32_e32 2.0, v11
	s_cbranch_execz .LBB1319_66
; %bb.69:                               ;   in Loop: Header=BB1319_67 Depth=1
	v_lshl_add_u64 v[12:13], v[6:7], 2, s[10:11]
	s_mov_b32 s8, 0
.LBB1319_70:                            ;   Parent Loop BB1319_67 Depth=1
                                        ; =>  This Inner Loop Header: Depth=2
	global_load_b32 v11, v[12:13], off scope:SCOPE_DEV
	s_wait_loadcnt 0x0
	v_cmp_lt_u32_e32 vcc_lo, 0x3fffffff, v11
	s_or_b32 s8, vcc_lo, s8
	s_wait_xcnt 0x0
	s_and_not1_b32 exec_lo, exec_lo, s8
	s_cbranch_execnz .LBB1319_70
	s_branch .LBB1319_65
.LBB1319_71:                            ;   in Loop: Header=BB1319_67 Depth=1
                                        ; implicit-def: $sgpr6
	s_and_b32 s8, exec_lo, s7
	s_delay_alu instid0(SALU_CYCLE_1)
	s_or_b32 s5, s8, s5
	s_wait_xcnt 0x0
	s_and_not1_b32 exec_lo, exec_lo, s5
	s_cbranch_execnz .LBB1319_67
.LBB1319_72:
	s_or_b32 exec_lo, exec_lo, s5
	v_dual_mov_b32 v11, 0 :: v_dual_add_nc_u32 v6, v10, v4
	s_delay_alu instid0(VALU_DEP_1) | instskip(SKIP_4) | instid1(VALU_DEP_1)
	v_or_b32_e32 v6, 0x80000000, v6
	global_store_b32 v[8:9], v6, off scope:SCOPE_DEV
	global_load_b64 v[6:7], v14, s[12:13] scale_offset
	v_sub_nc_u64_e32 v[8:9], v[10:11], v[2:3]
	s_wait_loadcnt 0x0
	v_add_nc_u64_e32 v[6:7], v[8:9], v[6:7]
	ds_store_b64 v5, v[6:7]
.LBB1319_73:
	s_wait_xcnt 0x0
	s_or_b32 exec_lo, exec_lo, s4
	v_dual_lshlrev_b32 v6, 2, v14 :: v_dual_add_nc_u32 v8, v63, v20
	v_mov_b32_e32 v7, 0
	v_add3_u32 v10, v55, v53, v54
	v_add3_u32 v9, v58, v56, v57
	s_delay_alu instid0(VALU_DEP_4)
	v_sub_nc_u32_e32 v53, 0, v6
	v_add3_u32 v11, v52, v51, v50
	v_add_nc_u64_e32 v[6:7], s[18:19], v[6:7]
	v_add3_u32 v12, v49, v48, v47
	v_add3_u32 v13, v44, v45, v43
	;; [unrolled: 1-line block ×6, first 2 shown]
	v_add_nc_u64_e32 v[6:7], 0x3800, v[6:7]
	v_add3_u32 v25, v26, v61, v25
	v_add3_u32 v22, v23, v60, v22
	v_add_nc_u32_e32 v23, 0xe00, v14
	v_add_nc_u32_e32 v26, v5, v53
	s_mov_b32 s4, 0
	s_mov_b32 s5, -1
	s_branch .LBB1319_75
.LBB1319_74:                            ;   in Loop: Header=BB1319_75 Depth=1
	s_wait_xcnt 0x0
	s_or_b32 exec_lo, exec_lo, s6
	v_add_nc_u64_e32 v[6:7], 0x4000, v[6:7]
	v_add_nc_u32_e32 v23, 0x1000, v23
	s_xor_b32 s5, s5, -1
	s_addk_co_i32 s4, 0xf000
	s_and_b32 vcc_lo, exec_lo, s5
	s_mov_b32 s5, 0
	s_wait_storecnt 0x0
	s_barrier_signal -1
	s_barrier_wait -1
	s_cbranch_vccnz .LBB1319_91
.LBB1319_75:                            ; =>This Inner Loop Header: Depth=1
	v_add_min_u32_e64 v29, v8, s4, 0x1000
	v_add_min_u32_e64 v32, v22, s4, 0x1000
	;; [unrolled: 1-line block ×5, first 2 shown]
	s_delay_alu instid0(VALU_DEP_4) | instskip(NEXT) | instid1(VALU_DEP_4)
	v_dual_lshlrev_b32 v29, 2, v29 :: v_dual_lshlrev_b32 v32, 2, v32
	v_lshlrev_b32_e32 v35, 2, v35
	v_add_min_u32_e64 v39, v33, s4, 0x1000
	s_mov_b32 s6, exec_lo
	ds_store_b32 v29, v1 offset:2048
	ds_store_b32 v32, v17 offset:2048
	v_add_min_u32_e64 v29, v20, s4, 0x1000
	v_lshlrev_b32_e32 v32, 2, v36
	ds_store_b32 v35, v18 offset:2048
	v_dual_lshlrev_b32 v35, 2, v37 :: v_dual_lshlrev_b32 v36, 2, v39
	v_add_min_u32_e64 v37, v13, s4, 0x1000
	v_lshlrev_b32_e32 v29, 2, v29
	ds_store_b32 v32, v19 offset:2048
	ds_store_b32 v35, v21 offset:2048
	;; [unrolled: 1-line block ×4, first 2 shown]
	v_add_min_u32_e64 v32, v12, s4, 0x1000
	v_add_min_u32_e64 v35, v11, s4, 0x1000
	v_add_min_u32_e64 v36, v10, s4, 0x1000
	v_lshlrev_b32_e32 v29, 2, v37
	v_add_min_u32_e64 v37, v9, s4, 0x1000
	ds_store_b32 v29, v30 offset:2048
	v_dual_lshlrev_b32 v29, 2, v32 :: v_dual_lshlrev_b32 v32, 2, v35
	v_dual_lshlrev_b32 v35, 2, v36 :: v_dual_lshlrev_b32 v36, 2, v37
	v_add_nc_u32_e32 v37, 0xfffff200, v23
	ds_store_b32 v29, v34 offset:2048
	ds_store_b32 v32, v38 offset:2048
	;; [unrolled: 1-line block ×4, first 2 shown]
	s_wait_storecnt_dscnt 0x0
	s_barrier_signal -1
	s_barrier_wait -1
	v_cmpx_gt_u32_e64 s22, v37
	s_cbranch_execz .LBB1319_77
; %bb.76:                               ;   in Loop: Header=BB1319_75 Depth=1
	ds_load_b32 v29, v26 offset:2048
	s_wait_dscnt 0x0
	v_cmp_ne_u32_e32 vcc_lo, 0x80000000, v29
	v_cndmask_b32_e32 v32, 0x7fffffff, v29, vcc_lo
	v_cmp_gt_i32_e32 vcc_lo, 0, v29
	s_delay_alu instid0(VALU_DEP_2) | instskip(NEXT) | instid1(VALU_DEP_1)
	v_lshrrev_b32_e32 v32, s20, v32
	v_and_b32_e32 v32, s29, v32
	s_delay_alu instid0(VALU_DEP_1) | instskip(SKIP_2) | instid1(VALU_DEP_1)
	v_lshlrev_b32_e32 v32, 3, v32
	ds_load_b64 v[36:37], v32
	v_cndmask_b32_e64 v32, 0x7fffffff, 0, vcc_lo
	v_xor_b32_e32 v29, v32, v29
	s_wait_dscnt 0x0
	v_lshl_add_u64 v[36:37], v[36:37], 2, v[6:7]
	global_store_b32 v[36:37], v29, off offset:-14336
.LBB1319_77:                            ;   in Loop: Header=BB1319_75 Depth=1
	s_wait_xcnt 0x0
	s_or_b32 exec_lo, exec_lo, s6
	v_add_nc_u32_e32 v29, 0xfffff400, v23
	s_mov_b32 s6, exec_lo
	s_delay_alu instid0(VALU_DEP_1)
	v_cmpx_gt_u32_e64 s22, v29
	s_cbranch_execz .LBB1319_79
; %bb.78:                               ;   in Loop: Header=BB1319_75 Depth=1
	ds_load_b32 v29, v26 offset:4096
	s_wait_dscnt 0x0
	v_cmp_ne_u32_e32 vcc_lo, 0x80000000, v29
	v_cndmask_b32_e32 v32, 0x7fffffff, v29, vcc_lo
	v_cmp_gt_i32_e32 vcc_lo, 0, v29
	s_delay_alu instid0(VALU_DEP_2) | instskip(NEXT) | instid1(VALU_DEP_1)
	v_lshrrev_b32_e32 v32, s20, v32
	v_and_b32_e32 v32, s29, v32
	s_delay_alu instid0(VALU_DEP_1) | instskip(SKIP_2) | instid1(VALU_DEP_1)
	v_lshlrev_b32_e32 v32, 3, v32
	ds_load_b64 v[36:37], v32
	v_cndmask_b32_e64 v32, 0x7fffffff, 0, vcc_lo
	v_xor_b32_e32 v29, v32, v29
	s_wait_dscnt 0x0
	v_lshl_add_u64 v[36:37], v[36:37], 2, v[6:7]
	global_store_b32 v[36:37], v29, off offset:-12288
.LBB1319_79:                            ;   in Loop: Header=BB1319_75 Depth=1
	s_wait_xcnt 0x0
	s_or_b32 exec_lo, exec_lo, s6
	v_add_nc_u32_e32 v29, 0xfffff600, v23
	s_mov_b32 s6, exec_lo
	s_delay_alu instid0(VALU_DEP_1)
	;; [unrolled: 25-line block ×6, first 2 shown]
	v_cmpx_gt_u32_e64 s22, v29
	s_cbranch_execz .LBB1319_89
; %bb.88:                               ;   in Loop: Header=BB1319_75 Depth=1
	ds_load_b32 v29, v26 offset:14336
	s_wait_dscnt 0x0
	v_cmp_ne_u32_e32 vcc_lo, 0x80000000, v29
	v_cndmask_b32_e32 v32, 0x7fffffff, v29, vcc_lo
	v_cmp_gt_i32_e32 vcc_lo, 0, v29
	s_delay_alu instid0(VALU_DEP_2) | instskip(NEXT) | instid1(VALU_DEP_1)
	v_lshrrev_b32_e32 v32, s20, v32
	v_and_b32_e32 v32, s29, v32
	s_delay_alu instid0(VALU_DEP_1) | instskip(SKIP_2) | instid1(VALU_DEP_1)
	v_lshlrev_b32_e32 v32, 3, v32
	ds_load_b64 v[36:37], v32
	v_cndmask_b32_e64 v32, 0x7fffffff, 0, vcc_lo
	v_xor_b32_e32 v29, v32, v29
	s_wait_dscnt 0x0
	v_lshl_add_u64 v[36:37], v[36:37], 2, v[6:7]
	global_store_b32 v[36:37], v29, off offset:-2048
.LBB1319_89:                            ;   in Loop: Header=BB1319_75 Depth=1
	s_wait_xcnt 0x0
	s_or_b32 exec_lo, exec_lo, s6
	s_delay_alu instid0(SALU_CYCLE_1)
	s_mov_b32 s6, exec_lo
	v_cmpx_gt_u32_e64 s22, v23
	s_cbranch_execz .LBB1319_74
; %bb.90:                               ;   in Loop: Header=BB1319_75 Depth=1
	ds_load_b32 v29, v26 offset:16384
	s_wait_dscnt 0x0
	v_cmp_ne_u32_e32 vcc_lo, 0x80000000, v29
	v_cndmask_b32_e32 v32, 0x7fffffff, v29, vcc_lo
	v_cmp_gt_i32_e32 vcc_lo, 0, v29
	s_delay_alu instid0(VALU_DEP_2) | instskip(NEXT) | instid1(VALU_DEP_1)
	v_lshrrev_b32_e32 v32, s20, v32
	v_and_b32_e32 v32, s29, v32
	s_delay_alu instid0(VALU_DEP_1) | instskip(SKIP_2) | instid1(VALU_DEP_1)
	v_lshlrev_b32_e32 v32, 3, v32
	ds_load_b64 v[36:37], v32
	v_cndmask_b32_e64 v32, 0x7fffffff, 0, vcc_lo
	v_xor_b32_e32 v29, v32, v29
	s_wait_dscnt 0x0
	v_lshl_add_u64 v[36:37], v[36:37], 2, v[6:7]
	global_store_b32 v[36:37], v29, off
	s_branch .LBB1319_74
.LBB1319_91:
	s_add_co_i32 s25, s25, -1
	s_delay_alu instid0(SALU_CYCLE_1) | instskip(SKIP_2) | instid1(SALU_CYCLE_1)
	s_cmp_eq_u32 s23, s25
	s_cselect_b32 s4, -1, 0
	s_xor_b32 s3, s3, -1
	s_and_b32 s4, s3, s4
	s_delay_alu instid0(SALU_CYCLE_1)
	s_and_saveexec_b32 s3, s4
	s_cbranch_execz .LBB1319_93
; %bb.92:
	ds_load_b64 v[6:7], v5
	v_mov_b32_e32 v5, 0
	s_delay_alu instid0(VALU_DEP_1) | instskip(SKIP_1) | instid1(VALU_DEP_1)
	v_add_nc_u64_e32 v[2:3], v[2:3], v[4:5]
	s_wait_dscnt 0x0
	v_add_nc_u64_e32 v[2:3], v[2:3], v[6:7]
	global_store_b64 v14, v[2:3], s[14:15] scale_offset
.LBB1319_93:
	s_wait_xcnt 0x0
	s_or_b32 exec_lo, exec_lo, s3
	s_mov_b32 s4, 0
.LBB1319_94:
	s_delay_alu instid0(SALU_CYCLE_1)
	s_and_b32 vcc_lo, exec_lo, s4
	s_cbranch_vccz .LBB1319_153
; %bb.95:
	s_mov_b32 s25, 0
	v_dual_mov_b32 v11, 0 :: v_dual_lshlrev_b32 v10, 2, v15
	s_lshl_b64 s[4:5], s[24:25], 2
	v_mul_u32_u24_e32 v1, 12, v16
	s_add_nc_u64 s[4:5], s[16:17], s[4:5]
	s_bfe_u32 s3, ttmp6, 0x4000c
	v_add_nc_u64_e32 v[2:3], s[4:5], v[10:11]
	s_add_co_i32 s3, s3, 1
	v_lshlrev_b32_e32 v10, 2, v1
	s_and_b32 s4, ttmp6, 15
	s_mul_i32 s3, ttmp9, s3
	s_delay_alu instid0(SALU_CYCLE_1) | instskip(NEXT) | instid1(VALU_DEP_1)
	s_add_co_i32 s4, s4, s3
	v_add_nc_u64_e32 v[18:19], v[2:3], v[10:11]
	s_cmp_eq_u32 s28, 0
	s_clause 0xb
	global_load_b32 v5, v[18:19], off
	global_load_b32 v12, v[18:19], off offset:128
	global_load_b32 v13, v[18:19], off offset:256
	;; [unrolled: 1-line block ×11, first 2 shown]
	s_load_b32 s8, s[0:1], 0x58
	s_cselect_b32 s3, ttmp9, s4
	s_load_u16 s4, s[0:1], 0x66
	s_wait_kmcnt 0x0
	s_cmp_lt_u32 s3, s8
	s_cselect_b32 s24, 12, 18
	s_lshl_b32 s9, -1, s21
	s_add_nc_u64 s[0:1], s[26:27], s[24:25]
	s_load_u16 s0, s[0:1], 0x0
	s_wait_loadcnt 0xb
	v_cmp_gt_i32_e32 vcc_lo, 0, v5
	v_cndmask_b32_e64 v10, 0x7fffffff, 0, vcc_lo
	s_delay_alu instid0(VALU_DEP_1) | instskip(SKIP_2) | instid1(VALU_DEP_3)
	v_xor_b32_e32 v17, v10, v5
	v_bfe_u32 v10, v0, 10, 10
	v_bfe_u32 v0, v0, 20, 10
	v_cmp_ne_u32_e32 vcc_lo, 0x80000000, v17
	s_delay_alu instid0(VALU_DEP_2) | instskip(SKIP_2) | instid1(VALU_DEP_2)
	v_mad_u32_u24 v0, v0, s4, v10
	v_cndmask_b32_e32 v5, 0x7fffffff, v17, vcc_lo
	s_wait_kmcnt 0x0
	v_mad_u32 v0, v0, s0, v14
	s_delay_alu instid0(VALU_DEP_2) | instskip(NEXT) | instid1(VALU_DEP_1)
	v_lshrrev_b32_e32 v5, s20, v5
	v_bitop3_b32 v10, v5, 1, s9 bitop3:0x40
	v_bitop3_b32 v19, v5, s9, v5 bitop3:0x30
	s_not_b32 s9, s9
	s_delay_alu instid0(VALU_DEP_4) | instskip(NEXT) | instid1(VALU_DEP_3)
	v_lshrrev_b32_e32 v0, 5, v0
	v_add_co_u32 v5, s0, v10, -1
	s_delay_alu instid0(VALU_DEP_1) | instskip(SKIP_2) | instid1(VALU_DEP_3)
	v_cndmask_b32_e64 v10, 0, 1, s0
	v_dual_lshlrev_b32 v18, 30, v19 :: v_dual_lshlrev_b32 v21, 29, v19
	v_dual_lshlrev_b32 v23, 27, v19 :: v_dual_lshlrev_b32 v22, 28, v19
	v_cmp_ne_u32_e32 vcc_lo, 0, v10
	s_delay_alu instid0(VALU_DEP_3)
	v_not_b32_e32 v10, v18
	v_dual_lshlrev_b32 v24, 26, v19 :: v_dual_lshlrev_b32 v25, 25, v19
	v_lshlrev_b32_e32 v26, 24, v19
	v_cmp_gt_i32_e64 s0, 0, v18
	v_cmp_gt_i32_e64 s1, 0, v21
	v_not_b32_e32 v18, v21
	v_not_b32_e32 v21, v22
	v_ashrrev_i32_e32 v10, 31, v10
	v_cmp_gt_i32_e64 s3, 0, v22
	v_cmp_gt_i32_e64 s4, 0, v23
	v_not_b32_e32 v22, v23
	v_not_b32_e32 v23, v24
	v_dual_ashrrev_i32 v18, 31, v18 :: v_dual_bitop2_b32 v5, vcc_lo, v5 bitop3:0x14
	v_dual_ashrrev_i32 v21, 31, v21 :: v_dual_bitop2_b32 v10, s0, v10 bitop3:0x14
	v_cmp_gt_i32_e64 s5, 0, v24
	v_cmp_gt_i32_e64 s6, 0, v25
	v_not_b32_e32 v24, v25
	v_not_b32_e32 v25, v26
	v_dual_ashrrev_i32 v22, 31, v22 :: v_dual_ashrrev_i32 v23, 31, v23
	v_xor_b32_e32 v18, s1, v18
	v_xor_b32_e32 v21, s3, v21
	v_bitop3_b32 v5, v5, v10, exec_lo bitop3:0x80
	v_cmp_gt_i32_e64 s7, 0, v26
	v_dual_ashrrev_i32 v10, 31, v24 :: v_dual_ashrrev_i32 v24, 31, v25
	v_xor_b32_e32 v22, s4, v22
	v_dual_lshlrev_b32 v0, 2, v0 :: v_dual_bitop2_b32 v23, s5, v23 bitop3:0x14
	v_bitop3_b32 v5, v5, v21, v18 bitop3:0x80
	s_delay_alu instid0(VALU_DEP_4)
	v_xor_b32_e32 v18, s6, v10
	v_xor_b32_e32 v21, s7, v24
	v_mul_u32_u24_e32 v10, 36, v14
	ds_store_2addr_b32 v10, v11, v11 offset0:16 offset1:17
	ds_store_2addr_b32 v10, v11, v11 offset0:18 offset1:19
	;; [unrolled: 1-line block ×4, first 2 shown]
	v_bitop3_b32 v5, v5, v23, v22 bitop3:0x80
	ds_store_b32 v10, v11 offset:96
	v_mad_u32 v11, 0x44, v19, v0
	s_wait_storecnt 0x0
	s_wait_loadcnt_dscnt 0x0
	s_barrier_signal -1
	v_bitop3_b32 v18, v5, v21, v18 bitop3:0x80
	s_barrier_wait -1
	; wave barrier
	s_delay_alu instid0(VALU_DEP_1) | instskip(SKIP_1) | instid1(VALU_DEP_2)
	v_mbcnt_lo_u32_b32 v5, v18, 0
	v_cmp_ne_u32_e64 s0, 0, v18
	v_cmp_eq_u32_e32 vcc_lo, 0, v5
	s_and_b32 s1, s0, vcc_lo
	s_delay_alu instid0(SALU_CYCLE_1)
	s_and_saveexec_b32 s0, s1
; %bb.96:
	v_bcnt_u32_b32 v18, v18, 0
	ds_store_b32 v11, v18 offset:64
; %bb.97:
	s_or_b32 exec_lo, exec_lo, s0
	v_cmp_gt_i32_e32 vcc_lo, 0, v12
	; wave barrier
	v_cndmask_b32_e64 v18, 0x7fffffff, 0, vcc_lo
	s_delay_alu instid0(VALU_DEP_1) | instskip(NEXT) | instid1(VALU_DEP_1)
	v_xor_b32_e32 v18, v18, v12
	v_cmp_ne_u32_e32 vcc_lo, 0x80000000, v18
	v_cndmask_b32_e32 v12, 0x7fffffff, v18, vcc_lo
	s_delay_alu instid0(VALU_DEP_1) | instskip(NEXT) | instid1(VALU_DEP_1)
	v_lshrrev_b32_e32 v12, s20, v12
	v_bitop3_b32 v21, v12, 1, s9 bitop3:0x80
	v_and_b32_e32 v19, s9, v12
	s_delay_alu instid0(VALU_DEP_2) | instskip(NEXT) | instid1(VALU_DEP_1)
	v_add_co_u32 v21, s0, v21, -1
	v_cndmask_b32_e64 v22, 0, 1, s0
	s_delay_alu instid0(VALU_DEP_3) | instskip(NEXT) | instid1(VALU_DEP_2)
	v_lshlrev_b32_e32 v23, 30, v19
	v_cmp_ne_u32_e32 vcc_lo, 0, v22
	s_delay_alu instid0(VALU_DEP_2) | instskip(SKIP_1) | instid1(VALU_DEP_2)
	v_not_b32_e32 v22, v23
	v_cmp_gt_i32_e64 s0, 0, v23
	v_dual_ashrrev_i32 v22, 31, v22 :: v_dual_lshlrev_b32 v24, 29, v19
	v_dual_lshlrev_b32 v25, 28, v19 :: v_dual_lshlrev_b32 v26, 27, v19
	v_lshlrev_b32_e32 v27, 26, v19
	v_mad_u32 v12, 0x44, v19, v0
	s_delay_alu instid0(VALU_DEP_4)
	v_cmp_gt_i32_e64 s1, 0, v24
	v_not_b32_e32 v23, v24
	v_not_b32_e32 v24, v25
	v_dual_lshlrev_b32 v28, 25, v19 :: v_dual_lshlrev_b32 v19, 24, v19
	v_cmp_gt_i32_e64 s3, 0, v25
	v_cmp_gt_i32_e64 s4, 0, v26
	v_not_b32_e32 v25, v26
	v_not_b32_e32 v26, v27
	v_dual_ashrrev_i32 v23, 31, v23 :: v_dual_bitop2_b32 v21, vcc_lo, v21 bitop3:0x14
	v_dual_ashrrev_i32 v24, 31, v24 :: v_dual_bitop2_b32 v22, s0, v22 bitop3:0x14
	v_cmp_gt_i32_e64 s5, 0, v27
	v_not_b32_e32 v27, v28
	v_cmp_gt_i32_e64 s7, 0, v19
	v_not_b32_e32 v19, v19
	v_dual_ashrrev_i32 v25, 31, v25 :: v_dual_ashrrev_i32 v26, 31, v26
	v_xor_b32_e32 v23, s1, v23
	v_xor_b32_e32 v24, s3, v24
	v_bitop3_b32 v21, v21, v22, exec_lo bitop3:0x80
	v_cmp_gt_i32_e64 s6, 0, v28
	v_ashrrev_i32_e32 v22, 31, v27
	v_dual_ashrrev_i32 v19, 31, v19 :: v_dual_bitop2_b32 v25, s4, v25 bitop3:0x14
	v_xor_b32_e32 v26, s5, v26
	v_bitop3_b32 v21, v21, v24, v23 bitop3:0x80
	s_delay_alu instid0(VALU_DEP_4) | instskip(NEXT) | instid1(VALU_DEP_4)
	v_xor_b32_e32 v23, s6, v22
	v_xor_b32_e32 v19, s7, v19
	ds_load_b32 v22, v12 offset:64
	v_bitop3_b32 v21, v21, v26, v25 bitop3:0x80
	; wave barrier
	s_delay_alu instid0(VALU_DEP_1) | instskip(NEXT) | instid1(VALU_DEP_1)
	v_bitop3_b32 v19, v21, v19, v23 bitop3:0x80
	v_mbcnt_lo_u32_b32 v23, v19, 0
	v_cmp_ne_u32_e64 s0, 0, v19
	s_delay_alu instid0(VALU_DEP_2) | instskip(SKIP_1) | instid1(SALU_CYCLE_1)
	v_cmp_eq_u32_e32 vcc_lo, 0, v23
	s_and_b32 s1, s0, vcc_lo
	s_and_saveexec_b32 s0, s1
	s_cbranch_execz .LBB1319_99
; %bb.98:
	s_wait_dscnt 0x0
	v_bcnt_u32_b32 v19, v19, v22
	ds_store_b32 v12, v19 offset:64
.LBB1319_99:
	s_or_b32 exec_lo, exec_lo, s0
	v_cmp_gt_i32_e32 vcc_lo, 0, v13
	; wave barrier
	v_cndmask_b32_e64 v19, 0x7fffffff, 0, vcc_lo
	s_delay_alu instid0(VALU_DEP_1) | instskip(NEXT) | instid1(VALU_DEP_1)
	v_xor_b32_e32 v19, v19, v13
	v_cmp_ne_u32_e32 vcc_lo, 0x80000000, v19
	v_cndmask_b32_e32 v13, 0x7fffffff, v19, vcc_lo
	s_delay_alu instid0(VALU_DEP_1) | instskip(NEXT) | instid1(VALU_DEP_1)
	v_lshrrev_b32_e32 v13, s20, v13
	v_bitop3_b32 v24, v13, 1, s9 bitop3:0x80
	v_and_b32_e32 v21, s9, v13
	s_delay_alu instid0(VALU_DEP_2) | instskip(NEXT) | instid1(VALU_DEP_1)
	v_add_co_u32 v24, s0, v24, -1
	v_cndmask_b32_e64 v25, 0, 1, s0
	s_delay_alu instid0(VALU_DEP_3) | instskip(NEXT) | instid1(VALU_DEP_2)
	v_dual_lshlrev_b32 v26, 30, v21 :: v_dual_lshlrev_b32 v27, 29, v21
	v_cmp_ne_u32_e32 vcc_lo, 0, v25
	s_delay_alu instid0(VALU_DEP_2) | instskip(SKIP_1) | instid1(VALU_DEP_4)
	v_cmp_gt_i32_e64 s0, 0, v26
	v_not_b32_e32 v25, v26
	v_not_b32_e32 v26, v27
	s_delay_alu instid0(VALU_DEP_2) | instskip(NEXT) | instid1(VALU_DEP_2)
	v_dual_ashrrev_i32 v25, 31, v25 :: v_dual_bitop2_b32 v24, vcc_lo, v24 bitop3:0x14
	v_dual_ashrrev_i32 v26, 31, v26 :: v_dual_lshlrev_b32 v28, 28, v21
	v_dual_lshlrev_b32 v29, 27, v21 :: v_dual_lshlrev_b32 v30, 26, v21
	v_cmp_gt_i32_e64 s1, 0, v27
	v_mad_u32 v13, 0x44, v21, v0
	s_delay_alu instid0(VALU_DEP_4)
	v_not_b32_e32 v27, v28
	v_dual_lshlrev_b32 v31, 25, v21 :: v_dual_lshlrev_b32 v21, 24, v21
	v_cmp_gt_i32_e64 s3, 0, v28
	v_cmp_gt_i32_e64 s4, 0, v29
	v_not_b32_e32 v28, v29
	v_not_b32_e32 v29, v30
	v_dual_ashrrev_i32 v27, 31, v27 :: v_dual_bitop2_b32 v25, s0, v25 bitop3:0x14
	v_cmp_gt_i32_e64 s5, 0, v30
	v_not_b32_e32 v30, v31
	v_cmp_gt_i32_e64 s7, 0, v21
	v_not_b32_e32 v21, v21
	v_dual_ashrrev_i32 v28, 31, v28 :: v_dual_ashrrev_i32 v29, 31, v29
	v_xor_b32_e32 v26, s1, v26
	v_xor_b32_e32 v27, s3, v27
	v_bitop3_b32 v24, v24, v25, exec_lo bitop3:0x80
	v_cmp_gt_i32_e64 s6, 0, v31
	v_dual_ashrrev_i32 v25, 31, v30 :: v_dual_ashrrev_i32 v21, 31, v21
	v_xor_b32_e32 v28, s4, v28
	v_xor_b32_e32 v29, s5, v29
	v_bitop3_b32 v24, v24, v27, v26 bitop3:0x80
	s_delay_alu instid0(VALU_DEP_4) | instskip(SKIP_3) | instid1(VALU_DEP_1)
	v_xor_b32_e32 v26, s6, v25
	v_xor_b32_e32 v21, s7, v21
	ds_load_b32 v25, v13 offset:64
	v_bitop3_b32 v24, v24, v29, v28 bitop3:0x80
	; wave barrier
	v_bitop3_b32 v21, v24, v21, v26 bitop3:0x80
	s_delay_alu instid0(VALU_DEP_1) | instskip(SKIP_1) | instid1(VALU_DEP_2)
	v_mbcnt_lo_u32_b32 v26, v21, 0
	v_cmp_ne_u32_e64 s0, 0, v21
	v_cmp_eq_u32_e32 vcc_lo, 0, v26
	s_and_b32 s1, s0, vcc_lo
	s_delay_alu instid0(SALU_CYCLE_1)
	s_and_saveexec_b32 s0, s1
	s_cbranch_execz .LBB1319_101
; %bb.100:
	s_wait_dscnt 0x0
	v_bcnt_u32_b32 v21, v21, v25
	ds_store_b32 v13, v21 offset:64
.LBB1319_101:
	s_or_b32 exec_lo, exec_lo, s0
	v_cmp_gt_i32_e32 vcc_lo, 0, v20
	; wave barrier
	v_cndmask_b32_e64 v21, 0x7fffffff, 0, vcc_lo
	s_delay_alu instid0(VALU_DEP_1) | instskip(NEXT) | instid1(VALU_DEP_1)
	v_xor_b32_e32 v20, v21, v20
	v_cmp_ne_u32_e32 vcc_lo, 0x80000000, v20
	v_cndmask_b32_e32 v21, 0x7fffffff, v20, vcc_lo
	s_delay_alu instid0(VALU_DEP_1) | instskip(NEXT) | instid1(VALU_DEP_1)
	v_lshrrev_b32_e32 v21, s20, v21
	v_and_b32_e32 v24, s9, v21
	v_bitop3_b32 v21, v21, 1, s9 bitop3:0x80
	s_delay_alu instid0(VALU_DEP_2) | instskip(NEXT) | instid1(VALU_DEP_2)
	v_lshlrev_b32_e32 v28, 30, v24
	v_add_co_u32 v21, s0, v21, -1
	s_delay_alu instid0(VALU_DEP_1) | instskip(NEXT) | instid1(VALU_DEP_1)
	v_cndmask_b32_e64 v27, 0, 1, s0
	v_cmp_ne_u32_e32 vcc_lo, 0, v27
	s_delay_alu instid0(VALU_DEP_4) | instskip(NEXT) | instid1(VALU_DEP_1)
	v_not_b32_e32 v27, v28
	v_dual_ashrrev_i32 v27, 31, v27 :: v_dual_bitop2_b32 v21, vcc_lo, v21 bitop3:0x14
	v_dual_lshlrev_b32 v29, 29, v24 :: v_dual_lshlrev_b32 v30, 28, v24
	v_lshlrev_b32_e32 v31, 27, v24
	v_mad_u32 v33, 0x44, v24, v0
	v_dual_lshlrev_b32 v32, 26, v24 :: v_dual_lshlrev_b32 v34, 25, v24
	v_lshlrev_b32_e32 v24, 24, v24
	v_cmp_gt_i32_e64 s0, 0, v28
	v_cmp_gt_i32_e64 s1, 0, v29
	v_not_b32_e32 v28, v29
	v_not_b32_e32 v29, v30
	v_cmp_gt_i32_e64 s3, 0, v30
	v_cmp_gt_i32_e64 s4, 0, v31
	v_not_b32_e32 v30, v31
	v_not_b32_e32 v31, v32
	v_cmp_gt_i32_e64 s7, 0, v24
	v_not_b32_e32 v24, v24
	v_dual_ashrrev_i32 v28, 31, v28 :: v_dual_ashrrev_i32 v29, 31, v29
	v_xor_b32_e32 v27, s0, v27
	v_cmp_gt_i32_e64 s5, 0, v32
	v_not_b32_e32 v32, v34
	v_dual_ashrrev_i32 v30, 31, v30 :: v_dual_ashrrev_i32 v31, 31, v31
	v_xor_b32_e32 v28, s1, v28
	v_dual_ashrrev_i32 v24, 31, v24 :: v_dual_bitop2_b32 v29, s3, v29 bitop3:0x14
	v_bitop3_b32 v21, v21, v27, exec_lo bitop3:0x80
	v_cmp_gt_i32_e64 s6, 0, v34
	v_dual_ashrrev_i32 v27, 31, v32 :: v_dual_bitop2_b32 v30, s4, v30 bitop3:0x14
	v_xor_b32_e32 v31, s5, v31
	s_delay_alu instid0(VALU_DEP_4) | instskip(SKIP_1) | instid1(VALU_DEP_4)
	v_bitop3_b32 v21, v21, v29, v28 bitop3:0x80
	v_xor_b32_e32 v24, s7, v24
	v_xor_b32_e32 v27, s6, v27
	ds_load_b32 v28, v33 offset:64
	v_bitop3_b32 v21, v21, v31, v30 bitop3:0x80
	; wave barrier
	s_delay_alu instid0(VALU_DEP_1) | instskip(NEXT) | instid1(VALU_DEP_1)
	v_bitop3_b32 v21, v21, v24, v27 bitop3:0x80
	v_mbcnt_lo_u32_b32 v29, v21, 0
	v_cmp_ne_u32_e64 s0, 0, v21
	s_delay_alu instid0(VALU_DEP_2) | instskip(SKIP_1) | instid1(SALU_CYCLE_1)
	v_cmp_eq_u32_e32 vcc_lo, 0, v29
	s_and_b32 s1, s0, vcc_lo
	s_and_saveexec_b32 s0, s1
	s_cbranch_execz .LBB1319_103
; %bb.102:
	s_wait_dscnt 0x0
	v_bcnt_u32_b32 v21, v21, v28
	ds_store_b32 v33, v21 offset:64
.LBB1319_103:
	s_or_b32 exec_lo, exec_lo, s0
	v_cmp_gt_i32_e32 vcc_lo, 0, v9
	; wave barrier
	v_cndmask_b32_e64 v21, 0x7fffffff, 0, vcc_lo
	s_delay_alu instid0(VALU_DEP_1) | instskip(NEXT) | instid1(VALU_DEP_1)
	v_xor_b32_e32 v21, v21, v9
	v_cmp_ne_u32_e32 vcc_lo, 0x80000000, v21
	v_cndmask_b32_e32 v9, 0x7fffffff, v21, vcc_lo
	s_delay_alu instid0(VALU_DEP_1) | instskip(NEXT) | instid1(VALU_DEP_1)
	v_lshrrev_b32_e32 v9, s20, v9
	v_and_b32_e32 v24, s9, v9
	v_bitop3_b32 v9, v9, 1, s9 bitop3:0x80
	s_delay_alu instid0(VALU_DEP_2) | instskip(NEXT) | instid1(VALU_DEP_2)
	v_lshlrev_b32_e32 v30, 30, v24
	v_add_co_u32 v9, s0, v9, -1
	s_delay_alu instid0(VALU_DEP_1) | instskip(NEXT) | instid1(VALU_DEP_3)
	v_cndmask_b32_e64 v27, 0, 1, s0
	v_cmp_gt_i32_e64 s0, 0, v30
	s_delay_alu instid0(VALU_DEP_2) | instskip(SKIP_1) | instid1(VALU_DEP_1)
	v_cmp_ne_u32_e32 vcc_lo, 0, v27
	v_not_b32_e32 v27, v30
	v_dual_ashrrev_i32 v27, 31, v27 :: v_dual_lshlrev_b32 v31, 29, v24
	v_dual_lshlrev_b32 v32, 28, v24 :: v_dual_lshlrev_b32 v34, 27, v24
	v_lshlrev_b32_e32 v35, 26, v24
	v_mad_u32 v37, 0x44, v24, v0
	s_delay_alu instid0(VALU_DEP_4)
	v_cmp_gt_i32_e64 s1, 0, v31
	v_not_b32_e32 v30, v31
	v_not_b32_e32 v31, v32
	v_dual_lshlrev_b32 v36, 25, v24 :: v_dual_lshlrev_b32 v24, 24, v24
	v_cmp_gt_i32_e64 s3, 0, v32
	v_cmp_gt_i32_e64 s4, 0, v34
	v_not_b32_e32 v32, v34
	v_not_b32_e32 v34, v35
	v_dual_ashrrev_i32 v30, 31, v30 :: v_dual_bitop2_b32 v9, vcc_lo, v9 bitop3:0x14
	s_delay_alu instid0(VALU_DEP_3) | instskip(NEXT) | instid1(VALU_DEP_3)
	v_dual_ashrrev_i32 v31, 31, v31 :: v_dual_ashrrev_i32 v32, 31, v32
	v_dual_ashrrev_i32 v34, 31, v34 :: v_dual_bitop2_b32 v27, s0, v27 bitop3:0x14
	v_cmp_gt_i32_e64 s5, 0, v35
	v_not_b32_e32 v35, v36
	v_cmp_gt_i32_e64 s7, 0, v24
	v_not_b32_e32 v24, v24
	v_xor_b32_e32 v30, s1, v30
	v_xor_b32_e32 v31, s3, v31
	v_bitop3_b32 v9, v9, v27, exec_lo bitop3:0x80
	v_cmp_gt_i32_e64 s6, 0, v36
	v_dual_ashrrev_i32 v27, 31, v35 :: v_dual_ashrrev_i32 v24, 31, v24
	v_xor_b32_e32 v32, s4, v32
	v_xor_b32_e32 v34, s5, v34
	v_bitop3_b32 v9, v9, v31, v30 bitop3:0x80
	s_delay_alu instid0(VALU_DEP_4) | instskip(SKIP_3) | instid1(VALU_DEP_1)
	v_xor_b32_e32 v27, s6, v27
	v_xor_b32_e32 v24, s7, v24
	ds_load_b32 v31, v37 offset:64
	v_bitop3_b32 v9, v9, v34, v32 bitop3:0x80
	; wave barrier
	v_bitop3_b32 v9, v9, v24, v27 bitop3:0x80
	s_delay_alu instid0(VALU_DEP_1) | instskip(SKIP_1) | instid1(VALU_DEP_2)
	v_mbcnt_lo_u32_b32 v32, v9, 0
	v_cmp_ne_u32_e64 s0, 0, v9
	v_cmp_eq_u32_e32 vcc_lo, 0, v32
	s_and_b32 s1, s0, vcc_lo
	s_delay_alu instid0(SALU_CYCLE_1)
	s_and_saveexec_b32 s0, s1
	s_cbranch_execz .LBB1319_105
; %bb.104:
	s_wait_dscnt 0x0
	v_bcnt_u32_b32 v9, v9, v31
	ds_store_b32 v37, v9 offset:64
.LBB1319_105:
	s_or_b32 exec_lo, exec_lo, s0
	v_cmp_gt_i32_e32 vcc_lo, 0, v8
	; wave barrier
	v_cndmask_b32_e64 v9, 0x7fffffff, 0, vcc_lo
	s_delay_alu instid0(VALU_DEP_1) | instskip(NEXT) | instid1(VALU_DEP_1)
	v_xor_b32_e32 v24, v9, v8
	v_cmp_ne_u32_e32 vcc_lo, 0x80000000, v24
	v_cndmask_b32_e32 v8, 0x7fffffff, v24, vcc_lo
	s_delay_alu instid0(VALU_DEP_1) | instskip(NEXT) | instid1(VALU_DEP_1)
	v_lshrrev_b32_e32 v8, s20, v8
	v_and_b32_e32 v9, s9, v8
	v_bitop3_b32 v8, v8, 1, s9 bitop3:0x80
	s_delay_alu instid0(VALU_DEP_2) | instskip(NEXT) | instid1(VALU_DEP_2)
	v_lshlrev_b32_e32 v30, 30, v9
	v_add_co_u32 v8, s0, v8, -1
	s_delay_alu instid0(VALU_DEP_1) | instskip(NEXT) | instid1(VALU_DEP_1)
	v_cndmask_b32_e64 v27, 0, 1, s0
	v_cmp_ne_u32_e32 vcc_lo, 0, v27
	s_delay_alu instid0(VALU_DEP_4) | instskip(NEXT) | instid1(VALU_DEP_1)
	v_not_b32_e32 v27, v30
	v_dual_ashrrev_i32 v27, 31, v27 :: v_dual_lshlrev_b32 v34, 29, v9
	v_dual_lshlrev_b32 v35, 28, v9 :: v_dual_lshlrev_b32 v36, 27, v9
	v_lshlrev_b32_e32 v38, 26, v9
	v_cmp_gt_i32_e64 s0, 0, v30
	s_delay_alu instid0(VALU_DEP_4)
	v_cmp_gt_i32_e64 s1, 0, v34
	v_not_b32_e32 v30, v34
	v_not_b32_e32 v34, v35
	v_mad_u32 v41, 0x44, v9, v0
	v_dual_lshlrev_b32 v39, 25, v9 :: v_dual_lshlrev_b32 v9, 24, v9
	v_cmp_gt_i32_e64 s3, 0, v35
	v_cmp_gt_i32_e64 s4, 0, v36
	v_not_b32_e32 v35, v36
	v_not_b32_e32 v36, v38
	v_dual_ashrrev_i32 v30, 31, v30 :: v_dual_bitop2_b32 v8, vcc_lo, v8 bitop3:0x14
	v_dual_ashrrev_i32 v34, 31, v34 :: v_dual_bitop2_b32 v27, s0, v27 bitop3:0x14
	v_cmp_gt_i32_e64 s5, 0, v38
	v_not_b32_e32 v38, v39
	v_cmp_gt_i32_e64 s7, 0, v9
	v_not_b32_e32 v9, v9
	v_dual_ashrrev_i32 v35, 31, v35 :: v_dual_ashrrev_i32 v36, 31, v36
	v_xor_b32_e32 v30, s1, v30
	v_xor_b32_e32 v34, s3, v34
	v_bitop3_b32 v8, v8, v27, exec_lo bitop3:0x80
	v_cmp_gt_i32_e64 s6, 0, v39
	v_dual_ashrrev_i32 v27, 31, v38 :: v_dual_bitop2_b32 v35, s4, v35 bitop3:0x14
	v_dual_ashrrev_i32 v9, 31, v9 :: v_dual_bitop2_b32 v36, s5, v36 bitop3:0x14
	s_delay_alu instid0(VALU_DEP_4) | instskip(NEXT) | instid1(VALU_DEP_3)
	v_bitop3_b32 v8, v8, v34, v30 bitop3:0x80
	v_xor_b32_e32 v27, s6, v27
	s_delay_alu instid0(VALU_DEP_3) | instskip(NEXT) | instid1(VALU_DEP_3)
	v_xor_b32_e32 v9, s7, v9
	v_bitop3_b32 v8, v8, v36, v35 bitop3:0x80
	ds_load_b32 v35, v41 offset:64
	; wave barrier
	v_bitop3_b32 v8, v8, v9, v27 bitop3:0x80
	s_delay_alu instid0(VALU_DEP_1) | instskip(SKIP_1) | instid1(VALU_DEP_2)
	v_mbcnt_lo_u32_b32 v36, v8, 0
	v_cmp_ne_u32_e64 s0, 0, v8
	v_cmp_eq_u32_e32 vcc_lo, 0, v36
	s_and_b32 s1, s0, vcc_lo
	s_delay_alu instid0(SALU_CYCLE_1)
	s_and_saveexec_b32 s0, s1
	s_cbranch_execz .LBB1319_107
; %bb.106:
	s_wait_dscnt 0x0
	v_bcnt_u32_b32 v8, v8, v35
	ds_store_b32 v41, v8 offset:64
.LBB1319_107:
	s_or_b32 exec_lo, exec_lo, s0
	v_cmp_gt_i32_e32 vcc_lo, 0, v7
	; wave barrier
	v_cndmask_b32_e64 v8, 0x7fffffff, 0, vcc_lo
	s_delay_alu instid0(VALU_DEP_1) | instskip(NEXT) | instid1(VALU_DEP_1)
	v_xor_b32_e32 v27, v8, v7
	v_cmp_ne_u32_e32 vcc_lo, 0x80000000, v27
	v_cndmask_b32_e32 v7, 0x7fffffff, v27, vcc_lo
	s_delay_alu instid0(VALU_DEP_1) | instskip(NEXT) | instid1(VALU_DEP_1)
	v_lshrrev_b32_e32 v7, s20, v7
	v_and_b32_e32 v8, s9, v7
	v_bitop3_b32 v7, v7, 1, s9 bitop3:0x80
	s_delay_alu instid0(VALU_DEP_2) | instskip(NEXT) | instid1(VALU_DEP_2)
	v_lshlrev_b32_e32 v30, 30, v8
	v_add_co_u32 v7, s0, v7, -1
	s_delay_alu instid0(VALU_DEP_1) | instskip(NEXT) | instid1(VALU_DEP_3)
	v_cndmask_b32_e64 v9, 0, 1, s0
	v_cmp_gt_i32_e64 s0, 0, v30
	s_delay_alu instid0(VALU_DEP_2) | instskip(SKIP_1) | instid1(VALU_DEP_1)
	v_cmp_ne_u32_e32 vcc_lo, 0, v9
	v_not_b32_e32 v9, v30
	v_dual_ashrrev_i32 v9, 31, v9 :: v_dual_lshlrev_b32 v34, 29, v8
	v_dual_lshlrev_b32 v38, 28, v8 :: v_dual_lshlrev_b32 v39, 27, v8
	v_lshlrev_b32_e32 v40, 26, v8
	v_mad_u32 v44, 0x44, v8, v0
	s_delay_alu instid0(VALU_DEP_4)
	v_cmp_gt_i32_e64 s1, 0, v34
	v_not_b32_e32 v30, v34
	v_not_b32_e32 v34, v38
	v_dual_lshlrev_b32 v42, 25, v8 :: v_dual_lshlrev_b32 v8, 24, v8
	v_cmp_gt_i32_e64 s3, 0, v38
	v_cmp_gt_i32_e64 s4, 0, v39
	v_not_b32_e32 v38, v39
	v_not_b32_e32 v39, v40
	v_dual_ashrrev_i32 v30, 31, v30 :: v_dual_bitop2_b32 v7, vcc_lo, v7 bitop3:0x14
	v_dual_ashrrev_i32 v34, 31, v34 :: v_dual_bitop2_b32 v9, s0, v9 bitop3:0x14
	v_cmp_gt_i32_e64 s5, 0, v40
	v_not_b32_e32 v40, v42
	v_cmp_gt_i32_e64 s7, 0, v8
	v_not_b32_e32 v8, v8
	v_dual_ashrrev_i32 v38, 31, v38 :: v_dual_ashrrev_i32 v39, 31, v39
	v_xor_b32_e32 v30, s1, v30
	s_delay_alu instid0(VALU_DEP_3) | instskip(SKIP_4) | instid1(VALU_DEP_4)
	v_dual_ashrrev_i32 v8, 31, v8 :: v_dual_bitop2_b32 v34, s3, v34 bitop3:0x14
	v_bitop3_b32 v7, v7, v9, exec_lo bitop3:0x80
	v_cmp_gt_i32_e64 s6, 0, v42
	v_dual_ashrrev_i32 v9, 31, v40 :: v_dual_bitop2_b32 v38, s4, v38 bitop3:0x14
	v_xor_b32_e32 v39, s5, v39
	v_bitop3_b32 v7, v7, v34, v30 bitop3:0x80
	v_xor_b32_e32 v8, s7, v8
	s_delay_alu instid0(VALU_DEP_4) | instskip(NEXT) | instid1(VALU_DEP_3)
	v_xor_b32_e32 v9, s6, v9
	v_bitop3_b32 v7, v7, v39, v38 bitop3:0x80
	ds_load_b32 v39, v44 offset:64
	; wave barrier
	v_bitop3_b32 v7, v7, v8, v9 bitop3:0x80
	s_delay_alu instid0(VALU_DEP_1) | instskip(SKIP_1) | instid1(VALU_DEP_2)
	v_mbcnt_lo_u32_b32 v40, v7, 0
	v_cmp_ne_u32_e64 s0, 0, v7
	v_cmp_eq_u32_e32 vcc_lo, 0, v40
	s_and_b32 s1, s0, vcc_lo
	s_delay_alu instid0(SALU_CYCLE_1)
	s_and_saveexec_b32 s0, s1
	s_cbranch_execz .LBB1319_109
; %bb.108:
	s_wait_dscnt 0x0
	v_bcnt_u32_b32 v7, v7, v39
	ds_store_b32 v44, v7 offset:64
.LBB1319_109:
	s_or_b32 exec_lo, exec_lo, s0
	v_cmp_gt_i32_e32 vcc_lo, 0, v6
	; wave barrier
	v_cndmask_b32_e64 v7, 0x7fffffff, 0, vcc_lo
	s_delay_alu instid0(VALU_DEP_1) | instskip(NEXT) | instid1(VALU_DEP_1)
	v_xor_b32_e32 v30, v7, v6
	v_cmp_ne_u32_e32 vcc_lo, 0x80000000, v30
	v_cndmask_b32_e32 v6, 0x7fffffff, v30, vcc_lo
	s_delay_alu instid0(VALU_DEP_1) | instskip(NEXT) | instid1(VALU_DEP_1)
	v_lshrrev_b32_e32 v6, s20, v6
	v_and_b32_e32 v7, s9, v6
	v_bitop3_b32 v6, v6, 1, s9 bitop3:0x80
	s_delay_alu instid0(VALU_DEP_2) | instskip(NEXT) | instid1(VALU_DEP_2)
	v_lshlrev_b32_e32 v9, 30, v7
	v_add_co_u32 v6, s0, v6, -1
	s_delay_alu instid0(VALU_DEP_1) | instskip(NEXT) | instid1(VALU_DEP_3)
	v_cndmask_b32_e64 v8, 0, 1, s0
	v_cmp_gt_i32_e64 s0, 0, v9
	s_delay_alu instid0(VALU_DEP_2) | instskip(SKIP_1) | instid1(VALU_DEP_1)
	v_cmp_ne_u32_e32 vcc_lo, 0, v8
	v_not_b32_e32 v8, v9
	v_dual_ashrrev_i32 v8, 31, v8 :: v_dual_lshlrev_b32 v34, 29, v7
	v_dual_lshlrev_b32 v38, 28, v7 :: v_dual_lshlrev_b32 v42, 27, v7
	v_lshlrev_b32_e32 v43, 26, v7
	v_mad_u32 v48, 0x44, v7, v0
	s_delay_alu instid0(VALU_DEP_4)
	v_cmp_gt_i32_e64 s1, 0, v34
	v_not_b32_e32 v9, v34
	v_not_b32_e32 v34, v38
	v_dual_lshlrev_b32 v45, 25, v7 :: v_dual_lshlrev_b32 v7, 24, v7
	v_cmp_gt_i32_e64 s3, 0, v38
	v_cmp_gt_i32_e64 s4, 0, v42
	v_not_b32_e32 v38, v42
	v_not_b32_e32 v42, v43
	v_dual_ashrrev_i32 v9, 31, v9 :: v_dual_bitop2_b32 v6, vcc_lo, v6 bitop3:0x14
	v_dual_ashrrev_i32 v34, 31, v34 :: v_dual_bitop2_b32 v8, s0, v8 bitop3:0x14
	v_cmp_gt_i32_e64 s5, 0, v43
	v_not_b32_e32 v43, v45
	v_cmp_gt_i32_e64 s7, 0, v7
	v_not_b32_e32 v7, v7
	v_dual_ashrrev_i32 v38, 31, v38 :: v_dual_bitop2_b32 v9, s1, v9 bitop3:0x14
	v_ashrrev_i32_e32 v42, 31, v42
	s_delay_alu instid0(VALU_DEP_3) | instskip(SKIP_4) | instid1(VALU_DEP_4)
	v_dual_ashrrev_i32 v7, 31, v7 :: v_dual_bitop2_b32 v34, s3, v34 bitop3:0x14
	v_bitop3_b32 v6, v6, v8, exec_lo bitop3:0x80
	v_cmp_gt_i32_e64 s6, 0, v45
	v_dual_ashrrev_i32 v8, 31, v43 :: v_dual_bitop2_b32 v38, s4, v38 bitop3:0x14
	v_xor_b32_e32 v42, s5, v42
	v_bitop3_b32 v6, v6, v34, v9 bitop3:0x80
	v_xor_b32_e32 v7, s7, v7
	s_delay_alu instid0(VALU_DEP_4) | instskip(SKIP_2) | instid1(VALU_DEP_1)
	v_xor_b32_e32 v8, s6, v8
	ds_load_b32 v43, v48 offset:64
	v_bitop3_b32 v6, v6, v42, v38 bitop3:0x80
	; wave barrier
	v_bitop3_b32 v6, v6, v7, v8 bitop3:0x80
	s_delay_alu instid0(VALU_DEP_1) | instskip(SKIP_1) | instid1(VALU_DEP_2)
	v_mbcnt_lo_u32_b32 v45, v6, 0
	v_cmp_ne_u32_e64 s0, 0, v6
	v_cmp_eq_u32_e32 vcc_lo, 0, v45
	s_and_b32 s1, s0, vcc_lo
	s_delay_alu instid0(SALU_CYCLE_1)
	s_and_saveexec_b32 s0, s1
	s_cbranch_execz .LBB1319_111
; %bb.110:
	s_wait_dscnt 0x0
	v_bcnt_u32_b32 v6, v6, v43
	ds_store_b32 v48, v6 offset:64
.LBB1319_111:
	s_or_b32 exec_lo, exec_lo, s0
	v_cmp_gt_i32_e32 vcc_lo, 0, v4
	; wave barrier
	v_cndmask_b32_e64 v6, 0x7fffffff, 0, vcc_lo
	s_delay_alu instid0(VALU_DEP_1) | instskip(NEXT) | instid1(VALU_DEP_1)
	v_xor_b32_e32 v34, v6, v4
	v_cmp_ne_u32_e32 vcc_lo, 0x80000000, v34
	v_cndmask_b32_e32 v4, 0x7fffffff, v34, vcc_lo
	s_delay_alu instid0(VALU_DEP_1) | instskip(NEXT) | instid1(VALU_DEP_1)
	v_lshrrev_b32_e32 v4, s20, v4
	v_and_b32_e32 v6, s9, v4
	v_bitop3_b32 v4, v4, 1, s9 bitop3:0x80
	s_delay_alu instid0(VALU_DEP_2) | instskip(NEXT) | instid1(VALU_DEP_2)
	v_dual_lshlrev_b32 v8, 30, v6 :: v_dual_lshlrev_b32 v9, 29, v6
	v_add_co_u32 v4, s0, v4, -1
	s_delay_alu instid0(VALU_DEP_1) | instskip(SKIP_1) | instid1(VALU_DEP_4)
	v_cndmask_b32_e64 v7, 0, 1, s0
	v_lshlrev_b32_e32 v38, 28, v6
	v_cmp_gt_i32_e64 s0, 0, v8
	v_cmp_gt_i32_e64 s1, 0, v9
	s_delay_alu instid0(VALU_DEP_4) | instskip(SKIP_3) | instid1(VALU_DEP_3)
	v_cmp_ne_u32_e32 vcc_lo, 0, v7
	v_not_b32_e32 v7, v8
	v_not_b32_e32 v8, v9
	;; [unrolled: 1-line block ×3, first 2 shown]
	v_dual_ashrrev_i32 v7, 31, v7 :: v_dual_bitop2_b32 v4, vcc_lo, v4 bitop3:0x14
	s_delay_alu instid0(VALU_DEP_2)
	v_dual_ashrrev_i32 v8, 31, v8 :: v_dual_ashrrev_i32 v9, 31, v9
	v_dual_lshlrev_b32 v42, 27, v6 :: v_dual_lshlrev_b32 v46, 26, v6
	v_lshlrev_b32_e32 v47, 25, v6
	v_mad_u32 v51, 0x44, v6, v0
	v_lshlrev_b32_e32 v6, 24, v6
	v_cmp_gt_i32_e64 s3, 0, v38
	v_cmp_gt_i32_e64 s4, 0, v42
	v_not_b32_e32 v38, v42
	v_not_b32_e32 v42, v46
	v_xor_b32_e32 v7, s0, v7
	v_cmp_gt_i32_e64 s5, 0, v46
	v_not_b32_e32 v46, v47
	v_cmp_gt_i32_e64 s7, 0, v6
	v_not_b32_e32 v6, v6
	v_dual_ashrrev_i32 v38, 31, v38 :: v_dual_bitop2_b32 v8, s1, v8 bitop3:0x14
	v_dual_ashrrev_i32 v42, 31, v42 :: v_dual_bitop2_b32 v9, s3, v9 bitop3:0x14
	v_bitop3_b32 v4, v4, v7, exec_lo bitop3:0x80
	v_cmp_gt_i32_e64 s6, 0, v47
	v_ashrrev_i32_e32 v7, 31, v46
	v_ashrrev_i32_e32 v6, 31, v6
	v_xor_b32_e32 v38, s4, v38
	v_xor_b32_e32 v42, s5, v42
	v_bitop3_b32 v4, v4, v9, v8 bitop3:0x80
	v_xor_b32_e32 v7, s6, v7
	v_xor_b32_e32 v6, s7, v6
	ds_load_b32 v47, v51 offset:64
	v_bitop3_b32 v4, v4, v42, v38 bitop3:0x80
	; wave barrier
	s_delay_alu instid0(VALU_DEP_1) | instskip(NEXT) | instid1(VALU_DEP_1)
	v_bitop3_b32 v4, v4, v6, v7 bitop3:0x80
	v_mbcnt_lo_u32_b32 v49, v4, 0
	v_cmp_ne_u32_e64 s0, 0, v4
	s_delay_alu instid0(VALU_DEP_2) | instskip(SKIP_1) | instid1(SALU_CYCLE_1)
	v_cmp_eq_u32_e32 vcc_lo, 0, v49
	s_and_b32 s1, s0, vcc_lo
	s_and_saveexec_b32 s0, s1
	s_cbranch_execz .LBB1319_113
; %bb.112:
	s_wait_dscnt 0x0
	v_bcnt_u32_b32 v4, v4, v47
	ds_store_b32 v51, v4 offset:64
.LBB1319_113:
	s_or_b32 exec_lo, exec_lo, s0
	v_cmp_gt_i32_e32 vcc_lo, 0, v3
	; wave barrier
	v_cndmask_b32_e64 v4, 0x7fffffff, 0, vcc_lo
	s_delay_alu instid0(VALU_DEP_1) | instskip(NEXT) | instid1(VALU_DEP_1)
	v_xor_b32_e32 v38, v4, v3
	v_cmp_ne_u32_e32 vcc_lo, 0x80000000, v38
	v_cndmask_b32_e32 v3, 0x7fffffff, v38, vcc_lo
	s_delay_alu instid0(VALU_DEP_1) | instskip(NEXT) | instid1(VALU_DEP_1)
	v_lshrrev_b32_e32 v3, s20, v3
	v_and_b32_e32 v4, s9, v3
	v_bitop3_b32 v3, v3, 1, s9 bitop3:0x80
	s_delay_alu instid0(VALU_DEP_2) | instskip(NEXT) | instid1(VALU_DEP_2)
	v_lshlrev_b32_e32 v7, 30, v4
	v_add_co_u32 v3, s0, v3, -1
	s_delay_alu instid0(VALU_DEP_1) | instskip(NEXT) | instid1(VALU_DEP_1)
	v_cndmask_b32_e64 v6, 0, 1, s0
	v_cmp_ne_u32_e32 vcc_lo, 0, v6
	s_delay_alu instid0(VALU_DEP_4) | instskip(NEXT) | instid1(VALU_DEP_1)
	v_not_b32_e32 v6, v7
	v_dual_ashrrev_i32 v6, 31, v6 :: v_dual_lshlrev_b32 v8, 29, v4
	v_dual_lshlrev_b32 v9, 28, v4 :: v_dual_lshlrev_b32 v42, 27, v4
	v_lshlrev_b32_e32 v46, 26, v4
	v_cmp_gt_i32_e64 s0, 0, v7
	s_delay_alu instid0(VALU_DEP_4)
	v_cmp_gt_i32_e64 s1, 0, v8
	v_not_b32_e32 v7, v8
	v_not_b32_e32 v8, v9
	v_mad_u32 v53, 0x44, v4, v0
	v_dual_lshlrev_b32 v50, 25, v4 :: v_dual_lshlrev_b32 v4, 24, v4
	v_cmp_gt_i32_e64 s3, 0, v9
	v_cmp_gt_i32_e64 s4, 0, v42
	v_not_b32_e32 v9, v42
	v_not_b32_e32 v42, v46
	v_dual_ashrrev_i32 v8, 31, v8 :: v_dual_bitop2_b32 v3, vcc_lo, v3 bitop3:0x14
	v_dual_ashrrev_i32 v7, 31, v7 :: v_dual_bitop2_b32 v6, s0, v6 bitop3:0x14
	v_cmp_gt_i32_e64 s5, 0, v46
	v_not_b32_e32 v46, v50
	v_cmp_gt_i32_e64 s7, 0, v4
	v_not_b32_e32 v4, v4
	v_dual_ashrrev_i32 v9, 31, v9 :: v_dual_ashrrev_i32 v42, 31, v42
	v_xor_b32_e32 v7, s1, v7
	v_xor_b32_e32 v8, s3, v8
	v_bitop3_b32 v3, v3, v6, exec_lo bitop3:0x80
	v_cmp_gt_i32_e64 s6, 0, v50
	v_dual_ashrrev_i32 v6, 31, v46 :: v_dual_ashrrev_i32 v4, 31, v4
	v_xor_b32_e32 v9, s4, v9
	v_xor_b32_e32 v42, s5, v42
	v_bitop3_b32 v3, v3, v8, v7 bitop3:0x80
	s_delay_alu instid0(VALU_DEP_4) | instskip(SKIP_3) | instid1(VALU_DEP_1)
	v_xor_b32_e32 v6, s6, v6
	v_xor_b32_e32 v4, s7, v4
	ds_load_b32 v50, v53 offset:64
	v_bitop3_b32 v3, v3, v42, v9 bitop3:0x80
	; wave barrier
	v_bitop3_b32 v3, v3, v4, v6 bitop3:0x80
	s_delay_alu instid0(VALU_DEP_1) | instskip(SKIP_1) | instid1(VALU_DEP_2)
	v_mbcnt_lo_u32_b32 v52, v3, 0
	v_cmp_ne_u32_e64 s0, 0, v3
	v_cmp_eq_u32_e32 vcc_lo, 0, v52
	s_and_b32 s1, s0, vcc_lo
	s_delay_alu instid0(SALU_CYCLE_1)
	s_and_saveexec_b32 s0, s1
	s_cbranch_execz .LBB1319_115
; %bb.114:
	s_wait_dscnt 0x0
	v_bcnt_u32_b32 v3, v3, v50
	ds_store_b32 v53, v3 offset:64
.LBB1319_115:
	s_or_b32 exec_lo, exec_lo, s0
	v_cmp_gt_i32_e32 vcc_lo, 0, v2
	; wave barrier
	v_cndmask_b32_e64 v3, 0x7fffffff, 0, vcc_lo
	s_delay_alu instid0(VALU_DEP_1) | instskip(NEXT) | instid1(VALU_DEP_1)
	v_xor_b32_e32 v42, v3, v2
	v_cmp_ne_u32_e32 vcc_lo, 0x80000000, v42
	v_cndmask_b32_e32 v2, 0x7fffffff, v42, vcc_lo
	s_delay_alu instid0(VALU_DEP_1) | instskip(NEXT) | instid1(VALU_DEP_1)
	v_lshrrev_b32_e32 v2, s20, v2
	v_and_b32_e32 v3, s9, v2
	v_bitop3_b32 v2, v2, 1, s9 bitop3:0x80
	s_delay_alu instid0(VALU_DEP_2) | instskip(NEXT) | instid1(VALU_DEP_2)
	v_lshlrev_b32_e32 v6, 30, v3
	v_add_co_u32 v2, s0, v2, -1
	s_delay_alu instid0(VALU_DEP_1) | instskip(NEXT) | instid1(VALU_DEP_1)
	v_cndmask_b32_e64 v4, 0, 1, s0
	v_cmp_ne_u32_e32 vcc_lo, 0, v4
	s_delay_alu instid0(VALU_DEP_4) | instskip(NEXT) | instid1(VALU_DEP_1)
	v_not_b32_e32 v4, v6
	v_dual_ashrrev_i32 v4, 31, v4 :: v_dual_lshlrev_b32 v7, 29, v3
	v_dual_lshlrev_b32 v8, 28, v3 :: v_dual_lshlrev_b32 v9, 27, v3
	v_lshlrev_b32_e32 v46, 26, v3
	v_cmp_gt_i32_e64 s0, 0, v6
	s_delay_alu instid0(VALU_DEP_4)
	v_cmp_gt_i32_e64 s1, 0, v7
	v_not_b32_e32 v6, v7
	v_not_b32_e32 v7, v8
	v_mad_u32 v56, 0x44, v3, v0
	v_dual_lshlrev_b32 v54, 25, v3 :: v_dual_lshlrev_b32 v3, 24, v3
	v_cmp_gt_i32_e64 s3, 0, v8
	v_cmp_gt_i32_e64 s4, 0, v9
	v_not_b32_e32 v8, v9
	v_not_b32_e32 v9, v46
	v_dual_ashrrev_i32 v7, 31, v7 :: v_dual_bitop2_b32 v2, vcc_lo, v2 bitop3:0x14
	v_dual_ashrrev_i32 v6, 31, v6 :: v_dual_bitop2_b32 v4, s0, v4 bitop3:0x14
	v_cmp_gt_i32_e64 s5, 0, v46
	v_not_b32_e32 v46, v54
	v_cmp_gt_i32_e64 s7, 0, v3
	v_not_b32_e32 v3, v3
	v_dual_ashrrev_i32 v8, 31, v8 :: v_dual_ashrrev_i32 v9, 31, v9
	v_xor_b32_e32 v6, s1, v6
	v_xor_b32_e32 v7, s3, v7
	v_bitop3_b32 v2, v2, v4, exec_lo bitop3:0x80
	v_cmp_gt_i32_e64 s6, 0, v54
	v_dual_ashrrev_i32 v4, 31, v46 :: v_dual_ashrrev_i32 v3, 31, v3
	v_xor_b32_e32 v8, s4, v8
	v_xor_b32_e32 v9, s5, v9
	v_bitop3_b32 v2, v2, v7, v6 bitop3:0x80
	s_delay_alu instid0(VALU_DEP_4) | instskip(SKIP_3) | instid1(VALU_DEP_1)
	v_xor_b32_e32 v4, s6, v4
	v_xor_b32_e32 v3, s7, v3
	ds_load_b32 v54, v56 offset:64
	v_bitop3_b32 v2, v2, v9, v8 bitop3:0x80
	; wave barrier
	v_bitop3_b32 v2, v2, v3, v4 bitop3:0x80
	s_delay_alu instid0(VALU_DEP_1) | instskip(SKIP_1) | instid1(VALU_DEP_2)
	v_mbcnt_lo_u32_b32 v55, v2, 0
	v_cmp_ne_u32_e64 s0, 0, v2
	v_cmp_eq_u32_e32 vcc_lo, 0, v55
	s_and_b32 s1, s0, vcc_lo
	s_delay_alu instid0(SALU_CYCLE_1)
	s_and_saveexec_b32 s0, s1
	s_cbranch_execz .LBB1319_117
; %bb.116:
	s_wait_dscnt 0x0
	v_bcnt_u32_b32 v2, v2, v54
	ds_store_b32 v56, v2 offset:64
.LBB1319_117:
	s_or_b32 exec_lo, exec_lo, s0
	v_cmp_gt_i32_e32 vcc_lo, 0, v1
	; wave barrier
	v_cndmask_b32_e64 v2, 0x7fffffff, 0, vcc_lo
	s_delay_alu instid0(VALU_DEP_1) | instskip(NEXT) | instid1(VALU_DEP_1)
	v_xor_b32_e32 v46, v2, v1
	v_cmp_ne_u32_e32 vcc_lo, 0x80000000, v46
	v_cndmask_b32_e32 v1, 0x7fffffff, v46, vcc_lo
	s_delay_alu instid0(VALU_DEP_1) | instskip(NEXT) | instid1(VALU_DEP_1)
	v_lshrrev_b32_e32 v1, s20, v1
	v_and_b32_e32 v2, s9, v1
	v_bitop3_b32 v1, v1, 1, s9 bitop3:0x80
	s_delay_alu instid0(VALU_DEP_2) | instskip(NEXT) | instid1(VALU_DEP_2)
	v_mad_u32 v59, 0x44, v2, v0
	v_add_co_u32 v0, s0, v1, -1
	s_delay_alu instid0(VALU_DEP_1) | instskip(SKIP_1) | instid1(VALU_DEP_2)
	v_cndmask_b32_e64 v1, 0, 1, s0
	v_lshlrev_b32_e32 v3, 30, v2
	v_cmp_ne_u32_e32 vcc_lo, 0, v1
	s_delay_alu instid0(VALU_DEP_2)
	v_not_b32_e32 v1, v3
	ds_load_b32 v57, v59 offset:64
	v_dual_ashrrev_i32 v1, 31, v1 :: v_dual_bitop2_b32 v0, vcc_lo, v0 bitop3:0x14
	v_dual_lshlrev_b32 v4, 29, v2 :: v_dual_lshlrev_b32 v6, 28, v2
	v_dual_lshlrev_b32 v7, 27, v2 :: v_dual_lshlrev_b32 v8, 26, v2
	v_lshlrev_b32_e32 v9, 25, v2
	v_cmp_gt_i32_e64 s0, 0, v3
	s_delay_alu instid0(VALU_DEP_4)
	v_cmp_gt_i32_e64 s1, 0, v4
	v_not_b32_e32 v3, v4
	v_not_b32_e32 v4, v6
	v_lshlrev_b32_e32 v2, 24, v2
	v_cmp_gt_i32_e64 s3, 0, v6
	v_cmp_gt_i32_e64 s4, 0, v7
	v_not_b32_e32 v6, v7
	v_not_b32_e32 v7, v8
	v_dual_ashrrev_i32 v3, 31, v3 :: v_dual_bitop2_b32 v1, s0, v1 bitop3:0x14
	v_ashrrev_i32_e32 v4, 31, v4
	v_cmp_gt_i32_e64 s5, 0, v8
	v_not_b32_e32 v8, v9
	v_cmp_gt_i32_e64 s7, 0, v2
	v_not_b32_e32 v2, v2
	v_dual_ashrrev_i32 v6, 31, v6 :: v_dual_ashrrev_i32 v7, 31, v7
	v_xor_b32_e32 v3, s1, v3
	s_delay_alu instid0(VALU_DEP_3) | instskip(SKIP_4) | instid1(VALU_DEP_4)
	v_dual_ashrrev_i32 v2, 31, v2 :: v_dual_bitop2_b32 v4, s3, v4 bitop3:0x14
	v_bitop3_b32 v0, v0, v1, exec_lo bitop3:0x80
	v_cmp_gt_i32_e64 s6, 0, v9
	v_dual_ashrrev_i32 v1, 31, v8 :: v_dual_bitop2_b32 v6, s4, v6 bitop3:0x14
	v_xor_b32_e32 v7, s5, v7
	v_bitop3_b32 v0, v0, v4, v3 bitop3:0x80
	v_xor_b32_e32 v2, s7, v2
	s_delay_alu instid0(VALU_DEP_4) | instskip(NEXT) | instid1(VALU_DEP_3)
	v_xor_b32_e32 v1, s6, v1
	; wave barrier
	v_bitop3_b32 v0, v0, v7, v6 bitop3:0x80
	s_delay_alu instid0(VALU_DEP_1) | instskip(NEXT) | instid1(VALU_DEP_1)
	v_bitop3_b32 v0, v0, v2, v1 bitop3:0x80
	v_mbcnt_lo_u32_b32 v58, v0, 0
	v_cmp_ne_u32_e64 s0, 0, v0
	s_delay_alu instid0(VALU_DEP_2) | instskip(SKIP_1) | instid1(SALU_CYCLE_1)
	v_cmp_eq_u32_e32 vcc_lo, 0, v58
	s_and_b32 s1, s0, vcc_lo
	s_and_saveexec_b32 s0, s1
	s_cbranch_execz .LBB1319_119
; %bb.118:
	s_wait_dscnt 0x0
	v_bcnt_u32_b32 v0, v0, v57
	ds_store_b32 v59, v0 offset:64
.LBB1319_119:
	s_or_b32 exec_lo, exec_lo, s0
	; wave barrier
	s_wait_dscnt 0x0
	s_barrier_signal -1
	s_barrier_wait -1
	ds_load_2addr_b32 v[8:9], v10 offset0:16 offset1:17
	ds_load_2addr_b32 v[6:7], v10 offset0:18 offset1:19
	;; [unrolled: 1-line block ×4, first 2 shown]
	ds_load_b32 v4, v10 offset:96
	v_min_u32_e32 v16, 0x1e0, v16
	s_mov_b32 s5, exec_lo
	s_wait_dscnt 0x3
	v_add3_u32 v60, v9, v8, v6
	s_wait_dscnt 0x2
	s_delay_alu instid0(VALU_DEP_1) | instskip(SKIP_1) | instid1(VALU_DEP_1)
	v_add3_u32 v60, v60, v7, v2
	s_wait_dscnt 0x1
	v_add3_u32 v60, v60, v3, v0
	s_wait_dscnt 0x0
	s_delay_alu instid0(VALU_DEP_1) | instskip(SKIP_1) | instid1(VALU_DEP_2)
	v_add3_u32 v4, v60, v1, v4
	v_and_b32_e32 v60, 15, v15
	v_mov_b32_dpp v61, v4 row_shr:1 row_mask:0xf bank_mask:0xf
	s_delay_alu instid0(VALU_DEP_2) | instskip(NEXT) | instid1(VALU_DEP_2)
	v_cmp_eq_u32_e32 vcc_lo, 0, v60
	v_cndmask_b32_e64 v61, v61, 0, vcc_lo
	s_delay_alu instid0(VALU_DEP_1) | instskip(SKIP_3) | instid1(VALU_DEP_4)
	v_add_nc_u32_e32 v4, v61, v4
	v_cmp_lt_u32_e64 s0, 1, v60
	v_cmp_lt_u32_e64 s1, 3, v60
	;; [unrolled: 1-line block ×3, first 2 shown]
	v_mov_b32_dpp v61, v4 row_shr:2 row_mask:0xf bank_mask:0xf
	s_delay_alu instid0(VALU_DEP_1) | instskip(NEXT) | instid1(VALU_DEP_1)
	v_cndmask_b32_e64 v61, 0, v61, s0
	v_add_nc_u32_e32 v4, v4, v61
	s_delay_alu instid0(VALU_DEP_1) | instskip(NEXT) | instid1(VALU_DEP_1)
	v_mov_b32_dpp v61, v4 row_shr:4 row_mask:0xf bank_mask:0xf
	v_cndmask_b32_e64 v61, 0, v61, s1
	s_delay_alu instid0(VALU_DEP_1) | instskip(NEXT) | instid1(VALU_DEP_1)
	v_add_nc_u32_e32 v4, v4, v61
	v_mov_b32_dpp v61, v4 row_shr:8 row_mask:0xf bank_mask:0xf
	s_delay_alu instid0(VALU_DEP_1) | instskip(SKIP_1) | instid1(VALU_DEP_2)
	v_cndmask_b32_e64 v60, 0, v61, s3
	v_bfe_i32 v61, v15, 4, 1
	v_add_nc_u32_e32 v4, v4, v60
	ds_swizzle_b32 v60, v4 offset:swizzle(BROADCAST,32,15)
	s_wait_dscnt 0x0
	v_dual_lshrrev_b32 v60, 5, v14 :: v_dual_bitop2_b32 v61, v61, v60 bitop3:0x40
	s_delay_alu instid0(VALU_DEP_1) | instskip(NEXT) | instid1(VALU_DEP_1)
	v_dual_add_nc_u32 v16, v4, v61 :: v_dual_bitop2_b32 v62, 31, v16 bitop3:0x54
	v_cmpx_eq_u32_e64 v14, v62
; %bb.120:
	s_delay_alu instid0(VALU_DEP_3)
	v_lshlrev_b32_e32 v4, 2, v60
	ds_store_b32 v4, v16
; %bb.121:
	s_or_b32 exec_lo, exec_lo, s5
	v_lshlrev_b32_e32 v4, 2, v14
	s_mov_b32 s5, exec_lo
	s_wait_dscnt 0x0
	s_barrier_signal -1
	s_barrier_wait -1
	v_cmpx_gt_u32_e32 16, v14
	s_cbranch_execz .LBB1319_123
; %bb.122:
	ds_load_b32 v61, v4
	s_wait_dscnt 0x0
	v_mov_b32_dpp v62, v61 row_shr:1 row_mask:0xf bank_mask:0xf
	s_delay_alu instid0(VALU_DEP_1) | instskip(NEXT) | instid1(VALU_DEP_1)
	v_cndmask_b32_e64 v62, v62, 0, vcc_lo
	v_add_nc_u32_e32 v61, v62, v61
	s_delay_alu instid0(VALU_DEP_1) | instskip(NEXT) | instid1(VALU_DEP_1)
	v_mov_b32_dpp v62, v61 row_shr:2 row_mask:0xf bank_mask:0xf
	v_cndmask_b32_e64 v62, 0, v62, s0
	s_delay_alu instid0(VALU_DEP_1) | instskip(NEXT) | instid1(VALU_DEP_1)
	v_add_nc_u32_e32 v61, v61, v62
	v_mov_b32_dpp v62, v61 row_shr:4 row_mask:0xf bank_mask:0xf
	s_delay_alu instid0(VALU_DEP_1) | instskip(NEXT) | instid1(VALU_DEP_1)
	v_cndmask_b32_e64 v62, 0, v62, s1
	v_add_nc_u32_e32 v61, v61, v62
	s_delay_alu instid0(VALU_DEP_1) | instskip(NEXT) | instid1(VALU_DEP_1)
	v_mov_b32_dpp v62, v61 row_shr:8 row_mask:0xf bank_mask:0xf
	v_cndmask_b32_e64 v62, 0, v62, s3
	s_delay_alu instid0(VALU_DEP_1)
	v_add_nc_u32_e32 v61, v61, v62
	ds_store_b32 v4, v61
.LBB1319_123:
	s_or_b32 exec_lo, exec_lo, s5
	v_mov_b32_e32 v61, 0
	s_mov_b32 s0, exec_lo
	s_wait_dscnt 0x0
	s_barrier_signal -1
	s_barrier_wait -1
	v_cmpx_lt_u32_e32 31, v14
; %bb.124:
	v_lshl_add_u32 v60, v60, 2, -4
	ds_load_b32 v61, v60
; %bb.125:
	s_or_b32 exec_lo, exec_lo, s0
	v_sub_co_u32 v60, vcc_lo, v15, 1
	s_wait_dscnt 0x0
	v_add_nc_u32_e32 v16, v61, v16
	s_delay_alu instid0(VALU_DEP_2) | instskip(NEXT) | instid1(VALU_DEP_1)
	v_cmp_gt_i32_e64 s0, 0, v60
	v_cndmask_b32_e64 v15, v60, v15, s0
	v_cmp_lt_u32_e64 s0, 0xff, v14
	s_delay_alu instid0(VALU_DEP_2) | instskip(SKIP_4) | instid1(VALU_DEP_2)
	v_lshlrev_b32_e32 v15, 2, v15
	ds_bpermute_b32 v15, v15, v16
	s_wait_dscnt 0x0
	v_cndmask_b32_e32 v15, v15, v61, vcc_lo
	v_cmp_gt_u32_e32 vcc_lo, 0x100, v14
	v_cndmask_b32_e64 v15, v15, 0, s2
	s_delay_alu instid0(VALU_DEP_1) | instskip(NEXT) | instid1(VALU_DEP_1)
	v_add_nc_u32_e32 v8, v15, v8
	v_add_nc_u32_e32 v9, v8, v9
	s_delay_alu instid0(VALU_DEP_1) | instskip(NEXT) | instid1(VALU_DEP_1)
	v_add_nc_u32_e32 v6, v9, v6
	v_add_nc_u32_e32 v7, v6, v7
	;; [unrolled: 3-line block ×4, first 2 shown]
	ds_store_2addr_b32 v10, v15, v8 offset0:16 offset1:17
	ds_store_2addr_b32 v10, v9, v6 offset0:18 offset1:19
	;; [unrolled: 1-line block ×4, first 2 shown]
	ds_store_b32 v10, v1 offset:96
	s_wait_dscnt 0x0
	s_barrier_signal -1
	s_barrier_wait -1
	ds_load_b32 v62, v11 offset:64
	ds_load_b32 v60, v12 offset:64
	;; [unrolled: 1-line block ×12, first 2 shown]
	v_mov_b64_e32 v[0:1], 0
                                        ; implicit-def: $vgpr2
	s_and_saveexec_b32 s2, vcc_lo
	s_cbranch_execz .LBB1319_129
; %bb.126:
	v_mul_u32_u24_e32 v0, 0x44, v14
	v_dual_mov_b32 v1, 0x1800 :: v_dual_add_nc_u32 v2, 1, v14
	s_mov_b32 s3, exec_lo
	ds_load_b32 v0, v0 offset:64
	v_cmpx_ne_u32_e32 0x100, v2
; %bb.127:
	v_mul_u32_u24_e32 v1, 0x44, v2
	ds_load_b32 v1, v1 offset:64
; %bb.128:
	s_or_b32 exec_lo, exec_lo, s3
	s_wait_dscnt 0x0
	v_dual_mov_b32 v1, 0 :: v_dual_sub_nc_u32 v2, v1, v0
.LBB1319_129:
	s_or_b32 exec_lo, exec_lo, s2
	v_dual_mov_b32 v7, 0 :: v_dual_lshlrev_b32 v3, 3, v14
	s_wait_dscnt 0x0
	s_barrier_signal -1
	s_barrier_wait -1
	s_and_saveexec_b32 s1, vcc_lo
	s_cbranch_execz .LBB1319_139
; %bb.130:
	v_lshl_add_u32 v6, s23, 8, v14
	v_dual_mov_b32 v10, 0 :: v_dual_bitop2_b32 v11, 2.0, v2 bitop3:0x54
	s_mov_b32 s2, 0
	s_mov_b32 s3, s23
	s_delay_alu instid0(VALU_DEP_2)
	v_lshl_add_u64 v[8:9], v[6:7], 2, s[10:11]
	global_store_b32 v6, v11, s[10:11] scale_offset scope:SCOPE_DEV
                                        ; implicit-def: $sgpr4
	s_branch .LBB1319_133
.LBB1319_131:                           ;   in Loop: Header=BB1319_133 Depth=1
	s_or_b32 exec_lo, exec_lo, s5
.LBB1319_132:                           ;   in Loop: Header=BB1319_133 Depth=1
	s_delay_alu instid0(SALU_CYCLE_1) | instskip(SKIP_2) | instid1(VALU_DEP_2)
	s_or_b32 exec_lo, exec_lo, s4
	v_and_b32_e32 v6, 0x3fffffff, v11
	v_cmp_gt_i32_e64 s4, -2.0, v11
	v_add_nc_u32_e32 v10, v6, v10
	s_and_b32 s5, exec_lo, s4
	s_delay_alu instid0(SALU_CYCLE_1) | instskip(NEXT) | instid1(SALU_CYCLE_1)
	s_or_b32 s2, s5, s2
	s_and_not1_b32 exec_lo, exec_lo, s2
	s_cbranch_execz .LBB1319_138
.LBB1319_133:                           ; =>This Loop Header: Depth=1
                                        ;     Child Loop BB1319_136 Depth 2
	s_or_b32 s4, s4, exec_lo
	s_cmp_eq_u32 s3, 0
	s_cbranch_scc1 .LBB1319_137
; %bb.134:                              ;   in Loop: Header=BB1319_133 Depth=1
	s_add_co_i32 s3, s3, -1
	s_mov_b32 s4, exec_lo
	s_wait_xcnt 0x0
	v_lshl_or_b32 v6, s3, 8, v14
	global_load_b32 v11, v6, s[10:11] scale_offset scope:SCOPE_DEV
	s_wait_loadcnt 0x0
	v_cmpx_gt_u32_e32 2.0, v11
	s_cbranch_execz .LBB1319_132
; %bb.135:                              ;   in Loop: Header=BB1319_133 Depth=1
	v_lshl_add_u64 v[12:13], v[6:7], 2, s[10:11]
	s_mov_b32 s5, 0
.LBB1319_136:                           ;   Parent Loop BB1319_133 Depth=1
                                        ; =>  This Inner Loop Header: Depth=2
	global_load_b32 v11, v[12:13], off scope:SCOPE_DEV
	s_wait_loadcnt 0x0
	v_cmp_lt_u32_e32 vcc_lo, 0x3fffffff, v11
	s_or_b32 s5, vcc_lo, s5
	s_wait_xcnt 0x0
	s_and_not1_b32 exec_lo, exec_lo, s5
	s_cbranch_execnz .LBB1319_136
	s_branch .LBB1319_131
.LBB1319_137:                           ;   in Loop: Header=BB1319_133 Depth=1
                                        ; implicit-def: $sgpr3
	s_and_b32 s5, exec_lo, s4
	s_delay_alu instid0(SALU_CYCLE_1)
	s_or_b32 s2, s5, s2
	s_wait_xcnt 0x0
	s_and_not1_b32 exec_lo, exec_lo, s2
	s_cbranch_execnz .LBB1319_133
.LBB1319_138:
	s_or_b32 exec_lo, exec_lo, s2
	v_dual_mov_b32 v11, 0 :: v_dual_add_nc_u32 v6, v10, v2
	s_delay_alu instid0(VALU_DEP_1) | instskip(SKIP_4) | instid1(VALU_DEP_1)
	v_or_b32_e32 v6, 0x80000000, v6
	global_store_b32 v[8:9], v6, off scope:SCOPE_DEV
	global_load_b64 v[6:7], v14, s[12:13] scale_offset
	v_sub_nc_u64_e32 v[8:9], v[10:11], v[0:1]
	s_wait_loadcnt 0x0
	v_add_nc_u64_e32 v[6:7], v[8:9], v[6:7]
	ds_store_b64 v3, v[6:7]
.LBB1319_139:
	s_wait_xcnt 0x0
	s_or_b32 exec_lo, exec_lo, s1
	v_dual_add_nc_u32 v6, v62, v5 :: v_dual_sub_nc_u32 v56, 0, v4
	v_mov_b32_e32 v5, 0
	v_add3_u32 v22, v23, v60, v22
	v_add3_u32 v7, v58, v53, v57
	v_add3_u32 v8, v55, v51, v54
	v_add_nc_u32_e32 v23, v3, v56
	v_add_nc_u64_e32 v[4:5], s[18:19], v[4:5]
	v_add3_u32 v9, v52, v48, v50
	v_add3_u32 v10, v49, v44, v47
	;; [unrolled: 1-line block ×6, first 2 shown]
	v_add_nc_u64_e32 v[4:5], 0x2000, v[4:5]
	v_add3_u32 v16, v29, v16, v28
	v_add3_u32 v25, v26, v61, v25
	v_mov_b32_e32 v26, v14
	s_mov_b32 s1, 0
	s_mov_b32 s2, -1
	s_branch .LBB1319_141
.LBB1319_140:                           ;   in Loop: Header=BB1319_141 Depth=1
	s_wait_xcnt 0x0
	s_or_b32 exec_lo, exec_lo, s3
	v_add_nc_u64_e32 v[4:5], 0x4000, v[4:5]
	v_add_nc_u32_e32 v26, 0x1000, v26
	s_xor_b32 s2, s2, -1
	s_addk_co_i32 s1, 0xf000
	s_and_b32 vcc_lo, exec_lo, s2
	s_mov_b32 s2, 0
	s_wait_storecnt 0x0
	s_barrier_signal -1
	s_barrier_wait -1
	s_cbranch_vccnz .LBB1319_151
.LBB1319_141:                           ; =>This Inner Loop Header: Depth=1
	v_add_min_u32_e64 v28, v6, s1, 0x1000
	v_add_min_u32_e64 v29, v22, s1, 0x1000
	;; [unrolled: 1-line block ×5, first 2 shown]
	s_delay_alu instid0(VALU_DEP_4)
	v_dual_lshlrev_b32 v28, 2, v28 :: v_dual_lshlrev_b32 v29, 2, v29
	v_add_min_u32_e64 v35, v13, s1, 0x1000
	v_add_min_u32_e64 v36, v12, s1, 0x1000
	s_mov_b32 s3, exec_lo
	ds_store_b32 v28, v17 offset:2048
	ds_store_b32 v29, v18 offset:2048
	v_dual_lshlrev_b32 v28, 2, v31 :: v_dual_lshlrev_b32 v29, 2, v32
	v_dual_lshlrev_b32 v31, 2, v33 :: v_dual_lshlrev_b32 v32, 2, v35
	v_lshlrev_b32_e32 v33, 2, v36
	ds_store_b32 v28, v19 offset:2048
	ds_store_b32 v29, v20 offset:2048
	;; [unrolled: 1-line block ×5, first 2 shown]
	v_add_min_u32_e64 v28, v11, s1, 0x1000
	v_add_min_u32_e64 v29, v10, s1, 0x1000
	;; [unrolled: 1-line block ×5, first 2 shown]
	s_delay_alu instid0(VALU_DEP_4) | instskip(NEXT) | instid1(VALU_DEP_3)
	v_dual_lshlrev_b32 v28, 2, v28 :: v_dual_lshlrev_b32 v29, 2, v29
	v_dual_lshlrev_b32 v31, 2, v31 :: v_dual_lshlrev_b32 v32, 2, v32
	s_delay_alu instid0(VALU_DEP_3)
	v_lshlrev_b32_e32 v33, 2, v33
	ds_store_b32 v28, v30 offset:2048
	ds_store_b32 v29, v34 offset:2048
	;; [unrolled: 1-line block ×5, first 2 shown]
	s_wait_storecnt_dscnt 0x0
	s_barrier_signal -1
	s_barrier_wait -1
	ds_load_2addr_stride64_b32 v[28:29], v23 offset0:8 offset1:16
	s_wait_dscnt 0x0
	v_cmp_ne_u32_e32 vcc_lo, 0x80000000, v29
	v_cndmask_b32_e32 v31, 0x7fffffff, v29, vcc_lo
	v_cmp_ne_u32_e32 vcc_lo, 0x80000000, v28
	s_delay_alu instid0(VALU_DEP_2) | instskip(SKIP_1) | instid1(VALU_DEP_2)
	v_lshrrev_b32_e32 v31, s20, v31
	v_cndmask_b32_e32 v35, 0x7fffffff, v28, vcc_lo
	v_and_b32_e32 v31, s9, v31
	s_delay_alu instid0(VALU_DEP_2) | instskip(NEXT) | instid1(VALU_DEP_2)
	v_lshrrev_b32_e32 v35, s20, v35
	v_lshlrev_b32_e32 v31, 3, v31
	ds_load_b64 v[32:33], v31
	ds_load_b32 v31, v23 offset:6144
	v_and_b32_e32 v35, s9, v35
	s_delay_alu instid0(VALU_DEP_1) | instskip(SKIP_4) | instid1(VALU_DEP_2)
	v_lshlrev_b32_e32 v35, 3, v35
	s_wait_dscnt 0x0
	v_cmp_ne_u32_e32 vcc_lo, 0x80000000, v31
	v_cndmask_b32_e32 v36, 0x7fffffff, v31, vcc_lo
	v_cmp_gt_i32_e32 vcc_lo, 0, v28
	v_lshrrev_b32_e32 v36, s20, v36
	s_delay_alu instid0(VALU_DEP_1) | instskip(NEXT) | instid1(VALU_DEP_1)
	v_and_b32_e32 v36, s9, v36
	v_lshlrev_b32_e32 v39, 3, v36
	ds_load_b64 v[36:37], v35
	ds_load_b64 v[40:41], v39
	v_cndmask_b32_e64 v35, 0x7fffffff, 0, vcc_lo
	v_cmp_gt_i32_e32 vcc_lo, 0, v29
	s_delay_alu instid0(VALU_DEP_2) | instskip(SKIP_2) | instid1(VALU_DEP_2)
	v_xor_b32_e32 v35, v35, v28
	v_cndmask_b32_e64 v39, 0x7fffffff, 0, vcc_lo
	v_cmp_gt_i32_e32 vcc_lo, 0, v31
	v_xor_b32_e32 v39, v39, v29
	v_cndmask_b32_e64 v43, 0x7fffffff, 0, vcc_lo
	v_lshl_add_u64 v[28:29], v[32:33], 2, v[4:5]
	s_delay_alu instid0(VALU_DEP_2)
	v_xor_b32_e32 v31, v43, v31
	s_wait_dscnt 0x1
	v_lshl_add_u64 v[36:37], v[36:37], 2, v[4:5]
	s_wait_dscnt 0x0
	v_lshl_add_u64 v[32:33], v[40:41], 2, v[4:5]
	s_clause 0x2
	global_store_b32 v[36:37], v35, off offset:-8192
	global_store_b32 v[28:29], v39, off offset:-6144
	;; [unrolled: 1-line block ×3, first 2 shown]
	s_wait_xcnt 0x0
	v_cmpx_gt_u32_e32 0x1200, v26
	s_cbranch_execz .LBB1319_143
; %bb.142:                              ;   in Loop: Header=BB1319_141 Depth=1
	ds_load_b32 v31, v23 offset:8192
	s_wait_dscnt 0x0
	v_cmp_ne_u32_e32 vcc_lo, 0x80000000, v31
	v_cndmask_b32_e32 v28, 0x7fffffff, v31, vcc_lo
	v_cmp_gt_i32_e32 vcc_lo, 0, v31
	v_cndmask_b32_e64 v32, 0x7fffffff, 0, vcc_lo
	s_delay_alu instid0(VALU_DEP_1) | instskip(NEXT) | instid1(VALU_DEP_1)
	v_dual_lshrrev_b32 v28, s20, v28 :: v_dual_bitop2_b32 v31, v32, v31 bitop3:0x14
	v_and_b32_e32 v28, s9, v28
	s_delay_alu instid0(VALU_DEP_1)
	v_lshlrev_b32_e32 v28, 3, v28
	ds_load_b64 v[28:29], v28
	s_wait_dscnt 0x0
	v_lshl_add_u64 v[28:29], v[28:29], 2, v[4:5]
	global_store_b32 v[28:29], v31, off offset:-2048
.LBB1319_143:                           ;   in Loop: Header=BB1319_141 Depth=1
	s_wait_xcnt 0x0
	s_or_b32 exec_lo, exec_lo, s3
	v_add_nc_u32_e32 v28, 0x800, v26
	s_mov_b32 s3, exec_lo
	s_delay_alu instid0(VALU_DEP_1)
	v_cmpx_gt_u32_e32 0x1800, v28
	s_cbranch_execz .LBB1319_145
; %bb.144:                              ;   in Loop: Header=BB1319_141 Depth=1
	ds_load_b32 v31, v23 offset:10240
	s_wait_dscnt 0x0
	v_cmp_ne_u32_e32 vcc_lo, 0x80000000, v31
	v_cndmask_b32_e32 v28, 0x7fffffff, v31, vcc_lo
	v_cmp_gt_i32_e32 vcc_lo, 0, v31
	v_cndmask_b32_e64 v32, 0x7fffffff, 0, vcc_lo
	s_delay_alu instid0(VALU_DEP_1) | instskip(NEXT) | instid1(VALU_DEP_1)
	v_dual_lshrrev_b32 v28, s20, v28 :: v_dual_bitop2_b32 v31, v32, v31 bitop3:0x14
	v_and_b32_e32 v28, s9, v28
	s_delay_alu instid0(VALU_DEP_1)
	v_lshlrev_b32_e32 v28, 3, v28
	ds_load_b64 v[28:29], v28
	s_wait_dscnt 0x0
	v_lshl_add_u64 v[28:29], v[28:29], 2, v[4:5]
	global_store_b32 v[28:29], v31, off
.LBB1319_145:                           ;   in Loop: Header=BB1319_141 Depth=1
	s_wait_xcnt 0x0
	s_or_b32 exec_lo, exec_lo, s3
	s_delay_alu instid0(SALU_CYCLE_1)
	s_mov_b32 s3, exec_lo
	v_cmpx_gt_u32_e32 0xe00, v26
	s_cbranch_execz .LBB1319_147
; %bb.146:                              ;   in Loop: Header=BB1319_141 Depth=1
	ds_load_b32 v31, v23 offset:12288
	s_wait_dscnt 0x0
	v_cmp_ne_u32_e32 vcc_lo, 0x80000000, v31
	v_cndmask_b32_e32 v28, 0x7fffffff, v31, vcc_lo
	v_cmp_gt_i32_e32 vcc_lo, 0, v31
	v_cndmask_b32_e64 v32, 0x7fffffff, 0, vcc_lo
	s_delay_alu instid0(VALU_DEP_1) | instskip(NEXT) | instid1(VALU_DEP_1)
	v_dual_lshrrev_b32 v28, s20, v28 :: v_dual_bitop2_b32 v31, v32, v31 bitop3:0x14
	v_and_b32_e32 v28, s9, v28
	s_delay_alu instid0(VALU_DEP_1)
	v_lshlrev_b32_e32 v28, 3, v28
	ds_load_b64 v[28:29], v28
	s_wait_dscnt 0x0
	v_lshl_add_u64 v[28:29], v[28:29], 2, v[4:5]
	global_store_b32 v[28:29], v31, off offset:2048
.LBB1319_147:                           ;   in Loop: Header=BB1319_141 Depth=1
	s_wait_xcnt 0x0
	s_or_b32 exec_lo, exec_lo, s3
	v_add_nc_u32_e32 v28, 0xc00, v26
	s_mov_b32 s3, exec_lo
	s_delay_alu instid0(VALU_DEP_1)
	v_cmpx_gt_u32_e32 0x1800, v28
	s_cbranch_execz .LBB1319_149
; %bb.148:                              ;   in Loop: Header=BB1319_141 Depth=1
	ds_load_b32 v31, v23 offset:14336
	s_wait_dscnt 0x0
	v_cmp_ne_u32_e32 vcc_lo, 0x80000000, v31
	v_cndmask_b32_e32 v28, 0x7fffffff, v31, vcc_lo
	v_cmp_gt_i32_e32 vcc_lo, 0, v31
	v_cndmask_b32_e64 v32, 0x7fffffff, 0, vcc_lo
	s_delay_alu instid0(VALU_DEP_1) | instskip(NEXT) | instid1(VALU_DEP_1)
	v_dual_lshrrev_b32 v28, s20, v28 :: v_dual_bitop2_b32 v31, v32, v31 bitop3:0x14
	v_and_b32_e32 v28, s9, v28
	s_delay_alu instid0(VALU_DEP_1)
	v_lshlrev_b32_e32 v28, 3, v28
	ds_load_b64 v[28:29], v28
	s_wait_dscnt 0x0
	v_lshl_add_u64 v[28:29], v[28:29], 2, v[4:5]
	global_store_b32 v[28:29], v31, off offset:4096
.LBB1319_149:                           ;   in Loop: Header=BB1319_141 Depth=1
	s_wait_xcnt 0x0
	s_or_b32 exec_lo, exec_lo, s3
	s_delay_alu instid0(SALU_CYCLE_1)
	s_mov_b32 s3, exec_lo
	v_cmpx_gt_u32_e32 0xa00, v26
	s_cbranch_execz .LBB1319_140
; %bb.150:                              ;   in Loop: Header=BB1319_141 Depth=1
	ds_load_b32 v31, v23 offset:16384
	s_wait_dscnt 0x0
	v_cmp_ne_u32_e32 vcc_lo, 0x80000000, v31
	v_cndmask_b32_e32 v28, 0x7fffffff, v31, vcc_lo
	v_cmp_gt_i32_e32 vcc_lo, 0, v31
	v_cndmask_b32_e64 v32, 0x7fffffff, 0, vcc_lo
	s_delay_alu instid0(VALU_DEP_1) | instskip(NEXT) | instid1(VALU_DEP_1)
	v_dual_lshrrev_b32 v28, s20, v28 :: v_dual_bitop2_b32 v31, v32, v31 bitop3:0x14
	v_and_b32_e32 v28, s9, v28
	s_delay_alu instid0(VALU_DEP_1)
	v_lshlrev_b32_e32 v28, 3, v28
	ds_load_b64 v[28:29], v28
	s_wait_dscnt 0x0
	v_lshl_add_u64 v[28:29], v[28:29], 2, v[4:5]
	global_store_b32 v[28:29], v31, off offset:6144
	s_branch .LBB1319_140
.LBB1319_151:
	s_add_co_i32 s8, s8, -1
	s_delay_alu instid0(SALU_CYCLE_1) | instskip(SKIP_2) | instid1(SALU_CYCLE_1)
	s_cmp_eq_u32 s23, s8
	s_cselect_b32 s1, -1, 0
	s_xor_b32 s0, s0, -1
	s_and_b32 s0, s0, s1
	s_delay_alu instid0(SALU_CYCLE_1)
	s_and_saveexec_b32 s1, s0
	s_cbranch_execz .LBB1319_153
; %bb.152:
	ds_load_b64 v[4:5], v3
	v_mov_b32_e32 v3, 0
	s_delay_alu instid0(VALU_DEP_1) | instskip(SKIP_1) | instid1(VALU_DEP_1)
	v_add_nc_u64_e32 v[0:1], v[0:1], v[2:3]
	s_wait_dscnt 0x0
	v_add_nc_u64_e32 v[0:1], v[0:1], v[4:5]
	global_store_b64 v14, v[0:1], s[14:15] scale_offset
.LBB1319_153:
	s_sendmsg sendmsg(MSG_DEALLOC_VGPRS)
	s_endpgm
	.section	.rodata,"a",@progbits
	.p2align	6, 0x0
	.amdhsa_kernel _ZN7rocprim17ROCPRIM_400000_NS6detail17trampoline_kernelINS0_14default_configENS1_35radix_sort_onesweep_config_selectorIfNS0_10empty_typeEEEZZNS1_29radix_sort_onesweep_iterationIS3_Lb1EPKfPfPS5_SB_mNS0_19identity_decomposerENS1_16block_id_wrapperIjLb1EEEEE10hipError_tT1_PNSt15iterator_traitsISG_E10value_typeET2_T3_PNSH_ISM_E10value_typeET4_T5_PSR_SS_PNS1_23onesweep_lookback_stateEbbT6_jjT7_P12ihipStream_tbENKUlT_T0_SG_SL_E_clIS9_SA_SB_SB_EEDaSZ_S10_SG_SL_EUlSZ_E_NS1_11comp_targetILNS1_3genE0ELNS1_11target_archE4294967295ELNS1_3gpuE0ELNS1_3repE0EEENS1_47radix_sort_onesweep_sort_config_static_selectorELNS0_4arch9wavefront6targetE0EEEvSG_
		.amdhsa_group_segment_fixed_size 18504
		.amdhsa_private_segment_fixed_size 0
		.amdhsa_kernarg_size 344
		.amdhsa_user_sgpr_count 2
		.amdhsa_user_sgpr_dispatch_ptr 0
		.amdhsa_user_sgpr_queue_ptr 0
		.amdhsa_user_sgpr_kernarg_segment_ptr 1
		.amdhsa_user_sgpr_dispatch_id 0
		.amdhsa_user_sgpr_kernarg_preload_length 0
		.amdhsa_user_sgpr_kernarg_preload_offset 0
		.amdhsa_user_sgpr_private_segment_size 0
		.amdhsa_wavefront_size32 1
		.amdhsa_uses_dynamic_stack 0
		.amdhsa_enable_private_segment 0
		.amdhsa_system_sgpr_workgroup_id_x 1
		.amdhsa_system_sgpr_workgroup_id_y 0
		.amdhsa_system_sgpr_workgroup_id_z 0
		.amdhsa_system_sgpr_workgroup_info 0
		.amdhsa_system_vgpr_workitem_id 2
		.amdhsa_next_free_vgpr 65
		.amdhsa_next_free_sgpr 30
		.amdhsa_named_barrier_count 0
		.amdhsa_reserve_vcc 1
		.amdhsa_float_round_mode_32 0
		.amdhsa_float_round_mode_16_64 0
		.amdhsa_float_denorm_mode_32 3
		.amdhsa_float_denorm_mode_16_64 3
		.amdhsa_fp16_overflow 0
		.amdhsa_memory_ordered 1
		.amdhsa_forward_progress 1
		.amdhsa_inst_pref_size 136
		.amdhsa_round_robin_scheduling 0
		.amdhsa_exception_fp_ieee_invalid_op 0
		.amdhsa_exception_fp_denorm_src 0
		.amdhsa_exception_fp_ieee_div_zero 0
		.amdhsa_exception_fp_ieee_overflow 0
		.amdhsa_exception_fp_ieee_underflow 0
		.amdhsa_exception_fp_ieee_inexact 0
		.amdhsa_exception_int_div_zero 0
	.end_amdhsa_kernel
	.section	.text._ZN7rocprim17ROCPRIM_400000_NS6detail17trampoline_kernelINS0_14default_configENS1_35radix_sort_onesweep_config_selectorIfNS0_10empty_typeEEEZZNS1_29radix_sort_onesweep_iterationIS3_Lb1EPKfPfPS5_SB_mNS0_19identity_decomposerENS1_16block_id_wrapperIjLb1EEEEE10hipError_tT1_PNSt15iterator_traitsISG_E10value_typeET2_T3_PNSH_ISM_E10value_typeET4_T5_PSR_SS_PNS1_23onesweep_lookback_stateEbbT6_jjT7_P12ihipStream_tbENKUlT_T0_SG_SL_E_clIS9_SA_SB_SB_EEDaSZ_S10_SG_SL_EUlSZ_E_NS1_11comp_targetILNS1_3genE0ELNS1_11target_archE4294967295ELNS1_3gpuE0ELNS1_3repE0EEENS1_47radix_sort_onesweep_sort_config_static_selectorELNS0_4arch9wavefront6targetE0EEEvSG_,"axG",@progbits,_ZN7rocprim17ROCPRIM_400000_NS6detail17trampoline_kernelINS0_14default_configENS1_35radix_sort_onesweep_config_selectorIfNS0_10empty_typeEEEZZNS1_29radix_sort_onesweep_iterationIS3_Lb1EPKfPfPS5_SB_mNS0_19identity_decomposerENS1_16block_id_wrapperIjLb1EEEEE10hipError_tT1_PNSt15iterator_traitsISG_E10value_typeET2_T3_PNSH_ISM_E10value_typeET4_T5_PSR_SS_PNS1_23onesweep_lookback_stateEbbT6_jjT7_P12ihipStream_tbENKUlT_T0_SG_SL_E_clIS9_SA_SB_SB_EEDaSZ_S10_SG_SL_EUlSZ_E_NS1_11comp_targetILNS1_3genE0ELNS1_11target_archE4294967295ELNS1_3gpuE0ELNS1_3repE0EEENS1_47radix_sort_onesweep_sort_config_static_selectorELNS0_4arch9wavefront6targetE0EEEvSG_,comdat
.Lfunc_end1319:
	.size	_ZN7rocprim17ROCPRIM_400000_NS6detail17trampoline_kernelINS0_14default_configENS1_35radix_sort_onesweep_config_selectorIfNS0_10empty_typeEEEZZNS1_29radix_sort_onesweep_iterationIS3_Lb1EPKfPfPS5_SB_mNS0_19identity_decomposerENS1_16block_id_wrapperIjLb1EEEEE10hipError_tT1_PNSt15iterator_traitsISG_E10value_typeET2_T3_PNSH_ISM_E10value_typeET4_T5_PSR_SS_PNS1_23onesweep_lookback_stateEbbT6_jjT7_P12ihipStream_tbENKUlT_T0_SG_SL_E_clIS9_SA_SB_SB_EEDaSZ_S10_SG_SL_EUlSZ_E_NS1_11comp_targetILNS1_3genE0ELNS1_11target_archE4294967295ELNS1_3gpuE0ELNS1_3repE0EEENS1_47radix_sort_onesweep_sort_config_static_selectorELNS0_4arch9wavefront6targetE0EEEvSG_, .Lfunc_end1319-_ZN7rocprim17ROCPRIM_400000_NS6detail17trampoline_kernelINS0_14default_configENS1_35radix_sort_onesweep_config_selectorIfNS0_10empty_typeEEEZZNS1_29radix_sort_onesweep_iterationIS3_Lb1EPKfPfPS5_SB_mNS0_19identity_decomposerENS1_16block_id_wrapperIjLb1EEEEE10hipError_tT1_PNSt15iterator_traitsISG_E10value_typeET2_T3_PNSH_ISM_E10value_typeET4_T5_PSR_SS_PNS1_23onesweep_lookback_stateEbbT6_jjT7_P12ihipStream_tbENKUlT_T0_SG_SL_E_clIS9_SA_SB_SB_EEDaSZ_S10_SG_SL_EUlSZ_E_NS1_11comp_targetILNS1_3genE0ELNS1_11target_archE4294967295ELNS1_3gpuE0ELNS1_3repE0EEENS1_47radix_sort_onesweep_sort_config_static_selectorELNS0_4arch9wavefront6targetE0EEEvSG_
                                        ; -- End function
	.set _ZN7rocprim17ROCPRIM_400000_NS6detail17trampoline_kernelINS0_14default_configENS1_35radix_sort_onesweep_config_selectorIfNS0_10empty_typeEEEZZNS1_29radix_sort_onesweep_iterationIS3_Lb1EPKfPfPS5_SB_mNS0_19identity_decomposerENS1_16block_id_wrapperIjLb1EEEEE10hipError_tT1_PNSt15iterator_traitsISG_E10value_typeET2_T3_PNSH_ISM_E10value_typeET4_T5_PSR_SS_PNS1_23onesweep_lookback_stateEbbT6_jjT7_P12ihipStream_tbENKUlT_T0_SG_SL_E_clIS9_SA_SB_SB_EEDaSZ_S10_SG_SL_EUlSZ_E_NS1_11comp_targetILNS1_3genE0ELNS1_11target_archE4294967295ELNS1_3gpuE0ELNS1_3repE0EEENS1_47radix_sort_onesweep_sort_config_static_selectorELNS0_4arch9wavefront6targetE0EEEvSG_.num_vgpr, 65
	.set _ZN7rocprim17ROCPRIM_400000_NS6detail17trampoline_kernelINS0_14default_configENS1_35radix_sort_onesweep_config_selectorIfNS0_10empty_typeEEEZZNS1_29radix_sort_onesweep_iterationIS3_Lb1EPKfPfPS5_SB_mNS0_19identity_decomposerENS1_16block_id_wrapperIjLb1EEEEE10hipError_tT1_PNSt15iterator_traitsISG_E10value_typeET2_T3_PNSH_ISM_E10value_typeET4_T5_PSR_SS_PNS1_23onesweep_lookback_stateEbbT6_jjT7_P12ihipStream_tbENKUlT_T0_SG_SL_E_clIS9_SA_SB_SB_EEDaSZ_S10_SG_SL_EUlSZ_E_NS1_11comp_targetILNS1_3genE0ELNS1_11target_archE4294967295ELNS1_3gpuE0ELNS1_3repE0EEENS1_47radix_sort_onesweep_sort_config_static_selectorELNS0_4arch9wavefront6targetE0EEEvSG_.num_agpr, 0
	.set _ZN7rocprim17ROCPRIM_400000_NS6detail17trampoline_kernelINS0_14default_configENS1_35radix_sort_onesweep_config_selectorIfNS0_10empty_typeEEEZZNS1_29radix_sort_onesweep_iterationIS3_Lb1EPKfPfPS5_SB_mNS0_19identity_decomposerENS1_16block_id_wrapperIjLb1EEEEE10hipError_tT1_PNSt15iterator_traitsISG_E10value_typeET2_T3_PNSH_ISM_E10value_typeET4_T5_PSR_SS_PNS1_23onesweep_lookback_stateEbbT6_jjT7_P12ihipStream_tbENKUlT_T0_SG_SL_E_clIS9_SA_SB_SB_EEDaSZ_S10_SG_SL_EUlSZ_E_NS1_11comp_targetILNS1_3genE0ELNS1_11target_archE4294967295ELNS1_3gpuE0ELNS1_3repE0EEENS1_47radix_sort_onesweep_sort_config_static_selectorELNS0_4arch9wavefront6targetE0EEEvSG_.numbered_sgpr, 30
	.set _ZN7rocprim17ROCPRIM_400000_NS6detail17trampoline_kernelINS0_14default_configENS1_35radix_sort_onesweep_config_selectorIfNS0_10empty_typeEEEZZNS1_29radix_sort_onesweep_iterationIS3_Lb1EPKfPfPS5_SB_mNS0_19identity_decomposerENS1_16block_id_wrapperIjLb1EEEEE10hipError_tT1_PNSt15iterator_traitsISG_E10value_typeET2_T3_PNSH_ISM_E10value_typeET4_T5_PSR_SS_PNS1_23onesweep_lookback_stateEbbT6_jjT7_P12ihipStream_tbENKUlT_T0_SG_SL_E_clIS9_SA_SB_SB_EEDaSZ_S10_SG_SL_EUlSZ_E_NS1_11comp_targetILNS1_3genE0ELNS1_11target_archE4294967295ELNS1_3gpuE0ELNS1_3repE0EEENS1_47radix_sort_onesweep_sort_config_static_selectorELNS0_4arch9wavefront6targetE0EEEvSG_.num_named_barrier, 0
	.set _ZN7rocprim17ROCPRIM_400000_NS6detail17trampoline_kernelINS0_14default_configENS1_35radix_sort_onesweep_config_selectorIfNS0_10empty_typeEEEZZNS1_29radix_sort_onesweep_iterationIS3_Lb1EPKfPfPS5_SB_mNS0_19identity_decomposerENS1_16block_id_wrapperIjLb1EEEEE10hipError_tT1_PNSt15iterator_traitsISG_E10value_typeET2_T3_PNSH_ISM_E10value_typeET4_T5_PSR_SS_PNS1_23onesweep_lookback_stateEbbT6_jjT7_P12ihipStream_tbENKUlT_T0_SG_SL_E_clIS9_SA_SB_SB_EEDaSZ_S10_SG_SL_EUlSZ_E_NS1_11comp_targetILNS1_3genE0ELNS1_11target_archE4294967295ELNS1_3gpuE0ELNS1_3repE0EEENS1_47radix_sort_onesweep_sort_config_static_selectorELNS0_4arch9wavefront6targetE0EEEvSG_.private_seg_size, 0
	.set _ZN7rocprim17ROCPRIM_400000_NS6detail17trampoline_kernelINS0_14default_configENS1_35radix_sort_onesweep_config_selectorIfNS0_10empty_typeEEEZZNS1_29radix_sort_onesweep_iterationIS3_Lb1EPKfPfPS5_SB_mNS0_19identity_decomposerENS1_16block_id_wrapperIjLb1EEEEE10hipError_tT1_PNSt15iterator_traitsISG_E10value_typeET2_T3_PNSH_ISM_E10value_typeET4_T5_PSR_SS_PNS1_23onesweep_lookback_stateEbbT6_jjT7_P12ihipStream_tbENKUlT_T0_SG_SL_E_clIS9_SA_SB_SB_EEDaSZ_S10_SG_SL_EUlSZ_E_NS1_11comp_targetILNS1_3genE0ELNS1_11target_archE4294967295ELNS1_3gpuE0ELNS1_3repE0EEENS1_47radix_sort_onesweep_sort_config_static_selectorELNS0_4arch9wavefront6targetE0EEEvSG_.uses_vcc, 1
	.set _ZN7rocprim17ROCPRIM_400000_NS6detail17trampoline_kernelINS0_14default_configENS1_35radix_sort_onesweep_config_selectorIfNS0_10empty_typeEEEZZNS1_29radix_sort_onesweep_iterationIS3_Lb1EPKfPfPS5_SB_mNS0_19identity_decomposerENS1_16block_id_wrapperIjLb1EEEEE10hipError_tT1_PNSt15iterator_traitsISG_E10value_typeET2_T3_PNSH_ISM_E10value_typeET4_T5_PSR_SS_PNS1_23onesweep_lookback_stateEbbT6_jjT7_P12ihipStream_tbENKUlT_T0_SG_SL_E_clIS9_SA_SB_SB_EEDaSZ_S10_SG_SL_EUlSZ_E_NS1_11comp_targetILNS1_3genE0ELNS1_11target_archE4294967295ELNS1_3gpuE0ELNS1_3repE0EEENS1_47radix_sort_onesweep_sort_config_static_selectorELNS0_4arch9wavefront6targetE0EEEvSG_.uses_flat_scratch, 0
	.set _ZN7rocprim17ROCPRIM_400000_NS6detail17trampoline_kernelINS0_14default_configENS1_35radix_sort_onesweep_config_selectorIfNS0_10empty_typeEEEZZNS1_29radix_sort_onesweep_iterationIS3_Lb1EPKfPfPS5_SB_mNS0_19identity_decomposerENS1_16block_id_wrapperIjLb1EEEEE10hipError_tT1_PNSt15iterator_traitsISG_E10value_typeET2_T3_PNSH_ISM_E10value_typeET4_T5_PSR_SS_PNS1_23onesweep_lookback_stateEbbT6_jjT7_P12ihipStream_tbENKUlT_T0_SG_SL_E_clIS9_SA_SB_SB_EEDaSZ_S10_SG_SL_EUlSZ_E_NS1_11comp_targetILNS1_3genE0ELNS1_11target_archE4294967295ELNS1_3gpuE0ELNS1_3repE0EEENS1_47radix_sort_onesweep_sort_config_static_selectorELNS0_4arch9wavefront6targetE0EEEvSG_.has_dyn_sized_stack, 0
	.set _ZN7rocprim17ROCPRIM_400000_NS6detail17trampoline_kernelINS0_14default_configENS1_35radix_sort_onesweep_config_selectorIfNS0_10empty_typeEEEZZNS1_29radix_sort_onesweep_iterationIS3_Lb1EPKfPfPS5_SB_mNS0_19identity_decomposerENS1_16block_id_wrapperIjLb1EEEEE10hipError_tT1_PNSt15iterator_traitsISG_E10value_typeET2_T3_PNSH_ISM_E10value_typeET4_T5_PSR_SS_PNS1_23onesweep_lookback_stateEbbT6_jjT7_P12ihipStream_tbENKUlT_T0_SG_SL_E_clIS9_SA_SB_SB_EEDaSZ_S10_SG_SL_EUlSZ_E_NS1_11comp_targetILNS1_3genE0ELNS1_11target_archE4294967295ELNS1_3gpuE0ELNS1_3repE0EEENS1_47radix_sort_onesweep_sort_config_static_selectorELNS0_4arch9wavefront6targetE0EEEvSG_.has_recursion, 0
	.set _ZN7rocprim17ROCPRIM_400000_NS6detail17trampoline_kernelINS0_14default_configENS1_35radix_sort_onesweep_config_selectorIfNS0_10empty_typeEEEZZNS1_29radix_sort_onesweep_iterationIS3_Lb1EPKfPfPS5_SB_mNS0_19identity_decomposerENS1_16block_id_wrapperIjLb1EEEEE10hipError_tT1_PNSt15iterator_traitsISG_E10value_typeET2_T3_PNSH_ISM_E10value_typeET4_T5_PSR_SS_PNS1_23onesweep_lookback_stateEbbT6_jjT7_P12ihipStream_tbENKUlT_T0_SG_SL_E_clIS9_SA_SB_SB_EEDaSZ_S10_SG_SL_EUlSZ_E_NS1_11comp_targetILNS1_3genE0ELNS1_11target_archE4294967295ELNS1_3gpuE0ELNS1_3repE0EEENS1_47radix_sort_onesweep_sort_config_static_selectorELNS0_4arch9wavefront6targetE0EEEvSG_.has_indirect_call, 0
	.section	.AMDGPU.csdata,"",@progbits
; Kernel info:
; codeLenInByte = 17320
; TotalNumSgprs: 32
; NumVgprs: 65
; ScratchSize: 0
; MemoryBound: 0
; FloatMode: 240
; IeeeMode: 1
; LDSByteSize: 18504 bytes/workgroup (compile time only)
; SGPRBlocks: 0
; VGPRBlocks: 4
; NumSGPRsForWavesPerEU: 32
; NumVGPRsForWavesPerEU: 65
; NamedBarCnt: 0
; Occupancy: 12
; WaveLimiterHint : 1
; COMPUTE_PGM_RSRC2:SCRATCH_EN: 0
; COMPUTE_PGM_RSRC2:USER_SGPR: 2
; COMPUTE_PGM_RSRC2:TRAP_HANDLER: 0
; COMPUTE_PGM_RSRC2:TGID_X_EN: 1
; COMPUTE_PGM_RSRC2:TGID_Y_EN: 0
; COMPUTE_PGM_RSRC2:TGID_Z_EN: 0
; COMPUTE_PGM_RSRC2:TIDIG_COMP_CNT: 2
	.section	.text._ZN7rocprim17ROCPRIM_400000_NS6detail17trampoline_kernelINS0_14default_configENS1_35radix_sort_onesweep_config_selectorIfNS0_10empty_typeEEEZZNS1_29radix_sort_onesweep_iterationIS3_Lb1EPKfPfPS5_SB_mNS0_19identity_decomposerENS1_16block_id_wrapperIjLb1EEEEE10hipError_tT1_PNSt15iterator_traitsISG_E10value_typeET2_T3_PNSH_ISM_E10value_typeET4_T5_PSR_SS_PNS1_23onesweep_lookback_stateEbbT6_jjT7_P12ihipStream_tbENKUlT_T0_SG_SL_E_clIS9_SA_SB_SB_EEDaSZ_S10_SG_SL_EUlSZ_E_NS1_11comp_targetILNS1_3genE6ELNS1_11target_archE950ELNS1_3gpuE13ELNS1_3repE0EEENS1_47radix_sort_onesweep_sort_config_static_selectorELNS0_4arch9wavefront6targetE0EEEvSG_,"axG",@progbits,_ZN7rocprim17ROCPRIM_400000_NS6detail17trampoline_kernelINS0_14default_configENS1_35radix_sort_onesweep_config_selectorIfNS0_10empty_typeEEEZZNS1_29radix_sort_onesweep_iterationIS3_Lb1EPKfPfPS5_SB_mNS0_19identity_decomposerENS1_16block_id_wrapperIjLb1EEEEE10hipError_tT1_PNSt15iterator_traitsISG_E10value_typeET2_T3_PNSH_ISM_E10value_typeET4_T5_PSR_SS_PNS1_23onesweep_lookback_stateEbbT6_jjT7_P12ihipStream_tbENKUlT_T0_SG_SL_E_clIS9_SA_SB_SB_EEDaSZ_S10_SG_SL_EUlSZ_E_NS1_11comp_targetILNS1_3genE6ELNS1_11target_archE950ELNS1_3gpuE13ELNS1_3repE0EEENS1_47radix_sort_onesweep_sort_config_static_selectorELNS0_4arch9wavefront6targetE0EEEvSG_,comdat
	.protected	_ZN7rocprim17ROCPRIM_400000_NS6detail17trampoline_kernelINS0_14default_configENS1_35radix_sort_onesweep_config_selectorIfNS0_10empty_typeEEEZZNS1_29radix_sort_onesweep_iterationIS3_Lb1EPKfPfPS5_SB_mNS0_19identity_decomposerENS1_16block_id_wrapperIjLb1EEEEE10hipError_tT1_PNSt15iterator_traitsISG_E10value_typeET2_T3_PNSH_ISM_E10value_typeET4_T5_PSR_SS_PNS1_23onesweep_lookback_stateEbbT6_jjT7_P12ihipStream_tbENKUlT_T0_SG_SL_E_clIS9_SA_SB_SB_EEDaSZ_S10_SG_SL_EUlSZ_E_NS1_11comp_targetILNS1_3genE6ELNS1_11target_archE950ELNS1_3gpuE13ELNS1_3repE0EEENS1_47radix_sort_onesweep_sort_config_static_selectorELNS0_4arch9wavefront6targetE0EEEvSG_ ; -- Begin function _ZN7rocprim17ROCPRIM_400000_NS6detail17trampoline_kernelINS0_14default_configENS1_35radix_sort_onesweep_config_selectorIfNS0_10empty_typeEEEZZNS1_29radix_sort_onesweep_iterationIS3_Lb1EPKfPfPS5_SB_mNS0_19identity_decomposerENS1_16block_id_wrapperIjLb1EEEEE10hipError_tT1_PNSt15iterator_traitsISG_E10value_typeET2_T3_PNSH_ISM_E10value_typeET4_T5_PSR_SS_PNS1_23onesweep_lookback_stateEbbT6_jjT7_P12ihipStream_tbENKUlT_T0_SG_SL_E_clIS9_SA_SB_SB_EEDaSZ_S10_SG_SL_EUlSZ_E_NS1_11comp_targetILNS1_3genE6ELNS1_11target_archE950ELNS1_3gpuE13ELNS1_3repE0EEENS1_47radix_sort_onesweep_sort_config_static_selectorELNS0_4arch9wavefront6targetE0EEEvSG_
	.globl	_ZN7rocprim17ROCPRIM_400000_NS6detail17trampoline_kernelINS0_14default_configENS1_35radix_sort_onesweep_config_selectorIfNS0_10empty_typeEEEZZNS1_29radix_sort_onesweep_iterationIS3_Lb1EPKfPfPS5_SB_mNS0_19identity_decomposerENS1_16block_id_wrapperIjLb1EEEEE10hipError_tT1_PNSt15iterator_traitsISG_E10value_typeET2_T3_PNSH_ISM_E10value_typeET4_T5_PSR_SS_PNS1_23onesweep_lookback_stateEbbT6_jjT7_P12ihipStream_tbENKUlT_T0_SG_SL_E_clIS9_SA_SB_SB_EEDaSZ_S10_SG_SL_EUlSZ_E_NS1_11comp_targetILNS1_3genE6ELNS1_11target_archE950ELNS1_3gpuE13ELNS1_3repE0EEENS1_47radix_sort_onesweep_sort_config_static_selectorELNS0_4arch9wavefront6targetE0EEEvSG_
	.p2align	8
	.type	_ZN7rocprim17ROCPRIM_400000_NS6detail17trampoline_kernelINS0_14default_configENS1_35radix_sort_onesweep_config_selectorIfNS0_10empty_typeEEEZZNS1_29radix_sort_onesweep_iterationIS3_Lb1EPKfPfPS5_SB_mNS0_19identity_decomposerENS1_16block_id_wrapperIjLb1EEEEE10hipError_tT1_PNSt15iterator_traitsISG_E10value_typeET2_T3_PNSH_ISM_E10value_typeET4_T5_PSR_SS_PNS1_23onesweep_lookback_stateEbbT6_jjT7_P12ihipStream_tbENKUlT_T0_SG_SL_E_clIS9_SA_SB_SB_EEDaSZ_S10_SG_SL_EUlSZ_E_NS1_11comp_targetILNS1_3genE6ELNS1_11target_archE950ELNS1_3gpuE13ELNS1_3repE0EEENS1_47radix_sort_onesweep_sort_config_static_selectorELNS0_4arch9wavefront6targetE0EEEvSG_,@function
_ZN7rocprim17ROCPRIM_400000_NS6detail17trampoline_kernelINS0_14default_configENS1_35radix_sort_onesweep_config_selectorIfNS0_10empty_typeEEEZZNS1_29radix_sort_onesweep_iterationIS3_Lb1EPKfPfPS5_SB_mNS0_19identity_decomposerENS1_16block_id_wrapperIjLb1EEEEE10hipError_tT1_PNSt15iterator_traitsISG_E10value_typeET2_T3_PNSH_ISM_E10value_typeET4_T5_PSR_SS_PNS1_23onesweep_lookback_stateEbbT6_jjT7_P12ihipStream_tbENKUlT_T0_SG_SL_E_clIS9_SA_SB_SB_EEDaSZ_S10_SG_SL_EUlSZ_E_NS1_11comp_targetILNS1_3genE6ELNS1_11target_archE950ELNS1_3gpuE13ELNS1_3repE0EEENS1_47radix_sort_onesweep_sort_config_static_selectorELNS0_4arch9wavefront6targetE0EEEvSG_: ; @_ZN7rocprim17ROCPRIM_400000_NS6detail17trampoline_kernelINS0_14default_configENS1_35radix_sort_onesweep_config_selectorIfNS0_10empty_typeEEEZZNS1_29radix_sort_onesweep_iterationIS3_Lb1EPKfPfPS5_SB_mNS0_19identity_decomposerENS1_16block_id_wrapperIjLb1EEEEE10hipError_tT1_PNSt15iterator_traitsISG_E10value_typeET2_T3_PNSH_ISM_E10value_typeET4_T5_PSR_SS_PNS1_23onesweep_lookback_stateEbbT6_jjT7_P12ihipStream_tbENKUlT_T0_SG_SL_E_clIS9_SA_SB_SB_EEDaSZ_S10_SG_SL_EUlSZ_E_NS1_11comp_targetILNS1_3genE6ELNS1_11target_archE950ELNS1_3gpuE13ELNS1_3repE0EEENS1_47radix_sort_onesweep_sort_config_static_selectorELNS0_4arch9wavefront6targetE0EEEvSG_
; %bb.0:
	.section	.rodata,"a",@progbits
	.p2align	6, 0x0
	.amdhsa_kernel _ZN7rocprim17ROCPRIM_400000_NS6detail17trampoline_kernelINS0_14default_configENS1_35radix_sort_onesweep_config_selectorIfNS0_10empty_typeEEEZZNS1_29radix_sort_onesweep_iterationIS3_Lb1EPKfPfPS5_SB_mNS0_19identity_decomposerENS1_16block_id_wrapperIjLb1EEEEE10hipError_tT1_PNSt15iterator_traitsISG_E10value_typeET2_T3_PNSH_ISM_E10value_typeET4_T5_PSR_SS_PNS1_23onesweep_lookback_stateEbbT6_jjT7_P12ihipStream_tbENKUlT_T0_SG_SL_E_clIS9_SA_SB_SB_EEDaSZ_S10_SG_SL_EUlSZ_E_NS1_11comp_targetILNS1_3genE6ELNS1_11target_archE950ELNS1_3gpuE13ELNS1_3repE0EEENS1_47radix_sort_onesweep_sort_config_static_selectorELNS0_4arch9wavefront6targetE0EEEvSG_
		.amdhsa_group_segment_fixed_size 0
		.amdhsa_private_segment_fixed_size 0
		.amdhsa_kernarg_size 88
		.amdhsa_user_sgpr_count 2
		.amdhsa_user_sgpr_dispatch_ptr 0
		.amdhsa_user_sgpr_queue_ptr 0
		.amdhsa_user_sgpr_kernarg_segment_ptr 1
		.amdhsa_user_sgpr_dispatch_id 0
		.amdhsa_user_sgpr_kernarg_preload_length 0
		.amdhsa_user_sgpr_kernarg_preload_offset 0
		.amdhsa_user_sgpr_private_segment_size 0
		.amdhsa_wavefront_size32 1
		.amdhsa_uses_dynamic_stack 0
		.amdhsa_enable_private_segment 0
		.amdhsa_system_sgpr_workgroup_id_x 1
		.amdhsa_system_sgpr_workgroup_id_y 0
		.amdhsa_system_sgpr_workgroup_id_z 0
		.amdhsa_system_sgpr_workgroup_info 0
		.amdhsa_system_vgpr_workitem_id 0
		.amdhsa_next_free_vgpr 1
		.amdhsa_next_free_sgpr 1
		.amdhsa_named_barrier_count 0
		.amdhsa_reserve_vcc 0
		.amdhsa_float_round_mode_32 0
		.amdhsa_float_round_mode_16_64 0
		.amdhsa_float_denorm_mode_32 3
		.amdhsa_float_denorm_mode_16_64 3
		.amdhsa_fp16_overflow 0
		.amdhsa_memory_ordered 1
		.amdhsa_forward_progress 1
		.amdhsa_inst_pref_size 0
		.amdhsa_round_robin_scheduling 0
		.amdhsa_exception_fp_ieee_invalid_op 0
		.amdhsa_exception_fp_denorm_src 0
		.amdhsa_exception_fp_ieee_div_zero 0
		.amdhsa_exception_fp_ieee_overflow 0
		.amdhsa_exception_fp_ieee_underflow 0
		.amdhsa_exception_fp_ieee_inexact 0
		.amdhsa_exception_int_div_zero 0
	.end_amdhsa_kernel
	.section	.text._ZN7rocprim17ROCPRIM_400000_NS6detail17trampoline_kernelINS0_14default_configENS1_35radix_sort_onesweep_config_selectorIfNS0_10empty_typeEEEZZNS1_29radix_sort_onesweep_iterationIS3_Lb1EPKfPfPS5_SB_mNS0_19identity_decomposerENS1_16block_id_wrapperIjLb1EEEEE10hipError_tT1_PNSt15iterator_traitsISG_E10value_typeET2_T3_PNSH_ISM_E10value_typeET4_T5_PSR_SS_PNS1_23onesweep_lookback_stateEbbT6_jjT7_P12ihipStream_tbENKUlT_T0_SG_SL_E_clIS9_SA_SB_SB_EEDaSZ_S10_SG_SL_EUlSZ_E_NS1_11comp_targetILNS1_3genE6ELNS1_11target_archE950ELNS1_3gpuE13ELNS1_3repE0EEENS1_47radix_sort_onesweep_sort_config_static_selectorELNS0_4arch9wavefront6targetE0EEEvSG_,"axG",@progbits,_ZN7rocprim17ROCPRIM_400000_NS6detail17trampoline_kernelINS0_14default_configENS1_35radix_sort_onesweep_config_selectorIfNS0_10empty_typeEEEZZNS1_29radix_sort_onesweep_iterationIS3_Lb1EPKfPfPS5_SB_mNS0_19identity_decomposerENS1_16block_id_wrapperIjLb1EEEEE10hipError_tT1_PNSt15iterator_traitsISG_E10value_typeET2_T3_PNSH_ISM_E10value_typeET4_T5_PSR_SS_PNS1_23onesweep_lookback_stateEbbT6_jjT7_P12ihipStream_tbENKUlT_T0_SG_SL_E_clIS9_SA_SB_SB_EEDaSZ_S10_SG_SL_EUlSZ_E_NS1_11comp_targetILNS1_3genE6ELNS1_11target_archE950ELNS1_3gpuE13ELNS1_3repE0EEENS1_47radix_sort_onesweep_sort_config_static_selectorELNS0_4arch9wavefront6targetE0EEEvSG_,comdat
.Lfunc_end1320:
	.size	_ZN7rocprim17ROCPRIM_400000_NS6detail17trampoline_kernelINS0_14default_configENS1_35radix_sort_onesweep_config_selectorIfNS0_10empty_typeEEEZZNS1_29radix_sort_onesweep_iterationIS3_Lb1EPKfPfPS5_SB_mNS0_19identity_decomposerENS1_16block_id_wrapperIjLb1EEEEE10hipError_tT1_PNSt15iterator_traitsISG_E10value_typeET2_T3_PNSH_ISM_E10value_typeET4_T5_PSR_SS_PNS1_23onesweep_lookback_stateEbbT6_jjT7_P12ihipStream_tbENKUlT_T0_SG_SL_E_clIS9_SA_SB_SB_EEDaSZ_S10_SG_SL_EUlSZ_E_NS1_11comp_targetILNS1_3genE6ELNS1_11target_archE950ELNS1_3gpuE13ELNS1_3repE0EEENS1_47radix_sort_onesweep_sort_config_static_selectorELNS0_4arch9wavefront6targetE0EEEvSG_, .Lfunc_end1320-_ZN7rocprim17ROCPRIM_400000_NS6detail17trampoline_kernelINS0_14default_configENS1_35radix_sort_onesweep_config_selectorIfNS0_10empty_typeEEEZZNS1_29radix_sort_onesweep_iterationIS3_Lb1EPKfPfPS5_SB_mNS0_19identity_decomposerENS1_16block_id_wrapperIjLb1EEEEE10hipError_tT1_PNSt15iterator_traitsISG_E10value_typeET2_T3_PNSH_ISM_E10value_typeET4_T5_PSR_SS_PNS1_23onesweep_lookback_stateEbbT6_jjT7_P12ihipStream_tbENKUlT_T0_SG_SL_E_clIS9_SA_SB_SB_EEDaSZ_S10_SG_SL_EUlSZ_E_NS1_11comp_targetILNS1_3genE6ELNS1_11target_archE950ELNS1_3gpuE13ELNS1_3repE0EEENS1_47radix_sort_onesweep_sort_config_static_selectorELNS0_4arch9wavefront6targetE0EEEvSG_
                                        ; -- End function
	.set _ZN7rocprim17ROCPRIM_400000_NS6detail17trampoline_kernelINS0_14default_configENS1_35radix_sort_onesweep_config_selectorIfNS0_10empty_typeEEEZZNS1_29radix_sort_onesweep_iterationIS3_Lb1EPKfPfPS5_SB_mNS0_19identity_decomposerENS1_16block_id_wrapperIjLb1EEEEE10hipError_tT1_PNSt15iterator_traitsISG_E10value_typeET2_T3_PNSH_ISM_E10value_typeET4_T5_PSR_SS_PNS1_23onesweep_lookback_stateEbbT6_jjT7_P12ihipStream_tbENKUlT_T0_SG_SL_E_clIS9_SA_SB_SB_EEDaSZ_S10_SG_SL_EUlSZ_E_NS1_11comp_targetILNS1_3genE6ELNS1_11target_archE950ELNS1_3gpuE13ELNS1_3repE0EEENS1_47radix_sort_onesweep_sort_config_static_selectorELNS0_4arch9wavefront6targetE0EEEvSG_.num_vgpr, 0
	.set _ZN7rocprim17ROCPRIM_400000_NS6detail17trampoline_kernelINS0_14default_configENS1_35radix_sort_onesweep_config_selectorIfNS0_10empty_typeEEEZZNS1_29radix_sort_onesweep_iterationIS3_Lb1EPKfPfPS5_SB_mNS0_19identity_decomposerENS1_16block_id_wrapperIjLb1EEEEE10hipError_tT1_PNSt15iterator_traitsISG_E10value_typeET2_T3_PNSH_ISM_E10value_typeET4_T5_PSR_SS_PNS1_23onesweep_lookback_stateEbbT6_jjT7_P12ihipStream_tbENKUlT_T0_SG_SL_E_clIS9_SA_SB_SB_EEDaSZ_S10_SG_SL_EUlSZ_E_NS1_11comp_targetILNS1_3genE6ELNS1_11target_archE950ELNS1_3gpuE13ELNS1_3repE0EEENS1_47radix_sort_onesweep_sort_config_static_selectorELNS0_4arch9wavefront6targetE0EEEvSG_.num_agpr, 0
	.set _ZN7rocprim17ROCPRIM_400000_NS6detail17trampoline_kernelINS0_14default_configENS1_35radix_sort_onesweep_config_selectorIfNS0_10empty_typeEEEZZNS1_29radix_sort_onesweep_iterationIS3_Lb1EPKfPfPS5_SB_mNS0_19identity_decomposerENS1_16block_id_wrapperIjLb1EEEEE10hipError_tT1_PNSt15iterator_traitsISG_E10value_typeET2_T3_PNSH_ISM_E10value_typeET4_T5_PSR_SS_PNS1_23onesweep_lookback_stateEbbT6_jjT7_P12ihipStream_tbENKUlT_T0_SG_SL_E_clIS9_SA_SB_SB_EEDaSZ_S10_SG_SL_EUlSZ_E_NS1_11comp_targetILNS1_3genE6ELNS1_11target_archE950ELNS1_3gpuE13ELNS1_3repE0EEENS1_47radix_sort_onesweep_sort_config_static_selectorELNS0_4arch9wavefront6targetE0EEEvSG_.numbered_sgpr, 0
	.set _ZN7rocprim17ROCPRIM_400000_NS6detail17trampoline_kernelINS0_14default_configENS1_35radix_sort_onesweep_config_selectorIfNS0_10empty_typeEEEZZNS1_29radix_sort_onesweep_iterationIS3_Lb1EPKfPfPS5_SB_mNS0_19identity_decomposerENS1_16block_id_wrapperIjLb1EEEEE10hipError_tT1_PNSt15iterator_traitsISG_E10value_typeET2_T3_PNSH_ISM_E10value_typeET4_T5_PSR_SS_PNS1_23onesweep_lookback_stateEbbT6_jjT7_P12ihipStream_tbENKUlT_T0_SG_SL_E_clIS9_SA_SB_SB_EEDaSZ_S10_SG_SL_EUlSZ_E_NS1_11comp_targetILNS1_3genE6ELNS1_11target_archE950ELNS1_3gpuE13ELNS1_3repE0EEENS1_47radix_sort_onesweep_sort_config_static_selectorELNS0_4arch9wavefront6targetE0EEEvSG_.num_named_barrier, 0
	.set _ZN7rocprim17ROCPRIM_400000_NS6detail17trampoline_kernelINS0_14default_configENS1_35radix_sort_onesweep_config_selectorIfNS0_10empty_typeEEEZZNS1_29radix_sort_onesweep_iterationIS3_Lb1EPKfPfPS5_SB_mNS0_19identity_decomposerENS1_16block_id_wrapperIjLb1EEEEE10hipError_tT1_PNSt15iterator_traitsISG_E10value_typeET2_T3_PNSH_ISM_E10value_typeET4_T5_PSR_SS_PNS1_23onesweep_lookback_stateEbbT6_jjT7_P12ihipStream_tbENKUlT_T0_SG_SL_E_clIS9_SA_SB_SB_EEDaSZ_S10_SG_SL_EUlSZ_E_NS1_11comp_targetILNS1_3genE6ELNS1_11target_archE950ELNS1_3gpuE13ELNS1_3repE0EEENS1_47radix_sort_onesweep_sort_config_static_selectorELNS0_4arch9wavefront6targetE0EEEvSG_.private_seg_size, 0
	.set _ZN7rocprim17ROCPRIM_400000_NS6detail17trampoline_kernelINS0_14default_configENS1_35radix_sort_onesweep_config_selectorIfNS0_10empty_typeEEEZZNS1_29radix_sort_onesweep_iterationIS3_Lb1EPKfPfPS5_SB_mNS0_19identity_decomposerENS1_16block_id_wrapperIjLb1EEEEE10hipError_tT1_PNSt15iterator_traitsISG_E10value_typeET2_T3_PNSH_ISM_E10value_typeET4_T5_PSR_SS_PNS1_23onesweep_lookback_stateEbbT6_jjT7_P12ihipStream_tbENKUlT_T0_SG_SL_E_clIS9_SA_SB_SB_EEDaSZ_S10_SG_SL_EUlSZ_E_NS1_11comp_targetILNS1_3genE6ELNS1_11target_archE950ELNS1_3gpuE13ELNS1_3repE0EEENS1_47radix_sort_onesweep_sort_config_static_selectorELNS0_4arch9wavefront6targetE0EEEvSG_.uses_vcc, 0
	.set _ZN7rocprim17ROCPRIM_400000_NS6detail17trampoline_kernelINS0_14default_configENS1_35radix_sort_onesweep_config_selectorIfNS0_10empty_typeEEEZZNS1_29radix_sort_onesweep_iterationIS3_Lb1EPKfPfPS5_SB_mNS0_19identity_decomposerENS1_16block_id_wrapperIjLb1EEEEE10hipError_tT1_PNSt15iterator_traitsISG_E10value_typeET2_T3_PNSH_ISM_E10value_typeET4_T5_PSR_SS_PNS1_23onesweep_lookback_stateEbbT6_jjT7_P12ihipStream_tbENKUlT_T0_SG_SL_E_clIS9_SA_SB_SB_EEDaSZ_S10_SG_SL_EUlSZ_E_NS1_11comp_targetILNS1_3genE6ELNS1_11target_archE950ELNS1_3gpuE13ELNS1_3repE0EEENS1_47radix_sort_onesweep_sort_config_static_selectorELNS0_4arch9wavefront6targetE0EEEvSG_.uses_flat_scratch, 0
	.set _ZN7rocprim17ROCPRIM_400000_NS6detail17trampoline_kernelINS0_14default_configENS1_35radix_sort_onesweep_config_selectorIfNS0_10empty_typeEEEZZNS1_29radix_sort_onesweep_iterationIS3_Lb1EPKfPfPS5_SB_mNS0_19identity_decomposerENS1_16block_id_wrapperIjLb1EEEEE10hipError_tT1_PNSt15iterator_traitsISG_E10value_typeET2_T3_PNSH_ISM_E10value_typeET4_T5_PSR_SS_PNS1_23onesweep_lookback_stateEbbT6_jjT7_P12ihipStream_tbENKUlT_T0_SG_SL_E_clIS9_SA_SB_SB_EEDaSZ_S10_SG_SL_EUlSZ_E_NS1_11comp_targetILNS1_3genE6ELNS1_11target_archE950ELNS1_3gpuE13ELNS1_3repE0EEENS1_47radix_sort_onesweep_sort_config_static_selectorELNS0_4arch9wavefront6targetE0EEEvSG_.has_dyn_sized_stack, 0
	.set _ZN7rocprim17ROCPRIM_400000_NS6detail17trampoline_kernelINS0_14default_configENS1_35radix_sort_onesweep_config_selectorIfNS0_10empty_typeEEEZZNS1_29radix_sort_onesweep_iterationIS3_Lb1EPKfPfPS5_SB_mNS0_19identity_decomposerENS1_16block_id_wrapperIjLb1EEEEE10hipError_tT1_PNSt15iterator_traitsISG_E10value_typeET2_T3_PNSH_ISM_E10value_typeET4_T5_PSR_SS_PNS1_23onesweep_lookback_stateEbbT6_jjT7_P12ihipStream_tbENKUlT_T0_SG_SL_E_clIS9_SA_SB_SB_EEDaSZ_S10_SG_SL_EUlSZ_E_NS1_11comp_targetILNS1_3genE6ELNS1_11target_archE950ELNS1_3gpuE13ELNS1_3repE0EEENS1_47radix_sort_onesweep_sort_config_static_selectorELNS0_4arch9wavefront6targetE0EEEvSG_.has_recursion, 0
	.set _ZN7rocprim17ROCPRIM_400000_NS6detail17trampoline_kernelINS0_14default_configENS1_35radix_sort_onesweep_config_selectorIfNS0_10empty_typeEEEZZNS1_29radix_sort_onesweep_iterationIS3_Lb1EPKfPfPS5_SB_mNS0_19identity_decomposerENS1_16block_id_wrapperIjLb1EEEEE10hipError_tT1_PNSt15iterator_traitsISG_E10value_typeET2_T3_PNSH_ISM_E10value_typeET4_T5_PSR_SS_PNS1_23onesweep_lookback_stateEbbT6_jjT7_P12ihipStream_tbENKUlT_T0_SG_SL_E_clIS9_SA_SB_SB_EEDaSZ_S10_SG_SL_EUlSZ_E_NS1_11comp_targetILNS1_3genE6ELNS1_11target_archE950ELNS1_3gpuE13ELNS1_3repE0EEENS1_47radix_sort_onesweep_sort_config_static_selectorELNS0_4arch9wavefront6targetE0EEEvSG_.has_indirect_call, 0
	.section	.AMDGPU.csdata,"",@progbits
; Kernel info:
; codeLenInByte = 0
; TotalNumSgprs: 0
; NumVgprs: 0
; ScratchSize: 0
; MemoryBound: 0
; FloatMode: 240
; IeeeMode: 1
; LDSByteSize: 0 bytes/workgroup (compile time only)
; SGPRBlocks: 0
; VGPRBlocks: 0
; NumSGPRsForWavesPerEU: 1
; NumVGPRsForWavesPerEU: 1
; NamedBarCnt: 0
; Occupancy: 16
; WaveLimiterHint : 0
; COMPUTE_PGM_RSRC2:SCRATCH_EN: 0
; COMPUTE_PGM_RSRC2:USER_SGPR: 2
; COMPUTE_PGM_RSRC2:TRAP_HANDLER: 0
; COMPUTE_PGM_RSRC2:TGID_X_EN: 1
; COMPUTE_PGM_RSRC2:TGID_Y_EN: 0
; COMPUTE_PGM_RSRC2:TGID_Z_EN: 0
; COMPUTE_PGM_RSRC2:TIDIG_COMP_CNT: 0
	.section	.text._ZN7rocprim17ROCPRIM_400000_NS6detail17trampoline_kernelINS0_14default_configENS1_35radix_sort_onesweep_config_selectorIfNS0_10empty_typeEEEZZNS1_29radix_sort_onesweep_iterationIS3_Lb1EPKfPfPS5_SB_mNS0_19identity_decomposerENS1_16block_id_wrapperIjLb1EEEEE10hipError_tT1_PNSt15iterator_traitsISG_E10value_typeET2_T3_PNSH_ISM_E10value_typeET4_T5_PSR_SS_PNS1_23onesweep_lookback_stateEbbT6_jjT7_P12ihipStream_tbENKUlT_T0_SG_SL_E_clIS9_SA_SB_SB_EEDaSZ_S10_SG_SL_EUlSZ_E_NS1_11comp_targetILNS1_3genE5ELNS1_11target_archE942ELNS1_3gpuE9ELNS1_3repE0EEENS1_47radix_sort_onesweep_sort_config_static_selectorELNS0_4arch9wavefront6targetE0EEEvSG_,"axG",@progbits,_ZN7rocprim17ROCPRIM_400000_NS6detail17trampoline_kernelINS0_14default_configENS1_35radix_sort_onesweep_config_selectorIfNS0_10empty_typeEEEZZNS1_29radix_sort_onesweep_iterationIS3_Lb1EPKfPfPS5_SB_mNS0_19identity_decomposerENS1_16block_id_wrapperIjLb1EEEEE10hipError_tT1_PNSt15iterator_traitsISG_E10value_typeET2_T3_PNSH_ISM_E10value_typeET4_T5_PSR_SS_PNS1_23onesweep_lookback_stateEbbT6_jjT7_P12ihipStream_tbENKUlT_T0_SG_SL_E_clIS9_SA_SB_SB_EEDaSZ_S10_SG_SL_EUlSZ_E_NS1_11comp_targetILNS1_3genE5ELNS1_11target_archE942ELNS1_3gpuE9ELNS1_3repE0EEENS1_47radix_sort_onesweep_sort_config_static_selectorELNS0_4arch9wavefront6targetE0EEEvSG_,comdat
	.protected	_ZN7rocprim17ROCPRIM_400000_NS6detail17trampoline_kernelINS0_14default_configENS1_35radix_sort_onesweep_config_selectorIfNS0_10empty_typeEEEZZNS1_29radix_sort_onesweep_iterationIS3_Lb1EPKfPfPS5_SB_mNS0_19identity_decomposerENS1_16block_id_wrapperIjLb1EEEEE10hipError_tT1_PNSt15iterator_traitsISG_E10value_typeET2_T3_PNSH_ISM_E10value_typeET4_T5_PSR_SS_PNS1_23onesweep_lookback_stateEbbT6_jjT7_P12ihipStream_tbENKUlT_T0_SG_SL_E_clIS9_SA_SB_SB_EEDaSZ_S10_SG_SL_EUlSZ_E_NS1_11comp_targetILNS1_3genE5ELNS1_11target_archE942ELNS1_3gpuE9ELNS1_3repE0EEENS1_47radix_sort_onesweep_sort_config_static_selectorELNS0_4arch9wavefront6targetE0EEEvSG_ ; -- Begin function _ZN7rocprim17ROCPRIM_400000_NS6detail17trampoline_kernelINS0_14default_configENS1_35radix_sort_onesweep_config_selectorIfNS0_10empty_typeEEEZZNS1_29radix_sort_onesweep_iterationIS3_Lb1EPKfPfPS5_SB_mNS0_19identity_decomposerENS1_16block_id_wrapperIjLb1EEEEE10hipError_tT1_PNSt15iterator_traitsISG_E10value_typeET2_T3_PNSH_ISM_E10value_typeET4_T5_PSR_SS_PNS1_23onesweep_lookback_stateEbbT6_jjT7_P12ihipStream_tbENKUlT_T0_SG_SL_E_clIS9_SA_SB_SB_EEDaSZ_S10_SG_SL_EUlSZ_E_NS1_11comp_targetILNS1_3genE5ELNS1_11target_archE942ELNS1_3gpuE9ELNS1_3repE0EEENS1_47radix_sort_onesweep_sort_config_static_selectorELNS0_4arch9wavefront6targetE0EEEvSG_
	.globl	_ZN7rocprim17ROCPRIM_400000_NS6detail17trampoline_kernelINS0_14default_configENS1_35radix_sort_onesweep_config_selectorIfNS0_10empty_typeEEEZZNS1_29radix_sort_onesweep_iterationIS3_Lb1EPKfPfPS5_SB_mNS0_19identity_decomposerENS1_16block_id_wrapperIjLb1EEEEE10hipError_tT1_PNSt15iterator_traitsISG_E10value_typeET2_T3_PNSH_ISM_E10value_typeET4_T5_PSR_SS_PNS1_23onesweep_lookback_stateEbbT6_jjT7_P12ihipStream_tbENKUlT_T0_SG_SL_E_clIS9_SA_SB_SB_EEDaSZ_S10_SG_SL_EUlSZ_E_NS1_11comp_targetILNS1_3genE5ELNS1_11target_archE942ELNS1_3gpuE9ELNS1_3repE0EEENS1_47radix_sort_onesweep_sort_config_static_selectorELNS0_4arch9wavefront6targetE0EEEvSG_
	.p2align	8
	.type	_ZN7rocprim17ROCPRIM_400000_NS6detail17trampoline_kernelINS0_14default_configENS1_35radix_sort_onesweep_config_selectorIfNS0_10empty_typeEEEZZNS1_29radix_sort_onesweep_iterationIS3_Lb1EPKfPfPS5_SB_mNS0_19identity_decomposerENS1_16block_id_wrapperIjLb1EEEEE10hipError_tT1_PNSt15iterator_traitsISG_E10value_typeET2_T3_PNSH_ISM_E10value_typeET4_T5_PSR_SS_PNS1_23onesweep_lookback_stateEbbT6_jjT7_P12ihipStream_tbENKUlT_T0_SG_SL_E_clIS9_SA_SB_SB_EEDaSZ_S10_SG_SL_EUlSZ_E_NS1_11comp_targetILNS1_3genE5ELNS1_11target_archE942ELNS1_3gpuE9ELNS1_3repE0EEENS1_47radix_sort_onesweep_sort_config_static_selectorELNS0_4arch9wavefront6targetE0EEEvSG_,@function
_ZN7rocprim17ROCPRIM_400000_NS6detail17trampoline_kernelINS0_14default_configENS1_35radix_sort_onesweep_config_selectorIfNS0_10empty_typeEEEZZNS1_29radix_sort_onesweep_iterationIS3_Lb1EPKfPfPS5_SB_mNS0_19identity_decomposerENS1_16block_id_wrapperIjLb1EEEEE10hipError_tT1_PNSt15iterator_traitsISG_E10value_typeET2_T3_PNSH_ISM_E10value_typeET4_T5_PSR_SS_PNS1_23onesweep_lookback_stateEbbT6_jjT7_P12ihipStream_tbENKUlT_T0_SG_SL_E_clIS9_SA_SB_SB_EEDaSZ_S10_SG_SL_EUlSZ_E_NS1_11comp_targetILNS1_3genE5ELNS1_11target_archE942ELNS1_3gpuE9ELNS1_3repE0EEENS1_47radix_sort_onesweep_sort_config_static_selectorELNS0_4arch9wavefront6targetE0EEEvSG_: ; @_ZN7rocprim17ROCPRIM_400000_NS6detail17trampoline_kernelINS0_14default_configENS1_35radix_sort_onesweep_config_selectorIfNS0_10empty_typeEEEZZNS1_29radix_sort_onesweep_iterationIS3_Lb1EPKfPfPS5_SB_mNS0_19identity_decomposerENS1_16block_id_wrapperIjLb1EEEEE10hipError_tT1_PNSt15iterator_traitsISG_E10value_typeET2_T3_PNSH_ISM_E10value_typeET4_T5_PSR_SS_PNS1_23onesweep_lookback_stateEbbT6_jjT7_P12ihipStream_tbENKUlT_T0_SG_SL_E_clIS9_SA_SB_SB_EEDaSZ_S10_SG_SL_EUlSZ_E_NS1_11comp_targetILNS1_3genE5ELNS1_11target_archE942ELNS1_3gpuE9ELNS1_3repE0EEENS1_47radix_sort_onesweep_sort_config_static_selectorELNS0_4arch9wavefront6targetE0EEEvSG_
; %bb.0:
	.section	.rodata,"a",@progbits
	.p2align	6, 0x0
	.amdhsa_kernel _ZN7rocprim17ROCPRIM_400000_NS6detail17trampoline_kernelINS0_14default_configENS1_35radix_sort_onesweep_config_selectorIfNS0_10empty_typeEEEZZNS1_29radix_sort_onesweep_iterationIS3_Lb1EPKfPfPS5_SB_mNS0_19identity_decomposerENS1_16block_id_wrapperIjLb1EEEEE10hipError_tT1_PNSt15iterator_traitsISG_E10value_typeET2_T3_PNSH_ISM_E10value_typeET4_T5_PSR_SS_PNS1_23onesweep_lookback_stateEbbT6_jjT7_P12ihipStream_tbENKUlT_T0_SG_SL_E_clIS9_SA_SB_SB_EEDaSZ_S10_SG_SL_EUlSZ_E_NS1_11comp_targetILNS1_3genE5ELNS1_11target_archE942ELNS1_3gpuE9ELNS1_3repE0EEENS1_47radix_sort_onesweep_sort_config_static_selectorELNS0_4arch9wavefront6targetE0EEEvSG_
		.amdhsa_group_segment_fixed_size 0
		.amdhsa_private_segment_fixed_size 0
		.amdhsa_kernarg_size 88
		.amdhsa_user_sgpr_count 2
		.amdhsa_user_sgpr_dispatch_ptr 0
		.amdhsa_user_sgpr_queue_ptr 0
		.amdhsa_user_sgpr_kernarg_segment_ptr 1
		.amdhsa_user_sgpr_dispatch_id 0
		.amdhsa_user_sgpr_kernarg_preload_length 0
		.amdhsa_user_sgpr_kernarg_preload_offset 0
		.amdhsa_user_sgpr_private_segment_size 0
		.amdhsa_wavefront_size32 1
		.amdhsa_uses_dynamic_stack 0
		.amdhsa_enable_private_segment 0
		.amdhsa_system_sgpr_workgroup_id_x 1
		.amdhsa_system_sgpr_workgroup_id_y 0
		.amdhsa_system_sgpr_workgroup_id_z 0
		.amdhsa_system_sgpr_workgroup_info 0
		.amdhsa_system_vgpr_workitem_id 0
		.amdhsa_next_free_vgpr 1
		.amdhsa_next_free_sgpr 1
		.amdhsa_named_barrier_count 0
		.amdhsa_reserve_vcc 0
		.amdhsa_float_round_mode_32 0
		.amdhsa_float_round_mode_16_64 0
		.amdhsa_float_denorm_mode_32 3
		.amdhsa_float_denorm_mode_16_64 3
		.amdhsa_fp16_overflow 0
		.amdhsa_memory_ordered 1
		.amdhsa_forward_progress 1
		.amdhsa_inst_pref_size 0
		.amdhsa_round_robin_scheduling 0
		.amdhsa_exception_fp_ieee_invalid_op 0
		.amdhsa_exception_fp_denorm_src 0
		.amdhsa_exception_fp_ieee_div_zero 0
		.amdhsa_exception_fp_ieee_overflow 0
		.amdhsa_exception_fp_ieee_underflow 0
		.amdhsa_exception_fp_ieee_inexact 0
		.amdhsa_exception_int_div_zero 0
	.end_amdhsa_kernel
	.section	.text._ZN7rocprim17ROCPRIM_400000_NS6detail17trampoline_kernelINS0_14default_configENS1_35radix_sort_onesweep_config_selectorIfNS0_10empty_typeEEEZZNS1_29radix_sort_onesweep_iterationIS3_Lb1EPKfPfPS5_SB_mNS0_19identity_decomposerENS1_16block_id_wrapperIjLb1EEEEE10hipError_tT1_PNSt15iterator_traitsISG_E10value_typeET2_T3_PNSH_ISM_E10value_typeET4_T5_PSR_SS_PNS1_23onesweep_lookback_stateEbbT6_jjT7_P12ihipStream_tbENKUlT_T0_SG_SL_E_clIS9_SA_SB_SB_EEDaSZ_S10_SG_SL_EUlSZ_E_NS1_11comp_targetILNS1_3genE5ELNS1_11target_archE942ELNS1_3gpuE9ELNS1_3repE0EEENS1_47radix_sort_onesweep_sort_config_static_selectorELNS0_4arch9wavefront6targetE0EEEvSG_,"axG",@progbits,_ZN7rocprim17ROCPRIM_400000_NS6detail17trampoline_kernelINS0_14default_configENS1_35radix_sort_onesweep_config_selectorIfNS0_10empty_typeEEEZZNS1_29radix_sort_onesweep_iterationIS3_Lb1EPKfPfPS5_SB_mNS0_19identity_decomposerENS1_16block_id_wrapperIjLb1EEEEE10hipError_tT1_PNSt15iterator_traitsISG_E10value_typeET2_T3_PNSH_ISM_E10value_typeET4_T5_PSR_SS_PNS1_23onesweep_lookback_stateEbbT6_jjT7_P12ihipStream_tbENKUlT_T0_SG_SL_E_clIS9_SA_SB_SB_EEDaSZ_S10_SG_SL_EUlSZ_E_NS1_11comp_targetILNS1_3genE5ELNS1_11target_archE942ELNS1_3gpuE9ELNS1_3repE0EEENS1_47radix_sort_onesweep_sort_config_static_selectorELNS0_4arch9wavefront6targetE0EEEvSG_,comdat
.Lfunc_end1321:
	.size	_ZN7rocprim17ROCPRIM_400000_NS6detail17trampoline_kernelINS0_14default_configENS1_35radix_sort_onesweep_config_selectorIfNS0_10empty_typeEEEZZNS1_29radix_sort_onesweep_iterationIS3_Lb1EPKfPfPS5_SB_mNS0_19identity_decomposerENS1_16block_id_wrapperIjLb1EEEEE10hipError_tT1_PNSt15iterator_traitsISG_E10value_typeET2_T3_PNSH_ISM_E10value_typeET4_T5_PSR_SS_PNS1_23onesweep_lookback_stateEbbT6_jjT7_P12ihipStream_tbENKUlT_T0_SG_SL_E_clIS9_SA_SB_SB_EEDaSZ_S10_SG_SL_EUlSZ_E_NS1_11comp_targetILNS1_3genE5ELNS1_11target_archE942ELNS1_3gpuE9ELNS1_3repE0EEENS1_47radix_sort_onesweep_sort_config_static_selectorELNS0_4arch9wavefront6targetE0EEEvSG_, .Lfunc_end1321-_ZN7rocprim17ROCPRIM_400000_NS6detail17trampoline_kernelINS0_14default_configENS1_35radix_sort_onesweep_config_selectorIfNS0_10empty_typeEEEZZNS1_29radix_sort_onesweep_iterationIS3_Lb1EPKfPfPS5_SB_mNS0_19identity_decomposerENS1_16block_id_wrapperIjLb1EEEEE10hipError_tT1_PNSt15iterator_traitsISG_E10value_typeET2_T3_PNSH_ISM_E10value_typeET4_T5_PSR_SS_PNS1_23onesweep_lookback_stateEbbT6_jjT7_P12ihipStream_tbENKUlT_T0_SG_SL_E_clIS9_SA_SB_SB_EEDaSZ_S10_SG_SL_EUlSZ_E_NS1_11comp_targetILNS1_3genE5ELNS1_11target_archE942ELNS1_3gpuE9ELNS1_3repE0EEENS1_47radix_sort_onesweep_sort_config_static_selectorELNS0_4arch9wavefront6targetE0EEEvSG_
                                        ; -- End function
	.set _ZN7rocprim17ROCPRIM_400000_NS6detail17trampoline_kernelINS0_14default_configENS1_35radix_sort_onesweep_config_selectorIfNS0_10empty_typeEEEZZNS1_29radix_sort_onesweep_iterationIS3_Lb1EPKfPfPS5_SB_mNS0_19identity_decomposerENS1_16block_id_wrapperIjLb1EEEEE10hipError_tT1_PNSt15iterator_traitsISG_E10value_typeET2_T3_PNSH_ISM_E10value_typeET4_T5_PSR_SS_PNS1_23onesweep_lookback_stateEbbT6_jjT7_P12ihipStream_tbENKUlT_T0_SG_SL_E_clIS9_SA_SB_SB_EEDaSZ_S10_SG_SL_EUlSZ_E_NS1_11comp_targetILNS1_3genE5ELNS1_11target_archE942ELNS1_3gpuE9ELNS1_3repE0EEENS1_47radix_sort_onesweep_sort_config_static_selectorELNS0_4arch9wavefront6targetE0EEEvSG_.num_vgpr, 0
	.set _ZN7rocprim17ROCPRIM_400000_NS6detail17trampoline_kernelINS0_14default_configENS1_35radix_sort_onesweep_config_selectorIfNS0_10empty_typeEEEZZNS1_29radix_sort_onesweep_iterationIS3_Lb1EPKfPfPS5_SB_mNS0_19identity_decomposerENS1_16block_id_wrapperIjLb1EEEEE10hipError_tT1_PNSt15iterator_traitsISG_E10value_typeET2_T3_PNSH_ISM_E10value_typeET4_T5_PSR_SS_PNS1_23onesweep_lookback_stateEbbT6_jjT7_P12ihipStream_tbENKUlT_T0_SG_SL_E_clIS9_SA_SB_SB_EEDaSZ_S10_SG_SL_EUlSZ_E_NS1_11comp_targetILNS1_3genE5ELNS1_11target_archE942ELNS1_3gpuE9ELNS1_3repE0EEENS1_47radix_sort_onesweep_sort_config_static_selectorELNS0_4arch9wavefront6targetE0EEEvSG_.num_agpr, 0
	.set _ZN7rocprim17ROCPRIM_400000_NS6detail17trampoline_kernelINS0_14default_configENS1_35radix_sort_onesweep_config_selectorIfNS0_10empty_typeEEEZZNS1_29radix_sort_onesweep_iterationIS3_Lb1EPKfPfPS5_SB_mNS0_19identity_decomposerENS1_16block_id_wrapperIjLb1EEEEE10hipError_tT1_PNSt15iterator_traitsISG_E10value_typeET2_T3_PNSH_ISM_E10value_typeET4_T5_PSR_SS_PNS1_23onesweep_lookback_stateEbbT6_jjT7_P12ihipStream_tbENKUlT_T0_SG_SL_E_clIS9_SA_SB_SB_EEDaSZ_S10_SG_SL_EUlSZ_E_NS1_11comp_targetILNS1_3genE5ELNS1_11target_archE942ELNS1_3gpuE9ELNS1_3repE0EEENS1_47radix_sort_onesweep_sort_config_static_selectorELNS0_4arch9wavefront6targetE0EEEvSG_.numbered_sgpr, 0
	.set _ZN7rocprim17ROCPRIM_400000_NS6detail17trampoline_kernelINS0_14default_configENS1_35radix_sort_onesweep_config_selectorIfNS0_10empty_typeEEEZZNS1_29radix_sort_onesweep_iterationIS3_Lb1EPKfPfPS5_SB_mNS0_19identity_decomposerENS1_16block_id_wrapperIjLb1EEEEE10hipError_tT1_PNSt15iterator_traitsISG_E10value_typeET2_T3_PNSH_ISM_E10value_typeET4_T5_PSR_SS_PNS1_23onesweep_lookback_stateEbbT6_jjT7_P12ihipStream_tbENKUlT_T0_SG_SL_E_clIS9_SA_SB_SB_EEDaSZ_S10_SG_SL_EUlSZ_E_NS1_11comp_targetILNS1_3genE5ELNS1_11target_archE942ELNS1_3gpuE9ELNS1_3repE0EEENS1_47radix_sort_onesweep_sort_config_static_selectorELNS0_4arch9wavefront6targetE0EEEvSG_.num_named_barrier, 0
	.set _ZN7rocprim17ROCPRIM_400000_NS6detail17trampoline_kernelINS0_14default_configENS1_35radix_sort_onesweep_config_selectorIfNS0_10empty_typeEEEZZNS1_29radix_sort_onesweep_iterationIS3_Lb1EPKfPfPS5_SB_mNS0_19identity_decomposerENS1_16block_id_wrapperIjLb1EEEEE10hipError_tT1_PNSt15iterator_traitsISG_E10value_typeET2_T3_PNSH_ISM_E10value_typeET4_T5_PSR_SS_PNS1_23onesweep_lookback_stateEbbT6_jjT7_P12ihipStream_tbENKUlT_T0_SG_SL_E_clIS9_SA_SB_SB_EEDaSZ_S10_SG_SL_EUlSZ_E_NS1_11comp_targetILNS1_3genE5ELNS1_11target_archE942ELNS1_3gpuE9ELNS1_3repE0EEENS1_47radix_sort_onesweep_sort_config_static_selectorELNS0_4arch9wavefront6targetE0EEEvSG_.private_seg_size, 0
	.set _ZN7rocprim17ROCPRIM_400000_NS6detail17trampoline_kernelINS0_14default_configENS1_35radix_sort_onesweep_config_selectorIfNS0_10empty_typeEEEZZNS1_29radix_sort_onesweep_iterationIS3_Lb1EPKfPfPS5_SB_mNS0_19identity_decomposerENS1_16block_id_wrapperIjLb1EEEEE10hipError_tT1_PNSt15iterator_traitsISG_E10value_typeET2_T3_PNSH_ISM_E10value_typeET4_T5_PSR_SS_PNS1_23onesweep_lookback_stateEbbT6_jjT7_P12ihipStream_tbENKUlT_T0_SG_SL_E_clIS9_SA_SB_SB_EEDaSZ_S10_SG_SL_EUlSZ_E_NS1_11comp_targetILNS1_3genE5ELNS1_11target_archE942ELNS1_3gpuE9ELNS1_3repE0EEENS1_47radix_sort_onesweep_sort_config_static_selectorELNS0_4arch9wavefront6targetE0EEEvSG_.uses_vcc, 0
	.set _ZN7rocprim17ROCPRIM_400000_NS6detail17trampoline_kernelINS0_14default_configENS1_35radix_sort_onesweep_config_selectorIfNS0_10empty_typeEEEZZNS1_29radix_sort_onesweep_iterationIS3_Lb1EPKfPfPS5_SB_mNS0_19identity_decomposerENS1_16block_id_wrapperIjLb1EEEEE10hipError_tT1_PNSt15iterator_traitsISG_E10value_typeET2_T3_PNSH_ISM_E10value_typeET4_T5_PSR_SS_PNS1_23onesweep_lookback_stateEbbT6_jjT7_P12ihipStream_tbENKUlT_T0_SG_SL_E_clIS9_SA_SB_SB_EEDaSZ_S10_SG_SL_EUlSZ_E_NS1_11comp_targetILNS1_3genE5ELNS1_11target_archE942ELNS1_3gpuE9ELNS1_3repE0EEENS1_47radix_sort_onesweep_sort_config_static_selectorELNS0_4arch9wavefront6targetE0EEEvSG_.uses_flat_scratch, 0
	.set _ZN7rocprim17ROCPRIM_400000_NS6detail17trampoline_kernelINS0_14default_configENS1_35radix_sort_onesweep_config_selectorIfNS0_10empty_typeEEEZZNS1_29radix_sort_onesweep_iterationIS3_Lb1EPKfPfPS5_SB_mNS0_19identity_decomposerENS1_16block_id_wrapperIjLb1EEEEE10hipError_tT1_PNSt15iterator_traitsISG_E10value_typeET2_T3_PNSH_ISM_E10value_typeET4_T5_PSR_SS_PNS1_23onesweep_lookback_stateEbbT6_jjT7_P12ihipStream_tbENKUlT_T0_SG_SL_E_clIS9_SA_SB_SB_EEDaSZ_S10_SG_SL_EUlSZ_E_NS1_11comp_targetILNS1_3genE5ELNS1_11target_archE942ELNS1_3gpuE9ELNS1_3repE0EEENS1_47radix_sort_onesweep_sort_config_static_selectorELNS0_4arch9wavefront6targetE0EEEvSG_.has_dyn_sized_stack, 0
	.set _ZN7rocprim17ROCPRIM_400000_NS6detail17trampoline_kernelINS0_14default_configENS1_35radix_sort_onesweep_config_selectorIfNS0_10empty_typeEEEZZNS1_29radix_sort_onesweep_iterationIS3_Lb1EPKfPfPS5_SB_mNS0_19identity_decomposerENS1_16block_id_wrapperIjLb1EEEEE10hipError_tT1_PNSt15iterator_traitsISG_E10value_typeET2_T3_PNSH_ISM_E10value_typeET4_T5_PSR_SS_PNS1_23onesweep_lookback_stateEbbT6_jjT7_P12ihipStream_tbENKUlT_T0_SG_SL_E_clIS9_SA_SB_SB_EEDaSZ_S10_SG_SL_EUlSZ_E_NS1_11comp_targetILNS1_3genE5ELNS1_11target_archE942ELNS1_3gpuE9ELNS1_3repE0EEENS1_47radix_sort_onesweep_sort_config_static_selectorELNS0_4arch9wavefront6targetE0EEEvSG_.has_recursion, 0
	.set _ZN7rocprim17ROCPRIM_400000_NS6detail17trampoline_kernelINS0_14default_configENS1_35radix_sort_onesweep_config_selectorIfNS0_10empty_typeEEEZZNS1_29radix_sort_onesweep_iterationIS3_Lb1EPKfPfPS5_SB_mNS0_19identity_decomposerENS1_16block_id_wrapperIjLb1EEEEE10hipError_tT1_PNSt15iterator_traitsISG_E10value_typeET2_T3_PNSH_ISM_E10value_typeET4_T5_PSR_SS_PNS1_23onesweep_lookback_stateEbbT6_jjT7_P12ihipStream_tbENKUlT_T0_SG_SL_E_clIS9_SA_SB_SB_EEDaSZ_S10_SG_SL_EUlSZ_E_NS1_11comp_targetILNS1_3genE5ELNS1_11target_archE942ELNS1_3gpuE9ELNS1_3repE0EEENS1_47radix_sort_onesweep_sort_config_static_selectorELNS0_4arch9wavefront6targetE0EEEvSG_.has_indirect_call, 0
	.section	.AMDGPU.csdata,"",@progbits
; Kernel info:
; codeLenInByte = 0
; TotalNumSgprs: 0
; NumVgprs: 0
; ScratchSize: 0
; MemoryBound: 0
; FloatMode: 240
; IeeeMode: 1
; LDSByteSize: 0 bytes/workgroup (compile time only)
; SGPRBlocks: 0
; VGPRBlocks: 0
; NumSGPRsForWavesPerEU: 1
; NumVGPRsForWavesPerEU: 1
; NamedBarCnt: 0
; Occupancy: 16
; WaveLimiterHint : 0
; COMPUTE_PGM_RSRC2:SCRATCH_EN: 0
; COMPUTE_PGM_RSRC2:USER_SGPR: 2
; COMPUTE_PGM_RSRC2:TRAP_HANDLER: 0
; COMPUTE_PGM_RSRC2:TGID_X_EN: 1
; COMPUTE_PGM_RSRC2:TGID_Y_EN: 0
; COMPUTE_PGM_RSRC2:TGID_Z_EN: 0
; COMPUTE_PGM_RSRC2:TIDIG_COMP_CNT: 0
	.section	.text._ZN7rocprim17ROCPRIM_400000_NS6detail17trampoline_kernelINS0_14default_configENS1_35radix_sort_onesweep_config_selectorIfNS0_10empty_typeEEEZZNS1_29radix_sort_onesweep_iterationIS3_Lb1EPKfPfPS5_SB_mNS0_19identity_decomposerENS1_16block_id_wrapperIjLb1EEEEE10hipError_tT1_PNSt15iterator_traitsISG_E10value_typeET2_T3_PNSH_ISM_E10value_typeET4_T5_PSR_SS_PNS1_23onesweep_lookback_stateEbbT6_jjT7_P12ihipStream_tbENKUlT_T0_SG_SL_E_clIS9_SA_SB_SB_EEDaSZ_S10_SG_SL_EUlSZ_E_NS1_11comp_targetILNS1_3genE2ELNS1_11target_archE906ELNS1_3gpuE6ELNS1_3repE0EEENS1_47radix_sort_onesweep_sort_config_static_selectorELNS0_4arch9wavefront6targetE0EEEvSG_,"axG",@progbits,_ZN7rocprim17ROCPRIM_400000_NS6detail17trampoline_kernelINS0_14default_configENS1_35radix_sort_onesweep_config_selectorIfNS0_10empty_typeEEEZZNS1_29radix_sort_onesweep_iterationIS3_Lb1EPKfPfPS5_SB_mNS0_19identity_decomposerENS1_16block_id_wrapperIjLb1EEEEE10hipError_tT1_PNSt15iterator_traitsISG_E10value_typeET2_T3_PNSH_ISM_E10value_typeET4_T5_PSR_SS_PNS1_23onesweep_lookback_stateEbbT6_jjT7_P12ihipStream_tbENKUlT_T0_SG_SL_E_clIS9_SA_SB_SB_EEDaSZ_S10_SG_SL_EUlSZ_E_NS1_11comp_targetILNS1_3genE2ELNS1_11target_archE906ELNS1_3gpuE6ELNS1_3repE0EEENS1_47radix_sort_onesweep_sort_config_static_selectorELNS0_4arch9wavefront6targetE0EEEvSG_,comdat
	.protected	_ZN7rocprim17ROCPRIM_400000_NS6detail17trampoline_kernelINS0_14default_configENS1_35radix_sort_onesweep_config_selectorIfNS0_10empty_typeEEEZZNS1_29radix_sort_onesweep_iterationIS3_Lb1EPKfPfPS5_SB_mNS0_19identity_decomposerENS1_16block_id_wrapperIjLb1EEEEE10hipError_tT1_PNSt15iterator_traitsISG_E10value_typeET2_T3_PNSH_ISM_E10value_typeET4_T5_PSR_SS_PNS1_23onesweep_lookback_stateEbbT6_jjT7_P12ihipStream_tbENKUlT_T0_SG_SL_E_clIS9_SA_SB_SB_EEDaSZ_S10_SG_SL_EUlSZ_E_NS1_11comp_targetILNS1_3genE2ELNS1_11target_archE906ELNS1_3gpuE6ELNS1_3repE0EEENS1_47radix_sort_onesweep_sort_config_static_selectorELNS0_4arch9wavefront6targetE0EEEvSG_ ; -- Begin function _ZN7rocprim17ROCPRIM_400000_NS6detail17trampoline_kernelINS0_14default_configENS1_35radix_sort_onesweep_config_selectorIfNS0_10empty_typeEEEZZNS1_29radix_sort_onesweep_iterationIS3_Lb1EPKfPfPS5_SB_mNS0_19identity_decomposerENS1_16block_id_wrapperIjLb1EEEEE10hipError_tT1_PNSt15iterator_traitsISG_E10value_typeET2_T3_PNSH_ISM_E10value_typeET4_T5_PSR_SS_PNS1_23onesweep_lookback_stateEbbT6_jjT7_P12ihipStream_tbENKUlT_T0_SG_SL_E_clIS9_SA_SB_SB_EEDaSZ_S10_SG_SL_EUlSZ_E_NS1_11comp_targetILNS1_3genE2ELNS1_11target_archE906ELNS1_3gpuE6ELNS1_3repE0EEENS1_47radix_sort_onesweep_sort_config_static_selectorELNS0_4arch9wavefront6targetE0EEEvSG_
	.globl	_ZN7rocprim17ROCPRIM_400000_NS6detail17trampoline_kernelINS0_14default_configENS1_35radix_sort_onesweep_config_selectorIfNS0_10empty_typeEEEZZNS1_29radix_sort_onesweep_iterationIS3_Lb1EPKfPfPS5_SB_mNS0_19identity_decomposerENS1_16block_id_wrapperIjLb1EEEEE10hipError_tT1_PNSt15iterator_traitsISG_E10value_typeET2_T3_PNSH_ISM_E10value_typeET4_T5_PSR_SS_PNS1_23onesweep_lookback_stateEbbT6_jjT7_P12ihipStream_tbENKUlT_T0_SG_SL_E_clIS9_SA_SB_SB_EEDaSZ_S10_SG_SL_EUlSZ_E_NS1_11comp_targetILNS1_3genE2ELNS1_11target_archE906ELNS1_3gpuE6ELNS1_3repE0EEENS1_47radix_sort_onesweep_sort_config_static_selectorELNS0_4arch9wavefront6targetE0EEEvSG_
	.p2align	8
	.type	_ZN7rocprim17ROCPRIM_400000_NS6detail17trampoline_kernelINS0_14default_configENS1_35radix_sort_onesweep_config_selectorIfNS0_10empty_typeEEEZZNS1_29radix_sort_onesweep_iterationIS3_Lb1EPKfPfPS5_SB_mNS0_19identity_decomposerENS1_16block_id_wrapperIjLb1EEEEE10hipError_tT1_PNSt15iterator_traitsISG_E10value_typeET2_T3_PNSH_ISM_E10value_typeET4_T5_PSR_SS_PNS1_23onesweep_lookback_stateEbbT6_jjT7_P12ihipStream_tbENKUlT_T0_SG_SL_E_clIS9_SA_SB_SB_EEDaSZ_S10_SG_SL_EUlSZ_E_NS1_11comp_targetILNS1_3genE2ELNS1_11target_archE906ELNS1_3gpuE6ELNS1_3repE0EEENS1_47radix_sort_onesweep_sort_config_static_selectorELNS0_4arch9wavefront6targetE0EEEvSG_,@function
_ZN7rocprim17ROCPRIM_400000_NS6detail17trampoline_kernelINS0_14default_configENS1_35radix_sort_onesweep_config_selectorIfNS0_10empty_typeEEEZZNS1_29radix_sort_onesweep_iterationIS3_Lb1EPKfPfPS5_SB_mNS0_19identity_decomposerENS1_16block_id_wrapperIjLb1EEEEE10hipError_tT1_PNSt15iterator_traitsISG_E10value_typeET2_T3_PNSH_ISM_E10value_typeET4_T5_PSR_SS_PNS1_23onesweep_lookback_stateEbbT6_jjT7_P12ihipStream_tbENKUlT_T0_SG_SL_E_clIS9_SA_SB_SB_EEDaSZ_S10_SG_SL_EUlSZ_E_NS1_11comp_targetILNS1_3genE2ELNS1_11target_archE906ELNS1_3gpuE6ELNS1_3repE0EEENS1_47radix_sort_onesweep_sort_config_static_selectorELNS0_4arch9wavefront6targetE0EEEvSG_: ; @_ZN7rocprim17ROCPRIM_400000_NS6detail17trampoline_kernelINS0_14default_configENS1_35radix_sort_onesweep_config_selectorIfNS0_10empty_typeEEEZZNS1_29radix_sort_onesweep_iterationIS3_Lb1EPKfPfPS5_SB_mNS0_19identity_decomposerENS1_16block_id_wrapperIjLb1EEEEE10hipError_tT1_PNSt15iterator_traitsISG_E10value_typeET2_T3_PNSH_ISM_E10value_typeET4_T5_PSR_SS_PNS1_23onesweep_lookback_stateEbbT6_jjT7_P12ihipStream_tbENKUlT_T0_SG_SL_E_clIS9_SA_SB_SB_EEDaSZ_S10_SG_SL_EUlSZ_E_NS1_11comp_targetILNS1_3genE2ELNS1_11target_archE906ELNS1_3gpuE6ELNS1_3repE0EEENS1_47radix_sort_onesweep_sort_config_static_selectorELNS0_4arch9wavefront6targetE0EEEvSG_
; %bb.0:
	.section	.rodata,"a",@progbits
	.p2align	6, 0x0
	.amdhsa_kernel _ZN7rocprim17ROCPRIM_400000_NS6detail17trampoline_kernelINS0_14default_configENS1_35radix_sort_onesweep_config_selectorIfNS0_10empty_typeEEEZZNS1_29radix_sort_onesweep_iterationIS3_Lb1EPKfPfPS5_SB_mNS0_19identity_decomposerENS1_16block_id_wrapperIjLb1EEEEE10hipError_tT1_PNSt15iterator_traitsISG_E10value_typeET2_T3_PNSH_ISM_E10value_typeET4_T5_PSR_SS_PNS1_23onesweep_lookback_stateEbbT6_jjT7_P12ihipStream_tbENKUlT_T0_SG_SL_E_clIS9_SA_SB_SB_EEDaSZ_S10_SG_SL_EUlSZ_E_NS1_11comp_targetILNS1_3genE2ELNS1_11target_archE906ELNS1_3gpuE6ELNS1_3repE0EEENS1_47radix_sort_onesweep_sort_config_static_selectorELNS0_4arch9wavefront6targetE0EEEvSG_
		.amdhsa_group_segment_fixed_size 0
		.amdhsa_private_segment_fixed_size 0
		.amdhsa_kernarg_size 88
		.amdhsa_user_sgpr_count 2
		.amdhsa_user_sgpr_dispatch_ptr 0
		.amdhsa_user_sgpr_queue_ptr 0
		.amdhsa_user_sgpr_kernarg_segment_ptr 1
		.amdhsa_user_sgpr_dispatch_id 0
		.amdhsa_user_sgpr_kernarg_preload_length 0
		.amdhsa_user_sgpr_kernarg_preload_offset 0
		.amdhsa_user_sgpr_private_segment_size 0
		.amdhsa_wavefront_size32 1
		.amdhsa_uses_dynamic_stack 0
		.amdhsa_enable_private_segment 0
		.amdhsa_system_sgpr_workgroup_id_x 1
		.amdhsa_system_sgpr_workgroup_id_y 0
		.amdhsa_system_sgpr_workgroup_id_z 0
		.amdhsa_system_sgpr_workgroup_info 0
		.amdhsa_system_vgpr_workitem_id 0
		.amdhsa_next_free_vgpr 1
		.amdhsa_next_free_sgpr 1
		.amdhsa_named_barrier_count 0
		.amdhsa_reserve_vcc 0
		.amdhsa_float_round_mode_32 0
		.amdhsa_float_round_mode_16_64 0
		.amdhsa_float_denorm_mode_32 3
		.amdhsa_float_denorm_mode_16_64 3
		.amdhsa_fp16_overflow 0
		.amdhsa_memory_ordered 1
		.amdhsa_forward_progress 1
		.amdhsa_inst_pref_size 0
		.amdhsa_round_robin_scheduling 0
		.amdhsa_exception_fp_ieee_invalid_op 0
		.amdhsa_exception_fp_denorm_src 0
		.amdhsa_exception_fp_ieee_div_zero 0
		.amdhsa_exception_fp_ieee_overflow 0
		.amdhsa_exception_fp_ieee_underflow 0
		.amdhsa_exception_fp_ieee_inexact 0
		.amdhsa_exception_int_div_zero 0
	.end_amdhsa_kernel
	.section	.text._ZN7rocprim17ROCPRIM_400000_NS6detail17trampoline_kernelINS0_14default_configENS1_35radix_sort_onesweep_config_selectorIfNS0_10empty_typeEEEZZNS1_29radix_sort_onesweep_iterationIS3_Lb1EPKfPfPS5_SB_mNS0_19identity_decomposerENS1_16block_id_wrapperIjLb1EEEEE10hipError_tT1_PNSt15iterator_traitsISG_E10value_typeET2_T3_PNSH_ISM_E10value_typeET4_T5_PSR_SS_PNS1_23onesweep_lookback_stateEbbT6_jjT7_P12ihipStream_tbENKUlT_T0_SG_SL_E_clIS9_SA_SB_SB_EEDaSZ_S10_SG_SL_EUlSZ_E_NS1_11comp_targetILNS1_3genE2ELNS1_11target_archE906ELNS1_3gpuE6ELNS1_3repE0EEENS1_47radix_sort_onesweep_sort_config_static_selectorELNS0_4arch9wavefront6targetE0EEEvSG_,"axG",@progbits,_ZN7rocprim17ROCPRIM_400000_NS6detail17trampoline_kernelINS0_14default_configENS1_35radix_sort_onesweep_config_selectorIfNS0_10empty_typeEEEZZNS1_29radix_sort_onesweep_iterationIS3_Lb1EPKfPfPS5_SB_mNS0_19identity_decomposerENS1_16block_id_wrapperIjLb1EEEEE10hipError_tT1_PNSt15iterator_traitsISG_E10value_typeET2_T3_PNSH_ISM_E10value_typeET4_T5_PSR_SS_PNS1_23onesweep_lookback_stateEbbT6_jjT7_P12ihipStream_tbENKUlT_T0_SG_SL_E_clIS9_SA_SB_SB_EEDaSZ_S10_SG_SL_EUlSZ_E_NS1_11comp_targetILNS1_3genE2ELNS1_11target_archE906ELNS1_3gpuE6ELNS1_3repE0EEENS1_47radix_sort_onesweep_sort_config_static_selectorELNS0_4arch9wavefront6targetE0EEEvSG_,comdat
.Lfunc_end1322:
	.size	_ZN7rocprim17ROCPRIM_400000_NS6detail17trampoline_kernelINS0_14default_configENS1_35radix_sort_onesweep_config_selectorIfNS0_10empty_typeEEEZZNS1_29radix_sort_onesweep_iterationIS3_Lb1EPKfPfPS5_SB_mNS0_19identity_decomposerENS1_16block_id_wrapperIjLb1EEEEE10hipError_tT1_PNSt15iterator_traitsISG_E10value_typeET2_T3_PNSH_ISM_E10value_typeET4_T5_PSR_SS_PNS1_23onesweep_lookback_stateEbbT6_jjT7_P12ihipStream_tbENKUlT_T0_SG_SL_E_clIS9_SA_SB_SB_EEDaSZ_S10_SG_SL_EUlSZ_E_NS1_11comp_targetILNS1_3genE2ELNS1_11target_archE906ELNS1_3gpuE6ELNS1_3repE0EEENS1_47radix_sort_onesweep_sort_config_static_selectorELNS0_4arch9wavefront6targetE0EEEvSG_, .Lfunc_end1322-_ZN7rocprim17ROCPRIM_400000_NS6detail17trampoline_kernelINS0_14default_configENS1_35radix_sort_onesweep_config_selectorIfNS0_10empty_typeEEEZZNS1_29radix_sort_onesweep_iterationIS3_Lb1EPKfPfPS5_SB_mNS0_19identity_decomposerENS1_16block_id_wrapperIjLb1EEEEE10hipError_tT1_PNSt15iterator_traitsISG_E10value_typeET2_T3_PNSH_ISM_E10value_typeET4_T5_PSR_SS_PNS1_23onesweep_lookback_stateEbbT6_jjT7_P12ihipStream_tbENKUlT_T0_SG_SL_E_clIS9_SA_SB_SB_EEDaSZ_S10_SG_SL_EUlSZ_E_NS1_11comp_targetILNS1_3genE2ELNS1_11target_archE906ELNS1_3gpuE6ELNS1_3repE0EEENS1_47radix_sort_onesweep_sort_config_static_selectorELNS0_4arch9wavefront6targetE0EEEvSG_
                                        ; -- End function
	.set _ZN7rocprim17ROCPRIM_400000_NS6detail17trampoline_kernelINS0_14default_configENS1_35radix_sort_onesweep_config_selectorIfNS0_10empty_typeEEEZZNS1_29radix_sort_onesweep_iterationIS3_Lb1EPKfPfPS5_SB_mNS0_19identity_decomposerENS1_16block_id_wrapperIjLb1EEEEE10hipError_tT1_PNSt15iterator_traitsISG_E10value_typeET2_T3_PNSH_ISM_E10value_typeET4_T5_PSR_SS_PNS1_23onesweep_lookback_stateEbbT6_jjT7_P12ihipStream_tbENKUlT_T0_SG_SL_E_clIS9_SA_SB_SB_EEDaSZ_S10_SG_SL_EUlSZ_E_NS1_11comp_targetILNS1_3genE2ELNS1_11target_archE906ELNS1_3gpuE6ELNS1_3repE0EEENS1_47radix_sort_onesweep_sort_config_static_selectorELNS0_4arch9wavefront6targetE0EEEvSG_.num_vgpr, 0
	.set _ZN7rocprim17ROCPRIM_400000_NS6detail17trampoline_kernelINS0_14default_configENS1_35radix_sort_onesweep_config_selectorIfNS0_10empty_typeEEEZZNS1_29radix_sort_onesweep_iterationIS3_Lb1EPKfPfPS5_SB_mNS0_19identity_decomposerENS1_16block_id_wrapperIjLb1EEEEE10hipError_tT1_PNSt15iterator_traitsISG_E10value_typeET2_T3_PNSH_ISM_E10value_typeET4_T5_PSR_SS_PNS1_23onesweep_lookback_stateEbbT6_jjT7_P12ihipStream_tbENKUlT_T0_SG_SL_E_clIS9_SA_SB_SB_EEDaSZ_S10_SG_SL_EUlSZ_E_NS1_11comp_targetILNS1_3genE2ELNS1_11target_archE906ELNS1_3gpuE6ELNS1_3repE0EEENS1_47radix_sort_onesweep_sort_config_static_selectorELNS0_4arch9wavefront6targetE0EEEvSG_.num_agpr, 0
	.set _ZN7rocprim17ROCPRIM_400000_NS6detail17trampoline_kernelINS0_14default_configENS1_35radix_sort_onesweep_config_selectorIfNS0_10empty_typeEEEZZNS1_29radix_sort_onesweep_iterationIS3_Lb1EPKfPfPS5_SB_mNS0_19identity_decomposerENS1_16block_id_wrapperIjLb1EEEEE10hipError_tT1_PNSt15iterator_traitsISG_E10value_typeET2_T3_PNSH_ISM_E10value_typeET4_T5_PSR_SS_PNS1_23onesweep_lookback_stateEbbT6_jjT7_P12ihipStream_tbENKUlT_T0_SG_SL_E_clIS9_SA_SB_SB_EEDaSZ_S10_SG_SL_EUlSZ_E_NS1_11comp_targetILNS1_3genE2ELNS1_11target_archE906ELNS1_3gpuE6ELNS1_3repE0EEENS1_47radix_sort_onesweep_sort_config_static_selectorELNS0_4arch9wavefront6targetE0EEEvSG_.numbered_sgpr, 0
	.set _ZN7rocprim17ROCPRIM_400000_NS6detail17trampoline_kernelINS0_14default_configENS1_35radix_sort_onesweep_config_selectorIfNS0_10empty_typeEEEZZNS1_29radix_sort_onesweep_iterationIS3_Lb1EPKfPfPS5_SB_mNS0_19identity_decomposerENS1_16block_id_wrapperIjLb1EEEEE10hipError_tT1_PNSt15iterator_traitsISG_E10value_typeET2_T3_PNSH_ISM_E10value_typeET4_T5_PSR_SS_PNS1_23onesweep_lookback_stateEbbT6_jjT7_P12ihipStream_tbENKUlT_T0_SG_SL_E_clIS9_SA_SB_SB_EEDaSZ_S10_SG_SL_EUlSZ_E_NS1_11comp_targetILNS1_3genE2ELNS1_11target_archE906ELNS1_3gpuE6ELNS1_3repE0EEENS1_47radix_sort_onesweep_sort_config_static_selectorELNS0_4arch9wavefront6targetE0EEEvSG_.num_named_barrier, 0
	.set _ZN7rocprim17ROCPRIM_400000_NS6detail17trampoline_kernelINS0_14default_configENS1_35radix_sort_onesweep_config_selectorIfNS0_10empty_typeEEEZZNS1_29radix_sort_onesweep_iterationIS3_Lb1EPKfPfPS5_SB_mNS0_19identity_decomposerENS1_16block_id_wrapperIjLb1EEEEE10hipError_tT1_PNSt15iterator_traitsISG_E10value_typeET2_T3_PNSH_ISM_E10value_typeET4_T5_PSR_SS_PNS1_23onesweep_lookback_stateEbbT6_jjT7_P12ihipStream_tbENKUlT_T0_SG_SL_E_clIS9_SA_SB_SB_EEDaSZ_S10_SG_SL_EUlSZ_E_NS1_11comp_targetILNS1_3genE2ELNS1_11target_archE906ELNS1_3gpuE6ELNS1_3repE0EEENS1_47radix_sort_onesweep_sort_config_static_selectorELNS0_4arch9wavefront6targetE0EEEvSG_.private_seg_size, 0
	.set _ZN7rocprim17ROCPRIM_400000_NS6detail17trampoline_kernelINS0_14default_configENS1_35radix_sort_onesweep_config_selectorIfNS0_10empty_typeEEEZZNS1_29radix_sort_onesweep_iterationIS3_Lb1EPKfPfPS5_SB_mNS0_19identity_decomposerENS1_16block_id_wrapperIjLb1EEEEE10hipError_tT1_PNSt15iterator_traitsISG_E10value_typeET2_T3_PNSH_ISM_E10value_typeET4_T5_PSR_SS_PNS1_23onesweep_lookback_stateEbbT6_jjT7_P12ihipStream_tbENKUlT_T0_SG_SL_E_clIS9_SA_SB_SB_EEDaSZ_S10_SG_SL_EUlSZ_E_NS1_11comp_targetILNS1_3genE2ELNS1_11target_archE906ELNS1_3gpuE6ELNS1_3repE0EEENS1_47radix_sort_onesweep_sort_config_static_selectorELNS0_4arch9wavefront6targetE0EEEvSG_.uses_vcc, 0
	.set _ZN7rocprim17ROCPRIM_400000_NS6detail17trampoline_kernelINS0_14default_configENS1_35radix_sort_onesweep_config_selectorIfNS0_10empty_typeEEEZZNS1_29radix_sort_onesweep_iterationIS3_Lb1EPKfPfPS5_SB_mNS0_19identity_decomposerENS1_16block_id_wrapperIjLb1EEEEE10hipError_tT1_PNSt15iterator_traitsISG_E10value_typeET2_T3_PNSH_ISM_E10value_typeET4_T5_PSR_SS_PNS1_23onesweep_lookback_stateEbbT6_jjT7_P12ihipStream_tbENKUlT_T0_SG_SL_E_clIS9_SA_SB_SB_EEDaSZ_S10_SG_SL_EUlSZ_E_NS1_11comp_targetILNS1_3genE2ELNS1_11target_archE906ELNS1_3gpuE6ELNS1_3repE0EEENS1_47radix_sort_onesweep_sort_config_static_selectorELNS0_4arch9wavefront6targetE0EEEvSG_.uses_flat_scratch, 0
	.set _ZN7rocprim17ROCPRIM_400000_NS6detail17trampoline_kernelINS0_14default_configENS1_35radix_sort_onesweep_config_selectorIfNS0_10empty_typeEEEZZNS1_29radix_sort_onesweep_iterationIS3_Lb1EPKfPfPS5_SB_mNS0_19identity_decomposerENS1_16block_id_wrapperIjLb1EEEEE10hipError_tT1_PNSt15iterator_traitsISG_E10value_typeET2_T3_PNSH_ISM_E10value_typeET4_T5_PSR_SS_PNS1_23onesweep_lookback_stateEbbT6_jjT7_P12ihipStream_tbENKUlT_T0_SG_SL_E_clIS9_SA_SB_SB_EEDaSZ_S10_SG_SL_EUlSZ_E_NS1_11comp_targetILNS1_3genE2ELNS1_11target_archE906ELNS1_3gpuE6ELNS1_3repE0EEENS1_47radix_sort_onesweep_sort_config_static_selectorELNS0_4arch9wavefront6targetE0EEEvSG_.has_dyn_sized_stack, 0
	.set _ZN7rocprim17ROCPRIM_400000_NS6detail17trampoline_kernelINS0_14default_configENS1_35radix_sort_onesweep_config_selectorIfNS0_10empty_typeEEEZZNS1_29radix_sort_onesweep_iterationIS3_Lb1EPKfPfPS5_SB_mNS0_19identity_decomposerENS1_16block_id_wrapperIjLb1EEEEE10hipError_tT1_PNSt15iterator_traitsISG_E10value_typeET2_T3_PNSH_ISM_E10value_typeET4_T5_PSR_SS_PNS1_23onesweep_lookback_stateEbbT6_jjT7_P12ihipStream_tbENKUlT_T0_SG_SL_E_clIS9_SA_SB_SB_EEDaSZ_S10_SG_SL_EUlSZ_E_NS1_11comp_targetILNS1_3genE2ELNS1_11target_archE906ELNS1_3gpuE6ELNS1_3repE0EEENS1_47radix_sort_onesweep_sort_config_static_selectorELNS0_4arch9wavefront6targetE0EEEvSG_.has_recursion, 0
	.set _ZN7rocprim17ROCPRIM_400000_NS6detail17trampoline_kernelINS0_14default_configENS1_35radix_sort_onesweep_config_selectorIfNS0_10empty_typeEEEZZNS1_29radix_sort_onesweep_iterationIS3_Lb1EPKfPfPS5_SB_mNS0_19identity_decomposerENS1_16block_id_wrapperIjLb1EEEEE10hipError_tT1_PNSt15iterator_traitsISG_E10value_typeET2_T3_PNSH_ISM_E10value_typeET4_T5_PSR_SS_PNS1_23onesweep_lookback_stateEbbT6_jjT7_P12ihipStream_tbENKUlT_T0_SG_SL_E_clIS9_SA_SB_SB_EEDaSZ_S10_SG_SL_EUlSZ_E_NS1_11comp_targetILNS1_3genE2ELNS1_11target_archE906ELNS1_3gpuE6ELNS1_3repE0EEENS1_47radix_sort_onesweep_sort_config_static_selectorELNS0_4arch9wavefront6targetE0EEEvSG_.has_indirect_call, 0
	.section	.AMDGPU.csdata,"",@progbits
; Kernel info:
; codeLenInByte = 0
; TotalNumSgprs: 0
; NumVgprs: 0
; ScratchSize: 0
; MemoryBound: 0
; FloatMode: 240
; IeeeMode: 1
; LDSByteSize: 0 bytes/workgroup (compile time only)
; SGPRBlocks: 0
; VGPRBlocks: 0
; NumSGPRsForWavesPerEU: 1
; NumVGPRsForWavesPerEU: 1
; NamedBarCnt: 0
; Occupancy: 16
; WaveLimiterHint : 0
; COMPUTE_PGM_RSRC2:SCRATCH_EN: 0
; COMPUTE_PGM_RSRC2:USER_SGPR: 2
; COMPUTE_PGM_RSRC2:TRAP_HANDLER: 0
; COMPUTE_PGM_RSRC2:TGID_X_EN: 1
; COMPUTE_PGM_RSRC2:TGID_Y_EN: 0
; COMPUTE_PGM_RSRC2:TGID_Z_EN: 0
; COMPUTE_PGM_RSRC2:TIDIG_COMP_CNT: 0
	.section	.text._ZN7rocprim17ROCPRIM_400000_NS6detail17trampoline_kernelINS0_14default_configENS1_35radix_sort_onesweep_config_selectorIfNS0_10empty_typeEEEZZNS1_29radix_sort_onesweep_iterationIS3_Lb1EPKfPfPS5_SB_mNS0_19identity_decomposerENS1_16block_id_wrapperIjLb1EEEEE10hipError_tT1_PNSt15iterator_traitsISG_E10value_typeET2_T3_PNSH_ISM_E10value_typeET4_T5_PSR_SS_PNS1_23onesweep_lookback_stateEbbT6_jjT7_P12ihipStream_tbENKUlT_T0_SG_SL_E_clIS9_SA_SB_SB_EEDaSZ_S10_SG_SL_EUlSZ_E_NS1_11comp_targetILNS1_3genE4ELNS1_11target_archE910ELNS1_3gpuE8ELNS1_3repE0EEENS1_47radix_sort_onesweep_sort_config_static_selectorELNS0_4arch9wavefront6targetE0EEEvSG_,"axG",@progbits,_ZN7rocprim17ROCPRIM_400000_NS6detail17trampoline_kernelINS0_14default_configENS1_35radix_sort_onesweep_config_selectorIfNS0_10empty_typeEEEZZNS1_29radix_sort_onesweep_iterationIS3_Lb1EPKfPfPS5_SB_mNS0_19identity_decomposerENS1_16block_id_wrapperIjLb1EEEEE10hipError_tT1_PNSt15iterator_traitsISG_E10value_typeET2_T3_PNSH_ISM_E10value_typeET4_T5_PSR_SS_PNS1_23onesweep_lookback_stateEbbT6_jjT7_P12ihipStream_tbENKUlT_T0_SG_SL_E_clIS9_SA_SB_SB_EEDaSZ_S10_SG_SL_EUlSZ_E_NS1_11comp_targetILNS1_3genE4ELNS1_11target_archE910ELNS1_3gpuE8ELNS1_3repE0EEENS1_47radix_sort_onesweep_sort_config_static_selectorELNS0_4arch9wavefront6targetE0EEEvSG_,comdat
	.protected	_ZN7rocprim17ROCPRIM_400000_NS6detail17trampoline_kernelINS0_14default_configENS1_35radix_sort_onesweep_config_selectorIfNS0_10empty_typeEEEZZNS1_29radix_sort_onesweep_iterationIS3_Lb1EPKfPfPS5_SB_mNS0_19identity_decomposerENS1_16block_id_wrapperIjLb1EEEEE10hipError_tT1_PNSt15iterator_traitsISG_E10value_typeET2_T3_PNSH_ISM_E10value_typeET4_T5_PSR_SS_PNS1_23onesweep_lookback_stateEbbT6_jjT7_P12ihipStream_tbENKUlT_T0_SG_SL_E_clIS9_SA_SB_SB_EEDaSZ_S10_SG_SL_EUlSZ_E_NS1_11comp_targetILNS1_3genE4ELNS1_11target_archE910ELNS1_3gpuE8ELNS1_3repE0EEENS1_47radix_sort_onesweep_sort_config_static_selectorELNS0_4arch9wavefront6targetE0EEEvSG_ ; -- Begin function _ZN7rocprim17ROCPRIM_400000_NS6detail17trampoline_kernelINS0_14default_configENS1_35radix_sort_onesweep_config_selectorIfNS0_10empty_typeEEEZZNS1_29radix_sort_onesweep_iterationIS3_Lb1EPKfPfPS5_SB_mNS0_19identity_decomposerENS1_16block_id_wrapperIjLb1EEEEE10hipError_tT1_PNSt15iterator_traitsISG_E10value_typeET2_T3_PNSH_ISM_E10value_typeET4_T5_PSR_SS_PNS1_23onesweep_lookback_stateEbbT6_jjT7_P12ihipStream_tbENKUlT_T0_SG_SL_E_clIS9_SA_SB_SB_EEDaSZ_S10_SG_SL_EUlSZ_E_NS1_11comp_targetILNS1_3genE4ELNS1_11target_archE910ELNS1_3gpuE8ELNS1_3repE0EEENS1_47radix_sort_onesweep_sort_config_static_selectorELNS0_4arch9wavefront6targetE0EEEvSG_
	.globl	_ZN7rocprim17ROCPRIM_400000_NS6detail17trampoline_kernelINS0_14default_configENS1_35radix_sort_onesweep_config_selectorIfNS0_10empty_typeEEEZZNS1_29radix_sort_onesweep_iterationIS3_Lb1EPKfPfPS5_SB_mNS0_19identity_decomposerENS1_16block_id_wrapperIjLb1EEEEE10hipError_tT1_PNSt15iterator_traitsISG_E10value_typeET2_T3_PNSH_ISM_E10value_typeET4_T5_PSR_SS_PNS1_23onesweep_lookback_stateEbbT6_jjT7_P12ihipStream_tbENKUlT_T0_SG_SL_E_clIS9_SA_SB_SB_EEDaSZ_S10_SG_SL_EUlSZ_E_NS1_11comp_targetILNS1_3genE4ELNS1_11target_archE910ELNS1_3gpuE8ELNS1_3repE0EEENS1_47radix_sort_onesweep_sort_config_static_selectorELNS0_4arch9wavefront6targetE0EEEvSG_
	.p2align	8
	.type	_ZN7rocprim17ROCPRIM_400000_NS6detail17trampoline_kernelINS0_14default_configENS1_35radix_sort_onesweep_config_selectorIfNS0_10empty_typeEEEZZNS1_29radix_sort_onesweep_iterationIS3_Lb1EPKfPfPS5_SB_mNS0_19identity_decomposerENS1_16block_id_wrapperIjLb1EEEEE10hipError_tT1_PNSt15iterator_traitsISG_E10value_typeET2_T3_PNSH_ISM_E10value_typeET4_T5_PSR_SS_PNS1_23onesweep_lookback_stateEbbT6_jjT7_P12ihipStream_tbENKUlT_T0_SG_SL_E_clIS9_SA_SB_SB_EEDaSZ_S10_SG_SL_EUlSZ_E_NS1_11comp_targetILNS1_3genE4ELNS1_11target_archE910ELNS1_3gpuE8ELNS1_3repE0EEENS1_47radix_sort_onesweep_sort_config_static_selectorELNS0_4arch9wavefront6targetE0EEEvSG_,@function
_ZN7rocprim17ROCPRIM_400000_NS6detail17trampoline_kernelINS0_14default_configENS1_35radix_sort_onesweep_config_selectorIfNS0_10empty_typeEEEZZNS1_29radix_sort_onesweep_iterationIS3_Lb1EPKfPfPS5_SB_mNS0_19identity_decomposerENS1_16block_id_wrapperIjLb1EEEEE10hipError_tT1_PNSt15iterator_traitsISG_E10value_typeET2_T3_PNSH_ISM_E10value_typeET4_T5_PSR_SS_PNS1_23onesweep_lookback_stateEbbT6_jjT7_P12ihipStream_tbENKUlT_T0_SG_SL_E_clIS9_SA_SB_SB_EEDaSZ_S10_SG_SL_EUlSZ_E_NS1_11comp_targetILNS1_3genE4ELNS1_11target_archE910ELNS1_3gpuE8ELNS1_3repE0EEENS1_47radix_sort_onesweep_sort_config_static_selectorELNS0_4arch9wavefront6targetE0EEEvSG_: ; @_ZN7rocprim17ROCPRIM_400000_NS6detail17trampoline_kernelINS0_14default_configENS1_35radix_sort_onesweep_config_selectorIfNS0_10empty_typeEEEZZNS1_29radix_sort_onesweep_iterationIS3_Lb1EPKfPfPS5_SB_mNS0_19identity_decomposerENS1_16block_id_wrapperIjLb1EEEEE10hipError_tT1_PNSt15iterator_traitsISG_E10value_typeET2_T3_PNSH_ISM_E10value_typeET4_T5_PSR_SS_PNS1_23onesweep_lookback_stateEbbT6_jjT7_P12ihipStream_tbENKUlT_T0_SG_SL_E_clIS9_SA_SB_SB_EEDaSZ_S10_SG_SL_EUlSZ_E_NS1_11comp_targetILNS1_3genE4ELNS1_11target_archE910ELNS1_3gpuE8ELNS1_3repE0EEENS1_47radix_sort_onesweep_sort_config_static_selectorELNS0_4arch9wavefront6targetE0EEEvSG_
; %bb.0:
	.section	.rodata,"a",@progbits
	.p2align	6, 0x0
	.amdhsa_kernel _ZN7rocprim17ROCPRIM_400000_NS6detail17trampoline_kernelINS0_14default_configENS1_35radix_sort_onesweep_config_selectorIfNS0_10empty_typeEEEZZNS1_29radix_sort_onesweep_iterationIS3_Lb1EPKfPfPS5_SB_mNS0_19identity_decomposerENS1_16block_id_wrapperIjLb1EEEEE10hipError_tT1_PNSt15iterator_traitsISG_E10value_typeET2_T3_PNSH_ISM_E10value_typeET4_T5_PSR_SS_PNS1_23onesweep_lookback_stateEbbT6_jjT7_P12ihipStream_tbENKUlT_T0_SG_SL_E_clIS9_SA_SB_SB_EEDaSZ_S10_SG_SL_EUlSZ_E_NS1_11comp_targetILNS1_3genE4ELNS1_11target_archE910ELNS1_3gpuE8ELNS1_3repE0EEENS1_47radix_sort_onesweep_sort_config_static_selectorELNS0_4arch9wavefront6targetE0EEEvSG_
		.amdhsa_group_segment_fixed_size 0
		.amdhsa_private_segment_fixed_size 0
		.amdhsa_kernarg_size 88
		.amdhsa_user_sgpr_count 2
		.amdhsa_user_sgpr_dispatch_ptr 0
		.amdhsa_user_sgpr_queue_ptr 0
		.amdhsa_user_sgpr_kernarg_segment_ptr 1
		.amdhsa_user_sgpr_dispatch_id 0
		.amdhsa_user_sgpr_kernarg_preload_length 0
		.amdhsa_user_sgpr_kernarg_preload_offset 0
		.amdhsa_user_sgpr_private_segment_size 0
		.amdhsa_wavefront_size32 1
		.amdhsa_uses_dynamic_stack 0
		.amdhsa_enable_private_segment 0
		.amdhsa_system_sgpr_workgroup_id_x 1
		.amdhsa_system_sgpr_workgroup_id_y 0
		.amdhsa_system_sgpr_workgroup_id_z 0
		.amdhsa_system_sgpr_workgroup_info 0
		.amdhsa_system_vgpr_workitem_id 0
		.amdhsa_next_free_vgpr 1
		.amdhsa_next_free_sgpr 1
		.amdhsa_named_barrier_count 0
		.amdhsa_reserve_vcc 0
		.amdhsa_float_round_mode_32 0
		.amdhsa_float_round_mode_16_64 0
		.amdhsa_float_denorm_mode_32 3
		.amdhsa_float_denorm_mode_16_64 3
		.amdhsa_fp16_overflow 0
		.amdhsa_memory_ordered 1
		.amdhsa_forward_progress 1
		.amdhsa_inst_pref_size 0
		.amdhsa_round_robin_scheduling 0
		.amdhsa_exception_fp_ieee_invalid_op 0
		.amdhsa_exception_fp_denorm_src 0
		.amdhsa_exception_fp_ieee_div_zero 0
		.amdhsa_exception_fp_ieee_overflow 0
		.amdhsa_exception_fp_ieee_underflow 0
		.amdhsa_exception_fp_ieee_inexact 0
		.amdhsa_exception_int_div_zero 0
	.end_amdhsa_kernel
	.section	.text._ZN7rocprim17ROCPRIM_400000_NS6detail17trampoline_kernelINS0_14default_configENS1_35radix_sort_onesweep_config_selectorIfNS0_10empty_typeEEEZZNS1_29radix_sort_onesweep_iterationIS3_Lb1EPKfPfPS5_SB_mNS0_19identity_decomposerENS1_16block_id_wrapperIjLb1EEEEE10hipError_tT1_PNSt15iterator_traitsISG_E10value_typeET2_T3_PNSH_ISM_E10value_typeET4_T5_PSR_SS_PNS1_23onesweep_lookback_stateEbbT6_jjT7_P12ihipStream_tbENKUlT_T0_SG_SL_E_clIS9_SA_SB_SB_EEDaSZ_S10_SG_SL_EUlSZ_E_NS1_11comp_targetILNS1_3genE4ELNS1_11target_archE910ELNS1_3gpuE8ELNS1_3repE0EEENS1_47radix_sort_onesweep_sort_config_static_selectorELNS0_4arch9wavefront6targetE0EEEvSG_,"axG",@progbits,_ZN7rocprim17ROCPRIM_400000_NS6detail17trampoline_kernelINS0_14default_configENS1_35radix_sort_onesweep_config_selectorIfNS0_10empty_typeEEEZZNS1_29radix_sort_onesweep_iterationIS3_Lb1EPKfPfPS5_SB_mNS0_19identity_decomposerENS1_16block_id_wrapperIjLb1EEEEE10hipError_tT1_PNSt15iterator_traitsISG_E10value_typeET2_T3_PNSH_ISM_E10value_typeET4_T5_PSR_SS_PNS1_23onesweep_lookback_stateEbbT6_jjT7_P12ihipStream_tbENKUlT_T0_SG_SL_E_clIS9_SA_SB_SB_EEDaSZ_S10_SG_SL_EUlSZ_E_NS1_11comp_targetILNS1_3genE4ELNS1_11target_archE910ELNS1_3gpuE8ELNS1_3repE0EEENS1_47radix_sort_onesweep_sort_config_static_selectorELNS0_4arch9wavefront6targetE0EEEvSG_,comdat
.Lfunc_end1323:
	.size	_ZN7rocprim17ROCPRIM_400000_NS6detail17trampoline_kernelINS0_14default_configENS1_35radix_sort_onesweep_config_selectorIfNS0_10empty_typeEEEZZNS1_29radix_sort_onesweep_iterationIS3_Lb1EPKfPfPS5_SB_mNS0_19identity_decomposerENS1_16block_id_wrapperIjLb1EEEEE10hipError_tT1_PNSt15iterator_traitsISG_E10value_typeET2_T3_PNSH_ISM_E10value_typeET4_T5_PSR_SS_PNS1_23onesweep_lookback_stateEbbT6_jjT7_P12ihipStream_tbENKUlT_T0_SG_SL_E_clIS9_SA_SB_SB_EEDaSZ_S10_SG_SL_EUlSZ_E_NS1_11comp_targetILNS1_3genE4ELNS1_11target_archE910ELNS1_3gpuE8ELNS1_3repE0EEENS1_47radix_sort_onesweep_sort_config_static_selectorELNS0_4arch9wavefront6targetE0EEEvSG_, .Lfunc_end1323-_ZN7rocprim17ROCPRIM_400000_NS6detail17trampoline_kernelINS0_14default_configENS1_35radix_sort_onesweep_config_selectorIfNS0_10empty_typeEEEZZNS1_29radix_sort_onesweep_iterationIS3_Lb1EPKfPfPS5_SB_mNS0_19identity_decomposerENS1_16block_id_wrapperIjLb1EEEEE10hipError_tT1_PNSt15iterator_traitsISG_E10value_typeET2_T3_PNSH_ISM_E10value_typeET4_T5_PSR_SS_PNS1_23onesweep_lookback_stateEbbT6_jjT7_P12ihipStream_tbENKUlT_T0_SG_SL_E_clIS9_SA_SB_SB_EEDaSZ_S10_SG_SL_EUlSZ_E_NS1_11comp_targetILNS1_3genE4ELNS1_11target_archE910ELNS1_3gpuE8ELNS1_3repE0EEENS1_47radix_sort_onesweep_sort_config_static_selectorELNS0_4arch9wavefront6targetE0EEEvSG_
                                        ; -- End function
	.set _ZN7rocprim17ROCPRIM_400000_NS6detail17trampoline_kernelINS0_14default_configENS1_35radix_sort_onesweep_config_selectorIfNS0_10empty_typeEEEZZNS1_29radix_sort_onesweep_iterationIS3_Lb1EPKfPfPS5_SB_mNS0_19identity_decomposerENS1_16block_id_wrapperIjLb1EEEEE10hipError_tT1_PNSt15iterator_traitsISG_E10value_typeET2_T3_PNSH_ISM_E10value_typeET4_T5_PSR_SS_PNS1_23onesweep_lookback_stateEbbT6_jjT7_P12ihipStream_tbENKUlT_T0_SG_SL_E_clIS9_SA_SB_SB_EEDaSZ_S10_SG_SL_EUlSZ_E_NS1_11comp_targetILNS1_3genE4ELNS1_11target_archE910ELNS1_3gpuE8ELNS1_3repE0EEENS1_47radix_sort_onesweep_sort_config_static_selectorELNS0_4arch9wavefront6targetE0EEEvSG_.num_vgpr, 0
	.set _ZN7rocprim17ROCPRIM_400000_NS6detail17trampoline_kernelINS0_14default_configENS1_35radix_sort_onesweep_config_selectorIfNS0_10empty_typeEEEZZNS1_29radix_sort_onesweep_iterationIS3_Lb1EPKfPfPS5_SB_mNS0_19identity_decomposerENS1_16block_id_wrapperIjLb1EEEEE10hipError_tT1_PNSt15iterator_traitsISG_E10value_typeET2_T3_PNSH_ISM_E10value_typeET4_T5_PSR_SS_PNS1_23onesweep_lookback_stateEbbT6_jjT7_P12ihipStream_tbENKUlT_T0_SG_SL_E_clIS9_SA_SB_SB_EEDaSZ_S10_SG_SL_EUlSZ_E_NS1_11comp_targetILNS1_3genE4ELNS1_11target_archE910ELNS1_3gpuE8ELNS1_3repE0EEENS1_47radix_sort_onesweep_sort_config_static_selectorELNS0_4arch9wavefront6targetE0EEEvSG_.num_agpr, 0
	.set _ZN7rocprim17ROCPRIM_400000_NS6detail17trampoline_kernelINS0_14default_configENS1_35radix_sort_onesweep_config_selectorIfNS0_10empty_typeEEEZZNS1_29radix_sort_onesweep_iterationIS3_Lb1EPKfPfPS5_SB_mNS0_19identity_decomposerENS1_16block_id_wrapperIjLb1EEEEE10hipError_tT1_PNSt15iterator_traitsISG_E10value_typeET2_T3_PNSH_ISM_E10value_typeET4_T5_PSR_SS_PNS1_23onesweep_lookback_stateEbbT6_jjT7_P12ihipStream_tbENKUlT_T0_SG_SL_E_clIS9_SA_SB_SB_EEDaSZ_S10_SG_SL_EUlSZ_E_NS1_11comp_targetILNS1_3genE4ELNS1_11target_archE910ELNS1_3gpuE8ELNS1_3repE0EEENS1_47radix_sort_onesweep_sort_config_static_selectorELNS0_4arch9wavefront6targetE0EEEvSG_.numbered_sgpr, 0
	.set _ZN7rocprim17ROCPRIM_400000_NS6detail17trampoline_kernelINS0_14default_configENS1_35radix_sort_onesweep_config_selectorIfNS0_10empty_typeEEEZZNS1_29radix_sort_onesweep_iterationIS3_Lb1EPKfPfPS5_SB_mNS0_19identity_decomposerENS1_16block_id_wrapperIjLb1EEEEE10hipError_tT1_PNSt15iterator_traitsISG_E10value_typeET2_T3_PNSH_ISM_E10value_typeET4_T5_PSR_SS_PNS1_23onesweep_lookback_stateEbbT6_jjT7_P12ihipStream_tbENKUlT_T0_SG_SL_E_clIS9_SA_SB_SB_EEDaSZ_S10_SG_SL_EUlSZ_E_NS1_11comp_targetILNS1_3genE4ELNS1_11target_archE910ELNS1_3gpuE8ELNS1_3repE0EEENS1_47radix_sort_onesweep_sort_config_static_selectorELNS0_4arch9wavefront6targetE0EEEvSG_.num_named_barrier, 0
	.set _ZN7rocprim17ROCPRIM_400000_NS6detail17trampoline_kernelINS0_14default_configENS1_35radix_sort_onesweep_config_selectorIfNS0_10empty_typeEEEZZNS1_29radix_sort_onesweep_iterationIS3_Lb1EPKfPfPS5_SB_mNS0_19identity_decomposerENS1_16block_id_wrapperIjLb1EEEEE10hipError_tT1_PNSt15iterator_traitsISG_E10value_typeET2_T3_PNSH_ISM_E10value_typeET4_T5_PSR_SS_PNS1_23onesweep_lookback_stateEbbT6_jjT7_P12ihipStream_tbENKUlT_T0_SG_SL_E_clIS9_SA_SB_SB_EEDaSZ_S10_SG_SL_EUlSZ_E_NS1_11comp_targetILNS1_3genE4ELNS1_11target_archE910ELNS1_3gpuE8ELNS1_3repE0EEENS1_47radix_sort_onesweep_sort_config_static_selectorELNS0_4arch9wavefront6targetE0EEEvSG_.private_seg_size, 0
	.set _ZN7rocprim17ROCPRIM_400000_NS6detail17trampoline_kernelINS0_14default_configENS1_35radix_sort_onesweep_config_selectorIfNS0_10empty_typeEEEZZNS1_29radix_sort_onesweep_iterationIS3_Lb1EPKfPfPS5_SB_mNS0_19identity_decomposerENS1_16block_id_wrapperIjLb1EEEEE10hipError_tT1_PNSt15iterator_traitsISG_E10value_typeET2_T3_PNSH_ISM_E10value_typeET4_T5_PSR_SS_PNS1_23onesweep_lookback_stateEbbT6_jjT7_P12ihipStream_tbENKUlT_T0_SG_SL_E_clIS9_SA_SB_SB_EEDaSZ_S10_SG_SL_EUlSZ_E_NS1_11comp_targetILNS1_3genE4ELNS1_11target_archE910ELNS1_3gpuE8ELNS1_3repE0EEENS1_47radix_sort_onesweep_sort_config_static_selectorELNS0_4arch9wavefront6targetE0EEEvSG_.uses_vcc, 0
	.set _ZN7rocprim17ROCPRIM_400000_NS6detail17trampoline_kernelINS0_14default_configENS1_35radix_sort_onesweep_config_selectorIfNS0_10empty_typeEEEZZNS1_29radix_sort_onesweep_iterationIS3_Lb1EPKfPfPS5_SB_mNS0_19identity_decomposerENS1_16block_id_wrapperIjLb1EEEEE10hipError_tT1_PNSt15iterator_traitsISG_E10value_typeET2_T3_PNSH_ISM_E10value_typeET4_T5_PSR_SS_PNS1_23onesweep_lookback_stateEbbT6_jjT7_P12ihipStream_tbENKUlT_T0_SG_SL_E_clIS9_SA_SB_SB_EEDaSZ_S10_SG_SL_EUlSZ_E_NS1_11comp_targetILNS1_3genE4ELNS1_11target_archE910ELNS1_3gpuE8ELNS1_3repE0EEENS1_47radix_sort_onesweep_sort_config_static_selectorELNS0_4arch9wavefront6targetE0EEEvSG_.uses_flat_scratch, 0
	.set _ZN7rocprim17ROCPRIM_400000_NS6detail17trampoline_kernelINS0_14default_configENS1_35radix_sort_onesweep_config_selectorIfNS0_10empty_typeEEEZZNS1_29radix_sort_onesweep_iterationIS3_Lb1EPKfPfPS5_SB_mNS0_19identity_decomposerENS1_16block_id_wrapperIjLb1EEEEE10hipError_tT1_PNSt15iterator_traitsISG_E10value_typeET2_T3_PNSH_ISM_E10value_typeET4_T5_PSR_SS_PNS1_23onesweep_lookback_stateEbbT6_jjT7_P12ihipStream_tbENKUlT_T0_SG_SL_E_clIS9_SA_SB_SB_EEDaSZ_S10_SG_SL_EUlSZ_E_NS1_11comp_targetILNS1_3genE4ELNS1_11target_archE910ELNS1_3gpuE8ELNS1_3repE0EEENS1_47radix_sort_onesweep_sort_config_static_selectorELNS0_4arch9wavefront6targetE0EEEvSG_.has_dyn_sized_stack, 0
	.set _ZN7rocprim17ROCPRIM_400000_NS6detail17trampoline_kernelINS0_14default_configENS1_35radix_sort_onesweep_config_selectorIfNS0_10empty_typeEEEZZNS1_29radix_sort_onesweep_iterationIS3_Lb1EPKfPfPS5_SB_mNS0_19identity_decomposerENS1_16block_id_wrapperIjLb1EEEEE10hipError_tT1_PNSt15iterator_traitsISG_E10value_typeET2_T3_PNSH_ISM_E10value_typeET4_T5_PSR_SS_PNS1_23onesweep_lookback_stateEbbT6_jjT7_P12ihipStream_tbENKUlT_T0_SG_SL_E_clIS9_SA_SB_SB_EEDaSZ_S10_SG_SL_EUlSZ_E_NS1_11comp_targetILNS1_3genE4ELNS1_11target_archE910ELNS1_3gpuE8ELNS1_3repE0EEENS1_47radix_sort_onesweep_sort_config_static_selectorELNS0_4arch9wavefront6targetE0EEEvSG_.has_recursion, 0
	.set _ZN7rocprim17ROCPRIM_400000_NS6detail17trampoline_kernelINS0_14default_configENS1_35radix_sort_onesweep_config_selectorIfNS0_10empty_typeEEEZZNS1_29radix_sort_onesweep_iterationIS3_Lb1EPKfPfPS5_SB_mNS0_19identity_decomposerENS1_16block_id_wrapperIjLb1EEEEE10hipError_tT1_PNSt15iterator_traitsISG_E10value_typeET2_T3_PNSH_ISM_E10value_typeET4_T5_PSR_SS_PNS1_23onesweep_lookback_stateEbbT6_jjT7_P12ihipStream_tbENKUlT_T0_SG_SL_E_clIS9_SA_SB_SB_EEDaSZ_S10_SG_SL_EUlSZ_E_NS1_11comp_targetILNS1_3genE4ELNS1_11target_archE910ELNS1_3gpuE8ELNS1_3repE0EEENS1_47radix_sort_onesweep_sort_config_static_selectorELNS0_4arch9wavefront6targetE0EEEvSG_.has_indirect_call, 0
	.section	.AMDGPU.csdata,"",@progbits
; Kernel info:
; codeLenInByte = 0
; TotalNumSgprs: 0
; NumVgprs: 0
; ScratchSize: 0
; MemoryBound: 0
; FloatMode: 240
; IeeeMode: 1
; LDSByteSize: 0 bytes/workgroup (compile time only)
; SGPRBlocks: 0
; VGPRBlocks: 0
; NumSGPRsForWavesPerEU: 1
; NumVGPRsForWavesPerEU: 1
; NamedBarCnt: 0
; Occupancy: 16
; WaveLimiterHint : 0
; COMPUTE_PGM_RSRC2:SCRATCH_EN: 0
; COMPUTE_PGM_RSRC2:USER_SGPR: 2
; COMPUTE_PGM_RSRC2:TRAP_HANDLER: 0
; COMPUTE_PGM_RSRC2:TGID_X_EN: 1
; COMPUTE_PGM_RSRC2:TGID_Y_EN: 0
; COMPUTE_PGM_RSRC2:TGID_Z_EN: 0
; COMPUTE_PGM_RSRC2:TIDIG_COMP_CNT: 0
	.section	.text._ZN7rocprim17ROCPRIM_400000_NS6detail17trampoline_kernelINS0_14default_configENS1_35radix_sort_onesweep_config_selectorIfNS0_10empty_typeEEEZZNS1_29radix_sort_onesweep_iterationIS3_Lb1EPKfPfPS5_SB_mNS0_19identity_decomposerENS1_16block_id_wrapperIjLb1EEEEE10hipError_tT1_PNSt15iterator_traitsISG_E10value_typeET2_T3_PNSH_ISM_E10value_typeET4_T5_PSR_SS_PNS1_23onesweep_lookback_stateEbbT6_jjT7_P12ihipStream_tbENKUlT_T0_SG_SL_E_clIS9_SA_SB_SB_EEDaSZ_S10_SG_SL_EUlSZ_E_NS1_11comp_targetILNS1_3genE3ELNS1_11target_archE908ELNS1_3gpuE7ELNS1_3repE0EEENS1_47radix_sort_onesweep_sort_config_static_selectorELNS0_4arch9wavefront6targetE0EEEvSG_,"axG",@progbits,_ZN7rocprim17ROCPRIM_400000_NS6detail17trampoline_kernelINS0_14default_configENS1_35radix_sort_onesweep_config_selectorIfNS0_10empty_typeEEEZZNS1_29radix_sort_onesweep_iterationIS3_Lb1EPKfPfPS5_SB_mNS0_19identity_decomposerENS1_16block_id_wrapperIjLb1EEEEE10hipError_tT1_PNSt15iterator_traitsISG_E10value_typeET2_T3_PNSH_ISM_E10value_typeET4_T5_PSR_SS_PNS1_23onesweep_lookback_stateEbbT6_jjT7_P12ihipStream_tbENKUlT_T0_SG_SL_E_clIS9_SA_SB_SB_EEDaSZ_S10_SG_SL_EUlSZ_E_NS1_11comp_targetILNS1_3genE3ELNS1_11target_archE908ELNS1_3gpuE7ELNS1_3repE0EEENS1_47radix_sort_onesweep_sort_config_static_selectorELNS0_4arch9wavefront6targetE0EEEvSG_,comdat
	.protected	_ZN7rocprim17ROCPRIM_400000_NS6detail17trampoline_kernelINS0_14default_configENS1_35radix_sort_onesweep_config_selectorIfNS0_10empty_typeEEEZZNS1_29radix_sort_onesweep_iterationIS3_Lb1EPKfPfPS5_SB_mNS0_19identity_decomposerENS1_16block_id_wrapperIjLb1EEEEE10hipError_tT1_PNSt15iterator_traitsISG_E10value_typeET2_T3_PNSH_ISM_E10value_typeET4_T5_PSR_SS_PNS1_23onesweep_lookback_stateEbbT6_jjT7_P12ihipStream_tbENKUlT_T0_SG_SL_E_clIS9_SA_SB_SB_EEDaSZ_S10_SG_SL_EUlSZ_E_NS1_11comp_targetILNS1_3genE3ELNS1_11target_archE908ELNS1_3gpuE7ELNS1_3repE0EEENS1_47radix_sort_onesweep_sort_config_static_selectorELNS0_4arch9wavefront6targetE0EEEvSG_ ; -- Begin function _ZN7rocprim17ROCPRIM_400000_NS6detail17trampoline_kernelINS0_14default_configENS1_35radix_sort_onesweep_config_selectorIfNS0_10empty_typeEEEZZNS1_29radix_sort_onesweep_iterationIS3_Lb1EPKfPfPS5_SB_mNS0_19identity_decomposerENS1_16block_id_wrapperIjLb1EEEEE10hipError_tT1_PNSt15iterator_traitsISG_E10value_typeET2_T3_PNSH_ISM_E10value_typeET4_T5_PSR_SS_PNS1_23onesweep_lookback_stateEbbT6_jjT7_P12ihipStream_tbENKUlT_T0_SG_SL_E_clIS9_SA_SB_SB_EEDaSZ_S10_SG_SL_EUlSZ_E_NS1_11comp_targetILNS1_3genE3ELNS1_11target_archE908ELNS1_3gpuE7ELNS1_3repE0EEENS1_47radix_sort_onesweep_sort_config_static_selectorELNS0_4arch9wavefront6targetE0EEEvSG_
	.globl	_ZN7rocprim17ROCPRIM_400000_NS6detail17trampoline_kernelINS0_14default_configENS1_35radix_sort_onesweep_config_selectorIfNS0_10empty_typeEEEZZNS1_29radix_sort_onesweep_iterationIS3_Lb1EPKfPfPS5_SB_mNS0_19identity_decomposerENS1_16block_id_wrapperIjLb1EEEEE10hipError_tT1_PNSt15iterator_traitsISG_E10value_typeET2_T3_PNSH_ISM_E10value_typeET4_T5_PSR_SS_PNS1_23onesweep_lookback_stateEbbT6_jjT7_P12ihipStream_tbENKUlT_T0_SG_SL_E_clIS9_SA_SB_SB_EEDaSZ_S10_SG_SL_EUlSZ_E_NS1_11comp_targetILNS1_3genE3ELNS1_11target_archE908ELNS1_3gpuE7ELNS1_3repE0EEENS1_47radix_sort_onesweep_sort_config_static_selectorELNS0_4arch9wavefront6targetE0EEEvSG_
	.p2align	8
	.type	_ZN7rocprim17ROCPRIM_400000_NS6detail17trampoline_kernelINS0_14default_configENS1_35radix_sort_onesweep_config_selectorIfNS0_10empty_typeEEEZZNS1_29radix_sort_onesweep_iterationIS3_Lb1EPKfPfPS5_SB_mNS0_19identity_decomposerENS1_16block_id_wrapperIjLb1EEEEE10hipError_tT1_PNSt15iterator_traitsISG_E10value_typeET2_T3_PNSH_ISM_E10value_typeET4_T5_PSR_SS_PNS1_23onesweep_lookback_stateEbbT6_jjT7_P12ihipStream_tbENKUlT_T0_SG_SL_E_clIS9_SA_SB_SB_EEDaSZ_S10_SG_SL_EUlSZ_E_NS1_11comp_targetILNS1_3genE3ELNS1_11target_archE908ELNS1_3gpuE7ELNS1_3repE0EEENS1_47radix_sort_onesweep_sort_config_static_selectorELNS0_4arch9wavefront6targetE0EEEvSG_,@function
_ZN7rocprim17ROCPRIM_400000_NS6detail17trampoline_kernelINS0_14default_configENS1_35radix_sort_onesweep_config_selectorIfNS0_10empty_typeEEEZZNS1_29radix_sort_onesweep_iterationIS3_Lb1EPKfPfPS5_SB_mNS0_19identity_decomposerENS1_16block_id_wrapperIjLb1EEEEE10hipError_tT1_PNSt15iterator_traitsISG_E10value_typeET2_T3_PNSH_ISM_E10value_typeET4_T5_PSR_SS_PNS1_23onesweep_lookback_stateEbbT6_jjT7_P12ihipStream_tbENKUlT_T0_SG_SL_E_clIS9_SA_SB_SB_EEDaSZ_S10_SG_SL_EUlSZ_E_NS1_11comp_targetILNS1_3genE3ELNS1_11target_archE908ELNS1_3gpuE7ELNS1_3repE0EEENS1_47radix_sort_onesweep_sort_config_static_selectorELNS0_4arch9wavefront6targetE0EEEvSG_: ; @_ZN7rocprim17ROCPRIM_400000_NS6detail17trampoline_kernelINS0_14default_configENS1_35radix_sort_onesweep_config_selectorIfNS0_10empty_typeEEEZZNS1_29radix_sort_onesweep_iterationIS3_Lb1EPKfPfPS5_SB_mNS0_19identity_decomposerENS1_16block_id_wrapperIjLb1EEEEE10hipError_tT1_PNSt15iterator_traitsISG_E10value_typeET2_T3_PNSH_ISM_E10value_typeET4_T5_PSR_SS_PNS1_23onesweep_lookback_stateEbbT6_jjT7_P12ihipStream_tbENKUlT_T0_SG_SL_E_clIS9_SA_SB_SB_EEDaSZ_S10_SG_SL_EUlSZ_E_NS1_11comp_targetILNS1_3genE3ELNS1_11target_archE908ELNS1_3gpuE7ELNS1_3repE0EEENS1_47radix_sort_onesweep_sort_config_static_selectorELNS0_4arch9wavefront6targetE0EEEvSG_
; %bb.0:
	.section	.rodata,"a",@progbits
	.p2align	6, 0x0
	.amdhsa_kernel _ZN7rocprim17ROCPRIM_400000_NS6detail17trampoline_kernelINS0_14default_configENS1_35radix_sort_onesweep_config_selectorIfNS0_10empty_typeEEEZZNS1_29radix_sort_onesweep_iterationIS3_Lb1EPKfPfPS5_SB_mNS0_19identity_decomposerENS1_16block_id_wrapperIjLb1EEEEE10hipError_tT1_PNSt15iterator_traitsISG_E10value_typeET2_T3_PNSH_ISM_E10value_typeET4_T5_PSR_SS_PNS1_23onesweep_lookback_stateEbbT6_jjT7_P12ihipStream_tbENKUlT_T0_SG_SL_E_clIS9_SA_SB_SB_EEDaSZ_S10_SG_SL_EUlSZ_E_NS1_11comp_targetILNS1_3genE3ELNS1_11target_archE908ELNS1_3gpuE7ELNS1_3repE0EEENS1_47radix_sort_onesweep_sort_config_static_selectorELNS0_4arch9wavefront6targetE0EEEvSG_
		.amdhsa_group_segment_fixed_size 0
		.amdhsa_private_segment_fixed_size 0
		.amdhsa_kernarg_size 88
		.amdhsa_user_sgpr_count 2
		.amdhsa_user_sgpr_dispatch_ptr 0
		.amdhsa_user_sgpr_queue_ptr 0
		.amdhsa_user_sgpr_kernarg_segment_ptr 1
		.amdhsa_user_sgpr_dispatch_id 0
		.amdhsa_user_sgpr_kernarg_preload_length 0
		.amdhsa_user_sgpr_kernarg_preload_offset 0
		.amdhsa_user_sgpr_private_segment_size 0
		.amdhsa_wavefront_size32 1
		.amdhsa_uses_dynamic_stack 0
		.amdhsa_enable_private_segment 0
		.amdhsa_system_sgpr_workgroup_id_x 1
		.amdhsa_system_sgpr_workgroup_id_y 0
		.amdhsa_system_sgpr_workgroup_id_z 0
		.amdhsa_system_sgpr_workgroup_info 0
		.amdhsa_system_vgpr_workitem_id 0
		.amdhsa_next_free_vgpr 1
		.amdhsa_next_free_sgpr 1
		.amdhsa_named_barrier_count 0
		.amdhsa_reserve_vcc 0
		.amdhsa_float_round_mode_32 0
		.amdhsa_float_round_mode_16_64 0
		.amdhsa_float_denorm_mode_32 3
		.amdhsa_float_denorm_mode_16_64 3
		.amdhsa_fp16_overflow 0
		.amdhsa_memory_ordered 1
		.amdhsa_forward_progress 1
		.amdhsa_inst_pref_size 0
		.amdhsa_round_robin_scheduling 0
		.amdhsa_exception_fp_ieee_invalid_op 0
		.amdhsa_exception_fp_denorm_src 0
		.amdhsa_exception_fp_ieee_div_zero 0
		.amdhsa_exception_fp_ieee_overflow 0
		.amdhsa_exception_fp_ieee_underflow 0
		.amdhsa_exception_fp_ieee_inexact 0
		.amdhsa_exception_int_div_zero 0
	.end_amdhsa_kernel
	.section	.text._ZN7rocprim17ROCPRIM_400000_NS6detail17trampoline_kernelINS0_14default_configENS1_35radix_sort_onesweep_config_selectorIfNS0_10empty_typeEEEZZNS1_29radix_sort_onesweep_iterationIS3_Lb1EPKfPfPS5_SB_mNS0_19identity_decomposerENS1_16block_id_wrapperIjLb1EEEEE10hipError_tT1_PNSt15iterator_traitsISG_E10value_typeET2_T3_PNSH_ISM_E10value_typeET4_T5_PSR_SS_PNS1_23onesweep_lookback_stateEbbT6_jjT7_P12ihipStream_tbENKUlT_T0_SG_SL_E_clIS9_SA_SB_SB_EEDaSZ_S10_SG_SL_EUlSZ_E_NS1_11comp_targetILNS1_3genE3ELNS1_11target_archE908ELNS1_3gpuE7ELNS1_3repE0EEENS1_47radix_sort_onesweep_sort_config_static_selectorELNS0_4arch9wavefront6targetE0EEEvSG_,"axG",@progbits,_ZN7rocprim17ROCPRIM_400000_NS6detail17trampoline_kernelINS0_14default_configENS1_35radix_sort_onesweep_config_selectorIfNS0_10empty_typeEEEZZNS1_29radix_sort_onesweep_iterationIS3_Lb1EPKfPfPS5_SB_mNS0_19identity_decomposerENS1_16block_id_wrapperIjLb1EEEEE10hipError_tT1_PNSt15iterator_traitsISG_E10value_typeET2_T3_PNSH_ISM_E10value_typeET4_T5_PSR_SS_PNS1_23onesweep_lookback_stateEbbT6_jjT7_P12ihipStream_tbENKUlT_T0_SG_SL_E_clIS9_SA_SB_SB_EEDaSZ_S10_SG_SL_EUlSZ_E_NS1_11comp_targetILNS1_3genE3ELNS1_11target_archE908ELNS1_3gpuE7ELNS1_3repE0EEENS1_47radix_sort_onesweep_sort_config_static_selectorELNS0_4arch9wavefront6targetE0EEEvSG_,comdat
.Lfunc_end1324:
	.size	_ZN7rocprim17ROCPRIM_400000_NS6detail17trampoline_kernelINS0_14default_configENS1_35radix_sort_onesweep_config_selectorIfNS0_10empty_typeEEEZZNS1_29radix_sort_onesweep_iterationIS3_Lb1EPKfPfPS5_SB_mNS0_19identity_decomposerENS1_16block_id_wrapperIjLb1EEEEE10hipError_tT1_PNSt15iterator_traitsISG_E10value_typeET2_T3_PNSH_ISM_E10value_typeET4_T5_PSR_SS_PNS1_23onesweep_lookback_stateEbbT6_jjT7_P12ihipStream_tbENKUlT_T0_SG_SL_E_clIS9_SA_SB_SB_EEDaSZ_S10_SG_SL_EUlSZ_E_NS1_11comp_targetILNS1_3genE3ELNS1_11target_archE908ELNS1_3gpuE7ELNS1_3repE0EEENS1_47radix_sort_onesweep_sort_config_static_selectorELNS0_4arch9wavefront6targetE0EEEvSG_, .Lfunc_end1324-_ZN7rocprim17ROCPRIM_400000_NS6detail17trampoline_kernelINS0_14default_configENS1_35radix_sort_onesweep_config_selectorIfNS0_10empty_typeEEEZZNS1_29radix_sort_onesweep_iterationIS3_Lb1EPKfPfPS5_SB_mNS0_19identity_decomposerENS1_16block_id_wrapperIjLb1EEEEE10hipError_tT1_PNSt15iterator_traitsISG_E10value_typeET2_T3_PNSH_ISM_E10value_typeET4_T5_PSR_SS_PNS1_23onesweep_lookback_stateEbbT6_jjT7_P12ihipStream_tbENKUlT_T0_SG_SL_E_clIS9_SA_SB_SB_EEDaSZ_S10_SG_SL_EUlSZ_E_NS1_11comp_targetILNS1_3genE3ELNS1_11target_archE908ELNS1_3gpuE7ELNS1_3repE0EEENS1_47radix_sort_onesweep_sort_config_static_selectorELNS0_4arch9wavefront6targetE0EEEvSG_
                                        ; -- End function
	.set _ZN7rocprim17ROCPRIM_400000_NS6detail17trampoline_kernelINS0_14default_configENS1_35radix_sort_onesweep_config_selectorIfNS0_10empty_typeEEEZZNS1_29radix_sort_onesweep_iterationIS3_Lb1EPKfPfPS5_SB_mNS0_19identity_decomposerENS1_16block_id_wrapperIjLb1EEEEE10hipError_tT1_PNSt15iterator_traitsISG_E10value_typeET2_T3_PNSH_ISM_E10value_typeET4_T5_PSR_SS_PNS1_23onesweep_lookback_stateEbbT6_jjT7_P12ihipStream_tbENKUlT_T0_SG_SL_E_clIS9_SA_SB_SB_EEDaSZ_S10_SG_SL_EUlSZ_E_NS1_11comp_targetILNS1_3genE3ELNS1_11target_archE908ELNS1_3gpuE7ELNS1_3repE0EEENS1_47radix_sort_onesweep_sort_config_static_selectorELNS0_4arch9wavefront6targetE0EEEvSG_.num_vgpr, 0
	.set _ZN7rocprim17ROCPRIM_400000_NS6detail17trampoline_kernelINS0_14default_configENS1_35radix_sort_onesweep_config_selectorIfNS0_10empty_typeEEEZZNS1_29radix_sort_onesweep_iterationIS3_Lb1EPKfPfPS5_SB_mNS0_19identity_decomposerENS1_16block_id_wrapperIjLb1EEEEE10hipError_tT1_PNSt15iterator_traitsISG_E10value_typeET2_T3_PNSH_ISM_E10value_typeET4_T5_PSR_SS_PNS1_23onesweep_lookback_stateEbbT6_jjT7_P12ihipStream_tbENKUlT_T0_SG_SL_E_clIS9_SA_SB_SB_EEDaSZ_S10_SG_SL_EUlSZ_E_NS1_11comp_targetILNS1_3genE3ELNS1_11target_archE908ELNS1_3gpuE7ELNS1_3repE0EEENS1_47radix_sort_onesweep_sort_config_static_selectorELNS0_4arch9wavefront6targetE0EEEvSG_.num_agpr, 0
	.set _ZN7rocprim17ROCPRIM_400000_NS6detail17trampoline_kernelINS0_14default_configENS1_35radix_sort_onesweep_config_selectorIfNS0_10empty_typeEEEZZNS1_29radix_sort_onesweep_iterationIS3_Lb1EPKfPfPS5_SB_mNS0_19identity_decomposerENS1_16block_id_wrapperIjLb1EEEEE10hipError_tT1_PNSt15iterator_traitsISG_E10value_typeET2_T3_PNSH_ISM_E10value_typeET4_T5_PSR_SS_PNS1_23onesweep_lookback_stateEbbT6_jjT7_P12ihipStream_tbENKUlT_T0_SG_SL_E_clIS9_SA_SB_SB_EEDaSZ_S10_SG_SL_EUlSZ_E_NS1_11comp_targetILNS1_3genE3ELNS1_11target_archE908ELNS1_3gpuE7ELNS1_3repE0EEENS1_47radix_sort_onesweep_sort_config_static_selectorELNS0_4arch9wavefront6targetE0EEEvSG_.numbered_sgpr, 0
	.set _ZN7rocprim17ROCPRIM_400000_NS6detail17trampoline_kernelINS0_14default_configENS1_35radix_sort_onesweep_config_selectorIfNS0_10empty_typeEEEZZNS1_29radix_sort_onesweep_iterationIS3_Lb1EPKfPfPS5_SB_mNS0_19identity_decomposerENS1_16block_id_wrapperIjLb1EEEEE10hipError_tT1_PNSt15iterator_traitsISG_E10value_typeET2_T3_PNSH_ISM_E10value_typeET4_T5_PSR_SS_PNS1_23onesweep_lookback_stateEbbT6_jjT7_P12ihipStream_tbENKUlT_T0_SG_SL_E_clIS9_SA_SB_SB_EEDaSZ_S10_SG_SL_EUlSZ_E_NS1_11comp_targetILNS1_3genE3ELNS1_11target_archE908ELNS1_3gpuE7ELNS1_3repE0EEENS1_47radix_sort_onesweep_sort_config_static_selectorELNS0_4arch9wavefront6targetE0EEEvSG_.num_named_barrier, 0
	.set _ZN7rocprim17ROCPRIM_400000_NS6detail17trampoline_kernelINS0_14default_configENS1_35radix_sort_onesweep_config_selectorIfNS0_10empty_typeEEEZZNS1_29radix_sort_onesweep_iterationIS3_Lb1EPKfPfPS5_SB_mNS0_19identity_decomposerENS1_16block_id_wrapperIjLb1EEEEE10hipError_tT1_PNSt15iterator_traitsISG_E10value_typeET2_T3_PNSH_ISM_E10value_typeET4_T5_PSR_SS_PNS1_23onesweep_lookback_stateEbbT6_jjT7_P12ihipStream_tbENKUlT_T0_SG_SL_E_clIS9_SA_SB_SB_EEDaSZ_S10_SG_SL_EUlSZ_E_NS1_11comp_targetILNS1_3genE3ELNS1_11target_archE908ELNS1_3gpuE7ELNS1_3repE0EEENS1_47radix_sort_onesweep_sort_config_static_selectorELNS0_4arch9wavefront6targetE0EEEvSG_.private_seg_size, 0
	.set _ZN7rocprim17ROCPRIM_400000_NS6detail17trampoline_kernelINS0_14default_configENS1_35radix_sort_onesweep_config_selectorIfNS0_10empty_typeEEEZZNS1_29radix_sort_onesweep_iterationIS3_Lb1EPKfPfPS5_SB_mNS0_19identity_decomposerENS1_16block_id_wrapperIjLb1EEEEE10hipError_tT1_PNSt15iterator_traitsISG_E10value_typeET2_T3_PNSH_ISM_E10value_typeET4_T5_PSR_SS_PNS1_23onesweep_lookback_stateEbbT6_jjT7_P12ihipStream_tbENKUlT_T0_SG_SL_E_clIS9_SA_SB_SB_EEDaSZ_S10_SG_SL_EUlSZ_E_NS1_11comp_targetILNS1_3genE3ELNS1_11target_archE908ELNS1_3gpuE7ELNS1_3repE0EEENS1_47radix_sort_onesweep_sort_config_static_selectorELNS0_4arch9wavefront6targetE0EEEvSG_.uses_vcc, 0
	.set _ZN7rocprim17ROCPRIM_400000_NS6detail17trampoline_kernelINS0_14default_configENS1_35radix_sort_onesweep_config_selectorIfNS0_10empty_typeEEEZZNS1_29radix_sort_onesweep_iterationIS3_Lb1EPKfPfPS5_SB_mNS0_19identity_decomposerENS1_16block_id_wrapperIjLb1EEEEE10hipError_tT1_PNSt15iterator_traitsISG_E10value_typeET2_T3_PNSH_ISM_E10value_typeET4_T5_PSR_SS_PNS1_23onesweep_lookback_stateEbbT6_jjT7_P12ihipStream_tbENKUlT_T0_SG_SL_E_clIS9_SA_SB_SB_EEDaSZ_S10_SG_SL_EUlSZ_E_NS1_11comp_targetILNS1_3genE3ELNS1_11target_archE908ELNS1_3gpuE7ELNS1_3repE0EEENS1_47radix_sort_onesweep_sort_config_static_selectorELNS0_4arch9wavefront6targetE0EEEvSG_.uses_flat_scratch, 0
	.set _ZN7rocprim17ROCPRIM_400000_NS6detail17trampoline_kernelINS0_14default_configENS1_35radix_sort_onesweep_config_selectorIfNS0_10empty_typeEEEZZNS1_29radix_sort_onesweep_iterationIS3_Lb1EPKfPfPS5_SB_mNS0_19identity_decomposerENS1_16block_id_wrapperIjLb1EEEEE10hipError_tT1_PNSt15iterator_traitsISG_E10value_typeET2_T3_PNSH_ISM_E10value_typeET4_T5_PSR_SS_PNS1_23onesweep_lookback_stateEbbT6_jjT7_P12ihipStream_tbENKUlT_T0_SG_SL_E_clIS9_SA_SB_SB_EEDaSZ_S10_SG_SL_EUlSZ_E_NS1_11comp_targetILNS1_3genE3ELNS1_11target_archE908ELNS1_3gpuE7ELNS1_3repE0EEENS1_47radix_sort_onesweep_sort_config_static_selectorELNS0_4arch9wavefront6targetE0EEEvSG_.has_dyn_sized_stack, 0
	.set _ZN7rocprim17ROCPRIM_400000_NS6detail17trampoline_kernelINS0_14default_configENS1_35radix_sort_onesweep_config_selectorIfNS0_10empty_typeEEEZZNS1_29radix_sort_onesweep_iterationIS3_Lb1EPKfPfPS5_SB_mNS0_19identity_decomposerENS1_16block_id_wrapperIjLb1EEEEE10hipError_tT1_PNSt15iterator_traitsISG_E10value_typeET2_T3_PNSH_ISM_E10value_typeET4_T5_PSR_SS_PNS1_23onesweep_lookback_stateEbbT6_jjT7_P12ihipStream_tbENKUlT_T0_SG_SL_E_clIS9_SA_SB_SB_EEDaSZ_S10_SG_SL_EUlSZ_E_NS1_11comp_targetILNS1_3genE3ELNS1_11target_archE908ELNS1_3gpuE7ELNS1_3repE0EEENS1_47radix_sort_onesweep_sort_config_static_selectorELNS0_4arch9wavefront6targetE0EEEvSG_.has_recursion, 0
	.set _ZN7rocprim17ROCPRIM_400000_NS6detail17trampoline_kernelINS0_14default_configENS1_35radix_sort_onesweep_config_selectorIfNS0_10empty_typeEEEZZNS1_29radix_sort_onesweep_iterationIS3_Lb1EPKfPfPS5_SB_mNS0_19identity_decomposerENS1_16block_id_wrapperIjLb1EEEEE10hipError_tT1_PNSt15iterator_traitsISG_E10value_typeET2_T3_PNSH_ISM_E10value_typeET4_T5_PSR_SS_PNS1_23onesweep_lookback_stateEbbT6_jjT7_P12ihipStream_tbENKUlT_T0_SG_SL_E_clIS9_SA_SB_SB_EEDaSZ_S10_SG_SL_EUlSZ_E_NS1_11comp_targetILNS1_3genE3ELNS1_11target_archE908ELNS1_3gpuE7ELNS1_3repE0EEENS1_47radix_sort_onesweep_sort_config_static_selectorELNS0_4arch9wavefront6targetE0EEEvSG_.has_indirect_call, 0
	.section	.AMDGPU.csdata,"",@progbits
; Kernel info:
; codeLenInByte = 0
; TotalNumSgprs: 0
; NumVgprs: 0
; ScratchSize: 0
; MemoryBound: 0
; FloatMode: 240
; IeeeMode: 1
; LDSByteSize: 0 bytes/workgroup (compile time only)
; SGPRBlocks: 0
; VGPRBlocks: 0
; NumSGPRsForWavesPerEU: 1
; NumVGPRsForWavesPerEU: 1
; NamedBarCnt: 0
; Occupancy: 16
; WaveLimiterHint : 0
; COMPUTE_PGM_RSRC2:SCRATCH_EN: 0
; COMPUTE_PGM_RSRC2:USER_SGPR: 2
; COMPUTE_PGM_RSRC2:TRAP_HANDLER: 0
; COMPUTE_PGM_RSRC2:TGID_X_EN: 1
; COMPUTE_PGM_RSRC2:TGID_Y_EN: 0
; COMPUTE_PGM_RSRC2:TGID_Z_EN: 0
; COMPUTE_PGM_RSRC2:TIDIG_COMP_CNT: 0
	.section	.text._ZN7rocprim17ROCPRIM_400000_NS6detail17trampoline_kernelINS0_14default_configENS1_35radix_sort_onesweep_config_selectorIfNS0_10empty_typeEEEZZNS1_29radix_sort_onesweep_iterationIS3_Lb1EPKfPfPS5_SB_mNS0_19identity_decomposerENS1_16block_id_wrapperIjLb1EEEEE10hipError_tT1_PNSt15iterator_traitsISG_E10value_typeET2_T3_PNSH_ISM_E10value_typeET4_T5_PSR_SS_PNS1_23onesweep_lookback_stateEbbT6_jjT7_P12ihipStream_tbENKUlT_T0_SG_SL_E_clIS9_SA_SB_SB_EEDaSZ_S10_SG_SL_EUlSZ_E_NS1_11comp_targetILNS1_3genE10ELNS1_11target_archE1201ELNS1_3gpuE5ELNS1_3repE0EEENS1_47radix_sort_onesweep_sort_config_static_selectorELNS0_4arch9wavefront6targetE0EEEvSG_,"axG",@progbits,_ZN7rocprim17ROCPRIM_400000_NS6detail17trampoline_kernelINS0_14default_configENS1_35radix_sort_onesweep_config_selectorIfNS0_10empty_typeEEEZZNS1_29radix_sort_onesweep_iterationIS3_Lb1EPKfPfPS5_SB_mNS0_19identity_decomposerENS1_16block_id_wrapperIjLb1EEEEE10hipError_tT1_PNSt15iterator_traitsISG_E10value_typeET2_T3_PNSH_ISM_E10value_typeET4_T5_PSR_SS_PNS1_23onesweep_lookback_stateEbbT6_jjT7_P12ihipStream_tbENKUlT_T0_SG_SL_E_clIS9_SA_SB_SB_EEDaSZ_S10_SG_SL_EUlSZ_E_NS1_11comp_targetILNS1_3genE10ELNS1_11target_archE1201ELNS1_3gpuE5ELNS1_3repE0EEENS1_47radix_sort_onesweep_sort_config_static_selectorELNS0_4arch9wavefront6targetE0EEEvSG_,comdat
	.protected	_ZN7rocprim17ROCPRIM_400000_NS6detail17trampoline_kernelINS0_14default_configENS1_35radix_sort_onesweep_config_selectorIfNS0_10empty_typeEEEZZNS1_29radix_sort_onesweep_iterationIS3_Lb1EPKfPfPS5_SB_mNS0_19identity_decomposerENS1_16block_id_wrapperIjLb1EEEEE10hipError_tT1_PNSt15iterator_traitsISG_E10value_typeET2_T3_PNSH_ISM_E10value_typeET4_T5_PSR_SS_PNS1_23onesweep_lookback_stateEbbT6_jjT7_P12ihipStream_tbENKUlT_T0_SG_SL_E_clIS9_SA_SB_SB_EEDaSZ_S10_SG_SL_EUlSZ_E_NS1_11comp_targetILNS1_3genE10ELNS1_11target_archE1201ELNS1_3gpuE5ELNS1_3repE0EEENS1_47radix_sort_onesweep_sort_config_static_selectorELNS0_4arch9wavefront6targetE0EEEvSG_ ; -- Begin function _ZN7rocprim17ROCPRIM_400000_NS6detail17trampoline_kernelINS0_14default_configENS1_35radix_sort_onesweep_config_selectorIfNS0_10empty_typeEEEZZNS1_29radix_sort_onesweep_iterationIS3_Lb1EPKfPfPS5_SB_mNS0_19identity_decomposerENS1_16block_id_wrapperIjLb1EEEEE10hipError_tT1_PNSt15iterator_traitsISG_E10value_typeET2_T3_PNSH_ISM_E10value_typeET4_T5_PSR_SS_PNS1_23onesweep_lookback_stateEbbT6_jjT7_P12ihipStream_tbENKUlT_T0_SG_SL_E_clIS9_SA_SB_SB_EEDaSZ_S10_SG_SL_EUlSZ_E_NS1_11comp_targetILNS1_3genE10ELNS1_11target_archE1201ELNS1_3gpuE5ELNS1_3repE0EEENS1_47radix_sort_onesweep_sort_config_static_selectorELNS0_4arch9wavefront6targetE0EEEvSG_
	.globl	_ZN7rocprim17ROCPRIM_400000_NS6detail17trampoline_kernelINS0_14default_configENS1_35radix_sort_onesweep_config_selectorIfNS0_10empty_typeEEEZZNS1_29radix_sort_onesweep_iterationIS3_Lb1EPKfPfPS5_SB_mNS0_19identity_decomposerENS1_16block_id_wrapperIjLb1EEEEE10hipError_tT1_PNSt15iterator_traitsISG_E10value_typeET2_T3_PNSH_ISM_E10value_typeET4_T5_PSR_SS_PNS1_23onesweep_lookback_stateEbbT6_jjT7_P12ihipStream_tbENKUlT_T0_SG_SL_E_clIS9_SA_SB_SB_EEDaSZ_S10_SG_SL_EUlSZ_E_NS1_11comp_targetILNS1_3genE10ELNS1_11target_archE1201ELNS1_3gpuE5ELNS1_3repE0EEENS1_47radix_sort_onesweep_sort_config_static_selectorELNS0_4arch9wavefront6targetE0EEEvSG_
	.p2align	8
	.type	_ZN7rocprim17ROCPRIM_400000_NS6detail17trampoline_kernelINS0_14default_configENS1_35radix_sort_onesweep_config_selectorIfNS0_10empty_typeEEEZZNS1_29radix_sort_onesweep_iterationIS3_Lb1EPKfPfPS5_SB_mNS0_19identity_decomposerENS1_16block_id_wrapperIjLb1EEEEE10hipError_tT1_PNSt15iterator_traitsISG_E10value_typeET2_T3_PNSH_ISM_E10value_typeET4_T5_PSR_SS_PNS1_23onesweep_lookback_stateEbbT6_jjT7_P12ihipStream_tbENKUlT_T0_SG_SL_E_clIS9_SA_SB_SB_EEDaSZ_S10_SG_SL_EUlSZ_E_NS1_11comp_targetILNS1_3genE10ELNS1_11target_archE1201ELNS1_3gpuE5ELNS1_3repE0EEENS1_47radix_sort_onesweep_sort_config_static_selectorELNS0_4arch9wavefront6targetE0EEEvSG_,@function
_ZN7rocprim17ROCPRIM_400000_NS6detail17trampoline_kernelINS0_14default_configENS1_35radix_sort_onesweep_config_selectorIfNS0_10empty_typeEEEZZNS1_29radix_sort_onesweep_iterationIS3_Lb1EPKfPfPS5_SB_mNS0_19identity_decomposerENS1_16block_id_wrapperIjLb1EEEEE10hipError_tT1_PNSt15iterator_traitsISG_E10value_typeET2_T3_PNSH_ISM_E10value_typeET4_T5_PSR_SS_PNS1_23onesweep_lookback_stateEbbT6_jjT7_P12ihipStream_tbENKUlT_T0_SG_SL_E_clIS9_SA_SB_SB_EEDaSZ_S10_SG_SL_EUlSZ_E_NS1_11comp_targetILNS1_3genE10ELNS1_11target_archE1201ELNS1_3gpuE5ELNS1_3repE0EEENS1_47radix_sort_onesweep_sort_config_static_selectorELNS0_4arch9wavefront6targetE0EEEvSG_: ; @_ZN7rocprim17ROCPRIM_400000_NS6detail17trampoline_kernelINS0_14default_configENS1_35radix_sort_onesweep_config_selectorIfNS0_10empty_typeEEEZZNS1_29radix_sort_onesweep_iterationIS3_Lb1EPKfPfPS5_SB_mNS0_19identity_decomposerENS1_16block_id_wrapperIjLb1EEEEE10hipError_tT1_PNSt15iterator_traitsISG_E10value_typeET2_T3_PNSH_ISM_E10value_typeET4_T5_PSR_SS_PNS1_23onesweep_lookback_stateEbbT6_jjT7_P12ihipStream_tbENKUlT_T0_SG_SL_E_clIS9_SA_SB_SB_EEDaSZ_S10_SG_SL_EUlSZ_E_NS1_11comp_targetILNS1_3genE10ELNS1_11target_archE1201ELNS1_3gpuE5ELNS1_3repE0EEENS1_47radix_sort_onesweep_sort_config_static_selectorELNS0_4arch9wavefront6targetE0EEEvSG_
; %bb.0:
	.section	.rodata,"a",@progbits
	.p2align	6, 0x0
	.amdhsa_kernel _ZN7rocprim17ROCPRIM_400000_NS6detail17trampoline_kernelINS0_14default_configENS1_35radix_sort_onesweep_config_selectorIfNS0_10empty_typeEEEZZNS1_29radix_sort_onesweep_iterationIS3_Lb1EPKfPfPS5_SB_mNS0_19identity_decomposerENS1_16block_id_wrapperIjLb1EEEEE10hipError_tT1_PNSt15iterator_traitsISG_E10value_typeET2_T3_PNSH_ISM_E10value_typeET4_T5_PSR_SS_PNS1_23onesweep_lookback_stateEbbT6_jjT7_P12ihipStream_tbENKUlT_T0_SG_SL_E_clIS9_SA_SB_SB_EEDaSZ_S10_SG_SL_EUlSZ_E_NS1_11comp_targetILNS1_3genE10ELNS1_11target_archE1201ELNS1_3gpuE5ELNS1_3repE0EEENS1_47radix_sort_onesweep_sort_config_static_selectorELNS0_4arch9wavefront6targetE0EEEvSG_
		.amdhsa_group_segment_fixed_size 0
		.amdhsa_private_segment_fixed_size 0
		.amdhsa_kernarg_size 88
		.amdhsa_user_sgpr_count 2
		.amdhsa_user_sgpr_dispatch_ptr 0
		.amdhsa_user_sgpr_queue_ptr 0
		.amdhsa_user_sgpr_kernarg_segment_ptr 1
		.amdhsa_user_sgpr_dispatch_id 0
		.amdhsa_user_sgpr_kernarg_preload_length 0
		.amdhsa_user_sgpr_kernarg_preload_offset 0
		.amdhsa_user_sgpr_private_segment_size 0
		.amdhsa_wavefront_size32 1
		.amdhsa_uses_dynamic_stack 0
		.amdhsa_enable_private_segment 0
		.amdhsa_system_sgpr_workgroup_id_x 1
		.amdhsa_system_sgpr_workgroup_id_y 0
		.amdhsa_system_sgpr_workgroup_id_z 0
		.amdhsa_system_sgpr_workgroup_info 0
		.amdhsa_system_vgpr_workitem_id 0
		.amdhsa_next_free_vgpr 1
		.amdhsa_next_free_sgpr 1
		.amdhsa_named_barrier_count 0
		.amdhsa_reserve_vcc 0
		.amdhsa_float_round_mode_32 0
		.amdhsa_float_round_mode_16_64 0
		.amdhsa_float_denorm_mode_32 3
		.amdhsa_float_denorm_mode_16_64 3
		.amdhsa_fp16_overflow 0
		.amdhsa_memory_ordered 1
		.amdhsa_forward_progress 1
		.amdhsa_inst_pref_size 0
		.amdhsa_round_robin_scheduling 0
		.amdhsa_exception_fp_ieee_invalid_op 0
		.amdhsa_exception_fp_denorm_src 0
		.amdhsa_exception_fp_ieee_div_zero 0
		.amdhsa_exception_fp_ieee_overflow 0
		.amdhsa_exception_fp_ieee_underflow 0
		.amdhsa_exception_fp_ieee_inexact 0
		.amdhsa_exception_int_div_zero 0
	.end_amdhsa_kernel
	.section	.text._ZN7rocprim17ROCPRIM_400000_NS6detail17trampoline_kernelINS0_14default_configENS1_35radix_sort_onesweep_config_selectorIfNS0_10empty_typeEEEZZNS1_29radix_sort_onesweep_iterationIS3_Lb1EPKfPfPS5_SB_mNS0_19identity_decomposerENS1_16block_id_wrapperIjLb1EEEEE10hipError_tT1_PNSt15iterator_traitsISG_E10value_typeET2_T3_PNSH_ISM_E10value_typeET4_T5_PSR_SS_PNS1_23onesweep_lookback_stateEbbT6_jjT7_P12ihipStream_tbENKUlT_T0_SG_SL_E_clIS9_SA_SB_SB_EEDaSZ_S10_SG_SL_EUlSZ_E_NS1_11comp_targetILNS1_3genE10ELNS1_11target_archE1201ELNS1_3gpuE5ELNS1_3repE0EEENS1_47radix_sort_onesweep_sort_config_static_selectorELNS0_4arch9wavefront6targetE0EEEvSG_,"axG",@progbits,_ZN7rocprim17ROCPRIM_400000_NS6detail17trampoline_kernelINS0_14default_configENS1_35radix_sort_onesweep_config_selectorIfNS0_10empty_typeEEEZZNS1_29radix_sort_onesweep_iterationIS3_Lb1EPKfPfPS5_SB_mNS0_19identity_decomposerENS1_16block_id_wrapperIjLb1EEEEE10hipError_tT1_PNSt15iterator_traitsISG_E10value_typeET2_T3_PNSH_ISM_E10value_typeET4_T5_PSR_SS_PNS1_23onesweep_lookback_stateEbbT6_jjT7_P12ihipStream_tbENKUlT_T0_SG_SL_E_clIS9_SA_SB_SB_EEDaSZ_S10_SG_SL_EUlSZ_E_NS1_11comp_targetILNS1_3genE10ELNS1_11target_archE1201ELNS1_3gpuE5ELNS1_3repE0EEENS1_47radix_sort_onesweep_sort_config_static_selectorELNS0_4arch9wavefront6targetE0EEEvSG_,comdat
.Lfunc_end1325:
	.size	_ZN7rocprim17ROCPRIM_400000_NS6detail17trampoline_kernelINS0_14default_configENS1_35radix_sort_onesweep_config_selectorIfNS0_10empty_typeEEEZZNS1_29radix_sort_onesweep_iterationIS3_Lb1EPKfPfPS5_SB_mNS0_19identity_decomposerENS1_16block_id_wrapperIjLb1EEEEE10hipError_tT1_PNSt15iterator_traitsISG_E10value_typeET2_T3_PNSH_ISM_E10value_typeET4_T5_PSR_SS_PNS1_23onesweep_lookback_stateEbbT6_jjT7_P12ihipStream_tbENKUlT_T0_SG_SL_E_clIS9_SA_SB_SB_EEDaSZ_S10_SG_SL_EUlSZ_E_NS1_11comp_targetILNS1_3genE10ELNS1_11target_archE1201ELNS1_3gpuE5ELNS1_3repE0EEENS1_47radix_sort_onesweep_sort_config_static_selectorELNS0_4arch9wavefront6targetE0EEEvSG_, .Lfunc_end1325-_ZN7rocprim17ROCPRIM_400000_NS6detail17trampoline_kernelINS0_14default_configENS1_35radix_sort_onesweep_config_selectorIfNS0_10empty_typeEEEZZNS1_29radix_sort_onesweep_iterationIS3_Lb1EPKfPfPS5_SB_mNS0_19identity_decomposerENS1_16block_id_wrapperIjLb1EEEEE10hipError_tT1_PNSt15iterator_traitsISG_E10value_typeET2_T3_PNSH_ISM_E10value_typeET4_T5_PSR_SS_PNS1_23onesweep_lookback_stateEbbT6_jjT7_P12ihipStream_tbENKUlT_T0_SG_SL_E_clIS9_SA_SB_SB_EEDaSZ_S10_SG_SL_EUlSZ_E_NS1_11comp_targetILNS1_3genE10ELNS1_11target_archE1201ELNS1_3gpuE5ELNS1_3repE0EEENS1_47radix_sort_onesweep_sort_config_static_selectorELNS0_4arch9wavefront6targetE0EEEvSG_
                                        ; -- End function
	.set _ZN7rocprim17ROCPRIM_400000_NS6detail17trampoline_kernelINS0_14default_configENS1_35radix_sort_onesweep_config_selectorIfNS0_10empty_typeEEEZZNS1_29radix_sort_onesweep_iterationIS3_Lb1EPKfPfPS5_SB_mNS0_19identity_decomposerENS1_16block_id_wrapperIjLb1EEEEE10hipError_tT1_PNSt15iterator_traitsISG_E10value_typeET2_T3_PNSH_ISM_E10value_typeET4_T5_PSR_SS_PNS1_23onesweep_lookback_stateEbbT6_jjT7_P12ihipStream_tbENKUlT_T0_SG_SL_E_clIS9_SA_SB_SB_EEDaSZ_S10_SG_SL_EUlSZ_E_NS1_11comp_targetILNS1_3genE10ELNS1_11target_archE1201ELNS1_3gpuE5ELNS1_3repE0EEENS1_47radix_sort_onesweep_sort_config_static_selectorELNS0_4arch9wavefront6targetE0EEEvSG_.num_vgpr, 0
	.set _ZN7rocprim17ROCPRIM_400000_NS6detail17trampoline_kernelINS0_14default_configENS1_35radix_sort_onesweep_config_selectorIfNS0_10empty_typeEEEZZNS1_29radix_sort_onesweep_iterationIS3_Lb1EPKfPfPS5_SB_mNS0_19identity_decomposerENS1_16block_id_wrapperIjLb1EEEEE10hipError_tT1_PNSt15iterator_traitsISG_E10value_typeET2_T3_PNSH_ISM_E10value_typeET4_T5_PSR_SS_PNS1_23onesweep_lookback_stateEbbT6_jjT7_P12ihipStream_tbENKUlT_T0_SG_SL_E_clIS9_SA_SB_SB_EEDaSZ_S10_SG_SL_EUlSZ_E_NS1_11comp_targetILNS1_3genE10ELNS1_11target_archE1201ELNS1_3gpuE5ELNS1_3repE0EEENS1_47radix_sort_onesweep_sort_config_static_selectorELNS0_4arch9wavefront6targetE0EEEvSG_.num_agpr, 0
	.set _ZN7rocprim17ROCPRIM_400000_NS6detail17trampoline_kernelINS0_14default_configENS1_35radix_sort_onesweep_config_selectorIfNS0_10empty_typeEEEZZNS1_29radix_sort_onesweep_iterationIS3_Lb1EPKfPfPS5_SB_mNS0_19identity_decomposerENS1_16block_id_wrapperIjLb1EEEEE10hipError_tT1_PNSt15iterator_traitsISG_E10value_typeET2_T3_PNSH_ISM_E10value_typeET4_T5_PSR_SS_PNS1_23onesweep_lookback_stateEbbT6_jjT7_P12ihipStream_tbENKUlT_T0_SG_SL_E_clIS9_SA_SB_SB_EEDaSZ_S10_SG_SL_EUlSZ_E_NS1_11comp_targetILNS1_3genE10ELNS1_11target_archE1201ELNS1_3gpuE5ELNS1_3repE0EEENS1_47radix_sort_onesweep_sort_config_static_selectorELNS0_4arch9wavefront6targetE0EEEvSG_.numbered_sgpr, 0
	.set _ZN7rocprim17ROCPRIM_400000_NS6detail17trampoline_kernelINS0_14default_configENS1_35radix_sort_onesweep_config_selectorIfNS0_10empty_typeEEEZZNS1_29radix_sort_onesweep_iterationIS3_Lb1EPKfPfPS5_SB_mNS0_19identity_decomposerENS1_16block_id_wrapperIjLb1EEEEE10hipError_tT1_PNSt15iterator_traitsISG_E10value_typeET2_T3_PNSH_ISM_E10value_typeET4_T5_PSR_SS_PNS1_23onesweep_lookback_stateEbbT6_jjT7_P12ihipStream_tbENKUlT_T0_SG_SL_E_clIS9_SA_SB_SB_EEDaSZ_S10_SG_SL_EUlSZ_E_NS1_11comp_targetILNS1_3genE10ELNS1_11target_archE1201ELNS1_3gpuE5ELNS1_3repE0EEENS1_47radix_sort_onesweep_sort_config_static_selectorELNS0_4arch9wavefront6targetE0EEEvSG_.num_named_barrier, 0
	.set _ZN7rocprim17ROCPRIM_400000_NS6detail17trampoline_kernelINS0_14default_configENS1_35radix_sort_onesweep_config_selectorIfNS0_10empty_typeEEEZZNS1_29radix_sort_onesweep_iterationIS3_Lb1EPKfPfPS5_SB_mNS0_19identity_decomposerENS1_16block_id_wrapperIjLb1EEEEE10hipError_tT1_PNSt15iterator_traitsISG_E10value_typeET2_T3_PNSH_ISM_E10value_typeET4_T5_PSR_SS_PNS1_23onesweep_lookback_stateEbbT6_jjT7_P12ihipStream_tbENKUlT_T0_SG_SL_E_clIS9_SA_SB_SB_EEDaSZ_S10_SG_SL_EUlSZ_E_NS1_11comp_targetILNS1_3genE10ELNS1_11target_archE1201ELNS1_3gpuE5ELNS1_3repE0EEENS1_47radix_sort_onesweep_sort_config_static_selectorELNS0_4arch9wavefront6targetE0EEEvSG_.private_seg_size, 0
	.set _ZN7rocprim17ROCPRIM_400000_NS6detail17trampoline_kernelINS0_14default_configENS1_35radix_sort_onesweep_config_selectorIfNS0_10empty_typeEEEZZNS1_29radix_sort_onesweep_iterationIS3_Lb1EPKfPfPS5_SB_mNS0_19identity_decomposerENS1_16block_id_wrapperIjLb1EEEEE10hipError_tT1_PNSt15iterator_traitsISG_E10value_typeET2_T3_PNSH_ISM_E10value_typeET4_T5_PSR_SS_PNS1_23onesweep_lookback_stateEbbT6_jjT7_P12ihipStream_tbENKUlT_T0_SG_SL_E_clIS9_SA_SB_SB_EEDaSZ_S10_SG_SL_EUlSZ_E_NS1_11comp_targetILNS1_3genE10ELNS1_11target_archE1201ELNS1_3gpuE5ELNS1_3repE0EEENS1_47radix_sort_onesweep_sort_config_static_selectorELNS0_4arch9wavefront6targetE0EEEvSG_.uses_vcc, 0
	.set _ZN7rocprim17ROCPRIM_400000_NS6detail17trampoline_kernelINS0_14default_configENS1_35radix_sort_onesweep_config_selectorIfNS0_10empty_typeEEEZZNS1_29radix_sort_onesweep_iterationIS3_Lb1EPKfPfPS5_SB_mNS0_19identity_decomposerENS1_16block_id_wrapperIjLb1EEEEE10hipError_tT1_PNSt15iterator_traitsISG_E10value_typeET2_T3_PNSH_ISM_E10value_typeET4_T5_PSR_SS_PNS1_23onesweep_lookback_stateEbbT6_jjT7_P12ihipStream_tbENKUlT_T0_SG_SL_E_clIS9_SA_SB_SB_EEDaSZ_S10_SG_SL_EUlSZ_E_NS1_11comp_targetILNS1_3genE10ELNS1_11target_archE1201ELNS1_3gpuE5ELNS1_3repE0EEENS1_47radix_sort_onesweep_sort_config_static_selectorELNS0_4arch9wavefront6targetE0EEEvSG_.uses_flat_scratch, 0
	.set _ZN7rocprim17ROCPRIM_400000_NS6detail17trampoline_kernelINS0_14default_configENS1_35radix_sort_onesweep_config_selectorIfNS0_10empty_typeEEEZZNS1_29radix_sort_onesweep_iterationIS3_Lb1EPKfPfPS5_SB_mNS0_19identity_decomposerENS1_16block_id_wrapperIjLb1EEEEE10hipError_tT1_PNSt15iterator_traitsISG_E10value_typeET2_T3_PNSH_ISM_E10value_typeET4_T5_PSR_SS_PNS1_23onesweep_lookback_stateEbbT6_jjT7_P12ihipStream_tbENKUlT_T0_SG_SL_E_clIS9_SA_SB_SB_EEDaSZ_S10_SG_SL_EUlSZ_E_NS1_11comp_targetILNS1_3genE10ELNS1_11target_archE1201ELNS1_3gpuE5ELNS1_3repE0EEENS1_47radix_sort_onesweep_sort_config_static_selectorELNS0_4arch9wavefront6targetE0EEEvSG_.has_dyn_sized_stack, 0
	.set _ZN7rocprim17ROCPRIM_400000_NS6detail17trampoline_kernelINS0_14default_configENS1_35radix_sort_onesweep_config_selectorIfNS0_10empty_typeEEEZZNS1_29radix_sort_onesweep_iterationIS3_Lb1EPKfPfPS5_SB_mNS0_19identity_decomposerENS1_16block_id_wrapperIjLb1EEEEE10hipError_tT1_PNSt15iterator_traitsISG_E10value_typeET2_T3_PNSH_ISM_E10value_typeET4_T5_PSR_SS_PNS1_23onesweep_lookback_stateEbbT6_jjT7_P12ihipStream_tbENKUlT_T0_SG_SL_E_clIS9_SA_SB_SB_EEDaSZ_S10_SG_SL_EUlSZ_E_NS1_11comp_targetILNS1_3genE10ELNS1_11target_archE1201ELNS1_3gpuE5ELNS1_3repE0EEENS1_47radix_sort_onesweep_sort_config_static_selectorELNS0_4arch9wavefront6targetE0EEEvSG_.has_recursion, 0
	.set _ZN7rocprim17ROCPRIM_400000_NS6detail17trampoline_kernelINS0_14default_configENS1_35radix_sort_onesweep_config_selectorIfNS0_10empty_typeEEEZZNS1_29radix_sort_onesweep_iterationIS3_Lb1EPKfPfPS5_SB_mNS0_19identity_decomposerENS1_16block_id_wrapperIjLb1EEEEE10hipError_tT1_PNSt15iterator_traitsISG_E10value_typeET2_T3_PNSH_ISM_E10value_typeET4_T5_PSR_SS_PNS1_23onesweep_lookback_stateEbbT6_jjT7_P12ihipStream_tbENKUlT_T0_SG_SL_E_clIS9_SA_SB_SB_EEDaSZ_S10_SG_SL_EUlSZ_E_NS1_11comp_targetILNS1_3genE10ELNS1_11target_archE1201ELNS1_3gpuE5ELNS1_3repE0EEENS1_47radix_sort_onesweep_sort_config_static_selectorELNS0_4arch9wavefront6targetE0EEEvSG_.has_indirect_call, 0
	.section	.AMDGPU.csdata,"",@progbits
; Kernel info:
; codeLenInByte = 0
; TotalNumSgprs: 0
; NumVgprs: 0
; ScratchSize: 0
; MemoryBound: 0
; FloatMode: 240
; IeeeMode: 1
; LDSByteSize: 0 bytes/workgroup (compile time only)
; SGPRBlocks: 0
; VGPRBlocks: 0
; NumSGPRsForWavesPerEU: 1
; NumVGPRsForWavesPerEU: 1
; NamedBarCnt: 0
; Occupancy: 16
; WaveLimiterHint : 0
; COMPUTE_PGM_RSRC2:SCRATCH_EN: 0
; COMPUTE_PGM_RSRC2:USER_SGPR: 2
; COMPUTE_PGM_RSRC2:TRAP_HANDLER: 0
; COMPUTE_PGM_RSRC2:TGID_X_EN: 1
; COMPUTE_PGM_RSRC2:TGID_Y_EN: 0
; COMPUTE_PGM_RSRC2:TGID_Z_EN: 0
; COMPUTE_PGM_RSRC2:TIDIG_COMP_CNT: 0
	.section	.text._ZN7rocprim17ROCPRIM_400000_NS6detail17trampoline_kernelINS0_14default_configENS1_35radix_sort_onesweep_config_selectorIfNS0_10empty_typeEEEZZNS1_29radix_sort_onesweep_iterationIS3_Lb1EPKfPfPS5_SB_mNS0_19identity_decomposerENS1_16block_id_wrapperIjLb1EEEEE10hipError_tT1_PNSt15iterator_traitsISG_E10value_typeET2_T3_PNSH_ISM_E10value_typeET4_T5_PSR_SS_PNS1_23onesweep_lookback_stateEbbT6_jjT7_P12ihipStream_tbENKUlT_T0_SG_SL_E_clIS9_SA_SB_SB_EEDaSZ_S10_SG_SL_EUlSZ_E_NS1_11comp_targetILNS1_3genE9ELNS1_11target_archE1100ELNS1_3gpuE3ELNS1_3repE0EEENS1_47radix_sort_onesweep_sort_config_static_selectorELNS0_4arch9wavefront6targetE0EEEvSG_,"axG",@progbits,_ZN7rocprim17ROCPRIM_400000_NS6detail17trampoline_kernelINS0_14default_configENS1_35radix_sort_onesweep_config_selectorIfNS0_10empty_typeEEEZZNS1_29radix_sort_onesweep_iterationIS3_Lb1EPKfPfPS5_SB_mNS0_19identity_decomposerENS1_16block_id_wrapperIjLb1EEEEE10hipError_tT1_PNSt15iterator_traitsISG_E10value_typeET2_T3_PNSH_ISM_E10value_typeET4_T5_PSR_SS_PNS1_23onesweep_lookback_stateEbbT6_jjT7_P12ihipStream_tbENKUlT_T0_SG_SL_E_clIS9_SA_SB_SB_EEDaSZ_S10_SG_SL_EUlSZ_E_NS1_11comp_targetILNS1_3genE9ELNS1_11target_archE1100ELNS1_3gpuE3ELNS1_3repE0EEENS1_47radix_sort_onesweep_sort_config_static_selectorELNS0_4arch9wavefront6targetE0EEEvSG_,comdat
	.protected	_ZN7rocprim17ROCPRIM_400000_NS6detail17trampoline_kernelINS0_14default_configENS1_35radix_sort_onesweep_config_selectorIfNS0_10empty_typeEEEZZNS1_29radix_sort_onesweep_iterationIS3_Lb1EPKfPfPS5_SB_mNS0_19identity_decomposerENS1_16block_id_wrapperIjLb1EEEEE10hipError_tT1_PNSt15iterator_traitsISG_E10value_typeET2_T3_PNSH_ISM_E10value_typeET4_T5_PSR_SS_PNS1_23onesweep_lookback_stateEbbT6_jjT7_P12ihipStream_tbENKUlT_T0_SG_SL_E_clIS9_SA_SB_SB_EEDaSZ_S10_SG_SL_EUlSZ_E_NS1_11comp_targetILNS1_3genE9ELNS1_11target_archE1100ELNS1_3gpuE3ELNS1_3repE0EEENS1_47radix_sort_onesweep_sort_config_static_selectorELNS0_4arch9wavefront6targetE0EEEvSG_ ; -- Begin function _ZN7rocprim17ROCPRIM_400000_NS6detail17trampoline_kernelINS0_14default_configENS1_35radix_sort_onesweep_config_selectorIfNS0_10empty_typeEEEZZNS1_29radix_sort_onesweep_iterationIS3_Lb1EPKfPfPS5_SB_mNS0_19identity_decomposerENS1_16block_id_wrapperIjLb1EEEEE10hipError_tT1_PNSt15iterator_traitsISG_E10value_typeET2_T3_PNSH_ISM_E10value_typeET4_T5_PSR_SS_PNS1_23onesweep_lookback_stateEbbT6_jjT7_P12ihipStream_tbENKUlT_T0_SG_SL_E_clIS9_SA_SB_SB_EEDaSZ_S10_SG_SL_EUlSZ_E_NS1_11comp_targetILNS1_3genE9ELNS1_11target_archE1100ELNS1_3gpuE3ELNS1_3repE0EEENS1_47radix_sort_onesweep_sort_config_static_selectorELNS0_4arch9wavefront6targetE0EEEvSG_
	.globl	_ZN7rocprim17ROCPRIM_400000_NS6detail17trampoline_kernelINS0_14default_configENS1_35radix_sort_onesweep_config_selectorIfNS0_10empty_typeEEEZZNS1_29radix_sort_onesweep_iterationIS3_Lb1EPKfPfPS5_SB_mNS0_19identity_decomposerENS1_16block_id_wrapperIjLb1EEEEE10hipError_tT1_PNSt15iterator_traitsISG_E10value_typeET2_T3_PNSH_ISM_E10value_typeET4_T5_PSR_SS_PNS1_23onesweep_lookback_stateEbbT6_jjT7_P12ihipStream_tbENKUlT_T0_SG_SL_E_clIS9_SA_SB_SB_EEDaSZ_S10_SG_SL_EUlSZ_E_NS1_11comp_targetILNS1_3genE9ELNS1_11target_archE1100ELNS1_3gpuE3ELNS1_3repE0EEENS1_47radix_sort_onesweep_sort_config_static_selectorELNS0_4arch9wavefront6targetE0EEEvSG_
	.p2align	8
	.type	_ZN7rocprim17ROCPRIM_400000_NS6detail17trampoline_kernelINS0_14default_configENS1_35radix_sort_onesweep_config_selectorIfNS0_10empty_typeEEEZZNS1_29radix_sort_onesweep_iterationIS3_Lb1EPKfPfPS5_SB_mNS0_19identity_decomposerENS1_16block_id_wrapperIjLb1EEEEE10hipError_tT1_PNSt15iterator_traitsISG_E10value_typeET2_T3_PNSH_ISM_E10value_typeET4_T5_PSR_SS_PNS1_23onesweep_lookback_stateEbbT6_jjT7_P12ihipStream_tbENKUlT_T0_SG_SL_E_clIS9_SA_SB_SB_EEDaSZ_S10_SG_SL_EUlSZ_E_NS1_11comp_targetILNS1_3genE9ELNS1_11target_archE1100ELNS1_3gpuE3ELNS1_3repE0EEENS1_47radix_sort_onesweep_sort_config_static_selectorELNS0_4arch9wavefront6targetE0EEEvSG_,@function
_ZN7rocprim17ROCPRIM_400000_NS6detail17trampoline_kernelINS0_14default_configENS1_35radix_sort_onesweep_config_selectorIfNS0_10empty_typeEEEZZNS1_29radix_sort_onesweep_iterationIS3_Lb1EPKfPfPS5_SB_mNS0_19identity_decomposerENS1_16block_id_wrapperIjLb1EEEEE10hipError_tT1_PNSt15iterator_traitsISG_E10value_typeET2_T3_PNSH_ISM_E10value_typeET4_T5_PSR_SS_PNS1_23onesweep_lookback_stateEbbT6_jjT7_P12ihipStream_tbENKUlT_T0_SG_SL_E_clIS9_SA_SB_SB_EEDaSZ_S10_SG_SL_EUlSZ_E_NS1_11comp_targetILNS1_3genE9ELNS1_11target_archE1100ELNS1_3gpuE3ELNS1_3repE0EEENS1_47radix_sort_onesweep_sort_config_static_selectorELNS0_4arch9wavefront6targetE0EEEvSG_: ; @_ZN7rocprim17ROCPRIM_400000_NS6detail17trampoline_kernelINS0_14default_configENS1_35radix_sort_onesweep_config_selectorIfNS0_10empty_typeEEEZZNS1_29radix_sort_onesweep_iterationIS3_Lb1EPKfPfPS5_SB_mNS0_19identity_decomposerENS1_16block_id_wrapperIjLb1EEEEE10hipError_tT1_PNSt15iterator_traitsISG_E10value_typeET2_T3_PNSH_ISM_E10value_typeET4_T5_PSR_SS_PNS1_23onesweep_lookback_stateEbbT6_jjT7_P12ihipStream_tbENKUlT_T0_SG_SL_E_clIS9_SA_SB_SB_EEDaSZ_S10_SG_SL_EUlSZ_E_NS1_11comp_targetILNS1_3genE9ELNS1_11target_archE1100ELNS1_3gpuE3ELNS1_3repE0EEENS1_47radix_sort_onesweep_sort_config_static_selectorELNS0_4arch9wavefront6targetE0EEEvSG_
; %bb.0:
	.section	.rodata,"a",@progbits
	.p2align	6, 0x0
	.amdhsa_kernel _ZN7rocprim17ROCPRIM_400000_NS6detail17trampoline_kernelINS0_14default_configENS1_35radix_sort_onesweep_config_selectorIfNS0_10empty_typeEEEZZNS1_29radix_sort_onesweep_iterationIS3_Lb1EPKfPfPS5_SB_mNS0_19identity_decomposerENS1_16block_id_wrapperIjLb1EEEEE10hipError_tT1_PNSt15iterator_traitsISG_E10value_typeET2_T3_PNSH_ISM_E10value_typeET4_T5_PSR_SS_PNS1_23onesweep_lookback_stateEbbT6_jjT7_P12ihipStream_tbENKUlT_T0_SG_SL_E_clIS9_SA_SB_SB_EEDaSZ_S10_SG_SL_EUlSZ_E_NS1_11comp_targetILNS1_3genE9ELNS1_11target_archE1100ELNS1_3gpuE3ELNS1_3repE0EEENS1_47radix_sort_onesweep_sort_config_static_selectorELNS0_4arch9wavefront6targetE0EEEvSG_
		.amdhsa_group_segment_fixed_size 0
		.amdhsa_private_segment_fixed_size 0
		.amdhsa_kernarg_size 88
		.amdhsa_user_sgpr_count 2
		.amdhsa_user_sgpr_dispatch_ptr 0
		.amdhsa_user_sgpr_queue_ptr 0
		.amdhsa_user_sgpr_kernarg_segment_ptr 1
		.amdhsa_user_sgpr_dispatch_id 0
		.amdhsa_user_sgpr_kernarg_preload_length 0
		.amdhsa_user_sgpr_kernarg_preload_offset 0
		.amdhsa_user_sgpr_private_segment_size 0
		.amdhsa_wavefront_size32 1
		.amdhsa_uses_dynamic_stack 0
		.amdhsa_enable_private_segment 0
		.amdhsa_system_sgpr_workgroup_id_x 1
		.amdhsa_system_sgpr_workgroup_id_y 0
		.amdhsa_system_sgpr_workgroup_id_z 0
		.amdhsa_system_sgpr_workgroup_info 0
		.amdhsa_system_vgpr_workitem_id 0
		.amdhsa_next_free_vgpr 1
		.amdhsa_next_free_sgpr 1
		.amdhsa_named_barrier_count 0
		.amdhsa_reserve_vcc 0
		.amdhsa_float_round_mode_32 0
		.amdhsa_float_round_mode_16_64 0
		.amdhsa_float_denorm_mode_32 3
		.amdhsa_float_denorm_mode_16_64 3
		.amdhsa_fp16_overflow 0
		.amdhsa_memory_ordered 1
		.amdhsa_forward_progress 1
		.amdhsa_inst_pref_size 0
		.amdhsa_round_robin_scheduling 0
		.amdhsa_exception_fp_ieee_invalid_op 0
		.amdhsa_exception_fp_denorm_src 0
		.amdhsa_exception_fp_ieee_div_zero 0
		.amdhsa_exception_fp_ieee_overflow 0
		.amdhsa_exception_fp_ieee_underflow 0
		.amdhsa_exception_fp_ieee_inexact 0
		.amdhsa_exception_int_div_zero 0
	.end_amdhsa_kernel
	.section	.text._ZN7rocprim17ROCPRIM_400000_NS6detail17trampoline_kernelINS0_14default_configENS1_35radix_sort_onesweep_config_selectorIfNS0_10empty_typeEEEZZNS1_29radix_sort_onesweep_iterationIS3_Lb1EPKfPfPS5_SB_mNS0_19identity_decomposerENS1_16block_id_wrapperIjLb1EEEEE10hipError_tT1_PNSt15iterator_traitsISG_E10value_typeET2_T3_PNSH_ISM_E10value_typeET4_T5_PSR_SS_PNS1_23onesweep_lookback_stateEbbT6_jjT7_P12ihipStream_tbENKUlT_T0_SG_SL_E_clIS9_SA_SB_SB_EEDaSZ_S10_SG_SL_EUlSZ_E_NS1_11comp_targetILNS1_3genE9ELNS1_11target_archE1100ELNS1_3gpuE3ELNS1_3repE0EEENS1_47radix_sort_onesweep_sort_config_static_selectorELNS0_4arch9wavefront6targetE0EEEvSG_,"axG",@progbits,_ZN7rocprim17ROCPRIM_400000_NS6detail17trampoline_kernelINS0_14default_configENS1_35radix_sort_onesweep_config_selectorIfNS0_10empty_typeEEEZZNS1_29radix_sort_onesweep_iterationIS3_Lb1EPKfPfPS5_SB_mNS0_19identity_decomposerENS1_16block_id_wrapperIjLb1EEEEE10hipError_tT1_PNSt15iterator_traitsISG_E10value_typeET2_T3_PNSH_ISM_E10value_typeET4_T5_PSR_SS_PNS1_23onesweep_lookback_stateEbbT6_jjT7_P12ihipStream_tbENKUlT_T0_SG_SL_E_clIS9_SA_SB_SB_EEDaSZ_S10_SG_SL_EUlSZ_E_NS1_11comp_targetILNS1_3genE9ELNS1_11target_archE1100ELNS1_3gpuE3ELNS1_3repE0EEENS1_47radix_sort_onesweep_sort_config_static_selectorELNS0_4arch9wavefront6targetE0EEEvSG_,comdat
.Lfunc_end1326:
	.size	_ZN7rocprim17ROCPRIM_400000_NS6detail17trampoline_kernelINS0_14default_configENS1_35radix_sort_onesweep_config_selectorIfNS0_10empty_typeEEEZZNS1_29radix_sort_onesweep_iterationIS3_Lb1EPKfPfPS5_SB_mNS0_19identity_decomposerENS1_16block_id_wrapperIjLb1EEEEE10hipError_tT1_PNSt15iterator_traitsISG_E10value_typeET2_T3_PNSH_ISM_E10value_typeET4_T5_PSR_SS_PNS1_23onesweep_lookback_stateEbbT6_jjT7_P12ihipStream_tbENKUlT_T0_SG_SL_E_clIS9_SA_SB_SB_EEDaSZ_S10_SG_SL_EUlSZ_E_NS1_11comp_targetILNS1_3genE9ELNS1_11target_archE1100ELNS1_3gpuE3ELNS1_3repE0EEENS1_47radix_sort_onesweep_sort_config_static_selectorELNS0_4arch9wavefront6targetE0EEEvSG_, .Lfunc_end1326-_ZN7rocprim17ROCPRIM_400000_NS6detail17trampoline_kernelINS0_14default_configENS1_35radix_sort_onesweep_config_selectorIfNS0_10empty_typeEEEZZNS1_29radix_sort_onesweep_iterationIS3_Lb1EPKfPfPS5_SB_mNS0_19identity_decomposerENS1_16block_id_wrapperIjLb1EEEEE10hipError_tT1_PNSt15iterator_traitsISG_E10value_typeET2_T3_PNSH_ISM_E10value_typeET4_T5_PSR_SS_PNS1_23onesweep_lookback_stateEbbT6_jjT7_P12ihipStream_tbENKUlT_T0_SG_SL_E_clIS9_SA_SB_SB_EEDaSZ_S10_SG_SL_EUlSZ_E_NS1_11comp_targetILNS1_3genE9ELNS1_11target_archE1100ELNS1_3gpuE3ELNS1_3repE0EEENS1_47radix_sort_onesweep_sort_config_static_selectorELNS0_4arch9wavefront6targetE0EEEvSG_
                                        ; -- End function
	.set _ZN7rocprim17ROCPRIM_400000_NS6detail17trampoline_kernelINS0_14default_configENS1_35radix_sort_onesweep_config_selectorIfNS0_10empty_typeEEEZZNS1_29radix_sort_onesweep_iterationIS3_Lb1EPKfPfPS5_SB_mNS0_19identity_decomposerENS1_16block_id_wrapperIjLb1EEEEE10hipError_tT1_PNSt15iterator_traitsISG_E10value_typeET2_T3_PNSH_ISM_E10value_typeET4_T5_PSR_SS_PNS1_23onesweep_lookback_stateEbbT6_jjT7_P12ihipStream_tbENKUlT_T0_SG_SL_E_clIS9_SA_SB_SB_EEDaSZ_S10_SG_SL_EUlSZ_E_NS1_11comp_targetILNS1_3genE9ELNS1_11target_archE1100ELNS1_3gpuE3ELNS1_3repE0EEENS1_47radix_sort_onesweep_sort_config_static_selectorELNS0_4arch9wavefront6targetE0EEEvSG_.num_vgpr, 0
	.set _ZN7rocprim17ROCPRIM_400000_NS6detail17trampoline_kernelINS0_14default_configENS1_35radix_sort_onesweep_config_selectorIfNS0_10empty_typeEEEZZNS1_29radix_sort_onesweep_iterationIS3_Lb1EPKfPfPS5_SB_mNS0_19identity_decomposerENS1_16block_id_wrapperIjLb1EEEEE10hipError_tT1_PNSt15iterator_traitsISG_E10value_typeET2_T3_PNSH_ISM_E10value_typeET4_T5_PSR_SS_PNS1_23onesweep_lookback_stateEbbT6_jjT7_P12ihipStream_tbENKUlT_T0_SG_SL_E_clIS9_SA_SB_SB_EEDaSZ_S10_SG_SL_EUlSZ_E_NS1_11comp_targetILNS1_3genE9ELNS1_11target_archE1100ELNS1_3gpuE3ELNS1_3repE0EEENS1_47radix_sort_onesweep_sort_config_static_selectorELNS0_4arch9wavefront6targetE0EEEvSG_.num_agpr, 0
	.set _ZN7rocprim17ROCPRIM_400000_NS6detail17trampoline_kernelINS0_14default_configENS1_35radix_sort_onesweep_config_selectorIfNS0_10empty_typeEEEZZNS1_29radix_sort_onesweep_iterationIS3_Lb1EPKfPfPS5_SB_mNS0_19identity_decomposerENS1_16block_id_wrapperIjLb1EEEEE10hipError_tT1_PNSt15iterator_traitsISG_E10value_typeET2_T3_PNSH_ISM_E10value_typeET4_T5_PSR_SS_PNS1_23onesweep_lookback_stateEbbT6_jjT7_P12ihipStream_tbENKUlT_T0_SG_SL_E_clIS9_SA_SB_SB_EEDaSZ_S10_SG_SL_EUlSZ_E_NS1_11comp_targetILNS1_3genE9ELNS1_11target_archE1100ELNS1_3gpuE3ELNS1_3repE0EEENS1_47radix_sort_onesweep_sort_config_static_selectorELNS0_4arch9wavefront6targetE0EEEvSG_.numbered_sgpr, 0
	.set _ZN7rocprim17ROCPRIM_400000_NS6detail17trampoline_kernelINS0_14default_configENS1_35radix_sort_onesweep_config_selectorIfNS0_10empty_typeEEEZZNS1_29radix_sort_onesweep_iterationIS3_Lb1EPKfPfPS5_SB_mNS0_19identity_decomposerENS1_16block_id_wrapperIjLb1EEEEE10hipError_tT1_PNSt15iterator_traitsISG_E10value_typeET2_T3_PNSH_ISM_E10value_typeET4_T5_PSR_SS_PNS1_23onesweep_lookback_stateEbbT6_jjT7_P12ihipStream_tbENKUlT_T0_SG_SL_E_clIS9_SA_SB_SB_EEDaSZ_S10_SG_SL_EUlSZ_E_NS1_11comp_targetILNS1_3genE9ELNS1_11target_archE1100ELNS1_3gpuE3ELNS1_3repE0EEENS1_47radix_sort_onesweep_sort_config_static_selectorELNS0_4arch9wavefront6targetE0EEEvSG_.num_named_barrier, 0
	.set _ZN7rocprim17ROCPRIM_400000_NS6detail17trampoline_kernelINS0_14default_configENS1_35radix_sort_onesweep_config_selectorIfNS0_10empty_typeEEEZZNS1_29radix_sort_onesweep_iterationIS3_Lb1EPKfPfPS5_SB_mNS0_19identity_decomposerENS1_16block_id_wrapperIjLb1EEEEE10hipError_tT1_PNSt15iterator_traitsISG_E10value_typeET2_T3_PNSH_ISM_E10value_typeET4_T5_PSR_SS_PNS1_23onesweep_lookback_stateEbbT6_jjT7_P12ihipStream_tbENKUlT_T0_SG_SL_E_clIS9_SA_SB_SB_EEDaSZ_S10_SG_SL_EUlSZ_E_NS1_11comp_targetILNS1_3genE9ELNS1_11target_archE1100ELNS1_3gpuE3ELNS1_3repE0EEENS1_47radix_sort_onesweep_sort_config_static_selectorELNS0_4arch9wavefront6targetE0EEEvSG_.private_seg_size, 0
	.set _ZN7rocprim17ROCPRIM_400000_NS6detail17trampoline_kernelINS0_14default_configENS1_35radix_sort_onesweep_config_selectorIfNS0_10empty_typeEEEZZNS1_29radix_sort_onesweep_iterationIS3_Lb1EPKfPfPS5_SB_mNS0_19identity_decomposerENS1_16block_id_wrapperIjLb1EEEEE10hipError_tT1_PNSt15iterator_traitsISG_E10value_typeET2_T3_PNSH_ISM_E10value_typeET4_T5_PSR_SS_PNS1_23onesweep_lookback_stateEbbT6_jjT7_P12ihipStream_tbENKUlT_T0_SG_SL_E_clIS9_SA_SB_SB_EEDaSZ_S10_SG_SL_EUlSZ_E_NS1_11comp_targetILNS1_3genE9ELNS1_11target_archE1100ELNS1_3gpuE3ELNS1_3repE0EEENS1_47radix_sort_onesweep_sort_config_static_selectorELNS0_4arch9wavefront6targetE0EEEvSG_.uses_vcc, 0
	.set _ZN7rocprim17ROCPRIM_400000_NS6detail17trampoline_kernelINS0_14default_configENS1_35radix_sort_onesweep_config_selectorIfNS0_10empty_typeEEEZZNS1_29radix_sort_onesweep_iterationIS3_Lb1EPKfPfPS5_SB_mNS0_19identity_decomposerENS1_16block_id_wrapperIjLb1EEEEE10hipError_tT1_PNSt15iterator_traitsISG_E10value_typeET2_T3_PNSH_ISM_E10value_typeET4_T5_PSR_SS_PNS1_23onesweep_lookback_stateEbbT6_jjT7_P12ihipStream_tbENKUlT_T0_SG_SL_E_clIS9_SA_SB_SB_EEDaSZ_S10_SG_SL_EUlSZ_E_NS1_11comp_targetILNS1_3genE9ELNS1_11target_archE1100ELNS1_3gpuE3ELNS1_3repE0EEENS1_47radix_sort_onesweep_sort_config_static_selectorELNS0_4arch9wavefront6targetE0EEEvSG_.uses_flat_scratch, 0
	.set _ZN7rocprim17ROCPRIM_400000_NS6detail17trampoline_kernelINS0_14default_configENS1_35radix_sort_onesweep_config_selectorIfNS0_10empty_typeEEEZZNS1_29radix_sort_onesweep_iterationIS3_Lb1EPKfPfPS5_SB_mNS0_19identity_decomposerENS1_16block_id_wrapperIjLb1EEEEE10hipError_tT1_PNSt15iterator_traitsISG_E10value_typeET2_T3_PNSH_ISM_E10value_typeET4_T5_PSR_SS_PNS1_23onesweep_lookback_stateEbbT6_jjT7_P12ihipStream_tbENKUlT_T0_SG_SL_E_clIS9_SA_SB_SB_EEDaSZ_S10_SG_SL_EUlSZ_E_NS1_11comp_targetILNS1_3genE9ELNS1_11target_archE1100ELNS1_3gpuE3ELNS1_3repE0EEENS1_47radix_sort_onesweep_sort_config_static_selectorELNS0_4arch9wavefront6targetE0EEEvSG_.has_dyn_sized_stack, 0
	.set _ZN7rocprim17ROCPRIM_400000_NS6detail17trampoline_kernelINS0_14default_configENS1_35radix_sort_onesweep_config_selectorIfNS0_10empty_typeEEEZZNS1_29radix_sort_onesweep_iterationIS3_Lb1EPKfPfPS5_SB_mNS0_19identity_decomposerENS1_16block_id_wrapperIjLb1EEEEE10hipError_tT1_PNSt15iterator_traitsISG_E10value_typeET2_T3_PNSH_ISM_E10value_typeET4_T5_PSR_SS_PNS1_23onesweep_lookback_stateEbbT6_jjT7_P12ihipStream_tbENKUlT_T0_SG_SL_E_clIS9_SA_SB_SB_EEDaSZ_S10_SG_SL_EUlSZ_E_NS1_11comp_targetILNS1_3genE9ELNS1_11target_archE1100ELNS1_3gpuE3ELNS1_3repE0EEENS1_47radix_sort_onesweep_sort_config_static_selectorELNS0_4arch9wavefront6targetE0EEEvSG_.has_recursion, 0
	.set _ZN7rocprim17ROCPRIM_400000_NS6detail17trampoline_kernelINS0_14default_configENS1_35radix_sort_onesweep_config_selectorIfNS0_10empty_typeEEEZZNS1_29radix_sort_onesweep_iterationIS3_Lb1EPKfPfPS5_SB_mNS0_19identity_decomposerENS1_16block_id_wrapperIjLb1EEEEE10hipError_tT1_PNSt15iterator_traitsISG_E10value_typeET2_T3_PNSH_ISM_E10value_typeET4_T5_PSR_SS_PNS1_23onesweep_lookback_stateEbbT6_jjT7_P12ihipStream_tbENKUlT_T0_SG_SL_E_clIS9_SA_SB_SB_EEDaSZ_S10_SG_SL_EUlSZ_E_NS1_11comp_targetILNS1_3genE9ELNS1_11target_archE1100ELNS1_3gpuE3ELNS1_3repE0EEENS1_47radix_sort_onesweep_sort_config_static_selectorELNS0_4arch9wavefront6targetE0EEEvSG_.has_indirect_call, 0
	.section	.AMDGPU.csdata,"",@progbits
; Kernel info:
; codeLenInByte = 0
; TotalNumSgprs: 0
; NumVgprs: 0
; ScratchSize: 0
; MemoryBound: 0
; FloatMode: 240
; IeeeMode: 1
; LDSByteSize: 0 bytes/workgroup (compile time only)
; SGPRBlocks: 0
; VGPRBlocks: 0
; NumSGPRsForWavesPerEU: 1
; NumVGPRsForWavesPerEU: 1
; NamedBarCnt: 0
; Occupancy: 16
; WaveLimiterHint : 0
; COMPUTE_PGM_RSRC2:SCRATCH_EN: 0
; COMPUTE_PGM_RSRC2:USER_SGPR: 2
; COMPUTE_PGM_RSRC2:TRAP_HANDLER: 0
; COMPUTE_PGM_RSRC2:TGID_X_EN: 1
; COMPUTE_PGM_RSRC2:TGID_Y_EN: 0
; COMPUTE_PGM_RSRC2:TGID_Z_EN: 0
; COMPUTE_PGM_RSRC2:TIDIG_COMP_CNT: 0
	.section	.text._ZN7rocprim17ROCPRIM_400000_NS6detail17trampoline_kernelINS0_14default_configENS1_35radix_sort_onesweep_config_selectorIfNS0_10empty_typeEEEZZNS1_29radix_sort_onesweep_iterationIS3_Lb1EPKfPfPS5_SB_mNS0_19identity_decomposerENS1_16block_id_wrapperIjLb1EEEEE10hipError_tT1_PNSt15iterator_traitsISG_E10value_typeET2_T3_PNSH_ISM_E10value_typeET4_T5_PSR_SS_PNS1_23onesweep_lookback_stateEbbT6_jjT7_P12ihipStream_tbENKUlT_T0_SG_SL_E_clIS9_SA_SB_SB_EEDaSZ_S10_SG_SL_EUlSZ_E_NS1_11comp_targetILNS1_3genE8ELNS1_11target_archE1030ELNS1_3gpuE2ELNS1_3repE0EEENS1_47radix_sort_onesweep_sort_config_static_selectorELNS0_4arch9wavefront6targetE0EEEvSG_,"axG",@progbits,_ZN7rocprim17ROCPRIM_400000_NS6detail17trampoline_kernelINS0_14default_configENS1_35radix_sort_onesweep_config_selectorIfNS0_10empty_typeEEEZZNS1_29radix_sort_onesweep_iterationIS3_Lb1EPKfPfPS5_SB_mNS0_19identity_decomposerENS1_16block_id_wrapperIjLb1EEEEE10hipError_tT1_PNSt15iterator_traitsISG_E10value_typeET2_T3_PNSH_ISM_E10value_typeET4_T5_PSR_SS_PNS1_23onesweep_lookback_stateEbbT6_jjT7_P12ihipStream_tbENKUlT_T0_SG_SL_E_clIS9_SA_SB_SB_EEDaSZ_S10_SG_SL_EUlSZ_E_NS1_11comp_targetILNS1_3genE8ELNS1_11target_archE1030ELNS1_3gpuE2ELNS1_3repE0EEENS1_47radix_sort_onesweep_sort_config_static_selectorELNS0_4arch9wavefront6targetE0EEEvSG_,comdat
	.protected	_ZN7rocprim17ROCPRIM_400000_NS6detail17trampoline_kernelINS0_14default_configENS1_35radix_sort_onesweep_config_selectorIfNS0_10empty_typeEEEZZNS1_29radix_sort_onesweep_iterationIS3_Lb1EPKfPfPS5_SB_mNS0_19identity_decomposerENS1_16block_id_wrapperIjLb1EEEEE10hipError_tT1_PNSt15iterator_traitsISG_E10value_typeET2_T3_PNSH_ISM_E10value_typeET4_T5_PSR_SS_PNS1_23onesweep_lookback_stateEbbT6_jjT7_P12ihipStream_tbENKUlT_T0_SG_SL_E_clIS9_SA_SB_SB_EEDaSZ_S10_SG_SL_EUlSZ_E_NS1_11comp_targetILNS1_3genE8ELNS1_11target_archE1030ELNS1_3gpuE2ELNS1_3repE0EEENS1_47radix_sort_onesweep_sort_config_static_selectorELNS0_4arch9wavefront6targetE0EEEvSG_ ; -- Begin function _ZN7rocprim17ROCPRIM_400000_NS6detail17trampoline_kernelINS0_14default_configENS1_35radix_sort_onesweep_config_selectorIfNS0_10empty_typeEEEZZNS1_29radix_sort_onesweep_iterationIS3_Lb1EPKfPfPS5_SB_mNS0_19identity_decomposerENS1_16block_id_wrapperIjLb1EEEEE10hipError_tT1_PNSt15iterator_traitsISG_E10value_typeET2_T3_PNSH_ISM_E10value_typeET4_T5_PSR_SS_PNS1_23onesweep_lookback_stateEbbT6_jjT7_P12ihipStream_tbENKUlT_T0_SG_SL_E_clIS9_SA_SB_SB_EEDaSZ_S10_SG_SL_EUlSZ_E_NS1_11comp_targetILNS1_3genE8ELNS1_11target_archE1030ELNS1_3gpuE2ELNS1_3repE0EEENS1_47radix_sort_onesweep_sort_config_static_selectorELNS0_4arch9wavefront6targetE0EEEvSG_
	.globl	_ZN7rocprim17ROCPRIM_400000_NS6detail17trampoline_kernelINS0_14default_configENS1_35radix_sort_onesweep_config_selectorIfNS0_10empty_typeEEEZZNS1_29radix_sort_onesweep_iterationIS3_Lb1EPKfPfPS5_SB_mNS0_19identity_decomposerENS1_16block_id_wrapperIjLb1EEEEE10hipError_tT1_PNSt15iterator_traitsISG_E10value_typeET2_T3_PNSH_ISM_E10value_typeET4_T5_PSR_SS_PNS1_23onesweep_lookback_stateEbbT6_jjT7_P12ihipStream_tbENKUlT_T0_SG_SL_E_clIS9_SA_SB_SB_EEDaSZ_S10_SG_SL_EUlSZ_E_NS1_11comp_targetILNS1_3genE8ELNS1_11target_archE1030ELNS1_3gpuE2ELNS1_3repE0EEENS1_47radix_sort_onesweep_sort_config_static_selectorELNS0_4arch9wavefront6targetE0EEEvSG_
	.p2align	8
	.type	_ZN7rocprim17ROCPRIM_400000_NS6detail17trampoline_kernelINS0_14default_configENS1_35radix_sort_onesweep_config_selectorIfNS0_10empty_typeEEEZZNS1_29radix_sort_onesweep_iterationIS3_Lb1EPKfPfPS5_SB_mNS0_19identity_decomposerENS1_16block_id_wrapperIjLb1EEEEE10hipError_tT1_PNSt15iterator_traitsISG_E10value_typeET2_T3_PNSH_ISM_E10value_typeET4_T5_PSR_SS_PNS1_23onesweep_lookback_stateEbbT6_jjT7_P12ihipStream_tbENKUlT_T0_SG_SL_E_clIS9_SA_SB_SB_EEDaSZ_S10_SG_SL_EUlSZ_E_NS1_11comp_targetILNS1_3genE8ELNS1_11target_archE1030ELNS1_3gpuE2ELNS1_3repE0EEENS1_47radix_sort_onesweep_sort_config_static_selectorELNS0_4arch9wavefront6targetE0EEEvSG_,@function
_ZN7rocprim17ROCPRIM_400000_NS6detail17trampoline_kernelINS0_14default_configENS1_35radix_sort_onesweep_config_selectorIfNS0_10empty_typeEEEZZNS1_29radix_sort_onesweep_iterationIS3_Lb1EPKfPfPS5_SB_mNS0_19identity_decomposerENS1_16block_id_wrapperIjLb1EEEEE10hipError_tT1_PNSt15iterator_traitsISG_E10value_typeET2_T3_PNSH_ISM_E10value_typeET4_T5_PSR_SS_PNS1_23onesweep_lookback_stateEbbT6_jjT7_P12ihipStream_tbENKUlT_T0_SG_SL_E_clIS9_SA_SB_SB_EEDaSZ_S10_SG_SL_EUlSZ_E_NS1_11comp_targetILNS1_3genE8ELNS1_11target_archE1030ELNS1_3gpuE2ELNS1_3repE0EEENS1_47radix_sort_onesweep_sort_config_static_selectorELNS0_4arch9wavefront6targetE0EEEvSG_: ; @_ZN7rocprim17ROCPRIM_400000_NS6detail17trampoline_kernelINS0_14default_configENS1_35radix_sort_onesweep_config_selectorIfNS0_10empty_typeEEEZZNS1_29radix_sort_onesweep_iterationIS3_Lb1EPKfPfPS5_SB_mNS0_19identity_decomposerENS1_16block_id_wrapperIjLb1EEEEE10hipError_tT1_PNSt15iterator_traitsISG_E10value_typeET2_T3_PNSH_ISM_E10value_typeET4_T5_PSR_SS_PNS1_23onesweep_lookback_stateEbbT6_jjT7_P12ihipStream_tbENKUlT_T0_SG_SL_E_clIS9_SA_SB_SB_EEDaSZ_S10_SG_SL_EUlSZ_E_NS1_11comp_targetILNS1_3genE8ELNS1_11target_archE1030ELNS1_3gpuE2ELNS1_3repE0EEENS1_47radix_sort_onesweep_sort_config_static_selectorELNS0_4arch9wavefront6targetE0EEEvSG_
; %bb.0:
	.section	.rodata,"a",@progbits
	.p2align	6, 0x0
	.amdhsa_kernel _ZN7rocprim17ROCPRIM_400000_NS6detail17trampoline_kernelINS0_14default_configENS1_35radix_sort_onesweep_config_selectorIfNS0_10empty_typeEEEZZNS1_29radix_sort_onesweep_iterationIS3_Lb1EPKfPfPS5_SB_mNS0_19identity_decomposerENS1_16block_id_wrapperIjLb1EEEEE10hipError_tT1_PNSt15iterator_traitsISG_E10value_typeET2_T3_PNSH_ISM_E10value_typeET4_T5_PSR_SS_PNS1_23onesweep_lookback_stateEbbT6_jjT7_P12ihipStream_tbENKUlT_T0_SG_SL_E_clIS9_SA_SB_SB_EEDaSZ_S10_SG_SL_EUlSZ_E_NS1_11comp_targetILNS1_3genE8ELNS1_11target_archE1030ELNS1_3gpuE2ELNS1_3repE0EEENS1_47radix_sort_onesweep_sort_config_static_selectorELNS0_4arch9wavefront6targetE0EEEvSG_
		.amdhsa_group_segment_fixed_size 0
		.amdhsa_private_segment_fixed_size 0
		.amdhsa_kernarg_size 88
		.amdhsa_user_sgpr_count 2
		.amdhsa_user_sgpr_dispatch_ptr 0
		.amdhsa_user_sgpr_queue_ptr 0
		.amdhsa_user_sgpr_kernarg_segment_ptr 1
		.amdhsa_user_sgpr_dispatch_id 0
		.amdhsa_user_sgpr_kernarg_preload_length 0
		.amdhsa_user_sgpr_kernarg_preload_offset 0
		.amdhsa_user_sgpr_private_segment_size 0
		.amdhsa_wavefront_size32 1
		.amdhsa_uses_dynamic_stack 0
		.amdhsa_enable_private_segment 0
		.amdhsa_system_sgpr_workgroup_id_x 1
		.amdhsa_system_sgpr_workgroup_id_y 0
		.amdhsa_system_sgpr_workgroup_id_z 0
		.amdhsa_system_sgpr_workgroup_info 0
		.amdhsa_system_vgpr_workitem_id 0
		.amdhsa_next_free_vgpr 1
		.amdhsa_next_free_sgpr 1
		.amdhsa_named_barrier_count 0
		.amdhsa_reserve_vcc 0
		.amdhsa_float_round_mode_32 0
		.amdhsa_float_round_mode_16_64 0
		.amdhsa_float_denorm_mode_32 3
		.amdhsa_float_denorm_mode_16_64 3
		.amdhsa_fp16_overflow 0
		.amdhsa_memory_ordered 1
		.amdhsa_forward_progress 1
		.amdhsa_inst_pref_size 0
		.amdhsa_round_robin_scheduling 0
		.amdhsa_exception_fp_ieee_invalid_op 0
		.amdhsa_exception_fp_denorm_src 0
		.amdhsa_exception_fp_ieee_div_zero 0
		.amdhsa_exception_fp_ieee_overflow 0
		.amdhsa_exception_fp_ieee_underflow 0
		.amdhsa_exception_fp_ieee_inexact 0
		.amdhsa_exception_int_div_zero 0
	.end_amdhsa_kernel
	.section	.text._ZN7rocprim17ROCPRIM_400000_NS6detail17trampoline_kernelINS0_14default_configENS1_35radix_sort_onesweep_config_selectorIfNS0_10empty_typeEEEZZNS1_29radix_sort_onesweep_iterationIS3_Lb1EPKfPfPS5_SB_mNS0_19identity_decomposerENS1_16block_id_wrapperIjLb1EEEEE10hipError_tT1_PNSt15iterator_traitsISG_E10value_typeET2_T3_PNSH_ISM_E10value_typeET4_T5_PSR_SS_PNS1_23onesweep_lookback_stateEbbT6_jjT7_P12ihipStream_tbENKUlT_T0_SG_SL_E_clIS9_SA_SB_SB_EEDaSZ_S10_SG_SL_EUlSZ_E_NS1_11comp_targetILNS1_3genE8ELNS1_11target_archE1030ELNS1_3gpuE2ELNS1_3repE0EEENS1_47radix_sort_onesweep_sort_config_static_selectorELNS0_4arch9wavefront6targetE0EEEvSG_,"axG",@progbits,_ZN7rocprim17ROCPRIM_400000_NS6detail17trampoline_kernelINS0_14default_configENS1_35radix_sort_onesweep_config_selectorIfNS0_10empty_typeEEEZZNS1_29radix_sort_onesweep_iterationIS3_Lb1EPKfPfPS5_SB_mNS0_19identity_decomposerENS1_16block_id_wrapperIjLb1EEEEE10hipError_tT1_PNSt15iterator_traitsISG_E10value_typeET2_T3_PNSH_ISM_E10value_typeET4_T5_PSR_SS_PNS1_23onesweep_lookback_stateEbbT6_jjT7_P12ihipStream_tbENKUlT_T0_SG_SL_E_clIS9_SA_SB_SB_EEDaSZ_S10_SG_SL_EUlSZ_E_NS1_11comp_targetILNS1_3genE8ELNS1_11target_archE1030ELNS1_3gpuE2ELNS1_3repE0EEENS1_47radix_sort_onesweep_sort_config_static_selectorELNS0_4arch9wavefront6targetE0EEEvSG_,comdat
.Lfunc_end1327:
	.size	_ZN7rocprim17ROCPRIM_400000_NS6detail17trampoline_kernelINS0_14default_configENS1_35radix_sort_onesweep_config_selectorIfNS0_10empty_typeEEEZZNS1_29radix_sort_onesweep_iterationIS3_Lb1EPKfPfPS5_SB_mNS0_19identity_decomposerENS1_16block_id_wrapperIjLb1EEEEE10hipError_tT1_PNSt15iterator_traitsISG_E10value_typeET2_T3_PNSH_ISM_E10value_typeET4_T5_PSR_SS_PNS1_23onesweep_lookback_stateEbbT6_jjT7_P12ihipStream_tbENKUlT_T0_SG_SL_E_clIS9_SA_SB_SB_EEDaSZ_S10_SG_SL_EUlSZ_E_NS1_11comp_targetILNS1_3genE8ELNS1_11target_archE1030ELNS1_3gpuE2ELNS1_3repE0EEENS1_47radix_sort_onesweep_sort_config_static_selectorELNS0_4arch9wavefront6targetE0EEEvSG_, .Lfunc_end1327-_ZN7rocprim17ROCPRIM_400000_NS6detail17trampoline_kernelINS0_14default_configENS1_35radix_sort_onesweep_config_selectorIfNS0_10empty_typeEEEZZNS1_29radix_sort_onesweep_iterationIS3_Lb1EPKfPfPS5_SB_mNS0_19identity_decomposerENS1_16block_id_wrapperIjLb1EEEEE10hipError_tT1_PNSt15iterator_traitsISG_E10value_typeET2_T3_PNSH_ISM_E10value_typeET4_T5_PSR_SS_PNS1_23onesweep_lookback_stateEbbT6_jjT7_P12ihipStream_tbENKUlT_T0_SG_SL_E_clIS9_SA_SB_SB_EEDaSZ_S10_SG_SL_EUlSZ_E_NS1_11comp_targetILNS1_3genE8ELNS1_11target_archE1030ELNS1_3gpuE2ELNS1_3repE0EEENS1_47radix_sort_onesweep_sort_config_static_selectorELNS0_4arch9wavefront6targetE0EEEvSG_
                                        ; -- End function
	.set _ZN7rocprim17ROCPRIM_400000_NS6detail17trampoline_kernelINS0_14default_configENS1_35radix_sort_onesweep_config_selectorIfNS0_10empty_typeEEEZZNS1_29radix_sort_onesweep_iterationIS3_Lb1EPKfPfPS5_SB_mNS0_19identity_decomposerENS1_16block_id_wrapperIjLb1EEEEE10hipError_tT1_PNSt15iterator_traitsISG_E10value_typeET2_T3_PNSH_ISM_E10value_typeET4_T5_PSR_SS_PNS1_23onesweep_lookback_stateEbbT6_jjT7_P12ihipStream_tbENKUlT_T0_SG_SL_E_clIS9_SA_SB_SB_EEDaSZ_S10_SG_SL_EUlSZ_E_NS1_11comp_targetILNS1_3genE8ELNS1_11target_archE1030ELNS1_3gpuE2ELNS1_3repE0EEENS1_47radix_sort_onesweep_sort_config_static_selectorELNS0_4arch9wavefront6targetE0EEEvSG_.num_vgpr, 0
	.set _ZN7rocprim17ROCPRIM_400000_NS6detail17trampoline_kernelINS0_14default_configENS1_35radix_sort_onesweep_config_selectorIfNS0_10empty_typeEEEZZNS1_29radix_sort_onesweep_iterationIS3_Lb1EPKfPfPS5_SB_mNS0_19identity_decomposerENS1_16block_id_wrapperIjLb1EEEEE10hipError_tT1_PNSt15iterator_traitsISG_E10value_typeET2_T3_PNSH_ISM_E10value_typeET4_T5_PSR_SS_PNS1_23onesweep_lookback_stateEbbT6_jjT7_P12ihipStream_tbENKUlT_T0_SG_SL_E_clIS9_SA_SB_SB_EEDaSZ_S10_SG_SL_EUlSZ_E_NS1_11comp_targetILNS1_3genE8ELNS1_11target_archE1030ELNS1_3gpuE2ELNS1_3repE0EEENS1_47radix_sort_onesweep_sort_config_static_selectorELNS0_4arch9wavefront6targetE0EEEvSG_.num_agpr, 0
	.set _ZN7rocprim17ROCPRIM_400000_NS6detail17trampoline_kernelINS0_14default_configENS1_35radix_sort_onesweep_config_selectorIfNS0_10empty_typeEEEZZNS1_29radix_sort_onesweep_iterationIS3_Lb1EPKfPfPS5_SB_mNS0_19identity_decomposerENS1_16block_id_wrapperIjLb1EEEEE10hipError_tT1_PNSt15iterator_traitsISG_E10value_typeET2_T3_PNSH_ISM_E10value_typeET4_T5_PSR_SS_PNS1_23onesweep_lookback_stateEbbT6_jjT7_P12ihipStream_tbENKUlT_T0_SG_SL_E_clIS9_SA_SB_SB_EEDaSZ_S10_SG_SL_EUlSZ_E_NS1_11comp_targetILNS1_3genE8ELNS1_11target_archE1030ELNS1_3gpuE2ELNS1_3repE0EEENS1_47radix_sort_onesweep_sort_config_static_selectorELNS0_4arch9wavefront6targetE0EEEvSG_.numbered_sgpr, 0
	.set _ZN7rocprim17ROCPRIM_400000_NS6detail17trampoline_kernelINS0_14default_configENS1_35radix_sort_onesweep_config_selectorIfNS0_10empty_typeEEEZZNS1_29radix_sort_onesweep_iterationIS3_Lb1EPKfPfPS5_SB_mNS0_19identity_decomposerENS1_16block_id_wrapperIjLb1EEEEE10hipError_tT1_PNSt15iterator_traitsISG_E10value_typeET2_T3_PNSH_ISM_E10value_typeET4_T5_PSR_SS_PNS1_23onesweep_lookback_stateEbbT6_jjT7_P12ihipStream_tbENKUlT_T0_SG_SL_E_clIS9_SA_SB_SB_EEDaSZ_S10_SG_SL_EUlSZ_E_NS1_11comp_targetILNS1_3genE8ELNS1_11target_archE1030ELNS1_3gpuE2ELNS1_3repE0EEENS1_47radix_sort_onesweep_sort_config_static_selectorELNS0_4arch9wavefront6targetE0EEEvSG_.num_named_barrier, 0
	.set _ZN7rocprim17ROCPRIM_400000_NS6detail17trampoline_kernelINS0_14default_configENS1_35radix_sort_onesweep_config_selectorIfNS0_10empty_typeEEEZZNS1_29radix_sort_onesweep_iterationIS3_Lb1EPKfPfPS5_SB_mNS0_19identity_decomposerENS1_16block_id_wrapperIjLb1EEEEE10hipError_tT1_PNSt15iterator_traitsISG_E10value_typeET2_T3_PNSH_ISM_E10value_typeET4_T5_PSR_SS_PNS1_23onesweep_lookback_stateEbbT6_jjT7_P12ihipStream_tbENKUlT_T0_SG_SL_E_clIS9_SA_SB_SB_EEDaSZ_S10_SG_SL_EUlSZ_E_NS1_11comp_targetILNS1_3genE8ELNS1_11target_archE1030ELNS1_3gpuE2ELNS1_3repE0EEENS1_47radix_sort_onesweep_sort_config_static_selectorELNS0_4arch9wavefront6targetE0EEEvSG_.private_seg_size, 0
	.set _ZN7rocprim17ROCPRIM_400000_NS6detail17trampoline_kernelINS0_14default_configENS1_35radix_sort_onesweep_config_selectorIfNS0_10empty_typeEEEZZNS1_29radix_sort_onesweep_iterationIS3_Lb1EPKfPfPS5_SB_mNS0_19identity_decomposerENS1_16block_id_wrapperIjLb1EEEEE10hipError_tT1_PNSt15iterator_traitsISG_E10value_typeET2_T3_PNSH_ISM_E10value_typeET4_T5_PSR_SS_PNS1_23onesweep_lookback_stateEbbT6_jjT7_P12ihipStream_tbENKUlT_T0_SG_SL_E_clIS9_SA_SB_SB_EEDaSZ_S10_SG_SL_EUlSZ_E_NS1_11comp_targetILNS1_3genE8ELNS1_11target_archE1030ELNS1_3gpuE2ELNS1_3repE0EEENS1_47radix_sort_onesweep_sort_config_static_selectorELNS0_4arch9wavefront6targetE0EEEvSG_.uses_vcc, 0
	.set _ZN7rocprim17ROCPRIM_400000_NS6detail17trampoline_kernelINS0_14default_configENS1_35radix_sort_onesweep_config_selectorIfNS0_10empty_typeEEEZZNS1_29radix_sort_onesweep_iterationIS3_Lb1EPKfPfPS5_SB_mNS0_19identity_decomposerENS1_16block_id_wrapperIjLb1EEEEE10hipError_tT1_PNSt15iterator_traitsISG_E10value_typeET2_T3_PNSH_ISM_E10value_typeET4_T5_PSR_SS_PNS1_23onesweep_lookback_stateEbbT6_jjT7_P12ihipStream_tbENKUlT_T0_SG_SL_E_clIS9_SA_SB_SB_EEDaSZ_S10_SG_SL_EUlSZ_E_NS1_11comp_targetILNS1_3genE8ELNS1_11target_archE1030ELNS1_3gpuE2ELNS1_3repE0EEENS1_47radix_sort_onesweep_sort_config_static_selectorELNS0_4arch9wavefront6targetE0EEEvSG_.uses_flat_scratch, 0
	.set _ZN7rocprim17ROCPRIM_400000_NS6detail17trampoline_kernelINS0_14default_configENS1_35radix_sort_onesweep_config_selectorIfNS0_10empty_typeEEEZZNS1_29radix_sort_onesweep_iterationIS3_Lb1EPKfPfPS5_SB_mNS0_19identity_decomposerENS1_16block_id_wrapperIjLb1EEEEE10hipError_tT1_PNSt15iterator_traitsISG_E10value_typeET2_T3_PNSH_ISM_E10value_typeET4_T5_PSR_SS_PNS1_23onesweep_lookback_stateEbbT6_jjT7_P12ihipStream_tbENKUlT_T0_SG_SL_E_clIS9_SA_SB_SB_EEDaSZ_S10_SG_SL_EUlSZ_E_NS1_11comp_targetILNS1_3genE8ELNS1_11target_archE1030ELNS1_3gpuE2ELNS1_3repE0EEENS1_47radix_sort_onesweep_sort_config_static_selectorELNS0_4arch9wavefront6targetE0EEEvSG_.has_dyn_sized_stack, 0
	.set _ZN7rocprim17ROCPRIM_400000_NS6detail17trampoline_kernelINS0_14default_configENS1_35radix_sort_onesweep_config_selectorIfNS0_10empty_typeEEEZZNS1_29radix_sort_onesweep_iterationIS3_Lb1EPKfPfPS5_SB_mNS0_19identity_decomposerENS1_16block_id_wrapperIjLb1EEEEE10hipError_tT1_PNSt15iterator_traitsISG_E10value_typeET2_T3_PNSH_ISM_E10value_typeET4_T5_PSR_SS_PNS1_23onesweep_lookback_stateEbbT6_jjT7_P12ihipStream_tbENKUlT_T0_SG_SL_E_clIS9_SA_SB_SB_EEDaSZ_S10_SG_SL_EUlSZ_E_NS1_11comp_targetILNS1_3genE8ELNS1_11target_archE1030ELNS1_3gpuE2ELNS1_3repE0EEENS1_47radix_sort_onesweep_sort_config_static_selectorELNS0_4arch9wavefront6targetE0EEEvSG_.has_recursion, 0
	.set _ZN7rocprim17ROCPRIM_400000_NS6detail17trampoline_kernelINS0_14default_configENS1_35radix_sort_onesweep_config_selectorIfNS0_10empty_typeEEEZZNS1_29radix_sort_onesweep_iterationIS3_Lb1EPKfPfPS5_SB_mNS0_19identity_decomposerENS1_16block_id_wrapperIjLb1EEEEE10hipError_tT1_PNSt15iterator_traitsISG_E10value_typeET2_T3_PNSH_ISM_E10value_typeET4_T5_PSR_SS_PNS1_23onesweep_lookback_stateEbbT6_jjT7_P12ihipStream_tbENKUlT_T0_SG_SL_E_clIS9_SA_SB_SB_EEDaSZ_S10_SG_SL_EUlSZ_E_NS1_11comp_targetILNS1_3genE8ELNS1_11target_archE1030ELNS1_3gpuE2ELNS1_3repE0EEENS1_47radix_sort_onesweep_sort_config_static_selectorELNS0_4arch9wavefront6targetE0EEEvSG_.has_indirect_call, 0
	.section	.AMDGPU.csdata,"",@progbits
; Kernel info:
; codeLenInByte = 0
; TotalNumSgprs: 0
; NumVgprs: 0
; ScratchSize: 0
; MemoryBound: 0
; FloatMode: 240
; IeeeMode: 1
; LDSByteSize: 0 bytes/workgroup (compile time only)
; SGPRBlocks: 0
; VGPRBlocks: 0
; NumSGPRsForWavesPerEU: 1
; NumVGPRsForWavesPerEU: 1
; NamedBarCnt: 0
; Occupancy: 16
; WaveLimiterHint : 0
; COMPUTE_PGM_RSRC2:SCRATCH_EN: 0
; COMPUTE_PGM_RSRC2:USER_SGPR: 2
; COMPUTE_PGM_RSRC2:TRAP_HANDLER: 0
; COMPUTE_PGM_RSRC2:TGID_X_EN: 1
; COMPUTE_PGM_RSRC2:TGID_Y_EN: 0
; COMPUTE_PGM_RSRC2:TGID_Z_EN: 0
; COMPUTE_PGM_RSRC2:TIDIG_COMP_CNT: 0
	.section	.text._ZN7rocprim17ROCPRIM_400000_NS6detail17trampoline_kernelINS0_14default_configENS1_35radix_sort_onesweep_config_selectorIfNS0_10empty_typeEEEZZNS1_29radix_sort_onesweep_iterationIS3_Lb1EPKfPfPS5_SB_mNS0_19identity_decomposerENS1_16block_id_wrapperIjLb1EEEEE10hipError_tT1_PNSt15iterator_traitsISG_E10value_typeET2_T3_PNSH_ISM_E10value_typeET4_T5_PSR_SS_PNS1_23onesweep_lookback_stateEbbT6_jjT7_P12ihipStream_tbENKUlT_T0_SG_SL_E_clISA_SA_SB_SB_EEDaSZ_S10_SG_SL_EUlSZ_E_NS1_11comp_targetILNS1_3genE0ELNS1_11target_archE4294967295ELNS1_3gpuE0ELNS1_3repE0EEENS1_47radix_sort_onesweep_sort_config_static_selectorELNS0_4arch9wavefront6targetE0EEEvSG_,"axG",@progbits,_ZN7rocprim17ROCPRIM_400000_NS6detail17trampoline_kernelINS0_14default_configENS1_35radix_sort_onesweep_config_selectorIfNS0_10empty_typeEEEZZNS1_29radix_sort_onesweep_iterationIS3_Lb1EPKfPfPS5_SB_mNS0_19identity_decomposerENS1_16block_id_wrapperIjLb1EEEEE10hipError_tT1_PNSt15iterator_traitsISG_E10value_typeET2_T3_PNSH_ISM_E10value_typeET4_T5_PSR_SS_PNS1_23onesweep_lookback_stateEbbT6_jjT7_P12ihipStream_tbENKUlT_T0_SG_SL_E_clISA_SA_SB_SB_EEDaSZ_S10_SG_SL_EUlSZ_E_NS1_11comp_targetILNS1_3genE0ELNS1_11target_archE4294967295ELNS1_3gpuE0ELNS1_3repE0EEENS1_47radix_sort_onesweep_sort_config_static_selectorELNS0_4arch9wavefront6targetE0EEEvSG_,comdat
	.protected	_ZN7rocprim17ROCPRIM_400000_NS6detail17trampoline_kernelINS0_14default_configENS1_35radix_sort_onesweep_config_selectorIfNS0_10empty_typeEEEZZNS1_29radix_sort_onesweep_iterationIS3_Lb1EPKfPfPS5_SB_mNS0_19identity_decomposerENS1_16block_id_wrapperIjLb1EEEEE10hipError_tT1_PNSt15iterator_traitsISG_E10value_typeET2_T3_PNSH_ISM_E10value_typeET4_T5_PSR_SS_PNS1_23onesweep_lookback_stateEbbT6_jjT7_P12ihipStream_tbENKUlT_T0_SG_SL_E_clISA_SA_SB_SB_EEDaSZ_S10_SG_SL_EUlSZ_E_NS1_11comp_targetILNS1_3genE0ELNS1_11target_archE4294967295ELNS1_3gpuE0ELNS1_3repE0EEENS1_47radix_sort_onesweep_sort_config_static_selectorELNS0_4arch9wavefront6targetE0EEEvSG_ ; -- Begin function _ZN7rocprim17ROCPRIM_400000_NS6detail17trampoline_kernelINS0_14default_configENS1_35radix_sort_onesweep_config_selectorIfNS0_10empty_typeEEEZZNS1_29radix_sort_onesweep_iterationIS3_Lb1EPKfPfPS5_SB_mNS0_19identity_decomposerENS1_16block_id_wrapperIjLb1EEEEE10hipError_tT1_PNSt15iterator_traitsISG_E10value_typeET2_T3_PNSH_ISM_E10value_typeET4_T5_PSR_SS_PNS1_23onesweep_lookback_stateEbbT6_jjT7_P12ihipStream_tbENKUlT_T0_SG_SL_E_clISA_SA_SB_SB_EEDaSZ_S10_SG_SL_EUlSZ_E_NS1_11comp_targetILNS1_3genE0ELNS1_11target_archE4294967295ELNS1_3gpuE0ELNS1_3repE0EEENS1_47radix_sort_onesweep_sort_config_static_selectorELNS0_4arch9wavefront6targetE0EEEvSG_
	.globl	_ZN7rocprim17ROCPRIM_400000_NS6detail17trampoline_kernelINS0_14default_configENS1_35radix_sort_onesweep_config_selectorIfNS0_10empty_typeEEEZZNS1_29radix_sort_onesweep_iterationIS3_Lb1EPKfPfPS5_SB_mNS0_19identity_decomposerENS1_16block_id_wrapperIjLb1EEEEE10hipError_tT1_PNSt15iterator_traitsISG_E10value_typeET2_T3_PNSH_ISM_E10value_typeET4_T5_PSR_SS_PNS1_23onesweep_lookback_stateEbbT6_jjT7_P12ihipStream_tbENKUlT_T0_SG_SL_E_clISA_SA_SB_SB_EEDaSZ_S10_SG_SL_EUlSZ_E_NS1_11comp_targetILNS1_3genE0ELNS1_11target_archE4294967295ELNS1_3gpuE0ELNS1_3repE0EEENS1_47radix_sort_onesweep_sort_config_static_selectorELNS0_4arch9wavefront6targetE0EEEvSG_
	.p2align	8
	.type	_ZN7rocprim17ROCPRIM_400000_NS6detail17trampoline_kernelINS0_14default_configENS1_35radix_sort_onesweep_config_selectorIfNS0_10empty_typeEEEZZNS1_29radix_sort_onesweep_iterationIS3_Lb1EPKfPfPS5_SB_mNS0_19identity_decomposerENS1_16block_id_wrapperIjLb1EEEEE10hipError_tT1_PNSt15iterator_traitsISG_E10value_typeET2_T3_PNSH_ISM_E10value_typeET4_T5_PSR_SS_PNS1_23onesweep_lookback_stateEbbT6_jjT7_P12ihipStream_tbENKUlT_T0_SG_SL_E_clISA_SA_SB_SB_EEDaSZ_S10_SG_SL_EUlSZ_E_NS1_11comp_targetILNS1_3genE0ELNS1_11target_archE4294967295ELNS1_3gpuE0ELNS1_3repE0EEENS1_47radix_sort_onesweep_sort_config_static_selectorELNS0_4arch9wavefront6targetE0EEEvSG_,@function
_ZN7rocprim17ROCPRIM_400000_NS6detail17trampoline_kernelINS0_14default_configENS1_35radix_sort_onesweep_config_selectorIfNS0_10empty_typeEEEZZNS1_29radix_sort_onesweep_iterationIS3_Lb1EPKfPfPS5_SB_mNS0_19identity_decomposerENS1_16block_id_wrapperIjLb1EEEEE10hipError_tT1_PNSt15iterator_traitsISG_E10value_typeET2_T3_PNSH_ISM_E10value_typeET4_T5_PSR_SS_PNS1_23onesweep_lookback_stateEbbT6_jjT7_P12ihipStream_tbENKUlT_T0_SG_SL_E_clISA_SA_SB_SB_EEDaSZ_S10_SG_SL_EUlSZ_E_NS1_11comp_targetILNS1_3genE0ELNS1_11target_archE4294967295ELNS1_3gpuE0ELNS1_3repE0EEENS1_47radix_sort_onesweep_sort_config_static_selectorELNS0_4arch9wavefront6targetE0EEEvSG_: ; @_ZN7rocprim17ROCPRIM_400000_NS6detail17trampoline_kernelINS0_14default_configENS1_35radix_sort_onesweep_config_selectorIfNS0_10empty_typeEEEZZNS1_29radix_sort_onesweep_iterationIS3_Lb1EPKfPfPS5_SB_mNS0_19identity_decomposerENS1_16block_id_wrapperIjLb1EEEEE10hipError_tT1_PNSt15iterator_traitsISG_E10value_typeET2_T3_PNSH_ISM_E10value_typeET4_T5_PSR_SS_PNS1_23onesweep_lookback_stateEbbT6_jjT7_P12ihipStream_tbENKUlT_T0_SG_SL_E_clISA_SA_SB_SB_EEDaSZ_S10_SG_SL_EUlSZ_E_NS1_11comp_targetILNS1_3genE0ELNS1_11target_archE4294967295ELNS1_3gpuE0ELNS1_3repE0EEENS1_47radix_sort_onesweep_sort_config_static_selectorELNS0_4arch9wavefront6targetE0EEEvSG_
; %bb.0:
	s_clause 0x1
	s_load_b128 s[12:15], s[0:1], 0x28
	s_load_b64 s[10:11], s[0:1], 0x38
	v_and_b32_e32 v14, 0x3ff, v0
	s_delay_alu instid0(VALU_DEP_1)
	v_cmp_eq_u32_e64 s2, 0, v14
	s_and_saveexec_b32 s3, s2
	s_cbranch_execz .LBB1328_4
; %bb.1:
	s_mov_b32 s5, exec_lo
	s_mov_b32 s4, exec_lo
	v_mbcnt_lo_u32_b32 v1, s5, 0
                                        ; implicit-def: $vgpr2
	s_delay_alu instid0(VALU_DEP_1)
	v_cmpx_eq_u32_e32 0, v1
	s_cbranch_execz .LBB1328_3
; %bb.2:
	s_load_b64 s[6:7], s[0:1], 0x50
	s_bcnt1_i32_b32 s5, s5
	s_delay_alu instid0(SALU_CYCLE_1)
	v_dual_mov_b32 v2, 0 :: v_dual_mov_b32 v3, s5
	s_wait_xcnt 0x0
	s_wait_kmcnt 0x0
	global_atomic_add_u32 v2, v2, v3, s[6:7] th:TH_ATOMIC_RETURN scope:SCOPE_DEV
.LBB1328_3:
	s_wait_xcnt 0x0
	s_or_b32 exec_lo, exec_lo, s4
	s_wait_loadcnt 0x0
	v_readfirstlane_b32 s4, v2
	s_delay_alu instid0(VALU_DEP_1)
	v_dual_mov_b32 v2, 0 :: v_dual_add_nc_u32 v1, s4, v1
	ds_store_b32 v2, v1 offset:18496
.LBB1328_4:
	s_or_b32 exec_lo, exec_lo, s3
	v_mov_b32_e32 v3, 0
	s_clause 0x2
	s_load_b128 s[16:19], s[0:1], 0x0
	s_load_b32 s3, s[0:1], 0x20
	s_load_b96 s[20:22], s[0:1], 0x44
	s_wait_dscnt 0x0
	s_barrier_signal -1
	s_barrier_wait -1
	ds_load_b32 v1, v3 offset:18496
	v_mbcnt_lo_u32_b32 v15, -1, 0
	v_and_b32_e32 v16, 0x3e0, v14
	s_mov_b32 s4, -1
	s_add_nc_u64 s[26:27], s[0:1], 0x58
	s_getreg_b32 s28, hwreg(HW_REG_IB_STS2, 6, 4)
	s_wait_dscnt 0x0
	s_barrier_signal -1
	s_barrier_wait -1
	s_wait_kmcnt 0x0
	v_cmp_le_u32_e32 vcc_lo, s22, v1
	v_readfirstlane_b32 s23, v1
	s_mul_i32 s24, s23, 0x1800
	s_cbranch_vccz .LBB1328_94
; %bb.5:
	s_mov_b32 s25, 0
	v_mul_u32_u24_e32 v1, 12, v16
	v_lshlrev_b32_e32 v2, 2, v15
	s_lshl_b64 s[4:5], s[24:25], 2
	s_mulk_i32 s22, 0xe800
	s_add_nc_u64 s[4:5], s[16:17], s[4:5]
	v_or_b32_e32 v10, v15, v1
	v_add_nc_u64_e32 v[4:5], s[4:5], v[2:3]
	v_dual_lshlrev_b32 v2, 2, v1 :: v_dual_mov_b32 v12, -1
	v_mov_b32_e32 v1, -1
	s_add_co_i32 s22, s22, s3
	s_mov_b32 s3, exec_lo
	s_delay_alu instid0(VALU_DEP_2)
	v_add_nc_u64_e32 v[2:3], v[4:5], v[2:3]
	v_cmpx_gt_u32_e64 s22, v10
	s_cbranch_execz .LBB1328_7
; %bb.6:
	global_load_b32 v1, v[2:3], off
.LBB1328_7:
	s_wait_xcnt 0x0
	s_or_b32 exec_lo, exec_lo, s3
	v_or_b32_e32 v4, 32, v10
	s_mov_b32 s3, exec_lo
	s_delay_alu instid0(VALU_DEP_1)
	v_cmpx_gt_u32_e64 s22, v4
	s_cbranch_execz .LBB1328_9
; %bb.8:
	global_load_b32 v12, v[2:3], off offset:128
.LBB1328_9:
	s_wait_xcnt 0x0
	s_or_b32 exec_lo, exec_lo, s3
	v_dual_mov_b32 v19, -1 :: v_dual_bitop2_b32 v4, 64, v10 bitop3:0x54
	v_mov_b32_e32 v13, -1
	s_mov_b32 s3, exec_lo
	s_delay_alu instid0(VALU_DEP_2)
	v_cmpx_gt_u32_e64 s22, v4
	s_cbranch_execz .LBB1328_11
; %bb.10:
	global_load_b32 v13, v[2:3], off offset:256
.LBB1328_11:
	s_wait_xcnt 0x0
	s_or_b32 exec_lo, exec_lo, s3
	v_or_b32_e32 v4, 0x60, v10
	s_mov_b32 s3, exec_lo
	s_delay_alu instid0(VALU_DEP_1)
	v_cmpx_gt_u32_e64 s22, v4
	s_cbranch_execz .LBB1328_13
; %bb.12:
	global_load_b32 v19, v[2:3], off offset:384
.LBB1328_13:
	s_wait_xcnt 0x0
	s_or_b32 exec_lo, exec_lo, s3
	v_dual_mov_b32 v21, -1 :: v_dual_add_nc_u32 v4, 0x80, v10
	v_mov_b32_e32 v24, -1
	s_mov_b32 s3, exec_lo
	s_delay_alu instid0(VALU_DEP_2)
	v_cmpx_gt_u32_e64 s22, v4
	s_cbranch_execz .LBB1328_15
; %bb.14:
	global_load_b32 v21, v[2:3], off offset:512
.LBB1328_15:
	s_wait_xcnt 0x0
	s_or_b32 exec_lo, exec_lo, s3
	v_add_nc_u32_e32 v4, 0xa0, v10
	s_mov_b32 s3, exec_lo
	s_delay_alu instid0(VALU_DEP_1)
	v_cmpx_gt_u32_e64 s22, v4
	s_cbranch_execz .LBB1328_17
; %bb.16:
	global_load_b32 v24, v[2:3], off offset:640
.LBB1328_17:
	s_wait_xcnt 0x0
	s_or_b32 exec_lo, exec_lo, s3
	v_dual_mov_b32 v9, -1 :: v_dual_add_nc_u32 v4, 0xc0, v10
	v_mov_b32_e32 v8, -1
	s_mov_b32 s3, exec_lo
	s_delay_alu instid0(VALU_DEP_2)
	v_cmpx_gt_u32_e64 s22, v4
	s_cbranch_execz .LBB1328_19
; %bb.18:
	global_load_b32 v9, v[2:3], off offset:768
.LBB1328_19:
	s_wait_xcnt 0x0
	s_or_b32 exec_lo, exec_lo, s3
	v_add_nc_u32_e32 v4, 0xe0, v10
	;; [unrolled: 21-line block ×3, first 2 shown]
	s_mov_b32 s3, exec_lo
	s_delay_alu instid0(VALU_DEP_1)
	v_cmpx_gt_u32_e64 s22, v4
	s_cbranch_execz .LBB1328_25
; %bb.24:
	global_load_b32 v6, v[2:3], off offset:1152
.LBB1328_25:
	s_wait_xcnt 0x0
	s_or_b32 exec_lo, exec_lo, s3
	v_dual_mov_b32 v4, -1 :: v_dual_add_nc_u32 v5, 0x140, v10
	s_delay_alu instid0(VALU_DEP_1)
	v_cmp_gt_u32_e32 vcc_lo, s22, v5
	v_mov_b32_e32 v5, -1
	s_and_saveexec_b32 s3, vcc_lo
	s_cbranch_execz .LBB1328_27
; %bb.26:
	global_load_b32 v5, v[2:3], off offset:1280
.LBB1328_27:
	s_wait_xcnt 0x0
	s_or_b32 exec_lo, exec_lo, s3
	v_add_nc_u32_e32 v10, 0x160, v10
	s_mov_b32 s3, exec_lo
	s_delay_alu instid0(VALU_DEP_1)
	v_cmpx_gt_u32_e64 s22, v10
	s_cbranch_execz .LBB1328_29
; %bb.28:
	global_load_b32 v4, v[2:3], off offset:1408
.LBB1328_29:
	s_wait_xcnt 0x0
	s_or_b32 exec_lo, exec_lo, s3
	s_wait_loadcnt 0x0
	v_cmp_gt_i32_e32 vcc_lo, 0, v1
	s_clause 0x1
	s_load_b32 s25, s[0:1], 0x58
	s_load_u16 s3, s[0:1], 0x66
	s_bfe_u32 s4, ttmp6, 0x4000c
	s_and_b32 s5, ttmp6, 15
	v_cndmask_b32_e64 v2, 0x7fffffff, 0, vcc_lo
	s_add_co_i32 s4, s4, 1
	v_bfe_u32 v10, v0, 20, 10
	s_mul_i32 s4, ttmp9, s4
	s_delay_alu instid0(SALU_CYCLE_1)
	s_add_co_i32 s5, s5, s4
	v_xor_b32_e32 v1, v2, v1
	s_cmp_eq_u32 s28, 0
	v_bfe_u32 v2, v0, 10, 10
	s_cselect_b32 s4, ttmp9, s5
	s_mov_b32 s5, 0
	v_cmp_ne_u32_e32 vcc_lo, 0x80000000, v1
	v_cndmask_b32_e32 v3, 0x7fffffff, v1, vcc_lo
	s_wait_kmcnt 0x0
	s_cmp_lt_u32 s4, s25
	v_mad_u32_u24 v2, v10, s3, v2
	s_cselect_b32 s4, 12, 18
	s_lshl_b32 s6, -1, s21
	v_lshrrev_b32_e32 v3, s20, v3
	s_add_nc_u64 s[4:5], s[26:27], s[4:5]
	s_not_b32 s29, s6
	s_load_u16 s7, s[4:5], 0x0
	s_delay_alu instid0(VALU_DEP_1) | instskip(SKIP_1) | instid1(VALU_DEP_2)
	v_bitop3_b32 v11, v3, s6, v3 bitop3:0x30
	v_bitop3_b32 v10, v3, 1, s6 bitop3:0x40
	v_dual_lshlrev_b32 v17, 30, v11 :: v_dual_lshlrev_b32 v20, 28, v11
	s_delay_alu instid0(VALU_DEP_2) | instskip(NEXT) | instid1(VALU_DEP_1)
	v_add_co_u32 v3, s3, v10, -1
	v_cndmask_b32_e64 v10, 0, 1, s3
	v_lshlrev_b32_e32 v18, 29, v11
	s_delay_alu instid0(VALU_DEP_4) | instskip(SKIP_1) | instid1(VALU_DEP_4)
	v_not_b32_e32 v25, v17
	v_dual_lshlrev_b32 v22, 27, v11 :: v_dual_lshlrev_b32 v23, 26, v11
	v_cmp_ne_u32_e32 vcc_lo, 0, v10
	v_cmp_gt_i32_e64 s3, 0, v17
	v_not_b32_e32 v10, v18
	s_wait_xcnt 0x0
	v_cmp_gt_i32_e64 s4, 0, v18
	v_ashrrev_i32_e32 v17, 31, v25
	v_not_b32_e32 v18, v20
	v_cmp_gt_i32_e64 s5, 0, v20
	v_dual_ashrrev_i32 v10, 31, v10 :: v_dual_bitop2_b32 v3, vcc_lo, v3 bitop3:0x14
	v_not_b32_e32 v20, v22
	s_delay_alu instid0(VALU_DEP_4) | instskip(NEXT) | instid1(VALU_DEP_3)
	v_dual_ashrrev_i32 v18, 31, v18 :: v_dual_bitop2_b32 v17, s3, v17 bitop3:0x14
	v_xor_b32_e32 v10, s4, v10
	v_cmp_gt_i32_e32 vcc_lo, 0, v22
	s_delay_alu instid0(VALU_DEP_4) | instskip(NEXT) | instid1(VALU_DEP_4)
	v_ashrrev_i32_e32 v20, 31, v20
	v_bitop3_b32 v3, v3, v17, exec_lo bitop3:0x80
	v_xor_b32_e32 v17, s5, v18
	v_not_b32_e32 v18, v23
	v_lshlrev_b32_e32 v22, 25, v11
	v_cmp_gt_i32_e64 s3, 0, v23
	v_lshlrev_b32_e32 v23, 24, v11
	s_wait_kmcnt 0x0
	v_mad_u32 v2, v2, s7, v14
	v_ashrrev_i32_e32 v18, 31, v18
	v_bitop3_b32 v3, v3, v17, v10 bitop3:0x80
	v_not_b32_e32 v10, v22
	v_xor_b32_e32 v17, vcc_lo, v20
	v_not_b32_e32 v20, v23
	v_xor_b32_e32 v18, s3, v18
	v_cmp_gt_i32_e32 vcc_lo, 0, v22
	v_cmp_gt_i32_e64 s3, 0, v23
	s_delay_alu instid0(VALU_DEP_4) | instskip(NEXT) | instid1(VALU_DEP_4)
	v_dual_ashrrev_i32 v20, 31, v20 :: v_dual_ashrrev_i32 v22, 31, v10
	v_bitop3_b32 v3, v3, v18, v17 bitop3:0x80
	v_lshrrev_b32_e32 v2, 5, v2
	v_mul_u32_u24_e32 v10, 36, v14
	s_delay_alu instid0(VALU_DEP_4) | instskip(SKIP_1) | instid1(VALU_DEP_4)
	v_xor_b32_e32 v18, s3, v20
	v_dual_mov_b32 v22, 0 :: v_dual_bitop2_b32 v17, vcc_lo, v22 bitop3:0x14
	v_lshlrev_b32_e32 v2, 2, v2
	ds_store_2addr_b32 v10, v22, v22 offset0:16 offset1:17
	ds_store_2addr_b32 v10, v22, v22 offset0:18 offset1:19
	;; [unrolled: 1-line block ×4, first 2 shown]
	v_bitop3_b32 v3, v3, v18, v17 bitop3:0x80
	v_mad_u32 v11, 0x44, v11, v2
	ds_store_b32 v10, v22 offset:96
	s_wait_dscnt 0x0
	s_barrier_signal -1
	v_mbcnt_lo_u32_b32 v20, v3, 0
	v_cmp_ne_u32_e64 s3, 0, v3
	s_barrier_wait -1
	s_delay_alu instid0(VALU_DEP_2) | instskip(SKIP_1) | instid1(SALU_CYCLE_1)
	v_cmp_eq_u32_e32 vcc_lo, 0, v20
	; wave barrier
	s_and_b32 s4, s3, vcc_lo
	s_and_saveexec_b32 s3, s4
; %bb.30:
	v_bcnt_u32_b32 v3, v3, 0
	ds_store_b32 v11, v3 offset:64
; %bb.31:
	s_or_b32 exec_lo, exec_lo, s3
	v_cmp_gt_i32_e32 vcc_lo, 0, v12
	; wave barrier
	v_cndmask_b32_e64 v3, 0x7fffffff, 0, vcc_lo
	s_delay_alu instid0(VALU_DEP_1) | instskip(NEXT) | instid1(VALU_DEP_1)
	v_xor_b32_e32 v17, v3, v12
	v_cmp_ne_u32_e32 vcc_lo, 0x80000000, v17
	v_cndmask_b32_e32 v3, 0x7fffffff, v17, vcc_lo
	s_delay_alu instid0(VALU_DEP_1) | instskip(NEXT) | instid1(VALU_DEP_1)
	v_lshrrev_b32_e32 v3, s20, v3
	v_and_b32_e32 v18, s29, v3
	v_bitop3_b32 v3, v3, 1, s29 bitop3:0x80
	s_delay_alu instid0(VALU_DEP_2) | instskip(NEXT) | instid1(VALU_DEP_2)
	v_lshlrev_b32_e32 v23, 30, v18
	v_add_co_u32 v3, s3, v3, -1
	s_delay_alu instid0(VALU_DEP_1) | instskip(NEXT) | instid1(VALU_DEP_1)
	v_cndmask_b32_e64 v22, 0, 1, s3
	v_cmp_ne_u32_e32 vcc_lo, 0, v22
	s_delay_alu instid0(VALU_DEP_4) | instskip(NEXT) | instid1(VALU_DEP_1)
	v_not_b32_e32 v22, v23
	v_ashrrev_i32_e32 v22, 31, v22
	v_dual_lshlrev_b32 v25, 29, v18 :: v_dual_lshlrev_b32 v26, 28, v18
	v_dual_lshlrev_b32 v27, 27, v18 :: v_dual_lshlrev_b32 v28, 26, v18
	v_cmp_gt_i32_e64 s3, 0, v23
	s_delay_alu instid0(VALU_DEP_3)
	v_cmp_gt_i32_e64 s4, 0, v25
	v_not_b32_e32 v23, v25
	v_not_b32_e32 v25, v26
	v_mad_u32 v12, 0x44, v18, v2
	v_dual_lshlrev_b32 v29, 25, v18 :: v_dual_lshlrev_b32 v18, 24, v18
	v_cmp_gt_i32_e64 s5, 0, v26
	v_cmp_gt_i32_e64 s6, 0, v27
	v_not_b32_e32 v26, v27
	v_not_b32_e32 v27, v28
	v_dual_ashrrev_i32 v25, 31, v25 :: v_dual_bitop2_b32 v3, vcc_lo, v3 bitop3:0x14
	v_dual_ashrrev_i32 v23, 31, v23 :: v_dual_bitop2_b32 v22, s3, v22 bitop3:0x14
	v_cmp_gt_i32_e64 s7, 0, v28
	v_not_b32_e32 v28, v29
	v_cmp_gt_i32_e64 s9, 0, v18
	v_not_b32_e32 v18, v18
	v_dual_ashrrev_i32 v26, 31, v26 :: v_dual_ashrrev_i32 v27, 31, v27
	v_xor_b32_e32 v23, s4, v23
	s_delay_alu instid0(VALU_DEP_3) | instskip(SKIP_4) | instid1(VALU_DEP_4)
	v_dual_ashrrev_i32 v18, 31, v18 :: v_dual_bitop2_b32 v25, s5, v25 bitop3:0x14
	v_bitop3_b32 v3, v3, v22, exec_lo bitop3:0x80
	v_cmp_gt_i32_e64 s8, 0, v29
	v_dual_ashrrev_i32 v22, 31, v28 :: v_dual_bitop2_b32 v26, s6, v26 bitop3:0x14
	v_xor_b32_e32 v27, s7, v27
	v_bitop3_b32 v3, v3, v25, v23 bitop3:0x80
	v_xor_b32_e32 v18, s9, v18
	s_delay_alu instid0(VALU_DEP_4) | instskip(SKIP_2) | instid1(VALU_DEP_1)
	v_xor_b32_e32 v23, s8, v22
	ds_load_b32 v22, v12 offset:64
	v_bitop3_b32 v3, v3, v27, v26 bitop3:0x80
	; wave barrier
	v_bitop3_b32 v3, v3, v18, v23 bitop3:0x80
	s_delay_alu instid0(VALU_DEP_1) | instskip(SKIP_1) | instid1(VALU_DEP_2)
	v_mbcnt_lo_u32_b32 v23, v3, 0
	v_cmp_ne_u32_e64 s3, 0, v3
	v_cmp_eq_u32_e32 vcc_lo, 0, v23
	s_and_b32 s4, s3, vcc_lo
	s_delay_alu instid0(SALU_CYCLE_1)
	s_and_saveexec_b32 s3, s4
	s_cbranch_execz .LBB1328_33
; %bb.32:
	s_wait_dscnt 0x0
	v_bcnt_u32_b32 v3, v3, v22
	ds_store_b32 v12, v3 offset:64
.LBB1328_33:
	s_or_b32 exec_lo, exec_lo, s3
	v_cmp_gt_i32_e32 vcc_lo, 0, v13
	; wave barrier
	v_cndmask_b32_e64 v3, 0x7fffffff, 0, vcc_lo
	s_delay_alu instid0(VALU_DEP_1) | instskip(NEXT) | instid1(VALU_DEP_1)
	v_xor_b32_e32 v18, v3, v13
	v_cmp_ne_u32_e32 vcc_lo, 0x80000000, v18
	v_cndmask_b32_e32 v3, 0x7fffffff, v18, vcc_lo
	s_delay_alu instid0(VALU_DEP_1) | instskip(NEXT) | instid1(VALU_DEP_1)
	v_lshrrev_b32_e32 v3, s20, v3
	v_and_b32_e32 v25, s29, v3
	v_bitop3_b32 v3, v3, 1, s29 bitop3:0x80
	s_delay_alu instid0(VALU_DEP_2) | instskip(NEXT) | instid1(VALU_DEP_2)
	v_lshlrev_b32_e32 v27, 30, v25
	v_add_co_u32 v3, s3, v3, -1
	s_delay_alu instid0(VALU_DEP_1) | instskip(NEXT) | instid1(VALU_DEP_1)
	v_cndmask_b32_e64 v26, 0, 1, s3
	v_cmp_ne_u32_e32 vcc_lo, 0, v26
	s_delay_alu instid0(VALU_DEP_4) | instskip(NEXT) | instid1(VALU_DEP_1)
	v_not_b32_e32 v26, v27
	v_dual_ashrrev_i32 v26, 31, v26 :: v_dual_lshlrev_b32 v28, 29, v25
	v_dual_lshlrev_b32 v29, 28, v25 :: v_dual_lshlrev_b32 v30, 27, v25
	v_lshlrev_b32_e32 v31, 26, v25
	v_cmp_gt_i32_e64 s3, 0, v27
	s_delay_alu instid0(VALU_DEP_4)
	v_cmp_gt_i32_e64 s4, 0, v28
	v_not_b32_e32 v27, v28
	v_not_b32_e32 v28, v29
	v_mad_u32 v13, 0x44, v25, v2
	v_dual_lshlrev_b32 v32, 25, v25 :: v_dual_lshlrev_b32 v25, 24, v25
	v_cmp_gt_i32_e64 s5, 0, v29
	v_cmp_gt_i32_e64 s6, 0, v30
	v_not_b32_e32 v29, v30
	v_not_b32_e32 v30, v31
	v_dual_ashrrev_i32 v28, 31, v28 :: v_dual_bitop2_b32 v3, vcc_lo, v3 bitop3:0x14
	v_dual_ashrrev_i32 v27, 31, v27 :: v_dual_bitop2_b32 v26, s3, v26 bitop3:0x14
	v_cmp_gt_i32_e64 s7, 0, v31
	v_not_b32_e32 v31, v32
	v_cmp_gt_i32_e64 s9, 0, v25
	v_not_b32_e32 v25, v25
	v_dual_ashrrev_i32 v29, 31, v29 :: v_dual_ashrrev_i32 v30, 31, v30
	v_xor_b32_e32 v27, s4, v27
	v_xor_b32_e32 v28, s5, v28
	v_bitop3_b32 v3, v3, v26, exec_lo bitop3:0x80
	v_cmp_gt_i32_e64 s8, 0, v32
	v_dual_ashrrev_i32 v26, 31, v31 :: v_dual_ashrrev_i32 v25, 31, v25
	v_xor_b32_e32 v29, s6, v29
	v_xor_b32_e32 v30, s7, v30
	v_bitop3_b32 v3, v3, v28, v27 bitop3:0x80
	s_delay_alu instid0(VALU_DEP_4) | instskip(SKIP_3) | instid1(VALU_DEP_1)
	v_xor_b32_e32 v26, s8, v26
	v_xor_b32_e32 v27, s9, v25
	ds_load_b32 v25, v13 offset:64
	v_bitop3_b32 v3, v3, v30, v29 bitop3:0x80
	; wave barrier
	v_bitop3_b32 v3, v3, v27, v26 bitop3:0x80
	s_delay_alu instid0(VALU_DEP_1) | instskip(SKIP_1) | instid1(VALU_DEP_2)
	v_mbcnt_lo_u32_b32 v26, v3, 0
	v_cmp_ne_u32_e64 s3, 0, v3
	v_cmp_eq_u32_e32 vcc_lo, 0, v26
	s_and_b32 s4, s3, vcc_lo
	s_delay_alu instid0(SALU_CYCLE_1)
	s_and_saveexec_b32 s3, s4
	s_cbranch_execz .LBB1328_35
; %bb.34:
	s_wait_dscnt 0x0
	v_bcnt_u32_b32 v3, v3, v25
	ds_store_b32 v13, v3 offset:64
.LBB1328_35:
	s_or_b32 exec_lo, exec_lo, s3
	v_cmp_gt_i32_e32 vcc_lo, 0, v19
	; wave barrier
	v_cndmask_b32_e64 v3, 0x7fffffff, 0, vcc_lo
	s_delay_alu instid0(VALU_DEP_1) | instskip(NEXT) | instid1(VALU_DEP_1)
	v_xor_b32_e32 v19, v3, v19
	v_cmp_ne_u32_e32 vcc_lo, 0x80000000, v19
	v_cndmask_b32_e32 v3, 0x7fffffff, v19, vcc_lo
	s_delay_alu instid0(VALU_DEP_1) | instskip(NEXT) | instid1(VALU_DEP_1)
	v_lshrrev_b32_e32 v3, s20, v3
	v_and_b32_e32 v27, s29, v3
	v_bitop3_b32 v3, v3, 1, s29 bitop3:0x80
	s_delay_alu instid0(VALU_DEP_2) | instskip(NEXT) | instid1(VALU_DEP_2)
	v_dual_lshlrev_b32 v29, 30, v27 :: v_dual_lshlrev_b32 v30, 29, v27
	v_add_co_u32 v3, s3, v3, -1
	s_delay_alu instid0(VALU_DEP_1) | instskip(SKIP_3) | instid1(VALU_DEP_4)
	v_cndmask_b32_e64 v28, 0, 1, s3
	v_dual_lshlrev_b32 v31, 28, v27 :: v_dual_lshlrev_b32 v32, 27, v27
	v_lshlrev_b32_e32 v34, 26, v27
	v_cmp_gt_i32_e64 s3, 0, v29
	v_cmp_ne_u32_e32 vcc_lo, 0, v28
	v_not_b32_e32 v28, v29
	v_cmp_gt_i32_e64 s4, 0, v30
	v_not_b32_e32 v29, v30
	v_cmp_gt_i32_e64 s5, 0, v31
	;; [unrolled: 2-line block ×3, first 2 shown]
	v_not_b32_e32 v31, v32
	v_not_b32_e32 v32, v34
	v_dual_ashrrev_i32 v28, 31, v28 :: v_dual_ashrrev_i32 v29, 31, v29
	s_delay_alu instid0(VALU_DEP_3) | instskip(NEXT) | instid1(VALU_DEP_3)
	v_dual_ashrrev_i32 v30, 31, v30 :: v_dual_ashrrev_i32 v31, 31, v31
	v_dual_ashrrev_i32 v32, 31, v32 :: v_dual_lshlrev_b32 v35, 25, v27
	v_mad_u32 v33, 0x44, v27, v2
	s_delay_alu instid0(VALU_DEP_4) | instskip(SKIP_1) | instid1(VALU_DEP_4)
	v_dual_lshlrev_b32 v27, 24, v27 :: v_dual_bitop2_b32 v28, s3, v28 bitop3:0x14
	v_cmp_gt_i32_e64 s7, 0, v34
	v_not_b32_e32 v34, v35
	v_xor_b32_e32 v3, vcc_lo, v3
	s_delay_alu instid0(VALU_DEP_4)
	v_cmp_gt_i32_e64 s9, 0, v27
	v_not_b32_e32 v27, v27
	v_xor_b32_e32 v29, s4, v29
	v_xor_b32_e32 v30, s5, v30
	v_bitop3_b32 v3, v3, v28, exec_lo bitop3:0x80
	v_cmp_gt_i32_e64 s8, 0, v35
	v_dual_ashrrev_i32 v28, 31, v34 :: v_dual_ashrrev_i32 v27, 31, v27
	v_xor_b32_e32 v31, s6, v31
	v_xor_b32_e32 v32, s7, v32
	v_bitop3_b32 v3, v3, v30, v29 bitop3:0x80
	s_delay_alu instid0(VALU_DEP_4) | instskip(SKIP_3) | instid1(VALU_DEP_1)
	v_xor_b32_e32 v29, s8, v28
	v_xor_b32_e32 v27, s9, v27
	ds_load_b32 v28, v33 offset:64
	v_bitop3_b32 v3, v3, v32, v31 bitop3:0x80
	; wave barrier
	v_bitop3_b32 v3, v3, v27, v29 bitop3:0x80
	s_delay_alu instid0(VALU_DEP_1) | instskip(SKIP_1) | instid1(VALU_DEP_2)
	v_mbcnt_lo_u32_b32 v29, v3, 0
	v_cmp_ne_u32_e64 s3, 0, v3
	v_cmp_eq_u32_e32 vcc_lo, 0, v29
	s_and_b32 s4, s3, vcc_lo
	s_delay_alu instid0(SALU_CYCLE_1)
	s_and_saveexec_b32 s3, s4
	s_cbranch_execz .LBB1328_37
; %bb.36:
	s_wait_dscnt 0x0
	v_bcnt_u32_b32 v3, v3, v28
	ds_store_b32 v33, v3 offset:64
.LBB1328_37:
	s_or_b32 exec_lo, exec_lo, s3
	v_cmp_gt_i32_e32 vcc_lo, 0, v21
	; wave barrier
	v_cndmask_b32_e64 v3, 0x7fffffff, 0, vcc_lo
	s_delay_alu instid0(VALU_DEP_1) | instskip(NEXT) | instid1(VALU_DEP_1)
	v_xor_b32_e32 v21, v3, v21
	v_cmp_ne_u32_e32 vcc_lo, 0x80000000, v21
	v_cndmask_b32_e32 v3, 0x7fffffff, v21, vcc_lo
	s_delay_alu instid0(VALU_DEP_1) | instskip(NEXT) | instid1(VALU_DEP_1)
	v_lshrrev_b32_e32 v3, s20, v3
	v_and_b32_e32 v27, s29, v3
	v_bitop3_b32 v3, v3, 1, s29 bitop3:0x80
	s_delay_alu instid0(VALU_DEP_2) | instskip(NEXT) | instid1(VALU_DEP_2)
	v_lshlrev_b32_e32 v31, 30, v27
	v_add_co_u32 v3, s3, v3, -1
	s_delay_alu instid0(VALU_DEP_1) | instskip(NEXT) | instid1(VALU_DEP_1)
	v_cndmask_b32_e64 v30, 0, 1, s3
	v_cmp_ne_u32_e32 vcc_lo, 0, v30
	s_delay_alu instid0(VALU_DEP_4) | instskip(NEXT) | instid1(VALU_DEP_1)
	v_not_b32_e32 v30, v31
	v_dual_ashrrev_i32 v30, 31, v30 :: v_dual_lshlrev_b32 v32, 29, v27
	v_dual_lshlrev_b32 v34, 28, v27 :: v_dual_lshlrev_b32 v35, 27, v27
	v_lshlrev_b32_e32 v36, 26, v27
	v_cmp_gt_i32_e64 s3, 0, v31
	s_delay_alu instid0(VALU_DEP_4)
	v_cmp_gt_i32_e64 s4, 0, v32
	v_not_b32_e32 v31, v32
	v_not_b32_e32 v32, v34
	v_mad_u32 v37, 0x44, v27, v2
	v_dual_lshlrev_b32 v38, 25, v27 :: v_dual_lshlrev_b32 v27, 24, v27
	v_cmp_gt_i32_e64 s5, 0, v34
	v_cmp_gt_i32_e64 s6, 0, v35
	v_not_b32_e32 v34, v35
	v_not_b32_e32 v35, v36
	v_dual_ashrrev_i32 v32, 31, v32 :: v_dual_bitop2_b32 v3, vcc_lo, v3 bitop3:0x14
	v_dual_ashrrev_i32 v31, 31, v31 :: v_dual_bitop2_b32 v30, s3, v30 bitop3:0x14
	v_cmp_gt_i32_e64 s7, 0, v36
	v_not_b32_e32 v36, v38
	v_cmp_gt_i32_e64 s9, 0, v27
	v_not_b32_e32 v27, v27
	v_dual_ashrrev_i32 v34, 31, v34 :: v_dual_ashrrev_i32 v35, 31, v35
	v_xor_b32_e32 v31, s4, v31
	s_delay_alu instid0(VALU_DEP_3) | instskip(SKIP_4) | instid1(VALU_DEP_4)
	v_dual_ashrrev_i32 v27, 31, v27 :: v_dual_bitop2_b32 v32, s5, v32 bitop3:0x14
	v_bitop3_b32 v3, v3, v30, exec_lo bitop3:0x80
	v_cmp_gt_i32_e64 s8, 0, v38
	v_dual_ashrrev_i32 v30, 31, v36 :: v_dual_bitop2_b32 v34, s6, v34 bitop3:0x14
	v_xor_b32_e32 v35, s7, v35
	v_bitop3_b32 v3, v3, v32, v31 bitop3:0x80
	v_xor_b32_e32 v27, s9, v27
	s_delay_alu instid0(VALU_DEP_4) | instskip(SKIP_2) | instid1(VALU_DEP_1)
	v_xor_b32_e32 v30, s8, v30
	ds_load_b32 v31, v37 offset:64
	v_bitop3_b32 v3, v3, v35, v34 bitop3:0x80
	; wave barrier
	v_bitop3_b32 v3, v3, v27, v30 bitop3:0x80
	s_delay_alu instid0(VALU_DEP_1) | instskip(SKIP_1) | instid1(VALU_DEP_2)
	v_mbcnt_lo_u32_b32 v32, v3, 0
	v_cmp_ne_u32_e64 s3, 0, v3
	v_cmp_eq_u32_e32 vcc_lo, 0, v32
	s_and_b32 s4, s3, vcc_lo
	s_delay_alu instid0(SALU_CYCLE_1)
	s_and_saveexec_b32 s3, s4
	s_cbranch_execz .LBB1328_39
; %bb.38:
	s_wait_dscnt 0x0
	v_bcnt_u32_b32 v3, v3, v31
	ds_store_b32 v37, v3 offset:64
.LBB1328_39:
	s_or_b32 exec_lo, exec_lo, s3
	v_cmp_gt_i32_e32 vcc_lo, 0, v24
	; wave barrier
	v_cndmask_b32_e64 v3, 0x7fffffff, 0, vcc_lo
	s_delay_alu instid0(VALU_DEP_1) | instskip(NEXT) | instid1(VALU_DEP_1)
	v_xor_b32_e32 v24, v3, v24
	v_cmp_ne_u32_e32 vcc_lo, 0x80000000, v24
	v_cndmask_b32_e32 v3, 0x7fffffff, v24, vcc_lo
	s_delay_alu instid0(VALU_DEP_1) | instskip(NEXT) | instid1(VALU_DEP_1)
	v_lshrrev_b32_e32 v3, s20, v3
	v_and_b32_e32 v27, s29, v3
	v_bitop3_b32 v3, v3, 1, s29 bitop3:0x80
	s_delay_alu instid0(VALU_DEP_2) | instskip(NEXT) | instid1(VALU_DEP_2)
	v_lshlrev_b32_e32 v34, 30, v27
	v_add_co_u32 v3, s3, v3, -1
	s_delay_alu instid0(VALU_DEP_1) | instskip(NEXT) | instid1(VALU_DEP_3)
	v_cndmask_b32_e64 v30, 0, 1, s3
	v_cmp_gt_i32_e64 s3, 0, v34
	s_delay_alu instid0(VALU_DEP_2) | instskip(SKIP_1) | instid1(VALU_DEP_1)
	v_cmp_ne_u32_e32 vcc_lo, 0, v30
	v_not_b32_e32 v30, v34
	v_dual_ashrrev_i32 v30, 31, v30 :: v_dual_lshlrev_b32 v35, 29, v27
	v_dual_lshlrev_b32 v36, 28, v27 :: v_dual_lshlrev_b32 v38, 27, v27
	v_lshlrev_b32_e32 v39, 26, v27
	v_mad_u32 v41, 0x44, v27, v2
	s_delay_alu instid0(VALU_DEP_4)
	v_cmp_gt_i32_e64 s4, 0, v35
	v_not_b32_e32 v34, v35
	v_not_b32_e32 v35, v36
	v_dual_lshlrev_b32 v40, 25, v27 :: v_dual_lshlrev_b32 v27, 24, v27
	v_cmp_gt_i32_e64 s5, 0, v36
	v_cmp_gt_i32_e64 s6, 0, v38
	v_not_b32_e32 v36, v38
	v_not_b32_e32 v38, v39
	v_dual_ashrrev_i32 v34, 31, v34 :: v_dual_bitop2_b32 v3, vcc_lo, v3 bitop3:0x14
	v_dual_ashrrev_i32 v35, 31, v35 :: v_dual_bitop2_b32 v30, s3, v30 bitop3:0x14
	v_cmp_gt_i32_e64 s7, 0, v39
	v_not_b32_e32 v39, v40
	v_cmp_gt_i32_e64 s9, 0, v27
	v_not_b32_e32 v27, v27
	v_dual_ashrrev_i32 v36, 31, v36 :: v_dual_ashrrev_i32 v38, 31, v38
	v_xor_b32_e32 v34, s4, v34
	v_xor_b32_e32 v35, s5, v35
	v_bitop3_b32 v3, v3, v30, exec_lo bitop3:0x80
	v_cmp_gt_i32_e64 s8, 0, v40
	v_ashrrev_i32_e32 v30, 31, v39
	v_dual_ashrrev_i32 v27, 31, v27 :: v_dual_bitop2_b32 v36, s6, v36 bitop3:0x14
	v_xor_b32_e32 v38, s7, v38
	v_bitop3_b32 v3, v3, v35, v34 bitop3:0x80
	s_delay_alu instid0(VALU_DEP_4) | instskip(NEXT) | instid1(VALU_DEP_4)
	v_xor_b32_e32 v30, s8, v30
	v_xor_b32_e32 v27, s9, v27
	ds_load_b32 v35, v41 offset:64
	v_bitop3_b32 v3, v3, v38, v36 bitop3:0x80
	; wave barrier
	s_delay_alu instid0(VALU_DEP_1) | instskip(NEXT) | instid1(VALU_DEP_1)
	v_bitop3_b32 v3, v3, v27, v30 bitop3:0x80
	v_mbcnt_lo_u32_b32 v36, v3, 0
	v_cmp_ne_u32_e64 s3, 0, v3
	s_delay_alu instid0(VALU_DEP_2) | instskip(SKIP_1) | instid1(SALU_CYCLE_1)
	v_cmp_eq_u32_e32 vcc_lo, 0, v36
	s_and_b32 s4, s3, vcc_lo
	s_and_saveexec_b32 s3, s4
	s_cbranch_execz .LBB1328_41
; %bb.40:
	s_wait_dscnt 0x0
	v_bcnt_u32_b32 v3, v3, v35
	ds_store_b32 v41, v3 offset:64
.LBB1328_41:
	s_or_b32 exec_lo, exec_lo, s3
	v_cmp_gt_i32_e32 vcc_lo, 0, v9
	; wave barrier
	v_cndmask_b32_e64 v3, 0x7fffffff, 0, vcc_lo
	s_delay_alu instid0(VALU_DEP_1) | instskip(NEXT) | instid1(VALU_DEP_1)
	v_xor_b32_e32 v27, v3, v9
	v_cmp_ne_u32_e32 vcc_lo, 0x80000000, v27
	v_cndmask_b32_e32 v3, 0x7fffffff, v27, vcc_lo
	s_delay_alu instid0(VALU_DEP_1) | instskip(NEXT) | instid1(VALU_DEP_1)
	v_lshrrev_b32_e32 v3, s20, v3
	v_and_b32_e32 v9, s29, v3
	v_bitop3_b32 v3, v3, 1, s29 bitop3:0x80
	s_delay_alu instid0(VALU_DEP_2) | instskip(NEXT) | instid1(VALU_DEP_2)
	v_lshlrev_b32_e32 v34, 30, v9
	v_add_co_u32 v3, s3, v3, -1
	s_delay_alu instid0(VALU_DEP_1) | instskip(NEXT) | instid1(VALU_DEP_3)
	v_cndmask_b32_e64 v30, 0, 1, s3
	v_cmp_gt_i32_e64 s3, 0, v34
	s_delay_alu instid0(VALU_DEP_2) | instskip(SKIP_1) | instid1(VALU_DEP_1)
	v_cmp_ne_u32_e32 vcc_lo, 0, v30
	v_not_b32_e32 v30, v34
	v_dual_ashrrev_i32 v30, 31, v30 :: v_dual_lshlrev_b32 v38, 29, v9
	v_dual_lshlrev_b32 v39, 28, v9 :: v_dual_lshlrev_b32 v40, 27, v9
	v_lshlrev_b32_e32 v42, 26, v9
	v_mad_u32 v45, 0x44, v9, v2
	s_delay_alu instid0(VALU_DEP_4)
	v_cmp_gt_i32_e64 s4, 0, v38
	v_not_b32_e32 v34, v38
	v_not_b32_e32 v38, v39
	v_dual_lshlrev_b32 v43, 25, v9 :: v_dual_lshlrev_b32 v9, 24, v9
	v_cmp_gt_i32_e64 s5, 0, v39
	v_cmp_gt_i32_e64 s6, 0, v40
	v_not_b32_e32 v39, v40
	v_not_b32_e32 v40, v42
	v_dual_ashrrev_i32 v34, 31, v34 :: v_dual_bitop2_b32 v3, vcc_lo, v3 bitop3:0x14
	s_delay_alu instid0(VALU_DEP_3) | instskip(NEXT) | instid1(VALU_DEP_3)
	v_dual_ashrrev_i32 v38, 31, v38 :: v_dual_ashrrev_i32 v39, 31, v39
	v_dual_ashrrev_i32 v40, 31, v40 :: v_dual_bitop2_b32 v30, s3, v30 bitop3:0x14
	v_cmp_gt_i32_e64 s7, 0, v42
	v_not_b32_e32 v42, v43
	v_cmp_gt_i32_e64 s9, 0, v9
	v_not_b32_e32 v9, v9
	v_xor_b32_e32 v34, s4, v34
	v_xor_b32_e32 v38, s5, v38
	v_bitop3_b32 v3, v3, v30, exec_lo bitop3:0x80
	v_cmp_gt_i32_e64 s8, 0, v43
	v_dual_ashrrev_i32 v30, 31, v42 :: v_dual_bitop2_b32 v39, s6, v39 bitop3:0x14
	v_dual_ashrrev_i32 v9, 31, v9 :: v_dual_bitop2_b32 v40, s7, v40 bitop3:0x14
	s_delay_alu instid0(VALU_DEP_4) | instskip(NEXT) | instid1(VALU_DEP_3)
	v_bitop3_b32 v3, v3, v38, v34 bitop3:0x80
	v_xor_b32_e32 v30, s8, v30
	s_delay_alu instid0(VALU_DEP_3) | instskip(NEXT) | instid1(VALU_DEP_3)
	v_xor_b32_e32 v9, s9, v9
	v_bitop3_b32 v3, v3, v40, v39 bitop3:0x80
	ds_load_b32 v39, v45 offset:64
	; wave barrier
	v_bitop3_b32 v3, v3, v9, v30 bitop3:0x80
	s_delay_alu instid0(VALU_DEP_1) | instskip(SKIP_1) | instid1(VALU_DEP_2)
	v_mbcnt_lo_u32_b32 v40, v3, 0
	v_cmp_ne_u32_e64 s3, 0, v3
	v_cmp_eq_u32_e32 vcc_lo, 0, v40
	s_and_b32 s4, s3, vcc_lo
	s_delay_alu instid0(SALU_CYCLE_1)
	s_and_saveexec_b32 s3, s4
	s_cbranch_execz .LBB1328_43
; %bb.42:
	s_wait_dscnt 0x0
	v_bcnt_u32_b32 v3, v3, v39
	ds_store_b32 v45, v3 offset:64
.LBB1328_43:
	s_or_b32 exec_lo, exec_lo, s3
	v_cmp_gt_i32_e32 vcc_lo, 0, v8
	; wave barrier
	v_cndmask_b32_e64 v3, 0x7fffffff, 0, vcc_lo
	s_delay_alu instid0(VALU_DEP_1) | instskip(NEXT) | instid1(VALU_DEP_1)
	v_xor_b32_e32 v30, v3, v8
	v_cmp_ne_u32_e32 vcc_lo, 0x80000000, v30
	v_cndmask_b32_e32 v3, 0x7fffffff, v30, vcc_lo
	s_delay_alu instid0(VALU_DEP_1) | instskip(NEXT) | instid1(VALU_DEP_1)
	v_lshrrev_b32_e32 v3, s20, v3
	v_and_b32_e32 v8, s29, v3
	v_bitop3_b32 v3, v3, 1, s29 bitop3:0x80
	s_delay_alu instid0(VALU_DEP_2) | instskip(NEXT) | instid1(VALU_DEP_2)
	v_lshlrev_b32_e32 v34, 30, v8
	v_add_co_u32 v3, s3, v3, -1
	s_delay_alu instid0(VALU_DEP_1) | instskip(NEXT) | instid1(VALU_DEP_3)
	v_cndmask_b32_e64 v9, 0, 1, s3
	v_cmp_gt_i32_e64 s3, 0, v34
	s_delay_alu instid0(VALU_DEP_2) | instskip(SKIP_1) | instid1(VALU_DEP_1)
	v_cmp_ne_u32_e32 vcc_lo, 0, v9
	v_not_b32_e32 v9, v34
	v_dual_ashrrev_i32 v9, 31, v9 :: v_dual_lshlrev_b32 v38, 29, v8
	v_dual_lshlrev_b32 v42, 28, v8 :: v_dual_lshlrev_b32 v43, 27, v8
	v_lshlrev_b32_e32 v44, 26, v8
	v_mad_u32 v48, 0x44, v8, v2
	s_delay_alu instid0(VALU_DEP_4)
	v_cmp_gt_i32_e64 s4, 0, v38
	v_not_b32_e32 v34, v38
	v_not_b32_e32 v38, v42
	v_dual_lshlrev_b32 v46, 25, v8 :: v_dual_lshlrev_b32 v8, 24, v8
	v_cmp_gt_i32_e64 s5, 0, v42
	v_cmp_gt_i32_e64 s6, 0, v43
	v_not_b32_e32 v42, v43
	v_not_b32_e32 v43, v44
	v_dual_ashrrev_i32 v34, 31, v34 :: v_dual_bitop2_b32 v3, vcc_lo, v3 bitop3:0x14
	v_dual_ashrrev_i32 v38, 31, v38 :: v_dual_bitop2_b32 v9, s3, v9 bitop3:0x14
	v_cmp_gt_i32_e64 s7, 0, v44
	v_not_b32_e32 v44, v46
	v_cmp_gt_i32_e64 s9, 0, v8
	v_not_b32_e32 v8, v8
	v_dual_ashrrev_i32 v42, 31, v42 :: v_dual_ashrrev_i32 v43, 31, v43
	v_xor_b32_e32 v34, s4, v34
	s_delay_alu instid0(VALU_DEP_3) | instskip(SKIP_4) | instid1(VALU_DEP_4)
	v_dual_ashrrev_i32 v8, 31, v8 :: v_dual_bitop2_b32 v38, s5, v38 bitop3:0x14
	v_bitop3_b32 v3, v3, v9, exec_lo bitop3:0x80
	v_cmp_gt_i32_e64 s8, 0, v46
	v_dual_ashrrev_i32 v9, 31, v44 :: v_dual_bitop2_b32 v42, s6, v42 bitop3:0x14
	v_xor_b32_e32 v43, s7, v43
	v_bitop3_b32 v3, v3, v38, v34 bitop3:0x80
	v_xor_b32_e32 v8, s9, v8
	s_delay_alu instid0(VALU_DEP_4) | instskip(NEXT) | instid1(VALU_DEP_3)
	v_xor_b32_e32 v9, s8, v9
	v_bitop3_b32 v3, v3, v43, v42 bitop3:0x80
	ds_load_b32 v43, v48 offset:64
	; wave barrier
	v_bitop3_b32 v3, v3, v8, v9 bitop3:0x80
	s_delay_alu instid0(VALU_DEP_1) | instskip(SKIP_1) | instid1(VALU_DEP_2)
	v_mbcnt_lo_u32_b32 v44, v3, 0
	v_cmp_ne_u32_e64 s3, 0, v3
	v_cmp_eq_u32_e32 vcc_lo, 0, v44
	s_and_b32 s4, s3, vcc_lo
	s_delay_alu instid0(SALU_CYCLE_1)
	s_and_saveexec_b32 s3, s4
	s_cbranch_execz .LBB1328_45
; %bb.44:
	s_wait_dscnt 0x0
	v_bcnt_u32_b32 v3, v3, v43
	ds_store_b32 v48, v3 offset:64
.LBB1328_45:
	s_or_b32 exec_lo, exec_lo, s3
	v_cmp_gt_i32_e32 vcc_lo, 0, v7
	; wave barrier
	v_cndmask_b32_e64 v3, 0x7fffffff, 0, vcc_lo
	s_delay_alu instid0(VALU_DEP_1) | instskip(NEXT) | instid1(VALU_DEP_1)
	v_xor_b32_e32 v34, v3, v7
	v_cmp_ne_u32_e32 vcc_lo, 0x80000000, v34
	v_cndmask_b32_e32 v3, 0x7fffffff, v34, vcc_lo
	s_delay_alu instid0(VALU_DEP_1) | instskip(NEXT) | instid1(VALU_DEP_1)
	v_lshrrev_b32_e32 v3, s20, v3
	v_and_b32_e32 v7, s29, v3
	v_bitop3_b32 v3, v3, 1, s29 bitop3:0x80
	s_delay_alu instid0(VALU_DEP_2) | instskip(NEXT) | instid1(VALU_DEP_2)
	v_lshlrev_b32_e32 v9, 30, v7
	v_add_co_u32 v3, s3, v3, -1
	s_delay_alu instid0(VALU_DEP_1) | instskip(SKIP_1) | instid1(VALU_DEP_4)
	v_cndmask_b32_e64 v8, 0, 1, s3
	v_lshlrev_b32_e32 v38, 29, v7
	v_cmp_gt_i32_e64 s3, 0, v9
	s_delay_alu instid0(VALU_DEP_3) | instskip(SKIP_1) | instid1(VALU_DEP_4)
	v_cmp_ne_u32_e32 vcc_lo, 0, v8
	v_not_b32_e32 v8, v9
	v_not_b32_e32 v9, v38
	v_cmp_gt_i32_e64 s4, 0, v38
	s_delay_alu instid0(VALU_DEP_2) | instskip(SKIP_3) | instid1(VALU_DEP_3)
	v_dual_ashrrev_i32 v8, 31, v8 :: v_dual_ashrrev_i32 v9, 31, v9
	v_dual_lshlrev_b32 v42, 28, v7 :: v_dual_lshlrev_b32 v46, 27, v7
	v_dual_lshlrev_b32 v47, 26, v7 :: v_dual_lshlrev_b32 v49, 25, v7
	v_mad_u32 v51, 0x44, v7, v2
	v_not_b32_e32 v38, v42
	v_lshlrev_b32_e32 v7, 24, v7
	v_cmp_gt_i32_e64 s5, 0, v42
	v_cmp_gt_i32_e64 s6, 0, v46
	v_not_b32_e32 v42, v46
	v_not_b32_e32 v46, v47
	v_dual_ashrrev_i32 v38, 31, v38 :: v_dual_bitop2_b32 v3, vcc_lo, v3 bitop3:0x14
	v_xor_b32_e32 v8, s3, v8
	v_cmp_gt_i32_e64 s7, 0, v47
	v_not_b32_e32 v47, v49
	v_cmp_gt_i32_e64 s9, 0, v7
	v_not_b32_e32 v7, v7
	v_ashrrev_i32_e32 v42, 31, v42
	v_dual_ashrrev_i32 v46, 31, v46 :: v_dual_bitop2_b32 v9, s4, v9 bitop3:0x14
	s_delay_alu instid0(VALU_DEP_3) | instskip(SKIP_4) | instid1(VALU_DEP_4)
	v_dual_ashrrev_i32 v7, 31, v7 :: v_dual_bitop2_b32 v38, s5, v38 bitop3:0x14
	v_bitop3_b32 v3, v3, v8, exec_lo bitop3:0x80
	v_cmp_gt_i32_e64 s8, 0, v49
	v_dual_ashrrev_i32 v8, 31, v47 :: v_dual_bitop2_b32 v42, s6, v42 bitop3:0x14
	v_xor_b32_e32 v46, s7, v46
	v_bitop3_b32 v3, v3, v38, v9 bitop3:0x80
	v_xor_b32_e32 v7, s9, v7
	s_delay_alu instid0(VALU_DEP_4) | instskip(SKIP_2) | instid1(VALU_DEP_1)
	v_xor_b32_e32 v8, s8, v8
	ds_load_b32 v47, v51 offset:64
	v_bitop3_b32 v3, v3, v46, v42 bitop3:0x80
	; wave barrier
	v_bitop3_b32 v3, v3, v7, v8 bitop3:0x80
	s_delay_alu instid0(VALU_DEP_1) | instskip(SKIP_1) | instid1(VALU_DEP_2)
	v_mbcnt_lo_u32_b32 v49, v3, 0
	v_cmp_ne_u32_e64 s3, 0, v3
	v_cmp_eq_u32_e32 vcc_lo, 0, v49
	s_and_b32 s4, s3, vcc_lo
	s_delay_alu instid0(SALU_CYCLE_1)
	s_and_saveexec_b32 s3, s4
	s_cbranch_execz .LBB1328_47
; %bb.46:
	s_wait_dscnt 0x0
	v_bcnt_u32_b32 v3, v3, v47
	ds_store_b32 v51, v3 offset:64
.LBB1328_47:
	s_or_b32 exec_lo, exec_lo, s3
	v_cmp_gt_i32_e32 vcc_lo, 0, v6
	; wave barrier
	v_cndmask_b32_e64 v3, 0x7fffffff, 0, vcc_lo
	s_delay_alu instid0(VALU_DEP_1) | instskip(NEXT) | instid1(VALU_DEP_1)
	v_xor_b32_e32 v38, v3, v6
	v_cmp_ne_u32_e32 vcc_lo, 0x80000000, v38
	v_cndmask_b32_e32 v3, 0x7fffffff, v38, vcc_lo
	s_delay_alu instid0(VALU_DEP_1) | instskip(NEXT) | instid1(VALU_DEP_1)
	v_lshrrev_b32_e32 v3, s20, v3
	v_and_b32_e32 v6, s29, v3
	v_bitop3_b32 v3, v3, 1, s29 bitop3:0x80
	s_delay_alu instid0(VALU_DEP_2) | instskip(NEXT) | instid1(VALU_DEP_2)
	v_dual_lshlrev_b32 v8, 30, v6 :: v_dual_lshlrev_b32 v9, 29, v6
	v_add_co_u32 v3, s3, v3, -1
	s_delay_alu instid0(VALU_DEP_1) | instskip(SKIP_1) | instid1(VALU_DEP_4)
	v_cndmask_b32_e64 v7, 0, 1, s3
	v_lshlrev_b32_e32 v42, 28, v6
	v_cmp_gt_i32_e64 s3, 0, v8
	v_cmp_gt_i32_e64 s4, 0, v9
	s_delay_alu instid0(VALU_DEP_4) | instskip(SKIP_3) | instid1(VALU_DEP_2)
	v_cmp_ne_u32_e32 vcc_lo, 0, v7
	v_not_b32_e32 v7, v8
	v_not_b32_e32 v8, v9
	;; [unrolled: 1-line block ×3, first 2 shown]
	v_dual_ashrrev_i32 v7, 31, v7 :: v_dual_ashrrev_i32 v8, 31, v8
	s_delay_alu instid0(VALU_DEP_2) | instskip(SKIP_4) | instid1(VALU_DEP_3)
	v_ashrrev_i32_e32 v9, 31, v9
	v_mad_u32 v53, 0x44, v6, v2
	v_dual_lshlrev_b32 v46, 27, v6 :: v_dual_lshlrev_b32 v50, 26, v6
	v_dual_lshlrev_b32 v52, 25, v6 :: v_dual_lshlrev_b32 v6, 24, v6
	v_cmp_gt_i32_e64 s5, 0, v42
	v_cmp_gt_i32_e64 s6, 0, v46
	v_not_b32_e32 v42, v46
	v_not_b32_e32 v46, v50
	v_xor_b32_e32 v3, vcc_lo, v3
	v_xor_b32_e32 v7, s3, v7
	v_cmp_gt_i32_e64 s7, 0, v50
	v_not_b32_e32 v50, v52
	v_cmp_gt_i32_e64 s9, 0, v6
	v_not_b32_e32 v6, v6
	v_ashrrev_i32_e32 v42, 31, v42
	v_dual_ashrrev_i32 v46, 31, v46 :: v_dual_bitop2_b32 v8, s4, v8 bitop3:0x14
	s_delay_alu instid0(VALU_DEP_3)
	v_dual_ashrrev_i32 v6, 31, v6 :: v_dual_bitop2_b32 v9, s5, v9 bitop3:0x14
	v_bitop3_b32 v3, v3, v7, exec_lo bitop3:0x80
	v_cmp_gt_i32_e64 s8, 0, v52
	v_ashrrev_i32_e32 v7, 31, v50
	v_xor_b32_e32 v42, s6, v42
	v_xor_b32_e32 v46, s7, v46
	v_bitop3_b32 v3, v3, v9, v8 bitop3:0x80
	v_xor_b32_e32 v6, s9, v6
	v_xor_b32_e32 v7, s8, v7
	ds_load_b32 v50, v53 offset:64
	v_bitop3_b32 v3, v3, v46, v42 bitop3:0x80
	; wave barrier
	s_delay_alu instid0(VALU_DEP_1) | instskip(NEXT) | instid1(VALU_DEP_1)
	v_bitop3_b32 v3, v3, v6, v7 bitop3:0x80
	v_mbcnt_lo_u32_b32 v52, v3, 0
	v_cmp_ne_u32_e64 s3, 0, v3
	s_delay_alu instid0(VALU_DEP_2) | instskip(SKIP_1) | instid1(SALU_CYCLE_1)
	v_cmp_eq_u32_e32 vcc_lo, 0, v52
	s_and_b32 s4, s3, vcc_lo
	s_and_saveexec_b32 s3, s4
	s_cbranch_execz .LBB1328_49
; %bb.48:
	s_wait_dscnt 0x0
	v_bcnt_u32_b32 v3, v3, v50
	ds_store_b32 v53, v3 offset:64
.LBB1328_49:
	s_or_b32 exec_lo, exec_lo, s3
	v_cmp_gt_i32_e32 vcc_lo, 0, v5
	; wave barrier
	v_cndmask_b32_e64 v3, 0x7fffffff, 0, vcc_lo
	s_delay_alu instid0(VALU_DEP_1) | instskip(NEXT) | instid1(VALU_DEP_1)
	v_xor_b32_e32 v42, v3, v5
	v_cmp_ne_u32_e32 vcc_lo, 0x80000000, v42
	v_cndmask_b32_e32 v3, 0x7fffffff, v42, vcc_lo
	s_delay_alu instid0(VALU_DEP_1) | instskip(NEXT) | instid1(VALU_DEP_1)
	v_lshrrev_b32_e32 v3, s20, v3
	v_and_b32_e32 v5, s29, v3
	v_bitop3_b32 v3, v3, 1, s29 bitop3:0x80
	s_delay_alu instid0(VALU_DEP_2) | instskip(NEXT) | instid1(VALU_DEP_2)
	v_lshlrev_b32_e32 v7, 30, v5
	v_add_co_u32 v3, s3, v3, -1
	s_delay_alu instid0(VALU_DEP_1) | instskip(NEXT) | instid1(VALU_DEP_1)
	v_cndmask_b32_e64 v6, 0, 1, s3
	v_cmp_ne_u32_e32 vcc_lo, 0, v6
	s_delay_alu instid0(VALU_DEP_4) | instskip(NEXT) | instid1(VALU_DEP_1)
	v_not_b32_e32 v6, v7
	v_dual_ashrrev_i32 v6, 31, v6 :: v_dual_lshlrev_b32 v8, 29, v5
	v_dual_lshlrev_b32 v9, 28, v5 :: v_dual_lshlrev_b32 v46, 27, v5
	v_lshlrev_b32_e32 v54, 26, v5
	v_cmp_gt_i32_e64 s3, 0, v7
	s_delay_alu instid0(VALU_DEP_4)
	v_cmp_gt_i32_e64 s4, 0, v8
	v_not_b32_e32 v7, v8
	v_not_b32_e32 v8, v9
	v_mad_u32 v56, 0x44, v5, v2
	v_dual_lshlrev_b32 v55, 25, v5 :: v_dual_lshlrev_b32 v5, 24, v5
	v_cmp_gt_i32_e64 s5, 0, v9
	v_cmp_gt_i32_e64 s6, 0, v46
	v_not_b32_e32 v9, v46
	v_not_b32_e32 v46, v54
	v_dual_ashrrev_i32 v8, 31, v8 :: v_dual_bitop2_b32 v3, vcc_lo, v3 bitop3:0x14
	v_dual_ashrrev_i32 v7, 31, v7 :: v_dual_bitop2_b32 v6, s3, v6 bitop3:0x14
	v_cmp_gt_i32_e64 s7, 0, v54
	v_not_b32_e32 v54, v55
	v_cmp_gt_i32_e64 s9, 0, v5
	v_not_b32_e32 v5, v5
	v_dual_ashrrev_i32 v9, 31, v9 :: v_dual_ashrrev_i32 v46, 31, v46
	v_xor_b32_e32 v7, s4, v7
	s_delay_alu instid0(VALU_DEP_3) | instskip(SKIP_4) | instid1(VALU_DEP_4)
	v_dual_ashrrev_i32 v5, 31, v5 :: v_dual_bitop2_b32 v8, s5, v8 bitop3:0x14
	v_bitop3_b32 v3, v3, v6, exec_lo bitop3:0x80
	v_cmp_gt_i32_e64 s8, 0, v55
	v_dual_ashrrev_i32 v6, 31, v54 :: v_dual_bitop2_b32 v9, s6, v9 bitop3:0x14
	v_xor_b32_e32 v46, s7, v46
	v_bitop3_b32 v3, v3, v8, v7 bitop3:0x80
	v_xor_b32_e32 v5, s9, v5
	s_delay_alu instid0(VALU_DEP_4) | instskip(SKIP_2) | instid1(VALU_DEP_1)
	v_xor_b32_e32 v6, s8, v6
	ds_load_b32 v54, v56 offset:64
	v_bitop3_b32 v3, v3, v46, v9 bitop3:0x80
	; wave barrier
	v_bitop3_b32 v3, v3, v5, v6 bitop3:0x80
	s_delay_alu instid0(VALU_DEP_1) | instskip(SKIP_1) | instid1(VALU_DEP_2)
	v_mbcnt_lo_u32_b32 v55, v3, 0
	v_cmp_ne_u32_e64 s3, 0, v3
	v_cmp_eq_u32_e32 vcc_lo, 0, v55
	s_and_b32 s4, s3, vcc_lo
	s_delay_alu instid0(SALU_CYCLE_1)
	s_and_saveexec_b32 s3, s4
	s_cbranch_execz .LBB1328_51
; %bb.50:
	s_wait_dscnt 0x0
	v_bcnt_u32_b32 v3, v3, v54
	ds_store_b32 v56, v3 offset:64
.LBB1328_51:
	s_or_b32 exec_lo, exec_lo, s3
	v_cmp_gt_i32_e32 vcc_lo, 0, v4
	; wave barrier
	v_cndmask_b32_e64 v3, 0x7fffffff, 0, vcc_lo
	s_delay_alu instid0(VALU_DEP_1) | instskip(NEXT) | instid1(VALU_DEP_1)
	v_xor_b32_e32 v46, v3, v4
	v_cmp_ne_u32_e32 vcc_lo, 0x80000000, v46
	v_cndmask_b32_e32 v3, 0x7fffffff, v46, vcc_lo
	s_delay_alu instid0(VALU_DEP_1) | instskip(NEXT) | instid1(VALU_DEP_1)
	v_lshrrev_b32_e32 v3, s20, v3
	v_and_b32_e32 v4, s29, v3
	v_bitop3_b32 v3, v3, 1, s29 bitop3:0x80
	s_delay_alu instid0(VALU_DEP_2) | instskip(NEXT) | instid1(VALU_DEP_2)
	v_mad_u32 v59, 0x44, v4, v2
	v_add_co_u32 v2, s3, v3, -1
	s_delay_alu instid0(VALU_DEP_1) | instskip(SKIP_1) | instid1(VALU_DEP_2)
	v_cndmask_b32_e64 v3, 0, 1, s3
	v_lshlrev_b32_e32 v5, 30, v4
	v_cmp_ne_u32_e32 vcc_lo, 0, v3
	s_delay_alu instid0(VALU_DEP_2) | instskip(NEXT) | instid1(VALU_DEP_1)
	v_not_b32_e32 v3, v5
	v_dual_ashrrev_i32 v3, 31, v3 :: v_dual_lshlrev_b32 v6, 29, v4
	v_dual_lshlrev_b32 v7, 28, v4 :: v_dual_lshlrev_b32 v8, 27, v4
	v_lshlrev_b32_e32 v9, 26, v4
	v_cmp_gt_i32_e64 s3, 0, v5
	s_delay_alu instid0(VALU_DEP_4)
	v_cmp_gt_i32_e64 s4, 0, v6
	v_not_b32_e32 v5, v6
	v_not_b32_e32 v6, v7
	v_dual_lshlrev_b32 v57, 25, v4 :: v_dual_lshlrev_b32 v4, 24, v4
	v_cmp_gt_i32_e64 s5, 0, v7
	v_cmp_gt_i32_e64 s6, 0, v8
	v_not_b32_e32 v7, v8
	v_not_b32_e32 v8, v9
	v_dual_ashrrev_i32 v5, 31, v5 :: v_dual_bitop2_b32 v2, vcc_lo, v2 bitop3:0x14
	v_dual_ashrrev_i32 v6, 31, v6 :: v_dual_bitop2_b32 v3, s3, v3 bitop3:0x14
	v_cmp_gt_i32_e64 s7, 0, v9
	v_not_b32_e32 v9, v57
	v_cmp_gt_i32_e64 s9, 0, v4
	v_not_b32_e32 v4, v4
	v_dual_ashrrev_i32 v7, 31, v7 :: v_dual_ashrrev_i32 v8, 31, v8
	v_xor_b32_e32 v5, s4, v5
	v_xor_b32_e32 v6, s5, v6
	v_bitop3_b32 v2, v2, v3, exec_lo bitop3:0x80
	v_cmp_gt_i32_e64 s8, 0, v57
	v_dual_ashrrev_i32 v3, 31, v9 :: v_dual_ashrrev_i32 v4, 31, v4
	v_xor_b32_e32 v7, s6, v7
	v_xor_b32_e32 v8, s7, v8
	v_bitop3_b32 v2, v2, v6, v5 bitop3:0x80
	s_delay_alu instid0(VALU_DEP_4) | instskip(SKIP_3) | instid1(VALU_DEP_1)
	v_xor_b32_e32 v3, s8, v3
	v_xor_b32_e32 v4, s9, v4
	ds_load_b32 v57, v59 offset:64
	v_bitop3_b32 v2, v2, v8, v7 bitop3:0x80
	; wave barrier
	v_bitop3_b32 v2, v2, v4, v3 bitop3:0x80
	s_delay_alu instid0(VALU_DEP_1) | instskip(SKIP_1) | instid1(VALU_DEP_2)
	v_mbcnt_lo_u32_b32 v58, v2, 0
	v_cmp_ne_u32_e64 s3, 0, v2
	v_cmp_eq_u32_e32 vcc_lo, 0, v58
	s_and_b32 s4, s3, vcc_lo
	s_delay_alu instid0(SALU_CYCLE_1)
	s_and_saveexec_b32 s3, s4
	s_cbranch_execz .LBB1328_53
; %bb.52:
	s_wait_dscnt 0x0
	v_bcnt_u32_b32 v2, v2, v57
	ds_store_b32 v59, v2 offset:64
.LBB1328_53:
	s_or_b32 exec_lo, exec_lo, s3
	; wave barrier
	s_wait_dscnt 0x0
	s_barrier_signal -1
	s_barrier_wait -1
	ds_load_2addr_b32 v[8:9], v10 offset0:16 offset1:17
	ds_load_2addr_b32 v[6:7], v10 offset0:18 offset1:19
	;; [unrolled: 1-line block ×4, first 2 shown]
	ds_load_b32 v60, v10 offset:96
	v_min_u32_e32 v63, 0x1e0, v16
	s_mov_b32 s7, exec_lo
	s_wait_dscnt 0x3
	v_add3_u32 v61, v9, v8, v6
	s_wait_dscnt 0x2
	s_delay_alu instid0(VALU_DEP_1) | instskip(SKIP_1) | instid1(VALU_DEP_1)
	v_add3_u32 v61, v61, v7, v4
	s_wait_dscnt 0x1
	v_add3_u32 v61, v61, v5, v2
	s_wait_dscnt 0x0
	s_delay_alu instid0(VALU_DEP_1) | instskip(SKIP_1) | instid1(VALU_DEP_2)
	v_add3_u32 v60, v61, v3, v60
	v_and_b32_e32 v61, 15, v15
	v_mov_b32_dpp v62, v60 row_shr:1 row_mask:0xf bank_mask:0xf
	s_delay_alu instid0(VALU_DEP_2) | instskip(NEXT) | instid1(VALU_DEP_2)
	v_cmp_eq_u32_e32 vcc_lo, 0, v61
	v_cndmask_b32_e64 v62, v62, 0, vcc_lo
	s_delay_alu instid0(VALU_DEP_1) | instskip(SKIP_3) | instid1(VALU_DEP_4)
	v_add_nc_u32_e32 v60, v62, v60
	v_cmp_lt_u32_e64 s3, 1, v61
	v_cmp_lt_u32_e64 s4, 3, v61
	;; [unrolled: 1-line block ×3, first 2 shown]
	v_mov_b32_dpp v62, v60 row_shr:2 row_mask:0xf bank_mask:0xf
	s_delay_alu instid0(VALU_DEP_1) | instskip(NEXT) | instid1(VALU_DEP_1)
	v_cndmask_b32_e64 v62, 0, v62, s3
	v_add_nc_u32_e32 v60, v60, v62
	s_delay_alu instid0(VALU_DEP_1) | instskip(NEXT) | instid1(VALU_DEP_1)
	v_mov_b32_dpp v62, v60 row_shr:4 row_mask:0xf bank_mask:0xf
	v_cndmask_b32_e64 v62, 0, v62, s4
	s_delay_alu instid0(VALU_DEP_1) | instskip(NEXT) | instid1(VALU_DEP_1)
	v_add_nc_u32_e32 v60, v60, v62
	v_mov_b32_dpp v62, v60 row_shr:8 row_mask:0xf bank_mask:0xf
	s_delay_alu instid0(VALU_DEP_1) | instskip(SKIP_1) | instid1(VALU_DEP_2)
	v_cndmask_b32_e64 v61, 0, v62, s5
	v_bfe_i32 v62, v15, 4, 1
	v_add_nc_u32_e32 v60, v60, v61
	ds_swizzle_b32 v61, v60 offset:swizzle(BROADCAST,32,15)
	s_wait_dscnt 0x0
	v_dual_lshrrev_b32 v61, 5, v14 :: v_dual_bitop2_b32 v62, v62, v61 bitop3:0x40
	s_delay_alu instid0(VALU_DEP_1) | instskip(NEXT) | instid1(VALU_DEP_1)
	v_dual_add_nc_u32 v60, v60, v62 :: v_dual_bitop2_b32 v63, 31, v63 bitop3:0x54
	v_cmpx_eq_u32_e64 v14, v63
; %bb.54:
	s_delay_alu instid0(VALU_DEP_3)
	v_lshlrev_b32_e32 v62, 2, v61
	ds_store_b32 v62, v60
; %bb.55:
	s_or_b32 exec_lo, exec_lo, s7
	s_delay_alu instid0(SALU_CYCLE_1)
	s_mov_b32 s7, exec_lo
	s_wait_dscnt 0x0
	s_barrier_signal -1
	s_barrier_wait -1
	v_cmpx_gt_u32_e32 16, v14
	s_cbranch_execz .LBB1328_57
; %bb.56:
	v_lshlrev_b32_e32 v62, 2, v14
	ds_load_b32 v63, v62
	s_wait_dscnt 0x0
	v_mov_b32_dpp v64, v63 row_shr:1 row_mask:0xf bank_mask:0xf
	s_delay_alu instid0(VALU_DEP_1) | instskip(NEXT) | instid1(VALU_DEP_1)
	v_cndmask_b32_e64 v64, v64, 0, vcc_lo
	v_add_nc_u32_e32 v63, v64, v63
	s_delay_alu instid0(VALU_DEP_1) | instskip(NEXT) | instid1(VALU_DEP_1)
	v_mov_b32_dpp v64, v63 row_shr:2 row_mask:0xf bank_mask:0xf
	v_cndmask_b32_e64 v64, 0, v64, s3
	s_delay_alu instid0(VALU_DEP_1) | instskip(NEXT) | instid1(VALU_DEP_1)
	v_add_nc_u32_e32 v63, v63, v64
	v_mov_b32_dpp v64, v63 row_shr:4 row_mask:0xf bank_mask:0xf
	s_delay_alu instid0(VALU_DEP_1) | instskip(NEXT) | instid1(VALU_DEP_1)
	v_cndmask_b32_e64 v64, 0, v64, s4
	v_add_nc_u32_e32 v63, v63, v64
	s_delay_alu instid0(VALU_DEP_1) | instskip(NEXT) | instid1(VALU_DEP_1)
	v_mov_b32_dpp v64, v63 row_shr:8 row_mask:0xf bank_mask:0xf
	v_cndmask_b32_e64 v64, 0, v64, s5
	s_delay_alu instid0(VALU_DEP_1)
	v_add_nc_u32_e32 v63, v63, v64
	ds_store_b32 v62, v63
.LBB1328_57:
	s_or_b32 exec_lo, exec_lo, s7
	v_mov_b32_e32 v62, 0
	s_mov_b32 s3, exec_lo
	s_wait_dscnt 0x0
	s_barrier_signal -1
	s_barrier_wait -1
	v_cmpx_lt_u32_e32 31, v14
; %bb.58:
	v_lshl_add_u32 v61, v61, 2, -4
	ds_load_b32 v62, v61
; %bb.59:
	s_or_b32 exec_lo, exec_lo, s3
	v_sub_co_u32 v61, vcc_lo, v15, 1
	s_wait_dscnt 0x0
	v_add_nc_u32_e32 v60, v62, v60
	s_delay_alu instid0(VALU_DEP_2) | instskip(NEXT) | instid1(VALU_DEP_1)
	v_cmp_gt_i32_e64 s3, 0, v61
	v_cndmask_b32_e64 v61, v61, v15, s3
	v_cmp_lt_u32_e64 s3, 0xff, v14
	s_delay_alu instid0(VALU_DEP_2) | instskip(SKIP_4) | instid1(VALU_DEP_2)
	v_lshlrev_b32_e32 v61, 2, v61
	ds_bpermute_b32 v60, v61, v60
	s_wait_dscnt 0x0
	v_cndmask_b32_e32 v60, v60, v62, vcc_lo
	v_cmp_gt_u32_e32 vcc_lo, 0x100, v14
	v_cndmask_b32_e64 v60, v60, 0, s2
	s_delay_alu instid0(VALU_DEP_1) | instskip(NEXT) | instid1(VALU_DEP_1)
	v_add_nc_u32_e32 v8, v60, v8
	v_add_nc_u32_e32 v9, v8, v9
	s_delay_alu instid0(VALU_DEP_1) | instskip(NEXT) | instid1(VALU_DEP_1)
	v_add_nc_u32_e32 v6, v9, v6
	v_add_nc_u32_e32 v7, v6, v7
	;; [unrolled: 3-line block ×4, first 2 shown]
	ds_store_2addr_b32 v10, v60, v8 offset0:16 offset1:17
	ds_store_2addr_b32 v10, v9, v6 offset0:18 offset1:19
	;; [unrolled: 1-line block ×4, first 2 shown]
	ds_store_b32 v10, v3 offset:96
	s_wait_dscnt 0x0
	s_barrier_signal -1
	s_barrier_wait -1
	ds_load_b32 v63, v11 offset:64
	ds_load_b32 v60, v12 offset:64
	;; [unrolled: 1-line block ×12, first 2 shown]
	v_mov_b64_e32 v[2:3], 0
                                        ; implicit-def: $vgpr4
	s_and_saveexec_b32 s5, vcc_lo
	s_cbranch_execz .LBB1328_63
; %bb.60:
	v_mul_u32_u24_e32 v2, 0x44, v14
	v_dual_mov_b32 v3, 0x1800 :: v_dual_add_nc_u32 v4, 1, v14
	s_mov_b32 s6, exec_lo
	ds_load_b32 v2, v2 offset:64
	v_cmpx_ne_u32_e32 0x100, v4
; %bb.61:
	v_mul_u32_u24_e32 v3, 0x44, v4
	ds_load_b32 v3, v3 offset:64
; %bb.62:
	s_or_b32 exec_lo, exec_lo, s6
	s_wait_dscnt 0x0
	v_dual_mov_b32 v3, 0 :: v_dual_sub_nc_u32 v4, v3, v2
.LBB1328_63:
	s_or_b32 exec_lo, exec_lo, s5
	v_dual_mov_b32 v7, 0 :: v_dual_lshlrev_b32 v5, 3, v14
	s_wait_dscnt 0x0
	s_barrier_signal -1
	s_barrier_wait -1
	s_and_saveexec_b32 s4, vcc_lo
	s_cbranch_execz .LBB1328_73
; %bb.64:
	v_lshl_add_u32 v6, s23, 8, v14
	v_dual_mov_b32 v10, 0 :: v_dual_bitop2_b32 v11, 2.0, v4 bitop3:0x54
	s_mov_b32 s5, 0
	s_mov_b32 s6, s23
	s_delay_alu instid0(VALU_DEP_2)
	v_lshl_add_u64 v[8:9], v[6:7], 2, s[10:11]
	global_store_b32 v6, v11, s[10:11] scale_offset scope:SCOPE_DEV
                                        ; implicit-def: $sgpr7
	s_branch .LBB1328_67
.LBB1328_65:                            ;   in Loop: Header=BB1328_67 Depth=1
	s_or_b32 exec_lo, exec_lo, s8
.LBB1328_66:                            ;   in Loop: Header=BB1328_67 Depth=1
	s_delay_alu instid0(SALU_CYCLE_1) | instskip(SKIP_2) | instid1(VALU_DEP_2)
	s_or_b32 exec_lo, exec_lo, s7
	v_and_b32_e32 v6, 0x3fffffff, v11
	v_cmp_gt_i32_e64 s7, -2.0, v11
	v_add_nc_u32_e32 v10, v6, v10
	s_and_b32 s8, exec_lo, s7
	s_delay_alu instid0(SALU_CYCLE_1) | instskip(NEXT) | instid1(SALU_CYCLE_1)
	s_or_b32 s5, s8, s5
	s_and_not1_b32 exec_lo, exec_lo, s5
	s_cbranch_execz .LBB1328_72
.LBB1328_67:                            ; =>This Loop Header: Depth=1
                                        ;     Child Loop BB1328_70 Depth 2
	s_or_b32 s7, s7, exec_lo
	s_cmp_eq_u32 s6, 0
	s_cbranch_scc1 .LBB1328_71
; %bb.68:                               ;   in Loop: Header=BB1328_67 Depth=1
	s_add_co_i32 s6, s6, -1
	s_mov_b32 s7, exec_lo
	s_wait_xcnt 0x0
	v_lshl_or_b32 v6, s6, 8, v14
	global_load_b32 v11, v6, s[10:11] scale_offset scope:SCOPE_DEV
	s_wait_loadcnt 0x0
	v_cmpx_gt_u32_e32 2.0, v11
	s_cbranch_execz .LBB1328_66
; %bb.69:                               ;   in Loop: Header=BB1328_67 Depth=1
	v_lshl_add_u64 v[12:13], v[6:7], 2, s[10:11]
	s_mov_b32 s8, 0
.LBB1328_70:                            ;   Parent Loop BB1328_67 Depth=1
                                        ; =>  This Inner Loop Header: Depth=2
	global_load_b32 v11, v[12:13], off scope:SCOPE_DEV
	s_wait_loadcnt 0x0
	v_cmp_lt_u32_e32 vcc_lo, 0x3fffffff, v11
	s_or_b32 s8, vcc_lo, s8
	s_wait_xcnt 0x0
	s_and_not1_b32 exec_lo, exec_lo, s8
	s_cbranch_execnz .LBB1328_70
	s_branch .LBB1328_65
.LBB1328_71:                            ;   in Loop: Header=BB1328_67 Depth=1
                                        ; implicit-def: $sgpr6
	s_and_b32 s8, exec_lo, s7
	s_delay_alu instid0(SALU_CYCLE_1)
	s_or_b32 s5, s8, s5
	s_wait_xcnt 0x0
	s_and_not1_b32 exec_lo, exec_lo, s5
	s_cbranch_execnz .LBB1328_67
.LBB1328_72:
	s_or_b32 exec_lo, exec_lo, s5
	v_dual_mov_b32 v11, 0 :: v_dual_add_nc_u32 v6, v10, v4
	s_delay_alu instid0(VALU_DEP_1) | instskip(SKIP_4) | instid1(VALU_DEP_1)
	v_or_b32_e32 v6, 0x80000000, v6
	global_store_b32 v[8:9], v6, off scope:SCOPE_DEV
	global_load_b64 v[6:7], v14, s[12:13] scale_offset
	v_sub_nc_u64_e32 v[8:9], v[10:11], v[2:3]
	s_wait_loadcnt 0x0
	v_add_nc_u64_e32 v[6:7], v[8:9], v[6:7]
	ds_store_b64 v5, v[6:7]
.LBB1328_73:
	s_wait_xcnt 0x0
	s_or_b32 exec_lo, exec_lo, s4
	v_dual_lshlrev_b32 v6, 2, v14 :: v_dual_add_nc_u32 v8, v63, v20
	v_mov_b32_e32 v7, 0
	v_add3_u32 v10, v55, v53, v54
	v_add3_u32 v9, v58, v56, v57
	s_delay_alu instid0(VALU_DEP_4)
	v_sub_nc_u32_e32 v53, 0, v6
	v_add3_u32 v11, v52, v51, v50
	v_add_nc_u64_e32 v[6:7], s[18:19], v[6:7]
	v_add3_u32 v12, v49, v48, v47
	v_add3_u32 v13, v44, v45, v43
	;; [unrolled: 1-line block ×6, first 2 shown]
	v_add_nc_u64_e32 v[6:7], 0x3800, v[6:7]
	v_add3_u32 v25, v26, v61, v25
	v_add3_u32 v22, v23, v60, v22
	v_add_nc_u32_e32 v23, 0xe00, v14
	v_add_nc_u32_e32 v26, v5, v53
	s_mov_b32 s4, 0
	s_mov_b32 s5, -1
	s_branch .LBB1328_75
.LBB1328_74:                            ;   in Loop: Header=BB1328_75 Depth=1
	s_wait_xcnt 0x0
	s_or_b32 exec_lo, exec_lo, s6
	v_add_nc_u64_e32 v[6:7], 0x4000, v[6:7]
	v_add_nc_u32_e32 v23, 0x1000, v23
	s_xor_b32 s5, s5, -1
	s_addk_co_i32 s4, 0xf000
	s_and_b32 vcc_lo, exec_lo, s5
	s_mov_b32 s5, 0
	s_wait_storecnt 0x0
	s_barrier_signal -1
	s_barrier_wait -1
	s_cbranch_vccnz .LBB1328_91
.LBB1328_75:                            ; =>This Inner Loop Header: Depth=1
	v_add_min_u32_e64 v29, v8, s4, 0x1000
	v_add_min_u32_e64 v32, v22, s4, 0x1000
	;; [unrolled: 1-line block ×5, first 2 shown]
	s_delay_alu instid0(VALU_DEP_4) | instskip(NEXT) | instid1(VALU_DEP_4)
	v_dual_lshlrev_b32 v29, 2, v29 :: v_dual_lshlrev_b32 v32, 2, v32
	v_lshlrev_b32_e32 v35, 2, v35
	v_add_min_u32_e64 v39, v33, s4, 0x1000
	s_mov_b32 s6, exec_lo
	ds_store_b32 v29, v1 offset:2048
	ds_store_b32 v32, v17 offset:2048
	v_add_min_u32_e64 v29, v20, s4, 0x1000
	v_lshlrev_b32_e32 v32, 2, v36
	ds_store_b32 v35, v18 offset:2048
	v_dual_lshlrev_b32 v35, 2, v37 :: v_dual_lshlrev_b32 v36, 2, v39
	v_add_min_u32_e64 v37, v13, s4, 0x1000
	v_lshlrev_b32_e32 v29, 2, v29
	ds_store_b32 v32, v19 offset:2048
	ds_store_b32 v35, v21 offset:2048
	ds_store_b32 v36, v24 offset:2048
	ds_store_b32 v29, v27 offset:2048
	v_add_min_u32_e64 v32, v12, s4, 0x1000
	v_add_min_u32_e64 v35, v11, s4, 0x1000
	;; [unrolled: 1-line block ×3, first 2 shown]
	v_lshlrev_b32_e32 v29, 2, v37
	v_add_min_u32_e64 v37, v9, s4, 0x1000
	ds_store_b32 v29, v30 offset:2048
	v_dual_lshlrev_b32 v29, 2, v32 :: v_dual_lshlrev_b32 v32, 2, v35
	v_dual_lshlrev_b32 v35, 2, v36 :: v_dual_lshlrev_b32 v36, 2, v37
	v_add_nc_u32_e32 v37, 0xfffff200, v23
	ds_store_b32 v29, v34 offset:2048
	ds_store_b32 v32, v38 offset:2048
	;; [unrolled: 1-line block ×4, first 2 shown]
	s_wait_storecnt_dscnt 0x0
	s_barrier_signal -1
	s_barrier_wait -1
	v_cmpx_gt_u32_e64 s22, v37
	s_cbranch_execz .LBB1328_77
; %bb.76:                               ;   in Loop: Header=BB1328_75 Depth=1
	ds_load_b32 v29, v26 offset:2048
	s_wait_dscnt 0x0
	v_cmp_ne_u32_e32 vcc_lo, 0x80000000, v29
	v_cndmask_b32_e32 v32, 0x7fffffff, v29, vcc_lo
	v_cmp_gt_i32_e32 vcc_lo, 0, v29
	s_delay_alu instid0(VALU_DEP_2) | instskip(NEXT) | instid1(VALU_DEP_1)
	v_lshrrev_b32_e32 v32, s20, v32
	v_and_b32_e32 v32, s29, v32
	s_delay_alu instid0(VALU_DEP_1) | instskip(SKIP_2) | instid1(VALU_DEP_1)
	v_lshlrev_b32_e32 v32, 3, v32
	ds_load_b64 v[36:37], v32
	v_cndmask_b32_e64 v32, 0x7fffffff, 0, vcc_lo
	v_xor_b32_e32 v29, v32, v29
	s_wait_dscnt 0x0
	v_lshl_add_u64 v[36:37], v[36:37], 2, v[6:7]
	global_store_b32 v[36:37], v29, off offset:-14336
.LBB1328_77:                            ;   in Loop: Header=BB1328_75 Depth=1
	s_wait_xcnt 0x0
	s_or_b32 exec_lo, exec_lo, s6
	v_add_nc_u32_e32 v29, 0xfffff400, v23
	s_mov_b32 s6, exec_lo
	s_delay_alu instid0(VALU_DEP_1)
	v_cmpx_gt_u32_e64 s22, v29
	s_cbranch_execz .LBB1328_79
; %bb.78:                               ;   in Loop: Header=BB1328_75 Depth=1
	ds_load_b32 v29, v26 offset:4096
	s_wait_dscnt 0x0
	v_cmp_ne_u32_e32 vcc_lo, 0x80000000, v29
	v_cndmask_b32_e32 v32, 0x7fffffff, v29, vcc_lo
	v_cmp_gt_i32_e32 vcc_lo, 0, v29
	s_delay_alu instid0(VALU_DEP_2) | instskip(NEXT) | instid1(VALU_DEP_1)
	v_lshrrev_b32_e32 v32, s20, v32
	v_and_b32_e32 v32, s29, v32
	s_delay_alu instid0(VALU_DEP_1) | instskip(SKIP_2) | instid1(VALU_DEP_1)
	v_lshlrev_b32_e32 v32, 3, v32
	ds_load_b64 v[36:37], v32
	v_cndmask_b32_e64 v32, 0x7fffffff, 0, vcc_lo
	v_xor_b32_e32 v29, v32, v29
	s_wait_dscnt 0x0
	v_lshl_add_u64 v[36:37], v[36:37], 2, v[6:7]
	global_store_b32 v[36:37], v29, off offset:-12288
.LBB1328_79:                            ;   in Loop: Header=BB1328_75 Depth=1
	s_wait_xcnt 0x0
	s_or_b32 exec_lo, exec_lo, s6
	v_add_nc_u32_e32 v29, 0xfffff600, v23
	s_mov_b32 s6, exec_lo
	s_delay_alu instid0(VALU_DEP_1)
	;; [unrolled: 25-line block ×6, first 2 shown]
	v_cmpx_gt_u32_e64 s22, v29
	s_cbranch_execz .LBB1328_89
; %bb.88:                               ;   in Loop: Header=BB1328_75 Depth=1
	ds_load_b32 v29, v26 offset:14336
	s_wait_dscnt 0x0
	v_cmp_ne_u32_e32 vcc_lo, 0x80000000, v29
	v_cndmask_b32_e32 v32, 0x7fffffff, v29, vcc_lo
	v_cmp_gt_i32_e32 vcc_lo, 0, v29
	s_delay_alu instid0(VALU_DEP_2) | instskip(NEXT) | instid1(VALU_DEP_1)
	v_lshrrev_b32_e32 v32, s20, v32
	v_and_b32_e32 v32, s29, v32
	s_delay_alu instid0(VALU_DEP_1) | instskip(SKIP_2) | instid1(VALU_DEP_1)
	v_lshlrev_b32_e32 v32, 3, v32
	ds_load_b64 v[36:37], v32
	v_cndmask_b32_e64 v32, 0x7fffffff, 0, vcc_lo
	v_xor_b32_e32 v29, v32, v29
	s_wait_dscnt 0x0
	v_lshl_add_u64 v[36:37], v[36:37], 2, v[6:7]
	global_store_b32 v[36:37], v29, off offset:-2048
.LBB1328_89:                            ;   in Loop: Header=BB1328_75 Depth=1
	s_wait_xcnt 0x0
	s_or_b32 exec_lo, exec_lo, s6
	s_delay_alu instid0(SALU_CYCLE_1)
	s_mov_b32 s6, exec_lo
	v_cmpx_gt_u32_e64 s22, v23
	s_cbranch_execz .LBB1328_74
; %bb.90:                               ;   in Loop: Header=BB1328_75 Depth=1
	ds_load_b32 v29, v26 offset:16384
	s_wait_dscnt 0x0
	v_cmp_ne_u32_e32 vcc_lo, 0x80000000, v29
	v_cndmask_b32_e32 v32, 0x7fffffff, v29, vcc_lo
	v_cmp_gt_i32_e32 vcc_lo, 0, v29
	s_delay_alu instid0(VALU_DEP_2) | instskip(NEXT) | instid1(VALU_DEP_1)
	v_lshrrev_b32_e32 v32, s20, v32
	v_and_b32_e32 v32, s29, v32
	s_delay_alu instid0(VALU_DEP_1) | instskip(SKIP_2) | instid1(VALU_DEP_1)
	v_lshlrev_b32_e32 v32, 3, v32
	ds_load_b64 v[36:37], v32
	v_cndmask_b32_e64 v32, 0x7fffffff, 0, vcc_lo
	v_xor_b32_e32 v29, v32, v29
	s_wait_dscnt 0x0
	v_lshl_add_u64 v[36:37], v[36:37], 2, v[6:7]
	global_store_b32 v[36:37], v29, off
	s_branch .LBB1328_74
.LBB1328_91:
	s_add_co_i32 s25, s25, -1
	s_delay_alu instid0(SALU_CYCLE_1) | instskip(SKIP_2) | instid1(SALU_CYCLE_1)
	s_cmp_eq_u32 s23, s25
	s_cselect_b32 s4, -1, 0
	s_xor_b32 s3, s3, -1
	s_and_b32 s4, s3, s4
	s_delay_alu instid0(SALU_CYCLE_1)
	s_and_saveexec_b32 s3, s4
	s_cbranch_execz .LBB1328_93
; %bb.92:
	ds_load_b64 v[6:7], v5
	v_mov_b32_e32 v5, 0
	s_delay_alu instid0(VALU_DEP_1) | instskip(SKIP_1) | instid1(VALU_DEP_1)
	v_add_nc_u64_e32 v[2:3], v[2:3], v[4:5]
	s_wait_dscnt 0x0
	v_add_nc_u64_e32 v[2:3], v[2:3], v[6:7]
	global_store_b64 v14, v[2:3], s[14:15] scale_offset
.LBB1328_93:
	s_wait_xcnt 0x0
	s_or_b32 exec_lo, exec_lo, s3
	s_mov_b32 s4, 0
.LBB1328_94:
	s_delay_alu instid0(SALU_CYCLE_1)
	s_and_b32 vcc_lo, exec_lo, s4
	s_cbranch_vccz .LBB1328_153
; %bb.95:
	s_mov_b32 s25, 0
	v_dual_mov_b32 v11, 0 :: v_dual_lshlrev_b32 v10, 2, v15
	s_lshl_b64 s[4:5], s[24:25], 2
	v_mul_u32_u24_e32 v1, 12, v16
	s_add_nc_u64 s[4:5], s[16:17], s[4:5]
	s_bfe_u32 s3, ttmp6, 0x4000c
	v_add_nc_u64_e32 v[2:3], s[4:5], v[10:11]
	s_add_co_i32 s3, s3, 1
	v_lshlrev_b32_e32 v10, 2, v1
	s_and_b32 s4, ttmp6, 15
	s_mul_i32 s3, ttmp9, s3
	s_delay_alu instid0(SALU_CYCLE_1) | instskip(NEXT) | instid1(VALU_DEP_1)
	s_add_co_i32 s4, s4, s3
	v_add_nc_u64_e32 v[18:19], v[2:3], v[10:11]
	s_cmp_eq_u32 s28, 0
	s_clause 0xb
	global_load_b32 v5, v[18:19], off
	global_load_b32 v12, v[18:19], off offset:128
	global_load_b32 v13, v[18:19], off offset:256
	global_load_b32 v20, v[18:19], off offset:384
	global_load_b32 v9, v[18:19], off offset:512
	global_load_b32 v8, v[18:19], off offset:640
	global_load_b32 v7, v[18:19], off offset:768
	global_load_b32 v6, v[18:19], off offset:896
	global_load_b32 v4, v[18:19], off offset:1024
	global_load_b32 v3, v[18:19], off offset:1152
	global_load_b32 v2, v[18:19], off offset:1280
	global_load_b32 v1, v[18:19], off offset:1408
	s_load_b32 s8, s[0:1], 0x58
	s_cselect_b32 s3, ttmp9, s4
	s_load_u16 s4, s[0:1], 0x66
	s_wait_kmcnt 0x0
	s_cmp_lt_u32 s3, s8
	s_cselect_b32 s24, 12, 18
	s_lshl_b32 s9, -1, s21
	s_add_nc_u64 s[0:1], s[26:27], s[24:25]
	s_load_u16 s0, s[0:1], 0x0
	s_wait_loadcnt 0xb
	v_cmp_gt_i32_e32 vcc_lo, 0, v5
	v_cndmask_b32_e64 v10, 0x7fffffff, 0, vcc_lo
	s_delay_alu instid0(VALU_DEP_1) | instskip(SKIP_2) | instid1(VALU_DEP_3)
	v_xor_b32_e32 v17, v10, v5
	v_bfe_u32 v10, v0, 10, 10
	v_bfe_u32 v0, v0, 20, 10
	v_cmp_ne_u32_e32 vcc_lo, 0x80000000, v17
	s_delay_alu instid0(VALU_DEP_2) | instskip(SKIP_2) | instid1(VALU_DEP_2)
	v_mad_u32_u24 v0, v0, s4, v10
	v_cndmask_b32_e32 v5, 0x7fffffff, v17, vcc_lo
	s_wait_kmcnt 0x0
	v_mad_u32 v0, v0, s0, v14
	s_delay_alu instid0(VALU_DEP_2) | instskip(NEXT) | instid1(VALU_DEP_1)
	v_lshrrev_b32_e32 v5, s20, v5
	v_bitop3_b32 v10, v5, 1, s9 bitop3:0x40
	v_bitop3_b32 v19, v5, s9, v5 bitop3:0x30
	s_not_b32 s9, s9
	s_delay_alu instid0(VALU_DEP_4) | instskip(NEXT) | instid1(VALU_DEP_3)
	v_lshrrev_b32_e32 v0, 5, v0
	v_add_co_u32 v5, s0, v10, -1
	s_delay_alu instid0(VALU_DEP_1) | instskip(SKIP_2) | instid1(VALU_DEP_3)
	v_cndmask_b32_e64 v10, 0, 1, s0
	v_dual_lshlrev_b32 v18, 30, v19 :: v_dual_lshlrev_b32 v21, 29, v19
	v_dual_lshlrev_b32 v23, 27, v19 :: v_dual_lshlrev_b32 v22, 28, v19
	v_cmp_ne_u32_e32 vcc_lo, 0, v10
	s_delay_alu instid0(VALU_DEP_3)
	v_not_b32_e32 v10, v18
	v_dual_lshlrev_b32 v24, 26, v19 :: v_dual_lshlrev_b32 v25, 25, v19
	v_lshlrev_b32_e32 v26, 24, v19
	v_cmp_gt_i32_e64 s0, 0, v18
	v_cmp_gt_i32_e64 s1, 0, v21
	v_not_b32_e32 v18, v21
	v_not_b32_e32 v21, v22
	v_ashrrev_i32_e32 v10, 31, v10
	v_cmp_gt_i32_e64 s3, 0, v22
	v_cmp_gt_i32_e64 s4, 0, v23
	v_not_b32_e32 v22, v23
	v_not_b32_e32 v23, v24
	v_dual_ashrrev_i32 v18, 31, v18 :: v_dual_bitop2_b32 v5, vcc_lo, v5 bitop3:0x14
	v_dual_ashrrev_i32 v21, 31, v21 :: v_dual_bitop2_b32 v10, s0, v10 bitop3:0x14
	v_cmp_gt_i32_e64 s5, 0, v24
	v_cmp_gt_i32_e64 s6, 0, v25
	v_not_b32_e32 v24, v25
	v_not_b32_e32 v25, v26
	v_dual_ashrrev_i32 v22, 31, v22 :: v_dual_ashrrev_i32 v23, 31, v23
	v_xor_b32_e32 v18, s1, v18
	v_xor_b32_e32 v21, s3, v21
	v_bitop3_b32 v5, v5, v10, exec_lo bitop3:0x80
	v_cmp_gt_i32_e64 s7, 0, v26
	v_dual_ashrrev_i32 v10, 31, v24 :: v_dual_ashrrev_i32 v24, 31, v25
	v_xor_b32_e32 v22, s4, v22
	v_dual_lshlrev_b32 v0, 2, v0 :: v_dual_bitop2_b32 v23, s5, v23 bitop3:0x14
	v_bitop3_b32 v5, v5, v21, v18 bitop3:0x80
	s_delay_alu instid0(VALU_DEP_4)
	v_xor_b32_e32 v18, s6, v10
	v_xor_b32_e32 v21, s7, v24
	v_mul_u32_u24_e32 v10, 36, v14
	ds_store_2addr_b32 v10, v11, v11 offset0:16 offset1:17
	ds_store_2addr_b32 v10, v11, v11 offset0:18 offset1:19
	ds_store_2addr_b32 v10, v11, v11 offset0:20 offset1:21
	ds_store_2addr_b32 v10, v11, v11 offset0:22 offset1:23
	v_bitop3_b32 v5, v5, v23, v22 bitop3:0x80
	ds_store_b32 v10, v11 offset:96
	v_mad_u32 v11, 0x44, v19, v0
	s_wait_storecnt 0x0
	s_wait_loadcnt_dscnt 0x0
	s_barrier_signal -1
	v_bitop3_b32 v18, v5, v21, v18 bitop3:0x80
	s_barrier_wait -1
	; wave barrier
	s_delay_alu instid0(VALU_DEP_1) | instskip(SKIP_1) | instid1(VALU_DEP_2)
	v_mbcnt_lo_u32_b32 v5, v18, 0
	v_cmp_ne_u32_e64 s0, 0, v18
	v_cmp_eq_u32_e32 vcc_lo, 0, v5
	s_and_b32 s1, s0, vcc_lo
	s_delay_alu instid0(SALU_CYCLE_1)
	s_and_saveexec_b32 s0, s1
; %bb.96:
	v_bcnt_u32_b32 v18, v18, 0
	ds_store_b32 v11, v18 offset:64
; %bb.97:
	s_or_b32 exec_lo, exec_lo, s0
	v_cmp_gt_i32_e32 vcc_lo, 0, v12
	; wave barrier
	v_cndmask_b32_e64 v18, 0x7fffffff, 0, vcc_lo
	s_delay_alu instid0(VALU_DEP_1) | instskip(NEXT) | instid1(VALU_DEP_1)
	v_xor_b32_e32 v18, v18, v12
	v_cmp_ne_u32_e32 vcc_lo, 0x80000000, v18
	v_cndmask_b32_e32 v12, 0x7fffffff, v18, vcc_lo
	s_delay_alu instid0(VALU_DEP_1) | instskip(NEXT) | instid1(VALU_DEP_1)
	v_lshrrev_b32_e32 v12, s20, v12
	v_bitop3_b32 v21, v12, 1, s9 bitop3:0x80
	v_and_b32_e32 v19, s9, v12
	s_delay_alu instid0(VALU_DEP_2) | instskip(NEXT) | instid1(VALU_DEP_1)
	v_add_co_u32 v21, s0, v21, -1
	v_cndmask_b32_e64 v22, 0, 1, s0
	s_delay_alu instid0(VALU_DEP_3) | instskip(NEXT) | instid1(VALU_DEP_2)
	v_lshlrev_b32_e32 v23, 30, v19
	v_cmp_ne_u32_e32 vcc_lo, 0, v22
	s_delay_alu instid0(VALU_DEP_2) | instskip(SKIP_1) | instid1(VALU_DEP_2)
	v_not_b32_e32 v22, v23
	v_cmp_gt_i32_e64 s0, 0, v23
	v_dual_ashrrev_i32 v22, 31, v22 :: v_dual_lshlrev_b32 v24, 29, v19
	v_dual_lshlrev_b32 v25, 28, v19 :: v_dual_lshlrev_b32 v26, 27, v19
	v_lshlrev_b32_e32 v27, 26, v19
	v_mad_u32 v12, 0x44, v19, v0
	s_delay_alu instid0(VALU_DEP_4)
	v_cmp_gt_i32_e64 s1, 0, v24
	v_not_b32_e32 v23, v24
	v_not_b32_e32 v24, v25
	v_dual_lshlrev_b32 v28, 25, v19 :: v_dual_lshlrev_b32 v19, 24, v19
	v_cmp_gt_i32_e64 s3, 0, v25
	v_cmp_gt_i32_e64 s4, 0, v26
	v_not_b32_e32 v25, v26
	v_not_b32_e32 v26, v27
	v_dual_ashrrev_i32 v23, 31, v23 :: v_dual_bitop2_b32 v21, vcc_lo, v21 bitop3:0x14
	v_dual_ashrrev_i32 v24, 31, v24 :: v_dual_bitop2_b32 v22, s0, v22 bitop3:0x14
	v_cmp_gt_i32_e64 s5, 0, v27
	v_not_b32_e32 v27, v28
	v_cmp_gt_i32_e64 s7, 0, v19
	v_not_b32_e32 v19, v19
	v_dual_ashrrev_i32 v25, 31, v25 :: v_dual_ashrrev_i32 v26, 31, v26
	v_xor_b32_e32 v23, s1, v23
	v_xor_b32_e32 v24, s3, v24
	v_bitop3_b32 v21, v21, v22, exec_lo bitop3:0x80
	v_cmp_gt_i32_e64 s6, 0, v28
	v_ashrrev_i32_e32 v22, 31, v27
	v_dual_ashrrev_i32 v19, 31, v19 :: v_dual_bitop2_b32 v25, s4, v25 bitop3:0x14
	v_xor_b32_e32 v26, s5, v26
	v_bitop3_b32 v21, v21, v24, v23 bitop3:0x80
	s_delay_alu instid0(VALU_DEP_4) | instskip(NEXT) | instid1(VALU_DEP_4)
	v_xor_b32_e32 v23, s6, v22
	v_xor_b32_e32 v19, s7, v19
	ds_load_b32 v22, v12 offset:64
	v_bitop3_b32 v21, v21, v26, v25 bitop3:0x80
	; wave barrier
	s_delay_alu instid0(VALU_DEP_1) | instskip(NEXT) | instid1(VALU_DEP_1)
	v_bitop3_b32 v19, v21, v19, v23 bitop3:0x80
	v_mbcnt_lo_u32_b32 v23, v19, 0
	v_cmp_ne_u32_e64 s0, 0, v19
	s_delay_alu instid0(VALU_DEP_2) | instskip(SKIP_1) | instid1(SALU_CYCLE_1)
	v_cmp_eq_u32_e32 vcc_lo, 0, v23
	s_and_b32 s1, s0, vcc_lo
	s_and_saveexec_b32 s0, s1
	s_cbranch_execz .LBB1328_99
; %bb.98:
	s_wait_dscnt 0x0
	v_bcnt_u32_b32 v19, v19, v22
	ds_store_b32 v12, v19 offset:64
.LBB1328_99:
	s_or_b32 exec_lo, exec_lo, s0
	v_cmp_gt_i32_e32 vcc_lo, 0, v13
	; wave barrier
	v_cndmask_b32_e64 v19, 0x7fffffff, 0, vcc_lo
	s_delay_alu instid0(VALU_DEP_1) | instskip(NEXT) | instid1(VALU_DEP_1)
	v_xor_b32_e32 v19, v19, v13
	v_cmp_ne_u32_e32 vcc_lo, 0x80000000, v19
	v_cndmask_b32_e32 v13, 0x7fffffff, v19, vcc_lo
	s_delay_alu instid0(VALU_DEP_1) | instskip(NEXT) | instid1(VALU_DEP_1)
	v_lshrrev_b32_e32 v13, s20, v13
	v_bitop3_b32 v24, v13, 1, s9 bitop3:0x80
	v_and_b32_e32 v21, s9, v13
	s_delay_alu instid0(VALU_DEP_2) | instskip(NEXT) | instid1(VALU_DEP_1)
	v_add_co_u32 v24, s0, v24, -1
	v_cndmask_b32_e64 v25, 0, 1, s0
	s_delay_alu instid0(VALU_DEP_3) | instskip(NEXT) | instid1(VALU_DEP_2)
	v_dual_lshlrev_b32 v26, 30, v21 :: v_dual_lshlrev_b32 v27, 29, v21
	v_cmp_ne_u32_e32 vcc_lo, 0, v25
	s_delay_alu instid0(VALU_DEP_2) | instskip(SKIP_1) | instid1(VALU_DEP_4)
	v_cmp_gt_i32_e64 s0, 0, v26
	v_not_b32_e32 v25, v26
	v_not_b32_e32 v26, v27
	s_delay_alu instid0(VALU_DEP_2) | instskip(NEXT) | instid1(VALU_DEP_2)
	v_dual_ashrrev_i32 v25, 31, v25 :: v_dual_bitop2_b32 v24, vcc_lo, v24 bitop3:0x14
	v_dual_ashrrev_i32 v26, 31, v26 :: v_dual_lshlrev_b32 v28, 28, v21
	v_dual_lshlrev_b32 v29, 27, v21 :: v_dual_lshlrev_b32 v30, 26, v21
	v_cmp_gt_i32_e64 s1, 0, v27
	v_mad_u32 v13, 0x44, v21, v0
	s_delay_alu instid0(VALU_DEP_4)
	v_not_b32_e32 v27, v28
	v_dual_lshlrev_b32 v31, 25, v21 :: v_dual_lshlrev_b32 v21, 24, v21
	v_cmp_gt_i32_e64 s3, 0, v28
	v_cmp_gt_i32_e64 s4, 0, v29
	v_not_b32_e32 v28, v29
	v_not_b32_e32 v29, v30
	v_dual_ashrrev_i32 v27, 31, v27 :: v_dual_bitop2_b32 v25, s0, v25 bitop3:0x14
	v_cmp_gt_i32_e64 s5, 0, v30
	v_not_b32_e32 v30, v31
	v_cmp_gt_i32_e64 s7, 0, v21
	v_not_b32_e32 v21, v21
	v_dual_ashrrev_i32 v28, 31, v28 :: v_dual_ashrrev_i32 v29, 31, v29
	v_xor_b32_e32 v26, s1, v26
	v_xor_b32_e32 v27, s3, v27
	v_bitop3_b32 v24, v24, v25, exec_lo bitop3:0x80
	v_cmp_gt_i32_e64 s6, 0, v31
	v_dual_ashrrev_i32 v25, 31, v30 :: v_dual_ashrrev_i32 v21, 31, v21
	v_xor_b32_e32 v28, s4, v28
	v_xor_b32_e32 v29, s5, v29
	v_bitop3_b32 v24, v24, v27, v26 bitop3:0x80
	s_delay_alu instid0(VALU_DEP_4) | instskip(SKIP_3) | instid1(VALU_DEP_1)
	v_xor_b32_e32 v26, s6, v25
	v_xor_b32_e32 v21, s7, v21
	ds_load_b32 v25, v13 offset:64
	v_bitop3_b32 v24, v24, v29, v28 bitop3:0x80
	; wave barrier
	v_bitop3_b32 v21, v24, v21, v26 bitop3:0x80
	s_delay_alu instid0(VALU_DEP_1) | instskip(SKIP_1) | instid1(VALU_DEP_2)
	v_mbcnt_lo_u32_b32 v26, v21, 0
	v_cmp_ne_u32_e64 s0, 0, v21
	v_cmp_eq_u32_e32 vcc_lo, 0, v26
	s_and_b32 s1, s0, vcc_lo
	s_delay_alu instid0(SALU_CYCLE_1)
	s_and_saveexec_b32 s0, s1
	s_cbranch_execz .LBB1328_101
; %bb.100:
	s_wait_dscnt 0x0
	v_bcnt_u32_b32 v21, v21, v25
	ds_store_b32 v13, v21 offset:64
.LBB1328_101:
	s_or_b32 exec_lo, exec_lo, s0
	v_cmp_gt_i32_e32 vcc_lo, 0, v20
	; wave barrier
	v_cndmask_b32_e64 v21, 0x7fffffff, 0, vcc_lo
	s_delay_alu instid0(VALU_DEP_1) | instskip(NEXT) | instid1(VALU_DEP_1)
	v_xor_b32_e32 v20, v21, v20
	v_cmp_ne_u32_e32 vcc_lo, 0x80000000, v20
	v_cndmask_b32_e32 v21, 0x7fffffff, v20, vcc_lo
	s_delay_alu instid0(VALU_DEP_1) | instskip(NEXT) | instid1(VALU_DEP_1)
	v_lshrrev_b32_e32 v21, s20, v21
	v_and_b32_e32 v24, s9, v21
	v_bitop3_b32 v21, v21, 1, s9 bitop3:0x80
	s_delay_alu instid0(VALU_DEP_2) | instskip(NEXT) | instid1(VALU_DEP_2)
	v_lshlrev_b32_e32 v28, 30, v24
	v_add_co_u32 v21, s0, v21, -1
	s_delay_alu instid0(VALU_DEP_1) | instskip(NEXT) | instid1(VALU_DEP_1)
	v_cndmask_b32_e64 v27, 0, 1, s0
	v_cmp_ne_u32_e32 vcc_lo, 0, v27
	s_delay_alu instid0(VALU_DEP_4) | instskip(NEXT) | instid1(VALU_DEP_1)
	v_not_b32_e32 v27, v28
	v_dual_ashrrev_i32 v27, 31, v27 :: v_dual_bitop2_b32 v21, vcc_lo, v21 bitop3:0x14
	v_dual_lshlrev_b32 v29, 29, v24 :: v_dual_lshlrev_b32 v30, 28, v24
	v_lshlrev_b32_e32 v31, 27, v24
	v_mad_u32 v33, 0x44, v24, v0
	v_dual_lshlrev_b32 v32, 26, v24 :: v_dual_lshlrev_b32 v34, 25, v24
	v_lshlrev_b32_e32 v24, 24, v24
	v_cmp_gt_i32_e64 s0, 0, v28
	v_cmp_gt_i32_e64 s1, 0, v29
	v_not_b32_e32 v28, v29
	v_not_b32_e32 v29, v30
	v_cmp_gt_i32_e64 s3, 0, v30
	v_cmp_gt_i32_e64 s4, 0, v31
	v_not_b32_e32 v30, v31
	v_not_b32_e32 v31, v32
	v_cmp_gt_i32_e64 s7, 0, v24
	v_not_b32_e32 v24, v24
	v_dual_ashrrev_i32 v28, 31, v28 :: v_dual_ashrrev_i32 v29, 31, v29
	v_xor_b32_e32 v27, s0, v27
	v_cmp_gt_i32_e64 s5, 0, v32
	v_not_b32_e32 v32, v34
	v_dual_ashrrev_i32 v30, 31, v30 :: v_dual_ashrrev_i32 v31, 31, v31
	v_xor_b32_e32 v28, s1, v28
	v_dual_ashrrev_i32 v24, 31, v24 :: v_dual_bitop2_b32 v29, s3, v29 bitop3:0x14
	v_bitop3_b32 v21, v21, v27, exec_lo bitop3:0x80
	v_cmp_gt_i32_e64 s6, 0, v34
	v_dual_ashrrev_i32 v27, 31, v32 :: v_dual_bitop2_b32 v30, s4, v30 bitop3:0x14
	v_xor_b32_e32 v31, s5, v31
	s_delay_alu instid0(VALU_DEP_4) | instskip(SKIP_1) | instid1(VALU_DEP_4)
	v_bitop3_b32 v21, v21, v29, v28 bitop3:0x80
	v_xor_b32_e32 v24, s7, v24
	v_xor_b32_e32 v27, s6, v27
	ds_load_b32 v28, v33 offset:64
	v_bitop3_b32 v21, v21, v31, v30 bitop3:0x80
	; wave barrier
	s_delay_alu instid0(VALU_DEP_1) | instskip(NEXT) | instid1(VALU_DEP_1)
	v_bitop3_b32 v21, v21, v24, v27 bitop3:0x80
	v_mbcnt_lo_u32_b32 v29, v21, 0
	v_cmp_ne_u32_e64 s0, 0, v21
	s_delay_alu instid0(VALU_DEP_2) | instskip(SKIP_1) | instid1(SALU_CYCLE_1)
	v_cmp_eq_u32_e32 vcc_lo, 0, v29
	s_and_b32 s1, s0, vcc_lo
	s_and_saveexec_b32 s0, s1
	s_cbranch_execz .LBB1328_103
; %bb.102:
	s_wait_dscnt 0x0
	v_bcnt_u32_b32 v21, v21, v28
	ds_store_b32 v33, v21 offset:64
.LBB1328_103:
	s_or_b32 exec_lo, exec_lo, s0
	v_cmp_gt_i32_e32 vcc_lo, 0, v9
	; wave barrier
	v_cndmask_b32_e64 v21, 0x7fffffff, 0, vcc_lo
	s_delay_alu instid0(VALU_DEP_1) | instskip(NEXT) | instid1(VALU_DEP_1)
	v_xor_b32_e32 v21, v21, v9
	v_cmp_ne_u32_e32 vcc_lo, 0x80000000, v21
	v_cndmask_b32_e32 v9, 0x7fffffff, v21, vcc_lo
	s_delay_alu instid0(VALU_DEP_1) | instskip(NEXT) | instid1(VALU_DEP_1)
	v_lshrrev_b32_e32 v9, s20, v9
	v_and_b32_e32 v24, s9, v9
	v_bitop3_b32 v9, v9, 1, s9 bitop3:0x80
	s_delay_alu instid0(VALU_DEP_2) | instskip(NEXT) | instid1(VALU_DEP_2)
	v_lshlrev_b32_e32 v30, 30, v24
	v_add_co_u32 v9, s0, v9, -1
	s_delay_alu instid0(VALU_DEP_1) | instskip(NEXT) | instid1(VALU_DEP_3)
	v_cndmask_b32_e64 v27, 0, 1, s0
	v_cmp_gt_i32_e64 s0, 0, v30
	s_delay_alu instid0(VALU_DEP_2) | instskip(SKIP_1) | instid1(VALU_DEP_1)
	v_cmp_ne_u32_e32 vcc_lo, 0, v27
	v_not_b32_e32 v27, v30
	v_dual_ashrrev_i32 v27, 31, v27 :: v_dual_lshlrev_b32 v31, 29, v24
	v_dual_lshlrev_b32 v32, 28, v24 :: v_dual_lshlrev_b32 v34, 27, v24
	v_lshlrev_b32_e32 v35, 26, v24
	v_mad_u32 v37, 0x44, v24, v0
	s_delay_alu instid0(VALU_DEP_4)
	v_cmp_gt_i32_e64 s1, 0, v31
	v_not_b32_e32 v30, v31
	v_not_b32_e32 v31, v32
	v_dual_lshlrev_b32 v36, 25, v24 :: v_dual_lshlrev_b32 v24, 24, v24
	v_cmp_gt_i32_e64 s3, 0, v32
	v_cmp_gt_i32_e64 s4, 0, v34
	v_not_b32_e32 v32, v34
	v_not_b32_e32 v34, v35
	v_dual_ashrrev_i32 v30, 31, v30 :: v_dual_bitop2_b32 v9, vcc_lo, v9 bitop3:0x14
	s_delay_alu instid0(VALU_DEP_3) | instskip(NEXT) | instid1(VALU_DEP_3)
	v_dual_ashrrev_i32 v31, 31, v31 :: v_dual_ashrrev_i32 v32, 31, v32
	v_dual_ashrrev_i32 v34, 31, v34 :: v_dual_bitop2_b32 v27, s0, v27 bitop3:0x14
	v_cmp_gt_i32_e64 s5, 0, v35
	v_not_b32_e32 v35, v36
	v_cmp_gt_i32_e64 s7, 0, v24
	v_not_b32_e32 v24, v24
	v_xor_b32_e32 v30, s1, v30
	v_xor_b32_e32 v31, s3, v31
	v_bitop3_b32 v9, v9, v27, exec_lo bitop3:0x80
	v_cmp_gt_i32_e64 s6, 0, v36
	v_dual_ashrrev_i32 v27, 31, v35 :: v_dual_ashrrev_i32 v24, 31, v24
	v_xor_b32_e32 v32, s4, v32
	v_xor_b32_e32 v34, s5, v34
	v_bitop3_b32 v9, v9, v31, v30 bitop3:0x80
	s_delay_alu instid0(VALU_DEP_4) | instskip(SKIP_3) | instid1(VALU_DEP_1)
	v_xor_b32_e32 v27, s6, v27
	v_xor_b32_e32 v24, s7, v24
	ds_load_b32 v31, v37 offset:64
	v_bitop3_b32 v9, v9, v34, v32 bitop3:0x80
	; wave barrier
	v_bitop3_b32 v9, v9, v24, v27 bitop3:0x80
	s_delay_alu instid0(VALU_DEP_1) | instskip(SKIP_1) | instid1(VALU_DEP_2)
	v_mbcnt_lo_u32_b32 v32, v9, 0
	v_cmp_ne_u32_e64 s0, 0, v9
	v_cmp_eq_u32_e32 vcc_lo, 0, v32
	s_and_b32 s1, s0, vcc_lo
	s_delay_alu instid0(SALU_CYCLE_1)
	s_and_saveexec_b32 s0, s1
	s_cbranch_execz .LBB1328_105
; %bb.104:
	s_wait_dscnt 0x0
	v_bcnt_u32_b32 v9, v9, v31
	ds_store_b32 v37, v9 offset:64
.LBB1328_105:
	s_or_b32 exec_lo, exec_lo, s0
	v_cmp_gt_i32_e32 vcc_lo, 0, v8
	; wave barrier
	v_cndmask_b32_e64 v9, 0x7fffffff, 0, vcc_lo
	s_delay_alu instid0(VALU_DEP_1) | instskip(NEXT) | instid1(VALU_DEP_1)
	v_xor_b32_e32 v24, v9, v8
	v_cmp_ne_u32_e32 vcc_lo, 0x80000000, v24
	v_cndmask_b32_e32 v8, 0x7fffffff, v24, vcc_lo
	s_delay_alu instid0(VALU_DEP_1) | instskip(NEXT) | instid1(VALU_DEP_1)
	v_lshrrev_b32_e32 v8, s20, v8
	v_and_b32_e32 v9, s9, v8
	v_bitop3_b32 v8, v8, 1, s9 bitop3:0x80
	s_delay_alu instid0(VALU_DEP_2) | instskip(NEXT) | instid1(VALU_DEP_2)
	v_lshlrev_b32_e32 v30, 30, v9
	v_add_co_u32 v8, s0, v8, -1
	s_delay_alu instid0(VALU_DEP_1) | instskip(NEXT) | instid1(VALU_DEP_1)
	v_cndmask_b32_e64 v27, 0, 1, s0
	v_cmp_ne_u32_e32 vcc_lo, 0, v27
	s_delay_alu instid0(VALU_DEP_4) | instskip(NEXT) | instid1(VALU_DEP_1)
	v_not_b32_e32 v27, v30
	v_dual_ashrrev_i32 v27, 31, v27 :: v_dual_lshlrev_b32 v34, 29, v9
	v_dual_lshlrev_b32 v35, 28, v9 :: v_dual_lshlrev_b32 v36, 27, v9
	v_lshlrev_b32_e32 v38, 26, v9
	v_cmp_gt_i32_e64 s0, 0, v30
	s_delay_alu instid0(VALU_DEP_4)
	v_cmp_gt_i32_e64 s1, 0, v34
	v_not_b32_e32 v30, v34
	v_not_b32_e32 v34, v35
	v_mad_u32 v41, 0x44, v9, v0
	v_dual_lshlrev_b32 v39, 25, v9 :: v_dual_lshlrev_b32 v9, 24, v9
	v_cmp_gt_i32_e64 s3, 0, v35
	v_cmp_gt_i32_e64 s4, 0, v36
	v_not_b32_e32 v35, v36
	v_not_b32_e32 v36, v38
	v_dual_ashrrev_i32 v30, 31, v30 :: v_dual_bitop2_b32 v8, vcc_lo, v8 bitop3:0x14
	v_dual_ashrrev_i32 v34, 31, v34 :: v_dual_bitop2_b32 v27, s0, v27 bitop3:0x14
	v_cmp_gt_i32_e64 s5, 0, v38
	v_not_b32_e32 v38, v39
	v_cmp_gt_i32_e64 s7, 0, v9
	v_not_b32_e32 v9, v9
	v_dual_ashrrev_i32 v35, 31, v35 :: v_dual_ashrrev_i32 v36, 31, v36
	v_xor_b32_e32 v30, s1, v30
	v_xor_b32_e32 v34, s3, v34
	v_bitop3_b32 v8, v8, v27, exec_lo bitop3:0x80
	v_cmp_gt_i32_e64 s6, 0, v39
	v_dual_ashrrev_i32 v27, 31, v38 :: v_dual_bitop2_b32 v35, s4, v35 bitop3:0x14
	v_dual_ashrrev_i32 v9, 31, v9 :: v_dual_bitop2_b32 v36, s5, v36 bitop3:0x14
	s_delay_alu instid0(VALU_DEP_4) | instskip(NEXT) | instid1(VALU_DEP_3)
	v_bitop3_b32 v8, v8, v34, v30 bitop3:0x80
	v_xor_b32_e32 v27, s6, v27
	s_delay_alu instid0(VALU_DEP_3) | instskip(NEXT) | instid1(VALU_DEP_3)
	v_xor_b32_e32 v9, s7, v9
	v_bitop3_b32 v8, v8, v36, v35 bitop3:0x80
	ds_load_b32 v35, v41 offset:64
	; wave barrier
	v_bitop3_b32 v8, v8, v9, v27 bitop3:0x80
	s_delay_alu instid0(VALU_DEP_1) | instskip(SKIP_1) | instid1(VALU_DEP_2)
	v_mbcnt_lo_u32_b32 v36, v8, 0
	v_cmp_ne_u32_e64 s0, 0, v8
	v_cmp_eq_u32_e32 vcc_lo, 0, v36
	s_and_b32 s1, s0, vcc_lo
	s_delay_alu instid0(SALU_CYCLE_1)
	s_and_saveexec_b32 s0, s1
	s_cbranch_execz .LBB1328_107
; %bb.106:
	s_wait_dscnt 0x0
	v_bcnt_u32_b32 v8, v8, v35
	ds_store_b32 v41, v8 offset:64
.LBB1328_107:
	s_or_b32 exec_lo, exec_lo, s0
	v_cmp_gt_i32_e32 vcc_lo, 0, v7
	; wave barrier
	v_cndmask_b32_e64 v8, 0x7fffffff, 0, vcc_lo
	s_delay_alu instid0(VALU_DEP_1) | instskip(NEXT) | instid1(VALU_DEP_1)
	v_xor_b32_e32 v27, v8, v7
	v_cmp_ne_u32_e32 vcc_lo, 0x80000000, v27
	v_cndmask_b32_e32 v7, 0x7fffffff, v27, vcc_lo
	s_delay_alu instid0(VALU_DEP_1) | instskip(NEXT) | instid1(VALU_DEP_1)
	v_lshrrev_b32_e32 v7, s20, v7
	v_and_b32_e32 v8, s9, v7
	v_bitop3_b32 v7, v7, 1, s9 bitop3:0x80
	s_delay_alu instid0(VALU_DEP_2) | instskip(NEXT) | instid1(VALU_DEP_2)
	v_lshlrev_b32_e32 v30, 30, v8
	v_add_co_u32 v7, s0, v7, -1
	s_delay_alu instid0(VALU_DEP_1) | instskip(NEXT) | instid1(VALU_DEP_3)
	v_cndmask_b32_e64 v9, 0, 1, s0
	v_cmp_gt_i32_e64 s0, 0, v30
	s_delay_alu instid0(VALU_DEP_2) | instskip(SKIP_1) | instid1(VALU_DEP_1)
	v_cmp_ne_u32_e32 vcc_lo, 0, v9
	v_not_b32_e32 v9, v30
	v_dual_ashrrev_i32 v9, 31, v9 :: v_dual_lshlrev_b32 v34, 29, v8
	v_dual_lshlrev_b32 v38, 28, v8 :: v_dual_lshlrev_b32 v39, 27, v8
	v_lshlrev_b32_e32 v40, 26, v8
	v_mad_u32 v44, 0x44, v8, v0
	s_delay_alu instid0(VALU_DEP_4)
	v_cmp_gt_i32_e64 s1, 0, v34
	v_not_b32_e32 v30, v34
	v_not_b32_e32 v34, v38
	v_dual_lshlrev_b32 v42, 25, v8 :: v_dual_lshlrev_b32 v8, 24, v8
	v_cmp_gt_i32_e64 s3, 0, v38
	v_cmp_gt_i32_e64 s4, 0, v39
	v_not_b32_e32 v38, v39
	v_not_b32_e32 v39, v40
	v_dual_ashrrev_i32 v30, 31, v30 :: v_dual_bitop2_b32 v7, vcc_lo, v7 bitop3:0x14
	v_dual_ashrrev_i32 v34, 31, v34 :: v_dual_bitop2_b32 v9, s0, v9 bitop3:0x14
	v_cmp_gt_i32_e64 s5, 0, v40
	v_not_b32_e32 v40, v42
	v_cmp_gt_i32_e64 s7, 0, v8
	v_not_b32_e32 v8, v8
	v_dual_ashrrev_i32 v38, 31, v38 :: v_dual_ashrrev_i32 v39, 31, v39
	v_xor_b32_e32 v30, s1, v30
	s_delay_alu instid0(VALU_DEP_3) | instskip(SKIP_4) | instid1(VALU_DEP_4)
	v_dual_ashrrev_i32 v8, 31, v8 :: v_dual_bitop2_b32 v34, s3, v34 bitop3:0x14
	v_bitop3_b32 v7, v7, v9, exec_lo bitop3:0x80
	v_cmp_gt_i32_e64 s6, 0, v42
	v_dual_ashrrev_i32 v9, 31, v40 :: v_dual_bitop2_b32 v38, s4, v38 bitop3:0x14
	v_xor_b32_e32 v39, s5, v39
	v_bitop3_b32 v7, v7, v34, v30 bitop3:0x80
	v_xor_b32_e32 v8, s7, v8
	s_delay_alu instid0(VALU_DEP_4) | instskip(NEXT) | instid1(VALU_DEP_3)
	v_xor_b32_e32 v9, s6, v9
	v_bitop3_b32 v7, v7, v39, v38 bitop3:0x80
	ds_load_b32 v39, v44 offset:64
	; wave barrier
	v_bitop3_b32 v7, v7, v8, v9 bitop3:0x80
	s_delay_alu instid0(VALU_DEP_1) | instskip(SKIP_1) | instid1(VALU_DEP_2)
	v_mbcnt_lo_u32_b32 v40, v7, 0
	v_cmp_ne_u32_e64 s0, 0, v7
	v_cmp_eq_u32_e32 vcc_lo, 0, v40
	s_and_b32 s1, s0, vcc_lo
	s_delay_alu instid0(SALU_CYCLE_1)
	s_and_saveexec_b32 s0, s1
	s_cbranch_execz .LBB1328_109
; %bb.108:
	s_wait_dscnt 0x0
	v_bcnt_u32_b32 v7, v7, v39
	ds_store_b32 v44, v7 offset:64
.LBB1328_109:
	s_or_b32 exec_lo, exec_lo, s0
	v_cmp_gt_i32_e32 vcc_lo, 0, v6
	; wave barrier
	v_cndmask_b32_e64 v7, 0x7fffffff, 0, vcc_lo
	s_delay_alu instid0(VALU_DEP_1) | instskip(NEXT) | instid1(VALU_DEP_1)
	v_xor_b32_e32 v30, v7, v6
	v_cmp_ne_u32_e32 vcc_lo, 0x80000000, v30
	v_cndmask_b32_e32 v6, 0x7fffffff, v30, vcc_lo
	s_delay_alu instid0(VALU_DEP_1) | instskip(NEXT) | instid1(VALU_DEP_1)
	v_lshrrev_b32_e32 v6, s20, v6
	v_and_b32_e32 v7, s9, v6
	v_bitop3_b32 v6, v6, 1, s9 bitop3:0x80
	s_delay_alu instid0(VALU_DEP_2) | instskip(NEXT) | instid1(VALU_DEP_2)
	v_lshlrev_b32_e32 v9, 30, v7
	v_add_co_u32 v6, s0, v6, -1
	s_delay_alu instid0(VALU_DEP_1) | instskip(NEXT) | instid1(VALU_DEP_3)
	v_cndmask_b32_e64 v8, 0, 1, s0
	v_cmp_gt_i32_e64 s0, 0, v9
	s_delay_alu instid0(VALU_DEP_2) | instskip(SKIP_1) | instid1(VALU_DEP_1)
	v_cmp_ne_u32_e32 vcc_lo, 0, v8
	v_not_b32_e32 v8, v9
	v_dual_ashrrev_i32 v8, 31, v8 :: v_dual_lshlrev_b32 v34, 29, v7
	v_dual_lshlrev_b32 v38, 28, v7 :: v_dual_lshlrev_b32 v42, 27, v7
	v_lshlrev_b32_e32 v43, 26, v7
	v_mad_u32 v48, 0x44, v7, v0
	s_delay_alu instid0(VALU_DEP_4)
	v_cmp_gt_i32_e64 s1, 0, v34
	v_not_b32_e32 v9, v34
	v_not_b32_e32 v34, v38
	v_dual_lshlrev_b32 v45, 25, v7 :: v_dual_lshlrev_b32 v7, 24, v7
	v_cmp_gt_i32_e64 s3, 0, v38
	v_cmp_gt_i32_e64 s4, 0, v42
	v_not_b32_e32 v38, v42
	v_not_b32_e32 v42, v43
	v_dual_ashrrev_i32 v9, 31, v9 :: v_dual_bitop2_b32 v6, vcc_lo, v6 bitop3:0x14
	v_dual_ashrrev_i32 v34, 31, v34 :: v_dual_bitop2_b32 v8, s0, v8 bitop3:0x14
	v_cmp_gt_i32_e64 s5, 0, v43
	v_not_b32_e32 v43, v45
	v_cmp_gt_i32_e64 s7, 0, v7
	v_not_b32_e32 v7, v7
	v_dual_ashrrev_i32 v38, 31, v38 :: v_dual_bitop2_b32 v9, s1, v9 bitop3:0x14
	v_ashrrev_i32_e32 v42, 31, v42
	s_delay_alu instid0(VALU_DEP_3) | instskip(SKIP_4) | instid1(VALU_DEP_4)
	v_dual_ashrrev_i32 v7, 31, v7 :: v_dual_bitop2_b32 v34, s3, v34 bitop3:0x14
	v_bitop3_b32 v6, v6, v8, exec_lo bitop3:0x80
	v_cmp_gt_i32_e64 s6, 0, v45
	v_dual_ashrrev_i32 v8, 31, v43 :: v_dual_bitop2_b32 v38, s4, v38 bitop3:0x14
	v_xor_b32_e32 v42, s5, v42
	v_bitop3_b32 v6, v6, v34, v9 bitop3:0x80
	v_xor_b32_e32 v7, s7, v7
	s_delay_alu instid0(VALU_DEP_4) | instskip(SKIP_2) | instid1(VALU_DEP_1)
	v_xor_b32_e32 v8, s6, v8
	ds_load_b32 v43, v48 offset:64
	v_bitop3_b32 v6, v6, v42, v38 bitop3:0x80
	; wave barrier
	v_bitop3_b32 v6, v6, v7, v8 bitop3:0x80
	s_delay_alu instid0(VALU_DEP_1) | instskip(SKIP_1) | instid1(VALU_DEP_2)
	v_mbcnt_lo_u32_b32 v45, v6, 0
	v_cmp_ne_u32_e64 s0, 0, v6
	v_cmp_eq_u32_e32 vcc_lo, 0, v45
	s_and_b32 s1, s0, vcc_lo
	s_delay_alu instid0(SALU_CYCLE_1)
	s_and_saveexec_b32 s0, s1
	s_cbranch_execz .LBB1328_111
; %bb.110:
	s_wait_dscnt 0x0
	v_bcnt_u32_b32 v6, v6, v43
	ds_store_b32 v48, v6 offset:64
.LBB1328_111:
	s_or_b32 exec_lo, exec_lo, s0
	v_cmp_gt_i32_e32 vcc_lo, 0, v4
	; wave barrier
	v_cndmask_b32_e64 v6, 0x7fffffff, 0, vcc_lo
	s_delay_alu instid0(VALU_DEP_1) | instskip(NEXT) | instid1(VALU_DEP_1)
	v_xor_b32_e32 v34, v6, v4
	v_cmp_ne_u32_e32 vcc_lo, 0x80000000, v34
	v_cndmask_b32_e32 v4, 0x7fffffff, v34, vcc_lo
	s_delay_alu instid0(VALU_DEP_1) | instskip(NEXT) | instid1(VALU_DEP_1)
	v_lshrrev_b32_e32 v4, s20, v4
	v_and_b32_e32 v6, s9, v4
	v_bitop3_b32 v4, v4, 1, s9 bitop3:0x80
	s_delay_alu instid0(VALU_DEP_2) | instskip(NEXT) | instid1(VALU_DEP_2)
	v_dual_lshlrev_b32 v8, 30, v6 :: v_dual_lshlrev_b32 v9, 29, v6
	v_add_co_u32 v4, s0, v4, -1
	s_delay_alu instid0(VALU_DEP_1) | instskip(SKIP_1) | instid1(VALU_DEP_4)
	v_cndmask_b32_e64 v7, 0, 1, s0
	v_lshlrev_b32_e32 v38, 28, v6
	v_cmp_gt_i32_e64 s0, 0, v8
	v_cmp_gt_i32_e64 s1, 0, v9
	s_delay_alu instid0(VALU_DEP_4) | instskip(SKIP_3) | instid1(VALU_DEP_3)
	v_cmp_ne_u32_e32 vcc_lo, 0, v7
	v_not_b32_e32 v7, v8
	v_not_b32_e32 v8, v9
	;; [unrolled: 1-line block ×3, first 2 shown]
	v_dual_ashrrev_i32 v7, 31, v7 :: v_dual_bitop2_b32 v4, vcc_lo, v4 bitop3:0x14
	s_delay_alu instid0(VALU_DEP_2)
	v_dual_ashrrev_i32 v8, 31, v8 :: v_dual_ashrrev_i32 v9, 31, v9
	v_dual_lshlrev_b32 v42, 27, v6 :: v_dual_lshlrev_b32 v46, 26, v6
	v_lshlrev_b32_e32 v47, 25, v6
	v_mad_u32 v51, 0x44, v6, v0
	v_lshlrev_b32_e32 v6, 24, v6
	v_cmp_gt_i32_e64 s3, 0, v38
	v_cmp_gt_i32_e64 s4, 0, v42
	v_not_b32_e32 v38, v42
	v_not_b32_e32 v42, v46
	v_xor_b32_e32 v7, s0, v7
	v_cmp_gt_i32_e64 s5, 0, v46
	v_not_b32_e32 v46, v47
	v_cmp_gt_i32_e64 s7, 0, v6
	v_not_b32_e32 v6, v6
	v_dual_ashrrev_i32 v38, 31, v38 :: v_dual_bitop2_b32 v8, s1, v8 bitop3:0x14
	v_dual_ashrrev_i32 v42, 31, v42 :: v_dual_bitop2_b32 v9, s3, v9 bitop3:0x14
	v_bitop3_b32 v4, v4, v7, exec_lo bitop3:0x80
	v_cmp_gt_i32_e64 s6, 0, v47
	v_ashrrev_i32_e32 v7, 31, v46
	v_ashrrev_i32_e32 v6, 31, v6
	v_xor_b32_e32 v38, s4, v38
	v_xor_b32_e32 v42, s5, v42
	v_bitop3_b32 v4, v4, v9, v8 bitop3:0x80
	v_xor_b32_e32 v7, s6, v7
	v_xor_b32_e32 v6, s7, v6
	ds_load_b32 v47, v51 offset:64
	v_bitop3_b32 v4, v4, v42, v38 bitop3:0x80
	; wave barrier
	s_delay_alu instid0(VALU_DEP_1) | instskip(NEXT) | instid1(VALU_DEP_1)
	v_bitop3_b32 v4, v4, v6, v7 bitop3:0x80
	v_mbcnt_lo_u32_b32 v49, v4, 0
	v_cmp_ne_u32_e64 s0, 0, v4
	s_delay_alu instid0(VALU_DEP_2) | instskip(SKIP_1) | instid1(SALU_CYCLE_1)
	v_cmp_eq_u32_e32 vcc_lo, 0, v49
	s_and_b32 s1, s0, vcc_lo
	s_and_saveexec_b32 s0, s1
	s_cbranch_execz .LBB1328_113
; %bb.112:
	s_wait_dscnt 0x0
	v_bcnt_u32_b32 v4, v4, v47
	ds_store_b32 v51, v4 offset:64
.LBB1328_113:
	s_or_b32 exec_lo, exec_lo, s0
	v_cmp_gt_i32_e32 vcc_lo, 0, v3
	; wave barrier
	v_cndmask_b32_e64 v4, 0x7fffffff, 0, vcc_lo
	s_delay_alu instid0(VALU_DEP_1) | instskip(NEXT) | instid1(VALU_DEP_1)
	v_xor_b32_e32 v38, v4, v3
	v_cmp_ne_u32_e32 vcc_lo, 0x80000000, v38
	v_cndmask_b32_e32 v3, 0x7fffffff, v38, vcc_lo
	s_delay_alu instid0(VALU_DEP_1) | instskip(NEXT) | instid1(VALU_DEP_1)
	v_lshrrev_b32_e32 v3, s20, v3
	v_and_b32_e32 v4, s9, v3
	v_bitop3_b32 v3, v3, 1, s9 bitop3:0x80
	s_delay_alu instid0(VALU_DEP_2) | instskip(NEXT) | instid1(VALU_DEP_2)
	v_lshlrev_b32_e32 v7, 30, v4
	v_add_co_u32 v3, s0, v3, -1
	s_delay_alu instid0(VALU_DEP_1) | instskip(NEXT) | instid1(VALU_DEP_1)
	v_cndmask_b32_e64 v6, 0, 1, s0
	v_cmp_ne_u32_e32 vcc_lo, 0, v6
	s_delay_alu instid0(VALU_DEP_4) | instskip(NEXT) | instid1(VALU_DEP_1)
	v_not_b32_e32 v6, v7
	v_dual_ashrrev_i32 v6, 31, v6 :: v_dual_lshlrev_b32 v8, 29, v4
	v_dual_lshlrev_b32 v9, 28, v4 :: v_dual_lshlrev_b32 v42, 27, v4
	v_lshlrev_b32_e32 v46, 26, v4
	v_cmp_gt_i32_e64 s0, 0, v7
	s_delay_alu instid0(VALU_DEP_4)
	v_cmp_gt_i32_e64 s1, 0, v8
	v_not_b32_e32 v7, v8
	v_not_b32_e32 v8, v9
	v_mad_u32 v53, 0x44, v4, v0
	v_dual_lshlrev_b32 v50, 25, v4 :: v_dual_lshlrev_b32 v4, 24, v4
	v_cmp_gt_i32_e64 s3, 0, v9
	v_cmp_gt_i32_e64 s4, 0, v42
	v_not_b32_e32 v9, v42
	v_not_b32_e32 v42, v46
	v_dual_ashrrev_i32 v8, 31, v8 :: v_dual_bitop2_b32 v3, vcc_lo, v3 bitop3:0x14
	v_dual_ashrrev_i32 v7, 31, v7 :: v_dual_bitop2_b32 v6, s0, v6 bitop3:0x14
	v_cmp_gt_i32_e64 s5, 0, v46
	v_not_b32_e32 v46, v50
	v_cmp_gt_i32_e64 s7, 0, v4
	v_not_b32_e32 v4, v4
	v_dual_ashrrev_i32 v9, 31, v9 :: v_dual_ashrrev_i32 v42, 31, v42
	v_xor_b32_e32 v7, s1, v7
	v_xor_b32_e32 v8, s3, v8
	v_bitop3_b32 v3, v3, v6, exec_lo bitop3:0x80
	v_cmp_gt_i32_e64 s6, 0, v50
	v_dual_ashrrev_i32 v6, 31, v46 :: v_dual_ashrrev_i32 v4, 31, v4
	v_xor_b32_e32 v9, s4, v9
	v_xor_b32_e32 v42, s5, v42
	v_bitop3_b32 v3, v3, v8, v7 bitop3:0x80
	s_delay_alu instid0(VALU_DEP_4) | instskip(SKIP_3) | instid1(VALU_DEP_1)
	v_xor_b32_e32 v6, s6, v6
	v_xor_b32_e32 v4, s7, v4
	ds_load_b32 v50, v53 offset:64
	v_bitop3_b32 v3, v3, v42, v9 bitop3:0x80
	; wave barrier
	v_bitop3_b32 v3, v3, v4, v6 bitop3:0x80
	s_delay_alu instid0(VALU_DEP_1) | instskip(SKIP_1) | instid1(VALU_DEP_2)
	v_mbcnt_lo_u32_b32 v52, v3, 0
	v_cmp_ne_u32_e64 s0, 0, v3
	v_cmp_eq_u32_e32 vcc_lo, 0, v52
	s_and_b32 s1, s0, vcc_lo
	s_delay_alu instid0(SALU_CYCLE_1)
	s_and_saveexec_b32 s0, s1
	s_cbranch_execz .LBB1328_115
; %bb.114:
	s_wait_dscnt 0x0
	v_bcnt_u32_b32 v3, v3, v50
	ds_store_b32 v53, v3 offset:64
.LBB1328_115:
	s_or_b32 exec_lo, exec_lo, s0
	v_cmp_gt_i32_e32 vcc_lo, 0, v2
	; wave barrier
	v_cndmask_b32_e64 v3, 0x7fffffff, 0, vcc_lo
	s_delay_alu instid0(VALU_DEP_1) | instskip(NEXT) | instid1(VALU_DEP_1)
	v_xor_b32_e32 v42, v3, v2
	v_cmp_ne_u32_e32 vcc_lo, 0x80000000, v42
	v_cndmask_b32_e32 v2, 0x7fffffff, v42, vcc_lo
	s_delay_alu instid0(VALU_DEP_1) | instskip(NEXT) | instid1(VALU_DEP_1)
	v_lshrrev_b32_e32 v2, s20, v2
	v_and_b32_e32 v3, s9, v2
	v_bitop3_b32 v2, v2, 1, s9 bitop3:0x80
	s_delay_alu instid0(VALU_DEP_2) | instskip(NEXT) | instid1(VALU_DEP_2)
	v_lshlrev_b32_e32 v6, 30, v3
	v_add_co_u32 v2, s0, v2, -1
	s_delay_alu instid0(VALU_DEP_1) | instskip(NEXT) | instid1(VALU_DEP_1)
	v_cndmask_b32_e64 v4, 0, 1, s0
	v_cmp_ne_u32_e32 vcc_lo, 0, v4
	s_delay_alu instid0(VALU_DEP_4) | instskip(NEXT) | instid1(VALU_DEP_1)
	v_not_b32_e32 v4, v6
	v_dual_ashrrev_i32 v4, 31, v4 :: v_dual_lshlrev_b32 v7, 29, v3
	v_dual_lshlrev_b32 v8, 28, v3 :: v_dual_lshlrev_b32 v9, 27, v3
	v_lshlrev_b32_e32 v46, 26, v3
	v_cmp_gt_i32_e64 s0, 0, v6
	s_delay_alu instid0(VALU_DEP_4)
	v_cmp_gt_i32_e64 s1, 0, v7
	v_not_b32_e32 v6, v7
	v_not_b32_e32 v7, v8
	v_mad_u32 v56, 0x44, v3, v0
	v_dual_lshlrev_b32 v54, 25, v3 :: v_dual_lshlrev_b32 v3, 24, v3
	v_cmp_gt_i32_e64 s3, 0, v8
	v_cmp_gt_i32_e64 s4, 0, v9
	v_not_b32_e32 v8, v9
	v_not_b32_e32 v9, v46
	v_dual_ashrrev_i32 v7, 31, v7 :: v_dual_bitop2_b32 v2, vcc_lo, v2 bitop3:0x14
	v_dual_ashrrev_i32 v6, 31, v6 :: v_dual_bitop2_b32 v4, s0, v4 bitop3:0x14
	v_cmp_gt_i32_e64 s5, 0, v46
	v_not_b32_e32 v46, v54
	v_cmp_gt_i32_e64 s7, 0, v3
	v_not_b32_e32 v3, v3
	v_dual_ashrrev_i32 v8, 31, v8 :: v_dual_ashrrev_i32 v9, 31, v9
	v_xor_b32_e32 v6, s1, v6
	v_xor_b32_e32 v7, s3, v7
	v_bitop3_b32 v2, v2, v4, exec_lo bitop3:0x80
	v_cmp_gt_i32_e64 s6, 0, v54
	v_dual_ashrrev_i32 v4, 31, v46 :: v_dual_ashrrev_i32 v3, 31, v3
	v_xor_b32_e32 v8, s4, v8
	v_xor_b32_e32 v9, s5, v9
	v_bitop3_b32 v2, v2, v7, v6 bitop3:0x80
	s_delay_alu instid0(VALU_DEP_4) | instskip(SKIP_3) | instid1(VALU_DEP_1)
	v_xor_b32_e32 v4, s6, v4
	v_xor_b32_e32 v3, s7, v3
	ds_load_b32 v54, v56 offset:64
	v_bitop3_b32 v2, v2, v9, v8 bitop3:0x80
	; wave barrier
	v_bitop3_b32 v2, v2, v3, v4 bitop3:0x80
	s_delay_alu instid0(VALU_DEP_1) | instskip(SKIP_1) | instid1(VALU_DEP_2)
	v_mbcnt_lo_u32_b32 v55, v2, 0
	v_cmp_ne_u32_e64 s0, 0, v2
	v_cmp_eq_u32_e32 vcc_lo, 0, v55
	s_and_b32 s1, s0, vcc_lo
	s_delay_alu instid0(SALU_CYCLE_1)
	s_and_saveexec_b32 s0, s1
	s_cbranch_execz .LBB1328_117
; %bb.116:
	s_wait_dscnt 0x0
	v_bcnt_u32_b32 v2, v2, v54
	ds_store_b32 v56, v2 offset:64
.LBB1328_117:
	s_or_b32 exec_lo, exec_lo, s0
	v_cmp_gt_i32_e32 vcc_lo, 0, v1
	; wave barrier
	v_cndmask_b32_e64 v2, 0x7fffffff, 0, vcc_lo
	s_delay_alu instid0(VALU_DEP_1) | instskip(NEXT) | instid1(VALU_DEP_1)
	v_xor_b32_e32 v46, v2, v1
	v_cmp_ne_u32_e32 vcc_lo, 0x80000000, v46
	v_cndmask_b32_e32 v1, 0x7fffffff, v46, vcc_lo
	s_delay_alu instid0(VALU_DEP_1) | instskip(NEXT) | instid1(VALU_DEP_1)
	v_lshrrev_b32_e32 v1, s20, v1
	v_and_b32_e32 v2, s9, v1
	v_bitop3_b32 v1, v1, 1, s9 bitop3:0x80
	s_delay_alu instid0(VALU_DEP_2) | instskip(NEXT) | instid1(VALU_DEP_2)
	v_mad_u32 v59, 0x44, v2, v0
	v_add_co_u32 v0, s0, v1, -1
	s_delay_alu instid0(VALU_DEP_1) | instskip(SKIP_1) | instid1(VALU_DEP_2)
	v_cndmask_b32_e64 v1, 0, 1, s0
	v_lshlrev_b32_e32 v3, 30, v2
	v_cmp_ne_u32_e32 vcc_lo, 0, v1
	s_delay_alu instid0(VALU_DEP_2)
	v_not_b32_e32 v1, v3
	ds_load_b32 v57, v59 offset:64
	v_dual_ashrrev_i32 v1, 31, v1 :: v_dual_bitop2_b32 v0, vcc_lo, v0 bitop3:0x14
	v_dual_lshlrev_b32 v4, 29, v2 :: v_dual_lshlrev_b32 v6, 28, v2
	v_dual_lshlrev_b32 v7, 27, v2 :: v_dual_lshlrev_b32 v8, 26, v2
	v_lshlrev_b32_e32 v9, 25, v2
	v_cmp_gt_i32_e64 s0, 0, v3
	s_delay_alu instid0(VALU_DEP_4)
	v_cmp_gt_i32_e64 s1, 0, v4
	v_not_b32_e32 v3, v4
	v_not_b32_e32 v4, v6
	v_lshlrev_b32_e32 v2, 24, v2
	v_cmp_gt_i32_e64 s3, 0, v6
	v_cmp_gt_i32_e64 s4, 0, v7
	v_not_b32_e32 v6, v7
	v_not_b32_e32 v7, v8
	v_dual_ashrrev_i32 v3, 31, v3 :: v_dual_bitop2_b32 v1, s0, v1 bitop3:0x14
	v_ashrrev_i32_e32 v4, 31, v4
	v_cmp_gt_i32_e64 s5, 0, v8
	v_not_b32_e32 v8, v9
	v_cmp_gt_i32_e64 s7, 0, v2
	v_not_b32_e32 v2, v2
	v_dual_ashrrev_i32 v6, 31, v6 :: v_dual_ashrrev_i32 v7, 31, v7
	v_xor_b32_e32 v3, s1, v3
	s_delay_alu instid0(VALU_DEP_3) | instskip(SKIP_4) | instid1(VALU_DEP_4)
	v_dual_ashrrev_i32 v2, 31, v2 :: v_dual_bitop2_b32 v4, s3, v4 bitop3:0x14
	v_bitop3_b32 v0, v0, v1, exec_lo bitop3:0x80
	v_cmp_gt_i32_e64 s6, 0, v9
	v_dual_ashrrev_i32 v1, 31, v8 :: v_dual_bitop2_b32 v6, s4, v6 bitop3:0x14
	v_xor_b32_e32 v7, s5, v7
	v_bitop3_b32 v0, v0, v4, v3 bitop3:0x80
	v_xor_b32_e32 v2, s7, v2
	s_delay_alu instid0(VALU_DEP_4) | instskip(NEXT) | instid1(VALU_DEP_3)
	v_xor_b32_e32 v1, s6, v1
	; wave barrier
	v_bitop3_b32 v0, v0, v7, v6 bitop3:0x80
	s_delay_alu instid0(VALU_DEP_1) | instskip(NEXT) | instid1(VALU_DEP_1)
	v_bitop3_b32 v0, v0, v2, v1 bitop3:0x80
	v_mbcnt_lo_u32_b32 v58, v0, 0
	v_cmp_ne_u32_e64 s0, 0, v0
	s_delay_alu instid0(VALU_DEP_2) | instskip(SKIP_1) | instid1(SALU_CYCLE_1)
	v_cmp_eq_u32_e32 vcc_lo, 0, v58
	s_and_b32 s1, s0, vcc_lo
	s_and_saveexec_b32 s0, s1
	s_cbranch_execz .LBB1328_119
; %bb.118:
	s_wait_dscnt 0x0
	v_bcnt_u32_b32 v0, v0, v57
	ds_store_b32 v59, v0 offset:64
.LBB1328_119:
	s_or_b32 exec_lo, exec_lo, s0
	; wave barrier
	s_wait_dscnt 0x0
	s_barrier_signal -1
	s_barrier_wait -1
	ds_load_2addr_b32 v[8:9], v10 offset0:16 offset1:17
	ds_load_2addr_b32 v[6:7], v10 offset0:18 offset1:19
	;; [unrolled: 1-line block ×4, first 2 shown]
	ds_load_b32 v4, v10 offset:96
	v_min_u32_e32 v16, 0x1e0, v16
	s_mov_b32 s5, exec_lo
	s_wait_dscnt 0x3
	v_add3_u32 v60, v9, v8, v6
	s_wait_dscnt 0x2
	s_delay_alu instid0(VALU_DEP_1) | instskip(SKIP_1) | instid1(VALU_DEP_1)
	v_add3_u32 v60, v60, v7, v2
	s_wait_dscnt 0x1
	v_add3_u32 v60, v60, v3, v0
	s_wait_dscnt 0x0
	s_delay_alu instid0(VALU_DEP_1) | instskip(SKIP_1) | instid1(VALU_DEP_2)
	v_add3_u32 v4, v60, v1, v4
	v_and_b32_e32 v60, 15, v15
	v_mov_b32_dpp v61, v4 row_shr:1 row_mask:0xf bank_mask:0xf
	s_delay_alu instid0(VALU_DEP_2) | instskip(NEXT) | instid1(VALU_DEP_2)
	v_cmp_eq_u32_e32 vcc_lo, 0, v60
	v_cndmask_b32_e64 v61, v61, 0, vcc_lo
	s_delay_alu instid0(VALU_DEP_1) | instskip(SKIP_3) | instid1(VALU_DEP_4)
	v_add_nc_u32_e32 v4, v61, v4
	v_cmp_lt_u32_e64 s0, 1, v60
	v_cmp_lt_u32_e64 s1, 3, v60
	;; [unrolled: 1-line block ×3, first 2 shown]
	v_mov_b32_dpp v61, v4 row_shr:2 row_mask:0xf bank_mask:0xf
	s_delay_alu instid0(VALU_DEP_1) | instskip(NEXT) | instid1(VALU_DEP_1)
	v_cndmask_b32_e64 v61, 0, v61, s0
	v_add_nc_u32_e32 v4, v4, v61
	s_delay_alu instid0(VALU_DEP_1) | instskip(NEXT) | instid1(VALU_DEP_1)
	v_mov_b32_dpp v61, v4 row_shr:4 row_mask:0xf bank_mask:0xf
	v_cndmask_b32_e64 v61, 0, v61, s1
	s_delay_alu instid0(VALU_DEP_1) | instskip(NEXT) | instid1(VALU_DEP_1)
	v_add_nc_u32_e32 v4, v4, v61
	v_mov_b32_dpp v61, v4 row_shr:8 row_mask:0xf bank_mask:0xf
	s_delay_alu instid0(VALU_DEP_1) | instskip(SKIP_1) | instid1(VALU_DEP_2)
	v_cndmask_b32_e64 v60, 0, v61, s3
	v_bfe_i32 v61, v15, 4, 1
	v_add_nc_u32_e32 v4, v4, v60
	ds_swizzle_b32 v60, v4 offset:swizzle(BROADCAST,32,15)
	s_wait_dscnt 0x0
	v_dual_lshrrev_b32 v60, 5, v14 :: v_dual_bitop2_b32 v61, v61, v60 bitop3:0x40
	s_delay_alu instid0(VALU_DEP_1) | instskip(NEXT) | instid1(VALU_DEP_1)
	v_dual_add_nc_u32 v16, v4, v61 :: v_dual_bitop2_b32 v62, 31, v16 bitop3:0x54
	v_cmpx_eq_u32_e64 v14, v62
; %bb.120:
	s_delay_alu instid0(VALU_DEP_3)
	v_lshlrev_b32_e32 v4, 2, v60
	ds_store_b32 v4, v16
; %bb.121:
	s_or_b32 exec_lo, exec_lo, s5
	v_lshlrev_b32_e32 v4, 2, v14
	s_mov_b32 s5, exec_lo
	s_wait_dscnt 0x0
	s_barrier_signal -1
	s_barrier_wait -1
	v_cmpx_gt_u32_e32 16, v14
	s_cbranch_execz .LBB1328_123
; %bb.122:
	ds_load_b32 v61, v4
	s_wait_dscnt 0x0
	v_mov_b32_dpp v62, v61 row_shr:1 row_mask:0xf bank_mask:0xf
	s_delay_alu instid0(VALU_DEP_1) | instskip(NEXT) | instid1(VALU_DEP_1)
	v_cndmask_b32_e64 v62, v62, 0, vcc_lo
	v_add_nc_u32_e32 v61, v62, v61
	s_delay_alu instid0(VALU_DEP_1) | instskip(NEXT) | instid1(VALU_DEP_1)
	v_mov_b32_dpp v62, v61 row_shr:2 row_mask:0xf bank_mask:0xf
	v_cndmask_b32_e64 v62, 0, v62, s0
	s_delay_alu instid0(VALU_DEP_1) | instskip(NEXT) | instid1(VALU_DEP_1)
	v_add_nc_u32_e32 v61, v61, v62
	v_mov_b32_dpp v62, v61 row_shr:4 row_mask:0xf bank_mask:0xf
	s_delay_alu instid0(VALU_DEP_1) | instskip(NEXT) | instid1(VALU_DEP_1)
	v_cndmask_b32_e64 v62, 0, v62, s1
	v_add_nc_u32_e32 v61, v61, v62
	s_delay_alu instid0(VALU_DEP_1) | instskip(NEXT) | instid1(VALU_DEP_1)
	v_mov_b32_dpp v62, v61 row_shr:8 row_mask:0xf bank_mask:0xf
	v_cndmask_b32_e64 v62, 0, v62, s3
	s_delay_alu instid0(VALU_DEP_1)
	v_add_nc_u32_e32 v61, v61, v62
	ds_store_b32 v4, v61
.LBB1328_123:
	s_or_b32 exec_lo, exec_lo, s5
	v_mov_b32_e32 v61, 0
	s_mov_b32 s0, exec_lo
	s_wait_dscnt 0x0
	s_barrier_signal -1
	s_barrier_wait -1
	v_cmpx_lt_u32_e32 31, v14
; %bb.124:
	v_lshl_add_u32 v60, v60, 2, -4
	ds_load_b32 v61, v60
; %bb.125:
	s_or_b32 exec_lo, exec_lo, s0
	v_sub_co_u32 v60, vcc_lo, v15, 1
	s_wait_dscnt 0x0
	v_add_nc_u32_e32 v16, v61, v16
	s_delay_alu instid0(VALU_DEP_2) | instskip(NEXT) | instid1(VALU_DEP_1)
	v_cmp_gt_i32_e64 s0, 0, v60
	v_cndmask_b32_e64 v15, v60, v15, s0
	v_cmp_lt_u32_e64 s0, 0xff, v14
	s_delay_alu instid0(VALU_DEP_2) | instskip(SKIP_4) | instid1(VALU_DEP_2)
	v_lshlrev_b32_e32 v15, 2, v15
	ds_bpermute_b32 v15, v15, v16
	s_wait_dscnt 0x0
	v_cndmask_b32_e32 v15, v15, v61, vcc_lo
	v_cmp_gt_u32_e32 vcc_lo, 0x100, v14
	v_cndmask_b32_e64 v15, v15, 0, s2
	s_delay_alu instid0(VALU_DEP_1) | instskip(NEXT) | instid1(VALU_DEP_1)
	v_add_nc_u32_e32 v8, v15, v8
	v_add_nc_u32_e32 v9, v8, v9
	s_delay_alu instid0(VALU_DEP_1) | instskip(NEXT) | instid1(VALU_DEP_1)
	v_add_nc_u32_e32 v6, v9, v6
	v_add_nc_u32_e32 v7, v6, v7
	;; [unrolled: 3-line block ×4, first 2 shown]
	ds_store_2addr_b32 v10, v15, v8 offset0:16 offset1:17
	ds_store_2addr_b32 v10, v9, v6 offset0:18 offset1:19
	;; [unrolled: 1-line block ×4, first 2 shown]
	ds_store_b32 v10, v1 offset:96
	s_wait_dscnt 0x0
	s_barrier_signal -1
	s_barrier_wait -1
	ds_load_b32 v62, v11 offset:64
	ds_load_b32 v60, v12 offset:64
	;; [unrolled: 1-line block ×12, first 2 shown]
	v_mov_b64_e32 v[0:1], 0
                                        ; implicit-def: $vgpr2
	s_and_saveexec_b32 s2, vcc_lo
	s_cbranch_execz .LBB1328_129
; %bb.126:
	v_mul_u32_u24_e32 v0, 0x44, v14
	v_dual_mov_b32 v1, 0x1800 :: v_dual_add_nc_u32 v2, 1, v14
	s_mov_b32 s3, exec_lo
	ds_load_b32 v0, v0 offset:64
	v_cmpx_ne_u32_e32 0x100, v2
; %bb.127:
	v_mul_u32_u24_e32 v1, 0x44, v2
	ds_load_b32 v1, v1 offset:64
; %bb.128:
	s_or_b32 exec_lo, exec_lo, s3
	s_wait_dscnt 0x0
	v_dual_mov_b32 v1, 0 :: v_dual_sub_nc_u32 v2, v1, v0
.LBB1328_129:
	s_or_b32 exec_lo, exec_lo, s2
	v_dual_mov_b32 v7, 0 :: v_dual_lshlrev_b32 v3, 3, v14
	s_wait_dscnt 0x0
	s_barrier_signal -1
	s_barrier_wait -1
	s_and_saveexec_b32 s1, vcc_lo
	s_cbranch_execz .LBB1328_139
; %bb.130:
	v_lshl_add_u32 v6, s23, 8, v14
	v_dual_mov_b32 v10, 0 :: v_dual_bitop2_b32 v11, 2.0, v2 bitop3:0x54
	s_mov_b32 s2, 0
	s_mov_b32 s3, s23
	s_delay_alu instid0(VALU_DEP_2)
	v_lshl_add_u64 v[8:9], v[6:7], 2, s[10:11]
	global_store_b32 v6, v11, s[10:11] scale_offset scope:SCOPE_DEV
                                        ; implicit-def: $sgpr4
	s_branch .LBB1328_133
.LBB1328_131:                           ;   in Loop: Header=BB1328_133 Depth=1
	s_or_b32 exec_lo, exec_lo, s5
.LBB1328_132:                           ;   in Loop: Header=BB1328_133 Depth=1
	s_delay_alu instid0(SALU_CYCLE_1) | instskip(SKIP_2) | instid1(VALU_DEP_2)
	s_or_b32 exec_lo, exec_lo, s4
	v_and_b32_e32 v6, 0x3fffffff, v11
	v_cmp_gt_i32_e64 s4, -2.0, v11
	v_add_nc_u32_e32 v10, v6, v10
	s_and_b32 s5, exec_lo, s4
	s_delay_alu instid0(SALU_CYCLE_1) | instskip(NEXT) | instid1(SALU_CYCLE_1)
	s_or_b32 s2, s5, s2
	s_and_not1_b32 exec_lo, exec_lo, s2
	s_cbranch_execz .LBB1328_138
.LBB1328_133:                           ; =>This Loop Header: Depth=1
                                        ;     Child Loop BB1328_136 Depth 2
	s_or_b32 s4, s4, exec_lo
	s_cmp_eq_u32 s3, 0
	s_cbranch_scc1 .LBB1328_137
; %bb.134:                              ;   in Loop: Header=BB1328_133 Depth=1
	s_add_co_i32 s3, s3, -1
	s_mov_b32 s4, exec_lo
	s_wait_xcnt 0x0
	v_lshl_or_b32 v6, s3, 8, v14
	global_load_b32 v11, v6, s[10:11] scale_offset scope:SCOPE_DEV
	s_wait_loadcnt 0x0
	v_cmpx_gt_u32_e32 2.0, v11
	s_cbranch_execz .LBB1328_132
; %bb.135:                              ;   in Loop: Header=BB1328_133 Depth=1
	v_lshl_add_u64 v[12:13], v[6:7], 2, s[10:11]
	s_mov_b32 s5, 0
.LBB1328_136:                           ;   Parent Loop BB1328_133 Depth=1
                                        ; =>  This Inner Loop Header: Depth=2
	global_load_b32 v11, v[12:13], off scope:SCOPE_DEV
	s_wait_loadcnt 0x0
	v_cmp_lt_u32_e32 vcc_lo, 0x3fffffff, v11
	s_or_b32 s5, vcc_lo, s5
	s_wait_xcnt 0x0
	s_and_not1_b32 exec_lo, exec_lo, s5
	s_cbranch_execnz .LBB1328_136
	s_branch .LBB1328_131
.LBB1328_137:                           ;   in Loop: Header=BB1328_133 Depth=1
                                        ; implicit-def: $sgpr3
	s_and_b32 s5, exec_lo, s4
	s_delay_alu instid0(SALU_CYCLE_1)
	s_or_b32 s2, s5, s2
	s_wait_xcnt 0x0
	s_and_not1_b32 exec_lo, exec_lo, s2
	s_cbranch_execnz .LBB1328_133
.LBB1328_138:
	s_or_b32 exec_lo, exec_lo, s2
	v_dual_mov_b32 v11, 0 :: v_dual_add_nc_u32 v6, v10, v2
	s_delay_alu instid0(VALU_DEP_1) | instskip(SKIP_4) | instid1(VALU_DEP_1)
	v_or_b32_e32 v6, 0x80000000, v6
	global_store_b32 v[8:9], v6, off scope:SCOPE_DEV
	global_load_b64 v[6:7], v14, s[12:13] scale_offset
	v_sub_nc_u64_e32 v[8:9], v[10:11], v[0:1]
	s_wait_loadcnt 0x0
	v_add_nc_u64_e32 v[6:7], v[8:9], v[6:7]
	ds_store_b64 v3, v[6:7]
.LBB1328_139:
	s_wait_xcnt 0x0
	s_or_b32 exec_lo, exec_lo, s1
	v_dual_add_nc_u32 v6, v62, v5 :: v_dual_sub_nc_u32 v56, 0, v4
	v_mov_b32_e32 v5, 0
	v_add3_u32 v22, v23, v60, v22
	v_add3_u32 v7, v58, v53, v57
	;; [unrolled: 1-line block ×3, first 2 shown]
	v_add_nc_u32_e32 v23, v3, v56
	v_add_nc_u64_e32 v[4:5], s[18:19], v[4:5]
	v_add3_u32 v9, v52, v48, v50
	v_add3_u32 v10, v49, v44, v47
	;; [unrolled: 1-line block ×6, first 2 shown]
	v_add_nc_u64_e32 v[4:5], 0x2000, v[4:5]
	v_add3_u32 v16, v29, v16, v28
	v_add3_u32 v25, v26, v61, v25
	v_mov_b32_e32 v26, v14
	s_mov_b32 s1, 0
	s_mov_b32 s2, -1
	s_branch .LBB1328_141
.LBB1328_140:                           ;   in Loop: Header=BB1328_141 Depth=1
	s_wait_xcnt 0x0
	s_or_b32 exec_lo, exec_lo, s3
	v_add_nc_u64_e32 v[4:5], 0x4000, v[4:5]
	v_add_nc_u32_e32 v26, 0x1000, v26
	s_xor_b32 s2, s2, -1
	s_addk_co_i32 s1, 0xf000
	s_and_b32 vcc_lo, exec_lo, s2
	s_mov_b32 s2, 0
	s_wait_storecnt 0x0
	s_barrier_signal -1
	s_barrier_wait -1
	s_cbranch_vccnz .LBB1328_151
.LBB1328_141:                           ; =>This Inner Loop Header: Depth=1
	v_add_min_u32_e64 v28, v6, s1, 0x1000
	v_add_min_u32_e64 v29, v22, s1, 0x1000
	;; [unrolled: 1-line block ×5, first 2 shown]
	s_delay_alu instid0(VALU_DEP_4)
	v_dual_lshlrev_b32 v28, 2, v28 :: v_dual_lshlrev_b32 v29, 2, v29
	v_add_min_u32_e64 v35, v13, s1, 0x1000
	v_add_min_u32_e64 v36, v12, s1, 0x1000
	s_mov_b32 s3, exec_lo
	ds_store_b32 v28, v17 offset:2048
	ds_store_b32 v29, v18 offset:2048
	v_dual_lshlrev_b32 v28, 2, v31 :: v_dual_lshlrev_b32 v29, 2, v32
	v_dual_lshlrev_b32 v31, 2, v33 :: v_dual_lshlrev_b32 v32, 2, v35
	v_lshlrev_b32_e32 v33, 2, v36
	ds_store_b32 v28, v19 offset:2048
	ds_store_b32 v29, v20 offset:2048
	;; [unrolled: 1-line block ×5, first 2 shown]
	v_add_min_u32_e64 v28, v11, s1, 0x1000
	v_add_min_u32_e64 v29, v10, s1, 0x1000
	;; [unrolled: 1-line block ×5, first 2 shown]
	s_delay_alu instid0(VALU_DEP_4) | instskip(NEXT) | instid1(VALU_DEP_3)
	v_dual_lshlrev_b32 v28, 2, v28 :: v_dual_lshlrev_b32 v29, 2, v29
	v_dual_lshlrev_b32 v31, 2, v31 :: v_dual_lshlrev_b32 v32, 2, v32
	s_delay_alu instid0(VALU_DEP_3)
	v_lshlrev_b32_e32 v33, 2, v33
	ds_store_b32 v28, v30 offset:2048
	ds_store_b32 v29, v34 offset:2048
	;; [unrolled: 1-line block ×5, first 2 shown]
	s_wait_storecnt_dscnt 0x0
	s_barrier_signal -1
	s_barrier_wait -1
	ds_load_2addr_stride64_b32 v[28:29], v23 offset0:8 offset1:16
	s_wait_dscnt 0x0
	v_cmp_ne_u32_e32 vcc_lo, 0x80000000, v29
	v_cndmask_b32_e32 v31, 0x7fffffff, v29, vcc_lo
	v_cmp_ne_u32_e32 vcc_lo, 0x80000000, v28
	s_delay_alu instid0(VALU_DEP_2) | instskip(SKIP_1) | instid1(VALU_DEP_2)
	v_lshrrev_b32_e32 v31, s20, v31
	v_cndmask_b32_e32 v35, 0x7fffffff, v28, vcc_lo
	v_and_b32_e32 v31, s9, v31
	s_delay_alu instid0(VALU_DEP_2) | instskip(NEXT) | instid1(VALU_DEP_2)
	v_lshrrev_b32_e32 v35, s20, v35
	v_lshlrev_b32_e32 v31, 3, v31
	ds_load_b64 v[32:33], v31
	ds_load_b32 v31, v23 offset:6144
	v_and_b32_e32 v35, s9, v35
	s_delay_alu instid0(VALU_DEP_1) | instskip(SKIP_4) | instid1(VALU_DEP_2)
	v_lshlrev_b32_e32 v35, 3, v35
	s_wait_dscnt 0x0
	v_cmp_ne_u32_e32 vcc_lo, 0x80000000, v31
	v_cndmask_b32_e32 v36, 0x7fffffff, v31, vcc_lo
	v_cmp_gt_i32_e32 vcc_lo, 0, v28
	v_lshrrev_b32_e32 v36, s20, v36
	s_delay_alu instid0(VALU_DEP_1) | instskip(NEXT) | instid1(VALU_DEP_1)
	v_and_b32_e32 v36, s9, v36
	v_lshlrev_b32_e32 v39, 3, v36
	ds_load_b64 v[36:37], v35
	ds_load_b64 v[40:41], v39
	v_cndmask_b32_e64 v35, 0x7fffffff, 0, vcc_lo
	v_cmp_gt_i32_e32 vcc_lo, 0, v29
	s_delay_alu instid0(VALU_DEP_2) | instskip(SKIP_2) | instid1(VALU_DEP_2)
	v_xor_b32_e32 v35, v35, v28
	v_cndmask_b32_e64 v39, 0x7fffffff, 0, vcc_lo
	v_cmp_gt_i32_e32 vcc_lo, 0, v31
	v_xor_b32_e32 v39, v39, v29
	v_cndmask_b32_e64 v43, 0x7fffffff, 0, vcc_lo
	v_lshl_add_u64 v[28:29], v[32:33], 2, v[4:5]
	s_delay_alu instid0(VALU_DEP_2)
	v_xor_b32_e32 v31, v43, v31
	s_wait_dscnt 0x1
	v_lshl_add_u64 v[36:37], v[36:37], 2, v[4:5]
	s_wait_dscnt 0x0
	v_lshl_add_u64 v[32:33], v[40:41], 2, v[4:5]
	s_clause 0x2
	global_store_b32 v[36:37], v35, off offset:-8192
	global_store_b32 v[28:29], v39, off offset:-6144
	;; [unrolled: 1-line block ×3, first 2 shown]
	s_wait_xcnt 0x0
	v_cmpx_gt_u32_e32 0x1200, v26
	s_cbranch_execz .LBB1328_143
; %bb.142:                              ;   in Loop: Header=BB1328_141 Depth=1
	ds_load_b32 v31, v23 offset:8192
	s_wait_dscnt 0x0
	v_cmp_ne_u32_e32 vcc_lo, 0x80000000, v31
	v_cndmask_b32_e32 v28, 0x7fffffff, v31, vcc_lo
	v_cmp_gt_i32_e32 vcc_lo, 0, v31
	v_cndmask_b32_e64 v32, 0x7fffffff, 0, vcc_lo
	s_delay_alu instid0(VALU_DEP_1) | instskip(NEXT) | instid1(VALU_DEP_1)
	v_dual_lshrrev_b32 v28, s20, v28 :: v_dual_bitop2_b32 v31, v32, v31 bitop3:0x14
	v_and_b32_e32 v28, s9, v28
	s_delay_alu instid0(VALU_DEP_1)
	v_lshlrev_b32_e32 v28, 3, v28
	ds_load_b64 v[28:29], v28
	s_wait_dscnt 0x0
	v_lshl_add_u64 v[28:29], v[28:29], 2, v[4:5]
	global_store_b32 v[28:29], v31, off offset:-2048
.LBB1328_143:                           ;   in Loop: Header=BB1328_141 Depth=1
	s_wait_xcnt 0x0
	s_or_b32 exec_lo, exec_lo, s3
	v_add_nc_u32_e32 v28, 0x800, v26
	s_mov_b32 s3, exec_lo
	s_delay_alu instid0(VALU_DEP_1)
	v_cmpx_gt_u32_e32 0x1800, v28
	s_cbranch_execz .LBB1328_145
; %bb.144:                              ;   in Loop: Header=BB1328_141 Depth=1
	ds_load_b32 v31, v23 offset:10240
	s_wait_dscnt 0x0
	v_cmp_ne_u32_e32 vcc_lo, 0x80000000, v31
	v_cndmask_b32_e32 v28, 0x7fffffff, v31, vcc_lo
	v_cmp_gt_i32_e32 vcc_lo, 0, v31
	v_cndmask_b32_e64 v32, 0x7fffffff, 0, vcc_lo
	s_delay_alu instid0(VALU_DEP_1) | instskip(NEXT) | instid1(VALU_DEP_1)
	v_dual_lshrrev_b32 v28, s20, v28 :: v_dual_bitop2_b32 v31, v32, v31 bitop3:0x14
	v_and_b32_e32 v28, s9, v28
	s_delay_alu instid0(VALU_DEP_1)
	v_lshlrev_b32_e32 v28, 3, v28
	ds_load_b64 v[28:29], v28
	s_wait_dscnt 0x0
	v_lshl_add_u64 v[28:29], v[28:29], 2, v[4:5]
	global_store_b32 v[28:29], v31, off
.LBB1328_145:                           ;   in Loop: Header=BB1328_141 Depth=1
	s_wait_xcnt 0x0
	s_or_b32 exec_lo, exec_lo, s3
	s_delay_alu instid0(SALU_CYCLE_1)
	s_mov_b32 s3, exec_lo
	v_cmpx_gt_u32_e32 0xe00, v26
	s_cbranch_execz .LBB1328_147
; %bb.146:                              ;   in Loop: Header=BB1328_141 Depth=1
	ds_load_b32 v31, v23 offset:12288
	s_wait_dscnt 0x0
	v_cmp_ne_u32_e32 vcc_lo, 0x80000000, v31
	v_cndmask_b32_e32 v28, 0x7fffffff, v31, vcc_lo
	v_cmp_gt_i32_e32 vcc_lo, 0, v31
	v_cndmask_b32_e64 v32, 0x7fffffff, 0, vcc_lo
	s_delay_alu instid0(VALU_DEP_1) | instskip(NEXT) | instid1(VALU_DEP_1)
	v_dual_lshrrev_b32 v28, s20, v28 :: v_dual_bitop2_b32 v31, v32, v31 bitop3:0x14
	v_and_b32_e32 v28, s9, v28
	s_delay_alu instid0(VALU_DEP_1)
	v_lshlrev_b32_e32 v28, 3, v28
	ds_load_b64 v[28:29], v28
	s_wait_dscnt 0x0
	v_lshl_add_u64 v[28:29], v[28:29], 2, v[4:5]
	global_store_b32 v[28:29], v31, off offset:2048
.LBB1328_147:                           ;   in Loop: Header=BB1328_141 Depth=1
	s_wait_xcnt 0x0
	s_or_b32 exec_lo, exec_lo, s3
	v_add_nc_u32_e32 v28, 0xc00, v26
	s_mov_b32 s3, exec_lo
	s_delay_alu instid0(VALU_DEP_1)
	v_cmpx_gt_u32_e32 0x1800, v28
	s_cbranch_execz .LBB1328_149
; %bb.148:                              ;   in Loop: Header=BB1328_141 Depth=1
	ds_load_b32 v31, v23 offset:14336
	s_wait_dscnt 0x0
	v_cmp_ne_u32_e32 vcc_lo, 0x80000000, v31
	v_cndmask_b32_e32 v28, 0x7fffffff, v31, vcc_lo
	v_cmp_gt_i32_e32 vcc_lo, 0, v31
	v_cndmask_b32_e64 v32, 0x7fffffff, 0, vcc_lo
	s_delay_alu instid0(VALU_DEP_1) | instskip(NEXT) | instid1(VALU_DEP_1)
	v_dual_lshrrev_b32 v28, s20, v28 :: v_dual_bitop2_b32 v31, v32, v31 bitop3:0x14
	v_and_b32_e32 v28, s9, v28
	s_delay_alu instid0(VALU_DEP_1)
	v_lshlrev_b32_e32 v28, 3, v28
	ds_load_b64 v[28:29], v28
	s_wait_dscnt 0x0
	v_lshl_add_u64 v[28:29], v[28:29], 2, v[4:5]
	global_store_b32 v[28:29], v31, off offset:4096
.LBB1328_149:                           ;   in Loop: Header=BB1328_141 Depth=1
	s_wait_xcnt 0x0
	s_or_b32 exec_lo, exec_lo, s3
	s_delay_alu instid0(SALU_CYCLE_1)
	s_mov_b32 s3, exec_lo
	v_cmpx_gt_u32_e32 0xa00, v26
	s_cbranch_execz .LBB1328_140
; %bb.150:                              ;   in Loop: Header=BB1328_141 Depth=1
	ds_load_b32 v31, v23 offset:16384
	s_wait_dscnt 0x0
	v_cmp_ne_u32_e32 vcc_lo, 0x80000000, v31
	v_cndmask_b32_e32 v28, 0x7fffffff, v31, vcc_lo
	v_cmp_gt_i32_e32 vcc_lo, 0, v31
	v_cndmask_b32_e64 v32, 0x7fffffff, 0, vcc_lo
	s_delay_alu instid0(VALU_DEP_1) | instskip(NEXT) | instid1(VALU_DEP_1)
	v_dual_lshrrev_b32 v28, s20, v28 :: v_dual_bitop2_b32 v31, v32, v31 bitop3:0x14
	v_and_b32_e32 v28, s9, v28
	s_delay_alu instid0(VALU_DEP_1)
	v_lshlrev_b32_e32 v28, 3, v28
	ds_load_b64 v[28:29], v28
	s_wait_dscnt 0x0
	v_lshl_add_u64 v[28:29], v[28:29], 2, v[4:5]
	global_store_b32 v[28:29], v31, off offset:6144
	s_branch .LBB1328_140
.LBB1328_151:
	s_add_co_i32 s8, s8, -1
	s_delay_alu instid0(SALU_CYCLE_1) | instskip(SKIP_2) | instid1(SALU_CYCLE_1)
	s_cmp_eq_u32 s23, s8
	s_cselect_b32 s1, -1, 0
	s_xor_b32 s0, s0, -1
	s_and_b32 s0, s0, s1
	s_delay_alu instid0(SALU_CYCLE_1)
	s_and_saveexec_b32 s1, s0
	s_cbranch_execz .LBB1328_153
; %bb.152:
	ds_load_b64 v[4:5], v3
	v_mov_b32_e32 v3, 0
	s_delay_alu instid0(VALU_DEP_1) | instskip(SKIP_1) | instid1(VALU_DEP_1)
	v_add_nc_u64_e32 v[0:1], v[0:1], v[2:3]
	s_wait_dscnt 0x0
	v_add_nc_u64_e32 v[0:1], v[0:1], v[4:5]
	global_store_b64 v14, v[0:1], s[14:15] scale_offset
.LBB1328_153:
	s_sendmsg sendmsg(MSG_DEALLOC_VGPRS)
	s_endpgm
	.section	.rodata,"a",@progbits
	.p2align	6, 0x0
	.amdhsa_kernel _ZN7rocprim17ROCPRIM_400000_NS6detail17trampoline_kernelINS0_14default_configENS1_35radix_sort_onesweep_config_selectorIfNS0_10empty_typeEEEZZNS1_29radix_sort_onesweep_iterationIS3_Lb1EPKfPfPS5_SB_mNS0_19identity_decomposerENS1_16block_id_wrapperIjLb1EEEEE10hipError_tT1_PNSt15iterator_traitsISG_E10value_typeET2_T3_PNSH_ISM_E10value_typeET4_T5_PSR_SS_PNS1_23onesweep_lookback_stateEbbT6_jjT7_P12ihipStream_tbENKUlT_T0_SG_SL_E_clISA_SA_SB_SB_EEDaSZ_S10_SG_SL_EUlSZ_E_NS1_11comp_targetILNS1_3genE0ELNS1_11target_archE4294967295ELNS1_3gpuE0ELNS1_3repE0EEENS1_47radix_sort_onesweep_sort_config_static_selectorELNS0_4arch9wavefront6targetE0EEEvSG_
		.amdhsa_group_segment_fixed_size 18504
		.amdhsa_private_segment_fixed_size 0
		.amdhsa_kernarg_size 344
		.amdhsa_user_sgpr_count 2
		.amdhsa_user_sgpr_dispatch_ptr 0
		.amdhsa_user_sgpr_queue_ptr 0
		.amdhsa_user_sgpr_kernarg_segment_ptr 1
		.amdhsa_user_sgpr_dispatch_id 0
		.amdhsa_user_sgpr_kernarg_preload_length 0
		.amdhsa_user_sgpr_kernarg_preload_offset 0
		.amdhsa_user_sgpr_private_segment_size 0
		.amdhsa_wavefront_size32 1
		.amdhsa_uses_dynamic_stack 0
		.amdhsa_enable_private_segment 0
		.amdhsa_system_sgpr_workgroup_id_x 1
		.amdhsa_system_sgpr_workgroup_id_y 0
		.amdhsa_system_sgpr_workgroup_id_z 0
		.amdhsa_system_sgpr_workgroup_info 0
		.amdhsa_system_vgpr_workitem_id 2
		.amdhsa_next_free_vgpr 65
		.amdhsa_next_free_sgpr 30
		.amdhsa_named_barrier_count 0
		.amdhsa_reserve_vcc 1
		.amdhsa_float_round_mode_32 0
		.amdhsa_float_round_mode_16_64 0
		.amdhsa_float_denorm_mode_32 3
		.amdhsa_float_denorm_mode_16_64 3
		.amdhsa_fp16_overflow 0
		.amdhsa_memory_ordered 1
		.amdhsa_forward_progress 1
		.amdhsa_inst_pref_size 136
		.amdhsa_round_robin_scheduling 0
		.amdhsa_exception_fp_ieee_invalid_op 0
		.amdhsa_exception_fp_denorm_src 0
		.amdhsa_exception_fp_ieee_div_zero 0
		.amdhsa_exception_fp_ieee_overflow 0
		.amdhsa_exception_fp_ieee_underflow 0
		.amdhsa_exception_fp_ieee_inexact 0
		.amdhsa_exception_int_div_zero 0
	.end_amdhsa_kernel
	.section	.text._ZN7rocprim17ROCPRIM_400000_NS6detail17trampoline_kernelINS0_14default_configENS1_35radix_sort_onesweep_config_selectorIfNS0_10empty_typeEEEZZNS1_29radix_sort_onesweep_iterationIS3_Lb1EPKfPfPS5_SB_mNS0_19identity_decomposerENS1_16block_id_wrapperIjLb1EEEEE10hipError_tT1_PNSt15iterator_traitsISG_E10value_typeET2_T3_PNSH_ISM_E10value_typeET4_T5_PSR_SS_PNS1_23onesweep_lookback_stateEbbT6_jjT7_P12ihipStream_tbENKUlT_T0_SG_SL_E_clISA_SA_SB_SB_EEDaSZ_S10_SG_SL_EUlSZ_E_NS1_11comp_targetILNS1_3genE0ELNS1_11target_archE4294967295ELNS1_3gpuE0ELNS1_3repE0EEENS1_47radix_sort_onesweep_sort_config_static_selectorELNS0_4arch9wavefront6targetE0EEEvSG_,"axG",@progbits,_ZN7rocprim17ROCPRIM_400000_NS6detail17trampoline_kernelINS0_14default_configENS1_35radix_sort_onesweep_config_selectorIfNS0_10empty_typeEEEZZNS1_29radix_sort_onesweep_iterationIS3_Lb1EPKfPfPS5_SB_mNS0_19identity_decomposerENS1_16block_id_wrapperIjLb1EEEEE10hipError_tT1_PNSt15iterator_traitsISG_E10value_typeET2_T3_PNSH_ISM_E10value_typeET4_T5_PSR_SS_PNS1_23onesweep_lookback_stateEbbT6_jjT7_P12ihipStream_tbENKUlT_T0_SG_SL_E_clISA_SA_SB_SB_EEDaSZ_S10_SG_SL_EUlSZ_E_NS1_11comp_targetILNS1_3genE0ELNS1_11target_archE4294967295ELNS1_3gpuE0ELNS1_3repE0EEENS1_47radix_sort_onesweep_sort_config_static_selectorELNS0_4arch9wavefront6targetE0EEEvSG_,comdat
.Lfunc_end1328:
	.size	_ZN7rocprim17ROCPRIM_400000_NS6detail17trampoline_kernelINS0_14default_configENS1_35radix_sort_onesweep_config_selectorIfNS0_10empty_typeEEEZZNS1_29radix_sort_onesweep_iterationIS3_Lb1EPKfPfPS5_SB_mNS0_19identity_decomposerENS1_16block_id_wrapperIjLb1EEEEE10hipError_tT1_PNSt15iterator_traitsISG_E10value_typeET2_T3_PNSH_ISM_E10value_typeET4_T5_PSR_SS_PNS1_23onesweep_lookback_stateEbbT6_jjT7_P12ihipStream_tbENKUlT_T0_SG_SL_E_clISA_SA_SB_SB_EEDaSZ_S10_SG_SL_EUlSZ_E_NS1_11comp_targetILNS1_3genE0ELNS1_11target_archE4294967295ELNS1_3gpuE0ELNS1_3repE0EEENS1_47radix_sort_onesweep_sort_config_static_selectorELNS0_4arch9wavefront6targetE0EEEvSG_, .Lfunc_end1328-_ZN7rocprim17ROCPRIM_400000_NS6detail17trampoline_kernelINS0_14default_configENS1_35radix_sort_onesweep_config_selectorIfNS0_10empty_typeEEEZZNS1_29radix_sort_onesweep_iterationIS3_Lb1EPKfPfPS5_SB_mNS0_19identity_decomposerENS1_16block_id_wrapperIjLb1EEEEE10hipError_tT1_PNSt15iterator_traitsISG_E10value_typeET2_T3_PNSH_ISM_E10value_typeET4_T5_PSR_SS_PNS1_23onesweep_lookback_stateEbbT6_jjT7_P12ihipStream_tbENKUlT_T0_SG_SL_E_clISA_SA_SB_SB_EEDaSZ_S10_SG_SL_EUlSZ_E_NS1_11comp_targetILNS1_3genE0ELNS1_11target_archE4294967295ELNS1_3gpuE0ELNS1_3repE0EEENS1_47radix_sort_onesweep_sort_config_static_selectorELNS0_4arch9wavefront6targetE0EEEvSG_
                                        ; -- End function
	.set _ZN7rocprim17ROCPRIM_400000_NS6detail17trampoline_kernelINS0_14default_configENS1_35radix_sort_onesweep_config_selectorIfNS0_10empty_typeEEEZZNS1_29radix_sort_onesweep_iterationIS3_Lb1EPKfPfPS5_SB_mNS0_19identity_decomposerENS1_16block_id_wrapperIjLb1EEEEE10hipError_tT1_PNSt15iterator_traitsISG_E10value_typeET2_T3_PNSH_ISM_E10value_typeET4_T5_PSR_SS_PNS1_23onesweep_lookback_stateEbbT6_jjT7_P12ihipStream_tbENKUlT_T0_SG_SL_E_clISA_SA_SB_SB_EEDaSZ_S10_SG_SL_EUlSZ_E_NS1_11comp_targetILNS1_3genE0ELNS1_11target_archE4294967295ELNS1_3gpuE0ELNS1_3repE0EEENS1_47radix_sort_onesweep_sort_config_static_selectorELNS0_4arch9wavefront6targetE0EEEvSG_.num_vgpr, 65
	.set _ZN7rocprim17ROCPRIM_400000_NS6detail17trampoline_kernelINS0_14default_configENS1_35radix_sort_onesweep_config_selectorIfNS0_10empty_typeEEEZZNS1_29radix_sort_onesweep_iterationIS3_Lb1EPKfPfPS5_SB_mNS0_19identity_decomposerENS1_16block_id_wrapperIjLb1EEEEE10hipError_tT1_PNSt15iterator_traitsISG_E10value_typeET2_T3_PNSH_ISM_E10value_typeET4_T5_PSR_SS_PNS1_23onesweep_lookback_stateEbbT6_jjT7_P12ihipStream_tbENKUlT_T0_SG_SL_E_clISA_SA_SB_SB_EEDaSZ_S10_SG_SL_EUlSZ_E_NS1_11comp_targetILNS1_3genE0ELNS1_11target_archE4294967295ELNS1_3gpuE0ELNS1_3repE0EEENS1_47radix_sort_onesweep_sort_config_static_selectorELNS0_4arch9wavefront6targetE0EEEvSG_.num_agpr, 0
	.set _ZN7rocprim17ROCPRIM_400000_NS6detail17trampoline_kernelINS0_14default_configENS1_35radix_sort_onesweep_config_selectorIfNS0_10empty_typeEEEZZNS1_29radix_sort_onesweep_iterationIS3_Lb1EPKfPfPS5_SB_mNS0_19identity_decomposerENS1_16block_id_wrapperIjLb1EEEEE10hipError_tT1_PNSt15iterator_traitsISG_E10value_typeET2_T3_PNSH_ISM_E10value_typeET4_T5_PSR_SS_PNS1_23onesweep_lookback_stateEbbT6_jjT7_P12ihipStream_tbENKUlT_T0_SG_SL_E_clISA_SA_SB_SB_EEDaSZ_S10_SG_SL_EUlSZ_E_NS1_11comp_targetILNS1_3genE0ELNS1_11target_archE4294967295ELNS1_3gpuE0ELNS1_3repE0EEENS1_47radix_sort_onesweep_sort_config_static_selectorELNS0_4arch9wavefront6targetE0EEEvSG_.numbered_sgpr, 30
	.set _ZN7rocprim17ROCPRIM_400000_NS6detail17trampoline_kernelINS0_14default_configENS1_35radix_sort_onesweep_config_selectorIfNS0_10empty_typeEEEZZNS1_29radix_sort_onesweep_iterationIS3_Lb1EPKfPfPS5_SB_mNS0_19identity_decomposerENS1_16block_id_wrapperIjLb1EEEEE10hipError_tT1_PNSt15iterator_traitsISG_E10value_typeET2_T3_PNSH_ISM_E10value_typeET4_T5_PSR_SS_PNS1_23onesweep_lookback_stateEbbT6_jjT7_P12ihipStream_tbENKUlT_T0_SG_SL_E_clISA_SA_SB_SB_EEDaSZ_S10_SG_SL_EUlSZ_E_NS1_11comp_targetILNS1_3genE0ELNS1_11target_archE4294967295ELNS1_3gpuE0ELNS1_3repE0EEENS1_47radix_sort_onesweep_sort_config_static_selectorELNS0_4arch9wavefront6targetE0EEEvSG_.num_named_barrier, 0
	.set _ZN7rocprim17ROCPRIM_400000_NS6detail17trampoline_kernelINS0_14default_configENS1_35radix_sort_onesweep_config_selectorIfNS0_10empty_typeEEEZZNS1_29radix_sort_onesweep_iterationIS3_Lb1EPKfPfPS5_SB_mNS0_19identity_decomposerENS1_16block_id_wrapperIjLb1EEEEE10hipError_tT1_PNSt15iterator_traitsISG_E10value_typeET2_T3_PNSH_ISM_E10value_typeET4_T5_PSR_SS_PNS1_23onesweep_lookback_stateEbbT6_jjT7_P12ihipStream_tbENKUlT_T0_SG_SL_E_clISA_SA_SB_SB_EEDaSZ_S10_SG_SL_EUlSZ_E_NS1_11comp_targetILNS1_3genE0ELNS1_11target_archE4294967295ELNS1_3gpuE0ELNS1_3repE0EEENS1_47radix_sort_onesweep_sort_config_static_selectorELNS0_4arch9wavefront6targetE0EEEvSG_.private_seg_size, 0
	.set _ZN7rocprim17ROCPRIM_400000_NS6detail17trampoline_kernelINS0_14default_configENS1_35radix_sort_onesweep_config_selectorIfNS0_10empty_typeEEEZZNS1_29radix_sort_onesweep_iterationIS3_Lb1EPKfPfPS5_SB_mNS0_19identity_decomposerENS1_16block_id_wrapperIjLb1EEEEE10hipError_tT1_PNSt15iterator_traitsISG_E10value_typeET2_T3_PNSH_ISM_E10value_typeET4_T5_PSR_SS_PNS1_23onesweep_lookback_stateEbbT6_jjT7_P12ihipStream_tbENKUlT_T0_SG_SL_E_clISA_SA_SB_SB_EEDaSZ_S10_SG_SL_EUlSZ_E_NS1_11comp_targetILNS1_3genE0ELNS1_11target_archE4294967295ELNS1_3gpuE0ELNS1_3repE0EEENS1_47radix_sort_onesweep_sort_config_static_selectorELNS0_4arch9wavefront6targetE0EEEvSG_.uses_vcc, 1
	.set _ZN7rocprim17ROCPRIM_400000_NS6detail17trampoline_kernelINS0_14default_configENS1_35radix_sort_onesweep_config_selectorIfNS0_10empty_typeEEEZZNS1_29radix_sort_onesweep_iterationIS3_Lb1EPKfPfPS5_SB_mNS0_19identity_decomposerENS1_16block_id_wrapperIjLb1EEEEE10hipError_tT1_PNSt15iterator_traitsISG_E10value_typeET2_T3_PNSH_ISM_E10value_typeET4_T5_PSR_SS_PNS1_23onesweep_lookback_stateEbbT6_jjT7_P12ihipStream_tbENKUlT_T0_SG_SL_E_clISA_SA_SB_SB_EEDaSZ_S10_SG_SL_EUlSZ_E_NS1_11comp_targetILNS1_3genE0ELNS1_11target_archE4294967295ELNS1_3gpuE0ELNS1_3repE0EEENS1_47radix_sort_onesweep_sort_config_static_selectorELNS0_4arch9wavefront6targetE0EEEvSG_.uses_flat_scratch, 0
	.set _ZN7rocprim17ROCPRIM_400000_NS6detail17trampoline_kernelINS0_14default_configENS1_35radix_sort_onesweep_config_selectorIfNS0_10empty_typeEEEZZNS1_29radix_sort_onesweep_iterationIS3_Lb1EPKfPfPS5_SB_mNS0_19identity_decomposerENS1_16block_id_wrapperIjLb1EEEEE10hipError_tT1_PNSt15iterator_traitsISG_E10value_typeET2_T3_PNSH_ISM_E10value_typeET4_T5_PSR_SS_PNS1_23onesweep_lookback_stateEbbT6_jjT7_P12ihipStream_tbENKUlT_T0_SG_SL_E_clISA_SA_SB_SB_EEDaSZ_S10_SG_SL_EUlSZ_E_NS1_11comp_targetILNS1_3genE0ELNS1_11target_archE4294967295ELNS1_3gpuE0ELNS1_3repE0EEENS1_47radix_sort_onesweep_sort_config_static_selectorELNS0_4arch9wavefront6targetE0EEEvSG_.has_dyn_sized_stack, 0
	.set _ZN7rocprim17ROCPRIM_400000_NS6detail17trampoline_kernelINS0_14default_configENS1_35radix_sort_onesweep_config_selectorIfNS0_10empty_typeEEEZZNS1_29radix_sort_onesweep_iterationIS3_Lb1EPKfPfPS5_SB_mNS0_19identity_decomposerENS1_16block_id_wrapperIjLb1EEEEE10hipError_tT1_PNSt15iterator_traitsISG_E10value_typeET2_T3_PNSH_ISM_E10value_typeET4_T5_PSR_SS_PNS1_23onesweep_lookback_stateEbbT6_jjT7_P12ihipStream_tbENKUlT_T0_SG_SL_E_clISA_SA_SB_SB_EEDaSZ_S10_SG_SL_EUlSZ_E_NS1_11comp_targetILNS1_3genE0ELNS1_11target_archE4294967295ELNS1_3gpuE0ELNS1_3repE0EEENS1_47radix_sort_onesweep_sort_config_static_selectorELNS0_4arch9wavefront6targetE0EEEvSG_.has_recursion, 0
	.set _ZN7rocprim17ROCPRIM_400000_NS6detail17trampoline_kernelINS0_14default_configENS1_35radix_sort_onesweep_config_selectorIfNS0_10empty_typeEEEZZNS1_29radix_sort_onesweep_iterationIS3_Lb1EPKfPfPS5_SB_mNS0_19identity_decomposerENS1_16block_id_wrapperIjLb1EEEEE10hipError_tT1_PNSt15iterator_traitsISG_E10value_typeET2_T3_PNSH_ISM_E10value_typeET4_T5_PSR_SS_PNS1_23onesweep_lookback_stateEbbT6_jjT7_P12ihipStream_tbENKUlT_T0_SG_SL_E_clISA_SA_SB_SB_EEDaSZ_S10_SG_SL_EUlSZ_E_NS1_11comp_targetILNS1_3genE0ELNS1_11target_archE4294967295ELNS1_3gpuE0ELNS1_3repE0EEENS1_47radix_sort_onesweep_sort_config_static_selectorELNS0_4arch9wavefront6targetE0EEEvSG_.has_indirect_call, 0
	.section	.AMDGPU.csdata,"",@progbits
; Kernel info:
; codeLenInByte = 17320
; TotalNumSgprs: 32
; NumVgprs: 65
; ScratchSize: 0
; MemoryBound: 0
; FloatMode: 240
; IeeeMode: 1
; LDSByteSize: 18504 bytes/workgroup (compile time only)
; SGPRBlocks: 0
; VGPRBlocks: 4
; NumSGPRsForWavesPerEU: 32
; NumVGPRsForWavesPerEU: 65
; NamedBarCnt: 0
; Occupancy: 12
; WaveLimiterHint : 1
; COMPUTE_PGM_RSRC2:SCRATCH_EN: 0
; COMPUTE_PGM_RSRC2:USER_SGPR: 2
; COMPUTE_PGM_RSRC2:TRAP_HANDLER: 0
; COMPUTE_PGM_RSRC2:TGID_X_EN: 1
; COMPUTE_PGM_RSRC2:TGID_Y_EN: 0
; COMPUTE_PGM_RSRC2:TGID_Z_EN: 0
; COMPUTE_PGM_RSRC2:TIDIG_COMP_CNT: 2
	.section	.text._ZN7rocprim17ROCPRIM_400000_NS6detail17trampoline_kernelINS0_14default_configENS1_35radix_sort_onesweep_config_selectorIfNS0_10empty_typeEEEZZNS1_29radix_sort_onesweep_iterationIS3_Lb1EPKfPfPS5_SB_mNS0_19identity_decomposerENS1_16block_id_wrapperIjLb1EEEEE10hipError_tT1_PNSt15iterator_traitsISG_E10value_typeET2_T3_PNSH_ISM_E10value_typeET4_T5_PSR_SS_PNS1_23onesweep_lookback_stateEbbT6_jjT7_P12ihipStream_tbENKUlT_T0_SG_SL_E_clISA_SA_SB_SB_EEDaSZ_S10_SG_SL_EUlSZ_E_NS1_11comp_targetILNS1_3genE6ELNS1_11target_archE950ELNS1_3gpuE13ELNS1_3repE0EEENS1_47radix_sort_onesweep_sort_config_static_selectorELNS0_4arch9wavefront6targetE0EEEvSG_,"axG",@progbits,_ZN7rocprim17ROCPRIM_400000_NS6detail17trampoline_kernelINS0_14default_configENS1_35radix_sort_onesweep_config_selectorIfNS0_10empty_typeEEEZZNS1_29radix_sort_onesweep_iterationIS3_Lb1EPKfPfPS5_SB_mNS0_19identity_decomposerENS1_16block_id_wrapperIjLb1EEEEE10hipError_tT1_PNSt15iterator_traitsISG_E10value_typeET2_T3_PNSH_ISM_E10value_typeET4_T5_PSR_SS_PNS1_23onesweep_lookback_stateEbbT6_jjT7_P12ihipStream_tbENKUlT_T0_SG_SL_E_clISA_SA_SB_SB_EEDaSZ_S10_SG_SL_EUlSZ_E_NS1_11comp_targetILNS1_3genE6ELNS1_11target_archE950ELNS1_3gpuE13ELNS1_3repE0EEENS1_47radix_sort_onesweep_sort_config_static_selectorELNS0_4arch9wavefront6targetE0EEEvSG_,comdat
	.protected	_ZN7rocprim17ROCPRIM_400000_NS6detail17trampoline_kernelINS0_14default_configENS1_35radix_sort_onesweep_config_selectorIfNS0_10empty_typeEEEZZNS1_29radix_sort_onesweep_iterationIS3_Lb1EPKfPfPS5_SB_mNS0_19identity_decomposerENS1_16block_id_wrapperIjLb1EEEEE10hipError_tT1_PNSt15iterator_traitsISG_E10value_typeET2_T3_PNSH_ISM_E10value_typeET4_T5_PSR_SS_PNS1_23onesweep_lookback_stateEbbT6_jjT7_P12ihipStream_tbENKUlT_T0_SG_SL_E_clISA_SA_SB_SB_EEDaSZ_S10_SG_SL_EUlSZ_E_NS1_11comp_targetILNS1_3genE6ELNS1_11target_archE950ELNS1_3gpuE13ELNS1_3repE0EEENS1_47radix_sort_onesweep_sort_config_static_selectorELNS0_4arch9wavefront6targetE0EEEvSG_ ; -- Begin function _ZN7rocprim17ROCPRIM_400000_NS6detail17trampoline_kernelINS0_14default_configENS1_35radix_sort_onesweep_config_selectorIfNS0_10empty_typeEEEZZNS1_29radix_sort_onesweep_iterationIS3_Lb1EPKfPfPS5_SB_mNS0_19identity_decomposerENS1_16block_id_wrapperIjLb1EEEEE10hipError_tT1_PNSt15iterator_traitsISG_E10value_typeET2_T3_PNSH_ISM_E10value_typeET4_T5_PSR_SS_PNS1_23onesweep_lookback_stateEbbT6_jjT7_P12ihipStream_tbENKUlT_T0_SG_SL_E_clISA_SA_SB_SB_EEDaSZ_S10_SG_SL_EUlSZ_E_NS1_11comp_targetILNS1_3genE6ELNS1_11target_archE950ELNS1_3gpuE13ELNS1_3repE0EEENS1_47radix_sort_onesweep_sort_config_static_selectorELNS0_4arch9wavefront6targetE0EEEvSG_
	.globl	_ZN7rocprim17ROCPRIM_400000_NS6detail17trampoline_kernelINS0_14default_configENS1_35radix_sort_onesweep_config_selectorIfNS0_10empty_typeEEEZZNS1_29radix_sort_onesweep_iterationIS3_Lb1EPKfPfPS5_SB_mNS0_19identity_decomposerENS1_16block_id_wrapperIjLb1EEEEE10hipError_tT1_PNSt15iterator_traitsISG_E10value_typeET2_T3_PNSH_ISM_E10value_typeET4_T5_PSR_SS_PNS1_23onesweep_lookback_stateEbbT6_jjT7_P12ihipStream_tbENKUlT_T0_SG_SL_E_clISA_SA_SB_SB_EEDaSZ_S10_SG_SL_EUlSZ_E_NS1_11comp_targetILNS1_3genE6ELNS1_11target_archE950ELNS1_3gpuE13ELNS1_3repE0EEENS1_47radix_sort_onesweep_sort_config_static_selectorELNS0_4arch9wavefront6targetE0EEEvSG_
	.p2align	8
	.type	_ZN7rocprim17ROCPRIM_400000_NS6detail17trampoline_kernelINS0_14default_configENS1_35radix_sort_onesweep_config_selectorIfNS0_10empty_typeEEEZZNS1_29radix_sort_onesweep_iterationIS3_Lb1EPKfPfPS5_SB_mNS0_19identity_decomposerENS1_16block_id_wrapperIjLb1EEEEE10hipError_tT1_PNSt15iterator_traitsISG_E10value_typeET2_T3_PNSH_ISM_E10value_typeET4_T5_PSR_SS_PNS1_23onesweep_lookback_stateEbbT6_jjT7_P12ihipStream_tbENKUlT_T0_SG_SL_E_clISA_SA_SB_SB_EEDaSZ_S10_SG_SL_EUlSZ_E_NS1_11comp_targetILNS1_3genE6ELNS1_11target_archE950ELNS1_3gpuE13ELNS1_3repE0EEENS1_47radix_sort_onesweep_sort_config_static_selectorELNS0_4arch9wavefront6targetE0EEEvSG_,@function
_ZN7rocprim17ROCPRIM_400000_NS6detail17trampoline_kernelINS0_14default_configENS1_35radix_sort_onesweep_config_selectorIfNS0_10empty_typeEEEZZNS1_29radix_sort_onesweep_iterationIS3_Lb1EPKfPfPS5_SB_mNS0_19identity_decomposerENS1_16block_id_wrapperIjLb1EEEEE10hipError_tT1_PNSt15iterator_traitsISG_E10value_typeET2_T3_PNSH_ISM_E10value_typeET4_T5_PSR_SS_PNS1_23onesweep_lookback_stateEbbT6_jjT7_P12ihipStream_tbENKUlT_T0_SG_SL_E_clISA_SA_SB_SB_EEDaSZ_S10_SG_SL_EUlSZ_E_NS1_11comp_targetILNS1_3genE6ELNS1_11target_archE950ELNS1_3gpuE13ELNS1_3repE0EEENS1_47radix_sort_onesweep_sort_config_static_selectorELNS0_4arch9wavefront6targetE0EEEvSG_: ; @_ZN7rocprim17ROCPRIM_400000_NS6detail17trampoline_kernelINS0_14default_configENS1_35radix_sort_onesweep_config_selectorIfNS0_10empty_typeEEEZZNS1_29radix_sort_onesweep_iterationIS3_Lb1EPKfPfPS5_SB_mNS0_19identity_decomposerENS1_16block_id_wrapperIjLb1EEEEE10hipError_tT1_PNSt15iterator_traitsISG_E10value_typeET2_T3_PNSH_ISM_E10value_typeET4_T5_PSR_SS_PNS1_23onesweep_lookback_stateEbbT6_jjT7_P12ihipStream_tbENKUlT_T0_SG_SL_E_clISA_SA_SB_SB_EEDaSZ_S10_SG_SL_EUlSZ_E_NS1_11comp_targetILNS1_3genE6ELNS1_11target_archE950ELNS1_3gpuE13ELNS1_3repE0EEENS1_47radix_sort_onesweep_sort_config_static_selectorELNS0_4arch9wavefront6targetE0EEEvSG_
; %bb.0:
	.section	.rodata,"a",@progbits
	.p2align	6, 0x0
	.amdhsa_kernel _ZN7rocprim17ROCPRIM_400000_NS6detail17trampoline_kernelINS0_14default_configENS1_35radix_sort_onesweep_config_selectorIfNS0_10empty_typeEEEZZNS1_29radix_sort_onesweep_iterationIS3_Lb1EPKfPfPS5_SB_mNS0_19identity_decomposerENS1_16block_id_wrapperIjLb1EEEEE10hipError_tT1_PNSt15iterator_traitsISG_E10value_typeET2_T3_PNSH_ISM_E10value_typeET4_T5_PSR_SS_PNS1_23onesweep_lookback_stateEbbT6_jjT7_P12ihipStream_tbENKUlT_T0_SG_SL_E_clISA_SA_SB_SB_EEDaSZ_S10_SG_SL_EUlSZ_E_NS1_11comp_targetILNS1_3genE6ELNS1_11target_archE950ELNS1_3gpuE13ELNS1_3repE0EEENS1_47radix_sort_onesweep_sort_config_static_selectorELNS0_4arch9wavefront6targetE0EEEvSG_
		.amdhsa_group_segment_fixed_size 0
		.amdhsa_private_segment_fixed_size 0
		.amdhsa_kernarg_size 88
		.amdhsa_user_sgpr_count 2
		.amdhsa_user_sgpr_dispatch_ptr 0
		.amdhsa_user_sgpr_queue_ptr 0
		.amdhsa_user_sgpr_kernarg_segment_ptr 1
		.amdhsa_user_sgpr_dispatch_id 0
		.amdhsa_user_sgpr_kernarg_preload_length 0
		.amdhsa_user_sgpr_kernarg_preload_offset 0
		.amdhsa_user_sgpr_private_segment_size 0
		.amdhsa_wavefront_size32 1
		.amdhsa_uses_dynamic_stack 0
		.amdhsa_enable_private_segment 0
		.amdhsa_system_sgpr_workgroup_id_x 1
		.amdhsa_system_sgpr_workgroup_id_y 0
		.amdhsa_system_sgpr_workgroup_id_z 0
		.amdhsa_system_sgpr_workgroup_info 0
		.amdhsa_system_vgpr_workitem_id 0
		.amdhsa_next_free_vgpr 1
		.amdhsa_next_free_sgpr 1
		.amdhsa_named_barrier_count 0
		.amdhsa_reserve_vcc 0
		.amdhsa_float_round_mode_32 0
		.amdhsa_float_round_mode_16_64 0
		.amdhsa_float_denorm_mode_32 3
		.amdhsa_float_denorm_mode_16_64 3
		.amdhsa_fp16_overflow 0
		.amdhsa_memory_ordered 1
		.amdhsa_forward_progress 1
		.amdhsa_inst_pref_size 0
		.amdhsa_round_robin_scheduling 0
		.amdhsa_exception_fp_ieee_invalid_op 0
		.amdhsa_exception_fp_denorm_src 0
		.amdhsa_exception_fp_ieee_div_zero 0
		.amdhsa_exception_fp_ieee_overflow 0
		.amdhsa_exception_fp_ieee_underflow 0
		.amdhsa_exception_fp_ieee_inexact 0
		.amdhsa_exception_int_div_zero 0
	.end_amdhsa_kernel
	.section	.text._ZN7rocprim17ROCPRIM_400000_NS6detail17trampoline_kernelINS0_14default_configENS1_35radix_sort_onesweep_config_selectorIfNS0_10empty_typeEEEZZNS1_29radix_sort_onesweep_iterationIS3_Lb1EPKfPfPS5_SB_mNS0_19identity_decomposerENS1_16block_id_wrapperIjLb1EEEEE10hipError_tT1_PNSt15iterator_traitsISG_E10value_typeET2_T3_PNSH_ISM_E10value_typeET4_T5_PSR_SS_PNS1_23onesweep_lookback_stateEbbT6_jjT7_P12ihipStream_tbENKUlT_T0_SG_SL_E_clISA_SA_SB_SB_EEDaSZ_S10_SG_SL_EUlSZ_E_NS1_11comp_targetILNS1_3genE6ELNS1_11target_archE950ELNS1_3gpuE13ELNS1_3repE0EEENS1_47radix_sort_onesweep_sort_config_static_selectorELNS0_4arch9wavefront6targetE0EEEvSG_,"axG",@progbits,_ZN7rocprim17ROCPRIM_400000_NS6detail17trampoline_kernelINS0_14default_configENS1_35radix_sort_onesweep_config_selectorIfNS0_10empty_typeEEEZZNS1_29radix_sort_onesweep_iterationIS3_Lb1EPKfPfPS5_SB_mNS0_19identity_decomposerENS1_16block_id_wrapperIjLb1EEEEE10hipError_tT1_PNSt15iterator_traitsISG_E10value_typeET2_T3_PNSH_ISM_E10value_typeET4_T5_PSR_SS_PNS1_23onesweep_lookback_stateEbbT6_jjT7_P12ihipStream_tbENKUlT_T0_SG_SL_E_clISA_SA_SB_SB_EEDaSZ_S10_SG_SL_EUlSZ_E_NS1_11comp_targetILNS1_3genE6ELNS1_11target_archE950ELNS1_3gpuE13ELNS1_3repE0EEENS1_47radix_sort_onesweep_sort_config_static_selectorELNS0_4arch9wavefront6targetE0EEEvSG_,comdat
.Lfunc_end1329:
	.size	_ZN7rocprim17ROCPRIM_400000_NS6detail17trampoline_kernelINS0_14default_configENS1_35radix_sort_onesweep_config_selectorIfNS0_10empty_typeEEEZZNS1_29radix_sort_onesweep_iterationIS3_Lb1EPKfPfPS5_SB_mNS0_19identity_decomposerENS1_16block_id_wrapperIjLb1EEEEE10hipError_tT1_PNSt15iterator_traitsISG_E10value_typeET2_T3_PNSH_ISM_E10value_typeET4_T5_PSR_SS_PNS1_23onesweep_lookback_stateEbbT6_jjT7_P12ihipStream_tbENKUlT_T0_SG_SL_E_clISA_SA_SB_SB_EEDaSZ_S10_SG_SL_EUlSZ_E_NS1_11comp_targetILNS1_3genE6ELNS1_11target_archE950ELNS1_3gpuE13ELNS1_3repE0EEENS1_47radix_sort_onesweep_sort_config_static_selectorELNS0_4arch9wavefront6targetE0EEEvSG_, .Lfunc_end1329-_ZN7rocprim17ROCPRIM_400000_NS6detail17trampoline_kernelINS0_14default_configENS1_35radix_sort_onesweep_config_selectorIfNS0_10empty_typeEEEZZNS1_29radix_sort_onesweep_iterationIS3_Lb1EPKfPfPS5_SB_mNS0_19identity_decomposerENS1_16block_id_wrapperIjLb1EEEEE10hipError_tT1_PNSt15iterator_traitsISG_E10value_typeET2_T3_PNSH_ISM_E10value_typeET4_T5_PSR_SS_PNS1_23onesweep_lookback_stateEbbT6_jjT7_P12ihipStream_tbENKUlT_T0_SG_SL_E_clISA_SA_SB_SB_EEDaSZ_S10_SG_SL_EUlSZ_E_NS1_11comp_targetILNS1_3genE6ELNS1_11target_archE950ELNS1_3gpuE13ELNS1_3repE0EEENS1_47radix_sort_onesweep_sort_config_static_selectorELNS0_4arch9wavefront6targetE0EEEvSG_
                                        ; -- End function
	.set _ZN7rocprim17ROCPRIM_400000_NS6detail17trampoline_kernelINS0_14default_configENS1_35radix_sort_onesweep_config_selectorIfNS0_10empty_typeEEEZZNS1_29radix_sort_onesweep_iterationIS3_Lb1EPKfPfPS5_SB_mNS0_19identity_decomposerENS1_16block_id_wrapperIjLb1EEEEE10hipError_tT1_PNSt15iterator_traitsISG_E10value_typeET2_T3_PNSH_ISM_E10value_typeET4_T5_PSR_SS_PNS1_23onesweep_lookback_stateEbbT6_jjT7_P12ihipStream_tbENKUlT_T0_SG_SL_E_clISA_SA_SB_SB_EEDaSZ_S10_SG_SL_EUlSZ_E_NS1_11comp_targetILNS1_3genE6ELNS1_11target_archE950ELNS1_3gpuE13ELNS1_3repE0EEENS1_47radix_sort_onesweep_sort_config_static_selectorELNS0_4arch9wavefront6targetE0EEEvSG_.num_vgpr, 0
	.set _ZN7rocprim17ROCPRIM_400000_NS6detail17trampoline_kernelINS0_14default_configENS1_35radix_sort_onesweep_config_selectorIfNS0_10empty_typeEEEZZNS1_29radix_sort_onesweep_iterationIS3_Lb1EPKfPfPS5_SB_mNS0_19identity_decomposerENS1_16block_id_wrapperIjLb1EEEEE10hipError_tT1_PNSt15iterator_traitsISG_E10value_typeET2_T3_PNSH_ISM_E10value_typeET4_T5_PSR_SS_PNS1_23onesweep_lookback_stateEbbT6_jjT7_P12ihipStream_tbENKUlT_T0_SG_SL_E_clISA_SA_SB_SB_EEDaSZ_S10_SG_SL_EUlSZ_E_NS1_11comp_targetILNS1_3genE6ELNS1_11target_archE950ELNS1_3gpuE13ELNS1_3repE0EEENS1_47radix_sort_onesweep_sort_config_static_selectorELNS0_4arch9wavefront6targetE0EEEvSG_.num_agpr, 0
	.set _ZN7rocprim17ROCPRIM_400000_NS6detail17trampoline_kernelINS0_14default_configENS1_35radix_sort_onesweep_config_selectorIfNS0_10empty_typeEEEZZNS1_29radix_sort_onesweep_iterationIS3_Lb1EPKfPfPS5_SB_mNS0_19identity_decomposerENS1_16block_id_wrapperIjLb1EEEEE10hipError_tT1_PNSt15iterator_traitsISG_E10value_typeET2_T3_PNSH_ISM_E10value_typeET4_T5_PSR_SS_PNS1_23onesweep_lookback_stateEbbT6_jjT7_P12ihipStream_tbENKUlT_T0_SG_SL_E_clISA_SA_SB_SB_EEDaSZ_S10_SG_SL_EUlSZ_E_NS1_11comp_targetILNS1_3genE6ELNS1_11target_archE950ELNS1_3gpuE13ELNS1_3repE0EEENS1_47radix_sort_onesweep_sort_config_static_selectorELNS0_4arch9wavefront6targetE0EEEvSG_.numbered_sgpr, 0
	.set _ZN7rocprim17ROCPRIM_400000_NS6detail17trampoline_kernelINS0_14default_configENS1_35radix_sort_onesweep_config_selectorIfNS0_10empty_typeEEEZZNS1_29radix_sort_onesweep_iterationIS3_Lb1EPKfPfPS5_SB_mNS0_19identity_decomposerENS1_16block_id_wrapperIjLb1EEEEE10hipError_tT1_PNSt15iterator_traitsISG_E10value_typeET2_T3_PNSH_ISM_E10value_typeET4_T5_PSR_SS_PNS1_23onesweep_lookback_stateEbbT6_jjT7_P12ihipStream_tbENKUlT_T0_SG_SL_E_clISA_SA_SB_SB_EEDaSZ_S10_SG_SL_EUlSZ_E_NS1_11comp_targetILNS1_3genE6ELNS1_11target_archE950ELNS1_3gpuE13ELNS1_3repE0EEENS1_47radix_sort_onesweep_sort_config_static_selectorELNS0_4arch9wavefront6targetE0EEEvSG_.num_named_barrier, 0
	.set _ZN7rocprim17ROCPRIM_400000_NS6detail17trampoline_kernelINS0_14default_configENS1_35radix_sort_onesweep_config_selectorIfNS0_10empty_typeEEEZZNS1_29radix_sort_onesweep_iterationIS3_Lb1EPKfPfPS5_SB_mNS0_19identity_decomposerENS1_16block_id_wrapperIjLb1EEEEE10hipError_tT1_PNSt15iterator_traitsISG_E10value_typeET2_T3_PNSH_ISM_E10value_typeET4_T5_PSR_SS_PNS1_23onesweep_lookback_stateEbbT6_jjT7_P12ihipStream_tbENKUlT_T0_SG_SL_E_clISA_SA_SB_SB_EEDaSZ_S10_SG_SL_EUlSZ_E_NS1_11comp_targetILNS1_3genE6ELNS1_11target_archE950ELNS1_3gpuE13ELNS1_3repE0EEENS1_47radix_sort_onesweep_sort_config_static_selectorELNS0_4arch9wavefront6targetE0EEEvSG_.private_seg_size, 0
	.set _ZN7rocprim17ROCPRIM_400000_NS6detail17trampoline_kernelINS0_14default_configENS1_35radix_sort_onesweep_config_selectorIfNS0_10empty_typeEEEZZNS1_29radix_sort_onesweep_iterationIS3_Lb1EPKfPfPS5_SB_mNS0_19identity_decomposerENS1_16block_id_wrapperIjLb1EEEEE10hipError_tT1_PNSt15iterator_traitsISG_E10value_typeET2_T3_PNSH_ISM_E10value_typeET4_T5_PSR_SS_PNS1_23onesweep_lookback_stateEbbT6_jjT7_P12ihipStream_tbENKUlT_T0_SG_SL_E_clISA_SA_SB_SB_EEDaSZ_S10_SG_SL_EUlSZ_E_NS1_11comp_targetILNS1_3genE6ELNS1_11target_archE950ELNS1_3gpuE13ELNS1_3repE0EEENS1_47radix_sort_onesweep_sort_config_static_selectorELNS0_4arch9wavefront6targetE0EEEvSG_.uses_vcc, 0
	.set _ZN7rocprim17ROCPRIM_400000_NS6detail17trampoline_kernelINS0_14default_configENS1_35radix_sort_onesweep_config_selectorIfNS0_10empty_typeEEEZZNS1_29radix_sort_onesweep_iterationIS3_Lb1EPKfPfPS5_SB_mNS0_19identity_decomposerENS1_16block_id_wrapperIjLb1EEEEE10hipError_tT1_PNSt15iterator_traitsISG_E10value_typeET2_T3_PNSH_ISM_E10value_typeET4_T5_PSR_SS_PNS1_23onesweep_lookback_stateEbbT6_jjT7_P12ihipStream_tbENKUlT_T0_SG_SL_E_clISA_SA_SB_SB_EEDaSZ_S10_SG_SL_EUlSZ_E_NS1_11comp_targetILNS1_3genE6ELNS1_11target_archE950ELNS1_3gpuE13ELNS1_3repE0EEENS1_47radix_sort_onesweep_sort_config_static_selectorELNS0_4arch9wavefront6targetE0EEEvSG_.uses_flat_scratch, 0
	.set _ZN7rocprim17ROCPRIM_400000_NS6detail17trampoline_kernelINS0_14default_configENS1_35radix_sort_onesweep_config_selectorIfNS0_10empty_typeEEEZZNS1_29radix_sort_onesweep_iterationIS3_Lb1EPKfPfPS5_SB_mNS0_19identity_decomposerENS1_16block_id_wrapperIjLb1EEEEE10hipError_tT1_PNSt15iterator_traitsISG_E10value_typeET2_T3_PNSH_ISM_E10value_typeET4_T5_PSR_SS_PNS1_23onesweep_lookback_stateEbbT6_jjT7_P12ihipStream_tbENKUlT_T0_SG_SL_E_clISA_SA_SB_SB_EEDaSZ_S10_SG_SL_EUlSZ_E_NS1_11comp_targetILNS1_3genE6ELNS1_11target_archE950ELNS1_3gpuE13ELNS1_3repE0EEENS1_47radix_sort_onesweep_sort_config_static_selectorELNS0_4arch9wavefront6targetE0EEEvSG_.has_dyn_sized_stack, 0
	.set _ZN7rocprim17ROCPRIM_400000_NS6detail17trampoline_kernelINS0_14default_configENS1_35radix_sort_onesweep_config_selectorIfNS0_10empty_typeEEEZZNS1_29radix_sort_onesweep_iterationIS3_Lb1EPKfPfPS5_SB_mNS0_19identity_decomposerENS1_16block_id_wrapperIjLb1EEEEE10hipError_tT1_PNSt15iterator_traitsISG_E10value_typeET2_T3_PNSH_ISM_E10value_typeET4_T5_PSR_SS_PNS1_23onesweep_lookback_stateEbbT6_jjT7_P12ihipStream_tbENKUlT_T0_SG_SL_E_clISA_SA_SB_SB_EEDaSZ_S10_SG_SL_EUlSZ_E_NS1_11comp_targetILNS1_3genE6ELNS1_11target_archE950ELNS1_3gpuE13ELNS1_3repE0EEENS1_47radix_sort_onesweep_sort_config_static_selectorELNS0_4arch9wavefront6targetE0EEEvSG_.has_recursion, 0
	.set _ZN7rocprim17ROCPRIM_400000_NS6detail17trampoline_kernelINS0_14default_configENS1_35radix_sort_onesweep_config_selectorIfNS0_10empty_typeEEEZZNS1_29radix_sort_onesweep_iterationIS3_Lb1EPKfPfPS5_SB_mNS0_19identity_decomposerENS1_16block_id_wrapperIjLb1EEEEE10hipError_tT1_PNSt15iterator_traitsISG_E10value_typeET2_T3_PNSH_ISM_E10value_typeET4_T5_PSR_SS_PNS1_23onesweep_lookback_stateEbbT6_jjT7_P12ihipStream_tbENKUlT_T0_SG_SL_E_clISA_SA_SB_SB_EEDaSZ_S10_SG_SL_EUlSZ_E_NS1_11comp_targetILNS1_3genE6ELNS1_11target_archE950ELNS1_3gpuE13ELNS1_3repE0EEENS1_47radix_sort_onesweep_sort_config_static_selectorELNS0_4arch9wavefront6targetE0EEEvSG_.has_indirect_call, 0
	.section	.AMDGPU.csdata,"",@progbits
; Kernel info:
; codeLenInByte = 0
; TotalNumSgprs: 0
; NumVgprs: 0
; ScratchSize: 0
; MemoryBound: 0
; FloatMode: 240
; IeeeMode: 1
; LDSByteSize: 0 bytes/workgroup (compile time only)
; SGPRBlocks: 0
; VGPRBlocks: 0
; NumSGPRsForWavesPerEU: 1
; NumVGPRsForWavesPerEU: 1
; NamedBarCnt: 0
; Occupancy: 16
; WaveLimiterHint : 0
; COMPUTE_PGM_RSRC2:SCRATCH_EN: 0
; COMPUTE_PGM_RSRC2:USER_SGPR: 2
; COMPUTE_PGM_RSRC2:TRAP_HANDLER: 0
; COMPUTE_PGM_RSRC2:TGID_X_EN: 1
; COMPUTE_PGM_RSRC2:TGID_Y_EN: 0
; COMPUTE_PGM_RSRC2:TGID_Z_EN: 0
; COMPUTE_PGM_RSRC2:TIDIG_COMP_CNT: 0
	.section	.text._ZN7rocprim17ROCPRIM_400000_NS6detail17trampoline_kernelINS0_14default_configENS1_35radix_sort_onesweep_config_selectorIfNS0_10empty_typeEEEZZNS1_29radix_sort_onesweep_iterationIS3_Lb1EPKfPfPS5_SB_mNS0_19identity_decomposerENS1_16block_id_wrapperIjLb1EEEEE10hipError_tT1_PNSt15iterator_traitsISG_E10value_typeET2_T3_PNSH_ISM_E10value_typeET4_T5_PSR_SS_PNS1_23onesweep_lookback_stateEbbT6_jjT7_P12ihipStream_tbENKUlT_T0_SG_SL_E_clISA_SA_SB_SB_EEDaSZ_S10_SG_SL_EUlSZ_E_NS1_11comp_targetILNS1_3genE5ELNS1_11target_archE942ELNS1_3gpuE9ELNS1_3repE0EEENS1_47radix_sort_onesweep_sort_config_static_selectorELNS0_4arch9wavefront6targetE0EEEvSG_,"axG",@progbits,_ZN7rocprim17ROCPRIM_400000_NS6detail17trampoline_kernelINS0_14default_configENS1_35radix_sort_onesweep_config_selectorIfNS0_10empty_typeEEEZZNS1_29radix_sort_onesweep_iterationIS3_Lb1EPKfPfPS5_SB_mNS0_19identity_decomposerENS1_16block_id_wrapperIjLb1EEEEE10hipError_tT1_PNSt15iterator_traitsISG_E10value_typeET2_T3_PNSH_ISM_E10value_typeET4_T5_PSR_SS_PNS1_23onesweep_lookback_stateEbbT6_jjT7_P12ihipStream_tbENKUlT_T0_SG_SL_E_clISA_SA_SB_SB_EEDaSZ_S10_SG_SL_EUlSZ_E_NS1_11comp_targetILNS1_3genE5ELNS1_11target_archE942ELNS1_3gpuE9ELNS1_3repE0EEENS1_47radix_sort_onesweep_sort_config_static_selectorELNS0_4arch9wavefront6targetE0EEEvSG_,comdat
	.protected	_ZN7rocprim17ROCPRIM_400000_NS6detail17trampoline_kernelINS0_14default_configENS1_35radix_sort_onesweep_config_selectorIfNS0_10empty_typeEEEZZNS1_29radix_sort_onesweep_iterationIS3_Lb1EPKfPfPS5_SB_mNS0_19identity_decomposerENS1_16block_id_wrapperIjLb1EEEEE10hipError_tT1_PNSt15iterator_traitsISG_E10value_typeET2_T3_PNSH_ISM_E10value_typeET4_T5_PSR_SS_PNS1_23onesweep_lookback_stateEbbT6_jjT7_P12ihipStream_tbENKUlT_T0_SG_SL_E_clISA_SA_SB_SB_EEDaSZ_S10_SG_SL_EUlSZ_E_NS1_11comp_targetILNS1_3genE5ELNS1_11target_archE942ELNS1_3gpuE9ELNS1_3repE0EEENS1_47radix_sort_onesweep_sort_config_static_selectorELNS0_4arch9wavefront6targetE0EEEvSG_ ; -- Begin function _ZN7rocprim17ROCPRIM_400000_NS6detail17trampoline_kernelINS0_14default_configENS1_35radix_sort_onesweep_config_selectorIfNS0_10empty_typeEEEZZNS1_29radix_sort_onesweep_iterationIS3_Lb1EPKfPfPS5_SB_mNS0_19identity_decomposerENS1_16block_id_wrapperIjLb1EEEEE10hipError_tT1_PNSt15iterator_traitsISG_E10value_typeET2_T3_PNSH_ISM_E10value_typeET4_T5_PSR_SS_PNS1_23onesweep_lookback_stateEbbT6_jjT7_P12ihipStream_tbENKUlT_T0_SG_SL_E_clISA_SA_SB_SB_EEDaSZ_S10_SG_SL_EUlSZ_E_NS1_11comp_targetILNS1_3genE5ELNS1_11target_archE942ELNS1_3gpuE9ELNS1_3repE0EEENS1_47radix_sort_onesweep_sort_config_static_selectorELNS0_4arch9wavefront6targetE0EEEvSG_
	.globl	_ZN7rocprim17ROCPRIM_400000_NS6detail17trampoline_kernelINS0_14default_configENS1_35radix_sort_onesweep_config_selectorIfNS0_10empty_typeEEEZZNS1_29radix_sort_onesweep_iterationIS3_Lb1EPKfPfPS5_SB_mNS0_19identity_decomposerENS1_16block_id_wrapperIjLb1EEEEE10hipError_tT1_PNSt15iterator_traitsISG_E10value_typeET2_T3_PNSH_ISM_E10value_typeET4_T5_PSR_SS_PNS1_23onesweep_lookback_stateEbbT6_jjT7_P12ihipStream_tbENKUlT_T0_SG_SL_E_clISA_SA_SB_SB_EEDaSZ_S10_SG_SL_EUlSZ_E_NS1_11comp_targetILNS1_3genE5ELNS1_11target_archE942ELNS1_3gpuE9ELNS1_3repE0EEENS1_47radix_sort_onesweep_sort_config_static_selectorELNS0_4arch9wavefront6targetE0EEEvSG_
	.p2align	8
	.type	_ZN7rocprim17ROCPRIM_400000_NS6detail17trampoline_kernelINS0_14default_configENS1_35radix_sort_onesweep_config_selectorIfNS0_10empty_typeEEEZZNS1_29radix_sort_onesweep_iterationIS3_Lb1EPKfPfPS5_SB_mNS0_19identity_decomposerENS1_16block_id_wrapperIjLb1EEEEE10hipError_tT1_PNSt15iterator_traitsISG_E10value_typeET2_T3_PNSH_ISM_E10value_typeET4_T5_PSR_SS_PNS1_23onesweep_lookback_stateEbbT6_jjT7_P12ihipStream_tbENKUlT_T0_SG_SL_E_clISA_SA_SB_SB_EEDaSZ_S10_SG_SL_EUlSZ_E_NS1_11comp_targetILNS1_3genE5ELNS1_11target_archE942ELNS1_3gpuE9ELNS1_3repE0EEENS1_47radix_sort_onesweep_sort_config_static_selectorELNS0_4arch9wavefront6targetE0EEEvSG_,@function
_ZN7rocprim17ROCPRIM_400000_NS6detail17trampoline_kernelINS0_14default_configENS1_35radix_sort_onesweep_config_selectorIfNS0_10empty_typeEEEZZNS1_29radix_sort_onesweep_iterationIS3_Lb1EPKfPfPS5_SB_mNS0_19identity_decomposerENS1_16block_id_wrapperIjLb1EEEEE10hipError_tT1_PNSt15iterator_traitsISG_E10value_typeET2_T3_PNSH_ISM_E10value_typeET4_T5_PSR_SS_PNS1_23onesweep_lookback_stateEbbT6_jjT7_P12ihipStream_tbENKUlT_T0_SG_SL_E_clISA_SA_SB_SB_EEDaSZ_S10_SG_SL_EUlSZ_E_NS1_11comp_targetILNS1_3genE5ELNS1_11target_archE942ELNS1_3gpuE9ELNS1_3repE0EEENS1_47radix_sort_onesweep_sort_config_static_selectorELNS0_4arch9wavefront6targetE0EEEvSG_: ; @_ZN7rocprim17ROCPRIM_400000_NS6detail17trampoline_kernelINS0_14default_configENS1_35radix_sort_onesweep_config_selectorIfNS0_10empty_typeEEEZZNS1_29radix_sort_onesweep_iterationIS3_Lb1EPKfPfPS5_SB_mNS0_19identity_decomposerENS1_16block_id_wrapperIjLb1EEEEE10hipError_tT1_PNSt15iterator_traitsISG_E10value_typeET2_T3_PNSH_ISM_E10value_typeET4_T5_PSR_SS_PNS1_23onesweep_lookback_stateEbbT6_jjT7_P12ihipStream_tbENKUlT_T0_SG_SL_E_clISA_SA_SB_SB_EEDaSZ_S10_SG_SL_EUlSZ_E_NS1_11comp_targetILNS1_3genE5ELNS1_11target_archE942ELNS1_3gpuE9ELNS1_3repE0EEENS1_47radix_sort_onesweep_sort_config_static_selectorELNS0_4arch9wavefront6targetE0EEEvSG_
; %bb.0:
	.section	.rodata,"a",@progbits
	.p2align	6, 0x0
	.amdhsa_kernel _ZN7rocprim17ROCPRIM_400000_NS6detail17trampoline_kernelINS0_14default_configENS1_35radix_sort_onesweep_config_selectorIfNS0_10empty_typeEEEZZNS1_29radix_sort_onesweep_iterationIS3_Lb1EPKfPfPS5_SB_mNS0_19identity_decomposerENS1_16block_id_wrapperIjLb1EEEEE10hipError_tT1_PNSt15iterator_traitsISG_E10value_typeET2_T3_PNSH_ISM_E10value_typeET4_T5_PSR_SS_PNS1_23onesweep_lookback_stateEbbT6_jjT7_P12ihipStream_tbENKUlT_T0_SG_SL_E_clISA_SA_SB_SB_EEDaSZ_S10_SG_SL_EUlSZ_E_NS1_11comp_targetILNS1_3genE5ELNS1_11target_archE942ELNS1_3gpuE9ELNS1_3repE0EEENS1_47radix_sort_onesweep_sort_config_static_selectorELNS0_4arch9wavefront6targetE0EEEvSG_
		.amdhsa_group_segment_fixed_size 0
		.amdhsa_private_segment_fixed_size 0
		.amdhsa_kernarg_size 88
		.amdhsa_user_sgpr_count 2
		.amdhsa_user_sgpr_dispatch_ptr 0
		.amdhsa_user_sgpr_queue_ptr 0
		.amdhsa_user_sgpr_kernarg_segment_ptr 1
		.amdhsa_user_sgpr_dispatch_id 0
		.amdhsa_user_sgpr_kernarg_preload_length 0
		.amdhsa_user_sgpr_kernarg_preload_offset 0
		.amdhsa_user_sgpr_private_segment_size 0
		.amdhsa_wavefront_size32 1
		.amdhsa_uses_dynamic_stack 0
		.amdhsa_enable_private_segment 0
		.amdhsa_system_sgpr_workgroup_id_x 1
		.amdhsa_system_sgpr_workgroup_id_y 0
		.amdhsa_system_sgpr_workgroup_id_z 0
		.amdhsa_system_sgpr_workgroup_info 0
		.amdhsa_system_vgpr_workitem_id 0
		.amdhsa_next_free_vgpr 1
		.amdhsa_next_free_sgpr 1
		.amdhsa_named_barrier_count 0
		.amdhsa_reserve_vcc 0
		.amdhsa_float_round_mode_32 0
		.amdhsa_float_round_mode_16_64 0
		.amdhsa_float_denorm_mode_32 3
		.amdhsa_float_denorm_mode_16_64 3
		.amdhsa_fp16_overflow 0
		.amdhsa_memory_ordered 1
		.amdhsa_forward_progress 1
		.amdhsa_inst_pref_size 0
		.amdhsa_round_robin_scheduling 0
		.amdhsa_exception_fp_ieee_invalid_op 0
		.amdhsa_exception_fp_denorm_src 0
		.amdhsa_exception_fp_ieee_div_zero 0
		.amdhsa_exception_fp_ieee_overflow 0
		.amdhsa_exception_fp_ieee_underflow 0
		.amdhsa_exception_fp_ieee_inexact 0
		.amdhsa_exception_int_div_zero 0
	.end_amdhsa_kernel
	.section	.text._ZN7rocprim17ROCPRIM_400000_NS6detail17trampoline_kernelINS0_14default_configENS1_35radix_sort_onesweep_config_selectorIfNS0_10empty_typeEEEZZNS1_29radix_sort_onesweep_iterationIS3_Lb1EPKfPfPS5_SB_mNS0_19identity_decomposerENS1_16block_id_wrapperIjLb1EEEEE10hipError_tT1_PNSt15iterator_traitsISG_E10value_typeET2_T3_PNSH_ISM_E10value_typeET4_T5_PSR_SS_PNS1_23onesweep_lookback_stateEbbT6_jjT7_P12ihipStream_tbENKUlT_T0_SG_SL_E_clISA_SA_SB_SB_EEDaSZ_S10_SG_SL_EUlSZ_E_NS1_11comp_targetILNS1_3genE5ELNS1_11target_archE942ELNS1_3gpuE9ELNS1_3repE0EEENS1_47radix_sort_onesweep_sort_config_static_selectorELNS0_4arch9wavefront6targetE0EEEvSG_,"axG",@progbits,_ZN7rocprim17ROCPRIM_400000_NS6detail17trampoline_kernelINS0_14default_configENS1_35radix_sort_onesweep_config_selectorIfNS0_10empty_typeEEEZZNS1_29radix_sort_onesweep_iterationIS3_Lb1EPKfPfPS5_SB_mNS0_19identity_decomposerENS1_16block_id_wrapperIjLb1EEEEE10hipError_tT1_PNSt15iterator_traitsISG_E10value_typeET2_T3_PNSH_ISM_E10value_typeET4_T5_PSR_SS_PNS1_23onesweep_lookback_stateEbbT6_jjT7_P12ihipStream_tbENKUlT_T0_SG_SL_E_clISA_SA_SB_SB_EEDaSZ_S10_SG_SL_EUlSZ_E_NS1_11comp_targetILNS1_3genE5ELNS1_11target_archE942ELNS1_3gpuE9ELNS1_3repE0EEENS1_47radix_sort_onesweep_sort_config_static_selectorELNS0_4arch9wavefront6targetE0EEEvSG_,comdat
.Lfunc_end1330:
	.size	_ZN7rocprim17ROCPRIM_400000_NS6detail17trampoline_kernelINS0_14default_configENS1_35radix_sort_onesweep_config_selectorIfNS0_10empty_typeEEEZZNS1_29radix_sort_onesweep_iterationIS3_Lb1EPKfPfPS5_SB_mNS0_19identity_decomposerENS1_16block_id_wrapperIjLb1EEEEE10hipError_tT1_PNSt15iterator_traitsISG_E10value_typeET2_T3_PNSH_ISM_E10value_typeET4_T5_PSR_SS_PNS1_23onesweep_lookback_stateEbbT6_jjT7_P12ihipStream_tbENKUlT_T0_SG_SL_E_clISA_SA_SB_SB_EEDaSZ_S10_SG_SL_EUlSZ_E_NS1_11comp_targetILNS1_3genE5ELNS1_11target_archE942ELNS1_3gpuE9ELNS1_3repE0EEENS1_47radix_sort_onesweep_sort_config_static_selectorELNS0_4arch9wavefront6targetE0EEEvSG_, .Lfunc_end1330-_ZN7rocprim17ROCPRIM_400000_NS6detail17trampoline_kernelINS0_14default_configENS1_35radix_sort_onesweep_config_selectorIfNS0_10empty_typeEEEZZNS1_29radix_sort_onesweep_iterationIS3_Lb1EPKfPfPS5_SB_mNS0_19identity_decomposerENS1_16block_id_wrapperIjLb1EEEEE10hipError_tT1_PNSt15iterator_traitsISG_E10value_typeET2_T3_PNSH_ISM_E10value_typeET4_T5_PSR_SS_PNS1_23onesweep_lookback_stateEbbT6_jjT7_P12ihipStream_tbENKUlT_T0_SG_SL_E_clISA_SA_SB_SB_EEDaSZ_S10_SG_SL_EUlSZ_E_NS1_11comp_targetILNS1_3genE5ELNS1_11target_archE942ELNS1_3gpuE9ELNS1_3repE0EEENS1_47radix_sort_onesweep_sort_config_static_selectorELNS0_4arch9wavefront6targetE0EEEvSG_
                                        ; -- End function
	.set _ZN7rocprim17ROCPRIM_400000_NS6detail17trampoline_kernelINS0_14default_configENS1_35radix_sort_onesweep_config_selectorIfNS0_10empty_typeEEEZZNS1_29radix_sort_onesweep_iterationIS3_Lb1EPKfPfPS5_SB_mNS0_19identity_decomposerENS1_16block_id_wrapperIjLb1EEEEE10hipError_tT1_PNSt15iterator_traitsISG_E10value_typeET2_T3_PNSH_ISM_E10value_typeET4_T5_PSR_SS_PNS1_23onesweep_lookback_stateEbbT6_jjT7_P12ihipStream_tbENKUlT_T0_SG_SL_E_clISA_SA_SB_SB_EEDaSZ_S10_SG_SL_EUlSZ_E_NS1_11comp_targetILNS1_3genE5ELNS1_11target_archE942ELNS1_3gpuE9ELNS1_3repE0EEENS1_47radix_sort_onesweep_sort_config_static_selectorELNS0_4arch9wavefront6targetE0EEEvSG_.num_vgpr, 0
	.set _ZN7rocprim17ROCPRIM_400000_NS6detail17trampoline_kernelINS0_14default_configENS1_35radix_sort_onesweep_config_selectorIfNS0_10empty_typeEEEZZNS1_29radix_sort_onesweep_iterationIS3_Lb1EPKfPfPS5_SB_mNS0_19identity_decomposerENS1_16block_id_wrapperIjLb1EEEEE10hipError_tT1_PNSt15iterator_traitsISG_E10value_typeET2_T3_PNSH_ISM_E10value_typeET4_T5_PSR_SS_PNS1_23onesweep_lookback_stateEbbT6_jjT7_P12ihipStream_tbENKUlT_T0_SG_SL_E_clISA_SA_SB_SB_EEDaSZ_S10_SG_SL_EUlSZ_E_NS1_11comp_targetILNS1_3genE5ELNS1_11target_archE942ELNS1_3gpuE9ELNS1_3repE0EEENS1_47radix_sort_onesweep_sort_config_static_selectorELNS0_4arch9wavefront6targetE0EEEvSG_.num_agpr, 0
	.set _ZN7rocprim17ROCPRIM_400000_NS6detail17trampoline_kernelINS0_14default_configENS1_35radix_sort_onesweep_config_selectorIfNS0_10empty_typeEEEZZNS1_29radix_sort_onesweep_iterationIS3_Lb1EPKfPfPS5_SB_mNS0_19identity_decomposerENS1_16block_id_wrapperIjLb1EEEEE10hipError_tT1_PNSt15iterator_traitsISG_E10value_typeET2_T3_PNSH_ISM_E10value_typeET4_T5_PSR_SS_PNS1_23onesweep_lookback_stateEbbT6_jjT7_P12ihipStream_tbENKUlT_T0_SG_SL_E_clISA_SA_SB_SB_EEDaSZ_S10_SG_SL_EUlSZ_E_NS1_11comp_targetILNS1_3genE5ELNS1_11target_archE942ELNS1_3gpuE9ELNS1_3repE0EEENS1_47radix_sort_onesweep_sort_config_static_selectorELNS0_4arch9wavefront6targetE0EEEvSG_.numbered_sgpr, 0
	.set _ZN7rocprim17ROCPRIM_400000_NS6detail17trampoline_kernelINS0_14default_configENS1_35radix_sort_onesweep_config_selectorIfNS0_10empty_typeEEEZZNS1_29radix_sort_onesweep_iterationIS3_Lb1EPKfPfPS5_SB_mNS0_19identity_decomposerENS1_16block_id_wrapperIjLb1EEEEE10hipError_tT1_PNSt15iterator_traitsISG_E10value_typeET2_T3_PNSH_ISM_E10value_typeET4_T5_PSR_SS_PNS1_23onesweep_lookback_stateEbbT6_jjT7_P12ihipStream_tbENKUlT_T0_SG_SL_E_clISA_SA_SB_SB_EEDaSZ_S10_SG_SL_EUlSZ_E_NS1_11comp_targetILNS1_3genE5ELNS1_11target_archE942ELNS1_3gpuE9ELNS1_3repE0EEENS1_47radix_sort_onesweep_sort_config_static_selectorELNS0_4arch9wavefront6targetE0EEEvSG_.num_named_barrier, 0
	.set _ZN7rocprim17ROCPRIM_400000_NS6detail17trampoline_kernelINS0_14default_configENS1_35radix_sort_onesweep_config_selectorIfNS0_10empty_typeEEEZZNS1_29radix_sort_onesweep_iterationIS3_Lb1EPKfPfPS5_SB_mNS0_19identity_decomposerENS1_16block_id_wrapperIjLb1EEEEE10hipError_tT1_PNSt15iterator_traitsISG_E10value_typeET2_T3_PNSH_ISM_E10value_typeET4_T5_PSR_SS_PNS1_23onesweep_lookback_stateEbbT6_jjT7_P12ihipStream_tbENKUlT_T0_SG_SL_E_clISA_SA_SB_SB_EEDaSZ_S10_SG_SL_EUlSZ_E_NS1_11comp_targetILNS1_3genE5ELNS1_11target_archE942ELNS1_3gpuE9ELNS1_3repE0EEENS1_47radix_sort_onesweep_sort_config_static_selectorELNS0_4arch9wavefront6targetE0EEEvSG_.private_seg_size, 0
	.set _ZN7rocprim17ROCPRIM_400000_NS6detail17trampoline_kernelINS0_14default_configENS1_35radix_sort_onesweep_config_selectorIfNS0_10empty_typeEEEZZNS1_29radix_sort_onesweep_iterationIS3_Lb1EPKfPfPS5_SB_mNS0_19identity_decomposerENS1_16block_id_wrapperIjLb1EEEEE10hipError_tT1_PNSt15iterator_traitsISG_E10value_typeET2_T3_PNSH_ISM_E10value_typeET4_T5_PSR_SS_PNS1_23onesweep_lookback_stateEbbT6_jjT7_P12ihipStream_tbENKUlT_T0_SG_SL_E_clISA_SA_SB_SB_EEDaSZ_S10_SG_SL_EUlSZ_E_NS1_11comp_targetILNS1_3genE5ELNS1_11target_archE942ELNS1_3gpuE9ELNS1_3repE0EEENS1_47radix_sort_onesweep_sort_config_static_selectorELNS0_4arch9wavefront6targetE0EEEvSG_.uses_vcc, 0
	.set _ZN7rocprim17ROCPRIM_400000_NS6detail17trampoline_kernelINS0_14default_configENS1_35radix_sort_onesweep_config_selectorIfNS0_10empty_typeEEEZZNS1_29radix_sort_onesweep_iterationIS3_Lb1EPKfPfPS5_SB_mNS0_19identity_decomposerENS1_16block_id_wrapperIjLb1EEEEE10hipError_tT1_PNSt15iterator_traitsISG_E10value_typeET2_T3_PNSH_ISM_E10value_typeET4_T5_PSR_SS_PNS1_23onesweep_lookback_stateEbbT6_jjT7_P12ihipStream_tbENKUlT_T0_SG_SL_E_clISA_SA_SB_SB_EEDaSZ_S10_SG_SL_EUlSZ_E_NS1_11comp_targetILNS1_3genE5ELNS1_11target_archE942ELNS1_3gpuE9ELNS1_3repE0EEENS1_47radix_sort_onesweep_sort_config_static_selectorELNS0_4arch9wavefront6targetE0EEEvSG_.uses_flat_scratch, 0
	.set _ZN7rocprim17ROCPRIM_400000_NS6detail17trampoline_kernelINS0_14default_configENS1_35radix_sort_onesweep_config_selectorIfNS0_10empty_typeEEEZZNS1_29radix_sort_onesweep_iterationIS3_Lb1EPKfPfPS5_SB_mNS0_19identity_decomposerENS1_16block_id_wrapperIjLb1EEEEE10hipError_tT1_PNSt15iterator_traitsISG_E10value_typeET2_T3_PNSH_ISM_E10value_typeET4_T5_PSR_SS_PNS1_23onesweep_lookback_stateEbbT6_jjT7_P12ihipStream_tbENKUlT_T0_SG_SL_E_clISA_SA_SB_SB_EEDaSZ_S10_SG_SL_EUlSZ_E_NS1_11comp_targetILNS1_3genE5ELNS1_11target_archE942ELNS1_3gpuE9ELNS1_3repE0EEENS1_47radix_sort_onesweep_sort_config_static_selectorELNS0_4arch9wavefront6targetE0EEEvSG_.has_dyn_sized_stack, 0
	.set _ZN7rocprim17ROCPRIM_400000_NS6detail17trampoline_kernelINS0_14default_configENS1_35radix_sort_onesweep_config_selectorIfNS0_10empty_typeEEEZZNS1_29radix_sort_onesweep_iterationIS3_Lb1EPKfPfPS5_SB_mNS0_19identity_decomposerENS1_16block_id_wrapperIjLb1EEEEE10hipError_tT1_PNSt15iterator_traitsISG_E10value_typeET2_T3_PNSH_ISM_E10value_typeET4_T5_PSR_SS_PNS1_23onesweep_lookback_stateEbbT6_jjT7_P12ihipStream_tbENKUlT_T0_SG_SL_E_clISA_SA_SB_SB_EEDaSZ_S10_SG_SL_EUlSZ_E_NS1_11comp_targetILNS1_3genE5ELNS1_11target_archE942ELNS1_3gpuE9ELNS1_3repE0EEENS1_47radix_sort_onesweep_sort_config_static_selectorELNS0_4arch9wavefront6targetE0EEEvSG_.has_recursion, 0
	.set _ZN7rocprim17ROCPRIM_400000_NS6detail17trampoline_kernelINS0_14default_configENS1_35radix_sort_onesweep_config_selectorIfNS0_10empty_typeEEEZZNS1_29radix_sort_onesweep_iterationIS3_Lb1EPKfPfPS5_SB_mNS0_19identity_decomposerENS1_16block_id_wrapperIjLb1EEEEE10hipError_tT1_PNSt15iterator_traitsISG_E10value_typeET2_T3_PNSH_ISM_E10value_typeET4_T5_PSR_SS_PNS1_23onesweep_lookback_stateEbbT6_jjT7_P12ihipStream_tbENKUlT_T0_SG_SL_E_clISA_SA_SB_SB_EEDaSZ_S10_SG_SL_EUlSZ_E_NS1_11comp_targetILNS1_3genE5ELNS1_11target_archE942ELNS1_3gpuE9ELNS1_3repE0EEENS1_47radix_sort_onesweep_sort_config_static_selectorELNS0_4arch9wavefront6targetE0EEEvSG_.has_indirect_call, 0
	.section	.AMDGPU.csdata,"",@progbits
; Kernel info:
; codeLenInByte = 0
; TotalNumSgprs: 0
; NumVgprs: 0
; ScratchSize: 0
; MemoryBound: 0
; FloatMode: 240
; IeeeMode: 1
; LDSByteSize: 0 bytes/workgroup (compile time only)
; SGPRBlocks: 0
; VGPRBlocks: 0
; NumSGPRsForWavesPerEU: 1
; NumVGPRsForWavesPerEU: 1
; NamedBarCnt: 0
; Occupancy: 16
; WaveLimiterHint : 0
; COMPUTE_PGM_RSRC2:SCRATCH_EN: 0
; COMPUTE_PGM_RSRC2:USER_SGPR: 2
; COMPUTE_PGM_RSRC2:TRAP_HANDLER: 0
; COMPUTE_PGM_RSRC2:TGID_X_EN: 1
; COMPUTE_PGM_RSRC2:TGID_Y_EN: 0
; COMPUTE_PGM_RSRC2:TGID_Z_EN: 0
; COMPUTE_PGM_RSRC2:TIDIG_COMP_CNT: 0
	.section	.text._ZN7rocprim17ROCPRIM_400000_NS6detail17trampoline_kernelINS0_14default_configENS1_35radix_sort_onesweep_config_selectorIfNS0_10empty_typeEEEZZNS1_29radix_sort_onesweep_iterationIS3_Lb1EPKfPfPS5_SB_mNS0_19identity_decomposerENS1_16block_id_wrapperIjLb1EEEEE10hipError_tT1_PNSt15iterator_traitsISG_E10value_typeET2_T3_PNSH_ISM_E10value_typeET4_T5_PSR_SS_PNS1_23onesweep_lookback_stateEbbT6_jjT7_P12ihipStream_tbENKUlT_T0_SG_SL_E_clISA_SA_SB_SB_EEDaSZ_S10_SG_SL_EUlSZ_E_NS1_11comp_targetILNS1_3genE2ELNS1_11target_archE906ELNS1_3gpuE6ELNS1_3repE0EEENS1_47radix_sort_onesweep_sort_config_static_selectorELNS0_4arch9wavefront6targetE0EEEvSG_,"axG",@progbits,_ZN7rocprim17ROCPRIM_400000_NS6detail17trampoline_kernelINS0_14default_configENS1_35radix_sort_onesweep_config_selectorIfNS0_10empty_typeEEEZZNS1_29radix_sort_onesweep_iterationIS3_Lb1EPKfPfPS5_SB_mNS0_19identity_decomposerENS1_16block_id_wrapperIjLb1EEEEE10hipError_tT1_PNSt15iterator_traitsISG_E10value_typeET2_T3_PNSH_ISM_E10value_typeET4_T5_PSR_SS_PNS1_23onesweep_lookback_stateEbbT6_jjT7_P12ihipStream_tbENKUlT_T0_SG_SL_E_clISA_SA_SB_SB_EEDaSZ_S10_SG_SL_EUlSZ_E_NS1_11comp_targetILNS1_3genE2ELNS1_11target_archE906ELNS1_3gpuE6ELNS1_3repE0EEENS1_47radix_sort_onesweep_sort_config_static_selectorELNS0_4arch9wavefront6targetE0EEEvSG_,comdat
	.protected	_ZN7rocprim17ROCPRIM_400000_NS6detail17trampoline_kernelINS0_14default_configENS1_35radix_sort_onesweep_config_selectorIfNS0_10empty_typeEEEZZNS1_29radix_sort_onesweep_iterationIS3_Lb1EPKfPfPS5_SB_mNS0_19identity_decomposerENS1_16block_id_wrapperIjLb1EEEEE10hipError_tT1_PNSt15iterator_traitsISG_E10value_typeET2_T3_PNSH_ISM_E10value_typeET4_T5_PSR_SS_PNS1_23onesweep_lookback_stateEbbT6_jjT7_P12ihipStream_tbENKUlT_T0_SG_SL_E_clISA_SA_SB_SB_EEDaSZ_S10_SG_SL_EUlSZ_E_NS1_11comp_targetILNS1_3genE2ELNS1_11target_archE906ELNS1_3gpuE6ELNS1_3repE0EEENS1_47radix_sort_onesweep_sort_config_static_selectorELNS0_4arch9wavefront6targetE0EEEvSG_ ; -- Begin function _ZN7rocprim17ROCPRIM_400000_NS6detail17trampoline_kernelINS0_14default_configENS1_35radix_sort_onesweep_config_selectorIfNS0_10empty_typeEEEZZNS1_29radix_sort_onesweep_iterationIS3_Lb1EPKfPfPS5_SB_mNS0_19identity_decomposerENS1_16block_id_wrapperIjLb1EEEEE10hipError_tT1_PNSt15iterator_traitsISG_E10value_typeET2_T3_PNSH_ISM_E10value_typeET4_T5_PSR_SS_PNS1_23onesweep_lookback_stateEbbT6_jjT7_P12ihipStream_tbENKUlT_T0_SG_SL_E_clISA_SA_SB_SB_EEDaSZ_S10_SG_SL_EUlSZ_E_NS1_11comp_targetILNS1_3genE2ELNS1_11target_archE906ELNS1_3gpuE6ELNS1_3repE0EEENS1_47radix_sort_onesweep_sort_config_static_selectorELNS0_4arch9wavefront6targetE0EEEvSG_
	.globl	_ZN7rocprim17ROCPRIM_400000_NS6detail17trampoline_kernelINS0_14default_configENS1_35radix_sort_onesweep_config_selectorIfNS0_10empty_typeEEEZZNS1_29radix_sort_onesweep_iterationIS3_Lb1EPKfPfPS5_SB_mNS0_19identity_decomposerENS1_16block_id_wrapperIjLb1EEEEE10hipError_tT1_PNSt15iterator_traitsISG_E10value_typeET2_T3_PNSH_ISM_E10value_typeET4_T5_PSR_SS_PNS1_23onesweep_lookback_stateEbbT6_jjT7_P12ihipStream_tbENKUlT_T0_SG_SL_E_clISA_SA_SB_SB_EEDaSZ_S10_SG_SL_EUlSZ_E_NS1_11comp_targetILNS1_3genE2ELNS1_11target_archE906ELNS1_3gpuE6ELNS1_3repE0EEENS1_47radix_sort_onesweep_sort_config_static_selectorELNS0_4arch9wavefront6targetE0EEEvSG_
	.p2align	8
	.type	_ZN7rocprim17ROCPRIM_400000_NS6detail17trampoline_kernelINS0_14default_configENS1_35radix_sort_onesweep_config_selectorIfNS0_10empty_typeEEEZZNS1_29radix_sort_onesweep_iterationIS3_Lb1EPKfPfPS5_SB_mNS0_19identity_decomposerENS1_16block_id_wrapperIjLb1EEEEE10hipError_tT1_PNSt15iterator_traitsISG_E10value_typeET2_T3_PNSH_ISM_E10value_typeET4_T5_PSR_SS_PNS1_23onesweep_lookback_stateEbbT6_jjT7_P12ihipStream_tbENKUlT_T0_SG_SL_E_clISA_SA_SB_SB_EEDaSZ_S10_SG_SL_EUlSZ_E_NS1_11comp_targetILNS1_3genE2ELNS1_11target_archE906ELNS1_3gpuE6ELNS1_3repE0EEENS1_47radix_sort_onesweep_sort_config_static_selectorELNS0_4arch9wavefront6targetE0EEEvSG_,@function
_ZN7rocprim17ROCPRIM_400000_NS6detail17trampoline_kernelINS0_14default_configENS1_35radix_sort_onesweep_config_selectorIfNS0_10empty_typeEEEZZNS1_29radix_sort_onesweep_iterationIS3_Lb1EPKfPfPS5_SB_mNS0_19identity_decomposerENS1_16block_id_wrapperIjLb1EEEEE10hipError_tT1_PNSt15iterator_traitsISG_E10value_typeET2_T3_PNSH_ISM_E10value_typeET4_T5_PSR_SS_PNS1_23onesweep_lookback_stateEbbT6_jjT7_P12ihipStream_tbENKUlT_T0_SG_SL_E_clISA_SA_SB_SB_EEDaSZ_S10_SG_SL_EUlSZ_E_NS1_11comp_targetILNS1_3genE2ELNS1_11target_archE906ELNS1_3gpuE6ELNS1_3repE0EEENS1_47radix_sort_onesweep_sort_config_static_selectorELNS0_4arch9wavefront6targetE0EEEvSG_: ; @_ZN7rocprim17ROCPRIM_400000_NS6detail17trampoline_kernelINS0_14default_configENS1_35radix_sort_onesweep_config_selectorIfNS0_10empty_typeEEEZZNS1_29radix_sort_onesweep_iterationIS3_Lb1EPKfPfPS5_SB_mNS0_19identity_decomposerENS1_16block_id_wrapperIjLb1EEEEE10hipError_tT1_PNSt15iterator_traitsISG_E10value_typeET2_T3_PNSH_ISM_E10value_typeET4_T5_PSR_SS_PNS1_23onesweep_lookback_stateEbbT6_jjT7_P12ihipStream_tbENKUlT_T0_SG_SL_E_clISA_SA_SB_SB_EEDaSZ_S10_SG_SL_EUlSZ_E_NS1_11comp_targetILNS1_3genE2ELNS1_11target_archE906ELNS1_3gpuE6ELNS1_3repE0EEENS1_47radix_sort_onesweep_sort_config_static_selectorELNS0_4arch9wavefront6targetE0EEEvSG_
; %bb.0:
	.section	.rodata,"a",@progbits
	.p2align	6, 0x0
	.amdhsa_kernel _ZN7rocprim17ROCPRIM_400000_NS6detail17trampoline_kernelINS0_14default_configENS1_35radix_sort_onesweep_config_selectorIfNS0_10empty_typeEEEZZNS1_29radix_sort_onesweep_iterationIS3_Lb1EPKfPfPS5_SB_mNS0_19identity_decomposerENS1_16block_id_wrapperIjLb1EEEEE10hipError_tT1_PNSt15iterator_traitsISG_E10value_typeET2_T3_PNSH_ISM_E10value_typeET4_T5_PSR_SS_PNS1_23onesweep_lookback_stateEbbT6_jjT7_P12ihipStream_tbENKUlT_T0_SG_SL_E_clISA_SA_SB_SB_EEDaSZ_S10_SG_SL_EUlSZ_E_NS1_11comp_targetILNS1_3genE2ELNS1_11target_archE906ELNS1_3gpuE6ELNS1_3repE0EEENS1_47radix_sort_onesweep_sort_config_static_selectorELNS0_4arch9wavefront6targetE0EEEvSG_
		.amdhsa_group_segment_fixed_size 0
		.amdhsa_private_segment_fixed_size 0
		.amdhsa_kernarg_size 88
		.amdhsa_user_sgpr_count 2
		.amdhsa_user_sgpr_dispatch_ptr 0
		.amdhsa_user_sgpr_queue_ptr 0
		.amdhsa_user_sgpr_kernarg_segment_ptr 1
		.amdhsa_user_sgpr_dispatch_id 0
		.amdhsa_user_sgpr_kernarg_preload_length 0
		.amdhsa_user_sgpr_kernarg_preload_offset 0
		.amdhsa_user_sgpr_private_segment_size 0
		.amdhsa_wavefront_size32 1
		.amdhsa_uses_dynamic_stack 0
		.amdhsa_enable_private_segment 0
		.amdhsa_system_sgpr_workgroup_id_x 1
		.amdhsa_system_sgpr_workgroup_id_y 0
		.amdhsa_system_sgpr_workgroup_id_z 0
		.amdhsa_system_sgpr_workgroup_info 0
		.amdhsa_system_vgpr_workitem_id 0
		.amdhsa_next_free_vgpr 1
		.amdhsa_next_free_sgpr 1
		.amdhsa_named_barrier_count 0
		.amdhsa_reserve_vcc 0
		.amdhsa_float_round_mode_32 0
		.amdhsa_float_round_mode_16_64 0
		.amdhsa_float_denorm_mode_32 3
		.amdhsa_float_denorm_mode_16_64 3
		.amdhsa_fp16_overflow 0
		.amdhsa_memory_ordered 1
		.amdhsa_forward_progress 1
		.amdhsa_inst_pref_size 0
		.amdhsa_round_robin_scheduling 0
		.amdhsa_exception_fp_ieee_invalid_op 0
		.amdhsa_exception_fp_denorm_src 0
		.amdhsa_exception_fp_ieee_div_zero 0
		.amdhsa_exception_fp_ieee_overflow 0
		.amdhsa_exception_fp_ieee_underflow 0
		.amdhsa_exception_fp_ieee_inexact 0
		.amdhsa_exception_int_div_zero 0
	.end_amdhsa_kernel
	.section	.text._ZN7rocprim17ROCPRIM_400000_NS6detail17trampoline_kernelINS0_14default_configENS1_35radix_sort_onesweep_config_selectorIfNS0_10empty_typeEEEZZNS1_29radix_sort_onesweep_iterationIS3_Lb1EPKfPfPS5_SB_mNS0_19identity_decomposerENS1_16block_id_wrapperIjLb1EEEEE10hipError_tT1_PNSt15iterator_traitsISG_E10value_typeET2_T3_PNSH_ISM_E10value_typeET4_T5_PSR_SS_PNS1_23onesweep_lookback_stateEbbT6_jjT7_P12ihipStream_tbENKUlT_T0_SG_SL_E_clISA_SA_SB_SB_EEDaSZ_S10_SG_SL_EUlSZ_E_NS1_11comp_targetILNS1_3genE2ELNS1_11target_archE906ELNS1_3gpuE6ELNS1_3repE0EEENS1_47radix_sort_onesweep_sort_config_static_selectorELNS0_4arch9wavefront6targetE0EEEvSG_,"axG",@progbits,_ZN7rocprim17ROCPRIM_400000_NS6detail17trampoline_kernelINS0_14default_configENS1_35radix_sort_onesweep_config_selectorIfNS0_10empty_typeEEEZZNS1_29radix_sort_onesweep_iterationIS3_Lb1EPKfPfPS5_SB_mNS0_19identity_decomposerENS1_16block_id_wrapperIjLb1EEEEE10hipError_tT1_PNSt15iterator_traitsISG_E10value_typeET2_T3_PNSH_ISM_E10value_typeET4_T5_PSR_SS_PNS1_23onesweep_lookback_stateEbbT6_jjT7_P12ihipStream_tbENKUlT_T0_SG_SL_E_clISA_SA_SB_SB_EEDaSZ_S10_SG_SL_EUlSZ_E_NS1_11comp_targetILNS1_3genE2ELNS1_11target_archE906ELNS1_3gpuE6ELNS1_3repE0EEENS1_47radix_sort_onesweep_sort_config_static_selectorELNS0_4arch9wavefront6targetE0EEEvSG_,comdat
.Lfunc_end1331:
	.size	_ZN7rocprim17ROCPRIM_400000_NS6detail17trampoline_kernelINS0_14default_configENS1_35radix_sort_onesweep_config_selectorIfNS0_10empty_typeEEEZZNS1_29radix_sort_onesweep_iterationIS3_Lb1EPKfPfPS5_SB_mNS0_19identity_decomposerENS1_16block_id_wrapperIjLb1EEEEE10hipError_tT1_PNSt15iterator_traitsISG_E10value_typeET2_T3_PNSH_ISM_E10value_typeET4_T5_PSR_SS_PNS1_23onesweep_lookback_stateEbbT6_jjT7_P12ihipStream_tbENKUlT_T0_SG_SL_E_clISA_SA_SB_SB_EEDaSZ_S10_SG_SL_EUlSZ_E_NS1_11comp_targetILNS1_3genE2ELNS1_11target_archE906ELNS1_3gpuE6ELNS1_3repE0EEENS1_47radix_sort_onesweep_sort_config_static_selectorELNS0_4arch9wavefront6targetE0EEEvSG_, .Lfunc_end1331-_ZN7rocprim17ROCPRIM_400000_NS6detail17trampoline_kernelINS0_14default_configENS1_35radix_sort_onesweep_config_selectorIfNS0_10empty_typeEEEZZNS1_29radix_sort_onesweep_iterationIS3_Lb1EPKfPfPS5_SB_mNS0_19identity_decomposerENS1_16block_id_wrapperIjLb1EEEEE10hipError_tT1_PNSt15iterator_traitsISG_E10value_typeET2_T3_PNSH_ISM_E10value_typeET4_T5_PSR_SS_PNS1_23onesweep_lookback_stateEbbT6_jjT7_P12ihipStream_tbENKUlT_T0_SG_SL_E_clISA_SA_SB_SB_EEDaSZ_S10_SG_SL_EUlSZ_E_NS1_11comp_targetILNS1_3genE2ELNS1_11target_archE906ELNS1_3gpuE6ELNS1_3repE0EEENS1_47radix_sort_onesweep_sort_config_static_selectorELNS0_4arch9wavefront6targetE0EEEvSG_
                                        ; -- End function
	.set _ZN7rocprim17ROCPRIM_400000_NS6detail17trampoline_kernelINS0_14default_configENS1_35radix_sort_onesweep_config_selectorIfNS0_10empty_typeEEEZZNS1_29radix_sort_onesweep_iterationIS3_Lb1EPKfPfPS5_SB_mNS0_19identity_decomposerENS1_16block_id_wrapperIjLb1EEEEE10hipError_tT1_PNSt15iterator_traitsISG_E10value_typeET2_T3_PNSH_ISM_E10value_typeET4_T5_PSR_SS_PNS1_23onesweep_lookback_stateEbbT6_jjT7_P12ihipStream_tbENKUlT_T0_SG_SL_E_clISA_SA_SB_SB_EEDaSZ_S10_SG_SL_EUlSZ_E_NS1_11comp_targetILNS1_3genE2ELNS1_11target_archE906ELNS1_3gpuE6ELNS1_3repE0EEENS1_47radix_sort_onesweep_sort_config_static_selectorELNS0_4arch9wavefront6targetE0EEEvSG_.num_vgpr, 0
	.set _ZN7rocprim17ROCPRIM_400000_NS6detail17trampoline_kernelINS0_14default_configENS1_35radix_sort_onesweep_config_selectorIfNS0_10empty_typeEEEZZNS1_29radix_sort_onesweep_iterationIS3_Lb1EPKfPfPS5_SB_mNS0_19identity_decomposerENS1_16block_id_wrapperIjLb1EEEEE10hipError_tT1_PNSt15iterator_traitsISG_E10value_typeET2_T3_PNSH_ISM_E10value_typeET4_T5_PSR_SS_PNS1_23onesweep_lookback_stateEbbT6_jjT7_P12ihipStream_tbENKUlT_T0_SG_SL_E_clISA_SA_SB_SB_EEDaSZ_S10_SG_SL_EUlSZ_E_NS1_11comp_targetILNS1_3genE2ELNS1_11target_archE906ELNS1_3gpuE6ELNS1_3repE0EEENS1_47radix_sort_onesweep_sort_config_static_selectorELNS0_4arch9wavefront6targetE0EEEvSG_.num_agpr, 0
	.set _ZN7rocprim17ROCPRIM_400000_NS6detail17trampoline_kernelINS0_14default_configENS1_35radix_sort_onesweep_config_selectorIfNS0_10empty_typeEEEZZNS1_29radix_sort_onesweep_iterationIS3_Lb1EPKfPfPS5_SB_mNS0_19identity_decomposerENS1_16block_id_wrapperIjLb1EEEEE10hipError_tT1_PNSt15iterator_traitsISG_E10value_typeET2_T3_PNSH_ISM_E10value_typeET4_T5_PSR_SS_PNS1_23onesweep_lookback_stateEbbT6_jjT7_P12ihipStream_tbENKUlT_T0_SG_SL_E_clISA_SA_SB_SB_EEDaSZ_S10_SG_SL_EUlSZ_E_NS1_11comp_targetILNS1_3genE2ELNS1_11target_archE906ELNS1_3gpuE6ELNS1_3repE0EEENS1_47radix_sort_onesweep_sort_config_static_selectorELNS0_4arch9wavefront6targetE0EEEvSG_.numbered_sgpr, 0
	.set _ZN7rocprim17ROCPRIM_400000_NS6detail17trampoline_kernelINS0_14default_configENS1_35radix_sort_onesweep_config_selectorIfNS0_10empty_typeEEEZZNS1_29radix_sort_onesweep_iterationIS3_Lb1EPKfPfPS5_SB_mNS0_19identity_decomposerENS1_16block_id_wrapperIjLb1EEEEE10hipError_tT1_PNSt15iterator_traitsISG_E10value_typeET2_T3_PNSH_ISM_E10value_typeET4_T5_PSR_SS_PNS1_23onesweep_lookback_stateEbbT6_jjT7_P12ihipStream_tbENKUlT_T0_SG_SL_E_clISA_SA_SB_SB_EEDaSZ_S10_SG_SL_EUlSZ_E_NS1_11comp_targetILNS1_3genE2ELNS1_11target_archE906ELNS1_3gpuE6ELNS1_3repE0EEENS1_47radix_sort_onesweep_sort_config_static_selectorELNS0_4arch9wavefront6targetE0EEEvSG_.num_named_barrier, 0
	.set _ZN7rocprim17ROCPRIM_400000_NS6detail17trampoline_kernelINS0_14default_configENS1_35radix_sort_onesweep_config_selectorIfNS0_10empty_typeEEEZZNS1_29radix_sort_onesweep_iterationIS3_Lb1EPKfPfPS5_SB_mNS0_19identity_decomposerENS1_16block_id_wrapperIjLb1EEEEE10hipError_tT1_PNSt15iterator_traitsISG_E10value_typeET2_T3_PNSH_ISM_E10value_typeET4_T5_PSR_SS_PNS1_23onesweep_lookback_stateEbbT6_jjT7_P12ihipStream_tbENKUlT_T0_SG_SL_E_clISA_SA_SB_SB_EEDaSZ_S10_SG_SL_EUlSZ_E_NS1_11comp_targetILNS1_3genE2ELNS1_11target_archE906ELNS1_3gpuE6ELNS1_3repE0EEENS1_47radix_sort_onesweep_sort_config_static_selectorELNS0_4arch9wavefront6targetE0EEEvSG_.private_seg_size, 0
	.set _ZN7rocprim17ROCPRIM_400000_NS6detail17trampoline_kernelINS0_14default_configENS1_35radix_sort_onesweep_config_selectorIfNS0_10empty_typeEEEZZNS1_29radix_sort_onesweep_iterationIS3_Lb1EPKfPfPS5_SB_mNS0_19identity_decomposerENS1_16block_id_wrapperIjLb1EEEEE10hipError_tT1_PNSt15iterator_traitsISG_E10value_typeET2_T3_PNSH_ISM_E10value_typeET4_T5_PSR_SS_PNS1_23onesweep_lookback_stateEbbT6_jjT7_P12ihipStream_tbENKUlT_T0_SG_SL_E_clISA_SA_SB_SB_EEDaSZ_S10_SG_SL_EUlSZ_E_NS1_11comp_targetILNS1_3genE2ELNS1_11target_archE906ELNS1_3gpuE6ELNS1_3repE0EEENS1_47radix_sort_onesweep_sort_config_static_selectorELNS0_4arch9wavefront6targetE0EEEvSG_.uses_vcc, 0
	.set _ZN7rocprim17ROCPRIM_400000_NS6detail17trampoline_kernelINS0_14default_configENS1_35radix_sort_onesweep_config_selectorIfNS0_10empty_typeEEEZZNS1_29radix_sort_onesweep_iterationIS3_Lb1EPKfPfPS5_SB_mNS0_19identity_decomposerENS1_16block_id_wrapperIjLb1EEEEE10hipError_tT1_PNSt15iterator_traitsISG_E10value_typeET2_T3_PNSH_ISM_E10value_typeET4_T5_PSR_SS_PNS1_23onesweep_lookback_stateEbbT6_jjT7_P12ihipStream_tbENKUlT_T0_SG_SL_E_clISA_SA_SB_SB_EEDaSZ_S10_SG_SL_EUlSZ_E_NS1_11comp_targetILNS1_3genE2ELNS1_11target_archE906ELNS1_3gpuE6ELNS1_3repE0EEENS1_47radix_sort_onesweep_sort_config_static_selectorELNS0_4arch9wavefront6targetE0EEEvSG_.uses_flat_scratch, 0
	.set _ZN7rocprim17ROCPRIM_400000_NS6detail17trampoline_kernelINS0_14default_configENS1_35radix_sort_onesweep_config_selectorIfNS0_10empty_typeEEEZZNS1_29radix_sort_onesweep_iterationIS3_Lb1EPKfPfPS5_SB_mNS0_19identity_decomposerENS1_16block_id_wrapperIjLb1EEEEE10hipError_tT1_PNSt15iterator_traitsISG_E10value_typeET2_T3_PNSH_ISM_E10value_typeET4_T5_PSR_SS_PNS1_23onesweep_lookback_stateEbbT6_jjT7_P12ihipStream_tbENKUlT_T0_SG_SL_E_clISA_SA_SB_SB_EEDaSZ_S10_SG_SL_EUlSZ_E_NS1_11comp_targetILNS1_3genE2ELNS1_11target_archE906ELNS1_3gpuE6ELNS1_3repE0EEENS1_47radix_sort_onesweep_sort_config_static_selectorELNS0_4arch9wavefront6targetE0EEEvSG_.has_dyn_sized_stack, 0
	.set _ZN7rocprim17ROCPRIM_400000_NS6detail17trampoline_kernelINS0_14default_configENS1_35radix_sort_onesweep_config_selectorIfNS0_10empty_typeEEEZZNS1_29radix_sort_onesweep_iterationIS3_Lb1EPKfPfPS5_SB_mNS0_19identity_decomposerENS1_16block_id_wrapperIjLb1EEEEE10hipError_tT1_PNSt15iterator_traitsISG_E10value_typeET2_T3_PNSH_ISM_E10value_typeET4_T5_PSR_SS_PNS1_23onesweep_lookback_stateEbbT6_jjT7_P12ihipStream_tbENKUlT_T0_SG_SL_E_clISA_SA_SB_SB_EEDaSZ_S10_SG_SL_EUlSZ_E_NS1_11comp_targetILNS1_3genE2ELNS1_11target_archE906ELNS1_3gpuE6ELNS1_3repE0EEENS1_47radix_sort_onesweep_sort_config_static_selectorELNS0_4arch9wavefront6targetE0EEEvSG_.has_recursion, 0
	.set _ZN7rocprim17ROCPRIM_400000_NS6detail17trampoline_kernelINS0_14default_configENS1_35radix_sort_onesweep_config_selectorIfNS0_10empty_typeEEEZZNS1_29radix_sort_onesweep_iterationIS3_Lb1EPKfPfPS5_SB_mNS0_19identity_decomposerENS1_16block_id_wrapperIjLb1EEEEE10hipError_tT1_PNSt15iterator_traitsISG_E10value_typeET2_T3_PNSH_ISM_E10value_typeET4_T5_PSR_SS_PNS1_23onesweep_lookback_stateEbbT6_jjT7_P12ihipStream_tbENKUlT_T0_SG_SL_E_clISA_SA_SB_SB_EEDaSZ_S10_SG_SL_EUlSZ_E_NS1_11comp_targetILNS1_3genE2ELNS1_11target_archE906ELNS1_3gpuE6ELNS1_3repE0EEENS1_47radix_sort_onesweep_sort_config_static_selectorELNS0_4arch9wavefront6targetE0EEEvSG_.has_indirect_call, 0
	.section	.AMDGPU.csdata,"",@progbits
; Kernel info:
; codeLenInByte = 0
; TotalNumSgprs: 0
; NumVgprs: 0
; ScratchSize: 0
; MemoryBound: 0
; FloatMode: 240
; IeeeMode: 1
; LDSByteSize: 0 bytes/workgroup (compile time only)
; SGPRBlocks: 0
; VGPRBlocks: 0
; NumSGPRsForWavesPerEU: 1
; NumVGPRsForWavesPerEU: 1
; NamedBarCnt: 0
; Occupancy: 16
; WaveLimiterHint : 0
; COMPUTE_PGM_RSRC2:SCRATCH_EN: 0
; COMPUTE_PGM_RSRC2:USER_SGPR: 2
; COMPUTE_PGM_RSRC2:TRAP_HANDLER: 0
; COMPUTE_PGM_RSRC2:TGID_X_EN: 1
; COMPUTE_PGM_RSRC2:TGID_Y_EN: 0
; COMPUTE_PGM_RSRC2:TGID_Z_EN: 0
; COMPUTE_PGM_RSRC2:TIDIG_COMP_CNT: 0
	.section	.text._ZN7rocprim17ROCPRIM_400000_NS6detail17trampoline_kernelINS0_14default_configENS1_35radix_sort_onesweep_config_selectorIfNS0_10empty_typeEEEZZNS1_29radix_sort_onesweep_iterationIS3_Lb1EPKfPfPS5_SB_mNS0_19identity_decomposerENS1_16block_id_wrapperIjLb1EEEEE10hipError_tT1_PNSt15iterator_traitsISG_E10value_typeET2_T3_PNSH_ISM_E10value_typeET4_T5_PSR_SS_PNS1_23onesweep_lookback_stateEbbT6_jjT7_P12ihipStream_tbENKUlT_T0_SG_SL_E_clISA_SA_SB_SB_EEDaSZ_S10_SG_SL_EUlSZ_E_NS1_11comp_targetILNS1_3genE4ELNS1_11target_archE910ELNS1_3gpuE8ELNS1_3repE0EEENS1_47radix_sort_onesweep_sort_config_static_selectorELNS0_4arch9wavefront6targetE0EEEvSG_,"axG",@progbits,_ZN7rocprim17ROCPRIM_400000_NS6detail17trampoline_kernelINS0_14default_configENS1_35radix_sort_onesweep_config_selectorIfNS0_10empty_typeEEEZZNS1_29radix_sort_onesweep_iterationIS3_Lb1EPKfPfPS5_SB_mNS0_19identity_decomposerENS1_16block_id_wrapperIjLb1EEEEE10hipError_tT1_PNSt15iterator_traitsISG_E10value_typeET2_T3_PNSH_ISM_E10value_typeET4_T5_PSR_SS_PNS1_23onesweep_lookback_stateEbbT6_jjT7_P12ihipStream_tbENKUlT_T0_SG_SL_E_clISA_SA_SB_SB_EEDaSZ_S10_SG_SL_EUlSZ_E_NS1_11comp_targetILNS1_3genE4ELNS1_11target_archE910ELNS1_3gpuE8ELNS1_3repE0EEENS1_47radix_sort_onesweep_sort_config_static_selectorELNS0_4arch9wavefront6targetE0EEEvSG_,comdat
	.protected	_ZN7rocprim17ROCPRIM_400000_NS6detail17trampoline_kernelINS0_14default_configENS1_35radix_sort_onesweep_config_selectorIfNS0_10empty_typeEEEZZNS1_29radix_sort_onesweep_iterationIS3_Lb1EPKfPfPS5_SB_mNS0_19identity_decomposerENS1_16block_id_wrapperIjLb1EEEEE10hipError_tT1_PNSt15iterator_traitsISG_E10value_typeET2_T3_PNSH_ISM_E10value_typeET4_T5_PSR_SS_PNS1_23onesweep_lookback_stateEbbT6_jjT7_P12ihipStream_tbENKUlT_T0_SG_SL_E_clISA_SA_SB_SB_EEDaSZ_S10_SG_SL_EUlSZ_E_NS1_11comp_targetILNS1_3genE4ELNS1_11target_archE910ELNS1_3gpuE8ELNS1_3repE0EEENS1_47radix_sort_onesweep_sort_config_static_selectorELNS0_4arch9wavefront6targetE0EEEvSG_ ; -- Begin function _ZN7rocprim17ROCPRIM_400000_NS6detail17trampoline_kernelINS0_14default_configENS1_35radix_sort_onesweep_config_selectorIfNS0_10empty_typeEEEZZNS1_29radix_sort_onesweep_iterationIS3_Lb1EPKfPfPS5_SB_mNS0_19identity_decomposerENS1_16block_id_wrapperIjLb1EEEEE10hipError_tT1_PNSt15iterator_traitsISG_E10value_typeET2_T3_PNSH_ISM_E10value_typeET4_T5_PSR_SS_PNS1_23onesweep_lookback_stateEbbT6_jjT7_P12ihipStream_tbENKUlT_T0_SG_SL_E_clISA_SA_SB_SB_EEDaSZ_S10_SG_SL_EUlSZ_E_NS1_11comp_targetILNS1_3genE4ELNS1_11target_archE910ELNS1_3gpuE8ELNS1_3repE0EEENS1_47radix_sort_onesweep_sort_config_static_selectorELNS0_4arch9wavefront6targetE0EEEvSG_
	.globl	_ZN7rocprim17ROCPRIM_400000_NS6detail17trampoline_kernelINS0_14default_configENS1_35radix_sort_onesweep_config_selectorIfNS0_10empty_typeEEEZZNS1_29radix_sort_onesweep_iterationIS3_Lb1EPKfPfPS5_SB_mNS0_19identity_decomposerENS1_16block_id_wrapperIjLb1EEEEE10hipError_tT1_PNSt15iterator_traitsISG_E10value_typeET2_T3_PNSH_ISM_E10value_typeET4_T5_PSR_SS_PNS1_23onesweep_lookback_stateEbbT6_jjT7_P12ihipStream_tbENKUlT_T0_SG_SL_E_clISA_SA_SB_SB_EEDaSZ_S10_SG_SL_EUlSZ_E_NS1_11comp_targetILNS1_3genE4ELNS1_11target_archE910ELNS1_3gpuE8ELNS1_3repE0EEENS1_47radix_sort_onesweep_sort_config_static_selectorELNS0_4arch9wavefront6targetE0EEEvSG_
	.p2align	8
	.type	_ZN7rocprim17ROCPRIM_400000_NS6detail17trampoline_kernelINS0_14default_configENS1_35radix_sort_onesweep_config_selectorIfNS0_10empty_typeEEEZZNS1_29radix_sort_onesweep_iterationIS3_Lb1EPKfPfPS5_SB_mNS0_19identity_decomposerENS1_16block_id_wrapperIjLb1EEEEE10hipError_tT1_PNSt15iterator_traitsISG_E10value_typeET2_T3_PNSH_ISM_E10value_typeET4_T5_PSR_SS_PNS1_23onesweep_lookback_stateEbbT6_jjT7_P12ihipStream_tbENKUlT_T0_SG_SL_E_clISA_SA_SB_SB_EEDaSZ_S10_SG_SL_EUlSZ_E_NS1_11comp_targetILNS1_3genE4ELNS1_11target_archE910ELNS1_3gpuE8ELNS1_3repE0EEENS1_47radix_sort_onesweep_sort_config_static_selectorELNS0_4arch9wavefront6targetE0EEEvSG_,@function
_ZN7rocprim17ROCPRIM_400000_NS6detail17trampoline_kernelINS0_14default_configENS1_35radix_sort_onesweep_config_selectorIfNS0_10empty_typeEEEZZNS1_29radix_sort_onesweep_iterationIS3_Lb1EPKfPfPS5_SB_mNS0_19identity_decomposerENS1_16block_id_wrapperIjLb1EEEEE10hipError_tT1_PNSt15iterator_traitsISG_E10value_typeET2_T3_PNSH_ISM_E10value_typeET4_T5_PSR_SS_PNS1_23onesweep_lookback_stateEbbT6_jjT7_P12ihipStream_tbENKUlT_T0_SG_SL_E_clISA_SA_SB_SB_EEDaSZ_S10_SG_SL_EUlSZ_E_NS1_11comp_targetILNS1_3genE4ELNS1_11target_archE910ELNS1_3gpuE8ELNS1_3repE0EEENS1_47radix_sort_onesweep_sort_config_static_selectorELNS0_4arch9wavefront6targetE0EEEvSG_: ; @_ZN7rocprim17ROCPRIM_400000_NS6detail17trampoline_kernelINS0_14default_configENS1_35radix_sort_onesweep_config_selectorIfNS0_10empty_typeEEEZZNS1_29radix_sort_onesweep_iterationIS3_Lb1EPKfPfPS5_SB_mNS0_19identity_decomposerENS1_16block_id_wrapperIjLb1EEEEE10hipError_tT1_PNSt15iterator_traitsISG_E10value_typeET2_T3_PNSH_ISM_E10value_typeET4_T5_PSR_SS_PNS1_23onesweep_lookback_stateEbbT6_jjT7_P12ihipStream_tbENKUlT_T0_SG_SL_E_clISA_SA_SB_SB_EEDaSZ_S10_SG_SL_EUlSZ_E_NS1_11comp_targetILNS1_3genE4ELNS1_11target_archE910ELNS1_3gpuE8ELNS1_3repE0EEENS1_47radix_sort_onesweep_sort_config_static_selectorELNS0_4arch9wavefront6targetE0EEEvSG_
; %bb.0:
	.section	.rodata,"a",@progbits
	.p2align	6, 0x0
	.amdhsa_kernel _ZN7rocprim17ROCPRIM_400000_NS6detail17trampoline_kernelINS0_14default_configENS1_35radix_sort_onesweep_config_selectorIfNS0_10empty_typeEEEZZNS1_29radix_sort_onesweep_iterationIS3_Lb1EPKfPfPS5_SB_mNS0_19identity_decomposerENS1_16block_id_wrapperIjLb1EEEEE10hipError_tT1_PNSt15iterator_traitsISG_E10value_typeET2_T3_PNSH_ISM_E10value_typeET4_T5_PSR_SS_PNS1_23onesweep_lookback_stateEbbT6_jjT7_P12ihipStream_tbENKUlT_T0_SG_SL_E_clISA_SA_SB_SB_EEDaSZ_S10_SG_SL_EUlSZ_E_NS1_11comp_targetILNS1_3genE4ELNS1_11target_archE910ELNS1_3gpuE8ELNS1_3repE0EEENS1_47radix_sort_onesweep_sort_config_static_selectorELNS0_4arch9wavefront6targetE0EEEvSG_
		.amdhsa_group_segment_fixed_size 0
		.amdhsa_private_segment_fixed_size 0
		.amdhsa_kernarg_size 88
		.amdhsa_user_sgpr_count 2
		.amdhsa_user_sgpr_dispatch_ptr 0
		.amdhsa_user_sgpr_queue_ptr 0
		.amdhsa_user_sgpr_kernarg_segment_ptr 1
		.amdhsa_user_sgpr_dispatch_id 0
		.amdhsa_user_sgpr_kernarg_preload_length 0
		.amdhsa_user_sgpr_kernarg_preload_offset 0
		.amdhsa_user_sgpr_private_segment_size 0
		.amdhsa_wavefront_size32 1
		.amdhsa_uses_dynamic_stack 0
		.amdhsa_enable_private_segment 0
		.amdhsa_system_sgpr_workgroup_id_x 1
		.amdhsa_system_sgpr_workgroup_id_y 0
		.amdhsa_system_sgpr_workgroup_id_z 0
		.amdhsa_system_sgpr_workgroup_info 0
		.amdhsa_system_vgpr_workitem_id 0
		.amdhsa_next_free_vgpr 1
		.amdhsa_next_free_sgpr 1
		.amdhsa_named_barrier_count 0
		.amdhsa_reserve_vcc 0
		.amdhsa_float_round_mode_32 0
		.amdhsa_float_round_mode_16_64 0
		.amdhsa_float_denorm_mode_32 3
		.amdhsa_float_denorm_mode_16_64 3
		.amdhsa_fp16_overflow 0
		.amdhsa_memory_ordered 1
		.amdhsa_forward_progress 1
		.amdhsa_inst_pref_size 0
		.amdhsa_round_robin_scheduling 0
		.amdhsa_exception_fp_ieee_invalid_op 0
		.amdhsa_exception_fp_denorm_src 0
		.amdhsa_exception_fp_ieee_div_zero 0
		.amdhsa_exception_fp_ieee_overflow 0
		.amdhsa_exception_fp_ieee_underflow 0
		.amdhsa_exception_fp_ieee_inexact 0
		.amdhsa_exception_int_div_zero 0
	.end_amdhsa_kernel
	.section	.text._ZN7rocprim17ROCPRIM_400000_NS6detail17trampoline_kernelINS0_14default_configENS1_35radix_sort_onesweep_config_selectorIfNS0_10empty_typeEEEZZNS1_29radix_sort_onesweep_iterationIS3_Lb1EPKfPfPS5_SB_mNS0_19identity_decomposerENS1_16block_id_wrapperIjLb1EEEEE10hipError_tT1_PNSt15iterator_traitsISG_E10value_typeET2_T3_PNSH_ISM_E10value_typeET4_T5_PSR_SS_PNS1_23onesweep_lookback_stateEbbT6_jjT7_P12ihipStream_tbENKUlT_T0_SG_SL_E_clISA_SA_SB_SB_EEDaSZ_S10_SG_SL_EUlSZ_E_NS1_11comp_targetILNS1_3genE4ELNS1_11target_archE910ELNS1_3gpuE8ELNS1_3repE0EEENS1_47radix_sort_onesweep_sort_config_static_selectorELNS0_4arch9wavefront6targetE0EEEvSG_,"axG",@progbits,_ZN7rocprim17ROCPRIM_400000_NS6detail17trampoline_kernelINS0_14default_configENS1_35radix_sort_onesweep_config_selectorIfNS0_10empty_typeEEEZZNS1_29radix_sort_onesweep_iterationIS3_Lb1EPKfPfPS5_SB_mNS0_19identity_decomposerENS1_16block_id_wrapperIjLb1EEEEE10hipError_tT1_PNSt15iterator_traitsISG_E10value_typeET2_T3_PNSH_ISM_E10value_typeET4_T5_PSR_SS_PNS1_23onesweep_lookback_stateEbbT6_jjT7_P12ihipStream_tbENKUlT_T0_SG_SL_E_clISA_SA_SB_SB_EEDaSZ_S10_SG_SL_EUlSZ_E_NS1_11comp_targetILNS1_3genE4ELNS1_11target_archE910ELNS1_3gpuE8ELNS1_3repE0EEENS1_47radix_sort_onesweep_sort_config_static_selectorELNS0_4arch9wavefront6targetE0EEEvSG_,comdat
.Lfunc_end1332:
	.size	_ZN7rocprim17ROCPRIM_400000_NS6detail17trampoline_kernelINS0_14default_configENS1_35radix_sort_onesweep_config_selectorIfNS0_10empty_typeEEEZZNS1_29radix_sort_onesweep_iterationIS3_Lb1EPKfPfPS5_SB_mNS0_19identity_decomposerENS1_16block_id_wrapperIjLb1EEEEE10hipError_tT1_PNSt15iterator_traitsISG_E10value_typeET2_T3_PNSH_ISM_E10value_typeET4_T5_PSR_SS_PNS1_23onesweep_lookback_stateEbbT6_jjT7_P12ihipStream_tbENKUlT_T0_SG_SL_E_clISA_SA_SB_SB_EEDaSZ_S10_SG_SL_EUlSZ_E_NS1_11comp_targetILNS1_3genE4ELNS1_11target_archE910ELNS1_3gpuE8ELNS1_3repE0EEENS1_47radix_sort_onesweep_sort_config_static_selectorELNS0_4arch9wavefront6targetE0EEEvSG_, .Lfunc_end1332-_ZN7rocprim17ROCPRIM_400000_NS6detail17trampoline_kernelINS0_14default_configENS1_35radix_sort_onesweep_config_selectorIfNS0_10empty_typeEEEZZNS1_29radix_sort_onesweep_iterationIS3_Lb1EPKfPfPS5_SB_mNS0_19identity_decomposerENS1_16block_id_wrapperIjLb1EEEEE10hipError_tT1_PNSt15iterator_traitsISG_E10value_typeET2_T3_PNSH_ISM_E10value_typeET4_T5_PSR_SS_PNS1_23onesweep_lookback_stateEbbT6_jjT7_P12ihipStream_tbENKUlT_T0_SG_SL_E_clISA_SA_SB_SB_EEDaSZ_S10_SG_SL_EUlSZ_E_NS1_11comp_targetILNS1_3genE4ELNS1_11target_archE910ELNS1_3gpuE8ELNS1_3repE0EEENS1_47radix_sort_onesweep_sort_config_static_selectorELNS0_4arch9wavefront6targetE0EEEvSG_
                                        ; -- End function
	.set _ZN7rocprim17ROCPRIM_400000_NS6detail17trampoline_kernelINS0_14default_configENS1_35radix_sort_onesweep_config_selectorIfNS0_10empty_typeEEEZZNS1_29radix_sort_onesweep_iterationIS3_Lb1EPKfPfPS5_SB_mNS0_19identity_decomposerENS1_16block_id_wrapperIjLb1EEEEE10hipError_tT1_PNSt15iterator_traitsISG_E10value_typeET2_T3_PNSH_ISM_E10value_typeET4_T5_PSR_SS_PNS1_23onesweep_lookback_stateEbbT6_jjT7_P12ihipStream_tbENKUlT_T0_SG_SL_E_clISA_SA_SB_SB_EEDaSZ_S10_SG_SL_EUlSZ_E_NS1_11comp_targetILNS1_3genE4ELNS1_11target_archE910ELNS1_3gpuE8ELNS1_3repE0EEENS1_47radix_sort_onesweep_sort_config_static_selectorELNS0_4arch9wavefront6targetE0EEEvSG_.num_vgpr, 0
	.set _ZN7rocprim17ROCPRIM_400000_NS6detail17trampoline_kernelINS0_14default_configENS1_35radix_sort_onesweep_config_selectorIfNS0_10empty_typeEEEZZNS1_29radix_sort_onesweep_iterationIS3_Lb1EPKfPfPS5_SB_mNS0_19identity_decomposerENS1_16block_id_wrapperIjLb1EEEEE10hipError_tT1_PNSt15iterator_traitsISG_E10value_typeET2_T3_PNSH_ISM_E10value_typeET4_T5_PSR_SS_PNS1_23onesweep_lookback_stateEbbT6_jjT7_P12ihipStream_tbENKUlT_T0_SG_SL_E_clISA_SA_SB_SB_EEDaSZ_S10_SG_SL_EUlSZ_E_NS1_11comp_targetILNS1_3genE4ELNS1_11target_archE910ELNS1_3gpuE8ELNS1_3repE0EEENS1_47radix_sort_onesweep_sort_config_static_selectorELNS0_4arch9wavefront6targetE0EEEvSG_.num_agpr, 0
	.set _ZN7rocprim17ROCPRIM_400000_NS6detail17trampoline_kernelINS0_14default_configENS1_35radix_sort_onesweep_config_selectorIfNS0_10empty_typeEEEZZNS1_29radix_sort_onesweep_iterationIS3_Lb1EPKfPfPS5_SB_mNS0_19identity_decomposerENS1_16block_id_wrapperIjLb1EEEEE10hipError_tT1_PNSt15iterator_traitsISG_E10value_typeET2_T3_PNSH_ISM_E10value_typeET4_T5_PSR_SS_PNS1_23onesweep_lookback_stateEbbT6_jjT7_P12ihipStream_tbENKUlT_T0_SG_SL_E_clISA_SA_SB_SB_EEDaSZ_S10_SG_SL_EUlSZ_E_NS1_11comp_targetILNS1_3genE4ELNS1_11target_archE910ELNS1_3gpuE8ELNS1_3repE0EEENS1_47radix_sort_onesweep_sort_config_static_selectorELNS0_4arch9wavefront6targetE0EEEvSG_.numbered_sgpr, 0
	.set _ZN7rocprim17ROCPRIM_400000_NS6detail17trampoline_kernelINS0_14default_configENS1_35radix_sort_onesweep_config_selectorIfNS0_10empty_typeEEEZZNS1_29radix_sort_onesweep_iterationIS3_Lb1EPKfPfPS5_SB_mNS0_19identity_decomposerENS1_16block_id_wrapperIjLb1EEEEE10hipError_tT1_PNSt15iterator_traitsISG_E10value_typeET2_T3_PNSH_ISM_E10value_typeET4_T5_PSR_SS_PNS1_23onesweep_lookback_stateEbbT6_jjT7_P12ihipStream_tbENKUlT_T0_SG_SL_E_clISA_SA_SB_SB_EEDaSZ_S10_SG_SL_EUlSZ_E_NS1_11comp_targetILNS1_3genE4ELNS1_11target_archE910ELNS1_3gpuE8ELNS1_3repE0EEENS1_47radix_sort_onesweep_sort_config_static_selectorELNS0_4arch9wavefront6targetE0EEEvSG_.num_named_barrier, 0
	.set _ZN7rocprim17ROCPRIM_400000_NS6detail17trampoline_kernelINS0_14default_configENS1_35radix_sort_onesweep_config_selectorIfNS0_10empty_typeEEEZZNS1_29radix_sort_onesweep_iterationIS3_Lb1EPKfPfPS5_SB_mNS0_19identity_decomposerENS1_16block_id_wrapperIjLb1EEEEE10hipError_tT1_PNSt15iterator_traitsISG_E10value_typeET2_T3_PNSH_ISM_E10value_typeET4_T5_PSR_SS_PNS1_23onesweep_lookback_stateEbbT6_jjT7_P12ihipStream_tbENKUlT_T0_SG_SL_E_clISA_SA_SB_SB_EEDaSZ_S10_SG_SL_EUlSZ_E_NS1_11comp_targetILNS1_3genE4ELNS1_11target_archE910ELNS1_3gpuE8ELNS1_3repE0EEENS1_47radix_sort_onesweep_sort_config_static_selectorELNS0_4arch9wavefront6targetE0EEEvSG_.private_seg_size, 0
	.set _ZN7rocprim17ROCPRIM_400000_NS6detail17trampoline_kernelINS0_14default_configENS1_35radix_sort_onesweep_config_selectorIfNS0_10empty_typeEEEZZNS1_29radix_sort_onesweep_iterationIS3_Lb1EPKfPfPS5_SB_mNS0_19identity_decomposerENS1_16block_id_wrapperIjLb1EEEEE10hipError_tT1_PNSt15iterator_traitsISG_E10value_typeET2_T3_PNSH_ISM_E10value_typeET4_T5_PSR_SS_PNS1_23onesweep_lookback_stateEbbT6_jjT7_P12ihipStream_tbENKUlT_T0_SG_SL_E_clISA_SA_SB_SB_EEDaSZ_S10_SG_SL_EUlSZ_E_NS1_11comp_targetILNS1_3genE4ELNS1_11target_archE910ELNS1_3gpuE8ELNS1_3repE0EEENS1_47radix_sort_onesweep_sort_config_static_selectorELNS0_4arch9wavefront6targetE0EEEvSG_.uses_vcc, 0
	.set _ZN7rocprim17ROCPRIM_400000_NS6detail17trampoline_kernelINS0_14default_configENS1_35radix_sort_onesweep_config_selectorIfNS0_10empty_typeEEEZZNS1_29radix_sort_onesweep_iterationIS3_Lb1EPKfPfPS5_SB_mNS0_19identity_decomposerENS1_16block_id_wrapperIjLb1EEEEE10hipError_tT1_PNSt15iterator_traitsISG_E10value_typeET2_T3_PNSH_ISM_E10value_typeET4_T5_PSR_SS_PNS1_23onesweep_lookback_stateEbbT6_jjT7_P12ihipStream_tbENKUlT_T0_SG_SL_E_clISA_SA_SB_SB_EEDaSZ_S10_SG_SL_EUlSZ_E_NS1_11comp_targetILNS1_3genE4ELNS1_11target_archE910ELNS1_3gpuE8ELNS1_3repE0EEENS1_47radix_sort_onesweep_sort_config_static_selectorELNS0_4arch9wavefront6targetE0EEEvSG_.uses_flat_scratch, 0
	.set _ZN7rocprim17ROCPRIM_400000_NS6detail17trampoline_kernelINS0_14default_configENS1_35radix_sort_onesweep_config_selectorIfNS0_10empty_typeEEEZZNS1_29radix_sort_onesweep_iterationIS3_Lb1EPKfPfPS5_SB_mNS0_19identity_decomposerENS1_16block_id_wrapperIjLb1EEEEE10hipError_tT1_PNSt15iterator_traitsISG_E10value_typeET2_T3_PNSH_ISM_E10value_typeET4_T5_PSR_SS_PNS1_23onesweep_lookback_stateEbbT6_jjT7_P12ihipStream_tbENKUlT_T0_SG_SL_E_clISA_SA_SB_SB_EEDaSZ_S10_SG_SL_EUlSZ_E_NS1_11comp_targetILNS1_3genE4ELNS1_11target_archE910ELNS1_3gpuE8ELNS1_3repE0EEENS1_47radix_sort_onesweep_sort_config_static_selectorELNS0_4arch9wavefront6targetE0EEEvSG_.has_dyn_sized_stack, 0
	.set _ZN7rocprim17ROCPRIM_400000_NS6detail17trampoline_kernelINS0_14default_configENS1_35radix_sort_onesweep_config_selectorIfNS0_10empty_typeEEEZZNS1_29radix_sort_onesweep_iterationIS3_Lb1EPKfPfPS5_SB_mNS0_19identity_decomposerENS1_16block_id_wrapperIjLb1EEEEE10hipError_tT1_PNSt15iterator_traitsISG_E10value_typeET2_T3_PNSH_ISM_E10value_typeET4_T5_PSR_SS_PNS1_23onesweep_lookback_stateEbbT6_jjT7_P12ihipStream_tbENKUlT_T0_SG_SL_E_clISA_SA_SB_SB_EEDaSZ_S10_SG_SL_EUlSZ_E_NS1_11comp_targetILNS1_3genE4ELNS1_11target_archE910ELNS1_3gpuE8ELNS1_3repE0EEENS1_47radix_sort_onesweep_sort_config_static_selectorELNS0_4arch9wavefront6targetE0EEEvSG_.has_recursion, 0
	.set _ZN7rocprim17ROCPRIM_400000_NS6detail17trampoline_kernelINS0_14default_configENS1_35radix_sort_onesweep_config_selectorIfNS0_10empty_typeEEEZZNS1_29radix_sort_onesweep_iterationIS3_Lb1EPKfPfPS5_SB_mNS0_19identity_decomposerENS1_16block_id_wrapperIjLb1EEEEE10hipError_tT1_PNSt15iterator_traitsISG_E10value_typeET2_T3_PNSH_ISM_E10value_typeET4_T5_PSR_SS_PNS1_23onesweep_lookback_stateEbbT6_jjT7_P12ihipStream_tbENKUlT_T0_SG_SL_E_clISA_SA_SB_SB_EEDaSZ_S10_SG_SL_EUlSZ_E_NS1_11comp_targetILNS1_3genE4ELNS1_11target_archE910ELNS1_3gpuE8ELNS1_3repE0EEENS1_47radix_sort_onesweep_sort_config_static_selectorELNS0_4arch9wavefront6targetE0EEEvSG_.has_indirect_call, 0
	.section	.AMDGPU.csdata,"",@progbits
; Kernel info:
; codeLenInByte = 0
; TotalNumSgprs: 0
; NumVgprs: 0
; ScratchSize: 0
; MemoryBound: 0
; FloatMode: 240
; IeeeMode: 1
; LDSByteSize: 0 bytes/workgroup (compile time only)
; SGPRBlocks: 0
; VGPRBlocks: 0
; NumSGPRsForWavesPerEU: 1
; NumVGPRsForWavesPerEU: 1
; NamedBarCnt: 0
; Occupancy: 16
; WaveLimiterHint : 0
; COMPUTE_PGM_RSRC2:SCRATCH_EN: 0
; COMPUTE_PGM_RSRC2:USER_SGPR: 2
; COMPUTE_PGM_RSRC2:TRAP_HANDLER: 0
; COMPUTE_PGM_RSRC2:TGID_X_EN: 1
; COMPUTE_PGM_RSRC2:TGID_Y_EN: 0
; COMPUTE_PGM_RSRC2:TGID_Z_EN: 0
; COMPUTE_PGM_RSRC2:TIDIG_COMP_CNT: 0
	.section	.text._ZN7rocprim17ROCPRIM_400000_NS6detail17trampoline_kernelINS0_14default_configENS1_35radix_sort_onesweep_config_selectorIfNS0_10empty_typeEEEZZNS1_29radix_sort_onesweep_iterationIS3_Lb1EPKfPfPS5_SB_mNS0_19identity_decomposerENS1_16block_id_wrapperIjLb1EEEEE10hipError_tT1_PNSt15iterator_traitsISG_E10value_typeET2_T3_PNSH_ISM_E10value_typeET4_T5_PSR_SS_PNS1_23onesweep_lookback_stateEbbT6_jjT7_P12ihipStream_tbENKUlT_T0_SG_SL_E_clISA_SA_SB_SB_EEDaSZ_S10_SG_SL_EUlSZ_E_NS1_11comp_targetILNS1_3genE3ELNS1_11target_archE908ELNS1_3gpuE7ELNS1_3repE0EEENS1_47radix_sort_onesweep_sort_config_static_selectorELNS0_4arch9wavefront6targetE0EEEvSG_,"axG",@progbits,_ZN7rocprim17ROCPRIM_400000_NS6detail17trampoline_kernelINS0_14default_configENS1_35radix_sort_onesweep_config_selectorIfNS0_10empty_typeEEEZZNS1_29radix_sort_onesweep_iterationIS3_Lb1EPKfPfPS5_SB_mNS0_19identity_decomposerENS1_16block_id_wrapperIjLb1EEEEE10hipError_tT1_PNSt15iterator_traitsISG_E10value_typeET2_T3_PNSH_ISM_E10value_typeET4_T5_PSR_SS_PNS1_23onesweep_lookback_stateEbbT6_jjT7_P12ihipStream_tbENKUlT_T0_SG_SL_E_clISA_SA_SB_SB_EEDaSZ_S10_SG_SL_EUlSZ_E_NS1_11comp_targetILNS1_3genE3ELNS1_11target_archE908ELNS1_3gpuE7ELNS1_3repE0EEENS1_47radix_sort_onesweep_sort_config_static_selectorELNS0_4arch9wavefront6targetE0EEEvSG_,comdat
	.protected	_ZN7rocprim17ROCPRIM_400000_NS6detail17trampoline_kernelINS0_14default_configENS1_35radix_sort_onesweep_config_selectorIfNS0_10empty_typeEEEZZNS1_29radix_sort_onesweep_iterationIS3_Lb1EPKfPfPS5_SB_mNS0_19identity_decomposerENS1_16block_id_wrapperIjLb1EEEEE10hipError_tT1_PNSt15iterator_traitsISG_E10value_typeET2_T3_PNSH_ISM_E10value_typeET4_T5_PSR_SS_PNS1_23onesweep_lookback_stateEbbT6_jjT7_P12ihipStream_tbENKUlT_T0_SG_SL_E_clISA_SA_SB_SB_EEDaSZ_S10_SG_SL_EUlSZ_E_NS1_11comp_targetILNS1_3genE3ELNS1_11target_archE908ELNS1_3gpuE7ELNS1_3repE0EEENS1_47radix_sort_onesweep_sort_config_static_selectorELNS0_4arch9wavefront6targetE0EEEvSG_ ; -- Begin function _ZN7rocprim17ROCPRIM_400000_NS6detail17trampoline_kernelINS0_14default_configENS1_35radix_sort_onesweep_config_selectorIfNS0_10empty_typeEEEZZNS1_29radix_sort_onesweep_iterationIS3_Lb1EPKfPfPS5_SB_mNS0_19identity_decomposerENS1_16block_id_wrapperIjLb1EEEEE10hipError_tT1_PNSt15iterator_traitsISG_E10value_typeET2_T3_PNSH_ISM_E10value_typeET4_T5_PSR_SS_PNS1_23onesweep_lookback_stateEbbT6_jjT7_P12ihipStream_tbENKUlT_T0_SG_SL_E_clISA_SA_SB_SB_EEDaSZ_S10_SG_SL_EUlSZ_E_NS1_11comp_targetILNS1_3genE3ELNS1_11target_archE908ELNS1_3gpuE7ELNS1_3repE0EEENS1_47radix_sort_onesweep_sort_config_static_selectorELNS0_4arch9wavefront6targetE0EEEvSG_
	.globl	_ZN7rocprim17ROCPRIM_400000_NS6detail17trampoline_kernelINS0_14default_configENS1_35radix_sort_onesweep_config_selectorIfNS0_10empty_typeEEEZZNS1_29radix_sort_onesweep_iterationIS3_Lb1EPKfPfPS5_SB_mNS0_19identity_decomposerENS1_16block_id_wrapperIjLb1EEEEE10hipError_tT1_PNSt15iterator_traitsISG_E10value_typeET2_T3_PNSH_ISM_E10value_typeET4_T5_PSR_SS_PNS1_23onesweep_lookback_stateEbbT6_jjT7_P12ihipStream_tbENKUlT_T0_SG_SL_E_clISA_SA_SB_SB_EEDaSZ_S10_SG_SL_EUlSZ_E_NS1_11comp_targetILNS1_3genE3ELNS1_11target_archE908ELNS1_3gpuE7ELNS1_3repE0EEENS1_47radix_sort_onesweep_sort_config_static_selectorELNS0_4arch9wavefront6targetE0EEEvSG_
	.p2align	8
	.type	_ZN7rocprim17ROCPRIM_400000_NS6detail17trampoline_kernelINS0_14default_configENS1_35radix_sort_onesweep_config_selectorIfNS0_10empty_typeEEEZZNS1_29radix_sort_onesweep_iterationIS3_Lb1EPKfPfPS5_SB_mNS0_19identity_decomposerENS1_16block_id_wrapperIjLb1EEEEE10hipError_tT1_PNSt15iterator_traitsISG_E10value_typeET2_T3_PNSH_ISM_E10value_typeET4_T5_PSR_SS_PNS1_23onesweep_lookback_stateEbbT6_jjT7_P12ihipStream_tbENKUlT_T0_SG_SL_E_clISA_SA_SB_SB_EEDaSZ_S10_SG_SL_EUlSZ_E_NS1_11comp_targetILNS1_3genE3ELNS1_11target_archE908ELNS1_3gpuE7ELNS1_3repE0EEENS1_47radix_sort_onesweep_sort_config_static_selectorELNS0_4arch9wavefront6targetE0EEEvSG_,@function
_ZN7rocprim17ROCPRIM_400000_NS6detail17trampoline_kernelINS0_14default_configENS1_35radix_sort_onesweep_config_selectorIfNS0_10empty_typeEEEZZNS1_29radix_sort_onesweep_iterationIS3_Lb1EPKfPfPS5_SB_mNS0_19identity_decomposerENS1_16block_id_wrapperIjLb1EEEEE10hipError_tT1_PNSt15iterator_traitsISG_E10value_typeET2_T3_PNSH_ISM_E10value_typeET4_T5_PSR_SS_PNS1_23onesweep_lookback_stateEbbT6_jjT7_P12ihipStream_tbENKUlT_T0_SG_SL_E_clISA_SA_SB_SB_EEDaSZ_S10_SG_SL_EUlSZ_E_NS1_11comp_targetILNS1_3genE3ELNS1_11target_archE908ELNS1_3gpuE7ELNS1_3repE0EEENS1_47radix_sort_onesweep_sort_config_static_selectorELNS0_4arch9wavefront6targetE0EEEvSG_: ; @_ZN7rocprim17ROCPRIM_400000_NS6detail17trampoline_kernelINS0_14default_configENS1_35radix_sort_onesweep_config_selectorIfNS0_10empty_typeEEEZZNS1_29radix_sort_onesweep_iterationIS3_Lb1EPKfPfPS5_SB_mNS0_19identity_decomposerENS1_16block_id_wrapperIjLb1EEEEE10hipError_tT1_PNSt15iterator_traitsISG_E10value_typeET2_T3_PNSH_ISM_E10value_typeET4_T5_PSR_SS_PNS1_23onesweep_lookback_stateEbbT6_jjT7_P12ihipStream_tbENKUlT_T0_SG_SL_E_clISA_SA_SB_SB_EEDaSZ_S10_SG_SL_EUlSZ_E_NS1_11comp_targetILNS1_3genE3ELNS1_11target_archE908ELNS1_3gpuE7ELNS1_3repE0EEENS1_47radix_sort_onesweep_sort_config_static_selectorELNS0_4arch9wavefront6targetE0EEEvSG_
; %bb.0:
	.section	.rodata,"a",@progbits
	.p2align	6, 0x0
	.amdhsa_kernel _ZN7rocprim17ROCPRIM_400000_NS6detail17trampoline_kernelINS0_14default_configENS1_35radix_sort_onesweep_config_selectorIfNS0_10empty_typeEEEZZNS1_29radix_sort_onesweep_iterationIS3_Lb1EPKfPfPS5_SB_mNS0_19identity_decomposerENS1_16block_id_wrapperIjLb1EEEEE10hipError_tT1_PNSt15iterator_traitsISG_E10value_typeET2_T3_PNSH_ISM_E10value_typeET4_T5_PSR_SS_PNS1_23onesweep_lookback_stateEbbT6_jjT7_P12ihipStream_tbENKUlT_T0_SG_SL_E_clISA_SA_SB_SB_EEDaSZ_S10_SG_SL_EUlSZ_E_NS1_11comp_targetILNS1_3genE3ELNS1_11target_archE908ELNS1_3gpuE7ELNS1_3repE0EEENS1_47radix_sort_onesweep_sort_config_static_selectorELNS0_4arch9wavefront6targetE0EEEvSG_
		.amdhsa_group_segment_fixed_size 0
		.amdhsa_private_segment_fixed_size 0
		.amdhsa_kernarg_size 88
		.amdhsa_user_sgpr_count 2
		.amdhsa_user_sgpr_dispatch_ptr 0
		.amdhsa_user_sgpr_queue_ptr 0
		.amdhsa_user_sgpr_kernarg_segment_ptr 1
		.amdhsa_user_sgpr_dispatch_id 0
		.amdhsa_user_sgpr_kernarg_preload_length 0
		.amdhsa_user_sgpr_kernarg_preload_offset 0
		.amdhsa_user_sgpr_private_segment_size 0
		.amdhsa_wavefront_size32 1
		.amdhsa_uses_dynamic_stack 0
		.amdhsa_enable_private_segment 0
		.amdhsa_system_sgpr_workgroup_id_x 1
		.amdhsa_system_sgpr_workgroup_id_y 0
		.amdhsa_system_sgpr_workgroup_id_z 0
		.amdhsa_system_sgpr_workgroup_info 0
		.amdhsa_system_vgpr_workitem_id 0
		.amdhsa_next_free_vgpr 1
		.amdhsa_next_free_sgpr 1
		.amdhsa_named_barrier_count 0
		.amdhsa_reserve_vcc 0
		.amdhsa_float_round_mode_32 0
		.amdhsa_float_round_mode_16_64 0
		.amdhsa_float_denorm_mode_32 3
		.amdhsa_float_denorm_mode_16_64 3
		.amdhsa_fp16_overflow 0
		.amdhsa_memory_ordered 1
		.amdhsa_forward_progress 1
		.amdhsa_inst_pref_size 0
		.amdhsa_round_robin_scheduling 0
		.amdhsa_exception_fp_ieee_invalid_op 0
		.amdhsa_exception_fp_denorm_src 0
		.amdhsa_exception_fp_ieee_div_zero 0
		.amdhsa_exception_fp_ieee_overflow 0
		.amdhsa_exception_fp_ieee_underflow 0
		.amdhsa_exception_fp_ieee_inexact 0
		.amdhsa_exception_int_div_zero 0
	.end_amdhsa_kernel
	.section	.text._ZN7rocprim17ROCPRIM_400000_NS6detail17trampoline_kernelINS0_14default_configENS1_35radix_sort_onesweep_config_selectorIfNS0_10empty_typeEEEZZNS1_29radix_sort_onesweep_iterationIS3_Lb1EPKfPfPS5_SB_mNS0_19identity_decomposerENS1_16block_id_wrapperIjLb1EEEEE10hipError_tT1_PNSt15iterator_traitsISG_E10value_typeET2_T3_PNSH_ISM_E10value_typeET4_T5_PSR_SS_PNS1_23onesweep_lookback_stateEbbT6_jjT7_P12ihipStream_tbENKUlT_T0_SG_SL_E_clISA_SA_SB_SB_EEDaSZ_S10_SG_SL_EUlSZ_E_NS1_11comp_targetILNS1_3genE3ELNS1_11target_archE908ELNS1_3gpuE7ELNS1_3repE0EEENS1_47radix_sort_onesweep_sort_config_static_selectorELNS0_4arch9wavefront6targetE0EEEvSG_,"axG",@progbits,_ZN7rocprim17ROCPRIM_400000_NS6detail17trampoline_kernelINS0_14default_configENS1_35radix_sort_onesweep_config_selectorIfNS0_10empty_typeEEEZZNS1_29radix_sort_onesweep_iterationIS3_Lb1EPKfPfPS5_SB_mNS0_19identity_decomposerENS1_16block_id_wrapperIjLb1EEEEE10hipError_tT1_PNSt15iterator_traitsISG_E10value_typeET2_T3_PNSH_ISM_E10value_typeET4_T5_PSR_SS_PNS1_23onesweep_lookback_stateEbbT6_jjT7_P12ihipStream_tbENKUlT_T0_SG_SL_E_clISA_SA_SB_SB_EEDaSZ_S10_SG_SL_EUlSZ_E_NS1_11comp_targetILNS1_3genE3ELNS1_11target_archE908ELNS1_3gpuE7ELNS1_3repE0EEENS1_47radix_sort_onesweep_sort_config_static_selectorELNS0_4arch9wavefront6targetE0EEEvSG_,comdat
.Lfunc_end1333:
	.size	_ZN7rocprim17ROCPRIM_400000_NS6detail17trampoline_kernelINS0_14default_configENS1_35radix_sort_onesweep_config_selectorIfNS0_10empty_typeEEEZZNS1_29radix_sort_onesweep_iterationIS3_Lb1EPKfPfPS5_SB_mNS0_19identity_decomposerENS1_16block_id_wrapperIjLb1EEEEE10hipError_tT1_PNSt15iterator_traitsISG_E10value_typeET2_T3_PNSH_ISM_E10value_typeET4_T5_PSR_SS_PNS1_23onesweep_lookback_stateEbbT6_jjT7_P12ihipStream_tbENKUlT_T0_SG_SL_E_clISA_SA_SB_SB_EEDaSZ_S10_SG_SL_EUlSZ_E_NS1_11comp_targetILNS1_3genE3ELNS1_11target_archE908ELNS1_3gpuE7ELNS1_3repE0EEENS1_47radix_sort_onesweep_sort_config_static_selectorELNS0_4arch9wavefront6targetE0EEEvSG_, .Lfunc_end1333-_ZN7rocprim17ROCPRIM_400000_NS6detail17trampoline_kernelINS0_14default_configENS1_35radix_sort_onesweep_config_selectorIfNS0_10empty_typeEEEZZNS1_29radix_sort_onesweep_iterationIS3_Lb1EPKfPfPS5_SB_mNS0_19identity_decomposerENS1_16block_id_wrapperIjLb1EEEEE10hipError_tT1_PNSt15iterator_traitsISG_E10value_typeET2_T3_PNSH_ISM_E10value_typeET4_T5_PSR_SS_PNS1_23onesweep_lookback_stateEbbT6_jjT7_P12ihipStream_tbENKUlT_T0_SG_SL_E_clISA_SA_SB_SB_EEDaSZ_S10_SG_SL_EUlSZ_E_NS1_11comp_targetILNS1_3genE3ELNS1_11target_archE908ELNS1_3gpuE7ELNS1_3repE0EEENS1_47radix_sort_onesweep_sort_config_static_selectorELNS0_4arch9wavefront6targetE0EEEvSG_
                                        ; -- End function
	.set _ZN7rocprim17ROCPRIM_400000_NS6detail17trampoline_kernelINS0_14default_configENS1_35radix_sort_onesweep_config_selectorIfNS0_10empty_typeEEEZZNS1_29radix_sort_onesweep_iterationIS3_Lb1EPKfPfPS5_SB_mNS0_19identity_decomposerENS1_16block_id_wrapperIjLb1EEEEE10hipError_tT1_PNSt15iterator_traitsISG_E10value_typeET2_T3_PNSH_ISM_E10value_typeET4_T5_PSR_SS_PNS1_23onesweep_lookback_stateEbbT6_jjT7_P12ihipStream_tbENKUlT_T0_SG_SL_E_clISA_SA_SB_SB_EEDaSZ_S10_SG_SL_EUlSZ_E_NS1_11comp_targetILNS1_3genE3ELNS1_11target_archE908ELNS1_3gpuE7ELNS1_3repE0EEENS1_47radix_sort_onesweep_sort_config_static_selectorELNS0_4arch9wavefront6targetE0EEEvSG_.num_vgpr, 0
	.set _ZN7rocprim17ROCPRIM_400000_NS6detail17trampoline_kernelINS0_14default_configENS1_35radix_sort_onesweep_config_selectorIfNS0_10empty_typeEEEZZNS1_29radix_sort_onesweep_iterationIS3_Lb1EPKfPfPS5_SB_mNS0_19identity_decomposerENS1_16block_id_wrapperIjLb1EEEEE10hipError_tT1_PNSt15iterator_traitsISG_E10value_typeET2_T3_PNSH_ISM_E10value_typeET4_T5_PSR_SS_PNS1_23onesweep_lookback_stateEbbT6_jjT7_P12ihipStream_tbENKUlT_T0_SG_SL_E_clISA_SA_SB_SB_EEDaSZ_S10_SG_SL_EUlSZ_E_NS1_11comp_targetILNS1_3genE3ELNS1_11target_archE908ELNS1_3gpuE7ELNS1_3repE0EEENS1_47radix_sort_onesweep_sort_config_static_selectorELNS0_4arch9wavefront6targetE0EEEvSG_.num_agpr, 0
	.set _ZN7rocprim17ROCPRIM_400000_NS6detail17trampoline_kernelINS0_14default_configENS1_35radix_sort_onesweep_config_selectorIfNS0_10empty_typeEEEZZNS1_29radix_sort_onesweep_iterationIS3_Lb1EPKfPfPS5_SB_mNS0_19identity_decomposerENS1_16block_id_wrapperIjLb1EEEEE10hipError_tT1_PNSt15iterator_traitsISG_E10value_typeET2_T3_PNSH_ISM_E10value_typeET4_T5_PSR_SS_PNS1_23onesweep_lookback_stateEbbT6_jjT7_P12ihipStream_tbENKUlT_T0_SG_SL_E_clISA_SA_SB_SB_EEDaSZ_S10_SG_SL_EUlSZ_E_NS1_11comp_targetILNS1_3genE3ELNS1_11target_archE908ELNS1_3gpuE7ELNS1_3repE0EEENS1_47radix_sort_onesweep_sort_config_static_selectorELNS0_4arch9wavefront6targetE0EEEvSG_.numbered_sgpr, 0
	.set _ZN7rocprim17ROCPRIM_400000_NS6detail17trampoline_kernelINS0_14default_configENS1_35radix_sort_onesweep_config_selectorIfNS0_10empty_typeEEEZZNS1_29radix_sort_onesweep_iterationIS3_Lb1EPKfPfPS5_SB_mNS0_19identity_decomposerENS1_16block_id_wrapperIjLb1EEEEE10hipError_tT1_PNSt15iterator_traitsISG_E10value_typeET2_T3_PNSH_ISM_E10value_typeET4_T5_PSR_SS_PNS1_23onesweep_lookback_stateEbbT6_jjT7_P12ihipStream_tbENKUlT_T0_SG_SL_E_clISA_SA_SB_SB_EEDaSZ_S10_SG_SL_EUlSZ_E_NS1_11comp_targetILNS1_3genE3ELNS1_11target_archE908ELNS1_3gpuE7ELNS1_3repE0EEENS1_47radix_sort_onesweep_sort_config_static_selectorELNS0_4arch9wavefront6targetE0EEEvSG_.num_named_barrier, 0
	.set _ZN7rocprim17ROCPRIM_400000_NS6detail17trampoline_kernelINS0_14default_configENS1_35radix_sort_onesweep_config_selectorIfNS0_10empty_typeEEEZZNS1_29radix_sort_onesweep_iterationIS3_Lb1EPKfPfPS5_SB_mNS0_19identity_decomposerENS1_16block_id_wrapperIjLb1EEEEE10hipError_tT1_PNSt15iterator_traitsISG_E10value_typeET2_T3_PNSH_ISM_E10value_typeET4_T5_PSR_SS_PNS1_23onesweep_lookback_stateEbbT6_jjT7_P12ihipStream_tbENKUlT_T0_SG_SL_E_clISA_SA_SB_SB_EEDaSZ_S10_SG_SL_EUlSZ_E_NS1_11comp_targetILNS1_3genE3ELNS1_11target_archE908ELNS1_3gpuE7ELNS1_3repE0EEENS1_47radix_sort_onesweep_sort_config_static_selectorELNS0_4arch9wavefront6targetE0EEEvSG_.private_seg_size, 0
	.set _ZN7rocprim17ROCPRIM_400000_NS6detail17trampoline_kernelINS0_14default_configENS1_35radix_sort_onesweep_config_selectorIfNS0_10empty_typeEEEZZNS1_29radix_sort_onesweep_iterationIS3_Lb1EPKfPfPS5_SB_mNS0_19identity_decomposerENS1_16block_id_wrapperIjLb1EEEEE10hipError_tT1_PNSt15iterator_traitsISG_E10value_typeET2_T3_PNSH_ISM_E10value_typeET4_T5_PSR_SS_PNS1_23onesweep_lookback_stateEbbT6_jjT7_P12ihipStream_tbENKUlT_T0_SG_SL_E_clISA_SA_SB_SB_EEDaSZ_S10_SG_SL_EUlSZ_E_NS1_11comp_targetILNS1_3genE3ELNS1_11target_archE908ELNS1_3gpuE7ELNS1_3repE0EEENS1_47radix_sort_onesweep_sort_config_static_selectorELNS0_4arch9wavefront6targetE0EEEvSG_.uses_vcc, 0
	.set _ZN7rocprim17ROCPRIM_400000_NS6detail17trampoline_kernelINS0_14default_configENS1_35radix_sort_onesweep_config_selectorIfNS0_10empty_typeEEEZZNS1_29radix_sort_onesweep_iterationIS3_Lb1EPKfPfPS5_SB_mNS0_19identity_decomposerENS1_16block_id_wrapperIjLb1EEEEE10hipError_tT1_PNSt15iterator_traitsISG_E10value_typeET2_T3_PNSH_ISM_E10value_typeET4_T5_PSR_SS_PNS1_23onesweep_lookback_stateEbbT6_jjT7_P12ihipStream_tbENKUlT_T0_SG_SL_E_clISA_SA_SB_SB_EEDaSZ_S10_SG_SL_EUlSZ_E_NS1_11comp_targetILNS1_3genE3ELNS1_11target_archE908ELNS1_3gpuE7ELNS1_3repE0EEENS1_47radix_sort_onesweep_sort_config_static_selectorELNS0_4arch9wavefront6targetE0EEEvSG_.uses_flat_scratch, 0
	.set _ZN7rocprim17ROCPRIM_400000_NS6detail17trampoline_kernelINS0_14default_configENS1_35radix_sort_onesweep_config_selectorIfNS0_10empty_typeEEEZZNS1_29radix_sort_onesweep_iterationIS3_Lb1EPKfPfPS5_SB_mNS0_19identity_decomposerENS1_16block_id_wrapperIjLb1EEEEE10hipError_tT1_PNSt15iterator_traitsISG_E10value_typeET2_T3_PNSH_ISM_E10value_typeET4_T5_PSR_SS_PNS1_23onesweep_lookback_stateEbbT6_jjT7_P12ihipStream_tbENKUlT_T0_SG_SL_E_clISA_SA_SB_SB_EEDaSZ_S10_SG_SL_EUlSZ_E_NS1_11comp_targetILNS1_3genE3ELNS1_11target_archE908ELNS1_3gpuE7ELNS1_3repE0EEENS1_47radix_sort_onesweep_sort_config_static_selectorELNS0_4arch9wavefront6targetE0EEEvSG_.has_dyn_sized_stack, 0
	.set _ZN7rocprim17ROCPRIM_400000_NS6detail17trampoline_kernelINS0_14default_configENS1_35radix_sort_onesweep_config_selectorIfNS0_10empty_typeEEEZZNS1_29radix_sort_onesweep_iterationIS3_Lb1EPKfPfPS5_SB_mNS0_19identity_decomposerENS1_16block_id_wrapperIjLb1EEEEE10hipError_tT1_PNSt15iterator_traitsISG_E10value_typeET2_T3_PNSH_ISM_E10value_typeET4_T5_PSR_SS_PNS1_23onesweep_lookback_stateEbbT6_jjT7_P12ihipStream_tbENKUlT_T0_SG_SL_E_clISA_SA_SB_SB_EEDaSZ_S10_SG_SL_EUlSZ_E_NS1_11comp_targetILNS1_3genE3ELNS1_11target_archE908ELNS1_3gpuE7ELNS1_3repE0EEENS1_47radix_sort_onesweep_sort_config_static_selectorELNS0_4arch9wavefront6targetE0EEEvSG_.has_recursion, 0
	.set _ZN7rocprim17ROCPRIM_400000_NS6detail17trampoline_kernelINS0_14default_configENS1_35radix_sort_onesweep_config_selectorIfNS0_10empty_typeEEEZZNS1_29radix_sort_onesweep_iterationIS3_Lb1EPKfPfPS5_SB_mNS0_19identity_decomposerENS1_16block_id_wrapperIjLb1EEEEE10hipError_tT1_PNSt15iterator_traitsISG_E10value_typeET2_T3_PNSH_ISM_E10value_typeET4_T5_PSR_SS_PNS1_23onesweep_lookback_stateEbbT6_jjT7_P12ihipStream_tbENKUlT_T0_SG_SL_E_clISA_SA_SB_SB_EEDaSZ_S10_SG_SL_EUlSZ_E_NS1_11comp_targetILNS1_3genE3ELNS1_11target_archE908ELNS1_3gpuE7ELNS1_3repE0EEENS1_47radix_sort_onesweep_sort_config_static_selectorELNS0_4arch9wavefront6targetE0EEEvSG_.has_indirect_call, 0
	.section	.AMDGPU.csdata,"",@progbits
; Kernel info:
; codeLenInByte = 0
; TotalNumSgprs: 0
; NumVgprs: 0
; ScratchSize: 0
; MemoryBound: 0
; FloatMode: 240
; IeeeMode: 1
; LDSByteSize: 0 bytes/workgroup (compile time only)
; SGPRBlocks: 0
; VGPRBlocks: 0
; NumSGPRsForWavesPerEU: 1
; NumVGPRsForWavesPerEU: 1
; NamedBarCnt: 0
; Occupancy: 16
; WaveLimiterHint : 0
; COMPUTE_PGM_RSRC2:SCRATCH_EN: 0
; COMPUTE_PGM_RSRC2:USER_SGPR: 2
; COMPUTE_PGM_RSRC2:TRAP_HANDLER: 0
; COMPUTE_PGM_RSRC2:TGID_X_EN: 1
; COMPUTE_PGM_RSRC2:TGID_Y_EN: 0
; COMPUTE_PGM_RSRC2:TGID_Z_EN: 0
; COMPUTE_PGM_RSRC2:TIDIG_COMP_CNT: 0
	.section	.text._ZN7rocprim17ROCPRIM_400000_NS6detail17trampoline_kernelINS0_14default_configENS1_35radix_sort_onesweep_config_selectorIfNS0_10empty_typeEEEZZNS1_29radix_sort_onesweep_iterationIS3_Lb1EPKfPfPS5_SB_mNS0_19identity_decomposerENS1_16block_id_wrapperIjLb1EEEEE10hipError_tT1_PNSt15iterator_traitsISG_E10value_typeET2_T3_PNSH_ISM_E10value_typeET4_T5_PSR_SS_PNS1_23onesweep_lookback_stateEbbT6_jjT7_P12ihipStream_tbENKUlT_T0_SG_SL_E_clISA_SA_SB_SB_EEDaSZ_S10_SG_SL_EUlSZ_E_NS1_11comp_targetILNS1_3genE10ELNS1_11target_archE1201ELNS1_3gpuE5ELNS1_3repE0EEENS1_47radix_sort_onesweep_sort_config_static_selectorELNS0_4arch9wavefront6targetE0EEEvSG_,"axG",@progbits,_ZN7rocprim17ROCPRIM_400000_NS6detail17trampoline_kernelINS0_14default_configENS1_35radix_sort_onesweep_config_selectorIfNS0_10empty_typeEEEZZNS1_29radix_sort_onesweep_iterationIS3_Lb1EPKfPfPS5_SB_mNS0_19identity_decomposerENS1_16block_id_wrapperIjLb1EEEEE10hipError_tT1_PNSt15iterator_traitsISG_E10value_typeET2_T3_PNSH_ISM_E10value_typeET4_T5_PSR_SS_PNS1_23onesweep_lookback_stateEbbT6_jjT7_P12ihipStream_tbENKUlT_T0_SG_SL_E_clISA_SA_SB_SB_EEDaSZ_S10_SG_SL_EUlSZ_E_NS1_11comp_targetILNS1_3genE10ELNS1_11target_archE1201ELNS1_3gpuE5ELNS1_3repE0EEENS1_47radix_sort_onesweep_sort_config_static_selectorELNS0_4arch9wavefront6targetE0EEEvSG_,comdat
	.protected	_ZN7rocprim17ROCPRIM_400000_NS6detail17trampoline_kernelINS0_14default_configENS1_35radix_sort_onesweep_config_selectorIfNS0_10empty_typeEEEZZNS1_29radix_sort_onesweep_iterationIS3_Lb1EPKfPfPS5_SB_mNS0_19identity_decomposerENS1_16block_id_wrapperIjLb1EEEEE10hipError_tT1_PNSt15iterator_traitsISG_E10value_typeET2_T3_PNSH_ISM_E10value_typeET4_T5_PSR_SS_PNS1_23onesweep_lookback_stateEbbT6_jjT7_P12ihipStream_tbENKUlT_T0_SG_SL_E_clISA_SA_SB_SB_EEDaSZ_S10_SG_SL_EUlSZ_E_NS1_11comp_targetILNS1_3genE10ELNS1_11target_archE1201ELNS1_3gpuE5ELNS1_3repE0EEENS1_47radix_sort_onesweep_sort_config_static_selectorELNS0_4arch9wavefront6targetE0EEEvSG_ ; -- Begin function _ZN7rocprim17ROCPRIM_400000_NS6detail17trampoline_kernelINS0_14default_configENS1_35radix_sort_onesweep_config_selectorIfNS0_10empty_typeEEEZZNS1_29radix_sort_onesweep_iterationIS3_Lb1EPKfPfPS5_SB_mNS0_19identity_decomposerENS1_16block_id_wrapperIjLb1EEEEE10hipError_tT1_PNSt15iterator_traitsISG_E10value_typeET2_T3_PNSH_ISM_E10value_typeET4_T5_PSR_SS_PNS1_23onesweep_lookback_stateEbbT6_jjT7_P12ihipStream_tbENKUlT_T0_SG_SL_E_clISA_SA_SB_SB_EEDaSZ_S10_SG_SL_EUlSZ_E_NS1_11comp_targetILNS1_3genE10ELNS1_11target_archE1201ELNS1_3gpuE5ELNS1_3repE0EEENS1_47radix_sort_onesweep_sort_config_static_selectorELNS0_4arch9wavefront6targetE0EEEvSG_
	.globl	_ZN7rocprim17ROCPRIM_400000_NS6detail17trampoline_kernelINS0_14default_configENS1_35radix_sort_onesweep_config_selectorIfNS0_10empty_typeEEEZZNS1_29radix_sort_onesweep_iterationIS3_Lb1EPKfPfPS5_SB_mNS0_19identity_decomposerENS1_16block_id_wrapperIjLb1EEEEE10hipError_tT1_PNSt15iterator_traitsISG_E10value_typeET2_T3_PNSH_ISM_E10value_typeET4_T5_PSR_SS_PNS1_23onesweep_lookback_stateEbbT6_jjT7_P12ihipStream_tbENKUlT_T0_SG_SL_E_clISA_SA_SB_SB_EEDaSZ_S10_SG_SL_EUlSZ_E_NS1_11comp_targetILNS1_3genE10ELNS1_11target_archE1201ELNS1_3gpuE5ELNS1_3repE0EEENS1_47radix_sort_onesweep_sort_config_static_selectorELNS0_4arch9wavefront6targetE0EEEvSG_
	.p2align	8
	.type	_ZN7rocprim17ROCPRIM_400000_NS6detail17trampoline_kernelINS0_14default_configENS1_35radix_sort_onesweep_config_selectorIfNS0_10empty_typeEEEZZNS1_29radix_sort_onesweep_iterationIS3_Lb1EPKfPfPS5_SB_mNS0_19identity_decomposerENS1_16block_id_wrapperIjLb1EEEEE10hipError_tT1_PNSt15iterator_traitsISG_E10value_typeET2_T3_PNSH_ISM_E10value_typeET4_T5_PSR_SS_PNS1_23onesweep_lookback_stateEbbT6_jjT7_P12ihipStream_tbENKUlT_T0_SG_SL_E_clISA_SA_SB_SB_EEDaSZ_S10_SG_SL_EUlSZ_E_NS1_11comp_targetILNS1_3genE10ELNS1_11target_archE1201ELNS1_3gpuE5ELNS1_3repE0EEENS1_47radix_sort_onesweep_sort_config_static_selectorELNS0_4arch9wavefront6targetE0EEEvSG_,@function
_ZN7rocprim17ROCPRIM_400000_NS6detail17trampoline_kernelINS0_14default_configENS1_35radix_sort_onesweep_config_selectorIfNS0_10empty_typeEEEZZNS1_29radix_sort_onesweep_iterationIS3_Lb1EPKfPfPS5_SB_mNS0_19identity_decomposerENS1_16block_id_wrapperIjLb1EEEEE10hipError_tT1_PNSt15iterator_traitsISG_E10value_typeET2_T3_PNSH_ISM_E10value_typeET4_T5_PSR_SS_PNS1_23onesweep_lookback_stateEbbT6_jjT7_P12ihipStream_tbENKUlT_T0_SG_SL_E_clISA_SA_SB_SB_EEDaSZ_S10_SG_SL_EUlSZ_E_NS1_11comp_targetILNS1_3genE10ELNS1_11target_archE1201ELNS1_3gpuE5ELNS1_3repE0EEENS1_47radix_sort_onesweep_sort_config_static_selectorELNS0_4arch9wavefront6targetE0EEEvSG_: ; @_ZN7rocprim17ROCPRIM_400000_NS6detail17trampoline_kernelINS0_14default_configENS1_35radix_sort_onesweep_config_selectorIfNS0_10empty_typeEEEZZNS1_29radix_sort_onesweep_iterationIS3_Lb1EPKfPfPS5_SB_mNS0_19identity_decomposerENS1_16block_id_wrapperIjLb1EEEEE10hipError_tT1_PNSt15iterator_traitsISG_E10value_typeET2_T3_PNSH_ISM_E10value_typeET4_T5_PSR_SS_PNS1_23onesweep_lookback_stateEbbT6_jjT7_P12ihipStream_tbENKUlT_T0_SG_SL_E_clISA_SA_SB_SB_EEDaSZ_S10_SG_SL_EUlSZ_E_NS1_11comp_targetILNS1_3genE10ELNS1_11target_archE1201ELNS1_3gpuE5ELNS1_3repE0EEENS1_47radix_sort_onesweep_sort_config_static_selectorELNS0_4arch9wavefront6targetE0EEEvSG_
; %bb.0:
	.section	.rodata,"a",@progbits
	.p2align	6, 0x0
	.amdhsa_kernel _ZN7rocprim17ROCPRIM_400000_NS6detail17trampoline_kernelINS0_14default_configENS1_35radix_sort_onesweep_config_selectorIfNS0_10empty_typeEEEZZNS1_29radix_sort_onesweep_iterationIS3_Lb1EPKfPfPS5_SB_mNS0_19identity_decomposerENS1_16block_id_wrapperIjLb1EEEEE10hipError_tT1_PNSt15iterator_traitsISG_E10value_typeET2_T3_PNSH_ISM_E10value_typeET4_T5_PSR_SS_PNS1_23onesweep_lookback_stateEbbT6_jjT7_P12ihipStream_tbENKUlT_T0_SG_SL_E_clISA_SA_SB_SB_EEDaSZ_S10_SG_SL_EUlSZ_E_NS1_11comp_targetILNS1_3genE10ELNS1_11target_archE1201ELNS1_3gpuE5ELNS1_3repE0EEENS1_47radix_sort_onesweep_sort_config_static_selectorELNS0_4arch9wavefront6targetE0EEEvSG_
		.amdhsa_group_segment_fixed_size 0
		.amdhsa_private_segment_fixed_size 0
		.amdhsa_kernarg_size 88
		.amdhsa_user_sgpr_count 2
		.amdhsa_user_sgpr_dispatch_ptr 0
		.amdhsa_user_sgpr_queue_ptr 0
		.amdhsa_user_sgpr_kernarg_segment_ptr 1
		.amdhsa_user_sgpr_dispatch_id 0
		.amdhsa_user_sgpr_kernarg_preload_length 0
		.amdhsa_user_sgpr_kernarg_preload_offset 0
		.amdhsa_user_sgpr_private_segment_size 0
		.amdhsa_wavefront_size32 1
		.amdhsa_uses_dynamic_stack 0
		.amdhsa_enable_private_segment 0
		.amdhsa_system_sgpr_workgroup_id_x 1
		.amdhsa_system_sgpr_workgroup_id_y 0
		.amdhsa_system_sgpr_workgroup_id_z 0
		.amdhsa_system_sgpr_workgroup_info 0
		.amdhsa_system_vgpr_workitem_id 0
		.amdhsa_next_free_vgpr 1
		.amdhsa_next_free_sgpr 1
		.amdhsa_named_barrier_count 0
		.amdhsa_reserve_vcc 0
		.amdhsa_float_round_mode_32 0
		.amdhsa_float_round_mode_16_64 0
		.amdhsa_float_denorm_mode_32 3
		.amdhsa_float_denorm_mode_16_64 3
		.amdhsa_fp16_overflow 0
		.amdhsa_memory_ordered 1
		.amdhsa_forward_progress 1
		.amdhsa_inst_pref_size 0
		.amdhsa_round_robin_scheduling 0
		.amdhsa_exception_fp_ieee_invalid_op 0
		.amdhsa_exception_fp_denorm_src 0
		.amdhsa_exception_fp_ieee_div_zero 0
		.amdhsa_exception_fp_ieee_overflow 0
		.amdhsa_exception_fp_ieee_underflow 0
		.amdhsa_exception_fp_ieee_inexact 0
		.amdhsa_exception_int_div_zero 0
	.end_amdhsa_kernel
	.section	.text._ZN7rocprim17ROCPRIM_400000_NS6detail17trampoline_kernelINS0_14default_configENS1_35radix_sort_onesweep_config_selectorIfNS0_10empty_typeEEEZZNS1_29radix_sort_onesweep_iterationIS3_Lb1EPKfPfPS5_SB_mNS0_19identity_decomposerENS1_16block_id_wrapperIjLb1EEEEE10hipError_tT1_PNSt15iterator_traitsISG_E10value_typeET2_T3_PNSH_ISM_E10value_typeET4_T5_PSR_SS_PNS1_23onesweep_lookback_stateEbbT6_jjT7_P12ihipStream_tbENKUlT_T0_SG_SL_E_clISA_SA_SB_SB_EEDaSZ_S10_SG_SL_EUlSZ_E_NS1_11comp_targetILNS1_3genE10ELNS1_11target_archE1201ELNS1_3gpuE5ELNS1_3repE0EEENS1_47radix_sort_onesweep_sort_config_static_selectorELNS0_4arch9wavefront6targetE0EEEvSG_,"axG",@progbits,_ZN7rocprim17ROCPRIM_400000_NS6detail17trampoline_kernelINS0_14default_configENS1_35radix_sort_onesweep_config_selectorIfNS0_10empty_typeEEEZZNS1_29radix_sort_onesweep_iterationIS3_Lb1EPKfPfPS5_SB_mNS0_19identity_decomposerENS1_16block_id_wrapperIjLb1EEEEE10hipError_tT1_PNSt15iterator_traitsISG_E10value_typeET2_T3_PNSH_ISM_E10value_typeET4_T5_PSR_SS_PNS1_23onesweep_lookback_stateEbbT6_jjT7_P12ihipStream_tbENKUlT_T0_SG_SL_E_clISA_SA_SB_SB_EEDaSZ_S10_SG_SL_EUlSZ_E_NS1_11comp_targetILNS1_3genE10ELNS1_11target_archE1201ELNS1_3gpuE5ELNS1_3repE0EEENS1_47radix_sort_onesweep_sort_config_static_selectorELNS0_4arch9wavefront6targetE0EEEvSG_,comdat
.Lfunc_end1334:
	.size	_ZN7rocprim17ROCPRIM_400000_NS6detail17trampoline_kernelINS0_14default_configENS1_35radix_sort_onesweep_config_selectorIfNS0_10empty_typeEEEZZNS1_29radix_sort_onesweep_iterationIS3_Lb1EPKfPfPS5_SB_mNS0_19identity_decomposerENS1_16block_id_wrapperIjLb1EEEEE10hipError_tT1_PNSt15iterator_traitsISG_E10value_typeET2_T3_PNSH_ISM_E10value_typeET4_T5_PSR_SS_PNS1_23onesweep_lookback_stateEbbT6_jjT7_P12ihipStream_tbENKUlT_T0_SG_SL_E_clISA_SA_SB_SB_EEDaSZ_S10_SG_SL_EUlSZ_E_NS1_11comp_targetILNS1_3genE10ELNS1_11target_archE1201ELNS1_3gpuE5ELNS1_3repE0EEENS1_47radix_sort_onesweep_sort_config_static_selectorELNS0_4arch9wavefront6targetE0EEEvSG_, .Lfunc_end1334-_ZN7rocprim17ROCPRIM_400000_NS6detail17trampoline_kernelINS0_14default_configENS1_35radix_sort_onesweep_config_selectorIfNS0_10empty_typeEEEZZNS1_29radix_sort_onesweep_iterationIS3_Lb1EPKfPfPS5_SB_mNS0_19identity_decomposerENS1_16block_id_wrapperIjLb1EEEEE10hipError_tT1_PNSt15iterator_traitsISG_E10value_typeET2_T3_PNSH_ISM_E10value_typeET4_T5_PSR_SS_PNS1_23onesweep_lookback_stateEbbT6_jjT7_P12ihipStream_tbENKUlT_T0_SG_SL_E_clISA_SA_SB_SB_EEDaSZ_S10_SG_SL_EUlSZ_E_NS1_11comp_targetILNS1_3genE10ELNS1_11target_archE1201ELNS1_3gpuE5ELNS1_3repE0EEENS1_47radix_sort_onesweep_sort_config_static_selectorELNS0_4arch9wavefront6targetE0EEEvSG_
                                        ; -- End function
	.set _ZN7rocprim17ROCPRIM_400000_NS6detail17trampoline_kernelINS0_14default_configENS1_35radix_sort_onesweep_config_selectorIfNS0_10empty_typeEEEZZNS1_29radix_sort_onesweep_iterationIS3_Lb1EPKfPfPS5_SB_mNS0_19identity_decomposerENS1_16block_id_wrapperIjLb1EEEEE10hipError_tT1_PNSt15iterator_traitsISG_E10value_typeET2_T3_PNSH_ISM_E10value_typeET4_T5_PSR_SS_PNS1_23onesweep_lookback_stateEbbT6_jjT7_P12ihipStream_tbENKUlT_T0_SG_SL_E_clISA_SA_SB_SB_EEDaSZ_S10_SG_SL_EUlSZ_E_NS1_11comp_targetILNS1_3genE10ELNS1_11target_archE1201ELNS1_3gpuE5ELNS1_3repE0EEENS1_47radix_sort_onesweep_sort_config_static_selectorELNS0_4arch9wavefront6targetE0EEEvSG_.num_vgpr, 0
	.set _ZN7rocprim17ROCPRIM_400000_NS6detail17trampoline_kernelINS0_14default_configENS1_35radix_sort_onesweep_config_selectorIfNS0_10empty_typeEEEZZNS1_29radix_sort_onesweep_iterationIS3_Lb1EPKfPfPS5_SB_mNS0_19identity_decomposerENS1_16block_id_wrapperIjLb1EEEEE10hipError_tT1_PNSt15iterator_traitsISG_E10value_typeET2_T3_PNSH_ISM_E10value_typeET4_T5_PSR_SS_PNS1_23onesweep_lookback_stateEbbT6_jjT7_P12ihipStream_tbENKUlT_T0_SG_SL_E_clISA_SA_SB_SB_EEDaSZ_S10_SG_SL_EUlSZ_E_NS1_11comp_targetILNS1_3genE10ELNS1_11target_archE1201ELNS1_3gpuE5ELNS1_3repE0EEENS1_47radix_sort_onesweep_sort_config_static_selectorELNS0_4arch9wavefront6targetE0EEEvSG_.num_agpr, 0
	.set _ZN7rocprim17ROCPRIM_400000_NS6detail17trampoline_kernelINS0_14default_configENS1_35radix_sort_onesweep_config_selectorIfNS0_10empty_typeEEEZZNS1_29radix_sort_onesweep_iterationIS3_Lb1EPKfPfPS5_SB_mNS0_19identity_decomposerENS1_16block_id_wrapperIjLb1EEEEE10hipError_tT1_PNSt15iterator_traitsISG_E10value_typeET2_T3_PNSH_ISM_E10value_typeET4_T5_PSR_SS_PNS1_23onesweep_lookback_stateEbbT6_jjT7_P12ihipStream_tbENKUlT_T0_SG_SL_E_clISA_SA_SB_SB_EEDaSZ_S10_SG_SL_EUlSZ_E_NS1_11comp_targetILNS1_3genE10ELNS1_11target_archE1201ELNS1_3gpuE5ELNS1_3repE0EEENS1_47radix_sort_onesweep_sort_config_static_selectorELNS0_4arch9wavefront6targetE0EEEvSG_.numbered_sgpr, 0
	.set _ZN7rocprim17ROCPRIM_400000_NS6detail17trampoline_kernelINS0_14default_configENS1_35radix_sort_onesweep_config_selectorIfNS0_10empty_typeEEEZZNS1_29radix_sort_onesweep_iterationIS3_Lb1EPKfPfPS5_SB_mNS0_19identity_decomposerENS1_16block_id_wrapperIjLb1EEEEE10hipError_tT1_PNSt15iterator_traitsISG_E10value_typeET2_T3_PNSH_ISM_E10value_typeET4_T5_PSR_SS_PNS1_23onesweep_lookback_stateEbbT6_jjT7_P12ihipStream_tbENKUlT_T0_SG_SL_E_clISA_SA_SB_SB_EEDaSZ_S10_SG_SL_EUlSZ_E_NS1_11comp_targetILNS1_3genE10ELNS1_11target_archE1201ELNS1_3gpuE5ELNS1_3repE0EEENS1_47radix_sort_onesweep_sort_config_static_selectorELNS0_4arch9wavefront6targetE0EEEvSG_.num_named_barrier, 0
	.set _ZN7rocprim17ROCPRIM_400000_NS6detail17trampoline_kernelINS0_14default_configENS1_35radix_sort_onesweep_config_selectorIfNS0_10empty_typeEEEZZNS1_29radix_sort_onesweep_iterationIS3_Lb1EPKfPfPS5_SB_mNS0_19identity_decomposerENS1_16block_id_wrapperIjLb1EEEEE10hipError_tT1_PNSt15iterator_traitsISG_E10value_typeET2_T3_PNSH_ISM_E10value_typeET4_T5_PSR_SS_PNS1_23onesweep_lookback_stateEbbT6_jjT7_P12ihipStream_tbENKUlT_T0_SG_SL_E_clISA_SA_SB_SB_EEDaSZ_S10_SG_SL_EUlSZ_E_NS1_11comp_targetILNS1_3genE10ELNS1_11target_archE1201ELNS1_3gpuE5ELNS1_3repE0EEENS1_47radix_sort_onesweep_sort_config_static_selectorELNS0_4arch9wavefront6targetE0EEEvSG_.private_seg_size, 0
	.set _ZN7rocprim17ROCPRIM_400000_NS6detail17trampoline_kernelINS0_14default_configENS1_35radix_sort_onesweep_config_selectorIfNS0_10empty_typeEEEZZNS1_29radix_sort_onesweep_iterationIS3_Lb1EPKfPfPS5_SB_mNS0_19identity_decomposerENS1_16block_id_wrapperIjLb1EEEEE10hipError_tT1_PNSt15iterator_traitsISG_E10value_typeET2_T3_PNSH_ISM_E10value_typeET4_T5_PSR_SS_PNS1_23onesweep_lookback_stateEbbT6_jjT7_P12ihipStream_tbENKUlT_T0_SG_SL_E_clISA_SA_SB_SB_EEDaSZ_S10_SG_SL_EUlSZ_E_NS1_11comp_targetILNS1_3genE10ELNS1_11target_archE1201ELNS1_3gpuE5ELNS1_3repE0EEENS1_47radix_sort_onesweep_sort_config_static_selectorELNS0_4arch9wavefront6targetE0EEEvSG_.uses_vcc, 0
	.set _ZN7rocprim17ROCPRIM_400000_NS6detail17trampoline_kernelINS0_14default_configENS1_35radix_sort_onesweep_config_selectorIfNS0_10empty_typeEEEZZNS1_29radix_sort_onesweep_iterationIS3_Lb1EPKfPfPS5_SB_mNS0_19identity_decomposerENS1_16block_id_wrapperIjLb1EEEEE10hipError_tT1_PNSt15iterator_traitsISG_E10value_typeET2_T3_PNSH_ISM_E10value_typeET4_T5_PSR_SS_PNS1_23onesweep_lookback_stateEbbT6_jjT7_P12ihipStream_tbENKUlT_T0_SG_SL_E_clISA_SA_SB_SB_EEDaSZ_S10_SG_SL_EUlSZ_E_NS1_11comp_targetILNS1_3genE10ELNS1_11target_archE1201ELNS1_3gpuE5ELNS1_3repE0EEENS1_47radix_sort_onesweep_sort_config_static_selectorELNS0_4arch9wavefront6targetE0EEEvSG_.uses_flat_scratch, 0
	.set _ZN7rocprim17ROCPRIM_400000_NS6detail17trampoline_kernelINS0_14default_configENS1_35radix_sort_onesweep_config_selectorIfNS0_10empty_typeEEEZZNS1_29radix_sort_onesweep_iterationIS3_Lb1EPKfPfPS5_SB_mNS0_19identity_decomposerENS1_16block_id_wrapperIjLb1EEEEE10hipError_tT1_PNSt15iterator_traitsISG_E10value_typeET2_T3_PNSH_ISM_E10value_typeET4_T5_PSR_SS_PNS1_23onesweep_lookback_stateEbbT6_jjT7_P12ihipStream_tbENKUlT_T0_SG_SL_E_clISA_SA_SB_SB_EEDaSZ_S10_SG_SL_EUlSZ_E_NS1_11comp_targetILNS1_3genE10ELNS1_11target_archE1201ELNS1_3gpuE5ELNS1_3repE0EEENS1_47radix_sort_onesweep_sort_config_static_selectorELNS0_4arch9wavefront6targetE0EEEvSG_.has_dyn_sized_stack, 0
	.set _ZN7rocprim17ROCPRIM_400000_NS6detail17trampoline_kernelINS0_14default_configENS1_35radix_sort_onesweep_config_selectorIfNS0_10empty_typeEEEZZNS1_29radix_sort_onesweep_iterationIS3_Lb1EPKfPfPS5_SB_mNS0_19identity_decomposerENS1_16block_id_wrapperIjLb1EEEEE10hipError_tT1_PNSt15iterator_traitsISG_E10value_typeET2_T3_PNSH_ISM_E10value_typeET4_T5_PSR_SS_PNS1_23onesweep_lookback_stateEbbT6_jjT7_P12ihipStream_tbENKUlT_T0_SG_SL_E_clISA_SA_SB_SB_EEDaSZ_S10_SG_SL_EUlSZ_E_NS1_11comp_targetILNS1_3genE10ELNS1_11target_archE1201ELNS1_3gpuE5ELNS1_3repE0EEENS1_47radix_sort_onesweep_sort_config_static_selectorELNS0_4arch9wavefront6targetE0EEEvSG_.has_recursion, 0
	.set _ZN7rocprim17ROCPRIM_400000_NS6detail17trampoline_kernelINS0_14default_configENS1_35radix_sort_onesweep_config_selectorIfNS0_10empty_typeEEEZZNS1_29radix_sort_onesweep_iterationIS3_Lb1EPKfPfPS5_SB_mNS0_19identity_decomposerENS1_16block_id_wrapperIjLb1EEEEE10hipError_tT1_PNSt15iterator_traitsISG_E10value_typeET2_T3_PNSH_ISM_E10value_typeET4_T5_PSR_SS_PNS1_23onesweep_lookback_stateEbbT6_jjT7_P12ihipStream_tbENKUlT_T0_SG_SL_E_clISA_SA_SB_SB_EEDaSZ_S10_SG_SL_EUlSZ_E_NS1_11comp_targetILNS1_3genE10ELNS1_11target_archE1201ELNS1_3gpuE5ELNS1_3repE0EEENS1_47radix_sort_onesweep_sort_config_static_selectorELNS0_4arch9wavefront6targetE0EEEvSG_.has_indirect_call, 0
	.section	.AMDGPU.csdata,"",@progbits
; Kernel info:
; codeLenInByte = 0
; TotalNumSgprs: 0
; NumVgprs: 0
; ScratchSize: 0
; MemoryBound: 0
; FloatMode: 240
; IeeeMode: 1
; LDSByteSize: 0 bytes/workgroup (compile time only)
; SGPRBlocks: 0
; VGPRBlocks: 0
; NumSGPRsForWavesPerEU: 1
; NumVGPRsForWavesPerEU: 1
; NamedBarCnt: 0
; Occupancy: 16
; WaveLimiterHint : 0
; COMPUTE_PGM_RSRC2:SCRATCH_EN: 0
; COMPUTE_PGM_RSRC2:USER_SGPR: 2
; COMPUTE_PGM_RSRC2:TRAP_HANDLER: 0
; COMPUTE_PGM_RSRC2:TGID_X_EN: 1
; COMPUTE_PGM_RSRC2:TGID_Y_EN: 0
; COMPUTE_PGM_RSRC2:TGID_Z_EN: 0
; COMPUTE_PGM_RSRC2:TIDIG_COMP_CNT: 0
	.section	.text._ZN7rocprim17ROCPRIM_400000_NS6detail17trampoline_kernelINS0_14default_configENS1_35radix_sort_onesweep_config_selectorIfNS0_10empty_typeEEEZZNS1_29radix_sort_onesweep_iterationIS3_Lb1EPKfPfPS5_SB_mNS0_19identity_decomposerENS1_16block_id_wrapperIjLb1EEEEE10hipError_tT1_PNSt15iterator_traitsISG_E10value_typeET2_T3_PNSH_ISM_E10value_typeET4_T5_PSR_SS_PNS1_23onesweep_lookback_stateEbbT6_jjT7_P12ihipStream_tbENKUlT_T0_SG_SL_E_clISA_SA_SB_SB_EEDaSZ_S10_SG_SL_EUlSZ_E_NS1_11comp_targetILNS1_3genE9ELNS1_11target_archE1100ELNS1_3gpuE3ELNS1_3repE0EEENS1_47radix_sort_onesweep_sort_config_static_selectorELNS0_4arch9wavefront6targetE0EEEvSG_,"axG",@progbits,_ZN7rocprim17ROCPRIM_400000_NS6detail17trampoline_kernelINS0_14default_configENS1_35radix_sort_onesweep_config_selectorIfNS0_10empty_typeEEEZZNS1_29radix_sort_onesweep_iterationIS3_Lb1EPKfPfPS5_SB_mNS0_19identity_decomposerENS1_16block_id_wrapperIjLb1EEEEE10hipError_tT1_PNSt15iterator_traitsISG_E10value_typeET2_T3_PNSH_ISM_E10value_typeET4_T5_PSR_SS_PNS1_23onesweep_lookback_stateEbbT6_jjT7_P12ihipStream_tbENKUlT_T0_SG_SL_E_clISA_SA_SB_SB_EEDaSZ_S10_SG_SL_EUlSZ_E_NS1_11comp_targetILNS1_3genE9ELNS1_11target_archE1100ELNS1_3gpuE3ELNS1_3repE0EEENS1_47radix_sort_onesweep_sort_config_static_selectorELNS0_4arch9wavefront6targetE0EEEvSG_,comdat
	.protected	_ZN7rocprim17ROCPRIM_400000_NS6detail17trampoline_kernelINS0_14default_configENS1_35radix_sort_onesweep_config_selectorIfNS0_10empty_typeEEEZZNS1_29radix_sort_onesweep_iterationIS3_Lb1EPKfPfPS5_SB_mNS0_19identity_decomposerENS1_16block_id_wrapperIjLb1EEEEE10hipError_tT1_PNSt15iterator_traitsISG_E10value_typeET2_T3_PNSH_ISM_E10value_typeET4_T5_PSR_SS_PNS1_23onesweep_lookback_stateEbbT6_jjT7_P12ihipStream_tbENKUlT_T0_SG_SL_E_clISA_SA_SB_SB_EEDaSZ_S10_SG_SL_EUlSZ_E_NS1_11comp_targetILNS1_3genE9ELNS1_11target_archE1100ELNS1_3gpuE3ELNS1_3repE0EEENS1_47radix_sort_onesweep_sort_config_static_selectorELNS0_4arch9wavefront6targetE0EEEvSG_ ; -- Begin function _ZN7rocprim17ROCPRIM_400000_NS6detail17trampoline_kernelINS0_14default_configENS1_35radix_sort_onesweep_config_selectorIfNS0_10empty_typeEEEZZNS1_29radix_sort_onesweep_iterationIS3_Lb1EPKfPfPS5_SB_mNS0_19identity_decomposerENS1_16block_id_wrapperIjLb1EEEEE10hipError_tT1_PNSt15iterator_traitsISG_E10value_typeET2_T3_PNSH_ISM_E10value_typeET4_T5_PSR_SS_PNS1_23onesweep_lookback_stateEbbT6_jjT7_P12ihipStream_tbENKUlT_T0_SG_SL_E_clISA_SA_SB_SB_EEDaSZ_S10_SG_SL_EUlSZ_E_NS1_11comp_targetILNS1_3genE9ELNS1_11target_archE1100ELNS1_3gpuE3ELNS1_3repE0EEENS1_47radix_sort_onesweep_sort_config_static_selectorELNS0_4arch9wavefront6targetE0EEEvSG_
	.globl	_ZN7rocprim17ROCPRIM_400000_NS6detail17trampoline_kernelINS0_14default_configENS1_35radix_sort_onesweep_config_selectorIfNS0_10empty_typeEEEZZNS1_29radix_sort_onesweep_iterationIS3_Lb1EPKfPfPS5_SB_mNS0_19identity_decomposerENS1_16block_id_wrapperIjLb1EEEEE10hipError_tT1_PNSt15iterator_traitsISG_E10value_typeET2_T3_PNSH_ISM_E10value_typeET4_T5_PSR_SS_PNS1_23onesweep_lookback_stateEbbT6_jjT7_P12ihipStream_tbENKUlT_T0_SG_SL_E_clISA_SA_SB_SB_EEDaSZ_S10_SG_SL_EUlSZ_E_NS1_11comp_targetILNS1_3genE9ELNS1_11target_archE1100ELNS1_3gpuE3ELNS1_3repE0EEENS1_47radix_sort_onesweep_sort_config_static_selectorELNS0_4arch9wavefront6targetE0EEEvSG_
	.p2align	8
	.type	_ZN7rocprim17ROCPRIM_400000_NS6detail17trampoline_kernelINS0_14default_configENS1_35radix_sort_onesweep_config_selectorIfNS0_10empty_typeEEEZZNS1_29radix_sort_onesweep_iterationIS3_Lb1EPKfPfPS5_SB_mNS0_19identity_decomposerENS1_16block_id_wrapperIjLb1EEEEE10hipError_tT1_PNSt15iterator_traitsISG_E10value_typeET2_T3_PNSH_ISM_E10value_typeET4_T5_PSR_SS_PNS1_23onesweep_lookback_stateEbbT6_jjT7_P12ihipStream_tbENKUlT_T0_SG_SL_E_clISA_SA_SB_SB_EEDaSZ_S10_SG_SL_EUlSZ_E_NS1_11comp_targetILNS1_3genE9ELNS1_11target_archE1100ELNS1_3gpuE3ELNS1_3repE0EEENS1_47radix_sort_onesweep_sort_config_static_selectorELNS0_4arch9wavefront6targetE0EEEvSG_,@function
_ZN7rocprim17ROCPRIM_400000_NS6detail17trampoline_kernelINS0_14default_configENS1_35radix_sort_onesweep_config_selectorIfNS0_10empty_typeEEEZZNS1_29radix_sort_onesweep_iterationIS3_Lb1EPKfPfPS5_SB_mNS0_19identity_decomposerENS1_16block_id_wrapperIjLb1EEEEE10hipError_tT1_PNSt15iterator_traitsISG_E10value_typeET2_T3_PNSH_ISM_E10value_typeET4_T5_PSR_SS_PNS1_23onesweep_lookback_stateEbbT6_jjT7_P12ihipStream_tbENKUlT_T0_SG_SL_E_clISA_SA_SB_SB_EEDaSZ_S10_SG_SL_EUlSZ_E_NS1_11comp_targetILNS1_3genE9ELNS1_11target_archE1100ELNS1_3gpuE3ELNS1_3repE0EEENS1_47radix_sort_onesweep_sort_config_static_selectorELNS0_4arch9wavefront6targetE0EEEvSG_: ; @_ZN7rocprim17ROCPRIM_400000_NS6detail17trampoline_kernelINS0_14default_configENS1_35radix_sort_onesweep_config_selectorIfNS0_10empty_typeEEEZZNS1_29radix_sort_onesweep_iterationIS3_Lb1EPKfPfPS5_SB_mNS0_19identity_decomposerENS1_16block_id_wrapperIjLb1EEEEE10hipError_tT1_PNSt15iterator_traitsISG_E10value_typeET2_T3_PNSH_ISM_E10value_typeET4_T5_PSR_SS_PNS1_23onesweep_lookback_stateEbbT6_jjT7_P12ihipStream_tbENKUlT_T0_SG_SL_E_clISA_SA_SB_SB_EEDaSZ_S10_SG_SL_EUlSZ_E_NS1_11comp_targetILNS1_3genE9ELNS1_11target_archE1100ELNS1_3gpuE3ELNS1_3repE0EEENS1_47radix_sort_onesweep_sort_config_static_selectorELNS0_4arch9wavefront6targetE0EEEvSG_
; %bb.0:
	.section	.rodata,"a",@progbits
	.p2align	6, 0x0
	.amdhsa_kernel _ZN7rocprim17ROCPRIM_400000_NS6detail17trampoline_kernelINS0_14default_configENS1_35radix_sort_onesweep_config_selectorIfNS0_10empty_typeEEEZZNS1_29radix_sort_onesweep_iterationIS3_Lb1EPKfPfPS5_SB_mNS0_19identity_decomposerENS1_16block_id_wrapperIjLb1EEEEE10hipError_tT1_PNSt15iterator_traitsISG_E10value_typeET2_T3_PNSH_ISM_E10value_typeET4_T5_PSR_SS_PNS1_23onesweep_lookback_stateEbbT6_jjT7_P12ihipStream_tbENKUlT_T0_SG_SL_E_clISA_SA_SB_SB_EEDaSZ_S10_SG_SL_EUlSZ_E_NS1_11comp_targetILNS1_3genE9ELNS1_11target_archE1100ELNS1_3gpuE3ELNS1_3repE0EEENS1_47radix_sort_onesweep_sort_config_static_selectorELNS0_4arch9wavefront6targetE0EEEvSG_
		.amdhsa_group_segment_fixed_size 0
		.amdhsa_private_segment_fixed_size 0
		.amdhsa_kernarg_size 88
		.amdhsa_user_sgpr_count 2
		.amdhsa_user_sgpr_dispatch_ptr 0
		.amdhsa_user_sgpr_queue_ptr 0
		.amdhsa_user_sgpr_kernarg_segment_ptr 1
		.amdhsa_user_sgpr_dispatch_id 0
		.amdhsa_user_sgpr_kernarg_preload_length 0
		.amdhsa_user_sgpr_kernarg_preload_offset 0
		.amdhsa_user_sgpr_private_segment_size 0
		.amdhsa_wavefront_size32 1
		.amdhsa_uses_dynamic_stack 0
		.amdhsa_enable_private_segment 0
		.amdhsa_system_sgpr_workgroup_id_x 1
		.amdhsa_system_sgpr_workgroup_id_y 0
		.amdhsa_system_sgpr_workgroup_id_z 0
		.amdhsa_system_sgpr_workgroup_info 0
		.amdhsa_system_vgpr_workitem_id 0
		.amdhsa_next_free_vgpr 1
		.amdhsa_next_free_sgpr 1
		.amdhsa_named_barrier_count 0
		.amdhsa_reserve_vcc 0
		.amdhsa_float_round_mode_32 0
		.amdhsa_float_round_mode_16_64 0
		.amdhsa_float_denorm_mode_32 3
		.amdhsa_float_denorm_mode_16_64 3
		.amdhsa_fp16_overflow 0
		.amdhsa_memory_ordered 1
		.amdhsa_forward_progress 1
		.amdhsa_inst_pref_size 0
		.amdhsa_round_robin_scheduling 0
		.amdhsa_exception_fp_ieee_invalid_op 0
		.amdhsa_exception_fp_denorm_src 0
		.amdhsa_exception_fp_ieee_div_zero 0
		.amdhsa_exception_fp_ieee_overflow 0
		.amdhsa_exception_fp_ieee_underflow 0
		.amdhsa_exception_fp_ieee_inexact 0
		.amdhsa_exception_int_div_zero 0
	.end_amdhsa_kernel
	.section	.text._ZN7rocprim17ROCPRIM_400000_NS6detail17trampoline_kernelINS0_14default_configENS1_35radix_sort_onesweep_config_selectorIfNS0_10empty_typeEEEZZNS1_29radix_sort_onesweep_iterationIS3_Lb1EPKfPfPS5_SB_mNS0_19identity_decomposerENS1_16block_id_wrapperIjLb1EEEEE10hipError_tT1_PNSt15iterator_traitsISG_E10value_typeET2_T3_PNSH_ISM_E10value_typeET4_T5_PSR_SS_PNS1_23onesweep_lookback_stateEbbT6_jjT7_P12ihipStream_tbENKUlT_T0_SG_SL_E_clISA_SA_SB_SB_EEDaSZ_S10_SG_SL_EUlSZ_E_NS1_11comp_targetILNS1_3genE9ELNS1_11target_archE1100ELNS1_3gpuE3ELNS1_3repE0EEENS1_47radix_sort_onesweep_sort_config_static_selectorELNS0_4arch9wavefront6targetE0EEEvSG_,"axG",@progbits,_ZN7rocprim17ROCPRIM_400000_NS6detail17trampoline_kernelINS0_14default_configENS1_35radix_sort_onesweep_config_selectorIfNS0_10empty_typeEEEZZNS1_29radix_sort_onesweep_iterationIS3_Lb1EPKfPfPS5_SB_mNS0_19identity_decomposerENS1_16block_id_wrapperIjLb1EEEEE10hipError_tT1_PNSt15iterator_traitsISG_E10value_typeET2_T3_PNSH_ISM_E10value_typeET4_T5_PSR_SS_PNS1_23onesweep_lookback_stateEbbT6_jjT7_P12ihipStream_tbENKUlT_T0_SG_SL_E_clISA_SA_SB_SB_EEDaSZ_S10_SG_SL_EUlSZ_E_NS1_11comp_targetILNS1_3genE9ELNS1_11target_archE1100ELNS1_3gpuE3ELNS1_3repE0EEENS1_47radix_sort_onesweep_sort_config_static_selectorELNS0_4arch9wavefront6targetE0EEEvSG_,comdat
.Lfunc_end1335:
	.size	_ZN7rocprim17ROCPRIM_400000_NS6detail17trampoline_kernelINS0_14default_configENS1_35radix_sort_onesweep_config_selectorIfNS0_10empty_typeEEEZZNS1_29radix_sort_onesweep_iterationIS3_Lb1EPKfPfPS5_SB_mNS0_19identity_decomposerENS1_16block_id_wrapperIjLb1EEEEE10hipError_tT1_PNSt15iterator_traitsISG_E10value_typeET2_T3_PNSH_ISM_E10value_typeET4_T5_PSR_SS_PNS1_23onesweep_lookback_stateEbbT6_jjT7_P12ihipStream_tbENKUlT_T0_SG_SL_E_clISA_SA_SB_SB_EEDaSZ_S10_SG_SL_EUlSZ_E_NS1_11comp_targetILNS1_3genE9ELNS1_11target_archE1100ELNS1_3gpuE3ELNS1_3repE0EEENS1_47radix_sort_onesweep_sort_config_static_selectorELNS0_4arch9wavefront6targetE0EEEvSG_, .Lfunc_end1335-_ZN7rocprim17ROCPRIM_400000_NS6detail17trampoline_kernelINS0_14default_configENS1_35radix_sort_onesweep_config_selectorIfNS0_10empty_typeEEEZZNS1_29radix_sort_onesweep_iterationIS3_Lb1EPKfPfPS5_SB_mNS0_19identity_decomposerENS1_16block_id_wrapperIjLb1EEEEE10hipError_tT1_PNSt15iterator_traitsISG_E10value_typeET2_T3_PNSH_ISM_E10value_typeET4_T5_PSR_SS_PNS1_23onesweep_lookback_stateEbbT6_jjT7_P12ihipStream_tbENKUlT_T0_SG_SL_E_clISA_SA_SB_SB_EEDaSZ_S10_SG_SL_EUlSZ_E_NS1_11comp_targetILNS1_3genE9ELNS1_11target_archE1100ELNS1_3gpuE3ELNS1_3repE0EEENS1_47radix_sort_onesweep_sort_config_static_selectorELNS0_4arch9wavefront6targetE0EEEvSG_
                                        ; -- End function
	.set _ZN7rocprim17ROCPRIM_400000_NS6detail17trampoline_kernelINS0_14default_configENS1_35radix_sort_onesweep_config_selectorIfNS0_10empty_typeEEEZZNS1_29radix_sort_onesweep_iterationIS3_Lb1EPKfPfPS5_SB_mNS0_19identity_decomposerENS1_16block_id_wrapperIjLb1EEEEE10hipError_tT1_PNSt15iterator_traitsISG_E10value_typeET2_T3_PNSH_ISM_E10value_typeET4_T5_PSR_SS_PNS1_23onesweep_lookback_stateEbbT6_jjT7_P12ihipStream_tbENKUlT_T0_SG_SL_E_clISA_SA_SB_SB_EEDaSZ_S10_SG_SL_EUlSZ_E_NS1_11comp_targetILNS1_3genE9ELNS1_11target_archE1100ELNS1_3gpuE3ELNS1_3repE0EEENS1_47radix_sort_onesweep_sort_config_static_selectorELNS0_4arch9wavefront6targetE0EEEvSG_.num_vgpr, 0
	.set _ZN7rocprim17ROCPRIM_400000_NS6detail17trampoline_kernelINS0_14default_configENS1_35radix_sort_onesweep_config_selectorIfNS0_10empty_typeEEEZZNS1_29radix_sort_onesweep_iterationIS3_Lb1EPKfPfPS5_SB_mNS0_19identity_decomposerENS1_16block_id_wrapperIjLb1EEEEE10hipError_tT1_PNSt15iterator_traitsISG_E10value_typeET2_T3_PNSH_ISM_E10value_typeET4_T5_PSR_SS_PNS1_23onesweep_lookback_stateEbbT6_jjT7_P12ihipStream_tbENKUlT_T0_SG_SL_E_clISA_SA_SB_SB_EEDaSZ_S10_SG_SL_EUlSZ_E_NS1_11comp_targetILNS1_3genE9ELNS1_11target_archE1100ELNS1_3gpuE3ELNS1_3repE0EEENS1_47radix_sort_onesweep_sort_config_static_selectorELNS0_4arch9wavefront6targetE0EEEvSG_.num_agpr, 0
	.set _ZN7rocprim17ROCPRIM_400000_NS6detail17trampoline_kernelINS0_14default_configENS1_35radix_sort_onesweep_config_selectorIfNS0_10empty_typeEEEZZNS1_29radix_sort_onesweep_iterationIS3_Lb1EPKfPfPS5_SB_mNS0_19identity_decomposerENS1_16block_id_wrapperIjLb1EEEEE10hipError_tT1_PNSt15iterator_traitsISG_E10value_typeET2_T3_PNSH_ISM_E10value_typeET4_T5_PSR_SS_PNS1_23onesweep_lookback_stateEbbT6_jjT7_P12ihipStream_tbENKUlT_T0_SG_SL_E_clISA_SA_SB_SB_EEDaSZ_S10_SG_SL_EUlSZ_E_NS1_11comp_targetILNS1_3genE9ELNS1_11target_archE1100ELNS1_3gpuE3ELNS1_3repE0EEENS1_47radix_sort_onesweep_sort_config_static_selectorELNS0_4arch9wavefront6targetE0EEEvSG_.numbered_sgpr, 0
	.set _ZN7rocprim17ROCPRIM_400000_NS6detail17trampoline_kernelINS0_14default_configENS1_35radix_sort_onesweep_config_selectorIfNS0_10empty_typeEEEZZNS1_29radix_sort_onesweep_iterationIS3_Lb1EPKfPfPS5_SB_mNS0_19identity_decomposerENS1_16block_id_wrapperIjLb1EEEEE10hipError_tT1_PNSt15iterator_traitsISG_E10value_typeET2_T3_PNSH_ISM_E10value_typeET4_T5_PSR_SS_PNS1_23onesweep_lookback_stateEbbT6_jjT7_P12ihipStream_tbENKUlT_T0_SG_SL_E_clISA_SA_SB_SB_EEDaSZ_S10_SG_SL_EUlSZ_E_NS1_11comp_targetILNS1_3genE9ELNS1_11target_archE1100ELNS1_3gpuE3ELNS1_3repE0EEENS1_47radix_sort_onesweep_sort_config_static_selectorELNS0_4arch9wavefront6targetE0EEEvSG_.num_named_barrier, 0
	.set _ZN7rocprim17ROCPRIM_400000_NS6detail17trampoline_kernelINS0_14default_configENS1_35radix_sort_onesweep_config_selectorIfNS0_10empty_typeEEEZZNS1_29radix_sort_onesweep_iterationIS3_Lb1EPKfPfPS5_SB_mNS0_19identity_decomposerENS1_16block_id_wrapperIjLb1EEEEE10hipError_tT1_PNSt15iterator_traitsISG_E10value_typeET2_T3_PNSH_ISM_E10value_typeET4_T5_PSR_SS_PNS1_23onesweep_lookback_stateEbbT6_jjT7_P12ihipStream_tbENKUlT_T0_SG_SL_E_clISA_SA_SB_SB_EEDaSZ_S10_SG_SL_EUlSZ_E_NS1_11comp_targetILNS1_3genE9ELNS1_11target_archE1100ELNS1_3gpuE3ELNS1_3repE0EEENS1_47radix_sort_onesweep_sort_config_static_selectorELNS0_4arch9wavefront6targetE0EEEvSG_.private_seg_size, 0
	.set _ZN7rocprim17ROCPRIM_400000_NS6detail17trampoline_kernelINS0_14default_configENS1_35radix_sort_onesweep_config_selectorIfNS0_10empty_typeEEEZZNS1_29radix_sort_onesweep_iterationIS3_Lb1EPKfPfPS5_SB_mNS0_19identity_decomposerENS1_16block_id_wrapperIjLb1EEEEE10hipError_tT1_PNSt15iterator_traitsISG_E10value_typeET2_T3_PNSH_ISM_E10value_typeET4_T5_PSR_SS_PNS1_23onesweep_lookback_stateEbbT6_jjT7_P12ihipStream_tbENKUlT_T0_SG_SL_E_clISA_SA_SB_SB_EEDaSZ_S10_SG_SL_EUlSZ_E_NS1_11comp_targetILNS1_3genE9ELNS1_11target_archE1100ELNS1_3gpuE3ELNS1_3repE0EEENS1_47radix_sort_onesweep_sort_config_static_selectorELNS0_4arch9wavefront6targetE0EEEvSG_.uses_vcc, 0
	.set _ZN7rocprim17ROCPRIM_400000_NS6detail17trampoline_kernelINS0_14default_configENS1_35radix_sort_onesweep_config_selectorIfNS0_10empty_typeEEEZZNS1_29radix_sort_onesweep_iterationIS3_Lb1EPKfPfPS5_SB_mNS0_19identity_decomposerENS1_16block_id_wrapperIjLb1EEEEE10hipError_tT1_PNSt15iterator_traitsISG_E10value_typeET2_T3_PNSH_ISM_E10value_typeET4_T5_PSR_SS_PNS1_23onesweep_lookback_stateEbbT6_jjT7_P12ihipStream_tbENKUlT_T0_SG_SL_E_clISA_SA_SB_SB_EEDaSZ_S10_SG_SL_EUlSZ_E_NS1_11comp_targetILNS1_3genE9ELNS1_11target_archE1100ELNS1_3gpuE3ELNS1_3repE0EEENS1_47radix_sort_onesweep_sort_config_static_selectorELNS0_4arch9wavefront6targetE0EEEvSG_.uses_flat_scratch, 0
	.set _ZN7rocprim17ROCPRIM_400000_NS6detail17trampoline_kernelINS0_14default_configENS1_35radix_sort_onesweep_config_selectorIfNS0_10empty_typeEEEZZNS1_29radix_sort_onesweep_iterationIS3_Lb1EPKfPfPS5_SB_mNS0_19identity_decomposerENS1_16block_id_wrapperIjLb1EEEEE10hipError_tT1_PNSt15iterator_traitsISG_E10value_typeET2_T3_PNSH_ISM_E10value_typeET4_T5_PSR_SS_PNS1_23onesweep_lookback_stateEbbT6_jjT7_P12ihipStream_tbENKUlT_T0_SG_SL_E_clISA_SA_SB_SB_EEDaSZ_S10_SG_SL_EUlSZ_E_NS1_11comp_targetILNS1_3genE9ELNS1_11target_archE1100ELNS1_3gpuE3ELNS1_3repE0EEENS1_47radix_sort_onesweep_sort_config_static_selectorELNS0_4arch9wavefront6targetE0EEEvSG_.has_dyn_sized_stack, 0
	.set _ZN7rocprim17ROCPRIM_400000_NS6detail17trampoline_kernelINS0_14default_configENS1_35radix_sort_onesweep_config_selectorIfNS0_10empty_typeEEEZZNS1_29radix_sort_onesweep_iterationIS3_Lb1EPKfPfPS5_SB_mNS0_19identity_decomposerENS1_16block_id_wrapperIjLb1EEEEE10hipError_tT1_PNSt15iterator_traitsISG_E10value_typeET2_T3_PNSH_ISM_E10value_typeET4_T5_PSR_SS_PNS1_23onesweep_lookback_stateEbbT6_jjT7_P12ihipStream_tbENKUlT_T0_SG_SL_E_clISA_SA_SB_SB_EEDaSZ_S10_SG_SL_EUlSZ_E_NS1_11comp_targetILNS1_3genE9ELNS1_11target_archE1100ELNS1_3gpuE3ELNS1_3repE0EEENS1_47radix_sort_onesweep_sort_config_static_selectorELNS0_4arch9wavefront6targetE0EEEvSG_.has_recursion, 0
	.set _ZN7rocprim17ROCPRIM_400000_NS6detail17trampoline_kernelINS0_14default_configENS1_35radix_sort_onesweep_config_selectorIfNS0_10empty_typeEEEZZNS1_29radix_sort_onesweep_iterationIS3_Lb1EPKfPfPS5_SB_mNS0_19identity_decomposerENS1_16block_id_wrapperIjLb1EEEEE10hipError_tT1_PNSt15iterator_traitsISG_E10value_typeET2_T3_PNSH_ISM_E10value_typeET4_T5_PSR_SS_PNS1_23onesweep_lookback_stateEbbT6_jjT7_P12ihipStream_tbENKUlT_T0_SG_SL_E_clISA_SA_SB_SB_EEDaSZ_S10_SG_SL_EUlSZ_E_NS1_11comp_targetILNS1_3genE9ELNS1_11target_archE1100ELNS1_3gpuE3ELNS1_3repE0EEENS1_47radix_sort_onesweep_sort_config_static_selectorELNS0_4arch9wavefront6targetE0EEEvSG_.has_indirect_call, 0
	.section	.AMDGPU.csdata,"",@progbits
; Kernel info:
; codeLenInByte = 0
; TotalNumSgprs: 0
; NumVgprs: 0
; ScratchSize: 0
; MemoryBound: 0
; FloatMode: 240
; IeeeMode: 1
; LDSByteSize: 0 bytes/workgroup (compile time only)
; SGPRBlocks: 0
; VGPRBlocks: 0
; NumSGPRsForWavesPerEU: 1
; NumVGPRsForWavesPerEU: 1
; NamedBarCnt: 0
; Occupancy: 16
; WaveLimiterHint : 0
; COMPUTE_PGM_RSRC2:SCRATCH_EN: 0
; COMPUTE_PGM_RSRC2:USER_SGPR: 2
; COMPUTE_PGM_RSRC2:TRAP_HANDLER: 0
; COMPUTE_PGM_RSRC2:TGID_X_EN: 1
; COMPUTE_PGM_RSRC2:TGID_Y_EN: 0
; COMPUTE_PGM_RSRC2:TGID_Z_EN: 0
; COMPUTE_PGM_RSRC2:TIDIG_COMP_CNT: 0
	.section	.text._ZN7rocprim17ROCPRIM_400000_NS6detail17trampoline_kernelINS0_14default_configENS1_35radix_sort_onesweep_config_selectorIfNS0_10empty_typeEEEZZNS1_29radix_sort_onesweep_iterationIS3_Lb1EPKfPfPS5_SB_mNS0_19identity_decomposerENS1_16block_id_wrapperIjLb1EEEEE10hipError_tT1_PNSt15iterator_traitsISG_E10value_typeET2_T3_PNSH_ISM_E10value_typeET4_T5_PSR_SS_PNS1_23onesweep_lookback_stateEbbT6_jjT7_P12ihipStream_tbENKUlT_T0_SG_SL_E_clISA_SA_SB_SB_EEDaSZ_S10_SG_SL_EUlSZ_E_NS1_11comp_targetILNS1_3genE8ELNS1_11target_archE1030ELNS1_3gpuE2ELNS1_3repE0EEENS1_47radix_sort_onesweep_sort_config_static_selectorELNS0_4arch9wavefront6targetE0EEEvSG_,"axG",@progbits,_ZN7rocprim17ROCPRIM_400000_NS6detail17trampoline_kernelINS0_14default_configENS1_35radix_sort_onesweep_config_selectorIfNS0_10empty_typeEEEZZNS1_29radix_sort_onesweep_iterationIS3_Lb1EPKfPfPS5_SB_mNS0_19identity_decomposerENS1_16block_id_wrapperIjLb1EEEEE10hipError_tT1_PNSt15iterator_traitsISG_E10value_typeET2_T3_PNSH_ISM_E10value_typeET4_T5_PSR_SS_PNS1_23onesweep_lookback_stateEbbT6_jjT7_P12ihipStream_tbENKUlT_T0_SG_SL_E_clISA_SA_SB_SB_EEDaSZ_S10_SG_SL_EUlSZ_E_NS1_11comp_targetILNS1_3genE8ELNS1_11target_archE1030ELNS1_3gpuE2ELNS1_3repE0EEENS1_47radix_sort_onesweep_sort_config_static_selectorELNS0_4arch9wavefront6targetE0EEEvSG_,comdat
	.protected	_ZN7rocprim17ROCPRIM_400000_NS6detail17trampoline_kernelINS0_14default_configENS1_35radix_sort_onesweep_config_selectorIfNS0_10empty_typeEEEZZNS1_29radix_sort_onesweep_iterationIS3_Lb1EPKfPfPS5_SB_mNS0_19identity_decomposerENS1_16block_id_wrapperIjLb1EEEEE10hipError_tT1_PNSt15iterator_traitsISG_E10value_typeET2_T3_PNSH_ISM_E10value_typeET4_T5_PSR_SS_PNS1_23onesweep_lookback_stateEbbT6_jjT7_P12ihipStream_tbENKUlT_T0_SG_SL_E_clISA_SA_SB_SB_EEDaSZ_S10_SG_SL_EUlSZ_E_NS1_11comp_targetILNS1_3genE8ELNS1_11target_archE1030ELNS1_3gpuE2ELNS1_3repE0EEENS1_47radix_sort_onesweep_sort_config_static_selectorELNS0_4arch9wavefront6targetE0EEEvSG_ ; -- Begin function _ZN7rocprim17ROCPRIM_400000_NS6detail17trampoline_kernelINS0_14default_configENS1_35radix_sort_onesweep_config_selectorIfNS0_10empty_typeEEEZZNS1_29radix_sort_onesweep_iterationIS3_Lb1EPKfPfPS5_SB_mNS0_19identity_decomposerENS1_16block_id_wrapperIjLb1EEEEE10hipError_tT1_PNSt15iterator_traitsISG_E10value_typeET2_T3_PNSH_ISM_E10value_typeET4_T5_PSR_SS_PNS1_23onesweep_lookback_stateEbbT6_jjT7_P12ihipStream_tbENKUlT_T0_SG_SL_E_clISA_SA_SB_SB_EEDaSZ_S10_SG_SL_EUlSZ_E_NS1_11comp_targetILNS1_3genE8ELNS1_11target_archE1030ELNS1_3gpuE2ELNS1_3repE0EEENS1_47radix_sort_onesweep_sort_config_static_selectorELNS0_4arch9wavefront6targetE0EEEvSG_
	.globl	_ZN7rocprim17ROCPRIM_400000_NS6detail17trampoline_kernelINS0_14default_configENS1_35radix_sort_onesweep_config_selectorIfNS0_10empty_typeEEEZZNS1_29radix_sort_onesweep_iterationIS3_Lb1EPKfPfPS5_SB_mNS0_19identity_decomposerENS1_16block_id_wrapperIjLb1EEEEE10hipError_tT1_PNSt15iterator_traitsISG_E10value_typeET2_T3_PNSH_ISM_E10value_typeET4_T5_PSR_SS_PNS1_23onesweep_lookback_stateEbbT6_jjT7_P12ihipStream_tbENKUlT_T0_SG_SL_E_clISA_SA_SB_SB_EEDaSZ_S10_SG_SL_EUlSZ_E_NS1_11comp_targetILNS1_3genE8ELNS1_11target_archE1030ELNS1_3gpuE2ELNS1_3repE0EEENS1_47radix_sort_onesweep_sort_config_static_selectorELNS0_4arch9wavefront6targetE0EEEvSG_
	.p2align	8
	.type	_ZN7rocprim17ROCPRIM_400000_NS6detail17trampoline_kernelINS0_14default_configENS1_35radix_sort_onesweep_config_selectorIfNS0_10empty_typeEEEZZNS1_29radix_sort_onesweep_iterationIS3_Lb1EPKfPfPS5_SB_mNS0_19identity_decomposerENS1_16block_id_wrapperIjLb1EEEEE10hipError_tT1_PNSt15iterator_traitsISG_E10value_typeET2_T3_PNSH_ISM_E10value_typeET4_T5_PSR_SS_PNS1_23onesweep_lookback_stateEbbT6_jjT7_P12ihipStream_tbENKUlT_T0_SG_SL_E_clISA_SA_SB_SB_EEDaSZ_S10_SG_SL_EUlSZ_E_NS1_11comp_targetILNS1_3genE8ELNS1_11target_archE1030ELNS1_3gpuE2ELNS1_3repE0EEENS1_47radix_sort_onesweep_sort_config_static_selectorELNS0_4arch9wavefront6targetE0EEEvSG_,@function
_ZN7rocprim17ROCPRIM_400000_NS6detail17trampoline_kernelINS0_14default_configENS1_35radix_sort_onesweep_config_selectorIfNS0_10empty_typeEEEZZNS1_29radix_sort_onesweep_iterationIS3_Lb1EPKfPfPS5_SB_mNS0_19identity_decomposerENS1_16block_id_wrapperIjLb1EEEEE10hipError_tT1_PNSt15iterator_traitsISG_E10value_typeET2_T3_PNSH_ISM_E10value_typeET4_T5_PSR_SS_PNS1_23onesweep_lookback_stateEbbT6_jjT7_P12ihipStream_tbENKUlT_T0_SG_SL_E_clISA_SA_SB_SB_EEDaSZ_S10_SG_SL_EUlSZ_E_NS1_11comp_targetILNS1_3genE8ELNS1_11target_archE1030ELNS1_3gpuE2ELNS1_3repE0EEENS1_47radix_sort_onesweep_sort_config_static_selectorELNS0_4arch9wavefront6targetE0EEEvSG_: ; @_ZN7rocprim17ROCPRIM_400000_NS6detail17trampoline_kernelINS0_14default_configENS1_35radix_sort_onesweep_config_selectorIfNS0_10empty_typeEEEZZNS1_29radix_sort_onesweep_iterationIS3_Lb1EPKfPfPS5_SB_mNS0_19identity_decomposerENS1_16block_id_wrapperIjLb1EEEEE10hipError_tT1_PNSt15iterator_traitsISG_E10value_typeET2_T3_PNSH_ISM_E10value_typeET4_T5_PSR_SS_PNS1_23onesweep_lookback_stateEbbT6_jjT7_P12ihipStream_tbENKUlT_T0_SG_SL_E_clISA_SA_SB_SB_EEDaSZ_S10_SG_SL_EUlSZ_E_NS1_11comp_targetILNS1_3genE8ELNS1_11target_archE1030ELNS1_3gpuE2ELNS1_3repE0EEENS1_47radix_sort_onesweep_sort_config_static_selectorELNS0_4arch9wavefront6targetE0EEEvSG_
; %bb.0:
	.section	.rodata,"a",@progbits
	.p2align	6, 0x0
	.amdhsa_kernel _ZN7rocprim17ROCPRIM_400000_NS6detail17trampoline_kernelINS0_14default_configENS1_35radix_sort_onesweep_config_selectorIfNS0_10empty_typeEEEZZNS1_29radix_sort_onesweep_iterationIS3_Lb1EPKfPfPS5_SB_mNS0_19identity_decomposerENS1_16block_id_wrapperIjLb1EEEEE10hipError_tT1_PNSt15iterator_traitsISG_E10value_typeET2_T3_PNSH_ISM_E10value_typeET4_T5_PSR_SS_PNS1_23onesweep_lookback_stateEbbT6_jjT7_P12ihipStream_tbENKUlT_T0_SG_SL_E_clISA_SA_SB_SB_EEDaSZ_S10_SG_SL_EUlSZ_E_NS1_11comp_targetILNS1_3genE8ELNS1_11target_archE1030ELNS1_3gpuE2ELNS1_3repE0EEENS1_47radix_sort_onesweep_sort_config_static_selectorELNS0_4arch9wavefront6targetE0EEEvSG_
		.amdhsa_group_segment_fixed_size 0
		.amdhsa_private_segment_fixed_size 0
		.amdhsa_kernarg_size 88
		.amdhsa_user_sgpr_count 2
		.amdhsa_user_sgpr_dispatch_ptr 0
		.amdhsa_user_sgpr_queue_ptr 0
		.amdhsa_user_sgpr_kernarg_segment_ptr 1
		.amdhsa_user_sgpr_dispatch_id 0
		.amdhsa_user_sgpr_kernarg_preload_length 0
		.amdhsa_user_sgpr_kernarg_preload_offset 0
		.amdhsa_user_sgpr_private_segment_size 0
		.amdhsa_wavefront_size32 1
		.amdhsa_uses_dynamic_stack 0
		.amdhsa_enable_private_segment 0
		.amdhsa_system_sgpr_workgroup_id_x 1
		.amdhsa_system_sgpr_workgroup_id_y 0
		.amdhsa_system_sgpr_workgroup_id_z 0
		.amdhsa_system_sgpr_workgroup_info 0
		.amdhsa_system_vgpr_workitem_id 0
		.amdhsa_next_free_vgpr 1
		.amdhsa_next_free_sgpr 1
		.amdhsa_named_barrier_count 0
		.amdhsa_reserve_vcc 0
		.amdhsa_float_round_mode_32 0
		.amdhsa_float_round_mode_16_64 0
		.amdhsa_float_denorm_mode_32 3
		.amdhsa_float_denorm_mode_16_64 3
		.amdhsa_fp16_overflow 0
		.amdhsa_memory_ordered 1
		.amdhsa_forward_progress 1
		.amdhsa_inst_pref_size 0
		.amdhsa_round_robin_scheduling 0
		.amdhsa_exception_fp_ieee_invalid_op 0
		.amdhsa_exception_fp_denorm_src 0
		.amdhsa_exception_fp_ieee_div_zero 0
		.amdhsa_exception_fp_ieee_overflow 0
		.amdhsa_exception_fp_ieee_underflow 0
		.amdhsa_exception_fp_ieee_inexact 0
		.amdhsa_exception_int_div_zero 0
	.end_amdhsa_kernel
	.section	.text._ZN7rocprim17ROCPRIM_400000_NS6detail17trampoline_kernelINS0_14default_configENS1_35radix_sort_onesweep_config_selectorIfNS0_10empty_typeEEEZZNS1_29radix_sort_onesweep_iterationIS3_Lb1EPKfPfPS5_SB_mNS0_19identity_decomposerENS1_16block_id_wrapperIjLb1EEEEE10hipError_tT1_PNSt15iterator_traitsISG_E10value_typeET2_T3_PNSH_ISM_E10value_typeET4_T5_PSR_SS_PNS1_23onesweep_lookback_stateEbbT6_jjT7_P12ihipStream_tbENKUlT_T0_SG_SL_E_clISA_SA_SB_SB_EEDaSZ_S10_SG_SL_EUlSZ_E_NS1_11comp_targetILNS1_3genE8ELNS1_11target_archE1030ELNS1_3gpuE2ELNS1_3repE0EEENS1_47radix_sort_onesweep_sort_config_static_selectorELNS0_4arch9wavefront6targetE0EEEvSG_,"axG",@progbits,_ZN7rocprim17ROCPRIM_400000_NS6detail17trampoline_kernelINS0_14default_configENS1_35radix_sort_onesweep_config_selectorIfNS0_10empty_typeEEEZZNS1_29radix_sort_onesweep_iterationIS3_Lb1EPKfPfPS5_SB_mNS0_19identity_decomposerENS1_16block_id_wrapperIjLb1EEEEE10hipError_tT1_PNSt15iterator_traitsISG_E10value_typeET2_T3_PNSH_ISM_E10value_typeET4_T5_PSR_SS_PNS1_23onesweep_lookback_stateEbbT6_jjT7_P12ihipStream_tbENKUlT_T0_SG_SL_E_clISA_SA_SB_SB_EEDaSZ_S10_SG_SL_EUlSZ_E_NS1_11comp_targetILNS1_3genE8ELNS1_11target_archE1030ELNS1_3gpuE2ELNS1_3repE0EEENS1_47radix_sort_onesweep_sort_config_static_selectorELNS0_4arch9wavefront6targetE0EEEvSG_,comdat
.Lfunc_end1336:
	.size	_ZN7rocprim17ROCPRIM_400000_NS6detail17trampoline_kernelINS0_14default_configENS1_35radix_sort_onesweep_config_selectorIfNS0_10empty_typeEEEZZNS1_29radix_sort_onesweep_iterationIS3_Lb1EPKfPfPS5_SB_mNS0_19identity_decomposerENS1_16block_id_wrapperIjLb1EEEEE10hipError_tT1_PNSt15iterator_traitsISG_E10value_typeET2_T3_PNSH_ISM_E10value_typeET4_T5_PSR_SS_PNS1_23onesweep_lookback_stateEbbT6_jjT7_P12ihipStream_tbENKUlT_T0_SG_SL_E_clISA_SA_SB_SB_EEDaSZ_S10_SG_SL_EUlSZ_E_NS1_11comp_targetILNS1_3genE8ELNS1_11target_archE1030ELNS1_3gpuE2ELNS1_3repE0EEENS1_47radix_sort_onesweep_sort_config_static_selectorELNS0_4arch9wavefront6targetE0EEEvSG_, .Lfunc_end1336-_ZN7rocprim17ROCPRIM_400000_NS6detail17trampoline_kernelINS0_14default_configENS1_35radix_sort_onesweep_config_selectorIfNS0_10empty_typeEEEZZNS1_29radix_sort_onesweep_iterationIS3_Lb1EPKfPfPS5_SB_mNS0_19identity_decomposerENS1_16block_id_wrapperIjLb1EEEEE10hipError_tT1_PNSt15iterator_traitsISG_E10value_typeET2_T3_PNSH_ISM_E10value_typeET4_T5_PSR_SS_PNS1_23onesweep_lookback_stateEbbT6_jjT7_P12ihipStream_tbENKUlT_T0_SG_SL_E_clISA_SA_SB_SB_EEDaSZ_S10_SG_SL_EUlSZ_E_NS1_11comp_targetILNS1_3genE8ELNS1_11target_archE1030ELNS1_3gpuE2ELNS1_3repE0EEENS1_47radix_sort_onesweep_sort_config_static_selectorELNS0_4arch9wavefront6targetE0EEEvSG_
                                        ; -- End function
	.set _ZN7rocprim17ROCPRIM_400000_NS6detail17trampoline_kernelINS0_14default_configENS1_35radix_sort_onesweep_config_selectorIfNS0_10empty_typeEEEZZNS1_29radix_sort_onesweep_iterationIS3_Lb1EPKfPfPS5_SB_mNS0_19identity_decomposerENS1_16block_id_wrapperIjLb1EEEEE10hipError_tT1_PNSt15iterator_traitsISG_E10value_typeET2_T3_PNSH_ISM_E10value_typeET4_T5_PSR_SS_PNS1_23onesweep_lookback_stateEbbT6_jjT7_P12ihipStream_tbENKUlT_T0_SG_SL_E_clISA_SA_SB_SB_EEDaSZ_S10_SG_SL_EUlSZ_E_NS1_11comp_targetILNS1_3genE8ELNS1_11target_archE1030ELNS1_3gpuE2ELNS1_3repE0EEENS1_47radix_sort_onesweep_sort_config_static_selectorELNS0_4arch9wavefront6targetE0EEEvSG_.num_vgpr, 0
	.set _ZN7rocprim17ROCPRIM_400000_NS6detail17trampoline_kernelINS0_14default_configENS1_35radix_sort_onesweep_config_selectorIfNS0_10empty_typeEEEZZNS1_29radix_sort_onesweep_iterationIS3_Lb1EPKfPfPS5_SB_mNS0_19identity_decomposerENS1_16block_id_wrapperIjLb1EEEEE10hipError_tT1_PNSt15iterator_traitsISG_E10value_typeET2_T3_PNSH_ISM_E10value_typeET4_T5_PSR_SS_PNS1_23onesweep_lookback_stateEbbT6_jjT7_P12ihipStream_tbENKUlT_T0_SG_SL_E_clISA_SA_SB_SB_EEDaSZ_S10_SG_SL_EUlSZ_E_NS1_11comp_targetILNS1_3genE8ELNS1_11target_archE1030ELNS1_3gpuE2ELNS1_3repE0EEENS1_47radix_sort_onesweep_sort_config_static_selectorELNS0_4arch9wavefront6targetE0EEEvSG_.num_agpr, 0
	.set _ZN7rocprim17ROCPRIM_400000_NS6detail17trampoline_kernelINS0_14default_configENS1_35radix_sort_onesweep_config_selectorIfNS0_10empty_typeEEEZZNS1_29radix_sort_onesweep_iterationIS3_Lb1EPKfPfPS5_SB_mNS0_19identity_decomposerENS1_16block_id_wrapperIjLb1EEEEE10hipError_tT1_PNSt15iterator_traitsISG_E10value_typeET2_T3_PNSH_ISM_E10value_typeET4_T5_PSR_SS_PNS1_23onesweep_lookback_stateEbbT6_jjT7_P12ihipStream_tbENKUlT_T0_SG_SL_E_clISA_SA_SB_SB_EEDaSZ_S10_SG_SL_EUlSZ_E_NS1_11comp_targetILNS1_3genE8ELNS1_11target_archE1030ELNS1_3gpuE2ELNS1_3repE0EEENS1_47radix_sort_onesweep_sort_config_static_selectorELNS0_4arch9wavefront6targetE0EEEvSG_.numbered_sgpr, 0
	.set _ZN7rocprim17ROCPRIM_400000_NS6detail17trampoline_kernelINS0_14default_configENS1_35radix_sort_onesweep_config_selectorIfNS0_10empty_typeEEEZZNS1_29radix_sort_onesweep_iterationIS3_Lb1EPKfPfPS5_SB_mNS0_19identity_decomposerENS1_16block_id_wrapperIjLb1EEEEE10hipError_tT1_PNSt15iterator_traitsISG_E10value_typeET2_T3_PNSH_ISM_E10value_typeET4_T5_PSR_SS_PNS1_23onesweep_lookback_stateEbbT6_jjT7_P12ihipStream_tbENKUlT_T0_SG_SL_E_clISA_SA_SB_SB_EEDaSZ_S10_SG_SL_EUlSZ_E_NS1_11comp_targetILNS1_3genE8ELNS1_11target_archE1030ELNS1_3gpuE2ELNS1_3repE0EEENS1_47radix_sort_onesweep_sort_config_static_selectorELNS0_4arch9wavefront6targetE0EEEvSG_.num_named_barrier, 0
	.set _ZN7rocprim17ROCPRIM_400000_NS6detail17trampoline_kernelINS0_14default_configENS1_35radix_sort_onesweep_config_selectorIfNS0_10empty_typeEEEZZNS1_29radix_sort_onesweep_iterationIS3_Lb1EPKfPfPS5_SB_mNS0_19identity_decomposerENS1_16block_id_wrapperIjLb1EEEEE10hipError_tT1_PNSt15iterator_traitsISG_E10value_typeET2_T3_PNSH_ISM_E10value_typeET4_T5_PSR_SS_PNS1_23onesweep_lookback_stateEbbT6_jjT7_P12ihipStream_tbENKUlT_T0_SG_SL_E_clISA_SA_SB_SB_EEDaSZ_S10_SG_SL_EUlSZ_E_NS1_11comp_targetILNS1_3genE8ELNS1_11target_archE1030ELNS1_3gpuE2ELNS1_3repE0EEENS1_47radix_sort_onesweep_sort_config_static_selectorELNS0_4arch9wavefront6targetE0EEEvSG_.private_seg_size, 0
	.set _ZN7rocprim17ROCPRIM_400000_NS6detail17trampoline_kernelINS0_14default_configENS1_35radix_sort_onesweep_config_selectorIfNS0_10empty_typeEEEZZNS1_29radix_sort_onesweep_iterationIS3_Lb1EPKfPfPS5_SB_mNS0_19identity_decomposerENS1_16block_id_wrapperIjLb1EEEEE10hipError_tT1_PNSt15iterator_traitsISG_E10value_typeET2_T3_PNSH_ISM_E10value_typeET4_T5_PSR_SS_PNS1_23onesweep_lookback_stateEbbT6_jjT7_P12ihipStream_tbENKUlT_T0_SG_SL_E_clISA_SA_SB_SB_EEDaSZ_S10_SG_SL_EUlSZ_E_NS1_11comp_targetILNS1_3genE8ELNS1_11target_archE1030ELNS1_3gpuE2ELNS1_3repE0EEENS1_47radix_sort_onesweep_sort_config_static_selectorELNS0_4arch9wavefront6targetE0EEEvSG_.uses_vcc, 0
	.set _ZN7rocprim17ROCPRIM_400000_NS6detail17trampoline_kernelINS0_14default_configENS1_35radix_sort_onesweep_config_selectorIfNS0_10empty_typeEEEZZNS1_29radix_sort_onesweep_iterationIS3_Lb1EPKfPfPS5_SB_mNS0_19identity_decomposerENS1_16block_id_wrapperIjLb1EEEEE10hipError_tT1_PNSt15iterator_traitsISG_E10value_typeET2_T3_PNSH_ISM_E10value_typeET4_T5_PSR_SS_PNS1_23onesweep_lookback_stateEbbT6_jjT7_P12ihipStream_tbENKUlT_T0_SG_SL_E_clISA_SA_SB_SB_EEDaSZ_S10_SG_SL_EUlSZ_E_NS1_11comp_targetILNS1_3genE8ELNS1_11target_archE1030ELNS1_3gpuE2ELNS1_3repE0EEENS1_47radix_sort_onesweep_sort_config_static_selectorELNS0_4arch9wavefront6targetE0EEEvSG_.uses_flat_scratch, 0
	.set _ZN7rocprim17ROCPRIM_400000_NS6detail17trampoline_kernelINS0_14default_configENS1_35radix_sort_onesweep_config_selectorIfNS0_10empty_typeEEEZZNS1_29radix_sort_onesweep_iterationIS3_Lb1EPKfPfPS5_SB_mNS0_19identity_decomposerENS1_16block_id_wrapperIjLb1EEEEE10hipError_tT1_PNSt15iterator_traitsISG_E10value_typeET2_T3_PNSH_ISM_E10value_typeET4_T5_PSR_SS_PNS1_23onesweep_lookback_stateEbbT6_jjT7_P12ihipStream_tbENKUlT_T0_SG_SL_E_clISA_SA_SB_SB_EEDaSZ_S10_SG_SL_EUlSZ_E_NS1_11comp_targetILNS1_3genE8ELNS1_11target_archE1030ELNS1_3gpuE2ELNS1_3repE0EEENS1_47radix_sort_onesweep_sort_config_static_selectorELNS0_4arch9wavefront6targetE0EEEvSG_.has_dyn_sized_stack, 0
	.set _ZN7rocprim17ROCPRIM_400000_NS6detail17trampoline_kernelINS0_14default_configENS1_35radix_sort_onesweep_config_selectorIfNS0_10empty_typeEEEZZNS1_29radix_sort_onesweep_iterationIS3_Lb1EPKfPfPS5_SB_mNS0_19identity_decomposerENS1_16block_id_wrapperIjLb1EEEEE10hipError_tT1_PNSt15iterator_traitsISG_E10value_typeET2_T3_PNSH_ISM_E10value_typeET4_T5_PSR_SS_PNS1_23onesweep_lookback_stateEbbT6_jjT7_P12ihipStream_tbENKUlT_T0_SG_SL_E_clISA_SA_SB_SB_EEDaSZ_S10_SG_SL_EUlSZ_E_NS1_11comp_targetILNS1_3genE8ELNS1_11target_archE1030ELNS1_3gpuE2ELNS1_3repE0EEENS1_47radix_sort_onesweep_sort_config_static_selectorELNS0_4arch9wavefront6targetE0EEEvSG_.has_recursion, 0
	.set _ZN7rocprim17ROCPRIM_400000_NS6detail17trampoline_kernelINS0_14default_configENS1_35radix_sort_onesweep_config_selectorIfNS0_10empty_typeEEEZZNS1_29radix_sort_onesweep_iterationIS3_Lb1EPKfPfPS5_SB_mNS0_19identity_decomposerENS1_16block_id_wrapperIjLb1EEEEE10hipError_tT1_PNSt15iterator_traitsISG_E10value_typeET2_T3_PNSH_ISM_E10value_typeET4_T5_PSR_SS_PNS1_23onesweep_lookback_stateEbbT6_jjT7_P12ihipStream_tbENKUlT_T0_SG_SL_E_clISA_SA_SB_SB_EEDaSZ_S10_SG_SL_EUlSZ_E_NS1_11comp_targetILNS1_3genE8ELNS1_11target_archE1030ELNS1_3gpuE2ELNS1_3repE0EEENS1_47radix_sort_onesweep_sort_config_static_selectorELNS0_4arch9wavefront6targetE0EEEvSG_.has_indirect_call, 0
	.section	.AMDGPU.csdata,"",@progbits
; Kernel info:
; codeLenInByte = 0
; TotalNumSgprs: 0
; NumVgprs: 0
; ScratchSize: 0
; MemoryBound: 0
; FloatMode: 240
; IeeeMode: 1
; LDSByteSize: 0 bytes/workgroup (compile time only)
; SGPRBlocks: 0
; VGPRBlocks: 0
; NumSGPRsForWavesPerEU: 1
; NumVGPRsForWavesPerEU: 1
; NamedBarCnt: 0
; Occupancy: 16
; WaveLimiterHint : 0
; COMPUTE_PGM_RSRC2:SCRATCH_EN: 0
; COMPUTE_PGM_RSRC2:USER_SGPR: 2
; COMPUTE_PGM_RSRC2:TRAP_HANDLER: 0
; COMPUTE_PGM_RSRC2:TGID_X_EN: 1
; COMPUTE_PGM_RSRC2:TGID_Y_EN: 0
; COMPUTE_PGM_RSRC2:TGID_Z_EN: 0
; COMPUTE_PGM_RSRC2:TIDIG_COMP_CNT: 0
	.section	.text._ZN7rocprim17ROCPRIM_400000_NS6detail17trampoline_kernelINS0_14default_configENS1_35radix_sort_onesweep_config_selectorIfNS0_10empty_typeEEEZZNS1_29radix_sort_onesweep_iterationIS3_Lb1EPKfPfPS5_SB_mNS0_19identity_decomposerENS1_16block_id_wrapperIjLb0EEEEE10hipError_tT1_PNSt15iterator_traitsISG_E10value_typeET2_T3_PNSH_ISM_E10value_typeET4_T5_PSR_SS_PNS1_23onesweep_lookback_stateEbbT6_jjT7_P12ihipStream_tbENKUlT_T0_SG_SL_E_clIS9_SA_SB_SB_EEDaSZ_S10_SG_SL_EUlSZ_E_NS1_11comp_targetILNS1_3genE0ELNS1_11target_archE4294967295ELNS1_3gpuE0ELNS1_3repE0EEENS1_47radix_sort_onesweep_sort_config_static_selectorELNS0_4arch9wavefront6targetE0EEEvSG_,"axG",@progbits,_ZN7rocprim17ROCPRIM_400000_NS6detail17trampoline_kernelINS0_14default_configENS1_35radix_sort_onesweep_config_selectorIfNS0_10empty_typeEEEZZNS1_29radix_sort_onesweep_iterationIS3_Lb1EPKfPfPS5_SB_mNS0_19identity_decomposerENS1_16block_id_wrapperIjLb0EEEEE10hipError_tT1_PNSt15iterator_traitsISG_E10value_typeET2_T3_PNSH_ISM_E10value_typeET4_T5_PSR_SS_PNS1_23onesweep_lookback_stateEbbT6_jjT7_P12ihipStream_tbENKUlT_T0_SG_SL_E_clIS9_SA_SB_SB_EEDaSZ_S10_SG_SL_EUlSZ_E_NS1_11comp_targetILNS1_3genE0ELNS1_11target_archE4294967295ELNS1_3gpuE0ELNS1_3repE0EEENS1_47radix_sort_onesweep_sort_config_static_selectorELNS0_4arch9wavefront6targetE0EEEvSG_,comdat
	.protected	_ZN7rocprim17ROCPRIM_400000_NS6detail17trampoline_kernelINS0_14default_configENS1_35radix_sort_onesweep_config_selectorIfNS0_10empty_typeEEEZZNS1_29radix_sort_onesweep_iterationIS3_Lb1EPKfPfPS5_SB_mNS0_19identity_decomposerENS1_16block_id_wrapperIjLb0EEEEE10hipError_tT1_PNSt15iterator_traitsISG_E10value_typeET2_T3_PNSH_ISM_E10value_typeET4_T5_PSR_SS_PNS1_23onesweep_lookback_stateEbbT6_jjT7_P12ihipStream_tbENKUlT_T0_SG_SL_E_clIS9_SA_SB_SB_EEDaSZ_S10_SG_SL_EUlSZ_E_NS1_11comp_targetILNS1_3genE0ELNS1_11target_archE4294967295ELNS1_3gpuE0ELNS1_3repE0EEENS1_47radix_sort_onesweep_sort_config_static_selectorELNS0_4arch9wavefront6targetE0EEEvSG_ ; -- Begin function _ZN7rocprim17ROCPRIM_400000_NS6detail17trampoline_kernelINS0_14default_configENS1_35radix_sort_onesweep_config_selectorIfNS0_10empty_typeEEEZZNS1_29radix_sort_onesweep_iterationIS3_Lb1EPKfPfPS5_SB_mNS0_19identity_decomposerENS1_16block_id_wrapperIjLb0EEEEE10hipError_tT1_PNSt15iterator_traitsISG_E10value_typeET2_T3_PNSH_ISM_E10value_typeET4_T5_PSR_SS_PNS1_23onesweep_lookback_stateEbbT6_jjT7_P12ihipStream_tbENKUlT_T0_SG_SL_E_clIS9_SA_SB_SB_EEDaSZ_S10_SG_SL_EUlSZ_E_NS1_11comp_targetILNS1_3genE0ELNS1_11target_archE4294967295ELNS1_3gpuE0ELNS1_3repE0EEENS1_47radix_sort_onesweep_sort_config_static_selectorELNS0_4arch9wavefront6targetE0EEEvSG_
	.globl	_ZN7rocprim17ROCPRIM_400000_NS6detail17trampoline_kernelINS0_14default_configENS1_35radix_sort_onesweep_config_selectorIfNS0_10empty_typeEEEZZNS1_29radix_sort_onesweep_iterationIS3_Lb1EPKfPfPS5_SB_mNS0_19identity_decomposerENS1_16block_id_wrapperIjLb0EEEEE10hipError_tT1_PNSt15iterator_traitsISG_E10value_typeET2_T3_PNSH_ISM_E10value_typeET4_T5_PSR_SS_PNS1_23onesweep_lookback_stateEbbT6_jjT7_P12ihipStream_tbENKUlT_T0_SG_SL_E_clIS9_SA_SB_SB_EEDaSZ_S10_SG_SL_EUlSZ_E_NS1_11comp_targetILNS1_3genE0ELNS1_11target_archE4294967295ELNS1_3gpuE0ELNS1_3repE0EEENS1_47radix_sort_onesweep_sort_config_static_selectorELNS0_4arch9wavefront6targetE0EEEvSG_
	.p2align	8
	.type	_ZN7rocprim17ROCPRIM_400000_NS6detail17trampoline_kernelINS0_14default_configENS1_35radix_sort_onesweep_config_selectorIfNS0_10empty_typeEEEZZNS1_29radix_sort_onesweep_iterationIS3_Lb1EPKfPfPS5_SB_mNS0_19identity_decomposerENS1_16block_id_wrapperIjLb0EEEEE10hipError_tT1_PNSt15iterator_traitsISG_E10value_typeET2_T3_PNSH_ISM_E10value_typeET4_T5_PSR_SS_PNS1_23onesweep_lookback_stateEbbT6_jjT7_P12ihipStream_tbENKUlT_T0_SG_SL_E_clIS9_SA_SB_SB_EEDaSZ_S10_SG_SL_EUlSZ_E_NS1_11comp_targetILNS1_3genE0ELNS1_11target_archE4294967295ELNS1_3gpuE0ELNS1_3repE0EEENS1_47radix_sort_onesweep_sort_config_static_selectorELNS0_4arch9wavefront6targetE0EEEvSG_,@function
_ZN7rocprim17ROCPRIM_400000_NS6detail17trampoline_kernelINS0_14default_configENS1_35radix_sort_onesweep_config_selectorIfNS0_10empty_typeEEEZZNS1_29radix_sort_onesweep_iterationIS3_Lb1EPKfPfPS5_SB_mNS0_19identity_decomposerENS1_16block_id_wrapperIjLb0EEEEE10hipError_tT1_PNSt15iterator_traitsISG_E10value_typeET2_T3_PNSH_ISM_E10value_typeET4_T5_PSR_SS_PNS1_23onesweep_lookback_stateEbbT6_jjT7_P12ihipStream_tbENKUlT_T0_SG_SL_E_clIS9_SA_SB_SB_EEDaSZ_S10_SG_SL_EUlSZ_E_NS1_11comp_targetILNS1_3genE0ELNS1_11target_archE4294967295ELNS1_3gpuE0ELNS1_3repE0EEENS1_47radix_sort_onesweep_sort_config_static_selectorELNS0_4arch9wavefront6targetE0EEEvSG_: ; @_ZN7rocprim17ROCPRIM_400000_NS6detail17trampoline_kernelINS0_14default_configENS1_35radix_sort_onesweep_config_selectorIfNS0_10empty_typeEEEZZNS1_29radix_sort_onesweep_iterationIS3_Lb1EPKfPfPS5_SB_mNS0_19identity_decomposerENS1_16block_id_wrapperIjLb0EEEEE10hipError_tT1_PNSt15iterator_traitsISG_E10value_typeET2_T3_PNSH_ISM_E10value_typeET4_T5_PSR_SS_PNS1_23onesweep_lookback_stateEbbT6_jjT7_P12ihipStream_tbENKUlT_T0_SG_SL_E_clIS9_SA_SB_SB_EEDaSZ_S10_SG_SL_EUlSZ_E_NS1_11comp_targetILNS1_3genE0ELNS1_11target_archE4294967295ELNS1_3gpuE0ELNS1_3repE0EEENS1_47radix_sort_onesweep_sort_config_static_selectorELNS0_4arch9wavefront6targetE0EEEvSG_
; %bb.0:
	s_clause 0x3
	s_load_b96 s[20:22], s[0:1], 0x44
	s_load_b64 s[10:11], s[0:1], 0x38
	s_load_b128 s[16:19], s[0:1], 0x0
	s_load_b128 s[12:15], s[0:1], 0x28
	s_bfe_u32 s2, ttmp6, 0x4000c
	s_and_b32 s3, ttmp6, 15
	s_add_co_i32 s2, s2, 1
	s_getreg_b32 s4, hwreg(HW_REG_IB_STS2, 6, 4)
	s_mul_i32 s5, ttmp9, s2
	v_mbcnt_lo_u32_b32 v16, -1, 0
	s_add_co_i32 s3, s3, s5
	s_cmp_eq_u32 s4, 0
	v_and_b32_e32 v17, 0x1e0, v0
	s_cselect_b32 s9, ttmp9, s3
	s_mov_b32 s25, 0
	s_mov_b32 s2, -1
	s_mul_i32 s24, s9, 0x1800
	s_add_nc_u64 s[26:27], s[0:1], 0x58
	s_wait_kmcnt 0x0
	s_cmp_ge_u32 s9, s22
	s_cbranch_scc0 .LBB1337_90
; %bb.1:
	s_load_b32 s4, s[0:1], 0x20
	v_dual_mov_b32 v3, 0 :: v_dual_lshlrev_b32 v2, 2, v16
	s_lshl_b64 s[2:3], s[24:25], 2
	v_mul_u32_u24_e32 v1, 12, v17
	s_add_nc_u64 s[2:3], s[16:17], s[2:3]
	v_dual_mov_b32 v14, -1 :: v_dual_mov_b32 v7, -1
	v_add_nc_u64_e32 v[4:5], s[2:3], v[2:3]
	s_delay_alu instid0(VALU_DEP_3) | instskip(SKIP_1) | instid1(VALU_DEP_1)
	v_dual_lshlrev_b32 v2, 2, v1 :: v_dual_bitop2_b32 v1, v16, v1 bitop3:0x54
	s_mul_i32 s2, s22, 0xffffe800
	v_add_nc_u64_e32 v[2:3], v[4:5], v[2:3]
	s_wait_kmcnt 0x0
	s_add_co_i32 s22, s4, s2
	s_mov_b32 s2, exec_lo
	v_cmpx_gt_u32_e64 s22, v1
	s_cbranch_execz .LBB1337_3
; %bb.2:
	global_load_b32 v7, v[2:3], off
.LBB1337_3:
	s_wait_xcnt 0x0
	s_or_b32 exec_lo, exec_lo, s2
	v_or_b32_e32 v4, 32, v1
	s_mov_b32 s2, exec_lo
	s_delay_alu instid0(VALU_DEP_1)
	v_cmpx_gt_u32_e64 s22, v4
	s_cbranch_execz .LBB1337_5
; %bb.4:
	global_load_b32 v14, v[2:3], off offset:128
.LBB1337_5:
	s_wait_xcnt 0x0
	s_or_b32 exec_lo, exec_lo, s2
	v_dual_mov_b32 v21, -1 :: v_dual_bitop2_b32 v4, 64, v1 bitop3:0x54
	v_mov_b32_e32 v15, -1
	s_mov_b32 s2, exec_lo
	s_delay_alu instid0(VALU_DEP_2)
	v_cmpx_gt_u32_e64 s22, v4
	s_cbranch_execz .LBB1337_7
; %bb.6:
	global_load_b32 v15, v[2:3], off offset:256
.LBB1337_7:
	s_wait_xcnt 0x0
	s_or_b32 exec_lo, exec_lo, s2
	v_or_b32_e32 v4, 0x60, v1
	s_mov_b32 s2, exec_lo
	s_delay_alu instid0(VALU_DEP_1)
	v_cmpx_gt_u32_e64 s22, v4
	s_cbranch_execz .LBB1337_9
; %bb.8:
	global_load_b32 v21, v[2:3], off offset:384
.LBB1337_9:
	s_wait_xcnt 0x0
	s_or_b32 exec_lo, exec_lo, s2
	v_dual_mov_b32 v11, -1 :: v_dual_add_nc_u32 v4, 0x80, v1
	v_mov_b32_e32 v22, -1
	s_mov_b32 s2, exec_lo
	s_delay_alu instid0(VALU_DEP_2)
	v_cmpx_gt_u32_e64 s22, v4
	s_cbranch_execz .LBB1337_11
; %bb.10:
	global_load_b32 v22, v[2:3], off offset:512
.LBB1337_11:
	s_wait_xcnt 0x0
	s_or_b32 exec_lo, exec_lo, s2
	v_add_nc_u32_e32 v4, 0xa0, v1
	s_mov_b32 s2, exec_lo
	s_delay_alu instid0(VALU_DEP_1)
	v_cmpx_gt_u32_e64 s22, v4
	s_cbranch_execz .LBB1337_13
; %bb.12:
	global_load_b32 v11, v[2:3], off offset:640
.LBB1337_13:
	s_wait_xcnt 0x0
	s_or_b32 exec_lo, exec_lo, s2
	v_dual_mov_b32 v9, -1 :: v_dual_add_nc_u32 v4, 0xc0, v1
	v_mov_b32_e32 v10, -1
	s_mov_b32 s2, exec_lo
	s_delay_alu instid0(VALU_DEP_2)
	v_cmpx_gt_u32_e64 s22, v4
	s_cbranch_execz .LBB1337_15
; %bb.14:
	global_load_b32 v10, v[2:3], off offset:768
.LBB1337_15:
	s_wait_xcnt 0x0
	s_or_b32 exec_lo, exec_lo, s2
	v_add_nc_u32_e32 v4, 0xe0, v1
	s_mov_b32 s2, exec_lo
	s_delay_alu instid0(VALU_DEP_1)
	v_cmpx_gt_u32_e64 s22, v4
	s_cbranch_execz .LBB1337_17
; %bb.16:
	global_load_b32 v9, v[2:3], off offset:896
.LBB1337_17:
	s_wait_xcnt 0x0
	s_or_b32 exec_lo, exec_lo, s2
	v_add_nc_u32_e32 v4, 0x100, v1
	v_dual_mov_b32 v6, -1 :: v_dual_mov_b32 v8, -1
	s_mov_b32 s2, exec_lo
	s_delay_alu instid0(VALU_DEP_2)
	v_cmpx_gt_u32_e64 s22, v4
	s_cbranch_execz .LBB1337_19
; %bb.18:
	global_load_b32 v8, v[2:3], off offset:1024
.LBB1337_19:
	s_wait_xcnt 0x0
	s_or_b32 exec_lo, exec_lo, s2
	v_add_nc_u32_e32 v4, 0x120, v1
	s_mov_b32 s2, exec_lo
	s_delay_alu instid0(VALU_DEP_1)
	v_cmpx_gt_u32_e64 s22, v4
	s_cbranch_execz .LBB1337_21
; %bb.20:
	global_load_b32 v6, v[2:3], off offset:1152
.LBB1337_21:
	s_wait_xcnt 0x0
	s_or_b32 exec_lo, exec_lo, s2
	v_dual_mov_b32 v4, -1 :: v_dual_add_nc_u32 v5, 0x140, v1
	s_delay_alu instid0(VALU_DEP_1)
	v_cmp_gt_u32_e32 vcc_lo, s22, v5
	v_mov_b32_e32 v5, -1
	s_and_saveexec_b32 s2, vcc_lo
	s_cbranch_execz .LBB1337_23
; %bb.22:
	global_load_b32 v5, v[2:3], off offset:1280
.LBB1337_23:
	s_wait_xcnt 0x0
	s_or_b32 exec_lo, exec_lo, s2
	v_add_nc_u32_e32 v12, 0x160, v1
	v_and_b32_e32 v1, 0x3ff, v0
	s_mov_b32 s2, exec_lo
	s_delay_alu instid0(VALU_DEP_2)
	v_cmpx_gt_u32_e64 s22, v12
	s_cbranch_execz .LBB1337_25
; %bb.24:
	global_load_b32 v4, v[2:3], off offset:1408
.LBB1337_25:
	s_wait_xcnt 0x0
	s_or_b32 exec_lo, exec_lo, s2
	s_wait_loadcnt 0x0
	v_cmp_gt_i32_e32 vcc_lo, 0, v7
	s_clause 0x1
	s_load_b32 s23, s[0:1], 0x58
	s_load_u16 s4, s[0:1], 0x66
	v_bfe_u32 v3, v0, 10, 10
	s_mov_b32 s3, 0
	v_cndmask_b32_e64 v2, 0x7fffffff, 0, vcc_lo
	s_delay_alu instid0(VALU_DEP_1) | instskip(SKIP_1) | instid1(VALU_DEP_2)
	v_xor_b32_e32 v18, v2, v7
	v_bfe_u32 v7, v0, 20, 10
	v_cmp_ne_u32_e32 vcc_lo, 0x80000000, v18
	v_cndmask_b32_e32 v2, 0x7fffffff, v18, vcc_lo
	s_wait_kmcnt 0x0
	s_cmp_lt_u32 s9, s23
	v_mad_u32_u24 v3, v7, s4, v3
	s_cselect_b32 s2, 12, 18
	s_lshl_b32 s7, -1, s21
	v_lshrrev_b32_e32 v2, s20, v2
	s_add_nc_u64 s[2:3], s[26:27], s[2:3]
	s_not_b32 s25, s7
	s_load_u16 s8, s[2:3], 0x0
	s_delay_alu instid0(VALU_DEP_1) | instskip(SKIP_2) | instid1(VALU_DEP_2)
	v_bitop3_b32 v7, v2, 1, s7 bitop3:0x40
	v_bitop3_b32 v13, v2, s7, v2 bitop3:0x30
	s_wait_xcnt 0x0
	v_add_co_u32 v2, s2, v7, -1
	s_delay_alu instid0(VALU_DEP_1) | instskip(NEXT) | instid1(VALU_DEP_3)
	v_cndmask_b32_e64 v7, 0, 1, s2
	v_dual_lshlrev_b32 v12, 30, v13 :: v_dual_lshlrev_b32 v20, 28, v13
	v_dual_lshlrev_b32 v19, 29, v13 :: v_dual_lshlrev_b32 v23, 27, v13
	v_lshlrev_b32_e32 v24, 26, v13
	s_delay_alu instid0(VALU_DEP_4) | instskip(NEXT) | instid1(VALU_DEP_4)
	v_cmp_ne_u32_e32 vcc_lo, 0, v7
	v_not_b32_e32 v7, v12
	v_cmp_gt_i32_e64 s2, 0, v12
	v_cmp_gt_i32_e64 s3, 0, v19
	v_not_b32_e32 v12, v19
	v_not_b32_e32 v19, v20
	v_dual_ashrrev_i32 v7, 31, v7 :: v_dual_bitop2_b32 v2, vcc_lo, v2 bitop3:0x14
	v_dual_lshlrev_b32 v25, 25, v13 :: v_dual_lshlrev_b32 v26, 24, v13
	v_cmp_gt_i32_e64 s4, 0, v20
	v_cmp_gt_i32_e64 s5, 0, v23
	v_not_b32_e32 v20, v23
	v_not_b32_e32 v23, v24
	v_dual_ashrrev_i32 v12, 31, v12 :: v_dual_ashrrev_i32 v19, 31, v19
	s_delay_alu instid0(VALU_DEP_3)
	v_dual_ashrrev_i32 v20, 31, v20 :: v_dual_bitop2_b32 v7, s2, v7 bitop3:0x14
	s_wait_kmcnt 0x0
	v_mad_u32 v3, v3, s8, v1
	v_cmp_gt_i32_e64 s6, 0, v24
	v_dual_ashrrev_i32 v23, 31, v23 :: v_dual_bitop2_b32 v12, s3, v12 bitop3:0x14
	v_xor_b32_e32 v19, s4, v19
	v_bitop3_b32 v2, v2, v7, exec_lo bitop3:0x80
	v_not_b32_e32 v7, v25
	v_not_b32_e32 v24, v26
	v_xor_b32_e32 v20, s5, v20
	v_cmp_gt_i32_e32 vcc_lo, 0, v25
	v_bitop3_b32 v2, v2, v19, v12 bitop3:0x80
	s_delay_alu instid0(VALU_DEP_4) | instskip(SKIP_3) | instid1(VALU_DEP_4)
	v_dual_ashrrev_i32 v19, 31, v24 :: v_dual_bitop2_b32 v12, s6, v23 bitop3:0x14
	v_ashrrev_i32_e32 v7, 31, v7
	v_cmp_gt_i32_e64 s2, 0, v26
	v_lshrrev_b32_e32 v3, 5, v3
	v_bitop3_b32 v20, v2, v12, v20 bitop3:0x80
	s_delay_alu instid0(VALU_DEP_4) | instskip(NEXT) | instid1(VALU_DEP_4)
	v_dual_mov_b32 v23, 0 :: v_dual_bitop2_b32 v7, vcc_lo, v7 bitop3:0x14
	v_xor_b32_e32 v19, s2, v19
	s_delay_alu instid0(VALU_DEP_4)
	v_lshlrev_b32_e32 v2, 2, v3
	v_mul_u32_u24_e32 v12, 36, v1
	ds_store_2addr_b32 v12, v23, v23 offset0:16 offset1:17
	ds_store_2addr_b32 v12, v23, v23 offset0:18 offset1:19
	ds_store_2addr_b32 v12, v23, v23 offset0:20 offset1:21
	ds_store_2addr_b32 v12, v23, v23 offset0:22 offset1:23
	v_bitop3_b32 v3, v20, v19, v7 bitop3:0x80
	v_mad_u32 v13, 0x44, v13, v2
	ds_store_b32 v12, v23 offset:96
	s_wait_dscnt 0x0
	s_barrier_signal -1
	v_mbcnt_lo_u32_b32 v7, v3, 0
	v_cmp_ne_u32_e64 s2, 0, v3
	s_barrier_wait -1
	s_delay_alu instid0(VALU_DEP_2) | instskip(SKIP_1) | instid1(SALU_CYCLE_1)
	v_cmp_eq_u32_e32 vcc_lo, 0, v7
	; wave barrier
	s_and_b32 s3, s2, vcc_lo
	s_and_saveexec_b32 s2, s3
; %bb.26:
	v_bcnt_u32_b32 v3, v3, 0
	ds_store_b32 v13, v3 offset:64
; %bb.27:
	s_or_b32 exec_lo, exec_lo, s2
	v_cmp_gt_i32_e32 vcc_lo, 0, v14
	; wave barrier
	v_cndmask_b32_e64 v3, 0x7fffffff, 0, vcc_lo
	s_delay_alu instid0(VALU_DEP_1) | instskip(NEXT) | instid1(VALU_DEP_1)
	v_xor_b32_e32 v19, v3, v14
	v_cmp_ne_u32_e32 vcc_lo, 0x80000000, v19
	v_cndmask_b32_e32 v3, 0x7fffffff, v19, vcc_lo
	s_delay_alu instid0(VALU_DEP_1) | instskip(NEXT) | instid1(VALU_DEP_1)
	v_lshrrev_b32_e32 v3, s20, v3
	v_and_b32_e32 v20, s25, v3
	v_bitop3_b32 v3, v3, 1, s25 bitop3:0x80
	s_delay_alu instid0(VALU_DEP_2) | instskip(NEXT) | instid1(VALU_DEP_2)
	v_lshlrev_b32_e32 v24, 30, v20
	v_add_co_u32 v3, s2, v3, -1
	s_delay_alu instid0(VALU_DEP_1) | instskip(SKIP_1) | instid1(VALU_DEP_4)
	v_cndmask_b32_e64 v23, 0, 1, s2
	v_lshlrev_b32_e32 v25, 29, v20
	v_cmp_gt_i32_e64 s2, 0, v24
	s_delay_alu instid0(VALU_DEP_3) | instskip(SKIP_1) | instid1(VALU_DEP_4)
	v_cmp_ne_u32_e32 vcc_lo, 0, v23
	v_not_b32_e32 v23, v24
	v_not_b32_e32 v24, v25
	s_delay_alu instid0(VALU_DEP_1)
	v_ashrrev_i32_e32 v24, 31, v24
	v_lshlrev_b32_e32 v26, 28, v20
	v_mad_u32 v14, 0x44, v20, v2
	v_dual_lshlrev_b32 v27, 27, v20 :: v_dual_lshlrev_b32 v28, 26, v20
	v_dual_lshlrev_b32 v29, 25, v20 :: v_dual_lshlrev_b32 v20, 24, v20
	v_cmp_gt_i32_e64 s3, 0, v25
	v_not_b32_e32 v25, v26
	v_ashrrev_i32_e32 v23, 31, v23
	v_cmp_gt_i32_e64 s4, 0, v26
	v_cmp_gt_i32_e64 s5, 0, v27
	v_not_b32_e32 v26, v27
	v_not_b32_e32 v27, v28
	v_cmp_gt_i32_e64 s8, 0, v20
	v_not_b32_e32 v20, v20
	s_delay_alu instid0(VALU_DEP_4) | instskip(SKIP_1) | instid1(VALU_DEP_3)
	v_dual_ashrrev_i32 v26, 31, v26 :: v_dual_bitop2_b32 v3, vcc_lo, v3 bitop3:0x14
	v_dual_ashrrev_i32 v25, 31, v25 :: v_dual_bitop2_b32 v23, s2, v23 bitop3:0x14
	v_ashrrev_i32_e32 v20, 31, v20
	v_cmp_gt_i32_e64 s6, 0, v28
	v_not_b32_e32 v28, v29
	v_dual_ashrrev_i32 v27, 31, v27 :: v_dual_bitop2_b32 v24, s3, v24 bitop3:0x14
	v_xor_b32_e32 v25, s4, v25
	v_bitop3_b32 v3, v3, v23, exec_lo bitop3:0x80
	v_cmp_gt_i32_e64 s7, 0, v29
	v_dual_ashrrev_i32 v23, 31, v28 :: v_dual_bitop2_b32 v26, s5, v26 bitop3:0x14
	v_xor_b32_e32 v27, s6, v27
	s_delay_alu instid0(VALU_DEP_4) | instskip(SKIP_1) | instid1(VALU_DEP_4)
	v_bitop3_b32 v3, v3, v25, v24 bitop3:0x80
	v_xor_b32_e32 v20, s8, v20
	v_xor_b32_e32 v24, s7, v23
	ds_load_b32 v23, v14 offset:64
	v_bitop3_b32 v3, v3, v27, v26 bitop3:0x80
	; wave barrier
	s_delay_alu instid0(VALU_DEP_1) | instskip(NEXT) | instid1(VALU_DEP_1)
	v_bitop3_b32 v3, v3, v20, v24 bitop3:0x80
	v_mbcnt_lo_u32_b32 v24, v3, 0
	v_cmp_ne_u32_e64 s2, 0, v3
	s_delay_alu instid0(VALU_DEP_2) | instskip(SKIP_1) | instid1(SALU_CYCLE_1)
	v_cmp_eq_u32_e32 vcc_lo, 0, v24
	s_and_b32 s3, s2, vcc_lo
	s_and_saveexec_b32 s2, s3
	s_cbranch_execz .LBB1337_29
; %bb.28:
	s_wait_dscnt 0x0
	v_bcnt_u32_b32 v3, v3, v23
	ds_store_b32 v14, v3 offset:64
.LBB1337_29:
	s_or_b32 exec_lo, exec_lo, s2
	v_cmp_gt_i32_e32 vcc_lo, 0, v15
	; wave barrier
	v_cndmask_b32_e64 v3, 0x7fffffff, 0, vcc_lo
	s_delay_alu instid0(VALU_DEP_1) | instskip(NEXT) | instid1(VALU_DEP_1)
	v_xor_b32_e32 v20, v3, v15
	v_cmp_ne_u32_e32 vcc_lo, 0x80000000, v20
	v_cndmask_b32_e32 v3, 0x7fffffff, v20, vcc_lo
	s_delay_alu instid0(VALU_DEP_1) | instskip(NEXT) | instid1(VALU_DEP_1)
	v_lshrrev_b32_e32 v3, s20, v3
	v_and_b32_e32 v25, s25, v3
	s_delay_alu instid0(VALU_DEP_1) | instskip(SKIP_2) | instid1(VALU_DEP_3)
	v_lshlrev_b32_e32 v29, 28, v25
	v_bitop3_b32 v3, v3, 1, s25 bitop3:0x80
	v_lshlrev_b32_e32 v27, 30, v25
	v_cmp_gt_i32_e64 s4, 0, v29
	s_delay_alu instid0(VALU_DEP_3) | instskip(NEXT) | instid1(VALU_DEP_1)
	v_add_co_u32 v3, s2, v3, -1
	v_cndmask_b32_e64 v26, 0, 1, s2
	s_delay_alu instid0(VALU_DEP_4) | instskip(NEXT) | instid1(VALU_DEP_2)
	v_cmp_gt_i32_e64 s2, 0, v27
	v_cmp_ne_u32_e32 vcc_lo, 0, v26
	v_not_b32_e32 v26, v27
	s_delay_alu instid0(VALU_DEP_1) | instskip(SKIP_3) | instid1(VALU_DEP_4)
	v_dual_ashrrev_i32 v26, 31, v26 :: v_dual_lshlrev_b32 v28, 29, v25
	v_dual_lshlrev_b32 v30, 27, v25 :: v_dual_lshlrev_b32 v31, 26, v25
	v_mad_u32 v15, 0x44, v25, v2
	v_dual_lshlrev_b32 v32, 25, v25 :: v_dual_lshlrev_b32 v25, 24, v25
	v_cmp_gt_i32_e64 s3, 0, v28
	v_not_b32_e32 v27, v28
	v_not_b32_e32 v28, v29
	v_cmp_gt_i32_e64 s5, 0, v30
	v_not_b32_e32 v29, v30
	v_not_b32_e32 v30, v31
	s_delay_alu instid0(VALU_DEP_4)
	v_dual_ashrrev_i32 v28, 31, v28 :: v_dual_bitop2_b32 v3, vcc_lo, v3 bitop3:0x14
	v_dual_ashrrev_i32 v27, 31, v27 :: v_dual_bitop2_b32 v26, s2, v26 bitop3:0x14
	v_cmp_gt_i32_e64 s6, 0, v31
	v_not_b32_e32 v31, v32
	v_cmp_gt_i32_e64 s8, 0, v25
	v_not_b32_e32 v25, v25
	v_dual_ashrrev_i32 v29, 31, v29 :: v_dual_ashrrev_i32 v30, 31, v30
	v_xor_b32_e32 v27, s3, v27
	v_xor_b32_e32 v28, s4, v28
	v_bitop3_b32 v3, v3, v26, exec_lo bitop3:0x80
	v_cmp_gt_i32_e64 s7, 0, v32
	v_dual_ashrrev_i32 v26, 31, v31 :: v_dual_ashrrev_i32 v25, 31, v25
	v_xor_b32_e32 v29, s5, v29
	v_xor_b32_e32 v30, s6, v30
	v_bitop3_b32 v3, v3, v28, v27 bitop3:0x80
	s_delay_alu instid0(VALU_DEP_4) | instskip(SKIP_3) | instid1(VALU_DEP_1)
	v_xor_b32_e32 v27, s7, v26
	v_xor_b32_e32 v25, s8, v25
	ds_load_b32 v26, v15 offset:64
	v_bitop3_b32 v3, v3, v30, v29 bitop3:0x80
	; wave barrier
	v_bitop3_b32 v3, v3, v25, v27 bitop3:0x80
	s_delay_alu instid0(VALU_DEP_1) | instskip(SKIP_1) | instid1(VALU_DEP_2)
	v_mbcnt_lo_u32_b32 v27, v3, 0
	v_cmp_ne_u32_e64 s2, 0, v3
	v_cmp_eq_u32_e32 vcc_lo, 0, v27
	s_and_b32 s3, s2, vcc_lo
	s_delay_alu instid0(SALU_CYCLE_1)
	s_and_saveexec_b32 s2, s3
	s_cbranch_execz .LBB1337_31
; %bb.30:
	s_wait_dscnt 0x0
	v_bcnt_u32_b32 v3, v3, v26
	ds_store_b32 v15, v3 offset:64
.LBB1337_31:
	s_or_b32 exec_lo, exec_lo, s2
	v_cmp_gt_i32_e32 vcc_lo, 0, v21
	; wave barrier
	v_cndmask_b32_e64 v3, 0x7fffffff, 0, vcc_lo
	s_delay_alu instid0(VALU_DEP_1) | instskip(NEXT) | instid1(VALU_DEP_1)
	v_xor_b32_e32 v21, v3, v21
	v_cmp_ne_u32_e32 vcc_lo, 0x80000000, v21
	v_cndmask_b32_e32 v3, 0x7fffffff, v21, vcc_lo
	s_delay_alu instid0(VALU_DEP_1) | instskip(NEXT) | instid1(VALU_DEP_1)
	v_lshrrev_b32_e32 v3, s20, v3
	v_and_b32_e32 v25, s25, v3
	v_bitop3_b32 v3, v3, 1, s25 bitop3:0x80
	s_delay_alu instid0(VALU_DEP_2) | instskip(NEXT) | instid1(VALU_DEP_2)
	v_dual_lshlrev_b32 v29, 30, v25 :: v_dual_lshlrev_b32 v30, 29, v25
	v_add_co_u32 v3, s2, v3, -1
	s_delay_alu instid0(VALU_DEP_1) | instskip(NEXT) | instid1(VALU_DEP_3)
	v_cndmask_b32_e64 v28, 0, 1, s2
	v_cmp_gt_i32_e64 s2, 0, v29
	s_delay_alu instid0(VALU_DEP_4) | instskip(NEXT) | instid1(VALU_DEP_3)
	v_cmp_gt_i32_e64 s3, 0, v30
	v_cmp_ne_u32_e32 vcc_lo, 0, v28
	v_not_b32_e32 v28, v29
	v_not_b32_e32 v29, v30
	s_delay_alu instid0(VALU_DEP_2) | instskip(NEXT) | instid1(VALU_DEP_2)
	v_dual_ashrrev_i32 v28, 31, v28 :: v_dual_bitop2_b32 v3, vcc_lo, v3 bitop3:0x14
	v_ashrrev_i32_e32 v29, 31, v29
	v_dual_lshlrev_b32 v31, 28, v25 :: v_dual_lshlrev_b32 v32, 27, v25
	v_dual_lshlrev_b32 v33, 26, v25 :: v_dual_lshlrev_b32 v35, 25, v25
	v_mad_u32 v34, 0x44, v25, v2
	s_delay_alu instid0(VALU_DEP_3)
	v_not_b32_e32 v30, v31
	v_lshlrev_b32_e32 v25, 24, v25
	v_cmp_gt_i32_e64 s4, 0, v31
	v_cmp_gt_i32_e64 s5, 0, v32
	v_not_b32_e32 v31, v32
	v_not_b32_e32 v32, v33
	v_dual_ashrrev_i32 v30, 31, v30 :: v_dual_bitop2_b32 v28, s2, v28 bitop3:0x14
	v_cmp_gt_i32_e64 s6, 0, v33
	v_not_b32_e32 v33, v35
	v_cmp_gt_i32_e64 s8, 0, v25
	v_not_b32_e32 v25, v25
	v_dual_ashrrev_i32 v31, 31, v31 :: v_dual_ashrrev_i32 v32, 31, v32
	v_xor_b32_e32 v29, s3, v29
	v_xor_b32_e32 v30, s4, v30
	v_bitop3_b32 v3, v3, v28, exec_lo bitop3:0x80
	v_cmp_gt_i32_e64 s7, 0, v35
	v_ashrrev_i32_e32 v28, 31, v33
	v_dual_ashrrev_i32 v25, 31, v25 :: v_dual_bitop2_b32 v31, s5, v31 bitop3:0x14
	v_xor_b32_e32 v32, s6, v32
	v_bitop3_b32 v3, v3, v30, v29 bitop3:0x80
	s_delay_alu instid0(VALU_DEP_4) | instskip(NEXT) | instid1(VALU_DEP_4)
	v_xor_b32_e32 v28, s7, v28
	v_xor_b32_e32 v25, s8, v25
	ds_load_b32 v29, v34 offset:64
	v_bitop3_b32 v3, v3, v32, v31 bitop3:0x80
	; wave barrier
	s_delay_alu instid0(VALU_DEP_1) | instskip(NEXT) | instid1(VALU_DEP_1)
	v_bitop3_b32 v3, v3, v25, v28 bitop3:0x80
	v_mbcnt_lo_u32_b32 v30, v3, 0
	v_cmp_ne_u32_e64 s2, 0, v3
	s_delay_alu instid0(VALU_DEP_2) | instskip(SKIP_1) | instid1(SALU_CYCLE_1)
	v_cmp_eq_u32_e32 vcc_lo, 0, v30
	s_and_b32 s3, s2, vcc_lo
	s_and_saveexec_b32 s2, s3
	s_cbranch_execz .LBB1337_33
; %bb.32:
	s_wait_dscnt 0x0
	v_bcnt_u32_b32 v3, v3, v29
	ds_store_b32 v34, v3 offset:64
.LBB1337_33:
	s_or_b32 exec_lo, exec_lo, s2
	v_cmp_gt_i32_e32 vcc_lo, 0, v22
	; wave barrier
	v_cndmask_b32_e64 v3, 0x7fffffff, 0, vcc_lo
	s_delay_alu instid0(VALU_DEP_1) | instskip(NEXT) | instid1(VALU_DEP_1)
	v_xor_b32_e32 v22, v3, v22
	v_cmp_ne_u32_e32 vcc_lo, 0x80000000, v22
	v_cndmask_b32_e32 v3, 0x7fffffff, v22, vcc_lo
	s_delay_alu instid0(VALU_DEP_1) | instskip(NEXT) | instid1(VALU_DEP_1)
	v_lshrrev_b32_e32 v3, s20, v3
	v_and_b32_e32 v25, s25, v3
	v_bitop3_b32 v3, v3, 1, s25 bitop3:0x80
	s_delay_alu instid0(VALU_DEP_2) | instskip(NEXT) | instid1(VALU_DEP_2)
	v_lshlrev_b32_e32 v31, 30, v25
	v_add_co_u32 v3, s2, v3, -1
	s_delay_alu instid0(VALU_DEP_1) | instskip(NEXT) | instid1(VALU_DEP_1)
	v_cndmask_b32_e64 v28, 0, 1, s2
	v_cmp_ne_u32_e32 vcc_lo, 0, v28
	s_delay_alu instid0(VALU_DEP_4) | instskip(NEXT) | instid1(VALU_DEP_1)
	v_not_b32_e32 v28, v31
	v_dual_ashrrev_i32 v28, 31, v28 :: v_dual_lshlrev_b32 v32, 29, v25
	v_dual_lshlrev_b32 v33, 28, v25 :: v_dual_lshlrev_b32 v35, 27, v25
	v_lshlrev_b32_e32 v36, 26, v25
	v_cmp_gt_i32_e64 s2, 0, v31
	s_delay_alu instid0(VALU_DEP_4)
	v_cmp_gt_i32_e64 s3, 0, v32
	v_not_b32_e32 v31, v32
	v_not_b32_e32 v32, v33
	v_mad_u32 v38, 0x44, v25, v2
	v_dual_lshlrev_b32 v37, 25, v25 :: v_dual_lshlrev_b32 v25, 24, v25
	v_cmp_gt_i32_e64 s4, 0, v33
	v_cmp_gt_i32_e64 s5, 0, v35
	v_not_b32_e32 v33, v35
	v_not_b32_e32 v35, v36
	v_dual_ashrrev_i32 v32, 31, v32 :: v_dual_bitop2_b32 v3, vcc_lo, v3 bitop3:0x14
	v_dual_ashrrev_i32 v31, 31, v31 :: v_dual_bitop2_b32 v28, s2, v28 bitop3:0x14
	v_cmp_gt_i32_e64 s6, 0, v36
	v_not_b32_e32 v36, v37
	v_cmp_gt_i32_e64 s8, 0, v25
	v_not_b32_e32 v25, v25
	v_dual_ashrrev_i32 v33, 31, v33 :: v_dual_ashrrev_i32 v35, 31, v35
	v_xor_b32_e32 v31, s3, v31
	s_delay_alu instid0(VALU_DEP_3) | instskip(SKIP_4) | instid1(VALU_DEP_4)
	v_dual_ashrrev_i32 v25, 31, v25 :: v_dual_bitop2_b32 v32, s4, v32 bitop3:0x14
	v_bitop3_b32 v3, v3, v28, exec_lo bitop3:0x80
	v_cmp_gt_i32_e64 s7, 0, v37
	v_dual_ashrrev_i32 v28, 31, v36 :: v_dual_bitop2_b32 v33, s5, v33 bitop3:0x14
	v_xor_b32_e32 v35, s6, v35
	v_bitop3_b32 v3, v3, v32, v31 bitop3:0x80
	v_xor_b32_e32 v25, s8, v25
	s_delay_alu instid0(VALU_DEP_4) | instskip(SKIP_2) | instid1(VALU_DEP_1)
	v_xor_b32_e32 v28, s7, v28
	ds_load_b32 v32, v38 offset:64
	v_bitop3_b32 v3, v3, v35, v33 bitop3:0x80
	; wave barrier
	v_bitop3_b32 v3, v3, v25, v28 bitop3:0x80
	s_delay_alu instid0(VALU_DEP_1) | instskip(SKIP_1) | instid1(VALU_DEP_2)
	v_mbcnt_lo_u32_b32 v33, v3, 0
	v_cmp_ne_u32_e64 s2, 0, v3
	v_cmp_eq_u32_e32 vcc_lo, 0, v33
	s_and_b32 s3, s2, vcc_lo
	s_delay_alu instid0(SALU_CYCLE_1)
	s_and_saveexec_b32 s2, s3
	s_cbranch_execz .LBB1337_35
; %bb.34:
	s_wait_dscnt 0x0
	v_bcnt_u32_b32 v3, v3, v32
	ds_store_b32 v38, v3 offset:64
.LBB1337_35:
	s_or_b32 exec_lo, exec_lo, s2
	v_cmp_gt_i32_e32 vcc_lo, 0, v11
	; wave barrier
	v_cndmask_b32_e64 v3, 0x7fffffff, 0, vcc_lo
	s_delay_alu instid0(VALU_DEP_1) | instskip(NEXT) | instid1(VALU_DEP_1)
	v_xor_b32_e32 v25, v3, v11
	v_cmp_ne_u32_e32 vcc_lo, 0x80000000, v25
	v_cndmask_b32_e32 v3, 0x7fffffff, v25, vcc_lo
	s_delay_alu instid0(VALU_DEP_1) | instskip(NEXT) | instid1(VALU_DEP_1)
	v_lshrrev_b32_e32 v3, s20, v3
	v_and_b32_e32 v11, s25, v3
	v_bitop3_b32 v3, v3, 1, s25 bitop3:0x80
	s_delay_alu instid0(VALU_DEP_2) | instskip(NEXT) | instid1(VALU_DEP_2)
	v_lshlrev_b32_e32 v31, 30, v11
	v_add_co_u32 v3, s2, v3, -1
	s_delay_alu instid0(VALU_DEP_1) | instskip(SKIP_3) | instid1(VALU_DEP_4)
	v_cndmask_b32_e64 v28, 0, 1, s2
	v_dual_lshlrev_b32 v35, 29, v11 :: v_dual_lshlrev_b32 v37, 27, v11
	v_lshlrev_b32_e32 v36, 28, v11
	v_cmp_gt_i32_e64 s2, 0, v31
	v_cmp_ne_u32_e32 vcc_lo, 0, v28
	v_not_b32_e32 v28, v31
	v_cmp_gt_i32_e64 s3, 0, v35
	v_not_b32_e32 v31, v35
	v_cmp_gt_i32_e64 s4, 0, v36
	v_not_b32_e32 v35, v36
	v_not_b32_e32 v36, v37
	v_cmp_gt_i32_e64 s5, 0, v37
	v_ashrrev_i32_e32 v28, 31, v28
	s_delay_alu instid0(VALU_DEP_3) | instskip(SKIP_2) | instid1(VALU_DEP_4)
	v_dual_ashrrev_i32 v36, 31, v36 :: v_dual_lshlrev_b32 v39, 26, v11
	v_lshlrev_b32_e32 v40, 25, v11
	v_mad_u32 v42, 0x44, v11, v2
	v_dual_lshlrev_b32 v11, 24, v11 :: v_dual_bitop2_b32 v28, s2, v28 bitop3:0x14
	s_delay_alu instid0(VALU_DEP_4) | instskip(SKIP_3) | instid1(VALU_DEP_4)
	v_not_b32_e32 v37, v39
	v_cmp_gt_i32_e64 s6, 0, v39
	v_xor_b32_e32 v3, vcc_lo, v3
	v_dual_ashrrev_i32 v31, 31, v31 :: v_dual_bitop2_b32 v36, s5, v36 bitop3:0x14
	v_dual_ashrrev_i32 v37, 31, v37 :: v_dual_ashrrev_i32 v35, 31, v35
	v_not_b32_e32 v39, v40
	v_cmp_gt_i32_e64 s8, 0, v11
	v_not_b32_e32 v11, v11
	v_xor_b32_e32 v31, s3, v31
	v_bitop3_b32 v3, v3, v28, exec_lo bitop3:0x80
	v_xor_b32_e32 v37, s6, v37
	v_xor_b32_e32 v35, s4, v35
	v_cmp_gt_i32_e64 s7, 0, v40
	v_ashrrev_i32_e32 v28, 31, v39
	v_ashrrev_i32_e32 v11, 31, v11
	s_delay_alu instid0(VALU_DEP_4) | instskip(NEXT) | instid1(VALU_DEP_3)
	v_bitop3_b32 v3, v3, v35, v31 bitop3:0x80
	v_xor_b32_e32 v28, s7, v28
	s_delay_alu instid0(VALU_DEP_3) | instskip(NEXT) | instid1(VALU_DEP_3)
	v_xor_b32_e32 v11, s8, v11
	v_bitop3_b32 v3, v3, v37, v36 bitop3:0x80
	ds_load_b32 v36, v42 offset:64
	; wave barrier
	v_bitop3_b32 v3, v3, v11, v28 bitop3:0x80
	s_delay_alu instid0(VALU_DEP_1) | instskip(SKIP_1) | instid1(VALU_DEP_2)
	v_mbcnt_lo_u32_b32 v37, v3, 0
	v_cmp_ne_u32_e64 s2, 0, v3
	v_cmp_eq_u32_e32 vcc_lo, 0, v37
	s_and_b32 s3, s2, vcc_lo
	s_delay_alu instid0(SALU_CYCLE_1)
	s_and_saveexec_b32 s2, s3
	s_cbranch_execz .LBB1337_37
; %bb.36:
	s_wait_dscnt 0x0
	v_bcnt_u32_b32 v3, v3, v36
	ds_store_b32 v42, v3 offset:64
.LBB1337_37:
	s_or_b32 exec_lo, exec_lo, s2
	v_cmp_gt_i32_e32 vcc_lo, 0, v10
	; wave barrier
	v_cndmask_b32_e64 v3, 0x7fffffff, 0, vcc_lo
	s_delay_alu instid0(VALU_DEP_1) | instskip(NEXT) | instid1(VALU_DEP_1)
	v_xor_b32_e32 v28, v3, v10
	v_cmp_ne_u32_e32 vcc_lo, 0x80000000, v28
	v_cndmask_b32_e32 v3, 0x7fffffff, v28, vcc_lo
	s_delay_alu instid0(VALU_DEP_1) | instskip(NEXT) | instid1(VALU_DEP_1)
	v_lshrrev_b32_e32 v3, s20, v3
	v_and_b32_e32 v10, s25, v3
	v_bitop3_b32 v3, v3, 1, s25 bitop3:0x80
	s_delay_alu instid0(VALU_DEP_2) | instskip(NEXT) | instid1(VALU_DEP_2)
	v_dual_lshlrev_b32 v31, 30, v10 :: v_dual_lshlrev_b32 v35, 29, v10
	v_add_co_u32 v3, s2, v3, -1
	s_delay_alu instid0(VALU_DEP_1) | instskip(SKIP_3) | instid1(VALU_DEP_4)
	v_cndmask_b32_e64 v11, 0, 1, s2
	v_dual_lshlrev_b32 v39, 28, v10 :: v_dual_lshlrev_b32 v41, 26, v10
	v_lshlrev_b32_e32 v40, 27, v10
	v_cmp_gt_i32_e64 s2, 0, v31
	v_cmp_ne_u32_e32 vcc_lo, 0, v11
	v_not_b32_e32 v11, v31
	v_cmp_gt_i32_e64 s3, 0, v35
	v_not_b32_e32 v31, v35
	v_cmp_gt_i32_e64 s4, 0, v39
	;; [unrolled: 2-line block ×3, first 2 shown]
	v_not_b32_e32 v39, v40
	v_not_b32_e32 v40, v41
	v_cmp_gt_i32_e64 s6, 0, v41
	s_delay_alu instid0(VALU_DEP_2) | instskip(SKIP_2) | instid1(VALU_DEP_3)
	v_dual_ashrrev_i32 v39, 31, v39 :: v_dual_ashrrev_i32 v40, 31, v40
	v_mad_u32 v45, 0x44, v10, v2
	v_dual_lshlrev_b32 v43, 25, v10 :: v_dual_lshlrev_b32 v10, 24, v10
	v_dual_ashrrev_i32 v31, 31, v31 :: v_dual_bitop2_b32 v40, s6, v40 bitop3:0x14
	s_delay_alu instid0(VALU_DEP_4) | instskip(NEXT) | instid1(VALU_DEP_3)
	v_xor_b32_e32 v39, s5, v39
	v_not_b32_e32 v41, v43
	s_delay_alu instid0(VALU_DEP_4)
	v_cmp_gt_i32_e64 s8, 0, v10
	v_not_b32_e32 v10, v10
	v_ashrrev_i32_e32 v11, 31, v11
	v_xor_b32_e32 v3, vcc_lo, v3
	v_xor_b32_e32 v31, s3, v31
	v_cmp_gt_i32_e64 s7, 0, v43
	v_dual_ashrrev_i32 v10, 31, v10 :: v_dual_ashrrev_i32 v35, 31, v35
	v_xor_b32_e32 v11, s2, v11
	s_delay_alu instid0(VALU_DEP_2) | instskip(NEXT) | instid1(VALU_DEP_3)
	v_xor_b32_e32 v10, s8, v10
	v_xor_b32_e32 v35, s4, v35
	s_delay_alu instid0(VALU_DEP_3) | instskip(SKIP_1) | instid1(VALU_DEP_2)
	v_bitop3_b32 v3, v3, v11, exec_lo bitop3:0x80
	v_ashrrev_i32_e32 v11, 31, v41
	v_bitop3_b32 v3, v3, v35, v31 bitop3:0x80
	s_delay_alu instid0(VALU_DEP_2) | instskip(NEXT) | instid1(VALU_DEP_2)
	v_xor_b32_e32 v11, s7, v11
	v_bitop3_b32 v3, v3, v40, v39 bitop3:0x80
	ds_load_b32 v40, v45 offset:64
	; wave barrier
	v_bitop3_b32 v3, v3, v10, v11 bitop3:0x80
	s_delay_alu instid0(VALU_DEP_1) | instskip(SKIP_1) | instid1(VALU_DEP_2)
	v_mbcnt_lo_u32_b32 v41, v3, 0
	v_cmp_ne_u32_e64 s2, 0, v3
	v_cmp_eq_u32_e32 vcc_lo, 0, v41
	s_and_b32 s3, s2, vcc_lo
	s_delay_alu instid0(SALU_CYCLE_1)
	s_and_saveexec_b32 s2, s3
	s_cbranch_execz .LBB1337_39
; %bb.38:
	s_wait_dscnt 0x0
	v_bcnt_u32_b32 v3, v3, v40
	ds_store_b32 v45, v3 offset:64
.LBB1337_39:
	s_or_b32 exec_lo, exec_lo, s2
	v_cmp_gt_i32_e32 vcc_lo, 0, v9
	; wave barrier
	v_cndmask_b32_e64 v3, 0x7fffffff, 0, vcc_lo
	s_delay_alu instid0(VALU_DEP_1) | instskip(NEXT) | instid1(VALU_DEP_1)
	v_xor_b32_e32 v31, v3, v9
	v_cmp_ne_u32_e32 vcc_lo, 0x80000000, v31
	v_cndmask_b32_e32 v3, 0x7fffffff, v31, vcc_lo
	s_delay_alu instid0(VALU_DEP_1) | instskip(NEXT) | instid1(VALU_DEP_1)
	v_lshrrev_b32_e32 v3, s20, v3
	v_and_b32_e32 v9, s25, v3
	v_bitop3_b32 v3, v3, 1, s25 bitop3:0x80
	s_delay_alu instid0(VALU_DEP_2) | instskip(NEXT) | instid1(VALU_DEP_2)
	v_lshlrev_b32_e32 v11, 30, v9
	v_add_co_u32 v3, s2, v3, -1
	s_delay_alu instid0(VALU_DEP_1) | instskip(NEXT) | instid1(VALU_DEP_1)
	v_cndmask_b32_e64 v10, 0, 1, s2
	v_cmp_ne_u32_e32 vcc_lo, 0, v10
	s_delay_alu instid0(VALU_DEP_4) | instskip(NEXT) | instid1(VALU_DEP_1)
	v_not_b32_e32 v10, v11
	v_dual_ashrrev_i32 v10, 31, v10 :: v_dual_lshlrev_b32 v35, 29, v9
	v_dual_lshlrev_b32 v39, 28, v9 :: v_dual_lshlrev_b32 v43, 27, v9
	v_mad_u32 v49, 0x44, v9, v2
	v_dual_lshlrev_b32 v44, 26, v9 :: v_dual_lshlrev_b32 v46, 25, v9
	v_lshlrev_b32_e32 v9, 24, v9
	v_cmp_gt_i32_e64 s2, 0, v11
	v_cmp_gt_i32_e64 s3, 0, v35
	v_not_b32_e32 v11, v35
	v_not_b32_e32 v35, v39
	v_cmp_gt_i32_e64 s4, 0, v39
	v_cmp_gt_i32_e64 s5, 0, v43
	v_not_b32_e32 v39, v43
	v_cmp_gt_i32_e64 s6, 0, v44
	v_not_b32_e32 v43, v44
	v_not_b32_e32 v44, v46
	v_cmp_gt_i32_e64 s8, 0, v9
	v_not_b32_e32 v9, v9
	v_xor_b32_e32 v3, vcc_lo, v3
	v_dual_ashrrev_i32 v11, 31, v11 :: v_dual_bitop2_b32 v10, s2, v10 bitop3:0x14
	s_delay_alu instid0(VALU_DEP_3) | instskip(SKIP_2) | instid1(VALU_DEP_4)
	v_dual_ashrrev_i32 v35, 31, v35 :: v_dual_ashrrev_i32 v9, 31, v9
	v_cmp_gt_i32_e64 s7, 0, v46
	v_ashrrev_i32_e32 v43, 31, v43
	v_xor_b32_e32 v11, s3, v11
	s_delay_alu instid0(VALU_DEP_4) | instskip(SKIP_4) | instid1(VALU_DEP_4)
	v_xor_b32_e32 v35, s4, v35
	v_bitop3_b32 v3, v3, v10, exec_lo bitop3:0x80
	v_dual_ashrrev_i32 v10, 31, v44 :: v_dual_ashrrev_i32 v39, 31, v39
	v_xor_b32_e32 v9, s8, v9
	v_xor_b32_e32 v43, s6, v43
	v_bitop3_b32 v3, v3, v35, v11 bitop3:0x80
	s_delay_alu instid0(VALU_DEP_4) | instskip(SKIP_3) | instid1(VALU_DEP_1)
	v_xor_b32_e32 v10, s7, v10
	v_xor_b32_e32 v39, s5, v39
	ds_load_b32 v44, v49 offset:64
	; wave barrier
	v_bitop3_b32 v3, v3, v43, v39 bitop3:0x80
	v_bitop3_b32 v3, v3, v9, v10 bitop3:0x80
	s_delay_alu instid0(VALU_DEP_1) | instskip(SKIP_1) | instid1(VALU_DEP_2)
	v_mbcnt_lo_u32_b32 v46, v3, 0
	v_cmp_ne_u32_e64 s2, 0, v3
	v_cmp_eq_u32_e32 vcc_lo, 0, v46
	s_and_b32 s3, s2, vcc_lo
	s_delay_alu instid0(SALU_CYCLE_1)
	s_and_saveexec_b32 s2, s3
	s_cbranch_execz .LBB1337_41
; %bb.40:
	s_wait_dscnt 0x0
	v_bcnt_u32_b32 v3, v3, v44
	ds_store_b32 v49, v3 offset:64
.LBB1337_41:
	s_or_b32 exec_lo, exec_lo, s2
	v_cmp_gt_i32_e32 vcc_lo, 0, v8
	; wave barrier
	v_cndmask_b32_e64 v3, 0x7fffffff, 0, vcc_lo
	s_delay_alu instid0(VALU_DEP_1) | instskip(NEXT) | instid1(VALU_DEP_1)
	v_xor_b32_e32 v35, v3, v8
	v_cmp_ne_u32_e32 vcc_lo, 0x80000000, v35
	v_cndmask_b32_e32 v3, 0x7fffffff, v35, vcc_lo
	s_delay_alu instid0(VALU_DEP_1) | instskip(NEXT) | instid1(VALU_DEP_1)
	v_lshrrev_b32_e32 v3, s20, v3
	v_and_b32_e32 v8, s25, v3
	v_bitop3_b32 v3, v3, 1, s25 bitop3:0x80
	s_delay_alu instid0(VALU_DEP_2) | instskip(NEXT) | instid1(VALU_DEP_2)
	v_lshlrev_b32_e32 v10, 30, v8
	v_add_co_u32 v3, s2, v3, -1
	s_delay_alu instid0(VALU_DEP_1) | instskip(NEXT) | instid1(VALU_DEP_3)
	v_cndmask_b32_e64 v9, 0, 1, s2
	v_cmp_gt_i32_e64 s2, 0, v10
	s_delay_alu instid0(VALU_DEP_2) | instskip(SKIP_1) | instid1(VALU_DEP_1)
	v_cmp_ne_u32_e32 vcc_lo, 0, v9
	v_not_b32_e32 v9, v10
	v_dual_ashrrev_i32 v9, 31, v9 :: v_dual_lshlrev_b32 v11, 29, v8
	v_dual_lshlrev_b32 v39, 28, v8 :: v_dual_lshlrev_b32 v43, 27, v8
	v_lshlrev_b32_e32 v47, 26, v8
	v_mad_u32 v52, 0x44, v8, v2
	s_delay_alu instid0(VALU_DEP_4)
	v_cmp_gt_i32_e64 s3, 0, v11
	v_not_b32_e32 v10, v11
	v_not_b32_e32 v11, v39
	v_dual_lshlrev_b32 v48, 25, v8 :: v_dual_lshlrev_b32 v8, 24, v8
	v_cmp_gt_i32_e64 s4, 0, v39
	v_cmp_gt_i32_e64 s5, 0, v43
	v_not_b32_e32 v39, v43
	v_not_b32_e32 v43, v47
	v_dual_ashrrev_i32 v10, 31, v10 :: v_dual_bitop2_b32 v3, vcc_lo, v3 bitop3:0x14
	v_dual_ashrrev_i32 v11, 31, v11 :: v_dual_bitop2_b32 v9, s2, v9 bitop3:0x14
	v_cmp_gt_i32_e64 s6, 0, v47
	v_not_b32_e32 v47, v48
	v_cmp_gt_i32_e64 s8, 0, v8
	v_not_b32_e32 v8, v8
	v_dual_ashrrev_i32 v39, 31, v39 :: v_dual_bitop2_b32 v10, s3, v10 bitop3:0x14
	v_ashrrev_i32_e32 v43, 31, v43
	v_xor_b32_e32 v11, s4, v11
	v_bitop3_b32 v3, v3, v9, exec_lo bitop3:0x80
	v_cmp_gt_i32_e64 s7, 0, v48
	v_dual_ashrrev_i32 v8, 31, v8 :: v_dual_ashrrev_i32 v9, 31, v47
	v_xor_b32_e32 v39, s5, v39
	v_xor_b32_e32 v43, s6, v43
	v_bitop3_b32 v3, v3, v11, v10 bitop3:0x80
	s_delay_alu instid0(VALU_DEP_4) | instskip(SKIP_3) | instid1(VALU_DEP_1)
	v_xor_b32_e32 v8, s8, v8
	v_xor_b32_e32 v9, s7, v9
	ds_load_b32 v48, v52 offset:64
	v_bitop3_b32 v3, v3, v43, v39 bitop3:0x80
	; wave barrier
	v_bitop3_b32 v3, v3, v8, v9 bitop3:0x80
	s_delay_alu instid0(VALU_DEP_1) | instskip(SKIP_1) | instid1(VALU_DEP_2)
	v_mbcnt_lo_u32_b32 v50, v3, 0
	v_cmp_ne_u32_e64 s2, 0, v3
	v_cmp_eq_u32_e32 vcc_lo, 0, v50
	s_and_b32 s3, s2, vcc_lo
	s_delay_alu instid0(SALU_CYCLE_1)
	s_and_saveexec_b32 s2, s3
	s_cbranch_execz .LBB1337_43
; %bb.42:
	s_wait_dscnt 0x0
	v_bcnt_u32_b32 v3, v3, v48
	ds_store_b32 v52, v3 offset:64
.LBB1337_43:
	s_or_b32 exec_lo, exec_lo, s2
	v_cmp_gt_i32_e32 vcc_lo, 0, v6
	; wave barrier
	v_cndmask_b32_e64 v3, 0x7fffffff, 0, vcc_lo
	s_delay_alu instid0(VALU_DEP_1) | instskip(NEXT) | instid1(VALU_DEP_1)
	v_xor_b32_e32 v39, v3, v6
	v_cmp_ne_u32_e32 vcc_lo, 0x80000000, v39
	v_cndmask_b32_e32 v3, 0x7fffffff, v39, vcc_lo
	s_delay_alu instid0(VALU_DEP_1) | instskip(NEXT) | instid1(VALU_DEP_1)
	v_lshrrev_b32_e32 v3, s20, v3
	v_and_b32_e32 v6, s25, v3
	v_bitop3_b32 v3, v3, 1, s25 bitop3:0x80
	s_delay_alu instid0(VALU_DEP_2) | instskip(NEXT) | instid1(VALU_DEP_2)
	v_lshlrev_b32_e32 v9, 30, v6
	v_add_co_u32 v3, s2, v3, -1
	s_delay_alu instid0(VALU_DEP_1) | instskip(NEXT) | instid1(VALU_DEP_1)
	v_cndmask_b32_e64 v8, 0, 1, s2
	v_cmp_ne_u32_e32 vcc_lo, 0, v8
	s_delay_alu instid0(VALU_DEP_4) | instskip(NEXT) | instid1(VALU_DEP_1)
	v_not_b32_e32 v8, v9
	v_dual_ashrrev_i32 v8, 31, v8 :: v_dual_lshlrev_b32 v10, 29, v6
	v_dual_lshlrev_b32 v11, 28, v6 :: v_dual_lshlrev_b32 v43, 27, v6
	v_lshlrev_b32_e32 v47, 26, v6
	v_cmp_gt_i32_e64 s2, 0, v9
	s_delay_alu instid0(VALU_DEP_4)
	v_cmp_gt_i32_e64 s3, 0, v10
	v_not_b32_e32 v9, v10
	v_not_b32_e32 v10, v11
	v_mad_u32 v54, 0x44, v6, v2
	v_dual_lshlrev_b32 v51, 25, v6 :: v_dual_lshlrev_b32 v6, 24, v6
	v_cmp_gt_i32_e64 s4, 0, v11
	v_cmp_gt_i32_e64 s5, 0, v43
	v_not_b32_e32 v11, v43
	v_not_b32_e32 v43, v47
	v_dual_ashrrev_i32 v9, 31, v9 :: v_dual_bitop2_b32 v3, vcc_lo, v3 bitop3:0x14
	v_dual_ashrrev_i32 v10, 31, v10 :: v_dual_bitop2_b32 v8, s2, v8 bitop3:0x14
	v_cmp_gt_i32_e64 s6, 0, v47
	v_not_b32_e32 v47, v51
	v_cmp_gt_i32_e64 s8, 0, v6
	v_not_b32_e32 v6, v6
	v_dual_ashrrev_i32 v11, 31, v11 :: v_dual_bitop2_b32 v9, s3, v9 bitop3:0x14
	v_dual_ashrrev_i32 v43, 31, v43 :: v_dual_bitop2_b32 v10, s4, v10 bitop3:0x14
	v_bitop3_b32 v3, v3, v8, exec_lo bitop3:0x80
	v_cmp_gt_i32_e64 s7, 0, v51
	v_dual_ashrrev_i32 v8, 31, v47 :: v_dual_ashrrev_i32 v6, 31, v6
	v_xor_b32_e32 v11, s5, v11
	v_xor_b32_e32 v43, s6, v43
	v_bitop3_b32 v3, v3, v10, v9 bitop3:0x80
	s_delay_alu instid0(VALU_DEP_4) | instskip(SKIP_3) | instid1(VALU_DEP_1)
	v_xor_b32_e32 v8, s7, v8
	v_xor_b32_e32 v6, s8, v6
	ds_load_b32 v51, v54 offset:64
	v_bitop3_b32 v3, v3, v43, v11 bitop3:0x80
	; wave barrier
	v_bitop3_b32 v3, v3, v6, v8 bitop3:0x80
	s_delay_alu instid0(VALU_DEP_1) | instskip(SKIP_1) | instid1(VALU_DEP_2)
	v_mbcnt_lo_u32_b32 v53, v3, 0
	v_cmp_ne_u32_e64 s2, 0, v3
	v_cmp_eq_u32_e32 vcc_lo, 0, v53
	s_and_b32 s3, s2, vcc_lo
	s_delay_alu instid0(SALU_CYCLE_1)
	s_and_saveexec_b32 s2, s3
	s_cbranch_execz .LBB1337_45
; %bb.44:
	s_wait_dscnt 0x0
	v_bcnt_u32_b32 v3, v3, v51
	ds_store_b32 v54, v3 offset:64
.LBB1337_45:
	s_or_b32 exec_lo, exec_lo, s2
	v_cmp_gt_i32_e32 vcc_lo, 0, v5
	; wave barrier
	v_cndmask_b32_e64 v3, 0x7fffffff, 0, vcc_lo
	s_delay_alu instid0(VALU_DEP_1) | instskip(NEXT) | instid1(VALU_DEP_1)
	v_xor_b32_e32 v43, v3, v5
	v_cmp_ne_u32_e32 vcc_lo, 0x80000000, v43
	v_cndmask_b32_e32 v3, 0x7fffffff, v43, vcc_lo
	s_delay_alu instid0(VALU_DEP_1) | instskip(NEXT) | instid1(VALU_DEP_1)
	v_lshrrev_b32_e32 v3, s20, v3
	v_and_b32_e32 v5, s25, v3
	v_bitop3_b32 v3, v3, 1, s25 bitop3:0x80
	s_delay_alu instid0(VALU_DEP_2) | instskip(NEXT) | instid1(VALU_DEP_2)
	v_lshlrev_b32_e32 v8, 30, v5
	v_add_co_u32 v3, s2, v3, -1
	s_delay_alu instid0(VALU_DEP_1) | instskip(NEXT) | instid1(VALU_DEP_3)
	v_cndmask_b32_e64 v6, 0, 1, s2
	v_cmp_gt_i32_e64 s2, 0, v8
	s_delay_alu instid0(VALU_DEP_2) | instskip(SKIP_1) | instid1(VALU_DEP_1)
	v_cmp_ne_u32_e32 vcc_lo, 0, v6
	v_not_b32_e32 v6, v8
	v_dual_ashrrev_i32 v6, 31, v6 :: v_dual_lshlrev_b32 v9, 29, v5
	v_dual_lshlrev_b32 v10, 28, v5 :: v_dual_lshlrev_b32 v11, 27, v5
	v_lshlrev_b32_e32 v47, 26, v5
	v_mad_u32 v57, 0x44, v5, v2
	s_delay_alu instid0(VALU_DEP_4)
	v_cmp_gt_i32_e64 s3, 0, v9
	v_not_b32_e32 v8, v9
	v_not_b32_e32 v9, v10
	v_dual_lshlrev_b32 v55, 25, v5 :: v_dual_lshlrev_b32 v5, 24, v5
	v_cmp_gt_i32_e64 s4, 0, v10
	v_cmp_gt_i32_e64 s5, 0, v11
	v_not_b32_e32 v10, v11
	v_not_b32_e32 v11, v47
	v_dual_ashrrev_i32 v8, 31, v8 :: v_dual_bitop2_b32 v3, vcc_lo, v3 bitop3:0x14
	v_dual_ashrrev_i32 v9, 31, v9 :: v_dual_bitop2_b32 v6, s2, v6 bitop3:0x14
	v_cmp_gt_i32_e64 s6, 0, v47
	v_not_b32_e32 v47, v55
	v_cmp_gt_i32_e64 s8, 0, v5
	v_not_b32_e32 v5, v5
	v_dual_ashrrev_i32 v10, 31, v10 :: v_dual_ashrrev_i32 v11, 31, v11
	v_xor_b32_e32 v8, s3, v8
	v_xor_b32_e32 v9, s4, v9
	v_bitop3_b32 v3, v3, v6, exec_lo bitop3:0x80
	v_cmp_gt_i32_e64 s7, 0, v55
	v_dual_ashrrev_i32 v6, 31, v47 :: v_dual_ashrrev_i32 v5, 31, v5
	v_xor_b32_e32 v10, s5, v10
	v_xor_b32_e32 v11, s6, v11
	v_bitop3_b32 v3, v3, v9, v8 bitop3:0x80
	s_delay_alu instid0(VALU_DEP_4) | instskip(SKIP_3) | instid1(VALU_DEP_1)
	v_xor_b32_e32 v6, s7, v6
	v_xor_b32_e32 v5, s8, v5
	ds_load_b32 v55, v57 offset:64
	v_bitop3_b32 v3, v3, v11, v10 bitop3:0x80
	; wave barrier
	v_bitop3_b32 v3, v3, v5, v6 bitop3:0x80
	s_delay_alu instid0(VALU_DEP_1) | instskip(SKIP_1) | instid1(VALU_DEP_2)
	v_mbcnt_lo_u32_b32 v56, v3, 0
	v_cmp_ne_u32_e64 s2, 0, v3
	v_cmp_eq_u32_e32 vcc_lo, 0, v56
	s_and_b32 s3, s2, vcc_lo
	s_delay_alu instid0(SALU_CYCLE_1)
	s_and_saveexec_b32 s2, s3
	s_cbranch_execz .LBB1337_47
; %bb.46:
	s_wait_dscnt 0x0
	v_bcnt_u32_b32 v3, v3, v55
	ds_store_b32 v57, v3 offset:64
.LBB1337_47:
	s_or_b32 exec_lo, exec_lo, s2
	v_cmp_gt_i32_e32 vcc_lo, 0, v4
	; wave barrier
	v_cndmask_b32_e64 v3, 0x7fffffff, 0, vcc_lo
	s_delay_alu instid0(VALU_DEP_1) | instskip(NEXT) | instid1(VALU_DEP_1)
	v_xor_b32_e32 v47, v3, v4
	v_cmp_ne_u32_e32 vcc_lo, 0x80000000, v47
	v_cndmask_b32_e32 v3, 0x7fffffff, v47, vcc_lo
	s_delay_alu instid0(VALU_DEP_1) | instskip(NEXT) | instid1(VALU_DEP_1)
	v_lshrrev_b32_e32 v3, s20, v3
	v_and_b32_e32 v4, s25, v3
	v_bitop3_b32 v3, v3, 1, s25 bitop3:0x80
	s_delay_alu instid0(VALU_DEP_2) | instskip(NEXT) | instid1(VALU_DEP_2)
	v_mad_u32 v60, 0x44, v4, v2
	v_add_co_u32 v2, s2, v3, -1
	s_delay_alu instid0(VALU_DEP_1) | instskip(SKIP_1) | instid1(VALU_DEP_2)
	v_cndmask_b32_e64 v3, 0, 1, s2
	v_lshlrev_b32_e32 v5, 30, v4
	v_cmp_ne_u32_e32 vcc_lo, 0, v3
	s_delay_alu instid0(VALU_DEP_2)
	v_not_b32_e32 v3, v5
	ds_load_b32 v58, v60 offset:64
	; wave barrier
	v_dual_ashrrev_i32 v3, 31, v3 :: v_dual_lshlrev_b32 v6, 29, v4
	v_dual_lshlrev_b32 v8, 28, v4 :: v_dual_lshlrev_b32 v9, 27, v4
	v_lshlrev_b32_e32 v10, 26, v4
	v_cmp_gt_i32_e64 s2, 0, v5
	s_delay_alu instid0(VALU_DEP_4)
	v_cmp_gt_i32_e64 s3, 0, v6
	v_not_b32_e32 v5, v6
	v_not_b32_e32 v6, v8
	v_dual_lshlrev_b32 v11, 25, v4 :: v_dual_lshlrev_b32 v4, 24, v4
	v_cmp_gt_i32_e64 s4, 0, v8
	v_cmp_gt_i32_e64 s5, 0, v9
	v_not_b32_e32 v8, v9
	v_not_b32_e32 v9, v10
	v_dual_ashrrev_i32 v5, 31, v5 :: v_dual_bitop2_b32 v2, vcc_lo, v2 bitop3:0x14
	v_dual_ashrrev_i32 v6, 31, v6 :: v_dual_bitop2_b32 v3, s2, v3 bitop3:0x14
	v_cmp_gt_i32_e64 s6, 0, v10
	v_not_b32_e32 v10, v11
	v_cmp_gt_i32_e64 s8, 0, v4
	v_not_b32_e32 v4, v4
	v_dual_ashrrev_i32 v8, 31, v8 :: v_dual_ashrrev_i32 v9, 31, v9
	v_xor_b32_e32 v5, s3, v5
	s_delay_alu instid0(VALU_DEP_3) | instskip(SKIP_4) | instid1(VALU_DEP_4)
	v_dual_ashrrev_i32 v4, 31, v4 :: v_dual_bitop2_b32 v6, s4, v6 bitop3:0x14
	v_bitop3_b32 v2, v2, v3, exec_lo bitop3:0x80
	v_cmp_gt_i32_e64 s7, 0, v11
	v_dual_ashrrev_i32 v3, 31, v10 :: v_dual_bitop2_b32 v8, s5, v8 bitop3:0x14
	v_xor_b32_e32 v9, s6, v9
	v_bitop3_b32 v2, v2, v6, v5 bitop3:0x80
	v_xor_b32_e32 v4, s8, v4
	s_delay_alu instid0(VALU_DEP_4) | instskip(NEXT) | instid1(VALU_DEP_3)
	v_xor_b32_e32 v3, s7, v3
	v_bitop3_b32 v2, v2, v9, v8 bitop3:0x80
	s_delay_alu instid0(VALU_DEP_1) | instskip(NEXT) | instid1(VALU_DEP_1)
	v_bitop3_b32 v2, v2, v4, v3 bitop3:0x80
	v_mbcnt_lo_u32_b32 v59, v2, 0
	v_cmp_ne_u32_e64 s2, 0, v2
	s_delay_alu instid0(VALU_DEP_2) | instskip(SKIP_1) | instid1(SALU_CYCLE_1)
	v_cmp_eq_u32_e32 vcc_lo, 0, v59
	s_and_b32 s3, s2, vcc_lo
	s_and_saveexec_b32 s2, s3
	s_cbranch_execz .LBB1337_49
; %bb.48:
	s_wait_dscnt 0x0
	v_bcnt_u32_b32 v2, v2, v58
	ds_store_b32 v60, v2 offset:64
.LBB1337_49:
	s_or_b32 exec_lo, exec_lo, s2
	; wave barrier
	s_wait_dscnt 0x0
	s_barrier_signal -1
	s_barrier_wait -1
	ds_load_2addr_b32 v[10:11], v12 offset0:16 offset1:17
	ds_load_2addr_b32 v[8:9], v12 offset0:18 offset1:19
	;; [unrolled: 1-line block ×4, first 2 shown]
	ds_load_b32 v6, v12 offset:96
	v_min_u32_e32 v63, 0x1e0, v17
	s_mov_b32 s6, exec_lo
	s_delay_alu instid0(VALU_DEP_1) | instskip(SKIP_3) | instid1(VALU_DEP_1)
	v_or_b32_e32 v63, 31, v63
	s_wait_dscnt 0x3
	v_add3_u32 v61, v11, v10, v8
	s_wait_dscnt 0x2
	v_add3_u32 v61, v61, v9, v4
	s_wait_dscnt 0x1
	s_delay_alu instid0(VALU_DEP_1) | instskip(SKIP_1) | instid1(VALU_DEP_1)
	v_add3_u32 v61, v61, v5, v2
	s_wait_dscnt 0x0
	v_add3_u32 v6, v61, v3, v6
	v_and_b32_e32 v61, 15, v16
	s_delay_alu instid0(VALU_DEP_2) | instskip(NEXT) | instid1(VALU_DEP_2)
	v_mov_b32_dpp v62, v6 row_shr:1 row_mask:0xf bank_mask:0xf
	v_cmp_eq_u32_e32 vcc_lo, 0, v61
	s_delay_alu instid0(VALU_DEP_2) | instskip(NEXT) | instid1(VALU_DEP_1)
	v_cndmask_b32_e64 v62, v62, 0, vcc_lo
	v_add_nc_u32_e32 v6, v62, v6
	v_cmp_lt_u32_e64 s2, 1, v61
	v_cmp_lt_u32_e64 s3, 3, v61
	;; [unrolled: 1-line block ×3, first 2 shown]
	s_delay_alu instid0(VALU_DEP_4) | instskip(NEXT) | instid1(VALU_DEP_1)
	v_mov_b32_dpp v62, v6 row_shr:2 row_mask:0xf bank_mask:0xf
	v_cndmask_b32_e64 v62, 0, v62, s2
	s_delay_alu instid0(VALU_DEP_1) | instskip(NEXT) | instid1(VALU_DEP_1)
	v_add_nc_u32_e32 v6, v6, v62
	v_mov_b32_dpp v62, v6 row_shr:4 row_mask:0xf bank_mask:0xf
	s_delay_alu instid0(VALU_DEP_1) | instskip(NEXT) | instid1(VALU_DEP_1)
	v_cndmask_b32_e64 v62, 0, v62, s3
	v_add_nc_u32_e32 v6, v6, v62
	s_delay_alu instid0(VALU_DEP_1) | instskip(NEXT) | instid1(VALU_DEP_1)
	v_mov_b32_dpp v62, v6 row_shr:8 row_mask:0xf bank_mask:0xf
	v_cndmask_b32_e64 v61, 0, v62, s4
	v_bfe_i32 v62, v16, 4, 1
	s_delay_alu instid0(VALU_DEP_2) | instskip(SKIP_4) | instid1(VALU_DEP_2)
	v_add_nc_u32_e32 v6, v6, v61
	ds_swizzle_b32 v61, v6 offset:swizzle(BROADCAST,32,15)
	s_wait_dscnt 0x0
	v_and_b32_e32 v61, v62, v61
	v_lshrrev_b32_e32 v62, 5, v1
	v_add_nc_u32_e32 v61, v6, v61
	v_cmpx_eq_u32_e64 v1, v63
; %bb.50:
	s_delay_alu instid0(VALU_DEP_3)
	v_lshlrev_b32_e32 v6, 2, v62
	ds_store_b32 v6, v61
; %bb.51:
	s_or_b32 exec_lo, exec_lo, s6
	v_lshlrev_b32_e32 v6, 2, v1
	s_mov_b32 s6, exec_lo
	s_wait_dscnt 0x0
	s_barrier_signal -1
	s_barrier_wait -1
	v_cmpx_gt_u32_e32 16, v1
	s_cbranch_execz .LBB1337_53
; %bb.52:
	ds_load_b32 v63, v6
	s_wait_dscnt 0x0
	v_mov_b32_dpp v64, v63 row_shr:1 row_mask:0xf bank_mask:0xf
	s_delay_alu instid0(VALU_DEP_1) | instskip(NEXT) | instid1(VALU_DEP_1)
	v_cndmask_b32_e64 v64, v64, 0, vcc_lo
	v_add_nc_u32_e32 v63, v64, v63
	s_delay_alu instid0(VALU_DEP_1) | instskip(NEXT) | instid1(VALU_DEP_1)
	v_mov_b32_dpp v64, v63 row_shr:2 row_mask:0xf bank_mask:0xf
	v_cndmask_b32_e64 v64, 0, v64, s2
	s_delay_alu instid0(VALU_DEP_1) | instskip(NEXT) | instid1(VALU_DEP_1)
	v_add_nc_u32_e32 v63, v63, v64
	v_mov_b32_dpp v64, v63 row_shr:4 row_mask:0xf bank_mask:0xf
	s_delay_alu instid0(VALU_DEP_1) | instskip(NEXT) | instid1(VALU_DEP_1)
	v_cndmask_b32_e64 v64, 0, v64, s3
	v_add_nc_u32_e32 v63, v63, v64
	s_delay_alu instid0(VALU_DEP_1) | instskip(NEXT) | instid1(VALU_DEP_1)
	v_mov_b32_dpp v64, v63 row_shr:8 row_mask:0xf bank_mask:0xf
	v_cndmask_b32_e64 v64, 0, v64, s4
	s_delay_alu instid0(VALU_DEP_1)
	v_add_nc_u32_e32 v63, v63, v64
	ds_store_b32 v6, v63
.LBB1337_53:
	s_or_b32 exec_lo, exec_lo, s6
	v_mov_b32_e32 v63, 0
	s_mov_b32 s2, exec_lo
	s_wait_dscnt 0x0
	s_barrier_signal -1
	s_barrier_wait -1
	v_cmpx_lt_u32_e32 31, v1
; %bb.54:
	v_lshl_add_u32 v62, v62, 2, -4
	ds_load_b32 v63, v62
; %bb.55:
	s_or_b32 exec_lo, exec_lo, s2
	v_sub_co_u32 v62, vcc_lo, v16, 1
	s_wait_dscnt 0x0
	v_add_nc_u32_e32 v61, v63, v61
	s_delay_alu instid0(VALU_DEP_2) | instskip(NEXT) | instid1(VALU_DEP_1)
	v_cmp_gt_i32_e64 s2, 0, v62
	v_cndmask_b32_e64 v62, v62, v16, s2
	v_cmp_lt_u32_e64 s2, 0xff, v1
	s_delay_alu instid0(VALU_DEP_2) | instskip(SKIP_4) | instid1(VALU_DEP_2)
	v_lshlrev_b32_e32 v62, 2, v62
	ds_bpermute_b32 v61, v62, v61
	s_wait_dscnt 0x0
	v_cndmask_b32_e32 v61, v61, v63, vcc_lo
	v_cmp_ne_u32_e32 vcc_lo, 0, v1
	v_cndmask_b32_e32 v61, 0, v61, vcc_lo
	v_cmp_gt_u32_e32 vcc_lo, 0x100, v1
	s_delay_alu instid0(VALU_DEP_2) | instskip(NEXT) | instid1(VALU_DEP_1)
	v_add_nc_u32_e32 v10, v61, v10
	v_add_nc_u32_e32 v11, v10, v11
	s_delay_alu instid0(VALU_DEP_1) | instskip(NEXT) | instid1(VALU_DEP_1)
	v_add_nc_u32_e32 v8, v11, v8
	v_add_nc_u32_e32 v9, v8, v9
	s_delay_alu instid0(VALU_DEP_1) | instskip(NEXT) | instid1(VALU_DEP_1)
	;; [unrolled: 3-line block ×3, first 2 shown]
	v_add_nc_u32_e32 v2, v5, v2
	v_add_nc_u32_e32 v3, v2, v3
	ds_store_2addr_b32 v12, v61, v10 offset0:16 offset1:17
	ds_store_2addr_b32 v12, v11, v8 offset0:18 offset1:19
	;; [unrolled: 1-line block ×4, first 2 shown]
	ds_store_b32 v12, v3 offset:96
	s_wait_dscnt 0x0
	s_barrier_signal -1
	s_barrier_wait -1
	ds_load_b32 v63, v13 offset:64
	ds_load_b32 v61, v14 offset:64
	;; [unrolled: 1-line block ×12, first 2 shown]
	v_mov_b64_e32 v[2:3], 0
                                        ; implicit-def: $vgpr4
	s_and_saveexec_b32 s4, vcc_lo
	s_cbranch_execz .LBB1337_59
; %bb.56:
	v_mul_u32_u24_e32 v2, 0x44, v1
	v_dual_mov_b32 v3, 0x1800 :: v_dual_add_nc_u32 v4, 1, v1
	s_mov_b32 s5, exec_lo
	ds_load_b32 v2, v2 offset:64
	v_cmpx_ne_u32_e32 0x100, v4
; %bb.57:
	v_mul_u32_u24_e32 v3, 0x44, v4
	ds_load_b32 v3, v3 offset:64
; %bb.58:
	s_or_b32 exec_lo, exec_lo, s5
	s_wait_dscnt 0x0
	v_dual_mov_b32 v3, 0 :: v_dual_sub_nc_u32 v4, v3, v2
.LBB1337_59:
	s_or_b32 exec_lo, exec_lo, s4
	v_dual_mov_b32 v9, 0 :: v_dual_lshlrev_b32 v5, 3, v1
	s_wait_dscnt 0x0
	s_barrier_signal -1
	s_barrier_wait -1
	s_and_saveexec_b32 s3, vcc_lo
	s_cbranch_execz .LBB1337_69
; %bb.60:
	v_lshl_add_u32 v8, s9, 8, v1
	v_dual_mov_b32 v12, 0 :: v_dual_bitop2_b32 v13, 2.0, v4 bitop3:0x54
	s_mov_b32 s4, 0
	s_mov_b32 s5, s9
	s_delay_alu instid0(VALU_DEP_2)
	v_lshl_add_u64 v[10:11], v[8:9], 2, s[10:11]
	global_store_b32 v8, v13, s[10:11] scale_offset scope:SCOPE_DEV
                                        ; implicit-def: $sgpr6
	s_branch .LBB1337_63
.LBB1337_61:                            ;   in Loop: Header=BB1337_63 Depth=1
	s_or_b32 exec_lo, exec_lo, s7
.LBB1337_62:                            ;   in Loop: Header=BB1337_63 Depth=1
	s_delay_alu instid0(SALU_CYCLE_1) | instskip(SKIP_2) | instid1(VALU_DEP_2)
	s_or_b32 exec_lo, exec_lo, s6
	v_and_b32_e32 v8, 0x3fffffff, v13
	v_cmp_gt_i32_e64 s6, -2.0, v13
	v_add_nc_u32_e32 v12, v8, v12
	s_and_b32 s7, exec_lo, s6
	s_delay_alu instid0(SALU_CYCLE_1) | instskip(NEXT) | instid1(SALU_CYCLE_1)
	s_or_b32 s4, s7, s4
	s_and_not1_b32 exec_lo, exec_lo, s4
	s_cbranch_execz .LBB1337_68
.LBB1337_63:                            ; =>This Loop Header: Depth=1
                                        ;     Child Loop BB1337_66 Depth 2
	s_or_b32 s6, s6, exec_lo
	s_cmp_eq_u32 s5, 0
	s_cbranch_scc1 .LBB1337_67
; %bb.64:                               ;   in Loop: Header=BB1337_63 Depth=1
	s_add_co_i32 s5, s5, -1
	s_mov_b32 s6, exec_lo
	s_wait_xcnt 0x0
	v_lshl_or_b32 v8, s5, 8, v1
	global_load_b32 v13, v8, s[10:11] scale_offset scope:SCOPE_DEV
	s_wait_loadcnt 0x0
	v_cmpx_gt_u32_e32 2.0, v13
	s_cbranch_execz .LBB1337_62
; %bb.65:                               ;   in Loop: Header=BB1337_63 Depth=1
	v_lshl_add_u64 v[14:15], v[8:9], 2, s[10:11]
	s_mov_b32 s7, 0
.LBB1337_66:                            ;   Parent Loop BB1337_63 Depth=1
                                        ; =>  This Inner Loop Header: Depth=2
	global_load_b32 v13, v[14:15], off scope:SCOPE_DEV
	s_wait_loadcnt 0x0
	v_cmp_lt_u32_e32 vcc_lo, 0x3fffffff, v13
	s_or_b32 s7, vcc_lo, s7
	s_wait_xcnt 0x0
	s_and_not1_b32 exec_lo, exec_lo, s7
	s_cbranch_execnz .LBB1337_66
	s_branch .LBB1337_61
.LBB1337_67:                            ;   in Loop: Header=BB1337_63 Depth=1
                                        ; implicit-def: $sgpr5
	s_and_b32 s7, exec_lo, s6
	s_delay_alu instid0(SALU_CYCLE_1)
	s_or_b32 s4, s7, s4
	s_wait_xcnt 0x0
	s_and_not1_b32 exec_lo, exec_lo, s4
	s_cbranch_execnz .LBB1337_63
.LBB1337_68:
	s_or_b32 exec_lo, exec_lo, s4
	v_dual_mov_b32 v13, 0 :: v_dual_add_nc_u32 v8, v12, v4
	s_delay_alu instid0(VALU_DEP_1) | instskip(SKIP_4) | instid1(VALU_DEP_1)
	v_or_b32_e32 v8, 0x80000000, v8
	global_store_b32 v[10:11], v8, off scope:SCOPE_DEV
	global_load_b64 v[8:9], v1, s[12:13] scale_offset
	v_sub_nc_u64_e32 v[10:11], v[12:13], v[2:3]
	s_wait_loadcnt 0x0
	v_add_nc_u64_e32 v[8:9], v[10:11], v[8:9]
	ds_store_b64 v5, v[8:9]
.LBB1337_69:
	s_wait_xcnt 0x0
	s_or_b32 exec_lo, exec_lo, s3
	v_dual_add_nc_u32 v8, v63, v7 :: v_dual_sub_nc_u32 v63, 0, v6
	v_mov_b32_e32 v7, 0
	v_add3_u32 v23, v24, v61, v23
	v_add_nc_u32_e32 v24, 0xe00, v1
	v_add3_u32 v9, v59, v60, v58
	v_add3_u32 v10, v56, v57, v55
	v_add_nc_u64_e32 v[6:7], s[18:19], v[6:7]
	v_add3_u32 v11, v53, v54, v51
	v_add3_u32 v12, v50, v52, v48
	;; [unrolled: 1-line block ×6, first 2 shown]
	v_add_nc_u64_e32 v[6:7], 0x3800, v[6:7]
	v_add3_u32 v29, v30, v34, v29
	v_add3_u32 v26, v27, v62, v26
	v_add_nc_u32_e32 v27, v5, v63
	s_mov_b32 s3, 0
	s_mov_b32 s4, -1
	s_branch .LBB1337_71
.LBB1337_70:                            ;   in Loop: Header=BB1337_71 Depth=1
	s_wait_xcnt 0x0
	s_or_b32 exec_lo, exec_lo, s5
	v_add_nc_u64_e32 v[6:7], 0x4000, v[6:7]
	v_add_nc_u32_e32 v24, 0x1000, v24
	s_xor_b32 s4, s4, -1
	s_addk_co_i32 s3, 0xf000
	s_and_b32 vcc_lo, exec_lo, s4
	s_mov_b32 s4, 0
	s_wait_storecnt 0x0
	s_barrier_signal -1
	s_barrier_wait -1
	s_cbranch_vccnz .LBB1337_87
.LBB1337_71:                            ; =>This Inner Loop Header: Depth=1
	v_add_min_u32_e64 v30, v8, s3, 0x1000
	v_add_min_u32_e64 v33, v23, s3, 0x1000
	;; [unrolled: 1-line block ×5, first 2 shown]
	s_delay_alu instid0(VALU_DEP_4) | instskip(NEXT) | instid1(VALU_DEP_4)
	v_dual_lshlrev_b32 v30, 2, v30 :: v_dual_lshlrev_b32 v33, 2, v33
	v_lshlrev_b32_e32 v34, 2, v34
	v_add_min_u32_e64 v38, v15, s3, 0x1000
	s_mov_b32 s5, exec_lo
	ds_store_b32 v30, v18 offset:2048
	ds_store_b32 v33, v19 offset:2048
	v_add_min_u32_e64 v30, v14, s3, 0x1000
	v_lshlrev_b32_e32 v33, 2, v36
	ds_store_b32 v34, v20 offset:2048
	v_dual_lshlrev_b32 v34, 2, v37 :: v_dual_lshlrev_b32 v36, 2, v38
	v_add_min_u32_e64 v37, v13, s3, 0x1000
	v_lshlrev_b32_e32 v30, 2, v30
	ds_store_b32 v33, v21 offset:2048
	ds_store_b32 v34, v22 offset:2048
	;; [unrolled: 1-line block ×4, first 2 shown]
	v_add_min_u32_e64 v33, v12, s3, 0x1000
	v_add_min_u32_e64 v34, v11, s3, 0x1000
	v_lshlrev_b32_e32 v30, 2, v37
	v_add_min_u32_e64 v36, v10, s3, 0x1000
	v_add_min_u32_e64 v37, v9, s3, 0x1000
	ds_store_b32 v30, v31 offset:2048
	v_dual_lshlrev_b32 v30, 2, v33 :: v_dual_lshlrev_b32 v33, 2, v34
	v_dual_lshlrev_b32 v34, 2, v36 :: v_dual_lshlrev_b32 v36, 2, v37
	v_add_nc_u32_e32 v37, 0xfffff200, v24
	ds_store_b32 v30, v35 offset:2048
	ds_store_b32 v33, v39 offset:2048
	;; [unrolled: 1-line block ×4, first 2 shown]
	s_wait_storecnt_dscnt 0x0
	s_barrier_signal -1
	s_barrier_wait -1
	v_cmpx_gt_u32_e64 s22, v37
	s_cbranch_execz .LBB1337_73
; %bb.72:                               ;   in Loop: Header=BB1337_71 Depth=1
	ds_load_b32 v30, v27 offset:2048
	s_wait_dscnt 0x0
	v_cmp_ne_u32_e32 vcc_lo, 0x80000000, v30
	v_cndmask_b32_e32 v33, 0x7fffffff, v30, vcc_lo
	v_cmp_gt_i32_e32 vcc_lo, 0, v30
	s_delay_alu instid0(VALU_DEP_2) | instskip(NEXT) | instid1(VALU_DEP_1)
	v_lshrrev_b32_e32 v33, s20, v33
	v_and_b32_e32 v33, s25, v33
	s_delay_alu instid0(VALU_DEP_1) | instskip(SKIP_2) | instid1(VALU_DEP_1)
	v_lshlrev_b32_e32 v33, 3, v33
	ds_load_b64 v[36:37], v33
	v_cndmask_b32_e64 v33, 0x7fffffff, 0, vcc_lo
	v_xor_b32_e32 v30, v33, v30
	s_wait_dscnt 0x0
	v_lshl_add_u64 v[36:37], v[36:37], 2, v[6:7]
	global_store_b32 v[36:37], v30, off offset:-14336
.LBB1337_73:                            ;   in Loop: Header=BB1337_71 Depth=1
	s_wait_xcnt 0x0
	s_or_b32 exec_lo, exec_lo, s5
	v_add_nc_u32_e32 v30, 0xfffff400, v24
	s_mov_b32 s5, exec_lo
	s_delay_alu instid0(VALU_DEP_1)
	v_cmpx_gt_u32_e64 s22, v30
	s_cbranch_execz .LBB1337_75
; %bb.74:                               ;   in Loop: Header=BB1337_71 Depth=1
	ds_load_b32 v30, v27 offset:4096
	s_wait_dscnt 0x0
	v_cmp_ne_u32_e32 vcc_lo, 0x80000000, v30
	v_cndmask_b32_e32 v33, 0x7fffffff, v30, vcc_lo
	v_cmp_gt_i32_e32 vcc_lo, 0, v30
	s_delay_alu instid0(VALU_DEP_2) | instskip(NEXT) | instid1(VALU_DEP_1)
	v_lshrrev_b32_e32 v33, s20, v33
	v_and_b32_e32 v33, s25, v33
	s_delay_alu instid0(VALU_DEP_1) | instskip(SKIP_2) | instid1(VALU_DEP_1)
	v_lshlrev_b32_e32 v33, 3, v33
	ds_load_b64 v[36:37], v33
	v_cndmask_b32_e64 v33, 0x7fffffff, 0, vcc_lo
	v_xor_b32_e32 v30, v33, v30
	s_wait_dscnt 0x0
	v_lshl_add_u64 v[36:37], v[36:37], 2, v[6:7]
	global_store_b32 v[36:37], v30, off offset:-12288
.LBB1337_75:                            ;   in Loop: Header=BB1337_71 Depth=1
	s_wait_xcnt 0x0
	s_or_b32 exec_lo, exec_lo, s5
	v_add_nc_u32_e32 v30, 0xfffff600, v24
	s_mov_b32 s5, exec_lo
	s_delay_alu instid0(VALU_DEP_1)
	;; [unrolled: 25-line block ×6, first 2 shown]
	v_cmpx_gt_u32_e64 s22, v30
	s_cbranch_execz .LBB1337_85
; %bb.84:                               ;   in Loop: Header=BB1337_71 Depth=1
	ds_load_b32 v30, v27 offset:14336
	s_wait_dscnt 0x0
	v_cmp_ne_u32_e32 vcc_lo, 0x80000000, v30
	v_cndmask_b32_e32 v33, 0x7fffffff, v30, vcc_lo
	v_cmp_gt_i32_e32 vcc_lo, 0, v30
	s_delay_alu instid0(VALU_DEP_2) | instskip(NEXT) | instid1(VALU_DEP_1)
	v_lshrrev_b32_e32 v33, s20, v33
	v_and_b32_e32 v33, s25, v33
	s_delay_alu instid0(VALU_DEP_1) | instskip(SKIP_2) | instid1(VALU_DEP_1)
	v_lshlrev_b32_e32 v33, 3, v33
	ds_load_b64 v[36:37], v33
	v_cndmask_b32_e64 v33, 0x7fffffff, 0, vcc_lo
	v_xor_b32_e32 v30, v33, v30
	s_wait_dscnt 0x0
	v_lshl_add_u64 v[36:37], v[36:37], 2, v[6:7]
	global_store_b32 v[36:37], v30, off offset:-2048
.LBB1337_85:                            ;   in Loop: Header=BB1337_71 Depth=1
	s_wait_xcnt 0x0
	s_or_b32 exec_lo, exec_lo, s5
	s_delay_alu instid0(SALU_CYCLE_1)
	s_mov_b32 s5, exec_lo
	v_cmpx_gt_u32_e64 s22, v24
	s_cbranch_execz .LBB1337_70
; %bb.86:                               ;   in Loop: Header=BB1337_71 Depth=1
	ds_load_b32 v30, v27 offset:16384
	s_wait_dscnt 0x0
	v_cmp_ne_u32_e32 vcc_lo, 0x80000000, v30
	v_cndmask_b32_e32 v33, 0x7fffffff, v30, vcc_lo
	v_cmp_gt_i32_e32 vcc_lo, 0, v30
	s_delay_alu instid0(VALU_DEP_2) | instskip(NEXT) | instid1(VALU_DEP_1)
	v_lshrrev_b32_e32 v33, s20, v33
	v_and_b32_e32 v33, s25, v33
	s_delay_alu instid0(VALU_DEP_1) | instskip(SKIP_2) | instid1(VALU_DEP_1)
	v_lshlrev_b32_e32 v33, 3, v33
	ds_load_b64 v[36:37], v33
	v_cndmask_b32_e64 v33, 0x7fffffff, 0, vcc_lo
	v_xor_b32_e32 v30, v33, v30
	s_wait_dscnt 0x0
	v_lshl_add_u64 v[36:37], v[36:37], 2, v[6:7]
	global_store_b32 v[36:37], v30, off
	s_branch .LBB1337_70
.LBB1337_87:
	s_add_co_i32 s23, s23, -1
	s_delay_alu instid0(SALU_CYCLE_1) | instskip(SKIP_2) | instid1(SALU_CYCLE_1)
	s_cmp_eq_u32 s9, s23
	s_cselect_b32 s3, -1, 0
	s_xor_b32 s2, s2, -1
	s_and_b32 s3, s2, s3
	s_delay_alu instid0(SALU_CYCLE_1)
	s_and_saveexec_b32 s2, s3
	s_cbranch_execz .LBB1337_89
; %bb.88:
	ds_load_b64 v[6:7], v5
	v_mov_b32_e32 v5, 0
	s_delay_alu instid0(VALU_DEP_1) | instskip(SKIP_1) | instid1(VALU_DEP_1)
	v_add_nc_u64_e32 v[2:3], v[2:3], v[4:5]
	s_wait_dscnt 0x0
	v_add_nc_u64_e32 v[2:3], v[2:3], v[6:7]
	global_store_b64 v1, v[2:3], s[14:15] scale_offset
.LBB1337_89:
	s_wait_xcnt 0x0
	s_or_b32 exec_lo, exec_lo, s2
	s_mov_b32 s2, 0
.LBB1337_90:
	s_delay_alu instid0(SALU_CYCLE_1)
	s_and_b32 vcc_lo, exec_lo, s2
	s_cbranch_vccz .LBB1337_149
; %bb.91:
	s_mov_b32 s25, 0
	v_dual_mov_b32 v11, 0 :: v_dual_lshlrev_b32 v10, 2, v16
	s_lshl_b64 s[2:3], s[24:25], 2
	v_mul_u32_u24_e32 v1, 12, v17
	s_add_nc_u64 s[2:3], s[16:17], s[2:3]
	v_bfe_u32 v18, v0, 20, 10
	v_add_nc_u64_e32 v[2:3], s[2:3], v[10:11]
	s_delay_alu instid0(VALU_DEP_3) | instskip(NEXT) | instid1(VALU_DEP_1)
	v_lshlrev_b32_e32 v10, 2, v1
	v_add_nc_u64_e32 v[14:15], v[2:3], v[10:11]
	s_clause 0xb
	global_load_b32 v5, v[14:15], off
	global_load_b32 v12, v[14:15], off offset:128
	global_load_b32 v13, v[14:15], off offset:256
	;; [unrolled: 1-line block ×11, first 2 shown]
	s_clause 0x1
	s_load_b32 s7, s[0:1], 0x58
	s_load_u16 s2, s[0:1], 0x66
	v_and_b32_e32 v15, 0x3ff, v0
	s_wait_kmcnt 0x0
	s_cmp_lt_u32 s9, s7
	s_cselect_b32 s24, 12, 18
	s_lshl_b32 s8, -1, s21
	s_add_nc_u64 s[0:1], s[26:27], s[24:25]
	s_load_u16 s0, s[0:1], 0x0
	s_wait_loadcnt 0xb
	v_cmp_gt_i32_e32 vcc_lo, 0, v5
	v_cndmask_b32_e64 v10, 0x7fffffff, 0, vcc_lo
	s_delay_alu instid0(VALU_DEP_1) | instskip(SKIP_1) | instid1(VALU_DEP_2)
	v_xor_b32_e32 v14, v10, v5
	v_bfe_u32 v10, v0, 10, 10
	v_cmp_ne_u32_e32 vcc_lo, 0x80000000, v14
	s_delay_alu instid0(VALU_DEP_2) | instskip(SKIP_2) | instid1(VALU_DEP_2)
	v_mad_u32_u24 v0, v18, s2, v10
	v_cndmask_b32_e32 v5, 0x7fffffff, v14, vcc_lo
	s_wait_kmcnt 0x0
	v_mad_u32 v0, v0, s0, v15
	s_delay_alu instid0(VALU_DEP_2) | instskip(NEXT) | instid1(VALU_DEP_1)
	v_lshrrev_b32_e32 v5, s20, v5
	v_bitop3_b32 v10, v5, 1, s8 bitop3:0x40
	v_bitop3_b32 v19, v5, s8, v5 bitop3:0x30
	s_not_b32 s8, s8
	s_delay_alu instid0(VALU_DEP_4) | instskip(NEXT) | instid1(VALU_DEP_3)
	v_lshrrev_b32_e32 v0, 5, v0
	v_add_co_u32 v5, s0, v10, -1
	s_delay_alu instid0(VALU_DEP_1) | instskip(SKIP_2) | instid1(VALU_DEP_3)
	v_cndmask_b32_e64 v10, 0, 1, s0
	v_dual_lshlrev_b32 v18, 30, v19 :: v_dual_lshlrev_b32 v21, 29, v19
	v_dual_lshlrev_b32 v22, 28, v19 :: v_dual_lshlrev_b32 v23, 27, v19
	v_cmp_ne_u32_e32 vcc_lo, 0, v10
	s_delay_alu instid0(VALU_DEP_3)
	v_not_b32_e32 v10, v18
	v_dual_lshlrev_b32 v24, 26, v19 :: v_dual_lshlrev_b32 v25, 25, v19
	v_lshlrev_b32_e32 v26, 24, v19
	v_cmp_gt_i32_e64 s0, 0, v18
	v_cmp_gt_i32_e64 s1, 0, v21
	v_not_b32_e32 v18, v21
	v_not_b32_e32 v21, v22
	v_ashrrev_i32_e32 v10, 31, v10
	v_cmp_gt_i32_e64 s2, 0, v22
	v_cmp_gt_i32_e64 s3, 0, v23
	v_not_b32_e32 v22, v23
	v_not_b32_e32 v23, v24
	v_dual_ashrrev_i32 v18, 31, v18 :: v_dual_bitop2_b32 v5, vcc_lo, v5 bitop3:0x14
	v_dual_ashrrev_i32 v21, 31, v21 :: v_dual_bitop2_b32 v10, s0, v10 bitop3:0x14
	v_cmp_gt_i32_e64 s4, 0, v24
	v_cmp_gt_i32_e64 s5, 0, v25
	v_not_b32_e32 v24, v25
	v_not_b32_e32 v25, v26
	v_dual_ashrrev_i32 v22, 31, v22 :: v_dual_ashrrev_i32 v23, 31, v23
	v_xor_b32_e32 v18, s1, v18
	v_xor_b32_e32 v21, s2, v21
	v_bitop3_b32 v5, v5, v10, exec_lo bitop3:0x80
	v_cmp_gt_i32_e64 s6, 0, v26
	v_dual_ashrrev_i32 v10, 31, v24 :: v_dual_ashrrev_i32 v24, 31, v25
	v_xor_b32_e32 v22, s3, v22
	v_dual_lshlrev_b32 v0, 2, v0 :: v_dual_bitop2_b32 v23, s4, v23 bitop3:0x14
	v_bitop3_b32 v5, v5, v21, v18 bitop3:0x80
	s_delay_alu instid0(VALU_DEP_4)
	v_xor_b32_e32 v18, s5, v10
	v_xor_b32_e32 v21, s6, v24
	v_mul_u32_u24_e32 v10, 36, v15
	ds_store_2addr_b32 v10, v11, v11 offset0:16 offset1:17
	ds_store_2addr_b32 v10, v11, v11 offset0:18 offset1:19
	;; [unrolled: 1-line block ×4, first 2 shown]
	v_bitop3_b32 v5, v5, v23, v22 bitop3:0x80
	ds_store_b32 v10, v11 offset:96
	v_mad_u32 v11, 0x44, v19, v0
	s_wait_storecnt 0x0
	s_wait_loadcnt_dscnt 0x0
	s_barrier_signal -1
	v_bitop3_b32 v18, v5, v21, v18 bitop3:0x80
	s_barrier_wait -1
	; wave barrier
	s_delay_alu instid0(VALU_DEP_1) | instskip(SKIP_1) | instid1(VALU_DEP_2)
	v_mbcnt_lo_u32_b32 v5, v18, 0
	v_cmp_ne_u32_e64 s0, 0, v18
	v_cmp_eq_u32_e32 vcc_lo, 0, v5
	s_and_b32 s1, s0, vcc_lo
	s_delay_alu instid0(SALU_CYCLE_1)
	s_and_saveexec_b32 s0, s1
; %bb.92:
	v_bcnt_u32_b32 v18, v18, 0
	ds_store_b32 v11, v18 offset:64
; %bb.93:
	s_or_b32 exec_lo, exec_lo, s0
	v_cmp_gt_i32_e32 vcc_lo, 0, v12
	; wave barrier
	v_cndmask_b32_e64 v18, 0x7fffffff, 0, vcc_lo
	s_delay_alu instid0(VALU_DEP_1) | instskip(NEXT) | instid1(VALU_DEP_1)
	v_xor_b32_e32 v18, v18, v12
	v_cmp_ne_u32_e32 vcc_lo, 0x80000000, v18
	v_cndmask_b32_e32 v12, 0x7fffffff, v18, vcc_lo
	s_delay_alu instid0(VALU_DEP_1) | instskip(NEXT) | instid1(VALU_DEP_1)
	v_lshrrev_b32_e32 v12, s20, v12
	v_bitop3_b32 v21, v12, 1, s8 bitop3:0x80
	v_and_b32_e32 v19, s8, v12
	s_delay_alu instid0(VALU_DEP_2) | instskip(NEXT) | instid1(VALU_DEP_1)
	v_add_co_u32 v21, s0, v21, -1
	v_cndmask_b32_e64 v22, 0, 1, s0
	s_delay_alu instid0(VALU_DEP_3) | instskip(NEXT) | instid1(VALU_DEP_2)
	v_lshlrev_b32_e32 v23, 30, v19
	v_cmp_ne_u32_e32 vcc_lo, 0, v22
	s_delay_alu instid0(VALU_DEP_2) | instskip(SKIP_1) | instid1(VALU_DEP_2)
	v_not_b32_e32 v22, v23
	v_cmp_gt_i32_e64 s0, 0, v23
	v_dual_ashrrev_i32 v22, 31, v22 :: v_dual_lshlrev_b32 v24, 29, v19
	v_dual_lshlrev_b32 v25, 28, v19 :: v_dual_lshlrev_b32 v26, 27, v19
	v_lshlrev_b32_e32 v27, 26, v19
	v_mad_u32 v12, 0x44, v19, v0
	s_delay_alu instid0(VALU_DEP_4)
	v_cmp_gt_i32_e64 s1, 0, v24
	v_not_b32_e32 v23, v24
	v_not_b32_e32 v24, v25
	v_dual_lshlrev_b32 v28, 25, v19 :: v_dual_lshlrev_b32 v19, 24, v19
	v_cmp_gt_i32_e64 s2, 0, v25
	v_cmp_gt_i32_e64 s3, 0, v26
	v_not_b32_e32 v25, v26
	v_not_b32_e32 v26, v27
	v_dual_ashrrev_i32 v23, 31, v23 :: v_dual_bitop2_b32 v21, vcc_lo, v21 bitop3:0x14
	v_dual_ashrrev_i32 v24, 31, v24 :: v_dual_bitop2_b32 v22, s0, v22 bitop3:0x14
	v_cmp_gt_i32_e64 s4, 0, v27
	v_not_b32_e32 v27, v28
	v_cmp_gt_i32_e64 s6, 0, v19
	v_not_b32_e32 v19, v19
	v_dual_ashrrev_i32 v25, 31, v25 :: v_dual_ashrrev_i32 v26, 31, v26
	v_xor_b32_e32 v23, s1, v23
	v_xor_b32_e32 v24, s2, v24
	v_bitop3_b32 v21, v21, v22, exec_lo bitop3:0x80
	v_cmp_gt_i32_e64 s5, 0, v28
	v_ashrrev_i32_e32 v22, 31, v27
	v_dual_ashrrev_i32 v19, 31, v19 :: v_dual_bitop2_b32 v25, s3, v25 bitop3:0x14
	v_xor_b32_e32 v26, s4, v26
	v_bitop3_b32 v21, v21, v24, v23 bitop3:0x80
	s_delay_alu instid0(VALU_DEP_4) | instskip(NEXT) | instid1(VALU_DEP_4)
	v_xor_b32_e32 v23, s5, v22
	v_xor_b32_e32 v19, s6, v19
	ds_load_b32 v22, v12 offset:64
	v_bitop3_b32 v21, v21, v26, v25 bitop3:0x80
	; wave barrier
	s_delay_alu instid0(VALU_DEP_1) | instskip(NEXT) | instid1(VALU_DEP_1)
	v_bitop3_b32 v19, v21, v19, v23 bitop3:0x80
	v_mbcnt_lo_u32_b32 v23, v19, 0
	v_cmp_ne_u32_e64 s0, 0, v19
	s_delay_alu instid0(VALU_DEP_2) | instskip(SKIP_1) | instid1(SALU_CYCLE_1)
	v_cmp_eq_u32_e32 vcc_lo, 0, v23
	s_and_b32 s1, s0, vcc_lo
	s_and_saveexec_b32 s0, s1
	s_cbranch_execz .LBB1337_95
; %bb.94:
	s_wait_dscnt 0x0
	v_bcnt_u32_b32 v19, v19, v22
	ds_store_b32 v12, v19 offset:64
.LBB1337_95:
	s_or_b32 exec_lo, exec_lo, s0
	v_cmp_gt_i32_e32 vcc_lo, 0, v13
	; wave barrier
	v_cndmask_b32_e64 v19, 0x7fffffff, 0, vcc_lo
	s_delay_alu instid0(VALU_DEP_1) | instskip(NEXT) | instid1(VALU_DEP_1)
	v_xor_b32_e32 v19, v19, v13
	v_cmp_ne_u32_e32 vcc_lo, 0x80000000, v19
	v_cndmask_b32_e32 v13, 0x7fffffff, v19, vcc_lo
	s_delay_alu instid0(VALU_DEP_1) | instskip(NEXT) | instid1(VALU_DEP_1)
	v_lshrrev_b32_e32 v13, s20, v13
	v_bitop3_b32 v24, v13, 1, s8 bitop3:0x80
	v_and_b32_e32 v21, s8, v13
	s_delay_alu instid0(VALU_DEP_2) | instskip(NEXT) | instid1(VALU_DEP_1)
	v_add_co_u32 v24, s0, v24, -1
	v_cndmask_b32_e64 v25, 0, 1, s0
	s_delay_alu instid0(VALU_DEP_3) | instskip(NEXT) | instid1(VALU_DEP_2)
	v_dual_lshlrev_b32 v26, 30, v21 :: v_dual_lshlrev_b32 v27, 29, v21
	v_cmp_ne_u32_e32 vcc_lo, 0, v25
	s_delay_alu instid0(VALU_DEP_2) | instskip(SKIP_1) | instid1(VALU_DEP_4)
	v_cmp_gt_i32_e64 s0, 0, v26
	v_not_b32_e32 v25, v26
	v_not_b32_e32 v26, v27
	s_delay_alu instid0(VALU_DEP_2) | instskip(NEXT) | instid1(VALU_DEP_2)
	v_dual_ashrrev_i32 v25, 31, v25 :: v_dual_bitop2_b32 v24, vcc_lo, v24 bitop3:0x14
	v_dual_ashrrev_i32 v26, 31, v26 :: v_dual_lshlrev_b32 v28, 28, v21
	v_dual_lshlrev_b32 v29, 27, v21 :: v_dual_lshlrev_b32 v30, 26, v21
	v_cmp_gt_i32_e64 s1, 0, v27
	v_mad_u32 v13, 0x44, v21, v0
	s_delay_alu instid0(VALU_DEP_4)
	v_not_b32_e32 v27, v28
	v_dual_lshlrev_b32 v31, 25, v21 :: v_dual_lshlrev_b32 v21, 24, v21
	v_cmp_gt_i32_e64 s2, 0, v28
	v_cmp_gt_i32_e64 s3, 0, v29
	v_not_b32_e32 v28, v29
	v_not_b32_e32 v29, v30
	v_dual_ashrrev_i32 v27, 31, v27 :: v_dual_bitop2_b32 v25, s0, v25 bitop3:0x14
	v_cmp_gt_i32_e64 s4, 0, v30
	v_not_b32_e32 v30, v31
	v_cmp_gt_i32_e64 s6, 0, v21
	v_not_b32_e32 v21, v21
	v_dual_ashrrev_i32 v28, 31, v28 :: v_dual_ashrrev_i32 v29, 31, v29
	v_xor_b32_e32 v26, s1, v26
	v_xor_b32_e32 v27, s2, v27
	v_bitop3_b32 v24, v24, v25, exec_lo bitop3:0x80
	v_cmp_gt_i32_e64 s5, 0, v31
	v_dual_ashrrev_i32 v25, 31, v30 :: v_dual_ashrrev_i32 v21, 31, v21
	v_xor_b32_e32 v28, s3, v28
	v_xor_b32_e32 v29, s4, v29
	v_bitop3_b32 v24, v24, v27, v26 bitop3:0x80
	s_delay_alu instid0(VALU_DEP_4) | instskip(SKIP_3) | instid1(VALU_DEP_1)
	v_xor_b32_e32 v26, s5, v25
	v_xor_b32_e32 v21, s6, v21
	ds_load_b32 v25, v13 offset:64
	v_bitop3_b32 v24, v24, v29, v28 bitop3:0x80
	; wave barrier
	v_bitop3_b32 v21, v24, v21, v26 bitop3:0x80
	s_delay_alu instid0(VALU_DEP_1) | instskip(SKIP_1) | instid1(VALU_DEP_2)
	v_mbcnt_lo_u32_b32 v26, v21, 0
	v_cmp_ne_u32_e64 s0, 0, v21
	v_cmp_eq_u32_e32 vcc_lo, 0, v26
	s_and_b32 s1, s0, vcc_lo
	s_delay_alu instid0(SALU_CYCLE_1)
	s_and_saveexec_b32 s0, s1
	s_cbranch_execz .LBB1337_97
; %bb.96:
	s_wait_dscnt 0x0
	v_bcnt_u32_b32 v21, v21, v25
	ds_store_b32 v13, v21 offset:64
.LBB1337_97:
	s_or_b32 exec_lo, exec_lo, s0
	v_cmp_gt_i32_e32 vcc_lo, 0, v20
	; wave barrier
	v_cndmask_b32_e64 v21, 0x7fffffff, 0, vcc_lo
	s_delay_alu instid0(VALU_DEP_1) | instskip(NEXT) | instid1(VALU_DEP_1)
	v_xor_b32_e32 v20, v21, v20
	v_cmp_ne_u32_e32 vcc_lo, 0x80000000, v20
	v_cndmask_b32_e32 v21, 0x7fffffff, v20, vcc_lo
	s_delay_alu instid0(VALU_DEP_1) | instskip(NEXT) | instid1(VALU_DEP_1)
	v_lshrrev_b32_e32 v21, s20, v21
	v_and_b32_e32 v24, s8, v21
	v_bitop3_b32 v21, v21, 1, s8 bitop3:0x80
	s_delay_alu instid0(VALU_DEP_2) | instskip(NEXT) | instid1(VALU_DEP_2)
	v_lshlrev_b32_e32 v28, 30, v24
	v_add_co_u32 v21, s0, v21, -1
	s_delay_alu instid0(VALU_DEP_1) | instskip(NEXT) | instid1(VALU_DEP_1)
	v_cndmask_b32_e64 v27, 0, 1, s0
	v_cmp_ne_u32_e32 vcc_lo, 0, v27
	s_delay_alu instid0(VALU_DEP_4) | instskip(NEXT) | instid1(VALU_DEP_1)
	v_not_b32_e32 v27, v28
	v_dual_ashrrev_i32 v27, 31, v27 :: v_dual_bitop2_b32 v21, vcc_lo, v21 bitop3:0x14
	v_dual_lshlrev_b32 v29, 29, v24 :: v_dual_lshlrev_b32 v30, 28, v24
	v_lshlrev_b32_e32 v31, 27, v24
	v_mad_u32 v33, 0x44, v24, v0
	v_dual_lshlrev_b32 v32, 26, v24 :: v_dual_lshlrev_b32 v34, 25, v24
	v_lshlrev_b32_e32 v24, 24, v24
	v_cmp_gt_i32_e64 s0, 0, v28
	v_cmp_gt_i32_e64 s1, 0, v29
	v_not_b32_e32 v28, v29
	v_not_b32_e32 v29, v30
	v_cmp_gt_i32_e64 s2, 0, v30
	v_cmp_gt_i32_e64 s3, 0, v31
	v_not_b32_e32 v30, v31
	v_not_b32_e32 v31, v32
	v_cmp_gt_i32_e64 s6, 0, v24
	v_not_b32_e32 v24, v24
	v_dual_ashrrev_i32 v28, 31, v28 :: v_dual_ashrrev_i32 v29, 31, v29
	v_xor_b32_e32 v27, s0, v27
	v_cmp_gt_i32_e64 s4, 0, v32
	v_not_b32_e32 v32, v34
	v_dual_ashrrev_i32 v30, 31, v30 :: v_dual_ashrrev_i32 v31, 31, v31
	v_xor_b32_e32 v28, s1, v28
	v_dual_ashrrev_i32 v24, 31, v24 :: v_dual_bitop2_b32 v29, s2, v29 bitop3:0x14
	v_bitop3_b32 v21, v21, v27, exec_lo bitop3:0x80
	v_cmp_gt_i32_e64 s5, 0, v34
	v_dual_ashrrev_i32 v27, 31, v32 :: v_dual_bitop2_b32 v30, s3, v30 bitop3:0x14
	v_xor_b32_e32 v31, s4, v31
	s_delay_alu instid0(VALU_DEP_4) | instskip(SKIP_1) | instid1(VALU_DEP_4)
	v_bitop3_b32 v21, v21, v29, v28 bitop3:0x80
	v_xor_b32_e32 v24, s6, v24
	v_xor_b32_e32 v27, s5, v27
	ds_load_b32 v28, v33 offset:64
	v_bitop3_b32 v21, v21, v31, v30 bitop3:0x80
	; wave barrier
	s_delay_alu instid0(VALU_DEP_1) | instskip(NEXT) | instid1(VALU_DEP_1)
	v_bitop3_b32 v21, v21, v24, v27 bitop3:0x80
	v_mbcnt_lo_u32_b32 v29, v21, 0
	v_cmp_ne_u32_e64 s0, 0, v21
	s_delay_alu instid0(VALU_DEP_2) | instskip(SKIP_1) | instid1(SALU_CYCLE_1)
	v_cmp_eq_u32_e32 vcc_lo, 0, v29
	s_and_b32 s1, s0, vcc_lo
	s_and_saveexec_b32 s0, s1
	s_cbranch_execz .LBB1337_99
; %bb.98:
	s_wait_dscnt 0x0
	v_bcnt_u32_b32 v21, v21, v28
	ds_store_b32 v33, v21 offset:64
.LBB1337_99:
	s_or_b32 exec_lo, exec_lo, s0
	v_cmp_gt_i32_e32 vcc_lo, 0, v9
	; wave barrier
	v_cndmask_b32_e64 v21, 0x7fffffff, 0, vcc_lo
	s_delay_alu instid0(VALU_DEP_1) | instskip(NEXT) | instid1(VALU_DEP_1)
	v_xor_b32_e32 v21, v21, v9
	v_cmp_ne_u32_e32 vcc_lo, 0x80000000, v21
	v_cndmask_b32_e32 v9, 0x7fffffff, v21, vcc_lo
	s_delay_alu instid0(VALU_DEP_1) | instskip(NEXT) | instid1(VALU_DEP_1)
	v_lshrrev_b32_e32 v9, s20, v9
	v_and_b32_e32 v24, s8, v9
	v_bitop3_b32 v9, v9, 1, s8 bitop3:0x80
	s_delay_alu instid0(VALU_DEP_2) | instskip(NEXT) | instid1(VALU_DEP_2)
	v_lshlrev_b32_e32 v30, 30, v24
	v_add_co_u32 v9, s0, v9, -1
	s_delay_alu instid0(VALU_DEP_1) | instskip(NEXT) | instid1(VALU_DEP_3)
	v_cndmask_b32_e64 v27, 0, 1, s0
	v_cmp_gt_i32_e64 s0, 0, v30
	s_delay_alu instid0(VALU_DEP_2) | instskip(SKIP_1) | instid1(VALU_DEP_1)
	v_cmp_ne_u32_e32 vcc_lo, 0, v27
	v_not_b32_e32 v27, v30
	v_dual_ashrrev_i32 v27, 31, v27 :: v_dual_lshlrev_b32 v31, 29, v24
	v_dual_lshlrev_b32 v32, 28, v24 :: v_dual_lshlrev_b32 v34, 27, v24
	v_lshlrev_b32_e32 v35, 26, v24
	v_mad_u32 v37, 0x44, v24, v0
	s_delay_alu instid0(VALU_DEP_4)
	v_cmp_gt_i32_e64 s1, 0, v31
	v_not_b32_e32 v30, v31
	v_not_b32_e32 v31, v32
	v_dual_lshlrev_b32 v36, 25, v24 :: v_dual_lshlrev_b32 v24, 24, v24
	v_cmp_gt_i32_e64 s2, 0, v32
	v_cmp_gt_i32_e64 s3, 0, v34
	v_not_b32_e32 v32, v34
	v_not_b32_e32 v34, v35
	v_dual_ashrrev_i32 v30, 31, v30 :: v_dual_bitop2_b32 v9, vcc_lo, v9 bitop3:0x14
	s_delay_alu instid0(VALU_DEP_3) | instskip(NEXT) | instid1(VALU_DEP_3)
	v_dual_ashrrev_i32 v31, 31, v31 :: v_dual_ashrrev_i32 v32, 31, v32
	v_dual_ashrrev_i32 v34, 31, v34 :: v_dual_bitop2_b32 v27, s0, v27 bitop3:0x14
	v_cmp_gt_i32_e64 s4, 0, v35
	v_not_b32_e32 v35, v36
	v_cmp_gt_i32_e64 s6, 0, v24
	v_not_b32_e32 v24, v24
	v_xor_b32_e32 v30, s1, v30
	v_xor_b32_e32 v31, s2, v31
	v_bitop3_b32 v9, v9, v27, exec_lo bitop3:0x80
	v_cmp_gt_i32_e64 s5, 0, v36
	v_dual_ashrrev_i32 v27, 31, v35 :: v_dual_ashrrev_i32 v24, 31, v24
	v_xor_b32_e32 v32, s3, v32
	v_xor_b32_e32 v34, s4, v34
	v_bitop3_b32 v9, v9, v31, v30 bitop3:0x80
	s_delay_alu instid0(VALU_DEP_4) | instskip(SKIP_3) | instid1(VALU_DEP_1)
	v_xor_b32_e32 v27, s5, v27
	v_xor_b32_e32 v24, s6, v24
	ds_load_b32 v31, v37 offset:64
	v_bitop3_b32 v9, v9, v34, v32 bitop3:0x80
	; wave barrier
	v_bitop3_b32 v9, v9, v24, v27 bitop3:0x80
	s_delay_alu instid0(VALU_DEP_1) | instskip(SKIP_1) | instid1(VALU_DEP_2)
	v_mbcnt_lo_u32_b32 v32, v9, 0
	v_cmp_ne_u32_e64 s0, 0, v9
	v_cmp_eq_u32_e32 vcc_lo, 0, v32
	s_and_b32 s1, s0, vcc_lo
	s_delay_alu instid0(SALU_CYCLE_1)
	s_and_saveexec_b32 s0, s1
	s_cbranch_execz .LBB1337_101
; %bb.100:
	s_wait_dscnt 0x0
	v_bcnt_u32_b32 v9, v9, v31
	ds_store_b32 v37, v9 offset:64
.LBB1337_101:
	s_or_b32 exec_lo, exec_lo, s0
	v_cmp_gt_i32_e32 vcc_lo, 0, v8
	; wave barrier
	v_cndmask_b32_e64 v9, 0x7fffffff, 0, vcc_lo
	s_delay_alu instid0(VALU_DEP_1) | instskip(NEXT) | instid1(VALU_DEP_1)
	v_xor_b32_e32 v24, v9, v8
	v_cmp_ne_u32_e32 vcc_lo, 0x80000000, v24
	v_cndmask_b32_e32 v8, 0x7fffffff, v24, vcc_lo
	s_delay_alu instid0(VALU_DEP_1) | instskip(NEXT) | instid1(VALU_DEP_1)
	v_lshrrev_b32_e32 v8, s20, v8
	v_and_b32_e32 v9, s8, v8
	v_bitop3_b32 v8, v8, 1, s8 bitop3:0x80
	s_delay_alu instid0(VALU_DEP_2) | instskip(NEXT) | instid1(VALU_DEP_2)
	v_lshlrev_b32_e32 v30, 30, v9
	v_add_co_u32 v8, s0, v8, -1
	s_delay_alu instid0(VALU_DEP_1) | instskip(NEXT) | instid1(VALU_DEP_1)
	v_cndmask_b32_e64 v27, 0, 1, s0
	v_cmp_ne_u32_e32 vcc_lo, 0, v27
	s_delay_alu instid0(VALU_DEP_4) | instskip(NEXT) | instid1(VALU_DEP_1)
	v_not_b32_e32 v27, v30
	v_dual_ashrrev_i32 v27, 31, v27 :: v_dual_lshlrev_b32 v34, 29, v9
	v_dual_lshlrev_b32 v35, 28, v9 :: v_dual_lshlrev_b32 v36, 27, v9
	v_lshlrev_b32_e32 v38, 26, v9
	v_cmp_gt_i32_e64 s0, 0, v30
	s_delay_alu instid0(VALU_DEP_4)
	v_cmp_gt_i32_e64 s1, 0, v34
	v_not_b32_e32 v30, v34
	v_not_b32_e32 v34, v35
	v_mad_u32 v41, 0x44, v9, v0
	v_dual_lshlrev_b32 v39, 25, v9 :: v_dual_lshlrev_b32 v9, 24, v9
	v_cmp_gt_i32_e64 s2, 0, v35
	v_cmp_gt_i32_e64 s3, 0, v36
	v_not_b32_e32 v35, v36
	v_not_b32_e32 v36, v38
	v_dual_ashrrev_i32 v30, 31, v30 :: v_dual_bitop2_b32 v8, vcc_lo, v8 bitop3:0x14
	v_dual_ashrrev_i32 v34, 31, v34 :: v_dual_bitop2_b32 v27, s0, v27 bitop3:0x14
	v_cmp_gt_i32_e64 s4, 0, v38
	v_not_b32_e32 v38, v39
	v_cmp_gt_i32_e64 s6, 0, v9
	v_not_b32_e32 v9, v9
	v_dual_ashrrev_i32 v35, 31, v35 :: v_dual_ashrrev_i32 v36, 31, v36
	v_xor_b32_e32 v30, s1, v30
	v_xor_b32_e32 v34, s2, v34
	v_bitop3_b32 v8, v8, v27, exec_lo bitop3:0x80
	v_cmp_gt_i32_e64 s5, 0, v39
	v_dual_ashrrev_i32 v27, 31, v38 :: v_dual_bitop2_b32 v35, s3, v35 bitop3:0x14
	v_dual_ashrrev_i32 v9, 31, v9 :: v_dual_bitop2_b32 v36, s4, v36 bitop3:0x14
	s_delay_alu instid0(VALU_DEP_4) | instskip(NEXT) | instid1(VALU_DEP_3)
	v_bitop3_b32 v8, v8, v34, v30 bitop3:0x80
	v_xor_b32_e32 v27, s5, v27
	s_delay_alu instid0(VALU_DEP_3) | instskip(NEXT) | instid1(VALU_DEP_3)
	v_xor_b32_e32 v9, s6, v9
	v_bitop3_b32 v8, v8, v36, v35 bitop3:0x80
	ds_load_b32 v35, v41 offset:64
	; wave barrier
	v_bitop3_b32 v8, v8, v9, v27 bitop3:0x80
	s_delay_alu instid0(VALU_DEP_1) | instskip(SKIP_1) | instid1(VALU_DEP_2)
	v_mbcnt_lo_u32_b32 v36, v8, 0
	v_cmp_ne_u32_e64 s0, 0, v8
	v_cmp_eq_u32_e32 vcc_lo, 0, v36
	s_and_b32 s1, s0, vcc_lo
	s_delay_alu instid0(SALU_CYCLE_1)
	s_and_saveexec_b32 s0, s1
	s_cbranch_execz .LBB1337_103
; %bb.102:
	s_wait_dscnt 0x0
	v_bcnt_u32_b32 v8, v8, v35
	ds_store_b32 v41, v8 offset:64
.LBB1337_103:
	s_or_b32 exec_lo, exec_lo, s0
	v_cmp_gt_i32_e32 vcc_lo, 0, v7
	; wave barrier
	v_cndmask_b32_e64 v8, 0x7fffffff, 0, vcc_lo
	s_delay_alu instid0(VALU_DEP_1) | instskip(NEXT) | instid1(VALU_DEP_1)
	v_xor_b32_e32 v27, v8, v7
	v_cmp_ne_u32_e32 vcc_lo, 0x80000000, v27
	v_cndmask_b32_e32 v7, 0x7fffffff, v27, vcc_lo
	s_delay_alu instid0(VALU_DEP_1) | instskip(NEXT) | instid1(VALU_DEP_1)
	v_lshrrev_b32_e32 v7, s20, v7
	v_and_b32_e32 v8, s8, v7
	v_bitop3_b32 v7, v7, 1, s8 bitop3:0x80
	s_delay_alu instid0(VALU_DEP_2) | instskip(NEXT) | instid1(VALU_DEP_2)
	v_lshlrev_b32_e32 v30, 30, v8
	v_add_co_u32 v7, s0, v7, -1
	s_delay_alu instid0(VALU_DEP_1) | instskip(NEXT) | instid1(VALU_DEP_3)
	v_cndmask_b32_e64 v9, 0, 1, s0
	v_cmp_gt_i32_e64 s0, 0, v30
	s_delay_alu instid0(VALU_DEP_2) | instskip(SKIP_1) | instid1(VALU_DEP_1)
	v_cmp_ne_u32_e32 vcc_lo, 0, v9
	v_not_b32_e32 v9, v30
	v_dual_ashrrev_i32 v9, 31, v9 :: v_dual_lshlrev_b32 v34, 29, v8
	v_dual_lshlrev_b32 v38, 28, v8 :: v_dual_lshlrev_b32 v39, 27, v8
	v_lshlrev_b32_e32 v40, 26, v8
	v_mad_u32 v44, 0x44, v8, v0
	s_delay_alu instid0(VALU_DEP_4)
	v_cmp_gt_i32_e64 s1, 0, v34
	v_not_b32_e32 v30, v34
	v_not_b32_e32 v34, v38
	v_dual_lshlrev_b32 v42, 25, v8 :: v_dual_lshlrev_b32 v8, 24, v8
	v_cmp_gt_i32_e64 s2, 0, v38
	v_cmp_gt_i32_e64 s3, 0, v39
	v_not_b32_e32 v38, v39
	v_not_b32_e32 v39, v40
	v_dual_ashrrev_i32 v30, 31, v30 :: v_dual_bitop2_b32 v7, vcc_lo, v7 bitop3:0x14
	v_dual_ashrrev_i32 v34, 31, v34 :: v_dual_bitop2_b32 v9, s0, v9 bitop3:0x14
	v_cmp_gt_i32_e64 s4, 0, v40
	v_not_b32_e32 v40, v42
	v_cmp_gt_i32_e64 s6, 0, v8
	v_not_b32_e32 v8, v8
	v_dual_ashrrev_i32 v38, 31, v38 :: v_dual_ashrrev_i32 v39, 31, v39
	v_xor_b32_e32 v30, s1, v30
	s_delay_alu instid0(VALU_DEP_3) | instskip(SKIP_4) | instid1(VALU_DEP_4)
	v_dual_ashrrev_i32 v8, 31, v8 :: v_dual_bitop2_b32 v34, s2, v34 bitop3:0x14
	v_bitop3_b32 v7, v7, v9, exec_lo bitop3:0x80
	v_cmp_gt_i32_e64 s5, 0, v42
	v_dual_ashrrev_i32 v9, 31, v40 :: v_dual_bitop2_b32 v38, s3, v38 bitop3:0x14
	v_xor_b32_e32 v39, s4, v39
	v_bitop3_b32 v7, v7, v34, v30 bitop3:0x80
	v_xor_b32_e32 v8, s6, v8
	s_delay_alu instid0(VALU_DEP_4) | instskip(NEXT) | instid1(VALU_DEP_3)
	v_xor_b32_e32 v9, s5, v9
	v_bitop3_b32 v7, v7, v39, v38 bitop3:0x80
	ds_load_b32 v39, v44 offset:64
	; wave barrier
	v_bitop3_b32 v7, v7, v8, v9 bitop3:0x80
	s_delay_alu instid0(VALU_DEP_1) | instskip(SKIP_1) | instid1(VALU_DEP_2)
	v_mbcnt_lo_u32_b32 v40, v7, 0
	v_cmp_ne_u32_e64 s0, 0, v7
	v_cmp_eq_u32_e32 vcc_lo, 0, v40
	s_and_b32 s1, s0, vcc_lo
	s_delay_alu instid0(SALU_CYCLE_1)
	s_and_saveexec_b32 s0, s1
	s_cbranch_execz .LBB1337_105
; %bb.104:
	s_wait_dscnt 0x0
	v_bcnt_u32_b32 v7, v7, v39
	ds_store_b32 v44, v7 offset:64
.LBB1337_105:
	s_or_b32 exec_lo, exec_lo, s0
	v_cmp_gt_i32_e32 vcc_lo, 0, v6
	; wave barrier
	v_cndmask_b32_e64 v7, 0x7fffffff, 0, vcc_lo
	s_delay_alu instid0(VALU_DEP_1) | instskip(NEXT) | instid1(VALU_DEP_1)
	v_xor_b32_e32 v30, v7, v6
	v_cmp_ne_u32_e32 vcc_lo, 0x80000000, v30
	v_cndmask_b32_e32 v6, 0x7fffffff, v30, vcc_lo
	s_delay_alu instid0(VALU_DEP_1) | instskip(NEXT) | instid1(VALU_DEP_1)
	v_lshrrev_b32_e32 v6, s20, v6
	v_and_b32_e32 v7, s8, v6
	v_bitop3_b32 v6, v6, 1, s8 bitop3:0x80
	s_delay_alu instid0(VALU_DEP_2) | instskip(NEXT) | instid1(VALU_DEP_2)
	v_lshlrev_b32_e32 v9, 30, v7
	v_add_co_u32 v6, s0, v6, -1
	s_delay_alu instid0(VALU_DEP_1) | instskip(NEXT) | instid1(VALU_DEP_3)
	v_cndmask_b32_e64 v8, 0, 1, s0
	v_cmp_gt_i32_e64 s0, 0, v9
	s_delay_alu instid0(VALU_DEP_2) | instskip(SKIP_1) | instid1(VALU_DEP_1)
	v_cmp_ne_u32_e32 vcc_lo, 0, v8
	v_not_b32_e32 v8, v9
	v_dual_ashrrev_i32 v8, 31, v8 :: v_dual_lshlrev_b32 v34, 29, v7
	v_dual_lshlrev_b32 v38, 28, v7 :: v_dual_lshlrev_b32 v42, 27, v7
	v_lshlrev_b32_e32 v43, 26, v7
	v_mad_u32 v48, 0x44, v7, v0
	s_delay_alu instid0(VALU_DEP_4)
	v_cmp_gt_i32_e64 s1, 0, v34
	v_not_b32_e32 v9, v34
	v_not_b32_e32 v34, v38
	v_dual_lshlrev_b32 v45, 25, v7 :: v_dual_lshlrev_b32 v7, 24, v7
	v_cmp_gt_i32_e64 s2, 0, v38
	v_cmp_gt_i32_e64 s3, 0, v42
	v_not_b32_e32 v38, v42
	v_not_b32_e32 v42, v43
	v_dual_ashrrev_i32 v9, 31, v9 :: v_dual_bitop2_b32 v6, vcc_lo, v6 bitop3:0x14
	v_dual_ashrrev_i32 v34, 31, v34 :: v_dual_bitop2_b32 v8, s0, v8 bitop3:0x14
	v_cmp_gt_i32_e64 s4, 0, v43
	v_not_b32_e32 v43, v45
	v_cmp_gt_i32_e64 s6, 0, v7
	v_not_b32_e32 v7, v7
	v_dual_ashrrev_i32 v38, 31, v38 :: v_dual_bitop2_b32 v9, s1, v9 bitop3:0x14
	v_ashrrev_i32_e32 v42, 31, v42
	s_delay_alu instid0(VALU_DEP_3) | instskip(SKIP_4) | instid1(VALU_DEP_4)
	v_dual_ashrrev_i32 v7, 31, v7 :: v_dual_bitop2_b32 v34, s2, v34 bitop3:0x14
	v_bitop3_b32 v6, v6, v8, exec_lo bitop3:0x80
	v_cmp_gt_i32_e64 s5, 0, v45
	v_dual_ashrrev_i32 v8, 31, v43 :: v_dual_bitop2_b32 v38, s3, v38 bitop3:0x14
	v_xor_b32_e32 v42, s4, v42
	v_bitop3_b32 v6, v6, v34, v9 bitop3:0x80
	v_xor_b32_e32 v7, s6, v7
	s_delay_alu instid0(VALU_DEP_4) | instskip(SKIP_2) | instid1(VALU_DEP_1)
	v_xor_b32_e32 v8, s5, v8
	ds_load_b32 v43, v48 offset:64
	v_bitop3_b32 v6, v6, v42, v38 bitop3:0x80
	; wave barrier
	v_bitop3_b32 v6, v6, v7, v8 bitop3:0x80
	s_delay_alu instid0(VALU_DEP_1) | instskip(SKIP_1) | instid1(VALU_DEP_2)
	v_mbcnt_lo_u32_b32 v45, v6, 0
	v_cmp_ne_u32_e64 s0, 0, v6
	v_cmp_eq_u32_e32 vcc_lo, 0, v45
	s_and_b32 s1, s0, vcc_lo
	s_delay_alu instid0(SALU_CYCLE_1)
	s_and_saveexec_b32 s0, s1
	s_cbranch_execz .LBB1337_107
; %bb.106:
	s_wait_dscnt 0x0
	v_bcnt_u32_b32 v6, v6, v43
	ds_store_b32 v48, v6 offset:64
.LBB1337_107:
	s_or_b32 exec_lo, exec_lo, s0
	v_cmp_gt_i32_e32 vcc_lo, 0, v4
	; wave barrier
	v_cndmask_b32_e64 v6, 0x7fffffff, 0, vcc_lo
	s_delay_alu instid0(VALU_DEP_1) | instskip(NEXT) | instid1(VALU_DEP_1)
	v_xor_b32_e32 v34, v6, v4
	v_cmp_ne_u32_e32 vcc_lo, 0x80000000, v34
	v_cndmask_b32_e32 v4, 0x7fffffff, v34, vcc_lo
	s_delay_alu instid0(VALU_DEP_1) | instskip(NEXT) | instid1(VALU_DEP_1)
	v_lshrrev_b32_e32 v4, s20, v4
	v_and_b32_e32 v6, s8, v4
	v_bitop3_b32 v4, v4, 1, s8 bitop3:0x80
	s_delay_alu instid0(VALU_DEP_2) | instskip(NEXT) | instid1(VALU_DEP_2)
	v_dual_lshlrev_b32 v8, 30, v6 :: v_dual_lshlrev_b32 v9, 29, v6
	v_add_co_u32 v4, s0, v4, -1
	s_delay_alu instid0(VALU_DEP_1) | instskip(SKIP_1) | instid1(VALU_DEP_4)
	v_cndmask_b32_e64 v7, 0, 1, s0
	v_lshlrev_b32_e32 v38, 28, v6
	v_cmp_gt_i32_e64 s0, 0, v8
	v_cmp_gt_i32_e64 s1, 0, v9
	s_delay_alu instid0(VALU_DEP_4) | instskip(SKIP_3) | instid1(VALU_DEP_3)
	v_cmp_ne_u32_e32 vcc_lo, 0, v7
	v_not_b32_e32 v7, v8
	v_not_b32_e32 v8, v9
	;; [unrolled: 1-line block ×3, first 2 shown]
	v_dual_ashrrev_i32 v7, 31, v7 :: v_dual_bitop2_b32 v4, vcc_lo, v4 bitop3:0x14
	s_delay_alu instid0(VALU_DEP_2)
	v_dual_ashrrev_i32 v8, 31, v8 :: v_dual_ashrrev_i32 v9, 31, v9
	v_dual_lshlrev_b32 v42, 27, v6 :: v_dual_lshlrev_b32 v46, 26, v6
	v_lshlrev_b32_e32 v47, 25, v6
	v_mad_u32 v51, 0x44, v6, v0
	v_lshlrev_b32_e32 v6, 24, v6
	v_cmp_gt_i32_e64 s2, 0, v38
	v_cmp_gt_i32_e64 s3, 0, v42
	v_not_b32_e32 v38, v42
	v_not_b32_e32 v42, v46
	v_xor_b32_e32 v7, s0, v7
	v_cmp_gt_i32_e64 s4, 0, v46
	v_not_b32_e32 v46, v47
	v_cmp_gt_i32_e64 s6, 0, v6
	v_not_b32_e32 v6, v6
	v_dual_ashrrev_i32 v38, 31, v38 :: v_dual_bitop2_b32 v8, s1, v8 bitop3:0x14
	v_dual_ashrrev_i32 v42, 31, v42 :: v_dual_bitop2_b32 v9, s2, v9 bitop3:0x14
	v_bitop3_b32 v4, v4, v7, exec_lo bitop3:0x80
	v_cmp_gt_i32_e64 s5, 0, v47
	v_ashrrev_i32_e32 v7, 31, v46
	v_ashrrev_i32_e32 v6, 31, v6
	v_xor_b32_e32 v38, s3, v38
	v_xor_b32_e32 v42, s4, v42
	v_bitop3_b32 v4, v4, v9, v8 bitop3:0x80
	v_xor_b32_e32 v7, s5, v7
	v_xor_b32_e32 v6, s6, v6
	ds_load_b32 v47, v51 offset:64
	v_bitop3_b32 v4, v4, v42, v38 bitop3:0x80
	; wave barrier
	s_delay_alu instid0(VALU_DEP_1) | instskip(NEXT) | instid1(VALU_DEP_1)
	v_bitop3_b32 v4, v4, v6, v7 bitop3:0x80
	v_mbcnt_lo_u32_b32 v49, v4, 0
	v_cmp_ne_u32_e64 s0, 0, v4
	s_delay_alu instid0(VALU_DEP_2) | instskip(SKIP_1) | instid1(SALU_CYCLE_1)
	v_cmp_eq_u32_e32 vcc_lo, 0, v49
	s_and_b32 s1, s0, vcc_lo
	s_and_saveexec_b32 s0, s1
	s_cbranch_execz .LBB1337_109
; %bb.108:
	s_wait_dscnt 0x0
	v_bcnt_u32_b32 v4, v4, v47
	ds_store_b32 v51, v4 offset:64
.LBB1337_109:
	s_or_b32 exec_lo, exec_lo, s0
	v_cmp_gt_i32_e32 vcc_lo, 0, v3
	; wave barrier
	v_cndmask_b32_e64 v4, 0x7fffffff, 0, vcc_lo
	s_delay_alu instid0(VALU_DEP_1) | instskip(NEXT) | instid1(VALU_DEP_1)
	v_xor_b32_e32 v38, v4, v3
	v_cmp_ne_u32_e32 vcc_lo, 0x80000000, v38
	v_cndmask_b32_e32 v3, 0x7fffffff, v38, vcc_lo
	s_delay_alu instid0(VALU_DEP_1) | instskip(NEXT) | instid1(VALU_DEP_1)
	v_lshrrev_b32_e32 v3, s20, v3
	v_and_b32_e32 v4, s8, v3
	v_bitop3_b32 v3, v3, 1, s8 bitop3:0x80
	s_delay_alu instid0(VALU_DEP_2) | instskip(NEXT) | instid1(VALU_DEP_2)
	v_lshlrev_b32_e32 v7, 30, v4
	v_add_co_u32 v3, s0, v3, -1
	s_delay_alu instid0(VALU_DEP_1) | instskip(NEXT) | instid1(VALU_DEP_1)
	v_cndmask_b32_e64 v6, 0, 1, s0
	v_cmp_ne_u32_e32 vcc_lo, 0, v6
	s_delay_alu instid0(VALU_DEP_4) | instskip(NEXT) | instid1(VALU_DEP_1)
	v_not_b32_e32 v6, v7
	v_dual_ashrrev_i32 v6, 31, v6 :: v_dual_lshlrev_b32 v8, 29, v4
	v_dual_lshlrev_b32 v9, 28, v4 :: v_dual_lshlrev_b32 v42, 27, v4
	v_lshlrev_b32_e32 v46, 26, v4
	v_cmp_gt_i32_e64 s0, 0, v7
	s_delay_alu instid0(VALU_DEP_4)
	v_cmp_gt_i32_e64 s1, 0, v8
	v_not_b32_e32 v7, v8
	v_not_b32_e32 v8, v9
	v_mad_u32 v53, 0x44, v4, v0
	v_dual_lshlrev_b32 v50, 25, v4 :: v_dual_lshlrev_b32 v4, 24, v4
	v_cmp_gt_i32_e64 s2, 0, v9
	v_cmp_gt_i32_e64 s3, 0, v42
	v_not_b32_e32 v9, v42
	v_not_b32_e32 v42, v46
	v_dual_ashrrev_i32 v8, 31, v8 :: v_dual_bitop2_b32 v3, vcc_lo, v3 bitop3:0x14
	v_dual_ashrrev_i32 v7, 31, v7 :: v_dual_bitop2_b32 v6, s0, v6 bitop3:0x14
	v_cmp_gt_i32_e64 s4, 0, v46
	v_not_b32_e32 v46, v50
	v_cmp_gt_i32_e64 s6, 0, v4
	v_not_b32_e32 v4, v4
	v_dual_ashrrev_i32 v9, 31, v9 :: v_dual_ashrrev_i32 v42, 31, v42
	v_xor_b32_e32 v7, s1, v7
	v_xor_b32_e32 v8, s2, v8
	v_bitop3_b32 v3, v3, v6, exec_lo bitop3:0x80
	v_cmp_gt_i32_e64 s5, 0, v50
	v_dual_ashrrev_i32 v6, 31, v46 :: v_dual_ashrrev_i32 v4, 31, v4
	v_xor_b32_e32 v9, s3, v9
	v_xor_b32_e32 v42, s4, v42
	v_bitop3_b32 v3, v3, v8, v7 bitop3:0x80
	s_delay_alu instid0(VALU_DEP_4) | instskip(SKIP_3) | instid1(VALU_DEP_1)
	v_xor_b32_e32 v6, s5, v6
	v_xor_b32_e32 v4, s6, v4
	ds_load_b32 v50, v53 offset:64
	v_bitop3_b32 v3, v3, v42, v9 bitop3:0x80
	; wave barrier
	v_bitop3_b32 v3, v3, v4, v6 bitop3:0x80
	s_delay_alu instid0(VALU_DEP_1) | instskip(SKIP_1) | instid1(VALU_DEP_2)
	v_mbcnt_lo_u32_b32 v52, v3, 0
	v_cmp_ne_u32_e64 s0, 0, v3
	v_cmp_eq_u32_e32 vcc_lo, 0, v52
	s_and_b32 s1, s0, vcc_lo
	s_delay_alu instid0(SALU_CYCLE_1)
	s_and_saveexec_b32 s0, s1
	s_cbranch_execz .LBB1337_111
; %bb.110:
	s_wait_dscnt 0x0
	v_bcnt_u32_b32 v3, v3, v50
	ds_store_b32 v53, v3 offset:64
.LBB1337_111:
	s_or_b32 exec_lo, exec_lo, s0
	v_cmp_gt_i32_e32 vcc_lo, 0, v2
	; wave barrier
	v_cndmask_b32_e64 v3, 0x7fffffff, 0, vcc_lo
	s_delay_alu instid0(VALU_DEP_1) | instskip(NEXT) | instid1(VALU_DEP_1)
	v_xor_b32_e32 v42, v3, v2
	v_cmp_ne_u32_e32 vcc_lo, 0x80000000, v42
	v_cndmask_b32_e32 v2, 0x7fffffff, v42, vcc_lo
	s_delay_alu instid0(VALU_DEP_1) | instskip(NEXT) | instid1(VALU_DEP_1)
	v_lshrrev_b32_e32 v2, s20, v2
	v_and_b32_e32 v3, s8, v2
	v_bitop3_b32 v2, v2, 1, s8 bitop3:0x80
	s_delay_alu instid0(VALU_DEP_2) | instskip(NEXT) | instid1(VALU_DEP_2)
	v_lshlrev_b32_e32 v6, 30, v3
	v_add_co_u32 v2, s0, v2, -1
	s_delay_alu instid0(VALU_DEP_1) | instskip(NEXT) | instid1(VALU_DEP_1)
	v_cndmask_b32_e64 v4, 0, 1, s0
	v_cmp_ne_u32_e32 vcc_lo, 0, v4
	s_delay_alu instid0(VALU_DEP_4) | instskip(NEXT) | instid1(VALU_DEP_1)
	v_not_b32_e32 v4, v6
	v_dual_ashrrev_i32 v4, 31, v4 :: v_dual_lshlrev_b32 v7, 29, v3
	v_dual_lshlrev_b32 v8, 28, v3 :: v_dual_lshlrev_b32 v9, 27, v3
	v_lshlrev_b32_e32 v46, 26, v3
	v_cmp_gt_i32_e64 s0, 0, v6
	s_delay_alu instid0(VALU_DEP_4)
	v_cmp_gt_i32_e64 s1, 0, v7
	v_not_b32_e32 v6, v7
	v_not_b32_e32 v7, v8
	v_mad_u32 v56, 0x44, v3, v0
	v_dual_lshlrev_b32 v54, 25, v3 :: v_dual_lshlrev_b32 v3, 24, v3
	v_cmp_gt_i32_e64 s2, 0, v8
	v_cmp_gt_i32_e64 s3, 0, v9
	v_not_b32_e32 v8, v9
	v_not_b32_e32 v9, v46
	v_dual_ashrrev_i32 v7, 31, v7 :: v_dual_bitop2_b32 v2, vcc_lo, v2 bitop3:0x14
	v_dual_ashrrev_i32 v6, 31, v6 :: v_dual_bitop2_b32 v4, s0, v4 bitop3:0x14
	v_cmp_gt_i32_e64 s4, 0, v46
	v_not_b32_e32 v46, v54
	v_cmp_gt_i32_e64 s6, 0, v3
	v_not_b32_e32 v3, v3
	v_dual_ashrrev_i32 v8, 31, v8 :: v_dual_ashrrev_i32 v9, 31, v9
	v_xor_b32_e32 v6, s1, v6
	v_xor_b32_e32 v7, s2, v7
	v_bitop3_b32 v2, v2, v4, exec_lo bitop3:0x80
	v_cmp_gt_i32_e64 s5, 0, v54
	v_dual_ashrrev_i32 v4, 31, v46 :: v_dual_ashrrev_i32 v3, 31, v3
	v_xor_b32_e32 v8, s3, v8
	v_xor_b32_e32 v9, s4, v9
	v_bitop3_b32 v2, v2, v7, v6 bitop3:0x80
	s_delay_alu instid0(VALU_DEP_4) | instskip(SKIP_3) | instid1(VALU_DEP_1)
	v_xor_b32_e32 v4, s5, v4
	v_xor_b32_e32 v3, s6, v3
	ds_load_b32 v54, v56 offset:64
	v_bitop3_b32 v2, v2, v9, v8 bitop3:0x80
	; wave barrier
	v_bitop3_b32 v2, v2, v3, v4 bitop3:0x80
	s_delay_alu instid0(VALU_DEP_1) | instskip(SKIP_1) | instid1(VALU_DEP_2)
	v_mbcnt_lo_u32_b32 v55, v2, 0
	v_cmp_ne_u32_e64 s0, 0, v2
	v_cmp_eq_u32_e32 vcc_lo, 0, v55
	s_and_b32 s1, s0, vcc_lo
	s_delay_alu instid0(SALU_CYCLE_1)
	s_and_saveexec_b32 s0, s1
	s_cbranch_execz .LBB1337_113
; %bb.112:
	s_wait_dscnt 0x0
	v_bcnt_u32_b32 v2, v2, v54
	ds_store_b32 v56, v2 offset:64
.LBB1337_113:
	s_or_b32 exec_lo, exec_lo, s0
	v_cmp_gt_i32_e32 vcc_lo, 0, v1
	; wave barrier
	v_cndmask_b32_e64 v2, 0x7fffffff, 0, vcc_lo
	s_delay_alu instid0(VALU_DEP_1) | instskip(NEXT) | instid1(VALU_DEP_1)
	v_xor_b32_e32 v46, v2, v1
	v_cmp_ne_u32_e32 vcc_lo, 0x80000000, v46
	v_cndmask_b32_e32 v1, 0x7fffffff, v46, vcc_lo
	s_delay_alu instid0(VALU_DEP_1) | instskip(NEXT) | instid1(VALU_DEP_1)
	v_lshrrev_b32_e32 v1, s20, v1
	v_and_b32_e32 v2, s8, v1
	v_bitop3_b32 v1, v1, 1, s8 bitop3:0x80
	s_delay_alu instid0(VALU_DEP_2) | instskip(NEXT) | instid1(VALU_DEP_2)
	v_mad_u32 v59, 0x44, v2, v0
	v_add_co_u32 v0, s0, v1, -1
	s_delay_alu instid0(VALU_DEP_1) | instskip(SKIP_1) | instid1(VALU_DEP_2)
	v_cndmask_b32_e64 v1, 0, 1, s0
	v_lshlrev_b32_e32 v3, 30, v2
	v_cmp_ne_u32_e32 vcc_lo, 0, v1
	s_delay_alu instid0(VALU_DEP_2)
	v_not_b32_e32 v1, v3
	ds_load_b32 v57, v59 offset:64
	v_dual_ashrrev_i32 v1, 31, v1 :: v_dual_bitop2_b32 v0, vcc_lo, v0 bitop3:0x14
	v_dual_lshlrev_b32 v4, 29, v2 :: v_dual_lshlrev_b32 v6, 28, v2
	v_dual_lshlrev_b32 v7, 27, v2 :: v_dual_lshlrev_b32 v8, 26, v2
	v_lshlrev_b32_e32 v9, 25, v2
	v_cmp_gt_i32_e64 s0, 0, v3
	s_delay_alu instid0(VALU_DEP_4)
	v_cmp_gt_i32_e64 s1, 0, v4
	v_not_b32_e32 v3, v4
	v_not_b32_e32 v4, v6
	v_lshlrev_b32_e32 v2, 24, v2
	v_cmp_gt_i32_e64 s2, 0, v6
	v_cmp_gt_i32_e64 s3, 0, v7
	v_not_b32_e32 v6, v7
	v_not_b32_e32 v7, v8
	v_dual_ashrrev_i32 v3, 31, v3 :: v_dual_bitop2_b32 v1, s0, v1 bitop3:0x14
	v_ashrrev_i32_e32 v4, 31, v4
	v_cmp_gt_i32_e64 s4, 0, v8
	v_not_b32_e32 v8, v9
	v_cmp_gt_i32_e64 s6, 0, v2
	v_not_b32_e32 v2, v2
	v_dual_ashrrev_i32 v6, 31, v6 :: v_dual_ashrrev_i32 v7, 31, v7
	v_xor_b32_e32 v3, s1, v3
	s_delay_alu instid0(VALU_DEP_3) | instskip(SKIP_4) | instid1(VALU_DEP_4)
	v_dual_ashrrev_i32 v2, 31, v2 :: v_dual_bitop2_b32 v4, s2, v4 bitop3:0x14
	v_bitop3_b32 v0, v0, v1, exec_lo bitop3:0x80
	v_cmp_gt_i32_e64 s5, 0, v9
	v_dual_ashrrev_i32 v1, 31, v8 :: v_dual_bitop2_b32 v6, s3, v6 bitop3:0x14
	v_xor_b32_e32 v7, s4, v7
	v_bitop3_b32 v0, v0, v4, v3 bitop3:0x80
	v_xor_b32_e32 v2, s6, v2
	s_delay_alu instid0(VALU_DEP_4) | instskip(NEXT) | instid1(VALU_DEP_3)
	v_xor_b32_e32 v1, s5, v1
	; wave barrier
	v_bitop3_b32 v0, v0, v7, v6 bitop3:0x80
	s_delay_alu instid0(VALU_DEP_1) | instskip(NEXT) | instid1(VALU_DEP_1)
	v_bitop3_b32 v0, v0, v2, v1 bitop3:0x80
	v_mbcnt_lo_u32_b32 v58, v0, 0
	v_cmp_ne_u32_e64 s0, 0, v0
	s_delay_alu instid0(VALU_DEP_2) | instskip(SKIP_1) | instid1(SALU_CYCLE_1)
	v_cmp_eq_u32_e32 vcc_lo, 0, v58
	s_and_b32 s1, s0, vcc_lo
	s_and_saveexec_b32 s0, s1
	s_cbranch_execz .LBB1337_115
; %bb.114:
	s_wait_dscnt 0x0
	v_bcnt_u32_b32 v0, v0, v57
	ds_store_b32 v59, v0 offset:64
.LBB1337_115:
	s_or_b32 exec_lo, exec_lo, s0
	; wave barrier
	s_wait_dscnt 0x0
	s_barrier_signal -1
	s_barrier_wait -1
	ds_load_2addr_b32 v[8:9], v10 offset0:16 offset1:17
	ds_load_2addr_b32 v[6:7], v10 offset0:18 offset1:19
	;; [unrolled: 1-line block ×4, first 2 shown]
	ds_load_b32 v4, v10 offset:96
	v_min_u32_e32 v17, 0x1e0, v17
	s_mov_b32 s4, exec_lo
	s_delay_alu instid0(VALU_DEP_1) | instskip(SKIP_3) | instid1(VALU_DEP_1)
	v_or_b32_e32 v62, 31, v17
	s_wait_dscnt 0x3
	v_add3_u32 v60, v9, v8, v6
	s_wait_dscnt 0x2
	v_add3_u32 v60, v60, v7, v2
	s_wait_dscnt 0x1
	s_delay_alu instid0(VALU_DEP_1) | instskip(SKIP_1) | instid1(VALU_DEP_1)
	v_add3_u32 v60, v60, v3, v0
	s_wait_dscnt 0x0
	v_add3_u32 v4, v60, v1, v4
	v_and_b32_e32 v60, 15, v16
	s_delay_alu instid0(VALU_DEP_2) | instskip(NEXT) | instid1(VALU_DEP_2)
	v_mov_b32_dpp v61, v4 row_shr:1 row_mask:0xf bank_mask:0xf
	v_cmp_eq_u32_e32 vcc_lo, 0, v60
	v_cmp_lt_u32_e64 s0, 1, v60
	s_delay_alu instid0(VALU_DEP_3) | instskip(NEXT) | instid1(VALU_DEP_1)
	v_cndmask_b32_e64 v61, v61, 0, vcc_lo
	v_add_nc_u32_e32 v4, v61, v4
	s_delay_alu instid0(VALU_DEP_1) | instskip(NEXT) | instid1(VALU_DEP_1)
	v_mov_b32_dpp v61, v4 row_shr:2 row_mask:0xf bank_mask:0xf
	v_cndmask_b32_e64 v61, 0, v61, s0
	v_cmp_lt_u32_e64 s2, 7, v60
	v_cmp_lt_u32_e64 s1, 3, v60
	s_delay_alu instid0(VALU_DEP_3) | instskip(NEXT) | instid1(VALU_DEP_1)
	v_add_nc_u32_e32 v4, v4, v61
	v_mov_b32_dpp v61, v4 row_shr:4 row_mask:0xf bank_mask:0xf
	s_delay_alu instid0(VALU_DEP_1) | instskip(NEXT) | instid1(VALU_DEP_1)
	v_cndmask_b32_e64 v61, 0, v61, s1
	v_add_nc_u32_e32 v4, v4, v61
	s_delay_alu instid0(VALU_DEP_1) | instskip(NEXT) | instid1(VALU_DEP_1)
	v_mov_b32_dpp v61, v4 row_shr:8 row_mask:0xf bank_mask:0xf
	v_cndmask_b32_e64 v60, 0, v61, s2
	v_bfe_i32 v61, v16, 4, 1
	s_delay_alu instid0(VALU_DEP_2) | instskip(SKIP_3) | instid1(VALU_DEP_1)
	v_add_nc_u32_e32 v4, v4, v60
	ds_swizzle_b32 v60, v4 offset:swizzle(BROADCAST,32,15)
	s_wait_dscnt 0x0
	v_dual_lshrrev_b32 v60, 5, v15 :: v_dual_bitop2_b32 v61, v61, v60 bitop3:0x40
	v_add_nc_u32_e32 v17, v4, v61
	v_cmpx_eq_u32_e64 v15, v62
; %bb.116:
	s_delay_alu instid0(VALU_DEP_3)
	v_lshlrev_b32_e32 v4, 2, v60
	ds_store_b32 v4, v17
; %bb.117:
	s_or_b32 exec_lo, exec_lo, s4
	v_lshlrev_b32_e32 v4, 2, v15
	s_mov_b32 s4, exec_lo
	s_wait_dscnt 0x0
	s_barrier_signal -1
	s_barrier_wait -1
	v_cmpx_gt_u32_e32 16, v15
	s_cbranch_execz .LBB1337_119
; %bb.118:
	ds_load_b32 v61, v4
	s_wait_dscnt 0x0
	v_mov_b32_dpp v62, v61 row_shr:1 row_mask:0xf bank_mask:0xf
	s_delay_alu instid0(VALU_DEP_1) | instskip(NEXT) | instid1(VALU_DEP_1)
	v_cndmask_b32_e64 v62, v62, 0, vcc_lo
	v_add_nc_u32_e32 v61, v62, v61
	s_delay_alu instid0(VALU_DEP_1) | instskip(NEXT) | instid1(VALU_DEP_1)
	v_mov_b32_dpp v62, v61 row_shr:2 row_mask:0xf bank_mask:0xf
	v_cndmask_b32_e64 v62, 0, v62, s0
	s_delay_alu instid0(VALU_DEP_1) | instskip(NEXT) | instid1(VALU_DEP_1)
	v_add_nc_u32_e32 v61, v61, v62
	v_mov_b32_dpp v62, v61 row_shr:4 row_mask:0xf bank_mask:0xf
	s_delay_alu instid0(VALU_DEP_1) | instskip(NEXT) | instid1(VALU_DEP_1)
	v_cndmask_b32_e64 v62, 0, v62, s1
	v_add_nc_u32_e32 v61, v61, v62
	s_delay_alu instid0(VALU_DEP_1) | instskip(NEXT) | instid1(VALU_DEP_1)
	v_mov_b32_dpp v62, v61 row_shr:8 row_mask:0xf bank_mask:0xf
	v_cndmask_b32_e64 v62, 0, v62, s2
	s_delay_alu instid0(VALU_DEP_1)
	v_add_nc_u32_e32 v61, v61, v62
	ds_store_b32 v4, v61
.LBB1337_119:
	s_or_b32 exec_lo, exec_lo, s4
	v_mov_b32_e32 v61, 0
	s_mov_b32 s0, exec_lo
	s_wait_dscnt 0x0
	s_barrier_signal -1
	s_barrier_wait -1
	v_cmpx_lt_u32_e32 31, v15
; %bb.120:
	v_lshl_add_u32 v60, v60, 2, -4
	ds_load_b32 v61, v60
; %bb.121:
	s_or_b32 exec_lo, exec_lo, s0
	v_sub_co_u32 v60, vcc_lo, v16, 1
	s_wait_dscnt 0x0
	v_add_nc_u32_e32 v17, v61, v17
	s_delay_alu instid0(VALU_DEP_2) | instskip(NEXT) | instid1(VALU_DEP_1)
	v_cmp_gt_i32_e64 s0, 0, v60
	v_cndmask_b32_e64 v16, v60, v16, s0
	v_cmp_lt_u32_e64 s0, 0xff, v15
	s_delay_alu instid0(VALU_DEP_2) | instskip(SKIP_4) | instid1(VALU_DEP_2)
	v_lshlrev_b32_e32 v16, 2, v16
	ds_bpermute_b32 v16, v16, v17
	s_wait_dscnt 0x0
	v_cndmask_b32_e32 v16, v16, v61, vcc_lo
	v_cmp_ne_u32_e32 vcc_lo, 0, v15
	v_cndmask_b32_e32 v16, 0, v16, vcc_lo
	v_cmp_gt_u32_e32 vcc_lo, 0x100, v15
	s_delay_alu instid0(VALU_DEP_2) | instskip(NEXT) | instid1(VALU_DEP_1)
	v_add_nc_u32_e32 v8, v16, v8
	v_add_nc_u32_e32 v9, v8, v9
	s_delay_alu instid0(VALU_DEP_1) | instskip(NEXT) | instid1(VALU_DEP_1)
	v_add_nc_u32_e32 v6, v9, v6
	v_add_nc_u32_e32 v7, v6, v7
	s_delay_alu instid0(VALU_DEP_1) | instskip(NEXT) | instid1(VALU_DEP_1)
	;; [unrolled: 3-line block ×3, first 2 shown]
	v_add_nc_u32_e32 v0, v3, v0
	v_add_nc_u32_e32 v1, v0, v1
	ds_store_2addr_b32 v10, v16, v8 offset0:16 offset1:17
	ds_store_2addr_b32 v10, v9, v6 offset0:18 offset1:19
	;; [unrolled: 1-line block ×4, first 2 shown]
	ds_store_b32 v10, v1 offset:96
	s_wait_dscnt 0x0
	s_barrier_signal -1
	s_barrier_wait -1
	ds_load_b32 v62, v11 offset:64
	ds_load_b32 v60, v12 offset:64
	;; [unrolled: 1-line block ×12, first 2 shown]
	v_mov_b64_e32 v[0:1], 0
                                        ; implicit-def: $vgpr2
	s_and_saveexec_b32 s2, vcc_lo
	s_cbranch_execz .LBB1337_125
; %bb.122:
	v_mul_u32_u24_e32 v0, 0x44, v15
	v_dual_mov_b32 v1, 0x1800 :: v_dual_add_nc_u32 v2, 1, v15
	s_mov_b32 s3, exec_lo
	ds_load_b32 v0, v0 offset:64
	v_cmpx_ne_u32_e32 0x100, v2
; %bb.123:
	v_mul_u32_u24_e32 v1, 0x44, v2
	ds_load_b32 v1, v1 offset:64
; %bb.124:
	s_or_b32 exec_lo, exec_lo, s3
	s_wait_dscnt 0x0
	v_dual_mov_b32 v1, 0 :: v_dual_sub_nc_u32 v2, v1, v0
.LBB1337_125:
	s_or_b32 exec_lo, exec_lo, s2
	v_dual_mov_b32 v7, 0 :: v_dual_lshlrev_b32 v3, 3, v15
	s_wait_dscnt 0x0
	s_barrier_signal -1
	s_barrier_wait -1
	s_and_saveexec_b32 s1, vcc_lo
	s_cbranch_execz .LBB1337_135
; %bb.126:
	v_lshl_add_u32 v6, s9, 8, v15
	v_dual_mov_b32 v10, 0 :: v_dual_bitop2_b32 v11, 2.0, v2 bitop3:0x54
	s_mov_b32 s2, 0
	s_mov_b32 s3, s9
	s_delay_alu instid0(VALU_DEP_2)
	v_lshl_add_u64 v[8:9], v[6:7], 2, s[10:11]
	global_store_b32 v6, v11, s[10:11] scale_offset scope:SCOPE_DEV
                                        ; implicit-def: $sgpr4
	s_branch .LBB1337_129
.LBB1337_127:                           ;   in Loop: Header=BB1337_129 Depth=1
	s_or_b32 exec_lo, exec_lo, s5
.LBB1337_128:                           ;   in Loop: Header=BB1337_129 Depth=1
	s_delay_alu instid0(SALU_CYCLE_1) | instskip(SKIP_2) | instid1(VALU_DEP_2)
	s_or_b32 exec_lo, exec_lo, s4
	v_and_b32_e32 v6, 0x3fffffff, v11
	v_cmp_gt_i32_e64 s4, -2.0, v11
	v_add_nc_u32_e32 v10, v6, v10
	s_and_b32 s5, exec_lo, s4
	s_delay_alu instid0(SALU_CYCLE_1) | instskip(NEXT) | instid1(SALU_CYCLE_1)
	s_or_b32 s2, s5, s2
	s_and_not1_b32 exec_lo, exec_lo, s2
	s_cbranch_execz .LBB1337_134
.LBB1337_129:                           ; =>This Loop Header: Depth=1
                                        ;     Child Loop BB1337_132 Depth 2
	s_or_b32 s4, s4, exec_lo
	s_cmp_eq_u32 s3, 0
	s_cbranch_scc1 .LBB1337_133
; %bb.130:                              ;   in Loop: Header=BB1337_129 Depth=1
	s_add_co_i32 s3, s3, -1
	s_mov_b32 s4, exec_lo
	s_wait_xcnt 0x0
	v_lshl_or_b32 v6, s3, 8, v15
	global_load_b32 v11, v6, s[10:11] scale_offset scope:SCOPE_DEV
	s_wait_loadcnt 0x0
	v_cmpx_gt_u32_e32 2.0, v11
	s_cbranch_execz .LBB1337_128
; %bb.131:                              ;   in Loop: Header=BB1337_129 Depth=1
	v_lshl_add_u64 v[12:13], v[6:7], 2, s[10:11]
	s_mov_b32 s5, 0
.LBB1337_132:                           ;   Parent Loop BB1337_129 Depth=1
                                        ; =>  This Inner Loop Header: Depth=2
	global_load_b32 v11, v[12:13], off scope:SCOPE_DEV
	s_wait_loadcnt 0x0
	v_cmp_lt_u32_e32 vcc_lo, 0x3fffffff, v11
	s_or_b32 s5, vcc_lo, s5
	s_wait_xcnt 0x0
	s_and_not1_b32 exec_lo, exec_lo, s5
	s_cbranch_execnz .LBB1337_132
	s_branch .LBB1337_127
.LBB1337_133:                           ;   in Loop: Header=BB1337_129 Depth=1
                                        ; implicit-def: $sgpr3
	s_and_b32 s5, exec_lo, s4
	s_delay_alu instid0(SALU_CYCLE_1)
	s_or_b32 s2, s5, s2
	s_wait_xcnt 0x0
	s_and_not1_b32 exec_lo, exec_lo, s2
	s_cbranch_execnz .LBB1337_129
.LBB1337_134:
	s_or_b32 exec_lo, exec_lo, s2
	v_dual_mov_b32 v11, 0 :: v_dual_add_nc_u32 v6, v10, v2
	s_delay_alu instid0(VALU_DEP_1) | instskip(SKIP_4) | instid1(VALU_DEP_1)
	v_or_b32_e32 v6, 0x80000000, v6
	global_store_b32 v[8:9], v6, off scope:SCOPE_DEV
	global_load_b64 v[6:7], v15, s[12:13] scale_offset
	v_sub_nc_u64_e32 v[8:9], v[10:11], v[0:1]
	s_wait_loadcnt 0x0
	v_add_nc_u64_e32 v[6:7], v[8:9], v[6:7]
	ds_store_b64 v3, v[6:7]
.LBB1337_135:
	s_wait_xcnt 0x0
	s_or_b32 exec_lo, exec_lo, s1
	v_dual_add_nc_u32 v6, v62, v5 :: v_dual_sub_nc_u32 v56, 0, v4
	v_mov_b32_e32 v5, 0
	v_add3_u32 v22, v23, v60, v22
	v_add3_u32 v7, v58, v53, v57
	;; [unrolled: 1-line block ×3, first 2 shown]
	v_add_nc_u32_e32 v23, v3, v56
	v_add_nc_u64_e32 v[4:5], s[18:19], v[4:5]
	v_add3_u32 v9, v52, v48, v50
	v_add3_u32 v10, v49, v44, v47
	;; [unrolled: 1-line block ×6, first 2 shown]
	v_add_nc_u64_e32 v[4:5], 0x2000, v[4:5]
	v_add3_u32 v17, v29, v17, v28
	v_add3_u32 v25, v26, v61, v25
	v_mov_b32_e32 v26, v15
	s_mov_b32 s1, 0
	s_mov_b32 s2, -1
	s_branch .LBB1337_137
.LBB1337_136:                           ;   in Loop: Header=BB1337_137 Depth=1
	s_wait_xcnt 0x0
	s_or_b32 exec_lo, exec_lo, s3
	v_add_nc_u64_e32 v[4:5], 0x4000, v[4:5]
	v_add_nc_u32_e32 v26, 0x1000, v26
	s_xor_b32 s2, s2, -1
	s_addk_co_i32 s1, 0xf000
	s_and_b32 vcc_lo, exec_lo, s2
	s_mov_b32 s2, 0
	s_wait_storecnt 0x0
	s_barrier_signal -1
	s_barrier_wait -1
	s_cbranch_vccnz .LBB1337_147
.LBB1337_137:                           ; =>This Inner Loop Header: Depth=1
	v_add_min_u32_e64 v28, v6, s1, 0x1000
	v_add_min_u32_e64 v29, v22, s1, 0x1000
	;; [unrolled: 1-line block ×5, first 2 shown]
	s_delay_alu instid0(VALU_DEP_4)
	v_dual_lshlrev_b32 v28, 2, v28 :: v_dual_lshlrev_b32 v29, 2, v29
	v_add_min_u32_e64 v35, v13, s1, 0x1000
	v_add_min_u32_e64 v36, v12, s1, 0x1000
	s_mov_b32 s3, exec_lo
	ds_store_b32 v28, v14 offset:2048
	ds_store_b32 v29, v18 offset:2048
	v_dual_lshlrev_b32 v28, 2, v31 :: v_dual_lshlrev_b32 v29, 2, v32
	v_dual_lshlrev_b32 v31, 2, v33 :: v_dual_lshlrev_b32 v32, 2, v35
	v_lshlrev_b32_e32 v33, 2, v36
	ds_store_b32 v28, v19 offset:2048
	ds_store_b32 v29, v20 offset:2048
	;; [unrolled: 1-line block ×5, first 2 shown]
	v_add_min_u32_e64 v28, v11, s1, 0x1000
	v_add_min_u32_e64 v29, v10, s1, 0x1000
	;; [unrolled: 1-line block ×5, first 2 shown]
	s_delay_alu instid0(VALU_DEP_4) | instskip(NEXT) | instid1(VALU_DEP_3)
	v_dual_lshlrev_b32 v28, 2, v28 :: v_dual_lshlrev_b32 v29, 2, v29
	v_dual_lshlrev_b32 v31, 2, v31 :: v_dual_lshlrev_b32 v32, 2, v32
	s_delay_alu instid0(VALU_DEP_3)
	v_lshlrev_b32_e32 v33, 2, v33
	ds_store_b32 v28, v30 offset:2048
	ds_store_b32 v29, v34 offset:2048
	;; [unrolled: 1-line block ×5, first 2 shown]
	s_wait_storecnt_dscnt 0x0
	s_barrier_signal -1
	s_barrier_wait -1
	ds_load_2addr_stride64_b32 v[28:29], v23 offset0:8 offset1:16
	s_wait_dscnt 0x0
	v_cmp_ne_u32_e32 vcc_lo, 0x80000000, v29
	v_cndmask_b32_e32 v31, 0x7fffffff, v29, vcc_lo
	v_cmp_ne_u32_e32 vcc_lo, 0x80000000, v28
	s_delay_alu instid0(VALU_DEP_2) | instskip(SKIP_1) | instid1(VALU_DEP_2)
	v_lshrrev_b32_e32 v31, s20, v31
	v_cndmask_b32_e32 v35, 0x7fffffff, v28, vcc_lo
	v_and_b32_e32 v31, s8, v31
	s_delay_alu instid0(VALU_DEP_2) | instskip(NEXT) | instid1(VALU_DEP_2)
	v_lshrrev_b32_e32 v35, s20, v35
	v_lshlrev_b32_e32 v31, 3, v31
	ds_load_b64 v[32:33], v31
	ds_load_b32 v31, v23 offset:6144
	v_and_b32_e32 v35, s8, v35
	s_delay_alu instid0(VALU_DEP_1) | instskip(SKIP_4) | instid1(VALU_DEP_2)
	v_lshlrev_b32_e32 v35, 3, v35
	s_wait_dscnt 0x0
	v_cmp_ne_u32_e32 vcc_lo, 0x80000000, v31
	v_cndmask_b32_e32 v36, 0x7fffffff, v31, vcc_lo
	v_cmp_gt_i32_e32 vcc_lo, 0, v28
	v_lshrrev_b32_e32 v36, s20, v36
	s_delay_alu instid0(VALU_DEP_1) | instskip(NEXT) | instid1(VALU_DEP_1)
	v_and_b32_e32 v36, s8, v36
	v_lshlrev_b32_e32 v39, 3, v36
	ds_load_b64 v[36:37], v35
	ds_load_b64 v[40:41], v39
	v_cndmask_b32_e64 v35, 0x7fffffff, 0, vcc_lo
	v_cmp_gt_i32_e32 vcc_lo, 0, v29
	s_delay_alu instid0(VALU_DEP_2) | instskip(SKIP_2) | instid1(VALU_DEP_2)
	v_xor_b32_e32 v35, v35, v28
	v_cndmask_b32_e64 v39, 0x7fffffff, 0, vcc_lo
	v_cmp_gt_i32_e32 vcc_lo, 0, v31
	v_xor_b32_e32 v39, v39, v29
	v_cndmask_b32_e64 v43, 0x7fffffff, 0, vcc_lo
	v_lshl_add_u64 v[28:29], v[32:33], 2, v[4:5]
	s_delay_alu instid0(VALU_DEP_2)
	v_xor_b32_e32 v31, v43, v31
	s_wait_dscnt 0x1
	v_lshl_add_u64 v[36:37], v[36:37], 2, v[4:5]
	s_wait_dscnt 0x0
	v_lshl_add_u64 v[32:33], v[40:41], 2, v[4:5]
	s_clause 0x2
	global_store_b32 v[36:37], v35, off offset:-8192
	global_store_b32 v[28:29], v39, off offset:-6144
	;; [unrolled: 1-line block ×3, first 2 shown]
	s_wait_xcnt 0x0
	v_cmpx_gt_u32_e32 0x1200, v26
	s_cbranch_execz .LBB1337_139
; %bb.138:                              ;   in Loop: Header=BB1337_137 Depth=1
	ds_load_b32 v31, v23 offset:8192
	s_wait_dscnt 0x0
	v_cmp_ne_u32_e32 vcc_lo, 0x80000000, v31
	v_cndmask_b32_e32 v28, 0x7fffffff, v31, vcc_lo
	v_cmp_gt_i32_e32 vcc_lo, 0, v31
	v_cndmask_b32_e64 v32, 0x7fffffff, 0, vcc_lo
	s_delay_alu instid0(VALU_DEP_1) | instskip(NEXT) | instid1(VALU_DEP_1)
	v_dual_lshrrev_b32 v28, s20, v28 :: v_dual_bitop2_b32 v31, v32, v31 bitop3:0x14
	v_and_b32_e32 v28, s8, v28
	s_delay_alu instid0(VALU_DEP_1)
	v_lshlrev_b32_e32 v28, 3, v28
	ds_load_b64 v[28:29], v28
	s_wait_dscnt 0x0
	v_lshl_add_u64 v[28:29], v[28:29], 2, v[4:5]
	global_store_b32 v[28:29], v31, off offset:-2048
.LBB1337_139:                           ;   in Loop: Header=BB1337_137 Depth=1
	s_wait_xcnt 0x0
	s_or_b32 exec_lo, exec_lo, s3
	v_add_nc_u32_e32 v28, 0x800, v26
	s_mov_b32 s3, exec_lo
	s_delay_alu instid0(VALU_DEP_1)
	v_cmpx_gt_u32_e32 0x1800, v28
	s_cbranch_execz .LBB1337_141
; %bb.140:                              ;   in Loop: Header=BB1337_137 Depth=1
	ds_load_b32 v31, v23 offset:10240
	s_wait_dscnt 0x0
	v_cmp_ne_u32_e32 vcc_lo, 0x80000000, v31
	v_cndmask_b32_e32 v28, 0x7fffffff, v31, vcc_lo
	v_cmp_gt_i32_e32 vcc_lo, 0, v31
	v_cndmask_b32_e64 v32, 0x7fffffff, 0, vcc_lo
	s_delay_alu instid0(VALU_DEP_1) | instskip(NEXT) | instid1(VALU_DEP_1)
	v_dual_lshrrev_b32 v28, s20, v28 :: v_dual_bitop2_b32 v31, v32, v31 bitop3:0x14
	v_and_b32_e32 v28, s8, v28
	s_delay_alu instid0(VALU_DEP_1)
	v_lshlrev_b32_e32 v28, 3, v28
	ds_load_b64 v[28:29], v28
	s_wait_dscnt 0x0
	v_lshl_add_u64 v[28:29], v[28:29], 2, v[4:5]
	global_store_b32 v[28:29], v31, off
.LBB1337_141:                           ;   in Loop: Header=BB1337_137 Depth=1
	s_wait_xcnt 0x0
	s_or_b32 exec_lo, exec_lo, s3
	s_delay_alu instid0(SALU_CYCLE_1)
	s_mov_b32 s3, exec_lo
	v_cmpx_gt_u32_e32 0xe00, v26
	s_cbranch_execz .LBB1337_143
; %bb.142:                              ;   in Loop: Header=BB1337_137 Depth=1
	ds_load_b32 v31, v23 offset:12288
	s_wait_dscnt 0x0
	v_cmp_ne_u32_e32 vcc_lo, 0x80000000, v31
	v_cndmask_b32_e32 v28, 0x7fffffff, v31, vcc_lo
	v_cmp_gt_i32_e32 vcc_lo, 0, v31
	v_cndmask_b32_e64 v32, 0x7fffffff, 0, vcc_lo
	s_delay_alu instid0(VALU_DEP_1) | instskip(NEXT) | instid1(VALU_DEP_1)
	v_dual_lshrrev_b32 v28, s20, v28 :: v_dual_bitop2_b32 v31, v32, v31 bitop3:0x14
	v_and_b32_e32 v28, s8, v28
	s_delay_alu instid0(VALU_DEP_1)
	v_lshlrev_b32_e32 v28, 3, v28
	ds_load_b64 v[28:29], v28
	s_wait_dscnt 0x0
	v_lshl_add_u64 v[28:29], v[28:29], 2, v[4:5]
	global_store_b32 v[28:29], v31, off offset:2048
.LBB1337_143:                           ;   in Loop: Header=BB1337_137 Depth=1
	s_wait_xcnt 0x0
	s_or_b32 exec_lo, exec_lo, s3
	v_add_nc_u32_e32 v28, 0xc00, v26
	s_mov_b32 s3, exec_lo
	s_delay_alu instid0(VALU_DEP_1)
	v_cmpx_gt_u32_e32 0x1800, v28
	s_cbranch_execz .LBB1337_145
; %bb.144:                              ;   in Loop: Header=BB1337_137 Depth=1
	ds_load_b32 v31, v23 offset:14336
	s_wait_dscnt 0x0
	v_cmp_ne_u32_e32 vcc_lo, 0x80000000, v31
	v_cndmask_b32_e32 v28, 0x7fffffff, v31, vcc_lo
	v_cmp_gt_i32_e32 vcc_lo, 0, v31
	v_cndmask_b32_e64 v32, 0x7fffffff, 0, vcc_lo
	s_delay_alu instid0(VALU_DEP_1) | instskip(NEXT) | instid1(VALU_DEP_1)
	v_dual_lshrrev_b32 v28, s20, v28 :: v_dual_bitop2_b32 v31, v32, v31 bitop3:0x14
	v_and_b32_e32 v28, s8, v28
	s_delay_alu instid0(VALU_DEP_1)
	v_lshlrev_b32_e32 v28, 3, v28
	ds_load_b64 v[28:29], v28
	s_wait_dscnt 0x0
	v_lshl_add_u64 v[28:29], v[28:29], 2, v[4:5]
	global_store_b32 v[28:29], v31, off offset:4096
.LBB1337_145:                           ;   in Loop: Header=BB1337_137 Depth=1
	s_wait_xcnt 0x0
	s_or_b32 exec_lo, exec_lo, s3
	s_delay_alu instid0(SALU_CYCLE_1)
	s_mov_b32 s3, exec_lo
	v_cmpx_gt_u32_e32 0xa00, v26
	s_cbranch_execz .LBB1337_136
; %bb.146:                              ;   in Loop: Header=BB1337_137 Depth=1
	ds_load_b32 v31, v23 offset:16384
	s_wait_dscnt 0x0
	v_cmp_ne_u32_e32 vcc_lo, 0x80000000, v31
	v_cndmask_b32_e32 v28, 0x7fffffff, v31, vcc_lo
	v_cmp_gt_i32_e32 vcc_lo, 0, v31
	v_cndmask_b32_e64 v32, 0x7fffffff, 0, vcc_lo
	s_delay_alu instid0(VALU_DEP_1) | instskip(NEXT) | instid1(VALU_DEP_1)
	v_dual_lshrrev_b32 v28, s20, v28 :: v_dual_bitop2_b32 v31, v32, v31 bitop3:0x14
	v_and_b32_e32 v28, s8, v28
	s_delay_alu instid0(VALU_DEP_1)
	v_lshlrev_b32_e32 v28, 3, v28
	ds_load_b64 v[28:29], v28
	s_wait_dscnt 0x0
	v_lshl_add_u64 v[28:29], v[28:29], 2, v[4:5]
	global_store_b32 v[28:29], v31, off offset:6144
	s_branch .LBB1337_136
.LBB1337_147:
	s_add_co_i32 s7, s7, -1
	s_delay_alu instid0(SALU_CYCLE_1) | instskip(SKIP_2) | instid1(SALU_CYCLE_1)
	s_cmp_eq_u32 s9, s7
	s_cselect_b32 s1, -1, 0
	s_xor_b32 s0, s0, -1
	s_and_b32 s0, s0, s1
	s_delay_alu instid0(SALU_CYCLE_1)
	s_and_saveexec_b32 s1, s0
	s_cbranch_execz .LBB1337_149
; %bb.148:
	ds_load_b64 v[4:5], v3
	v_mov_b32_e32 v3, 0
	s_delay_alu instid0(VALU_DEP_1) | instskip(SKIP_1) | instid1(VALU_DEP_1)
	v_add_nc_u64_e32 v[0:1], v[0:1], v[2:3]
	s_wait_dscnt 0x0
	v_add_nc_u64_e32 v[0:1], v[0:1], v[4:5]
	global_store_b64 v15, v[0:1], s[14:15] scale_offset
.LBB1337_149:
	s_sendmsg sendmsg(MSG_DEALLOC_VGPRS)
	s_endpgm
	.section	.rodata,"a",@progbits
	.p2align	6, 0x0
	.amdhsa_kernel _ZN7rocprim17ROCPRIM_400000_NS6detail17trampoline_kernelINS0_14default_configENS1_35radix_sort_onesweep_config_selectorIfNS0_10empty_typeEEEZZNS1_29radix_sort_onesweep_iterationIS3_Lb1EPKfPfPS5_SB_mNS0_19identity_decomposerENS1_16block_id_wrapperIjLb0EEEEE10hipError_tT1_PNSt15iterator_traitsISG_E10value_typeET2_T3_PNSH_ISM_E10value_typeET4_T5_PSR_SS_PNS1_23onesweep_lookback_stateEbbT6_jjT7_P12ihipStream_tbENKUlT_T0_SG_SL_E_clIS9_SA_SB_SB_EEDaSZ_S10_SG_SL_EUlSZ_E_NS1_11comp_targetILNS1_3genE0ELNS1_11target_archE4294967295ELNS1_3gpuE0ELNS1_3repE0EEENS1_47radix_sort_onesweep_sort_config_static_selectorELNS0_4arch9wavefront6targetE0EEEvSG_
		.amdhsa_group_segment_fixed_size 18504
		.amdhsa_private_segment_fixed_size 0
		.amdhsa_kernarg_size 344
		.amdhsa_user_sgpr_count 2
		.amdhsa_user_sgpr_dispatch_ptr 0
		.amdhsa_user_sgpr_queue_ptr 0
		.amdhsa_user_sgpr_kernarg_segment_ptr 1
		.amdhsa_user_sgpr_dispatch_id 0
		.amdhsa_user_sgpr_kernarg_preload_length 0
		.amdhsa_user_sgpr_kernarg_preload_offset 0
		.amdhsa_user_sgpr_private_segment_size 0
		.amdhsa_wavefront_size32 1
		.amdhsa_uses_dynamic_stack 0
		.amdhsa_enable_private_segment 0
		.amdhsa_system_sgpr_workgroup_id_x 1
		.amdhsa_system_sgpr_workgroup_id_y 0
		.amdhsa_system_sgpr_workgroup_id_z 0
		.amdhsa_system_sgpr_workgroup_info 0
		.amdhsa_system_vgpr_workitem_id 2
		.amdhsa_next_free_vgpr 65
		.amdhsa_next_free_sgpr 28
		.amdhsa_named_barrier_count 0
		.amdhsa_reserve_vcc 1
		.amdhsa_float_round_mode_32 0
		.amdhsa_float_round_mode_16_64 0
		.amdhsa_float_denorm_mode_32 3
		.amdhsa_float_denorm_mode_16_64 3
		.amdhsa_fp16_overflow 0
		.amdhsa_memory_ordered 1
		.amdhsa_forward_progress 1
		.amdhsa_inst_pref_size 134
		.amdhsa_round_robin_scheduling 0
		.amdhsa_exception_fp_ieee_invalid_op 0
		.amdhsa_exception_fp_denorm_src 0
		.amdhsa_exception_fp_ieee_div_zero 0
		.amdhsa_exception_fp_ieee_overflow 0
		.amdhsa_exception_fp_ieee_underflow 0
		.amdhsa_exception_fp_ieee_inexact 0
		.amdhsa_exception_int_div_zero 0
	.end_amdhsa_kernel
	.section	.text._ZN7rocprim17ROCPRIM_400000_NS6detail17trampoline_kernelINS0_14default_configENS1_35radix_sort_onesweep_config_selectorIfNS0_10empty_typeEEEZZNS1_29radix_sort_onesweep_iterationIS3_Lb1EPKfPfPS5_SB_mNS0_19identity_decomposerENS1_16block_id_wrapperIjLb0EEEEE10hipError_tT1_PNSt15iterator_traitsISG_E10value_typeET2_T3_PNSH_ISM_E10value_typeET4_T5_PSR_SS_PNS1_23onesweep_lookback_stateEbbT6_jjT7_P12ihipStream_tbENKUlT_T0_SG_SL_E_clIS9_SA_SB_SB_EEDaSZ_S10_SG_SL_EUlSZ_E_NS1_11comp_targetILNS1_3genE0ELNS1_11target_archE4294967295ELNS1_3gpuE0ELNS1_3repE0EEENS1_47radix_sort_onesweep_sort_config_static_selectorELNS0_4arch9wavefront6targetE0EEEvSG_,"axG",@progbits,_ZN7rocprim17ROCPRIM_400000_NS6detail17trampoline_kernelINS0_14default_configENS1_35radix_sort_onesweep_config_selectorIfNS0_10empty_typeEEEZZNS1_29radix_sort_onesweep_iterationIS3_Lb1EPKfPfPS5_SB_mNS0_19identity_decomposerENS1_16block_id_wrapperIjLb0EEEEE10hipError_tT1_PNSt15iterator_traitsISG_E10value_typeET2_T3_PNSH_ISM_E10value_typeET4_T5_PSR_SS_PNS1_23onesweep_lookback_stateEbbT6_jjT7_P12ihipStream_tbENKUlT_T0_SG_SL_E_clIS9_SA_SB_SB_EEDaSZ_S10_SG_SL_EUlSZ_E_NS1_11comp_targetILNS1_3genE0ELNS1_11target_archE4294967295ELNS1_3gpuE0ELNS1_3repE0EEENS1_47radix_sort_onesweep_sort_config_static_selectorELNS0_4arch9wavefront6targetE0EEEvSG_,comdat
.Lfunc_end1337:
	.size	_ZN7rocprim17ROCPRIM_400000_NS6detail17trampoline_kernelINS0_14default_configENS1_35radix_sort_onesweep_config_selectorIfNS0_10empty_typeEEEZZNS1_29radix_sort_onesweep_iterationIS3_Lb1EPKfPfPS5_SB_mNS0_19identity_decomposerENS1_16block_id_wrapperIjLb0EEEEE10hipError_tT1_PNSt15iterator_traitsISG_E10value_typeET2_T3_PNSH_ISM_E10value_typeET4_T5_PSR_SS_PNS1_23onesweep_lookback_stateEbbT6_jjT7_P12ihipStream_tbENKUlT_T0_SG_SL_E_clIS9_SA_SB_SB_EEDaSZ_S10_SG_SL_EUlSZ_E_NS1_11comp_targetILNS1_3genE0ELNS1_11target_archE4294967295ELNS1_3gpuE0ELNS1_3repE0EEENS1_47radix_sort_onesweep_sort_config_static_selectorELNS0_4arch9wavefront6targetE0EEEvSG_, .Lfunc_end1337-_ZN7rocprim17ROCPRIM_400000_NS6detail17trampoline_kernelINS0_14default_configENS1_35radix_sort_onesweep_config_selectorIfNS0_10empty_typeEEEZZNS1_29radix_sort_onesweep_iterationIS3_Lb1EPKfPfPS5_SB_mNS0_19identity_decomposerENS1_16block_id_wrapperIjLb0EEEEE10hipError_tT1_PNSt15iterator_traitsISG_E10value_typeET2_T3_PNSH_ISM_E10value_typeET4_T5_PSR_SS_PNS1_23onesweep_lookback_stateEbbT6_jjT7_P12ihipStream_tbENKUlT_T0_SG_SL_E_clIS9_SA_SB_SB_EEDaSZ_S10_SG_SL_EUlSZ_E_NS1_11comp_targetILNS1_3genE0ELNS1_11target_archE4294967295ELNS1_3gpuE0ELNS1_3repE0EEENS1_47radix_sort_onesweep_sort_config_static_selectorELNS0_4arch9wavefront6targetE0EEEvSG_
                                        ; -- End function
	.set _ZN7rocprim17ROCPRIM_400000_NS6detail17trampoline_kernelINS0_14default_configENS1_35radix_sort_onesweep_config_selectorIfNS0_10empty_typeEEEZZNS1_29radix_sort_onesweep_iterationIS3_Lb1EPKfPfPS5_SB_mNS0_19identity_decomposerENS1_16block_id_wrapperIjLb0EEEEE10hipError_tT1_PNSt15iterator_traitsISG_E10value_typeET2_T3_PNSH_ISM_E10value_typeET4_T5_PSR_SS_PNS1_23onesweep_lookback_stateEbbT6_jjT7_P12ihipStream_tbENKUlT_T0_SG_SL_E_clIS9_SA_SB_SB_EEDaSZ_S10_SG_SL_EUlSZ_E_NS1_11comp_targetILNS1_3genE0ELNS1_11target_archE4294967295ELNS1_3gpuE0ELNS1_3repE0EEENS1_47radix_sort_onesweep_sort_config_static_selectorELNS0_4arch9wavefront6targetE0EEEvSG_.num_vgpr, 65
	.set _ZN7rocprim17ROCPRIM_400000_NS6detail17trampoline_kernelINS0_14default_configENS1_35radix_sort_onesweep_config_selectorIfNS0_10empty_typeEEEZZNS1_29radix_sort_onesweep_iterationIS3_Lb1EPKfPfPS5_SB_mNS0_19identity_decomposerENS1_16block_id_wrapperIjLb0EEEEE10hipError_tT1_PNSt15iterator_traitsISG_E10value_typeET2_T3_PNSH_ISM_E10value_typeET4_T5_PSR_SS_PNS1_23onesweep_lookback_stateEbbT6_jjT7_P12ihipStream_tbENKUlT_T0_SG_SL_E_clIS9_SA_SB_SB_EEDaSZ_S10_SG_SL_EUlSZ_E_NS1_11comp_targetILNS1_3genE0ELNS1_11target_archE4294967295ELNS1_3gpuE0ELNS1_3repE0EEENS1_47radix_sort_onesweep_sort_config_static_selectorELNS0_4arch9wavefront6targetE0EEEvSG_.num_agpr, 0
	.set _ZN7rocprim17ROCPRIM_400000_NS6detail17trampoline_kernelINS0_14default_configENS1_35radix_sort_onesweep_config_selectorIfNS0_10empty_typeEEEZZNS1_29radix_sort_onesweep_iterationIS3_Lb1EPKfPfPS5_SB_mNS0_19identity_decomposerENS1_16block_id_wrapperIjLb0EEEEE10hipError_tT1_PNSt15iterator_traitsISG_E10value_typeET2_T3_PNSH_ISM_E10value_typeET4_T5_PSR_SS_PNS1_23onesweep_lookback_stateEbbT6_jjT7_P12ihipStream_tbENKUlT_T0_SG_SL_E_clIS9_SA_SB_SB_EEDaSZ_S10_SG_SL_EUlSZ_E_NS1_11comp_targetILNS1_3genE0ELNS1_11target_archE4294967295ELNS1_3gpuE0ELNS1_3repE0EEENS1_47radix_sort_onesweep_sort_config_static_selectorELNS0_4arch9wavefront6targetE0EEEvSG_.numbered_sgpr, 28
	.set _ZN7rocprim17ROCPRIM_400000_NS6detail17trampoline_kernelINS0_14default_configENS1_35radix_sort_onesweep_config_selectorIfNS0_10empty_typeEEEZZNS1_29radix_sort_onesweep_iterationIS3_Lb1EPKfPfPS5_SB_mNS0_19identity_decomposerENS1_16block_id_wrapperIjLb0EEEEE10hipError_tT1_PNSt15iterator_traitsISG_E10value_typeET2_T3_PNSH_ISM_E10value_typeET4_T5_PSR_SS_PNS1_23onesweep_lookback_stateEbbT6_jjT7_P12ihipStream_tbENKUlT_T0_SG_SL_E_clIS9_SA_SB_SB_EEDaSZ_S10_SG_SL_EUlSZ_E_NS1_11comp_targetILNS1_3genE0ELNS1_11target_archE4294967295ELNS1_3gpuE0ELNS1_3repE0EEENS1_47radix_sort_onesweep_sort_config_static_selectorELNS0_4arch9wavefront6targetE0EEEvSG_.num_named_barrier, 0
	.set _ZN7rocprim17ROCPRIM_400000_NS6detail17trampoline_kernelINS0_14default_configENS1_35radix_sort_onesweep_config_selectorIfNS0_10empty_typeEEEZZNS1_29radix_sort_onesweep_iterationIS3_Lb1EPKfPfPS5_SB_mNS0_19identity_decomposerENS1_16block_id_wrapperIjLb0EEEEE10hipError_tT1_PNSt15iterator_traitsISG_E10value_typeET2_T3_PNSH_ISM_E10value_typeET4_T5_PSR_SS_PNS1_23onesweep_lookback_stateEbbT6_jjT7_P12ihipStream_tbENKUlT_T0_SG_SL_E_clIS9_SA_SB_SB_EEDaSZ_S10_SG_SL_EUlSZ_E_NS1_11comp_targetILNS1_3genE0ELNS1_11target_archE4294967295ELNS1_3gpuE0ELNS1_3repE0EEENS1_47radix_sort_onesweep_sort_config_static_selectorELNS0_4arch9wavefront6targetE0EEEvSG_.private_seg_size, 0
	.set _ZN7rocprim17ROCPRIM_400000_NS6detail17trampoline_kernelINS0_14default_configENS1_35radix_sort_onesweep_config_selectorIfNS0_10empty_typeEEEZZNS1_29radix_sort_onesweep_iterationIS3_Lb1EPKfPfPS5_SB_mNS0_19identity_decomposerENS1_16block_id_wrapperIjLb0EEEEE10hipError_tT1_PNSt15iterator_traitsISG_E10value_typeET2_T3_PNSH_ISM_E10value_typeET4_T5_PSR_SS_PNS1_23onesweep_lookback_stateEbbT6_jjT7_P12ihipStream_tbENKUlT_T0_SG_SL_E_clIS9_SA_SB_SB_EEDaSZ_S10_SG_SL_EUlSZ_E_NS1_11comp_targetILNS1_3genE0ELNS1_11target_archE4294967295ELNS1_3gpuE0ELNS1_3repE0EEENS1_47radix_sort_onesweep_sort_config_static_selectorELNS0_4arch9wavefront6targetE0EEEvSG_.uses_vcc, 1
	.set _ZN7rocprim17ROCPRIM_400000_NS6detail17trampoline_kernelINS0_14default_configENS1_35radix_sort_onesweep_config_selectorIfNS0_10empty_typeEEEZZNS1_29radix_sort_onesweep_iterationIS3_Lb1EPKfPfPS5_SB_mNS0_19identity_decomposerENS1_16block_id_wrapperIjLb0EEEEE10hipError_tT1_PNSt15iterator_traitsISG_E10value_typeET2_T3_PNSH_ISM_E10value_typeET4_T5_PSR_SS_PNS1_23onesweep_lookback_stateEbbT6_jjT7_P12ihipStream_tbENKUlT_T0_SG_SL_E_clIS9_SA_SB_SB_EEDaSZ_S10_SG_SL_EUlSZ_E_NS1_11comp_targetILNS1_3genE0ELNS1_11target_archE4294967295ELNS1_3gpuE0ELNS1_3repE0EEENS1_47radix_sort_onesweep_sort_config_static_selectorELNS0_4arch9wavefront6targetE0EEEvSG_.uses_flat_scratch, 0
	.set _ZN7rocprim17ROCPRIM_400000_NS6detail17trampoline_kernelINS0_14default_configENS1_35radix_sort_onesweep_config_selectorIfNS0_10empty_typeEEEZZNS1_29radix_sort_onesweep_iterationIS3_Lb1EPKfPfPS5_SB_mNS0_19identity_decomposerENS1_16block_id_wrapperIjLb0EEEEE10hipError_tT1_PNSt15iterator_traitsISG_E10value_typeET2_T3_PNSH_ISM_E10value_typeET4_T5_PSR_SS_PNS1_23onesweep_lookback_stateEbbT6_jjT7_P12ihipStream_tbENKUlT_T0_SG_SL_E_clIS9_SA_SB_SB_EEDaSZ_S10_SG_SL_EUlSZ_E_NS1_11comp_targetILNS1_3genE0ELNS1_11target_archE4294967295ELNS1_3gpuE0ELNS1_3repE0EEENS1_47radix_sort_onesweep_sort_config_static_selectorELNS0_4arch9wavefront6targetE0EEEvSG_.has_dyn_sized_stack, 0
	.set _ZN7rocprim17ROCPRIM_400000_NS6detail17trampoline_kernelINS0_14default_configENS1_35radix_sort_onesweep_config_selectorIfNS0_10empty_typeEEEZZNS1_29radix_sort_onesweep_iterationIS3_Lb1EPKfPfPS5_SB_mNS0_19identity_decomposerENS1_16block_id_wrapperIjLb0EEEEE10hipError_tT1_PNSt15iterator_traitsISG_E10value_typeET2_T3_PNSH_ISM_E10value_typeET4_T5_PSR_SS_PNS1_23onesweep_lookback_stateEbbT6_jjT7_P12ihipStream_tbENKUlT_T0_SG_SL_E_clIS9_SA_SB_SB_EEDaSZ_S10_SG_SL_EUlSZ_E_NS1_11comp_targetILNS1_3genE0ELNS1_11target_archE4294967295ELNS1_3gpuE0ELNS1_3repE0EEENS1_47radix_sort_onesweep_sort_config_static_selectorELNS0_4arch9wavefront6targetE0EEEvSG_.has_recursion, 0
	.set _ZN7rocprim17ROCPRIM_400000_NS6detail17trampoline_kernelINS0_14default_configENS1_35radix_sort_onesweep_config_selectorIfNS0_10empty_typeEEEZZNS1_29radix_sort_onesweep_iterationIS3_Lb1EPKfPfPS5_SB_mNS0_19identity_decomposerENS1_16block_id_wrapperIjLb0EEEEE10hipError_tT1_PNSt15iterator_traitsISG_E10value_typeET2_T3_PNSH_ISM_E10value_typeET4_T5_PSR_SS_PNS1_23onesweep_lookback_stateEbbT6_jjT7_P12ihipStream_tbENKUlT_T0_SG_SL_E_clIS9_SA_SB_SB_EEDaSZ_S10_SG_SL_EUlSZ_E_NS1_11comp_targetILNS1_3genE0ELNS1_11target_archE4294967295ELNS1_3gpuE0ELNS1_3repE0EEENS1_47radix_sort_onesweep_sort_config_static_selectorELNS0_4arch9wavefront6targetE0EEEvSG_.has_indirect_call, 0
	.section	.AMDGPU.csdata,"",@progbits
; Kernel info:
; codeLenInByte = 17116
; TotalNumSgprs: 30
; NumVgprs: 65
; ScratchSize: 0
; MemoryBound: 0
; FloatMode: 240
; IeeeMode: 1
; LDSByteSize: 18504 bytes/workgroup (compile time only)
; SGPRBlocks: 0
; VGPRBlocks: 4
; NumSGPRsForWavesPerEU: 30
; NumVGPRsForWavesPerEU: 65
; NamedBarCnt: 0
; Occupancy: 12
; WaveLimiterHint : 1
; COMPUTE_PGM_RSRC2:SCRATCH_EN: 0
; COMPUTE_PGM_RSRC2:USER_SGPR: 2
; COMPUTE_PGM_RSRC2:TRAP_HANDLER: 0
; COMPUTE_PGM_RSRC2:TGID_X_EN: 1
; COMPUTE_PGM_RSRC2:TGID_Y_EN: 0
; COMPUTE_PGM_RSRC2:TGID_Z_EN: 0
; COMPUTE_PGM_RSRC2:TIDIG_COMP_CNT: 2
	.section	.text._ZN7rocprim17ROCPRIM_400000_NS6detail17trampoline_kernelINS0_14default_configENS1_35radix_sort_onesweep_config_selectorIfNS0_10empty_typeEEEZZNS1_29radix_sort_onesweep_iterationIS3_Lb1EPKfPfPS5_SB_mNS0_19identity_decomposerENS1_16block_id_wrapperIjLb0EEEEE10hipError_tT1_PNSt15iterator_traitsISG_E10value_typeET2_T3_PNSH_ISM_E10value_typeET4_T5_PSR_SS_PNS1_23onesweep_lookback_stateEbbT6_jjT7_P12ihipStream_tbENKUlT_T0_SG_SL_E_clIS9_SA_SB_SB_EEDaSZ_S10_SG_SL_EUlSZ_E_NS1_11comp_targetILNS1_3genE6ELNS1_11target_archE950ELNS1_3gpuE13ELNS1_3repE0EEENS1_47radix_sort_onesweep_sort_config_static_selectorELNS0_4arch9wavefront6targetE0EEEvSG_,"axG",@progbits,_ZN7rocprim17ROCPRIM_400000_NS6detail17trampoline_kernelINS0_14default_configENS1_35radix_sort_onesweep_config_selectorIfNS0_10empty_typeEEEZZNS1_29radix_sort_onesweep_iterationIS3_Lb1EPKfPfPS5_SB_mNS0_19identity_decomposerENS1_16block_id_wrapperIjLb0EEEEE10hipError_tT1_PNSt15iterator_traitsISG_E10value_typeET2_T3_PNSH_ISM_E10value_typeET4_T5_PSR_SS_PNS1_23onesweep_lookback_stateEbbT6_jjT7_P12ihipStream_tbENKUlT_T0_SG_SL_E_clIS9_SA_SB_SB_EEDaSZ_S10_SG_SL_EUlSZ_E_NS1_11comp_targetILNS1_3genE6ELNS1_11target_archE950ELNS1_3gpuE13ELNS1_3repE0EEENS1_47radix_sort_onesweep_sort_config_static_selectorELNS0_4arch9wavefront6targetE0EEEvSG_,comdat
	.protected	_ZN7rocprim17ROCPRIM_400000_NS6detail17trampoline_kernelINS0_14default_configENS1_35radix_sort_onesweep_config_selectorIfNS0_10empty_typeEEEZZNS1_29radix_sort_onesweep_iterationIS3_Lb1EPKfPfPS5_SB_mNS0_19identity_decomposerENS1_16block_id_wrapperIjLb0EEEEE10hipError_tT1_PNSt15iterator_traitsISG_E10value_typeET2_T3_PNSH_ISM_E10value_typeET4_T5_PSR_SS_PNS1_23onesweep_lookback_stateEbbT6_jjT7_P12ihipStream_tbENKUlT_T0_SG_SL_E_clIS9_SA_SB_SB_EEDaSZ_S10_SG_SL_EUlSZ_E_NS1_11comp_targetILNS1_3genE6ELNS1_11target_archE950ELNS1_3gpuE13ELNS1_3repE0EEENS1_47radix_sort_onesweep_sort_config_static_selectorELNS0_4arch9wavefront6targetE0EEEvSG_ ; -- Begin function _ZN7rocprim17ROCPRIM_400000_NS6detail17trampoline_kernelINS0_14default_configENS1_35radix_sort_onesweep_config_selectorIfNS0_10empty_typeEEEZZNS1_29radix_sort_onesweep_iterationIS3_Lb1EPKfPfPS5_SB_mNS0_19identity_decomposerENS1_16block_id_wrapperIjLb0EEEEE10hipError_tT1_PNSt15iterator_traitsISG_E10value_typeET2_T3_PNSH_ISM_E10value_typeET4_T5_PSR_SS_PNS1_23onesweep_lookback_stateEbbT6_jjT7_P12ihipStream_tbENKUlT_T0_SG_SL_E_clIS9_SA_SB_SB_EEDaSZ_S10_SG_SL_EUlSZ_E_NS1_11comp_targetILNS1_3genE6ELNS1_11target_archE950ELNS1_3gpuE13ELNS1_3repE0EEENS1_47radix_sort_onesweep_sort_config_static_selectorELNS0_4arch9wavefront6targetE0EEEvSG_
	.globl	_ZN7rocprim17ROCPRIM_400000_NS6detail17trampoline_kernelINS0_14default_configENS1_35radix_sort_onesweep_config_selectorIfNS0_10empty_typeEEEZZNS1_29radix_sort_onesweep_iterationIS3_Lb1EPKfPfPS5_SB_mNS0_19identity_decomposerENS1_16block_id_wrapperIjLb0EEEEE10hipError_tT1_PNSt15iterator_traitsISG_E10value_typeET2_T3_PNSH_ISM_E10value_typeET4_T5_PSR_SS_PNS1_23onesweep_lookback_stateEbbT6_jjT7_P12ihipStream_tbENKUlT_T0_SG_SL_E_clIS9_SA_SB_SB_EEDaSZ_S10_SG_SL_EUlSZ_E_NS1_11comp_targetILNS1_3genE6ELNS1_11target_archE950ELNS1_3gpuE13ELNS1_3repE0EEENS1_47radix_sort_onesweep_sort_config_static_selectorELNS0_4arch9wavefront6targetE0EEEvSG_
	.p2align	8
	.type	_ZN7rocprim17ROCPRIM_400000_NS6detail17trampoline_kernelINS0_14default_configENS1_35radix_sort_onesweep_config_selectorIfNS0_10empty_typeEEEZZNS1_29radix_sort_onesweep_iterationIS3_Lb1EPKfPfPS5_SB_mNS0_19identity_decomposerENS1_16block_id_wrapperIjLb0EEEEE10hipError_tT1_PNSt15iterator_traitsISG_E10value_typeET2_T3_PNSH_ISM_E10value_typeET4_T5_PSR_SS_PNS1_23onesweep_lookback_stateEbbT6_jjT7_P12ihipStream_tbENKUlT_T0_SG_SL_E_clIS9_SA_SB_SB_EEDaSZ_S10_SG_SL_EUlSZ_E_NS1_11comp_targetILNS1_3genE6ELNS1_11target_archE950ELNS1_3gpuE13ELNS1_3repE0EEENS1_47radix_sort_onesweep_sort_config_static_selectorELNS0_4arch9wavefront6targetE0EEEvSG_,@function
_ZN7rocprim17ROCPRIM_400000_NS6detail17trampoline_kernelINS0_14default_configENS1_35radix_sort_onesweep_config_selectorIfNS0_10empty_typeEEEZZNS1_29radix_sort_onesweep_iterationIS3_Lb1EPKfPfPS5_SB_mNS0_19identity_decomposerENS1_16block_id_wrapperIjLb0EEEEE10hipError_tT1_PNSt15iterator_traitsISG_E10value_typeET2_T3_PNSH_ISM_E10value_typeET4_T5_PSR_SS_PNS1_23onesweep_lookback_stateEbbT6_jjT7_P12ihipStream_tbENKUlT_T0_SG_SL_E_clIS9_SA_SB_SB_EEDaSZ_S10_SG_SL_EUlSZ_E_NS1_11comp_targetILNS1_3genE6ELNS1_11target_archE950ELNS1_3gpuE13ELNS1_3repE0EEENS1_47radix_sort_onesweep_sort_config_static_selectorELNS0_4arch9wavefront6targetE0EEEvSG_: ; @_ZN7rocprim17ROCPRIM_400000_NS6detail17trampoline_kernelINS0_14default_configENS1_35radix_sort_onesweep_config_selectorIfNS0_10empty_typeEEEZZNS1_29radix_sort_onesweep_iterationIS3_Lb1EPKfPfPS5_SB_mNS0_19identity_decomposerENS1_16block_id_wrapperIjLb0EEEEE10hipError_tT1_PNSt15iterator_traitsISG_E10value_typeET2_T3_PNSH_ISM_E10value_typeET4_T5_PSR_SS_PNS1_23onesweep_lookback_stateEbbT6_jjT7_P12ihipStream_tbENKUlT_T0_SG_SL_E_clIS9_SA_SB_SB_EEDaSZ_S10_SG_SL_EUlSZ_E_NS1_11comp_targetILNS1_3genE6ELNS1_11target_archE950ELNS1_3gpuE13ELNS1_3repE0EEENS1_47radix_sort_onesweep_sort_config_static_selectorELNS0_4arch9wavefront6targetE0EEEvSG_
; %bb.0:
	.section	.rodata,"a",@progbits
	.p2align	6, 0x0
	.amdhsa_kernel _ZN7rocprim17ROCPRIM_400000_NS6detail17trampoline_kernelINS0_14default_configENS1_35radix_sort_onesweep_config_selectorIfNS0_10empty_typeEEEZZNS1_29radix_sort_onesweep_iterationIS3_Lb1EPKfPfPS5_SB_mNS0_19identity_decomposerENS1_16block_id_wrapperIjLb0EEEEE10hipError_tT1_PNSt15iterator_traitsISG_E10value_typeET2_T3_PNSH_ISM_E10value_typeET4_T5_PSR_SS_PNS1_23onesweep_lookback_stateEbbT6_jjT7_P12ihipStream_tbENKUlT_T0_SG_SL_E_clIS9_SA_SB_SB_EEDaSZ_S10_SG_SL_EUlSZ_E_NS1_11comp_targetILNS1_3genE6ELNS1_11target_archE950ELNS1_3gpuE13ELNS1_3repE0EEENS1_47radix_sort_onesweep_sort_config_static_selectorELNS0_4arch9wavefront6targetE0EEEvSG_
		.amdhsa_group_segment_fixed_size 0
		.amdhsa_private_segment_fixed_size 0
		.amdhsa_kernarg_size 88
		.amdhsa_user_sgpr_count 2
		.amdhsa_user_sgpr_dispatch_ptr 0
		.amdhsa_user_sgpr_queue_ptr 0
		.amdhsa_user_sgpr_kernarg_segment_ptr 1
		.amdhsa_user_sgpr_dispatch_id 0
		.amdhsa_user_sgpr_kernarg_preload_length 0
		.amdhsa_user_sgpr_kernarg_preload_offset 0
		.amdhsa_user_sgpr_private_segment_size 0
		.amdhsa_wavefront_size32 1
		.amdhsa_uses_dynamic_stack 0
		.amdhsa_enable_private_segment 0
		.amdhsa_system_sgpr_workgroup_id_x 1
		.amdhsa_system_sgpr_workgroup_id_y 0
		.amdhsa_system_sgpr_workgroup_id_z 0
		.amdhsa_system_sgpr_workgroup_info 0
		.amdhsa_system_vgpr_workitem_id 0
		.amdhsa_next_free_vgpr 1
		.amdhsa_next_free_sgpr 1
		.amdhsa_named_barrier_count 0
		.amdhsa_reserve_vcc 0
		.amdhsa_float_round_mode_32 0
		.amdhsa_float_round_mode_16_64 0
		.amdhsa_float_denorm_mode_32 3
		.amdhsa_float_denorm_mode_16_64 3
		.amdhsa_fp16_overflow 0
		.amdhsa_memory_ordered 1
		.amdhsa_forward_progress 1
		.amdhsa_inst_pref_size 0
		.amdhsa_round_robin_scheduling 0
		.amdhsa_exception_fp_ieee_invalid_op 0
		.amdhsa_exception_fp_denorm_src 0
		.amdhsa_exception_fp_ieee_div_zero 0
		.amdhsa_exception_fp_ieee_overflow 0
		.amdhsa_exception_fp_ieee_underflow 0
		.amdhsa_exception_fp_ieee_inexact 0
		.amdhsa_exception_int_div_zero 0
	.end_amdhsa_kernel
	.section	.text._ZN7rocprim17ROCPRIM_400000_NS6detail17trampoline_kernelINS0_14default_configENS1_35radix_sort_onesweep_config_selectorIfNS0_10empty_typeEEEZZNS1_29radix_sort_onesweep_iterationIS3_Lb1EPKfPfPS5_SB_mNS0_19identity_decomposerENS1_16block_id_wrapperIjLb0EEEEE10hipError_tT1_PNSt15iterator_traitsISG_E10value_typeET2_T3_PNSH_ISM_E10value_typeET4_T5_PSR_SS_PNS1_23onesweep_lookback_stateEbbT6_jjT7_P12ihipStream_tbENKUlT_T0_SG_SL_E_clIS9_SA_SB_SB_EEDaSZ_S10_SG_SL_EUlSZ_E_NS1_11comp_targetILNS1_3genE6ELNS1_11target_archE950ELNS1_3gpuE13ELNS1_3repE0EEENS1_47radix_sort_onesweep_sort_config_static_selectorELNS0_4arch9wavefront6targetE0EEEvSG_,"axG",@progbits,_ZN7rocprim17ROCPRIM_400000_NS6detail17trampoline_kernelINS0_14default_configENS1_35radix_sort_onesweep_config_selectorIfNS0_10empty_typeEEEZZNS1_29radix_sort_onesweep_iterationIS3_Lb1EPKfPfPS5_SB_mNS0_19identity_decomposerENS1_16block_id_wrapperIjLb0EEEEE10hipError_tT1_PNSt15iterator_traitsISG_E10value_typeET2_T3_PNSH_ISM_E10value_typeET4_T5_PSR_SS_PNS1_23onesweep_lookback_stateEbbT6_jjT7_P12ihipStream_tbENKUlT_T0_SG_SL_E_clIS9_SA_SB_SB_EEDaSZ_S10_SG_SL_EUlSZ_E_NS1_11comp_targetILNS1_3genE6ELNS1_11target_archE950ELNS1_3gpuE13ELNS1_3repE0EEENS1_47radix_sort_onesweep_sort_config_static_selectorELNS0_4arch9wavefront6targetE0EEEvSG_,comdat
.Lfunc_end1338:
	.size	_ZN7rocprim17ROCPRIM_400000_NS6detail17trampoline_kernelINS0_14default_configENS1_35radix_sort_onesweep_config_selectorIfNS0_10empty_typeEEEZZNS1_29radix_sort_onesweep_iterationIS3_Lb1EPKfPfPS5_SB_mNS0_19identity_decomposerENS1_16block_id_wrapperIjLb0EEEEE10hipError_tT1_PNSt15iterator_traitsISG_E10value_typeET2_T3_PNSH_ISM_E10value_typeET4_T5_PSR_SS_PNS1_23onesweep_lookback_stateEbbT6_jjT7_P12ihipStream_tbENKUlT_T0_SG_SL_E_clIS9_SA_SB_SB_EEDaSZ_S10_SG_SL_EUlSZ_E_NS1_11comp_targetILNS1_3genE6ELNS1_11target_archE950ELNS1_3gpuE13ELNS1_3repE0EEENS1_47radix_sort_onesweep_sort_config_static_selectorELNS0_4arch9wavefront6targetE0EEEvSG_, .Lfunc_end1338-_ZN7rocprim17ROCPRIM_400000_NS6detail17trampoline_kernelINS0_14default_configENS1_35radix_sort_onesweep_config_selectorIfNS0_10empty_typeEEEZZNS1_29radix_sort_onesweep_iterationIS3_Lb1EPKfPfPS5_SB_mNS0_19identity_decomposerENS1_16block_id_wrapperIjLb0EEEEE10hipError_tT1_PNSt15iterator_traitsISG_E10value_typeET2_T3_PNSH_ISM_E10value_typeET4_T5_PSR_SS_PNS1_23onesweep_lookback_stateEbbT6_jjT7_P12ihipStream_tbENKUlT_T0_SG_SL_E_clIS9_SA_SB_SB_EEDaSZ_S10_SG_SL_EUlSZ_E_NS1_11comp_targetILNS1_3genE6ELNS1_11target_archE950ELNS1_3gpuE13ELNS1_3repE0EEENS1_47radix_sort_onesweep_sort_config_static_selectorELNS0_4arch9wavefront6targetE0EEEvSG_
                                        ; -- End function
	.set _ZN7rocprim17ROCPRIM_400000_NS6detail17trampoline_kernelINS0_14default_configENS1_35radix_sort_onesweep_config_selectorIfNS0_10empty_typeEEEZZNS1_29radix_sort_onesweep_iterationIS3_Lb1EPKfPfPS5_SB_mNS0_19identity_decomposerENS1_16block_id_wrapperIjLb0EEEEE10hipError_tT1_PNSt15iterator_traitsISG_E10value_typeET2_T3_PNSH_ISM_E10value_typeET4_T5_PSR_SS_PNS1_23onesweep_lookback_stateEbbT6_jjT7_P12ihipStream_tbENKUlT_T0_SG_SL_E_clIS9_SA_SB_SB_EEDaSZ_S10_SG_SL_EUlSZ_E_NS1_11comp_targetILNS1_3genE6ELNS1_11target_archE950ELNS1_3gpuE13ELNS1_3repE0EEENS1_47radix_sort_onesweep_sort_config_static_selectorELNS0_4arch9wavefront6targetE0EEEvSG_.num_vgpr, 0
	.set _ZN7rocprim17ROCPRIM_400000_NS6detail17trampoline_kernelINS0_14default_configENS1_35radix_sort_onesweep_config_selectorIfNS0_10empty_typeEEEZZNS1_29radix_sort_onesweep_iterationIS3_Lb1EPKfPfPS5_SB_mNS0_19identity_decomposerENS1_16block_id_wrapperIjLb0EEEEE10hipError_tT1_PNSt15iterator_traitsISG_E10value_typeET2_T3_PNSH_ISM_E10value_typeET4_T5_PSR_SS_PNS1_23onesweep_lookback_stateEbbT6_jjT7_P12ihipStream_tbENKUlT_T0_SG_SL_E_clIS9_SA_SB_SB_EEDaSZ_S10_SG_SL_EUlSZ_E_NS1_11comp_targetILNS1_3genE6ELNS1_11target_archE950ELNS1_3gpuE13ELNS1_3repE0EEENS1_47radix_sort_onesweep_sort_config_static_selectorELNS0_4arch9wavefront6targetE0EEEvSG_.num_agpr, 0
	.set _ZN7rocprim17ROCPRIM_400000_NS6detail17trampoline_kernelINS0_14default_configENS1_35radix_sort_onesweep_config_selectorIfNS0_10empty_typeEEEZZNS1_29radix_sort_onesweep_iterationIS3_Lb1EPKfPfPS5_SB_mNS0_19identity_decomposerENS1_16block_id_wrapperIjLb0EEEEE10hipError_tT1_PNSt15iterator_traitsISG_E10value_typeET2_T3_PNSH_ISM_E10value_typeET4_T5_PSR_SS_PNS1_23onesweep_lookback_stateEbbT6_jjT7_P12ihipStream_tbENKUlT_T0_SG_SL_E_clIS9_SA_SB_SB_EEDaSZ_S10_SG_SL_EUlSZ_E_NS1_11comp_targetILNS1_3genE6ELNS1_11target_archE950ELNS1_3gpuE13ELNS1_3repE0EEENS1_47radix_sort_onesweep_sort_config_static_selectorELNS0_4arch9wavefront6targetE0EEEvSG_.numbered_sgpr, 0
	.set _ZN7rocprim17ROCPRIM_400000_NS6detail17trampoline_kernelINS0_14default_configENS1_35radix_sort_onesweep_config_selectorIfNS0_10empty_typeEEEZZNS1_29radix_sort_onesweep_iterationIS3_Lb1EPKfPfPS5_SB_mNS0_19identity_decomposerENS1_16block_id_wrapperIjLb0EEEEE10hipError_tT1_PNSt15iterator_traitsISG_E10value_typeET2_T3_PNSH_ISM_E10value_typeET4_T5_PSR_SS_PNS1_23onesweep_lookback_stateEbbT6_jjT7_P12ihipStream_tbENKUlT_T0_SG_SL_E_clIS9_SA_SB_SB_EEDaSZ_S10_SG_SL_EUlSZ_E_NS1_11comp_targetILNS1_3genE6ELNS1_11target_archE950ELNS1_3gpuE13ELNS1_3repE0EEENS1_47radix_sort_onesweep_sort_config_static_selectorELNS0_4arch9wavefront6targetE0EEEvSG_.num_named_barrier, 0
	.set _ZN7rocprim17ROCPRIM_400000_NS6detail17trampoline_kernelINS0_14default_configENS1_35radix_sort_onesweep_config_selectorIfNS0_10empty_typeEEEZZNS1_29radix_sort_onesweep_iterationIS3_Lb1EPKfPfPS5_SB_mNS0_19identity_decomposerENS1_16block_id_wrapperIjLb0EEEEE10hipError_tT1_PNSt15iterator_traitsISG_E10value_typeET2_T3_PNSH_ISM_E10value_typeET4_T5_PSR_SS_PNS1_23onesweep_lookback_stateEbbT6_jjT7_P12ihipStream_tbENKUlT_T0_SG_SL_E_clIS9_SA_SB_SB_EEDaSZ_S10_SG_SL_EUlSZ_E_NS1_11comp_targetILNS1_3genE6ELNS1_11target_archE950ELNS1_3gpuE13ELNS1_3repE0EEENS1_47radix_sort_onesweep_sort_config_static_selectorELNS0_4arch9wavefront6targetE0EEEvSG_.private_seg_size, 0
	.set _ZN7rocprim17ROCPRIM_400000_NS6detail17trampoline_kernelINS0_14default_configENS1_35radix_sort_onesweep_config_selectorIfNS0_10empty_typeEEEZZNS1_29radix_sort_onesweep_iterationIS3_Lb1EPKfPfPS5_SB_mNS0_19identity_decomposerENS1_16block_id_wrapperIjLb0EEEEE10hipError_tT1_PNSt15iterator_traitsISG_E10value_typeET2_T3_PNSH_ISM_E10value_typeET4_T5_PSR_SS_PNS1_23onesweep_lookback_stateEbbT6_jjT7_P12ihipStream_tbENKUlT_T0_SG_SL_E_clIS9_SA_SB_SB_EEDaSZ_S10_SG_SL_EUlSZ_E_NS1_11comp_targetILNS1_3genE6ELNS1_11target_archE950ELNS1_3gpuE13ELNS1_3repE0EEENS1_47radix_sort_onesweep_sort_config_static_selectorELNS0_4arch9wavefront6targetE0EEEvSG_.uses_vcc, 0
	.set _ZN7rocprim17ROCPRIM_400000_NS6detail17trampoline_kernelINS0_14default_configENS1_35radix_sort_onesweep_config_selectorIfNS0_10empty_typeEEEZZNS1_29radix_sort_onesweep_iterationIS3_Lb1EPKfPfPS5_SB_mNS0_19identity_decomposerENS1_16block_id_wrapperIjLb0EEEEE10hipError_tT1_PNSt15iterator_traitsISG_E10value_typeET2_T3_PNSH_ISM_E10value_typeET4_T5_PSR_SS_PNS1_23onesweep_lookback_stateEbbT6_jjT7_P12ihipStream_tbENKUlT_T0_SG_SL_E_clIS9_SA_SB_SB_EEDaSZ_S10_SG_SL_EUlSZ_E_NS1_11comp_targetILNS1_3genE6ELNS1_11target_archE950ELNS1_3gpuE13ELNS1_3repE0EEENS1_47radix_sort_onesweep_sort_config_static_selectorELNS0_4arch9wavefront6targetE0EEEvSG_.uses_flat_scratch, 0
	.set _ZN7rocprim17ROCPRIM_400000_NS6detail17trampoline_kernelINS0_14default_configENS1_35radix_sort_onesweep_config_selectorIfNS0_10empty_typeEEEZZNS1_29radix_sort_onesweep_iterationIS3_Lb1EPKfPfPS5_SB_mNS0_19identity_decomposerENS1_16block_id_wrapperIjLb0EEEEE10hipError_tT1_PNSt15iterator_traitsISG_E10value_typeET2_T3_PNSH_ISM_E10value_typeET4_T5_PSR_SS_PNS1_23onesweep_lookback_stateEbbT6_jjT7_P12ihipStream_tbENKUlT_T0_SG_SL_E_clIS9_SA_SB_SB_EEDaSZ_S10_SG_SL_EUlSZ_E_NS1_11comp_targetILNS1_3genE6ELNS1_11target_archE950ELNS1_3gpuE13ELNS1_3repE0EEENS1_47radix_sort_onesweep_sort_config_static_selectorELNS0_4arch9wavefront6targetE0EEEvSG_.has_dyn_sized_stack, 0
	.set _ZN7rocprim17ROCPRIM_400000_NS6detail17trampoline_kernelINS0_14default_configENS1_35radix_sort_onesweep_config_selectorIfNS0_10empty_typeEEEZZNS1_29radix_sort_onesweep_iterationIS3_Lb1EPKfPfPS5_SB_mNS0_19identity_decomposerENS1_16block_id_wrapperIjLb0EEEEE10hipError_tT1_PNSt15iterator_traitsISG_E10value_typeET2_T3_PNSH_ISM_E10value_typeET4_T5_PSR_SS_PNS1_23onesweep_lookback_stateEbbT6_jjT7_P12ihipStream_tbENKUlT_T0_SG_SL_E_clIS9_SA_SB_SB_EEDaSZ_S10_SG_SL_EUlSZ_E_NS1_11comp_targetILNS1_3genE6ELNS1_11target_archE950ELNS1_3gpuE13ELNS1_3repE0EEENS1_47radix_sort_onesweep_sort_config_static_selectorELNS0_4arch9wavefront6targetE0EEEvSG_.has_recursion, 0
	.set _ZN7rocprim17ROCPRIM_400000_NS6detail17trampoline_kernelINS0_14default_configENS1_35radix_sort_onesweep_config_selectorIfNS0_10empty_typeEEEZZNS1_29radix_sort_onesweep_iterationIS3_Lb1EPKfPfPS5_SB_mNS0_19identity_decomposerENS1_16block_id_wrapperIjLb0EEEEE10hipError_tT1_PNSt15iterator_traitsISG_E10value_typeET2_T3_PNSH_ISM_E10value_typeET4_T5_PSR_SS_PNS1_23onesweep_lookback_stateEbbT6_jjT7_P12ihipStream_tbENKUlT_T0_SG_SL_E_clIS9_SA_SB_SB_EEDaSZ_S10_SG_SL_EUlSZ_E_NS1_11comp_targetILNS1_3genE6ELNS1_11target_archE950ELNS1_3gpuE13ELNS1_3repE0EEENS1_47radix_sort_onesweep_sort_config_static_selectorELNS0_4arch9wavefront6targetE0EEEvSG_.has_indirect_call, 0
	.section	.AMDGPU.csdata,"",@progbits
; Kernel info:
; codeLenInByte = 0
; TotalNumSgprs: 0
; NumVgprs: 0
; ScratchSize: 0
; MemoryBound: 0
; FloatMode: 240
; IeeeMode: 1
; LDSByteSize: 0 bytes/workgroup (compile time only)
; SGPRBlocks: 0
; VGPRBlocks: 0
; NumSGPRsForWavesPerEU: 1
; NumVGPRsForWavesPerEU: 1
; NamedBarCnt: 0
; Occupancy: 16
; WaveLimiterHint : 0
; COMPUTE_PGM_RSRC2:SCRATCH_EN: 0
; COMPUTE_PGM_RSRC2:USER_SGPR: 2
; COMPUTE_PGM_RSRC2:TRAP_HANDLER: 0
; COMPUTE_PGM_RSRC2:TGID_X_EN: 1
; COMPUTE_PGM_RSRC2:TGID_Y_EN: 0
; COMPUTE_PGM_RSRC2:TGID_Z_EN: 0
; COMPUTE_PGM_RSRC2:TIDIG_COMP_CNT: 0
	.section	.text._ZN7rocprim17ROCPRIM_400000_NS6detail17trampoline_kernelINS0_14default_configENS1_35radix_sort_onesweep_config_selectorIfNS0_10empty_typeEEEZZNS1_29radix_sort_onesweep_iterationIS3_Lb1EPKfPfPS5_SB_mNS0_19identity_decomposerENS1_16block_id_wrapperIjLb0EEEEE10hipError_tT1_PNSt15iterator_traitsISG_E10value_typeET2_T3_PNSH_ISM_E10value_typeET4_T5_PSR_SS_PNS1_23onesweep_lookback_stateEbbT6_jjT7_P12ihipStream_tbENKUlT_T0_SG_SL_E_clIS9_SA_SB_SB_EEDaSZ_S10_SG_SL_EUlSZ_E_NS1_11comp_targetILNS1_3genE5ELNS1_11target_archE942ELNS1_3gpuE9ELNS1_3repE0EEENS1_47radix_sort_onesweep_sort_config_static_selectorELNS0_4arch9wavefront6targetE0EEEvSG_,"axG",@progbits,_ZN7rocprim17ROCPRIM_400000_NS6detail17trampoline_kernelINS0_14default_configENS1_35radix_sort_onesweep_config_selectorIfNS0_10empty_typeEEEZZNS1_29radix_sort_onesweep_iterationIS3_Lb1EPKfPfPS5_SB_mNS0_19identity_decomposerENS1_16block_id_wrapperIjLb0EEEEE10hipError_tT1_PNSt15iterator_traitsISG_E10value_typeET2_T3_PNSH_ISM_E10value_typeET4_T5_PSR_SS_PNS1_23onesweep_lookback_stateEbbT6_jjT7_P12ihipStream_tbENKUlT_T0_SG_SL_E_clIS9_SA_SB_SB_EEDaSZ_S10_SG_SL_EUlSZ_E_NS1_11comp_targetILNS1_3genE5ELNS1_11target_archE942ELNS1_3gpuE9ELNS1_3repE0EEENS1_47radix_sort_onesweep_sort_config_static_selectorELNS0_4arch9wavefront6targetE0EEEvSG_,comdat
	.protected	_ZN7rocprim17ROCPRIM_400000_NS6detail17trampoline_kernelINS0_14default_configENS1_35radix_sort_onesweep_config_selectorIfNS0_10empty_typeEEEZZNS1_29radix_sort_onesweep_iterationIS3_Lb1EPKfPfPS5_SB_mNS0_19identity_decomposerENS1_16block_id_wrapperIjLb0EEEEE10hipError_tT1_PNSt15iterator_traitsISG_E10value_typeET2_T3_PNSH_ISM_E10value_typeET4_T5_PSR_SS_PNS1_23onesweep_lookback_stateEbbT6_jjT7_P12ihipStream_tbENKUlT_T0_SG_SL_E_clIS9_SA_SB_SB_EEDaSZ_S10_SG_SL_EUlSZ_E_NS1_11comp_targetILNS1_3genE5ELNS1_11target_archE942ELNS1_3gpuE9ELNS1_3repE0EEENS1_47radix_sort_onesweep_sort_config_static_selectorELNS0_4arch9wavefront6targetE0EEEvSG_ ; -- Begin function _ZN7rocprim17ROCPRIM_400000_NS6detail17trampoline_kernelINS0_14default_configENS1_35radix_sort_onesweep_config_selectorIfNS0_10empty_typeEEEZZNS1_29radix_sort_onesweep_iterationIS3_Lb1EPKfPfPS5_SB_mNS0_19identity_decomposerENS1_16block_id_wrapperIjLb0EEEEE10hipError_tT1_PNSt15iterator_traitsISG_E10value_typeET2_T3_PNSH_ISM_E10value_typeET4_T5_PSR_SS_PNS1_23onesweep_lookback_stateEbbT6_jjT7_P12ihipStream_tbENKUlT_T0_SG_SL_E_clIS9_SA_SB_SB_EEDaSZ_S10_SG_SL_EUlSZ_E_NS1_11comp_targetILNS1_3genE5ELNS1_11target_archE942ELNS1_3gpuE9ELNS1_3repE0EEENS1_47radix_sort_onesweep_sort_config_static_selectorELNS0_4arch9wavefront6targetE0EEEvSG_
	.globl	_ZN7rocprim17ROCPRIM_400000_NS6detail17trampoline_kernelINS0_14default_configENS1_35radix_sort_onesweep_config_selectorIfNS0_10empty_typeEEEZZNS1_29radix_sort_onesweep_iterationIS3_Lb1EPKfPfPS5_SB_mNS0_19identity_decomposerENS1_16block_id_wrapperIjLb0EEEEE10hipError_tT1_PNSt15iterator_traitsISG_E10value_typeET2_T3_PNSH_ISM_E10value_typeET4_T5_PSR_SS_PNS1_23onesweep_lookback_stateEbbT6_jjT7_P12ihipStream_tbENKUlT_T0_SG_SL_E_clIS9_SA_SB_SB_EEDaSZ_S10_SG_SL_EUlSZ_E_NS1_11comp_targetILNS1_3genE5ELNS1_11target_archE942ELNS1_3gpuE9ELNS1_3repE0EEENS1_47radix_sort_onesweep_sort_config_static_selectorELNS0_4arch9wavefront6targetE0EEEvSG_
	.p2align	8
	.type	_ZN7rocprim17ROCPRIM_400000_NS6detail17trampoline_kernelINS0_14default_configENS1_35radix_sort_onesweep_config_selectorIfNS0_10empty_typeEEEZZNS1_29radix_sort_onesweep_iterationIS3_Lb1EPKfPfPS5_SB_mNS0_19identity_decomposerENS1_16block_id_wrapperIjLb0EEEEE10hipError_tT1_PNSt15iterator_traitsISG_E10value_typeET2_T3_PNSH_ISM_E10value_typeET4_T5_PSR_SS_PNS1_23onesweep_lookback_stateEbbT6_jjT7_P12ihipStream_tbENKUlT_T0_SG_SL_E_clIS9_SA_SB_SB_EEDaSZ_S10_SG_SL_EUlSZ_E_NS1_11comp_targetILNS1_3genE5ELNS1_11target_archE942ELNS1_3gpuE9ELNS1_3repE0EEENS1_47radix_sort_onesweep_sort_config_static_selectorELNS0_4arch9wavefront6targetE0EEEvSG_,@function
_ZN7rocprim17ROCPRIM_400000_NS6detail17trampoline_kernelINS0_14default_configENS1_35radix_sort_onesweep_config_selectorIfNS0_10empty_typeEEEZZNS1_29radix_sort_onesweep_iterationIS3_Lb1EPKfPfPS5_SB_mNS0_19identity_decomposerENS1_16block_id_wrapperIjLb0EEEEE10hipError_tT1_PNSt15iterator_traitsISG_E10value_typeET2_T3_PNSH_ISM_E10value_typeET4_T5_PSR_SS_PNS1_23onesweep_lookback_stateEbbT6_jjT7_P12ihipStream_tbENKUlT_T0_SG_SL_E_clIS9_SA_SB_SB_EEDaSZ_S10_SG_SL_EUlSZ_E_NS1_11comp_targetILNS1_3genE5ELNS1_11target_archE942ELNS1_3gpuE9ELNS1_3repE0EEENS1_47radix_sort_onesweep_sort_config_static_selectorELNS0_4arch9wavefront6targetE0EEEvSG_: ; @_ZN7rocprim17ROCPRIM_400000_NS6detail17trampoline_kernelINS0_14default_configENS1_35radix_sort_onesweep_config_selectorIfNS0_10empty_typeEEEZZNS1_29radix_sort_onesweep_iterationIS3_Lb1EPKfPfPS5_SB_mNS0_19identity_decomposerENS1_16block_id_wrapperIjLb0EEEEE10hipError_tT1_PNSt15iterator_traitsISG_E10value_typeET2_T3_PNSH_ISM_E10value_typeET4_T5_PSR_SS_PNS1_23onesweep_lookback_stateEbbT6_jjT7_P12ihipStream_tbENKUlT_T0_SG_SL_E_clIS9_SA_SB_SB_EEDaSZ_S10_SG_SL_EUlSZ_E_NS1_11comp_targetILNS1_3genE5ELNS1_11target_archE942ELNS1_3gpuE9ELNS1_3repE0EEENS1_47radix_sort_onesweep_sort_config_static_selectorELNS0_4arch9wavefront6targetE0EEEvSG_
; %bb.0:
	.section	.rodata,"a",@progbits
	.p2align	6, 0x0
	.amdhsa_kernel _ZN7rocprim17ROCPRIM_400000_NS6detail17trampoline_kernelINS0_14default_configENS1_35radix_sort_onesweep_config_selectorIfNS0_10empty_typeEEEZZNS1_29radix_sort_onesweep_iterationIS3_Lb1EPKfPfPS5_SB_mNS0_19identity_decomposerENS1_16block_id_wrapperIjLb0EEEEE10hipError_tT1_PNSt15iterator_traitsISG_E10value_typeET2_T3_PNSH_ISM_E10value_typeET4_T5_PSR_SS_PNS1_23onesweep_lookback_stateEbbT6_jjT7_P12ihipStream_tbENKUlT_T0_SG_SL_E_clIS9_SA_SB_SB_EEDaSZ_S10_SG_SL_EUlSZ_E_NS1_11comp_targetILNS1_3genE5ELNS1_11target_archE942ELNS1_3gpuE9ELNS1_3repE0EEENS1_47radix_sort_onesweep_sort_config_static_selectorELNS0_4arch9wavefront6targetE0EEEvSG_
		.amdhsa_group_segment_fixed_size 0
		.amdhsa_private_segment_fixed_size 0
		.amdhsa_kernarg_size 88
		.amdhsa_user_sgpr_count 2
		.amdhsa_user_sgpr_dispatch_ptr 0
		.amdhsa_user_sgpr_queue_ptr 0
		.amdhsa_user_sgpr_kernarg_segment_ptr 1
		.amdhsa_user_sgpr_dispatch_id 0
		.amdhsa_user_sgpr_kernarg_preload_length 0
		.amdhsa_user_sgpr_kernarg_preload_offset 0
		.amdhsa_user_sgpr_private_segment_size 0
		.amdhsa_wavefront_size32 1
		.amdhsa_uses_dynamic_stack 0
		.amdhsa_enable_private_segment 0
		.amdhsa_system_sgpr_workgroup_id_x 1
		.amdhsa_system_sgpr_workgroup_id_y 0
		.amdhsa_system_sgpr_workgroup_id_z 0
		.amdhsa_system_sgpr_workgroup_info 0
		.amdhsa_system_vgpr_workitem_id 0
		.amdhsa_next_free_vgpr 1
		.amdhsa_next_free_sgpr 1
		.amdhsa_named_barrier_count 0
		.amdhsa_reserve_vcc 0
		.amdhsa_float_round_mode_32 0
		.amdhsa_float_round_mode_16_64 0
		.amdhsa_float_denorm_mode_32 3
		.amdhsa_float_denorm_mode_16_64 3
		.amdhsa_fp16_overflow 0
		.amdhsa_memory_ordered 1
		.amdhsa_forward_progress 1
		.amdhsa_inst_pref_size 0
		.amdhsa_round_robin_scheduling 0
		.amdhsa_exception_fp_ieee_invalid_op 0
		.amdhsa_exception_fp_denorm_src 0
		.amdhsa_exception_fp_ieee_div_zero 0
		.amdhsa_exception_fp_ieee_overflow 0
		.amdhsa_exception_fp_ieee_underflow 0
		.amdhsa_exception_fp_ieee_inexact 0
		.amdhsa_exception_int_div_zero 0
	.end_amdhsa_kernel
	.section	.text._ZN7rocprim17ROCPRIM_400000_NS6detail17trampoline_kernelINS0_14default_configENS1_35radix_sort_onesweep_config_selectorIfNS0_10empty_typeEEEZZNS1_29radix_sort_onesweep_iterationIS3_Lb1EPKfPfPS5_SB_mNS0_19identity_decomposerENS1_16block_id_wrapperIjLb0EEEEE10hipError_tT1_PNSt15iterator_traitsISG_E10value_typeET2_T3_PNSH_ISM_E10value_typeET4_T5_PSR_SS_PNS1_23onesweep_lookback_stateEbbT6_jjT7_P12ihipStream_tbENKUlT_T0_SG_SL_E_clIS9_SA_SB_SB_EEDaSZ_S10_SG_SL_EUlSZ_E_NS1_11comp_targetILNS1_3genE5ELNS1_11target_archE942ELNS1_3gpuE9ELNS1_3repE0EEENS1_47radix_sort_onesweep_sort_config_static_selectorELNS0_4arch9wavefront6targetE0EEEvSG_,"axG",@progbits,_ZN7rocprim17ROCPRIM_400000_NS6detail17trampoline_kernelINS0_14default_configENS1_35radix_sort_onesweep_config_selectorIfNS0_10empty_typeEEEZZNS1_29radix_sort_onesweep_iterationIS3_Lb1EPKfPfPS5_SB_mNS0_19identity_decomposerENS1_16block_id_wrapperIjLb0EEEEE10hipError_tT1_PNSt15iterator_traitsISG_E10value_typeET2_T3_PNSH_ISM_E10value_typeET4_T5_PSR_SS_PNS1_23onesweep_lookback_stateEbbT6_jjT7_P12ihipStream_tbENKUlT_T0_SG_SL_E_clIS9_SA_SB_SB_EEDaSZ_S10_SG_SL_EUlSZ_E_NS1_11comp_targetILNS1_3genE5ELNS1_11target_archE942ELNS1_3gpuE9ELNS1_3repE0EEENS1_47radix_sort_onesweep_sort_config_static_selectorELNS0_4arch9wavefront6targetE0EEEvSG_,comdat
.Lfunc_end1339:
	.size	_ZN7rocprim17ROCPRIM_400000_NS6detail17trampoline_kernelINS0_14default_configENS1_35radix_sort_onesweep_config_selectorIfNS0_10empty_typeEEEZZNS1_29radix_sort_onesweep_iterationIS3_Lb1EPKfPfPS5_SB_mNS0_19identity_decomposerENS1_16block_id_wrapperIjLb0EEEEE10hipError_tT1_PNSt15iterator_traitsISG_E10value_typeET2_T3_PNSH_ISM_E10value_typeET4_T5_PSR_SS_PNS1_23onesweep_lookback_stateEbbT6_jjT7_P12ihipStream_tbENKUlT_T0_SG_SL_E_clIS9_SA_SB_SB_EEDaSZ_S10_SG_SL_EUlSZ_E_NS1_11comp_targetILNS1_3genE5ELNS1_11target_archE942ELNS1_3gpuE9ELNS1_3repE0EEENS1_47radix_sort_onesweep_sort_config_static_selectorELNS0_4arch9wavefront6targetE0EEEvSG_, .Lfunc_end1339-_ZN7rocprim17ROCPRIM_400000_NS6detail17trampoline_kernelINS0_14default_configENS1_35radix_sort_onesweep_config_selectorIfNS0_10empty_typeEEEZZNS1_29radix_sort_onesweep_iterationIS3_Lb1EPKfPfPS5_SB_mNS0_19identity_decomposerENS1_16block_id_wrapperIjLb0EEEEE10hipError_tT1_PNSt15iterator_traitsISG_E10value_typeET2_T3_PNSH_ISM_E10value_typeET4_T5_PSR_SS_PNS1_23onesweep_lookback_stateEbbT6_jjT7_P12ihipStream_tbENKUlT_T0_SG_SL_E_clIS9_SA_SB_SB_EEDaSZ_S10_SG_SL_EUlSZ_E_NS1_11comp_targetILNS1_3genE5ELNS1_11target_archE942ELNS1_3gpuE9ELNS1_3repE0EEENS1_47radix_sort_onesweep_sort_config_static_selectorELNS0_4arch9wavefront6targetE0EEEvSG_
                                        ; -- End function
	.set _ZN7rocprim17ROCPRIM_400000_NS6detail17trampoline_kernelINS0_14default_configENS1_35radix_sort_onesweep_config_selectorIfNS0_10empty_typeEEEZZNS1_29radix_sort_onesweep_iterationIS3_Lb1EPKfPfPS5_SB_mNS0_19identity_decomposerENS1_16block_id_wrapperIjLb0EEEEE10hipError_tT1_PNSt15iterator_traitsISG_E10value_typeET2_T3_PNSH_ISM_E10value_typeET4_T5_PSR_SS_PNS1_23onesweep_lookback_stateEbbT6_jjT7_P12ihipStream_tbENKUlT_T0_SG_SL_E_clIS9_SA_SB_SB_EEDaSZ_S10_SG_SL_EUlSZ_E_NS1_11comp_targetILNS1_3genE5ELNS1_11target_archE942ELNS1_3gpuE9ELNS1_3repE0EEENS1_47radix_sort_onesweep_sort_config_static_selectorELNS0_4arch9wavefront6targetE0EEEvSG_.num_vgpr, 0
	.set _ZN7rocprim17ROCPRIM_400000_NS6detail17trampoline_kernelINS0_14default_configENS1_35radix_sort_onesweep_config_selectorIfNS0_10empty_typeEEEZZNS1_29radix_sort_onesweep_iterationIS3_Lb1EPKfPfPS5_SB_mNS0_19identity_decomposerENS1_16block_id_wrapperIjLb0EEEEE10hipError_tT1_PNSt15iterator_traitsISG_E10value_typeET2_T3_PNSH_ISM_E10value_typeET4_T5_PSR_SS_PNS1_23onesweep_lookback_stateEbbT6_jjT7_P12ihipStream_tbENKUlT_T0_SG_SL_E_clIS9_SA_SB_SB_EEDaSZ_S10_SG_SL_EUlSZ_E_NS1_11comp_targetILNS1_3genE5ELNS1_11target_archE942ELNS1_3gpuE9ELNS1_3repE0EEENS1_47radix_sort_onesweep_sort_config_static_selectorELNS0_4arch9wavefront6targetE0EEEvSG_.num_agpr, 0
	.set _ZN7rocprim17ROCPRIM_400000_NS6detail17trampoline_kernelINS0_14default_configENS1_35radix_sort_onesweep_config_selectorIfNS0_10empty_typeEEEZZNS1_29radix_sort_onesweep_iterationIS3_Lb1EPKfPfPS5_SB_mNS0_19identity_decomposerENS1_16block_id_wrapperIjLb0EEEEE10hipError_tT1_PNSt15iterator_traitsISG_E10value_typeET2_T3_PNSH_ISM_E10value_typeET4_T5_PSR_SS_PNS1_23onesweep_lookback_stateEbbT6_jjT7_P12ihipStream_tbENKUlT_T0_SG_SL_E_clIS9_SA_SB_SB_EEDaSZ_S10_SG_SL_EUlSZ_E_NS1_11comp_targetILNS1_3genE5ELNS1_11target_archE942ELNS1_3gpuE9ELNS1_3repE0EEENS1_47radix_sort_onesweep_sort_config_static_selectorELNS0_4arch9wavefront6targetE0EEEvSG_.numbered_sgpr, 0
	.set _ZN7rocprim17ROCPRIM_400000_NS6detail17trampoline_kernelINS0_14default_configENS1_35radix_sort_onesweep_config_selectorIfNS0_10empty_typeEEEZZNS1_29radix_sort_onesweep_iterationIS3_Lb1EPKfPfPS5_SB_mNS0_19identity_decomposerENS1_16block_id_wrapperIjLb0EEEEE10hipError_tT1_PNSt15iterator_traitsISG_E10value_typeET2_T3_PNSH_ISM_E10value_typeET4_T5_PSR_SS_PNS1_23onesweep_lookback_stateEbbT6_jjT7_P12ihipStream_tbENKUlT_T0_SG_SL_E_clIS9_SA_SB_SB_EEDaSZ_S10_SG_SL_EUlSZ_E_NS1_11comp_targetILNS1_3genE5ELNS1_11target_archE942ELNS1_3gpuE9ELNS1_3repE0EEENS1_47radix_sort_onesweep_sort_config_static_selectorELNS0_4arch9wavefront6targetE0EEEvSG_.num_named_barrier, 0
	.set _ZN7rocprim17ROCPRIM_400000_NS6detail17trampoline_kernelINS0_14default_configENS1_35radix_sort_onesweep_config_selectorIfNS0_10empty_typeEEEZZNS1_29radix_sort_onesweep_iterationIS3_Lb1EPKfPfPS5_SB_mNS0_19identity_decomposerENS1_16block_id_wrapperIjLb0EEEEE10hipError_tT1_PNSt15iterator_traitsISG_E10value_typeET2_T3_PNSH_ISM_E10value_typeET4_T5_PSR_SS_PNS1_23onesweep_lookback_stateEbbT6_jjT7_P12ihipStream_tbENKUlT_T0_SG_SL_E_clIS9_SA_SB_SB_EEDaSZ_S10_SG_SL_EUlSZ_E_NS1_11comp_targetILNS1_3genE5ELNS1_11target_archE942ELNS1_3gpuE9ELNS1_3repE0EEENS1_47radix_sort_onesweep_sort_config_static_selectorELNS0_4arch9wavefront6targetE0EEEvSG_.private_seg_size, 0
	.set _ZN7rocprim17ROCPRIM_400000_NS6detail17trampoline_kernelINS0_14default_configENS1_35radix_sort_onesweep_config_selectorIfNS0_10empty_typeEEEZZNS1_29radix_sort_onesweep_iterationIS3_Lb1EPKfPfPS5_SB_mNS0_19identity_decomposerENS1_16block_id_wrapperIjLb0EEEEE10hipError_tT1_PNSt15iterator_traitsISG_E10value_typeET2_T3_PNSH_ISM_E10value_typeET4_T5_PSR_SS_PNS1_23onesweep_lookback_stateEbbT6_jjT7_P12ihipStream_tbENKUlT_T0_SG_SL_E_clIS9_SA_SB_SB_EEDaSZ_S10_SG_SL_EUlSZ_E_NS1_11comp_targetILNS1_3genE5ELNS1_11target_archE942ELNS1_3gpuE9ELNS1_3repE0EEENS1_47radix_sort_onesweep_sort_config_static_selectorELNS0_4arch9wavefront6targetE0EEEvSG_.uses_vcc, 0
	.set _ZN7rocprim17ROCPRIM_400000_NS6detail17trampoline_kernelINS0_14default_configENS1_35radix_sort_onesweep_config_selectorIfNS0_10empty_typeEEEZZNS1_29radix_sort_onesweep_iterationIS3_Lb1EPKfPfPS5_SB_mNS0_19identity_decomposerENS1_16block_id_wrapperIjLb0EEEEE10hipError_tT1_PNSt15iterator_traitsISG_E10value_typeET2_T3_PNSH_ISM_E10value_typeET4_T5_PSR_SS_PNS1_23onesweep_lookback_stateEbbT6_jjT7_P12ihipStream_tbENKUlT_T0_SG_SL_E_clIS9_SA_SB_SB_EEDaSZ_S10_SG_SL_EUlSZ_E_NS1_11comp_targetILNS1_3genE5ELNS1_11target_archE942ELNS1_3gpuE9ELNS1_3repE0EEENS1_47radix_sort_onesweep_sort_config_static_selectorELNS0_4arch9wavefront6targetE0EEEvSG_.uses_flat_scratch, 0
	.set _ZN7rocprim17ROCPRIM_400000_NS6detail17trampoline_kernelINS0_14default_configENS1_35radix_sort_onesweep_config_selectorIfNS0_10empty_typeEEEZZNS1_29radix_sort_onesweep_iterationIS3_Lb1EPKfPfPS5_SB_mNS0_19identity_decomposerENS1_16block_id_wrapperIjLb0EEEEE10hipError_tT1_PNSt15iterator_traitsISG_E10value_typeET2_T3_PNSH_ISM_E10value_typeET4_T5_PSR_SS_PNS1_23onesweep_lookback_stateEbbT6_jjT7_P12ihipStream_tbENKUlT_T0_SG_SL_E_clIS9_SA_SB_SB_EEDaSZ_S10_SG_SL_EUlSZ_E_NS1_11comp_targetILNS1_3genE5ELNS1_11target_archE942ELNS1_3gpuE9ELNS1_3repE0EEENS1_47radix_sort_onesweep_sort_config_static_selectorELNS0_4arch9wavefront6targetE0EEEvSG_.has_dyn_sized_stack, 0
	.set _ZN7rocprim17ROCPRIM_400000_NS6detail17trampoline_kernelINS0_14default_configENS1_35radix_sort_onesweep_config_selectorIfNS0_10empty_typeEEEZZNS1_29radix_sort_onesweep_iterationIS3_Lb1EPKfPfPS5_SB_mNS0_19identity_decomposerENS1_16block_id_wrapperIjLb0EEEEE10hipError_tT1_PNSt15iterator_traitsISG_E10value_typeET2_T3_PNSH_ISM_E10value_typeET4_T5_PSR_SS_PNS1_23onesweep_lookback_stateEbbT6_jjT7_P12ihipStream_tbENKUlT_T0_SG_SL_E_clIS9_SA_SB_SB_EEDaSZ_S10_SG_SL_EUlSZ_E_NS1_11comp_targetILNS1_3genE5ELNS1_11target_archE942ELNS1_3gpuE9ELNS1_3repE0EEENS1_47radix_sort_onesweep_sort_config_static_selectorELNS0_4arch9wavefront6targetE0EEEvSG_.has_recursion, 0
	.set _ZN7rocprim17ROCPRIM_400000_NS6detail17trampoline_kernelINS0_14default_configENS1_35radix_sort_onesweep_config_selectorIfNS0_10empty_typeEEEZZNS1_29radix_sort_onesweep_iterationIS3_Lb1EPKfPfPS5_SB_mNS0_19identity_decomposerENS1_16block_id_wrapperIjLb0EEEEE10hipError_tT1_PNSt15iterator_traitsISG_E10value_typeET2_T3_PNSH_ISM_E10value_typeET4_T5_PSR_SS_PNS1_23onesweep_lookback_stateEbbT6_jjT7_P12ihipStream_tbENKUlT_T0_SG_SL_E_clIS9_SA_SB_SB_EEDaSZ_S10_SG_SL_EUlSZ_E_NS1_11comp_targetILNS1_3genE5ELNS1_11target_archE942ELNS1_3gpuE9ELNS1_3repE0EEENS1_47radix_sort_onesweep_sort_config_static_selectorELNS0_4arch9wavefront6targetE0EEEvSG_.has_indirect_call, 0
	.section	.AMDGPU.csdata,"",@progbits
; Kernel info:
; codeLenInByte = 0
; TotalNumSgprs: 0
; NumVgprs: 0
; ScratchSize: 0
; MemoryBound: 0
; FloatMode: 240
; IeeeMode: 1
; LDSByteSize: 0 bytes/workgroup (compile time only)
; SGPRBlocks: 0
; VGPRBlocks: 0
; NumSGPRsForWavesPerEU: 1
; NumVGPRsForWavesPerEU: 1
; NamedBarCnt: 0
; Occupancy: 16
; WaveLimiterHint : 0
; COMPUTE_PGM_RSRC2:SCRATCH_EN: 0
; COMPUTE_PGM_RSRC2:USER_SGPR: 2
; COMPUTE_PGM_RSRC2:TRAP_HANDLER: 0
; COMPUTE_PGM_RSRC2:TGID_X_EN: 1
; COMPUTE_PGM_RSRC2:TGID_Y_EN: 0
; COMPUTE_PGM_RSRC2:TGID_Z_EN: 0
; COMPUTE_PGM_RSRC2:TIDIG_COMP_CNT: 0
	.section	.text._ZN7rocprim17ROCPRIM_400000_NS6detail17trampoline_kernelINS0_14default_configENS1_35radix_sort_onesweep_config_selectorIfNS0_10empty_typeEEEZZNS1_29radix_sort_onesweep_iterationIS3_Lb1EPKfPfPS5_SB_mNS0_19identity_decomposerENS1_16block_id_wrapperIjLb0EEEEE10hipError_tT1_PNSt15iterator_traitsISG_E10value_typeET2_T3_PNSH_ISM_E10value_typeET4_T5_PSR_SS_PNS1_23onesweep_lookback_stateEbbT6_jjT7_P12ihipStream_tbENKUlT_T0_SG_SL_E_clIS9_SA_SB_SB_EEDaSZ_S10_SG_SL_EUlSZ_E_NS1_11comp_targetILNS1_3genE2ELNS1_11target_archE906ELNS1_3gpuE6ELNS1_3repE0EEENS1_47radix_sort_onesweep_sort_config_static_selectorELNS0_4arch9wavefront6targetE0EEEvSG_,"axG",@progbits,_ZN7rocprim17ROCPRIM_400000_NS6detail17trampoline_kernelINS0_14default_configENS1_35radix_sort_onesweep_config_selectorIfNS0_10empty_typeEEEZZNS1_29radix_sort_onesweep_iterationIS3_Lb1EPKfPfPS5_SB_mNS0_19identity_decomposerENS1_16block_id_wrapperIjLb0EEEEE10hipError_tT1_PNSt15iterator_traitsISG_E10value_typeET2_T3_PNSH_ISM_E10value_typeET4_T5_PSR_SS_PNS1_23onesweep_lookback_stateEbbT6_jjT7_P12ihipStream_tbENKUlT_T0_SG_SL_E_clIS9_SA_SB_SB_EEDaSZ_S10_SG_SL_EUlSZ_E_NS1_11comp_targetILNS1_3genE2ELNS1_11target_archE906ELNS1_3gpuE6ELNS1_3repE0EEENS1_47radix_sort_onesweep_sort_config_static_selectorELNS0_4arch9wavefront6targetE0EEEvSG_,comdat
	.protected	_ZN7rocprim17ROCPRIM_400000_NS6detail17trampoline_kernelINS0_14default_configENS1_35radix_sort_onesweep_config_selectorIfNS0_10empty_typeEEEZZNS1_29radix_sort_onesweep_iterationIS3_Lb1EPKfPfPS5_SB_mNS0_19identity_decomposerENS1_16block_id_wrapperIjLb0EEEEE10hipError_tT1_PNSt15iterator_traitsISG_E10value_typeET2_T3_PNSH_ISM_E10value_typeET4_T5_PSR_SS_PNS1_23onesweep_lookback_stateEbbT6_jjT7_P12ihipStream_tbENKUlT_T0_SG_SL_E_clIS9_SA_SB_SB_EEDaSZ_S10_SG_SL_EUlSZ_E_NS1_11comp_targetILNS1_3genE2ELNS1_11target_archE906ELNS1_3gpuE6ELNS1_3repE0EEENS1_47radix_sort_onesweep_sort_config_static_selectorELNS0_4arch9wavefront6targetE0EEEvSG_ ; -- Begin function _ZN7rocprim17ROCPRIM_400000_NS6detail17trampoline_kernelINS0_14default_configENS1_35radix_sort_onesweep_config_selectorIfNS0_10empty_typeEEEZZNS1_29radix_sort_onesweep_iterationIS3_Lb1EPKfPfPS5_SB_mNS0_19identity_decomposerENS1_16block_id_wrapperIjLb0EEEEE10hipError_tT1_PNSt15iterator_traitsISG_E10value_typeET2_T3_PNSH_ISM_E10value_typeET4_T5_PSR_SS_PNS1_23onesweep_lookback_stateEbbT6_jjT7_P12ihipStream_tbENKUlT_T0_SG_SL_E_clIS9_SA_SB_SB_EEDaSZ_S10_SG_SL_EUlSZ_E_NS1_11comp_targetILNS1_3genE2ELNS1_11target_archE906ELNS1_3gpuE6ELNS1_3repE0EEENS1_47radix_sort_onesweep_sort_config_static_selectorELNS0_4arch9wavefront6targetE0EEEvSG_
	.globl	_ZN7rocprim17ROCPRIM_400000_NS6detail17trampoline_kernelINS0_14default_configENS1_35radix_sort_onesweep_config_selectorIfNS0_10empty_typeEEEZZNS1_29radix_sort_onesweep_iterationIS3_Lb1EPKfPfPS5_SB_mNS0_19identity_decomposerENS1_16block_id_wrapperIjLb0EEEEE10hipError_tT1_PNSt15iterator_traitsISG_E10value_typeET2_T3_PNSH_ISM_E10value_typeET4_T5_PSR_SS_PNS1_23onesweep_lookback_stateEbbT6_jjT7_P12ihipStream_tbENKUlT_T0_SG_SL_E_clIS9_SA_SB_SB_EEDaSZ_S10_SG_SL_EUlSZ_E_NS1_11comp_targetILNS1_3genE2ELNS1_11target_archE906ELNS1_3gpuE6ELNS1_3repE0EEENS1_47radix_sort_onesweep_sort_config_static_selectorELNS0_4arch9wavefront6targetE0EEEvSG_
	.p2align	8
	.type	_ZN7rocprim17ROCPRIM_400000_NS6detail17trampoline_kernelINS0_14default_configENS1_35radix_sort_onesweep_config_selectorIfNS0_10empty_typeEEEZZNS1_29radix_sort_onesweep_iterationIS3_Lb1EPKfPfPS5_SB_mNS0_19identity_decomposerENS1_16block_id_wrapperIjLb0EEEEE10hipError_tT1_PNSt15iterator_traitsISG_E10value_typeET2_T3_PNSH_ISM_E10value_typeET4_T5_PSR_SS_PNS1_23onesweep_lookback_stateEbbT6_jjT7_P12ihipStream_tbENKUlT_T0_SG_SL_E_clIS9_SA_SB_SB_EEDaSZ_S10_SG_SL_EUlSZ_E_NS1_11comp_targetILNS1_3genE2ELNS1_11target_archE906ELNS1_3gpuE6ELNS1_3repE0EEENS1_47radix_sort_onesweep_sort_config_static_selectorELNS0_4arch9wavefront6targetE0EEEvSG_,@function
_ZN7rocprim17ROCPRIM_400000_NS6detail17trampoline_kernelINS0_14default_configENS1_35radix_sort_onesweep_config_selectorIfNS0_10empty_typeEEEZZNS1_29radix_sort_onesweep_iterationIS3_Lb1EPKfPfPS5_SB_mNS0_19identity_decomposerENS1_16block_id_wrapperIjLb0EEEEE10hipError_tT1_PNSt15iterator_traitsISG_E10value_typeET2_T3_PNSH_ISM_E10value_typeET4_T5_PSR_SS_PNS1_23onesweep_lookback_stateEbbT6_jjT7_P12ihipStream_tbENKUlT_T0_SG_SL_E_clIS9_SA_SB_SB_EEDaSZ_S10_SG_SL_EUlSZ_E_NS1_11comp_targetILNS1_3genE2ELNS1_11target_archE906ELNS1_3gpuE6ELNS1_3repE0EEENS1_47radix_sort_onesweep_sort_config_static_selectorELNS0_4arch9wavefront6targetE0EEEvSG_: ; @_ZN7rocprim17ROCPRIM_400000_NS6detail17trampoline_kernelINS0_14default_configENS1_35radix_sort_onesweep_config_selectorIfNS0_10empty_typeEEEZZNS1_29radix_sort_onesweep_iterationIS3_Lb1EPKfPfPS5_SB_mNS0_19identity_decomposerENS1_16block_id_wrapperIjLb0EEEEE10hipError_tT1_PNSt15iterator_traitsISG_E10value_typeET2_T3_PNSH_ISM_E10value_typeET4_T5_PSR_SS_PNS1_23onesweep_lookback_stateEbbT6_jjT7_P12ihipStream_tbENKUlT_T0_SG_SL_E_clIS9_SA_SB_SB_EEDaSZ_S10_SG_SL_EUlSZ_E_NS1_11comp_targetILNS1_3genE2ELNS1_11target_archE906ELNS1_3gpuE6ELNS1_3repE0EEENS1_47radix_sort_onesweep_sort_config_static_selectorELNS0_4arch9wavefront6targetE0EEEvSG_
; %bb.0:
	.section	.rodata,"a",@progbits
	.p2align	6, 0x0
	.amdhsa_kernel _ZN7rocprim17ROCPRIM_400000_NS6detail17trampoline_kernelINS0_14default_configENS1_35radix_sort_onesweep_config_selectorIfNS0_10empty_typeEEEZZNS1_29radix_sort_onesweep_iterationIS3_Lb1EPKfPfPS5_SB_mNS0_19identity_decomposerENS1_16block_id_wrapperIjLb0EEEEE10hipError_tT1_PNSt15iterator_traitsISG_E10value_typeET2_T3_PNSH_ISM_E10value_typeET4_T5_PSR_SS_PNS1_23onesweep_lookback_stateEbbT6_jjT7_P12ihipStream_tbENKUlT_T0_SG_SL_E_clIS9_SA_SB_SB_EEDaSZ_S10_SG_SL_EUlSZ_E_NS1_11comp_targetILNS1_3genE2ELNS1_11target_archE906ELNS1_3gpuE6ELNS1_3repE0EEENS1_47radix_sort_onesweep_sort_config_static_selectorELNS0_4arch9wavefront6targetE0EEEvSG_
		.amdhsa_group_segment_fixed_size 0
		.amdhsa_private_segment_fixed_size 0
		.amdhsa_kernarg_size 88
		.amdhsa_user_sgpr_count 2
		.amdhsa_user_sgpr_dispatch_ptr 0
		.amdhsa_user_sgpr_queue_ptr 0
		.amdhsa_user_sgpr_kernarg_segment_ptr 1
		.amdhsa_user_sgpr_dispatch_id 0
		.amdhsa_user_sgpr_kernarg_preload_length 0
		.amdhsa_user_sgpr_kernarg_preload_offset 0
		.amdhsa_user_sgpr_private_segment_size 0
		.amdhsa_wavefront_size32 1
		.amdhsa_uses_dynamic_stack 0
		.amdhsa_enable_private_segment 0
		.amdhsa_system_sgpr_workgroup_id_x 1
		.amdhsa_system_sgpr_workgroup_id_y 0
		.amdhsa_system_sgpr_workgroup_id_z 0
		.amdhsa_system_sgpr_workgroup_info 0
		.amdhsa_system_vgpr_workitem_id 0
		.amdhsa_next_free_vgpr 1
		.amdhsa_next_free_sgpr 1
		.amdhsa_named_barrier_count 0
		.amdhsa_reserve_vcc 0
		.amdhsa_float_round_mode_32 0
		.amdhsa_float_round_mode_16_64 0
		.amdhsa_float_denorm_mode_32 3
		.amdhsa_float_denorm_mode_16_64 3
		.amdhsa_fp16_overflow 0
		.amdhsa_memory_ordered 1
		.amdhsa_forward_progress 1
		.amdhsa_inst_pref_size 0
		.amdhsa_round_robin_scheduling 0
		.amdhsa_exception_fp_ieee_invalid_op 0
		.amdhsa_exception_fp_denorm_src 0
		.amdhsa_exception_fp_ieee_div_zero 0
		.amdhsa_exception_fp_ieee_overflow 0
		.amdhsa_exception_fp_ieee_underflow 0
		.amdhsa_exception_fp_ieee_inexact 0
		.amdhsa_exception_int_div_zero 0
	.end_amdhsa_kernel
	.section	.text._ZN7rocprim17ROCPRIM_400000_NS6detail17trampoline_kernelINS0_14default_configENS1_35radix_sort_onesweep_config_selectorIfNS0_10empty_typeEEEZZNS1_29radix_sort_onesweep_iterationIS3_Lb1EPKfPfPS5_SB_mNS0_19identity_decomposerENS1_16block_id_wrapperIjLb0EEEEE10hipError_tT1_PNSt15iterator_traitsISG_E10value_typeET2_T3_PNSH_ISM_E10value_typeET4_T5_PSR_SS_PNS1_23onesweep_lookback_stateEbbT6_jjT7_P12ihipStream_tbENKUlT_T0_SG_SL_E_clIS9_SA_SB_SB_EEDaSZ_S10_SG_SL_EUlSZ_E_NS1_11comp_targetILNS1_3genE2ELNS1_11target_archE906ELNS1_3gpuE6ELNS1_3repE0EEENS1_47radix_sort_onesweep_sort_config_static_selectorELNS0_4arch9wavefront6targetE0EEEvSG_,"axG",@progbits,_ZN7rocprim17ROCPRIM_400000_NS6detail17trampoline_kernelINS0_14default_configENS1_35radix_sort_onesweep_config_selectorIfNS0_10empty_typeEEEZZNS1_29radix_sort_onesweep_iterationIS3_Lb1EPKfPfPS5_SB_mNS0_19identity_decomposerENS1_16block_id_wrapperIjLb0EEEEE10hipError_tT1_PNSt15iterator_traitsISG_E10value_typeET2_T3_PNSH_ISM_E10value_typeET4_T5_PSR_SS_PNS1_23onesweep_lookback_stateEbbT6_jjT7_P12ihipStream_tbENKUlT_T0_SG_SL_E_clIS9_SA_SB_SB_EEDaSZ_S10_SG_SL_EUlSZ_E_NS1_11comp_targetILNS1_3genE2ELNS1_11target_archE906ELNS1_3gpuE6ELNS1_3repE0EEENS1_47radix_sort_onesweep_sort_config_static_selectorELNS0_4arch9wavefront6targetE0EEEvSG_,comdat
.Lfunc_end1340:
	.size	_ZN7rocprim17ROCPRIM_400000_NS6detail17trampoline_kernelINS0_14default_configENS1_35radix_sort_onesweep_config_selectorIfNS0_10empty_typeEEEZZNS1_29radix_sort_onesweep_iterationIS3_Lb1EPKfPfPS5_SB_mNS0_19identity_decomposerENS1_16block_id_wrapperIjLb0EEEEE10hipError_tT1_PNSt15iterator_traitsISG_E10value_typeET2_T3_PNSH_ISM_E10value_typeET4_T5_PSR_SS_PNS1_23onesweep_lookback_stateEbbT6_jjT7_P12ihipStream_tbENKUlT_T0_SG_SL_E_clIS9_SA_SB_SB_EEDaSZ_S10_SG_SL_EUlSZ_E_NS1_11comp_targetILNS1_3genE2ELNS1_11target_archE906ELNS1_3gpuE6ELNS1_3repE0EEENS1_47radix_sort_onesweep_sort_config_static_selectorELNS0_4arch9wavefront6targetE0EEEvSG_, .Lfunc_end1340-_ZN7rocprim17ROCPRIM_400000_NS6detail17trampoline_kernelINS0_14default_configENS1_35radix_sort_onesweep_config_selectorIfNS0_10empty_typeEEEZZNS1_29radix_sort_onesweep_iterationIS3_Lb1EPKfPfPS5_SB_mNS0_19identity_decomposerENS1_16block_id_wrapperIjLb0EEEEE10hipError_tT1_PNSt15iterator_traitsISG_E10value_typeET2_T3_PNSH_ISM_E10value_typeET4_T5_PSR_SS_PNS1_23onesweep_lookback_stateEbbT6_jjT7_P12ihipStream_tbENKUlT_T0_SG_SL_E_clIS9_SA_SB_SB_EEDaSZ_S10_SG_SL_EUlSZ_E_NS1_11comp_targetILNS1_3genE2ELNS1_11target_archE906ELNS1_3gpuE6ELNS1_3repE0EEENS1_47radix_sort_onesweep_sort_config_static_selectorELNS0_4arch9wavefront6targetE0EEEvSG_
                                        ; -- End function
	.set _ZN7rocprim17ROCPRIM_400000_NS6detail17trampoline_kernelINS0_14default_configENS1_35radix_sort_onesweep_config_selectorIfNS0_10empty_typeEEEZZNS1_29radix_sort_onesweep_iterationIS3_Lb1EPKfPfPS5_SB_mNS0_19identity_decomposerENS1_16block_id_wrapperIjLb0EEEEE10hipError_tT1_PNSt15iterator_traitsISG_E10value_typeET2_T3_PNSH_ISM_E10value_typeET4_T5_PSR_SS_PNS1_23onesweep_lookback_stateEbbT6_jjT7_P12ihipStream_tbENKUlT_T0_SG_SL_E_clIS9_SA_SB_SB_EEDaSZ_S10_SG_SL_EUlSZ_E_NS1_11comp_targetILNS1_3genE2ELNS1_11target_archE906ELNS1_3gpuE6ELNS1_3repE0EEENS1_47radix_sort_onesweep_sort_config_static_selectorELNS0_4arch9wavefront6targetE0EEEvSG_.num_vgpr, 0
	.set _ZN7rocprim17ROCPRIM_400000_NS6detail17trampoline_kernelINS0_14default_configENS1_35radix_sort_onesweep_config_selectorIfNS0_10empty_typeEEEZZNS1_29radix_sort_onesweep_iterationIS3_Lb1EPKfPfPS5_SB_mNS0_19identity_decomposerENS1_16block_id_wrapperIjLb0EEEEE10hipError_tT1_PNSt15iterator_traitsISG_E10value_typeET2_T3_PNSH_ISM_E10value_typeET4_T5_PSR_SS_PNS1_23onesweep_lookback_stateEbbT6_jjT7_P12ihipStream_tbENKUlT_T0_SG_SL_E_clIS9_SA_SB_SB_EEDaSZ_S10_SG_SL_EUlSZ_E_NS1_11comp_targetILNS1_3genE2ELNS1_11target_archE906ELNS1_3gpuE6ELNS1_3repE0EEENS1_47radix_sort_onesweep_sort_config_static_selectorELNS0_4arch9wavefront6targetE0EEEvSG_.num_agpr, 0
	.set _ZN7rocprim17ROCPRIM_400000_NS6detail17trampoline_kernelINS0_14default_configENS1_35radix_sort_onesweep_config_selectorIfNS0_10empty_typeEEEZZNS1_29radix_sort_onesweep_iterationIS3_Lb1EPKfPfPS5_SB_mNS0_19identity_decomposerENS1_16block_id_wrapperIjLb0EEEEE10hipError_tT1_PNSt15iterator_traitsISG_E10value_typeET2_T3_PNSH_ISM_E10value_typeET4_T5_PSR_SS_PNS1_23onesweep_lookback_stateEbbT6_jjT7_P12ihipStream_tbENKUlT_T0_SG_SL_E_clIS9_SA_SB_SB_EEDaSZ_S10_SG_SL_EUlSZ_E_NS1_11comp_targetILNS1_3genE2ELNS1_11target_archE906ELNS1_3gpuE6ELNS1_3repE0EEENS1_47radix_sort_onesweep_sort_config_static_selectorELNS0_4arch9wavefront6targetE0EEEvSG_.numbered_sgpr, 0
	.set _ZN7rocprim17ROCPRIM_400000_NS6detail17trampoline_kernelINS0_14default_configENS1_35radix_sort_onesweep_config_selectorIfNS0_10empty_typeEEEZZNS1_29radix_sort_onesweep_iterationIS3_Lb1EPKfPfPS5_SB_mNS0_19identity_decomposerENS1_16block_id_wrapperIjLb0EEEEE10hipError_tT1_PNSt15iterator_traitsISG_E10value_typeET2_T3_PNSH_ISM_E10value_typeET4_T5_PSR_SS_PNS1_23onesweep_lookback_stateEbbT6_jjT7_P12ihipStream_tbENKUlT_T0_SG_SL_E_clIS9_SA_SB_SB_EEDaSZ_S10_SG_SL_EUlSZ_E_NS1_11comp_targetILNS1_3genE2ELNS1_11target_archE906ELNS1_3gpuE6ELNS1_3repE0EEENS1_47radix_sort_onesweep_sort_config_static_selectorELNS0_4arch9wavefront6targetE0EEEvSG_.num_named_barrier, 0
	.set _ZN7rocprim17ROCPRIM_400000_NS6detail17trampoline_kernelINS0_14default_configENS1_35radix_sort_onesweep_config_selectorIfNS0_10empty_typeEEEZZNS1_29radix_sort_onesweep_iterationIS3_Lb1EPKfPfPS5_SB_mNS0_19identity_decomposerENS1_16block_id_wrapperIjLb0EEEEE10hipError_tT1_PNSt15iterator_traitsISG_E10value_typeET2_T3_PNSH_ISM_E10value_typeET4_T5_PSR_SS_PNS1_23onesweep_lookback_stateEbbT6_jjT7_P12ihipStream_tbENKUlT_T0_SG_SL_E_clIS9_SA_SB_SB_EEDaSZ_S10_SG_SL_EUlSZ_E_NS1_11comp_targetILNS1_3genE2ELNS1_11target_archE906ELNS1_3gpuE6ELNS1_3repE0EEENS1_47radix_sort_onesweep_sort_config_static_selectorELNS0_4arch9wavefront6targetE0EEEvSG_.private_seg_size, 0
	.set _ZN7rocprim17ROCPRIM_400000_NS6detail17trampoline_kernelINS0_14default_configENS1_35radix_sort_onesweep_config_selectorIfNS0_10empty_typeEEEZZNS1_29radix_sort_onesweep_iterationIS3_Lb1EPKfPfPS5_SB_mNS0_19identity_decomposerENS1_16block_id_wrapperIjLb0EEEEE10hipError_tT1_PNSt15iterator_traitsISG_E10value_typeET2_T3_PNSH_ISM_E10value_typeET4_T5_PSR_SS_PNS1_23onesweep_lookback_stateEbbT6_jjT7_P12ihipStream_tbENKUlT_T0_SG_SL_E_clIS9_SA_SB_SB_EEDaSZ_S10_SG_SL_EUlSZ_E_NS1_11comp_targetILNS1_3genE2ELNS1_11target_archE906ELNS1_3gpuE6ELNS1_3repE0EEENS1_47radix_sort_onesweep_sort_config_static_selectorELNS0_4arch9wavefront6targetE0EEEvSG_.uses_vcc, 0
	.set _ZN7rocprim17ROCPRIM_400000_NS6detail17trampoline_kernelINS0_14default_configENS1_35radix_sort_onesweep_config_selectorIfNS0_10empty_typeEEEZZNS1_29radix_sort_onesweep_iterationIS3_Lb1EPKfPfPS5_SB_mNS0_19identity_decomposerENS1_16block_id_wrapperIjLb0EEEEE10hipError_tT1_PNSt15iterator_traitsISG_E10value_typeET2_T3_PNSH_ISM_E10value_typeET4_T5_PSR_SS_PNS1_23onesweep_lookback_stateEbbT6_jjT7_P12ihipStream_tbENKUlT_T0_SG_SL_E_clIS9_SA_SB_SB_EEDaSZ_S10_SG_SL_EUlSZ_E_NS1_11comp_targetILNS1_3genE2ELNS1_11target_archE906ELNS1_3gpuE6ELNS1_3repE0EEENS1_47radix_sort_onesweep_sort_config_static_selectorELNS0_4arch9wavefront6targetE0EEEvSG_.uses_flat_scratch, 0
	.set _ZN7rocprim17ROCPRIM_400000_NS6detail17trampoline_kernelINS0_14default_configENS1_35radix_sort_onesweep_config_selectorIfNS0_10empty_typeEEEZZNS1_29radix_sort_onesweep_iterationIS3_Lb1EPKfPfPS5_SB_mNS0_19identity_decomposerENS1_16block_id_wrapperIjLb0EEEEE10hipError_tT1_PNSt15iterator_traitsISG_E10value_typeET2_T3_PNSH_ISM_E10value_typeET4_T5_PSR_SS_PNS1_23onesweep_lookback_stateEbbT6_jjT7_P12ihipStream_tbENKUlT_T0_SG_SL_E_clIS9_SA_SB_SB_EEDaSZ_S10_SG_SL_EUlSZ_E_NS1_11comp_targetILNS1_3genE2ELNS1_11target_archE906ELNS1_3gpuE6ELNS1_3repE0EEENS1_47radix_sort_onesweep_sort_config_static_selectorELNS0_4arch9wavefront6targetE0EEEvSG_.has_dyn_sized_stack, 0
	.set _ZN7rocprim17ROCPRIM_400000_NS6detail17trampoline_kernelINS0_14default_configENS1_35radix_sort_onesweep_config_selectorIfNS0_10empty_typeEEEZZNS1_29radix_sort_onesweep_iterationIS3_Lb1EPKfPfPS5_SB_mNS0_19identity_decomposerENS1_16block_id_wrapperIjLb0EEEEE10hipError_tT1_PNSt15iterator_traitsISG_E10value_typeET2_T3_PNSH_ISM_E10value_typeET4_T5_PSR_SS_PNS1_23onesweep_lookback_stateEbbT6_jjT7_P12ihipStream_tbENKUlT_T0_SG_SL_E_clIS9_SA_SB_SB_EEDaSZ_S10_SG_SL_EUlSZ_E_NS1_11comp_targetILNS1_3genE2ELNS1_11target_archE906ELNS1_3gpuE6ELNS1_3repE0EEENS1_47radix_sort_onesweep_sort_config_static_selectorELNS0_4arch9wavefront6targetE0EEEvSG_.has_recursion, 0
	.set _ZN7rocprim17ROCPRIM_400000_NS6detail17trampoline_kernelINS0_14default_configENS1_35radix_sort_onesweep_config_selectorIfNS0_10empty_typeEEEZZNS1_29radix_sort_onesweep_iterationIS3_Lb1EPKfPfPS5_SB_mNS0_19identity_decomposerENS1_16block_id_wrapperIjLb0EEEEE10hipError_tT1_PNSt15iterator_traitsISG_E10value_typeET2_T3_PNSH_ISM_E10value_typeET4_T5_PSR_SS_PNS1_23onesweep_lookback_stateEbbT6_jjT7_P12ihipStream_tbENKUlT_T0_SG_SL_E_clIS9_SA_SB_SB_EEDaSZ_S10_SG_SL_EUlSZ_E_NS1_11comp_targetILNS1_3genE2ELNS1_11target_archE906ELNS1_3gpuE6ELNS1_3repE0EEENS1_47radix_sort_onesweep_sort_config_static_selectorELNS0_4arch9wavefront6targetE0EEEvSG_.has_indirect_call, 0
	.section	.AMDGPU.csdata,"",@progbits
; Kernel info:
; codeLenInByte = 0
; TotalNumSgprs: 0
; NumVgprs: 0
; ScratchSize: 0
; MemoryBound: 0
; FloatMode: 240
; IeeeMode: 1
; LDSByteSize: 0 bytes/workgroup (compile time only)
; SGPRBlocks: 0
; VGPRBlocks: 0
; NumSGPRsForWavesPerEU: 1
; NumVGPRsForWavesPerEU: 1
; NamedBarCnt: 0
; Occupancy: 16
; WaveLimiterHint : 0
; COMPUTE_PGM_RSRC2:SCRATCH_EN: 0
; COMPUTE_PGM_RSRC2:USER_SGPR: 2
; COMPUTE_PGM_RSRC2:TRAP_HANDLER: 0
; COMPUTE_PGM_RSRC2:TGID_X_EN: 1
; COMPUTE_PGM_RSRC2:TGID_Y_EN: 0
; COMPUTE_PGM_RSRC2:TGID_Z_EN: 0
; COMPUTE_PGM_RSRC2:TIDIG_COMP_CNT: 0
	.section	.text._ZN7rocprim17ROCPRIM_400000_NS6detail17trampoline_kernelINS0_14default_configENS1_35radix_sort_onesweep_config_selectorIfNS0_10empty_typeEEEZZNS1_29radix_sort_onesweep_iterationIS3_Lb1EPKfPfPS5_SB_mNS0_19identity_decomposerENS1_16block_id_wrapperIjLb0EEEEE10hipError_tT1_PNSt15iterator_traitsISG_E10value_typeET2_T3_PNSH_ISM_E10value_typeET4_T5_PSR_SS_PNS1_23onesweep_lookback_stateEbbT6_jjT7_P12ihipStream_tbENKUlT_T0_SG_SL_E_clIS9_SA_SB_SB_EEDaSZ_S10_SG_SL_EUlSZ_E_NS1_11comp_targetILNS1_3genE4ELNS1_11target_archE910ELNS1_3gpuE8ELNS1_3repE0EEENS1_47radix_sort_onesweep_sort_config_static_selectorELNS0_4arch9wavefront6targetE0EEEvSG_,"axG",@progbits,_ZN7rocprim17ROCPRIM_400000_NS6detail17trampoline_kernelINS0_14default_configENS1_35radix_sort_onesweep_config_selectorIfNS0_10empty_typeEEEZZNS1_29radix_sort_onesweep_iterationIS3_Lb1EPKfPfPS5_SB_mNS0_19identity_decomposerENS1_16block_id_wrapperIjLb0EEEEE10hipError_tT1_PNSt15iterator_traitsISG_E10value_typeET2_T3_PNSH_ISM_E10value_typeET4_T5_PSR_SS_PNS1_23onesweep_lookback_stateEbbT6_jjT7_P12ihipStream_tbENKUlT_T0_SG_SL_E_clIS9_SA_SB_SB_EEDaSZ_S10_SG_SL_EUlSZ_E_NS1_11comp_targetILNS1_3genE4ELNS1_11target_archE910ELNS1_3gpuE8ELNS1_3repE0EEENS1_47radix_sort_onesweep_sort_config_static_selectorELNS0_4arch9wavefront6targetE0EEEvSG_,comdat
	.protected	_ZN7rocprim17ROCPRIM_400000_NS6detail17trampoline_kernelINS0_14default_configENS1_35radix_sort_onesweep_config_selectorIfNS0_10empty_typeEEEZZNS1_29radix_sort_onesweep_iterationIS3_Lb1EPKfPfPS5_SB_mNS0_19identity_decomposerENS1_16block_id_wrapperIjLb0EEEEE10hipError_tT1_PNSt15iterator_traitsISG_E10value_typeET2_T3_PNSH_ISM_E10value_typeET4_T5_PSR_SS_PNS1_23onesweep_lookback_stateEbbT6_jjT7_P12ihipStream_tbENKUlT_T0_SG_SL_E_clIS9_SA_SB_SB_EEDaSZ_S10_SG_SL_EUlSZ_E_NS1_11comp_targetILNS1_3genE4ELNS1_11target_archE910ELNS1_3gpuE8ELNS1_3repE0EEENS1_47radix_sort_onesweep_sort_config_static_selectorELNS0_4arch9wavefront6targetE0EEEvSG_ ; -- Begin function _ZN7rocprim17ROCPRIM_400000_NS6detail17trampoline_kernelINS0_14default_configENS1_35radix_sort_onesweep_config_selectorIfNS0_10empty_typeEEEZZNS1_29radix_sort_onesweep_iterationIS3_Lb1EPKfPfPS5_SB_mNS0_19identity_decomposerENS1_16block_id_wrapperIjLb0EEEEE10hipError_tT1_PNSt15iterator_traitsISG_E10value_typeET2_T3_PNSH_ISM_E10value_typeET4_T5_PSR_SS_PNS1_23onesweep_lookback_stateEbbT6_jjT7_P12ihipStream_tbENKUlT_T0_SG_SL_E_clIS9_SA_SB_SB_EEDaSZ_S10_SG_SL_EUlSZ_E_NS1_11comp_targetILNS1_3genE4ELNS1_11target_archE910ELNS1_3gpuE8ELNS1_3repE0EEENS1_47radix_sort_onesweep_sort_config_static_selectorELNS0_4arch9wavefront6targetE0EEEvSG_
	.globl	_ZN7rocprim17ROCPRIM_400000_NS6detail17trampoline_kernelINS0_14default_configENS1_35radix_sort_onesweep_config_selectorIfNS0_10empty_typeEEEZZNS1_29radix_sort_onesweep_iterationIS3_Lb1EPKfPfPS5_SB_mNS0_19identity_decomposerENS1_16block_id_wrapperIjLb0EEEEE10hipError_tT1_PNSt15iterator_traitsISG_E10value_typeET2_T3_PNSH_ISM_E10value_typeET4_T5_PSR_SS_PNS1_23onesweep_lookback_stateEbbT6_jjT7_P12ihipStream_tbENKUlT_T0_SG_SL_E_clIS9_SA_SB_SB_EEDaSZ_S10_SG_SL_EUlSZ_E_NS1_11comp_targetILNS1_3genE4ELNS1_11target_archE910ELNS1_3gpuE8ELNS1_3repE0EEENS1_47radix_sort_onesweep_sort_config_static_selectorELNS0_4arch9wavefront6targetE0EEEvSG_
	.p2align	8
	.type	_ZN7rocprim17ROCPRIM_400000_NS6detail17trampoline_kernelINS0_14default_configENS1_35radix_sort_onesweep_config_selectorIfNS0_10empty_typeEEEZZNS1_29radix_sort_onesweep_iterationIS3_Lb1EPKfPfPS5_SB_mNS0_19identity_decomposerENS1_16block_id_wrapperIjLb0EEEEE10hipError_tT1_PNSt15iterator_traitsISG_E10value_typeET2_T3_PNSH_ISM_E10value_typeET4_T5_PSR_SS_PNS1_23onesweep_lookback_stateEbbT6_jjT7_P12ihipStream_tbENKUlT_T0_SG_SL_E_clIS9_SA_SB_SB_EEDaSZ_S10_SG_SL_EUlSZ_E_NS1_11comp_targetILNS1_3genE4ELNS1_11target_archE910ELNS1_3gpuE8ELNS1_3repE0EEENS1_47radix_sort_onesweep_sort_config_static_selectorELNS0_4arch9wavefront6targetE0EEEvSG_,@function
_ZN7rocprim17ROCPRIM_400000_NS6detail17trampoline_kernelINS0_14default_configENS1_35radix_sort_onesweep_config_selectorIfNS0_10empty_typeEEEZZNS1_29radix_sort_onesweep_iterationIS3_Lb1EPKfPfPS5_SB_mNS0_19identity_decomposerENS1_16block_id_wrapperIjLb0EEEEE10hipError_tT1_PNSt15iterator_traitsISG_E10value_typeET2_T3_PNSH_ISM_E10value_typeET4_T5_PSR_SS_PNS1_23onesweep_lookback_stateEbbT6_jjT7_P12ihipStream_tbENKUlT_T0_SG_SL_E_clIS9_SA_SB_SB_EEDaSZ_S10_SG_SL_EUlSZ_E_NS1_11comp_targetILNS1_3genE4ELNS1_11target_archE910ELNS1_3gpuE8ELNS1_3repE0EEENS1_47radix_sort_onesweep_sort_config_static_selectorELNS0_4arch9wavefront6targetE0EEEvSG_: ; @_ZN7rocprim17ROCPRIM_400000_NS6detail17trampoline_kernelINS0_14default_configENS1_35radix_sort_onesweep_config_selectorIfNS0_10empty_typeEEEZZNS1_29radix_sort_onesweep_iterationIS3_Lb1EPKfPfPS5_SB_mNS0_19identity_decomposerENS1_16block_id_wrapperIjLb0EEEEE10hipError_tT1_PNSt15iterator_traitsISG_E10value_typeET2_T3_PNSH_ISM_E10value_typeET4_T5_PSR_SS_PNS1_23onesweep_lookback_stateEbbT6_jjT7_P12ihipStream_tbENKUlT_T0_SG_SL_E_clIS9_SA_SB_SB_EEDaSZ_S10_SG_SL_EUlSZ_E_NS1_11comp_targetILNS1_3genE4ELNS1_11target_archE910ELNS1_3gpuE8ELNS1_3repE0EEENS1_47radix_sort_onesweep_sort_config_static_selectorELNS0_4arch9wavefront6targetE0EEEvSG_
; %bb.0:
	.section	.rodata,"a",@progbits
	.p2align	6, 0x0
	.amdhsa_kernel _ZN7rocprim17ROCPRIM_400000_NS6detail17trampoline_kernelINS0_14default_configENS1_35radix_sort_onesweep_config_selectorIfNS0_10empty_typeEEEZZNS1_29radix_sort_onesweep_iterationIS3_Lb1EPKfPfPS5_SB_mNS0_19identity_decomposerENS1_16block_id_wrapperIjLb0EEEEE10hipError_tT1_PNSt15iterator_traitsISG_E10value_typeET2_T3_PNSH_ISM_E10value_typeET4_T5_PSR_SS_PNS1_23onesweep_lookback_stateEbbT6_jjT7_P12ihipStream_tbENKUlT_T0_SG_SL_E_clIS9_SA_SB_SB_EEDaSZ_S10_SG_SL_EUlSZ_E_NS1_11comp_targetILNS1_3genE4ELNS1_11target_archE910ELNS1_3gpuE8ELNS1_3repE0EEENS1_47radix_sort_onesweep_sort_config_static_selectorELNS0_4arch9wavefront6targetE0EEEvSG_
		.amdhsa_group_segment_fixed_size 0
		.amdhsa_private_segment_fixed_size 0
		.amdhsa_kernarg_size 88
		.amdhsa_user_sgpr_count 2
		.amdhsa_user_sgpr_dispatch_ptr 0
		.amdhsa_user_sgpr_queue_ptr 0
		.amdhsa_user_sgpr_kernarg_segment_ptr 1
		.amdhsa_user_sgpr_dispatch_id 0
		.amdhsa_user_sgpr_kernarg_preload_length 0
		.amdhsa_user_sgpr_kernarg_preload_offset 0
		.amdhsa_user_sgpr_private_segment_size 0
		.amdhsa_wavefront_size32 1
		.amdhsa_uses_dynamic_stack 0
		.amdhsa_enable_private_segment 0
		.amdhsa_system_sgpr_workgroup_id_x 1
		.amdhsa_system_sgpr_workgroup_id_y 0
		.amdhsa_system_sgpr_workgroup_id_z 0
		.amdhsa_system_sgpr_workgroup_info 0
		.amdhsa_system_vgpr_workitem_id 0
		.amdhsa_next_free_vgpr 1
		.amdhsa_next_free_sgpr 1
		.amdhsa_named_barrier_count 0
		.amdhsa_reserve_vcc 0
		.amdhsa_float_round_mode_32 0
		.amdhsa_float_round_mode_16_64 0
		.amdhsa_float_denorm_mode_32 3
		.amdhsa_float_denorm_mode_16_64 3
		.amdhsa_fp16_overflow 0
		.amdhsa_memory_ordered 1
		.amdhsa_forward_progress 1
		.amdhsa_inst_pref_size 0
		.amdhsa_round_robin_scheduling 0
		.amdhsa_exception_fp_ieee_invalid_op 0
		.amdhsa_exception_fp_denorm_src 0
		.amdhsa_exception_fp_ieee_div_zero 0
		.amdhsa_exception_fp_ieee_overflow 0
		.amdhsa_exception_fp_ieee_underflow 0
		.amdhsa_exception_fp_ieee_inexact 0
		.amdhsa_exception_int_div_zero 0
	.end_amdhsa_kernel
	.section	.text._ZN7rocprim17ROCPRIM_400000_NS6detail17trampoline_kernelINS0_14default_configENS1_35radix_sort_onesweep_config_selectorIfNS0_10empty_typeEEEZZNS1_29radix_sort_onesweep_iterationIS3_Lb1EPKfPfPS5_SB_mNS0_19identity_decomposerENS1_16block_id_wrapperIjLb0EEEEE10hipError_tT1_PNSt15iterator_traitsISG_E10value_typeET2_T3_PNSH_ISM_E10value_typeET4_T5_PSR_SS_PNS1_23onesweep_lookback_stateEbbT6_jjT7_P12ihipStream_tbENKUlT_T0_SG_SL_E_clIS9_SA_SB_SB_EEDaSZ_S10_SG_SL_EUlSZ_E_NS1_11comp_targetILNS1_3genE4ELNS1_11target_archE910ELNS1_3gpuE8ELNS1_3repE0EEENS1_47radix_sort_onesweep_sort_config_static_selectorELNS0_4arch9wavefront6targetE0EEEvSG_,"axG",@progbits,_ZN7rocprim17ROCPRIM_400000_NS6detail17trampoline_kernelINS0_14default_configENS1_35radix_sort_onesweep_config_selectorIfNS0_10empty_typeEEEZZNS1_29radix_sort_onesweep_iterationIS3_Lb1EPKfPfPS5_SB_mNS0_19identity_decomposerENS1_16block_id_wrapperIjLb0EEEEE10hipError_tT1_PNSt15iterator_traitsISG_E10value_typeET2_T3_PNSH_ISM_E10value_typeET4_T5_PSR_SS_PNS1_23onesweep_lookback_stateEbbT6_jjT7_P12ihipStream_tbENKUlT_T0_SG_SL_E_clIS9_SA_SB_SB_EEDaSZ_S10_SG_SL_EUlSZ_E_NS1_11comp_targetILNS1_3genE4ELNS1_11target_archE910ELNS1_3gpuE8ELNS1_3repE0EEENS1_47radix_sort_onesweep_sort_config_static_selectorELNS0_4arch9wavefront6targetE0EEEvSG_,comdat
.Lfunc_end1341:
	.size	_ZN7rocprim17ROCPRIM_400000_NS6detail17trampoline_kernelINS0_14default_configENS1_35radix_sort_onesweep_config_selectorIfNS0_10empty_typeEEEZZNS1_29radix_sort_onesweep_iterationIS3_Lb1EPKfPfPS5_SB_mNS0_19identity_decomposerENS1_16block_id_wrapperIjLb0EEEEE10hipError_tT1_PNSt15iterator_traitsISG_E10value_typeET2_T3_PNSH_ISM_E10value_typeET4_T5_PSR_SS_PNS1_23onesweep_lookback_stateEbbT6_jjT7_P12ihipStream_tbENKUlT_T0_SG_SL_E_clIS9_SA_SB_SB_EEDaSZ_S10_SG_SL_EUlSZ_E_NS1_11comp_targetILNS1_3genE4ELNS1_11target_archE910ELNS1_3gpuE8ELNS1_3repE0EEENS1_47radix_sort_onesweep_sort_config_static_selectorELNS0_4arch9wavefront6targetE0EEEvSG_, .Lfunc_end1341-_ZN7rocprim17ROCPRIM_400000_NS6detail17trampoline_kernelINS0_14default_configENS1_35radix_sort_onesweep_config_selectorIfNS0_10empty_typeEEEZZNS1_29radix_sort_onesweep_iterationIS3_Lb1EPKfPfPS5_SB_mNS0_19identity_decomposerENS1_16block_id_wrapperIjLb0EEEEE10hipError_tT1_PNSt15iterator_traitsISG_E10value_typeET2_T3_PNSH_ISM_E10value_typeET4_T5_PSR_SS_PNS1_23onesweep_lookback_stateEbbT6_jjT7_P12ihipStream_tbENKUlT_T0_SG_SL_E_clIS9_SA_SB_SB_EEDaSZ_S10_SG_SL_EUlSZ_E_NS1_11comp_targetILNS1_3genE4ELNS1_11target_archE910ELNS1_3gpuE8ELNS1_3repE0EEENS1_47radix_sort_onesweep_sort_config_static_selectorELNS0_4arch9wavefront6targetE0EEEvSG_
                                        ; -- End function
	.set _ZN7rocprim17ROCPRIM_400000_NS6detail17trampoline_kernelINS0_14default_configENS1_35radix_sort_onesweep_config_selectorIfNS0_10empty_typeEEEZZNS1_29radix_sort_onesweep_iterationIS3_Lb1EPKfPfPS5_SB_mNS0_19identity_decomposerENS1_16block_id_wrapperIjLb0EEEEE10hipError_tT1_PNSt15iterator_traitsISG_E10value_typeET2_T3_PNSH_ISM_E10value_typeET4_T5_PSR_SS_PNS1_23onesweep_lookback_stateEbbT6_jjT7_P12ihipStream_tbENKUlT_T0_SG_SL_E_clIS9_SA_SB_SB_EEDaSZ_S10_SG_SL_EUlSZ_E_NS1_11comp_targetILNS1_3genE4ELNS1_11target_archE910ELNS1_3gpuE8ELNS1_3repE0EEENS1_47radix_sort_onesweep_sort_config_static_selectorELNS0_4arch9wavefront6targetE0EEEvSG_.num_vgpr, 0
	.set _ZN7rocprim17ROCPRIM_400000_NS6detail17trampoline_kernelINS0_14default_configENS1_35radix_sort_onesweep_config_selectorIfNS0_10empty_typeEEEZZNS1_29radix_sort_onesweep_iterationIS3_Lb1EPKfPfPS5_SB_mNS0_19identity_decomposerENS1_16block_id_wrapperIjLb0EEEEE10hipError_tT1_PNSt15iterator_traitsISG_E10value_typeET2_T3_PNSH_ISM_E10value_typeET4_T5_PSR_SS_PNS1_23onesweep_lookback_stateEbbT6_jjT7_P12ihipStream_tbENKUlT_T0_SG_SL_E_clIS9_SA_SB_SB_EEDaSZ_S10_SG_SL_EUlSZ_E_NS1_11comp_targetILNS1_3genE4ELNS1_11target_archE910ELNS1_3gpuE8ELNS1_3repE0EEENS1_47radix_sort_onesweep_sort_config_static_selectorELNS0_4arch9wavefront6targetE0EEEvSG_.num_agpr, 0
	.set _ZN7rocprim17ROCPRIM_400000_NS6detail17trampoline_kernelINS0_14default_configENS1_35radix_sort_onesweep_config_selectorIfNS0_10empty_typeEEEZZNS1_29radix_sort_onesweep_iterationIS3_Lb1EPKfPfPS5_SB_mNS0_19identity_decomposerENS1_16block_id_wrapperIjLb0EEEEE10hipError_tT1_PNSt15iterator_traitsISG_E10value_typeET2_T3_PNSH_ISM_E10value_typeET4_T5_PSR_SS_PNS1_23onesweep_lookback_stateEbbT6_jjT7_P12ihipStream_tbENKUlT_T0_SG_SL_E_clIS9_SA_SB_SB_EEDaSZ_S10_SG_SL_EUlSZ_E_NS1_11comp_targetILNS1_3genE4ELNS1_11target_archE910ELNS1_3gpuE8ELNS1_3repE0EEENS1_47radix_sort_onesweep_sort_config_static_selectorELNS0_4arch9wavefront6targetE0EEEvSG_.numbered_sgpr, 0
	.set _ZN7rocprim17ROCPRIM_400000_NS6detail17trampoline_kernelINS0_14default_configENS1_35radix_sort_onesweep_config_selectorIfNS0_10empty_typeEEEZZNS1_29radix_sort_onesweep_iterationIS3_Lb1EPKfPfPS5_SB_mNS0_19identity_decomposerENS1_16block_id_wrapperIjLb0EEEEE10hipError_tT1_PNSt15iterator_traitsISG_E10value_typeET2_T3_PNSH_ISM_E10value_typeET4_T5_PSR_SS_PNS1_23onesweep_lookback_stateEbbT6_jjT7_P12ihipStream_tbENKUlT_T0_SG_SL_E_clIS9_SA_SB_SB_EEDaSZ_S10_SG_SL_EUlSZ_E_NS1_11comp_targetILNS1_3genE4ELNS1_11target_archE910ELNS1_3gpuE8ELNS1_3repE0EEENS1_47radix_sort_onesweep_sort_config_static_selectorELNS0_4arch9wavefront6targetE0EEEvSG_.num_named_barrier, 0
	.set _ZN7rocprim17ROCPRIM_400000_NS6detail17trampoline_kernelINS0_14default_configENS1_35radix_sort_onesweep_config_selectorIfNS0_10empty_typeEEEZZNS1_29radix_sort_onesweep_iterationIS3_Lb1EPKfPfPS5_SB_mNS0_19identity_decomposerENS1_16block_id_wrapperIjLb0EEEEE10hipError_tT1_PNSt15iterator_traitsISG_E10value_typeET2_T3_PNSH_ISM_E10value_typeET4_T5_PSR_SS_PNS1_23onesweep_lookback_stateEbbT6_jjT7_P12ihipStream_tbENKUlT_T0_SG_SL_E_clIS9_SA_SB_SB_EEDaSZ_S10_SG_SL_EUlSZ_E_NS1_11comp_targetILNS1_3genE4ELNS1_11target_archE910ELNS1_3gpuE8ELNS1_3repE0EEENS1_47radix_sort_onesweep_sort_config_static_selectorELNS0_4arch9wavefront6targetE0EEEvSG_.private_seg_size, 0
	.set _ZN7rocprim17ROCPRIM_400000_NS6detail17trampoline_kernelINS0_14default_configENS1_35radix_sort_onesweep_config_selectorIfNS0_10empty_typeEEEZZNS1_29radix_sort_onesweep_iterationIS3_Lb1EPKfPfPS5_SB_mNS0_19identity_decomposerENS1_16block_id_wrapperIjLb0EEEEE10hipError_tT1_PNSt15iterator_traitsISG_E10value_typeET2_T3_PNSH_ISM_E10value_typeET4_T5_PSR_SS_PNS1_23onesweep_lookback_stateEbbT6_jjT7_P12ihipStream_tbENKUlT_T0_SG_SL_E_clIS9_SA_SB_SB_EEDaSZ_S10_SG_SL_EUlSZ_E_NS1_11comp_targetILNS1_3genE4ELNS1_11target_archE910ELNS1_3gpuE8ELNS1_3repE0EEENS1_47radix_sort_onesweep_sort_config_static_selectorELNS0_4arch9wavefront6targetE0EEEvSG_.uses_vcc, 0
	.set _ZN7rocprim17ROCPRIM_400000_NS6detail17trampoline_kernelINS0_14default_configENS1_35radix_sort_onesweep_config_selectorIfNS0_10empty_typeEEEZZNS1_29radix_sort_onesweep_iterationIS3_Lb1EPKfPfPS5_SB_mNS0_19identity_decomposerENS1_16block_id_wrapperIjLb0EEEEE10hipError_tT1_PNSt15iterator_traitsISG_E10value_typeET2_T3_PNSH_ISM_E10value_typeET4_T5_PSR_SS_PNS1_23onesweep_lookback_stateEbbT6_jjT7_P12ihipStream_tbENKUlT_T0_SG_SL_E_clIS9_SA_SB_SB_EEDaSZ_S10_SG_SL_EUlSZ_E_NS1_11comp_targetILNS1_3genE4ELNS1_11target_archE910ELNS1_3gpuE8ELNS1_3repE0EEENS1_47radix_sort_onesweep_sort_config_static_selectorELNS0_4arch9wavefront6targetE0EEEvSG_.uses_flat_scratch, 0
	.set _ZN7rocprim17ROCPRIM_400000_NS6detail17trampoline_kernelINS0_14default_configENS1_35radix_sort_onesweep_config_selectorIfNS0_10empty_typeEEEZZNS1_29radix_sort_onesweep_iterationIS3_Lb1EPKfPfPS5_SB_mNS0_19identity_decomposerENS1_16block_id_wrapperIjLb0EEEEE10hipError_tT1_PNSt15iterator_traitsISG_E10value_typeET2_T3_PNSH_ISM_E10value_typeET4_T5_PSR_SS_PNS1_23onesweep_lookback_stateEbbT6_jjT7_P12ihipStream_tbENKUlT_T0_SG_SL_E_clIS9_SA_SB_SB_EEDaSZ_S10_SG_SL_EUlSZ_E_NS1_11comp_targetILNS1_3genE4ELNS1_11target_archE910ELNS1_3gpuE8ELNS1_3repE0EEENS1_47radix_sort_onesweep_sort_config_static_selectorELNS0_4arch9wavefront6targetE0EEEvSG_.has_dyn_sized_stack, 0
	.set _ZN7rocprim17ROCPRIM_400000_NS6detail17trampoline_kernelINS0_14default_configENS1_35radix_sort_onesweep_config_selectorIfNS0_10empty_typeEEEZZNS1_29radix_sort_onesweep_iterationIS3_Lb1EPKfPfPS5_SB_mNS0_19identity_decomposerENS1_16block_id_wrapperIjLb0EEEEE10hipError_tT1_PNSt15iterator_traitsISG_E10value_typeET2_T3_PNSH_ISM_E10value_typeET4_T5_PSR_SS_PNS1_23onesweep_lookback_stateEbbT6_jjT7_P12ihipStream_tbENKUlT_T0_SG_SL_E_clIS9_SA_SB_SB_EEDaSZ_S10_SG_SL_EUlSZ_E_NS1_11comp_targetILNS1_3genE4ELNS1_11target_archE910ELNS1_3gpuE8ELNS1_3repE0EEENS1_47radix_sort_onesweep_sort_config_static_selectorELNS0_4arch9wavefront6targetE0EEEvSG_.has_recursion, 0
	.set _ZN7rocprim17ROCPRIM_400000_NS6detail17trampoline_kernelINS0_14default_configENS1_35radix_sort_onesweep_config_selectorIfNS0_10empty_typeEEEZZNS1_29radix_sort_onesweep_iterationIS3_Lb1EPKfPfPS5_SB_mNS0_19identity_decomposerENS1_16block_id_wrapperIjLb0EEEEE10hipError_tT1_PNSt15iterator_traitsISG_E10value_typeET2_T3_PNSH_ISM_E10value_typeET4_T5_PSR_SS_PNS1_23onesweep_lookback_stateEbbT6_jjT7_P12ihipStream_tbENKUlT_T0_SG_SL_E_clIS9_SA_SB_SB_EEDaSZ_S10_SG_SL_EUlSZ_E_NS1_11comp_targetILNS1_3genE4ELNS1_11target_archE910ELNS1_3gpuE8ELNS1_3repE0EEENS1_47radix_sort_onesweep_sort_config_static_selectorELNS0_4arch9wavefront6targetE0EEEvSG_.has_indirect_call, 0
	.section	.AMDGPU.csdata,"",@progbits
; Kernel info:
; codeLenInByte = 0
; TotalNumSgprs: 0
; NumVgprs: 0
; ScratchSize: 0
; MemoryBound: 0
; FloatMode: 240
; IeeeMode: 1
; LDSByteSize: 0 bytes/workgroup (compile time only)
; SGPRBlocks: 0
; VGPRBlocks: 0
; NumSGPRsForWavesPerEU: 1
; NumVGPRsForWavesPerEU: 1
; NamedBarCnt: 0
; Occupancy: 16
; WaveLimiterHint : 0
; COMPUTE_PGM_RSRC2:SCRATCH_EN: 0
; COMPUTE_PGM_RSRC2:USER_SGPR: 2
; COMPUTE_PGM_RSRC2:TRAP_HANDLER: 0
; COMPUTE_PGM_RSRC2:TGID_X_EN: 1
; COMPUTE_PGM_RSRC2:TGID_Y_EN: 0
; COMPUTE_PGM_RSRC2:TGID_Z_EN: 0
; COMPUTE_PGM_RSRC2:TIDIG_COMP_CNT: 0
	.section	.text._ZN7rocprim17ROCPRIM_400000_NS6detail17trampoline_kernelINS0_14default_configENS1_35radix_sort_onesweep_config_selectorIfNS0_10empty_typeEEEZZNS1_29radix_sort_onesweep_iterationIS3_Lb1EPKfPfPS5_SB_mNS0_19identity_decomposerENS1_16block_id_wrapperIjLb0EEEEE10hipError_tT1_PNSt15iterator_traitsISG_E10value_typeET2_T3_PNSH_ISM_E10value_typeET4_T5_PSR_SS_PNS1_23onesweep_lookback_stateEbbT6_jjT7_P12ihipStream_tbENKUlT_T0_SG_SL_E_clIS9_SA_SB_SB_EEDaSZ_S10_SG_SL_EUlSZ_E_NS1_11comp_targetILNS1_3genE3ELNS1_11target_archE908ELNS1_3gpuE7ELNS1_3repE0EEENS1_47radix_sort_onesweep_sort_config_static_selectorELNS0_4arch9wavefront6targetE0EEEvSG_,"axG",@progbits,_ZN7rocprim17ROCPRIM_400000_NS6detail17trampoline_kernelINS0_14default_configENS1_35radix_sort_onesweep_config_selectorIfNS0_10empty_typeEEEZZNS1_29radix_sort_onesweep_iterationIS3_Lb1EPKfPfPS5_SB_mNS0_19identity_decomposerENS1_16block_id_wrapperIjLb0EEEEE10hipError_tT1_PNSt15iterator_traitsISG_E10value_typeET2_T3_PNSH_ISM_E10value_typeET4_T5_PSR_SS_PNS1_23onesweep_lookback_stateEbbT6_jjT7_P12ihipStream_tbENKUlT_T0_SG_SL_E_clIS9_SA_SB_SB_EEDaSZ_S10_SG_SL_EUlSZ_E_NS1_11comp_targetILNS1_3genE3ELNS1_11target_archE908ELNS1_3gpuE7ELNS1_3repE0EEENS1_47radix_sort_onesweep_sort_config_static_selectorELNS0_4arch9wavefront6targetE0EEEvSG_,comdat
	.protected	_ZN7rocprim17ROCPRIM_400000_NS6detail17trampoline_kernelINS0_14default_configENS1_35radix_sort_onesweep_config_selectorIfNS0_10empty_typeEEEZZNS1_29radix_sort_onesweep_iterationIS3_Lb1EPKfPfPS5_SB_mNS0_19identity_decomposerENS1_16block_id_wrapperIjLb0EEEEE10hipError_tT1_PNSt15iterator_traitsISG_E10value_typeET2_T3_PNSH_ISM_E10value_typeET4_T5_PSR_SS_PNS1_23onesweep_lookback_stateEbbT6_jjT7_P12ihipStream_tbENKUlT_T0_SG_SL_E_clIS9_SA_SB_SB_EEDaSZ_S10_SG_SL_EUlSZ_E_NS1_11comp_targetILNS1_3genE3ELNS1_11target_archE908ELNS1_3gpuE7ELNS1_3repE0EEENS1_47radix_sort_onesweep_sort_config_static_selectorELNS0_4arch9wavefront6targetE0EEEvSG_ ; -- Begin function _ZN7rocprim17ROCPRIM_400000_NS6detail17trampoline_kernelINS0_14default_configENS1_35radix_sort_onesweep_config_selectorIfNS0_10empty_typeEEEZZNS1_29radix_sort_onesweep_iterationIS3_Lb1EPKfPfPS5_SB_mNS0_19identity_decomposerENS1_16block_id_wrapperIjLb0EEEEE10hipError_tT1_PNSt15iterator_traitsISG_E10value_typeET2_T3_PNSH_ISM_E10value_typeET4_T5_PSR_SS_PNS1_23onesweep_lookback_stateEbbT6_jjT7_P12ihipStream_tbENKUlT_T0_SG_SL_E_clIS9_SA_SB_SB_EEDaSZ_S10_SG_SL_EUlSZ_E_NS1_11comp_targetILNS1_3genE3ELNS1_11target_archE908ELNS1_3gpuE7ELNS1_3repE0EEENS1_47radix_sort_onesweep_sort_config_static_selectorELNS0_4arch9wavefront6targetE0EEEvSG_
	.globl	_ZN7rocprim17ROCPRIM_400000_NS6detail17trampoline_kernelINS0_14default_configENS1_35radix_sort_onesweep_config_selectorIfNS0_10empty_typeEEEZZNS1_29radix_sort_onesweep_iterationIS3_Lb1EPKfPfPS5_SB_mNS0_19identity_decomposerENS1_16block_id_wrapperIjLb0EEEEE10hipError_tT1_PNSt15iterator_traitsISG_E10value_typeET2_T3_PNSH_ISM_E10value_typeET4_T5_PSR_SS_PNS1_23onesweep_lookback_stateEbbT6_jjT7_P12ihipStream_tbENKUlT_T0_SG_SL_E_clIS9_SA_SB_SB_EEDaSZ_S10_SG_SL_EUlSZ_E_NS1_11comp_targetILNS1_3genE3ELNS1_11target_archE908ELNS1_3gpuE7ELNS1_3repE0EEENS1_47radix_sort_onesweep_sort_config_static_selectorELNS0_4arch9wavefront6targetE0EEEvSG_
	.p2align	8
	.type	_ZN7rocprim17ROCPRIM_400000_NS6detail17trampoline_kernelINS0_14default_configENS1_35radix_sort_onesweep_config_selectorIfNS0_10empty_typeEEEZZNS1_29radix_sort_onesweep_iterationIS3_Lb1EPKfPfPS5_SB_mNS0_19identity_decomposerENS1_16block_id_wrapperIjLb0EEEEE10hipError_tT1_PNSt15iterator_traitsISG_E10value_typeET2_T3_PNSH_ISM_E10value_typeET4_T5_PSR_SS_PNS1_23onesweep_lookback_stateEbbT6_jjT7_P12ihipStream_tbENKUlT_T0_SG_SL_E_clIS9_SA_SB_SB_EEDaSZ_S10_SG_SL_EUlSZ_E_NS1_11comp_targetILNS1_3genE3ELNS1_11target_archE908ELNS1_3gpuE7ELNS1_3repE0EEENS1_47radix_sort_onesweep_sort_config_static_selectorELNS0_4arch9wavefront6targetE0EEEvSG_,@function
_ZN7rocprim17ROCPRIM_400000_NS6detail17trampoline_kernelINS0_14default_configENS1_35radix_sort_onesweep_config_selectorIfNS0_10empty_typeEEEZZNS1_29radix_sort_onesweep_iterationIS3_Lb1EPKfPfPS5_SB_mNS0_19identity_decomposerENS1_16block_id_wrapperIjLb0EEEEE10hipError_tT1_PNSt15iterator_traitsISG_E10value_typeET2_T3_PNSH_ISM_E10value_typeET4_T5_PSR_SS_PNS1_23onesweep_lookback_stateEbbT6_jjT7_P12ihipStream_tbENKUlT_T0_SG_SL_E_clIS9_SA_SB_SB_EEDaSZ_S10_SG_SL_EUlSZ_E_NS1_11comp_targetILNS1_3genE3ELNS1_11target_archE908ELNS1_3gpuE7ELNS1_3repE0EEENS1_47radix_sort_onesweep_sort_config_static_selectorELNS0_4arch9wavefront6targetE0EEEvSG_: ; @_ZN7rocprim17ROCPRIM_400000_NS6detail17trampoline_kernelINS0_14default_configENS1_35radix_sort_onesweep_config_selectorIfNS0_10empty_typeEEEZZNS1_29radix_sort_onesweep_iterationIS3_Lb1EPKfPfPS5_SB_mNS0_19identity_decomposerENS1_16block_id_wrapperIjLb0EEEEE10hipError_tT1_PNSt15iterator_traitsISG_E10value_typeET2_T3_PNSH_ISM_E10value_typeET4_T5_PSR_SS_PNS1_23onesweep_lookback_stateEbbT6_jjT7_P12ihipStream_tbENKUlT_T0_SG_SL_E_clIS9_SA_SB_SB_EEDaSZ_S10_SG_SL_EUlSZ_E_NS1_11comp_targetILNS1_3genE3ELNS1_11target_archE908ELNS1_3gpuE7ELNS1_3repE0EEENS1_47radix_sort_onesweep_sort_config_static_selectorELNS0_4arch9wavefront6targetE0EEEvSG_
; %bb.0:
	.section	.rodata,"a",@progbits
	.p2align	6, 0x0
	.amdhsa_kernel _ZN7rocprim17ROCPRIM_400000_NS6detail17trampoline_kernelINS0_14default_configENS1_35radix_sort_onesweep_config_selectorIfNS0_10empty_typeEEEZZNS1_29radix_sort_onesweep_iterationIS3_Lb1EPKfPfPS5_SB_mNS0_19identity_decomposerENS1_16block_id_wrapperIjLb0EEEEE10hipError_tT1_PNSt15iterator_traitsISG_E10value_typeET2_T3_PNSH_ISM_E10value_typeET4_T5_PSR_SS_PNS1_23onesweep_lookback_stateEbbT6_jjT7_P12ihipStream_tbENKUlT_T0_SG_SL_E_clIS9_SA_SB_SB_EEDaSZ_S10_SG_SL_EUlSZ_E_NS1_11comp_targetILNS1_3genE3ELNS1_11target_archE908ELNS1_3gpuE7ELNS1_3repE0EEENS1_47radix_sort_onesweep_sort_config_static_selectorELNS0_4arch9wavefront6targetE0EEEvSG_
		.amdhsa_group_segment_fixed_size 0
		.amdhsa_private_segment_fixed_size 0
		.amdhsa_kernarg_size 88
		.amdhsa_user_sgpr_count 2
		.amdhsa_user_sgpr_dispatch_ptr 0
		.amdhsa_user_sgpr_queue_ptr 0
		.amdhsa_user_sgpr_kernarg_segment_ptr 1
		.amdhsa_user_sgpr_dispatch_id 0
		.amdhsa_user_sgpr_kernarg_preload_length 0
		.amdhsa_user_sgpr_kernarg_preload_offset 0
		.amdhsa_user_sgpr_private_segment_size 0
		.amdhsa_wavefront_size32 1
		.amdhsa_uses_dynamic_stack 0
		.amdhsa_enable_private_segment 0
		.amdhsa_system_sgpr_workgroup_id_x 1
		.amdhsa_system_sgpr_workgroup_id_y 0
		.amdhsa_system_sgpr_workgroup_id_z 0
		.amdhsa_system_sgpr_workgroup_info 0
		.amdhsa_system_vgpr_workitem_id 0
		.amdhsa_next_free_vgpr 1
		.amdhsa_next_free_sgpr 1
		.amdhsa_named_barrier_count 0
		.amdhsa_reserve_vcc 0
		.amdhsa_float_round_mode_32 0
		.amdhsa_float_round_mode_16_64 0
		.amdhsa_float_denorm_mode_32 3
		.amdhsa_float_denorm_mode_16_64 3
		.amdhsa_fp16_overflow 0
		.amdhsa_memory_ordered 1
		.amdhsa_forward_progress 1
		.amdhsa_inst_pref_size 0
		.amdhsa_round_robin_scheduling 0
		.amdhsa_exception_fp_ieee_invalid_op 0
		.amdhsa_exception_fp_denorm_src 0
		.amdhsa_exception_fp_ieee_div_zero 0
		.amdhsa_exception_fp_ieee_overflow 0
		.amdhsa_exception_fp_ieee_underflow 0
		.amdhsa_exception_fp_ieee_inexact 0
		.amdhsa_exception_int_div_zero 0
	.end_amdhsa_kernel
	.section	.text._ZN7rocprim17ROCPRIM_400000_NS6detail17trampoline_kernelINS0_14default_configENS1_35radix_sort_onesweep_config_selectorIfNS0_10empty_typeEEEZZNS1_29radix_sort_onesweep_iterationIS3_Lb1EPKfPfPS5_SB_mNS0_19identity_decomposerENS1_16block_id_wrapperIjLb0EEEEE10hipError_tT1_PNSt15iterator_traitsISG_E10value_typeET2_T3_PNSH_ISM_E10value_typeET4_T5_PSR_SS_PNS1_23onesweep_lookback_stateEbbT6_jjT7_P12ihipStream_tbENKUlT_T0_SG_SL_E_clIS9_SA_SB_SB_EEDaSZ_S10_SG_SL_EUlSZ_E_NS1_11comp_targetILNS1_3genE3ELNS1_11target_archE908ELNS1_3gpuE7ELNS1_3repE0EEENS1_47radix_sort_onesweep_sort_config_static_selectorELNS0_4arch9wavefront6targetE0EEEvSG_,"axG",@progbits,_ZN7rocprim17ROCPRIM_400000_NS6detail17trampoline_kernelINS0_14default_configENS1_35radix_sort_onesweep_config_selectorIfNS0_10empty_typeEEEZZNS1_29radix_sort_onesweep_iterationIS3_Lb1EPKfPfPS5_SB_mNS0_19identity_decomposerENS1_16block_id_wrapperIjLb0EEEEE10hipError_tT1_PNSt15iterator_traitsISG_E10value_typeET2_T3_PNSH_ISM_E10value_typeET4_T5_PSR_SS_PNS1_23onesweep_lookback_stateEbbT6_jjT7_P12ihipStream_tbENKUlT_T0_SG_SL_E_clIS9_SA_SB_SB_EEDaSZ_S10_SG_SL_EUlSZ_E_NS1_11comp_targetILNS1_3genE3ELNS1_11target_archE908ELNS1_3gpuE7ELNS1_3repE0EEENS1_47radix_sort_onesweep_sort_config_static_selectorELNS0_4arch9wavefront6targetE0EEEvSG_,comdat
.Lfunc_end1342:
	.size	_ZN7rocprim17ROCPRIM_400000_NS6detail17trampoline_kernelINS0_14default_configENS1_35radix_sort_onesweep_config_selectorIfNS0_10empty_typeEEEZZNS1_29radix_sort_onesweep_iterationIS3_Lb1EPKfPfPS5_SB_mNS0_19identity_decomposerENS1_16block_id_wrapperIjLb0EEEEE10hipError_tT1_PNSt15iterator_traitsISG_E10value_typeET2_T3_PNSH_ISM_E10value_typeET4_T5_PSR_SS_PNS1_23onesweep_lookback_stateEbbT6_jjT7_P12ihipStream_tbENKUlT_T0_SG_SL_E_clIS9_SA_SB_SB_EEDaSZ_S10_SG_SL_EUlSZ_E_NS1_11comp_targetILNS1_3genE3ELNS1_11target_archE908ELNS1_3gpuE7ELNS1_3repE0EEENS1_47radix_sort_onesweep_sort_config_static_selectorELNS0_4arch9wavefront6targetE0EEEvSG_, .Lfunc_end1342-_ZN7rocprim17ROCPRIM_400000_NS6detail17trampoline_kernelINS0_14default_configENS1_35radix_sort_onesweep_config_selectorIfNS0_10empty_typeEEEZZNS1_29radix_sort_onesweep_iterationIS3_Lb1EPKfPfPS5_SB_mNS0_19identity_decomposerENS1_16block_id_wrapperIjLb0EEEEE10hipError_tT1_PNSt15iterator_traitsISG_E10value_typeET2_T3_PNSH_ISM_E10value_typeET4_T5_PSR_SS_PNS1_23onesweep_lookback_stateEbbT6_jjT7_P12ihipStream_tbENKUlT_T0_SG_SL_E_clIS9_SA_SB_SB_EEDaSZ_S10_SG_SL_EUlSZ_E_NS1_11comp_targetILNS1_3genE3ELNS1_11target_archE908ELNS1_3gpuE7ELNS1_3repE0EEENS1_47radix_sort_onesweep_sort_config_static_selectorELNS0_4arch9wavefront6targetE0EEEvSG_
                                        ; -- End function
	.set _ZN7rocprim17ROCPRIM_400000_NS6detail17trampoline_kernelINS0_14default_configENS1_35radix_sort_onesweep_config_selectorIfNS0_10empty_typeEEEZZNS1_29radix_sort_onesweep_iterationIS3_Lb1EPKfPfPS5_SB_mNS0_19identity_decomposerENS1_16block_id_wrapperIjLb0EEEEE10hipError_tT1_PNSt15iterator_traitsISG_E10value_typeET2_T3_PNSH_ISM_E10value_typeET4_T5_PSR_SS_PNS1_23onesweep_lookback_stateEbbT6_jjT7_P12ihipStream_tbENKUlT_T0_SG_SL_E_clIS9_SA_SB_SB_EEDaSZ_S10_SG_SL_EUlSZ_E_NS1_11comp_targetILNS1_3genE3ELNS1_11target_archE908ELNS1_3gpuE7ELNS1_3repE0EEENS1_47radix_sort_onesweep_sort_config_static_selectorELNS0_4arch9wavefront6targetE0EEEvSG_.num_vgpr, 0
	.set _ZN7rocprim17ROCPRIM_400000_NS6detail17trampoline_kernelINS0_14default_configENS1_35radix_sort_onesweep_config_selectorIfNS0_10empty_typeEEEZZNS1_29radix_sort_onesweep_iterationIS3_Lb1EPKfPfPS5_SB_mNS0_19identity_decomposerENS1_16block_id_wrapperIjLb0EEEEE10hipError_tT1_PNSt15iterator_traitsISG_E10value_typeET2_T3_PNSH_ISM_E10value_typeET4_T5_PSR_SS_PNS1_23onesweep_lookback_stateEbbT6_jjT7_P12ihipStream_tbENKUlT_T0_SG_SL_E_clIS9_SA_SB_SB_EEDaSZ_S10_SG_SL_EUlSZ_E_NS1_11comp_targetILNS1_3genE3ELNS1_11target_archE908ELNS1_3gpuE7ELNS1_3repE0EEENS1_47radix_sort_onesweep_sort_config_static_selectorELNS0_4arch9wavefront6targetE0EEEvSG_.num_agpr, 0
	.set _ZN7rocprim17ROCPRIM_400000_NS6detail17trampoline_kernelINS0_14default_configENS1_35radix_sort_onesweep_config_selectorIfNS0_10empty_typeEEEZZNS1_29radix_sort_onesweep_iterationIS3_Lb1EPKfPfPS5_SB_mNS0_19identity_decomposerENS1_16block_id_wrapperIjLb0EEEEE10hipError_tT1_PNSt15iterator_traitsISG_E10value_typeET2_T3_PNSH_ISM_E10value_typeET4_T5_PSR_SS_PNS1_23onesweep_lookback_stateEbbT6_jjT7_P12ihipStream_tbENKUlT_T0_SG_SL_E_clIS9_SA_SB_SB_EEDaSZ_S10_SG_SL_EUlSZ_E_NS1_11comp_targetILNS1_3genE3ELNS1_11target_archE908ELNS1_3gpuE7ELNS1_3repE0EEENS1_47radix_sort_onesweep_sort_config_static_selectorELNS0_4arch9wavefront6targetE0EEEvSG_.numbered_sgpr, 0
	.set _ZN7rocprim17ROCPRIM_400000_NS6detail17trampoline_kernelINS0_14default_configENS1_35radix_sort_onesweep_config_selectorIfNS0_10empty_typeEEEZZNS1_29radix_sort_onesweep_iterationIS3_Lb1EPKfPfPS5_SB_mNS0_19identity_decomposerENS1_16block_id_wrapperIjLb0EEEEE10hipError_tT1_PNSt15iterator_traitsISG_E10value_typeET2_T3_PNSH_ISM_E10value_typeET4_T5_PSR_SS_PNS1_23onesweep_lookback_stateEbbT6_jjT7_P12ihipStream_tbENKUlT_T0_SG_SL_E_clIS9_SA_SB_SB_EEDaSZ_S10_SG_SL_EUlSZ_E_NS1_11comp_targetILNS1_3genE3ELNS1_11target_archE908ELNS1_3gpuE7ELNS1_3repE0EEENS1_47radix_sort_onesweep_sort_config_static_selectorELNS0_4arch9wavefront6targetE0EEEvSG_.num_named_barrier, 0
	.set _ZN7rocprim17ROCPRIM_400000_NS6detail17trampoline_kernelINS0_14default_configENS1_35radix_sort_onesweep_config_selectorIfNS0_10empty_typeEEEZZNS1_29radix_sort_onesweep_iterationIS3_Lb1EPKfPfPS5_SB_mNS0_19identity_decomposerENS1_16block_id_wrapperIjLb0EEEEE10hipError_tT1_PNSt15iterator_traitsISG_E10value_typeET2_T3_PNSH_ISM_E10value_typeET4_T5_PSR_SS_PNS1_23onesweep_lookback_stateEbbT6_jjT7_P12ihipStream_tbENKUlT_T0_SG_SL_E_clIS9_SA_SB_SB_EEDaSZ_S10_SG_SL_EUlSZ_E_NS1_11comp_targetILNS1_3genE3ELNS1_11target_archE908ELNS1_3gpuE7ELNS1_3repE0EEENS1_47radix_sort_onesweep_sort_config_static_selectorELNS0_4arch9wavefront6targetE0EEEvSG_.private_seg_size, 0
	.set _ZN7rocprim17ROCPRIM_400000_NS6detail17trampoline_kernelINS0_14default_configENS1_35radix_sort_onesweep_config_selectorIfNS0_10empty_typeEEEZZNS1_29radix_sort_onesweep_iterationIS3_Lb1EPKfPfPS5_SB_mNS0_19identity_decomposerENS1_16block_id_wrapperIjLb0EEEEE10hipError_tT1_PNSt15iterator_traitsISG_E10value_typeET2_T3_PNSH_ISM_E10value_typeET4_T5_PSR_SS_PNS1_23onesweep_lookback_stateEbbT6_jjT7_P12ihipStream_tbENKUlT_T0_SG_SL_E_clIS9_SA_SB_SB_EEDaSZ_S10_SG_SL_EUlSZ_E_NS1_11comp_targetILNS1_3genE3ELNS1_11target_archE908ELNS1_3gpuE7ELNS1_3repE0EEENS1_47radix_sort_onesweep_sort_config_static_selectorELNS0_4arch9wavefront6targetE0EEEvSG_.uses_vcc, 0
	.set _ZN7rocprim17ROCPRIM_400000_NS6detail17trampoline_kernelINS0_14default_configENS1_35radix_sort_onesweep_config_selectorIfNS0_10empty_typeEEEZZNS1_29radix_sort_onesweep_iterationIS3_Lb1EPKfPfPS5_SB_mNS0_19identity_decomposerENS1_16block_id_wrapperIjLb0EEEEE10hipError_tT1_PNSt15iterator_traitsISG_E10value_typeET2_T3_PNSH_ISM_E10value_typeET4_T5_PSR_SS_PNS1_23onesweep_lookback_stateEbbT6_jjT7_P12ihipStream_tbENKUlT_T0_SG_SL_E_clIS9_SA_SB_SB_EEDaSZ_S10_SG_SL_EUlSZ_E_NS1_11comp_targetILNS1_3genE3ELNS1_11target_archE908ELNS1_3gpuE7ELNS1_3repE0EEENS1_47radix_sort_onesweep_sort_config_static_selectorELNS0_4arch9wavefront6targetE0EEEvSG_.uses_flat_scratch, 0
	.set _ZN7rocprim17ROCPRIM_400000_NS6detail17trampoline_kernelINS0_14default_configENS1_35radix_sort_onesweep_config_selectorIfNS0_10empty_typeEEEZZNS1_29radix_sort_onesweep_iterationIS3_Lb1EPKfPfPS5_SB_mNS0_19identity_decomposerENS1_16block_id_wrapperIjLb0EEEEE10hipError_tT1_PNSt15iterator_traitsISG_E10value_typeET2_T3_PNSH_ISM_E10value_typeET4_T5_PSR_SS_PNS1_23onesweep_lookback_stateEbbT6_jjT7_P12ihipStream_tbENKUlT_T0_SG_SL_E_clIS9_SA_SB_SB_EEDaSZ_S10_SG_SL_EUlSZ_E_NS1_11comp_targetILNS1_3genE3ELNS1_11target_archE908ELNS1_3gpuE7ELNS1_3repE0EEENS1_47radix_sort_onesweep_sort_config_static_selectorELNS0_4arch9wavefront6targetE0EEEvSG_.has_dyn_sized_stack, 0
	.set _ZN7rocprim17ROCPRIM_400000_NS6detail17trampoline_kernelINS0_14default_configENS1_35radix_sort_onesweep_config_selectorIfNS0_10empty_typeEEEZZNS1_29radix_sort_onesweep_iterationIS3_Lb1EPKfPfPS5_SB_mNS0_19identity_decomposerENS1_16block_id_wrapperIjLb0EEEEE10hipError_tT1_PNSt15iterator_traitsISG_E10value_typeET2_T3_PNSH_ISM_E10value_typeET4_T5_PSR_SS_PNS1_23onesweep_lookback_stateEbbT6_jjT7_P12ihipStream_tbENKUlT_T0_SG_SL_E_clIS9_SA_SB_SB_EEDaSZ_S10_SG_SL_EUlSZ_E_NS1_11comp_targetILNS1_3genE3ELNS1_11target_archE908ELNS1_3gpuE7ELNS1_3repE0EEENS1_47radix_sort_onesweep_sort_config_static_selectorELNS0_4arch9wavefront6targetE0EEEvSG_.has_recursion, 0
	.set _ZN7rocprim17ROCPRIM_400000_NS6detail17trampoline_kernelINS0_14default_configENS1_35radix_sort_onesweep_config_selectorIfNS0_10empty_typeEEEZZNS1_29radix_sort_onesweep_iterationIS3_Lb1EPKfPfPS5_SB_mNS0_19identity_decomposerENS1_16block_id_wrapperIjLb0EEEEE10hipError_tT1_PNSt15iterator_traitsISG_E10value_typeET2_T3_PNSH_ISM_E10value_typeET4_T5_PSR_SS_PNS1_23onesweep_lookback_stateEbbT6_jjT7_P12ihipStream_tbENKUlT_T0_SG_SL_E_clIS9_SA_SB_SB_EEDaSZ_S10_SG_SL_EUlSZ_E_NS1_11comp_targetILNS1_3genE3ELNS1_11target_archE908ELNS1_3gpuE7ELNS1_3repE0EEENS1_47radix_sort_onesweep_sort_config_static_selectorELNS0_4arch9wavefront6targetE0EEEvSG_.has_indirect_call, 0
	.section	.AMDGPU.csdata,"",@progbits
; Kernel info:
; codeLenInByte = 0
; TotalNumSgprs: 0
; NumVgprs: 0
; ScratchSize: 0
; MemoryBound: 0
; FloatMode: 240
; IeeeMode: 1
; LDSByteSize: 0 bytes/workgroup (compile time only)
; SGPRBlocks: 0
; VGPRBlocks: 0
; NumSGPRsForWavesPerEU: 1
; NumVGPRsForWavesPerEU: 1
; NamedBarCnt: 0
; Occupancy: 16
; WaveLimiterHint : 0
; COMPUTE_PGM_RSRC2:SCRATCH_EN: 0
; COMPUTE_PGM_RSRC2:USER_SGPR: 2
; COMPUTE_PGM_RSRC2:TRAP_HANDLER: 0
; COMPUTE_PGM_RSRC2:TGID_X_EN: 1
; COMPUTE_PGM_RSRC2:TGID_Y_EN: 0
; COMPUTE_PGM_RSRC2:TGID_Z_EN: 0
; COMPUTE_PGM_RSRC2:TIDIG_COMP_CNT: 0
	.section	.text._ZN7rocprim17ROCPRIM_400000_NS6detail17trampoline_kernelINS0_14default_configENS1_35radix_sort_onesweep_config_selectorIfNS0_10empty_typeEEEZZNS1_29radix_sort_onesweep_iterationIS3_Lb1EPKfPfPS5_SB_mNS0_19identity_decomposerENS1_16block_id_wrapperIjLb0EEEEE10hipError_tT1_PNSt15iterator_traitsISG_E10value_typeET2_T3_PNSH_ISM_E10value_typeET4_T5_PSR_SS_PNS1_23onesweep_lookback_stateEbbT6_jjT7_P12ihipStream_tbENKUlT_T0_SG_SL_E_clIS9_SA_SB_SB_EEDaSZ_S10_SG_SL_EUlSZ_E_NS1_11comp_targetILNS1_3genE10ELNS1_11target_archE1201ELNS1_3gpuE5ELNS1_3repE0EEENS1_47radix_sort_onesweep_sort_config_static_selectorELNS0_4arch9wavefront6targetE0EEEvSG_,"axG",@progbits,_ZN7rocprim17ROCPRIM_400000_NS6detail17trampoline_kernelINS0_14default_configENS1_35radix_sort_onesweep_config_selectorIfNS0_10empty_typeEEEZZNS1_29radix_sort_onesweep_iterationIS3_Lb1EPKfPfPS5_SB_mNS0_19identity_decomposerENS1_16block_id_wrapperIjLb0EEEEE10hipError_tT1_PNSt15iterator_traitsISG_E10value_typeET2_T3_PNSH_ISM_E10value_typeET4_T5_PSR_SS_PNS1_23onesweep_lookback_stateEbbT6_jjT7_P12ihipStream_tbENKUlT_T0_SG_SL_E_clIS9_SA_SB_SB_EEDaSZ_S10_SG_SL_EUlSZ_E_NS1_11comp_targetILNS1_3genE10ELNS1_11target_archE1201ELNS1_3gpuE5ELNS1_3repE0EEENS1_47radix_sort_onesweep_sort_config_static_selectorELNS0_4arch9wavefront6targetE0EEEvSG_,comdat
	.protected	_ZN7rocprim17ROCPRIM_400000_NS6detail17trampoline_kernelINS0_14default_configENS1_35radix_sort_onesweep_config_selectorIfNS0_10empty_typeEEEZZNS1_29radix_sort_onesweep_iterationIS3_Lb1EPKfPfPS5_SB_mNS0_19identity_decomposerENS1_16block_id_wrapperIjLb0EEEEE10hipError_tT1_PNSt15iterator_traitsISG_E10value_typeET2_T3_PNSH_ISM_E10value_typeET4_T5_PSR_SS_PNS1_23onesweep_lookback_stateEbbT6_jjT7_P12ihipStream_tbENKUlT_T0_SG_SL_E_clIS9_SA_SB_SB_EEDaSZ_S10_SG_SL_EUlSZ_E_NS1_11comp_targetILNS1_3genE10ELNS1_11target_archE1201ELNS1_3gpuE5ELNS1_3repE0EEENS1_47radix_sort_onesweep_sort_config_static_selectorELNS0_4arch9wavefront6targetE0EEEvSG_ ; -- Begin function _ZN7rocprim17ROCPRIM_400000_NS6detail17trampoline_kernelINS0_14default_configENS1_35radix_sort_onesweep_config_selectorIfNS0_10empty_typeEEEZZNS1_29radix_sort_onesweep_iterationIS3_Lb1EPKfPfPS5_SB_mNS0_19identity_decomposerENS1_16block_id_wrapperIjLb0EEEEE10hipError_tT1_PNSt15iterator_traitsISG_E10value_typeET2_T3_PNSH_ISM_E10value_typeET4_T5_PSR_SS_PNS1_23onesweep_lookback_stateEbbT6_jjT7_P12ihipStream_tbENKUlT_T0_SG_SL_E_clIS9_SA_SB_SB_EEDaSZ_S10_SG_SL_EUlSZ_E_NS1_11comp_targetILNS1_3genE10ELNS1_11target_archE1201ELNS1_3gpuE5ELNS1_3repE0EEENS1_47radix_sort_onesweep_sort_config_static_selectorELNS0_4arch9wavefront6targetE0EEEvSG_
	.globl	_ZN7rocprim17ROCPRIM_400000_NS6detail17trampoline_kernelINS0_14default_configENS1_35radix_sort_onesweep_config_selectorIfNS0_10empty_typeEEEZZNS1_29radix_sort_onesweep_iterationIS3_Lb1EPKfPfPS5_SB_mNS0_19identity_decomposerENS1_16block_id_wrapperIjLb0EEEEE10hipError_tT1_PNSt15iterator_traitsISG_E10value_typeET2_T3_PNSH_ISM_E10value_typeET4_T5_PSR_SS_PNS1_23onesweep_lookback_stateEbbT6_jjT7_P12ihipStream_tbENKUlT_T0_SG_SL_E_clIS9_SA_SB_SB_EEDaSZ_S10_SG_SL_EUlSZ_E_NS1_11comp_targetILNS1_3genE10ELNS1_11target_archE1201ELNS1_3gpuE5ELNS1_3repE0EEENS1_47radix_sort_onesweep_sort_config_static_selectorELNS0_4arch9wavefront6targetE0EEEvSG_
	.p2align	8
	.type	_ZN7rocprim17ROCPRIM_400000_NS6detail17trampoline_kernelINS0_14default_configENS1_35radix_sort_onesweep_config_selectorIfNS0_10empty_typeEEEZZNS1_29radix_sort_onesweep_iterationIS3_Lb1EPKfPfPS5_SB_mNS0_19identity_decomposerENS1_16block_id_wrapperIjLb0EEEEE10hipError_tT1_PNSt15iterator_traitsISG_E10value_typeET2_T3_PNSH_ISM_E10value_typeET4_T5_PSR_SS_PNS1_23onesweep_lookback_stateEbbT6_jjT7_P12ihipStream_tbENKUlT_T0_SG_SL_E_clIS9_SA_SB_SB_EEDaSZ_S10_SG_SL_EUlSZ_E_NS1_11comp_targetILNS1_3genE10ELNS1_11target_archE1201ELNS1_3gpuE5ELNS1_3repE0EEENS1_47radix_sort_onesweep_sort_config_static_selectorELNS0_4arch9wavefront6targetE0EEEvSG_,@function
_ZN7rocprim17ROCPRIM_400000_NS6detail17trampoline_kernelINS0_14default_configENS1_35radix_sort_onesweep_config_selectorIfNS0_10empty_typeEEEZZNS1_29radix_sort_onesweep_iterationIS3_Lb1EPKfPfPS5_SB_mNS0_19identity_decomposerENS1_16block_id_wrapperIjLb0EEEEE10hipError_tT1_PNSt15iterator_traitsISG_E10value_typeET2_T3_PNSH_ISM_E10value_typeET4_T5_PSR_SS_PNS1_23onesweep_lookback_stateEbbT6_jjT7_P12ihipStream_tbENKUlT_T0_SG_SL_E_clIS9_SA_SB_SB_EEDaSZ_S10_SG_SL_EUlSZ_E_NS1_11comp_targetILNS1_3genE10ELNS1_11target_archE1201ELNS1_3gpuE5ELNS1_3repE0EEENS1_47radix_sort_onesweep_sort_config_static_selectorELNS0_4arch9wavefront6targetE0EEEvSG_: ; @_ZN7rocprim17ROCPRIM_400000_NS6detail17trampoline_kernelINS0_14default_configENS1_35radix_sort_onesweep_config_selectorIfNS0_10empty_typeEEEZZNS1_29radix_sort_onesweep_iterationIS3_Lb1EPKfPfPS5_SB_mNS0_19identity_decomposerENS1_16block_id_wrapperIjLb0EEEEE10hipError_tT1_PNSt15iterator_traitsISG_E10value_typeET2_T3_PNSH_ISM_E10value_typeET4_T5_PSR_SS_PNS1_23onesweep_lookback_stateEbbT6_jjT7_P12ihipStream_tbENKUlT_T0_SG_SL_E_clIS9_SA_SB_SB_EEDaSZ_S10_SG_SL_EUlSZ_E_NS1_11comp_targetILNS1_3genE10ELNS1_11target_archE1201ELNS1_3gpuE5ELNS1_3repE0EEENS1_47radix_sort_onesweep_sort_config_static_selectorELNS0_4arch9wavefront6targetE0EEEvSG_
; %bb.0:
	.section	.rodata,"a",@progbits
	.p2align	6, 0x0
	.amdhsa_kernel _ZN7rocprim17ROCPRIM_400000_NS6detail17trampoline_kernelINS0_14default_configENS1_35radix_sort_onesweep_config_selectorIfNS0_10empty_typeEEEZZNS1_29radix_sort_onesweep_iterationIS3_Lb1EPKfPfPS5_SB_mNS0_19identity_decomposerENS1_16block_id_wrapperIjLb0EEEEE10hipError_tT1_PNSt15iterator_traitsISG_E10value_typeET2_T3_PNSH_ISM_E10value_typeET4_T5_PSR_SS_PNS1_23onesweep_lookback_stateEbbT6_jjT7_P12ihipStream_tbENKUlT_T0_SG_SL_E_clIS9_SA_SB_SB_EEDaSZ_S10_SG_SL_EUlSZ_E_NS1_11comp_targetILNS1_3genE10ELNS1_11target_archE1201ELNS1_3gpuE5ELNS1_3repE0EEENS1_47radix_sort_onesweep_sort_config_static_selectorELNS0_4arch9wavefront6targetE0EEEvSG_
		.amdhsa_group_segment_fixed_size 0
		.amdhsa_private_segment_fixed_size 0
		.amdhsa_kernarg_size 88
		.amdhsa_user_sgpr_count 2
		.amdhsa_user_sgpr_dispatch_ptr 0
		.amdhsa_user_sgpr_queue_ptr 0
		.amdhsa_user_sgpr_kernarg_segment_ptr 1
		.amdhsa_user_sgpr_dispatch_id 0
		.amdhsa_user_sgpr_kernarg_preload_length 0
		.amdhsa_user_sgpr_kernarg_preload_offset 0
		.amdhsa_user_sgpr_private_segment_size 0
		.amdhsa_wavefront_size32 1
		.amdhsa_uses_dynamic_stack 0
		.amdhsa_enable_private_segment 0
		.amdhsa_system_sgpr_workgroup_id_x 1
		.amdhsa_system_sgpr_workgroup_id_y 0
		.amdhsa_system_sgpr_workgroup_id_z 0
		.amdhsa_system_sgpr_workgroup_info 0
		.amdhsa_system_vgpr_workitem_id 0
		.amdhsa_next_free_vgpr 1
		.amdhsa_next_free_sgpr 1
		.amdhsa_named_barrier_count 0
		.amdhsa_reserve_vcc 0
		.amdhsa_float_round_mode_32 0
		.amdhsa_float_round_mode_16_64 0
		.amdhsa_float_denorm_mode_32 3
		.amdhsa_float_denorm_mode_16_64 3
		.amdhsa_fp16_overflow 0
		.amdhsa_memory_ordered 1
		.amdhsa_forward_progress 1
		.amdhsa_inst_pref_size 0
		.amdhsa_round_robin_scheduling 0
		.amdhsa_exception_fp_ieee_invalid_op 0
		.amdhsa_exception_fp_denorm_src 0
		.amdhsa_exception_fp_ieee_div_zero 0
		.amdhsa_exception_fp_ieee_overflow 0
		.amdhsa_exception_fp_ieee_underflow 0
		.amdhsa_exception_fp_ieee_inexact 0
		.amdhsa_exception_int_div_zero 0
	.end_amdhsa_kernel
	.section	.text._ZN7rocprim17ROCPRIM_400000_NS6detail17trampoline_kernelINS0_14default_configENS1_35radix_sort_onesweep_config_selectorIfNS0_10empty_typeEEEZZNS1_29radix_sort_onesweep_iterationIS3_Lb1EPKfPfPS5_SB_mNS0_19identity_decomposerENS1_16block_id_wrapperIjLb0EEEEE10hipError_tT1_PNSt15iterator_traitsISG_E10value_typeET2_T3_PNSH_ISM_E10value_typeET4_T5_PSR_SS_PNS1_23onesweep_lookback_stateEbbT6_jjT7_P12ihipStream_tbENKUlT_T0_SG_SL_E_clIS9_SA_SB_SB_EEDaSZ_S10_SG_SL_EUlSZ_E_NS1_11comp_targetILNS1_3genE10ELNS1_11target_archE1201ELNS1_3gpuE5ELNS1_3repE0EEENS1_47radix_sort_onesweep_sort_config_static_selectorELNS0_4arch9wavefront6targetE0EEEvSG_,"axG",@progbits,_ZN7rocprim17ROCPRIM_400000_NS6detail17trampoline_kernelINS0_14default_configENS1_35radix_sort_onesweep_config_selectorIfNS0_10empty_typeEEEZZNS1_29radix_sort_onesweep_iterationIS3_Lb1EPKfPfPS5_SB_mNS0_19identity_decomposerENS1_16block_id_wrapperIjLb0EEEEE10hipError_tT1_PNSt15iterator_traitsISG_E10value_typeET2_T3_PNSH_ISM_E10value_typeET4_T5_PSR_SS_PNS1_23onesweep_lookback_stateEbbT6_jjT7_P12ihipStream_tbENKUlT_T0_SG_SL_E_clIS9_SA_SB_SB_EEDaSZ_S10_SG_SL_EUlSZ_E_NS1_11comp_targetILNS1_3genE10ELNS1_11target_archE1201ELNS1_3gpuE5ELNS1_3repE0EEENS1_47radix_sort_onesweep_sort_config_static_selectorELNS0_4arch9wavefront6targetE0EEEvSG_,comdat
.Lfunc_end1343:
	.size	_ZN7rocprim17ROCPRIM_400000_NS6detail17trampoline_kernelINS0_14default_configENS1_35radix_sort_onesweep_config_selectorIfNS0_10empty_typeEEEZZNS1_29radix_sort_onesweep_iterationIS3_Lb1EPKfPfPS5_SB_mNS0_19identity_decomposerENS1_16block_id_wrapperIjLb0EEEEE10hipError_tT1_PNSt15iterator_traitsISG_E10value_typeET2_T3_PNSH_ISM_E10value_typeET4_T5_PSR_SS_PNS1_23onesweep_lookback_stateEbbT6_jjT7_P12ihipStream_tbENKUlT_T0_SG_SL_E_clIS9_SA_SB_SB_EEDaSZ_S10_SG_SL_EUlSZ_E_NS1_11comp_targetILNS1_3genE10ELNS1_11target_archE1201ELNS1_3gpuE5ELNS1_3repE0EEENS1_47radix_sort_onesweep_sort_config_static_selectorELNS0_4arch9wavefront6targetE0EEEvSG_, .Lfunc_end1343-_ZN7rocprim17ROCPRIM_400000_NS6detail17trampoline_kernelINS0_14default_configENS1_35radix_sort_onesweep_config_selectorIfNS0_10empty_typeEEEZZNS1_29radix_sort_onesweep_iterationIS3_Lb1EPKfPfPS5_SB_mNS0_19identity_decomposerENS1_16block_id_wrapperIjLb0EEEEE10hipError_tT1_PNSt15iterator_traitsISG_E10value_typeET2_T3_PNSH_ISM_E10value_typeET4_T5_PSR_SS_PNS1_23onesweep_lookback_stateEbbT6_jjT7_P12ihipStream_tbENKUlT_T0_SG_SL_E_clIS9_SA_SB_SB_EEDaSZ_S10_SG_SL_EUlSZ_E_NS1_11comp_targetILNS1_3genE10ELNS1_11target_archE1201ELNS1_3gpuE5ELNS1_3repE0EEENS1_47radix_sort_onesweep_sort_config_static_selectorELNS0_4arch9wavefront6targetE0EEEvSG_
                                        ; -- End function
	.set _ZN7rocprim17ROCPRIM_400000_NS6detail17trampoline_kernelINS0_14default_configENS1_35radix_sort_onesweep_config_selectorIfNS0_10empty_typeEEEZZNS1_29radix_sort_onesweep_iterationIS3_Lb1EPKfPfPS5_SB_mNS0_19identity_decomposerENS1_16block_id_wrapperIjLb0EEEEE10hipError_tT1_PNSt15iterator_traitsISG_E10value_typeET2_T3_PNSH_ISM_E10value_typeET4_T5_PSR_SS_PNS1_23onesweep_lookback_stateEbbT6_jjT7_P12ihipStream_tbENKUlT_T0_SG_SL_E_clIS9_SA_SB_SB_EEDaSZ_S10_SG_SL_EUlSZ_E_NS1_11comp_targetILNS1_3genE10ELNS1_11target_archE1201ELNS1_3gpuE5ELNS1_3repE0EEENS1_47radix_sort_onesweep_sort_config_static_selectorELNS0_4arch9wavefront6targetE0EEEvSG_.num_vgpr, 0
	.set _ZN7rocprim17ROCPRIM_400000_NS6detail17trampoline_kernelINS0_14default_configENS1_35radix_sort_onesweep_config_selectorIfNS0_10empty_typeEEEZZNS1_29radix_sort_onesweep_iterationIS3_Lb1EPKfPfPS5_SB_mNS0_19identity_decomposerENS1_16block_id_wrapperIjLb0EEEEE10hipError_tT1_PNSt15iterator_traitsISG_E10value_typeET2_T3_PNSH_ISM_E10value_typeET4_T5_PSR_SS_PNS1_23onesweep_lookback_stateEbbT6_jjT7_P12ihipStream_tbENKUlT_T0_SG_SL_E_clIS9_SA_SB_SB_EEDaSZ_S10_SG_SL_EUlSZ_E_NS1_11comp_targetILNS1_3genE10ELNS1_11target_archE1201ELNS1_3gpuE5ELNS1_3repE0EEENS1_47radix_sort_onesweep_sort_config_static_selectorELNS0_4arch9wavefront6targetE0EEEvSG_.num_agpr, 0
	.set _ZN7rocprim17ROCPRIM_400000_NS6detail17trampoline_kernelINS0_14default_configENS1_35radix_sort_onesweep_config_selectorIfNS0_10empty_typeEEEZZNS1_29radix_sort_onesweep_iterationIS3_Lb1EPKfPfPS5_SB_mNS0_19identity_decomposerENS1_16block_id_wrapperIjLb0EEEEE10hipError_tT1_PNSt15iterator_traitsISG_E10value_typeET2_T3_PNSH_ISM_E10value_typeET4_T5_PSR_SS_PNS1_23onesweep_lookback_stateEbbT6_jjT7_P12ihipStream_tbENKUlT_T0_SG_SL_E_clIS9_SA_SB_SB_EEDaSZ_S10_SG_SL_EUlSZ_E_NS1_11comp_targetILNS1_3genE10ELNS1_11target_archE1201ELNS1_3gpuE5ELNS1_3repE0EEENS1_47radix_sort_onesweep_sort_config_static_selectorELNS0_4arch9wavefront6targetE0EEEvSG_.numbered_sgpr, 0
	.set _ZN7rocprim17ROCPRIM_400000_NS6detail17trampoline_kernelINS0_14default_configENS1_35radix_sort_onesweep_config_selectorIfNS0_10empty_typeEEEZZNS1_29radix_sort_onesweep_iterationIS3_Lb1EPKfPfPS5_SB_mNS0_19identity_decomposerENS1_16block_id_wrapperIjLb0EEEEE10hipError_tT1_PNSt15iterator_traitsISG_E10value_typeET2_T3_PNSH_ISM_E10value_typeET4_T5_PSR_SS_PNS1_23onesweep_lookback_stateEbbT6_jjT7_P12ihipStream_tbENKUlT_T0_SG_SL_E_clIS9_SA_SB_SB_EEDaSZ_S10_SG_SL_EUlSZ_E_NS1_11comp_targetILNS1_3genE10ELNS1_11target_archE1201ELNS1_3gpuE5ELNS1_3repE0EEENS1_47radix_sort_onesweep_sort_config_static_selectorELNS0_4arch9wavefront6targetE0EEEvSG_.num_named_barrier, 0
	.set _ZN7rocprim17ROCPRIM_400000_NS6detail17trampoline_kernelINS0_14default_configENS1_35radix_sort_onesweep_config_selectorIfNS0_10empty_typeEEEZZNS1_29radix_sort_onesweep_iterationIS3_Lb1EPKfPfPS5_SB_mNS0_19identity_decomposerENS1_16block_id_wrapperIjLb0EEEEE10hipError_tT1_PNSt15iterator_traitsISG_E10value_typeET2_T3_PNSH_ISM_E10value_typeET4_T5_PSR_SS_PNS1_23onesweep_lookback_stateEbbT6_jjT7_P12ihipStream_tbENKUlT_T0_SG_SL_E_clIS9_SA_SB_SB_EEDaSZ_S10_SG_SL_EUlSZ_E_NS1_11comp_targetILNS1_3genE10ELNS1_11target_archE1201ELNS1_3gpuE5ELNS1_3repE0EEENS1_47radix_sort_onesweep_sort_config_static_selectorELNS0_4arch9wavefront6targetE0EEEvSG_.private_seg_size, 0
	.set _ZN7rocprim17ROCPRIM_400000_NS6detail17trampoline_kernelINS0_14default_configENS1_35radix_sort_onesweep_config_selectorIfNS0_10empty_typeEEEZZNS1_29radix_sort_onesweep_iterationIS3_Lb1EPKfPfPS5_SB_mNS0_19identity_decomposerENS1_16block_id_wrapperIjLb0EEEEE10hipError_tT1_PNSt15iterator_traitsISG_E10value_typeET2_T3_PNSH_ISM_E10value_typeET4_T5_PSR_SS_PNS1_23onesweep_lookback_stateEbbT6_jjT7_P12ihipStream_tbENKUlT_T0_SG_SL_E_clIS9_SA_SB_SB_EEDaSZ_S10_SG_SL_EUlSZ_E_NS1_11comp_targetILNS1_3genE10ELNS1_11target_archE1201ELNS1_3gpuE5ELNS1_3repE0EEENS1_47radix_sort_onesweep_sort_config_static_selectorELNS0_4arch9wavefront6targetE0EEEvSG_.uses_vcc, 0
	.set _ZN7rocprim17ROCPRIM_400000_NS6detail17trampoline_kernelINS0_14default_configENS1_35radix_sort_onesweep_config_selectorIfNS0_10empty_typeEEEZZNS1_29radix_sort_onesweep_iterationIS3_Lb1EPKfPfPS5_SB_mNS0_19identity_decomposerENS1_16block_id_wrapperIjLb0EEEEE10hipError_tT1_PNSt15iterator_traitsISG_E10value_typeET2_T3_PNSH_ISM_E10value_typeET4_T5_PSR_SS_PNS1_23onesweep_lookback_stateEbbT6_jjT7_P12ihipStream_tbENKUlT_T0_SG_SL_E_clIS9_SA_SB_SB_EEDaSZ_S10_SG_SL_EUlSZ_E_NS1_11comp_targetILNS1_3genE10ELNS1_11target_archE1201ELNS1_3gpuE5ELNS1_3repE0EEENS1_47radix_sort_onesweep_sort_config_static_selectorELNS0_4arch9wavefront6targetE0EEEvSG_.uses_flat_scratch, 0
	.set _ZN7rocprim17ROCPRIM_400000_NS6detail17trampoline_kernelINS0_14default_configENS1_35radix_sort_onesweep_config_selectorIfNS0_10empty_typeEEEZZNS1_29radix_sort_onesweep_iterationIS3_Lb1EPKfPfPS5_SB_mNS0_19identity_decomposerENS1_16block_id_wrapperIjLb0EEEEE10hipError_tT1_PNSt15iterator_traitsISG_E10value_typeET2_T3_PNSH_ISM_E10value_typeET4_T5_PSR_SS_PNS1_23onesweep_lookback_stateEbbT6_jjT7_P12ihipStream_tbENKUlT_T0_SG_SL_E_clIS9_SA_SB_SB_EEDaSZ_S10_SG_SL_EUlSZ_E_NS1_11comp_targetILNS1_3genE10ELNS1_11target_archE1201ELNS1_3gpuE5ELNS1_3repE0EEENS1_47radix_sort_onesweep_sort_config_static_selectorELNS0_4arch9wavefront6targetE0EEEvSG_.has_dyn_sized_stack, 0
	.set _ZN7rocprim17ROCPRIM_400000_NS6detail17trampoline_kernelINS0_14default_configENS1_35radix_sort_onesweep_config_selectorIfNS0_10empty_typeEEEZZNS1_29radix_sort_onesweep_iterationIS3_Lb1EPKfPfPS5_SB_mNS0_19identity_decomposerENS1_16block_id_wrapperIjLb0EEEEE10hipError_tT1_PNSt15iterator_traitsISG_E10value_typeET2_T3_PNSH_ISM_E10value_typeET4_T5_PSR_SS_PNS1_23onesweep_lookback_stateEbbT6_jjT7_P12ihipStream_tbENKUlT_T0_SG_SL_E_clIS9_SA_SB_SB_EEDaSZ_S10_SG_SL_EUlSZ_E_NS1_11comp_targetILNS1_3genE10ELNS1_11target_archE1201ELNS1_3gpuE5ELNS1_3repE0EEENS1_47radix_sort_onesweep_sort_config_static_selectorELNS0_4arch9wavefront6targetE0EEEvSG_.has_recursion, 0
	.set _ZN7rocprim17ROCPRIM_400000_NS6detail17trampoline_kernelINS0_14default_configENS1_35radix_sort_onesweep_config_selectorIfNS0_10empty_typeEEEZZNS1_29radix_sort_onesweep_iterationIS3_Lb1EPKfPfPS5_SB_mNS0_19identity_decomposerENS1_16block_id_wrapperIjLb0EEEEE10hipError_tT1_PNSt15iterator_traitsISG_E10value_typeET2_T3_PNSH_ISM_E10value_typeET4_T5_PSR_SS_PNS1_23onesweep_lookback_stateEbbT6_jjT7_P12ihipStream_tbENKUlT_T0_SG_SL_E_clIS9_SA_SB_SB_EEDaSZ_S10_SG_SL_EUlSZ_E_NS1_11comp_targetILNS1_3genE10ELNS1_11target_archE1201ELNS1_3gpuE5ELNS1_3repE0EEENS1_47radix_sort_onesweep_sort_config_static_selectorELNS0_4arch9wavefront6targetE0EEEvSG_.has_indirect_call, 0
	.section	.AMDGPU.csdata,"",@progbits
; Kernel info:
; codeLenInByte = 0
; TotalNumSgprs: 0
; NumVgprs: 0
; ScratchSize: 0
; MemoryBound: 0
; FloatMode: 240
; IeeeMode: 1
; LDSByteSize: 0 bytes/workgroup (compile time only)
; SGPRBlocks: 0
; VGPRBlocks: 0
; NumSGPRsForWavesPerEU: 1
; NumVGPRsForWavesPerEU: 1
; NamedBarCnt: 0
; Occupancy: 16
; WaveLimiterHint : 0
; COMPUTE_PGM_RSRC2:SCRATCH_EN: 0
; COMPUTE_PGM_RSRC2:USER_SGPR: 2
; COMPUTE_PGM_RSRC2:TRAP_HANDLER: 0
; COMPUTE_PGM_RSRC2:TGID_X_EN: 1
; COMPUTE_PGM_RSRC2:TGID_Y_EN: 0
; COMPUTE_PGM_RSRC2:TGID_Z_EN: 0
; COMPUTE_PGM_RSRC2:TIDIG_COMP_CNT: 0
	.section	.text._ZN7rocprim17ROCPRIM_400000_NS6detail17trampoline_kernelINS0_14default_configENS1_35radix_sort_onesweep_config_selectorIfNS0_10empty_typeEEEZZNS1_29radix_sort_onesweep_iterationIS3_Lb1EPKfPfPS5_SB_mNS0_19identity_decomposerENS1_16block_id_wrapperIjLb0EEEEE10hipError_tT1_PNSt15iterator_traitsISG_E10value_typeET2_T3_PNSH_ISM_E10value_typeET4_T5_PSR_SS_PNS1_23onesweep_lookback_stateEbbT6_jjT7_P12ihipStream_tbENKUlT_T0_SG_SL_E_clIS9_SA_SB_SB_EEDaSZ_S10_SG_SL_EUlSZ_E_NS1_11comp_targetILNS1_3genE9ELNS1_11target_archE1100ELNS1_3gpuE3ELNS1_3repE0EEENS1_47radix_sort_onesweep_sort_config_static_selectorELNS0_4arch9wavefront6targetE0EEEvSG_,"axG",@progbits,_ZN7rocprim17ROCPRIM_400000_NS6detail17trampoline_kernelINS0_14default_configENS1_35radix_sort_onesweep_config_selectorIfNS0_10empty_typeEEEZZNS1_29radix_sort_onesweep_iterationIS3_Lb1EPKfPfPS5_SB_mNS0_19identity_decomposerENS1_16block_id_wrapperIjLb0EEEEE10hipError_tT1_PNSt15iterator_traitsISG_E10value_typeET2_T3_PNSH_ISM_E10value_typeET4_T5_PSR_SS_PNS1_23onesweep_lookback_stateEbbT6_jjT7_P12ihipStream_tbENKUlT_T0_SG_SL_E_clIS9_SA_SB_SB_EEDaSZ_S10_SG_SL_EUlSZ_E_NS1_11comp_targetILNS1_3genE9ELNS1_11target_archE1100ELNS1_3gpuE3ELNS1_3repE0EEENS1_47radix_sort_onesweep_sort_config_static_selectorELNS0_4arch9wavefront6targetE0EEEvSG_,comdat
	.protected	_ZN7rocprim17ROCPRIM_400000_NS6detail17trampoline_kernelINS0_14default_configENS1_35radix_sort_onesweep_config_selectorIfNS0_10empty_typeEEEZZNS1_29radix_sort_onesweep_iterationIS3_Lb1EPKfPfPS5_SB_mNS0_19identity_decomposerENS1_16block_id_wrapperIjLb0EEEEE10hipError_tT1_PNSt15iterator_traitsISG_E10value_typeET2_T3_PNSH_ISM_E10value_typeET4_T5_PSR_SS_PNS1_23onesweep_lookback_stateEbbT6_jjT7_P12ihipStream_tbENKUlT_T0_SG_SL_E_clIS9_SA_SB_SB_EEDaSZ_S10_SG_SL_EUlSZ_E_NS1_11comp_targetILNS1_3genE9ELNS1_11target_archE1100ELNS1_3gpuE3ELNS1_3repE0EEENS1_47radix_sort_onesweep_sort_config_static_selectorELNS0_4arch9wavefront6targetE0EEEvSG_ ; -- Begin function _ZN7rocprim17ROCPRIM_400000_NS6detail17trampoline_kernelINS0_14default_configENS1_35radix_sort_onesweep_config_selectorIfNS0_10empty_typeEEEZZNS1_29radix_sort_onesweep_iterationIS3_Lb1EPKfPfPS5_SB_mNS0_19identity_decomposerENS1_16block_id_wrapperIjLb0EEEEE10hipError_tT1_PNSt15iterator_traitsISG_E10value_typeET2_T3_PNSH_ISM_E10value_typeET4_T5_PSR_SS_PNS1_23onesweep_lookback_stateEbbT6_jjT7_P12ihipStream_tbENKUlT_T0_SG_SL_E_clIS9_SA_SB_SB_EEDaSZ_S10_SG_SL_EUlSZ_E_NS1_11comp_targetILNS1_3genE9ELNS1_11target_archE1100ELNS1_3gpuE3ELNS1_3repE0EEENS1_47radix_sort_onesweep_sort_config_static_selectorELNS0_4arch9wavefront6targetE0EEEvSG_
	.globl	_ZN7rocprim17ROCPRIM_400000_NS6detail17trampoline_kernelINS0_14default_configENS1_35radix_sort_onesweep_config_selectorIfNS0_10empty_typeEEEZZNS1_29radix_sort_onesweep_iterationIS3_Lb1EPKfPfPS5_SB_mNS0_19identity_decomposerENS1_16block_id_wrapperIjLb0EEEEE10hipError_tT1_PNSt15iterator_traitsISG_E10value_typeET2_T3_PNSH_ISM_E10value_typeET4_T5_PSR_SS_PNS1_23onesweep_lookback_stateEbbT6_jjT7_P12ihipStream_tbENKUlT_T0_SG_SL_E_clIS9_SA_SB_SB_EEDaSZ_S10_SG_SL_EUlSZ_E_NS1_11comp_targetILNS1_3genE9ELNS1_11target_archE1100ELNS1_3gpuE3ELNS1_3repE0EEENS1_47radix_sort_onesweep_sort_config_static_selectorELNS0_4arch9wavefront6targetE0EEEvSG_
	.p2align	8
	.type	_ZN7rocprim17ROCPRIM_400000_NS6detail17trampoline_kernelINS0_14default_configENS1_35radix_sort_onesweep_config_selectorIfNS0_10empty_typeEEEZZNS1_29radix_sort_onesweep_iterationIS3_Lb1EPKfPfPS5_SB_mNS0_19identity_decomposerENS1_16block_id_wrapperIjLb0EEEEE10hipError_tT1_PNSt15iterator_traitsISG_E10value_typeET2_T3_PNSH_ISM_E10value_typeET4_T5_PSR_SS_PNS1_23onesweep_lookback_stateEbbT6_jjT7_P12ihipStream_tbENKUlT_T0_SG_SL_E_clIS9_SA_SB_SB_EEDaSZ_S10_SG_SL_EUlSZ_E_NS1_11comp_targetILNS1_3genE9ELNS1_11target_archE1100ELNS1_3gpuE3ELNS1_3repE0EEENS1_47radix_sort_onesweep_sort_config_static_selectorELNS0_4arch9wavefront6targetE0EEEvSG_,@function
_ZN7rocprim17ROCPRIM_400000_NS6detail17trampoline_kernelINS0_14default_configENS1_35radix_sort_onesweep_config_selectorIfNS0_10empty_typeEEEZZNS1_29radix_sort_onesweep_iterationIS3_Lb1EPKfPfPS5_SB_mNS0_19identity_decomposerENS1_16block_id_wrapperIjLb0EEEEE10hipError_tT1_PNSt15iterator_traitsISG_E10value_typeET2_T3_PNSH_ISM_E10value_typeET4_T5_PSR_SS_PNS1_23onesweep_lookback_stateEbbT6_jjT7_P12ihipStream_tbENKUlT_T0_SG_SL_E_clIS9_SA_SB_SB_EEDaSZ_S10_SG_SL_EUlSZ_E_NS1_11comp_targetILNS1_3genE9ELNS1_11target_archE1100ELNS1_3gpuE3ELNS1_3repE0EEENS1_47radix_sort_onesweep_sort_config_static_selectorELNS0_4arch9wavefront6targetE0EEEvSG_: ; @_ZN7rocprim17ROCPRIM_400000_NS6detail17trampoline_kernelINS0_14default_configENS1_35radix_sort_onesweep_config_selectorIfNS0_10empty_typeEEEZZNS1_29radix_sort_onesweep_iterationIS3_Lb1EPKfPfPS5_SB_mNS0_19identity_decomposerENS1_16block_id_wrapperIjLb0EEEEE10hipError_tT1_PNSt15iterator_traitsISG_E10value_typeET2_T3_PNSH_ISM_E10value_typeET4_T5_PSR_SS_PNS1_23onesweep_lookback_stateEbbT6_jjT7_P12ihipStream_tbENKUlT_T0_SG_SL_E_clIS9_SA_SB_SB_EEDaSZ_S10_SG_SL_EUlSZ_E_NS1_11comp_targetILNS1_3genE9ELNS1_11target_archE1100ELNS1_3gpuE3ELNS1_3repE0EEENS1_47radix_sort_onesweep_sort_config_static_selectorELNS0_4arch9wavefront6targetE0EEEvSG_
; %bb.0:
	.section	.rodata,"a",@progbits
	.p2align	6, 0x0
	.amdhsa_kernel _ZN7rocprim17ROCPRIM_400000_NS6detail17trampoline_kernelINS0_14default_configENS1_35radix_sort_onesweep_config_selectorIfNS0_10empty_typeEEEZZNS1_29radix_sort_onesweep_iterationIS3_Lb1EPKfPfPS5_SB_mNS0_19identity_decomposerENS1_16block_id_wrapperIjLb0EEEEE10hipError_tT1_PNSt15iterator_traitsISG_E10value_typeET2_T3_PNSH_ISM_E10value_typeET4_T5_PSR_SS_PNS1_23onesweep_lookback_stateEbbT6_jjT7_P12ihipStream_tbENKUlT_T0_SG_SL_E_clIS9_SA_SB_SB_EEDaSZ_S10_SG_SL_EUlSZ_E_NS1_11comp_targetILNS1_3genE9ELNS1_11target_archE1100ELNS1_3gpuE3ELNS1_3repE0EEENS1_47radix_sort_onesweep_sort_config_static_selectorELNS0_4arch9wavefront6targetE0EEEvSG_
		.amdhsa_group_segment_fixed_size 0
		.amdhsa_private_segment_fixed_size 0
		.amdhsa_kernarg_size 88
		.amdhsa_user_sgpr_count 2
		.amdhsa_user_sgpr_dispatch_ptr 0
		.amdhsa_user_sgpr_queue_ptr 0
		.amdhsa_user_sgpr_kernarg_segment_ptr 1
		.amdhsa_user_sgpr_dispatch_id 0
		.amdhsa_user_sgpr_kernarg_preload_length 0
		.amdhsa_user_sgpr_kernarg_preload_offset 0
		.amdhsa_user_sgpr_private_segment_size 0
		.amdhsa_wavefront_size32 1
		.amdhsa_uses_dynamic_stack 0
		.amdhsa_enable_private_segment 0
		.amdhsa_system_sgpr_workgroup_id_x 1
		.amdhsa_system_sgpr_workgroup_id_y 0
		.amdhsa_system_sgpr_workgroup_id_z 0
		.amdhsa_system_sgpr_workgroup_info 0
		.amdhsa_system_vgpr_workitem_id 0
		.amdhsa_next_free_vgpr 1
		.amdhsa_next_free_sgpr 1
		.amdhsa_named_barrier_count 0
		.amdhsa_reserve_vcc 0
		.amdhsa_float_round_mode_32 0
		.amdhsa_float_round_mode_16_64 0
		.amdhsa_float_denorm_mode_32 3
		.amdhsa_float_denorm_mode_16_64 3
		.amdhsa_fp16_overflow 0
		.amdhsa_memory_ordered 1
		.amdhsa_forward_progress 1
		.amdhsa_inst_pref_size 0
		.amdhsa_round_robin_scheduling 0
		.amdhsa_exception_fp_ieee_invalid_op 0
		.amdhsa_exception_fp_denorm_src 0
		.amdhsa_exception_fp_ieee_div_zero 0
		.amdhsa_exception_fp_ieee_overflow 0
		.amdhsa_exception_fp_ieee_underflow 0
		.amdhsa_exception_fp_ieee_inexact 0
		.amdhsa_exception_int_div_zero 0
	.end_amdhsa_kernel
	.section	.text._ZN7rocprim17ROCPRIM_400000_NS6detail17trampoline_kernelINS0_14default_configENS1_35radix_sort_onesweep_config_selectorIfNS0_10empty_typeEEEZZNS1_29radix_sort_onesweep_iterationIS3_Lb1EPKfPfPS5_SB_mNS0_19identity_decomposerENS1_16block_id_wrapperIjLb0EEEEE10hipError_tT1_PNSt15iterator_traitsISG_E10value_typeET2_T3_PNSH_ISM_E10value_typeET4_T5_PSR_SS_PNS1_23onesweep_lookback_stateEbbT6_jjT7_P12ihipStream_tbENKUlT_T0_SG_SL_E_clIS9_SA_SB_SB_EEDaSZ_S10_SG_SL_EUlSZ_E_NS1_11comp_targetILNS1_3genE9ELNS1_11target_archE1100ELNS1_3gpuE3ELNS1_3repE0EEENS1_47radix_sort_onesweep_sort_config_static_selectorELNS0_4arch9wavefront6targetE0EEEvSG_,"axG",@progbits,_ZN7rocprim17ROCPRIM_400000_NS6detail17trampoline_kernelINS0_14default_configENS1_35radix_sort_onesweep_config_selectorIfNS0_10empty_typeEEEZZNS1_29radix_sort_onesweep_iterationIS3_Lb1EPKfPfPS5_SB_mNS0_19identity_decomposerENS1_16block_id_wrapperIjLb0EEEEE10hipError_tT1_PNSt15iterator_traitsISG_E10value_typeET2_T3_PNSH_ISM_E10value_typeET4_T5_PSR_SS_PNS1_23onesweep_lookback_stateEbbT6_jjT7_P12ihipStream_tbENKUlT_T0_SG_SL_E_clIS9_SA_SB_SB_EEDaSZ_S10_SG_SL_EUlSZ_E_NS1_11comp_targetILNS1_3genE9ELNS1_11target_archE1100ELNS1_3gpuE3ELNS1_3repE0EEENS1_47radix_sort_onesweep_sort_config_static_selectorELNS0_4arch9wavefront6targetE0EEEvSG_,comdat
.Lfunc_end1344:
	.size	_ZN7rocprim17ROCPRIM_400000_NS6detail17trampoline_kernelINS0_14default_configENS1_35radix_sort_onesweep_config_selectorIfNS0_10empty_typeEEEZZNS1_29radix_sort_onesweep_iterationIS3_Lb1EPKfPfPS5_SB_mNS0_19identity_decomposerENS1_16block_id_wrapperIjLb0EEEEE10hipError_tT1_PNSt15iterator_traitsISG_E10value_typeET2_T3_PNSH_ISM_E10value_typeET4_T5_PSR_SS_PNS1_23onesweep_lookback_stateEbbT6_jjT7_P12ihipStream_tbENKUlT_T0_SG_SL_E_clIS9_SA_SB_SB_EEDaSZ_S10_SG_SL_EUlSZ_E_NS1_11comp_targetILNS1_3genE9ELNS1_11target_archE1100ELNS1_3gpuE3ELNS1_3repE0EEENS1_47radix_sort_onesweep_sort_config_static_selectorELNS0_4arch9wavefront6targetE0EEEvSG_, .Lfunc_end1344-_ZN7rocprim17ROCPRIM_400000_NS6detail17trampoline_kernelINS0_14default_configENS1_35radix_sort_onesweep_config_selectorIfNS0_10empty_typeEEEZZNS1_29radix_sort_onesweep_iterationIS3_Lb1EPKfPfPS5_SB_mNS0_19identity_decomposerENS1_16block_id_wrapperIjLb0EEEEE10hipError_tT1_PNSt15iterator_traitsISG_E10value_typeET2_T3_PNSH_ISM_E10value_typeET4_T5_PSR_SS_PNS1_23onesweep_lookback_stateEbbT6_jjT7_P12ihipStream_tbENKUlT_T0_SG_SL_E_clIS9_SA_SB_SB_EEDaSZ_S10_SG_SL_EUlSZ_E_NS1_11comp_targetILNS1_3genE9ELNS1_11target_archE1100ELNS1_3gpuE3ELNS1_3repE0EEENS1_47radix_sort_onesweep_sort_config_static_selectorELNS0_4arch9wavefront6targetE0EEEvSG_
                                        ; -- End function
	.set _ZN7rocprim17ROCPRIM_400000_NS6detail17trampoline_kernelINS0_14default_configENS1_35radix_sort_onesweep_config_selectorIfNS0_10empty_typeEEEZZNS1_29radix_sort_onesweep_iterationIS3_Lb1EPKfPfPS5_SB_mNS0_19identity_decomposerENS1_16block_id_wrapperIjLb0EEEEE10hipError_tT1_PNSt15iterator_traitsISG_E10value_typeET2_T3_PNSH_ISM_E10value_typeET4_T5_PSR_SS_PNS1_23onesweep_lookback_stateEbbT6_jjT7_P12ihipStream_tbENKUlT_T0_SG_SL_E_clIS9_SA_SB_SB_EEDaSZ_S10_SG_SL_EUlSZ_E_NS1_11comp_targetILNS1_3genE9ELNS1_11target_archE1100ELNS1_3gpuE3ELNS1_3repE0EEENS1_47radix_sort_onesweep_sort_config_static_selectorELNS0_4arch9wavefront6targetE0EEEvSG_.num_vgpr, 0
	.set _ZN7rocprim17ROCPRIM_400000_NS6detail17trampoline_kernelINS0_14default_configENS1_35radix_sort_onesweep_config_selectorIfNS0_10empty_typeEEEZZNS1_29radix_sort_onesweep_iterationIS3_Lb1EPKfPfPS5_SB_mNS0_19identity_decomposerENS1_16block_id_wrapperIjLb0EEEEE10hipError_tT1_PNSt15iterator_traitsISG_E10value_typeET2_T3_PNSH_ISM_E10value_typeET4_T5_PSR_SS_PNS1_23onesweep_lookback_stateEbbT6_jjT7_P12ihipStream_tbENKUlT_T0_SG_SL_E_clIS9_SA_SB_SB_EEDaSZ_S10_SG_SL_EUlSZ_E_NS1_11comp_targetILNS1_3genE9ELNS1_11target_archE1100ELNS1_3gpuE3ELNS1_3repE0EEENS1_47radix_sort_onesweep_sort_config_static_selectorELNS0_4arch9wavefront6targetE0EEEvSG_.num_agpr, 0
	.set _ZN7rocprim17ROCPRIM_400000_NS6detail17trampoline_kernelINS0_14default_configENS1_35radix_sort_onesweep_config_selectorIfNS0_10empty_typeEEEZZNS1_29radix_sort_onesweep_iterationIS3_Lb1EPKfPfPS5_SB_mNS0_19identity_decomposerENS1_16block_id_wrapperIjLb0EEEEE10hipError_tT1_PNSt15iterator_traitsISG_E10value_typeET2_T3_PNSH_ISM_E10value_typeET4_T5_PSR_SS_PNS1_23onesweep_lookback_stateEbbT6_jjT7_P12ihipStream_tbENKUlT_T0_SG_SL_E_clIS9_SA_SB_SB_EEDaSZ_S10_SG_SL_EUlSZ_E_NS1_11comp_targetILNS1_3genE9ELNS1_11target_archE1100ELNS1_3gpuE3ELNS1_3repE0EEENS1_47radix_sort_onesweep_sort_config_static_selectorELNS0_4arch9wavefront6targetE0EEEvSG_.numbered_sgpr, 0
	.set _ZN7rocprim17ROCPRIM_400000_NS6detail17trampoline_kernelINS0_14default_configENS1_35radix_sort_onesweep_config_selectorIfNS0_10empty_typeEEEZZNS1_29radix_sort_onesweep_iterationIS3_Lb1EPKfPfPS5_SB_mNS0_19identity_decomposerENS1_16block_id_wrapperIjLb0EEEEE10hipError_tT1_PNSt15iterator_traitsISG_E10value_typeET2_T3_PNSH_ISM_E10value_typeET4_T5_PSR_SS_PNS1_23onesweep_lookback_stateEbbT6_jjT7_P12ihipStream_tbENKUlT_T0_SG_SL_E_clIS9_SA_SB_SB_EEDaSZ_S10_SG_SL_EUlSZ_E_NS1_11comp_targetILNS1_3genE9ELNS1_11target_archE1100ELNS1_3gpuE3ELNS1_3repE0EEENS1_47radix_sort_onesweep_sort_config_static_selectorELNS0_4arch9wavefront6targetE0EEEvSG_.num_named_barrier, 0
	.set _ZN7rocprim17ROCPRIM_400000_NS6detail17trampoline_kernelINS0_14default_configENS1_35radix_sort_onesweep_config_selectorIfNS0_10empty_typeEEEZZNS1_29radix_sort_onesweep_iterationIS3_Lb1EPKfPfPS5_SB_mNS0_19identity_decomposerENS1_16block_id_wrapperIjLb0EEEEE10hipError_tT1_PNSt15iterator_traitsISG_E10value_typeET2_T3_PNSH_ISM_E10value_typeET4_T5_PSR_SS_PNS1_23onesweep_lookback_stateEbbT6_jjT7_P12ihipStream_tbENKUlT_T0_SG_SL_E_clIS9_SA_SB_SB_EEDaSZ_S10_SG_SL_EUlSZ_E_NS1_11comp_targetILNS1_3genE9ELNS1_11target_archE1100ELNS1_3gpuE3ELNS1_3repE0EEENS1_47radix_sort_onesweep_sort_config_static_selectorELNS0_4arch9wavefront6targetE0EEEvSG_.private_seg_size, 0
	.set _ZN7rocprim17ROCPRIM_400000_NS6detail17trampoline_kernelINS0_14default_configENS1_35radix_sort_onesweep_config_selectorIfNS0_10empty_typeEEEZZNS1_29radix_sort_onesweep_iterationIS3_Lb1EPKfPfPS5_SB_mNS0_19identity_decomposerENS1_16block_id_wrapperIjLb0EEEEE10hipError_tT1_PNSt15iterator_traitsISG_E10value_typeET2_T3_PNSH_ISM_E10value_typeET4_T5_PSR_SS_PNS1_23onesweep_lookback_stateEbbT6_jjT7_P12ihipStream_tbENKUlT_T0_SG_SL_E_clIS9_SA_SB_SB_EEDaSZ_S10_SG_SL_EUlSZ_E_NS1_11comp_targetILNS1_3genE9ELNS1_11target_archE1100ELNS1_3gpuE3ELNS1_3repE0EEENS1_47radix_sort_onesweep_sort_config_static_selectorELNS0_4arch9wavefront6targetE0EEEvSG_.uses_vcc, 0
	.set _ZN7rocprim17ROCPRIM_400000_NS6detail17trampoline_kernelINS0_14default_configENS1_35radix_sort_onesweep_config_selectorIfNS0_10empty_typeEEEZZNS1_29radix_sort_onesweep_iterationIS3_Lb1EPKfPfPS5_SB_mNS0_19identity_decomposerENS1_16block_id_wrapperIjLb0EEEEE10hipError_tT1_PNSt15iterator_traitsISG_E10value_typeET2_T3_PNSH_ISM_E10value_typeET4_T5_PSR_SS_PNS1_23onesweep_lookback_stateEbbT6_jjT7_P12ihipStream_tbENKUlT_T0_SG_SL_E_clIS9_SA_SB_SB_EEDaSZ_S10_SG_SL_EUlSZ_E_NS1_11comp_targetILNS1_3genE9ELNS1_11target_archE1100ELNS1_3gpuE3ELNS1_3repE0EEENS1_47radix_sort_onesweep_sort_config_static_selectorELNS0_4arch9wavefront6targetE0EEEvSG_.uses_flat_scratch, 0
	.set _ZN7rocprim17ROCPRIM_400000_NS6detail17trampoline_kernelINS0_14default_configENS1_35radix_sort_onesweep_config_selectorIfNS0_10empty_typeEEEZZNS1_29radix_sort_onesweep_iterationIS3_Lb1EPKfPfPS5_SB_mNS0_19identity_decomposerENS1_16block_id_wrapperIjLb0EEEEE10hipError_tT1_PNSt15iterator_traitsISG_E10value_typeET2_T3_PNSH_ISM_E10value_typeET4_T5_PSR_SS_PNS1_23onesweep_lookback_stateEbbT6_jjT7_P12ihipStream_tbENKUlT_T0_SG_SL_E_clIS9_SA_SB_SB_EEDaSZ_S10_SG_SL_EUlSZ_E_NS1_11comp_targetILNS1_3genE9ELNS1_11target_archE1100ELNS1_3gpuE3ELNS1_3repE0EEENS1_47radix_sort_onesweep_sort_config_static_selectorELNS0_4arch9wavefront6targetE0EEEvSG_.has_dyn_sized_stack, 0
	.set _ZN7rocprim17ROCPRIM_400000_NS6detail17trampoline_kernelINS0_14default_configENS1_35radix_sort_onesweep_config_selectorIfNS0_10empty_typeEEEZZNS1_29radix_sort_onesweep_iterationIS3_Lb1EPKfPfPS5_SB_mNS0_19identity_decomposerENS1_16block_id_wrapperIjLb0EEEEE10hipError_tT1_PNSt15iterator_traitsISG_E10value_typeET2_T3_PNSH_ISM_E10value_typeET4_T5_PSR_SS_PNS1_23onesweep_lookback_stateEbbT6_jjT7_P12ihipStream_tbENKUlT_T0_SG_SL_E_clIS9_SA_SB_SB_EEDaSZ_S10_SG_SL_EUlSZ_E_NS1_11comp_targetILNS1_3genE9ELNS1_11target_archE1100ELNS1_3gpuE3ELNS1_3repE0EEENS1_47radix_sort_onesweep_sort_config_static_selectorELNS0_4arch9wavefront6targetE0EEEvSG_.has_recursion, 0
	.set _ZN7rocprim17ROCPRIM_400000_NS6detail17trampoline_kernelINS0_14default_configENS1_35radix_sort_onesweep_config_selectorIfNS0_10empty_typeEEEZZNS1_29radix_sort_onesweep_iterationIS3_Lb1EPKfPfPS5_SB_mNS0_19identity_decomposerENS1_16block_id_wrapperIjLb0EEEEE10hipError_tT1_PNSt15iterator_traitsISG_E10value_typeET2_T3_PNSH_ISM_E10value_typeET4_T5_PSR_SS_PNS1_23onesweep_lookback_stateEbbT6_jjT7_P12ihipStream_tbENKUlT_T0_SG_SL_E_clIS9_SA_SB_SB_EEDaSZ_S10_SG_SL_EUlSZ_E_NS1_11comp_targetILNS1_3genE9ELNS1_11target_archE1100ELNS1_3gpuE3ELNS1_3repE0EEENS1_47radix_sort_onesweep_sort_config_static_selectorELNS0_4arch9wavefront6targetE0EEEvSG_.has_indirect_call, 0
	.section	.AMDGPU.csdata,"",@progbits
; Kernel info:
; codeLenInByte = 0
; TotalNumSgprs: 0
; NumVgprs: 0
; ScratchSize: 0
; MemoryBound: 0
; FloatMode: 240
; IeeeMode: 1
; LDSByteSize: 0 bytes/workgroup (compile time only)
; SGPRBlocks: 0
; VGPRBlocks: 0
; NumSGPRsForWavesPerEU: 1
; NumVGPRsForWavesPerEU: 1
; NamedBarCnt: 0
; Occupancy: 16
; WaveLimiterHint : 0
; COMPUTE_PGM_RSRC2:SCRATCH_EN: 0
; COMPUTE_PGM_RSRC2:USER_SGPR: 2
; COMPUTE_PGM_RSRC2:TRAP_HANDLER: 0
; COMPUTE_PGM_RSRC2:TGID_X_EN: 1
; COMPUTE_PGM_RSRC2:TGID_Y_EN: 0
; COMPUTE_PGM_RSRC2:TGID_Z_EN: 0
; COMPUTE_PGM_RSRC2:TIDIG_COMP_CNT: 0
	.section	.text._ZN7rocprim17ROCPRIM_400000_NS6detail17trampoline_kernelINS0_14default_configENS1_35radix_sort_onesweep_config_selectorIfNS0_10empty_typeEEEZZNS1_29radix_sort_onesweep_iterationIS3_Lb1EPKfPfPS5_SB_mNS0_19identity_decomposerENS1_16block_id_wrapperIjLb0EEEEE10hipError_tT1_PNSt15iterator_traitsISG_E10value_typeET2_T3_PNSH_ISM_E10value_typeET4_T5_PSR_SS_PNS1_23onesweep_lookback_stateEbbT6_jjT7_P12ihipStream_tbENKUlT_T0_SG_SL_E_clIS9_SA_SB_SB_EEDaSZ_S10_SG_SL_EUlSZ_E_NS1_11comp_targetILNS1_3genE8ELNS1_11target_archE1030ELNS1_3gpuE2ELNS1_3repE0EEENS1_47radix_sort_onesweep_sort_config_static_selectorELNS0_4arch9wavefront6targetE0EEEvSG_,"axG",@progbits,_ZN7rocprim17ROCPRIM_400000_NS6detail17trampoline_kernelINS0_14default_configENS1_35radix_sort_onesweep_config_selectorIfNS0_10empty_typeEEEZZNS1_29radix_sort_onesweep_iterationIS3_Lb1EPKfPfPS5_SB_mNS0_19identity_decomposerENS1_16block_id_wrapperIjLb0EEEEE10hipError_tT1_PNSt15iterator_traitsISG_E10value_typeET2_T3_PNSH_ISM_E10value_typeET4_T5_PSR_SS_PNS1_23onesweep_lookback_stateEbbT6_jjT7_P12ihipStream_tbENKUlT_T0_SG_SL_E_clIS9_SA_SB_SB_EEDaSZ_S10_SG_SL_EUlSZ_E_NS1_11comp_targetILNS1_3genE8ELNS1_11target_archE1030ELNS1_3gpuE2ELNS1_3repE0EEENS1_47radix_sort_onesweep_sort_config_static_selectorELNS0_4arch9wavefront6targetE0EEEvSG_,comdat
	.protected	_ZN7rocprim17ROCPRIM_400000_NS6detail17trampoline_kernelINS0_14default_configENS1_35radix_sort_onesweep_config_selectorIfNS0_10empty_typeEEEZZNS1_29radix_sort_onesweep_iterationIS3_Lb1EPKfPfPS5_SB_mNS0_19identity_decomposerENS1_16block_id_wrapperIjLb0EEEEE10hipError_tT1_PNSt15iterator_traitsISG_E10value_typeET2_T3_PNSH_ISM_E10value_typeET4_T5_PSR_SS_PNS1_23onesweep_lookback_stateEbbT6_jjT7_P12ihipStream_tbENKUlT_T0_SG_SL_E_clIS9_SA_SB_SB_EEDaSZ_S10_SG_SL_EUlSZ_E_NS1_11comp_targetILNS1_3genE8ELNS1_11target_archE1030ELNS1_3gpuE2ELNS1_3repE0EEENS1_47radix_sort_onesweep_sort_config_static_selectorELNS0_4arch9wavefront6targetE0EEEvSG_ ; -- Begin function _ZN7rocprim17ROCPRIM_400000_NS6detail17trampoline_kernelINS0_14default_configENS1_35radix_sort_onesweep_config_selectorIfNS0_10empty_typeEEEZZNS1_29radix_sort_onesweep_iterationIS3_Lb1EPKfPfPS5_SB_mNS0_19identity_decomposerENS1_16block_id_wrapperIjLb0EEEEE10hipError_tT1_PNSt15iterator_traitsISG_E10value_typeET2_T3_PNSH_ISM_E10value_typeET4_T5_PSR_SS_PNS1_23onesweep_lookback_stateEbbT6_jjT7_P12ihipStream_tbENKUlT_T0_SG_SL_E_clIS9_SA_SB_SB_EEDaSZ_S10_SG_SL_EUlSZ_E_NS1_11comp_targetILNS1_3genE8ELNS1_11target_archE1030ELNS1_3gpuE2ELNS1_3repE0EEENS1_47radix_sort_onesweep_sort_config_static_selectorELNS0_4arch9wavefront6targetE0EEEvSG_
	.globl	_ZN7rocprim17ROCPRIM_400000_NS6detail17trampoline_kernelINS0_14default_configENS1_35radix_sort_onesweep_config_selectorIfNS0_10empty_typeEEEZZNS1_29radix_sort_onesweep_iterationIS3_Lb1EPKfPfPS5_SB_mNS0_19identity_decomposerENS1_16block_id_wrapperIjLb0EEEEE10hipError_tT1_PNSt15iterator_traitsISG_E10value_typeET2_T3_PNSH_ISM_E10value_typeET4_T5_PSR_SS_PNS1_23onesweep_lookback_stateEbbT6_jjT7_P12ihipStream_tbENKUlT_T0_SG_SL_E_clIS9_SA_SB_SB_EEDaSZ_S10_SG_SL_EUlSZ_E_NS1_11comp_targetILNS1_3genE8ELNS1_11target_archE1030ELNS1_3gpuE2ELNS1_3repE0EEENS1_47radix_sort_onesweep_sort_config_static_selectorELNS0_4arch9wavefront6targetE0EEEvSG_
	.p2align	8
	.type	_ZN7rocprim17ROCPRIM_400000_NS6detail17trampoline_kernelINS0_14default_configENS1_35radix_sort_onesweep_config_selectorIfNS0_10empty_typeEEEZZNS1_29radix_sort_onesweep_iterationIS3_Lb1EPKfPfPS5_SB_mNS0_19identity_decomposerENS1_16block_id_wrapperIjLb0EEEEE10hipError_tT1_PNSt15iterator_traitsISG_E10value_typeET2_T3_PNSH_ISM_E10value_typeET4_T5_PSR_SS_PNS1_23onesweep_lookback_stateEbbT6_jjT7_P12ihipStream_tbENKUlT_T0_SG_SL_E_clIS9_SA_SB_SB_EEDaSZ_S10_SG_SL_EUlSZ_E_NS1_11comp_targetILNS1_3genE8ELNS1_11target_archE1030ELNS1_3gpuE2ELNS1_3repE0EEENS1_47radix_sort_onesweep_sort_config_static_selectorELNS0_4arch9wavefront6targetE0EEEvSG_,@function
_ZN7rocprim17ROCPRIM_400000_NS6detail17trampoline_kernelINS0_14default_configENS1_35radix_sort_onesweep_config_selectorIfNS0_10empty_typeEEEZZNS1_29radix_sort_onesweep_iterationIS3_Lb1EPKfPfPS5_SB_mNS0_19identity_decomposerENS1_16block_id_wrapperIjLb0EEEEE10hipError_tT1_PNSt15iterator_traitsISG_E10value_typeET2_T3_PNSH_ISM_E10value_typeET4_T5_PSR_SS_PNS1_23onesweep_lookback_stateEbbT6_jjT7_P12ihipStream_tbENKUlT_T0_SG_SL_E_clIS9_SA_SB_SB_EEDaSZ_S10_SG_SL_EUlSZ_E_NS1_11comp_targetILNS1_3genE8ELNS1_11target_archE1030ELNS1_3gpuE2ELNS1_3repE0EEENS1_47radix_sort_onesweep_sort_config_static_selectorELNS0_4arch9wavefront6targetE0EEEvSG_: ; @_ZN7rocprim17ROCPRIM_400000_NS6detail17trampoline_kernelINS0_14default_configENS1_35radix_sort_onesweep_config_selectorIfNS0_10empty_typeEEEZZNS1_29radix_sort_onesweep_iterationIS3_Lb1EPKfPfPS5_SB_mNS0_19identity_decomposerENS1_16block_id_wrapperIjLb0EEEEE10hipError_tT1_PNSt15iterator_traitsISG_E10value_typeET2_T3_PNSH_ISM_E10value_typeET4_T5_PSR_SS_PNS1_23onesweep_lookback_stateEbbT6_jjT7_P12ihipStream_tbENKUlT_T0_SG_SL_E_clIS9_SA_SB_SB_EEDaSZ_S10_SG_SL_EUlSZ_E_NS1_11comp_targetILNS1_3genE8ELNS1_11target_archE1030ELNS1_3gpuE2ELNS1_3repE0EEENS1_47radix_sort_onesweep_sort_config_static_selectorELNS0_4arch9wavefront6targetE0EEEvSG_
; %bb.0:
	.section	.rodata,"a",@progbits
	.p2align	6, 0x0
	.amdhsa_kernel _ZN7rocprim17ROCPRIM_400000_NS6detail17trampoline_kernelINS0_14default_configENS1_35radix_sort_onesweep_config_selectorIfNS0_10empty_typeEEEZZNS1_29radix_sort_onesweep_iterationIS3_Lb1EPKfPfPS5_SB_mNS0_19identity_decomposerENS1_16block_id_wrapperIjLb0EEEEE10hipError_tT1_PNSt15iterator_traitsISG_E10value_typeET2_T3_PNSH_ISM_E10value_typeET4_T5_PSR_SS_PNS1_23onesweep_lookback_stateEbbT6_jjT7_P12ihipStream_tbENKUlT_T0_SG_SL_E_clIS9_SA_SB_SB_EEDaSZ_S10_SG_SL_EUlSZ_E_NS1_11comp_targetILNS1_3genE8ELNS1_11target_archE1030ELNS1_3gpuE2ELNS1_3repE0EEENS1_47radix_sort_onesweep_sort_config_static_selectorELNS0_4arch9wavefront6targetE0EEEvSG_
		.amdhsa_group_segment_fixed_size 0
		.amdhsa_private_segment_fixed_size 0
		.amdhsa_kernarg_size 88
		.amdhsa_user_sgpr_count 2
		.amdhsa_user_sgpr_dispatch_ptr 0
		.amdhsa_user_sgpr_queue_ptr 0
		.amdhsa_user_sgpr_kernarg_segment_ptr 1
		.amdhsa_user_sgpr_dispatch_id 0
		.amdhsa_user_sgpr_kernarg_preload_length 0
		.amdhsa_user_sgpr_kernarg_preload_offset 0
		.amdhsa_user_sgpr_private_segment_size 0
		.amdhsa_wavefront_size32 1
		.amdhsa_uses_dynamic_stack 0
		.amdhsa_enable_private_segment 0
		.amdhsa_system_sgpr_workgroup_id_x 1
		.amdhsa_system_sgpr_workgroup_id_y 0
		.amdhsa_system_sgpr_workgroup_id_z 0
		.amdhsa_system_sgpr_workgroup_info 0
		.amdhsa_system_vgpr_workitem_id 0
		.amdhsa_next_free_vgpr 1
		.amdhsa_next_free_sgpr 1
		.amdhsa_named_barrier_count 0
		.amdhsa_reserve_vcc 0
		.amdhsa_float_round_mode_32 0
		.amdhsa_float_round_mode_16_64 0
		.amdhsa_float_denorm_mode_32 3
		.amdhsa_float_denorm_mode_16_64 3
		.amdhsa_fp16_overflow 0
		.amdhsa_memory_ordered 1
		.amdhsa_forward_progress 1
		.amdhsa_inst_pref_size 0
		.amdhsa_round_robin_scheduling 0
		.amdhsa_exception_fp_ieee_invalid_op 0
		.amdhsa_exception_fp_denorm_src 0
		.amdhsa_exception_fp_ieee_div_zero 0
		.amdhsa_exception_fp_ieee_overflow 0
		.amdhsa_exception_fp_ieee_underflow 0
		.amdhsa_exception_fp_ieee_inexact 0
		.amdhsa_exception_int_div_zero 0
	.end_amdhsa_kernel
	.section	.text._ZN7rocprim17ROCPRIM_400000_NS6detail17trampoline_kernelINS0_14default_configENS1_35radix_sort_onesweep_config_selectorIfNS0_10empty_typeEEEZZNS1_29radix_sort_onesweep_iterationIS3_Lb1EPKfPfPS5_SB_mNS0_19identity_decomposerENS1_16block_id_wrapperIjLb0EEEEE10hipError_tT1_PNSt15iterator_traitsISG_E10value_typeET2_T3_PNSH_ISM_E10value_typeET4_T5_PSR_SS_PNS1_23onesweep_lookback_stateEbbT6_jjT7_P12ihipStream_tbENKUlT_T0_SG_SL_E_clIS9_SA_SB_SB_EEDaSZ_S10_SG_SL_EUlSZ_E_NS1_11comp_targetILNS1_3genE8ELNS1_11target_archE1030ELNS1_3gpuE2ELNS1_3repE0EEENS1_47radix_sort_onesweep_sort_config_static_selectorELNS0_4arch9wavefront6targetE0EEEvSG_,"axG",@progbits,_ZN7rocprim17ROCPRIM_400000_NS6detail17trampoline_kernelINS0_14default_configENS1_35radix_sort_onesweep_config_selectorIfNS0_10empty_typeEEEZZNS1_29radix_sort_onesweep_iterationIS3_Lb1EPKfPfPS5_SB_mNS0_19identity_decomposerENS1_16block_id_wrapperIjLb0EEEEE10hipError_tT1_PNSt15iterator_traitsISG_E10value_typeET2_T3_PNSH_ISM_E10value_typeET4_T5_PSR_SS_PNS1_23onesweep_lookback_stateEbbT6_jjT7_P12ihipStream_tbENKUlT_T0_SG_SL_E_clIS9_SA_SB_SB_EEDaSZ_S10_SG_SL_EUlSZ_E_NS1_11comp_targetILNS1_3genE8ELNS1_11target_archE1030ELNS1_3gpuE2ELNS1_3repE0EEENS1_47radix_sort_onesweep_sort_config_static_selectorELNS0_4arch9wavefront6targetE0EEEvSG_,comdat
.Lfunc_end1345:
	.size	_ZN7rocprim17ROCPRIM_400000_NS6detail17trampoline_kernelINS0_14default_configENS1_35radix_sort_onesweep_config_selectorIfNS0_10empty_typeEEEZZNS1_29radix_sort_onesweep_iterationIS3_Lb1EPKfPfPS5_SB_mNS0_19identity_decomposerENS1_16block_id_wrapperIjLb0EEEEE10hipError_tT1_PNSt15iterator_traitsISG_E10value_typeET2_T3_PNSH_ISM_E10value_typeET4_T5_PSR_SS_PNS1_23onesweep_lookback_stateEbbT6_jjT7_P12ihipStream_tbENKUlT_T0_SG_SL_E_clIS9_SA_SB_SB_EEDaSZ_S10_SG_SL_EUlSZ_E_NS1_11comp_targetILNS1_3genE8ELNS1_11target_archE1030ELNS1_3gpuE2ELNS1_3repE0EEENS1_47radix_sort_onesweep_sort_config_static_selectorELNS0_4arch9wavefront6targetE0EEEvSG_, .Lfunc_end1345-_ZN7rocprim17ROCPRIM_400000_NS6detail17trampoline_kernelINS0_14default_configENS1_35radix_sort_onesweep_config_selectorIfNS0_10empty_typeEEEZZNS1_29radix_sort_onesweep_iterationIS3_Lb1EPKfPfPS5_SB_mNS0_19identity_decomposerENS1_16block_id_wrapperIjLb0EEEEE10hipError_tT1_PNSt15iterator_traitsISG_E10value_typeET2_T3_PNSH_ISM_E10value_typeET4_T5_PSR_SS_PNS1_23onesweep_lookback_stateEbbT6_jjT7_P12ihipStream_tbENKUlT_T0_SG_SL_E_clIS9_SA_SB_SB_EEDaSZ_S10_SG_SL_EUlSZ_E_NS1_11comp_targetILNS1_3genE8ELNS1_11target_archE1030ELNS1_3gpuE2ELNS1_3repE0EEENS1_47radix_sort_onesweep_sort_config_static_selectorELNS0_4arch9wavefront6targetE0EEEvSG_
                                        ; -- End function
	.set _ZN7rocprim17ROCPRIM_400000_NS6detail17trampoline_kernelINS0_14default_configENS1_35radix_sort_onesweep_config_selectorIfNS0_10empty_typeEEEZZNS1_29radix_sort_onesweep_iterationIS3_Lb1EPKfPfPS5_SB_mNS0_19identity_decomposerENS1_16block_id_wrapperIjLb0EEEEE10hipError_tT1_PNSt15iterator_traitsISG_E10value_typeET2_T3_PNSH_ISM_E10value_typeET4_T5_PSR_SS_PNS1_23onesweep_lookback_stateEbbT6_jjT7_P12ihipStream_tbENKUlT_T0_SG_SL_E_clIS9_SA_SB_SB_EEDaSZ_S10_SG_SL_EUlSZ_E_NS1_11comp_targetILNS1_3genE8ELNS1_11target_archE1030ELNS1_3gpuE2ELNS1_3repE0EEENS1_47radix_sort_onesweep_sort_config_static_selectorELNS0_4arch9wavefront6targetE0EEEvSG_.num_vgpr, 0
	.set _ZN7rocprim17ROCPRIM_400000_NS6detail17trampoline_kernelINS0_14default_configENS1_35radix_sort_onesweep_config_selectorIfNS0_10empty_typeEEEZZNS1_29radix_sort_onesweep_iterationIS3_Lb1EPKfPfPS5_SB_mNS0_19identity_decomposerENS1_16block_id_wrapperIjLb0EEEEE10hipError_tT1_PNSt15iterator_traitsISG_E10value_typeET2_T3_PNSH_ISM_E10value_typeET4_T5_PSR_SS_PNS1_23onesweep_lookback_stateEbbT6_jjT7_P12ihipStream_tbENKUlT_T0_SG_SL_E_clIS9_SA_SB_SB_EEDaSZ_S10_SG_SL_EUlSZ_E_NS1_11comp_targetILNS1_3genE8ELNS1_11target_archE1030ELNS1_3gpuE2ELNS1_3repE0EEENS1_47radix_sort_onesweep_sort_config_static_selectorELNS0_4arch9wavefront6targetE0EEEvSG_.num_agpr, 0
	.set _ZN7rocprim17ROCPRIM_400000_NS6detail17trampoline_kernelINS0_14default_configENS1_35radix_sort_onesweep_config_selectorIfNS0_10empty_typeEEEZZNS1_29radix_sort_onesweep_iterationIS3_Lb1EPKfPfPS5_SB_mNS0_19identity_decomposerENS1_16block_id_wrapperIjLb0EEEEE10hipError_tT1_PNSt15iterator_traitsISG_E10value_typeET2_T3_PNSH_ISM_E10value_typeET4_T5_PSR_SS_PNS1_23onesweep_lookback_stateEbbT6_jjT7_P12ihipStream_tbENKUlT_T0_SG_SL_E_clIS9_SA_SB_SB_EEDaSZ_S10_SG_SL_EUlSZ_E_NS1_11comp_targetILNS1_3genE8ELNS1_11target_archE1030ELNS1_3gpuE2ELNS1_3repE0EEENS1_47radix_sort_onesweep_sort_config_static_selectorELNS0_4arch9wavefront6targetE0EEEvSG_.numbered_sgpr, 0
	.set _ZN7rocprim17ROCPRIM_400000_NS6detail17trampoline_kernelINS0_14default_configENS1_35radix_sort_onesweep_config_selectorIfNS0_10empty_typeEEEZZNS1_29radix_sort_onesweep_iterationIS3_Lb1EPKfPfPS5_SB_mNS0_19identity_decomposerENS1_16block_id_wrapperIjLb0EEEEE10hipError_tT1_PNSt15iterator_traitsISG_E10value_typeET2_T3_PNSH_ISM_E10value_typeET4_T5_PSR_SS_PNS1_23onesweep_lookback_stateEbbT6_jjT7_P12ihipStream_tbENKUlT_T0_SG_SL_E_clIS9_SA_SB_SB_EEDaSZ_S10_SG_SL_EUlSZ_E_NS1_11comp_targetILNS1_3genE8ELNS1_11target_archE1030ELNS1_3gpuE2ELNS1_3repE0EEENS1_47radix_sort_onesweep_sort_config_static_selectorELNS0_4arch9wavefront6targetE0EEEvSG_.num_named_barrier, 0
	.set _ZN7rocprim17ROCPRIM_400000_NS6detail17trampoline_kernelINS0_14default_configENS1_35radix_sort_onesweep_config_selectorIfNS0_10empty_typeEEEZZNS1_29radix_sort_onesweep_iterationIS3_Lb1EPKfPfPS5_SB_mNS0_19identity_decomposerENS1_16block_id_wrapperIjLb0EEEEE10hipError_tT1_PNSt15iterator_traitsISG_E10value_typeET2_T3_PNSH_ISM_E10value_typeET4_T5_PSR_SS_PNS1_23onesweep_lookback_stateEbbT6_jjT7_P12ihipStream_tbENKUlT_T0_SG_SL_E_clIS9_SA_SB_SB_EEDaSZ_S10_SG_SL_EUlSZ_E_NS1_11comp_targetILNS1_3genE8ELNS1_11target_archE1030ELNS1_3gpuE2ELNS1_3repE0EEENS1_47radix_sort_onesweep_sort_config_static_selectorELNS0_4arch9wavefront6targetE0EEEvSG_.private_seg_size, 0
	.set _ZN7rocprim17ROCPRIM_400000_NS6detail17trampoline_kernelINS0_14default_configENS1_35radix_sort_onesweep_config_selectorIfNS0_10empty_typeEEEZZNS1_29radix_sort_onesweep_iterationIS3_Lb1EPKfPfPS5_SB_mNS0_19identity_decomposerENS1_16block_id_wrapperIjLb0EEEEE10hipError_tT1_PNSt15iterator_traitsISG_E10value_typeET2_T3_PNSH_ISM_E10value_typeET4_T5_PSR_SS_PNS1_23onesweep_lookback_stateEbbT6_jjT7_P12ihipStream_tbENKUlT_T0_SG_SL_E_clIS9_SA_SB_SB_EEDaSZ_S10_SG_SL_EUlSZ_E_NS1_11comp_targetILNS1_3genE8ELNS1_11target_archE1030ELNS1_3gpuE2ELNS1_3repE0EEENS1_47radix_sort_onesweep_sort_config_static_selectorELNS0_4arch9wavefront6targetE0EEEvSG_.uses_vcc, 0
	.set _ZN7rocprim17ROCPRIM_400000_NS6detail17trampoline_kernelINS0_14default_configENS1_35radix_sort_onesweep_config_selectorIfNS0_10empty_typeEEEZZNS1_29radix_sort_onesweep_iterationIS3_Lb1EPKfPfPS5_SB_mNS0_19identity_decomposerENS1_16block_id_wrapperIjLb0EEEEE10hipError_tT1_PNSt15iterator_traitsISG_E10value_typeET2_T3_PNSH_ISM_E10value_typeET4_T5_PSR_SS_PNS1_23onesweep_lookback_stateEbbT6_jjT7_P12ihipStream_tbENKUlT_T0_SG_SL_E_clIS9_SA_SB_SB_EEDaSZ_S10_SG_SL_EUlSZ_E_NS1_11comp_targetILNS1_3genE8ELNS1_11target_archE1030ELNS1_3gpuE2ELNS1_3repE0EEENS1_47radix_sort_onesweep_sort_config_static_selectorELNS0_4arch9wavefront6targetE0EEEvSG_.uses_flat_scratch, 0
	.set _ZN7rocprim17ROCPRIM_400000_NS6detail17trampoline_kernelINS0_14default_configENS1_35radix_sort_onesweep_config_selectorIfNS0_10empty_typeEEEZZNS1_29radix_sort_onesweep_iterationIS3_Lb1EPKfPfPS5_SB_mNS0_19identity_decomposerENS1_16block_id_wrapperIjLb0EEEEE10hipError_tT1_PNSt15iterator_traitsISG_E10value_typeET2_T3_PNSH_ISM_E10value_typeET4_T5_PSR_SS_PNS1_23onesweep_lookback_stateEbbT6_jjT7_P12ihipStream_tbENKUlT_T0_SG_SL_E_clIS9_SA_SB_SB_EEDaSZ_S10_SG_SL_EUlSZ_E_NS1_11comp_targetILNS1_3genE8ELNS1_11target_archE1030ELNS1_3gpuE2ELNS1_3repE0EEENS1_47radix_sort_onesweep_sort_config_static_selectorELNS0_4arch9wavefront6targetE0EEEvSG_.has_dyn_sized_stack, 0
	.set _ZN7rocprim17ROCPRIM_400000_NS6detail17trampoline_kernelINS0_14default_configENS1_35radix_sort_onesweep_config_selectorIfNS0_10empty_typeEEEZZNS1_29radix_sort_onesweep_iterationIS3_Lb1EPKfPfPS5_SB_mNS0_19identity_decomposerENS1_16block_id_wrapperIjLb0EEEEE10hipError_tT1_PNSt15iterator_traitsISG_E10value_typeET2_T3_PNSH_ISM_E10value_typeET4_T5_PSR_SS_PNS1_23onesweep_lookback_stateEbbT6_jjT7_P12ihipStream_tbENKUlT_T0_SG_SL_E_clIS9_SA_SB_SB_EEDaSZ_S10_SG_SL_EUlSZ_E_NS1_11comp_targetILNS1_3genE8ELNS1_11target_archE1030ELNS1_3gpuE2ELNS1_3repE0EEENS1_47radix_sort_onesweep_sort_config_static_selectorELNS0_4arch9wavefront6targetE0EEEvSG_.has_recursion, 0
	.set _ZN7rocprim17ROCPRIM_400000_NS6detail17trampoline_kernelINS0_14default_configENS1_35radix_sort_onesweep_config_selectorIfNS0_10empty_typeEEEZZNS1_29radix_sort_onesweep_iterationIS3_Lb1EPKfPfPS5_SB_mNS0_19identity_decomposerENS1_16block_id_wrapperIjLb0EEEEE10hipError_tT1_PNSt15iterator_traitsISG_E10value_typeET2_T3_PNSH_ISM_E10value_typeET4_T5_PSR_SS_PNS1_23onesweep_lookback_stateEbbT6_jjT7_P12ihipStream_tbENKUlT_T0_SG_SL_E_clIS9_SA_SB_SB_EEDaSZ_S10_SG_SL_EUlSZ_E_NS1_11comp_targetILNS1_3genE8ELNS1_11target_archE1030ELNS1_3gpuE2ELNS1_3repE0EEENS1_47radix_sort_onesweep_sort_config_static_selectorELNS0_4arch9wavefront6targetE0EEEvSG_.has_indirect_call, 0
	.section	.AMDGPU.csdata,"",@progbits
; Kernel info:
; codeLenInByte = 0
; TotalNumSgprs: 0
; NumVgprs: 0
; ScratchSize: 0
; MemoryBound: 0
; FloatMode: 240
; IeeeMode: 1
; LDSByteSize: 0 bytes/workgroup (compile time only)
; SGPRBlocks: 0
; VGPRBlocks: 0
; NumSGPRsForWavesPerEU: 1
; NumVGPRsForWavesPerEU: 1
; NamedBarCnt: 0
; Occupancy: 16
; WaveLimiterHint : 0
; COMPUTE_PGM_RSRC2:SCRATCH_EN: 0
; COMPUTE_PGM_RSRC2:USER_SGPR: 2
; COMPUTE_PGM_RSRC2:TRAP_HANDLER: 0
; COMPUTE_PGM_RSRC2:TGID_X_EN: 1
; COMPUTE_PGM_RSRC2:TGID_Y_EN: 0
; COMPUTE_PGM_RSRC2:TGID_Z_EN: 0
; COMPUTE_PGM_RSRC2:TIDIG_COMP_CNT: 0
	.section	.text._ZN7rocprim17ROCPRIM_400000_NS6detail17trampoline_kernelINS0_14default_configENS1_35radix_sort_onesweep_config_selectorIfNS0_10empty_typeEEEZZNS1_29radix_sort_onesweep_iterationIS3_Lb1EPKfPfPS5_SB_mNS0_19identity_decomposerENS1_16block_id_wrapperIjLb0EEEEE10hipError_tT1_PNSt15iterator_traitsISG_E10value_typeET2_T3_PNSH_ISM_E10value_typeET4_T5_PSR_SS_PNS1_23onesweep_lookback_stateEbbT6_jjT7_P12ihipStream_tbENKUlT_T0_SG_SL_E_clISA_SA_SB_SB_EEDaSZ_S10_SG_SL_EUlSZ_E_NS1_11comp_targetILNS1_3genE0ELNS1_11target_archE4294967295ELNS1_3gpuE0ELNS1_3repE0EEENS1_47radix_sort_onesweep_sort_config_static_selectorELNS0_4arch9wavefront6targetE0EEEvSG_,"axG",@progbits,_ZN7rocprim17ROCPRIM_400000_NS6detail17trampoline_kernelINS0_14default_configENS1_35radix_sort_onesweep_config_selectorIfNS0_10empty_typeEEEZZNS1_29radix_sort_onesweep_iterationIS3_Lb1EPKfPfPS5_SB_mNS0_19identity_decomposerENS1_16block_id_wrapperIjLb0EEEEE10hipError_tT1_PNSt15iterator_traitsISG_E10value_typeET2_T3_PNSH_ISM_E10value_typeET4_T5_PSR_SS_PNS1_23onesweep_lookback_stateEbbT6_jjT7_P12ihipStream_tbENKUlT_T0_SG_SL_E_clISA_SA_SB_SB_EEDaSZ_S10_SG_SL_EUlSZ_E_NS1_11comp_targetILNS1_3genE0ELNS1_11target_archE4294967295ELNS1_3gpuE0ELNS1_3repE0EEENS1_47radix_sort_onesweep_sort_config_static_selectorELNS0_4arch9wavefront6targetE0EEEvSG_,comdat
	.protected	_ZN7rocprim17ROCPRIM_400000_NS6detail17trampoline_kernelINS0_14default_configENS1_35radix_sort_onesweep_config_selectorIfNS0_10empty_typeEEEZZNS1_29radix_sort_onesweep_iterationIS3_Lb1EPKfPfPS5_SB_mNS0_19identity_decomposerENS1_16block_id_wrapperIjLb0EEEEE10hipError_tT1_PNSt15iterator_traitsISG_E10value_typeET2_T3_PNSH_ISM_E10value_typeET4_T5_PSR_SS_PNS1_23onesweep_lookback_stateEbbT6_jjT7_P12ihipStream_tbENKUlT_T0_SG_SL_E_clISA_SA_SB_SB_EEDaSZ_S10_SG_SL_EUlSZ_E_NS1_11comp_targetILNS1_3genE0ELNS1_11target_archE4294967295ELNS1_3gpuE0ELNS1_3repE0EEENS1_47radix_sort_onesweep_sort_config_static_selectorELNS0_4arch9wavefront6targetE0EEEvSG_ ; -- Begin function _ZN7rocprim17ROCPRIM_400000_NS6detail17trampoline_kernelINS0_14default_configENS1_35radix_sort_onesweep_config_selectorIfNS0_10empty_typeEEEZZNS1_29radix_sort_onesweep_iterationIS3_Lb1EPKfPfPS5_SB_mNS0_19identity_decomposerENS1_16block_id_wrapperIjLb0EEEEE10hipError_tT1_PNSt15iterator_traitsISG_E10value_typeET2_T3_PNSH_ISM_E10value_typeET4_T5_PSR_SS_PNS1_23onesweep_lookback_stateEbbT6_jjT7_P12ihipStream_tbENKUlT_T0_SG_SL_E_clISA_SA_SB_SB_EEDaSZ_S10_SG_SL_EUlSZ_E_NS1_11comp_targetILNS1_3genE0ELNS1_11target_archE4294967295ELNS1_3gpuE0ELNS1_3repE0EEENS1_47radix_sort_onesweep_sort_config_static_selectorELNS0_4arch9wavefront6targetE0EEEvSG_
	.globl	_ZN7rocprim17ROCPRIM_400000_NS6detail17trampoline_kernelINS0_14default_configENS1_35radix_sort_onesweep_config_selectorIfNS0_10empty_typeEEEZZNS1_29radix_sort_onesweep_iterationIS3_Lb1EPKfPfPS5_SB_mNS0_19identity_decomposerENS1_16block_id_wrapperIjLb0EEEEE10hipError_tT1_PNSt15iterator_traitsISG_E10value_typeET2_T3_PNSH_ISM_E10value_typeET4_T5_PSR_SS_PNS1_23onesweep_lookback_stateEbbT6_jjT7_P12ihipStream_tbENKUlT_T0_SG_SL_E_clISA_SA_SB_SB_EEDaSZ_S10_SG_SL_EUlSZ_E_NS1_11comp_targetILNS1_3genE0ELNS1_11target_archE4294967295ELNS1_3gpuE0ELNS1_3repE0EEENS1_47radix_sort_onesweep_sort_config_static_selectorELNS0_4arch9wavefront6targetE0EEEvSG_
	.p2align	8
	.type	_ZN7rocprim17ROCPRIM_400000_NS6detail17trampoline_kernelINS0_14default_configENS1_35radix_sort_onesweep_config_selectorIfNS0_10empty_typeEEEZZNS1_29radix_sort_onesweep_iterationIS3_Lb1EPKfPfPS5_SB_mNS0_19identity_decomposerENS1_16block_id_wrapperIjLb0EEEEE10hipError_tT1_PNSt15iterator_traitsISG_E10value_typeET2_T3_PNSH_ISM_E10value_typeET4_T5_PSR_SS_PNS1_23onesweep_lookback_stateEbbT6_jjT7_P12ihipStream_tbENKUlT_T0_SG_SL_E_clISA_SA_SB_SB_EEDaSZ_S10_SG_SL_EUlSZ_E_NS1_11comp_targetILNS1_3genE0ELNS1_11target_archE4294967295ELNS1_3gpuE0ELNS1_3repE0EEENS1_47radix_sort_onesweep_sort_config_static_selectorELNS0_4arch9wavefront6targetE0EEEvSG_,@function
_ZN7rocprim17ROCPRIM_400000_NS6detail17trampoline_kernelINS0_14default_configENS1_35radix_sort_onesweep_config_selectorIfNS0_10empty_typeEEEZZNS1_29radix_sort_onesweep_iterationIS3_Lb1EPKfPfPS5_SB_mNS0_19identity_decomposerENS1_16block_id_wrapperIjLb0EEEEE10hipError_tT1_PNSt15iterator_traitsISG_E10value_typeET2_T3_PNSH_ISM_E10value_typeET4_T5_PSR_SS_PNS1_23onesweep_lookback_stateEbbT6_jjT7_P12ihipStream_tbENKUlT_T0_SG_SL_E_clISA_SA_SB_SB_EEDaSZ_S10_SG_SL_EUlSZ_E_NS1_11comp_targetILNS1_3genE0ELNS1_11target_archE4294967295ELNS1_3gpuE0ELNS1_3repE0EEENS1_47radix_sort_onesweep_sort_config_static_selectorELNS0_4arch9wavefront6targetE0EEEvSG_: ; @_ZN7rocprim17ROCPRIM_400000_NS6detail17trampoline_kernelINS0_14default_configENS1_35radix_sort_onesweep_config_selectorIfNS0_10empty_typeEEEZZNS1_29radix_sort_onesweep_iterationIS3_Lb1EPKfPfPS5_SB_mNS0_19identity_decomposerENS1_16block_id_wrapperIjLb0EEEEE10hipError_tT1_PNSt15iterator_traitsISG_E10value_typeET2_T3_PNSH_ISM_E10value_typeET4_T5_PSR_SS_PNS1_23onesweep_lookback_stateEbbT6_jjT7_P12ihipStream_tbENKUlT_T0_SG_SL_E_clISA_SA_SB_SB_EEDaSZ_S10_SG_SL_EUlSZ_E_NS1_11comp_targetILNS1_3genE0ELNS1_11target_archE4294967295ELNS1_3gpuE0ELNS1_3repE0EEENS1_47radix_sort_onesweep_sort_config_static_selectorELNS0_4arch9wavefront6targetE0EEEvSG_
; %bb.0:
	s_clause 0x3
	s_load_b96 s[20:22], s[0:1], 0x44
	s_load_b64 s[10:11], s[0:1], 0x38
	s_load_b128 s[16:19], s[0:1], 0x0
	s_load_b128 s[12:15], s[0:1], 0x28
	s_bfe_u32 s2, ttmp6, 0x4000c
	s_and_b32 s3, ttmp6, 15
	s_add_co_i32 s2, s2, 1
	s_getreg_b32 s4, hwreg(HW_REG_IB_STS2, 6, 4)
	s_mul_i32 s5, ttmp9, s2
	v_mbcnt_lo_u32_b32 v16, -1, 0
	s_add_co_i32 s3, s3, s5
	s_cmp_eq_u32 s4, 0
	v_and_b32_e32 v17, 0x1e0, v0
	s_cselect_b32 s9, ttmp9, s3
	s_mov_b32 s25, 0
	s_mov_b32 s2, -1
	s_mul_i32 s24, s9, 0x1800
	s_add_nc_u64 s[26:27], s[0:1], 0x58
	s_wait_kmcnt 0x0
	s_cmp_ge_u32 s9, s22
	s_cbranch_scc0 .LBB1346_90
; %bb.1:
	s_load_b32 s4, s[0:1], 0x20
	v_dual_mov_b32 v3, 0 :: v_dual_lshlrev_b32 v2, 2, v16
	s_lshl_b64 s[2:3], s[24:25], 2
	v_mul_u32_u24_e32 v1, 12, v17
	s_add_nc_u64 s[2:3], s[16:17], s[2:3]
	v_dual_mov_b32 v14, -1 :: v_dual_mov_b32 v7, -1
	v_add_nc_u64_e32 v[4:5], s[2:3], v[2:3]
	s_delay_alu instid0(VALU_DEP_3) | instskip(SKIP_1) | instid1(VALU_DEP_1)
	v_dual_lshlrev_b32 v2, 2, v1 :: v_dual_bitop2_b32 v1, v16, v1 bitop3:0x54
	s_mul_i32 s2, s22, 0xffffe800
	v_add_nc_u64_e32 v[2:3], v[4:5], v[2:3]
	s_wait_kmcnt 0x0
	s_add_co_i32 s22, s4, s2
	s_mov_b32 s2, exec_lo
	v_cmpx_gt_u32_e64 s22, v1
	s_cbranch_execz .LBB1346_3
; %bb.2:
	global_load_b32 v7, v[2:3], off
.LBB1346_3:
	s_wait_xcnt 0x0
	s_or_b32 exec_lo, exec_lo, s2
	v_or_b32_e32 v4, 32, v1
	s_mov_b32 s2, exec_lo
	s_delay_alu instid0(VALU_DEP_1)
	v_cmpx_gt_u32_e64 s22, v4
	s_cbranch_execz .LBB1346_5
; %bb.4:
	global_load_b32 v14, v[2:3], off offset:128
.LBB1346_5:
	s_wait_xcnt 0x0
	s_or_b32 exec_lo, exec_lo, s2
	v_dual_mov_b32 v21, -1 :: v_dual_bitop2_b32 v4, 64, v1 bitop3:0x54
	v_mov_b32_e32 v15, -1
	s_mov_b32 s2, exec_lo
	s_delay_alu instid0(VALU_DEP_2)
	v_cmpx_gt_u32_e64 s22, v4
	s_cbranch_execz .LBB1346_7
; %bb.6:
	global_load_b32 v15, v[2:3], off offset:256
.LBB1346_7:
	s_wait_xcnt 0x0
	s_or_b32 exec_lo, exec_lo, s2
	v_or_b32_e32 v4, 0x60, v1
	s_mov_b32 s2, exec_lo
	s_delay_alu instid0(VALU_DEP_1)
	v_cmpx_gt_u32_e64 s22, v4
	s_cbranch_execz .LBB1346_9
; %bb.8:
	global_load_b32 v21, v[2:3], off offset:384
.LBB1346_9:
	s_wait_xcnt 0x0
	s_or_b32 exec_lo, exec_lo, s2
	v_dual_mov_b32 v11, -1 :: v_dual_add_nc_u32 v4, 0x80, v1
	v_mov_b32_e32 v22, -1
	s_mov_b32 s2, exec_lo
	s_delay_alu instid0(VALU_DEP_2)
	v_cmpx_gt_u32_e64 s22, v4
	s_cbranch_execz .LBB1346_11
; %bb.10:
	global_load_b32 v22, v[2:3], off offset:512
.LBB1346_11:
	s_wait_xcnt 0x0
	s_or_b32 exec_lo, exec_lo, s2
	v_add_nc_u32_e32 v4, 0xa0, v1
	s_mov_b32 s2, exec_lo
	s_delay_alu instid0(VALU_DEP_1)
	v_cmpx_gt_u32_e64 s22, v4
	s_cbranch_execz .LBB1346_13
; %bb.12:
	global_load_b32 v11, v[2:3], off offset:640
.LBB1346_13:
	s_wait_xcnt 0x0
	s_or_b32 exec_lo, exec_lo, s2
	v_dual_mov_b32 v9, -1 :: v_dual_add_nc_u32 v4, 0xc0, v1
	v_mov_b32_e32 v10, -1
	s_mov_b32 s2, exec_lo
	s_delay_alu instid0(VALU_DEP_2)
	v_cmpx_gt_u32_e64 s22, v4
	s_cbranch_execz .LBB1346_15
; %bb.14:
	global_load_b32 v10, v[2:3], off offset:768
.LBB1346_15:
	s_wait_xcnt 0x0
	s_or_b32 exec_lo, exec_lo, s2
	v_add_nc_u32_e32 v4, 0xe0, v1
	s_mov_b32 s2, exec_lo
	s_delay_alu instid0(VALU_DEP_1)
	v_cmpx_gt_u32_e64 s22, v4
	s_cbranch_execz .LBB1346_17
; %bb.16:
	global_load_b32 v9, v[2:3], off offset:896
.LBB1346_17:
	s_wait_xcnt 0x0
	s_or_b32 exec_lo, exec_lo, s2
	v_add_nc_u32_e32 v4, 0x100, v1
	v_dual_mov_b32 v6, -1 :: v_dual_mov_b32 v8, -1
	s_mov_b32 s2, exec_lo
	s_delay_alu instid0(VALU_DEP_2)
	v_cmpx_gt_u32_e64 s22, v4
	s_cbranch_execz .LBB1346_19
; %bb.18:
	global_load_b32 v8, v[2:3], off offset:1024
.LBB1346_19:
	s_wait_xcnt 0x0
	s_or_b32 exec_lo, exec_lo, s2
	v_add_nc_u32_e32 v4, 0x120, v1
	s_mov_b32 s2, exec_lo
	s_delay_alu instid0(VALU_DEP_1)
	v_cmpx_gt_u32_e64 s22, v4
	s_cbranch_execz .LBB1346_21
; %bb.20:
	global_load_b32 v6, v[2:3], off offset:1152
.LBB1346_21:
	s_wait_xcnt 0x0
	s_or_b32 exec_lo, exec_lo, s2
	v_dual_mov_b32 v4, -1 :: v_dual_add_nc_u32 v5, 0x140, v1
	s_delay_alu instid0(VALU_DEP_1)
	v_cmp_gt_u32_e32 vcc_lo, s22, v5
	v_mov_b32_e32 v5, -1
	s_and_saveexec_b32 s2, vcc_lo
	s_cbranch_execz .LBB1346_23
; %bb.22:
	global_load_b32 v5, v[2:3], off offset:1280
.LBB1346_23:
	s_wait_xcnt 0x0
	s_or_b32 exec_lo, exec_lo, s2
	v_add_nc_u32_e32 v12, 0x160, v1
	v_and_b32_e32 v1, 0x3ff, v0
	s_mov_b32 s2, exec_lo
	s_delay_alu instid0(VALU_DEP_2)
	v_cmpx_gt_u32_e64 s22, v12
	s_cbranch_execz .LBB1346_25
; %bb.24:
	global_load_b32 v4, v[2:3], off offset:1408
.LBB1346_25:
	s_wait_xcnt 0x0
	s_or_b32 exec_lo, exec_lo, s2
	s_wait_loadcnt 0x0
	v_cmp_gt_i32_e32 vcc_lo, 0, v7
	s_clause 0x1
	s_load_b32 s23, s[0:1], 0x58
	s_load_u16 s4, s[0:1], 0x66
	v_bfe_u32 v3, v0, 10, 10
	s_mov_b32 s3, 0
	v_cndmask_b32_e64 v2, 0x7fffffff, 0, vcc_lo
	s_delay_alu instid0(VALU_DEP_1) | instskip(SKIP_1) | instid1(VALU_DEP_2)
	v_xor_b32_e32 v18, v2, v7
	v_bfe_u32 v7, v0, 20, 10
	v_cmp_ne_u32_e32 vcc_lo, 0x80000000, v18
	v_cndmask_b32_e32 v2, 0x7fffffff, v18, vcc_lo
	s_wait_kmcnt 0x0
	s_cmp_lt_u32 s9, s23
	v_mad_u32_u24 v3, v7, s4, v3
	s_cselect_b32 s2, 12, 18
	s_lshl_b32 s7, -1, s21
	v_lshrrev_b32_e32 v2, s20, v2
	s_add_nc_u64 s[2:3], s[26:27], s[2:3]
	s_not_b32 s25, s7
	s_load_u16 s8, s[2:3], 0x0
	s_delay_alu instid0(VALU_DEP_1) | instskip(SKIP_2) | instid1(VALU_DEP_2)
	v_bitop3_b32 v7, v2, 1, s7 bitop3:0x40
	v_bitop3_b32 v13, v2, s7, v2 bitop3:0x30
	s_wait_xcnt 0x0
	v_add_co_u32 v2, s2, v7, -1
	s_delay_alu instid0(VALU_DEP_1) | instskip(NEXT) | instid1(VALU_DEP_3)
	v_cndmask_b32_e64 v7, 0, 1, s2
	v_dual_lshlrev_b32 v12, 30, v13 :: v_dual_lshlrev_b32 v20, 28, v13
	v_dual_lshlrev_b32 v19, 29, v13 :: v_dual_lshlrev_b32 v23, 27, v13
	v_lshlrev_b32_e32 v24, 26, v13
	s_delay_alu instid0(VALU_DEP_4) | instskip(NEXT) | instid1(VALU_DEP_4)
	v_cmp_ne_u32_e32 vcc_lo, 0, v7
	v_not_b32_e32 v7, v12
	v_cmp_gt_i32_e64 s2, 0, v12
	v_cmp_gt_i32_e64 s3, 0, v19
	v_not_b32_e32 v12, v19
	v_not_b32_e32 v19, v20
	v_dual_ashrrev_i32 v7, 31, v7 :: v_dual_bitop2_b32 v2, vcc_lo, v2 bitop3:0x14
	v_dual_lshlrev_b32 v25, 25, v13 :: v_dual_lshlrev_b32 v26, 24, v13
	v_cmp_gt_i32_e64 s4, 0, v20
	v_cmp_gt_i32_e64 s5, 0, v23
	v_not_b32_e32 v20, v23
	v_not_b32_e32 v23, v24
	v_dual_ashrrev_i32 v12, 31, v12 :: v_dual_ashrrev_i32 v19, 31, v19
	s_delay_alu instid0(VALU_DEP_3)
	v_dual_ashrrev_i32 v20, 31, v20 :: v_dual_bitop2_b32 v7, s2, v7 bitop3:0x14
	s_wait_kmcnt 0x0
	v_mad_u32 v3, v3, s8, v1
	v_cmp_gt_i32_e64 s6, 0, v24
	v_dual_ashrrev_i32 v23, 31, v23 :: v_dual_bitop2_b32 v12, s3, v12 bitop3:0x14
	v_xor_b32_e32 v19, s4, v19
	v_bitop3_b32 v2, v2, v7, exec_lo bitop3:0x80
	v_not_b32_e32 v7, v25
	v_not_b32_e32 v24, v26
	v_xor_b32_e32 v20, s5, v20
	v_cmp_gt_i32_e32 vcc_lo, 0, v25
	v_bitop3_b32 v2, v2, v19, v12 bitop3:0x80
	s_delay_alu instid0(VALU_DEP_4) | instskip(SKIP_3) | instid1(VALU_DEP_4)
	v_dual_ashrrev_i32 v19, 31, v24 :: v_dual_bitop2_b32 v12, s6, v23 bitop3:0x14
	v_ashrrev_i32_e32 v7, 31, v7
	v_cmp_gt_i32_e64 s2, 0, v26
	v_lshrrev_b32_e32 v3, 5, v3
	v_bitop3_b32 v20, v2, v12, v20 bitop3:0x80
	s_delay_alu instid0(VALU_DEP_4) | instskip(NEXT) | instid1(VALU_DEP_4)
	v_dual_mov_b32 v23, 0 :: v_dual_bitop2_b32 v7, vcc_lo, v7 bitop3:0x14
	v_xor_b32_e32 v19, s2, v19
	s_delay_alu instid0(VALU_DEP_4)
	v_lshlrev_b32_e32 v2, 2, v3
	v_mul_u32_u24_e32 v12, 36, v1
	ds_store_2addr_b32 v12, v23, v23 offset0:16 offset1:17
	ds_store_2addr_b32 v12, v23, v23 offset0:18 offset1:19
	;; [unrolled: 1-line block ×4, first 2 shown]
	v_bitop3_b32 v3, v20, v19, v7 bitop3:0x80
	v_mad_u32 v13, 0x44, v13, v2
	ds_store_b32 v12, v23 offset:96
	s_wait_dscnt 0x0
	s_barrier_signal -1
	v_mbcnt_lo_u32_b32 v7, v3, 0
	v_cmp_ne_u32_e64 s2, 0, v3
	s_barrier_wait -1
	s_delay_alu instid0(VALU_DEP_2) | instskip(SKIP_1) | instid1(SALU_CYCLE_1)
	v_cmp_eq_u32_e32 vcc_lo, 0, v7
	; wave barrier
	s_and_b32 s3, s2, vcc_lo
	s_and_saveexec_b32 s2, s3
; %bb.26:
	v_bcnt_u32_b32 v3, v3, 0
	ds_store_b32 v13, v3 offset:64
; %bb.27:
	s_or_b32 exec_lo, exec_lo, s2
	v_cmp_gt_i32_e32 vcc_lo, 0, v14
	; wave barrier
	v_cndmask_b32_e64 v3, 0x7fffffff, 0, vcc_lo
	s_delay_alu instid0(VALU_DEP_1) | instskip(NEXT) | instid1(VALU_DEP_1)
	v_xor_b32_e32 v19, v3, v14
	v_cmp_ne_u32_e32 vcc_lo, 0x80000000, v19
	v_cndmask_b32_e32 v3, 0x7fffffff, v19, vcc_lo
	s_delay_alu instid0(VALU_DEP_1) | instskip(NEXT) | instid1(VALU_DEP_1)
	v_lshrrev_b32_e32 v3, s20, v3
	v_and_b32_e32 v20, s25, v3
	v_bitop3_b32 v3, v3, 1, s25 bitop3:0x80
	s_delay_alu instid0(VALU_DEP_2) | instskip(NEXT) | instid1(VALU_DEP_2)
	v_lshlrev_b32_e32 v24, 30, v20
	v_add_co_u32 v3, s2, v3, -1
	s_delay_alu instid0(VALU_DEP_1) | instskip(SKIP_1) | instid1(VALU_DEP_4)
	v_cndmask_b32_e64 v23, 0, 1, s2
	v_lshlrev_b32_e32 v25, 29, v20
	v_cmp_gt_i32_e64 s2, 0, v24
	s_delay_alu instid0(VALU_DEP_3) | instskip(SKIP_1) | instid1(VALU_DEP_4)
	v_cmp_ne_u32_e32 vcc_lo, 0, v23
	v_not_b32_e32 v23, v24
	v_not_b32_e32 v24, v25
	s_delay_alu instid0(VALU_DEP_1)
	v_ashrrev_i32_e32 v24, 31, v24
	v_lshlrev_b32_e32 v26, 28, v20
	v_mad_u32 v14, 0x44, v20, v2
	v_dual_lshlrev_b32 v27, 27, v20 :: v_dual_lshlrev_b32 v28, 26, v20
	v_dual_lshlrev_b32 v29, 25, v20 :: v_dual_lshlrev_b32 v20, 24, v20
	v_cmp_gt_i32_e64 s3, 0, v25
	v_not_b32_e32 v25, v26
	v_ashrrev_i32_e32 v23, 31, v23
	v_cmp_gt_i32_e64 s4, 0, v26
	v_cmp_gt_i32_e64 s5, 0, v27
	v_not_b32_e32 v26, v27
	v_not_b32_e32 v27, v28
	v_cmp_gt_i32_e64 s8, 0, v20
	v_not_b32_e32 v20, v20
	s_delay_alu instid0(VALU_DEP_4) | instskip(SKIP_1) | instid1(VALU_DEP_3)
	v_dual_ashrrev_i32 v26, 31, v26 :: v_dual_bitop2_b32 v3, vcc_lo, v3 bitop3:0x14
	v_dual_ashrrev_i32 v25, 31, v25 :: v_dual_bitop2_b32 v23, s2, v23 bitop3:0x14
	v_ashrrev_i32_e32 v20, 31, v20
	v_cmp_gt_i32_e64 s6, 0, v28
	v_not_b32_e32 v28, v29
	v_dual_ashrrev_i32 v27, 31, v27 :: v_dual_bitop2_b32 v24, s3, v24 bitop3:0x14
	v_xor_b32_e32 v25, s4, v25
	v_bitop3_b32 v3, v3, v23, exec_lo bitop3:0x80
	v_cmp_gt_i32_e64 s7, 0, v29
	v_dual_ashrrev_i32 v23, 31, v28 :: v_dual_bitop2_b32 v26, s5, v26 bitop3:0x14
	v_xor_b32_e32 v27, s6, v27
	s_delay_alu instid0(VALU_DEP_4) | instskip(SKIP_1) | instid1(VALU_DEP_4)
	v_bitop3_b32 v3, v3, v25, v24 bitop3:0x80
	v_xor_b32_e32 v20, s8, v20
	v_xor_b32_e32 v24, s7, v23
	ds_load_b32 v23, v14 offset:64
	v_bitop3_b32 v3, v3, v27, v26 bitop3:0x80
	; wave barrier
	s_delay_alu instid0(VALU_DEP_1) | instskip(NEXT) | instid1(VALU_DEP_1)
	v_bitop3_b32 v3, v3, v20, v24 bitop3:0x80
	v_mbcnt_lo_u32_b32 v24, v3, 0
	v_cmp_ne_u32_e64 s2, 0, v3
	s_delay_alu instid0(VALU_DEP_2) | instskip(SKIP_1) | instid1(SALU_CYCLE_1)
	v_cmp_eq_u32_e32 vcc_lo, 0, v24
	s_and_b32 s3, s2, vcc_lo
	s_and_saveexec_b32 s2, s3
	s_cbranch_execz .LBB1346_29
; %bb.28:
	s_wait_dscnt 0x0
	v_bcnt_u32_b32 v3, v3, v23
	ds_store_b32 v14, v3 offset:64
.LBB1346_29:
	s_or_b32 exec_lo, exec_lo, s2
	v_cmp_gt_i32_e32 vcc_lo, 0, v15
	; wave barrier
	v_cndmask_b32_e64 v3, 0x7fffffff, 0, vcc_lo
	s_delay_alu instid0(VALU_DEP_1) | instskip(NEXT) | instid1(VALU_DEP_1)
	v_xor_b32_e32 v20, v3, v15
	v_cmp_ne_u32_e32 vcc_lo, 0x80000000, v20
	v_cndmask_b32_e32 v3, 0x7fffffff, v20, vcc_lo
	s_delay_alu instid0(VALU_DEP_1) | instskip(NEXT) | instid1(VALU_DEP_1)
	v_lshrrev_b32_e32 v3, s20, v3
	v_and_b32_e32 v25, s25, v3
	s_delay_alu instid0(VALU_DEP_1) | instskip(SKIP_2) | instid1(VALU_DEP_3)
	v_lshlrev_b32_e32 v29, 28, v25
	v_bitop3_b32 v3, v3, 1, s25 bitop3:0x80
	v_lshlrev_b32_e32 v27, 30, v25
	v_cmp_gt_i32_e64 s4, 0, v29
	s_delay_alu instid0(VALU_DEP_3) | instskip(NEXT) | instid1(VALU_DEP_1)
	v_add_co_u32 v3, s2, v3, -1
	v_cndmask_b32_e64 v26, 0, 1, s2
	s_delay_alu instid0(VALU_DEP_4) | instskip(NEXT) | instid1(VALU_DEP_2)
	v_cmp_gt_i32_e64 s2, 0, v27
	v_cmp_ne_u32_e32 vcc_lo, 0, v26
	v_not_b32_e32 v26, v27
	s_delay_alu instid0(VALU_DEP_1) | instskip(SKIP_3) | instid1(VALU_DEP_4)
	v_dual_ashrrev_i32 v26, 31, v26 :: v_dual_lshlrev_b32 v28, 29, v25
	v_dual_lshlrev_b32 v30, 27, v25 :: v_dual_lshlrev_b32 v31, 26, v25
	v_mad_u32 v15, 0x44, v25, v2
	v_dual_lshlrev_b32 v32, 25, v25 :: v_dual_lshlrev_b32 v25, 24, v25
	v_cmp_gt_i32_e64 s3, 0, v28
	v_not_b32_e32 v27, v28
	v_not_b32_e32 v28, v29
	v_cmp_gt_i32_e64 s5, 0, v30
	v_not_b32_e32 v29, v30
	v_not_b32_e32 v30, v31
	s_delay_alu instid0(VALU_DEP_4)
	v_dual_ashrrev_i32 v28, 31, v28 :: v_dual_bitop2_b32 v3, vcc_lo, v3 bitop3:0x14
	v_dual_ashrrev_i32 v27, 31, v27 :: v_dual_bitop2_b32 v26, s2, v26 bitop3:0x14
	v_cmp_gt_i32_e64 s6, 0, v31
	v_not_b32_e32 v31, v32
	v_cmp_gt_i32_e64 s8, 0, v25
	v_not_b32_e32 v25, v25
	v_dual_ashrrev_i32 v29, 31, v29 :: v_dual_ashrrev_i32 v30, 31, v30
	v_xor_b32_e32 v27, s3, v27
	v_xor_b32_e32 v28, s4, v28
	v_bitop3_b32 v3, v3, v26, exec_lo bitop3:0x80
	v_cmp_gt_i32_e64 s7, 0, v32
	v_dual_ashrrev_i32 v26, 31, v31 :: v_dual_ashrrev_i32 v25, 31, v25
	v_xor_b32_e32 v29, s5, v29
	v_xor_b32_e32 v30, s6, v30
	v_bitop3_b32 v3, v3, v28, v27 bitop3:0x80
	s_delay_alu instid0(VALU_DEP_4) | instskip(SKIP_3) | instid1(VALU_DEP_1)
	v_xor_b32_e32 v27, s7, v26
	v_xor_b32_e32 v25, s8, v25
	ds_load_b32 v26, v15 offset:64
	v_bitop3_b32 v3, v3, v30, v29 bitop3:0x80
	; wave barrier
	v_bitop3_b32 v3, v3, v25, v27 bitop3:0x80
	s_delay_alu instid0(VALU_DEP_1) | instskip(SKIP_1) | instid1(VALU_DEP_2)
	v_mbcnt_lo_u32_b32 v27, v3, 0
	v_cmp_ne_u32_e64 s2, 0, v3
	v_cmp_eq_u32_e32 vcc_lo, 0, v27
	s_and_b32 s3, s2, vcc_lo
	s_delay_alu instid0(SALU_CYCLE_1)
	s_and_saveexec_b32 s2, s3
	s_cbranch_execz .LBB1346_31
; %bb.30:
	s_wait_dscnt 0x0
	v_bcnt_u32_b32 v3, v3, v26
	ds_store_b32 v15, v3 offset:64
.LBB1346_31:
	s_or_b32 exec_lo, exec_lo, s2
	v_cmp_gt_i32_e32 vcc_lo, 0, v21
	; wave barrier
	v_cndmask_b32_e64 v3, 0x7fffffff, 0, vcc_lo
	s_delay_alu instid0(VALU_DEP_1) | instskip(NEXT) | instid1(VALU_DEP_1)
	v_xor_b32_e32 v21, v3, v21
	v_cmp_ne_u32_e32 vcc_lo, 0x80000000, v21
	v_cndmask_b32_e32 v3, 0x7fffffff, v21, vcc_lo
	s_delay_alu instid0(VALU_DEP_1) | instskip(NEXT) | instid1(VALU_DEP_1)
	v_lshrrev_b32_e32 v3, s20, v3
	v_and_b32_e32 v25, s25, v3
	v_bitop3_b32 v3, v3, 1, s25 bitop3:0x80
	s_delay_alu instid0(VALU_DEP_2) | instskip(NEXT) | instid1(VALU_DEP_2)
	v_dual_lshlrev_b32 v29, 30, v25 :: v_dual_lshlrev_b32 v30, 29, v25
	v_add_co_u32 v3, s2, v3, -1
	s_delay_alu instid0(VALU_DEP_1) | instskip(NEXT) | instid1(VALU_DEP_3)
	v_cndmask_b32_e64 v28, 0, 1, s2
	v_cmp_gt_i32_e64 s2, 0, v29
	s_delay_alu instid0(VALU_DEP_4) | instskip(NEXT) | instid1(VALU_DEP_3)
	v_cmp_gt_i32_e64 s3, 0, v30
	v_cmp_ne_u32_e32 vcc_lo, 0, v28
	v_not_b32_e32 v28, v29
	v_not_b32_e32 v29, v30
	s_delay_alu instid0(VALU_DEP_2) | instskip(NEXT) | instid1(VALU_DEP_2)
	v_dual_ashrrev_i32 v28, 31, v28 :: v_dual_bitop2_b32 v3, vcc_lo, v3 bitop3:0x14
	v_ashrrev_i32_e32 v29, 31, v29
	v_dual_lshlrev_b32 v31, 28, v25 :: v_dual_lshlrev_b32 v32, 27, v25
	v_dual_lshlrev_b32 v33, 26, v25 :: v_dual_lshlrev_b32 v35, 25, v25
	v_mad_u32 v34, 0x44, v25, v2
	s_delay_alu instid0(VALU_DEP_3)
	v_not_b32_e32 v30, v31
	v_lshlrev_b32_e32 v25, 24, v25
	v_cmp_gt_i32_e64 s4, 0, v31
	v_cmp_gt_i32_e64 s5, 0, v32
	v_not_b32_e32 v31, v32
	v_not_b32_e32 v32, v33
	v_dual_ashrrev_i32 v30, 31, v30 :: v_dual_bitop2_b32 v28, s2, v28 bitop3:0x14
	v_cmp_gt_i32_e64 s6, 0, v33
	v_not_b32_e32 v33, v35
	v_cmp_gt_i32_e64 s8, 0, v25
	v_not_b32_e32 v25, v25
	v_dual_ashrrev_i32 v31, 31, v31 :: v_dual_ashrrev_i32 v32, 31, v32
	v_xor_b32_e32 v29, s3, v29
	v_xor_b32_e32 v30, s4, v30
	v_bitop3_b32 v3, v3, v28, exec_lo bitop3:0x80
	v_cmp_gt_i32_e64 s7, 0, v35
	v_ashrrev_i32_e32 v28, 31, v33
	v_dual_ashrrev_i32 v25, 31, v25 :: v_dual_bitop2_b32 v31, s5, v31 bitop3:0x14
	v_xor_b32_e32 v32, s6, v32
	v_bitop3_b32 v3, v3, v30, v29 bitop3:0x80
	s_delay_alu instid0(VALU_DEP_4) | instskip(NEXT) | instid1(VALU_DEP_4)
	v_xor_b32_e32 v28, s7, v28
	v_xor_b32_e32 v25, s8, v25
	ds_load_b32 v29, v34 offset:64
	v_bitop3_b32 v3, v3, v32, v31 bitop3:0x80
	; wave barrier
	s_delay_alu instid0(VALU_DEP_1) | instskip(NEXT) | instid1(VALU_DEP_1)
	v_bitop3_b32 v3, v3, v25, v28 bitop3:0x80
	v_mbcnt_lo_u32_b32 v30, v3, 0
	v_cmp_ne_u32_e64 s2, 0, v3
	s_delay_alu instid0(VALU_DEP_2) | instskip(SKIP_1) | instid1(SALU_CYCLE_1)
	v_cmp_eq_u32_e32 vcc_lo, 0, v30
	s_and_b32 s3, s2, vcc_lo
	s_and_saveexec_b32 s2, s3
	s_cbranch_execz .LBB1346_33
; %bb.32:
	s_wait_dscnt 0x0
	v_bcnt_u32_b32 v3, v3, v29
	ds_store_b32 v34, v3 offset:64
.LBB1346_33:
	s_or_b32 exec_lo, exec_lo, s2
	v_cmp_gt_i32_e32 vcc_lo, 0, v22
	; wave barrier
	v_cndmask_b32_e64 v3, 0x7fffffff, 0, vcc_lo
	s_delay_alu instid0(VALU_DEP_1) | instskip(NEXT) | instid1(VALU_DEP_1)
	v_xor_b32_e32 v22, v3, v22
	v_cmp_ne_u32_e32 vcc_lo, 0x80000000, v22
	v_cndmask_b32_e32 v3, 0x7fffffff, v22, vcc_lo
	s_delay_alu instid0(VALU_DEP_1) | instskip(NEXT) | instid1(VALU_DEP_1)
	v_lshrrev_b32_e32 v3, s20, v3
	v_and_b32_e32 v25, s25, v3
	v_bitop3_b32 v3, v3, 1, s25 bitop3:0x80
	s_delay_alu instid0(VALU_DEP_2) | instskip(NEXT) | instid1(VALU_DEP_2)
	v_lshlrev_b32_e32 v31, 30, v25
	v_add_co_u32 v3, s2, v3, -1
	s_delay_alu instid0(VALU_DEP_1) | instskip(NEXT) | instid1(VALU_DEP_1)
	v_cndmask_b32_e64 v28, 0, 1, s2
	v_cmp_ne_u32_e32 vcc_lo, 0, v28
	s_delay_alu instid0(VALU_DEP_4) | instskip(NEXT) | instid1(VALU_DEP_1)
	v_not_b32_e32 v28, v31
	v_dual_ashrrev_i32 v28, 31, v28 :: v_dual_lshlrev_b32 v32, 29, v25
	v_dual_lshlrev_b32 v33, 28, v25 :: v_dual_lshlrev_b32 v35, 27, v25
	v_lshlrev_b32_e32 v36, 26, v25
	v_cmp_gt_i32_e64 s2, 0, v31
	s_delay_alu instid0(VALU_DEP_4)
	v_cmp_gt_i32_e64 s3, 0, v32
	v_not_b32_e32 v31, v32
	v_not_b32_e32 v32, v33
	v_mad_u32 v38, 0x44, v25, v2
	v_dual_lshlrev_b32 v37, 25, v25 :: v_dual_lshlrev_b32 v25, 24, v25
	v_cmp_gt_i32_e64 s4, 0, v33
	v_cmp_gt_i32_e64 s5, 0, v35
	v_not_b32_e32 v33, v35
	v_not_b32_e32 v35, v36
	v_dual_ashrrev_i32 v32, 31, v32 :: v_dual_bitop2_b32 v3, vcc_lo, v3 bitop3:0x14
	v_dual_ashrrev_i32 v31, 31, v31 :: v_dual_bitop2_b32 v28, s2, v28 bitop3:0x14
	v_cmp_gt_i32_e64 s6, 0, v36
	v_not_b32_e32 v36, v37
	v_cmp_gt_i32_e64 s8, 0, v25
	v_not_b32_e32 v25, v25
	v_dual_ashrrev_i32 v33, 31, v33 :: v_dual_ashrrev_i32 v35, 31, v35
	v_xor_b32_e32 v31, s3, v31
	s_delay_alu instid0(VALU_DEP_3) | instskip(SKIP_4) | instid1(VALU_DEP_4)
	v_dual_ashrrev_i32 v25, 31, v25 :: v_dual_bitop2_b32 v32, s4, v32 bitop3:0x14
	v_bitop3_b32 v3, v3, v28, exec_lo bitop3:0x80
	v_cmp_gt_i32_e64 s7, 0, v37
	v_dual_ashrrev_i32 v28, 31, v36 :: v_dual_bitop2_b32 v33, s5, v33 bitop3:0x14
	v_xor_b32_e32 v35, s6, v35
	v_bitop3_b32 v3, v3, v32, v31 bitop3:0x80
	v_xor_b32_e32 v25, s8, v25
	s_delay_alu instid0(VALU_DEP_4) | instskip(SKIP_2) | instid1(VALU_DEP_1)
	v_xor_b32_e32 v28, s7, v28
	ds_load_b32 v32, v38 offset:64
	v_bitop3_b32 v3, v3, v35, v33 bitop3:0x80
	; wave barrier
	v_bitop3_b32 v3, v3, v25, v28 bitop3:0x80
	s_delay_alu instid0(VALU_DEP_1) | instskip(SKIP_1) | instid1(VALU_DEP_2)
	v_mbcnt_lo_u32_b32 v33, v3, 0
	v_cmp_ne_u32_e64 s2, 0, v3
	v_cmp_eq_u32_e32 vcc_lo, 0, v33
	s_and_b32 s3, s2, vcc_lo
	s_delay_alu instid0(SALU_CYCLE_1)
	s_and_saveexec_b32 s2, s3
	s_cbranch_execz .LBB1346_35
; %bb.34:
	s_wait_dscnt 0x0
	v_bcnt_u32_b32 v3, v3, v32
	ds_store_b32 v38, v3 offset:64
.LBB1346_35:
	s_or_b32 exec_lo, exec_lo, s2
	v_cmp_gt_i32_e32 vcc_lo, 0, v11
	; wave barrier
	v_cndmask_b32_e64 v3, 0x7fffffff, 0, vcc_lo
	s_delay_alu instid0(VALU_DEP_1) | instskip(NEXT) | instid1(VALU_DEP_1)
	v_xor_b32_e32 v25, v3, v11
	v_cmp_ne_u32_e32 vcc_lo, 0x80000000, v25
	v_cndmask_b32_e32 v3, 0x7fffffff, v25, vcc_lo
	s_delay_alu instid0(VALU_DEP_1) | instskip(NEXT) | instid1(VALU_DEP_1)
	v_lshrrev_b32_e32 v3, s20, v3
	v_and_b32_e32 v11, s25, v3
	v_bitop3_b32 v3, v3, 1, s25 bitop3:0x80
	s_delay_alu instid0(VALU_DEP_2) | instskip(NEXT) | instid1(VALU_DEP_2)
	v_lshlrev_b32_e32 v31, 30, v11
	v_add_co_u32 v3, s2, v3, -1
	s_delay_alu instid0(VALU_DEP_1) | instskip(SKIP_3) | instid1(VALU_DEP_4)
	v_cndmask_b32_e64 v28, 0, 1, s2
	v_dual_lshlrev_b32 v35, 29, v11 :: v_dual_lshlrev_b32 v37, 27, v11
	v_lshlrev_b32_e32 v36, 28, v11
	v_cmp_gt_i32_e64 s2, 0, v31
	v_cmp_ne_u32_e32 vcc_lo, 0, v28
	v_not_b32_e32 v28, v31
	v_cmp_gt_i32_e64 s3, 0, v35
	v_not_b32_e32 v31, v35
	v_cmp_gt_i32_e64 s4, 0, v36
	v_not_b32_e32 v35, v36
	v_not_b32_e32 v36, v37
	v_cmp_gt_i32_e64 s5, 0, v37
	v_ashrrev_i32_e32 v28, 31, v28
	s_delay_alu instid0(VALU_DEP_3) | instskip(SKIP_2) | instid1(VALU_DEP_4)
	v_dual_ashrrev_i32 v36, 31, v36 :: v_dual_lshlrev_b32 v39, 26, v11
	v_lshlrev_b32_e32 v40, 25, v11
	v_mad_u32 v42, 0x44, v11, v2
	v_dual_lshlrev_b32 v11, 24, v11 :: v_dual_bitop2_b32 v28, s2, v28 bitop3:0x14
	s_delay_alu instid0(VALU_DEP_4) | instskip(SKIP_3) | instid1(VALU_DEP_4)
	v_not_b32_e32 v37, v39
	v_cmp_gt_i32_e64 s6, 0, v39
	v_xor_b32_e32 v3, vcc_lo, v3
	v_dual_ashrrev_i32 v31, 31, v31 :: v_dual_bitop2_b32 v36, s5, v36 bitop3:0x14
	v_dual_ashrrev_i32 v37, 31, v37 :: v_dual_ashrrev_i32 v35, 31, v35
	v_not_b32_e32 v39, v40
	v_cmp_gt_i32_e64 s8, 0, v11
	v_not_b32_e32 v11, v11
	v_xor_b32_e32 v31, s3, v31
	v_bitop3_b32 v3, v3, v28, exec_lo bitop3:0x80
	v_xor_b32_e32 v37, s6, v37
	v_xor_b32_e32 v35, s4, v35
	v_cmp_gt_i32_e64 s7, 0, v40
	v_ashrrev_i32_e32 v28, 31, v39
	v_ashrrev_i32_e32 v11, 31, v11
	s_delay_alu instid0(VALU_DEP_4) | instskip(NEXT) | instid1(VALU_DEP_3)
	v_bitop3_b32 v3, v3, v35, v31 bitop3:0x80
	v_xor_b32_e32 v28, s7, v28
	s_delay_alu instid0(VALU_DEP_3) | instskip(NEXT) | instid1(VALU_DEP_3)
	v_xor_b32_e32 v11, s8, v11
	v_bitop3_b32 v3, v3, v37, v36 bitop3:0x80
	ds_load_b32 v36, v42 offset:64
	; wave barrier
	v_bitop3_b32 v3, v3, v11, v28 bitop3:0x80
	s_delay_alu instid0(VALU_DEP_1) | instskip(SKIP_1) | instid1(VALU_DEP_2)
	v_mbcnt_lo_u32_b32 v37, v3, 0
	v_cmp_ne_u32_e64 s2, 0, v3
	v_cmp_eq_u32_e32 vcc_lo, 0, v37
	s_and_b32 s3, s2, vcc_lo
	s_delay_alu instid0(SALU_CYCLE_1)
	s_and_saveexec_b32 s2, s3
	s_cbranch_execz .LBB1346_37
; %bb.36:
	s_wait_dscnt 0x0
	v_bcnt_u32_b32 v3, v3, v36
	ds_store_b32 v42, v3 offset:64
.LBB1346_37:
	s_or_b32 exec_lo, exec_lo, s2
	v_cmp_gt_i32_e32 vcc_lo, 0, v10
	; wave barrier
	v_cndmask_b32_e64 v3, 0x7fffffff, 0, vcc_lo
	s_delay_alu instid0(VALU_DEP_1) | instskip(NEXT) | instid1(VALU_DEP_1)
	v_xor_b32_e32 v28, v3, v10
	v_cmp_ne_u32_e32 vcc_lo, 0x80000000, v28
	v_cndmask_b32_e32 v3, 0x7fffffff, v28, vcc_lo
	s_delay_alu instid0(VALU_DEP_1) | instskip(NEXT) | instid1(VALU_DEP_1)
	v_lshrrev_b32_e32 v3, s20, v3
	v_and_b32_e32 v10, s25, v3
	v_bitop3_b32 v3, v3, 1, s25 bitop3:0x80
	s_delay_alu instid0(VALU_DEP_2) | instskip(NEXT) | instid1(VALU_DEP_2)
	v_dual_lshlrev_b32 v31, 30, v10 :: v_dual_lshlrev_b32 v35, 29, v10
	v_add_co_u32 v3, s2, v3, -1
	s_delay_alu instid0(VALU_DEP_1) | instskip(SKIP_3) | instid1(VALU_DEP_4)
	v_cndmask_b32_e64 v11, 0, 1, s2
	v_dual_lshlrev_b32 v39, 28, v10 :: v_dual_lshlrev_b32 v41, 26, v10
	v_lshlrev_b32_e32 v40, 27, v10
	v_cmp_gt_i32_e64 s2, 0, v31
	v_cmp_ne_u32_e32 vcc_lo, 0, v11
	v_not_b32_e32 v11, v31
	v_cmp_gt_i32_e64 s3, 0, v35
	v_not_b32_e32 v31, v35
	v_cmp_gt_i32_e64 s4, 0, v39
	;; [unrolled: 2-line block ×3, first 2 shown]
	v_not_b32_e32 v39, v40
	v_not_b32_e32 v40, v41
	v_cmp_gt_i32_e64 s6, 0, v41
	s_delay_alu instid0(VALU_DEP_2) | instskip(SKIP_2) | instid1(VALU_DEP_3)
	v_dual_ashrrev_i32 v39, 31, v39 :: v_dual_ashrrev_i32 v40, 31, v40
	v_mad_u32 v45, 0x44, v10, v2
	v_dual_lshlrev_b32 v43, 25, v10 :: v_dual_lshlrev_b32 v10, 24, v10
	v_dual_ashrrev_i32 v31, 31, v31 :: v_dual_bitop2_b32 v40, s6, v40 bitop3:0x14
	s_delay_alu instid0(VALU_DEP_4) | instskip(NEXT) | instid1(VALU_DEP_3)
	v_xor_b32_e32 v39, s5, v39
	v_not_b32_e32 v41, v43
	s_delay_alu instid0(VALU_DEP_4)
	v_cmp_gt_i32_e64 s8, 0, v10
	v_not_b32_e32 v10, v10
	v_ashrrev_i32_e32 v11, 31, v11
	v_xor_b32_e32 v3, vcc_lo, v3
	v_xor_b32_e32 v31, s3, v31
	v_cmp_gt_i32_e64 s7, 0, v43
	v_dual_ashrrev_i32 v10, 31, v10 :: v_dual_ashrrev_i32 v35, 31, v35
	v_xor_b32_e32 v11, s2, v11
	s_delay_alu instid0(VALU_DEP_2) | instskip(NEXT) | instid1(VALU_DEP_3)
	v_xor_b32_e32 v10, s8, v10
	v_xor_b32_e32 v35, s4, v35
	s_delay_alu instid0(VALU_DEP_3) | instskip(SKIP_1) | instid1(VALU_DEP_2)
	v_bitop3_b32 v3, v3, v11, exec_lo bitop3:0x80
	v_ashrrev_i32_e32 v11, 31, v41
	v_bitop3_b32 v3, v3, v35, v31 bitop3:0x80
	s_delay_alu instid0(VALU_DEP_2) | instskip(NEXT) | instid1(VALU_DEP_2)
	v_xor_b32_e32 v11, s7, v11
	v_bitop3_b32 v3, v3, v40, v39 bitop3:0x80
	ds_load_b32 v40, v45 offset:64
	; wave barrier
	v_bitop3_b32 v3, v3, v10, v11 bitop3:0x80
	s_delay_alu instid0(VALU_DEP_1) | instskip(SKIP_1) | instid1(VALU_DEP_2)
	v_mbcnt_lo_u32_b32 v41, v3, 0
	v_cmp_ne_u32_e64 s2, 0, v3
	v_cmp_eq_u32_e32 vcc_lo, 0, v41
	s_and_b32 s3, s2, vcc_lo
	s_delay_alu instid0(SALU_CYCLE_1)
	s_and_saveexec_b32 s2, s3
	s_cbranch_execz .LBB1346_39
; %bb.38:
	s_wait_dscnt 0x0
	v_bcnt_u32_b32 v3, v3, v40
	ds_store_b32 v45, v3 offset:64
.LBB1346_39:
	s_or_b32 exec_lo, exec_lo, s2
	v_cmp_gt_i32_e32 vcc_lo, 0, v9
	; wave barrier
	v_cndmask_b32_e64 v3, 0x7fffffff, 0, vcc_lo
	s_delay_alu instid0(VALU_DEP_1) | instskip(NEXT) | instid1(VALU_DEP_1)
	v_xor_b32_e32 v31, v3, v9
	v_cmp_ne_u32_e32 vcc_lo, 0x80000000, v31
	v_cndmask_b32_e32 v3, 0x7fffffff, v31, vcc_lo
	s_delay_alu instid0(VALU_DEP_1) | instskip(NEXT) | instid1(VALU_DEP_1)
	v_lshrrev_b32_e32 v3, s20, v3
	v_and_b32_e32 v9, s25, v3
	v_bitop3_b32 v3, v3, 1, s25 bitop3:0x80
	s_delay_alu instid0(VALU_DEP_2) | instskip(NEXT) | instid1(VALU_DEP_2)
	v_lshlrev_b32_e32 v11, 30, v9
	v_add_co_u32 v3, s2, v3, -1
	s_delay_alu instid0(VALU_DEP_1) | instskip(NEXT) | instid1(VALU_DEP_1)
	v_cndmask_b32_e64 v10, 0, 1, s2
	v_cmp_ne_u32_e32 vcc_lo, 0, v10
	s_delay_alu instid0(VALU_DEP_4) | instskip(NEXT) | instid1(VALU_DEP_1)
	v_not_b32_e32 v10, v11
	v_dual_ashrrev_i32 v10, 31, v10 :: v_dual_lshlrev_b32 v35, 29, v9
	v_dual_lshlrev_b32 v39, 28, v9 :: v_dual_lshlrev_b32 v43, 27, v9
	v_mad_u32 v49, 0x44, v9, v2
	v_dual_lshlrev_b32 v44, 26, v9 :: v_dual_lshlrev_b32 v46, 25, v9
	v_lshlrev_b32_e32 v9, 24, v9
	v_cmp_gt_i32_e64 s2, 0, v11
	v_cmp_gt_i32_e64 s3, 0, v35
	v_not_b32_e32 v11, v35
	v_not_b32_e32 v35, v39
	v_cmp_gt_i32_e64 s4, 0, v39
	v_cmp_gt_i32_e64 s5, 0, v43
	v_not_b32_e32 v39, v43
	v_cmp_gt_i32_e64 s6, 0, v44
	v_not_b32_e32 v43, v44
	v_not_b32_e32 v44, v46
	v_cmp_gt_i32_e64 s8, 0, v9
	v_not_b32_e32 v9, v9
	v_xor_b32_e32 v3, vcc_lo, v3
	v_dual_ashrrev_i32 v11, 31, v11 :: v_dual_bitop2_b32 v10, s2, v10 bitop3:0x14
	s_delay_alu instid0(VALU_DEP_3) | instskip(SKIP_2) | instid1(VALU_DEP_4)
	v_dual_ashrrev_i32 v35, 31, v35 :: v_dual_ashrrev_i32 v9, 31, v9
	v_cmp_gt_i32_e64 s7, 0, v46
	v_ashrrev_i32_e32 v43, 31, v43
	v_xor_b32_e32 v11, s3, v11
	s_delay_alu instid0(VALU_DEP_4) | instskip(SKIP_4) | instid1(VALU_DEP_4)
	v_xor_b32_e32 v35, s4, v35
	v_bitop3_b32 v3, v3, v10, exec_lo bitop3:0x80
	v_dual_ashrrev_i32 v10, 31, v44 :: v_dual_ashrrev_i32 v39, 31, v39
	v_xor_b32_e32 v9, s8, v9
	v_xor_b32_e32 v43, s6, v43
	v_bitop3_b32 v3, v3, v35, v11 bitop3:0x80
	s_delay_alu instid0(VALU_DEP_4) | instskip(SKIP_3) | instid1(VALU_DEP_1)
	v_xor_b32_e32 v10, s7, v10
	v_xor_b32_e32 v39, s5, v39
	ds_load_b32 v44, v49 offset:64
	; wave barrier
	v_bitop3_b32 v3, v3, v43, v39 bitop3:0x80
	v_bitop3_b32 v3, v3, v9, v10 bitop3:0x80
	s_delay_alu instid0(VALU_DEP_1) | instskip(SKIP_1) | instid1(VALU_DEP_2)
	v_mbcnt_lo_u32_b32 v46, v3, 0
	v_cmp_ne_u32_e64 s2, 0, v3
	v_cmp_eq_u32_e32 vcc_lo, 0, v46
	s_and_b32 s3, s2, vcc_lo
	s_delay_alu instid0(SALU_CYCLE_1)
	s_and_saveexec_b32 s2, s3
	s_cbranch_execz .LBB1346_41
; %bb.40:
	s_wait_dscnt 0x0
	v_bcnt_u32_b32 v3, v3, v44
	ds_store_b32 v49, v3 offset:64
.LBB1346_41:
	s_or_b32 exec_lo, exec_lo, s2
	v_cmp_gt_i32_e32 vcc_lo, 0, v8
	; wave barrier
	v_cndmask_b32_e64 v3, 0x7fffffff, 0, vcc_lo
	s_delay_alu instid0(VALU_DEP_1) | instskip(NEXT) | instid1(VALU_DEP_1)
	v_xor_b32_e32 v35, v3, v8
	v_cmp_ne_u32_e32 vcc_lo, 0x80000000, v35
	v_cndmask_b32_e32 v3, 0x7fffffff, v35, vcc_lo
	s_delay_alu instid0(VALU_DEP_1) | instskip(NEXT) | instid1(VALU_DEP_1)
	v_lshrrev_b32_e32 v3, s20, v3
	v_and_b32_e32 v8, s25, v3
	v_bitop3_b32 v3, v3, 1, s25 bitop3:0x80
	s_delay_alu instid0(VALU_DEP_2) | instskip(NEXT) | instid1(VALU_DEP_2)
	v_lshlrev_b32_e32 v10, 30, v8
	v_add_co_u32 v3, s2, v3, -1
	s_delay_alu instid0(VALU_DEP_1) | instskip(NEXT) | instid1(VALU_DEP_3)
	v_cndmask_b32_e64 v9, 0, 1, s2
	v_cmp_gt_i32_e64 s2, 0, v10
	s_delay_alu instid0(VALU_DEP_2) | instskip(SKIP_1) | instid1(VALU_DEP_1)
	v_cmp_ne_u32_e32 vcc_lo, 0, v9
	v_not_b32_e32 v9, v10
	v_dual_ashrrev_i32 v9, 31, v9 :: v_dual_lshlrev_b32 v11, 29, v8
	v_dual_lshlrev_b32 v39, 28, v8 :: v_dual_lshlrev_b32 v43, 27, v8
	v_lshlrev_b32_e32 v47, 26, v8
	v_mad_u32 v52, 0x44, v8, v2
	s_delay_alu instid0(VALU_DEP_4)
	v_cmp_gt_i32_e64 s3, 0, v11
	v_not_b32_e32 v10, v11
	v_not_b32_e32 v11, v39
	v_dual_lshlrev_b32 v48, 25, v8 :: v_dual_lshlrev_b32 v8, 24, v8
	v_cmp_gt_i32_e64 s4, 0, v39
	v_cmp_gt_i32_e64 s5, 0, v43
	v_not_b32_e32 v39, v43
	v_not_b32_e32 v43, v47
	v_dual_ashrrev_i32 v10, 31, v10 :: v_dual_bitop2_b32 v3, vcc_lo, v3 bitop3:0x14
	v_dual_ashrrev_i32 v11, 31, v11 :: v_dual_bitop2_b32 v9, s2, v9 bitop3:0x14
	v_cmp_gt_i32_e64 s6, 0, v47
	v_not_b32_e32 v47, v48
	v_cmp_gt_i32_e64 s8, 0, v8
	v_not_b32_e32 v8, v8
	v_dual_ashrrev_i32 v39, 31, v39 :: v_dual_bitop2_b32 v10, s3, v10 bitop3:0x14
	v_ashrrev_i32_e32 v43, 31, v43
	v_xor_b32_e32 v11, s4, v11
	v_bitop3_b32 v3, v3, v9, exec_lo bitop3:0x80
	v_cmp_gt_i32_e64 s7, 0, v48
	v_dual_ashrrev_i32 v8, 31, v8 :: v_dual_ashrrev_i32 v9, 31, v47
	v_xor_b32_e32 v39, s5, v39
	v_xor_b32_e32 v43, s6, v43
	v_bitop3_b32 v3, v3, v11, v10 bitop3:0x80
	s_delay_alu instid0(VALU_DEP_4) | instskip(SKIP_3) | instid1(VALU_DEP_1)
	v_xor_b32_e32 v8, s8, v8
	v_xor_b32_e32 v9, s7, v9
	ds_load_b32 v48, v52 offset:64
	v_bitop3_b32 v3, v3, v43, v39 bitop3:0x80
	; wave barrier
	v_bitop3_b32 v3, v3, v8, v9 bitop3:0x80
	s_delay_alu instid0(VALU_DEP_1) | instskip(SKIP_1) | instid1(VALU_DEP_2)
	v_mbcnt_lo_u32_b32 v50, v3, 0
	v_cmp_ne_u32_e64 s2, 0, v3
	v_cmp_eq_u32_e32 vcc_lo, 0, v50
	s_and_b32 s3, s2, vcc_lo
	s_delay_alu instid0(SALU_CYCLE_1)
	s_and_saveexec_b32 s2, s3
	s_cbranch_execz .LBB1346_43
; %bb.42:
	s_wait_dscnt 0x0
	v_bcnt_u32_b32 v3, v3, v48
	ds_store_b32 v52, v3 offset:64
.LBB1346_43:
	s_or_b32 exec_lo, exec_lo, s2
	v_cmp_gt_i32_e32 vcc_lo, 0, v6
	; wave barrier
	v_cndmask_b32_e64 v3, 0x7fffffff, 0, vcc_lo
	s_delay_alu instid0(VALU_DEP_1) | instskip(NEXT) | instid1(VALU_DEP_1)
	v_xor_b32_e32 v39, v3, v6
	v_cmp_ne_u32_e32 vcc_lo, 0x80000000, v39
	v_cndmask_b32_e32 v3, 0x7fffffff, v39, vcc_lo
	s_delay_alu instid0(VALU_DEP_1) | instskip(NEXT) | instid1(VALU_DEP_1)
	v_lshrrev_b32_e32 v3, s20, v3
	v_and_b32_e32 v6, s25, v3
	v_bitop3_b32 v3, v3, 1, s25 bitop3:0x80
	s_delay_alu instid0(VALU_DEP_2) | instskip(NEXT) | instid1(VALU_DEP_2)
	v_lshlrev_b32_e32 v9, 30, v6
	v_add_co_u32 v3, s2, v3, -1
	s_delay_alu instid0(VALU_DEP_1) | instskip(NEXT) | instid1(VALU_DEP_1)
	v_cndmask_b32_e64 v8, 0, 1, s2
	v_cmp_ne_u32_e32 vcc_lo, 0, v8
	s_delay_alu instid0(VALU_DEP_4) | instskip(NEXT) | instid1(VALU_DEP_1)
	v_not_b32_e32 v8, v9
	v_dual_ashrrev_i32 v8, 31, v8 :: v_dual_lshlrev_b32 v10, 29, v6
	v_dual_lshlrev_b32 v11, 28, v6 :: v_dual_lshlrev_b32 v43, 27, v6
	v_lshlrev_b32_e32 v47, 26, v6
	v_cmp_gt_i32_e64 s2, 0, v9
	s_delay_alu instid0(VALU_DEP_4)
	v_cmp_gt_i32_e64 s3, 0, v10
	v_not_b32_e32 v9, v10
	v_not_b32_e32 v10, v11
	v_mad_u32 v54, 0x44, v6, v2
	v_dual_lshlrev_b32 v51, 25, v6 :: v_dual_lshlrev_b32 v6, 24, v6
	v_cmp_gt_i32_e64 s4, 0, v11
	v_cmp_gt_i32_e64 s5, 0, v43
	v_not_b32_e32 v11, v43
	v_not_b32_e32 v43, v47
	v_dual_ashrrev_i32 v9, 31, v9 :: v_dual_bitop2_b32 v3, vcc_lo, v3 bitop3:0x14
	v_dual_ashrrev_i32 v10, 31, v10 :: v_dual_bitop2_b32 v8, s2, v8 bitop3:0x14
	v_cmp_gt_i32_e64 s6, 0, v47
	v_not_b32_e32 v47, v51
	v_cmp_gt_i32_e64 s8, 0, v6
	v_not_b32_e32 v6, v6
	v_dual_ashrrev_i32 v11, 31, v11 :: v_dual_bitop2_b32 v9, s3, v9 bitop3:0x14
	v_dual_ashrrev_i32 v43, 31, v43 :: v_dual_bitop2_b32 v10, s4, v10 bitop3:0x14
	v_bitop3_b32 v3, v3, v8, exec_lo bitop3:0x80
	v_cmp_gt_i32_e64 s7, 0, v51
	v_dual_ashrrev_i32 v8, 31, v47 :: v_dual_ashrrev_i32 v6, 31, v6
	v_xor_b32_e32 v11, s5, v11
	v_xor_b32_e32 v43, s6, v43
	v_bitop3_b32 v3, v3, v10, v9 bitop3:0x80
	s_delay_alu instid0(VALU_DEP_4) | instskip(SKIP_3) | instid1(VALU_DEP_1)
	v_xor_b32_e32 v8, s7, v8
	v_xor_b32_e32 v6, s8, v6
	ds_load_b32 v51, v54 offset:64
	v_bitop3_b32 v3, v3, v43, v11 bitop3:0x80
	; wave barrier
	v_bitop3_b32 v3, v3, v6, v8 bitop3:0x80
	s_delay_alu instid0(VALU_DEP_1) | instskip(SKIP_1) | instid1(VALU_DEP_2)
	v_mbcnt_lo_u32_b32 v53, v3, 0
	v_cmp_ne_u32_e64 s2, 0, v3
	v_cmp_eq_u32_e32 vcc_lo, 0, v53
	s_and_b32 s3, s2, vcc_lo
	s_delay_alu instid0(SALU_CYCLE_1)
	s_and_saveexec_b32 s2, s3
	s_cbranch_execz .LBB1346_45
; %bb.44:
	s_wait_dscnt 0x0
	v_bcnt_u32_b32 v3, v3, v51
	ds_store_b32 v54, v3 offset:64
.LBB1346_45:
	s_or_b32 exec_lo, exec_lo, s2
	v_cmp_gt_i32_e32 vcc_lo, 0, v5
	; wave barrier
	v_cndmask_b32_e64 v3, 0x7fffffff, 0, vcc_lo
	s_delay_alu instid0(VALU_DEP_1) | instskip(NEXT) | instid1(VALU_DEP_1)
	v_xor_b32_e32 v43, v3, v5
	v_cmp_ne_u32_e32 vcc_lo, 0x80000000, v43
	v_cndmask_b32_e32 v3, 0x7fffffff, v43, vcc_lo
	s_delay_alu instid0(VALU_DEP_1) | instskip(NEXT) | instid1(VALU_DEP_1)
	v_lshrrev_b32_e32 v3, s20, v3
	v_and_b32_e32 v5, s25, v3
	v_bitop3_b32 v3, v3, 1, s25 bitop3:0x80
	s_delay_alu instid0(VALU_DEP_2) | instskip(NEXT) | instid1(VALU_DEP_2)
	v_lshlrev_b32_e32 v8, 30, v5
	v_add_co_u32 v3, s2, v3, -1
	s_delay_alu instid0(VALU_DEP_1) | instskip(NEXT) | instid1(VALU_DEP_3)
	v_cndmask_b32_e64 v6, 0, 1, s2
	v_cmp_gt_i32_e64 s2, 0, v8
	s_delay_alu instid0(VALU_DEP_2) | instskip(SKIP_1) | instid1(VALU_DEP_1)
	v_cmp_ne_u32_e32 vcc_lo, 0, v6
	v_not_b32_e32 v6, v8
	v_dual_ashrrev_i32 v6, 31, v6 :: v_dual_lshlrev_b32 v9, 29, v5
	v_dual_lshlrev_b32 v10, 28, v5 :: v_dual_lshlrev_b32 v11, 27, v5
	v_lshlrev_b32_e32 v47, 26, v5
	v_mad_u32 v57, 0x44, v5, v2
	s_delay_alu instid0(VALU_DEP_4)
	v_cmp_gt_i32_e64 s3, 0, v9
	v_not_b32_e32 v8, v9
	v_not_b32_e32 v9, v10
	v_dual_lshlrev_b32 v55, 25, v5 :: v_dual_lshlrev_b32 v5, 24, v5
	v_cmp_gt_i32_e64 s4, 0, v10
	v_cmp_gt_i32_e64 s5, 0, v11
	v_not_b32_e32 v10, v11
	v_not_b32_e32 v11, v47
	v_dual_ashrrev_i32 v8, 31, v8 :: v_dual_bitop2_b32 v3, vcc_lo, v3 bitop3:0x14
	v_dual_ashrrev_i32 v9, 31, v9 :: v_dual_bitop2_b32 v6, s2, v6 bitop3:0x14
	v_cmp_gt_i32_e64 s6, 0, v47
	v_not_b32_e32 v47, v55
	v_cmp_gt_i32_e64 s8, 0, v5
	v_not_b32_e32 v5, v5
	v_dual_ashrrev_i32 v10, 31, v10 :: v_dual_ashrrev_i32 v11, 31, v11
	v_xor_b32_e32 v8, s3, v8
	v_xor_b32_e32 v9, s4, v9
	v_bitop3_b32 v3, v3, v6, exec_lo bitop3:0x80
	v_cmp_gt_i32_e64 s7, 0, v55
	v_dual_ashrrev_i32 v6, 31, v47 :: v_dual_ashrrev_i32 v5, 31, v5
	v_xor_b32_e32 v10, s5, v10
	v_xor_b32_e32 v11, s6, v11
	v_bitop3_b32 v3, v3, v9, v8 bitop3:0x80
	s_delay_alu instid0(VALU_DEP_4) | instskip(SKIP_3) | instid1(VALU_DEP_1)
	v_xor_b32_e32 v6, s7, v6
	v_xor_b32_e32 v5, s8, v5
	ds_load_b32 v55, v57 offset:64
	v_bitop3_b32 v3, v3, v11, v10 bitop3:0x80
	; wave barrier
	v_bitop3_b32 v3, v3, v5, v6 bitop3:0x80
	s_delay_alu instid0(VALU_DEP_1) | instskip(SKIP_1) | instid1(VALU_DEP_2)
	v_mbcnt_lo_u32_b32 v56, v3, 0
	v_cmp_ne_u32_e64 s2, 0, v3
	v_cmp_eq_u32_e32 vcc_lo, 0, v56
	s_and_b32 s3, s2, vcc_lo
	s_delay_alu instid0(SALU_CYCLE_1)
	s_and_saveexec_b32 s2, s3
	s_cbranch_execz .LBB1346_47
; %bb.46:
	s_wait_dscnt 0x0
	v_bcnt_u32_b32 v3, v3, v55
	ds_store_b32 v57, v3 offset:64
.LBB1346_47:
	s_or_b32 exec_lo, exec_lo, s2
	v_cmp_gt_i32_e32 vcc_lo, 0, v4
	; wave barrier
	v_cndmask_b32_e64 v3, 0x7fffffff, 0, vcc_lo
	s_delay_alu instid0(VALU_DEP_1) | instskip(NEXT) | instid1(VALU_DEP_1)
	v_xor_b32_e32 v47, v3, v4
	v_cmp_ne_u32_e32 vcc_lo, 0x80000000, v47
	v_cndmask_b32_e32 v3, 0x7fffffff, v47, vcc_lo
	s_delay_alu instid0(VALU_DEP_1) | instskip(NEXT) | instid1(VALU_DEP_1)
	v_lshrrev_b32_e32 v3, s20, v3
	v_and_b32_e32 v4, s25, v3
	v_bitop3_b32 v3, v3, 1, s25 bitop3:0x80
	s_delay_alu instid0(VALU_DEP_2) | instskip(NEXT) | instid1(VALU_DEP_2)
	v_mad_u32 v60, 0x44, v4, v2
	v_add_co_u32 v2, s2, v3, -1
	s_delay_alu instid0(VALU_DEP_1) | instskip(SKIP_1) | instid1(VALU_DEP_2)
	v_cndmask_b32_e64 v3, 0, 1, s2
	v_lshlrev_b32_e32 v5, 30, v4
	v_cmp_ne_u32_e32 vcc_lo, 0, v3
	s_delay_alu instid0(VALU_DEP_2)
	v_not_b32_e32 v3, v5
	ds_load_b32 v58, v60 offset:64
	; wave barrier
	v_dual_ashrrev_i32 v3, 31, v3 :: v_dual_lshlrev_b32 v6, 29, v4
	v_dual_lshlrev_b32 v8, 28, v4 :: v_dual_lshlrev_b32 v9, 27, v4
	v_lshlrev_b32_e32 v10, 26, v4
	v_cmp_gt_i32_e64 s2, 0, v5
	s_delay_alu instid0(VALU_DEP_4)
	v_cmp_gt_i32_e64 s3, 0, v6
	v_not_b32_e32 v5, v6
	v_not_b32_e32 v6, v8
	v_dual_lshlrev_b32 v11, 25, v4 :: v_dual_lshlrev_b32 v4, 24, v4
	v_cmp_gt_i32_e64 s4, 0, v8
	v_cmp_gt_i32_e64 s5, 0, v9
	v_not_b32_e32 v8, v9
	v_not_b32_e32 v9, v10
	v_dual_ashrrev_i32 v5, 31, v5 :: v_dual_bitop2_b32 v2, vcc_lo, v2 bitop3:0x14
	v_dual_ashrrev_i32 v6, 31, v6 :: v_dual_bitop2_b32 v3, s2, v3 bitop3:0x14
	v_cmp_gt_i32_e64 s6, 0, v10
	v_not_b32_e32 v10, v11
	v_cmp_gt_i32_e64 s8, 0, v4
	v_not_b32_e32 v4, v4
	v_dual_ashrrev_i32 v8, 31, v8 :: v_dual_ashrrev_i32 v9, 31, v9
	v_xor_b32_e32 v5, s3, v5
	s_delay_alu instid0(VALU_DEP_3) | instskip(SKIP_4) | instid1(VALU_DEP_4)
	v_dual_ashrrev_i32 v4, 31, v4 :: v_dual_bitop2_b32 v6, s4, v6 bitop3:0x14
	v_bitop3_b32 v2, v2, v3, exec_lo bitop3:0x80
	v_cmp_gt_i32_e64 s7, 0, v11
	v_dual_ashrrev_i32 v3, 31, v10 :: v_dual_bitop2_b32 v8, s5, v8 bitop3:0x14
	v_xor_b32_e32 v9, s6, v9
	v_bitop3_b32 v2, v2, v6, v5 bitop3:0x80
	v_xor_b32_e32 v4, s8, v4
	s_delay_alu instid0(VALU_DEP_4) | instskip(NEXT) | instid1(VALU_DEP_3)
	v_xor_b32_e32 v3, s7, v3
	v_bitop3_b32 v2, v2, v9, v8 bitop3:0x80
	s_delay_alu instid0(VALU_DEP_1) | instskip(NEXT) | instid1(VALU_DEP_1)
	v_bitop3_b32 v2, v2, v4, v3 bitop3:0x80
	v_mbcnt_lo_u32_b32 v59, v2, 0
	v_cmp_ne_u32_e64 s2, 0, v2
	s_delay_alu instid0(VALU_DEP_2) | instskip(SKIP_1) | instid1(SALU_CYCLE_1)
	v_cmp_eq_u32_e32 vcc_lo, 0, v59
	s_and_b32 s3, s2, vcc_lo
	s_and_saveexec_b32 s2, s3
	s_cbranch_execz .LBB1346_49
; %bb.48:
	s_wait_dscnt 0x0
	v_bcnt_u32_b32 v2, v2, v58
	ds_store_b32 v60, v2 offset:64
.LBB1346_49:
	s_or_b32 exec_lo, exec_lo, s2
	; wave barrier
	s_wait_dscnt 0x0
	s_barrier_signal -1
	s_barrier_wait -1
	ds_load_2addr_b32 v[10:11], v12 offset0:16 offset1:17
	ds_load_2addr_b32 v[8:9], v12 offset0:18 offset1:19
	;; [unrolled: 1-line block ×4, first 2 shown]
	ds_load_b32 v6, v12 offset:96
	v_min_u32_e32 v63, 0x1e0, v17
	s_mov_b32 s6, exec_lo
	s_delay_alu instid0(VALU_DEP_1) | instskip(SKIP_3) | instid1(VALU_DEP_1)
	v_or_b32_e32 v63, 31, v63
	s_wait_dscnt 0x3
	v_add3_u32 v61, v11, v10, v8
	s_wait_dscnt 0x2
	v_add3_u32 v61, v61, v9, v4
	s_wait_dscnt 0x1
	s_delay_alu instid0(VALU_DEP_1) | instskip(SKIP_1) | instid1(VALU_DEP_1)
	v_add3_u32 v61, v61, v5, v2
	s_wait_dscnt 0x0
	v_add3_u32 v6, v61, v3, v6
	v_and_b32_e32 v61, 15, v16
	s_delay_alu instid0(VALU_DEP_2) | instskip(NEXT) | instid1(VALU_DEP_2)
	v_mov_b32_dpp v62, v6 row_shr:1 row_mask:0xf bank_mask:0xf
	v_cmp_eq_u32_e32 vcc_lo, 0, v61
	s_delay_alu instid0(VALU_DEP_2) | instskip(NEXT) | instid1(VALU_DEP_1)
	v_cndmask_b32_e64 v62, v62, 0, vcc_lo
	v_add_nc_u32_e32 v6, v62, v6
	v_cmp_lt_u32_e64 s2, 1, v61
	v_cmp_lt_u32_e64 s3, 3, v61
	;; [unrolled: 1-line block ×3, first 2 shown]
	s_delay_alu instid0(VALU_DEP_4) | instskip(NEXT) | instid1(VALU_DEP_1)
	v_mov_b32_dpp v62, v6 row_shr:2 row_mask:0xf bank_mask:0xf
	v_cndmask_b32_e64 v62, 0, v62, s2
	s_delay_alu instid0(VALU_DEP_1) | instskip(NEXT) | instid1(VALU_DEP_1)
	v_add_nc_u32_e32 v6, v6, v62
	v_mov_b32_dpp v62, v6 row_shr:4 row_mask:0xf bank_mask:0xf
	s_delay_alu instid0(VALU_DEP_1) | instskip(NEXT) | instid1(VALU_DEP_1)
	v_cndmask_b32_e64 v62, 0, v62, s3
	v_add_nc_u32_e32 v6, v6, v62
	s_delay_alu instid0(VALU_DEP_1) | instskip(NEXT) | instid1(VALU_DEP_1)
	v_mov_b32_dpp v62, v6 row_shr:8 row_mask:0xf bank_mask:0xf
	v_cndmask_b32_e64 v61, 0, v62, s4
	v_bfe_i32 v62, v16, 4, 1
	s_delay_alu instid0(VALU_DEP_2) | instskip(SKIP_4) | instid1(VALU_DEP_2)
	v_add_nc_u32_e32 v6, v6, v61
	ds_swizzle_b32 v61, v6 offset:swizzle(BROADCAST,32,15)
	s_wait_dscnt 0x0
	v_and_b32_e32 v61, v62, v61
	v_lshrrev_b32_e32 v62, 5, v1
	v_add_nc_u32_e32 v61, v6, v61
	v_cmpx_eq_u32_e64 v1, v63
; %bb.50:
	s_delay_alu instid0(VALU_DEP_3)
	v_lshlrev_b32_e32 v6, 2, v62
	ds_store_b32 v6, v61
; %bb.51:
	s_or_b32 exec_lo, exec_lo, s6
	v_lshlrev_b32_e32 v6, 2, v1
	s_mov_b32 s6, exec_lo
	s_wait_dscnt 0x0
	s_barrier_signal -1
	s_barrier_wait -1
	v_cmpx_gt_u32_e32 16, v1
	s_cbranch_execz .LBB1346_53
; %bb.52:
	ds_load_b32 v63, v6
	s_wait_dscnt 0x0
	v_mov_b32_dpp v64, v63 row_shr:1 row_mask:0xf bank_mask:0xf
	s_delay_alu instid0(VALU_DEP_1) | instskip(NEXT) | instid1(VALU_DEP_1)
	v_cndmask_b32_e64 v64, v64, 0, vcc_lo
	v_add_nc_u32_e32 v63, v64, v63
	s_delay_alu instid0(VALU_DEP_1) | instskip(NEXT) | instid1(VALU_DEP_1)
	v_mov_b32_dpp v64, v63 row_shr:2 row_mask:0xf bank_mask:0xf
	v_cndmask_b32_e64 v64, 0, v64, s2
	s_delay_alu instid0(VALU_DEP_1) | instskip(NEXT) | instid1(VALU_DEP_1)
	v_add_nc_u32_e32 v63, v63, v64
	v_mov_b32_dpp v64, v63 row_shr:4 row_mask:0xf bank_mask:0xf
	s_delay_alu instid0(VALU_DEP_1) | instskip(NEXT) | instid1(VALU_DEP_1)
	v_cndmask_b32_e64 v64, 0, v64, s3
	v_add_nc_u32_e32 v63, v63, v64
	s_delay_alu instid0(VALU_DEP_1) | instskip(NEXT) | instid1(VALU_DEP_1)
	v_mov_b32_dpp v64, v63 row_shr:8 row_mask:0xf bank_mask:0xf
	v_cndmask_b32_e64 v64, 0, v64, s4
	s_delay_alu instid0(VALU_DEP_1)
	v_add_nc_u32_e32 v63, v63, v64
	ds_store_b32 v6, v63
.LBB1346_53:
	s_or_b32 exec_lo, exec_lo, s6
	v_mov_b32_e32 v63, 0
	s_mov_b32 s2, exec_lo
	s_wait_dscnt 0x0
	s_barrier_signal -1
	s_barrier_wait -1
	v_cmpx_lt_u32_e32 31, v1
; %bb.54:
	v_lshl_add_u32 v62, v62, 2, -4
	ds_load_b32 v63, v62
; %bb.55:
	s_or_b32 exec_lo, exec_lo, s2
	v_sub_co_u32 v62, vcc_lo, v16, 1
	s_wait_dscnt 0x0
	v_add_nc_u32_e32 v61, v63, v61
	s_delay_alu instid0(VALU_DEP_2) | instskip(NEXT) | instid1(VALU_DEP_1)
	v_cmp_gt_i32_e64 s2, 0, v62
	v_cndmask_b32_e64 v62, v62, v16, s2
	v_cmp_lt_u32_e64 s2, 0xff, v1
	s_delay_alu instid0(VALU_DEP_2) | instskip(SKIP_4) | instid1(VALU_DEP_2)
	v_lshlrev_b32_e32 v62, 2, v62
	ds_bpermute_b32 v61, v62, v61
	s_wait_dscnt 0x0
	v_cndmask_b32_e32 v61, v61, v63, vcc_lo
	v_cmp_ne_u32_e32 vcc_lo, 0, v1
	v_cndmask_b32_e32 v61, 0, v61, vcc_lo
	v_cmp_gt_u32_e32 vcc_lo, 0x100, v1
	s_delay_alu instid0(VALU_DEP_2) | instskip(NEXT) | instid1(VALU_DEP_1)
	v_add_nc_u32_e32 v10, v61, v10
	v_add_nc_u32_e32 v11, v10, v11
	s_delay_alu instid0(VALU_DEP_1) | instskip(NEXT) | instid1(VALU_DEP_1)
	v_add_nc_u32_e32 v8, v11, v8
	v_add_nc_u32_e32 v9, v8, v9
	s_delay_alu instid0(VALU_DEP_1) | instskip(NEXT) | instid1(VALU_DEP_1)
	;; [unrolled: 3-line block ×3, first 2 shown]
	v_add_nc_u32_e32 v2, v5, v2
	v_add_nc_u32_e32 v3, v2, v3
	ds_store_2addr_b32 v12, v61, v10 offset0:16 offset1:17
	ds_store_2addr_b32 v12, v11, v8 offset0:18 offset1:19
	;; [unrolled: 1-line block ×4, first 2 shown]
	ds_store_b32 v12, v3 offset:96
	s_wait_dscnt 0x0
	s_barrier_signal -1
	s_barrier_wait -1
	ds_load_b32 v63, v13 offset:64
	ds_load_b32 v61, v14 offset:64
	;; [unrolled: 1-line block ×12, first 2 shown]
	v_mov_b64_e32 v[2:3], 0
                                        ; implicit-def: $vgpr4
	s_and_saveexec_b32 s4, vcc_lo
	s_cbranch_execz .LBB1346_59
; %bb.56:
	v_mul_u32_u24_e32 v2, 0x44, v1
	v_dual_mov_b32 v3, 0x1800 :: v_dual_add_nc_u32 v4, 1, v1
	s_mov_b32 s5, exec_lo
	ds_load_b32 v2, v2 offset:64
	v_cmpx_ne_u32_e32 0x100, v4
; %bb.57:
	v_mul_u32_u24_e32 v3, 0x44, v4
	ds_load_b32 v3, v3 offset:64
; %bb.58:
	s_or_b32 exec_lo, exec_lo, s5
	s_wait_dscnt 0x0
	v_dual_mov_b32 v3, 0 :: v_dual_sub_nc_u32 v4, v3, v2
.LBB1346_59:
	s_or_b32 exec_lo, exec_lo, s4
	v_dual_mov_b32 v9, 0 :: v_dual_lshlrev_b32 v5, 3, v1
	s_wait_dscnt 0x0
	s_barrier_signal -1
	s_barrier_wait -1
	s_and_saveexec_b32 s3, vcc_lo
	s_cbranch_execz .LBB1346_69
; %bb.60:
	v_lshl_add_u32 v8, s9, 8, v1
	v_dual_mov_b32 v12, 0 :: v_dual_bitop2_b32 v13, 2.0, v4 bitop3:0x54
	s_mov_b32 s4, 0
	s_mov_b32 s5, s9
	s_delay_alu instid0(VALU_DEP_2)
	v_lshl_add_u64 v[10:11], v[8:9], 2, s[10:11]
	global_store_b32 v8, v13, s[10:11] scale_offset scope:SCOPE_DEV
                                        ; implicit-def: $sgpr6
	s_branch .LBB1346_63
.LBB1346_61:                            ;   in Loop: Header=BB1346_63 Depth=1
	s_or_b32 exec_lo, exec_lo, s7
.LBB1346_62:                            ;   in Loop: Header=BB1346_63 Depth=1
	s_delay_alu instid0(SALU_CYCLE_1) | instskip(SKIP_2) | instid1(VALU_DEP_2)
	s_or_b32 exec_lo, exec_lo, s6
	v_and_b32_e32 v8, 0x3fffffff, v13
	v_cmp_gt_i32_e64 s6, -2.0, v13
	v_add_nc_u32_e32 v12, v8, v12
	s_and_b32 s7, exec_lo, s6
	s_delay_alu instid0(SALU_CYCLE_1) | instskip(NEXT) | instid1(SALU_CYCLE_1)
	s_or_b32 s4, s7, s4
	s_and_not1_b32 exec_lo, exec_lo, s4
	s_cbranch_execz .LBB1346_68
.LBB1346_63:                            ; =>This Loop Header: Depth=1
                                        ;     Child Loop BB1346_66 Depth 2
	s_or_b32 s6, s6, exec_lo
	s_cmp_eq_u32 s5, 0
	s_cbranch_scc1 .LBB1346_67
; %bb.64:                               ;   in Loop: Header=BB1346_63 Depth=1
	s_add_co_i32 s5, s5, -1
	s_mov_b32 s6, exec_lo
	s_wait_xcnt 0x0
	v_lshl_or_b32 v8, s5, 8, v1
	global_load_b32 v13, v8, s[10:11] scale_offset scope:SCOPE_DEV
	s_wait_loadcnt 0x0
	v_cmpx_gt_u32_e32 2.0, v13
	s_cbranch_execz .LBB1346_62
; %bb.65:                               ;   in Loop: Header=BB1346_63 Depth=1
	v_lshl_add_u64 v[14:15], v[8:9], 2, s[10:11]
	s_mov_b32 s7, 0
.LBB1346_66:                            ;   Parent Loop BB1346_63 Depth=1
                                        ; =>  This Inner Loop Header: Depth=2
	global_load_b32 v13, v[14:15], off scope:SCOPE_DEV
	s_wait_loadcnt 0x0
	v_cmp_lt_u32_e32 vcc_lo, 0x3fffffff, v13
	s_or_b32 s7, vcc_lo, s7
	s_wait_xcnt 0x0
	s_and_not1_b32 exec_lo, exec_lo, s7
	s_cbranch_execnz .LBB1346_66
	s_branch .LBB1346_61
.LBB1346_67:                            ;   in Loop: Header=BB1346_63 Depth=1
                                        ; implicit-def: $sgpr5
	s_and_b32 s7, exec_lo, s6
	s_delay_alu instid0(SALU_CYCLE_1)
	s_or_b32 s4, s7, s4
	s_wait_xcnt 0x0
	s_and_not1_b32 exec_lo, exec_lo, s4
	s_cbranch_execnz .LBB1346_63
.LBB1346_68:
	s_or_b32 exec_lo, exec_lo, s4
	v_dual_mov_b32 v13, 0 :: v_dual_add_nc_u32 v8, v12, v4
	s_delay_alu instid0(VALU_DEP_1) | instskip(SKIP_4) | instid1(VALU_DEP_1)
	v_or_b32_e32 v8, 0x80000000, v8
	global_store_b32 v[10:11], v8, off scope:SCOPE_DEV
	global_load_b64 v[8:9], v1, s[12:13] scale_offset
	v_sub_nc_u64_e32 v[10:11], v[12:13], v[2:3]
	s_wait_loadcnt 0x0
	v_add_nc_u64_e32 v[8:9], v[10:11], v[8:9]
	ds_store_b64 v5, v[8:9]
.LBB1346_69:
	s_wait_xcnt 0x0
	s_or_b32 exec_lo, exec_lo, s3
	v_dual_add_nc_u32 v8, v63, v7 :: v_dual_sub_nc_u32 v63, 0, v6
	v_mov_b32_e32 v7, 0
	v_add3_u32 v23, v24, v61, v23
	v_add_nc_u32_e32 v24, 0xe00, v1
	v_add3_u32 v9, v59, v60, v58
	v_add3_u32 v10, v56, v57, v55
	v_add_nc_u64_e32 v[6:7], s[18:19], v[6:7]
	v_add3_u32 v11, v53, v54, v51
	v_add3_u32 v12, v50, v52, v48
	;; [unrolled: 1-line block ×6, first 2 shown]
	v_add_nc_u64_e32 v[6:7], 0x3800, v[6:7]
	v_add3_u32 v29, v30, v34, v29
	v_add3_u32 v26, v27, v62, v26
	v_add_nc_u32_e32 v27, v5, v63
	s_mov_b32 s3, 0
	s_mov_b32 s4, -1
	s_branch .LBB1346_71
.LBB1346_70:                            ;   in Loop: Header=BB1346_71 Depth=1
	s_wait_xcnt 0x0
	s_or_b32 exec_lo, exec_lo, s5
	v_add_nc_u64_e32 v[6:7], 0x4000, v[6:7]
	v_add_nc_u32_e32 v24, 0x1000, v24
	s_xor_b32 s4, s4, -1
	s_addk_co_i32 s3, 0xf000
	s_and_b32 vcc_lo, exec_lo, s4
	s_mov_b32 s4, 0
	s_wait_storecnt 0x0
	s_barrier_signal -1
	s_barrier_wait -1
	s_cbranch_vccnz .LBB1346_87
.LBB1346_71:                            ; =>This Inner Loop Header: Depth=1
	v_add_min_u32_e64 v30, v8, s3, 0x1000
	v_add_min_u32_e64 v33, v23, s3, 0x1000
	;; [unrolled: 1-line block ×5, first 2 shown]
	s_delay_alu instid0(VALU_DEP_4) | instskip(NEXT) | instid1(VALU_DEP_4)
	v_dual_lshlrev_b32 v30, 2, v30 :: v_dual_lshlrev_b32 v33, 2, v33
	v_lshlrev_b32_e32 v34, 2, v34
	v_add_min_u32_e64 v38, v15, s3, 0x1000
	s_mov_b32 s5, exec_lo
	ds_store_b32 v30, v18 offset:2048
	ds_store_b32 v33, v19 offset:2048
	v_add_min_u32_e64 v30, v14, s3, 0x1000
	v_lshlrev_b32_e32 v33, 2, v36
	ds_store_b32 v34, v20 offset:2048
	v_dual_lshlrev_b32 v34, 2, v37 :: v_dual_lshlrev_b32 v36, 2, v38
	v_add_min_u32_e64 v37, v13, s3, 0x1000
	v_lshlrev_b32_e32 v30, 2, v30
	ds_store_b32 v33, v21 offset:2048
	ds_store_b32 v34, v22 offset:2048
	;; [unrolled: 1-line block ×4, first 2 shown]
	v_add_min_u32_e64 v33, v12, s3, 0x1000
	v_add_min_u32_e64 v34, v11, s3, 0x1000
	v_lshlrev_b32_e32 v30, 2, v37
	v_add_min_u32_e64 v36, v10, s3, 0x1000
	v_add_min_u32_e64 v37, v9, s3, 0x1000
	ds_store_b32 v30, v31 offset:2048
	v_dual_lshlrev_b32 v30, 2, v33 :: v_dual_lshlrev_b32 v33, 2, v34
	v_dual_lshlrev_b32 v34, 2, v36 :: v_dual_lshlrev_b32 v36, 2, v37
	v_add_nc_u32_e32 v37, 0xfffff200, v24
	ds_store_b32 v30, v35 offset:2048
	ds_store_b32 v33, v39 offset:2048
	;; [unrolled: 1-line block ×4, first 2 shown]
	s_wait_storecnt_dscnt 0x0
	s_barrier_signal -1
	s_barrier_wait -1
	v_cmpx_gt_u32_e64 s22, v37
	s_cbranch_execz .LBB1346_73
; %bb.72:                               ;   in Loop: Header=BB1346_71 Depth=1
	ds_load_b32 v30, v27 offset:2048
	s_wait_dscnt 0x0
	v_cmp_ne_u32_e32 vcc_lo, 0x80000000, v30
	v_cndmask_b32_e32 v33, 0x7fffffff, v30, vcc_lo
	v_cmp_gt_i32_e32 vcc_lo, 0, v30
	s_delay_alu instid0(VALU_DEP_2) | instskip(NEXT) | instid1(VALU_DEP_1)
	v_lshrrev_b32_e32 v33, s20, v33
	v_and_b32_e32 v33, s25, v33
	s_delay_alu instid0(VALU_DEP_1) | instskip(SKIP_2) | instid1(VALU_DEP_1)
	v_lshlrev_b32_e32 v33, 3, v33
	ds_load_b64 v[36:37], v33
	v_cndmask_b32_e64 v33, 0x7fffffff, 0, vcc_lo
	v_xor_b32_e32 v30, v33, v30
	s_wait_dscnt 0x0
	v_lshl_add_u64 v[36:37], v[36:37], 2, v[6:7]
	global_store_b32 v[36:37], v30, off offset:-14336
.LBB1346_73:                            ;   in Loop: Header=BB1346_71 Depth=1
	s_wait_xcnt 0x0
	s_or_b32 exec_lo, exec_lo, s5
	v_add_nc_u32_e32 v30, 0xfffff400, v24
	s_mov_b32 s5, exec_lo
	s_delay_alu instid0(VALU_DEP_1)
	v_cmpx_gt_u32_e64 s22, v30
	s_cbranch_execz .LBB1346_75
; %bb.74:                               ;   in Loop: Header=BB1346_71 Depth=1
	ds_load_b32 v30, v27 offset:4096
	s_wait_dscnt 0x0
	v_cmp_ne_u32_e32 vcc_lo, 0x80000000, v30
	v_cndmask_b32_e32 v33, 0x7fffffff, v30, vcc_lo
	v_cmp_gt_i32_e32 vcc_lo, 0, v30
	s_delay_alu instid0(VALU_DEP_2) | instskip(NEXT) | instid1(VALU_DEP_1)
	v_lshrrev_b32_e32 v33, s20, v33
	v_and_b32_e32 v33, s25, v33
	s_delay_alu instid0(VALU_DEP_1) | instskip(SKIP_2) | instid1(VALU_DEP_1)
	v_lshlrev_b32_e32 v33, 3, v33
	ds_load_b64 v[36:37], v33
	v_cndmask_b32_e64 v33, 0x7fffffff, 0, vcc_lo
	v_xor_b32_e32 v30, v33, v30
	s_wait_dscnt 0x0
	v_lshl_add_u64 v[36:37], v[36:37], 2, v[6:7]
	global_store_b32 v[36:37], v30, off offset:-12288
.LBB1346_75:                            ;   in Loop: Header=BB1346_71 Depth=1
	s_wait_xcnt 0x0
	s_or_b32 exec_lo, exec_lo, s5
	v_add_nc_u32_e32 v30, 0xfffff600, v24
	s_mov_b32 s5, exec_lo
	s_delay_alu instid0(VALU_DEP_1)
	;; [unrolled: 25-line block ×6, first 2 shown]
	v_cmpx_gt_u32_e64 s22, v30
	s_cbranch_execz .LBB1346_85
; %bb.84:                               ;   in Loop: Header=BB1346_71 Depth=1
	ds_load_b32 v30, v27 offset:14336
	s_wait_dscnt 0x0
	v_cmp_ne_u32_e32 vcc_lo, 0x80000000, v30
	v_cndmask_b32_e32 v33, 0x7fffffff, v30, vcc_lo
	v_cmp_gt_i32_e32 vcc_lo, 0, v30
	s_delay_alu instid0(VALU_DEP_2) | instskip(NEXT) | instid1(VALU_DEP_1)
	v_lshrrev_b32_e32 v33, s20, v33
	v_and_b32_e32 v33, s25, v33
	s_delay_alu instid0(VALU_DEP_1) | instskip(SKIP_2) | instid1(VALU_DEP_1)
	v_lshlrev_b32_e32 v33, 3, v33
	ds_load_b64 v[36:37], v33
	v_cndmask_b32_e64 v33, 0x7fffffff, 0, vcc_lo
	v_xor_b32_e32 v30, v33, v30
	s_wait_dscnt 0x0
	v_lshl_add_u64 v[36:37], v[36:37], 2, v[6:7]
	global_store_b32 v[36:37], v30, off offset:-2048
.LBB1346_85:                            ;   in Loop: Header=BB1346_71 Depth=1
	s_wait_xcnt 0x0
	s_or_b32 exec_lo, exec_lo, s5
	s_delay_alu instid0(SALU_CYCLE_1)
	s_mov_b32 s5, exec_lo
	v_cmpx_gt_u32_e64 s22, v24
	s_cbranch_execz .LBB1346_70
; %bb.86:                               ;   in Loop: Header=BB1346_71 Depth=1
	ds_load_b32 v30, v27 offset:16384
	s_wait_dscnt 0x0
	v_cmp_ne_u32_e32 vcc_lo, 0x80000000, v30
	v_cndmask_b32_e32 v33, 0x7fffffff, v30, vcc_lo
	v_cmp_gt_i32_e32 vcc_lo, 0, v30
	s_delay_alu instid0(VALU_DEP_2) | instskip(NEXT) | instid1(VALU_DEP_1)
	v_lshrrev_b32_e32 v33, s20, v33
	v_and_b32_e32 v33, s25, v33
	s_delay_alu instid0(VALU_DEP_1) | instskip(SKIP_2) | instid1(VALU_DEP_1)
	v_lshlrev_b32_e32 v33, 3, v33
	ds_load_b64 v[36:37], v33
	v_cndmask_b32_e64 v33, 0x7fffffff, 0, vcc_lo
	v_xor_b32_e32 v30, v33, v30
	s_wait_dscnt 0x0
	v_lshl_add_u64 v[36:37], v[36:37], 2, v[6:7]
	global_store_b32 v[36:37], v30, off
	s_branch .LBB1346_70
.LBB1346_87:
	s_add_co_i32 s23, s23, -1
	s_delay_alu instid0(SALU_CYCLE_1) | instskip(SKIP_2) | instid1(SALU_CYCLE_1)
	s_cmp_eq_u32 s9, s23
	s_cselect_b32 s3, -1, 0
	s_xor_b32 s2, s2, -1
	s_and_b32 s3, s2, s3
	s_delay_alu instid0(SALU_CYCLE_1)
	s_and_saveexec_b32 s2, s3
	s_cbranch_execz .LBB1346_89
; %bb.88:
	ds_load_b64 v[6:7], v5
	v_mov_b32_e32 v5, 0
	s_delay_alu instid0(VALU_DEP_1) | instskip(SKIP_1) | instid1(VALU_DEP_1)
	v_add_nc_u64_e32 v[2:3], v[2:3], v[4:5]
	s_wait_dscnt 0x0
	v_add_nc_u64_e32 v[2:3], v[2:3], v[6:7]
	global_store_b64 v1, v[2:3], s[14:15] scale_offset
.LBB1346_89:
	s_wait_xcnt 0x0
	s_or_b32 exec_lo, exec_lo, s2
	s_mov_b32 s2, 0
.LBB1346_90:
	s_delay_alu instid0(SALU_CYCLE_1)
	s_and_b32 vcc_lo, exec_lo, s2
	s_cbranch_vccz .LBB1346_149
; %bb.91:
	s_mov_b32 s25, 0
	v_dual_mov_b32 v11, 0 :: v_dual_lshlrev_b32 v10, 2, v16
	s_lshl_b64 s[2:3], s[24:25], 2
	v_mul_u32_u24_e32 v1, 12, v17
	s_add_nc_u64 s[2:3], s[16:17], s[2:3]
	v_bfe_u32 v18, v0, 20, 10
	v_add_nc_u64_e32 v[2:3], s[2:3], v[10:11]
	s_delay_alu instid0(VALU_DEP_3) | instskip(NEXT) | instid1(VALU_DEP_1)
	v_lshlrev_b32_e32 v10, 2, v1
	v_add_nc_u64_e32 v[14:15], v[2:3], v[10:11]
	s_clause 0xb
	global_load_b32 v5, v[14:15], off
	global_load_b32 v12, v[14:15], off offset:128
	global_load_b32 v13, v[14:15], off offset:256
	;; [unrolled: 1-line block ×11, first 2 shown]
	s_clause 0x1
	s_load_b32 s7, s[0:1], 0x58
	s_load_u16 s2, s[0:1], 0x66
	v_and_b32_e32 v15, 0x3ff, v0
	s_wait_kmcnt 0x0
	s_cmp_lt_u32 s9, s7
	s_cselect_b32 s24, 12, 18
	s_lshl_b32 s8, -1, s21
	s_add_nc_u64 s[0:1], s[26:27], s[24:25]
	s_load_u16 s0, s[0:1], 0x0
	s_wait_loadcnt 0xb
	v_cmp_gt_i32_e32 vcc_lo, 0, v5
	v_cndmask_b32_e64 v10, 0x7fffffff, 0, vcc_lo
	s_delay_alu instid0(VALU_DEP_1) | instskip(SKIP_1) | instid1(VALU_DEP_2)
	v_xor_b32_e32 v14, v10, v5
	v_bfe_u32 v10, v0, 10, 10
	v_cmp_ne_u32_e32 vcc_lo, 0x80000000, v14
	s_delay_alu instid0(VALU_DEP_2) | instskip(SKIP_2) | instid1(VALU_DEP_2)
	v_mad_u32_u24 v0, v18, s2, v10
	v_cndmask_b32_e32 v5, 0x7fffffff, v14, vcc_lo
	s_wait_kmcnt 0x0
	v_mad_u32 v0, v0, s0, v15
	s_delay_alu instid0(VALU_DEP_2) | instskip(NEXT) | instid1(VALU_DEP_1)
	v_lshrrev_b32_e32 v5, s20, v5
	v_bitop3_b32 v10, v5, 1, s8 bitop3:0x40
	v_bitop3_b32 v19, v5, s8, v5 bitop3:0x30
	s_not_b32 s8, s8
	s_delay_alu instid0(VALU_DEP_4) | instskip(NEXT) | instid1(VALU_DEP_3)
	v_lshrrev_b32_e32 v0, 5, v0
	v_add_co_u32 v5, s0, v10, -1
	s_delay_alu instid0(VALU_DEP_1) | instskip(SKIP_2) | instid1(VALU_DEP_3)
	v_cndmask_b32_e64 v10, 0, 1, s0
	v_dual_lshlrev_b32 v18, 30, v19 :: v_dual_lshlrev_b32 v21, 29, v19
	v_dual_lshlrev_b32 v22, 28, v19 :: v_dual_lshlrev_b32 v23, 27, v19
	v_cmp_ne_u32_e32 vcc_lo, 0, v10
	s_delay_alu instid0(VALU_DEP_3)
	v_not_b32_e32 v10, v18
	v_dual_lshlrev_b32 v24, 26, v19 :: v_dual_lshlrev_b32 v25, 25, v19
	v_lshlrev_b32_e32 v26, 24, v19
	v_cmp_gt_i32_e64 s0, 0, v18
	v_cmp_gt_i32_e64 s1, 0, v21
	v_not_b32_e32 v18, v21
	v_not_b32_e32 v21, v22
	v_ashrrev_i32_e32 v10, 31, v10
	v_cmp_gt_i32_e64 s2, 0, v22
	v_cmp_gt_i32_e64 s3, 0, v23
	v_not_b32_e32 v22, v23
	v_not_b32_e32 v23, v24
	v_dual_ashrrev_i32 v18, 31, v18 :: v_dual_bitop2_b32 v5, vcc_lo, v5 bitop3:0x14
	v_dual_ashrrev_i32 v21, 31, v21 :: v_dual_bitop2_b32 v10, s0, v10 bitop3:0x14
	v_cmp_gt_i32_e64 s4, 0, v24
	v_cmp_gt_i32_e64 s5, 0, v25
	v_not_b32_e32 v24, v25
	v_not_b32_e32 v25, v26
	v_dual_ashrrev_i32 v22, 31, v22 :: v_dual_ashrrev_i32 v23, 31, v23
	v_xor_b32_e32 v18, s1, v18
	v_xor_b32_e32 v21, s2, v21
	v_bitop3_b32 v5, v5, v10, exec_lo bitop3:0x80
	v_cmp_gt_i32_e64 s6, 0, v26
	v_dual_ashrrev_i32 v10, 31, v24 :: v_dual_ashrrev_i32 v24, 31, v25
	v_xor_b32_e32 v22, s3, v22
	v_dual_lshlrev_b32 v0, 2, v0 :: v_dual_bitop2_b32 v23, s4, v23 bitop3:0x14
	v_bitop3_b32 v5, v5, v21, v18 bitop3:0x80
	s_delay_alu instid0(VALU_DEP_4)
	v_xor_b32_e32 v18, s5, v10
	v_xor_b32_e32 v21, s6, v24
	v_mul_u32_u24_e32 v10, 36, v15
	ds_store_2addr_b32 v10, v11, v11 offset0:16 offset1:17
	ds_store_2addr_b32 v10, v11, v11 offset0:18 offset1:19
	;; [unrolled: 1-line block ×4, first 2 shown]
	v_bitop3_b32 v5, v5, v23, v22 bitop3:0x80
	ds_store_b32 v10, v11 offset:96
	v_mad_u32 v11, 0x44, v19, v0
	s_wait_storecnt 0x0
	s_wait_loadcnt_dscnt 0x0
	s_barrier_signal -1
	v_bitop3_b32 v18, v5, v21, v18 bitop3:0x80
	s_barrier_wait -1
	; wave barrier
	s_delay_alu instid0(VALU_DEP_1) | instskip(SKIP_1) | instid1(VALU_DEP_2)
	v_mbcnt_lo_u32_b32 v5, v18, 0
	v_cmp_ne_u32_e64 s0, 0, v18
	v_cmp_eq_u32_e32 vcc_lo, 0, v5
	s_and_b32 s1, s0, vcc_lo
	s_delay_alu instid0(SALU_CYCLE_1)
	s_and_saveexec_b32 s0, s1
; %bb.92:
	v_bcnt_u32_b32 v18, v18, 0
	ds_store_b32 v11, v18 offset:64
; %bb.93:
	s_or_b32 exec_lo, exec_lo, s0
	v_cmp_gt_i32_e32 vcc_lo, 0, v12
	; wave barrier
	v_cndmask_b32_e64 v18, 0x7fffffff, 0, vcc_lo
	s_delay_alu instid0(VALU_DEP_1) | instskip(NEXT) | instid1(VALU_DEP_1)
	v_xor_b32_e32 v18, v18, v12
	v_cmp_ne_u32_e32 vcc_lo, 0x80000000, v18
	v_cndmask_b32_e32 v12, 0x7fffffff, v18, vcc_lo
	s_delay_alu instid0(VALU_DEP_1) | instskip(NEXT) | instid1(VALU_DEP_1)
	v_lshrrev_b32_e32 v12, s20, v12
	v_bitop3_b32 v21, v12, 1, s8 bitop3:0x80
	v_and_b32_e32 v19, s8, v12
	s_delay_alu instid0(VALU_DEP_2) | instskip(NEXT) | instid1(VALU_DEP_1)
	v_add_co_u32 v21, s0, v21, -1
	v_cndmask_b32_e64 v22, 0, 1, s0
	s_delay_alu instid0(VALU_DEP_3) | instskip(NEXT) | instid1(VALU_DEP_2)
	v_lshlrev_b32_e32 v23, 30, v19
	v_cmp_ne_u32_e32 vcc_lo, 0, v22
	s_delay_alu instid0(VALU_DEP_2) | instskip(SKIP_1) | instid1(VALU_DEP_2)
	v_not_b32_e32 v22, v23
	v_cmp_gt_i32_e64 s0, 0, v23
	v_dual_ashrrev_i32 v22, 31, v22 :: v_dual_lshlrev_b32 v24, 29, v19
	v_dual_lshlrev_b32 v25, 28, v19 :: v_dual_lshlrev_b32 v26, 27, v19
	v_lshlrev_b32_e32 v27, 26, v19
	v_mad_u32 v12, 0x44, v19, v0
	s_delay_alu instid0(VALU_DEP_4)
	v_cmp_gt_i32_e64 s1, 0, v24
	v_not_b32_e32 v23, v24
	v_not_b32_e32 v24, v25
	v_dual_lshlrev_b32 v28, 25, v19 :: v_dual_lshlrev_b32 v19, 24, v19
	v_cmp_gt_i32_e64 s2, 0, v25
	v_cmp_gt_i32_e64 s3, 0, v26
	v_not_b32_e32 v25, v26
	v_not_b32_e32 v26, v27
	v_dual_ashrrev_i32 v23, 31, v23 :: v_dual_bitop2_b32 v21, vcc_lo, v21 bitop3:0x14
	v_dual_ashrrev_i32 v24, 31, v24 :: v_dual_bitop2_b32 v22, s0, v22 bitop3:0x14
	v_cmp_gt_i32_e64 s4, 0, v27
	v_not_b32_e32 v27, v28
	v_cmp_gt_i32_e64 s6, 0, v19
	v_not_b32_e32 v19, v19
	v_dual_ashrrev_i32 v25, 31, v25 :: v_dual_ashrrev_i32 v26, 31, v26
	v_xor_b32_e32 v23, s1, v23
	v_xor_b32_e32 v24, s2, v24
	v_bitop3_b32 v21, v21, v22, exec_lo bitop3:0x80
	v_cmp_gt_i32_e64 s5, 0, v28
	v_ashrrev_i32_e32 v22, 31, v27
	v_dual_ashrrev_i32 v19, 31, v19 :: v_dual_bitop2_b32 v25, s3, v25 bitop3:0x14
	v_xor_b32_e32 v26, s4, v26
	v_bitop3_b32 v21, v21, v24, v23 bitop3:0x80
	s_delay_alu instid0(VALU_DEP_4) | instskip(NEXT) | instid1(VALU_DEP_4)
	v_xor_b32_e32 v23, s5, v22
	v_xor_b32_e32 v19, s6, v19
	ds_load_b32 v22, v12 offset:64
	v_bitop3_b32 v21, v21, v26, v25 bitop3:0x80
	; wave barrier
	s_delay_alu instid0(VALU_DEP_1) | instskip(NEXT) | instid1(VALU_DEP_1)
	v_bitop3_b32 v19, v21, v19, v23 bitop3:0x80
	v_mbcnt_lo_u32_b32 v23, v19, 0
	v_cmp_ne_u32_e64 s0, 0, v19
	s_delay_alu instid0(VALU_DEP_2) | instskip(SKIP_1) | instid1(SALU_CYCLE_1)
	v_cmp_eq_u32_e32 vcc_lo, 0, v23
	s_and_b32 s1, s0, vcc_lo
	s_and_saveexec_b32 s0, s1
	s_cbranch_execz .LBB1346_95
; %bb.94:
	s_wait_dscnt 0x0
	v_bcnt_u32_b32 v19, v19, v22
	ds_store_b32 v12, v19 offset:64
.LBB1346_95:
	s_or_b32 exec_lo, exec_lo, s0
	v_cmp_gt_i32_e32 vcc_lo, 0, v13
	; wave barrier
	v_cndmask_b32_e64 v19, 0x7fffffff, 0, vcc_lo
	s_delay_alu instid0(VALU_DEP_1) | instskip(NEXT) | instid1(VALU_DEP_1)
	v_xor_b32_e32 v19, v19, v13
	v_cmp_ne_u32_e32 vcc_lo, 0x80000000, v19
	v_cndmask_b32_e32 v13, 0x7fffffff, v19, vcc_lo
	s_delay_alu instid0(VALU_DEP_1) | instskip(NEXT) | instid1(VALU_DEP_1)
	v_lshrrev_b32_e32 v13, s20, v13
	v_bitop3_b32 v24, v13, 1, s8 bitop3:0x80
	v_and_b32_e32 v21, s8, v13
	s_delay_alu instid0(VALU_DEP_2) | instskip(NEXT) | instid1(VALU_DEP_1)
	v_add_co_u32 v24, s0, v24, -1
	v_cndmask_b32_e64 v25, 0, 1, s0
	s_delay_alu instid0(VALU_DEP_3) | instskip(NEXT) | instid1(VALU_DEP_2)
	v_dual_lshlrev_b32 v26, 30, v21 :: v_dual_lshlrev_b32 v27, 29, v21
	v_cmp_ne_u32_e32 vcc_lo, 0, v25
	s_delay_alu instid0(VALU_DEP_2) | instskip(SKIP_1) | instid1(VALU_DEP_4)
	v_cmp_gt_i32_e64 s0, 0, v26
	v_not_b32_e32 v25, v26
	v_not_b32_e32 v26, v27
	s_delay_alu instid0(VALU_DEP_2) | instskip(NEXT) | instid1(VALU_DEP_2)
	v_dual_ashrrev_i32 v25, 31, v25 :: v_dual_bitop2_b32 v24, vcc_lo, v24 bitop3:0x14
	v_dual_ashrrev_i32 v26, 31, v26 :: v_dual_lshlrev_b32 v28, 28, v21
	v_dual_lshlrev_b32 v29, 27, v21 :: v_dual_lshlrev_b32 v30, 26, v21
	v_cmp_gt_i32_e64 s1, 0, v27
	v_mad_u32 v13, 0x44, v21, v0
	s_delay_alu instid0(VALU_DEP_4)
	v_not_b32_e32 v27, v28
	v_dual_lshlrev_b32 v31, 25, v21 :: v_dual_lshlrev_b32 v21, 24, v21
	v_cmp_gt_i32_e64 s2, 0, v28
	v_cmp_gt_i32_e64 s3, 0, v29
	v_not_b32_e32 v28, v29
	v_not_b32_e32 v29, v30
	v_dual_ashrrev_i32 v27, 31, v27 :: v_dual_bitop2_b32 v25, s0, v25 bitop3:0x14
	v_cmp_gt_i32_e64 s4, 0, v30
	v_not_b32_e32 v30, v31
	v_cmp_gt_i32_e64 s6, 0, v21
	v_not_b32_e32 v21, v21
	v_dual_ashrrev_i32 v28, 31, v28 :: v_dual_ashrrev_i32 v29, 31, v29
	v_xor_b32_e32 v26, s1, v26
	v_xor_b32_e32 v27, s2, v27
	v_bitop3_b32 v24, v24, v25, exec_lo bitop3:0x80
	v_cmp_gt_i32_e64 s5, 0, v31
	v_dual_ashrrev_i32 v25, 31, v30 :: v_dual_ashrrev_i32 v21, 31, v21
	v_xor_b32_e32 v28, s3, v28
	v_xor_b32_e32 v29, s4, v29
	v_bitop3_b32 v24, v24, v27, v26 bitop3:0x80
	s_delay_alu instid0(VALU_DEP_4) | instskip(SKIP_3) | instid1(VALU_DEP_1)
	v_xor_b32_e32 v26, s5, v25
	v_xor_b32_e32 v21, s6, v21
	ds_load_b32 v25, v13 offset:64
	v_bitop3_b32 v24, v24, v29, v28 bitop3:0x80
	; wave barrier
	v_bitop3_b32 v21, v24, v21, v26 bitop3:0x80
	s_delay_alu instid0(VALU_DEP_1) | instskip(SKIP_1) | instid1(VALU_DEP_2)
	v_mbcnt_lo_u32_b32 v26, v21, 0
	v_cmp_ne_u32_e64 s0, 0, v21
	v_cmp_eq_u32_e32 vcc_lo, 0, v26
	s_and_b32 s1, s0, vcc_lo
	s_delay_alu instid0(SALU_CYCLE_1)
	s_and_saveexec_b32 s0, s1
	s_cbranch_execz .LBB1346_97
; %bb.96:
	s_wait_dscnt 0x0
	v_bcnt_u32_b32 v21, v21, v25
	ds_store_b32 v13, v21 offset:64
.LBB1346_97:
	s_or_b32 exec_lo, exec_lo, s0
	v_cmp_gt_i32_e32 vcc_lo, 0, v20
	; wave barrier
	v_cndmask_b32_e64 v21, 0x7fffffff, 0, vcc_lo
	s_delay_alu instid0(VALU_DEP_1) | instskip(NEXT) | instid1(VALU_DEP_1)
	v_xor_b32_e32 v20, v21, v20
	v_cmp_ne_u32_e32 vcc_lo, 0x80000000, v20
	v_cndmask_b32_e32 v21, 0x7fffffff, v20, vcc_lo
	s_delay_alu instid0(VALU_DEP_1) | instskip(NEXT) | instid1(VALU_DEP_1)
	v_lshrrev_b32_e32 v21, s20, v21
	v_and_b32_e32 v24, s8, v21
	v_bitop3_b32 v21, v21, 1, s8 bitop3:0x80
	s_delay_alu instid0(VALU_DEP_2) | instskip(NEXT) | instid1(VALU_DEP_2)
	v_lshlrev_b32_e32 v28, 30, v24
	v_add_co_u32 v21, s0, v21, -1
	s_delay_alu instid0(VALU_DEP_1) | instskip(NEXT) | instid1(VALU_DEP_1)
	v_cndmask_b32_e64 v27, 0, 1, s0
	v_cmp_ne_u32_e32 vcc_lo, 0, v27
	s_delay_alu instid0(VALU_DEP_4) | instskip(NEXT) | instid1(VALU_DEP_1)
	v_not_b32_e32 v27, v28
	v_dual_ashrrev_i32 v27, 31, v27 :: v_dual_bitop2_b32 v21, vcc_lo, v21 bitop3:0x14
	v_dual_lshlrev_b32 v29, 29, v24 :: v_dual_lshlrev_b32 v30, 28, v24
	v_lshlrev_b32_e32 v31, 27, v24
	v_mad_u32 v33, 0x44, v24, v0
	v_dual_lshlrev_b32 v32, 26, v24 :: v_dual_lshlrev_b32 v34, 25, v24
	v_lshlrev_b32_e32 v24, 24, v24
	v_cmp_gt_i32_e64 s0, 0, v28
	v_cmp_gt_i32_e64 s1, 0, v29
	v_not_b32_e32 v28, v29
	v_not_b32_e32 v29, v30
	v_cmp_gt_i32_e64 s2, 0, v30
	v_cmp_gt_i32_e64 s3, 0, v31
	v_not_b32_e32 v30, v31
	v_not_b32_e32 v31, v32
	v_cmp_gt_i32_e64 s6, 0, v24
	v_not_b32_e32 v24, v24
	v_dual_ashrrev_i32 v28, 31, v28 :: v_dual_ashrrev_i32 v29, 31, v29
	v_xor_b32_e32 v27, s0, v27
	v_cmp_gt_i32_e64 s4, 0, v32
	v_not_b32_e32 v32, v34
	v_dual_ashrrev_i32 v30, 31, v30 :: v_dual_ashrrev_i32 v31, 31, v31
	v_xor_b32_e32 v28, s1, v28
	v_dual_ashrrev_i32 v24, 31, v24 :: v_dual_bitop2_b32 v29, s2, v29 bitop3:0x14
	v_bitop3_b32 v21, v21, v27, exec_lo bitop3:0x80
	v_cmp_gt_i32_e64 s5, 0, v34
	v_dual_ashrrev_i32 v27, 31, v32 :: v_dual_bitop2_b32 v30, s3, v30 bitop3:0x14
	v_xor_b32_e32 v31, s4, v31
	s_delay_alu instid0(VALU_DEP_4) | instskip(SKIP_1) | instid1(VALU_DEP_4)
	v_bitop3_b32 v21, v21, v29, v28 bitop3:0x80
	v_xor_b32_e32 v24, s6, v24
	v_xor_b32_e32 v27, s5, v27
	ds_load_b32 v28, v33 offset:64
	v_bitop3_b32 v21, v21, v31, v30 bitop3:0x80
	; wave barrier
	s_delay_alu instid0(VALU_DEP_1) | instskip(NEXT) | instid1(VALU_DEP_1)
	v_bitop3_b32 v21, v21, v24, v27 bitop3:0x80
	v_mbcnt_lo_u32_b32 v29, v21, 0
	v_cmp_ne_u32_e64 s0, 0, v21
	s_delay_alu instid0(VALU_DEP_2) | instskip(SKIP_1) | instid1(SALU_CYCLE_1)
	v_cmp_eq_u32_e32 vcc_lo, 0, v29
	s_and_b32 s1, s0, vcc_lo
	s_and_saveexec_b32 s0, s1
	s_cbranch_execz .LBB1346_99
; %bb.98:
	s_wait_dscnt 0x0
	v_bcnt_u32_b32 v21, v21, v28
	ds_store_b32 v33, v21 offset:64
.LBB1346_99:
	s_or_b32 exec_lo, exec_lo, s0
	v_cmp_gt_i32_e32 vcc_lo, 0, v9
	; wave barrier
	v_cndmask_b32_e64 v21, 0x7fffffff, 0, vcc_lo
	s_delay_alu instid0(VALU_DEP_1) | instskip(NEXT) | instid1(VALU_DEP_1)
	v_xor_b32_e32 v21, v21, v9
	v_cmp_ne_u32_e32 vcc_lo, 0x80000000, v21
	v_cndmask_b32_e32 v9, 0x7fffffff, v21, vcc_lo
	s_delay_alu instid0(VALU_DEP_1) | instskip(NEXT) | instid1(VALU_DEP_1)
	v_lshrrev_b32_e32 v9, s20, v9
	v_and_b32_e32 v24, s8, v9
	v_bitop3_b32 v9, v9, 1, s8 bitop3:0x80
	s_delay_alu instid0(VALU_DEP_2) | instskip(NEXT) | instid1(VALU_DEP_2)
	v_lshlrev_b32_e32 v30, 30, v24
	v_add_co_u32 v9, s0, v9, -1
	s_delay_alu instid0(VALU_DEP_1) | instskip(NEXT) | instid1(VALU_DEP_3)
	v_cndmask_b32_e64 v27, 0, 1, s0
	v_cmp_gt_i32_e64 s0, 0, v30
	s_delay_alu instid0(VALU_DEP_2) | instskip(SKIP_1) | instid1(VALU_DEP_1)
	v_cmp_ne_u32_e32 vcc_lo, 0, v27
	v_not_b32_e32 v27, v30
	v_dual_ashrrev_i32 v27, 31, v27 :: v_dual_lshlrev_b32 v31, 29, v24
	v_dual_lshlrev_b32 v32, 28, v24 :: v_dual_lshlrev_b32 v34, 27, v24
	v_lshlrev_b32_e32 v35, 26, v24
	v_mad_u32 v37, 0x44, v24, v0
	s_delay_alu instid0(VALU_DEP_4)
	v_cmp_gt_i32_e64 s1, 0, v31
	v_not_b32_e32 v30, v31
	v_not_b32_e32 v31, v32
	v_dual_lshlrev_b32 v36, 25, v24 :: v_dual_lshlrev_b32 v24, 24, v24
	v_cmp_gt_i32_e64 s2, 0, v32
	v_cmp_gt_i32_e64 s3, 0, v34
	v_not_b32_e32 v32, v34
	v_not_b32_e32 v34, v35
	v_dual_ashrrev_i32 v30, 31, v30 :: v_dual_bitop2_b32 v9, vcc_lo, v9 bitop3:0x14
	s_delay_alu instid0(VALU_DEP_3) | instskip(NEXT) | instid1(VALU_DEP_3)
	v_dual_ashrrev_i32 v31, 31, v31 :: v_dual_ashrrev_i32 v32, 31, v32
	v_dual_ashrrev_i32 v34, 31, v34 :: v_dual_bitop2_b32 v27, s0, v27 bitop3:0x14
	v_cmp_gt_i32_e64 s4, 0, v35
	v_not_b32_e32 v35, v36
	v_cmp_gt_i32_e64 s6, 0, v24
	v_not_b32_e32 v24, v24
	v_xor_b32_e32 v30, s1, v30
	v_xor_b32_e32 v31, s2, v31
	v_bitop3_b32 v9, v9, v27, exec_lo bitop3:0x80
	v_cmp_gt_i32_e64 s5, 0, v36
	v_dual_ashrrev_i32 v27, 31, v35 :: v_dual_ashrrev_i32 v24, 31, v24
	v_xor_b32_e32 v32, s3, v32
	v_xor_b32_e32 v34, s4, v34
	v_bitop3_b32 v9, v9, v31, v30 bitop3:0x80
	s_delay_alu instid0(VALU_DEP_4) | instskip(SKIP_3) | instid1(VALU_DEP_1)
	v_xor_b32_e32 v27, s5, v27
	v_xor_b32_e32 v24, s6, v24
	ds_load_b32 v31, v37 offset:64
	v_bitop3_b32 v9, v9, v34, v32 bitop3:0x80
	; wave barrier
	v_bitop3_b32 v9, v9, v24, v27 bitop3:0x80
	s_delay_alu instid0(VALU_DEP_1) | instskip(SKIP_1) | instid1(VALU_DEP_2)
	v_mbcnt_lo_u32_b32 v32, v9, 0
	v_cmp_ne_u32_e64 s0, 0, v9
	v_cmp_eq_u32_e32 vcc_lo, 0, v32
	s_and_b32 s1, s0, vcc_lo
	s_delay_alu instid0(SALU_CYCLE_1)
	s_and_saveexec_b32 s0, s1
	s_cbranch_execz .LBB1346_101
; %bb.100:
	s_wait_dscnt 0x0
	v_bcnt_u32_b32 v9, v9, v31
	ds_store_b32 v37, v9 offset:64
.LBB1346_101:
	s_or_b32 exec_lo, exec_lo, s0
	v_cmp_gt_i32_e32 vcc_lo, 0, v8
	; wave barrier
	v_cndmask_b32_e64 v9, 0x7fffffff, 0, vcc_lo
	s_delay_alu instid0(VALU_DEP_1) | instskip(NEXT) | instid1(VALU_DEP_1)
	v_xor_b32_e32 v24, v9, v8
	v_cmp_ne_u32_e32 vcc_lo, 0x80000000, v24
	v_cndmask_b32_e32 v8, 0x7fffffff, v24, vcc_lo
	s_delay_alu instid0(VALU_DEP_1) | instskip(NEXT) | instid1(VALU_DEP_1)
	v_lshrrev_b32_e32 v8, s20, v8
	v_and_b32_e32 v9, s8, v8
	v_bitop3_b32 v8, v8, 1, s8 bitop3:0x80
	s_delay_alu instid0(VALU_DEP_2) | instskip(NEXT) | instid1(VALU_DEP_2)
	v_lshlrev_b32_e32 v30, 30, v9
	v_add_co_u32 v8, s0, v8, -1
	s_delay_alu instid0(VALU_DEP_1) | instskip(NEXT) | instid1(VALU_DEP_1)
	v_cndmask_b32_e64 v27, 0, 1, s0
	v_cmp_ne_u32_e32 vcc_lo, 0, v27
	s_delay_alu instid0(VALU_DEP_4) | instskip(NEXT) | instid1(VALU_DEP_1)
	v_not_b32_e32 v27, v30
	v_dual_ashrrev_i32 v27, 31, v27 :: v_dual_lshlrev_b32 v34, 29, v9
	v_dual_lshlrev_b32 v35, 28, v9 :: v_dual_lshlrev_b32 v36, 27, v9
	v_lshlrev_b32_e32 v38, 26, v9
	v_cmp_gt_i32_e64 s0, 0, v30
	s_delay_alu instid0(VALU_DEP_4)
	v_cmp_gt_i32_e64 s1, 0, v34
	v_not_b32_e32 v30, v34
	v_not_b32_e32 v34, v35
	v_mad_u32 v41, 0x44, v9, v0
	v_dual_lshlrev_b32 v39, 25, v9 :: v_dual_lshlrev_b32 v9, 24, v9
	v_cmp_gt_i32_e64 s2, 0, v35
	v_cmp_gt_i32_e64 s3, 0, v36
	v_not_b32_e32 v35, v36
	v_not_b32_e32 v36, v38
	v_dual_ashrrev_i32 v30, 31, v30 :: v_dual_bitop2_b32 v8, vcc_lo, v8 bitop3:0x14
	v_dual_ashrrev_i32 v34, 31, v34 :: v_dual_bitop2_b32 v27, s0, v27 bitop3:0x14
	v_cmp_gt_i32_e64 s4, 0, v38
	v_not_b32_e32 v38, v39
	v_cmp_gt_i32_e64 s6, 0, v9
	v_not_b32_e32 v9, v9
	v_dual_ashrrev_i32 v35, 31, v35 :: v_dual_ashrrev_i32 v36, 31, v36
	v_xor_b32_e32 v30, s1, v30
	v_xor_b32_e32 v34, s2, v34
	v_bitop3_b32 v8, v8, v27, exec_lo bitop3:0x80
	v_cmp_gt_i32_e64 s5, 0, v39
	v_dual_ashrrev_i32 v27, 31, v38 :: v_dual_bitop2_b32 v35, s3, v35 bitop3:0x14
	v_dual_ashrrev_i32 v9, 31, v9 :: v_dual_bitop2_b32 v36, s4, v36 bitop3:0x14
	s_delay_alu instid0(VALU_DEP_4) | instskip(NEXT) | instid1(VALU_DEP_3)
	v_bitop3_b32 v8, v8, v34, v30 bitop3:0x80
	v_xor_b32_e32 v27, s5, v27
	s_delay_alu instid0(VALU_DEP_3) | instskip(NEXT) | instid1(VALU_DEP_3)
	v_xor_b32_e32 v9, s6, v9
	v_bitop3_b32 v8, v8, v36, v35 bitop3:0x80
	ds_load_b32 v35, v41 offset:64
	; wave barrier
	v_bitop3_b32 v8, v8, v9, v27 bitop3:0x80
	s_delay_alu instid0(VALU_DEP_1) | instskip(SKIP_1) | instid1(VALU_DEP_2)
	v_mbcnt_lo_u32_b32 v36, v8, 0
	v_cmp_ne_u32_e64 s0, 0, v8
	v_cmp_eq_u32_e32 vcc_lo, 0, v36
	s_and_b32 s1, s0, vcc_lo
	s_delay_alu instid0(SALU_CYCLE_1)
	s_and_saveexec_b32 s0, s1
	s_cbranch_execz .LBB1346_103
; %bb.102:
	s_wait_dscnt 0x0
	v_bcnt_u32_b32 v8, v8, v35
	ds_store_b32 v41, v8 offset:64
.LBB1346_103:
	s_or_b32 exec_lo, exec_lo, s0
	v_cmp_gt_i32_e32 vcc_lo, 0, v7
	; wave barrier
	v_cndmask_b32_e64 v8, 0x7fffffff, 0, vcc_lo
	s_delay_alu instid0(VALU_DEP_1) | instskip(NEXT) | instid1(VALU_DEP_1)
	v_xor_b32_e32 v27, v8, v7
	v_cmp_ne_u32_e32 vcc_lo, 0x80000000, v27
	v_cndmask_b32_e32 v7, 0x7fffffff, v27, vcc_lo
	s_delay_alu instid0(VALU_DEP_1) | instskip(NEXT) | instid1(VALU_DEP_1)
	v_lshrrev_b32_e32 v7, s20, v7
	v_and_b32_e32 v8, s8, v7
	v_bitop3_b32 v7, v7, 1, s8 bitop3:0x80
	s_delay_alu instid0(VALU_DEP_2) | instskip(NEXT) | instid1(VALU_DEP_2)
	v_lshlrev_b32_e32 v30, 30, v8
	v_add_co_u32 v7, s0, v7, -1
	s_delay_alu instid0(VALU_DEP_1) | instskip(NEXT) | instid1(VALU_DEP_3)
	v_cndmask_b32_e64 v9, 0, 1, s0
	v_cmp_gt_i32_e64 s0, 0, v30
	s_delay_alu instid0(VALU_DEP_2) | instskip(SKIP_1) | instid1(VALU_DEP_1)
	v_cmp_ne_u32_e32 vcc_lo, 0, v9
	v_not_b32_e32 v9, v30
	v_dual_ashrrev_i32 v9, 31, v9 :: v_dual_lshlrev_b32 v34, 29, v8
	v_dual_lshlrev_b32 v38, 28, v8 :: v_dual_lshlrev_b32 v39, 27, v8
	v_lshlrev_b32_e32 v40, 26, v8
	v_mad_u32 v44, 0x44, v8, v0
	s_delay_alu instid0(VALU_DEP_4)
	v_cmp_gt_i32_e64 s1, 0, v34
	v_not_b32_e32 v30, v34
	v_not_b32_e32 v34, v38
	v_dual_lshlrev_b32 v42, 25, v8 :: v_dual_lshlrev_b32 v8, 24, v8
	v_cmp_gt_i32_e64 s2, 0, v38
	v_cmp_gt_i32_e64 s3, 0, v39
	v_not_b32_e32 v38, v39
	v_not_b32_e32 v39, v40
	v_dual_ashrrev_i32 v30, 31, v30 :: v_dual_bitop2_b32 v7, vcc_lo, v7 bitop3:0x14
	v_dual_ashrrev_i32 v34, 31, v34 :: v_dual_bitop2_b32 v9, s0, v9 bitop3:0x14
	v_cmp_gt_i32_e64 s4, 0, v40
	v_not_b32_e32 v40, v42
	v_cmp_gt_i32_e64 s6, 0, v8
	v_not_b32_e32 v8, v8
	v_dual_ashrrev_i32 v38, 31, v38 :: v_dual_ashrrev_i32 v39, 31, v39
	v_xor_b32_e32 v30, s1, v30
	s_delay_alu instid0(VALU_DEP_3) | instskip(SKIP_4) | instid1(VALU_DEP_4)
	v_dual_ashrrev_i32 v8, 31, v8 :: v_dual_bitop2_b32 v34, s2, v34 bitop3:0x14
	v_bitop3_b32 v7, v7, v9, exec_lo bitop3:0x80
	v_cmp_gt_i32_e64 s5, 0, v42
	v_dual_ashrrev_i32 v9, 31, v40 :: v_dual_bitop2_b32 v38, s3, v38 bitop3:0x14
	v_xor_b32_e32 v39, s4, v39
	v_bitop3_b32 v7, v7, v34, v30 bitop3:0x80
	v_xor_b32_e32 v8, s6, v8
	s_delay_alu instid0(VALU_DEP_4) | instskip(NEXT) | instid1(VALU_DEP_3)
	v_xor_b32_e32 v9, s5, v9
	v_bitop3_b32 v7, v7, v39, v38 bitop3:0x80
	ds_load_b32 v39, v44 offset:64
	; wave barrier
	v_bitop3_b32 v7, v7, v8, v9 bitop3:0x80
	s_delay_alu instid0(VALU_DEP_1) | instskip(SKIP_1) | instid1(VALU_DEP_2)
	v_mbcnt_lo_u32_b32 v40, v7, 0
	v_cmp_ne_u32_e64 s0, 0, v7
	v_cmp_eq_u32_e32 vcc_lo, 0, v40
	s_and_b32 s1, s0, vcc_lo
	s_delay_alu instid0(SALU_CYCLE_1)
	s_and_saveexec_b32 s0, s1
	s_cbranch_execz .LBB1346_105
; %bb.104:
	s_wait_dscnt 0x0
	v_bcnt_u32_b32 v7, v7, v39
	ds_store_b32 v44, v7 offset:64
.LBB1346_105:
	s_or_b32 exec_lo, exec_lo, s0
	v_cmp_gt_i32_e32 vcc_lo, 0, v6
	; wave barrier
	v_cndmask_b32_e64 v7, 0x7fffffff, 0, vcc_lo
	s_delay_alu instid0(VALU_DEP_1) | instskip(NEXT) | instid1(VALU_DEP_1)
	v_xor_b32_e32 v30, v7, v6
	v_cmp_ne_u32_e32 vcc_lo, 0x80000000, v30
	v_cndmask_b32_e32 v6, 0x7fffffff, v30, vcc_lo
	s_delay_alu instid0(VALU_DEP_1) | instskip(NEXT) | instid1(VALU_DEP_1)
	v_lshrrev_b32_e32 v6, s20, v6
	v_and_b32_e32 v7, s8, v6
	v_bitop3_b32 v6, v6, 1, s8 bitop3:0x80
	s_delay_alu instid0(VALU_DEP_2) | instskip(NEXT) | instid1(VALU_DEP_2)
	v_lshlrev_b32_e32 v9, 30, v7
	v_add_co_u32 v6, s0, v6, -1
	s_delay_alu instid0(VALU_DEP_1) | instskip(NEXT) | instid1(VALU_DEP_3)
	v_cndmask_b32_e64 v8, 0, 1, s0
	v_cmp_gt_i32_e64 s0, 0, v9
	s_delay_alu instid0(VALU_DEP_2) | instskip(SKIP_1) | instid1(VALU_DEP_1)
	v_cmp_ne_u32_e32 vcc_lo, 0, v8
	v_not_b32_e32 v8, v9
	v_dual_ashrrev_i32 v8, 31, v8 :: v_dual_lshlrev_b32 v34, 29, v7
	v_dual_lshlrev_b32 v38, 28, v7 :: v_dual_lshlrev_b32 v42, 27, v7
	v_lshlrev_b32_e32 v43, 26, v7
	v_mad_u32 v48, 0x44, v7, v0
	s_delay_alu instid0(VALU_DEP_4)
	v_cmp_gt_i32_e64 s1, 0, v34
	v_not_b32_e32 v9, v34
	v_not_b32_e32 v34, v38
	v_dual_lshlrev_b32 v45, 25, v7 :: v_dual_lshlrev_b32 v7, 24, v7
	v_cmp_gt_i32_e64 s2, 0, v38
	v_cmp_gt_i32_e64 s3, 0, v42
	v_not_b32_e32 v38, v42
	v_not_b32_e32 v42, v43
	v_dual_ashrrev_i32 v9, 31, v9 :: v_dual_bitop2_b32 v6, vcc_lo, v6 bitop3:0x14
	v_dual_ashrrev_i32 v34, 31, v34 :: v_dual_bitop2_b32 v8, s0, v8 bitop3:0x14
	v_cmp_gt_i32_e64 s4, 0, v43
	v_not_b32_e32 v43, v45
	v_cmp_gt_i32_e64 s6, 0, v7
	v_not_b32_e32 v7, v7
	v_dual_ashrrev_i32 v38, 31, v38 :: v_dual_bitop2_b32 v9, s1, v9 bitop3:0x14
	v_ashrrev_i32_e32 v42, 31, v42
	s_delay_alu instid0(VALU_DEP_3) | instskip(SKIP_4) | instid1(VALU_DEP_4)
	v_dual_ashrrev_i32 v7, 31, v7 :: v_dual_bitop2_b32 v34, s2, v34 bitop3:0x14
	v_bitop3_b32 v6, v6, v8, exec_lo bitop3:0x80
	v_cmp_gt_i32_e64 s5, 0, v45
	v_dual_ashrrev_i32 v8, 31, v43 :: v_dual_bitop2_b32 v38, s3, v38 bitop3:0x14
	v_xor_b32_e32 v42, s4, v42
	v_bitop3_b32 v6, v6, v34, v9 bitop3:0x80
	v_xor_b32_e32 v7, s6, v7
	s_delay_alu instid0(VALU_DEP_4) | instskip(SKIP_2) | instid1(VALU_DEP_1)
	v_xor_b32_e32 v8, s5, v8
	ds_load_b32 v43, v48 offset:64
	v_bitop3_b32 v6, v6, v42, v38 bitop3:0x80
	; wave barrier
	v_bitop3_b32 v6, v6, v7, v8 bitop3:0x80
	s_delay_alu instid0(VALU_DEP_1) | instskip(SKIP_1) | instid1(VALU_DEP_2)
	v_mbcnt_lo_u32_b32 v45, v6, 0
	v_cmp_ne_u32_e64 s0, 0, v6
	v_cmp_eq_u32_e32 vcc_lo, 0, v45
	s_and_b32 s1, s0, vcc_lo
	s_delay_alu instid0(SALU_CYCLE_1)
	s_and_saveexec_b32 s0, s1
	s_cbranch_execz .LBB1346_107
; %bb.106:
	s_wait_dscnt 0x0
	v_bcnt_u32_b32 v6, v6, v43
	ds_store_b32 v48, v6 offset:64
.LBB1346_107:
	s_or_b32 exec_lo, exec_lo, s0
	v_cmp_gt_i32_e32 vcc_lo, 0, v4
	; wave barrier
	v_cndmask_b32_e64 v6, 0x7fffffff, 0, vcc_lo
	s_delay_alu instid0(VALU_DEP_1) | instskip(NEXT) | instid1(VALU_DEP_1)
	v_xor_b32_e32 v34, v6, v4
	v_cmp_ne_u32_e32 vcc_lo, 0x80000000, v34
	v_cndmask_b32_e32 v4, 0x7fffffff, v34, vcc_lo
	s_delay_alu instid0(VALU_DEP_1) | instskip(NEXT) | instid1(VALU_DEP_1)
	v_lshrrev_b32_e32 v4, s20, v4
	v_and_b32_e32 v6, s8, v4
	v_bitop3_b32 v4, v4, 1, s8 bitop3:0x80
	s_delay_alu instid0(VALU_DEP_2) | instskip(NEXT) | instid1(VALU_DEP_2)
	v_dual_lshlrev_b32 v8, 30, v6 :: v_dual_lshlrev_b32 v9, 29, v6
	v_add_co_u32 v4, s0, v4, -1
	s_delay_alu instid0(VALU_DEP_1) | instskip(SKIP_1) | instid1(VALU_DEP_4)
	v_cndmask_b32_e64 v7, 0, 1, s0
	v_lshlrev_b32_e32 v38, 28, v6
	v_cmp_gt_i32_e64 s0, 0, v8
	v_cmp_gt_i32_e64 s1, 0, v9
	s_delay_alu instid0(VALU_DEP_4) | instskip(SKIP_3) | instid1(VALU_DEP_3)
	v_cmp_ne_u32_e32 vcc_lo, 0, v7
	v_not_b32_e32 v7, v8
	v_not_b32_e32 v8, v9
	;; [unrolled: 1-line block ×3, first 2 shown]
	v_dual_ashrrev_i32 v7, 31, v7 :: v_dual_bitop2_b32 v4, vcc_lo, v4 bitop3:0x14
	s_delay_alu instid0(VALU_DEP_2)
	v_dual_ashrrev_i32 v8, 31, v8 :: v_dual_ashrrev_i32 v9, 31, v9
	v_dual_lshlrev_b32 v42, 27, v6 :: v_dual_lshlrev_b32 v46, 26, v6
	v_lshlrev_b32_e32 v47, 25, v6
	v_mad_u32 v51, 0x44, v6, v0
	v_lshlrev_b32_e32 v6, 24, v6
	v_cmp_gt_i32_e64 s2, 0, v38
	v_cmp_gt_i32_e64 s3, 0, v42
	v_not_b32_e32 v38, v42
	v_not_b32_e32 v42, v46
	v_xor_b32_e32 v7, s0, v7
	v_cmp_gt_i32_e64 s4, 0, v46
	v_not_b32_e32 v46, v47
	v_cmp_gt_i32_e64 s6, 0, v6
	v_not_b32_e32 v6, v6
	v_dual_ashrrev_i32 v38, 31, v38 :: v_dual_bitop2_b32 v8, s1, v8 bitop3:0x14
	v_dual_ashrrev_i32 v42, 31, v42 :: v_dual_bitop2_b32 v9, s2, v9 bitop3:0x14
	v_bitop3_b32 v4, v4, v7, exec_lo bitop3:0x80
	v_cmp_gt_i32_e64 s5, 0, v47
	v_ashrrev_i32_e32 v7, 31, v46
	v_ashrrev_i32_e32 v6, 31, v6
	v_xor_b32_e32 v38, s3, v38
	v_xor_b32_e32 v42, s4, v42
	v_bitop3_b32 v4, v4, v9, v8 bitop3:0x80
	v_xor_b32_e32 v7, s5, v7
	v_xor_b32_e32 v6, s6, v6
	ds_load_b32 v47, v51 offset:64
	v_bitop3_b32 v4, v4, v42, v38 bitop3:0x80
	; wave barrier
	s_delay_alu instid0(VALU_DEP_1) | instskip(NEXT) | instid1(VALU_DEP_1)
	v_bitop3_b32 v4, v4, v6, v7 bitop3:0x80
	v_mbcnt_lo_u32_b32 v49, v4, 0
	v_cmp_ne_u32_e64 s0, 0, v4
	s_delay_alu instid0(VALU_DEP_2) | instskip(SKIP_1) | instid1(SALU_CYCLE_1)
	v_cmp_eq_u32_e32 vcc_lo, 0, v49
	s_and_b32 s1, s0, vcc_lo
	s_and_saveexec_b32 s0, s1
	s_cbranch_execz .LBB1346_109
; %bb.108:
	s_wait_dscnt 0x0
	v_bcnt_u32_b32 v4, v4, v47
	ds_store_b32 v51, v4 offset:64
.LBB1346_109:
	s_or_b32 exec_lo, exec_lo, s0
	v_cmp_gt_i32_e32 vcc_lo, 0, v3
	; wave barrier
	v_cndmask_b32_e64 v4, 0x7fffffff, 0, vcc_lo
	s_delay_alu instid0(VALU_DEP_1) | instskip(NEXT) | instid1(VALU_DEP_1)
	v_xor_b32_e32 v38, v4, v3
	v_cmp_ne_u32_e32 vcc_lo, 0x80000000, v38
	v_cndmask_b32_e32 v3, 0x7fffffff, v38, vcc_lo
	s_delay_alu instid0(VALU_DEP_1) | instskip(NEXT) | instid1(VALU_DEP_1)
	v_lshrrev_b32_e32 v3, s20, v3
	v_and_b32_e32 v4, s8, v3
	v_bitop3_b32 v3, v3, 1, s8 bitop3:0x80
	s_delay_alu instid0(VALU_DEP_2) | instskip(NEXT) | instid1(VALU_DEP_2)
	v_lshlrev_b32_e32 v7, 30, v4
	v_add_co_u32 v3, s0, v3, -1
	s_delay_alu instid0(VALU_DEP_1) | instskip(NEXT) | instid1(VALU_DEP_1)
	v_cndmask_b32_e64 v6, 0, 1, s0
	v_cmp_ne_u32_e32 vcc_lo, 0, v6
	s_delay_alu instid0(VALU_DEP_4) | instskip(NEXT) | instid1(VALU_DEP_1)
	v_not_b32_e32 v6, v7
	v_dual_ashrrev_i32 v6, 31, v6 :: v_dual_lshlrev_b32 v8, 29, v4
	v_dual_lshlrev_b32 v9, 28, v4 :: v_dual_lshlrev_b32 v42, 27, v4
	v_lshlrev_b32_e32 v46, 26, v4
	v_cmp_gt_i32_e64 s0, 0, v7
	s_delay_alu instid0(VALU_DEP_4)
	v_cmp_gt_i32_e64 s1, 0, v8
	v_not_b32_e32 v7, v8
	v_not_b32_e32 v8, v9
	v_mad_u32 v53, 0x44, v4, v0
	v_dual_lshlrev_b32 v50, 25, v4 :: v_dual_lshlrev_b32 v4, 24, v4
	v_cmp_gt_i32_e64 s2, 0, v9
	v_cmp_gt_i32_e64 s3, 0, v42
	v_not_b32_e32 v9, v42
	v_not_b32_e32 v42, v46
	v_dual_ashrrev_i32 v8, 31, v8 :: v_dual_bitop2_b32 v3, vcc_lo, v3 bitop3:0x14
	v_dual_ashrrev_i32 v7, 31, v7 :: v_dual_bitop2_b32 v6, s0, v6 bitop3:0x14
	v_cmp_gt_i32_e64 s4, 0, v46
	v_not_b32_e32 v46, v50
	v_cmp_gt_i32_e64 s6, 0, v4
	v_not_b32_e32 v4, v4
	v_dual_ashrrev_i32 v9, 31, v9 :: v_dual_ashrrev_i32 v42, 31, v42
	v_xor_b32_e32 v7, s1, v7
	v_xor_b32_e32 v8, s2, v8
	v_bitop3_b32 v3, v3, v6, exec_lo bitop3:0x80
	v_cmp_gt_i32_e64 s5, 0, v50
	v_dual_ashrrev_i32 v6, 31, v46 :: v_dual_ashrrev_i32 v4, 31, v4
	v_xor_b32_e32 v9, s3, v9
	v_xor_b32_e32 v42, s4, v42
	v_bitop3_b32 v3, v3, v8, v7 bitop3:0x80
	s_delay_alu instid0(VALU_DEP_4) | instskip(SKIP_3) | instid1(VALU_DEP_1)
	v_xor_b32_e32 v6, s5, v6
	v_xor_b32_e32 v4, s6, v4
	ds_load_b32 v50, v53 offset:64
	v_bitop3_b32 v3, v3, v42, v9 bitop3:0x80
	; wave barrier
	v_bitop3_b32 v3, v3, v4, v6 bitop3:0x80
	s_delay_alu instid0(VALU_DEP_1) | instskip(SKIP_1) | instid1(VALU_DEP_2)
	v_mbcnt_lo_u32_b32 v52, v3, 0
	v_cmp_ne_u32_e64 s0, 0, v3
	v_cmp_eq_u32_e32 vcc_lo, 0, v52
	s_and_b32 s1, s0, vcc_lo
	s_delay_alu instid0(SALU_CYCLE_1)
	s_and_saveexec_b32 s0, s1
	s_cbranch_execz .LBB1346_111
; %bb.110:
	s_wait_dscnt 0x0
	v_bcnt_u32_b32 v3, v3, v50
	ds_store_b32 v53, v3 offset:64
.LBB1346_111:
	s_or_b32 exec_lo, exec_lo, s0
	v_cmp_gt_i32_e32 vcc_lo, 0, v2
	; wave barrier
	v_cndmask_b32_e64 v3, 0x7fffffff, 0, vcc_lo
	s_delay_alu instid0(VALU_DEP_1) | instskip(NEXT) | instid1(VALU_DEP_1)
	v_xor_b32_e32 v42, v3, v2
	v_cmp_ne_u32_e32 vcc_lo, 0x80000000, v42
	v_cndmask_b32_e32 v2, 0x7fffffff, v42, vcc_lo
	s_delay_alu instid0(VALU_DEP_1) | instskip(NEXT) | instid1(VALU_DEP_1)
	v_lshrrev_b32_e32 v2, s20, v2
	v_and_b32_e32 v3, s8, v2
	v_bitop3_b32 v2, v2, 1, s8 bitop3:0x80
	s_delay_alu instid0(VALU_DEP_2) | instskip(NEXT) | instid1(VALU_DEP_2)
	v_lshlrev_b32_e32 v6, 30, v3
	v_add_co_u32 v2, s0, v2, -1
	s_delay_alu instid0(VALU_DEP_1) | instskip(NEXT) | instid1(VALU_DEP_1)
	v_cndmask_b32_e64 v4, 0, 1, s0
	v_cmp_ne_u32_e32 vcc_lo, 0, v4
	s_delay_alu instid0(VALU_DEP_4) | instskip(NEXT) | instid1(VALU_DEP_1)
	v_not_b32_e32 v4, v6
	v_dual_ashrrev_i32 v4, 31, v4 :: v_dual_lshlrev_b32 v7, 29, v3
	v_dual_lshlrev_b32 v8, 28, v3 :: v_dual_lshlrev_b32 v9, 27, v3
	v_lshlrev_b32_e32 v46, 26, v3
	v_cmp_gt_i32_e64 s0, 0, v6
	s_delay_alu instid0(VALU_DEP_4)
	v_cmp_gt_i32_e64 s1, 0, v7
	v_not_b32_e32 v6, v7
	v_not_b32_e32 v7, v8
	v_mad_u32 v56, 0x44, v3, v0
	v_dual_lshlrev_b32 v54, 25, v3 :: v_dual_lshlrev_b32 v3, 24, v3
	v_cmp_gt_i32_e64 s2, 0, v8
	v_cmp_gt_i32_e64 s3, 0, v9
	v_not_b32_e32 v8, v9
	v_not_b32_e32 v9, v46
	v_dual_ashrrev_i32 v7, 31, v7 :: v_dual_bitop2_b32 v2, vcc_lo, v2 bitop3:0x14
	v_dual_ashrrev_i32 v6, 31, v6 :: v_dual_bitop2_b32 v4, s0, v4 bitop3:0x14
	v_cmp_gt_i32_e64 s4, 0, v46
	v_not_b32_e32 v46, v54
	v_cmp_gt_i32_e64 s6, 0, v3
	v_not_b32_e32 v3, v3
	v_dual_ashrrev_i32 v8, 31, v8 :: v_dual_ashrrev_i32 v9, 31, v9
	v_xor_b32_e32 v6, s1, v6
	v_xor_b32_e32 v7, s2, v7
	v_bitop3_b32 v2, v2, v4, exec_lo bitop3:0x80
	v_cmp_gt_i32_e64 s5, 0, v54
	v_dual_ashrrev_i32 v4, 31, v46 :: v_dual_ashrrev_i32 v3, 31, v3
	v_xor_b32_e32 v8, s3, v8
	v_xor_b32_e32 v9, s4, v9
	v_bitop3_b32 v2, v2, v7, v6 bitop3:0x80
	s_delay_alu instid0(VALU_DEP_4) | instskip(SKIP_3) | instid1(VALU_DEP_1)
	v_xor_b32_e32 v4, s5, v4
	v_xor_b32_e32 v3, s6, v3
	ds_load_b32 v54, v56 offset:64
	v_bitop3_b32 v2, v2, v9, v8 bitop3:0x80
	; wave barrier
	v_bitop3_b32 v2, v2, v3, v4 bitop3:0x80
	s_delay_alu instid0(VALU_DEP_1) | instskip(SKIP_1) | instid1(VALU_DEP_2)
	v_mbcnt_lo_u32_b32 v55, v2, 0
	v_cmp_ne_u32_e64 s0, 0, v2
	v_cmp_eq_u32_e32 vcc_lo, 0, v55
	s_and_b32 s1, s0, vcc_lo
	s_delay_alu instid0(SALU_CYCLE_1)
	s_and_saveexec_b32 s0, s1
	s_cbranch_execz .LBB1346_113
; %bb.112:
	s_wait_dscnt 0x0
	v_bcnt_u32_b32 v2, v2, v54
	ds_store_b32 v56, v2 offset:64
.LBB1346_113:
	s_or_b32 exec_lo, exec_lo, s0
	v_cmp_gt_i32_e32 vcc_lo, 0, v1
	; wave barrier
	v_cndmask_b32_e64 v2, 0x7fffffff, 0, vcc_lo
	s_delay_alu instid0(VALU_DEP_1) | instskip(NEXT) | instid1(VALU_DEP_1)
	v_xor_b32_e32 v46, v2, v1
	v_cmp_ne_u32_e32 vcc_lo, 0x80000000, v46
	v_cndmask_b32_e32 v1, 0x7fffffff, v46, vcc_lo
	s_delay_alu instid0(VALU_DEP_1) | instskip(NEXT) | instid1(VALU_DEP_1)
	v_lshrrev_b32_e32 v1, s20, v1
	v_and_b32_e32 v2, s8, v1
	v_bitop3_b32 v1, v1, 1, s8 bitop3:0x80
	s_delay_alu instid0(VALU_DEP_2) | instskip(NEXT) | instid1(VALU_DEP_2)
	v_mad_u32 v59, 0x44, v2, v0
	v_add_co_u32 v0, s0, v1, -1
	s_delay_alu instid0(VALU_DEP_1) | instskip(SKIP_1) | instid1(VALU_DEP_2)
	v_cndmask_b32_e64 v1, 0, 1, s0
	v_lshlrev_b32_e32 v3, 30, v2
	v_cmp_ne_u32_e32 vcc_lo, 0, v1
	s_delay_alu instid0(VALU_DEP_2)
	v_not_b32_e32 v1, v3
	ds_load_b32 v57, v59 offset:64
	v_dual_ashrrev_i32 v1, 31, v1 :: v_dual_bitop2_b32 v0, vcc_lo, v0 bitop3:0x14
	v_dual_lshlrev_b32 v4, 29, v2 :: v_dual_lshlrev_b32 v6, 28, v2
	v_dual_lshlrev_b32 v7, 27, v2 :: v_dual_lshlrev_b32 v8, 26, v2
	v_lshlrev_b32_e32 v9, 25, v2
	v_cmp_gt_i32_e64 s0, 0, v3
	s_delay_alu instid0(VALU_DEP_4)
	v_cmp_gt_i32_e64 s1, 0, v4
	v_not_b32_e32 v3, v4
	v_not_b32_e32 v4, v6
	v_lshlrev_b32_e32 v2, 24, v2
	v_cmp_gt_i32_e64 s2, 0, v6
	v_cmp_gt_i32_e64 s3, 0, v7
	v_not_b32_e32 v6, v7
	v_not_b32_e32 v7, v8
	v_dual_ashrrev_i32 v3, 31, v3 :: v_dual_bitop2_b32 v1, s0, v1 bitop3:0x14
	v_ashrrev_i32_e32 v4, 31, v4
	v_cmp_gt_i32_e64 s4, 0, v8
	v_not_b32_e32 v8, v9
	v_cmp_gt_i32_e64 s6, 0, v2
	v_not_b32_e32 v2, v2
	v_dual_ashrrev_i32 v6, 31, v6 :: v_dual_ashrrev_i32 v7, 31, v7
	v_xor_b32_e32 v3, s1, v3
	s_delay_alu instid0(VALU_DEP_3) | instskip(SKIP_4) | instid1(VALU_DEP_4)
	v_dual_ashrrev_i32 v2, 31, v2 :: v_dual_bitop2_b32 v4, s2, v4 bitop3:0x14
	v_bitop3_b32 v0, v0, v1, exec_lo bitop3:0x80
	v_cmp_gt_i32_e64 s5, 0, v9
	v_dual_ashrrev_i32 v1, 31, v8 :: v_dual_bitop2_b32 v6, s3, v6 bitop3:0x14
	v_xor_b32_e32 v7, s4, v7
	v_bitop3_b32 v0, v0, v4, v3 bitop3:0x80
	v_xor_b32_e32 v2, s6, v2
	s_delay_alu instid0(VALU_DEP_4) | instskip(NEXT) | instid1(VALU_DEP_3)
	v_xor_b32_e32 v1, s5, v1
	; wave barrier
	v_bitop3_b32 v0, v0, v7, v6 bitop3:0x80
	s_delay_alu instid0(VALU_DEP_1) | instskip(NEXT) | instid1(VALU_DEP_1)
	v_bitop3_b32 v0, v0, v2, v1 bitop3:0x80
	v_mbcnt_lo_u32_b32 v58, v0, 0
	v_cmp_ne_u32_e64 s0, 0, v0
	s_delay_alu instid0(VALU_DEP_2) | instskip(SKIP_1) | instid1(SALU_CYCLE_1)
	v_cmp_eq_u32_e32 vcc_lo, 0, v58
	s_and_b32 s1, s0, vcc_lo
	s_and_saveexec_b32 s0, s1
	s_cbranch_execz .LBB1346_115
; %bb.114:
	s_wait_dscnt 0x0
	v_bcnt_u32_b32 v0, v0, v57
	ds_store_b32 v59, v0 offset:64
.LBB1346_115:
	s_or_b32 exec_lo, exec_lo, s0
	; wave barrier
	s_wait_dscnt 0x0
	s_barrier_signal -1
	s_barrier_wait -1
	ds_load_2addr_b32 v[8:9], v10 offset0:16 offset1:17
	ds_load_2addr_b32 v[6:7], v10 offset0:18 offset1:19
	;; [unrolled: 1-line block ×4, first 2 shown]
	ds_load_b32 v4, v10 offset:96
	v_min_u32_e32 v17, 0x1e0, v17
	s_mov_b32 s4, exec_lo
	s_delay_alu instid0(VALU_DEP_1) | instskip(SKIP_3) | instid1(VALU_DEP_1)
	v_or_b32_e32 v62, 31, v17
	s_wait_dscnt 0x3
	v_add3_u32 v60, v9, v8, v6
	s_wait_dscnt 0x2
	v_add3_u32 v60, v60, v7, v2
	s_wait_dscnt 0x1
	s_delay_alu instid0(VALU_DEP_1) | instskip(SKIP_1) | instid1(VALU_DEP_1)
	v_add3_u32 v60, v60, v3, v0
	s_wait_dscnt 0x0
	v_add3_u32 v4, v60, v1, v4
	v_and_b32_e32 v60, 15, v16
	s_delay_alu instid0(VALU_DEP_2) | instskip(NEXT) | instid1(VALU_DEP_2)
	v_mov_b32_dpp v61, v4 row_shr:1 row_mask:0xf bank_mask:0xf
	v_cmp_eq_u32_e32 vcc_lo, 0, v60
	v_cmp_lt_u32_e64 s0, 1, v60
	s_delay_alu instid0(VALU_DEP_3) | instskip(NEXT) | instid1(VALU_DEP_1)
	v_cndmask_b32_e64 v61, v61, 0, vcc_lo
	v_add_nc_u32_e32 v4, v61, v4
	s_delay_alu instid0(VALU_DEP_1) | instskip(NEXT) | instid1(VALU_DEP_1)
	v_mov_b32_dpp v61, v4 row_shr:2 row_mask:0xf bank_mask:0xf
	v_cndmask_b32_e64 v61, 0, v61, s0
	v_cmp_lt_u32_e64 s2, 7, v60
	v_cmp_lt_u32_e64 s1, 3, v60
	s_delay_alu instid0(VALU_DEP_3) | instskip(NEXT) | instid1(VALU_DEP_1)
	v_add_nc_u32_e32 v4, v4, v61
	v_mov_b32_dpp v61, v4 row_shr:4 row_mask:0xf bank_mask:0xf
	s_delay_alu instid0(VALU_DEP_1) | instskip(NEXT) | instid1(VALU_DEP_1)
	v_cndmask_b32_e64 v61, 0, v61, s1
	v_add_nc_u32_e32 v4, v4, v61
	s_delay_alu instid0(VALU_DEP_1) | instskip(NEXT) | instid1(VALU_DEP_1)
	v_mov_b32_dpp v61, v4 row_shr:8 row_mask:0xf bank_mask:0xf
	v_cndmask_b32_e64 v60, 0, v61, s2
	v_bfe_i32 v61, v16, 4, 1
	s_delay_alu instid0(VALU_DEP_2) | instskip(SKIP_3) | instid1(VALU_DEP_1)
	v_add_nc_u32_e32 v4, v4, v60
	ds_swizzle_b32 v60, v4 offset:swizzle(BROADCAST,32,15)
	s_wait_dscnt 0x0
	v_dual_lshrrev_b32 v60, 5, v15 :: v_dual_bitop2_b32 v61, v61, v60 bitop3:0x40
	v_add_nc_u32_e32 v17, v4, v61
	v_cmpx_eq_u32_e64 v15, v62
; %bb.116:
	s_delay_alu instid0(VALU_DEP_3)
	v_lshlrev_b32_e32 v4, 2, v60
	ds_store_b32 v4, v17
; %bb.117:
	s_or_b32 exec_lo, exec_lo, s4
	v_lshlrev_b32_e32 v4, 2, v15
	s_mov_b32 s4, exec_lo
	s_wait_dscnt 0x0
	s_barrier_signal -1
	s_barrier_wait -1
	v_cmpx_gt_u32_e32 16, v15
	s_cbranch_execz .LBB1346_119
; %bb.118:
	ds_load_b32 v61, v4
	s_wait_dscnt 0x0
	v_mov_b32_dpp v62, v61 row_shr:1 row_mask:0xf bank_mask:0xf
	s_delay_alu instid0(VALU_DEP_1) | instskip(NEXT) | instid1(VALU_DEP_1)
	v_cndmask_b32_e64 v62, v62, 0, vcc_lo
	v_add_nc_u32_e32 v61, v62, v61
	s_delay_alu instid0(VALU_DEP_1) | instskip(NEXT) | instid1(VALU_DEP_1)
	v_mov_b32_dpp v62, v61 row_shr:2 row_mask:0xf bank_mask:0xf
	v_cndmask_b32_e64 v62, 0, v62, s0
	s_delay_alu instid0(VALU_DEP_1) | instskip(NEXT) | instid1(VALU_DEP_1)
	v_add_nc_u32_e32 v61, v61, v62
	v_mov_b32_dpp v62, v61 row_shr:4 row_mask:0xf bank_mask:0xf
	s_delay_alu instid0(VALU_DEP_1) | instskip(NEXT) | instid1(VALU_DEP_1)
	v_cndmask_b32_e64 v62, 0, v62, s1
	v_add_nc_u32_e32 v61, v61, v62
	s_delay_alu instid0(VALU_DEP_1) | instskip(NEXT) | instid1(VALU_DEP_1)
	v_mov_b32_dpp v62, v61 row_shr:8 row_mask:0xf bank_mask:0xf
	v_cndmask_b32_e64 v62, 0, v62, s2
	s_delay_alu instid0(VALU_DEP_1)
	v_add_nc_u32_e32 v61, v61, v62
	ds_store_b32 v4, v61
.LBB1346_119:
	s_or_b32 exec_lo, exec_lo, s4
	v_mov_b32_e32 v61, 0
	s_mov_b32 s0, exec_lo
	s_wait_dscnt 0x0
	s_barrier_signal -1
	s_barrier_wait -1
	v_cmpx_lt_u32_e32 31, v15
; %bb.120:
	v_lshl_add_u32 v60, v60, 2, -4
	ds_load_b32 v61, v60
; %bb.121:
	s_or_b32 exec_lo, exec_lo, s0
	v_sub_co_u32 v60, vcc_lo, v16, 1
	s_wait_dscnt 0x0
	v_add_nc_u32_e32 v17, v61, v17
	s_delay_alu instid0(VALU_DEP_2) | instskip(NEXT) | instid1(VALU_DEP_1)
	v_cmp_gt_i32_e64 s0, 0, v60
	v_cndmask_b32_e64 v16, v60, v16, s0
	v_cmp_lt_u32_e64 s0, 0xff, v15
	s_delay_alu instid0(VALU_DEP_2) | instskip(SKIP_4) | instid1(VALU_DEP_2)
	v_lshlrev_b32_e32 v16, 2, v16
	ds_bpermute_b32 v16, v16, v17
	s_wait_dscnt 0x0
	v_cndmask_b32_e32 v16, v16, v61, vcc_lo
	v_cmp_ne_u32_e32 vcc_lo, 0, v15
	v_cndmask_b32_e32 v16, 0, v16, vcc_lo
	v_cmp_gt_u32_e32 vcc_lo, 0x100, v15
	s_delay_alu instid0(VALU_DEP_2) | instskip(NEXT) | instid1(VALU_DEP_1)
	v_add_nc_u32_e32 v8, v16, v8
	v_add_nc_u32_e32 v9, v8, v9
	s_delay_alu instid0(VALU_DEP_1) | instskip(NEXT) | instid1(VALU_DEP_1)
	v_add_nc_u32_e32 v6, v9, v6
	v_add_nc_u32_e32 v7, v6, v7
	s_delay_alu instid0(VALU_DEP_1) | instskip(NEXT) | instid1(VALU_DEP_1)
	;; [unrolled: 3-line block ×3, first 2 shown]
	v_add_nc_u32_e32 v0, v3, v0
	v_add_nc_u32_e32 v1, v0, v1
	ds_store_2addr_b32 v10, v16, v8 offset0:16 offset1:17
	ds_store_2addr_b32 v10, v9, v6 offset0:18 offset1:19
	;; [unrolled: 1-line block ×4, first 2 shown]
	ds_store_b32 v10, v1 offset:96
	s_wait_dscnt 0x0
	s_barrier_signal -1
	s_barrier_wait -1
	ds_load_b32 v62, v11 offset:64
	ds_load_b32 v60, v12 offset:64
	;; [unrolled: 1-line block ×12, first 2 shown]
	v_mov_b64_e32 v[0:1], 0
                                        ; implicit-def: $vgpr2
	s_and_saveexec_b32 s2, vcc_lo
	s_cbranch_execz .LBB1346_125
; %bb.122:
	v_mul_u32_u24_e32 v0, 0x44, v15
	v_dual_mov_b32 v1, 0x1800 :: v_dual_add_nc_u32 v2, 1, v15
	s_mov_b32 s3, exec_lo
	ds_load_b32 v0, v0 offset:64
	v_cmpx_ne_u32_e32 0x100, v2
; %bb.123:
	v_mul_u32_u24_e32 v1, 0x44, v2
	ds_load_b32 v1, v1 offset:64
; %bb.124:
	s_or_b32 exec_lo, exec_lo, s3
	s_wait_dscnt 0x0
	v_dual_mov_b32 v1, 0 :: v_dual_sub_nc_u32 v2, v1, v0
.LBB1346_125:
	s_or_b32 exec_lo, exec_lo, s2
	v_dual_mov_b32 v7, 0 :: v_dual_lshlrev_b32 v3, 3, v15
	s_wait_dscnt 0x0
	s_barrier_signal -1
	s_barrier_wait -1
	s_and_saveexec_b32 s1, vcc_lo
	s_cbranch_execz .LBB1346_135
; %bb.126:
	v_lshl_add_u32 v6, s9, 8, v15
	v_dual_mov_b32 v10, 0 :: v_dual_bitop2_b32 v11, 2.0, v2 bitop3:0x54
	s_mov_b32 s2, 0
	s_mov_b32 s3, s9
	s_delay_alu instid0(VALU_DEP_2)
	v_lshl_add_u64 v[8:9], v[6:7], 2, s[10:11]
	global_store_b32 v6, v11, s[10:11] scale_offset scope:SCOPE_DEV
                                        ; implicit-def: $sgpr4
	s_branch .LBB1346_129
.LBB1346_127:                           ;   in Loop: Header=BB1346_129 Depth=1
	s_or_b32 exec_lo, exec_lo, s5
.LBB1346_128:                           ;   in Loop: Header=BB1346_129 Depth=1
	s_delay_alu instid0(SALU_CYCLE_1) | instskip(SKIP_2) | instid1(VALU_DEP_2)
	s_or_b32 exec_lo, exec_lo, s4
	v_and_b32_e32 v6, 0x3fffffff, v11
	v_cmp_gt_i32_e64 s4, -2.0, v11
	v_add_nc_u32_e32 v10, v6, v10
	s_and_b32 s5, exec_lo, s4
	s_delay_alu instid0(SALU_CYCLE_1) | instskip(NEXT) | instid1(SALU_CYCLE_1)
	s_or_b32 s2, s5, s2
	s_and_not1_b32 exec_lo, exec_lo, s2
	s_cbranch_execz .LBB1346_134
.LBB1346_129:                           ; =>This Loop Header: Depth=1
                                        ;     Child Loop BB1346_132 Depth 2
	s_or_b32 s4, s4, exec_lo
	s_cmp_eq_u32 s3, 0
	s_cbranch_scc1 .LBB1346_133
; %bb.130:                              ;   in Loop: Header=BB1346_129 Depth=1
	s_add_co_i32 s3, s3, -1
	s_mov_b32 s4, exec_lo
	s_wait_xcnt 0x0
	v_lshl_or_b32 v6, s3, 8, v15
	global_load_b32 v11, v6, s[10:11] scale_offset scope:SCOPE_DEV
	s_wait_loadcnt 0x0
	v_cmpx_gt_u32_e32 2.0, v11
	s_cbranch_execz .LBB1346_128
; %bb.131:                              ;   in Loop: Header=BB1346_129 Depth=1
	v_lshl_add_u64 v[12:13], v[6:7], 2, s[10:11]
	s_mov_b32 s5, 0
.LBB1346_132:                           ;   Parent Loop BB1346_129 Depth=1
                                        ; =>  This Inner Loop Header: Depth=2
	global_load_b32 v11, v[12:13], off scope:SCOPE_DEV
	s_wait_loadcnt 0x0
	v_cmp_lt_u32_e32 vcc_lo, 0x3fffffff, v11
	s_or_b32 s5, vcc_lo, s5
	s_wait_xcnt 0x0
	s_and_not1_b32 exec_lo, exec_lo, s5
	s_cbranch_execnz .LBB1346_132
	s_branch .LBB1346_127
.LBB1346_133:                           ;   in Loop: Header=BB1346_129 Depth=1
                                        ; implicit-def: $sgpr3
	s_and_b32 s5, exec_lo, s4
	s_delay_alu instid0(SALU_CYCLE_1)
	s_or_b32 s2, s5, s2
	s_wait_xcnt 0x0
	s_and_not1_b32 exec_lo, exec_lo, s2
	s_cbranch_execnz .LBB1346_129
.LBB1346_134:
	s_or_b32 exec_lo, exec_lo, s2
	v_dual_mov_b32 v11, 0 :: v_dual_add_nc_u32 v6, v10, v2
	s_delay_alu instid0(VALU_DEP_1) | instskip(SKIP_4) | instid1(VALU_DEP_1)
	v_or_b32_e32 v6, 0x80000000, v6
	global_store_b32 v[8:9], v6, off scope:SCOPE_DEV
	global_load_b64 v[6:7], v15, s[12:13] scale_offset
	v_sub_nc_u64_e32 v[8:9], v[10:11], v[0:1]
	s_wait_loadcnt 0x0
	v_add_nc_u64_e32 v[6:7], v[8:9], v[6:7]
	ds_store_b64 v3, v[6:7]
.LBB1346_135:
	s_wait_xcnt 0x0
	s_or_b32 exec_lo, exec_lo, s1
	v_dual_add_nc_u32 v6, v62, v5 :: v_dual_sub_nc_u32 v56, 0, v4
	v_mov_b32_e32 v5, 0
	v_add3_u32 v22, v23, v60, v22
	v_add3_u32 v7, v58, v53, v57
	;; [unrolled: 1-line block ×3, first 2 shown]
	v_add_nc_u32_e32 v23, v3, v56
	v_add_nc_u64_e32 v[4:5], s[18:19], v[4:5]
	v_add3_u32 v9, v52, v48, v50
	v_add3_u32 v10, v49, v44, v47
	v_add3_u32 v11, v45, v41, v43
	v_add3_u32 v12, v40, v37, v39
	v_add3_u32 v13, v36, v33, v35
	v_add3_u32 v16, v32, v16, v31
	v_add_nc_u64_e32 v[4:5], 0x2000, v[4:5]
	v_add3_u32 v17, v29, v17, v28
	v_add3_u32 v25, v26, v61, v25
	v_mov_b32_e32 v26, v15
	s_mov_b32 s1, 0
	s_mov_b32 s2, -1
	s_branch .LBB1346_137
.LBB1346_136:                           ;   in Loop: Header=BB1346_137 Depth=1
	s_wait_xcnt 0x0
	s_or_b32 exec_lo, exec_lo, s3
	v_add_nc_u64_e32 v[4:5], 0x4000, v[4:5]
	v_add_nc_u32_e32 v26, 0x1000, v26
	s_xor_b32 s2, s2, -1
	s_addk_co_i32 s1, 0xf000
	s_and_b32 vcc_lo, exec_lo, s2
	s_mov_b32 s2, 0
	s_wait_storecnt 0x0
	s_barrier_signal -1
	s_barrier_wait -1
	s_cbranch_vccnz .LBB1346_147
.LBB1346_137:                           ; =>This Inner Loop Header: Depth=1
	v_add_min_u32_e64 v28, v6, s1, 0x1000
	v_add_min_u32_e64 v29, v22, s1, 0x1000
	;; [unrolled: 1-line block ×5, first 2 shown]
	s_delay_alu instid0(VALU_DEP_4)
	v_dual_lshlrev_b32 v28, 2, v28 :: v_dual_lshlrev_b32 v29, 2, v29
	v_add_min_u32_e64 v35, v13, s1, 0x1000
	v_add_min_u32_e64 v36, v12, s1, 0x1000
	s_mov_b32 s3, exec_lo
	ds_store_b32 v28, v14 offset:2048
	ds_store_b32 v29, v18 offset:2048
	v_dual_lshlrev_b32 v28, 2, v31 :: v_dual_lshlrev_b32 v29, 2, v32
	v_dual_lshlrev_b32 v31, 2, v33 :: v_dual_lshlrev_b32 v32, 2, v35
	v_lshlrev_b32_e32 v33, 2, v36
	ds_store_b32 v28, v19 offset:2048
	ds_store_b32 v29, v20 offset:2048
	;; [unrolled: 1-line block ×5, first 2 shown]
	v_add_min_u32_e64 v28, v11, s1, 0x1000
	v_add_min_u32_e64 v29, v10, s1, 0x1000
	;; [unrolled: 1-line block ×5, first 2 shown]
	s_delay_alu instid0(VALU_DEP_4) | instskip(NEXT) | instid1(VALU_DEP_3)
	v_dual_lshlrev_b32 v28, 2, v28 :: v_dual_lshlrev_b32 v29, 2, v29
	v_dual_lshlrev_b32 v31, 2, v31 :: v_dual_lshlrev_b32 v32, 2, v32
	s_delay_alu instid0(VALU_DEP_3)
	v_lshlrev_b32_e32 v33, 2, v33
	ds_store_b32 v28, v30 offset:2048
	ds_store_b32 v29, v34 offset:2048
	;; [unrolled: 1-line block ×5, first 2 shown]
	s_wait_storecnt_dscnt 0x0
	s_barrier_signal -1
	s_barrier_wait -1
	ds_load_2addr_stride64_b32 v[28:29], v23 offset0:8 offset1:16
	s_wait_dscnt 0x0
	v_cmp_ne_u32_e32 vcc_lo, 0x80000000, v29
	v_cndmask_b32_e32 v31, 0x7fffffff, v29, vcc_lo
	v_cmp_ne_u32_e32 vcc_lo, 0x80000000, v28
	s_delay_alu instid0(VALU_DEP_2) | instskip(SKIP_1) | instid1(VALU_DEP_2)
	v_lshrrev_b32_e32 v31, s20, v31
	v_cndmask_b32_e32 v35, 0x7fffffff, v28, vcc_lo
	v_and_b32_e32 v31, s8, v31
	s_delay_alu instid0(VALU_DEP_2) | instskip(NEXT) | instid1(VALU_DEP_2)
	v_lshrrev_b32_e32 v35, s20, v35
	v_lshlrev_b32_e32 v31, 3, v31
	ds_load_b64 v[32:33], v31
	ds_load_b32 v31, v23 offset:6144
	v_and_b32_e32 v35, s8, v35
	s_delay_alu instid0(VALU_DEP_1) | instskip(SKIP_4) | instid1(VALU_DEP_2)
	v_lshlrev_b32_e32 v35, 3, v35
	s_wait_dscnt 0x0
	v_cmp_ne_u32_e32 vcc_lo, 0x80000000, v31
	v_cndmask_b32_e32 v36, 0x7fffffff, v31, vcc_lo
	v_cmp_gt_i32_e32 vcc_lo, 0, v28
	v_lshrrev_b32_e32 v36, s20, v36
	s_delay_alu instid0(VALU_DEP_1) | instskip(NEXT) | instid1(VALU_DEP_1)
	v_and_b32_e32 v36, s8, v36
	v_lshlrev_b32_e32 v39, 3, v36
	ds_load_b64 v[36:37], v35
	ds_load_b64 v[40:41], v39
	v_cndmask_b32_e64 v35, 0x7fffffff, 0, vcc_lo
	v_cmp_gt_i32_e32 vcc_lo, 0, v29
	s_delay_alu instid0(VALU_DEP_2) | instskip(SKIP_2) | instid1(VALU_DEP_2)
	v_xor_b32_e32 v35, v35, v28
	v_cndmask_b32_e64 v39, 0x7fffffff, 0, vcc_lo
	v_cmp_gt_i32_e32 vcc_lo, 0, v31
	v_xor_b32_e32 v39, v39, v29
	v_cndmask_b32_e64 v43, 0x7fffffff, 0, vcc_lo
	v_lshl_add_u64 v[28:29], v[32:33], 2, v[4:5]
	s_delay_alu instid0(VALU_DEP_2)
	v_xor_b32_e32 v31, v43, v31
	s_wait_dscnt 0x1
	v_lshl_add_u64 v[36:37], v[36:37], 2, v[4:5]
	s_wait_dscnt 0x0
	v_lshl_add_u64 v[32:33], v[40:41], 2, v[4:5]
	s_clause 0x2
	global_store_b32 v[36:37], v35, off offset:-8192
	global_store_b32 v[28:29], v39, off offset:-6144
	;; [unrolled: 1-line block ×3, first 2 shown]
	s_wait_xcnt 0x0
	v_cmpx_gt_u32_e32 0x1200, v26
	s_cbranch_execz .LBB1346_139
; %bb.138:                              ;   in Loop: Header=BB1346_137 Depth=1
	ds_load_b32 v31, v23 offset:8192
	s_wait_dscnt 0x0
	v_cmp_ne_u32_e32 vcc_lo, 0x80000000, v31
	v_cndmask_b32_e32 v28, 0x7fffffff, v31, vcc_lo
	v_cmp_gt_i32_e32 vcc_lo, 0, v31
	v_cndmask_b32_e64 v32, 0x7fffffff, 0, vcc_lo
	s_delay_alu instid0(VALU_DEP_1) | instskip(NEXT) | instid1(VALU_DEP_1)
	v_dual_lshrrev_b32 v28, s20, v28 :: v_dual_bitop2_b32 v31, v32, v31 bitop3:0x14
	v_and_b32_e32 v28, s8, v28
	s_delay_alu instid0(VALU_DEP_1)
	v_lshlrev_b32_e32 v28, 3, v28
	ds_load_b64 v[28:29], v28
	s_wait_dscnt 0x0
	v_lshl_add_u64 v[28:29], v[28:29], 2, v[4:5]
	global_store_b32 v[28:29], v31, off offset:-2048
.LBB1346_139:                           ;   in Loop: Header=BB1346_137 Depth=1
	s_wait_xcnt 0x0
	s_or_b32 exec_lo, exec_lo, s3
	v_add_nc_u32_e32 v28, 0x800, v26
	s_mov_b32 s3, exec_lo
	s_delay_alu instid0(VALU_DEP_1)
	v_cmpx_gt_u32_e32 0x1800, v28
	s_cbranch_execz .LBB1346_141
; %bb.140:                              ;   in Loop: Header=BB1346_137 Depth=1
	ds_load_b32 v31, v23 offset:10240
	s_wait_dscnt 0x0
	v_cmp_ne_u32_e32 vcc_lo, 0x80000000, v31
	v_cndmask_b32_e32 v28, 0x7fffffff, v31, vcc_lo
	v_cmp_gt_i32_e32 vcc_lo, 0, v31
	v_cndmask_b32_e64 v32, 0x7fffffff, 0, vcc_lo
	s_delay_alu instid0(VALU_DEP_1) | instskip(NEXT) | instid1(VALU_DEP_1)
	v_dual_lshrrev_b32 v28, s20, v28 :: v_dual_bitop2_b32 v31, v32, v31 bitop3:0x14
	v_and_b32_e32 v28, s8, v28
	s_delay_alu instid0(VALU_DEP_1)
	v_lshlrev_b32_e32 v28, 3, v28
	ds_load_b64 v[28:29], v28
	s_wait_dscnt 0x0
	v_lshl_add_u64 v[28:29], v[28:29], 2, v[4:5]
	global_store_b32 v[28:29], v31, off
.LBB1346_141:                           ;   in Loop: Header=BB1346_137 Depth=1
	s_wait_xcnt 0x0
	s_or_b32 exec_lo, exec_lo, s3
	s_delay_alu instid0(SALU_CYCLE_1)
	s_mov_b32 s3, exec_lo
	v_cmpx_gt_u32_e32 0xe00, v26
	s_cbranch_execz .LBB1346_143
; %bb.142:                              ;   in Loop: Header=BB1346_137 Depth=1
	ds_load_b32 v31, v23 offset:12288
	s_wait_dscnt 0x0
	v_cmp_ne_u32_e32 vcc_lo, 0x80000000, v31
	v_cndmask_b32_e32 v28, 0x7fffffff, v31, vcc_lo
	v_cmp_gt_i32_e32 vcc_lo, 0, v31
	v_cndmask_b32_e64 v32, 0x7fffffff, 0, vcc_lo
	s_delay_alu instid0(VALU_DEP_1) | instskip(NEXT) | instid1(VALU_DEP_1)
	v_dual_lshrrev_b32 v28, s20, v28 :: v_dual_bitop2_b32 v31, v32, v31 bitop3:0x14
	v_and_b32_e32 v28, s8, v28
	s_delay_alu instid0(VALU_DEP_1)
	v_lshlrev_b32_e32 v28, 3, v28
	ds_load_b64 v[28:29], v28
	s_wait_dscnt 0x0
	v_lshl_add_u64 v[28:29], v[28:29], 2, v[4:5]
	global_store_b32 v[28:29], v31, off offset:2048
.LBB1346_143:                           ;   in Loop: Header=BB1346_137 Depth=1
	s_wait_xcnt 0x0
	s_or_b32 exec_lo, exec_lo, s3
	v_add_nc_u32_e32 v28, 0xc00, v26
	s_mov_b32 s3, exec_lo
	s_delay_alu instid0(VALU_DEP_1)
	v_cmpx_gt_u32_e32 0x1800, v28
	s_cbranch_execz .LBB1346_145
; %bb.144:                              ;   in Loop: Header=BB1346_137 Depth=1
	ds_load_b32 v31, v23 offset:14336
	s_wait_dscnt 0x0
	v_cmp_ne_u32_e32 vcc_lo, 0x80000000, v31
	v_cndmask_b32_e32 v28, 0x7fffffff, v31, vcc_lo
	v_cmp_gt_i32_e32 vcc_lo, 0, v31
	v_cndmask_b32_e64 v32, 0x7fffffff, 0, vcc_lo
	s_delay_alu instid0(VALU_DEP_1) | instskip(NEXT) | instid1(VALU_DEP_1)
	v_dual_lshrrev_b32 v28, s20, v28 :: v_dual_bitop2_b32 v31, v32, v31 bitop3:0x14
	v_and_b32_e32 v28, s8, v28
	s_delay_alu instid0(VALU_DEP_1)
	v_lshlrev_b32_e32 v28, 3, v28
	ds_load_b64 v[28:29], v28
	s_wait_dscnt 0x0
	v_lshl_add_u64 v[28:29], v[28:29], 2, v[4:5]
	global_store_b32 v[28:29], v31, off offset:4096
.LBB1346_145:                           ;   in Loop: Header=BB1346_137 Depth=1
	s_wait_xcnt 0x0
	s_or_b32 exec_lo, exec_lo, s3
	s_delay_alu instid0(SALU_CYCLE_1)
	s_mov_b32 s3, exec_lo
	v_cmpx_gt_u32_e32 0xa00, v26
	s_cbranch_execz .LBB1346_136
; %bb.146:                              ;   in Loop: Header=BB1346_137 Depth=1
	ds_load_b32 v31, v23 offset:16384
	s_wait_dscnt 0x0
	v_cmp_ne_u32_e32 vcc_lo, 0x80000000, v31
	v_cndmask_b32_e32 v28, 0x7fffffff, v31, vcc_lo
	v_cmp_gt_i32_e32 vcc_lo, 0, v31
	v_cndmask_b32_e64 v32, 0x7fffffff, 0, vcc_lo
	s_delay_alu instid0(VALU_DEP_1) | instskip(NEXT) | instid1(VALU_DEP_1)
	v_dual_lshrrev_b32 v28, s20, v28 :: v_dual_bitop2_b32 v31, v32, v31 bitop3:0x14
	v_and_b32_e32 v28, s8, v28
	s_delay_alu instid0(VALU_DEP_1)
	v_lshlrev_b32_e32 v28, 3, v28
	ds_load_b64 v[28:29], v28
	s_wait_dscnt 0x0
	v_lshl_add_u64 v[28:29], v[28:29], 2, v[4:5]
	global_store_b32 v[28:29], v31, off offset:6144
	s_branch .LBB1346_136
.LBB1346_147:
	s_add_co_i32 s7, s7, -1
	s_delay_alu instid0(SALU_CYCLE_1) | instskip(SKIP_2) | instid1(SALU_CYCLE_1)
	s_cmp_eq_u32 s9, s7
	s_cselect_b32 s1, -1, 0
	s_xor_b32 s0, s0, -1
	s_and_b32 s0, s0, s1
	s_delay_alu instid0(SALU_CYCLE_1)
	s_and_saveexec_b32 s1, s0
	s_cbranch_execz .LBB1346_149
; %bb.148:
	ds_load_b64 v[4:5], v3
	v_mov_b32_e32 v3, 0
	s_delay_alu instid0(VALU_DEP_1) | instskip(SKIP_1) | instid1(VALU_DEP_1)
	v_add_nc_u64_e32 v[0:1], v[0:1], v[2:3]
	s_wait_dscnt 0x0
	v_add_nc_u64_e32 v[0:1], v[0:1], v[4:5]
	global_store_b64 v15, v[0:1], s[14:15] scale_offset
.LBB1346_149:
	s_sendmsg sendmsg(MSG_DEALLOC_VGPRS)
	s_endpgm
	.section	.rodata,"a",@progbits
	.p2align	6, 0x0
	.amdhsa_kernel _ZN7rocprim17ROCPRIM_400000_NS6detail17trampoline_kernelINS0_14default_configENS1_35radix_sort_onesweep_config_selectorIfNS0_10empty_typeEEEZZNS1_29radix_sort_onesweep_iterationIS3_Lb1EPKfPfPS5_SB_mNS0_19identity_decomposerENS1_16block_id_wrapperIjLb0EEEEE10hipError_tT1_PNSt15iterator_traitsISG_E10value_typeET2_T3_PNSH_ISM_E10value_typeET4_T5_PSR_SS_PNS1_23onesweep_lookback_stateEbbT6_jjT7_P12ihipStream_tbENKUlT_T0_SG_SL_E_clISA_SA_SB_SB_EEDaSZ_S10_SG_SL_EUlSZ_E_NS1_11comp_targetILNS1_3genE0ELNS1_11target_archE4294967295ELNS1_3gpuE0ELNS1_3repE0EEENS1_47radix_sort_onesweep_sort_config_static_selectorELNS0_4arch9wavefront6targetE0EEEvSG_
		.amdhsa_group_segment_fixed_size 18504
		.amdhsa_private_segment_fixed_size 0
		.amdhsa_kernarg_size 344
		.amdhsa_user_sgpr_count 2
		.amdhsa_user_sgpr_dispatch_ptr 0
		.amdhsa_user_sgpr_queue_ptr 0
		.amdhsa_user_sgpr_kernarg_segment_ptr 1
		.amdhsa_user_sgpr_dispatch_id 0
		.amdhsa_user_sgpr_kernarg_preload_length 0
		.amdhsa_user_sgpr_kernarg_preload_offset 0
		.amdhsa_user_sgpr_private_segment_size 0
		.amdhsa_wavefront_size32 1
		.amdhsa_uses_dynamic_stack 0
		.amdhsa_enable_private_segment 0
		.amdhsa_system_sgpr_workgroup_id_x 1
		.amdhsa_system_sgpr_workgroup_id_y 0
		.amdhsa_system_sgpr_workgroup_id_z 0
		.amdhsa_system_sgpr_workgroup_info 0
		.amdhsa_system_vgpr_workitem_id 2
		.amdhsa_next_free_vgpr 65
		.amdhsa_next_free_sgpr 28
		.amdhsa_named_barrier_count 0
		.amdhsa_reserve_vcc 1
		.amdhsa_float_round_mode_32 0
		.amdhsa_float_round_mode_16_64 0
		.amdhsa_float_denorm_mode_32 3
		.amdhsa_float_denorm_mode_16_64 3
		.amdhsa_fp16_overflow 0
		.amdhsa_memory_ordered 1
		.amdhsa_forward_progress 1
		.amdhsa_inst_pref_size 134
		.amdhsa_round_robin_scheduling 0
		.amdhsa_exception_fp_ieee_invalid_op 0
		.amdhsa_exception_fp_denorm_src 0
		.amdhsa_exception_fp_ieee_div_zero 0
		.amdhsa_exception_fp_ieee_overflow 0
		.amdhsa_exception_fp_ieee_underflow 0
		.amdhsa_exception_fp_ieee_inexact 0
		.amdhsa_exception_int_div_zero 0
	.end_amdhsa_kernel
	.section	.text._ZN7rocprim17ROCPRIM_400000_NS6detail17trampoline_kernelINS0_14default_configENS1_35radix_sort_onesweep_config_selectorIfNS0_10empty_typeEEEZZNS1_29radix_sort_onesweep_iterationIS3_Lb1EPKfPfPS5_SB_mNS0_19identity_decomposerENS1_16block_id_wrapperIjLb0EEEEE10hipError_tT1_PNSt15iterator_traitsISG_E10value_typeET2_T3_PNSH_ISM_E10value_typeET4_T5_PSR_SS_PNS1_23onesweep_lookback_stateEbbT6_jjT7_P12ihipStream_tbENKUlT_T0_SG_SL_E_clISA_SA_SB_SB_EEDaSZ_S10_SG_SL_EUlSZ_E_NS1_11comp_targetILNS1_3genE0ELNS1_11target_archE4294967295ELNS1_3gpuE0ELNS1_3repE0EEENS1_47radix_sort_onesweep_sort_config_static_selectorELNS0_4arch9wavefront6targetE0EEEvSG_,"axG",@progbits,_ZN7rocprim17ROCPRIM_400000_NS6detail17trampoline_kernelINS0_14default_configENS1_35radix_sort_onesweep_config_selectorIfNS0_10empty_typeEEEZZNS1_29radix_sort_onesweep_iterationIS3_Lb1EPKfPfPS5_SB_mNS0_19identity_decomposerENS1_16block_id_wrapperIjLb0EEEEE10hipError_tT1_PNSt15iterator_traitsISG_E10value_typeET2_T3_PNSH_ISM_E10value_typeET4_T5_PSR_SS_PNS1_23onesweep_lookback_stateEbbT6_jjT7_P12ihipStream_tbENKUlT_T0_SG_SL_E_clISA_SA_SB_SB_EEDaSZ_S10_SG_SL_EUlSZ_E_NS1_11comp_targetILNS1_3genE0ELNS1_11target_archE4294967295ELNS1_3gpuE0ELNS1_3repE0EEENS1_47radix_sort_onesweep_sort_config_static_selectorELNS0_4arch9wavefront6targetE0EEEvSG_,comdat
.Lfunc_end1346:
	.size	_ZN7rocprim17ROCPRIM_400000_NS6detail17trampoline_kernelINS0_14default_configENS1_35radix_sort_onesweep_config_selectorIfNS0_10empty_typeEEEZZNS1_29radix_sort_onesweep_iterationIS3_Lb1EPKfPfPS5_SB_mNS0_19identity_decomposerENS1_16block_id_wrapperIjLb0EEEEE10hipError_tT1_PNSt15iterator_traitsISG_E10value_typeET2_T3_PNSH_ISM_E10value_typeET4_T5_PSR_SS_PNS1_23onesweep_lookback_stateEbbT6_jjT7_P12ihipStream_tbENKUlT_T0_SG_SL_E_clISA_SA_SB_SB_EEDaSZ_S10_SG_SL_EUlSZ_E_NS1_11comp_targetILNS1_3genE0ELNS1_11target_archE4294967295ELNS1_3gpuE0ELNS1_3repE0EEENS1_47radix_sort_onesweep_sort_config_static_selectorELNS0_4arch9wavefront6targetE0EEEvSG_, .Lfunc_end1346-_ZN7rocprim17ROCPRIM_400000_NS6detail17trampoline_kernelINS0_14default_configENS1_35radix_sort_onesweep_config_selectorIfNS0_10empty_typeEEEZZNS1_29radix_sort_onesweep_iterationIS3_Lb1EPKfPfPS5_SB_mNS0_19identity_decomposerENS1_16block_id_wrapperIjLb0EEEEE10hipError_tT1_PNSt15iterator_traitsISG_E10value_typeET2_T3_PNSH_ISM_E10value_typeET4_T5_PSR_SS_PNS1_23onesweep_lookback_stateEbbT6_jjT7_P12ihipStream_tbENKUlT_T0_SG_SL_E_clISA_SA_SB_SB_EEDaSZ_S10_SG_SL_EUlSZ_E_NS1_11comp_targetILNS1_3genE0ELNS1_11target_archE4294967295ELNS1_3gpuE0ELNS1_3repE0EEENS1_47radix_sort_onesweep_sort_config_static_selectorELNS0_4arch9wavefront6targetE0EEEvSG_
                                        ; -- End function
	.set _ZN7rocprim17ROCPRIM_400000_NS6detail17trampoline_kernelINS0_14default_configENS1_35radix_sort_onesweep_config_selectorIfNS0_10empty_typeEEEZZNS1_29radix_sort_onesweep_iterationIS3_Lb1EPKfPfPS5_SB_mNS0_19identity_decomposerENS1_16block_id_wrapperIjLb0EEEEE10hipError_tT1_PNSt15iterator_traitsISG_E10value_typeET2_T3_PNSH_ISM_E10value_typeET4_T5_PSR_SS_PNS1_23onesweep_lookback_stateEbbT6_jjT7_P12ihipStream_tbENKUlT_T0_SG_SL_E_clISA_SA_SB_SB_EEDaSZ_S10_SG_SL_EUlSZ_E_NS1_11comp_targetILNS1_3genE0ELNS1_11target_archE4294967295ELNS1_3gpuE0ELNS1_3repE0EEENS1_47radix_sort_onesweep_sort_config_static_selectorELNS0_4arch9wavefront6targetE0EEEvSG_.num_vgpr, 65
	.set _ZN7rocprim17ROCPRIM_400000_NS6detail17trampoline_kernelINS0_14default_configENS1_35radix_sort_onesweep_config_selectorIfNS0_10empty_typeEEEZZNS1_29radix_sort_onesweep_iterationIS3_Lb1EPKfPfPS5_SB_mNS0_19identity_decomposerENS1_16block_id_wrapperIjLb0EEEEE10hipError_tT1_PNSt15iterator_traitsISG_E10value_typeET2_T3_PNSH_ISM_E10value_typeET4_T5_PSR_SS_PNS1_23onesweep_lookback_stateEbbT6_jjT7_P12ihipStream_tbENKUlT_T0_SG_SL_E_clISA_SA_SB_SB_EEDaSZ_S10_SG_SL_EUlSZ_E_NS1_11comp_targetILNS1_3genE0ELNS1_11target_archE4294967295ELNS1_3gpuE0ELNS1_3repE0EEENS1_47radix_sort_onesweep_sort_config_static_selectorELNS0_4arch9wavefront6targetE0EEEvSG_.num_agpr, 0
	.set _ZN7rocprim17ROCPRIM_400000_NS6detail17trampoline_kernelINS0_14default_configENS1_35radix_sort_onesweep_config_selectorIfNS0_10empty_typeEEEZZNS1_29radix_sort_onesweep_iterationIS3_Lb1EPKfPfPS5_SB_mNS0_19identity_decomposerENS1_16block_id_wrapperIjLb0EEEEE10hipError_tT1_PNSt15iterator_traitsISG_E10value_typeET2_T3_PNSH_ISM_E10value_typeET4_T5_PSR_SS_PNS1_23onesweep_lookback_stateEbbT6_jjT7_P12ihipStream_tbENKUlT_T0_SG_SL_E_clISA_SA_SB_SB_EEDaSZ_S10_SG_SL_EUlSZ_E_NS1_11comp_targetILNS1_3genE0ELNS1_11target_archE4294967295ELNS1_3gpuE0ELNS1_3repE0EEENS1_47radix_sort_onesweep_sort_config_static_selectorELNS0_4arch9wavefront6targetE0EEEvSG_.numbered_sgpr, 28
	.set _ZN7rocprim17ROCPRIM_400000_NS6detail17trampoline_kernelINS0_14default_configENS1_35radix_sort_onesweep_config_selectorIfNS0_10empty_typeEEEZZNS1_29radix_sort_onesweep_iterationIS3_Lb1EPKfPfPS5_SB_mNS0_19identity_decomposerENS1_16block_id_wrapperIjLb0EEEEE10hipError_tT1_PNSt15iterator_traitsISG_E10value_typeET2_T3_PNSH_ISM_E10value_typeET4_T5_PSR_SS_PNS1_23onesweep_lookback_stateEbbT6_jjT7_P12ihipStream_tbENKUlT_T0_SG_SL_E_clISA_SA_SB_SB_EEDaSZ_S10_SG_SL_EUlSZ_E_NS1_11comp_targetILNS1_3genE0ELNS1_11target_archE4294967295ELNS1_3gpuE0ELNS1_3repE0EEENS1_47radix_sort_onesweep_sort_config_static_selectorELNS0_4arch9wavefront6targetE0EEEvSG_.num_named_barrier, 0
	.set _ZN7rocprim17ROCPRIM_400000_NS6detail17trampoline_kernelINS0_14default_configENS1_35radix_sort_onesweep_config_selectorIfNS0_10empty_typeEEEZZNS1_29radix_sort_onesweep_iterationIS3_Lb1EPKfPfPS5_SB_mNS0_19identity_decomposerENS1_16block_id_wrapperIjLb0EEEEE10hipError_tT1_PNSt15iterator_traitsISG_E10value_typeET2_T3_PNSH_ISM_E10value_typeET4_T5_PSR_SS_PNS1_23onesweep_lookback_stateEbbT6_jjT7_P12ihipStream_tbENKUlT_T0_SG_SL_E_clISA_SA_SB_SB_EEDaSZ_S10_SG_SL_EUlSZ_E_NS1_11comp_targetILNS1_3genE0ELNS1_11target_archE4294967295ELNS1_3gpuE0ELNS1_3repE0EEENS1_47radix_sort_onesweep_sort_config_static_selectorELNS0_4arch9wavefront6targetE0EEEvSG_.private_seg_size, 0
	.set _ZN7rocprim17ROCPRIM_400000_NS6detail17trampoline_kernelINS0_14default_configENS1_35radix_sort_onesweep_config_selectorIfNS0_10empty_typeEEEZZNS1_29radix_sort_onesweep_iterationIS3_Lb1EPKfPfPS5_SB_mNS0_19identity_decomposerENS1_16block_id_wrapperIjLb0EEEEE10hipError_tT1_PNSt15iterator_traitsISG_E10value_typeET2_T3_PNSH_ISM_E10value_typeET4_T5_PSR_SS_PNS1_23onesweep_lookback_stateEbbT6_jjT7_P12ihipStream_tbENKUlT_T0_SG_SL_E_clISA_SA_SB_SB_EEDaSZ_S10_SG_SL_EUlSZ_E_NS1_11comp_targetILNS1_3genE0ELNS1_11target_archE4294967295ELNS1_3gpuE0ELNS1_3repE0EEENS1_47radix_sort_onesweep_sort_config_static_selectorELNS0_4arch9wavefront6targetE0EEEvSG_.uses_vcc, 1
	.set _ZN7rocprim17ROCPRIM_400000_NS6detail17trampoline_kernelINS0_14default_configENS1_35radix_sort_onesweep_config_selectorIfNS0_10empty_typeEEEZZNS1_29radix_sort_onesweep_iterationIS3_Lb1EPKfPfPS5_SB_mNS0_19identity_decomposerENS1_16block_id_wrapperIjLb0EEEEE10hipError_tT1_PNSt15iterator_traitsISG_E10value_typeET2_T3_PNSH_ISM_E10value_typeET4_T5_PSR_SS_PNS1_23onesweep_lookback_stateEbbT6_jjT7_P12ihipStream_tbENKUlT_T0_SG_SL_E_clISA_SA_SB_SB_EEDaSZ_S10_SG_SL_EUlSZ_E_NS1_11comp_targetILNS1_3genE0ELNS1_11target_archE4294967295ELNS1_3gpuE0ELNS1_3repE0EEENS1_47radix_sort_onesweep_sort_config_static_selectorELNS0_4arch9wavefront6targetE0EEEvSG_.uses_flat_scratch, 0
	.set _ZN7rocprim17ROCPRIM_400000_NS6detail17trampoline_kernelINS0_14default_configENS1_35radix_sort_onesweep_config_selectorIfNS0_10empty_typeEEEZZNS1_29radix_sort_onesweep_iterationIS3_Lb1EPKfPfPS5_SB_mNS0_19identity_decomposerENS1_16block_id_wrapperIjLb0EEEEE10hipError_tT1_PNSt15iterator_traitsISG_E10value_typeET2_T3_PNSH_ISM_E10value_typeET4_T5_PSR_SS_PNS1_23onesweep_lookback_stateEbbT6_jjT7_P12ihipStream_tbENKUlT_T0_SG_SL_E_clISA_SA_SB_SB_EEDaSZ_S10_SG_SL_EUlSZ_E_NS1_11comp_targetILNS1_3genE0ELNS1_11target_archE4294967295ELNS1_3gpuE0ELNS1_3repE0EEENS1_47radix_sort_onesweep_sort_config_static_selectorELNS0_4arch9wavefront6targetE0EEEvSG_.has_dyn_sized_stack, 0
	.set _ZN7rocprim17ROCPRIM_400000_NS6detail17trampoline_kernelINS0_14default_configENS1_35radix_sort_onesweep_config_selectorIfNS0_10empty_typeEEEZZNS1_29radix_sort_onesweep_iterationIS3_Lb1EPKfPfPS5_SB_mNS0_19identity_decomposerENS1_16block_id_wrapperIjLb0EEEEE10hipError_tT1_PNSt15iterator_traitsISG_E10value_typeET2_T3_PNSH_ISM_E10value_typeET4_T5_PSR_SS_PNS1_23onesweep_lookback_stateEbbT6_jjT7_P12ihipStream_tbENKUlT_T0_SG_SL_E_clISA_SA_SB_SB_EEDaSZ_S10_SG_SL_EUlSZ_E_NS1_11comp_targetILNS1_3genE0ELNS1_11target_archE4294967295ELNS1_3gpuE0ELNS1_3repE0EEENS1_47radix_sort_onesweep_sort_config_static_selectorELNS0_4arch9wavefront6targetE0EEEvSG_.has_recursion, 0
	.set _ZN7rocprim17ROCPRIM_400000_NS6detail17trampoline_kernelINS0_14default_configENS1_35radix_sort_onesweep_config_selectorIfNS0_10empty_typeEEEZZNS1_29radix_sort_onesweep_iterationIS3_Lb1EPKfPfPS5_SB_mNS0_19identity_decomposerENS1_16block_id_wrapperIjLb0EEEEE10hipError_tT1_PNSt15iterator_traitsISG_E10value_typeET2_T3_PNSH_ISM_E10value_typeET4_T5_PSR_SS_PNS1_23onesweep_lookback_stateEbbT6_jjT7_P12ihipStream_tbENKUlT_T0_SG_SL_E_clISA_SA_SB_SB_EEDaSZ_S10_SG_SL_EUlSZ_E_NS1_11comp_targetILNS1_3genE0ELNS1_11target_archE4294967295ELNS1_3gpuE0ELNS1_3repE0EEENS1_47radix_sort_onesweep_sort_config_static_selectorELNS0_4arch9wavefront6targetE0EEEvSG_.has_indirect_call, 0
	.section	.AMDGPU.csdata,"",@progbits
; Kernel info:
; codeLenInByte = 17116
; TotalNumSgprs: 30
; NumVgprs: 65
; ScratchSize: 0
; MemoryBound: 0
; FloatMode: 240
; IeeeMode: 1
; LDSByteSize: 18504 bytes/workgroup (compile time only)
; SGPRBlocks: 0
; VGPRBlocks: 4
; NumSGPRsForWavesPerEU: 30
; NumVGPRsForWavesPerEU: 65
; NamedBarCnt: 0
; Occupancy: 12
; WaveLimiterHint : 1
; COMPUTE_PGM_RSRC2:SCRATCH_EN: 0
; COMPUTE_PGM_RSRC2:USER_SGPR: 2
; COMPUTE_PGM_RSRC2:TRAP_HANDLER: 0
; COMPUTE_PGM_RSRC2:TGID_X_EN: 1
; COMPUTE_PGM_RSRC2:TGID_Y_EN: 0
; COMPUTE_PGM_RSRC2:TGID_Z_EN: 0
; COMPUTE_PGM_RSRC2:TIDIG_COMP_CNT: 2
	.section	.text._ZN7rocprim17ROCPRIM_400000_NS6detail17trampoline_kernelINS0_14default_configENS1_35radix_sort_onesweep_config_selectorIfNS0_10empty_typeEEEZZNS1_29radix_sort_onesweep_iterationIS3_Lb1EPKfPfPS5_SB_mNS0_19identity_decomposerENS1_16block_id_wrapperIjLb0EEEEE10hipError_tT1_PNSt15iterator_traitsISG_E10value_typeET2_T3_PNSH_ISM_E10value_typeET4_T5_PSR_SS_PNS1_23onesweep_lookback_stateEbbT6_jjT7_P12ihipStream_tbENKUlT_T0_SG_SL_E_clISA_SA_SB_SB_EEDaSZ_S10_SG_SL_EUlSZ_E_NS1_11comp_targetILNS1_3genE6ELNS1_11target_archE950ELNS1_3gpuE13ELNS1_3repE0EEENS1_47radix_sort_onesweep_sort_config_static_selectorELNS0_4arch9wavefront6targetE0EEEvSG_,"axG",@progbits,_ZN7rocprim17ROCPRIM_400000_NS6detail17trampoline_kernelINS0_14default_configENS1_35radix_sort_onesweep_config_selectorIfNS0_10empty_typeEEEZZNS1_29radix_sort_onesweep_iterationIS3_Lb1EPKfPfPS5_SB_mNS0_19identity_decomposerENS1_16block_id_wrapperIjLb0EEEEE10hipError_tT1_PNSt15iterator_traitsISG_E10value_typeET2_T3_PNSH_ISM_E10value_typeET4_T5_PSR_SS_PNS1_23onesweep_lookback_stateEbbT6_jjT7_P12ihipStream_tbENKUlT_T0_SG_SL_E_clISA_SA_SB_SB_EEDaSZ_S10_SG_SL_EUlSZ_E_NS1_11comp_targetILNS1_3genE6ELNS1_11target_archE950ELNS1_3gpuE13ELNS1_3repE0EEENS1_47radix_sort_onesweep_sort_config_static_selectorELNS0_4arch9wavefront6targetE0EEEvSG_,comdat
	.protected	_ZN7rocprim17ROCPRIM_400000_NS6detail17trampoline_kernelINS0_14default_configENS1_35radix_sort_onesweep_config_selectorIfNS0_10empty_typeEEEZZNS1_29radix_sort_onesweep_iterationIS3_Lb1EPKfPfPS5_SB_mNS0_19identity_decomposerENS1_16block_id_wrapperIjLb0EEEEE10hipError_tT1_PNSt15iterator_traitsISG_E10value_typeET2_T3_PNSH_ISM_E10value_typeET4_T5_PSR_SS_PNS1_23onesweep_lookback_stateEbbT6_jjT7_P12ihipStream_tbENKUlT_T0_SG_SL_E_clISA_SA_SB_SB_EEDaSZ_S10_SG_SL_EUlSZ_E_NS1_11comp_targetILNS1_3genE6ELNS1_11target_archE950ELNS1_3gpuE13ELNS1_3repE0EEENS1_47radix_sort_onesweep_sort_config_static_selectorELNS0_4arch9wavefront6targetE0EEEvSG_ ; -- Begin function _ZN7rocprim17ROCPRIM_400000_NS6detail17trampoline_kernelINS0_14default_configENS1_35radix_sort_onesweep_config_selectorIfNS0_10empty_typeEEEZZNS1_29radix_sort_onesweep_iterationIS3_Lb1EPKfPfPS5_SB_mNS0_19identity_decomposerENS1_16block_id_wrapperIjLb0EEEEE10hipError_tT1_PNSt15iterator_traitsISG_E10value_typeET2_T3_PNSH_ISM_E10value_typeET4_T5_PSR_SS_PNS1_23onesweep_lookback_stateEbbT6_jjT7_P12ihipStream_tbENKUlT_T0_SG_SL_E_clISA_SA_SB_SB_EEDaSZ_S10_SG_SL_EUlSZ_E_NS1_11comp_targetILNS1_3genE6ELNS1_11target_archE950ELNS1_3gpuE13ELNS1_3repE0EEENS1_47radix_sort_onesweep_sort_config_static_selectorELNS0_4arch9wavefront6targetE0EEEvSG_
	.globl	_ZN7rocprim17ROCPRIM_400000_NS6detail17trampoline_kernelINS0_14default_configENS1_35radix_sort_onesweep_config_selectorIfNS0_10empty_typeEEEZZNS1_29radix_sort_onesweep_iterationIS3_Lb1EPKfPfPS5_SB_mNS0_19identity_decomposerENS1_16block_id_wrapperIjLb0EEEEE10hipError_tT1_PNSt15iterator_traitsISG_E10value_typeET2_T3_PNSH_ISM_E10value_typeET4_T5_PSR_SS_PNS1_23onesweep_lookback_stateEbbT6_jjT7_P12ihipStream_tbENKUlT_T0_SG_SL_E_clISA_SA_SB_SB_EEDaSZ_S10_SG_SL_EUlSZ_E_NS1_11comp_targetILNS1_3genE6ELNS1_11target_archE950ELNS1_3gpuE13ELNS1_3repE0EEENS1_47radix_sort_onesweep_sort_config_static_selectorELNS0_4arch9wavefront6targetE0EEEvSG_
	.p2align	8
	.type	_ZN7rocprim17ROCPRIM_400000_NS6detail17trampoline_kernelINS0_14default_configENS1_35radix_sort_onesweep_config_selectorIfNS0_10empty_typeEEEZZNS1_29radix_sort_onesweep_iterationIS3_Lb1EPKfPfPS5_SB_mNS0_19identity_decomposerENS1_16block_id_wrapperIjLb0EEEEE10hipError_tT1_PNSt15iterator_traitsISG_E10value_typeET2_T3_PNSH_ISM_E10value_typeET4_T5_PSR_SS_PNS1_23onesweep_lookback_stateEbbT6_jjT7_P12ihipStream_tbENKUlT_T0_SG_SL_E_clISA_SA_SB_SB_EEDaSZ_S10_SG_SL_EUlSZ_E_NS1_11comp_targetILNS1_3genE6ELNS1_11target_archE950ELNS1_3gpuE13ELNS1_3repE0EEENS1_47radix_sort_onesweep_sort_config_static_selectorELNS0_4arch9wavefront6targetE0EEEvSG_,@function
_ZN7rocprim17ROCPRIM_400000_NS6detail17trampoline_kernelINS0_14default_configENS1_35radix_sort_onesweep_config_selectorIfNS0_10empty_typeEEEZZNS1_29radix_sort_onesweep_iterationIS3_Lb1EPKfPfPS5_SB_mNS0_19identity_decomposerENS1_16block_id_wrapperIjLb0EEEEE10hipError_tT1_PNSt15iterator_traitsISG_E10value_typeET2_T3_PNSH_ISM_E10value_typeET4_T5_PSR_SS_PNS1_23onesweep_lookback_stateEbbT6_jjT7_P12ihipStream_tbENKUlT_T0_SG_SL_E_clISA_SA_SB_SB_EEDaSZ_S10_SG_SL_EUlSZ_E_NS1_11comp_targetILNS1_3genE6ELNS1_11target_archE950ELNS1_3gpuE13ELNS1_3repE0EEENS1_47radix_sort_onesweep_sort_config_static_selectorELNS0_4arch9wavefront6targetE0EEEvSG_: ; @_ZN7rocprim17ROCPRIM_400000_NS6detail17trampoline_kernelINS0_14default_configENS1_35radix_sort_onesweep_config_selectorIfNS0_10empty_typeEEEZZNS1_29radix_sort_onesweep_iterationIS3_Lb1EPKfPfPS5_SB_mNS0_19identity_decomposerENS1_16block_id_wrapperIjLb0EEEEE10hipError_tT1_PNSt15iterator_traitsISG_E10value_typeET2_T3_PNSH_ISM_E10value_typeET4_T5_PSR_SS_PNS1_23onesweep_lookback_stateEbbT6_jjT7_P12ihipStream_tbENKUlT_T0_SG_SL_E_clISA_SA_SB_SB_EEDaSZ_S10_SG_SL_EUlSZ_E_NS1_11comp_targetILNS1_3genE6ELNS1_11target_archE950ELNS1_3gpuE13ELNS1_3repE0EEENS1_47radix_sort_onesweep_sort_config_static_selectorELNS0_4arch9wavefront6targetE0EEEvSG_
; %bb.0:
	.section	.rodata,"a",@progbits
	.p2align	6, 0x0
	.amdhsa_kernel _ZN7rocprim17ROCPRIM_400000_NS6detail17trampoline_kernelINS0_14default_configENS1_35radix_sort_onesweep_config_selectorIfNS0_10empty_typeEEEZZNS1_29radix_sort_onesweep_iterationIS3_Lb1EPKfPfPS5_SB_mNS0_19identity_decomposerENS1_16block_id_wrapperIjLb0EEEEE10hipError_tT1_PNSt15iterator_traitsISG_E10value_typeET2_T3_PNSH_ISM_E10value_typeET4_T5_PSR_SS_PNS1_23onesweep_lookback_stateEbbT6_jjT7_P12ihipStream_tbENKUlT_T0_SG_SL_E_clISA_SA_SB_SB_EEDaSZ_S10_SG_SL_EUlSZ_E_NS1_11comp_targetILNS1_3genE6ELNS1_11target_archE950ELNS1_3gpuE13ELNS1_3repE0EEENS1_47radix_sort_onesweep_sort_config_static_selectorELNS0_4arch9wavefront6targetE0EEEvSG_
		.amdhsa_group_segment_fixed_size 0
		.amdhsa_private_segment_fixed_size 0
		.amdhsa_kernarg_size 88
		.amdhsa_user_sgpr_count 2
		.amdhsa_user_sgpr_dispatch_ptr 0
		.amdhsa_user_sgpr_queue_ptr 0
		.amdhsa_user_sgpr_kernarg_segment_ptr 1
		.amdhsa_user_sgpr_dispatch_id 0
		.amdhsa_user_sgpr_kernarg_preload_length 0
		.amdhsa_user_sgpr_kernarg_preload_offset 0
		.amdhsa_user_sgpr_private_segment_size 0
		.amdhsa_wavefront_size32 1
		.amdhsa_uses_dynamic_stack 0
		.amdhsa_enable_private_segment 0
		.amdhsa_system_sgpr_workgroup_id_x 1
		.amdhsa_system_sgpr_workgroup_id_y 0
		.amdhsa_system_sgpr_workgroup_id_z 0
		.amdhsa_system_sgpr_workgroup_info 0
		.amdhsa_system_vgpr_workitem_id 0
		.amdhsa_next_free_vgpr 1
		.amdhsa_next_free_sgpr 1
		.amdhsa_named_barrier_count 0
		.amdhsa_reserve_vcc 0
		.amdhsa_float_round_mode_32 0
		.amdhsa_float_round_mode_16_64 0
		.amdhsa_float_denorm_mode_32 3
		.amdhsa_float_denorm_mode_16_64 3
		.amdhsa_fp16_overflow 0
		.amdhsa_memory_ordered 1
		.amdhsa_forward_progress 1
		.amdhsa_inst_pref_size 0
		.amdhsa_round_robin_scheduling 0
		.amdhsa_exception_fp_ieee_invalid_op 0
		.amdhsa_exception_fp_denorm_src 0
		.amdhsa_exception_fp_ieee_div_zero 0
		.amdhsa_exception_fp_ieee_overflow 0
		.amdhsa_exception_fp_ieee_underflow 0
		.amdhsa_exception_fp_ieee_inexact 0
		.amdhsa_exception_int_div_zero 0
	.end_amdhsa_kernel
	.section	.text._ZN7rocprim17ROCPRIM_400000_NS6detail17trampoline_kernelINS0_14default_configENS1_35radix_sort_onesweep_config_selectorIfNS0_10empty_typeEEEZZNS1_29radix_sort_onesweep_iterationIS3_Lb1EPKfPfPS5_SB_mNS0_19identity_decomposerENS1_16block_id_wrapperIjLb0EEEEE10hipError_tT1_PNSt15iterator_traitsISG_E10value_typeET2_T3_PNSH_ISM_E10value_typeET4_T5_PSR_SS_PNS1_23onesweep_lookback_stateEbbT6_jjT7_P12ihipStream_tbENKUlT_T0_SG_SL_E_clISA_SA_SB_SB_EEDaSZ_S10_SG_SL_EUlSZ_E_NS1_11comp_targetILNS1_3genE6ELNS1_11target_archE950ELNS1_3gpuE13ELNS1_3repE0EEENS1_47radix_sort_onesweep_sort_config_static_selectorELNS0_4arch9wavefront6targetE0EEEvSG_,"axG",@progbits,_ZN7rocprim17ROCPRIM_400000_NS6detail17trampoline_kernelINS0_14default_configENS1_35radix_sort_onesweep_config_selectorIfNS0_10empty_typeEEEZZNS1_29radix_sort_onesweep_iterationIS3_Lb1EPKfPfPS5_SB_mNS0_19identity_decomposerENS1_16block_id_wrapperIjLb0EEEEE10hipError_tT1_PNSt15iterator_traitsISG_E10value_typeET2_T3_PNSH_ISM_E10value_typeET4_T5_PSR_SS_PNS1_23onesweep_lookback_stateEbbT6_jjT7_P12ihipStream_tbENKUlT_T0_SG_SL_E_clISA_SA_SB_SB_EEDaSZ_S10_SG_SL_EUlSZ_E_NS1_11comp_targetILNS1_3genE6ELNS1_11target_archE950ELNS1_3gpuE13ELNS1_3repE0EEENS1_47radix_sort_onesweep_sort_config_static_selectorELNS0_4arch9wavefront6targetE0EEEvSG_,comdat
.Lfunc_end1347:
	.size	_ZN7rocprim17ROCPRIM_400000_NS6detail17trampoline_kernelINS0_14default_configENS1_35radix_sort_onesweep_config_selectorIfNS0_10empty_typeEEEZZNS1_29radix_sort_onesweep_iterationIS3_Lb1EPKfPfPS5_SB_mNS0_19identity_decomposerENS1_16block_id_wrapperIjLb0EEEEE10hipError_tT1_PNSt15iterator_traitsISG_E10value_typeET2_T3_PNSH_ISM_E10value_typeET4_T5_PSR_SS_PNS1_23onesweep_lookback_stateEbbT6_jjT7_P12ihipStream_tbENKUlT_T0_SG_SL_E_clISA_SA_SB_SB_EEDaSZ_S10_SG_SL_EUlSZ_E_NS1_11comp_targetILNS1_3genE6ELNS1_11target_archE950ELNS1_3gpuE13ELNS1_3repE0EEENS1_47radix_sort_onesweep_sort_config_static_selectorELNS0_4arch9wavefront6targetE0EEEvSG_, .Lfunc_end1347-_ZN7rocprim17ROCPRIM_400000_NS6detail17trampoline_kernelINS0_14default_configENS1_35radix_sort_onesweep_config_selectorIfNS0_10empty_typeEEEZZNS1_29radix_sort_onesweep_iterationIS3_Lb1EPKfPfPS5_SB_mNS0_19identity_decomposerENS1_16block_id_wrapperIjLb0EEEEE10hipError_tT1_PNSt15iterator_traitsISG_E10value_typeET2_T3_PNSH_ISM_E10value_typeET4_T5_PSR_SS_PNS1_23onesweep_lookback_stateEbbT6_jjT7_P12ihipStream_tbENKUlT_T0_SG_SL_E_clISA_SA_SB_SB_EEDaSZ_S10_SG_SL_EUlSZ_E_NS1_11comp_targetILNS1_3genE6ELNS1_11target_archE950ELNS1_3gpuE13ELNS1_3repE0EEENS1_47radix_sort_onesweep_sort_config_static_selectorELNS0_4arch9wavefront6targetE0EEEvSG_
                                        ; -- End function
	.set _ZN7rocprim17ROCPRIM_400000_NS6detail17trampoline_kernelINS0_14default_configENS1_35radix_sort_onesweep_config_selectorIfNS0_10empty_typeEEEZZNS1_29radix_sort_onesweep_iterationIS3_Lb1EPKfPfPS5_SB_mNS0_19identity_decomposerENS1_16block_id_wrapperIjLb0EEEEE10hipError_tT1_PNSt15iterator_traitsISG_E10value_typeET2_T3_PNSH_ISM_E10value_typeET4_T5_PSR_SS_PNS1_23onesweep_lookback_stateEbbT6_jjT7_P12ihipStream_tbENKUlT_T0_SG_SL_E_clISA_SA_SB_SB_EEDaSZ_S10_SG_SL_EUlSZ_E_NS1_11comp_targetILNS1_3genE6ELNS1_11target_archE950ELNS1_3gpuE13ELNS1_3repE0EEENS1_47radix_sort_onesweep_sort_config_static_selectorELNS0_4arch9wavefront6targetE0EEEvSG_.num_vgpr, 0
	.set _ZN7rocprim17ROCPRIM_400000_NS6detail17trampoline_kernelINS0_14default_configENS1_35radix_sort_onesweep_config_selectorIfNS0_10empty_typeEEEZZNS1_29radix_sort_onesweep_iterationIS3_Lb1EPKfPfPS5_SB_mNS0_19identity_decomposerENS1_16block_id_wrapperIjLb0EEEEE10hipError_tT1_PNSt15iterator_traitsISG_E10value_typeET2_T3_PNSH_ISM_E10value_typeET4_T5_PSR_SS_PNS1_23onesweep_lookback_stateEbbT6_jjT7_P12ihipStream_tbENKUlT_T0_SG_SL_E_clISA_SA_SB_SB_EEDaSZ_S10_SG_SL_EUlSZ_E_NS1_11comp_targetILNS1_3genE6ELNS1_11target_archE950ELNS1_3gpuE13ELNS1_3repE0EEENS1_47radix_sort_onesweep_sort_config_static_selectorELNS0_4arch9wavefront6targetE0EEEvSG_.num_agpr, 0
	.set _ZN7rocprim17ROCPRIM_400000_NS6detail17trampoline_kernelINS0_14default_configENS1_35radix_sort_onesweep_config_selectorIfNS0_10empty_typeEEEZZNS1_29radix_sort_onesweep_iterationIS3_Lb1EPKfPfPS5_SB_mNS0_19identity_decomposerENS1_16block_id_wrapperIjLb0EEEEE10hipError_tT1_PNSt15iterator_traitsISG_E10value_typeET2_T3_PNSH_ISM_E10value_typeET4_T5_PSR_SS_PNS1_23onesweep_lookback_stateEbbT6_jjT7_P12ihipStream_tbENKUlT_T0_SG_SL_E_clISA_SA_SB_SB_EEDaSZ_S10_SG_SL_EUlSZ_E_NS1_11comp_targetILNS1_3genE6ELNS1_11target_archE950ELNS1_3gpuE13ELNS1_3repE0EEENS1_47radix_sort_onesweep_sort_config_static_selectorELNS0_4arch9wavefront6targetE0EEEvSG_.numbered_sgpr, 0
	.set _ZN7rocprim17ROCPRIM_400000_NS6detail17trampoline_kernelINS0_14default_configENS1_35radix_sort_onesweep_config_selectorIfNS0_10empty_typeEEEZZNS1_29radix_sort_onesweep_iterationIS3_Lb1EPKfPfPS5_SB_mNS0_19identity_decomposerENS1_16block_id_wrapperIjLb0EEEEE10hipError_tT1_PNSt15iterator_traitsISG_E10value_typeET2_T3_PNSH_ISM_E10value_typeET4_T5_PSR_SS_PNS1_23onesweep_lookback_stateEbbT6_jjT7_P12ihipStream_tbENKUlT_T0_SG_SL_E_clISA_SA_SB_SB_EEDaSZ_S10_SG_SL_EUlSZ_E_NS1_11comp_targetILNS1_3genE6ELNS1_11target_archE950ELNS1_3gpuE13ELNS1_3repE0EEENS1_47radix_sort_onesweep_sort_config_static_selectorELNS0_4arch9wavefront6targetE0EEEvSG_.num_named_barrier, 0
	.set _ZN7rocprim17ROCPRIM_400000_NS6detail17trampoline_kernelINS0_14default_configENS1_35radix_sort_onesweep_config_selectorIfNS0_10empty_typeEEEZZNS1_29radix_sort_onesweep_iterationIS3_Lb1EPKfPfPS5_SB_mNS0_19identity_decomposerENS1_16block_id_wrapperIjLb0EEEEE10hipError_tT1_PNSt15iterator_traitsISG_E10value_typeET2_T3_PNSH_ISM_E10value_typeET4_T5_PSR_SS_PNS1_23onesweep_lookback_stateEbbT6_jjT7_P12ihipStream_tbENKUlT_T0_SG_SL_E_clISA_SA_SB_SB_EEDaSZ_S10_SG_SL_EUlSZ_E_NS1_11comp_targetILNS1_3genE6ELNS1_11target_archE950ELNS1_3gpuE13ELNS1_3repE0EEENS1_47radix_sort_onesweep_sort_config_static_selectorELNS0_4arch9wavefront6targetE0EEEvSG_.private_seg_size, 0
	.set _ZN7rocprim17ROCPRIM_400000_NS6detail17trampoline_kernelINS0_14default_configENS1_35radix_sort_onesweep_config_selectorIfNS0_10empty_typeEEEZZNS1_29radix_sort_onesweep_iterationIS3_Lb1EPKfPfPS5_SB_mNS0_19identity_decomposerENS1_16block_id_wrapperIjLb0EEEEE10hipError_tT1_PNSt15iterator_traitsISG_E10value_typeET2_T3_PNSH_ISM_E10value_typeET4_T5_PSR_SS_PNS1_23onesweep_lookback_stateEbbT6_jjT7_P12ihipStream_tbENKUlT_T0_SG_SL_E_clISA_SA_SB_SB_EEDaSZ_S10_SG_SL_EUlSZ_E_NS1_11comp_targetILNS1_3genE6ELNS1_11target_archE950ELNS1_3gpuE13ELNS1_3repE0EEENS1_47radix_sort_onesweep_sort_config_static_selectorELNS0_4arch9wavefront6targetE0EEEvSG_.uses_vcc, 0
	.set _ZN7rocprim17ROCPRIM_400000_NS6detail17trampoline_kernelINS0_14default_configENS1_35radix_sort_onesweep_config_selectorIfNS0_10empty_typeEEEZZNS1_29radix_sort_onesweep_iterationIS3_Lb1EPKfPfPS5_SB_mNS0_19identity_decomposerENS1_16block_id_wrapperIjLb0EEEEE10hipError_tT1_PNSt15iterator_traitsISG_E10value_typeET2_T3_PNSH_ISM_E10value_typeET4_T5_PSR_SS_PNS1_23onesweep_lookback_stateEbbT6_jjT7_P12ihipStream_tbENKUlT_T0_SG_SL_E_clISA_SA_SB_SB_EEDaSZ_S10_SG_SL_EUlSZ_E_NS1_11comp_targetILNS1_3genE6ELNS1_11target_archE950ELNS1_3gpuE13ELNS1_3repE0EEENS1_47radix_sort_onesweep_sort_config_static_selectorELNS0_4arch9wavefront6targetE0EEEvSG_.uses_flat_scratch, 0
	.set _ZN7rocprim17ROCPRIM_400000_NS6detail17trampoline_kernelINS0_14default_configENS1_35radix_sort_onesweep_config_selectorIfNS0_10empty_typeEEEZZNS1_29radix_sort_onesweep_iterationIS3_Lb1EPKfPfPS5_SB_mNS0_19identity_decomposerENS1_16block_id_wrapperIjLb0EEEEE10hipError_tT1_PNSt15iterator_traitsISG_E10value_typeET2_T3_PNSH_ISM_E10value_typeET4_T5_PSR_SS_PNS1_23onesweep_lookback_stateEbbT6_jjT7_P12ihipStream_tbENKUlT_T0_SG_SL_E_clISA_SA_SB_SB_EEDaSZ_S10_SG_SL_EUlSZ_E_NS1_11comp_targetILNS1_3genE6ELNS1_11target_archE950ELNS1_3gpuE13ELNS1_3repE0EEENS1_47radix_sort_onesweep_sort_config_static_selectorELNS0_4arch9wavefront6targetE0EEEvSG_.has_dyn_sized_stack, 0
	.set _ZN7rocprim17ROCPRIM_400000_NS6detail17trampoline_kernelINS0_14default_configENS1_35radix_sort_onesweep_config_selectorIfNS0_10empty_typeEEEZZNS1_29radix_sort_onesweep_iterationIS3_Lb1EPKfPfPS5_SB_mNS0_19identity_decomposerENS1_16block_id_wrapperIjLb0EEEEE10hipError_tT1_PNSt15iterator_traitsISG_E10value_typeET2_T3_PNSH_ISM_E10value_typeET4_T5_PSR_SS_PNS1_23onesweep_lookback_stateEbbT6_jjT7_P12ihipStream_tbENKUlT_T0_SG_SL_E_clISA_SA_SB_SB_EEDaSZ_S10_SG_SL_EUlSZ_E_NS1_11comp_targetILNS1_3genE6ELNS1_11target_archE950ELNS1_3gpuE13ELNS1_3repE0EEENS1_47radix_sort_onesweep_sort_config_static_selectorELNS0_4arch9wavefront6targetE0EEEvSG_.has_recursion, 0
	.set _ZN7rocprim17ROCPRIM_400000_NS6detail17trampoline_kernelINS0_14default_configENS1_35radix_sort_onesweep_config_selectorIfNS0_10empty_typeEEEZZNS1_29radix_sort_onesweep_iterationIS3_Lb1EPKfPfPS5_SB_mNS0_19identity_decomposerENS1_16block_id_wrapperIjLb0EEEEE10hipError_tT1_PNSt15iterator_traitsISG_E10value_typeET2_T3_PNSH_ISM_E10value_typeET4_T5_PSR_SS_PNS1_23onesweep_lookback_stateEbbT6_jjT7_P12ihipStream_tbENKUlT_T0_SG_SL_E_clISA_SA_SB_SB_EEDaSZ_S10_SG_SL_EUlSZ_E_NS1_11comp_targetILNS1_3genE6ELNS1_11target_archE950ELNS1_3gpuE13ELNS1_3repE0EEENS1_47radix_sort_onesweep_sort_config_static_selectorELNS0_4arch9wavefront6targetE0EEEvSG_.has_indirect_call, 0
	.section	.AMDGPU.csdata,"",@progbits
; Kernel info:
; codeLenInByte = 0
; TotalNumSgprs: 0
; NumVgprs: 0
; ScratchSize: 0
; MemoryBound: 0
; FloatMode: 240
; IeeeMode: 1
; LDSByteSize: 0 bytes/workgroup (compile time only)
; SGPRBlocks: 0
; VGPRBlocks: 0
; NumSGPRsForWavesPerEU: 1
; NumVGPRsForWavesPerEU: 1
; NamedBarCnt: 0
; Occupancy: 16
; WaveLimiterHint : 0
; COMPUTE_PGM_RSRC2:SCRATCH_EN: 0
; COMPUTE_PGM_RSRC2:USER_SGPR: 2
; COMPUTE_PGM_RSRC2:TRAP_HANDLER: 0
; COMPUTE_PGM_RSRC2:TGID_X_EN: 1
; COMPUTE_PGM_RSRC2:TGID_Y_EN: 0
; COMPUTE_PGM_RSRC2:TGID_Z_EN: 0
; COMPUTE_PGM_RSRC2:TIDIG_COMP_CNT: 0
	.section	.text._ZN7rocprim17ROCPRIM_400000_NS6detail17trampoline_kernelINS0_14default_configENS1_35radix_sort_onesweep_config_selectorIfNS0_10empty_typeEEEZZNS1_29radix_sort_onesweep_iterationIS3_Lb1EPKfPfPS5_SB_mNS0_19identity_decomposerENS1_16block_id_wrapperIjLb0EEEEE10hipError_tT1_PNSt15iterator_traitsISG_E10value_typeET2_T3_PNSH_ISM_E10value_typeET4_T5_PSR_SS_PNS1_23onesweep_lookback_stateEbbT6_jjT7_P12ihipStream_tbENKUlT_T0_SG_SL_E_clISA_SA_SB_SB_EEDaSZ_S10_SG_SL_EUlSZ_E_NS1_11comp_targetILNS1_3genE5ELNS1_11target_archE942ELNS1_3gpuE9ELNS1_3repE0EEENS1_47radix_sort_onesweep_sort_config_static_selectorELNS0_4arch9wavefront6targetE0EEEvSG_,"axG",@progbits,_ZN7rocprim17ROCPRIM_400000_NS6detail17trampoline_kernelINS0_14default_configENS1_35radix_sort_onesweep_config_selectorIfNS0_10empty_typeEEEZZNS1_29radix_sort_onesweep_iterationIS3_Lb1EPKfPfPS5_SB_mNS0_19identity_decomposerENS1_16block_id_wrapperIjLb0EEEEE10hipError_tT1_PNSt15iterator_traitsISG_E10value_typeET2_T3_PNSH_ISM_E10value_typeET4_T5_PSR_SS_PNS1_23onesweep_lookback_stateEbbT6_jjT7_P12ihipStream_tbENKUlT_T0_SG_SL_E_clISA_SA_SB_SB_EEDaSZ_S10_SG_SL_EUlSZ_E_NS1_11comp_targetILNS1_3genE5ELNS1_11target_archE942ELNS1_3gpuE9ELNS1_3repE0EEENS1_47radix_sort_onesweep_sort_config_static_selectorELNS0_4arch9wavefront6targetE0EEEvSG_,comdat
	.protected	_ZN7rocprim17ROCPRIM_400000_NS6detail17trampoline_kernelINS0_14default_configENS1_35radix_sort_onesweep_config_selectorIfNS0_10empty_typeEEEZZNS1_29radix_sort_onesweep_iterationIS3_Lb1EPKfPfPS5_SB_mNS0_19identity_decomposerENS1_16block_id_wrapperIjLb0EEEEE10hipError_tT1_PNSt15iterator_traitsISG_E10value_typeET2_T3_PNSH_ISM_E10value_typeET4_T5_PSR_SS_PNS1_23onesweep_lookback_stateEbbT6_jjT7_P12ihipStream_tbENKUlT_T0_SG_SL_E_clISA_SA_SB_SB_EEDaSZ_S10_SG_SL_EUlSZ_E_NS1_11comp_targetILNS1_3genE5ELNS1_11target_archE942ELNS1_3gpuE9ELNS1_3repE0EEENS1_47radix_sort_onesweep_sort_config_static_selectorELNS0_4arch9wavefront6targetE0EEEvSG_ ; -- Begin function _ZN7rocprim17ROCPRIM_400000_NS6detail17trampoline_kernelINS0_14default_configENS1_35radix_sort_onesweep_config_selectorIfNS0_10empty_typeEEEZZNS1_29radix_sort_onesweep_iterationIS3_Lb1EPKfPfPS5_SB_mNS0_19identity_decomposerENS1_16block_id_wrapperIjLb0EEEEE10hipError_tT1_PNSt15iterator_traitsISG_E10value_typeET2_T3_PNSH_ISM_E10value_typeET4_T5_PSR_SS_PNS1_23onesweep_lookback_stateEbbT6_jjT7_P12ihipStream_tbENKUlT_T0_SG_SL_E_clISA_SA_SB_SB_EEDaSZ_S10_SG_SL_EUlSZ_E_NS1_11comp_targetILNS1_3genE5ELNS1_11target_archE942ELNS1_3gpuE9ELNS1_3repE0EEENS1_47radix_sort_onesweep_sort_config_static_selectorELNS0_4arch9wavefront6targetE0EEEvSG_
	.globl	_ZN7rocprim17ROCPRIM_400000_NS6detail17trampoline_kernelINS0_14default_configENS1_35radix_sort_onesweep_config_selectorIfNS0_10empty_typeEEEZZNS1_29radix_sort_onesweep_iterationIS3_Lb1EPKfPfPS5_SB_mNS0_19identity_decomposerENS1_16block_id_wrapperIjLb0EEEEE10hipError_tT1_PNSt15iterator_traitsISG_E10value_typeET2_T3_PNSH_ISM_E10value_typeET4_T5_PSR_SS_PNS1_23onesweep_lookback_stateEbbT6_jjT7_P12ihipStream_tbENKUlT_T0_SG_SL_E_clISA_SA_SB_SB_EEDaSZ_S10_SG_SL_EUlSZ_E_NS1_11comp_targetILNS1_3genE5ELNS1_11target_archE942ELNS1_3gpuE9ELNS1_3repE0EEENS1_47radix_sort_onesweep_sort_config_static_selectorELNS0_4arch9wavefront6targetE0EEEvSG_
	.p2align	8
	.type	_ZN7rocprim17ROCPRIM_400000_NS6detail17trampoline_kernelINS0_14default_configENS1_35radix_sort_onesweep_config_selectorIfNS0_10empty_typeEEEZZNS1_29radix_sort_onesweep_iterationIS3_Lb1EPKfPfPS5_SB_mNS0_19identity_decomposerENS1_16block_id_wrapperIjLb0EEEEE10hipError_tT1_PNSt15iterator_traitsISG_E10value_typeET2_T3_PNSH_ISM_E10value_typeET4_T5_PSR_SS_PNS1_23onesweep_lookback_stateEbbT6_jjT7_P12ihipStream_tbENKUlT_T0_SG_SL_E_clISA_SA_SB_SB_EEDaSZ_S10_SG_SL_EUlSZ_E_NS1_11comp_targetILNS1_3genE5ELNS1_11target_archE942ELNS1_3gpuE9ELNS1_3repE0EEENS1_47radix_sort_onesweep_sort_config_static_selectorELNS0_4arch9wavefront6targetE0EEEvSG_,@function
_ZN7rocprim17ROCPRIM_400000_NS6detail17trampoline_kernelINS0_14default_configENS1_35radix_sort_onesweep_config_selectorIfNS0_10empty_typeEEEZZNS1_29radix_sort_onesweep_iterationIS3_Lb1EPKfPfPS5_SB_mNS0_19identity_decomposerENS1_16block_id_wrapperIjLb0EEEEE10hipError_tT1_PNSt15iterator_traitsISG_E10value_typeET2_T3_PNSH_ISM_E10value_typeET4_T5_PSR_SS_PNS1_23onesweep_lookback_stateEbbT6_jjT7_P12ihipStream_tbENKUlT_T0_SG_SL_E_clISA_SA_SB_SB_EEDaSZ_S10_SG_SL_EUlSZ_E_NS1_11comp_targetILNS1_3genE5ELNS1_11target_archE942ELNS1_3gpuE9ELNS1_3repE0EEENS1_47radix_sort_onesweep_sort_config_static_selectorELNS0_4arch9wavefront6targetE0EEEvSG_: ; @_ZN7rocprim17ROCPRIM_400000_NS6detail17trampoline_kernelINS0_14default_configENS1_35radix_sort_onesweep_config_selectorIfNS0_10empty_typeEEEZZNS1_29radix_sort_onesweep_iterationIS3_Lb1EPKfPfPS5_SB_mNS0_19identity_decomposerENS1_16block_id_wrapperIjLb0EEEEE10hipError_tT1_PNSt15iterator_traitsISG_E10value_typeET2_T3_PNSH_ISM_E10value_typeET4_T5_PSR_SS_PNS1_23onesweep_lookback_stateEbbT6_jjT7_P12ihipStream_tbENKUlT_T0_SG_SL_E_clISA_SA_SB_SB_EEDaSZ_S10_SG_SL_EUlSZ_E_NS1_11comp_targetILNS1_3genE5ELNS1_11target_archE942ELNS1_3gpuE9ELNS1_3repE0EEENS1_47radix_sort_onesweep_sort_config_static_selectorELNS0_4arch9wavefront6targetE0EEEvSG_
; %bb.0:
	.section	.rodata,"a",@progbits
	.p2align	6, 0x0
	.amdhsa_kernel _ZN7rocprim17ROCPRIM_400000_NS6detail17trampoline_kernelINS0_14default_configENS1_35radix_sort_onesweep_config_selectorIfNS0_10empty_typeEEEZZNS1_29radix_sort_onesweep_iterationIS3_Lb1EPKfPfPS5_SB_mNS0_19identity_decomposerENS1_16block_id_wrapperIjLb0EEEEE10hipError_tT1_PNSt15iterator_traitsISG_E10value_typeET2_T3_PNSH_ISM_E10value_typeET4_T5_PSR_SS_PNS1_23onesweep_lookback_stateEbbT6_jjT7_P12ihipStream_tbENKUlT_T0_SG_SL_E_clISA_SA_SB_SB_EEDaSZ_S10_SG_SL_EUlSZ_E_NS1_11comp_targetILNS1_3genE5ELNS1_11target_archE942ELNS1_3gpuE9ELNS1_3repE0EEENS1_47radix_sort_onesweep_sort_config_static_selectorELNS0_4arch9wavefront6targetE0EEEvSG_
		.amdhsa_group_segment_fixed_size 0
		.amdhsa_private_segment_fixed_size 0
		.amdhsa_kernarg_size 88
		.amdhsa_user_sgpr_count 2
		.amdhsa_user_sgpr_dispatch_ptr 0
		.amdhsa_user_sgpr_queue_ptr 0
		.amdhsa_user_sgpr_kernarg_segment_ptr 1
		.amdhsa_user_sgpr_dispatch_id 0
		.amdhsa_user_sgpr_kernarg_preload_length 0
		.amdhsa_user_sgpr_kernarg_preload_offset 0
		.amdhsa_user_sgpr_private_segment_size 0
		.amdhsa_wavefront_size32 1
		.amdhsa_uses_dynamic_stack 0
		.amdhsa_enable_private_segment 0
		.amdhsa_system_sgpr_workgroup_id_x 1
		.amdhsa_system_sgpr_workgroup_id_y 0
		.amdhsa_system_sgpr_workgroup_id_z 0
		.amdhsa_system_sgpr_workgroup_info 0
		.amdhsa_system_vgpr_workitem_id 0
		.amdhsa_next_free_vgpr 1
		.amdhsa_next_free_sgpr 1
		.amdhsa_named_barrier_count 0
		.amdhsa_reserve_vcc 0
		.amdhsa_float_round_mode_32 0
		.amdhsa_float_round_mode_16_64 0
		.amdhsa_float_denorm_mode_32 3
		.amdhsa_float_denorm_mode_16_64 3
		.amdhsa_fp16_overflow 0
		.amdhsa_memory_ordered 1
		.amdhsa_forward_progress 1
		.amdhsa_inst_pref_size 0
		.amdhsa_round_robin_scheduling 0
		.amdhsa_exception_fp_ieee_invalid_op 0
		.amdhsa_exception_fp_denorm_src 0
		.amdhsa_exception_fp_ieee_div_zero 0
		.amdhsa_exception_fp_ieee_overflow 0
		.amdhsa_exception_fp_ieee_underflow 0
		.amdhsa_exception_fp_ieee_inexact 0
		.amdhsa_exception_int_div_zero 0
	.end_amdhsa_kernel
	.section	.text._ZN7rocprim17ROCPRIM_400000_NS6detail17trampoline_kernelINS0_14default_configENS1_35radix_sort_onesweep_config_selectorIfNS0_10empty_typeEEEZZNS1_29radix_sort_onesweep_iterationIS3_Lb1EPKfPfPS5_SB_mNS0_19identity_decomposerENS1_16block_id_wrapperIjLb0EEEEE10hipError_tT1_PNSt15iterator_traitsISG_E10value_typeET2_T3_PNSH_ISM_E10value_typeET4_T5_PSR_SS_PNS1_23onesweep_lookback_stateEbbT6_jjT7_P12ihipStream_tbENKUlT_T0_SG_SL_E_clISA_SA_SB_SB_EEDaSZ_S10_SG_SL_EUlSZ_E_NS1_11comp_targetILNS1_3genE5ELNS1_11target_archE942ELNS1_3gpuE9ELNS1_3repE0EEENS1_47radix_sort_onesweep_sort_config_static_selectorELNS0_4arch9wavefront6targetE0EEEvSG_,"axG",@progbits,_ZN7rocprim17ROCPRIM_400000_NS6detail17trampoline_kernelINS0_14default_configENS1_35radix_sort_onesweep_config_selectorIfNS0_10empty_typeEEEZZNS1_29radix_sort_onesweep_iterationIS3_Lb1EPKfPfPS5_SB_mNS0_19identity_decomposerENS1_16block_id_wrapperIjLb0EEEEE10hipError_tT1_PNSt15iterator_traitsISG_E10value_typeET2_T3_PNSH_ISM_E10value_typeET4_T5_PSR_SS_PNS1_23onesweep_lookback_stateEbbT6_jjT7_P12ihipStream_tbENKUlT_T0_SG_SL_E_clISA_SA_SB_SB_EEDaSZ_S10_SG_SL_EUlSZ_E_NS1_11comp_targetILNS1_3genE5ELNS1_11target_archE942ELNS1_3gpuE9ELNS1_3repE0EEENS1_47radix_sort_onesweep_sort_config_static_selectorELNS0_4arch9wavefront6targetE0EEEvSG_,comdat
.Lfunc_end1348:
	.size	_ZN7rocprim17ROCPRIM_400000_NS6detail17trampoline_kernelINS0_14default_configENS1_35radix_sort_onesweep_config_selectorIfNS0_10empty_typeEEEZZNS1_29radix_sort_onesweep_iterationIS3_Lb1EPKfPfPS5_SB_mNS0_19identity_decomposerENS1_16block_id_wrapperIjLb0EEEEE10hipError_tT1_PNSt15iterator_traitsISG_E10value_typeET2_T3_PNSH_ISM_E10value_typeET4_T5_PSR_SS_PNS1_23onesweep_lookback_stateEbbT6_jjT7_P12ihipStream_tbENKUlT_T0_SG_SL_E_clISA_SA_SB_SB_EEDaSZ_S10_SG_SL_EUlSZ_E_NS1_11comp_targetILNS1_3genE5ELNS1_11target_archE942ELNS1_3gpuE9ELNS1_3repE0EEENS1_47radix_sort_onesweep_sort_config_static_selectorELNS0_4arch9wavefront6targetE0EEEvSG_, .Lfunc_end1348-_ZN7rocprim17ROCPRIM_400000_NS6detail17trampoline_kernelINS0_14default_configENS1_35radix_sort_onesweep_config_selectorIfNS0_10empty_typeEEEZZNS1_29radix_sort_onesweep_iterationIS3_Lb1EPKfPfPS5_SB_mNS0_19identity_decomposerENS1_16block_id_wrapperIjLb0EEEEE10hipError_tT1_PNSt15iterator_traitsISG_E10value_typeET2_T3_PNSH_ISM_E10value_typeET4_T5_PSR_SS_PNS1_23onesweep_lookback_stateEbbT6_jjT7_P12ihipStream_tbENKUlT_T0_SG_SL_E_clISA_SA_SB_SB_EEDaSZ_S10_SG_SL_EUlSZ_E_NS1_11comp_targetILNS1_3genE5ELNS1_11target_archE942ELNS1_3gpuE9ELNS1_3repE0EEENS1_47radix_sort_onesweep_sort_config_static_selectorELNS0_4arch9wavefront6targetE0EEEvSG_
                                        ; -- End function
	.set _ZN7rocprim17ROCPRIM_400000_NS6detail17trampoline_kernelINS0_14default_configENS1_35radix_sort_onesweep_config_selectorIfNS0_10empty_typeEEEZZNS1_29radix_sort_onesweep_iterationIS3_Lb1EPKfPfPS5_SB_mNS0_19identity_decomposerENS1_16block_id_wrapperIjLb0EEEEE10hipError_tT1_PNSt15iterator_traitsISG_E10value_typeET2_T3_PNSH_ISM_E10value_typeET4_T5_PSR_SS_PNS1_23onesweep_lookback_stateEbbT6_jjT7_P12ihipStream_tbENKUlT_T0_SG_SL_E_clISA_SA_SB_SB_EEDaSZ_S10_SG_SL_EUlSZ_E_NS1_11comp_targetILNS1_3genE5ELNS1_11target_archE942ELNS1_3gpuE9ELNS1_3repE0EEENS1_47radix_sort_onesweep_sort_config_static_selectorELNS0_4arch9wavefront6targetE0EEEvSG_.num_vgpr, 0
	.set _ZN7rocprim17ROCPRIM_400000_NS6detail17trampoline_kernelINS0_14default_configENS1_35radix_sort_onesweep_config_selectorIfNS0_10empty_typeEEEZZNS1_29radix_sort_onesweep_iterationIS3_Lb1EPKfPfPS5_SB_mNS0_19identity_decomposerENS1_16block_id_wrapperIjLb0EEEEE10hipError_tT1_PNSt15iterator_traitsISG_E10value_typeET2_T3_PNSH_ISM_E10value_typeET4_T5_PSR_SS_PNS1_23onesweep_lookback_stateEbbT6_jjT7_P12ihipStream_tbENKUlT_T0_SG_SL_E_clISA_SA_SB_SB_EEDaSZ_S10_SG_SL_EUlSZ_E_NS1_11comp_targetILNS1_3genE5ELNS1_11target_archE942ELNS1_3gpuE9ELNS1_3repE0EEENS1_47radix_sort_onesweep_sort_config_static_selectorELNS0_4arch9wavefront6targetE0EEEvSG_.num_agpr, 0
	.set _ZN7rocprim17ROCPRIM_400000_NS6detail17trampoline_kernelINS0_14default_configENS1_35radix_sort_onesweep_config_selectorIfNS0_10empty_typeEEEZZNS1_29radix_sort_onesweep_iterationIS3_Lb1EPKfPfPS5_SB_mNS0_19identity_decomposerENS1_16block_id_wrapperIjLb0EEEEE10hipError_tT1_PNSt15iterator_traitsISG_E10value_typeET2_T3_PNSH_ISM_E10value_typeET4_T5_PSR_SS_PNS1_23onesweep_lookback_stateEbbT6_jjT7_P12ihipStream_tbENKUlT_T0_SG_SL_E_clISA_SA_SB_SB_EEDaSZ_S10_SG_SL_EUlSZ_E_NS1_11comp_targetILNS1_3genE5ELNS1_11target_archE942ELNS1_3gpuE9ELNS1_3repE0EEENS1_47radix_sort_onesweep_sort_config_static_selectorELNS0_4arch9wavefront6targetE0EEEvSG_.numbered_sgpr, 0
	.set _ZN7rocprim17ROCPRIM_400000_NS6detail17trampoline_kernelINS0_14default_configENS1_35radix_sort_onesweep_config_selectorIfNS0_10empty_typeEEEZZNS1_29radix_sort_onesweep_iterationIS3_Lb1EPKfPfPS5_SB_mNS0_19identity_decomposerENS1_16block_id_wrapperIjLb0EEEEE10hipError_tT1_PNSt15iterator_traitsISG_E10value_typeET2_T3_PNSH_ISM_E10value_typeET4_T5_PSR_SS_PNS1_23onesweep_lookback_stateEbbT6_jjT7_P12ihipStream_tbENKUlT_T0_SG_SL_E_clISA_SA_SB_SB_EEDaSZ_S10_SG_SL_EUlSZ_E_NS1_11comp_targetILNS1_3genE5ELNS1_11target_archE942ELNS1_3gpuE9ELNS1_3repE0EEENS1_47radix_sort_onesweep_sort_config_static_selectorELNS0_4arch9wavefront6targetE0EEEvSG_.num_named_barrier, 0
	.set _ZN7rocprim17ROCPRIM_400000_NS6detail17trampoline_kernelINS0_14default_configENS1_35radix_sort_onesweep_config_selectorIfNS0_10empty_typeEEEZZNS1_29radix_sort_onesweep_iterationIS3_Lb1EPKfPfPS5_SB_mNS0_19identity_decomposerENS1_16block_id_wrapperIjLb0EEEEE10hipError_tT1_PNSt15iterator_traitsISG_E10value_typeET2_T3_PNSH_ISM_E10value_typeET4_T5_PSR_SS_PNS1_23onesweep_lookback_stateEbbT6_jjT7_P12ihipStream_tbENKUlT_T0_SG_SL_E_clISA_SA_SB_SB_EEDaSZ_S10_SG_SL_EUlSZ_E_NS1_11comp_targetILNS1_3genE5ELNS1_11target_archE942ELNS1_3gpuE9ELNS1_3repE0EEENS1_47radix_sort_onesweep_sort_config_static_selectorELNS0_4arch9wavefront6targetE0EEEvSG_.private_seg_size, 0
	.set _ZN7rocprim17ROCPRIM_400000_NS6detail17trampoline_kernelINS0_14default_configENS1_35radix_sort_onesweep_config_selectorIfNS0_10empty_typeEEEZZNS1_29radix_sort_onesweep_iterationIS3_Lb1EPKfPfPS5_SB_mNS0_19identity_decomposerENS1_16block_id_wrapperIjLb0EEEEE10hipError_tT1_PNSt15iterator_traitsISG_E10value_typeET2_T3_PNSH_ISM_E10value_typeET4_T5_PSR_SS_PNS1_23onesweep_lookback_stateEbbT6_jjT7_P12ihipStream_tbENKUlT_T0_SG_SL_E_clISA_SA_SB_SB_EEDaSZ_S10_SG_SL_EUlSZ_E_NS1_11comp_targetILNS1_3genE5ELNS1_11target_archE942ELNS1_3gpuE9ELNS1_3repE0EEENS1_47radix_sort_onesweep_sort_config_static_selectorELNS0_4arch9wavefront6targetE0EEEvSG_.uses_vcc, 0
	.set _ZN7rocprim17ROCPRIM_400000_NS6detail17trampoline_kernelINS0_14default_configENS1_35radix_sort_onesweep_config_selectorIfNS0_10empty_typeEEEZZNS1_29radix_sort_onesweep_iterationIS3_Lb1EPKfPfPS5_SB_mNS0_19identity_decomposerENS1_16block_id_wrapperIjLb0EEEEE10hipError_tT1_PNSt15iterator_traitsISG_E10value_typeET2_T3_PNSH_ISM_E10value_typeET4_T5_PSR_SS_PNS1_23onesweep_lookback_stateEbbT6_jjT7_P12ihipStream_tbENKUlT_T0_SG_SL_E_clISA_SA_SB_SB_EEDaSZ_S10_SG_SL_EUlSZ_E_NS1_11comp_targetILNS1_3genE5ELNS1_11target_archE942ELNS1_3gpuE9ELNS1_3repE0EEENS1_47radix_sort_onesweep_sort_config_static_selectorELNS0_4arch9wavefront6targetE0EEEvSG_.uses_flat_scratch, 0
	.set _ZN7rocprim17ROCPRIM_400000_NS6detail17trampoline_kernelINS0_14default_configENS1_35radix_sort_onesweep_config_selectorIfNS0_10empty_typeEEEZZNS1_29radix_sort_onesweep_iterationIS3_Lb1EPKfPfPS5_SB_mNS0_19identity_decomposerENS1_16block_id_wrapperIjLb0EEEEE10hipError_tT1_PNSt15iterator_traitsISG_E10value_typeET2_T3_PNSH_ISM_E10value_typeET4_T5_PSR_SS_PNS1_23onesweep_lookback_stateEbbT6_jjT7_P12ihipStream_tbENKUlT_T0_SG_SL_E_clISA_SA_SB_SB_EEDaSZ_S10_SG_SL_EUlSZ_E_NS1_11comp_targetILNS1_3genE5ELNS1_11target_archE942ELNS1_3gpuE9ELNS1_3repE0EEENS1_47radix_sort_onesweep_sort_config_static_selectorELNS0_4arch9wavefront6targetE0EEEvSG_.has_dyn_sized_stack, 0
	.set _ZN7rocprim17ROCPRIM_400000_NS6detail17trampoline_kernelINS0_14default_configENS1_35radix_sort_onesweep_config_selectorIfNS0_10empty_typeEEEZZNS1_29radix_sort_onesweep_iterationIS3_Lb1EPKfPfPS5_SB_mNS0_19identity_decomposerENS1_16block_id_wrapperIjLb0EEEEE10hipError_tT1_PNSt15iterator_traitsISG_E10value_typeET2_T3_PNSH_ISM_E10value_typeET4_T5_PSR_SS_PNS1_23onesweep_lookback_stateEbbT6_jjT7_P12ihipStream_tbENKUlT_T0_SG_SL_E_clISA_SA_SB_SB_EEDaSZ_S10_SG_SL_EUlSZ_E_NS1_11comp_targetILNS1_3genE5ELNS1_11target_archE942ELNS1_3gpuE9ELNS1_3repE0EEENS1_47radix_sort_onesweep_sort_config_static_selectorELNS0_4arch9wavefront6targetE0EEEvSG_.has_recursion, 0
	.set _ZN7rocprim17ROCPRIM_400000_NS6detail17trampoline_kernelINS0_14default_configENS1_35radix_sort_onesweep_config_selectorIfNS0_10empty_typeEEEZZNS1_29radix_sort_onesweep_iterationIS3_Lb1EPKfPfPS5_SB_mNS0_19identity_decomposerENS1_16block_id_wrapperIjLb0EEEEE10hipError_tT1_PNSt15iterator_traitsISG_E10value_typeET2_T3_PNSH_ISM_E10value_typeET4_T5_PSR_SS_PNS1_23onesweep_lookback_stateEbbT6_jjT7_P12ihipStream_tbENKUlT_T0_SG_SL_E_clISA_SA_SB_SB_EEDaSZ_S10_SG_SL_EUlSZ_E_NS1_11comp_targetILNS1_3genE5ELNS1_11target_archE942ELNS1_3gpuE9ELNS1_3repE0EEENS1_47radix_sort_onesweep_sort_config_static_selectorELNS0_4arch9wavefront6targetE0EEEvSG_.has_indirect_call, 0
	.section	.AMDGPU.csdata,"",@progbits
; Kernel info:
; codeLenInByte = 0
; TotalNumSgprs: 0
; NumVgprs: 0
; ScratchSize: 0
; MemoryBound: 0
; FloatMode: 240
; IeeeMode: 1
; LDSByteSize: 0 bytes/workgroup (compile time only)
; SGPRBlocks: 0
; VGPRBlocks: 0
; NumSGPRsForWavesPerEU: 1
; NumVGPRsForWavesPerEU: 1
; NamedBarCnt: 0
; Occupancy: 16
; WaveLimiterHint : 0
; COMPUTE_PGM_RSRC2:SCRATCH_EN: 0
; COMPUTE_PGM_RSRC2:USER_SGPR: 2
; COMPUTE_PGM_RSRC2:TRAP_HANDLER: 0
; COMPUTE_PGM_RSRC2:TGID_X_EN: 1
; COMPUTE_PGM_RSRC2:TGID_Y_EN: 0
; COMPUTE_PGM_RSRC2:TGID_Z_EN: 0
; COMPUTE_PGM_RSRC2:TIDIG_COMP_CNT: 0
	.section	.text._ZN7rocprim17ROCPRIM_400000_NS6detail17trampoline_kernelINS0_14default_configENS1_35radix_sort_onesweep_config_selectorIfNS0_10empty_typeEEEZZNS1_29radix_sort_onesweep_iterationIS3_Lb1EPKfPfPS5_SB_mNS0_19identity_decomposerENS1_16block_id_wrapperIjLb0EEEEE10hipError_tT1_PNSt15iterator_traitsISG_E10value_typeET2_T3_PNSH_ISM_E10value_typeET4_T5_PSR_SS_PNS1_23onesweep_lookback_stateEbbT6_jjT7_P12ihipStream_tbENKUlT_T0_SG_SL_E_clISA_SA_SB_SB_EEDaSZ_S10_SG_SL_EUlSZ_E_NS1_11comp_targetILNS1_3genE2ELNS1_11target_archE906ELNS1_3gpuE6ELNS1_3repE0EEENS1_47radix_sort_onesweep_sort_config_static_selectorELNS0_4arch9wavefront6targetE0EEEvSG_,"axG",@progbits,_ZN7rocprim17ROCPRIM_400000_NS6detail17trampoline_kernelINS0_14default_configENS1_35radix_sort_onesweep_config_selectorIfNS0_10empty_typeEEEZZNS1_29radix_sort_onesweep_iterationIS3_Lb1EPKfPfPS5_SB_mNS0_19identity_decomposerENS1_16block_id_wrapperIjLb0EEEEE10hipError_tT1_PNSt15iterator_traitsISG_E10value_typeET2_T3_PNSH_ISM_E10value_typeET4_T5_PSR_SS_PNS1_23onesweep_lookback_stateEbbT6_jjT7_P12ihipStream_tbENKUlT_T0_SG_SL_E_clISA_SA_SB_SB_EEDaSZ_S10_SG_SL_EUlSZ_E_NS1_11comp_targetILNS1_3genE2ELNS1_11target_archE906ELNS1_3gpuE6ELNS1_3repE0EEENS1_47radix_sort_onesweep_sort_config_static_selectorELNS0_4arch9wavefront6targetE0EEEvSG_,comdat
	.protected	_ZN7rocprim17ROCPRIM_400000_NS6detail17trampoline_kernelINS0_14default_configENS1_35radix_sort_onesweep_config_selectorIfNS0_10empty_typeEEEZZNS1_29radix_sort_onesweep_iterationIS3_Lb1EPKfPfPS5_SB_mNS0_19identity_decomposerENS1_16block_id_wrapperIjLb0EEEEE10hipError_tT1_PNSt15iterator_traitsISG_E10value_typeET2_T3_PNSH_ISM_E10value_typeET4_T5_PSR_SS_PNS1_23onesweep_lookback_stateEbbT6_jjT7_P12ihipStream_tbENKUlT_T0_SG_SL_E_clISA_SA_SB_SB_EEDaSZ_S10_SG_SL_EUlSZ_E_NS1_11comp_targetILNS1_3genE2ELNS1_11target_archE906ELNS1_3gpuE6ELNS1_3repE0EEENS1_47radix_sort_onesweep_sort_config_static_selectorELNS0_4arch9wavefront6targetE0EEEvSG_ ; -- Begin function _ZN7rocprim17ROCPRIM_400000_NS6detail17trampoline_kernelINS0_14default_configENS1_35radix_sort_onesweep_config_selectorIfNS0_10empty_typeEEEZZNS1_29radix_sort_onesweep_iterationIS3_Lb1EPKfPfPS5_SB_mNS0_19identity_decomposerENS1_16block_id_wrapperIjLb0EEEEE10hipError_tT1_PNSt15iterator_traitsISG_E10value_typeET2_T3_PNSH_ISM_E10value_typeET4_T5_PSR_SS_PNS1_23onesweep_lookback_stateEbbT6_jjT7_P12ihipStream_tbENKUlT_T0_SG_SL_E_clISA_SA_SB_SB_EEDaSZ_S10_SG_SL_EUlSZ_E_NS1_11comp_targetILNS1_3genE2ELNS1_11target_archE906ELNS1_3gpuE6ELNS1_3repE0EEENS1_47radix_sort_onesweep_sort_config_static_selectorELNS0_4arch9wavefront6targetE0EEEvSG_
	.globl	_ZN7rocprim17ROCPRIM_400000_NS6detail17trampoline_kernelINS0_14default_configENS1_35radix_sort_onesweep_config_selectorIfNS0_10empty_typeEEEZZNS1_29radix_sort_onesweep_iterationIS3_Lb1EPKfPfPS5_SB_mNS0_19identity_decomposerENS1_16block_id_wrapperIjLb0EEEEE10hipError_tT1_PNSt15iterator_traitsISG_E10value_typeET2_T3_PNSH_ISM_E10value_typeET4_T5_PSR_SS_PNS1_23onesweep_lookback_stateEbbT6_jjT7_P12ihipStream_tbENKUlT_T0_SG_SL_E_clISA_SA_SB_SB_EEDaSZ_S10_SG_SL_EUlSZ_E_NS1_11comp_targetILNS1_3genE2ELNS1_11target_archE906ELNS1_3gpuE6ELNS1_3repE0EEENS1_47radix_sort_onesweep_sort_config_static_selectorELNS0_4arch9wavefront6targetE0EEEvSG_
	.p2align	8
	.type	_ZN7rocprim17ROCPRIM_400000_NS6detail17trampoline_kernelINS0_14default_configENS1_35radix_sort_onesweep_config_selectorIfNS0_10empty_typeEEEZZNS1_29radix_sort_onesweep_iterationIS3_Lb1EPKfPfPS5_SB_mNS0_19identity_decomposerENS1_16block_id_wrapperIjLb0EEEEE10hipError_tT1_PNSt15iterator_traitsISG_E10value_typeET2_T3_PNSH_ISM_E10value_typeET4_T5_PSR_SS_PNS1_23onesweep_lookback_stateEbbT6_jjT7_P12ihipStream_tbENKUlT_T0_SG_SL_E_clISA_SA_SB_SB_EEDaSZ_S10_SG_SL_EUlSZ_E_NS1_11comp_targetILNS1_3genE2ELNS1_11target_archE906ELNS1_3gpuE6ELNS1_3repE0EEENS1_47radix_sort_onesweep_sort_config_static_selectorELNS0_4arch9wavefront6targetE0EEEvSG_,@function
_ZN7rocprim17ROCPRIM_400000_NS6detail17trampoline_kernelINS0_14default_configENS1_35radix_sort_onesweep_config_selectorIfNS0_10empty_typeEEEZZNS1_29radix_sort_onesweep_iterationIS3_Lb1EPKfPfPS5_SB_mNS0_19identity_decomposerENS1_16block_id_wrapperIjLb0EEEEE10hipError_tT1_PNSt15iterator_traitsISG_E10value_typeET2_T3_PNSH_ISM_E10value_typeET4_T5_PSR_SS_PNS1_23onesweep_lookback_stateEbbT6_jjT7_P12ihipStream_tbENKUlT_T0_SG_SL_E_clISA_SA_SB_SB_EEDaSZ_S10_SG_SL_EUlSZ_E_NS1_11comp_targetILNS1_3genE2ELNS1_11target_archE906ELNS1_3gpuE6ELNS1_3repE0EEENS1_47radix_sort_onesweep_sort_config_static_selectorELNS0_4arch9wavefront6targetE0EEEvSG_: ; @_ZN7rocprim17ROCPRIM_400000_NS6detail17trampoline_kernelINS0_14default_configENS1_35radix_sort_onesweep_config_selectorIfNS0_10empty_typeEEEZZNS1_29radix_sort_onesweep_iterationIS3_Lb1EPKfPfPS5_SB_mNS0_19identity_decomposerENS1_16block_id_wrapperIjLb0EEEEE10hipError_tT1_PNSt15iterator_traitsISG_E10value_typeET2_T3_PNSH_ISM_E10value_typeET4_T5_PSR_SS_PNS1_23onesweep_lookback_stateEbbT6_jjT7_P12ihipStream_tbENKUlT_T0_SG_SL_E_clISA_SA_SB_SB_EEDaSZ_S10_SG_SL_EUlSZ_E_NS1_11comp_targetILNS1_3genE2ELNS1_11target_archE906ELNS1_3gpuE6ELNS1_3repE0EEENS1_47radix_sort_onesweep_sort_config_static_selectorELNS0_4arch9wavefront6targetE0EEEvSG_
; %bb.0:
	.section	.rodata,"a",@progbits
	.p2align	6, 0x0
	.amdhsa_kernel _ZN7rocprim17ROCPRIM_400000_NS6detail17trampoline_kernelINS0_14default_configENS1_35radix_sort_onesweep_config_selectorIfNS0_10empty_typeEEEZZNS1_29radix_sort_onesweep_iterationIS3_Lb1EPKfPfPS5_SB_mNS0_19identity_decomposerENS1_16block_id_wrapperIjLb0EEEEE10hipError_tT1_PNSt15iterator_traitsISG_E10value_typeET2_T3_PNSH_ISM_E10value_typeET4_T5_PSR_SS_PNS1_23onesweep_lookback_stateEbbT6_jjT7_P12ihipStream_tbENKUlT_T0_SG_SL_E_clISA_SA_SB_SB_EEDaSZ_S10_SG_SL_EUlSZ_E_NS1_11comp_targetILNS1_3genE2ELNS1_11target_archE906ELNS1_3gpuE6ELNS1_3repE0EEENS1_47radix_sort_onesweep_sort_config_static_selectorELNS0_4arch9wavefront6targetE0EEEvSG_
		.amdhsa_group_segment_fixed_size 0
		.amdhsa_private_segment_fixed_size 0
		.amdhsa_kernarg_size 88
		.amdhsa_user_sgpr_count 2
		.amdhsa_user_sgpr_dispatch_ptr 0
		.amdhsa_user_sgpr_queue_ptr 0
		.amdhsa_user_sgpr_kernarg_segment_ptr 1
		.amdhsa_user_sgpr_dispatch_id 0
		.amdhsa_user_sgpr_kernarg_preload_length 0
		.amdhsa_user_sgpr_kernarg_preload_offset 0
		.amdhsa_user_sgpr_private_segment_size 0
		.amdhsa_wavefront_size32 1
		.amdhsa_uses_dynamic_stack 0
		.amdhsa_enable_private_segment 0
		.amdhsa_system_sgpr_workgroup_id_x 1
		.amdhsa_system_sgpr_workgroup_id_y 0
		.amdhsa_system_sgpr_workgroup_id_z 0
		.amdhsa_system_sgpr_workgroup_info 0
		.amdhsa_system_vgpr_workitem_id 0
		.amdhsa_next_free_vgpr 1
		.amdhsa_next_free_sgpr 1
		.amdhsa_named_barrier_count 0
		.amdhsa_reserve_vcc 0
		.amdhsa_float_round_mode_32 0
		.amdhsa_float_round_mode_16_64 0
		.amdhsa_float_denorm_mode_32 3
		.amdhsa_float_denorm_mode_16_64 3
		.amdhsa_fp16_overflow 0
		.amdhsa_memory_ordered 1
		.amdhsa_forward_progress 1
		.amdhsa_inst_pref_size 0
		.amdhsa_round_robin_scheduling 0
		.amdhsa_exception_fp_ieee_invalid_op 0
		.amdhsa_exception_fp_denorm_src 0
		.amdhsa_exception_fp_ieee_div_zero 0
		.amdhsa_exception_fp_ieee_overflow 0
		.amdhsa_exception_fp_ieee_underflow 0
		.amdhsa_exception_fp_ieee_inexact 0
		.amdhsa_exception_int_div_zero 0
	.end_amdhsa_kernel
	.section	.text._ZN7rocprim17ROCPRIM_400000_NS6detail17trampoline_kernelINS0_14default_configENS1_35radix_sort_onesweep_config_selectorIfNS0_10empty_typeEEEZZNS1_29radix_sort_onesweep_iterationIS3_Lb1EPKfPfPS5_SB_mNS0_19identity_decomposerENS1_16block_id_wrapperIjLb0EEEEE10hipError_tT1_PNSt15iterator_traitsISG_E10value_typeET2_T3_PNSH_ISM_E10value_typeET4_T5_PSR_SS_PNS1_23onesweep_lookback_stateEbbT6_jjT7_P12ihipStream_tbENKUlT_T0_SG_SL_E_clISA_SA_SB_SB_EEDaSZ_S10_SG_SL_EUlSZ_E_NS1_11comp_targetILNS1_3genE2ELNS1_11target_archE906ELNS1_3gpuE6ELNS1_3repE0EEENS1_47radix_sort_onesweep_sort_config_static_selectorELNS0_4arch9wavefront6targetE0EEEvSG_,"axG",@progbits,_ZN7rocprim17ROCPRIM_400000_NS6detail17trampoline_kernelINS0_14default_configENS1_35radix_sort_onesweep_config_selectorIfNS0_10empty_typeEEEZZNS1_29radix_sort_onesweep_iterationIS3_Lb1EPKfPfPS5_SB_mNS0_19identity_decomposerENS1_16block_id_wrapperIjLb0EEEEE10hipError_tT1_PNSt15iterator_traitsISG_E10value_typeET2_T3_PNSH_ISM_E10value_typeET4_T5_PSR_SS_PNS1_23onesweep_lookback_stateEbbT6_jjT7_P12ihipStream_tbENKUlT_T0_SG_SL_E_clISA_SA_SB_SB_EEDaSZ_S10_SG_SL_EUlSZ_E_NS1_11comp_targetILNS1_3genE2ELNS1_11target_archE906ELNS1_3gpuE6ELNS1_3repE0EEENS1_47radix_sort_onesweep_sort_config_static_selectorELNS0_4arch9wavefront6targetE0EEEvSG_,comdat
.Lfunc_end1349:
	.size	_ZN7rocprim17ROCPRIM_400000_NS6detail17trampoline_kernelINS0_14default_configENS1_35radix_sort_onesweep_config_selectorIfNS0_10empty_typeEEEZZNS1_29radix_sort_onesweep_iterationIS3_Lb1EPKfPfPS5_SB_mNS0_19identity_decomposerENS1_16block_id_wrapperIjLb0EEEEE10hipError_tT1_PNSt15iterator_traitsISG_E10value_typeET2_T3_PNSH_ISM_E10value_typeET4_T5_PSR_SS_PNS1_23onesweep_lookback_stateEbbT6_jjT7_P12ihipStream_tbENKUlT_T0_SG_SL_E_clISA_SA_SB_SB_EEDaSZ_S10_SG_SL_EUlSZ_E_NS1_11comp_targetILNS1_3genE2ELNS1_11target_archE906ELNS1_3gpuE6ELNS1_3repE0EEENS1_47radix_sort_onesweep_sort_config_static_selectorELNS0_4arch9wavefront6targetE0EEEvSG_, .Lfunc_end1349-_ZN7rocprim17ROCPRIM_400000_NS6detail17trampoline_kernelINS0_14default_configENS1_35radix_sort_onesweep_config_selectorIfNS0_10empty_typeEEEZZNS1_29radix_sort_onesweep_iterationIS3_Lb1EPKfPfPS5_SB_mNS0_19identity_decomposerENS1_16block_id_wrapperIjLb0EEEEE10hipError_tT1_PNSt15iterator_traitsISG_E10value_typeET2_T3_PNSH_ISM_E10value_typeET4_T5_PSR_SS_PNS1_23onesweep_lookback_stateEbbT6_jjT7_P12ihipStream_tbENKUlT_T0_SG_SL_E_clISA_SA_SB_SB_EEDaSZ_S10_SG_SL_EUlSZ_E_NS1_11comp_targetILNS1_3genE2ELNS1_11target_archE906ELNS1_3gpuE6ELNS1_3repE0EEENS1_47radix_sort_onesweep_sort_config_static_selectorELNS0_4arch9wavefront6targetE0EEEvSG_
                                        ; -- End function
	.set _ZN7rocprim17ROCPRIM_400000_NS6detail17trampoline_kernelINS0_14default_configENS1_35radix_sort_onesweep_config_selectorIfNS0_10empty_typeEEEZZNS1_29radix_sort_onesweep_iterationIS3_Lb1EPKfPfPS5_SB_mNS0_19identity_decomposerENS1_16block_id_wrapperIjLb0EEEEE10hipError_tT1_PNSt15iterator_traitsISG_E10value_typeET2_T3_PNSH_ISM_E10value_typeET4_T5_PSR_SS_PNS1_23onesweep_lookback_stateEbbT6_jjT7_P12ihipStream_tbENKUlT_T0_SG_SL_E_clISA_SA_SB_SB_EEDaSZ_S10_SG_SL_EUlSZ_E_NS1_11comp_targetILNS1_3genE2ELNS1_11target_archE906ELNS1_3gpuE6ELNS1_3repE0EEENS1_47radix_sort_onesweep_sort_config_static_selectorELNS0_4arch9wavefront6targetE0EEEvSG_.num_vgpr, 0
	.set _ZN7rocprim17ROCPRIM_400000_NS6detail17trampoline_kernelINS0_14default_configENS1_35radix_sort_onesweep_config_selectorIfNS0_10empty_typeEEEZZNS1_29radix_sort_onesweep_iterationIS3_Lb1EPKfPfPS5_SB_mNS0_19identity_decomposerENS1_16block_id_wrapperIjLb0EEEEE10hipError_tT1_PNSt15iterator_traitsISG_E10value_typeET2_T3_PNSH_ISM_E10value_typeET4_T5_PSR_SS_PNS1_23onesweep_lookback_stateEbbT6_jjT7_P12ihipStream_tbENKUlT_T0_SG_SL_E_clISA_SA_SB_SB_EEDaSZ_S10_SG_SL_EUlSZ_E_NS1_11comp_targetILNS1_3genE2ELNS1_11target_archE906ELNS1_3gpuE6ELNS1_3repE0EEENS1_47radix_sort_onesweep_sort_config_static_selectorELNS0_4arch9wavefront6targetE0EEEvSG_.num_agpr, 0
	.set _ZN7rocprim17ROCPRIM_400000_NS6detail17trampoline_kernelINS0_14default_configENS1_35radix_sort_onesweep_config_selectorIfNS0_10empty_typeEEEZZNS1_29radix_sort_onesweep_iterationIS3_Lb1EPKfPfPS5_SB_mNS0_19identity_decomposerENS1_16block_id_wrapperIjLb0EEEEE10hipError_tT1_PNSt15iterator_traitsISG_E10value_typeET2_T3_PNSH_ISM_E10value_typeET4_T5_PSR_SS_PNS1_23onesweep_lookback_stateEbbT6_jjT7_P12ihipStream_tbENKUlT_T0_SG_SL_E_clISA_SA_SB_SB_EEDaSZ_S10_SG_SL_EUlSZ_E_NS1_11comp_targetILNS1_3genE2ELNS1_11target_archE906ELNS1_3gpuE6ELNS1_3repE0EEENS1_47radix_sort_onesweep_sort_config_static_selectorELNS0_4arch9wavefront6targetE0EEEvSG_.numbered_sgpr, 0
	.set _ZN7rocprim17ROCPRIM_400000_NS6detail17trampoline_kernelINS0_14default_configENS1_35radix_sort_onesweep_config_selectorIfNS0_10empty_typeEEEZZNS1_29radix_sort_onesweep_iterationIS3_Lb1EPKfPfPS5_SB_mNS0_19identity_decomposerENS1_16block_id_wrapperIjLb0EEEEE10hipError_tT1_PNSt15iterator_traitsISG_E10value_typeET2_T3_PNSH_ISM_E10value_typeET4_T5_PSR_SS_PNS1_23onesweep_lookback_stateEbbT6_jjT7_P12ihipStream_tbENKUlT_T0_SG_SL_E_clISA_SA_SB_SB_EEDaSZ_S10_SG_SL_EUlSZ_E_NS1_11comp_targetILNS1_3genE2ELNS1_11target_archE906ELNS1_3gpuE6ELNS1_3repE0EEENS1_47radix_sort_onesweep_sort_config_static_selectorELNS0_4arch9wavefront6targetE0EEEvSG_.num_named_barrier, 0
	.set _ZN7rocprim17ROCPRIM_400000_NS6detail17trampoline_kernelINS0_14default_configENS1_35radix_sort_onesweep_config_selectorIfNS0_10empty_typeEEEZZNS1_29radix_sort_onesweep_iterationIS3_Lb1EPKfPfPS5_SB_mNS0_19identity_decomposerENS1_16block_id_wrapperIjLb0EEEEE10hipError_tT1_PNSt15iterator_traitsISG_E10value_typeET2_T3_PNSH_ISM_E10value_typeET4_T5_PSR_SS_PNS1_23onesweep_lookback_stateEbbT6_jjT7_P12ihipStream_tbENKUlT_T0_SG_SL_E_clISA_SA_SB_SB_EEDaSZ_S10_SG_SL_EUlSZ_E_NS1_11comp_targetILNS1_3genE2ELNS1_11target_archE906ELNS1_3gpuE6ELNS1_3repE0EEENS1_47radix_sort_onesweep_sort_config_static_selectorELNS0_4arch9wavefront6targetE0EEEvSG_.private_seg_size, 0
	.set _ZN7rocprim17ROCPRIM_400000_NS6detail17trampoline_kernelINS0_14default_configENS1_35radix_sort_onesweep_config_selectorIfNS0_10empty_typeEEEZZNS1_29radix_sort_onesweep_iterationIS3_Lb1EPKfPfPS5_SB_mNS0_19identity_decomposerENS1_16block_id_wrapperIjLb0EEEEE10hipError_tT1_PNSt15iterator_traitsISG_E10value_typeET2_T3_PNSH_ISM_E10value_typeET4_T5_PSR_SS_PNS1_23onesweep_lookback_stateEbbT6_jjT7_P12ihipStream_tbENKUlT_T0_SG_SL_E_clISA_SA_SB_SB_EEDaSZ_S10_SG_SL_EUlSZ_E_NS1_11comp_targetILNS1_3genE2ELNS1_11target_archE906ELNS1_3gpuE6ELNS1_3repE0EEENS1_47radix_sort_onesweep_sort_config_static_selectorELNS0_4arch9wavefront6targetE0EEEvSG_.uses_vcc, 0
	.set _ZN7rocprim17ROCPRIM_400000_NS6detail17trampoline_kernelINS0_14default_configENS1_35radix_sort_onesweep_config_selectorIfNS0_10empty_typeEEEZZNS1_29radix_sort_onesweep_iterationIS3_Lb1EPKfPfPS5_SB_mNS0_19identity_decomposerENS1_16block_id_wrapperIjLb0EEEEE10hipError_tT1_PNSt15iterator_traitsISG_E10value_typeET2_T3_PNSH_ISM_E10value_typeET4_T5_PSR_SS_PNS1_23onesweep_lookback_stateEbbT6_jjT7_P12ihipStream_tbENKUlT_T0_SG_SL_E_clISA_SA_SB_SB_EEDaSZ_S10_SG_SL_EUlSZ_E_NS1_11comp_targetILNS1_3genE2ELNS1_11target_archE906ELNS1_3gpuE6ELNS1_3repE0EEENS1_47radix_sort_onesweep_sort_config_static_selectorELNS0_4arch9wavefront6targetE0EEEvSG_.uses_flat_scratch, 0
	.set _ZN7rocprim17ROCPRIM_400000_NS6detail17trampoline_kernelINS0_14default_configENS1_35radix_sort_onesweep_config_selectorIfNS0_10empty_typeEEEZZNS1_29radix_sort_onesweep_iterationIS3_Lb1EPKfPfPS5_SB_mNS0_19identity_decomposerENS1_16block_id_wrapperIjLb0EEEEE10hipError_tT1_PNSt15iterator_traitsISG_E10value_typeET2_T3_PNSH_ISM_E10value_typeET4_T5_PSR_SS_PNS1_23onesweep_lookback_stateEbbT6_jjT7_P12ihipStream_tbENKUlT_T0_SG_SL_E_clISA_SA_SB_SB_EEDaSZ_S10_SG_SL_EUlSZ_E_NS1_11comp_targetILNS1_3genE2ELNS1_11target_archE906ELNS1_3gpuE6ELNS1_3repE0EEENS1_47radix_sort_onesweep_sort_config_static_selectorELNS0_4arch9wavefront6targetE0EEEvSG_.has_dyn_sized_stack, 0
	.set _ZN7rocprim17ROCPRIM_400000_NS6detail17trampoline_kernelINS0_14default_configENS1_35radix_sort_onesweep_config_selectorIfNS0_10empty_typeEEEZZNS1_29radix_sort_onesweep_iterationIS3_Lb1EPKfPfPS5_SB_mNS0_19identity_decomposerENS1_16block_id_wrapperIjLb0EEEEE10hipError_tT1_PNSt15iterator_traitsISG_E10value_typeET2_T3_PNSH_ISM_E10value_typeET4_T5_PSR_SS_PNS1_23onesweep_lookback_stateEbbT6_jjT7_P12ihipStream_tbENKUlT_T0_SG_SL_E_clISA_SA_SB_SB_EEDaSZ_S10_SG_SL_EUlSZ_E_NS1_11comp_targetILNS1_3genE2ELNS1_11target_archE906ELNS1_3gpuE6ELNS1_3repE0EEENS1_47radix_sort_onesweep_sort_config_static_selectorELNS0_4arch9wavefront6targetE0EEEvSG_.has_recursion, 0
	.set _ZN7rocprim17ROCPRIM_400000_NS6detail17trampoline_kernelINS0_14default_configENS1_35radix_sort_onesweep_config_selectorIfNS0_10empty_typeEEEZZNS1_29radix_sort_onesweep_iterationIS3_Lb1EPKfPfPS5_SB_mNS0_19identity_decomposerENS1_16block_id_wrapperIjLb0EEEEE10hipError_tT1_PNSt15iterator_traitsISG_E10value_typeET2_T3_PNSH_ISM_E10value_typeET4_T5_PSR_SS_PNS1_23onesweep_lookback_stateEbbT6_jjT7_P12ihipStream_tbENKUlT_T0_SG_SL_E_clISA_SA_SB_SB_EEDaSZ_S10_SG_SL_EUlSZ_E_NS1_11comp_targetILNS1_3genE2ELNS1_11target_archE906ELNS1_3gpuE6ELNS1_3repE0EEENS1_47radix_sort_onesweep_sort_config_static_selectorELNS0_4arch9wavefront6targetE0EEEvSG_.has_indirect_call, 0
	.section	.AMDGPU.csdata,"",@progbits
; Kernel info:
; codeLenInByte = 0
; TotalNumSgprs: 0
; NumVgprs: 0
; ScratchSize: 0
; MemoryBound: 0
; FloatMode: 240
; IeeeMode: 1
; LDSByteSize: 0 bytes/workgroup (compile time only)
; SGPRBlocks: 0
; VGPRBlocks: 0
; NumSGPRsForWavesPerEU: 1
; NumVGPRsForWavesPerEU: 1
; NamedBarCnt: 0
; Occupancy: 16
; WaveLimiterHint : 0
; COMPUTE_PGM_RSRC2:SCRATCH_EN: 0
; COMPUTE_PGM_RSRC2:USER_SGPR: 2
; COMPUTE_PGM_RSRC2:TRAP_HANDLER: 0
; COMPUTE_PGM_RSRC2:TGID_X_EN: 1
; COMPUTE_PGM_RSRC2:TGID_Y_EN: 0
; COMPUTE_PGM_RSRC2:TGID_Z_EN: 0
; COMPUTE_PGM_RSRC2:TIDIG_COMP_CNT: 0
	.section	.text._ZN7rocprim17ROCPRIM_400000_NS6detail17trampoline_kernelINS0_14default_configENS1_35radix_sort_onesweep_config_selectorIfNS0_10empty_typeEEEZZNS1_29radix_sort_onesweep_iterationIS3_Lb1EPKfPfPS5_SB_mNS0_19identity_decomposerENS1_16block_id_wrapperIjLb0EEEEE10hipError_tT1_PNSt15iterator_traitsISG_E10value_typeET2_T3_PNSH_ISM_E10value_typeET4_T5_PSR_SS_PNS1_23onesweep_lookback_stateEbbT6_jjT7_P12ihipStream_tbENKUlT_T0_SG_SL_E_clISA_SA_SB_SB_EEDaSZ_S10_SG_SL_EUlSZ_E_NS1_11comp_targetILNS1_3genE4ELNS1_11target_archE910ELNS1_3gpuE8ELNS1_3repE0EEENS1_47radix_sort_onesweep_sort_config_static_selectorELNS0_4arch9wavefront6targetE0EEEvSG_,"axG",@progbits,_ZN7rocprim17ROCPRIM_400000_NS6detail17trampoline_kernelINS0_14default_configENS1_35radix_sort_onesweep_config_selectorIfNS0_10empty_typeEEEZZNS1_29radix_sort_onesweep_iterationIS3_Lb1EPKfPfPS5_SB_mNS0_19identity_decomposerENS1_16block_id_wrapperIjLb0EEEEE10hipError_tT1_PNSt15iterator_traitsISG_E10value_typeET2_T3_PNSH_ISM_E10value_typeET4_T5_PSR_SS_PNS1_23onesweep_lookback_stateEbbT6_jjT7_P12ihipStream_tbENKUlT_T0_SG_SL_E_clISA_SA_SB_SB_EEDaSZ_S10_SG_SL_EUlSZ_E_NS1_11comp_targetILNS1_3genE4ELNS1_11target_archE910ELNS1_3gpuE8ELNS1_3repE0EEENS1_47radix_sort_onesweep_sort_config_static_selectorELNS0_4arch9wavefront6targetE0EEEvSG_,comdat
	.protected	_ZN7rocprim17ROCPRIM_400000_NS6detail17trampoline_kernelINS0_14default_configENS1_35radix_sort_onesweep_config_selectorIfNS0_10empty_typeEEEZZNS1_29radix_sort_onesweep_iterationIS3_Lb1EPKfPfPS5_SB_mNS0_19identity_decomposerENS1_16block_id_wrapperIjLb0EEEEE10hipError_tT1_PNSt15iterator_traitsISG_E10value_typeET2_T3_PNSH_ISM_E10value_typeET4_T5_PSR_SS_PNS1_23onesweep_lookback_stateEbbT6_jjT7_P12ihipStream_tbENKUlT_T0_SG_SL_E_clISA_SA_SB_SB_EEDaSZ_S10_SG_SL_EUlSZ_E_NS1_11comp_targetILNS1_3genE4ELNS1_11target_archE910ELNS1_3gpuE8ELNS1_3repE0EEENS1_47radix_sort_onesweep_sort_config_static_selectorELNS0_4arch9wavefront6targetE0EEEvSG_ ; -- Begin function _ZN7rocprim17ROCPRIM_400000_NS6detail17trampoline_kernelINS0_14default_configENS1_35radix_sort_onesweep_config_selectorIfNS0_10empty_typeEEEZZNS1_29radix_sort_onesweep_iterationIS3_Lb1EPKfPfPS5_SB_mNS0_19identity_decomposerENS1_16block_id_wrapperIjLb0EEEEE10hipError_tT1_PNSt15iterator_traitsISG_E10value_typeET2_T3_PNSH_ISM_E10value_typeET4_T5_PSR_SS_PNS1_23onesweep_lookback_stateEbbT6_jjT7_P12ihipStream_tbENKUlT_T0_SG_SL_E_clISA_SA_SB_SB_EEDaSZ_S10_SG_SL_EUlSZ_E_NS1_11comp_targetILNS1_3genE4ELNS1_11target_archE910ELNS1_3gpuE8ELNS1_3repE0EEENS1_47radix_sort_onesweep_sort_config_static_selectorELNS0_4arch9wavefront6targetE0EEEvSG_
	.globl	_ZN7rocprim17ROCPRIM_400000_NS6detail17trampoline_kernelINS0_14default_configENS1_35radix_sort_onesweep_config_selectorIfNS0_10empty_typeEEEZZNS1_29radix_sort_onesweep_iterationIS3_Lb1EPKfPfPS5_SB_mNS0_19identity_decomposerENS1_16block_id_wrapperIjLb0EEEEE10hipError_tT1_PNSt15iterator_traitsISG_E10value_typeET2_T3_PNSH_ISM_E10value_typeET4_T5_PSR_SS_PNS1_23onesweep_lookback_stateEbbT6_jjT7_P12ihipStream_tbENKUlT_T0_SG_SL_E_clISA_SA_SB_SB_EEDaSZ_S10_SG_SL_EUlSZ_E_NS1_11comp_targetILNS1_3genE4ELNS1_11target_archE910ELNS1_3gpuE8ELNS1_3repE0EEENS1_47radix_sort_onesweep_sort_config_static_selectorELNS0_4arch9wavefront6targetE0EEEvSG_
	.p2align	8
	.type	_ZN7rocprim17ROCPRIM_400000_NS6detail17trampoline_kernelINS0_14default_configENS1_35radix_sort_onesweep_config_selectorIfNS0_10empty_typeEEEZZNS1_29radix_sort_onesweep_iterationIS3_Lb1EPKfPfPS5_SB_mNS0_19identity_decomposerENS1_16block_id_wrapperIjLb0EEEEE10hipError_tT1_PNSt15iterator_traitsISG_E10value_typeET2_T3_PNSH_ISM_E10value_typeET4_T5_PSR_SS_PNS1_23onesweep_lookback_stateEbbT6_jjT7_P12ihipStream_tbENKUlT_T0_SG_SL_E_clISA_SA_SB_SB_EEDaSZ_S10_SG_SL_EUlSZ_E_NS1_11comp_targetILNS1_3genE4ELNS1_11target_archE910ELNS1_3gpuE8ELNS1_3repE0EEENS1_47radix_sort_onesweep_sort_config_static_selectorELNS0_4arch9wavefront6targetE0EEEvSG_,@function
_ZN7rocprim17ROCPRIM_400000_NS6detail17trampoline_kernelINS0_14default_configENS1_35radix_sort_onesweep_config_selectorIfNS0_10empty_typeEEEZZNS1_29radix_sort_onesweep_iterationIS3_Lb1EPKfPfPS5_SB_mNS0_19identity_decomposerENS1_16block_id_wrapperIjLb0EEEEE10hipError_tT1_PNSt15iterator_traitsISG_E10value_typeET2_T3_PNSH_ISM_E10value_typeET4_T5_PSR_SS_PNS1_23onesweep_lookback_stateEbbT6_jjT7_P12ihipStream_tbENKUlT_T0_SG_SL_E_clISA_SA_SB_SB_EEDaSZ_S10_SG_SL_EUlSZ_E_NS1_11comp_targetILNS1_3genE4ELNS1_11target_archE910ELNS1_3gpuE8ELNS1_3repE0EEENS1_47radix_sort_onesweep_sort_config_static_selectorELNS0_4arch9wavefront6targetE0EEEvSG_: ; @_ZN7rocprim17ROCPRIM_400000_NS6detail17trampoline_kernelINS0_14default_configENS1_35radix_sort_onesweep_config_selectorIfNS0_10empty_typeEEEZZNS1_29radix_sort_onesweep_iterationIS3_Lb1EPKfPfPS5_SB_mNS0_19identity_decomposerENS1_16block_id_wrapperIjLb0EEEEE10hipError_tT1_PNSt15iterator_traitsISG_E10value_typeET2_T3_PNSH_ISM_E10value_typeET4_T5_PSR_SS_PNS1_23onesweep_lookback_stateEbbT6_jjT7_P12ihipStream_tbENKUlT_T0_SG_SL_E_clISA_SA_SB_SB_EEDaSZ_S10_SG_SL_EUlSZ_E_NS1_11comp_targetILNS1_3genE4ELNS1_11target_archE910ELNS1_3gpuE8ELNS1_3repE0EEENS1_47radix_sort_onesweep_sort_config_static_selectorELNS0_4arch9wavefront6targetE0EEEvSG_
; %bb.0:
	.section	.rodata,"a",@progbits
	.p2align	6, 0x0
	.amdhsa_kernel _ZN7rocprim17ROCPRIM_400000_NS6detail17trampoline_kernelINS0_14default_configENS1_35radix_sort_onesweep_config_selectorIfNS0_10empty_typeEEEZZNS1_29radix_sort_onesweep_iterationIS3_Lb1EPKfPfPS5_SB_mNS0_19identity_decomposerENS1_16block_id_wrapperIjLb0EEEEE10hipError_tT1_PNSt15iterator_traitsISG_E10value_typeET2_T3_PNSH_ISM_E10value_typeET4_T5_PSR_SS_PNS1_23onesweep_lookback_stateEbbT6_jjT7_P12ihipStream_tbENKUlT_T0_SG_SL_E_clISA_SA_SB_SB_EEDaSZ_S10_SG_SL_EUlSZ_E_NS1_11comp_targetILNS1_3genE4ELNS1_11target_archE910ELNS1_3gpuE8ELNS1_3repE0EEENS1_47radix_sort_onesweep_sort_config_static_selectorELNS0_4arch9wavefront6targetE0EEEvSG_
		.amdhsa_group_segment_fixed_size 0
		.amdhsa_private_segment_fixed_size 0
		.amdhsa_kernarg_size 88
		.amdhsa_user_sgpr_count 2
		.amdhsa_user_sgpr_dispatch_ptr 0
		.amdhsa_user_sgpr_queue_ptr 0
		.amdhsa_user_sgpr_kernarg_segment_ptr 1
		.amdhsa_user_sgpr_dispatch_id 0
		.amdhsa_user_sgpr_kernarg_preload_length 0
		.amdhsa_user_sgpr_kernarg_preload_offset 0
		.amdhsa_user_sgpr_private_segment_size 0
		.amdhsa_wavefront_size32 1
		.amdhsa_uses_dynamic_stack 0
		.amdhsa_enable_private_segment 0
		.amdhsa_system_sgpr_workgroup_id_x 1
		.amdhsa_system_sgpr_workgroup_id_y 0
		.amdhsa_system_sgpr_workgroup_id_z 0
		.amdhsa_system_sgpr_workgroup_info 0
		.amdhsa_system_vgpr_workitem_id 0
		.amdhsa_next_free_vgpr 1
		.amdhsa_next_free_sgpr 1
		.amdhsa_named_barrier_count 0
		.amdhsa_reserve_vcc 0
		.amdhsa_float_round_mode_32 0
		.amdhsa_float_round_mode_16_64 0
		.amdhsa_float_denorm_mode_32 3
		.amdhsa_float_denorm_mode_16_64 3
		.amdhsa_fp16_overflow 0
		.amdhsa_memory_ordered 1
		.amdhsa_forward_progress 1
		.amdhsa_inst_pref_size 0
		.amdhsa_round_robin_scheduling 0
		.amdhsa_exception_fp_ieee_invalid_op 0
		.amdhsa_exception_fp_denorm_src 0
		.amdhsa_exception_fp_ieee_div_zero 0
		.amdhsa_exception_fp_ieee_overflow 0
		.amdhsa_exception_fp_ieee_underflow 0
		.amdhsa_exception_fp_ieee_inexact 0
		.amdhsa_exception_int_div_zero 0
	.end_amdhsa_kernel
	.section	.text._ZN7rocprim17ROCPRIM_400000_NS6detail17trampoline_kernelINS0_14default_configENS1_35radix_sort_onesweep_config_selectorIfNS0_10empty_typeEEEZZNS1_29radix_sort_onesweep_iterationIS3_Lb1EPKfPfPS5_SB_mNS0_19identity_decomposerENS1_16block_id_wrapperIjLb0EEEEE10hipError_tT1_PNSt15iterator_traitsISG_E10value_typeET2_T3_PNSH_ISM_E10value_typeET4_T5_PSR_SS_PNS1_23onesweep_lookback_stateEbbT6_jjT7_P12ihipStream_tbENKUlT_T0_SG_SL_E_clISA_SA_SB_SB_EEDaSZ_S10_SG_SL_EUlSZ_E_NS1_11comp_targetILNS1_3genE4ELNS1_11target_archE910ELNS1_3gpuE8ELNS1_3repE0EEENS1_47radix_sort_onesweep_sort_config_static_selectorELNS0_4arch9wavefront6targetE0EEEvSG_,"axG",@progbits,_ZN7rocprim17ROCPRIM_400000_NS6detail17trampoline_kernelINS0_14default_configENS1_35radix_sort_onesweep_config_selectorIfNS0_10empty_typeEEEZZNS1_29radix_sort_onesweep_iterationIS3_Lb1EPKfPfPS5_SB_mNS0_19identity_decomposerENS1_16block_id_wrapperIjLb0EEEEE10hipError_tT1_PNSt15iterator_traitsISG_E10value_typeET2_T3_PNSH_ISM_E10value_typeET4_T5_PSR_SS_PNS1_23onesweep_lookback_stateEbbT6_jjT7_P12ihipStream_tbENKUlT_T0_SG_SL_E_clISA_SA_SB_SB_EEDaSZ_S10_SG_SL_EUlSZ_E_NS1_11comp_targetILNS1_3genE4ELNS1_11target_archE910ELNS1_3gpuE8ELNS1_3repE0EEENS1_47radix_sort_onesweep_sort_config_static_selectorELNS0_4arch9wavefront6targetE0EEEvSG_,comdat
.Lfunc_end1350:
	.size	_ZN7rocprim17ROCPRIM_400000_NS6detail17trampoline_kernelINS0_14default_configENS1_35radix_sort_onesweep_config_selectorIfNS0_10empty_typeEEEZZNS1_29radix_sort_onesweep_iterationIS3_Lb1EPKfPfPS5_SB_mNS0_19identity_decomposerENS1_16block_id_wrapperIjLb0EEEEE10hipError_tT1_PNSt15iterator_traitsISG_E10value_typeET2_T3_PNSH_ISM_E10value_typeET4_T5_PSR_SS_PNS1_23onesweep_lookback_stateEbbT6_jjT7_P12ihipStream_tbENKUlT_T0_SG_SL_E_clISA_SA_SB_SB_EEDaSZ_S10_SG_SL_EUlSZ_E_NS1_11comp_targetILNS1_3genE4ELNS1_11target_archE910ELNS1_3gpuE8ELNS1_3repE0EEENS1_47radix_sort_onesweep_sort_config_static_selectorELNS0_4arch9wavefront6targetE0EEEvSG_, .Lfunc_end1350-_ZN7rocprim17ROCPRIM_400000_NS6detail17trampoline_kernelINS0_14default_configENS1_35radix_sort_onesweep_config_selectorIfNS0_10empty_typeEEEZZNS1_29radix_sort_onesweep_iterationIS3_Lb1EPKfPfPS5_SB_mNS0_19identity_decomposerENS1_16block_id_wrapperIjLb0EEEEE10hipError_tT1_PNSt15iterator_traitsISG_E10value_typeET2_T3_PNSH_ISM_E10value_typeET4_T5_PSR_SS_PNS1_23onesweep_lookback_stateEbbT6_jjT7_P12ihipStream_tbENKUlT_T0_SG_SL_E_clISA_SA_SB_SB_EEDaSZ_S10_SG_SL_EUlSZ_E_NS1_11comp_targetILNS1_3genE4ELNS1_11target_archE910ELNS1_3gpuE8ELNS1_3repE0EEENS1_47radix_sort_onesweep_sort_config_static_selectorELNS0_4arch9wavefront6targetE0EEEvSG_
                                        ; -- End function
	.set _ZN7rocprim17ROCPRIM_400000_NS6detail17trampoline_kernelINS0_14default_configENS1_35radix_sort_onesweep_config_selectorIfNS0_10empty_typeEEEZZNS1_29radix_sort_onesweep_iterationIS3_Lb1EPKfPfPS5_SB_mNS0_19identity_decomposerENS1_16block_id_wrapperIjLb0EEEEE10hipError_tT1_PNSt15iterator_traitsISG_E10value_typeET2_T3_PNSH_ISM_E10value_typeET4_T5_PSR_SS_PNS1_23onesweep_lookback_stateEbbT6_jjT7_P12ihipStream_tbENKUlT_T0_SG_SL_E_clISA_SA_SB_SB_EEDaSZ_S10_SG_SL_EUlSZ_E_NS1_11comp_targetILNS1_3genE4ELNS1_11target_archE910ELNS1_3gpuE8ELNS1_3repE0EEENS1_47radix_sort_onesweep_sort_config_static_selectorELNS0_4arch9wavefront6targetE0EEEvSG_.num_vgpr, 0
	.set _ZN7rocprim17ROCPRIM_400000_NS6detail17trampoline_kernelINS0_14default_configENS1_35radix_sort_onesweep_config_selectorIfNS0_10empty_typeEEEZZNS1_29radix_sort_onesweep_iterationIS3_Lb1EPKfPfPS5_SB_mNS0_19identity_decomposerENS1_16block_id_wrapperIjLb0EEEEE10hipError_tT1_PNSt15iterator_traitsISG_E10value_typeET2_T3_PNSH_ISM_E10value_typeET4_T5_PSR_SS_PNS1_23onesweep_lookback_stateEbbT6_jjT7_P12ihipStream_tbENKUlT_T0_SG_SL_E_clISA_SA_SB_SB_EEDaSZ_S10_SG_SL_EUlSZ_E_NS1_11comp_targetILNS1_3genE4ELNS1_11target_archE910ELNS1_3gpuE8ELNS1_3repE0EEENS1_47radix_sort_onesweep_sort_config_static_selectorELNS0_4arch9wavefront6targetE0EEEvSG_.num_agpr, 0
	.set _ZN7rocprim17ROCPRIM_400000_NS6detail17trampoline_kernelINS0_14default_configENS1_35radix_sort_onesweep_config_selectorIfNS0_10empty_typeEEEZZNS1_29radix_sort_onesweep_iterationIS3_Lb1EPKfPfPS5_SB_mNS0_19identity_decomposerENS1_16block_id_wrapperIjLb0EEEEE10hipError_tT1_PNSt15iterator_traitsISG_E10value_typeET2_T3_PNSH_ISM_E10value_typeET4_T5_PSR_SS_PNS1_23onesweep_lookback_stateEbbT6_jjT7_P12ihipStream_tbENKUlT_T0_SG_SL_E_clISA_SA_SB_SB_EEDaSZ_S10_SG_SL_EUlSZ_E_NS1_11comp_targetILNS1_3genE4ELNS1_11target_archE910ELNS1_3gpuE8ELNS1_3repE0EEENS1_47radix_sort_onesweep_sort_config_static_selectorELNS0_4arch9wavefront6targetE0EEEvSG_.numbered_sgpr, 0
	.set _ZN7rocprim17ROCPRIM_400000_NS6detail17trampoline_kernelINS0_14default_configENS1_35radix_sort_onesweep_config_selectorIfNS0_10empty_typeEEEZZNS1_29radix_sort_onesweep_iterationIS3_Lb1EPKfPfPS5_SB_mNS0_19identity_decomposerENS1_16block_id_wrapperIjLb0EEEEE10hipError_tT1_PNSt15iterator_traitsISG_E10value_typeET2_T3_PNSH_ISM_E10value_typeET4_T5_PSR_SS_PNS1_23onesweep_lookback_stateEbbT6_jjT7_P12ihipStream_tbENKUlT_T0_SG_SL_E_clISA_SA_SB_SB_EEDaSZ_S10_SG_SL_EUlSZ_E_NS1_11comp_targetILNS1_3genE4ELNS1_11target_archE910ELNS1_3gpuE8ELNS1_3repE0EEENS1_47radix_sort_onesweep_sort_config_static_selectorELNS0_4arch9wavefront6targetE0EEEvSG_.num_named_barrier, 0
	.set _ZN7rocprim17ROCPRIM_400000_NS6detail17trampoline_kernelINS0_14default_configENS1_35radix_sort_onesweep_config_selectorIfNS0_10empty_typeEEEZZNS1_29radix_sort_onesweep_iterationIS3_Lb1EPKfPfPS5_SB_mNS0_19identity_decomposerENS1_16block_id_wrapperIjLb0EEEEE10hipError_tT1_PNSt15iterator_traitsISG_E10value_typeET2_T3_PNSH_ISM_E10value_typeET4_T5_PSR_SS_PNS1_23onesweep_lookback_stateEbbT6_jjT7_P12ihipStream_tbENKUlT_T0_SG_SL_E_clISA_SA_SB_SB_EEDaSZ_S10_SG_SL_EUlSZ_E_NS1_11comp_targetILNS1_3genE4ELNS1_11target_archE910ELNS1_3gpuE8ELNS1_3repE0EEENS1_47radix_sort_onesweep_sort_config_static_selectorELNS0_4arch9wavefront6targetE0EEEvSG_.private_seg_size, 0
	.set _ZN7rocprim17ROCPRIM_400000_NS6detail17trampoline_kernelINS0_14default_configENS1_35radix_sort_onesweep_config_selectorIfNS0_10empty_typeEEEZZNS1_29radix_sort_onesweep_iterationIS3_Lb1EPKfPfPS5_SB_mNS0_19identity_decomposerENS1_16block_id_wrapperIjLb0EEEEE10hipError_tT1_PNSt15iterator_traitsISG_E10value_typeET2_T3_PNSH_ISM_E10value_typeET4_T5_PSR_SS_PNS1_23onesweep_lookback_stateEbbT6_jjT7_P12ihipStream_tbENKUlT_T0_SG_SL_E_clISA_SA_SB_SB_EEDaSZ_S10_SG_SL_EUlSZ_E_NS1_11comp_targetILNS1_3genE4ELNS1_11target_archE910ELNS1_3gpuE8ELNS1_3repE0EEENS1_47radix_sort_onesweep_sort_config_static_selectorELNS0_4arch9wavefront6targetE0EEEvSG_.uses_vcc, 0
	.set _ZN7rocprim17ROCPRIM_400000_NS6detail17trampoline_kernelINS0_14default_configENS1_35radix_sort_onesweep_config_selectorIfNS0_10empty_typeEEEZZNS1_29radix_sort_onesweep_iterationIS3_Lb1EPKfPfPS5_SB_mNS0_19identity_decomposerENS1_16block_id_wrapperIjLb0EEEEE10hipError_tT1_PNSt15iterator_traitsISG_E10value_typeET2_T3_PNSH_ISM_E10value_typeET4_T5_PSR_SS_PNS1_23onesweep_lookback_stateEbbT6_jjT7_P12ihipStream_tbENKUlT_T0_SG_SL_E_clISA_SA_SB_SB_EEDaSZ_S10_SG_SL_EUlSZ_E_NS1_11comp_targetILNS1_3genE4ELNS1_11target_archE910ELNS1_3gpuE8ELNS1_3repE0EEENS1_47radix_sort_onesweep_sort_config_static_selectorELNS0_4arch9wavefront6targetE0EEEvSG_.uses_flat_scratch, 0
	.set _ZN7rocprim17ROCPRIM_400000_NS6detail17trampoline_kernelINS0_14default_configENS1_35radix_sort_onesweep_config_selectorIfNS0_10empty_typeEEEZZNS1_29radix_sort_onesweep_iterationIS3_Lb1EPKfPfPS5_SB_mNS0_19identity_decomposerENS1_16block_id_wrapperIjLb0EEEEE10hipError_tT1_PNSt15iterator_traitsISG_E10value_typeET2_T3_PNSH_ISM_E10value_typeET4_T5_PSR_SS_PNS1_23onesweep_lookback_stateEbbT6_jjT7_P12ihipStream_tbENKUlT_T0_SG_SL_E_clISA_SA_SB_SB_EEDaSZ_S10_SG_SL_EUlSZ_E_NS1_11comp_targetILNS1_3genE4ELNS1_11target_archE910ELNS1_3gpuE8ELNS1_3repE0EEENS1_47radix_sort_onesweep_sort_config_static_selectorELNS0_4arch9wavefront6targetE0EEEvSG_.has_dyn_sized_stack, 0
	.set _ZN7rocprim17ROCPRIM_400000_NS6detail17trampoline_kernelINS0_14default_configENS1_35radix_sort_onesweep_config_selectorIfNS0_10empty_typeEEEZZNS1_29radix_sort_onesweep_iterationIS3_Lb1EPKfPfPS5_SB_mNS0_19identity_decomposerENS1_16block_id_wrapperIjLb0EEEEE10hipError_tT1_PNSt15iterator_traitsISG_E10value_typeET2_T3_PNSH_ISM_E10value_typeET4_T5_PSR_SS_PNS1_23onesweep_lookback_stateEbbT6_jjT7_P12ihipStream_tbENKUlT_T0_SG_SL_E_clISA_SA_SB_SB_EEDaSZ_S10_SG_SL_EUlSZ_E_NS1_11comp_targetILNS1_3genE4ELNS1_11target_archE910ELNS1_3gpuE8ELNS1_3repE0EEENS1_47radix_sort_onesweep_sort_config_static_selectorELNS0_4arch9wavefront6targetE0EEEvSG_.has_recursion, 0
	.set _ZN7rocprim17ROCPRIM_400000_NS6detail17trampoline_kernelINS0_14default_configENS1_35radix_sort_onesweep_config_selectorIfNS0_10empty_typeEEEZZNS1_29radix_sort_onesweep_iterationIS3_Lb1EPKfPfPS5_SB_mNS0_19identity_decomposerENS1_16block_id_wrapperIjLb0EEEEE10hipError_tT1_PNSt15iterator_traitsISG_E10value_typeET2_T3_PNSH_ISM_E10value_typeET4_T5_PSR_SS_PNS1_23onesweep_lookback_stateEbbT6_jjT7_P12ihipStream_tbENKUlT_T0_SG_SL_E_clISA_SA_SB_SB_EEDaSZ_S10_SG_SL_EUlSZ_E_NS1_11comp_targetILNS1_3genE4ELNS1_11target_archE910ELNS1_3gpuE8ELNS1_3repE0EEENS1_47radix_sort_onesweep_sort_config_static_selectorELNS0_4arch9wavefront6targetE0EEEvSG_.has_indirect_call, 0
	.section	.AMDGPU.csdata,"",@progbits
; Kernel info:
; codeLenInByte = 0
; TotalNumSgprs: 0
; NumVgprs: 0
; ScratchSize: 0
; MemoryBound: 0
; FloatMode: 240
; IeeeMode: 1
; LDSByteSize: 0 bytes/workgroup (compile time only)
; SGPRBlocks: 0
; VGPRBlocks: 0
; NumSGPRsForWavesPerEU: 1
; NumVGPRsForWavesPerEU: 1
; NamedBarCnt: 0
; Occupancy: 16
; WaveLimiterHint : 0
; COMPUTE_PGM_RSRC2:SCRATCH_EN: 0
; COMPUTE_PGM_RSRC2:USER_SGPR: 2
; COMPUTE_PGM_RSRC2:TRAP_HANDLER: 0
; COMPUTE_PGM_RSRC2:TGID_X_EN: 1
; COMPUTE_PGM_RSRC2:TGID_Y_EN: 0
; COMPUTE_PGM_RSRC2:TGID_Z_EN: 0
; COMPUTE_PGM_RSRC2:TIDIG_COMP_CNT: 0
	.section	.text._ZN7rocprim17ROCPRIM_400000_NS6detail17trampoline_kernelINS0_14default_configENS1_35radix_sort_onesweep_config_selectorIfNS0_10empty_typeEEEZZNS1_29radix_sort_onesweep_iterationIS3_Lb1EPKfPfPS5_SB_mNS0_19identity_decomposerENS1_16block_id_wrapperIjLb0EEEEE10hipError_tT1_PNSt15iterator_traitsISG_E10value_typeET2_T3_PNSH_ISM_E10value_typeET4_T5_PSR_SS_PNS1_23onesweep_lookback_stateEbbT6_jjT7_P12ihipStream_tbENKUlT_T0_SG_SL_E_clISA_SA_SB_SB_EEDaSZ_S10_SG_SL_EUlSZ_E_NS1_11comp_targetILNS1_3genE3ELNS1_11target_archE908ELNS1_3gpuE7ELNS1_3repE0EEENS1_47radix_sort_onesweep_sort_config_static_selectorELNS0_4arch9wavefront6targetE0EEEvSG_,"axG",@progbits,_ZN7rocprim17ROCPRIM_400000_NS6detail17trampoline_kernelINS0_14default_configENS1_35radix_sort_onesweep_config_selectorIfNS0_10empty_typeEEEZZNS1_29radix_sort_onesweep_iterationIS3_Lb1EPKfPfPS5_SB_mNS0_19identity_decomposerENS1_16block_id_wrapperIjLb0EEEEE10hipError_tT1_PNSt15iterator_traitsISG_E10value_typeET2_T3_PNSH_ISM_E10value_typeET4_T5_PSR_SS_PNS1_23onesweep_lookback_stateEbbT6_jjT7_P12ihipStream_tbENKUlT_T0_SG_SL_E_clISA_SA_SB_SB_EEDaSZ_S10_SG_SL_EUlSZ_E_NS1_11comp_targetILNS1_3genE3ELNS1_11target_archE908ELNS1_3gpuE7ELNS1_3repE0EEENS1_47radix_sort_onesweep_sort_config_static_selectorELNS0_4arch9wavefront6targetE0EEEvSG_,comdat
	.protected	_ZN7rocprim17ROCPRIM_400000_NS6detail17trampoline_kernelINS0_14default_configENS1_35radix_sort_onesweep_config_selectorIfNS0_10empty_typeEEEZZNS1_29radix_sort_onesweep_iterationIS3_Lb1EPKfPfPS5_SB_mNS0_19identity_decomposerENS1_16block_id_wrapperIjLb0EEEEE10hipError_tT1_PNSt15iterator_traitsISG_E10value_typeET2_T3_PNSH_ISM_E10value_typeET4_T5_PSR_SS_PNS1_23onesweep_lookback_stateEbbT6_jjT7_P12ihipStream_tbENKUlT_T0_SG_SL_E_clISA_SA_SB_SB_EEDaSZ_S10_SG_SL_EUlSZ_E_NS1_11comp_targetILNS1_3genE3ELNS1_11target_archE908ELNS1_3gpuE7ELNS1_3repE0EEENS1_47radix_sort_onesweep_sort_config_static_selectorELNS0_4arch9wavefront6targetE0EEEvSG_ ; -- Begin function _ZN7rocprim17ROCPRIM_400000_NS6detail17trampoline_kernelINS0_14default_configENS1_35radix_sort_onesweep_config_selectorIfNS0_10empty_typeEEEZZNS1_29radix_sort_onesweep_iterationIS3_Lb1EPKfPfPS5_SB_mNS0_19identity_decomposerENS1_16block_id_wrapperIjLb0EEEEE10hipError_tT1_PNSt15iterator_traitsISG_E10value_typeET2_T3_PNSH_ISM_E10value_typeET4_T5_PSR_SS_PNS1_23onesweep_lookback_stateEbbT6_jjT7_P12ihipStream_tbENKUlT_T0_SG_SL_E_clISA_SA_SB_SB_EEDaSZ_S10_SG_SL_EUlSZ_E_NS1_11comp_targetILNS1_3genE3ELNS1_11target_archE908ELNS1_3gpuE7ELNS1_3repE0EEENS1_47radix_sort_onesweep_sort_config_static_selectorELNS0_4arch9wavefront6targetE0EEEvSG_
	.globl	_ZN7rocprim17ROCPRIM_400000_NS6detail17trampoline_kernelINS0_14default_configENS1_35radix_sort_onesweep_config_selectorIfNS0_10empty_typeEEEZZNS1_29radix_sort_onesweep_iterationIS3_Lb1EPKfPfPS5_SB_mNS0_19identity_decomposerENS1_16block_id_wrapperIjLb0EEEEE10hipError_tT1_PNSt15iterator_traitsISG_E10value_typeET2_T3_PNSH_ISM_E10value_typeET4_T5_PSR_SS_PNS1_23onesweep_lookback_stateEbbT6_jjT7_P12ihipStream_tbENKUlT_T0_SG_SL_E_clISA_SA_SB_SB_EEDaSZ_S10_SG_SL_EUlSZ_E_NS1_11comp_targetILNS1_3genE3ELNS1_11target_archE908ELNS1_3gpuE7ELNS1_3repE0EEENS1_47radix_sort_onesweep_sort_config_static_selectorELNS0_4arch9wavefront6targetE0EEEvSG_
	.p2align	8
	.type	_ZN7rocprim17ROCPRIM_400000_NS6detail17trampoline_kernelINS0_14default_configENS1_35radix_sort_onesweep_config_selectorIfNS0_10empty_typeEEEZZNS1_29radix_sort_onesweep_iterationIS3_Lb1EPKfPfPS5_SB_mNS0_19identity_decomposerENS1_16block_id_wrapperIjLb0EEEEE10hipError_tT1_PNSt15iterator_traitsISG_E10value_typeET2_T3_PNSH_ISM_E10value_typeET4_T5_PSR_SS_PNS1_23onesweep_lookback_stateEbbT6_jjT7_P12ihipStream_tbENKUlT_T0_SG_SL_E_clISA_SA_SB_SB_EEDaSZ_S10_SG_SL_EUlSZ_E_NS1_11comp_targetILNS1_3genE3ELNS1_11target_archE908ELNS1_3gpuE7ELNS1_3repE0EEENS1_47radix_sort_onesweep_sort_config_static_selectorELNS0_4arch9wavefront6targetE0EEEvSG_,@function
_ZN7rocprim17ROCPRIM_400000_NS6detail17trampoline_kernelINS0_14default_configENS1_35radix_sort_onesweep_config_selectorIfNS0_10empty_typeEEEZZNS1_29radix_sort_onesweep_iterationIS3_Lb1EPKfPfPS5_SB_mNS0_19identity_decomposerENS1_16block_id_wrapperIjLb0EEEEE10hipError_tT1_PNSt15iterator_traitsISG_E10value_typeET2_T3_PNSH_ISM_E10value_typeET4_T5_PSR_SS_PNS1_23onesweep_lookback_stateEbbT6_jjT7_P12ihipStream_tbENKUlT_T0_SG_SL_E_clISA_SA_SB_SB_EEDaSZ_S10_SG_SL_EUlSZ_E_NS1_11comp_targetILNS1_3genE3ELNS1_11target_archE908ELNS1_3gpuE7ELNS1_3repE0EEENS1_47radix_sort_onesweep_sort_config_static_selectorELNS0_4arch9wavefront6targetE0EEEvSG_: ; @_ZN7rocprim17ROCPRIM_400000_NS6detail17trampoline_kernelINS0_14default_configENS1_35radix_sort_onesweep_config_selectorIfNS0_10empty_typeEEEZZNS1_29radix_sort_onesweep_iterationIS3_Lb1EPKfPfPS5_SB_mNS0_19identity_decomposerENS1_16block_id_wrapperIjLb0EEEEE10hipError_tT1_PNSt15iterator_traitsISG_E10value_typeET2_T3_PNSH_ISM_E10value_typeET4_T5_PSR_SS_PNS1_23onesweep_lookback_stateEbbT6_jjT7_P12ihipStream_tbENKUlT_T0_SG_SL_E_clISA_SA_SB_SB_EEDaSZ_S10_SG_SL_EUlSZ_E_NS1_11comp_targetILNS1_3genE3ELNS1_11target_archE908ELNS1_3gpuE7ELNS1_3repE0EEENS1_47radix_sort_onesweep_sort_config_static_selectorELNS0_4arch9wavefront6targetE0EEEvSG_
; %bb.0:
	.section	.rodata,"a",@progbits
	.p2align	6, 0x0
	.amdhsa_kernel _ZN7rocprim17ROCPRIM_400000_NS6detail17trampoline_kernelINS0_14default_configENS1_35radix_sort_onesweep_config_selectorIfNS0_10empty_typeEEEZZNS1_29radix_sort_onesweep_iterationIS3_Lb1EPKfPfPS5_SB_mNS0_19identity_decomposerENS1_16block_id_wrapperIjLb0EEEEE10hipError_tT1_PNSt15iterator_traitsISG_E10value_typeET2_T3_PNSH_ISM_E10value_typeET4_T5_PSR_SS_PNS1_23onesweep_lookback_stateEbbT6_jjT7_P12ihipStream_tbENKUlT_T0_SG_SL_E_clISA_SA_SB_SB_EEDaSZ_S10_SG_SL_EUlSZ_E_NS1_11comp_targetILNS1_3genE3ELNS1_11target_archE908ELNS1_3gpuE7ELNS1_3repE0EEENS1_47radix_sort_onesweep_sort_config_static_selectorELNS0_4arch9wavefront6targetE0EEEvSG_
		.amdhsa_group_segment_fixed_size 0
		.amdhsa_private_segment_fixed_size 0
		.amdhsa_kernarg_size 88
		.amdhsa_user_sgpr_count 2
		.amdhsa_user_sgpr_dispatch_ptr 0
		.amdhsa_user_sgpr_queue_ptr 0
		.amdhsa_user_sgpr_kernarg_segment_ptr 1
		.amdhsa_user_sgpr_dispatch_id 0
		.amdhsa_user_sgpr_kernarg_preload_length 0
		.amdhsa_user_sgpr_kernarg_preload_offset 0
		.amdhsa_user_sgpr_private_segment_size 0
		.amdhsa_wavefront_size32 1
		.amdhsa_uses_dynamic_stack 0
		.amdhsa_enable_private_segment 0
		.amdhsa_system_sgpr_workgroup_id_x 1
		.amdhsa_system_sgpr_workgroup_id_y 0
		.amdhsa_system_sgpr_workgroup_id_z 0
		.amdhsa_system_sgpr_workgroup_info 0
		.amdhsa_system_vgpr_workitem_id 0
		.amdhsa_next_free_vgpr 1
		.amdhsa_next_free_sgpr 1
		.amdhsa_named_barrier_count 0
		.amdhsa_reserve_vcc 0
		.amdhsa_float_round_mode_32 0
		.amdhsa_float_round_mode_16_64 0
		.amdhsa_float_denorm_mode_32 3
		.amdhsa_float_denorm_mode_16_64 3
		.amdhsa_fp16_overflow 0
		.amdhsa_memory_ordered 1
		.amdhsa_forward_progress 1
		.amdhsa_inst_pref_size 0
		.amdhsa_round_robin_scheduling 0
		.amdhsa_exception_fp_ieee_invalid_op 0
		.amdhsa_exception_fp_denorm_src 0
		.amdhsa_exception_fp_ieee_div_zero 0
		.amdhsa_exception_fp_ieee_overflow 0
		.amdhsa_exception_fp_ieee_underflow 0
		.amdhsa_exception_fp_ieee_inexact 0
		.amdhsa_exception_int_div_zero 0
	.end_amdhsa_kernel
	.section	.text._ZN7rocprim17ROCPRIM_400000_NS6detail17trampoline_kernelINS0_14default_configENS1_35radix_sort_onesweep_config_selectorIfNS0_10empty_typeEEEZZNS1_29radix_sort_onesweep_iterationIS3_Lb1EPKfPfPS5_SB_mNS0_19identity_decomposerENS1_16block_id_wrapperIjLb0EEEEE10hipError_tT1_PNSt15iterator_traitsISG_E10value_typeET2_T3_PNSH_ISM_E10value_typeET4_T5_PSR_SS_PNS1_23onesweep_lookback_stateEbbT6_jjT7_P12ihipStream_tbENKUlT_T0_SG_SL_E_clISA_SA_SB_SB_EEDaSZ_S10_SG_SL_EUlSZ_E_NS1_11comp_targetILNS1_3genE3ELNS1_11target_archE908ELNS1_3gpuE7ELNS1_3repE0EEENS1_47radix_sort_onesweep_sort_config_static_selectorELNS0_4arch9wavefront6targetE0EEEvSG_,"axG",@progbits,_ZN7rocprim17ROCPRIM_400000_NS6detail17trampoline_kernelINS0_14default_configENS1_35radix_sort_onesweep_config_selectorIfNS0_10empty_typeEEEZZNS1_29radix_sort_onesweep_iterationIS3_Lb1EPKfPfPS5_SB_mNS0_19identity_decomposerENS1_16block_id_wrapperIjLb0EEEEE10hipError_tT1_PNSt15iterator_traitsISG_E10value_typeET2_T3_PNSH_ISM_E10value_typeET4_T5_PSR_SS_PNS1_23onesweep_lookback_stateEbbT6_jjT7_P12ihipStream_tbENKUlT_T0_SG_SL_E_clISA_SA_SB_SB_EEDaSZ_S10_SG_SL_EUlSZ_E_NS1_11comp_targetILNS1_3genE3ELNS1_11target_archE908ELNS1_3gpuE7ELNS1_3repE0EEENS1_47radix_sort_onesweep_sort_config_static_selectorELNS0_4arch9wavefront6targetE0EEEvSG_,comdat
.Lfunc_end1351:
	.size	_ZN7rocprim17ROCPRIM_400000_NS6detail17trampoline_kernelINS0_14default_configENS1_35radix_sort_onesweep_config_selectorIfNS0_10empty_typeEEEZZNS1_29radix_sort_onesweep_iterationIS3_Lb1EPKfPfPS5_SB_mNS0_19identity_decomposerENS1_16block_id_wrapperIjLb0EEEEE10hipError_tT1_PNSt15iterator_traitsISG_E10value_typeET2_T3_PNSH_ISM_E10value_typeET4_T5_PSR_SS_PNS1_23onesweep_lookback_stateEbbT6_jjT7_P12ihipStream_tbENKUlT_T0_SG_SL_E_clISA_SA_SB_SB_EEDaSZ_S10_SG_SL_EUlSZ_E_NS1_11comp_targetILNS1_3genE3ELNS1_11target_archE908ELNS1_3gpuE7ELNS1_3repE0EEENS1_47radix_sort_onesweep_sort_config_static_selectorELNS0_4arch9wavefront6targetE0EEEvSG_, .Lfunc_end1351-_ZN7rocprim17ROCPRIM_400000_NS6detail17trampoline_kernelINS0_14default_configENS1_35radix_sort_onesweep_config_selectorIfNS0_10empty_typeEEEZZNS1_29radix_sort_onesweep_iterationIS3_Lb1EPKfPfPS5_SB_mNS0_19identity_decomposerENS1_16block_id_wrapperIjLb0EEEEE10hipError_tT1_PNSt15iterator_traitsISG_E10value_typeET2_T3_PNSH_ISM_E10value_typeET4_T5_PSR_SS_PNS1_23onesweep_lookback_stateEbbT6_jjT7_P12ihipStream_tbENKUlT_T0_SG_SL_E_clISA_SA_SB_SB_EEDaSZ_S10_SG_SL_EUlSZ_E_NS1_11comp_targetILNS1_3genE3ELNS1_11target_archE908ELNS1_3gpuE7ELNS1_3repE0EEENS1_47radix_sort_onesweep_sort_config_static_selectorELNS0_4arch9wavefront6targetE0EEEvSG_
                                        ; -- End function
	.set _ZN7rocprim17ROCPRIM_400000_NS6detail17trampoline_kernelINS0_14default_configENS1_35radix_sort_onesweep_config_selectorIfNS0_10empty_typeEEEZZNS1_29radix_sort_onesweep_iterationIS3_Lb1EPKfPfPS5_SB_mNS0_19identity_decomposerENS1_16block_id_wrapperIjLb0EEEEE10hipError_tT1_PNSt15iterator_traitsISG_E10value_typeET2_T3_PNSH_ISM_E10value_typeET4_T5_PSR_SS_PNS1_23onesweep_lookback_stateEbbT6_jjT7_P12ihipStream_tbENKUlT_T0_SG_SL_E_clISA_SA_SB_SB_EEDaSZ_S10_SG_SL_EUlSZ_E_NS1_11comp_targetILNS1_3genE3ELNS1_11target_archE908ELNS1_3gpuE7ELNS1_3repE0EEENS1_47radix_sort_onesweep_sort_config_static_selectorELNS0_4arch9wavefront6targetE0EEEvSG_.num_vgpr, 0
	.set _ZN7rocprim17ROCPRIM_400000_NS6detail17trampoline_kernelINS0_14default_configENS1_35radix_sort_onesweep_config_selectorIfNS0_10empty_typeEEEZZNS1_29radix_sort_onesweep_iterationIS3_Lb1EPKfPfPS5_SB_mNS0_19identity_decomposerENS1_16block_id_wrapperIjLb0EEEEE10hipError_tT1_PNSt15iterator_traitsISG_E10value_typeET2_T3_PNSH_ISM_E10value_typeET4_T5_PSR_SS_PNS1_23onesweep_lookback_stateEbbT6_jjT7_P12ihipStream_tbENKUlT_T0_SG_SL_E_clISA_SA_SB_SB_EEDaSZ_S10_SG_SL_EUlSZ_E_NS1_11comp_targetILNS1_3genE3ELNS1_11target_archE908ELNS1_3gpuE7ELNS1_3repE0EEENS1_47radix_sort_onesweep_sort_config_static_selectorELNS0_4arch9wavefront6targetE0EEEvSG_.num_agpr, 0
	.set _ZN7rocprim17ROCPRIM_400000_NS6detail17trampoline_kernelINS0_14default_configENS1_35radix_sort_onesweep_config_selectorIfNS0_10empty_typeEEEZZNS1_29radix_sort_onesweep_iterationIS3_Lb1EPKfPfPS5_SB_mNS0_19identity_decomposerENS1_16block_id_wrapperIjLb0EEEEE10hipError_tT1_PNSt15iterator_traitsISG_E10value_typeET2_T3_PNSH_ISM_E10value_typeET4_T5_PSR_SS_PNS1_23onesweep_lookback_stateEbbT6_jjT7_P12ihipStream_tbENKUlT_T0_SG_SL_E_clISA_SA_SB_SB_EEDaSZ_S10_SG_SL_EUlSZ_E_NS1_11comp_targetILNS1_3genE3ELNS1_11target_archE908ELNS1_3gpuE7ELNS1_3repE0EEENS1_47radix_sort_onesweep_sort_config_static_selectorELNS0_4arch9wavefront6targetE0EEEvSG_.numbered_sgpr, 0
	.set _ZN7rocprim17ROCPRIM_400000_NS6detail17trampoline_kernelINS0_14default_configENS1_35radix_sort_onesweep_config_selectorIfNS0_10empty_typeEEEZZNS1_29radix_sort_onesweep_iterationIS3_Lb1EPKfPfPS5_SB_mNS0_19identity_decomposerENS1_16block_id_wrapperIjLb0EEEEE10hipError_tT1_PNSt15iterator_traitsISG_E10value_typeET2_T3_PNSH_ISM_E10value_typeET4_T5_PSR_SS_PNS1_23onesweep_lookback_stateEbbT6_jjT7_P12ihipStream_tbENKUlT_T0_SG_SL_E_clISA_SA_SB_SB_EEDaSZ_S10_SG_SL_EUlSZ_E_NS1_11comp_targetILNS1_3genE3ELNS1_11target_archE908ELNS1_3gpuE7ELNS1_3repE0EEENS1_47radix_sort_onesweep_sort_config_static_selectorELNS0_4arch9wavefront6targetE0EEEvSG_.num_named_barrier, 0
	.set _ZN7rocprim17ROCPRIM_400000_NS6detail17trampoline_kernelINS0_14default_configENS1_35radix_sort_onesweep_config_selectorIfNS0_10empty_typeEEEZZNS1_29radix_sort_onesweep_iterationIS3_Lb1EPKfPfPS5_SB_mNS0_19identity_decomposerENS1_16block_id_wrapperIjLb0EEEEE10hipError_tT1_PNSt15iterator_traitsISG_E10value_typeET2_T3_PNSH_ISM_E10value_typeET4_T5_PSR_SS_PNS1_23onesweep_lookback_stateEbbT6_jjT7_P12ihipStream_tbENKUlT_T0_SG_SL_E_clISA_SA_SB_SB_EEDaSZ_S10_SG_SL_EUlSZ_E_NS1_11comp_targetILNS1_3genE3ELNS1_11target_archE908ELNS1_3gpuE7ELNS1_3repE0EEENS1_47radix_sort_onesweep_sort_config_static_selectorELNS0_4arch9wavefront6targetE0EEEvSG_.private_seg_size, 0
	.set _ZN7rocprim17ROCPRIM_400000_NS6detail17trampoline_kernelINS0_14default_configENS1_35radix_sort_onesweep_config_selectorIfNS0_10empty_typeEEEZZNS1_29radix_sort_onesweep_iterationIS3_Lb1EPKfPfPS5_SB_mNS0_19identity_decomposerENS1_16block_id_wrapperIjLb0EEEEE10hipError_tT1_PNSt15iterator_traitsISG_E10value_typeET2_T3_PNSH_ISM_E10value_typeET4_T5_PSR_SS_PNS1_23onesweep_lookback_stateEbbT6_jjT7_P12ihipStream_tbENKUlT_T0_SG_SL_E_clISA_SA_SB_SB_EEDaSZ_S10_SG_SL_EUlSZ_E_NS1_11comp_targetILNS1_3genE3ELNS1_11target_archE908ELNS1_3gpuE7ELNS1_3repE0EEENS1_47radix_sort_onesweep_sort_config_static_selectorELNS0_4arch9wavefront6targetE0EEEvSG_.uses_vcc, 0
	.set _ZN7rocprim17ROCPRIM_400000_NS6detail17trampoline_kernelINS0_14default_configENS1_35radix_sort_onesweep_config_selectorIfNS0_10empty_typeEEEZZNS1_29radix_sort_onesweep_iterationIS3_Lb1EPKfPfPS5_SB_mNS0_19identity_decomposerENS1_16block_id_wrapperIjLb0EEEEE10hipError_tT1_PNSt15iterator_traitsISG_E10value_typeET2_T3_PNSH_ISM_E10value_typeET4_T5_PSR_SS_PNS1_23onesweep_lookback_stateEbbT6_jjT7_P12ihipStream_tbENKUlT_T0_SG_SL_E_clISA_SA_SB_SB_EEDaSZ_S10_SG_SL_EUlSZ_E_NS1_11comp_targetILNS1_3genE3ELNS1_11target_archE908ELNS1_3gpuE7ELNS1_3repE0EEENS1_47radix_sort_onesweep_sort_config_static_selectorELNS0_4arch9wavefront6targetE0EEEvSG_.uses_flat_scratch, 0
	.set _ZN7rocprim17ROCPRIM_400000_NS6detail17trampoline_kernelINS0_14default_configENS1_35radix_sort_onesweep_config_selectorIfNS0_10empty_typeEEEZZNS1_29radix_sort_onesweep_iterationIS3_Lb1EPKfPfPS5_SB_mNS0_19identity_decomposerENS1_16block_id_wrapperIjLb0EEEEE10hipError_tT1_PNSt15iterator_traitsISG_E10value_typeET2_T3_PNSH_ISM_E10value_typeET4_T5_PSR_SS_PNS1_23onesweep_lookback_stateEbbT6_jjT7_P12ihipStream_tbENKUlT_T0_SG_SL_E_clISA_SA_SB_SB_EEDaSZ_S10_SG_SL_EUlSZ_E_NS1_11comp_targetILNS1_3genE3ELNS1_11target_archE908ELNS1_3gpuE7ELNS1_3repE0EEENS1_47radix_sort_onesweep_sort_config_static_selectorELNS0_4arch9wavefront6targetE0EEEvSG_.has_dyn_sized_stack, 0
	.set _ZN7rocprim17ROCPRIM_400000_NS6detail17trampoline_kernelINS0_14default_configENS1_35radix_sort_onesweep_config_selectorIfNS0_10empty_typeEEEZZNS1_29radix_sort_onesweep_iterationIS3_Lb1EPKfPfPS5_SB_mNS0_19identity_decomposerENS1_16block_id_wrapperIjLb0EEEEE10hipError_tT1_PNSt15iterator_traitsISG_E10value_typeET2_T3_PNSH_ISM_E10value_typeET4_T5_PSR_SS_PNS1_23onesweep_lookback_stateEbbT6_jjT7_P12ihipStream_tbENKUlT_T0_SG_SL_E_clISA_SA_SB_SB_EEDaSZ_S10_SG_SL_EUlSZ_E_NS1_11comp_targetILNS1_3genE3ELNS1_11target_archE908ELNS1_3gpuE7ELNS1_3repE0EEENS1_47radix_sort_onesweep_sort_config_static_selectorELNS0_4arch9wavefront6targetE0EEEvSG_.has_recursion, 0
	.set _ZN7rocprim17ROCPRIM_400000_NS6detail17trampoline_kernelINS0_14default_configENS1_35radix_sort_onesweep_config_selectorIfNS0_10empty_typeEEEZZNS1_29radix_sort_onesweep_iterationIS3_Lb1EPKfPfPS5_SB_mNS0_19identity_decomposerENS1_16block_id_wrapperIjLb0EEEEE10hipError_tT1_PNSt15iterator_traitsISG_E10value_typeET2_T3_PNSH_ISM_E10value_typeET4_T5_PSR_SS_PNS1_23onesweep_lookback_stateEbbT6_jjT7_P12ihipStream_tbENKUlT_T0_SG_SL_E_clISA_SA_SB_SB_EEDaSZ_S10_SG_SL_EUlSZ_E_NS1_11comp_targetILNS1_3genE3ELNS1_11target_archE908ELNS1_3gpuE7ELNS1_3repE0EEENS1_47radix_sort_onesweep_sort_config_static_selectorELNS0_4arch9wavefront6targetE0EEEvSG_.has_indirect_call, 0
	.section	.AMDGPU.csdata,"",@progbits
; Kernel info:
; codeLenInByte = 0
; TotalNumSgprs: 0
; NumVgprs: 0
; ScratchSize: 0
; MemoryBound: 0
; FloatMode: 240
; IeeeMode: 1
; LDSByteSize: 0 bytes/workgroup (compile time only)
; SGPRBlocks: 0
; VGPRBlocks: 0
; NumSGPRsForWavesPerEU: 1
; NumVGPRsForWavesPerEU: 1
; NamedBarCnt: 0
; Occupancy: 16
; WaveLimiterHint : 0
; COMPUTE_PGM_RSRC2:SCRATCH_EN: 0
; COMPUTE_PGM_RSRC2:USER_SGPR: 2
; COMPUTE_PGM_RSRC2:TRAP_HANDLER: 0
; COMPUTE_PGM_RSRC2:TGID_X_EN: 1
; COMPUTE_PGM_RSRC2:TGID_Y_EN: 0
; COMPUTE_PGM_RSRC2:TGID_Z_EN: 0
; COMPUTE_PGM_RSRC2:TIDIG_COMP_CNT: 0
	.section	.text._ZN7rocprim17ROCPRIM_400000_NS6detail17trampoline_kernelINS0_14default_configENS1_35radix_sort_onesweep_config_selectorIfNS0_10empty_typeEEEZZNS1_29radix_sort_onesweep_iterationIS3_Lb1EPKfPfPS5_SB_mNS0_19identity_decomposerENS1_16block_id_wrapperIjLb0EEEEE10hipError_tT1_PNSt15iterator_traitsISG_E10value_typeET2_T3_PNSH_ISM_E10value_typeET4_T5_PSR_SS_PNS1_23onesweep_lookback_stateEbbT6_jjT7_P12ihipStream_tbENKUlT_T0_SG_SL_E_clISA_SA_SB_SB_EEDaSZ_S10_SG_SL_EUlSZ_E_NS1_11comp_targetILNS1_3genE10ELNS1_11target_archE1201ELNS1_3gpuE5ELNS1_3repE0EEENS1_47radix_sort_onesweep_sort_config_static_selectorELNS0_4arch9wavefront6targetE0EEEvSG_,"axG",@progbits,_ZN7rocprim17ROCPRIM_400000_NS6detail17trampoline_kernelINS0_14default_configENS1_35radix_sort_onesweep_config_selectorIfNS0_10empty_typeEEEZZNS1_29radix_sort_onesweep_iterationIS3_Lb1EPKfPfPS5_SB_mNS0_19identity_decomposerENS1_16block_id_wrapperIjLb0EEEEE10hipError_tT1_PNSt15iterator_traitsISG_E10value_typeET2_T3_PNSH_ISM_E10value_typeET4_T5_PSR_SS_PNS1_23onesweep_lookback_stateEbbT6_jjT7_P12ihipStream_tbENKUlT_T0_SG_SL_E_clISA_SA_SB_SB_EEDaSZ_S10_SG_SL_EUlSZ_E_NS1_11comp_targetILNS1_3genE10ELNS1_11target_archE1201ELNS1_3gpuE5ELNS1_3repE0EEENS1_47radix_sort_onesweep_sort_config_static_selectorELNS0_4arch9wavefront6targetE0EEEvSG_,comdat
	.protected	_ZN7rocprim17ROCPRIM_400000_NS6detail17trampoline_kernelINS0_14default_configENS1_35radix_sort_onesweep_config_selectorIfNS0_10empty_typeEEEZZNS1_29radix_sort_onesweep_iterationIS3_Lb1EPKfPfPS5_SB_mNS0_19identity_decomposerENS1_16block_id_wrapperIjLb0EEEEE10hipError_tT1_PNSt15iterator_traitsISG_E10value_typeET2_T3_PNSH_ISM_E10value_typeET4_T5_PSR_SS_PNS1_23onesweep_lookback_stateEbbT6_jjT7_P12ihipStream_tbENKUlT_T0_SG_SL_E_clISA_SA_SB_SB_EEDaSZ_S10_SG_SL_EUlSZ_E_NS1_11comp_targetILNS1_3genE10ELNS1_11target_archE1201ELNS1_3gpuE5ELNS1_3repE0EEENS1_47radix_sort_onesweep_sort_config_static_selectorELNS0_4arch9wavefront6targetE0EEEvSG_ ; -- Begin function _ZN7rocprim17ROCPRIM_400000_NS6detail17trampoline_kernelINS0_14default_configENS1_35radix_sort_onesweep_config_selectorIfNS0_10empty_typeEEEZZNS1_29radix_sort_onesweep_iterationIS3_Lb1EPKfPfPS5_SB_mNS0_19identity_decomposerENS1_16block_id_wrapperIjLb0EEEEE10hipError_tT1_PNSt15iterator_traitsISG_E10value_typeET2_T3_PNSH_ISM_E10value_typeET4_T5_PSR_SS_PNS1_23onesweep_lookback_stateEbbT6_jjT7_P12ihipStream_tbENKUlT_T0_SG_SL_E_clISA_SA_SB_SB_EEDaSZ_S10_SG_SL_EUlSZ_E_NS1_11comp_targetILNS1_3genE10ELNS1_11target_archE1201ELNS1_3gpuE5ELNS1_3repE0EEENS1_47radix_sort_onesweep_sort_config_static_selectorELNS0_4arch9wavefront6targetE0EEEvSG_
	.globl	_ZN7rocprim17ROCPRIM_400000_NS6detail17trampoline_kernelINS0_14default_configENS1_35radix_sort_onesweep_config_selectorIfNS0_10empty_typeEEEZZNS1_29radix_sort_onesweep_iterationIS3_Lb1EPKfPfPS5_SB_mNS0_19identity_decomposerENS1_16block_id_wrapperIjLb0EEEEE10hipError_tT1_PNSt15iterator_traitsISG_E10value_typeET2_T3_PNSH_ISM_E10value_typeET4_T5_PSR_SS_PNS1_23onesweep_lookback_stateEbbT6_jjT7_P12ihipStream_tbENKUlT_T0_SG_SL_E_clISA_SA_SB_SB_EEDaSZ_S10_SG_SL_EUlSZ_E_NS1_11comp_targetILNS1_3genE10ELNS1_11target_archE1201ELNS1_3gpuE5ELNS1_3repE0EEENS1_47radix_sort_onesweep_sort_config_static_selectorELNS0_4arch9wavefront6targetE0EEEvSG_
	.p2align	8
	.type	_ZN7rocprim17ROCPRIM_400000_NS6detail17trampoline_kernelINS0_14default_configENS1_35radix_sort_onesweep_config_selectorIfNS0_10empty_typeEEEZZNS1_29radix_sort_onesweep_iterationIS3_Lb1EPKfPfPS5_SB_mNS0_19identity_decomposerENS1_16block_id_wrapperIjLb0EEEEE10hipError_tT1_PNSt15iterator_traitsISG_E10value_typeET2_T3_PNSH_ISM_E10value_typeET4_T5_PSR_SS_PNS1_23onesweep_lookback_stateEbbT6_jjT7_P12ihipStream_tbENKUlT_T0_SG_SL_E_clISA_SA_SB_SB_EEDaSZ_S10_SG_SL_EUlSZ_E_NS1_11comp_targetILNS1_3genE10ELNS1_11target_archE1201ELNS1_3gpuE5ELNS1_3repE0EEENS1_47radix_sort_onesweep_sort_config_static_selectorELNS0_4arch9wavefront6targetE0EEEvSG_,@function
_ZN7rocprim17ROCPRIM_400000_NS6detail17trampoline_kernelINS0_14default_configENS1_35radix_sort_onesweep_config_selectorIfNS0_10empty_typeEEEZZNS1_29radix_sort_onesweep_iterationIS3_Lb1EPKfPfPS5_SB_mNS0_19identity_decomposerENS1_16block_id_wrapperIjLb0EEEEE10hipError_tT1_PNSt15iterator_traitsISG_E10value_typeET2_T3_PNSH_ISM_E10value_typeET4_T5_PSR_SS_PNS1_23onesweep_lookback_stateEbbT6_jjT7_P12ihipStream_tbENKUlT_T0_SG_SL_E_clISA_SA_SB_SB_EEDaSZ_S10_SG_SL_EUlSZ_E_NS1_11comp_targetILNS1_3genE10ELNS1_11target_archE1201ELNS1_3gpuE5ELNS1_3repE0EEENS1_47radix_sort_onesweep_sort_config_static_selectorELNS0_4arch9wavefront6targetE0EEEvSG_: ; @_ZN7rocprim17ROCPRIM_400000_NS6detail17trampoline_kernelINS0_14default_configENS1_35radix_sort_onesweep_config_selectorIfNS0_10empty_typeEEEZZNS1_29radix_sort_onesweep_iterationIS3_Lb1EPKfPfPS5_SB_mNS0_19identity_decomposerENS1_16block_id_wrapperIjLb0EEEEE10hipError_tT1_PNSt15iterator_traitsISG_E10value_typeET2_T3_PNSH_ISM_E10value_typeET4_T5_PSR_SS_PNS1_23onesweep_lookback_stateEbbT6_jjT7_P12ihipStream_tbENKUlT_T0_SG_SL_E_clISA_SA_SB_SB_EEDaSZ_S10_SG_SL_EUlSZ_E_NS1_11comp_targetILNS1_3genE10ELNS1_11target_archE1201ELNS1_3gpuE5ELNS1_3repE0EEENS1_47radix_sort_onesweep_sort_config_static_selectorELNS0_4arch9wavefront6targetE0EEEvSG_
; %bb.0:
	.section	.rodata,"a",@progbits
	.p2align	6, 0x0
	.amdhsa_kernel _ZN7rocprim17ROCPRIM_400000_NS6detail17trampoline_kernelINS0_14default_configENS1_35radix_sort_onesweep_config_selectorIfNS0_10empty_typeEEEZZNS1_29radix_sort_onesweep_iterationIS3_Lb1EPKfPfPS5_SB_mNS0_19identity_decomposerENS1_16block_id_wrapperIjLb0EEEEE10hipError_tT1_PNSt15iterator_traitsISG_E10value_typeET2_T3_PNSH_ISM_E10value_typeET4_T5_PSR_SS_PNS1_23onesweep_lookback_stateEbbT6_jjT7_P12ihipStream_tbENKUlT_T0_SG_SL_E_clISA_SA_SB_SB_EEDaSZ_S10_SG_SL_EUlSZ_E_NS1_11comp_targetILNS1_3genE10ELNS1_11target_archE1201ELNS1_3gpuE5ELNS1_3repE0EEENS1_47radix_sort_onesweep_sort_config_static_selectorELNS0_4arch9wavefront6targetE0EEEvSG_
		.amdhsa_group_segment_fixed_size 0
		.amdhsa_private_segment_fixed_size 0
		.amdhsa_kernarg_size 88
		.amdhsa_user_sgpr_count 2
		.amdhsa_user_sgpr_dispatch_ptr 0
		.amdhsa_user_sgpr_queue_ptr 0
		.amdhsa_user_sgpr_kernarg_segment_ptr 1
		.amdhsa_user_sgpr_dispatch_id 0
		.amdhsa_user_sgpr_kernarg_preload_length 0
		.amdhsa_user_sgpr_kernarg_preload_offset 0
		.amdhsa_user_sgpr_private_segment_size 0
		.amdhsa_wavefront_size32 1
		.amdhsa_uses_dynamic_stack 0
		.amdhsa_enable_private_segment 0
		.amdhsa_system_sgpr_workgroup_id_x 1
		.amdhsa_system_sgpr_workgroup_id_y 0
		.amdhsa_system_sgpr_workgroup_id_z 0
		.amdhsa_system_sgpr_workgroup_info 0
		.amdhsa_system_vgpr_workitem_id 0
		.amdhsa_next_free_vgpr 1
		.amdhsa_next_free_sgpr 1
		.amdhsa_named_barrier_count 0
		.amdhsa_reserve_vcc 0
		.amdhsa_float_round_mode_32 0
		.amdhsa_float_round_mode_16_64 0
		.amdhsa_float_denorm_mode_32 3
		.amdhsa_float_denorm_mode_16_64 3
		.amdhsa_fp16_overflow 0
		.amdhsa_memory_ordered 1
		.amdhsa_forward_progress 1
		.amdhsa_inst_pref_size 0
		.amdhsa_round_robin_scheduling 0
		.amdhsa_exception_fp_ieee_invalid_op 0
		.amdhsa_exception_fp_denorm_src 0
		.amdhsa_exception_fp_ieee_div_zero 0
		.amdhsa_exception_fp_ieee_overflow 0
		.amdhsa_exception_fp_ieee_underflow 0
		.amdhsa_exception_fp_ieee_inexact 0
		.amdhsa_exception_int_div_zero 0
	.end_amdhsa_kernel
	.section	.text._ZN7rocprim17ROCPRIM_400000_NS6detail17trampoline_kernelINS0_14default_configENS1_35radix_sort_onesweep_config_selectorIfNS0_10empty_typeEEEZZNS1_29radix_sort_onesweep_iterationIS3_Lb1EPKfPfPS5_SB_mNS0_19identity_decomposerENS1_16block_id_wrapperIjLb0EEEEE10hipError_tT1_PNSt15iterator_traitsISG_E10value_typeET2_T3_PNSH_ISM_E10value_typeET4_T5_PSR_SS_PNS1_23onesweep_lookback_stateEbbT6_jjT7_P12ihipStream_tbENKUlT_T0_SG_SL_E_clISA_SA_SB_SB_EEDaSZ_S10_SG_SL_EUlSZ_E_NS1_11comp_targetILNS1_3genE10ELNS1_11target_archE1201ELNS1_3gpuE5ELNS1_3repE0EEENS1_47radix_sort_onesweep_sort_config_static_selectorELNS0_4arch9wavefront6targetE0EEEvSG_,"axG",@progbits,_ZN7rocprim17ROCPRIM_400000_NS6detail17trampoline_kernelINS0_14default_configENS1_35radix_sort_onesweep_config_selectorIfNS0_10empty_typeEEEZZNS1_29radix_sort_onesweep_iterationIS3_Lb1EPKfPfPS5_SB_mNS0_19identity_decomposerENS1_16block_id_wrapperIjLb0EEEEE10hipError_tT1_PNSt15iterator_traitsISG_E10value_typeET2_T3_PNSH_ISM_E10value_typeET4_T5_PSR_SS_PNS1_23onesweep_lookback_stateEbbT6_jjT7_P12ihipStream_tbENKUlT_T0_SG_SL_E_clISA_SA_SB_SB_EEDaSZ_S10_SG_SL_EUlSZ_E_NS1_11comp_targetILNS1_3genE10ELNS1_11target_archE1201ELNS1_3gpuE5ELNS1_3repE0EEENS1_47radix_sort_onesweep_sort_config_static_selectorELNS0_4arch9wavefront6targetE0EEEvSG_,comdat
.Lfunc_end1352:
	.size	_ZN7rocprim17ROCPRIM_400000_NS6detail17trampoline_kernelINS0_14default_configENS1_35radix_sort_onesweep_config_selectorIfNS0_10empty_typeEEEZZNS1_29radix_sort_onesweep_iterationIS3_Lb1EPKfPfPS5_SB_mNS0_19identity_decomposerENS1_16block_id_wrapperIjLb0EEEEE10hipError_tT1_PNSt15iterator_traitsISG_E10value_typeET2_T3_PNSH_ISM_E10value_typeET4_T5_PSR_SS_PNS1_23onesweep_lookback_stateEbbT6_jjT7_P12ihipStream_tbENKUlT_T0_SG_SL_E_clISA_SA_SB_SB_EEDaSZ_S10_SG_SL_EUlSZ_E_NS1_11comp_targetILNS1_3genE10ELNS1_11target_archE1201ELNS1_3gpuE5ELNS1_3repE0EEENS1_47radix_sort_onesweep_sort_config_static_selectorELNS0_4arch9wavefront6targetE0EEEvSG_, .Lfunc_end1352-_ZN7rocprim17ROCPRIM_400000_NS6detail17trampoline_kernelINS0_14default_configENS1_35radix_sort_onesweep_config_selectorIfNS0_10empty_typeEEEZZNS1_29radix_sort_onesweep_iterationIS3_Lb1EPKfPfPS5_SB_mNS0_19identity_decomposerENS1_16block_id_wrapperIjLb0EEEEE10hipError_tT1_PNSt15iterator_traitsISG_E10value_typeET2_T3_PNSH_ISM_E10value_typeET4_T5_PSR_SS_PNS1_23onesweep_lookback_stateEbbT6_jjT7_P12ihipStream_tbENKUlT_T0_SG_SL_E_clISA_SA_SB_SB_EEDaSZ_S10_SG_SL_EUlSZ_E_NS1_11comp_targetILNS1_3genE10ELNS1_11target_archE1201ELNS1_3gpuE5ELNS1_3repE0EEENS1_47radix_sort_onesweep_sort_config_static_selectorELNS0_4arch9wavefront6targetE0EEEvSG_
                                        ; -- End function
	.set _ZN7rocprim17ROCPRIM_400000_NS6detail17trampoline_kernelINS0_14default_configENS1_35radix_sort_onesweep_config_selectorIfNS0_10empty_typeEEEZZNS1_29radix_sort_onesweep_iterationIS3_Lb1EPKfPfPS5_SB_mNS0_19identity_decomposerENS1_16block_id_wrapperIjLb0EEEEE10hipError_tT1_PNSt15iterator_traitsISG_E10value_typeET2_T3_PNSH_ISM_E10value_typeET4_T5_PSR_SS_PNS1_23onesweep_lookback_stateEbbT6_jjT7_P12ihipStream_tbENKUlT_T0_SG_SL_E_clISA_SA_SB_SB_EEDaSZ_S10_SG_SL_EUlSZ_E_NS1_11comp_targetILNS1_3genE10ELNS1_11target_archE1201ELNS1_3gpuE5ELNS1_3repE0EEENS1_47radix_sort_onesweep_sort_config_static_selectorELNS0_4arch9wavefront6targetE0EEEvSG_.num_vgpr, 0
	.set _ZN7rocprim17ROCPRIM_400000_NS6detail17trampoline_kernelINS0_14default_configENS1_35radix_sort_onesweep_config_selectorIfNS0_10empty_typeEEEZZNS1_29radix_sort_onesweep_iterationIS3_Lb1EPKfPfPS5_SB_mNS0_19identity_decomposerENS1_16block_id_wrapperIjLb0EEEEE10hipError_tT1_PNSt15iterator_traitsISG_E10value_typeET2_T3_PNSH_ISM_E10value_typeET4_T5_PSR_SS_PNS1_23onesweep_lookback_stateEbbT6_jjT7_P12ihipStream_tbENKUlT_T0_SG_SL_E_clISA_SA_SB_SB_EEDaSZ_S10_SG_SL_EUlSZ_E_NS1_11comp_targetILNS1_3genE10ELNS1_11target_archE1201ELNS1_3gpuE5ELNS1_3repE0EEENS1_47radix_sort_onesweep_sort_config_static_selectorELNS0_4arch9wavefront6targetE0EEEvSG_.num_agpr, 0
	.set _ZN7rocprim17ROCPRIM_400000_NS6detail17trampoline_kernelINS0_14default_configENS1_35radix_sort_onesweep_config_selectorIfNS0_10empty_typeEEEZZNS1_29radix_sort_onesweep_iterationIS3_Lb1EPKfPfPS5_SB_mNS0_19identity_decomposerENS1_16block_id_wrapperIjLb0EEEEE10hipError_tT1_PNSt15iterator_traitsISG_E10value_typeET2_T3_PNSH_ISM_E10value_typeET4_T5_PSR_SS_PNS1_23onesweep_lookback_stateEbbT6_jjT7_P12ihipStream_tbENKUlT_T0_SG_SL_E_clISA_SA_SB_SB_EEDaSZ_S10_SG_SL_EUlSZ_E_NS1_11comp_targetILNS1_3genE10ELNS1_11target_archE1201ELNS1_3gpuE5ELNS1_3repE0EEENS1_47radix_sort_onesweep_sort_config_static_selectorELNS0_4arch9wavefront6targetE0EEEvSG_.numbered_sgpr, 0
	.set _ZN7rocprim17ROCPRIM_400000_NS6detail17trampoline_kernelINS0_14default_configENS1_35radix_sort_onesweep_config_selectorIfNS0_10empty_typeEEEZZNS1_29radix_sort_onesweep_iterationIS3_Lb1EPKfPfPS5_SB_mNS0_19identity_decomposerENS1_16block_id_wrapperIjLb0EEEEE10hipError_tT1_PNSt15iterator_traitsISG_E10value_typeET2_T3_PNSH_ISM_E10value_typeET4_T5_PSR_SS_PNS1_23onesweep_lookback_stateEbbT6_jjT7_P12ihipStream_tbENKUlT_T0_SG_SL_E_clISA_SA_SB_SB_EEDaSZ_S10_SG_SL_EUlSZ_E_NS1_11comp_targetILNS1_3genE10ELNS1_11target_archE1201ELNS1_3gpuE5ELNS1_3repE0EEENS1_47radix_sort_onesweep_sort_config_static_selectorELNS0_4arch9wavefront6targetE0EEEvSG_.num_named_barrier, 0
	.set _ZN7rocprim17ROCPRIM_400000_NS6detail17trampoline_kernelINS0_14default_configENS1_35radix_sort_onesweep_config_selectorIfNS0_10empty_typeEEEZZNS1_29radix_sort_onesweep_iterationIS3_Lb1EPKfPfPS5_SB_mNS0_19identity_decomposerENS1_16block_id_wrapperIjLb0EEEEE10hipError_tT1_PNSt15iterator_traitsISG_E10value_typeET2_T3_PNSH_ISM_E10value_typeET4_T5_PSR_SS_PNS1_23onesweep_lookback_stateEbbT6_jjT7_P12ihipStream_tbENKUlT_T0_SG_SL_E_clISA_SA_SB_SB_EEDaSZ_S10_SG_SL_EUlSZ_E_NS1_11comp_targetILNS1_3genE10ELNS1_11target_archE1201ELNS1_3gpuE5ELNS1_3repE0EEENS1_47radix_sort_onesweep_sort_config_static_selectorELNS0_4arch9wavefront6targetE0EEEvSG_.private_seg_size, 0
	.set _ZN7rocprim17ROCPRIM_400000_NS6detail17trampoline_kernelINS0_14default_configENS1_35radix_sort_onesweep_config_selectorIfNS0_10empty_typeEEEZZNS1_29radix_sort_onesweep_iterationIS3_Lb1EPKfPfPS5_SB_mNS0_19identity_decomposerENS1_16block_id_wrapperIjLb0EEEEE10hipError_tT1_PNSt15iterator_traitsISG_E10value_typeET2_T3_PNSH_ISM_E10value_typeET4_T5_PSR_SS_PNS1_23onesweep_lookback_stateEbbT6_jjT7_P12ihipStream_tbENKUlT_T0_SG_SL_E_clISA_SA_SB_SB_EEDaSZ_S10_SG_SL_EUlSZ_E_NS1_11comp_targetILNS1_3genE10ELNS1_11target_archE1201ELNS1_3gpuE5ELNS1_3repE0EEENS1_47radix_sort_onesweep_sort_config_static_selectorELNS0_4arch9wavefront6targetE0EEEvSG_.uses_vcc, 0
	.set _ZN7rocprim17ROCPRIM_400000_NS6detail17trampoline_kernelINS0_14default_configENS1_35radix_sort_onesweep_config_selectorIfNS0_10empty_typeEEEZZNS1_29radix_sort_onesweep_iterationIS3_Lb1EPKfPfPS5_SB_mNS0_19identity_decomposerENS1_16block_id_wrapperIjLb0EEEEE10hipError_tT1_PNSt15iterator_traitsISG_E10value_typeET2_T3_PNSH_ISM_E10value_typeET4_T5_PSR_SS_PNS1_23onesweep_lookback_stateEbbT6_jjT7_P12ihipStream_tbENKUlT_T0_SG_SL_E_clISA_SA_SB_SB_EEDaSZ_S10_SG_SL_EUlSZ_E_NS1_11comp_targetILNS1_3genE10ELNS1_11target_archE1201ELNS1_3gpuE5ELNS1_3repE0EEENS1_47radix_sort_onesweep_sort_config_static_selectorELNS0_4arch9wavefront6targetE0EEEvSG_.uses_flat_scratch, 0
	.set _ZN7rocprim17ROCPRIM_400000_NS6detail17trampoline_kernelINS0_14default_configENS1_35radix_sort_onesweep_config_selectorIfNS0_10empty_typeEEEZZNS1_29radix_sort_onesweep_iterationIS3_Lb1EPKfPfPS5_SB_mNS0_19identity_decomposerENS1_16block_id_wrapperIjLb0EEEEE10hipError_tT1_PNSt15iterator_traitsISG_E10value_typeET2_T3_PNSH_ISM_E10value_typeET4_T5_PSR_SS_PNS1_23onesweep_lookback_stateEbbT6_jjT7_P12ihipStream_tbENKUlT_T0_SG_SL_E_clISA_SA_SB_SB_EEDaSZ_S10_SG_SL_EUlSZ_E_NS1_11comp_targetILNS1_3genE10ELNS1_11target_archE1201ELNS1_3gpuE5ELNS1_3repE0EEENS1_47radix_sort_onesweep_sort_config_static_selectorELNS0_4arch9wavefront6targetE0EEEvSG_.has_dyn_sized_stack, 0
	.set _ZN7rocprim17ROCPRIM_400000_NS6detail17trampoline_kernelINS0_14default_configENS1_35radix_sort_onesweep_config_selectorIfNS0_10empty_typeEEEZZNS1_29radix_sort_onesweep_iterationIS3_Lb1EPKfPfPS5_SB_mNS0_19identity_decomposerENS1_16block_id_wrapperIjLb0EEEEE10hipError_tT1_PNSt15iterator_traitsISG_E10value_typeET2_T3_PNSH_ISM_E10value_typeET4_T5_PSR_SS_PNS1_23onesweep_lookback_stateEbbT6_jjT7_P12ihipStream_tbENKUlT_T0_SG_SL_E_clISA_SA_SB_SB_EEDaSZ_S10_SG_SL_EUlSZ_E_NS1_11comp_targetILNS1_3genE10ELNS1_11target_archE1201ELNS1_3gpuE5ELNS1_3repE0EEENS1_47radix_sort_onesweep_sort_config_static_selectorELNS0_4arch9wavefront6targetE0EEEvSG_.has_recursion, 0
	.set _ZN7rocprim17ROCPRIM_400000_NS6detail17trampoline_kernelINS0_14default_configENS1_35radix_sort_onesweep_config_selectorIfNS0_10empty_typeEEEZZNS1_29radix_sort_onesweep_iterationIS3_Lb1EPKfPfPS5_SB_mNS0_19identity_decomposerENS1_16block_id_wrapperIjLb0EEEEE10hipError_tT1_PNSt15iterator_traitsISG_E10value_typeET2_T3_PNSH_ISM_E10value_typeET4_T5_PSR_SS_PNS1_23onesweep_lookback_stateEbbT6_jjT7_P12ihipStream_tbENKUlT_T0_SG_SL_E_clISA_SA_SB_SB_EEDaSZ_S10_SG_SL_EUlSZ_E_NS1_11comp_targetILNS1_3genE10ELNS1_11target_archE1201ELNS1_3gpuE5ELNS1_3repE0EEENS1_47radix_sort_onesweep_sort_config_static_selectorELNS0_4arch9wavefront6targetE0EEEvSG_.has_indirect_call, 0
	.section	.AMDGPU.csdata,"",@progbits
; Kernel info:
; codeLenInByte = 0
; TotalNumSgprs: 0
; NumVgprs: 0
; ScratchSize: 0
; MemoryBound: 0
; FloatMode: 240
; IeeeMode: 1
; LDSByteSize: 0 bytes/workgroup (compile time only)
; SGPRBlocks: 0
; VGPRBlocks: 0
; NumSGPRsForWavesPerEU: 1
; NumVGPRsForWavesPerEU: 1
; NamedBarCnt: 0
; Occupancy: 16
; WaveLimiterHint : 0
; COMPUTE_PGM_RSRC2:SCRATCH_EN: 0
; COMPUTE_PGM_RSRC2:USER_SGPR: 2
; COMPUTE_PGM_RSRC2:TRAP_HANDLER: 0
; COMPUTE_PGM_RSRC2:TGID_X_EN: 1
; COMPUTE_PGM_RSRC2:TGID_Y_EN: 0
; COMPUTE_PGM_RSRC2:TGID_Z_EN: 0
; COMPUTE_PGM_RSRC2:TIDIG_COMP_CNT: 0
	.section	.text._ZN7rocprim17ROCPRIM_400000_NS6detail17trampoline_kernelINS0_14default_configENS1_35radix_sort_onesweep_config_selectorIfNS0_10empty_typeEEEZZNS1_29radix_sort_onesweep_iterationIS3_Lb1EPKfPfPS5_SB_mNS0_19identity_decomposerENS1_16block_id_wrapperIjLb0EEEEE10hipError_tT1_PNSt15iterator_traitsISG_E10value_typeET2_T3_PNSH_ISM_E10value_typeET4_T5_PSR_SS_PNS1_23onesweep_lookback_stateEbbT6_jjT7_P12ihipStream_tbENKUlT_T0_SG_SL_E_clISA_SA_SB_SB_EEDaSZ_S10_SG_SL_EUlSZ_E_NS1_11comp_targetILNS1_3genE9ELNS1_11target_archE1100ELNS1_3gpuE3ELNS1_3repE0EEENS1_47radix_sort_onesweep_sort_config_static_selectorELNS0_4arch9wavefront6targetE0EEEvSG_,"axG",@progbits,_ZN7rocprim17ROCPRIM_400000_NS6detail17trampoline_kernelINS0_14default_configENS1_35radix_sort_onesweep_config_selectorIfNS0_10empty_typeEEEZZNS1_29radix_sort_onesweep_iterationIS3_Lb1EPKfPfPS5_SB_mNS0_19identity_decomposerENS1_16block_id_wrapperIjLb0EEEEE10hipError_tT1_PNSt15iterator_traitsISG_E10value_typeET2_T3_PNSH_ISM_E10value_typeET4_T5_PSR_SS_PNS1_23onesweep_lookback_stateEbbT6_jjT7_P12ihipStream_tbENKUlT_T0_SG_SL_E_clISA_SA_SB_SB_EEDaSZ_S10_SG_SL_EUlSZ_E_NS1_11comp_targetILNS1_3genE9ELNS1_11target_archE1100ELNS1_3gpuE3ELNS1_3repE0EEENS1_47radix_sort_onesweep_sort_config_static_selectorELNS0_4arch9wavefront6targetE0EEEvSG_,comdat
	.protected	_ZN7rocprim17ROCPRIM_400000_NS6detail17trampoline_kernelINS0_14default_configENS1_35radix_sort_onesweep_config_selectorIfNS0_10empty_typeEEEZZNS1_29radix_sort_onesweep_iterationIS3_Lb1EPKfPfPS5_SB_mNS0_19identity_decomposerENS1_16block_id_wrapperIjLb0EEEEE10hipError_tT1_PNSt15iterator_traitsISG_E10value_typeET2_T3_PNSH_ISM_E10value_typeET4_T5_PSR_SS_PNS1_23onesweep_lookback_stateEbbT6_jjT7_P12ihipStream_tbENKUlT_T0_SG_SL_E_clISA_SA_SB_SB_EEDaSZ_S10_SG_SL_EUlSZ_E_NS1_11comp_targetILNS1_3genE9ELNS1_11target_archE1100ELNS1_3gpuE3ELNS1_3repE0EEENS1_47radix_sort_onesweep_sort_config_static_selectorELNS0_4arch9wavefront6targetE0EEEvSG_ ; -- Begin function _ZN7rocprim17ROCPRIM_400000_NS6detail17trampoline_kernelINS0_14default_configENS1_35radix_sort_onesweep_config_selectorIfNS0_10empty_typeEEEZZNS1_29radix_sort_onesweep_iterationIS3_Lb1EPKfPfPS5_SB_mNS0_19identity_decomposerENS1_16block_id_wrapperIjLb0EEEEE10hipError_tT1_PNSt15iterator_traitsISG_E10value_typeET2_T3_PNSH_ISM_E10value_typeET4_T5_PSR_SS_PNS1_23onesweep_lookback_stateEbbT6_jjT7_P12ihipStream_tbENKUlT_T0_SG_SL_E_clISA_SA_SB_SB_EEDaSZ_S10_SG_SL_EUlSZ_E_NS1_11comp_targetILNS1_3genE9ELNS1_11target_archE1100ELNS1_3gpuE3ELNS1_3repE0EEENS1_47radix_sort_onesweep_sort_config_static_selectorELNS0_4arch9wavefront6targetE0EEEvSG_
	.globl	_ZN7rocprim17ROCPRIM_400000_NS6detail17trampoline_kernelINS0_14default_configENS1_35radix_sort_onesweep_config_selectorIfNS0_10empty_typeEEEZZNS1_29radix_sort_onesweep_iterationIS3_Lb1EPKfPfPS5_SB_mNS0_19identity_decomposerENS1_16block_id_wrapperIjLb0EEEEE10hipError_tT1_PNSt15iterator_traitsISG_E10value_typeET2_T3_PNSH_ISM_E10value_typeET4_T5_PSR_SS_PNS1_23onesweep_lookback_stateEbbT6_jjT7_P12ihipStream_tbENKUlT_T0_SG_SL_E_clISA_SA_SB_SB_EEDaSZ_S10_SG_SL_EUlSZ_E_NS1_11comp_targetILNS1_3genE9ELNS1_11target_archE1100ELNS1_3gpuE3ELNS1_3repE0EEENS1_47radix_sort_onesweep_sort_config_static_selectorELNS0_4arch9wavefront6targetE0EEEvSG_
	.p2align	8
	.type	_ZN7rocprim17ROCPRIM_400000_NS6detail17trampoline_kernelINS0_14default_configENS1_35radix_sort_onesweep_config_selectorIfNS0_10empty_typeEEEZZNS1_29radix_sort_onesweep_iterationIS3_Lb1EPKfPfPS5_SB_mNS0_19identity_decomposerENS1_16block_id_wrapperIjLb0EEEEE10hipError_tT1_PNSt15iterator_traitsISG_E10value_typeET2_T3_PNSH_ISM_E10value_typeET4_T5_PSR_SS_PNS1_23onesweep_lookback_stateEbbT6_jjT7_P12ihipStream_tbENKUlT_T0_SG_SL_E_clISA_SA_SB_SB_EEDaSZ_S10_SG_SL_EUlSZ_E_NS1_11comp_targetILNS1_3genE9ELNS1_11target_archE1100ELNS1_3gpuE3ELNS1_3repE0EEENS1_47radix_sort_onesweep_sort_config_static_selectorELNS0_4arch9wavefront6targetE0EEEvSG_,@function
_ZN7rocprim17ROCPRIM_400000_NS6detail17trampoline_kernelINS0_14default_configENS1_35radix_sort_onesweep_config_selectorIfNS0_10empty_typeEEEZZNS1_29radix_sort_onesweep_iterationIS3_Lb1EPKfPfPS5_SB_mNS0_19identity_decomposerENS1_16block_id_wrapperIjLb0EEEEE10hipError_tT1_PNSt15iterator_traitsISG_E10value_typeET2_T3_PNSH_ISM_E10value_typeET4_T5_PSR_SS_PNS1_23onesweep_lookback_stateEbbT6_jjT7_P12ihipStream_tbENKUlT_T0_SG_SL_E_clISA_SA_SB_SB_EEDaSZ_S10_SG_SL_EUlSZ_E_NS1_11comp_targetILNS1_3genE9ELNS1_11target_archE1100ELNS1_3gpuE3ELNS1_3repE0EEENS1_47radix_sort_onesweep_sort_config_static_selectorELNS0_4arch9wavefront6targetE0EEEvSG_: ; @_ZN7rocprim17ROCPRIM_400000_NS6detail17trampoline_kernelINS0_14default_configENS1_35radix_sort_onesweep_config_selectorIfNS0_10empty_typeEEEZZNS1_29radix_sort_onesweep_iterationIS3_Lb1EPKfPfPS5_SB_mNS0_19identity_decomposerENS1_16block_id_wrapperIjLb0EEEEE10hipError_tT1_PNSt15iterator_traitsISG_E10value_typeET2_T3_PNSH_ISM_E10value_typeET4_T5_PSR_SS_PNS1_23onesweep_lookback_stateEbbT6_jjT7_P12ihipStream_tbENKUlT_T0_SG_SL_E_clISA_SA_SB_SB_EEDaSZ_S10_SG_SL_EUlSZ_E_NS1_11comp_targetILNS1_3genE9ELNS1_11target_archE1100ELNS1_3gpuE3ELNS1_3repE0EEENS1_47radix_sort_onesweep_sort_config_static_selectorELNS0_4arch9wavefront6targetE0EEEvSG_
; %bb.0:
	.section	.rodata,"a",@progbits
	.p2align	6, 0x0
	.amdhsa_kernel _ZN7rocprim17ROCPRIM_400000_NS6detail17trampoline_kernelINS0_14default_configENS1_35radix_sort_onesweep_config_selectorIfNS0_10empty_typeEEEZZNS1_29radix_sort_onesweep_iterationIS3_Lb1EPKfPfPS5_SB_mNS0_19identity_decomposerENS1_16block_id_wrapperIjLb0EEEEE10hipError_tT1_PNSt15iterator_traitsISG_E10value_typeET2_T3_PNSH_ISM_E10value_typeET4_T5_PSR_SS_PNS1_23onesweep_lookback_stateEbbT6_jjT7_P12ihipStream_tbENKUlT_T0_SG_SL_E_clISA_SA_SB_SB_EEDaSZ_S10_SG_SL_EUlSZ_E_NS1_11comp_targetILNS1_3genE9ELNS1_11target_archE1100ELNS1_3gpuE3ELNS1_3repE0EEENS1_47radix_sort_onesweep_sort_config_static_selectorELNS0_4arch9wavefront6targetE0EEEvSG_
		.amdhsa_group_segment_fixed_size 0
		.amdhsa_private_segment_fixed_size 0
		.amdhsa_kernarg_size 88
		.amdhsa_user_sgpr_count 2
		.amdhsa_user_sgpr_dispatch_ptr 0
		.amdhsa_user_sgpr_queue_ptr 0
		.amdhsa_user_sgpr_kernarg_segment_ptr 1
		.amdhsa_user_sgpr_dispatch_id 0
		.amdhsa_user_sgpr_kernarg_preload_length 0
		.amdhsa_user_sgpr_kernarg_preload_offset 0
		.amdhsa_user_sgpr_private_segment_size 0
		.amdhsa_wavefront_size32 1
		.amdhsa_uses_dynamic_stack 0
		.amdhsa_enable_private_segment 0
		.amdhsa_system_sgpr_workgroup_id_x 1
		.amdhsa_system_sgpr_workgroup_id_y 0
		.amdhsa_system_sgpr_workgroup_id_z 0
		.amdhsa_system_sgpr_workgroup_info 0
		.amdhsa_system_vgpr_workitem_id 0
		.amdhsa_next_free_vgpr 1
		.amdhsa_next_free_sgpr 1
		.amdhsa_named_barrier_count 0
		.amdhsa_reserve_vcc 0
		.amdhsa_float_round_mode_32 0
		.amdhsa_float_round_mode_16_64 0
		.amdhsa_float_denorm_mode_32 3
		.amdhsa_float_denorm_mode_16_64 3
		.amdhsa_fp16_overflow 0
		.amdhsa_memory_ordered 1
		.amdhsa_forward_progress 1
		.amdhsa_inst_pref_size 0
		.amdhsa_round_robin_scheduling 0
		.amdhsa_exception_fp_ieee_invalid_op 0
		.amdhsa_exception_fp_denorm_src 0
		.amdhsa_exception_fp_ieee_div_zero 0
		.amdhsa_exception_fp_ieee_overflow 0
		.amdhsa_exception_fp_ieee_underflow 0
		.amdhsa_exception_fp_ieee_inexact 0
		.amdhsa_exception_int_div_zero 0
	.end_amdhsa_kernel
	.section	.text._ZN7rocprim17ROCPRIM_400000_NS6detail17trampoline_kernelINS0_14default_configENS1_35radix_sort_onesweep_config_selectorIfNS0_10empty_typeEEEZZNS1_29radix_sort_onesweep_iterationIS3_Lb1EPKfPfPS5_SB_mNS0_19identity_decomposerENS1_16block_id_wrapperIjLb0EEEEE10hipError_tT1_PNSt15iterator_traitsISG_E10value_typeET2_T3_PNSH_ISM_E10value_typeET4_T5_PSR_SS_PNS1_23onesweep_lookback_stateEbbT6_jjT7_P12ihipStream_tbENKUlT_T0_SG_SL_E_clISA_SA_SB_SB_EEDaSZ_S10_SG_SL_EUlSZ_E_NS1_11comp_targetILNS1_3genE9ELNS1_11target_archE1100ELNS1_3gpuE3ELNS1_3repE0EEENS1_47radix_sort_onesweep_sort_config_static_selectorELNS0_4arch9wavefront6targetE0EEEvSG_,"axG",@progbits,_ZN7rocprim17ROCPRIM_400000_NS6detail17trampoline_kernelINS0_14default_configENS1_35radix_sort_onesweep_config_selectorIfNS0_10empty_typeEEEZZNS1_29radix_sort_onesweep_iterationIS3_Lb1EPKfPfPS5_SB_mNS0_19identity_decomposerENS1_16block_id_wrapperIjLb0EEEEE10hipError_tT1_PNSt15iterator_traitsISG_E10value_typeET2_T3_PNSH_ISM_E10value_typeET4_T5_PSR_SS_PNS1_23onesweep_lookback_stateEbbT6_jjT7_P12ihipStream_tbENKUlT_T0_SG_SL_E_clISA_SA_SB_SB_EEDaSZ_S10_SG_SL_EUlSZ_E_NS1_11comp_targetILNS1_3genE9ELNS1_11target_archE1100ELNS1_3gpuE3ELNS1_3repE0EEENS1_47radix_sort_onesweep_sort_config_static_selectorELNS0_4arch9wavefront6targetE0EEEvSG_,comdat
.Lfunc_end1353:
	.size	_ZN7rocprim17ROCPRIM_400000_NS6detail17trampoline_kernelINS0_14default_configENS1_35radix_sort_onesweep_config_selectorIfNS0_10empty_typeEEEZZNS1_29radix_sort_onesweep_iterationIS3_Lb1EPKfPfPS5_SB_mNS0_19identity_decomposerENS1_16block_id_wrapperIjLb0EEEEE10hipError_tT1_PNSt15iterator_traitsISG_E10value_typeET2_T3_PNSH_ISM_E10value_typeET4_T5_PSR_SS_PNS1_23onesweep_lookback_stateEbbT6_jjT7_P12ihipStream_tbENKUlT_T0_SG_SL_E_clISA_SA_SB_SB_EEDaSZ_S10_SG_SL_EUlSZ_E_NS1_11comp_targetILNS1_3genE9ELNS1_11target_archE1100ELNS1_3gpuE3ELNS1_3repE0EEENS1_47radix_sort_onesweep_sort_config_static_selectorELNS0_4arch9wavefront6targetE0EEEvSG_, .Lfunc_end1353-_ZN7rocprim17ROCPRIM_400000_NS6detail17trampoline_kernelINS0_14default_configENS1_35radix_sort_onesweep_config_selectorIfNS0_10empty_typeEEEZZNS1_29radix_sort_onesweep_iterationIS3_Lb1EPKfPfPS5_SB_mNS0_19identity_decomposerENS1_16block_id_wrapperIjLb0EEEEE10hipError_tT1_PNSt15iterator_traitsISG_E10value_typeET2_T3_PNSH_ISM_E10value_typeET4_T5_PSR_SS_PNS1_23onesweep_lookback_stateEbbT6_jjT7_P12ihipStream_tbENKUlT_T0_SG_SL_E_clISA_SA_SB_SB_EEDaSZ_S10_SG_SL_EUlSZ_E_NS1_11comp_targetILNS1_3genE9ELNS1_11target_archE1100ELNS1_3gpuE3ELNS1_3repE0EEENS1_47radix_sort_onesweep_sort_config_static_selectorELNS0_4arch9wavefront6targetE0EEEvSG_
                                        ; -- End function
	.set _ZN7rocprim17ROCPRIM_400000_NS6detail17trampoline_kernelINS0_14default_configENS1_35radix_sort_onesweep_config_selectorIfNS0_10empty_typeEEEZZNS1_29radix_sort_onesweep_iterationIS3_Lb1EPKfPfPS5_SB_mNS0_19identity_decomposerENS1_16block_id_wrapperIjLb0EEEEE10hipError_tT1_PNSt15iterator_traitsISG_E10value_typeET2_T3_PNSH_ISM_E10value_typeET4_T5_PSR_SS_PNS1_23onesweep_lookback_stateEbbT6_jjT7_P12ihipStream_tbENKUlT_T0_SG_SL_E_clISA_SA_SB_SB_EEDaSZ_S10_SG_SL_EUlSZ_E_NS1_11comp_targetILNS1_3genE9ELNS1_11target_archE1100ELNS1_3gpuE3ELNS1_3repE0EEENS1_47radix_sort_onesweep_sort_config_static_selectorELNS0_4arch9wavefront6targetE0EEEvSG_.num_vgpr, 0
	.set _ZN7rocprim17ROCPRIM_400000_NS6detail17trampoline_kernelINS0_14default_configENS1_35radix_sort_onesweep_config_selectorIfNS0_10empty_typeEEEZZNS1_29radix_sort_onesweep_iterationIS3_Lb1EPKfPfPS5_SB_mNS0_19identity_decomposerENS1_16block_id_wrapperIjLb0EEEEE10hipError_tT1_PNSt15iterator_traitsISG_E10value_typeET2_T3_PNSH_ISM_E10value_typeET4_T5_PSR_SS_PNS1_23onesweep_lookback_stateEbbT6_jjT7_P12ihipStream_tbENKUlT_T0_SG_SL_E_clISA_SA_SB_SB_EEDaSZ_S10_SG_SL_EUlSZ_E_NS1_11comp_targetILNS1_3genE9ELNS1_11target_archE1100ELNS1_3gpuE3ELNS1_3repE0EEENS1_47radix_sort_onesweep_sort_config_static_selectorELNS0_4arch9wavefront6targetE0EEEvSG_.num_agpr, 0
	.set _ZN7rocprim17ROCPRIM_400000_NS6detail17trampoline_kernelINS0_14default_configENS1_35radix_sort_onesweep_config_selectorIfNS0_10empty_typeEEEZZNS1_29radix_sort_onesweep_iterationIS3_Lb1EPKfPfPS5_SB_mNS0_19identity_decomposerENS1_16block_id_wrapperIjLb0EEEEE10hipError_tT1_PNSt15iterator_traitsISG_E10value_typeET2_T3_PNSH_ISM_E10value_typeET4_T5_PSR_SS_PNS1_23onesweep_lookback_stateEbbT6_jjT7_P12ihipStream_tbENKUlT_T0_SG_SL_E_clISA_SA_SB_SB_EEDaSZ_S10_SG_SL_EUlSZ_E_NS1_11comp_targetILNS1_3genE9ELNS1_11target_archE1100ELNS1_3gpuE3ELNS1_3repE0EEENS1_47radix_sort_onesweep_sort_config_static_selectorELNS0_4arch9wavefront6targetE0EEEvSG_.numbered_sgpr, 0
	.set _ZN7rocprim17ROCPRIM_400000_NS6detail17trampoline_kernelINS0_14default_configENS1_35radix_sort_onesweep_config_selectorIfNS0_10empty_typeEEEZZNS1_29radix_sort_onesweep_iterationIS3_Lb1EPKfPfPS5_SB_mNS0_19identity_decomposerENS1_16block_id_wrapperIjLb0EEEEE10hipError_tT1_PNSt15iterator_traitsISG_E10value_typeET2_T3_PNSH_ISM_E10value_typeET4_T5_PSR_SS_PNS1_23onesweep_lookback_stateEbbT6_jjT7_P12ihipStream_tbENKUlT_T0_SG_SL_E_clISA_SA_SB_SB_EEDaSZ_S10_SG_SL_EUlSZ_E_NS1_11comp_targetILNS1_3genE9ELNS1_11target_archE1100ELNS1_3gpuE3ELNS1_3repE0EEENS1_47radix_sort_onesweep_sort_config_static_selectorELNS0_4arch9wavefront6targetE0EEEvSG_.num_named_barrier, 0
	.set _ZN7rocprim17ROCPRIM_400000_NS6detail17trampoline_kernelINS0_14default_configENS1_35radix_sort_onesweep_config_selectorIfNS0_10empty_typeEEEZZNS1_29radix_sort_onesweep_iterationIS3_Lb1EPKfPfPS5_SB_mNS0_19identity_decomposerENS1_16block_id_wrapperIjLb0EEEEE10hipError_tT1_PNSt15iterator_traitsISG_E10value_typeET2_T3_PNSH_ISM_E10value_typeET4_T5_PSR_SS_PNS1_23onesweep_lookback_stateEbbT6_jjT7_P12ihipStream_tbENKUlT_T0_SG_SL_E_clISA_SA_SB_SB_EEDaSZ_S10_SG_SL_EUlSZ_E_NS1_11comp_targetILNS1_3genE9ELNS1_11target_archE1100ELNS1_3gpuE3ELNS1_3repE0EEENS1_47radix_sort_onesweep_sort_config_static_selectorELNS0_4arch9wavefront6targetE0EEEvSG_.private_seg_size, 0
	.set _ZN7rocprim17ROCPRIM_400000_NS6detail17trampoline_kernelINS0_14default_configENS1_35radix_sort_onesweep_config_selectorIfNS0_10empty_typeEEEZZNS1_29radix_sort_onesweep_iterationIS3_Lb1EPKfPfPS5_SB_mNS0_19identity_decomposerENS1_16block_id_wrapperIjLb0EEEEE10hipError_tT1_PNSt15iterator_traitsISG_E10value_typeET2_T3_PNSH_ISM_E10value_typeET4_T5_PSR_SS_PNS1_23onesweep_lookback_stateEbbT6_jjT7_P12ihipStream_tbENKUlT_T0_SG_SL_E_clISA_SA_SB_SB_EEDaSZ_S10_SG_SL_EUlSZ_E_NS1_11comp_targetILNS1_3genE9ELNS1_11target_archE1100ELNS1_3gpuE3ELNS1_3repE0EEENS1_47radix_sort_onesweep_sort_config_static_selectorELNS0_4arch9wavefront6targetE0EEEvSG_.uses_vcc, 0
	.set _ZN7rocprim17ROCPRIM_400000_NS6detail17trampoline_kernelINS0_14default_configENS1_35radix_sort_onesweep_config_selectorIfNS0_10empty_typeEEEZZNS1_29radix_sort_onesweep_iterationIS3_Lb1EPKfPfPS5_SB_mNS0_19identity_decomposerENS1_16block_id_wrapperIjLb0EEEEE10hipError_tT1_PNSt15iterator_traitsISG_E10value_typeET2_T3_PNSH_ISM_E10value_typeET4_T5_PSR_SS_PNS1_23onesweep_lookback_stateEbbT6_jjT7_P12ihipStream_tbENKUlT_T0_SG_SL_E_clISA_SA_SB_SB_EEDaSZ_S10_SG_SL_EUlSZ_E_NS1_11comp_targetILNS1_3genE9ELNS1_11target_archE1100ELNS1_3gpuE3ELNS1_3repE0EEENS1_47radix_sort_onesweep_sort_config_static_selectorELNS0_4arch9wavefront6targetE0EEEvSG_.uses_flat_scratch, 0
	.set _ZN7rocprim17ROCPRIM_400000_NS6detail17trampoline_kernelINS0_14default_configENS1_35radix_sort_onesweep_config_selectorIfNS0_10empty_typeEEEZZNS1_29radix_sort_onesweep_iterationIS3_Lb1EPKfPfPS5_SB_mNS0_19identity_decomposerENS1_16block_id_wrapperIjLb0EEEEE10hipError_tT1_PNSt15iterator_traitsISG_E10value_typeET2_T3_PNSH_ISM_E10value_typeET4_T5_PSR_SS_PNS1_23onesweep_lookback_stateEbbT6_jjT7_P12ihipStream_tbENKUlT_T0_SG_SL_E_clISA_SA_SB_SB_EEDaSZ_S10_SG_SL_EUlSZ_E_NS1_11comp_targetILNS1_3genE9ELNS1_11target_archE1100ELNS1_3gpuE3ELNS1_3repE0EEENS1_47radix_sort_onesweep_sort_config_static_selectorELNS0_4arch9wavefront6targetE0EEEvSG_.has_dyn_sized_stack, 0
	.set _ZN7rocprim17ROCPRIM_400000_NS6detail17trampoline_kernelINS0_14default_configENS1_35radix_sort_onesweep_config_selectorIfNS0_10empty_typeEEEZZNS1_29radix_sort_onesweep_iterationIS3_Lb1EPKfPfPS5_SB_mNS0_19identity_decomposerENS1_16block_id_wrapperIjLb0EEEEE10hipError_tT1_PNSt15iterator_traitsISG_E10value_typeET2_T3_PNSH_ISM_E10value_typeET4_T5_PSR_SS_PNS1_23onesweep_lookback_stateEbbT6_jjT7_P12ihipStream_tbENKUlT_T0_SG_SL_E_clISA_SA_SB_SB_EEDaSZ_S10_SG_SL_EUlSZ_E_NS1_11comp_targetILNS1_3genE9ELNS1_11target_archE1100ELNS1_3gpuE3ELNS1_3repE0EEENS1_47radix_sort_onesweep_sort_config_static_selectorELNS0_4arch9wavefront6targetE0EEEvSG_.has_recursion, 0
	.set _ZN7rocprim17ROCPRIM_400000_NS6detail17trampoline_kernelINS0_14default_configENS1_35radix_sort_onesweep_config_selectorIfNS0_10empty_typeEEEZZNS1_29radix_sort_onesweep_iterationIS3_Lb1EPKfPfPS5_SB_mNS0_19identity_decomposerENS1_16block_id_wrapperIjLb0EEEEE10hipError_tT1_PNSt15iterator_traitsISG_E10value_typeET2_T3_PNSH_ISM_E10value_typeET4_T5_PSR_SS_PNS1_23onesweep_lookback_stateEbbT6_jjT7_P12ihipStream_tbENKUlT_T0_SG_SL_E_clISA_SA_SB_SB_EEDaSZ_S10_SG_SL_EUlSZ_E_NS1_11comp_targetILNS1_3genE9ELNS1_11target_archE1100ELNS1_3gpuE3ELNS1_3repE0EEENS1_47radix_sort_onesweep_sort_config_static_selectorELNS0_4arch9wavefront6targetE0EEEvSG_.has_indirect_call, 0
	.section	.AMDGPU.csdata,"",@progbits
; Kernel info:
; codeLenInByte = 0
; TotalNumSgprs: 0
; NumVgprs: 0
; ScratchSize: 0
; MemoryBound: 0
; FloatMode: 240
; IeeeMode: 1
; LDSByteSize: 0 bytes/workgroup (compile time only)
; SGPRBlocks: 0
; VGPRBlocks: 0
; NumSGPRsForWavesPerEU: 1
; NumVGPRsForWavesPerEU: 1
; NamedBarCnt: 0
; Occupancy: 16
; WaveLimiterHint : 0
; COMPUTE_PGM_RSRC2:SCRATCH_EN: 0
; COMPUTE_PGM_RSRC2:USER_SGPR: 2
; COMPUTE_PGM_RSRC2:TRAP_HANDLER: 0
; COMPUTE_PGM_RSRC2:TGID_X_EN: 1
; COMPUTE_PGM_RSRC2:TGID_Y_EN: 0
; COMPUTE_PGM_RSRC2:TGID_Z_EN: 0
; COMPUTE_PGM_RSRC2:TIDIG_COMP_CNT: 0
	.section	.text._ZN7rocprim17ROCPRIM_400000_NS6detail17trampoline_kernelINS0_14default_configENS1_35radix_sort_onesweep_config_selectorIfNS0_10empty_typeEEEZZNS1_29radix_sort_onesweep_iterationIS3_Lb1EPKfPfPS5_SB_mNS0_19identity_decomposerENS1_16block_id_wrapperIjLb0EEEEE10hipError_tT1_PNSt15iterator_traitsISG_E10value_typeET2_T3_PNSH_ISM_E10value_typeET4_T5_PSR_SS_PNS1_23onesweep_lookback_stateEbbT6_jjT7_P12ihipStream_tbENKUlT_T0_SG_SL_E_clISA_SA_SB_SB_EEDaSZ_S10_SG_SL_EUlSZ_E_NS1_11comp_targetILNS1_3genE8ELNS1_11target_archE1030ELNS1_3gpuE2ELNS1_3repE0EEENS1_47radix_sort_onesweep_sort_config_static_selectorELNS0_4arch9wavefront6targetE0EEEvSG_,"axG",@progbits,_ZN7rocprim17ROCPRIM_400000_NS6detail17trampoline_kernelINS0_14default_configENS1_35radix_sort_onesweep_config_selectorIfNS0_10empty_typeEEEZZNS1_29radix_sort_onesweep_iterationIS3_Lb1EPKfPfPS5_SB_mNS0_19identity_decomposerENS1_16block_id_wrapperIjLb0EEEEE10hipError_tT1_PNSt15iterator_traitsISG_E10value_typeET2_T3_PNSH_ISM_E10value_typeET4_T5_PSR_SS_PNS1_23onesweep_lookback_stateEbbT6_jjT7_P12ihipStream_tbENKUlT_T0_SG_SL_E_clISA_SA_SB_SB_EEDaSZ_S10_SG_SL_EUlSZ_E_NS1_11comp_targetILNS1_3genE8ELNS1_11target_archE1030ELNS1_3gpuE2ELNS1_3repE0EEENS1_47radix_sort_onesweep_sort_config_static_selectorELNS0_4arch9wavefront6targetE0EEEvSG_,comdat
	.protected	_ZN7rocprim17ROCPRIM_400000_NS6detail17trampoline_kernelINS0_14default_configENS1_35radix_sort_onesweep_config_selectorIfNS0_10empty_typeEEEZZNS1_29radix_sort_onesweep_iterationIS3_Lb1EPKfPfPS5_SB_mNS0_19identity_decomposerENS1_16block_id_wrapperIjLb0EEEEE10hipError_tT1_PNSt15iterator_traitsISG_E10value_typeET2_T3_PNSH_ISM_E10value_typeET4_T5_PSR_SS_PNS1_23onesweep_lookback_stateEbbT6_jjT7_P12ihipStream_tbENKUlT_T0_SG_SL_E_clISA_SA_SB_SB_EEDaSZ_S10_SG_SL_EUlSZ_E_NS1_11comp_targetILNS1_3genE8ELNS1_11target_archE1030ELNS1_3gpuE2ELNS1_3repE0EEENS1_47radix_sort_onesweep_sort_config_static_selectorELNS0_4arch9wavefront6targetE0EEEvSG_ ; -- Begin function _ZN7rocprim17ROCPRIM_400000_NS6detail17trampoline_kernelINS0_14default_configENS1_35radix_sort_onesweep_config_selectorIfNS0_10empty_typeEEEZZNS1_29radix_sort_onesweep_iterationIS3_Lb1EPKfPfPS5_SB_mNS0_19identity_decomposerENS1_16block_id_wrapperIjLb0EEEEE10hipError_tT1_PNSt15iterator_traitsISG_E10value_typeET2_T3_PNSH_ISM_E10value_typeET4_T5_PSR_SS_PNS1_23onesweep_lookback_stateEbbT6_jjT7_P12ihipStream_tbENKUlT_T0_SG_SL_E_clISA_SA_SB_SB_EEDaSZ_S10_SG_SL_EUlSZ_E_NS1_11comp_targetILNS1_3genE8ELNS1_11target_archE1030ELNS1_3gpuE2ELNS1_3repE0EEENS1_47radix_sort_onesweep_sort_config_static_selectorELNS0_4arch9wavefront6targetE0EEEvSG_
	.globl	_ZN7rocprim17ROCPRIM_400000_NS6detail17trampoline_kernelINS0_14default_configENS1_35radix_sort_onesweep_config_selectorIfNS0_10empty_typeEEEZZNS1_29radix_sort_onesweep_iterationIS3_Lb1EPKfPfPS5_SB_mNS0_19identity_decomposerENS1_16block_id_wrapperIjLb0EEEEE10hipError_tT1_PNSt15iterator_traitsISG_E10value_typeET2_T3_PNSH_ISM_E10value_typeET4_T5_PSR_SS_PNS1_23onesweep_lookback_stateEbbT6_jjT7_P12ihipStream_tbENKUlT_T0_SG_SL_E_clISA_SA_SB_SB_EEDaSZ_S10_SG_SL_EUlSZ_E_NS1_11comp_targetILNS1_3genE8ELNS1_11target_archE1030ELNS1_3gpuE2ELNS1_3repE0EEENS1_47radix_sort_onesweep_sort_config_static_selectorELNS0_4arch9wavefront6targetE0EEEvSG_
	.p2align	8
	.type	_ZN7rocprim17ROCPRIM_400000_NS6detail17trampoline_kernelINS0_14default_configENS1_35radix_sort_onesweep_config_selectorIfNS0_10empty_typeEEEZZNS1_29radix_sort_onesweep_iterationIS3_Lb1EPKfPfPS5_SB_mNS0_19identity_decomposerENS1_16block_id_wrapperIjLb0EEEEE10hipError_tT1_PNSt15iterator_traitsISG_E10value_typeET2_T3_PNSH_ISM_E10value_typeET4_T5_PSR_SS_PNS1_23onesweep_lookback_stateEbbT6_jjT7_P12ihipStream_tbENKUlT_T0_SG_SL_E_clISA_SA_SB_SB_EEDaSZ_S10_SG_SL_EUlSZ_E_NS1_11comp_targetILNS1_3genE8ELNS1_11target_archE1030ELNS1_3gpuE2ELNS1_3repE0EEENS1_47radix_sort_onesweep_sort_config_static_selectorELNS0_4arch9wavefront6targetE0EEEvSG_,@function
_ZN7rocprim17ROCPRIM_400000_NS6detail17trampoline_kernelINS0_14default_configENS1_35radix_sort_onesweep_config_selectorIfNS0_10empty_typeEEEZZNS1_29radix_sort_onesweep_iterationIS3_Lb1EPKfPfPS5_SB_mNS0_19identity_decomposerENS1_16block_id_wrapperIjLb0EEEEE10hipError_tT1_PNSt15iterator_traitsISG_E10value_typeET2_T3_PNSH_ISM_E10value_typeET4_T5_PSR_SS_PNS1_23onesweep_lookback_stateEbbT6_jjT7_P12ihipStream_tbENKUlT_T0_SG_SL_E_clISA_SA_SB_SB_EEDaSZ_S10_SG_SL_EUlSZ_E_NS1_11comp_targetILNS1_3genE8ELNS1_11target_archE1030ELNS1_3gpuE2ELNS1_3repE0EEENS1_47radix_sort_onesweep_sort_config_static_selectorELNS0_4arch9wavefront6targetE0EEEvSG_: ; @_ZN7rocprim17ROCPRIM_400000_NS6detail17trampoline_kernelINS0_14default_configENS1_35radix_sort_onesweep_config_selectorIfNS0_10empty_typeEEEZZNS1_29radix_sort_onesweep_iterationIS3_Lb1EPKfPfPS5_SB_mNS0_19identity_decomposerENS1_16block_id_wrapperIjLb0EEEEE10hipError_tT1_PNSt15iterator_traitsISG_E10value_typeET2_T3_PNSH_ISM_E10value_typeET4_T5_PSR_SS_PNS1_23onesweep_lookback_stateEbbT6_jjT7_P12ihipStream_tbENKUlT_T0_SG_SL_E_clISA_SA_SB_SB_EEDaSZ_S10_SG_SL_EUlSZ_E_NS1_11comp_targetILNS1_3genE8ELNS1_11target_archE1030ELNS1_3gpuE2ELNS1_3repE0EEENS1_47radix_sort_onesweep_sort_config_static_selectorELNS0_4arch9wavefront6targetE0EEEvSG_
; %bb.0:
	.section	.rodata,"a",@progbits
	.p2align	6, 0x0
	.amdhsa_kernel _ZN7rocprim17ROCPRIM_400000_NS6detail17trampoline_kernelINS0_14default_configENS1_35radix_sort_onesweep_config_selectorIfNS0_10empty_typeEEEZZNS1_29radix_sort_onesweep_iterationIS3_Lb1EPKfPfPS5_SB_mNS0_19identity_decomposerENS1_16block_id_wrapperIjLb0EEEEE10hipError_tT1_PNSt15iterator_traitsISG_E10value_typeET2_T3_PNSH_ISM_E10value_typeET4_T5_PSR_SS_PNS1_23onesweep_lookback_stateEbbT6_jjT7_P12ihipStream_tbENKUlT_T0_SG_SL_E_clISA_SA_SB_SB_EEDaSZ_S10_SG_SL_EUlSZ_E_NS1_11comp_targetILNS1_3genE8ELNS1_11target_archE1030ELNS1_3gpuE2ELNS1_3repE0EEENS1_47radix_sort_onesweep_sort_config_static_selectorELNS0_4arch9wavefront6targetE0EEEvSG_
		.amdhsa_group_segment_fixed_size 0
		.amdhsa_private_segment_fixed_size 0
		.amdhsa_kernarg_size 88
		.amdhsa_user_sgpr_count 2
		.amdhsa_user_sgpr_dispatch_ptr 0
		.amdhsa_user_sgpr_queue_ptr 0
		.amdhsa_user_sgpr_kernarg_segment_ptr 1
		.amdhsa_user_sgpr_dispatch_id 0
		.amdhsa_user_sgpr_kernarg_preload_length 0
		.amdhsa_user_sgpr_kernarg_preload_offset 0
		.amdhsa_user_sgpr_private_segment_size 0
		.amdhsa_wavefront_size32 1
		.amdhsa_uses_dynamic_stack 0
		.amdhsa_enable_private_segment 0
		.amdhsa_system_sgpr_workgroup_id_x 1
		.amdhsa_system_sgpr_workgroup_id_y 0
		.amdhsa_system_sgpr_workgroup_id_z 0
		.amdhsa_system_sgpr_workgroup_info 0
		.amdhsa_system_vgpr_workitem_id 0
		.amdhsa_next_free_vgpr 1
		.amdhsa_next_free_sgpr 1
		.amdhsa_named_barrier_count 0
		.amdhsa_reserve_vcc 0
		.amdhsa_float_round_mode_32 0
		.amdhsa_float_round_mode_16_64 0
		.amdhsa_float_denorm_mode_32 3
		.amdhsa_float_denorm_mode_16_64 3
		.amdhsa_fp16_overflow 0
		.amdhsa_memory_ordered 1
		.amdhsa_forward_progress 1
		.amdhsa_inst_pref_size 0
		.amdhsa_round_robin_scheduling 0
		.amdhsa_exception_fp_ieee_invalid_op 0
		.amdhsa_exception_fp_denorm_src 0
		.amdhsa_exception_fp_ieee_div_zero 0
		.amdhsa_exception_fp_ieee_overflow 0
		.amdhsa_exception_fp_ieee_underflow 0
		.amdhsa_exception_fp_ieee_inexact 0
		.amdhsa_exception_int_div_zero 0
	.end_amdhsa_kernel
	.section	.text._ZN7rocprim17ROCPRIM_400000_NS6detail17trampoline_kernelINS0_14default_configENS1_35radix_sort_onesweep_config_selectorIfNS0_10empty_typeEEEZZNS1_29radix_sort_onesweep_iterationIS3_Lb1EPKfPfPS5_SB_mNS0_19identity_decomposerENS1_16block_id_wrapperIjLb0EEEEE10hipError_tT1_PNSt15iterator_traitsISG_E10value_typeET2_T3_PNSH_ISM_E10value_typeET4_T5_PSR_SS_PNS1_23onesweep_lookback_stateEbbT6_jjT7_P12ihipStream_tbENKUlT_T0_SG_SL_E_clISA_SA_SB_SB_EEDaSZ_S10_SG_SL_EUlSZ_E_NS1_11comp_targetILNS1_3genE8ELNS1_11target_archE1030ELNS1_3gpuE2ELNS1_3repE0EEENS1_47radix_sort_onesweep_sort_config_static_selectorELNS0_4arch9wavefront6targetE0EEEvSG_,"axG",@progbits,_ZN7rocprim17ROCPRIM_400000_NS6detail17trampoline_kernelINS0_14default_configENS1_35radix_sort_onesweep_config_selectorIfNS0_10empty_typeEEEZZNS1_29radix_sort_onesweep_iterationIS3_Lb1EPKfPfPS5_SB_mNS0_19identity_decomposerENS1_16block_id_wrapperIjLb0EEEEE10hipError_tT1_PNSt15iterator_traitsISG_E10value_typeET2_T3_PNSH_ISM_E10value_typeET4_T5_PSR_SS_PNS1_23onesweep_lookback_stateEbbT6_jjT7_P12ihipStream_tbENKUlT_T0_SG_SL_E_clISA_SA_SB_SB_EEDaSZ_S10_SG_SL_EUlSZ_E_NS1_11comp_targetILNS1_3genE8ELNS1_11target_archE1030ELNS1_3gpuE2ELNS1_3repE0EEENS1_47radix_sort_onesweep_sort_config_static_selectorELNS0_4arch9wavefront6targetE0EEEvSG_,comdat
.Lfunc_end1354:
	.size	_ZN7rocprim17ROCPRIM_400000_NS6detail17trampoline_kernelINS0_14default_configENS1_35radix_sort_onesweep_config_selectorIfNS0_10empty_typeEEEZZNS1_29radix_sort_onesweep_iterationIS3_Lb1EPKfPfPS5_SB_mNS0_19identity_decomposerENS1_16block_id_wrapperIjLb0EEEEE10hipError_tT1_PNSt15iterator_traitsISG_E10value_typeET2_T3_PNSH_ISM_E10value_typeET4_T5_PSR_SS_PNS1_23onesweep_lookback_stateEbbT6_jjT7_P12ihipStream_tbENKUlT_T0_SG_SL_E_clISA_SA_SB_SB_EEDaSZ_S10_SG_SL_EUlSZ_E_NS1_11comp_targetILNS1_3genE8ELNS1_11target_archE1030ELNS1_3gpuE2ELNS1_3repE0EEENS1_47radix_sort_onesweep_sort_config_static_selectorELNS0_4arch9wavefront6targetE0EEEvSG_, .Lfunc_end1354-_ZN7rocprim17ROCPRIM_400000_NS6detail17trampoline_kernelINS0_14default_configENS1_35radix_sort_onesweep_config_selectorIfNS0_10empty_typeEEEZZNS1_29radix_sort_onesweep_iterationIS3_Lb1EPKfPfPS5_SB_mNS0_19identity_decomposerENS1_16block_id_wrapperIjLb0EEEEE10hipError_tT1_PNSt15iterator_traitsISG_E10value_typeET2_T3_PNSH_ISM_E10value_typeET4_T5_PSR_SS_PNS1_23onesweep_lookback_stateEbbT6_jjT7_P12ihipStream_tbENKUlT_T0_SG_SL_E_clISA_SA_SB_SB_EEDaSZ_S10_SG_SL_EUlSZ_E_NS1_11comp_targetILNS1_3genE8ELNS1_11target_archE1030ELNS1_3gpuE2ELNS1_3repE0EEENS1_47radix_sort_onesweep_sort_config_static_selectorELNS0_4arch9wavefront6targetE0EEEvSG_
                                        ; -- End function
	.set _ZN7rocprim17ROCPRIM_400000_NS6detail17trampoline_kernelINS0_14default_configENS1_35radix_sort_onesweep_config_selectorIfNS0_10empty_typeEEEZZNS1_29radix_sort_onesweep_iterationIS3_Lb1EPKfPfPS5_SB_mNS0_19identity_decomposerENS1_16block_id_wrapperIjLb0EEEEE10hipError_tT1_PNSt15iterator_traitsISG_E10value_typeET2_T3_PNSH_ISM_E10value_typeET4_T5_PSR_SS_PNS1_23onesweep_lookback_stateEbbT6_jjT7_P12ihipStream_tbENKUlT_T0_SG_SL_E_clISA_SA_SB_SB_EEDaSZ_S10_SG_SL_EUlSZ_E_NS1_11comp_targetILNS1_3genE8ELNS1_11target_archE1030ELNS1_3gpuE2ELNS1_3repE0EEENS1_47radix_sort_onesweep_sort_config_static_selectorELNS0_4arch9wavefront6targetE0EEEvSG_.num_vgpr, 0
	.set _ZN7rocprim17ROCPRIM_400000_NS6detail17trampoline_kernelINS0_14default_configENS1_35radix_sort_onesweep_config_selectorIfNS0_10empty_typeEEEZZNS1_29radix_sort_onesweep_iterationIS3_Lb1EPKfPfPS5_SB_mNS0_19identity_decomposerENS1_16block_id_wrapperIjLb0EEEEE10hipError_tT1_PNSt15iterator_traitsISG_E10value_typeET2_T3_PNSH_ISM_E10value_typeET4_T5_PSR_SS_PNS1_23onesweep_lookback_stateEbbT6_jjT7_P12ihipStream_tbENKUlT_T0_SG_SL_E_clISA_SA_SB_SB_EEDaSZ_S10_SG_SL_EUlSZ_E_NS1_11comp_targetILNS1_3genE8ELNS1_11target_archE1030ELNS1_3gpuE2ELNS1_3repE0EEENS1_47radix_sort_onesweep_sort_config_static_selectorELNS0_4arch9wavefront6targetE0EEEvSG_.num_agpr, 0
	.set _ZN7rocprim17ROCPRIM_400000_NS6detail17trampoline_kernelINS0_14default_configENS1_35radix_sort_onesweep_config_selectorIfNS0_10empty_typeEEEZZNS1_29radix_sort_onesweep_iterationIS3_Lb1EPKfPfPS5_SB_mNS0_19identity_decomposerENS1_16block_id_wrapperIjLb0EEEEE10hipError_tT1_PNSt15iterator_traitsISG_E10value_typeET2_T3_PNSH_ISM_E10value_typeET4_T5_PSR_SS_PNS1_23onesweep_lookback_stateEbbT6_jjT7_P12ihipStream_tbENKUlT_T0_SG_SL_E_clISA_SA_SB_SB_EEDaSZ_S10_SG_SL_EUlSZ_E_NS1_11comp_targetILNS1_3genE8ELNS1_11target_archE1030ELNS1_3gpuE2ELNS1_3repE0EEENS1_47radix_sort_onesweep_sort_config_static_selectorELNS0_4arch9wavefront6targetE0EEEvSG_.numbered_sgpr, 0
	.set _ZN7rocprim17ROCPRIM_400000_NS6detail17trampoline_kernelINS0_14default_configENS1_35radix_sort_onesweep_config_selectorIfNS0_10empty_typeEEEZZNS1_29radix_sort_onesweep_iterationIS3_Lb1EPKfPfPS5_SB_mNS0_19identity_decomposerENS1_16block_id_wrapperIjLb0EEEEE10hipError_tT1_PNSt15iterator_traitsISG_E10value_typeET2_T3_PNSH_ISM_E10value_typeET4_T5_PSR_SS_PNS1_23onesweep_lookback_stateEbbT6_jjT7_P12ihipStream_tbENKUlT_T0_SG_SL_E_clISA_SA_SB_SB_EEDaSZ_S10_SG_SL_EUlSZ_E_NS1_11comp_targetILNS1_3genE8ELNS1_11target_archE1030ELNS1_3gpuE2ELNS1_3repE0EEENS1_47radix_sort_onesweep_sort_config_static_selectorELNS0_4arch9wavefront6targetE0EEEvSG_.num_named_barrier, 0
	.set _ZN7rocprim17ROCPRIM_400000_NS6detail17trampoline_kernelINS0_14default_configENS1_35radix_sort_onesweep_config_selectorIfNS0_10empty_typeEEEZZNS1_29radix_sort_onesweep_iterationIS3_Lb1EPKfPfPS5_SB_mNS0_19identity_decomposerENS1_16block_id_wrapperIjLb0EEEEE10hipError_tT1_PNSt15iterator_traitsISG_E10value_typeET2_T3_PNSH_ISM_E10value_typeET4_T5_PSR_SS_PNS1_23onesweep_lookback_stateEbbT6_jjT7_P12ihipStream_tbENKUlT_T0_SG_SL_E_clISA_SA_SB_SB_EEDaSZ_S10_SG_SL_EUlSZ_E_NS1_11comp_targetILNS1_3genE8ELNS1_11target_archE1030ELNS1_3gpuE2ELNS1_3repE0EEENS1_47radix_sort_onesweep_sort_config_static_selectorELNS0_4arch9wavefront6targetE0EEEvSG_.private_seg_size, 0
	.set _ZN7rocprim17ROCPRIM_400000_NS6detail17trampoline_kernelINS0_14default_configENS1_35radix_sort_onesweep_config_selectorIfNS0_10empty_typeEEEZZNS1_29radix_sort_onesweep_iterationIS3_Lb1EPKfPfPS5_SB_mNS0_19identity_decomposerENS1_16block_id_wrapperIjLb0EEEEE10hipError_tT1_PNSt15iterator_traitsISG_E10value_typeET2_T3_PNSH_ISM_E10value_typeET4_T5_PSR_SS_PNS1_23onesweep_lookback_stateEbbT6_jjT7_P12ihipStream_tbENKUlT_T0_SG_SL_E_clISA_SA_SB_SB_EEDaSZ_S10_SG_SL_EUlSZ_E_NS1_11comp_targetILNS1_3genE8ELNS1_11target_archE1030ELNS1_3gpuE2ELNS1_3repE0EEENS1_47radix_sort_onesweep_sort_config_static_selectorELNS0_4arch9wavefront6targetE0EEEvSG_.uses_vcc, 0
	.set _ZN7rocprim17ROCPRIM_400000_NS6detail17trampoline_kernelINS0_14default_configENS1_35radix_sort_onesweep_config_selectorIfNS0_10empty_typeEEEZZNS1_29radix_sort_onesweep_iterationIS3_Lb1EPKfPfPS5_SB_mNS0_19identity_decomposerENS1_16block_id_wrapperIjLb0EEEEE10hipError_tT1_PNSt15iterator_traitsISG_E10value_typeET2_T3_PNSH_ISM_E10value_typeET4_T5_PSR_SS_PNS1_23onesweep_lookback_stateEbbT6_jjT7_P12ihipStream_tbENKUlT_T0_SG_SL_E_clISA_SA_SB_SB_EEDaSZ_S10_SG_SL_EUlSZ_E_NS1_11comp_targetILNS1_3genE8ELNS1_11target_archE1030ELNS1_3gpuE2ELNS1_3repE0EEENS1_47radix_sort_onesweep_sort_config_static_selectorELNS0_4arch9wavefront6targetE0EEEvSG_.uses_flat_scratch, 0
	.set _ZN7rocprim17ROCPRIM_400000_NS6detail17trampoline_kernelINS0_14default_configENS1_35radix_sort_onesweep_config_selectorIfNS0_10empty_typeEEEZZNS1_29radix_sort_onesweep_iterationIS3_Lb1EPKfPfPS5_SB_mNS0_19identity_decomposerENS1_16block_id_wrapperIjLb0EEEEE10hipError_tT1_PNSt15iterator_traitsISG_E10value_typeET2_T3_PNSH_ISM_E10value_typeET4_T5_PSR_SS_PNS1_23onesweep_lookback_stateEbbT6_jjT7_P12ihipStream_tbENKUlT_T0_SG_SL_E_clISA_SA_SB_SB_EEDaSZ_S10_SG_SL_EUlSZ_E_NS1_11comp_targetILNS1_3genE8ELNS1_11target_archE1030ELNS1_3gpuE2ELNS1_3repE0EEENS1_47radix_sort_onesweep_sort_config_static_selectorELNS0_4arch9wavefront6targetE0EEEvSG_.has_dyn_sized_stack, 0
	.set _ZN7rocprim17ROCPRIM_400000_NS6detail17trampoline_kernelINS0_14default_configENS1_35radix_sort_onesweep_config_selectorIfNS0_10empty_typeEEEZZNS1_29radix_sort_onesweep_iterationIS3_Lb1EPKfPfPS5_SB_mNS0_19identity_decomposerENS1_16block_id_wrapperIjLb0EEEEE10hipError_tT1_PNSt15iterator_traitsISG_E10value_typeET2_T3_PNSH_ISM_E10value_typeET4_T5_PSR_SS_PNS1_23onesweep_lookback_stateEbbT6_jjT7_P12ihipStream_tbENKUlT_T0_SG_SL_E_clISA_SA_SB_SB_EEDaSZ_S10_SG_SL_EUlSZ_E_NS1_11comp_targetILNS1_3genE8ELNS1_11target_archE1030ELNS1_3gpuE2ELNS1_3repE0EEENS1_47radix_sort_onesweep_sort_config_static_selectorELNS0_4arch9wavefront6targetE0EEEvSG_.has_recursion, 0
	.set _ZN7rocprim17ROCPRIM_400000_NS6detail17trampoline_kernelINS0_14default_configENS1_35radix_sort_onesweep_config_selectorIfNS0_10empty_typeEEEZZNS1_29radix_sort_onesweep_iterationIS3_Lb1EPKfPfPS5_SB_mNS0_19identity_decomposerENS1_16block_id_wrapperIjLb0EEEEE10hipError_tT1_PNSt15iterator_traitsISG_E10value_typeET2_T3_PNSH_ISM_E10value_typeET4_T5_PSR_SS_PNS1_23onesweep_lookback_stateEbbT6_jjT7_P12ihipStream_tbENKUlT_T0_SG_SL_E_clISA_SA_SB_SB_EEDaSZ_S10_SG_SL_EUlSZ_E_NS1_11comp_targetILNS1_3genE8ELNS1_11target_archE1030ELNS1_3gpuE2ELNS1_3repE0EEENS1_47radix_sort_onesweep_sort_config_static_selectorELNS0_4arch9wavefront6targetE0EEEvSG_.has_indirect_call, 0
	.section	.AMDGPU.csdata,"",@progbits
; Kernel info:
; codeLenInByte = 0
; TotalNumSgprs: 0
; NumVgprs: 0
; ScratchSize: 0
; MemoryBound: 0
; FloatMode: 240
; IeeeMode: 1
; LDSByteSize: 0 bytes/workgroup (compile time only)
; SGPRBlocks: 0
; VGPRBlocks: 0
; NumSGPRsForWavesPerEU: 1
; NumVGPRsForWavesPerEU: 1
; NamedBarCnt: 0
; Occupancy: 16
; WaveLimiterHint : 0
; COMPUTE_PGM_RSRC2:SCRATCH_EN: 0
; COMPUTE_PGM_RSRC2:USER_SGPR: 2
; COMPUTE_PGM_RSRC2:TRAP_HANDLER: 0
; COMPUTE_PGM_RSRC2:TGID_X_EN: 1
; COMPUTE_PGM_RSRC2:TGID_Y_EN: 0
; COMPUTE_PGM_RSRC2:TGID_Z_EN: 0
; COMPUTE_PGM_RSRC2:TIDIG_COMP_CNT: 0
	.section	.text._ZN7rocprim17ROCPRIM_400000_NS6detail17trampoline_kernelINS0_13kernel_configILj256ELj4ELj4294967295EEENS1_37radix_sort_block_sort_config_selectorIfNS0_10empty_typeEEEZNS1_21radix_sort_block_sortIS4_Lb0EPKfPfPS6_SC_NS0_19identity_decomposerEEE10hipError_tT1_T2_T3_T4_jRjT5_jjP12ihipStream_tbEUlT_E_NS1_11comp_targetILNS1_3genE0ELNS1_11target_archE4294967295ELNS1_3gpuE0ELNS1_3repE0EEENS1_44radix_sort_block_sort_config_static_selectorELNS0_4arch9wavefront6targetE0EEEvSF_,"axG",@progbits,_ZN7rocprim17ROCPRIM_400000_NS6detail17trampoline_kernelINS0_13kernel_configILj256ELj4ELj4294967295EEENS1_37radix_sort_block_sort_config_selectorIfNS0_10empty_typeEEEZNS1_21radix_sort_block_sortIS4_Lb0EPKfPfPS6_SC_NS0_19identity_decomposerEEE10hipError_tT1_T2_T3_T4_jRjT5_jjP12ihipStream_tbEUlT_E_NS1_11comp_targetILNS1_3genE0ELNS1_11target_archE4294967295ELNS1_3gpuE0ELNS1_3repE0EEENS1_44radix_sort_block_sort_config_static_selectorELNS0_4arch9wavefront6targetE0EEEvSF_,comdat
	.protected	_ZN7rocprim17ROCPRIM_400000_NS6detail17trampoline_kernelINS0_13kernel_configILj256ELj4ELj4294967295EEENS1_37radix_sort_block_sort_config_selectorIfNS0_10empty_typeEEEZNS1_21radix_sort_block_sortIS4_Lb0EPKfPfPS6_SC_NS0_19identity_decomposerEEE10hipError_tT1_T2_T3_T4_jRjT5_jjP12ihipStream_tbEUlT_E_NS1_11comp_targetILNS1_3genE0ELNS1_11target_archE4294967295ELNS1_3gpuE0ELNS1_3repE0EEENS1_44radix_sort_block_sort_config_static_selectorELNS0_4arch9wavefront6targetE0EEEvSF_ ; -- Begin function _ZN7rocprim17ROCPRIM_400000_NS6detail17trampoline_kernelINS0_13kernel_configILj256ELj4ELj4294967295EEENS1_37radix_sort_block_sort_config_selectorIfNS0_10empty_typeEEEZNS1_21radix_sort_block_sortIS4_Lb0EPKfPfPS6_SC_NS0_19identity_decomposerEEE10hipError_tT1_T2_T3_T4_jRjT5_jjP12ihipStream_tbEUlT_E_NS1_11comp_targetILNS1_3genE0ELNS1_11target_archE4294967295ELNS1_3gpuE0ELNS1_3repE0EEENS1_44radix_sort_block_sort_config_static_selectorELNS0_4arch9wavefront6targetE0EEEvSF_
	.globl	_ZN7rocprim17ROCPRIM_400000_NS6detail17trampoline_kernelINS0_13kernel_configILj256ELj4ELj4294967295EEENS1_37radix_sort_block_sort_config_selectorIfNS0_10empty_typeEEEZNS1_21radix_sort_block_sortIS4_Lb0EPKfPfPS6_SC_NS0_19identity_decomposerEEE10hipError_tT1_T2_T3_T4_jRjT5_jjP12ihipStream_tbEUlT_E_NS1_11comp_targetILNS1_3genE0ELNS1_11target_archE4294967295ELNS1_3gpuE0ELNS1_3repE0EEENS1_44radix_sort_block_sort_config_static_selectorELNS0_4arch9wavefront6targetE0EEEvSF_
	.p2align	8
	.type	_ZN7rocprim17ROCPRIM_400000_NS6detail17trampoline_kernelINS0_13kernel_configILj256ELj4ELj4294967295EEENS1_37radix_sort_block_sort_config_selectorIfNS0_10empty_typeEEEZNS1_21radix_sort_block_sortIS4_Lb0EPKfPfPS6_SC_NS0_19identity_decomposerEEE10hipError_tT1_T2_T3_T4_jRjT5_jjP12ihipStream_tbEUlT_E_NS1_11comp_targetILNS1_3genE0ELNS1_11target_archE4294967295ELNS1_3gpuE0ELNS1_3repE0EEENS1_44radix_sort_block_sort_config_static_selectorELNS0_4arch9wavefront6targetE0EEEvSF_,@function
_ZN7rocprim17ROCPRIM_400000_NS6detail17trampoline_kernelINS0_13kernel_configILj256ELj4ELj4294967295EEENS1_37radix_sort_block_sort_config_selectorIfNS0_10empty_typeEEEZNS1_21radix_sort_block_sortIS4_Lb0EPKfPfPS6_SC_NS0_19identity_decomposerEEE10hipError_tT1_T2_T3_T4_jRjT5_jjP12ihipStream_tbEUlT_E_NS1_11comp_targetILNS1_3genE0ELNS1_11target_archE4294967295ELNS1_3gpuE0ELNS1_3repE0EEENS1_44radix_sort_block_sort_config_static_selectorELNS0_4arch9wavefront6targetE0EEEvSF_: ; @_ZN7rocprim17ROCPRIM_400000_NS6detail17trampoline_kernelINS0_13kernel_configILj256ELj4ELj4294967295EEENS1_37radix_sort_block_sort_config_selectorIfNS0_10empty_typeEEEZNS1_21radix_sort_block_sortIS4_Lb0EPKfPfPS6_SC_NS0_19identity_decomposerEEE10hipError_tT1_T2_T3_T4_jRjT5_jjP12ihipStream_tbEUlT_E_NS1_11comp_targetILNS1_3genE0ELNS1_11target_archE4294967295ELNS1_3gpuE0ELNS1_3repE0EEENS1_44radix_sort_block_sort_config_static_selectorELNS0_4arch9wavefront6targetE0EEEvSF_
; %bb.0:
	s_clause 0x1
	s_load_b32 s4, s[0:1], 0x20
	s_load_b128 s[16:19], s[0:1], 0x0
	s_bfe_u32 s5, ttmp6, 0x4000c
	s_and_b32 s2, ttmp6, 15
	s_add_co_i32 s5, s5, 1
	s_getreg_b32 s6, hwreg(HW_REG_IB_STS2, 6, 4)
	s_mul_i32 s5, ttmp9, s5
	v_and_b32_e32 v14, 0x3ff, v0
	s_add_co_i32 s2, s2, s5
	s_cmp_eq_u32 s6, 0
	v_mbcnt_lo_u32_b32 v12, -1, 0
	s_cselect_b32 s5, ttmp9, s2
	v_dual_mov_b32 v7, 0 :: v_dual_lshlrev_b32 v8, 2, v14
	s_lshl_b32 s2, s5, 10
	s_mov_b32 s3, 0
	v_lshlrev_b32_e32 v6, 2, v12
	s_delay_alu instid0(VALU_DEP_2) | instskip(SKIP_2) | instid1(SALU_CYCLE_1)
	v_and_b32_e32 v1, 0x380, v8
	s_wait_kmcnt 0x0
	s_lshr_b32 s8, s4, 10
	s_cmp_lg_u32 s5, s8
	s_cselect_b32 s25, -1, 0
	s_lshl_b64 s[20:21], s[2:3], 2
	s_cmp_eq_u32 s5, s8
	s_add_nc_u64 s[6:7], s[16:17], s[20:21]
	s_mov_b32 s5, -1
	v_add_nc_u64_e32 v[2:3], s[6:7], v[6:7]
	v_lshlrev_b32_e32 v6, 2, v1
	s_delay_alu instid0(VALU_DEP_1)
	v_add_nc_u64_e32 v[10:11], v[2:3], v[6:7]
                                        ; implicit-def: $vgpr2_vgpr3_vgpr4_vgpr5
	s_cbranch_scc0 .LBB1355_26
; %bb.1:
	s_load_b64 s[22:23], s[0:1], 0x28
	s_and_not1_b32 vcc_lo, exec_lo, s5
	s_sub_co_i32 s24, s4, s2
	s_cbranch_vccz .LBB1355_27
.LBB1355_2:
	s_and_saveexec_b32 s2, s3
	s_cbranch_execz .LBB1355_4
.LBB1355_3:
	global_load_b32 v5, v[10:11], off offset:384
.LBB1355_4:
	s_wait_xcnt 0x0
	s_or_b32 exec_lo, exec_lo, s2
	s_load_b32 s3, s[0:1], 0x3c
	s_wait_loadcnt 0x2
	v_cmp_lt_i32_e32 vcc_lo, -1, v2
	v_bfe_u32 v13, v0, 10, 10
	v_bfe_u32 v0, v0, 20, 10
	v_dual_lshrrev_b32 v18, 3, v14 :: v_dual_bitop2_b32 v16, 16, v12 bitop3:0x40
	v_cndmask_b32_e64 v1, -1, 0x80000000, vcc_lo
	s_wait_loadcnt 0x0
	v_cmp_lt_i32_e32 vcc_lo, -1, v3
	v_and_b32_e32 v17, 0x3e0, v14
	s_get_pc_i64 s[4:5]
	s_add_nc_u64 s[4:5], s[4:5], _ZN7rocprim17ROCPRIM_400000_NS16block_radix_sortIfLj256ELj4ENS0_10empty_typeELj1ELj1ELj0ELNS0_26block_radix_rank_algorithmE1ELNS0_18block_padding_hintE2ELNS0_4arch9wavefront6targetE0EE19radix_bits_per_passE@rel64+4
	v_and_b32_e32 v18, 0x7c, v18
	s_load_b32 s26, s[4:5], 0x0
	v_cndmask_b32_e64 v7, -1, 0x80000000, vcc_lo
	v_cmp_lt_i32_e32 vcc_lo, -1, v4
	s_mov_b32 s14, 0
	v_dual_lshlrev_b32 v9, 5, v14 :: v_dual_bitop2_b32 v15, 15, v12 bitop3:0x40
	s_mov_b32 s15, s14
	v_cndmask_b32_e64 v10, -1, 0x80000000, vcc_lo
	v_cmp_lt_i32_e32 vcc_lo, -1, v5
	s_wait_kmcnt 0x0
	s_lshr_b32 s2, s3, 16
	s_and_b32 s3, s3, 0xffff
	v_mad_u32_u24 v0, v0, s2, v13
	v_sub_co_u32 v13, s2, v12, 1
	v_cndmask_b32_e64 v11, -1, 0x80000000, vcc_lo
	s_mov_b32 s16, s14
	s_delay_alu instid0(VALU_DEP_3) | instskip(NEXT) | instid1(VALU_DEP_3)
	v_mad_u32 v20, v0, s3, v14
	v_cmp_gt_i32_e32 vcc_lo, 0, v13
	v_and_b32_e32 v19, 7, v12
	v_xor_b32_e32 v0, v1, v2
	v_xor_b32_e32 v1, v7, v3
	s_mov_b32 s17, s14
	v_cndmask_b32_e32 v7, v13, v12, vcc_lo
	v_xor_b32_e32 v2, v10, v4
	v_min_u32_e32 v4, 0xe0, v17
	v_cmp_gt_u32_e64 s0, 8, v14
	v_cmp_lt_u32_e64 s1, 31, v14
	v_cmp_eq_u32_e64 s3, 0, v15
	v_cmp_lt_u32_e64 s4, 1, v15
	v_or_b32_e32 v4, 31, v4
	v_cmp_lt_u32_e64 s5, 3, v15
	v_cmp_lt_u32_e64 s6, 7, v15
	v_cmp_eq_u32_e64 s7, 0, v16
	v_lshlrev_b32_e32 v17, 2, v7
	v_cmp_eq_u32_e64 s8, v14, v4
	v_mul_i32_i24_e32 v4, 0xffffffe4, v14
	v_dual_lshrrev_b32 v5, 3, v20 :: v_dual_bitop2_b32 v3, v11, v5 bitop3:0x14
	v_lshl_add_u32 v20, v12, 2, v6
	v_mov_b64_e32 v[10:11], s[14:15]
	v_mov_b64_e32 v[12:13], s[16:17]
	v_cmp_eq_u32_e64 s9, 0, v14
	v_and_b32_e32 v15, 0x1ffffffc, v5
	v_cmp_eq_u32_e64 s10, 0, v19
	v_cmp_lt_u32_e64 s11, 1, v19
	v_cmp_lt_u32_e64 s12, 3, v19
	v_dual_add_nc_u32 v19, -4, v18 :: v_dual_add_nc_u32 v16, v9, v4
	s_add_co_i32 s27, s23, s22
	s_branch .LBB1355_6
.LBB1355_5:                             ;   in Loop: Header=BB1355_6 Depth=1
	s_and_not1_b32 vcc_lo, exec_lo, s13
	s_cbranch_vccz .LBB1355_22
.LBB1355_6:                             ; =>This Inner Loop Header: Depth=1
	v_mov_b32_e32 v21, v0
	s_min_u32 s13, s26, s23
	ds_store_2addr_b64 v9, v[10:11], v[12:13] offset0:4 offset1:5
	ds_store_2addr_b64 v9, v[10:11], v[12:13] offset0:6 offset1:7
	s_lshl_b32 s28, -1, s13
	s_wait_dscnt 0x0
	v_cmp_ne_u32_e32 vcc_lo, 0x7fffffff, v21
	s_barrier_signal -1
	s_barrier_wait -1
	v_cndmask_b32_e32 v0, 0x80000000, v21, vcc_lo
	; wave barrier
	s_delay_alu instid0(VALU_DEP_1) | instskip(NEXT) | instid1(VALU_DEP_1)
	v_lshrrev_b32_e32 v0, s22, v0
	v_bitop3_b32 v4, v0, 1, s28 bitop3:0x40
	v_bitop3_b32 v5, v0, s28, v0 bitop3:0x30
	s_delay_alu instid0(VALU_DEP_2) | instskip(NEXT) | instid1(VALU_DEP_1)
	v_add_co_u32 v0, s13, v4, -1
	v_cndmask_b32_e64 v4, 0, 1, s13
	s_delay_alu instid0(VALU_DEP_3) | instskip(SKIP_1) | instid1(VALU_DEP_3)
	v_dual_lshlrev_b32 v6, 30, v5 :: v_dual_lshlrev_b32 v7, 29, v5
	v_dual_lshlrev_b32 v22, 28, v5 :: v_dual_lshlrev_b32 v23, 27, v5
	v_cmp_ne_u32_e32 vcc_lo, 0, v4
	s_delay_alu instid0(VALU_DEP_3)
	v_not_b32_e32 v4, v6
	v_dual_lshlrev_b32 v24, 26, v5 :: v_dual_lshlrev_b32 v25, 25, v5
	v_lshlrev_b32_e32 v26, 24, v5
	v_cmp_gt_i32_e64 s13, 0, v6
	v_cmp_gt_i32_e64 s14, 0, v7
	v_not_b32_e32 v6, v7
	v_cmp_gt_i32_e64 s15, 0, v22
	v_not_b32_e32 v7, v22
	v_not_b32_e32 v22, v23
	v_ashrrev_i32_e32 v4, 31, v4
	v_cmp_gt_i32_e64 s16, 0, v23
	v_not_b32_e32 v23, v24
	v_dual_ashrrev_i32 v6, 31, v6 :: v_dual_bitop2_b32 v0, vcc_lo, v0 bitop3:0x14
	v_dual_ashrrev_i32 v7, 31, v7 :: v_dual_ashrrev_i32 v22, 31, v22
	v_xor_b32_e32 v4, s13, v4
	v_cmp_gt_i32_e64 s17, 0, v24
	v_not_b32_e32 v24, v25
	v_dual_ashrrev_i32 v23, 31, v23 :: v_dual_bitop2_b32 v6, s14, v6 bitop3:0x14
	v_xor_b32_e32 v7, s15, v7
	v_bitop3_b32 v0, v0, v4, exec_lo bitop3:0x80
	v_not_b32_e32 v4, v26
	v_xor_b32_e32 v22, s16, v22
	v_xor_b32_e32 v23, s17, v23
	v_cmp_gt_i32_e32 vcc_lo, 0, v25
	v_ashrrev_i32_e32 v24, 31, v24
	v_cmp_gt_i32_e64 s13, 0, v26
	v_ashrrev_i32_e32 v4, 31, v4
	v_bitop3_b32 v0, v0, v7, v6 bitop3:0x80
	s_delay_alu instid0(VALU_DEP_4) | instskip(NEXT) | instid1(VALU_DEP_3)
	v_dual_mov_b32 v24, v1 :: v_dual_bitop2_b32 v6, vcc_lo, v24 bitop3:0x14
	v_xor_b32_e32 v4, s13, v4
	s_delay_alu instid0(VALU_DEP_3) | instskip(SKIP_2) | instid1(VALU_DEP_3)
	v_bitop3_b32 v0, v0, v23, v22 bitop3:0x80
	v_dual_mov_b32 v23, v2 :: v_dual_lshlrev_b32 v1, 5, v5
	v_mov_b32_e32 v22, v3
	v_bitop3_b32 v0, v0, v4, v6 bitop3:0x80
	s_delay_alu instid0(VALU_DEP_3) | instskip(NEXT) | instid1(VALU_DEP_2)
	v_add_nc_u32_e32 v26, v15, v1
	v_mbcnt_lo_u32_b32 v25, v0, 0
	v_cmp_ne_u32_e64 s13, 0, v0
	s_delay_alu instid0(VALU_DEP_2) | instskip(SKIP_1) | instid1(SALU_CYCLE_1)
	v_cmp_eq_u32_e32 vcc_lo, 0, v25
	s_and_b32 s14, s13, vcc_lo
	s_and_saveexec_b32 s13, s14
; %bb.7:                                ;   in Loop: Header=BB1355_6 Depth=1
	v_bcnt_u32_b32 v0, v0, 0
	ds_store_b32 v26, v0 offset:32
; %bb.8:                                ;   in Loop: Header=BB1355_6 Depth=1
	s_or_b32 exec_lo, exec_lo, s13
	v_cmp_ne_u32_e32 vcc_lo, 0x7fffffff, v24
	s_not_b32 s28, s28
	; wave barrier
	v_cndmask_b32_e32 v0, 0x80000000, v24, vcc_lo
	s_delay_alu instid0(VALU_DEP_1) | instskip(NEXT) | instid1(VALU_DEP_1)
	v_lshrrev_b32_e32 v0, s22, v0
	v_and_b32_e32 v1, s28, v0
	s_delay_alu instid0(VALU_DEP_1) | instskip(SKIP_2) | instid1(VALU_DEP_2)
	v_lshlrev_b32_e32 v2, 5, v1
	v_bitop3_b32 v0, v0, 1, s28 bitop3:0x80
	v_lshlrev_b32_e32 v4, 30, v1
	v_add_co_u32 v0, s13, v0, -1
	s_delay_alu instid0(VALU_DEP_1) | instskip(NEXT) | instid1(VALU_DEP_1)
	v_cndmask_b32_e64 v3, 0, 1, s13
	v_cmp_ne_u32_e32 vcc_lo, 0, v3
	s_delay_alu instid0(VALU_DEP_4) | instskip(NEXT) | instid1(VALU_DEP_1)
	v_not_b32_e32 v3, v4
	v_dual_ashrrev_i32 v3, 31, v3 :: v_dual_lshlrev_b32 v5, 29, v1
	v_dual_lshlrev_b32 v6, 28, v1 :: v_dual_lshlrev_b32 v7, 27, v1
	v_lshlrev_b32_e32 v27, 26, v1
	v_cmp_gt_i32_e64 s13, 0, v4
	s_delay_alu instid0(VALU_DEP_4)
	v_cmp_gt_i32_e64 s14, 0, v5
	v_not_b32_e32 v4, v5
	v_not_b32_e32 v5, v6
	v_cmp_gt_i32_e64 s15, 0, v6
	v_not_b32_e32 v6, v7
	v_xor_b32_e32 v0, vcc_lo, v0
	v_dual_ashrrev_i32 v4, 31, v4 :: v_dual_bitop2_b32 v3, s13, v3 bitop3:0x14
	v_ashrrev_i32_e32 v5, 31, v5
	v_dual_lshlrev_b32 v28, 25, v1 :: v_dual_lshlrev_b32 v1, 24, v1
	v_cmp_gt_i32_e64 s16, 0, v7
	v_not_b32_e32 v7, v27
	v_dual_ashrrev_i32 v6, 31, v6 :: v_dual_bitop2_b32 v4, s14, v4 bitop3:0x14
	v_xor_b32_e32 v5, s15, v5
	v_bitop3_b32 v0, v0, v3, exec_lo bitop3:0x80
	v_cmp_gt_i32_e32 vcc_lo, 0, v27
	v_ashrrev_i32_e32 v3, 31, v7
	v_not_b32_e32 v7, v28
	v_xor_b32_e32 v6, s16, v6
	v_bitop3_b32 v0, v0, v5, v4 bitop3:0x80
	v_not_b32_e32 v4, v1
	v_xor_b32_e32 v3, vcc_lo, v3
	v_cmp_gt_i32_e32 vcc_lo, 0, v28
	v_ashrrev_i32_e32 v5, 31, v7
	v_cmp_gt_i32_e64 s13, 0, v1
	v_dual_ashrrev_i32 v1, 31, v4 :: v_dual_add_nc_u32 v28, v15, v2
	v_bitop3_b32 v0, v0, v3, v6 bitop3:0x80
	s_delay_alu instid0(VALU_DEP_4) | instskip(NEXT) | instid1(VALU_DEP_3)
	v_xor_b32_e32 v2, vcc_lo, v5
	v_xor_b32_e32 v1, s13, v1
	ds_load_b32 v27, v28 offset:32
	; wave barrier
	v_bitop3_b32 v0, v0, v1, v2 bitop3:0x80
	s_delay_alu instid0(VALU_DEP_1) | instskip(SKIP_1) | instid1(VALU_DEP_2)
	v_mbcnt_lo_u32_b32 v29, v0, 0
	v_cmp_ne_u32_e64 s13, 0, v0
	v_cmp_eq_u32_e32 vcc_lo, 0, v29
	s_and_b32 s14, s13, vcc_lo
	s_delay_alu instid0(SALU_CYCLE_1)
	s_and_saveexec_b32 s13, s14
	s_cbranch_execz .LBB1355_10
; %bb.9:                                ;   in Loop: Header=BB1355_6 Depth=1
	s_wait_dscnt 0x0
	v_bcnt_u32_b32 v0, v0, v27
	ds_store_b32 v28, v0 offset:32
.LBB1355_10:                            ;   in Loop: Header=BB1355_6 Depth=1
	s_or_b32 exec_lo, exec_lo, s13
	v_cmp_ne_u32_e32 vcc_lo, 0x7fffffff, v23
	; wave barrier
	v_cndmask_b32_e32 v0, 0x80000000, v23, vcc_lo
	s_delay_alu instid0(VALU_DEP_1) | instskip(NEXT) | instid1(VALU_DEP_1)
	v_lshrrev_b32_e32 v0, s22, v0
	v_and_b32_e32 v1, s28, v0
	s_delay_alu instid0(VALU_DEP_1) | instskip(SKIP_2) | instid1(VALU_DEP_2)
	v_lshlrev_b32_e32 v2, 5, v1
	v_bitop3_b32 v0, v0, 1, s28 bitop3:0x80
	v_lshlrev_b32_e32 v4, 30, v1
	v_add_co_u32 v0, s13, v0, -1
	s_delay_alu instid0(VALU_DEP_1) | instskip(NEXT) | instid1(VALU_DEP_1)
	v_cndmask_b32_e64 v3, 0, 1, s13
	v_cmp_ne_u32_e32 vcc_lo, 0, v3
	s_delay_alu instid0(VALU_DEP_4) | instskip(NEXT) | instid1(VALU_DEP_1)
	v_not_b32_e32 v3, v4
	v_dual_ashrrev_i32 v3, 31, v3 :: v_dual_lshlrev_b32 v5, 29, v1
	v_dual_lshlrev_b32 v6, 28, v1 :: v_dual_lshlrev_b32 v7, 27, v1
	v_lshlrev_b32_e32 v30, 26, v1
	v_cmp_gt_i32_e64 s13, 0, v4
	s_delay_alu instid0(VALU_DEP_4)
	v_cmp_gt_i32_e64 s14, 0, v5
	v_not_b32_e32 v4, v5
	v_not_b32_e32 v5, v6
	v_dual_lshlrev_b32 v31, 25, v1 :: v_dual_lshlrev_b32 v1, 24, v1
	v_cmp_gt_i32_e64 s15, 0, v6
	v_cmp_gt_i32_e64 s16, 0, v7
	v_not_b32_e32 v6, v7
	v_dual_ashrrev_i32 v5, 31, v5 :: v_dual_bitop2_b32 v0, vcc_lo, v0 bitop3:0x14
	v_dual_ashrrev_i32 v4, 31, v4 :: v_dual_bitop2_b32 v3, s13, v3 bitop3:0x14
	v_not_b32_e32 v7, v30
	v_cmp_gt_i32_e64 s17, 0, v30
	s_delay_alu instid0(VALU_DEP_3)
	v_dual_ashrrev_i32 v6, 31, v6 :: v_dual_bitop2_b32 v4, s14, v4 bitop3:0x14
	v_xor_b32_e32 v5, s15, v5
	v_bitop3_b32 v0, v0, v3, exec_lo bitop3:0x80
	v_ashrrev_i32_e32 v3, 31, v7
	v_not_b32_e32 v7, v31
	v_not_b32_e32 v30, v1
	v_xor_b32_e32 v6, s16, v6
	v_bitop3_b32 v0, v0, v5, v4 bitop3:0x80
	v_xor_b32_e32 v3, s17, v3
	v_cmp_gt_i32_e32 vcc_lo, 0, v31
	v_ashrrev_i32_e32 v4, 31, v7
	v_cmp_gt_i32_e64 s13, 0, v1
	v_ashrrev_i32_e32 v1, 31, v30
	v_add_nc_u32_e32 v32, v15, v2
	v_bitop3_b32 v0, v0, v3, v6 bitop3:0x80
	v_xor_b32_e32 v2, vcc_lo, v4
	s_delay_alu instid0(VALU_DEP_4) | instskip(SKIP_2) | instid1(VALU_DEP_1)
	v_xor_b32_e32 v1, s13, v1
	ds_load_b32 v30, v32 offset:32
	; wave barrier
	v_bitop3_b32 v0, v0, v1, v2 bitop3:0x80
	v_mbcnt_lo_u32_b32 v31, v0, 0
	v_cmp_ne_u32_e64 s13, 0, v0
	s_delay_alu instid0(VALU_DEP_2) | instskip(SKIP_1) | instid1(SALU_CYCLE_1)
	v_cmp_eq_u32_e32 vcc_lo, 0, v31
	s_and_b32 s14, s13, vcc_lo
	s_and_saveexec_b32 s13, s14
	s_cbranch_execz .LBB1355_12
; %bb.11:                               ;   in Loop: Header=BB1355_6 Depth=1
	s_wait_dscnt 0x0
	v_bcnt_u32_b32 v0, v0, v30
	ds_store_b32 v32, v0 offset:32
.LBB1355_12:                            ;   in Loop: Header=BB1355_6 Depth=1
	s_or_b32 exec_lo, exec_lo, s13
	v_cmp_ne_u32_e32 vcc_lo, 0x7fffffff, v22
	; wave barrier
	v_cndmask_b32_e32 v0, 0x80000000, v22, vcc_lo
	s_delay_alu instid0(VALU_DEP_1) | instskip(NEXT) | instid1(VALU_DEP_1)
	v_lshrrev_b32_e32 v0, s22, v0
	v_and_b32_e32 v1, s28, v0
	s_delay_alu instid0(VALU_DEP_1) | instskip(SKIP_2) | instid1(VALU_DEP_2)
	v_lshlrev_b32_e32 v2, 5, v1
	v_bitop3_b32 v0, v0, 1, s28 bitop3:0x80
	v_lshlrev_b32_e32 v4, 30, v1
	v_add_co_u32 v0, s13, v0, -1
	s_delay_alu instid0(VALU_DEP_1) | instskip(NEXT) | instid1(VALU_DEP_1)
	v_cndmask_b32_e64 v3, 0, 1, s13
	v_cmp_ne_u32_e32 vcc_lo, 0, v3
	s_delay_alu instid0(VALU_DEP_4) | instskip(NEXT) | instid1(VALU_DEP_1)
	v_not_b32_e32 v3, v4
	v_dual_ashrrev_i32 v3, 31, v3 :: v_dual_lshlrev_b32 v5, 29, v1
	v_dual_lshlrev_b32 v6, 28, v1 :: v_dual_lshlrev_b32 v7, 27, v1
	v_lshlrev_b32_e32 v33, 26, v1
	v_cmp_gt_i32_e64 s13, 0, v4
	s_delay_alu instid0(VALU_DEP_4)
	v_cmp_gt_i32_e64 s14, 0, v5
	v_not_b32_e32 v4, v5
	v_not_b32_e32 v5, v6
	v_dual_lshlrev_b32 v34, 25, v1 :: v_dual_lshlrev_b32 v1, 24, v1
	v_cmp_gt_i32_e64 s15, 0, v6
	v_cmp_gt_i32_e64 s16, 0, v7
	v_not_b32_e32 v6, v7
	v_dual_ashrrev_i32 v5, 31, v5 :: v_dual_bitop2_b32 v0, vcc_lo, v0 bitop3:0x14
	v_dual_ashrrev_i32 v4, 31, v4 :: v_dual_bitop2_b32 v3, s13, v3 bitop3:0x14
	v_not_b32_e32 v7, v33
	v_cmp_gt_i32_e64 s17, 0, v33
	s_delay_alu instid0(VALU_DEP_3)
	v_dual_ashrrev_i32 v6, 31, v6 :: v_dual_bitop2_b32 v4, s14, v4 bitop3:0x14
	v_xor_b32_e32 v5, s15, v5
	v_bitop3_b32 v0, v0, v3, exec_lo bitop3:0x80
	v_ashrrev_i32_e32 v3, 31, v7
	v_not_b32_e32 v7, v34
	v_not_b32_e32 v33, v1
	v_xor_b32_e32 v6, s16, v6
	v_bitop3_b32 v0, v0, v5, v4 bitop3:0x80
	v_xor_b32_e32 v3, s17, v3
	v_cmp_gt_i32_e32 vcc_lo, 0, v34
	v_ashrrev_i32_e32 v4, 31, v7
	v_cmp_gt_i32_e64 s13, 0, v1
	v_dual_ashrrev_i32 v1, 31, v33 :: v_dual_add_nc_u32 v35, v15, v2
	v_bitop3_b32 v0, v0, v3, v6 bitop3:0x80
	s_delay_alu instid0(VALU_DEP_4) | instskip(NEXT) | instid1(VALU_DEP_3)
	v_xor_b32_e32 v2, vcc_lo, v4
	v_xor_b32_e32 v1, s13, v1
	ds_load_b32 v33, v35 offset:32
	; wave barrier
	v_bitop3_b32 v0, v0, v1, v2 bitop3:0x80
	s_delay_alu instid0(VALU_DEP_1) | instskip(SKIP_1) | instid1(VALU_DEP_2)
	v_mbcnt_lo_u32_b32 v34, v0, 0
	v_cmp_ne_u32_e64 s13, 0, v0
	v_cmp_eq_u32_e32 vcc_lo, 0, v34
	s_and_b32 s14, s13, vcc_lo
	s_delay_alu instid0(SALU_CYCLE_1)
	s_and_saveexec_b32 s13, s14
	s_cbranch_execz .LBB1355_14
; %bb.13:                               ;   in Loop: Header=BB1355_6 Depth=1
	s_wait_dscnt 0x0
	v_bcnt_u32_b32 v0, v0, v33
	ds_store_b32 v35, v0 offset:32
.LBB1355_14:                            ;   in Loop: Header=BB1355_6 Depth=1
	s_or_b32 exec_lo, exec_lo, s13
	; wave barrier
	s_wait_dscnt 0x0
	s_barrier_signal -1
	s_barrier_wait -1
	ds_load_2addr_b64 v[4:7], v9 offset0:4 offset1:5
	ds_load_2addr_b64 v[0:3], v9 offset0:6 offset1:7
	s_wait_dscnt 0x1
	v_add_nc_u32_e32 v36, v5, v4
	s_delay_alu instid0(VALU_DEP_1) | instskip(SKIP_1) | instid1(VALU_DEP_1)
	v_add3_u32 v36, v36, v6, v7
	s_wait_dscnt 0x0
	v_add3_u32 v36, v36, v0, v1
	s_delay_alu instid0(VALU_DEP_1) | instskip(NEXT) | instid1(VALU_DEP_1)
	v_add3_u32 v3, v36, v2, v3
	v_mov_b32_dpp v36, v3 row_shr:1 row_mask:0xf bank_mask:0xf
	s_delay_alu instid0(VALU_DEP_1) | instskip(NEXT) | instid1(VALU_DEP_1)
	v_cndmask_b32_e64 v36, v36, 0, s3
	v_add_nc_u32_e32 v3, v36, v3
	s_delay_alu instid0(VALU_DEP_1) | instskip(NEXT) | instid1(VALU_DEP_1)
	v_mov_b32_dpp v36, v3 row_shr:2 row_mask:0xf bank_mask:0xf
	v_cndmask_b32_e64 v36, 0, v36, s4
	s_delay_alu instid0(VALU_DEP_1) | instskip(NEXT) | instid1(VALU_DEP_1)
	v_add_nc_u32_e32 v3, v3, v36
	v_mov_b32_dpp v36, v3 row_shr:4 row_mask:0xf bank_mask:0xf
	s_delay_alu instid0(VALU_DEP_1) | instskip(NEXT) | instid1(VALU_DEP_1)
	v_cndmask_b32_e64 v36, 0, v36, s5
	v_add_nc_u32_e32 v3, v3, v36
	s_delay_alu instid0(VALU_DEP_1) | instskip(NEXT) | instid1(VALU_DEP_1)
	v_mov_b32_dpp v36, v3 row_shr:8 row_mask:0xf bank_mask:0xf
	v_cndmask_b32_e64 v36, 0, v36, s6
	s_delay_alu instid0(VALU_DEP_1) | instskip(SKIP_3) | instid1(VALU_DEP_1)
	v_add_nc_u32_e32 v3, v3, v36
	ds_swizzle_b32 v36, v3 offset:swizzle(BROADCAST,32,15)
	s_wait_dscnt 0x0
	v_cndmask_b32_e64 v36, v36, 0, s7
	v_add_nc_u32_e32 v3, v3, v36
	s_and_saveexec_b32 s13, s8
; %bb.15:                               ;   in Loop: Header=BB1355_6 Depth=1
	ds_store_b32 v18, v3
; %bb.16:                               ;   in Loop: Header=BB1355_6 Depth=1
	s_or_b32 exec_lo, exec_lo, s13
	s_wait_dscnt 0x0
	s_barrier_signal -1
	s_barrier_wait -1
	s_and_saveexec_b32 s13, s0
	s_cbranch_execz .LBB1355_18
; %bb.17:                               ;   in Loop: Header=BB1355_6 Depth=1
	ds_load_b32 v36, v16
	s_wait_dscnt 0x0
	v_mov_b32_dpp v37, v36 row_shr:1 row_mask:0xf bank_mask:0xf
	s_delay_alu instid0(VALU_DEP_1) | instskip(NEXT) | instid1(VALU_DEP_1)
	v_cndmask_b32_e64 v37, v37, 0, s10
	v_add_nc_u32_e32 v36, v37, v36
	s_delay_alu instid0(VALU_DEP_1) | instskip(NEXT) | instid1(VALU_DEP_1)
	v_mov_b32_dpp v37, v36 row_shr:2 row_mask:0xf bank_mask:0xf
	v_cndmask_b32_e64 v37, 0, v37, s11
	s_delay_alu instid0(VALU_DEP_1) | instskip(NEXT) | instid1(VALU_DEP_1)
	v_add_nc_u32_e32 v36, v36, v37
	v_mov_b32_dpp v37, v36 row_shr:4 row_mask:0xf bank_mask:0xf
	s_delay_alu instid0(VALU_DEP_1) | instskip(NEXT) | instid1(VALU_DEP_1)
	v_cndmask_b32_e64 v37, 0, v37, s12
	v_add_nc_u32_e32 v36, v36, v37
	ds_store_b32 v16, v36
.LBB1355_18:                            ;   in Loop: Header=BB1355_6 Depth=1
	s_or_b32 exec_lo, exec_lo, s13
	v_mov_b32_e32 v36, 0
	s_wait_dscnt 0x0
	s_barrier_signal -1
	s_barrier_wait -1
	s_and_saveexec_b32 s13, s1
; %bb.19:                               ;   in Loop: Header=BB1355_6 Depth=1
	ds_load_b32 v36, v19
; %bb.20:                               ;   in Loop: Header=BB1355_6 Depth=1
	s_or_b32 exec_lo, exec_lo, s13
	s_wait_dscnt 0x0
	v_add_nc_u32_e32 v3, v36, v3
	s_add_co_i32 s22, s22, 8
	s_mov_b32 s13, -1
	s_cmp_ge_u32 s22, s27
	ds_bpermute_b32 v3, v17, v3
	s_wait_dscnt 0x0
	v_cndmask_b32_e64 v3, v3, v36, s2
	s_delay_alu instid0(VALU_DEP_1) | instskip(NEXT) | instid1(VALU_DEP_1)
	v_cndmask_b32_e64 v36, v3, 0, s9
	v_add_nc_u32_e32 v37, v36, v4
	s_delay_alu instid0(VALU_DEP_1) | instskip(NEXT) | instid1(VALU_DEP_1)
	v_add_nc_u32_e32 v4, v37, v5
	v_add_nc_u32_e32 v5, v4, v6
	s_delay_alu instid0(VALU_DEP_1) | instskip(NEXT) | instid1(VALU_DEP_1)
	v_add_nc_u32_e32 v6, v5, v7
	;; [unrolled: 3-line block ×3, first 2 shown]
	v_add_nc_u32_e32 v1, v0, v2
	ds_store_2addr_b64 v9, v[36:37], v[4:5] offset0:4 offset1:5
	ds_store_2addr_b64 v9, v[6:7], v[0:1] offset0:6 offset1:7
	s_wait_dscnt 0x0
	s_barrier_signal -1
	s_barrier_wait -1
	ds_load_b32 v0, v28 offset:32
	ds_load_b32 v1, v32 offset:32
	;; [unrolled: 1-line block ×4, first 2 shown]
	v_lshlrev_b32_e32 v4, 2, v25
	v_dual_lshlrev_b32 v5, 2, v29 :: v_dual_lshlrev_b32 v6, 2, v27
	v_dual_lshlrev_b32 v7, 2, v31 :: v_dual_lshlrev_b32 v25, 2, v30
	;; [unrolled: 1-line block ×3, first 2 shown]
	s_wait_dscnt 0x0
	v_dual_lshlrev_b32 v0, 2, v0 :: v_dual_lshlrev_b32 v1, 2, v1
	v_lshlrev_b32_e32 v2, 2, v2
	v_lshl_add_u32 v4, v3, 2, v4
	s_delay_alu instid0(VALU_DEP_3) | instskip(NEXT) | instid1(VALU_DEP_4)
	v_add3_u32 v5, v5, v6, v0
	v_add3_u32 v6, v7, v25, v1
	s_delay_alu instid0(VALU_DEP_4)
	v_add3_u32 v7, v26, v27, v2
                                        ; implicit-def: $vgpr3
                                        ; implicit-def: $vgpr1
	s_cbranch_scc1 .LBB1355_5
; %bb.21:                               ;   in Loop: Header=BB1355_6 Depth=1
	s_barrier_signal -1
	s_barrier_wait -1
	ds_store_b32 v4, v21
	ds_store_b32 v5, v24
	;; [unrolled: 1-line block ×4, first 2 shown]
	s_wait_dscnt 0x0
	s_barrier_signal -1
	s_barrier_wait -1
	ds_load_2addr_b32 v[0:1], v20 offset1:32
	ds_load_2addr_b32 v[2:3], v20 offset0:64 offset1:96
	s_add_co_i32 s23, s23, -8
	s_mov_b32 s13, 0
	s_wait_dscnt 0x0
	s_barrier_signal -1
	s_barrier_wait -1
	s_branch .LBB1355_5
.LBB1355_22:
	s_barrier_signal -1
	s_barrier_wait -1
	ds_store_b32 v4, v21
	ds_store_b32 v5, v24
	ds_store_b32 v6, v23
	ds_store_b32 v7, v22
	s_wait_dscnt 0x0
	s_barrier_signal -1
	s_barrier_wait -1
	ds_load_2addr_stride64_b32 v[6:7], v16 offset1:4
	ds_load_2addr_stride64_b32 v[0:1], v16 offset0:8 offset1:12
	s_add_nc_u64 s[0:1], s[18:19], s[20:21]
	s_wait_dscnt 0x1
	v_cmp_lt_i32_e32 vcc_lo, -1, v6
	v_cndmask_b32_e64 v4, 0x80000000, -1, vcc_lo
	v_cmp_lt_i32_e32 vcc_lo, -1, v7
	s_delay_alu instid0(VALU_DEP_2) | instskip(SKIP_3) | instid1(VALU_DEP_3)
	v_dual_mov_b32 v9, 0 :: v_dual_bitop2_b32 v5, v4, v6 bitop3:0x14
	v_cndmask_b32_e64 v10, 0x80000000, -1, vcc_lo
	s_wait_dscnt 0x0
	v_cmp_lt_i32_e32 vcc_lo, -1, v0
	v_add_nc_u64_e32 v[2:3], s[0:1], v[8:9]
	s_mov_b32 s1, -1
	s_mov_b32 s0, 0
	v_xor_b32_e32 v4, v10, v7
	v_cndmask_b32_e64 v11, 0x80000000, -1, vcc_lo
	s_and_not1_b32 vcc_lo, exec_lo, s25
	s_delay_alu instid0(VALU_DEP_1)
	v_xor_b32_e32 v0, v11, v0
	s_cbranch_vccz .LBB1355_34
; %bb.23:
	s_and_not1_b32 vcc_lo, exec_lo, s1
	s_cbranch_vccz .LBB1355_35
.LBB1355_24:
	s_wait_xcnt 0x0
	s_and_saveexec_b32 s1, s0
	s_cbranch_execnz .LBB1355_42
.LBB1355_25:
	s_endpgm
.LBB1355_26:
	s_clause 0x2
	global_load_b32 v2, v[10:11], off
	global_load_b32 v3, v[10:11], off offset:128
	global_load_b32 v4, v[10:11], off offset:256
	s_mov_b32 s3, -1
	s_load_b64 s[22:23], s[0:1], 0x28
	s_sub_co_i32 s24, s4, s2
	s_cbranch_execnz .LBB1355_2
.LBB1355_27:
	s_wait_loadcnt 0x2
	v_bfrev_b32_e32 v2, -2
	v_or_b32_e32 v1, v12, v1
	s_mov_b32 s2, exec_lo
	s_wait_loadcnt 0x0
	s_delay_alu instid0(VALU_DEP_2)
	v_dual_mov_b32 v3, v2 :: v_dual_mov_b32 v4, v2
	v_mov_b32_e32 v5, v2
	v_cmpx_gt_u32_e64 s24, v1
	s_cbranch_execz .LBB1355_29
; %bb.28:
	global_load_b32 v16, v[10:11], off
	v_dual_mov_b32 v17, v2 :: v_dual_mov_b32 v18, v2
	v_mov_b32_e32 v19, v2
	s_wait_loadcnt 0x0
	s_delay_alu instid0(VALU_DEP_2) | instskip(NEXT) | instid1(VALU_DEP_2)
	v_mov_b64_e32 v[2:3], v[16:17]
	v_mov_b64_e32 v[4:5], v[18:19]
.LBB1355_29:
	s_or_b32 exec_lo, exec_lo, s2
	v_or_b32_e32 v7, 32, v1
	s_mov_b32 s2, exec_lo
	s_delay_alu instid0(VALU_DEP_1)
	v_cmpx_gt_u32_e64 s24, v7
	s_cbranch_execz .LBB1355_31
; %bb.30:
	global_load_b32 v3, v[10:11], off offset:128
.LBB1355_31:
	s_wait_xcnt 0x0
	s_or_b32 exec_lo, exec_lo, s2
	v_or_b32_e32 v7, 64, v1
	s_mov_b32 s2, exec_lo
	s_delay_alu instid0(VALU_DEP_1)
	v_cmpx_gt_u32_e64 s24, v7
	s_cbranch_execz .LBB1355_33
; %bb.32:
	global_load_b32 v4, v[10:11], off offset:256
.LBB1355_33:
	s_wait_xcnt 0x0
	s_or_b32 exec_lo, exec_lo, s2
	v_or_b32_e32 v1, 0x60, v1
	s_delay_alu instid0(VALU_DEP_1)
	v_cmp_gt_u32_e64 s3, s24, v1
	s_and_saveexec_b32 s2, s3
	s_cbranch_execnz .LBB1355_3
	s_branch .LBB1355_4
.LBB1355_34:
	s_mov_b32 s0, -1
	s_clause 0x2
	global_store_b32 v[2:3], v5, off
	global_store_b32 v[2:3], v4, off offset:1024
	global_store_b32 v[2:3], v0, off offset:2048
	s_cbranch_execnz .LBB1355_24
.LBB1355_35:
	s_mov_b32 s0, exec_lo
	s_wait_xcnt 0x0
	v_cmpx_gt_u32_e64 s24, v14
	s_cbranch_execz .LBB1355_37
; %bb.36:
	global_store_b32 v[2:3], v5, off
.LBB1355_37:
	s_wait_xcnt 0x0
	s_or_b32 exec_lo, exec_lo, s0
	v_add_nc_u32_e32 v5, 0x100, v14
	s_mov_b32 s0, exec_lo
	s_delay_alu instid0(VALU_DEP_1)
	v_cmpx_gt_u32_e64 s24, v5
	s_cbranch_execz .LBB1355_39
; %bb.38:
	global_store_b32 v[2:3], v4, off offset:1024
.LBB1355_39:
	s_wait_xcnt 0x0
	s_or_b32 exec_lo, exec_lo, s0
	v_add_nc_u32_e32 v4, 0x200, v14
	s_mov_b32 s0, exec_lo
	s_delay_alu instid0(VALU_DEP_1)
	v_cmpx_gt_u32_e64 s24, v4
	s_cbranch_execz .LBB1355_41
; %bb.40:
	global_store_b32 v[2:3], v0, off offset:2048
.LBB1355_41:
	s_wait_xcnt 0x0
	s_or_b32 exec_lo, exec_lo, s0
	v_add_nc_u32_e32 v0, 0x300, v14
	s_delay_alu instid0(VALU_DEP_1)
	v_cmp_gt_u32_e64 s0, s24, v0
	s_and_saveexec_b32 s1, s0
	s_cbranch_execz .LBB1355_25
.LBB1355_42:
	v_cmp_lt_i32_e32 vcc_lo, -1, v1
	v_cndmask_b32_e64 v0, 0x80000000, -1, vcc_lo
	s_delay_alu instid0(VALU_DEP_1)
	v_xor_b32_e32 v0, v0, v1
	global_store_b32 v[2:3], v0, off offset:3072
	s_endpgm
	.section	.rodata,"a",@progbits
	.p2align	6, 0x0
	.amdhsa_kernel _ZN7rocprim17ROCPRIM_400000_NS6detail17trampoline_kernelINS0_13kernel_configILj256ELj4ELj4294967295EEENS1_37radix_sort_block_sort_config_selectorIfNS0_10empty_typeEEEZNS1_21radix_sort_block_sortIS4_Lb0EPKfPfPS6_SC_NS0_19identity_decomposerEEE10hipError_tT1_T2_T3_T4_jRjT5_jjP12ihipStream_tbEUlT_E_NS1_11comp_targetILNS1_3genE0ELNS1_11target_archE4294967295ELNS1_3gpuE0ELNS1_3repE0EEENS1_44radix_sort_block_sort_config_static_selectorELNS0_4arch9wavefront6targetE0EEEvSF_
		.amdhsa_group_segment_fixed_size 8224
		.amdhsa_private_segment_fixed_size 0
		.amdhsa_kernarg_size 304
		.amdhsa_user_sgpr_count 2
		.amdhsa_user_sgpr_dispatch_ptr 0
		.amdhsa_user_sgpr_queue_ptr 0
		.amdhsa_user_sgpr_kernarg_segment_ptr 1
		.amdhsa_user_sgpr_dispatch_id 0
		.amdhsa_user_sgpr_kernarg_preload_length 0
		.amdhsa_user_sgpr_kernarg_preload_offset 0
		.amdhsa_user_sgpr_private_segment_size 0
		.amdhsa_wavefront_size32 1
		.amdhsa_uses_dynamic_stack 0
		.amdhsa_enable_private_segment 0
		.amdhsa_system_sgpr_workgroup_id_x 1
		.amdhsa_system_sgpr_workgroup_id_y 0
		.amdhsa_system_sgpr_workgroup_id_z 0
		.amdhsa_system_sgpr_workgroup_info 0
		.amdhsa_system_vgpr_workitem_id 2
		.amdhsa_next_free_vgpr 38
		.amdhsa_next_free_sgpr 29
		.amdhsa_named_barrier_count 0
		.amdhsa_reserve_vcc 1
		.amdhsa_float_round_mode_32 0
		.amdhsa_float_round_mode_16_64 0
		.amdhsa_float_denorm_mode_32 3
		.amdhsa_float_denorm_mode_16_64 3
		.amdhsa_fp16_overflow 0
		.amdhsa_memory_ordered 1
		.amdhsa_forward_progress 1
		.amdhsa_inst_pref_size 29
		.amdhsa_round_robin_scheduling 0
		.amdhsa_exception_fp_ieee_invalid_op 0
		.amdhsa_exception_fp_denorm_src 0
		.amdhsa_exception_fp_ieee_div_zero 0
		.amdhsa_exception_fp_ieee_overflow 0
		.amdhsa_exception_fp_ieee_underflow 0
		.amdhsa_exception_fp_ieee_inexact 0
		.amdhsa_exception_int_div_zero 0
	.end_amdhsa_kernel
	.section	.text._ZN7rocprim17ROCPRIM_400000_NS6detail17trampoline_kernelINS0_13kernel_configILj256ELj4ELj4294967295EEENS1_37radix_sort_block_sort_config_selectorIfNS0_10empty_typeEEEZNS1_21radix_sort_block_sortIS4_Lb0EPKfPfPS6_SC_NS0_19identity_decomposerEEE10hipError_tT1_T2_T3_T4_jRjT5_jjP12ihipStream_tbEUlT_E_NS1_11comp_targetILNS1_3genE0ELNS1_11target_archE4294967295ELNS1_3gpuE0ELNS1_3repE0EEENS1_44radix_sort_block_sort_config_static_selectorELNS0_4arch9wavefront6targetE0EEEvSF_,"axG",@progbits,_ZN7rocprim17ROCPRIM_400000_NS6detail17trampoline_kernelINS0_13kernel_configILj256ELj4ELj4294967295EEENS1_37radix_sort_block_sort_config_selectorIfNS0_10empty_typeEEEZNS1_21radix_sort_block_sortIS4_Lb0EPKfPfPS6_SC_NS0_19identity_decomposerEEE10hipError_tT1_T2_T3_T4_jRjT5_jjP12ihipStream_tbEUlT_E_NS1_11comp_targetILNS1_3genE0ELNS1_11target_archE4294967295ELNS1_3gpuE0ELNS1_3repE0EEENS1_44radix_sort_block_sort_config_static_selectorELNS0_4arch9wavefront6targetE0EEEvSF_,comdat
.Lfunc_end1355:
	.size	_ZN7rocprim17ROCPRIM_400000_NS6detail17trampoline_kernelINS0_13kernel_configILj256ELj4ELj4294967295EEENS1_37radix_sort_block_sort_config_selectorIfNS0_10empty_typeEEEZNS1_21radix_sort_block_sortIS4_Lb0EPKfPfPS6_SC_NS0_19identity_decomposerEEE10hipError_tT1_T2_T3_T4_jRjT5_jjP12ihipStream_tbEUlT_E_NS1_11comp_targetILNS1_3genE0ELNS1_11target_archE4294967295ELNS1_3gpuE0ELNS1_3repE0EEENS1_44radix_sort_block_sort_config_static_selectorELNS0_4arch9wavefront6targetE0EEEvSF_, .Lfunc_end1355-_ZN7rocprim17ROCPRIM_400000_NS6detail17trampoline_kernelINS0_13kernel_configILj256ELj4ELj4294967295EEENS1_37radix_sort_block_sort_config_selectorIfNS0_10empty_typeEEEZNS1_21radix_sort_block_sortIS4_Lb0EPKfPfPS6_SC_NS0_19identity_decomposerEEE10hipError_tT1_T2_T3_T4_jRjT5_jjP12ihipStream_tbEUlT_E_NS1_11comp_targetILNS1_3genE0ELNS1_11target_archE4294967295ELNS1_3gpuE0ELNS1_3repE0EEENS1_44radix_sort_block_sort_config_static_selectorELNS0_4arch9wavefront6targetE0EEEvSF_
                                        ; -- End function
	.set _ZN7rocprim17ROCPRIM_400000_NS6detail17trampoline_kernelINS0_13kernel_configILj256ELj4ELj4294967295EEENS1_37radix_sort_block_sort_config_selectorIfNS0_10empty_typeEEEZNS1_21radix_sort_block_sortIS4_Lb0EPKfPfPS6_SC_NS0_19identity_decomposerEEE10hipError_tT1_T2_T3_T4_jRjT5_jjP12ihipStream_tbEUlT_E_NS1_11comp_targetILNS1_3genE0ELNS1_11target_archE4294967295ELNS1_3gpuE0ELNS1_3repE0EEENS1_44radix_sort_block_sort_config_static_selectorELNS0_4arch9wavefront6targetE0EEEvSF_.num_vgpr, 38
	.set _ZN7rocprim17ROCPRIM_400000_NS6detail17trampoline_kernelINS0_13kernel_configILj256ELj4ELj4294967295EEENS1_37radix_sort_block_sort_config_selectorIfNS0_10empty_typeEEEZNS1_21radix_sort_block_sortIS4_Lb0EPKfPfPS6_SC_NS0_19identity_decomposerEEE10hipError_tT1_T2_T3_T4_jRjT5_jjP12ihipStream_tbEUlT_E_NS1_11comp_targetILNS1_3genE0ELNS1_11target_archE4294967295ELNS1_3gpuE0ELNS1_3repE0EEENS1_44radix_sort_block_sort_config_static_selectorELNS0_4arch9wavefront6targetE0EEEvSF_.num_agpr, 0
	.set _ZN7rocprim17ROCPRIM_400000_NS6detail17trampoline_kernelINS0_13kernel_configILj256ELj4ELj4294967295EEENS1_37radix_sort_block_sort_config_selectorIfNS0_10empty_typeEEEZNS1_21radix_sort_block_sortIS4_Lb0EPKfPfPS6_SC_NS0_19identity_decomposerEEE10hipError_tT1_T2_T3_T4_jRjT5_jjP12ihipStream_tbEUlT_E_NS1_11comp_targetILNS1_3genE0ELNS1_11target_archE4294967295ELNS1_3gpuE0ELNS1_3repE0EEENS1_44radix_sort_block_sort_config_static_selectorELNS0_4arch9wavefront6targetE0EEEvSF_.numbered_sgpr, 29
	.set _ZN7rocprim17ROCPRIM_400000_NS6detail17trampoline_kernelINS0_13kernel_configILj256ELj4ELj4294967295EEENS1_37radix_sort_block_sort_config_selectorIfNS0_10empty_typeEEEZNS1_21radix_sort_block_sortIS4_Lb0EPKfPfPS6_SC_NS0_19identity_decomposerEEE10hipError_tT1_T2_T3_T4_jRjT5_jjP12ihipStream_tbEUlT_E_NS1_11comp_targetILNS1_3genE0ELNS1_11target_archE4294967295ELNS1_3gpuE0ELNS1_3repE0EEENS1_44radix_sort_block_sort_config_static_selectorELNS0_4arch9wavefront6targetE0EEEvSF_.num_named_barrier, 0
	.set _ZN7rocprim17ROCPRIM_400000_NS6detail17trampoline_kernelINS0_13kernel_configILj256ELj4ELj4294967295EEENS1_37radix_sort_block_sort_config_selectorIfNS0_10empty_typeEEEZNS1_21radix_sort_block_sortIS4_Lb0EPKfPfPS6_SC_NS0_19identity_decomposerEEE10hipError_tT1_T2_T3_T4_jRjT5_jjP12ihipStream_tbEUlT_E_NS1_11comp_targetILNS1_3genE0ELNS1_11target_archE4294967295ELNS1_3gpuE0ELNS1_3repE0EEENS1_44radix_sort_block_sort_config_static_selectorELNS0_4arch9wavefront6targetE0EEEvSF_.private_seg_size, 0
	.set _ZN7rocprim17ROCPRIM_400000_NS6detail17trampoline_kernelINS0_13kernel_configILj256ELj4ELj4294967295EEENS1_37radix_sort_block_sort_config_selectorIfNS0_10empty_typeEEEZNS1_21radix_sort_block_sortIS4_Lb0EPKfPfPS6_SC_NS0_19identity_decomposerEEE10hipError_tT1_T2_T3_T4_jRjT5_jjP12ihipStream_tbEUlT_E_NS1_11comp_targetILNS1_3genE0ELNS1_11target_archE4294967295ELNS1_3gpuE0ELNS1_3repE0EEENS1_44radix_sort_block_sort_config_static_selectorELNS0_4arch9wavefront6targetE0EEEvSF_.uses_vcc, 1
	.set _ZN7rocprim17ROCPRIM_400000_NS6detail17trampoline_kernelINS0_13kernel_configILj256ELj4ELj4294967295EEENS1_37radix_sort_block_sort_config_selectorIfNS0_10empty_typeEEEZNS1_21radix_sort_block_sortIS4_Lb0EPKfPfPS6_SC_NS0_19identity_decomposerEEE10hipError_tT1_T2_T3_T4_jRjT5_jjP12ihipStream_tbEUlT_E_NS1_11comp_targetILNS1_3genE0ELNS1_11target_archE4294967295ELNS1_3gpuE0ELNS1_3repE0EEENS1_44radix_sort_block_sort_config_static_selectorELNS0_4arch9wavefront6targetE0EEEvSF_.uses_flat_scratch, 0
	.set _ZN7rocprim17ROCPRIM_400000_NS6detail17trampoline_kernelINS0_13kernel_configILj256ELj4ELj4294967295EEENS1_37radix_sort_block_sort_config_selectorIfNS0_10empty_typeEEEZNS1_21radix_sort_block_sortIS4_Lb0EPKfPfPS6_SC_NS0_19identity_decomposerEEE10hipError_tT1_T2_T3_T4_jRjT5_jjP12ihipStream_tbEUlT_E_NS1_11comp_targetILNS1_3genE0ELNS1_11target_archE4294967295ELNS1_3gpuE0ELNS1_3repE0EEENS1_44radix_sort_block_sort_config_static_selectorELNS0_4arch9wavefront6targetE0EEEvSF_.has_dyn_sized_stack, 0
	.set _ZN7rocprim17ROCPRIM_400000_NS6detail17trampoline_kernelINS0_13kernel_configILj256ELj4ELj4294967295EEENS1_37radix_sort_block_sort_config_selectorIfNS0_10empty_typeEEEZNS1_21radix_sort_block_sortIS4_Lb0EPKfPfPS6_SC_NS0_19identity_decomposerEEE10hipError_tT1_T2_T3_T4_jRjT5_jjP12ihipStream_tbEUlT_E_NS1_11comp_targetILNS1_3genE0ELNS1_11target_archE4294967295ELNS1_3gpuE0ELNS1_3repE0EEENS1_44radix_sort_block_sort_config_static_selectorELNS0_4arch9wavefront6targetE0EEEvSF_.has_recursion, 0
	.set _ZN7rocprim17ROCPRIM_400000_NS6detail17trampoline_kernelINS0_13kernel_configILj256ELj4ELj4294967295EEENS1_37radix_sort_block_sort_config_selectorIfNS0_10empty_typeEEEZNS1_21radix_sort_block_sortIS4_Lb0EPKfPfPS6_SC_NS0_19identity_decomposerEEE10hipError_tT1_T2_T3_T4_jRjT5_jjP12ihipStream_tbEUlT_E_NS1_11comp_targetILNS1_3genE0ELNS1_11target_archE4294967295ELNS1_3gpuE0ELNS1_3repE0EEENS1_44radix_sort_block_sort_config_static_selectorELNS0_4arch9wavefront6targetE0EEEvSF_.has_indirect_call, 0
	.section	.AMDGPU.csdata,"",@progbits
; Kernel info:
; codeLenInByte = 3648
; TotalNumSgprs: 31
; NumVgprs: 38
; ScratchSize: 0
; MemoryBound: 0
; FloatMode: 240
; IeeeMode: 1
; LDSByteSize: 8224 bytes/workgroup (compile time only)
; SGPRBlocks: 0
; VGPRBlocks: 2
; NumSGPRsForWavesPerEU: 31
; NumVGPRsForWavesPerEU: 38
; NamedBarCnt: 0
; Occupancy: 16
; WaveLimiterHint : 1
; COMPUTE_PGM_RSRC2:SCRATCH_EN: 0
; COMPUTE_PGM_RSRC2:USER_SGPR: 2
; COMPUTE_PGM_RSRC2:TRAP_HANDLER: 0
; COMPUTE_PGM_RSRC2:TGID_X_EN: 1
; COMPUTE_PGM_RSRC2:TGID_Y_EN: 0
; COMPUTE_PGM_RSRC2:TGID_Z_EN: 0
; COMPUTE_PGM_RSRC2:TIDIG_COMP_CNT: 2
	.section	.text._ZN7rocprim17ROCPRIM_400000_NS6detail17trampoline_kernelINS0_13kernel_configILj256ELj4ELj4294967295EEENS1_37radix_sort_block_sort_config_selectorIfNS0_10empty_typeEEEZNS1_21radix_sort_block_sortIS4_Lb0EPKfPfPS6_SC_NS0_19identity_decomposerEEE10hipError_tT1_T2_T3_T4_jRjT5_jjP12ihipStream_tbEUlT_E_NS1_11comp_targetILNS1_3genE5ELNS1_11target_archE942ELNS1_3gpuE9ELNS1_3repE0EEENS1_44radix_sort_block_sort_config_static_selectorELNS0_4arch9wavefront6targetE0EEEvSF_,"axG",@progbits,_ZN7rocprim17ROCPRIM_400000_NS6detail17trampoline_kernelINS0_13kernel_configILj256ELj4ELj4294967295EEENS1_37radix_sort_block_sort_config_selectorIfNS0_10empty_typeEEEZNS1_21radix_sort_block_sortIS4_Lb0EPKfPfPS6_SC_NS0_19identity_decomposerEEE10hipError_tT1_T2_T3_T4_jRjT5_jjP12ihipStream_tbEUlT_E_NS1_11comp_targetILNS1_3genE5ELNS1_11target_archE942ELNS1_3gpuE9ELNS1_3repE0EEENS1_44radix_sort_block_sort_config_static_selectorELNS0_4arch9wavefront6targetE0EEEvSF_,comdat
	.protected	_ZN7rocprim17ROCPRIM_400000_NS6detail17trampoline_kernelINS0_13kernel_configILj256ELj4ELj4294967295EEENS1_37radix_sort_block_sort_config_selectorIfNS0_10empty_typeEEEZNS1_21radix_sort_block_sortIS4_Lb0EPKfPfPS6_SC_NS0_19identity_decomposerEEE10hipError_tT1_T2_T3_T4_jRjT5_jjP12ihipStream_tbEUlT_E_NS1_11comp_targetILNS1_3genE5ELNS1_11target_archE942ELNS1_3gpuE9ELNS1_3repE0EEENS1_44radix_sort_block_sort_config_static_selectorELNS0_4arch9wavefront6targetE0EEEvSF_ ; -- Begin function _ZN7rocprim17ROCPRIM_400000_NS6detail17trampoline_kernelINS0_13kernel_configILj256ELj4ELj4294967295EEENS1_37radix_sort_block_sort_config_selectorIfNS0_10empty_typeEEEZNS1_21radix_sort_block_sortIS4_Lb0EPKfPfPS6_SC_NS0_19identity_decomposerEEE10hipError_tT1_T2_T3_T4_jRjT5_jjP12ihipStream_tbEUlT_E_NS1_11comp_targetILNS1_3genE5ELNS1_11target_archE942ELNS1_3gpuE9ELNS1_3repE0EEENS1_44radix_sort_block_sort_config_static_selectorELNS0_4arch9wavefront6targetE0EEEvSF_
	.globl	_ZN7rocprim17ROCPRIM_400000_NS6detail17trampoline_kernelINS0_13kernel_configILj256ELj4ELj4294967295EEENS1_37radix_sort_block_sort_config_selectorIfNS0_10empty_typeEEEZNS1_21radix_sort_block_sortIS4_Lb0EPKfPfPS6_SC_NS0_19identity_decomposerEEE10hipError_tT1_T2_T3_T4_jRjT5_jjP12ihipStream_tbEUlT_E_NS1_11comp_targetILNS1_3genE5ELNS1_11target_archE942ELNS1_3gpuE9ELNS1_3repE0EEENS1_44radix_sort_block_sort_config_static_selectorELNS0_4arch9wavefront6targetE0EEEvSF_
	.p2align	8
	.type	_ZN7rocprim17ROCPRIM_400000_NS6detail17trampoline_kernelINS0_13kernel_configILj256ELj4ELj4294967295EEENS1_37radix_sort_block_sort_config_selectorIfNS0_10empty_typeEEEZNS1_21radix_sort_block_sortIS4_Lb0EPKfPfPS6_SC_NS0_19identity_decomposerEEE10hipError_tT1_T2_T3_T4_jRjT5_jjP12ihipStream_tbEUlT_E_NS1_11comp_targetILNS1_3genE5ELNS1_11target_archE942ELNS1_3gpuE9ELNS1_3repE0EEENS1_44radix_sort_block_sort_config_static_selectorELNS0_4arch9wavefront6targetE0EEEvSF_,@function
_ZN7rocprim17ROCPRIM_400000_NS6detail17trampoline_kernelINS0_13kernel_configILj256ELj4ELj4294967295EEENS1_37radix_sort_block_sort_config_selectorIfNS0_10empty_typeEEEZNS1_21radix_sort_block_sortIS4_Lb0EPKfPfPS6_SC_NS0_19identity_decomposerEEE10hipError_tT1_T2_T3_T4_jRjT5_jjP12ihipStream_tbEUlT_E_NS1_11comp_targetILNS1_3genE5ELNS1_11target_archE942ELNS1_3gpuE9ELNS1_3repE0EEENS1_44radix_sort_block_sort_config_static_selectorELNS0_4arch9wavefront6targetE0EEEvSF_: ; @_ZN7rocprim17ROCPRIM_400000_NS6detail17trampoline_kernelINS0_13kernel_configILj256ELj4ELj4294967295EEENS1_37radix_sort_block_sort_config_selectorIfNS0_10empty_typeEEEZNS1_21radix_sort_block_sortIS4_Lb0EPKfPfPS6_SC_NS0_19identity_decomposerEEE10hipError_tT1_T2_T3_T4_jRjT5_jjP12ihipStream_tbEUlT_E_NS1_11comp_targetILNS1_3genE5ELNS1_11target_archE942ELNS1_3gpuE9ELNS1_3repE0EEENS1_44radix_sort_block_sort_config_static_selectorELNS0_4arch9wavefront6targetE0EEEvSF_
; %bb.0:
	.section	.rodata,"a",@progbits
	.p2align	6, 0x0
	.amdhsa_kernel _ZN7rocprim17ROCPRIM_400000_NS6detail17trampoline_kernelINS0_13kernel_configILj256ELj4ELj4294967295EEENS1_37radix_sort_block_sort_config_selectorIfNS0_10empty_typeEEEZNS1_21radix_sort_block_sortIS4_Lb0EPKfPfPS6_SC_NS0_19identity_decomposerEEE10hipError_tT1_T2_T3_T4_jRjT5_jjP12ihipStream_tbEUlT_E_NS1_11comp_targetILNS1_3genE5ELNS1_11target_archE942ELNS1_3gpuE9ELNS1_3repE0EEENS1_44radix_sort_block_sort_config_static_selectorELNS0_4arch9wavefront6targetE0EEEvSF_
		.amdhsa_group_segment_fixed_size 0
		.amdhsa_private_segment_fixed_size 0
		.amdhsa_kernarg_size 48
		.amdhsa_user_sgpr_count 2
		.amdhsa_user_sgpr_dispatch_ptr 0
		.amdhsa_user_sgpr_queue_ptr 0
		.amdhsa_user_sgpr_kernarg_segment_ptr 1
		.amdhsa_user_sgpr_dispatch_id 0
		.amdhsa_user_sgpr_kernarg_preload_length 0
		.amdhsa_user_sgpr_kernarg_preload_offset 0
		.amdhsa_user_sgpr_private_segment_size 0
		.amdhsa_wavefront_size32 1
		.amdhsa_uses_dynamic_stack 0
		.amdhsa_enable_private_segment 0
		.amdhsa_system_sgpr_workgroup_id_x 1
		.amdhsa_system_sgpr_workgroup_id_y 0
		.amdhsa_system_sgpr_workgroup_id_z 0
		.amdhsa_system_sgpr_workgroup_info 0
		.amdhsa_system_vgpr_workitem_id 0
		.amdhsa_next_free_vgpr 1
		.amdhsa_next_free_sgpr 1
		.amdhsa_named_barrier_count 0
		.amdhsa_reserve_vcc 0
		.amdhsa_float_round_mode_32 0
		.amdhsa_float_round_mode_16_64 0
		.amdhsa_float_denorm_mode_32 3
		.amdhsa_float_denorm_mode_16_64 3
		.amdhsa_fp16_overflow 0
		.amdhsa_memory_ordered 1
		.amdhsa_forward_progress 1
		.amdhsa_inst_pref_size 0
		.amdhsa_round_robin_scheduling 0
		.amdhsa_exception_fp_ieee_invalid_op 0
		.amdhsa_exception_fp_denorm_src 0
		.amdhsa_exception_fp_ieee_div_zero 0
		.amdhsa_exception_fp_ieee_overflow 0
		.amdhsa_exception_fp_ieee_underflow 0
		.amdhsa_exception_fp_ieee_inexact 0
		.amdhsa_exception_int_div_zero 0
	.end_amdhsa_kernel
	.section	.text._ZN7rocprim17ROCPRIM_400000_NS6detail17trampoline_kernelINS0_13kernel_configILj256ELj4ELj4294967295EEENS1_37radix_sort_block_sort_config_selectorIfNS0_10empty_typeEEEZNS1_21radix_sort_block_sortIS4_Lb0EPKfPfPS6_SC_NS0_19identity_decomposerEEE10hipError_tT1_T2_T3_T4_jRjT5_jjP12ihipStream_tbEUlT_E_NS1_11comp_targetILNS1_3genE5ELNS1_11target_archE942ELNS1_3gpuE9ELNS1_3repE0EEENS1_44radix_sort_block_sort_config_static_selectorELNS0_4arch9wavefront6targetE0EEEvSF_,"axG",@progbits,_ZN7rocprim17ROCPRIM_400000_NS6detail17trampoline_kernelINS0_13kernel_configILj256ELj4ELj4294967295EEENS1_37radix_sort_block_sort_config_selectorIfNS0_10empty_typeEEEZNS1_21radix_sort_block_sortIS4_Lb0EPKfPfPS6_SC_NS0_19identity_decomposerEEE10hipError_tT1_T2_T3_T4_jRjT5_jjP12ihipStream_tbEUlT_E_NS1_11comp_targetILNS1_3genE5ELNS1_11target_archE942ELNS1_3gpuE9ELNS1_3repE0EEENS1_44radix_sort_block_sort_config_static_selectorELNS0_4arch9wavefront6targetE0EEEvSF_,comdat
.Lfunc_end1356:
	.size	_ZN7rocprim17ROCPRIM_400000_NS6detail17trampoline_kernelINS0_13kernel_configILj256ELj4ELj4294967295EEENS1_37radix_sort_block_sort_config_selectorIfNS0_10empty_typeEEEZNS1_21radix_sort_block_sortIS4_Lb0EPKfPfPS6_SC_NS0_19identity_decomposerEEE10hipError_tT1_T2_T3_T4_jRjT5_jjP12ihipStream_tbEUlT_E_NS1_11comp_targetILNS1_3genE5ELNS1_11target_archE942ELNS1_3gpuE9ELNS1_3repE0EEENS1_44radix_sort_block_sort_config_static_selectorELNS0_4arch9wavefront6targetE0EEEvSF_, .Lfunc_end1356-_ZN7rocprim17ROCPRIM_400000_NS6detail17trampoline_kernelINS0_13kernel_configILj256ELj4ELj4294967295EEENS1_37radix_sort_block_sort_config_selectorIfNS0_10empty_typeEEEZNS1_21radix_sort_block_sortIS4_Lb0EPKfPfPS6_SC_NS0_19identity_decomposerEEE10hipError_tT1_T2_T3_T4_jRjT5_jjP12ihipStream_tbEUlT_E_NS1_11comp_targetILNS1_3genE5ELNS1_11target_archE942ELNS1_3gpuE9ELNS1_3repE0EEENS1_44radix_sort_block_sort_config_static_selectorELNS0_4arch9wavefront6targetE0EEEvSF_
                                        ; -- End function
	.set _ZN7rocprim17ROCPRIM_400000_NS6detail17trampoline_kernelINS0_13kernel_configILj256ELj4ELj4294967295EEENS1_37radix_sort_block_sort_config_selectorIfNS0_10empty_typeEEEZNS1_21radix_sort_block_sortIS4_Lb0EPKfPfPS6_SC_NS0_19identity_decomposerEEE10hipError_tT1_T2_T3_T4_jRjT5_jjP12ihipStream_tbEUlT_E_NS1_11comp_targetILNS1_3genE5ELNS1_11target_archE942ELNS1_3gpuE9ELNS1_3repE0EEENS1_44radix_sort_block_sort_config_static_selectorELNS0_4arch9wavefront6targetE0EEEvSF_.num_vgpr, 0
	.set _ZN7rocprim17ROCPRIM_400000_NS6detail17trampoline_kernelINS0_13kernel_configILj256ELj4ELj4294967295EEENS1_37radix_sort_block_sort_config_selectorIfNS0_10empty_typeEEEZNS1_21radix_sort_block_sortIS4_Lb0EPKfPfPS6_SC_NS0_19identity_decomposerEEE10hipError_tT1_T2_T3_T4_jRjT5_jjP12ihipStream_tbEUlT_E_NS1_11comp_targetILNS1_3genE5ELNS1_11target_archE942ELNS1_3gpuE9ELNS1_3repE0EEENS1_44radix_sort_block_sort_config_static_selectorELNS0_4arch9wavefront6targetE0EEEvSF_.num_agpr, 0
	.set _ZN7rocprim17ROCPRIM_400000_NS6detail17trampoline_kernelINS0_13kernel_configILj256ELj4ELj4294967295EEENS1_37radix_sort_block_sort_config_selectorIfNS0_10empty_typeEEEZNS1_21radix_sort_block_sortIS4_Lb0EPKfPfPS6_SC_NS0_19identity_decomposerEEE10hipError_tT1_T2_T3_T4_jRjT5_jjP12ihipStream_tbEUlT_E_NS1_11comp_targetILNS1_3genE5ELNS1_11target_archE942ELNS1_3gpuE9ELNS1_3repE0EEENS1_44radix_sort_block_sort_config_static_selectorELNS0_4arch9wavefront6targetE0EEEvSF_.numbered_sgpr, 0
	.set _ZN7rocprim17ROCPRIM_400000_NS6detail17trampoline_kernelINS0_13kernel_configILj256ELj4ELj4294967295EEENS1_37radix_sort_block_sort_config_selectorIfNS0_10empty_typeEEEZNS1_21radix_sort_block_sortIS4_Lb0EPKfPfPS6_SC_NS0_19identity_decomposerEEE10hipError_tT1_T2_T3_T4_jRjT5_jjP12ihipStream_tbEUlT_E_NS1_11comp_targetILNS1_3genE5ELNS1_11target_archE942ELNS1_3gpuE9ELNS1_3repE0EEENS1_44radix_sort_block_sort_config_static_selectorELNS0_4arch9wavefront6targetE0EEEvSF_.num_named_barrier, 0
	.set _ZN7rocprim17ROCPRIM_400000_NS6detail17trampoline_kernelINS0_13kernel_configILj256ELj4ELj4294967295EEENS1_37radix_sort_block_sort_config_selectorIfNS0_10empty_typeEEEZNS1_21radix_sort_block_sortIS4_Lb0EPKfPfPS6_SC_NS0_19identity_decomposerEEE10hipError_tT1_T2_T3_T4_jRjT5_jjP12ihipStream_tbEUlT_E_NS1_11comp_targetILNS1_3genE5ELNS1_11target_archE942ELNS1_3gpuE9ELNS1_3repE0EEENS1_44radix_sort_block_sort_config_static_selectorELNS0_4arch9wavefront6targetE0EEEvSF_.private_seg_size, 0
	.set _ZN7rocprim17ROCPRIM_400000_NS6detail17trampoline_kernelINS0_13kernel_configILj256ELj4ELj4294967295EEENS1_37radix_sort_block_sort_config_selectorIfNS0_10empty_typeEEEZNS1_21radix_sort_block_sortIS4_Lb0EPKfPfPS6_SC_NS0_19identity_decomposerEEE10hipError_tT1_T2_T3_T4_jRjT5_jjP12ihipStream_tbEUlT_E_NS1_11comp_targetILNS1_3genE5ELNS1_11target_archE942ELNS1_3gpuE9ELNS1_3repE0EEENS1_44radix_sort_block_sort_config_static_selectorELNS0_4arch9wavefront6targetE0EEEvSF_.uses_vcc, 0
	.set _ZN7rocprim17ROCPRIM_400000_NS6detail17trampoline_kernelINS0_13kernel_configILj256ELj4ELj4294967295EEENS1_37radix_sort_block_sort_config_selectorIfNS0_10empty_typeEEEZNS1_21radix_sort_block_sortIS4_Lb0EPKfPfPS6_SC_NS0_19identity_decomposerEEE10hipError_tT1_T2_T3_T4_jRjT5_jjP12ihipStream_tbEUlT_E_NS1_11comp_targetILNS1_3genE5ELNS1_11target_archE942ELNS1_3gpuE9ELNS1_3repE0EEENS1_44radix_sort_block_sort_config_static_selectorELNS0_4arch9wavefront6targetE0EEEvSF_.uses_flat_scratch, 0
	.set _ZN7rocprim17ROCPRIM_400000_NS6detail17trampoline_kernelINS0_13kernel_configILj256ELj4ELj4294967295EEENS1_37radix_sort_block_sort_config_selectorIfNS0_10empty_typeEEEZNS1_21radix_sort_block_sortIS4_Lb0EPKfPfPS6_SC_NS0_19identity_decomposerEEE10hipError_tT1_T2_T3_T4_jRjT5_jjP12ihipStream_tbEUlT_E_NS1_11comp_targetILNS1_3genE5ELNS1_11target_archE942ELNS1_3gpuE9ELNS1_3repE0EEENS1_44radix_sort_block_sort_config_static_selectorELNS0_4arch9wavefront6targetE0EEEvSF_.has_dyn_sized_stack, 0
	.set _ZN7rocprim17ROCPRIM_400000_NS6detail17trampoline_kernelINS0_13kernel_configILj256ELj4ELj4294967295EEENS1_37radix_sort_block_sort_config_selectorIfNS0_10empty_typeEEEZNS1_21radix_sort_block_sortIS4_Lb0EPKfPfPS6_SC_NS0_19identity_decomposerEEE10hipError_tT1_T2_T3_T4_jRjT5_jjP12ihipStream_tbEUlT_E_NS1_11comp_targetILNS1_3genE5ELNS1_11target_archE942ELNS1_3gpuE9ELNS1_3repE0EEENS1_44radix_sort_block_sort_config_static_selectorELNS0_4arch9wavefront6targetE0EEEvSF_.has_recursion, 0
	.set _ZN7rocprim17ROCPRIM_400000_NS6detail17trampoline_kernelINS0_13kernel_configILj256ELj4ELj4294967295EEENS1_37radix_sort_block_sort_config_selectorIfNS0_10empty_typeEEEZNS1_21radix_sort_block_sortIS4_Lb0EPKfPfPS6_SC_NS0_19identity_decomposerEEE10hipError_tT1_T2_T3_T4_jRjT5_jjP12ihipStream_tbEUlT_E_NS1_11comp_targetILNS1_3genE5ELNS1_11target_archE942ELNS1_3gpuE9ELNS1_3repE0EEENS1_44radix_sort_block_sort_config_static_selectorELNS0_4arch9wavefront6targetE0EEEvSF_.has_indirect_call, 0
	.section	.AMDGPU.csdata,"",@progbits
; Kernel info:
; codeLenInByte = 0
; TotalNumSgprs: 0
; NumVgprs: 0
; ScratchSize: 0
; MemoryBound: 0
; FloatMode: 240
; IeeeMode: 1
; LDSByteSize: 0 bytes/workgroup (compile time only)
; SGPRBlocks: 0
; VGPRBlocks: 0
; NumSGPRsForWavesPerEU: 1
; NumVGPRsForWavesPerEU: 1
; NamedBarCnt: 0
; Occupancy: 16
; WaveLimiterHint : 0
; COMPUTE_PGM_RSRC2:SCRATCH_EN: 0
; COMPUTE_PGM_RSRC2:USER_SGPR: 2
; COMPUTE_PGM_RSRC2:TRAP_HANDLER: 0
; COMPUTE_PGM_RSRC2:TGID_X_EN: 1
; COMPUTE_PGM_RSRC2:TGID_Y_EN: 0
; COMPUTE_PGM_RSRC2:TGID_Z_EN: 0
; COMPUTE_PGM_RSRC2:TIDIG_COMP_CNT: 0
	.section	.text._ZN7rocprim17ROCPRIM_400000_NS6detail17trampoline_kernelINS0_13kernel_configILj256ELj4ELj4294967295EEENS1_37radix_sort_block_sort_config_selectorIfNS0_10empty_typeEEEZNS1_21radix_sort_block_sortIS4_Lb0EPKfPfPS6_SC_NS0_19identity_decomposerEEE10hipError_tT1_T2_T3_T4_jRjT5_jjP12ihipStream_tbEUlT_E_NS1_11comp_targetILNS1_3genE4ELNS1_11target_archE910ELNS1_3gpuE8ELNS1_3repE0EEENS1_44radix_sort_block_sort_config_static_selectorELNS0_4arch9wavefront6targetE0EEEvSF_,"axG",@progbits,_ZN7rocprim17ROCPRIM_400000_NS6detail17trampoline_kernelINS0_13kernel_configILj256ELj4ELj4294967295EEENS1_37radix_sort_block_sort_config_selectorIfNS0_10empty_typeEEEZNS1_21radix_sort_block_sortIS4_Lb0EPKfPfPS6_SC_NS0_19identity_decomposerEEE10hipError_tT1_T2_T3_T4_jRjT5_jjP12ihipStream_tbEUlT_E_NS1_11comp_targetILNS1_3genE4ELNS1_11target_archE910ELNS1_3gpuE8ELNS1_3repE0EEENS1_44radix_sort_block_sort_config_static_selectorELNS0_4arch9wavefront6targetE0EEEvSF_,comdat
	.protected	_ZN7rocprim17ROCPRIM_400000_NS6detail17trampoline_kernelINS0_13kernel_configILj256ELj4ELj4294967295EEENS1_37radix_sort_block_sort_config_selectorIfNS0_10empty_typeEEEZNS1_21radix_sort_block_sortIS4_Lb0EPKfPfPS6_SC_NS0_19identity_decomposerEEE10hipError_tT1_T2_T3_T4_jRjT5_jjP12ihipStream_tbEUlT_E_NS1_11comp_targetILNS1_3genE4ELNS1_11target_archE910ELNS1_3gpuE8ELNS1_3repE0EEENS1_44radix_sort_block_sort_config_static_selectorELNS0_4arch9wavefront6targetE0EEEvSF_ ; -- Begin function _ZN7rocprim17ROCPRIM_400000_NS6detail17trampoline_kernelINS0_13kernel_configILj256ELj4ELj4294967295EEENS1_37radix_sort_block_sort_config_selectorIfNS0_10empty_typeEEEZNS1_21radix_sort_block_sortIS4_Lb0EPKfPfPS6_SC_NS0_19identity_decomposerEEE10hipError_tT1_T2_T3_T4_jRjT5_jjP12ihipStream_tbEUlT_E_NS1_11comp_targetILNS1_3genE4ELNS1_11target_archE910ELNS1_3gpuE8ELNS1_3repE0EEENS1_44radix_sort_block_sort_config_static_selectorELNS0_4arch9wavefront6targetE0EEEvSF_
	.globl	_ZN7rocprim17ROCPRIM_400000_NS6detail17trampoline_kernelINS0_13kernel_configILj256ELj4ELj4294967295EEENS1_37radix_sort_block_sort_config_selectorIfNS0_10empty_typeEEEZNS1_21radix_sort_block_sortIS4_Lb0EPKfPfPS6_SC_NS0_19identity_decomposerEEE10hipError_tT1_T2_T3_T4_jRjT5_jjP12ihipStream_tbEUlT_E_NS1_11comp_targetILNS1_3genE4ELNS1_11target_archE910ELNS1_3gpuE8ELNS1_3repE0EEENS1_44radix_sort_block_sort_config_static_selectorELNS0_4arch9wavefront6targetE0EEEvSF_
	.p2align	8
	.type	_ZN7rocprim17ROCPRIM_400000_NS6detail17trampoline_kernelINS0_13kernel_configILj256ELj4ELj4294967295EEENS1_37radix_sort_block_sort_config_selectorIfNS0_10empty_typeEEEZNS1_21radix_sort_block_sortIS4_Lb0EPKfPfPS6_SC_NS0_19identity_decomposerEEE10hipError_tT1_T2_T3_T4_jRjT5_jjP12ihipStream_tbEUlT_E_NS1_11comp_targetILNS1_3genE4ELNS1_11target_archE910ELNS1_3gpuE8ELNS1_3repE0EEENS1_44radix_sort_block_sort_config_static_selectorELNS0_4arch9wavefront6targetE0EEEvSF_,@function
_ZN7rocprim17ROCPRIM_400000_NS6detail17trampoline_kernelINS0_13kernel_configILj256ELj4ELj4294967295EEENS1_37radix_sort_block_sort_config_selectorIfNS0_10empty_typeEEEZNS1_21radix_sort_block_sortIS4_Lb0EPKfPfPS6_SC_NS0_19identity_decomposerEEE10hipError_tT1_T2_T3_T4_jRjT5_jjP12ihipStream_tbEUlT_E_NS1_11comp_targetILNS1_3genE4ELNS1_11target_archE910ELNS1_3gpuE8ELNS1_3repE0EEENS1_44radix_sort_block_sort_config_static_selectorELNS0_4arch9wavefront6targetE0EEEvSF_: ; @_ZN7rocprim17ROCPRIM_400000_NS6detail17trampoline_kernelINS0_13kernel_configILj256ELj4ELj4294967295EEENS1_37radix_sort_block_sort_config_selectorIfNS0_10empty_typeEEEZNS1_21radix_sort_block_sortIS4_Lb0EPKfPfPS6_SC_NS0_19identity_decomposerEEE10hipError_tT1_T2_T3_T4_jRjT5_jjP12ihipStream_tbEUlT_E_NS1_11comp_targetILNS1_3genE4ELNS1_11target_archE910ELNS1_3gpuE8ELNS1_3repE0EEENS1_44radix_sort_block_sort_config_static_selectorELNS0_4arch9wavefront6targetE0EEEvSF_
; %bb.0:
	.section	.rodata,"a",@progbits
	.p2align	6, 0x0
	.amdhsa_kernel _ZN7rocprim17ROCPRIM_400000_NS6detail17trampoline_kernelINS0_13kernel_configILj256ELj4ELj4294967295EEENS1_37radix_sort_block_sort_config_selectorIfNS0_10empty_typeEEEZNS1_21radix_sort_block_sortIS4_Lb0EPKfPfPS6_SC_NS0_19identity_decomposerEEE10hipError_tT1_T2_T3_T4_jRjT5_jjP12ihipStream_tbEUlT_E_NS1_11comp_targetILNS1_3genE4ELNS1_11target_archE910ELNS1_3gpuE8ELNS1_3repE0EEENS1_44radix_sort_block_sort_config_static_selectorELNS0_4arch9wavefront6targetE0EEEvSF_
		.amdhsa_group_segment_fixed_size 0
		.amdhsa_private_segment_fixed_size 0
		.amdhsa_kernarg_size 48
		.amdhsa_user_sgpr_count 2
		.amdhsa_user_sgpr_dispatch_ptr 0
		.amdhsa_user_sgpr_queue_ptr 0
		.amdhsa_user_sgpr_kernarg_segment_ptr 1
		.amdhsa_user_sgpr_dispatch_id 0
		.amdhsa_user_sgpr_kernarg_preload_length 0
		.amdhsa_user_sgpr_kernarg_preload_offset 0
		.amdhsa_user_sgpr_private_segment_size 0
		.amdhsa_wavefront_size32 1
		.amdhsa_uses_dynamic_stack 0
		.amdhsa_enable_private_segment 0
		.amdhsa_system_sgpr_workgroup_id_x 1
		.amdhsa_system_sgpr_workgroup_id_y 0
		.amdhsa_system_sgpr_workgroup_id_z 0
		.amdhsa_system_sgpr_workgroup_info 0
		.amdhsa_system_vgpr_workitem_id 0
		.amdhsa_next_free_vgpr 1
		.amdhsa_next_free_sgpr 1
		.amdhsa_named_barrier_count 0
		.amdhsa_reserve_vcc 0
		.amdhsa_float_round_mode_32 0
		.amdhsa_float_round_mode_16_64 0
		.amdhsa_float_denorm_mode_32 3
		.amdhsa_float_denorm_mode_16_64 3
		.amdhsa_fp16_overflow 0
		.amdhsa_memory_ordered 1
		.amdhsa_forward_progress 1
		.amdhsa_inst_pref_size 0
		.amdhsa_round_robin_scheduling 0
		.amdhsa_exception_fp_ieee_invalid_op 0
		.amdhsa_exception_fp_denorm_src 0
		.amdhsa_exception_fp_ieee_div_zero 0
		.amdhsa_exception_fp_ieee_overflow 0
		.amdhsa_exception_fp_ieee_underflow 0
		.amdhsa_exception_fp_ieee_inexact 0
		.amdhsa_exception_int_div_zero 0
	.end_amdhsa_kernel
	.section	.text._ZN7rocprim17ROCPRIM_400000_NS6detail17trampoline_kernelINS0_13kernel_configILj256ELj4ELj4294967295EEENS1_37radix_sort_block_sort_config_selectorIfNS0_10empty_typeEEEZNS1_21radix_sort_block_sortIS4_Lb0EPKfPfPS6_SC_NS0_19identity_decomposerEEE10hipError_tT1_T2_T3_T4_jRjT5_jjP12ihipStream_tbEUlT_E_NS1_11comp_targetILNS1_3genE4ELNS1_11target_archE910ELNS1_3gpuE8ELNS1_3repE0EEENS1_44radix_sort_block_sort_config_static_selectorELNS0_4arch9wavefront6targetE0EEEvSF_,"axG",@progbits,_ZN7rocprim17ROCPRIM_400000_NS6detail17trampoline_kernelINS0_13kernel_configILj256ELj4ELj4294967295EEENS1_37radix_sort_block_sort_config_selectorIfNS0_10empty_typeEEEZNS1_21radix_sort_block_sortIS4_Lb0EPKfPfPS6_SC_NS0_19identity_decomposerEEE10hipError_tT1_T2_T3_T4_jRjT5_jjP12ihipStream_tbEUlT_E_NS1_11comp_targetILNS1_3genE4ELNS1_11target_archE910ELNS1_3gpuE8ELNS1_3repE0EEENS1_44radix_sort_block_sort_config_static_selectorELNS0_4arch9wavefront6targetE0EEEvSF_,comdat
.Lfunc_end1357:
	.size	_ZN7rocprim17ROCPRIM_400000_NS6detail17trampoline_kernelINS0_13kernel_configILj256ELj4ELj4294967295EEENS1_37radix_sort_block_sort_config_selectorIfNS0_10empty_typeEEEZNS1_21radix_sort_block_sortIS4_Lb0EPKfPfPS6_SC_NS0_19identity_decomposerEEE10hipError_tT1_T2_T3_T4_jRjT5_jjP12ihipStream_tbEUlT_E_NS1_11comp_targetILNS1_3genE4ELNS1_11target_archE910ELNS1_3gpuE8ELNS1_3repE0EEENS1_44radix_sort_block_sort_config_static_selectorELNS0_4arch9wavefront6targetE0EEEvSF_, .Lfunc_end1357-_ZN7rocprim17ROCPRIM_400000_NS6detail17trampoline_kernelINS0_13kernel_configILj256ELj4ELj4294967295EEENS1_37radix_sort_block_sort_config_selectorIfNS0_10empty_typeEEEZNS1_21radix_sort_block_sortIS4_Lb0EPKfPfPS6_SC_NS0_19identity_decomposerEEE10hipError_tT1_T2_T3_T4_jRjT5_jjP12ihipStream_tbEUlT_E_NS1_11comp_targetILNS1_3genE4ELNS1_11target_archE910ELNS1_3gpuE8ELNS1_3repE0EEENS1_44radix_sort_block_sort_config_static_selectorELNS0_4arch9wavefront6targetE0EEEvSF_
                                        ; -- End function
	.set _ZN7rocprim17ROCPRIM_400000_NS6detail17trampoline_kernelINS0_13kernel_configILj256ELj4ELj4294967295EEENS1_37radix_sort_block_sort_config_selectorIfNS0_10empty_typeEEEZNS1_21radix_sort_block_sortIS4_Lb0EPKfPfPS6_SC_NS0_19identity_decomposerEEE10hipError_tT1_T2_T3_T4_jRjT5_jjP12ihipStream_tbEUlT_E_NS1_11comp_targetILNS1_3genE4ELNS1_11target_archE910ELNS1_3gpuE8ELNS1_3repE0EEENS1_44radix_sort_block_sort_config_static_selectorELNS0_4arch9wavefront6targetE0EEEvSF_.num_vgpr, 0
	.set _ZN7rocprim17ROCPRIM_400000_NS6detail17trampoline_kernelINS0_13kernel_configILj256ELj4ELj4294967295EEENS1_37radix_sort_block_sort_config_selectorIfNS0_10empty_typeEEEZNS1_21radix_sort_block_sortIS4_Lb0EPKfPfPS6_SC_NS0_19identity_decomposerEEE10hipError_tT1_T2_T3_T4_jRjT5_jjP12ihipStream_tbEUlT_E_NS1_11comp_targetILNS1_3genE4ELNS1_11target_archE910ELNS1_3gpuE8ELNS1_3repE0EEENS1_44radix_sort_block_sort_config_static_selectorELNS0_4arch9wavefront6targetE0EEEvSF_.num_agpr, 0
	.set _ZN7rocprim17ROCPRIM_400000_NS6detail17trampoline_kernelINS0_13kernel_configILj256ELj4ELj4294967295EEENS1_37radix_sort_block_sort_config_selectorIfNS0_10empty_typeEEEZNS1_21radix_sort_block_sortIS4_Lb0EPKfPfPS6_SC_NS0_19identity_decomposerEEE10hipError_tT1_T2_T3_T4_jRjT5_jjP12ihipStream_tbEUlT_E_NS1_11comp_targetILNS1_3genE4ELNS1_11target_archE910ELNS1_3gpuE8ELNS1_3repE0EEENS1_44radix_sort_block_sort_config_static_selectorELNS0_4arch9wavefront6targetE0EEEvSF_.numbered_sgpr, 0
	.set _ZN7rocprim17ROCPRIM_400000_NS6detail17trampoline_kernelINS0_13kernel_configILj256ELj4ELj4294967295EEENS1_37radix_sort_block_sort_config_selectorIfNS0_10empty_typeEEEZNS1_21radix_sort_block_sortIS4_Lb0EPKfPfPS6_SC_NS0_19identity_decomposerEEE10hipError_tT1_T2_T3_T4_jRjT5_jjP12ihipStream_tbEUlT_E_NS1_11comp_targetILNS1_3genE4ELNS1_11target_archE910ELNS1_3gpuE8ELNS1_3repE0EEENS1_44radix_sort_block_sort_config_static_selectorELNS0_4arch9wavefront6targetE0EEEvSF_.num_named_barrier, 0
	.set _ZN7rocprim17ROCPRIM_400000_NS6detail17trampoline_kernelINS0_13kernel_configILj256ELj4ELj4294967295EEENS1_37radix_sort_block_sort_config_selectorIfNS0_10empty_typeEEEZNS1_21radix_sort_block_sortIS4_Lb0EPKfPfPS6_SC_NS0_19identity_decomposerEEE10hipError_tT1_T2_T3_T4_jRjT5_jjP12ihipStream_tbEUlT_E_NS1_11comp_targetILNS1_3genE4ELNS1_11target_archE910ELNS1_3gpuE8ELNS1_3repE0EEENS1_44radix_sort_block_sort_config_static_selectorELNS0_4arch9wavefront6targetE0EEEvSF_.private_seg_size, 0
	.set _ZN7rocprim17ROCPRIM_400000_NS6detail17trampoline_kernelINS0_13kernel_configILj256ELj4ELj4294967295EEENS1_37radix_sort_block_sort_config_selectorIfNS0_10empty_typeEEEZNS1_21radix_sort_block_sortIS4_Lb0EPKfPfPS6_SC_NS0_19identity_decomposerEEE10hipError_tT1_T2_T3_T4_jRjT5_jjP12ihipStream_tbEUlT_E_NS1_11comp_targetILNS1_3genE4ELNS1_11target_archE910ELNS1_3gpuE8ELNS1_3repE0EEENS1_44radix_sort_block_sort_config_static_selectorELNS0_4arch9wavefront6targetE0EEEvSF_.uses_vcc, 0
	.set _ZN7rocprim17ROCPRIM_400000_NS6detail17trampoline_kernelINS0_13kernel_configILj256ELj4ELj4294967295EEENS1_37radix_sort_block_sort_config_selectorIfNS0_10empty_typeEEEZNS1_21radix_sort_block_sortIS4_Lb0EPKfPfPS6_SC_NS0_19identity_decomposerEEE10hipError_tT1_T2_T3_T4_jRjT5_jjP12ihipStream_tbEUlT_E_NS1_11comp_targetILNS1_3genE4ELNS1_11target_archE910ELNS1_3gpuE8ELNS1_3repE0EEENS1_44radix_sort_block_sort_config_static_selectorELNS0_4arch9wavefront6targetE0EEEvSF_.uses_flat_scratch, 0
	.set _ZN7rocprim17ROCPRIM_400000_NS6detail17trampoline_kernelINS0_13kernel_configILj256ELj4ELj4294967295EEENS1_37radix_sort_block_sort_config_selectorIfNS0_10empty_typeEEEZNS1_21radix_sort_block_sortIS4_Lb0EPKfPfPS6_SC_NS0_19identity_decomposerEEE10hipError_tT1_T2_T3_T4_jRjT5_jjP12ihipStream_tbEUlT_E_NS1_11comp_targetILNS1_3genE4ELNS1_11target_archE910ELNS1_3gpuE8ELNS1_3repE0EEENS1_44radix_sort_block_sort_config_static_selectorELNS0_4arch9wavefront6targetE0EEEvSF_.has_dyn_sized_stack, 0
	.set _ZN7rocprim17ROCPRIM_400000_NS6detail17trampoline_kernelINS0_13kernel_configILj256ELj4ELj4294967295EEENS1_37radix_sort_block_sort_config_selectorIfNS0_10empty_typeEEEZNS1_21radix_sort_block_sortIS4_Lb0EPKfPfPS6_SC_NS0_19identity_decomposerEEE10hipError_tT1_T2_T3_T4_jRjT5_jjP12ihipStream_tbEUlT_E_NS1_11comp_targetILNS1_3genE4ELNS1_11target_archE910ELNS1_3gpuE8ELNS1_3repE0EEENS1_44radix_sort_block_sort_config_static_selectorELNS0_4arch9wavefront6targetE0EEEvSF_.has_recursion, 0
	.set _ZN7rocprim17ROCPRIM_400000_NS6detail17trampoline_kernelINS0_13kernel_configILj256ELj4ELj4294967295EEENS1_37radix_sort_block_sort_config_selectorIfNS0_10empty_typeEEEZNS1_21radix_sort_block_sortIS4_Lb0EPKfPfPS6_SC_NS0_19identity_decomposerEEE10hipError_tT1_T2_T3_T4_jRjT5_jjP12ihipStream_tbEUlT_E_NS1_11comp_targetILNS1_3genE4ELNS1_11target_archE910ELNS1_3gpuE8ELNS1_3repE0EEENS1_44radix_sort_block_sort_config_static_selectorELNS0_4arch9wavefront6targetE0EEEvSF_.has_indirect_call, 0
	.section	.AMDGPU.csdata,"",@progbits
; Kernel info:
; codeLenInByte = 0
; TotalNumSgprs: 0
; NumVgprs: 0
; ScratchSize: 0
; MemoryBound: 0
; FloatMode: 240
; IeeeMode: 1
; LDSByteSize: 0 bytes/workgroup (compile time only)
; SGPRBlocks: 0
; VGPRBlocks: 0
; NumSGPRsForWavesPerEU: 1
; NumVGPRsForWavesPerEU: 1
; NamedBarCnt: 0
; Occupancy: 16
; WaveLimiterHint : 0
; COMPUTE_PGM_RSRC2:SCRATCH_EN: 0
; COMPUTE_PGM_RSRC2:USER_SGPR: 2
; COMPUTE_PGM_RSRC2:TRAP_HANDLER: 0
; COMPUTE_PGM_RSRC2:TGID_X_EN: 1
; COMPUTE_PGM_RSRC2:TGID_Y_EN: 0
; COMPUTE_PGM_RSRC2:TGID_Z_EN: 0
; COMPUTE_PGM_RSRC2:TIDIG_COMP_CNT: 0
	.section	.text._ZN7rocprim17ROCPRIM_400000_NS6detail17trampoline_kernelINS0_13kernel_configILj256ELj4ELj4294967295EEENS1_37radix_sort_block_sort_config_selectorIfNS0_10empty_typeEEEZNS1_21radix_sort_block_sortIS4_Lb0EPKfPfPS6_SC_NS0_19identity_decomposerEEE10hipError_tT1_T2_T3_T4_jRjT5_jjP12ihipStream_tbEUlT_E_NS1_11comp_targetILNS1_3genE3ELNS1_11target_archE908ELNS1_3gpuE7ELNS1_3repE0EEENS1_44radix_sort_block_sort_config_static_selectorELNS0_4arch9wavefront6targetE0EEEvSF_,"axG",@progbits,_ZN7rocprim17ROCPRIM_400000_NS6detail17trampoline_kernelINS0_13kernel_configILj256ELj4ELj4294967295EEENS1_37radix_sort_block_sort_config_selectorIfNS0_10empty_typeEEEZNS1_21radix_sort_block_sortIS4_Lb0EPKfPfPS6_SC_NS0_19identity_decomposerEEE10hipError_tT1_T2_T3_T4_jRjT5_jjP12ihipStream_tbEUlT_E_NS1_11comp_targetILNS1_3genE3ELNS1_11target_archE908ELNS1_3gpuE7ELNS1_3repE0EEENS1_44radix_sort_block_sort_config_static_selectorELNS0_4arch9wavefront6targetE0EEEvSF_,comdat
	.protected	_ZN7rocprim17ROCPRIM_400000_NS6detail17trampoline_kernelINS0_13kernel_configILj256ELj4ELj4294967295EEENS1_37radix_sort_block_sort_config_selectorIfNS0_10empty_typeEEEZNS1_21radix_sort_block_sortIS4_Lb0EPKfPfPS6_SC_NS0_19identity_decomposerEEE10hipError_tT1_T2_T3_T4_jRjT5_jjP12ihipStream_tbEUlT_E_NS1_11comp_targetILNS1_3genE3ELNS1_11target_archE908ELNS1_3gpuE7ELNS1_3repE0EEENS1_44radix_sort_block_sort_config_static_selectorELNS0_4arch9wavefront6targetE0EEEvSF_ ; -- Begin function _ZN7rocprim17ROCPRIM_400000_NS6detail17trampoline_kernelINS0_13kernel_configILj256ELj4ELj4294967295EEENS1_37radix_sort_block_sort_config_selectorIfNS0_10empty_typeEEEZNS1_21radix_sort_block_sortIS4_Lb0EPKfPfPS6_SC_NS0_19identity_decomposerEEE10hipError_tT1_T2_T3_T4_jRjT5_jjP12ihipStream_tbEUlT_E_NS1_11comp_targetILNS1_3genE3ELNS1_11target_archE908ELNS1_3gpuE7ELNS1_3repE0EEENS1_44radix_sort_block_sort_config_static_selectorELNS0_4arch9wavefront6targetE0EEEvSF_
	.globl	_ZN7rocprim17ROCPRIM_400000_NS6detail17trampoline_kernelINS0_13kernel_configILj256ELj4ELj4294967295EEENS1_37radix_sort_block_sort_config_selectorIfNS0_10empty_typeEEEZNS1_21radix_sort_block_sortIS4_Lb0EPKfPfPS6_SC_NS0_19identity_decomposerEEE10hipError_tT1_T2_T3_T4_jRjT5_jjP12ihipStream_tbEUlT_E_NS1_11comp_targetILNS1_3genE3ELNS1_11target_archE908ELNS1_3gpuE7ELNS1_3repE0EEENS1_44radix_sort_block_sort_config_static_selectorELNS0_4arch9wavefront6targetE0EEEvSF_
	.p2align	8
	.type	_ZN7rocprim17ROCPRIM_400000_NS6detail17trampoline_kernelINS0_13kernel_configILj256ELj4ELj4294967295EEENS1_37radix_sort_block_sort_config_selectorIfNS0_10empty_typeEEEZNS1_21radix_sort_block_sortIS4_Lb0EPKfPfPS6_SC_NS0_19identity_decomposerEEE10hipError_tT1_T2_T3_T4_jRjT5_jjP12ihipStream_tbEUlT_E_NS1_11comp_targetILNS1_3genE3ELNS1_11target_archE908ELNS1_3gpuE7ELNS1_3repE0EEENS1_44radix_sort_block_sort_config_static_selectorELNS0_4arch9wavefront6targetE0EEEvSF_,@function
_ZN7rocprim17ROCPRIM_400000_NS6detail17trampoline_kernelINS0_13kernel_configILj256ELj4ELj4294967295EEENS1_37radix_sort_block_sort_config_selectorIfNS0_10empty_typeEEEZNS1_21radix_sort_block_sortIS4_Lb0EPKfPfPS6_SC_NS0_19identity_decomposerEEE10hipError_tT1_T2_T3_T4_jRjT5_jjP12ihipStream_tbEUlT_E_NS1_11comp_targetILNS1_3genE3ELNS1_11target_archE908ELNS1_3gpuE7ELNS1_3repE0EEENS1_44radix_sort_block_sort_config_static_selectorELNS0_4arch9wavefront6targetE0EEEvSF_: ; @_ZN7rocprim17ROCPRIM_400000_NS6detail17trampoline_kernelINS0_13kernel_configILj256ELj4ELj4294967295EEENS1_37radix_sort_block_sort_config_selectorIfNS0_10empty_typeEEEZNS1_21radix_sort_block_sortIS4_Lb0EPKfPfPS6_SC_NS0_19identity_decomposerEEE10hipError_tT1_T2_T3_T4_jRjT5_jjP12ihipStream_tbEUlT_E_NS1_11comp_targetILNS1_3genE3ELNS1_11target_archE908ELNS1_3gpuE7ELNS1_3repE0EEENS1_44radix_sort_block_sort_config_static_selectorELNS0_4arch9wavefront6targetE0EEEvSF_
; %bb.0:
	.section	.rodata,"a",@progbits
	.p2align	6, 0x0
	.amdhsa_kernel _ZN7rocprim17ROCPRIM_400000_NS6detail17trampoline_kernelINS0_13kernel_configILj256ELj4ELj4294967295EEENS1_37radix_sort_block_sort_config_selectorIfNS0_10empty_typeEEEZNS1_21radix_sort_block_sortIS4_Lb0EPKfPfPS6_SC_NS0_19identity_decomposerEEE10hipError_tT1_T2_T3_T4_jRjT5_jjP12ihipStream_tbEUlT_E_NS1_11comp_targetILNS1_3genE3ELNS1_11target_archE908ELNS1_3gpuE7ELNS1_3repE0EEENS1_44radix_sort_block_sort_config_static_selectorELNS0_4arch9wavefront6targetE0EEEvSF_
		.amdhsa_group_segment_fixed_size 0
		.amdhsa_private_segment_fixed_size 0
		.amdhsa_kernarg_size 48
		.amdhsa_user_sgpr_count 2
		.amdhsa_user_sgpr_dispatch_ptr 0
		.amdhsa_user_sgpr_queue_ptr 0
		.amdhsa_user_sgpr_kernarg_segment_ptr 1
		.amdhsa_user_sgpr_dispatch_id 0
		.amdhsa_user_sgpr_kernarg_preload_length 0
		.amdhsa_user_sgpr_kernarg_preload_offset 0
		.amdhsa_user_sgpr_private_segment_size 0
		.amdhsa_wavefront_size32 1
		.amdhsa_uses_dynamic_stack 0
		.amdhsa_enable_private_segment 0
		.amdhsa_system_sgpr_workgroup_id_x 1
		.amdhsa_system_sgpr_workgroup_id_y 0
		.amdhsa_system_sgpr_workgroup_id_z 0
		.amdhsa_system_sgpr_workgroup_info 0
		.amdhsa_system_vgpr_workitem_id 0
		.amdhsa_next_free_vgpr 1
		.amdhsa_next_free_sgpr 1
		.amdhsa_named_barrier_count 0
		.amdhsa_reserve_vcc 0
		.amdhsa_float_round_mode_32 0
		.amdhsa_float_round_mode_16_64 0
		.amdhsa_float_denorm_mode_32 3
		.amdhsa_float_denorm_mode_16_64 3
		.amdhsa_fp16_overflow 0
		.amdhsa_memory_ordered 1
		.amdhsa_forward_progress 1
		.amdhsa_inst_pref_size 0
		.amdhsa_round_robin_scheduling 0
		.amdhsa_exception_fp_ieee_invalid_op 0
		.amdhsa_exception_fp_denorm_src 0
		.amdhsa_exception_fp_ieee_div_zero 0
		.amdhsa_exception_fp_ieee_overflow 0
		.amdhsa_exception_fp_ieee_underflow 0
		.amdhsa_exception_fp_ieee_inexact 0
		.amdhsa_exception_int_div_zero 0
	.end_amdhsa_kernel
	.section	.text._ZN7rocprim17ROCPRIM_400000_NS6detail17trampoline_kernelINS0_13kernel_configILj256ELj4ELj4294967295EEENS1_37radix_sort_block_sort_config_selectorIfNS0_10empty_typeEEEZNS1_21radix_sort_block_sortIS4_Lb0EPKfPfPS6_SC_NS0_19identity_decomposerEEE10hipError_tT1_T2_T3_T4_jRjT5_jjP12ihipStream_tbEUlT_E_NS1_11comp_targetILNS1_3genE3ELNS1_11target_archE908ELNS1_3gpuE7ELNS1_3repE0EEENS1_44radix_sort_block_sort_config_static_selectorELNS0_4arch9wavefront6targetE0EEEvSF_,"axG",@progbits,_ZN7rocprim17ROCPRIM_400000_NS6detail17trampoline_kernelINS0_13kernel_configILj256ELj4ELj4294967295EEENS1_37radix_sort_block_sort_config_selectorIfNS0_10empty_typeEEEZNS1_21radix_sort_block_sortIS4_Lb0EPKfPfPS6_SC_NS0_19identity_decomposerEEE10hipError_tT1_T2_T3_T4_jRjT5_jjP12ihipStream_tbEUlT_E_NS1_11comp_targetILNS1_3genE3ELNS1_11target_archE908ELNS1_3gpuE7ELNS1_3repE0EEENS1_44radix_sort_block_sort_config_static_selectorELNS0_4arch9wavefront6targetE0EEEvSF_,comdat
.Lfunc_end1358:
	.size	_ZN7rocprim17ROCPRIM_400000_NS6detail17trampoline_kernelINS0_13kernel_configILj256ELj4ELj4294967295EEENS1_37radix_sort_block_sort_config_selectorIfNS0_10empty_typeEEEZNS1_21radix_sort_block_sortIS4_Lb0EPKfPfPS6_SC_NS0_19identity_decomposerEEE10hipError_tT1_T2_T3_T4_jRjT5_jjP12ihipStream_tbEUlT_E_NS1_11comp_targetILNS1_3genE3ELNS1_11target_archE908ELNS1_3gpuE7ELNS1_3repE0EEENS1_44radix_sort_block_sort_config_static_selectorELNS0_4arch9wavefront6targetE0EEEvSF_, .Lfunc_end1358-_ZN7rocprim17ROCPRIM_400000_NS6detail17trampoline_kernelINS0_13kernel_configILj256ELj4ELj4294967295EEENS1_37radix_sort_block_sort_config_selectorIfNS0_10empty_typeEEEZNS1_21radix_sort_block_sortIS4_Lb0EPKfPfPS6_SC_NS0_19identity_decomposerEEE10hipError_tT1_T2_T3_T4_jRjT5_jjP12ihipStream_tbEUlT_E_NS1_11comp_targetILNS1_3genE3ELNS1_11target_archE908ELNS1_3gpuE7ELNS1_3repE0EEENS1_44radix_sort_block_sort_config_static_selectorELNS0_4arch9wavefront6targetE0EEEvSF_
                                        ; -- End function
	.set _ZN7rocprim17ROCPRIM_400000_NS6detail17trampoline_kernelINS0_13kernel_configILj256ELj4ELj4294967295EEENS1_37radix_sort_block_sort_config_selectorIfNS0_10empty_typeEEEZNS1_21radix_sort_block_sortIS4_Lb0EPKfPfPS6_SC_NS0_19identity_decomposerEEE10hipError_tT1_T2_T3_T4_jRjT5_jjP12ihipStream_tbEUlT_E_NS1_11comp_targetILNS1_3genE3ELNS1_11target_archE908ELNS1_3gpuE7ELNS1_3repE0EEENS1_44radix_sort_block_sort_config_static_selectorELNS0_4arch9wavefront6targetE0EEEvSF_.num_vgpr, 0
	.set _ZN7rocprim17ROCPRIM_400000_NS6detail17trampoline_kernelINS0_13kernel_configILj256ELj4ELj4294967295EEENS1_37radix_sort_block_sort_config_selectorIfNS0_10empty_typeEEEZNS1_21radix_sort_block_sortIS4_Lb0EPKfPfPS6_SC_NS0_19identity_decomposerEEE10hipError_tT1_T2_T3_T4_jRjT5_jjP12ihipStream_tbEUlT_E_NS1_11comp_targetILNS1_3genE3ELNS1_11target_archE908ELNS1_3gpuE7ELNS1_3repE0EEENS1_44radix_sort_block_sort_config_static_selectorELNS0_4arch9wavefront6targetE0EEEvSF_.num_agpr, 0
	.set _ZN7rocprim17ROCPRIM_400000_NS6detail17trampoline_kernelINS0_13kernel_configILj256ELj4ELj4294967295EEENS1_37radix_sort_block_sort_config_selectorIfNS0_10empty_typeEEEZNS1_21radix_sort_block_sortIS4_Lb0EPKfPfPS6_SC_NS0_19identity_decomposerEEE10hipError_tT1_T2_T3_T4_jRjT5_jjP12ihipStream_tbEUlT_E_NS1_11comp_targetILNS1_3genE3ELNS1_11target_archE908ELNS1_3gpuE7ELNS1_3repE0EEENS1_44radix_sort_block_sort_config_static_selectorELNS0_4arch9wavefront6targetE0EEEvSF_.numbered_sgpr, 0
	.set _ZN7rocprim17ROCPRIM_400000_NS6detail17trampoline_kernelINS0_13kernel_configILj256ELj4ELj4294967295EEENS1_37radix_sort_block_sort_config_selectorIfNS0_10empty_typeEEEZNS1_21radix_sort_block_sortIS4_Lb0EPKfPfPS6_SC_NS0_19identity_decomposerEEE10hipError_tT1_T2_T3_T4_jRjT5_jjP12ihipStream_tbEUlT_E_NS1_11comp_targetILNS1_3genE3ELNS1_11target_archE908ELNS1_3gpuE7ELNS1_3repE0EEENS1_44radix_sort_block_sort_config_static_selectorELNS0_4arch9wavefront6targetE0EEEvSF_.num_named_barrier, 0
	.set _ZN7rocprim17ROCPRIM_400000_NS6detail17trampoline_kernelINS0_13kernel_configILj256ELj4ELj4294967295EEENS1_37radix_sort_block_sort_config_selectorIfNS0_10empty_typeEEEZNS1_21radix_sort_block_sortIS4_Lb0EPKfPfPS6_SC_NS0_19identity_decomposerEEE10hipError_tT1_T2_T3_T4_jRjT5_jjP12ihipStream_tbEUlT_E_NS1_11comp_targetILNS1_3genE3ELNS1_11target_archE908ELNS1_3gpuE7ELNS1_3repE0EEENS1_44radix_sort_block_sort_config_static_selectorELNS0_4arch9wavefront6targetE0EEEvSF_.private_seg_size, 0
	.set _ZN7rocprim17ROCPRIM_400000_NS6detail17trampoline_kernelINS0_13kernel_configILj256ELj4ELj4294967295EEENS1_37radix_sort_block_sort_config_selectorIfNS0_10empty_typeEEEZNS1_21radix_sort_block_sortIS4_Lb0EPKfPfPS6_SC_NS0_19identity_decomposerEEE10hipError_tT1_T2_T3_T4_jRjT5_jjP12ihipStream_tbEUlT_E_NS1_11comp_targetILNS1_3genE3ELNS1_11target_archE908ELNS1_3gpuE7ELNS1_3repE0EEENS1_44radix_sort_block_sort_config_static_selectorELNS0_4arch9wavefront6targetE0EEEvSF_.uses_vcc, 0
	.set _ZN7rocprim17ROCPRIM_400000_NS6detail17trampoline_kernelINS0_13kernel_configILj256ELj4ELj4294967295EEENS1_37radix_sort_block_sort_config_selectorIfNS0_10empty_typeEEEZNS1_21radix_sort_block_sortIS4_Lb0EPKfPfPS6_SC_NS0_19identity_decomposerEEE10hipError_tT1_T2_T3_T4_jRjT5_jjP12ihipStream_tbEUlT_E_NS1_11comp_targetILNS1_3genE3ELNS1_11target_archE908ELNS1_3gpuE7ELNS1_3repE0EEENS1_44radix_sort_block_sort_config_static_selectorELNS0_4arch9wavefront6targetE0EEEvSF_.uses_flat_scratch, 0
	.set _ZN7rocprim17ROCPRIM_400000_NS6detail17trampoline_kernelINS0_13kernel_configILj256ELj4ELj4294967295EEENS1_37radix_sort_block_sort_config_selectorIfNS0_10empty_typeEEEZNS1_21radix_sort_block_sortIS4_Lb0EPKfPfPS6_SC_NS0_19identity_decomposerEEE10hipError_tT1_T2_T3_T4_jRjT5_jjP12ihipStream_tbEUlT_E_NS1_11comp_targetILNS1_3genE3ELNS1_11target_archE908ELNS1_3gpuE7ELNS1_3repE0EEENS1_44radix_sort_block_sort_config_static_selectorELNS0_4arch9wavefront6targetE0EEEvSF_.has_dyn_sized_stack, 0
	.set _ZN7rocprim17ROCPRIM_400000_NS6detail17trampoline_kernelINS0_13kernel_configILj256ELj4ELj4294967295EEENS1_37radix_sort_block_sort_config_selectorIfNS0_10empty_typeEEEZNS1_21radix_sort_block_sortIS4_Lb0EPKfPfPS6_SC_NS0_19identity_decomposerEEE10hipError_tT1_T2_T3_T4_jRjT5_jjP12ihipStream_tbEUlT_E_NS1_11comp_targetILNS1_3genE3ELNS1_11target_archE908ELNS1_3gpuE7ELNS1_3repE0EEENS1_44radix_sort_block_sort_config_static_selectorELNS0_4arch9wavefront6targetE0EEEvSF_.has_recursion, 0
	.set _ZN7rocprim17ROCPRIM_400000_NS6detail17trampoline_kernelINS0_13kernel_configILj256ELj4ELj4294967295EEENS1_37radix_sort_block_sort_config_selectorIfNS0_10empty_typeEEEZNS1_21radix_sort_block_sortIS4_Lb0EPKfPfPS6_SC_NS0_19identity_decomposerEEE10hipError_tT1_T2_T3_T4_jRjT5_jjP12ihipStream_tbEUlT_E_NS1_11comp_targetILNS1_3genE3ELNS1_11target_archE908ELNS1_3gpuE7ELNS1_3repE0EEENS1_44radix_sort_block_sort_config_static_selectorELNS0_4arch9wavefront6targetE0EEEvSF_.has_indirect_call, 0
	.section	.AMDGPU.csdata,"",@progbits
; Kernel info:
; codeLenInByte = 0
; TotalNumSgprs: 0
; NumVgprs: 0
; ScratchSize: 0
; MemoryBound: 0
; FloatMode: 240
; IeeeMode: 1
; LDSByteSize: 0 bytes/workgroup (compile time only)
; SGPRBlocks: 0
; VGPRBlocks: 0
; NumSGPRsForWavesPerEU: 1
; NumVGPRsForWavesPerEU: 1
; NamedBarCnt: 0
; Occupancy: 16
; WaveLimiterHint : 0
; COMPUTE_PGM_RSRC2:SCRATCH_EN: 0
; COMPUTE_PGM_RSRC2:USER_SGPR: 2
; COMPUTE_PGM_RSRC2:TRAP_HANDLER: 0
; COMPUTE_PGM_RSRC2:TGID_X_EN: 1
; COMPUTE_PGM_RSRC2:TGID_Y_EN: 0
; COMPUTE_PGM_RSRC2:TGID_Z_EN: 0
; COMPUTE_PGM_RSRC2:TIDIG_COMP_CNT: 0
	.section	.text._ZN7rocprim17ROCPRIM_400000_NS6detail17trampoline_kernelINS0_13kernel_configILj256ELj4ELj4294967295EEENS1_37radix_sort_block_sort_config_selectorIfNS0_10empty_typeEEEZNS1_21radix_sort_block_sortIS4_Lb0EPKfPfPS6_SC_NS0_19identity_decomposerEEE10hipError_tT1_T2_T3_T4_jRjT5_jjP12ihipStream_tbEUlT_E_NS1_11comp_targetILNS1_3genE2ELNS1_11target_archE906ELNS1_3gpuE6ELNS1_3repE0EEENS1_44radix_sort_block_sort_config_static_selectorELNS0_4arch9wavefront6targetE0EEEvSF_,"axG",@progbits,_ZN7rocprim17ROCPRIM_400000_NS6detail17trampoline_kernelINS0_13kernel_configILj256ELj4ELj4294967295EEENS1_37radix_sort_block_sort_config_selectorIfNS0_10empty_typeEEEZNS1_21radix_sort_block_sortIS4_Lb0EPKfPfPS6_SC_NS0_19identity_decomposerEEE10hipError_tT1_T2_T3_T4_jRjT5_jjP12ihipStream_tbEUlT_E_NS1_11comp_targetILNS1_3genE2ELNS1_11target_archE906ELNS1_3gpuE6ELNS1_3repE0EEENS1_44radix_sort_block_sort_config_static_selectorELNS0_4arch9wavefront6targetE0EEEvSF_,comdat
	.protected	_ZN7rocprim17ROCPRIM_400000_NS6detail17trampoline_kernelINS0_13kernel_configILj256ELj4ELj4294967295EEENS1_37radix_sort_block_sort_config_selectorIfNS0_10empty_typeEEEZNS1_21radix_sort_block_sortIS4_Lb0EPKfPfPS6_SC_NS0_19identity_decomposerEEE10hipError_tT1_T2_T3_T4_jRjT5_jjP12ihipStream_tbEUlT_E_NS1_11comp_targetILNS1_3genE2ELNS1_11target_archE906ELNS1_3gpuE6ELNS1_3repE0EEENS1_44radix_sort_block_sort_config_static_selectorELNS0_4arch9wavefront6targetE0EEEvSF_ ; -- Begin function _ZN7rocprim17ROCPRIM_400000_NS6detail17trampoline_kernelINS0_13kernel_configILj256ELj4ELj4294967295EEENS1_37radix_sort_block_sort_config_selectorIfNS0_10empty_typeEEEZNS1_21radix_sort_block_sortIS4_Lb0EPKfPfPS6_SC_NS0_19identity_decomposerEEE10hipError_tT1_T2_T3_T4_jRjT5_jjP12ihipStream_tbEUlT_E_NS1_11comp_targetILNS1_3genE2ELNS1_11target_archE906ELNS1_3gpuE6ELNS1_3repE0EEENS1_44radix_sort_block_sort_config_static_selectorELNS0_4arch9wavefront6targetE0EEEvSF_
	.globl	_ZN7rocprim17ROCPRIM_400000_NS6detail17trampoline_kernelINS0_13kernel_configILj256ELj4ELj4294967295EEENS1_37radix_sort_block_sort_config_selectorIfNS0_10empty_typeEEEZNS1_21radix_sort_block_sortIS4_Lb0EPKfPfPS6_SC_NS0_19identity_decomposerEEE10hipError_tT1_T2_T3_T4_jRjT5_jjP12ihipStream_tbEUlT_E_NS1_11comp_targetILNS1_3genE2ELNS1_11target_archE906ELNS1_3gpuE6ELNS1_3repE0EEENS1_44radix_sort_block_sort_config_static_selectorELNS0_4arch9wavefront6targetE0EEEvSF_
	.p2align	8
	.type	_ZN7rocprim17ROCPRIM_400000_NS6detail17trampoline_kernelINS0_13kernel_configILj256ELj4ELj4294967295EEENS1_37radix_sort_block_sort_config_selectorIfNS0_10empty_typeEEEZNS1_21radix_sort_block_sortIS4_Lb0EPKfPfPS6_SC_NS0_19identity_decomposerEEE10hipError_tT1_T2_T3_T4_jRjT5_jjP12ihipStream_tbEUlT_E_NS1_11comp_targetILNS1_3genE2ELNS1_11target_archE906ELNS1_3gpuE6ELNS1_3repE0EEENS1_44radix_sort_block_sort_config_static_selectorELNS0_4arch9wavefront6targetE0EEEvSF_,@function
_ZN7rocprim17ROCPRIM_400000_NS6detail17trampoline_kernelINS0_13kernel_configILj256ELj4ELj4294967295EEENS1_37radix_sort_block_sort_config_selectorIfNS0_10empty_typeEEEZNS1_21radix_sort_block_sortIS4_Lb0EPKfPfPS6_SC_NS0_19identity_decomposerEEE10hipError_tT1_T2_T3_T4_jRjT5_jjP12ihipStream_tbEUlT_E_NS1_11comp_targetILNS1_3genE2ELNS1_11target_archE906ELNS1_3gpuE6ELNS1_3repE0EEENS1_44radix_sort_block_sort_config_static_selectorELNS0_4arch9wavefront6targetE0EEEvSF_: ; @_ZN7rocprim17ROCPRIM_400000_NS6detail17trampoline_kernelINS0_13kernel_configILj256ELj4ELj4294967295EEENS1_37radix_sort_block_sort_config_selectorIfNS0_10empty_typeEEEZNS1_21radix_sort_block_sortIS4_Lb0EPKfPfPS6_SC_NS0_19identity_decomposerEEE10hipError_tT1_T2_T3_T4_jRjT5_jjP12ihipStream_tbEUlT_E_NS1_11comp_targetILNS1_3genE2ELNS1_11target_archE906ELNS1_3gpuE6ELNS1_3repE0EEENS1_44radix_sort_block_sort_config_static_selectorELNS0_4arch9wavefront6targetE0EEEvSF_
; %bb.0:
	.section	.rodata,"a",@progbits
	.p2align	6, 0x0
	.amdhsa_kernel _ZN7rocprim17ROCPRIM_400000_NS6detail17trampoline_kernelINS0_13kernel_configILj256ELj4ELj4294967295EEENS1_37radix_sort_block_sort_config_selectorIfNS0_10empty_typeEEEZNS1_21radix_sort_block_sortIS4_Lb0EPKfPfPS6_SC_NS0_19identity_decomposerEEE10hipError_tT1_T2_T3_T4_jRjT5_jjP12ihipStream_tbEUlT_E_NS1_11comp_targetILNS1_3genE2ELNS1_11target_archE906ELNS1_3gpuE6ELNS1_3repE0EEENS1_44radix_sort_block_sort_config_static_selectorELNS0_4arch9wavefront6targetE0EEEvSF_
		.amdhsa_group_segment_fixed_size 0
		.amdhsa_private_segment_fixed_size 0
		.amdhsa_kernarg_size 48
		.amdhsa_user_sgpr_count 2
		.amdhsa_user_sgpr_dispatch_ptr 0
		.amdhsa_user_sgpr_queue_ptr 0
		.amdhsa_user_sgpr_kernarg_segment_ptr 1
		.amdhsa_user_sgpr_dispatch_id 0
		.amdhsa_user_sgpr_kernarg_preload_length 0
		.amdhsa_user_sgpr_kernarg_preload_offset 0
		.amdhsa_user_sgpr_private_segment_size 0
		.amdhsa_wavefront_size32 1
		.amdhsa_uses_dynamic_stack 0
		.amdhsa_enable_private_segment 0
		.amdhsa_system_sgpr_workgroup_id_x 1
		.amdhsa_system_sgpr_workgroup_id_y 0
		.amdhsa_system_sgpr_workgroup_id_z 0
		.amdhsa_system_sgpr_workgroup_info 0
		.amdhsa_system_vgpr_workitem_id 0
		.amdhsa_next_free_vgpr 1
		.amdhsa_next_free_sgpr 1
		.amdhsa_named_barrier_count 0
		.amdhsa_reserve_vcc 0
		.amdhsa_float_round_mode_32 0
		.amdhsa_float_round_mode_16_64 0
		.amdhsa_float_denorm_mode_32 3
		.amdhsa_float_denorm_mode_16_64 3
		.amdhsa_fp16_overflow 0
		.amdhsa_memory_ordered 1
		.amdhsa_forward_progress 1
		.amdhsa_inst_pref_size 0
		.amdhsa_round_robin_scheduling 0
		.amdhsa_exception_fp_ieee_invalid_op 0
		.amdhsa_exception_fp_denorm_src 0
		.amdhsa_exception_fp_ieee_div_zero 0
		.amdhsa_exception_fp_ieee_overflow 0
		.amdhsa_exception_fp_ieee_underflow 0
		.amdhsa_exception_fp_ieee_inexact 0
		.amdhsa_exception_int_div_zero 0
	.end_amdhsa_kernel
	.section	.text._ZN7rocprim17ROCPRIM_400000_NS6detail17trampoline_kernelINS0_13kernel_configILj256ELj4ELj4294967295EEENS1_37radix_sort_block_sort_config_selectorIfNS0_10empty_typeEEEZNS1_21radix_sort_block_sortIS4_Lb0EPKfPfPS6_SC_NS0_19identity_decomposerEEE10hipError_tT1_T2_T3_T4_jRjT5_jjP12ihipStream_tbEUlT_E_NS1_11comp_targetILNS1_3genE2ELNS1_11target_archE906ELNS1_3gpuE6ELNS1_3repE0EEENS1_44radix_sort_block_sort_config_static_selectorELNS0_4arch9wavefront6targetE0EEEvSF_,"axG",@progbits,_ZN7rocprim17ROCPRIM_400000_NS6detail17trampoline_kernelINS0_13kernel_configILj256ELj4ELj4294967295EEENS1_37radix_sort_block_sort_config_selectorIfNS0_10empty_typeEEEZNS1_21radix_sort_block_sortIS4_Lb0EPKfPfPS6_SC_NS0_19identity_decomposerEEE10hipError_tT1_T2_T3_T4_jRjT5_jjP12ihipStream_tbEUlT_E_NS1_11comp_targetILNS1_3genE2ELNS1_11target_archE906ELNS1_3gpuE6ELNS1_3repE0EEENS1_44radix_sort_block_sort_config_static_selectorELNS0_4arch9wavefront6targetE0EEEvSF_,comdat
.Lfunc_end1359:
	.size	_ZN7rocprim17ROCPRIM_400000_NS6detail17trampoline_kernelINS0_13kernel_configILj256ELj4ELj4294967295EEENS1_37radix_sort_block_sort_config_selectorIfNS0_10empty_typeEEEZNS1_21radix_sort_block_sortIS4_Lb0EPKfPfPS6_SC_NS0_19identity_decomposerEEE10hipError_tT1_T2_T3_T4_jRjT5_jjP12ihipStream_tbEUlT_E_NS1_11comp_targetILNS1_3genE2ELNS1_11target_archE906ELNS1_3gpuE6ELNS1_3repE0EEENS1_44radix_sort_block_sort_config_static_selectorELNS0_4arch9wavefront6targetE0EEEvSF_, .Lfunc_end1359-_ZN7rocprim17ROCPRIM_400000_NS6detail17trampoline_kernelINS0_13kernel_configILj256ELj4ELj4294967295EEENS1_37radix_sort_block_sort_config_selectorIfNS0_10empty_typeEEEZNS1_21radix_sort_block_sortIS4_Lb0EPKfPfPS6_SC_NS0_19identity_decomposerEEE10hipError_tT1_T2_T3_T4_jRjT5_jjP12ihipStream_tbEUlT_E_NS1_11comp_targetILNS1_3genE2ELNS1_11target_archE906ELNS1_3gpuE6ELNS1_3repE0EEENS1_44radix_sort_block_sort_config_static_selectorELNS0_4arch9wavefront6targetE0EEEvSF_
                                        ; -- End function
	.set _ZN7rocprim17ROCPRIM_400000_NS6detail17trampoline_kernelINS0_13kernel_configILj256ELj4ELj4294967295EEENS1_37radix_sort_block_sort_config_selectorIfNS0_10empty_typeEEEZNS1_21radix_sort_block_sortIS4_Lb0EPKfPfPS6_SC_NS0_19identity_decomposerEEE10hipError_tT1_T2_T3_T4_jRjT5_jjP12ihipStream_tbEUlT_E_NS1_11comp_targetILNS1_3genE2ELNS1_11target_archE906ELNS1_3gpuE6ELNS1_3repE0EEENS1_44radix_sort_block_sort_config_static_selectorELNS0_4arch9wavefront6targetE0EEEvSF_.num_vgpr, 0
	.set _ZN7rocprim17ROCPRIM_400000_NS6detail17trampoline_kernelINS0_13kernel_configILj256ELj4ELj4294967295EEENS1_37radix_sort_block_sort_config_selectorIfNS0_10empty_typeEEEZNS1_21radix_sort_block_sortIS4_Lb0EPKfPfPS6_SC_NS0_19identity_decomposerEEE10hipError_tT1_T2_T3_T4_jRjT5_jjP12ihipStream_tbEUlT_E_NS1_11comp_targetILNS1_3genE2ELNS1_11target_archE906ELNS1_3gpuE6ELNS1_3repE0EEENS1_44radix_sort_block_sort_config_static_selectorELNS0_4arch9wavefront6targetE0EEEvSF_.num_agpr, 0
	.set _ZN7rocprim17ROCPRIM_400000_NS6detail17trampoline_kernelINS0_13kernel_configILj256ELj4ELj4294967295EEENS1_37radix_sort_block_sort_config_selectorIfNS0_10empty_typeEEEZNS1_21radix_sort_block_sortIS4_Lb0EPKfPfPS6_SC_NS0_19identity_decomposerEEE10hipError_tT1_T2_T3_T4_jRjT5_jjP12ihipStream_tbEUlT_E_NS1_11comp_targetILNS1_3genE2ELNS1_11target_archE906ELNS1_3gpuE6ELNS1_3repE0EEENS1_44radix_sort_block_sort_config_static_selectorELNS0_4arch9wavefront6targetE0EEEvSF_.numbered_sgpr, 0
	.set _ZN7rocprim17ROCPRIM_400000_NS6detail17trampoline_kernelINS0_13kernel_configILj256ELj4ELj4294967295EEENS1_37radix_sort_block_sort_config_selectorIfNS0_10empty_typeEEEZNS1_21radix_sort_block_sortIS4_Lb0EPKfPfPS6_SC_NS0_19identity_decomposerEEE10hipError_tT1_T2_T3_T4_jRjT5_jjP12ihipStream_tbEUlT_E_NS1_11comp_targetILNS1_3genE2ELNS1_11target_archE906ELNS1_3gpuE6ELNS1_3repE0EEENS1_44radix_sort_block_sort_config_static_selectorELNS0_4arch9wavefront6targetE0EEEvSF_.num_named_barrier, 0
	.set _ZN7rocprim17ROCPRIM_400000_NS6detail17trampoline_kernelINS0_13kernel_configILj256ELj4ELj4294967295EEENS1_37radix_sort_block_sort_config_selectorIfNS0_10empty_typeEEEZNS1_21radix_sort_block_sortIS4_Lb0EPKfPfPS6_SC_NS0_19identity_decomposerEEE10hipError_tT1_T2_T3_T4_jRjT5_jjP12ihipStream_tbEUlT_E_NS1_11comp_targetILNS1_3genE2ELNS1_11target_archE906ELNS1_3gpuE6ELNS1_3repE0EEENS1_44radix_sort_block_sort_config_static_selectorELNS0_4arch9wavefront6targetE0EEEvSF_.private_seg_size, 0
	.set _ZN7rocprim17ROCPRIM_400000_NS6detail17trampoline_kernelINS0_13kernel_configILj256ELj4ELj4294967295EEENS1_37radix_sort_block_sort_config_selectorIfNS0_10empty_typeEEEZNS1_21radix_sort_block_sortIS4_Lb0EPKfPfPS6_SC_NS0_19identity_decomposerEEE10hipError_tT1_T2_T3_T4_jRjT5_jjP12ihipStream_tbEUlT_E_NS1_11comp_targetILNS1_3genE2ELNS1_11target_archE906ELNS1_3gpuE6ELNS1_3repE0EEENS1_44radix_sort_block_sort_config_static_selectorELNS0_4arch9wavefront6targetE0EEEvSF_.uses_vcc, 0
	.set _ZN7rocprim17ROCPRIM_400000_NS6detail17trampoline_kernelINS0_13kernel_configILj256ELj4ELj4294967295EEENS1_37radix_sort_block_sort_config_selectorIfNS0_10empty_typeEEEZNS1_21radix_sort_block_sortIS4_Lb0EPKfPfPS6_SC_NS0_19identity_decomposerEEE10hipError_tT1_T2_T3_T4_jRjT5_jjP12ihipStream_tbEUlT_E_NS1_11comp_targetILNS1_3genE2ELNS1_11target_archE906ELNS1_3gpuE6ELNS1_3repE0EEENS1_44radix_sort_block_sort_config_static_selectorELNS0_4arch9wavefront6targetE0EEEvSF_.uses_flat_scratch, 0
	.set _ZN7rocprim17ROCPRIM_400000_NS6detail17trampoline_kernelINS0_13kernel_configILj256ELj4ELj4294967295EEENS1_37radix_sort_block_sort_config_selectorIfNS0_10empty_typeEEEZNS1_21radix_sort_block_sortIS4_Lb0EPKfPfPS6_SC_NS0_19identity_decomposerEEE10hipError_tT1_T2_T3_T4_jRjT5_jjP12ihipStream_tbEUlT_E_NS1_11comp_targetILNS1_3genE2ELNS1_11target_archE906ELNS1_3gpuE6ELNS1_3repE0EEENS1_44radix_sort_block_sort_config_static_selectorELNS0_4arch9wavefront6targetE0EEEvSF_.has_dyn_sized_stack, 0
	.set _ZN7rocprim17ROCPRIM_400000_NS6detail17trampoline_kernelINS0_13kernel_configILj256ELj4ELj4294967295EEENS1_37radix_sort_block_sort_config_selectorIfNS0_10empty_typeEEEZNS1_21radix_sort_block_sortIS4_Lb0EPKfPfPS6_SC_NS0_19identity_decomposerEEE10hipError_tT1_T2_T3_T4_jRjT5_jjP12ihipStream_tbEUlT_E_NS1_11comp_targetILNS1_3genE2ELNS1_11target_archE906ELNS1_3gpuE6ELNS1_3repE0EEENS1_44radix_sort_block_sort_config_static_selectorELNS0_4arch9wavefront6targetE0EEEvSF_.has_recursion, 0
	.set _ZN7rocprim17ROCPRIM_400000_NS6detail17trampoline_kernelINS0_13kernel_configILj256ELj4ELj4294967295EEENS1_37radix_sort_block_sort_config_selectorIfNS0_10empty_typeEEEZNS1_21radix_sort_block_sortIS4_Lb0EPKfPfPS6_SC_NS0_19identity_decomposerEEE10hipError_tT1_T2_T3_T4_jRjT5_jjP12ihipStream_tbEUlT_E_NS1_11comp_targetILNS1_3genE2ELNS1_11target_archE906ELNS1_3gpuE6ELNS1_3repE0EEENS1_44radix_sort_block_sort_config_static_selectorELNS0_4arch9wavefront6targetE0EEEvSF_.has_indirect_call, 0
	.section	.AMDGPU.csdata,"",@progbits
; Kernel info:
; codeLenInByte = 0
; TotalNumSgprs: 0
; NumVgprs: 0
; ScratchSize: 0
; MemoryBound: 0
; FloatMode: 240
; IeeeMode: 1
; LDSByteSize: 0 bytes/workgroup (compile time only)
; SGPRBlocks: 0
; VGPRBlocks: 0
; NumSGPRsForWavesPerEU: 1
; NumVGPRsForWavesPerEU: 1
; NamedBarCnt: 0
; Occupancy: 16
; WaveLimiterHint : 0
; COMPUTE_PGM_RSRC2:SCRATCH_EN: 0
; COMPUTE_PGM_RSRC2:USER_SGPR: 2
; COMPUTE_PGM_RSRC2:TRAP_HANDLER: 0
; COMPUTE_PGM_RSRC2:TGID_X_EN: 1
; COMPUTE_PGM_RSRC2:TGID_Y_EN: 0
; COMPUTE_PGM_RSRC2:TGID_Z_EN: 0
; COMPUTE_PGM_RSRC2:TIDIG_COMP_CNT: 0
	.section	.text._ZN7rocprim17ROCPRIM_400000_NS6detail17trampoline_kernelINS0_13kernel_configILj256ELj4ELj4294967295EEENS1_37radix_sort_block_sort_config_selectorIfNS0_10empty_typeEEEZNS1_21radix_sort_block_sortIS4_Lb0EPKfPfPS6_SC_NS0_19identity_decomposerEEE10hipError_tT1_T2_T3_T4_jRjT5_jjP12ihipStream_tbEUlT_E_NS1_11comp_targetILNS1_3genE10ELNS1_11target_archE1201ELNS1_3gpuE5ELNS1_3repE0EEENS1_44radix_sort_block_sort_config_static_selectorELNS0_4arch9wavefront6targetE0EEEvSF_,"axG",@progbits,_ZN7rocprim17ROCPRIM_400000_NS6detail17trampoline_kernelINS0_13kernel_configILj256ELj4ELj4294967295EEENS1_37radix_sort_block_sort_config_selectorIfNS0_10empty_typeEEEZNS1_21radix_sort_block_sortIS4_Lb0EPKfPfPS6_SC_NS0_19identity_decomposerEEE10hipError_tT1_T2_T3_T4_jRjT5_jjP12ihipStream_tbEUlT_E_NS1_11comp_targetILNS1_3genE10ELNS1_11target_archE1201ELNS1_3gpuE5ELNS1_3repE0EEENS1_44radix_sort_block_sort_config_static_selectorELNS0_4arch9wavefront6targetE0EEEvSF_,comdat
	.protected	_ZN7rocprim17ROCPRIM_400000_NS6detail17trampoline_kernelINS0_13kernel_configILj256ELj4ELj4294967295EEENS1_37radix_sort_block_sort_config_selectorIfNS0_10empty_typeEEEZNS1_21radix_sort_block_sortIS4_Lb0EPKfPfPS6_SC_NS0_19identity_decomposerEEE10hipError_tT1_T2_T3_T4_jRjT5_jjP12ihipStream_tbEUlT_E_NS1_11comp_targetILNS1_3genE10ELNS1_11target_archE1201ELNS1_3gpuE5ELNS1_3repE0EEENS1_44radix_sort_block_sort_config_static_selectorELNS0_4arch9wavefront6targetE0EEEvSF_ ; -- Begin function _ZN7rocprim17ROCPRIM_400000_NS6detail17trampoline_kernelINS0_13kernel_configILj256ELj4ELj4294967295EEENS1_37radix_sort_block_sort_config_selectorIfNS0_10empty_typeEEEZNS1_21radix_sort_block_sortIS4_Lb0EPKfPfPS6_SC_NS0_19identity_decomposerEEE10hipError_tT1_T2_T3_T4_jRjT5_jjP12ihipStream_tbEUlT_E_NS1_11comp_targetILNS1_3genE10ELNS1_11target_archE1201ELNS1_3gpuE5ELNS1_3repE0EEENS1_44radix_sort_block_sort_config_static_selectorELNS0_4arch9wavefront6targetE0EEEvSF_
	.globl	_ZN7rocprim17ROCPRIM_400000_NS6detail17trampoline_kernelINS0_13kernel_configILj256ELj4ELj4294967295EEENS1_37radix_sort_block_sort_config_selectorIfNS0_10empty_typeEEEZNS1_21radix_sort_block_sortIS4_Lb0EPKfPfPS6_SC_NS0_19identity_decomposerEEE10hipError_tT1_T2_T3_T4_jRjT5_jjP12ihipStream_tbEUlT_E_NS1_11comp_targetILNS1_3genE10ELNS1_11target_archE1201ELNS1_3gpuE5ELNS1_3repE0EEENS1_44radix_sort_block_sort_config_static_selectorELNS0_4arch9wavefront6targetE0EEEvSF_
	.p2align	8
	.type	_ZN7rocprim17ROCPRIM_400000_NS6detail17trampoline_kernelINS0_13kernel_configILj256ELj4ELj4294967295EEENS1_37radix_sort_block_sort_config_selectorIfNS0_10empty_typeEEEZNS1_21radix_sort_block_sortIS4_Lb0EPKfPfPS6_SC_NS0_19identity_decomposerEEE10hipError_tT1_T2_T3_T4_jRjT5_jjP12ihipStream_tbEUlT_E_NS1_11comp_targetILNS1_3genE10ELNS1_11target_archE1201ELNS1_3gpuE5ELNS1_3repE0EEENS1_44radix_sort_block_sort_config_static_selectorELNS0_4arch9wavefront6targetE0EEEvSF_,@function
_ZN7rocprim17ROCPRIM_400000_NS6detail17trampoline_kernelINS0_13kernel_configILj256ELj4ELj4294967295EEENS1_37radix_sort_block_sort_config_selectorIfNS0_10empty_typeEEEZNS1_21radix_sort_block_sortIS4_Lb0EPKfPfPS6_SC_NS0_19identity_decomposerEEE10hipError_tT1_T2_T3_T4_jRjT5_jjP12ihipStream_tbEUlT_E_NS1_11comp_targetILNS1_3genE10ELNS1_11target_archE1201ELNS1_3gpuE5ELNS1_3repE0EEENS1_44radix_sort_block_sort_config_static_selectorELNS0_4arch9wavefront6targetE0EEEvSF_: ; @_ZN7rocprim17ROCPRIM_400000_NS6detail17trampoline_kernelINS0_13kernel_configILj256ELj4ELj4294967295EEENS1_37radix_sort_block_sort_config_selectorIfNS0_10empty_typeEEEZNS1_21radix_sort_block_sortIS4_Lb0EPKfPfPS6_SC_NS0_19identity_decomposerEEE10hipError_tT1_T2_T3_T4_jRjT5_jjP12ihipStream_tbEUlT_E_NS1_11comp_targetILNS1_3genE10ELNS1_11target_archE1201ELNS1_3gpuE5ELNS1_3repE0EEENS1_44radix_sort_block_sort_config_static_selectorELNS0_4arch9wavefront6targetE0EEEvSF_
; %bb.0:
	.section	.rodata,"a",@progbits
	.p2align	6, 0x0
	.amdhsa_kernel _ZN7rocprim17ROCPRIM_400000_NS6detail17trampoline_kernelINS0_13kernel_configILj256ELj4ELj4294967295EEENS1_37radix_sort_block_sort_config_selectorIfNS0_10empty_typeEEEZNS1_21radix_sort_block_sortIS4_Lb0EPKfPfPS6_SC_NS0_19identity_decomposerEEE10hipError_tT1_T2_T3_T4_jRjT5_jjP12ihipStream_tbEUlT_E_NS1_11comp_targetILNS1_3genE10ELNS1_11target_archE1201ELNS1_3gpuE5ELNS1_3repE0EEENS1_44radix_sort_block_sort_config_static_selectorELNS0_4arch9wavefront6targetE0EEEvSF_
		.amdhsa_group_segment_fixed_size 0
		.amdhsa_private_segment_fixed_size 0
		.amdhsa_kernarg_size 48
		.amdhsa_user_sgpr_count 2
		.amdhsa_user_sgpr_dispatch_ptr 0
		.amdhsa_user_sgpr_queue_ptr 0
		.amdhsa_user_sgpr_kernarg_segment_ptr 1
		.amdhsa_user_sgpr_dispatch_id 0
		.amdhsa_user_sgpr_kernarg_preload_length 0
		.amdhsa_user_sgpr_kernarg_preload_offset 0
		.amdhsa_user_sgpr_private_segment_size 0
		.amdhsa_wavefront_size32 1
		.amdhsa_uses_dynamic_stack 0
		.amdhsa_enable_private_segment 0
		.amdhsa_system_sgpr_workgroup_id_x 1
		.amdhsa_system_sgpr_workgroup_id_y 0
		.amdhsa_system_sgpr_workgroup_id_z 0
		.amdhsa_system_sgpr_workgroup_info 0
		.amdhsa_system_vgpr_workitem_id 0
		.amdhsa_next_free_vgpr 1
		.amdhsa_next_free_sgpr 1
		.amdhsa_named_barrier_count 0
		.amdhsa_reserve_vcc 0
		.amdhsa_float_round_mode_32 0
		.amdhsa_float_round_mode_16_64 0
		.amdhsa_float_denorm_mode_32 3
		.amdhsa_float_denorm_mode_16_64 3
		.amdhsa_fp16_overflow 0
		.amdhsa_memory_ordered 1
		.amdhsa_forward_progress 1
		.amdhsa_inst_pref_size 0
		.amdhsa_round_robin_scheduling 0
		.amdhsa_exception_fp_ieee_invalid_op 0
		.amdhsa_exception_fp_denorm_src 0
		.amdhsa_exception_fp_ieee_div_zero 0
		.amdhsa_exception_fp_ieee_overflow 0
		.amdhsa_exception_fp_ieee_underflow 0
		.amdhsa_exception_fp_ieee_inexact 0
		.amdhsa_exception_int_div_zero 0
	.end_amdhsa_kernel
	.section	.text._ZN7rocprim17ROCPRIM_400000_NS6detail17trampoline_kernelINS0_13kernel_configILj256ELj4ELj4294967295EEENS1_37radix_sort_block_sort_config_selectorIfNS0_10empty_typeEEEZNS1_21radix_sort_block_sortIS4_Lb0EPKfPfPS6_SC_NS0_19identity_decomposerEEE10hipError_tT1_T2_T3_T4_jRjT5_jjP12ihipStream_tbEUlT_E_NS1_11comp_targetILNS1_3genE10ELNS1_11target_archE1201ELNS1_3gpuE5ELNS1_3repE0EEENS1_44radix_sort_block_sort_config_static_selectorELNS0_4arch9wavefront6targetE0EEEvSF_,"axG",@progbits,_ZN7rocprim17ROCPRIM_400000_NS6detail17trampoline_kernelINS0_13kernel_configILj256ELj4ELj4294967295EEENS1_37radix_sort_block_sort_config_selectorIfNS0_10empty_typeEEEZNS1_21radix_sort_block_sortIS4_Lb0EPKfPfPS6_SC_NS0_19identity_decomposerEEE10hipError_tT1_T2_T3_T4_jRjT5_jjP12ihipStream_tbEUlT_E_NS1_11comp_targetILNS1_3genE10ELNS1_11target_archE1201ELNS1_3gpuE5ELNS1_3repE0EEENS1_44radix_sort_block_sort_config_static_selectorELNS0_4arch9wavefront6targetE0EEEvSF_,comdat
.Lfunc_end1360:
	.size	_ZN7rocprim17ROCPRIM_400000_NS6detail17trampoline_kernelINS0_13kernel_configILj256ELj4ELj4294967295EEENS1_37radix_sort_block_sort_config_selectorIfNS0_10empty_typeEEEZNS1_21radix_sort_block_sortIS4_Lb0EPKfPfPS6_SC_NS0_19identity_decomposerEEE10hipError_tT1_T2_T3_T4_jRjT5_jjP12ihipStream_tbEUlT_E_NS1_11comp_targetILNS1_3genE10ELNS1_11target_archE1201ELNS1_3gpuE5ELNS1_3repE0EEENS1_44radix_sort_block_sort_config_static_selectorELNS0_4arch9wavefront6targetE0EEEvSF_, .Lfunc_end1360-_ZN7rocprim17ROCPRIM_400000_NS6detail17trampoline_kernelINS0_13kernel_configILj256ELj4ELj4294967295EEENS1_37radix_sort_block_sort_config_selectorIfNS0_10empty_typeEEEZNS1_21radix_sort_block_sortIS4_Lb0EPKfPfPS6_SC_NS0_19identity_decomposerEEE10hipError_tT1_T2_T3_T4_jRjT5_jjP12ihipStream_tbEUlT_E_NS1_11comp_targetILNS1_3genE10ELNS1_11target_archE1201ELNS1_3gpuE5ELNS1_3repE0EEENS1_44radix_sort_block_sort_config_static_selectorELNS0_4arch9wavefront6targetE0EEEvSF_
                                        ; -- End function
	.set _ZN7rocprim17ROCPRIM_400000_NS6detail17trampoline_kernelINS0_13kernel_configILj256ELj4ELj4294967295EEENS1_37radix_sort_block_sort_config_selectorIfNS0_10empty_typeEEEZNS1_21radix_sort_block_sortIS4_Lb0EPKfPfPS6_SC_NS0_19identity_decomposerEEE10hipError_tT1_T2_T3_T4_jRjT5_jjP12ihipStream_tbEUlT_E_NS1_11comp_targetILNS1_3genE10ELNS1_11target_archE1201ELNS1_3gpuE5ELNS1_3repE0EEENS1_44radix_sort_block_sort_config_static_selectorELNS0_4arch9wavefront6targetE0EEEvSF_.num_vgpr, 0
	.set _ZN7rocprim17ROCPRIM_400000_NS6detail17trampoline_kernelINS0_13kernel_configILj256ELj4ELj4294967295EEENS1_37radix_sort_block_sort_config_selectorIfNS0_10empty_typeEEEZNS1_21radix_sort_block_sortIS4_Lb0EPKfPfPS6_SC_NS0_19identity_decomposerEEE10hipError_tT1_T2_T3_T4_jRjT5_jjP12ihipStream_tbEUlT_E_NS1_11comp_targetILNS1_3genE10ELNS1_11target_archE1201ELNS1_3gpuE5ELNS1_3repE0EEENS1_44radix_sort_block_sort_config_static_selectorELNS0_4arch9wavefront6targetE0EEEvSF_.num_agpr, 0
	.set _ZN7rocprim17ROCPRIM_400000_NS6detail17trampoline_kernelINS0_13kernel_configILj256ELj4ELj4294967295EEENS1_37radix_sort_block_sort_config_selectorIfNS0_10empty_typeEEEZNS1_21radix_sort_block_sortIS4_Lb0EPKfPfPS6_SC_NS0_19identity_decomposerEEE10hipError_tT1_T2_T3_T4_jRjT5_jjP12ihipStream_tbEUlT_E_NS1_11comp_targetILNS1_3genE10ELNS1_11target_archE1201ELNS1_3gpuE5ELNS1_3repE0EEENS1_44radix_sort_block_sort_config_static_selectorELNS0_4arch9wavefront6targetE0EEEvSF_.numbered_sgpr, 0
	.set _ZN7rocprim17ROCPRIM_400000_NS6detail17trampoline_kernelINS0_13kernel_configILj256ELj4ELj4294967295EEENS1_37radix_sort_block_sort_config_selectorIfNS0_10empty_typeEEEZNS1_21radix_sort_block_sortIS4_Lb0EPKfPfPS6_SC_NS0_19identity_decomposerEEE10hipError_tT1_T2_T3_T4_jRjT5_jjP12ihipStream_tbEUlT_E_NS1_11comp_targetILNS1_3genE10ELNS1_11target_archE1201ELNS1_3gpuE5ELNS1_3repE0EEENS1_44radix_sort_block_sort_config_static_selectorELNS0_4arch9wavefront6targetE0EEEvSF_.num_named_barrier, 0
	.set _ZN7rocprim17ROCPRIM_400000_NS6detail17trampoline_kernelINS0_13kernel_configILj256ELj4ELj4294967295EEENS1_37radix_sort_block_sort_config_selectorIfNS0_10empty_typeEEEZNS1_21radix_sort_block_sortIS4_Lb0EPKfPfPS6_SC_NS0_19identity_decomposerEEE10hipError_tT1_T2_T3_T4_jRjT5_jjP12ihipStream_tbEUlT_E_NS1_11comp_targetILNS1_3genE10ELNS1_11target_archE1201ELNS1_3gpuE5ELNS1_3repE0EEENS1_44radix_sort_block_sort_config_static_selectorELNS0_4arch9wavefront6targetE0EEEvSF_.private_seg_size, 0
	.set _ZN7rocprim17ROCPRIM_400000_NS6detail17trampoline_kernelINS0_13kernel_configILj256ELj4ELj4294967295EEENS1_37radix_sort_block_sort_config_selectorIfNS0_10empty_typeEEEZNS1_21radix_sort_block_sortIS4_Lb0EPKfPfPS6_SC_NS0_19identity_decomposerEEE10hipError_tT1_T2_T3_T4_jRjT5_jjP12ihipStream_tbEUlT_E_NS1_11comp_targetILNS1_3genE10ELNS1_11target_archE1201ELNS1_3gpuE5ELNS1_3repE0EEENS1_44radix_sort_block_sort_config_static_selectorELNS0_4arch9wavefront6targetE0EEEvSF_.uses_vcc, 0
	.set _ZN7rocprim17ROCPRIM_400000_NS6detail17trampoline_kernelINS0_13kernel_configILj256ELj4ELj4294967295EEENS1_37radix_sort_block_sort_config_selectorIfNS0_10empty_typeEEEZNS1_21radix_sort_block_sortIS4_Lb0EPKfPfPS6_SC_NS0_19identity_decomposerEEE10hipError_tT1_T2_T3_T4_jRjT5_jjP12ihipStream_tbEUlT_E_NS1_11comp_targetILNS1_3genE10ELNS1_11target_archE1201ELNS1_3gpuE5ELNS1_3repE0EEENS1_44radix_sort_block_sort_config_static_selectorELNS0_4arch9wavefront6targetE0EEEvSF_.uses_flat_scratch, 0
	.set _ZN7rocprim17ROCPRIM_400000_NS6detail17trampoline_kernelINS0_13kernel_configILj256ELj4ELj4294967295EEENS1_37radix_sort_block_sort_config_selectorIfNS0_10empty_typeEEEZNS1_21radix_sort_block_sortIS4_Lb0EPKfPfPS6_SC_NS0_19identity_decomposerEEE10hipError_tT1_T2_T3_T4_jRjT5_jjP12ihipStream_tbEUlT_E_NS1_11comp_targetILNS1_3genE10ELNS1_11target_archE1201ELNS1_3gpuE5ELNS1_3repE0EEENS1_44radix_sort_block_sort_config_static_selectorELNS0_4arch9wavefront6targetE0EEEvSF_.has_dyn_sized_stack, 0
	.set _ZN7rocprim17ROCPRIM_400000_NS6detail17trampoline_kernelINS0_13kernel_configILj256ELj4ELj4294967295EEENS1_37radix_sort_block_sort_config_selectorIfNS0_10empty_typeEEEZNS1_21radix_sort_block_sortIS4_Lb0EPKfPfPS6_SC_NS0_19identity_decomposerEEE10hipError_tT1_T2_T3_T4_jRjT5_jjP12ihipStream_tbEUlT_E_NS1_11comp_targetILNS1_3genE10ELNS1_11target_archE1201ELNS1_3gpuE5ELNS1_3repE0EEENS1_44radix_sort_block_sort_config_static_selectorELNS0_4arch9wavefront6targetE0EEEvSF_.has_recursion, 0
	.set _ZN7rocprim17ROCPRIM_400000_NS6detail17trampoline_kernelINS0_13kernel_configILj256ELj4ELj4294967295EEENS1_37radix_sort_block_sort_config_selectorIfNS0_10empty_typeEEEZNS1_21radix_sort_block_sortIS4_Lb0EPKfPfPS6_SC_NS0_19identity_decomposerEEE10hipError_tT1_T2_T3_T4_jRjT5_jjP12ihipStream_tbEUlT_E_NS1_11comp_targetILNS1_3genE10ELNS1_11target_archE1201ELNS1_3gpuE5ELNS1_3repE0EEENS1_44radix_sort_block_sort_config_static_selectorELNS0_4arch9wavefront6targetE0EEEvSF_.has_indirect_call, 0
	.section	.AMDGPU.csdata,"",@progbits
; Kernel info:
; codeLenInByte = 0
; TotalNumSgprs: 0
; NumVgprs: 0
; ScratchSize: 0
; MemoryBound: 0
; FloatMode: 240
; IeeeMode: 1
; LDSByteSize: 0 bytes/workgroup (compile time only)
; SGPRBlocks: 0
; VGPRBlocks: 0
; NumSGPRsForWavesPerEU: 1
; NumVGPRsForWavesPerEU: 1
; NamedBarCnt: 0
; Occupancy: 16
; WaveLimiterHint : 0
; COMPUTE_PGM_RSRC2:SCRATCH_EN: 0
; COMPUTE_PGM_RSRC2:USER_SGPR: 2
; COMPUTE_PGM_RSRC2:TRAP_HANDLER: 0
; COMPUTE_PGM_RSRC2:TGID_X_EN: 1
; COMPUTE_PGM_RSRC2:TGID_Y_EN: 0
; COMPUTE_PGM_RSRC2:TGID_Z_EN: 0
; COMPUTE_PGM_RSRC2:TIDIG_COMP_CNT: 0
	.section	.text._ZN7rocprim17ROCPRIM_400000_NS6detail17trampoline_kernelINS0_13kernel_configILj256ELj4ELj4294967295EEENS1_37radix_sort_block_sort_config_selectorIfNS0_10empty_typeEEEZNS1_21radix_sort_block_sortIS4_Lb0EPKfPfPS6_SC_NS0_19identity_decomposerEEE10hipError_tT1_T2_T3_T4_jRjT5_jjP12ihipStream_tbEUlT_E_NS1_11comp_targetILNS1_3genE10ELNS1_11target_archE1200ELNS1_3gpuE4ELNS1_3repE0EEENS1_44radix_sort_block_sort_config_static_selectorELNS0_4arch9wavefront6targetE0EEEvSF_,"axG",@progbits,_ZN7rocprim17ROCPRIM_400000_NS6detail17trampoline_kernelINS0_13kernel_configILj256ELj4ELj4294967295EEENS1_37radix_sort_block_sort_config_selectorIfNS0_10empty_typeEEEZNS1_21radix_sort_block_sortIS4_Lb0EPKfPfPS6_SC_NS0_19identity_decomposerEEE10hipError_tT1_T2_T3_T4_jRjT5_jjP12ihipStream_tbEUlT_E_NS1_11comp_targetILNS1_3genE10ELNS1_11target_archE1200ELNS1_3gpuE4ELNS1_3repE0EEENS1_44radix_sort_block_sort_config_static_selectorELNS0_4arch9wavefront6targetE0EEEvSF_,comdat
	.protected	_ZN7rocprim17ROCPRIM_400000_NS6detail17trampoline_kernelINS0_13kernel_configILj256ELj4ELj4294967295EEENS1_37radix_sort_block_sort_config_selectorIfNS0_10empty_typeEEEZNS1_21radix_sort_block_sortIS4_Lb0EPKfPfPS6_SC_NS0_19identity_decomposerEEE10hipError_tT1_T2_T3_T4_jRjT5_jjP12ihipStream_tbEUlT_E_NS1_11comp_targetILNS1_3genE10ELNS1_11target_archE1200ELNS1_3gpuE4ELNS1_3repE0EEENS1_44radix_sort_block_sort_config_static_selectorELNS0_4arch9wavefront6targetE0EEEvSF_ ; -- Begin function _ZN7rocprim17ROCPRIM_400000_NS6detail17trampoline_kernelINS0_13kernel_configILj256ELj4ELj4294967295EEENS1_37radix_sort_block_sort_config_selectorIfNS0_10empty_typeEEEZNS1_21radix_sort_block_sortIS4_Lb0EPKfPfPS6_SC_NS0_19identity_decomposerEEE10hipError_tT1_T2_T3_T4_jRjT5_jjP12ihipStream_tbEUlT_E_NS1_11comp_targetILNS1_3genE10ELNS1_11target_archE1200ELNS1_3gpuE4ELNS1_3repE0EEENS1_44radix_sort_block_sort_config_static_selectorELNS0_4arch9wavefront6targetE0EEEvSF_
	.globl	_ZN7rocprim17ROCPRIM_400000_NS6detail17trampoline_kernelINS0_13kernel_configILj256ELj4ELj4294967295EEENS1_37radix_sort_block_sort_config_selectorIfNS0_10empty_typeEEEZNS1_21radix_sort_block_sortIS4_Lb0EPKfPfPS6_SC_NS0_19identity_decomposerEEE10hipError_tT1_T2_T3_T4_jRjT5_jjP12ihipStream_tbEUlT_E_NS1_11comp_targetILNS1_3genE10ELNS1_11target_archE1200ELNS1_3gpuE4ELNS1_3repE0EEENS1_44radix_sort_block_sort_config_static_selectorELNS0_4arch9wavefront6targetE0EEEvSF_
	.p2align	8
	.type	_ZN7rocprim17ROCPRIM_400000_NS6detail17trampoline_kernelINS0_13kernel_configILj256ELj4ELj4294967295EEENS1_37radix_sort_block_sort_config_selectorIfNS0_10empty_typeEEEZNS1_21radix_sort_block_sortIS4_Lb0EPKfPfPS6_SC_NS0_19identity_decomposerEEE10hipError_tT1_T2_T3_T4_jRjT5_jjP12ihipStream_tbEUlT_E_NS1_11comp_targetILNS1_3genE10ELNS1_11target_archE1200ELNS1_3gpuE4ELNS1_3repE0EEENS1_44radix_sort_block_sort_config_static_selectorELNS0_4arch9wavefront6targetE0EEEvSF_,@function
_ZN7rocprim17ROCPRIM_400000_NS6detail17trampoline_kernelINS0_13kernel_configILj256ELj4ELj4294967295EEENS1_37radix_sort_block_sort_config_selectorIfNS0_10empty_typeEEEZNS1_21radix_sort_block_sortIS4_Lb0EPKfPfPS6_SC_NS0_19identity_decomposerEEE10hipError_tT1_T2_T3_T4_jRjT5_jjP12ihipStream_tbEUlT_E_NS1_11comp_targetILNS1_3genE10ELNS1_11target_archE1200ELNS1_3gpuE4ELNS1_3repE0EEENS1_44radix_sort_block_sort_config_static_selectorELNS0_4arch9wavefront6targetE0EEEvSF_: ; @_ZN7rocprim17ROCPRIM_400000_NS6detail17trampoline_kernelINS0_13kernel_configILj256ELj4ELj4294967295EEENS1_37radix_sort_block_sort_config_selectorIfNS0_10empty_typeEEEZNS1_21radix_sort_block_sortIS4_Lb0EPKfPfPS6_SC_NS0_19identity_decomposerEEE10hipError_tT1_T2_T3_T4_jRjT5_jjP12ihipStream_tbEUlT_E_NS1_11comp_targetILNS1_3genE10ELNS1_11target_archE1200ELNS1_3gpuE4ELNS1_3repE0EEENS1_44radix_sort_block_sort_config_static_selectorELNS0_4arch9wavefront6targetE0EEEvSF_
; %bb.0:
	.section	.rodata,"a",@progbits
	.p2align	6, 0x0
	.amdhsa_kernel _ZN7rocprim17ROCPRIM_400000_NS6detail17trampoline_kernelINS0_13kernel_configILj256ELj4ELj4294967295EEENS1_37radix_sort_block_sort_config_selectorIfNS0_10empty_typeEEEZNS1_21radix_sort_block_sortIS4_Lb0EPKfPfPS6_SC_NS0_19identity_decomposerEEE10hipError_tT1_T2_T3_T4_jRjT5_jjP12ihipStream_tbEUlT_E_NS1_11comp_targetILNS1_3genE10ELNS1_11target_archE1200ELNS1_3gpuE4ELNS1_3repE0EEENS1_44radix_sort_block_sort_config_static_selectorELNS0_4arch9wavefront6targetE0EEEvSF_
		.amdhsa_group_segment_fixed_size 0
		.amdhsa_private_segment_fixed_size 0
		.amdhsa_kernarg_size 48
		.amdhsa_user_sgpr_count 2
		.amdhsa_user_sgpr_dispatch_ptr 0
		.amdhsa_user_sgpr_queue_ptr 0
		.amdhsa_user_sgpr_kernarg_segment_ptr 1
		.amdhsa_user_sgpr_dispatch_id 0
		.amdhsa_user_sgpr_kernarg_preload_length 0
		.amdhsa_user_sgpr_kernarg_preload_offset 0
		.amdhsa_user_sgpr_private_segment_size 0
		.amdhsa_wavefront_size32 1
		.amdhsa_uses_dynamic_stack 0
		.amdhsa_enable_private_segment 0
		.amdhsa_system_sgpr_workgroup_id_x 1
		.amdhsa_system_sgpr_workgroup_id_y 0
		.amdhsa_system_sgpr_workgroup_id_z 0
		.amdhsa_system_sgpr_workgroup_info 0
		.amdhsa_system_vgpr_workitem_id 0
		.amdhsa_next_free_vgpr 1
		.amdhsa_next_free_sgpr 1
		.amdhsa_named_barrier_count 0
		.amdhsa_reserve_vcc 0
		.amdhsa_float_round_mode_32 0
		.amdhsa_float_round_mode_16_64 0
		.amdhsa_float_denorm_mode_32 3
		.amdhsa_float_denorm_mode_16_64 3
		.amdhsa_fp16_overflow 0
		.amdhsa_memory_ordered 1
		.amdhsa_forward_progress 1
		.amdhsa_inst_pref_size 0
		.amdhsa_round_robin_scheduling 0
		.amdhsa_exception_fp_ieee_invalid_op 0
		.amdhsa_exception_fp_denorm_src 0
		.amdhsa_exception_fp_ieee_div_zero 0
		.amdhsa_exception_fp_ieee_overflow 0
		.amdhsa_exception_fp_ieee_underflow 0
		.amdhsa_exception_fp_ieee_inexact 0
		.amdhsa_exception_int_div_zero 0
	.end_amdhsa_kernel
	.section	.text._ZN7rocprim17ROCPRIM_400000_NS6detail17trampoline_kernelINS0_13kernel_configILj256ELj4ELj4294967295EEENS1_37radix_sort_block_sort_config_selectorIfNS0_10empty_typeEEEZNS1_21radix_sort_block_sortIS4_Lb0EPKfPfPS6_SC_NS0_19identity_decomposerEEE10hipError_tT1_T2_T3_T4_jRjT5_jjP12ihipStream_tbEUlT_E_NS1_11comp_targetILNS1_3genE10ELNS1_11target_archE1200ELNS1_3gpuE4ELNS1_3repE0EEENS1_44radix_sort_block_sort_config_static_selectorELNS0_4arch9wavefront6targetE0EEEvSF_,"axG",@progbits,_ZN7rocprim17ROCPRIM_400000_NS6detail17trampoline_kernelINS0_13kernel_configILj256ELj4ELj4294967295EEENS1_37radix_sort_block_sort_config_selectorIfNS0_10empty_typeEEEZNS1_21radix_sort_block_sortIS4_Lb0EPKfPfPS6_SC_NS0_19identity_decomposerEEE10hipError_tT1_T2_T3_T4_jRjT5_jjP12ihipStream_tbEUlT_E_NS1_11comp_targetILNS1_3genE10ELNS1_11target_archE1200ELNS1_3gpuE4ELNS1_3repE0EEENS1_44radix_sort_block_sort_config_static_selectorELNS0_4arch9wavefront6targetE0EEEvSF_,comdat
.Lfunc_end1361:
	.size	_ZN7rocprim17ROCPRIM_400000_NS6detail17trampoline_kernelINS0_13kernel_configILj256ELj4ELj4294967295EEENS1_37radix_sort_block_sort_config_selectorIfNS0_10empty_typeEEEZNS1_21radix_sort_block_sortIS4_Lb0EPKfPfPS6_SC_NS0_19identity_decomposerEEE10hipError_tT1_T2_T3_T4_jRjT5_jjP12ihipStream_tbEUlT_E_NS1_11comp_targetILNS1_3genE10ELNS1_11target_archE1200ELNS1_3gpuE4ELNS1_3repE0EEENS1_44radix_sort_block_sort_config_static_selectorELNS0_4arch9wavefront6targetE0EEEvSF_, .Lfunc_end1361-_ZN7rocprim17ROCPRIM_400000_NS6detail17trampoline_kernelINS0_13kernel_configILj256ELj4ELj4294967295EEENS1_37radix_sort_block_sort_config_selectorIfNS0_10empty_typeEEEZNS1_21radix_sort_block_sortIS4_Lb0EPKfPfPS6_SC_NS0_19identity_decomposerEEE10hipError_tT1_T2_T3_T4_jRjT5_jjP12ihipStream_tbEUlT_E_NS1_11comp_targetILNS1_3genE10ELNS1_11target_archE1200ELNS1_3gpuE4ELNS1_3repE0EEENS1_44radix_sort_block_sort_config_static_selectorELNS0_4arch9wavefront6targetE0EEEvSF_
                                        ; -- End function
	.set _ZN7rocprim17ROCPRIM_400000_NS6detail17trampoline_kernelINS0_13kernel_configILj256ELj4ELj4294967295EEENS1_37radix_sort_block_sort_config_selectorIfNS0_10empty_typeEEEZNS1_21radix_sort_block_sortIS4_Lb0EPKfPfPS6_SC_NS0_19identity_decomposerEEE10hipError_tT1_T2_T3_T4_jRjT5_jjP12ihipStream_tbEUlT_E_NS1_11comp_targetILNS1_3genE10ELNS1_11target_archE1200ELNS1_3gpuE4ELNS1_3repE0EEENS1_44radix_sort_block_sort_config_static_selectorELNS0_4arch9wavefront6targetE0EEEvSF_.num_vgpr, 0
	.set _ZN7rocprim17ROCPRIM_400000_NS6detail17trampoline_kernelINS0_13kernel_configILj256ELj4ELj4294967295EEENS1_37radix_sort_block_sort_config_selectorIfNS0_10empty_typeEEEZNS1_21radix_sort_block_sortIS4_Lb0EPKfPfPS6_SC_NS0_19identity_decomposerEEE10hipError_tT1_T2_T3_T4_jRjT5_jjP12ihipStream_tbEUlT_E_NS1_11comp_targetILNS1_3genE10ELNS1_11target_archE1200ELNS1_3gpuE4ELNS1_3repE0EEENS1_44radix_sort_block_sort_config_static_selectorELNS0_4arch9wavefront6targetE0EEEvSF_.num_agpr, 0
	.set _ZN7rocprim17ROCPRIM_400000_NS6detail17trampoline_kernelINS0_13kernel_configILj256ELj4ELj4294967295EEENS1_37radix_sort_block_sort_config_selectorIfNS0_10empty_typeEEEZNS1_21radix_sort_block_sortIS4_Lb0EPKfPfPS6_SC_NS0_19identity_decomposerEEE10hipError_tT1_T2_T3_T4_jRjT5_jjP12ihipStream_tbEUlT_E_NS1_11comp_targetILNS1_3genE10ELNS1_11target_archE1200ELNS1_3gpuE4ELNS1_3repE0EEENS1_44radix_sort_block_sort_config_static_selectorELNS0_4arch9wavefront6targetE0EEEvSF_.numbered_sgpr, 0
	.set _ZN7rocprim17ROCPRIM_400000_NS6detail17trampoline_kernelINS0_13kernel_configILj256ELj4ELj4294967295EEENS1_37radix_sort_block_sort_config_selectorIfNS0_10empty_typeEEEZNS1_21radix_sort_block_sortIS4_Lb0EPKfPfPS6_SC_NS0_19identity_decomposerEEE10hipError_tT1_T2_T3_T4_jRjT5_jjP12ihipStream_tbEUlT_E_NS1_11comp_targetILNS1_3genE10ELNS1_11target_archE1200ELNS1_3gpuE4ELNS1_3repE0EEENS1_44radix_sort_block_sort_config_static_selectorELNS0_4arch9wavefront6targetE0EEEvSF_.num_named_barrier, 0
	.set _ZN7rocprim17ROCPRIM_400000_NS6detail17trampoline_kernelINS0_13kernel_configILj256ELj4ELj4294967295EEENS1_37radix_sort_block_sort_config_selectorIfNS0_10empty_typeEEEZNS1_21radix_sort_block_sortIS4_Lb0EPKfPfPS6_SC_NS0_19identity_decomposerEEE10hipError_tT1_T2_T3_T4_jRjT5_jjP12ihipStream_tbEUlT_E_NS1_11comp_targetILNS1_3genE10ELNS1_11target_archE1200ELNS1_3gpuE4ELNS1_3repE0EEENS1_44radix_sort_block_sort_config_static_selectorELNS0_4arch9wavefront6targetE0EEEvSF_.private_seg_size, 0
	.set _ZN7rocprim17ROCPRIM_400000_NS6detail17trampoline_kernelINS0_13kernel_configILj256ELj4ELj4294967295EEENS1_37radix_sort_block_sort_config_selectorIfNS0_10empty_typeEEEZNS1_21radix_sort_block_sortIS4_Lb0EPKfPfPS6_SC_NS0_19identity_decomposerEEE10hipError_tT1_T2_T3_T4_jRjT5_jjP12ihipStream_tbEUlT_E_NS1_11comp_targetILNS1_3genE10ELNS1_11target_archE1200ELNS1_3gpuE4ELNS1_3repE0EEENS1_44radix_sort_block_sort_config_static_selectorELNS0_4arch9wavefront6targetE0EEEvSF_.uses_vcc, 0
	.set _ZN7rocprim17ROCPRIM_400000_NS6detail17trampoline_kernelINS0_13kernel_configILj256ELj4ELj4294967295EEENS1_37radix_sort_block_sort_config_selectorIfNS0_10empty_typeEEEZNS1_21radix_sort_block_sortIS4_Lb0EPKfPfPS6_SC_NS0_19identity_decomposerEEE10hipError_tT1_T2_T3_T4_jRjT5_jjP12ihipStream_tbEUlT_E_NS1_11comp_targetILNS1_3genE10ELNS1_11target_archE1200ELNS1_3gpuE4ELNS1_3repE0EEENS1_44radix_sort_block_sort_config_static_selectorELNS0_4arch9wavefront6targetE0EEEvSF_.uses_flat_scratch, 0
	.set _ZN7rocprim17ROCPRIM_400000_NS6detail17trampoline_kernelINS0_13kernel_configILj256ELj4ELj4294967295EEENS1_37radix_sort_block_sort_config_selectorIfNS0_10empty_typeEEEZNS1_21radix_sort_block_sortIS4_Lb0EPKfPfPS6_SC_NS0_19identity_decomposerEEE10hipError_tT1_T2_T3_T4_jRjT5_jjP12ihipStream_tbEUlT_E_NS1_11comp_targetILNS1_3genE10ELNS1_11target_archE1200ELNS1_3gpuE4ELNS1_3repE0EEENS1_44radix_sort_block_sort_config_static_selectorELNS0_4arch9wavefront6targetE0EEEvSF_.has_dyn_sized_stack, 0
	.set _ZN7rocprim17ROCPRIM_400000_NS6detail17trampoline_kernelINS0_13kernel_configILj256ELj4ELj4294967295EEENS1_37radix_sort_block_sort_config_selectorIfNS0_10empty_typeEEEZNS1_21radix_sort_block_sortIS4_Lb0EPKfPfPS6_SC_NS0_19identity_decomposerEEE10hipError_tT1_T2_T3_T4_jRjT5_jjP12ihipStream_tbEUlT_E_NS1_11comp_targetILNS1_3genE10ELNS1_11target_archE1200ELNS1_3gpuE4ELNS1_3repE0EEENS1_44radix_sort_block_sort_config_static_selectorELNS0_4arch9wavefront6targetE0EEEvSF_.has_recursion, 0
	.set _ZN7rocprim17ROCPRIM_400000_NS6detail17trampoline_kernelINS0_13kernel_configILj256ELj4ELj4294967295EEENS1_37radix_sort_block_sort_config_selectorIfNS0_10empty_typeEEEZNS1_21radix_sort_block_sortIS4_Lb0EPKfPfPS6_SC_NS0_19identity_decomposerEEE10hipError_tT1_T2_T3_T4_jRjT5_jjP12ihipStream_tbEUlT_E_NS1_11comp_targetILNS1_3genE10ELNS1_11target_archE1200ELNS1_3gpuE4ELNS1_3repE0EEENS1_44radix_sort_block_sort_config_static_selectorELNS0_4arch9wavefront6targetE0EEEvSF_.has_indirect_call, 0
	.section	.AMDGPU.csdata,"",@progbits
; Kernel info:
; codeLenInByte = 0
; TotalNumSgprs: 0
; NumVgprs: 0
; ScratchSize: 0
; MemoryBound: 0
; FloatMode: 240
; IeeeMode: 1
; LDSByteSize: 0 bytes/workgroup (compile time only)
; SGPRBlocks: 0
; VGPRBlocks: 0
; NumSGPRsForWavesPerEU: 1
; NumVGPRsForWavesPerEU: 1
; NamedBarCnt: 0
; Occupancy: 16
; WaveLimiterHint : 0
; COMPUTE_PGM_RSRC2:SCRATCH_EN: 0
; COMPUTE_PGM_RSRC2:USER_SGPR: 2
; COMPUTE_PGM_RSRC2:TRAP_HANDLER: 0
; COMPUTE_PGM_RSRC2:TGID_X_EN: 1
; COMPUTE_PGM_RSRC2:TGID_Y_EN: 0
; COMPUTE_PGM_RSRC2:TGID_Z_EN: 0
; COMPUTE_PGM_RSRC2:TIDIG_COMP_CNT: 0
	.section	.text._ZN7rocprim17ROCPRIM_400000_NS6detail17trampoline_kernelINS0_13kernel_configILj256ELj4ELj4294967295EEENS1_37radix_sort_block_sort_config_selectorIfNS0_10empty_typeEEEZNS1_21radix_sort_block_sortIS4_Lb0EPKfPfPS6_SC_NS0_19identity_decomposerEEE10hipError_tT1_T2_T3_T4_jRjT5_jjP12ihipStream_tbEUlT_E_NS1_11comp_targetILNS1_3genE9ELNS1_11target_archE1100ELNS1_3gpuE3ELNS1_3repE0EEENS1_44radix_sort_block_sort_config_static_selectorELNS0_4arch9wavefront6targetE0EEEvSF_,"axG",@progbits,_ZN7rocprim17ROCPRIM_400000_NS6detail17trampoline_kernelINS0_13kernel_configILj256ELj4ELj4294967295EEENS1_37radix_sort_block_sort_config_selectorIfNS0_10empty_typeEEEZNS1_21radix_sort_block_sortIS4_Lb0EPKfPfPS6_SC_NS0_19identity_decomposerEEE10hipError_tT1_T2_T3_T4_jRjT5_jjP12ihipStream_tbEUlT_E_NS1_11comp_targetILNS1_3genE9ELNS1_11target_archE1100ELNS1_3gpuE3ELNS1_3repE0EEENS1_44radix_sort_block_sort_config_static_selectorELNS0_4arch9wavefront6targetE0EEEvSF_,comdat
	.protected	_ZN7rocprim17ROCPRIM_400000_NS6detail17trampoline_kernelINS0_13kernel_configILj256ELj4ELj4294967295EEENS1_37radix_sort_block_sort_config_selectorIfNS0_10empty_typeEEEZNS1_21radix_sort_block_sortIS4_Lb0EPKfPfPS6_SC_NS0_19identity_decomposerEEE10hipError_tT1_T2_T3_T4_jRjT5_jjP12ihipStream_tbEUlT_E_NS1_11comp_targetILNS1_3genE9ELNS1_11target_archE1100ELNS1_3gpuE3ELNS1_3repE0EEENS1_44radix_sort_block_sort_config_static_selectorELNS0_4arch9wavefront6targetE0EEEvSF_ ; -- Begin function _ZN7rocprim17ROCPRIM_400000_NS6detail17trampoline_kernelINS0_13kernel_configILj256ELj4ELj4294967295EEENS1_37radix_sort_block_sort_config_selectorIfNS0_10empty_typeEEEZNS1_21radix_sort_block_sortIS4_Lb0EPKfPfPS6_SC_NS0_19identity_decomposerEEE10hipError_tT1_T2_T3_T4_jRjT5_jjP12ihipStream_tbEUlT_E_NS1_11comp_targetILNS1_3genE9ELNS1_11target_archE1100ELNS1_3gpuE3ELNS1_3repE0EEENS1_44radix_sort_block_sort_config_static_selectorELNS0_4arch9wavefront6targetE0EEEvSF_
	.globl	_ZN7rocprim17ROCPRIM_400000_NS6detail17trampoline_kernelINS0_13kernel_configILj256ELj4ELj4294967295EEENS1_37radix_sort_block_sort_config_selectorIfNS0_10empty_typeEEEZNS1_21radix_sort_block_sortIS4_Lb0EPKfPfPS6_SC_NS0_19identity_decomposerEEE10hipError_tT1_T2_T3_T4_jRjT5_jjP12ihipStream_tbEUlT_E_NS1_11comp_targetILNS1_3genE9ELNS1_11target_archE1100ELNS1_3gpuE3ELNS1_3repE0EEENS1_44radix_sort_block_sort_config_static_selectorELNS0_4arch9wavefront6targetE0EEEvSF_
	.p2align	8
	.type	_ZN7rocprim17ROCPRIM_400000_NS6detail17trampoline_kernelINS0_13kernel_configILj256ELj4ELj4294967295EEENS1_37radix_sort_block_sort_config_selectorIfNS0_10empty_typeEEEZNS1_21radix_sort_block_sortIS4_Lb0EPKfPfPS6_SC_NS0_19identity_decomposerEEE10hipError_tT1_T2_T3_T4_jRjT5_jjP12ihipStream_tbEUlT_E_NS1_11comp_targetILNS1_3genE9ELNS1_11target_archE1100ELNS1_3gpuE3ELNS1_3repE0EEENS1_44radix_sort_block_sort_config_static_selectorELNS0_4arch9wavefront6targetE0EEEvSF_,@function
_ZN7rocprim17ROCPRIM_400000_NS6detail17trampoline_kernelINS0_13kernel_configILj256ELj4ELj4294967295EEENS1_37radix_sort_block_sort_config_selectorIfNS0_10empty_typeEEEZNS1_21radix_sort_block_sortIS4_Lb0EPKfPfPS6_SC_NS0_19identity_decomposerEEE10hipError_tT1_T2_T3_T4_jRjT5_jjP12ihipStream_tbEUlT_E_NS1_11comp_targetILNS1_3genE9ELNS1_11target_archE1100ELNS1_3gpuE3ELNS1_3repE0EEENS1_44radix_sort_block_sort_config_static_selectorELNS0_4arch9wavefront6targetE0EEEvSF_: ; @_ZN7rocprim17ROCPRIM_400000_NS6detail17trampoline_kernelINS0_13kernel_configILj256ELj4ELj4294967295EEENS1_37radix_sort_block_sort_config_selectorIfNS0_10empty_typeEEEZNS1_21radix_sort_block_sortIS4_Lb0EPKfPfPS6_SC_NS0_19identity_decomposerEEE10hipError_tT1_T2_T3_T4_jRjT5_jjP12ihipStream_tbEUlT_E_NS1_11comp_targetILNS1_3genE9ELNS1_11target_archE1100ELNS1_3gpuE3ELNS1_3repE0EEENS1_44radix_sort_block_sort_config_static_selectorELNS0_4arch9wavefront6targetE0EEEvSF_
; %bb.0:
	.section	.rodata,"a",@progbits
	.p2align	6, 0x0
	.amdhsa_kernel _ZN7rocprim17ROCPRIM_400000_NS6detail17trampoline_kernelINS0_13kernel_configILj256ELj4ELj4294967295EEENS1_37radix_sort_block_sort_config_selectorIfNS0_10empty_typeEEEZNS1_21radix_sort_block_sortIS4_Lb0EPKfPfPS6_SC_NS0_19identity_decomposerEEE10hipError_tT1_T2_T3_T4_jRjT5_jjP12ihipStream_tbEUlT_E_NS1_11comp_targetILNS1_3genE9ELNS1_11target_archE1100ELNS1_3gpuE3ELNS1_3repE0EEENS1_44radix_sort_block_sort_config_static_selectorELNS0_4arch9wavefront6targetE0EEEvSF_
		.amdhsa_group_segment_fixed_size 0
		.amdhsa_private_segment_fixed_size 0
		.amdhsa_kernarg_size 48
		.amdhsa_user_sgpr_count 2
		.amdhsa_user_sgpr_dispatch_ptr 0
		.amdhsa_user_sgpr_queue_ptr 0
		.amdhsa_user_sgpr_kernarg_segment_ptr 1
		.amdhsa_user_sgpr_dispatch_id 0
		.amdhsa_user_sgpr_kernarg_preload_length 0
		.amdhsa_user_sgpr_kernarg_preload_offset 0
		.amdhsa_user_sgpr_private_segment_size 0
		.amdhsa_wavefront_size32 1
		.amdhsa_uses_dynamic_stack 0
		.amdhsa_enable_private_segment 0
		.amdhsa_system_sgpr_workgroup_id_x 1
		.amdhsa_system_sgpr_workgroup_id_y 0
		.amdhsa_system_sgpr_workgroup_id_z 0
		.amdhsa_system_sgpr_workgroup_info 0
		.amdhsa_system_vgpr_workitem_id 0
		.amdhsa_next_free_vgpr 1
		.amdhsa_next_free_sgpr 1
		.amdhsa_named_barrier_count 0
		.amdhsa_reserve_vcc 0
		.amdhsa_float_round_mode_32 0
		.amdhsa_float_round_mode_16_64 0
		.amdhsa_float_denorm_mode_32 3
		.amdhsa_float_denorm_mode_16_64 3
		.amdhsa_fp16_overflow 0
		.amdhsa_memory_ordered 1
		.amdhsa_forward_progress 1
		.amdhsa_inst_pref_size 0
		.amdhsa_round_robin_scheduling 0
		.amdhsa_exception_fp_ieee_invalid_op 0
		.amdhsa_exception_fp_denorm_src 0
		.amdhsa_exception_fp_ieee_div_zero 0
		.amdhsa_exception_fp_ieee_overflow 0
		.amdhsa_exception_fp_ieee_underflow 0
		.amdhsa_exception_fp_ieee_inexact 0
		.amdhsa_exception_int_div_zero 0
	.end_amdhsa_kernel
	.section	.text._ZN7rocprim17ROCPRIM_400000_NS6detail17trampoline_kernelINS0_13kernel_configILj256ELj4ELj4294967295EEENS1_37radix_sort_block_sort_config_selectorIfNS0_10empty_typeEEEZNS1_21radix_sort_block_sortIS4_Lb0EPKfPfPS6_SC_NS0_19identity_decomposerEEE10hipError_tT1_T2_T3_T4_jRjT5_jjP12ihipStream_tbEUlT_E_NS1_11comp_targetILNS1_3genE9ELNS1_11target_archE1100ELNS1_3gpuE3ELNS1_3repE0EEENS1_44radix_sort_block_sort_config_static_selectorELNS0_4arch9wavefront6targetE0EEEvSF_,"axG",@progbits,_ZN7rocprim17ROCPRIM_400000_NS6detail17trampoline_kernelINS0_13kernel_configILj256ELj4ELj4294967295EEENS1_37radix_sort_block_sort_config_selectorIfNS0_10empty_typeEEEZNS1_21radix_sort_block_sortIS4_Lb0EPKfPfPS6_SC_NS0_19identity_decomposerEEE10hipError_tT1_T2_T3_T4_jRjT5_jjP12ihipStream_tbEUlT_E_NS1_11comp_targetILNS1_3genE9ELNS1_11target_archE1100ELNS1_3gpuE3ELNS1_3repE0EEENS1_44radix_sort_block_sort_config_static_selectorELNS0_4arch9wavefront6targetE0EEEvSF_,comdat
.Lfunc_end1362:
	.size	_ZN7rocprim17ROCPRIM_400000_NS6detail17trampoline_kernelINS0_13kernel_configILj256ELj4ELj4294967295EEENS1_37radix_sort_block_sort_config_selectorIfNS0_10empty_typeEEEZNS1_21radix_sort_block_sortIS4_Lb0EPKfPfPS6_SC_NS0_19identity_decomposerEEE10hipError_tT1_T2_T3_T4_jRjT5_jjP12ihipStream_tbEUlT_E_NS1_11comp_targetILNS1_3genE9ELNS1_11target_archE1100ELNS1_3gpuE3ELNS1_3repE0EEENS1_44radix_sort_block_sort_config_static_selectorELNS0_4arch9wavefront6targetE0EEEvSF_, .Lfunc_end1362-_ZN7rocprim17ROCPRIM_400000_NS6detail17trampoline_kernelINS0_13kernel_configILj256ELj4ELj4294967295EEENS1_37radix_sort_block_sort_config_selectorIfNS0_10empty_typeEEEZNS1_21radix_sort_block_sortIS4_Lb0EPKfPfPS6_SC_NS0_19identity_decomposerEEE10hipError_tT1_T2_T3_T4_jRjT5_jjP12ihipStream_tbEUlT_E_NS1_11comp_targetILNS1_3genE9ELNS1_11target_archE1100ELNS1_3gpuE3ELNS1_3repE0EEENS1_44radix_sort_block_sort_config_static_selectorELNS0_4arch9wavefront6targetE0EEEvSF_
                                        ; -- End function
	.set _ZN7rocprim17ROCPRIM_400000_NS6detail17trampoline_kernelINS0_13kernel_configILj256ELj4ELj4294967295EEENS1_37radix_sort_block_sort_config_selectorIfNS0_10empty_typeEEEZNS1_21radix_sort_block_sortIS4_Lb0EPKfPfPS6_SC_NS0_19identity_decomposerEEE10hipError_tT1_T2_T3_T4_jRjT5_jjP12ihipStream_tbEUlT_E_NS1_11comp_targetILNS1_3genE9ELNS1_11target_archE1100ELNS1_3gpuE3ELNS1_3repE0EEENS1_44radix_sort_block_sort_config_static_selectorELNS0_4arch9wavefront6targetE0EEEvSF_.num_vgpr, 0
	.set _ZN7rocprim17ROCPRIM_400000_NS6detail17trampoline_kernelINS0_13kernel_configILj256ELj4ELj4294967295EEENS1_37radix_sort_block_sort_config_selectorIfNS0_10empty_typeEEEZNS1_21radix_sort_block_sortIS4_Lb0EPKfPfPS6_SC_NS0_19identity_decomposerEEE10hipError_tT1_T2_T3_T4_jRjT5_jjP12ihipStream_tbEUlT_E_NS1_11comp_targetILNS1_3genE9ELNS1_11target_archE1100ELNS1_3gpuE3ELNS1_3repE0EEENS1_44radix_sort_block_sort_config_static_selectorELNS0_4arch9wavefront6targetE0EEEvSF_.num_agpr, 0
	.set _ZN7rocprim17ROCPRIM_400000_NS6detail17trampoline_kernelINS0_13kernel_configILj256ELj4ELj4294967295EEENS1_37radix_sort_block_sort_config_selectorIfNS0_10empty_typeEEEZNS1_21radix_sort_block_sortIS4_Lb0EPKfPfPS6_SC_NS0_19identity_decomposerEEE10hipError_tT1_T2_T3_T4_jRjT5_jjP12ihipStream_tbEUlT_E_NS1_11comp_targetILNS1_3genE9ELNS1_11target_archE1100ELNS1_3gpuE3ELNS1_3repE0EEENS1_44radix_sort_block_sort_config_static_selectorELNS0_4arch9wavefront6targetE0EEEvSF_.numbered_sgpr, 0
	.set _ZN7rocprim17ROCPRIM_400000_NS6detail17trampoline_kernelINS0_13kernel_configILj256ELj4ELj4294967295EEENS1_37radix_sort_block_sort_config_selectorIfNS0_10empty_typeEEEZNS1_21radix_sort_block_sortIS4_Lb0EPKfPfPS6_SC_NS0_19identity_decomposerEEE10hipError_tT1_T2_T3_T4_jRjT5_jjP12ihipStream_tbEUlT_E_NS1_11comp_targetILNS1_3genE9ELNS1_11target_archE1100ELNS1_3gpuE3ELNS1_3repE0EEENS1_44radix_sort_block_sort_config_static_selectorELNS0_4arch9wavefront6targetE0EEEvSF_.num_named_barrier, 0
	.set _ZN7rocprim17ROCPRIM_400000_NS6detail17trampoline_kernelINS0_13kernel_configILj256ELj4ELj4294967295EEENS1_37radix_sort_block_sort_config_selectorIfNS0_10empty_typeEEEZNS1_21radix_sort_block_sortIS4_Lb0EPKfPfPS6_SC_NS0_19identity_decomposerEEE10hipError_tT1_T2_T3_T4_jRjT5_jjP12ihipStream_tbEUlT_E_NS1_11comp_targetILNS1_3genE9ELNS1_11target_archE1100ELNS1_3gpuE3ELNS1_3repE0EEENS1_44radix_sort_block_sort_config_static_selectorELNS0_4arch9wavefront6targetE0EEEvSF_.private_seg_size, 0
	.set _ZN7rocprim17ROCPRIM_400000_NS6detail17trampoline_kernelINS0_13kernel_configILj256ELj4ELj4294967295EEENS1_37radix_sort_block_sort_config_selectorIfNS0_10empty_typeEEEZNS1_21radix_sort_block_sortIS4_Lb0EPKfPfPS6_SC_NS0_19identity_decomposerEEE10hipError_tT1_T2_T3_T4_jRjT5_jjP12ihipStream_tbEUlT_E_NS1_11comp_targetILNS1_3genE9ELNS1_11target_archE1100ELNS1_3gpuE3ELNS1_3repE0EEENS1_44radix_sort_block_sort_config_static_selectorELNS0_4arch9wavefront6targetE0EEEvSF_.uses_vcc, 0
	.set _ZN7rocprim17ROCPRIM_400000_NS6detail17trampoline_kernelINS0_13kernel_configILj256ELj4ELj4294967295EEENS1_37radix_sort_block_sort_config_selectorIfNS0_10empty_typeEEEZNS1_21radix_sort_block_sortIS4_Lb0EPKfPfPS6_SC_NS0_19identity_decomposerEEE10hipError_tT1_T2_T3_T4_jRjT5_jjP12ihipStream_tbEUlT_E_NS1_11comp_targetILNS1_3genE9ELNS1_11target_archE1100ELNS1_3gpuE3ELNS1_3repE0EEENS1_44radix_sort_block_sort_config_static_selectorELNS0_4arch9wavefront6targetE0EEEvSF_.uses_flat_scratch, 0
	.set _ZN7rocprim17ROCPRIM_400000_NS6detail17trampoline_kernelINS0_13kernel_configILj256ELj4ELj4294967295EEENS1_37radix_sort_block_sort_config_selectorIfNS0_10empty_typeEEEZNS1_21radix_sort_block_sortIS4_Lb0EPKfPfPS6_SC_NS0_19identity_decomposerEEE10hipError_tT1_T2_T3_T4_jRjT5_jjP12ihipStream_tbEUlT_E_NS1_11comp_targetILNS1_3genE9ELNS1_11target_archE1100ELNS1_3gpuE3ELNS1_3repE0EEENS1_44radix_sort_block_sort_config_static_selectorELNS0_4arch9wavefront6targetE0EEEvSF_.has_dyn_sized_stack, 0
	.set _ZN7rocprim17ROCPRIM_400000_NS6detail17trampoline_kernelINS0_13kernel_configILj256ELj4ELj4294967295EEENS1_37radix_sort_block_sort_config_selectorIfNS0_10empty_typeEEEZNS1_21radix_sort_block_sortIS4_Lb0EPKfPfPS6_SC_NS0_19identity_decomposerEEE10hipError_tT1_T2_T3_T4_jRjT5_jjP12ihipStream_tbEUlT_E_NS1_11comp_targetILNS1_3genE9ELNS1_11target_archE1100ELNS1_3gpuE3ELNS1_3repE0EEENS1_44radix_sort_block_sort_config_static_selectorELNS0_4arch9wavefront6targetE0EEEvSF_.has_recursion, 0
	.set _ZN7rocprim17ROCPRIM_400000_NS6detail17trampoline_kernelINS0_13kernel_configILj256ELj4ELj4294967295EEENS1_37radix_sort_block_sort_config_selectorIfNS0_10empty_typeEEEZNS1_21radix_sort_block_sortIS4_Lb0EPKfPfPS6_SC_NS0_19identity_decomposerEEE10hipError_tT1_T2_T3_T4_jRjT5_jjP12ihipStream_tbEUlT_E_NS1_11comp_targetILNS1_3genE9ELNS1_11target_archE1100ELNS1_3gpuE3ELNS1_3repE0EEENS1_44radix_sort_block_sort_config_static_selectorELNS0_4arch9wavefront6targetE0EEEvSF_.has_indirect_call, 0
	.section	.AMDGPU.csdata,"",@progbits
; Kernel info:
; codeLenInByte = 0
; TotalNumSgprs: 0
; NumVgprs: 0
; ScratchSize: 0
; MemoryBound: 0
; FloatMode: 240
; IeeeMode: 1
; LDSByteSize: 0 bytes/workgroup (compile time only)
; SGPRBlocks: 0
; VGPRBlocks: 0
; NumSGPRsForWavesPerEU: 1
; NumVGPRsForWavesPerEU: 1
; NamedBarCnt: 0
; Occupancy: 16
; WaveLimiterHint : 0
; COMPUTE_PGM_RSRC2:SCRATCH_EN: 0
; COMPUTE_PGM_RSRC2:USER_SGPR: 2
; COMPUTE_PGM_RSRC2:TRAP_HANDLER: 0
; COMPUTE_PGM_RSRC2:TGID_X_EN: 1
; COMPUTE_PGM_RSRC2:TGID_Y_EN: 0
; COMPUTE_PGM_RSRC2:TGID_Z_EN: 0
; COMPUTE_PGM_RSRC2:TIDIG_COMP_CNT: 0
	.section	.text._ZN7rocprim17ROCPRIM_400000_NS6detail17trampoline_kernelINS0_13kernel_configILj256ELj4ELj4294967295EEENS1_37radix_sort_block_sort_config_selectorIfNS0_10empty_typeEEEZNS1_21radix_sort_block_sortIS4_Lb0EPKfPfPS6_SC_NS0_19identity_decomposerEEE10hipError_tT1_T2_T3_T4_jRjT5_jjP12ihipStream_tbEUlT_E_NS1_11comp_targetILNS1_3genE8ELNS1_11target_archE1030ELNS1_3gpuE2ELNS1_3repE0EEENS1_44radix_sort_block_sort_config_static_selectorELNS0_4arch9wavefront6targetE0EEEvSF_,"axG",@progbits,_ZN7rocprim17ROCPRIM_400000_NS6detail17trampoline_kernelINS0_13kernel_configILj256ELj4ELj4294967295EEENS1_37radix_sort_block_sort_config_selectorIfNS0_10empty_typeEEEZNS1_21radix_sort_block_sortIS4_Lb0EPKfPfPS6_SC_NS0_19identity_decomposerEEE10hipError_tT1_T2_T3_T4_jRjT5_jjP12ihipStream_tbEUlT_E_NS1_11comp_targetILNS1_3genE8ELNS1_11target_archE1030ELNS1_3gpuE2ELNS1_3repE0EEENS1_44radix_sort_block_sort_config_static_selectorELNS0_4arch9wavefront6targetE0EEEvSF_,comdat
	.protected	_ZN7rocprim17ROCPRIM_400000_NS6detail17trampoline_kernelINS0_13kernel_configILj256ELj4ELj4294967295EEENS1_37radix_sort_block_sort_config_selectorIfNS0_10empty_typeEEEZNS1_21radix_sort_block_sortIS4_Lb0EPKfPfPS6_SC_NS0_19identity_decomposerEEE10hipError_tT1_T2_T3_T4_jRjT5_jjP12ihipStream_tbEUlT_E_NS1_11comp_targetILNS1_3genE8ELNS1_11target_archE1030ELNS1_3gpuE2ELNS1_3repE0EEENS1_44radix_sort_block_sort_config_static_selectorELNS0_4arch9wavefront6targetE0EEEvSF_ ; -- Begin function _ZN7rocprim17ROCPRIM_400000_NS6detail17trampoline_kernelINS0_13kernel_configILj256ELj4ELj4294967295EEENS1_37radix_sort_block_sort_config_selectorIfNS0_10empty_typeEEEZNS1_21radix_sort_block_sortIS4_Lb0EPKfPfPS6_SC_NS0_19identity_decomposerEEE10hipError_tT1_T2_T3_T4_jRjT5_jjP12ihipStream_tbEUlT_E_NS1_11comp_targetILNS1_3genE8ELNS1_11target_archE1030ELNS1_3gpuE2ELNS1_3repE0EEENS1_44radix_sort_block_sort_config_static_selectorELNS0_4arch9wavefront6targetE0EEEvSF_
	.globl	_ZN7rocprim17ROCPRIM_400000_NS6detail17trampoline_kernelINS0_13kernel_configILj256ELj4ELj4294967295EEENS1_37radix_sort_block_sort_config_selectorIfNS0_10empty_typeEEEZNS1_21radix_sort_block_sortIS4_Lb0EPKfPfPS6_SC_NS0_19identity_decomposerEEE10hipError_tT1_T2_T3_T4_jRjT5_jjP12ihipStream_tbEUlT_E_NS1_11comp_targetILNS1_3genE8ELNS1_11target_archE1030ELNS1_3gpuE2ELNS1_3repE0EEENS1_44radix_sort_block_sort_config_static_selectorELNS0_4arch9wavefront6targetE0EEEvSF_
	.p2align	8
	.type	_ZN7rocprim17ROCPRIM_400000_NS6detail17trampoline_kernelINS0_13kernel_configILj256ELj4ELj4294967295EEENS1_37radix_sort_block_sort_config_selectorIfNS0_10empty_typeEEEZNS1_21radix_sort_block_sortIS4_Lb0EPKfPfPS6_SC_NS0_19identity_decomposerEEE10hipError_tT1_T2_T3_T4_jRjT5_jjP12ihipStream_tbEUlT_E_NS1_11comp_targetILNS1_3genE8ELNS1_11target_archE1030ELNS1_3gpuE2ELNS1_3repE0EEENS1_44radix_sort_block_sort_config_static_selectorELNS0_4arch9wavefront6targetE0EEEvSF_,@function
_ZN7rocprim17ROCPRIM_400000_NS6detail17trampoline_kernelINS0_13kernel_configILj256ELj4ELj4294967295EEENS1_37radix_sort_block_sort_config_selectorIfNS0_10empty_typeEEEZNS1_21radix_sort_block_sortIS4_Lb0EPKfPfPS6_SC_NS0_19identity_decomposerEEE10hipError_tT1_T2_T3_T4_jRjT5_jjP12ihipStream_tbEUlT_E_NS1_11comp_targetILNS1_3genE8ELNS1_11target_archE1030ELNS1_3gpuE2ELNS1_3repE0EEENS1_44radix_sort_block_sort_config_static_selectorELNS0_4arch9wavefront6targetE0EEEvSF_: ; @_ZN7rocprim17ROCPRIM_400000_NS6detail17trampoline_kernelINS0_13kernel_configILj256ELj4ELj4294967295EEENS1_37radix_sort_block_sort_config_selectorIfNS0_10empty_typeEEEZNS1_21radix_sort_block_sortIS4_Lb0EPKfPfPS6_SC_NS0_19identity_decomposerEEE10hipError_tT1_T2_T3_T4_jRjT5_jjP12ihipStream_tbEUlT_E_NS1_11comp_targetILNS1_3genE8ELNS1_11target_archE1030ELNS1_3gpuE2ELNS1_3repE0EEENS1_44radix_sort_block_sort_config_static_selectorELNS0_4arch9wavefront6targetE0EEEvSF_
; %bb.0:
	.section	.rodata,"a",@progbits
	.p2align	6, 0x0
	.amdhsa_kernel _ZN7rocprim17ROCPRIM_400000_NS6detail17trampoline_kernelINS0_13kernel_configILj256ELj4ELj4294967295EEENS1_37radix_sort_block_sort_config_selectorIfNS0_10empty_typeEEEZNS1_21radix_sort_block_sortIS4_Lb0EPKfPfPS6_SC_NS0_19identity_decomposerEEE10hipError_tT1_T2_T3_T4_jRjT5_jjP12ihipStream_tbEUlT_E_NS1_11comp_targetILNS1_3genE8ELNS1_11target_archE1030ELNS1_3gpuE2ELNS1_3repE0EEENS1_44radix_sort_block_sort_config_static_selectorELNS0_4arch9wavefront6targetE0EEEvSF_
		.amdhsa_group_segment_fixed_size 0
		.amdhsa_private_segment_fixed_size 0
		.amdhsa_kernarg_size 48
		.amdhsa_user_sgpr_count 2
		.amdhsa_user_sgpr_dispatch_ptr 0
		.amdhsa_user_sgpr_queue_ptr 0
		.amdhsa_user_sgpr_kernarg_segment_ptr 1
		.amdhsa_user_sgpr_dispatch_id 0
		.amdhsa_user_sgpr_kernarg_preload_length 0
		.amdhsa_user_sgpr_kernarg_preload_offset 0
		.amdhsa_user_sgpr_private_segment_size 0
		.amdhsa_wavefront_size32 1
		.amdhsa_uses_dynamic_stack 0
		.amdhsa_enable_private_segment 0
		.amdhsa_system_sgpr_workgroup_id_x 1
		.amdhsa_system_sgpr_workgroup_id_y 0
		.amdhsa_system_sgpr_workgroup_id_z 0
		.amdhsa_system_sgpr_workgroup_info 0
		.amdhsa_system_vgpr_workitem_id 0
		.amdhsa_next_free_vgpr 1
		.amdhsa_next_free_sgpr 1
		.amdhsa_named_barrier_count 0
		.amdhsa_reserve_vcc 0
		.amdhsa_float_round_mode_32 0
		.amdhsa_float_round_mode_16_64 0
		.amdhsa_float_denorm_mode_32 3
		.amdhsa_float_denorm_mode_16_64 3
		.amdhsa_fp16_overflow 0
		.amdhsa_memory_ordered 1
		.amdhsa_forward_progress 1
		.amdhsa_inst_pref_size 0
		.amdhsa_round_robin_scheduling 0
		.amdhsa_exception_fp_ieee_invalid_op 0
		.amdhsa_exception_fp_denorm_src 0
		.amdhsa_exception_fp_ieee_div_zero 0
		.amdhsa_exception_fp_ieee_overflow 0
		.amdhsa_exception_fp_ieee_underflow 0
		.amdhsa_exception_fp_ieee_inexact 0
		.amdhsa_exception_int_div_zero 0
	.end_amdhsa_kernel
	.section	.text._ZN7rocprim17ROCPRIM_400000_NS6detail17trampoline_kernelINS0_13kernel_configILj256ELj4ELj4294967295EEENS1_37radix_sort_block_sort_config_selectorIfNS0_10empty_typeEEEZNS1_21radix_sort_block_sortIS4_Lb0EPKfPfPS6_SC_NS0_19identity_decomposerEEE10hipError_tT1_T2_T3_T4_jRjT5_jjP12ihipStream_tbEUlT_E_NS1_11comp_targetILNS1_3genE8ELNS1_11target_archE1030ELNS1_3gpuE2ELNS1_3repE0EEENS1_44radix_sort_block_sort_config_static_selectorELNS0_4arch9wavefront6targetE0EEEvSF_,"axG",@progbits,_ZN7rocprim17ROCPRIM_400000_NS6detail17trampoline_kernelINS0_13kernel_configILj256ELj4ELj4294967295EEENS1_37radix_sort_block_sort_config_selectorIfNS0_10empty_typeEEEZNS1_21radix_sort_block_sortIS4_Lb0EPKfPfPS6_SC_NS0_19identity_decomposerEEE10hipError_tT1_T2_T3_T4_jRjT5_jjP12ihipStream_tbEUlT_E_NS1_11comp_targetILNS1_3genE8ELNS1_11target_archE1030ELNS1_3gpuE2ELNS1_3repE0EEENS1_44radix_sort_block_sort_config_static_selectorELNS0_4arch9wavefront6targetE0EEEvSF_,comdat
.Lfunc_end1363:
	.size	_ZN7rocprim17ROCPRIM_400000_NS6detail17trampoline_kernelINS0_13kernel_configILj256ELj4ELj4294967295EEENS1_37radix_sort_block_sort_config_selectorIfNS0_10empty_typeEEEZNS1_21radix_sort_block_sortIS4_Lb0EPKfPfPS6_SC_NS0_19identity_decomposerEEE10hipError_tT1_T2_T3_T4_jRjT5_jjP12ihipStream_tbEUlT_E_NS1_11comp_targetILNS1_3genE8ELNS1_11target_archE1030ELNS1_3gpuE2ELNS1_3repE0EEENS1_44radix_sort_block_sort_config_static_selectorELNS0_4arch9wavefront6targetE0EEEvSF_, .Lfunc_end1363-_ZN7rocprim17ROCPRIM_400000_NS6detail17trampoline_kernelINS0_13kernel_configILj256ELj4ELj4294967295EEENS1_37radix_sort_block_sort_config_selectorIfNS0_10empty_typeEEEZNS1_21radix_sort_block_sortIS4_Lb0EPKfPfPS6_SC_NS0_19identity_decomposerEEE10hipError_tT1_T2_T3_T4_jRjT5_jjP12ihipStream_tbEUlT_E_NS1_11comp_targetILNS1_3genE8ELNS1_11target_archE1030ELNS1_3gpuE2ELNS1_3repE0EEENS1_44radix_sort_block_sort_config_static_selectorELNS0_4arch9wavefront6targetE0EEEvSF_
                                        ; -- End function
	.set _ZN7rocprim17ROCPRIM_400000_NS6detail17trampoline_kernelINS0_13kernel_configILj256ELj4ELj4294967295EEENS1_37radix_sort_block_sort_config_selectorIfNS0_10empty_typeEEEZNS1_21radix_sort_block_sortIS4_Lb0EPKfPfPS6_SC_NS0_19identity_decomposerEEE10hipError_tT1_T2_T3_T4_jRjT5_jjP12ihipStream_tbEUlT_E_NS1_11comp_targetILNS1_3genE8ELNS1_11target_archE1030ELNS1_3gpuE2ELNS1_3repE0EEENS1_44radix_sort_block_sort_config_static_selectorELNS0_4arch9wavefront6targetE0EEEvSF_.num_vgpr, 0
	.set _ZN7rocprim17ROCPRIM_400000_NS6detail17trampoline_kernelINS0_13kernel_configILj256ELj4ELj4294967295EEENS1_37radix_sort_block_sort_config_selectorIfNS0_10empty_typeEEEZNS1_21radix_sort_block_sortIS4_Lb0EPKfPfPS6_SC_NS0_19identity_decomposerEEE10hipError_tT1_T2_T3_T4_jRjT5_jjP12ihipStream_tbEUlT_E_NS1_11comp_targetILNS1_3genE8ELNS1_11target_archE1030ELNS1_3gpuE2ELNS1_3repE0EEENS1_44radix_sort_block_sort_config_static_selectorELNS0_4arch9wavefront6targetE0EEEvSF_.num_agpr, 0
	.set _ZN7rocprim17ROCPRIM_400000_NS6detail17trampoline_kernelINS0_13kernel_configILj256ELj4ELj4294967295EEENS1_37radix_sort_block_sort_config_selectorIfNS0_10empty_typeEEEZNS1_21radix_sort_block_sortIS4_Lb0EPKfPfPS6_SC_NS0_19identity_decomposerEEE10hipError_tT1_T2_T3_T4_jRjT5_jjP12ihipStream_tbEUlT_E_NS1_11comp_targetILNS1_3genE8ELNS1_11target_archE1030ELNS1_3gpuE2ELNS1_3repE0EEENS1_44radix_sort_block_sort_config_static_selectorELNS0_4arch9wavefront6targetE0EEEvSF_.numbered_sgpr, 0
	.set _ZN7rocprim17ROCPRIM_400000_NS6detail17trampoline_kernelINS0_13kernel_configILj256ELj4ELj4294967295EEENS1_37radix_sort_block_sort_config_selectorIfNS0_10empty_typeEEEZNS1_21radix_sort_block_sortIS4_Lb0EPKfPfPS6_SC_NS0_19identity_decomposerEEE10hipError_tT1_T2_T3_T4_jRjT5_jjP12ihipStream_tbEUlT_E_NS1_11comp_targetILNS1_3genE8ELNS1_11target_archE1030ELNS1_3gpuE2ELNS1_3repE0EEENS1_44radix_sort_block_sort_config_static_selectorELNS0_4arch9wavefront6targetE0EEEvSF_.num_named_barrier, 0
	.set _ZN7rocprim17ROCPRIM_400000_NS6detail17trampoline_kernelINS0_13kernel_configILj256ELj4ELj4294967295EEENS1_37radix_sort_block_sort_config_selectorIfNS0_10empty_typeEEEZNS1_21radix_sort_block_sortIS4_Lb0EPKfPfPS6_SC_NS0_19identity_decomposerEEE10hipError_tT1_T2_T3_T4_jRjT5_jjP12ihipStream_tbEUlT_E_NS1_11comp_targetILNS1_3genE8ELNS1_11target_archE1030ELNS1_3gpuE2ELNS1_3repE0EEENS1_44radix_sort_block_sort_config_static_selectorELNS0_4arch9wavefront6targetE0EEEvSF_.private_seg_size, 0
	.set _ZN7rocprim17ROCPRIM_400000_NS6detail17trampoline_kernelINS0_13kernel_configILj256ELj4ELj4294967295EEENS1_37radix_sort_block_sort_config_selectorIfNS0_10empty_typeEEEZNS1_21radix_sort_block_sortIS4_Lb0EPKfPfPS6_SC_NS0_19identity_decomposerEEE10hipError_tT1_T2_T3_T4_jRjT5_jjP12ihipStream_tbEUlT_E_NS1_11comp_targetILNS1_3genE8ELNS1_11target_archE1030ELNS1_3gpuE2ELNS1_3repE0EEENS1_44radix_sort_block_sort_config_static_selectorELNS0_4arch9wavefront6targetE0EEEvSF_.uses_vcc, 0
	.set _ZN7rocprim17ROCPRIM_400000_NS6detail17trampoline_kernelINS0_13kernel_configILj256ELj4ELj4294967295EEENS1_37radix_sort_block_sort_config_selectorIfNS0_10empty_typeEEEZNS1_21radix_sort_block_sortIS4_Lb0EPKfPfPS6_SC_NS0_19identity_decomposerEEE10hipError_tT1_T2_T3_T4_jRjT5_jjP12ihipStream_tbEUlT_E_NS1_11comp_targetILNS1_3genE8ELNS1_11target_archE1030ELNS1_3gpuE2ELNS1_3repE0EEENS1_44radix_sort_block_sort_config_static_selectorELNS0_4arch9wavefront6targetE0EEEvSF_.uses_flat_scratch, 0
	.set _ZN7rocprim17ROCPRIM_400000_NS6detail17trampoline_kernelINS0_13kernel_configILj256ELj4ELj4294967295EEENS1_37radix_sort_block_sort_config_selectorIfNS0_10empty_typeEEEZNS1_21radix_sort_block_sortIS4_Lb0EPKfPfPS6_SC_NS0_19identity_decomposerEEE10hipError_tT1_T2_T3_T4_jRjT5_jjP12ihipStream_tbEUlT_E_NS1_11comp_targetILNS1_3genE8ELNS1_11target_archE1030ELNS1_3gpuE2ELNS1_3repE0EEENS1_44radix_sort_block_sort_config_static_selectorELNS0_4arch9wavefront6targetE0EEEvSF_.has_dyn_sized_stack, 0
	.set _ZN7rocprim17ROCPRIM_400000_NS6detail17trampoline_kernelINS0_13kernel_configILj256ELj4ELj4294967295EEENS1_37radix_sort_block_sort_config_selectorIfNS0_10empty_typeEEEZNS1_21radix_sort_block_sortIS4_Lb0EPKfPfPS6_SC_NS0_19identity_decomposerEEE10hipError_tT1_T2_T3_T4_jRjT5_jjP12ihipStream_tbEUlT_E_NS1_11comp_targetILNS1_3genE8ELNS1_11target_archE1030ELNS1_3gpuE2ELNS1_3repE0EEENS1_44radix_sort_block_sort_config_static_selectorELNS0_4arch9wavefront6targetE0EEEvSF_.has_recursion, 0
	.set _ZN7rocprim17ROCPRIM_400000_NS6detail17trampoline_kernelINS0_13kernel_configILj256ELj4ELj4294967295EEENS1_37radix_sort_block_sort_config_selectorIfNS0_10empty_typeEEEZNS1_21radix_sort_block_sortIS4_Lb0EPKfPfPS6_SC_NS0_19identity_decomposerEEE10hipError_tT1_T2_T3_T4_jRjT5_jjP12ihipStream_tbEUlT_E_NS1_11comp_targetILNS1_3genE8ELNS1_11target_archE1030ELNS1_3gpuE2ELNS1_3repE0EEENS1_44radix_sort_block_sort_config_static_selectorELNS0_4arch9wavefront6targetE0EEEvSF_.has_indirect_call, 0
	.section	.AMDGPU.csdata,"",@progbits
; Kernel info:
; codeLenInByte = 0
; TotalNumSgprs: 0
; NumVgprs: 0
; ScratchSize: 0
; MemoryBound: 0
; FloatMode: 240
; IeeeMode: 1
; LDSByteSize: 0 bytes/workgroup (compile time only)
; SGPRBlocks: 0
; VGPRBlocks: 0
; NumSGPRsForWavesPerEU: 1
; NumVGPRsForWavesPerEU: 1
; NamedBarCnt: 0
; Occupancy: 16
; WaveLimiterHint : 0
; COMPUTE_PGM_RSRC2:SCRATCH_EN: 0
; COMPUTE_PGM_RSRC2:USER_SGPR: 2
; COMPUTE_PGM_RSRC2:TRAP_HANDLER: 0
; COMPUTE_PGM_RSRC2:TGID_X_EN: 1
; COMPUTE_PGM_RSRC2:TGID_Y_EN: 0
; COMPUTE_PGM_RSRC2:TGID_Z_EN: 0
; COMPUTE_PGM_RSRC2:TIDIG_COMP_CNT: 0
	.section	.text._ZN7rocprim17ROCPRIM_400000_NS6detail17trampoline_kernelINS0_14default_configENS1_38merge_sort_block_merge_config_selectorIfNS0_10empty_typeEEEZZNS1_27merge_sort_block_merge_implIS3_PfPS5_jNS1_19radix_merge_compareILb0ELb0EfNS0_19identity_decomposerEEEEE10hipError_tT0_T1_T2_jT3_P12ihipStream_tbPNSt15iterator_traitsISE_E10value_typeEPNSK_ISF_E10value_typeEPSG_NS1_7vsmem_tEENKUlT_SE_SF_SG_E_clIS8_S8_S9_S9_EESD_ST_SE_SF_SG_EUlST_E_NS1_11comp_targetILNS1_3genE0ELNS1_11target_archE4294967295ELNS1_3gpuE0ELNS1_3repE0EEENS1_48merge_mergepath_partition_config_static_selectorELNS0_4arch9wavefront6targetE0EEEvSF_,"axG",@progbits,_ZN7rocprim17ROCPRIM_400000_NS6detail17trampoline_kernelINS0_14default_configENS1_38merge_sort_block_merge_config_selectorIfNS0_10empty_typeEEEZZNS1_27merge_sort_block_merge_implIS3_PfPS5_jNS1_19radix_merge_compareILb0ELb0EfNS0_19identity_decomposerEEEEE10hipError_tT0_T1_T2_jT3_P12ihipStream_tbPNSt15iterator_traitsISE_E10value_typeEPNSK_ISF_E10value_typeEPSG_NS1_7vsmem_tEENKUlT_SE_SF_SG_E_clIS8_S8_S9_S9_EESD_ST_SE_SF_SG_EUlST_E_NS1_11comp_targetILNS1_3genE0ELNS1_11target_archE4294967295ELNS1_3gpuE0ELNS1_3repE0EEENS1_48merge_mergepath_partition_config_static_selectorELNS0_4arch9wavefront6targetE0EEEvSF_,comdat
	.protected	_ZN7rocprim17ROCPRIM_400000_NS6detail17trampoline_kernelINS0_14default_configENS1_38merge_sort_block_merge_config_selectorIfNS0_10empty_typeEEEZZNS1_27merge_sort_block_merge_implIS3_PfPS5_jNS1_19radix_merge_compareILb0ELb0EfNS0_19identity_decomposerEEEEE10hipError_tT0_T1_T2_jT3_P12ihipStream_tbPNSt15iterator_traitsISE_E10value_typeEPNSK_ISF_E10value_typeEPSG_NS1_7vsmem_tEENKUlT_SE_SF_SG_E_clIS8_S8_S9_S9_EESD_ST_SE_SF_SG_EUlST_E_NS1_11comp_targetILNS1_3genE0ELNS1_11target_archE4294967295ELNS1_3gpuE0ELNS1_3repE0EEENS1_48merge_mergepath_partition_config_static_selectorELNS0_4arch9wavefront6targetE0EEEvSF_ ; -- Begin function _ZN7rocprim17ROCPRIM_400000_NS6detail17trampoline_kernelINS0_14default_configENS1_38merge_sort_block_merge_config_selectorIfNS0_10empty_typeEEEZZNS1_27merge_sort_block_merge_implIS3_PfPS5_jNS1_19radix_merge_compareILb0ELb0EfNS0_19identity_decomposerEEEEE10hipError_tT0_T1_T2_jT3_P12ihipStream_tbPNSt15iterator_traitsISE_E10value_typeEPNSK_ISF_E10value_typeEPSG_NS1_7vsmem_tEENKUlT_SE_SF_SG_E_clIS8_S8_S9_S9_EESD_ST_SE_SF_SG_EUlST_E_NS1_11comp_targetILNS1_3genE0ELNS1_11target_archE4294967295ELNS1_3gpuE0ELNS1_3repE0EEENS1_48merge_mergepath_partition_config_static_selectorELNS0_4arch9wavefront6targetE0EEEvSF_
	.globl	_ZN7rocprim17ROCPRIM_400000_NS6detail17trampoline_kernelINS0_14default_configENS1_38merge_sort_block_merge_config_selectorIfNS0_10empty_typeEEEZZNS1_27merge_sort_block_merge_implIS3_PfPS5_jNS1_19radix_merge_compareILb0ELb0EfNS0_19identity_decomposerEEEEE10hipError_tT0_T1_T2_jT3_P12ihipStream_tbPNSt15iterator_traitsISE_E10value_typeEPNSK_ISF_E10value_typeEPSG_NS1_7vsmem_tEENKUlT_SE_SF_SG_E_clIS8_S8_S9_S9_EESD_ST_SE_SF_SG_EUlST_E_NS1_11comp_targetILNS1_3genE0ELNS1_11target_archE4294967295ELNS1_3gpuE0ELNS1_3repE0EEENS1_48merge_mergepath_partition_config_static_selectorELNS0_4arch9wavefront6targetE0EEEvSF_
	.p2align	8
	.type	_ZN7rocprim17ROCPRIM_400000_NS6detail17trampoline_kernelINS0_14default_configENS1_38merge_sort_block_merge_config_selectorIfNS0_10empty_typeEEEZZNS1_27merge_sort_block_merge_implIS3_PfPS5_jNS1_19radix_merge_compareILb0ELb0EfNS0_19identity_decomposerEEEEE10hipError_tT0_T1_T2_jT3_P12ihipStream_tbPNSt15iterator_traitsISE_E10value_typeEPNSK_ISF_E10value_typeEPSG_NS1_7vsmem_tEENKUlT_SE_SF_SG_E_clIS8_S8_S9_S9_EESD_ST_SE_SF_SG_EUlST_E_NS1_11comp_targetILNS1_3genE0ELNS1_11target_archE4294967295ELNS1_3gpuE0ELNS1_3repE0EEENS1_48merge_mergepath_partition_config_static_selectorELNS0_4arch9wavefront6targetE0EEEvSF_,@function
_ZN7rocprim17ROCPRIM_400000_NS6detail17trampoline_kernelINS0_14default_configENS1_38merge_sort_block_merge_config_selectorIfNS0_10empty_typeEEEZZNS1_27merge_sort_block_merge_implIS3_PfPS5_jNS1_19radix_merge_compareILb0ELb0EfNS0_19identity_decomposerEEEEE10hipError_tT0_T1_T2_jT3_P12ihipStream_tbPNSt15iterator_traitsISE_E10value_typeEPNSK_ISF_E10value_typeEPSG_NS1_7vsmem_tEENKUlT_SE_SF_SG_E_clIS8_S8_S9_S9_EESD_ST_SE_SF_SG_EUlST_E_NS1_11comp_targetILNS1_3genE0ELNS1_11target_archE4294967295ELNS1_3gpuE0ELNS1_3repE0EEENS1_48merge_mergepath_partition_config_static_selectorELNS0_4arch9wavefront6targetE0EEEvSF_: ; @_ZN7rocprim17ROCPRIM_400000_NS6detail17trampoline_kernelINS0_14default_configENS1_38merge_sort_block_merge_config_selectorIfNS0_10empty_typeEEEZZNS1_27merge_sort_block_merge_implIS3_PfPS5_jNS1_19radix_merge_compareILb0ELb0EfNS0_19identity_decomposerEEEEE10hipError_tT0_T1_T2_jT3_P12ihipStream_tbPNSt15iterator_traitsISE_E10value_typeEPNSK_ISF_E10value_typeEPSG_NS1_7vsmem_tEENKUlT_SE_SF_SG_E_clIS8_S8_S9_S9_EESD_ST_SE_SF_SG_EUlST_E_NS1_11comp_targetILNS1_3genE0ELNS1_11target_archE4294967295ELNS1_3gpuE0ELNS1_3repE0EEENS1_48merge_mergepath_partition_config_static_selectorELNS0_4arch9wavefront6targetE0EEEvSF_
; %bb.0:
	s_load_b32 s2, s[0:1], 0x0
	s_bfe_u32 s3, ttmp6, 0x4000c
	s_and_b32 s4, ttmp6, 15
	s_add_co_i32 s3, s3, 1
	s_getreg_b32 s5, hwreg(HW_REG_IB_STS2, 6, 4)
	s_mul_i32 s3, ttmp9, s3
	s_delay_alu instid0(SALU_CYCLE_1) | instskip(SKIP_2) | instid1(SALU_CYCLE_1)
	s_add_co_i32 s4, s4, s3
	s_cmp_eq_u32 s5, 0
	s_cselect_b32 s3, ttmp9, s4
	v_lshl_or_b32 v8, s3, 7, v0
	s_wait_kmcnt 0x0
	s_delay_alu instid0(VALU_DEP_1)
	v_cmp_gt_u32_e32 vcc_lo, s2, v8
	s_and_saveexec_b32 s2, vcc_lo
	s_cbranch_execz .LBB1364_6
; %bb.1:
	s_load_b64 s[2:3], s[0:1], 0x4
	s_wait_kmcnt 0x0
	s_lshr_b32 s4, s2, 9
	s_delay_alu instid0(SALU_CYCLE_1) | instskip(NEXT) | instid1(SALU_CYCLE_1)
	s_and_b32 s4, s4, 0x7ffffe
	s_sub_co_i32 s5, 0, s4
	s_add_co_i32 s4, s4, -1
	s_delay_alu instid0(SALU_CYCLE_1) | instskip(SKIP_2) | instid1(VALU_DEP_1)
	v_and_b32_e32 v1, s4, v8
	v_and_b32_e32 v0, s5, v8
	s_mov_b32 s4, exec_lo
	v_dual_lshlrev_b32 v1, 10, v1 :: v_dual_lshlrev_b32 v0, 10, v0
	s_delay_alu instid0(VALU_DEP_1) | instskip(SKIP_1) | instid1(VALU_DEP_2)
	v_add_min_u32_e64 v2, v0, s2, s3
	v_min_u32_e32 v0, s3, v0
	v_add_min_u32_e64 v3, v2, s2, s3
	s_load_b64 s[2:3], s[0:1], 0x20
	s_delay_alu instid0(VALU_DEP_1) | instskip(NEXT) | instid1(VALU_DEP_1)
	v_dual_sub_nc_u32 v4, v3, v0 :: v_dual_sub_nc_u32 v3, v3, v2
	v_min_u32_e32 v10, v4, v1
	v_sub_nc_u32_e32 v1, v2, v0
	s_delay_alu instid0(VALU_DEP_2) | instskip(NEXT) | instid1(VALU_DEP_2)
	v_sub_nc_u32_e64 v9, v10, v3 clamp
	v_min_u32_e32 v11, v10, v1
	s_delay_alu instid0(VALU_DEP_1)
	v_cmpx_lt_u32_e64 v9, v11
	s_cbranch_execz .LBB1364_5
; %bb.2:
	s_wait_xcnt 0x0
	s_load_b64 s[0:1], s[0:1], 0x10
	v_mov_b32_e32 v3, 0
	s_delay_alu instid0(VALU_DEP_1) | instskip(SKIP_1) | instid1(VALU_DEP_1)
	v_mov_b32_e32 v1, v3
	s_wait_kmcnt 0x0
	v_lshl_add_u64 v[4:5], v[0:1], 2, s[0:1]
	v_lshl_add_u64 v[6:7], v[2:3], 2, s[0:1]
	s_mov_b32 s0, 0
.LBB1364_3:                             ; =>This Inner Loop Header: Depth=1
	v_add_nc_u32_e32 v1, v11, v9
	s_delay_alu instid0(VALU_DEP_1) | instskip(NEXT) | instid1(VALU_DEP_1)
	v_dual_mov_b32 v13, v3 :: v_dual_lshrrev_b32 v2, 1, v1
	v_xad_u32 v12, v2, -1, v10
	v_lshl_add_u64 v[14:15], v[2:3], 2, v[4:5]
	s_delay_alu instid0(VALU_DEP_2)
	v_lshl_add_u64 v[12:13], v[12:13], 2, v[6:7]
	s_clause 0x1
	global_load_b32 v16, v[14:15], off
	global_load_b32 v17, v[12:13], off
	s_wait_loadcnt 0x0
	v_pk_add_f32 v[12:13], v[16:17], 0 op_sel_hi:[1,0]
	s_delay_alu instid0(VALU_DEP_1) | instskip(NEXT) | instid1(VALU_DEP_1)
	v_ashrrev_i32_e32 v14, 31, v12
	v_or_b32_e32 v14, 0x80000000, v14
	s_delay_alu instid0(VALU_DEP_1) | instskip(NEXT) | instid1(VALU_DEP_1)
	v_dual_ashrrev_i32 v1, 31, v13 :: v_dual_bitop2_b32 v12, v14, v12 bitop3:0x14
	v_or_b32_e32 v1, 0x80000000, v1
	s_delay_alu instid0(VALU_DEP_1) | instskip(NEXT) | instid1(VALU_DEP_1)
	v_dual_add_nc_u32 v13, 1, v2 :: v_dual_bitop2_b32 v1, v1, v13 bitop3:0x14
	v_cmp_gt_u32_e32 vcc_lo, v12, v1
	s_delay_alu instid0(VALU_DEP_2) | instskip(NEXT) | instid1(VALU_DEP_1)
	v_dual_cndmask_b32 v11, v11, v2, vcc_lo :: v_dual_cndmask_b32 v9, v13, v9, vcc_lo
	v_cmp_ge_u32_e32 vcc_lo, v9, v11
	s_or_b32 s0, vcc_lo, s0
	s_delay_alu instid0(SALU_CYCLE_1)
	s_and_not1_b32 exec_lo, exec_lo, s0
	s_cbranch_execnz .LBB1364_3
; %bb.4:
	s_or_b32 exec_lo, exec_lo, s0
.LBB1364_5:
	s_delay_alu instid0(SALU_CYCLE_1)
	s_or_b32 exec_lo, exec_lo, s4
	v_add_nc_u32_e32 v0, v9, v0
	s_wait_kmcnt 0x0
	global_store_b32 v8, v0, s[2:3] scale_offset
.LBB1364_6:
	s_endpgm
	.section	.rodata,"a",@progbits
	.p2align	6, 0x0
	.amdhsa_kernel _ZN7rocprim17ROCPRIM_400000_NS6detail17trampoline_kernelINS0_14default_configENS1_38merge_sort_block_merge_config_selectorIfNS0_10empty_typeEEEZZNS1_27merge_sort_block_merge_implIS3_PfPS5_jNS1_19radix_merge_compareILb0ELb0EfNS0_19identity_decomposerEEEEE10hipError_tT0_T1_T2_jT3_P12ihipStream_tbPNSt15iterator_traitsISE_E10value_typeEPNSK_ISF_E10value_typeEPSG_NS1_7vsmem_tEENKUlT_SE_SF_SG_E_clIS8_S8_S9_S9_EESD_ST_SE_SF_SG_EUlST_E_NS1_11comp_targetILNS1_3genE0ELNS1_11target_archE4294967295ELNS1_3gpuE0ELNS1_3repE0EEENS1_48merge_mergepath_partition_config_static_selectorELNS0_4arch9wavefront6targetE0EEEvSF_
		.amdhsa_group_segment_fixed_size 0
		.amdhsa_private_segment_fixed_size 0
		.amdhsa_kernarg_size 40
		.amdhsa_user_sgpr_count 2
		.amdhsa_user_sgpr_dispatch_ptr 0
		.amdhsa_user_sgpr_queue_ptr 0
		.amdhsa_user_sgpr_kernarg_segment_ptr 1
		.amdhsa_user_sgpr_dispatch_id 0
		.amdhsa_user_sgpr_kernarg_preload_length 0
		.amdhsa_user_sgpr_kernarg_preload_offset 0
		.amdhsa_user_sgpr_private_segment_size 0
		.amdhsa_wavefront_size32 1
		.amdhsa_uses_dynamic_stack 0
		.amdhsa_enable_private_segment 0
		.amdhsa_system_sgpr_workgroup_id_x 1
		.amdhsa_system_sgpr_workgroup_id_y 0
		.amdhsa_system_sgpr_workgroup_id_z 0
		.amdhsa_system_sgpr_workgroup_info 0
		.amdhsa_system_vgpr_workitem_id 0
		.amdhsa_next_free_vgpr 18
		.amdhsa_next_free_sgpr 6
		.amdhsa_named_barrier_count 0
		.amdhsa_reserve_vcc 1
		.amdhsa_float_round_mode_32 0
		.amdhsa_float_round_mode_16_64 0
		.amdhsa_float_denorm_mode_32 3
		.amdhsa_float_denorm_mode_16_64 3
		.amdhsa_fp16_overflow 0
		.amdhsa_memory_ordered 1
		.amdhsa_forward_progress 1
		.amdhsa_inst_pref_size 4
		.amdhsa_round_robin_scheduling 0
		.amdhsa_exception_fp_ieee_invalid_op 0
		.amdhsa_exception_fp_denorm_src 0
		.amdhsa_exception_fp_ieee_div_zero 0
		.amdhsa_exception_fp_ieee_overflow 0
		.amdhsa_exception_fp_ieee_underflow 0
		.amdhsa_exception_fp_ieee_inexact 0
		.amdhsa_exception_int_div_zero 0
	.end_amdhsa_kernel
	.section	.text._ZN7rocprim17ROCPRIM_400000_NS6detail17trampoline_kernelINS0_14default_configENS1_38merge_sort_block_merge_config_selectorIfNS0_10empty_typeEEEZZNS1_27merge_sort_block_merge_implIS3_PfPS5_jNS1_19radix_merge_compareILb0ELb0EfNS0_19identity_decomposerEEEEE10hipError_tT0_T1_T2_jT3_P12ihipStream_tbPNSt15iterator_traitsISE_E10value_typeEPNSK_ISF_E10value_typeEPSG_NS1_7vsmem_tEENKUlT_SE_SF_SG_E_clIS8_S8_S9_S9_EESD_ST_SE_SF_SG_EUlST_E_NS1_11comp_targetILNS1_3genE0ELNS1_11target_archE4294967295ELNS1_3gpuE0ELNS1_3repE0EEENS1_48merge_mergepath_partition_config_static_selectorELNS0_4arch9wavefront6targetE0EEEvSF_,"axG",@progbits,_ZN7rocprim17ROCPRIM_400000_NS6detail17trampoline_kernelINS0_14default_configENS1_38merge_sort_block_merge_config_selectorIfNS0_10empty_typeEEEZZNS1_27merge_sort_block_merge_implIS3_PfPS5_jNS1_19radix_merge_compareILb0ELb0EfNS0_19identity_decomposerEEEEE10hipError_tT0_T1_T2_jT3_P12ihipStream_tbPNSt15iterator_traitsISE_E10value_typeEPNSK_ISF_E10value_typeEPSG_NS1_7vsmem_tEENKUlT_SE_SF_SG_E_clIS8_S8_S9_S9_EESD_ST_SE_SF_SG_EUlST_E_NS1_11comp_targetILNS1_3genE0ELNS1_11target_archE4294967295ELNS1_3gpuE0ELNS1_3repE0EEENS1_48merge_mergepath_partition_config_static_selectorELNS0_4arch9wavefront6targetE0EEEvSF_,comdat
.Lfunc_end1364:
	.size	_ZN7rocprim17ROCPRIM_400000_NS6detail17trampoline_kernelINS0_14default_configENS1_38merge_sort_block_merge_config_selectorIfNS0_10empty_typeEEEZZNS1_27merge_sort_block_merge_implIS3_PfPS5_jNS1_19radix_merge_compareILb0ELb0EfNS0_19identity_decomposerEEEEE10hipError_tT0_T1_T2_jT3_P12ihipStream_tbPNSt15iterator_traitsISE_E10value_typeEPNSK_ISF_E10value_typeEPSG_NS1_7vsmem_tEENKUlT_SE_SF_SG_E_clIS8_S8_S9_S9_EESD_ST_SE_SF_SG_EUlST_E_NS1_11comp_targetILNS1_3genE0ELNS1_11target_archE4294967295ELNS1_3gpuE0ELNS1_3repE0EEENS1_48merge_mergepath_partition_config_static_selectorELNS0_4arch9wavefront6targetE0EEEvSF_, .Lfunc_end1364-_ZN7rocprim17ROCPRIM_400000_NS6detail17trampoline_kernelINS0_14default_configENS1_38merge_sort_block_merge_config_selectorIfNS0_10empty_typeEEEZZNS1_27merge_sort_block_merge_implIS3_PfPS5_jNS1_19radix_merge_compareILb0ELb0EfNS0_19identity_decomposerEEEEE10hipError_tT0_T1_T2_jT3_P12ihipStream_tbPNSt15iterator_traitsISE_E10value_typeEPNSK_ISF_E10value_typeEPSG_NS1_7vsmem_tEENKUlT_SE_SF_SG_E_clIS8_S8_S9_S9_EESD_ST_SE_SF_SG_EUlST_E_NS1_11comp_targetILNS1_3genE0ELNS1_11target_archE4294967295ELNS1_3gpuE0ELNS1_3repE0EEENS1_48merge_mergepath_partition_config_static_selectorELNS0_4arch9wavefront6targetE0EEEvSF_
                                        ; -- End function
	.set _ZN7rocprim17ROCPRIM_400000_NS6detail17trampoline_kernelINS0_14default_configENS1_38merge_sort_block_merge_config_selectorIfNS0_10empty_typeEEEZZNS1_27merge_sort_block_merge_implIS3_PfPS5_jNS1_19radix_merge_compareILb0ELb0EfNS0_19identity_decomposerEEEEE10hipError_tT0_T1_T2_jT3_P12ihipStream_tbPNSt15iterator_traitsISE_E10value_typeEPNSK_ISF_E10value_typeEPSG_NS1_7vsmem_tEENKUlT_SE_SF_SG_E_clIS8_S8_S9_S9_EESD_ST_SE_SF_SG_EUlST_E_NS1_11comp_targetILNS1_3genE0ELNS1_11target_archE4294967295ELNS1_3gpuE0ELNS1_3repE0EEENS1_48merge_mergepath_partition_config_static_selectorELNS0_4arch9wavefront6targetE0EEEvSF_.num_vgpr, 18
	.set _ZN7rocprim17ROCPRIM_400000_NS6detail17trampoline_kernelINS0_14default_configENS1_38merge_sort_block_merge_config_selectorIfNS0_10empty_typeEEEZZNS1_27merge_sort_block_merge_implIS3_PfPS5_jNS1_19radix_merge_compareILb0ELb0EfNS0_19identity_decomposerEEEEE10hipError_tT0_T1_T2_jT3_P12ihipStream_tbPNSt15iterator_traitsISE_E10value_typeEPNSK_ISF_E10value_typeEPSG_NS1_7vsmem_tEENKUlT_SE_SF_SG_E_clIS8_S8_S9_S9_EESD_ST_SE_SF_SG_EUlST_E_NS1_11comp_targetILNS1_3genE0ELNS1_11target_archE4294967295ELNS1_3gpuE0ELNS1_3repE0EEENS1_48merge_mergepath_partition_config_static_selectorELNS0_4arch9wavefront6targetE0EEEvSF_.num_agpr, 0
	.set _ZN7rocprim17ROCPRIM_400000_NS6detail17trampoline_kernelINS0_14default_configENS1_38merge_sort_block_merge_config_selectorIfNS0_10empty_typeEEEZZNS1_27merge_sort_block_merge_implIS3_PfPS5_jNS1_19radix_merge_compareILb0ELb0EfNS0_19identity_decomposerEEEEE10hipError_tT0_T1_T2_jT3_P12ihipStream_tbPNSt15iterator_traitsISE_E10value_typeEPNSK_ISF_E10value_typeEPSG_NS1_7vsmem_tEENKUlT_SE_SF_SG_E_clIS8_S8_S9_S9_EESD_ST_SE_SF_SG_EUlST_E_NS1_11comp_targetILNS1_3genE0ELNS1_11target_archE4294967295ELNS1_3gpuE0ELNS1_3repE0EEENS1_48merge_mergepath_partition_config_static_selectorELNS0_4arch9wavefront6targetE0EEEvSF_.numbered_sgpr, 6
	.set _ZN7rocprim17ROCPRIM_400000_NS6detail17trampoline_kernelINS0_14default_configENS1_38merge_sort_block_merge_config_selectorIfNS0_10empty_typeEEEZZNS1_27merge_sort_block_merge_implIS3_PfPS5_jNS1_19radix_merge_compareILb0ELb0EfNS0_19identity_decomposerEEEEE10hipError_tT0_T1_T2_jT3_P12ihipStream_tbPNSt15iterator_traitsISE_E10value_typeEPNSK_ISF_E10value_typeEPSG_NS1_7vsmem_tEENKUlT_SE_SF_SG_E_clIS8_S8_S9_S9_EESD_ST_SE_SF_SG_EUlST_E_NS1_11comp_targetILNS1_3genE0ELNS1_11target_archE4294967295ELNS1_3gpuE0ELNS1_3repE0EEENS1_48merge_mergepath_partition_config_static_selectorELNS0_4arch9wavefront6targetE0EEEvSF_.num_named_barrier, 0
	.set _ZN7rocprim17ROCPRIM_400000_NS6detail17trampoline_kernelINS0_14default_configENS1_38merge_sort_block_merge_config_selectorIfNS0_10empty_typeEEEZZNS1_27merge_sort_block_merge_implIS3_PfPS5_jNS1_19radix_merge_compareILb0ELb0EfNS0_19identity_decomposerEEEEE10hipError_tT0_T1_T2_jT3_P12ihipStream_tbPNSt15iterator_traitsISE_E10value_typeEPNSK_ISF_E10value_typeEPSG_NS1_7vsmem_tEENKUlT_SE_SF_SG_E_clIS8_S8_S9_S9_EESD_ST_SE_SF_SG_EUlST_E_NS1_11comp_targetILNS1_3genE0ELNS1_11target_archE4294967295ELNS1_3gpuE0ELNS1_3repE0EEENS1_48merge_mergepath_partition_config_static_selectorELNS0_4arch9wavefront6targetE0EEEvSF_.private_seg_size, 0
	.set _ZN7rocprim17ROCPRIM_400000_NS6detail17trampoline_kernelINS0_14default_configENS1_38merge_sort_block_merge_config_selectorIfNS0_10empty_typeEEEZZNS1_27merge_sort_block_merge_implIS3_PfPS5_jNS1_19radix_merge_compareILb0ELb0EfNS0_19identity_decomposerEEEEE10hipError_tT0_T1_T2_jT3_P12ihipStream_tbPNSt15iterator_traitsISE_E10value_typeEPNSK_ISF_E10value_typeEPSG_NS1_7vsmem_tEENKUlT_SE_SF_SG_E_clIS8_S8_S9_S9_EESD_ST_SE_SF_SG_EUlST_E_NS1_11comp_targetILNS1_3genE0ELNS1_11target_archE4294967295ELNS1_3gpuE0ELNS1_3repE0EEENS1_48merge_mergepath_partition_config_static_selectorELNS0_4arch9wavefront6targetE0EEEvSF_.uses_vcc, 1
	.set _ZN7rocprim17ROCPRIM_400000_NS6detail17trampoline_kernelINS0_14default_configENS1_38merge_sort_block_merge_config_selectorIfNS0_10empty_typeEEEZZNS1_27merge_sort_block_merge_implIS3_PfPS5_jNS1_19radix_merge_compareILb0ELb0EfNS0_19identity_decomposerEEEEE10hipError_tT0_T1_T2_jT3_P12ihipStream_tbPNSt15iterator_traitsISE_E10value_typeEPNSK_ISF_E10value_typeEPSG_NS1_7vsmem_tEENKUlT_SE_SF_SG_E_clIS8_S8_S9_S9_EESD_ST_SE_SF_SG_EUlST_E_NS1_11comp_targetILNS1_3genE0ELNS1_11target_archE4294967295ELNS1_3gpuE0ELNS1_3repE0EEENS1_48merge_mergepath_partition_config_static_selectorELNS0_4arch9wavefront6targetE0EEEvSF_.uses_flat_scratch, 0
	.set _ZN7rocprim17ROCPRIM_400000_NS6detail17trampoline_kernelINS0_14default_configENS1_38merge_sort_block_merge_config_selectorIfNS0_10empty_typeEEEZZNS1_27merge_sort_block_merge_implIS3_PfPS5_jNS1_19radix_merge_compareILb0ELb0EfNS0_19identity_decomposerEEEEE10hipError_tT0_T1_T2_jT3_P12ihipStream_tbPNSt15iterator_traitsISE_E10value_typeEPNSK_ISF_E10value_typeEPSG_NS1_7vsmem_tEENKUlT_SE_SF_SG_E_clIS8_S8_S9_S9_EESD_ST_SE_SF_SG_EUlST_E_NS1_11comp_targetILNS1_3genE0ELNS1_11target_archE4294967295ELNS1_3gpuE0ELNS1_3repE0EEENS1_48merge_mergepath_partition_config_static_selectorELNS0_4arch9wavefront6targetE0EEEvSF_.has_dyn_sized_stack, 0
	.set _ZN7rocprim17ROCPRIM_400000_NS6detail17trampoline_kernelINS0_14default_configENS1_38merge_sort_block_merge_config_selectorIfNS0_10empty_typeEEEZZNS1_27merge_sort_block_merge_implIS3_PfPS5_jNS1_19radix_merge_compareILb0ELb0EfNS0_19identity_decomposerEEEEE10hipError_tT0_T1_T2_jT3_P12ihipStream_tbPNSt15iterator_traitsISE_E10value_typeEPNSK_ISF_E10value_typeEPSG_NS1_7vsmem_tEENKUlT_SE_SF_SG_E_clIS8_S8_S9_S9_EESD_ST_SE_SF_SG_EUlST_E_NS1_11comp_targetILNS1_3genE0ELNS1_11target_archE4294967295ELNS1_3gpuE0ELNS1_3repE0EEENS1_48merge_mergepath_partition_config_static_selectorELNS0_4arch9wavefront6targetE0EEEvSF_.has_recursion, 0
	.set _ZN7rocprim17ROCPRIM_400000_NS6detail17trampoline_kernelINS0_14default_configENS1_38merge_sort_block_merge_config_selectorIfNS0_10empty_typeEEEZZNS1_27merge_sort_block_merge_implIS3_PfPS5_jNS1_19radix_merge_compareILb0ELb0EfNS0_19identity_decomposerEEEEE10hipError_tT0_T1_T2_jT3_P12ihipStream_tbPNSt15iterator_traitsISE_E10value_typeEPNSK_ISF_E10value_typeEPSG_NS1_7vsmem_tEENKUlT_SE_SF_SG_E_clIS8_S8_S9_S9_EESD_ST_SE_SF_SG_EUlST_E_NS1_11comp_targetILNS1_3genE0ELNS1_11target_archE4294967295ELNS1_3gpuE0ELNS1_3repE0EEENS1_48merge_mergepath_partition_config_static_selectorELNS0_4arch9wavefront6targetE0EEEvSF_.has_indirect_call, 0
	.section	.AMDGPU.csdata,"",@progbits
; Kernel info:
; codeLenInByte = 492
; TotalNumSgprs: 8
; NumVgprs: 18
; ScratchSize: 0
; MemoryBound: 0
; FloatMode: 240
; IeeeMode: 1
; LDSByteSize: 0 bytes/workgroup (compile time only)
; SGPRBlocks: 0
; VGPRBlocks: 1
; NumSGPRsForWavesPerEU: 8
; NumVGPRsForWavesPerEU: 18
; NamedBarCnt: 0
; Occupancy: 16
; WaveLimiterHint : 0
; COMPUTE_PGM_RSRC2:SCRATCH_EN: 0
; COMPUTE_PGM_RSRC2:USER_SGPR: 2
; COMPUTE_PGM_RSRC2:TRAP_HANDLER: 0
; COMPUTE_PGM_RSRC2:TGID_X_EN: 1
; COMPUTE_PGM_RSRC2:TGID_Y_EN: 0
; COMPUTE_PGM_RSRC2:TGID_Z_EN: 0
; COMPUTE_PGM_RSRC2:TIDIG_COMP_CNT: 0
	.section	.text._ZN7rocprim17ROCPRIM_400000_NS6detail17trampoline_kernelINS0_14default_configENS1_38merge_sort_block_merge_config_selectorIfNS0_10empty_typeEEEZZNS1_27merge_sort_block_merge_implIS3_PfPS5_jNS1_19radix_merge_compareILb0ELb0EfNS0_19identity_decomposerEEEEE10hipError_tT0_T1_T2_jT3_P12ihipStream_tbPNSt15iterator_traitsISE_E10value_typeEPNSK_ISF_E10value_typeEPSG_NS1_7vsmem_tEENKUlT_SE_SF_SG_E_clIS8_S8_S9_S9_EESD_ST_SE_SF_SG_EUlST_E_NS1_11comp_targetILNS1_3genE10ELNS1_11target_archE1201ELNS1_3gpuE5ELNS1_3repE0EEENS1_48merge_mergepath_partition_config_static_selectorELNS0_4arch9wavefront6targetE0EEEvSF_,"axG",@progbits,_ZN7rocprim17ROCPRIM_400000_NS6detail17trampoline_kernelINS0_14default_configENS1_38merge_sort_block_merge_config_selectorIfNS0_10empty_typeEEEZZNS1_27merge_sort_block_merge_implIS3_PfPS5_jNS1_19radix_merge_compareILb0ELb0EfNS0_19identity_decomposerEEEEE10hipError_tT0_T1_T2_jT3_P12ihipStream_tbPNSt15iterator_traitsISE_E10value_typeEPNSK_ISF_E10value_typeEPSG_NS1_7vsmem_tEENKUlT_SE_SF_SG_E_clIS8_S8_S9_S9_EESD_ST_SE_SF_SG_EUlST_E_NS1_11comp_targetILNS1_3genE10ELNS1_11target_archE1201ELNS1_3gpuE5ELNS1_3repE0EEENS1_48merge_mergepath_partition_config_static_selectorELNS0_4arch9wavefront6targetE0EEEvSF_,comdat
	.protected	_ZN7rocprim17ROCPRIM_400000_NS6detail17trampoline_kernelINS0_14default_configENS1_38merge_sort_block_merge_config_selectorIfNS0_10empty_typeEEEZZNS1_27merge_sort_block_merge_implIS3_PfPS5_jNS1_19radix_merge_compareILb0ELb0EfNS0_19identity_decomposerEEEEE10hipError_tT0_T1_T2_jT3_P12ihipStream_tbPNSt15iterator_traitsISE_E10value_typeEPNSK_ISF_E10value_typeEPSG_NS1_7vsmem_tEENKUlT_SE_SF_SG_E_clIS8_S8_S9_S9_EESD_ST_SE_SF_SG_EUlST_E_NS1_11comp_targetILNS1_3genE10ELNS1_11target_archE1201ELNS1_3gpuE5ELNS1_3repE0EEENS1_48merge_mergepath_partition_config_static_selectorELNS0_4arch9wavefront6targetE0EEEvSF_ ; -- Begin function _ZN7rocprim17ROCPRIM_400000_NS6detail17trampoline_kernelINS0_14default_configENS1_38merge_sort_block_merge_config_selectorIfNS0_10empty_typeEEEZZNS1_27merge_sort_block_merge_implIS3_PfPS5_jNS1_19radix_merge_compareILb0ELb0EfNS0_19identity_decomposerEEEEE10hipError_tT0_T1_T2_jT3_P12ihipStream_tbPNSt15iterator_traitsISE_E10value_typeEPNSK_ISF_E10value_typeEPSG_NS1_7vsmem_tEENKUlT_SE_SF_SG_E_clIS8_S8_S9_S9_EESD_ST_SE_SF_SG_EUlST_E_NS1_11comp_targetILNS1_3genE10ELNS1_11target_archE1201ELNS1_3gpuE5ELNS1_3repE0EEENS1_48merge_mergepath_partition_config_static_selectorELNS0_4arch9wavefront6targetE0EEEvSF_
	.globl	_ZN7rocprim17ROCPRIM_400000_NS6detail17trampoline_kernelINS0_14default_configENS1_38merge_sort_block_merge_config_selectorIfNS0_10empty_typeEEEZZNS1_27merge_sort_block_merge_implIS3_PfPS5_jNS1_19radix_merge_compareILb0ELb0EfNS0_19identity_decomposerEEEEE10hipError_tT0_T1_T2_jT3_P12ihipStream_tbPNSt15iterator_traitsISE_E10value_typeEPNSK_ISF_E10value_typeEPSG_NS1_7vsmem_tEENKUlT_SE_SF_SG_E_clIS8_S8_S9_S9_EESD_ST_SE_SF_SG_EUlST_E_NS1_11comp_targetILNS1_3genE10ELNS1_11target_archE1201ELNS1_3gpuE5ELNS1_3repE0EEENS1_48merge_mergepath_partition_config_static_selectorELNS0_4arch9wavefront6targetE0EEEvSF_
	.p2align	8
	.type	_ZN7rocprim17ROCPRIM_400000_NS6detail17trampoline_kernelINS0_14default_configENS1_38merge_sort_block_merge_config_selectorIfNS0_10empty_typeEEEZZNS1_27merge_sort_block_merge_implIS3_PfPS5_jNS1_19radix_merge_compareILb0ELb0EfNS0_19identity_decomposerEEEEE10hipError_tT0_T1_T2_jT3_P12ihipStream_tbPNSt15iterator_traitsISE_E10value_typeEPNSK_ISF_E10value_typeEPSG_NS1_7vsmem_tEENKUlT_SE_SF_SG_E_clIS8_S8_S9_S9_EESD_ST_SE_SF_SG_EUlST_E_NS1_11comp_targetILNS1_3genE10ELNS1_11target_archE1201ELNS1_3gpuE5ELNS1_3repE0EEENS1_48merge_mergepath_partition_config_static_selectorELNS0_4arch9wavefront6targetE0EEEvSF_,@function
_ZN7rocprim17ROCPRIM_400000_NS6detail17trampoline_kernelINS0_14default_configENS1_38merge_sort_block_merge_config_selectorIfNS0_10empty_typeEEEZZNS1_27merge_sort_block_merge_implIS3_PfPS5_jNS1_19radix_merge_compareILb0ELb0EfNS0_19identity_decomposerEEEEE10hipError_tT0_T1_T2_jT3_P12ihipStream_tbPNSt15iterator_traitsISE_E10value_typeEPNSK_ISF_E10value_typeEPSG_NS1_7vsmem_tEENKUlT_SE_SF_SG_E_clIS8_S8_S9_S9_EESD_ST_SE_SF_SG_EUlST_E_NS1_11comp_targetILNS1_3genE10ELNS1_11target_archE1201ELNS1_3gpuE5ELNS1_3repE0EEENS1_48merge_mergepath_partition_config_static_selectorELNS0_4arch9wavefront6targetE0EEEvSF_: ; @_ZN7rocprim17ROCPRIM_400000_NS6detail17trampoline_kernelINS0_14default_configENS1_38merge_sort_block_merge_config_selectorIfNS0_10empty_typeEEEZZNS1_27merge_sort_block_merge_implIS3_PfPS5_jNS1_19radix_merge_compareILb0ELb0EfNS0_19identity_decomposerEEEEE10hipError_tT0_T1_T2_jT3_P12ihipStream_tbPNSt15iterator_traitsISE_E10value_typeEPNSK_ISF_E10value_typeEPSG_NS1_7vsmem_tEENKUlT_SE_SF_SG_E_clIS8_S8_S9_S9_EESD_ST_SE_SF_SG_EUlST_E_NS1_11comp_targetILNS1_3genE10ELNS1_11target_archE1201ELNS1_3gpuE5ELNS1_3repE0EEENS1_48merge_mergepath_partition_config_static_selectorELNS0_4arch9wavefront6targetE0EEEvSF_
; %bb.0:
	.section	.rodata,"a",@progbits
	.p2align	6, 0x0
	.amdhsa_kernel _ZN7rocprim17ROCPRIM_400000_NS6detail17trampoline_kernelINS0_14default_configENS1_38merge_sort_block_merge_config_selectorIfNS0_10empty_typeEEEZZNS1_27merge_sort_block_merge_implIS3_PfPS5_jNS1_19radix_merge_compareILb0ELb0EfNS0_19identity_decomposerEEEEE10hipError_tT0_T1_T2_jT3_P12ihipStream_tbPNSt15iterator_traitsISE_E10value_typeEPNSK_ISF_E10value_typeEPSG_NS1_7vsmem_tEENKUlT_SE_SF_SG_E_clIS8_S8_S9_S9_EESD_ST_SE_SF_SG_EUlST_E_NS1_11comp_targetILNS1_3genE10ELNS1_11target_archE1201ELNS1_3gpuE5ELNS1_3repE0EEENS1_48merge_mergepath_partition_config_static_selectorELNS0_4arch9wavefront6targetE0EEEvSF_
		.amdhsa_group_segment_fixed_size 0
		.amdhsa_private_segment_fixed_size 0
		.amdhsa_kernarg_size 40
		.amdhsa_user_sgpr_count 2
		.amdhsa_user_sgpr_dispatch_ptr 0
		.amdhsa_user_sgpr_queue_ptr 0
		.amdhsa_user_sgpr_kernarg_segment_ptr 1
		.amdhsa_user_sgpr_dispatch_id 0
		.amdhsa_user_sgpr_kernarg_preload_length 0
		.amdhsa_user_sgpr_kernarg_preload_offset 0
		.amdhsa_user_sgpr_private_segment_size 0
		.amdhsa_wavefront_size32 1
		.amdhsa_uses_dynamic_stack 0
		.amdhsa_enable_private_segment 0
		.amdhsa_system_sgpr_workgroup_id_x 1
		.amdhsa_system_sgpr_workgroup_id_y 0
		.amdhsa_system_sgpr_workgroup_id_z 0
		.amdhsa_system_sgpr_workgroup_info 0
		.amdhsa_system_vgpr_workitem_id 0
		.amdhsa_next_free_vgpr 1
		.amdhsa_next_free_sgpr 1
		.amdhsa_named_barrier_count 0
		.amdhsa_reserve_vcc 0
		.amdhsa_float_round_mode_32 0
		.amdhsa_float_round_mode_16_64 0
		.amdhsa_float_denorm_mode_32 3
		.amdhsa_float_denorm_mode_16_64 3
		.amdhsa_fp16_overflow 0
		.amdhsa_memory_ordered 1
		.amdhsa_forward_progress 1
		.amdhsa_inst_pref_size 0
		.amdhsa_round_robin_scheduling 0
		.amdhsa_exception_fp_ieee_invalid_op 0
		.amdhsa_exception_fp_denorm_src 0
		.amdhsa_exception_fp_ieee_div_zero 0
		.amdhsa_exception_fp_ieee_overflow 0
		.amdhsa_exception_fp_ieee_underflow 0
		.amdhsa_exception_fp_ieee_inexact 0
		.amdhsa_exception_int_div_zero 0
	.end_amdhsa_kernel
	.section	.text._ZN7rocprim17ROCPRIM_400000_NS6detail17trampoline_kernelINS0_14default_configENS1_38merge_sort_block_merge_config_selectorIfNS0_10empty_typeEEEZZNS1_27merge_sort_block_merge_implIS3_PfPS5_jNS1_19radix_merge_compareILb0ELb0EfNS0_19identity_decomposerEEEEE10hipError_tT0_T1_T2_jT3_P12ihipStream_tbPNSt15iterator_traitsISE_E10value_typeEPNSK_ISF_E10value_typeEPSG_NS1_7vsmem_tEENKUlT_SE_SF_SG_E_clIS8_S8_S9_S9_EESD_ST_SE_SF_SG_EUlST_E_NS1_11comp_targetILNS1_3genE10ELNS1_11target_archE1201ELNS1_3gpuE5ELNS1_3repE0EEENS1_48merge_mergepath_partition_config_static_selectorELNS0_4arch9wavefront6targetE0EEEvSF_,"axG",@progbits,_ZN7rocprim17ROCPRIM_400000_NS6detail17trampoline_kernelINS0_14default_configENS1_38merge_sort_block_merge_config_selectorIfNS0_10empty_typeEEEZZNS1_27merge_sort_block_merge_implIS3_PfPS5_jNS1_19radix_merge_compareILb0ELb0EfNS0_19identity_decomposerEEEEE10hipError_tT0_T1_T2_jT3_P12ihipStream_tbPNSt15iterator_traitsISE_E10value_typeEPNSK_ISF_E10value_typeEPSG_NS1_7vsmem_tEENKUlT_SE_SF_SG_E_clIS8_S8_S9_S9_EESD_ST_SE_SF_SG_EUlST_E_NS1_11comp_targetILNS1_3genE10ELNS1_11target_archE1201ELNS1_3gpuE5ELNS1_3repE0EEENS1_48merge_mergepath_partition_config_static_selectorELNS0_4arch9wavefront6targetE0EEEvSF_,comdat
.Lfunc_end1365:
	.size	_ZN7rocprim17ROCPRIM_400000_NS6detail17trampoline_kernelINS0_14default_configENS1_38merge_sort_block_merge_config_selectorIfNS0_10empty_typeEEEZZNS1_27merge_sort_block_merge_implIS3_PfPS5_jNS1_19radix_merge_compareILb0ELb0EfNS0_19identity_decomposerEEEEE10hipError_tT0_T1_T2_jT3_P12ihipStream_tbPNSt15iterator_traitsISE_E10value_typeEPNSK_ISF_E10value_typeEPSG_NS1_7vsmem_tEENKUlT_SE_SF_SG_E_clIS8_S8_S9_S9_EESD_ST_SE_SF_SG_EUlST_E_NS1_11comp_targetILNS1_3genE10ELNS1_11target_archE1201ELNS1_3gpuE5ELNS1_3repE0EEENS1_48merge_mergepath_partition_config_static_selectorELNS0_4arch9wavefront6targetE0EEEvSF_, .Lfunc_end1365-_ZN7rocprim17ROCPRIM_400000_NS6detail17trampoline_kernelINS0_14default_configENS1_38merge_sort_block_merge_config_selectorIfNS0_10empty_typeEEEZZNS1_27merge_sort_block_merge_implIS3_PfPS5_jNS1_19radix_merge_compareILb0ELb0EfNS0_19identity_decomposerEEEEE10hipError_tT0_T1_T2_jT3_P12ihipStream_tbPNSt15iterator_traitsISE_E10value_typeEPNSK_ISF_E10value_typeEPSG_NS1_7vsmem_tEENKUlT_SE_SF_SG_E_clIS8_S8_S9_S9_EESD_ST_SE_SF_SG_EUlST_E_NS1_11comp_targetILNS1_3genE10ELNS1_11target_archE1201ELNS1_3gpuE5ELNS1_3repE0EEENS1_48merge_mergepath_partition_config_static_selectorELNS0_4arch9wavefront6targetE0EEEvSF_
                                        ; -- End function
	.set _ZN7rocprim17ROCPRIM_400000_NS6detail17trampoline_kernelINS0_14default_configENS1_38merge_sort_block_merge_config_selectorIfNS0_10empty_typeEEEZZNS1_27merge_sort_block_merge_implIS3_PfPS5_jNS1_19radix_merge_compareILb0ELb0EfNS0_19identity_decomposerEEEEE10hipError_tT0_T1_T2_jT3_P12ihipStream_tbPNSt15iterator_traitsISE_E10value_typeEPNSK_ISF_E10value_typeEPSG_NS1_7vsmem_tEENKUlT_SE_SF_SG_E_clIS8_S8_S9_S9_EESD_ST_SE_SF_SG_EUlST_E_NS1_11comp_targetILNS1_3genE10ELNS1_11target_archE1201ELNS1_3gpuE5ELNS1_3repE0EEENS1_48merge_mergepath_partition_config_static_selectorELNS0_4arch9wavefront6targetE0EEEvSF_.num_vgpr, 0
	.set _ZN7rocprim17ROCPRIM_400000_NS6detail17trampoline_kernelINS0_14default_configENS1_38merge_sort_block_merge_config_selectorIfNS0_10empty_typeEEEZZNS1_27merge_sort_block_merge_implIS3_PfPS5_jNS1_19radix_merge_compareILb0ELb0EfNS0_19identity_decomposerEEEEE10hipError_tT0_T1_T2_jT3_P12ihipStream_tbPNSt15iterator_traitsISE_E10value_typeEPNSK_ISF_E10value_typeEPSG_NS1_7vsmem_tEENKUlT_SE_SF_SG_E_clIS8_S8_S9_S9_EESD_ST_SE_SF_SG_EUlST_E_NS1_11comp_targetILNS1_3genE10ELNS1_11target_archE1201ELNS1_3gpuE5ELNS1_3repE0EEENS1_48merge_mergepath_partition_config_static_selectorELNS0_4arch9wavefront6targetE0EEEvSF_.num_agpr, 0
	.set _ZN7rocprim17ROCPRIM_400000_NS6detail17trampoline_kernelINS0_14default_configENS1_38merge_sort_block_merge_config_selectorIfNS0_10empty_typeEEEZZNS1_27merge_sort_block_merge_implIS3_PfPS5_jNS1_19radix_merge_compareILb0ELb0EfNS0_19identity_decomposerEEEEE10hipError_tT0_T1_T2_jT3_P12ihipStream_tbPNSt15iterator_traitsISE_E10value_typeEPNSK_ISF_E10value_typeEPSG_NS1_7vsmem_tEENKUlT_SE_SF_SG_E_clIS8_S8_S9_S9_EESD_ST_SE_SF_SG_EUlST_E_NS1_11comp_targetILNS1_3genE10ELNS1_11target_archE1201ELNS1_3gpuE5ELNS1_3repE0EEENS1_48merge_mergepath_partition_config_static_selectorELNS0_4arch9wavefront6targetE0EEEvSF_.numbered_sgpr, 0
	.set _ZN7rocprim17ROCPRIM_400000_NS6detail17trampoline_kernelINS0_14default_configENS1_38merge_sort_block_merge_config_selectorIfNS0_10empty_typeEEEZZNS1_27merge_sort_block_merge_implIS3_PfPS5_jNS1_19radix_merge_compareILb0ELb0EfNS0_19identity_decomposerEEEEE10hipError_tT0_T1_T2_jT3_P12ihipStream_tbPNSt15iterator_traitsISE_E10value_typeEPNSK_ISF_E10value_typeEPSG_NS1_7vsmem_tEENKUlT_SE_SF_SG_E_clIS8_S8_S9_S9_EESD_ST_SE_SF_SG_EUlST_E_NS1_11comp_targetILNS1_3genE10ELNS1_11target_archE1201ELNS1_3gpuE5ELNS1_3repE0EEENS1_48merge_mergepath_partition_config_static_selectorELNS0_4arch9wavefront6targetE0EEEvSF_.num_named_barrier, 0
	.set _ZN7rocprim17ROCPRIM_400000_NS6detail17trampoline_kernelINS0_14default_configENS1_38merge_sort_block_merge_config_selectorIfNS0_10empty_typeEEEZZNS1_27merge_sort_block_merge_implIS3_PfPS5_jNS1_19radix_merge_compareILb0ELb0EfNS0_19identity_decomposerEEEEE10hipError_tT0_T1_T2_jT3_P12ihipStream_tbPNSt15iterator_traitsISE_E10value_typeEPNSK_ISF_E10value_typeEPSG_NS1_7vsmem_tEENKUlT_SE_SF_SG_E_clIS8_S8_S9_S9_EESD_ST_SE_SF_SG_EUlST_E_NS1_11comp_targetILNS1_3genE10ELNS1_11target_archE1201ELNS1_3gpuE5ELNS1_3repE0EEENS1_48merge_mergepath_partition_config_static_selectorELNS0_4arch9wavefront6targetE0EEEvSF_.private_seg_size, 0
	.set _ZN7rocprim17ROCPRIM_400000_NS6detail17trampoline_kernelINS0_14default_configENS1_38merge_sort_block_merge_config_selectorIfNS0_10empty_typeEEEZZNS1_27merge_sort_block_merge_implIS3_PfPS5_jNS1_19radix_merge_compareILb0ELb0EfNS0_19identity_decomposerEEEEE10hipError_tT0_T1_T2_jT3_P12ihipStream_tbPNSt15iterator_traitsISE_E10value_typeEPNSK_ISF_E10value_typeEPSG_NS1_7vsmem_tEENKUlT_SE_SF_SG_E_clIS8_S8_S9_S9_EESD_ST_SE_SF_SG_EUlST_E_NS1_11comp_targetILNS1_3genE10ELNS1_11target_archE1201ELNS1_3gpuE5ELNS1_3repE0EEENS1_48merge_mergepath_partition_config_static_selectorELNS0_4arch9wavefront6targetE0EEEvSF_.uses_vcc, 0
	.set _ZN7rocprim17ROCPRIM_400000_NS6detail17trampoline_kernelINS0_14default_configENS1_38merge_sort_block_merge_config_selectorIfNS0_10empty_typeEEEZZNS1_27merge_sort_block_merge_implIS3_PfPS5_jNS1_19radix_merge_compareILb0ELb0EfNS0_19identity_decomposerEEEEE10hipError_tT0_T1_T2_jT3_P12ihipStream_tbPNSt15iterator_traitsISE_E10value_typeEPNSK_ISF_E10value_typeEPSG_NS1_7vsmem_tEENKUlT_SE_SF_SG_E_clIS8_S8_S9_S9_EESD_ST_SE_SF_SG_EUlST_E_NS1_11comp_targetILNS1_3genE10ELNS1_11target_archE1201ELNS1_3gpuE5ELNS1_3repE0EEENS1_48merge_mergepath_partition_config_static_selectorELNS0_4arch9wavefront6targetE0EEEvSF_.uses_flat_scratch, 0
	.set _ZN7rocprim17ROCPRIM_400000_NS6detail17trampoline_kernelINS0_14default_configENS1_38merge_sort_block_merge_config_selectorIfNS0_10empty_typeEEEZZNS1_27merge_sort_block_merge_implIS3_PfPS5_jNS1_19radix_merge_compareILb0ELb0EfNS0_19identity_decomposerEEEEE10hipError_tT0_T1_T2_jT3_P12ihipStream_tbPNSt15iterator_traitsISE_E10value_typeEPNSK_ISF_E10value_typeEPSG_NS1_7vsmem_tEENKUlT_SE_SF_SG_E_clIS8_S8_S9_S9_EESD_ST_SE_SF_SG_EUlST_E_NS1_11comp_targetILNS1_3genE10ELNS1_11target_archE1201ELNS1_3gpuE5ELNS1_3repE0EEENS1_48merge_mergepath_partition_config_static_selectorELNS0_4arch9wavefront6targetE0EEEvSF_.has_dyn_sized_stack, 0
	.set _ZN7rocprim17ROCPRIM_400000_NS6detail17trampoline_kernelINS0_14default_configENS1_38merge_sort_block_merge_config_selectorIfNS0_10empty_typeEEEZZNS1_27merge_sort_block_merge_implIS3_PfPS5_jNS1_19radix_merge_compareILb0ELb0EfNS0_19identity_decomposerEEEEE10hipError_tT0_T1_T2_jT3_P12ihipStream_tbPNSt15iterator_traitsISE_E10value_typeEPNSK_ISF_E10value_typeEPSG_NS1_7vsmem_tEENKUlT_SE_SF_SG_E_clIS8_S8_S9_S9_EESD_ST_SE_SF_SG_EUlST_E_NS1_11comp_targetILNS1_3genE10ELNS1_11target_archE1201ELNS1_3gpuE5ELNS1_3repE0EEENS1_48merge_mergepath_partition_config_static_selectorELNS0_4arch9wavefront6targetE0EEEvSF_.has_recursion, 0
	.set _ZN7rocprim17ROCPRIM_400000_NS6detail17trampoline_kernelINS0_14default_configENS1_38merge_sort_block_merge_config_selectorIfNS0_10empty_typeEEEZZNS1_27merge_sort_block_merge_implIS3_PfPS5_jNS1_19radix_merge_compareILb0ELb0EfNS0_19identity_decomposerEEEEE10hipError_tT0_T1_T2_jT3_P12ihipStream_tbPNSt15iterator_traitsISE_E10value_typeEPNSK_ISF_E10value_typeEPSG_NS1_7vsmem_tEENKUlT_SE_SF_SG_E_clIS8_S8_S9_S9_EESD_ST_SE_SF_SG_EUlST_E_NS1_11comp_targetILNS1_3genE10ELNS1_11target_archE1201ELNS1_3gpuE5ELNS1_3repE0EEENS1_48merge_mergepath_partition_config_static_selectorELNS0_4arch9wavefront6targetE0EEEvSF_.has_indirect_call, 0
	.section	.AMDGPU.csdata,"",@progbits
; Kernel info:
; codeLenInByte = 0
; TotalNumSgprs: 0
; NumVgprs: 0
; ScratchSize: 0
; MemoryBound: 0
; FloatMode: 240
; IeeeMode: 1
; LDSByteSize: 0 bytes/workgroup (compile time only)
; SGPRBlocks: 0
; VGPRBlocks: 0
; NumSGPRsForWavesPerEU: 1
; NumVGPRsForWavesPerEU: 1
; NamedBarCnt: 0
; Occupancy: 16
; WaveLimiterHint : 0
; COMPUTE_PGM_RSRC2:SCRATCH_EN: 0
; COMPUTE_PGM_RSRC2:USER_SGPR: 2
; COMPUTE_PGM_RSRC2:TRAP_HANDLER: 0
; COMPUTE_PGM_RSRC2:TGID_X_EN: 1
; COMPUTE_PGM_RSRC2:TGID_Y_EN: 0
; COMPUTE_PGM_RSRC2:TGID_Z_EN: 0
; COMPUTE_PGM_RSRC2:TIDIG_COMP_CNT: 0
	.section	.text._ZN7rocprim17ROCPRIM_400000_NS6detail17trampoline_kernelINS0_14default_configENS1_38merge_sort_block_merge_config_selectorIfNS0_10empty_typeEEEZZNS1_27merge_sort_block_merge_implIS3_PfPS5_jNS1_19radix_merge_compareILb0ELb0EfNS0_19identity_decomposerEEEEE10hipError_tT0_T1_T2_jT3_P12ihipStream_tbPNSt15iterator_traitsISE_E10value_typeEPNSK_ISF_E10value_typeEPSG_NS1_7vsmem_tEENKUlT_SE_SF_SG_E_clIS8_S8_S9_S9_EESD_ST_SE_SF_SG_EUlST_E_NS1_11comp_targetILNS1_3genE5ELNS1_11target_archE942ELNS1_3gpuE9ELNS1_3repE0EEENS1_48merge_mergepath_partition_config_static_selectorELNS0_4arch9wavefront6targetE0EEEvSF_,"axG",@progbits,_ZN7rocprim17ROCPRIM_400000_NS6detail17trampoline_kernelINS0_14default_configENS1_38merge_sort_block_merge_config_selectorIfNS0_10empty_typeEEEZZNS1_27merge_sort_block_merge_implIS3_PfPS5_jNS1_19radix_merge_compareILb0ELb0EfNS0_19identity_decomposerEEEEE10hipError_tT0_T1_T2_jT3_P12ihipStream_tbPNSt15iterator_traitsISE_E10value_typeEPNSK_ISF_E10value_typeEPSG_NS1_7vsmem_tEENKUlT_SE_SF_SG_E_clIS8_S8_S9_S9_EESD_ST_SE_SF_SG_EUlST_E_NS1_11comp_targetILNS1_3genE5ELNS1_11target_archE942ELNS1_3gpuE9ELNS1_3repE0EEENS1_48merge_mergepath_partition_config_static_selectorELNS0_4arch9wavefront6targetE0EEEvSF_,comdat
	.protected	_ZN7rocprim17ROCPRIM_400000_NS6detail17trampoline_kernelINS0_14default_configENS1_38merge_sort_block_merge_config_selectorIfNS0_10empty_typeEEEZZNS1_27merge_sort_block_merge_implIS3_PfPS5_jNS1_19radix_merge_compareILb0ELb0EfNS0_19identity_decomposerEEEEE10hipError_tT0_T1_T2_jT3_P12ihipStream_tbPNSt15iterator_traitsISE_E10value_typeEPNSK_ISF_E10value_typeEPSG_NS1_7vsmem_tEENKUlT_SE_SF_SG_E_clIS8_S8_S9_S9_EESD_ST_SE_SF_SG_EUlST_E_NS1_11comp_targetILNS1_3genE5ELNS1_11target_archE942ELNS1_3gpuE9ELNS1_3repE0EEENS1_48merge_mergepath_partition_config_static_selectorELNS0_4arch9wavefront6targetE0EEEvSF_ ; -- Begin function _ZN7rocprim17ROCPRIM_400000_NS6detail17trampoline_kernelINS0_14default_configENS1_38merge_sort_block_merge_config_selectorIfNS0_10empty_typeEEEZZNS1_27merge_sort_block_merge_implIS3_PfPS5_jNS1_19radix_merge_compareILb0ELb0EfNS0_19identity_decomposerEEEEE10hipError_tT0_T1_T2_jT3_P12ihipStream_tbPNSt15iterator_traitsISE_E10value_typeEPNSK_ISF_E10value_typeEPSG_NS1_7vsmem_tEENKUlT_SE_SF_SG_E_clIS8_S8_S9_S9_EESD_ST_SE_SF_SG_EUlST_E_NS1_11comp_targetILNS1_3genE5ELNS1_11target_archE942ELNS1_3gpuE9ELNS1_3repE0EEENS1_48merge_mergepath_partition_config_static_selectorELNS0_4arch9wavefront6targetE0EEEvSF_
	.globl	_ZN7rocprim17ROCPRIM_400000_NS6detail17trampoline_kernelINS0_14default_configENS1_38merge_sort_block_merge_config_selectorIfNS0_10empty_typeEEEZZNS1_27merge_sort_block_merge_implIS3_PfPS5_jNS1_19radix_merge_compareILb0ELb0EfNS0_19identity_decomposerEEEEE10hipError_tT0_T1_T2_jT3_P12ihipStream_tbPNSt15iterator_traitsISE_E10value_typeEPNSK_ISF_E10value_typeEPSG_NS1_7vsmem_tEENKUlT_SE_SF_SG_E_clIS8_S8_S9_S9_EESD_ST_SE_SF_SG_EUlST_E_NS1_11comp_targetILNS1_3genE5ELNS1_11target_archE942ELNS1_3gpuE9ELNS1_3repE0EEENS1_48merge_mergepath_partition_config_static_selectorELNS0_4arch9wavefront6targetE0EEEvSF_
	.p2align	8
	.type	_ZN7rocprim17ROCPRIM_400000_NS6detail17trampoline_kernelINS0_14default_configENS1_38merge_sort_block_merge_config_selectorIfNS0_10empty_typeEEEZZNS1_27merge_sort_block_merge_implIS3_PfPS5_jNS1_19radix_merge_compareILb0ELb0EfNS0_19identity_decomposerEEEEE10hipError_tT0_T1_T2_jT3_P12ihipStream_tbPNSt15iterator_traitsISE_E10value_typeEPNSK_ISF_E10value_typeEPSG_NS1_7vsmem_tEENKUlT_SE_SF_SG_E_clIS8_S8_S9_S9_EESD_ST_SE_SF_SG_EUlST_E_NS1_11comp_targetILNS1_3genE5ELNS1_11target_archE942ELNS1_3gpuE9ELNS1_3repE0EEENS1_48merge_mergepath_partition_config_static_selectorELNS0_4arch9wavefront6targetE0EEEvSF_,@function
_ZN7rocprim17ROCPRIM_400000_NS6detail17trampoline_kernelINS0_14default_configENS1_38merge_sort_block_merge_config_selectorIfNS0_10empty_typeEEEZZNS1_27merge_sort_block_merge_implIS3_PfPS5_jNS1_19radix_merge_compareILb0ELb0EfNS0_19identity_decomposerEEEEE10hipError_tT0_T1_T2_jT3_P12ihipStream_tbPNSt15iterator_traitsISE_E10value_typeEPNSK_ISF_E10value_typeEPSG_NS1_7vsmem_tEENKUlT_SE_SF_SG_E_clIS8_S8_S9_S9_EESD_ST_SE_SF_SG_EUlST_E_NS1_11comp_targetILNS1_3genE5ELNS1_11target_archE942ELNS1_3gpuE9ELNS1_3repE0EEENS1_48merge_mergepath_partition_config_static_selectorELNS0_4arch9wavefront6targetE0EEEvSF_: ; @_ZN7rocprim17ROCPRIM_400000_NS6detail17trampoline_kernelINS0_14default_configENS1_38merge_sort_block_merge_config_selectorIfNS0_10empty_typeEEEZZNS1_27merge_sort_block_merge_implIS3_PfPS5_jNS1_19radix_merge_compareILb0ELb0EfNS0_19identity_decomposerEEEEE10hipError_tT0_T1_T2_jT3_P12ihipStream_tbPNSt15iterator_traitsISE_E10value_typeEPNSK_ISF_E10value_typeEPSG_NS1_7vsmem_tEENKUlT_SE_SF_SG_E_clIS8_S8_S9_S9_EESD_ST_SE_SF_SG_EUlST_E_NS1_11comp_targetILNS1_3genE5ELNS1_11target_archE942ELNS1_3gpuE9ELNS1_3repE0EEENS1_48merge_mergepath_partition_config_static_selectorELNS0_4arch9wavefront6targetE0EEEvSF_
; %bb.0:
	.section	.rodata,"a",@progbits
	.p2align	6, 0x0
	.amdhsa_kernel _ZN7rocprim17ROCPRIM_400000_NS6detail17trampoline_kernelINS0_14default_configENS1_38merge_sort_block_merge_config_selectorIfNS0_10empty_typeEEEZZNS1_27merge_sort_block_merge_implIS3_PfPS5_jNS1_19radix_merge_compareILb0ELb0EfNS0_19identity_decomposerEEEEE10hipError_tT0_T1_T2_jT3_P12ihipStream_tbPNSt15iterator_traitsISE_E10value_typeEPNSK_ISF_E10value_typeEPSG_NS1_7vsmem_tEENKUlT_SE_SF_SG_E_clIS8_S8_S9_S9_EESD_ST_SE_SF_SG_EUlST_E_NS1_11comp_targetILNS1_3genE5ELNS1_11target_archE942ELNS1_3gpuE9ELNS1_3repE0EEENS1_48merge_mergepath_partition_config_static_selectorELNS0_4arch9wavefront6targetE0EEEvSF_
		.amdhsa_group_segment_fixed_size 0
		.amdhsa_private_segment_fixed_size 0
		.amdhsa_kernarg_size 40
		.amdhsa_user_sgpr_count 2
		.amdhsa_user_sgpr_dispatch_ptr 0
		.amdhsa_user_sgpr_queue_ptr 0
		.amdhsa_user_sgpr_kernarg_segment_ptr 1
		.amdhsa_user_sgpr_dispatch_id 0
		.amdhsa_user_sgpr_kernarg_preload_length 0
		.amdhsa_user_sgpr_kernarg_preload_offset 0
		.amdhsa_user_sgpr_private_segment_size 0
		.amdhsa_wavefront_size32 1
		.amdhsa_uses_dynamic_stack 0
		.amdhsa_enable_private_segment 0
		.amdhsa_system_sgpr_workgroup_id_x 1
		.amdhsa_system_sgpr_workgroup_id_y 0
		.amdhsa_system_sgpr_workgroup_id_z 0
		.amdhsa_system_sgpr_workgroup_info 0
		.amdhsa_system_vgpr_workitem_id 0
		.amdhsa_next_free_vgpr 1
		.amdhsa_next_free_sgpr 1
		.amdhsa_named_barrier_count 0
		.amdhsa_reserve_vcc 0
		.amdhsa_float_round_mode_32 0
		.amdhsa_float_round_mode_16_64 0
		.amdhsa_float_denorm_mode_32 3
		.amdhsa_float_denorm_mode_16_64 3
		.amdhsa_fp16_overflow 0
		.amdhsa_memory_ordered 1
		.amdhsa_forward_progress 1
		.amdhsa_inst_pref_size 0
		.amdhsa_round_robin_scheduling 0
		.amdhsa_exception_fp_ieee_invalid_op 0
		.amdhsa_exception_fp_denorm_src 0
		.amdhsa_exception_fp_ieee_div_zero 0
		.amdhsa_exception_fp_ieee_overflow 0
		.amdhsa_exception_fp_ieee_underflow 0
		.amdhsa_exception_fp_ieee_inexact 0
		.amdhsa_exception_int_div_zero 0
	.end_amdhsa_kernel
	.section	.text._ZN7rocprim17ROCPRIM_400000_NS6detail17trampoline_kernelINS0_14default_configENS1_38merge_sort_block_merge_config_selectorIfNS0_10empty_typeEEEZZNS1_27merge_sort_block_merge_implIS3_PfPS5_jNS1_19radix_merge_compareILb0ELb0EfNS0_19identity_decomposerEEEEE10hipError_tT0_T1_T2_jT3_P12ihipStream_tbPNSt15iterator_traitsISE_E10value_typeEPNSK_ISF_E10value_typeEPSG_NS1_7vsmem_tEENKUlT_SE_SF_SG_E_clIS8_S8_S9_S9_EESD_ST_SE_SF_SG_EUlST_E_NS1_11comp_targetILNS1_3genE5ELNS1_11target_archE942ELNS1_3gpuE9ELNS1_3repE0EEENS1_48merge_mergepath_partition_config_static_selectorELNS0_4arch9wavefront6targetE0EEEvSF_,"axG",@progbits,_ZN7rocprim17ROCPRIM_400000_NS6detail17trampoline_kernelINS0_14default_configENS1_38merge_sort_block_merge_config_selectorIfNS0_10empty_typeEEEZZNS1_27merge_sort_block_merge_implIS3_PfPS5_jNS1_19radix_merge_compareILb0ELb0EfNS0_19identity_decomposerEEEEE10hipError_tT0_T1_T2_jT3_P12ihipStream_tbPNSt15iterator_traitsISE_E10value_typeEPNSK_ISF_E10value_typeEPSG_NS1_7vsmem_tEENKUlT_SE_SF_SG_E_clIS8_S8_S9_S9_EESD_ST_SE_SF_SG_EUlST_E_NS1_11comp_targetILNS1_3genE5ELNS1_11target_archE942ELNS1_3gpuE9ELNS1_3repE0EEENS1_48merge_mergepath_partition_config_static_selectorELNS0_4arch9wavefront6targetE0EEEvSF_,comdat
.Lfunc_end1366:
	.size	_ZN7rocprim17ROCPRIM_400000_NS6detail17trampoline_kernelINS0_14default_configENS1_38merge_sort_block_merge_config_selectorIfNS0_10empty_typeEEEZZNS1_27merge_sort_block_merge_implIS3_PfPS5_jNS1_19radix_merge_compareILb0ELb0EfNS0_19identity_decomposerEEEEE10hipError_tT0_T1_T2_jT3_P12ihipStream_tbPNSt15iterator_traitsISE_E10value_typeEPNSK_ISF_E10value_typeEPSG_NS1_7vsmem_tEENKUlT_SE_SF_SG_E_clIS8_S8_S9_S9_EESD_ST_SE_SF_SG_EUlST_E_NS1_11comp_targetILNS1_3genE5ELNS1_11target_archE942ELNS1_3gpuE9ELNS1_3repE0EEENS1_48merge_mergepath_partition_config_static_selectorELNS0_4arch9wavefront6targetE0EEEvSF_, .Lfunc_end1366-_ZN7rocprim17ROCPRIM_400000_NS6detail17trampoline_kernelINS0_14default_configENS1_38merge_sort_block_merge_config_selectorIfNS0_10empty_typeEEEZZNS1_27merge_sort_block_merge_implIS3_PfPS5_jNS1_19radix_merge_compareILb0ELb0EfNS0_19identity_decomposerEEEEE10hipError_tT0_T1_T2_jT3_P12ihipStream_tbPNSt15iterator_traitsISE_E10value_typeEPNSK_ISF_E10value_typeEPSG_NS1_7vsmem_tEENKUlT_SE_SF_SG_E_clIS8_S8_S9_S9_EESD_ST_SE_SF_SG_EUlST_E_NS1_11comp_targetILNS1_3genE5ELNS1_11target_archE942ELNS1_3gpuE9ELNS1_3repE0EEENS1_48merge_mergepath_partition_config_static_selectorELNS0_4arch9wavefront6targetE0EEEvSF_
                                        ; -- End function
	.set _ZN7rocprim17ROCPRIM_400000_NS6detail17trampoline_kernelINS0_14default_configENS1_38merge_sort_block_merge_config_selectorIfNS0_10empty_typeEEEZZNS1_27merge_sort_block_merge_implIS3_PfPS5_jNS1_19radix_merge_compareILb0ELb0EfNS0_19identity_decomposerEEEEE10hipError_tT0_T1_T2_jT3_P12ihipStream_tbPNSt15iterator_traitsISE_E10value_typeEPNSK_ISF_E10value_typeEPSG_NS1_7vsmem_tEENKUlT_SE_SF_SG_E_clIS8_S8_S9_S9_EESD_ST_SE_SF_SG_EUlST_E_NS1_11comp_targetILNS1_3genE5ELNS1_11target_archE942ELNS1_3gpuE9ELNS1_3repE0EEENS1_48merge_mergepath_partition_config_static_selectorELNS0_4arch9wavefront6targetE0EEEvSF_.num_vgpr, 0
	.set _ZN7rocprim17ROCPRIM_400000_NS6detail17trampoline_kernelINS0_14default_configENS1_38merge_sort_block_merge_config_selectorIfNS0_10empty_typeEEEZZNS1_27merge_sort_block_merge_implIS3_PfPS5_jNS1_19radix_merge_compareILb0ELb0EfNS0_19identity_decomposerEEEEE10hipError_tT0_T1_T2_jT3_P12ihipStream_tbPNSt15iterator_traitsISE_E10value_typeEPNSK_ISF_E10value_typeEPSG_NS1_7vsmem_tEENKUlT_SE_SF_SG_E_clIS8_S8_S9_S9_EESD_ST_SE_SF_SG_EUlST_E_NS1_11comp_targetILNS1_3genE5ELNS1_11target_archE942ELNS1_3gpuE9ELNS1_3repE0EEENS1_48merge_mergepath_partition_config_static_selectorELNS0_4arch9wavefront6targetE0EEEvSF_.num_agpr, 0
	.set _ZN7rocprim17ROCPRIM_400000_NS6detail17trampoline_kernelINS0_14default_configENS1_38merge_sort_block_merge_config_selectorIfNS0_10empty_typeEEEZZNS1_27merge_sort_block_merge_implIS3_PfPS5_jNS1_19radix_merge_compareILb0ELb0EfNS0_19identity_decomposerEEEEE10hipError_tT0_T1_T2_jT3_P12ihipStream_tbPNSt15iterator_traitsISE_E10value_typeEPNSK_ISF_E10value_typeEPSG_NS1_7vsmem_tEENKUlT_SE_SF_SG_E_clIS8_S8_S9_S9_EESD_ST_SE_SF_SG_EUlST_E_NS1_11comp_targetILNS1_3genE5ELNS1_11target_archE942ELNS1_3gpuE9ELNS1_3repE0EEENS1_48merge_mergepath_partition_config_static_selectorELNS0_4arch9wavefront6targetE0EEEvSF_.numbered_sgpr, 0
	.set _ZN7rocprim17ROCPRIM_400000_NS6detail17trampoline_kernelINS0_14default_configENS1_38merge_sort_block_merge_config_selectorIfNS0_10empty_typeEEEZZNS1_27merge_sort_block_merge_implIS3_PfPS5_jNS1_19radix_merge_compareILb0ELb0EfNS0_19identity_decomposerEEEEE10hipError_tT0_T1_T2_jT3_P12ihipStream_tbPNSt15iterator_traitsISE_E10value_typeEPNSK_ISF_E10value_typeEPSG_NS1_7vsmem_tEENKUlT_SE_SF_SG_E_clIS8_S8_S9_S9_EESD_ST_SE_SF_SG_EUlST_E_NS1_11comp_targetILNS1_3genE5ELNS1_11target_archE942ELNS1_3gpuE9ELNS1_3repE0EEENS1_48merge_mergepath_partition_config_static_selectorELNS0_4arch9wavefront6targetE0EEEvSF_.num_named_barrier, 0
	.set _ZN7rocprim17ROCPRIM_400000_NS6detail17trampoline_kernelINS0_14default_configENS1_38merge_sort_block_merge_config_selectorIfNS0_10empty_typeEEEZZNS1_27merge_sort_block_merge_implIS3_PfPS5_jNS1_19radix_merge_compareILb0ELb0EfNS0_19identity_decomposerEEEEE10hipError_tT0_T1_T2_jT3_P12ihipStream_tbPNSt15iterator_traitsISE_E10value_typeEPNSK_ISF_E10value_typeEPSG_NS1_7vsmem_tEENKUlT_SE_SF_SG_E_clIS8_S8_S9_S9_EESD_ST_SE_SF_SG_EUlST_E_NS1_11comp_targetILNS1_3genE5ELNS1_11target_archE942ELNS1_3gpuE9ELNS1_3repE0EEENS1_48merge_mergepath_partition_config_static_selectorELNS0_4arch9wavefront6targetE0EEEvSF_.private_seg_size, 0
	.set _ZN7rocprim17ROCPRIM_400000_NS6detail17trampoline_kernelINS0_14default_configENS1_38merge_sort_block_merge_config_selectorIfNS0_10empty_typeEEEZZNS1_27merge_sort_block_merge_implIS3_PfPS5_jNS1_19radix_merge_compareILb0ELb0EfNS0_19identity_decomposerEEEEE10hipError_tT0_T1_T2_jT3_P12ihipStream_tbPNSt15iterator_traitsISE_E10value_typeEPNSK_ISF_E10value_typeEPSG_NS1_7vsmem_tEENKUlT_SE_SF_SG_E_clIS8_S8_S9_S9_EESD_ST_SE_SF_SG_EUlST_E_NS1_11comp_targetILNS1_3genE5ELNS1_11target_archE942ELNS1_3gpuE9ELNS1_3repE0EEENS1_48merge_mergepath_partition_config_static_selectorELNS0_4arch9wavefront6targetE0EEEvSF_.uses_vcc, 0
	.set _ZN7rocprim17ROCPRIM_400000_NS6detail17trampoline_kernelINS0_14default_configENS1_38merge_sort_block_merge_config_selectorIfNS0_10empty_typeEEEZZNS1_27merge_sort_block_merge_implIS3_PfPS5_jNS1_19radix_merge_compareILb0ELb0EfNS0_19identity_decomposerEEEEE10hipError_tT0_T1_T2_jT3_P12ihipStream_tbPNSt15iterator_traitsISE_E10value_typeEPNSK_ISF_E10value_typeEPSG_NS1_7vsmem_tEENKUlT_SE_SF_SG_E_clIS8_S8_S9_S9_EESD_ST_SE_SF_SG_EUlST_E_NS1_11comp_targetILNS1_3genE5ELNS1_11target_archE942ELNS1_3gpuE9ELNS1_3repE0EEENS1_48merge_mergepath_partition_config_static_selectorELNS0_4arch9wavefront6targetE0EEEvSF_.uses_flat_scratch, 0
	.set _ZN7rocprim17ROCPRIM_400000_NS6detail17trampoline_kernelINS0_14default_configENS1_38merge_sort_block_merge_config_selectorIfNS0_10empty_typeEEEZZNS1_27merge_sort_block_merge_implIS3_PfPS5_jNS1_19radix_merge_compareILb0ELb0EfNS0_19identity_decomposerEEEEE10hipError_tT0_T1_T2_jT3_P12ihipStream_tbPNSt15iterator_traitsISE_E10value_typeEPNSK_ISF_E10value_typeEPSG_NS1_7vsmem_tEENKUlT_SE_SF_SG_E_clIS8_S8_S9_S9_EESD_ST_SE_SF_SG_EUlST_E_NS1_11comp_targetILNS1_3genE5ELNS1_11target_archE942ELNS1_3gpuE9ELNS1_3repE0EEENS1_48merge_mergepath_partition_config_static_selectorELNS0_4arch9wavefront6targetE0EEEvSF_.has_dyn_sized_stack, 0
	.set _ZN7rocprim17ROCPRIM_400000_NS6detail17trampoline_kernelINS0_14default_configENS1_38merge_sort_block_merge_config_selectorIfNS0_10empty_typeEEEZZNS1_27merge_sort_block_merge_implIS3_PfPS5_jNS1_19radix_merge_compareILb0ELb0EfNS0_19identity_decomposerEEEEE10hipError_tT0_T1_T2_jT3_P12ihipStream_tbPNSt15iterator_traitsISE_E10value_typeEPNSK_ISF_E10value_typeEPSG_NS1_7vsmem_tEENKUlT_SE_SF_SG_E_clIS8_S8_S9_S9_EESD_ST_SE_SF_SG_EUlST_E_NS1_11comp_targetILNS1_3genE5ELNS1_11target_archE942ELNS1_3gpuE9ELNS1_3repE0EEENS1_48merge_mergepath_partition_config_static_selectorELNS0_4arch9wavefront6targetE0EEEvSF_.has_recursion, 0
	.set _ZN7rocprim17ROCPRIM_400000_NS6detail17trampoline_kernelINS0_14default_configENS1_38merge_sort_block_merge_config_selectorIfNS0_10empty_typeEEEZZNS1_27merge_sort_block_merge_implIS3_PfPS5_jNS1_19radix_merge_compareILb0ELb0EfNS0_19identity_decomposerEEEEE10hipError_tT0_T1_T2_jT3_P12ihipStream_tbPNSt15iterator_traitsISE_E10value_typeEPNSK_ISF_E10value_typeEPSG_NS1_7vsmem_tEENKUlT_SE_SF_SG_E_clIS8_S8_S9_S9_EESD_ST_SE_SF_SG_EUlST_E_NS1_11comp_targetILNS1_3genE5ELNS1_11target_archE942ELNS1_3gpuE9ELNS1_3repE0EEENS1_48merge_mergepath_partition_config_static_selectorELNS0_4arch9wavefront6targetE0EEEvSF_.has_indirect_call, 0
	.section	.AMDGPU.csdata,"",@progbits
; Kernel info:
; codeLenInByte = 0
; TotalNumSgprs: 0
; NumVgprs: 0
; ScratchSize: 0
; MemoryBound: 0
; FloatMode: 240
; IeeeMode: 1
; LDSByteSize: 0 bytes/workgroup (compile time only)
; SGPRBlocks: 0
; VGPRBlocks: 0
; NumSGPRsForWavesPerEU: 1
; NumVGPRsForWavesPerEU: 1
; NamedBarCnt: 0
; Occupancy: 16
; WaveLimiterHint : 0
; COMPUTE_PGM_RSRC2:SCRATCH_EN: 0
; COMPUTE_PGM_RSRC2:USER_SGPR: 2
; COMPUTE_PGM_RSRC2:TRAP_HANDLER: 0
; COMPUTE_PGM_RSRC2:TGID_X_EN: 1
; COMPUTE_PGM_RSRC2:TGID_Y_EN: 0
; COMPUTE_PGM_RSRC2:TGID_Z_EN: 0
; COMPUTE_PGM_RSRC2:TIDIG_COMP_CNT: 0
	.section	.text._ZN7rocprim17ROCPRIM_400000_NS6detail17trampoline_kernelINS0_14default_configENS1_38merge_sort_block_merge_config_selectorIfNS0_10empty_typeEEEZZNS1_27merge_sort_block_merge_implIS3_PfPS5_jNS1_19radix_merge_compareILb0ELb0EfNS0_19identity_decomposerEEEEE10hipError_tT0_T1_T2_jT3_P12ihipStream_tbPNSt15iterator_traitsISE_E10value_typeEPNSK_ISF_E10value_typeEPSG_NS1_7vsmem_tEENKUlT_SE_SF_SG_E_clIS8_S8_S9_S9_EESD_ST_SE_SF_SG_EUlST_E_NS1_11comp_targetILNS1_3genE4ELNS1_11target_archE910ELNS1_3gpuE8ELNS1_3repE0EEENS1_48merge_mergepath_partition_config_static_selectorELNS0_4arch9wavefront6targetE0EEEvSF_,"axG",@progbits,_ZN7rocprim17ROCPRIM_400000_NS6detail17trampoline_kernelINS0_14default_configENS1_38merge_sort_block_merge_config_selectorIfNS0_10empty_typeEEEZZNS1_27merge_sort_block_merge_implIS3_PfPS5_jNS1_19radix_merge_compareILb0ELb0EfNS0_19identity_decomposerEEEEE10hipError_tT0_T1_T2_jT3_P12ihipStream_tbPNSt15iterator_traitsISE_E10value_typeEPNSK_ISF_E10value_typeEPSG_NS1_7vsmem_tEENKUlT_SE_SF_SG_E_clIS8_S8_S9_S9_EESD_ST_SE_SF_SG_EUlST_E_NS1_11comp_targetILNS1_3genE4ELNS1_11target_archE910ELNS1_3gpuE8ELNS1_3repE0EEENS1_48merge_mergepath_partition_config_static_selectorELNS0_4arch9wavefront6targetE0EEEvSF_,comdat
	.protected	_ZN7rocprim17ROCPRIM_400000_NS6detail17trampoline_kernelINS0_14default_configENS1_38merge_sort_block_merge_config_selectorIfNS0_10empty_typeEEEZZNS1_27merge_sort_block_merge_implIS3_PfPS5_jNS1_19radix_merge_compareILb0ELb0EfNS0_19identity_decomposerEEEEE10hipError_tT0_T1_T2_jT3_P12ihipStream_tbPNSt15iterator_traitsISE_E10value_typeEPNSK_ISF_E10value_typeEPSG_NS1_7vsmem_tEENKUlT_SE_SF_SG_E_clIS8_S8_S9_S9_EESD_ST_SE_SF_SG_EUlST_E_NS1_11comp_targetILNS1_3genE4ELNS1_11target_archE910ELNS1_3gpuE8ELNS1_3repE0EEENS1_48merge_mergepath_partition_config_static_selectorELNS0_4arch9wavefront6targetE0EEEvSF_ ; -- Begin function _ZN7rocprim17ROCPRIM_400000_NS6detail17trampoline_kernelINS0_14default_configENS1_38merge_sort_block_merge_config_selectorIfNS0_10empty_typeEEEZZNS1_27merge_sort_block_merge_implIS3_PfPS5_jNS1_19radix_merge_compareILb0ELb0EfNS0_19identity_decomposerEEEEE10hipError_tT0_T1_T2_jT3_P12ihipStream_tbPNSt15iterator_traitsISE_E10value_typeEPNSK_ISF_E10value_typeEPSG_NS1_7vsmem_tEENKUlT_SE_SF_SG_E_clIS8_S8_S9_S9_EESD_ST_SE_SF_SG_EUlST_E_NS1_11comp_targetILNS1_3genE4ELNS1_11target_archE910ELNS1_3gpuE8ELNS1_3repE0EEENS1_48merge_mergepath_partition_config_static_selectorELNS0_4arch9wavefront6targetE0EEEvSF_
	.globl	_ZN7rocprim17ROCPRIM_400000_NS6detail17trampoline_kernelINS0_14default_configENS1_38merge_sort_block_merge_config_selectorIfNS0_10empty_typeEEEZZNS1_27merge_sort_block_merge_implIS3_PfPS5_jNS1_19radix_merge_compareILb0ELb0EfNS0_19identity_decomposerEEEEE10hipError_tT0_T1_T2_jT3_P12ihipStream_tbPNSt15iterator_traitsISE_E10value_typeEPNSK_ISF_E10value_typeEPSG_NS1_7vsmem_tEENKUlT_SE_SF_SG_E_clIS8_S8_S9_S9_EESD_ST_SE_SF_SG_EUlST_E_NS1_11comp_targetILNS1_3genE4ELNS1_11target_archE910ELNS1_3gpuE8ELNS1_3repE0EEENS1_48merge_mergepath_partition_config_static_selectorELNS0_4arch9wavefront6targetE0EEEvSF_
	.p2align	8
	.type	_ZN7rocprim17ROCPRIM_400000_NS6detail17trampoline_kernelINS0_14default_configENS1_38merge_sort_block_merge_config_selectorIfNS0_10empty_typeEEEZZNS1_27merge_sort_block_merge_implIS3_PfPS5_jNS1_19radix_merge_compareILb0ELb0EfNS0_19identity_decomposerEEEEE10hipError_tT0_T1_T2_jT3_P12ihipStream_tbPNSt15iterator_traitsISE_E10value_typeEPNSK_ISF_E10value_typeEPSG_NS1_7vsmem_tEENKUlT_SE_SF_SG_E_clIS8_S8_S9_S9_EESD_ST_SE_SF_SG_EUlST_E_NS1_11comp_targetILNS1_3genE4ELNS1_11target_archE910ELNS1_3gpuE8ELNS1_3repE0EEENS1_48merge_mergepath_partition_config_static_selectorELNS0_4arch9wavefront6targetE0EEEvSF_,@function
_ZN7rocprim17ROCPRIM_400000_NS6detail17trampoline_kernelINS0_14default_configENS1_38merge_sort_block_merge_config_selectorIfNS0_10empty_typeEEEZZNS1_27merge_sort_block_merge_implIS3_PfPS5_jNS1_19radix_merge_compareILb0ELb0EfNS0_19identity_decomposerEEEEE10hipError_tT0_T1_T2_jT3_P12ihipStream_tbPNSt15iterator_traitsISE_E10value_typeEPNSK_ISF_E10value_typeEPSG_NS1_7vsmem_tEENKUlT_SE_SF_SG_E_clIS8_S8_S9_S9_EESD_ST_SE_SF_SG_EUlST_E_NS1_11comp_targetILNS1_3genE4ELNS1_11target_archE910ELNS1_3gpuE8ELNS1_3repE0EEENS1_48merge_mergepath_partition_config_static_selectorELNS0_4arch9wavefront6targetE0EEEvSF_: ; @_ZN7rocprim17ROCPRIM_400000_NS6detail17trampoline_kernelINS0_14default_configENS1_38merge_sort_block_merge_config_selectorIfNS0_10empty_typeEEEZZNS1_27merge_sort_block_merge_implIS3_PfPS5_jNS1_19radix_merge_compareILb0ELb0EfNS0_19identity_decomposerEEEEE10hipError_tT0_T1_T2_jT3_P12ihipStream_tbPNSt15iterator_traitsISE_E10value_typeEPNSK_ISF_E10value_typeEPSG_NS1_7vsmem_tEENKUlT_SE_SF_SG_E_clIS8_S8_S9_S9_EESD_ST_SE_SF_SG_EUlST_E_NS1_11comp_targetILNS1_3genE4ELNS1_11target_archE910ELNS1_3gpuE8ELNS1_3repE0EEENS1_48merge_mergepath_partition_config_static_selectorELNS0_4arch9wavefront6targetE0EEEvSF_
; %bb.0:
	.section	.rodata,"a",@progbits
	.p2align	6, 0x0
	.amdhsa_kernel _ZN7rocprim17ROCPRIM_400000_NS6detail17trampoline_kernelINS0_14default_configENS1_38merge_sort_block_merge_config_selectorIfNS0_10empty_typeEEEZZNS1_27merge_sort_block_merge_implIS3_PfPS5_jNS1_19radix_merge_compareILb0ELb0EfNS0_19identity_decomposerEEEEE10hipError_tT0_T1_T2_jT3_P12ihipStream_tbPNSt15iterator_traitsISE_E10value_typeEPNSK_ISF_E10value_typeEPSG_NS1_7vsmem_tEENKUlT_SE_SF_SG_E_clIS8_S8_S9_S9_EESD_ST_SE_SF_SG_EUlST_E_NS1_11comp_targetILNS1_3genE4ELNS1_11target_archE910ELNS1_3gpuE8ELNS1_3repE0EEENS1_48merge_mergepath_partition_config_static_selectorELNS0_4arch9wavefront6targetE0EEEvSF_
		.amdhsa_group_segment_fixed_size 0
		.amdhsa_private_segment_fixed_size 0
		.amdhsa_kernarg_size 40
		.amdhsa_user_sgpr_count 2
		.amdhsa_user_sgpr_dispatch_ptr 0
		.amdhsa_user_sgpr_queue_ptr 0
		.amdhsa_user_sgpr_kernarg_segment_ptr 1
		.amdhsa_user_sgpr_dispatch_id 0
		.amdhsa_user_sgpr_kernarg_preload_length 0
		.amdhsa_user_sgpr_kernarg_preload_offset 0
		.amdhsa_user_sgpr_private_segment_size 0
		.amdhsa_wavefront_size32 1
		.amdhsa_uses_dynamic_stack 0
		.amdhsa_enable_private_segment 0
		.amdhsa_system_sgpr_workgroup_id_x 1
		.amdhsa_system_sgpr_workgroup_id_y 0
		.amdhsa_system_sgpr_workgroup_id_z 0
		.amdhsa_system_sgpr_workgroup_info 0
		.amdhsa_system_vgpr_workitem_id 0
		.amdhsa_next_free_vgpr 1
		.amdhsa_next_free_sgpr 1
		.amdhsa_named_barrier_count 0
		.amdhsa_reserve_vcc 0
		.amdhsa_float_round_mode_32 0
		.amdhsa_float_round_mode_16_64 0
		.amdhsa_float_denorm_mode_32 3
		.amdhsa_float_denorm_mode_16_64 3
		.amdhsa_fp16_overflow 0
		.amdhsa_memory_ordered 1
		.amdhsa_forward_progress 1
		.amdhsa_inst_pref_size 0
		.amdhsa_round_robin_scheduling 0
		.amdhsa_exception_fp_ieee_invalid_op 0
		.amdhsa_exception_fp_denorm_src 0
		.amdhsa_exception_fp_ieee_div_zero 0
		.amdhsa_exception_fp_ieee_overflow 0
		.amdhsa_exception_fp_ieee_underflow 0
		.amdhsa_exception_fp_ieee_inexact 0
		.amdhsa_exception_int_div_zero 0
	.end_amdhsa_kernel
	.section	.text._ZN7rocprim17ROCPRIM_400000_NS6detail17trampoline_kernelINS0_14default_configENS1_38merge_sort_block_merge_config_selectorIfNS0_10empty_typeEEEZZNS1_27merge_sort_block_merge_implIS3_PfPS5_jNS1_19radix_merge_compareILb0ELb0EfNS0_19identity_decomposerEEEEE10hipError_tT0_T1_T2_jT3_P12ihipStream_tbPNSt15iterator_traitsISE_E10value_typeEPNSK_ISF_E10value_typeEPSG_NS1_7vsmem_tEENKUlT_SE_SF_SG_E_clIS8_S8_S9_S9_EESD_ST_SE_SF_SG_EUlST_E_NS1_11comp_targetILNS1_3genE4ELNS1_11target_archE910ELNS1_3gpuE8ELNS1_3repE0EEENS1_48merge_mergepath_partition_config_static_selectorELNS0_4arch9wavefront6targetE0EEEvSF_,"axG",@progbits,_ZN7rocprim17ROCPRIM_400000_NS6detail17trampoline_kernelINS0_14default_configENS1_38merge_sort_block_merge_config_selectorIfNS0_10empty_typeEEEZZNS1_27merge_sort_block_merge_implIS3_PfPS5_jNS1_19radix_merge_compareILb0ELb0EfNS0_19identity_decomposerEEEEE10hipError_tT0_T1_T2_jT3_P12ihipStream_tbPNSt15iterator_traitsISE_E10value_typeEPNSK_ISF_E10value_typeEPSG_NS1_7vsmem_tEENKUlT_SE_SF_SG_E_clIS8_S8_S9_S9_EESD_ST_SE_SF_SG_EUlST_E_NS1_11comp_targetILNS1_3genE4ELNS1_11target_archE910ELNS1_3gpuE8ELNS1_3repE0EEENS1_48merge_mergepath_partition_config_static_selectorELNS0_4arch9wavefront6targetE0EEEvSF_,comdat
.Lfunc_end1367:
	.size	_ZN7rocprim17ROCPRIM_400000_NS6detail17trampoline_kernelINS0_14default_configENS1_38merge_sort_block_merge_config_selectorIfNS0_10empty_typeEEEZZNS1_27merge_sort_block_merge_implIS3_PfPS5_jNS1_19radix_merge_compareILb0ELb0EfNS0_19identity_decomposerEEEEE10hipError_tT0_T1_T2_jT3_P12ihipStream_tbPNSt15iterator_traitsISE_E10value_typeEPNSK_ISF_E10value_typeEPSG_NS1_7vsmem_tEENKUlT_SE_SF_SG_E_clIS8_S8_S9_S9_EESD_ST_SE_SF_SG_EUlST_E_NS1_11comp_targetILNS1_3genE4ELNS1_11target_archE910ELNS1_3gpuE8ELNS1_3repE0EEENS1_48merge_mergepath_partition_config_static_selectorELNS0_4arch9wavefront6targetE0EEEvSF_, .Lfunc_end1367-_ZN7rocprim17ROCPRIM_400000_NS6detail17trampoline_kernelINS0_14default_configENS1_38merge_sort_block_merge_config_selectorIfNS0_10empty_typeEEEZZNS1_27merge_sort_block_merge_implIS3_PfPS5_jNS1_19radix_merge_compareILb0ELb0EfNS0_19identity_decomposerEEEEE10hipError_tT0_T1_T2_jT3_P12ihipStream_tbPNSt15iterator_traitsISE_E10value_typeEPNSK_ISF_E10value_typeEPSG_NS1_7vsmem_tEENKUlT_SE_SF_SG_E_clIS8_S8_S9_S9_EESD_ST_SE_SF_SG_EUlST_E_NS1_11comp_targetILNS1_3genE4ELNS1_11target_archE910ELNS1_3gpuE8ELNS1_3repE0EEENS1_48merge_mergepath_partition_config_static_selectorELNS0_4arch9wavefront6targetE0EEEvSF_
                                        ; -- End function
	.set _ZN7rocprim17ROCPRIM_400000_NS6detail17trampoline_kernelINS0_14default_configENS1_38merge_sort_block_merge_config_selectorIfNS0_10empty_typeEEEZZNS1_27merge_sort_block_merge_implIS3_PfPS5_jNS1_19radix_merge_compareILb0ELb0EfNS0_19identity_decomposerEEEEE10hipError_tT0_T1_T2_jT3_P12ihipStream_tbPNSt15iterator_traitsISE_E10value_typeEPNSK_ISF_E10value_typeEPSG_NS1_7vsmem_tEENKUlT_SE_SF_SG_E_clIS8_S8_S9_S9_EESD_ST_SE_SF_SG_EUlST_E_NS1_11comp_targetILNS1_3genE4ELNS1_11target_archE910ELNS1_3gpuE8ELNS1_3repE0EEENS1_48merge_mergepath_partition_config_static_selectorELNS0_4arch9wavefront6targetE0EEEvSF_.num_vgpr, 0
	.set _ZN7rocprim17ROCPRIM_400000_NS6detail17trampoline_kernelINS0_14default_configENS1_38merge_sort_block_merge_config_selectorIfNS0_10empty_typeEEEZZNS1_27merge_sort_block_merge_implIS3_PfPS5_jNS1_19radix_merge_compareILb0ELb0EfNS0_19identity_decomposerEEEEE10hipError_tT0_T1_T2_jT3_P12ihipStream_tbPNSt15iterator_traitsISE_E10value_typeEPNSK_ISF_E10value_typeEPSG_NS1_7vsmem_tEENKUlT_SE_SF_SG_E_clIS8_S8_S9_S9_EESD_ST_SE_SF_SG_EUlST_E_NS1_11comp_targetILNS1_3genE4ELNS1_11target_archE910ELNS1_3gpuE8ELNS1_3repE0EEENS1_48merge_mergepath_partition_config_static_selectorELNS0_4arch9wavefront6targetE0EEEvSF_.num_agpr, 0
	.set _ZN7rocprim17ROCPRIM_400000_NS6detail17trampoline_kernelINS0_14default_configENS1_38merge_sort_block_merge_config_selectorIfNS0_10empty_typeEEEZZNS1_27merge_sort_block_merge_implIS3_PfPS5_jNS1_19radix_merge_compareILb0ELb0EfNS0_19identity_decomposerEEEEE10hipError_tT0_T1_T2_jT3_P12ihipStream_tbPNSt15iterator_traitsISE_E10value_typeEPNSK_ISF_E10value_typeEPSG_NS1_7vsmem_tEENKUlT_SE_SF_SG_E_clIS8_S8_S9_S9_EESD_ST_SE_SF_SG_EUlST_E_NS1_11comp_targetILNS1_3genE4ELNS1_11target_archE910ELNS1_3gpuE8ELNS1_3repE0EEENS1_48merge_mergepath_partition_config_static_selectorELNS0_4arch9wavefront6targetE0EEEvSF_.numbered_sgpr, 0
	.set _ZN7rocprim17ROCPRIM_400000_NS6detail17trampoline_kernelINS0_14default_configENS1_38merge_sort_block_merge_config_selectorIfNS0_10empty_typeEEEZZNS1_27merge_sort_block_merge_implIS3_PfPS5_jNS1_19radix_merge_compareILb0ELb0EfNS0_19identity_decomposerEEEEE10hipError_tT0_T1_T2_jT3_P12ihipStream_tbPNSt15iterator_traitsISE_E10value_typeEPNSK_ISF_E10value_typeEPSG_NS1_7vsmem_tEENKUlT_SE_SF_SG_E_clIS8_S8_S9_S9_EESD_ST_SE_SF_SG_EUlST_E_NS1_11comp_targetILNS1_3genE4ELNS1_11target_archE910ELNS1_3gpuE8ELNS1_3repE0EEENS1_48merge_mergepath_partition_config_static_selectorELNS0_4arch9wavefront6targetE0EEEvSF_.num_named_barrier, 0
	.set _ZN7rocprim17ROCPRIM_400000_NS6detail17trampoline_kernelINS0_14default_configENS1_38merge_sort_block_merge_config_selectorIfNS0_10empty_typeEEEZZNS1_27merge_sort_block_merge_implIS3_PfPS5_jNS1_19radix_merge_compareILb0ELb0EfNS0_19identity_decomposerEEEEE10hipError_tT0_T1_T2_jT3_P12ihipStream_tbPNSt15iterator_traitsISE_E10value_typeEPNSK_ISF_E10value_typeEPSG_NS1_7vsmem_tEENKUlT_SE_SF_SG_E_clIS8_S8_S9_S9_EESD_ST_SE_SF_SG_EUlST_E_NS1_11comp_targetILNS1_3genE4ELNS1_11target_archE910ELNS1_3gpuE8ELNS1_3repE0EEENS1_48merge_mergepath_partition_config_static_selectorELNS0_4arch9wavefront6targetE0EEEvSF_.private_seg_size, 0
	.set _ZN7rocprim17ROCPRIM_400000_NS6detail17trampoline_kernelINS0_14default_configENS1_38merge_sort_block_merge_config_selectorIfNS0_10empty_typeEEEZZNS1_27merge_sort_block_merge_implIS3_PfPS5_jNS1_19radix_merge_compareILb0ELb0EfNS0_19identity_decomposerEEEEE10hipError_tT0_T1_T2_jT3_P12ihipStream_tbPNSt15iterator_traitsISE_E10value_typeEPNSK_ISF_E10value_typeEPSG_NS1_7vsmem_tEENKUlT_SE_SF_SG_E_clIS8_S8_S9_S9_EESD_ST_SE_SF_SG_EUlST_E_NS1_11comp_targetILNS1_3genE4ELNS1_11target_archE910ELNS1_3gpuE8ELNS1_3repE0EEENS1_48merge_mergepath_partition_config_static_selectorELNS0_4arch9wavefront6targetE0EEEvSF_.uses_vcc, 0
	.set _ZN7rocprim17ROCPRIM_400000_NS6detail17trampoline_kernelINS0_14default_configENS1_38merge_sort_block_merge_config_selectorIfNS0_10empty_typeEEEZZNS1_27merge_sort_block_merge_implIS3_PfPS5_jNS1_19radix_merge_compareILb0ELb0EfNS0_19identity_decomposerEEEEE10hipError_tT0_T1_T2_jT3_P12ihipStream_tbPNSt15iterator_traitsISE_E10value_typeEPNSK_ISF_E10value_typeEPSG_NS1_7vsmem_tEENKUlT_SE_SF_SG_E_clIS8_S8_S9_S9_EESD_ST_SE_SF_SG_EUlST_E_NS1_11comp_targetILNS1_3genE4ELNS1_11target_archE910ELNS1_3gpuE8ELNS1_3repE0EEENS1_48merge_mergepath_partition_config_static_selectorELNS0_4arch9wavefront6targetE0EEEvSF_.uses_flat_scratch, 0
	.set _ZN7rocprim17ROCPRIM_400000_NS6detail17trampoline_kernelINS0_14default_configENS1_38merge_sort_block_merge_config_selectorIfNS0_10empty_typeEEEZZNS1_27merge_sort_block_merge_implIS3_PfPS5_jNS1_19radix_merge_compareILb0ELb0EfNS0_19identity_decomposerEEEEE10hipError_tT0_T1_T2_jT3_P12ihipStream_tbPNSt15iterator_traitsISE_E10value_typeEPNSK_ISF_E10value_typeEPSG_NS1_7vsmem_tEENKUlT_SE_SF_SG_E_clIS8_S8_S9_S9_EESD_ST_SE_SF_SG_EUlST_E_NS1_11comp_targetILNS1_3genE4ELNS1_11target_archE910ELNS1_3gpuE8ELNS1_3repE0EEENS1_48merge_mergepath_partition_config_static_selectorELNS0_4arch9wavefront6targetE0EEEvSF_.has_dyn_sized_stack, 0
	.set _ZN7rocprim17ROCPRIM_400000_NS6detail17trampoline_kernelINS0_14default_configENS1_38merge_sort_block_merge_config_selectorIfNS0_10empty_typeEEEZZNS1_27merge_sort_block_merge_implIS3_PfPS5_jNS1_19radix_merge_compareILb0ELb0EfNS0_19identity_decomposerEEEEE10hipError_tT0_T1_T2_jT3_P12ihipStream_tbPNSt15iterator_traitsISE_E10value_typeEPNSK_ISF_E10value_typeEPSG_NS1_7vsmem_tEENKUlT_SE_SF_SG_E_clIS8_S8_S9_S9_EESD_ST_SE_SF_SG_EUlST_E_NS1_11comp_targetILNS1_3genE4ELNS1_11target_archE910ELNS1_3gpuE8ELNS1_3repE0EEENS1_48merge_mergepath_partition_config_static_selectorELNS0_4arch9wavefront6targetE0EEEvSF_.has_recursion, 0
	.set _ZN7rocprim17ROCPRIM_400000_NS6detail17trampoline_kernelINS0_14default_configENS1_38merge_sort_block_merge_config_selectorIfNS0_10empty_typeEEEZZNS1_27merge_sort_block_merge_implIS3_PfPS5_jNS1_19radix_merge_compareILb0ELb0EfNS0_19identity_decomposerEEEEE10hipError_tT0_T1_T2_jT3_P12ihipStream_tbPNSt15iterator_traitsISE_E10value_typeEPNSK_ISF_E10value_typeEPSG_NS1_7vsmem_tEENKUlT_SE_SF_SG_E_clIS8_S8_S9_S9_EESD_ST_SE_SF_SG_EUlST_E_NS1_11comp_targetILNS1_3genE4ELNS1_11target_archE910ELNS1_3gpuE8ELNS1_3repE0EEENS1_48merge_mergepath_partition_config_static_selectorELNS0_4arch9wavefront6targetE0EEEvSF_.has_indirect_call, 0
	.section	.AMDGPU.csdata,"",@progbits
; Kernel info:
; codeLenInByte = 0
; TotalNumSgprs: 0
; NumVgprs: 0
; ScratchSize: 0
; MemoryBound: 0
; FloatMode: 240
; IeeeMode: 1
; LDSByteSize: 0 bytes/workgroup (compile time only)
; SGPRBlocks: 0
; VGPRBlocks: 0
; NumSGPRsForWavesPerEU: 1
; NumVGPRsForWavesPerEU: 1
; NamedBarCnt: 0
; Occupancy: 16
; WaveLimiterHint : 0
; COMPUTE_PGM_RSRC2:SCRATCH_EN: 0
; COMPUTE_PGM_RSRC2:USER_SGPR: 2
; COMPUTE_PGM_RSRC2:TRAP_HANDLER: 0
; COMPUTE_PGM_RSRC2:TGID_X_EN: 1
; COMPUTE_PGM_RSRC2:TGID_Y_EN: 0
; COMPUTE_PGM_RSRC2:TGID_Z_EN: 0
; COMPUTE_PGM_RSRC2:TIDIG_COMP_CNT: 0
	.section	.text._ZN7rocprim17ROCPRIM_400000_NS6detail17trampoline_kernelINS0_14default_configENS1_38merge_sort_block_merge_config_selectorIfNS0_10empty_typeEEEZZNS1_27merge_sort_block_merge_implIS3_PfPS5_jNS1_19radix_merge_compareILb0ELb0EfNS0_19identity_decomposerEEEEE10hipError_tT0_T1_T2_jT3_P12ihipStream_tbPNSt15iterator_traitsISE_E10value_typeEPNSK_ISF_E10value_typeEPSG_NS1_7vsmem_tEENKUlT_SE_SF_SG_E_clIS8_S8_S9_S9_EESD_ST_SE_SF_SG_EUlST_E_NS1_11comp_targetILNS1_3genE3ELNS1_11target_archE908ELNS1_3gpuE7ELNS1_3repE0EEENS1_48merge_mergepath_partition_config_static_selectorELNS0_4arch9wavefront6targetE0EEEvSF_,"axG",@progbits,_ZN7rocprim17ROCPRIM_400000_NS6detail17trampoline_kernelINS0_14default_configENS1_38merge_sort_block_merge_config_selectorIfNS0_10empty_typeEEEZZNS1_27merge_sort_block_merge_implIS3_PfPS5_jNS1_19radix_merge_compareILb0ELb0EfNS0_19identity_decomposerEEEEE10hipError_tT0_T1_T2_jT3_P12ihipStream_tbPNSt15iterator_traitsISE_E10value_typeEPNSK_ISF_E10value_typeEPSG_NS1_7vsmem_tEENKUlT_SE_SF_SG_E_clIS8_S8_S9_S9_EESD_ST_SE_SF_SG_EUlST_E_NS1_11comp_targetILNS1_3genE3ELNS1_11target_archE908ELNS1_3gpuE7ELNS1_3repE0EEENS1_48merge_mergepath_partition_config_static_selectorELNS0_4arch9wavefront6targetE0EEEvSF_,comdat
	.protected	_ZN7rocprim17ROCPRIM_400000_NS6detail17trampoline_kernelINS0_14default_configENS1_38merge_sort_block_merge_config_selectorIfNS0_10empty_typeEEEZZNS1_27merge_sort_block_merge_implIS3_PfPS5_jNS1_19radix_merge_compareILb0ELb0EfNS0_19identity_decomposerEEEEE10hipError_tT0_T1_T2_jT3_P12ihipStream_tbPNSt15iterator_traitsISE_E10value_typeEPNSK_ISF_E10value_typeEPSG_NS1_7vsmem_tEENKUlT_SE_SF_SG_E_clIS8_S8_S9_S9_EESD_ST_SE_SF_SG_EUlST_E_NS1_11comp_targetILNS1_3genE3ELNS1_11target_archE908ELNS1_3gpuE7ELNS1_3repE0EEENS1_48merge_mergepath_partition_config_static_selectorELNS0_4arch9wavefront6targetE0EEEvSF_ ; -- Begin function _ZN7rocprim17ROCPRIM_400000_NS6detail17trampoline_kernelINS0_14default_configENS1_38merge_sort_block_merge_config_selectorIfNS0_10empty_typeEEEZZNS1_27merge_sort_block_merge_implIS3_PfPS5_jNS1_19radix_merge_compareILb0ELb0EfNS0_19identity_decomposerEEEEE10hipError_tT0_T1_T2_jT3_P12ihipStream_tbPNSt15iterator_traitsISE_E10value_typeEPNSK_ISF_E10value_typeEPSG_NS1_7vsmem_tEENKUlT_SE_SF_SG_E_clIS8_S8_S9_S9_EESD_ST_SE_SF_SG_EUlST_E_NS1_11comp_targetILNS1_3genE3ELNS1_11target_archE908ELNS1_3gpuE7ELNS1_3repE0EEENS1_48merge_mergepath_partition_config_static_selectorELNS0_4arch9wavefront6targetE0EEEvSF_
	.globl	_ZN7rocprim17ROCPRIM_400000_NS6detail17trampoline_kernelINS0_14default_configENS1_38merge_sort_block_merge_config_selectorIfNS0_10empty_typeEEEZZNS1_27merge_sort_block_merge_implIS3_PfPS5_jNS1_19radix_merge_compareILb0ELb0EfNS0_19identity_decomposerEEEEE10hipError_tT0_T1_T2_jT3_P12ihipStream_tbPNSt15iterator_traitsISE_E10value_typeEPNSK_ISF_E10value_typeEPSG_NS1_7vsmem_tEENKUlT_SE_SF_SG_E_clIS8_S8_S9_S9_EESD_ST_SE_SF_SG_EUlST_E_NS1_11comp_targetILNS1_3genE3ELNS1_11target_archE908ELNS1_3gpuE7ELNS1_3repE0EEENS1_48merge_mergepath_partition_config_static_selectorELNS0_4arch9wavefront6targetE0EEEvSF_
	.p2align	8
	.type	_ZN7rocprim17ROCPRIM_400000_NS6detail17trampoline_kernelINS0_14default_configENS1_38merge_sort_block_merge_config_selectorIfNS0_10empty_typeEEEZZNS1_27merge_sort_block_merge_implIS3_PfPS5_jNS1_19radix_merge_compareILb0ELb0EfNS0_19identity_decomposerEEEEE10hipError_tT0_T1_T2_jT3_P12ihipStream_tbPNSt15iterator_traitsISE_E10value_typeEPNSK_ISF_E10value_typeEPSG_NS1_7vsmem_tEENKUlT_SE_SF_SG_E_clIS8_S8_S9_S9_EESD_ST_SE_SF_SG_EUlST_E_NS1_11comp_targetILNS1_3genE3ELNS1_11target_archE908ELNS1_3gpuE7ELNS1_3repE0EEENS1_48merge_mergepath_partition_config_static_selectorELNS0_4arch9wavefront6targetE0EEEvSF_,@function
_ZN7rocprim17ROCPRIM_400000_NS6detail17trampoline_kernelINS0_14default_configENS1_38merge_sort_block_merge_config_selectorIfNS0_10empty_typeEEEZZNS1_27merge_sort_block_merge_implIS3_PfPS5_jNS1_19radix_merge_compareILb0ELb0EfNS0_19identity_decomposerEEEEE10hipError_tT0_T1_T2_jT3_P12ihipStream_tbPNSt15iterator_traitsISE_E10value_typeEPNSK_ISF_E10value_typeEPSG_NS1_7vsmem_tEENKUlT_SE_SF_SG_E_clIS8_S8_S9_S9_EESD_ST_SE_SF_SG_EUlST_E_NS1_11comp_targetILNS1_3genE3ELNS1_11target_archE908ELNS1_3gpuE7ELNS1_3repE0EEENS1_48merge_mergepath_partition_config_static_selectorELNS0_4arch9wavefront6targetE0EEEvSF_: ; @_ZN7rocprim17ROCPRIM_400000_NS6detail17trampoline_kernelINS0_14default_configENS1_38merge_sort_block_merge_config_selectorIfNS0_10empty_typeEEEZZNS1_27merge_sort_block_merge_implIS3_PfPS5_jNS1_19radix_merge_compareILb0ELb0EfNS0_19identity_decomposerEEEEE10hipError_tT0_T1_T2_jT3_P12ihipStream_tbPNSt15iterator_traitsISE_E10value_typeEPNSK_ISF_E10value_typeEPSG_NS1_7vsmem_tEENKUlT_SE_SF_SG_E_clIS8_S8_S9_S9_EESD_ST_SE_SF_SG_EUlST_E_NS1_11comp_targetILNS1_3genE3ELNS1_11target_archE908ELNS1_3gpuE7ELNS1_3repE0EEENS1_48merge_mergepath_partition_config_static_selectorELNS0_4arch9wavefront6targetE0EEEvSF_
; %bb.0:
	.section	.rodata,"a",@progbits
	.p2align	6, 0x0
	.amdhsa_kernel _ZN7rocprim17ROCPRIM_400000_NS6detail17trampoline_kernelINS0_14default_configENS1_38merge_sort_block_merge_config_selectorIfNS0_10empty_typeEEEZZNS1_27merge_sort_block_merge_implIS3_PfPS5_jNS1_19radix_merge_compareILb0ELb0EfNS0_19identity_decomposerEEEEE10hipError_tT0_T1_T2_jT3_P12ihipStream_tbPNSt15iterator_traitsISE_E10value_typeEPNSK_ISF_E10value_typeEPSG_NS1_7vsmem_tEENKUlT_SE_SF_SG_E_clIS8_S8_S9_S9_EESD_ST_SE_SF_SG_EUlST_E_NS1_11comp_targetILNS1_3genE3ELNS1_11target_archE908ELNS1_3gpuE7ELNS1_3repE0EEENS1_48merge_mergepath_partition_config_static_selectorELNS0_4arch9wavefront6targetE0EEEvSF_
		.amdhsa_group_segment_fixed_size 0
		.amdhsa_private_segment_fixed_size 0
		.amdhsa_kernarg_size 40
		.amdhsa_user_sgpr_count 2
		.amdhsa_user_sgpr_dispatch_ptr 0
		.amdhsa_user_sgpr_queue_ptr 0
		.amdhsa_user_sgpr_kernarg_segment_ptr 1
		.amdhsa_user_sgpr_dispatch_id 0
		.amdhsa_user_sgpr_kernarg_preload_length 0
		.amdhsa_user_sgpr_kernarg_preload_offset 0
		.amdhsa_user_sgpr_private_segment_size 0
		.amdhsa_wavefront_size32 1
		.amdhsa_uses_dynamic_stack 0
		.amdhsa_enable_private_segment 0
		.amdhsa_system_sgpr_workgroup_id_x 1
		.amdhsa_system_sgpr_workgroup_id_y 0
		.amdhsa_system_sgpr_workgroup_id_z 0
		.amdhsa_system_sgpr_workgroup_info 0
		.amdhsa_system_vgpr_workitem_id 0
		.amdhsa_next_free_vgpr 1
		.amdhsa_next_free_sgpr 1
		.amdhsa_named_barrier_count 0
		.amdhsa_reserve_vcc 0
		.amdhsa_float_round_mode_32 0
		.amdhsa_float_round_mode_16_64 0
		.amdhsa_float_denorm_mode_32 3
		.amdhsa_float_denorm_mode_16_64 3
		.amdhsa_fp16_overflow 0
		.amdhsa_memory_ordered 1
		.amdhsa_forward_progress 1
		.amdhsa_inst_pref_size 0
		.amdhsa_round_robin_scheduling 0
		.amdhsa_exception_fp_ieee_invalid_op 0
		.amdhsa_exception_fp_denorm_src 0
		.amdhsa_exception_fp_ieee_div_zero 0
		.amdhsa_exception_fp_ieee_overflow 0
		.amdhsa_exception_fp_ieee_underflow 0
		.amdhsa_exception_fp_ieee_inexact 0
		.amdhsa_exception_int_div_zero 0
	.end_amdhsa_kernel
	.section	.text._ZN7rocprim17ROCPRIM_400000_NS6detail17trampoline_kernelINS0_14default_configENS1_38merge_sort_block_merge_config_selectorIfNS0_10empty_typeEEEZZNS1_27merge_sort_block_merge_implIS3_PfPS5_jNS1_19radix_merge_compareILb0ELb0EfNS0_19identity_decomposerEEEEE10hipError_tT0_T1_T2_jT3_P12ihipStream_tbPNSt15iterator_traitsISE_E10value_typeEPNSK_ISF_E10value_typeEPSG_NS1_7vsmem_tEENKUlT_SE_SF_SG_E_clIS8_S8_S9_S9_EESD_ST_SE_SF_SG_EUlST_E_NS1_11comp_targetILNS1_3genE3ELNS1_11target_archE908ELNS1_3gpuE7ELNS1_3repE0EEENS1_48merge_mergepath_partition_config_static_selectorELNS0_4arch9wavefront6targetE0EEEvSF_,"axG",@progbits,_ZN7rocprim17ROCPRIM_400000_NS6detail17trampoline_kernelINS0_14default_configENS1_38merge_sort_block_merge_config_selectorIfNS0_10empty_typeEEEZZNS1_27merge_sort_block_merge_implIS3_PfPS5_jNS1_19radix_merge_compareILb0ELb0EfNS0_19identity_decomposerEEEEE10hipError_tT0_T1_T2_jT3_P12ihipStream_tbPNSt15iterator_traitsISE_E10value_typeEPNSK_ISF_E10value_typeEPSG_NS1_7vsmem_tEENKUlT_SE_SF_SG_E_clIS8_S8_S9_S9_EESD_ST_SE_SF_SG_EUlST_E_NS1_11comp_targetILNS1_3genE3ELNS1_11target_archE908ELNS1_3gpuE7ELNS1_3repE0EEENS1_48merge_mergepath_partition_config_static_selectorELNS0_4arch9wavefront6targetE0EEEvSF_,comdat
.Lfunc_end1368:
	.size	_ZN7rocprim17ROCPRIM_400000_NS6detail17trampoline_kernelINS0_14default_configENS1_38merge_sort_block_merge_config_selectorIfNS0_10empty_typeEEEZZNS1_27merge_sort_block_merge_implIS3_PfPS5_jNS1_19radix_merge_compareILb0ELb0EfNS0_19identity_decomposerEEEEE10hipError_tT0_T1_T2_jT3_P12ihipStream_tbPNSt15iterator_traitsISE_E10value_typeEPNSK_ISF_E10value_typeEPSG_NS1_7vsmem_tEENKUlT_SE_SF_SG_E_clIS8_S8_S9_S9_EESD_ST_SE_SF_SG_EUlST_E_NS1_11comp_targetILNS1_3genE3ELNS1_11target_archE908ELNS1_3gpuE7ELNS1_3repE0EEENS1_48merge_mergepath_partition_config_static_selectorELNS0_4arch9wavefront6targetE0EEEvSF_, .Lfunc_end1368-_ZN7rocprim17ROCPRIM_400000_NS6detail17trampoline_kernelINS0_14default_configENS1_38merge_sort_block_merge_config_selectorIfNS0_10empty_typeEEEZZNS1_27merge_sort_block_merge_implIS3_PfPS5_jNS1_19radix_merge_compareILb0ELb0EfNS0_19identity_decomposerEEEEE10hipError_tT0_T1_T2_jT3_P12ihipStream_tbPNSt15iterator_traitsISE_E10value_typeEPNSK_ISF_E10value_typeEPSG_NS1_7vsmem_tEENKUlT_SE_SF_SG_E_clIS8_S8_S9_S9_EESD_ST_SE_SF_SG_EUlST_E_NS1_11comp_targetILNS1_3genE3ELNS1_11target_archE908ELNS1_3gpuE7ELNS1_3repE0EEENS1_48merge_mergepath_partition_config_static_selectorELNS0_4arch9wavefront6targetE0EEEvSF_
                                        ; -- End function
	.set _ZN7rocprim17ROCPRIM_400000_NS6detail17trampoline_kernelINS0_14default_configENS1_38merge_sort_block_merge_config_selectorIfNS0_10empty_typeEEEZZNS1_27merge_sort_block_merge_implIS3_PfPS5_jNS1_19radix_merge_compareILb0ELb0EfNS0_19identity_decomposerEEEEE10hipError_tT0_T1_T2_jT3_P12ihipStream_tbPNSt15iterator_traitsISE_E10value_typeEPNSK_ISF_E10value_typeEPSG_NS1_7vsmem_tEENKUlT_SE_SF_SG_E_clIS8_S8_S9_S9_EESD_ST_SE_SF_SG_EUlST_E_NS1_11comp_targetILNS1_3genE3ELNS1_11target_archE908ELNS1_3gpuE7ELNS1_3repE0EEENS1_48merge_mergepath_partition_config_static_selectorELNS0_4arch9wavefront6targetE0EEEvSF_.num_vgpr, 0
	.set _ZN7rocprim17ROCPRIM_400000_NS6detail17trampoline_kernelINS0_14default_configENS1_38merge_sort_block_merge_config_selectorIfNS0_10empty_typeEEEZZNS1_27merge_sort_block_merge_implIS3_PfPS5_jNS1_19radix_merge_compareILb0ELb0EfNS0_19identity_decomposerEEEEE10hipError_tT0_T1_T2_jT3_P12ihipStream_tbPNSt15iterator_traitsISE_E10value_typeEPNSK_ISF_E10value_typeEPSG_NS1_7vsmem_tEENKUlT_SE_SF_SG_E_clIS8_S8_S9_S9_EESD_ST_SE_SF_SG_EUlST_E_NS1_11comp_targetILNS1_3genE3ELNS1_11target_archE908ELNS1_3gpuE7ELNS1_3repE0EEENS1_48merge_mergepath_partition_config_static_selectorELNS0_4arch9wavefront6targetE0EEEvSF_.num_agpr, 0
	.set _ZN7rocprim17ROCPRIM_400000_NS6detail17trampoline_kernelINS0_14default_configENS1_38merge_sort_block_merge_config_selectorIfNS0_10empty_typeEEEZZNS1_27merge_sort_block_merge_implIS3_PfPS5_jNS1_19radix_merge_compareILb0ELb0EfNS0_19identity_decomposerEEEEE10hipError_tT0_T1_T2_jT3_P12ihipStream_tbPNSt15iterator_traitsISE_E10value_typeEPNSK_ISF_E10value_typeEPSG_NS1_7vsmem_tEENKUlT_SE_SF_SG_E_clIS8_S8_S9_S9_EESD_ST_SE_SF_SG_EUlST_E_NS1_11comp_targetILNS1_3genE3ELNS1_11target_archE908ELNS1_3gpuE7ELNS1_3repE0EEENS1_48merge_mergepath_partition_config_static_selectorELNS0_4arch9wavefront6targetE0EEEvSF_.numbered_sgpr, 0
	.set _ZN7rocprim17ROCPRIM_400000_NS6detail17trampoline_kernelINS0_14default_configENS1_38merge_sort_block_merge_config_selectorIfNS0_10empty_typeEEEZZNS1_27merge_sort_block_merge_implIS3_PfPS5_jNS1_19radix_merge_compareILb0ELb0EfNS0_19identity_decomposerEEEEE10hipError_tT0_T1_T2_jT3_P12ihipStream_tbPNSt15iterator_traitsISE_E10value_typeEPNSK_ISF_E10value_typeEPSG_NS1_7vsmem_tEENKUlT_SE_SF_SG_E_clIS8_S8_S9_S9_EESD_ST_SE_SF_SG_EUlST_E_NS1_11comp_targetILNS1_3genE3ELNS1_11target_archE908ELNS1_3gpuE7ELNS1_3repE0EEENS1_48merge_mergepath_partition_config_static_selectorELNS0_4arch9wavefront6targetE0EEEvSF_.num_named_barrier, 0
	.set _ZN7rocprim17ROCPRIM_400000_NS6detail17trampoline_kernelINS0_14default_configENS1_38merge_sort_block_merge_config_selectorIfNS0_10empty_typeEEEZZNS1_27merge_sort_block_merge_implIS3_PfPS5_jNS1_19radix_merge_compareILb0ELb0EfNS0_19identity_decomposerEEEEE10hipError_tT0_T1_T2_jT3_P12ihipStream_tbPNSt15iterator_traitsISE_E10value_typeEPNSK_ISF_E10value_typeEPSG_NS1_7vsmem_tEENKUlT_SE_SF_SG_E_clIS8_S8_S9_S9_EESD_ST_SE_SF_SG_EUlST_E_NS1_11comp_targetILNS1_3genE3ELNS1_11target_archE908ELNS1_3gpuE7ELNS1_3repE0EEENS1_48merge_mergepath_partition_config_static_selectorELNS0_4arch9wavefront6targetE0EEEvSF_.private_seg_size, 0
	.set _ZN7rocprim17ROCPRIM_400000_NS6detail17trampoline_kernelINS0_14default_configENS1_38merge_sort_block_merge_config_selectorIfNS0_10empty_typeEEEZZNS1_27merge_sort_block_merge_implIS3_PfPS5_jNS1_19radix_merge_compareILb0ELb0EfNS0_19identity_decomposerEEEEE10hipError_tT0_T1_T2_jT3_P12ihipStream_tbPNSt15iterator_traitsISE_E10value_typeEPNSK_ISF_E10value_typeEPSG_NS1_7vsmem_tEENKUlT_SE_SF_SG_E_clIS8_S8_S9_S9_EESD_ST_SE_SF_SG_EUlST_E_NS1_11comp_targetILNS1_3genE3ELNS1_11target_archE908ELNS1_3gpuE7ELNS1_3repE0EEENS1_48merge_mergepath_partition_config_static_selectorELNS0_4arch9wavefront6targetE0EEEvSF_.uses_vcc, 0
	.set _ZN7rocprim17ROCPRIM_400000_NS6detail17trampoline_kernelINS0_14default_configENS1_38merge_sort_block_merge_config_selectorIfNS0_10empty_typeEEEZZNS1_27merge_sort_block_merge_implIS3_PfPS5_jNS1_19radix_merge_compareILb0ELb0EfNS0_19identity_decomposerEEEEE10hipError_tT0_T1_T2_jT3_P12ihipStream_tbPNSt15iterator_traitsISE_E10value_typeEPNSK_ISF_E10value_typeEPSG_NS1_7vsmem_tEENKUlT_SE_SF_SG_E_clIS8_S8_S9_S9_EESD_ST_SE_SF_SG_EUlST_E_NS1_11comp_targetILNS1_3genE3ELNS1_11target_archE908ELNS1_3gpuE7ELNS1_3repE0EEENS1_48merge_mergepath_partition_config_static_selectorELNS0_4arch9wavefront6targetE0EEEvSF_.uses_flat_scratch, 0
	.set _ZN7rocprim17ROCPRIM_400000_NS6detail17trampoline_kernelINS0_14default_configENS1_38merge_sort_block_merge_config_selectorIfNS0_10empty_typeEEEZZNS1_27merge_sort_block_merge_implIS3_PfPS5_jNS1_19radix_merge_compareILb0ELb0EfNS0_19identity_decomposerEEEEE10hipError_tT0_T1_T2_jT3_P12ihipStream_tbPNSt15iterator_traitsISE_E10value_typeEPNSK_ISF_E10value_typeEPSG_NS1_7vsmem_tEENKUlT_SE_SF_SG_E_clIS8_S8_S9_S9_EESD_ST_SE_SF_SG_EUlST_E_NS1_11comp_targetILNS1_3genE3ELNS1_11target_archE908ELNS1_3gpuE7ELNS1_3repE0EEENS1_48merge_mergepath_partition_config_static_selectorELNS0_4arch9wavefront6targetE0EEEvSF_.has_dyn_sized_stack, 0
	.set _ZN7rocprim17ROCPRIM_400000_NS6detail17trampoline_kernelINS0_14default_configENS1_38merge_sort_block_merge_config_selectorIfNS0_10empty_typeEEEZZNS1_27merge_sort_block_merge_implIS3_PfPS5_jNS1_19radix_merge_compareILb0ELb0EfNS0_19identity_decomposerEEEEE10hipError_tT0_T1_T2_jT3_P12ihipStream_tbPNSt15iterator_traitsISE_E10value_typeEPNSK_ISF_E10value_typeEPSG_NS1_7vsmem_tEENKUlT_SE_SF_SG_E_clIS8_S8_S9_S9_EESD_ST_SE_SF_SG_EUlST_E_NS1_11comp_targetILNS1_3genE3ELNS1_11target_archE908ELNS1_3gpuE7ELNS1_3repE0EEENS1_48merge_mergepath_partition_config_static_selectorELNS0_4arch9wavefront6targetE0EEEvSF_.has_recursion, 0
	.set _ZN7rocprim17ROCPRIM_400000_NS6detail17trampoline_kernelINS0_14default_configENS1_38merge_sort_block_merge_config_selectorIfNS0_10empty_typeEEEZZNS1_27merge_sort_block_merge_implIS3_PfPS5_jNS1_19radix_merge_compareILb0ELb0EfNS0_19identity_decomposerEEEEE10hipError_tT0_T1_T2_jT3_P12ihipStream_tbPNSt15iterator_traitsISE_E10value_typeEPNSK_ISF_E10value_typeEPSG_NS1_7vsmem_tEENKUlT_SE_SF_SG_E_clIS8_S8_S9_S9_EESD_ST_SE_SF_SG_EUlST_E_NS1_11comp_targetILNS1_3genE3ELNS1_11target_archE908ELNS1_3gpuE7ELNS1_3repE0EEENS1_48merge_mergepath_partition_config_static_selectorELNS0_4arch9wavefront6targetE0EEEvSF_.has_indirect_call, 0
	.section	.AMDGPU.csdata,"",@progbits
; Kernel info:
; codeLenInByte = 0
; TotalNumSgprs: 0
; NumVgprs: 0
; ScratchSize: 0
; MemoryBound: 0
; FloatMode: 240
; IeeeMode: 1
; LDSByteSize: 0 bytes/workgroup (compile time only)
; SGPRBlocks: 0
; VGPRBlocks: 0
; NumSGPRsForWavesPerEU: 1
; NumVGPRsForWavesPerEU: 1
; NamedBarCnt: 0
; Occupancy: 16
; WaveLimiterHint : 0
; COMPUTE_PGM_RSRC2:SCRATCH_EN: 0
; COMPUTE_PGM_RSRC2:USER_SGPR: 2
; COMPUTE_PGM_RSRC2:TRAP_HANDLER: 0
; COMPUTE_PGM_RSRC2:TGID_X_EN: 1
; COMPUTE_PGM_RSRC2:TGID_Y_EN: 0
; COMPUTE_PGM_RSRC2:TGID_Z_EN: 0
; COMPUTE_PGM_RSRC2:TIDIG_COMP_CNT: 0
	.section	.text._ZN7rocprim17ROCPRIM_400000_NS6detail17trampoline_kernelINS0_14default_configENS1_38merge_sort_block_merge_config_selectorIfNS0_10empty_typeEEEZZNS1_27merge_sort_block_merge_implIS3_PfPS5_jNS1_19radix_merge_compareILb0ELb0EfNS0_19identity_decomposerEEEEE10hipError_tT0_T1_T2_jT3_P12ihipStream_tbPNSt15iterator_traitsISE_E10value_typeEPNSK_ISF_E10value_typeEPSG_NS1_7vsmem_tEENKUlT_SE_SF_SG_E_clIS8_S8_S9_S9_EESD_ST_SE_SF_SG_EUlST_E_NS1_11comp_targetILNS1_3genE2ELNS1_11target_archE906ELNS1_3gpuE6ELNS1_3repE0EEENS1_48merge_mergepath_partition_config_static_selectorELNS0_4arch9wavefront6targetE0EEEvSF_,"axG",@progbits,_ZN7rocprim17ROCPRIM_400000_NS6detail17trampoline_kernelINS0_14default_configENS1_38merge_sort_block_merge_config_selectorIfNS0_10empty_typeEEEZZNS1_27merge_sort_block_merge_implIS3_PfPS5_jNS1_19radix_merge_compareILb0ELb0EfNS0_19identity_decomposerEEEEE10hipError_tT0_T1_T2_jT3_P12ihipStream_tbPNSt15iterator_traitsISE_E10value_typeEPNSK_ISF_E10value_typeEPSG_NS1_7vsmem_tEENKUlT_SE_SF_SG_E_clIS8_S8_S9_S9_EESD_ST_SE_SF_SG_EUlST_E_NS1_11comp_targetILNS1_3genE2ELNS1_11target_archE906ELNS1_3gpuE6ELNS1_3repE0EEENS1_48merge_mergepath_partition_config_static_selectorELNS0_4arch9wavefront6targetE0EEEvSF_,comdat
	.protected	_ZN7rocprim17ROCPRIM_400000_NS6detail17trampoline_kernelINS0_14default_configENS1_38merge_sort_block_merge_config_selectorIfNS0_10empty_typeEEEZZNS1_27merge_sort_block_merge_implIS3_PfPS5_jNS1_19radix_merge_compareILb0ELb0EfNS0_19identity_decomposerEEEEE10hipError_tT0_T1_T2_jT3_P12ihipStream_tbPNSt15iterator_traitsISE_E10value_typeEPNSK_ISF_E10value_typeEPSG_NS1_7vsmem_tEENKUlT_SE_SF_SG_E_clIS8_S8_S9_S9_EESD_ST_SE_SF_SG_EUlST_E_NS1_11comp_targetILNS1_3genE2ELNS1_11target_archE906ELNS1_3gpuE6ELNS1_3repE0EEENS1_48merge_mergepath_partition_config_static_selectorELNS0_4arch9wavefront6targetE0EEEvSF_ ; -- Begin function _ZN7rocprim17ROCPRIM_400000_NS6detail17trampoline_kernelINS0_14default_configENS1_38merge_sort_block_merge_config_selectorIfNS0_10empty_typeEEEZZNS1_27merge_sort_block_merge_implIS3_PfPS5_jNS1_19radix_merge_compareILb0ELb0EfNS0_19identity_decomposerEEEEE10hipError_tT0_T1_T2_jT3_P12ihipStream_tbPNSt15iterator_traitsISE_E10value_typeEPNSK_ISF_E10value_typeEPSG_NS1_7vsmem_tEENKUlT_SE_SF_SG_E_clIS8_S8_S9_S9_EESD_ST_SE_SF_SG_EUlST_E_NS1_11comp_targetILNS1_3genE2ELNS1_11target_archE906ELNS1_3gpuE6ELNS1_3repE0EEENS1_48merge_mergepath_partition_config_static_selectorELNS0_4arch9wavefront6targetE0EEEvSF_
	.globl	_ZN7rocprim17ROCPRIM_400000_NS6detail17trampoline_kernelINS0_14default_configENS1_38merge_sort_block_merge_config_selectorIfNS0_10empty_typeEEEZZNS1_27merge_sort_block_merge_implIS3_PfPS5_jNS1_19radix_merge_compareILb0ELb0EfNS0_19identity_decomposerEEEEE10hipError_tT0_T1_T2_jT3_P12ihipStream_tbPNSt15iterator_traitsISE_E10value_typeEPNSK_ISF_E10value_typeEPSG_NS1_7vsmem_tEENKUlT_SE_SF_SG_E_clIS8_S8_S9_S9_EESD_ST_SE_SF_SG_EUlST_E_NS1_11comp_targetILNS1_3genE2ELNS1_11target_archE906ELNS1_3gpuE6ELNS1_3repE0EEENS1_48merge_mergepath_partition_config_static_selectorELNS0_4arch9wavefront6targetE0EEEvSF_
	.p2align	8
	.type	_ZN7rocprim17ROCPRIM_400000_NS6detail17trampoline_kernelINS0_14default_configENS1_38merge_sort_block_merge_config_selectorIfNS0_10empty_typeEEEZZNS1_27merge_sort_block_merge_implIS3_PfPS5_jNS1_19radix_merge_compareILb0ELb0EfNS0_19identity_decomposerEEEEE10hipError_tT0_T1_T2_jT3_P12ihipStream_tbPNSt15iterator_traitsISE_E10value_typeEPNSK_ISF_E10value_typeEPSG_NS1_7vsmem_tEENKUlT_SE_SF_SG_E_clIS8_S8_S9_S9_EESD_ST_SE_SF_SG_EUlST_E_NS1_11comp_targetILNS1_3genE2ELNS1_11target_archE906ELNS1_3gpuE6ELNS1_3repE0EEENS1_48merge_mergepath_partition_config_static_selectorELNS0_4arch9wavefront6targetE0EEEvSF_,@function
_ZN7rocprim17ROCPRIM_400000_NS6detail17trampoline_kernelINS0_14default_configENS1_38merge_sort_block_merge_config_selectorIfNS0_10empty_typeEEEZZNS1_27merge_sort_block_merge_implIS3_PfPS5_jNS1_19radix_merge_compareILb0ELb0EfNS0_19identity_decomposerEEEEE10hipError_tT0_T1_T2_jT3_P12ihipStream_tbPNSt15iterator_traitsISE_E10value_typeEPNSK_ISF_E10value_typeEPSG_NS1_7vsmem_tEENKUlT_SE_SF_SG_E_clIS8_S8_S9_S9_EESD_ST_SE_SF_SG_EUlST_E_NS1_11comp_targetILNS1_3genE2ELNS1_11target_archE906ELNS1_3gpuE6ELNS1_3repE0EEENS1_48merge_mergepath_partition_config_static_selectorELNS0_4arch9wavefront6targetE0EEEvSF_: ; @_ZN7rocprim17ROCPRIM_400000_NS6detail17trampoline_kernelINS0_14default_configENS1_38merge_sort_block_merge_config_selectorIfNS0_10empty_typeEEEZZNS1_27merge_sort_block_merge_implIS3_PfPS5_jNS1_19radix_merge_compareILb0ELb0EfNS0_19identity_decomposerEEEEE10hipError_tT0_T1_T2_jT3_P12ihipStream_tbPNSt15iterator_traitsISE_E10value_typeEPNSK_ISF_E10value_typeEPSG_NS1_7vsmem_tEENKUlT_SE_SF_SG_E_clIS8_S8_S9_S9_EESD_ST_SE_SF_SG_EUlST_E_NS1_11comp_targetILNS1_3genE2ELNS1_11target_archE906ELNS1_3gpuE6ELNS1_3repE0EEENS1_48merge_mergepath_partition_config_static_selectorELNS0_4arch9wavefront6targetE0EEEvSF_
; %bb.0:
	.section	.rodata,"a",@progbits
	.p2align	6, 0x0
	.amdhsa_kernel _ZN7rocprim17ROCPRIM_400000_NS6detail17trampoline_kernelINS0_14default_configENS1_38merge_sort_block_merge_config_selectorIfNS0_10empty_typeEEEZZNS1_27merge_sort_block_merge_implIS3_PfPS5_jNS1_19radix_merge_compareILb0ELb0EfNS0_19identity_decomposerEEEEE10hipError_tT0_T1_T2_jT3_P12ihipStream_tbPNSt15iterator_traitsISE_E10value_typeEPNSK_ISF_E10value_typeEPSG_NS1_7vsmem_tEENKUlT_SE_SF_SG_E_clIS8_S8_S9_S9_EESD_ST_SE_SF_SG_EUlST_E_NS1_11comp_targetILNS1_3genE2ELNS1_11target_archE906ELNS1_3gpuE6ELNS1_3repE0EEENS1_48merge_mergepath_partition_config_static_selectorELNS0_4arch9wavefront6targetE0EEEvSF_
		.amdhsa_group_segment_fixed_size 0
		.amdhsa_private_segment_fixed_size 0
		.amdhsa_kernarg_size 40
		.amdhsa_user_sgpr_count 2
		.amdhsa_user_sgpr_dispatch_ptr 0
		.amdhsa_user_sgpr_queue_ptr 0
		.amdhsa_user_sgpr_kernarg_segment_ptr 1
		.amdhsa_user_sgpr_dispatch_id 0
		.amdhsa_user_sgpr_kernarg_preload_length 0
		.amdhsa_user_sgpr_kernarg_preload_offset 0
		.amdhsa_user_sgpr_private_segment_size 0
		.amdhsa_wavefront_size32 1
		.amdhsa_uses_dynamic_stack 0
		.amdhsa_enable_private_segment 0
		.amdhsa_system_sgpr_workgroup_id_x 1
		.amdhsa_system_sgpr_workgroup_id_y 0
		.amdhsa_system_sgpr_workgroup_id_z 0
		.amdhsa_system_sgpr_workgroup_info 0
		.amdhsa_system_vgpr_workitem_id 0
		.amdhsa_next_free_vgpr 1
		.amdhsa_next_free_sgpr 1
		.amdhsa_named_barrier_count 0
		.amdhsa_reserve_vcc 0
		.amdhsa_float_round_mode_32 0
		.amdhsa_float_round_mode_16_64 0
		.amdhsa_float_denorm_mode_32 3
		.amdhsa_float_denorm_mode_16_64 3
		.amdhsa_fp16_overflow 0
		.amdhsa_memory_ordered 1
		.amdhsa_forward_progress 1
		.amdhsa_inst_pref_size 0
		.amdhsa_round_robin_scheduling 0
		.amdhsa_exception_fp_ieee_invalid_op 0
		.amdhsa_exception_fp_denorm_src 0
		.amdhsa_exception_fp_ieee_div_zero 0
		.amdhsa_exception_fp_ieee_overflow 0
		.amdhsa_exception_fp_ieee_underflow 0
		.amdhsa_exception_fp_ieee_inexact 0
		.amdhsa_exception_int_div_zero 0
	.end_amdhsa_kernel
	.section	.text._ZN7rocprim17ROCPRIM_400000_NS6detail17trampoline_kernelINS0_14default_configENS1_38merge_sort_block_merge_config_selectorIfNS0_10empty_typeEEEZZNS1_27merge_sort_block_merge_implIS3_PfPS5_jNS1_19radix_merge_compareILb0ELb0EfNS0_19identity_decomposerEEEEE10hipError_tT0_T1_T2_jT3_P12ihipStream_tbPNSt15iterator_traitsISE_E10value_typeEPNSK_ISF_E10value_typeEPSG_NS1_7vsmem_tEENKUlT_SE_SF_SG_E_clIS8_S8_S9_S9_EESD_ST_SE_SF_SG_EUlST_E_NS1_11comp_targetILNS1_3genE2ELNS1_11target_archE906ELNS1_3gpuE6ELNS1_3repE0EEENS1_48merge_mergepath_partition_config_static_selectorELNS0_4arch9wavefront6targetE0EEEvSF_,"axG",@progbits,_ZN7rocprim17ROCPRIM_400000_NS6detail17trampoline_kernelINS0_14default_configENS1_38merge_sort_block_merge_config_selectorIfNS0_10empty_typeEEEZZNS1_27merge_sort_block_merge_implIS3_PfPS5_jNS1_19radix_merge_compareILb0ELb0EfNS0_19identity_decomposerEEEEE10hipError_tT0_T1_T2_jT3_P12ihipStream_tbPNSt15iterator_traitsISE_E10value_typeEPNSK_ISF_E10value_typeEPSG_NS1_7vsmem_tEENKUlT_SE_SF_SG_E_clIS8_S8_S9_S9_EESD_ST_SE_SF_SG_EUlST_E_NS1_11comp_targetILNS1_3genE2ELNS1_11target_archE906ELNS1_3gpuE6ELNS1_3repE0EEENS1_48merge_mergepath_partition_config_static_selectorELNS0_4arch9wavefront6targetE0EEEvSF_,comdat
.Lfunc_end1369:
	.size	_ZN7rocprim17ROCPRIM_400000_NS6detail17trampoline_kernelINS0_14default_configENS1_38merge_sort_block_merge_config_selectorIfNS0_10empty_typeEEEZZNS1_27merge_sort_block_merge_implIS3_PfPS5_jNS1_19radix_merge_compareILb0ELb0EfNS0_19identity_decomposerEEEEE10hipError_tT0_T1_T2_jT3_P12ihipStream_tbPNSt15iterator_traitsISE_E10value_typeEPNSK_ISF_E10value_typeEPSG_NS1_7vsmem_tEENKUlT_SE_SF_SG_E_clIS8_S8_S9_S9_EESD_ST_SE_SF_SG_EUlST_E_NS1_11comp_targetILNS1_3genE2ELNS1_11target_archE906ELNS1_3gpuE6ELNS1_3repE0EEENS1_48merge_mergepath_partition_config_static_selectorELNS0_4arch9wavefront6targetE0EEEvSF_, .Lfunc_end1369-_ZN7rocprim17ROCPRIM_400000_NS6detail17trampoline_kernelINS0_14default_configENS1_38merge_sort_block_merge_config_selectorIfNS0_10empty_typeEEEZZNS1_27merge_sort_block_merge_implIS3_PfPS5_jNS1_19radix_merge_compareILb0ELb0EfNS0_19identity_decomposerEEEEE10hipError_tT0_T1_T2_jT3_P12ihipStream_tbPNSt15iterator_traitsISE_E10value_typeEPNSK_ISF_E10value_typeEPSG_NS1_7vsmem_tEENKUlT_SE_SF_SG_E_clIS8_S8_S9_S9_EESD_ST_SE_SF_SG_EUlST_E_NS1_11comp_targetILNS1_3genE2ELNS1_11target_archE906ELNS1_3gpuE6ELNS1_3repE0EEENS1_48merge_mergepath_partition_config_static_selectorELNS0_4arch9wavefront6targetE0EEEvSF_
                                        ; -- End function
	.set _ZN7rocprim17ROCPRIM_400000_NS6detail17trampoline_kernelINS0_14default_configENS1_38merge_sort_block_merge_config_selectorIfNS0_10empty_typeEEEZZNS1_27merge_sort_block_merge_implIS3_PfPS5_jNS1_19radix_merge_compareILb0ELb0EfNS0_19identity_decomposerEEEEE10hipError_tT0_T1_T2_jT3_P12ihipStream_tbPNSt15iterator_traitsISE_E10value_typeEPNSK_ISF_E10value_typeEPSG_NS1_7vsmem_tEENKUlT_SE_SF_SG_E_clIS8_S8_S9_S9_EESD_ST_SE_SF_SG_EUlST_E_NS1_11comp_targetILNS1_3genE2ELNS1_11target_archE906ELNS1_3gpuE6ELNS1_3repE0EEENS1_48merge_mergepath_partition_config_static_selectorELNS0_4arch9wavefront6targetE0EEEvSF_.num_vgpr, 0
	.set _ZN7rocprim17ROCPRIM_400000_NS6detail17trampoline_kernelINS0_14default_configENS1_38merge_sort_block_merge_config_selectorIfNS0_10empty_typeEEEZZNS1_27merge_sort_block_merge_implIS3_PfPS5_jNS1_19radix_merge_compareILb0ELb0EfNS0_19identity_decomposerEEEEE10hipError_tT0_T1_T2_jT3_P12ihipStream_tbPNSt15iterator_traitsISE_E10value_typeEPNSK_ISF_E10value_typeEPSG_NS1_7vsmem_tEENKUlT_SE_SF_SG_E_clIS8_S8_S9_S9_EESD_ST_SE_SF_SG_EUlST_E_NS1_11comp_targetILNS1_3genE2ELNS1_11target_archE906ELNS1_3gpuE6ELNS1_3repE0EEENS1_48merge_mergepath_partition_config_static_selectorELNS0_4arch9wavefront6targetE0EEEvSF_.num_agpr, 0
	.set _ZN7rocprim17ROCPRIM_400000_NS6detail17trampoline_kernelINS0_14default_configENS1_38merge_sort_block_merge_config_selectorIfNS0_10empty_typeEEEZZNS1_27merge_sort_block_merge_implIS3_PfPS5_jNS1_19radix_merge_compareILb0ELb0EfNS0_19identity_decomposerEEEEE10hipError_tT0_T1_T2_jT3_P12ihipStream_tbPNSt15iterator_traitsISE_E10value_typeEPNSK_ISF_E10value_typeEPSG_NS1_7vsmem_tEENKUlT_SE_SF_SG_E_clIS8_S8_S9_S9_EESD_ST_SE_SF_SG_EUlST_E_NS1_11comp_targetILNS1_3genE2ELNS1_11target_archE906ELNS1_3gpuE6ELNS1_3repE0EEENS1_48merge_mergepath_partition_config_static_selectorELNS0_4arch9wavefront6targetE0EEEvSF_.numbered_sgpr, 0
	.set _ZN7rocprim17ROCPRIM_400000_NS6detail17trampoline_kernelINS0_14default_configENS1_38merge_sort_block_merge_config_selectorIfNS0_10empty_typeEEEZZNS1_27merge_sort_block_merge_implIS3_PfPS5_jNS1_19radix_merge_compareILb0ELb0EfNS0_19identity_decomposerEEEEE10hipError_tT0_T1_T2_jT3_P12ihipStream_tbPNSt15iterator_traitsISE_E10value_typeEPNSK_ISF_E10value_typeEPSG_NS1_7vsmem_tEENKUlT_SE_SF_SG_E_clIS8_S8_S9_S9_EESD_ST_SE_SF_SG_EUlST_E_NS1_11comp_targetILNS1_3genE2ELNS1_11target_archE906ELNS1_3gpuE6ELNS1_3repE0EEENS1_48merge_mergepath_partition_config_static_selectorELNS0_4arch9wavefront6targetE0EEEvSF_.num_named_barrier, 0
	.set _ZN7rocprim17ROCPRIM_400000_NS6detail17trampoline_kernelINS0_14default_configENS1_38merge_sort_block_merge_config_selectorIfNS0_10empty_typeEEEZZNS1_27merge_sort_block_merge_implIS3_PfPS5_jNS1_19radix_merge_compareILb0ELb0EfNS0_19identity_decomposerEEEEE10hipError_tT0_T1_T2_jT3_P12ihipStream_tbPNSt15iterator_traitsISE_E10value_typeEPNSK_ISF_E10value_typeEPSG_NS1_7vsmem_tEENKUlT_SE_SF_SG_E_clIS8_S8_S9_S9_EESD_ST_SE_SF_SG_EUlST_E_NS1_11comp_targetILNS1_3genE2ELNS1_11target_archE906ELNS1_3gpuE6ELNS1_3repE0EEENS1_48merge_mergepath_partition_config_static_selectorELNS0_4arch9wavefront6targetE0EEEvSF_.private_seg_size, 0
	.set _ZN7rocprim17ROCPRIM_400000_NS6detail17trampoline_kernelINS0_14default_configENS1_38merge_sort_block_merge_config_selectorIfNS0_10empty_typeEEEZZNS1_27merge_sort_block_merge_implIS3_PfPS5_jNS1_19radix_merge_compareILb0ELb0EfNS0_19identity_decomposerEEEEE10hipError_tT0_T1_T2_jT3_P12ihipStream_tbPNSt15iterator_traitsISE_E10value_typeEPNSK_ISF_E10value_typeEPSG_NS1_7vsmem_tEENKUlT_SE_SF_SG_E_clIS8_S8_S9_S9_EESD_ST_SE_SF_SG_EUlST_E_NS1_11comp_targetILNS1_3genE2ELNS1_11target_archE906ELNS1_3gpuE6ELNS1_3repE0EEENS1_48merge_mergepath_partition_config_static_selectorELNS0_4arch9wavefront6targetE0EEEvSF_.uses_vcc, 0
	.set _ZN7rocprim17ROCPRIM_400000_NS6detail17trampoline_kernelINS0_14default_configENS1_38merge_sort_block_merge_config_selectorIfNS0_10empty_typeEEEZZNS1_27merge_sort_block_merge_implIS3_PfPS5_jNS1_19radix_merge_compareILb0ELb0EfNS0_19identity_decomposerEEEEE10hipError_tT0_T1_T2_jT3_P12ihipStream_tbPNSt15iterator_traitsISE_E10value_typeEPNSK_ISF_E10value_typeEPSG_NS1_7vsmem_tEENKUlT_SE_SF_SG_E_clIS8_S8_S9_S9_EESD_ST_SE_SF_SG_EUlST_E_NS1_11comp_targetILNS1_3genE2ELNS1_11target_archE906ELNS1_3gpuE6ELNS1_3repE0EEENS1_48merge_mergepath_partition_config_static_selectorELNS0_4arch9wavefront6targetE0EEEvSF_.uses_flat_scratch, 0
	.set _ZN7rocprim17ROCPRIM_400000_NS6detail17trampoline_kernelINS0_14default_configENS1_38merge_sort_block_merge_config_selectorIfNS0_10empty_typeEEEZZNS1_27merge_sort_block_merge_implIS3_PfPS5_jNS1_19radix_merge_compareILb0ELb0EfNS0_19identity_decomposerEEEEE10hipError_tT0_T1_T2_jT3_P12ihipStream_tbPNSt15iterator_traitsISE_E10value_typeEPNSK_ISF_E10value_typeEPSG_NS1_7vsmem_tEENKUlT_SE_SF_SG_E_clIS8_S8_S9_S9_EESD_ST_SE_SF_SG_EUlST_E_NS1_11comp_targetILNS1_3genE2ELNS1_11target_archE906ELNS1_3gpuE6ELNS1_3repE0EEENS1_48merge_mergepath_partition_config_static_selectorELNS0_4arch9wavefront6targetE0EEEvSF_.has_dyn_sized_stack, 0
	.set _ZN7rocprim17ROCPRIM_400000_NS6detail17trampoline_kernelINS0_14default_configENS1_38merge_sort_block_merge_config_selectorIfNS0_10empty_typeEEEZZNS1_27merge_sort_block_merge_implIS3_PfPS5_jNS1_19radix_merge_compareILb0ELb0EfNS0_19identity_decomposerEEEEE10hipError_tT0_T1_T2_jT3_P12ihipStream_tbPNSt15iterator_traitsISE_E10value_typeEPNSK_ISF_E10value_typeEPSG_NS1_7vsmem_tEENKUlT_SE_SF_SG_E_clIS8_S8_S9_S9_EESD_ST_SE_SF_SG_EUlST_E_NS1_11comp_targetILNS1_3genE2ELNS1_11target_archE906ELNS1_3gpuE6ELNS1_3repE0EEENS1_48merge_mergepath_partition_config_static_selectorELNS0_4arch9wavefront6targetE0EEEvSF_.has_recursion, 0
	.set _ZN7rocprim17ROCPRIM_400000_NS6detail17trampoline_kernelINS0_14default_configENS1_38merge_sort_block_merge_config_selectorIfNS0_10empty_typeEEEZZNS1_27merge_sort_block_merge_implIS3_PfPS5_jNS1_19radix_merge_compareILb0ELb0EfNS0_19identity_decomposerEEEEE10hipError_tT0_T1_T2_jT3_P12ihipStream_tbPNSt15iterator_traitsISE_E10value_typeEPNSK_ISF_E10value_typeEPSG_NS1_7vsmem_tEENKUlT_SE_SF_SG_E_clIS8_S8_S9_S9_EESD_ST_SE_SF_SG_EUlST_E_NS1_11comp_targetILNS1_3genE2ELNS1_11target_archE906ELNS1_3gpuE6ELNS1_3repE0EEENS1_48merge_mergepath_partition_config_static_selectorELNS0_4arch9wavefront6targetE0EEEvSF_.has_indirect_call, 0
	.section	.AMDGPU.csdata,"",@progbits
; Kernel info:
; codeLenInByte = 0
; TotalNumSgprs: 0
; NumVgprs: 0
; ScratchSize: 0
; MemoryBound: 0
; FloatMode: 240
; IeeeMode: 1
; LDSByteSize: 0 bytes/workgroup (compile time only)
; SGPRBlocks: 0
; VGPRBlocks: 0
; NumSGPRsForWavesPerEU: 1
; NumVGPRsForWavesPerEU: 1
; NamedBarCnt: 0
; Occupancy: 16
; WaveLimiterHint : 0
; COMPUTE_PGM_RSRC2:SCRATCH_EN: 0
; COMPUTE_PGM_RSRC2:USER_SGPR: 2
; COMPUTE_PGM_RSRC2:TRAP_HANDLER: 0
; COMPUTE_PGM_RSRC2:TGID_X_EN: 1
; COMPUTE_PGM_RSRC2:TGID_Y_EN: 0
; COMPUTE_PGM_RSRC2:TGID_Z_EN: 0
; COMPUTE_PGM_RSRC2:TIDIG_COMP_CNT: 0
	.section	.text._ZN7rocprim17ROCPRIM_400000_NS6detail17trampoline_kernelINS0_14default_configENS1_38merge_sort_block_merge_config_selectorIfNS0_10empty_typeEEEZZNS1_27merge_sort_block_merge_implIS3_PfPS5_jNS1_19radix_merge_compareILb0ELb0EfNS0_19identity_decomposerEEEEE10hipError_tT0_T1_T2_jT3_P12ihipStream_tbPNSt15iterator_traitsISE_E10value_typeEPNSK_ISF_E10value_typeEPSG_NS1_7vsmem_tEENKUlT_SE_SF_SG_E_clIS8_S8_S9_S9_EESD_ST_SE_SF_SG_EUlST_E_NS1_11comp_targetILNS1_3genE9ELNS1_11target_archE1100ELNS1_3gpuE3ELNS1_3repE0EEENS1_48merge_mergepath_partition_config_static_selectorELNS0_4arch9wavefront6targetE0EEEvSF_,"axG",@progbits,_ZN7rocprim17ROCPRIM_400000_NS6detail17trampoline_kernelINS0_14default_configENS1_38merge_sort_block_merge_config_selectorIfNS0_10empty_typeEEEZZNS1_27merge_sort_block_merge_implIS3_PfPS5_jNS1_19radix_merge_compareILb0ELb0EfNS0_19identity_decomposerEEEEE10hipError_tT0_T1_T2_jT3_P12ihipStream_tbPNSt15iterator_traitsISE_E10value_typeEPNSK_ISF_E10value_typeEPSG_NS1_7vsmem_tEENKUlT_SE_SF_SG_E_clIS8_S8_S9_S9_EESD_ST_SE_SF_SG_EUlST_E_NS1_11comp_targetILNS1_3genE9ELNS1_11target_archE1100ELNS1_3gpuE3ELNS1_3repE0EEENS1_48merge_mergepath_partition_config_static_selectorELNS0_4arch9wavefront6targetE0EEEvSF_,comdat
	.protected	_ZN7rocprim17ROCPRIM_400000_NS6detail17trampoline_kernelINS0_14default_configENS1_38merge_sort_block_merge_config_selectorIfNS0_10empty_typeEEEZZNS1_27merge_sort_block_merge_implIS3_PfPS5_jNS1_19radix_merge_compareILb0ELb0EfNS0_19identity_decomposerEEEEE10hipError_tT0_T1_T2_jT3_P12ihipStream_tbPNSt15iterator_traitsISE_E10value_typeEPNSK_ISF_E10value_typeEPSG_NS1_7vsmem_tEENKUlT_SE_SF_SG_E_clIS8_S8_S9_S9_EESD_ST_SE_SF_SG_EUlST_E_NS1_11comp_targetILNS1_3genE9ELNS1_11target_archE1100ELNS1_3gpuE3ELNS1_3repE0EEENS1_48merge_mergepath_partition_config_static_selectorELNS0_4arch9wavefront6targetE0EEEvSF_ ; -- Begin function _ZN7rocprim17ROCPRIM_400000_NS6detail17trampoline_kernelINS0_14default_configENS1_38merge_sort_block_merge_config_selectorIfNS0_10empty_typeEEEZZNS1_27merge_sort_block_merge_implIS3_PfPS5_jNS1_19radix_merge_compareILb0ELb0EfNS0_19identity_decomposerEEEEE10hipError_tT0_T1_T2_jT3_P12ihipStream_tbPNSt15iterator_traitsISE_E10value_typeEPNSK_ISF_E10value_typeEPSG_NS1_7vsmem_tEENKUlT_SE_SF_SG_E_clIS8_S8_S9_S9_EESD_ST_SE_SF_SG_EUlST_E_NS1_11comp_targetILNS1_3genE9ELNS1_11target_archE1100ELNS1_3gpuE3ELNS1_3repE0EEENS1_48merge_mergepath_partition_config_static_selectorELNS0_4arch9wavefront6targetE0EEEvSF_
	.globl	_ZN7rocprim17ROCPRIM_400000_NS6detail17trampoline_kernelINS0_14default_configENS1_38merge_sort_block_merge_config_selectorIfNS0_10empty_typeEEEZZNS1_27merge_sort_block_merge_implIS3_PfPS5_jNS1_19radix_merge_compareILb0ELb0EfNS0_19identity_decomposerEEEEE10hipError_tT0_T1_T2_jT3_P12ihipStream_tbPNSt15iterator_traitsISE_E10value_typeEPNSK_ISF_E10value_typeEPSG_NS1_7vsmem_tEENKUlT_SE_SF_SG_E_clIS8_S8_S9_S9_EESD_ST_SE_SF_SG_EUlST_E_NS1_11comp_targetILNS1_3genE9ELNS1_11target_archE1100ELNS1_3gpuE3ELNS1_3repE0EEENS1_48merge_mergepath_partition_config_static_selectorELNS0_4arch9wavefront6targetE0EEEvSF_
	.p2align	8
	.type	_ZN7rocprim17ROCPRIM_400000_NS6detail17trampoline_kernelINS0_14default_configENS1_38merge_sort_block_merge_config_selectorIfNS0_10empty_typeEEEZZNS1_27merge_sort_block_merge_implIS3_PfPS5_jNS1_19radix_merge_compareILb0ELb0EfNS0_19identity_decomposerEEEEE10hipError_tT0_T1_T2_jT3_P12ihipStream_tbPNSt15iterator_traitsISE_E10value_typeEPNSK_ISF_E10value_typeEPSG_NS1_7vsmem_tEENKUlT_SE_SF_SG_E_clIS8_S8_S9_S9_EESD_ST_SE_SF_SG_EUlST_E_NS1_11comp_targetILNS1_3genE9ELNS1_11target_archE1100ELNS1_3gpuE3ELNS1_3repE0EEENS1_48merge_mergepath_partition_config_static_selectorELNS0_4arch9wavefront6targetE0EEEvSF_,@function
_ZN7rocprim17ROCPRIM_400000_NS6detail17trampoline_kernelINS0_14default_configENS1_38merge_sort_block_merge_config_selectorIfNS0_10empty_typeEEEZZNS1_27merge_sort_block_merge_implIS3_PfPS5_jNS1_19radix_merge_compareILb0ELb0EfNS0_19identity_decomposerEEEEE10hipError_tT0_T1_T2_jT3_P12ihipStream_tbPNSt15iterator_traitsISE_E10value_typeEPNSK_ISF_E10value_typeEPSG_NS1_7vsmem_tEENKUlT_SE_SF_SG_E_clIS8_S8_S9_S9_EESD_ST_SE_SF_SG_EUlST_E_NS1_11comp_targetILNS1_3genE9ELNS1_11target_archE1100ELNS1_3gpuE3ELNS1_3repE0EEENS1_48merge_mergepath_partition_config_static_selectorELNS0_4arch9wavefront6targetE0EEEvSF_: ; @_ZN7rocprim17ROCPRIM_400000_NS6detail17trampoline_kernelINS0_14default_configENS1_38merge_sort_block_merge_config_selectorIfNS0_10empty_typeEEEZZNS1_27merge_sort_block_merge_implIS3_PfPS5_jNS1_19radix_merge_compareILb0ELb0EfNS0_19identity_decomposerEEEEE10hipError_tT0_T1_T2_jT3_P12ihipStream_tbPNSt15iterator_traitsISE_E10value_typeEPNSK_ISF_E10value_typeEPSG_NS1_7vsmem_tEENKUlT_SE_SF_SG_E_clIS8_S8_S9_S9_EESD_ST_SE_SF_SG_EUlST_E_NS1_11comp_targetILNS1_3genE9ELNS1_11target_archE1100ELNS1_3gpuE3ELNS1_3repE0EEENS1_48merge_mergepath_partition_config_static_selectorELNS0_4arch9wavefront6targetE0EEEvSF_
; %bb.0:
	.section	.rodata,"a",@progbits
	.p2align	6, 0x0
	.amdhsa_kernel _ZN7rocprim17ROCPRIM_400000_NS6detail17trampoline_kernelINS0_14default_configENS1_38merge_sort_block_merge_config_selectorIfNS0_10empty_typeEEEZZNS1_27merge_sort_block_merge_implIS3_PfPS5_jNS1_19radix_merge_compareILb0ELb0EfNS0_19identity_decomposerEEEEE10hipError_tT0_T1_T2_jT3_P12ihipStream_tbPNSt15iterator_traitsISE_E10value_typeEPNSK_ISF_E10value_typeEPSG_NS1_7vsmem_tEENKUlT_SE_SF_SG_E_clIS8_S8_S9_S9_EESD_ST_SE_SF_SG_EUlST_E_NS1_11comp_targetILNS1_3genE9ELNS1_11target_archE1100ELNS1_3gpuE3ELNS1_3repE0EEENS1_48merge_mergepath_partition_config_static_selectorELNS0_4arch9wavefront6targetE0EEEvSF_
		.amdhsa_group_segment_fixed_size 0
		.amdhsa_private_segment_fixed_size 0
		.amdhsa_kernarg_size 40
		.amdhsa_user_sgpr_count 2
		.amdhsa_user_sgpr_dispatch_ptr 0
		.amdhsa_user_sgpr_queue_ptr 0
		.amdhsa_user_sgpr_kernarg_segment_ptr 1
		.amdhsa_user_sgpr_dispatch_id 0
		.amdhsa_user_sgpr_kernarg_preload_length 0
		.amdhsa_user_sgpr_kernarg_preload_offset 0
		.amdhsa_user_sgpr_private_segment_size 0
		.amdhsa_wavefront_size32 1
		.amdhsa_uses_dynamic_stack 0
		.amdhsa_enable_private_segment 0
		.amdhsa_system_sgpr_workgroup_id_x 1
		.amdhsa_system_sgpr_workgroup_id_y 0
		.amdhsa_system_sgpr_workgroup_id_z 0
		.amdhsa_system_sgpr_workgroup_info 0
		.amdhsa_system_vgpr_workitem_id 0
		.amdhsa_next_free_vgpr 1
		.amdhsa_next_free_sgpr 1
		.amdhsa_named_barrier_count 0
		.amdhsa_reserve_vcc 0
		.amdhsa_float_round_mode_32 0
		.amdhsa_float_round_mode_16_64 0
		.amdhsa_float_denorm_mode_32 3
		.amdhsa_float_denorm_mode_16_64 3
		.amdhsa_fp16_overflow 0
		.amdhsa_memory_ordered 1
		.amdhsa_forward_progress 1
		.amdhsa_inst_pref_size 0
		.amdhsa_round_robin_scheduling 0
		.amdhsa_exception_fp_ieee_invalid_op 0
		.amdhsa_exception_fp_denorm_src 0
		.amdhsa_exception_fp_ieee_div_zero 0
		.amdhsa_exception_fp_ieee_overflow 0
		.amdhsa_exception_fp_ieee_underflow 0
		.amdhsa_exception_fp_ieee_inexact 0
		.amdhsa_exception_int_div_zero 0
	.end_amdhsa_kernel
	.section	.text._ZN7rocprim17ROCPRIM_400000_NS6detail17trampoline_kernelINS0_14default_configENS1_38merge_sort_block_merge_config_selectorIfNS0_10empty_typeEEEZZNS1_27merge_sort_block_merge_implIS3_PfPS5_jNS1_19radix_merge_compareILb0ELb0EfNS0_19identity_decomposerEEEEE10hipError_tT0_T1_T2_jT3_P12ihipStream_tbPNSt15iterator_traitsISE_E10value_typeEPNSK_ISF_E10value_typeEPSG_NS1_7vsmem_tEENKUlT_SE_SF_SG_E_clIS8_S8_S9_S9_EESD_ST_SE_SF_SG_EUlST_E_NS1_11comp_targetILNS1_3genE9ELNS1_11target_archE1100ELNS1_3gpuE3ELNS1_3repE0EEENS1_48merge_mergepath_partition_config_static_selectorELNS0_4arch9wavefront6targetE0EEEvSF_,"axG",@progbits,_ZN7rocprim17ROCPRIM_400000_NS6detail17trampoline_kernelINS0_14default_configENS1_38merge_sort_block_merge_config_selectorIfNS0_10empty_typeEEEZZNS1_27merge_sort_block_merge_implIS3_PfPS5_jNS1_19radix_merge_compareILb0ELb0EfNS0_19identity_decomposerEEEEE10hipError_tT0_T1_T2_jT3_P12ihipStream_tbPNSt15iterator_traitsISE_E10value_typeEPNSK_ISF_E10value_typeEPSG_NS1_7vsmem_tEENKUlT_SE_SF_SG_E_clIS8_S8_S9_S9_EESD_ST_SE_SF_SG_EUlST_E_NS1_11comp_targetILNS1_3genE9ELNS1_11target_archE1100ELNS1_3gpuE3ELNS1_3repE0EEENS1_48merge_mergepath_partition_config_static_selectorELNS0_4arch9wavefront6targetE0EEEvSF_,comdat
.Lfunc_end1370:
	.size	_ZN7rocprim17ROCPRIM_400000_NS6detail17trampoline_kernelINS0_14default_configENS1_38merge_sort_block_merge_config_selectorIfNS0_10empty_typeEEEZZNS1_27merge_sort_block_merge_implIS3_PfPS5_jNS1_19radix_merge_compareILb0ELb0EfNS0_19identity_decomposerEEEEE10hipError_tT0_T1_T2_jT3_P12ihipStream_tbPNSt15iterator_traitsISE_E10value_typeEPNSK_ISF_E10value_typeEPSG_NS1_7vsmem_tEENKUlT_SE_SF_SG_E_clIS8_S8_S9_S9_EESD_ST_SE_SF_SG_EUlST_E_NS1_11comp_targetILNS1_3genE9ELNS1_11target_archE1100ELNS1_3gpuE3ELNS1_3repE0EEENS1_48merge_mergepath_partition_config_static_selectorELNS0_4arch9wavefront6targetE0EEEvSF_, .Lfunc_end1370-_ZN7rocprim17ROCPRIM_400000_NS6detail17trampoline_kernelINS0_14default_configENS1_38merge_sort_block_merge_config_selectorIfNS0_10empty_typeEEEZZNS1_27merge_sort_block_merge_implIS3_PfPS5_jNS1_19radix_merge_compareILb0ELb0EfNS0_19identity_decomposerEEEEE10hipError_tT0_T1_T2_jT3_P12ihipStream_tbPNSt15iterator_traitsISE_E10value_typeEPNSK_ISF_E10value_typeEPSG_NS1_7vsmem_tEENKUlT_SE_SF_SG_E_clIS8_S8_S9_S9_EESD_ST_SE_SF_SG_EUlST_E_NS1_11comp_targetILNS1_3genE9ELNS1_11target_archE1100ELNS1_3gpuE3ELNS1_3repE0EEENS1_48merge_mergepath_partition_config_static_selectorELNS0_4arch9wavefront6targetE0EEEvSF_
                                        ; -- End function
	.set _ZN7rocprim17ROCPRIM_400000_NS6detail17trampoline_kernelINS0_14default_configENS1_38merge_sort_block_merge_config_selectorIfNS0_10empty_typeEEEZZNS1_27merge_sort_block_merge_implIS3_PfPS5_jNS1_19radix_merge_compareILb0ELb0EfNS0_19identity_decomposerEEEEE10hipError_tT0_T1_T2_jT3_P12ihipStream_tbPNSt15iterator_traitsISE_E10value_typeEPNSK_ISF_E10value_typeEPSG_NS1_7vsmem_tEENKUlT_SE_SF_SG_E_clIS8_S8_S9_S9_EESD_ST_SE_SF_SG_EUlST_E_NS1_11comp_targetILNS1_3genE9ELNS1_11target_archE1100ELNS1_3gpuE3ELNS1_3repE0EEENS1_48merge_mergepath_partition_config_static_selectorELNS0_4arch9wavefront6targetE0EEEvSF_.num_vgpr, 0
	.set _ZN7rocprim17ROCPRIM_400000_NS6detail17trampoline_kernelINS0_14default_configENS1_38merge_sort_block_merge_config_selectorIfNS0_10empty_typeEEEZZNS1_27merge_sort_block_merge_implIS3_PfPS5_jNS1_19radix_merge_compareILb0ELb0EfNS0_19identity_decomposerEEEEE10hipError_tT0_T1_T2_jT3_P12ihipStream_tbPNSt15iterator_traitsISE_E10value_typeEPNSK_ISF_E10value_typeEPSG_NS1_7vsmem_tEENKUlT_SE_SF_SG_E_clIS8_S8_S9_S9_EESD_ST_SE_SF_SG_EUlST_E_NS1_11comp_targetILNS1_3genE9ELNS1_11target_archE1100ELNS1_3gpuE3ELNS1_3repE0EEENS1_48merge_mergepath_partition_config_static_selectorELNS0_4arch9wavefront6targetE0EEEvSF_.num_agpr, 0
	.set _ZN7rocprim17ROCPRIM_400000_NS6detail17trampoline_kernelINS0_14default_configENS1_38merge_sort_block_merge_config_selectorIfNS0_10empty_typeEEEZZNS1_27merge_sort_block_merge_implIS3_PfPS5_jNS1_19radix_merge_compareILb0ELb0EfNS0_19identity_decomposerEEEEE10hipError_tT0_T1_T2_jT3_P12ihipStream_tbPNSt15iterator_traitsISE_E10value_typeEPNSK_ISF_E10value_typeEPSG_NS1_7vsmem_tEENKUlT_SE_SF_SG_E_clIS8_S8_S9_S9_EESD_ST_SE_SF_SG_EUlST_E_NS1_11comp_targetILNS1_3genE9ELNS1_11target_archE1100ELNS1_3gpuE3ELNS1_3repE0EEENS1_48merge_mergepath_partition_config_static_selectorELNS0_4arch9wavefront6targetE0EEEvSF_.numbered_sgpr, 0
	.set _ZN7rocprim17ROCPRIM_400000_NS6detail17trampoline_kernelINS0_14default_configENS1_38merge_sort_block_merge_config_selectorIfNS0_10empty_typeEEEZZNS1_27merge_sort_block_merge_implIS3_PfPS5_jNS1_19radix_merge_compareILb0ELb0EfNS0_19identity_decomposerEEEEE10hipError_tT0_T1_T2_jT3_P12ihipStream_tbPNSt15iterator_traitsISE_E10value_typeEPNSK_ISF_E10value_typeEPSG_NS1_7vsmem_tEENKUlT_SE_SF_SG_E_clIS8_S8_S9_S9_EESD_ST_SE_SF_SG_EUlST_E_NS1_11comp_targetILNS1_3genE9ELNS1_11target_archE1100ELNS1_3gpuE3ELNS1_3repE0EEENS1_48merge_mergepath_partition_config_static_selectorELNS0_4arch9wavefront6targetE0EEEvSF_.num_named_barrier, 0
	.set _ZN7rocprim17ROCPRIM_400000_NS6detail17trampoline_kernelINS0_14default_configENS1_38merge_sort_block_merge_config_selectorIfNS0_10empty_typeEEEZZNS1_27merge_sort_block_merge_implIS3_PfPS5_jNS1_19radix_merge_compareILb0ELb0EfNS0_19identity_decomposerEEEEE10hipError_tT0_T1_T2_jT3_P12ihipStream_tbPNSt15iterator_traitsISE_E10value_typeEPNSK_ISF_E10value_typeEPSG_NS1_7vsmem_tEENKUlT_SE_SF_SG_E_clIS8_S8_S9_S9_EESD_ST_SE_SF_SG_EUlST_E_NS1_11comp_targetILNS1_3genE9ELNS1_11target_archE1100ELNS1_3gpuE3ELNS1_3repE0EEENS1_48merge_mergepath_partition_config_static_selectorELNS0_4arch9wavefront6targetE0EEEvSF_.private_seg_size, 0
	.set _ZN7rocprim17ROCPRIM_400000_NS6detail17trampoline_kernelINS0_14default_configENS1_38merge_sort_block_merge_config_selectorIfNS0_10empty_typeEEEZZNS1_27merge_sort_block_merge_implIS3_PfPS5_jNS1_19radix_merge_compareILb0ELb0EfNS0_19identity_decomposerEEEEE10hipError_tT0_T1_T2_jT3_P12ihipStream_tbPNSt15iterator_traitsISE_E10value_typeEPNSK_ISF_E10value_typeEPSG_NS1_7vsmem_tEENKUlT_SE_SF_SG_E_clIS8_S8_S9_S9_EESD_ST_SE_SF_SG_EUlST_E_NS1_11comp_targetILNS1_3genE9ELNS1_11target_archE1100ELNS1_3gpuE3ELNS1_3repE0EEENS1_48merge_mergepath_partition_config_static_selectorELNS0_4arch9wavefront6targetE0EEEvSF_.uses_vcc, 0
	.set _ZN7rocprim17ROCPRIM_400000_NS6detail17trampoline_kernelINS0_14default_configENS1_38merge_sort_block_merge_config_selectorIfNS0_10empty_typeEEEZZNS1_27merge_sort_block_merge_implIS3_PfPS5_jNS1_19radix_merge_compareILb0ELb0EfNS0_19identity_decomposerEEEEE10hipError_tT0_T1_T2_jT3_P12ihipStream_tbPNSt15iterator_traitsISE_E10value_typeEPNSK_ISF_E10value_typeEPSG_NS1_7vsmem_tEENKUlT_SE_SF_SG_E_clIS8_S8_S9_S9_EESD_ST_SE_SF_SG_EUlST_E_NS1_11comp_targetILNS1_3genE9ELNS1_11target_archE1100ELNS1_3gpuE3ELNS1_3repE0EEENS1_48merge_mergepath_partition_config_static_selectorELNS0_4arch9wavefront6targetE0EEEvSF_.uses_flat_scratch, 0
	.set _ZN7rocprim17ROCPRIM_400000_NS6detail17trampoline_kernelINS0_14default_configENS1_38merge_sort_block_merge_config_selectorIfNS0_10empty_typeEEEZZNS1_27merge_sort_block_merge_implIS3_PfPS5_jNS1_19radix_merge_compareILb0ELb0EfNS0_19identity_decomposerEEEEE10hipError_tT0_T1_T2_jT3_P12ihipStream_tbPNSt15iterator_traitsISE_E10value_typeEPNSK_ISF_E10value_typeEPSG_NS1_7vsmem_tEENKUlT_SE_SF_SG_E_clIS8_S8_S9_S9_EESD_ST_SE_SF_SG_EUlST_E_NS1_11comp_targetILNS1_3genE9ELNS1_11target_archE1100ELNS1_3gpuE3ELNS1_3repE0EEENS1_48merge_mergepath_partition_config_static_selectorELNS0_4arch9wavefront6targetE0EEEvSF_.has_dyn_sized_stack, 0
	.set _ZN7rocprim17ROCPRIM_400000_NS6detail17trampoline_kernelINS0_14default_configENS1_38merge_sort_block_merge_config_selectorIfNS0_10empty_typeEEEZZNS1_27merge_sort_block_merge_implIS3_PfPS5_jNS1_19radix_merge_compareILb0ELb0EfNS0_19identity_decomposerEEEEE10hipError_tT0_T1_T2_jT3_P12ihipStream_tbPNSt15iterator_traitsISE_E10value_typeEPNSK_ISF_E10value_typeEPSG_NS1_7vsmem_tEENKUlT_SE_SF_SG_E_clIS8_S8_S9_S9_EESD_ST_SE_SF_SG_EUlST_E_NS1_11comp_targetILNS1_3genE9ELNS1_11target_archE1100ELNS1_3gpuE3ELNS1_3repE0EEENS1_48merge_mergepath_partition_config_static_selectorELNS0_4arch9wavefront6targetE0EEEvSF_.has_recursion, 0
	.set _ZN7rocprim17ROCPRIM_400000_NS6detail17trampoline_kernelINS0_14default_configENS1_38merge_sort_block_merge_config_selectorIfNS0_10empty_typeEEEZZNS1_27merge_sort_block_merge_implIS3_PfPS5_jNS1_19radix_merge_compareILb0ELb0EfNS0_19identity_decomposerEEEEE10hipError_tT0_T1_T2_jT3_P12ihipStream_tbPNSt15iterator_traitsISE_E10value_typeEPNSK_ISF_E10value_typeEPSG_NS1_7vsmem_tEENKUlT_SE_SF_SG_E_clIS8_S8_S9_S9_EESD_ST_SE_SF_SG_EUlST_E_NS1_11comp_targetILNS1_3genE9ELNS1_11target_archE1100ELNS1_3gpuE3ELNS1_3repE0EEENS1_48merge_mergepath_partition_config_static_selectorELNS0_4arch9wavefront6targetE0EEEvSF_.has_indirect_call, 0
	.section	.AMDGPU.csdata,"",@progbits
; Kernel info:
; codeLenInByte = 0
; TotalNumSgprs: 0
; NumVgprs: 0
; ScratchSize: 0
; MemoryBound: 0
; FloatMode: 240
; IeeeMode: 1
; LDSByteSize: 0 bytes/workgroup (compile time only)
; SGPRBlocks: 0
; VGPRBlocks: 0
; NumSGPRsForWavesPerEU: 1
; NumVGPRsForWavesPerEU: 1
; NamedBarCnt: 0
; Occupancy: 16
; WaveLimiterHint : 0
; COMPUTE_PGM_RSRC2:SCRATCH_EN: 0
; COMPUTE_PGM_RSRC2:USER_SGPR: 2
; COMPUTE_PGM_RSRC2:TRAP_HANDLER: 0
; COMPUTE_PGM_RSRC2:TGID_X_EN: 1
; COMPUTE_PGM_RSRC2:TGID_Y_EN: 0
; COMPUTE_PGM_RSRC2:TGID_Z_EN: 0
; COMPUTE_PGM_RSRC2:TIDIG_COMP_CNT: 0
	.section	.text._ZN7rocprim17ROCPRIM_400000_NS6detail17trampoline_kernelINS0_14default_configENS1_38merge_sort_block_merge_config_selectorIfNS0_10empty_typeEEEZZNS1_27merge_sort_block_merge_implIS3_PfPS5_jNS1_19radix_merge_compareILb0ELb0EfNS0_19identity_decomposerEEEEE10hipError_tT0_T1_T2_jT3_P12ihipStream_tbPNSt15iterator_traitsISE_E10value_typeEPNSK_ISF_E10value_typeEPSG_NS1_7vsmem_tEENKUlT_SE_SF_SG_E_clIS8_S8_S9_S9_EESD_ST_SE_SF_SG_EUlST_E_NS1_11comp_targetILNS1_3genE8ELNS1_11target_archE1030ELNS1_3gpuE2ELNS1_3repE0EEENS1_48merge_mergepath_partition_config_static_selectorELNS0_4arch9wavefront6targetE0EEEvSF_,"axG",@progbits,_ZN7rocprim17ROCPRIM_400000_NS6detail17trampoline_kernelINS0_14default_configENS1_38merge_sort_block_merge_config_selectorIfNS0_10empty_typeEEEZZNS1_27merge_sort_block_merge_implIS3_PfPS5_jNS1_19radix_merge_compareILb0ELb0EfNS0_19identity_decomposerEEEEE10hipError_tT0_T1_T2_jT3_P12ihipStream_tbPNSt15iterator_traitsISE_E10value_typeEPNSK_ISF_E10value_typeEPSG_NS1_7vsmem_tEENKUlT_SE_SF_SG_E_clIS8_S8_S9_S9_EESD_ST_SE_SF_SG_EUlST_E_NS1_11comp_targetILNS1_3genE8ELNS1_11target_archE1030ELNS1_3gpuE2ELNS1_3repE0EEENS1_48merge_mergepath_partition_config_static_selectorELNS0_4arch9wavefront6targetE0EEEvSF_,comdat
	.protected	_ZN7rocprim17ROCPRIM_400000_NS6detail17trampoline_kernelINS0_14default_configENS1_38merge_sort_block_merge_config_selectorIfNS0_10empty_typeEEEZZNS1_27merge_sort_block_merge_implIS3_PfPS5_jNS1_19radix_merge_compareILb0ELb0EfNS0_19identity_decomposerEEEEE10hipError_tT0_T1_T2_jT3_P12ihipStream_tbPNSt15iterator_traitsISE_E10value_typeEPNSK_ISF_E10value_typeEPSG_NS1_7vsmem_tEENKUlT_SE_SF_SG_E_clIS8_S8_S9_S9_EESD_ST_SE_SF_SG_EUlST_E_NS1_11comp_targetILNS1_3genE8ELNS1_11target_archE1030ELNS1_3gpuE2ELNS1_3repE0EEENS1_48merge_mergepath_partition_config_static_selectorELNS0_4arch9wavefront6targetE0EEEvSF_ ; -- Begin function _ZN7rocprim17ROCPRIM_400000_NS6detail17trampoline_kernelINS0_14default_configENS1_38merge_sort_block_merge_config_selectorIfNS0_10empty_typeEEEZZNS1_27merge_sort_block_merge_implIS3_PfPS5_jNS1_19radix_merge_compareILb0ELb0EfNS0_19identity_decomposerEEEEE10hipError_tT0_T1_T2_jT3_P12ihipStream_tbPNSt15iterator_traitsISE_E10value_typeEPNSK_ISF_E10value_typeEPSG_NS1_7vsmem_tEENKUlT_SE_SF_SG_E_clIS8_S8_S9_S9_EESD_ST_SE_SF_SG_EUlST_E_NS1_11comp_targetILNS1_3genE8ELNS1_11target_archE1030ELNS1_3gpuE2ELNS1_3repE0EEENS1_48merge_mergepath_partition_config_static_selectorELNS0_4arch9wavefront6targetE0EEEvSF_
	.globl	_ZN7rocprim17ROCPRIM_400000_NS6detail17trampoline_kernelINS0_14default_configENS1_38merge_sort_block_merge_config_selectorIfNS0_10empty_typeEEEZZNS1_27merge_sort_block_merge_implIS3_PfPS5_jNS1_19radix_merge_compareILb0ELb0EfNS0_19identity_decomposerEEEEE10hipError_tT0_T1_T2_jT3_P12ihipStream_tbPNSt15iterator_traitsISE_E10value_typeEPNSK_ISF_E10value_typeEPSG_NS1_7vsmem_tEENKUlT_SE_SF_SG_E_clIS8_S8_S9_S9_EESD_ST_SE_SF_SG_EUlST_E_NS1_11comp_targetILNS1_3genE8ELNS1_11target_archE1030ELNS1_3gpuE2ELNS1_3repE0EEENS1_48merge_mergepath_partition_config_static_selectorELNS0_4arch9wavefront6targetE0EEEvSF_
	.p2align	8
	.type	_ZN7rocprim17ROCPRIM_400000_NS6detail17trampoline_kernelINS0_14default_configENS1_38merge_sort_block_merge_config_selectorIfNS0_10empty_typeEEEZZNS1_27merge_sort_block_merge_implIS3_PfPS5_jNS1_19radix_merge_compareILb0ELb0EfNS0_19identity_decomposerEEEEE10hipError_tT0_T1_T2_jT3_P12ihipStream_tbPNSt15iterator_traitsISE_E10value_typeEPNSK_ISF_E10value_typeEPSG_NS1_7vsmem_tEENKUlT_SE_SF_SG_E_clIS8_S8_S9_S9_EESD_ST_SE_SF_SG_EUlST_E_NS1_11comp_targetILNS1_3genE8ELNS1_11target_archE1030ELNS1_3gpuE2ELNS1_3repE0EEENS1_48merge_mergepath_partition_config_static_selectorELNS0_4arch9wavefront6targetE0EEEvSF_,@function
_ZN7rocprim17ROCPRIM_400000_NS6detail17trampoline_kernelINS0_14default_configENS1_38merge_sort_block_merge_config_selectorIfNS0_10empty_typeEEEZZNS1_27merge_sort_block_merge_implIS3_PfPS5_jNS1_19radix_merge_compareILb0ELb0EfNS0_19identity_decomposerEEEEE10hipError_tT0_T1_T2_jT3_P12ihipStream_tbPNSt15iterator_traitsISE_E10value_typeEPNSK_ISF_E10value_typeEPSG_NS1_7vsmem_tEENKUlT_SE_SF_SG_E_clIS8_S8_S9_S9_EESD_ST_SE_SF_SG_EUlST_E_NS1_11comp_targetILNS1_3genE8ELNS1_11target_archE1030ELNS1_3gpuE2ELNS1_3repE0EEENS1_48merge_mergepath_partition_config_static_selectorELNS0_4arch9wavefront6targetE0EEEvSF_: ; @_ZN7rocprim17ROCPRIM_400000_NS6detail17trampoline_kernelINS0_14default_configENS1_38merge_sort_block_merge_config_selectorIfNS0_10empty_typeEEEZZNS1_27merge_sort_block_merge_implIS3_PfPS5_jNS1_19radix_merge_compareILb0ELb0EfNS0_19identity_decomposerEEEEE10hipError_tT0_T1_T2_jT3_P12ihipStream_tbPNSt15iterator_traitsISE_E10value_typeEPNSK_ISF_E10value_typeEPSG_NS1_7vsmem_tEENKUlT_SE_SF_SG_E_clIS8_S8_S9_S9_EESD_ST_SE_SF_SG_EUlST_E_NS1_11comp_targetILNS1_3genE8ELNS1_11target_archE1030ELNS1_3gpuE2ELNS1_3repE0EEENS1_48merge_mergepath_partition_config_static_selectorELNS0_4arch9wavefront6targetE0EEEvSF_
; %bb.0:
	.section	.rodata,"a",@progbits
	.p2align	6, 0x0
	.amdhsa_kernel _ZN7rocprim17ROCPRIM_400000_NS6detail17trampoline_kernelINS0_14default_configENS1_38merge_sort_block_merge_config_selectorIfNS0_10empty_typeEEEZZNS1_27merge_sort_block_merge_implIS3_PfPS5_jNS1_19radix_merge_compareILb0ELb0EfNS0_19identity_decomposerEEEEE10hipError_tT0_T1_T2_jT3_P12ihipStream_tbPNSt15iterator_traitsISE_E10value_typeEPNSK_ISF_E10value_typeEPSG_NS1_7vsmem_tEENKUlT_SE_SF_SG_E_clIS8_S8_S9_S9_EESD_ST_SE_SF_SG_EUlST_E_NS1_11comp_targetILNS1_3genE8ELNS1_11target_archE1030ELNS1_3gpuE2ELNS1_3repE0EEENS1_48merge_mergepath_partition_config_static_selectorELNS0_4arch9wavefront6targetE0EEEvSF_
		.amdhsa_group_segment_fixed_size 0
		.amdhsa_private_segment_fixed_size 0
		.amdhsa_kernarg_size 40
		.amdhsa_user_sgpr_count 2
		.amdhsa_user_sgpr_dispatch_ptr 0
		.amdhsa_user_sgpr_queue_ptr 0
		.amdhsa_user_sgpr_kernarg_segment_ptr 1
		.amdhsa_user_sgpr_dispatch_id 0
		.amdhsa_user_sgpr_kernarg_preload_length 0
		.amdhsa_user_sgpr_kernarg_preload_offset 0
		.amdhsa_user_sgpr_private_segment_size 0
		.amdhsa_wavefront_size32 1
		.amdhsa_uses_dynamic_stack 0
		.amdhsa_enable_private_segment 0
		.amdhsa_system_sgpr_workgroup_id_x 1
		.amdhsa_system_sgpr_workgroup_id_y 0
		.amdhsa_system_sgpr_workgroup_id_z 0
		.amdhsa_system_sgpr_workgroup_info 0
		.amdhsa_system_vgpr_workitem_id 0
		.amdhsa_next_free_vgpr 1
		.amdhsa_next_free_sgpr 1
		.amdhsa_named_barrier_count 0
		.amdhsa_reserve_vcc 0
		.amdhsa_float_round_mode_32 0
		.amdhsa_float_round_mode_16_64 0
		.amdhsa_float_denorm_mode_32 3
		.amdhsa_float_denorm_mode_16_64 3
		.amdhsa_fp16_overflow 0
		.amdhsa_memory_ordered 1
		.amdhsa_forward_progress 1
		.amdhsa_inst_pref_size 0
		.amdhsa_round_robin_scheduling 0
		.amdhsa_exception_fp_ieee_invalid_op 0
		.amdhsa_exception_fp_denorm_src 0
		.amdhsa_exception_fp_ieee_div_zero 0
		.amdhsa_exception_fp_ieee_overflow 0
		.amdhsa_exception_fp_ieee_underflow 0
		.amdhsa_exception_fp_ieee_inexact 0
		.amdhsa_exception_int_div_zero 0
	.end_amdhsa_kernel
	.section	.text._ZN7rocprim17ROCPRIM_400000_NS6detail17trampoline_kernelINS0_14default_configENS1_38merge_sort_block_merge_config_selectorIfNS0_10empty_typeEEEZZNS1_27merge_sort_block_merge_implIS3_PfPS5_jNS1_19radix_merge_compareILb0ELb0EfNS0_19identity_decomposerEEEEE10hipError_tT0_T1_T2_jT3_P12ihipStream_tbPNSt15iterator_traitsISE_E10value_typeEPNSK_ISF_E10value_typeEPSG_NS1_7vsmem_tEENKUlT_SE_SF_SG_E_clIS8_S8_S9_S9_EESD_ST_SE_SF_SG_EUlST_E_NS1_11comp_targetILNS1_3genE8ELNS1_11target_archE1030ELNS1_3gpuE2ELNS1_3repE0EEENS1_48merge_mergepath_partition_config_static_selectorELNS0_4arch9wavefront6targetE0EEEvSF_,"axG",@progbits,_ZN7rocprim17ROCPRIM_400000_NS6detail17trampoline_kernelINS0_14default_configENS1_38merge_sort_block_merge_config_selectorIfNS0_10empty_typeEEEZZNS1_27merge_sort_block_merge_implIS3_PfPS5_jNS1_19radix_merge_compareILb0ELb0EfNS0_19identity_decomposerEEEEE10hipError_tT0_T1_T2_jT3_P12ihipStream_tbPNSt15iterator_traitsISE_E10value_typeEPNSK_ISF_E10value_typeEPSG_NS1_7vsmem_tEENKUlT_SE_SF_SG_E_clIS8_S8_S9_S9_EESD_ST_SE_SF_SG_EUlST_E_NS1_11comp_targetILNS1_3genE8ELNS1_11target_archE1030ELNS1_3gpuE2ELNS1_3repE0EEENS1_48merge_mergepath_partition_config_static_selectorELNS0_4arch9wavefront6targetE0EEEvSF_,comdat
.Lfunc_end1371:
	.size	_ZN7rocprim17ROCPRIM_400000_NS6detail17trampoline_kernelINS0_14default_configENS1_38merge_sort_block_merge_config_selectorIfNS0_10empty_typeEEEZZNS1_27merge_sort_block_merge_implIS3_PfPS5_jNS1_19radix_merge_compareILb0ELb0EfNS0_19identity_decomposerEEEEE10hipError_tT0_T1_T2_jT3_P12ihipStream_tbPNSt15iterator_traitsISE_E10value_typeEPNSK_ISF_E10value_typeEPSG_NS1_7vsmem_tEENKUlT_SE_SF_SG_E_clIS8_S8_S9_S9_EESD_ST_SE_SF_SG_EUlST_E_NS1_11comp_targetILNS1_3genE8ELNS1_11target_archE1030ELNS1_3gpuE2ELNS1_3repE0EEENS1_48merge_mergepath_partition_config_static_selectorELNS0_4arch9wavefront6targetE0EEEvSF_, .Lfunc_end1371-_ZN7rocprim17ROCPRIM_400000_NS6detail17trampoline_kernelINS0_14default_configENS1_38merge_sort_block_merge_config_selectorIfNS0_10empty_typeEEEZZNS1_27merge_sort_block_merge_implIS3_PfPS5_jNS1_19radix_merge_compareILb0ELb0EfNS0_19identity_decomposerEEEEE10hipError_tT0_T1_T2_jT3_P12ihipStream_tbPNSt15iterator_traitsISE_E10value_typeEPNSK_ISF_E10value_typeEPSG_NS1_7vsmem_tEENKUlT_SE_SF_SG_E_clIS8_S8_S9_S9_EESD_ST_SE_SF_SG_EUlST_E_NS1_11comp_targetILNS1_3genE8ELNS1_11target_archE1030ELNS1_3gpuE2ELNS1_3repE0EEENS1_48merge_mergepath_partition_config_static_selectorELNS0_4arch9wavefront6targetE0EEEvSF_
                                        ; -- End function
	.set _ZN7rocprim17ROCPRIM_400000_NS6detail17trampoline_kernelINS0_14default_configENS1_38merge_sort_block_merge_config_selectorIfNS0_10empty_typeEEEZZNS1_27merge_sort_block_merge_implIS3_PfPS5_jNS1_19radix_merge_compareILb0ELb0EfNS0_19identity_decomposerEEEEE10hipError_tT0_T1_T2_jT3_P12ihipStream_tbPNSt15iterator_traitsISE_E10value_typeEPNSK_ISF_E10value_typeEPSG_NS1_7vsmem_tEENKUlT_SE_SF_SG_E_clIS8_S8_S9_S9_EESD_ST_SE_SF_SG_EUlST_E_NS1_11comp_targetILNS1_3genE8ELNS1_11target_archE1030ELNS1_3gpuE2ELNS1_3repE0EEENS1_48merge_mergepath_partition_config_static_selectorELNS0_4arch9wavefront6targetE0EEEvSF_.num_vgpr, 0
	.set _ZN7rocprim17ROCPRIM_400000_NS6detail17trampoline_kernelINS0_14default_configENS1_38merge_sort_block_merge_config_selectorIfNS0_10empty_typeEEEZZNS1_27merge_sort_block_merge_implIS3_PfPS5_jNS1_19radix_merge_compareILb0ELb0EfNS0_19identity_decomposerEEEEE10hipError_tT0_T1_T2_jT3_P12ihipStream_tbPNSt15iterator_traitsISE_E10value_typeEPNSK_ISF_E10value_typeEPSG_NS1_7vsmem_tEENKUlT_SE_SF_SG_E_clIS8_S8_S9_S9_EESD_ST_SE_SF_SG_EUlST_E_NS1_11comp_targetILNS1_3genE8ELNS1_11target_archE1030ELNS1_3gpuE2ELNS1_3repE0EEENS1_48merge_mergepath_partition_config_static_selectorELNS0_4arch9wavefront6targetE0EEEvSF_.num_agpr, 0
	.set _ZN7rocprim17ROCPRIM_400000_NS6detail17trampoline_kernelINS0_14default_configENS1_38merge_sort_block_merge_config_selectorIfNS0_10empty_typeEEEZZNS1_27merge_sort_block_merge_implIS3_PfPS5_jNS1_19radix_merge_compareILb0ELb0EfNS0_19identity_decomposerEEEEE10hipError_tT0_T1_T2_jT3_P12ihipStream_tbPNSt15iterator_traitsISE_E10value_typeEPNSK_ISF_E10value_typeEPSG_NS1_7vsmem_tEENKUlT_SE_SF_SG_E_clIS8_S8_S9_S9_EESD_ST_SE_SF_SG_EUlST_E_NS1_11comp_targetILNS1_3genE8ELNS1_11target_archE1030ELNS1_3gpuE2ELNS1_3repE0EEENS1_48merge_mergepath_partition_config_static_selectorELNS0_4arch9wavefront6targetE0EEEvSF_.numbered_sgpr, 0
	.set _ZN7rocprim17ROCPRIM_400000_NS6detail17trampoline_kernelINS0_14default_configENS1_38merge_sort_block_merge_config_selectorIfNS0_10empty_typeEEEZZNS1_27merge_sort_block_merge_implIS3_PfPS5_jNS1_19radix_merge_compareILb0ELb0EfNS0_19identity_decomposerEEEEE10hipError_tT0_T1_T2_jT3_P12ihipStream_tbPNSt15iterator_traitsISE_E10value_typeEPNSK_ISF_E10value_typeEPSG_NS1_7vsmem_tEENKUlT_SE_SF_SG_E_clIS8_S8_S9_S9_EESD_ST_SE_SF_SG_EUlST_E_NS1_11comp_targetILNS1_3genE8ELNS1_11target_archE1030ELNS1_3gpuE2ELNS1_3repE0EEENS1_48merge_mergepath_partition_config_static_selectorELNS0_4arch9wavefront6targetE0EEEvSF_.num_named_barrier, 0
	.set _ZN7rocprim17ROCPRIM_400000_NS6detail17trampoline_kernelINS0_14default_configENS1_38merge_sort_block_merge_config_selectorIfNS0_10empty_typeEEEZZNS1_27merge_sort_block_merge_implIS3_PfPS5_jNS1_19radix_merge_compareILb0ELb0EfNS0_19identity_decomposerEEEEE10hipError_tT0_T1_T2_jT3_P12ihipStream_tbPNSt15iterator_traitsISE_E10value_typeEPNSK_ISF_E10value_typeEPSG_NS1_7vsmem_tEENKUlT_SE_SF_SG_E_clIS8_S8_S9_S9_EESD_ST_SE_SF_SG_EUlST_E_NS1_11comp_targetILNS1_3genE8ELNS1_11target_archE1030ELNS1_3gpuE2ELNS1_3repE0EEENS1_48merge_mergepath_partition_config_static_selectorELNS0_4arch9wavefront6targetE0EEEvSF_.private_seg_size, 0
	.set _ZN7rocprim17ROCPRIM_400000_NS6detail17trampoline_kernelINS0_14default_configENS1_38merge_sort_block_merge_config_selectorIfNS0_10empty_typeEEEZZNS1_27merge_sort_block_merge_implIS3_PfPS5_jNS1_19radix_merge_compareILb0ELb0EfNS0_19identity_decomposerEEEEE10hipError_tT0_T1_T2_jT3_P12ihipStream_tbPNSt15iterator_traitsISE_E10value_typeEPNSK_ISF_E10value_typeEPSG_NS1_7vsmem_tEENKUlT_SE_SF_SG_E_clIS8_S8_S9_S9_EESD_ST_SE_SF_SG_EUlST_E_NS1_11comp_targetILNS1_3genE8ELNS1_11target_archE1030ELNS1_3gpuE2ELNS1_3repE0EEENS1_48merge_mergepath_partition_config_static_selectorELNS0_4arch9wavefront6targetE0EEEvSF_.uses_vcc, 0
	.set _ZN7rocprim17ROCPRIM_400000_NS6detail17trampoline_kernelINS0_14default_configENS1_38merge_sort_block_merge_config_selectorIfNS0_10empty_typeEEEZZNS1_27merge_sort_block_merge_implIS3_PfPS5_jNS1_19radix_merge_compareILb0ELb0EfNS0_19identity_decomposerEEEEE10hipError_tT0_T1_T2_jT3_P12ihipStream_tbPNSt15iterator_traitsISE_E10value_typeEPNSK_ISF_E10value_typeEPSG_NS1_7vsmem_tEENKUlT_SE_SF_SG_E_clIS8_S8_S9_S9_EESD_ST_SE_SF_SG_EUlST_E_NS1_11comp_targetILNS1_3genE8ELNS1_11target_archE1030ELNS1_3gpuE2ELNS1_3repE0EEENS1_48merge_mergepath_partition_config_static_selectorELNS0_4arch9wavefront6targetE0EEEvSF_.uses_flat_scratch, 0
	.set _ZN7rocprim17ROCPRIM_400000_NS6detail17trampoline_kernelINS0_14default_configENS1_38merge_sort_block_merge_config_selectorIfNS0_10empty_typeEEEZZNS1_27merge_sort_block_merge_implIS3_PfPS5_jNS1_19radix_merge_compareILb0ELb0EfNS0_19identity_decomposerEEEEE10hipError_tT0_T1_T2_jT3_P12ihipStream_tbPNSt15iterator_traitsISE_E10value_typeEPNSK_ISF_E10value_typeEPSG_NS1_7vsmem_tEENKUlT_SE_SF_SG_E_clIS8_S8_S9_S9_EESD_ST_SE_SF_SG_EUlST_E_NS1_11comp_targetILNS1_3genE8ELNS1_11target_archE1030ELNS1_3gpuE2ELNS1_3repE0EEENS1_48merge_mergepath_partition_config_static_selectorELNS0_4arch9wavefront6targetE0EEEvSF_.has_dyn_sized_stack, 0
	.set _ZN7rocprim17ROCPRIM_400000_NS6detail17trampoline_kernelINS0_14default_configENS1_38merge_sort_block_merge_config_selectorIfNS0_10empty_typeEEEZZNS1_27merge_sort_block_merge_implIS3_PfPS5_jNS1_19radix_merge_compareILb0ELb0EfNS0_19identity_decomposerEEEEE10hipError_tT0_T1_T2_jT3_P12ihipStream_tbPNSt15iterator_traitsISE_E10value_typeEPNSK_ISF_E10value_typeEPSG_NS1_7vsmem_tEENKUlT_SE_SF_SG_E_clIS8_S8_S9_S9_EESD_ST_SE_SF_SG_EUlST_E_NS1_11comp_targetILNS1_3genE8ELNS1_11target_archE1030ELNS1_3gpuE2ELNS1_3repE0EEENS1_48merge_mergepath_partition_config_static_selectorELNS0_4arch9wavefront6targetE0EEEvSF_.has_recursion, 0
	.set _ZN7rocprim17ROCPRIM_400000_NS6detail17trampoline_kernelINS0_14default_configENS1_38merge_sort_block_merge_config_selectorIfNS0_10empty_typeEEEZZNS1_27merge_sort_block_merge_implIS3_PfPS5_jNS1_19radix_merge_compareILb0ELb0EfNS0_19identity_decomposerEEEEE10hipError_tT0_T1_T2_jT3_P12ihipStream_tbPNSt15iterator_traitsISE_E10value_typeEPNSK_ISF_E10value_typeEPSG_NS1_7vsmem_tEENKUlT_SE_SF_SG_E_clIS8_S8_S9_S9_EESD_ST_SE_SF_SG_EUlST_E_NS1_11comp_targetILNS1_3genE8ELNS1_11target_archE1030ELNS1_3gpuE2ELNS1_3repE0EEENS1_48merge_mergepath_partition_config_static_selectorELNS0_4arch9wavefront6targetE0EEEvSF_.has_indirect_call, 0
	.section	.AMDGPU.csdata,"",@progbits
; Kernel info:
; codeLenInByte = 0
; TotalNumSgprs: 0
; NumVgprs: 0
; ScratchSize: 0
; MemoryBound: 0
; FloatMode: 240
; IeeeMode: 1
; LDSByteSize: 0 bytes/workgroup (compile time only)
; SGPRBlocks: 0
; VGPRBlocks: 0
; NumSGPRsForWavesPerEU: 1
; NumVGPRsForWavesPerEU: 1
; NamedBarCnt: 0
; Occupancy: 16
; WaveLimiterHint : 0
; COMPUTE_PGM_RSRC2:SCRATCH_EN: 0
; COMPUTE_PGM_RSRC2:USER_SGPR: 2
; COMPUTE_PGM_RSRC2:TRAP_HANDLER: 0
; COMPUTE_PGM_RSRC2:TGID_X_EN: 1
; COMPUTE_PGM_RSRC2:TGID_Y_EN: 0
; COMPUTE_PGM_RSRC2:TGID_Z_EN: 0
; COMPUTE_PGM_RSRC2:TIDIG_COMP_CNT: 0
	.section	.text._ZN7rocprim17ROCPRIM_400000_NS6detail17trampoline_kernelINS0_14default_configENS1_38merge_sort_block_merge_config_selectorIfNS0_10empty_typeEEEZZNS1_27merge_sort_block_merge_implIS3_PfPS5_jNS1_19radix_merge_compareILb0ELb0EfNS0_19identity_decomposerEEEEE10hipError_tT0_T1_T2_jT3_P12ihipStream_tbPNSt15iterator_traitsISE_E10value_typeEPNSK_ISF_E10value_typeEPSG_NS1_7vsmem_tEENKUlT_SE_SF_SG_E_clIS8_S8_S9_S9_EESD_ST_SE_SF_SG_EUlST_E0_NS1_11comp_targetILNS1_3genE0ELNS1_11target_archE4294967295ELNS1_3gpuE0ELNS1_3repE0EEENS1_38merge_mergepath_config_static_selectorELNS0_4arch9wavefront6targetE0EEEvSF_,"axG",@progbits,_ZN7rocprim17ROCPRIM_400000_NS6detail17trampoline_kernelINS0_14default_configENS1_38merge_sort_block_merge_config_selectorIfNS0_10empty_typeEEEZZNS1_27merge_sort_block_merge_implIS3_PfPS5_jNS1_19radix_merge_compareILb0ELb0EfNS0_19identity_decomposerEEEEE10hipError_tT0_T1_T2_jT3_P12ihipStream_tbPNSt15iterator_traitsISE_E10value_typeEPNSK_ISF_E10value_typeEPSG_NS1_7vsmem_tEENKUlT_SE_SF_SG_E_clIS8_S8_S9_S9_EESD_ST_SE_SF_SG_EUlST_E0_NS1_11comp_targetILNS1_3genE0ELNS1_11target_archE4294967295ELNS1_3gpuE0ELNS1_3repE0EEENS1_38merge_mergepath_config_static_selectorELNS0_4arch9wavefront6targetE0EEEvSF_,comdat
	.protected	_ZN7rocprim17ROCPRIM_400000_NS6detail17trampoline_kernelINS0_14default_configENS1_38merge_sort_block_merge_config_selectorIfNS0_10empty_typeEEEZZNS1_27merge_sort_block_merge_implIS3_PfPS5_jNS1_19radix_merge_compareILb0ELb0EfNS0_19identity_decomposerEEEEE10hipError_tT0_T1_T2_jT3_P12ihipStream_tbPNSt15iterator_traitsISE_E10value_typeEPNSK_ISF_E10value_typeEPSG_NS1_7vsmem_tEENKUlT_SE_SF_SG_E_clIS8_S8_S9_S9_EESD_ST_SE_SF_SG_EUlST_E0_NS1_11comp_targetILNS1_3genE0ELNS1_11target_archE4294967295ELNS1_3gpuE0ELNS1_3repE0EEENS1_38merge_mergepath_config_static_selectorELNS0_4arch9wavefront6targetE0EEEvSF_ ; -- Begin function _ZN7rocprim17ROCPRIM_400000_NS6detail17trampoline_kernelINS0_14default_configENS1_38merge_sort_block_merge_config_selectorIfNS0_10empty_typeEEEZZNS1_27merge_sort_block_merge_implIS3_PfPS5_jNS1_19radix_merge_compareILb0ELb0EfNS0_19identity_decomposerEEEEE10hipError_tT0_T1_T2_jT3_P12ihipStream_tbPNSt15iterator_traitsISE_E10value_typeEPNSK_ISF_E10value_typeEPSG_NS1_7vsmem_tEENKUlT_SE_SF_SG_E_clIS8_S8_S9_S9_EESD_ST_SE_SF_SG_EUlST_E0_NS1_11comp_targetILNS1_3genE0ELNS1_11target_archE4294967295ELNS1_3gpuE0ELNS1_3repE0EEENS1_38merge_mergepath_config_static_selectorELNS0_4arch9wavefront6targetE0EEEvSF_
	.globl	_ZN7rocprim17ROCPRIM_400000_NS6detail17trampoline_kernelINS0_14default_configENS1_38merge_sort_block_merge_config_selectorIfNS0_10empty_typeEEEZZNS1_27merge_sort_block_merge_implIS3_PfPS5_jNS1_19radix_merge_compareILb0ELb0EfNS0_19identity_decomposerEEEEE10hipError_tT0_T1_T2_jT3_P12ihipStream_tbPNSt15iterator_traitsISE_E10value_typeEPNSK_ISF_E10value_typeEPSG_NS1_7vsmem_tEENKUlT_SE_SF_SG_E_clIS8_S8_S9_S9_EESD_ST_SE_SF_SG_EUlST_E0_NS1_11comp_targetILNS1_3genE0ELNS1_11target_archE4294967295ELNS1_3gpuE0ELNS1_3repE0EEENS1_38merge_mergepath_config_static_selectorELNS0_4arch9wavefront6targetE0EEEvSF_
	.p2align	8
	.type	_ZN7rocprim17ROCPRIM_400000_NS6detail17trampoline_kernelINS0_14default_configENS1_38merge_sort_block_merge_config_selectorIfNS0_10empty_typeEEEZZNS1_27merge_sort_block_merge_implIS3_PfPS5_jNS1_19radix_merge_compareILb0ELb0EfNS0_19identity_decomposerEEEEE10hipError_tT0_T1_T2_jT3_P12ihipStream_tbPNSt15iterator_traitsISE_E10value_typeEPNSK_ISF_E10value_typeEPSG_NS1_7vsmem_tEENKUlT_SE_SF_SG_E_clIS8_S8_S9_S9_EESD_ST_SE_SF_SG_EUlST_E0_NS1_11comp_targetILNS1_3genE0ELNS1_11target_archE4294967295ELNS1_3gpuE0ELNS1_3repE0EEENS1_38merge_mergepath_config_static_selectorELNS0_4arch9wavefront6targetE0EEEvSF_,@function
_ZN7rocprim17ROCPRIM_400000_NS6detail17trampoline_kernelINS0_14default_configENS1_38merge_sort_block_merge_config_selectorIfNS0_10empty_typeEEEZZNS1_27merge_sort_block_merge_implIS3_PfPS5_jNS1_19radix_merge_compareILb0ELb0EfNS0_19identity_decomposerEEEEE10hipError_tT0_T1_T2_jT3_P12ihipStream_tbPNSt15iterator_traitsISE_E10value_typeEPNSK_ISF_E10value_typeEPSG_NS1_7vsmem_tEENKUlT_SE_SF_SG_E_clIS8_S8_S9_S9_EESD_ST_SE_SF_SG_EUlST_E0_NS1_11comp_targetILNS1_3genE0ELNS1_11target_archE4294967295ELNS1_3gpuE0ELNS1_3repE0EEENS1_38merge_mergepath_config_static_selectorELNS0_4arch9wavefront6targetE0EEEvSF_: ; @_ZN7rocprim17ROCPRIM_400000_NS6detail17trampoline_kernelINS0_14default_configENS1_38merge_sort_block_merge_config_selectorIfNS0_10empty_typeEEEZZNS1_27merge_sort_block_merge_implIS3_PfPS5_jNS1_19radix_merge_compareILb0ELb0EfNS0_19identity_decomposerEEEEE10hipError_tT0_T1_T2_jT3_P12ihipStream_tbPNSt15iterator_traitsISE_E10value_typeEPNSK_ISF_E10value_typeEPSG_NS1_7vsmem_tEENKUlT_SE_SF_SG_E_clIS8_S8_S9_S9_EESD_ST_SE_SF_SG_EUlST_E0_NS1_11comp_targetILNS1_3genE0ELNS1_11target_archE4294967295ELNS1_3gpuE0ELNS1_3repE0EEENS1_38merge_mergepath_config_static_selectorELNS0_4arch9wavefront6targetE0EEEvSF_
; %bb.0:
	s_bfe_u32 s2, ttmp6, 0x40010
	s_and_b32 s4, ttmp7, 0xffff
	s_add_co_i32 s5, s2, 1
	s_clause 0x1
	s_load_b32 s6, s[0:1], 0x30
	s_load_b64 s[2:3], s[0:1], 0x40
	s_bfe_u32 s8, ttmp6, 0x4000c
	s_mul_i32 s5, s4, s5
	s_bfe_u32 s7, ttmp6, 0x40004
	s_add_co_i32 s8, s8, 1
	s_bfe_u32 s9, ttmp6, 0x40014
	s_add_co_i32 s7, s7, s5
	s_and_b32 s5, ttmp6, 15
	s_mul_i32 s8, ttmp9, s8
	s_lshr_b32 s10, ttmp7, 16
	s_add_co_i32 s9, s9, 1
	s_add_co_i32 s5, s5, s8
	s_mul_i32 s8, s10, s9
	s_bfe_u32 s9, ttmp6, 0x40008
	s_getreg_b32 s11, hwreg(HW_REG_IB_STS2, 6, 4)
	s_add_co_i32 s9, s9, s8
	s_cmp_eq_u32 s11, 0
	s_cselect_b32 s8, s10, s9
	s_cselect_b32 s4, s4, s7
	s_wait_kmcnt 0x0
	s_mul_i32 s8, s3, s8
	s_cselect_b32 s3, ttmp9, s5
	s_add_co_i32 s4, s8, s4
	s_mov_b32 s5, 0
	s_mul_i32 s4, s4, s2
	s_delay_alu instid0(SALU_CYCLE_1) | instskip(NEXT) | instid1(SALU_CYCLE_1)
	s_add_co_i32 s4, s4, s3
	s_cmp_ge_u32 s4, s6
	s_cbranch_scc1 .LBB1372_73
; %bb.1:
	v_mov_b32_e32 v11, 0
	s_add_nc_u64 s[10:11], s[0:1], 64
	v_lshlrev_b32_e32 v10, 2, v0
	global_load_b32 v1, v11, s[10:11] offset:14
	s_clause 0x2
	s_load_b64 s[6:7], s[0:1], 0x28
	s_load_b64 s[8:9], s[0:1], 0x38
	;; [unrolled: 1-line block ×3, first 2 shown]
	s_wait_kmcnt 0x0
	s_lshr_b32 s15, s6, 10
	s_delay_alu instid0(SALU_CYCLE_1) | instskip(SKIP_2) | instid1(SALU_CYCLE_1)
	s_cmp_lg_u32 s4, s15
	s_cselect_b32 s14, -1, 0
	s_lshl_b64 s[12:13], s[4:5], 2
	s_add_nc_u64 s[8:9], s[8:9], s[12:13]
	s_load_b64 s[12:13], s[8:9], 0x0
	s_wait_xcnt 0x0
	s_lshr_b32 s8, s7, 9
	s_delay_alu instid0(SALU_CYCLE_1) | instskip(NEXT) | instid1(SALU_CYCLE_1)
	s_and_b32 s8, s8, 0x7ffffe
	s_sub_co_i32 s9, 0, s8
	s_lshl_b32 s8, s4, 10
	s_and_b32 s18, s4, s9
	s_or_b32 s9, s4, s9
	s_lshl_b32 s19, s18, 11
	s_lshl_b32 s18, s18, 10
	s_add_co_i32 s19, s19, s7
	s_sub_co_i32 s20, s8, s18
	s_sub_co_i32 s18, s19, s18
	s_add_co_i32 s19, s19, s20
	s_min_u32 s20, s6, s18
	s_add_co_i32 s7, s18, s7
	s_wait_kmcnt 0x0
	s_sub_co_i32 s18, s19, s12
	s_sub_co_i32 s19, s19, s13
	s_min_u32 s18, s6, s18
	s_add_co_i32 s21, s19, 0x400
	s_cmp_eq_u32 s9, -1
	s_mov_b32 s19, s5
	s_cselect_b32 s7, s7, s21
	s_cselect_b32 s9, s20, s13
	s_mov_b32 s13, s5
	s_lshl_b64 s[20:21], s[18:19], 2
	s_min_u32 s19, s7, s6
	s_sub_co_i32 s7, s9, s12
	s_lshl_b64 s[12:13], s[12:13], 2
	s_sub_co_i32 s9, s19, s18
	s_cmp_lt_u32 s3, s2
	s_mov_b32 s3, s5
	s_cselect_b32 s2, 12, 18
	s_add_nc_u64 s[12:13], s[16:17], s[12:13]
	s_add_nc_u64 s[2:3], s[10:11], s[2:3]
	s_cmp_eq_u32 s4, s15
	s_load_u16 s2, s[2:3], 0x0
	s_add_nc_u64 s[10:11], s[16:17], s[20:21]
	s_wait_loadcnt 0x0
	v_lshrrev_b32_e32 v2, 16, v1
	v_and_b32_e32 v1, 0xffff, v1
	s_delay_alu instid0(VALU_DEP_1) | instskip(SKIP_1) | instid1(VALU_DEP_1)
	v_mul_lo_u32 v1, v1, v2
	s_wait_kmcnt 0x0
	v_mul_lo_u32 v1, v1, s2
	s_mov_b32 s2, -1
	s_delay_alu instid0(VALU_DEP_1) | instskip(NEXT) | instid1(VALU_DEP_1)
	v_add_nc_u32_e32 v14, v1, v0
	v_add_nc_u32_e32 v12, v14, v1
	s_cbranch_scc1 .LBB1372_3
; %bb.2:
	v_sub_co_u32 v4, vcc_lo, v0, s7
	v_dual_mov_b32 v5, v11 :: v_dual_mov_b32 v15, v11
	v_add_nc_u64_e32 v[2:3], s[12:13], v[10:11]
	v_sub_co_u32 v8, s2, v14, s7
	s_delay_alu instid0(VALU_DEP_3) | instskip(SKIP_3) | instid1(VALU_DEP_4)
	v_lshl_add_u64 v[4:5], v[4:5], 2, s[10:11]
	v_dual_mov_b32 v9, v11 :: v_dual_mov_b32 v13, v11
	v_lshl_add_u64 v[6:7], v[14:15], 2, s[12:13]
	v_dual_mov_b32 v17, v11 :: v_dual_add_nc_u32 v18, v12, v1
	v_dual_cndmask_b32 v3, v5, v3 :: v_dual_cndmask_b32 v2, v4, v2
	s_delay_alu instid0(VALU_DEP_4) | instskip(SKIP_3) | instid1(VALU_DEP_4)
	v_lshl_add_u64 v[4:5], v[8:9], 2, s[10:11]
	v_sub_co_u32 v16, vcc_lo, v12, s7
	v_mov_b32_e32 v19, v11
	v_lshl_add_u64 v[8:9], v[12:13], 2, s[12:13]
	v_dual_cndmask_b32 v5, v5, v7, s2 :: v_dual_cndmask_b32 v4, v4, v6, s2
	v_mov_b32_e32 v21, v11
	v_lshl_add_u64 v[6:7], v[16:17], 2, s[10:11]
	v_lshl_add_u64 v[16:17], v[18:19], 2, s[12:13]
	v_sub_co_u32 v20, s2, v18, s7
	v_dual_mov_b32 v23, v11 :: v_dual_add_nc_u32 v18, v18, v1
	global_load_b32 v2, v[2:3], off
	global_load_b32 v3, v[4:5], off
	s_wait_xcnt 0x0
	v_dual_cndmask_b32 v5, v7, v9 :: v_dual_cndmask_b32 v4, v6, v8
	v_lshl_add_u64 v[6:7], v[20:21], 2, s[10:11]
	v_lshl_add_u64 v[8:9], v[18:19], 2, s[12:13]
	v_sub_co_u32 v20, vcc_lo, v18, s7
	v_dual_mov_b32 v25, v11 :: v_dual_add_nc_u32 v18, v18, v1
	s_delay_alu instid0(VALU_DEP_4) | instskip(NEXT) | instid1(VALU_DEP_3)
	v_dual_cndmask_b32 v17, v7, v17, s2 :: v_dual_cndmask_b32 v16, v6, v16, s2
	v_lshl_add_u64 v[6:7], v[20:21], 2, s[10:11]
	s_delay_alu instid0(VALU_DEP_3) | instskip(SKIP_2) | instid1(VALU_DEP_4)
	v_lshl_add_u64 v[20:21], v[18:19], 2, s[12:13]
	v_add_nc_u32_e32 v22, v18, v1
	v_sub_co_u32 v18, s2, v18, s7
	v_dual_cndmask_b32 v31, v7, v9 :: v_dual_cndmask_b32 v30, v6, v8
	global_load_b32 v4, v[4:5], off
	v_lshl_add_u64 v[18:19], v[18:19], 2, s[10:11]
	s_delay_alu instid0(VALU_DEP_1) | instskip(SKIP_3) | instid1(VALU_DEP_1)
	v_cndmask_b32_e64 v18, v18, v20, s2
	v_lshl_add_u64 v[26:27], v[22:23], 2, s[12:13]
	v_add_nc_u32_e32 v24, v22, v1
	v_sub_co_u32 v22, s3, v22, s7
	v_lshl_add_u64 v[22:23], v[22:23], 2, s[10:11]
	v_cndmask_b32_e64 v19, v19, v21, s2
	s_delay_alu instid0(VALU_DEP_2) | instskip(SKIP_3) | instid1(VALU_DEP_2)
	v_cndmask_b32_e64 v21, v23, v27, s3
	v_lshl_add_u64 v[28:29], v[24:25], 2, s[12:13]
	v_sub_co_u32 v24, s4, v24, s7
	v_cndmask_b32_e64 v20, v22, v26, s3
	v_lshl_add_u64 v[6:7], v[24:25], 2, s[10:11]
	s_delay_alu instid0(VALU_DEP_1)
	v_dual_cndmask_b32 v23, v7, v29, s4 :: v_dual_cndmask_b32 v22, v6, v28, s4
	global_load_b32 v5, v[16:17], off
	global_load_b32 v6, v[30:31], off
	global_load_b32 v7, v[18:19], off
	global_load_b32 v8, v[20:21], off
	global_load_b32 v9, v[22:23], off
	s_add_co_i32 s4, s9, s7
	s_cbranch_execz .LBB1372_4
	s_branch .LBB1372_19
.LBB1372_3:
                                        ; implicit-def: $vgpr2_vgpr3_vgpr4_vgpr5_vgpr6_vgpr7_vgpr8_vgpr9
                                        ; implicit-def: $sgpr4
	s_and_not1_b32 vcc_lo, exec_lo, s2
	s_cbranch_vccnz .LBB1372_19
.LBB1372_4:
	s_wait_loadcnt 0x7
	v_mov_b32_e32 v2, 0
	s_add_co_i32 s4, s9, s7
	s_mov_b32 s2, exec_lo
	s_wait_loadcnt 0x5
	s_delay_alu instid0(VALU_DEP_1)
	v_dual_mov_b32 v3, v2 :: v_dual_mov_b32 v4, v2
	s_wait_loadcnt 0x3
	v_dual_mov_b32 v5, v2 :: v_dual_mov_b32 v6, v2
	s_wait_loadcnt 0x1
	;; [unrolled: 2-line block ×3, first 2 shown]
	v_mov_b32_e32 v9, v2
	v_cmpx_gt_u32_e64 s4, v0
	s_cbranch_execnz .LBB1372_74
; %bb.5:
	s_or_b32 exec_lo, exec_lo, s2
	s_delay_alu instid0(SALU_CYCLE_1)
	s_mov_b32 s2, exec_lo
	v_cmpx_gt_u32_e64 s4, v14
	s_cbranch_execnz .LBB1372_75
.LBB1372_6:
	s_or_b32 exec_lo, exec_lo, s2
	s_delay_alu instid0(SALU_CYCLE_1)
	s_mov_b32 s2, exec_lo
	v_cmpx_gt_u32_e64 s4, v12
	s_cbranch_execz .LBB1372_8
.LBB1372_7:
	v_sub_co_u32 v16, vcc_lo, v12, s7
	v_mov_b32_e32 v13, 0
	s_delay_alu instid0(VALU_DEP_1) | instskip(SKIP_1) | instid1(VALU_DEP_1)
	v_lshl_add_u64 v[14:15], v[12:13], 2, s[12:13]
	v_mov_b32_e32 v17, v13
	v_lshl_add_u64 v[16:17], v[16:17], 2, s[10:11]
	s_delay_alu instid0(VALU_DEP_1)
	v_dual_cndmask_b32 v15, v17, v15 :: v_dual_cndmask_b32 v14, v16, v14
	global_load_b32 v4, v[14:15], off
.LBB1372_8:
	s_wait_xcnt 0x0
	s_or_b32 exec_lo, exec_lo, s2
	v_add_nc_u32_e32 v12, v12, v1
	s_mov_b32 s2, exec_lo
	s_delay_alu instid0(VALU_DEP_1)
	v_cmpx_gt_u32_e64 s4, v12
	s_cbranch_execz .LBB1372_10
; %bb.9:
	v_sub_co_u32 v16, vcc_lo, v12, s7
	v_mov_b32_e32 v13, 0
	s_delay_alu instid0(VALU_DEP_1) | instskip(SKIP_1) | instid1(VALU_DEP_1)
	v_lshl_add_u64 v[14:15], v[12:13], 2, s[12:13]
	v_mov_b32_e32 v17, v13
	v_lshl_add_u64 v[16:17], v[16:17], 2, s[10:11]
	s_delay_alu instid0(VALU_DEP_1)
	v_dual_cndmask_b32 v15, v17, v15 :: v_dual_cndmask_b32 v14, v16, v14
	global_load_b32 v5, v[14:15], off
.LBB1372_10:
	s_wait_xcnt 0x0
	s_or_b32 exec_lo, exec_lo, s2
	v_add_nc_u32_e32 v12, v12, v1
	s_mov_b32 s2, exec_lo
	s_delay_alu instid0(VALU_DEP_1)
	v_cmpx_gt_u32_e64 s4, v12
	s_cbranch_execz .LBB1372_12
; %bb.11:
	v_sub_co_u32 v16, vcc_lo, v12, s7
	v_mov_b32_e32 v13, 0
	s_delay_alu instid0(VALU_DEP_1) | instskip(SKIP_1) | instid1(VALU_DEP_1)
	v_lshl_add_u64 v[14:15], v[12:13], 2, s[12:13]
	v_mov_b32_e32 v17, v13
	v_lshl_add_u64 v[16:17], v[16:17], 2, s[10:11]
	s_delay_alu instid0(VALU_DEP_1)
	v_dual_cndmask_b32 v15, v17, v15 :: v_dual_cndmask_b32 v14, v16, v14
	global_load_b32 v6, v[14:15], off
.LBB1372_12:
	s_wait_xcnt 0x0
	s_or_b32 exec_lo, exec_lo, s2
	v_add_nc_u32_e32 v12, v12, v1
	s_mov_b32 s2, exec_lo
	s_delay_alu instid0(VALU_DEP_1)
	v_cmpx_gt_u32_e64 s4, v12
	s_cbranch_execz .LBB1372_14
; %bb.13:
	v_sub_co_u32 v16, vcc_lo, v12, s7
	v_mov_b32_e32 v13, 0
	s_delay_alu instid0(VALU_DEP_1) | instskip(SKIP_1) | instid1(VALU_DEP_1)
	v_lshl_add_u64 v[14:15], v[12:13], 2, s[12:13]
	v_mov_b32_e32 v17, v13
	v_lshl_add_u64 v[16:17], v[16:17], 2, s[10:11]
	s_delay_alu instid0(VALU_DEP_1)
	v_dual_cndmask_b32 v15, v17, v15 :: v_dual_cndmask_b32 v14, v16, v14
	global_load_b32 v7, v[14:15], off
.LBB1372_14:
	s_wait_xcnt 0x0
	s_or_b32 exec_lo, exec_lo, s2
	v_add_nc_u32_e32 v12, v12, v1
	s_mov_b32 s2, exec_lo
	s_delay_alu instid0(VALU_DEP_1)
	v_cmpx_gt_u32_e64 s4, v12
	s_cbranch_execz .LBB1372_16
; %bb.15:
	v_sub_co_u32 v16, vcc_lo, v12, s7
	v_mov_b32_e32 v13, 0
	s_delay_alu instid0(VALU_DEP_1) | instskip(SKIP_1) | instid1(VALU_DEP_1)
	v_lshl_add_u64 v[14:15], v[12:13], 2, s[12:13]
	v_mov_b32_e32 v17, v13
	v_lshl_add_u64 v[16:17], v[16:17], 2, s[10:11]
	s_delay_alu instid0(VALU_DEP_1)
	v_dual_cndmask_b32 v15, v17, v15 :: v_dual_cndmask_b32 v14, v16, v14
	global_load_b32 v8, v[14:15], off
.LBB1372_16:
	s_wait_xcnt 0x0
	s_or_b32 exec_lo, exec_lo, s2
	v_add_nc_u32_e32 v12, v12, v1
	s_mov_b32 s2, exec_lo
	s_delay_alu instid0(VALU_DEP_1)
	v_cmpx_gt_u32_e64 s4, v12
	s_cbranch_execz .LBB1372_18
; %bb.17:
	v_mov_b32_e32 v13, 0
	s_delay_alu instid0(VALU_DEP_1) | instskip(SKIP_1) | instid1(VALU_DEP_1)
	v_lshl_add_u64 v[14:15], v[12:13], 2, s[12:13]
	v_sub_co_u32 v12, vcc_lo, v12, s7
	v_lshl_add_u64 v[12:13], v[12:13], 2, s[10:11]
	s_delay_alu instid0(VALU_DEP_1)
	v_dual_cndmask_b32 v13, v13, v15 :: v_dual_cndmask_b32 v12, v12, v14
	global_load_b32 v9, v[12:13], off
.LBB1372_18:
	s_wait_xcnt 0x0
	s_or_b32 exec_lo, exec_lo, s2
.LBB1372_19:
	s_load_b64 s[2:3], s[0:1], 0x10
	v_lshlrev_b32_e32 v1, 3, v0
	s_wait_xcnt 0x0
	s_mov_b32 s0, exec_lo
	s_wait_loadcnt 0x0
	ds_store_2addr_stride64_b32 v10, v2, v3 offset1:2
	ds_store_2addr_stride64_b32 v10, v4, v5 offset0:4 offset1:6
	ds_store_2addr_stride64_b32 v10, v6, v7 offset0:8 offset1:10
	;; [unrolled: 1-line block ×3, first 2 shown]
	s_wait_dscnt 0x0
	s_barrier_signal -1
	v_min_u32_e32 v12, s4, v1
	s_barrier_wait -1
	s_delay_alu instid0(VALU_DEP_1) | instskip(SKIP_1) | instid1(VALU_DEP_1)
	v_sub_nc_u32_e64 v11, v12, s9 clamp
	v_min_u32_e32 v13, s7, v12
	v_cmpx_lt_u32_e64 v11, v13
	s_cbranch_execz .LBB1372_23
; %bb.20:
	v_lshlrev_b32_e32 v14, 2, v12
	s_mov_b32 s1, 0
	s_delay_alu instid0(VALU_DEP_1)
	v_lshl_add_u32 v14, s7, 2, v14
.LBB1372_21:                            ; =>This Inner Loop Header: Depth=1
	v_add_nc_u32_e32 v15, v13, v11
	s_delay_alu instid0(VALU_DEP_1) | instskip(NEXT) | instid1(VALU_DEP_1)
	v_lshrrev_b32_e32 v15, 1, v15
	v_not_b32_e32 v16, v15
	v_lshlrev_b32_e32 v17, 2, v15
	s_delay_alu instid0(VALU_DEP_2) | instskip(SKIP_4) | instid1(VALU_DEP_1)
	v_lshl_add_u32 v18, v16, 2, v14
	ds_load_b32 v16, v17
	ds_load_b32 v17, v18
	s_wait_dscnt 0x0
	v_pk_add_f32 v[16:17], v[16:17], 0 op_sel_hi:[1,0]
	v_dual_ashrrev_i32 v18, 31, v17 :: v_dual_ashrrev_i32 v19, 31, v16
	s_delay_alu instid0(VALU_DEP_1) | instskip(NEXT) | instid1(VALU_DEP_2)
	v_or_b32_e32 v18, 0x80000000, v18
	v_or_b32_e32 v19, 0x80000000, v19
	s_delay_alu instid0(VALU_DEP_2) | instskip(NEXT) | instid1(VALU_DEP_2)
	v_dual_add_nc_u32 v18, 1, v15 :: v_dual_bitop2_b32 v17, v18, v17 bitop3:0x14
	v_xor_b32_e32 v16, v19, v16
	s_delay_alu instid0(VALU_DEP_1) | instskip(SKIP_1) | instid1(VALU_DEP_4)
	v_cmp_gt_u32_e32 vcc_lo, v16, v17
	v_cndmask_b32_e32 v13, v13, v15, vcc_lo
	v_cndmask_b32_e32 v11, v18, v11, vcc_lo
	s_delay_alu instid0(VALU_DEP_1) | instskip(SKIP_1) | instid1(SALU_CYCLE_1)
	v_cmp_ge_u32_e32 vcc_lo, v11, v13
	s_or_b32 s1, vcc_lo, s1
	s_and_not1_b32 exec_lo, exec_lo, s1
	s_cbranch_execnz .LBB1372_21
; %bb.22:
	s_or_b32 exec_lo, exec_lo, s1
.LBB1372_23:
	s_delay_alu instid0(SALU_CYCLE_1) | instskip(SKIP_2) | instid1(VALU_DEP_2)
	s_or_b32 exec_lo, exec_lo, s0
	v_sub_nc_u32_e32 v12, v12, v11
	v_cmp_ge_u32_e32 vcc_lo, s7, v11
	v_add_nc_u32_e32 v12, s7, v12
	s_delay_alu instid0(VALU_DEP_1) | instskip(SKIP_1) | instid1(SALU_CYCLE_1)
	v_cmp_ge_u32_e64 s0, s4, v12
	s_or_b32 s0, vcc_lo, s0
	s_and_saveexec_b32 s1, s0
	s_delay_alu instid0(SALU_CYCLE_1)
	s_xor_b32 s1, exec_lo, s1
	s_cbranch_execz .LBB1372_59
; %bb.24:
	s_mov_b32 s5, exec_lo
	v_cmp_le_u32_e32 vcc_lo, s7, v11
                                        ; implicit-def: $vgpr8
	v_cmpx_gt_u32_e64 s7, v11
; %bb.25:
	v_lshlrev_b32_e32 v2, 2, v11
	ds_load_b32 v8, v2
; %bb.26:
	s_or_b32 exec_lo, exec_lo, s5
	v_cmp_le_u32_e64 s5, s4, v12
	s_mov_b32 s9, exec_lo
	v_cmpx_gt_u32_e64 s4, v12
; %bb.27:
	v_lshlrev_b32_e32 v2, 2, v12
	ds_load_b32 v9, v2
; %bb.28:
	s_or_b32 exec_lo, exec_lo, s9
	s_nor_b32 s9, vcc_lo, s5
	s_delay_alu instid0(SALU_CYCLE_1)
	s_and_saveexec_b32 s0, s9
	s_cbranch_execz .LBB1372_30
; %bb.29:
	s_wait_dscnt 0x0
	v_pk_add_f32 v[2:3], v[8:9], 0 op_sel_hi:[1,0]
	s_and_not1_b32 s5, s5, exec_lo
	s_delay_alu instid0(VALU_DEP_1) | instskip(NEXT) | instid1(VALU_DEP_1)
	v_dual_ashrrev_i32 v4, 31, v3 :: v_dual_ashrrev_i32 v5, 31, v2
	v_or_b32_e32 v4, 0x80000000, v4
	s_delay_alu instid0(VALU_DEP_2) | instskip(NEXT) | instid1(VALU_DEP_2)
	v_or_b32_e32 v5, 0x80000000, v5
	v_xor_b32_e32 v3, v4, v3
	s_delay_alu instid0(VALU_DEP_2) | instskip(NEXT) | instid1(VALU_DEP_1)
	v_xor_b32_e32 v2, v5, v2
	v_cmp_le_u32_e32 vcc_lo, v2, v3
	s_and_b32 s9, vcc_lo, exec_lo
	s_delay_alu instid0(SALU_CYCLE_1)
	s_or_b32 s5, s5, s9
.LBB1372_30:
	s_or_b32 exec_lo, exec_lo, s0
	v_dual_mov_b32 v2, s7 :: v_dual_cndmask_b32 v3, v12, v11, s5
	s_mov_b32 s9, -1
	s_mov_b32 s0, -1
	s_mov_b32 s10, exec_lo
	s_delay_alu instid0(VALU_DEP_1) | instskip(NEXT) | instid1(VALU_DEP_1)
	v_dual_cndmask_b32 v2, s4, v2, s5 :: v_dual_add_nc_u32 v3, 1, v3
	v_add_min_u32_e64 v2, v2, -1, v3
	s_delay_alu instid0(VALU_DEP_1)
	v_dual_cndmask_b32 v4, v3, v12, s5 :: v_dual_lshlrev_b32 v2, 2, v2
	ds_load_b32 v6, v2
	s_wait_dscnt 0x0
	v_dual_cndmask_b32 v5, v11, v3, s5 :: v_dual_cndmask_b32 v2, v6, v9, s5
	v_cndmask_b32_e64 v3, v8, v6, s5
	v_cmpx_gt_u32_e64 s4, v4
	s_cbranch_execz .LBB1372_34
; %bb.31:
	s_mov_b32 s11, 0
	s_mov_b32 s0, exec_lo
	v_cmpx_gt_u32_e64 s7, v5
; %bb.32:
	v_dual_add_f32 v6, 0, v3 :: v_dual_add_f32 v7, 0, v2
	s_delay_alu instid0(VALU_DEP_1) | instskip(NEXT) | instid1(VALU_DEP_1)
	v_dual_ashrrev_i32 v11, 31, v6 :: v_dual_ashrrev_i32 v12, 31, v7
	v_bitop3_b32 v6, v11, v6, 0x80000000 bitop3:0x36
	s_delay_alu instid0(VALU_DEP_2) | instskip(NEXT) | instid1(VALU_DEP_1)
	v_bitop3_b32 v7, v12, v7, 0x80000000 bitop3:0x36
	v_cmp_le_u32_e32 vcc_lo, v6, v7
	s_and_b32 s11, vcc_lo, exec_lo
; %bb.33:
	s_or_b32 exec_lo, exec_lo, s0
	s_delay_alu instid0(SALU_CYCLE_1)
	s_or_not1_b32 s0, s11, exec_lo
.LBB1372_34:
	s_or_b32 exec_lo, exec_lo, s10
	v_dual_mov_b32 v6, s7 :: v_dual_cndmask_b32 v7, v4, v5, s0
	s_mov_b32 s10, exec_lo
	s_delay_alu instid0(VALU_DEP_1) | instskip(NEXT) | instid1(VALU_DEP_1)
	v_dual_cndmask_b32 v6, s4, v6, s0 :: v_dual_add_nc_u32 v7, 1, v7
	v_add_min_u32_e64 v6, v6, -1, v7
	s_delay_alu instid0(VALU_DEP_1)
	v_dual_cndmask_b32 v5, v5, v7, s0 :: v_dual_lshlrev_b32 v6, 2, v6
	ds_load_b32 v11, v6
	v_cndmask_b32_e64 v6, v7, v4, s0
	s_wait_dscnt 0x0
	v_cndmask_b32_e64 v4, v11, v2, s0
	v_cndmask_b32_e64 v11, v3, v11, s0
	s_delay_alu instid0(VALU_DEP_3)
	v_cmpx_gt_u32_e64 s4, v6
	s_cbranch_execz .LBB1372_38
; %bb.35:
	s_mov_b32 s11, 0
	s_mov_b32 s9, exec_lo
	v_cmpx_gt_u32_e64 s7, v5
; %bb.36:
	v_dual_add_f32 v7, 0, v11 :: v_dual_add_f32 v12, 0, v4
	s_delay_alu instid0(VALU_DEP_1) | instskip(NEXT) | instid1(VALU_DEP_1)
	v_dual_ashrrev_i32 v13, 31, v7 :: v_dual_ashrrev_i32 v14, 31, v12
	v_bitop3_b32 v7, v13, v7, 0x80000000 bitop3:0x36
	s_delay_alu instid0(VALU_DEP_2) | instskip(NEXT) | instid1(VALU_DEP_1)
	v_bitop3_b32 v12, v14, v12, 0x80000000 bitop3:0x36
	v_cmp_le_u32_e32 vcc_lo, v7, v12
	s_and_b32 s11, vcc_lo, exec_lo
; %bb.37:
	s_or_b32 exec_lo, exec_lo, s9
	s_delay_alu instid0(SALU_CYCLE_1)
	s_or_not1_b32 s9, s11, exec_lo
.LBB1372_38:
	s_or_b32 exec_lo, exec_lo, s10
	v_dual_mov_b32 v7, s7 :: v_dual_cndmask_b32 v12, v6, v5, s9
	s_mov_b32 s11, -1
	s_mov_b32 s10, -1
	s_mov_b32 s12, exec_lo
	s_delay_alu instid0(VALU_DEP_1) | instskip(NEXT) | instid1(VALU_DEP_1)
	v_dual_cndmask_b32 v7, s4, v7, s9 :: v_dual_add_nc_u32 v12, 1, v12
	v_add_min_u32_e64 v7, v7, -1, v12
	s_delay_alu instid0(VALU_DEP_1)
	v_dual_cndmask_b32 v6, v12, v6, s9 :: v_dual_lshlrev_b32 v7, 2, v7
	ds_load_b32 v13, v7
	s_wait_dscnt 0x0
	v_dual_cndmask_b32 v7, v5, v12, s9 :: v_dual_cndmask_b32 v12, v11, v13, s9
	v_cndmask_b32_e64 v5, v13, v4, s9
	v_cmpx_gt_u32_e64 s4, v6
	s_cbranch_execz .LBB1372_42
; %bb.39:
	s_mov_b32 s13, 0
	s_mov_b32 s10, exec_lo
	v_cmpx_gt_u32_e64 s7, v7
; %bb.40:
	v_dual_add_f32 v13, 0, v12 :: v_dual_add_f32 v14, 0, v5
	s_delay_alu instid0(VALU_DEP_1) | instskip(NEXT) | instid1(VALU_DEP_1)
	v_dual_ashrrev_i32 v15, 31, v13 :: v_dual_ashrrev_i32 v16, 31, v14
	v_bitop3_b32 v13, v15, v13, 0x80000000 bitop3:0x36
	s_delay_alu instid0(VALU_DEP_2) | instskip(NEXT) | instid1(VALU_DEP_1)
	v_bitop3_b32 v14, v16, v14, 0x80000000 bitop3:0x36
	v_cmp_le_u32_e32 vcc_lo, v13, v14
	s_and_b32 s13, vcc_lo, exec_lo
; %bb.41:
	s_or_b32 exec_lo, exec_lo, s10
	s_delay_alu instid0(SALU_CYCLE_1)
	s_or_not1_b32 s10, s13, exec_lo
.LBB1372_42:
	s_or_b32 exec_lo, exec_lo, s12
	v_dual_mov_b32 v13, s7 :: v_dual_cndmask_b32 v14, v6, v7, s10
	s_mov_b32 s12, exec_lo
	s_delay_alu instid0(VALU_DEP_1) | instskip(NEXT) | instid1(VALU_DEP_1)
	v_dual_cndmask_b32 v13, s4, v13, s10 :: v_dual_add_nc_u32 v15, 1, v14
	v_add_min_u32_e64 v13, v13, -1, v15
	s_delay_alu instid0(VALU_DEP_1)
	v_dual_cndmask_b32 v14, v15, v6, s10 :: v_dual_lshlrev_b32 v13, 2, v13
	ds_load_b32 v13, v13
	s_wait_dscnt 0x0
	v_dual_cndmask_b32 v7, v7, v15, s10 :: v_dual_cndmask_b32 v6, v13, v5, s10
	v_cndmask_b32_e64 v13, v12, v13, s10
	v_cmpx_gt_u32_e64 s4, v14
	s_cbranch_execz .LBB1372_46
; %bb.43:
	s_mov_b32 s13, 0
	s_mov_b32 s11, exec_lo
	v_cmpx_gt_u32_e64 s7, v7
; %bb.44:
	v_dual_add_f32 v15, 0, v13 :: v_dual_add_f32 v16, 0, v6
	s_delay_alu instid0(VALU_DEP_1) | instskip(NEXT) | instid1(VALU_DEP_1)
	v_dual_ashrrev_i32 v17, 31, v15 :: v_dual_ashrrev_i32 v18, 31, v16
	v_bitop3_b32 v15, v17, v15, 0x80000000 bitop3:0x36
	s_delay_alu instid0(VALU_DEP_2) | instskip(NEXT) | instid1(VALU_DEP_1)
	v_bitop3_b32 v16, v18, v16, 0x80000000 bitop3:0x36
	v_cmp_le_u32_e32 vcc_lo, v15, v16
	s_and_b32 s13, vcc_lo, exec_lo
; %bb.45:
	s_or_b32 exec_lo, exec_lo, s11
	s_delay_alu instid0(SALU_CYCLE_1)
	s_or_not1_b32 s11, s13, exec_lo
.LBB1372_46:
	s_or_b32 exec_lo, exec_lo, s12
	v_dual_mov_b32 v15, s7 :: v_dual_cndmask_b32 v16, v14, v7, s11
	s_mov_b32 s12, -1
	s_mov_b32 s13, -1
	s_mov_b32 s15, exec_lo
	s_delay_alu instid0(VALU_DEP_1) | instskip(NEXT) | instid1(VALU_DEP_1)
	v_dual_cndmask_b32 v15, s4, v15, s11 :: v_dual_add_nc_u32 v16, 1, v16
	v_add_min_u32_e64 v15, v15, -1, v16
	s_delay_alu instid0(VALU_DEP_1)
	v_lshlrev_b32_e32 v15, 2, v15
	ds_load_b32 v17, v15
	v_dual_cndmask_b32 v15, v16, v14, s11 :: v_dual_cndmask_b32 v16, v7, v16, s11
	s_wait_dscnt 0x0
	v_cndmask_b32_e64 v7, v17, v6, s11
	v_cndmask_b32_e64 v14, v13, v17, s11
	s_delay_alu instid0(VALU_DEP_3)
	v_cmpx_gt_u32_e64 s4, v15
	s_cbranch_execz .LBB1372_50
; %bb.47:
	s_mov_b32 s16, 0
	s_mov_b32 s13, exec_lo
	v_cmpx_gt_u32_e64 s7, v16
; %bb.48:
	v_dual_add_f32 v17, 0, v14 :: v_dual_add_f32 v18, 0, v7
	s_delay_alu instid0(VALU_DEP_1) | instskip(NEXT) | instid1(VALU_DEP_1)
	v_dual_ashrrev_i32 v19, 31, v17 :: v_dual_ashrrev_i32 v20, 31, v18
	v_bitop3_b32 v17, v19, v17, 0x80000000 bitop3:0x36
	s_delay_alu instid0(VALU_DEP_2) | instskip(NEXT) | instid1(VALU_DEP_1)
	v_bitop3_b32 v18, v20, v18, 0x80000000 bitop3:0x36
	v_cmp_le_u32_e32 vcc_lo, v17, v18
	s_and_b32 s16, vcc_lo, exec_lo
; %bb.49:
	s_or_b32 exec_lo, exec_lo, s13
	s_delay_alu instid0(SALU_CYCLE_1)
	s_or_not1_b32 s13, s16, exec_lo
.LBB1372_50:
	s_or_b32 exec_lo, exec_lo, s15
	v_dual_mov_b32 v17, s7 :: v_dual_cndmask_b32 v18, v15, v16, s13
	s_mov_b32 s15, exec_lo
	s_delay_alu instid0(VALU_DEP_1) | instskip(NEXT) | instid1(VALU_DEP_1)
	v_dual_cndmask_b32 v17, s4, v17, s13 :: v_dual_add_nc_u32 v19, 1, v18
	v_add_min_u32_e64 v17, v17, -1, v19
	s_delay_alu instid0(VALU_DEP_1)
	v_dual_cndmask_b32 v18, v19, v15, s13 :: v_dual_lshlrev_b32 v17, 2, v17
	ds_load_b32 v20, v17
	s_wait_dscnt 0x0
	v_dual_cndmask_b32 v17, v16, v19, s13 :: v_dual_cndmask_b32 v16, v14, v20, s13
	v_cndmask_b32_e64 v15, v20, v7, s13
	v_cmpx_gt_u32_e64 s4, v18
	s_cbranch_execz .LBB1372_54
; %bb.51:
	s_mov_b32 s16, 0
	s_mov_b32 s12, exec_lo
	v_cmpx_gt_u32_e64 s7, v17
; %bb.52:
	v_dual_add_f32 v19, 0, v16 :: v_dual_add_f32 v20, 0, v15
	s_delay_alu instid0(VALU_DEP_1) | instskip(NEXT) | instid1(VALU_DEP_1)
	v_dual_ashrrev_i32 v21, 31, v19 :: v_dual_ashrrev_i32 v22, 31, v20
	v_bitop3_b32 v19, v21, v19, 0x80000000 bitop3:0x36
	s_delay_alu instid0(VALU_DEP_2) | instskip(NEXT) | instid1(VALU_DEP_1)
	v_bitop3_b32 v20, v22, v20, 0x80000000 bitop3:0x36
	v_cmp_le_u32_e32 vcc_lo, v19, v20
	s_and_b32 s16, vcc_lo, exec_lo
; %bb.53:
	s_or_b32 exec_lo, exec_lo, s12
	s_delay_alu instid0(SALU_CYCLE_1)
	s_or_not1_b32 s12, s16, exec_lo
.LBB1372_54:
	s_or_b32 exec_lo, exec_lo, s15
	v_dual_mov_b32 v19, s7 :: v_dual_cndmask_b32 v20, v18, v17, s12
	v_dual_cndmask_b32 v6, v6, v13, s11 :: v_dual_cndmask_b32 v5, v5, v12, s10
	v_dual_cndmask_b32 v3, v2, v3, s0 :: v_dual_cndmask_b32 v2, v9, v8, s5
	s_delay_alu instid0(VALU_DEP_3) | instskip(SKIP_2) | instid1(VALU_DEP_2)
	v_dual_cndmask_b32 v21, s4, v19, s12 :: v_dual_add_nc_u32 v19, 1, v20
	s_mov_b32 s0, exec_lo
	v_dual_cndmask_b32 v4, v4, v11, s9 :: v_dual_cndmask_b32 v7, v7, v14, s13
	v_add_min_u32_e64 v20, v21, -1, v19
	s_delay_alu instid0(VALU_DEP_1)
	v_dual_cndmask_b32 v12, v19, v18, s12 :: v_dual_lshlrev_b32 v20, 2, v20
	ds_load_b32 v20, v20
	s_wait_dscnt 0x0
	v_cndmask_b32_e64 v9, v16, v20, s12
	v_cmpx_gt_u32_e64 s4, v12
	s_cbranch_execz .LBB1372_58
; %bb.55:
	v_cndmask_b32_e64 v11, v17, v19, s12
	v_cndmask_b32_e64 v8, v20, v15, s12
	s_mov_b32 s4, exec_lo
	s_delay_alu instid0(VALU_DEP_2)
	v_cmpx_gt_u32_e64 s7, v11
; %bb.56:
	s_delay_alu instid0(VALU_DEP_2) | instskip(NEXT) | instid1(VALU_DEP_1)
	v_dual_add_f32 v11, 0, v9 :: v_dual_add_f32 v12, 0, v8
	v_dual_ashrrev_i32 v13, 31, v11 :: v_dual_ashrrev_i32 v14, 31, v12
	s_delay_alu instid0(VALU_DEP_1) | instskip(NEXT) | instid1(VALU_DEP_2)
	v_bitop3_b32 v11, v13, v11, 0x80000000 bitop3:0x36
	v_bitop3_b32 v12, v14, v12, 0x80000000 bitop3:0x36
	s_delay_alu instid0(VALU_DEP_1)
	v_cmp_gt_u32_e32 vcc_lo, v11, v12
	v_cndmask_b32_e32 v8, v9, v8, vcc_lo
; %bb.57:
	s_or_b32 exec_lo, exec_lo, s4
	s_delay_alu instid0(VALU_DEP_1)
	v_mov_b32_e32 v9, v8
.LBB1372_58:
	s_or_b32 exec_lo, exec_lo, s0
	v_cndmask_b32_e64 v8, v15, v16, s12
.LBB1372_59:
	s_and_not1_saveexec_b32 s0, s1
	s_delay_alu instid0(SALU_CYCLE_1) | instskip(SKIP_4) | instid1(VALU_DEP_3)
	s_or_b32 exec_lo, exec_lo, s0
	v_or_b32_e32 v14, 0x80, v0
	v_or_b32_e32 v12, 0x100, v0
	v_and_b32_e32 v11, 0x7c, v0
	v_lshrrev_b32_e32 v13, 3, v0
	v_dual_lshrrev_b32 v15, 3, v14 :: v_dual_lshrrev_b32 v16, 3, v12
	s_delay_alu instid0(VALU_DEP_3) | instskip(NEXT) | instid1(VALU_DEP_3)
	v_lshl_add_u32 v1, v1, 2, v11
	v_and_b32_e32 v11, 12, v13
	v_or_b32_e32 v13, 0x180, v0
	s_barrier_signal -1
	s_barrier_wait -1
	s_barrier_signal -1
	s_barrier_wait -1
	v_and_b32_e32 v15, 28, v15
	ds_store_2addr_b32 v1, v2, v3 offset1:1
	ds_store_2addr_b32 v1, v4, v5 offset0:2 offset1:3
	ds_store_2addr_b32 v1, v6, v7 offset0:4 offset1:5
	;; [unrolled: 1-line block ×3, first 2 shown]
	v_dual_add_nc_u32 v8, v11, v10 :: v_dual_bitop2_b32 v16, 44, v16 bitop3:0x40
	v_lshrrev_b32_e32 v1, 3, v13
	v_or_b32_e32 v6, 0x200, v0
	v_or_b32_e32 v5, 0x280, v0
	;; [unrolled: 1-line block ×3, first 2 shown]
	v_dual_add_nc_u32 v9, v15, v10 :: v_dual_add_nc_u32 v15, v16, v10
	s_delay_alu instid0(VALU_DEP_4) | instskip(SKIP_1) | instid1(VALU_DEP_4)
	v_dual_lshrrev_b32 v3, 3, v6 :: v_dual_bitop2_b32 v2, 60, v1 bitop3:0x40
	v_or_b32_e32 v1, 0x380, v0
	v_dual_lshrrev_b32 v7, 3, v5 :: v_dual_lshrrev_b32 v11, 3, v4
	s_delay_alu instid0(VALU_DEP_3) | instskip(SKIP_1) | instid1(VALU_DEP_3)
	v_add_nc_u32_e32 v16, v2, v10
	s_mov_b32 s9, 0
	v_lshrrev_b32_e32 v2, 3, v1
	v_and_b32_e32 v3, 0x4c, v3
	v_and_b32_e32 v19, 0x6c, v11
	v_mov_b32_e32 v11, 0
	s_lshl_b64 s[0:1], s[8:9], 2
	v_and_b32_e32 v7, 0x5c, v7
	v_and_b32_e32 v20, 0x7c, v2
	s_wait_kmcnt 0x0
	s_add_nc_u64 s[0:1], s[2:3], s[0:1]
	v_add_nc_u32_e32 v17, v3, v10
	v_add_nc_u64_e32 v[2:3], s[0:1], v[10:11]
	v_add_nc_u32_e32 v18, v7, v10
	v_dual_add_nc_u32 v19, v19, v10 :: v_dual_add_nc_u32 v10, v20, v10
	s_and_b32 vcc_lo, exec_lo, s14
	s_wait_dscnt 0x0
	s_cbranch_vccz .LBB1372_61
; %bb.60:
	s_barrier_signal -1
	s_barrier_wait -1
	ds_load_b32 v11, v8
	ds_load_b32 v20, v9 offset:512
	ds_load_b32 v21, v15 offset:1024
	;; [unrolled: 1-line block ×7, first 2 shown]
	s_mov_b32 s9, -1
	s_wait_dscnt 0x7
	global_store_b32 v[2:3], v11, off
	s_wait_dscnt 0x6
	global_store_b32 v[2:3], v20, off offset:512
	s_wait_dscnt 0x5
	global_store_b32 v[2:3], v21, off offset:1024
	;; [unrolled: 2-line block ×6, first 2 shown]
	s_cbranch_execz .LBB1372_62
	s_branch .LBB1372_71
.LBB1372_61:
                                        ; implicit-def: $vgpr7
.LBB1372_62:
	s_barrier_signal -1
	s_barrier_wait -1
	s_wait_storecnt_dscnt 0x0
	s_wait_xcnt 0x4
	ds_load_b32 v21, v9 offset:512
	ds_load_b32 v20, v15 offset:1024
	;; [unrolled: 1-line block ×7, first 2 shown]
	s_sub_co_i32 s0, s6, s8
	s_mov_b32 s1, exec_lo
	s_wait_xcnt 0x0
	v_cmpx_gt_u32_e64 s0, v0
	s_cbranch_execnz .LBB1372_76
; %bb.63:
	s_or_b32 exec_lo, exec_lo, s1
	s_delay_alu instid0(SALU_CYCLE_1)
	s_mov_b32 s1, exec_lo
	v_cmpx_gt_u32_e64 s0, v14
	s_cbranch_execnz .LBB1372_77
.LBB1372_64:
	s_or_b32 exec_lo, exec_lo, s1
	s_delay_alu instid0(SALU_CYCLE_1)
	s_mov_b32 s1, exec_lo
	v_cmpx_gt_u32_e64 s0, v12
	s_cbranch_execnz .LBB1372_78
.LBB1372_65:
	s_or_b32 exec_lo, exec_lo, s1
	s_delay_alu instid0(SALU_CYCLE_1)
	s_mov_b32 s1, exec_lo
	v_cmpx_gt_u32_e64 s0, v13
	s_cbranch_execnz .LBB1372_79
.LBB1372_66:
	s_or_b32 exec_lo, exec_lo, s1
	s_delay_alu instid0(SALU_CYCLE_1)
	s_mov_b32 s1, exec_lo
	v_cmpx_gt_u32_e64 s0, v6
	s_cbranch_execnz .LBB1372_80
.LBB1372_67:
	s_or_b32 exec_lo, exec_lo, s1
	s_delay_alu instid0(SALU_CYCLE_1)
	s_mov_b32 s1, exec_lo
	v_cmpx_gt_u32_e64 s0, v5
	s_cbranch_execnz .LBB1372_81
.LBB1372_68:
	s_or_b32 exec_lo, exec_lo, s1
	s_delay_alu instid0(SALU_CYCLE_1)
	s_mov_b32 s1, exec_lo
	v_cmpx_gt_u32_e64 s0, v4
	s_cbranch_execz .LBB1372_70
.LBB1372_69:
	s_wait_dscnt 0x1
	global_store_b32 v[2:3], v9, off offset:3072
.LBB1372_70:
	s_wait_xcnt 0x0
	s_or_b32 exec_lo, exec_lo, s1
	v_cmp_gt_u32_e64 s9, s0, v1
.LBB1372_71:
	s_wait_xcnt 0x0
	s_delay_alu instid0(VALU_DEP_1)
	s_and_saveexec_b32 s0, s9
	s_cbranch_execz .LBB1372_73
; %bb.72:
	s_wait_dscnt 0x0
	global_store_b32 v[2:3], v7, off offset:3584
.LBB1372_73:
	s_endpgm
.LBB1372_74:
	v_dual_mov_b32 v11, v2 :: v_dual_mov_b32 v5, v2
	v_sub_co_u32 v4, vcc_lo, v0, s7
	v_dual_mov_b32 v17, v2 :: v_dual_mov_b32 v18, v2
	s_delay_alu instid0(VALU_DEP_3) | instskip(NEXT) | instid1(VALU_DEP_3)
	v_add_nc_u64_e32 v[6:7], s[12:13], v[10:11]
	v_lshl_add_u64 v[4:5], v[4:5], 2, s[10:11]
	v_dual_mov_b32 v19, v2 :: v_dual_mov_b32 v20, v2
	v_dual_mov_b32 v21, v2 :: v_dual_mov_b32 v22, v2
	s_delay_alu instid0(VALU_DEP_3) | instskip(NEXT) | instid1(VALU_DEP_4)
	v_dual_mov_b32 v23, v2 :: v_dual_cndmask_b32 v5, v5, v7, vcc_lo
	v_cndmask_b32_e32 v4, v4, v6, vcc_lo
	global_load_b32 v16, v[4:5], off
	s_wait_loadcnt 0x0
	v_mov_b64_e32 v[2:3], v[16:17]
	v_mov_b64_e32 v[4:5], v[18:19]
	;; [unrolled: 1-line block ×4, first 2 shown]
	s_or_b32 exec_lo, exec_lo, s2
	s_delay_alu instid0(SALU_CYCLE_1)
	s_mov_b32 s2, exec_lo
	v_cmpx_gt_u32_e64 s4, v14
	s_cbranch_execz .LBB1372_6
.LBB1372_75:
	v_mov_b32_e32 v15, 0
	s_delay_alu instid0(VALU_DEP_1) | instskip(SKIP_1) | instid1(VALU_DEP_1)
	v_lshl_add_u64 v[16:17], v[14:15], 2, s[12:13]
	v_sub_co_u32 v14, vcc_lo, v14, s7
	v_lshl_add_u64 v[14:15], v[14:15], 2, s[10:11]
	s_delay_alu instid0(VALU_DEP_1) | instskip(SKIP_3) | instid1(SALU_CYCLE_1)
	v_dual_cndmask_b32 v15, v15, v17 :: v_dual_cndmask_b32 v14, v14, v16
	global_load_b32 v3, v[14:15], off
	s_wait_xcnt 0x0
	s_or_b32 exec_lo, exec_lo, s2
	s_mov_b32 s2, exec_lo
	v_cmpx_gt_u32_e64 s4, v12
	s_cbranch_execnz .LBB1372_7
	s_branch .LBB1372_8
.LBB1372_76:
	ds_load_b32 v0, v8
	s_wait_dscnt 0x0
	global_store_b32 v[2:3], v0, off
	s_wait_xcnt 0x0
	s_or_b32 exec_lo, exec_lo, s1
	s_delay_alu instid0(SALU_CYCLE_1)
	s_mov_b32 s1, exec_lo
	v_cmpx_gt_u32_e64 s0, v14
	s_cbranch_execz .LBB1372_64
.LBB1372_77:
	s_wait_dscnt 0x6
	global_store_b32 v[2:3], v21, off offset:512
	s_wait_xcnt 0x0
	s_or_b32 exec_lo, exec_lo, s1
	s_delay_alu instid0(SALU_CYCLE_1)
	s_mov_b32 s1, exec_lo
	v_cmpx_gt_u32_e64 s0, v12
	s_cbranch_execz .LBB1372_65
.LBB1372_78:
	s_wait_dscnt 0x5
	global_store_b32 v[2:3], v20, off offset:1024
	s_wait_xcnt 0x0
	s_or_b32 exec_lo, exec_lo, s1
	s_delay_alu instid0(SALU_CYCLE_1)
	s_mov_b32 s1, exec_lo
	v_cmpx_gt_u32_e64 s0, v13
	s_cbranch_execz .LBB1372_66
.LBB1372_79:
	s_wait_dscnt 0x4
	global_store_b32 v[2:3], v16, off offset:1536
	s_wait_xcnt 0x0
	s_or_b32 exec_lo, exec_lo, s1
	s_delay_alu instid0(SALU_CYCLE_1)
	s_mov_b32 s1, exec_lo
	v_cmpx_gt_u32_e64 s0, v6
	s_cbranch_execz .LBB1372_67
.LBB1372_80:
	s_wait_dscnt 0x3
	global_store_b32 v[2:3], v15, off offset:2048
	s_wait_xcnt 0x0
	s_or_b32 exec_lo, exec_lo, s1
	s_delay_alu instid0(SALU_CYCLE_1)
	s_mov_b32 s1, exec_lo
	v_cmpx_gt_u32_e64 s0, v5
	s_cbranch_execz .LBB1372_68
.LBB1372_81:
	s_wait_dscnt 0x2
	global_store_b32 v[2:3], v11, off offset:2560
	s_wait_xcnt 0x0
	s_or_b32 exec_lo, exec_lo, s1
	s_delay_alu instid0(SALU_CYCLE_1)
	s_mov_b32 s1, exec_lo
	v_cmpx_gt_u32_e64 s0, v4
	s_cbranch_execnz .LBB1372_69
	s_branch .LBB1372_70
	.section	.rodata,"a",@progbits
	.p2align	6, 0x0
	.amdhsa_kernel _ZN7rocprim17ROCPRIM_400000_NS6detail17trampoline_kernelINS0_14default_configENS1_38merge_sort_block_merge_config_selectorIfNS0_10empty_typeEEEZZNS1_27merge_sort_block_merge_implIS3_PfPS5_jNS1_19radix_merge_compareILb0ELb0EfNS0_19identity_decomposerEEEEE10hipError_tT0_T1_T2_jT3_P12ihipStream_tbPNSt15iterator_traitsISE_E10value_typeEPNSK_ISF_E10value_typeEPSG_NS1_7vsmem_tEENKUlT_SE_SF_SG_E_clIS8_S8_S9_S9_EESD_ST_SE_SF_SG_EUlST_E0_NS1_11comp_targetILNS1_3genE0ELNS1_11target_archE4294967295ELNS1_3gpuE0ELNS1_3repE0EEENS1_38merge_mergepath_config_static_selectorELNS0_4arch9wavefront6targetE0EEEvSF_
		.amdhsa_group_segment_fixed_size 4224
		.amdhsa_private_segment_fixed_size 0
		.amdhsa_kernarg_size 320
		.amdhsa_user_sgpr_count 2
		.amdhsa_user_sgpr_dispatch_ptr 0
		.amdhsa_user_sgpr_queue_ptr 0
		.amdhsa_user_sgpr_kernarg_segment_ptr 1
		.amdhsa_user_sgpr_dispatch_id 0
		.amdhsa_user_sgpr_kernarg_preload_length 0
		.amdhsa_user_sgpr_kernarg_preload_offset 0
		.amdhsa_user_sgpr_private_segment_size 0
		.amdhsa_wavefront_size32 1
		.amdhsa_uses_dynamic_stack 0
		.amdhsa_enable_private_segment 0
		.amdhsa_system_sgpr_workgroup_id_x 1
		.amdhsa_system_sgpr_workgroup_id_y 1
		.amdhsa_system_sgpr_workgroup_id_z 1
		.amdhsa_system_sgpr_workgroup_info 0
		.amdhsa_system_vgpr_workitem_id 0
		.amdhsa_next_free_vgpr 32
		.amdhsa_next_free_sgpr 22
		.amdhsa_named_barrier_count 0
		.amdhsa_reserve_vcc 1
		.amdhsa_float_round_mode_32 0
		.amdhsa_float_round_mode_16_64 0
		.amdhsa_float_denorm_mode_32 3
		.amdhsa_float_denorm_mode_16_64 3
		.amdhsa_fp16_overflow 0
		.amdhsa_memory_ordered 1
		.amdhsa_forward_progress 1
		.amdhsa_inst_pref_size 38
		.amdhsa_round_robin_scheduling 0
		.amdhsa_exception_fp_ieee_invalid_op 0
		.amdhsa_exception_fp_denorm_src 0
		.amdhsa_exception_fp_ieee_div_zero 0
		.amdhsa_exception_fp_ieee_overflow 0
		.amdhsa_exception_fp_ieee_underflow 0
		.amdhsa_exception_fp_ieee_inexact 0
		.amdhsa_exception_int_div_zero 0
	.end_amdhsa_kernel
	.section	.text._ZN7rocprim17ROCPRIM_400000_NS6detail17trampoline_kernelINS0_14default_configENS1_38merge_sort_block_merge_config_selectorIfNS0_10empty_typeEEEZZNS1_27merge_sort_block_merge_implIS3_PfPS5_jNS1_19radix_merge_compareILb0ELb0EfNS0_19identity_decomposerEEEEE10hipError_tT0_T1_T2_jT3_P12ihipStream_tbPNSt15iterator_traitsISE_E10value_typeEPNSK_ISF_E10value_typeEPSG_NS1_7vsmem_tEENKUlT_SE_SF_SG_E_clIS8_S8_S9_S9_EESD_ST_SE_SF_SG_EUlST_E0_NS1_11comp_targetILNS1_3genE0ELNS1_11target_archE4294967295ELNS1_3gpuE0ELNS1_3repE0EEENS1_38merge_mergepath_config_static_selectorELNS0_4arch9wavefront6targetE0EEEvSF_,"axG",@progbits,_ZN7rocprim17ROCPRIM_400000_NS6detail17trampoline_kernelINS0_14default_configENS1_38merge_sort_block_merge_config_selectorIfNS0_10empty_typeEEEZZNS1_27merge_sort_block_merge_implIS3_PfPS5_jNS1_19radix_merge_compareILb0ELb0EfNS0_19identity_decomposerEEEEE10hipError_tT0_T1_T2_jT3_P12ihipStream_tbPNSt15iterator_traitsISE_E10value_typeEPNSK_ISF_E10value_typeEPSG_NS1_7vsmem_tEENKUlT_SE_SF_SG_E_clIS8_S8_S9_S9_EESD_ST_SE_SF_SG_EUlST_E0_NS1_11comp_targetILNS1_3genE0ELNS1_11target_archE4294967295ELNS1_3gpuE0ELNS1_3repE0EEENS1_38merge_mergepath_config_static_selectorELNS0_4arch9wavefront6targetE0EEEvSF_,comdat
.Lfunc_end1372:
	.size	_ZN7rocprim17ROCPRIM_400000_NS6detail17trampoline_kernelINS0_14default_configENS1_38merge_sort_block_merge_config_selectorIfNS0_10empty_typeEEEZZNS1_27merge_sort_block_merge_implIS3_PfPS5_jNS1_19radix_merge_compareILb0ELb0EfNS0_19identity_decomposerEEEEE10hipError_tT0_T1_T2_jT3_P12ihipStream_tbPNSt15iterator_traitsISE_E10value_typeEPNSK_ISF_E10value_typeEPSG_NS1_7vsmem_tEENKUlT_SE_SF_SG_E_clIS8_S8_S9_S9_EESD_ST_SE_SF_SG_EUlST_E0_NS1_11comp_targetILNS1_3genE0ELNS1_11target_archE4294967295ELNS1_3gpuE0ELNS1_3repE0EEENS1_38merge_mergepath_config_static_selectorELNS0_4arch9wavefront6targetE0EEEvSF_, .Lfunc_end1372-_ZN7rocprim17ROCPRIM_400000_NS6detail17trampoline_kernelINS0_14default_configENS1_38merge_sort_block_merge_config_selectorIfNS0_10empty_typeEEEZZNS1_27merge_sort_block_merge_implIS3_PfPS5_jNS1_19radix_merge_compareILb0ELb0EfNS0_19identity_decomposerEEEEE10hipError_tT0_T1_T2_jT3_P12ihipStream_tbPNSt15iterator_traitsISE_E10value_typeEPNSK_ISF_E10value_typeEPSG_NS1_7vsmem_tEENKUlT_SE_SF_SG_E_clIS8_S8_S9_S9_EESD_ST_SE_SF_SG_EUlST_E0_NS1_11comp_targetILNS1_3genE0ELNS1_11target_archE4294967295ELNS1_3gpuE0ELNS1_3repE0EEENS1_38merge_mergepath_config_static_selectorELNS0_4arch9wavefront6targetE0EEEvSF_
                                        ; -- End function
	.set _ZN7rocprim17ROCPRIM_400000_NS6detail17trampoline_kernelINS0_14default_configENS1_38merge_sort_block_merge_config_selectorIfNS0_10empty_typeEEEZZNS1_27merge_sort_block_merge_implIS3_PfPS5_jNS1_19radix_merge_compareILb0ELb0EfNS0_19identity_decomposerEEEEE10hipError_tT0_T1_T2_jT3_P12ihipStream_tbPNSt15iterator_traitsISE_E10value_typeEPNSK_ISF_E10value_typeEPSG_NS1_7vsmem_tEENKUlT_SE_SF_SG_E_clIS8_S8_S9_S9_EESD_ST_SE_SF_SG_EUlST_E0_NS1_11comp_targetILNS1_3genE0ELNS1_11target_archE4294967295ELNS1_3gpuE0ELNS1_3repE0EEENS1_38merge_mergepath_config_static_selectorELNS0_4arch9wavefront6targetE0EEEvSF_.num_vgpr, 32
	.set _ZN7rocprim17ROCPRIM_400000_NS6detail17trampoline_kernelINS0_14default_configENS1_38merge_sort_block_merge_config_selectorIfNS0_10empty_typeEEEZZNS1_27merge_sort_block_merge_implIS3_PfPS5_jNS1_19radix_merge_compareILb0ELb0EfNS0_19identity_decomposerEEEEE10hipError_tT0_T1_T2_jT3_P12ihipStream_tbPNSt15iterator_traitsISE_E10value_typeEPNSK_ISF_E10value_typeEPSG_NS1_7vsmem_tEENKUlT_SE_SF_SG_E_clIS8_S8_S9_S9_EESD_ST_SE_SF_SG_EUlST_E0_NS1_11comp_targetILNS1_3genE0ELNS1_11target_archE4294967295ELNS1_3gpuE0ELNS1_3repE0EEENS1_38merge_mergepath_config_static_selectorELNS0_4arch9wavefront6targetE0EEEvSF_.num_agpr, 0
	.set _ZN7rocprim17ROCPRIM_400000_NS6detail17trampoline_kernelINS0_14default_configENS1_38merge_sort_block_merge_config_selectorIfNS0_10empty_typeEEEZZNS1_27merge_sort_block_merge_implIS3_PfPS5_jNS1_19radix_merge_compareILb0ELb0EfNS0_19identity_decomposerEEEEE10hipError_tT0_T1_T2_jT3_P12ihipStream_tbPNSt15iterator_traitsISE_E10value_typeEPNSK_ISF_E10value_typeEPSG_NS1_7vsmem_tEENKUlT_SE_SF_SG_E_clIS8_S8_S9_S9_EESD_ST_SE_SF_SG_EUlST_E0_NS1_11comp_targetILNS1_3genE0ELNS1_11target_archE4294967295ELNS1_3gpuE0ELNS1_3repE0EEENS1_38merge_mergepath_config_static_selectorELNS0_4arch9wavefront6targetE0EEEvSF_.numbered_sgpr, 22
	.set _ZN7rocprim17ROCPRIM_400000_NS6detail17trampoline_kernelINS0_14default_configENS1_38merge_sort_block_merge_config_selectorIfNS0_10empty_typeEEEZZNS1_27merge_sort_block_merge_implIS3_PfPS5_jNS1_19radix_merge_compareILb0ELb0EfNS0_19identity_decomposerEEEEE10hipError_tT0_T1_T2_jT3_P12ihipStream_tbPNSt15iterator_traitsISE_E10value_typeEPNSK_ISF_E10value_typeEPSG_NS1_7vsmem_tEENKUlT_SE_SF_SG_E_clIS8_S8_S9_S9_EESD_ST_SE_SF_SG_EUlST_E0_NS1_11comp_targetILNS1_3genE0ELNS1_11target_archE4294967295ELNS1_3gpuE0ELNS1_3repE0EEENS1_38merge_mergepath_config_static_selectorELNS0_4arch9wavefront6targetE0EEEvSF_.num_named_barrier, 0
	.set _ZN7rocprim17ROCPRIM_400000_NS6detail17trampoline_kernelINS0_14default_configENS1_38merge_sort_block_merge_config_selectorIfNS0_10empty_typeEEEZZNS1_27merge_sort_block_merge_implIS3_PfPS5_jNS1_19radix_merge_compareILb0ELb0EfNS0_19identity_decomposerEEEEE10hipError_tT0_T1_T2_jT3_P12ihipStream_tbPNSt15iterator_traitsISE_E10value_typeEPNSK_ISF_E10value_typeEPSG_NS1_7vsmem_tEENKUlT_SE_SF_SG_E_clIS8_S8_S9_S9_EESD_ST_SE_SF_SG_EUlST_E0_NS1_11comp_targetILNS1_3genE0ELNS1_11target_archE4294967295ELNS1_3gpuE0ELNS1_3repE0EEENS1_38merge_mergepath_config_static_selectorELNS0_4arch9wavefront6targetE0EEEvSF_.private_seg_size, 0
	.set _ZN7rocprim17ROCPRIM_400000_NS6detail17trampoline_kernelINS0_14default_configENS1_38merge_sort_block_merge_config_selectorIfNS0_10empty_typeEEEZZNS1_27merge_sort_block_merge_implIS3_PfPS5_jNS1_19radix_merge_compareILb0ELb0EfNS0_19identity_decomposerEEEEE10hipError_tT0_T1_T2_jT3_P12ihipStream_tbPNSt15iterator_traitsISE_E10value_typeEPNSK_ISF_E10value_typeEPSG_NS1_7vsmem_tEENKUlT_SE_SF_SG_E_clIS8_S8_S9_S9_EESD_ST_SE_SF_SG_EUlST_E0_NS1_11comp_targetILNS1_3genE0ELNS1_11target_archE4294967295ELNS1_3gpuE0ELNS1_3repE0EEENS1_38merge_mergepath_config_static_selectorELNS0_4arch9wavefront6targetE0EEEvSF_.uses_vcc, 1
	.set _ZN7rocprim17ROCPRIM_400000_NS6detail17trampoline_kernelINS0_14default_configENS1_38merge_sort_block_merge_config_selectorIfNS0_10empty_typeEEEZZNS1_27merge_sort_block_merge_implIS3_PfPS5_jNS1_19radix_merge_compareILb0ELb0EfNS0_19identity_decomposerEEEEE10hipError_tT0_T1_T2_jT3_P12ihipStream_tbPNSt15iterator_traitsISE_E10value_typeEPNSK_ISF_E10value_typeEPSG_NS1_7vsmem_tEENKUlT_SE_SF_SG_E_clIS8_S8_S9_S9_EESD_ST_SE_SF_SG_EUlST_E0_NS1_11comp_targetILNS1_3genE0ELNS1_11target_archE4294967295ELNS1_3gpuE0ELNS1_3repE0EEENS1_38merge_mergepath_config_static_selectorELNS0_4arch9wavefront6targetE0EEEvSF_.uses_flat_scratch, 0
	.set _ZN7rocprim17ROCPRIM_400000_NS6detail17trampoline_kernelINS0_14default_configENS1_38merge_sort_block_merge_config_selectorIfNS0_10empty_typeEEEZZNS1_27merge_sort_block_merge_implIS3_PfPS5_jNS1_19radix_merge_compareILb0ELb0EfNS0_19identity_decomposerEEEEE10hipError_tT0_T1_T2_jT3_P12ihipStream_tbPNSt15iterator_traitsISE_E10value_typeEPNSK_ISF_E10value_typeEPSG_NS1_7vsmem_tEENKUlT_SE_SF_SG_E_clIS8_S8_S9_S9_EESD_ST_SE_SF_SG_EUlST_E0_NS1_11comp_targetILNS1_3genE0ELNS1_11target_archE4294967295ELNS1_3gpuE0ELNS1_3repE0EEENS1_38merge_mergepath_config_static_selectorELNS0_4arch9wavefront6targetE0EEEvSF_.has_dyn_sized_stack, 0
	.set _ZN7rocprim17ROCPRIM_400000_NS6detail17trampoline_kernelINS0_14default_configENS1_38merge_sort_block_merge_config_selectorIfNS0_10empty_typeEEEZZNS1_27merge_sort_block_merge_implIS3_PfPS5_jNS1_19radix_merge_compareILb0ELb0EfNS0_19identity_decomposerEEEEE10hipError_tT0_T1_T2_jT3_P12ihipStream_tbPNSt15iterator_traitsISE_E10value_typeEPNSK_ISF_E10value_typeEPSG_NS1_7vsmem_tEENKUlT_SE_SF_SG_E_clIS8_S8_S9_S9_EESD_ST_SE_SF_SG_EUlST_E0_NS1_11comp_targetILNS1_3genE0ELNS1_11target_archE4294967295ELNS1_3gpuE0ELNS1_3repE0EEENS1_38merge_mergepath_config_static_selectorELNS0_4arch9wavefront6targetE0EEEvSF_.has_recursion, 0
	.set _ZN7rocprim17ROCPRIM_400000_NS6detail17trampoline_kernelINS0_14default_configENS1_38merge_sort_block_merge_config_selectorIfNS0_10empty_typeEEEZZNS1_27merge_sort_block_merge_implIS3_PfPS5_jNS1_19radix_merge_compareILb0ELb0EfNS0_19identity_decomposerEEEEE10hipError_tT0_T1_T2_jT3_P12ihipStream_tbPNSt15iterator_traitsISE_E10value_typeEPNSK_ISF_E10value_typeEPSG_NS1_7vsmem_tEENKUlT_SE_SF_SG_E_clIS8_S8_S9_S9_EESD_ST_SE_SF_SG_EUlST_E0_NS1_11comp_targetILNS1_3genE0ELNS1_11target_archE4294967295ELNS1_3gpuE0ELNS1_3repE0EEENS1_38merge_mergepath_config_static_selectorELNS0_4arch9wavefront6targetE0EEEvSF_.has_indirect_call, 0
	.section	.AMDGPU.csdata,"",@progbits
; Kernel info:
; codeLenInByte = 4864
; TotalNumSgprs: 24
; NumVgprs: 32
; ScratchSize: 0
; MemoryBound: 0
; FloatMode: 240
; IeeeMode: 1
; LDSByteSize: 4224 bytes/workgroup (compile time only)
; SGPRBlocks: 0
; VGPRBlocks: 1
; NumSGPRsForWavesPerEU: 24
; NumVGPRsForWavesPerEU: 32
; NamedBarCnt: 0
; Occupancy: 16
; WaveLimiterHint : 1
; COMPUTE_PGM_RSRC2:SCRATCH_EN: 0
; COMPUTE_PGM_RSRC2:USER_SGPR: 2
; COMPUTE_PGM_RSRC2:TRAP_HANDLER: 0
; COMPUTE_PGM_RSRC2:TGID_X_EN: 1
; COMPUTE_PGM_RSRC2:TGID_Y_EN: 1
; COMPUTE_PGM_RSRC2:TGID_Z_EN: 1
; COMPUTE_PGM_RSRC2:TIDIG_COMP_CNT: 0
	.section	.text._ZN7rocprim17ROCPRIM_400000_NS6detail17trampoline_kernelINS0_14default_configENS1_38merge_sort_block_merge_config_selectorIfNS0_10empty_typeEEEZZNS1_27merge_sort_block_merge_implIS3_PfPS5_jNS1_19radix_merge_compareILb0ELb0EfNS0_19identity_decomposerEEEEE10hipError_tT0_T1_T2_jT3_P12ihipStream_tbPNSt15iterator_traitsISE_E10value_typeEPNSK_ISF_E10value_typeEPSG_NS1_7vsmem_tEENKUlT_SE_SF_SG_E_clIS8_S8_S9_S9_EESD_ST_SE_SF_SG_EUlST_E0_NS1_11comp_targetILNS1_3genE10ELNS1_11target_archE1201ELNS1_3gpuE5ELNS1_3repE0EEENS1_38merge_mergepath_config_static_selectorELNS0_4arch9wavefront6targetE0EEEvSF_,"axG",@progbits,_ZN7rocprim17ROCPRIM_400000_NS6detail17trampoline_kernelINS0_14default_configENS1_38merge_sort_block_merge_config_selectorIfNS0_10empty_typeEEEZZNS1_27merge_sort_block_merge_implIS3_PfPS5_jNS1_19radix_merge_compareILb0ELb0EfNS0_19identity_decomposerEEEEE10hipError_tT0_T1_T2_jT3_P12ihipStream_tbPNSt15iterator_traitsISE_E10value_typeEPNSK_ISF_E10value_typeEPSG_NS1_7vsmem_tEENKUlT_SE_SF_SG_E_clIS8_S8_S9_S9_EESD_ST_SE_SF_SG_EUlST_E0_NS1_11comp_targetILNS1_3genE10ELNS1_11target_archE1201ELNS1_3gpuE5ELNS1_3repE0EEENS1_38merge_mergepath_config_static_selectorELNS0_4arch9wavefront6targetE0EEEvSF_,comdat
	.protected	_ZN7rocprim17ROCPRIM_400000_NS6detail17trampoline_kernelINS0_14default_configENS1_38merge_sort_block_merge_config_selectorIfNS0_10empty_typeEEEZZNS1_27merge_sort_block_merge_implIS3_PfPS5_jNS1_19radix_merge_compareILb0ELb0EfNS0_19identity_decomposerEEEEE10hipError_tT0_T1_T2_jT3_P12ihipStream_tbPNSt15iterator_traitsISE_E10value_typeEPNSK_ISF_E10value_typeEPSG_NS1_7vsmem_tEENKUlT_SE_SF_SG_E_clIS8_S8_S9_S9_EESD_ST_SE_SF_SG_EUlST_E0_NS1_11comp_targetILNS1_3genE10ELNS1_11target_archE1201ELNS1_3gpuE5ELNS1_3repE0EEENS1_38merge_mergepath_config_static_selectorELNS0_4arch9wavefront6targetE0EEEvSF_ ; -- Begin function _ZN7rocprim17ROCPRIM_400000_NS6detail17trampoline_kernelINS0_14default_configENS1_38merge_sort_block_merge_config_selectorIfNS0_10empty_typeEEEZZNS1_27merge_sort_block_merge_implIS3_PfPS5_jNS1_19radix_merge_compareILb0ELb0EfNS0_19identity_decomposerEEEEE10hipError_tT0_T1_T2_jT3_P12ihipStream_tbPNSt15iterator_traitsISE_E10value_typeEPNSK_ISF_E10value_typeEPSG_NS1_7vsmem_tEENKUlT_SE_SF_SG_E_clIS8_S8_S9_S9_EESD_ST_SE_SF_SG_EUlST_E0_NS1_11comp_targetILNS1_3genE10ELNS1_11target_archE1201ELNS1_3gpuE5ELNS1_3repE0EEENS1_38merge_mergepath_config_static_selectorELNS0_4arch9wavefront6targetE0EEEvSF_
	.globl	_ZN7rocprim17ROCPRIM_400000_NS6detail17trampoline_kernelINS0_14default_configENS1_38merge_sort_block_merge_config_selectorIfNS0_10empty_typeEEEZZNS1_27merge_sort_block_merge_implIS3_PfPS5_jNS1_19radix_merge_compareILb0ELb0EfNS0_19identity_decomposerEEEEE10hipError_tT0_T1_T2_jT3_P12ihipStream_tbPNSt15iterator_traitsISE_E10value_typeEPNSK_ISF_E10value_typeEPSG_NS1_7vsmem_tEENKUlT_SE_SF_SG_E_clIS8_S8_S9_S9_EESD_ST_SE_SF_SG_EUlST_E0_NS1_11comp_targetILNS1_3genE10ELNS1_11target_archE1201ELNS1_3gpuE5ELNS1_3repE0EEENS1_38merge_mergepath_config_static_selectorELNS0_4arch9wavefront6targetE0EEEvSF_
	.p2align	8
	.type	_ZN7rocprim17ROCPRIM_400000_NS6detail17trampoline_kernelINS0_14default_configENS1_38merge_sort_block_merge_config_selectorIfNS0_10empty_typeEEEZZNS1_27merge_sort_block_merge_implIS3_PfPS5_jNS1_19radix_merge_compareILb0ELb0EfNS0_19identity_decomposerEEEEE10hipError_tT0_T1_T2_jT3_P12ihipStream_tbPNSt15iterator_traitsISE_E10value_typeEPNSK_ISF_E10value_typeEPSG_NS1_7vsmem_tEENKUlT_SE_SF_SG_E_clIS8_S8_S9_S9_EESD_ST_SE_SF_SG_EUlST_E0_NS1_11comp_targetILNS1_3genE10ELNS1_11target_archE1201ELNS1_3gpuE5ELNS1_3repE0EEENS1_38merge_mergepath_config_static_selectorELNS0_4arch9wavefront6targetE0EEEvSF_,@function
_ZN7rocprim17ROCPRIM_400000_NS6detail17trampoline_kernelINS0_14default_configENS1_38merge_sort_block_merge_config_selectorIfNS0_10empty_typeEEEZZNS1_27merge_sort_block_merge_implIS3_PfPS5_jNS1_19radix_merge_compareILb0ELb0EfNS0_19identity_decomposerEEEEE10hipError_tT0_T1_T2_jT3_P12ihipStream_tbPNSt15iterator_traitsISE_E10value_typeEPNSK_ISF_E10value_typeEPSG_NS1_7vsmem_tEENKUlT_SE_SF_SG_E_clIS8_S8_S9_S9_EESD_ST_SE_SF_SG_EUlST_E0_NS1_11comp_targetILNS1_3genE10ELNS1_11target_archE1201ELNS1_3gpuE5ELNS1_3repE0EEENS1_38merge_mergepath_config_static_selectorELNS0_4arch9wavefront6targetE0EEEvSF_: ; @_ZN7rocprim17ROCPRIM_400000_NS6detail17trampoline_kernelINS0_14default_configENS1_38merge_sort_block_merge_config_selectorIfNS0_10empty_typeEEEZZNS1_27merge_sort_block_merge_implIS3_PfPS5_jNS1_19radix_merge_compareILb0ELb0EfNS0_19identity_decomposerEEEEE10hipError_tT0_T1_T2_jT3_P12ihipStream_tbPNSt15iterator_traitsISE_E10value_typeEPNSK_ISF_E10value_typeEPSG_NS1_7vsmem_tEENKUlT_SE_SF_SG_E_clIS8_S8_S9_S9_EESD_ST_SE_SF_SG_EUlST_E0_NS1_11comp_targetILNS1_3genE10ELNS1_11target_archE1201ELNS1_3gpuE5ELNS1_3repE0EEENS1_38merge_mergepath_config_static_selectorELNS0_4arch9wavefront6targetE0EEEvSF_
; %bb.0:
	.section	.rodata,"a",@progbits
	.p2align	6, 0x0
	.amdhsa_kernel _ZN7rocprim17ROCPRIM_400000_NS6detail17trampoline_kernelINS0_14default_configENS1_38merge_sort_block_merge_config_selectorIfNS0_10empty_typeEEEZZNS1_27merge_sort_block_merge_implIS3_PfPS5_jNS1_19radix_merge_compareILb0ELb0EfNS0_19identity_decomposerEEEEE10hipError_tT0_T1_T2_jT3_P12ihipStream_tbPNSt15iterator_traitsISE_E10value_typeEPNSK_ISF_E10value_typeEPSG_NS1_7vsmem_tEENKUlT_SE_SF_SG_E_clIS8_S8_S9_S9_EESD_ST_SE_SF_SG_EUlST_E0_NS1_11comp_targetILNS1_3genE10ELNS1_11target_archE1201ELNS1_3gpuE5ELNS1_3repE0EEENS1_38merge_mergepath_config_static_selectorELNS0_4arch9wavefront6targetE0EEEvSF_
		.amdhsa_group_segment_fixed_size 0
		.amdhsa_private_segment_fixed_size 0
		.amdhsa_kernarg_size 64
		.amdhsa_user_sgpr_count 2
		.amdhsa_user_sgpr_dispatch_ptr 0
		.amdhsa_user_sgpr_queue_ptr 0
		.amdhsa_user_sgpr_kernarg_segment_ptr 1
		.amdhsa_user_sgpr_dispatch_id 0
		.amdhsa_user_sgpr_kernarg_preload_length 0
		.amdhsa_user_sgpr_kernarg_preload_offset 0
		.amdhsa_user_sgpr_private_segment_size 0
		.amdhsa_wavefront_size32 1
		.amdhsa_uses_dynamic_stack 0
		.amdhsa_enable_private_segment 0
		.amdhsa_system_sgpr_workgroup_id_x 1
		.amdhsa_system_sgpr_workgroup_id_y 0
		.amdhsa_system_sgpr_workgroup_id_z 0
		.amdhsa_system_sgpr_workgroup_info 0
		.amdhsa_system_vgpr_workitem_id 0
		.amdhsa_next_free_vgpr 1
		.amdhsa_next_free_sgpr 1
		.amdhsa_named_barrier_count 0
		.amdhsa_reserve_vcc 0
		.amdhsa_float_round_mode_32 0
		.amdhsa_float_round_mode_16_64 0
		.amdhsa_float_denorm_mode_32 3
		.amdhsa_float_denorm_mode_16_64 3
		.amdhsa_fp16_overflow 0
		.amdhsa_memory_ordered 1
		.amdhsa_forward_progress 1
		.amdhsa_inst_pref_size 0
		.amdhsa_round_robin_scheduling 0
		.amdhsa_exception_fp_ieee_invalid_op 0
		.amdhsa_exception_fp_denorm_src 0
		.amdhsa_exception_fp_ieee_div_zero 0
		.amdhsa_exception_fp_ieee_overflow 0
		.amdhsa_exception_fp_ieee_underflow 0
		.amdhsa_exception_fp_ieee_inexact 0
		.amdhsa_exception_int_div_zero 0
	.end_amdhsa_kernel
	.section	.text._ZN7rocprim17ROCPRIM_400000_NS6detail17trampoline_kernelINS0_14default_configENS1_38merge_sort_block_merge_config_selectorIfNS0_10empty_typeEEEZZNS1_27merge_sort_block_merge_implIS3_PfPS5_jNS1_19radix_merge_compareILb0ELb0EfNS0_19identity_decomposerEEEEE10hipError_tT0_T1_T2_jT3_P12ihipStream_tbPNSt15iterator_traitsISE_E10value_typeEPNSK_ISF_E10value_typeEPSG_NS1_7vsmem_tEENKUlT_SE_SF_SG_E_clIS8_S8_S9_S9_EESD_ST_SE_SF_SG_EUlST_E0_NS1_11comp_targetILNS1_3genE10ELNS1_11target_archE1201ELNS1_3gpuE5ELNS1_3repE0EEENS1_38merge_mergepath_config_static_selectorELNS0_4arch9wavefront6targetE0EEEvSF_,"axG",@progbits,_ZN7rocprim17ROCPRIM_400000_NS6detail17trampoline_kernelINS0_14default_configENS1_38merge_sort_block_merge_config_selectorIfNS0_10empty_typeEEEZZNS1_27merge_sort_block_merge_implIS3_PfPS5_jNS1_19radix_merge_compareILb0ELb0EfNS0_19identity_decomposerEEEEE10hipError_tT0_T1_T2_jT3_P12ihipStream_tbPNSt15iterator_traitsISE_E10value_typeEPNSK_ISF_E10value_typeEPSG_NS1_7vsmem_tEENKUlT_SE_SF_SG_E_clIS8_S8_S9_S9_EESD_ST_SE_SF_SG_EUlST_E0_NS1_11comp_targetILNS1_3genE10ELNS1_11target_archE1201ELNS1_3gpuE5ELNS1_3repE0EEENS1_38merge_mergepath_config_static_selectorELNS0_4arch9wavefront6targetE0EEEvSF_,comdat
.Lfunc_end1373:
	.size	_ZN7rocprim17ROCPRIM_400000_NS6detail17trampoline_kernelINS0_14default_configENS1_38merge_sort_block_merge_config_selectorIfNS0_10empty_typeEEEZZNS1_27merge_sort_block_merge_implIS3_PfPS5_jNS1_19radix_merge_compareILb0ELb0EfNS0_19identity_decomposerEEEEE10hipError_tT0_T1_T2_jT3_P12ihipStream_tbPNSt15iterator_traitsISE_E10value_typeEPNSK_ISF_E10value_typeEPSG_NS1_7vsmem_tEENKUlT_SE_SF_SG_E_clIS8_S8_S9_S9_EESD_ST_SE_SF_SG_EUlST_E0_NS1_11comp_targetILNS1_3genE10ELNS1_11target_archE1201ELNS1_3gpuE5ELNS1_3repE0EEENS1_38merge_mergepath_config_static_selectorELNS0_4arch9wavefront6targetE0EEEvSF_, .Lfunc_end1373-_ZN7rocprim17ROCPRIM_400000_NS6detail17trampoline_kernelINS0_14default_configENS1_38merge_sort_block_merge_config_selectorIfNS0_10empty_typeEEEZZNS1_27merge_sort_block_merge_implIS3_PfPS5_jNS1_19radix_merge_compareILb0ELb0EfNS0_19identity_decomposerEEEEE10hipError_tT0_T1_T2_jT3_P12ihipStream_tbPNSt15iterator_traitsISE_E10value_typeEPNSK_ISF_E10value_typeEPSG_NS1_7vsmem_tEENKUlT_SE_SF_SG_E_clIS8_S8_S9_S9_EESD_ST_SE_SF_SG_EUlST_E0_NS1_11comp_targetILNS1_3genE10ELNS1_11target_archE1201ELNS1_3gpuE5ELNS1_3repE0EEENS1_38merge_mergepath_config_static_selectorELNS0_4arch9wavefront6targetE0EEEvSF_
                                        ; -- End function
	.set _ZN7rocprim17ROCPRIM_400000_NS6detail17trampoline_kernelINS0_14default_configENS1_38merge_sort_block_merge_config_selectorIfNS0_10empty_typeEEEZZNS1_27merge_sort_block_merge_implIS3_PfPS5_jNS1_19radix_merge_compareILb0ELb0EfNS0_19identity_decomposerEEEEE10hipError_tT0_T1_T2_jT3_P12ihipStream_tbPNSt15iterator_traitsISE_E10value_typeEPNSK_ISF_E10value_typeEPSG_NS1_7vsmem_tEENKUlT_SE_SF_SG_E_clIS8_S8_S9_S9_EESD_ST_SE_SF_SG_EUlST_E0_NS1_11comp_targetILNS1_3genE10ELNS1_11target_archE1201ELNS1_3gpuE5ELNS1_3repE0EEENS1_38merge_mergepath_config_static_selectorELNS0_4arch9wavefront6targetE0EEEvSF_.num_vgpr, 0
	.set _ZN7rocprim17ROCPRIM_400000_NS6detail17trampoline_kernelINS0_14default_configENS1_38merge_sort_block_merge_config_selectorIfNS0_10empty_typeEEEZZNS1_27merge_sort_block_merge_implIS3_PfPS5_jNS1_19radix_merge_compareILb0ELb0EfNS0_19identity_decomposerEEEEE10hipError_tT0_T1_T2_jT3_P12ihipStream_tbPNSt15iterator_traitsISE_E10value_typeEPNSK_ISF_E10value_typeEPSG_NS1_7vsmem_tEENKUlT_SE_SF_SG_E_clIS8_S8_S9_S9_EESD_ST_SE_SF_SG_EUlST_E0_NS1_11comp_targetILNS1_3genE10ELNS1_11target_archE1201ELNS1_3gpuE5ELNS1_3repE0EEENS1_38merge_mergepath_config_static_selectorELNS0_4arch9wavefront6targetE0EEEvSF_.num_agpr, 0
	.set _ZN7rocprim17ROCPRIM_400000_NS6detail17trampoline_kernelINS0_14default_configENS1_38merge_sort_block_merge_config_selectorIfNS0_10empty_typeEEEZZNS1_27merge_sort_block_merge_implIS3_PfPS5_jNS1_19radix_merge_compareILb0ELb0EfNS0_19identity_decomposerEEEEE10hipError_tT0_T1_T2_jT3_P12ihipStream_tbPNSt15iterator_traitsISE_E10value_typeEPNSK_ISF_E10value_typeEPSG_NS1_7vsmem_tEENKUlT_SE_SF_SG_E_clIS8_S8_S9_S9_EESD_ST_SE_SF_SG_EUlST_E0_NS1_11comp_targetILNS1_3genE10ELNS1_11target_archE1201ELNS1_3gpuE5ELNS1_3repE0EEENS1_38merge_mergepath_config_static_selectorELNS0_4arch9wavefront6targetE0EEEvSF_.numbered_sgpr, 0
	.set _ZN7rocprim17ROCPRIM_400000_NS6detail17trampoline_kernelINS0_14default_configENS1_38merge_sort_block_merge_config_selectorIfNS0_10empty_typeEEEZZNS1_27merge_sort_block_merge_implIS3_PfPS5_jNS1_19radix_merge_compareILb0ELb0EfNS0_19identity_decomposerEEEEE10hipError_tT0_T1_T2_jT3_P12ihipStream_tbPNSt15iterator_traitsISE_E10value_typeEPNSK_ISF_E10value_typeEPSG_NS1_7vsmem_tEENKUlT_SE_SF_SG_E_clIS8_S8_S9_S9_EESD_ST_SE_SF_SG_EUlST_E0_NS1_11comp_targetILNS1_3genE10ELNS1_11target_archE1201ELNS1_3gpuE5ELNS1_3repE0EEENS1_38merge_mergepath_config_static_selectorELNS0_4arch9wavefront6targetE0EEEvSF_.num_named_barrier, 0
	.set _ZN7rocprim17ROCPRIM_400000_NS6detail17trampoline_kernelINS0_14default_configENS1_38merge_sort_block_merge_config_selectorIfNS0_10empty_typeEEEZZNS1_27merge_sort_block_merge_implIS3_PfPS5_jNS1_19radix_merge_compareILb0ELb0EfNS0_19identity_decomposerEEEEE10hipError_tT0_T1_T2_jT3_P12ihipStream_tbPNSt15iterator_traitsISE_E10value_typeEPNSK_ISF_E10value_typeEPSG_NS1_7vsmem_tEENKUlT_SE_SF_SG_E_clIS8_S8_S9_S9_EESD_ST_SE_SF_SG_EUlST_E0_NS1_11comp_targetILNS1_3genE10ELNS1_11target_archE1201ELNS1_3gpuE5ELNS1_3repE0EEENS1_38merge_mergepath_config_static_selectorELNS0_4arch9wavefront6targetE0EEEvSF_.private_seg_size, 0
	.set _ZN7rocprim17ROCPRIM_400000_NS6detail17trampoline_kernelINS0_14default_configENS1_38merge_sort_block_merge_config_selectorIfNS0_10empty_typeEEEZZNS1_27merge_sort_block_merge_implIS3_PfPS5_jNS1_19radix_merge_compareILb0ELb0EfNS0_19identity_decomposerEEEEE10hipError_tT0_T1_T2_jT3_P12ihipStream_tbPNSt15iterator_traitsISE_E10value_typeEPNSK_ISF_E10value_typeEPSG_NS1_7vsmem_tEENKUlT_SE_SF_SG_E_clIS8_S8_S9_S9_EESD_ST_SE_SF_SG_EUlST_E0_NS1_11comp_targetILNS1_3genE10ELNS1_11target_archE1201ELNS1_3gpuE5ELNS1_3repE0EEENS1_38merge_mergepath_config_static_selectorELNS0_4arch9wavefront6targetE0EEEvSF_.uses_vcc, 0
	.set _ZN7rocprim17ROCPRIM_400000_NS6detail17trampoline_kernelINS0_14default_configENS1_38merge_sort_block_merge_config_selectorIfNS0_10empty_typeEEEZZNS1_27merge_sort_block_merge_implIS3_PfPS5_jNS1_19radix_merge_compareILb0ELb0EfNS0_19identity_decomposerEEEEE10hipError_tT0_T1_T2_jT3_P12ihipStream_tbPNSt15iterator_traitsISE_E10value_typeEPNSK_ISF_E10value_typeEPSG_NS1_7vsmem_tEENKUlT_SE_SF_SG_E_clIS8_S8_S9_S9_EESD_ST_SE_SF_SG_EUlST_E0_NS1_11comp_targetILNS1_3genE10ELNS1_11target_archE1201ELNS1_3gpuE5ELNS1_3repE0EEENS1_38merge_mergepath_config_static_selectorELNS0_4arch9wavefront6targetE0EEEvSF_.uses_flat_scratch, 0
	.set _ZN7rocprim17ROCPRIM_400000_NS6detail17trampoline_kernelINS0_14default_configENS1_38merge_sort_block_merge_config_selectorIfNS0_10empty_typeEEEZZNS1_27merge_sort_block_merge_implIS3_PfPS5_jNS1_19radix_merge_compareILb0ELb0EfNS0_19identity_decomposerEEEEE10hipError_tT0_T1_T2_jT3_P12ihipStream_tbPNSt15iterator_traitsISE_E10value_typeEPNSK_ISF_E10value_typeEPSG_NS1_7vsmem_tEENKUlT_SE_SF_SG_E_clIS8_S8_S9_S9_EESD_ST_SE_SF_SG_EUlST_E0_NS1_11comp_targetILNS1_3genE10ELNS1_11target_archE1201ELNS1_3gpuE5ELNS1_3repE0EEENS1_38merge_mergepath_config_static_selectorELNS0_4arch9wavefront6targetE0EEEvSF_.has_dyn_sized_stack, 0
	.set _ZN7rocprim17ROCPRIM_400000_NS6detail17trampoline_kernelINS0_14default_configENS1_38merge_sort_block_merge_config_selectorIfNS0_10empty_typeEEEZZNS1_27merge_sort_block_merge_implIS3_PfPS5_jNS1_19radix_merge_compareILb0ELb0EfNS0_19identity_decomposerEEEEE10hipError_tT0_T1_T2_jT3_P12ihipStream_tbPNSt15iterator_traitsISE_E10value_typeEPNSK_ISF_E10value_typeEPSG_NS1_7vsmem_tEENKUlT_SE_SF_SG_E_clIS8_S8_S9_S9_EESD_ST_SE_SF_SG_EUlST_E0_NS1_11comp_targetILNS1_3genE10ELNS1_11target_archE1201ELNS1_3gpuE5ELNS1_3repE0EEENS1_38merge_mergepath_config_static_selectorELNS0_4arch9wavefront6targetE0EEEvSF_.has_recursion, 0
	.set _ZN7rocprim17ROCPRIM_400000_NS6detail17trampoline_kernelINS0_14default_configENS1_38merge_sort_block_merge_config_selectorIfNS0_10empty_typeEEEZZNS1_27merge_sort_block_merge_implIS3_PfPS5_jNS1_19radix_merge_compareILb0ELb0EfNS0_19identity_decomposerEEEEE10hipError_tT0_T1_T2_jT3_P12ihipStream_tbPNSt15iterator_traitsISE_E10value_typeEPNSK_ISF_E10value_typeEPSG_NS1_7vsmem_tEENKUlT_SE_SF_SG_E_clIS8_S8_S9_S9_EESD_ST_SE_SF_SG_EUlST_E0_NS1_11comp_targetILNS1_3genE10ELNS1_11target_archE1201ELNS1_3gpuE5ELNS1_3repE0EEENS1_38merge_mergepath_config_static_selectorELNS0_4arch9wavefront6targetE0EEEvSF_.has_indirect_call, 0
	.section	.AMDGPU.csdata,"",@progbits
; Kernel info:
; codeLenInByte = 0
; TotalNumSgprs: 0
; NumVgprs: 0
; ScratchSize: 0
; MemoryBound: 0
; FloatMode: 240
; IeeeMode: 1
; LDSByteSize: 0 bytes/workgroup (compile time only)
; SGPRBlocks: 0
; VGPRBlocks: 0
; NumSGPRsForWavesPerEU: 1
; NumVGPRsForWavesPerEU: 1
; NamedBarCnt: 0
; Occupancy: 16
; WaveLimiterHint : 0
; COMPUTE_PGM_RSRC2:SCRATCH_EN: 0
; COMPUTE_PGM_RSRC2:USER_SGPR: 2
; COMPUTE_PGM_RSRC2:TRAP_HANDLER: 0
; COMPUTE_PGM_RSRC2:TGID_X_EN: 1
; COMPUTE_PGM_RSRC2:TGID_Y_EN: 0
; COMPUTE_PGM_RSRC2:TGID_Z_EN: 0
; COMPUTE_PGM_RSRC2:TIDIG_COMP_CNT: 0
	.section	.text._ZN7rocprim17ROCPRIM_400000_NS6detail17trampoline_kernelINS0_14default_configENS1_38merge_sort_block_merge_config_selectorIfNS0_10empty_typeEEEZZNS1_27merge_sort_block_merge_implIS3_PfPS5_jNS1_19radix_merge_compareILb0ELb0EfNS0_19identity_decomposerEEEEE10hipError_tT0_T1_T2_jT3_P12ihipStream_tbPNSt15iterator_traitsISE_E10value_typeEPNSK_ISF_E10value_typeEPSG_NS1_7vsmem_tEENKUlT_SE_SF_SG_E_clIS8_S8_S9_S9_EESD_ST_SE_SF_SG_EUlST_E0_NS1_11comp_targetILNS1_3genE5ELNS1_11target_archE942ELNS1_3gpuE9ELNS1_3repE0EEENS1_38merge_mergepath_config_static_selectorELNS0_4arch9wavefront6targetE0EEEvSF_,"axG",@progbits,_ZN7rocprim17ROCPRIM_400000_NS6detail17trampoline_kernelINS0_14default_configENS1_38merge_sort_block_merge_config_selectorIfNS0_10empty_typeEEEZZNS1_27merge_sort_block_merge_implIS3_PfPS5_jNS1_19radix_merge_compareILb0ELb0EfNS0_19identity_decomposerEEEEE10hipError_tT0_T1_T2_jT3_P12ihipStream_tbPNSt15iterator_traitsISE_E10value_typeEPNSK_ISF_E10value_typeEPSG_NS1_7vsmem_tEENKUlT_SE_SF_SG_E_clIS8_S8_S9_S9_EESD_ST_SE_SF_SG_EUlST_E0_NS1_11comp_targetILNS1_3genE5ELNS1_11target_archE942ELNS1_3gpuE9ELNS1_3repE0EEENS1_38merge_mergepath_config_static_selectorELNS0_4arch9wavefront6targetE0EEEvSF_,comdat
	.protected	_ZN7rocprim17ROCPRIM_400000_NS6detail17trampoline_kernelINS0_14default_configENS1_38merge_sort_block_merge_config_selectorIfNS0_10empty_typeEEEZZNS1_27merge_sort_block_merge_implIS3_PfPS5_jNS1_19radix_merge_compareILb0ELb0EfNS0_19identity_decomposerEEEEE10hipError_tT0_T1_T2_jT3_P12ihipStream_tbPNSt15iterator_traitsISE_E10value_typeEPNSK_ISF_E10value_typeEPSG_NS1_7vsmem_tEENKUlT_SE_SF_SG_E_clIS8_S8_S9_S9_EESD_ST_SE_SF_SG_EUlST_E0_NS1_11comp_targetILNS1_3genE5ELNS1_11target_archE942ELNS1_3gpuE9ELNS1_3repE0EEENS1_38merge_mergepath_config_static_selectorELNS0_4arch9wavefront6targetE0EEEvSF_ ; -- Begin function _ZN7rocprim17ROCPRIM_400000_NS6detail17trampoline_kernelINS0_14default_configENS1_38merge_sort_block_merge_config_selectorIfNS0_10empty_typeEEEZZNS1_27merge_sort_block_merge_implIS3_PfPS5_jNS1_19radix_merge_compareILb0ELb0EfNS0_19identity_decomposerEEEEE10hipError_tT0_T1_T2_jT3_P12ihipStream_tbPNSt15iterator_traitsISE_E10value_typeEPNSK_ISF_E10value_typeEPSG_NS1_7vsmem_tEENKUlT_SE_SF_SG_E_clIS8_S8_S9_S9_EESD_ST_SE_SF_SG_EUlST_E0_NS1_11comp_targetILNS1_3genE5ELNS1_11target_archE942ELNS1_3gpuE9ELNS1_3repE0EEENS1_38merge_mergepath_config_static_selectorELNS0_4arch9wavefront6targetE0EEEvSF_
	.globl	_ZN7rocprim17ROCPRIM_400000_NS6detail17trampoline_kernelINS0_14default_configENS1_38merge_sort_block_merge_config_selectorIfNS0_10empty_typeEEEZZNS1_27merge_sort_block_merge_implIS3_PfPS5_jNS1_19radix_merge_compareILb0ELb0EfNS0_19identity_decomposerEEEEE10hipError_tT0_T1_T2_jT3_P12ihipStream_tbPNSt15iterator_traitsISE_E10value_typeEPNSK_ISF_E10value_typeEPSG_NS1_7vsmem_tEENKUlT_SE_SF_SG_E_clIS8_S8_S9_S9_EESD_ST_SE_SF_SG_EUlST_E0_NS1_11comp_targetILNS1_3genE5ELNS1_11target_archE942ELNS1_3gpuE9ELNS1_3repE0EEENS1_38merge_mergepath_config_static_selectorELNS0_4arch9wavefront6targetE0EEEvSF_
	.p2align	8
	.type	_ZN7rocprim17ROCPRIM_400000_NS6detail17trampoline_kernelINS0_14default_configENS1_38merge_sort_block_merge_config_selectorIfNS0_10empty_typeEEEZZNS1_27merge_sort_block_merge_implIS3_PfPS5_jNS1_19radix_merge_compareILb0ELb0EfNS0_19identity_decomposerEEEEE10hipError_tT0_T1_T2_jT3_P12ihipStream_tbPNSt15iterator_traitsISE_E10value_typeEPNSK_ISF_E10value_typeEPSG_NS1_7vsmem_tEENKUlT_SE_SF_SG_E_clIS8_S8_S9_S9_EESD_ST_SE_SF_SG_EUlST_E0_NS1_11comp_targetILNS1_3genE5ELNS1_11target_archE942ELNS1_3gpuE9ELNS1_3repE0EEENS1_38merge_mergepath_config_static_selectorELNS0_4arch9wavefront6targetE0EEEvSF_,@function
_ZN7rocprim17ROCPRIM_400000_NS6detail17trampoline_kernelINS0_14default_configENS1_38merge_sort_block_merge_config_selectorIfNS0_10empty_typeEEEZZNS1_27merge_sort_block_merge_implIS3_PfPS5_jNS1_19radix_merge_compareILb0ELb0EfNS0_19identity_decomposerEEEEE10hipError_tT0_T1_T2_jT3_P12ihipStream_tbPNSt15iterator_traitsISE_E10value_typeEPNSK_ISF_E10value_typeEPSG_NS1_7vsmem_tEENKUlT_SE_SF_SG_E_clIS8_S8_S9_S9_EESD_ST_SE_SF_SG_EUlST_E0_NS1_11comp_targetILNS1_3genE5ELNS1_11target_archE942ELNS1_3gpuE9ELNS1_3repE0EEENS1_38merge_mergepath_config_static_selectorELNS0_4arch9wavefront6targetE0EEEvSF_: ; @_ZN7rocprim17ROCPRIM_400000_NS6detail17trampoline_kernelINS0_14default_configENS1_38merge_sort_block_merge_config_selectorIfNS0_10empty_typeEEEZZNS1_27merge_sort_block_merge_implIS3_PfPS5_jNS1_19radix_merge_compareILb0ELb0EfNS0_19identity_decomposerEEEEE10hipError_tT0_T1_T2_jT3_P12ihipStream_tbPNSt15iterator_traitsISE_E10value_typeEPNSK_ISF_E10value_typeEPSG_NS1_7vsmem_tEENKUlT_SE_SF_SG_E_clIS8_S8_S9_S9_EESD_ST_SE_SF_SG_EUlST_E0_NS1_11comp_targetILNS1_3genE5ELNS1_11target_archE942ELNS1_3gpuE9ELNS1_3repE0EEENS1_38merge_mergepath_config_static_selectorELNS0_4arch9wavefront6targetE0EEEvSF_
; %bb.0:
	.section	.rodata,"a",@progbits
	.p2align	6, 0x0
	.amdhsa_kernel _ZN7rocprim17ROCPRIM_400000_NS6detail17trampoline_kernelINS0_14default_configENS1_38merge_sort_block_merge_config_selectorIfNS0_10empty_typeEEEZZNS1_27merge_sort_block_merge_implIS3_PfPS5_jNS1_19radix_merge_compareILb0ELb0EfNS0_19identity_decomposerEEEEE10hipError_tT0_T1_T2_jT3_P12ihipStream_tbPNSt15iterator_traitsISE_E10value_typeEPNSK_ISF_E10value_typeEPSG_NS1_7vsmem_tEENKUlT_SE_SF_SG_E_clIS8_S8_S9_S9_EESD_ST_SE_SF_SG_EUlST_E0_NS1_11comp_targetILNS1_3genE5ELNS1_11target_archE942ELNS1_3gpuE9ELNS1_3repE0EEENS1_38merge_mergepath_config_static_selectorELNS0_4arch9wavefront6targetE0EEEvSF_
		.amdhsa_group_segment_fixed_size 0
		.amdhsa_private_segment_fixed_size 0
		.amdhsa_kernarg_size 64
		.amdhsa_user_sgpr_count 2
		.amdhsa_user_sgpr_dispatch_ptr 0
		.amdhsa_user_sgpr_queue_ptr 0
		.amdhsa_user_sgpr_kernarg_segment_ptr 1
		.amdhsa_user_sgpr_dispatch_id 0
		.amdhsa_user_sgpr_kernarg_preload_length 0
		.amdhsa_user_sgpr_kernarg_preload_offset 0
		.amdhsa_user_sgpr_private_segment_size 0
		.amdhsa_wavefront_size32 1
		.amdhsa_uses_dynamic_stack 0
		.amdhsa_enable_private_segment 0
		.amdhsa_system_sgpr_workgroup_id_x 1
		.amdhsa_system_sgpr_workgroup_id_y 0
		.amdhsa_system_sgpr_workgroup_id_z 0
		.amdhsa_system_sgpr_workgroup_info 0
		.amdhsa_system_vgpr_workitem_id 0
		.amdhsa_next_free_vgpr 1
		.amdhsa_next_free_sgpr 1
		.amdhsa_named_barrier_count 0
		.amdhsa_reserve_vcc 0
		.amdhsa_float_round_mode_32 0
		.amdhsa_float_round_mode_16_64 0
		.amdhsa_float_denorm_mode_32 3
		.amdhsa_float_denorm_mode_16_64 3
		.amdhsa_fp16_overflow 0
		.amdhsa_memory_ordered 1
		.amdhsa_forward_progress 1
		.amdhsa_inst_pref_size 0
		.amdhsa_round_robin_scheduling 0
		.amdhsa_exception_fp_ieee_invalid_op 0
		.amdhsa_exception_fp_denorm_src 0
		.amdhsa_exception_fp_ieee_div_zero 0
		.amdhsa_exception_fp_ieee_overflow 0
		.amdhsa_exception_fp_ieee_underflow 0
		.amdhsa_exception_fp_ieee_inexact 0
		.amdhsa_exception_int_div_zero 0
	.end_amdhsa_kernel
	.section	.text._ZN7rocprim17ROCPRIM_400000_NS6detail17trampoline_kernelINS0_14default_configENS1_38merge_sort_block_merge_config_selectorIfNS0_10empty_typeEEEZZNS1_27merge_sort_block_merge_implIS3_PfPS5_jNS1_19radix_merge_compareILb0ELb0EfNS0_19identity_decomposerEEEEE10hipError_tT0_T1_T2_jT3_P12ihipStream_tbPNSt15iterator_traitsISE_E10value_typeEPNSK_ISF_E10value_typeEPSG_NS1_7vsmem_tEENKUlT_SE_SF_SG_E_clIS8_S8_S9_S9_EESD_ST_SE_SF_SG_EUlST_E0_NS1_11comp_targetILNS1_3genE5ELNS1_11target_archE942ELNS1_3gpuE9ELNS1_3repE0EEENS1_38merge_mergepath_config_static_selectorELNS0_4arch9wavefront6targetE0EEEvSF_,"axG",@progbits,_ZN7rocprim17ROCPRIM_400000_NS6detail17trampoline_kernelINS0_14default_configENS1_38merge_sort_block_merge_config_selectorIfNS0_10empty_typeEEEZZNS1_27merge_sort_block_merge_implIS3_PfPS5_jNS1_19radix_merge_compareILb0ELb0EfNS0_19identity_decomposerEEEEE10hipError_tT0_T1_T2_jT3_P12ihipStream_tbPNSt15iterator_traitsISE_E10value_typeEPNSK_ISF_E10value_typeEPSG_NS1_7vsmem_tEENKUlT_SE_SF_SG_E_clIS8_S8_S9_S9_EESD_ST_SE_SF_SG_EUlST_E0_NS1_11comp_targetILNS1_3genE5ELNS1_11target_archE942ELNS1_3gpuE9ELNS1_3repE0EEENS1_38merge_mergepath_config_static_selectorELNS0_4arch9wavefront6targetE0EEEvSF_,comdat
.Lfunc_end1374:
	.size	_ZN7rocprim17ROCPRIM_400000_NS6detail17trampoline_kernelINS0_14default_configENS1_38merge_sort_block_merge_config_selectorIfNS0_10empty_typeEEEZZNS1_27merge_sort_block_merge_implIS3_PfPS5_jNS1_19radix_merge_compareILb0ELb0EfNS0_19identity_decomposerEEEEE10hipError_tT0_T1_T2_jT3_P12ihipStream_tbPNSt15iterator_traitsISE_E10value_typeEPNSK_ISF_E10value_typeEPSG_NS1_7vsmem_tEENKUlT_SE_SF_SG_E_clIS8_S8_S9_S9_EESD_ST_SE_SF_SG_EUlST_E0_NS1_11comp_targetILNS1_3genE5ELNS1_11target_archE942ELNS1_3gpuE9ELNS1_3repE0EEENS1_38merge_mergepath_config_static_selectorELNS0_4arch9wavefront6targetE0EEEvSF_, .Lfunc_end1374-_ZN7rocprim17ROCPRIM_400000_NS6detail17trampoline_kernelINS0_14default_configENS1_38merge_sort_block_merge_config_selectorIfNS0_10empty_typeEEEZZNS1_27merge_sort_block_merge_implIS3_PfPS5_jNS1_19radix_merge_compareILb0ELb0EfNS0_19identity_decomposerEEEEE10hipError_tT0_T1_T2_jT3_P12ihipStream_tbPNSt15iterator_traitsISE_E10value_typeEPNSK_ISF_E10value_typeEPSG_NS1_7vsmem_tEENKUlT_SE_SF_SG_E_clIS8_S8_S9_S9_EESD_ST_SE_SF_SG_EUlST_E0_NS1_11comp_targetILNS1_3genE5ELNS1_11target_archE942ELNS1_3gpuE9ELNS1_3repE0EEENS1_38merge_mergepath_config_static_selectorELNS0_4arch9wavefront6targetE0EEEvSF_
                                        ; -- End function
	.set _ZN7rocprim17ROCPRIM_400000_NS6detail17trampoline_kernelINS0_14default_configENS1_38merge_sort_block_merge_config_selectorIfNS0_10empty_typeEEEZZNS1_27merge_sort_block_merge_implIS3_PfPS5_jNS1_19radix_merge_compareILb0ELb0EfNS0_19identity_decomposerEEEEE10hipError_tT0_T1_T2_jT3_P12ihipStream_tbPNSt15iterator_traitsISE_E10value_typeEPNSK_ISF_E10value_typeEPSG_NS1_7vsmem_tEENKUlT_SE_SF_SG_E_clIS8_S8_S9_S9_EESD_ST_SE_SF_SG_EUlST_E0_NS1_11comp_targetILNS1_3genE5ELNS1_11target_archE942ELNS1_3gpuE9ELNS1_3repE0EEENS1_38merge_mergepath_config_static_selectorELNS0_4arch9wavefront6targetE0EEEvSF_.num_vgpr, 0
	.set _ZN7rocprim17ROCPRIM_400000_NS6detail17trampoline_kernelINS0_14default_configENS1_38merge_sort_block_merge_config_selectorIfNS0_10empty_typeEEEZZNS1_27merge_sort_block_merge_implIS3_PfPS5_jNS1_19radix_merge_compareILb0ELb0EfNS0_19identity_decomposerEEEEE10hipError_tT0_T1_T2_jT3_P12ihipStream_tbPNSt15iterator_traitsISE_E10value_typeEPNSK_ISF_E10value_typeEPSG_NS1_7vsmem_tEENKUlT_SE_SF_SG_E_clIS8_S8_S9_S9_EESD_ST_SE_SF_SG_EUlST_E0_NS1_11comp_targetILNS1_3genE5ELNS1_11target_archE942ELNS1_3gpuE9ELNS1_3repE0EEENS1_38merge_mergepath_config_static_selectorELNS0_4arch9wavefront6targetE0EEEvSF_.num_agpr, 0
	.set _ZN7rocprim17ROCPRIM_400000_NS6detail17trampoline_kernelINS0_14default_configENS1_38merge_sort_block_merge_config_selectorIfNS0_10empty_typeEEEZZNS1_27merge_sort_block_merge_implIS3_PfPS5_jNS1_19radix_merge_compareILb0ELb0EfNS0_19identity_decomposerEEEEE10hipError_tT0_T1_T2_jT3_P12ihipStream_tbPNSt15iterator_traitsISE_E10value_typeEPNSK_ISF_E10value_typeEPSG_NS1_7vsmem_tEENKUlT_SE_SF_SG_E_clIS8_S8_S9_S9_EESD_ST_SE_SF_SG_EUlST_E0_NS1_11comp_targetILNS1_3genE5ELNS1_11target_archE942ELNS1_3gpuE9ELNS1_3repE0EEENS1_38merge_mergepath_config_static_selectorELNS0_4arch9wavefront6targetE0EEEvSF_.numbered_sgpr, 0
	.set _ZN7rocprim17ROCPRIM_400000_NS6detail17trampoline_kernelINS0_14default_configENS1_38merge_sort_block_merge_config_selectorIfNS0_10empty_typeEEEZZNS1_27merge_sort_block_merge_implIS3_PfPS5_jNS1_19radix_merge_compareILb0ELb0EfNS0_19identity_decomposerEEEEE10hipError_tT0_T1_T2_jT3_P12ihipStream_tbPNSt15iterator_traitsISE_E10value_typeEPNSK_ISF_E10value_typeEPSG_NS1_7vsmem_tEENKUlT_SE_SF_SG_E_clIS8_S8_S9_S9_EESD_ST_SE_SF_SG_EUlST_E0_NS1_11comp_targetILNS1_3genE5ELNS1_11target_archE942ELNS1_3gpuE9ELNS1_3repE0EEENS1_38merge_mergepath_config_static_selectorELNS0_4arch9wavefront6targetE0EEEvSF_.num_named_barrier, 0
	.set _ZN7rocprim17ROCPRIM_400000_NS6detail17trampoline_kernelINS0_14default_configENS1_38merge_sort_block_merge_config_selectorIfNS0_10empty_typeEEEZZNS1_27merge_sort_block_merge_implIS3_PfPS5_jNS1_19radix_merge_compareILb0ELb0EfNS0_19identity_decomposerEEEEE10hipError_tT0_T1_T2_jT3_P12ihipStream_tbPNSt15iterator_traitsISE_E10value_typeEPNSK_ISF_E10value_typeEPSG_NS1_7vsmem_tEENKUlT_SE_SF_SG_E_clIS8_S8_S9_S9_EESD_ST_SE_SF_SG_EUlST_E0_NS1_11comp_targetILNS1_3genE5ELNS1_11target_archE942ELNS1_3gpuE9ELNS1_3repE0EEENS1_38merge_mergepath_config_static_selectorELNS0_4arch9wavefront6targetE0EEEvSF_.private_seg_size, 0
	.set _ZN7rocprim17ROCPRIM_400000_NS6detail17trampoline_kernelINS0_14default_configENS1_38merge_sort_block_merge_config_selectorIfNS0_10empty_typeEEEZZNS1_27merge_sort_block_merge_implIS3_PfPS5_jNS1_19radix_merge_compareILb0ELb0EfNS0_19identity_decomposerEEEEE10hipError_tT0_T1_T2_jT3_P12ihipStream_tbPNSt15iterator_traitsISE_E10value_typeEPNSK_ISF_E10value_typeEPSG_NS1_7vsmem_tEENKUlT_SE_SF_SG_E_clIS8_S8_S9_S9_EESD_ST_SE_SF_SG_EUlST_E0_NS1_11comp_targetILNS1_3genE5ELNS1_11target_archE942ELNS1_3gpuE9ELNS1_3repE0EEENS1_38merge_mergepath_config_static_selectorELNS0_4arch9wavefront6targetE0EEEvSF_.uses_vcc, 0
	.set _ZN7rocprim17ROCPRIM_400000_NS6detail17trampoline_kernelINS0_14default_configENS1_38merge_sort_block_merge_config_selectorIfNS0_10empty_typeEEEZZNS1_27merge_sort_block_merge_implIS3_PfPS5_jNS1_19radix_merge_compareILb0ELb0EfNS0_19identity_decomposerEEEEE10hipError_tT0_T1_T2_jT3_P12ihipStream_tbPNSt15iterator_traitsISE_E10value_typeEPNSK_ISF_E10value_typeEPSG_NS1_7vsmem_tEENKUlT_SE_SF_SG_E_clIS8_S8_S9_S9_EESD_ST_SE_SF_SG_EUlST_E0_NS1_11comp_targetILNS1_3genE5ELNS1_11target_archE942ELNS1_3gpuE9ELNS1_3repE0EEENS1_38merge_mergepath_config_static_selectorELNS0_4arch9wavefront6targetE0EEEvSF_.uses_flat_scratch, 0
	.set _ZN7rocprim17ROCPRIM_400000_NS6detail17trampoline_kernelINS0_14default_configENS1_38merge_sort_block_merge_config_selectorIfNS0_10empty_typeEEEZZNS1_27merge_sort_block_merge_implIS3_PfPS5_jNS1_19radix_merge_compareILb0ELb0EfNS0_19identity_decomposerEEEEE10hipError_tT0_T1_T2_jT3_P12ihipStream_tbPNSt15iterator_traitsISE_E10value_typeEPNSK_ISF_E10value_typeEPSG_NS1_7vsmem_tEENKUlT_SE_SF_SG_E_clIS8_S8_S9_S9_EESD_ST_SE_SF_SG_EUlST_E0_NS1_11comp_targetILNS1_3genE5ELNS1_11target_archE942ELNS1_3gpuE9ELNS1_3repE0EEENS1_38merge_mergepath_config_static_selectorELNS0_4arch9wavefront6targetE0EEEvSF_.has_dyn_sized_stack, 0
	.set _ZN7rocprim17ROCPRIM_400000_NS6detail17trampoline_kernelINS0_14default_configENS1_38merge_sort_block_merge_config_selectorIfNS0_10empty_typeEEEZZNS1_27merge_sort_block_merge_implIS3_PfPS5_jNS1_19radix_merge_compareILb0ELb0EfNS0_19identity_decomposerEEEEE10hipError_tT0_T1_T2_jT3_P12ihipStream_tbPNSt15iterator_traitsISE_E10value_typeEPNSK_ISF_E10value_typeEPSG_NS1_7vsmem_tEENKUlT_SE_SF_SG_E_clIS8_S8_S9_S9_EESD_ST_SE_SF_SG_EUlST_E0_NS1_11comp_targetILNS1_3genE5ELNS1_11target_archE942ELNS1_3gpuE9ELNS1_3repE0EEENS1_38merge_mergepath_config_static_selectorELNS0_4arch9wavefront6targetE0EEEvSF_.has_recursion, 0
	.set _ZN7rocprim17ROCPRIM_400000_NS6detail17trampoline_kernelINS0_14default_configENS1_38merge_sort_block_merge_config_selectorIfNS0_10empty_typeEEEZZNS1_27merge_sort_block_merge_implIS3_PfPS5_jNS1_19radix_merge_compareILb0ELb0EfNS0_19identity_decomposerEEEEE10hipError_tT0_T1_T2_jT3_P12ihipStream_tbPNSt15iterator_traitsISE_E10value_typeEPNSK_ISF_E10value_typeEPSG_NS1_7vsmem_tEENKUlT_SE_SF_SG_E_clIS8_S8_S9_S9_EESD_ST_SE_SF_SG_EUlST_E0_NS1_11comp_targetILNS1_3genE5ELNS1_11target_archE942ELNS1_3gpuE9ELNS1_3repE0EEENS1_38merge_mergepath_config_static_selectorELNS0_4arch9wavefront6targetE0EEEvSF_.has_indirect_call, 0
	.section	.AMDGPU.csdata,"",@progbits
; Kernel info:
; codeLenInByte = 0
; TotalNumSgprs: 0
; NumVgprs: 0
; ScratchSize: 0
; MemoryBound: 0
; FloatMode: 240
; IeeeMode: 1
; LDSByteSize: 0 bytes/workgroup (compile time only)
; SGPRBlocks: 0
; VGPRBlocks: 0
; NumSGPRsForWavesPerEU: 1
; NumVGPRsForWavesPerEU: 1
; NamedBarCnt: 0
; Occupancy: 16
; WaveLimiterHint : 0
; COMPUTE_PGM_RSRC2:SCRATCH_EN: 0
; COMPUTE_PGM_RSRC2:USER_SGPR: 2
; COMPUTE_PGM_RSRC2:TRAP_HANDLER: 0
; COMPUTE_PGM_RSRC2:TGID_X_EN: 1
; COMPUTE_PGM_RSRC2:TGID_Y_EN: 0
; COMPUTE_PGM_RSRC2:TGID_Z_EN: 0
; COMPUTE_PGM_RSRC2:TIDIG_COMP_CNT: 0
	.section	.text._ZN7rocprim17ROCPRIM_400000_NS6detail17trampoline_kernelINS0_14default_configENS1_38merge_sort_block_merge_config_selectorIfNS0_10empty_typeEEEZZNS1_27merge_sort_block_merge_implIS3_PfPS5_jNS1_19radix_merge_compareILb0ELb0EfNS0_19identity_decomposerEEEEE10hipError_tT0_T1_T2_jT3_P12ihipStream_tbPNSt15iterator_traitsISE_E10value_typeEPNSK_ISF_E10value_typeEPSG_NS1_7vsmem_tEENKUlT_SE_SF_SG_E_clIS8_S8_S9_S9_EESD_ST_SE_SF_SG_EUlST_E0_NS1_11comp_targetILNS1_3genE4ELNS1_11target_archE910ELNS1_3gpuE8ELNS1_3repE0EEENS1_38merge_mergepath_config_static_selectorELNS0_4arch9wavefront6targetE0EEEvSF_,"axG",@progbits,_ZN7rocprim17ROCPRIM_400000_NS6detail17trampoline_kernelINS0_14default_configENS1_38merge_sort_block_merge_config_selectorIfNS0_10empty_typeEEEZZNS1_27merge_sort_block_merge_implIS3_PfPS5_jNS1_19radix_merge_compareILb0ELb0EfNS0_19identity_decomposerEEEEE10hipError_tT0_T1_T2_jT3_P12ihipStream_tbPNSt15iterator_traitsISE_E10value_typeEPNSK_ISF_E10value_typeEPSG_NS1_7vsmem_tEENKUlT_SE_SF_SG_E_clIS8_S8_S9_S9_EESD_ST_SE_SF_SG_EUlST_E0_NS1_11comp_targetILNS1_3genE4ELNS1_11target_archE910ELNS1_3gpuE8ELNS1_3repE0EEENS1_38merge_mergepath_config_static_selectorELNS0_4arch9wavefront6targetE0EEEvSF_,comdat
	.protected	_ZN7rocprim17ROCPRIM_400000_NS6detail17trampoline_kernelINS0_14default_configENS1_38merge_sort_block_merge_config_selectorIfNS0_10empty_typeEEEZZNS1_27merge_sort_block_merge_implIS3_PfPS5_jNS1_19radix_merge_compareILb0ELb0EfNS0_19identity_decomposerEEEEE10hipError_tT0_T1_T2_jT3_P12ihipStream_tbPNSt15iterator_traitsISE_E10value_typeEPNSK_ISF_E10value_typeEPSG_NS1_7vsmem_tEENKUlT_SE_SF_SG_E_clIS8_S8_S9_S9_EESD_ST_SE_SF_SG_EUlST_E0_NS1_11comp_targetILNS1_3genE4ELNS1_11target_archE910ELNS1_3gpuE8ELNS1_3repE0EEENS1_38merge_mergepath_config_static_selectorELNS0_4arch9wavefront6targetE0EEEvSF_ ; -- Begin function _ZN7rocprim17ROCPRIM_400000_NS6detail17trampoline_kernelINS0_14default_configENS1_38merge_sort_block_merge_config_selectorIfNS0_10empty_typeEEEZZNS1_27merge_sort_block_merge_implIS3_PfPS5_jNS1_19radix_merge_compareILb0ELb0EfNS0_19identity_decomposerEEEEE10hipError_tT0_T1_T2_jT3_P12ihipStream_tbPNSt15iterator_traitsISE_E10value_typeEPNSK_ISF_E10value_typeEPSG_NS1_7vsmem_tEENKUlT_SE_SF_SG_E_clIS8_S8_S9_S9_EESD_ST_SE_SF_SG_EUlST_E0_NS1_11comp_targetILNS1_3genE4ELNS1_11target_archE910ELNS1_3gpuE8ELNS1_3repE0EEENS1_38merge_mergepath_config_static_selectorELNS0_4arch9wavefront6targetE0EEEvSF_
	.globl	_ZN7rocprim17ROCPRIM_400000_NS6detail17trampoline_kernelINS0_14default_configENS1_38merge_sort_block_merge_config_selectorIfNS0_10empty_typeEEEZZNS1_27merge_sort_block_merge_implIS3_PfPS5_jNS1_19radix_merge_compareILb0ELb0EfNS0_19identity_decomposerEEEEE10hipError_tT0_T1_T2_jT3_P12ihipStream_tbPNSt15iterator_traitsISE_E10value_typeEPNSK_ISF_E10value_typeEPSG_NS1_7vsmem_tEENKUlT_SE_SF_SG_E_clIS8_S8_S9_S9_EESD_ST_SE_SF_SG_EUlST_E0_NS1_11comp_targetILNS1_3genE4ELNS1_11target_archE910ELNS1_3gpuE8ELNS1_3repE0EEENS1_38merge_mergepath_config_static_selectorELNS0_4arch9wavefront6targetE0EEEvSF_
	.p2align	8
	.type	_ZN7rocprim17ROCPRIM_400000_NS6detail17trampoline_kernelINS0_14default_configENS1_38merge_sort_block_merge_config_selectorIfNS0_10empty_typeEEEZZNS1_27merge_sort_block_merge_implIS3_PfPS5_jNS1_19radix_merge_compareILb0ELb0EfNS0_19identity_decomposerEEEEE10hipError_tT0_T1_T2_jT3_P12ihipStream_tbPNSt15iterator_traitsISE_E10value_typeEPNSK_ISF_E10value_typeEPSG_NS1_7vsmem_tEENKUlT_SE_SF_SG_E_clIS8_S8_S9_S9_EESD_ST_SE_SF_SG_EUlST_E0_NS1_11comp_targetILNS1_3genE4ELNS1_11target_archE910ELNS1_3gpuE8ELNS1_3repE0EEENS1_38merge_mergepath_config_static_selectorELNS0_4arch9wavefront6targetE0EEEvSF_,@function
_ZN7rocprim17ROCPRIM_400000_NS6detail17trampoline_kernelINS0_14default_configENS1_38merge_sort_block_merge_config_selectorIfNS0_10empty_typeEEEZZNS1_27merge_sort_block_merge_implIS3_PfPS5_jNS1_19radix_merge_compareILb0ELb0EfNS0_19identity_decomposerEEEEE10hipError_tT0_T1_T2_jT3_P12ihipStream_tbPNSt15iterator_traitsISE_E10value_typeEPNSK_ISF_E10value_typeEPSG_NS1_7vsmem_tEENKUlT_SE_SF_SG_E_clIS8_S8_S9_S9_EESD_ST_SE_SF_SG_EUlST_E0_NS1_11comp_targetILNS1_3genE4ELNS1_11target_archE910ELNS1_3gpuE8ELNS1_3repE0EEENS1_38merge_mergepath_config_static_selectorELNS0_4arch9wavefront6targetE0EEEvSF_: ; @_ZN7rocprim17ROCPRIM_400000_NS6detail17trampoline_kernelINS0_14default_configENS1_38merge_sort_block_merge_config_selectorIfNS0_10empty_typeEEEZZNS1_27merge_sort_block_merge_implIS3_PfPS5_jNS1_19radix_merge_compareILb0ELb0EfNS0_19identity_decomposerEEEEE10hipError_tT0_T1_T2_jT3_P12ihipStream_tbPNSt15iterator_traitsISE_E10value_typeEPNSK_ISF_E10value_typeEPSG_NS1_7vsmem_tEENKUlT_SE_SF_SG_E_clIS8_S8_S9_S9_EESD_ST_SE_SF_SG_EUlST_E0_NS1_11comp_targetILNS1_3genE4ELNS1_11target_archE910ELNS1_3gpuE8ELNS1_3repE0EEENS1_38merge_mergepath_config_static_selectorELNS0_4arch9wavefront6targetE0EEEvSF_
; %bb.0:
	.section	.rodata,"a",@progbits
	.p2align	6, 0x0
	.amdhsa_kernel _ZN7rocprim17ROCPRIM_400000_NS6detail17trampoline_kernelINS0_14default_configENS1_38merge_sort_block_merge_config_selectorIfNS0_10empty_typeEEEZZNS1_27merge_sort_block_merge_implIS3_PfPS5_jNS1_19radix_merge_compareILb0ELb0EfNS0_19identity_decomposerEEEEE10hipError_tT0_T1_T2_jT3_P12ihipStream_tbPNSt15iterator_traitsISE_E10value_typeEPNSK_ISF_E10value_typeEPSG_NS1_7vsmem_tEENKUlT_SE_SF_SG_E_clIS8_S8_S9_S9_EESD_ST_SE_SF_SG_EUlST_E0_NS1_11comp_targetILNS1_3genE4ELNS1_11target_archE910ELNS1_3gpuE8ELNS1_3repE0EEENS1_38merge_mergepath_config_static_selectorELNS0_4arch9wavefront6targetE0EEEvSF_
		.amdhsa_group_segment_fixed_size 0
		.amdhsa_private_segment_fixed_size 0
		.amdhsa_kernarg_size 64
		.amdhsa_user_sgpr_count 2
		.amdhsa_user_sgpr_dispatch_ptr 0
		.amdhsa_user_sgpr_queue_ptr 0
		.amdhsa_user_sgpr_kernarg_segment_ptr 1
		.amdhsa_user_sgpr_dispatch_id 0
		.amdhsa_user_sgpr_kernarg_preload_length 0
		.amdhsa_user_sgpr_kernarg_preload_offset 0
		.amdhsa_user_sgpr_private_segment_size 0
		.amdhsa_wavefront_size32 1
		.amdhsa_uses_dynamic_stack 0
		.amdhsa_enable_private_segment 0
		.amdhsa_system_sgpr_workgroup_id_x 1
		.amdhsa_system_sgpr_workgroup_id_y 0
		.amdhsa_system_sgpr_workgroup_id_z 0
		.amdhsa_system_sgpr_workgroup_info 0
		.amdhsa_system_vgpr_workitem_id 0
		.amdhsa_next_free_vgpr 1
		.amdhsa_next_free_sgpr 1
		.amdhsa_named_barrier_count 0
		.amdhsa_reserve_vcc 0
		.amdhsa_float_round_mode_32 0
		.amdhsa_float_round_mode_16_64 0
		.amdhsa_float_denorm_mode_32 3
		.amdhsa_float_denorm_mode_16_64 3
		.amdhsa_fp16_overflow 0
		.amdhsa_memory_ordered 1
		.amdhsa_forward_progress 1
		.amdhsa_inst_pref_size 0
		.amdhsa_round_robin_scheduling 0
		.amdhsa_exception_fp_ieee_invalid_op 0
		.amdhsa_exception_fp_denorm_src 0
		.amdhsa_exception_fp_ieee_div_zero 0
		.amdhsa_exception_fp_ieee_overflow 0
		.amdhsa_exception_fp_ieee_underflow 0
		.amdhsa_exception_fp_ieee_inexact 0
		.amdhsa_exception_int_div_zero 0
	.end_amdhsa_kernel
	.section	.text._ZN7rocprim17ROCPRIM_400000_NS6detail17trampoline_kernelINS0_14default_configENS1_38merge_sort_block_merge_config_selectorIfNS0_10empty_typeEEEZZNS1_27merge_sort_block_merge_implIS3_PfPS5_jNS1_19radix_merge_compareILb0ELb0EfNS0_19identity_decomposerEEEEE10hipError_tT0_T1_T2_jT3_P12ihipStream_tbPNSt15iterator_traitsISE_E10value_typeEPNSK_ISF_E10value_typeEPSG_NS1_7vsmem_tEENKUlT_SE_SF_SG_E_clIS8_S8_S9_S9_EESD_ST_SE_SF_SG_EUlST_E0_NS1_11comp_targetILNS1_3genE4ELNS1_11target_archE910ELNS1_3gpuE8ELNS1_3repE0EEENS1_38merge_mergepath_config_static_selectorELNS0_4arch9wavefront6targetE0EEEvSF_,"axG",@progbits,_ZN7rocprim17ROCPRIM_400000_NS6detail17trampoline_kernelINS0_14default_configENS1_38merge_sort_block_merge_config_selectorIfNS0_10empty_typeEEEZZNS1_27merge_sort_block_merge_implIS3_PfPS5_jNS1_19radix_merge_compareILb0ELb0EfNS0_19identity_decomposerEEEEE10hipError_tT0_T1_T2_jT3_P12ihipStream_tbPNSt15iterator_traitsISE_E10value_typeEPNSK_ISF_E10value_typeEPSG_NS1_7vsmem_tEENKUlT_SE_SF_SG_E_clIS8_S8_S9_S9_EESD_ST_SE_SF_SG_EUlST_E0_NS1_11comp_targetILNS1_3genE4ELNS1_11target_archE910ELNS1_3gpuE8ELNS1_3repE0EEENS1_38merge_mergepath_config_static_selectorELNS0_4arch9wavefront6targetE0EEEvSF_,comdat
.Lfunc_end1375:
	.size	_ZN7rocprim17ROCPRIM_400000_NS6detail17trampoline_kernelINS0_14default_configENS1_38merge_sort_block_merge_config_selectorIfNS0_10empty_typeEEEZZNS1_27merge_sort_block_merge_implIS3_PfPS5_jNS1_19radix_merge_compareILb0ELb0EfNS0_19identity_decomposerEEEEE10hipError_tT0_T1_T2_jT3_P12ihipStream_tbPNSt15iterator_traitsISE_E10value_typeEPNSK_ISF_E10value_typeEPSG_NS1_7vsmem_tEENKUlT_SE_SF_SG_E_clIS8_S8_S9_S9_EESD_ST_SE_SF_SG_EUlST_E0_NS1_11comp_targetILNS1_3genE4ELNS1_11target_archE910ELNS1_3gpuE8ELNS1_3repE0EEENS1_38merge_mergepath_config_static_selectorELNS0_4arch9wavefront6targetE0EEEvSF_, .Lfunc_end1375-_ZN7rocprim17ROCPRIM_400000_NS6detail17trampoline_kernelINS0_14default_configENS1_38merge_sort_block_merge_config_selectorIfNS0_10empty_typeEEEZZNS1_27merge_sort_block_merge_implIS3_PfPS5_jNS1_19radix_merge_compareILb0ELb0EfNS0_19identity_decomposerEEEEE10hipError_tT0_T1_T2_jT3_P12ihipStream_tbPNSt15iterator_traitsISE_E10value_typeEPNSK_ISF_E10value_typeEPSG_NS1_7vsmem_tEENKUlT_SE_SF_SG_E_clIS8_S8_S9_S9_EESD_ST_SE_SF_SG_EUlST_E0_NS1_11comp_targetILNS1_3genE4ELNS1_11target_archE910ELNS1_3gpuE8ELNS1_3repE0EEENS1_38merge_mergepath_config_static_selectorELNS0_4arch9wavefront6targetE0EEEvSF_
                                        ; -- End function
	.set _ZN7rocprim17ROCPRIM_400000_NS6detail17trampoline_kernelINS0_14default_configENS1_38merge_sort_block_merge_config_selectorIfNS0_10empty_typeEEEZZNS1_27merge_sort_block_merge_implIS3_PfPS5_jNS1_19radix_merge_compareILb0ELb0EfNS0_19identity_decomposerEEEEE10hipError_tT0_T1_T2_jT3_P12ihipStream_tbPNSt15iterator_traitsISE_E10value_typeEPNSK_ISF_E10value_typeEPSG_NS1_7vsmem_tEENKUlT_SE_SF_SG_E_clIS8_S8_S9_S9_EESD_ST_SE_SF_SG_EUlST_E0_NS1_11comp_targetILNS1_3genE4ELNS1_11target_archE910ELNS1_3gpuE8ELNS1_3repE0EEENS1_38merge_mergepath_config_static_selectorELNS0_4arch9wavefront6targetE0EEEvSF_.num_vgpr, 0
	.set _ZN7rocprim17ROCPRIM_400000_NS6detail17trampoline_kernelINS0_14default_configENS1_38merge_sort_block_merge_config_selectorIfNS0_10empty_typeEEEZZNS1_27merge_sort_block_merge_implIS3_PfPS5_jNS1_19radix_merge_compareILb0ELb0EfNS0_19identity_decomposerEEEEE10hipError_tT0_T1_T2_jT3_P12ihipStream_tbPNSt15iterator_traitsISE_E10value_typeEPNSK_ISF_E10value_typeEPSG_NS1_7vsmem_tEENKUlT_SE_SF_SG_E_clIS8_S8_S9_S9_EESD_ST_SE_SF_SG_EUlST_E0_NS1_11comp_targetILNS1_3genE4ELNS1_11target_archE910ELNS1_3gpuE8ELNS1_3repE0EEENS1_38merge_mergepath_config_static_selectorELNS0_4arch9wavefront6targetE0EEEvSF_.num_agpr, 0
	.set _ZN7rocprim17ROCPRIM_400000_NS6detail17trampoline_kernelINS0_14default_configENS1_38merge_sort_block_merge_config_selectorIfNS0_10empty_typeEEEZZNS1_27merge_sort_block_merge_implIS3_PfPS5_jNS1_19radix_merge_compareILb0ELb0EfNS0_19identity_decomposerEEEEE10hipError_tT0_T1_T2_jT3_P12ihipStream_tbPNSt15iterator_traitsISE_E10value_typeEPNSK_ISF_E10value_typeEPSG_NS1_7vsmem_tEENKUlT_SE_SF_SG_E_clIS8_S8_S9_S9_EESD_ST_SE_SF_SG_EUlST_E0_NS1_11comp_targetILNS1_3genE4ELNS1_11target_archE910ELNS1_3gpuE8ELNS1_3repE0EEENS1_38merge_mergepath_config_static_selectorELNS0_4arch9wavefront6targetE0EEEvSF_.numbered_sgpr, 0
	.set _ZN7rocprim17ROCPRIM_400000_NS6detail17trampoline_kernelINS0_14default_configENS1_38merge_sort_block_merge_config_selectorIfNS0_10empty_typeEEEZZNS1_27merge_sort_block_merge_implIS3_PfPS5_jNS1_19radix_merge_compareILb0ELb0EfNS0_19identity_decomposerEEEEE10hipError_tT0_T1_T2_jT3_P12ihipStream_tbPNSt15iterator_traitsISE_E10value_typeEPNSK_ISF_E10value_typeEPSG_NS1_7vsmem_tEENKUlT_SE_SF_SG_E_clIS8_S8_S9_S9_EESD_ST_SE_SF_SG_EUlST_E0_NS1_11comp_targetILNS1_3genE4ELNS1_11target_archE910ELNS1_3gpuE8ELNS1_3repE0EEENS1_38merge_mergepath_config_static_selectorELNS0_4arch9wavefront6targetE0EEEvSF_.num_named_barrier, 0
	.set _ZN7rocprim17ROCPRIM_400000_NS6detail17trampoline_kernelINS0_14default_configENS1_38merge_sort_block_merge_config_selectorIfNS0_10empty_typeEEEZZNS1_27merge_sort_block_merge_implIS3_PfPS5_jNS1_19radix_merge_compareILb0ELb0EfNS0_19identity_decomposerEEEEE10hipError_tT0_T1_T2_jT3_P12ihipStream_tbPNSt15iterator_traitsISE_E10value_typeEPNSK_ISF_E10value_typeEPSG_NS1_7vsmem_tEENKUlT_SE_SF_SG_E_clIS8_S8_S9_S9_EESD_ST_SE_SF_SG_EUlST_E0_NS1_11comp_targetILNS1_3genE4ELNS1_11target_archE910ELNS1_3gpuE8ELNS1_3repE0EEENS1_38merge_mergepath_config_static_selectorELNS0_4arch9wavefront6targetE0EEEvSF_.private_seg_size, 0
	.set _ZN7rocprim17ROCPRIM_400000_NS6detail17trampoline_kernelINS0_14default_configENS1_38merge_sort_block_merge_config_selectorIfNS0_10empty_typeEEEZZNS1_27merge_sort_block_merge_implIS3_PfPS5_jNS1_19radix_merge_compareILb0ELb0EfNS0_19identity_decomposerEEEEE10hipError_tT0_T1_T2_jT3_P12ihipStream_tbPNSt15iterator_traitsISE_E10value_typeEPNSK_ISF_E10value_typeEPSG_NS1_7vsmem_tEENKUlT_SE_SF_SG_E_clIS8_S8_S9_S9_EESD_ST_SE_SF_SG_EUlST_E0_NS1_11comp_targetILNS1_3genE4ELNS1_11target_archE910ELNS1_3gpuE8ELNS1_3repE0EEENS1_38merge_mergepath_config_static_selectorELNS0_4arch9wavefront6targetE0EEEvSF_.uses_vcc, 0
	.set _ZN7rocprim17ROCPRIM_400000_NS6detail17trampoline_kernelINS0_14default_configENS1_38merge_sort_block_merge_config_selectorIfNS0_10empty_typeEEEZZNS1_27merge_sort_block_merge_implIS3_PfPS5_jNS1_19radix_merge_compareILb0ELb0EfNS0_19identity_decomposerEEEEE10hipError_tT0_T1_T2_jT3_P12ihipStream_tbPNSt15iterator_traitsISE_E10value_typeEPNSK_ISF_E10value_typeEPSG_NS1_7vsmem_tEENKUlT_SE_SF_SG_E_clIS8_S8_S9_S9_EESD_ST_SE_SF_SG_EUlST_E0_NS1_11comp_targetILNS1_3genE4ELNS1_11target_archE910ELNS1_3gpuE8ELNS1_3repE0EEENS1_38merge_mergepath_config_static_selectorELNS0_4arch9wavefront6targetE0EEEvSF_.uses_flat_scratch, 0
	.set _ZN7rocprim17ROCPRIM_400000_NS6detail17trampoline_kernelINS0_14default_configENS1_38merge_sort_block_merge_config_selectorIfNS0_10empty_typeEEEZZNS1_27merge_sort_block_merge_implIS3_PfPS5_jNS1_19radix_merge_compareILb0ELb0EfNS0_19identity_decomposerEEEEE10hipError_tT0_T1_T2_jT3_P12ihipStream_tbPNSt15iterator_traitsISE_E10value_typeEPNSK_ISF_E10value_typeEPSG_NS1_7vsmem_tEENKUlT_SE_SF_SG_E_clIS8_S8_S9_S9_EESD_ST_SE_SF_SG_EUlST_E0_NS1_11comp_targetILNS1_3genE4ELNS1_11target_archE910ELNS1_3gpuE8ELNS1_3repE0EEENS1_38merge_mergepath_config_static_selectorELNS0_4arch9wavefront6targetE0EEEvSF_.has_dyn_sized_stack, 0
	.set _ZN7rocprim17ROCPRIM_400000_NS6detail17trampoline_kernelINS0_14default_configENS1_38merge_sort_block_merge_config_selectorIfNS0_10empty_typeEEEZZNS1_27merge_sort_block_merge_implIS3_PfPS5_jNS1_19radix_merge_compareILb0ELb0EfNS0_19identity_decomposerEEEEE10hipError_tT0_T1_T2_jT3_P12ihipStream_tbPNSt15iterator_traitsISE_E10value_typeEPNSK_ISF_E10value_typeEPSG_NS1_7vsmem_tEENKUlT_SE_SF_SG_E_clIS8_S8_S9_S9_EESD_ST_SE_SF_SG_EUlST_E0_NS1_11comp_targetILNS1_3genE4ELNS1_11target_archE910ELNS1_3gpuE8ELNS1_3repE0EEENS1_38merge_mergepath_config_static_selectorELNS0_4arch9wavefront6targetE0EEEvSF_.has_recursion, 0
	.set _ZN7rocprim17ROCPRIM_400000_NS6detail17trampoline_kernelINS0_14default_configENS1_38merge_sort_block_merge_config_selectorIfNS0_10empty_typeEEEZZNS1_27merge_sort_block_merge_implIS3_PfPS5_jNS1_19radix_merge_compareILb0ELb0EfNS0_19identity_decomposerEEEEE10hipError_tT0_T1_T2_jT3_P12ihipStream_tbPNSt15iterator_traitsISE_E10value_typeEPNSK_ISF_E10value_typeEPSG_NS1_7vsmem_tEENKUlT_SE_SF_SG_E_clIS8_S8_S9_S9_EESD_ST_SE_SF_SG_EUlST_E0_NS1_11comp_targetILNS1_3genE4ELNS1_11target_archE910ELNS1_3gpuE8ELNS1_3repE0EEENS1_38merge_mergepath_config_static_selectorELNS0_4arch9wavefront6targetE0EEEvSF_.has_indirect_call, 0
	.section	.AMDGPU.csdata,"",@progbits
; Kernel info:
; codeLenInByte = 0
; TotalNumSgprs: 0
; NumVgprs: 0
; ScratchSize: 0
; MemoryBound: 0
; FloatMode: 240
; IeeeMode: 1
; LDSByteSize: 0 bytes/workgroup (compile time only)
; SGPRBlocks: 0
; VGPRBlocks: 0
; NumSGPRsForWavesPerEU: 1
; NumVGPRsForWavesPerEU: 1
; NamedBarCnt: 0
; Occupancy: 16
; WaveLimiterHint : 0
; COMPUTE_PGM_RSRC2:SCRATCH_EN: 0
; COMPUTE_PGM_RSRC2:USER_SGPR: 2
; COMPUTE_PGM_RSRC2:TRAP_HANDLER: 0
; COMPUTE_PGM_RSRC2:TGID_X_EN: 1
; COMPUTE_PGM_RSRC2:TGID_Y_EN: 0
; COMPUTE_PGM_RSRC2:TGID_Z_EN: 0
; COMPUTE_PGM_RSRC2:TIDIG_COMP_CNT: 0
	.section	.text._ZN7rocprim17ROCPRIM_400000_NS6detail17trampoline_kernelINS0_14default_configENS1_38merge_sort_block_merge_config_selectorIfNS0_10empty_typeEEEZZNS1_27merge_sort_block_merge_implIS3_PfPS5_jNS1_19radix_merge_compareILb0ELb0EfNS0_19identity_decomposerEEEEE10hipError_tT0_T1_T2_jT3_P12ihipStream_tbPNSt15iterator_traitsISE_E10value_typeEPNSK_ISF_E10value_typeEPSG_NS1_7vsmem_tEENKUlT_SE_SF_SG_E_clIS8_S8_S9_S9_EESD_ST_SE_SF_SG_EUlST_E0_NS1_11comp_targetILNS1_3genE3ELNS1_11target_archE908ELNS1_3gpuE7ELNS1_3repE0EEENS1_38merge_mergepath_config_static_selectorELNS0_4arch9wavefront6targetE0EEEvSF_,"axG",@progbits,_ZN7rocprim17ROCPRIM_400000_NS6detail17trampoline_kernelINS0_14default_configENS1_38merge_sort_block_merge_config_selectorIfNS0_10empty_typeEEEZZNS1_27merge_sort_block_merge_implIS3_PfPS5_jNS1_19radix_merge_compareILb0ELb0EfNS0_19identity_decomposerEEEEE10hipError_tT0_T1_T2_jT3_P12ihipStream_tbPNSt15iterator_traitsISE_E10value_typeEPNSK_ISF_E10value_typeEPSG_NS1_7vsmem_tEENKUlT_SE_SF_SG_E_clIS8_S8_S9_S9_EESD_ST_SE_SF_SG_EUlST_E0_NS1_11comp_targetILNS1_3genE3ELNS1_11target_archE908ELNS1_3gpuE7ELNS1_3repE0EEENS1_38merge_mergepath_config_static_selectorELNS0_4arch9wavefront6targetE0EEEvSF_,comdat
	.protected	_ZN7rocprim17ROCPRIM_400000_NS6detail17trampoline_kernelINS0_14default_configENS1_38merge_sort_block_merge_config_selectorIfNS0_10empty_typeEEEZZNS1_27merge_sort_block_merge_implIS3_PfPS5_jNS1_19radix_merge_compareILb0ELb0EfNS0_19identity_decomposerEEEEE10hipError_tT0_T1_T2_jT3_P12ihipStream_tbPNSt15iterator_traitsISE_E10value_typeEPNSK_ISF_E10value_typeEPSG_NS1_7vsmem_tEENKUlT_SE_SF_SG_E_clIS8_S8_S9_S9_EESD_ST_SE_SF_SG_EUlST_E0_NS1_11comp_targetILNS1_3genE3ELNS1_11target_archE908ELNS1_3gpuE7ELNS1_3repE0EEENS1_38merge_mergepath_config_static_selectorELNS0_4arch9wavefront6targetE0EEEvSF_ ; -- Begin function _ZN7rocprim17ROCPRIM_400000_NS6detail17trampoline_kernelINS0_14default_configENS1_38merge_sort_block_merge_config_selectorIfNS0_10empty_typeEEEZZNS1_27merge_sort_block_merge_implIS3_PfPS5_jNS1_19radix_merge_compareILb0ELb0EfNS0_19identity_decomposerEEEEE10hipError_tT0_T1_T2_jT3_P12ihipStream_tbPNSt15iterator_traitsISE_E10value_typeEPNSK_ISF_E10value_typeEPSG_NS1_7vsmem_tEENKUlT_SE_SF_SG_E_clIS8_S8_S9_S9_EESD_ST_SE_SF_SG_EUlST_E0_NS1_11comp_targetILNS1_3genE3ELNS1_11target_archE908ELNS1_3gpuE7ELNS1_3repE0EEENS1_38merge_mergepath_config_static_selectorELNS0_4arch9wavefront6targetE0EEEvSF_
	.globl	_ZN7rocprim17ROCPRIM_400000_NS6detail17trampoline_kernelINS0_14default_configENS1_38merge_sort_block_merge_config_selectorIfNS0_10empty_typeEEEZZNS1_27merge_sort_block_merge_implIS3_PfPS5_jNS1_19radix_merge_compareILb0ELb0EfNS0_19identity_decomposerEEEEE10hipError_tT0_T1_T2_jT3_P12ihipStream_tbPNSt15iterator_traitsISE_E10value_typeEPNSK_ISF_E10value_typeEPSG_NS1_7vsmem_tEENKUlT_SE_SF_SG_E_clIS8_S8_S9_S9_EESD_ST_SE_SF_SG_EUlST_E0_NS1_11comp_targetILNS1_3genE3ELNS1_11target_archE908ELNS1_3gpuE7ELNS1_3repE0EEENS1_38merge_mergepath_config_static_selectorELNS0_4arch9wavefront6targetE0EEEvSF_
	.p2align	8
	.type	_ZN7rocprim17ROCPRIM_400000_NS6detail17trampoline_kernelINS0_14default_configENS1_38merge_sort_block_merge_config_selectorIfNS0_10empty_typeEEEZZNS1_27merge_sort_block_merge_implIS3_PfPS5_jNS1_19radix_merge_compareILb0ELb0EfNS0_19identity_decomposerEEEEE10hipError_tT0_T1_T2_jT3_P12ihipStream_tbPNSt15iterator_traitsISE_E10value_typeEPNSK_ISF_E10value_typeEPSG_NS1_7vsmem_tEENKUlT_SE_SF_SG_E_clIS8_S8_S9_S9_EESD_ST_SE_SF_SG_EUlST_E0_NS1_11comp_targetILNS1_3genE3ELNS1_11target_archE908ELNS1_3gpuE7ELNS1_3repE0EEENS1_38merge_mergepath_config_static_selectorELNS0_4arch9wavefront6targetE0EEEvSF_,@function
_ZN7rocprim17ROCPRIM_400000_NS6detail17trampoline_kernelINS0_14default_configENS1_38merge_sort_block_merge_config_selectorIfNS0_10empty_typeEEEZZNS1_27merge_sort_block_merge_implIS3_PfPS5_jNS1_19radix_merge_compareILb0ELb0EfNS0_19identity_decomposerEEEEE10hipError_tT0_T1_T2_jT3_P12ihipStream_tbPNSt15iterator_traitsISE_E10value_typeEPNSK_ISF_E10value_typeEPSG_NS1_7vsmem_tEENKUlT_SE_SF_SG_E_clIS8_S8_S9_S9_EESD_ST_SE_SF_SG_EUlST_E0_NS1_11comp_targetILNS1_3genE3ELNS1_11target_archE908ELNS1_3gpuE7ELNS1_3repE0EEENS1_38merge_mergepath_config_static_selectorELNS0_4arch9wavefront6targetE0EEEvSF_: ; @_ZN7rocprim17ROCPRIM_400000_NS6detail17trampoline_kernelINS0_14default_configENS1_38merge_sort_block_merge_config_selectorIfNS0_10empty_typeEEEZZNS1_27merge_sort_block_merge_implIS3_PfPS5_jNS1_19radix_merge_compareILb0ELb0EfNS0_19identity_decomposerEEEEE10hipError_tT0_T1_T2_jT3_P12ihipStream_tbPNSt15iterator_traitsISE_E10value_typeEPNSK_ISF_E10value_typeEPSG_NS1_7vsmem_tEENKUlT_SE_SF_SG_E_clIS8_S8_S9_S9_EESD_ST_SE_SF_SG_EUlST_E0_NS1_11comp_targetILNS1_3genE3ELNS1_11target_archE908ELNS1_3gpuE7ELNS1_3repE0EEENS1_38merge_mergepath_config_static_selectorELNS0_4arch9wavefront6targetE0EEEvSF_
; %bb.0:
	.section	.rodata,"a",@progbits
	.p2align	6, 0x0
	.amdhsa_kernel _ZN7rocprim17ROCPRIM_400000_NS6detail17trampoline_kernelINS0_14default_configENS1_38merge_sort_block_merge_config_selectorIfNS0_10empty_typeEEEZZNS1_27merge_sort_block_merge_implIS3_PfPS5_jNS1_19radix_merge_compareILb0ELb0EfNS0_19identity_decomposerEEEEE10hipError_tT0_T1_T2_jT3_P12ihipStream_tbPNSt15iterator_traitsISE_E10value_typeEPNSK_ISF_E10value_typeEPSG_NS1_7vsmem_tEENKUlT_SE_SF_SG_E_clIS8_S8_S9_S9_EESD_ST_SE_SF_SG_EUlST_E0_NS1_11comp_targetILNS1_3genE3ELNS1_11target_archE908ELNS1_3gpuE7ELNS1_3repE0EEENS1_38merge_mergepath_config_static_selectorELNS0_4arch9wavefront6targetE0EEEvSF_
		.amdhsa_group_segment_fixed_size 0
		.amdhsa_private_segment_fixed_size 0
		.amdhsa_kernarg_size 64
		.amdhsa_user_sgpr_count 2
		.amdhsa_user_sgpr_dispatch_ptr 0
		.amdhsa_user_sgpr_queue_ptr 0
		.amdhsa_user_sgpr_kernarg_segment_ptr 1
		.amdhsa_user_sgpr_dispatch_id 0
		.amdhsa_user_sgpr_kernarg_preload_length 0
		.amdhsa_user_sgpr_kernarg_preload_offset 0
		.amdhsa_user_sgpr_private_segment_size 0
		.amdhsa_wavefront_size32 1
		.amdhsa_uses_dynamic_stack 0
		.amdhsa_enable_private_segment 0
		.amdhsa_system_sgpr_workgroup_id_x 1
		.amdhsa_system_sgpr_workgroup_id_y 0
		.amdhsa_system_sgpr_workgroup_id_z 0
		.amdhsa_system_sgpr_workgroup_info 0
		.amdhsa_system_vgpr_workitem_id 0
		.amdhsa_next_free_vgpr 1
		.amdhsa_next_free_sgpr 1
		.amdhsa_named_barrier_count 0
		.amdhsa_reserve_vcc 0
		.amdhsa_float_round_mode_32 0
		.amdhsa_float_round_mode_16_64 0
		.amdhsa_float_denorm_mode_32 3
		.amdhsa_float_denorm_mode_16_64 3
		.amdhsa_fp16_overflow 0
		.amdhsa_memory_ordered 1
		.amdhsa_forward_progress 1
		.amdhsa_inst_pref_size 0
		.amdhsa_round_robin_scheduling 0
		.amdhsa_exception_fp_ieee_invalid_op 0
		.amdhsa_exception_fp_denorm_src 0
		.amdhsa_exception_fp_ieee_div_zero 0
		.amdhsa_exception_fp_ieee_overflow 0
		.amdhsa_exception_fp_ieee_underflow 0
		.amdhsa_exception_fp_ieee_inexact 0
		.amdhsa_exception_int_div_zero 0
	.end_amdhsa_kernel
	.section	.text._ZN7rocprim17ROCPRIM_400000_NS6detail17trampoline_kernelINS0_14default_configENS1_38merge_sort_block_merge_config_selectorIfNS0_10empty_typeEEEZZNS1_27merge_sort_block_merge_implIS3_PfPS5_jNS1_19radix_merge_compareILb0ELb0EfNS0_19identity_decomposerEEEEE10hipError_tT0_T1_T2_jT3_P12ihipStream_tbPNSt15iterator_traitsISE_E10value_typeEPNSK_ISF_E10value_typeEPSG_NS1_7vsmem_tEENKUlT_SE_SF_SG_E_clIS8_S8_S9_S9_EESD_ST_SE_SF_SG_EUlST_E0_NS1_11comp_targetILNS1_3genE3ELNS1_11target_archE908ELNS1_3gpuE7ELNS1_3repE0EEENS1_38merge_mergepath_config_static_selectorELNS0_4arch9wavefront6targetE0EEEvSF_,"axG",@progbits,_ZN7rocprim17ROCPRIM_400000_NS6detail17trampoline_kernelINS0_14default_configENS1_38merge_sort_block_merge_config_selectorIfNS0_10empty_typeEEEZZNS1_27merge_sort_block_merge_implIS3_PfPS5_jNS1_19radix_merge_compareILb0ELb0EfNS0_19identity_decomposerEEEEE10hipError_tT0_T1_T2_jT3_P12ihipStream_tbPNSt15iterator_traitsISE_E10value_typeEPNSK_ISF_E10value_typeEPSG_NS1_7vsmem_tEENKUlT_SE_SF_SG_E_clIS8_S8_S9_S9_EESD_ST_SE_SF_SG_EUlST_E0_NS1_11comp_targetILNS1_3genE3ELNS1_11target_archE908ELNS1_3gpuE7ELNS1_3repE0EEENS1_38merge_mergepath_config_static_selectorELNS0_4arch9wavefront6targetE0EEEvSF_,comdat
.Lfunc_end1376:
	.size	_ZN7rocprim17ROCPRIM_400000_NS6detail17trampoline_kernelINS0_14default_configENS1_38merge_sort_block_merge_config_selectorIfNS0_10empty_typeEEEZZNS1_27merge_sort_block_merge_implIS3_PfPS5_jNS1_19radix_merge_compareILb0ELb0EfNS0_19identity_decomposerEEEEE10hipError_tT0_T1_T2_jT3_P12ihipStream_tbPNSt15iterator_traitsISE_E10value_typeEPNSK_ISF_E10value_typeEPSG_NS1_7vsmem_tEENKUlT_SE_SF_SG_E_clIS8_S8_S9_S9_EESD_ST_SE_SF_SG_EUlST_E0_NS1_11comp_targetILNS1_3genE3ELNS1_11target_archE908ELNS1_3gpuE7ELNS1_3repE0EEENS1_38merge_mergepath_config_static_selectorELNS0_4arch9wavefront6targetE0EEEvSF_, .Lfunc_end1376-_ZN7rocprim17ROCPRIM_400000_NS6detail17trampoline_kernelINS0_14default_configENS1_38merge_sort_block_merge_config_selectorIfNS0_10empty_typeEEEZZNS1_27merge_sort_block_merge_implIS3_PfPS5_jNS1_19radix_merge_compareILb0ELb0EfNS0_19identity_decomposerEEEEE10hipError_tT0_T1_T2_jT3_P12ihipStream_tbPNSt15iterator_traitsISE_E10value_typeEPNSK_ISF_E10value_typeEPSG_NS1_7vsmem_tEENKUlT_SE_SF_SG_E_clIS8_S8_S9_S9_EESD_ST_SE_SF_SG_EUlST_E0_NS1_11comp_targetILNS1_3genE3ELNS1_11target_archE908ELNS1_3gpuE7ELNS1_3repE0EEENS1_38merge_mergepath_config_static_selectorELNS0_4arch9wavefront6targetE0EEEvSF_
                                        ; -- End function
	.set _ZN7rocprim17ROCPRIM_400000_NS6detail17trampoline_kernelINS0_14default_configENS1_38merge_sort_block_merge_config_selectorIfNS0_10empty_typeEEEZZNS1_27merge_sort_block_merge_implIS3_PfPS5_jNS1_19radix_merge_compareILb0ELb0EfNS0_19identity_decomposerEEEEE10hipError_tT0_T1_T2_jT3_P12ihipStream_tbPNSt15iterator_traitsISE_E10value_typeEPNSK_ISF_E10value_typeEPSG_NS1_7vsmem_tEENKUlT_SE_SF_SG_E_clIS8_S8_S9_S9_EESD_ST_SE_SF_SG_EUlST_E0_NS1_11comp_targetILNS1_3genE3ELNS1_11target_archE908ELNS1_3gpuE7ELNS1_3repE0EEENS1_38merge_mergepath_config_static_selectorELNS0_4arch9wavefront6targetE0EEEvSF_.num_vgpr, 0
	.set _ZN7rocprim17ROCPRIM_400000_NS6detail17trampoline_kernelINS0_14default_configENS1_38merge_sort_block_merge_config_selectorIfNS0_10empty_typeEEEZZNS1_27merge_sort_block_merge_implIS3_PfPS5_jNS1_19radix_merge_compareILb0ELb0EfNS0_19identity_decomposerEEEEE10hipError_tT0_T1_T2_jT3_P12ihipStream_tbPNSt15iterator_traitsISE_E10value_typeEPNSK_ISF_E10value_typeEPSG_NS1_7vsmem_tEENKUlT_SE_SF_SG_E_clIS8_S8_S9_S9_EESD_ST_SE_SF_SG_EUlST_E0_NS1_11comp_targetILNS1_3genE3ELNS1_11target_archE908ELNS1_3gpuE7ELNS1_3repE0EEENS1_38merge_mergepath_config_static_selectorELNS0_4arch9wavefront6targetE0EEEvSF_.num_agpr, 0
	.set _ZN7rocprim17ROCPRIM_400000_NS6detail17trampoline_kernelINS0_14default_configENS1_38merge_sort_block_merge_config_selectorIfNS0_10empty_typeEEEZZNS1_27merge_sort_block_merge_implIS3_PfPS5_jNS1_19radix_merge_compareILb0ELb0EfNS0_19identity_decomposerEEEEE10hipError_tT0_T1_T2_jT3_P12ihipStream_tbPNSt15iterator_traitsISE_E10value_typeEPNSK_ISF_E10value_typeEPSG_NS1_7vsmem_tEENKUlT_SE_SF_SG_E_clIS8_S8_S9_S9_EESD_ST_SE_SF_SG_EUlST_E0_NS1_11comp_targetILNS1_3genE3ELNS1_11target_archE908ELNS1_3gpuE7ELNS1_3repE0EEENS1_38merge_mergepath_config_static_selectorELNS0_4arch9wavefront6targetE0EEEvSF_.numbered_sgpr, 0
	.set _ZN7rocprim17ROCPRIM_400000_NS6detail17trampoline_kernelINS0_14default_configENS1_38merge_sort_block_merge_config_selectorIfNS0_10empty_typeEEEZZNS1_27merge_sort_block_merge_implIS3_PfPS5_jNS1_19radix_merge_compareILb0ELb0EfNS0_19identity_decomposerEEEEE10hipError_tT0_T1_T2_jT3_P12ihipStream_tbPNSt15iterator_traitsISE_E10value_typeEPNSK_ISF_E10value_typeEPSG_NS1_7vsmem_tEENKUlT_SE_SF_SG_E_clIS8_S8_S9_S9_EESD_ST_SE_SF_SG_EUlST_E0_NS1_11comp_targetILNS1_3genE3ELNS1_11target_archE908ELNS1_3gpuE7ELNS1_3repE0EEENS1_38merge_mergepath_config_static_selectorELNS0_4arch9wavefront6targetE0EEEvSF_.num_named_barrier, 0
	.set _ZN7rocprim17ROCPRIM_400000_NS6detail17trampoline_kernelINS0_14default_configENS1_38merge_sort_block_merge_config_selectorIfNS0_10empty_typeEEEZZNS1_27merge_sort_block_merge_implIS3_PfPS5_jNS1_19radix_merge_compareILb0ELb0EfNS0_19identity_decomposerEEEEE10hipError_tT0_T1_T2_jT3_P12ihipStream_tbPNSt15iterator_traitsISE_E10value_typeEPNSK_ISF_E10value_typeEPSG_NS1_7vsmem_tEENKUlT_SE_SF_SG_E_clIS8_S8_S9_S9_EESD_ST_SE_SF_SG_EUlST_E0_NS1_11comp_targetILNS1_3genE3ELNS1_11target_archE908ELNS1_3gpuE7ELNS1_3repE0EEENS1_38merge_mergepath_config_static_selectorELNS0_4arch9wavefront6targetE0EEEvSF_.private_seg_size, 0
	.set _ZN7rocprim17ROCPRIM_400000_NS6detail17trampoline_kernelINS0_14default_configENS1_38merge_sort_block_merge_config_selectorIfNS0_10empty_typeEEEZZNS1_27merge_sort_block_merge_implIS3_PfPS5_jNS1_19radix_merge_compareILb0ELb0EfNS0_19identity_decomposerEEEEE10hipError_tT0_T1_T2_jT3_P12ihipStream_tbPNSt15iterator_traitsISE_E10value_typeEPNSK_ISF_E10value_typeEPSG_NS1_7vsmem_tEENKUlT_SE_SF_SG_E_clIS8_S8_S9_S9_EESD_ST_SE_SF_SG_EUlST_E0_NS1_11comp_targetILNS1_3genE3ELNS1_11target_archE908ELNS1_3gpuE7ELNS1_3repE0EEENS1_38merge_mergepath_config_static_selectorELNS0_4arch9wavefront6targetE0EEEvSF_.uses_vcc, 0
	.set _ZN7rocprim17ROCPRIM_400000_NS6detail17trampoline_kernelINS0_14default_configENS1_38merge_sort_block_merge_config_selectorIfNS0_10empty_typeEEEZZNS1_27merge_sort_block_merge_implIS3_PfPS5_jNS1_19radix_merge_compareILb0ELb0EfNS0_19identity_decomposerEEEEE10hipError_tT0_T1_T2_jT3_P12ihipStream_tbPNSt15iterator_traitsISE_E10value_typeEPNSK_ISF_E10value_typeEPSG_NS1_7vsmem_tEENKUlT_SE_SF_SG_E_clIS8_S8_S9_S9_EESD_ST_SE_SF_SG_EUlST_E0_NS1_11comp_targetILNS1_3genE3ELNS1_11target_archE908ELNS1_3gpuE7ELNS1_3repE0EEENS1_38merge_mergepath_config_static_selectorELNS0_4arch9wavefront6targetE0EEEvSF_.uses_flat_scratch, 0
	.set _ZN7rocprim17ROCPRIM_400000_NS6detail17trampoline_kernelINS0_14default_configENS1_38merge_sort_block_merge_config_selectorIfNS0_10empty_typeEEEZZNS1_27merge_sort_block_merge_implIS3_PfPS5_jNS1_19radix_merge_compareILb0ELb0EfNS0_19identity_decomposerEEEEE10hipError_tT0_T1_T2_jT3_P12ihipStream_tbPNSt15iterator_traitsISE_E10value_typeEPNSK_ISF_E10value_typeEPSG_NS1_7vsmem_tEENKUlT_SE_SF_SG_E_clIS8_S8_S9_S9_EESD_ST_SE_SF_SG_EUlST_E0_NS1_11comp_targetILNS1_3genE3ELNS1_11target_archE908ELNS1_3gpuE7ELNS1_3repE0EEENS1_38merge_mergepath_config_static_selectorELNS0_4arch9wavefront6targetE0EEEvSF_.has_dyn_sized_stack, 0
	.set _ZN7rocprim17ROCPRIM_400000_NS6detail17trampoline_kernelINS0_14default_configENS1_38merge_sort_block_merge_config_selectorIfNS0_10empty_typeEEEZZNS1_27merge_sort_block_merge_implIS3_PfPS5_jNS1_19radix_merge_compareILb0ELb0EfNS0_19identity_decomposerEEEEE10hipError_tT0_T1_T2_jT3_P12ihipStream_tbPNSt15iterator_traitsISE_E10value_typeEPNSK_ISF_E10value_typeEPSG_NS1_7vsmem_tEENKUlT_SE_SF_SG_E_clIS8_S8_S9_S9_EESD_ST_SE_SF_SG_EUlST_E0_NS1_11comp_targetILNS1_3genE3ELNS1_11target_archE908ELNS1_3gpuE7ELNS1_3repE0EEENS1_38merge_mergepath_config_static_selectorELNS0_4arch9wavefront6targetE0EEEvSF_.has_recursion, 0
	.set _ZN7rocprim17ROCPRIM_400000_NS6detail17trampoline_kernelINS0_14default_configENS1_38merge_sort_block_merge_config_selectorIfNS0_10empty_typeEEEZZNS1_27merge_sort_block_merge_implIS3_PfPS5_jNS1_19radix_merge_compareILb0ELb0EfNS0_19identity_decomposerEEEEE10hipError_tT0_T1_T2_jT3_P12ihipStream_tbPNSt15iterator_traitsISE_E10value_typeEPNSK_ISF_E10value_typeEPSG_NS1_7vsmem_tEENKUlT_SE_SF_SG_E_clIS8_S8_S9_S9_EESD_ST_SE_SF_SG_EUlST_E0_NS1_11comp_targetILNS1_3genE3ELNS1_11target_archE908ELNS1_3gpuE7ELNS1_3repE0EEENS1_38merge_mergepath_config_static_selectorELNS0_4arch9wavefront6targetE0EEEvSF_.has_indirect_call, 0
	.section	.AMDGPU.csdata,"",@progbits
; Kernel info:
; codeLenInByte = 0
; TotalNumSgprs: 0
; NumVgprs: 0
; ScratchSize: 0
; MemoryBound: 0
; FloatMode: 240
; IeeeMode: 1
; LDSByteSize: 0 bytes/workgroup (compile time only)
; SGPRBlocks: 0
; VGPRBlocks: 0
; NumSGPRsForWavesPerEU: 1
; NumVGPRsForWavesPerEU: 1
; NamedBarCnt: 0
; Occupancy: 16
; WaveLimiterHint : 0
; COMPUTE_PGM_RSRC2:SCRATCH_EN: 0
; COMPUTE_PGM_RSRC2:USER_SGPR: 2
; COMPUTE_PGM_RSRC2:TRAP_HANDLER: 0
; COMPUTE_PGM_RSRC2:TGID_X_EN: 1
; COMPUTE_PGM_RSRC2:TGID_Y_EN: 0
; COMPUTE_PGM_RSRC2:TGID_Z_EN: 0
; COMPUTE_PGM_RSRC2:TIDIG_COMP_CNT: 0
	.section	.text._ZN7rocprim17ROCPRIM_400000_NS6detail17trampoline_kernelINS0_14default_configENS1_38merge_sort_block_merge_config_selectorIfNS0_10empty_typeEEEZZNS1_27merge_sort_block_merge_implIS3_PfPS5_jNS1_19radix_merge_compareILb0ELb0EfNS0_19identity_decomposerEEEEE10hipError_tT0_T1_T2_jT3_P12ihipStream_tbPNSt15iterator_traitsISE_E10value_typeEPNSK_ISF_E10value_typeEPSG_NS1_7vsmem_tEENKUlT_SE_SF_SG_E_clIS8_S8_S9_S9_EESD_ST_SE_SF_SG_EUlST_E0_NS1_11comp_targetILNS1_3genE2ELNS1_11target_archE906ELNS1_3gpuE6ELNS1_3repE0EEENS1_38merge_mergepath_config_static_selectorELNS0_4arch9wavefront6targetE0EEEvSF_,"axG",@progbits,_ZN7rocprim17ROCPRIM_400000_NS6detail17trampoline_kernelINS0_14default_configENS1_38merge_sort_block_merge_config_selectorIfNS0_10empty_typeEEEZZNS1_27merge_sort_block_merge_implIS3_PfPS5_jNS1_19radix_merge_compareILb0ELb0EfNS0_19identity_decomposerEEEEE10hipError_tT0_T1_T2_jT3_P12ihipStream_tbPNSt15iterator_traitsISE_E10value_typeEPNSK_ISF_E10value_typeEPSG_NS1_7vsmem_tEENKUlT_SE_SF_SG_E_clIS8_S8_S9_S9_EESD_ST_SE_SF_SG_EUlST_E0_NS1_11comp_targetILNS1_3genE2ELNS1_11target_archE906ELNS1_3gpuE6ELNS1_3repE0EEENS1_38merge_mergepath_config_static_selectorELNS0_4arch9wavefront6targetE0EEEvSF_,comdat
	.protected	_ZN7rocprim17ROCPRIM_400000_NS6detail17trampoline_kernelINS0_14default_configENS1_38merge_sort_block_merge_config_selectorIfNS0_10empty_typeEEEZZNS1_27merge_sort_block_merge_implIS3_PfPS5_jNS1_19radix_merge_compareILb0ELb0EfNS0_19identity_decomposerEEEEE10hipError_tT0_T1_T2_jT3_P12ihipStream_tbPNSt15iterator_traitsISE_E10value_typeEPNSK_ISF_E10value_typeEPSG_NS1_7vsmem_tEENKUlT_SE_SF_SG_E_clIS8_S8_S9_S9_EESD_ST_SE_SF_SG_EUlST_E0_NS1_11comp_targetILNS1_3genE2ELNS1_11target_archE906ELNS1_3gpuE6ELNS1_3repE0EEENS1_38merge_mergepath_config_static_selectorELNS0_4arch9wavefront6targetE0EEEvSF_ ; -- Begin function _ZN7rocprim17ROCPRIM_400000_NS6detail17trampoline_kernelINS0_14default_configENS1_38merge_sort_block_merge_config_selectorIfNS0_10empty_typeEEEZZNS1_27merge_sort_block_merge_implIS3_PfPS5_jNS1_19radix_merge_compareILb0ELb0EfNS0_19identity_decomposerEEEEE10hipError_tT0_T1_T2_jT3_P12ihipStream_tbPNSt15iterator_traitsISE_E10value_typeEPNSK_ISF_E10value_typeEPSG_NS1_7vsmem_tEENKUlT_SE_SF_SG_E_clIS8_S8_S9_S9_EESD_ST_SE_SF_SG_EUlST_E0_NS1_11comp_targetILNS1_3genE2ELNS1_11target_archE906ELNS1_3gpuE6ELNS1_3repE0EEENS1_38merge_mergepath_config_static_selectorELNS0_4arch9wavefront6targetE0EEEvSF_
	.globl	_ZN7rocprim17ROCPRIM_400000_NS6detail17trampoline_kernelINS0_14default_configENS1_38merge_sort_block_merge_config_selectorIfNS0_10empty_typeEEEZZNS1_27merge_sort_block_merge_implIS3_PfPS5_jNS1_19radix_merge_compareILb0ELb0EfNS0_19identity_decomposerEEEEE10hipError_tT0_T1_T2_jT3_P12ihipStream_tbPNSt15iterator_traitsISE_E10value_typeEPNSK_ISF_E10value_typeEPSG_NS1_7vsmem_tEENKUlT_SE_SF_SG_E_clIS8_S8_S9_S9_EESD_ST_SE_SF_SG_EUlST_E0_NS1_11comp_targetILNS1_3genE2ELNS1_11target_archE906ELNS1_3gpuE6ELNS1_3repE0EEENS1_38merge_mergepath_config_static_selectorELNS0_4arch9wavefront6targetE0EEEvSF_
	.p2align	8
	.type	_ZN7rocprim17ROCPRIM_400000_NS6detail17trampoline_kernelINS0_14default_configENS1_38merge_sort_block_merge_config_selectorIfNS0_10empty_typeEEEZZNS1_27merge_sort_block_merge_implIS3_PfPS5_jNS1_19radix_merge_compareILb0ELb0EfNS0_19identity_decomposerEEEEE10hipError_tT0_T1_T2_jT3_P12ihipStream_tbPNSt15iterator_traitsISE_E10value_typeEPNSK_ISF_E10value_typeEPSG_NS1_7vsmem_tEENKUlT_SE_SF_SG_E_clIS8_S8_S9_S9_EESD_ST_SE_SF_SG_EUlST_E0_NS1_11comp_targetILNS1_3genE2ELNS1_11target_archE906ELNS1_3gpuE6ELNS1_3repE0EEENS1_38merge_mergepath_config_static_selectorELNS0_4arch9wavefront6targetE0EEEvSF_,@function
_ZN7rocprim17ROCPRIM_400000_NS6detail17trampoline_kernelINS0_14default_configENS1_38merge_sort_block_merge_config_selectorIfNS0_10empty_typeEEEZZNS1_27merge_sort_block_merge_implIS3_PfPS5_jNS1_19radix_merge_compareILb0ELb0EfNS0_19identity_decomposerEEEEE10hipError_tT0_T1_T2_jT3_P12ihipStream_tbPNSt15iterator_traitsISE_E10value_typeEPNSK_ISF_E10value_typeEPSG_NS1_7vsmem_tEENKUlT_SE_SF_SG_E_clIS8_S8_S9_S9_EESD_ST_SE_SF_SG_EUlST_E0_NS1_11comp_targetILNS1_3genE2ELNS1_11target_archE906ELNS1_3gpuE6ELNS1_3repE0EEENS1_38merge_mergepath_config_static_selectorELNS0_4arch9wavefront6targetE0EEEvSF_: ; @_ZN7rocprim17ROCPRIM_400000_NS6detail17trampoline_kernelINS0_14default_configENS1_38merge_sort_block_merge_config_selectorIfNS0_10empty_typeEEEZZNS1_27merge_sort_block_merge_implIS3_PfPS5_jNS1_19radix_merge_compareILb0ELb0EfNS0_19identity_decomposerEEEEE10hipError_tT0_T1_T2_jT3_P12ihipStream_tbPNSt15iterator_traitsISE_E10value_typeEPNSK_ISF_E10value_typeEPSG_NS1_7vsmem_tEENKUlT_SE_SF_SG_E_clIS8_S8_S9_S9_EESD_ST_SE_SF_SG_EUlST_E0_NS1_11comp_targetILNS1_3genE2ELNS1_11target_archE906ELNS1_3gpuE6ELNS1_3repE0EEENS1_38merge_mergepath_config_static_selectorELNS0_4arch9wavefront6targetE0EEEvSF_
; %bb.0:
	.section	.rodata,"a",@progbits
	.p2align	6, 0x0
	.amdhsa_kernel _ZN7rocprim17ROCPRIM_400000_NS6detail17trampoline_kernelINS0_14default_configENS1_38merge_sort_block_merge_config_selectorIfNS0_10empty_typeEEEZZNS1_27merge_sort_block_merge_implIS3_PfPS5_jNS1_19radix_merge_compareILb0ELb0EfNS0_19identity_decomposerEEEEE10hipError_tT0_T1_T2_jT3_P12ihipStream_tbPNSt15iterator_traitsISE_E10value_typeEPNSK_ISF_E10value_typeEPSG_NS1_7vsmem_tEENKUlT_SE_SF_SG_E_clIS8_S8_S9_S9_EESD_ST_SE_SF_SG_EUlST_E0_NS1_11comp_targetILNS1_3genE2ELNS1_11target_archE906ELNS1_3gpuE6ELNS1_3repE0EEENS1_38merge_mergepath_config_static_selectorELNS0_4arch9wavefront6targetE0EEEvSF_
		.amdhsa_group_segment_fixed_size 0
		.amdhsa_private_segment_fixed_size 0
		.amdhsa_kernarg_size 64
		.amdhsa_user_sgpr_count 2
		.amdhsa_user_sgpr_dispatch_ptr 0
		.amdhsa_user_sgpr_queue_ptr 0
		.amdhsa_user_sgpr_kernarg_segment_ptr 1
		.amdhsa_user_sgpr_dispatch_id 0
		.amdhsa_user_sgpr_kernarg_preload_length 0
		.amdhsa_user_sgpr_kernarg_preload_offset 0
		.amdhsa_user_sgpr_private_segment_size 0
		.amdhsa_wavefront_size32 1
		.amdhsa_uses_dynamic_stack 0
		.amdhsa_enable_private_segment 0
		.amdhsa_system_sgpr_workgroup_id_x 1
		.amdhsa_system_sgpr_workgroup_id_y 0
		.amdhsa_system_sgpr_workgroup_id_z 0
		.amdhsa_system_sgpr_workgroup_info 0
		.amdhsa_system_vgpr_workitem_id 0
		.amdhsa_next_free_vgpr 1
		.amdhsa_next_free_sgpr 1
		.amdhsa_named_barrier_count 0
		.amdhsa_reserve_vcc 0
		.amdhsa_float_round_mode_32 0
		.amdhsa_float_round_mode_16_64 0
		.amdhsa_float_denorm_mode_32 3
		.amdhsa_float_denorm_mode_16_64 3
		.amdhsa_fp16_overflow 0
		.amdhsa_memory_ordered 1
		.amdhsa_forward_progress 1
		.amdhsa_inst_pref_size 0
		.amdhsa_round_robin_scheduling 0
		.amdhsa_exception_fp_ieee_invalid_op 0
		.amdhsa_exception_fp_denorm_src 0
		.amdhsa_exception_fp_ieee_div_zero 0
		.amdhsa_exception_fp_ieee_overflow 0
		.amdhsa_exception_fp_ieee_underflow 0
		.amdhsa_exception_fp_ieee_inexact 0
		.amdhsa_exception_int_div_zero 0
	.end_amdhsa_kernel
	.section	.text._ZN7rocprim17ROCPRIM_400000_NS6detail17trampoline_kernelINS0_14default_configENS1_38merge_sort_block_merge_config_selectorIfNS0_10empty_typeEEEZZNS1_27merge_sort_block_merge_implIS3_PfPS5_jNS1_19radix_merge_compareILb0ELb0EfNS0_19identity_decomposerEEEEE10hipError_tT0_T1_T2_jT3_P12ihipStream_tbPNSt15iterator_traitsISE_E10value_typeEPNSK_ISF_E10value_typeEPSG_NS1_7vsmem_tEENKUlT_SE_SF_SG_E_clIS8_S8_S9_S9_EESD_ST_SE_SF_SG_EUlST_E0_NS1_11comp_targetILNS1_3genE2ELNS1_11target_archE906ELNS1_3gpuE6ELNS1_3repE0EEENS1_38merge_mergepath_config_static_selectorELNS0_4arch9wavefront6targetE0EEEvSF_,"axG",@progbits,_ZN7rocprim17ROCPRIM_400000_NS6detail17trampoline_kernelINS0_14default_configENS1_38merge_sort_block_merge_config_selectorIfNS0_10empty_typeEEEZZNS1_27merge_sort_block_merge_implIS3_PfPS5_jNS1_19radix_merge_compareILb0ELb0EfNS0_19identity_decomposerEEEEE10hipError_tT0_T1_T2_jT3_P12ihipStream_tbPNSt15iterator_traitsISE_E10value_typeEPNSK_ISF_E10value_typeEPSG_NS1_7vsmem_tEENKUlT_SE_SF_SG_E_clIS8_S8_S9_S9_EESD_ST_SE_SF_SG_EUlST_E0_NS1_11comp_targetILNS1_3genE2ELNS1_11target_archE906ELNS1_3gpuE6ELNS1_3repE0EEENS1_38merge_mergepath_config_static_selectorELNS0_4arch9wavefront6targetE0EEEvSF_,comdat
.Lfunc_end1377:
	.size	_ZN7rocprim17ROCPRIM_400000_NS6detail17trampoline_kernelINS0_14default_configENS1_38merge_sort_block_merge_config_selectorIfNS0_10empty_typeEEEZZNS1_27merge_sort_block_merge_implIS3_PfPS5_jNS1_19radix_merge_compareILb0ELb0EfNS0_19identity_decomposerEEEEE10hipError_tT0_T1_T2_jT3_P12ihipStream_tbPNSt15iterator_traitsISE_E10value_typeEPNSK_ISF_E10value_typeEPSG_NS1_7vsmem_tEENKUlT_SE_SF_SG_E_clIS8_S8_S9_S9_EESD_ST_SE_SF_SG_EUlST_E0_NS1_11comp_targetILNS1_3genE2ELNS1_11target_archE906ELNS1_3gpuE6ELNS1_3repE0EEENS1_38merge_mergepath_config_static_selectorELNS0_4arch9wavefront6targetE0EEEvSF_, .Lfunc_end1377-_ZN7rocprim17ROCPRIM_400000_NS6detail17trampoline_kernelINS0_14default_configENS1_38merge_sort_block_merge_config_selectorIfNS0_10empty_typeEEEZZNS1_27merge_sort_block_merge_implIS3_PfPS5_jNS1_19radix_merge_compareILb0ELb0EfNS0_19identity_decomposerEEEEE10hipError_tT0_T1_T2_jT3_P12ihipStream_tbPNSt15iterator_traitsISE_E10value_typeEPNSK_ISF_E10value_typeEPSG_NS1_7vsmem_tEENKUlT_SE_SF_SG_E_clIS8_S8_S9_S9_EESD_ST_SE_SF_SG_EUlST_E0_NS1_11comp_targetILNS1_3genE2ELNS1_11target_archE906ELNS1_3gpuE6ELNS1_3repE0EEENS1_38merge_mergepath_config_static_selectorELNS0_4arch9wavefront6targetE0EEEvSF_
                                        ; -- End function
	.set _ZN7rocprim17ROCPRIM_400000_NS6detail17trampoline_kernelINS0_14default_configENS1_38merge_sort_block_merge_config_selectorIfNS0_10empty_typeEEEZZNS1_27merge_sort_block_merge_implIS3_PfPS5_jNS1_19radix_merge_compareILb0ELb0EfNS0_19identity_decomposerEEEEE10hipError_tT0_T1_T2_jT3_P12ihipStream_tbPNSt15iterator_traitsISE_E10value_typeEPNSK_ISF_E10value_typeEPSG_NS1_7vsmem_tEENKUlT_SE_SF_SG_E_clIS8_S8_S9_S9_EESD_ST_SE_SF_SG_EUlST_E0_NS1_11comp_targetILNS1_3genE2ELNS1_11target_archE906ELNS1_3gpuE6ELNS1_3repE0EEENS1_38merge_mergepath_config_static_selectorELNS0_4arch9wavefront6targetE0EEEvSF_.num_vgpr, 0
	.set _ZN7rocprim17ROCPRIM_400000_NS6detail17trampoline_kernelINS0_14default_configENS1_38merge_sort_block_merge_config_selectorIfNS0_10empty_typeEEEZZNS1_27merge_sort_block_merge_implIS3_PfPS5_jNS1_19radix_merge_compareILb0ELb0EfNS0_19identity_decomposerEEEEE10hipError_tT0_T1_T2_jT3_P12ihipStream_tbPNSt15iterator_traitsISE_E10value_typeEPNSK_ISF_E10value_typeEPSG_NS1_7vsmem_tEENKUlT_SE_SF_SG_E_clIS8_S8_S9_S9_EESD_ST_SE_SF_SG_EUlST_E0_NS1_11comp_targetILNS1_3genE2ELNS1_11target_archE906ELNS1_3gpuE6ELNS1_3repE0EEENS1_38merge_mergepath_config_static_selectorELNS0_4arch9wavefront6targetE0EEEvSF_.num_agpr, 0
	.set _ZN7rocprim17ROCPRIM_400000_NS6detail17trampoline_kernelINS0_14default_configENS1_38merge_sort_block_merge_config_selectorIfNS0_10empty_typeEEEZZNS1_27merge_sort_block_merge_implIS3_PfPS5_jNS1_19radix_merge_compareILb0ELb0EfNS0_19identity_decomposerEEEEE10hipError_tT0_T1_T2_jT3_P12ihipStream_tbPNSt15iterator_traitsISE_E10value_typeEPNSK_ISF_E10value_typeEPSG_NS1_7vsmem_tEENKUlT_SE_SF_SG_E_clIS8_S8_S9_S9_EESD_ST_SE_SF_SG_EUlST_E0_NS1_11comp_targetILNS1_3genE2ELNS1_11target_archE906ELNS1_3gpuE6ELNS1_3repE0EEENS1_38merge_mergepath_config_static_selectorELNS0_4arch9wavefront6targetE0EEEvSF_.numbered_sgpr, 0
	.set _ZN7rocprim17ROCPRIM_400000_NS6detail17trampoline_kernelINS0_14default_configENS1_38merge_sort_block_merge_config_selectorIfNS0_10empty_typeEEEZZNS1_27merge_sort_block_merge_implIS3_PfPS5_jNS1_19radix_merge_compareILb0ELb0EfNS0_19identity_decomposerEEEEE10hipError_tT0_T1_T2_jT3_P12ihipStream_tbPNSt15iterator_traitsISE_E10value_typeEPNSK_ISF_E10value_typeEPSG_NS1_7vsmem_tEENKUlT_SE_SF_SG_E_clIS8_S8_S9_S9_EESD_ST_SE_SF_SG_EUlST_E0_NS1_11comp_targetILNS1_3genE2ELNS1_11target_archE906ELNS1_3gpuE6ELNS1_3repE0EEENS1_38merge_mergepath_config_static_selectorELNS0_4arch9wavefront6targetE0EEEvSF_.num_named_barrier, 0
	.set _ZN7rocprim17ROCPRIM_400000_NS6detail17trampoline_kernelINS0_14default_configENS1_38merge_sort_block_merge_config_selectorIfNS0_10empty_typeEEEZZNS1_27merge_sort_block_merge_implIS3_PfPS5_jNS1_19radix_merge_compareILb0ELb0EfNS0_19identity_decomposerEEEEE10hipError_tT0_T1_T2_jT3_P12ihipStream_tbPNSt15iterator_traitsISE_E10value_typeEPNSK_ISF_E10value_typeEPSG_NS1_7vsmem_tEENKUlT_SE_SF_SG_E_clIS8_S8_S9_S9_EESD_ST_SE_SF_SG_EUlST_E0_NS1_11comp_targetILNS1_3genE2ELNS1_11target_archE906ELNS1_3gpuE6ELNS1_3repE0EEENS1_38merge_mergepath_config_static_selectorELNS0_4arch9wavefront6targetE0EEEvSF_.private_seg_size, 0
	.set _ZN7rocprim17ROCPRIM_400000_NS6detail17trampoline_kernelINS0_14default_configENS1_38merge_sort_block_merge_config_selectorIfNS0_10empty_typeEEEZZNS1_27merge_sort_block_merge_implIS3_PfPS5_jNS1_19radix_merge_compareILb0ELb0EfNS0_19identity_decomposerEEEEE10hipError_tT0_T1_T2_jT3_P12ihipStream_tbPNSt15iterator_traitsISE_E10value_typeEPNSK_ISF_E10value_typeEPSG_NS1_7vsmem_tEENKUlT_SE_SF_SG_E_clIS8_S8_S9_S9_EESD_ST_SE_SF_SG_EUlST_E0_NS1_11comp_targetILNS1_3genE2ELNS1_11target_archE906ELNS1_3gpuE6ELNS1_3repE0EEENS1_38merge_mergepath_config_static_selectorELNS0_4arch9wavefront6targetE0EEEvSF_.uses_vcc, 0
	.set _ZN7rocprim17ROCPRIM_400000_NS6detail17trampoline_kernelINS0_14default_configENS1_38merge_sort_block_merge_config_selectorIfNS0_10empty_typeEEEZZNS1_27merge_sort_block_merge_implIS3_PfPS5_jNS1_19radix_merge_compareILb0ELb0EfNS0_19identity_decomposerEEEEE10hipError_tT0_T1_T2_jT3_P12ihipStream_tbPNSt15iterator_traitsISE_E10value_typeEPNSK_ISF_E10value_typeEPSG_NS1_7vsmem_tEENKUlT_SE_SF_SG_E_clIS8_S8_S9_S9_EESD_ST_SE_SF_SG_EUlST_E0_NS1_11comp_targetILNS1_3genE2ELNS1_11target_archE906ELNS1_3gpuE6ELNS1_3repE0EEENS1_38merge_mergepath_config_static_selectorELNS0_4arch9wavefront6targetE0EEEvSF_.uses_flat_scratch, 0
	.set _ZN7rocprim17ROCPRIM_400000_NS6detail17trampoline_kernelINS0_14default_configENS1_38merge_sort_block_merge_config_selectorIfNS0_10empty_typeEEEZZNS1_27merge_sort_block_merge_implIS3_PfPS5_jNS1_19radix_merge_compareILb0ELb0EfNS0_19identity_decomposerEEEEE10hipError_tT0_T1_T2_jT3_P12ihipStream_tbPNSt15iterator_traitsISE_E10value_typeEPNSK_ISF_E10value_typeEPSG_NS1_7vsmem_tEENKUlT_SE_SF_SG_E_clIS8_S8_S9_S9_EESD_ST_SE_SF_SG_EUlST_E0_NS1_11comp_targetILNS1_3genE2ELNS1_11target_archE906ELNS1_3gpuE6ELNS1_3repE0EEENS1_38merge_mergepath_config_static_selectorELNS0_4arch9wavefront6targetE0EEEvSF_.has_dyn_sized_stack, 0
	.set _ZN7rocprim17ROCPRIM_400000_NS6detail17trampoline_kernelINS0_14default_configENS1_38merge_sort_block_merge_config_selectorIfNS0_10empty_typeEEEZZNS1_27merge_sort_block_merge_implIS3_PfPS5_jNS1_19radix_merge_compareILb0ELb0EfNS0_19identity_decomposerEEEEE10hipError_tT0_T1_T2_jT3_P12ihipStream_tbPNSt15iterator_traitsISE_E10value_typeEPNSK_ISF_E10value_typeEPSG_NS1_7vsmem_tEENKUlT_SE_SF_SG_E_clIS8_S8_S9_S9_EESD_ST_SE_SF_SG_EUlST_E0_NS1_11comp_targetILNS1_3genE2ELNS1_11target_archE906ELNS1_3gpuE6ELNS1_3repE0EEENS1_38merge_mergepath_config_static_selectorELNS0_4arch9wavefront6targetE0EEEvSF_.has_recursion, 0
	.set _ZN7rocprim17ROCPRIM_400000_NS6detail17trampoline_kernelINS0_14default_configENS1_38merge_sort_block_merge_config_selectorIfNS0_10empty_typeEEEZZNS1_27merge_sort_block_merge_implIS3_PfPS5_jNS1_19radix_merge_compareILb0ELb0EfNS0_19identity_decomposerEEEEE10hipError_tT0_T1_T2_jT3_P12ihipStream_tbPNSt15iterator_traitsISE_E10value_typeEPNSK_ISF_E10value_typeEPSG_NS1_7vsmem_tEENKUlT_SE_SF_SG_E_clIS8_S8_S9_S9_EESD_ST_SE_SF_SG_EUlST_E0_NS1_11comp_targetILNS1_3genE2ELNS1_11target_archE906ELNS1_3gpuE6ELNS1_3repE0EEENS1_38merge_mergepath_config_static_selectorELNS0_4arch9wavefront6targetE0EEEvSF_.has_indirect_call, 0
	.section	.AMDGPU.csdata,"",@progbits
; Kernel info:
; codeLenInByte = 0
; TotalNumSgprs: 0
; NumVgprs: 0
; ScratchSize: 0
; MemoryBound: 0
; FloatMode: 240
; IeeeMode: 1
; LDSByteSize: 0 bytes/workgroup (compile time only)
; SGPRBlocks: 0
; VGPRBlocks: 0
; NumSGPRsForWavesPerEU: 1
; NumVGPRsForWavesPerEU: 1
; NamedBarCnt: 0
; Occupancy: 16
; WaveLimiterHint : 0
; COMPUTE_PGM_RSRC2:SCRATCH_EN: 0
; COMPUTE_PGM_RSRC2:USER_SGPR: 2
; COMPUTE_PGM_RSRC2:TRAP_HANDLER: 0
; COMPUTE_PGM_RSRC2:TGID_X_EN: 1
; COMPUTE_PGM_RSRC2:TGID_Y_EN: 0
; COMPUTE_PGM_RSRC2:TGID_Z_EN: 0
; COMPUTE_PGM_RSRC2:TIDIG_COMP_CNT: 0
	.section	.text._ZN7rocprim17ROCPRIM_400000_NS6detail17trampoline_kernelINS0_14default_configENS1_38merge_sort_block_merge_config_selectorIfNS0_10empty_typeEEEZZNS1_27merge_sort_block_merge_implIS3_PfPS5_jNS1_19radix_merge_compareILb0ELb0EfNS0_19identity_decomposerEEEEE10hipError_tT0_T1_T2_jT3_P12ihipStream_tbPNSt15iterator_traitsISE_E10value_typeEPNSK_ISF_E10value_typeEPSG_NS1_7vsmem_tEENKUlT_SE_SF_SG_E_clIS8_S8_S9_S9_EESD_ST_SE_SF_SG_EUlST_E0_NS1_11comp_targetILNS1_3genE9ELNS1_11target_archE1100ELNS1_3gpuE3ELNS1_3repE0EEENS1_38merge_mergepath_config_static_selectorELNS0_4arch9wavefront6targetE0EEEvSF_,"axG",@progbits,_ZN7rocprim17ROCPRIM_400000_NS6detail17trampoline_kernelINS0_14default_configENS1_38merge_sort_block_merge_config_selectorIfNS0_10empty_typeEEEZZNS1_27merge_sort_block_merge_implIS3_PfPS5_jNS1_19radix_merge_compareILb0ELb0EfNS0_19identity_decomposerEEEEE10hipError_tT0_T1_T2_jT3_P12ihipStream_tbPNSt15iterator_traitsISE_E10value_typeEPNSK_ISF_E10value_typeEPSG_NS1_7vsmem_tEENKUlT_SE_SF_SG_E_clIS8_S8_S9_S9_EESD_ST_SE_SF_SG_EUlST_E0_NS1_11comp_targetILNS1_3genE9ELNS1_11target_archE1100ELNS1_3gpuE3ELNS1_3repE0EEENS1_38merge_mergepath_config_static_selectorELNS0_4arch9wavefront6targetE0EEEvSF_,comdat
	.protected	_ZN7rocprim17ROCPRIM_400000_NS6detail17trampoline_kernelINS0_14default_configENS1_38merge_sort_block_merge_config_selectorIfNS0_10empty_typeEEEZZNS1_27merge_sort_block_merge_implIS3_PfPS5_jNS1_19radix_merge_compareILb0ELb0EfNS0_19identity_decomposerEEEEE10hipError_tT0_T1_T2_jT3_P12ihipStream_tbPNSt15iterator_traitsISE_E10value_typeEPNSK_ISF_E10value_typeEPSG_NS1_7vsmem_tEENKUlT_SE_SF_SG_E_clIS8_S8_S9_S9_EESD_ST_SE_SF_SG_EUlST_E0_NS1_11comp_targetILNS1_3genE9ELNS1_11target_archE1100ELNS1_3gpuE3ELNS1_3repE0EEENS1_38merge_mergepath_config_static_selectorELNS0_4arch9wavefront6targetE0EEEvSF_ ; -- Begin function _ZN7rocprim17ROCPRIM_400000_NS6detail17trampoline_kernelINS0_14default_configENS1_38merge_sort_block_merge_config_selectorIfNS0_10empty_typeEEEZZNS1_27merge_sort_block_merge_implIS3_PfPS5_jNS1_19radix_merge_compareILb0ELb0EfNS0_19identity_decomposerEEEEE10hipError_tT0_T1_T2_jT3_P12ihipStream_tbPNSt15iterator_traitsISE_E10value_typeEPNSK_ISF_E10value_typeEPSG_NS1_7vsmem_tEENKUlT_SE_SF_SG_E_clIS8_S8_S9_S9_EESD_ST_SE_SF_SG_EUlST_E0_NS1_11comp_targetILNS1_3genE9ELNS1_11target_archE1100ELNS1_3gpuE3ELNS1_3repE0EEENS1_38merge_mergepath_config_static_selectorELNS0_4arch9wavefront6targetE0EEEvSF_
	.globl	_ZN7rocprim17ROCPRIM_400000_NS6detail17trampoline_kernelINS0_14default_configENS1_38merge_sort_block_merge_config_selectorIfNS0_10empty_typeEEEZZNS1_27merge_sort_block_merge_implIS3_PfPS5_jNS1_19radix_merge_compareILb0ELb0EfNS0_19identity_decomposerEEEEE10hipError_tT0_T1_T2_jT3_P12ihipStream_tbPNSt15iterator_traitsISE_E10value_typeEPNSK_ISF_E10value_typeEPSG_NS1_7vsmem_tEENKUlT_SE_SF_SG_E_clIS8_S8_S9_S9_EESD_ST_SE_SF_SG_EUlST_E0_NS1_11comp_targetILNS1_3genE9ELNS1_11target_archE1100ELNS1_3gpuE3ELNS1_3repE0EEENS1_38merge_mergepath_config_static_selectorELNS0_4arch9wavefront6targetE0EEEvSF_
	.p2align	8
	.type	_ZN7rocprim17ROCPRIM_400000_NS6detail17trampoline_kernelINS0_14default_configENS1_38merge_sort_block_merge_config_selectorIfNS0_10empty_typeEEEZZNS1_27merge_sort_block_merge_implIS3_PfPS5_jNS1_19radix_merge_compareILb0ELb0EfNS0_19identity_decomposerEEEEE10hipError_tT0_T1_T2_jT3_P12ihipStream_tbPNSt15iterator_traitsISE_E10value_typeEPNSK_ISF_E10value_typeEPSG_NS1_7vsmem_tEENKUlT_SE_SF_SG_E_clIS8_S8_S9_S9_EESD_ST_SE_SF_SG_EUlST_E0_NS1_11comp_targetILNS1_3genE9ELNS1_11target_archE1100ELNS1_3gpuE3ELNS1_3repE0EEENS1_38merge_mergepath_config_static_selectorELNS0_4arch9wavefront6targetE0EEEvSF_,@function
_ZN7rocprim17ROCPRIM_400000_NS6detail17trampoline_kernelINS0_14default_configENS1_38merge_sort_block_merge_config_selectorIfNS0_10empty_typeEEEZZNS1_27merge_sort_block_merge_implIS3_PfPS5_jNS1_19radix_merge_compareILb0ELb0EfNS0_19identity_decomposerEEEEE10hipError_tT0_T1_T2_jT3_P12ihipStream_tbPNSt15iterator_traitsISE_E10value_typeEPNSK_ISF_E10value_typeEPSG_NS1_7vsmem_tEENKUlT_SE_SF_SG_E_clIS8_S8_S9_S9_EESD_ST_SE_SF_SG_EUlST_E0_NS1_11comp_targetILNS1_3genE9ELNS1_11target_archE1100ELNS1_3gpuE3ELNS1_3repE0EEENS1_38merge_mergepath_config_static_selectorELNS0_4arch9wavefront6targetE0EEEvSF_: ; @_ZN7rocprim17ROCPRIM_400000_NS6detail17trampoline_kernelINS0_14default_configENS1_38merge_sort_block_merge_config_selectorIfNS0_10empty_typeEEEZZNS1_27merge_sort_block_merge_implIS3_PfPS5_jNS1_19radix_merge_compareILb0ELb0EfNS0_19identity_decomposerEEEEE10hipError_tT0_T1_T2_jT3_P12ihipStream_tbPNSt15iterator_traitsISE_E10value_typeEPNSK_ISF_E10value_typeEPSG_NS1_7vsmem_tEENKUlT_SE_SF_SG_E_clIS8_S8_S9_S9_EESD_ST_SE_SF_SG_EUlST_E0_NS1_11comp_targetILNS1_3genE9ELNS1_11target_archE1100ELNS1_3gpuE3ELNS1_3repE0EEENS1_38merge_mergepath_config_static_selectorELNS0_4arch9wavefront6targetE0EEEvSF_
; %bb.0:
	.section	.rodata,"a",@progbits
	.p2align	6, 0x0
	.amdhsa_kernel _ZN7rocprim17ROCPRIM_400000_NS6detail17trampoline_kernelINS0_14default_configENS1_38merge_sort_block_merge_config_selectorIfNS0_10empty_typeEEEZZNS1_27merge_sort_block_merge_implIS3_PfPS5_jNS1_19radix_merge_compareILb0ELb0EfNS0_19identity_decomposerEEEEE10hipError_tT0_T1_T2_jT3_P12ihipStream_tbPNSt15iterator_traitsISE_E10value_typeEPNSK_ISF_E10value_typeEPSG_NS1_7vsmem_tEENKUlT_SE_SF_SG_E_clIS8_S8_S9_S9_EESD_ST_SE_SF_SG_EUlST_E0_NS1_11comp_targetILNS1_3genE9ELNS1_11target_archE1100ELNS1_3gpuE3ELNS1_3repE0EEENS1_38merge_mergepath_config_static_selectorELNS0_4arch9wavefront6targetE0EEEvSF_
		.amdhsa_group_segment_fixed_size 0
		.amdhsa_private_segment_fixed_size 0
		.amdhsa_kernarg_size 64
		.amdhsa_user_sgpr_count 2
		.amdhsa_user_sgpr_dispatch_ptr 0
		.amdhsa_user_sgpr_queue_ptr 0
		.amdhsa_user_sgpr_kernarg_segment_ptr 1
		.amdhsa_user_sgpr_dispatch_id 0
		.amdhsa_user_sgpr_kernarg_preload_length 0
		.amdhsa_user_sgpr_kernarg_preload_offset 0
		.amdhsa_user_sgpr_private_segment_size 0
		.amdhsa_wavefront_size32 1
		.amdhsa_uses_dynamic_stack 0
		.amdhsa_enable_private_segment 0
		.amdhsa_system_sgpr_workgroup_id_x 1
		.amdhsa_system_sgpr_workgroup_id_y 0
		.amdhsa_system_sgpr_workgroup_id_z 0
		.amdhsa_system_sgpr_workgroup_info 0
		.amdhsa_system_vgpr_workitem_id 0
		.amdhsa_next_free_vgpr 1
		.amdhsa_next_free_sgpr 1
		.amdhsa_named_barrier_count 0
		.amdhsa_reserve_vcc 0
		.amdhsa_float_round_mode_32 0
		.amdhsa_float_round_mode_16_64 0
		.amdhsa_float_denorm_mode_32 3
		.amdhsa_float_denorm_mode_16_64 3
		.amdhsa_fp16_overflow 0
		.amdhsa_memory_ordered 1
		.amdhsa_forward_progress 1
		.amdhsa_inst_pref_size 0
		.amdhsa_round_robin_scheduling 0
		.amdhsa_exception_fp_ieee_invalid_op 0
		.amdhsa_exception_fp_denorm_src 0
		.amdhsa_exception_fp_ieee_div_zero 0
		.amdhsa_exception_fp_ieee_overflow 0
		.amdhsa_exception_fp_ieee_underflow 0
		.amdhsa_exception_fp_ieee_inexact 0
		.amdhsa_exception_int_div_zero 0
	.end_amdhsa_kernel
	.section	.text._ZN7rocprim17ROCPRIM_400000_NS6detail17trampoline_kernelINS0_14default_configENS1_38merge_sort_block_merge_config_selectorIfNS0_10empty_typeEEEZZNS1_27merge_sort_block_merge_implIS3_PfPS5_jNS1_19radix_merge_compareILb0ELb0EfNS0_19identity_decomposerEEEEE10hipError_tT0_T1_T2_jT3_P12ihipStream_tbPNSt15iterator_traitsISE_E10value_typeEPNSK_ISF_E10value_typeEPSG_NS1_7vsmem_tEENKUlT_SE_SF_SG_E_clIS8_S8_S9_S9_EESD_ST_SE_SF_SG_EUlST_E0_NS1_11comp_targetILNS1_3genE9ELNS1_11target_archE1100ELNS1_3gpuE3ELNS1_3repE0EEENS1_38merge_mergepath_config_static_selectorELNS0_4arch9wavefront6targetE0EEEvSF_,"axG",@progbits,_ZN7rocprim17ROCPRIM_400000_NS6detail17trampoline_kernelINS0_14default_configENS1_38merge_sort_block_merge_config_selectorIfNS0_10empty_typeEEEZZNS1_27merge_sort_block_merge_implIS3_PfPS5_jNS1_19radix_merge_compareILb0ELb0EfNS0_19identity_decomposerEEEEE10hipError_tT0_T1_T2_jT3_P12ihipStream_tbPNSt15iterator_traitsISE_E10value_typeEPNSK_ISF_E10value_typeEPSG_NS1_7vsmem_tEENKUlT_SE_SF_SG_E_clIS8_S8_S9_S9_EESD_ST_SE_SF_SG_EUlST_E0_NS1_11comp_targetILNS1_3genE9ELNS1_11target_archE1100ELNS1_3gpuE3ELNS1_3repE0EEENS1_38merge_mergepath_config_static_selectorELNS0_4arch9wavefront6targetE0EEEvSF_,comdat
.Lfunc_end1378:
	.size	_ZN7rocprim17ROCPRIM_400000_NS6detail17trampoline_kernelINS0_14default_configENS1_38merge_sort_block_merge_config_selectorIfNS0_10empty_typeEEEZZNS1_27merge_sort_block_merge_implIS3_PfPS5_jNS1_19radix_merge_compareILb0ELb0EfNS0_19identity_decomposerEEEEE10hipError_tT0_T1_T2_jT3_P12ihipStream_tbPNSt15iterator_traitsISE_E10value_typeEPNSK_ISF_E10value_typeEPSG_NS1_7vsmem_tEENKUlT_SE_SF_SG_E_clIS8_S8_S9_S9_EESD_ST_SE_SF_SG_EUlST_E0_NS1_11comp_targetILNS1_3genE9ELNS1_11target_archE1100ELNS1_3gpuE3ELNS1_3repE0EEENS1_38merge_mergepath_config_static_selectorELNS0_4arch9wavefront6targetE0EEEvSF_, .Lfunc_end1378-_ZN7rocprim17ROCPRIM_400000_NS6detail17trampoline_kernelINS0_14default_configENS1_38merge_sort_block_merge_config_selectorIfNS0_10empty_typeEEEZZNS1_27merge_sort_block_merge_implIS3_PfPS5_jNS1_19radix_merge_compareILb0ELb0EfNS0_19identity_decomposerEEEEE10hipError_tT0_T1_T2_jT3_P12ihipStream_tbPNSt15iterator_traitsISE_E10value_typeEPNSK_ISF_E10value_typeEPSG_NS1_7vsmem_tEENKUlT_SE_SF_SG_E_clIS8_S8_S9_S9_EESD_ST_SE_SF_SG_EUlST_E0_NS1_11comp_targetILNS1_3genE9ELNS1_11target_archE1100ELNS1_3gpuE3ELNS1_3repE0EEENS1_38merge_mergepath_config_static_selectorELNS0_4arch9wavefront6targetE0EEEvSF_
                                        ; -- End function
	.set _ZN7rocprim17ROCPRIM_400000_NS6detail17trampoline_kernelINS0_14default_configENS1_38merge_sort_block_merge_config_selectorIfNS0_10empty_typeEEEZZNS1_27merge_sort_block_merge_implIS3_PfPS5_jNS1_19radix_merge_compareILb0ELb0EfNS0_19identity_decomposerEEEEE10hipError_tT0_T1_T2_jT3_P12ihipStream_tbPNSt15iterator_traitsISE_E10value_typeEPNSK_ISF_E10value_typeEPSG_NS1_7vsmem_tEENKUlT_SE_SF_SG_E_clIS8_S8_S9_S9_EESD_ST_SE_SF_SG_EUlST_E0_NS1_11comp_targetILNS1_3genE9ELNS1_11target_archE1100ELNS1_3gpuE3ELNS1_3repE0EEENS1_38merge_mergepath_config_static_selectorELNS0_4arch9wavefront6targetE0EEEvSF_.num_vgpr, 0
	.set _ZN7rocprim17ROCPRIM_400000_NS6detail17trampoline_kernelINS0_14default_configENS1_38merge_sort_block_merge_config_selectorIfNS0_10empty_typeEEEZZNS1_27merge_sort_block_merge_implIS3_PfPS5_jNS1_19radix_merge_compareILb0ELb0EfNS0_19identity_decomposerEEEEE10hipError_tT0_T1_T2_jT3_P12ihipStream_tbPNSt15iterator_traitsISE_E10value_typeEPNSK_ISF_E10value_typeEPSG_NS1_7vsmem_tEENKUlT_SE_SF_SG_E_clIS8_S8_S9_S9_EESD_ST_SE_SF_SG_EUlST_E0_NS1_11comp_targetILNS1_3genE9ELNS1_11target_archE1100ELNS1_3gpuE3ELNS1_3repE0EEENS1_38merge_mergepath_config_static_selectorELNS0_4arch9wavefront6targetE0EEEvSF_.num_agpr, 0
	.set _ZN7rocprim17ROCPRIM_400000_NS6detail17trampoline_kernelINS0_14default_configENS1_38merge_sort_block_merge_config_selectorIfNS0_10empty_typeEEEZZNS1_27merge_sort_block_merge_implIS3_PfPS5_jNS1_19radix_merge_compareILb0ELb0EfNS0_19identity_decomposerEEEEE10hipError_tT0_T1_T2_jT3_P12ihipStream_tbPNSt15iterator_traitsISE_E10value_typeEPNSK_ISF_E10value_typeEPSG_NS1_7vsmem_tEENKUlT_SE_SF_SG_E_clIS8_S8_S9_S9_EESD_ST_SE_SF_SG_EUlST_E0_NS1_11comp_targetILNS1_3genE9ELNS1_11target_archE1100ELNS1_3gpuE3ELNS1_3repE0EEENS1_38merge_mergepath_config_static_selectorELNS0_4arch9wavefront6targetE0EEEvSF_.numbered_sgpr, 0
	.set _ZN7rocprim17ROCPRIM_400000_NS6detail17trampoline_kernelINS0_14default_configENS1_38merge_sort_block_merge_config_selectorIfNS0_10empty_typeEEEZZNS1_27merge_sort_block_merge_implIS3_PfPS5_jNS1_19radix_merge_compareILb0ELb0EfNS0_19identity_decomposerEEEEE10hipError_tT0_T1_T2_jT3_P12ihipStream_tbPNSt15iterator_traitsISE_E10value_typeEPNSK_ISF_E10value_typeEPSG_NS1_7vsmem_tEENKUlT_SE_SF_SG_E_clIS8_S8_S9_S9_EESD_ST_SE_SF_SG_EUlST_E0_NS1_11comp_targetILNS1_3genE9ELNS1_11target_archE1100ELNS1_3gpuE3ELNS1_3repE0EEENS1_38merge_mergepath_config_static_selectorELNS0_4arch9wavefront6targetE0EEEvSF_.num_named_barrier, 0
	.set _ZN7rocprim17ROCPRIM_400000_NS6detail17trampoline_kernelINS0_14default_configENS1_38merge_sort_block_merge_config_selectorIfNS0_10empty_typeEEEZZNS1_27merge_sort_block_merge_implIS3_PfPS5_jNS1_19radix_merge_compareILb0ELb0EfNS0_19identity_decomposerEEEEE10hipError_tT0_T1_T2_jT3_P12ihipStream_tbPNSt15iterator_traitsISE_E10value_typeEPNSK_ISF_E10value_typeEPSG_NS1_7vsmem_tEENKUlT_SE_SF_SG_E_clIS8_S8_S9_S9_EESD_ST_SE_SF_SG_EUlST_E0_NS1_11comp_targetILNS1_3genE9ELNS1_11target_archE1100ELNS1_3gpuE3ELNS1_3repE0EEENS1_38merge_mergepath_config_static_selectorELNS0_4arch9wavefront6targetE0EEEvSF_.private_seg_size, 0
	.set _ZN7rocprim17ROCPRIM_400000_NS6detail17trampoline_kernelINS0_14default_configENS1_38merge_sort_block_merge_config_selectorIfNS0_10empty_typeEEEZZNS1_27merge_sort_block_merge_implIS3_PfPS5_jNS1_19radix_merge_compareILb0ELb0EfNS0_19identity_decomposerEEEEE10hipError_tT0_T1_T2_jT3_P12ihipStream_tbPNSt15iterator_traitsISE_E10value_typeEPNSK_ISF_E10value_typeEPSG_NS1_7vsmem_tEENKUlT_SE_SF_SG_E_clIS8_S8_S9_S9_EESD_ST_SE_SF_SG_EUlST_E0_NS1_11comp_targetILNS1_3genE9ELNS1_11target_archE1100ELNS1_3gpuE3ELNS1_3repE0EEENS1_38merge_mergepath_config_static_selectorELNS0_4arch9wavefront6targetE0EEEvSF_.uses_vcc, 0
	.set _ZN7rocprim17ROCPRIM_400000_NS6detail17trampoline_kernelINS0_14default_configENS1_38merge_sort_block_merge_config_selectorIfNS0_10empty_typeEEEZZNS1_27merge_sort_block_merge_implIS3_PfPS5_jNS1_19radix_merge_compareILb0ELb0EfNS0_19identity_decomposerEEEEE10hipError_tT0_T1_T2_jT3_P12ihipStream_tbPNSt15iterator_traitsISE_E10value_typeEPNSK_ISF_E10value_typeEPSG_NS1_7vsmem_tEENKUlT_SE_SF_SG_E_clIS8_S8_S9_S9_EESD_ST_SE_SF_SG_EUlST_E0_NS1_11comp_targetILNS1_3genE9ELNS1_11target_archE1100ELNS1_3gpuE3ELNS1_3repE0EEENS1_38merge_mergepath_config_static_selectorELNS0_4arch9wavefront6targetE0EEEvSF_.uses_flat_scratch, 0
	.set _ZN7rocprim17ROCPRIM_400000_NS6detail17trampoline_kernelINS0_14default_configENS1_38merge_sort_block_merge_config_selectorIfNS0_10empty_typeEEEZZNS1_27merge_sort_block_merge_implIS3_PfPS5_jNS1_19radix_merge_compareILb0ELb0EfNS0_19identity_decomposerEEEEE10hipError_tT0_T1_T2_jT3_P12ihipStream_tbPNSt15iterator_traitsISE_E10value_typeEPNSK_ISF_E10value_typeEPSG_NS1_7vsmem_tEENKUlT_SE_SF_SG_E_clIS8_S8_S9_S9_EESD_ST_SE_SF_SG_EUlST_E0_NS1_11comp_targetILNS1_3genE9ELNS1_11target_archE1100ELNS1_3gpuE3ELNS1_3repE0EEENS1_38merge_mergepath_config_static_selectorELNS0_4arch9wavefront6targetE0EEEvSF_.has_dyn_sized_stack, 0
	.set _ZN7rocprim17ROCPRIM_400000_NS6detail17trampoline_kernelINS0_14default_configENS1_38merge_sort_block_merge_config_selectorIfNS0_10empty_typeEEEZZNS1_27merge_sort_block_merge_implIS3_PfPS5_jNS1_19radix_merge_compareILb0ELb0EfNS0_19identity_decomposerEEEEE10hipError_tT0_T1_T2_jT3_P12ihipStream_tbPNSt15iterator_traitsISE_E10value_typeEPNSK_ISF_E10value_typeEPSG_NS1_7vsmem_tEENKUlT_SE_SF_SG_E_clIS8_S8_S9_S9_EESD_ST_SE_SF_SG_EUlST_E0_NS1_11comp_targetILNS1_3genE9ELNS1_11target_archE1100ELNS1_3gpuE3ELNS1_3repE0EEENS1_38merge_mergepath_config_static_selectorELNS0_4arch9wavefront6targetE0EEEvSF_.has_recursion, 0
	.set _ZN7rocprim17ROCPRIM_400000_NS6detail17trampoline_kernelINS0_14default_configENS1_38merge_sort_block_merge_config_selectorIfNS0_10empty_typeEEEZZNS1_27merge_sort_block_merge_implIS3_PfPS5_jNS1_19radix_merge_compareILb0ELb0EfNS0_19identity_decomposerEEEEE10hipError_tT0_T1_T2_jT3_P12ihipStream_tbPNSt15iterator_traitsISE_E10value_typeEPNSK_ISF_E10value_typeEPSG_NS1_7vsmem_tEENKUlT_SE_SF_SG_E_clIS8_S8_S9_S9_EESD_ST_SE_SF_SG_EUlST_E0_NS1_11comp_targetILNS1_3genE9ELNS1_11target_archE1100ELNS1_3gpuE3ELNS1_3repE0EEENS1_38merge_mergepath_config_static_selectorELNS0_4arch9wavefront6targetE0EEEvSF_.has_indirect_call, 0
	.section	.AMDGPU.csdata,"",@progbits
; Kernel info:
; codeLenInByte = 0
; TotalNumSgprs: 0
; NumVgprs: 0
; ScratchSize: 0
; MemoryBound: 0
; FloatMode: 240
; IeeeMode: 1
; LDSByteSize: 0 bytes/workgroup (compile time only)
; SGPRBlocks: 0
; VGPRBlocks: 0
; NumSGPRsForWavesPerEU: 1
; NumVGPRsForWavesPerEU: 1
; NamedBarCnt: 0
; Occupancy: 16
; WaveLimiterHint : 0
; COMPUTE_PGM_RSRC2:SCRATCH_EN: 0
; COMPUTE_PGM_RSRC2:USER_SGPR: 2
; COMPUTE_PGM_RSRC2:TRAP_HANDLER: 0
; COMPUTE_PGM_RSRC2:TGID_X_EN: 1
; COMPUTE_PGM_RSRC2:TGID_Y_EN: 0
; COMPUTE_PGM_RSRC2:TGID_Z_EN: 0
; COMPUTE_PGM_RSRC2:TIDIG_COMP_CNT: 0
	.section	.text._ZN7rocprim17ROCPRIM_400000_NS6detail17trampoline_kernelINS0_14default_configENS1_38merge_sort_block_merge_config_selectorIfNS0_10empty_typeEEEZZNS1_27merge_sort_block_merge_implIS3_PfPS5_jNS1_19radix_merge_compareILb0ELb0EfNS0_19identity_decomposerEEEEE10hipError_tT0_T1_T2_jT3_P12ihipStream_tbPNSt15iterator_traitsISE_E10value_typeEPNSK_ISF_E10value_typeEPSG_NS1_7vsmem_tEENKUlT_SE_SF_SG_E_clIS8_S8_S9_S9_EESD_ST_SE_SF_SG_EUlST_E0_NS1_11comp_targetILNS1_3genE8ELNS1_11target_archE1030ELNS1_3gpuE2ELNS1_3repE0EEENS1_38merge_mergepath_config_static_selectorELNS0_4arch9wavefront6targetE0EEEvSF_,"axG",@progbits,_ZN7rocprim17ROCPRIM_400000_NS6detail17trampoline_kernelINS0_14default_configENS1_38merge_sort_block_merge_config_selectorIfNS0_10empty_typeEEEZZNS1_27merge_sort_block_merge_implIS3_PfPS5_jNS1_19radix_merge_compareILb0ELb0EfNS0_19identity_decomposerEEEEE10hipError_tT0_T1_T2_jT3_P12ihipStream_tbPNSt15iterator_traitsISE_E10value_typeEPNSK_ISF_E10value_typeEPSG_NS1_7vsmem_tEENKUlT_SE_SF_SG_E_clIS8_S8_S9_S9_EESD_ST_SE_SF_SG_EUlST_E0_NS1_11comp_targetILNS1_3genE8ELNS1_11target_archE1030ELNS1_3gpuE2ELNS1_3repE0EEENS1_38merge_mergepath_config_static_selectorELNS0_4arch9wavefront6targetE0EEEvSF_,comdat
	.protected	_ZN7rocprim17ROCPRIM_400000_NS6detail17trampoline_kernelINS0_14default_configENS1_38merge_sort_block_merge_config_selectorIfNS0_10empty_typeEEEZZNS1_27merge_sort_block_merge_implIS3_PfPS5_jNS1_19radix_merge_compareILb0ELb0EfNS0_19identity_decomposerEEEEE10hipError_tT0_T1_T2_jT3_P12ihipStream_tbPNSt15iterator_traitsISE_E10value_typeEPNSK_ISF_E10value_typeEPSG_NS1_7vsmem_tEENKUlT_SE_SF_SG_E_clIS8_S8_S9_S9_EESD_ST_SE_SF_SG_EUlST_E0_NS1_11comp_targetILNS1_3genE8ELNS1_11target_archE1030ELNS1_3gpuE2ELNS1_3repE0EEENS1_38merge_mergepath_config_static_selectorELNS0_4arch9wavefront6targetE0EEEvSF_ ; -- Begin function _ZN7rocprim17ROCPRIM_400000_NS6detail17trampoline_kernelINS0_14default_configENS1_38merge_sort_block_merge_config_selectorIfNS0_10empty_typeEEEZZNS1_27merge_sort_block_merge_implIS3_PfPS5_jNS1_19radix_merge_compareILb0ELb0EfNS0_19identity_decomposerEEEEE10hipError_tT0_T1_T2_jT3_P12ihipStream_tbPNSt15iterator_traitsISE_E10value_typeEPNSK_ISF_E10value_typeEPSG_NS1_7vsmem_tEENKUlT_SE_SF_SG_E_clIS8_S8_S9_S9_EESD_ST_SE_SF_SG_EUlST_E0_NS1_11comp_targetILNS1_3genE8ELNS1_11target_archE1030ELNS1_3gpuE2ELNS1_3repE0EEENS1_38merge_mergepath_config_static_selectorELNS0_4arch9wavefront6targetE0EEEvSF_
	.globl	_ZN7rocprim17ROCPRIM_400000_NS6detail17trampoline_kernelINS0_14default_configENS1_38merge_sort_block_merge_config_selectorIfNS0_10empty_typeEEEZZNS1_27merge_sort_block_merge_implIS3_PfPS5_jNS1_19radix_merge_compareILb0ELb0EfNS0_19identity_decomposerEEEEE10hipError_tT0_T1_T2_jT3_P12ihipStream_tbPNSt15iterator_traitsISE_E10value_typeEPNSK_ISF_E10value_typeEPSG_NS1_7vsmem_tEENKUlT_SE_SF_SG_E_clIS8_S8_S9_S9_EESD_ST_SE_SF_SG_EUlST_E0_NS1_11comp_targetILNS1_3genE8ELNS1_11target_archE1030ELNS1_3gpuE2ELNS1_3repE0EEENS1_38merge_mergepath_config_static_selectorELNS0_4arch9wavefront6targetE0EEEvSF_
	.p2align	8
	.type	_ZN7rocprim17ROCPRIM_400000_NS6detail17trampoline_kernelINS0_14default_configENS1_38merge_sort_block_merge_config_selectorIfNS0_10empty_typeEEEZZNS1_27merge_sort_block_merge_implIS3_PfPS5_jNS1_19radix_merge_compareILb0ELb0EfNS0_19identity_decomposerEEEEE10hipError_tT0_T1_T2_jT3_P12ihipStream_tbPNSt15iterator_traitsISE_E10value_typeEPNSK_ISF_E10value_typeEPSG_NS1_7vsmem_tEENKUlT_SE_SF_SG_E_clIS8_S8_S9_S9_EESD_ST_SE_SF_SG_EUlST_E0_NS1_11comp_targetILNS1_3genE8ELNS1_11target_archE1030ELNS1_3gpuE2ELNS1_3repE0EEENS1_38merge_mergepath_config_static_selectorELNS0_4arch9wavefront6targetE0EEEvSF_,@function
_ZN7rocprim17ROCPRIM_400000_NS6detail17trampoline_kernelINS0_14default_configENS1_38merge_sort_block_merge_config_selectorIfNS0_10empty_typeEEEZZNS1_27merge_sort_block_merge_implIS3_PfPS5_jNS1_19radix_merge_compareILb0ELb0EfNS0_19identity_decomposerEEEEE10hipError_tT0_T1_T2_jT3_P12ihipStream_tbPNSt15iterator_traitsISE_E10value_typeEPNSK_ISF_E10value_typeEPSG_NS1_7vsmem_tEENKUlT_SE_SF_SG_E_clIS8_S8_S9_S9_EESD_ST_SE_SF_SG_EUlST_E0_NS1_11comp_targetILNS1_3genE8ELNS1_11target_archE1030ELNS1_3gpuE2ELNS1_3repE0EEENS1_38merge_mergepath_config_static_selectorELNS0_4arch9wavefront6targetE0EEEvSF_: ; @_ZN7rocprim17ROCPRIM_400000_NS6detail17trampoline_kernelINS0_14default_configENS1_38merge_sort_block_merge_config_selectorIfNS0_10empty_typeEEEZZNS1_27merge_sort_block_merge_implIS3_PfPS5_jNS1_19radix_merge_compareILb0ELb0EfNS0_19identity_decomposerEEEEE10hipError_tT0_T1_T2_jT3_P12ihipStream_tbPNSt15iterator_traitsISE_E10value_typeEPNSK_ISF_E10value_typeEPSG_NS1_7vsmem_tEENKUlT_SE_SF_SG_E_clIS8_S8_S9_S9_EESD_ST_SE_SF_SG_EUlST_E0_NS1_11comp_targetILNS1_3genE8ELNS1_11target_archE1030ELNS1_3gpuE2ELNS1_3repE0EEENS1_38merge_mergepath_config_static_selectorELNS0_4arch9wavefront6targetE0EEEvSF_
; %bb.0:
	.section	.rodata,"a",@progbits
	.p2align	6, 0x0
	.amdhsa_kernel _ZN7rocprim17ROCPRIM_400000_NS6detail17trampoline_kernelINS0_14default_configENS1_38merge_sort_block_merge_config_selectorIfNS0_10empty_typeEEEZZNS1_27merge_sort_block_merge_implIS3_PfPS5_jNS1_19radix_merge_compareILb0ELb0EfNS0_19identity_decomposerEEEEE10hipError_tT0_T1_T2_jT3_P12ihipStream_tbPNSt15iterator_traitsISE_E10value_typeEPNSK_ISF_E10value_typeEPSG_NS1_7vsmem_tEENKUlT_SE_SF_SG_E_clIS8_S8_S9_S9_EESD_ST_SE_SF_SG_EUlST_E0_NS1_11comp_targetILNS1_3genE8ELNS1_11target_archE1030ELNS1_3gpuE2ELNS1_3repE0EEENS1_38merge_mergepath_config_static_selectorELNS0_4arch9wavefront6targetE0EEEvSF_
		.amdhsa_group_segment_fixed_size 0
		.amdhsa_private_segment_fixed_size 0
		.amdhsa_kernarg_size 64
		.amdhsa_user_sgpr_count 2
		.amdhsa_user_sgpr_dispatch_ptr 0
		.amdhsa_user_sgpr_queue_ptr 0
		.amdhsa_user_sgpr_kernarg_segment_ptr 1
		.amdhsa_user_sgpr_dispatch_id 0
		.amdhsa_user_sgpr_kernarg_preload_length 0
		.amdhsa_user_sgpr_kernarg_preload_offset 0
		.amdhsa_user_sgpr_private_segment_size 0
		.amdhsa_wavefront_size32 1
		.amdhsa_uses_dynamic_stack 0
		.amdhsa_enable_private_segment 0
		.amdhsa_system_sgpr_workgroup_id_x 1
		.amdhsa_system_sgpr_workgroup_id_y 0
		.amdhsa_system_sgpr_workgroup_id_z 0
		.amdhsa_system_sgpr_workgroup_info 0
		.amdhsa_system_vgpr_workitem_id 0
		.amdhsa_next_free_vgpr 1
		.amdhsa_next_free_sgpr 1
		.amdhsa_named_barrier_count 0
		.amdhsa_reserve_vcc 0
		.amdhsa_float_round_mode_32 0
		.amdhsa_float_round_mode_16_64 0
		.amdhsa_float_denorm_mode_32 3
		.amdhsa_float_denorm_mode_16_64 3
		.amdhsa_fp16_overflow 0
		.amdhsa_memory_ordered 1
		.amdhsa_forward_progress 1
		.amdhsa_inst_pref_size 0
		.amdhsa_round_robin_scheduling 0
		.amdhsa_exception_fp_ieee_invalid_op 0
		.amdhsa_exception_fp_denorm_src 0
		.amdhsa_exception_fp_ieee_div_zero 0
		.amdhsa_exception_fp_ieee_overflow 0
		.amdhsa_exception_fp_ieee_underflow 0
		.amdhsa_exception_fp_ieee_inexact 0
		.amdhsa_exception_int_div_zero 0
	.end_amdhsa_kernel
	.section	.text._ZN7rocprim17ROCPRIM_400000_NS6detail17trampoline_kernelINS0_14default_configENS1_38merge_sort_block_merge_config_selectorIfNS0_10empty_typeEEEZZNS1_27merge_sort_block_merge_implIS3_PfPS5_jNS1_19radix_merge_compareILb0ELb0EfNS0_19identity_decomposerEEEEE10hipError_tT0_T1_T2_jT3_P12ihipStream_tbPNSt15iterator_traitsISE_E10value_typeEPNSK_ISF_E10value_typeEPSG_NS1_7vsmem_tEENKUlT_SE_SF_SG_E_clIS8_S8_S9_S9_EESD_ST_SE_SF_SG_EUlST_E0_NS1_11comp_targetILNS1_3genE8ELNS1_11target_archE1030ELNS1_3gpuE2ELNS1_3repE0EEENS1_38merge_mergepath_config_static_selectorELNS0_4arch9wavefront6targetE0EEEvSF_,"axG",@progbits,_ZN7rocprim17ROCPRIM_400000_NS6detail17trampoline_kernelINS0_14default_configENS1_38merge_sort_block_merge_config_selectorIfNS0_10empty_typeEEEZZNS1_27merge_sort_block_merge_implIS3_PfPS5_jNS1_19radix_merge_compareILb0ELb0EfNS0_19identity_decomposerEEEEE10hipError_tT0_T1_T2_jT3_P12ihipStream_tbPNSt15iterator_traitsISE_E10value_typeEPNSK_ISF_E10value_typeEPSG_NS1_7vsmem_tEENKUlT_SE_SF_SG_E_clIS8_S8_S9_S9_EESD_ST_SE_SF_SG_EUlST_E0_NS1_11comp_targetILNS1_3genE8ELNS1_11target_archE1030ELNS1_3gpuE2ELNS1_3repE0EEENS1_38merge_mergepath_config_static_selectorELNS0_4arch9wavefront6targetE0EEEvSF_,comdat
.Lfunc_end1379:
	.size	_ZN7rocprim17ROCPRIM_400000_NS6detail17trampoline_kernelINS0_14default_configENS1_38merge_sort_block_merge_config_selectorIfNS0_10empty_typeEEEZZNS1_27merge_sort_block_merge_implIS3_PfPS5_jNS1_19radix_merge_compareILb0ELb0EfNS0_19identity_decomposerEEEEE10hipError_tT0_T1_T2_jT3_P12ihipStream_tbPNSt15iterator_traitsISE_E10value_typeEPNSK_ISF_E10value_typeEPSG_NS1_7vsmem_tEENKUlT_SE_SF_SG_E_clIS8_S8_S9_S9_EESD_ST_SE_SF_SG_EUlST_E0_NS1_11comp_targetILNS1_3genE8ELNS1_11target_archE1030ELNS1_3gpuE2ELNS1_3repE0EEENS1_38merge_mergepath_config_static_selectorELNS0_4arch9wavefront6targetE0EEEvSF_, .Lfunc_end1379-_ZN7rocprim17ROCPRIM_400000_NS6detail17trampoline_kernelINS0_14default_configENS1_38merge_sort_block_merge_config_selectorIfNS0_10empty_typeEEEZZNS1_27merge_sort_block_merge_implIS3_PfPS5_jNS1_19radix_merge_compareILb0ELb0EfNS0_19identity_decomposerEEEEE10hipError_tT0_T1_T2_jT3_P12ihipStream_tbPNSt15iterator_traitsISE_E10value_typeEPNSK_ISF_E10value_typeEPSG_NS1_7vsmem_tEENKUlT_SE_SF_SG_E_clIS8_S8_S9_S9_EESD_ST_SE_SF_SG_EUlST_E0_NS1_11comp_targetILNS1_3genE8ELNS1_11target_archE1030ELNS1_3gpuE2ELNS1_3repE0EEENS1_38merge_mergepath_config_static_selectorELNS0_4arch9wavefront6targetE0EEEvSF_
                                        ; -- End function
	.set _ZN7rocprim17ROCPRIM_400000_NS6detail17trampoline_kernelINS0_14default_configENS1_38merge_sort_block_merge_config_selectorIfNS0_10empty_typeEEEZZNS1_27merge_sort_block_merge_implIS3_PfPS5_jNS1_19radix_merge_compareILb0ELb0EfNS0_19identity_decomposerEEEEE10hipError_tT0_T1_T2_jT3_P12ihipStream_tbPNSt15iterator_traitsISE_E10value_typeEPNSK_ISF_E10value_typeEPSG_NS1_7vsmem_tEENKUlT_SE_SF_SG_E_clIS8_S8_S9_S9_EESD_ST_SE_SF_SG_EUlST_E0_NS1_11comp_targetILNS1_3genE8ELNS1_11target_archE1030ELNS1_3gpuE2ELNS1_3repE0EEENS1_38merge_mergepath_config_static_selectorELNS0_4arch9wavefront6targetE0EEEvSF_.num_vgpr, 0
	.set _ZN7rocprim17ROCPRIM_400000_NS6detail17trampoline_kernelINS0_14default_configENS1_38merge_sort_block_merge_config_selectorIfNS0_10empty_typeEEEZZNS1_27merge_sort_block_merge_implIS3_PfPS5_jNS1_19radix_merge_compareILb0ELb0EfNS0_19identity_decomposerEEEEE10hipError_tT0_T1_T2_jT3_P12ihipStream_tbPNSt15iterator_traitsISE_E10value_typeEPNSK_ISF_E10value_typeEPSG_NS1_7vsmem_tEENKUlT_SE_SF_SG_E_clIS8_S8_S9_S9_EESD_ST_SE_SF_SG_EUlST_E0_NS1_11comp_targetILNS1_3genE8ELNS1_11target_archE1030ELNS1_3gpuE2ELNS1_3repE0EEENS1_38merge_mergepath_config_static_selectorELNS0_4arch9wavefront6targetE0EEEvSF_.num_agpr, 0
	.set _ZN7rocprim17ROCPRIM_400000_NS6detail17trampoline_kernelINS0_14default_configENS1_38merge_sort_block_merge_config_selectorIfNS0_10empty_typeEEEZZNS1_27merge_sort_block_merge_implIS3_PfPS5_jNS1_19radix_merge_compareILb0ELb0EfNS0_19identity_decomposerEEEEE10hipError_tT0_T1_T2_jT3_P12ihipStream_tbPNSt15iterator_traitsISE_E10value_typeEPNSK_ISF_E10value_typeEPSG_NS1_7vsmem_tEENKUlT_SE_SF_SG_E_clIS8_S8_S9_S9_EESD_ST_SE_SF_SG_EUlST_E0_NS1_11comp_targetILNS1_3genE8ELNS1_11target_archE1030ELNS1_3gpuE2ELNS1_3repE0EEENS1_38merge_mergepath_config_static_selectorELNS0_4arch9wavefront6targetE0EEEvSF_.numbered_sgpr, 0
	.set _ZN7rocprim17ROCPRIM_400000_NS6detail17trampoline_kernelINS0_14default_configENS1_38merge_sort_block_merge_config_selectorIfNS0_10empty_typeEEEZZNS1_27merge_sort_block_merge_implIS3_PfPS5_jNS1_19radix_merge_compareILb0ELb0EfNS0_19identity_decomposerEEEEE10hipError_tT0_T1_T2_jT3_P12ihipStream_tbPNSt15iterator_traitsISE_E10value_typeEPNSK_ISF_E10value_typeEPSG_NS1_7vsmem_tEENKUlT_SE_SF_SG_E_clIS8_S8_S9_S9_EESD_ST_SE_SF_SG_EUlST_E0_NS1_11comp_targetILNS1_3genE8ELNS1_11target_archE1030ELNS1_3gpuE2ELNS1_3repE0EEENS1_38merge_mergepath_config_static_selectorELNS0_4arch9wavefront6targetE0EEEvSF_.num_named_barrier, 0
	.set _ZN7rocprim17ROCPRIM_400000_NS6detail17trampoline_kernelINS0_14default_configENS1_38merge_sort_block_merge_config_selectorIfNS0_10empty_typeEEEZZNS1_27merge_sort_block_merge_implIS3_PfPS5_jNS1_19radix_merge_compareILb0ELb0EfNS0_19identity_decomposerEEEEE10hipError_tT0_T1_T2_jT3_P12ihipStream_tbPNSt15iterator_traitsISE_E10value_typeEPNSK_ISF_E10value_typeEPSG_NS1_7vsmem_tEENKUlT_SE_SF_SG_E_clIS8_S8_S9_S9_EESD_ST_SE_SF_SG_EUlST_E0_NS1_11comp_targetILNS1_3genE8ELNS1_11target_archE1030ELNS1_3gpuE2ELNS1_3repE0EEENS1_38merge_mergepath_config_static_selectorELNS0_4arch9wavefront6targetE0EEEvSF_.private_seg_size, 0
	.set _ZN7rocprim17ROCPRIM_400000_NS6detail17trampoline_kernelINS0_14default_configENS1_38merge_sort_block_merge_config_selectorIfNS0_10empty_typeEEEZZNS1_27merge_sort_block_merge_implIS3_PfPS5_jNS1_19radix_merge_compareILb0ELb0EfNS0_19identity_decomposerEEEEE10hipError_tT0_T1_T2_jT3_P12ihipStream_tbPNSt15iterator_traitsISE_E10value_typeEPNSK_ISF_E10value_typeEPSG_NS1_7vsmem_tEENKUlT_SE_SF_SG_E_clIS8_S8_S9_S9_EESD_ST_SE_SF_SG_EUlST_E0_NS1_11comp_targetILNS1_3genE8ELNS1_11target_archE1030ELNS1_3gpuE2ELNS1_3repE0EEENS1_38merge_mergepath_config_static_selectorELNS0_4arch9wavefront6targetE0EEEvSF_.uses_vcc, 0
	.set _ZN7rocprim17ROCPRIM_400000_NS6detail17trampoline_kernelINS0_14default_configENS1_38merge_sort_block_merge_config_selectorIfNS0_10empty_typeEEEZZNS1_27merge_sort_block_merge_implIS3_PfPS5_jNS1_19radix_merge_compareILb0ELb0EfNS0_19identity_decomposerEEEEE10hipError_tT0_T1_T2_jT3_P12ihipStream_tbPNSt15iterator_traitsISE_E10value_typeEPNSK_ISF_E10value_typeEPSG_NS1_7vsmem_tEENKUlT_SE_SF_SG_E_clIS8_S8_S9_S9_EESD_ST_SE_SF_SG_EUlST_E0_NS1_11comp_targetILNS1_3genE8ELNS1_11target_archE1030ELNS1_3gpuE2ELNS1_3repE0EEENS1_38merge_mergepath_config_static_selectorELNS0_4arch9wavefront6targetE0EEEvSF_.uses_flat_scratch, 0
	.set _ZN7rocprim17ROCPRIM_400000_NS6detail17trampoline_kernelINS0_14default_configENS1_38merge_sort_block_merge_config_selectorIfNS0_10empty_typeEEEZZNS1_27merge_sort_block_merge_implIS3_PfPS5_jNS1_19radix_merge_compareILb0ELb0EfNS0_19identity_decomposerEEEEE10hipError_tT0_T1_T2_jT3_P12ihipStream_tbPNSt15iterator_traitsISE_E10value_typeEPNSK_ISF_E10value_typeEPSG_NS1_7vsmem_tEENKUlT_SE_SF_SG_E_clIS8_S8_S9_S9_EESD_ST_SE_SF_SG_EUlST_E0_NS1_11comp_targetILNS1_3genE8ELNS1_11target_archE1030ELNS1_3gpuE2ELNS1_3repE0EEENS1_38merge_mergepath_config_static_selectorELNS0_4arch9wavefront6targetE0EEEvSF_.has_dyn_sized_stack, 0
	.set _ZN7rocprim17ROCPRIM_400000_NS6detail17trampoline_kernelINS0_14default_configENS1_38merge_sort_block_merge_config_selectorIfNS0_10empty_typeEEEZZNS1_27merge_sort_block_merge_implIS3_PfPS5_jNS1_19radix_merge_compareILb0ELb0EfNS0_19identity_decomposerEEEEE10hipError_tT0_T1_T2_jT3_P12ihipStream_tbPNSt15iterator_traitsISE_E10value_typeEPNSK_ISF_E10value_typeEPSG_NS1_7vsmem_tEENKUlT_SE_SF_SG_E_clIS8_S8_S9_S9_EESD_ST_SE_SF_SG_EUlST_E0_NS1_11comp_targetILNS1_3genE8ELNS1_11target_archE1030ELNS1_3gpuE2ELNS1_3repE0EEENS1_38merge_mergepath_config_static_selectorELNS0_4arch9wavefront6targetE0EEEvSF_.has_recursion, 0
	.set _ZN7rocprim17ROCPRIM_400000_NS6detail17trampoline_kernelINS0_14default_configENS1_38merge_sort_block_merge_config_selectorIfNS0_10empty_typeEEEZZNS1_27merge_sort_block_merge_implIS3_PfPS5_jNS1_19radix_merge_compareILb0ELb0EfNS0_19identity_decomposerEEEEE10hipError_tT0_T1_T2_jT3_P12ihipStream_tbPNSt15iterator_traitsISE_E10value_typeEPNSK_ISF_E10value_typeEPSG_NS1_7vsmem_tEENKUlT_SE_SF_SG_E_clIS8_S8_S9_S9_EESD_ST_SE_SF_SG_EUlST_E0_NS1_11comp_targetILNS1_3genE8ELNS1_11target_archE1030ELNS1_3gpuE2ELNS1_3repE0EEENS1_38merge_mergepath_config_static_selectorELNS0_4arch9wavefront6targetE0EEEvSF_.has_indirect_call, 0
	.section	.AMDGPU.csdata,"",@progbits
; Kernel info:
; codeLenInByte = 0
; TotalNumSgprs: 0
; NumVgprs: 0
; ScratchSize: 0
; MemoryBound: 0
; FloatMode: 240
; IeeeMode: 1
; LDSByteSize: 0 bytes/workgroup (compile time only)
; SGPRBlocks: 0
; VGPRBlocks: 0
; NumSGPRsForWavesPerEU: 1
; NumVGPRsForWavesPerEU: 1
; NamedBarCnt: 0
; Occupancy: 16
; WaveLimiterHint : 0
; COMPUTE_PGM_RSRC2:SCRATCH_EN: 0
; COMPUTE_PGM_RSRC2:USER_SGPR: 2
; COMPUTE_PGM_RSRC2:TRAP_HANDLER: 0
; COMPUTE_PGM_RSRC2:TGID_X_EN: 1
; COMPUTE_PGM_RSRC2:TGID_Y_EN: 0
; COMPUTE_PGM_RSRC2:TGID_Z_EN: 0
; COMPUTE_PGM_RSRC2:TIDIG_COMP_CNT: 0
	.section	.text._ZN7rocprim17ROCPRIM_400000_NS6detail17trampoline_kernelINS0_14default_configENS1_38merge_sort_block_merge_config_selectorIfNS0_10empty_typeEEEZZNS1_27merge_sort_block_merge_implIS3_PfPS5_jNS1_19radix_merge_compareILb0ELb0EfNS0_19identity_decomposerEEEEE10hipError_tT0_T1_T2_jT3_P12ihipStream_tbPNSt15iterator_traitsISE_E10value_typeEPNSK_ISF_E10value_typeEPSG_NS1_7vsmem_tEENKUlT_SE_SF_SG_E_clIS8_S8_S9_S9_EESD_ST_SE_SF_SG_EUlST_E1_NS1_11comp_targetILNS1_3genE0ELNS1_11target_archE4294967295ELNS1_3gpuE0ELNS1_3repE0EEENS1_36merge_oddeven_config_static_selectorELNS0_4arch9wavefront6targetE0EEEvSF_,"axG",@progbits,_ZN7rocprim17ROCPRIM_400000_NS6detail17trampoline_kernelINS0_14default_configENS1_38merge_sort_block_merge_config_selectorIfNS0_10empty_typeEEEZZNS1_27merge_sort_block_merge_implIS3_PfPS5_jNS1_19radix_merge_compareILb0ELb0EfNS0_19identity_decomposerEEEEE10hipError_tT0_T1_T2_jT3_P12ihipStream_tbPNSt15iterator_traitsISE_E10value_typeEPNSK_ISF_E10value_typeEPSG_NS1_7vsmem_tEENKUlT_SE_SF_SG_E_clIS8_S8_S9_S9_EESD_ST_SE_SF_SG_EUlST_E1_NS1_11comp_targetILNS1_3genE0ELNS1_11target_archE4294967295ELNS1_3gpuE0ELNS1_3repE0EEENS1_36merge_oddeven_config_static_selectorELNS0_4arch9wavefront6targetE0EEEvSF_,comdat
	.protected	_ZN7rocprim17ROCPRIM_400000_NS6detail17trampoline_kernelINS0_14default_configENS1_38merge_sort_block_merge_config_selectorIfNS0_10empty_typeEEEZZNS1_27merge_sort_block_merge_implIS3_PfPS5_jNS1_19radix_merge_compareILb0ELb0EfNS0_19identity_decomposerEEEEE10hipError_tT0_T1_T2_jT3_P12ihipStream_tbPNSt15iterator_traitsISE_E10value_typeEPNSK_ISF_E10value_typeEPSG_NS1_7vsmem_tEENKUlT_SE_SF_SG_E_clIS8_S8_S9_S9_EESD_ST_SE_SF_SG_EUlST_E1_NS1_11comp_targetILNS1_3genE0ELNS1_11target_archE4294967295ELNS1_3gpuE0ELNS1_3repE0EEENS1_36merge_oddeven_config_static_selectorELNS0_4arch9wavefront6targetE0EEEvSF_ ; -- Begin function _ZN7rocprim17ROCPRIM_400000_NS6detail17trampoline_kernelINS0_14default_configENS1_38merge_sort_block_merge_config_selectorIfNS0_10empty_typeEEEZZNS1_27merge_sort_block_merge_implIS3_PfPS5_jNS1_19radix_merge_compareILb0ELb0EfNS0_19identity_decomposerEEEEE10hipError_tT0_T1_T2_jT3_P12ihipStream_tbPNSt15iterator_traitsISE_E10value_typeEPNSK_ISF_E10value_typeEPSG_NS1_7vsmem_tEENKUlT_SE_SF_SG_E_clIS8_S8_S9_S9_EESD_ST_SE_SF_SG_EUlST_E1_NS1_11comp_targetILNS1_3genE0ELNS1_11target_archE4294967295ELNS1_3gpuE0ELNS1_3repE0EEENS1_36merge_oddeven_config_static_selectorELNS0_4arch9wavefront6targetE0EEEvSF_
	.globl	_ZN7rocprim17ROCPRIM_400000_NS6detail17trampoline_kernelINS0_14default_configENS1_38merge_sort_block_merge_config_selectorIfNS0_10empty_typeEEEZZNS1_27merge_sort_block_merge_implIS3_PfPS5_jNS1_19radix_merge_compareILb0ELb0EfNS0_19identity_decomposerEEEEE10hipError_tT0_T1_T2_jT3_P12ihipStream_tbPNSt15iterator_traitsISE_E10value_typeEPNSK_ISF_E10value_typeEPSG_NS1_7vsmem_tEENKUlT_SE_SF_SG_E_clIS8_S8_S9_S9_EESD_ST_SE_SF_SG_EUlST_E1_NS1_11comp_targetILNS1_3genE0ELNS1_11target_archE4294967295ELNS1_3gpuE0ELNS1_3repE0EEENS1_36merge_oddeven_config_static_selectorELNS0_4arch9wavefront6targetE0EEEvSF_
	.p2align	8
	.type	_ZN7rocprim17ROCPRIM_400000_NS6detail17trampoline_kernelINS0_14default_configENS1_38merge_sort_block_merge_config_selectorIfNS0_10empty_typeEEEZZNS1_27merge_sort_block_merge_implIS3_PfPS5_jNS1_19radix_merge_compareILb0ELb0EfNS0_19identity_decomposerEEEEE10hipError_tT0_T1_T2_jT3_P12ihipStream_tbPNSt15iterator_traitsISE_E10value_typeEPNSK_ISF_E10value_typeEPSG_NS1_7vsmem_tEENKUlT_SE_SF_SG_E_clIS8_S8_S9_S9_EESD_ST_SE_SF_SG_EUlST_E1_NS1_11comp_targetILNS1_3genE0ELNS1_11target_archE4294967295ELNS1_3gpuE0ELNS1_3repE0EEENS1_36merge_oddeven_config_static_selectorELNS0_4arch9wavefront6targetE0EEEvSF_,@function
_ZN7rocprim17ROCPRIM_400000_NS6detail17trampoline_kernelINS0_14default_configENS1_38merge_sort_block_merge_config_selectorIfNS0_10empty_typeEEEZZNS1_27merge_sort_block_merge_implIS3_PfPS5_jNS1_19radix_merge_compareILb0ELb0EfNS0_19identity_decomposerEEEEE10hipError_tT0_T1_T2_jT3_P12ihipStream_tbPNSt15iterator_traitsISE_E10value_typeEPNSK_ISF_E10value_typeEPSG_NS1_7vsmem_tEENKUlT_SE_SF_SG_E_clIS8_S8_S9_S9_EESD_ST_SE_SF_SG_EUlST_E1_NS1_11comp_targetILNS1_3genE0ELNS1_11target_archE4294967295ELNS1_3gpuE0ELNS1_3repE0EEENS1_36merge_oddeven_config_static_selectorELNS0_4arch9wavefront6targetE0EEEvSF_: ; @_ZN7rocprim17ROCPRIM_400000_NS6detail17trampoline_kernelINS0_14default_configENS1_38merge_sort_block_merge_config_selectorIfNS0_10empty_typeEEEZZNS1_27merge_sort_block_merge_implIS3_PfPS5_jNS1_19radix_merge_compareILb0ELb0EfNS0_19identity_decomposerEEEEE10hipError_tT0_T1_T2_jT3_P12ihipStream_tbPNSt15iterator_traitsISE_E10value_typeEPNSK_ISF_E10value_typeEPSG_NS1_7vsmem_tEENKUlT_SE_SF_SG_E_clIS8_S8_S9_S9_EESD_ST_SE_SF_SG_EUlST_E1_NS1_11comp_targetILNS1_3genE0ELNS1_11target_archE4294967295ELNS1_3gpuE0ELNS1_3repE0EEENS1_36merge_oddeven_config_static_selectorELNS0_4arch9wavefront6targetE0EEEvSF_
; %bb.0:
	s_load_b32 s10, s[0:1], 0x20
	s_bfe_u32 s2, ttmp6, 0x4000c
	s_and_b32 s3, ttmp6, 15
	s_add_co_i32 s2, s2, 1
	s_getreg_b32 s4, hwreg(HW_REG_IB_STS2, 6, 4)
	s_mul_i32 s2, ttmp9, s2
	s_mov_b32 s9, 0
	s_add_co_i32 s3, s3, s2
	s_cmp_eq_u32 s4, 0
	s_cselect_b32 s13, ttmp9, s3
	s_wait_kmcnt 0x0
	s_lshr_b32 s2, s10, 8
	s_delay_alu instid0(SALU_CYCLE_1) | instskip(SKIP_4) | instid1(SALU_CYCLE_1)
	s_cmp_lg_u32 s13, s2
	s_cselect_b32 s3, -1, 0
	s_cmp_eq_u32 s13, s2
	s_cselect_b32 s11, -1, 0
	s_lshl_b32 s8, s13, 8
	s_sub_co_i32 s2, s10, s8
	s_delay_alu instid0(SALU_CYCLE_1) | instskip(SKIP_1) | instid1(SALU_CYCLE_1)
	v_cmp_gt_u32_e64 s2, s2, v0
	s_or_b32 s4, s3, s2
	s_and_saveexec_b32 s5, s4
	s_cbranch_execz .LBB1380_20
; %bb.1:
	s_clause 0x1
	s_load_b128 s[4:7], s[0:1], 0x0
	s_load_b32 s12, s[0:1], 0x24
	s_lshl_b64 s[14:15], s[8:9], 2
	v_add_nc_u32_e32 v3, s8, v0
	s_wait_kmcnt 0x0
	s_add_nc_u64 s[0:1], s[4:5], s[14:15]
	global_load_b32 v1, v0, s[0:1] scale_offset
	s_wait_xcnt 0x0
	s_lshr_b32 s0, s12, 8
	s_delay_alu instid0(SALU_CYCLE_1) | instskip(NEXT) | instid1(SALU_CYCLE_1)
	s_sub_co_i32 s1, 0, s0
	s_and_b32 s1, s13, s1
	s_delay_alu instid0(SALU_CYCLE_1) | instskip(SKIP_4) | instid1(SALU_CYCLE_1)
	s_and_b32 s0, s1, s0
	s_lshl_b32 s13, s1, 8
	s_sub_co_i32 s1, 0, s12
	s_cmp_eq_u32 s0, 0
	s_cselect_b32 s0, -1, 0
	s_and_b32 s14, s0, exec_lo
	s_cselect_b32 s1, s12, s1
	s_delay_alu instid0(SALU_CYCLE_1) | instskip(NEXT) | instid1(SALU_CYCLE_1)
	s_add_co_i32 s1, s1, s13
	s_cmp_gt_u32 s10, s1
	s_cbranch_scc1 .LBB1380_3
; %bb.2:
	v_cmp_gt_u32_e32 vcc_lo, s10, v3
	s_or_b32 s8, vcc_lo, s3
	s_delay_alu instid0(SALU_CYCLE_1)
	s_and_b32 s9, s8, exec_lo
	s_cbranch_execz .LBB1380_4
	s_branch .LBB1380_18
.LBB1380_3:
.LBB1380_4:
	s_min_u32 s3, s1, s10
	s_and_b32 vcc_lo, exec_lo, s11
	s_add_co_i32 s8, s13, s3
	s_add_co_i32 s12, s3, s12
	v_subrev_nc_u32_e32 v0, s8, v3
	s_min_u32 s8, s13, s3
	s_wait_loadcnt 0x0
	s_delay_alu instid0(VALU_DEP_1) | instskip(SKIP_1) | instid1(VALU_DEP_1)
	v_dual_add_f32 v2, 0, v1 :: v_dual_add_nc_u32 v0, s8, v0
	s_min_u32 s8, s12, s10
	v_ashrrev_i32_e32 v3, 31, v2
	s_delay_alu instid0(VALU_DEP_1)
	v_bitop3_b32 v2, v3, v2, 0x80000000 bitop3:0x36
	s_cbranch_vccz .LBB1380_12
; %bb.5:
                                        ; implicit-def: $vgpr3
	s_and_saveexec_b32 s10, s2
	s_cbranch_execz .LBB1380_11
; %bb.6:
	v_mov_b32_e32 v3, s3
	s_cmp_ge_u32 s1, s8
	s_cbranch_scc1 .LBB1380_10
; %bb.7:
	v_dual_mov_b32 v4, s8 :: v_dual_mov_b32 v3, s3
	s_mov_b32 s2, 0
.LBB1380_8:                             ; =>This Inner Loop Header: Depth=1
	s_delay_alu instid0(VALU_DEP_1) | instskip(NEXT) | instid1(VALU_DEP_1)
	v_add_nc_u32_e32 v5, v3, v4
	v_lshrrev_b32_e32 v5, 1, v5
	global_load_b32 v6, v5, s[4:5] scale_offset
	s_wait_loadcnt 0x0
	v_add_f32_e32 v6, 0, v6
	s_delay_alu instid0(VALU_DEP_1) | instskip(NEXT) | instid1(VALU_DEP_1)
	v_ashrrev_i32_e32 v7, 31, v6
	v_bitop3_b32 v6, v7, v6, 0x80000000 bitop3:0x36
	s_delay_alu instid0(VALU_DEP_1) | instskip(SKIP_3) | instid1(VALU_DEP_1)
	v_cmp_gt_u32_e32 vcc_lo, v2, v6
	v_cndmask_b32_e64 v7, 0, 1, vcc_lo
	v_cmp_le_u32_e32 vcc_lo, v6, v2
	v_cndmask_b32_e64 v6, 0, 1, vcc_lo
	v_dual_cndmask_b32 v6, v6, v7, s0 :: v_dual_add_nc_u32 v7, 1, v5
	s_delay_alu instid0(VALU_DEP_1) | instskip(NEXT) | instid1(VALU_DEP_1)
	v_and_b32_e32 v6, 1, v6
	v_cmp_eq_u32_e32 vcc_lo, 1, v6
	s_delay_alu instid0(VALU_DEP_3) | instskip(NEXT) | instid1(VALU_DEP_1)
	v_dual_cndmask_b32 v4, v5, v4 :: v_dual_cndmask_b32 v3, v3, v7
	v_cmp_ge_u32_e32 vcc_lo, v3, v4
	s_or_b32 s2, vcc_lo, s2
	s_delay_alu instid0(SALU_CYCLE_1)
	s_and_not1_b32 exec_lo, exec_lo, s2
	s_cbranch_execnz .LBB1380_8
; %bb.9:
	s_or_b32 exec_lo, exec_lo, s2
.LBB1380_10:
	s_delay_alu instid0(VALU_DEP_1)
	v_add_nc_u32_e32 v3, v3, v0
	s_or_b32 s9, s9, exec_lo
.LBB1380_11:
	s_or_b32 exec_lo, exec_lo, s10
	s_branch .LBB1380_18
.LBB1380_12:
                                        ; implicit-def: $vgpr3
	s_cbranch_execz .LBB1380_18
; %bb.13:
	v_mov_b32_e32 v3, s3
	s_cmp_ge_u32 s1, s8
	s_cbranch_scc1 .LBB1380_17
; %bb.14:
	v_dual_mov_b32 v4, s8 :: v_dual_mov_b32 v3, s3
	s_mov_b32 s1, 0
.LBB1380_15:                            ; =>This Inner Loop Header: Depth=1
	s_delay_alu instid0(VALU_DEP_1) | instskip(NEXT) | instid1(VALU_DEP_1)
	v_add_nc_u32_e32 v5, v3, v4
	v_lshrrev_b32_e32 v5, 1, v5
	global_load_b32 v6, v5, s[4:5] scale_offset
	s_wait_loadcnt 0x0
	v_add_f32_e32 v6, 0, v6
	s_delay_alu instid0(VALU_DEP_1) | instskip(NEXT) | instid1(VALU_DEP_1)
	v_ashrrev_i32_e32 v7, 31, v6
	v_bitop3_b32 v6, v7, v6, 0x80000000 bitop3:0x36
	s_delay_alu instid0(VALU_DEP_1) | instskip(SKIP_3) | instid1(VALU_DEP_1)
	v_cmp_gt_u32_e32 vcc_lo, v2, v6
	v_cndmask_b32_e64 v7, 0, 1, vcc_lo
	v_cmp_le_u32_e32 vcc_lo, v6, v2
	v_cndmask_b32_e64 v6, 0, 1, vcc_lo
	v_dual_cndmask_b32 v6, v6, v7, s0 :: v_dual_add_nc_u32 v7, 1, v5
	s_delay_alu instid0(VALU_DEP_1) | instskip(NEXT) | instid1(VALU_DEP_1)
	v_and_b32_e32 v6, 1, v6
	v_cmp_eq_u32_e32 vcc_lo, 1, v6
	s_delay_alu instid0(VALU_DEP_3) | instskip(NEXT) | instid1(VALU_DEP_1)
	v_dual_cndmask_b32 v4, v5, v4 :: v_dual_cndmask_b32 v3, v3, v7
	v_cmp_ge_u32_e32 vcc_lo, v3, v4
	s_or_b32 s1, vcc_lo, s1
	s_delay_alu instid0(SALU_CYCLE_1)
	s_and_not1_b32 exec_lo, exec_lo, s1
	s_cbranch_execnz .LBB1380_15
; %bb.16:
	s_or_b32 exec_lo, exec_lo, s1
.LBB1380_17:
	s_delay_alu instid0(VALU_DEP_1)
	v_add_nc_u32_e32 v3, v3, v0
	s_mov_b32 s9, -1
.LBB1380_18:
	s_delay_alu instid0(SALU_CYCLE_1)
	s_and_b32 exec_lo, exec_lo, s9
	s_cbranch_execz .LBB1380_20
; %bb.19:
	s_wait_loadcnt 0x0
	global_store_b32 v3, v1, s[6:7] scale_offset
.LBB1380_20:
	s_endpgm
	.section	.rodata,"a",@progbits
	.p2align	6, 0x0
	.amdhsa_kernel _ZN7rocprim17ROCPRIM_400000_NS6detail17trampoline_kernelINS0_14default_configENS1_38merge_sort_block_merge_config_selectorIfNS0_10empty_typeEEEZZNS1_27merge_sort_block_merge_implIS3_PfPS5_jNS1_19radix_merge_compareILb0ELb0EfNS0_19identity_decomposerEEEEE10hipError_tT0_T1_T2_jT3_P12ihipStream_tbPNSt15iterator_traitsISE_E10value_typeEPNSK_ISF_E10value_typeEPSG_NS1_7vsmem_tEENKUlT_SE_SF_SG_E_clIS8_S8_S9_S9_EESD_ST_SE_SF_SG_EUlST_E1_NS1_11comp_targetILNS1_3genE0ELNS1_11target_archE4294967295ELNS1_3gpuE0ELNS1_3repE0EEENS1_36merge_oddeven_config_static_selectorELNS0_4arch9wavefront6targetE0EEEvSF_
		.amdhsa_group_segment_fixed_size 0
		.amdhsa_private_segment_fixed_size 0
		.amdhsa_kernarg_size 48
		.amdhsa_user_sgpr_count 2
		.amdhsa_user_sgpr_dispatch_ptr 0
		.amdhsa_user_sgpr_queue_ptr 0
		.amdhsa_user_sgpr_kernarg_segment_ptr 1
		.amdhsa_user_sgpr_dispatch_id 0
		.amdhsa_user_sgpr_kernarg_preload_length 0
		.amdhsa_user_sgpr_kernarg_preload_offset 0
		.amdhsa_user_sgpr_private_segment_size 0
		.amdhsa_wavefront_size32 1
		.amdhsa_uses_dynamic_stack 0
		.amdhsa_enable_private_segment 0
		.amdhsa_system_sgpr_workgroup_id_x 1
		.amdhsa_system_sgpr_workgroup_id_y 0
		.amdhsa_system_sgpr_workgroup_id_z 0
		.amdhsa_system_sgpr_workgroup_info 0
		.amdhsa_system_vgpr_workitem_id 0
		.amdhsa_next_free_vgpr 8
		.amdhsa_next_free_sgpr 16
		.amdhsa_named_barrier_count 0
		.amdhsa_reserve_vcc 1
		.amdhsa_float_round_mode_32 0
		.amdhsa_float_round_mode_16_64 0
		.amdhsa_float_denorm_mode_32 3
		.amdhsa_float_denorm_mode_16_64 3
		.amdhsa_fp16_overflow 0
		.amdhsa_memory_ordered 1
		.amdhsa_forward_progress 1
		.amdhsa_inst_pref_size 6
		.amdhsa_round_robin_scheduling 0
		.amdhsa_exception_fp_ieee_invalid_op 0
		.amdhsa_exception_fp_denorm_src 0
		.amdhsa_exception_fp_ieee_div_zero 0
		.amdhsa_exception_fp_ieee_overflow 0
		.amdhsa_exception_fp_ieee_underflow 0
		.amdhsa_exception_fp_ieee_inexact 0
		.amdhsa_exception_int_div_zero 0
	.end_amdhsa_kernel
	.section	.text._ZN7rocprim17ROCPRIM_400000_NS6detail17trampoline_kernelINS0_14default_configENS1_38merge_sort_block_merge_config_selectorIfNS0_10empty_typeEEEZZNS1_27merge_sort_block_merge_implIS3_PfPS5_jNS1_19radix_merge_compareILb0ELb0EfNS0_19identity_decomposerEEEEE10hipError_tT0_T1_T2_jT3_P12ihipStream_tbPNSt15iterator_traitsISE_E10value_typeEPNSK_ISF_E10value_typeEPSG_NS1_7vsmem_tEENKUlT_SE_SF_SG_E_clIS8_S8_S9_S9_EESD_ST_SE_SF_SG_EUlST_E1_NS1_11comp_targetILNS1_3genE0ELNS1_11target_archE4294967295ELNS1_3gpuE0ELNS1_3repE0EEENS1_36merge_oddeven_config_static_selectorELNS0_4arch9wavefront6targetE0EEEvSF_,"axG",@progbits,_ZN7rocprim17ROCPRIM_400000_NS6detail17trampoline_kernelINS0_14default_configENS1_38merge_sort_block_merge_config_selectorIfNS0_10empty_typeEEEZZNS1_27merge_sort_block_merge_implIS3_PfPS5_jNS1_19radix_merge_compareILb0ELb0EfNS0_19identity_decomposerEEEEE10hipError_tT0_T1_T2_jT3_P12ihipStream_tbPNSt15iterator_traitsISE_E10value_typeEPNSK_ISF_E10value_typeEPSG_NS1_7vsmem_tEENKUlT_SE_SF_SG_E_clIS8_S8_S9_S9_EESD_ST_SE_SF_SG_EUlST_E1_NS1_11comp_targetILNS1_3genE0ELNS1_11target_archE4294967295ELNS1_3gpuE0ELNS1_3repE0EEENS1_36merge_oddeven_config_static_selectorELNS0_4arch9wavefront6targetE0EEEvSF_,comdat
.Lfunc_end1380:
	.size	_ZN7rocprim17ROCPRIM_400000_NS6detail17trampoline_kernelINS0_14default_configENS1_38merge_sort_block_merge_config_selectorIfNS0_10empty_typeEEEZZNS1_27merge_sort_block_merge_implIS3_PfPS5_jNS1_19radix_merge_compareILb0ELb0EfNS0_19identity_decomposerEEEEE10hipError_tT0_T1_T2_jT3_P12ihipStream_tbPNSt15iterator_traitsISE_E10value_typeEPNSK_ISF_E10value_typeEPSG_NS1_7vsmem_tEENKUlT_SE_SF_SG_E_clIS8_S8_S9_S9_EESD_ST_SE_SF_SG_EUlST_E1_NS1_11comp_targetILNS1_3genE0ELNS1_11target_archE4294967295ELNS1_3gpuE0ELNS1_3repE0EEENS1_36merge_oddeven_config_static_selectorELNS0_4arch9wavefront6targetE0EEEvSF_, .Lfunc_end1380-_ZN7rocprim17ROCPRIM_400000_NS6detail17trampoline_kernelINS0_14default_configENS1_38merge_sort_block_merge_config_selectorIfNS0_10empty_typeEEEZZNS1_27merge_sort_block_merge_implIS3_PfPS5_jNS1_19radix_merge_compareILb0ELb0EfNS0_19identity_decomposerEEEEE10hipError_tT0_T1_T2_jT3_P12ihipStream_tbPNSt15iterator_traitsISE_E10value_typeEPNSK_ISF_E10value_typeEPSG_NS1_7vsmem_tEENKUlT_SE_SF_SG_E_clIS8_S8_S9_S9_EESD_ST_SE_SF_SG_EUlST_E1_NS1_11comp_targetILNS1_3genE0ELNS1_11target_archE4294967295ELNS1_3gpuE0ELNS1_3repE0EEENS1_36merge_oddeven_config_static_selectorELNS0_4arch9wavefront6targetE0EEEvSF_
                                        ; -- End function
	.set _ZN7rocprim17ROCPRIM_400000_NS6detail17trampoline_kernelINS0_14default_configENS1_38merge_sort_block_merge_config_selectorIfNS0_10empty_typeEEEZZNS1_27merge_sort_block_merge_implIS3_PfPS5_jNS1_19radix_merge_compareILb0ELb0EfNS0_19identity_decomposerEEEEE10hipError_tT0_T1_T2_jT3_P12ihipStream_tbPNSt15iterator_traitsISE_E10value_typeEPNSK_ISF_E10value_typeEPSG_NS1_7vsmem_tEENKUlT_SE_SF_SG_E_clIS8_S8_S9_S9_EESD_ST_SE_SF_SG_EUlST_E1_NS1_11comp_targetILNS1_3genE0ELNS1_11target_archE4294967295ELNS1_3gpuE0ELNS1_3repE0EEENS1_36merge_oddeven_config_static_selectorELNS0_4arch9wavefront6targetE0EEEvSF_.num_vgpr, 8
	.set _ZN7rocprim17ROCPRIM_400000_NS6detail17trampoline_kernelINS0_14default_configENS1_38merge_sort_block_merge_config_selectorIfNS0_10empty_typeEEEZZNS1_27merge_sort_block_merge_implIS3_PfPS5_jNS1_19radix_merge_compareILb0ELb0EfNS0_19identity_decomposerEEEEE10hipError_tT0_T1_T2_jT3_P12ihipStream_tbPNSt15iterator_traitsISE_E10value_typeEPNSK_ISF_E10value_typeEPSG_NS1_7vsmem_tEENKUlT_SE_SF_SG_E_clIS8_S8_S9_S9_EESD_ST_SE_SF_SG_EUlST_E1_NS1_11comp_targetILNS1_3genE0ELNS1_11target_archE4294967295ELNS1_3gpuE0ELNS1_3repE0EEENS1_36merge_oddeven_config_static_selectorELNS0_4arch9wavefront6targetE0EEEvSF_.num_agpr, 0
	.set _ZN7rocprim17ROCPRIM_400000_NS6detail17trampoline_kernelINS0_14default_configENS1_38merge_sort_block_merge_config_selectorIfNS0_10empty_typeEEEZZNS1_27merge_sort_block_merge_implIS3_PfPS5_jNS1_19radix_merge_compareILb0ELb0EfNS0_19identity_decomposerEEEEE10hipError_tT0_T1_T2_jT3_P12ihipStream_tbPNSt15iterator_traitsISE_E10value_typeEPNSK_ISF_E10value_typeEPSG_NS1_7vsmem_tEENKUlT_SE_SF_SG_E_clIS8_S8_S9_S9_EESD_ST_SE_SF_SG_EUlST_E1_NS1_11comp_targetILNS1_3genE0ELNS1_11target_archE4294967295ELNS1_3gpuE0ELNS1_3repE0EEENS1_36merge_oddeven_config_static_selectorELNS0_4arch9wavefront6targetE0EEEvSF_.numbered_sgpr, 16
	.set _ZN7rocprim17ROCPRIM_400000_NS6detail17trampoline_kernelINS0_14default_configENS1_38merge_sort_block_merge_config_selectorIfNS0_10empty_typeEEEZZNS1_27merge_sort_block_merge_implIS3_PfPS5_jNS1_19radix_merge_compareILb0ELb0EfNS0_19identity_decomposerEEEEE10hipError_tT0_T1_T2_jT3_P12ihipStream_tbPNSt15iterator_traitsISE_E10value_typeEPNSK_ISF_E10value_typeEPSG_NS1_7vsmem_tEENKUlT_SE_SF_SG_E_clIS8_S8_S9_S9_EESD_ST_SE_SF_SG_EUlST_E1_NS1_11comp_targetILNS1_3genE0ELNS1_11target_archE4294967295ELNS1_3gpuE0ELNS1_3repE0EEENS1_36merge_oddeven_config_static_selectorELNS0_4arch9wavefront6targetE0EEEvSF_.num_named_barrier, 0
	.set _ZN7rocprim17ROCPRIM_400000_NS6detail17trampoline_kernelINS0_14default_configENS1_38merge_sort_block_merge_config_selectorIfNS0_10empty_typeEEEZZNS1_27merge_sort_block_merge_implIS3_PfPS5_jNS1_19radix_merge_compareILb0ELb0EfNS0_19identity_decomposerEEEEE10hipError_tT0_T1_T2_jT3_P12ihipStream_tbPNSt15iterator_traitsISE_E10value_typeEPNSK_ISF_E10value_typeEPSG_NS1_7vsmem_tEENKUlT_SE_SF_SG_E_clIS8_S8_S9_S9_EESD_ST_SE_SF_SG_EUlST_E1_NS1_11comp_targetILNS1_3genE0ELNS1_11target_archE4294967295ELNS1_3gpuE0ELNS1_3repE0EEENS1_36merge_oddeven_config_static_selectorELNS0_4arch9wavefront6targetE0EEEvSF_.private_seg_size, 0
	.set _ZN7rocprim17ROCPRIM_400000_NS6detail17trampoline_kernelINS0_14default_configENS1_38merge_sort_block_merge_config_selectorIfNS0_10empty_typeEEEZZNS1_27merge_sort_block_merge_implIS3_PfPS5_jNS1_19radix_merge_compareILb0ELb0EfNS0_19identity_decomposerEEEEE10hipError_tT0_T1_T2_jT3_P12ihipStream_tbPNSt15iterator_traitsISE_E10value_typeEPNSK_ISF_E10value_typeEPSG_NS1_7vsmem_tEENKUlT_SE_SF_SG_E_clIS8_S8_S9_S9_EESD_ST_SE_SF_SG_EUlST_E1_NS1_11comp_targetILNS1_3genE0ELNS1_11target_archE4294967295ELNS1_3gpuE0ELNS1_3repE0EEENS1_36merge_oddeven_config_static_selectorELNS0_4arch9wavefront6targetE0EEEvSF_.uses_vcc, 1
	.set _ZN7rocprim17ROCPRIM_400000_NS6detail17trampoline_kernelINS0_14default_configENS1_38merge_sort_block_merge_config_selectorIfNS0_10empty_typeEEEZZNS1_27merge_sort_block_merge_implIS3_PfPS5_jNS1_19radix_merge_compareILb0ELb0EfNS0_19identity_decomposerEEEEE10hipError_tT0_T1_T2_jT3_P12ihipStream_tbPNSt15iterator_traitsISE_E10value_typeEPNSK_ISF_E10value_typeEPSG_NS1_7vsmem_tEENKUlT_SE_SF_SG_E_clIS8_S8_S9_S9_EESD_ST_SE_SF_SG_EUlST_E1_NS1_11comp_targetILNS1_3genE0ELNS1_11target_archE4294967295ELNS1_3gpuE0ELNS1_3repE0EEENS1_36merge_oddeven_config_static_selectorELNS0_4arch9wavefront6targetE0EEEvSF_.uses_flat_scratch, 0
	.set _ZN7rocprim17ROCPRIM_400000_NS6detail17trampoline_kernelINS0_14default_configENS1_38merge_sort_block_merge_config_selectorIfNS0_10empty_typeEEEZZNS1_27merge_sort_block_merge_implIS3_PfPS5_jNS1_19radix_merge_compareILb0ELb0EfNS0_19identity_decomposerEEEEE10hipError_tT0_T1_T2_jT3_P12ihipStream_tbPNSt15iterator_traitsISE_E10value_typeEPNSK_ISF_E10value_typeEPSG_NS1_7vsmem_tEENKUlT_SE_SF_SG_E_clIS8_S8_S9_S9_EESD_ST_SE_SF_SG_EUlST_E1_NS1_11comp_targetILNS1_3genE0ELNS1_11target_archE4294967295ELNS1_3gpuE0ELNS1_3repE0EEENS1_36merge_oddeven_config_static_selectorELNS0_4arch9wavefront6targetE0EEEvSF_.has_dyn_sized_stack, 0
	.set _ZN7rocprim17ROCPRIM_400000_NS6detail17trampoline_kernelINS0_14default_configENS1_38merge_sort_block_merge_config_selectorIfNS0_10empty_typeEEEZZNS1_27merge_sort_block_merge_implIS3_PfPS5_jNS1_19radix_merge_compareILb0ELb0EfNS0_19identity_decomposerEEEEE10hipError_tT0_T1_T2_jT3_P12ihipStream_tbPNSt15iterator_traitsISE_E10value_typeEPNSK_ISF_E10value_typeEPSG_NS1_7vsmem_tEENKUlT_SE_SF_SG_E_clIS8_S8_S9_S9_EESD_ST_SE_SF_SG_EUlST_E1_NS1_11comp_targetILNS1_3genE0ELNS1_11target_archE4294967295ELNS1_3gpuE0ELNS1_3repE0EEENS1_36merge_oddeven_config_static_selectorELNS0_4arch9wavefront6targetE0EEEvSF_.has_recursion, 0
	.set _ZN7rocprim17ROCPRIM_400000_NS6detail17trampoline_kernelINS0_14default_configENS1_38merge_sort_block_merge_config_selectorIfNS0_10empty_typeEEEZZNS1_27merge_sort_block_merge_implIS3_PfPS5_jNS1_19radix_merge_compareILb0ELb0EfNS0_19identity_decomposerEEEEE10hipError_tT0_T1_T2_jT3_P12ihipStream_tbPNSt15iterator_traitsISE_E10value_typeEPNSK_ISF_E10value_typeEPSG_NS1_7vsmem_tEENKUlT_SE_SF_SG_E_clIS8_S8_S9_S9_EESD_ST_SE_SF_SG_EUlST_E1_NS1_11comp_targetILNS1_3genE0ELNS1_11target_archE4294967295ELNS1_3gpuE0ELNS1_3repE0EEENS1_36merge_oddeven_config_static_selectorELNS0_4arch9wavefront6targetE0EEEvSF_.has_indirect_call, 0
	.section	.AMDGPU.csdata,"",@progbits
; Kernel info:
; codeLenInByte = 724
; TotalNumSgprs: 18
; NumVgprs: 8
; ScratchSize: 0
; MemoryBound: 0
; FloatMode: 240
; IeeeMode: 1
; LDSByteSize: 0 bytes/workgroup (compile time only)
; SGPRBlocks: 0
; VGPRBlocks: 0
; NumSGPRsForWavesPerEU: 18
; NumVGPRsForWavesPerEU: 8
; NamedBarCnt: 0
; Occupancy: 16
; WaveLimiterHint : 0
; COMPUTE_PGM_RSRC2:SCRATCH_EN: 0
; COMPUTE_PGM_RSRC2:USER_SGPR: 2
; COMPUTE_PGM_RSRC2:TRAP_HANDLER: 0
; COMPUTE_PGM_RSRC2:TGID_X_EN: 1
; COMPUTE_PGM_RSRC2:TGID_Y_EN: 0
; COMPUTE_PGM_RSRC2:TGID_Z_EN: 0
; COMPUTE_PGM_RSRC2:TIDIG_COMP_CNT: 0
	.section	.text._ZN7rocprim17ROCPRIM_400000_NS6detail17trampoline_kernelINS0_14default_configENS1_38merge_sort_block_merge_config_selectorIfNS0_10empty_typeEEEZZNS1_27merge_sort_block_merge_implIS3_PfPS5_jNS1_19radix_merge_compareILb0ELb0EfNS0_19identity_decomposerEEEEE10hipError_tT0_T1_T2_jT3_P12ihipStream_tbPNSt15iterator_traitsISE_E10value_typeEPNSK_ISF_E10value_typeEPSG_NS1_7vsmem_tEENKUlT_SE_SF_SG_E_clIS8_S8_S9_S9_EESD_ST_SE_SF_SG_EUlST_E1_NS1_11comp_targetILNS1_3genE10ELNS1_11target_archE1201ELNS1_3gpuE5ELNS1_3repE0EEENS1_36merge_oddeven_config_static_selectorELNS0_4arch9wavefront6targetE0EEEvSF_,"axG",@progbits,_ZN7rocprim17ROCPRIM_400000_NS6detail17trampoline_kernelINS0_14default_configENS1_38merge_sort_block_merge_config_selectorIfNS0_10empty_typeEEEZZNS1_27merge_sort_block_merge_implIS3_PfPS5_jNS1_19radix_merge_compareILb0ELb0EfNS0_19identity_decomposerEEEEE10hipError_tT0_T1_T2_jT3_P12ihipStream_tbPNSt15iterator_traitsISE_E10value_typeEPNSK_ISF_E10value_typeEPSG_NS1_7vsmem_tEENKUlT_SE_SF_SG_E_clIS8_S8_S9_S9_EESD_ST_SE_SF_SG_EUlST_E1_NS1_11comp_targetILNS1_3genE10ELNS1_11target_archE1201ELNS1_3gpuE5ELNS1_3repE0EEENS1_36merge_oddeven_config_static_selectorELNS0_4arch9wavefront6targetE0EEEvSF_,comdat
	.protected	_ZN7rocprim17ROCPRIM_400000_NS6detail17trampoline_kernelINS0_14default_configENS1_38merge_sort_block_merge_config_selectorIfNS0_10empty_typeEEEZZNS1_27merge_sort_block_merge_implIS3_PfPS5_jNS1_19radix_merge_compareILb0ELb0EfNS0_19identity_decomposerEEEEE10hipError_tT0_T1_T2_jT3_P12ihipStream_tbPNSt15iterator_traitsISE_E10value_typeEPNSK_ISF_E10value_typeEPSG_NS1_7vsmem_tEENKUlT_SE_SF_SG_E_clIS8_S8_S9_S9_EESD_ST_SE_SF_SG_EUlST_E1_NS1_11comp_targetILNS1_3genE10ELNS1_11target_archE1201ELNS1_3gpuE5ELNS1_3repE0EEENS1_36merge_oddeven_config_static_selectorELNS0_4arch9wavefront6targetE0EEEvSF_ ; -- Begin function _ZN7rocprim17ROCPRIM_400000_NS6detail17trampoline_kernelINS0_14default_configENS1_38merge_sort_block_merge_config_selectorIfNS0_10empty_typeEEEZZNS1_27merge_sort_block_merge_implIS3_PfPS5_jNS1_19radix_merge_compareILb0ELb0EfNS0_19identity_decomposerEEEEE10hipError_tT0_T1_T2_jT3_P12ihipStream_tbPNSt15iterator_traitsISE_E10value_typeEPNSK_ISF_E10value_typeEPSG_NS1_7vsmem_tEENKUlT_SE_SF_SG_E_clIS8_S8_S9_S9_EESD_ST_SE_SF_SG_EUlST_E1_NS1_11comp_targetILNS1_3genE10ELNS1_11target_archE1201ELNS1_3gpuE5ELNS1_3repE0EEENS1_36merge_oddeven_config_static_selectorELNS0_4arch9wavefront6targetE0EEEvSF_
	.globl	_ZN7rocprim17ROCPRIM_400000_NS6detail17trampoline_kernelINS0_14default_configENS1_38merge_sort_block_merge_config_selectorIfNS0_10empty_typeEEEZZNS1_27merge_sort_block_merge_implIS3_PfPS5_jNS1_19radix_merge_compareILb0ELb0EfNS0_19identity_decomposerEEEEE10hipError_tT0_T1_T2_jT3_P12ihipStream_tbPNSt15iterator_traitsISE_E10value_typeEPNSK_ISF_E10value_typeEPSG_NS1_7vsmem_tEENKUlT_SE_SF_SG_E_clIS8_S8_S9_S9_EESD_ST_SE_SF_SG_EUlST_E1_NS1_11comp_targetILNS1_3genE10ELNS1_11target_archE1201ELNS1_3gpuE5ELNS1_3repE0EEENS1_36merge_oddeven_config_static_selectorELNS0_4arch9wavefront6targetE0EEEvSF_
	.p2align	8
	.type	_ZN7rocprim17ROCPRIM_400000_NS6detail17trampoline_kernelINS0_14default_configENS1_38merge_sort_block_merge_config_selectorIfNS0_10empty_typeEEEZZNS1_27merge_sort_block_merge_implIS3_PfPS5_jNS1_19radix_merge_compareILb0ELb0EfNS0_19identity_decomposerEEEEE10hipError_tT0_T1_T2_jT3_P12ihipStream_tbPNSt15iterator_traitsISE_E10value_typeEPNSK_ISF_E10value_typeEPSG_NS1_7vsmem_tEENKUlT_SE_SF_SG_E_clIS8_S8_S9_S9_EESD_ST_SE_SF_SG_EUlST_E1_NS1_11comp_targetILNS1_3genE10ELNS1_11target_archE1201ELNS1_3gpuE5ELNS1_3repE0EEENS1_36merge_oddeven_config_static_selectorELNS0_4arch9wavefront6targetE0EEEvSF_,@function
_ZN7rocprim17ROCPRIM_400000_NS6detail17trampoline_kernelINS0_14default_configENS1_38merge_sort_block_merge_config_selectorIfNS0_10empty_typeEEEZZNS1_27merge_sort_block_merge_implIS3_PfPS5_jNS1_19radix_merge_compareILb0ELb0EfNS0_19identity_decomposerEEEEE10hipError_tT0_T1_T2_jT3_P12ihipStream_tbPNSt15iterator_traitsISE_E10value_typeEPNSK_ISF_E10value_typeEPSG_NS1_7vsmem_tEENKUlT_SE_SF_SG_E_clIS8_S8_S9_S9_EESD_ST_SE_SF_SG_EUlST_E1_NS1_11comp_targetILNS1_3genE10ELNS1_11target_archE1201ELNS1_3gpuE5ELNS1_3repE0EEENS1_36merge_oddeven_config_static_selectorELNS0_4arch9wavefront6targetE0EEEvSF_: ; @_ZN7rocprim17ROCPRIM_400000_NS6detail17trampoline_kernelINS0_14default_configENS1_38merge_sort_block_merge_config_selectorIfNS0_10empty_typeEEEZZNS1_27merge_sort_block_merge_implIS3_PfPS5_jNS1_19radix_merge_compareILb0ELb0EfNS0_19identity_decomposerEEEEE10hipError_tT0_T1_T2_jT3_P12ihipStream_tbPNSt15iterator_traitsISE_E10value_typeEPNSK_ISF_E10value_typeEPSG_NS1_7vsmem_tEENKUlT_SE_SF_SG_E_clIS8_S8_S9_S9_EESD_ST_SE_SF_SG_EUlST_E1_NS1_11comp_targetILNS1_3genE10ELNS1_11target_archE1201ELNS1_3gpuE5ELNS1_3repE0EEENS1_36merge_oddeven_config_static_selectorELNS0_4arch9wavefront6targetE0EEEvSF_
; %bb.0:
	.section	.rodata,"a",@progbits
	.p2align	6, 0x0
	.amdhsa_kernel _ZN7rocprim17ROCPRIM_400000_NS6detail17trampoline_kernelINS0_14default_configENS1_38merge_sort_block_merge_config_selectorIfNS0_10empty_typeEEEZZNS1_27merge_sort_block_merge_implIS3_PfPS5_jNS1_19radix_merge_compareILb0ELb0EfNS0_19identity_decomposerEEEEE10hipError_tT0_T1_T2_jT3_P12ihipStream_tbPNSt15iterator_traitsISE_E10value_typeEPNSK_ISF_E10value_typeEPSG_NS1_7vsmem_tEENKUlT_SE_SF_SG_E_clIS8_S8_S9_S9_EESD_ST_SE_SF_SG_EUlST_E1_NS1_11comp_targetILNS1_3genE10ELNS1_11target_archE1201ELNS1_3gpuE5ELNS1_3repE0EEENS1_36merge_oddeven_config_static_selectorELNS0_4arch9wavefront6targetE0EEEvSF_
		.amdhsa_group_segment_fixed_size 0
		.amdhsa_private_segment_fixed_size 0
		.amdhsa_kernarg_size 48
		.amdhsa_user_sgpr_count 2
		.amdhsa_user_sgpr_dispatch_ptr 0
		.amdhsa_user_sgpr_queue_ptr 0
		.amdhsa_user_sgpr_kernarg_segment_ptr 1
		.amdhsa_user_sgpr_dispatch_id 0
		.amdhsa_user_sgpr_kernarg_preload_length 0
		.amdhsa_user_sgpr_kernarg_preload_offset 0
		.amdhsa_user_sgpr_private_segment_size 0
		.amdhsa_wavefront_size32 1
		.amdhsa_uses_dynamic_stack 0
		.amdhsa_enable_private_segment 0
		.amdhsa_system_sgpr_workgroup_id_x 1
		.amdhsa_system_sgpr_workgroup_id_y 0
		.amdhsa_system_sgpr_workgroup_id_z 0
		.amdhsa_system_sgpr_workgroup_info 0
		.amdhsa_system_vgpr_workitem_id 0
		.amdhsa_next_free_vgpr 1
		.amdhsa_next_free_sgpr 1
		.amdhsa_named_barrier_count 0
		.amdhsa_reserve_vcc 0
		.amdhsa_float_round_mode_32 0
		.amdhsa_float_round_mode_16_64 0
		.amdhsa_float_denorm_mode_32 3
		.amdhsa_float_denorm_mode_16_64 3
		.amdhsa_fp16_overflow 0
		.amdhsa_memory_ordered 1
		.amdhsa_forward_progress 1
		.amdhsa_inst_pref_size 0
		.amdhsa_round_robin_scheduling 0
		.amdhsa_exception_fp_ieee_invalid_op 0
		.amdhsa_exception_fp_denorm_src 0
		.amdhsa_exception_fp_ieee_div_zero 0
		.amdhsa_exception_fp_ieee_overflow 0
		.amdhsa_exception_fp_ieee_underflow 0
		.amdhsa_exception_fp_ieee_inexact 0
		.amdhsa_exception_int_div_zero 0
	.end_amdhsa_kernel
	.section	.text._ZN7rocprim17ROCPRIM_400000_NS6detail17trampoline_kernelINS0_14default_configENS1_38merge_sort_block_merge_config_selectorIfNS0_10empty_typeEEEZZNS1_27merge_sort_block_merge_implIS3_PfPS5_jNS1_19radix_merge_compareILb0ELb0EfNS0_19identity_decomposerEEEEE10hipError_tT0_T1_T2_jT3_P12ihipStream_tbPNSt15iterator_traitsISE_E10value_typeEPNSK_ISF_E10value_typeEPSG_NS1_7vsmem_tEENKUlT_SE_SF_SG_E_clIS8_S8_S9_S9_EESD_ST_SE_SF_SG_EUlST_E1_NS1_11comp_targetILNS1_3genE10ELNS1_11target_archE1201ELNS1_3gpuE5ELNS1_3repE0EEENS1_36merge_oddeven_config_static_selectorELNS0_4arch9wavefront6targetE0EEEvSF_,"axG",@progbits,_ZN7rocprim17ROCPRIM_400000_NS6detail17trampoline_kernelINS0_14default_configENS1_38merge_sort_block_merge_config_selectorIfNS0_10empty_typeEEEZZNS1_27merge_sort_block_merge_implIS3_PfPS5_jNS1_19radix_merge_compareILb0ELb0EfNS0_19identity_decomposerEEEEE10hipError_tT0_T1_T2_jT3_P12ihipStream_tbPNSt15iterator_traitsISE_E10value_typeEPNSK_ISF_E10value_typeEPSG_NS1_7vsmem_tEENKUlT_SE_SF_SG_E_clIS8_S8_S9_S9_EESD_ST_SE_SF_SG_EUlST_E1_NS1_11comp_targetILNS1_3genE10ELNS1_11target_archE1201ELNS1_3gpuE5ELNS1_3repE0EEENS1_36merge_oddeven_config_static_selectorELNS0_4arch9wavefront6targetE0EEEvSF_,comdat
.Lfunc_end1381:
	.size	_ZN7rocprim17ROCPRIM_400000_NS6detail17trampoline_kernelINS0_14default_configENS1_38merge_sort_block_merge_config_selectorIfNS0_10empty_typeEEEZZNS1_27merge_sort_block_merge_implIS3_PfPS5_jNS1_19radix_merge_compareILb0ELb0EfNS0_19identity_decomposerEEEEE10hipError_tT0_T1_T2_jT3_P12ihipStream_tbPNSt15iterator_traitsISE_E10value_typeEPNSK_ISF_E10value_typeEPSG_NS1_7vsmem_tEENKUlT_SE_SF_SG_E_clIS8_S8_S9_S9_EESD_ST_SE_SF_SG_EUlST_E1_NS1_11comp_targetILNS1_3genE10ELNS1_11target_archE1201ELNS1_3gpuE5ELNS1_3repE0EEENS1_36merge_oddeven_config_static_selectorELNS0_4arch9wavefront6targetE0EEEvSF_, .Lfunc_end1381-_ZN7rocprim17ROCPRIM_400000_NS6detail17trampoline_kernelINS0_14default_configENS1_38merge_sort_block_merge_config_selectorIfNS0_10empty_typeEEEZZNS1_27merge_sort_block_merge_implIS3_PfPS5_jNS1_19radix_merge_compareILb0ELb0EfNS0_19identity_decomposerEEEEE10hipError_tT0_T1_T2_jT3_P12ihipStream_tbPNSt15iterator_traitsISE_E10value_typeEPNSK_ISF_E10value_typeEPSG_NS1_7vsmem_tEENKUlT_SE_SF_SG_E_clIS8_S8_S9_S9_EESD_ST_SE_SF_SG_EUlST_E1_NS1_11comp_targetILNS1_3genE10ELNS1_11target_archE1201ELNS1_3gpuE5ELNS1_3repE0EEENS1_36merge_oddeven_config_static_selectorELNS0_4arch9wavefront6targetE0EEEvSF_
                                        ; -- End function
	.set _ZN7rocprim17ROCPRIM_400000_NS6detail17trampoline_kernelINS0_14default_configENS1_38merge_sort_block_merge_config_selectorIfNS0_10empty_typeEEEZZNS1_27merge_sort_block_merge_implIS3_PfPS5_jNS1_19radix_merge_compareILb0ELb0EfNS0_19identity_decomposerEEEEE10hipError_tT0_T1_T2_jT3_P12ihipStream_tbPNSt15iterator_traitsISE_E10value_typeEPNSK_ISF_E10value_typeEPSG_NS1_7vsmem_tEENKUlT_SE_SF_SG_E_clIS8_S8_S9_S9_EESD_ST_SE_SF_SG_EUlST_E1_NS1_11comp_targetILNS1_3genE10ELNS1_11target_archE1201ELNS1_3gpuE5ELNS1_3repE0EEENS1_36merge_oddeven_config_static_selectorELNS0_4arch9wavefront6targetE0EEEvSF_.num_vgpr, 0
	.set _ZN7rocprim17ROCPRIM_400000_NS6detail17trampoline_kernelINS0_14default_configENS1_38merge_sort_block_merge_config_selectorIfNS0_10empty_typeEEEZZNS1_27merge_sort_block_merge_implIS3_PfPS5_jNS1_19radix_merge_compareILb0ELb0EfNS0_19identity_decomposerEEEEE10hipError_tT0_T1_T2_jT3_P12ihipStream_tbPNSt15iterator_traitsISE_E10value_typeEPNSK_ISF_E10value_typeEPSG_NS1_7vsmem_tEENKUlT_SE_SF_SG_E_clIS8_S8_S9_S9_EESD_ST_SE_SF_SG_EUlST_E1_NS1_11comp_targetILNS1_3genE10ELNS1_11target_archE1201ELNS1_3gpuE5ELNS1_3repE0EEENS1_36merge_oddeven_config_static_selectorELNS0_4arch9wavefront6targetE0EEEvSF_.num_agpr, 0
	.set _ZN7rocprim17ROCPRIM_400000_NS6detail17trampoline_kernelINS0_14default_configENS1_38merge_sort_block_merge_config_selectorIfNS0_10empty_typeEEEZZNS1_27merge_sort_block_merge_implIS3_PfPS5_jNS1_19radix_merge_compareILb0ELb0EfNS0_19identity_decomposerEEEEE10hipError_tT0_T1_T2_jT3_P12ihipStream_tbPNSt15iterator_traitsISE_E10value_typeEPNSK_ISF_E10value_typeEPSG_NS1_7vsmem_tEENKUlT_SE_SF_SG_E_clIS8_S8_S9_S9_EESD_ST_SE_SF_SG_EUlST_E1_NS1_11comp_targetILNS1_3genE10ELNS1_11target_archE1201ELNS1_3gpuE5ELNS1_3repE0EEENS1_36merge_oddeven_config_static_selectorELNS0_4arch9wavefront6targetE0EEEvSF_.numbered_sgpr, 0
	.set _ZN7rocprim17ROCPRIM_400000_NS6detail17trampoline_kernelINS0_14default_configENS1_38merge_sort_block_merge_config_selectorIfNS0_10empty_typeEEEZZNS1_27merge_sort_block_merge_implIS3_PfPS5_jNS1_19radix_merge_compareILb0ELb0EfNS0_19identity_decomposerEEEEE10hipError_tT0_T1_T2_jT3_P12ihipStream_tbPNSt15iterator_traitsISE_E10value_typeEPNSK_ISF_E10value_typeEPSG_NS1_7vsmem_tEENKUlT_SE_SF_SG_E_clIS8_S8_S9_S9_EESD_ST_SE_SF_SG_EUlST_E1_NS1_11comp_targetILNS1_3genE10ELNS1_11target_archE1201ELNS1_3gpuE5ELNS1_3repE0EEENS1_36merge_oddeven_config_static_selectorELNS0_4arch9wavefront6targetE0EEEvSF_.num_named_barrier, 0
	.set _ZN7rocprim17ROCPRIM_400000_NS6detail17trampoline_kernelINS0_14default_configENS1_38merge_sort_block_merge_config_selectorIfNS0_10empty_typeEEEZZNS1_27merge_sort_block_merge_implIS3_PfPS5_jNS1_19radix_merge_compareILb0ELb0EfNS0_19identity_decomposerEEEEE10hipError_tT0_T1_T2_jT3_P12ihipStream_tbPNSt15iterator_traitsISE_E10value_typeEPNSK_ISF_E10value_typeEPSG_NS1_7vsmem_tEENKUlT_SE_SF_SG_E_clIS8_S8_S9_S9_EESD_ST_SE_SF_SG_EUlST_E1_NS1_11comp_targetILNS1_3genE10ELNS1_11target_archE1201ELNS1_3gpuE5ELNS1_3repE0EEENS1_36merge_oddeven_config_static_selectorELNS0_4arch9wavefront6targetE0EEEvSF_.private_seg_size, 0
	.set _ZN7rocprim17ROCPRIM_400000_NS6detail17trampoline_kernelINS0_14default_configENS1_38merge_sort_block_merge_config_selectorIfNS0_10empty_typeEEEZZNS1_27merge_sort_block_merge_implIS3_PfPS5_jNS1_19radix_merge_compareILb0ELb0EfNS0_19identity_decomposerEEEEE10hipError_tT0_T1_T2_jT3_P12ihipStream_tbPNSt15iterator_traitsISE_E10value_typeEPNSK_ISF_E10value_typeEPSG_NS1_7vsmem_tEENKUlT_SE_SF_SG_E_clIS8_S8_S9_S9_EESD_ST_SE_SF_SG_EUlST_E1_NS1_11comp_targetILNS1_3genE10ELNS1_11target_archE1201ELNS1_3gpuE5ELNS1_3repE0EEENS1_36merge_oddeven_config_static_selectorELNS0_4arch9wavefront6targetE0EEEvSF_.uses_vcc, 0
	.set _ZN7rocprim17ROCPRIM_400000_NS6detail17trampoline_kernelINS0_14default_configENS1_38merge_sort_block_merge_config_selectorIfNS0_10empty_typeEEEZZNS1_27merge_sort_block_merge_implIS3_PfPS5_jNS1_19radix_merge_compareILb0ELb0EfNS0_19identity_decomposerEEEEE10hipError_tT0_T1_T2_jT3_P12ihipStream_tbPNSt15iterator_traitsISE_E10value_typeEPNSK_ISF_E10value_typeEPSG_NS1_7vsmem_tEENKUlT_SE_SF_SG_E_clIS8_S8_S9_S9_EESD_ST_SE_SF_SG_EUlST_E1_NS1_11comp_targetILNS1_3genE10ELNS1_11target_archE1201ELNS1_3gpuE5ELNS1_3repE0EEENS1_36merge_oddeven_config_static_selectorELNS0_4arch9wavefront6targetE0EEEvSF_.uses_flat_scratch, 0
	.set _ZN7rocprim17ROCPRIM_400000_NS6detail17trampoline_kernelINS0_14default_configENS1_38merge_sort_block_merge_config_selectorIfNS0_10empty_typeEEEZZNS1_27merge_sort_block_merge_implIS3_PfPS5_jNS1_19radix_merge_compareILb0ELb0EfNS0_19identity_decomposerEEEEE10hipError_tT0_T1_T2_jT3_P12ihipStream_tbPNSt15iterator_traitsISE_E10value_typeEPNSK_ISF_E10value_typeEPSG_NS1_7vsmem_tEENKUlT_SE_SF_SG_E_clIS8_S8_S9_S9_EESD_ST_SE_SF_SG_EUlST_E1_NS1_11comp_targetILNS1_3genE10ELNS1_11target_archE1201ELNS1_3gpuE5ELNS1_3repE0EEENS1_36merge_oddeven_config_static_selectorELNS0_4arch9wavefront6targetE0EEEvSF_.has_dyn_sized_stack, 0
	.set _ZN7rocprim17ROCPRIM_400000_NS6detail17trampoline_kernelINS0_14default_configENS1_38merge_sort_block_merge_config_selectorIfNS0_10empty_typeEEEZZNS1_27merge_sort_block_merge_implIS3_PfPS5_jNS1_19radix_merge_compareILb0ELb0EfNS0_19identity_decomposerEEEEE10hipError_tT0_T1_T2_jT3_P12ihipStream_tbPNSt15iterator_traitsISE_E10value_typeEPNSK_ISF_E10value_typeEPSG_NS1_7vsmem_tEENKUlT_SE_SF_SG_E_clIS8_S8_S9_S9_EESD_ST_SE_SF_SG_EUlST_E1_NS1_11comp_targetILNS1_3genE10ELNS1_11target_archE1201ELNS1_3gpuE5ELNS1_3repE0EEENS1_36merge_oddeven_config_static_selectorELNS0_4arch9wavefront6targetE0EEEvSF_.has_recursion, 0
	.set _ZN7rocprim17ROCPRIM_400000_NS6detail17trampoline_kernelINS0_14default_configENS1_38merge_sort_block_merge_config_selectorIfNS0_10empty_typeEEEZZNS1_27merge_sort_block_merge_implIS3_PfPS5_jNS1_19radix_merge_compareILb0ELb0EfNS0_19identity_decomposerEEEEE10hipError_tT0_T1_T2_jT3_P12ihipStream_tbPNSt15iterator_traitsISE_E10value_typeEPNSK_ISF_E10value_typeEPSG_NS1_7vsmem_tEENKUlT_SE_SF_SG_E_clIS8_S8_S9_S9_EESD_ST_SE_SF_SG_EUlST_E1_NS1_11comp_targetILNS1_3genE10ELNS1_11target_archE1201ELNS1_3gpuE5ELNS1_3repE0EEENS1_36merge_oddeven_config_static_selectorELNS0_4arch9wavefront6targetE0EEEvSF_.has_indirect_call, 0
	.section	.AMDGPU.csdata,"",@progbits
; Kernel info:
; codeLenInByte = 0
; TotalNumSgprs: 0
; NumVgprs: 0
; ScratchSize: 0
; MemoryBound: 0
; FloatMode: 240
; IeeeMode: 1
; LDSByteSize: 0 bytes/workgroup (compile time only)
; SGPRBlocks: 0
; VGPRBlocks: 0
; NumSGPRsForWavesPerEU: 1
; NumVGPRsForWavesPerEU: 1
; NamedBarCnt: 0
; Occupancy: 16
; WaveLimiterHint : 0
; COMPUTE_PGM_RSRC2:SCRATCH_EN: 0
; COMPUTE_PGM_RSRC2:USER_SGPR: 2
; COMPUTE_PGM_RSRC2:TRAP_HANDLER: 0
; COMPUTE_PGM_RSRC2:TGID_X_EN: 1
; COMPUTE_PGM_RSRC2:TGID_Y_EN: 0
; COMPUTE_PGM_RSRC2:TGID_Z_EN: 0
; COMPUTE_PGM_RSRC2:TIDIG_COMP_CNT: 0
	.section	.text._ZN7rocprim17ROCPRIM_400000_NS6detail17trampoline_kernelINS0_14default_configENS1_38merge_sort_block_merge_config_selectorIfNS0_10empty_typeEEEZZNS1_27merge_sort_block_merge_implIS3_PfPS5_jNS1_19radix_merge_compareILb0ELb0EfNS0_19identity_decomposerEEEEE10hipError_tT0_T1_T2_jT3_P12ihipStream_tbPNSt15iterator_traitsISE_E10value_typeEPNSK_ISF_E10value_typeEPSG_NS1_7vsmem_tEENKUlT_SE_SF_SG_E_clIS8_S8_S9_S9_EESD_ST_SE_SF_SG_EUlST_E1_NS1_11comp_targetILNS1_3genE5ELNS1_11target_archE942ELNS1_3gpuE9ELNS1_3repE0EEENS1_36merge_oddeven_config_static_selectorELNS0_4arch9wavefront6targetE0EEEvSF_,"axG",@progbits,_ZN7rocprim17ROCPRIM_400000_NS6detail17trampoline_kernelINS0_14default_configENS1_38merge_sort_block_merge_config_selectorIfNS0_10empty_typeEEEZZNS1_27merge_sort_block_merge_implIS3_PfPS5_jNS1_19radix_merge_compareILb0ELb0EfNS0_19identity_decomposerEEEEE10hipError_tT0_T1_T2_jT3_P12ihipStream_tbPNSt15iterator_traitsISE_E10value_typeEPNSK_ISF_E10value_typeEPSG_NS1_7vsmem_tEENKUlT_SE_SF_SG_E_clIS8_S8_S9_S9_EESD_ST_SE_SF_SG_EUlST_E1_NS1_11comp_targetILNS1_3genE5ELNS1_11target_archE942ELNS1_3gpuE9ELNS1_3repE0EEENS1_36merge_oddeven_config_static_selectorELNS0_4arch9wavefront6targetE0EEEvSF_,comdat
	.protected	_ZN7rocprim17ROCPRIM_400000_NS6detail17trampoline_kernelINS0_14default_configENS1_38merge_sort_block_merge_config_selectorIfNS0_10empty_typeEEEZZNS1_27merge_sort_block_merge_implIS3_PfPS5_jNS1_19radix_merge_compareILb0ELb0EfNS0_19identity_decomposerEEEEE10hipError_tT0_T1_T2_jT3_P12ihipStream_tbPNSt15iterator_traitsISE_E10value_typeEPNSK_ISF_E10value_typeEPSG_NS1_7vsmem_tEENKUlT_SE_SF_SG_E_clIS8_S8_S9_S9_EESD_ST_SE_SF_SG_EUlST_E1_NS1_11comp_targetILNS1_3genE5ELNS1_11target_archE942ELNS1_3gpuE9ELNS1_3repE0EEENS1_36merge_oddeven_config_static_selectorELNS0_4arch9wavefront6targetE0EEEvSF_ ; -- Begin function _ZN7rocprim17ROCPRIM_400000_NS6detail17trampoline_kernelINS0_14default_configENS1_38merge_sort_block_merge_config_selectorIfNS0_10empty_typeEEEZZNS1_27merge_sort_block_merge_implIS3_PfPS5_jNS1_19radix_merge_compareILb0ELb0EfNS0_19identity_decomposerEEEEE10hipError_tT0_T1_T2_jT3_P12ihipStream_tbPNSt15iterator_traitsISE_E10value_typeEPNSK_ISF_E10value_typeEPSG_NS1_7vsmem_tEENKUlT_SE_SF_SG_E_clIS8_S8_S9_S9_EESD_ST_SE_SF_SG_EUlST_E1_NS1_11comp_targetILNS1_3genE5ELNS1_11target_archE942ELNS1_3gpuE9ELNS1_3repE0EEENS1_36merge_oddeven_config_static_selectorELNS0_4arch9wavefront6targetE0EEEvSF_
	.globl	_ZN7rocprim17ROCPRIM_400000_NS6detail17trampoline_kernelINS0_14default_configENS1_38merge_sort_block_merge_config_selectorIfNS0_10empty_typeEEEZZNS1_27merge_sort_block_merge_implIS3_PfPS5_jNS1_19radix_merge_compareILb0ELb0EfNS0_19identity_decomposerEEEEE10hipError_tT0_T1_T2_jT3_P12ihipStream_tbPNSt15iterator_traitsISE_E10value_typeEPNSK_ISF_E10value_typeEPSG_NS1_7vsmem_tEENKUlT_SE_SF_SG_E_clIS8_S8_S9_S9_EESD_ST_SE_SF_SG_EUlST_E1_NS1_11comp_targetILNS1_3genE5ELNS1_11target_archE942ELNS1_3gpuE9ELNS1_3repE0EEENS1_36merge_oddeven_config_static_selectorELNS0_4arch9wavefront6targetE0EEEvSF_
	.p2align	8
	.type	_ZN7rocprim17ROCPRIM_400000_NS6detail17trampoline_kernelINS0_14default_configENS1_38merge_sort_block_merge_config_selectorIfNS0_10empty_typeEEEZZNS1_27merge_sort_block_merge_implIS3_PfPS5_jNS1_19radix_merge_compareILb0ELb0EfNS0_19identity_decomposerEEEEE10hipError_tT0_T1_T2_jT3_P12ihipStream_tbPNSt15iterator_traitsISE_E10value_typeEPNSK_ISF_E10value_typeEPSG_NS1_7vsmem_tEENKUlT_SE_SF_SG_E_clIS8_S8_S9_S9_EESD_ST_SE_SF_SG_EUlST_E1_NS1_11comp_targetILNS1_3genE5ELNS1_11target_archE942ELNS1_3gpuE9ELNS1_3repE0EEENS1_36merge_oddeven_config_static_selectorELNS0_4arch9wavefront6targetE0EEEvSF_,@function
_ZN7rocprim17ROCPRIM_400000_NS6detail17trampoline_kernelINS0_14default_configENS1_38merge_sort_block_merge_config_selectorIfNS0_10empty_typeEEEZZNS1_27merge_sort_block_merge_implIS3_PfPS5_jNS1_19radix_merge_compareILb0ELb0EfNS0_19identity_decomposerEEEEE10hipError_tT0_T1_T2_jT3_P12ihipStream_tbPNSt15iterator_traitsISE_E10value_typeEPNSK_ISF_E10value_typeEPSG_NS1_7vsmem_tEENKUlT_SE_SF_SG_E_clIS8_S8_S9_S9_EESD_ST_SE_SF_SG_EUlST_E1_NS1_11comp_targetILNS1_3genE5ELNS1_11target_archE942ELNS1_3gpuE9ELNS1_3repE0EEENS1_36merge_oddeven_config_static_selectorELNS0_4arch9wavefront6targetE0EEEvSF_: ; @_ZN7rocprim17ROCPRIM_400000_NS6detail17trampoline_kernelINS0_14default_configENS1_38merge_sort_block_merge_config_selectorIfNS0_10empty_typeEEEZZNS1_27merge_sort_block_merge_implIS3_PfPS5_jNS1_19radix_merge_compareILb0ELb0EfNS0_19identity_decomposerEEEEE10hipError_tT0_T1_T2_jT3_P12ihipStream_tbPNSt15iterator_traitsISE_E10value_typeEPNSK_ISF_E10value_typeEPSG_NS1_7vsmem_tEENKUlT_SE_SF_SG_E_clIS8_S8_S9_S9_EESD_ST_SE_SF_SG_EUlST_E1_NS1_11comp_targetILNS1_3genE5ELNS1_11target_archE942ELNS1_3gpuE9ELNS1_3repE0EEENS1_36merge_oddeven_config_static_selectorELNS0_4arch9wavefront6targetE0EEEvSF_
; %bb.0:
	.section	.rodata,"a",@progbits
	.p2align	6, 0x0
	.amdhsa_kernel _ZN7rocprim17ROCPRIM_400000_NS6detail17trampoline_kernelINS0_14default_configENS1_38merge_sort_block_merge_config_selectorIfNS0_10empty_typeEEEZZNS1_27merge_sort_block_merge_implIS3_PfPS5_jNS1_19radix_merge_compareILb0ELb0EfNS0_19identity_decomposerEEEEE10hipError_tT0_T1_T2_jT3_P12ihipStream_tbPNSt15iterator_traitsISE_E10value_typeEPNSK_ISF_E10value_typeEPSG_NS1_7vsmem_tEENKUlT_SE_SF_SG_E_clIS8_S8_S9_S9_EESD_ST_SE_SF_SG_EUlST_E1_NS1_11comp_targetILNS1_3genE5ELNS1_11target_archE942ELNS1_3gpuE9ELNS1_3repE0EEENS1_36merge_oddeven_config_static_selectorELNS0_4arch9wavefront6targetE0EEEvSF_
		.amdhsa_group_segment_fixed_size 0
		.amdhsa_private_segment_fixed_size 0
		.amdhsa_kernarg_size 48
		.amdhsa_user_sgpr_count 2
		.amdhsa_user_sgpr_dispatch_ptr 0
		.amdhsa_user_sgpr_queue_ptr 0
		.amdhsa_user_sgpr_kernarg_segment_ptr 1
		.amdhsa_user_sgpr_dispatch_id 0
		.amdhsa_user_sgpr_kernarg_preload_length 0
		.amdhsa_user_sgpr_kernarg_preload_offset 0
		.amdhsa_user_sgpr_private_segment_size 0
		.amdhsa_wavefront_size32 1
		.amdhsa_uses_dynamic_stack 0
		.amdhsa_enable_private_segment 0
		.amdhsa_system_sgpr_workgroup_id_x 1
		.amdhsa_system_sgpr_workgroup_id_y 0
		.amdhsa_system_sgpr_workgroup_id_z 0
		.amdhsa_system_sgpr_workgroup_info 0
		.amdhsa_system_vgpr_workitem_id 0
		.amdhsa_next_free_vgpr 1
		.amdhsa_next_free_sgpr 1
		.amdhsa_named_barrier_count 0
		.amdhsa_reserve_vcc 0
		.amdhsa_float_round_mode_32 0
		.amdhsa_float_round_mode_16_64 0
		.amdhsa_float_denorm_mode_32 3
		.amdhsa_float_denorm_mode_16_64 3
		.amdhsa_fp16_overflow 0
		.amdhsa_memory_ordered 1
		.amdhsa_forward_progress 1
		.amdhsa_inst_pref_size 0
		.amdhsa_round_robin_scheduling 0
		.amdhsa_exception_fp_ieee_invalid_op 0
		.amdhsa_exception_fp_denorm_src 0
		.amdhsa_exception_fp_ieee_div_zero 0
		.amdhsa_exception_fp_ieee_overflow 0
		.amdhsa_exception_fp_ieee_underflow 0
		.amdhsa_exception_fp_ieee_inexact 0
		.amdhsa_exception_int_div_zero 0
	.end_amdhsa_kernel
	.section	.text._ZN7rocprim17ROCPRIM_400000_NS6detail17trampoline_kernelINS0_14default_configENS1_38merge_sort_block_merge_config_selectorIfNS0_10empty_typeEEEZZNS1_27merge_sort_block_merge_implIS3_PfPS5_jNS1_19radix_merge_compareILb0ELb0EfNS0_19identity_decomposerEEEEE10hipError_tT0_T1_T2_jT3_P12ihipStream_tbPNSt15iterator_traitsISE_E10value_typeEPNSK_ISF_E10value_typeEPSG_NS1_7vsmem_tEENKUlT_SE_SF_SG_E_clIS8_S8_S9_S9_EESD_ST_SE_SF_SG_EUlST_E1_NS1_11comp_targetILNS1_3genE5ELNS1_11target_archE942ELNS1_3gpuE9ELNS1_3repE0EEENS1_36merge_oddeven_config_static_selectorELNS0_4arch9wavefront6targetE0EEEvSF_,"axG",@progbits,_ZN7rocprim17ROCPRIM_400000_NS6detail17trampoline_kernelINS0_14default_configENS1_38merge_sort_block_merge_config_selectorIfNS0_10empty_typeEEEZZNS1_27merge_sort_block_merge_implIS3_PfPS5_jNS1_19radix_merge_compareILb0ELb0EfNS0_19identity_decomposerEEEEE10hipError_tT0_T1_T2_jT3_P12ihipStream_tbPNSt15iterator_traitsISE_E10value_typeEPNSK_ISF_E10value_typeEPSG_NS1_7vsmem_tEENKUlT_SE_SF_SG_E_clIS8_S8_S9_S9_EESD_ST_SE_SF_SG_EUlST_E1_NS1_11comp_targetILNS1_3genE5ELNS1_11target_archE942ELNS1_3gpuE9ELNS1_3repE0EEENS1_36merge_oddeven_config_static_selectorELNS0_4arch9wavefront6targetE0EEEvSF_,comdat
.Lfunc_end1382:
	.size	_ZN7rocprim17ROCPRIM_400000_NS6detail17trampoline_kernelINS0_14default_configENS1_38merge_sort_block_merge_config_selectorIfNS0_10empty_typeEEEZZNS1_27merge_sort_block_merge_implIS3_PfPS5_jNS1_19radix_merge_compareILb0ELb0EfNS0_19identity_decomposerEEEEE10hipError_tT0_T1_T2_jT3_P12ihipStream_tbPNSt15iterator_traitsISE_E10value_typeEPNSK_ISF_E10value_typeEPSG_NS1_7vsmem_tEENKUlT_SE_SF_SG_E_clIS8_S8_S9_S9_EESD_ST_SE_SF_SG_EUlST_E1_NS1_11comp_targetILNS1_3genE5ELNS1_11target_archE942ELNS1_3gpuE9ELNS1_3repE0EEENS1_36merge_oddeven_config_static_selectorELNS0_4arch9wavefront6targetE0EEEvSF_, .Lfunc_end1382-_ZN7rocprim17ROCPRIM_400000_NS6detail17trampoline_kernelINS0_14default_configENS1_38merge_sort_block_merge_config_selectorIfNS0_10empty_typeEEEZZNS1_27merge_sort_block_merge_implIS3_PfPS5_jNS1_19radix_merge_compareILb0ELb0EfNS0_19identity_decomposerEEEEE10hipError_tT0_T1_T2_jT3_P12ihipStream_tbPNSt15iterator_traitsISE_E10value_typeEPNSK_ISF_E10value_typeEPSG_NS1_7vsmem_tEENKUlT_SE_SF_SG_E_clIS8_S8_S9_S9_EESD_ST_SE_SF_SG_EUlST_E1_NS1_11comp_targetILNS1_3genE5ELNS1_11target_archE942ELNS1_3gpuE9ELNS1_3repE0EEENS1_36merge_oddeven_config_static_selectorELNS0_4arch9wavefront6targetE0EEEvSF_
                                        ; -- End function
	.set _ZN7rocprim17ROCPRIM_400000_NS6detail17trampoline_kernelINS0_14default_configENS1_38merge_sort_block_merge_config_selectorIfNS0_10empty_typeEEEZZNS1_27merge_sort_block_merge_implIS3_PfPS5_jNS1_19radix_merge_compareILb0ELb0EfNS0_19identity_decomposerEEEEE10hipError_tT0_T1_T2_jT3_P12ihipStream_tbPNSt15iterator_traitsISE_E10value_typeEPNSK_ISF_E10value_typeEPSG_NS1_7vsmem_tEENKUlT_SE_SF_SG_E_clIS8_S8_S9_S9_EESD_ST_SE_SF_SG_EUlST_E1_NS1_11comp_targetILNS1_3genE5ELNS1_11target_archE942ELNS1_3gpuE9ELNS1_3repE0EEENS1_36merge_oddeven_config_static_selectorELNS0_4arch9wavefront6targetE0EEEvSF_.num_vgpr, 0
	.set _ZN7rocprim17ROCPRIM_400000_NS6detail17trampoline_kernelINS0_14default_configENS1_38merge_sort_block_merge_config_selectorIfNS0_10empty_typeEEEZZNS1_27merge_sort_block_merge_implIS3_PfPS5_jNS1_19radix_merge_compareILb0ELb0EfNS0_19identity_decomposerEEEEE10hipError_tT0_T1_T2_jT3_P12ihipStream_tbPNSt15iterator_traitsISE_E10value_typeEPNSK_ISF_E10value_typeEPSG_NS1_7vsmem_tEENKUlT_SE_SF_SG_E_clIS8_S8_S9_S9_EESD_ST_SE_SF_SG_EUlST_E1_NS1_11comp_targetILNS1_3genE5ELNS1_11target_archE942ELNS1_3gpuE9ELNS1_3repE0EEENS1_36merge_oddeven_config_static_selectorELNS0_4arch9wavefront6targetE0EEEvSF_.num_agpr, 0
	.set _ZN7rocprim17ROCPRIM_400000_NS6detail17trampoline_kernelINS0_14default_configENS1_38merge_sort_block_merge_config_selectorIfNS0_10empty_typeEEEZZNS1_27merge_sort_block_merge_implIS3_PfPS5_jNS1_19radix_merge_compareILb0ELb0EfNS0_19identity_decomposerEEEEE10hipError_tT0_T1_T2_jT3_P12ihipStream_tbPNSt15iterator_traitsISE_E10value_typeEPNSK_ISF_E10value_typeEPSG_NS1_7vsmem_tEENKUlT_SE_SF_SG_E_clIS8_S8_S9_S9_EESD_ST_SE_SF_SG_EUlST_E1_NS1_11comp_targetILNS1_3genE5ELNS1_11target_archE942ELNS1_3gpuE9ELNS1_3repE0EEENS1_36merge_oddeven_config_static_selectorELNS0_4arch9wavefront6targetE0EEEvSF_.numbered_sgpr, 0
	.set _ZN7rocprim17ROCPRIM_400000_NS6detail17trampoline_kernelINS0_14default_configENS1_38merge_sort_block_merge_config_selectorIfNS0_10empty_typeEEEZZNS1_27merge_sort_block_merge_implIS3_PfPS5_jNS1_19radix_merge_compareILb0ELb0EfNS0_19identity_decomposerEEEEE10hipError_tT0_T1_T2_jT3_P12ihipStream_tbPNSt15iterator_traitsISE_E10value_typeEPNSK_ISF_E10value_typeEPSG_NS1_7vsmem_tEENKUlT_SE_SF_SG_E_clIS8_S8_S9_S9_EESD_ST_SE_SF_SG_EUlST_E1_NS1_11comp_targetILNS1_3genE5ELNS1_11target_archE942ELNS1_3gpuE9ELNS1_3repE0EEENS1_36merge_oddeven_config_static_selectorELNS0_4arch9wavefront6targetE0EEEvSF_.num_named_barrier, 0
	.set _ZN7rocprim17ROCPRIM_400000_NS6detail17trampoline_kernelINS0_14default_configENS1_38merge_sort_block_merge_config_selectorIfNS0_10empty_typeEEEZZNS1_27merge_sort_block_merge_implIS3_PfPS5_jNS1_19radix_merge_compareILb0ELb0EfNS0_19identity_decomposerEEEEE10hipError_tT0_T1_T2_jT3_P12ihipStream_tbPNSt15iterator_traitsISE_E10value_typeEPNSK_ISF_E10value_typeEPSG_NS1_7vsmem_tEENKUlT_SE_SF_SG_E_clIS8_S8_S9_S9_EESD_ST_SE_SF_SG_EUlST_E1_NS1_11comp_targetILNS1_3genE5ELNS1_11target_archE942ELNS1_3gpuE9ELNS1_3repE0EEENS1_36merge_oddeven_config_static_selectorELNS0_4arch9wavefront6targetE0EEEvSF_.private_seg_size, 0
	.set _ZN7rocprim17ROCPRIM_400000_NS6detail17trampoline_kernelINS0_14default_configENS1_38merge_sort_block_merge_config_selectorIfNS0_10empty_typeEEEZZNS1_27merge_sort_block_merge_implIS3_PfPS5_jNS1_19radix_merge_compareILb0ELb0EfNS0_19identity_decomposerEEEEE10hipError_tT0_T1_T2_jT3_P12ihipStream_tbPNSt15iterator_traitsISE_E10value_typeEPNSK_ISF_E10value_typeEPSG_NS1_7vsmem_tEENKUlT_SE_SF_SG_E_clIS8_S8_S9_S9_EESD_ST_SE_SF_SG_EUlST_E1_NS1_11comp_targetILNS1_3genE5ELNS1_11target_archE942ELNS1_3gpuE9ELNS1_3repE0EEENS1_36merge_oddeven_config_static_selectorELNS0_4arch9wavefront6targetE0EEEvSF_.uses_vcc, 0
	.set _ZN7rocprim17ROCPRIM_400000_NS6detail17trampoline_kernelINS0_14default_configENS1_38merge_sort_block_merge_config_selectorIfNS0_10empty_typeEEEZZNS1_27merge_sort_block_merge_implIS3_PfPS5_jNS1_19radix_merge_compareILb0ELb0EfNS0_19identity_decomposerEEEEE10hipError_tT0_T1_T2_jT3_P12ihipStream_tbPNSt15iterator_traitsISE_E10value_typeEPNSK_ISF_E10value_typeEPSG_NS1_7vsmem_tEENKUlT_SE_SF_SG_E_clIS8_S8_S9_S9_EESD_ST_SE_SF_SG_EUlST_E1_NS1_11comp_targetILNS1_3genE5ELNS1_11target_archE942ELNS1_3gpuE9ELNS1_3repE0EEENS1_36merge_oddeven_config_static_selectorELNS0_4arch9wavefront6targetE0EEEvSF_.uses_flat_scratch, 0
	.set _ZN7rocprim17ROCPRIM_400000_NS6detail17trampoline_kernelINS0_14default_configENS1_38merge_sort_block_merge_config_selectorIfNS0_10empty_typeEEEZZNS1_27merge_sort_block_merge_implIS3_PfPS5_jNS1_19radix_merge_compareILb0ELb0EfNS0_19identity_decomposerEEEEE10hipError_tT0_T1_T2_jT3_P12ihipStream_tbPNSt15iterator_traitsISE_E10value_typeEPNSK_ISF_E10value_typeEPSG_NS1_7vsmem_tEENKUlT_SE_SF_SG_E_clIS8_S8_S9_S9_EESD_ST_SE_SF_SG_EUlST_E1_NS1_11comp_targetILNS1_3genE5ELNS1_11target_archE942ELNS1_3gpuE9ELNS1_3repE0EEENS1_36merge_oddeven_config_static_selectorELNS0_4arch9wavefront6targetE0EEEvSF_.has_dyn_sized_stack, 0
	.set _ZN7rocprim17ROCPRIM_400000_NS6detail17trampoline_kernelINS0_14default_configENS1_38merge_sort_block_merge_config_selectorIfNS0_10empty_typeEEEZZNS1_27merge_sort_block_merge_implIS3_PfPS5_jNS1_19radix_merge_compareILb0ELb0EfNS0_19identity_decomposerEEEEE10hipError_tT0_T1_T2_jT3_P12ihipStream_tbPNSt15iterator_traitsISE_E10value_typeEPNSK_ISF_E10value_typeEPSG_NS1_7vsmem_tEENKUlT_SE_SF_SG_E_clIS8_S8_S9_S9_EESD_ST_SE_SF_SG_EUlST_E1_NS1_11comp_targetILNS1_3genE5ELNS1_11target_archE942ELNS1_3gpuE9ELNS1_3repE0EEENS1_36merge_oddeven_config_static_selectorELNS0_4arch9wavefront6targetE0EEEvSF_.has_recursion, 0
	.set _ZN7rocprim17ROCPRIM_400000_NS6detail17trampoline_kernelINS0_14default_configENS1_38merge_sort_block_merge_config_selectorIfNS0_10empty_typeEEEZZNS1_27merge_sort_block_merge_implIS3_PfPS5_jNS1_19radix_merge_compareILb0ELb0EfNS0_19identity_decomposerEEEEE10hipError_tT0_T1_T2_jT3_P12ihipStream_tbPNSt15iterator_traitsISE_E10value_typeEPNSK_ISF_E10value_typeEPSG_NS1_7vsmem_tEENKUlT_SE_SF_SG_E_clIS8_S8_S9_S9_EESD_ST_SE_SF_SG_EUlST_E1_NS1_11comp_targetILNS1_3genE5ELNS1_11target_archE942ELNS1_3gpuE9ELNS1_3repE0EEENS1_36merge_oddeven_config_static_selectorELNS0_4arch9wavefront6targetE0EEEvSF_.has_indirect_call, 0
	.section	.AMDGPU.csdata,"",@progbits
; Kernel info:
; codeLenInByte = 0
; TotalNumSgprs: 0
; NumVgprs: 0
; ScratchSize: 0
; MemoryBound: 0
; FloatMode: 240
; IeeeMode: 1
; LDSByteSize: 0 bytes/workgroup (compile time only)
; SGPRBlocks: 0
; VGPRBlocks: 0
; NumSGPRsForWavesPerEU: 1
; NumVGPRsForWavesPerEU: 1
; NamedBarCnt: 0
; Occupancy: 16
; WaveLimiterHint : 0
; COMPUTE_PGM_RSRC2:SCRATCH_EN: 0
; COMPUTE_PGM_RSRC2:USER_SGPR: 2
; COMPUTE_PGM_RSRC2:TRAP_HANDLER: 0
; COMPUTE_PGM_RSRC2:TGID_X_EN: 1
; COMPUTE_PGM_RSRC2:TGID_Y_EN: 0
; COMPUTE_PGM_RSRC2:TGID_Z_EN: 0
; COMPUTE_PGM_RSRC2:TIDIG_COMP_CNT: 0
	.section	.text._ZN7rocprim17ROCPRIM_400000_NS6detail17trampoline_kernelINS0_14default_configENS1_38merge_sort_block_merge_config_selectorIfNS0_10empty_typeEEEZZNS1_27merge_sort_block_merge_implIS3_PfPS5_jNS1_19radix_merge_compareILb0ELb0EfNS0_19identity_decomposerEEEEE10hipError_tT0_T1_T2_jT3_P12ihipStream_tbPNSt15iterator_traitsISE_E10value_typeEPNSK_ISF_E10value_typeEPSG_NS1_7vsmem_tEENKUlT_SE_SF_SG_E_clIS8_S8_S9_S9_EESD_ST_SE_SF_SG_EUlST_E1_NS1_11comp_targetILNS1_3genE4ELNS1_11target_archE910ELNS1_3gpuE8ELNS1_3repE0EEENS1_36merge_oddeven_config_static_selectorELNS0_4arch9wavefront6targetE0EEEvSF_,"axG",@progbits,_ZN7rocprim17ROCPRIM_400000_NS6detail17trampoline_kernelINS0_14default_configENS1_38merge_sort_block_merge_config_selectorIfNS0_10empty_typeEEEZZNS1_27merge_sort_block_merge_implIS3_PfPS5_jNS1_19radix_merge_compareILb0ELb0EfNS0_19identity_decomposerEEEEE10hipError_tT0_T1_T2_jT3_P12ihipStream_tbPNSt15iterator_traitsISE_E10value_typeEPNSK_ISF_E10value_typeEPSG_NS1_7vsmem_tEENKUlT_SE_SF_SG_E_clIS8_S8_S9_S9_EESD_ST_SE_SF_SG_EUlST_E1_NS1_11comp_targetILNS1_3genE4ELNS1_11target_archE910ELNS1_3gpuE8ELNS1_3repE0EEENS1_36merge_oddeven_config_static_selectorELNS0_4arch9wavefront6targetE0EEEvSF_,comdat
	.protected	_ZN7rocprim17ROCPRIM_400000_NS6detail17trampoline_kernelINS0_14default_configENS1_38merge_sort_block_merge_config_selectorIfNS0_10empty_typeEEEZZNS1_27merge_sort_block_merge_implIS3_PfPS5_jNS1_19radix_merge_compareILb0ELb0EfNS0_19identity_decomposerEEEEE10hipError_tT0_T1_T2_jT3_P12ihipStream_tbPNSt15iterator_traitsISE_E10value_typeEPNSK_ISF_E10value_typeEPSG_NS1_7vsmem_tEENKUlT_SE_SF_SG_E_clIS8_S8_S9_S9_EESD_ST_SE_SF_SG_EUlST_E1_NS1_11comp_targetILNS1_3genE4ELNS1_11target_archE910ELNS1_3gpuE8ELNS1_3repE0EEENS1_36merge_oddeven_config_static_selectorELNS0_4arch9wavefront6targetE0EEEvSF_ ; -- Begin function _ZN7rocprim17ROCPRIM_400000_NS6detail17trampoline_kernelINS0_14default_configENS1_38merge_sort_block_merge_config_selectorIfNS0_10empty_typeEEEZZNS1_27merge_sort_block_merge_implIS3_PfPS5_jNS1_19radix_merge_compareILb0ELb0EfNS0_19identity_decomposerEEEEE10hipError_tT0_T1_T2_jT3_P12ihipStream_tbPNSt15iterator_traitsISE_E10value_typeEPNSK_ISF_E10value_typeEPSG_NS1_7vsmem_tEENKUlT_SE_SF_SG_E_clIS8_S8_S9_S9_EESD_ST_SE_SF_SG_EUlST_E1_NS1_11comp_targetILNS1_3genE4ELNS1_11target_archE910ELNS1_3gpuE8ELNS1_3repE0EEENS1_36merge_oddeven_config_static_selectorELNS0_4arch9wavefront6targetE0EEEvSF_
	.globl	_ZN7rocprim17ROCPRIM_400000_NS6detail17trampoline_kernelINS0_14default_configENS1_38merge_sort_block_merge_config_selectorIfNS0_10empty_typeEEEZZNS1_27merge_sort_block_merge_implIS3_PfPS5_jNS1_19radix_merge_compareILb0ELb0EfNS0_19identity_decomposerEEEEE10hipError_tT0_T1_T2_jT3_P12ihipStream_tbPNSt15iterator_traitsISE_E10value_typeEPNSK_ISF_E10value_typeEPSG_NS1_7vsmem_tEENKUlT_SE_SF_SG_E_clIS8_S8_S9_S9_EESD_ST_SE_SF_SG_EUlST_E1_NS1_11comp_targetILNS1_3genE4ELNS1_11target_archE910ELNS1_3gpuE8ELNS1_3repE0EEENS1_36merge_oddeven_config_static_selectorELNS0_4arch9wavefront6targetE0EEEvSF_
	.p2align	8
	.type	_ZN7rocprim17ROCPRIM_400000_NS6detail17trampoline_kernelINS0_14default_configENS1_38merge_sort_block_merge_config_selectorIfNS0_10empty_typeEEEZZNS1_27merge_sort_block_merge_implIS3_PfPS5_jNS1_19radix_merge_compareILb0ELb0EfNS0_19identity_decomposerEEEEE10hipError_tT0_T1_T2_jT3_P12ihipStream_tbPNSt15iterator_traitsISE_E10value_typeEPNSK_ISF_E10value_typeEPSG_NS1_7vsmem_tEENKUlT_SE_SF_SG_E_clIS8_S8_S9_S9_EESD_ST_SE_SF_SG_EUlST_E1_NS1_11comp_targetILNS1_3genE4ELNS1_11target_archE910ELNS1_3gpuE8ELNS1_3repE0EEENS1_36merge_oddeven_config_static_selectorELNS0_4arch9wavefront6targetE0EEEvSF_,@function
_ZN7rocprim17ROCPRIM_400000_NS6detail17trampoline_kernelINS0_14default_configENS1_38merge_sort_block_merge_config_selectorIfNS0_10empty_typeEEEZZNS1_27merge_sort_block_merge_implIS3_PfPS5_jNS1_19radix_merge_compareILb0ELb0EfNS0_19identity_decomposerEEEEE10hipError_tT0_T1_T2_jT3_P12ihipStream_tbPNSt15iterator_traitsISE_E10value_typeEPNSK_ISF_E10value_typeEPSG_NS1_7vsmem_tEENKUlT_SE_SF_SG_E_clIS8_S8_S9_S9_EESD_ST_SE_SF_SG_EUlST_E1_NS1_11comp_targetILNS1_3genE4ELNS1_11target_archE910ELNS1_3gpuE8ELNS1_3repE0EEENS1_36merge_oddeven_config_static_selectorELNS0_4arch9wavefront6targetE0EEEvSF_: ; @_ZN7rocprim17ROCPRIM_400000_NS6detail17trampoline_kernelINS0_14default_configENS1_38merge_sort_block_merge_config_selectorIfNS0_10empty_typeEEEZZNS1_27merge_sort_block_merge_implIS3_PfPS5_jNS1_19radix_merge_compareILb0ELb0EfNS0_19identity_decomposerEEEEE10hipError_tT0_T1_T2_jT3_P12ihipStream_tbPNSt15iterator_traitsISE_E10value_typeEPNSK_ISF_E10value_typeEPSG_NS1_7vsmem_tEENKUlT_SE_SF_SG_E_clIS8_S8_S9_S9_EESD_ST_SE_SF_SG_EUlST_E1_NS1_11comp_targetILNS1_3genE4ELNS1_11target_archE910ELNS1_3gpuE8ELNS1_3repE0EEENS1_36merge_oddeven_config_static_selectorELNS0_4arch9wavefront6targetE0EEEvSF_
; %bb.0:
	.section	.rodata,"a",@progbits
	.p2align	6, 0x0
	.amdhsa_kernel _ZN7rocprim17ROCPRIM_400000_NS6detail17trampoline_kernelINS0_14default_configENS1_38merge_sort_block_merge_config_selectorIfNS0_10empty_typeEEEZZNS1_27merge_sort_block_merge_implIS3_PfPS5_jNS1_19radix_merge_compareILb0ELb0EfNS0_19identity_decomposerEEEEE10hipError_tT0_T1_T2_jT3_P12ihipStream_tbPNSt15iterator_traitsISE_E10value_typeEPNSK_ISF_E10value_typeEPSG_NS1_7vsmem_tEENKUlT_SE_SF_SG_E_clIS8_S8_S9_S9_EESD_ST_SE_SF_SG_EUlST_E1_NS1_11comp_targetILNS1_3genE4ELNS1_11target_archE910ELNS1_3gpuE8ELNS1_3repE0EEENS1_36merge_oddeven_config_static_selectorELNS0_4arch9wavefront6targetE0EEEvSF_
		.amdhsa_group_segment_fixed_size 0
		.amdhsa_private_segment_fixed_size 0
		.amdhsa_kernarg_size 48
		.amdhsa_user_sgpr_count 2
		.amdhsa_user_sgpr_dispatch_ptr 0
		.amdhsa_user_sgpr_queue_ptr 0
		.amdhsa_user_sgpr_kernarg_segment_ptr 1
		.amdhsa_user_sgpr_dispatch_id 0
		.amdhsa_user_sgpr_kernarg_preload_length 0
		.amdhsa_user_sgpr_kernarg_preload_offset 0
		.amdhsa_user_sgpr_private_segment_size 0
		.amdhsa_wavefront_size32 1
		.amdhsa_uses_dynamic_stack 0
		.amdhsa_enable_private_segment 0
		.amdhsa_system_sgpr_workgroup_id_x 1
		.amdhsa_system_sgpr_workgroup_id_y 0
		.amdhsa_system_sgpr_workgroup_id_z 0
		.amdhsa_system_sgpr_workgroup_info 0
		.amdhsa_system_vgpr_workitem_id 0
		.amdhsa_next_free_vgpr 1
		.amdhsa_next_free_sgpr 1
		.amdhsa_named_barrier_count 0
		.amdhsa_reserve_vcc 0
		.amdhsa_float_round_mode_32 0
		.amdhsa_float_round_mode_16_64 0
		.amdhsa_float_denorm_mode_32 3
		.amdhsa_float_denorm_mode_16_64 3
		.amdhsa_fp16_overflow 0
		.amdhsa_memory_ordered 1
		.amdhsa_forward_progress 1
		.amdhsa_inst_pref_size 0
		.amdhsa_round_robin_scheduling 0
		.amdhsa_exception_fp_ieee_invalid_op 0
		.amdhsa_exception_fp_denorm_src 0
		.amdhsa_exception_fp_ieee_div_zero 0
		.amdhsa_exception_fp_ieee_overflow 0
		.amdhsa_exception_fp_ieee_underflow 0
		.amdhsa_exception_fp_ieee_inexact 0
		.amdhsa_exception_int_div_zero 0
	.end_amdhsa_kernel
	.section	.text._ZN7rocprim17ROCPRIM_400000_NS6detail17trampoline_kernelINS0_14default_configENS1_38merge_sort_block_merge_config_selectorIfNS0_10empty_typeEEEZZNS1_27merge_sort_block_merge_implIS3_PfPS5_jNS1_19radix_merge_compareILb0ELb0EfNS0_19identity_decomposerEEEEE10hipError_tT0_T1_T2_jT3_P12ihipStream_tbPNSt15iterator_traitsISE_E10value_typeEPNSK_ISF_E10value_typeEPSG_NS1_7vsmem_tEENKUlT_SE_SF_SG_E_clIS8_S8_S9_S9_EESD_ST_SE_SF_SG_EUlST_E1_NS1_11comp_targetILNS1_3genE4ELNS1_11target_archE910ELNS1_3gpuE8ELNS1_3repE0EEENS1_36merge_oddeven_config_static_selectorELNS0_4arch9wavefront6targetE0EEEvSF_,"axG",@progbits,_ZN7rocprim17ROCPRIM_400000_NS6detail17trampoline_kernelINS0_14default_configENS1_38merge_sort_block_merge_config_selectorIfNS0_10empty_typeEEEZZNS1_27merge_sort_block_merge_implIS3_PfPS5_jNS1_19radix_merge_compareILb0ELb0EfNS0_19identity_decomposerEEEEE10hipError_tT0_T1_T2_jT3_P12ihipStream_tbPNSt15iterator_traitsISE_E10value_typeEPNSK_ISF_E10value_typeEPSG_NS1_7vsmem_tEENKUlT_SE_SF_SG_E_clIS8_S8_S9_S9_EESD_ST_SE_SF_SG_EUlST_E1_NS1_11comp_targetILNS1_3genE4ELNS1_11target_archE910ELNS1_3gpuE8ELNS1_3repE0EEENS1_36merge_oddeven_config_static_selectorELNS0_4arch9wavefront6targetE0EEEvSF_,comdat
.Lfunc_end1383:
	.size	_ZN7rocprim17ROCPRIM_400000_NS6detail17trampoline_kernelINS0_14default_configENS1_38merge_sort_block_merge_config_selectorIfNS0_10empty_typeEEEZZNS1_27merge_sort_block_merge_implIS3_PfPS5_jNS1_19radix_merge_compareILb0ELb0EfNS0_19identity_decomposerEEEEE10hipError_tT0_T1_T2_jT3_P12ihipStream_tbPNSt15iterator_traitsISE_E10value_typeEPNSK_ISF_E10value_typeEPSG_NS1_7vsmem_tEENKUlT_SE_SF_SG_E_clIS8_S8_S9_S9_EESD_ST_SE_SF_SG_EUlST_E1_NS1_11comp_targetILNS1_3genE4ELNS1_11target_archE910ELNS1_3gpuE8ELNS1_3repE0EEENS1_36merge_oddeven_config_static_selectorELNS0_4arch9wavefront6targetE0EEEvSF_, .Lfunc_end1383-_ZN7rocprim17ROCPRIM_400000_NS6detail17trampoline_kernelINS0_14default_configENS1_38merge_sort_block_merge_config_selectorIfNS0_10empty_typeEEEZZNS1_27merge_sort_block_merge_implIS3_PfPS5_jNS1_19radix_merge_compareILb0ELb0EfNS0_19identity_decomposerEEEEE10hipError_tT0_T1_T2_jT3_P12ihipStream_tbPNSt15iterator_traitsISE_E10value_typeEPNSK_ISF_E10value_typeEPSG_NS1_7vsmem_tEENKUlT_SE_SF_SG_E_clIS8_S8_S9_S9_EESD_ST_SE_SF_SG_EUlST_E1_NS1_11comp_targetILNS1_3genE4ELNS1_11target_archE910ELNS1_3gpuE8ELNS1_3repE0EEENS1_36merge_oddeven_config_static_selectorELNS0_4arch9wavefront6targetE0EEEvSF_
                                        ; -- End function
	.set _ZN7rocprim17ROCPRIM_400000_NS6detail17trampoline_kernelINS0_14default_configENS1_38merge_sort_block_merge_config_selectorIfNS0_10empty_typeEEEZZNS1_27merge_sort_block_merge_implIS3_PfPS5_jNS1_19radix_merge_compareILb0ELb0EfNS0_19identity_decomposerEEEEE10hipError_tT0_T1_T2_jT3_P12ihipStream_tbPNSt15iterator_traitsISE_E10value_typeEPNSK_ISF_E10value_typeEPSG_NS1_7vsmem_tEENKUlT_SE_SF_SG_E_clIS8_S8_S9_S9_EESD_ST_SE_SF_SG_EUlST_E1_NS1_11comp_targetILNS1_3genE4ELNS1_11target_archE910ELNS1_3gpuE8ELNS1_3repE0EEENS1_36merge_oddeven_config_static_selectorELNS0_4arch9wavefront6targetE0EEEvSF_.num_vgpr, 0
	.set _ZN7rocprim17ROCPRIM_400000_NS6detail17trampoline_kernelINS0_14default_configENS1_38merge_sort_block_merge_config_selectorIfNS0_10empty_typeEEEZZNS1_27merge_sort_block_merge_implIS3_PfPS5_jNS1_19radix_merge_compareILb0ELb0EfNS0_19identity_decomposerEEEEE10hipError_tT0_T1_T2_jT3_P12ihipStream_tbPNSt15iterator_traitsISE_E10value_typeEPNSK_ISF_E10value_typeEPSG_NS1_7vsmem_tEENKUlT_SE_SF_SG_E_clIS8_S8_S9_S9_EESD_ST_SE_SF_SG_EUlST_E1_NS1_11comp_targetILNS1_3genE4ELNS1_11target_archE910ELNS1_3gpuE8ELNS1_3repE0EEENS1_36merge_oddeven_config_static_selectorELNS0_4arch9wavefront6targetE0EEEvSF_.num_agpr, 0
	.set _ZN7rocprim17ROCPRIM_400000_NS6detail17trampoline_kernelINS0_14default_configENS1_38merge_sort_block_merge_config_selectorIfNS0_10empty_typeEEEZZNS1_27merge_sort_block_merge_implIS3_PfPS5_jNS1_19radix_merge_compareILb0ELb0EfNS0_19identity_decomposerEEEEE10hipError_tT0_T1_T2_jT3_P12ihipStream_tbPNSt15iterator_traitsISE_E10value_typeEPNSK_ISF_E10value_typeEPSG_NS1_7vsmem_tEENKUlT_SE_SF_SG_E_clIS8_S8_S9_S9_EESD_ST_SE_SF_SG_EUlST_E1_NS1_11comp_targetILNS1_3genE4ELNS1_11target_archE910ELNS1_3gpuE8ELNS1_3repE0EEENS1_36merge_oddeven_config_static_selectorELNS0_4arch9wavefront6targetE0EEEvSF_.numbered_sgpr, 0
	.set _ZN7rocprim17ROCPRIM_400000_NS6detail17trampoline_kernelINS0_14default_configENS1_38merge_sort_block_merge_config_selectorIfNS0_10empty_typeEEEZZNS1_27merge_sort_block_merge_implIS3_PfPS5_jNS1_19radix_merge_compareILb0ELb0EfNS0_19identity_decomposerEEEEE10hipError_tT0_T1_T2_jT3_P12ihipStream_tbPNSt15iterator_traitsISE_E10value_typeEPNSK_ISF_E10value_typeEPSG_NS1_7vsmem_tEENKUlT_SE_SF_SG_E_clIS8_S8_S9_S9_EESD_ST_SE_SF_SG_EUlST_E1_NS1_11comp_targetILNS1_3genE4ELNS1_11target_archE910ELNS1_3gpuE8ELNS1_3repE0EEENS1_36merge_oddeven_config_static_selectorELNS0_4arch9wavefront6targetE0EEEvSF_.num_named_barrier, 0
	.set _ZN7rocprim17ROCPRIM_400000_NS6detail17trampoline_kernelINS0_14default_configENS1_38merge_sort_block_merge_config_selectorIfNS0_10empty_typeEEEZZNS1_27merge_sort_block_merge_implIS3_PfPS5_jNS1_19radix_merge_compareILb0ELb0EfNS0_19identity_decomposerEEEEE10hipError_tT0_T1_T2_jT3_P12ihipStream_tbPNSt15iterator_traitsISE_E10value_typeEPNSK_ISF_E10value_typeEPSG_NS1_7vsmem_tEENKUlT_SE_SF_SG_E_clIS8_S8_S9_S9_EESD_ST_SE_SF_SG_EUlST_E1_NS1_11comp_targetILNS1_3genE4ELNS1_11target_archE910ELNS1_3gpuE8ELNS1_3repE0EEENS1_36merge_oddeven_config_static_selectorELNS0_4arch9wavefront6targetE0EEEvSF_.private_seg_size, 0
	.set _ZN7rocprim17ROCPRIM_400000_NS6detail17trampoline_kernelINS0_14default_configENS1_38merge_sort_block_merge_config_selectorIfNS0_10empty_typeEEEZZNS1_27merge_sort_block_merge_implIS3_PfPS5_jNS1_19radix_merge_compareILb0ELb0EfNS0_19identity_decomposerEEEEE10hipError_tT0_T1_T2_jT3_P12ihipStream_tbPNSt15iterator_traitsISE_E10value_typeEPNSK_ISF_E10value_typeEPSG_NS1_7vsmem_tEENKUlT_SE_SF_SG_E_clIS8_S8_S9_S9_EESD_ST_SE_SF_SG_EUlST_E1_NS1_11comp_targetILNS1_3genE4ELNS1_11target_archE910ELNS1_3gpuE8ELNS1_3repE0EEENS1_36merge_oddeven_config_static_selectorELNS0_4arch9wavefront6targetE0EEEvSF_.uses_vcc, 0
	.set _ZN7rocprim17ROCPRIM_400000_NS6detail17trampoline_kernelINS0_14default_configENS1_38merge_sort_block_merge_config_selectorIfNS0_10empty_typeEEEZZNS1_27merge_sort_block_merge_implIS3_PfPS5_jNS1_19radix_merge_compareILb0ELb0EfNS0_19identity_decomposerEEEEE10hipError_tT0_T1_T2_jT3_P12ihipStream_tbPNSt15iterator_traitsISE_E10value_typeEPNSK_ISF_E10value_typeEPSG_NS1_7vsmem_tEENKUlT_SE_SF_SG_E_clIS8_S8_S9_S9_EESD_ST_SE_SF_SG_EUlST_E1_NS1_11comp_targetILNS1_3genE4ELNS1_11target_archE910ELNS1_3gpuE8ELNS1_3repE0EEENS1_36merge_oddeven_config_static_selectorELNS0_4arch9wavefront6targetE0EEEvSF_.uses_flat_scratch, 0
	.set _ZN7rocprim17ROCPRIM_400000_NS6detail17trampoline_kernelINS0_14default_configENS1_38merge_sort_block_merge_config_selectorIfNS0_10empty_typeEEEZZNS1_27merge_sort_block_merge_implIS3_PfPS5_jNS1_19radix_merge_compareILb0ELb0EfNS0_19identity_decomposerEEEEE10hipError_tT0_T1_T2_jT3_P12ihipStream_tbPNSt15iterator_traitsISE_E10value_typeEPNSK_ISF_E10value_typeEPSG_NS1_7vsmem_tEENKUlT_SE_SF_SG_E_clIS8_S8_S9_S9_EESD_ST_SE_SF_SG_EUlST_E1_NS1_11comp_targetILNS1_3genE4ELNS1_11target_archE910ELNS1_3gpuE8ELNS1_3repE0EEENS1_36merge_oddeven_config_static_selectorELNS0_4arch9wavefront6targetE0EEEvSF_.has_dyn_sized_stack, 0
	.set _ZN7rocprim17ROCPRIM_400000_NS6detail17trampoline_kernelINS0_14default_configENS1_38merge_sort_block_merge_config_selectorIfNS0_10empty_typeEEEZZNS1_27merge_sort_block_merge_implIS3_PfPS5_jNS1_19radix_merge_compareILb0ELb0EfNS0_19identity_decomposerEEEEE10hipError_tT0_T1_T2_jT3_P12ihipStream_tbPNSt15iterator_traitsISE_E10value_typeEPNSK_ISF_E10value_typeEPSG_NS1_7vsmem_tEENKUlT_SE_SF_SG_E_clIS8_S8_S9_S9_EESD_ST_SE_SF_SG_EUlST_E1_NS1_11comp_targetILNS1_3genE4ELNS1_11target_archE910ELNS1_3gpuE8ELNS1_3repE0EEENS1_36merge_oddeven_config_static_selectorELNS0_4arch9wavefront6targetE0EEEvSF_.has_recursion, 0
	.set _ZN7rocprim17ROCPRIM_400000_NS6detail17trampoline_kernelINS0_14default_configENS1_38merge_sort_block_merge_config_selectorIfNS0_10empty_typeEEEZZNS1_27merge_sort_block_merge_implIS3_PfPS5_jNS1_19radix_merge_compareILb0ELb0EfNS0_19identity_decomposerEEEEE10hipError_tT0_T1_T2_jT3_P12ihipStream_tbPNSt15iterator_traitsISE_E10value_typeEPNSK_ISF_E10value_typeEPSG_NS1_7vsmem_tEENKUlT_SE_SF_SG_E_clIS8_S8_S9_S9_EESD_ST_SE_SF_SG_EUlST_E1_NS1_11comp_targetILNS1_3genE4ELNS1_11target_archE910ELNS1_3gpuE8ELNS1_3repE0EEENS1_36merge_oddeven_config_static_selectorELNS0_4arch9wavefront6targetE0EEEvSF_.has_indirect_call, 0
	.section	.AMDGPU.csdata,"",@progbits
; Kernel info:
; codeLenInByte = 0
; TotalNumSgprs: 0
; NumVgprs: 0
; ScratchSize: 0
; MemoryBound: 0
; FloatMode: 240
; IeeeMode: 1
; LDSByteSize: 0 bytes/workgroup (compile time only)
; SGPRBlocks: 0
; VGPRBlocks: 0
; NumSGPRsForWavesPerEU: 1
; NumVGPRsForWavesPerEU: 1
; NamedBarCnt: 0
; Occupancy: 16
; WaveLimiterHint : 0
; COMPUTE_PGM_RSRC2:SCRATCH_EN: 0
; COMPUTE_PGM_RSRC2:USER_SGPR: 2
; COMPUTE_PGM_RSRC2:TRAP_HANDLER: 0
; COMPUTE_PGM_RSRC2:TGID_X_EN: 1
; COMPUTE_PGM_RSRC2:TGID_Y_EN: 0
; COMPUTE_PGM_RSRC2:TGID_Z_EN: 0
; COMPUTE_PGM_RSRC2:TIDIG_COMP_CNT: 0
	.section	.text._ZN7rocprim17ROCPRIM_400000_NS6detail17trampoline_kernelINS0_14default_configENS1_38merge_sort_block_merge_config_selectorIfNS0_10empty_typeEEEZZNS1_27merge_sort_block_merge_implIS3_PfPS5_jNS1_19radix_merge_compareILb0ELb0EfNS0_19identity_decomposerEEEEE10hipError_tT0_T1_T2_jT3_P12ihipStream_tbPNSt15iterator_traitsISE_E10value_typeEPNSK_ISF_E10value_typeEPSG_NS1_7vsmem_tEENKUlT_SE_SF_SG_E_clIS8_S8_S9_S9_EESD_ST_SE_SF_SG_EUlST_E1_NS1_11comp_targetILNS1_3genE3ELNS1_11target_archE908ELNS1_3gpuE7ELNS1_3repE0EEENS1_36merge_oddeven_config_static_selectorELNS0_4arch9wavefront6targetE0EEEvSF_,"axG",@progbits,_ZN7rocprim17ROCPRIM_400000_NS6detail17trampoline_kernelINS0_14default_configENS1_38merge_sort_block_merge_config_selectorIfNS0_10empty_typeEEEZZNS1_27merge_sort_block_merge_implIS3_PfPS5_jNS1_19radix_merge_compareILb0ELb0EfNS0_19identity_decomposerEEEEE10hipError_tT0_T1_T2_jT3_P12ihipStream_tbPNSt15iterator_traitsISE_E10value_typeEPNSK_ISF_E10value_typeEPSG_NS1_7vsmem_tEENKUlT_SE_SF_SG_E_clIS8_S8_S9_S9_EESD_ST_SE_SF_SG_EUlST_E1_NS1_11comp_targetILNS1_3genE3ELNS1_11target_archE908ELNS1_3gpuE7ELNS1_3repE0EEENS1_36merge_oddeven_config_static_selectorELNS0_4arch9wavefront6targetE0EEEvSF_,comdat
	.protected	_ZN7rocprim17ROCPRIM_400000_NS6detail17trampoline_kernelINS0_14default_configENS1_38merge_sort_block_merge_config_selectorIfNS0_10empty_typeEEEZZNS1_27merge_sort_block_merge_implIS3_PfPS5_jNS1_19radix_merge_compareILb0ELb0EfNS0_19identity_decomposerEEEEE10hipError_tT0_T1_T2_jT3_P12ihipStream_tbPNSt15iterator_traitsISE_E10value_typeEPNSK_ISF_E10value_typeEPSG_NS1_7vsmem_tEENKUlT_SE_SF_SG_E_clIS8_S8_S9_S9_EESD_ST_SE_SF_SG_EUlST_E1_NS1_11comp_targetILNS1_3genE3ELNS1_11target_archE908ELNS1_3gpuE7ELNS1_3repE0EEENS1_36merge_oddeven_config_static_selectorELNS0_4arch9wavefront6targetE0EEEvSF_ ; -- Begin function _ZN7rocprim17ROCPRIM_400000_NS6detail17trampoline_kernelINS0_14default_configENS1_38merge_sort_block_merge_config_selectorIfNS0_10empty_typeEEEZZNS1_27merge_sort_block_merge_implIS3_PfPS5_jNS1_19radix_merge_compareILb0ELb0EfNS0_19identity_decomposerEEEEE10hipError_tT0_T1_T2_jT3_P12ihipStream_tbPNSt15iterator_traitsISE_E10value_typeEPNSK_ISF_E10value_typeEPSG_NS1_7vsmem_tEENKUlT_SE_SF_SG_E_clIS8_S8_S9_S9_EESD_ST_SE_SF_SG_EUlST_E1_NS1_11comp_targetILNS1_3genE3ELNS1_11target_archE908ELNS1_3gpuE7ELNS1_3repE0EEENS1_36merge_oddeven_config_static_selectorELNS0_4arch9wavefront6targetE0EEEvSF_
	.globl	_ZN7rocprim17ROCPRIM_400000_NS6detail17trampoline_kernelINS0_14default_configENS1_38merge_sort_block_merge_config_selectorIfNS0_10empty_typeEEEZZNS1_27merge_sort_block_merge_implIS3_PfPS5_jNS1_19radix_merge_compareILb0ELb0EfNS0_19identity_decomposerEEEEE10hipError_tT0_T1_T2_jT3_P12ihipStream_tbPNSt15iterator_traitsISE_E10value_typeEPNSK_ISF_E10value_typeEPSG_NS1_7vsmem_tEENKUlT_SE_SF_SG_E_clIS8_S8_S9_S9_EESD_ST_SE_SF_SG_EUlST_E1_NS1_11comp_targetILNS1_3genE3ELNS1_11target_archE908ELNS1_3gpuE7ELNS1_3repE0EEENS1_36merge_oddeven_config_static_selectorELNS0_4arch9wavefront6targetE0EEEvSF_
	.p2align	8
	.type	_ZN7rocprim17ROCPRIM_400000_NS6detail17trampoline_kernelINS0_14default_configENS1_38merge_sort_block_merge_config_selectorIfNS0_10empty_typeEEEZZNS1_27merge_sort_block_merge_implIS3_PfPS5_jNS1_19radix_merge_compareILb0ELb0EfNS0_19identity_decomposerEEEEE10hipError_tT0_T1_T2_jT3_P12ihipStream_tbPNSt15iterator_traitsISE_E10value_typeEPNSK_ISF_E10value_typeEPSG_NS1_7vsmem_tEENKUlT_SE_SF_SG_E_clIS8_S8_S9_S9_EESD_ST_SE_SF_SG_EUlST_E1_NS1_11comp_targetILNS1_3genE3ELNS1_11target_archE908ELNS1_3gpuE7ELNS1_3repE0EEENS1_36merge_oddeven_config_static_selectorELNS0_4arch9wavefront6targetE0EEEvSF_,@function
_ZN7rocprim17ROCPRIM_400000_NS6detail17trampoline_kernelINS0_14default_configENS1_38merge_sort_block_merge_config_selectorIfNS0_10empty_typeEEEZZNS1_27merge_sort_block_merge_implIS3_PfPS5_jNS1_19radix_merge_compareILb0ELb0EfNS0_19identity_decomposerEEEEE10hipError_tT0_T1_T2_jT3_P12ihipStream_tbPNSt15iterator_traitsISE_E10value_typeEPNSK_ISF_E10value_typeEPSG_NS1_7vsmem_tEENKUlT_SE_SF_SG_E_clIS8_S8_S9_S9_EESD_ST_SE_SF_SG_EUlST_E1_NS1_11comp_targetILNS1_3genE3ELNS1_11target_archE908ELNS1_3gpuE7ELNS1_3repE0EEENS1_36merge_oddeven_config_static_selectorELNS0_4arch9wavefront6targetE0EEEvSF_: ; @_ZN7rocprim17ROCPRIM_400000_NS6detail17trampoline_kernelINS0_14default_configENS1_38merge_sort_block_merge_config_selectorIfNS0_10empty_typeEEEZZNS1_27merge_sort_block_merge_implIS3_PfPS5_jNS1_19radix_merge_compareILb0ELb0EfNS0_19identity_decomposerEEEEE10hipError_tT0_T1_T2_jT3_P12ihipStream_tbPNSt15iterator_traitsISE_E10value_typeEPNSK_ISF_E10value_typeEPSG_NS1_7vsmem_tEENKUlT_SE_SF_SG_E_clIS8_S8_S9_S9_EESD_ST_SE_SF_SG_EUlST_E1_NS1_11comp_targetILNS1_3genE3ELNS1_11target_archE908ELNS1_3gpuE7ELNS1_3repE0EEENS1_36merge_oddeven_config_static_selectorELNS0_4arch9wavefront6targetE0EEEvSF_
; %bb.0:
	.section	.rodata,"a",@progbits
	.p2align	6, 0x0
	.amdhsa_kernel _ZN7rocprim17ROCPRIM_400000_NS6detail17trampoline_kernelINS0_14default_configENS1_38merge_sort_block_merge_config_selectorIfNS0_10empty_typeEEEZZNS1_27merge_sort_block_merge_implIS3_PfPS5_jNS1_19radix_merge_compareILb0ELb0EfNS0_19identity_decomposerEEEEE10hipError_tT0_T1_T2_jT3_P12ihipStream_tbPNSt15iterator_traitsISE_E10value_typeEPNSK_ISF_E10value_typeEPSG_NS1_7vsmem_tEENKUlT_SE_SF_SG_E_clIS8_S8_S9_S9_EESD_ST_SE_SF_SG_EUlST_E1_NS1_11comp_targetILNS1_3genE3ELNS1_11target_archE908ELNS1_3gpuE7ELNS1_3repE0EEENS1_36merge_oddeven_config_static_selectorELNS0_4arch9wavefront6targetE0EEEvSF_
		.amdhsa_group_segment_fixed_size 0
		.amdhsa_private_segment_fixed_size 0
		.amdhsa_kernarg_size 48
		.amdhsa_user_sgpr_count 2
		.amdhsa_user_sgpr_dispatch_ptr 0
		.amdhsa_user_sgpr_queue_ptr 0
		.amdhsa_user_sgpr_kernarg_segment_ptr 1
		.amdhsa_user_sgpr_dispatch_id 0
		.amdhsa_user_sgpr_kernarg_preload_length 0
		.amdhsa_user_sgpr_kernarg_preload_offset 0
		.amdhsa_user_sgpr_private_segment_size 0
		.amdhsa_wavefront_size32 1
		.amdhsa_uses_dynamic_stack 0
		.amdhsa_enable_private_segment 0
		.amdhsa_system_sgpr_workgroup_id_x 1
		.amdhsa_system_sgpr_workgroup_id_y 0
		.amdhsa_system_sgpr_workgroup_id_z 0
		.amdhsa_system_sgpr_workgroup_info 0
		.amdhsa_system_vgpr_workitem_id 0
		.amdhsa_next_free_vgpr 1
		.amdhsa_next_free_sgpr 1
		.amdhsa_named_barrier_count 0
		.amdhsa_reserve_vcc 0
		.amdhsa_float_round_mode_32 0
		.amdhsa_float_round_mode_16_64 0
		.amdhsa_float_denorm_mode_32 3
		.amdhsa_float_denorm_mode_16_64 3
		.amdhsa_fp16_overflow 0
		.amdhsa_memory_ordered 1
		.amdhsa_forward_progress 1
		.amdhsa_inst_pref_size 0
		.amdhsa_round_robin_scheduling 0
		.amdhsa_exception_fp_ieee_invalid_op 0
		.amdhsa_exception_fp_denorm_src 0
		.amdhsa_exception_fp_ieee_div_zero 0
		.amdhsa_exception_fp_ieee_overflow 0
		.amdhsa_exception_fp_ieee_underflow 0
		.amdhsa_exception_fp_ieee_inexact 0
		.amdhsa_exception_int_div_zero 0
	.end_amdhsa_kernel
	.section	.text._ZN7rocprim17ROCPRIM_400000_NS6detail17trampoline_kernelINS0_14default_configENS1_38merge_sort_block_merge_config_selectorIfNS0_10empty_typeEEEZZNS1_27merge_sort_block_merge_implIS3_PfPS5_jNS1_19radix_merge_compareILb0ELb0EfNS0_19identity_decomposerEEEEE10hipError_tT0_T1_T2_jT3_P12ihipStream_tbPNSt15iterator_traitsISE_E10value_typeEPNSK_ISF_E10value_typeEPSG_NS1_7vsmem_tEENKUlT_SE_SF_SG_E_clIS8_S8_S9_S9_EESD_ST_SE_SF_SG_EUlST_E1_NS1_11comp_targetILNS1_3genE3ELNS1_11target_archE908ELNS1_3gpuE7ELNS1_3repE0EEENS1_36merge_oddeven_config_static_selectorELNS0_4arch9wavefront6targetE0EEEvSF_,"axG",@progbits,_ZN7rocprim17ROCPRIM_400000_NS6detail17trampoline_kernelINS0_14default_configENS1_38merge_sort_block_merge_config_selectorIfNS0_10empty_typeEEEZZNS1_27merge_sort_block_merge_implIS3_PfPS5_jNS1_19radix_merge_compareILb0ELb0EfNS0_19identity_decomposerEEEEE10hipError_tT0_T1_T2_jT3_P12ihipStream_tbPNSt15iterator_traitsISE_E10value_typeEPNSK_ISF_E10value_typeEPSG_NS1_7vsmem_tEENKUlT_SE_SF_SG_E_clIS8_S8_S9_S9_EESD_ST_SE_SF_SG_EUlST_E1_NS1_11comp_targetILNS1_3genE3ELNS1_11target_archE908ELNS1_3gpuE7ELNS1_3repE0EEENS1_36merge_oddeven_config_static_selectorELNS0_4arch9wavefront6targetE0EEEvSF_,comdat
.Lfunc_end1384:
	.size	_ZN7rocprim17ROCPRIM_400000_NS6detail17trampoline_kernelINS0_14default_configENS1_38merge_sort_block_merge_config_selectorIfNS0_10empty_typeEEEZZNS1_27merge_sort_block_merge_implIS3_PfPS5_jNS1_19radix_merge_compareILb0ELb0EfNS0_19identity_decomposerEEEEE10hipError_tT0_T1_T2_jT3_P12ihipStream_tbPNSt15iterator_traitsISE_E10value_typeEPNSK_ISF_E10value_typeEPSG_NS1_7vsmem_tEENKUlT_SE_SF_SG_E_clIS8_S8_S9_S9_EESD_ST_SE_SF_SG_EUlST_E1_NS1_11comp_targetILNS1_3genE3ELNS1_11target_archE908ELNS1_3gpuE7ELNS1_3repE0EEENS1_36merge_oddeven_config_static_selectorELNS0_4arch9wavefront6targetE0EEEvSF_, .Lfunc_end1384-_ZN7rocprim17ROCPRIM_400000_NS6detail17trampoline_kernelINS0_14default_configENS1_38merge_sort_block_merge_config_selectorIfNS0_10empty_typeEEEZZNS1_27merge_sort_block_merge_implIS3_PfPS5_jNS1_19radix_merge_compareILb0ELb0EfNS0_19identity_decomposerEEEEE10hipError_tT0_T1_T2_jT3_P12ihipStream_tbPNSt15iterator_traitsISE_E10value_typeEPNSK_ISF_E10value_typeEPSG_NS1_7vsmem_tEENKUlT_SE_SF_SG_E_clIS8_S8_S9_S9_EESD_ST_SE_SF_SG_EUlST_E1_NS1_11comp_targetILNS1_3genE3ELNS1_11target_archE908ELNS1_3gpuE7ELNS1_3repE0EEENS1_36merge_oddeven_config_static_selectorELNS0_4arch9wavefront6targetE0EEEvSF_
                                        ; -- End function
	.set _ZN7rocprim17ROCPRIM_400000_NS6detail17trampoline_kernelINS0_14default_configENS1_38merge_sort_block_merge_config_selectorIfNS0_10empty_typeEEEZZNS1_27merge_sort_block_merge_implIS3_PfPS5_jNS1_19radix_merge_compareILb0ELb0EfNS0_19identity_decomposerEEEEE10hipError_tT0_T1_T2_jT3_P12ihipStream_tbPNSt15iterator_traitsISE_E10value_typeEPNSK_ISF_E10value_typeEPSG_NS1_7vsmem_tEENKUlT_SE_SF_SG_E_clIS8_S8_S9_S9_EESD_ST_SE_SF_SG_EUlST_E1_NS1_11comp_targetILNS1_3genE3ELNS1_11target_archE908ELNS1_3gpuE7ELNS1_3repE0EEENS1_36merge_oddeven_config_static_selectorELNS0_4arch9wavefront6targetE0EEEvSF_.num_vgpr, 0
	.set _ZN7rocprim17ROCPRIM_400000_NS6detail17trampoline_kernelINS0_14default_configENS1_38merge_sort_block_merge_config_selectorIfNS0_10empty_typeEEEZZNS1_27merge_sort_block_merge_implIS3_PfPS5_jNS1_19radix_merge_compareILb0ELb0EfNS0_19identity_decomposerEEEEE10hipError_tT0_T1_T2_jT3_P12ihipStream_tbPNSt15iterator_traitsISE_E10value_typeEPNSK_ISF_E10value_typeEPSG_NS1_7vsmem_tEENKUlT_SE_SF_SG_E_clIS8_S8_S9_S9_EESD_ST_SE_SF_SG_EUlST_E1_NS1_11comp_targetILNS1_3genE3ELNS1_11target_archE908ELNS1_3gpuE7ELNS1_3repE0EEENS1_36merge_oddeven_config_static_selectorELNS0_4arch9wavefront6targetE0EEEvSF_.num_agpr, 0
	.set _ZN7rocprim17ROCPRIM_400000_NS6detail17trampoline_kernelINS0_14default_configENS1_38merge_sort_block_merge_config_selectorIfNS0_10empty_typeEEEZZNS1_27merge_sort_block_merge_implIS3_PfPS5_jNS1_19radix_merge_compareILb0ELb0EfNS0_19identity_decomposerEEEEE10hipError_tT0_T1_T2_jT3_P12ihipStream_tbPNSt15iterator_traitsISE_E10value_typeEPNSK_ISF_E10value_typeEPSG_NS1_7vsmem_tEENKUlT_SE_SF_SG_E_clIS8_S8_S9_S9_EESD_ST_SE_SF_SG_EUlST_E1_NS1_11comp_targetILNS1_3genE3ELNS1_11target_archE908ELNS1_3gpuE7ELNS1_3repE0EEENS1_36merge_oddeven_config_static_selectorELNS0_4arch9wavefront6targetE0EEEvSF_.numbered_sgpr, 0
	.set _ZN7rocprim17ROCPRIM_400000_NS6detail17trampoline_kernelINS0_14default_configENS1_38merge_sort_block_merge_config_selectorIfNS0_10empty_typeEEEZZNS1_27merge_sort_block_merge_implIS3_PfPS5_jNS1_19radix_merge_compareILb0ELb0EfNS0_19identity_decomposerEEEEE10hipError_tT0_T1_T2_jT3_P12ihipStream_tbPNSt15iterator_traitsISE_E10value_typeEPNSK_ISF_E10value_typeEPSG_NS1_7vsmem_tEENKUlT_SE_SF_SG_E_clIS8_S8_S9_S9_EESD_ST_SE_SF_SG_EUlST_E1_NS1_11comp_targetILNS1_3genE3ELNS1_11target_archE908ELNS1_3gpuE7ELNS1_3repE0EEENS1_36merge_oddeven_config_static_selectorELNS0_4arch9wavefront6targetE0EEEvSF_.num_named_barrier, 0
	.set _ZN7rocprim17ROCPRIM_400000_NS6detail17trampoline_kernelINS0_14default_configENS1_38merge_sort_block_merge_config_selectorIfNS0_10empty_typeEEEZZNS1_27merge_sort_block_merge_implIS3_PfPS5_jNS1_19radix_merge_compareILb0ELb0EfNS0_19identity_decomposerEEEEE10hipError_tT0_T1_T2_jT3_P12ihipStream_tbPNSt15iterator_traitsISE_E10value_typeEPNSK_ISF_E10value_typeEPSG_NS1_7vsmem_tEENKUlT_SE_SF_SG_E_clIS8_S8_S9_S9_EESD_ST_SE_SF_SG_EUlST_E1_NS1_11comp_targetILNS1_3genE3ELNS1_11target_archE908ELNS1_3gpuE7ELNS1_3repE0EEENS1_36merge_oddeven_config_static_selectorELNS0_4arch9wavefront6targetE0EEEvSF_.private_seg_size, 0
	.set _ZN7rocprim17ROCPRIM_400000_NS6detail17trampoline_kernelINS0_14default_configENS1_38merge_sort_block_merge_config_selectorIfNS0_10empty_typeEEEZZNS1_27merge_sort_block_merge_implIS3_PfPS5_jNS1_19radix_merge_compareILb0ELb0EfNS0_19identity_decomposerEEEEE10hipError_tT0_T1_T2_jT3_P12ihipStream_tbPNSt15iterator_traitsISE_E10value_typeEPNSK_ISF_E10value_typeEPSG_NS1_7vsmem_tEENKUlT_SE_SF_SG_E_clIS8_S8_S9_S9_EESD_ST_SE_SF_SG_EUlST_E1_NS1_11comp_targetILNS1_3genE3ELNS1_11target_archE908ELNS1_3gpuE7ELNS1_3repE0EEENS1_36merge_oddeven_config_static_selectorELNS0_4arch9wavefront6targetE0EEEvSF_.uses_vcc, 0
	.set _ZN7rocprim17ROCPRIM_400000_NS6detail17trampoline_kernelINS0_14default_configENS1_38merge_sort_block_merge_config_selectorIfNS0_10empty_typeEEEZZNS1_27merge_sort_block_merge_implIS3_PfPS5_jNS1_19radix_merge_compareILb0ELb0EfNS0_19identity_decomposerEEEEE10hipError_tT0_T1_T2_jT3_P12ihipStream_tbPNSt15iterator_traitsISE_E10value_typeEPNSK_ISF_E10value_typeEPSG_NS1_7vsmem_tEENKUlT_SE_SF_SG_E_clIS8_S8_S9_S9_EESD_ST_SE_SF_SG_EUlST_E1_NS1_11comp_targetILNS1_3genE3ELNS1_11target_archE908ELNS1_3gpuE7ELNS1_3repE0EEENS1_36merge_oddeven_config_static_selectorELNS0_4arch9wavefront6targetE0EEEvSF_.uses_flat_scratch, 0
	.set _ZN7rocprim17ROCPRIM_400000_NS6detail17trampoline_kernelINS0_14default_configENS1_38merge_sort_block_merge_config_selectorIfNS0_10empty_typeEEEZZNS1_27merge_sort_block_merge_implIS3_PfPS5_jNS1_19radix_merge_compareILb0ELb0EfNS0_19identity_decomposerEEEEE10hipError_tT0_T1_T2_jT3_P12ihipStream_tbPNSt15iterator_traitsISE_E10value_typeEPNSK_ISF_E10value_typeEPSG_NS1_7vsmem_tEENKUlT_SE_SF_SG_E_clIS8_S8_S9_S9_EESD_ST_SE_SF_SG_EUlST_E1_NS1_11comp_targetILNS1_3genE3ELNS1_11target_archE908ELNS1_3gpuE7ELNS1_3repE0EEENS1_36merge_oddeven_config_static_selectorELNS0_4arch9wavefront6targetE0EEEvSF_.has_dyn_sized_stack, 0
	.set _ZN7rocprim17ROCPRIM_400000_NS6detail17trampoline_kernelINS0_14default_configENS1_38merge_sort_block_merge_config_selectorIfNS0_10empty_typeEEEZZNS1_27merge_sort_block_merge_implIS3_PfPS5_jNS1_19radix_merge_compareILb0ELb0EfNS0_19identity_decomposerEEEEE10hipError_tT0_T1_T2_jT3_P12ihipStream_tbPNSt15iterator_traitsISE_E10value_typeEPNSK_ISF_E10value_typeEPSG_NS1_7vsmem_tEENKUlT_SE_SF_SG_E_clIS8_S8_S9_S9_EESD_ST_SE_SF_SG_EUlST_E1_NS1_11comp_targetILNS1_3genE3ELNS1_11target_archE908ELNS1_3gpuE7ELNS1_3repE0EEENS1_36merge_oddeven_config_static_selectorELNS0_4arch9wavefront6targetE0EEEvSF_.has_recursion, 0
	.set _ZN7rocprim17ROCPRIM_400000_NS6detail17trampoline_kernelINS0_14default_configENS1_38merge_sort_block_merge_config_selectorIfNS0_10empty_typeEEEZZNS1_27merge_sort_block_merge_implIS3_PfPS5_jNS1_19radix_merge_compareILb0ELb0EfNS0_19identity_decomposerEEEEE10hipError_tT0_T1_T2_jT3_P12ihipStream_tbPNSt15iterator_traitsISE_E10value_typeEPNSK_ISF_E10value_typeEPSG_NS1_7vsmem_tEENKUlT_SE_SF_SG_E_clIS8_S8_S9_S9_EESD_ST_SE_SF_SG_EUlST_E1_NS1_11comp_targetILNS1_3genE3ELNS1_11target_archE908ELNS1_3gpuE7ELNS1_3repE0EEENS1_36merge_oddeven_config_static_selectorELNS0_4arch9wavefront6targetE0EEEvSF_.has_indirect_call, 0
	.section	.AMDGPU.csdata,"",@progbits
; Kernel info:
; codeLenInByte = 0
; TotalNumSgprs: 0
; NumVgprs: 0
; ScratchSize: 0
; MemoryBound: 0
; FloatMode: 240
; IeeeMode: 1
; LDSByteSize: 0 bytes/workgroup (compile time only)
; SGPRBlocks: 0
; VGPRBlocks: 0
; NumSGPRsForWavesPerEU: 1
; NumVGPRsForWavesPerEU: 1
; NamedBarCnt: 0
; Occupancy: 16
; WaveLimiterHint : 0
; COMPUTE_PGM_RSRC2:SCRATCH_EN: 0
; COMPUTE_PGM_RSRC2:USER_SGPR: 2
; COMPUTE_PGM_RSRC2:TRAP_HANDLER: 0
; COMPUTE_PGM_RSRC2:TGID_X_EN: 1
; COMPUTE_PGM_RSRC2:TGID_Y_EN: 0
; COMPUTE_PGM_RSRC2:TGID_Z_EN: 0
; COMPUTE_PGM_RSRC2:TIDIG_COMP_CNT: 0
	.section	.text._ZN7rocprim17ROCPRIM_400000_NS6detail17trampoline_kernelINS0_14default_configENS1_38merge_sort_block_merge_config_selectorIfNS0_10empty_typeEEEZZNS1_27merge_sort_block_merge_implIS3_PfPS5_jNS1_19radix_merge_compareILb0ELb0EfNS0_19identity_decomposerEEEEE10hipError_tT0_T1_T2_jT3_P12ihipStream_tbPNSt15iterator_traitsISE_E10value_typeEPNSK_ISF_E10value_typeEPSG_NS1_7vsmem_tEENKUlT_SE_SF_SG_E_clIS8_S8_S9_S9_EESD_ST_SE_SF_SG_EUlST_E1_NS1_11comp_targetILNS1_3genE2ELNS1_11target_archE906ELNS1_3gpuE6ELNS1_3repE0EEENS1_36merge_oddeven_config_static_selectorELNS0_4arch9wavefront6targetE0EEEvSF_,"axG",@progbits,_ZN7rocprim17ROCPRIM_400000_NS6detail17trampoline_kernelINS0_14default_configENS1_38merge_sort_block_merge_config_selectorIfNS0_10empty_typeEEEZZNS1_27merge_sort_block_merge_implIS3_PfPS5_jNS1_19radix_merge_compareILb0ELb0EfNS0_19identity_decomposerEEEEE10hipError_tT0_T1_T2_jT3_P12ihipStream_tbPNSt15iterator_traitsISE_E10value_typeEPNSK_ISF_E10value_typeEPSG_NS1_7vsmem_tEENKUlT_SE_SF_SG_E_clIS8_S8_S9_S9_EESD_ST_SE_SF_SG_EUlST_E1_NS1_11comp_targetILNS1_3genE2ELNS1_11target_archE906ELNS1_3gpuE6ELNS1_3repE0EEENS1_36merge_oddeven_config_static_selectorELNS0_4arch9wavefront6targetE0EEEvSF_,comdat
	.protected	_ZN7rocprim17ROCPRIM_400000_NS6detail17trampoline_kernelINS0_14default_configENS1_38merge_sort_block_merge_config_selectorIfNS0_10empty_typeEEEZZNS1_27merge_sort_block_merge_implIS3_PfPS5_jNS1_19radix_merge_compareILb0ELb0EfNS0_19identity_decomposerEEEEE10hipError_tT0_T1_T2_jT3_P12ihipStream_tbPNSt15iterator_traitsISE_E10value_typeEPNSK_ISF_E10value_typeEPSG_NS1_7vsmem_tEENKUlT_SE_SF_SG_E_clIS8_S8_S9_S9_EESD_ST_SE_SF_SG_EUlST_E1_NS1_11comp_targetILNS1_3genE2ELNS1_11target_archE906ELNS1_3gpuE6ELNS1_3repE0EEENS1_36merge_oddeven_config_static_selectorELNS0_4arch9wavefront6targetE0EEEvSF_ ; -- Begin function _ZN7rocprim17ROCPRIM_400000_NS6detail17trampoline_kernelINS0_14default_configENS1_38merge_sort_block_merge_config_selectorIfNS0_10empty_typeEEEZZNS1_27merge_sort_block_merge_implIS3_PfPS5_jNS1_19radix_merge_compareILb0ELb0EfNS0_19identity_decomposerEEEEE10hipError_tT0_T1_T2_jT3_P12ihipStream_tbPNSt15iterator_traitsISE_E10value_typeEPNSK_ISF_E10value_typeEPSG_NS1_7vsmem_tEENKUlT_SE_SF_SG_E_clIS8_S8_S9_S9_EESD_ST_SE_SF_SG_EUlST_E1_NS1_11comp_targetILNS1_3genE2ELNS1_11target_archE906ELNS1_3gpuE6ELNS1_3repE0EEENS1_36merge_oddeven_config_static_selectorELNS0_4arch9wavefront6targetE0EEEvSF_
	.globl	_ZN7rocprim17ROCPRIM_400000_NS6detail17trampoline_kernelINS0_14default_configENS1_38merge_sort_block_merge_config_selectorIfNS0_10empty_typeEEEZZNS1_27merge_sort_block_merge_implIS3_PfPS5_jNS1_19radix_merge_compareILb0ELb0EfNS0_19identity_decomposerEEEEE10hipError_tT0_T1_T2_jT3_P12ihipStream_tbPNSt15iterator_traitsISE_E10value_typeEPNSK_ISF_E10value_typeEPSG_NS1_7vsmem_tEENKUlT_SE_SF_SG_E_clIS8_S8_S9_S9_EESD_ST_SE_SF_SG_EUlST_E1_NS1_11comp_targetILNS1_3genE2ELNS1_11target_archE906ELNS1_3gpuE6ELNS1_3repE0EEENS1_36merge_oddeven_config_static_selectorELNS0_4arch9wavefront6targetE0EEEvSF_
	.p2align	8
	.type	_ZN7rocprim17ROCPRIM_400000_NS6detail17trampoline_kernelINS0_14default_configENS1_38merge_sort_block_merge_config_selectorIfNS0_10empty_typeEEEZZNS1_27merge_sort_block_merge_implIS3_PfPS5_jNS1_19radix_merge_compareILb0ELb0EfNS0_19identity_decomposerEEEEE10hipError_tT0_T1_T2_jT3_P12ihipStream_tbPNSt15iterator_traitsISE_E10value_typeEPNSK_ISF_E10value_typeEPSG_NS1_7vsmem_tEENKUlT_SE_SF_SG_E_clIS8_S8_S9_S9_EESD_ST_SE_SF_SG_EUlST_E1_NS1_11comp_targetILNS1_3genE2ELNS1_11target_archE906ELNS1_3gpuE6ELNS1_3repE0EEENS1_36merge_oddeven_config_static_selectorELNS0_4arch9wavefront6targetE0EEEvSF_,@function
_ZN7rocprim17ROCPRIM_400000_NS6detail17trampoline_kernelINS0_14default_configENS1_38merge_sort_block_merge_config_selectorIfNS0_10empty_typeEEEZZNS1_27merge_sort_block_merge_implIS3_PfPS5_jNS1_19radix_merge_compareILb0ELb0EfNS0_19identity_decomposerEEEEE10hipError_tT0_T1_T2_jT3_P12ihipStream_tbPNSt15iterator_traitsISE_E10value_typeEPNSK_ISF_E10value_typeEPSG_NS1_7vsmem_tEENKUlT_SE_SF_SG_E_clIS8_S8_S9_S9_EESD_ST_SE_SF_SG_EUlST_E1_NS1_11comp_targetILNS1_3genE2ELNS1_11target_archE906ELNS1_3gpuE6ELNS1_3repE0EEENS1_36merge_oddeven_config_static_selectorELNS0_4arch9wavefront6targetE0EEEvSF_: ; @_ZN7rocprim17ROCPRIM_400000_NS6detail17trampoline_kernelINS0_14default_configENS1_38merge_sort_block_merge_config_selectorIfNS0_10empty_typeEEEZZNS1_27merge_sort_block_merge_implIS3_PfPS5_jNS1_19radix_merge_compareILb0ELb0EfNS0_19identity_decomposerEEEEE10hipError_tT0_T1_T2_jT3_P12ihipStream_tbPNSt15iterator_traitsISE_E10value_typeEPNSK_ISF_E10value_typeEPSG_NS1_7vsmem_tEENKUlT_SE_SF_SG_E_clIS8_S8_S9_S9_EESD_ST_SE_SF_SG_EUlST_E1_NS1_11comp_targetILNS1_3genE2ELNS1_11target_archE906ELNS1_3gpuE6ELNS1_3repE0EEENS1_36merge_oddeven_config_static_selectorELNS0_4arch9wavefront6targetE0EEEvSF_
; %bb.0:
	.section	.rodata,"a",@progbits
	.p2align	6, 0x0
	.amdhsa_kernel _ZN7rocprim17ROCPRIM_400000_NS6detail17trampoline_kernelINS0_14default_configENS1_38merge_sort_block_merge_config_selectorIfNS0_10empty_typeEEEZZNS1_27merge_sort_block_merge_implIS3_PfPS5_jNS1_19radix_merge_compareILb0ELb0EfNS0_19identity_decomposerEEEEE10hipError_tT0_T1_T2_jT3_P12ihipStream_tbPNSt15iterator_traitsISE_E10value_typeEPNSK_ISF_E10value_typeEPSG_NS1_7vsmem_tEENKUlT_SE_SF_SG_E_clIS8_S8_S9_S9_EESD_ST_SE_SF_SG_EUlST_E1_NS1_11comp_targetILNS1_3genE2ELNS1_11target_archE906ELNS1_3gpuE6ELNS1_3repE0EEENS1_36merge_oddeven_config_static_selectorELNS0_4arch9wavefront6targetE0EEEvSF_
		.amdhsa_group_segment_fixed_size 0
		.amdhsa_private_segment_fixed_size 0
		.amdhsa_kernarg_size 48
		.amdhsa_user_sgpr_count 2
		.amdhsa_user_sgpr_dispatch_ptr 0
		.amdhsa_user_sgpr_queue_ptr 0
		.amdhsa_user_sgpr_kernarg_segment_ptr 1
		.amdhsa_user_sgpr_dispatch_id 0
		.amdhsa_user_sgpr_kernarg_preload_length 0
		.amdhsa_user_sgpr_kernarg_preload_offset 0
		.amdhsa_user_sgpr_private_segment_size 0
		.amdhsa_wavefront_size32 1
		.amdhsa_uses_dynamic_stack 0
		.amdhsa_enable_private_segment 0
		.amdhsa_system_sgpr_workgroup_id_x 1
		.amdhsa_system_sgpr_workgroup_id_y 0
		.amdhsa_system_sgpr_workgroup_id_z 0
		.amdhsa_system_sgpr_workgroup_info 0
		.amdhsa_system_vgpr_workitem_id 0
		.amdhsa_next_free_vgpr 1
		.amdhsa_next_free_sgpr 1
		.amdhsa_named_barrier_count 0
		.amdhsa_reserve_vcc 0
		.amdhsa_float_round_mode_32 0
		.amdhsa_float_round_mode_16_64 0
		.amdhsa_float_denorm_mode_32 3
		.amdhsa_float_denorm_mode_16_64 3
		.amdhsa_fp16_overflow 0
		.amdhsa_memory_ordered 1
		.amdhsa_forward_progress 1
		.amdhsa_inst_pref_size 0
		.amdhsa_round_robin_scheduling 0
		.amdhsa_exception_fp_ieee_invalid_op 0
		.amdhsa_exception_fp_denorm_src 0
		.amdhsa_exception_fp_ieee_div_zero 0
		.amdhsa_exception_fp_ieee_overflow 0
		.amdhsa_exception_fp_ieee_underflow 0
		.amdhsa_exception_fp_ieee_inexact 0
		.amdhsa_exception_int_div_zero 0
	.end_amdhsa_kernel
	.section	.text._ZN7rocprim17ROCPRIM_400000_NS6detail17trampoline_kernelINS0_14default_configENS1_38merge_sort_block_merge_config_selectorIfNS0_10empty_typeEEEZZNS1_27merge_sort_block_merge_implIS3_PfPS5_jNS1_19radix_merge_compareILb0ELb0EfNS0_19identity_decomposerEEEEE10hipError_tT0_T1_T2_jT3_P12ihipStream_tbPNSt15iterator_traitsISE_E10value_typeEPNSK_ISF_E10value_typeEPSG_NS1_7vsmem_tEENKUlT_SE_SF_SG_E_clIS8_S8_S9_S9_EESD_ST_SE_SF_SG_EUlST_E1_NS1_11comp_targetILNS1_3genE2ELNS1_11target_archE906ELNS1_3gpuE6ELNS1_3repE0EEENS1_36merge_oddeven_config_static_selectorELNS0_4arch9wavefront6targetE0EEEvSF_,"axG",@progbits,_ZN7rocprim17ROCPRIM_400000_NS6detail17trampoline_kernelINS0_14default_configENS1_38merge_sort_block_merge_config_selectorIfNS0_10empty_typeEEEZZNS1_27merge_sort_block_merge_implIS3_PfPS5_jNS1_19radix_merge_compareILb0ELb0EfNS0_19identity_decomposerEEEEE10hipError_tT0_T1_T2_jT3_P12ihipStream_tbPNSt15iterator_traitsISE_E10value_typeEPNSK_ISF_E10value_typeEPSG_NS1_7vsmem_tEENKUlT_SE_SF_SG_E_clIS8_S8_S9_S9_EESD_ST_SE_SF_SG_EUlST_E1_NS1_11comp_targetILNS1_3genE2ELNS1_11target_archE906ELNS1_3gpuE6ELNS1_3repE0EEENS1_36merge_oddeven_config_static_selectorELNS0_4arch9wavefront6targetE0EEEvSF_,comdat
.Lfunc_end1385:
	.size	_ZN7rocprim17ROCPRIM_400000_NS6detail17trampoline_kernelINS0_14default_configENS1_38merge_sort_block_merge_config_selectorIfNS0_10empty_typeEEEZZNS1_27merge_sort_block_merge_implIS3_PfPS5_jNS1_19radix_merge_compareILb0ELb0EfNS0_19identity_decomposerEEEEE10hipError_tT0_T1_T2_jT3_P12ihipStream_tbPNSt15iterator_traitsISE_E10value_typeEPNSK_ISF_E10value_typeEPSG_NS1_7vsmem_tEENKUlT_SE_SF_SG_E_clIS8_S8_S9_S9_EESD_ST_SE_SF_SG_EUlST_E1_NS1_11comp_targetILNS1_3genE2ELNS1_11target_archE906ELNS1_3gpuE6ELNS1_3repE0EEENS1_36merge_oddeven_config_static_selectorELNS0_4arch9wavefront6targetE0EEEvSF_, .Lfunc_end1385-_ZN7rocprim17ROCPRIM_400000_NS6detail17trampoline_kernelINS0_14default_configENS1_38merge_sort_block_merge_config_selectorIfNS0_10empty_typeEEEZZNS1_27merge_sort_block_merge_implIS3_PfPS5_jNS1_19radix_merge_compareILb0ELb0EfNS0_19identity_decomposerEEEEE10hipError_tT0_T1_T2_jT3_P12ihipStream_tbPNSt15iterator_traitsISE_E10value_typeEPNSK_ISF_E10value_typeEPSG_NS1_7vsmem_tEENKUlT_SE_SF_SG_E_clIS8_S8_S9_S9_EESD_ST_SE_SF_SG_EUlST_E1_NS1_11comp_targetILNS1_3genE2ELNS1_11target_archE906ELNS1_3gpuE6ELNS1_3repE0EEENS1_36merge_oddeven_config_static_selectorELNS0_4arch9wavefront6targetE0EEEvSF_
                                        ; -- End function
	.set _ZN7rocprim17ROCPRIM_400000_NS6detail17trampoline_kernelINS0_14default_configENS1_38merge_sort_block_merge_config_selectorIfNS0_10empty_typeEEEZZNS1_27merge_sort_block_merge_implIS3_PfPS5_jNS1_19radix_merge_compareILb0ELb0EfNS0_19identity_decomposerEEEEE10hipError_tT0_T1_T2_jT3_P12ihipStream_tbPNSt15iterator_traitsISE_E10value_typeEPNSK_ISF_E10value_typeEPSG_NS1_7vsmem_tEENKUlT_SE_SF_SG_E_clIS8_S8_S9_S9_EESD_ST_SE_SF_SG_EUlST_E1_NS1_11comp_targetILNS1_3genE2ELNS1_11target_archE906ELNS1_3gpuE6ELNS1_3repE0EEENS1_36merge_oddeven_config_static_selectorELNS0_4arch9wavefront6targetE0EEEvSF_.num_vgpr, 0
	.set _ZN7rocprim17ROCPRIM_400000_NS6detail17trampoline_kernelINS0_14default_configENS1_38merge_sort_block_merge_config_selectorIfNS0_10empty_typeEEEZZNS1_27merge_sort_block_merge_implIS3_PfPS5_jNS1_19radix_merge_compareILb0ELb0EfNS0_19identity_decomposerEEEEE10hipError_tT0_T1_T2_jT3_P12ihipStream_tbPNSt15iterator_traitsISE_E10value_typeEPNSK_ISF_E10value_typeEPSG_NS1_7vsmem_tEENKUlT_SE_SF_SG_E_clIS8_S8_S9_S9_EESD_ST_SE_SF_SG_EUlST_E1_NS1_11comp_targetILNS1_3genE2ELNS1_11target_archE906ELNS1_3gpuE6ELNS1_3repE0EEENS1_36merge_oddeven_config_static_selectorELNS0_4arch9wavefront6targetE0EEEvSF_.num_agpr, 0
	.set _ZN7rocprim17ROCPRIM_400000_NS6detail17trampoline_kernelINS0_14default_configENS1_38merge_sort_block_merge_config_selectorIfNS0_10empty_typeEEEZZNS1_27merge_sort_block_merge_implIS3_PfPS5_jNS1_19radix_merge_compareILb0ELb0EfNS0_19identity_decomposerEEEEE10hipError_tT0_T1_T2_jT3_P12ihipStream_tbPNSt15iterator_traitsISE_E10value_typeEPNSK_ISF_E10value_typeEPSG_NS1_7vsmem_tEENKUlT_SE_SF_SG_E_clIS8_S8_S9_S9_EESD_ST_SE_SF_SG_EUlST_E1_NS1_11comp_targetILNS1_3genE2ELNS1_11target_archE906ELNS1_3gpuE6ELNS1_3repE0EEENS1_36merge_oddeven_config_static_selectorELNS0_4arch9wavefront6targetE0EEEvSF_.numbered_sgpr, 0
	.set _ZN7rocprim17ROCPRIM_400000_NS6detail17trampoline_kernelINS0_14default_configENS1_38merge_sort_block_merge_config_selectorIfNS0_10empty_typeEEEZZNS1_27merge_sort_block_merge_implIS3_PfPS5_jNS1_19radix_merge_compareILb0ELb0EfNS0_19identity_decomposerEEEEE10hipError_tT0_T1_T2_jT3_P12ihipStream_tbPNSt15iterator_traitsISE_E10value_typeEPNSK_ISF_E10value_typeEPSG_NS1_7vsmem_tEENKUlT_SE_SF_SG_E_clIS8_S8_S9_S9_EESD_ST_SE_SF_SG_EUlST_E1_NS1_11comp_targetILNS1_3genE2ELNS1_11target_archE906ELNS1_3gpuE6ELNS1_3repE0EEENS1_36merge_oddeven_config_static_selectorELNS0_4arch9wavefront6targetE0EEEvSF_.num_named_barrier, 0
	.set _ZN7rocprim17ROCPRIM_400000_NS6detail17trampoline_kernelINS0_14default_configENS1_38merge_sort_block_merge_config_selectorIfNS0_10empty_typeEEEZZNS1_27merge_sort_block_merge_implIS3_PfPS5_jNS1_19radix_merge_compareILb0ELb0EfNS0_19identity_decomposerEEEEE10hipError_tT0_T1_T2_jT3_P12ihipStream_tbPNSt15iterator_traitsISE_E10value_typeEPNSK_ISF_E10value_typeEPSG_NS1_7vsmem_tEENKUlT_SE_SF_SG_E_clIS8_S8_S9_S9_EESD_ST_SE_SF_SG_EUlST_E1_NS1_11comp_targetILNS1_3genE2ELNS1_11target_archE906ELNS1_3gpuE6ELNS1_3repE0EEENS1_36merge_oddeven_config_static_selectorELNS0_4arch9wavefront6targetE0EEEvSF_.private_seg_size, 0
	.set _ZN7rocprim17ROCPRIM_400000_NS6detail17trampoline_kernelINS0_14default_configENS1_38merge_sort_block_merge_config_selectorIfNS0_10empty_typeEEEZZNS1_27merge_sort_block_merge_implIS3_PfPS5_jNS1_19radix_merge_compareILb0ELb0EfNS0_19identity_decomposerEEEEE10hipError_tT0_T1_T2_jT3_P12ihipStream_tbPNSt15iterator_traitsISE_E10value_typeEPNSK_ISF_E10value_typeEPSG_NS1_7vsmem_tEENKUlT_SE_SF_SG_E_clIS8_S8_S9_S9_EESD_ST_SE_SF_SG_EUlST_E1_NS1_11comp_targetILNS1_3genE2ELNS1_11target_archE906ELNS1_3gpuE6ELNS1_3repE0EEENS1_36merge_oddeven_config_static_selectorELNS0_4arch9wavefront6targetE0EEEvSF_.uses_vcc, 0
	.set _ZN7rocprim17ROCPRIM_400000_NS6detail17trampoline_kernelINS0_14default_configENS1_38merge_sort_block_merge_config_selectorIfNS0_10empty_typeEEEZZNS1_27merge_sort_block_merge_implIS3_PfPS5_jNS1_19radix_merge_compareILb0ELb0EfNS0_19identity_decomposerEEEEE10hipError_tT0_T1_T2_jT3_P12ihipStream_tbPNSt15iterator_traitsISE_E10value_typeEPNSK_ISF_E10value_typeEPSG_NS1_7vsmem_tEENKUlT_SE_SF_SG_E_clIS8_S8_S9_S9_EESD_ST_SE_SF_SG_EUlST_E1_NS1_11comp_targetILNS1_3genE2ELNS1_11target_archE906ELNS1_3gpuE6ELNS1_3repE0EEENS1_36merge_oddeven_config_static_selectorELNS0_4arch9wavefront6targetE0EEEvSF_.uses_flat_scratch, 0
	.set _ZN7rocprim17ROCPRIM_400000_NS6detail17trampoline_kernelINS0_14default_configENS1_38merge_sort_block_merge_config_selectorIfNS0_10empty_typeEEEZZNS1_27merge_sort_block_merge_implIS3_PfPS5_jNS1_19radix_merge_compareILb0ELb0EfNS0_19identity_decomposerEEEEE10hipError_tT0_T1_T2_jT3_P12ihipStream_tbPNSt15iterator_traitsISE_E10value_typeEPNSK_ISF_E10value_typeEPSG_NS1_7vsmem_tEENKUlT_SE_SF_SG_E_clIS8_S8_S9_S9_EESD_ST_SE_SF_SG_EUlST_E1_NS1_11comp_targetILNS1_3genE2ELNS1_11target_archE906ELNS1_3gpuE6ELNS1_3repE0EEENS1_36merge_oddeven_config_static_selectorELNS0_4arch9wavefront6targetE0EEEvSF_.has_dyn_sized_stack, 0
	.set _ZN7rocprim17ROCPRIM_400000_NS6detail17trampoline_kernelINS0_14default_configENS1_38merge_sort_block_merge_config_selectorIfNS0_10empty_typeEEEZZNS1_27merge_sort_block_merge_implIS3_PfPS5_jNS1_19radix_merge_compareILb0ELb0EfNS0_19identity_decomposerEEEEE10hipError_tT0_T1_T2_jT3_P12ihipStream_tbPNSt15iterator_traitsISE_E10value_typeEPNSK_ISF_E10value_typeEPSG_NS1_7vsmem_tEENKUlT_SE_SF_SG_E_clIS8_S8_S9_S9_EESD_ST_SE_SF_SG_EUlST_E1_NS1_11comp_targetILNS1_3genE2ELNS1_11target_archE906ELNS1_3gpuE6ELNS1_3repE0EEENS1_36merge_oddeven_config_static_selectorELNS0_4arch9wavefront6targetE0EEEvSF_.has_recursion, 0
	.set _ZN7rocprim17ROCPRIM_400000_NS6detail17trampoline_kernelINS0_14default_configENS1_38merge_sort_block_merge_config_selectorIfNS0_10empty_typeEEEZZNS1_27merge_sort_block_merge_implIS3_PfPS5_jNS1_19radix_merge_compareILb0ELb0EfNS0_19identity_decomposerEEEEE10hipError_tT0_T1_T2_jT3_P12ihipStream_tbPNSt15iterator_traitsISE_E10value_typeEPNSK_ISF_E10value_typeEPSG_NS1_7vsmem_tEENKUlT_SE_SF_SG_E_clIS8_S8_S9_S9_EESD_ST_SE_SF_SG_EUlST_E1_NS1_11comp_targetILNS1_3genE2ELNS1_11target_archE906ELNS1_3gpuE6ELNS1_3repE0EEENS1_36merge_oddeven_config_static_selectorELNS0_4arch9wavefront6targetE0EEEvSF_.has_indirect_call, 0
	.section	.AMDGPU.csdata,"",@progbits
; Kernel info:
; codeLenInByte = 0
; TotalNumSgprs: 0
; NumVgprs: 0
; ScratchSize: 0
; MemoryBound: 0
; FloatMode: 240
; IeeeMode: 1
; LDSByteSize: 0 bytes/workgroup (compile time only)
; SGPRBlocks: 0
; VGPRBlocks: 0
; NumSGPRsForWavesPerEU: 1
; NumVGPRsForWavesPerEU: 1
; NamedBarCnt: 0
; Occupancy: 16
; WaveLimiterHint : 0
; COMPUTE_PGM_RSRC2:SCRATCH_EN: 0
; COMPUTE_PGM_RSRC2:USER_SGPR: 2
; COMPUTE_PGM_RSRC2:TRAP_HANDLER: 0
; COMPUTE_PGM_RSRC2:TGID_X_EN: 1
; COMPUTE_PGM_RSRC2:TGID_Y_EN: 0
; COMPUTE_PGM_RSRC2:TGID_Z_EN: 0
; COMPUTE_PGM_RSRC2:TIDIG_COMP_CNT: 0
	.section	.text._ZN7rocprim17ROCPRIM_400000_NS6detail17trampoline_kernelINS0_14default_configENS1_38merge_sort_block_merge_config_selectorIfNS0_10empty_typeEEEZZNS1_27merge_sort_block_merge_implIS3_PfPS5_jNS1_19radix_merge_compareILb0ELb0EfNS0_19identity_decomposerEEEEE10hipError_tT0_T1_T2_jT3_P12ihipStream_tbPNSt15iterator_traitsISE_E10value_typeEPNSK_ISF_E10value_typeEPSG_NS1_7vsmem_tEENKUlT_SE_SF_SG_E_clIS8_S8_S9_S9_EESD_ST_SE_SF_SG_EUlST_E1_NS1_11comp_targetILNS1_3genE9ELNS1_11target_archE1100ELNS1_3gpuE3ELNS1_3repE0EEENS1_36merge_oddeven_config_static_selectorELNS0_4arch9wavefront6targetE0EEEvSF_,"axG",@progbits,_ZN7rocprim17ROCPRIM_400000_NS6detail17trampoline_kernelINS0_14default_configENS1_38merge_sort_block_merge_config_selectorIfNS0_10empty_typeEEEZZNS1_27merge_sort_block_merge_implIS3_PfPS5_jNS1_19radix_merge_compareILb0ELb0EfNS0_19identity_decomposerEEEEE10hipError_tT0_T1_T2_jT3_P12ihipStream_tbPNSt15iterator_traitsISE_E10value_typeEPNSK_ISF_E10value_typeEPSG_NS1_7vsmem_tEENKUlT_SE_SF_SG_E_clIS8_S8_S9_S9_EESD_ST_SE_SF_SG_EUlST_E1_NS1_11comp_targetILNS1_3genE9ELNS1_11target_archE1100ELNS1_3gpuE3ELNS1_3repE0EEENS1_36merge_oddeven_config_static_selectorELNS0_4arch9wavefront6targetE0EEEvSF_,comdat
	.protected	_ZN7rocprim17ROCPRIM_400000_NS6detail17trampoline_kernelINS0_14default_configENS1_38merge_sort_block_merge_config_selectorIfNS0_10empty_typeEEEZZNS1_27merge_sort_block_merge_implIS3_PfPS5_jNS1_19radix_merge_compareILb0ELb0EfNS0_19identity_decomposerEEEEE10hipError_tT0_T1_T2_jT3_P12ihipStream_tbPNSt15iterator_traitsISE_E10value_typeEPNSK_ISF_E10value_typeEPSG_NS1_7vsmem_tEENKUlT_SE_SF_SG_E_clIS8_S8_S9_S9_EESD_ST_SE_SF_SG_EUlST_E1_NS1_11comp_targetILNS1_3genE9ELNS1_11target_archE1100ELNS1_3gpuE3ELNS1_3repE0EEENS1_36merge_oddeven_config_static_selectorELNS0_4arch9wavefront6targetE0EEEvSF_ ; -- Begin function _ZN7rocprim17ROCPRIM_400000_NS6detail17trampoline_kernelINS0_14default_configENS1_38merge_sort_block_merge_config_selectorIfNS0_10empty_typeEEEZZNS1_27merge_sort_block_merge_implIS3_PfPS5_jNS1_19radix_merge_compareILb0ELb0EfNS0_19identity_decomposerEEEEE10hipError_tT0_T1_T2_jT3_P12ihipStream_tbPNSt15iterator_traitsISE_E10value_typeEPNSK_ISF_E10value_typeEPSG_NS1_7vsmem_tEENKUlT_SE_SF_SG_E_clIS8_S8_S9_S9_EESD_ST_SE_SF_SG_EUlST_E1_NS1_11comp_targetILNS1_3genE9ELNS1_11target_archE1100ELNS1_3gpuE3ELNS1_3repE0EEENS1_36merge_oddeven_config_static_selectorELNS0_4arch9wavefront6targetE0EEEvSF_
	.globl	_ZN7rocprim17ROCPRIM_400000_NS6detail17trampoline_kernelINS0_14default_configENS1_38merge_sort_block_merge_config_selectorIfNS0_10empty_typeEEEZZNS1_27merge_sort_block_merge_implIS3_PfPS5_jNS1_19radix_merge_compareILb0ELb0EfNS0_19identity_decomposerEEEEE10hipError_tT0_T1_T2_jT3_P12ihipStream_tbPNSt15iterator_traitsISE_E10value_typeEPNSK_ISF_E10value_typeEPSG_NS1_7vsmem_tEENKUlT_SE_SF_SG_E_clIS8_S8_S9_S9_EESD_ST_SE_SF_SG_EUlST_E1_NS1_11comp_targetILNS1_3genE9ELNS1_11target_archE1100ELNS1_3gpuE3ELNS1_3repE0EEENS1_36merge_oddeven_config_static_selectorELNS0_4arch9wavefront6targetE0EEEvSF_
	.p2align	8
	.type	_ZN7rocprim17ROCPRIM_400000_NS6detail17trampoline_kernelINS0_14default_configENS1_38merge_sort_block_merge_config_selectorIfNS0_10empty_typeEEEZZNS1_27merge_sort_block_merge_implIS3_PfPS5_jNS1_19radix_merge_compareILb0ELb0EfNS0_19identity_decomposerEEEEE10hipError_tT0_T1_T2_jT3_P12ihipStream_tbPNSt15iterator_traitsISE_E10value_typeEPNSK_ISF_E10value_typeEPSG_NS1_7vsmem_tEENKUlT_SE_SF_SG_E_clIS8_S8_S9_S9_EESD_ST_SE_SF_SG_EUlST_E1_NS1_11comp_targetILNS1_3genE9ELNS1_11target_archE1100ELNS1_3gpuE3ELNS1_3repE0EEENS1_36merge_oddeven_config_static_selectorELNS0_4arch9wavefront6targetE0EEEvSF_,@function
_ZN7rocprim17ROCPRIM_400000_NS6detail17trampoline_kernelINS0_14default_configENS1_38merge_sort_block_merge_config_selectorIfNS0_10empty_typeEEEZZNS1_27merge_sort_block_merge_implIS3_PfPS5_jNS1_19radix_merge_compareILb0ELb0EfNS0_19identity_decomposerEEEEE10hipError_tT0_T1_T2_jT3_P12ihipStream_tbPNSt15iterator_traitsISE_E10value_typeEPNSK_ISF_E10value_typeEPSG_NS1_7vsmem_tEENKUlT_SE_SF_SG_E_clIS8_S8_S9_S9_EESD_ST_SE_SF_SG_EUlST_E1_NS1_11comp_targetILNS1_3genE9ELNS1_11target_archE1100ELNS1_3gpuE3ELNS1_3repE0EEENS1_36merge_oddeven_config_static_selectorELNS0_4arch9wavefront6targetE0EEEvSF_: ; @_ZN7rocprim17ROCPRIM_400000_NS6detail17trampoline_kernelINS0_14default_configENS1_38merge_sort_block_merge_config_selectorIfNS0_10empty_typeEEEZZNS1_27merge_sort_block_merge_implIS3_PfPS5_jNS1_19radix_merge_compareILb0ELb0EfNS0_19identity_decomposerEEEEE10hipError_tT0_T1_T2_jT3_P12ihipStream_tbPNSt15iterator_traitsISE_E10value_typeEPNSK_ISF_E10value_typeEPSG_NS1_7vsmem_tEENKUlT_SE_SF_SG_E_clIS8_S8_S9_S9_EESD_ST_SE_SF_SG_EUlST_E1_NS1_11comp_targetILNS1_3genE9ELNS1_11target_archE1100ELNS1_3gpuE3ELNS1_3repE0EEENS1_36merge_oddeven_config_static_selectorELNS0_4arch9wavefront6targetE0EEEvSF_
; %bb.0:
	.section	.rodata,"a",@progbits
	.p2align	6, 0x0
	.amdhsa_kernel _ZN7rocprim17ROCPRIM_400000_NS6detail17trampoline_kernelINS0_14default_configENS1_38merge_sort_block_merge_config_selectorIfNS0_10empty_typeEEEZZNS1_27merge_sort_block_merge_implIS3_PfPS5_jNS1_19radix_merge_compareILb0ELb0EfNS0_19identity_decomposerEEEEE10hipError_tT0_T1_T2_jT3_P12ihipStream_tbPNSt15iterator_traitsISE_E10value_typeEPNSK_ISF_E10value_typeEPSG_NS1_7vsmem_tEENKUlT_SE_SF_SG_E_clIS8_S8_S9_S9_EESD_ST_SE_SF_SG_EUlST_E1_NS1_11comp_targetILNS1_3genE9ELNS1_11target_archE1100ELNS1_3gpuE3ELNS1_3repE0EEENS1_36merge_oddeven_config_static_selectorELNS0_4arch9wavefront6targetE0EEEvSF_
		.amdhsa_group_segment_fixed_size 0
		.amdhsa_private_segment_fixed_size 0
		.amdhsa_kernarg_size 48
		.amdhsa_user_sgpr_count 2
		.amdhsa_user_sgpr_dispatch_ptr 0
		.amdhsa_user_sgpr_queue_ptr 0
		.amdhsa_user_sgpr_kernarg_segment_ptr 1
		.amdhsa_user_sgpr_dispatch_id 0
		.amdhsa_user_sgpr_kernarg_preload_length 0
		.amdhsa_user_sgpr_kernarg_preload_offset 0
		.amdhsa_user_sgpr_private_segment_size 0
		.amdhsa_wavefront_size32 1
		.amdhsa_uses_dynamic_stack 0
		.amdhsa_enable_private_segment 0
		.amdhsa_system_sgpr_workgroup_id_x 1
		.amdhsa_system_sgpr_workgroup_id_y 0
		.amdhsa_system_sgpr_workgroup_id_z 0
		.amdhsa_system_sgpr_workgroup_info 0
		.amdhsa_system_vgpr_workitem_id 0
		.amdhsa_next_free_vgpr 1
		.amdhsa_next_free_sgpr 1
		.amdhsa_named_barrier_count 0
		.amdhsa_reserve_vcc 0
		.amdhsa_float_round_mode_32 0
		.amdhsa_float_round_mode_16_64 0
		.amdhsa_float_denorm_mode_32 3
		.amdhsa_float_denorm_mode_16_64 3
		.amdhsa_fp16_overflow 0
		.amdhsa_memory_ordered 1
		.amdhsa_forward_progress 1
		.amdhsa_inst_pref_size 0
		.amdhsa_round_robin_scheduling 0
		.amdhsa_exception_fp_ieee_invalid_op 0
		.amdhsa_exception_fp_denorm_src 0
		.amdhsa_exception_fp_ieee_div_zero 0
		.amdhsa_exception_fp_ieee_overflow 0
		.amdhsa_exception_fp_ieee_underflow 0
		.amdhsa_exception_fp_ieee_inexact 0
		.amdhsa_exception_int_div_zero 0
	.end_amdhsa_kernel
	.section	.text._ZN7rocprim17ROCPRIM_400000_NS6detail17trampoline_kernelINS0_14default_configENS1_38merge_sort_block_merge_config_selectorIfNS0_10empty_typeEEEZZNS1_27merge_sort_block_merge_implIS3_PfPS5_jNS1_19radix_merge_compareILb0ELb0EfNS0_19identity_decomposerEEEEE10hipError_tT0_T1_T2_jT3_P12ihipStream_tbPNSt15iterator_traitsISE_E10value_typeEPNSK_ISF_E10value_typeEPSG_NS1_7vsmem_tEENKUlT_SE_SF_SG_E_clIS8_S8_S9_S9_EESD_ST_SE_SF_SG_EUlST_E1_NS1_11comp_targetILNS1_3genE9ELNS1_11target_archE1100ELNS1_3gpuE3ELNS1_3repE0EEENS1_36merge_oddeven_config_static_selectorELNS0_4arch9wavefront6targetE0EEEvSF_,"axG",@progbits,_ZN7rocprim17ROCPRIM_400000_NS6detail17trampoline_kernelINS0_14default_configENS1_38merge_sort_block_merge_config_selectorIfNS0_10empty_typeEEEZZNS1_27merge_sort_block_merge_implIS3_PfPS5_jNS1_19radix_merge_compareILb0ELb0EfNS0_19identity_decomposerEEEEE10hipError_tT0_T1_T2_jT3_P12ihipStream_tbPNSt15iterator_traitsISE_E10value_typeEPNSK_ISF_E10value_typeEPSG_NS1_7vsmem_tEENKUlT_SE_SF_SG_E_clIS8_S8_S9_S9_EESD_ST_SE_SF_SG_EUlST_E1_NS1_11comp_targetILNS1_3genE9ELNS1_11target_archE1100ELNS1_3gpuE3ELNS1_3repE0EEENS1_36merge_oddeven_config_static_selectorELNS0_4arch9wavefront6targetE0EEEvSF_,comdat
.Lfunc_end1386:
	.size	_ZN7rocprim17ROCPRIM_400000_NS6detail17trampoline_kernelINS0_14default_configENS1_38merge_sort_block_merge_config_selectorIfNS0_10empty_typeEEEZZNS1_27merge_sort_block_merge_implIS3_PfPS5_jNS1_19radix_merge_compareILb0ELb0EfNS0_19identity_decomposerEEEEE10hipError_tT0_T1_T2_jT3_P12ihipStream_tbPNSt15iterator_traitsISE_E10value_typeEPNSK_ISF_E10value_typeEPSG_NS1_7vsmem_tEENKUlT_SE_SF_SG_E_clIS8_S8_S9_S9_EESD_ST_SE_SF_SG_EUlST_E1_NS1_11comp_targetILNS1_3genE9ELNS1_11target_archE1100ELNS1_3gpuE3ELNS1_3repE0EEENS1_36merge_oddeven_config_static_selectorELNS0_4arch9wavefront6targetE0EEEvSF_, .Lfunc_end1386-_ZN7rocprim17ROCPRIM_400000_NS6detail17trampoline_kernelINS0_14default_configENS1_38merge_sort_block_merge_config_selectorIfNS0_10empty_typeEEEZZNS1_27merge_sort_block_merge_implIS3_PfPS5_jNS1_19radix_merge_compareILb0ELb0EfNS0_19identity_decomposerEEEEE10hipError_tT0_T1_T2_jT3_P12ihipStream_tbPNSt15iterator_traitsISE_E10value_typeEPNSK_ISF_E10value_typeEPSG_NS1_7vsmem_tEENKUlT_SE_SF_SG_E_clIS8_S8_S9_S9_EESD_ST_SE_SF_SG_EUlST_E1_NS1_11comp_targetILNS1_3genE9ELNS1_11target_archE1100ELNS1_3gpuE3ELNS1_3repE0EEENS1_36merge_oddeven_config_static_selectorELNS0_4arch9wavefront6targetE0EEEvSF_
                                        ; -- End function
	.set _ZN7rocprim17ROCPRIM_400000_NS6detail17trampoline_kernelINS0_14default_configENS1_38merge_sort_block_merge_config_selectorIfNS0_10empty_typeEEEZZNS1_27merge_sort_block_merge_implIS3_PfPS5_jNS1_19radix_merge_compareILb0ELb0EfNS0_19identity_decomposerEEEEE10hipError_tT0_T1_T2_jT3_P12ihipStream_tbPNSt15iterator_traitsISE_E10value_typeEPNSK_ISF_E10value_typeEPSG_NS1_7vsmem_tEENKUlT_SE_SF_SG_E_clIS8_S8_S9_S9_EESD_ST_SE_SF_SG_EUlST_E1_NS1_11comp_targetILNS1_3genE9ELNS1_11target_archE1100ELNS1_3gpuE3ELNS1_3repE0EEENS1_36merge_oddeven_config_static_selectorELNS0_4arch9wavefront6targetE0EEEvSF_.num_vgpr, 0
	.set _ZN7rocprim17ROCPRIM_400000_NS6detail17trampoline_kernelINS0_14default_configENS1_38merge_sort_block_merge_config_selectorIfNS0_10empty_typeEEEZZNS1_27merge_sort_block_merge_implIS3_PfPS5_jNS1_19radix_merge_compareILb0ELb0EfNS0_19identity_decomposerEEEEE10hipError_tT0_T1_T2_jT3_P12ihipStream_tbPNSt15iterator_traitsISE_E10value_typeEPNSK_ISF_E10value_typeEPSG_NS1_7vsmem_tEENKUlT_SE_SF_SG_E_clIS8_S8_S9_S9_EESD_ST_SE_SF_SG_EUlST_E1_NS1_11comp_targetILNS1_3genE9ELNS1_11target_archE1100ELNS1_3gpuE3ELNS1_3repE0EEENS1_36merge_oddeven_config_static_selectorELNS0_4arch9wavefront6targetE0EEEvSF_.num_agpr, 0
	.set _ZN7rocprim17ROCPRIM_400000_NS6detail17trampoline_kernelINS0_14default_configENS1_38merge_sort_block_merge_config_selectorIfNS0_10empty_typeEEEZZNS1_27merge_sort_block_merge_implIS3_PfPS5_jNS1_19radix_merge_compareILb0ELb0EfNS0_19identity_decomposerEEEEE10hipError_tT0_T1_T2_jT3_P12ihipStream_tbPNSt15iterator_traitsISE_E10value_typeEPNSK_ISF_E10value_typeEPSG_NS1_7vsmem_tEENKUlT_SE_SF_SG_E_clIS8_S8_S9_S9_EESD_ST_SE_SF_SG_EUlST_E1_NS1_11comp_targetILNS1_3genE9ELNS1_11target_archE1100ELNS1_3gpuE3ELNS1_3repE0EEENS1_36merge_oddeven_config_static_selectorELNS0_4arch9wavefront6targetE0EEEvSF_.numbered_sgpr, 0
	.set _ZN7rocprim17ROCPRIM_400000_NS6detail17trampoline_kernelINS0_14default_configENS1_38merge_sort_block_merge_config_selectorIfNS0_10empty_typeEEEZZNS1_27merge_sort_block_merge_implIS3_PfPS5_jNS1_19radix_merge_compareILb0ELb0EfNS0_19identity_decomposerEEEEE10hipError_tT0_T1_T2_jT3_P12ihipStream_tbPNSt15iterator_traitsISE_E10value_typeEPNSK_ISF_E10value_typeEPSG_NS1_7vsmem_tEENKUlT_SE_SF_SG_E_clIS8_S8_S9_S9_EESD_ST_SE_SF_SG_EUlST_E1_NS1_11comp_targetILNS1_3genE9ELNS1_11target_archE1100ELNS1_3gpuE3ELNS1_3repE0EEENS1_36merge_oddeven_config_static_selectorELNS0_4arch9wavefront6targetE0EEEvSF_.num_named_barrier, 0
	.set _ZN7rocprim17ROCPRIM_400000_NS6detail17trampoline_kernelINS0_14default_configENS1_38merge_sort_block_merge_config_selectorIfNS0_10empty_typeEEEZZNS1_27merge_sort_block_merge_implIS3_PfPS5_jNS1_19radix_merge_compareILb0ELb0EfNS0_19identity_decomposerEEEEE10hipError_tT0_T1_T2_jT3_P12ihipStream_tbPNSt15iterator_traitsISE_E10value_typeEPNSK_ISF_E10value_typeEPSG_NS1_7vsmem_tEENKUlT_SE_SF_SG_E_clIS8_S8_S9_S9_EESD_ST_SE_SF_SG_EUlST_E1_NS1_11comp_targetILNS1_3genE9ELNS1_11target_archE1100ELNS1_3gpuE3ELNS1_3repE0EEENS1_36merge_oddeven_config_static_selectorELNS0_4arch9wavefront6targetE0EEEvSF_.private_seg_size, 0
	.set _ZN7rocprim17ROCPRIM_400000_NS6detail17trampoline_kernelINS0_14default_configENS1_38merge_sort_block_merge_config_selectorIfNS0_10empty_typeEEEZZNS1_27merge_sort_block_merge_implIS3_PfPS5_jNS1_19radix_merge_compareILb0ELb0EfNS0_19identity_decomposerEEEEE10hipError_tT0_T1_T2_jT3_P12ihipStream_tbPNSt15iterator_traitsISE_E10value_typeEPNSK_ISF_E10value_typeEPSG_NS1_7vsmem_tEENKUlT_SE_SF_SG_E_clIS8_S8_S9_S9_EESD_ST_SE_SF_SG_EUlST_E1_NS1_11comp_targetILNS1_3genE9ELNS1_11target_archE1100ELNS1_3gpuE3ELNS1_3repE0EEENS1_36merge_oddeven_config_static_selectorELNS0_4arch9wavefront6targetE0EEEvSF_.uses_vcc, 0
	.set _ZN7rocprim17ROCPRIM_400000_NS6detail17trampoline_kernelINS0_14default_configENS1_38merge_sort_block_merge_config_selectorIfNS0_10empty_typeEEEZZNS1_27merge_sort_block_merge_implIS3_PfPS5_jNS1_19radix_merge_compareILb0ELb0EfNS0_19identity_decomposerEEEEE10hipError_tT0_T1_T2_jT3_P12ihipStream_tbPNSt15iterator_traitsISE_E10value_typeEPNSK_ISF_E10value_typeEPSG_NS1_7vsmem_tEENKUlT_SE_SF_SG_E_clIS8_S8_S9_S9_EESD_ST_SE_SF_SG_EUlST_E1_NS1_11comp_targetILNS1_3genE9ELNS1_11target_archE1100ELNS1_3gpuE3ELNS1_3repE0EEENS1_36merge_oddeven_config_static_selectorELNS0_4arch9wavefront6targetE0EEEvSF_.uses_flat_scratch, 0
	.set _ZN7rocprim17ROCPRIM_400000_NS6detail17trampoline_kernelINS0_14default_configENS1_38merge_sort_block_merge_config_selectorIfNS0_10empty_typeEEEZZNS1_27merge_sort_block_merge_implIS3_PfPS5_jNS1_19radix_merge_compareILb0ELb0EfNS0_19identity_decomposerEEEEE10hipError_tT0_T1_T2_jT3_P12ihipStream_tbPNSt15iterator_traitsISE_E10value_typeEPNSK_ISF_E10value_typeEPSG_NS1_7vsmem_tEENKUlT_SE_SF_SG_E_clIS8_S8_S9_S9_EESD_ST_SE_SF_SG_EUlST_E1_NS1_11comp_targetILNS1_3genE9ELNS1_11target_archE1100ELNS1_3gpuE3ELNS1_3repE0EEENS1_36merge_oddeven_config_static_selectorELNS0_4arch9wavefront6targetE0EEEvSF_.has_dyn_sized_stack, 0
	.set _ZN7rocprim17ROCPRIM_400000_NS6detail17trampoline_kernelINS0_14default_configENS1_38merge_sort_block_merge_config_selectorIfNS0_10empty_typeEEEZZNS1_27merge_sort_block_merge_implIS3_PfPS5_jNS1_19radix_merge_compareILb0ELb0EfNS0_19identity_decomposerEEEEE10hipError_tT0_T1_T2_jT3_P12ihipStream_tbPNSt15iterator_traitsISE_E10value_typeEPNSK_ISF_E10value_typeEPSG_NS1_7vsmem_tEENKUlT_SE_SF_SG_E_clIS8_S8_S9_S9_EESD_ST_SE_SF_SG_EUlST_E1_NS1_11comp_targetILNS1_3genE9ELNS1_11target_archE1100ELNS1_3gpuE3ELNS1_3repE0EEENS1_36merge_oddeven_config_static_selectorELNS0_4arch9wavefront6targetE0EEEvSF_.has_recursion, 0
	.set _ZN7rocprim17ROCPRIM_400000_NS6detail17trampoline_kernelINS0_14default_configENS1_38merge_sort_block_merge_config_selectorIfNS0_10empty_typeEEEZZNS1_27merge_sort_block_merge_implIS3_PfPS5_jNS1_19radix_merge_compareILb0ELb0EfNS0_19identity_decomposerEEEEE10hipError_tT0_T1_T2_jT3_P12ihipStream_tbPNSt15iterator_traitsISE_E10value_typeEPNSK_ISF_E10value_typeEPSG_NS1_7vsmem_tEENKUlT_SE_SF_SG_E_clIS8_S8_S9_S9_EESD_ST_SE_SF_SG_EUlST_E1_NS1_11comp_targetILNS1_3genE9ELNS1_11target_archE1100ELNS1_3gpuE3ELNS1_3repE0EEENS1_36merge_oddeven_config_static_selectorELNS0_4arch9wavefront6targetE0EEEvSF_.has_indirect_call, 0
	.section	.AMDGPU.csdata,"",@progbits
; Kernel info:
; codeLenInByte = 0
; TotalNumSgprs: 0
; NumVgprs: 0
; ScratchSize: 0
; MemoryBound: 0
; FloatMode: 240
; IeeeMode: 1
; LDSByteSize: 0 bytes/workgroup (compile time only)
; SGPRBlocks: 0
; VGPRBlocks: 0
; NumSGPRsForWavesPerEU: 1
; NumVGPRsForWavesPerEU: 1
; NamedBarCnt: 0
; Occupancy: 16
; WaveLimiterHint : 0
; COMPUTE_PGM_RSRC2:SCRATCH_EN: 0
; COMPUTE_PGM_RSRC2:USER_SGPR: 2
; COMPUTE_PGM_RSRC2:TRAP_HANDLER: 0
; COMPUTE_PGM_RSRC2:TGID_X_EN: 1
; COMPUTE_PGM_RSRC2:TGID_Y_EN: 0
; COMPUTE_PGM_RSRC2:TGID_Z_EN: 0
; COMPUTE_PGM_RSRC2:TIDIG_COMP_CNT: 0
	.section	.text._ZN7rocprim17ROCPRIM_400000_NS6detail17trampoline_kernelINS0_14default_configENS1_38merge_sort_block_merge_config_selectorIfNS0_10empty_typeEEEZZNS1_27merge_sort_block_merge_implIS3_PfPS5_jNS1_19radix_merge_compareILb0ELb0EfNS0_19identity_decomposerEEEEE10hipError_tT0_T1_T2_jT3_P12ihipStream_tbPNSt15iterator_traitsISE_E10value_typeEPNSK_ISF_E10value_typeEPSG_NS1_7vsmem_tEENKUlT_SE_SF_SG_E_clIS8_S8_S9_S9_EESD_ST_SE_SF_SG_EUlST_E1_NS1_11comp_targetILNS1_3genE8ELNS1_11target_archE1030ELNS1_3gpuE2ELNS1_3repE0EEENS1_36merge_oddeven_config_static_selectorELNS0_4arch9wavefront6targetE0EEEvSF_,"axG",@progbits,_ZN7rocprim17ROCPRIM_400000_NS6detail17trampoline_kernelINS0_14default_configENS1_38merge_sort_block_merge_config_selectorIfNS0_10empty_typeEEEZZNS1_27merge_sort_block_merge_implIS3_PfPS5_jNS1_19radix_merge_compareILb0ELb0EfNS0_19identity_decomposerEEEEE10hipError_tT0_T1_T2_jT3_P12ihipStream_tbPNSt15iterator_traitsISE_E10value_typeEPNSK_ISF_E10value_typeEPSG_NS1_7vsmem_tEENKUlT_SE_SF_SG_E_clIS8_S8_S9_S9_EESD_ST_SE_SF_SG_EUlST_E1_NS1_11comp_targetILNS1_3genE8ELNS1_11target_archE1030ELNS1_3gpuE2ELNS1_3repE0EEENS1_36merge_oddeven_config_static_selectorELNS0_4arch9wavefront6targetE0EEEvSF_,comdat
	.protected	_ZN7rocprim17ROCPRIM_400000_NS6detail17trampoline_kernelINS0_14default_configENS1_38merge_sort_block_merge_config_selectorIfNS0_10empty_typeEEEZZNS1_27merge_sort_block_merge_implIS3_PfPS5_jNS1_19radix_merge_compareILb0ELb0EfNS0_19identity_decomposerEEEEE10hipError_tT0_T1_T2_jT3_P12ihipStream_tbPNSt15iterator_traitsISE_E10value_typeEPNSK_ISF_E10value_typeEPSG_NS1_7vsmem_tEENKUlT_SE_SF_SG_E_clIS8_S8_S9_S9_EESD_ST_SE_SF_SG_EUlST_E1_NS1_11comp_targetILNS1_3genE8ELNS1_11target_archE1030ELNS1_3gpuE2ELNS1_3repE0EEENS1_36merge_oddeven_config_static_selectorELNS0_4arch9wavefront6targetE0EEEvSF_ ; -- Begin function _ZN7rocprim17ROCPRIM_400000_NS6detail17trampoline_kernelINS0_14default_configENS1_38merge_sort_block_merge_config_selectorIfNS0_10empty_typeEEEZZNS1_27merge_sort_block_merge_implIS3_PfPS5_jNS1_19radix_merge_compareILb0ELb0EfNS0_19identity_decomposerEEEEE10hipError_tT0_T1_T2_jT3_P12ihipStream_tbPNSt15iterator_traitsISE_E10value_typeEPNSK_ISF_E10value_typeEPSG_NS1_7vsmem_tEENKUlT_SE_SF_SG_E_clIS8_S8_S9_S9_EESD_ST_SE_SF_SG_EUlST_E1_NS1_11comp_targetILNS1_3genE8ELNS1_11target_archE1030ELNS1_3gpuE2ELNS1_3repE0EEENS1_36merge_oddeven_config_static_selectorELNS0_4arch9wavefront6targetE0EEEvSF_
	.globl	_ZN7rocprim17ROCPRIM_400000_NS6detail17trampoline_kernelINS0_14default_configENS1_38merge_sort_block_merge_config_selectorIfNS0_10empty_typeEEEZZNS1_27merge_sort_block_merge_implIS3_PfPS5_jNS1_19radix_merge_compareILb0ELb0EfNS0_19identity_decomposerEEEEE10hipError_tT0_T1_T2_jT3_P12ihipStream_tbPNSt15iterator_traitsISE_E10value_typeEPNSK_ISF_E10value_typeEPSG_NS1_7vsmem_tEENKUlT_SE_SF_SG_E_clIS8_S8_S9_S9_EESD_ST_SE_SF_SG_EUlST_E1_NS1_11comp_targetILNS1_3genE8ELNS1_11target_archE1030ELNS1_3gpuE2ELNS1_3repE0EEENS1_36merge_oddeven_config_static_selectorELNS0_4arch9wavefront6targetE0EEEvSF_
	.p2align	8
	.type	_ZN7rocprim17ROCPRIM_400000_NS6detail17trampoline_kernelINS0_14default_configENS1_38merge_sort_block_merge_config_selectorIfNS0_10empty_typeEEEZZNS1_27merge_sort_block_merge_implIS3_PfPS5_jNS1_19radix_merge_compareILb0ELb0EfNS0_19identity_decomposerEEEEE10hipError_tT0_T1_T2_jT3_P12ihipStream_tbPNSt15iterator_traitsISE_E10value_typeEPNSK_ISF_E10value_typeEPSG_NS1_7vsmem_tEENKUlT_SE_SF_SG_E_clIS8_S8_S9_S9_EESD_ST_SE_SF_SG_EUlST_E1_NS1_11comp_targetILNS1_3genE8ELNS1_11target_archE1030ELNS1_3gpuE2ELNS1_3repE0EEENS1_36merge_oddeven_config_static_selectorELNS0_4arch9wavefront6targetE0EEEvSF_,@function
_ZN7rocprim17ROCPRIM_400000_NS6detail17trampoline_kernelINS0_14default_configENS1_38merge_sort_block_merge_config_selectorIfNS0_10empty_typeEEEZZNS1_27merge_sort_block_merge_implIS3_PfPS5_jNS1_19radix_merge_compareILb0ELb0EfNS0_19identity_decomposerEEEEE10hipError_tT0_T1_T2_jT3_P12ihipStream_tbPNSt15iterator_traitsISE_E10value_typeEPNSK_ISF_E10value_typeEPSG_NS1_7vsmem_tEENKUlT_SE_SF_SG_E_clIS8_S8_S9_S9_EESD_ST_SE_SF_SG_EUlST_E1_NS1_11comp_targetILNS1_3genE8ELNS1_11target_archE1030ELNS1_3gpuE2ELNS1_3repE0EEENS1_36merge_oddeven_config_static_selectorELNS0_4arch9wavefront6targetE0EEEvSF_: ; @_ZN7rocprim17ROCPRIM_400000_NS6detail17trampoline_kernelINS0_14default_configENS1_38merge_sort_block_merge_config_selectorIfNS0_10empty_typeEEEZZNS1_27merge_sort_block_merge_implIS3_PfPS5_jNS1_19radix_merge_compareILb0ELb0EfNS0_19identity_decomposerEEEEE10hipError_tT0_T1_T2_jT3_P12ihipStream_tbPNSt15iterator_traitsISE_E10value_typeEPNSK_ISF_E10value_typeEPSG_NS1_7vsmem_tEENKUlT_SE_SF_SG_E_clIS8_S8_S9_S9_EESD_ST_SE_SF_SG_EUlST_E1_NS1_11comp_targetILNS1_3genE8ELNS1_11target_archE1030ELNS1_3gpuE2ELNS1_3repE0EEENS1_36merge_oddeven_config_static_selectorELNS0_4arch9wavefront6targetE0EEEvSF_
; %bb.0:
	.section	.rodata,"a",@progbits
	.p2align	6, 0x0
	.amdhsa_kernel _ZN7rocprim17ROCPRIM_400000_NS6detail17trampoline_kernelINS0_14default_configENS1_38merge_sort_block_merge_config_selectorIfNS0_10empty_typeEEEZZNS1_27merge_sort_block_merge_implIS3_PfPS5_jNS1_19radix_merge_compareILb0ELb0EfNS0_19identity_decomposerEEEEE10hipError_tT0_T1_T2_jT3_P12ihipStream_tbPNSt15iterator_traitsISE_E10value_typeEPNSK_ISF_E10value_typeEPSG_NS1_7vsmem_tEENKUlT_SE_SF_SG_E_clIS8_S8_S9_S9_EESD_ST_SE_SF_SG_EUlST_E1_NS1_11comp_targetILNS1_3genE8ELNS1_11target_archE1030ELNS1_3gpuE2ELNS1_3repE0EEENS1_36merge_oddeven_config_static_selectorELNS0_4arch9wavefront6targetE0EEEvSF_
		.amdhsa_group_segment_fixed_size 0
		.amdhsa_private_segment_fixed_size 0
		.amdhsa_kernarg_size 48
		.amdhsa_user_sgpr_count 2
		.amdhsa_user_sgpr_dispatch_ptr 0
		.amdhsa_user_sgpr_queue_ptr 0
		.amdhsa_user_sgpr_kernarg_segment_ptr 1
		.amdhsa_user_sgpr_dispatch_id 0
		.amdhsa_user_sgpr_kernarg_preload_length 0
		.amdhsa_user_sgpr_kernarg_preload_offset 0
		.amdhsa_user_sgpr_private_segment_size 0
		.amdhsa_wavefront_size32 1
		.amdhsa_uses_dynamic_stack 0
		.amdhsa_enable_private_segment 0
		.amdhsa_system_sgpr_workgroup_id_x 1
		.amdhsa_system_sgpr_workgroup_id_y 0
		.amdhsa_system_sgpr_workgroup_id_z 0
		.amdhsa_system_sgpr_workgroup_info 0
		.amdhsa_system_vgpr_workitem_id 0
		.amdhsa_next_free_vgpr 1
		.amdhsa_next_free_sgpr 1
		.amdhsa_named_barrier_count 0
		.amdhsa_reserve_vcc 0
		.amdhsa_float_round_mode_32 0
		.amdhsa_float_round_mode_16_64 0
		.amdhsa_float_denorm_mode_32 3
		.amdhsa_float_denorm_mode_16_64 3
		.amdhsa_fp16_overflow 0
		.amdhsa_memory_ordered 1
		.amdhsa_forward_progress 1
		.amdhsa_inst_pref_size 0
		.amdhsa_round_robin_scheduling 0
		.amdhsa_exception_fp_ieee_invalid_op 0
		.amdhsa_exception_fp_denorm_src 0
		.amdhsa_exception_fp_ieee_div_zero 0
		.amdhsa_exception_fp_ieee_overflow 0
		.amdhsa_exception_fp_ieee_underflow 0
		.amdhsa_exception_fp_ieee_inexact 0
		.amdhsa_exception_int_div_zero 0
	.end_amdhsa_kernel
	.section	.text._ZN7rocprim17ROCPRIM_400000_NS6detail17trampoline_kernelINS0_14default_configENS1_38merge_sort_block_merge_config_selectorIfNS0_10empty_typeEEEZZNS1_27merge_sort_block_merge_implIS3_PfPS5_jNS1_19radix_merge_compareILb0ELb0EfNS0_19identity_decomposerEEEEE10hipError_tT0_T1_T2_jT3_P12ihipStream_tbPNSt15iterator_traitsISE_E10value_typeEPNSK_ISF_E10value_typeEPSG_NS1_7vsmem_tEENKUlT_SE_SF_SG_E_clIS8_S8_S9_S9_EESD_ST_SE_SF_SG_EUlST_E1_NS1_11comp_targetILNS1_3genE8ELNS1_11target_archE1030ELNS1_3gpuE2ELNS1_3repE0EEENS1_36merge_oddeven_config_static_selectorELNS0_4arch9wavefront6targetE0EEEvSF_,"axG",@progbits,_ZN7rocprim17ROCPRIM_400000_NS6detail17trampoline_kernelINS0_14default_configENS1_38merge_sort_block_merge_config_selectorIfNS0_10empty_typeEEEZZNS1_27merge_sort_block_merge_implIS3_PfPS5_jNS1_19radix_merge_compareILb0ELb0EfNS0_19identity_decomposerEEEEE10hipError_tT0_T1_T2_jT3_P12ihipStream_tbPNSt15iterator_traitsISE_E10value_typeEPNSK_ISF_E10value_typeEPSG_NS1_7vsmem_tEENKUlT_SE_SF_SG_E_clIS8_S8_S9_S9_EESD_ST_SE_SF_SG_EUlST_E1_NS1_11comp_targetILNS1_3genE8ELNS1_11target_archE1030ELNS1_3gpuE2ELNS1_3repE0EEENS1_36merge_oddeven_config_static_selectorELNS0_4arch9wavefront6targetE0EEEvSF_,comdat
.Lfunc_end1387:
	.size	_ZN7rocprim17ROCPRIM_400000_NS6detail17trampoline_kernelINS0_14default_configENS1_38merge_sort_block_merge_config_selectorIfNS0_10empty_typeEEEZZNS1_27merge_sort_block_merge_implIS3_PfPS5_jNS1_19radix_merge_compareILb0ELb0EfNS0_19identity_decomposerEEEEE10hipError_tT0_T1_T2_jT3_P12ihipStream_tbPNSt15iterator_traitsISE_E10value_typeEPNSK_ISF_E10value_typeEPSG_NS1_7vsmem_tEENKUlT_SE_SF_SG_E_clIS8_S8_S9_S9_EESD_ST_SE_SF_SG_EUlST_E1_NS1_11comp_targetILNS1_3genE8ELNS1_11target_archE1030ELNS1_3gpuE2ELNS1_3repE0EEENS1_36merge_oddeven_config_static_selectorELNS0_4arch9wavefront6targetE0EEEvSF_, .Lfunc_end1387-_ZN7rocprim17ROCPRIM_400000_NS6detail17trampoline_kernelINS0_14default_configENS1_38merge_sort_block_merge_config_selectorIfNS0_10empty_typeEEEZZNS1_27merge_sort_block_merge_implIS3_PfPS5_jNS1_19radix_merge_compareILb0ELb0EfNS0_19identity_decomposerEEEEE10hipError_tT0_T1_T2_jT3_P12ihipStream_tbPNSt15iterator_traitsISE_E10value_typeEPNSK_ISF_E10value_typeEPSG_NS1_7vsmem_tEENKUlT_SE_SF_SG_E_clIS8_S8_S9_S9_EESD_ST_SE_SF_SG_EUlST_E1_NS1_11comp_targetILNS1_3genE8ELNS1_11target_archE1030ELNS1_3gpuE2ELNS1_3repE0EEENS1_36merge_oddeven_config_static_selectorELNS0_4arch9wavefront6targetE0EEEvSF_
                                        ; -- End function
	.set _ZN7rocprim17ROCPRIM_400000_NS6detail17trampoline_kernelINS0_14default_configENS1_38merge_sort_block_merge_config_selectorIfNS0_10empty_typeEEEZZNS1_27merge_sort_block_merge_implIS3_PfPS5_jNS1_19radix_merge_compareILb0ELb0EfNS0_19identity_decomposerEEEEE10hipError_tT0_T1_T2_jT3_P12ihipStream_tbPNSt15iterator_traitsISE_E10value_typeEPNSK_ISF_E10value_typeEPSG_NS1_7vsmem_tEENKUlT_SE_SF_SG_E_clIS8_S8_S9_S9_EESD_ST_SE_SF_SG_EUlST_E1_NS1_11comp_targetILNS1_3genE8ELNS1_11target_archE1030ELNS1_3gpuE2ELNS1_3repE0EEENS1_36merge_oddeven_config_static_selectorELNS0_4arch9wavefront6targetE0EEEvSF_.num_vgpr, 0
	.set _ZN7rocprim17ROCPRIM_400000_NS6detail17trampoline_kernelINS0_14default_configENS1_38merge_sort_block_merge_config_selectorIfNS0_10empty_typeEEEZZNS1_27merge_sort_block_merge_implIS3_PfPS5_jNS1_19radix_merge_compareILb0ELb0EfNS0_19identity_decomposerEEEEE10hipError_tT0_T1_T2_jT3_P12ihipStream_tbPNSt15iterator_traitsISE_E10value_typeEPNSK_ISF_E10value_typeEPSG_NS1_7vsmem_tEENKUlT_SE_SF_SG_E_clIS8_S8_S9_S9_EESD_ST_SE_SF_SG_EUlST_E1_NS1_11comp_targetILNS1_3genE8ELNS1_11target_archE1030ELNS1_3gpuE2ELNS1_3repE0EEENS1_36merge_oddeven_config_static_selectorELNS0_4arch9wavefront6targetE0EEEvSF_.num_agpr, 0
	.set _ZN7rocprim17ROCPRIM_400000_NS6detail17trampoline_kernelINS0_14default_configENS1_38merge_sort_block_merge_config_selectorIfNS0_10empty_typeEEEZZNS1_27merge_sort_block_merge_implIS3_PfPS5_jNS1_19radix_merge_compareILb0ELb0EfNS0_19identity_decomposerEEEEE10hipError_tT0_T1_T2_jT3_P12ihipStream_tbPNSt15iterator_traitsISE_E10value_typeEPNSK_ISF_E10value_typeEPSG_NS1_7vsmem_tEENKUlT_SE_SF_SG_E_clIS8_S8_S9_S9_EESD_ST_SE_SF_SG_EUlST_E1_NS1_11comp_targetILNS1_3genE8ELNS1_11target_archE1030ELNS1_3gpuE2ELNS1_3repE0EEENS1_36merge_oddeven_config_static_selectorELNS0_4arch9wavefront6targetE0EEEvSF_.numbered_sgpr, 0
	.set _ZN7rocprim17ROCPRIM_400000_NS6detail17trampoline_kernelINS0_14default_configENS1_38merge_sort_block_merge_config_selectorIfNS0_10empty_typeEEEZZNS1_27merge_sort_block_merge_implIS3_PfPS5_jNS1_19radix_merge_compareILb0ELb0EfNS0_19identity_decomposerEEEEE10hipError_tT0_T1_T2_jT3_P12ihipStream_tbPNSt15iterator_traitsISE_E10value_typeEPNSK_ISF_E10value_typeEPSG_NS1_7vsmem_tEENKUlT_SE_SF_SG_E_clIS8_S8_S9_S9_EESD_ST_SE_SF_SG_EUlST_E1_NS1_11comp_targetILNS1_3genE8ELNS1_11target_archE1030ELNS1_3gpuE2ELNS1_3repE0EEENS1_36merge_oddeven_config_static_selectorELNS0_4arch9wavefront6targetE0EEEvSF_.num_named_barrier, 0
	.set _ZN7rocprim17ROCPRIM_400000_NS6detail17trampoline_kernelINS0_14default_configENS1_38merge_sort_block_merge_config_selectorIfNS0_10empty_typeEEEZZNS1_27merge_sort_block_merge_implIS3_PfPS5_jNS1_19radix_merge_compareILb0ELb0EfNS0_19identity_decomposerEEEEE10hipError_tT0_T1_T2_jT3_P12ihipStream_tbPNSt15iterator_traitsISE_E10value_typeEPNSK_ISF_E10value_typeEPSG_NS1_7vsmem_tEENKUlT_SE_SF_SG_E_clIS8_S8_S9_S9_EESD_ST_SE_SF_SG_EUlST_E1_NS1_11comp_targetILNS1_3genE8ELNS1_11target_archE1030ELNS1_3gpuE2ELNS1_3repE0EEENS1_36merge_oddeven_config_static_selectorELNS0_4arch9wavefront6targetE0EEEvSF_.private_seg_size, 0
	.set _ZN7rocprim17ROCPRIM_400000_NS6detail17trampoline_kernelINS0_14default_configENS1_38merge_sort_block_merge_config_selectorIfNS0_10empty_typeEEEZZNS1_27merge_sort_block_merge_implIS3_PfPS5_jNS1_19radix_merge_compareILb0ELb0EfNS0_19identity_decomposerEEEEE10hipError_tT0_T1_T2_jT3_P12ihipStream_tbPNSt15iterator_traitsISE_E10value_typeEPNSK_ISF_E10value_typeEPSG_NS1_7vsmem_tEENKUlT_SE_SF_SG_E_clIS8_S8_S9_S9_EESD_ST_SE_SF_SG_EUlST_E1_NS1_11comp_targetILNS1_3genE8ELNS1_11target_archE1030ELNS1_3gpuE2ELNS1_3repE0EEENS1_36merge_oddeven_config_static_selectorELNS0_4arch9wavefront6targetE0EEEvSF_.uses_vcc, 0
	.set _ZN7rocprim17ROCPRIM_400000_NS6detail17trampoline_kernelINS0_14default_configENS1_38merge_sort_block_merge_config_selectorIfNS0_10empty_typeEEEZZNS1_27merge_sort_block_merge_implIS3_PfPS5_jNS1_19radix_merge_compareILb0ELb0EfNS0_19identity_decomposerEEEEE10hipError_tT0_T1_T2_jT3_P12ihipStream_tbPNSt15iterator_traitsISE_E10value_typeEPNSK_ISF_E10value_typeEPSG_NS1_7vsmem_tEENKUlT_SE_SF_SG_E_clIS8_S8_S9_S9_EESD_ST_SE_SF_SG_EUlST_E1_NS1_11comp_targetILNS1_3genE8ELNS1_11target_archE1030ELNS1_3gpuE2ELNS1_3repE0EEENS1_36merge_oddeven_config_static_selectorELNS0_4arch9wavefront6targetE0EEEvSF_.uses_flat_scratch, 0
	.set _ZN7rocprim17ROCPRIM_400000_NS6detail17trampoline_kernelINS0_14default_configENS1_38merge_sort_block_merge_config_selectorIfNS0_10empty_typeEEEZZNS1_27merge_sort_block_merge_implIS3_PfPS5_jNS1_19radix_merge_compareILb0ELb0EfNS0_19identity_decomposerEEEEE10hipError_tT0_T1_T2_jT3_P12ihipStream_tbPNSt15iterator_traitsISE_E10value_typeEPNSK_ISF_E10value_typeEPSG_NS1_7vsmem_tEENKUlT_SE_SF_SG_E_clIS8_S8_S9_S9_EESD_ST_SE_SF_SG_EUlST_E1_NS1_11comp_targetILNS1_3genE8ELNS1_11target_archE1030ELNS1_3gpuE2ELNS1_3repE0EEENS1_36merge_oddeven_config_static_selectorELNS0_4arch9wavefront6targetE0EEEvSF_.has_dyn_sized_stack, 0
	.set _ZN7rocprim17ROCPRIM_400000_NS6detail17trampoline_kernelINS0_14default_configENS1_38merge_sort_block_merge_config_selectorIfNS0_10empty_typeEEEZZNS1_27merge_sort_block_merge_implIS3_PfPS5_jNS1_19radix_merge_compareILb0ELb0EfNS0_19identity_decomposerEEEEE10hipError_tT0_T1_T2_jT3_P12ihipStream_tbPNSt15iterator_traitsISE_E10value_typeEPNSK_ISF_E10value_typeEPSG_NS1_7vsmem_tEENKUlT_SE_SF_SG_E_clIS8_S8_S9_S9_EESD_ST_SE_SF_SG_EUlST_E1_NS1_11comp_targetILNS1_3genE8ELNS1_11target_archE1030ELNS1_3gpuE2ELNS1_3repE0EEENS1_36merge_oddeven_config_static_selectorELNS0_4arch9wavefront6targetE0EEEvSF_.has_recursion, 0
	.set _ZN7rocprim17ROCPRIM_400000_NS6detail17trampoline_kernelINS0_14default_configENS1_38merge_sort_block_merge_config_selectorIfNS0_10empty_typeEEEZZNS1_27merge_sort_block_merge_implIS3_PfPS5_jNS1_19radix_merge_compareILb0ELb0EfNS0_19identity_decomposerEEEEE10hipError_tT0_T1_T2_jT3_P12ihipStream_tbPNSt15iterator_traitsISE_E10value_typeEPNSK_ISF_E10value_typeEPSG_NS1_7vsmem_tEENKUlT_SE_SF_SG_E_clIS8_S8_S9_S9_EESD_ST_SE_SF_SG_EUlST_E1_NS1_11comp_targetILNS1_3genE8ELNS1_11target_archE1030ELNS1_3gpuE2ELNS1_3repE0EEENS1_36merge_oddeven_config_static_selectorELNS0_4arch9wavefront6targetE0EEEvSF_.has_indirect_call, 0
	.section	.AMDGPU.csdata,"",@progbits
; Kernel info:
; codeLenInByte = 0
; TotalNumSgprs: 0
; NumVgprs: 0
; ScratchSize: 0
; MemoryBound: 0
; FloatMode: 240
; IeeeMode: 1
; LDSByteSize: 0 bytes/workgroup (compile time only)
; SGPRBlocks: 0
; VGPRBlocks: 0
; NumSGPRsForWavesPerEU: 1
; NumVGPRsForWavesPerEU: 1
; NamedBarCnt: 0
; Occupancy: 16
; WaveLimiterHint : 0
; COMPUTE_PGM_RSRC2:SCRATCH_EN: 0
; COMPUTE_PGM_RSRC2:USER_SGPR: 2
; COMPUTE_PGM_RSRC2:TRAP_HANDLER: 0
; COMPUTE_PGM_RSRC2:TGID_X_EN: 1
; COMPUTE_PGM_RSRC2:TGID_Y_EN: 0
; COMPUTE_PGM_RSRC2:TGID_Z_EN: 0
; COMPUTE_PGM_RSRC2:TIDIG_COMP_CNT: 0
	.section	.text._ZN7rocprim17ROCPRIM_400000_NS6detail17trampoline_kernelINS0_14default_configENS1_35radix_sort_onesweep_config_selectorIfNS0_10empty_typeEEEZNS1_34radix_sort_onesweep_global_offsetsIS3_Lb0EPKfPS5_mNS0_19identity_decomposerEEE10hipError_tT1_T2_PT3_SF_jT4_jjP12ihipStream_tbEUlT_E_NS1_11comp_targetILNS1_3genE0ELNS1_11target_archE4294967295ELNS1_3gpuE0ELNS1_3repE0EEENS1_52radix_sort_onesweep_histogram_config_static_selectorELNS0_4arch9wavefront6targetE0EEEvSD_,"axG",@progbits,_ZN7rocprim17ROCPRIM_400000_NS6detail17trampoline_kernelINS0_14default_configENS1_35radix_sort_onesweep_config_selectorIfNS0_10empty_typeEEEZNS1_34radix_sort_onesweep_global_offsetsIS3_Lb0EPKfPS5_mNS0_19identity_decomposerEEE10hipError_tT1_T2_PT3_SF_jT4_jjP12ihipStream_tbEUlT_E_NS1_11comp_targetILNS1_3genE0ELNS1_11target_archE4294967295ELNS1_3gpuE0ELNS1_3repE0EEENS1_52radix_sort_onesweep_histogram_config_static_selectorELNS0_4arch9wavefront6targetE0EEEvSD_,comdat
	.protected	_ZN7rocprim17ROCPRIM_400000_NS6detail17trampoline_kernelINS0_14default_configENS1_35radix_sort_onesweep_config_selectorIfNS0_10empty_typeEEEZNS1_34radix_sort_onesweep_global_offsetsIS3_Lb0EPKfPS5_mNS0_19identity_decomposerEEE10hipError_tT1_T2_PT3_SF_jT4_jjP12ihipStream_tbEUlT_E_NS1_11comp_targetILNS1_3genE0ELNS1_11target_archE4294967295ELNS1_3gpuE0ELNS1_3repE0EEENS1_52radix_sort_onesweep_histogram_config_static_selectorELNS0_4arch9wavefront6targetE0EEEvSD_ ; -- Begin function _ZN7rocprim17ROCPRIM_400000_NS6detail17trampoline_kernelINS0_14default_configENS1_35radix_sort_onesweep_config_selectorIfNS0_10empty_typeEEEZNS1_34radix_sort_onesweep_global_offsetsIS3_Lb0EPKfPS5_mNS0_19identity_decomposerEEE10hipError_tT1_T2_PT3_SF_jT4_jjP12ihipStream_tbEUlT_E_NS1_11comp_targetILNS1_3genE0ELNS1_11target_archE4294967295ELNS1_3gpuE0ELNS1_3repE0EEENS1_52radix_sort_onesweep_histogram_config_static_selectorELNS0_4arch9wavefront6targetE0EEEvSD_
	.globl	_ZN7rocprim17ROCPRIM_400000_NS6detail17trampoline_kernelINS0_14default_configENS1_35radix_sort_onesweep_config_selectorIfNS0_10empty_typeEEEZNS1_34radix_sort_onesweep_global_offsetsIS3_Lb0EPKfPS5_mNS0_19identity_decomposerEEE10hipError_tT1_T2_PT3_SF_jT4_jjP12ihipStream_tbEUlT_E_NS1_11comp_targetILNS1_3genE0ELNS1_11target_archE4294967295ELNS1_3gpuE0ELNS1_3repE0EEENS1_52radix_sort_onesweep_histogram_config_static_selectorELNS0_4arch9wavefront6targetE0EEEvSD_
	.p2align	8
	.type	_ZN7rocprim17ROCPRIM_400000_NS6detail17trampoline_kernelINS0_14default_configENS1_35radix_sort_onesweep_config_selectorIfNS0_10empty_typeEEEZNS1_34radix_sort_onesweep_global_offsetsIS3_Lb0EPKfPS5_mNS0_19identity_decomposerEEE10hipError_tT1_T2_PT3_SF_jT4_jjP12ihipStream_tbEUlT_E_NS1_11comp_targetILNS1_3genE0ELNS1_11target_archE4294967295ELNS1_3gpuE0ELNS1_3repE0EEENS1_52radix_sort_onesweep_histogram_config_static_selectorELNS0_4arch9wavefront6targetE0EEEvSD_,@function
_ZN7rocprim17ROCPRIM_400000_NS6detail17trampoline_kernelINS0_14default_configENS1_35radix_sort_onesweep_config_selectorIfNS0_10empty_typeEEEZNS1_34radix_sort_onesweep_global_offsetsIS3_Lb0EPKfPS5_mNS0_19identity_decomposerEEE10hipError_tT1_T2_PT3_SF_jT4_jjP12ihipStream_tbEUlT_E_NS1_11comp_targetILNS1_3genE0ELNS1_11target_archE4294967295ELNS1_3gpuE0ELNS1_3repE0EEENS1_52radix_sort_onesweep_histogram_config_static_selectorELNS0_4arch9wavefront6targetE0EEEvSD_: ; @_ZN7rocprim17ROCPRIM_400000_NS6detail17trampoline_kernelINS0_14default_configENS1_35radix_sort_onesweep_config_selectorIfNS0_10empty_typeEEEZNS1_34radix_sort_onesweep_global_offsetsIS3_Lb0EPKfPS5_mNS0_19identity_decomposerEEE10hipError_tT1_T2_PT3_SF_jT4_jjP12ihipStream_tbEUlT_E_NS1_11comp_targetILNS1_3genE0ELNS1_11target_archE4294967295ELNS1_3gpuE0ELNS1_3repE0EEENS1_52radix_sort_onesweep_histogram_config_static_selectorELNS0_4arch9wavefront6targetE0EEEvSD_
; %bb.0:
	s_clause 0x1
	s_load_b64 s[8:9], s[0:1], 0x18
	s_load_b128 s[4:7], s[0:1], 0x0
	s_bfe_u32 s10, ttmp6, 0x4000c
	s_load_b64 s[2:3], s[0:1], 0x24
	s_add_co_i32 s10, s10, 1
	s_and_b32 s11, ttmp6, 15
	s_mul_i32 s10, ttmp9, s10
	s_getreg_b32 s12, hwreg(HW_REG_IB_STS2, 6, 4)
	s_add_co_i32 s10, s11, s10
	s_cmp_eq_u32 s12, 0
	s_mov_b32 s11, 0
	s_cselect_b32 s10, ttmp9, s10
	s_wait_kmcnt 0x0
	v_cmp_le_u64_e64 s9, s[8:9], s[10:11]
	s_mul_u64 s[10:11], s[10:11], 0x6000
	s_delay_alu instid0(SALU_CYCLE_1)
	s_add_nc_u64 s[4:5], s[4:5], s[10:11]
	s_and_b32 vcc_lo, exec_lo, s9
	s_mov_b32 s9, -1
	s_cbranch_vccz .LBB1388_243
; %bb.1:
	s_load_b32 s1, s[0:1], 0x10
	s_wait_xcnt 0x0
	s_mul_i32 s0, s8, 0xffffe800
                                        ; implicit-def: $vgpr25
	s_wait_kmcnt 0x0
	s_add_co_i32 s1, s1, s0
	s_mov_b32 s0, exec_lo
	v_cmpx_gt_u32_e64 s1, v0
	s_cbranch_execz .LBB1388_3
; %bb.2:
	global_load_b32 v25, v0, s[4:5] scale_offset
.LBB1388_3:
	s_wait_xcnt 0x0
	s_or_b32 exec_lo, exec_lo, s0
	v_or_b32_e32 v23, 0x200, v0
	s_mov_b32 s0, exec_lo
                                        ; implicit-def: $vgpr24
	s_delay_alu instid0(VALU_DEP_1)
	v_cmpx_gt_u32_e64 s1, v23
	s_cbranch_execz .LBB1388_5
; %bb.4:
	global_load_b32 v24, v0, s[4:5] offset:2048 scale_offset
.LBB1388_5:
	s_wait_xcnt 0x0
	s_or_b32 exec_lo, exec_lo, s0
	v_or_b32_e32 v21, 0x400, v0
	s_mov_b32 s0, exec_lo
                                        ; implicit-def: $vgpr22
	s_delay_alu instid0(VALU_DEP_1)
	v_cmpx_gt_u32_e64 s1, v21
	s_cbranch_execz .LBB1388_7
; %bb.6:
	global_load_b32 v22, v0, s[4:5] offset:4096 scale_offset
.LBB1388_7:
	s_wait_xcnt 0x0
	s_or_b32 exec_lo, exec_lo, s0
	v_or_b32_e32 v19, 0x600, v0
	s_mov_b32 s0, exec_lo
                                        ; implicit-def: $vgpr20
	s_delay_alu instid0(VALU_DEP_1)
	v_cmpx_gt_u32_e64 s1, v19
	s_cbranch_execz .LBB1388_9
; %bb.8:
	global_load_b32 v20, v0, s[4:5] offset:6144 scale_offset
.LBB1388_9:
	s_wait_xcnt 0x0
	s_or_b32 exec_lo, exec_lo, s0
	v_or_b32_e32 v17, 0x800, v0
	s_mov_b32 s0, exec_lo
                                        ; implicit-def: $vgpr18
	s_delay_alu instid0(VALU_DEP_1)
	v_cmpx_gt_u32_e64 s1, v17
	s_cbranch_execz .LBB1388_11
; %bb.10:
	global_load_b32 v18, v0, s[4:5] offset:8192 scale_offset
.LBB1388_11:
	s_wait_xcnt 0x0
	s_or_b32 exec_lo, exec_lo, s0
	v_or_b32_e32 v15, 0xa00, v0
	s_mov_b32 s0, exec_lo
                                        ; implicit-def: $vgpr16
	s_delay_alu instid0(VALU_DEP_1)
	v_cmpx_gt_u32_e64 s1, v15
	s_cbranch_execz .LBB1388_13
; %bb.12:
	global_load_b32 v16, v0, s[4:5] offset:10240 scale_offset
.LBB1388_13:
	s_wait_xcnt 0x0
	s_or_b32 exec_lo, exec_lo, s0
	v_or_b32_e32 v13, 0xc00, v0
	s_mov_b32 s0, exec_lo
                                        ; implicit-def: $vgpr14
	s_delay_alu instid0(VALU_DEP_1)
	v_cmpx_gt_u32_e64 s1, v13
	s_cbranch_execz .LBB1388_15
; %bb.14:
	global_load_b32 v14, v0, s[4:5] offset:12288 scale_offset
.LBB1388_15:
	s_wait_xcnt 0x0
	s_or_b32 exec_lo, exec_lo, s0
	v_or_b32_e32 v11, 0xe00, v0
	s_mov_b32 s0, exec_lo
                                        ; implicit-def: $vgpr12
	s_delay_alu instid0(VALU_DEP_1)
	v_cmpx_gt_u32_e64 s1, v11
	s_cbranch_execz .LBB1388_17
; %bb.16:
	global_load_b32 v12, v0, s[4:5] offset:14336 scale_offset
.LBB1388_17:
	s_wait_xcnt 0x0
	s_or_b32 exec_lo, exec_lo, s0
	v_or_b32_e32 v9, 0x1000, v0
	s_mov_b32 s0, exec_lo
                                        ; implicit-def: $vgpr10
	s_delay_alu instid0(VALU_DEP_1)
	v_cmpx_gt_u32_e64 s1, v9
	s_cbranch_execz .LBB1388_19
; %bb.18:
	global_load_b32 v10, v0, s[4:5] offset:16384 scale_offset
.LBB1388_19:
	s_wait_xcnt 0x0
	s_or_b32 exec_lo, exec_lo, s0
	v_or_b32_e32 v7, 0x1200, v0
	s_mov_b32 s0, exec_lo
                                        ; implicit-def: $vgpr8
	s_delay_alu instid0(VALU_DEP_1)
	v_cmpx_gt_u32_e64 s1, v7
	s_cbranch_execz .LBB1388_21
; %bb.20:
	global_load_b32 v8, v0, s[4:5] offset:18432 scale_offset
.LBB1388_21:
	s_wait_xcnt 0x0
	s_or_b32 exec_lo, exec_lo, s0
	v_or_b32_e32 v5, 0x1400, v0
	s_mov_b32 s0, exec_lo
                                        ; implicit-def: $vgpr6
	s_delay_alu instid0(VALU_DEP_1)
	v_cmpx_gt_u32_e64 s1, v5
	s_cbranch_execz .LBB1388_23
; %bb.22:
	global_load_b32 v6, v0, s[4:5] offset:20480 scale_offset
.LBB1388_23:
	s_wait_xcnt 0x0
	s_or_b32 exec_lo, exec_lo, s0
	v_or_b32_e32 v3, 0x1600, v0
	s_mov_b32 s0, exec_lo
                                        ; implicit-def: $vgpr4
	s_delay_alu instid0(VALU_DEP_1)
	v_cmpx_gt_u32_e64 s1, v3
	s_cbranch_execz .LBB1388_25
; %bb.24:
	global_load_b32 v4, v0, s[4:5] offset:22528 scale_offset
.LBB1388_25:
	s_wait_xcnt 0x0
	s_or_b32 exec_lo, exec_lo, s0
	v_dual_mov_b32 v2, 0 :: v_dual_lshlrev_b32 v1, 2, v0
	s_mov_b32 s0, -1
	ds_store_2addr_stride64_b32 v1, v2, v2 offset1:8
	ds_store_2addr_stride64_b32 v1, v2, v2 offset0:16 offset1:24
	s_and_saveexec_b32 s8, s0
; %bb.26:
	ds_store_b32 v1, v2 offset:8192
; %bb.27:
	s_or_b32 exec_lo, exec_lo, s8
	s_and_saveexec_b32 s8, s0
; %bb.28:
	v_mov_b32_e32 v2, 0
	ds_store_b32 v1, v2 offset:10240
; %bb.29:
	s_or_b32 exec_lo, exec_lo, s8
	v_cmp_gt_u32_e64 s0, 7, 6
	s_mov_b32 s8, exec_lo
	v_cmpx_gt_u32_e64 7, 5
; %bb.30:
	v_mov_b32_e32 v2, 0
	ds_store_b32 v1, v2 offset:12288
; %bb.31:
	s_or_b32 exec_lo, exec_lo, s8
	s_and_saveexec_b32 s8, s0
; %bb.32:
	v_mov_b32_e32 v2, 0
	ds_store_b32 v1, v2 offset:14336
; %bb.33:
	s_or_b32 exec_lo, exec_lo, s8
	s_wait_loadcnt 0x0
	v_cmp_lt_i32_e32 vcc_lo, -1, v25
	s_cmp_le_u32 s3, s2
	s_wait_dscnt 0x0
	s_cselect_b32 s8, -1, 0
	s_barrier_signal -1
	v_cndmask_b32_e64 v26, -1, 0x80000000, vcc_lo
	s_and_b32 s0, s8, exec_lo
	v_cmp_le_u32_e32 vcc_lo, s1, v0
	s_cselect_b32 s9, 8, 10
	v_and_b32_e32 v2, 3, v0
	v_dual_mov_b32 v26, s9 :: v_dual_bitop2_b32 v25, v26, v25 bitop3:0x14
	s_nor_b32 s0, s8, vcc_lo
	s_barrier_wait -1
	s_and_saveexec_b32 s10, s0
	s_cbranch_execz .LBB1388_35
; %bb.34:
	v_cmp_ne_u32_e64 s0, 0x7fffffff, v25
	v_lshlrev_b32_e32 v27, 2, v2
	s_delay_alu instid0(VALU_DEP_2) | instskip(SKIP_1) | instid1(SALU_CYCLE_1)
	v_cndmask_b32_e64 v26, 0x80000000, v25, s0
	s_sub_co_i32 s0, s3, s2
	s_min_u32 s0, s0, 8
	s_delay_alu instid0(VALU_DEP_1) | instskip(NEXT) | instid1(VALU_DEP_1)
	v_lshrrev_b32_e32 v26, s2, v26
	v_bfe_u32 v26, v26, 0, s0
	s_delay_alu instid0(VALU_DEP_1)
	v_lshl_or_b32 v26, v26, 4, v27
	v_mov_b32_e32 v27, 1
	ds_add_u32 v26, v27
	v_mov_b32_e32 v26, 0
.LBB1388_35:
	s_or_b32 exec_lo, exec_lo, s10
	s_mov_b32 s11, -1
	s_mov_b32 s10, exec_lo
	s_delay_alu instid0(VALU_DEP_1)
	v_cmpx_gt_i32_e32 10, v26
; %bb.36:
	v_cmp_eq_u32_e64 s0, 0, v26
	s_or_not1_b32 s11, s0, exec_lo
; %bb.37:
	s_or_b32 exec_lo, exec_lo, s10
	s_and_saveexec_b32 s10, s11
	s_cbranch_execz .LBB1388_50
; %bb.38:
	s_add_co_i32 s12, s2, 8
	s_delay_alu instid0(SALU_CYCLE_1) | instskip(SKIP_1) | instid1(SALU_CYCLE_1)
	s_cmp_le_u32 s3, s12
	s_cselect_b32 s0, -1, 0
	s_and_b32 s11, s0, exec_lo
	s_cselect_b32 s11, 8, 10
	s_nor_b32 s0, s0, vcc_lo
	v_mov_b32_e32 v26, s11
	s_and_saveexec_b32 s11, s0
	s_cbranch_execz .LBB1388_40
; %bb.39:
	v_cmp_ne_u32_e64 s0, 0x7fffffff, v25
	v_lshlrev_b32_e32 v27, 2, v2
	s_delay_alu instid0(VALU_DEP_2) | instskip(SKIP_1) | instid1(SALU_CYCLE_1)
	v_cndmask_b32_e64 v26, 0x80000000, v25, s0
	s_sub_co_i32 s0, s3, s12
	s_min_u32 s0, s0, 8
	s_delay_alu instid0(VALU_DEP_1) | instskip(NEXT) | instid1(VALU_DEP_1)
	v_lshrrev_b32_e32 v26, s12, v26
	v_bfe_u32 v26, v26, 0, s0
	s_delay_alu instid0(VALU_DEP_1)
	v_lshl_or_b32 v26, v26, 4, v27
	v_mov_b32_e32 v27, 1
	ds_add_u32 v26, v27 offset:4096
	v_mov_b32_e32 v26, 0
.LBB1388_40:
	s_or_b32 exec_lo, exec_lo, s11
	s_mov_b32 s11, -1
	s_mov_b32 s12, exec_lo
	s_delay_alu instid0(VALU_DEP_1)
	v_cmpx_gt_i32_e32 10, v26
; %bb.41:
	v_cmp_eq_u32_e64 s0, 0, v26
	s_or_not1_b32 s11, s0, exec_lo
; %bb.42:
	s_or_b32 exec_lo, exec_lo, s12
	s_delay_alu instid0(SALU_CYCLE_1)
	s_and_b32 exec_lo, exec_lo, s11
	s_cbranch_execz .LBB1388_50
; %bb.43:
	s_add_co_i32 s12, s2, 16
	s_delay_alu instid0(SALU_CYCLE_1) | instskip(SKIP_1) | instid1(SALU_CYCLE_1)
	s_cmp_le_u32 s3, s12
	s_cselect_b32 s0, -1, 0
	s_and_b32 s11, s0, exec_lo
	s_cselect_b32 s11, 8, 10
	s_nor_b32 s0, s0, vcc_lo
	v_mov_b32_e32 v26, s11
	s_and_saveexec_b32 s11, s0
	s_cbranch_execz .LBB1388_45
; %bb.44:
	v_cmp_ne_u32_e64 s0, 0x7fffffff, v25
	v_lshlrev_b32_e32 v27, 2, v2
	s_delay_alu instid0(VALU_DEP_2) | instskip(SKIP_1) | instid1(SALU_CYCLE_1)
	v_cndmask_b32_e64 v26, 0x80000000, v25, s0
	s_sub_co_i32 s0, s3, s12
	s_min_u32 s0, s0, 8
	s_delay_alu instid0(VALU_DEP_1) | instskip(NEXT) | instid1(VALU_DEP_1)
	v_lshrrev_b32_e32 v26, s12, v26
	v_bfe_u32 v26, v26, 0, s0
	s_delay_alu instid0(VALU_DEP_1)
	v_lshl_or_b32 v26, v26, 4, v27
	v_mov_b32_e32 v27, 1
	ds_add_u32 v26, v27 offset:8192
	v_mov_b32_e32 v26, 0
.LBB1388_45:
	s_or_b32 exec_lo, exec_lo, s11
	s_mov_b32 s11, -1
	s_mov_b32 s12, exec_lo
	s_delay_alu instid0(VALU_DEP_1)
	v_cmpx_gt_i32_e32 10, v26
; %bb.46:
	v_cmp_eq_u32_e64 s0, 0, v26
	s_or_not1_b32 s11, s0, exec_lo
; %bb.47:
	s_or_b32 exec_lo, exec_lo, s12
	s_delay_alu instid0(SALU_CYCLE_1)
	s_and_b32 exec_lo, exec_lo, s11
	s_cbranch_execz .LBB1388_50
; %bb.48:
	s_add_co_i32 s0, s2, 24
	s_delay_alu instid0(SALU_CYCLE_1) | instskip(SKIP_2) | instid1(SALU_CYCLE_1)
	s_cmp_gt_u32 s3, s0
	s_cselect_b32 s11, -1, 0
	s_xor_b32 s12, vcc_lo, -1
	s_and_b32 s11, s11, s12
	s_delay_alu instid0(SALU_CYCLE_1)
	s_and_b32 exec_lo, exec_lo, s11
	s_cbranch_execz .LBB1388_50
; %bb.49:
	v_cmp_ne_u32_e32 vcc_lo, 0x7fffffff, v25
	v_dual_cndmask_b32 v25, 0x80000000, v25 :: v_dual_lshlrev_b32 v26, 2, v2
	s_delay_alu instid0(VALU_DEP_1) | instskip(SKIP_1) | instid1(SALU_CYCLE_1)
	v_lshrrev_b32_e32 v25, s0, v25
	s_sub_co_i32 s0, s3, s0
	s_min_u32 s0, s0, 8
	s_delay_alu instid0(VALU_DEP_1) | instid1(SALU_CYCLE_1)
	v_bfe_u32 v25, v25, 0, s0
	s_delay_alu instid0(VALU_DEP_1)
	v_lshl_or_b32 v25, v25, 4, v26
	v_mov_b32_e32 v26, 1
	ds_add_u32 v25, v26 offset:12288
.LBB1388_50:
	s_or_b32 exec_lo, exec_lo, s10
	v_cmp_lt_i32_e32 vcc_lo, -1, v24
	v_cndmask_b32_e64 v25, -1, 0x80000000, vcc_lo
	v_cmp_le_u32_e32 vcc_lo, s1, v23
	s_delay_alu instid0(VALU_DEP_2) | instskip(SKIP_1) | instid1(SALU_CYCLE_1)
	v_dual_mov_b32 v24, s9 :: v_dual_bitop2_b32 v23, v25, v24 bitop3:0x14
	s_nor_b32 s0, s8, vcc_lo
	s_and_saveexec_b32 s10, s0
	s_cbranch_execz .LBB1388_52
; %bb.51:
	s_delay_alu instid0(VALU_DEP_1) | instskip(SKIP_1) | instid1(VALU_DEP_2)
	v_cmp_ne_u32_e64 s0, 0x7fffffff, v23
	v_lshlrev_b32_e32 v25, 2, v2
	v_cndmask_b32_e64 v24, 0x80000000, v23, s0
	s_sub_co_i32 s0, s3, s2
	s_delay_alu instid0(SALU_CYCLE_1) | instskip(NEXT) | instid1(VALU_DEP_1)
	s_min_u32 s0, s0, 8
	v_lshrrev_b32_e32 v24, s2, v24
	s_delay_alu instid0(VALU_DEP_1) | instskip(NEXT) | instid1(VALU_DEP_1)
	v_bfe_u32 v24, v24, 0, s0
	v_lshl_or_b32 v24, v24, 4, v25
	v_mov_b32_e32 v25, 1
	ds_add_u32 v24, v25
	v_mov_b32_e32 v24, 0
.LBB1388_52:
	s_or_b32 exec_lo, exec_lo, s10
	s_mov_b32 s11, -1
	s_mov_b32 s10, exec_lo
	s_delay_alu instid0(VALU_DEP_1)
	v_cmpx_gt_i32_e32 10, v24
; %bb.53:
	v_cmp_eq_u32_e64 s0, 0, v24
	s_or_not1_b32 s11, s0, exec_lo
; %bb.54:
	s_or_b32 exec_lo, exec_lo, s10
	s_and_saveexec_b32 s10, s11
	s_cbranch_execz .LBB1388_67
; %bb.55:
	s_add_co_i32 s12, s2, 8
	s_delay_alu instid0(SALU_CYCLE_1) | instskip(SKIP_1) | instid1(SALU_CYCLE_1)
	s_cmp_le_u32 s3, s12
	s_cselect_b32 s0, -1, 0
	s_and_b32 s11, s0, exec_lo
	s_cselect_b32 s11, 8, 10
	s_nor_b32 s0, s0, vcc_lo
	v_mov_b32_e32 v24, s11
	s_and_saveexec_b32 s11, s0
	s_cbranch_execz .LBB1388_57
; %bb.56:
	v_cmp_ne_u32_e64 s0, 0x7fffffff, v23
	v_lshlrev_b32_e32 v25, 2, v2
	s_delay_alu instid0(VALU_DEP_2) | instskip(SKIP_1) | instid1(SALU_CYCLE_1)
	v_cndmask_b32_e64 v24, 0x80000000, v23, s0
	s_sub_co_i32 s0, s3, s12
	s_min_u32 s0, s0, 8
	s_delay_alu instid0(VALU_DEP_1) | instskip(NEXT) | instid1(VALU_DEP_1)
	v_lshrrev_b32_e32 v24, s12, v24
	v_bfe_u32 v24, v24, 0, s0
	s_delay_alu instid0(VALU_DEP_1)
	v_lshl_or_b32 v24, v24, 4, v25
	v_mov_b32_e32 v25, 1
	ds_add_u32 v24, v25 offset:4096
	v_mov_b32_e32 v24, 0
.LBB1388_57:
	s_or_b32 exec_lo, exec_lo, s11
	s_mov_b32 s11, -1
	s_mov_b32 s12, exec_lo
	s_delay_alu instid0(VALU_DEP_1)
	v_cmpx_gt_i32_e32 10, v24
; %bb.58:
	v_cmp_eq_u32_e64 s0, 0, v24
	s_or_not1_b32 s11, s0, exec_lo
; %bb.59:
	s_or_b32 exec_lo, exec_lo, s12
	s_delay_alu instid0(SALU_CYCLE_1)
	s_and_b32 exec_lo, exec_lo, s11
	s_cbranch_execz .LBB1388_67
; %bb.60:
	s_add_co_i32 s12, s2, 16
	s_delay_alu instid0(SALU_CYCLE_1) | instskip(SKIP_1) | instid1(SALU_CYCLE_1)
	s_cmp_le_u32 s3, s12
	s_cselect_b32 s0, -1, 0
	s_and_b32 s11, s0, exec_lo
	s_cselect_b32 s11, 8, 10
	s_nor_b32 s0, s0, vcc_lo
	v_mov_b32_e32 v24, s11
	s_and_saveexec_b32 s11, s0
	s_cbranch_execz .LBB1388_62
; %bb.61:
	v_cmp_ne_u32_e64 s0, 0x7fffffff, v23
	v_lshlrev_b32_e32 v25, 2, v2
	s_delay_alu instid0(VALU_DEP_2) | instskip(SKIP_1) | instid1(SALU_CYCLE_1)
	v_cndmask_b32_e64 v24, 0x80000000, v23, s0
	s_sub_co_i32 s0, s3, s12
	s_min_u32 s0, s0, 8
	s_delay_alu instid0(VALU_DEP_1) | instskip(NEXT) | instid1(VALU_DEP_1)
	v_lshrrev_b32_e32 v24, s12, v24
	v_bfe_u32 v24, v24, 0, s0
	s_delay_alu instid0(VALU_DEP_1)
	v_lshl_or_b32 v24, v24, 4, v25
	v_mov_b32_e32 v25, 1
	ds_add_u32 v24, v25 offset:8192
	v_mov_b32_e32 v24, 0
.LBB1388_62:
	s_or_b32 exec_lo, exec_lo, s11
	s_mov_b32 s11, -1
	s_mov_b32 s12, exec_lo
	s_delay_alu instid0(VALU_DEP_1)
	v_cmpx_gt_i32_e32 10, v24
; %bb.63:
	v_cmp_eq_u32_e64 s0, 0, v24
	s_or_not1_b32 s11, s0, exec_lo
; %bb.64:
	s_or_b32 exec_lo, exec_lo, s12
	s_delay_alu instid0(SALU_CYCLE_1)
	s_and_b32 exec_lo, exec_lo, s11
	s_cbranch_execz .LBB1388_67
; %bb.65:
	s_add_co_i32 s0, s2, 24
	s_delay_alu instid0(SALU_CYCLE_1) | instskip(SKIP_2) | instid1(SALU_CYCLE_1)
	s_cmp_gt_u32 s3, s0
	s_cselect_b32 s11, -1, 0
	s_xor_b32 s12, vcc_lo, -1
	s_and_b32 s11, s11, s12
	s_delay_alu instid0(SALU_CYCLE_1)
	s_and_b32 exec_lo, exec_lo, s11
	s_cbranch_execz .LBB1388_67
; %bb.66:
	v_cmp_ne_u32_e32 vcc_lo, 0x7fffffff, v23
	v_dual_cndmask_b32 v23, 0x80000000, v23 :: v_dual_lshlrev_b32 v24, 2, v2
	s_delay_alu instid0(VALU_DEP_1) | instskip(SKIP_1) | instid1(SALU_CYCLE_1)
	v_lshrrev_b32_e32 v23, s0, v23
	s_sub_co_i32 s0, s3, s0
	s_min_u32 s0, s0, 8
	s_delay_alu instid0(VALU_DEP_1) | instid1(SALU_CYCLE_1)
	v_bfe_u32 v23, v23, 0, s0
	s_delay_alu instid0(VALU_DEP_1)
	v_lshl_or_b32 v23, v23, 4, v24
	v_mov_b32_e32 v24, 1
	ds_add_u32 v23, v24 offset:12288
.LBB1388_67:
	s_or_b32 exec_lo, exec_lo, s10
	v_cmp_lt_i32_e32 vcc_lo, -1, v22
	v_cndmask_b32_e64 v23, -1, 0x80000000, vcc_lo
	v_cmp_le_u32_e32 vcc_lo, s1, v21
	s_delay_alu instid0(VALU_DEP_2) | instskip(SKIP_1) | instid1(SALU_CYCLE_1)
	v_dual_mov_b32 v22, s9 :: v_dual_bitop2_b32 v21, v23, v22 bitop3:0x14
	s_nor_b32 s0, s8, vcc_lo
	s_and_saveexec_b32 s10, s0
	s_cbranch_execz .LBB1388_69
; %bb.68:
	s_delay_alu instid0(VALU_DEP_1) | instskip(SKIP_1) | instid1(VALU_DEP_2)
	v_cmp_ne_u32_e64 s0, 0x7fffffff, v21
	v_lshlrev_b32_e32 v23, 2, v2
	v_cndmask_b32_e64 v22, 0x80000000, v21, s0
	s_sub_co_i32 s0, s3, s2
	s_delay_alu instid0(SALU_CYCLE_1) | instskip(NEXT) | instid1(VALU_DEP_1)
	s_min_u32 s0, s0, 8
	v_lshrrev_b32_e32 v22, s2, v22
	s_delay_alu instid0(VALU_DEP_1) | instskip(NEXT) | instid1(VALU_DEP_1)
	v_bfe_u32 v22, v22, 0, s0
	v_lshl_or_b32 v22, v22, 4, v23
	v_mov_b32_e32 v23, 1
	ds_add_u32 v22, v23
	v_mov_b32_e32 v22, 0
.LBB1388_69:
	s_or_b32 exec_lo, exec_lo, s10
	s_mov_b32 s11, -1
	s_mov_b32 s10, exec_lo
	s_delay_alu instid0(VALU_DEP_1)
	v_cmpx_gt_i32_e32 10, v22
; %bb.70:
	v_cmp_eq_u32_e64 s0, 0, v22
	s_or_not1_b32 s11, s0, exec_lo
; %bb.71:
	s_or_b32 exec_lo, exec_lo, s10
	s_and_saveexec_b32 s10, s11
	s_cbranch_execz .LBB1388_84
; %bb.72:
	s_add_co_i32 s12, s2, 8
	s_delay_alu instid0(SALU_CYCLE_1) | instskip(SKIP_1) | instid1(SALU_CYCLE_1)
	s_cmp_le_u32 s3, s12
	s_cselect_b32 s0, -1, 0
	s_and_b32 s11, s0, exec_lo
	s_cselect_b32 s11, 8, 10
	s_nor_b32 s0, s0, vcc_lo
	v_mov_b32_e32 v22, s11
	s_and_saveexec_b32 s11, s0
	s_cbranch_execz .LBB1388_74
; %bb.73:
	v_cmp_ne_u32_e64 s0, 0x7fffffff, v21
	v_lshlrev_b32_e32 v23, 2, v2
	s_delay_alu instid0(VALU_DEP_2) | instskip(SKIP_1) | instid1(SALU_CYCLE_1)
	v_cndmask_b32_e64 v22, 0x80000000, v21, s0
	s_sub_co_i32 s0, s3, s12
	s_min_u32 s0, s0, 8
	s_delay_alu instid0(VALU_DEP_1) | instskip(NEXT) | instid1(VALU_DEP_1)
	v_lshrrev_b32_e32 v22, s12, v22
	v_bfe_u32 v22, v22, 0, s0
	s_delay_alu instid0(VALU_DEP_1)
	v_lshl_or_b32 v22, v22, 4, v23
	v_mov_b32_e32 v23, 1
	ds_add_u32 v22, v23 offset:4096
	v_mov_b32_e32 v22, 0
.LBB1388_74:
	s_or_b32 exec_lo, exec_lo, s11
	s_mov_b32 s11, -1
	s_mov_b32 s12, exec_lo
	s_delay_alu instid0(VALU_DEP_1)
	v_cmpx_gt_i32_e32 10, v22
; %bb.75:
	v_cmp_eq_u32_e64 s0, 0, v22
	s_or_not1_b32 s11, s0, exec_lo
; %bb.76:
	s_or_b32 exec_lo, exec_lo, s12
	s_delay_alu instid0(SALU_CYCLE_1)
	s_and_b32 exec_lo, exec_lo, s11
	s_cbranch_execz .LBB1388_84
; %bb.77:
	s_add_co_i32 s12, s2, 16
	s_delay_alu instid0(SALU_CYCLE_1) | instskip(SKIP_1) | instid1(SALU_CYCLE_1)
	s_cmp_le_u32 s3, s12
	s_cselect_b32 s0, -1, 0
	s_and_b32 s11, s0, exec_lo
	s_cselect_b32 s11, 8, 10
	s_nor_b32 s0, s0, vcc_lo
	v_mov_b32_e32 v22, s11
	s_and_saveexec_b32 s11, s0
	s_cbranch_execz .LBB1388_79
; %bb.78:
	v_cmp_ne_u32_e64 s0, 0x7fffffff, v21
	v_lshlrev_b32_e32 v23, 2, v2
	s_delay_alu instid0(VALU_DEP_2) | instskip(SKIP_1) | instid1(SALU_CYCLE_1)
	v_cndmask_b32_e64 v22, 0x80000000, v21, s0
	s_sub_co_i32 s0, s3, s12
	s_min_u32 s0, s0, 8
	s_delay_alu instid0(VALU_DEP_1) | instskip(NEXT) | instid1(VALU_DEP_1)
	v_lshrrev_b32_e32 v22, s12, v22
	v_bfe_u32 v22, v22, 0, s0
	s_delay_alu instid0(VALU_DEP_1)
	v_lshl_or_b32 v22, v22, 4, v23
	v_mov_b32_e32 v23, 1
	ds_add_u32 v22, v23 offset:8192
	v_mov_b32_e32 v22, 0
.LBB1388_79:
	s_or_b32 exec_lo, exec_lo, s11
	s_mov_b32 s11, -1
	s_mov_b32 s12, exec_lo
	s_delay_alu instid0(VALU_DEP_1)
	v_cmpx_gt_i32_e32 10, v22
; %bb.80:
	v_cmp_eq_u32_e64 s0, 0, v22
	s_or_not1_b32 s11, s0, exec_lo
; %bb.81:
	s_or_b32 exec_lo, exec_lo, s12
	s_delay_alu instid0(SALU_CYCLE_1)
	s_and_b32 exec_lo, exec_lo, s11
	s_cbranch_execz .LBB1388_84
; %bb.82:
	s_add_co_i32 s0, s2, 24
	s_delay_alu instid0(SALU_CYCLE_1) | instskip(SKIP_2) | instid1(SALU_CYCLE_1)
	s_cmp_gt_u32 s3, s0
	s_cselect_b32 s11, -1, 0
	s_xor_b32 s12, vcc_lo, -1
	s_and_b32 s11, s11, s12
	s_delay_alu instid0(SALU_CYCLE_1)
	s_and_b32 exec_lo, exec_lo, s11
	s_cbranch_execz .LBB1388_84
; %bb.83:
	v_cmp_ne_u32_e32 vcc_lo, 0x7fffffff, v21
	v_dual_cndmask_b32 v21, 0x80000000, v21 :: v_dual_lshlrev_b32 v22, 2, v2
	s_delay_alu instid0(VALU_DEP_1) | instskip(SKIP_1) | instid1(SALU_CYCLE_1)
	v_lshrrev_b32_e32 v21, s0, v21
	s_sub_co_i32 s0, s3, s0
	s_min_u32 s0, s0, 8
	s_delay_alu instid0(VALU_DEP_1) | instid1(SALU_CYCLE_1)
	v_bfe_u32 v21, v21, 0, s0
	s_delay_alu instid0(VALU_DEP_1)
	v_lshl_or_b32 v21, v21, 4, v22
	v_mov_b32_e32 v22, 1
	ds_add_u32 v21, v22 offset:12288
.LBB1388_84:
	s_or_b32 exec_lo, exec_lo, s10
	v_cmp_lt_i32_e32 vcc_lo, -1, v20
	v_cndmask_b32_e64 v21, -1, 0x80000000, vcc_lo
	v_cmp_le_u32_e32 vcc_lo, s1, v19
	s_delay_alu instid0(VALU_DEP_2) | instskip(SKIP_1) | instid1(SALU_CYCLE_1)
	v_dual_mov_b32 v20, s9 :: v_dual_bitop2_b32 v19, v21, v20 bitop3:0x14
	s_nor_b32 s0, s8, vcc_lo
	s_and_saveexec_b32 s10, s0
	s_cbranch_execz .LBB1388_86
; %bb.85:
	s_delay_alu instid0(VALU_DEP_1) | instskip(SKIP_1) | instid1(VALU_DEP_2)
	v_cmp_ne_u32_e64 s0, 0x7fffffff, v19
	v_lshlrev_b32_e32 v21, 2, v2
	v_cndmask_b32_e64 v20, 0x80000000, v19, s0
	s_sub_co_i32 s0, s3, s2
	s_delay_alu instid0(SALU_CYCLE_1) | instskip(NEXT) | instid1(VALU_DEP_1)
	s_min_u32 s0, s0, 8
	v_lshrrev_b32_e32 v20, s2, v20
	s_delay_alu instid0(VALU_DEP_1) | instskip(NEXT) | instid1(VALU_DEP_1)
	v_bfe_u32 v20, v20, 0, s0
	v_lshl_or_b32 v20, v20, 4, v21
	v_mov_b32_e32 v21, 1
	ds_add_u32 v20, v21
	v_mov_b32_e32 v20, 0
.LBB1388_86:
	s_or_b32 exec_lo, exec_lo, s10
	s_mov_b32 s11, -1
	s_mov_b32 s10, exec_lo
	s_delay_alu instid0(VALU_DEP_1)
	v_cmpx_gt_i32_e32 10, v20
; %bb.87:
	v_cmp_eq_u32_e64 s0, 0, v20
	s_or_not1_b32 s11, s0, exec_lo
; %bb.88:
	s_or_b32 exec_lo, exec_lo, s10
	s_and_saveexec_b32 s10, s11
	s_cbranch_execz .LBB1388_101
; %bb.89:
	s_add_co_i32 s12, s2, 8
	s_delay_alu instid0(SALU_CYCLE_1) | instskip(SKIP_1) | instid1(SALU_CYCLE_1)
	s_cmp_le_u32 s3, s12
	s_cselect_b32 s0, -1, 0
	s_and_b32 s11, s0, exec_lo
	s_cselect_b32 s11, 8, 10
	s_nor_b32 s0, s0, vcc_lo
	v_mov_b32_e32 v20, s11
	s_and_saveexec_b32 s11, s0
	s_cbranch_execz .LBB1388_91
; %bb.90:
	v_cmp_ne_u32_e64 s0, 0x7fffffff, v19
	v_lshlrev_b32_e32 v21, 2, v2
	s_delay_alu instid0(VALU_DEP_2) | instskip(SKIP_1) | instid1(SALU_CYCLE_1)
	v_cndmask_b32_e64 v20, 0x80000000, v19, s0
	s_sub_co_i32 s0, s3, s12
	s_min_u32 s0, s0, 8
	s_delay_alu instid0(VALU_DEP_1) | instskip(NEXT) | instid1(VALU_DEP_1)
	v_lshrrev_b32_e32 v20, s12, v20
	v_bfe_u32 v20, v20, 0, s0
	s_delay_alu instid0(VALU_DEP_1)
	v_lshl_or_b32 v20, v20, 4, v21
	v_mov_b32_e32 v21, 1
	ds_add_u32 v20, v21 offset:4096
	v_mov_b32_e32 v20, 0
.LBB1388_91:
	s_or_b32 exec_lo, exec_lo, s11
	s_mov_b32 s11, -1
	s_mov_b32 s12, exec_lo
	s_delay_alu instid0(VALU_DEP_1)
	v_cmpx_gt_i32_e32 10, v20
; %bb.92:
	v_cmp_eq_u32_e64 s0, 0, v20
	s_or_not1_b32 s11, s0, exec_lo
; %bb.93:
	s_or_b32 exec_lo, exec_lo, s12
	s_delay_alu instid0(SALU_CYCLE_1)
	s_and_b32 exec_lo, exec_lo, s11
	s_cbranch_execz .LBB1388_101
; %bb.94:
	s_add_co_i32 s12, s2, 16
	s_delay_alu instid0(SALU_CYCLE_1) | instskip(SKIP_1) | instid1(SALU_CYCLE_1)
	s_cmp_le_u32 s3, s12
	s_cselect_b32 s0, -1, 0
	s_and_b32 s11, s0, exec_lo
	s_cselect_b32 s11, 8, 10
	s_nor_b32 s0, s0, vcc_lo
	v_mov_b32_e32 v20, s11
	s_and_saveexec_b32 s11, s0
	s_cbranch_execz .LBB1388_96
; %bb.95:
	v_cmp_ne_u32_e64 s0, 0x7fffffff, v19
	v_lshlrev_b32_e32 v21, 2, v2
	s_delay_alu instid0(VALU_DEP_2) | instskip(SKIP_1) | instid1(SALU_CYCLE_1)
	v_cndmask_b32_e64 v20, 0x80000000, v19, s0
	s_sub_co_i32 s0, s3, s12
	s_min_u32 s0, s0, 8
	s_delay_alu instid0(VALU_DEP_1) | instskip(NEXT) | instid1(VALU_DEP_1)
	v_lshrrev_b32_e32 v20, s12, v20
	v_bfe_u32 v20, v20, 0, s0
	s_delay_alu instid0(VALU_DEP_1)
	v_lshl_or_b32 v20, v20, 4, v21
	v_mov_b32_e32 v21, 1
	ds_add_u32 v20, v21 offset:8192
	v_mov_b32_e32 v20, 0
.LBB1388_96:
	s_or_b32 exec_lo, exec_lo, s11
	s_mov_b32 s11, -1
	s_mov_b32 s12, exec_lo
	s_delay_alu instid0(VALU_DEP_1)
	v_cmpx_gt_i32_e32 10, v20
; %bb.97:
	v_cmp_eq_u32_e64 s0, 0, v20
	s_or_not1_b32 s11, s0, exec_lo
; %bb.98:
	s_or_b32 exec_lo, exec_lo, s12
	s_delay_alu instid0(SALU_CYCLE_1)
	s_and_b32 exec_lo, exec_lo, s11
	s_cbranch_execz .LBB1388_101
; %bb.99:
	s_add_co_i32 s0, s2, 24
	s_delay_alu instid0(SALU_CYCLE_1) | instskip(SKIP_2) | instid1(SALU_CYCLE_1)
	s_cmp_gt_u32 s3, s0
	s_cselect_b32 s11, -1, 0
	s_xor_b32 s12, vcc_lo, -1
	s_and_b32 s11, s11, s12
	s_delay_alu instid0(SALU_CYCLE_1)
	s_and_b32 exec_lo, exec_lo, s11
	s_cbranch_execz .LBB1388_101
; %bb.100:
	v_cmp_ne_u32_e32 vcc_lo, 0x7fffffff, v19
	v_dual_cndmask_b32 v19, 0x80000000, v19 :: v_dual_lshlrev_b32 v20, 2, v2
	s_delay_alu instid0(VALU_DEP_1) | instskip(SKIP_1) | instid1(SALU_CYCLE_1)
	v_lshrrev_b32_e32 v19, s0, v19
	s_sub_co_i32 s0, s3, s0
	s_min_u32 s0, s0, 8
	s_delay_alu instid0(VALU_DEP_1) | instid1(SALU_CYCLE_1)
	v_bfe_u32 v19, v19, 0, s0
	s_delay_alu instid0(VALU_DEP_1)
	v_lshl_or_b32 v19, v19, 4, v20
	v_mov_b32_e32 v20, 1
	ds_add_u32 v19, v20 offset:12288
.LBB1388_101:
	s_or_b32 exec_lo, exec_lo, s10
	v_cmp_lt_i32_e32 vcc_lo, -1, v18
	v_cndmask_b32_e64 v19, -1, 0x80000000, vcc_lo
	v_cmp_le_u32_e32 vcc_lo, s1, v17
	s_delay_alu instid0(VALU_DEP_2) | instskip(SKIP_1) | instid1(SALU_CYCLE_1)
	v_dual_mov_b32 v18, s9 :: v_dual_bitop2_b32 v17, v19, v18 bitop3:0x14
	s_nor_b32 s0, s8, vcc_lo
	s_and_saveexec_b32 s10, s0
	s_cbranch_execz .LBB1388_103
; %bb.102:
	s_delay_alu instid0(VALU_DEP_1) | instskip(SKIP_1) | instid1(VALU_DEP_2)
	v_cmp_ne_u32_e64 s0, 0x7fffffff, v17
	v_lshlrev_b32_e32 v19, 2, v2
	v_cndmask_b32_e64 v18, 0x80000000, v17, s0
	s_sub_co_i32 s0, s3, s2
	s_delay_alu instid0(SALU_CYCLE_1) | instskip(NEXT) | instid1(VALU_DEP_1)
	s_min_u32 s0, s0, 8
	v_lshrrev_b32_e32 v18, s2, v18
	s_delay_alu instid0(VALU_DEP_1) | instskip(NEXT) | instid1(VALU_DEP_1)
	v_bfe_u32 v18, v18, 0, s0
	v_lshl_or_b32 v18, v18, 4, v19
	v_mov_b32_e32 v19, 1
	ds_add_u32 v18, v19
	v_mov_b32_e32 v18, 0
.LBB1388_103:
	s_or_b32 exec_lo, exec_lo, s10
	s_mov_b32 s11, -1
	s_mov_b32 s10, exec_lo
	s_delay_alu instid0(VALU_DEP_1)
	v_cmpx_gt_i32_e32 10, v18
; %bb.104:
	v_cmp_eq_u32_e64 s0, 0, v18
	s_or_not1_b32 s11, s0, exec_lo
; %bb.105:
	s_or_b32 exec_lo, exec_lo, s10
	s_and_saveexec_b32 s10, s11
	s_cbranch_execz .LBB1388_118
; %bb.106:
	s_add_co_i32 s12, s2, 8
	s_delay_alu instid0(SALU_CYCLE_1) | instskip(SKIP_1) | instid1(SALU_CYCLE_1)
	s_cmp_le_u32 s3, s12
	s_cselect_b32 s0, -1, 0
	s_and_b32 s11, s0, exec_lo
	s_cselect_b32 s11, 8, 10
	s_nor_b32 s0, s0, vcc_lo
	v_mov_b32_e32 v18, s11
	s_and_saveexec_b32 s11, s0
	s_cbranch_execz .LBB1388_108
; %bb.107:
	v_cmp_ne_u32_e64 s0, 0x7fffffff, v17
	v_lshlrev_b32_e32 v19, 2, v2
	s_delay_alu instid0(VALU_DEP_2) | instskip(SKIP_1) | instid1(SALU_CYCLE_1)
	v_cndmask_b32_e64 v18, 0x80000000, v17, s0
	s_sub_co_i32 s0, s3, s12
	s_min_u32 s0, s0, 8
	s_delay_alu instid0(VALU_DEP_1) | instskip(NEXT) | instid1(VALU_DEP_1)
	v_lshrrev_b32_e32 v18, s12, v18
	v_bfe_u32 v18, v18, 0, s0
	s_delay_alu instid0(VALU_DEP_1)
	v_lshl_or_b32 v18, v18, 4, v19
	v_mov_b32_e32 v19, 1
	ds_add_u32 v18, v19 offset:4096
	v_mov_b32_e32 v18, 0
.LBB1388_108:
	s_or_b32 exec_lo, exec_lo, s11
	s_mov_b32 s11, -1
	s_mov_b32 s12, exec_lo
	s_delay_alu instid0(VALU_DEP_1)
	v_cmpx_gt_i32_e32 10, v18
; %bb.109:
	v_cmp_eq_u32_e64 s0, 0, v18
	s_or_not1_b32 s11, s0, exec_lo
; %bb.110:
	s_or_b32 exec_lo, exec_lo, s12
	s_delay_alu instid0(SALU_CYCLE_1)
	s_and_b32 exec_lo, exec_lo, s11
	s_cbranch_execz .LBB1388_118
; %bb.111:
	s_add_co_i32 s12, s2, 16
	s_delay_alu instid0(SALU_CYCLE_1) | instskip(SKIP_1) | instid1(SALU_CYCLE_1)
	s_cmp_le_u32 s3, s12
	s_cselect_b32 s0, -1, 0
	s_and_b32 s11, s0, exec_lo
	s_cselect_b32 s11, 8, 10
	s_nor_b32 s0, s0, vcc_lo
	v_mov_b32_e32 v18, s11
	s_and_saveexec_b32 s11, s0
	s_cbranch_execz .LBB1388_113
; %bb.112:
	v_cmp_ne_u32_e64 s0, 0x7fffffff, v17
	v_lshlrev_b32_e32 v19, 2, v2
	s_delay_alu instid0(VALU_DEP_2) | instskip(SKIP_1) | instid1(SALU_CYCLE_1)
	v_cndmask_b32_e64 v18, 0x80000000, v17, s0
	s_sub_co_i32 s0, s3, s12
	s_min_u32 s0, s0, 8
	s_delay_alu instid0(VALU_DEP_1) | instskip(NEXT) | instid1(VALU_DEP_1)
	v_lshrrev_b32_e32 v18, s12, v18
	v_bfe_u32 v18, v18, 0, s0
	s_delay_alu instid0(VALU_DEP_1)
	v_lshl_or_b32 v18, v18, 4, v19
	v_mov_b32_e32 v19, 1
	ds_add_u32 v18, v19 offset:8192
	v_mov_b32_e32 v18, 0
.LBB1388_113:
	s_or_b32 exec_lo, exec_lo, s11
	s_mov_b32 s11, -1
	s_mov_b32 s12, exec_lo
	s_delay_alu instid0(VALU_DEP_1)
	v_cmpx_gt_i32_e32 10, v18
; %bb.114:
	v_cmp_eq_u32_e64 s0, 0, v18
	s_or_not1_b32 s11, s0, exec_lo
; %bb.115:
	s_or_b32 exec_lo, exec_lo, s12
	s_delay_alu instid0(SALU_CYCLE_1)
	s_and_b32 exec_lo, exec_lo, s11
	s_cbranch_execz .LBB1388_118
; %bb.116:
	s_add_co_i32 s0, s2, 24
	s_delay_alu instid0(SALU_CYCLE_1) | instskip(SKIP_2) | instid1(SALU_CYCLE_1)
	s_cmp_gt_u32 s3, s0
	s_cselect_b32 s11, -1, 0
	s_xor_b32 s12, vcc_lo, -1
	s_and_b32 s11, s11, s12
	s_delay_alu instid0(SALU_CYCLE_1)
	s_and_b32 exec_lo, exec_lo, s11
	s_cbranch_execz .LBB1388_118
; %bb.117:
	v_cmp_ne_u32_e32 vcc_lo, 0x7fffffff, v17
	v_dual_cndmask_b32 v17, 0x80000000, v17 :: v_dual_lshlrev_b32 v18, 2, v2
	s_delay_alu instid0(VALU_DEP_1) | instskip(SKIP_1) | instid1(SALU_CYCLE_1)
	v_lshrrev_b32_e32 v17, s0, v17
	s_sub_co_i32 s0, s3, s0
	s_min_u32 s0, s0, 8
	s_delay_alu instid0(VALU_DEP_1) | instid1(SALU_CYCLE_1)
	v_bfe_u32 v17, v17, 0, s0
	s_delay_alu instid0(VALU_DEP_1)
	v_lshl_or_b32 v17, v17, 4, v18
	v_mov_b32_e32 v18, 1
	ds_add_u32 v17, v18 offset:12288
.LBB1388_118:
	s_or_b32 exec_lo, exec_lo, s10
	v_cmp_lt_i32_e32 vcc_lo, -1, v16
	v_cndmask_b32_e64 v17, -1, 0x80000000, vcc_lo
	v_cmp_le_u32_e32 vcc_lo, s1, v15
	s_delay_alu instid0(VALU_DEP_2) | instskip(SKIP_1) | instid1(SALU_CYCLE_1)
	v_dual_mov_b32 v16, s9 :: v_dual_bitop2_b32 v15, v17, v16 bitop3:0x14
	s_nor_b32 s0, s8, vcc_lo
	s_and_saveexec_b32 s10, s0
	s_cbranch_execz .LBB1388_120
; %bb.119:
	s_delay_alu instid0(VALU_DEP_1) | instskip(SKIP_1) | instid1(VALU_DEP_2)
	v_cmp_ne_u32_e64 s0, 0x7fffffff, v15
	v_lshlrev_b32_e32 v17, 2, v2
	v_cndmask_b32_e64 v16, 0x80000000, v15, s0
	s_sub_co_i32 s0, s3, s2
	s_delay_alu instid0(SALU_CYCLE_1) | instskip(NEXT) | instid1(VALU_DEP_1)
	s_min_u32 s0, s0, 8
	v_lshrrev_b32_e32 v16, s2, v16
	s_delay_alu instid0(VALU_DEP_1) | instskip(NEXT) | instid1(VALU_DEP_1)
	v_bfe_u32 v16, v16, 0, s0
	v_lshl_or_b32 v16, v16, 4, v17
	v_mov_b32_e32 v17, 1
	ds_add_u32 v16, v17
	v_mov_b32_e32 v16, 0
.LBB1388_120:
	s_or_b32 exec_lo, exec_lo, s10
	s_mov_b32 s11, -1
	s_mov_b32 s10, exec_lo
	s_delay_alu instid0(VALU_DEP_1)
	v_cmpx_gt_i32_e32 10, v16
; %bb.121:
	v_cmp_eq_u32_e64 s0, 0, v16
	s_or_not1_b32 s11, s0, exec_lo
; %bb.122:
	s_or_b32 exec_lo, exec_lo, s10
	s_and_saveexec_b32 s10, s11
	s_cbranch_execz .LBB1388_135
; %bb.123:
	s_add_co_i32 s12, s2, 8
	s_delay_alu instid0(SALU_CYCLE_1) | instskip(SKIP_1) | instid1(SALU_CYCLE_1)
	s_cmp_le_u32 s3, s12
	s_cselect_b32 s0, -1, 0
	s_and_b32 s11, s0, exec_lo
	s_cselect_b32 s11, 8, 10
	s_nor_b32 s0, s0, vcc_lo
	v_mov_b32_e32 v16, s11
	s_and_saveexec_b32 s11, s0
	s_cbranch_execz .LBB1388_125
; %bb.124:
	v_cmp_ne_u32_e64 s0, 0x7fffffff, v15
	v_lshlrev_b32_e32 v17, 2, v2
	s_delay_alu instid0(VALU_DEP_2) | instskip(SKIP_1) | instid1(SALU_CYCLE_1)
	v_cndmask_b32_e64 v16, 0x80000000, v15, s0
	s_sub_co_i32 s0, s3, s12
	s_min_u32 s0, s0, 8
	s_delay_alu instid0(VALU_DEP_1) | instskip(NEXT) | instid1(VALU_DEP_1)
	v_lshrrev_b32_e32 v16, s12, v16
	v_bfe_u32 v16, v16, 0, s0
	s_delay_alu instid0(VALU_DEP_1)
	v_lshl_or_b32 v16, v16, 4, v17
	v_mov_b32_e32 v17, 1
	ds_add_u32 v16, v17 offset:4096
	v_mov_b32_e32 v16, 0
.LBB1388_125:
	s_or_b32 exec_lo, exec_lo, s11
	s_mov_b32 s11, -1
	s_mov_b32 s12, exec_lo
	s_delay_alu instid0(VALU_DEP_1)
	v_cmpx_gt_i32_e32 10, v16
; %bb.126:
	v_cmp_eq_u32_e64 s0, 0, v16
	s_or_not1_b32 s11, s0, exec_lo
; %bb.127:
	s_or_b32 exec_lo, exec_lo, s12
	s_delay_alu instid0(SALU_CYCLE_1)
	s_and_b32 exec_lo, exec_lo, s11
	s_cbranch_execz .LBB1388_135
; %bb.128:
	s_add_co_i32 s12, s2, 16
	s_delay_alu instid0(SALU_CYCLE_1) | instskip(SKIP_1) | instid1(SALU_CYCLE_1)
	s_cmp_le_u32 s3, s12
	s_cselect_b32 s0, -1, 0
	s_and_b32 s11, s0, exec_lo
	s_cselect_b32 s11, 8, 10
	s_nor_b32 s0, s0, vcc_lo
	v_mov_b32_e32 v16, s11
	s_and_saveexec_b32 s11, s0
	s_cbranch_execz .LBB1388_130
; %bb.129:
	v_cmp_ne_u32_e64 s0, 0x7fffffff, v15
	v_lshlrev_b32_e32 v17, 2, v2
	s_delay_alu instid0(VALU_DEP_2) | instskip(SKIP_1) | instid1(SALU_CYCLE_1)
	v_cndmask_b32_e64 v16, 0x80000000, v15, s0
	s_sub_co_i32 s0, s3, s12
	s_min_u32 s0, s0, 8
	s_delay_alu instid0(VALU_DEP_1) | instskip(NEXT) | instid1(VALU_DEP_1)
	v_lshrrev_b32_e32 v16, s12, v16
	v_bfe_u32 v16, v16, 0, s0
	s_delay_alu instid0(VALU_DEP_1)
	v_lshl_or_b32 v16, v16, 4, v17
	v_mov_b32_e32 v17, 1
	ds_add_u32 v16, v17 offset:8192
	v_mov_b32_e32 v16, 0
.LBB1388_130:
	s_or_b32 exec_lo, exec_lo, s11
	s_mov_b32 s11, -1
	s_mov_b32 s12, exec_lo
	s_delay_alu instid0(VALU_DEP_1)
	v_cmpx_gt_i32_e32 10, v16
; %bb.131:
	v_cmp_eq_u32_e64 s0, 0, v16
	s_or_not1_b32 s11, s0, exec_lo
; %bb.132:
	s_or_b32 exec_lo, exec_lo, s12
	s_delay_alu instid0(SALU_CYCLE_1)
	s_and_b32 exec_lo, exec_lo, s11
	s_cbranch_execz .LBB1388_135
; %bb.133:
	s_add_co_i32 s0, s2, 24
	s_delay_alu instid0(SALU_CYCLE_1) | instskip(SKIP_2) | instid1(SALU_CYCLE_1)
	s_cmp_gt_u32 s3, s0
	s_cselect_b32 s11, -1, 0
	s_xor_b32 s12, vcc_lo, -1
	s_and_b32 s11, s11, s12
	s_delay_alu instid0(SALU_CYCLE_1)
	s_and_b32 exec_lo, exec_lo, s11
	s_cbranch_execz .LBB1388_135
; %bb.134:
	v_cmp_ne_u32_e32 vcc_lo, 0x7fffffff, v15
	v_dual_cndmask_b32 v15, 0x80000000, v15 :: v_dual_lshlrev_b32 v16, 2, v2
	s_delay_alu instid0(VALU_DEP_1) | instskip(SKIP_1) | instid1(SALU_CYCLE_1)
	v_lshrrev_b32_e32 v15, s0, v15
	s_sub_co_i32 s0, s3, s0
	s_min_u32 s0, s0, 8
	s_delay_alu instid0(VALU_DEP_1) | instid1(SALU_CYCLE_1)
	v_bfe_u32 v15, v15, 0, s0
	s_delay_alu instid0(VALU_DEP_1)
	v_lshl_or_b32 v15, v15, 4, v16
	v_mov_b32_e32 v16, 1
	ds_add_u32 v15, v16 offset:12288
.LBB1388_135:
	s_or_b32 exec_lo, exec_lo, s10
	v_cmp_lt_i32_e32 vcc_lo, -1, v14
	v_cndmask_b32_e64 v15, -1, 0x80000000, vcc_lo
	v_cmp_le_u32_e32 vcc_lo, s1, v13
	s_delay_alu instid0(VALU_DEP_2) | instskip(SKIP_1) | instid1(SALU_CYCLE_1)
	v_dual_mov_b32 v14, s9 :: v_dual_bitop2_b32 v13, v15, v14 bitop3:0x14
	s_nor_b32 s0, s8, vcc_lo
	s_and_saveexec_b32 s10, s0
	s_cbranch_execz .LBB1388_137
; %bb.136:
	s_delay_alu instid0(VALU_DEP_1) | instskip(SKIP_1) | instid1(VALU_DEP_2)
	v_cmp_ne_u32_e64 s0, 0x7fffffff, v13
	v_lshlrev_b32_e32 v15, 2, v2
	v_cndmask_b32_e64 v14, 0x80000000, v13, s0
	s_sub_co_i32 s0, s3, s2
	s_delay_alu instid0(SALU_CYCLE_1) | instskip(NEXT) | instid1(VALU_DEP_1)
	s_min_u32 s0, s0, 8
	v_lshrrev_b32_e32 v14, s2, v14
	s_delay_alu instid0(VALU_DEP_1) | instskip(NEXT) | instid1(VALU_DEP_1)
	v_bfe_u32 v14, v14, 0, s0
	v_lshl_or_b32 v14, v14, 4, v15
	v_mov_b32_e32 v15, 1
	ds_add_u32 v14, v15
	v_mov_b32_e32 v14, 0
.LBB1388_137:
	s_or_b32 exec_lo, exec_lo, s10
	s_mov_b32 s11, -1
	s_mov_b32 s10, exec_lo
	s_delay_alu instid0(VALU_DEP_1)
	v_cmpx_gt_i32_e32 10, v14
; %bb.138:
	v_cmp_eq_u32_e64 s0, 0, v14
	s_or_not1_b32 s11, s0, exec_lo
; %bb.139:
	s_or_b32 exec_lo, exec_lo, s10
	s_and_saveexec_b32 s10, s11
	s_cbranch_execz .LBB1388_152
; %bb.140:
	s_add_co_i32 s12, s2, 8
	s_delay_alu instid0(SALU_CYCLE_1) | instskip(SKIP_1) | instid1(SALU_CYCLE_1)
	s_cmp_le_u32 s3, s12
	s_cselect_b32 s0, -1, 0
	s_and_b32 s11, s0, exec_lo
	s_cselect_b32 s11, 8, 10
	s_nor_b32 s0, s0, vcc_lo
	v_mov_b32_e32 v14, s11
	s_and_saveexec_b32 s11, s0
	s_cbranch_execz .LBB1388_142
; %bb.141:
	v_cmp_ne_u32_e64 s0, 0x7fffffff, v13
	v_lshlrev_b32_e32 v15, 2, v2
	s_delay_alu instid0(VALU_DEP_2) | instskip(SKIP_1) | instid1(SALU_CYCLE_1)
	v_cndmask_b32_e64 v14, 0x80000000, v13, s0
	s_sub_co_i32 s0, s3, s12
	s_min_u32 s0, s0, 8
	s_delay_alu instid0(VALU_DEP_1) | instskip(NEXT) | instid1(VALU_DEP_1)
	v_lshrrev_b32_e32 v14, s12, v14
	v_bfe_u32 v14, v14, 0, s0
	s_delay_alu instid0(VALU_DEP_1)
	v_lshl_or_b32 v14, v14, 4, v15
	v_mov_b32_e32 v15, 1
	ds_add_u32 v14, v15 offset:4096
	v_mov_b32_e32 v14, 0
.LBB1388_142:
	s_or_b32 exec_lo, exec_lo, s11
	s_mov_b32 s11, -1
	s_mov_b32 s12, exec_lo
	s_delay_alu instid0(VALU_DEP_1)
	v_cmpx_gt_i32_e32 10, v14
; %bb.143:
	v_cmp_eq_u32_e64 s0, 0, v14
	s_or_not1_b32 s11, s0, exec_lo
; %bb.144:
	s_or_b32 exec_lo, exec_lo, s12
	s_delay_alu instid0(SALU_CYCLE_1)
	s_and_b32 exec_lo, exec_lo, s11
	s_cbranch_execz .LBB1388_152
; %bb.145:
	s_add_co_i32 s12, s2, 16
	s_delay_alu instid0(SALU_CYCLE_1) | instskip(SKIP_1) | instid1(SALU_CYCLE_1)
	s_cmp_le_u32 s3, s12
	s_cselect_b32 s0, -1, 0
	s_and_b32 s11, s0, exec_lo
	s_cselect_b32 s11, 8, 10
	s_nor_b32 s0, s0, vcc_lo
	v_mov_b32_e32 v14, s11
	s_and_saveexec_b32 s11, s0
	s_cbranch_execz .LBB1388_147
; %bb.146:
	v_cmp_ne_u32_e64 s0, 0x7fffffff, v13
	v_lshlrev_b32_e32 v15, 2, v2
	s_delay_alu instid0(VALU_DEP_2) | instskip(SKIP_1) | instid1(SALU_CYCLE_1)
	v_cndmask_b32_e64 v14, 0x80000000, v13, s0
	s_sub_co_i32 s0, s3, s12
	s_min_u32 s0, s0, 8
	s_delay_alu instid0(VALU_DEP_1) | instskip(NEXT) | instid1(VALU_DEP_1)
	v_lshrrev_b32_e32 v14, s12, v14
	v_bfe_u32 v14, v14, 0, s0
	s_delay_alu instid0(VALU_DEP_1)
	v_lshl_or_b32 v14, v14, 4, v15
	v_mov_b32_e32 v15, 1
	ds_add_u32 v14, v15 offset:8192
	v_mov_b32_e32 v14, 0
.LBB1388_147:
	s_or_b32 exec_lo, exec_lo, s11
	s_mov_b32 s11, -1
	s_mov_b32 s12, exec_lo
	s_delay_alu instid0(VALU_DEP_1)
	v_cmpx_gt_i32_e32 10, v14
; %bb.148:
	v_cmp_eq_u32_e64 s0, 0, v14
	s_or_not1_b32 s11, s0, exec_lo
; %bb.149:
	s_or_b32 exec_lo, exec_lo, s12
	s_delay_alu instid0(SALU_CYCLE_1)
	s_and_b32 exec_lo, exec_lo, s11
	s_cbranch_execz .LBB1388_152
; %bb.150:
	s_add_co_i32 s0, s2, 24
	s_delay_alu instid0(SALU_CYCLE_1) | instskip(SKIP_2) | instid1(SALU_CYCLE_1)
	s_cmp_gt_u32 s3, s0
	s_cselect_b32 s11, -1, 0
	s_xor_b32 s12, vcc_lo, -1
	s_and_b32 s11, s11, s12
	s_delay_alu instid0(SALU_CYCLE_1)
	s_and_b32 exec_lo, exec_lo, s11
	s_cbranch_execz .LBB1388_152
; %bb.151:
	v_cmp_ne_u32_e32 vcc_lo, 0x7fffffff, v13
	v_dual_cndmask_b32 v13, 0x80000000, v13 :: v_dual_lshlrev_b32 v14, 2, v2
	s_delay_alu instid0(VALU_DEP_1) | instskip(SKIP_1) | instid1(SALU_CYCLE_1)
	v_lshrrev_b32_e32 v13, s0, v13
	s_sub_co_i32 s0, s3, s0
	s_min_u32 s0, s0, 8
	s_delay_alu instid0(VALU_DEP_1) | instid1(SALU_CYCLE_1)
	v_bfe_u32 v13, v13, 0, s0
	s_delay_alu instid0(VALU_DEP_1)
	v_lshl_or_b32 v13, v13, 4, v14
	v_mov_b32_e32 v14, 1
	ds_add_u32 v13, v14 offset:12288
.LBB1388_152:
	s_or_b32 exec_lo, exec_lo, s10
	v_cmp_lt_i32_e32 vcc_lo, -1, v12
	v_cndmask_b32_e64 v13, -1, 0x80000000, vcc_lo
	v_cmp_le_u32_e32 vcc_lo, s1, v11
	s_delay_alu instid0(VALU_DEP_2) | instskip(SKIP_1) | instid1(SALU_CYCLE_1)
	v_dual_mov_b32 v12, s9 :: v_dual_bitop2_b32 v11, v13, v12 bitop3:0x14
	s_nor_b32 s0, s8, vcc_lo
	s_and_saveexec_b32 s10, s0
	s_cbranch_execz .LBB1388_154
; %bb.153:
	s_delay_alu instid0(VALU_DEP_1) | instskip(SKIP_1) | instid1(VALU_DEP_2)
	v_cmp_ne_u32_e64 s0, 0x7fffffff, v11
	v_lshlrev_b32_e32 v13, 2, v2
	v_cndmask_b32_e64 v12, 0x80000000, v11, s0
	s_sub_co_i32 s0, s3, s2
	s_delay_alu instid0(SALU_CYCLE_1) | instskip(NEXT) | instid1(VALU_DEP_1)
	s_min_u32 s0, s0, 8
	v_lshrrev_b32_e32 v12, s2, v12
	s_delay_alu instid0(VALU_DEP_1) | instskip(NEXT) | instid1(VALU_DEP_1)
	v_bfe_u32 v12, v12, 0, s0
	v_lshl_or_b32 v12, v12, 4, v13
	v_mov_b32_e32 v13, 1
	ds_add_u32 v12, v13
	v_mov_b32_e32 v12, 0
.LBB1388_154:
	s_or_b32 exec_lo, exec_lo, s10
	s_mov_b32 s11, -1
	s_mov_b32 s10, exec_lo
	s_delay_alu instid0(VALU_DEP_1)
	v_cmpx_gt_i32_e32 10, v12
; %bb.155:
	v_cmp_eq_u32_e64 s0, 0, v12
	s_or_not1_b32 s11, s0, exec_lo
; %bb.156:
	s_or_b32 exec_lo, exec_lo, s10
	s_and_saveexec_b32 s10, s11
	s_cbranch_execz .LBB1388_169
; %bb.157:
	s_add_co_i32 s12, s2, 8
	s_delay_alu instid0(SALU_CYCLE_1) | instskip(SKIP_1) | instid1(SALU_CYCLE_1)
	s_cmp_le_u32 s3, s12
	s_cselect_b32 s0, -1, 0
	s_and_b32 s11, s0, exec_lo
	s_cselect_b32 s11, 8, 10
	s_nor_b32 s0, s0, vcc_lo
	v_mov_b32_e32 v12, s11
	s_and_saveexec_b32 s11, s0
	s_cbranch_execz .LBB1388_159
; %bb.158:
	v_cmp_ne_u32_e64 s0, 0x7fffffff, v11
	v_lshlrev_b32_e32 v13, 2, v2
	s_delay_alu instid0(VALU_DEP_2) | instskip(SKIP_1) | instid1(SALU_CYCLE_1)
	v_cndmask_b32_e64 v12, 0x80000000, v11, s0
	s_sub_co_i32 s0, s3, s12
	s_min_u32 s0, s0, 8
	s_delay_alu instid0(VALU_DEP_1) | instskip(NEXT) | instid1(VALU_DEP_1)
	v_lshrrev_b32_e32 v12, s12, v12
	v_bfe_u32 v12, v12, 0, s0
	s_delay_alu instid0(VALU_DEP_1)
	v_lshl_or_b32 v12, v12, 4, v13
	v_mov_b32_e32 v13, 1
	ds_add_u32 v12, v13 offset:4096
	v_mov_b32_e32 v12, 0
.LBB1388_159:
	s_or_b32 exec_lo, exec_lo, s11
	s_mov_b32 s11, -1
	s_mov_b32 s12, exec_lo
	s_delay_alu instid0(VALU_DEP_1)
	v_cmpx_gt_i32_e32 10, v12
; %bb.160:
	v_cmp_eq_u32_e64 s0, 0, v12
	s_or_not1_b32 s11, s0, exec_lo
; %bb.161:
	s_or_b32 exec_lo, exec_lo, s12
	s_delay_alu instid0(SALU_CYCLE_1)
	s_and_b32 exec_lo, exec_lo, s11
	s_cbranch_execz .LBB1388_169
; %bb.162:
	s_add_co_i32 s12, s2, 16
	s_delay_alu instid0(SALU_CYCLE_1) | instskip(SKIP_1) | instid1(SALU_CYCLE_1)
	s_cmp_le_u32 s3, s12
	s_cselect_b32 s0, -1, 0
	s_and_b32 s11, s0, exec_lo
	s_cselect_b32 s11, 8, 10
	s_nor_b32 s0, s0, vcc_lo
	v_mov_b32_e32 v12, s11
	s_and_saveexec_b32 s11, s0
	s_cbranch_execz .LBB1388_164
; %bb.163:
	v_cmp_ne_u32_e64 s0, 0x7fffffff, v11
	v_lshlrev_b32_e32 v13, 2, v2
	s_delay_alu instid0(VALU_DEP_2) | instskip(SKIP_1) | instid1(SALU_CYCLE_1)
	v_cndmask_b32_e64 v12, 0x80000000, v11, s0
	s_sub_co_i32 s0, s3, s12
	s_min_u32 s0, s0, 8
	s_delay_alu instid0(VALU_DEP_1) | instskip(NEXT) | instid1(VALU_DEP_1)
	v_lshrrev_b32_e32 v12, s12, v12
	v_bfe_u32 v12, v12, 0, s0
	s_delay_alu instid0(VALU_DEP_1)
	v_lshl_or_b32 v12, v12, 4, v13
	v_mov_b32_e32 v13, 1
	ds_add_u32 v12, v13 offset:8192
	v_mov_b32_e32 v12, 0
.LBB1388_164:
	s_or_b32 exec_lo, exec_lo, s11
	s_mov_b32 s11, -1
	s_mov_b32 s12, exec_lo
	s_delay_alu instid0(VALU_DEP_1)
	v_cmpx_gt_i32_e32 10, v12
; %bb.165:
	v_cmp_eq_u32_e64 s0, 0, v12
	s_or_not1_b32 s11, s0, exec_lo
; %bb.166:
	s_or_b32 exec_lo, exec_lo, s12
	s_delay_alu instid0(SALU_CYCLE_1)
	s_and_b32 exec_lo, exec_lo, s11
	s_cbranch_execz .LBB1388_169
; %bb.167:
	s_add_co_i32 s0, s2, 24
	s_delay_alu instid0(SALU_CYCLE_1) | instskip(SKIP_2) | instid1(SALU_CYCLE_1)
	s_cmp_gt_u32 s3, s0
	s_cselect_b32 s11, -1, 0
	s_xor_b32 s12, vcc_lo, -1
	s_and_b32 s11, s11, s12
	s_delay_alu instid0(SALU_CYCLE_1)
	s_and_b32 exec_lo, exec_lo, s11
	s_cbranch_execz .LBB1388_169
; %bb.168:
	v_cmp_ne_u32_e32 vcc_lo, 0x7fffffff, v11
	v_dual_cndmask_b32 v11, 0x80000000, v11 :: v_dual_lshlrev_b32 v12, 2, v2
	s_delay_alu instid0(VALU_DEP_1) | instskip(SKIP_1) | instid1(SALU_CYCLE_1)
	v_lshrrev_b32_e32 v11, s0, v11
	s_sub_co_i32 s0, s3, s0
	s_min_u32 s0, s0, 8
	s_delay_alu instid0(VALU_DEP_1) | instid1(SALU_CYCLE_1)
	v_bfe_u32 v11, v11, 0, s0
	s_delay_alu instid0(VALU_DEP_1)
	v_lshl_or_b32 v11, v11, 4, v12
	v_mov_b32_e32 v12, 1
	ds_add_u32 v11, v12 offset:12288
.LBB1388_169:
	s_or_b32 exec_lo, exec_lo, s10
	v_cmp_lt_i32_e32 vcc_lo, -1, v10
	v_cndmask_b32_e64 v11, -1, 0x80000000, vcc_lo
	v_cmp_le_u32_e32 vcc_lo, s1, v9
	s_delay_alu instid0(VALU_DEP_2) | instskip(SKIP_1) | instid1(SALU_CYCLE_1)
	v_dual_mov_b32 v10, s9 :: v_dual_bitop2_b32 v9, v11, v10 bitop3:0x14
	s_nor_b32 s0, s8, vcc_lo
	s_and_saveexec_b32 s10, s0
	s_cbranch_execz .LBB1388_171
; %bb.170:
	s_delay_alu instid0(VALU_DEP_1) | instskip(SKIP_1) | instid1(VALU_DEP_2)
	v_cmp_ne_u32_e64 s0, 0x7fffffff, v9
	v_lshlrev_b32_e32 v11, 2, v2
	v_cndmask_b32_e64 v10, 0x80000000, v9, s0
	s_sub_co_i32 s0, s3, s2
	s_delay_alu instid0(SALU_CYCLE_1) | instskip(NEXT) | instid1(VALU_DEP_1)
	s_min_u32 s0, s0, 8
	v_lshrrev_b32_e32 v10, s2, v10
	s_delay_alu instid0(VALU_DEP_1) | instskip(NEXT) | instid1(VALU_DEP_1)
	v_bfe_u32 v10, v10, 0, s0
	v_lshl_or_b32 v10, v10, 4, v11
	v_mov_b32_e32 v11, 1
	ds_add_u32 v10, v11
	v_mov_b32_e32 v10, 0
.LBB1388_171:
	s_or_b32 exec_lo, exec_lo, s10
	s_mov_b32 s11, -1
	s_mov_b32 s10, exec_lo
	s_delay_alu instid0(VALU_DEP_1)
	v_cmpx_gt_i32_e32 10, v10
; %bb.172:
	v_cmp_eq_u32_e64 s0, 0, v10
	s_or_not1_b32 s11, s0, exec_lo
; %bb.173:
	s_or_b32 exec_lo, exec_lo, s10
	s_and_saveexec_b32 s10, s11
	s_cbranch_execz .LBB1388_186
; %bb.174:
	s_add_co_i32 s12, s2, 8
	s_delay_alu instid0(SALU_CYCLE_1) | instskip(SKIP_1) | instid1(SALU_CYCLE_1)
	s_cmp_le_u32 s3, s12
	s_cselect_b32 s0, -1, 0
	s_and_b32 s11, s0, exec_lo
	s_cselect_b32 s11, 8, 10
	s_nor_b32 s0, s0, vcc_lo
	v_mov_b32_e32 v10, s11
	s_and_saveexec_b32 s11, s0
	s_cbranch_execz .LBB1388_176
; %bb.175:
	v_cmp_ne_u32_e64 s0, 0x7fffffff, v9
	v_lshlrev_b32_e32 v11, 2, v2
	s_delay_alu instid0(VALU_DEP_2) | instskip(SKIP_1) | instid1(SALU_CYCLE_1)
	v_cndmask_b32_e64 v10, 0x80000000, v9, s0
	s_sub_co_i32 s0, s3, s12
	s_min_u32 s0, s0, 8
	s_delay_alu instid0(VALU_DEP_1) | instskip(NEXT) | instid1(VALU_DEP_1)
	v_lshrrev_b32_e32 v10, s12, v10
	v_bfe_u32 v10, v10, 0, s0
	s_delay_alu instid0(VALU_DEP_1)
	v_lshl_or_b32 v10, v10, 4, v11
	v_mov_b32_e32 v11, 1
	ds_add_u32 v10, v11 offset:4096
	v_mov_b32_e32 v10, 0
.LBB1388_176:
	s_or_b32 exec_lo, exec_lo, s11
	s_mov_b32 s11, -1
	s_mov_b32 s12, exec_lo
	s_delay_alu instid0(VALU_DEP_1)
	v_cmpx_gt_i32_e32 10, v10
; %bb.177:
	v_cmp_eq_u32_e64 s0, 0, v10
	s_or_not1_b32 s11, s0, exec_lo
; %bb.178:
	s_or_b32 exec_lo, exec_lo, s12
	s_delay_alu instid0(SALU_CYCLE_1)
	s_and_b32 exec_lo, exec_lo, s11
	s_cbranch_execz .LBB1388_186
; %bb.179:
	s_add_co_i32 s12, s2, 16
	s_delay_alu instid0(SALU_CYCLE_1) | instskip(SKIP_1) | instid1(SALU_CYCLE_1)
	s_cmp_le_u32 s3, s12
	s_cselect_b32 s0, -1, 0
	s_and_b32 s11, s0, exec_lo
	s_cselect_b32 s11, 8, 10
	s_nor_b32 s0, s0, vcc_lo
	v_mov_b32_e32 v10, s11
	s_and_saveexec_b32 s11, s0
	s_cbranch_execz .LBB1388_181
; %bb.180:
	v_cmp_ne_u32_e64 s0, 0x7fffffff, v9
	v_lshlrev_b32_e32 v11, 2, v2
	s_delay_alu instid0(VALU_DEP_2) | instskip(SKIP_1) | instid1(SALU_CYCLE_1)
	v_cndmask_b32_e64 v10, 0x80000000, v9, s0
	s_sub_co_i32 s0, s3, s12
	s_min_u32 s0, s0, 8
	s_delay_alu instid0(VALU_DEP_1) | instskip(NEXT) | instid1(VALU_DEP_1)
	v_lshrrev_b32_e32 v10, s12, v10
	v_bfe_u32 v10, v10, 0, s0
	s_delay_alu instid0(VALU_DEP_1)
	v_lshl_or_b32 v10, v10, 4, v11
	v_mov_b32_e32 v11, 1
	ds_add_u32 v10, v11 offset:8192
	v_mov_b32_e32 v10, 0
.LBB1388_181:
	s_or_b32 exec_lo, exec_lo, s11
	s_mov_b32 s11, -1
	s_mov_b32 s12, exec_lo
	s_delay_alu instid0(VALU_DEP_1)
	v_cmpx_gt_i32_e32 10, v10
; %bb.182:
	v_cmp_eq_u32_e64 s0, 0, v10
	s_or_not1_b32 s11, s0, exec_lo
; %bb.183:
	s_or_b32 exec_lo, exec_lo, s12
	s_delay_alu instid0(SALU_CYCLE_1)
	s_and_b32 exec_lo, exec_lo, s11
	s_cbranch_execz .LBB1388_186
; %bb.184:
	s_add_co_i32 s0, s2, 24
	s_delay_alu instid0(SALU_CYCLE_1) | instskip(SKIP_2) | instid1(SALU_CYCLE_1)
	s_cmp_gt_u32 s3, s0
	s_cselect_b32 s11, -1, 0
	s_xor_b32 s12, vcc_lo, -1
	s_and_b32 s11, s11, s12
	s_delay_alu instid0(SALU_CYCLE_1)
	s_and_b32 exec_lo, exec_lo, s11
	s_cbranch_execz .LBB1388_186
; %bb.185:
	v_cmp_ne_u32_e32 vcc_lo, 0x7fffffff, v9
	v_dual_cndmask_b32 v9, 0x80000000, v9 :: v_dual_lshlrev_b32 v10, 2, v2
	s_delay_alu instid0(VALU_DEP_1) | instskip(SKIP_1) | instid1(SALU_CYCLE_1)
	v_lshrrev_b32_e32 v9, s0, v9
	s_sub_co_i32 s0, s3, s0
	s_min_u32 s0, s0, 8
	s_delay_alu instid0(VALU_DEP_1) | instid1(SALU_CYCLE_1)
	v_bfe_u32 v9, v9, 0, s0
	s_delay_alu instid0(VALU_DEP_1)
	v_lshl_or_b32 v9, v9, 4, v10
	v_mov_b32_e32 v10, 1
	ds_add_u32 v9, v10 offset:12288
.LBB1388_186:
	s_or_b32 exec_lo, exec_lo, s10
	v_cmp_lt_i32_e32 vcc_lo, -1, v8
	v_cndmask_b32_e64 v9, -1, 0x80000000, vcc_lo
	v_cmp_le_u32_e32 vcc_lo, s1, v7
	s_delay_alu instid0(VALU_DEP_2) | instskip(SKIP_1) | instid1(SALU_CYCLE_1)
	v_dual_mov_b32 v8, s9 :: v_dual_bitop2_b32 v7, v9, v8 bitop3:0x14
	s_nor_b32 s0, s8, vcc_lo
	s_and_saveexec_b32 s10, s0
	s_cbranch_execz .LBB1388_188
; %bb.187:
	s_delay_alu instid0(VALU_DEP_1) | instskip(SKIP_1) | instid1(VALU_DEP_2)
	v_cmp_ne_u32_e64 s0, 0x7fffffff, v7
	v_lshlrev_b32_e32 v9, 2, v2
	v_cndmask_b32_e64 v8, 0x80000000, v7, s0
	s_sub_co_i32 s0, s3, s2
	s_delay_alu instid0(SALU_CYCLE_1) | instskip(NEXT) | instid1(VALU_DEP_1)
	s_min_u32 s0, s0, 8
	v_lshrrev_b32_e32 v8, s2, v8
	s_delay_alu instid0(VALU_DEP_1) | instskip(NEXT) | instid1(VALU_DEP_1)
	v_bfe_u32 v8, v8, 0, s0
	v_lshl_or_b32 v8, v8, 4, v9
	v_mov_b32_e32 v9, 1
	ds_add_u32 v8, v9
	v_mov_b32_e32 v8, 0
.LBB1388_188:
	s_or_b32 exec_lo, exec_lo, s10
	s_mov_b32 s11, -1
	s_mov_b32 s10, exec_lo
	s_delay_alu instid0(VALU_DEP_1)
	v_cmpx_gt_i32_e32 10, v8
; %bb.189:
	v_cmp_eq_u32_e64 s0, 0, v8
	s_or_not1_b32 s11, s0, exec_lo
; %bb.190:
	s_or_b32 exec_lo, exec_lo, s10
	s_and_saveexec_b32 s10, s11
	s_cbranch_execz .LBB1388_203
; %bb.191:
	s_add_co_i32 s12, s2, 8
	s_delay_alu instid0(SALU_CYCLE_1) | instskip(SKIP_1) | instid1(SALU_CYCLE_1)
	s_cmp_le_u32 s3, s12
	s_cselect_b32 s0, -1, 0
	s_and_b32 s11, s0, exec_lo
	s_cselect_b32 s11, 8, 10
	s_nor_b32 s0, s0, vcc_lo
	v_mov_b32_e32 v8, s11
	s_and_saveexec_b32 s11, s0
	s_cbranch_execz .LBB1388_193
; %bb.192:
	v_cmp_ne_u32_e64 s0, 0x7fffffff, v7
	v_lshlrev_b32_e32 v9, 2, v2
	s_delay_alu instid0(VALU_DEP_2) | instskip(SKIP_1) | instid1(SALU_CYCLE_1)
	v_cndmask_b32_e64 v8, 0x80000000, v7, s0
	s_sub_co_i32 s0, s3, s12
	s_min_u32 s0, s0, 8
	s_delay_alu instid0(VALU_DEP_1) | instskip(NEXT) | instid1(VALU_DEP_1)
	v_lshrrev_b32_e32 v8, s12, v8
	v_bfe_u32 v8, v8, 0, s0
	s_delay_alu instid0(VALU_DEP_1)
	v_lshl_or_b32 v8, v8, 4, v9
	v_mov_b32_e32 v9, 1
	ds_add_u32 v8, v9 offset:4096
	v_mov_b32_e32 v8, 0
.LBB1388_193:
	s_or_b32 exec_lo, exec_lo, s11
	s_mov_b32 s11, -1
	s_mov_b32 s12, exec_lo
	s_delay_alu instid0(VALU_DEP_1)
	v_cmpx_gt_i32_e32 10, v8
; %bb.194:
	v_cmp_eq_u32_e64 s0, 0, v8
	s_or_not1_b32 s11, s0, exec_lo
; %bb.195:
	s_or_b32 exec_lo, exec_lo, s12
	s_delay_alu instid0(SALU_CYCLE_1)
	s_and_b32 exec_lo, exec_lo, s11
	s_cbranch_execz .LBB1388_203
; %bb.196:
	s_add_co_i32 s12, s2, 16
	s_delay_alu instid0(SALU_CYCLE_1) | instskip(SKIP_1) | instid1(SALU_CYCLE_1)
	s_cmp_le_u32 s3, s12
	s_cselect_b32 s0, -1, 0
	s_and_b32 s11, s0, exec_lo
	s_cselect_b32 s11, 8, 10
	s_nor_b32 s0, s0, vcc_lo
	v_mov_b32_e32 v8, s11
	s_and_saveexec_b32 s11, s0
	s_cbranch_execz .LBB1388_198
; %bb.197:
	v_cmp_ne_u32_e64 s0, 0x7fffffff, v7
	v_lshlrev_b32_e32 v9, 2, v2
	s_delay_alu instid0(VALU_DEP_2) | instskip(SKIP_1) | instid1(SALU_CYCLE_1)
	v_cndmask_b32_e64 v8, 0x80000000, v7, s0
	s_sub_co_i32 s0, s3, s12
	s_min_u32 s0, s0, 8
	s_delay_alu instid0(VALU_DEP_1) | instskip(NEXT) | instid1(VALU_DEP_1)
	v_lshrrev_b32_e32 v8, s12, v8
	v_bfe_u32 v8, v8, 0, s0
	s_delay_alu instid0(VALU_DEP_1)
	v_lshl_or_b32 v8, v8, 4, v9
	v_mov_b32_e32 v9, 1
	ds_add_u32 v8, v9 offset:8192
	v_mov_b32_e32 v8, 0
.LBB1388_198:
	s_or_b32 exec_lo, exec_lo, s11
	s_mov_b32 s11, -1
	s_mov_b32 s12, exec_lo
	s_delay_alu instid0(VALU_DEP_1)
	v_cmpx_gt_i32_e32 10, v8
; %bb.199:
	v_cmp_eq_u32_e64 s0, 0, v8
	s_or_not1_b32 s11, s0, exec_lo
; %bb.200:
	s_or_b32 exec_lo, exec_lo, s12
	s_delay_alu instid0(SALU_CYCLE_1)
	s_and_b32 exec_lo, exec_lo, s11
	s_cbranch_execz .LBB1388_203
; %bb.201:
	s_add_co_i32 s0, s2, 24
	s_delay_alu instid0(SALU_CYCLE_1) | instskip(SKIP_2) | instid1(SALU_CYCLE_1)
	s_cmp_gt_u32 s3, s0
	s_cselect_b32 s11, -1, 0
	s_xor_b32 s12, vcc_lo, -1
	s_and_b32 s11, s11, s12
	s_delay_alu instid0(SALU_CYCLE_1)
	s_and_b32 exec_lo, exec_lo, s11
	s_cbranch_execz .LBB1388_203
; %bb.202:
	v_cmp_ne_u32_e32 vcc_lo, 0x7fffffff, v7
	v_dual_cndmask_b32 v7, 0x80000000, v7 :: v_dual_lshlrev_b32 v8, 2, v2
	s_delay_alu instid0(VALU_DEP_1) | instskip(SKIP_1) | instid1(SALU_CYCLE_1)
	v_lshrrev_b32_e32 v7, s0, v7
	s_sub_co_i32 s0, s3, s0
	s_min_u32 s0, s0, 8
	s_delay_alu instid0(VALU_DEP_1) | instid1(SALU_CYCLE_1)
	v_bfe_u32 v7, v7, 0, s0
	s_delay_alu instid0(VALU_DEP_1)
	v_lshl_or_b32 v7, v7, 4, v8
	v_mov_b32_e32 v8, 1
	ds_add_u32 v7, v8 offset:12288
.LBB1388_203:
	s_or_b32 exec_lo, exec_lo, s10
	v_cmp_lt_i32_e32 vcc_lo, -1, v6
	v_cndmask_b32_e64 v7, -1, 0x80000000, vcc_lo
	v_cmp_le_u32_e32 vcc_lo, s1, v5
	s_delay_alu instid0(VALU_DEP_2) | instskip(SKIP_1) | instid1(SALU_CYCLE_1)
	v_dual_mov_b32 v6, s9 :: v_dual_bitop2_b32 v5, v7, v6 bitop3:0x14
	s_nor_b32 s0, s8, vcc_lo
	s_and_saveexec_b32 s10, s0
	s_cbranch_execz .LBB1388_205
; %bb.204:
	s_delay_alu instid0(VALU_DEP_1) | instskip(SKIP_1) | instid1(VALU_DEP_2)
	v_cmp_ne_u32_e64 s0, 0x7fffffff, v5
	v_lshlrev_b32_e32 v7, 2, v2
	v_cndmask_b32_e64 v6, 0x80000000, v5, s0
	s_sub_co_i32 s0, s3, s2
	s_delay_alu instid0(SALU_CYCLE_1) | instskip(NEXT) | instid1(VALU_DEP_1)
	s_min_u32 s0, s0, 8
	v_lshrrev_b32_e32 v6, s2, v6
	s_delay_alu instid0(VALU_DEP_1) | instskip(NEXT) | instid1(VALU_DEP_1)
	v_bfe_u32 v6, v6, 0, s0
	v_lshl_or_b32 v6, v6, 4, v7
	v_mov_b32_e32 v7, 1
	ds_add_u32 v6, v7
	v_mov_b32_e32 v6, 0
.LBB1388_205:
	s_or_b32 exec_lo, exec_lo, s10
	s_mov_b32 s11, -1
	s_mov_b32 s10, exec_lo
	s_delay_alu instid0(VALU_DEP_1)
	v_cmpx_gt_i32_e32 10, v6
; %bb.206:
	v_cmp_eq_u32_e64 s0, 0, v6
	s_or_not1_b32 s11, s0, exec_lo
; %bb.207:
	s_or_b32 exec_lo, exec_lo, s10
	s_and_saveexec_b32 s10, s11
	s_cbranch_execz .LBB1388_220
; %bb.208:
	s_add_co_i32 s12, s2, 8
	s_delay_alu instid0(SALU_CYCLE_1) | instskip(SKIP_1) | instid1(SALU_CYCLE_1)
	s_cmp_le_u32 s3, s12
	s_cselect_b32 s0, -1, 0
	s_and_b32 s11, s0, exec_lo
	s_cselect_b32 s11, 8, 10
	s_nor_b32 s0, s0, vcc_lo
	v_mov_b32_e32 v6, s11
	s_and_saveexec_b32 s11, s0
	s_cbranch_execz .LBB1388_210
; %bb.209:
	v_cmp_ne_u32_e64 s0, 0x7fffffff, v5
	v_lshlrev_b32_e32 v7, 2, v2
	s_delay_alu instid0(VALU_DEP_2) | instskip(SKIP_1) | instid1(SALU_CYCLE_1)
	v_cndmask_b32_e64 v6, 0x80000000, v5, s0
	s_sub_co_i32 s0, s3, s12
	s_min_u32 s0, s0, 8
	s_delay_alu instid0(VALU_DEP_1) | instskip(NEXT) | instid1(VALU_DEP_1)
	v_lshrrev_b32_e32 v6, s12, v6
	v_bfe_u32 v6, v6, 0, s0
	s_delay_alu instid0(VALU_DEP_1)
	v_lshl_or_b32 v6, v6, 4, v7
	v_mov_b32_e32 v7, 1
	ds_add_u32 v6, v7 offset:4096
	v_mov_b32_e32 v6, 0
.LBB1388_210:
	s_or_b32 exec_lo, exec_lo, s11
	s_mov_b32 s11, -1
	s_mov_b32 s12, exec_lo
	s_delay_alu instid0(VALU_DEP_1)
	v_cmpx_gt_i32_e32 10, v6
; %bb.211:
	v_cmp_eq_u32_e64 s0, 0, v6
	s_or_not1_b32 s11, s0, exec_lo
; %bb.212:
	s_or_b32 exec_lo, exec_lo, s12
	s_delay_alu instid0(SALU_CYCLE_1)
	s_and_b32 exec_lo, exec_lo, s11
	s_cbranch_execz .LBB1388_220
; %bb.213:
	s_add_co_i32 s12, s2, 16
	s_delay_alu instid0(SALU_CYCLE_1) | instskip(SKIP_1) | instid1(SALU_CYCLE_1)
	s_cmp_le_u32 s3, s12
	s_cselect_b32 s0, -1, 0
	s_and_b32 s11, s0, exec_lo
	s_cselect_b32 s11, 8, 10
	s_nor_b32 s0, s0, vcc_lo
	v_mov_b32_e32 v6, s11
	s_and_saveexec_b32 s11, s0
	s_cbranch_execz .LBB1388_215
; %bb.214:
	v_cmp_ne_u32_e64 s0, 0x7fffffff, v5
	v_lshlrev_b32_e32 v7, 2, v2
	s_delay_alu instid0(VALU_DEP_2) | instskip(SKIP_1) | instid1(SALU_CYCLE_1)
	v_cndmask_b32_e64 v6, 0x80000000, v5, s0
	s_sub_co_i32 s0, s3, s12
	s_min_u32 s0, s0, 8
	s_delay_alu instid0(VALU_DEP_1) | instskip(NEXT) | instid1(VALU_DEP_1)
	v_lshrrev_b32_e32 v6, s12, v6
	v_bfe_u32 v6, v6, 0, s0
	s_delay_alu instid0(VALU_DEP_1)
	v_lshl_or_b32 v6, v6, 4, v7
	v_mov_b32_e32 v7, 1
	ds_add_u32 v6, v7 offset:8192
	v_mov_b32_e32 v6, 0
.LBB1388_215:
	s_or_b32 exec_lo, exec_lo, s11
	s_mov_b32 s11, -1
	s_mov_b32 s12, exec_lo
	s_delay_alu instid0(VALU_DEP_1)
	v_cmpx_gt_i32_e32 10, v6
; %bb.216:
	v_cmp_eq_u32_e64 s0, 0, v6
	s_or_not1_b32 s11, s0, exec_lo
; %bb.217:
	s_or_b32 exec_lo, exec_lo, s12
	s_delay_alu instid0(SALU_CYCLE_1)
	s_and_b32 exec_lo, exec_lo, s11
	s_cbranch_execz .LBB1388_220
; %bb.218:
	s_add_co_i32 s0, s2, 24
	s_delay_alu instid0(SALU_CYCLE_1) | instskip(SKIP_2) | instid1(SALU_CYCLE_1)
	s_cmp_gt_u32 s3, s0
	s_cselect_b32 s11, -1, 0
	s_xor_b32 s12, vcc_lo, -1
	s_and_b32 s11, s11, s12
	s_delay_alu instid0(SALU_CYCLE_1)
	s_and_b32 exec_lo, exec_lo, s11
	s_cbranch_execz .LBB1388_220
; %bb.219:
	v_cmp_ne_u32_e32 vcc_lo, 0x7fffffff, v5
	v_dual_cndmask_b32 v5, 0x80000000, v5 :: v_dual_lshlrev_b32 v6, 2, v2
	s_delay_alu instid0(VALU_DEP_1) | instskip(SKIP_1) | instid1(SALU_CYCLE_1)
	v_lshrrev_b32_e32 v5, s0, v5
	s_sub_co_i32 s0, s3, s0
	s_min_u32 s0, s0, 8
	s_delay_alu instid0(VALU_DEP_1) | instid1(SALU_CYCLE_1)
	v_bfe_u32 v5, v5, 0, s0
	s_delay_alu instid0(VALU_DEP_1)
	v_lshl_or_b32 v5, v5, 4, v6
	v_mov_b32_e32 v6, 1
	ds_add_u32 v5, v6 offset:12288
.LBB1388_220:
	s_or_b32 exec_lo, exec_lo, s10
	v_cmp_lt_i32_e32 vcc_lo, -1, v4
	v_cndmask_b32_e64 v5, -1, 0x80000000, vcc_lo
	v_cmp_le_u32_e32 vcc_lo, s1, v3
	s_delay_alu instid0(VALU_DEP_2) | instskip(SKIP_1) | instid1(SALU_CYCLE_1)
	v_dual_mov_b32 v4, s9 :: v_dual_bitop2_b32 v3, v5, v4 bitop3:0x14
	s_nor_b32 s0, s8, vcc_lo
	s_and_saveexec_b32 s1, s0
	s_cbranch_execz .LBB1388_222
; %bb.221:
	s_delay_alu instid0(VALU_DEP_1) | instskip(SKIP_1) | instid1(VALU_DEP_2)
	v_cmp_ne_u32_e64 s0, 0x7fffffff, v3
	v_lshlrev_b32_e32 v5, 2, v2
	v_cndmask_b32_e64 v4, 0x80000000, v3, s0
	s_sub_co_i32 s0, s3, s2
	s_delay_alu instid0(SALU_CYCLE_1) | instskip(NEXT) | instid1(VALU_DEP_1)
	s_min_u32 s0, s0, 8
	v_lshrrev_b32_e32 v4, s2, v4
	s_delay_alu instid0(VALU_DEP_1) | instskip(NEXT) | instid1(VALU_DEP_1)
	v_bfe_u32 v4, v4, 0, s0
	v_lshl_or_b32 v4, v4, 4, v5
	v_mov_b32_e32 v5, 1
	ds_add_u32 v4, v5
	v_mov_b32_e32 v4, 0
.LBB1388_222:
	s_or_b32 exec_lo, exec_lo, s1
	s_mov_b32 s8, -1
	s_mov_b32 s1, exec_lo
	s_delay_alu instid0(VALU_DEP_1)
	v_cmpx_gt_i32_e32 10, v4
; %bb.223:
	v_cmp_eq_u32_e64 s0, 0, v4
	s_or_not1_b32 s8, s0, exec_lo
; %bb.224:
	s_or_b32 exec_lo, exec_lo, s1
	s_and_saveexec_b32 s1, s8
	s_cbranch_execz .LBB1388_237
; %bb.225:
	s_add_co_i32 s9, s2, 8
	s_delay_alu instid0(SALU_CYCLE_1) | instskip(SKIP_1) | instid1(SALU_CYCLE_1)
	s_cmp_le_u32 s3, s9
	s_cselect_b32 s0, -1, 0
	s_and_b32 s8, s0, exec_lo
	s_cselect_b32 s8, 8, 10
	s_nor_b32 s0, s0, vcc_lo
	v_mov_b32_e32 v4, s8
	s_and_saveexec_b32 s8, s0
	s_cbranch_execz .LBB1388_227
; %bb.226:
	v_cmp_ne_u32_e64 s0, 0x7fffffff, v3
	v_lshlrev_b32_e32 v5, 2, v2
	s_delay_alu instid0(VALU_DEP_2) | instskip(SKIP_1) | instid1(SALU_CYCLE_1)
	v_cndmask_b32_e64 v4, 0x80000000, v3, s0
	s_sub_co_i32 s0, s3, s9
	s_min_u32 s0, s0, 8
	s_delay_alu instid0(VALU_DEP_1) | instskip(NEXT) | instid1(VALU_DEP_1)
	v_lshrrev_b32_e32 v4, s9, v4
	v_bfe_u32 v4, v4, 0, s0
	s_delay_alu instid0(VALU_DEP_1)
	v_lshl_or_b32 v4, v4, 4, v5
	v_mov_b32_e32 v5, 1
	ds_add_u32 v4, v5 offset:4096
	v_mov_b32_e32 v4, 0
.LBB1388_227:
	s_or_b32 exec_lo, exec_lo, s8
	s_mov_b32 s8, -1
	s_mov_b32 s9, exec_lo
	s_delay_alu instid0(VALU_DEP_1)
	v_cmpx_gt_i32_e32 10, v4
; %bb.228:
	v_cmp_eq_u32_e64 s0, 0, v4
	s_or_not1_b32 s8, s0, exec_lo
; %bb.229:
	s_or_b32 exec_lo, exec_lo, s9
	s_delay_alu instid0(SALU_CYCLE_1)
	s_and_b32 exec_lo, exec_lo, s8
	s_cbranch_execz .LBB1388_237
; %bb.230:
	s_add_co_i32 s9, s2, 16
	s_delay_alu instid0(SALU_CYCLE_1) | instskip(SKIP_1) | instid1(SALU_CYCLE_1)
	s_cmp_le_u32 s3, s9
	s_cselect_b32 s0, -1, 0
	s_and_b32 s8, s0, exec_lo
	s_cselect_b32 s8, 8, 10
	s_nor_b32 s0, s0, vcc_lo
	v_mov_b32_e32 v4, s8
	s_and_saveexec_b32 s8, s0
	s_cbranch_execz .LBB1388_232
; %bb.231:
	v_cmp_ne_u32_e64 s0, 0x7fffffff, v3
	v_lshlrev_b32_e32 v5, 2, v2
	s_delay_alu instid0(VALU_DEP_2) | instskip(SKIP_1) | instid1(SALU_CYCLE_1)
	v_cndmask_b32_e64 v4, 0x80000000, v3, s0
	s_sub_co_i32 s0, s3, s9
	s_min_u32 s0, s0, 8
	s_delay_alu instid0(VALU_DEP_1) | instskip(NEXT) | instid1(VALU_DEP_1)
	v_lshrrev_b32_e32 v4, s9, v4
	v_bfe_u32 v4, v4, 0, s0
	s_delay_alu instid0(VALU_DEP_1)
	v_lshl_or_b32 v4, v4, 4, v5
	v_mov_b32_e32 v5, 1
	ds_add_u32 v4, v5 offset:8192
	v_mov_b32_e32 v4, 0
.LBB1388_232:
	s_or_b32 exec_lo, exec_lo, s8
	s_mov_b32 s8, -1
	s_mov_b32 s9, exec_lo
	s_delay_alu instid0(VALU_DEP_1)
	v_cmpx_gt_i32_e32 10, v4
; %bb.233:
	v_cmp_eq_u32_e64 s0, 0, v4
	s_or_not1_b32 s8, s0, exec_lo
; %bb.234:
	s_or_b32 exec_lo, exec_lo, s9
	s_delay_alu instid0(SALU_CYCLE_1)
	s_and_b32 exec_lo, exec_lo, s8
	s_cbranch_execz .LBB1388_237
; %bb.235:
	s_add_co_i32 s0, s2, 24
	s_delay_alu instid0(SALU_CYCLE_1) | instskip(SKIP_2) | instid1(SALU_CYCLE_1)
	s_cmp_gt_u32 s3, s0
	s_cselect_b32 s8, -1, 0
	s_xor_b32 s9, vcc_lo, -1
	s_and_b32 s8, s8, s9
	s_delay_alu instid0(SALU_CYCLE_1)
	s_and_b32 exec_lo, exec_lo, s8
	s_cbranch_execz .LBB1388_237
; %bb.236:
	v_cmp_ne_u32_e32 vcc_lo, 0x7fffffff, v3
	v_dual_cndmask_b32 v3, 0x80000000, v3 :: v_dual_lshlrev_b32 v2, 2, v2
	s_delay_alu instid0(VALU_DEP_1) | instskip(SKIP_1) | instid1(SALU_CYCLE_1)
	v_lshrrev_b32_e32 v3, s0, v3
	s_sub_co_i32 s0, s3, s0
	s_min_u32 s0, s0, 8
	s_delay_alu instid0(VALU_DEP_1) | instid1(SALU_CYCLE_1)
	v_bfe_u32 v3, v3, 0, s0
	s_delay_alu instid0(VALU_DEP_1)
	v_lshl_or_b32 v2, v3, 4, v2
	v_mov_b32_e32 v3, 1
	ds_add_u32 v2, v3 offset:12288
.LBB1388_237:
	s_or_b32 exec_lo, exec_lo, s1
	s_cmp_gt_u32 s3, s2
	s_wait_dscnt 0x0
	s_barrier_signal -1
	s_barrier_wait -1
	s_cbranch_scc0 .LBB1388_242
; %bb.238:
	v_mad_u32_u24 v1, v0, 12, v1
	v_dual_mov_b32 v3, 0 :: v_dual_mov_b32 v4, v0
	s_mov_b32 s0, s2
	v_cmp_gt_u32_e32 vcc_lo, 0x100, v0
	s_branch .LBB1388_240
.LBB1388_239:                           ;   in Loop: Header=BB1388_240 Depth=1
	s_wait_xcnt 0x0
	s_or_b32 exec_lo, exec_lo, s1
	v_add_nc_u32_e32 v4, 0x100, v4
	v_add_nc_u32_e32 v1, 0x1000, v1
	s_add_co_i32 s0, s0, 8
	s_delay_alu instid0(SALU_CYCLE_1)
	s_cmp_lt_u32 s0, s3
	s_cbranch_scc0 .LBB1388_242
.LBB1388_240:                           ; =>This Inner Loop Header: Depth=1
	s_and_saveexec_b32 s1, vcc_lo
	s_cbranch_execz .LBB1388_239
; %bb.241:                              ;   in Loop: Header=BB1388_240 Depth=1
	ds_load_2addr_b32 v[6:7], v1 offset1:1
	ds_load_2addr_b32 v[8:9], v1 offset0:2 offset1:3
	s_wait_dscnt 0x1
	v_add_nc_u32_e32 v2, v7, v6
	s_wait_dscnt 0x0
	s_delay_alu instid0(VALU_DEP_1)
	v_add3_u32 v2, v2, v8, v9
	global_atomic_add_u64 v4, v[2:3], s[6:7] scale_offset scope:SCOPE_DEV
	s_branch .LBB1388_239
.LBB1388_242:
	s_mov_b32 s9, 0
.LBB1388_243:
	s_delay_alu instid0(SALU_CYCLE_1)
	s_and_b32 vcc_lo, exec_lo, s9
	s_cbranch_vccz .LBB1388_343
; %bb.244:
	s_clause 0xb
	global_load_b32 v10, v0, s[4:5] scale_offset
	global_load_b32 v11, v0, s[4:5] offset:2048 scale_offset
	global_load_b32 v12, v0, s[4:5] offset:4096 scale_offset
	;; [unrolled: 1-line block ×11, first 2 shown]
	s_cmp_eq_u32 s2, 0
	v_dual_mov_b32 v2, 0 :: v_dual_lshlrev_b32 v15, 2, v0
	s_cselect_b32 s0, -1, 0
	s_cmp_eq_u32 s3, 32
	s_wait_xcnt 0x0
	v_cmp_gt_u32_e64 s4, 7, 3
	s_cselect_b32 s1, -1, 0
	s_delay_alu instid0(SALU_CYCLE_1)
	s_and_b32 s0, s0, s1
	s_mov_b32 s1, -1
	s_and_b32 vcc_lo, exec_lo, s0
	v_cmp_gt_u32_e64 s0, 7, 4
	s_cbranch_vccnz .LBB1388_332
; %bb.245:
	ds_store_2addr_stride64_b32 v15, v2, v2 offset1:8
	ds_store_2addr_stride64_b32 v15, v2, v2 offset0:16 offset1:24
	s_and_saveexec_b32 s1, s4
; %bb.246:
	v_mov_b32_e32 v2, 0
	ds_store_b32 v15, v2 offset:8192
; %bb.247:
	s_or_b32 exec_lo, exec_lo, s1
	s_and_saveexec_b32 s1, s0
; %bb.248:
	v_mov_b32_e32 v2, 0
	ds_store_b32 v15, v2 offset:10240
; %bb.249:
	s_or_b32 exec_lo, exec_lo, s1
	v_cmp_gt_u32_e64 s0, 7, 6
	s_mov_b32 s1, exec_lo
	v_cmpx_gt_u32_e64 7, 5
; %bb.250:
	v_mov_b32_e32 v2, 0
	ds_store_b32 v15, v2 offset:12288
; %bb.251:
	s_or_b32 exec_lo, exec_lo, s1
	s_and_saveexec_b32 s1, s0
; %bb.252:
	v_mov_b32_e32 v2, 0
	ds_store_b32 v15, v2 offset:14336
; %bb.253:
	s_or_b32 exec_lo, exec_lo, s1
	s_cmp_gt_u32 s3, s2
	s_wait_storecnt 0x0
	s_wait_loadcnt_dscnt 0x0
	s_cselect_b32 s1, -1, 0
	s_barrier_signal -1
	s_and_b32 vcc_lo, exec_lo, s1
	s_barrier_wait -1
	s_cbranch_vccz .LBB1388_326
; %bb.254:
	v_cmp_lt_i32_e32 vcc_lo, -1, v10
	s_sub_co_i32 s0, s3, s2
	s_add_co_i32 s5, s2, 8
	s_min_u32 s0, s0, 8
	s_mov_b32 s9, -1
	v_cndmask_b32_e64 v2, -1, 0x80000000, vcc_lo
	s_lshl_b32 s0, -1, s0
	v_mov_b32_e32 v18, 1
	s_not_b32 s4, s0
	s_cmp_le_u32 s3, s5
	v_xor_b32_e32 v2, v2, v10
	s_cselect_b32 s8, -1, 0
	s_delay_alu instid0(VALU_DEP_1) | instskip(SKIP_3) | instid1(VALU_DEP_2)
	v_cmp_ne_u32_e32 vcc_lo, 0x7fffffff, v2
	v_cndmask_b32_e32 v16, 0x80000000, v2, vcc_lo
	v_and_b32_e32 v2, 3, v0
	v_cmp_lt_i32_e32 vcc_lo, -1, v11
	v_dual_lshlrev_b32 v3, 2, v2 :: v_dual_lshrrev_b32 v17, s2, v16
	s_delay_alu instid0(VALU_DEP_1) | instskip(NEXT) | instid1(VALU_DEP_1)
	v_bitop3_b32 v17, v17, s0, v17 bitop3:0x30
	v_lshl_or_b32 v17, v17, 4, v3
	ds_add_u32 v17, v18
	v_cndmask_b32_e64 v17, -1, 0x80000000, vcc_lo
	s_and_b32 vcc_lo, exec_lo, s8
	s_delay_alu instid0(VALU_DEP_1) | instskip(NEXT) | instid1(VALU_DEP_1)
	v_xor_b32_e32 v17, v17, v11
	v_cmp_ne_u32_e64 s0, 0x7fffffff, v17
	s_cbranch_vccz .LBB1388_256
; %bb.255:
	v_cndmask_b32_e64 v18, 0x80000000, v17, s0
	s_mov_b32 s0, -1
	s_delay_alu instid0(VALU_DEP_1) | instskip(NEXT) | instid1(VALU_DEP_1)
	v_lshrrev_b32_e32 v18, s2, v18
	v_and_b32_e32 v18, s4, v18
	s_delay_alu instid0(VALU_DEP_1)
	v_lshlrev_b32_e32 v18, 4, v18
	s_cbranch_execz .LBB1388_257
	s_branch .LBB1388_264
.LBB1388_256:
	s_mov_b32 s0, 0
                                        ; implicit-def: $vgpr18
	s_and_not1_b32 vcc_lo, exec_lo, s9
	s_cbranch_vccnz .LBB1388_264
.LBB1388_257:
	s_sub_co_i32 s9, s3, s5
	v_lshrrev_b32_e32 v18, s5, v16
	s_min_u32 s9, s9, 8
	s_delay_alu instid0(SALU_CYCLE_1) | instskip(SKIP_1) | instid1(VALU_DEP_1)
	s_lshl_b32 s10, -1, s9
	s_add_co_i32 s9, s2, 16
	v_bitop3_b32 v18, v18, s10, v18 bitop3:0x30
	s_not_b32 s11, s10
	s_cmp_gt_u32 s3, s9
	s_cselect_b32 s10, -1, 0
	s_delay_alu instid0(VALU_DEP_1)
	v_lshl_or_b32 v19, v18, 4, v3
	v_mov_b32_e32 v18, 1
	s_cmp_le_u32 s3, s9
	ds_add_u32 v19, v18 offset:4096
	s_cbranch_scc1 .LBB1388_260
; %bb.258:
	v_lshrrev_b32_e32 v19, s9, v16
	s_sub_co_i32 s12, s3, s9
	s_delay_alu instid0(SALU_CYCLE_1)
	s_min_u32 s12, s12, 8
	s_delay_alu instid0(VALU_DEP_1) | instid1(SALU_CYCLE_1)
	v_bfe_u32 v19, v19, 0, s12
	s_add_co_i32 s12, s2, 24
	s_delay_alu instid0(SALU_CYCLE_1) | instskip(NEXT) | instid1(VALU_DEP_1)
	s_cmp_le_u32 s3, s12
	v_lshl_or_b32 v19, v19, 4, v3
	ds_add_u32 v19, v18 offset:8192
	s_cbranch_scc1 .LBB1388_260
; %bb.259:
	v_dual_mov_b32 v19, 1 :: v_dual_lshrrev_b32 v16, s12, v16
	s_sub_co_i32 s12, s3, s12
	s_delay_alu instid0(SALU_CYCLE_1)
	s_min_u32 s12, s12, 8
	s_delay_alu instid0(VALU_DEP_1) | instid1(SALU_CYCLE_1)
	v_bfe_u32 v16, v16, 0, s12
	s_delay_alu instid0(VALU_DEP_1)
	v_lshl_or_b32 v16, v16, 4, v3
	ds_add_u32 v16, v19 offset:12288
.LBB1388_260:
	v_cmp_ne_u32_e32 vcc_lo, 0x7fffffff, v17
	v_cndmask_b32_e32 v16, 0x80000000, v17, vcc_lo
	s_and_not1_b32 vcc_lo, exec_lo, s10
	s_delay_alu instid0(VALU_DEP_1) | instskip(NEXT) | instid1(VALU_DEP_1)
	v_dual_lshrrev_b32 v17, s2, v16 :: v_dual_lshrrev_b32 v19, s5, v16
	v_and_b32_e32 v17, s4, v17
	s_delay_alu instid0(VALU_DEP_2) | instskip(NEXT) | instid1(VALU_DEP_2)
	v_and_b32_e32 v19, s11, v19
	v_lshl_or_b32 v17, v17, 4, v3
	s_delay_alu instid0(VALU_DEP_2)
	v_lshl_or_b32 v19, v19, 4, v3
	ds_add_u32 v17, v18
	ds_add_u32 v19, v18 offset:4096
	s_cbranch_vccnz .LBB1388_263
; %bb.261:
	v_dual_mov_b32 v18, 1 :: v_dual_lshrrev_b32 v17, s9, v16
	s_sub_co_i32 s9, s3, s9
	s_delay_alu instid0(SALU_CYCLE_1)
	s_min_u32 s9, s9, 8
	s_delay_alu instid0(VALU_DEP_1) | instid1(SALU_CYCLE_1)
	v_bfe_u32 v17, v17, 0, s9
	s_add_co_i32 s9, s2, 24
	s_delay_alu instid0(SALU_CYCLE_1) | instskip(NEXT) | instid1(VALU_DEP_1)
	s_cmp_gt_u32 s3, s9
	v_lshl_or_b32 v17, v17, 4, v3
	ds_add_u32 v17, v18 offset:8192
                                        ; implicit-def: $vgpr18
	s_cbranch_scc0 .LBB1388_264
; %bb.262:
	v_lshrrev_b32_e32 v16, s9, v16
	s_sub_co_i32 s0, s3, s9
	s_delay_alu instid0(SALU_CYCLE_1)
	s_min_u32 s0, s0, 8
	s_delay_alu instid0(VALU_DEP_1) | instid1(SALU_CYCLE_1)
	v_bfe_u32 v16, v16, 0, s0
	s_mov_b32 s0, -1
	s_delay_alu instid0(VALU_DEP_1)
	v_lshl_add_u32 v18, v16, 4, 0x3000
	s_branch .LBB1388_264
.LBB1388_263:
                                        ; implicit-def: $vgpr18
.LBB1388_264:
	s_and_b32 vcc_lo, exec_lo, s0
	s_cbranch_vccz .LBB1388_266
; %bb.265:
	s_delay_alu instid0(VALU_DEP_1)
	v_lshl_add_u32 v16, v2, 2, v18
	v_mov_b32_e32 v17, 1
	ds_add_u32 v16, v17
.LBB1388_266:
	v_cmp_lt_i32_e32 vcc_lo, -1, v12
	s_mov_b32 s9, -1
	v_mov_b32_e32 v18, 1
	v_cndmask_b32_e64 v16, -1, 0x80000000, vcc_lo
	s_delay_alu instid0(VALU_DEP_1) | instskip(NEXT) | instid1(VALU_DEP_1)
	v_xor_b32_e32 v16, v16, v12
	v_cmp_ne_u32_e32 vcc_lo, 0x7fffffff, v16
	v_cndmask_b32_e32 v17, 0x80000000, v16, vcc_lo
	v_cmp_lt_i32_e32 vcc_lo, -1, v13
	s_delay_alu instid0(VALU_DEP_2) | instskip(NEXT) | instid1(VALU_DEP_1)
	v_lshrrev_b32_e32 v16, s2, v17
	v_and_b32_e32 v16, s4, v16
	s_delay_alu instid0(VALU_DEP_1) | instskip(SKIP_3) | instid1(VALU_DEP_1)
	v_lshl_or_b32 v16, v16, 4, v3
	ds_add_u32 v16, v18
	v_cndmask_b32_e64 v16, -1, 0x80000000, vcc_lo
	s_and_b32 vcc_lo, exec_lo, s8
	v_xor_b32_e32 v16, v16, v13
	s_delay_alu instid0(VALU_DEP_1)
	v_cmp_ne_u32_e64 s0, 0x7fffffff, v16
	s_cbranch_vccz .LBB1388_268
; %bb.267:
	v_cndmask_b32_e64 v18, 0x80000000, v16, s0
	s_mov_b32 s0, -1
	s_delay_alu instid0(VALU_DEP_1) | instskip(NEXT) | instid1(VALU_DEP_1)
	v_lshrrev_b32_e32 v18, s2, v18
	v_and_b32_e32 v18, s4, v18
	s_delay_alu instid0(VALU_DEP_1)
	v_lshlrev_b32_e32 v18, 4, v18
	s_cbranch_execz .LBB1388_269
	s_branch .LBB1388_276
.LBB1388_268:
	s_mov_b32 s0, 0
                                        ; implicit-def: $vgpr18
	s_and_not1_b32 vcc_lo, exec_lo, s9
	s_cbranch_vccnz .LBB1388_276
.LBB1388_269:
	s_sub_co_i32 s9, s3, s5
	v_lshrrev_b32_e32 v18, s5, v17
	s_min_u32 s9, s9, 8
	s_delay_alu instid0(SALU_CYCLE_1) | instskip(SKIP_1) | instid1(VALU_DEP_1)
	s_lshl_b32 s10, -1, s9
	s_add_co_i32 s9, s2, 16
	v_bitop3_b32 v18, v18, s10, v18 bitop3:0x30
	s_not_b32 s11, s10
	s_cmp_gt_u32 s3, s9
	s_cselect_b32 s10, -1, 0
	s_delay_alu instid0(VALU_DEP_1)
	v_lshl_or_b32 v19, v18, 4, v3
	v_mov_b32_e32 v18, 1
	s_cmp_le_u32 s3, s9
	ds_add_u32 v19, v18 offset:4096
	s_cbranch_scc1 .LBB1388_272
; %bb.270:
	v_lshrrev_b32_e32 v19, s9, v17
	s_sub_co_i32 s12, s3, s9
	s_delay_alu instid0(SALU_CYCLE_1)
	s_min_u32 s12, s12, 8
	s_delay_alu instid0(VALU_DEP_1) | instid1(SALU_CYCLE_1)
	v_bfe_u32 v19, v19, 0, s12
	s_add_co_i32 s12, s2, 24
	s_delay_alu instid0(SALU_CYCLE_1) | instskip(NEXT) | instid1(VALU_DEP_1)
	s_cmp_le_u32 s3, s12
	v_lshl_or_b32 v19, v19, 4, v3
	ds_add_u32 v19, v18 offset:8192
	s_cbranch_scc1 .LBB1388_272
; %bb.271:
	v_dual_lshrrev_b32 v17, s12, v17 :: v_dual_mov_b32 v19, 1
	s_sub_co_i32 s12, s3, s12
	s_delay_alu instid0(SALU_CYCLE_1)
	s_min_u32 s12, s12, 8
	s_delay_alu instid0(VALU_DEP_1) | instid1(SALU_CYCLE_1)
	v_bfe_u32 v17, v17, 0, s12
	s_delay_alu instid0(VALU_DEP_1)
	v_lshl_or_b32 v17, v17, 4, v3
	ds_add_u32 v17, v19 offset:12288
.LBB1388_272:
	v_cmp_ne_u32_e32 vcc_lo, 0x7fffffff, v16
	v_cndmask_b32_e32 v16, 0x80000000, v16, vcc_lo
	s_and_not1_b32 vcc_lo, exec_lo, s10
	s_delay_alu instid0(VALU_DEP_1) | instskip(NEXT) | instid1(VALU_DEP_1)
	v_dual_lshrrev_b32 v17, s2, v16 :: v_dual_lshrrev_b32 v19, s5, v16
	v_and_b32_e32 v17, s4, v17
	s_delay_alu instid0(VALU_DEP_2) | instskip(NEXT) | instid1(VALU_DEP_2)
	v_and_b32_e32 v19, s11, v19
	v_lshl_or_b32 v17, v17, 4, v3
	s_delay_alu instid0(VALU_DEP_2)
	v_lshl_or_b32 v19, v19, 4, v3
	ds_add_u32 v17, v18
	ds_add_u32 v19, v18 offset:4096
	s_cbranch_vccnz .LBB1388_275
; %bb.273:
	v_dual_mov_b32 v18, 1 :: v_dual_lshrrev_b32 v17, s9, v16
	s_sub_co_i32 s9, s3, s9
	s_delay_alu instid0(SALU_CYCLE_1)
	s_min_u32 s9, s9, 8
	s_delay_alu instid0(VALU_DEP_1) | instid1(SALU_CYCLE_1)
	v_bfe_u32 v17, v17, 0, s9
	s_add_co_i32 s9, s2, 24
	s_delay_alu instid0(SALU_CYCLE_1) | instskip(NEXT) | instid1(VALU_DEP_1)
	s_cmp_gt_u32 s3, s9
	v_lshl_or_b32 v17, v17, 4, v3
	ds_add_u32 v17, v18 offset:8192
                                        ; implicit-def: $vgpr18
	s_cbranch_scc0 .LBB1388_276
; %bb.274:
	v_lshrrev_b32_e32 v16, s9, v16
	s_sub_co_i32 s0, s3, s9
	s_delay_alu instid0(SALU_CYCLE_1)
	s_min_u32 s0, s0, 8
	s_delay_alu instid0(VALU_DEP_1) | instid1(SALU_CYCLE_1)
	v_bfe_u32 v16, v16, 0, s0
	s_mov_b32 s0, -1
	s_delay_alu instid0(VALU_DEP_1)
	v_lshl_add_u32 v18, v16, 4, 0x3000
	s_branch .LBB1388_276
.LBB1388_275:
                                        ; implicit-def: $vgpr18
.LBB1388_276:
	s_and_b32 vcc_lo, exec_lo, s0
	s_cbranch_vccz .LBB1388_278
; %bb.277:
	s_delay_alu instid0(VALU_DEP_1)
	v_lshl_add_u32 v16, v2, 2, v18
	v_mov_b32_e32 v17, 1
	ds_add_u32 v16, v17
.LBB1388_278:
	v_cmp_lt_i32_e32 vcc_lo, -1, v14
	s_mov_b32 s9, -1
	v_mov_b32_e32 v18, 1
	v_cndmask_b32_e64 v16, -1, 0x80000000, vcc_lo
	s_delay_alu instid0(VALU_DEP_1) | instskip(NEXT) | instid1(VALU_DEP_1)
	v_xor_b32_e32 v16, v16, v14
	v_cmp_ne_u32_e32 vcc_lo, 0x7fffffff, v16
	v_cndmask_b32_e32 v17, 0x80000000, v16, vcc_lo
	v_cmp_lt_i32_e32 vcc_lo, -1, v5
	s_delay_alu instid0(VALU_DEP_2) | instskip(NEXT) | instid1(VALU_DEP_1)
	v_lshrrev_b32_e32 v16, s2, v17
	v_and_b32_e32 v16, s4, v16
	s_delay_alu instid0(VALU_DEP_1) | instskip(SKIP_3) | instid1(VALU_DEP_1)
	v_lshl_or_b32 v16, v16, 4, v3
	ds_add_u32 v16, v18
	v_cndmask_b32_e64 v16, -1, 0x80000000, vcc_lo
	s_and_b32 vcc_lo, exec_lo, s8
	v_xor_b32_e32 v16, v16, v5
	s_delay_alu instid0(VALU_DEP_1)
	v_cmp_ne_u32_e64 s0, 0x7fffffff, v16
	s_cbranch_vccz .LBB1388_280
; %bb.279:
	v_cndmask_b32_e64 v18, 0x80000000, v16, s0
	s_mov_b32 s0, -1
	s_delay_alu instid0(VALU_DEP_1) | instskip(NEXT) | instid1(VALU_DEP_1)
	v_lshrrev_b32_e32 v18, s2, v18
	v_and_b32_e32 v18, s4, v18
	s_delay_alu instid0(VALU_DEP_1)
	v_lshlrev_b32_e32 v18, 4, v18
	s_cbranch_execz .LBB1388_281
	s_branch .LBB1388_288
.LBB1388_280:
	s_mov_b32 s0, 0
                                        ; implicit-def: $vgpr18
	s_and_not1_b32 vcc_lo, exec_lo, s9
	s_cbranch_vccnz .LBB1388_288
.LBB1388_281:
	s_sub_co_i32 s9, s3, s5
	v_lshrrev_b32_e32 v18, s5, v17
	s_min_u32 s9, s9, 8
	s_delay_alu instid0(SALU_CYCLE_1) | instskip(SKIP_1) | instid1(VALU_DEP_1)
	s_lshl_b32 s10, -1, s9
	s_add_co_i32 s9, s2, 16
	v_bitop3_b32 v18, v18, s10, v18 bitop3:0x30
	s_not_b32 s11, s10
	s_cmp_gt_u32 s3, s9
	s_cselect_b32 s10, -1, 0
	s_delay_alu instid0(VALU_DEP_1)
	v_lshl_or_b32 v19, v18, 4, v3
	v_mov_b32_e32 v18, 1
	s_cmp_le_u32 s3, s9
	ds_add_u32 v19, v18 offset:4096
	s_cbranch_scc1 .LBB1388_284
; %bb.282:
	v_lshrrev_b32_e32 v19, s9, v17
	s_sub_co_i32 s12, s3, s9
	s_delay_alu instid0(SALU_CYCLE_1)
	s_min_u32 s12, s12, 8
	s_delay_alu instid0(VALU_DEP_1) | instid1(SALU_CYCLE_1)
	v_bfe_u32 v19, v19, 0, s12
	s_add_co_i32 s12, s2, 24
	s_delay_alu instid0(SALU_CYCLE_1) | instskip(NEXT) | instid1(VALU_DEP_1)
	s_cmp_le_u32 s3, s12
	v_lshl_or_b32 v19, v19, 4, v3
	ds_add_u32 v19, v18 offset:8192
	s_cbranch_scc1 .LBB1388_284
; %bb.283:
	v_dual_lshrrev_b32 v17, s12, v17 :: v_dual_mov_b32 v19, 1
	s_sub_co_i32 s12, s3, s12
	s_delay_alu instid0(SALU_CYCLE_1)
	s_min_u32 s12, s12, 8
	s_delay_alu instid0(VALU_DEP_1) | instid1(SALU_CYCLE_1)
	v_bfe_u32 v17, v17, 0, s12
	s_delay_alu instid0(VALU_DEP_1)
	v_lshl_or_b32 v17, v17, 4, v3
	ds_add_u32 v17, v19 offset:12288
.LBB1388_284:
	v_cmp_ne_u32_e32 vcc_lo, 0x7fffffff, v16
	v_cndmask_b32_e32 v16, 0x80000000, v16, vcc_lo
	s_and_not1_b32 vcc_lo, exec_lo, s10
	s_delay_alu instid0(VALU_DEP_1) | instskip(NEXT) | instid1(VALU_DEP_1)
	v_dual_lshrrev_b32 v17, s2, v16 :: v_dual_lshrrev_b32 v19, s5, v16
	v_and_b32_e32 v17, s4, v17
	s_delay_alu instid0(VALU_DEP_2) | instskip(NEXT) | instid1(VALU_DEP_2)
	v_and_b32_e32 v19, s11, v19
	v_lshl_or_b32 v17, v17, 4, v3
	s_delay_alu instid0(VALU_DEP_2)
	v_lshl_or_b32 v19, v19, 4, v3
	ds_add_u32 v17, v18
	ds_add_u32 v19, v18 offset:4096
	s_cbranch_vccnz .LBB1388_287
; %bb.285:
	v_dual_mov_b32 v18, 1 :: v_dual_lshrrev_b32 v17, s9, v16
	s_sub_co_i32 s9, s3, s9
	s_delay_alu instid0(SALU_CYCLE_1)
	s_min_u32 s9, s9, 8
	s_delay_alu instid0(VALU_DEP_1) | instid1(SALU_CYCLE_1)
	v_bfe_u32 v17, v17, 0, s9
	s_add_co_i32 s9, s2, 24
	s_delay_alu instid0(SALU_CYCLE_1) | instskip(NEXT) | instid1(VALU_DEP_1)
	s_cmp_gt_u32 s3, s9
	v_lshl_or_b32 v17, v17, 4, v3
	ds_add_u32 v17, v18 offset:8192
                                        ; implicit-def: $vgpr18
	s_cbranch_scc0 .LBB1388_288
; %bb.286:
	v_lshrrev_b32_e32 v16, s9, v16
	s_sub_co_i32 s0, s3, s9
	s_delay_alu instid0(SALU_CYCLE_1)
	s_min_u32 s0, s0, 8
	s_delay_alu instid0(VALU_DEP_1) | instid1(SALU_CYCLE_1)
	v_bfe_u32 v16, v16, 0, s0
	s_mov_b32 s0, -1
	s_delay_alu instid0(VALU_DEP_1)
	v_lshl_add_u32 v18, v16, 4, 0x3000
	s_branch .LBB1388_288
.LBB1388_287:
                                        ; implicit-def: $vgpr18
.LBB1388_288:
	s_and_b32 vcc_lo, exec_lo, s0
	s_cbranch_vccz .LBB1388_290
; %bb.289:
	s_delay_alu instid0(VALU_DEP_1)
	v_lshl_add_u32 v16, v2, 2, v18
	v_mov_b32_e32 v17, 1
	ds_add_u32 v16, v17
.LBB1388_290:
	v_cmp_lt_i32_e32 vcc_lo, -1, v6
	s_mov_b32 s9, -1
	v_mov_b32_e32 v18, 1
	v_cndmask_b32_e64 v16, -1, 0x80000000, vcc_lo
	s_delay_alu instid0(VALU_DEP_1) | instskip(NEXT) | instid1(VALU_DEP_1)
	v_xor_b32_e32 v16, v16, v6
	v_cmp_ne_u32_e32 vcc_lo, 0x7fffffff, v16
	v_cndmask_b32_e32 v17, 0x80000000, v16, vcc_lo
	v_cmp_lt_i32_e32 vcc_lo, -1, v7
	s_delay_alu instid0(VALU_DEP_2) | instskip(NEXT) | instid1(VALU_DEP_1)
	v_lshrrev_b32_e32 v16, s2, v17
	v_and_b32_e32 v16, s4, v16
	s_delay_alu instid0(VALU_DEP_1) | instskip(SKIP_3) | instid1(VALU_DEP_1)
	v_lshl_or_b32 v16, v16, 4, v3
	ds_add_u32 v16, v18
	v_cndmask_b32_e64 v16, -1, 0x80000000, vcc_lo
	s_and_b32 vcc_lo, exec_lo, s8
	v_xor_b32_e32 v16, v16, v7
	s_delay_alu instid0(VALU_DEP_1)
	v_cmp_ne_u32_e64 s0, 0x7fffffff, v16
	s_cbranch_vccz .LBB1388_292
; %bb.291:
	v_cndmask_b32_e64 v18, 0x80000000, v16, s0
	s_mov_b32 s0, -1
	s_delay_alu instid0(VALU_DEP_1) | instskip(NEXT) | instid1(VALU_DEP_1)
	v_lshrrev_b32_e32 v18, s2, v18
	v_and_b32_e32 v18, s4, v18
	s_delay_alu instid0(VALU_DEP_1)
	v_lshlrev_b32_e32 v18, 4, v18
	s_cbranch_execz .LBB1388_293
	s_branch .LBB1388_300
.LBB1388_292:
	s_mov_b32 s0, 0
                                        ; implicit-def: $vgpr18
	s_and_not1_b32 vcc_lo, exec_lo, s9
	s_cbranch_vccnz .LBB1388_300
.LBB1388_293:
	s_sub_co_i32 s9, s3, s5
	v_lshrrev_b32_e32 v18, s5, v17
	s_min_u32 s9, s9, 8
	s_delay_alu instid0(SALU_CYCLE_1) | instskip(SKIP_1) | instid1(VALU_DEP_1)
	s_lshl_b32 s10, -1, s9
	s_add_co_i32 s9, s2, 16
	v_bitop3_b32 v18, v18, s10, v18 bitop3:0x30
	s_not_b32 s11, s10
	s_cmp_gt_u32 s3, s9
	s_cselect_b32 s10, -1, 0
	s_delay_alu instid0(VALU_DEP_1)
	v_lshl_or_b32 v19, v18, 4, v3
	v_mov_b32_e32 v18, 1
	s_cmp_le_u32 s3, s9
	ds_add_u32 v19, v18 offset:4096
	s_cbranch_scc1 .LBB1388_296
; %bb.294:
	v_lshrrev_b32_e32 v19, s9, v17
	s_sub_co_i32 s12, s3, s9
	s_delay_alu instid0(SALU_CYCLE_1)
	s_min_u32 s12, s12, 8
	s_delay_alu instid0(VALU_DEP_1) | instid1(SALU_CYCLE_1)
	v_bfe_u32 v19, v19, 0, s12
	s_add_co_i32 s12, s2, 24
	s_delay_alu instid0(SALU_CYCLE_1) | instskip(NEXT) | instid1(VALU_DEP_1)
	s_cmp_le_u32 s3, s12
	v_lshl_or_b32 v19, v19, 4, v3
	ds_add_u32 v19, v18 offset:8192
	s_cbranch_scc1 .LBB1388_296
; %bb.295:
	v_dual_lshrrev_b32 v17, s12, v17 :: v_dual_mov_b32 v19, 1
	s_sub_co_i32 s12, s3, s12
	s_delay_alu instid0(SALU_CYCLE_1)
	s_min_u32 s12, s12, 8
	s_delay_alu instid0(VALU_DEP_1) | instid1(SALU_CYCLE_1)
	v_bfe_u32 v17, v17, 0, s12
	s_delay_alu instid0(VALU_DEP_1)
	v_lshl_or_b32 v17, v17, 4, v3
	ds_add_u32 v17, v19 offset:12288
.LBB1388_296:
	v_cmp_ne_u32_e32 vcc_lo, 0x7fffffff, v16
	v_cndmask_b32_e32 v16, 0x80000000, v16, vcc_lo
	s_and_not1_b32 vcc_lo, exec_lo, s10
	s_delay_alu instid0(VALU_DEP_1) | instskip(NEXT) | instid1(VALU_DEP_1)
	v_dual_lshrrev_b32 v17, s2, v16 :: v_dual_lshrrev_b32 v19, s5, v16
	v_and_b32_e32 v17, s4, v17
	s_delay_alu instid0(VALU_DEP_2) | instskip(NEXT) | instid1(VALU_DEP_2)
	v_and_b32_e32 v19, s11, v19
	v_lshl_or_b32 v17, v17, 4, v3
	s_delay_alu instid0(VALU_DEP_2)
	v_lshl_or_b32 v19, v19, 4, v3
	ds_add_u32 v17, v18
	ds_add_u32 v19, v18 offset:4096
	s_cbranch_vccnz .LBB1388_299
; %bb.297:
	v_dual_mov_b32 v18, 1 :: v_dual_lshrrev_b32 v17, s9, v16
	s_sub_co_i32 s9, s3, s9
	s_delay_alu instid0(SALU_CYCLE_1)
	s_min_u32 s9, s9, 8
	s_delay_alu instid0(VALU_DEP_1) | instid1(SALU_CYCLE_1)
	v_bfe_u32 v17, v17, 0, s9
	s_add_co_i32 s9, s2, 24
	s_delay_alu instid0(SALU_CYCLE_1) | instskip(NEXT) | instid1(VALU_DEP_1)
	s_cmp_gt_u32 s3, s9
	v_lshl_or_b32 v17, v17, 4, v3
	ds_add_u32 v17, v18 offset:8192
                                        ; implicit-def: $vgpr18
	s_cbranch_scc0 .LBB1388_300
; %bb.298:
	v_lshrrev_b32_e32 v16, s9, v16
	s_sub_co_i32 s0, s3, s9
	s_delay_alu instid0(SALU_CYCLE_1)
	s_min_u32 s0, s0, 8
	s_delay_alu instid0(VALU_DEP_1) | instid1(SALU_CYCLE_1)
	v_bfe_u32 v16, v16, 0, s0
	s_mov_b32 s0, -1
	s_delay_alu instid0(VALU_DEP_1)
	v_lshl_add_u32 v18, v16, 4, 0x3000
	s_branch .LBB1388_300
.LBB1388_299:
                                        ; implicit-def: $vgpr18
.LBB1388_300:
	s_and_b32 vcc_lo, exec_lo, s0
	s_cbranch_vccz .LBB1388_302
; %bb.301:
	s_delay_alu instid0(VALU_DEP_1)
	v_lshl_add_u32 v16, v2, 2, v18
	v_mov_b32_e32 v17, 1
	ds_add_u32 v16, v17
.LBB1388_302:
	v_cmp_lt_i32_e32 vcc_lo, -1, v8
	s_mov_b32 s9, -1
	v_mov_b32_e32 v18, 1
	v_cndmask_b32_e64 v16, -1, 0x80000000, vcc_lo
	s_delay_alu instid0(VALU_DEP_1) | instskip(NEXT) | instid1(VALU_DEP_1)
	v_xor_b32_e32 v16, v16, v8
	v_cmp_ne_u32_e32 vcc_lo, 0x7fffffff, v16
	v_cndmask_b32_e32 v17, 0x80000000, v16, vcc_lo
	v_cmp_lt_i32_e32 vcc_lo, -1, v9
	s_delay_alu instid0(VALU_DEP_2) | instskip(NEXT) | instid1(VALU_DEP_1)
	v_lshrrev_b32_e32 v16, s2, v17
	v_and_b32_e32 v16, s4, v16
	s_delay_alu instid0(VALU_DEP_1) | instskip(SKIP_3) | instid1(VALU_DEP_1)
	v_lshl_or_b32 v16, v16, 4, v3
	ds_add_u32 v16, v18
	v_cndmask_b32_e64 v16, -1, 0x80000000, vcc_lo
	s_and_b32 vcc_lo, exec_lo, s8
	v_xor_b32_e32 v16, v16, v9
	s_delay_alu instid0(VALU_DEP_1)
	v_cmp_ne_u32_e64 s0, 0x7fffffff, v16
	s_cbranch_vccz .LBB1388_304
; %bb.303:
	v_cndmask_b32_e64 v18, 0x80000000, v16, s0
	s_mov_b32 s0, -1
	s_delay_alu instid0(VALU_DEP_1) | instskip(NEXT) | instid1(VALU_DEP_1)
	v_lshrrev_b32_e32 v18, s2, v18
	v_and_b32_e32 v18, s4, v18
	s_delay_alu instid0(VALU_DEP_1)
	v_lshlrev_b32_e32 v18, 4, v18
	s_cbranch_execz .LBB1388_305
	s_branch .LBB1388_312
.LBB1388_304:
	s_mov_b32 s0, 0
                                        ; implicit-def: $vgpr18
	s_and_not1_b32 vcc_lo, exec_lo, s9
	s_cbranch_vccnz .LBB1388_312
.LBB1388_305:
	s_sub_co_i32 s9, s3, s5
	v_lshrrev_b32_e32 v18, s5, v17
	s_min_u32 s9, s9, 8
	s_delay_alu instid0(SALU_CYCLE_1) | instskip(SKIP_1) | instid1(VALU_DEP_1)
	s_lshl_b32 s10, -1, s9
	s_add_co_i32 s9, s2, 16
	v_bitop3_b32 v18, v18, s10, v18 bitop3:0x30
	s_not_b32 s11, s10
	s_cmp_gt_u32 s3, s9
	s_cselect_b32 s10, -1, 0
	s_delay_alu instid0(VALU_DEP_1)
	v_lshl_or_b32 v19, v18, 4, v3
	v_mov_b32_e32 v18, 1
	s_cmp_le_u32 s3, s9
	ds_add_u32 v19, v18 offset:4096
	s_cbranch_scc1 .LBB1388_308
; %bb.306:
	v_lshrrev_b32_e32 v19, s9, v17
	s_sub_co_i32 s12, s3, s9
	s_delay_alu instid0(SALU_CYCLE_1)
	s_min_u32 s12, s12, 8
	s_delay_alu instid0(VALU_DEP_1) | instid1(SALU_CYCLE_1)
	v_bfe_u32 v19, v19, 0, s12
	s_add_co_i32 s12, s2, 24
	s_delay_alu instid0(SALU_CYCLE_1) | instskip(NEXT) | instid1(VALU_DEP_1)
	s_cmp_le_u32 s3, s12
	v_lshl_or_b32 v19, v19, 4, v3
	ds_add_u32 v19, v18 offset:8192
	s_cbranch_scc1 .LBB1388_308
; %bb.307:
	v_dual_lshrrev_b32 v17, s12, v17 :: v_dual_mov_b32 v19, 1
	s_sub_co_i32 s12, s3, s12
	s_delay_alu instid0(SALU_CYCLE_1)
	s_min_u32 s12, s12, 8
	s_delay_alu instid0(VALU_DEP_1) | instid1(SALU_CYCLE_1)
	v_bfe_u32 v17, v17, 0, s12
	s_delay_alu instid0(VALU_DEP_1)
	v_lshl_or_b32 v17, v17, 4, v3
	ds_add_u32 v17, v19 offset:12288
.LBB1388_308:
	v_cmp_ne_u32_e32 vcc_lo, 0x7fffffff, v16
	v_cndmask_b32_e32 v16, 0x80000000, v16, vcc_lo
	s_and_not1_b32 vcc_lo, exec_lo, s10
	s_delay_alu instid0(VALU_DEP_1) | instskip(NEXT) | instid1(VALU_DEP_1)
	v_dual_lshrrev_b32 v17, s2, v16 :: v_dual_lshrrev_b32 v19, s5, v16
	v_and_b32_e32 v17, s4, v17
	s_delay_alu instid0(VALU_DEP_2) | instskip(NEXT) | instid1(VALU_DEP_2)
	v_and_b32_e32 v19, s11, v19
	v_lshl_or_b32 v17, v17, 4, v3
	s_delay_alu instid0(VALU_DEP_2)
	v_lshl_or_b32 v19, v19, 4, v3
	ds_add_u32 v17, v18
	ds_add_u32 v19, v18 offset:4096
	s_cbranch_vccnz .LBB1388_311
; %bb.309:
	v_dual_mov_b32 v18, 1 :: v_dual_lshrrev_b32 v17, s9, v16
	s_sub_co_i32 s9, s3, s9
	s_delay_alu instid0(SALU_CYCLE_1)
	s_min_u32 s9, s9, 8
	s_delay_alu instid0(VALU_DEP_1) | instid1(SALU_CYCLE_1)
	v_bfe_u32 v17, v17, 0, s9
	s_add_co_i32 s9, s2, 24
	s_delay_alu instid0(SALU_CYCLE_1) | instskip(NEXT) | instid1(VALU_DEP_1)
	s_cmp_gt_u32 s3, s9
	v_lshl_or_b32 v17, v17, 4, v3
	ds_add_u32 v17, v18 offset:8192
                                        ; implicit-def: $vgpr18
	s_cbranch_scc0 .LBB1388_312
; %bb.310:
	v_lshrrev_b32_e32 v16, s9, v16
	s_sub_co_i32 s0, s3, s9
	s_delay_alu instid0(SALU_CYCLE_1)
	s_min_u32 s0, s0, 8
	s_delay_alu instid0(VALU_DEP_1) | instid1(SALU_CYCLE_1)
	v_bfe_u32 v16, v16, 0, s0
	s_mov_b32 s0, -1
	s_delay_alu instid0(VALU_DEP_1)
	v_lshl_add_u32 v18, v16, 4, 0x3000
	s_branch .LBB1388_312
.LBB1388_311:
                                        ; implicit-def: $vgpr18
.LBB1388_312:
	s_and_b32 vcc_lo, exec_lo, s0
	s_cbranch_vccz .LBB1388_314
; %bb.313:
	s_delay_alu instid0(VALU_DEP_1)
	v_lshl_add_u32 v16, v2, 2, v18
	v_mov_b32_e32 v17, 1
	ds_add_u32 v16, v17
.LBB1388_314:
	v_cmp_lt_i32_e32 vcc_lo, -1, v4
	v_mov_b32_e32 v18, 1
	v_cndmask_b32_e64 v16, -1, 0x80000000, vcc_lo
	s_delay_alu instid0(VALU_DEP_1) | instskip(NEXT) | instid1(VALU_DEP_1)
	v_xor_b32_e32 v16, v16, v4
	v_cmp_ne_u32_e32 vcc_lo, 0x7fffffff, v16
	v_cndmask_b32_e32 v17, 0x80000000, v16, vcc_lo
	v_cmp_lt_i32_e32 vcc_lo, -1, v1
	s_delay_alu instid0(VALU_DEP_2) | instskip(NEXT) | instid1(VALU_DEP_1)
	v_lshrrev_b32_e32 v16, s2, v17
	v_and_b32_e32 v16, s4, v16
	s_delay_alu instid0(VALU_DEP_1) | instskip(SKIP_4) | instid1(VALU_DEP_1)
	v_lshl_or_b32 v16, v16, 4, v3
	ds_add_u32 v16, v18
	v_cndmask_b32_e64 v16, -1, 0x80000000, vcc_lo
	s_and_b32 vcc_lo, exec_lo, s8
	s_mov_b32 s8, -1
	v_xor_b32_e32 v16, v16, v1
	s_delay_alu instid0(VALU_DEP_1)
	v_cmp_ne_u32_e64 s0, 0x7fffffff, v16
	s_cbranch_vccz .LBB1388_316
; %bb.315:
	v_cndmask_b32_e64 v18, 0x80000000, v16, s0
	s_mov_b32 s0, -1
	s_delay_alu instid0(VALU_DEP_1) | instskip(NEXT) | instid1(VALU_DEP_1)
	v_lshrrev_b32_e32 v18, s2, v18
	v_and_b32_e32 v18, s4, v18
	s_delay_alu instid0(VALU_DEP_1)
	v_lshlrev_b32_e32 v18, 4, v18
	s_cbranch_execz .LBB1388_317
	s_branch .LBB1388_324
.LBB1388_316:
	s_mov_b32 s0, 0
                                        ; implicit-def: $vgpr18
	s_and_not1_b32 vcc_lo, exec_lo, s8
	s_cbranch_vccnz .LBB1388_324
.LBB1388_317:
	s_sub_co_i32 s8, s3, s5
	v_lshrrev_b32_e32 v18, s5, v17
	s_min_u32 s8, s8, 8
	s_delay_alu instid0(SALU_CYCLE_1) | instskip(SKIP_1) | instid1(VALU_DEP_1)
	s_lshl_b32 s9, -1, s8
	s_add_co_i32 s8, s2, 16
	v_bitop3_b32 v18, v18, s9, v18 bitop3:0x30
	s_not_b32 s10, s9
	s_cmp_gt_u32 s3, s8
	s_cselect_b32 s9, -1, 0
	s_delay_alu instid0(VALU_DEP_1)
	v_lshl_or_b32 v19, v18, 4, v3
	v_mov_b32_e32 v18, 1
	s_cmp_le_u32 s3, s8
	ds_add_u32 v19, v18 offset:4096
	s_cbranch_scc1 .LBB1388_320
; %bb.318:
	v_lshrrev_b32_e32 v19, s8, v17
	s_sub_co_i32 s11, s3, s8
	s_delay_alu instid0(SALU_CYCLE_1)
	s_min_u32 s11, s11, 8
	s_delay_alu instid0(VALU_DEP_1) | instid1(SALU_CYCLE_1)
	v_bfe_u32 v19, v19, 0, s11
	s_add_co_i32 s11, s2, 24
	s_delay_alu instid0(SALU_CYCLE_1) | instskip(NEXT) | instid1(VALU_DEP_1)
	s_cmp_le_u32 s3, s11
	v_lshl_or_b32 v19, v19, 4, v3
	ds_add_u32 v19, v18 offset:8192
	s_cbranch_scc1 .LBB1388_320
; %bb.319:
	v_dual_lshrrev_b32 v17, s11, v17 :: v_dual_mov_b32 v19, 1
	s_sub_co_i32 s11, s3, s11
	s_delay_alu instid0(SALU_CYCLE_1)
	s_min_u32 s11, s11, 8
	s_delay_alu instid0(VALU_DEP_1) | instid1(SALU_CYCLE_1)
	v_bfe_u32 v17, v17, 0, s11
	s_delay_alu instid0(VALU_DEP_1)
	v_lshl_or_b32 v17, v17, 4, v3
	ds_add_u32 v17, v19 offset:12288
.LBB1388_320:
	v_cmp_ne_u32_e32 vcc_lo, 0x7fffffff, v16
	v_cndmask_b32_e32 v16, 0x80000000, v16, vcc_lo
	s_and_not1_b32 vcc_lo, exec_lo, s9
	s_delay_alu instid0(VALU_DEP_1) | instskip(NEXT) | instid1(VALU_DEP_1)
	v_dual_lshrrev_b32 v17, s2, v16 :: v_dual_lshrrev_b32 v19, s5, v16
	v_and_b32_e32 v17, s4, v17
	s_delay_alu instid0(VALU_DEP_2) | instskip(NEXT) | instid1(VALU_DEP_2)
	v_and_b32_e32 v19, s10, v19
	v_lshl_or_b32 v17, v17, 4, v3
	s_delay_alu instid0(VALU_DEP_2)
	v_lshl_or_b32 v19, v19, 4, v3
	ds_add_u32 v17, v18
	ds_add_u32 v19, v18 offset:4096
	s_cbranch_vccnz .LBB1388_323
; %bb.321:
	v_lshrrev_b32_e32 v17, s8, v16
	s_sub_co_i32 s4, s3, s8
                                        ; implicit-def: $vgpr18
	s_delay_alu instid0(SALU_CYCLE_1)
	s_min_u32 s4, s4, 8
	s_delay_alu instid0(VALU_DEP_1) | instid1(SALU_CYCLE_1)
	v_bfe_u32 v17, v17, 0, s4
	s_add_co_i32 s4, s2, 24
	s_delay_alu instid0(SALU_CYCLE_1) | instskip(NEXT) | instid1(VALU_DEP_1)
	s_cmp_gt_u32 s3, s4
	v_lshl_or_b32 v3, v17, 4, v3
	v_mov_b32_e32 v17, 1
	ds_add_u32 v3, v17 offset:8192
	s_cbranch_scc0 .LBB1388_324
; %bb.322:
	v_lshrrev_b32_e32 v3, s4, v16
	s_sub_co_i32 s0, s3, s4
	s_delay_alu instid0(SALU_CYCLE_1)
	s_min_u32 s0, s0, 8
	s_delay_alu instid0(VALU_DEP_1) | instid1(SALU_CYCLE_1)
	v_bfe_u32 v3, v3, 0, s0
	s_mov_b32 s0, -1
	s_delay_alu instid0(VALU_DEP_1)
	v_lshl_add_u32 v18, v3, 4, 0x3000
	s_branch .LBB1388_324
.LBB1388_323:
                                        ; implicit-def: $vgpr18
.LBB1388_324:
	s_and_b32 vcc_lo, exec_lo, s0
	s_cbranch_vccz .LBB1388_326
; %bb.325:
	s_delay_alu instid0(VALU_DEP_1)
	v_lshl_add_u32 v2, v2, 2, v18
	v_mov_b32_e32 v3, 1
	ds_add_u32 v2, v3
.LBB1388_326:
	s_and_b32 vcc_lo, exec_lo, s1
	s_wait_dscnt 0x0
	s_barrier_signal -1
	s_barrier_wait -1
	s_cbranch_vccz .LBB1388_331
; %bb.327:
	v_dual_mov_b32 v3, 0 :: v_dual_lshlrev_b32 v16, 4, v0
	v_mov_b32_e32 v17, v0
	v_cmp_gt_u32_e32 vcc_lo, 0x100, v0
	s_branch .LBB1388_329
.LBB1388_328:                           ;   in Loop: Header=BB1388_329 Depth=1
	s_wait_xcnt 0x0
	s_or_b32 exec_lo, exec_lo, s0
	v_add_nc_u32_e32 v17, 0x100, v17
	v_add_nc_u32_e32 v16, 0x1000, v16
	s_add_co_i32 s2, s2, 8
	s_delay_alu instid0(SALU_CYCLE_1)
	s_cmp_ge_u32 s2, s3
	s_cbranch_scc1 .LBB1388_331
.LBB1388_329:                           ; =>This Inner Loop Header: Depth=1
	s_and_saveexec_b32 s0, vcc_lo
	s_cbranch_execz .LBB1388_328
; %bb.330:                              ;   in Loop: Header=BB1388_329 Depth=1
	ds_load_2addr_b32 v[18:19], v16 offset1:1
	ds_load_2addr_b32 v[20:21], v16 offset0:2 offset1:3
	s_wait_dscnt 0x1
	v_add_nc_u32_e32 v2, v19, v18
	s_wait_dscnt 0x0
	s_delay_alu instid0(VALU_DEP_1)
	v_add3_u32 v2, v2, v20, v21
	global_atomic_add_u64 v17, v[2:3], s[6:7] scale_offset scope:SCOPE_DEV
	s_branch .LBB1388_328
.LBB1388_331:
	s_mov_b32 s1, 0
.LBB1388_332:
	s_delay_alu instid0(SALU_CYCLE_1)
	s_and_b32 vcc_lo, exec_lo, s1
	s_cbranch_vccz .LBB1388_343
; %bb.333:
	v_mov_b32_e32 v2, 0
	v_cmp_gt_u32_e64 s0, 7, 4
	s_mov_b32 s1, exec_lo
	ds_store_2addr_stride64_b32 v15, v2, v2 offset1:8
	ds_store_2addr_stride64_b32 v15, v2, v2 offset0:16 offset1:24
	v_cmpx_gt_u32_e64 7, 3
; %bb.334:
	ds_store_b32 v15, v2 offset:8192
; %bb.335:
	s_or_b32 exec_lo, exec_lo, s1
	s_and_saveexec_b32 s1, s0
; %bb.336:
	v_mov_b32_e32 v2, 0
	ds_store_b32 v15, v2 offset:10240
; %bb.337:
	s_or_b32 exec_lo, exec_lo, s1
	v_cmp_gt_u32_e64 s0, 7, 6
	s_mov_b32 s1, exec_lo
	v_cmpx_gt_u32_e64 7, 5
; %bb.338:
	v_mov_b32_e32 v2, 0
	ds_store_b32 v15, v2 offset:12288
; %bb.339:
	s_or_b32 exec_lo, exec_lo, s1
	s_and_saveexec_b32 s1, s0
; %bb.340:
	v_mov_b32_e32 v2, 0
	ds_store_b32 v15, v2 offset:14336
; %bb.341:
	s_or_b32 exec_lo, exec_lo, s1
	s_wait_loadcnt 0xb
	v_cmp_lt_i32_e32 vcc_lo, -1, v10
	s_wait_storecnt 0x0
	s_wait_loadcnt_dscnt 0x0
	s_barrier_signal -1
	s_barrier_wait -1
	v_cndmask_b32_e64 v2, -1, 0x80000000, vcc_lo
	v_cmp_lt_i32_e32 vcc_lo, -1, v11
	s_mov_b32 s0, exec_lo
	v_cndmask_b32_e64 v3, -1, 0x80000000, vcc_lo
	v_cmp_lt_i32_e32 vcc_lo, -1, v12
	s_delay_alu instid0(VALU_DEP_2) | instskip(SKIP_4) | instid1(VALU_DEP_2)
	v_xor_b32_e32 v3, v3, v11
	v_cndmask_b32_e64 v15, -1, 0x80000000, vcc_lo
	v_cmp_lt_i32_e32 vcc_lo, -1, v13
	v_cndmask_b32_e64 v16, -1, 0x80000000, vcc_lo
	v_cmp_lt_i32_e32 vcc_lo, -1, v14
	v_xor_b32_e32 v11, v16, v13
	v_cndmask_b32_e64 v17, -1, 0x80000000, vcc_lo
	v_cmp_lt_i32_e32 vcc_lo, -1, v5
	v_cndmask_b32_e64 v13, -1, 0x80000000, vcc_lo
	v_cmp_lt_i32_e32 vcc_lo, -1, v6
	s_delay_alu instid0(VALU_DEP_2)
	v_xor_b32_e32 v5, v13, v5
	v_and_b32_e32 v13, 3, v0
	v_xor_b32_e32 v2, v2, v10
	v_xor_b32_e32 v10, v15, v12
	;; [unrolled: 1-line block ×3, first 2 shown]
	v_cndmask_b32_e64 v14, -1, 0x80000000, vcc_lo
	v_cmp_lt_i32_e32 vcc_lo, -1, v7
	s_delay_alu instid0(VALU_DEP_2) | instskip(SKIP_2) | instid1(VALU_DEP_2)
	v_dual_lshlrev_b32 v13, 2, v13 :: v_dual_bitop2_b32 v6, v14, v6 bitop3:0x14
	v_cndmask_b32_e64 v15, -1, 0x80000000, vcc_lo
	v_cmp_lt_i32_e32 vcc_lo, -1, v8
	v_xor_b32_e32 v7, v15, v7
	v_cndmask_b32_e64 v16, -1, 0x80000000, vcc_lo
	v_cmp_lt_i32_e32 vcc_lo, -1, v9
	s_delay_alu instid0(VALU_DEP_2) | instskip(SKIP_4) | instid1(VALU_DEP_2)
	v_xor_b32_e32 v8, v16, v8
	v_cndmask_b32_e64 v17, -1, 0x80000000, vcc_lo
	v_cmp_ne_u32_e32 vcc_lo, 0x7fffffff, v2
	v_cndmask_b32_e32 v2, 0x80000000, v2, vcc_lo
	v_cmp_lt_i32_e32 vcc_lo, -1, v4
	v_lshlrev_b32_e32 v16, 4, v2
	v_cndmask_b32_e64 v14, -1, 0x80000000, vcc_lo
	v_cmp_lt_i32_e32 vcc_lo, -1, v1
	s_delay_alu instid0(VALU_DEP_2)
	v_xor_b32_e32 v4, v14, v4
	v_cndmask_b32_e64 v15, -1, 0x80000000, vcc_lo
	v_cmp_ne_u32_e32 vcc_lo, 0x7fffffff, v3
	v_dual_cndmask_b32 v3, 0x80000000, v3 :: v_dual_lshrrev_b32 v14, 4, v2
	v_cmp_ne_u32_e32 vcc_lo, 0x7fffffff, v10
	v_dual_lshrrev_b32 v17, 12, v2 :: v_dual_bitop2_b32 v9, v17, v9 bitop3:0x14
	v_lshrrev_b32_e32 v2, 20, v2
	s_delay_alu instid0(VALU_DEP_4)
	v_and_or_b32 v14, 0xff0, v14, v13
	v_cndmask_b32_e32 v10, 0x80000000, v10, vcc_lo
	v_xor_b32_e32 v1, v15, v1
	v_and_or_b32 v15, 0xff0, v16, v13
	v_mov_b32_e32 v16, 1
	v_and_or_b32 v17, 0xff0, v17, v13
	ds_add_u32 v15, v16
	ds_add_u32 v14, v16 offset:4096
	ds_add_u32 v17, v16 offset:8192
	v_and_or_b32 v2, 0xff0, v2, v13
	v_dual_lshlrev_b32 v14, 4, v3 :: v_dual_lshrrev_b32 v15, 4, v3
	v_dual_lshrrev_b32 v17, 12, v3 :: v_dual_lshrrev_b32 v3, 20, v3
	ds_add_u32 v2, v16 offset:12288
	v_and_or_b32 v2, 0xff0, v14, v13
	v_cmp_ne_u32_e32 vcc_lo, 0x7fffffff, v11
	v_and_or_b32 v14, 0xff0, v15, v13
	v_and_or_b32 v15, 0xff0, v17, v13
	;; [unrolled: 1-line block ×3, first 2 shown]
	ds_add_u32 v2, v16
	ds_add_u32 v14, v16 offset:4096
	ds_add_u32 v15, v16 offset:8192
	;; [unrolled: 1-line block ×3, first 2 shown]
	v_dual_cndmask_b32 v11, 0x80000000, v11 :: v_dual_lshlrev_b32 v2, 4, v10
	v_cmp_ne_u32_e32 vcc_lo, 0x7fffffff, v12
	v_dual_lshrrev_b32 v3, 4, v10 :: v_dual_lshrrev_b32 v14, 12, v10
	v_lshrrev_b32_e32 v10, 20, v10
	s_delay_alu instid0(VALU_DEP_4) | instskip(SKIP_1) | instid1(VALU_DEP_4)
	v_and_or_b32 v2, 0xff0, v2, v13
	v_cndmask_b32_e32 v12, 0x80000000, v12, vcc_lo
	v_and_or_b32 v3, 0xff0, v3, v13
	v_and_or_b32 v14, 0xff0, v14, v13
	;; [unrolled: 1-line block ×3, first 2 shown]
	ds_add_u32 v2, v16
	ds_add_u32 v3, v16 offset:4096
	ds_add_u32 v14, v16 offset:8192
	;; [unrolled: 1-line block ×3, first 2 shown]
	v_dual_lshrrev_b32 v14, 4, v12 :: v_dual_lshlrev_b32 v15, 4, v11
	v_dual_lshrrev_b32 v3, 4, v11 :: v_dual_lshrrev_b32 v10, 12, v11
	v_lshrrev_b32_e32 v11, 20, v11
	v_cmp_ne_u32_e32 vcc_lo, 0x7fffffff, v5
	s_delay_alu instid0(VALU_DEP_4)
	v_and_or_b32 v2, 0xff0, v15, v13
	v_cndmask_b32_e32 v5, 0x80000000, v5, vcc_lo
	ds_add_u32 v2, v16
	v_and_or_b32 v2, 0xff0, v3, v13
	v_and_or_b32 v3, 0xff0, v10, v13
	;; [unrolled: 1-line block ×3, first 2 shown]
	v_lshlrev_b32_e32 v11, 4, v12
	ds_add_u32 v2, v16 offset:4096
	ds_add_u32 v3, v16 offset:8192
	;; [unrolled: 1-line block ×3, first 2 shown]
	v_and_or_b32 v3, 0xff0, v14, v13
	v_cmp_ne_u32_e32 vcc_lo, 0x7fffffff, v6
	v_and_or_b32 v2, 0xff0, v11, v13
	v_lshrrev_b32_e32 v11, 20, v12
	ds_add_u32 v2, v16
	ds_add_u32 v3, v16 offset:4096
	v_and_or_b32 v3, 0xff0, v11, v13
	v_dual_lshrrev_b32 v11, 4, v5 :: v_dual_lshrrev_b32 v10, 12, v12
	v_lshrrev_b32_e32 v12, 12, v5
	v_cndmask_b32_e32 v6, 0x80000000, v6, vcc_lo
	v_cmp_ne_u32_e32 vcc_lo, 0x7fffffff, v7
	s_delay_alu instid0(VALU_DEP_4)
	v_and_or_b32 v2, 0xff0, v10, v13
	v_lshlrev_b32_e32 v10, 4, v5
	ds_add_u32 v2, v16 offset:8192
	ds_add_u32 v3, v16 offset:12288
	v_and_or_b32 v2, 0xff0, v10, v13
	v_and_or_b32 v3, 0xff0, v11, v13
	;; [unrolled: 1-line block ×3, first 2 shown]
	ds_add_u32 v2, v16
	ds_add_u32 v3, v16 offset:4096
	ds_add_u32 v10, v16 offset:8192
	v_dual_lshrrev_b32 v10, 12, v6 :: v_dual_lshrrev_b32 v5, 20, v5
	v_lshlrev_b32_e32 v3, 4, v6
	v_cndmask_b32_e32 v7, 0x80000000, v7, vcc_lo
	v_cmp_ne_u32_e32 vcc_lo, 0x7fffffff, v8
	s_delay_alu instid0(VALU_DEP_4)
	v_and_or_b32 v2, 0xff0, v5, v13
	v_dual_lshrrev_b32 v5, 4, v6 :: v_dual_lshrrev_b32 v6, 20, v6
	ds_add_u32 v2, v16 offset:12288
	v_and_or_b32 v2, 0xff0, v3, v13
	v_and_or_b32 v3, 0xff0, v5, v13
	;; [unrolled: 1-line block ×4, first 2 shown]
	ds_add_u32 v2, v16
	ds_add_u32 v3, v16 offset:4096
	ds_add_u32 v5, v16 offset:8192
	;; [unrolled: 1-line block ×3, first 2 shown]
	v_dual_lshlrev_b32 v2, 4, v7 :: v_dual_lshrrev_b32 v5, 12, v7
	v_dual_lshrrev_b32 v3, 4, v7 :: v_dual_lshrrev_b32 v6, 20, v7
	v_cndmask_b32_e32 v7, 0x80000000, v8, vcc_lo
	s_delay_alu instid0(VALU_DEP_3) | instskip(SKIP_1) | instid1(VALU_DEP_4)
	v_and_or_b32 v2, 0xff0, v2, v13
	v_cmp_ne_u32_e32 vcc_lo, 0x7fffffff, v9
	v_and_or_b32 v3, 0xff0, v3, v13
	v_and_or_b32 v5, 0xff0, v5, v13
	v_lshlrev_b32_e32 v8, 4, v7
	v_and_or_b32 v6, 0xff0, v6, v13
	ds_add_u32 v2, v16
	ds_add_u32 v3, v16 offset:4096
	ds_add_u32 v5, v16 offset:8192
	ds_add_u32 v6, v16 offset:12288
	v_lshrrev_b32_e32 v3, 4, v7
	v_and_or_b32 v2, 0xff0, v8, v13
	v_dual_lshrrev_b32 v5, 12, v7 :: v_dual_lshrrev_b32 v6, 20, v7
	v_cndmask_b32_e32 v7, 0x80000000, v9, vcc_lo
	v_cmp_ne_u32_e32 vcc_lo, 0x7fffffff, v4
	ds_add_u32 v2, v16
	v_and_or_b32 v2, 0xff0, v3, v13
	v_and_or_b32 v3, 0xff0, v5, v13
	;; [unrolled: 1-line block ×3, first 2 shown]
	v_dual_lshlrev_b32 v6, 4, v7 :: v_dual_lshrrev_b32 v8, 4, v7
	ds_add_u32 v2, v16 offset:4096
	ds_add_u32 v3, v16 offset:8192
	;; [unrolled: 1-line block ×3, first 2 shown]
	v_cndmask_b32_e32 v4, 0x80000000, v4, vcc_lo
	v_cmp_ne_u32_e32 vcc_lo, 0x7fffffff, v1
	v_and_or_b32 v2, 0xff0, v6, v13
	v_lshrrev_b32_e32 v6, 20, v7
	v_and_or_b32 v3, 0xff0, v8, v13
	ds_add_u32 v2, v16
	ds_add_u32 v3, v16 offset:4096
	v_and_or_b32 v3, 0xff0, v6, v13
	v_dual_lshrrev_b32 v6, 4, v4 :: v_dual_lshrrev_b32 v5, 12, v7
	v_lshrrev_b32_e32 v7, 12, v4
	v_cndmask_b32_e32 v1, 0x80000000, v1, vcc_lo
	s_delay_alu instid0(VALU_DEP_3)
	v_and_or_b32 v2, 0xff0, v5, v13
	v_lshlrev_b32_e32 v5, 4, v4
	ds_add_u32 v2, v16 offset:8192
	ds_add_u32 v3, v16 offset:12288
	v_and_or_b32 v2, 0xff0, v5, v13
	v_and_or_b32 v3, 0xff0, v6, v13
	;; [unrolled: 1-line block ×3, first 2 shown]
	ds_add_u32 v2, v16
	ds_add_u32 v3, v16 offset:4096
	ds_add_u32 v5, v16 offset:8192
	v_dual_lshlrev_b32 v3, 4, v1 :: v_dual_lshrrev_b32 v2, 20, v4
	v_dual_lshrrev_b32 v4, 4, v1 :: v_dual_lshrrev_b32 v5, 12, v1
	v_lshrrev_b32_e32 v1, 20, v1
	s_delay_alu instid0(VALU_DEP_3) | instskip(NEXT) | instid1(VALU_DEP_4)
	v_and_or_b32 v3, 0xff0, v3, v13
	v_and_or_b32 v2, 0xff0, v2, v13
	s_delay_alu instid0(VALU_DEP_4)
	v_and_or_b32 v4, 0xff0, v4, v13
	v_and_or_b32 v5, 0xff0, v5, v13
	;; [unrolled: 1-line block ×3, first 2 shown]
	ds_add_u32 v2, v16 offset:12288
	ds_add_u32 v3, v16
	ds_add_u32 v4, v16 offset:4096
	ds_add_u32 v5, v16 offset:8192
	;; [unrolled: 1-line block ×3, first 2 shown]
	s_wait_dscnt 0x0
	s_barrier_signal -1
	s_barrier_wait -1
	v_cmpx_gt_u32_e32 0x100, v0
	s_cbranch_execz .LBB1388_343
; %bb.342:
	v_lshlrev_b32_e32 v1, 4, v0
	ds_load_2addr_b32 v[2:3], v1 offset1:1
	ds_load_2addr_b32 v[4:5], v1 offset0:2 offset1:3
	s_wait_dscnt 0x1
	v_dual_mov_b32 v3, 0 :: v_dual_add_nc_u32 v2, v3, v2
	v_add_nc_u32_e32 v6, 0x1008, v1
	s_wait_dscnt 0x0
	s_delay_alu instid0(VALU_DEP_2)
	v_add3_u32 v2, v2, v4, v5
	v_add_nc_u32_e32 v4, 0x1000, v1
	global_atomic_add_u64 v0, v[2:3], s[6:7] scale_offset scope:SCOPE_DEV
	ds_load_2addr_b32 v[4:5], v4 offset1:1
	ds_load_2addr_b32 v[6:7], v6 offset1:1
	s_wait_dscnt 0x1
	s_wait_xcnt 0x0
	v_add_nc_u32_e32 v2, v5, v4
	v_or_b32_e32 v4, 0x2000, v1
	s_wait_dscnt 0x0
	s_delay_alu instid0(VALU_DEP_2)
	v_add3_u32 v2, v2, v6, v7
	v_or_b32_e32 v6, 0x2008, v1
	global_atomic_add_u64 v0, v[2:3], s[6:7] offset:2048 scale_offset scope:SCOPE_DEV
	ds_load_2addr_b32 v[4:5], v4 offset1:1
	ds_load_2addr_b32 v[6:7], v6 offset1:1
	s_wait_dscnt 0x1
	s_wait_xcnt 0x0
	v_add_nc_u32_e32 v2, v5, v4
	v_add_nc_u32_e32 v4, 0x3000, v1
	;; [unrolled: 1-line block ×3, first 2 shown]
	s_wait_dscnt 0x0
	s_delay_alu instid0(VALU_DEP_3)
	v_add3_u32 v2, v2, v6, v7
	global_atomic_add_u64 v0, v[2:3], s[6:7] offset:4096 scale_offset scope:SCOPE_DEV
	ds_load_2addr_b32 v[4:5], v4 offset1:1
	ds_load_2addr_b32 v[6:7], v1 offset1:1
	s_wait_dscnt 0x1
	v_add_nc_u32_e32 v1, v5, v4
	s_wait_dscnt 0x0
	s_wait_xcnt 0x0
	s_delay_alu instid0(VALU_DEP_1)
	v_add3_u32 v2, v1, v6, v7
	global_atomic_add_u64 v0, v[2:3], s[6:7] offset:6144 scale_offset scope:SCOPE_DEV
.LBB1388_343:
	s_endpgm
	.section	.rodata,"a",@progbits
	.p2align	6, 0x0
	.amdhsa_kernel _ZN7rocprim17ROCPRIM_400000_NS6detail17trampoline_kernelINS0_14default_configENS1_35radix_sort_onesweep_config_selectorIfNS0_10empty_typeEEEZNS1_34radix_sort_onesweep_global_offsetsIS3_Lb0EPKfPS5_mNS0_19identity_decomposerEEE10hipError_tT1_T2_PT3_SF_jT4_jjP12ihipStream_tbEUlT_E_NS1_11comp_targetILNS1_3genE0ELNS1_11target_archE4294967295ELNS1_3gpuE0ELNS1_3repE0EEENS1_52radix_sort_onesweep_histogram_config_static_selectorELNS0_4arch9wavefront6targetE0EEEvSD_
		.amdhsa_group_segment_fixed_size 16384
		.amdhsa_private_segment_fixed_size 0
		.amdhsa_kernarg_size 48
		.amdhsa_user_sgpr_count 2
		.amdhsa_user_sgpr_dispatch_ptr 0
		.amdhsa_user_sgpr_queue_ptr 0
		.amdhsa_user_sgpr_kernarg_segment_ptr 1
		.amdhsa_user_sgpr_dispatch_id 0
		.amdhsa_user_sgpr_kernarg_preload_length 0
		.amdhsa_user_sgpr_kernarg_preload_offset 0
		.amdhsa_user_sgpr_private_segment_size 0
		.amdhsa_wavefront_size32 1
		.amdhsa_uses_dynamic_stack 0
		.amdhsa_enable_private_segment 0
		.amdhsa_system_sgpr_workgroup_id_x 1
		.amdhsa_system_sgpr_workgroup_id_y 0
		.amdhsa_system_sgpr_workgroup_id_z 0
		.amdhsa_system_sgpr_workgroup_info 0
		.amdhsa_system_vgpr_workitem_id 0
		.amdhsa_next_free_vgpr 28
		.amdhsa_next_free_sgpr 13
		.amdhsa_named_barrier_count 0
		.amdhsa_reserve_vcc 1
		.amdhsa_float_round_mode_32 0
		.amdhsa_float_round_mode_16_64 0
		.amdhsa_float_denorm_mode_32 3
		.amdhsa_float_denorm_mode_16_64 3
		.amdhsa_fp16_overflow 0
		.amdhsa_memory_ordered 1
		.amdhsa_forward_progress 1
		.amdhsa_inst_pref_size 118
		.amdhsa_round_robin_scheduling 0
		.amdhsa_exception_fp_ieee_invalid_op 0
		.amdhsa_exception_fp_denorm_src 0
		.amdhsa_exception_fp_ieee_div_zero 0
		.amdhsa_exception_fp_ieee_overflow 0
		.amdhsa_exception_fp_ieee_underflow 0
		.amdhsa_exception_fp_ieee_inexact 0
		.amdhsa_exception_int_div_zero 0
	.end_amdhsa_kernel
	.section	.text._ZN7rocprim17ROCPRIM_400000_NS6detail17trampoline_kernelINS0_14default_configENS1_35radix_sort_onesweep_config_selectorIfNS0_10empty_typeEEEZNS1_34radix_sort_onesweep_global_offsetsIS3_Lb0EPKfPS5_mNS0_19identity_decomposerEEE10hipError_tT1_T2_PT3_SF_jT4_jjP12ihipStream_tbEUlT_E_NS1_11comp_targetILNS1_3genE0ELNS1_11target_archE4294967295ELNS1_3gpuE0ELNS1_3repE0EEENS1_52radix_sort_onesweep_histogram_config_static_selectorELNS0_4arch9wavefront6targetE0EEEvSD_,"axG",@progbits,_ZN7rocprim17ROCPRIM_400000_NS6detail17trampoline_kernelINS0_14default_configENS1_35radix_sort_onesweep_config_selectorIfNS0_10empty_typeEEEZNS1_34radix_sort_onesweep_global_offsetsIS3_Lb0EPKfPS5_mNS0_19identity_decomposerEEE10hipError_tT1_T2_PT3_SF_jT4_jjP12ihipStream_tbEUlT_E_NS1_11comp_targetILNS1_3genE0ELNS1_11target_archE4294967295ELNS1_3gpuE0ELNS1_3repE0EEENS1_52radix_sort_onesweep_histogram_config_static_selectorELNS0_4arch9wavefront6targetE0EEEvSD_,comdat
.Lfunc_end1388:
	.size	_ZN7rocprim17ROCPRIM_400000_NS6detail17trampoline_kernelINS0_14default_configENS1_35radix_sort_onesweep_config_selectorIfNS0_10empty_typeEEEZNS1_34radix_sort_onesweep_global_offsetsIS3_Lb0EPKfPS5_mNS0_19identity_decomposerEEE10hipError_tT1_T2_PT3_SF_jT4_jjP12ihipStream_tbEUlT_E_NS1_11comp_targetILNS1_3genE0ELNS1_11target_archE4294967295ELNS1_3gpuE0ELNS1_3repE0EEENS1_52radix_sort_onesweep_histogram_config_static_selectorELNS0_4arch9wavefront6targetE0EEEvSD_, .Lfunc_end1388-_ZN7rocprim17ROCPRIM_400000_NS6detail17trampoline_kernelINS0_14default_configENS1_35radix_sort_onesweep_config_selectorIfNS0_10empty_typeEEEZNS1_34radix_sort_onesweep_global_offsetsIS3_Lb0EPKfPS5_mNS0_19identity_decomposerEEE10hipError_tT1_T2_PT3_SF_jT4_jjP12ihipStream_tbEUlT_E_NS1_11comp_targetILNS1_3genE0ELNS1_11target_archE4294967295ELNS1_3gpuE0ELNS1_3repE0EEENS1_52radix_sort_onesweep_histogram_config_static_selectorELNS0_4arch9wavefront6targetE0EEEvSD_
                                        ; -- End function
	.set _ZN7rocprim17ROCPRIM_400000_NS6detail17trampoline_kernelINS0_14default_configENS1_35radix_sort_onesweep_config_selectorIfNS0_10empty_typeEEEZNS1_34radix_sort_onesweep_global_offsetsIS3_Lb0EPKfPS5_mNS0_19identity_decomposerEEE10hipError_tT1_T2_PT3_SF_jT4_jjP12ihipStream_tbEUlT_E_NS1_11comp_targetILNS1_3genE0ELNS1_11target_archE4294967295ELNS1_3gpuE0ELNS1_3repE0EEENS1_52radix_sort_onesweep_histogram_config_static_selectorELNS0_4arch9wavefront6targetE0EEEvSD_.num_vgpr, 28
	.set _ZN7rocprim17ROCPRIM_400000_NS6detail17trampoline_kernelINS0_14default_configENS1_35radix_sort_onesweep_config_selectorIfNS0_10empty_typeEEEZNS1_34radix_sort_onesweep_global_offsetsIS3_Lb0EPKfPS5_mNS0_19identity_decomposerEEE10hipError_tT1_T2_PT3_SF_jT4_jjP12ihipStream_tbEUlT_E_NS1_11comp_targetILNS1_3genE0ELNS1_11target_archE4294967295ELNS1_3gpuE0ELNS1_3repE0EEENS1_52radix_sort_onesweep_histogram_config_static_selectorELNS0_4arch9wavefront6targetE0EEEvSD_.num_agpr, 0
	.set _ZN7rocprim17ROCPRIM_400000_NS6detail17trampoline_kernelINS0_14default_configENS1_35radix_sort_onesweep_config_selectorIfNS0_10empty_typeEEEZNS1_34radix_sort_onesweep_global_offsetsIS3_Lb0EPKfPS5_mNS0_19identity_decomposerEEE10hipError_tT1_T2_PT3_SF_jT4_jjP12ihipStream_tbEUlT_E_NS1_11comp_targetILNS1_3genE0ELNS1_11target_archE4294967295ELNS1_3gpuE0ELNS1_3repE0EEENS1_52radix_sort_onesweep_histogram_config_static_selectorELNS0_4arch9wavefront6targetE0EEEvSD_.numbered_sgpr, 13
	.set _ZN7rocprim17ROCPRIM_400000_NS6detail17trampoline_kernelINS0_14default_configENS1_35radix_sort_onesweep_config_selectorIfNS0_10empty_typeEEEZNS1_34radix_sort_onesweep_global_offsetsIS3_Lb0EPKfPS5_mNS0_19identity_decomposerEEE10hipError_tT1_T2_PT3_SF_jT4_jjP12ihipStream_tbEUlT_E_NS1_11comp_targetILNS1_3genE0ELNS1_11target_archE4294967295ELNS1_3gpuE0ELNS1_3repE0EEENS1_52radix_sort_onesweep_histogram_config_static_selectorELNS0_4arch9wavefront6targetE0EEEvSD_.num_named_barrier, 0
	.set _ZN7rocprim17ROCPRIM_400000_NS6detail17trampoline_kernelINS0_14default_configENS1_35radix_sort_onesweep_config_selectorIfNS0_10empty_typeEEEZNS1_34radix_sort_onesweep_global_offsetsIS3_Lb0EPKfPS5_mNS0_19identity_decomposerEEE10hipError_tT1_T2_PT3_SF_jT4_jjP12ihipStream_tbEUlT_E_NS1_11comp_targetILNS1_3genE0ELNS1_11target_archE4294967295ELNS1_3gpuE0ELNS1_3repE0EEENS1_52radix_sort_onesweep_histogram_config_static_selectorELNS0_4arch9wavefront6targetE0EEEvSD_.private_seg_size, 0
	.set _ZN7rocprim17ROCPRIM_400000_NS6detail17trampoline_kernelINS0_14default_configENS1_35radix_sort_onesweep_config_selectorIfNS0_10empty_typeEEEZNS1_34radix_sort_onesweep_global_offsetsIS3_Lb0EPKfPS5_mNS0_19identity_decomposerEEE10hipError_tT1_T2_PT3_SF_jT4_jjP12ihipStream_tbEUlT_E_NS1_11comp_targetILNS1_3genE0ELNS1_11target_archE4294967295ELNS1_3gpuE0ELNS1_3repE0EEENS1_52radix_sort_onesweep_histogram_config_static_selectorELNS0_4arch9wavefront6targetE0EEEvSD_.uses_vcc, 1
	.set _ZN7rocprim17ROCPRIM_400000_NS6detail17trampoline_kernelINS0_14default_configENS1_35radix_sort_onesweep_config_selectorIfNS0_10empty_typeEEEZNS1_34radix_sort_onesweep_global_offsetsIS3_Lb0EPKfPS5_mNS0_19identity_decomposerEEE10hipError_tT1_T2_PT3_SF_jT4_jjP12ihipStream_tbEUlT_E_NS1_11comp_targetILNS1_3genE0ELNS1_11target_archE4294967295ELNS1_3gpuE0ELNS1_3repE0EEENS1_52radix_sort_onesweep_histogram_config_static_selectorELNS0_4arch9wavefront6targetE0EEEvSD_.uses_flat_scratch, 0
	.set _ZN7rocprim17ROCPRIM_400000_NS6detail17trampoline_kernelINS0_14default_configENS1_35radix_sort_onesweep_config_selectorIfNS0_10empty_typeEEEZNS1_34radix_sort_onesweep_global_offsetsIS3_Lb0EPKfPS5_mNS0_19identity_decomposerEEE10hipError_tT1_T2_PT3_SF_jT4_jjP12ihipStream_tbEUlT_E_NS1_11comp_targetILNS1_3genE0ELNS1_11target_archE4294967295ELNS1_3gpuE0ELNS1_3repE0EEENS1_52radix_sort_onesweep_histogram_config_static_selectorELNS0_4arch9wavefront6targetE0EEEvSD_.has_dyn_sized_stack, 0
	.set _ZN7rocprim17ROCPRIM_400000_NS6detail17trampoline_kernelINS0_14default_configENS1_35radix_sort_onesweep_config_selectorIfNS0_10empty_typeEEEZNS1_34radix_sort_onesweep_global_offsetsIS3_Lb0EPKfPS5_mNS0_19identity_decomposerEEE10hipError_tT1_T2_PT3_SF_jT4_jjP12ihipStream_tbEUlT_E_NS1_11comp_targetILNS1_3genE0ELNS1_11target_archE4294967295ELNS1_3gpuE0ELNS1_3repE0EEENS1_52radix_sort_onesweep_histogram_config_static_selectorELNS0_4arch9wavefront6targetE0EEEvSD_.has_recursion, 0
	.set _ZN7rocprim17ROCPRIM_400000_NS6detail17trampoline_kernelINS0_14default_configENS1_35radix_sort_onesweep_config_selectorIfNS0_10empty_typeEEEZNS1_34radix_sort_onesweep_global_offsetsIS3_Lb0EPKfPS5_mNS0_19identity_decomposerEEE10hipError_tT1_T2_PT3_SF_jT4_jjP12ihipStream_tbEUlT_E_NS1_11comp_targetILNS1_3genE0ELNS1_11target_archE4294967295ELNS1_3gpuE0ELNS1_3repE0EEENS1_52radix_sort_onesweep_histogram_config_static_selectorELNS0_4arch9wavefront6targetE0EEEvSD_.has_indirect_call, 0
	.section	.AMDGPU.csdata,"",@progbits
; Kernel info:
; codeLenInByte = 14988
; TotalNumSgprs: 15
; NumVgprs: 28
; ScratchSize: 0
; MemoryBound: 0
; FloatMode: 240
; IeeeMode: 1
; LDSByteSize: 16384 bytes/workgroup (compile time only)
; SGPRBlocks: 0
; VGPRBlocks: 1
; NumSGPRsForWavesPerEU: 15
; NumVGPRsForWavesPerEU: 28
; NamedBarCnt: 0
; Occupancy: 16
; WaveLimiterHint : 1
; COMPUTE_PGM_RSRC2:SCRATCH_EN: 0
; COMPUTE_PGM_RSRC2:USER_SGPR: 2
; COMPUTE_PGM_RSRC2:TRAP_HANDLER: 0
; COMPUTE_PGM_RSRC2:TGID_X_EN: 1
; COMPUTE_PGM_RSRC2:TGID_Y_EN: 0
; COMPUTE_PGM_RSRC2:TGID_Z_EN: 0
; COMPUTE_PGM_RSRC2:TIDIG_COMP_CNT: 0
	.section	.text._ZN7rocprim17ROCPRIM_400000_NS6detail17trampoline_kernelINS0_14default_configENS1_35radix_sort_onesweep_config_selectorIfNS0_10empty_typeEEEZNS1_34radix_sort_onesweep_global_offsetsIS3_Lb0EPKfPS5_mNS0_19identity_decomposerEEE10hipError_tT1_T2_PT3_SF_jT4_jjP12ihipStream_tbEUlT_E_NS1_11comp_targetILNS1_3genE6ELNS1_11target_archE950ELNS1_3gpuE13ELNS1_3repE0EEENS1_52radix_sort_onesweep_histogram_config_static_selectorELNS0_4arch9wavefront6targetE0EEEvSD_,"axG",@progbits,_ZN7rocprim17ROCPRIM_400000_NS6detail17trampoline_kernelINS0_14default_configENS1_35radix_sort_onesweep_config_selectorIfNS0_10empty_typeEEEZNS1_34radix_sort_onesweep_global_offsetsIS3_Lb0EPKfPS5_mNS0_19identity_decomposerEEE10hipError_tT1_T2_PT3_SF_jT4_jjP12ihipStream_tbEUlT_E_NS1_11comp_targetILNS1_3genE6ELNS1_11target_archE950ELNS1_3gpuE13ELNS1_3repE0EEENS1_52radix_sort_onesweep_histogram_config_static_selectorELNS0_4arch9wavefront6targetE0EEEvSD_,comdat
	.protected	_ZN7rocprim17ROCPRIM_400000_NS6detail17trampoline_kernelINS0_14default_configENS1_35radix_sort_onesweep_config_selectorIfNS0_10empty_typeEEEZNS1_34radix_sort_onesweep_global_offsetsIS3_Lb0EPKfPS5_mNS0_19identity_decomposerEEE10hipError_tT1_T2_PT3_SF_jT4_jjP12ihipStream_tbEUlT_E_NS1_11comp_targetILNS1_3genE6ELNS1_11target_archE950ELNS1_3gpuE13ELNS1_3repE0EEENS1_52radix_sort_onesweep_histogram_config_static_selectorELNS0_4arch9wavefront6targetE0EEEvSD_ ; -- Begin function _ZN7rocprim17ROCPRIM_400000_NS6detail17trampoline_kernelINS0_14default_configENS1_35radix_sort_onesweep_config_selectorIfNS0_10empty_typeEEEZNS1_34radix_sort_onesweep_global_offsetsIS3_Lb0EPKfPS5_mNS0_19identity_decomposerEEE10hipError_tT1_T2_PT3_SF_jT4_jjP12ihipStream_tbEUlT_E_NS1_11comp_targetILNS1_3genE6ELNS1_11target_archE950ELNS1_3gpuE13ELNS1_3repE0EEENS1_52radix_sort_onesweep_histogram_config_static_selectorELNS0_4arch9wavefront6targetE0EEEvSD_
	.globl	_ZN7rocprim17ROCPRIM_400000_NS6detail17trampoline_kernelINS0_14default_configENS1_35radix_sort_onesweep_config_selectorIfNS0_10empty_typeEEEZNS1_34radix_sort_onesweep_global_offsetsIS3_Lb0EPKfPS5_mNS0_19identity_decomposerEEE10hipError_tT1_T2_PT3_SF_jT4_jjP12ihipStream_tbEUlT_E_NS1_11comp_targetILNS1_3genE6ELNS1_11target_archE950ELNS1_3gpuE13ELNS1_3repE0EEENS1_52radix_sort_onesweep_histogram_config_static_selectorELNS0_4arch9wavefront6targetE0EEEvSD_
	.p2align	8
	.type	_ZN7rocprim17ROCPRIM_400000_NS6detail17trampoline_kernelINS0_14default_configENS1_35radix_sort_onesweep_config_selectorIfNS0_10empty_typeEEEZNS1_34radix_sort_onesweep_global_offsetsIS3_Lb0EPKfPS5_mNS0_19identity_decomposerEEE10hipError_tT1_T2_PT3_SF_jT4_jjP12ihipStream_tbEUlT_E_NS1_11comp_targetILNS1_3genE6ELNS1_11target_archE950ELNS1_3gpuE13ELNS1_3repE0EEENS1_52radix_sort_onesweep_histogram_config_static_selectorELNS0_4arch9wavefront6targetE0EEEvSD_,@function
_ZN7rocprim17ROCPRIM_400000_NS6detail17trampoline_kernelINS0_14default_configENS1_35radix_sort_onesweep_config_selectorIfNS0_10empty_typeEEEZNS1_34radix_sort_onesweep_global_offsetsIS3_Lb0EPKfPS5_mNS0_19identity_decomposerEEE10hipError_tT1_T2_PT3_SF_jT4_jjP12ihipStream_tbEUlT_E_NS1_11comp_targetILNS1_3genE6ELNS1_11target_archE950ELNS1_3gpuE13ELNS1_3repE0EEENS1_52radix_sort_onesweep_histogram_config_static_selectorELNS0_4arch9wavefront6targetE0EEEvSD_: ; @_ZN7rocprim17ROCPRIM_400000_NS6detail17trampoline_kernelINS0_14default_configENS1_35radix_sort_onesweep_config_selectorIfNS0_10empty_typeEEEZNS1_34radix_sort_onesweep_global_offsetsIS3_Lb0EPKfPS5_mNS0_19identity_decomposerEEE10hipError_tT1_T2_PT3_SF_jT4_jjP12ihipStream_tbEUlT_E_NS1_11comp_targetILNS1_3genE6ELNS1_11target_archE950ELNS1_3gpuE13ELNS1_3repE0EEENS1_52radix_sort_onesweep_histogram_config_static_selectorELNS0_4arch9wavefront6targetE0EEEvSD_
; %bb.0:
	.section	.rodata,"a",@progbits
	.p2align	6, 0x0
	.amdhsa_kernel _ZN7rocprim17ROCPRIM_400000_NS6detail17trampoline_kernelINS0_14default_configENS1_35radix_sort_onesweep_config_selectorIfNS0_10empty_typeEEEZNS1_34radix_sort_onesweep_global_offsetsIS3_Lb0EPKfPS5_mNS0_19identity_decomposerEEE10hipError_tT1_T2_PT3_SF_jT4_jjP12ihipStream_tbEUlT_E_NS1_11comp_targetILNS1_3genE6ELNS1_11target_archE950ELNS1_3gpuE13ELNS1_3repE0EEENS1_52radix_sort_onesweep_histogram_config_static_selectorELNS0_4arch9wavefront6targetE0EEEvSD_
		.amdhsa_group_segment_fixed_size 0
		.amdhsa_private_segment_fixed_size 0
		.amdhsa_kernarg_size 48
		.amdhsa_user_sgpr_count 2
		.amdhsa_user_sgpr_dispatch_ptr 0
		.amdhsa_user_sgpr_queue_ptr 0
		.amdhsa_user_sgpr_kernarg_segment_ptr 1
		.amdhsa_user_sgpr_dispatch_id 0
		.amdhsa_user_sgpr_kernarg_preload_length 0
		.amdhsa_user_sgpr_kernarg_preload_offset 0
		.amdhsa_user_sgpr_private_segment_size 0
		.amdhsa_wavefront_size32 1
		.amdhsa_uses_dynamic_stack 0
		.amdhsa_enable_private_segment 0
		.amdhsa_system_sgpr_workgroup_id_x 1
		.amdhsa_system_sgpr_workgroup_id_y 0
		.amdhsa_system_sgpr_workgroup_id_z 0
		.amdhsa_system_sgpr_workgroup_info 0
		.amdhsa_system_vgpr_workitem_id 0
		.amdhsa_next_free_vgpr 1
		.amdhsa_next_free_sgpr 1
		.amdhsa_named_barrier_count 0
		.amdhsa_reserve_vcc 0
		.amdhsa_float_round_mode_32 0
		.amdhsa_float_round_mode_16_64 0
		.amdhsa_float_denorm_mode_32 3
		.amdhsa_float_denorm_mode_16_64 3
		.amdhsa_fp16_overflow 0
		.amdhsa_memory_ordered 1
		.amdhsa_forward_progress 1
		.amdhsa_inst_pref_size 0
		.amdhsa_round_robin_scheduling 0
		.amdhsa_exception_fp_ieee_invalid_op 0
		.amdhsa_exception_fp_denorm_src 0
		.amdhsa_exception_fp_ieee_div_zero 0
		.amdhsa_exception_fp_ieee_overflow 0
		.amdhsa_exception_fp_ieee_underflow 0
		.amdhsa_exception_fp_ieee_inexact 0
		.amdhsa_exception_int_div_zero 0
	.end_amdhsa_kernel
	.section	.text._ZN7rocprim17ROCPRIM_400000_NS6detail17trampoline_kernelINS0_14default_configENS1_35radix_sort_onesweep_config_selectorIfNS0_10empty_typeEEEZNS1_34radix_sort_onesweep_global_offsetsIS3_Lb0EPKfPS5_mNS0_19identity_decomposerEEE10hipError_tT1_T2_PT3_SF_jT4_jjP12ihipStream_tbEUlT_E_NS1_11comp_targetILNS1_3genE6ELNS1_11target_archE950ELNS1_3gpuE13ELNS1_3repE0EEENS1_52radix_sort_onesweep_histogram_config_static_selectorELNS0_4arch9wavefront6targetE0EEEvSD_,"axG",@progbits,_ZN7rocprim17ROCPRIM_400000_NS6detail17trampoline_kernelINS0_14default_configENS1_35radix_sort_onesweep_config_selectorIfNS0_10empty_typeEEEZNS1_34radix_sort_onesweep_global_offsetsIS3_Lb0EPKfPS5_mNS0_19identity_decomposerEEE10hipError_tT1_T2_PT3_SF_jT4_jjP12ihipStream_tbEUlT_E_NS1_11comp_targetILNS1_3genE6ELNS1_11target_archE950ELNS1_3gpuE13ELNS1_3repE0EEENS1_52radix_sort_onesweep_histogram_config_static_selectorELNS0_4arch9wavefront6targetE0EEEvSD_,comdat
.Lfunc_end1389:
	.size	_ZN7rocprim17ROCPRIM_400000_NS6detail17trampoline_kernelINS0_14default_configENS1_35radix_sort_onesweep_config_selectorIfNS0_10empty_typeEEEZNS1_34radix_sort_onesweep_global_offsetsIS3_Lb0EPKfPS5_mNS0_19identity_decomposerEEE10hipError_tT1_T2_PT3_SF_jT4_jjP12ihipStream_tbEUlT_E_NS1_11comp_targetILNS1_3genE6ELNS1_11target_archE950ELNS1_3gpuE13ELNS1_3repE0EEENS1_52radix_sort_onesweep_histogram_config_static_selectorELNS0_4arch9wavefront6targetE0EEEvSD_, .Lfunc_end1389-_ZN7rocprim17ROCPRIM_400000_NS6detail17trampoline_kernelINS0_14default_configENS1_35radix_sort_onesweep_config_selectorIfNS0_10empty_typeEEEZNS1_34radix_sort_onesweep_global_offsetsIS3_Lb0EPKfPS5_mNS0_19identity_decomposerEEE10hipError_tT1_T2_PT3_SF_jT4_jjP12ihipStream_tbEUlT_E_NS1_11comp_targetILNS1_3genE6ELNS1_11target_archE950ELNS1_3gpuE13ELNS1_3repE0EEENS1_52radix_sort_onesweep_histogram_config_static_selectorELNS0_4arch9wavefront6targetE0EEEvSD_
                                        ; -- End function
	.set _ZN7rocprim17ROCPRIM_400000_NS6detail17trampoline_kernelINS0_14default_configENS1_35radix_sort_onesweep_config_selectorIfNS0_10empty_typeEEEZNS1_34radix_sort_onesweep_global_offsetsIS3_Lb0EPKfPS5_mNS0_19identity_decomposerEEE10hipError_tT1_T2_PT3_SF_jT4_jjP12ihipStream_tbEUlT_E_NS1_11comp_targetILNS1_3genE6ELNS1_11target_archE950ELNS1_3gpuE13ELNS1_3repE0EEENS1_52radix_sort_onesweep_histogram_config_static_selectorELNS0_4arch9wavefront6targetE0EEEvSD_.num_vgpr, 0
	.set _ZN7rocprim17ROCPRIM_400000_NS6detail17trampoline_kernelINS0_14default_configENS1_35radix_sort_onesweep_config_selectorIfNS0_10empty_typeEEEZNS1_34radix_sort_onesweep_global_offsetsIS3_Lb0EPKfPS5_mNS0_19identity_decomposerEEE10hipError_tT1_T2_PT3_SF_jT4_jjP12ihipStream_tbEUlT_E_NS1_11comp_targetILNS1_3genE6ELNS1_11target_archE950ELNS1_3gpuE13ELNS1_3repE0EEENS1_52radix_sort_onesweep_histogram_config_static_selectorELNS0_4arch9wavefront6targetE0EEEvSD_.num_agpr, 0
	.set _ZN7rocprim17ROCPRIM_400000_NS6detail17trampoline_kernelINS0_14default_configENS1_35radix_sort_onesweep_config_selectorIfNS0_10empty_typeEEEZNS1_34radix_sort_onesweep_global_offsetsIS3_Lb0EPKfPS5_mNS0_19identity_decomposerEEE10hipError_tT1_T2_PT3_SF_jT4_jjP12ihipStream_tbEUlT_E_NS1_11comp_targetILNS1_3genE6ELNS1_11target_archE950ELNS1_3gpuE13ELNS1_3repE0EEENS1_52radix_sort_onesweep_histogram_config_static_selectorELNS0_4arch9wavefront6targetE0EEEvSD_.numbered_sgpr, 0
	.set _ZN7rocprim17ROCPRIM_400000_NS6detail17trampoline_kernelINS0_14default_configENS1_35radix_sort_onesweep_config_selectorIfNS0_10empty_typeEEEZNS1_34radix_sort_onesweep_global_offsetsIS3_Lb0EPKfPS5_mNS0_19identity_decomposerEEE10hipError_tT1_T2_PT3_SF_jT4_jjP12ihipStream_tbEUlT_E_NS1_11comp_targetILNS1_3genE6ELNS1_11target_archE950ELNS1_3gpuE13ELNS1_3repE0EEENS1_52radix_sort_onesweep_histogram_config_static_selectorELNS0_4arch9wavefront6targetE0EEEvSD_.num_named_barrier, 0
	.set _ZN7rocprim17ROCPRIM_400000_NS6detail17trampoline_kernelINS0_14default_configENS1_35radix_sort_onesweep_config_selectorIfNS0_10empty_typeEEEZNS1_34radix_sort_onesweep_global_offsetsIS3_Lb0EPKfPS5_mNS0_19identity_decomposerEEE10hipError_tT1_T2_PT3_SF_jT4_jjP12ihipStream_tbEUlT_E_NS1_11comp_targetILNS1_3genE6ELNS1_11target_archE950ELNS1_3gpuE13ELNS1_3repE0EEENS1_52radix_sort_onesweep_histogram_config_static_selectorELNS0_4arch9wavefront6targetE0EEEvSD_.private_seg_size, 0
	.set _ZN7rocprim17ROCPRIM_400000_NS6detail17trampoline_kernelINS0_14default_configENS1_35radix_sort_onesweep_config_selectorIfNS0_10empty_typeEEEZNS1_34radix_sort_onesweep_global_offsetsIS3_Lb0EPKfPS5_mNS0_19identity_decomposerEEE10hipError_tT1_T2_PT3_SF_jT4_jjP12ihipStream_tbEUlT_E_NS1_11comp_targetILNS1_3genE6ELNS1_11target_archE950ELNS1_3gpuE13ELNS1_3repE0EEENS1_52radix_sort_onesweep_histogram_config_static_selectorELNS0_4arch9wavefront6targetE0EEEvSD_.uses_vcc, 0
	.set _ZN7rocprim17ROCPRIM_400000_NS6detail17trampoline_kernelINS0_14default_configENS1_35radix_sort_onesweep_config_selectorIfNS0_10empty_typeEEEZNS1_34radix_sort_onesweep_global_offsetsIS3_Lb0EPKfPS5_mNS0_19identity_decomposerEEE10hipError_tT1_T2_PT3_SF_jT4_jjP12ihipStream_tbEUlT_E_NS1_11comp_targetILNS1_3genE6ELNS1_11target_archE950ELNS1_3gpuE13ELNS1_3repE0EEENS1_52radix_sort_onesweep_histogram_config_static_selectorELNS0_4arch9wavefront6targetE0EEEvSD_.uses_flat_scratch, 0
	.set _ZN7rocprim17ROCPRIM_400000_NS6detail17trampoline_kernelINS0_14default_configENS1_35radix_sort_onesweep_config_selectorIfNS0_10empty_typeEEEZNS1_34radix_sort_onesweep_global_offsetsIS3_Lb0EPKfPS5_mNS0_19identity_decomposerEEE10hipError_tT1_T2_PT3_SF_jT4_jjP12ihipStream_tbEUlT_E_NS1_11comp_targetILNS1_3genE6ELNS1_11target_archE950ELNS1_3gpuE13ELNS1_3repE0EEENS1_52radix_sort_onesweep_histogram_config_static_selectorELNS0_4arch9wavefront6targetE0EEEvSD_.has_dyn_sized_stack, 0
	.set _ZN7rocprim17ROCPRIM_400000_NS6detail17trampoline_kernelINS0_14default_configENS1_35radix_sort_onesweep_config_selectorIfNS0_10empty_typeEEEZNS1_34radix_sort_onesweep_global_offsetsIS3_Lb0EPKfPS5_mNS0_19identity_decomposerEEE10hipError_tT1_T2_PT3_SF_jT4_jjP12ihipStream_tbEUlT_E_NS1_11comp_targetILNS1_3genE6ELNS1_11target_archE950ELNS1_3gpuE13ELNS1_3repE0EEENS1_52radix_sort_onesweep_histogram_config_static_selectorELNS0_4arch9wavefront6targetE0EEEvSD_.has_recursion, 0
	.set _ZN7rocprim17ROCPRIM_400000_NS6detail17trampoline_kernelINS0_14default_configENS1_35radix_sort_onesweep_config_selectorIfNS0_10empty_typeEEEZNS1_34radix_sort_onesweep_global_offsetsIS3_Lb0EPKfPS5_mNS0_19identity_decomposerEEE10hipError_tT1_T2_PT3_SF_jT4_jjP12ihipStream_tbEUlT_E_NS1_11comp_targetILNS1_3genE6ELNS1_11target_archE950ELNS1_3gpuE13ELNS1_3repE0EEENS1_52radix_sort_onesweep_histogram_config_static_selectorELNS0_4arch9wavefront6targetE0EEEvSD_.has_indirect_call, 0
	.section	.AMDGPU.csdata,"",@progbits
; Kernel info:
; codeLenInByte = 0
; TotalNumSgprs: 0
; NumVgprs: 0
; ScratchSize: 0
; MemoryBound: 0
; FloatMode: 240
; IeeeMode: 1
; LDSByteSize: 0 bytes/workgroup (compile time only)
; SGPRBlocks: 0
; VGPRBlocks: 0
; NumSGPRsForWavesPerEU: 1
; NumVGPRsForWavesPerEU: 1
; NamedBarCnt: 0
; Occupancy: 16
; WaveLimiterHint : 0
; COMPUTE_PGM_RSRC2:SCRATCH_EN: 0
; COMPUTE_PGM_RSRC2:USER_SGPR: 2
; COMPUTE_PGM_RSRC2:TRAP_HANDLER: 0
; COMPUTE_PGM_RSRC2:TGID_X_EN: 1
; COMPUTE_PGM_RSRC2:TGID_Y_EN: 0
; COMPUTE_PGM_RSRC2:TGID_Z_EN: 0
; COMPUTE_PGM_RSRC2:TIDIG_COMP_CNT: 0
	.section	.text._ZN7rocprim17ROCPRIM_400000_NS6detail17trampoline_kernelINS0_14default_configENS1_35radix_sort_onesweep_config_selectorIfNS0_10empty_typeEEEZNS1_34radix_sort_onesweep_global_offsetsIS3_Lb0EPKfPS5_mNS0_19identity_decomposerEEE10hipError_tT1_T2_PT3_SF_jT4_jjP12ihipStream_tbEUlT_E_NS1_11comp_targetILNS1_3genE5ELNS1_11target_archE942ELNS1_3gpuE9ELNS1_3repE0EEENS1_52radix_sort_onesweep_histogram_config_static_selectorELNS0_4arch9wavefront6targetE0EEEvSD_,"axG",@progbits,_ZN7rocprim17ROCPRIM_400000_NS6detail17trampoline_kernelINS0_14default_configENS1_35radix_sort_onesweep_config_selectorIfNS0_10empty_typeEEEZNS1_34radix_sort_onesweep_global_offsetsIS3_Lb0EPKfPS5_mNS0_19identity_decomposerEEE10hipError_tT1_T2_PT3_SF_jT4_jjP12ihipStream_tbEUlT_E_NS1_11comp_targetILNS1_3genE5ELNS1_11target_archE942ELNS1_3gpuE9ELNS1_3repE0EEENS1_52radix_sort_onesweep_histogram_config_static_selectorELNS0_4arch9wavefront6targetE0EEEvSD_,comdat
	.protected	_ZN7rocprim17ROCPRIM_400000_NS6detail17trampoline_kernelINS0_14default_configENS1_35radix_sort_onesweep_config_selectorIfNS0_10empty_typeEEEZNS1_34radix_sort_onesweep_global_offsetsIS3_Lb0EPKfPS5_mNS0_19identity_decomposerEEE10hipError_tT1_T2_PT3_SF_jT4_jjP12ihipStream_tbEUlT_E_NS1_11comp_targetILNS1_3genE5ELNS1_11target_archE942ELNS1_3gpuE9ELNS1_3repE0EEENS1_52radix_sort_onesweep_histogram_config_static_selectorELNS0_4arch9wavefront6targetE0EEEvSD_ ; -- Begin function _ZN7rocprim17ROCPRIM_400000_NS6detail17trampoline_kernelINS0_14default_configENS1_35radix_sort_onesweep_config_selectorIfNS0_10empty_typeEEEZNS1_34radix_sort_onesweep_global_offsetsIS3_Lb0EPKfPS5_mNS0_19identity_decomposerEEE10hipError_tT1_T2_PT3_SF_jT4_jjP12ihipStream_tbEUlT_E_NS1_11comp_targetILNS1_3genE5ELNS1_11target_archE942ELNS1_3gpuE9ELNS1_3repE0EEENS1_52radix_sort_onesweep_histogram_config_static_selectorELNS0_4arch9wavefront6targetE0EEEvSD_
	.globl	_ZN7rocprim17ROCPRIM_400000_NS6detail17trampoline_kernelINS0_14default_configENS1_35radix_sort_onesweep_config_selectorIfNS0_10empty_typeEEEZNS1_34radix_sort_onesweep_global_offsetsIS3_Lb0EPKfPS5_mNS0_19identity_decomposerEEE10hipError_tT1_T2_PT3_SF_jT4_jjP12ihipStream_tbEUlT_E_NS1_11comp_targetILNS1_3genE5ELNS1_11target_archE942ELNS1_3gpuE9ELNS1_3repE0EEENS1_52radix_sort_onesweep_histogram_config_static_selectorELNS0_4arch9wavefront6targetE0EEEvSD_
	.p2align	8
	.type	_ZN7rocprim17ROCPRIM_400000_NS6detail17trampoline_kernelINS0_14default_configENS1_35radix_sort_onesweep_config_selectorIfNS0_10empty_typeEEEZNS1_34radix_sort_onesweep_global_offsetsIS3_Lb0EPKfPS5_mNS0_19identity_decomposerEEE10hipError_tT1_T2_PT3_SF_jT4_jjP12ihipStream_tbEUlT_E_NS1_11comp_targetILNS1_3genE5ELNS1_11target_archE942ELNS1_3gpuE9ELNS1_3repE0EEENS1_52radix_sort_onesweep_histogram_config_static_selectorELNS0_4arch9wavefront6targetE0EEEvSD_,@function
_ZN7rocprim17ROCPRIM_400000_NS6detail17trampoline_kernelINS0_14default_configENS1_35radix_sort_onesweep_config_selectorIfNS0_10empty_typeEEEZNS1_34radix_sort_onesweep_global_offsetsIS3_Lb0EPKfPS5_mNS0_19identity_decomposerEEE10hipError_tT1_T2_PT3_SF_jT4_jjP12ihipStream_tbEUlT_E_NS1_11comp_targetILNS1_3genE5ELNS1_11target_archE942ELNS1_3gpuE9ELNS1_3repE0EEENS1_52radix_sort_onesweep_histogram_config_static_selectorELNS0_4arch9wavefront6targetE0EEEvSD_: ; @_ZN7rocprim17ROCPRIM_400000_NS6detail17trampoline_kernelINS0_14default_configENS1_35radix_sort_onesweep_config_selectorIfNS0_10empty_typeEEEZNS1_34radix_sort_onesweep_global_offsetsIS3_Lb0EPKfPS5_mNS0_19identity_decomposerEEE10hipError_tT1_T2_PT3_SF_jT4_jjP12ihipStream_tbEUlT_E_NS1_11comp_targetILNS1_3genE5ELNS1_11target_archE942ELNS1_3gpuE9ELNS1_3repE0EEENS1_52radix_sort_onesweep_histogram_config_static_selectorELNS0_4arch9wavefront6targetE0EEEvSD_
; %bb.0:
	.section	.rodata,"a",@progbits
	.p2align	6, 0x0
	.amdhsa_kernel _ZN7rocprim17ROCPRIM_400000_NS6detail17trampoline_kernelINS0_14default_configENS1_35radix_sort_onesweep_config_selectorIfNS0_10empty_typeEEEZNS1_34radix_sort_onesweep_global_offsetsIS3_Lb0EPKfPS5_mNS0_19identity_decomposerEEE10hipError_tT1_T2_PT3_SF_jT4_jjP12ihipStream_tbEUlT_E_NS1_11comp_targetILNS1_3genE5ELNS1_11target_archE942ELNS1_3gpuE9ELNS1_3repE0EEENS1_52radix_sort_onesweep_histogram_config_static_selectorELNS0_4arch9wavefront6targetE0EEEvSD_
		.amdhsa_group_segment_fixed_size 0
		.amdhsa_private_segment_fixed_size 0
		.amdhsa_kernarg_size 48
		.amdhsa_user_sgpr_count 2
		.amdhsa_user_sgpr_dispatch_ptr 0
		.amdhsa_user_sgpr_queue_ptr 0
		.amdhsa_user_sgpr_kernarg_segment_ptr 1
		.amdhsa_user_sgpr_dispatch_id 0
		.amdhsa_user_sgpr_kernarg_preload_length 0
		.amdhsa_user_sgpr_kernarg_preload_offset 0
		.amdhsa_user_sgpr_private_segment_size 0
		.amdhsa_wavefront_size32 1
		.amdhsa_uses_dynamic_stack 0
		.amdhsa_enable_private_segment 0
		.amdhsa_system_sgpr_workgroup_id_x 1
		.amdhsa_system_sgpr_workgroup_id_y 0
		.amdhsa_system_sgpr_workgroup_id_z 0
		.amdhsa_system_sgpr_workgroup_info 0
		.amdhsa_system_vgpr_workitem_id 0
		.amdhsa_next_free_vgpr 1
		.amdhsa_next_free_sgpr 1
		.amdhsa_named_barrier_count 0
		.amdhsa_reserve_vcc 0
		.amdhsa_float_round_mode_32 0
		.amdhsa_float_round_mode_16_64 0
		.amdhsa_float_denorm_mode_32 3
		.amdhsa_float_denorm_mode_16_64 3
		.amdhsa_fp16_overflow 0
		.amdhsa_memory_ordered 1
		.amdhsa_forward_progress 1
		.amdhsa_inst_pref_size 0
		.amdhsa_round_robin_scheduling 0
		.amdhsa_exception_fp_ieee_invalid_op 0
		.amdhsa_exception_fp_denorm_src 0
		.amdhsa_exception_fp_ieee_div_zero 0
		.amdhsa_exception_fp_ieee_overflow 0
		.amdhsa_exception_fp_ieee_underflow 0
		.amdhsa_exception_fp_ieee_inexact 0
		.amdhsa_exception_int_div_zero 0
	.end_amdhsa_kernel
	.section	.text._ZN7rocprim17ROCPRIM_400000_NS6detail17trampoline_kernelINS0_14default_configENS1_35radix_sort_onesweep_config_selectorIfNS0_10empty_typeEEEZNS1_34radix_sort_onesweep_global_offsetsIS3_Lb0EPKfPS5_mNS0_19identity_decomposerEEE10hipError_tT1_T2_PT3_SF_jT4_jjP12ihipStream_tbEUlT_E_NS1_11comp_targetILNS1_3genE5ELNS1_11target_archE942ELNS1_3gpuE9ELNS1_3repE0EEENS1_52radix_sort_onesweep_histogram_config_static_selectorELNS0_4arch9wavefront6targetE0EEEvSD_,"axG",@progbits,_ZN7rocprim17ROCPRIM_400000_NS6detail17trampoline_kernelINS0_14default_configENS1_35radix_sort_onesweep_config_selectorIfNS0_10empty_typeEEEZNS1_34radix_sort_onesweep_global_offsetsIS3_Lb0EPKfPS5_mNS0_19identity_decomposerEEE10hipError_tT1_T2_PT3_SF_jT4_jjP12ihipStream_tbEUlT_E_NS1_11comp_targetILNS1_3genE5ELNS1_11target_archE942ELNS1_3gpuE9ELNS1_3repE0EEENS1_52radix_sort_onesweep_histogram_config_static_selectorELNS0_4arch9wavefront6targetE0EEEvSD_,comdat
.Lfunc_end1390:
	.size	_ZN7rocprim17ROCPRIM_400000_NS6detail17trampoline_kernelINS0_14default_configENS1_35radix_sort_onesweep_config_selectorIfNS0_10empty_typeEEEZNS1_34radix_sort_onesweep_global_offsetsIS3_Lb0EPKfPS5_mNS0_19identity_decomposerEEE10hipError_tT1_T2_PT3_SF_jT4_jjP12ihipStream_tbEUlT_E_NS1_11comp_targetILNS1_3genE5ELNS1_11target_archE942ELNS1_3gpuE9ELNS1_3repE0EEENS1_52radix_sort_onesweep_histogram_config_static_selectorELNS0_4arch9wavefront6targetE0EEEvSD_, .Lfunc_end1390-_ZN7rocprim17ROCPRIM_400000_NS6detail17trampoline_kernelINS0_14default_configENS1_35radix_sort_onesweep_config_selectorIfNS0_10empty_typeEEEZNS1_34radix_sort_onesweep_global_offsetsIS3_Lb0EPKfPS5_mNS0_19identity_decomposerEEE10hipError_tT1_T2_PT3_SF_jT4_jjP12ihipStream_tbEUlT_E_NS1_11comp_targetILNS1_3genE5ELNS1_11target_archE942ELNS1_3gpuE9ELNS1_3repE0EEENS1_52radix_sort_onesweep_histogram_config_static_selectorELNS0_4arch9wavefront6targetE0EEEvSD_
                                        ; -- End function
	.set _ZN7rocprim17ROCPRIM_400000_NS6detail17trampoline_kernelINS0_14default_configENS1_35radix_sort_onesweep_config_selectorIfNS0_10empty_typeEEEZNS1_34radix_sort_onesweep_global_offsetsIS3_Lb0EPKfPS5_mNS0_19identity_decomposerEEE10hipError_tT1_T2_PT3_SF_jT4_jjP12ihipStream_tbEUlT_E_NS1_11comp_targetILNS1_3genE5ELNS1_11target_archE942ELNS1_3gpuE9ELNS1_3repE0EEENS1_52radix_sort_onesweep_histogram_config_static_selectorELNS0_4arch9wavefront6targetE0EEEvSD_.num_vgpr, 0
	.set _ZN7rocprim17ROCPRIM_400000_NS6detail17trampoline_kernelINS0_14default_configENS1_35radix_sort_onesweep_config_selectorIfNS0_10empty_typeEEEZNS1_34radix_sort_onesweep_global_offsetsIS3_Lb0EPKfPS5_mNS0_19identity_decomposerEEE10hipError_tT1_T2_PT3_SF_jT4_jjP12ihipStream_tbEUlT_E_NS1_11comp_targetILNS1_3genE5ELNS1_11target_archE942ELNS1_3gpuE9ELNS1_3repE0EEENS1_52radix_sort_onesweep_histogram_config_static_selectorELNS0_4arch9wavefront6targetE0EEEvSD_.num_agpr, 0
	.set _ZN7rocprim17ROCPRIM_400000_NS6detail17trampoline_kernelINS0_14default_configENS1_35radix_sort_onesweep_config_selectorIfNS0_10empty_typeEEEZNS1_34radix_sort_onesweep_global_offsetsIS3_Lb0EPKfPS5_mNS0_19identity_decomposerEEE10hipError_tT1_T2_PT3_SF_jT4_jjP12ihipStream_tbEUlT_E_NS1_11comp_targetILNS1_3genE5ELNS1_11target_archE942ELNS1_3gpuE9ELNS1_3repE0EEENS1_52radix_sort_onesweep_histogram_config_static_selectorELNS0_4arch9wavefront6targetE0EEEvSD_.numbered_sgpr, 0
	.set _ZN7rocprim17ROCPRIM_400000_NS6detail17trampoline_kernelINS0_14default_configENS1_35radix_sort_onesweep_config_selectorIfNS0_10empty_typeEEEZNS1_34radix_sort_onesweep_global_offsetsIS3_Lb0EPKfPS5_mNS0_19identity_decomposerEEE10hipError_tT1_T2_PT3_SF_jT4_jjP12ihipStream_tbEUlT_E_NS1_11comp_targetILNS1_3genE5ELNS1_11target_archE942ELNS1_3gpuE9ELNS1_3repE0EEENS1_52radix_sort_onesweep_histogram_config_static_selectorELNS0_4arch9wavefront6targetE0EEEvSD_.num_named_barrier, 0
	.set _ZN7rocprim17ROCPRIM_400000_NS6detail17trampoline_kernelINS0_14default_configENS1_35radix_sort_onesweep_config_selectorIfNS0_10empty_typeEEEZNS1_34radix_sort_onesweep_global_offsetsIS3_Lb0EPKfPS5_mNS0_19identity_decomposerEEE10hipError_tT1_T2_PT3_SF_jT4_jjP12ihipStream_tbEUlT_E_NS1_11comp_targetILNS1_3genE5ELNS1_11target_archE942ELNS1_3gpuE9ELNS1_3repE0EEENS1_52radix_sort_onesweep_histogram_config_static_selectorELNS0_4arch9wavefront6targetE0EEEvSD_.private_seg_size, 0
	.set _ZN7rocprim17ROCPRIM_400000_NS6detail17trampoline_kernelINS0_14default_configENS1_35radix_sort_onesweep_config_selectorIfNS0_10empty_typeEEEZNS1_34radix_sort_onesweep_global_offsetsIS3_Lb0EPKfPS5_mNS0_19identity_decomposerEEE10hipError_tT1_T2_PT3_SF_jT4_jjP12ihipStream_tbEUlT_E_NS1_11comp_targetILNS1_3genE5ELNS1_11target_archE942ELNS1_3gpuE9ELNS1_3repE0EEENS1_52radix_sort_onesweep_histogram_config_static_selectorELNS0_4arch9wavefront6targetE0EEEvSD_.uses_vcc, 0
	.set _ZN7rocprim17ROCPRIM_400000_NS6detail17trampoline_kernelINS0_14default_configENS1_35radix_sort_onesweep_config_selectorIfNS0_10empty_typeEEEZNS1_34radix_sort_onesweep_global_offsetsIS3_Lb0EPKfPS5_mNS0_19identity_decomposerEEE10hipError_tT1_T2_PT3_SF_jT4_jjP12ihipStream_tbEUlT_E_NS1_11comp_targetILNS1_3genE5ELNS1_11target_archE942ELNS1_3gpuE9ELNS1_3repE0EEENS1_52radix_sort_onesweep_histogram_config_static_selectorELNS0_4arch9wavefront6targetE0EEEvSD_.uses_flat_scratch, 0
	.set _ZN7rocprim17ROCPRIM_400000_NS6detail17trampoline_kernelINS0_14default_configENS1_35radix_sort_onesweep_config_selectorIfNS0_10empty_typeEEEZNS1_34radix_sort_onesweep_global_offsetsIS3_Lb0EPKfPS5_mNS0_19identity_decomposerEEE10hipError_tT1_T2_PT3_SF_jT4_jjP12ihipStream_tbEUlT_E_NS1_11comp_targetILNS1_3genE5ELNS1_11target_archE942ELNS1_3gpuE9ELNS1_3repE0EEENS1_52radix_sort_onesweep_histogram_config_static_selectorELNS0_4arch9wavefront6targetE0EEEvSD_.has_dyn_sized_stack, 0
	.set _ZN7rocprim17ROCPRIM_400000_NS6detail17trampoline_kernelINS0_14default_configENS1_35radix_sort_onesweep_config_selectorIfNS0_10empty_typeEEEZNS1_34radix_sort_onesweep_global_offsetsIS3_Lb0EPKfPS5_mNS0_19identity_decomposerEEE10hipError_tT1_T2_PT3_SF_jT4_jjP12ihipStream_tbEUlT_E_NS1_11comp_targetILNS1_3genE5ELNS1_11target_archE942ELNS1_3gpuE9ELNS1_3repE0EEENS1_52radix_sort_onesweep_histogram_config_static_selectorELNS0_4arch9wavefront6targetE0EEEvSD_.has_recursion, 0
	.set _ZN7rocprim17ROCPRIM_400000_NS6detail17trampoline_kernelINS0_14default_configENS1_35radix_sort_onesweep_config_selectorIfNS0_10empty_typeEEEZNS1_34radix_sort_onesweep_global_offsetsIS3_Lb0EPKfPS5_mNS0_19identity_decomposerEEE10hipError_tT1_T2_PT3_SF_jT4_jjP12ihipStream_tbEUlT_E_NS1_11comp_targetILNS1_3genE5ELNS1_11target_archE942ELNS1_3gpuE9ELNS1_3repE0EEENS1_52radix_sort_onesweep_histogram_config_static_selectorELNS0_4arch9wavefront6targetE0EEEvSD_.has_indirect_call, 0
	.section	.AMDGPU.csdata,"",@progbits
; Kernel info:
; codeLenInByte = 0
; TotalNumSgprs: 0
; NumVgprs: 0
; ScratchSize: 0
; MemoryBound: 0
; FloatMode: 240
; IeeeMode: 1
; LDSByteSize: 0 bytes/workgroup (compile time only)
; SGPRBlocks: 0
; VGPRBlocks: 0
; NumSGPRsForWavesPerEU: 1
; NumVGPRsForWavesPerEU: 1
; NamedBarCnt: 0
; Occupancy: 16
; WaveLimiterHint : 0
; COMPUTE_PGM_RSRC2:SCRATCH_EN: 0
; COMPUTE_PGM_RSRC2:USER_SGPR: 2
; COMPUTE_PGM_RSRC2:TRAP_HANDLER: 0
; COMPUTE_PGM_RSRC2:TGID_X_EN: 1
; COMPUTE_PGM_RSRC2:TGID_Y_EN: 0
; COMPUTE_PGM_RSRC2:TGID_Z_EN: 0
; COMPUTE_PGM_RSRC2:TIDIG_COMP_CNT: 0
	.section	.text._ZN7rocprim17ROCPRIM_400000_NS6detail17trampoline_kernelINS0_14default_configENS1_35radix_sort_onesweep_config_selectorIfNS0_10empty_typeEEEZNS1_34radix_sort_onesweep_global_offsetsIS3_Lb0EPKfPS5_mNS0_19identity_decomposerEEE10hipError_tT1_T2_PT3_SF_jT4_jjP12ihipStream_tbEUlT_E_NS1_11comp_targetILNS1_3genE2ELNS1_11target_archE906ELNS1_3gpuE6ELNS1_3repE0EEENS1_52radix_sort_onesweep_histogram_config_static_selectorELNS0_4arch9wavefront6targetE0EEEvSD_,"axG",@progbits,_ZN7rocprim17ROCPRIM_400000_NS6detail17trampoline_kernelINS0_14default_configENS1_35radix_sort_onesweep_config_selectorIfNS0_10empty_typeEEEZNS1_34radix_sort_onesweep_global_offsetsIS3_Lb0EPKfPS5_mNS0_19identity_decomposerEEE10hipError_tT1_T2_PT3_SF_jT4_jjP12ihipStream_tbEUlT_E_NS1_11comp_targetILNS1_3genE2ELNS1_11target_archE906ELNS1_3gpuE6ELNS1_3repE0EEENS1_52radix_sort_onesweep_histogram_config_static_selectorELNS0_4arch9wavefront6targetE0EEEvSD_,comdat
	.protected	_ZN7rocprim17ROCPRIM_400000_NS6detail17trampoline_kernelINS0_14default_configENS1_35radix_sort_onesweep_config_selectorIfNS0_10empty_typeEEEZNS1_34radix_sort_onesweep_global_offsetsIS3_Lb0EPKfPS5_mNS0_19identity_decomposerEEE10hipError_tT1_T2_PT3_SF_jT4_jjP12ihipStream_tbEUlT_E_NS1_11comp_targetILNS1_3genE2ELNS1_11target_archE906ELNS1_3gpuE6ELNS1_3repE0EEENS1_52radix_sort_onesweep_histogram_config_static_selectorELNS0_4arch9wavefront6targetE0EEEvSD_ ; -- Begin function _ZN7rocprim17ROCPRIM_400000_NS6detail17trampoline_kernelINS0_14default_configENS1_35radix_sort_onesweep_config_selectorIfNS0_10empty_typeEEEZNS1_34radix_sort_onesweep_global_offsetsIS3_Lb0EPKfPS5_mNS0_19identity_decomposerEEE10hipError_tT1_T2_PT3_SF_jT4_jjP12ihipStream_tbEUlT_E_NS1_11comp_targetILNS1_3genE2ELNS1_11target_archE906ELNS1_3gpuE6ELNS1_3repE0EEENS1_52radix_sort_onesweep_histogram_config_static_selectorELNS0_4arch9wavefront6targetE0EEEvSD_
	.globl	_ZN7rocprim17ROCPRIM_400000_NS6detail17trampoline_kernelINS0_14default_configENS1_35radix_sort_onesweep_config_selectorIfNS0_10empty_typeEEEZNS1_34radix_sort_onesweep_global_offsetsIS3_Lb0EPKfPS5_mNS0_19identity_decomposerEEE10hipError_tT1_T2_PT3_SF_jT4_jjP12ihipStream_tbEUlT_E_NS1_11comp_targetILNS1_3genE2ELNS1_11target_archE906ELNS1_3gpuE6ELNS1_3repE0EEENS1_52radix_sort_onesweep_histogram_config_static_selectorELNS0_4arch9wavefront6targetE0EEEvSD_
	.p2align	8
	.type	_ZN7rocprim17ROCPRIM_400000_NS6detail17trampoline_kernelINS0_14default_configENS1_35radix_sort_onesweep_config_selectorIfNS0_10empty_typeEEEZNS1_34radix_sort_onesweep_global_offsetsIS3_Lb0EPKfPS5_mNS0_19identity_decomposerEEE10hipError_tT1_T2_PT3_SF_jT4_jjP12ihipStream_tbEUlT_E_NS1_11comp_targetILNS1_3genE2ELNS1_11target_archE906ELNS1_3gpuE6ELNS1_3repE0EEENS1_52radix_sort_onesweep_histogram_config_static_selectorELNS0_4arch9wavefront6targetE0EEEvSD_,@function
_ZN7rocprim17ROCPRIM_400000_NS6detail17trampoline_kernelINS0_14default_configENS1_35radix_sort_onesweep_config_selectorIfNS0_10empty_typeEEEZNS1_34radix_sort_onesweep_global_offsetsIS3_Lb0EPKfPS5_mNS0_19identity_decomposerEEE10hipError_tT1_T2_PT3_SF_jT4_jjP12ihipStream_tbEUlT_E_NS1_11comp_targetILNS1_3genE2ELNS1_11target_archE906ELNS1_3gpuE6ELNS1_3repE0EEENS1_52radix_sort_onesweep_histogram_config_static_selectorELNS0_4arch9wavefront6targetE0EEEvSD_: ; @_ZN7rocprim17ROCPRIM_400000_NS6detail17trampoline_kernelINS0_14default_configENS1_35radix_sort_onesweep_config_selectorIfNS0_10empty_typeEEEZNS1_34radix_sort_onesweep_global_offsetsIS3_Lb0EPKfPS5_mNS0_19identity_decomposerEEE10hipError_tT1_T2_PT3_SF_jT4_jjP12ihipStream_tbEUlT_E_NS1_11comp_targetILNS1_3genE2ELNS1_11target_archE906ELNS1_3gpuE6ELNS1_3repE0EEENS1_52radix_sort_onesweep_histogram_config_static_selectorELNS0_4arch9wavefront6targetE0EEEvSD_
; %bb.0:
	.section	.rodata,"a",@progbits
	.p2align	6, 0x0
	.amdhsa_kernel _ZN7rocprim17ROCPRIM_400000_NS6detail17trampoline_kernelINS0_14default_configENS1_35radix_sort_onesweep_config_selectorIfNS0_10empty_typeEEEZNS1_34radix_sort_onesweep_global_offsetsIS3_Lb0EPKfPS5_mNS0_19identity_decomposerEEE10hipError_tT1_T2_PT3_SF_jT4_jjP12ihipStream_tbEUlT_E_NS1_11comp_targetILNS1_3genE2ELNS1_11target_archE906ELNS1_3gpuE6ELNS1_3repE0EEENS1_52radix_sort_onesweep_histogram_config_static_selectorELNS0_4arch9wavefront6targetE0EEEvSD_
		.amdhsa_group_segment_fixed_size 0
		.amdhsa_private_segment_fixed_size 0
		.amdhsa_kernarg_size 48
		.amdhsa_user_sgpr_count 2
		.amdhsa_user_sgpr_dispatch_ptr 0
		.amdhsa_user_sgpr_queue_ptr 0
		.amdhsa_user_sgpr_kernarg_segment_ptr 1
		.amdhsa_user_sgpr_dispatch_id 0
		.amdhsa_user_sgpr_kernarg_preload_length 0
		.amdhsa_user_sgpr_kernarg_preload_offset 0
		.amdhsa_user_sgpr_private_segment_size 0
		.amdhsa_wavefront_size32 1
		.amdhsa_uses_dynamic_stack 0
		.amdhsa_enable_private_segment 0
		.amdhsa_system_sgpr_workgroup_id_x 1
		.amdhsa_system_sgpr_workgroup_id_y 0
		.amdhsa_system_sgpr_workgroup_id_z 0
		.amdhsa_system_sgpr_workgroup_info 0
		.amdhsa_system_vgpr_workitem_id 0
		.amdhsa_next_free_vgpr 1
		.amdhsa_next_free_sgpr 1
		.amdhsa_named_barrier_count 0
		.amdhsa_reserve_vcc 0
		.amdhsa_float_round_mode_32 0
		.amdhsa_float_round_mode_16_64 0
		.amdhsa_float_denorm_mode_32 3
		.amdhsa_float_denorm_mode_16_64 3
		.amdhsa_fp16_overflow 0
		.amdhsa_memory_ordered 1
		.amdhsa_forward_progress 1
		.amdhsa_inst_pref_size 0
		.amdhsa_round_robin_scheduling 0
		.amdhsa_exception_fp_ieee_invalid_op 0
		.amdhsa_exception_fp_denorm_src 0
		.amdhsa_exception_fp_ieee_div_zero 0
		.amdhsa_exception_fp_ieee_overflow 0
		.amdhsa_exception_fp_ieee_underflow 0
		.amdhsa_exception_fp_ieee_inexact 0
		.amdhsa_exception_int_div_zero 0
	.end_amdhsa_kernel
	.section	.text._ZN7rocprim17ROCPRIM_400000_NS6detail17trampoline_kernelINS0_14default_configENS1_35radix_sort_onesweep_config_selectorIfNS0_10empty_typeEEEZNS1_34radix_sort_onesweep_global_offsetsIS3_Lb0EPKfPS5_mNS0_19identity_decomposerEEE10hipError_tT1_T2_PT3_SF_jT4_jjP12ihipStream_tbEUlT_E_NS1_11comp_targetILNS1_3genE2ELNS1_11target_archE906ELNS1_3gpuE6ELNS1_3repE0EEENS1_52radix_sort_onesweep_histogram_config_static_selectorELNS0_4arch9wavefront6targetE0EEEvSD_,"axG",@progbits,_ZN7rocprim17ROCPRIM_400000_NS6detail17trampoline_kernelINS0_14default_configENS1_35radix_sort_onesweep_config_selectorIfNS0_10empty_typeEEEZNS1_34radix_sort_onesweep_global_offsetsIS3_Lb0EPKfPS5_mNS0_19identity_decomposerEEE10hipError_tT1_T2_PT3_SF_jT4_jjP12ihipStream_tbEUlT_E_NS1_11comp_targetILNS1_3genE2ELNS1_11target_archE906ELNS1_3gpuE6ELNS1_3repE0EEENS1_52radix_sort_onesweep_histogram_config_static_selectorELNS0_4arch9wavefront6targetE0EEEvSD_,comdat
.Lfunc_end1391:
	.size	_ZN7rocprim17ROCPRIM_400000_NS6detail17trampoline_kernelINS0_14default_configENS1_35radix_sort_onesweep_config_selectorIfNS0_10empty_typeEEEZNS1_34radix_sort_onesweep_global_offsetsIS3_Lb0EPKfPS5_mNS0_19identity_decomposerEEE10hipError_tT1_T2_PT3_SF_jT4_jjP12ihipStream_tbEUlT_E_NS1_11comp_targetILNS1_3genE2ELNS1_11target_archE906ELNS1_3gpuE6ELNS1_3repE0EEENS1_52radix_sort_onesweep_histogram_config_static_selectorELNS0_4arch9wavefront6targetE0EEEvSD_, .Lfunc_end1391-_ZN7rocprim17ROCPRIM_400000_NS6detail17trampoline_kernelINS0_14default_configENS1_35radix_sort_onesweep_config_selectorIfNS0_10empty_typeEEEZNS1_34radix_sort_onesweep_global_offsetsIS3_Lb0EPKfPS5_mNS0_19identity_decomposerEEE10hipError_tT1_T2_PT3_SF_jT4_jjP12ihipStream_tbEUlT_E_NS1_11comp_targetILNS1_3genE2ELNS1_11target_archE906ELNS1_3gpuE6ELNS1_3repE0EEENS1_52radix_sort_onesweep_histogram_config_static_selectorELNS0_4arch9wavefront6targetE0EEEvSD_
                                        ; -- End function
	.set _ZN7rocprim17ROCPRIM_400000_NS6detail17trampoline_kernelINS0_14default_configENS1_35radix_sort_onesweep_config_selectorIfNS0_10empty_typeEEEZNS1_34radix_sort_onesweep_global_offsetsIS3_Lb0EPKfPS5_mNS0_19identity_decomposerEEE10hipError_tT1_T2_PT3_SF_jT4_jjP12ihipStream_tbEUlT_E_NS1_11comp_targetILNS1_3genE2ELNS1_11target_archE906ELNS1_3gpuE6ELNS1_3repE0EEENS1_52radix_sort_onesweep_histogram_config_static_selectorELNS0_4arch9wavefront6targetE0EEEvSD_.num_vgpr, 0
	.set _ZN7rocprim17ROCPRIM_400000_NS6detail17trampoline_kernelINS0_14default_configENS1_35radix_sort_onesweep_config_selectorIfNS0_10empty_typeEEEZNS1_34radix_sort_onesweep_global_offsetsIS3_Lb0EPKfPS5_mNS0_19identity_decomposerEEE10hipError_tT1_T2_PT3_SF_jT4_jjP12ihipStream_tbEUlT_E_NS1_11comp_targetILNS1_3genE2ELNS1_11target_archE906ELNS1_3gpuE6ELNS1_3repE0EEENS1_52radix_sort_onesweep_histogram_config_static_selectorELNS0_4arch9wavefront6targetE0EEEvSD_.num_agpr, 0
	.set _ZN7rocprim17ROCPRIM_400000_NS6detail17trampoline_kernelINS0_14default_configENS1_35radix_sort_onesweep_config_selectorIfNS0_10empty_typeEEEZNS1_34radix_sort_onesweep_global_offsetsIS3_Lb0EPKfPS5_mNS0_19identity_decomposerEEE10hipError_tT1_T2_PT3_SF_jT4_jjP12ihipStream_tbEUlT_E_NS1_11comp_targetILNS1_3genE2ELNS1_11target_archE906ELNS1_3gpuE6ELNS1_3repE0EEENS1_52radix_sort_onesweep_histogram_config_static_selectorELNS0_4arch9wavefront6targetE0EEEvSD_.numbered_sgpr, 0
	.set _ZN7rocprim17ROCPRIM_400000_NS6detail17trampoline_kernelINS0_14default_configENS1_35radix_sort_onesweep_config_selectorIfNS0_10empty_typeEEEZNS1_34radix_sort_onesweep_global_offsetsIS3_Lb0EPKfPS5_mNS0_19identity_decomposerEEE10hipError_tT1_T2_PT3_SF_jT4_jjP12ihipStream_tbEUlT_E_NS1_11comp_targetILNS1_3genE2ELNS1_11target_archE906ELNS1_3gpuE6ELNS1_3repE0EEENS1_52radix_sort_onesweep_histogram_config_static_selectorELNS0_4arch9wavefront6targetE0EEEvSD_.num_named_barrier, 0
	.set _ZN7rocprim17ROCPRIM_400000_NS6detail17trampoline_kernelINS0_14default_configENS1_35radix_sort_onesweep_config_selectorIfNS0_10empty_typeEEEZNS1_34radix_sort_onesweep_global_offsetsIS3_Lb0EPKfPS5_mNS0_19identity_decomposerEEE10hipError_tT1_T2_PT3_SF_jT4_jjP12ihipStream_tbEUlT_E_NS1_11comp_targetILNS1_3genE2ELNS1_11target_archE906ELNS1_3gpuE6ELNS1_3repE0EEENS1_52radix_sort_onesweep_histogram_config_static_selectorELNS0_4arch9wavefront6targetE0EEEvSD_.private_seg_size, 0
	.set _ZN7rocprim17ROCPRIM_400000_NS6detail17trampoline_kernelINS0_14default_configENS1_35radix_sort_onesweep_config_selectorIfNS0_10empty_typeEEEZNS1_34radix_sort_onesweep_global_offsetsIS3_Lb0EPKfPS5_mNS0_19identity_decomposerEEE10hipError_tT1_T2_PT3_SF_jT4_jjP12ihipStream_tbEUlT_E_NS1_11comp_targetILNS1_3genE2ELNS1_11target_archE906ELNS1_3gpuE6ELNS1_3repE0EEENS1_52radix_sort_onesweep_histogram_config_static_selectorELNS0_4arch9wavefront6targetE0EEEvSD_.uses_vcc, 0
	.set _ZN7rocprim17ROCPRIM_400000_NS6detail17trampoline_kernelINS0_14default_configENS1_35radix_sort_onesweep_config_selectorIfNS0_10empty_typeEEEZNS1_34radix_sort_onesweep_global_offsetsIS3_Lb0EPKfPS5_mNS0_19identity_decomposerEEE10hipError_tT1_T2_PT3_SF_jT4_jjP12ihipStream_tbEUlT_E_NS1_11comp_targetILNS1_3genE2ELNS1_11target_archE906ELNS1_3gpuE6ELNS1_3repE0EEENS1_52radix_sort_onesweep_histogram_config_static_selectorELNS0_4arch9wavefront6targetE0EEEvSD_.uses_flat_scratch, 0
	.set _ZN7rocprim17ROCPRIM_400000_NS6detail17trampoline_kernelINS0_14default_configENS1_35radix_sort_onesweep_config_selectorIfNS0_10empty_typeEEEZNS1_34radix_sort_onesweep_global_offsetsIS3_Lb0EPKfPS5_mNS0_19identity_decomposerEEE10hipError_tT1_T2_PT3_SF_jT4_jjP12ihipStream_tbEUlT_E_NS1_11comp_targetILNS1_3genE2ELNS1_11target_archE906ELNS1_3gpuE6ELNS1_3repE0EEENS1_52radix_sort_onesweep_histogram_config_static_selectorELNS0_4arch9wavefront6targetE0EEEvSD_.has_dyn_sized_stack, 0
	.set _ZN7rocprim17ROCPRIM_400000_NS6detail17trampoline_kernelINS0_14default_configENS1_35radix_sort_onesweep_config_selectorIfNS0_10empty_typeEEEZNS1_34radix_sort_onesweep_global_offsetsIS3_Lb0EPKfPS5_mNS0_19identity_decomposerEEE10hipError_tT1_T2_PT3_SF_jT4_jjP12ihipStream_tbEUlT_E_NS1_11comp_targetILNS1_3genE2ELNS1_11target_archE906ELNS1_3gpuE6ELNS1_3repE0EEENS1_52radix_sort_onesweep_histogram_config_static_selectorELNS0_4arch9wavefront6targetE0EEEvSD_.has_recursion, 0
	.set _ZN7rocprim17ROCPRIM_400000_NS6detail17trampoline_kernelINS0_14default_configENS1_35radix_sort_onesweep_config_selectorIfNS0_10empty_typeEEEZNS1_34radix_sort_onesweep_global_offsetsIS3_Lb0EPKfPS5_mNS0_19identity_decomposerEEE10hipError_tT1_T2_PT3_SF_jT4_jjP12ihipStream_tbEUlT_E_NS1_11comp_targetILNS1_3genE2ELNS1_11target_archE906ELNS1_3gpuE6ELNS1_3repE0EEENS1_52radix_sort_onesweep_histogram_config_static_selectorELNS0_4arch9wavefront6targetE0EEEvSD_.has_indirect_call, 0
	.section	.AMDGPU.csdata,"",@progbits
; Kernel info:
; codeLenInByte = 0
; TotalNumSgprs: 0
; NumVgprs: 0
; ScratchSize: 0
; MemoryBound: 0
; FloatMode: 240
; IeeeMode: 1
; LDSByteSize: 0 bytes/workgroup (compile time only)
; SGPRBlocks: 0
; VGPRBlocks: 0
; NumSGPRsForWavesPerEU: 1
; NumVGPRsForWavesPerEU: 1
; NamedBarCnt: 0
; Occupancy: 16
; WaveLimiterHint : 0
; COMPUTE_PGM_RSRC2:SCRATCH_EN: 0
; COMPUTE_PGM_RSRC2:USER_SGPR: 2
; COMPUTE_PGM_RSRC2:TRAP_HANDLER: 0
; COMPUTE_PGM_RSRC2:TGID_X_EN: 1
; COMPUTE_PGM_RSRC2:TGID_Y_EN: 0
; COMPUTE_PGM_RSRC2:TGID_Z_EN: 0
; COMPUTE_PGM_RSRC2:TIDIG_COMP_CNT: 0
	.section	.text._ZN7rocprim17ROCPRIM_400000_NS6detail17trampoline_kernelINS0_14default_configENS1_35radix_sort_onesweep_config_selectorIfNS0_10empty_typeEEEZNS1_34radix_sort_onesweep_global_offsetsIS3_Lb0EPKfPS5_mNS0_19identity_decomposerEEE10hipError_tT1_T2_PT3_SF_jT4_jjP12ihipStream_tbEUlT_E_NS1_11comp_targetILNS1_3genE4ELNS1_11target_archE910ELNS1_3gpuE8ELNS1_3repE0EEENS1_52radix_sort_onesweep_histogram_config_static_selectorELNS0_4arch9wavefront6targetE0EEEvSD_,"axG",@progbits,_ZN7rocprim17ROCPRIM_400000_NS6detail17trampoline_kernelINS0_14default_configENS1_35radix_sort_onesweep_config_selectorIfNS0_10empty_typeEEEZNS1_34radix_sort_onesweep_global_offsetsIS3_Lb0EPKfPS5_mNS0_19identity_decomposerEEE10hipError_tT1_T2_PT3_SF_jT4_jjP12ihipStream_tbEUlT_E_NS1_11comp_targetILNS1_3genE4ELNS1_11target_archE910ELNS1_3gpuE8ELNS1_3repE0EEENS1_52radix_sort_onesweep_histogram_config_static_selectorELNS0_4arch9wavefront6targetE0EEEvSD_,comdat
	.protected	_ZN7rocprim17ROCPRIM_400000_NS6detail17trampoline_kernelINS0_14default_configENS1_35radix_sort_onesweep_config_selectorIfNS0_10empty_typeEEEZNS1_34radix_sort_onesweep_global_offsetsIS3_Lb0EPKfPS5_mNS0_19identity_decomposerEEE10hipError_tT1_T2_PT3_SF_jT4_jjP12ihipStream_tbEUlT_E_NS1_11comp_targetILNS1_3genE4ELNS1_11target_archE910ELNS1_3gpuE8ELNS1_3repE0EEENS1_52radix_sort_onesweep_histogram_config_static_selectorELNS0_4arch9wavefront6targetE0EEEvSD_ ; -- Begin function _ZN7rocprim17ROCPRIM_400000_NS6detail17trampoline_kernelINS0_14default_configENS1_35radix_sort_onesweep_config_selectorIfNS0_10empty_typeEEEZNS1_34radix_sort_onesweep_global_offsetsIS3_Lb0EPKfPS5_mNS0_19identity_decomposerEEE10hipError_tT1_T2_PT3_SF_jT4_jjP12ihipStream_tbEUlT_E_NS1_11comp_targetILNS1_3genE4ELNS1_11target_archE910ELNS1_3gpuE8ELNS1_3repE0EEENS1_52radix_sort_onesweep_histogram_config_static_selectorELNS0_4arch9wavefront6targetE0EEEvSD_
	.globl	_ZN7rocprim17ROCPRIM_400000_NS6detail17trampoline_kernelINS0_14default_configENS1_35radix_sort_onesweep_config_selectorIfNS0_10empty_typeEEEZNS1_34radix_sort_onesweep_global_offsetsIS3_Lb0EPKfPS5_mNS0_19identity_decomposerEEE10hipError_tT1_T2_PT3_SF_jT4_jjP12ihipStream_tbEUlT_E_NS1_11comp_targetILNS1_3genE4ELNS1_11target_archE910ELNS1_3gpuE8ELNS1_3repE0EEENS1_52radix_sort_onesweep_histogram_config_static_selectorELNS0_4arch9wavefront6targetE0EEEvSD_
	.p2align	8
	.type	_ZN7rocprim17ROCPRIM_400000_NS6detail17trampoline_kernelINS0_14default_configENS1_35radix_sort_onesweep_config_selectorIfNS0_10empty_typeEEEZNS1_34radix_sort_onesweep_global_offsetsIS3_Lb0EPKfPS5_mNS0_19identity_decomposerEEE10hipError_tT1_T2_PT3_SF_jT4_jjP12ihipStream_tbEUlT_E_NS1_11comp_targetILNS1_3genE4ELNS1_11target_archE910ELNS1_3gpuE8ELNS1_3repE0EEENS1_52radix_sort_onesweep_histogram_config_static_selectorELNS0_4arch9wavefront6targetE0EEEvSD_,@function
_ZN7rocprim17ROCPRIM_400000_NS6detail17trampoline_kernelINS0_14default_configENS1_35radix_sort_onesweep_config_selectorIfNS0_10empty_typeEEEZNS1_34radix_sort_onesweep_global_offsetsIS3_Lb0EPKfPS5_mNS0_19identity_decomposerEEE10hipError_tT1_T2_PT3_SF_jT4_jjP12ihipStream_tbEUlT_E_NS1_11comp_targetILNS1_3genE4ELNS1_11target_archE910ELNS1_3gpuE8ELNS1_3repE0EEENS1_52radix_sort_onesweep_histogram_config_static_selectorELNS0_4arch9wavefront6targetE0EEEvSD_: ; @_ZN7rocprim17ROCPRIM_400000_NS6detail17trampoline_kernelINS0_14default_configENS1_35radix_sort_onesweep_config_selectorIfNS0_10empty_typeEEEZNS1_34radix_sort_onesweep_global_offsetsIS3_Lb0EPKfPS5_mNS0_19identity_decomposerEEE10hipError_tT1_T2_PT3_SF_jT4_jjP12ihipStream_tbEUlT_E_NS1_11comp_targetILNS1_3genE4ELNS1_11target_archE910ELNS1_3gpuE8ELNS1_3repE0EEENS1_52radix_sort_onesweep_histogram_config_static_selectorELNS0_4arch9wavefront6targetE0EEEvSD_
; %bb.0:
	.section	.rodata,"a",@progbits
	.p2align	6, 0x0
	.amdhsa_kernel _ZN7rocprim17ROCPRIM_400000_NS6detail17trampoline_kernelINS0_14default_configENS1_35radix_sort_onesweep_config_selectorIfNS0_10empty_typeEEEZNS1_34radix_sort_onesweep_global_offsetsIS3_Lb0EPKfPS5_mNS0_19identity_decomposerEEE10hipError_tT1_T2_PT3_SF_jT4_jjP12ihipStream_tbEUlT_E_NS1_11comp_targetILNS1_3genE4ELNS1_11target_archE910ELNS1_3gpuE8ELNS1_3repE0EEENS1_52radix_sort_onesweep_histogram_config_static_selectorELNS0_4arch9wavefront6targetE0EEEvSD_
		.amdhsa_group_segment_fixed_size 0
		.amdhsa_private_segment_fixed_size 0
		.amdhsa_kernarg_size 48
		.amdhsa_user_sgpr_count 2
		.amdhsa_user_sgpr_dispatch_ptr 0
		.amdhsa_user_sgpr_queue_ptr 0
		.amdhsa_user_sgpr_kernarg_segment_ptr 1
		.amdhsa_user_sgpr_dispatch_id 0
		.amdhsa_user_sgpr_kernarg_preload_length 0
		.amdhsa_user_sgpr_kernarg_preload_offset 0
		.amdhsa_user_sgpr_private_segment_size 0
		.amdhsa_wavefront_size32 1
		.amdhsa_uses_dynamic_stack 0
		.amdhsa_enable_private_segment 0
		.amdhsa_system_sgpr_workgroup_id_x 1
		.amdhsa_system_sgpr_workgroup_id_y 0
		.amdhsa_system_sgpr_workgroup_id_z 0
		.amdhsa_system_sgpr_workgroup_info 0
		.amdhsa_system_vgpr_workitem_id 0
		.amdhsa_next_free_vgpr 1
		.amdhsa_next_free_sgpr 1
		.amdhsa_named_barrier_count 0
		.amdhsa_reserve_vcc 0
		.amdhsa_float_round_mode_32 0
		.amdhsa_float_round_mode_16_64 0
		.amdhsa_float_denorm_mode_32 3
		.amdhsa_float_denorm_mode_16_64 3
		.amdhsa_fp16_overflow 0
		.amdhsa_memory_ordered 1
		.amdhsa_forward_progress 1
		.amdhsa_inst_pref_size 0
		.amdhsa_round_robin_scheduling 0
		.amdhsa_exception_fp_ieee_invalid_op 0
		.amdhsa_exception_fp_denorm_src 0
		.amdhsa_exception_fp_ieee_div_zero 0
		.amdhsa_exception_fp_ieee_overflow 0
		.amdhsa_exception_fp_ieee_underflow 0
		.amdhsa_exception_fp_ieee_inexact 0
		.amdhsa_exception_int_div_zero 0
	.end_amdhsa_kernel
	.section	.text._ZN7rocprim17ROCPRIM_400000_NS6detail17trampoline_kernelINS0_14default_configENS1_35radix_sort_onesweep_config_selectorIfNS0_10empty_typeEEEZNS1_34radix_sort_onesweep_global_offsetsIS3_Lb0EPKfPS5_mNS0_19identity_decomposerEEE10hipError_tT1_T2_PT3_SF_jT4_jjP12ihipStream_tbEUlT_E_NS1_11comp_targetILNS1_3genE4ELNS1_11target_archE910ELNS1_3gpuE8ELNS1_3repE0EEENS1_52radix_sort_onesweep_histogram_config_static_selectorELNS0_4arch9wavefront6targetE0EEEvSD_,"axG",@progbits,_ZN7rocprim17ROCPRIM_400000_NS6detail17trampoline_kernelINS0_14default_configENS1_35radix_sort_onesweep_config_selectorIfNS0_10empty_typeEEEZNS1_34radix_sort_onesweep_global_offsetsIS3_Lb0EPKfPS5_mNS0_19identity_decomposerEEE10hipError_tT1_T2_PT3_SF_jT4_jjP12ihipStream_tbEUlT_E_NS1_11comp_targetILNS1_3genE4ELNS1_11target_archE910ELNS1_3gpuE8ELNS1_3repE0EEENS1_52radix_sort_onesweep_histogram_config_static_selectorELNS0_4arch9wavefront6targetE0EEEvSD_,comdat
.Lfunc_end1392:
	.size	_ZN7rocprim17ROCPRIM_400000_NS6detail17trampoline_kernelINS0_14default_configENS1_35radix_sort_onesweep_config_selectorIfNS0_10empty_typeEEEZNS1_34radix_sort_onesweep_global_offsetsIS3_Lb0EPKfPS5_mNS0_19identity_decomposerEEE10hipError_tT1_T2_PT3_SF_jT4_jjP12ihipStream_tbEUlT_E_NS1_11comp_targetILNS1_3genE4ELNS1_11target_archE910ELNS1_3gpuE8ELNS1_3repE0EEENS1_52radix_sort_onesweep_histogram_config_static_selectorELNS0_4arch9wavefront6targetE0EEEvSD_, .Lfunc_end1392-_ZN7rocprim17ROCPRIM_400000_NS6detail17trampoline_kernelINS0_14default_configENS1_35radix_sort_onesweep_config_selectorIfNS0_10empty_typeEEEZNS1_34radix_sort_onesweep_global_offsetsIS3_Lb0EPKfPS5_mNS0_19identity_decomposerEEE10hipError_tT1_T2_PT3_SF_jT4_jjP12ihipStream_tbEUlT_E_NS1_11comp_targetILNS1_3genE4ELNS1_11target_archE910ELNS1_3gpuE8ELNS1_3repE0EEENS1_52radix_sort_onesweep_histogram_config_static_selectorELNS0_4arch9wavefront6targetE0EEEvSD_
                                        ; -- End function
	.set _ZN7rocprim17ROCPRIM_400000_NS6detail17trampoline_kernelINS0_14default_configENS1_35radix_sort_onesweep_config_selectorIfNS0_10empty_typeEEEZNS1_34radix_sort_onesweep_global_offsetsIS3_Lb0EPKfPS5_mNS0_19identity_decomposerEEE10hipError_tT1_T2_PT3_SF_jT4_jjP12ihipStream_tbEUlT_E_NS1_11comp_targetILNS1_3genE4ELNS1_11target_archE910ELNS1_3gpuE8ELNS1_3repE0EEENS1_52radix_sort_onesweep_histogram_config_static_selectorELNS0_4arch9wavefront6targetE0EEEvSD_.num_vgpr, 0
	.set _ZN7rocprim17ROCPRIM_400000_NS6detail17trampoline_kernelINS0_14default_configENS1_35radix_sort_onesweep_config_selectorIfNS0_10empty_typeEEEZNS1_34radix_sort_onesweep_global_offsetsIS3_Lb0EPKfPS5_mNS0_19identity_decomposerEEE10hipError_tT1_T2_PT3_SF_jT4_jjP12ihipStream_tbEUlT_E_NS1_11comp_targetILNS1_3genE4ELNS1_11target_archE910ELNS1_3gpuE8ELNS1_3repE0EEENS1_52radix_sort_onesweep_histogram_config_static_selectorELNS0_4arch9wavefront6targetE0EEEvSD_.num_agpr, 0
	.set _ZN7rocprim17ROCPRIM_400000_NS6detail17trampoline_kernelINS0_14default_configENS1_35radix_sort_onesweep_config_selectorIfNS0_10empty_typeEEEZNS1_34radix_sort_onesweep_global_offsetsIS3_Lb0EPKfPS5_mNS0_19identity_decomposerEEE10hipError_tT1_T2_PT3_SF_jT4_jjP12ihipStream_tbEUlT_E_NS1_11comp_targetILNS1_3genE4ELNS1_11target_archE910ELNS1_3gpuE8ELNS1_3repE0EEENS1_52radix_sort_onesweep_histogram_config_static_selectorELNS0_4arch9wavefront6targetE0EEEvSD_.numbered_sgpr, 0
	.set _ZN7rocprim17ROCPRIM_400000_NS6detail17trampoline_kernelINS0_14default_configENS1_35radix_sort_onesweep_config_selectorIfNS0_10empty_typeEEEZNS1_34radix_sort_onesweep_global_offsetsIS3_Lb0EPKfPS5_mNS0_19identity_decomposerEEE10hipError_tT1_T2_PT3_SF_jT4_jjP12ihipStream_tbEUlT_E_NS1_11comp_targetILNS1_3genE4ELNS1_11target_archE910ELNS1_3gpuE8ELNS1_3repE0EEENS1_52radix_sort_onesweep_histogram_config_static_selectorELNS0_4arch9wavefront6targetE0EEEvSD_.num_named_barrier, 0
	.set _ZN7rocprim17ROCPRIM_400000_NS6detail17trampoline_kernelINS0_14default_configENS1_35radix_sort_onesweep_config_selectorIfNS0_10empty_typeEEEZNS1_34radix_sort_onesweep_global_offsetsIS3_Lb0EPKfPS5_mNS0_19identity_decomposerEEE10hipError_tT1_T2_PT3_SF_jT4_jjP12ihipStream_tbEUlT_E_NS1_11comp_targetILNS1_3genE4ELNS1_11target_archE910ELNS1_3gpuE8ELNS1_3repE0EEENS1_52radix_sort_onesweep_histogram_config_static_selectorELNS0_4arch9wavefront6targetE0EEEvSD_.private_seg_size, 0
	.set _ZN7rocprim17ROCPRIM_400000_NS6detail17trampoline_kernelINS0_14default_configENS1_35radix_sort_onesweep_config_selectorIfNS0_10empty_typeEEEZNS1_34radix_sort_onesweep_global_offsetsIS3_Lb0EPKfPS5_mNS0_19identity_decomposerEEE10hipError_tT1_T2_PT3_SF_jT4_jjP12ihipStream_tbEUlT_E_NS1_11comp_targetILNS1_3genE4ELNS1_11target_archE910ELNS1_3gpuE8ELNS1_3repE0EEENS1_52radix_sort_onesweep_histogram_config_static_selectorELNS0_4arch9wavefront6targetE0EEEvSD_.uses_vcc, 0
	.set _ZN7rocprim17ROCPRIM_400000_NS6detail17trampoline_kernelINS0_14default_configENS1_35radix_sort_onesweep_config_selectorIfNS0_10empty_typeEEEZNS1_34radix_sort_onesweep_global_offsetsIS3_Lb0EPKfPS5_mNS0_19identity_decomposerEEE10hipError_tT1_T2_PT3_SF_jT4_jjP12ihipStream_tbEUlT_E_NS1_11comp_targetILNS1_3genE4ELNS1_11target_archE910ELNS1_3gpuE8ELNS1_3repE0EEENS1_52radix_sort_onesweep_histogram_config_static_selectorELNS0_4arch9wavefront6targetE0EEEvSD_.uses_flat_scratch, 0
	.set _ZN7rocprim17ROCPRIM_400000_NS6detail17trampoline_kernelINS0_14default_configENS1_35radix_sort_onesweep_config_selectorIfNS0_10empty_typeEEEZNS1_34radix_sort_onesweep_global_offsetsIS3_Lb0EPKfPS5_mNS0_19identity_decomposerEEE10hipError_tT1_T2_PT3_SF_jT4_jjP12ihipStream_tbEUlT_E_NS1_11comp_targetILNS1_3genE4ELNS1_11target_archE910ELNS1_3gpuE8ELNS1_3repE0EEENS1_52radix_sort_onesweep_histogram_config_static_selectorELNS0_4arch9wavefront6targetE0EEEvSD_.has_dyn_sized_stack, 0
	.set _ZN7rocprim17ROCPRIM_400000_NS6detail17trampoline_kernelINS0_14default_configENS1_35radix_sort_onesweep_config_selectorIfNS0_10empty_typeEEEZNS1_34radix_sort_onesweep_global_offsetsIS3_Lb0EPKfPS5_mNS0_19identity_decomposerEEE10hipError_tT1_T2_PT3_SF_jT4_jjP12ihipStream_tbEUlT_E_NS1_11comp_targetILNS1_3genE4ELNS1_11target_archE910ELNS1_3gpuE8ELNS1_3repE0EEENS1_52radix_sort_onesweep_histogram_config_static_selectorELNS0_4arch9wavefront6targetE0EEEvSD_.has_recursion, 0
	.set _ZN7rocprim17ROCPRIM_400000_NS6detail17trampoline_kernelINS0_14default_configENS1_35radix_sort_onesweep_config_selectorIfNS0_10empty_typeEEEZNS1_34radix_sort_onesweep_global_offsetsIS3_Lb0EPKfPS5_mNS0_19identity_decomposerEEE10hipError_tT1_T2_PT3_SF_jT4_jjP12ihipStream_tbEUlT_E_NS1_11comp_targetILNS1_3genE4ELNS1_11target_archE910ELNS1_3gpuE8ELNS1_3repE0EEENS1_52radix_sort_onesweep_histogram_config_static_selectorELNS0_4arch9wavefront6targetE0EEEvSD_.has_indirect_call, 0
	.section	.AMDGPU.csdata,"",@progbits
; Kernel info:
; codeLenInByte = 0
; TotalNumSgprs: 0
; NumVgprs: 0
; ScratchSize: 0
; MemoryBound: 0
; FloatMode: 240
; IeeeMode: 1
; LDSByteSize: 0 bytes/workgroup (compile time only)
; SGPRBlocks: 0
; VGPRBlocks: 0
; NumSGPRsForWavesPerEU: 1
; NumVGPRsForWavesPerEU: 1
; NamedBarCnt: 0
; Occupancy: 16
; WaveLimiterHint : 0
; COMPUTE_PGM_RSRC2:SCRATCH_EN: 0
; COMPUTE_PGM_RSRC2:USER_SGPR: 2
; COMPUTE_PGM_RSRC2:TRAP_HANDLER: 0
; COMPUTE_PGM_RSRC2:TGID_X_EN: 1
; COMPUTE_PGM_RSRC2:TGID_Y_EN: 0
; COMPUTE_PGM_RSRC2:TGID_Z_EN: 0
; COMPUTE_PGM_RSRC2:TIDIG_COMP_CNT: 0
	.section	.text._ZN7rocprim17ROCPRIM_400000_NS6detail17trampoline_kernelINS0_14default_configENS1_35radix_sort_onesweep_config_selectorIfNS0_10empty_typeEEEZNS1_34radix_sort_onesweep_global_offsetsIS3_Lb0EPKfPS5_mNS0_19identity_decomposerEEE10hipError_tT1_T2_PT3_SF_jT4_jjP12ihipStream_tbEUlT_E_NS1_11comp_targetILNS1_3genE3ELNS1_11target_archE908ELNS1_3gpuE7ELNS1_3repE0EEENS1_52radix_sort_onesweep_histogram_config_static_selectorELNS0_4arch9wavefront6targetE0EEEvSD_,"axG",@progbits,_ZN7rocprim17ROCPRIM_400000_NS6detail17trampoline_kernelINS0_14default_configENS1_35radix_sort_onesweep_config_selectorIfNS0_10empty_typeEEEZNS1_34radix_sort_onesweep_global_offsetsIS3_Lb0EPKfPS5_mNS0_19identity_decomposerEEE10hipError_tT1_T2_PT3_SF_jT4_jjP12ihipStream_tbEUlT_E_NS1_11comp_targetILNS1_3genE3ELNS1_11target_archE908ELNS1_3gpuE7ELNS1_3repE0EEENS1_52radix_sort_onesweep_histogram_config_static_selectorELNS0_4arch9wavefront6targetE0EEEvSD_,comdat
	.protected	_ZN7rocprim17ROCPRIM_400000_NS6detail17trampoline_kernelINS0_14default_configENS1_35radix_sort_onesweep_config_selectorIfNS0_10empty_typeEEEZNS1_34radix_sort_onesweep_global_offsetsIS3_Lb0EPKfPS5_mNS0_19identity_decomposerEEE10hipError_tT1_T2_PT3_SF_jT4_jjP12ihipStream_tbEUlT_E_NS1_11comp_targetILNS1_3genE3ELNS1_11target_archE908ELNS1_3gpuE7ELNS1_3repE0EEENS1_52radix_sort_onesweep_histogram_config_static_selectorELNS0_4arch9wavefront6targetE0EEEvSD_ ; -- Begin function _ZN7rocprim17ROCPRIM_400000_NS6detail17trampoline_kernelINS0_14default_configENS1_35radix_sort_onesweep_config_selectorIfNS0_10empty_typeEEEZNS1_34radix_sort_onesweep_global_offsetsIS3_Lb0EPKfPS5_mNS0_19identity_decomposerEEE10hipError_tT1_T2_PT3_SF_jT4_jjP12ihipStream_tbEUlT_E_NS1_11comp_targetILNS1_3genE3ELNS1_11target_archE908ELNS1_3gpuE7ELNS1_3repE0EEENS1_52radix_sort_onesweep_histogram_config_static_selectorELNS0_4arch9wavefront6targetE0EEEvSD_
	.globl	_ZN7rocprim17ROCPRIM_400000_NS6detail17trampoline_kernelINS0_14default_configENS1_35radix_sort_onesweep_config_selectorIfNS0_10empty_typeEEEZNS1_34radix_sort_onesweep_global_offsetsIS3_Lb0EPKfPS5_mNS0_19identity_decomposerEEE10hipError_tT1_T2_PT3_SF_jT4_jjP12ihipStream_tbEUlT_E_NS1_11comp_targetILNS1_3genE3ELNS1_11target_archE908ELNS1_3gpuE7ELNS1_3repE0EEENS1_52radix_sort_onesweep_histogram_config_static_selectorELNS0_4arch9wavefront6targetE0EEEvSD_
	.p2align	8
	.type	_ZN7rocprim17ROCPRIM_400000_NS6detail17trampoline_kernelINS0_14default_configENS1_35radix_sort_onesweep_config_selectorIfNS0_10empty_typeEEEZNS1_34radix_sort_onesweep_global_offsetsIS3_Lb0EPKfPS5_mNS0_19identity_decomposerEEE10hipError_tT1_T2_PT3_SF_jT4_jjP12ihipStream_tbEUlT_E_NS1_11comp_targetILNS1_3genE3ELNS1_11target_archE908ELNS1_3gpuE7ELNS1_3repE0EEENS1_52radix_sort_onesweep_histogram_config_static_selectorELNS0_4arch9wavefront6targetE0EEEvSD_,@function
_ZN7rocprim17ROCPRIM_400000_NS6detail17trampoline_kernelINS0_14default_configENS1_35radix_sort_onesweep_config_selectorIfNS0_10empty_typeEEEZNS1_34radix_sort_onesweep_global_offsetsIS3_Lb0EPKfPS5_mNS0_19identity_decomposerEEE10hipError_tT1_T2_PT3_SF_jT4_jjP12ihipStream_tbEUlT_E_NS1_11comp_targetILNS1_3genE3ELNS1_11target_archE908ELNS1_3gpuE7ELNS1_3repE0EEENS1_52radix_sort_onesweep_histogram_config_static_selectorELNS0_4arch9wavefront6targetE0EEEvSD_: ; @_ZN7rocprim17ROCPRIM_400000_NS6detail17trampoline_kernelINS0_14default_configENS1_35radix_sort_onesweep_config_selectorIfNS0_10empty_typeEEEZNS1_34radix_sort_onesweep_global_offsetsIS3_Lb0EPKfPS5_mNS0_19identity_decomposerEEE10hipError_tT1_T2_PT3_SF_jT4_jjP12ihipStream_tbEUlT_E_NS1_11comp_targetILNS1_3genE3ELNS1_11target_archE908ELNS1_3gpuE7ELNS1_3repE0EEENS1_52radix_sort_onesweep_histogram_config_static_selectorELNS0_4arch9wavefront6targetE0EEEvSD_
; %bb.0:
	.section	.rodata,"a",@progbits
	.p2align	6, 0x0
	.amdhsa_kernel _ZN7rocprim17ROCPRIM_400000_NS6detail17trampoline_kernelINS0_14default_configENS1_35radix_sort_onesweep_config_selectorIfNS0_10empty_typeEEEZNS1_34radix_sort_onesweep_global_offsetsIS3_Lb0EPKfPS5_mNS0_19identity_decomposerEEE10hipError_tT1_T2_PT3_SF_jT4_jjP12ihipStream_tbEUlT_E_NS1_11comp_targetILNS1_3genE3ELNS1_11target_archE908ELNS1_3gpuE7ELNS1_3repE0EEENS1_52radix_sort_onesweep_histogram_config_static_selectorELNS0_4arch9wavefront6targetE0EEEvSD_
		.amdhsa_group_segment_fixed_size 0
		.amdhsa_private_segment_fixed_size 0
		.amdhsa_kernarg_size 48
		.amdhsa_user_sgpr_count 2
		.amdhsa_user_sgpr_dispatch_ptr 0
		.amdhsa_user_sgpr_queue_ptr 0
		.amdhsa_user_sgpr_kernarg_segment_ptr 1
		.amdhsa_user_sgpr_dispatch_id 0
		.amdhsa_user_sgpr_kernarg_preload_length 0
		.amdhsa_user_sgpr_kernarg_preload_offset 0
		.amdhsa_user_sgpr_private_segment_size 0
		.amdhsa_wavefront_size32 1
		.amdhsa_uses_dynamic_stack 0
		.amdhsa_enable_private_segment 0
		.amdhsa_system_sgpr_workgroup_id_x 1
		.amdhsa_system_sgpr_workgroup_id_y 0
		.amdhsa_system_sgpr_workgroup_id_z 0
		.amdhsa_system_sgpr_workgroup_info 0
		.amdhsa_system_vgpr_workitem_id 0
		.amdhsa_next_free_vgpr 1
		.amdhsa_next_free_sgpr 1
		.amdhsa_named_barrier_count 0
		.amdhsa_reserve_vcc 0
		.amdhsa_float_round_mode_32 0
		.amdhsa_float_round_mode_16_64 0
		.amdhsa_float_denorm_mode_32 3
		.amdhsa_float_denorm_mode_16_64 3
		.amdhsa_fp16_overflow 0
		.amdhsa_memory_ordered 1
		.amdhsa_forward_progress 1
		.amdhsa_inst_pref_size 0
		.amdhsa_round_robin_scheduling 0
		.amdhsa_exception_fp_ieee_invalid_op 0
		.amdhsa_exception_fp_denorm_src 0
		.amdhsa_exception_fp_ieee_div_zero 0
		.amdhsa_exception_fp_ieee_overflow 0
		.amdhsa_exception_fp_ieee_underflow 0
		.amdhsa_exception_fp_ieee_inexact 0
		.amdhsa_exception_int_div_zero 0
	.end_amdhsa_kernel
	.section	.text._ZN7rocprim17ROCPRIM_400000_NS6detail17trampoline_kernelINS0_14default_configENS1_35radix_sort_onesweep_config_selectorIfNS0_10empty_typeEEEZNS1_34radix_sort_onesweep_global_offsetsIS3_Lb0EPKfPS5_mNS0_19identity_decomposerEEE10hipError_tT1_T2_PT3_SF_jT4_jjP12ihipStream_tbEUlT_E_NS1_11comp_targetILNS1_3genE3ELNS1_11target_archE908ELNS1_3gpuE7ELNS1_3repE0EEENS1_52radix_sort_onesweep_histogram_config_static_selectorELNS0_4arch9wavefront6targetE0EEEvSD_,"axG",@progbits,_ZN7rocprim17ROCPRIM_400000_NS6detail17trampoline_kernelINS0_14default_configENS1_35radix_sort_onesweep_config_selectorIfNS0_10empty_typeEEEZNS1_34radix_sort_onesweep_global_offsetsIS3_Lb0EPKfPS5_mNS0_19identity_decomposerEEE10hipError_tT1_T2_PT3_SF_jT4_jjP12ihipStream_tbEUlT_E_NS1_11comp_targetILNS1_3genE3ELNS1_11target_archE908ELNS1_3gpuE7ELNS1_3repE0EEENS1_52radix_sort_onesweep_histogram_config_static_selectorELNS0_4arch9wavefront6targetE0EEEvSD_,comdat
.Lfunc_end1393:
	.size	_ZN7rocprim17ROCPRIM_400000_NS6detail17trampoline_kernelINS0_14default_configENS1_35radix_sort_onesweep_config_selectorIfNS0_10empty_typeEEEZNS1_34radix_sort_onesweep_global_offsetsIS3_Lb0EPKfPS5_mNS0_19identity_decomposerEEE10hipError_tT1_T2_PT3_SF_jT4_jjP12ihipStream_tbEUlT_E_NS1_11comp_targetILNS1_3genE3ELNS1_11target_archE908ELNS1_3gpuE7ELNS1_3repE0EEENS1_52radix_sort_onesweep_histogram_config_static_selectorELNS0_4arch9wavefront6targetE0EEEvSD_, .Lfunc_end1393-_ZN7rocprim17ROCPRIM_400000_NS6detail17trampoline_kernelINS0_14default_configENS1_35radix_sort_onesweep_config_selectorIfNS0_10empty_typeEEEZNS1_34radix_sort_onesweep_global_offsetsIS3_Lb0EPKfPS5_mNS0_19identity_decomposerEEE10hipError_tT1_T2_PT3_SF_jT4_jjP12ihipStream_tbEUlT_E_NS1_11comp_targetILNS1_3genE3ELNS1_11target_archE908ELNS1_3gpuE7ELNS1_3repE0EEENS1_52radix_sort_onesweep_histogram_config_static_selectorELNS0_4arch9wavefront6targetE0EEEvSD_
                                        ; -- End function
	.set _ZN7rocprim17ROCPRIM_400000_NS6detail17trampoline_kernelINS0_14default_configENS1_35radix_sort_onesweep_config_selectorIfNS0_10empty_typeEEEZNS1_34radix_sort_onesweep_global_offsetsIS3_Lb0EPKfPS5_mNS0_19identity_decomposerEEE10hipError_tT1_T2_PT3_SF_jT4_jjP12ihipStream_tbEUlT_E_NS1_11comp_targetILNS1_3genE3ELNS1_11target_archE908ELNS1_3gpuE7ELNS1_3repE0EEENS1_52radix_sort_onesweep_histogram_config_static_selectorELNS0_4arch9wavefront6targetE0EEEvSD_.num_vgpr, 0
	.set _ZN7rocprim17ROCPRIM_400000_NS6detail17trampoline_kernelINS0_14default_configENS1_35radix_sort_onesweep_config_selectorIfNS0_10empty_typeEEEZNS1_34radix_sort_onesweep_global_offsetsIS3_Lb0EPKfPS5_mNS0_19identity_decomposerEEE10hipError_tT1_T2_PT3_SF_jT4_jjP12ihipStream_tbEUlT_E_NS1_11comp_targetILNS1_3genE3ELNS1_11target_archE908ELNS1_3gpuE7ELNS1_3repE0EEENS1_52radix_sort_onesweep_histogram_config_static_selectorELNS0_4arch9wavefront6targetE0EEEvSD_.num_agpr, 0
	.set _ZN7rocprim17ROCPRIM_400000_NS6detail17trampoline_kernelINS0_14default_configENS1_35radix_sort_onesweep_config_selectorIfNS0_10empty_typeEEEZNS1_34radix_sort_onesweep_global_offsetsIS3_Lb0EPKfPS5_mNS0_19identity_decomposerEEE10hipError_tT1_T2_PT3_SF_jT4_jjP12ihipStream_tbEUlT_E_NS1_11comp_targetILNS1_3genE3ELNS1_11target_archE908ELNS1_3gpuE7ELNS1_3repE0EEENS1_52radix_sort_onesweep_histogram_config_static_selectorELNS0_4arch9wavefront6targetE0EEEvSD_.numbered_sgpr, 0
	.set _ZN7rocprim17ROCPRIM_400000_NS6detail17trampoline_kernelINS0_14default_configENS1_35radix_sort_onesweep_config_selectorIfNS0_10empty_typeEEEZNS1_34radix_sort_onesweep_global_offsetsIS3_Lb0EPKfPS5_mNS0_19identity_decomposerEEE10hipError_tT1_T2_PT3_SF_jT4_jjP12ihipStream_tbEUlT_E_NS1_11comp_targetILNS1_3genE3ELNS1_11target_archE908ELNS1_3gpuE7ELNS1_3repE0EEENS1_52radix_sort_onesweep_histogram_config_static_selectorELNS0_4arch9wavefront6targetE0EEEvSD_.num_named_barrier, 0
	.set _ZN7rocprim17ROCPRIM_400000_NS6detail17trampoline_kernelINS0_14default_configENS1_35radix_sort_onesweep_config_selectorIfNS0_10empty_typeEEEZNS1_34radix_sort_onesweep_global_offsetsIS3_Lb0EPKfPS5_mNS0_19identity_decomposerEEE10hipError_tT1_T2_PT3_SF_jT4_jjP12ihipStream_tbEUlT_E_NS1_11comp_targetILNS1_3genE3ELNS1_11target_archE908ELNS1_3gpuE7ELNS1_3repE0EEENS1_52radix_sort_onesweep_histogram_config_static_selectorELNS0_4arch9wavefront6targetE0EEEvSD_.private_seg_size, 0
	.set _ZN7rocprim17ROCPRIM_400000_NS6detail17trampoline_kernelINS0_14default_configENS1_35radix_sort_onesweep_config_selectorIfNS0_10empty_typeEEEZNS1_34radix_sort_onesweep_global_offsetsIS3_Lb0EPKfPS5_mNS0_19identity_decomposerEEE10hipError_tT1_T2_PT3_SF_jT4_jjP12ihipStream_tbEUlT_E_NS1_11comp_targetILNS1_3genE3ELNS1_11target_archE908ELNS1_3gpuE7ELNS1_3repE0EEENS1_52radix_sort_onesweep_histogram_config_static_selectorELNS0_4arch9wavefront6targetE0EEEvSD_.uses_vcc, 0
	.set _ZN7rocprim17ROCPRIM_400000_NS6detail17trampoline_kernelINS0_14default_configENS1_35radix_sort_onesweep_config_selectorIfNS0_10empty_typeEEEZNS1_34radix_sort_onesweep_global_offsetsIS3_Lb0EPKfPS5_mNS0_19identity_decomposerEEE10hipError_tT1_T2_PT3_SF_jT4_jjP12ihipStream_tbEUlT_E_NS1_11comp_targetILNS1_3genE3ELNS1_11target_archE908ELNS1_3gpuE7ELNS1_3repE0EEENS1_52radix_sort_onesweep_histogram_config_static_selectorELNS0_4arch9wavefront6targetE0EEEvSD_.uses_flat_scratch, 0
	.set _ZN7rocprim17ROCPRIM_400000_NS6detail17trampoline_kernelINS0_14default_configENS1_35radix_sort_onesweep_config_selectorIfNS0_10empty_typeEEEZNS1_34radix_sort_onesweep_global_offsetsIS3_Lb0EPKfPS5_mNS0_19identity_decomposerEEE10hipError_tT1_T2_PT3_SF_jT4_jjP12ihipStream_tbEUlT_E_NS1_11comp_targetILNS1_3genE3ELNS1_11target_archE908ELNS1_3gpuE7ELNS1_3repE0EEENS1_52radix_sort_onesweep_histogram_config_static_selectorELNS0_4arch9wavefront6targetE0EEEvSD_.has_dyn_sized_stack, 0
	.set _ZN7rocprim17ROCPRIM_400000_NS6detail17trampoline_kernelINS0_14default_configENS1_35radix_sort_onesweep_config_selectorIfNS0_10empty_typeEEEZNS1_34radix_sort_onesweep_global_offsetsIS3_Lb0EPKfPS5_mNS0_19identity_decomposerEEE10hipError_tT1_T2_PT3_SF_jT4_jjP12ihipStream_tbEUlT_E_NS1_11comp_targetILNS1_3genE3ELNS1_11target_archE908ELNS1_3gpuE7ELNS1_3repE0EEENS1_52radix_sort_onesweep_histogram_config_static_selectorELNS0_4arch9wavefront6targetE0EEEvSD_.has_recursion, 0
	.set _ZN7rocprim17ROCPRIM_400000_NS6detail17trampoline_kernelINS0_14default_configENS1_35radix_sort_onesweep_config_selectorIfNS0_10empty_typeEEEZNS1_34radix_sort_onesweep_global_offsetsIS3_Lb0EPKfPS5_mNS0_19identity_decomposerEEE10hipError_tT1_T2_PT3_SF_jT4_jjP12ihipStream_tbEUlT_E_NS1_11comp_targetILNS1_3genE3ELNS1_11target_archE908ELNS1_3gpuE7ELNS1_3repE0EEENS1_52radix_sort_onesweep_histogram_config_static_selectorELNS0_4arch9wavefront6targetE0EEEvSD_.has_indirect_call, 0
	.section	.AMDGPU.csdata,"",@progbits
; Kernel info:
; codeLenInByte = 0
; TotalNumSgprs: 0
; NumVgprs: 0
; ScratchSize: 0
; MemoryBound: 0
; FloatMode: 240
; IeeeMode: 1
; LDSByteSize: 0 bytes/workgroup (compile time only)
; SGPRBlocks: 0
; VGPRBlocks: 0
; NumSGPRsForWavesPerEU: 1
; NumVGPRsForWavesPerEU: 1
; NamedBarCnt: 0
; Occupancy: 16
; WaveLimiterHint : 0
; COMPUTE_PGM_RSRC2:SCRATCH_EN: 0
; COMPUTE_PGM_RSRC2:USER_SGPR: 2
; COMPUTE_PGM_RSRC2:TRAP_HANDLER: 0
; COMPUTE_PGM_RSRC2:TGID_X_EN: 1
; COMPUTE_PGM_RSRC2:TGID_Y_EN: 0
; COMPUTE_PGM_RSRC2:TGID_Z_EN: 0
; COMPUTE_PGM_RSRC2:TIDIG_COMP_CNT: 0
	.section	.text._ZN7rocprim17ROCPRIM_400000_NS6detail17trampoline_kernelINS0_14default_configENS1_35radix_sort_onesweep_config_selectorIfNS0_10empty_typeEEEZNS1_34radix_sort_onesweep_global_offsetsIS3_Lb0EPKfPS5_mNS0_19identity_decomposerEEE10hipError_tT1_T2_PT3_SF_jT4_jjP12ihipStream_tbEUlT_E_NS1_11comp_targetILNS1_3genE10ELNS1_11target_archE1201ELNS1_3gpuE5ELNS1_3repE0EEENS1_52radix_sort_onesweep_histogram_config_static_selectorELNS0_4arch9wavefront6targetE0EEEvSD_,"axG",@progbits,_ZN7rocprim17ROCPRIM_400000_NS6detail17trampoline_kernelINS0_14default_configENS1_35radix_sort_onesweep_config_selectorIfNS0_10empty_typeEEEZNS1_34radix_sort_onesweep_global_offsetsIS3_Lb0EPKfPS5_mNS0_19identity_decomposerEEE10hipError_tT1_T2_PT3_SF_jT4_jjP12ihipStream_tbEUlT_E_NS1_11comp_targetILNS1_3genE10ELNS1_11target_archE1201ELNS1_3gpuE5ELNS1_3repE0EEENS1_52radix_sort_onesweep_histogram_config_static_selectorELNS0_4arch9wavefront6targetE0EEEvSD_,comdat
	.protected	_ZN7rocprim17ROCPRIM_400000_NS6detail17trampoline_kernelINS0_14default_configENS1_35radix_sort_onesweep_config_selectorIfNS0_10empty_typeEEEZNS1_34radix_sort_onesweep_global_offsetsIS3_Lb0EPKfPS5_mNS0_19identity_decomposerEEE10hipError_tT1_T2_PT3_SF_jT4_jjP12ihipStream_tbEUlT_E_NS1_11comp_targetILNS1_3genE10ELNS1_11target_archE1201ELNS1_3gpuE5ELNS1_3repE0EEENS1_52radix_sort_onesweep_histogram_config_static_selectorELNS0_4arch9wavefront6targetE0EEEvSD_ ; -- Begin function _ZN7rocprim17ROCPRIM_400000_NS6detail17trampoline_kernelINS0_14default_configENS1_35radix_sort_onesweep_config_selectorIfNS0_10empty_typeEEEZNS1_34radix_sort_onesweep_global_offsetsIS3_Lb0EPKfPS5_mNS0_19identity_decomposerEEE10hipError_tT1_T2_PT3_SF_jT4_jjP12ihipStream_tbEUlT_E_NS1_11comp_targetILNS1_3genE10ELNS1_11target_archE1201ELNS1_3gpuE5ELNS1_3repE0EEENS1_52radix_sort_onesweep_histogram_config_static_selectorELNS0_4arch9wavefront6targetE0EEEvSD_
	.globl	_ZN7rocprim17ROCPRIM_400000_NS6detail17trampoline_kernelINS0_14default_configENS1_35radix_sort_onesweep_config_selectorIfNS0_10empty_typeEEEZNS1_34radix_sort_onesweep_global_offsetsIS3_Lb0EPKfPS5_mNS0_19identity_decomposerEEE10hipError_tT1_T2_PT3_SF_jT4_jjP12ihipStream_tbEUlT_E_NS1_11comp_targetILNS1_3genE10ELNS1_11target_archE1201ELNS1_3gpuE5ELNS1_3repE0EEENS1_52radix_sort_onesweep_histogram_config_static_selectorELNS0_4arch9wavefront6targetE0EEEvSD_
	.p2align	8
	.type	_ZN7rocprim17ROCPRIM_400000_NS6detail17trampoline_kernelINS0_14default_configENS1_35radix_sort_onesweep_config_selectorIfNS0_10empty_typeEEEZNS1_34radix_sort_onesweep_global_offsetsIS3_Lb0EPKfPS5_mNS0_19identity_decomposerEEE10hipError_tT1_T2_PT3_SF_jT4_jjP12ihipStream_tbEUlT_E_NS1_11comp_targetILNS1_3genE10ELNS1_11target_archE1201ELNS1_3gpuE5ELNS1_3repE0EEENS1_52radix_sort_onesweep_histogram_config_static_selectorELNS0_4arch9wavefront6targetE0EEEvSD_,@function
_ZN7rocprim17ROCPRIM_400000_NS6detail17trampoline_kernelINS0_14default_configENS1_35radix_sort_onesweep_config_selectorIfNS0_10empty_typeEEEZNS1_34radix_sort_onesweep_global_offsetsIS3_Lb0EPKfPS5_mNS0_19identity_decomposerEEE10hipError_tT1_T2_PT3_SF_jT4_jjP12ihipStream_tbEUlT_E_NS1_11comp_targetILNS1_3genE10ELNS1_11target_archE1201ELNS1_3gpuE5ELNS1_3repE0EEENS1_52radix_sort_onesweep_histogram_config_static_selectorELNS0_4arch9wavefront6targetE0EEEvSD_: ; @_ZN7rocprim17ROCPRIM_400000_NS6detail17trampoline_kernelINS0_14default_configENS1_35radix_sort_onesweep_config_selectorIfNS0_10empty_typeEEEZNS1_34radix_sort_onesweep_global_offsetsIS3_Lb0EPKfPS5_mNS0_19identity_decomposerEEE10hipError_tT1_T2_PT3_SF_jT4_jjP12ihipStream_tbEUlT_E_NS1_11comp_targetILNS1_3genE10ELNS1_11target_archE1201ELNS1_3gpuE5ELNS1_3repE0EEENS1_52radix_sort_onesweep_histogram_config_static_selectorELNS0_4arch9wavefront6targetE0EEEvSD_
; %bb.0:
	.section	.rodata,"a",@progbits
	.p2align	6, 0x0
	.amdhsa_kernel _ZN7rocprim17ROCPRIM_400000_NS6detail17trampoline_kernelINS0_14default_configENS1_35radix_sort_onesweep_config_selectorIfNS0_10empty_typeEEEZNS1_34radix_sort_onesweep_global_offsetsIS3_Lb0EPKfPS5_mNS0_19identity_decomposerEEE10hipError_tT1_T2_PT3_SF_jT4_jjP12ihipStream_tbEUlT_E_NS1_11comp_targetILNS1_3genE10ELNS1_11target_archE1201ELNS1_3gpuE5ELNS1_3repE0EEENS1_52radix_sort_onesweep_histogram_config_static_selectorELNS0_4arch9wavefront6targetE0EEEvSD_
		.amdhsa_group_segment_fixed_size 0
		.amdhsa_private_segment_fixed_size 0
		.amdhsa_kernarg_size 48
		.amdhsa_user_sgpr_count 2
		.amdhsa_user_sgpr_dispatch_ptr 0
		.amdhsa_user_sgpr_queue_ptr 0
		.amdhsa_user_sgpr_kernarg_segment_ptr 1
		.amdhsa_user_sgpr_dispatch_id 0
		.amdhsa_user_sgpr_kernarg_preload_length 0
		.amdhsa_user_sgpr_kernarg_preload_offset 0
		.amdhsa_user_sgpr_private_segment_size 0
		.amdhsa_wavefront_size32 1
		.amdhsa_uses_dynamic_stack 0
		.amdhsa_enable_private_segment 0
		.amdhsa_system_sgpr_workgroup_id_x 1
		.amdhsa_system_sgpr_workgroup_id_y 0
		.amdhsa_system_sgpr_workgroup_id_z 0
		.amdhsa_system_sgpr_workgroup_info 0
		.amdhsa_system_vgpr_workitem_id 0
		.amdhsa_next_free_vgpr 1
		.amdhsa_next_free_sgpr 1
		.amdhsa_named_barrier_count 0
		.amdhsa_reserve_vcc 0
		.amdhsa_float_round_mode_32 0
		.amdhsa_float_round_mode_16_64 0
		.amdhsa_float_denorm_mode_32 3
		.amdhsa_float_denorm_mode_16_64 3
		.amdhsa_fp16_overflow 0
		.amdhsa_memory_ordered 1
		.amdhsa_forward_progress 1
		.amdhsa_inst_pref_size 0
		.amdhsa_round_robin_scheduling 0
		.amdhsa_exception_fp_ieee_invalid_op 0
		.amdhsa_exception_fp_denorm_src 0
		.amdhsa_exception_fp_ieee_div_zero 0
		.amdhsa_exception_fp_ieee_overflow 0
		.amdhsa_exception_fp_ieee_underflow 0
		.amdhsa_exception_fp_ieee_inexact 0
		.amdhsa_exception_int_div_zero 0
	.end_amdhsa_kernel
	.section	.text._ZN7rocprim17ROCPRIM_400000_NS6detail17trampoline_kernelINS0_14default_configENS1_35radix_sort_onesweep_config_selectorIfNS0_10empty_typeEEEZNS1_34radix_sort_onesweep_global_offsetsIS3_Lb0EPKfPS5_mNS0_19identity_decomposerEEE10hipError_tT1_T2_PT3_SF_jT4_jjP12ihipStream_tbEUlT_E_NS1_11comp_targetILNS1_3genE10ELNS1_11target_archE1201ELNS1_3gpuE5ELNS1_3repE0EEENS1_52radix_sort_onesweep_histogram_config_static_selectorELNS0_4arch9wavefront6targetE0EEEvSD_,"axG",@progbits,_ZN7rocprim17ROCPRIM_400000_NS6detail17trampoline_kernelINS0_14default_configENS1_35radix_sort_onesweep_config_selectorIfNS0_10empty_typeEEEZNS1_34radix_sort_onesweep_global_offsetsIS3_Lb0EPKfPS5_mNS0_19identity_decomposerEEE10hipError_tT1_T2_PT3_SF_jT4_jjP12ihipStream_tbEUlT_E_NS1_11comp_targetILNS1_3genE10ELNS1_11target_archE1201ELNS1_3gpuE5ELNS1_3repE0EEENS1_52radix_sort_onesweep_histogram_config_static_selectorELNS0_4arch9wavefront6targetE0EEEvSD_,comdat
.Lfunc_end1394:
	.size	_ZN7rocprim17ROCPRIM_400000_NS6detail17trampoline_kernelINS0_14default_configENS1_35radix_sort_onesweep_config_selectorIfNS0_10empty_typeEEEZNS1_34radix_sort_onesweep_global_offsetsIS3_Lb0EPKfPS5_mNS0_19identity_decomposerEEE10hipError_tT1_T2_PT3_SF_jT4_jjP12ihipStream_tbEUlT_E_NS1_11comp_targetILNS1_3genE10ELNS1_11target_archE1201ELNS1_3gpuE5ELNS1_3repE0EEENS1_52radix_sort_onesweep_histogram_config_static_selectorELNS0_4arch9wavefront6targetE0EEEvSD_, .Lfunc_end1394-_ZN7rocprim17ROCPRIM_400000_NS6detail17trampoline_kernelINS0_14default_configENS1_35radix_sort_onesweep_config_selectorIfNS0_10empty_typeEEEZNS1_34radix_sort_onesweep_global_offsetsIS3_Lb0EPKfPS5_mNS0_19identity_decomposerEEE10hipError_tT1_T2_PT3_SF_jT4_jjP12ihipStream_tbEUlT_E_NS1_11comp_targetILNS1_3genE10ELNS1_11target_archE1201ELNS1_3gpuE5ELNS1_3repE0EEENS1_52radix_sort_onesweep_histogram_config_static_selectorELNS0_4arch9wavefront6targetE0EEEvSD_
                                        ; -- End function
	.set _ZN7rocprim17ROCPRIM_400000_NS6detail17trampoline_kernelINS0_14default_configENS1_35radix_sort_onesweep_config_selectorIfNS0_10empty_typeEEEZNS1_34radix_sort_onesweep_global_offsetsIS3_Lb0EPKfPS5_mNS0_19identity_decomposerEEE10hipError_tT1_T2_PT3_SF_jT4_jjP12ihipStream_tbEUlT_E_NS1_11comp_targetILNS1_3genE10ELNS1_11target_archE1201ELNS1_3gpuE5ELNS1_3repE0EEENS1_52radix_sort_onesweep_histogram_config_static_selectorELNS0_4arch9wavefront6targetE0EEEvSD_.num_vgpr, 0
	.set _ZN7rocprim17ROCPRIM_400000_NS6detail17trampoline_kernelINS0_14default_configENS1_35radix_sort_onesweep_config_selectorIfNS0_10empty_typeEEEZNS1_34radix_sort_onesweep_global_offsetsIS3_Lb0EPKfPS5_mNS0_19identity_decomposerEEE10hipError_tT1_T2_PT3_SF_jT4_jjP12ihipStream_tbEUlT_E_NS1_11comp_targetILNS1_3genE10ELNS1_11target_archE1201ELNS1_3gpuE5ELNS1_3repE0EEENS1_52radix_sort_onesweep_histogram_config_static_selectorELNS0_4arch9wavefront6targetE0EEEvSD_.num_agpr, 0
	.set _ZN7rocprim17ROCPRIM_400000_NS6detail17trampoline_kernelINS0_14default_configENS1_35radix_sort_onesweep_config_selectorIfNS0_10empty_typeEEEZNS1_34radix_sort_onesweep_global_offsetsIS3_Lb0EPKfPS5_mNS0_19identity_decomposerEEE10hipError_tT1_T2_PT3_SF_jT4_jjP12ihipStream_tbEUlT_E_NS1_11comp_targetILNS1_3genE10ELNS1_11target_archE1201ELNS1_3gpuE5ELNS1_3repE0EEENS1_52radix_sort_onesweep_histogram_config_static_selectorELNS0_4arch9wavefront6targetE0EEEvSD_.numbered_sgpr, 0
	.set _ZN7rocprim17ROCPRIM_400000_NS6detail17trampoline_kernelINS0_14default_configENS1_35radix_sort_onesweep_config_selectorIfNS0_10empty_typeEEEZNS1_34radix_sort_onesweep_global_offsetsIS3_Lb0EPKfPS5_mNS0_19identity_decomposerEEE10hipError_tT1_T2_PT3_SF_jT4_jjP12ihipStream_tbEUlT_E_NS1_11comp_targetILNS1_3genE10ELNS1_11target_archE1201ELNS1_3gpuE5ELNS1_3repE0EEENS1_52radix_sort_onesweep_histogram_config_static_selectorELNS0_4arch9wavefront6targetE0EEEvSD_.num_named_barrier, 0
	.set _ZN7rocprim17ROCPRIM_400000_NS6detail17trampoline_kernelINS0_14default_configENS1_35radix_sort_onesweep_config_selectorIfNS0_10empty_typeEEEZNS1_34radix_sort_onesweep_global_offsetsIS3_Lb0EPKfPS5_mNS0_19identity_decomposerEEE10hipError_tT1_T2_PT3_SF_jT4_jjP12ihipStream_tbEUlT_E_NS1_11comp_targetILNS1_3genE10ELNS1_11target_archE1201ELNS1_3gpuE5ELNS1_3repE0EEENS1_52radix_sort_onesweep_histogram_config_static_selectorELNS0_4arch9wavefront6targetE0EEEvSD_.private_seg_size, 0
	.set _ZN7rocprim17ROCPRIM_400000_NS6detail17trampoline_kernelINS0_14default_configENS1_35radix_sort_onesweep_config_selectorIfNS0_10empty_typeEEEZNS1_34radix_sort_onesweep_global_offsetsIS3_Lb0EPKfPS5_mNS0_19identity_decomposerEEE10hipError_tT1_T2_PT3_SF_jT4_jjP12ihipStream_tbEUlT_E_NS1_11comp_targetILNS1_3genE10ELNS1_11target_archE1201ELNS1_3gpuE5ELNS1_3repE0EEENS1_52radix_sort_onesweep_histogram_config_static_selectorELNS0_4arch9wavefront6targetE0EEEvSD_.uses_vcc, 0
	.set _ZN7rocprim17ROCPRIM_400000_NS6detail17trampoline_kernelINS0_14default_configENS1_35radix_sort_onesweep_config_selectorIfNS0_10empty_typeEEEZNS1_34radix_sort_onesweep_global_offsetsIS3_Lb0EPKfPS5_mNS0_19identity_decomposerEEE10hipError_tT1_T2_PT3_SF_jT4_jjP12ihipStream_tbEUlT_E_NS1_11comp_targetILNS1_3genE10ELNS1_11target_archE1201ELNS1_3gpuE5ELNS1_3repE0EEENS1_52radix_sort_onesweep_histogram_config_static_selectorELNS0_4arch9wavefront6targetE0EEEvSD_.uses_flat_scratch, 0
	.set _ZN7rocprim17ROCPRIM_400000_NS6detail17trampoline_kernelINS0_14default_configENS1_35radix_sort_onesweep_config_selectorIfNS0_10empty_typeEEEZNS1_34radix_sort_onesweep_global_offsetsIS3_Lb0EPKfPS5_mNS0_19identity_decomposerEEE10hipError_tT1_T2_PT3_SF_jT4_jjP12ihipStream_tbEUlT_E_NS1_11comp_targetILNS1_3genE10ELNS1_11target_archE1201ELNS1_3gpuE5ELNS1_3repE0EEENS1_52radix_sort_onesweep_histogram_config_static_selectorELNS0_4arch9wavefront6targetE0EEEvSD_.has_dyn_sized_stack, 0
	.set _ZN7rocprim17ROCPRIM_400000_NS6detail17trampoline_kernelINS0_14default_configENS1_35radix_sort_onesweep_config_selectorIfNS0_10empty_typeEEEZNS1_34radix_sort_onesweep_global_offsetsIS3_Lb0EPKfPS5_mNS0_19identity_decomposerEEE10hipError_tT1_T2_PT3_SF_jT4_jjP12ihipStream_tbEUlT_E_NS1_11comp_targetILNS1_3genE10ELNS1_11target_archE1201ELNS1_3gpuE5ELNS1_3repE0EEENS1_52radix_sort_onesweep_histogram_config_static_selectorELNS0_4arch9wavefront6targetE0EEEvSD_.has_recursion, 0
	.set _ZN7rocprim17ROCPRIM_400000_NS6detail17trampoline_kernelINS0_14default_configENS1_35radix_sort_onesweep_config_selectorIfNS0_10empty_typeEEEZNS1_34radix_sort_onesweep_global_offsetsIS3_Lb0EPKfPS5_mNS0_19identity_decomposerEEE10hipError_tT1_T2_PT3_SF_jT4_jjP12ihipStream_tbEUlT_E_NS1_11comp_targetILNS1_3genE10ELNS1_11target_archE1201ELNS1_3gpuE5ELNS1_3repE0EEENS1_52radix_sort_onesweep_histogram_config_static_selectorELNS0_4arch9wavefront6targetE0EEEvSD_.has_indirect_call, 0
	.section	.AMDGPU.csdata,"",@progbits
; Kernel info:
; codeLenInByte = 0
; TotalNumSgprs: 0
; NumVgprs: 0
; ScratchSize: 0
; MemoryBound: 0
; FloatMode: 240
; IeeeMode: 1
; LDSByteSize: 0 bytes/workgroup (compile time only)
; SGPRBlocks: 0
; VGPRBlocks: 0
; NumSGPRsForWavesPerEU: 1
; NumVGPRsForWavesPerEU: 1
; NamedBarCnt: 0
; Occupancy: 16
; WaveLimiterHint : 0
; COMPUTE_PGM_RSRC2:SCRATCH_EN: 0
; COMPUTE_PGM_RSRC2:USER_SGPR: 2
; COMPUTE_PGM_RSRC2:TRAP_HANDLER: 0
; COMPUTE_PGM_RSRC2:TGID_X_EN: 1
; COMPUTE_PGM_RSRC2:TGID_Y_EN: 0
; COMPUTE_PGM_RSRC2:TGID_Z_EN: 0
; COMPUTE_PGM_RSRC2:TIDIG_COMP_CNT: 0
	.section	.text._ZN7rocprim17ROCPRIM_400000_NS6detail17trampoline_kernelINS0_14default_configENS1_35radix_sort_onesweep_config_selectorIfNS0_10empty_typeEEEZNS1_34radix_sort_onesweep_global_offsetsIS3_Lb0EPKfPS5_mNS0_19identity_decomposerEEE10hipError_tT1_T2_PT3_SF_jT4_jjP12ihipStream_tbEUlT_E_NS1_11comp_targetILNS1_3genE9ELNS1_11target_archE1100ELNS1_3gpuE3ELNS1_3repE0EEENS1_52radix_sort_onesweep_histogram_config_static_selectorELNS0_4arch9wavefront6targetE0EEEvSD_,"axG",@progbits,_ZN7rocprim17ROCPRIM_400000_NS6detail17trampoline_kernelINS0_14default_configENS1_35radix_sort_onesweep_config_selectorIfNS0_10empty_typeEEEZNS1_34radix_sort_onesweep_global_offsetsIS3_Lb0EPKfPS5_mNS0_19identity_decomposerEEE10hipError_tT1_T2_PT3_SF_jT4_jjP12ihipStream_tbEUlT_E_NS1_11comp_targetILNS1_3genE9ELNS1_11target_archE1100ELNS1_3gpuE3ELNS1_3repE0EEENS1_52radix_sort_onesweep_histogram_config_static_selectorELNS0_4arch9wavefront6targetE0EEEvSD_,comdat
	.protected	_ZN7rocprim17ROCPRIM_400000_NS6detail17trampoline_kernelINS0_14default_configENS1_35radix_sort_onesweep_config_selectorIfNS0_10empty_typeEEEZNS1_34radix_sort_onesweep_global_offsetsIS3_Lb0EPKfPS5_mNS0_19identity_decomposerEEE10hipError_tT1_T2_PT3_SF_jT4_jjP12ihipStream_tbEUlT_E_NS1_11comp_targetILNS1_3genE9ELNS1_11target_archE1100ELNS1_3gpuE3ELNS1_3repE0EEENS1_52radix_sort_onesweep_histogram_config_static_selectorELNS0_4arch9wavefront6targetE0EEEvSD_ ; -- Begin function _ZN7rocprim17ROCPRIM_400000_NS6detail17trampoline_kernelINS0_14default_configENS1_35radix_sort_onesweep_config_selectorIfNS0_10empty_typeEEEZNS1_34radix_sort_onesweep_global_offsetsIS3_Lb0EPKfPS5_mNS0_19identity_decomposerEEE10hipError_tT1_T2_PT3_SF_jT4_jjP12ihipStream_tbEUlT_E_NS1_11comp_targetILNS1_3genE9ELNS1_11target_archE1100ELNS1_3gpuE3ELNS1_3repE0EEENS1_52radix_sort_onesweep_histogram_config_static_selectorELNS0_4arch9wavefront6targetE0EEEvSD_
	.globl	_ZN7rocprim17ROCPRIM_400000_NS6detail17trampoline_kernelINS0_14default_configENS1_35radix_sort_onesweep_config_selectorIfNS0_10empty_typeEEEZNS1_34radix_sort_onesweep_global_offsetsIS3_Lb0EPKfPS5_mNS0_19identity_decomposerEEE10hipError_tT1_T2_PT3_SF_jT4_jjP12ihipStream_tbEUlT_E_NS1_11comp_targetILNS1_3genE9ELNS1_11target_archE1100ELNS1_3gpuE3ELNS1_3repE0EEENS1_52radix_sort_onesweep_histogram_config_static_selectorELNS0_4arch9wavefront6targetE0EEEvSD_
	.p2align	8
	.type	_ZN7rocprim17ROCPRIM_400000_NS6detail17trampoline_kernelINS0_14default_configENS1_35radix_sort_onesweep_config_selectorIfNS0_10empty_typeEEEZNS1_34radix_sort_onesweep_global_offsetsIS3_Lb0EPKfPS5_mNS0_19identity_decomposerEEE10hipError_tT1_T2_PT3_SF_jT4_jjP12ihipStream_tbEUlT_E_NS1_11comp_targetILNS1_3genE9ELNS1_11target_archE1100ELNS1_3gpuE3ELNS1_3repE0EEENS1_52radix_sort_onesweep_histogram_config_static_selectorELNS0_4arch9wavefront6targetE0EEEvSD_,@function
_ZN7rocprim17ROCPRIM_400000_NS6detail17trampoline_kernelINS0_14default_configENS1_35radix_sort_onesweep_config_selectorIfNS0_10empty_typeEEEZNS1_34radix_sort_onesweep_global_offsetsIS3_Lb0EPKfPS5_mNS0_19identity_decomposerEEE10hipError_tT1_T2_PT3_SF_jT4_jjP12ihipStream_tbEUlT_E_NS1_11comp_targetILNS1_3genE9ELNS1_11target_archE1100ELNS1_3gpuE3ELNS1_3repE0EEENS1_52radix_sort_onesweep_histogram_config_static_selectorELNS0_4arch9wavefront6targetE0EEEvSD_: ; @_ZN7rocprim17ROCPRIM_400000_NS6detail17trampoline_kernelINS0_14default_configENS1_35radix_sort_onesweep_config_selectorIfNS0_10empty_typeEEEZNS1_34radix_sort_onesweep_global_offsetsIS3_Lb0EPKfPS5_mNS0_19identity_decomposerEEE10hipError_tT1_T2_PT3_SF_jT4_jjP12ihipStream_tbEUlT_E_NS1_11comp_targetILNS1_3genE9ELNS1_11target_archE1100ELNS1_3gpuE3ELNS1_3repE0EEENS1_52radix_sort_onesweep_histogram_config_static_selectorELNS0_4arch9wavefront6targetE0EEEvSD_
; %bb.0:
	.section	.rodata,"a",@progbits
	.p2align	6, 0x0
	.amdhsa_kernel _ZN7rocprim17ROCPRIM_400000_NS6detail17trampoline_kernelINS0_14default_configENS1_35radix_sort_onesweep_config_selectorIfNS0_10empty_typeEEEZNS1_34radix_sort_onesweep_global_offsetsIS3_Lb0EPKfPS5_mNS0_19identity_decomposerEEE10hipError_tT1_T2_PT3_SF_jT4_jjP12ihipStream_tbEUlT_E_NS1_11comp_targetILNS1_3genE9ELNS1_11target_archE1100ELNS1_3gpuE3ELNS1_3repE0EEENS1_52radix_sort_onesweep_histogram_config_static_selectorELNS0_4arch9wavefront6targetE0EEEvSD_
		.amdhsa_group_segment_fixed_size 0
		.amdhsa_private_segment_fixed_size 0
		.amdhsa_kernarg_size 48
		.amdhsa_user_sgpr_count 2
		.amdhsa_user_sgpr_dispatch_ptr 0
		.amdhsa_user_sgpr_queue_ptr 0
		.amdhsa_user_sgpr_kernarg_segment_ptr 1
		.amdhsa_user_sgpr_dispatch_id 0
		.amdhsa_user_sgpr_kernarg_preload_length 0
		.amdhsa_user_sgpr_kernarg_preload_offset 0
		.amdhsa_user_sgpr_private_segment_size 0
		.amdhsa_wavefront_size32 1
		.amdhsa_uses_dynamic_stack 0
		.amdhsa_enable_private_segment 0
		.amdhsa_system_sgpr_workgroup_id_x 1
		.amdhsa_system_sgpr_workgroup_id_y 0
		.amdhsa_system_sgpr_workgroup_id_z 0
		.amdhsa_system_sgpr_workgroup_info 0
		.amdhsa_system_vgpr_workitem_id 0
		.amdhsa_next_free_vgpr 1
		.amdhsa_next_free_sgpr 1
		.amdhsa_named_barrier_count 0
		.amdhsa_reserve_vcc 0
		.amdhsa_float_round_mode_32 0
		.amdhsa_float_round_mode_16_64 0
		.amdhsa_float_denorm_mode_32 3
		.amdhsa_float_denorm_mode_16_64 3
		.amdhsa_fp16_overflow 0
		.amdhsa_memory_ordered 1
		.amdhsa_forward_progress 1
		.amdhsa_inst_pref_size 0
		.amdhsa_round_robin_scheduling 0
		.amdhsa_exception_fp_ieee_invalid_op 0
		.amdhsa_exception_fp_denorm_src 0
		.amdhsa_exception_fp_ieee_div_zero 0
		.amdhsa_exception_fp_ieee_overflow 0
		.amdhsa_exception_fp_ieee_underflow 0
		.amdhsa_exception_fp_ieee_inexact 0
		.amdhsa_exception_int_div_zero 0
	.end_amdhsa_kernel
	.section	.text._ZN7rocprim17ROCPRIM_400000_NS6detail17trampoline_kernelINS0_14default_configENS1_35radix_sort_onesweep_config_selectorIfNS0_10empty_typeEEEZNS1_34radix_sort_onesweep_global_offsetsIS3_Lb0EPKfPS5_mNS0_19identity_decomposerEEE10hipError_tT1_T2_PT3_SF_jT4_jjP12ihipStream_tbEUlT_E_NS1_11comp_targetILNS1_3genE9ELNS1_11target_archE1100ELNS1_3gpuE3ELNS1_3repE0EEENS1_52radix_sort_onesweep_histogram_config_static_selectorELNS0_4arch9wavefront6targetE0EEEvSD_,"axG",@progbits,_ZN7rocprim17ROCPRIM_400000_NS6detail17trampoline_kernelINS0_14default_configENS1_35radix_sort_onesweep_config_selectorIfNS0_10empty_typeEEEZNS1_34radix_sort_onesweep_global_offsetsIS3_Lb0EPKfPS5_mNS0_19identity_decomposerEEE10hipError_tT1_T2_PT3_SF_jT4_jjP12ihipStream_tbEUlT_E_NS1_11comp_targetILNS1_3genE9ELNS1_11target_archE1100ELNS1_3gpuE3ELNS1_3repE0EEENS1_52radix_sort_onesweep_histogram_config_static_selectorELNS0_4arch9wavefront6targetE0EEEvSD_,comdat
.Lfunc_end1395:
	.size	_ZN7rocprim17ROCPRIM_400000_NS6detail17trampoline_kernelINS0_14default_configENS1_35radix_sort_onesweep_config_selectorIfNS0_10empty_typeEEEZNS1_34radix_sort_onesweep_global_offsetsIS3_Lb0EPKfPS5_mNS0_19identity_decomposerEEE10hipError_tT1_T2_PT3_SF_jT4_jjP12ihipStream_tbEUlT_E_NS1_11comp_targetILNS1_3genE9ELNS1_11target_archE1100ELNS1_3gpuE3ELNS1_3repE0EEENS1_52radix_sort_onesweep_histogram_config_static_selectorELNS0_4arch9wavefront6targetE0EEEvSD_, .Lfunc_end1395-_ZN7rocprim17ROCPRIM_400000_NS6detail17trampoline_kernelINS0_14default_configENS1_35radix_sort_onesweep_config_selectorIfNS0_10empty_typeEEEZNS1_34radix_sort_onesweep_global_offsetsIS3_Lb0EPKfPS5_mNS0_19identity_decomposerEEE10hipError_tT1_T2_PT3_SF_jT4_jjP12ihipStream_tbEUlT_E_NS1_11comp_targetILNS1_3genE9ELNS1_11target_archE1100ELNS1_3gpuE3ELNS1_3repE0EEENS1_52radix_sort_onesweep_histogram_config_static_selectorELNS0_4arch9wavefront6targetE0EEEvSD_
                                        ; -- End function
	.set _ZN7rocprim17ROCPRIM_400000_NS6detail17trampoline_kernelINS0_14default_configENS1_35radix_sort_onesweep_config_selectorIfNS0_10empty_typeEEEZNS1_34radix_sort_onesweep_global_offsetsIS3_Lb0EPKfPS5_mNS0_19identity_decomposerEEE10hipError_tT1_T2_PT3_SF_jT4_jjP12ihipStream_tbEUlT_E_NS1_11comp_targetILNS1_3genE9ELNS1_11target_archE1100ELNS1_3gpuE3ELNS1_3repE0EEENS1_52radix_sort_onesweep_histogram_config_static_selectorELNS0_4arch9wavefront6targetE0EEEvSD_.num_vgpr, 0
	.set _ZN7rocprim17ROCPRIM_400000_NS6detail17trampoline_kernelINS0_14default_configENS1_35radix_sort_onesweep_config_selectorIfNS0_10empty_typeEEEZNS1_34radix_sort_onesweep_global_offsetsIS3_Lb0EPKfPS5_mNS0_19identity_decomposerEEE10hipError_tT1_T2_PT3_SF_jT4_jjP12ihipStream_tbEUlT_E_NS1_11comp_targetILNS1_3genE9ELNS1_11target_archE1100ELNS1_3gpuE3ELNS1_3repE0EEENS1_52radix_sort_onesweep_histogram_config_static_selectorELNS0_4arch9wavefront6targetE0EEEvSD_.num_agpr, 0
	.set _ZN7rocprim17ROCPRIM_400000_NS6detail17trampoline_kernelINS0_14default_configENS1_35radix_sort_onesweep_config_selectorIfNS0_10empty_typeEEEZNS1_34radix_sort_onesweep_global_offsetsIS3_Lb0EPKfPS5_mNS0_19identity_decomposerEEE10hipError_tT1_T2_PT3_SF_jT4_jjP12ihipStream_tbEUlT_E_NS1_11comp_targetILNS1_3genE9ELNS1_11target_archE1100ELNS1_3gpuE3ELNS1_3repE0EEENS1_52radix_sort_onesweep_histogram_config_static_selectorELNS0_4arch9wavefront6targetE0EEEvSD_.numbered_sgpr, 0
	.set _ZN7rocprim17ROCPRIM_400000_NS6detail17trampoline_kernelINS0_14default_configENS1_35radix_sort_onesweep_config_selectorIfNS0_10empty_typeEEEZNS1_34radix_sort_onesweep_global_offsetsIS3_Lb0EPKfPS5_mNS0_19identity_decomposerEEE10hipError_tT1_T2_PT3_SF_jT4_jjP12ihipStream_tbEUlT_E_NS1_11comp_targetILNS1_3genE9ELNS1_11target_archE1100ELNS1_3gpuE3ELNS1_3repE0EEENS1_52radix_sort_onesweep_histogram_config_static_selectorELNS0_4arch9wavefront6targetE0EEEvSD_.num_named_barrier, 0
	.set _ZN7rocprim17ROCPRIM_400000_NS6detail17trampoline_kernelINS0_14default_configENS1_35radix_sort_onesweep_config_selectorIfNS0_10empty_typeEEEZNS1_34radix_sort_onesweep_global_offsetsIS3_Lb0EPKfPS5_mNS0_19identity_decomposerEEE10hipError_tT1_T2_PT3_SF_jT4_jjP12ihipStream_tbEUlT_E_NS1_11comp_targetILNS1_3genE9ELNS1_11target_archE1100ELNS1_3gpuE3ELNS1_3repE0EEENS1_52radix_sort_onesweep_histogram_config_static_selectorELNS0_4arch9wavefront6targetE0EEEvSD_.private_seg_size, 0
	.set _ZN7rocprim17ROCPRIM_400000_NS6detail17trampoline_kernelINS0_14default_configENS1_35radix_sort_onesweep_config_selectorIfNS0_10empty_typeEEEZNS1_34radix_sort_onesweep_global_offsetsIS3_Lb0EPKfPS5_mNS0_19identity_decomposerEEE10hipError_tT1_T2_PT3_SF_jT4_jjP12ihipStream_tbEUlT_E_NS1_11comp_targetILNS1_3genE9ELNS1_11target_archE1100ELNS1_3gpuE3ELNS1_3repE0EEENS1_52radix_sort_onesweep_histogram_config_static_selectorELNS0_4arch9wavefront6targetE0EEEvSD_.uses_vcc, 0
	.set _ZN7rocprim17ROCPRIM_400000_NS6detail17trampoline_kernelINS0_14default_configENS1_35radix_sort_onesweep_config_selectorIfNS0_10empty_typeEEEZNS1_34radix_sort_onesweep_global_offsetsIS3_Lb0EPKfPS5_mNS0_19identity_decomposerEEE10hipError_tT1_T2_PT3_SF_jT4_jjP12ihipStream_tbEUlT_E_NS1_11comp_targetILNS1_3genE9ELNS1_11target_archE1100ELNS1_3gpuE3ELNS1_3repE0EEENS1_52radix_sort_onesweep_histogram_config_static_selectorELNS0_4arch9wavefront6targetE0EEEvSD_.uses_flat_scratch, 0
	.set _ZN7rocprim17ROCPRIM_400000_NS6detail17trampoline_kernelINS0_14default_configENS1_35radix_sort_onesweep_config_selectorIfNS0_10empty_typeEEEZNS1_34radix_sort_onesweep_global_offsetsIS3_Lb0EPKfPS5_mNS0_19identity_decomposerEEE10hipError_tT1_T2_PT3_SF_jT4_jjP12ihipStream_tbEUlT_E_NS1_11comp_targetILNS1_3genE9ELNS1_11target_archE1100ELNS1_3gpuE3ELNS1_3repE0EEENS1_52radix_sort_onesweep_histogram_config_static_selectorELNS0_4arch9wavefront6targetE0EEEvSD_.has_dyn_sized_stack, 0
	.set _ZN7rocprim17ROCPRIM_400000_NS6detail17trampoline_kernelINS0_14default_configENS1_35radix_sort_onesweep_config_selectorIfNS0_10empty_typeEEEZNS1_34radix_sort_onesweep_global_offsetsIS3_Lb0EPKfPS5_mNS0_19identity_decomposerEEE10hipError_tT1_T2_PT3_SF_jT4_jjP12ihipStream_tbEUlT_E_NS1_11comp_targetILNS1_3genE9ELNS1_11target_archE1100ELNS1_3gpuE3ELNS1_3repE0EEENS1_52radix_sort_onesweep_histogram_config_static_selectorELNS0_4arch9wavefront6targetE0EEEvSD_.has_recursion, 0
	.set _ZN7rocprim17ROCPRIM_400000_NS6detail17trampoline_kernelINS0_14default_configENS1_35radix_sort_onesweep_config_selectorIfNS0_10empty_typeEEEZNS1_34radix_sort_onesweep_global_offsetsIS3_Lb0EPKfPS5_mNS0_19identity_decomposerEEE10hipError_tT1_T2_PT3_SF_jT4_jjP12ihipStream_tbEUlT_E_NS1_11comp_targetILNS1_3genE9ELNS1_11target_archE1100ELNS1_3gpuE3ELNS1_3repE0EEENS1_52radix_sort_onesweep_histogram_config_static_selectorELNS0_4arch9wavefront6targetE0EEEvSD_.has_indirect_call, 0
	.section	.AMDGPU.csdata,"",@progbits
; Kernel info:
; codeLenInByte = 0
; TotalNumSgprs: 0
; NumVgprs: 0
; ScratchSize: 0
; MemoryBound: 0
; FloatMode: 240
; IeeeMode: 1
; LDSByteSize: 0 bytes/workgroup (compile time only)
; SGPRBlocks: 0
; VGPRBlocks: 0
; NumSGPRsForWavesPerEU: 1
; NumVGPRsForWavesPerEU: 1
; NamedBarCnt: 0
; Occupancy: 16
; WaveLimiterHint : 0
; COMPUTE_PGM_RSRC2:SCRATCH_EN: 0
; COMPUTE_PGM_RSRC2:USER_SGPR: 2
; COMPUTE_PGM_RSRC2:TRAP_HANDLER: 0
; COMPUTE_PGM_RSRC2:TGID_X_EN: 1
; COMPUTE_PGM_RSRC2:TGID_Y_EN: 0
; COMPUTE_PGM_RSRC2:TGID_Z_EN: 0
; COMPUTE_PGM_RSRC2:TIDIG_COMP_CNT: 0
	.section	.text._ZN7rocprim17ROCPRIM_400000_NS6detail17trampoline_kernelINS0_14default_configENS1_35radix_sort_onesweep_config_selectorIfNS0_10empty_typeEEEZNS1_34radix_sort_onesweep_global_offsetsIS3_Lb0EPKfPS5_mNS0_19identity_decomposerEEE10hipError_tT1_T2_PT3_SF_jT4_jjP12ihipStream_tbEUlT_E_NS1_11comp_targetILNS1_3genE8ELNS1_11target_archE1030ELNS1_3gpuE2ELNS1_3repE0EEENS1_52radix_sort_onesweep_histogram_config_static_selectorELNS0_4arch9wavefront6targetE0EEEvSD_,"axG",@progbits,_ZN7rocprim17ROCPRIM_400000_NS6detail17trampoline_kernelINS0_14default_configENS1_35radix_sort_onesweep_config_selectorIfNS0_10empty_typeEEEZNS1_34radix_sort_onesweep_global_offsetsIS3_Lb0EPKfPS5_mNS0_19identity_decomposerEEE10hipError_tT1_T2_PT3_SF_jT4_jjP12ihipStream_tbEUlT_E_NS1_11comp_targetILNS1_3genE8ELNS1_11target_archE1030ELNS1_3gpuE2ELNS1_3repE0EEENS1_52radix_sort_onesweep_histogram_config_static_selectorELNS0_4arch9wavefront6targetE0EEEvSD_,comdat
	.protected	_ZN7rocprim17ROCPRIM_400000_NS6detail17trampoline_kernelINS0_14default_configENS1_35radix_sort_onesweep_config_selectorIfNS0_10empty_typeEEEZNS1_34radix_sort_onesweep_global_offsetsIS3_Lb0EPKfPS5_mNS0_19identity_decomposerEEE10hipError_tT1_T2_PT3_SF_jT4_jjP12ihipStream_tbEUlT_E_NS1_11comp_targetILNS1_3genE8ELNS1_11target_archE1030ELNS1_3gpuE2ELNS1_3repE0EEENS1_52radix_sort_onesweep_histogram_config_static_selectorELNS0_4arch9wavefront6targetE0EEEvSD_ ; -- Begin function _ZN7rocprim17ROCPRIM_400000_NS6detail17trampoline_kernelINS0_14default_configENS1_35radix_sort_onesweep_config_selectorIfNS0_10empty_typeEEEZNS1_34radix_sort_onesweep_global_offsetsIS3_Lb0EPKfPS5_mNS0_19identity_decomposerEEE10hipError_tT1_T2_PT3_SF_jT4_jjP12ihipStream_tbEUlT_E_NS1_11comp_targetILNS1_3genE8ELNS1_11target_archE1030ELNS1_3gpuE2ELNS1_3repE0EEENS1_52radix_sort_onesweep_histogram_config_static_selectorELNS0_4arch9wavefront6targetE0EEEvSD_
	.globl	_ZN7rocprim17ROCPRIM_400000_NS6detail17trampoline_kernelINS0_14default_configENS1_35radix_sort_onesweep_config_selectorIfNS0_10empty_typeEEEZNS1_34radix_sort_onesweep_global_offsetsIS3_Lb0EPKfPS5_mNS0_19identity_decomposerEEE10hipError_tT1_T2_PT3_SF_jT4_jjP12ihipStream_tbEUlT_E_NS1_11comp_targetILNS1_3genE8ELNS1_11target_archE1030ELNS1_3gpuE2ELNS1_3repE0EEENS1_52radix_sort_onesweep_histogram_config_static_selectorELNS0_4arch9wavefront6targetE0EEEvSD_
	.p2align	8
	.type	_ZN7rocprim17ROCPRIM_400000_NS6detail17trampoline_kernelINS0_14default_configENS1_35radix_sort_onesweep_config_selectorIfNS0_10empty_typeEEEZNS1_34radix_sort_onesweep_global_offsetsIS3_Lb0EPKfPS5_mNS0_19identity_decomposerEEE10hipError_tT1_T2_PT3_SF_jT4_jjP12ihipStream_tbEUlT_E_NS1_11comp_targetILNS1_3genE8ELNS1_11target_archE1030ELNS1_3gpuE2ELNS1_3repE0EEENS1_52radix_sort_onesweep_histogram_config_static_selectorELNS0_4arch9wavefront6targetE0EEEvSD_,@function
_ZN7rocprim17ROCPRIM_400000_NS6detail17trampoline_kernelINS0_14default_configENS1_35radix_sort_onesweep_config_selectorIfNS0_10empty_typeEEEZNS1_34radix_sort_onesweep_global_offsetsIS3_Lb0EPKfPS5_mNS0_19identity_decomposerEEE10hipError_tT1_T2_PT3_SF_jT4_jjP12ihipStream_tbEUlT_E_NS1_11comp_targetILNS1_3genE8ELNS1_11target_archE1030ELNS1_3gpuE2ELNS1_3repE0EEENS1_52radix_sort_onesweep_histogram_config_static_selectorELNS0_4arch9wavefront6targetE0EEEvSD_: ; @_ZN7rocprim17ROCPRIM_400000_NS6detail17trampoline_kernelINS0_14default_configENS1_35radix_sort_onesweep_config_selectorIfNS0_10empty_typeEEEZNS1_34radix_sort_onesweep_global_offsetsIS3_Lb0EPKfPS5_mNS0_19identity_decomposerEEE10hipError_tT1_T2_PT3_SF_jT4_jjP12ihipStream_tbEUlT_E_NS1_11comp_targetILNS1_3genE8ELNS1_11target_archE1030ELNS1_3gpuE2ELNS1_3repE0EEENS1_52radix_sort_onesweep_histogram_config_static_selectorELNS0_4arch9wavefront6targetE0EEEvSD_
; %bb.0:
	.section	.rodata,"a",@progbits
	.p2align	6, 0x0
	.amdhsa_kernel _ZN7rocprim17ROCPRIM_400000_NS6detail17trampoline_kernelINS0_14default_configENS1_35radix_sort_onesweep_config_selectorIfNS0_10empty_typeEEEZNS1_34radix_sort_onesweep_global_offsetsIS3_Lb0EPKfPS5_mNS0_19identity_decomposerEEE10hipError_tT1_T2_PT3_SF_jT4_jjP12ihipStream_tbEUlT_E_NS1_11comp_targetILNS1_3genE8ELNS1_11target_archE1030ELNS1_3gpuE2ELNS1_3repE0EEENS1_52radix_sort_onesweep_histogram_config_static_selectorELNS0_4arch9wavefront6targetE0EEEvSD_
		.amdhsa_group_segment_fixed_size 0
		.amdhsa_private_segment_fixed_size 0
		.amdhsa_kernarg_size 48
		.amdhsa_user_sgpr_count 2
		.amdhsa_user_sgpr_dispatch_ptr 0
		.amdhsa_user_sgpr_queue_ptr 0
		.amdhsa_user_sgpr_kernarg_segment_ptr 1
		.amdhsa_user_sgpr_dispatch_id 0
		.amdhsa_user_sgpr_kernarg_preload_length 0
		.amdhsa_user_sgpr_kernarg_preload_offset 0
		.amdhsa_user_sgpr_private_segment_size 0
		.amdhsa_wavefront_size32 1
		.amdhsa_uses_dynamic_stack 0
		.amdhsa_enable_private_segment 0
		.amdhsa_system_sgpr_workgroup_id_x 1
		.amdhsa_system_sgpr_workgroup_id_y 0
		.amdhsa_system_sgpr_workgroup_id_z 0
		.amdhsa_system_sgpr_workgroup_info 0
		.amdhsa_system_vgpr_workitem_id 0
		.amdhsa_next_free_vgpr 1
		.amdhsa_next_free_sgpr 1
		.amdhsa_named_barrier_count 0
		.amdhsa_reserve_vcc 0
		.amdhsa_float_round_mode_32 0
		.amdhsa_float_round_mode_16_64 0
		.amdhsa_float_denorm_mode_32 3
		.amdhsa_float_denorm_mode_16_64 3
		.amdhsa_fp16_overflow 0
		.amdhsa_memory_ordered 1
		.amdhsa_forward_progress 1
		.amdhsa_inst_pref_size 0
		.amdhsa_round_robin_scheduling 0
		.amdhsa_exception_fp_ieee_invalid_op 0
		.amdhsa_exception_fp_denorm_src 0
		.amdhsa_exception_fp_ieee_div_zero 0
		.amdhsa_exception_fp_ieee_overflow 0
		.amdhsa_exception_fp_ieee_underflow 0
		.amdhsa_exception_fp_ieee_inexact 0
		.amdhsa_exception_int_div_zero 0
	.end_amdhsa_kernel
	.section	.text._ZN7rocprim17ROCPRIM_400000_NS6detail17trampoline_kernelINS0_14default_configENS1_35radix_sort_onesweep_config_selectorIfNS0_10empty_typeEEEZNS1_34radix_sort_onesweep_global_offsetsIS3_Lb0EPKfPS5_mNS0_19identity_decomposerEEE10hipError_tT1_T2_PT3_SF_jT4_jjP12ihipStream_tbEUlT_E_NS1_11comp_targetILNS1_3genE8ELNS1_11target_archE1030ELNS1_3gpuE2ELNS1_3repE0EEENS1_52radix_sort_onesweep_histogram_config_static_selectorELNS0_4arch9wavefront6targetE0EEEvSD_,"axG",@progbits,_ZN7rocprim17ROCPRIM_400000_NS6detail17trampoline_kernelINS0_14default_configENS1_35radix_sort_onesweep_config_selectorIfNS0_10empty_typeEEEZNS1_34radix_sort_onesweep_global_offsetsIS3_Lb0EPKfPS5_mNS0_19identity_decomposerEEE10hipError_tT1_T2_PT3_SF_jT4_jjP12ihipStream_tbEUlT_E_NS1_11comp_targetILNS1_3genE8ELNS1_11target_archE1030ELNS1_3gpuE2ELNS1_3repE0EEENS1_52radix_sort_onesweep_histogram_config_static_selectorELNS0_4arch9wavefront6targetE0EEEvSD_,comdat
.Lfunc_end1396:
	.size	_ZN7rocprim17ROCPRIM_400000_NS6detail17trampoline_kernelINS0_14default_configENS1_35radix_sort_onesweep_config_selectorIfNS0_10empty_typeEEEZNS1_34radix_sort_onesweep_global_offsetsIS3_Lb0EPKfPS5_mNS0_19identity_decomposerEEE10hipError_tT1_T2_PT3_SF_jT4_jjP12ihipStream_tbEUlT_E_NS1_11comp_targetILNS1_3genE8ELNS1_11target_archE1030ELNS1_3gpuE2ELNS1_3repE0EEENS1_52radix_sort_onesweep_histogram_config_static_selectorELNS0_4arch9wavefront6targetE0EEEvSD_, .Lfunc_end1396-_ZN7rocprim17ROCPRIM_400000_NS6detail17trampoline_kernelINS0_14default_configENS1_35radix_sort_onesweep_config_selectorIfNS0_10empty_typeEEEZNS1_34radix_sort_onesweep_global_offsetsIS3_Lb0EPKfPS5_mNS0_19identity_decomposerEEE10hipError_tT1_T2_PT3_SF_jT4_jjP12ihipStream_tbEUlT_E_NS1_11comp_targetILNS1_3genE8ELNS1_11target_archE1030ELNS1_3gpuE2ELNS1_3repE0EEENS1_52radix_sort_onesweep_histogram_config_static_selectorELNS0_4arch9wavefront6targetE0EEEvSD_
                                        ; -- End function
	.set _ZN7rocprim17ROCPRIM_400000_NS6detail17trampoline_kernelINS0_14default_configENS1_35radix_sort_onesweep_config_selectorIfNS0_10empty_typeEEEZNS1_34radix_sort_onesweep_global_offsetsIS3_Lb0EPKfPS5_mNS0_19identity_decomposerEEE10hipError_tT1_T2_PT3_SF_jT4_jjP12ihipStream_tbEUlT_E_NS1_11comp_targetILNS1_3genE8ELNS1_11target_archE1030ELNS1_3gpuE2ELNS1_3repE0EEENS1_52radix_sort_onesweep_histogram_config_static_selectorELNS0_4arch9wavefront6targetE0EEEvSD_.num_vgpr, 0
	.set _ZN7rocprim17ROCPRIM_400000_NS6detail17trampoline_kernelINS0_14default_configENS1_35radix_sort_onesweep_config_selectorIfNS0_10empty_typeEEEZNS1_34radix_sort_onesweep_global_offsetsIS3_Lb0EPKfPS5_mNS0_19identity_decomposerEEE10hipError_tT1_T2_PT3_SF_jT4_jjP12ihipStream_tbEUlT_E_NS1_11comp_targetILNS1_3genE8ELNS1_11target_archE1030ELNS1_3gpuE2ELNS1_3repE0EEENS1_52radix_sort_onesweep_histogram_config_static_selectorELNS0_4arch9wavefront6targetE0EEEvSD_.num_agpr, 0
	.set _ZN7rocprim17ROCPRIM_400000_NS6detail17trampoline_kernelINS0_14default_configENS1_35radix_sort_onesweep_config_selectorIfNS0_10empty_typeEEEZNS1_34radix_sort_onesweep_global_offsetsIS3_Lb0EPKfPS5_mNS0_19identity_decomposerEEE10hipError_tT1_T2_PT3_SF_jT4_jjP12ihipStream_tbEUlT_E_NS1_11comp_targetILNS1_3genE8ELNS1_11target_archE1030ELNS1_3gpuE2ELNS1_3repE0EEENS1_52radix_sort_onesweep_histogram_config_static_selectorELNS0_4arch9wavefront6targetE0EEEvSD_.numbered_sgpr, 0
	.set _ZN7rocprim17ROCPRIM_400000_NS6detail17trampoline_kernelINS0_14default_configENS1_35radix_sort_onesweep_config_selectorIfNS0_10empty_typeEEEZNS1_34radix_sort_onesweep_global_offsetsIS3_Lb0EPKfPS5_mNS0_19identity_decomposerEEE10hipError_tT1_T2_PT3_SF_jT4_jjP12ihipStream_tbEUlT_E_NS1_11comp_targetILNS1_3genE8ELNS1_11target_archE1030ELNS1_3gpuE2ELNS1_3repE0EEENS1_52radix_sort_onesweep_histogram_config_static_selectorELNS0_4arch9wavefront6targetE0EEEvSD_.num_named_barrier, 0
	.set _ZN7rocprim17ROCPRIM_400000_NS6detail17trampoline_kernelINS0_14default_configENS1_35radix_sort_onesweep_config_selectorIfNS0_10empty_typeEEEZNS1_34radix_sort_onesweep_global_offsetsIS3_Lb0EPKfPS5_mNS0_19identity_decomposerEEE10hipError_tT1_T2_PT3_SF_jT4_jjP12ihipStream_tbEUlT_E_NS1_11comp_targetILNS1_3genE8ELNS1_11target_archE1030ELNS1_3gpuE2ELNS1_3repE0EEENS1_52radix_sort_onesweep_histogram_config_static_selectorELNS0_4arch9wavefront6targetE0EEEvSD_.private_seg_size, 0
	.set _ZN7rocprim17ROCPRIM_400000_NS6detail17trampoline_kernelINS0_14default_configENS1_35radix_sort_onesweep_config_selectorIfNS0_10empty_typeEEEZNS1_34radix_sort_onesweep_global_offsetsIS3_Lb0EPKfPS5_mNS0_19identity_decomposerEEE10hipError_tT1_T2_PT3_SF_jT4_jjP12ihipStream_tbEUlT_E_NS1_11comp_targetILNS1_3genE8ELNS1_11target_archE1030ELNS1_3gpuE2ELNS1_3repE0EEENS1_52radix_sort_onesweep_histogram_config_static_selectorELNS0_4arch9wavefront6targetE0EEEvSD_.uses_vcc, 0
	.set _ZN7rocprim17ROCPRIM_400000_NS6detail17trampoline_kernelINS0_14default_configENS1_35radix_sort_onesweep_config_selectorIfNS0_10empty_typeEEEZNS1_34radix_sort_onesweep_global_offsetsIS3_Lb0EPKfPS5_mNS0_19identity_decomposerEEE10hipError_tT1_T2_PT3_SF_jT4_jjP12ihipStream_tbEUlT_E_NS1_11comp_targetILNS1_3genE8ELNS1_11target_archE1030ELNS1_3gpuE2ELNS1_3repE0EEENS1_52radix_sort_onesweep_histogram_config_static_selectorELNS0_4arch9wavefront6targetE0EEEvSD_.uses_flat_scratch, 0
	.set _ZN7rocprim17ROCPRIM_400000_NS6detail17trampoline_kernelINS0_14default_configENS1_35radix_sort_onesweep_config_selectorIfNS0_10empty_typeEEEZNS1_34radix_sort_onesweep_global_offsetsIS3_Lb0EPKfPS5_mNS0_19identity_decomposerEEE10hipError_tT1_T2_PT3_SF_jT4_jjP12ihipStream_tbEUlT_E_NS1_11comp_targetILNS1_3genE8ELNS1_11target_archE1030ELNS1_3gpuE2ELNS1_3repE0EEENS1_52radix_sort_onesweep_histogram_config_static_selectorELNS0_4arch9wavefront6targetE0EEEvSD_.has_dyn_sized_stack, 0
	.set _ZN7rocprim17ROCPRIM_400000_NS6detail17trampoline_kernelINS0_14default_configENS1_35radix_sort_onesweep_config_selectorIfNS0_10empty_typeEEEZNS1_34radix_sort_onesweep_global_offsetsIS3_Lb0EPKfPS5_mNS0_19identity_decomposerEEE10hipError_tT1_T2_PT3_SF_jT4_jjP12ihipStream_tbEUlT_E_NS1_11comp_targetILNS1_3genE8ELNS1_11target_archE1030ELNS1_3gpuE2ELNS1_3repE0EEENS1_52radix_sort_onesweep_histogram_config_static_selectorELNS0_4arch9wavefront6targetE0EEEvSD_.has_recursion, 0
	.set _ZN7rocprim17ROCPRIM_400000_NS6detail17trampoline_kernelINS0_14default_configENS1_35radix_sort_onesweep_config_selectorIfNS0_10empty_typeEEEZNS1_34radix_sort_onesweep_global_offsetsIS3_Lb0EPKfPS5_mNS0_19identity_decomposerEEE10hipError_tT1_T2_PT3_SF_jT4_jjP12ihipStream_tbEUlT_E_NS1_11comp_targetILNS1_3genE8ELNS1_11target_archE1030ELNS1_3gpuE2ELNS1_3repE0EEENS1_52radix_sort_onesweep_histogram_config_static_selectorELNS0_4arch9wavefront6targetE0EEEvSD_.has_indirect_call, 0
	.section	.AMDGPU.csdata,"",@progbits
; Kernel info:
; codeLenInByte = 0
; TotalNumSgprs: 0
; NumVgprs: 0
; ScratchSize: 0
; MemoryBound: 0
; FloatMode: 240
; IeeeMode: 1
; LDSByteSize: 0 bytes/workgroup (compile time only)
; SGPRBlocks: 0
; VGPRBlocks: 0
; NumSGPRsForWavesPerEU: 1
; NumVGPRsForWavesPerEU: 1
; NamedBarCnt: 0
; Occupancy: 16
; WaveLimiterHint : 0
; COMPUTE_PGM_RSRC2:SCRATCH_EN: 0
; COMPUTE_PGM_RSRC2:USER_SGPR: 2
; COMPUTE_PGM_RSRC2:TRAP_HANDLER: 0
; COMPUTE_PGM_RSRC2:TGID_X_EN: 1
; COMPUTE_PGM_RSRC2:TGID_Y_EN: 0
; COMPUTE_PGM_RSRC2:TGID_Z_EN: 0
; COMPUTE_PGM_RSRC2:TIDIG_COMP_CNT: 0
	.section	.text._ZN7rocprim17ROCPRIM_400000_NS6detail17trampoline_kernelINS0_14default_configENS1_35radix_sort_onesweep_config_selectorIfNS0_10empty_typeEEEZNS1_34radix_sort_onesweep_global_offsetsIS3_Lb0EPKfPS5_mNS0_19identity_decomposerEEE10hipError_tT1_T2_PT3_SF_jT4_jjP12ihipStream_tbEUlT_E0_NS1_11comp_targetILNS1_3genE0ELNS1_11target_archE4294967295ELNS1_3gpuE0ELNS1_3repE0EEENS1_52radix_sort_onesweep_histogram_config_static_selectorELNS0_4arch9wavefront6targetE0EEEvSD_,"axG",@progbits,_ZN7rocprim17ROCPRIM_400000_NS6detail17trampoline_kernelINS0_14default_configENS1_35radix_sort_onesweep_config_selectorIfNS0_10empty_typeEEEZNS1_34radix_sort_onesweep_global_offsetsIS3_Lb0EPKfPS5_mNS0_19identity_decomposerEEE10hipError_tT1_T2_PT3_SF_jT4_jjP12ihipStream_tbEUlT_E0_NS1_11comp_targetILNS1_3genE0ELNS1_11target_archE4294967295ELNS1_3gpuE0ELNS1_3repE0EEENS1_52radix_sort_onesweep_histogram_config_static_selectorELNS0_4arch9wavefront6targetE0EEEvSD_,comdat
	.protected	_ZN7rocprim17ROCPRIM_400000_NS6detail17trampoline_kernelINS0_14default_configENS1_35radix_sort_onesweep_config_selectorIfNS0_10empty_typeEEEZNS1_34radix_sort_onesweep_global_offsetsIS3_Lb0EPKfPS5_mNS0_19identity_decomposerEEE10hipError_tT1_T2_PT3_SF_jT4_jjP12ihipStream_tbEUlT_E0_NS1_11comp_targetILNS1_3genE0ELNS1_11target_archE4294967295ELNS1_3gpuE0ELNS1_3repE0EEENS1_52radix_sort_onesweep_histogram_config_static_selectorELNS0_4arch9wavefront6targetE0EEEvSD_ ; -- Begin function _ZN7rocprim17ROCPRIM_400000_NS6detail17trampoline_kernelINS0_14default_configENS1_35radix_sort_onesweep_config_selectorIfNS0_10empty_typeEEEZNS1_34radix_sort_onesweep_global_offsetsIS3_Lb0EPKfPS5_mNS0_19identity_decomposerEEE10hipError_tT1_T2_PT3_SF_jT4_jjP12ihipStream_tbEUlT_E0_NS1_11comp_targetILNS1_3genE0ELNS1_11target_archE4294967295ELNS1_3gpuE0ELNS1_3repE0EEENS1_52radix_sort_onesweep_histogram_config_static_selectorELNS0_4arch9wavefront6targetE0EEEvSD_
	.globl	_ZN7rocprim17ROCPRIM_400000_NS6detail17trampoline_kernelINS0_14default_configENS1_35radix_sort_onesweep_config_selectorIfNS0_10empty_typeEEEZNS1_34radix_sort_onesweep_global_offsetsIS3_Lb0EPKfPS5_mNS0_19identity_decomposerEEE10hipError_tT1_T2_PT3_SF_jT4_jjP12ihipStream_tbEUlT_E0_NS1_11comp_targetILNS1_3genE0ELNS1_11target_archE4294967295ELNS1_3gpuE0ELNS1_3repE0EEENS1_52radix_sort_onesweep_histogram_config_static_selectorELNS0_4arch9wavefront6targetE0EEEvSD_
	.p2align	8
	.type	_ZN7rocprim17ROCPRIM_400000_NS6detail17trampoline_kernelINS0_14default_configENS1_35radix_sort_onesweep_config_selectorIfNS0_10empty_typeEEEZNS1_34radix_sort_onesweep_global_offsetsIS3_Lb0EPKfPS5_mNS0_19identity_decomposerEEE10hipError_tT1_T2_PT3_SF_jT4_jjP12ihipStream_tbEUlT_E0_NS1_11comp_targetILNS1_3genE0ELNS1_11target_archE4294967295ELNS1_3gpuE0ELNS1_3repE0EEENS1_52radix_sort_onesweep_histogram_config_static_selectorELNS0_4arch9wavefront6targetE0EEEvSD_,@function
_ZN7rocprim17ROCPRIM_400000_NS6detail17trampoline_kernelINS0_14default_configENS1_35radix_sort_onesweep_config_selectorIfNS0_10empty_typeEEEZNS1_34radix_sort_onesweep_global_offsetsIS3_Lb0EPKfPS5_mNS0_19identity_decomposerEEE10hipError_tT1_T2_PT3_SF_jT4_jjP12ihipStream_tbEUlT_E0_NS1_11comp_targetILNS1_3genE0ELNS1_11target_archE4294967295ELNS1_3gpuE0ELNS1_3repE0EEENS1_52radix_sort_onesweep_histogram_config_static_selectorELNS0_4arch9wavefront6targetE0EEEvSD_: ; @_ZN7rocprim17ROCPRIM_400000_NS6detail17trampoline_kernelINS0_14default_configENS1_35radix_sort_onesweep_config_selectorIfNS0_10empty_typeEEEZNS1_34radix_sort_onesweep_global_offsetsIS3_Lb0EPKfPS5_mNS0_19identity_decomposerEEE10hipError_tT1_T2_PT3_SF_jT4_jjP12ihipStream_tbEUlT_E0_NS1_11comp_targetILNS1_3genE0ELNS1_11target_archE4294967295ELNS1_3gpuE0ELNS1_3repE0EEENS1_52radix_sort_onesweep_histogram_config_static_selectorELNS0_4arch9wavefront6targetE0EEEvSD_
; %bb.0:
	s_load_b64 s[0:1], s[0:1], 0x0
	s_bfe_u32 s2, ttmp6, 0x4000c
	s_and_b32 s3, ttmp6, 15
	s_add_co_i32 s2, s2, 1
	s_getreg_b32 s4, hwreg(HW_REG_IB_STS2, 6, 4)
	s_mul_i32 s2, ttmp9, s2
	v_cmp_gt_u32_e32 vcc_lo, 0x100, v0
	s_add_co_i32 s3, s3, s2
	s_cmp_eq_u32 s4, 0
                                        ; implicit-def: $vgpr2_vgpr3
	s_cselect_b32 s2, ttmp9, s3
	s_mov_b32 s3, 0
	s_lshl_b32 s2, s2, 8
	s_delay_alu instid0(SALU_CYCLE_1)
	s_lshl_b64 s[2:3], s[2:3], 3
	s_wait_kmcnt 0x0
	s_add_nc_u64 s[6:7], s[0:1], s[2:3]
	s_and_saveexec_b32 s0, vcc_lo
	s_cbranch_execz .LBB1397_2
; %bb.1:
	global_load_b64 v[2:3], v0, s[6:7] scale_offset
.LBB1397_2:
	s_wait_xcnt 0x0
	s_or_b32 exec_lo, exec_lo, s0
	v_mbcnt_lo_u32_b32 v1, -1, 0
	s_wait_loadcnt 0x0
	v_mov_b32_dpp v6, v2 row_shr:1 row_mask:0xf bank_mask:0xf
	v_mov_b32_dpp v9, v3 row_shr:1 row_mask:0xf bank_mask:0xf
	s_delay_alu instid0(VALU_DEP_3) | instskip(NEXT) | instid1(VALU_DEP_1)
	v_dual_mov_b32 v4, v2 :: v_dual_bitop2_b32 v10, 15, v1 bitop3:0x40
	v_cmp_ne_u32_e64 s0, 0, v10
	s_and_saveexec_b32 s1, s0
; %bb.3:
	v_mov_b32_e32 v8, 0
	s_delay_alu instid0(VALU_DEP_1) | instskip(NEXT) | instid1(VALU_DEP_1)
	v_mov_b32_e32 v7, v8
	v_add_nc_u64_e32 v[4:5], v[2:3], v[6:7]
	s_delay_alu instid0(VALU_DEP_1)
	v_add_nc_u64_e32 v[2:3], v[8:9], v[4:5]
; %bb.4:
	s_or_b32 exec_lo, exec_lo, s1
	v_mov_b32_dpp v6, v4 row_shr:2 row_mask:0xf bank_mask:0xf
	s_delay_alu instid0(VALU_DEP_2)
	v_mov_b32_dpp v9, v3 row_shr:2 row_mask:0xf bank_mask:0xf
	v_cmp_lt_u32_e64 s1, 1, v10
	s_and_saveexec_b32 s2, s1
; %bb.5:
	v_mov_b32_e32 v8, 0
	s_delay_alu instid0(VALU_DEP_1) | instskip(NEXT) | instid1(VALU_DEP_1)
	v_mov_b32_e32 v7, v8
	v_add_nc_u64_e32 v[4:5], v[2:3], v[6:7]
	s_delay_alu instid0(VALU_DEP_1)
	v_add_nc_u64_e32 v[2:3], v[8:9], v[4:5]
; %bb.6:
	s_or_b32 exec_lo, exec_lo, s2
	v_mov_b32_dpp v6, v4 row_shr:4 row_mask:0xf bank_mask:0xf
	s_delay_alu instid0(VALU_DEP_2)
	v_mov_b32_dpp v9, v3 row_shr:4 row_mask:0xf bank_mask:0xf
	v_cmp_lt_u32_e64 s2, 3, v10
	;; [unrolled: 14-line block ×3, first 2 shown]
	s_and_saveexec_b32 s4, s3
; %bb.9:
	v_mov_b32_e32 v8, 0
	s_delay_alu instid0(VALU_DEP_1) | instskip(NEXT) | instid1(VALU_DEP_1)
	v_mov_b32_e32 v7, v8
	v_add_nc_u64_e32 v[4:5], v[2:3], v[6:7]
	s_delay_alu instid0(VALU_DEP_1)
	v_add_nc_u64_e32 v[2:3], v[8:9], v[4:5]
; %bb.10:
	s_or_b32 exec_lo, exec_lo, s4
	ds_swizzle_b32 v4, v4 offset:swizzle(BROADCAST,32,15)
	ds_swizzle_b32 v7, v3 offset:swizzle(BROADCAST,32,15)
	v_and_b32_e32 v5, 16, v1
	s_mov_b32 s5, exec_lo
	s_delay_alu instid0(VALU_DEP_1)
	v_cmpx_ne_u32_e32 0, v5
	s_cbranch_execz .LBB1397_12
; %bb.11:
	v_mov_b32_e32 v6, 0
	s_delay_alu instid0(VALU_DEP_1) | instskip(SKIP_1) | instid1(VALU_DEP_1)
	v_mov_b32_e32 v5, v6
	s_wait_dscnt 0x1
	v_add_nc_u64_e32 v[2:3], v[2:3], v[4:5]
	s_wait_dscnt 0x0
	s_delay_alu instid0(VALU_DEP_1)
	v_add_nc_u64_e32 v[2:3], v[2:3], v[6:7]
.LBB1397_12:
	s_or_b32 exec_lo, exec_lo, s5
	s_wait_dscnt 0x1
	v_dual_lshrrev_b32 v12, 5, v0 :: v_dual_bitop2_b32 v4, 31, v0 bitop3:0x54
	s_mov_b32 s5, exec_lo
	s_delay_alu instid0(VALU_DEP_1)
	v_cmpx_eq_u32_e64 v0, v4
; %bb.13:
	s_delay_alu instid0(VALU_DEP_2)
	v_lshlrev_b32_e32 v4, 3, v12
	ds_store_b64 v4, v[2:3]
; %bb.14:
	s_or_b32 exec_lo, exec_lo, s5
	s_delay_alu instid0(SALU_CYCLE_1)
	s_mov_b32 s5, exec_lo
	s_wait_dscnt 0x0
	s_barrier_signal -1
	s_barrier_wait -1
	v_cmpx_gt_u32_e32 16, v0
	s_cbranch_execz .LBB1397_24
; %bb.15:
	v_lshlrev_b32_e32 v13, 3, v0
	ds_load_b64 v[4:5], v13
	s_wait_dscnt 0x0
	v_mov_b32_dpp v8, v4 row_shr:1 row_mask:0xf bank_mask:0xf
	v_mov_b32_dpp v11, v5 row_shr:1 row_mask:0xf bank_mask:0xf
	v_mov_b32_e32 v6, v4
	s_and_saveexec_b32 s4, s0
; %bb.16:
	v_mov_b32_e32 v10, 0
	s_delay_alu instid0(VALU_DEP_1) | instskip(NEXT) | instid1(VALU_DEP_1)
	v_mov_b32_e32 v9, v10
	v_add_nc_u64_e32 v[6:7], v[4:5], v[8:9]
	s_delay_alu instid0(VALU_DEP_1)
	v_add_nc_u64_e32 v[4:5], v[10:11], v[6:7]
; %bb.17:
	s_or_b32 exec_lo, exec_lo, s4
	v_mov_b32_dpp v8, v6 row_shr:2 row_mask:0xf bank_mask:0xf
	s_delay_alu instid0(VALU_DEP_2)
	v_mov_b32_dpp v11, v5 row_shr:2 row_mask:0xf bank_mask:0xf
	s_and_saveexec_b32 s0, s1
; %bb.18:
	v_mov_b32_e32 v10, 0
	s_delay_alu instid0(VALU_DEP_1) | instskip(NEXT) | instid1(VALU_DEP_1)
	v_mov_b32_e32 v9, v10
	v_add_nc_u64_e32 v[6:7], v[4:5], v[8:9]
	s_delay_alu instid0(VALU_DEP_1)
	v_add_nc_u64_e32 v[4:5], v[10:11], v[6:7]
; %bb.19:
	s_or_b32 exec_lo, exec_lo, s0
	v_mov_b32_dpp v8, v6 row_shr:4 row_mask:0xf bank_mask:0xf
	s_delay_alu instid0(VALU_DEP_2)
	v_mov_b32_dpp v11, v5 row_shr:4 row_mask:0xf bank_mask:0xf
	;; [unrolled: 13-line block ×3, first 2 shown]
	s_and_saveexec_b32 s0, s3
; %bb.22:
	v_mov_b32_e32 v8, 0
	s_delay_alu instid0(VALU_DEP_1) | instskip(NEXT) | instid1(VALU_DEP_1)
	v_mov_b32_e32 v7, v8
	v_add_nc_u64_e32 v[4:5], v[4:5], v[6:7]
	s_delay_alu instid0(VALU_DEP_1)
	v_add_nc_u64_e32 v[4:5], v[4:5], v[8:9]
; %bb.23:
	s_or_b32 exec_lo, exec_lo, s0
	ds_store_b64 v13, v[4:5]
.LBB1397_24:
	s_or_b32 exec_lo, exec_lo, s5
	v_mov_b64_e32 v[4:5], 0
	s_mov_b32 s1, exec_lo
	s_wait_dscnt 0x0
	s_barrier_signal -1
	s_barrier_wait -1
	v_cmpx_lt_u32_e32 31, v0
; %bb.25:
	v_lshl_add_u32 v4, v12, 3, -8
	ds_load_b64 v[4:5], v4
; %bb.26:
	s_or_b32 exec_lo, exec_lo, s1
	v_add_nc_u32_e32 v6, -1, v1
	s_wait_dscnt 0x0
	v_add_nc_u64_e32 v[2:3], v[4:5], v[2:3]
	s_delay_alu instid0(VALU_DEP_2) | instskip(NEXT) | instid1(VALU_DEP_1)
	v_cmp_gt_i32_e64 s0, 0, v6
	v_cndmask_b32_e64 v6, v6, v1, s0
	s_delay_alu instid0(VALU_DEP_1)
	v_lshlrev_b32_e32 v6, 2, v6
	ds_bpermute_b32 v2, v6, v2
	ds_bpermute_b32 v3, v6, v3
	s_and_saveexec_b32 s0, vcc_lo
	s_cbranch_execz .LBB1397_28
; %bb.27:
	v_cmp_eq_u32_e32 vcc_lo, 0, v1
	s_wait_dscnt 0x0
	v_dual_cndmask_b32 v3, v3, v5 :: v_dual_cndmask_b32 v2, v2, v4
	global_store_b64 v0, v[2:3], s[6:7] scale_offset
.LBB1397_28:
	s_endpgm
	.section	.rodata,"a",@progbits
	.p2align	6, 0x0
	.amdhsa_kernel _ZN7rocprim17ROCPRIM_400000_NS6detail17trampoline_kernelINS0_14default_configENS1_35radix_sort_onesweep_config_selectorIfNS0_10empty_typeEEEZNS1_34radix_sort_onesweep_global_offsetsIS3_Lb0EPKfPS5_mNS0_19identity_decomposerEEE10hipError_tT1_T2_PT3_SF_jT4_jjP12ihipStream_tbEUlT_E0_NS1_11comp_targetILNS1_3genE0ELNS1_11target_archE4294967295ELNS1_3gpuE0ELNS1_3repE0EEENS1_52radix_sort_onesweep_histogram_config_static_selectorELNS0_4arch9wavefront6targetE0EEEvSD_
		.amdhsa_group_segment_fixed_size 128
		.amdhsa_private_segment_fixed_size 0
		.amdhsa_kernarg_size 8
		.amdhsa_user_sgpr_count 2
		.amdhsa_user_sgpr_dispatch_ptr 0
		.amdhsa_user_sgpr_queue_ptr 0
		.amdhsa_user_sgpr_kernarg_segment_ptr 1
		.amdhsa_user_sgpr_dispatch_id 0
		.amdhsa_user_sgpr_kernarg_preload_length 0
		.amdhsa_user_sgpr_kernarg_preload_offset 0
		.amdhsa_user_sgpr_private_segment_size 0
		.amdhsa_wavefront_size32 1
		.amdhsa_uses_dynamic_stack 0
		.amdhsa_enable_private_segment 0
		.amdhsa_system_sgpr_workgroup_id_x 1
		.amdhsa_system_sgpr_workgroup_id_y 0
		.amdhsa_system_sgpr_workgroup_id_z 0
		.amdhsa_system_sgpr_workgroup_info 0
		.amdhsa_system_vgpr_workitem_id 0
		.amdhsa_next_free_vgpr 14
		.amdhsa_next_free_sgpr 8
		.amdhsa_named_barrier_count 0
		.amdhsa_reserve_vcc 1
		.amdhsa_float_round_mode_32 0
		.amdhsa_float_round_mode_16_64 0
		.amdhsa_float_denorm_mode_32 3
		.amdhsa_float_denorm_mode_16_64 3
		.amdhsa_fp16_overflow 0
		.amdhsa_memory_ordered 1
		.amdhsa_forward_progress 1
		.amdhsa_inst_pref_size 7
		.amdhsa_round_robin_scheduling 0
		.amdhsa_exception_fp_ieee_invalid_op 0
		.amdhsa_exception_fp_denorm_src 0
		.amdhsa_exception_fp_ieee_div_zero 0
		.amdhsa_exception_fp_ieee_overflow 0
		.amdhsa_exception_fp_ieee_underflow 0
		.amdhsa_exception_fp_ieee_inexact 0
		.amdhsa_exception_int_div_zero 0
	.end_amdhsa_kernel
	.section	.text._ZN7rocprim17ROCPRIM_400000_NS6detail17trampoline_kernelINS0_14default_configENS1_35radix_sort_onesweep_config_selectorIfNS0_10empty_typeEEEZNS1_34radix_sort_onesweep_global_offsetsIS3_Lb0EPKfPS5_mNS0_19identity_decomposerEEE10hipError_tT1_T2_PT3_SF_jT4_jjP12ihipStream_tbEUlT_E0_NS1_11comp_targetILNS1_3genE0ELNS1_11target_archE4294967295ELNS1_3gpuE0ELNS1_3repE0EEENS1_52radix_sort_onesweep_histogram_config_static_selectorELNS0_4arch9wavefront6targetE0EEEvSD_,"axG",@progbits,_ZN7rocprim17ROCPRIM_400000_NS6detail17trampoline_kernelINS0_14default_configENS1_35radix_sort_onesweep_config_selectorIfNS0_10empty_typeEEEZNS1_34radix_sort_onesweep_global_offsetsIS3_Lb0EPKfPS5_mNS0_19identity_decomposerEEE10hipError_tT1_T2_PT3_SF_jT4_jjP12ihipStream_tbEUlT_E0_NS1_11comp_targetILNS1_3genE0ELNS1_11target_archE4294967295ELNS1_3gpuE0ELNS1_3repE0EEENS1_52radix_sort_onesweep_histogram_config_static_selectorELNS0_4arch9wavefront6targetE0EEEvSD_,comdat
.Lfunc_end1397:
	.size	_ZN7rocprim17ROCPRIM_400000_NS6detail17trampoline_kernelINS0_14default_configENS1_35radix_sort_onesweep_config_selectorIfNS0_10empty_typeEEEZNS1_34radix_sort_onesweep_global_offsetsIS3_Lb0EPKfPS5_mNS0_19identity_decomposerEEE10hipError_tT1_T2_PT3_SF_jT4_jjP12ihipStream_tbEUlT_E0_NS1_11comp_targetILNS1_3genE0ELNS1_11target_archE4294967295ELNS1_3gpuE0ELNS1_3repE0EEENS1_52radix_sort_onesweep_histogram_config_static_selectorELNS0_4arch9wavefront6targetE0EEEvSD_, .Lfunc_end1397-_ZN7rocprim17ROCPRIM_400000_NS6detail17trampoline_kernelINS0_14default_configENS1_35radix_sort_onesweep_config_selectorIfNS0_10empty_typeEEEZNS1_34radix_sort_onesweep_global_offsetsIS3_Lb0EPKfPS5_mNS0_19identity_decomposerEEE10hipError_tT1_T2_PT3_SF_jT4_jjP12ihipStream_tbEUlT_E0_NS1_11comp_targetILNS1_3genE0ELNS1_11target_archE4294967295ELNS1_3gpuE0ELNS1_3repE0EEENS1_52radix_sort_onesweep_histogram_config_static_selectorELNS0_4arch9wavefront6targetE0EEEvSD_
                                        ; -- End function
	.set _ZN7rocprim17ROCPRIM_400000_NS6detail17trampoline_kernelINS0_14default_configENS1_35radix_sort_onesweep_config_selectorIfNS0_10empty_typeEEEZNS1_34radix_sort_onesweep_global_offsetsIS3_Lb0EPKfPS5_mNS0_19identity_decomposerEEE10hipError_tT1_T2_PT3_SF_jT4_jjP12ihipStream_tbEUlT_E0_NS1_11comp_targetILNS1_3genE0ELNS1_11target_archE4294967295ELNS1_3gpuE0ELNS1_3repE0EEENS1_52radix_sort_onesweep_histogram_config_static_selectorELNS0_4arch9wavefront6targetE0EEEvSD_.num_vgpr, 14
	.set _ZN7rocprim17ROCPRIM_400000_NS6detail17trampoline_kernelINS0_14default_configENS1_35radix_sort_onesweep_config_selectorIfNS0_10empty_typeEEEZNS1_34radix_sort_onesweep_global_offsetsIS3_Lb0EPKfPS5_mNS0_19identity_decomposerEEE10hipError_tT1_T2_PT3_SF_jT4_jjP12ihipStream_tbEUlT_E0_NS1_11comp_targetILNS1_3genE0ELNS1_11target_archE4294967295ELNS1_3gpuE0ELNS1_3repE0EEENS1_52radix_sort_onesweep_histogram_config_static_selectorELNS0_4arch9wavefront6targetE0EEEvSD_.num_agpr, 0
	.set _ZN7rocprim17ROCPRIM_400000_NS6detail17trampoline_kernelINS0_14default_configENS1_35radix_sort_onesweep_config_selectorIfNS0_10empty_typeEEEZNS1_34radix_sort_onesweep_global_offsetsIS3_Lb0EPKfPS5_mNS0_19identity_decomposerEEE10hipError_tT1_T2_PT3_SF_jT4_jjP12ihipStream_tbEUlT_E0_NS1_11comp_targetILNS1_3genE0ELNS1_11target_archE4294967295ELNS1_3gpuE0ELNS1_3repE0EEENS1_52radix_sort_onesweep_histogram_config_static_selectorELNS0_4arch9wavefront6targetE0EEEvSD_.numbered_sgpr, 8
	.set _ZN7rocprim17ROCPRIM_400000_NS6detail17trampoline_kernelINS0_14default_configENS1_35radix_sort_onesweep_config_selectorIfNS0_10empty_typeEEEZNS1_34radix_sort_onesweep_global_offsetsIS3_Lb0EPKfPS5_mNS0_19identity_decomposerEEE10hipError_tT1_T2_PT3_SF_jT4_jjP12ihipStream_tbEUlT_E0_NS1_11comp_targetILNS1_3genE0ELNS1_11target_archE4294967295ELNS1_3gpuE0ELNS1_3repE0EEENS1_52radix_sort_onesweep_histogram_config_static_selectorELNS0_4arch9wavefront6targetE0EEEvSD_.num_named_barrier, 0
	.set _ZN7rocprim17ROCPRIM_400000_NS6detail17trampoline_kernelINS0_14default_configENS1_35radix_sort_onesweep_config_selectorIfNS0_10empty_typeEEEZNS1_34radix_sort_onesweep_global_offsetsIS3_Lb0EPKfPS5_mNS0_19identity_decomposerEEE10hipError_tT1_T2_PT3_SF_jT4_jjP12ihipStream_tbEUlT_E0_NS1_11comp_targetILNS1_3genE0ELNS1_11target_archE4294967295ELNS1_3gpuE0ELNS1_3repE0EEENS1_52radix_sort_onesweep_histogram_config_static_selectorELNS0_4arch9wavefront6targetE0EEEvSD_.private_seg_size, 0
	.set _ZN7rocprim17ROCPRIM_400000_NS6detail17trampoline_kernelINS0_14default_configENS1_35radix_sort_onesweep_config_selectorIfNS0_10empty_typeEEEZNS1_34radix_sort_onesweep_global_offsetsIS3_Lb0EPKfPS5_mNS0_19identity_decomposerEEE10hipError_tT1_T2_PT3_SF_jT4_jjP12ihipStream_tbEUlT_E0_NS1_11comp_targetILNS1_3genE0ELNS1_11target_archE4294967295ELNS1_3gpuE0ELNS1_3repE0EEENS1_52radix_sort_onesweep_histogram_config_static_selectorELNS0_4arch9wavefront6targetE0EEEvSD_.uses_vcc, 1
	.set _ZN7rocprim17ROCPRIM_400000_NS6detail17trampoline_kernelINS0_14default_configENS1_35radix_sort_onesweep_config_selectorIfNS0_10empty_typeEEEZNS1_34radix_sort_onesweep_global_offsetsIS3_Lb0EPKfPS5_mNS0_19identity_decomposerEEE10hipError_tT1_T2_PT3_SF_jT4_jjP12ihipStream_tbEUlT_E0_NS1_11comp_targetILNS1_3genE0ELNS1_11target_archE4294967295ELNS1_3gpuE0ELNS1_3repE0EEENS1_52radix_sort_onesweep_histogram_config_static_selectorELNS0_4arch9wavefront6targetE0EEEvSD_.uses_flat_scratch, 0
	.set _ZN7rocprim17ROCPRIM_400000_NS6detail17trampoline_kernelINS0_14default_configENS1_35radix_sort_onesweep_config_selectorIfNS0_10empty_typeEEEZNS1_34radix_sort_onesweep_global_offsetsIS3_Lb0EPKfPS5_mNS0_19identity_decomposerEEE10hipError_tT1_T2_PT3_SF_jT4_jjP12ihipStream_tbEUlT_E0_NS1_11comp_targetILNS1_3genE0ELNS1_11target_archE4294967295ELNS1_3gpuE0ELNS1_3repE0EEENS1_52radix_sort_onesweep_histogram_config_static_selectorELNS0_4arch9wavefront6targetE0EEEvSD_.has_dyn_sized_stack, 0
	.set _ZN7rocprim17ROCPRIM_400000_NS6detail17trampoline_kernelINS0_14default_configENS1_35radix_sort_onesweep_config_selectorIfNS0_10empty_typeEEEZNS1_34radix_sort_onesweep_global_offsetsIS3_Lb0EPKfPS5_mNS0_19identity_decomposerEEE10hipError_tT1_T2_PT3_SF_jT4_jjP12ihipStream_tbEUlT_E0_NS1_11comp_targetILNS1_3genE0ELNS1_11target_archE4294967295ELNS1_3gpuE0ELNS1_3repE0EEENS1_52radix_sort_onesweep_histogram_config_static_selectorELNS0_4arch9wavefront6targetE0EEEvSD_.has_recursion, 0
	.set _ZN7rocprim17ROCPRIM_400000_NS6detail17trampoline_kernelINS0_14default_configENS1_35radix_sort_onesweep_config_selectorIfNS0_10empty_typeEEEZNS1_34radix_sort_onesweep_global_offsetsIS3_Lb0EPKfPS5_mNS0_19identity_decomposerEEE10hipError_tT1_T2_PT3_SF_jT4_jjP12ihipStream_tbEUlT_E0_NS1_11comp_targetILNS1_3genE0ELNS1_11target_archE4294967295ELNS1_3gpuE0ELNS1_3repE0EEENS1_52radix_sort_onesweep_histogram_config_static_selectorELNS0_4arch9wavefront6targetE0EEEvSD_.has_indirect_call, 0
	.section	.AMDGPU.csdata,"",@progbits
; Kernel info:
; codeLenInByte = 896
; TotalNumSgprs: 10
; NumVgprs: 14
; ScratchSize: 0
; MemoryBound: 0
; FloatMode: 240
; IeeeMode: 1
; LDSByteSize: 128 bytes/workgroup (compile time only)
; SGPRBlocks: 0
; VGPRBlocks: 0
; NumSGPRsForWavesPerEU: 10
; NumVGPRsForWavesPerEU: 14
; NamedBarCnt: 0
; Occupancy: 16
; WaveLimiterHint : 0
; COMPUTE_PGM_RSRC2:SCRATCH_EN: 0
; COMPUTE_PGM_RSRC2:USER_SGPR: 2
; COMPUTE_PGM_RSRC2:TRAP_HANDLER: 0
; COMPUTE_PGM_RSRC2:TGID_X_EN: 1
; COMPUTE_PGM_RSRC2:TGID_Y_EN: 0
; COMPUTE_PGM_RSRC2:TGID_Z_EN: 0
; COMPUTE_PGM_RSRC2:TIDIG_COMP_CNT: 0
	.section	.text._ZN7rocprim17ROCPRIM_400000_NS6detail17trampoline_kernelINS0_14default_configENS1_35radix_sort_onesweep_config_selectorIfNS0_10empty_typeEEEZNS1_34radix_sort_onesweep_global_offsetsIS3_Lb0EPKfPS5_mNS0_19identity_decomposerEEE10hipError_tT1_T2_PT3_SF_jT4_jjP12ihipStream_tbEUlT_E0_NS1_11comp_targetILNS1_3genE6ELNS1_11target_archE950ELNS1_3gpuE13ELNS1_3repE0EEENS1_52radix_sort_onesweep_histogram_config_static_selectorELNS0_4arch9wavefront6targetE0EEEvSD_,"axG",@progbits,_ZN7rocprim17ROCPRIM_400000_NS6detail17trampoline_kernelINS0_14default_configENS1_35radix_sort_onesweep_config_selectorIfNS0_10empty_typeEEEZNS1_34radix_sort_onesweep_global_offsetsIS3_Lb0EPKfPS5_mNS0_19identity_decomposerEEE10hipError_tT1_T2_PT3_SF_jT4_jjP12ihipStream_tbEUlT_E0_NS1_11comp_targetILNS1_3genE6ELNS1_11target_archE950ELNS1_3gpuE13ELNS1_3repE0EEENS1_52radix_sort_onesweep_histogram_config_static_selectorELNS0_4arch9wavefront6targetE0EEEvSD_,comdat
	.protected	_ZN7rocprim17ROCPRIM_400000_NS6detail17trampoline_kernelINS0_14default_configENS1_35radix_sort_onesweep_config_selectorIfNS0_10empty_typeEEEZNS1_34radix_sort_onesweep_global_offsetsIS3_Lb0EPKfPS5_mNS0_19identity_decomposerEEE10hipError_tT1_T2_PT3_SF_jT4_jjP12ihipStream_tbEUlT_E0_NS1_11comp_targetILNS1_3genE6ELNS1_11target_archE950ELNS1_3gpuE13ELNS1_3repE0EEENS1_52radix_sort_onesweep_histogram_config_static_selectorELNS0_4arch9wavefront6targetE0EEEvSD_ ; -- Begin function _ZN7rocprim17ROCPRIM_400000_NS6detail17trampoline_kernelINS0_14default_configENS1_35radix_sort_onesweep_config_selectorIfNS0_10empty_typeEEEZNS1_34radix_sort_onesweep_global_offsetsIS3_Lb0EPKfPS5_mNS0_19identity_decomposerEEE10hipError_tT1_T2_PT3_SF_jT4_jjP12ihipStream_tbEUlT_E0_NS1_11comp_targetILNS1_3genE6ELNS1_11target_archE950ELNS1_3gpuE13ELNS1_3repE0EEENS1_52radix_sort_onesweep_histogram_config_static_selectorELNS0_4arch9wavefront6targetE0EEEvSD_
	.globl	_ZN7rocprim17ROCPRIM_400000_NS6detail17trampoline_kernelINS0_14default_configENS1_35radix_sort_onesweep_config_selectorIfNS0_10empty_typeEEEZNS1_34radix_sort_onesweep_global_offsetsIS3_Lb0EPKfPS5_mNS0_19identity_decomposerEEE10hipError_tT1_T2_PT3_SF_jT4_jjP12ihipStream_tbEUlT_E0_NS1_11comp_targetILNS1_3genE6ELNS1_11target_archE950ELNS1_3gpuE13ELNS1_3repE0EEENS1_52radix_sort_onesweep_histogram_config_static_selectorELNS0_4arch9wavefront6targetE0EEEvSD_
	.p2align	8
	.type	_ZN7rocprim17ROCPRIM_400000_NS6detail17trampoline_kernelINS0_14default_configENS1_35radix_sort_onesweep_config_selectorIfNS0_10empty_typeEEEZNS1_34radix_sort_onesweep_global_offsetsIS3_Lb0EPKfPS5_mNS0_19identity_decomposerEEE10hipError_tT1_T2_PT3_SF_jT4_jjP12ihipStream_tbEUlT_E0_NS1_11comp_targetILNS1_3genE6ELNS1_11target_archE950ELNS1_3gpuE13ELNS1_3repE0EEENS1_52radix_sort_onesweep_histogram_config_static_selectorELNS0_4arch9wavefront6targetE0EEEvSD_,@function
_ZN7rocprim17ROCPRIM_400000_NS6detail17trampoline_kernelINS0_14default_configENS1_35radix_sort_onesweep_config_selectorIfNS0_10empty_typeEEEZNS1_34radix_sort_onesweep_global_offsetsIS3_Lb0EPKfPS5_mNS0_19identity_decomposerEEE10hipError_tT1_T2_PT3_SF_jT4_jjP12ihipStream_tbEUlT_E0_NS1_11comp_targetILNS1_3genE6ELNS1_11target_archE950ELNS1_3gpuE13ELNS1_3repE0EEENS1_52radix_sort_onesweep_histogram_config_static_selectorELNS0_4arch9wavefront6targetE0EEEvSD_: ; @_ZN7rocprim17ROCPRIM_400000_NS6detail17trampoline_kernelINS0_14default_configENS1_35radix_sort_onesweep_config_selectorIfNS0_10empty_typeEEEZNS1_34radix_sort_onesweep_global_offsetsIS3_Lb0EPKfPS5_mNS0_19identity_decomposerEEE10hipError_tT1_T2_PT3_SF_jT4_jjP12ihipStream_tbEUlT_E0_NS1_11comp_targetILNS1_3genE6ELNS1_11target_archE950ELNS1_3gpuE13ELNS1_3repE0EEENS1_52radix_sort_onesweep_histogram_config_static_selectorELNS0_4arch9wavefront6targetE0EEEvSD_
; %bb.0:
	.section	.rodata,"a",@progbits
	.p2align	6, 0x0
	.amdhsa_kernel _ZN7rocprim17ROCPRIM_400000_NS6detail17trampoline_kernelINS0_14default_configENS1_35radix_sort_onesweep_config_selectorIfNS0_10empty_typeEEEZNS1_34radix_sort_onesweep_global_offsetsIS3_Lb0EPKfPS5_mNS0_19identity_decomposerEEE10hipError_tT1_T2_PT3_SF_jT4_jjP12ihipStream_tbEUlT_E0_NS1_11comp_targetILNS1_3genE6ELNS1_11target_archE950ELNS1_3gpuE13ELNS1_3repE0EEENS1_52radix_sort_onesweep_histogram_config_static_selectorELNS0_4arch9wavefront6targetE0EEEvSD_
		.amdhsa_group_segment_fixed_size 0
		.amdhsa_private_segment_fixed_size 0
		.amdhsa_kernarg_size 8
		.amdhsa_user_sgpr_count 2
		.amdhsa_user_sgpr_dispatch_ptr 0
		.amdhsa_user_sgpr_queue_ptr 0
		.amdhsa_user_sgpr_kernarg_segment_ptr 1
		.amdhsa_user_sgpr_dispatch_id 0
		.amdhsa_user_sgpr_kernarg_preload_length 0
		.amdhsa_user_sgpr_kernarg_preload_offset 0
		.amdhsa_user_sgpr_private_segment_size 0
		.amdhsa_wavefront_size32 1
		.amdhsa_uses_dynamic_stack 0
		.amdhsa_enable_private_segment 0
		.amdhsa_system_sgpr_workgroup_id_x 1
		.amdhsa_system_sgpr_workgroup_id_y 0
		.amdhsa_system_sgpr_workgroup_id_z 0
		.amdhsa_system_sgpr_workgroup_info 0
		.amdhsa_system_vgpr_workitem_id 0
		.amdhsa_next_free_vgpr 1
		.amdhsa_next_free_sgpr 1
		.amdhsa_named_barrier_count 0
		.amdhsa_reserve_vcc 0
		.amdhsa_float_round_mode_32 0
		.amdhsa_float_round_mode_16_64 0
		.amdhsa_float_denorm_mode_32 3
		.amdhsa_float_denorm_mode_16_64 3
		.amdhsa_fp16_overflow 0
		.amdhsa_memory_ordered 1
		.amdhsa_forward_progress 1
		.amdhsa_inst_pref_size 0
		.amdhsa_round_robin_scheduling 0
		.amdhsa_exception_fp_ieee_invalid_op 0
		.amdhsa_exception_fp_denorm_src 0
		.amdhsa_exception_fp_ieee_div_zero 0
		.amdhsa_exception_fp_ieee_overflow 0
		.amdhsa_exception_fp_ieee_underflow 0
		.amdhsa_exception_fp_ieee_inexact 0
		.amdhsa_exception_int_div_zero 0
	.end_amdhsa_kernel
	.section	.text._ZN7rocprim17ROCPRIM_400000_NS6detail17trampoline_kernelINS0_14default_configENS1_35radix_sort_onesweep_config_selectorIfNS0_10empty_typeEEEZNS1_34radix_sort_onesweep_global_offsetsIS3_Lb0EPKfPS5_mNS0_19identity_decomposerEEE10hipError_tT1_T2_PT3_SF_jT4_jjP12ihipStream_tbEUlT_E0_NS1_11comp_targetILNS1_3genE6ELNS1_11target_archE950ELNS1_3gpuE13ELNS1_3repE0EEENS1_52radix_sort_onesweep_histogram_config_static_selectorELNS0_4arch9wavefront6targetE0EEEvSD_,"axG",@progbits,_ZN7rocprim17ROCPRIM_400000_NS6detail17trampoline_kernelINS0_14default_configENS1_35radix_sort_onesweep_config_selectorIfNS0_10empty_typeEEEZNS1_34radix_sort_onesweep_global_offsetsIS3_Lb0EPKfPS5_mNS0_19identity_decomposerEEE10hipError_tT1_T2_PT3_SF_jT4_jjP12ihipStream_tbEUlT_E0_NS1_11comp_targetILNS1_3genE6ELNS1_11target_archE950ELNS1_3gpuE13ELNS1_3repE0EEENS1_52radix_sort_onesweep_histogram_config_static_selectorELNS0_4arch9wavefront6targetE0EEEvSD_,comdat
.Lfunc_end1398:
	.size	_ZN7rocprim17ROCPRIM_400000_NS6detail17trampoline_kernelINS0_14default_configENS1_35radix_sort_onesweep_config_selectorIfNS0_10empty_typeEEEZNS1_34radix_sort_onesweep_global_offsetsIS3_Lb0EPKfPS5_mNS0_19identity_decomposerEEE10hipError_tT1_T2_PT3_SF_jT4_jjP12ihipStream_tbEUlT_E0_NS1_11comp_targetILNS1_3genE6ELNS1_11target_archE950ELNS1_3gpuE13ELNS1_3repE0EEENS1_52radix_sort_onesweep_histogram_config_static_selectorELNS0_4arch9wavefront6targetE0EEEvSD_, .Lfunc_end1398-_ZN7rocprim17ROCPRIM_400000_NS6detail17trampoline_kernelINS0_14default_configENS1_35radix_sort_onesweep_config_selectorIfNS0_10empty_typeEEEZNS1_34radix_sort_onesweep_global_offsetsIS3_Lb0EPKfPS5_mNS0_19identity_decomposerEEE10hipError_tT1_T2_PT3_SF_jT4_jjP12ihipStream_tbEUlT_E0_NS1_11comp_targetILNS1_3genE6ELNS1_11target_archE950ELNS1_3gpuE13ELNS1_3repE0EEENS1_52radix_sort_onesweep_histogram_config_static_selectorELNS0_4arch9wavefront6targetE0EEEvSD_
                                        ; -- End function
	.set _ZN7rocprim17ROCPRIM_400000_NS6detail17trampoline_kernelINS0_14default_configENS1_35radix_sort_onesweep_config_selectorIfNS0_10empty_typeEEEZNS1_34radix_sort_onesweep_global_offsetsIS3_Lb0EPKfPS5_mNS0_19identity_decomposerEEE10hipError_tT1_T2_PT3_SF_jT4_jjP12ihipStream_tbEUlT_E0_NS1_11comp_targetILNS1_3genE6ELNS1_11target_archE950ELNS1_3gpuE13ELNS1_3repE0EEENS1_52radix_sort_onesweep_histogram_config_static_selectorELNS0_4arch9wavefront6targetE0EEEvSD_.num_vgpr, 0
	.set _ZN7rocprim17ROCPRIM_400000_NS6detail17trampoline_kernelINS0_14default_configENS1_35radix_sort_onesweep_config_selectorIfNS0_10empty_typeEEEZNS1_34radix_sort_onesweep_global_offsetsIS3_Lb0EPKfPS5_mNS0_19identity_decomposerEEE10hipError_tT1_T2_PT3_SF_jT4_jjP12ihipStream_tbEUlT_E0_NS1_11comp_targetILNS1_3genE6ELNS1_11target_archE950ELNS1_3gpuE13ELNS1_3repE0EEENS1_52radix_sort_onesweep_histogram_config_static_selectorELNS0_4arch9wavefront6targetE0EEEvSD_.num_agpr, 0
	.set _ZN7rocprim17ROCPRIM_400000_NS6detail17trampoline_kernelINS0_14default_configENS1_35radix_sort_onesweep_config_selectorIfNS0_10empty_typeEEEZNS1_34radix_sort_onesweep_global_offsetsIS3_Lb0EPKfPS5_mNS0_19identity_decomposerEEE10hipError_tT1_T2_PT3_SF_jT4_jjP12ihipStream_tbEUlT_E0_NS1_11comp_targetILNS1_3genE6ELNS1_11target_archE950ELNS1_3gpuE13ELNS1_3repE0EEENS1_52radix_sort_onesweep_histogram_config_static_selectorELNS0_4arch9wavefront6targetE0EEEvSD_.numbered_sgpr, 0
	.set _ZN7rocprim17ROCPRIM_400000_NS6detail17trampoline_kernelINS0_14default_configENS1_35radix_sort_onesweep_config_selectorIfNS0_10empty_typeEEEZNS1_34radix_sort_onesweep_global_offsetsIS3_Lb0EPKfPS5_mNS0_19identity_decomposerEEE10hipError_tT1_T2_PT3_SF_jT4_jjP12ihipStream_tbEUlT_E0_NS1_11comp_targetILNS1_3genE6ELNS1_11target_archE950ELNS1_3gpuE13ELNS1_3repE0EEENS1_52radix_sort_onesweep_histogram_config_static_selectorELNS0_4arch9wavefront6targetE0EEEvSD_.num_named_barrier, 0
	.set _ZN7rocprim17ROCPRIM_400000_NS6detail17trampoline_kernelINS0_14default_configENS1_35radix_sort_onesweep_config_selectorIfNS0_10empty_typeEEEZNS1_34radix_sort_onesweep_global_offsetsIS3_Lb0EPKfPS5_mNS0_19identity_decomposerEEE10hipError_tT1_T2_PT3_SF_jT4_jjP12ihipStream_tbEUlT_E0_NS1_11comp_targetILNS1_3genE6ELNS1_11target_archE950ELNS1_3gpuE13ELNS1_3repE0EEENS1_52radix_sort_onesweep_histogram_config_static_selectorELNS0_4arch9wavefront6targetE0EEEvSD_.private_seg_size, 0
	.set _ZN7rocprim17ROCPRIM_400000_NS6detail17trampoline_kernelINS0_14default_configENS1_35radix_sort_onesweep_config_selectorIfNS0_10empty_typeEEEZNS1_34radix_sort_onesweep_global_offsetsIS3_Lb0EPKfPS5_mNS0_19identity_decomposerEEE10hipError_tT1_T2_PT3_SF_jT4_jjP12ihipStream_tbEUlT_E0_NS1_11comp_targetILNS1_3genE6ELNS1_11target_archE950ELNS1_3gpuE13ELNS1_3repE0EEENS1_52radix_sort_onesweep_histogram_config_static_selectorELNS0_4arch9wavefront6targetE0EEEvSD_.uses_vcc, 0
	.set _ZN7rocprim17ROCPRIM_400000_NS6detail17trampoline_kernelINS0_14default_configENS1_35radix_sort_onesweep_config_selectorIfNS0_10empty_typeEEEZNS1_34radix_sort_onesweep_global_offsetsIS3_Lb0EPKfPS5_mNS0_19identity_decomposerEEE10hipError_tT1_T2_PT3_SF_jT4_jjP12ihipStream_tbEUlT_E0_NS1_11comp_targetILNS1_3genE6ELNS1_11target_archE950ELNS1_3gpuE13ELNS1_3repE0EEENS1_52radix_sort_onesweep_histogram_config_static_selectorELNS0_4arch9wavefront6targetE0EEEvSD_.uses_flat_scratch, 0
	.set _ZN7rocprim17ROCPRIM_400000_NS6detail17trampoline_kernelINS0_14default_configENS1_35radix_sort_onesweep_config_selectorIfNS0_10empty_typeEEEZNS1_34radix_sort_onesweep_global_offsetsIS3_Lb0EPKfPS5_mNS0_19identity_decomposerEEE10hipError_tT1_T2_PT3_SF_jT4_jjP12ihipStream_tbEUlT_E0_NS1_11comp_targetILNS1_3genE6ELNS1_11target_archE950ELNS1_3gpuE13ELNS1_3repE0EEENS1_52radix_sort_onesweep_histogram_config_static_selectorELNS0_4arch9wavefront6targetE0EEEvSD_.has_dyn_sized_stack, 0
	.set _ZN7rocprim17ROCPRIM_400000_NS6detail17trampoline_kernelINS0_14default_configENS1_35radix_sort_onesweep_config_selectorIfNS0_10empty_typeEEEZNS1_34radix_sort_onesweep_global_offsetsIS3_Lb0EPKfPS5_mNS0_19identity_decomposerEEE10hipError_tT1_T2_PT3_SF_jT4_jjP12ihipStream_tbEUlT_E0_NS1_11comp_targetILNS1_3genE6ELNS1_11target_archE950ELNS1_3gpuE13ELNS1_3repE0EEENS1_52radix_sort_onesweep_histogram_config_static_selectorELNS0_4arch9wavefront6targetE0EEEvSD_.has_recursion, 0
	.set _ZN7rocprim17ROCPRIM_400000_NS6detail17trampoline_kernelINS0_14default_configENS1_35radix_sort_onesweep_config_selectorIfNS0_10empty_typeEEEZNS1_34radix_sort_onesweep_global_offsetsIS3_Lb0EPKfPS5_mNS0_19identity_decomposerEEE10hipError_tT1_T2_PT3_SF_jT4_jjP12ihipStream_tbEUlT_E0_NS1_11comp_targetILNS1_3genE6ELNS1_11target_archE950ELNS1_3gpuE13ELNS1_3repE0EEENS1_52radix_sort_onesweep_histogram_config_static_selectorELNS0_4arch9wavefront6targetE0EEEvSD_.has_indirect_call, 0
	.section	.AMDGPU.csdata,"",@progbits
; Kernel info:
; codeLenInByte = 0
; TotalNumSgprs: 0
; NumVgprs: 0
; ScratchSize: 0
; MemoryBound: 0
; FloatMode: 240
; IeeeMode: 1
; LDSByteSize: 0 bytes/workgroup (compile time only)
; SGPRBlocks: 0
; VGPRBlocks: 0
; NumSGPRsForWavesPerEU: 1
; NumVGPRsForWavesPerEU: 1
; NamedBarCnt: 0
; Occupancy: 16
; WaveLimiterHint : 0
; COMPUTE_PGM_RSRC2:SCRATCH_EN: 0
; COMPUTE_PGM_RSRC2:USER_SGPR: 2
; COMPUTE_PGM_RSRC2:TRAP_HANDLER: 0
; COMPUTE_PGM_RSRC2:TGID_X_EN: 1
; COMPUTE_PGM_RSRC2:TGID_Y_EN: 0
; COMPUTE_PGM_RSRC2:TGID_Z_EN: 0
; COMPUTE_PGM_RSRC2:TIDIG_COMP_CNT: 0
	.section	.text._ZN7rocprim17ROCPRIM_400000_NS6detail17trampoline_kernelINS0_14default_configENS1_35radix_sort_onesweep_config_selectorIfNS0_10empty_typeEEEZNS1_34radix_sort_onesweep_global_offsetsIS3_Lb0EPKfPS5_mNS0_19identity_decomposerEEE10hipError_tT1_T2_PT3_SF_jT4_jjP12ihipStream_tbEUlT_E0_NS1_11comp_targetILNS1_3genE5ELNS1_11target_archE942ELNS1_3gpuE9ELNS1_3repE0EEENS1_52radix_sort_onesweep_histogram_config_static_selectorELNS0_4arch9wavefront6targetE0EEEvSD_,"axG",@progbits,_ZN7rocprim17ROCPRIM_400000_NS6detail17trampoline_kernelINS0_14default_configENS1_35radix_sort_onesweep_config_selectorIfNS0_10empty_typeEEEZNS1_34radix_sort_onesweep_global_offsetsIS3_Lb0EPKfPS5_mNS0_19identity_decomposerEEE10hipError_tT1_T2_PT3_SF_jT4_jjP12ihipStream_tbEUlT_E0_NS1_11comp_targetILNS1_3genE5ELNS1_11target_archE942ELNS1_3gpuE9ELNS1_3repE0EEENS1_52radix_sort_onesweep_histogram_config_static_selectorELNS0_4arch9wavefront6targetE0EEEvSD_,comdat
	.protected	_ZN7rocprim17ROCPRIM_400000_NS6detail17trampoline_kernelINS0_14default_configENS1_35radix_sort_onesweep_config_selectorIfNS0_10empty_typeEEEZNS1_34radix_sort_onesweep_global_offsetsIS3_Lb0EPKfPS5_mNS0_19identity_decomposerEEE10hipError_tT1_T2_PT3_SF_jT4_jjP12ihipStream_tbEUlT_E0_NS1_11comp_targetILNS1_3genE5ELNS1_11target_archE942ELNS1_3gpuE9ELNS1_3repE0EEENS1_52radix_sort_onesweep_histogram_config_static_selectorELNS0_4arch9wavefront6targetE0EEEvSD_ ; -- Begin function _ZN7rocprim17ROCPRIM_400000_NS6detail17trampoline_kernelINS0_14default_configENS1_35radix_sort_onesweep_config_selectorIfNS0_10empty_typeEEEZNS1_34radix_sort_onesweep_global_offsetsIS3_Lb0EPKfPS5_mNS0_19identity_decomposerEEE10hipError_tT1_T2_PT3_SF_jT4_jjP12ihipStream_tbEUlT_E0_NS1_11comp_targetILNS1_3genE5ELNS1_11target_archE942ELNS1_3gpuE9ELNS1_3repE0EEENS1_52radix_sort_onesweep_histogram_config_static_selectorELNS0_4arch9wavefront6targetE0EEEvSD_
	.globl	_ZN7rocprim17ROCPRIM_400000_NS6detail17trampoline_kernelINS0_14default_configENS1_35radix_sort_onesweep_config_selectorIfNS0_10empty_typeEEEZNS1_34radix_sort_onesweep_global_offsetsIS3_Lb0EPKfPS5_mNS0_19identity_decomposerEEE10hipError_tT1_T2_PT3_SF_jT4_jjP12ihipStream_tbEUlT_E0_NS1_11comp_targetILNS1_3genE5ELNS1_11target_archE942ELNS1_3gpuE9ELNS1_3repE0EEENS1_52radix_sort_onesweep_histogram_config_static_selectorELNS0_4arch9wavefront6targetE0EEEvSD_
	.p2align	8
	.type	_ZN7rocprim17ROCPRIM_400000_NS6detail17trampoline_kernelINS0_14default_configENS1_35radix_sort_onesweep_config_selectorIfNS0_10empty_typeEEEZNS1_34radix_sort_onesweep_global_offsetsIS3_Lb0EPKfPS5_mNS0_19identity_decomposerEEE10hipError_tT1_T2_PT3_SF_jT4_jjP12ihipStream_tbEUlT_E0_NS1_11comp_targetILNS1_3genE5ELNS1_11target_archE942ELNS1_3gpuE9ELNS1_3repE0EEENS1_52radix_sort_onesweep_histogram_config_static_selectorELNS0_4arch9wavefront6targetE0EEEvSD_,@function
_ZN7rocprim17ROCPRIM_400000_NS6detail17trampoline_kernelINS0_14default_configENS1_35radix_sort_onesweep_config_selectorIfNS0_10empty_typeEEEZNS1_34radix_sort_onesweep_global_offsetsIS3_Lb0EPKfPS5_mNS0_19identity_decomposerEEE10hipError_tT1_T2_PT3_SF_jT4_jjP12ihipStream_tbEUlT_E0_NS1_11comp_targetILNS1_3genE5ELNS1_11target_archE942ELNS1_3gpuE9ELNS1_3repE0EEENS1_52radix_sort_onesweep_histogram_config_static_selectorELNS0_4arch9wavefront6targetE0EEEvSD_: ; @_ZN7rocprim17ROCPRIM_400000_NS6detail17trampoline_kernelINS0_14default_configENS1_35radix_sort_onesweep_config_selectorIfNS0_10empty_typeEEEZNS1_34radix_sort_onesweep_global_offsetsIS3_Lb0EPKfPS5_mNS0_19identity_decomposerEEE10hipError_tT1_T2_PT3_SF_jT4_jjP12ihipStream_tbEUlT_E0_NS1_11comp_targetILNS1_3genE5ELNS1_11target_archE942ELNS1_3gpuE9ELNS1_3repE0EEENS1_52radix_sort_onesweep_histogram_config_static_selectorELNS0_4arch9wavefront6targetE0EEEvSD_
; %bb.0:
	.section	.rodata,"a",@progbits
	.p2align	6, 0x0
	.amdhsa_kernel _ZN7rocprim17ROCPRIM_400000_NS6detail17trampoline_kernelINS0_14default_configENS1_35radix_sort_onesweep_config_selectorIfNS0_10empty_typeEEEZNS1_34radix_sort_onesweep_global_offsetsIS3_Lb0EPKfPS5_mNS0_19identity_decomposerEEE10hipError_tT1_T2_PT3_SF_jT4_jjP12ihipStream_tbEUlT_E0_NS1_11comp_targetILNS1_3genE5ELNS1_11target_archE942ELNS1_3gpuE9ELNS1_3repE0EEENS1_52radix_sort_onesweep_histogram_config_static_selectorELNS0_4arch9wavefront6targetE0EEEvSD_
		.amdhsa_group_segment_fixed_size 0
		.amdhsa_private_segment_fixed_size 0
		.amdhsa_kernarg_size 8
		.amdhsa_user_sgpr_count 2
		.amdhsa_user_sgpr_dispatch_ptr 0
		.amdhsa_user_sgpr_queue_ptr 0
		.amdhsa_user_sgpr_kernarg_segment_ptr 1
		.amdhsa_user_sgpr_dispatch_id 0
		.amdhsa_user_sgpr_kernarg_preload_length 0
		.amdhsa_user_sgpr_kernarg_preload_offset 0
		.amdhsa_user_sgpr_private_segment_size 0
		.amdhsa_wavefront_size32 1
		.amdhsa_uses_dynamic_stack 0
		.amdhsa_enable_private_segment 0
		.amdhsa_system_sgpr_workgroup_id_x 1
		.amdhsa_system_sgpr_workgroup_id_y 0
		.amdhsa_system_sgpr_workgroup_id_z 0
		.amdhsa_system_sgpr_workgroup_info 0
		.amdhsa_system_vgpr_workitem_id 0
		.amdhsa_next_free_vgpr 1
		.amdhsa_next_free_sgpr 1
		.amdhsa_named_barrier_count 0
		.amdhsa_reserve_vcc 0
		.amdhsa_float_round_mode_32 0
		.amdhsa_float_round_mode_16_64 0
		.amdhsa_float_denorm_mode_32 3
		.amdhsa_float_denorm_mode_16_64 3
		.amdhsa_fp16_overflow 0
		.amdhsa_memory_ordered 1
		.amdhsa_forward_progress 1
		.amdhsa_inst_pref_size 0
		.amdhsa_round_robin_scheduling 0
		.amdhsa_exception_fp_ieee_invalid_op 0
		.amdhsa_exception_fp_denorm_src 0
		.amdhsa_exception_fp_ieee_div_zero 0
		.amdhsa_exception_fp_ieee_overflow 0
		.amdhsa_exception_fp_ieee_underflow 0
		.amdhsa_exception_fp_ieee_inexact 0
		.amdhsa_exception_int_div_zero 0
	.end_amdhsa_kernel
	.section	.text._ZN7rocprim17ROCPRIM_400000_NS6detail17trampoline_kernelINS0_14default_configENS1_35radix_sort_onesweep_config_selectorIfNS0_10empty_typeEEEZNS1_34radix_sort_onesweep_global_offsetsIS3_Lb0EPKfPS5_mNS0_19identity_decomposerEEE10hipError_tT1_T2_PT3_SF_jT4_jjP12ihipStream_tbEUlT_E0_NS1_11comp_targetILNS1_3genE5ELNS1_11target_archE942ELNS1_3gpuE9ELNS1_3repE0EEENS1_52radix_sort_onesweep_histogram_config_static_selectorELNS0_4arch9wavefront6targetE0EEEvSD_,"axG",@progbits,_ZN7rocprim17ROCPRIM_400000_NS6detail17trampoline_kernelINS0_14default_configENS1_35radix_sort_onesweep_config_selectorIfNS0_10empty_typeEEEZNS1_34radix_sort_onesweep_global_offsetsIS3_Lb0EPKfPS5_mNS0_19identity_decomposerEEE10hipError_tT1_T2_PT3_SF_jT4_jjP12ihipStream_tbEUlT_E0_NS1_11comp_targetILNS1_3genE5ELNS1_11target_archE942ELNS1_3gpuE9ELNS1_3repE0EEENS1_52radix_sort_onesweep_histogram_config_static_selectorELNS0_4arch9wavefront6targetE0EEEvSD_,comdat
.Lfunc_end1399:
	.size	_ZN7rocprim17ROCPRIM_400000_NS6detail17trampoline_kernelINS0_14default_configENS1_35radix_sort_onesweep_config_selectorIfNS0_10empty_typeEEEZNS1_34radix_sort_onesweep_global_offsetsIS3_Lb0EPKfPS5_mNS0_19identity_decomposerEEE10hipError_tT1_T2_PT3_SF_jT4_jjP12ihipStream_tbEUlT_E0_NS1_11comp_targetILNS1_3genE5ELNS1_11target_archE942ELNS1_3gpuE9ELNS1_3repE0EEENS1_52radix_sort_onesweep_histogram_config_static_selectorELNS0_4arch9wavefront6targetE0EEEvSD_, .Lfunc_end1399-_ZN7rocprim17ROCPRIM_400000_NS6detail17trampoline_kernelINS0_14default_configENS1_35radix_sort_onesweep_config_selectorIfNS0_10empty_typeEEEZNS1_34radix_sort_onesweep_global_offsetsIS3_Lb0EPKfPS5_mNS0_19identity_decomposerEEE10hipError_tT1_T2_PT3_SF_jT4_jjP12ihipStream_tbEUlT_E0_NS1_11comp_targetILNS1_3genE5ELNS1_11target_archE942ELNS1_3gpuE9ELNS1_3repE0EEENS1_52radix_sort_onesweep_histogram_config_static_selectorELNS0_4arch9wavefront6targetE0EEEvSD_
                                        ; -- End function
	.set _ZN7rocprim17ROCPRIM_400000_NS6detail17trampoline_kernelINS0_14default_configENS1_35radix_sort_onesweep_config_selectorIfNS0_10empty_typeEEEZNS1_34radix_sort_onesweep_global_offsetsIS3_Lb0EPKfPS5_mNS0_19identity_decomposerEEE10hipError_tT1_T2_PT3_SF_jT4_jjP12ihipStream_tbEUlT_E0_NS1_11comp_targetILNS1_3genE5ELNS1_11target_archE942ELNS1_3gpuE9ELNS1_3repE0EEENS1_52radix_sort_onesweep_histogram_config_static_selectorELNS0_4arch9wavefront6targetE0EEEvSD_.num_vgpr, 0
	.set _ZN7rocprim17ROCPRIM_400000_NS6detail17trampoline_kernelINS0_14default_configENS1_35radix_sort_onesweep_config_selectorIfNS0_10empty_typeEEEZNS1_34radix_sort_onesweep_global_offsetsIS3_Lb0EPKfPS5_mNS0_19identity_decomposerEEE10hipError_tT1_T2_PT3_SF_jT4_jjP12ihipStream_tbEUlT_E0_NS1_11comp_targetILNS1_3genE5ELNS1_11target_archE942ELNS1_3gpuE9ELNS1_3repE0EEENS1_52radix_sort_onesweep_histogram_config_static_selectorELNS0_4arch9wavefront6targetE0EEEvSD_.num_agpr, 0
	.set _ZN7rocprim17ROCPRIM_400000_NS6detail17trampoline_kernelINS0_14default_configENS1_35radix_sort_onesweep_config_selectorIfNS0_10empty_typeEEEZNS1_34radix_sort_onesweep_global_offsetsIS3_Lb0EPKfPS5_mNS0_19identity_decomposerEEE10hipError_tT1_T2_PT3_SF_jT4_jjP12ihipStream_tbEUlT_E0_NS1_11comp_targetILNS1_3genE5ELNS1_11target_archE942ELNS1_3gpuE9ELNS1_3repE0EEENS1_52radix_sort_onesweep_histogram_config_static_selectorELNS0_4arch9wavefront6targetE0EEEvSD_.numbered_sgpr, 0
	.set _ZN7rocprim17ROCPRIM_400000_NS6detail17trampoline_kernelINS0_14default_configENS1_35radix_sort_onesweep_config_selectorIfNS0_10empty_typeEEEZNS1_34radix_sort_onesweep_global_offsetsIS3_Lb0EPKfPS5_mNS0_19identity_decomposerEEE10hipError_tT1_T2_PT3_SF_jT4_jjP12ihipStream_tbEUlT_E0_NS1_11comp_targetILNS1_3genE5ELNS1_11target_archE942ELNS1_3gpuE9ELNS1_3repE0EEENS1_52radix_sort_onesweep_histogram_config_static_selectorELNS0_4arch9wavefront6targetE0EEEvSD_.num_named_barrier, 0
	.set _ZN7rocprim17ROCPRIM_400000_NS6detail17trampoline_kernelINS0_14default_configENS1_35radix_sort_onesweep_config_selectorIfNS0_10empty_typeEEEZNS1_34radix_sort_onesweep_global_offsetsIS3_Lb0EPKfPS5_mNS0_19identity_decomposerEEE10hipError_tT1_T2_PT3_SF_jT4_jjP12ihipStream_tbEUlT_E0_NS1_11comp_targetILNS1_3genE5ELNS1_11target_archE942ELNS1_3gpuE9ELNS1_3repE0EEENS1_52radix_sort_onesweep_histogram_config_static_selectorELNS0_4arch9wavefront6targetE0EEEvSD_.private_seg_size, 0
	.set _ZN7rocprim17ROCPRIM_400000_NS6detail17trampoline_kernelINS0_14default_configENS1_35radix_sort_onesweep_config_selectorIfNS0_10empty_typeEEEZNS1_34radix_sort_onesweep_global_offsetsIS3_Lb0EPKfPS5_mNS0_19identity_decomposerEEE10hipError_tT1_T2_PT3_SF_jT4_jjP12ihipStream_tbEUlT_E0_NS1_11comp_targetILNS1_3genE5ELNS1_11target_archE942ELNS1_3gpuE9ELNS1_3repE0EEENS1_52radix_sort_onesweep_histogram_config_static_selectorELNS0_4arch9wavefront6targetE0EEEvSD_.uses_vcc, 0
	.set _ZN7rocprim17ROCPRIM_400000_NS6detail17trampoline_kernelINS0_14default_configENS1_35radix_sort_onesweep_config_selectorIfNS0_10empty_typeEEEZNS1_34radix_sort_onesweep_global_offsetsIS3_Lb0EPKfPS5_mNS0_19identity_decomposerEEE10hipError_tT1_T2_PT3_SF_jT4_jjP12ihipStream_tbEUlT_E0_NS1_11comp_targetILNS1_3genE5ELNS1_11target_archE942ELNS1_3gpuE9ELNS1_3repE0EEENS1_52radix_sort_onesweep_histogram_config_static_selectorELNS0_4arch9wavefront6targetE0EEEvSD_.uses_flat_scratch, 0
	.set _ZN7rocprim17ROCPRIM_400000_NS6detail17trampoline_kernelINS0_14default_configENS1_35radix_sort_onesweep_config_selectorIfNS0_10empty_typeEEEZNS1_34radix_sort_onesweep_global_offsetsIS3_Lb0EPKfPS5_mNS0_19identity_decomposerEEE10hipError_tT1_T2_PT3_SF_jT4_jjP12ihipStream_tbEUlT_E0_NS1_11comp_targetILNS1_3genE5ELNS1_11target_archE942ELNS1_3gpuE9ELNS1_3repE0EEENS1_52radix_sort_onesweep_histogram_config_static_selectorELNS0_4arch9wavefront6targetE0EEEvSD_.has_dyn_sized_stack, 0
	.set _ZN7rocprim17ROCPRIM_400000_NS6detail17trampoline_kernelINS0_14default_configENS1_35radix_sort_onesweep_config_selectorIfNS0_10empty_typeEEEZNS1_34radix_sort_onesweep_global_offsetsIS3_Lb0EPKfPS5_mNS0_19identity_decomposerEEE10hipError_tT1_T2_PT3_SF_jT4_jjP12ihipStream_tbEUlT_E0_NS1_11comp_targetILNS1_3genE5ELNS1_11target_archE942ELNS1_3gpuE9ELNS1_3repE0EEENS1_52radix_sort_onesweep_histogram_config_static_selectorELNS0_4arch9wavefront6targetE0EEEvSD_.has_recursion, 0
	.set _ZN7rocprim17ROCPRIM_400000_NS6detail17trampoline_kernelINS0_14default_configENS1_35radix_sort_onesweep_config_selectorIfNS0_10empty_typeEEEZNS1_34radix_sort_onesweep_global_offsetsIS3_Lb0EPKfPS5_mNS0_19identity_decomposerEEE10hipError_tT1_T2_PT3_SF_jT4_jjP12ihipStream_tbEUlT_E0_NS1_11comp_targetILNS1_3genE5ELNS1_11target_archE942ELNS1_3gpuE9ELNS1_3repE0EEENS1_52radix_sort_onesweep_histogram_config_static_selectorELNS0_4arch9wavefront6targetE0EEEvSD_.has_indirect_call, 0
	.section	.AMDGPU.csdata,"",@progbits
; Kernel info:
; codeLenInByte = 0
; TotalNumSgprs: 0
; NumVgprs: 0
; ScratchSize: 0
; MemoryBound: 0
; FloatMode: 240
; IeeeMode: 1
; LDSByteSize: 0 bytes/workgroup (compile time only)
; SGPRBlocks: 0
; VGPRBlocks: 0
; NumSGPRsForWavesPerEU: 1
; NumVGPRsForWavesPerEU: 1
; NamedBarCnt: 0
; Occupancy: 16
; WaveLimiterHint : 0
; COMPUTE_PGM_RSRC2:SCRATCH_EN: 0
; COMPUTE_PGM_RSRC2:USER_SGPR: 2
; COMPUTE_PGM_RSRC2:TRAP_HANDLER: 0
; COMPUTE_PGM_RSRC2:TGID_X_EN: 1
; COMPUTE_PGM_RSRC2:TGID_Y_EN: 0
; COMPUTE_PGM_RSRC2:TGID_Z_EN: 0
; COMPUTE_PGM_RSRC2:TIDIG_COMP_CNT: 0
	.section	.text._ZN7rocprim17ROCPRIM_400000_NS6detail17trampoline_kernelINS0_14default_configENS1_35radix_sort_onesweep_config_selectorIfNS0_10empty_typeEEEZNS1_34radix_sort_onesweep_global_offsetsIS3_Lb0EPKfPS5_mNS0_19identity_decomposerEEE10hipError_tT1_T2_PT3_SF_jT4_jjP12ihipStream_tbEUlT_E0_NS1_11comp_targetILNS1_3genE2ELNS1_11target_archE906ELNS1_3gpuE6ELNS1_3repE0EEENS1_52radix_sort_onesweep_histogram_config_static_selectorELNS0_4arch9wavefront6targetE0EEEvSD_,"axG",@progbits,_ZN7rocprim17ROCPRIM_400000_NS6detail17trampoline_kernelINS0_14default_configENS1_35radix_sort_onesweep_config_selectorIfNS0_10empty_typeEEEZNS1_34radix_sort_onesweep_global_offsetsIS3_Lb0EPKfPS5_mNS0_19identity_decomposerEEE10hipError_tT1_T2_PT3_SF_jT4_jjP12ihipStream_tbEUlT_E0_NS1_11comp_targetILNS1_3genE2ELNS1_11target_archE906ELNS1_3gpuE6ELNS1_3repE0EEENS1_52radix_sort_onesweep_histogram_config_static_selectorELNS0_4arch9wavefront6targetE0EEEvSD_,comdat
	.protected	_ZN7rocprim17ROCPRIM_400000_NS6detail17trampoline_kernelINS0_14default_configENS1_35radix_sort_onesweep_config_selectorIfNS0_10empty_typeEEEZNS1_34radix_sort_onesweep_global_offsetsIS3_Lb0EPKfPS5_mNS0_19identity_decomposerEEE10hipError_tT1_T2_PT3_SF_jT4_jjP12ihipStream_tbEUlT_E0_NS1_11comp_targetILNS1_3genE2ELNS1_11target_archE906ELNS1_3gpuE6ELNS1_3repE0EEENS1_52radix_sort_onesweep_histogram_config_static_selectorELNS0_4arch9wavefront6targetE0EEEvSD_ ; -- Begin function _ZN7rocprim17ROCPRIM_400000_NS6detail17trampoline_kernelINS0_14default_configENS1_35radix_sort_onesweep_config_selectorIfNS0_10empty_typeEEEZNS1_34radix_sort_onesweep_global_offsetsIS3_Lb0EPKfPS5_mNS0_19identity_decomposerEEE10hipError_tT1_T2_PT3_SF_jT4_jjP12ihipStream_tbEUlT_E0_NS1_11comp_targetILNS1_3genE2ELNS1_11target_archE906ELNS1_3gpuE6ELNS1_3repE0EEENS1_52radix_sort_onesweep_histogram_config_static_selectorELNS0_4arch9wavefront6targetE0EEEvSD_
	.globl	_ZN7rocprim17ROCPRIM_400000_NS6detail17trampoline_kernelINS0_14default_configENS1_35radix_sort_onesweep_config_selectorIfNS0_10empty_typeEEEZNS1_34radix_sort_onesweep_global_offsetsIS3_Lb0EPKfPS5_mNS0_19identity_decomposerEEE10hipError_tT1_T2_PT3_SF_jT4_jjP12ihipStream_tbEUlT_E0_NS1_11comp_targetILNS1_3genE2ELNS1_11target_archE906ELNS1_3gpuE6ELNS1_3repE0EEENS1_52radix_sort_onesweep_histogram_config_static_selectorELNS0_4arch9wavefront6targetE0EEEvSD_
	.p2align	8
	.type	_ZN7rocprim17ROCPRIM_400000_NS6detail17trampoline_kernelINS0_14default_configENS1_35radix_sort_onesweep_config_selectorIfNS0_10empty_typeEEEZNS1_34radix_sort_onesweep_global_offsetsIS3_Lb0EPKfPS5_mNS0_19identity_decomposerEEE10hipError_tT1_T2_PT3_SF_jT4_jjP12ihipStream_tbEUlT_E0_NS1_11comp_targetILNS1_3genE2ELNS1_11target_archE906ELNS1_3gpuE6ELNS1_3repE0EEENS1_52radix_sort_onesweep_histogram_config_static_selectorELNS0_4arch9wavefront6targetE0EEEvSD_,@function
_ZN7rocprim17ROCPRIM_400000_NS6detail17trampoline_kernelINS0_14default_configENS1_35radix_sort_onesweep_config_selectorIfNS0_10empty_typeEEEZNS1_34radix_sort_onesweep_global_offsetsIS3_Lb0EPKfPS5_mNS0_19identity_decomposerEEE10hipError_tT1_T2_PT3_SF_jT4_jjP12ihipStream_tbEUlT_E0_NS1_11comp_targetILNS1_3genE2ELNS1_11target_archE906ELNS1_3gpuE6ELNS1_3repE0EEENS1_52radix_sort_onesweep_histogram_config_static_selectorELNS0_4arch9wavefront6targetE0EEEvSD_: ; @_ZN7rocprim17ROCPRIM_400000_NS6detail17trampoline_kernelINS0_14default_configENS1_35radix_sort_onesweep_config_selectorIfNS0_10empty_typeEEEZNS1_34radix_sort_onesweep_global_offsetsIS3_Lb0EPKfPS5_mNS0_19identity_decomposerEEE10hipError_tT1_T2_PT3_SF_jT4_jjP12ihipStream_tbEUlT_E0_NS1_11comp_targetILNS1_3genE2ELNS1_11target_archE906ELNS1_3gpuE6ELNS1_3repE0EEENS1_52radix_sort_onesweep_histogram_config_static_selectorELNS0_4arch9wavefront6targetE0EEEvSD_
; %bb.0:
	.section	.rodata,"a",@progbits
	.p2align	6, 0x0
	.amdhsa_kernel _ZN7rocprim17ROCPRIM_400000_NS6detail17trampoline_kernelINS0_14default_configENS1_35radix_sort_onesweep_config_selectorIfNS0_10empty_typeEEEZNS1_34radix_sort_onesweep_global_offsetsIS3_Lb0EPKfPS5_mNS0_19identity_decomposerEEE10hipError_tT1_T2_PT3_SF_jT4_jjP12ihipStream_tbEUlT_E0_NS1_11comp_targetILNS1_3genE2ELNS1_11target_archE906ELNS1_3gpuE6ELNS1_3repE0EEENS1_52radix_sort_onesweep_histogram_config_static_selectorELNS0_4arch9wavefront6targetE0EEEvSD_
		.amdhsa_group_segment_fixed_size 0
		.amdhsa_private_segment_fixed_size 0
		.amdhsa_kernarg_size 8
		.amdhsa_user_sgpr_count 2
		.amdhsa_user_sgpr_dispatch_ptr 0
		.amdhsa_user_sgpr_queue_ptr 0
		.amdhsa_user_sgpr_kernarg_segment_ptr 1
		.amdhsa_user_sgpr_dispatch_id 0
		.amdhsa_user_sgpr_kernarg_preload_length 0
		.amdhsa_user_sgpr_kernarg_preload_offset 0
		.amdhsa_user_sgpr_private_segment_size 0
		.amdhsa_wavefront_size32 1
		.amdhsa_uses_dynamic_stack 0
		.amdhsa_enable_private_segment 0
		.amdhsa_system_sgpr_workgroup_id_x 1
		.amdhsa_system_sgpr_workgroup_id_y 0
		.amdhsa_system_sgpr_workgroup_id_z 0
		.amdhsa_system_sgpr_workgroup_info 0
		.amdhsa_system_vgpr_workitem_id 0
		.amdhsa_next_free_vgpr 1
		.amdhsa_next_free_sgpr 1
		.amdhsa_named_barrier_count 0
		.amdhsa_reserve_vcc 0
		.amdhsa_float_round_mode_32 0
		.amdhsa_float_round_mode_16_64 0
		.amdhsa_float_denorm_mode_32 3
		.amdhsa_float_denorm_mode_16_64 3
		.amdhsa_fp16_overflow 0
		.amdhsa_memory_ordered 1
		.amdhsa_forward_progress 1
		.amdhsa_inst_pref_size 0
		.amdhsa_round_robin_scheduling 0
		.amdhsa_exception_fp_ieee_invalid_op 0
		.amdhsa_exception_fp_denorm_src 0
		.amdhsa_exception_fp_ieee_div_zero 0
		.amdhsa_exception_fp_ieee_overflow 0
		.amdhsa_exception_fp_ieee_underflow 0
		.amdhsa_exception_fp_ieee_inexact 0
		.amdhsa_exception_int_div_zero 0
	.end_amdhsa_kernel
	.section	.text._ZN7rocprim17ROCPRIM_400000_NS6detail17trampoline_kernelINS0_14default_configENS1_35radix_sort_onesweep_config_selectorIfNS0_10empty_typeEEEZNS1_34radix_sort_onesweep_global_offsetsIS3_Lb0EPKfPS5_mNS0_19identity_decomposerEEE10hipError_tT1_T2_PT3_SF_jT4_jjP12ihipStream_tbEUlT_E0_NS1_11comp_targetILNS1_3genE2ELNS1_11target_archE906ELNS1_3gpuE6ELNS1_3repE0EEENS1_52radix_sort_onesweep_histogram_config_static_selectorELNS0_4arch9wavefront6targetE0EEEvSD_,"axG",@progbits,_ZN7rocprim17ROCPRIM_400000_NS6detail17trampoline_kernelINS0_14default_configENS1_35radix_sort_onesweep_config_selectorIfNS0_10empty_typeEEEZNS1_34radix_sort_onesweep_global_offsetsIS3_Lb0EPKfPS5_mNS0_19identity_decomposerEEE10hipError_tT1_T2_PT3_SF_jT4_jjP12ihipStream_tbEUlT_E0_NS1_11comp_targetILNS1_3genE2ELNS1_11target_archE906ELNS1_3gpuE6ELNS1_3repE0EEENS1_52radix_sort_onesweep_histogram_config_static_selectorELNS0_4arch9wavefront6targetE0EEEvSD_,comdat
.Lfunc_end1400:
	.size	_ZN7rocprim17ROCPRIM_400000_NS6detail17trampoline_kernelINS0_14default_configENS1_35radix_sort_onesweep_config_selectorIfNS0_10empty_typeEEEZNS1_34radix_sort_onesweep_global_offsetsIS3_Lb0EPKfPS5_mNS0_19identity_decomposerEEE10hipError_tT1_T2_PT3_SF_jT4_jjP12ihipStream_tbEUlT_E0_NS1_11comp_targetILNS1_3genE2ELNS1_11target_archE906ELNS1_3gpuE6ELNS1_3repE0EEENS1_52radix_sort_onesweep_histogram_config_static_selectorELNS0_4arch9wavefront6targetE0EEEvSD_, .Lfunc_end1400-_ZN7rocprim17ROCPRIM_400000_NS6detail17trampoline_kernelINS0_14default_configENS1_35radix_sort_onesweep_config_selectorIfNS0_10empty_typeEEEZNS1_34radix_sort_onesweep_global_offsetsIS3_Lb0EPKfPS5_mNS0_19identity_decomposerEEE10hipError_tT1_T2_PT3_SF_jT4_jjP12ihipStream_tbEUlT_E0_NS1_11comp_targetILNS1_3genE2ELNS1_11target_archE906ELNS1_3gpuE6ELNS1_3repE0EEENS1_52radix_sort_onesweep_histogram_config_static_selectorELNS0_4arch9wavefront6targetE0EEEvSD_
                                        ; -- End function
	.set _ZN7rocprim17ROCPRIM_400000_NS6detail17trampoline_kernelINS0_14default_configENS1_35radix_sort_onesweep_config_selectorIfNS0_10empty_typeEEEZNS1_34radix_sort_onesweep_global_offsetsIS3_Lb0EPKfPS5_mNS0_19identity_decomposerEEE10hipError_tT1_T2_PT3_SF_jT4_jjP12ihipStream_tbEUlT_E0_NS1_11comp_targetILNS1_3genE2ELNS1_11target_archE906ELNS1_3gpuE6ELNS1_3repE0EEENS1_52radix_sort_onesweep_histogram_config_static_selectorELNS0_4arch9wavefront6targetE0EEEvSD_.num_vgpr, 0
	.set _ZN7rocprim17ROCPRIM_400000_NS6detail17trampoline_kernelINS0_14default_configENS1_35radix_sort_onesweep_config_selectorIfNS0_10empty_typeEEEZNS1_34radix_sort_onesweep_global_offsetsIS3_Lb0EPKfPS5_mNS0_19identity_decomposerEEE10hipError_tT1_T2_PT3_SF_jT4_jjP12ihipStream_tbEUlT_E0_NS1_11comp_targetILNS1_3genE2ELNS1_11target_archE906ELNS1_3gpuE6ELNS1_3repE0EEENS1_52radix_sort_onesweep_histogram_config_static_selectorELNS0_4arch9wavefront6targetE0EEEvSD_.num_agpr, 0
	.set _ZN7rocprim17ROCPRIM_400000_NS6detail17trampoline_kernelINS0_14default_configENS1_35radix_sort_onesweep_config_selectorIfNS0_10empty_typeEEEZNS1_34radix_sort_onesweep_global_offsetsIS3_Lb0EPKfPS5_mNS0_19identity_decomposerEEE10hipError_tT1_T2_PT3_SF_jT4_jjP12ihipStream_tbEUlT_E0_NS1_11comp_targetILNS1_3genE2ELNS1_11target_archE906ELNS1_3gpuE6ELNS1_3repE0EEENS1_52radix_sort_onesweep_histogram_config_static_selectorELNS0_4arch9wavefront6targetE0EEEvSD_.numbered_sgpr, 0
	.set _ZN7rocprim17ROCPRIM_400000_NS6detail17trampoline_kernelINS0_14default_configENS1_35radix_sort_onesweep_config_selectorIfNS0_10empty_typeEEEZNS1_34radix_sort_onesweep_global_offsetsIS3_Lb0EPKfPS5_mNS0_19identity_decomposerEEE10hipError_tT1_T2_PT3_SF_jT4_jjP12ihipStream_tbEUlT_E0_NS1_11comp_targetILNS1_3genE2ELNS1_11target_archE906ELNS1_3gpuE6ELNS1_3repE0EEENS1_52radix_sort_onesweep_histogram_config_static_selectorELNS0_4arch9wavefront6targetE0EEEvSD_.num_named_barrier, 0
	.set _ZN7rocprim17ROCPRIM_400000_NS6detail17trampoline_kernelINS0_14default_configENS1_35radix_sort_onesweep_config_selectorIfNS0_10empty_typeEEEZNS1_34radix_sort_onesweep_global_offsetsIS3_Lb0EPKfPS5_mNS0_19identity_decomposerEEE10hipError_tT1_T2_PT3_SF_jT4_jjP12ihipStream_tbEUlT_E0_NS1_11comp_targetILNS1_3genE2ELNS1_11target_archE906ELNS1_3gpuE6ELNS1_3repE0EEENS1_52radix_sort_onesweep_histogram_config_static_selectorELNS0_4arch9wavefront6targetE0EEEvSD_.private_seg_size, 0
	.set _ZN7rocprim17ROCPRIM_400000_NS6detail17trampoline_kernelINS0_14default_configENS1_35radix_sort_onesweep_config_selectorIfNS0_10empty_typeEEEZNS1_34radix_sort_onesweep_global_offsetsIS3_Lb0EPKfPS5_mNS0_19identity_decomposerEEE10hipError_tT1_T2_PT3_SF_jT4_jjP12ihipStream_tbEUlT_E0_NS1_11comp_targetILNS1_3genE2ELNS1_11target_archE906ELNS1_3gpuE6ELNS1_3repE0EEENS1_52radix_sort_onesweep_histogram_config_static_selectorELNS0_4arch9wavefront6targetE0EEEvSD_.uses_vcc, 0
	.set _ZN7rocprim17ROCPRIM_400000_NS6detail17trampoline_kernelINS0_14default_configENS1_35radix_sort_onesweep_config_selectorIfNS0_10empty_typeEEEZNS1_34radix_sort_onesweep_global_offsetsIS3_Lb0EPKfPS5_mNS0_19identity_decomposerEEE10hipError_tT1_T2_PT3_SF_jT4_jjP12ihipStream_tbEUlT_E0_NS1_11comp_targetILNS1_3genE2ELNS1_11target_archE906ELNS1_3gpuE6ELNS1_3repE0EEENS1_52radix_sort_onesweep_histogram_config_static_selectorELNS0_4arch9wavefront6targetE0EEEvSD_.uses_flat_scratch, 0
	.set _ZN7rocprim17ROCPRIM_400000_NS6detail17trampoline_kernelINS0_14default_configENS1_35radix_sort_onesweep_config_selectorIfNS0_10empty_typeEEEZNS1_34radix_sort_onesweep_global_offsetsIS3_Lb0EPKfPS5_mNS0_19identity_decomposerEEE10hipError_tT1_T2_PT3_SF_jT4_jjP12ihipStream_tbEUlT_E0_NS1_11comp_targetILNS1_3genE2ELNS1_11target_archE906ELNS1_3gpuE6ELNS1_3repE0EEENS1_52radix_sort_onesweep_histogram_config_static_selectorELNS0_4arch9wavefront6targetE0EEEvSD_.has_dyn_sized_stack, 0
	.set _ZN7rocprim17ROCPRIM_400000_NS6detail17trampoline_kernelINS0_14default_configENS1_35radix_sort_onesweep_config_selectorIfNS0_10empty_typeEEEZNS1_34radix_sort_onesweep_global_offsetsIS3_Lb0EPKfPS5_mNS0_19identity_decomposerEEE10hipError_tT1_T2_PT3_SF_jT4_jjP12ihipStream_tbEUlT_E0_NS1_11comp_targetILNS1_3genE2ELNS1_11target_archE906ELNS1_3gpuE6ELNS1_3repE0EEENS1_52radix_sort_onesweep_histogram_config_static_selectorELNS0_4arch9wavefront6targetE0EEEvSD_.has_recursion, 0
	.set _ZN7rocprim17ROCPRIM_400000_NS6detail17trampoline_kernelINS0_14default_configENS1_35radix_sort_onesweep_config_selectorIfNS0_10empty_typeEEEZNS1_34radix_sort_onesweep_global_offsetsIS3_Lb0EPKfPS5_mNS0_19identity_decomposerEEE10hipError_tT1_T2_PT3_SF_jT4_jjP12ihipStream_tbEUlT_E0_NS1_11comp_targetILNS1_3genE2ELNS1_11target_archE906ELNS1_3gpuE6ELNS1_3repE0EEENS1_52radix_sort_onesweep_histogram_config_static_selectorELNS0_4arch9wavefront6targetE0EEEvSD_.has_indirect_call, 0
	.section	.AMDGPU.csdata,"",@progbits
; Kernel info:
; codeLenInByte = 0
; TotalNumSgprs: 0
; NumVgprs: 0
; ScratchSize: 0
; MemoryBound: 0
; FloatMode: 240
; IeeeMode: 1
; LDSByteSize: 0 bytes/workgroup (compile time only)
; SGPRBlocks: 0
; VGPRBlocks: 0
; NumSGPRsForWavesPerEU: 1
; NumVGPRsForWavesPerEU: 1
; NamedBarCnt: 0
; Occupancy: 16
; WaveLimiterHint : 0
; COMPUTE_PGM_RSRC2:SCRATCH_EN: 0
; COMPUTE_PGM_RSRC2:USER_SGPR: 2
; COMPUTE_PGM_RSRC2:TRAP_HANDLER: 0
; COMPUTE_PGM_RSRC2:TGID_X_EN: 1
; COMPUTE_PGM_RSRC2:TGID_Y_EN: 0
; COMPUTE_PGM_RSRC2:TGID_Z_EN: 0
; COMPUTE_PGM_RSRC2:TIDIG_COMP_CNT: 0
	.section	.text._ZN7rocprim17ROCPRIM_400000_NS6detail17trampoline_kernelINS0_14default_configENS1_35radix_sort_onesweep_config_selectorIfNS0_10empty_typeEEEZNS1_34radix_sort_onesweep_global_offsetsIS3_Lb0EPKfPS5_mNS0_19identity_decomposerEEE10hipError_tT1_T2_PT3_SF_jT4_jjP12ihipStream_tbEUlT_E0_NS1_11comp_targetILNS1_3genE4ELNS1_11target_archE910ELNS1_3gpuE8ELNS1_3repE0EEENS1_52radix_sort_onesweep_histogram_config_static_selectorELNS0_4arch9wavefront6targetE0EEEvSD_,"axG",@progbits,_ZN7rocprim17ROCPRIM_400000_NS6detail17trampoline_kernelINS0_14default_configENS1_35radix_sort_onesweep_config_selectorIfNS0_10empty_typeEEEZNS1_34radix_sort_onesweep_global_offsetsIS3_Lb0EPKfPS5_mNS0_19identity_decomposerEEE10hipError_tT1_T2_PT3_SF_jT4_jjP12ihipStream_tbEUlT_E0_NS1_11comp_targetILNS1_3genE4ELNS1_11target_archE910ELNS1_3gpuE8ELNS1_3repE0EEENS1_52radix_sort_onesweep_histogram_config_static_selectorELNS0_4arch9wavefront6targetE0EEEvSD_,comdat
	.protected	_ZN7rocprim17ROCPRIM_400000_NS6detail17trampoline_kernelINS0_14default_configENS1_35radix_sort_onesweep_config_selectorIfNS0_10empty_typeEEEZNS1_34radix_sort_onesweep_global_offsetsIS3_Lb0EPKfPS5_mNS0_19identity_decomposerEEE10hipError_tT1_T2_PT3_SF_jT4_jjP12ihipStream_tbEUlT_E0_NS1_11comp_targetILNS1_3genE4ELNS1_11target_archE910ELNS1_3gpuE8ELNS1_3repE0EEENS1_52radix_sort_onesweep_histogram_config_static_selectorELNS0_4arch9wavefront6targetE0EEEvSD_ ; -- Begin function _ZN7rocprim17ROCPRIM_400000_NS6detail17trampoline_kernelINS0_14default_configENS1_35radix_sort_onesweep_config_selectorIfNS0_10empty_typeEEEZNS1_34radix_sort_onesweep_global_offsetsIS3_Lb0EPKfPS5_mNS0_19identity_decomposerEEE10hipError_tT1_T2_PT3_SF_jT4_jjP12ihipStream_tbEUlT_E0_NS1_11comp_targetILNS1_3genE4ELNS1_11target_archE910ELNS1_3gpuE8ELNS1_3repE0EEENS1_52radix_sort_onesweep_histogram_config_static_selectorELNS0_4arch9wavefront6targetE0EEEvSD_
	.globl	_ZN7rocprim17ROCPRIM_400000_NS6detail17trampoline_kernelINS0_14default_configENS1_35radix_sort_onesweep_config_selectorIfNS0_10empty_typeEEEZNS1_34radix_sort_onesweep_global_offsetsIS3_Lb0EPKfPS5_mNS0_19identity_decomposerEEE10hipError_tT1_T2_PT3_SF_jT4_jjP12ihipStream_tbEUlT_E0_NS1_11comp_targetILNS1_3genE4ELNS1_11target_archE910ELNS1_3gpuE8ELNS1_3repE0EEENS1_52radix_sort_onesweep_histogram_config_static_selectorELNS0_4arch9wavefront6targetE0EEEvSD_
	.p2align	8
	.type	_ZN7rocprim17ROCPRIM_400000_NS6detail17trampoline_kernelINS0_14default_configENS1_35radix_sort_onesweep_config_selectorIfNS0_10empty_typeEEEZNS1_34radix_sort_onesweep_global_offsetsIS3_Lb0EPKfPS5_mNS0_19identity_decomposerEEE10hipError_tT1_T2_PT3_SF_jT4_jjP12ihipStream_tbEUlT_E0_NS1_11comp_targetILNS1_3genE4ELNS1_11target_archE910ELNS1_3gpuE8ELNS1_3repE0EEENS1_52radix_sort_onesweep_histogram_config_static_selectorELNS0_4arch9wavefront6targetE0EEEvSD_,@function
_ZN7rocprim17ROCPRIM_400000_NS6detail17trampoline_kernelINS0_14default_configENS1_35radix_sort_onesweep_config_selectorIfNS0_10empty_typeEEEZNS1_34radix_sort_onesweep_global_offsetsIS3_Lb0EPKfPS5_mNS0_19identity_decomposerEEE10hipError_tT1_T2_PT3_SF_jT4_jjP12ihipStream_tbEUlT_E0_NS1_11comp_targetILNS1_3genE4ELNS1_11target_archE910ELNS1_3gpuE8ELNS1_3repE0EEENS1_52radix_sort_onesweep_histogram_config_static_selectorELNS0_4arch9wavefront6targetE0EEEvSD_: ; @_ZN7rocprim17ROCPRIM_400000_NS6detail17trampoline_kernelINS0_14default_configENS1_35radix_sort_onesweep_config_selectorIfNS0_10empty_typeEEEZNS1_34radix_sort_onesweep_global_offsetsIS3_Lb0EPKfPS5_mNS0_19identity_decomposerEEE10hipError_tT1_T2_PT3_SF_jT4_jjP12ihipStream_tbEUlT_E0_NS1_11comp_targetILNS1_3genE4ELNS1_11target_archE910ELNS1_3gpuE8ELNS1_3repE0EEENS1_52radix_sort_onesweep_histogram_config_static_selectorELNS0_4arch9wavefront6targetE0EEEvSD_
; %bb.0:
	.section	.rodata,"a",@progbits
	.p2align	6, 0x0
	.amdhsa_kernel _ZN7rocprim17ROCPRIM_400000_NS6detail17trampoline_kernelINS0_14default_configENS1_35radix_sort_onesweep_config_selectorIfNS0_10empty_typeEEEZNS1_34radix_sort_onesweep_global_offsetsIS3_Lb0EPKfPS5_mNS0_19identity_decomposerEEE10hipError_tT1_T2_PT3_SF_jT4_jjP12ihipStream_tbEUlT_E0_NS1_11comp_targetILNS1_3genE4ELNS1_11target_archE910ELNS1_3gpuE8ELNS1_3repE0EEENS1_52radix_sort_onesweep_histogram_config_static_selectorELNS0_4arch9wavefront6targetE0EEEvSD_
		.amdhsa_group_segment_fixed_size 0
		.amdhsa_private_segment_fixed_size 0
		.amdhsa_kernarg_size 8
		.amdhsa_user_sgpr_count 2
		.amdhsa_user_sgpr_dispatch_ptr 0
		.amdhsa_user_sgpr_queue_ptr 0
		.amdhsa_user_sgpr_kernarg_segment_ptr 1
		.amdhsa_user_sgpr_dispatch_id 0
		.amdhsa_user_sgpr_kernarg_preload_length 0
		.amdhsa_user_sgpr_kernarg_preload_offset 0
		.amdhsa_user_sgpr_private_segment_size 0
		.amdhsa_wavefront_size32 1
		.amdhsa_uses_dynamic_stack 0
		.amdhsa_enable_private_segment 0
		.amdhsa_system_sgpr_workgroup_id_x 1
		.amdhsa_system_sgpr_workgroup_id_y 0
		.amdhsa_system_sgpr_workgroup_id_z 0
		.amdhsa_system_sgpr_workgroup_info 0
		.amdhsa_system_vgpr_workitem_id 0
		.amdhsa_next_free_vgpr 1
		.amdhsa_next_free_sgpr 1
		.amdhsa_named_barrier_count 0
		.amdhsa_reserve_vcc 0
		.amdhsa_float_round_mode_32 0
		.amdhsa_float_round_mode_16_64 0
		.amdhsa_float_denorm_mode_32 3
		.amdhsa_float_denorm_mode_16_64 3
		.amdhsa_fp16_overflow 0
		.amdhsa_memory_ordered 1
		.amdhsa_forward_progress 1
		.amdhsa_inst_pref_size 0
		.amdhsa_round_robin_scheduling 0
		.amdhsa_exception_fp_ieee_invalid_op 0
		.amdhsa_exception_fp_denorm_src 0
		.amdhsa_exception_fp_ieee_div_zero 0
		.amdhsa_exception_fp_ieee_overflow 0
		.amdhsa_exception_fp_ieee_underflow 0
		.amdhsa_exception_fp_ieee_inexact 0
		.amdhsa_exception_int_div_zero 0
	.end_amdhsa_kernel
	.section	.text._ZN7rocprim17ROCPRIM_400000_NS6detail17trampoline_kernelINS0_14default_configENS1_35radix_sort_onesweep_config_selectorIfNS0_10empty_typeEEEZNS1_34radix_sort_onesweep_global_offsetsIS3_Lb0EPKfPS5_mNS0_19identity_decomposerEEE10hipError_tT1_T2_PT3_SF_jT4_jjP12ihipStream_tbEUlT_E0_NS1_11comp_targetILNS1_3genE4ELNS1_11target_archE910ELNS1_3gpuE8ELNS1_3repE0EEENS1_52radix_sort_onesweep_histogram_config_static_selectorELNS0_4arch9wavefront6targetE0EEEvSD_,"axG",@progbits,_ZN7rocprim17ROCPRIM_400000_NS6detail17trampoline_kernelINS0_14default_configENS1_35radix_sort_onesweep_config_selectorIfNS0_10empty_typeEEEZNS1_34radix_sort_onesweep_global_offsetsIS3_Lb0EPKfPS5_mNS0_19identity_decomposerEEE10hipError_tT1_T2_PT3_SF_jT4_jjP12ihipStream_tbEUlT_E0_NS1_11comp_targetILNS1_3genE4ELNS1_11target_archE910ELNS1_3gpuE8ELNS1_3repE0EEENS1_52radix_sort_onesweep_histogram_config_static_selectorELNS0_4arch9wavefront6targetE0EEEvSD_,comdat
.Lfunc_end1401:
	.size	_ZN7rocprim17ROCPRIM_400000_NS6detail17trampoline_kernelINS0_14default_configENS1_35radix_sort_onesweep_config_selectorIfNS0_10empty_typeEEEZNS1_34radix_sort_onesweep_global_offsetsIS3_Lb0EPKfPS5_mNS0_19identity_decomposerEEE10hipError_tT1_T2_PT3_SF_jT4_jjP12ihipStream_tbEUlT_E0_NS1_11comp_targetILNS1_3genE4ELNS1_11target_archE910ELNS1_3gpuE8ELNS1_3repE0EEENS1_52radix_sort_onesweep_histogram_config_static_selectorELNS0_4arch9wavefront6targetE0EEEvSD_, .Lfunc_end1401-_ZN7rocprim17ROCPRIM_400000_NS6detail17trampoline_kernelINS0_14default_configENS1_35radix_sort_onesweep_config_selectorIfNS0_10empty_typeEEEZNS1_34radix_sort_onesweep_global_offsetsIS3_Lb0EPKfPS5_mNS0_19identity_decomposerEEE10hipError_tT1_T2_PT3_SF_jT4_jjP12ihipStream_tbEUlT_E0_NS1_11comp_targetILNS1_3genE4ELNS1_11target_archE910ELNS1_3gpuE8ELNS1_3repE0EEENS1_52radix_sort_onesweep_histogram_config_static_selectorELNS0_4arch9wavefront6targetE0EEEvSD_
                                        ; -- End function
	.set _ZN7rocprim17ROCPRIM_400000_NS6detail17trampoline_kernelINS0_14default_configENS1_35radix_sort_onesweep_config_selectorIfNS0_10empty_typeEEEZNS1_34radix_sort_onesweep_global_offsetsIS3_Lb0EPKfPS5_mNS0_19identity_decomposerEEE10hipError_tT1_T2_PT3_SF_jT4_jjP12ihipStream_tbEUlT_E0_NS1_11comp_targetILNS1_3genE4ELNS1_11target_archE910ELNS1_3gpuE8ELNS1_3repE0EEENS1_52radix_sort_onesweep_histogram_config_static_selectorELNS0_4arch9wavefront6targetE0EEEvSD_.num_vgpr, 0
	.set _ZN7rocprim17ROCPRIM_400000_NS6detail17trampoline_kernelINS0_14default_configENS1_35radix_sort_onesweep_config_selectorIfNS0_10empty_typeEEEZNS1_34radix_sort_onesweep_global_offsetsIS3_Lb0EPKfPS5_mNS0_19identity_decomposerEEE10hipError_tT1_T2_PT3_SF_jT4_jjP12ihipStream_tbEUlT_E0_NS1_11comp_targetILNS1_3genE4ELNS1_11target_archE910ELNS1_3gpuE8ELNS1_3repE0EEENS1_52radix_sort_onesweep_histogram_config_static_selectorELNS0_4arch9wavefront6targetE0EEEvSD_.num_agpr, 0
	.set _ZN7rocprim17ROCPRIM_400000_NS6detail17trampoline_kernelINS0_14default_configENS1_35radix_sort_onesweep_config_selectorIfNS0_10empty_typeEEEZNS1_34radix_sort_onesweep_global_offsetsIS3_Lb0EPKfPS5_mNS0_19identity_decomposerEEE10hipError_tT1_T2_PT3_SF_jT4_jjP12ihipStream_tbEUlT_E0_NS1_11comp_targetILNS1_3genE4ELNS1_11target_archE910ELNS1_3gpuE8ELNS1_3repE0EEENS1_52radix_sort_onesweep_histogram_config_static_selectorELNS0_4arch9wavefront6targetE0EEEvSD_.numbered_sgpr, 0
	.set _ZN7rocprim17ROCPRIM_400000_NS6detail17trampoline_kernelINS0_14default_configENS1_35radix_sort_onesweep_config_selectorIfNS0_10empty_typeEEEZNS1_34radix_sort_onesweep_global_offsetsIS3_Lb0EPKfPS5_mNS0_19identity_decomposerEEE10hipError_tT1_T2_PT3_SF_jT4_jjP12ihipStream_tbEUlT_E0_NS1_11comp_targetILNS1_3genE4ELNS1_11target_archE910ELNS1_3gpuE8ELNS1_3repE0EEENS1_52radix_sort_onesweep_histogram_config_static_selectorELNS0_4arch9wavefront6targetE0EEEvSD_.num_named_barrier, 0
	.set _ZN7rocprim17ROCPRIM_400000_NS6detail17trampoline_kernelINS0_14default_configENS1_35radix_sort_onesweep_config_selectorIfNS0_10empty_typeEEEZNS1_34radix_sort_onesweep_global_offsetsIS3_Lb0EPKfPS5_mNS0_19identity_decomposerEEE10hipError_tT1_T2_PT3_SF_jT4_jjP12ihipStream_tbEUlT_E0_NS1_11comp_targetILNS1_3genE4ELNS1_11target_archE910ELNS1_3gpuE8ELNS1_3repE0EEENS1_52radix_sort_onesweep_histogram_config_static_selectorELNS0_4arch9wavefront6targetE0EEEvSD_.private_seg_size, 0
	.set _ZN7rocprim17ROCPRIM_400000_NS6detail17trampoline_kernelINS0_14default_configENS1_35radix_sort_onesweep_config_selectorIfNS0_10empty_typeEEEZNS1_34radix_sort_onesweep_global_offsetsIS3_Lb0EPKfPS5_mNS0_19identity_decomposerEEE10hipError_tT1_T2_PT3_SF_jT4_jjP12ihipStream_tbEUlT_E0_NS1_11comp_targetILNS1_3genE4ELNS1_11target_archE910ELNS1_3gpuE8ELNS1_3repE0EEENS1_52radix_sort_onesweep_histogram_config_static_selectorELNS0_4arch9wavefront6targetE0EEEvSD_.uses_vcc, 0
	.set _ZN7rocprim17ROCPRIM_400000_NS6detail17trampoline_kernelINS0_14default_configENS1_35radix_sort_onesweep_config_selectorIfNS0_10empty_typeEEEZNS1_34radix_sort_onesweep_global_offsetsIS3_Lb0EPKfPS5_mNS0_19identity_decomposerEEE10hipError_tT1_T2_PT3_SF_jT4_jjP12ihipStream_tbEUlT_E0_NS1_11comp_targetILNS1_3genE4ELNS1_11target_archE910ELNS1_3gpuE8ELNS1_3repE0EEENS1_52radix_sort_onesweep_histogram_config_static_selectorELNS0_4arch9wavefront6targetE0EEEvSD_.uses_flat_scratch, 0
	.set _ZN7rocprim17ROCPRIM_400000_NS6detail17trampoline_kernelINS0_14default_configENS1_35radix_sort_onesweep_config_selectorIfNS0_10empty_typeEEEZNS1_34radix_sort_onesweep_global_offsetsIS3_Lb0EPKfPS5_mNS0_19identity_decomposerEEE10hipError_tT1_T2_PT3_SF_jT4_jjP12ihipStream_tbEUlT_E0_NS1_11comp_targetILNS1_3genE4ELNS1_11target_archE910ELNS1_3gpuE8ELNS1_3repE0EEENS1_52radix_sort_onesweep_histogram_config_static_selectorELNS0_4arch9wavefront6targetE0EEEvSD_.has_dyn_sized_stack, 0
	.set _ZN7rocprim17ROCPRIM_400000_NS6detail17trampoline_kernelINS0_14default_configENS1_35radix_sort_onesweep_config_selectorIfNS0_10empty_typeEEEZNS1_34radix_sort_onesweep_global_offsetsIS3_Lb0EPKfPS5_mNS0_19identity_decomposerEEE10hipError_tT1_T2_PT3_SF_jT4_jjP12ihipStream_tbEUlT_E0_NS1_11comp_targetILNS1_3genE4ELNS1_11target_archE910ELNS1_3gpuE8ELNS1_3repE0EEENS1_52radix_sort_onesweep_histogram_config_static_selectorELNS0_4arch9wavefront6targetE0EEEvSD_.has_recursion, 0
	.set _ZN7rocprim17ROCPRIM_400000_NS6detail17trampoline_kernelINS0_14default_configENS1_35radix_sort_onesweep_config_selectorIfNS0_10empty_typeEEEZNS1_34radix_sort_onesweep_global_offsetsIS3_Lb0EPKfPS5_mNS0_19identity_decomposerEEE10hipError_tT1_T2_PT3_SF_jT4_jjP12ihipStream_tbEUlT_E0_NS1_11comp_targetILNS1_3genE4ELNS1_11target_archE910ELNS1_3gpuE8ELNS1_3repE0EEENS1_52radix_sort_onesweep_histogram_config_static_selectorELNS0_4arch9wavefront6targetE0EEEvSD_.has_indirect_call, 0
	.section	.AMDGPU.csdata,"",@progbits
; Kernel info:
; codeLenInByte = 0
; TotalNumSgprs: 0
; NumVgprs: 0
; ScratchSize: 0
; MemoryBound: 0
; FloatMode: 240
; IeeeMode: 1
; LDSByteSize: 0 bytes/workgroup (compile time only)
; SGPRBlocks: 0
; VGPRBlocks: 0
; NumSGPRsForWavesPerEU: 1
; NumVGPRsForWavesPerEU: 1
; NamedBarCnt: 0
; Occupancy: 16
; WaveLimiterHint : 0
; COMPUTE_PGM_RSRC2:SCRATCH_EN: 0
; COMPUTE_PGM_RSRC2:USER_SGPR: 2
; COMPUTE_PGM_RSRC2:TRAP_HANDLER: 0
; COMPUTE_PGM_RSRC2:TGID_X_EN: 1
; COMPUTE_PGM_RSRC2:TGID_Y_EN: 0
; COMPUTE_PGM_RSRC2:TGID_Z_EN: 0
; COMPUTE_PGM_RSRC2:TIDIG_COMP_CNT: 0
	.section	.text._ZN7rocprim17ROCPRIM_400000_NS6detail17trampoline_kernelINS0_14default_configENS1_35radix_sort_onesweep_config_selectorIfNS0_10empty_typeEEEZNS1_34radix_sort_onesweep_global_offsetsIS3_Lb0EPKfPS5_mNS0_19identity_decomposerEEE10hipError_tT1_T2_PT3_SF_jT4_jjP12ihipStream_tbEUlT_E0_NS1_11comp_targetILNS1_3genE3ELNS1_11target_archE908ELNS1_3gpuE7ELNS1_3repE0EEENS1_52radix_sort_onesweep_histogram_config_static_selectorELNS0_4arch9wavefront6targetE0EEEvSD_,"axG",@progbits,_ZN7rocprim17ROCPRIM_400000_NS6detail17trampoline_kernelINS0_14default_configENS1_35radix_sort_onesweep_config_selectorIfNS0_10empty_typeEEEZNS1_34radix_sort_onesweep_global_offsetsIS3_Lb0EPKfPS5_mNS0_19identity_decomposerEEE10hipError_tT1_T2_PT3_SF_jT4_jjP12ihipStream_tbEUlT_E0_NS1_11comp_targetILNS1_3genE3ELNS1_11target_archE908ELNS1_3gpuE7ELNS1_3repE0EEENS1_52radix_sort_onesweep_histogram_config_static_selectorELNS0_4arch9wavefront6targetE0EEEvSD_,comdat
	.protected	_ZN7rocprim17ROCPRIM_400000_NS6detail17trampoline_kernelINS0_14default_configENS1_35radix_sort_onesweep_config_selectorIfNS0_10empty_typeEEEZNS1_34radix_sort_onesweep_global_offsetsIS3_Lb0EPKfPS5_mNS0_19identity_decomposerEEE10hipError_tT1_T2_PT3_SF_jT4_jjP12ihipStream_tbEUlT_E0_NS1_11comp_targetILNS1_3genE3ELNS1_11target_archE908ELNS1_3gpuE7ELNS1_3repE0EEENS1_52radix_sort_onesweep_histogram_config_static_selectorELNS0_4arch9wavefront6targetE0EEEvSD_ ; -- Begin function _ZN7rocprim17ROCPRIM_400000_NS6detail17trampoline_kernelINS0_14default_configENS1_35radix_sort_onesweep_config_selectorIfNS0_10empty_typeEEEZNS1_34radix_sort_onesweep_global_offsetsIS3_Lb0EPKfPS5_mNS0_19identity_decomposerEEE10hipError_tT1_T2_PT3_SF_jT4_jjP12ihipStream_tbEUlT_E0_NS1_11comp_targetILNS1_3genE3ELNS1_11target_archE908ELNS1_3gpuE7ELNS1_3repE0EEENS1_52radix_sort_onesweep_histogram_config_static_selectorELNS0_4arch9wavefront6targetE0EEEvSD_
	.globl	_ZN7rocprim17ROCPRIM_400000_NS6detail17trampoline_kernelINS0_14default_configENS1_35radix_sort_onesweep_config_selectorIfNS0_10empty_typeEEEZNS1_34radix_sort_onesweep_global_offsetsIS3_Lb0EPKfPS5_mNS0_19identity_decomposerEEE10hipError_tT1_T2_PT3_SF_jT4_jjP12ihipStream_tbEUlT_E0_NS1_11comp_targetILNS1_3genE3ELNS1_11target_archE908ELNS1_3gpuE7ELNS1_3repE0EEENS1_52radix_sort_onesweep_histogram_config_static_selectorELNS0_4arch9wavefront6targetE0EEEvSD_
	.p2align	8
	.type	_ZN7rocprim17ROCPRIM_400000_NS6detail17trampoline_kernelINS0_14default_configENS1_35radix_sort_onesweep_config_selectorIfNS0_10empty_typeEEEZNS1_34radix_sort_onesweep_global_offsetsIS3_Lb0EPKfPS5_mNS0_19identity_decomposerEEE10hipError_tT1_T2_PT3_SF_jT4_jjP12ihipStream_tbEUlT_E0_NS1_11comp_targetILNS1_3genE3ELNS1_11target_archE908ELNS1_3gpuE7ELNS1_3repE0EEENS1_52radix_sort_onesweep_histogram_config_static_selectorELNS0_4arch9wavefront6targetE0EEEvSD_,@function
_ZN7rocprim17ROCPRIM_400000_NS6detail17trampoline_kernelINS0_14default_configENS1_35radix_sort_onesweep_config_selectorIfNS0_10empty_typeEEEZNS1_34radix_sort_onesweep_global_offsetsIS3_Lb0EPKfPS5_mNS0_19identity_decomposerEEE10hipError_tT1_T2_PT3_SF_jT4_jjP12ihipStream_tbEUlT_E0_NS1_11comp_targetILNS1_3genE3ELNS1_11target_archE908ELNS1_3gpuE7ELNS1_3repE0EEENS1_52radix_sort_onesweep_histogram_config_static_selectorELNS0_4arch9wavefront6targetE0EEEvSD_: ; @_ZN7rocprim17ROCPRIM_400000_NS6detail17trampoline_kernelINS0_14default_configENS1_35radix_sort_onesweep_config_selectorIfNS0_10empty_typeEEEZNS1_34radix_sort_onesweep_global_offsetsIS3_Lb0EPKfPS5_mNS0_19identity_decomposerEEE10hipError_tT1_T2_PT3_SF_jT4_jjP12ihipStream_tbEUlT_E0_NS1_11comp_targetILNS1_3genE3ELNS1_11target_archE908ELNS1_3gpuE7ELNS1_3repE0EEENS1_52radix_sort_onesweep_histogram_config_static_selectorELNS0_4arch9wavefront6targetE0EEEvSD_
; %bb.0:
	.section	.rodata,"a",@progbits
	.p2align	6, 0x0
	.amdhsa_kernel _ZN7rocprim17ROCPRIM_400000_NS6detail17trampoline_kernelINS0_14default_configENS1_35radix_sort_onesweep_config_selectorIfNS0_10empty_typeEEEZNS1_34radix_sort_onesweep_global_offsetsIS3_Lb0EPKfPS5_mNS0_19identity_decomposerEEE10hipError_tT1_T2_PT3_SF_jT4_jjP12ihipStream_tbEUlT_E0_NS1_11comp_targetILNS1_3genE3ELNS1_11target_archE908ELNS1_3gpuE7ELNS1_3repE0EEENS1_52radix_sort_onesweep_histogram_config_static_selectorELNS0_4arch9wavefront6targetE0EEEvSD_
		.amdhsa_group_segment_fixed_size 0
		.amdhsa_private_segment_fixed_size 0
		.amdhsa_kernarg_size 8
		.amdhsa_user_sgpr_count 2
		.amdhsa_user_sgpr_dispatch_ptr 0
		.amdhsa_user_sgpr_queue_ptr 0
		.amdhsa_user_sgpr_kernarg_segment_ptr 1
		.amdhsa_user_sgpr_dispatch_id 0
		.amdhsa_user_sgpr_kernarg_preload_length 0
		.amdhsa_user_sgpr_kernarg_preload_offset 0
		.amdhsa_user_sgpr_private_segment_size 0
		.amdhsa_wavefront_size32 1
		.amdhsa_uses_dynamic_stack 0
		.amdhsa_enable_private_segment 0
		.amdhsa_system_sgpr_workgroup_id_x 1
		.amdhsa_system_sgpr_workgroup_id_y 0
		.amdhsa_system_sgpr_workgroup_id_z 0
		.amdhsa_system_sgpr_workgroup_info 0
		.amdhsa_system_vgpr_workitem_id 0
		.amdhsa_next_free_vgpr 1
		.amdhsa_next_free_sgpr 1
		.amdhsa_named_barrier_count 0
		.amdhsa_reserve_vcc 0
		.amdhsa_float_round_mode_32 0
		.amdhsa_float_round_mode_16_64 0
		.amdhsa_float_denorm_mode_32 3
		.amdhsa_float_denorm_mode_16_64 3
		.amdhsa_fp16_overflow 0
		.amdhsa_memory_ordered 1
		.amdhsa_forward_progress 1
		.amdhsa_inst_pref_size 0
		.amdhsa_round_robin_scheduling 0
		.amdhsa_exception_fp_ieee_invalid_op 0
		.amdhsa_exception_fp_denorm_src 0
		.amdhsa_exception_fp_ieee_div_zero 0
		.amdhsa_exception_fp_ieee_overflow 0
		.amdhsa_exception_fp_ieee_underflow 0
		.amdhsa_exception_fp_ieee_inexact 0
		.amdhsa_exception_int_div_zero 0
	.end_amdhsa_kernel
	.section	.text._ZN7rocprim17ROCPRIM_400000_NS6detail17trampoline_kernelINS0_14default_configENS1_35radix_sort_onesweep_config_selectorIfNS0_10empty_typeEEEZNS1_34radix_sort_onesweep_global_offsetsIS3_Lb0EPKfPS5_mNS0_19identity_decomposerEEE10hipError_tT1_T2_PT3_SF_jT4_jjP12ihipStream_tbEUlT_E0_NS1_11comp_targetILNS1_3genE3ELNS1_11target_archE908ELNS1_3gpuE7ELNS1_3repE0EEENS1_52radix_sort_onesweep_histogram_config_static_selectorELNS0_4arch9wavefront6targetE0EEEvSD_,"axG",@progbits,_ZN7rocprim17ROCPRIM_400000_NS6detail17trampoline_kernelINS0_14default_configENS1_35radix_sort_onesweep_config_selectorIfNS0_10empty_typeEEEZNS1_34radix_sort_onesweep_global_offsetsIS3_Lb0EPKfPS5_mNS0_19identity_decomposerEEE10hipError_tT1_T2_PT3_SF_jT4_jjP12ihipStream_tbEUlT_E0_NS1_11comp_targetILNS1_3genE3ELNS1_11target_archE908ELNS1_3gpuE7ELNS1_3repE0EEENS1_52radix_sort_onesweep_histogram_config_static_selectorELNS0_4arch9wavefront6targetE0EEEvSD_,comdat
.Lfunc_end1402:
	.size	_ZN7rocprim17ROCPRIM_400000_NS6detail17trampoline_kernelINS0_14default_configENS1_35radix_sort_onesweep_config_selectorIfNS0_10empty_typeEEEZNS1_34radix_sort_onesweep_global_offsetsIS3_Lb0EPKfPS5_mNS0_19identity_decomposerEEE10hipError_tT1_T2_PT3_SF_jT4_jjP12ihipStream_tbEUlT_E0_NS1_11comp_targetILNS1_3genE3ELNS1_11target_archE908ELNS1_3gpuE7ELNS1_3repE0EEENS1_52radix_sort_onesweep_histogram_config_static_selectorELNS0_4arch9wavefront6targetE0EEEvSD_, .Lfunc_end1402-_ZN7rocprim17ROCPRIM_400000_NS6detail17trampoline_kernelINS0_14default_configENS1_35radix_sort_onesweep_config_selectorIfNS0_10empty_typeEEEZNS1_34radix_sort_onesweep_global_offsetsIS3_Lb0EPKfPS5_mNS0_19identity_decomposerEEE10hipError_tT1_T2_PT3_SF_jT4_jjP12ihipStream_tbEUlT_E0_NS1_11comp_targetILNS1_3genE3ELNS1_11target_archE908ELNS1_3gpuE7ELNS1_3repE0EEENS1_52radix_sort_onesweep_histogram_config_static_selectorELNS0_4arch9wavefront6targetE0EEEvSD_
                                        ; -- End function
	.set _ZN7rocprim17ROCPRIM_400000_NS6detail17trampoline_kernelINS0_14default_configENS1_35radix_sort_onesweep_config_selectorIfNS0_10empty_typeEEEZNS1_34radix_sort_onesweep_global_offsetsIS3_Lb0EPKfPS5_mNS0_19identity_decomposerEEE10hipError_tT1_T2_PT3_SF_jT4_jjP12ihipStream_tbEUlT_E0_NS1_11comp_targetILNS1_3genE3ELNS1_11target_archE908ELNS1_3gpuE7ELNS1_3repE0EEENS1_52radix_sort_onesweep_histogram_config_static_selectorELNS0_4arch9wavefront6targetE0EEEvSD_.num_vgpr, 0
	.set _ZN7rocprim17ROCPRIM_400000_NS6detail17trampoline_kernelINS0_14default_configENS1_35radix_sort_onesweep_config_selectorIfNS0_10empty_typeEEEZNS1_34radix_sort_onesweep_global_offsetsIS3_Lb0EPKfPS5_mNS0_19identity_decomposerEEE10hipError_tT1_T2_PT3_SF_jT4_jjP12ihipStream_tbEUlT_E0_NS1_11comp_targetILNS1_3genE3ELNS1_11target_archE908ELNS1_3gpuE7ELNS1_3repE0EEENS1_52radix_sort_onesweep_histogram_config_static_selectorELNS0_4arch9wavefront6targetE0EEEvSD_.num_agpr, 0
	.set _ZN7rocprim17ROCPRIM_400000_NS6detail17trampoline_kernelINS0_14default_configENS1_35radix_sort_onesweep_config_selectorIfNS0_10empty_typeEEEZNS1_34radix_sort_onesweep_global_offsetsIS3_Lb0EPKfPS5_mNS0_19identity_decomposerEEE10hipError_tT1_T2_PT3_SF_jT4_jjP12ihipStream_tbEUlT_E0_NS1_11comp_targetILNS1_3genE3ELNS1_11target_archE908ELNS1_3gpuE7ELNS1_3repE0EEENS1_52radix_sort_onesweep_histogram_config_static_selectorELNS0_4arch9wavefront6targetE0EEEvSD_.numbered_sgpr, 0
	.set _ZN7rocprim17ROCPRIM_400000_NS6detail17trampoline_kernelINS0_14default_configENS1_35radix_sort_onesweep_config_selectorIfNS0_10empty_typeEEEZNS1_34radix_sort_onesweep_global_offsetsIS3_Lb0EPKfPS5_mNS0_19identity_decomposerEEE10hipError_tT1_T2_PT3_SF_jT4_jjP12ihipStream_tbEUlT_E0_NS1_11comp_targetILNS1_3genE3ELNS1_11target_archE908ELNS1_3gpuE7ELNS1_3repE0EEENS1_52radix_sort_onesweep_histogram_config_static_selectorELNS0_4arch9wavefront6targetE0EEEvSD_.num_named_barrier, 0
	.set _ZN7rocprim17ROCPRIM_400000_NS6detail17trampoline_kernelINS0_14default_configENS1_35radix_sort_onesweep_config_selectorIfNS0_10empty_typeEEEZNS1_34radix_sort_onesweep_global_offsetsIS3_Lb0EPKfPS5_mNS0_19identity_decomposerEEE10hipError_tT1_T2_PT3_SF_jT4_jjP12ihipStream_tbEUlT_E0_NS1_11comp_targetILNS1_3genE3ELNS1_11target_archE908ELNS1_3gpuE7ELNS1_3repE0EEENS1_52radix_sort_onesweep_histogram_config_static_selectorELNS0_4arch9wavefront6targetE0EEEvSD_.private_seg_size, 0
	.set _ZN7rocprim17ROCPRIM_400000_NS6detail17trampoline_kernelINS0_14default_configENS1_35radix_sort_onesweep_config_selectorIfNS0_10empty_typeEEEZNS1_34radix_sort_onesweep_global_offsetsIS3_Lb0EPKfPS5_mNS0_19identity_decomposerEEE10hipError_tT1_T2_PT3_SF_jT4_jjP12ihipStream_tbEUlT_E0_NS1_11comp_targetILNS1_3genE3ELNS1_11target_archE908ELNS1_3gpuE7ELNS1_3repE0EEENS1_52radix_sort_onesweep_histogram_config_static_selectorELNS0_4arch9wavefront6targetE0EEEvSD_.uses_vcc, 0
	.set _ZN7rocprim17ROCPRIM_400000_NS6detail17trampoline_kernelINS0_14default_configENS1_35radix_sort_onesweep_config_selectorIfNS0_10empty_typeEEEZNS1_34radix_sort_onesweep_global_offsetsIS3_Lb0EPKfPS5_mNS0_19identity_decomposerEEE10hipError_tT1_T2_PT3_SF_jT4_jjP12ihipStream_tbEUlT_E0_NS1_11comp_targetILNS1_3genE3ELNS1_11target_archE908ELNS1_3gpuE7ELNS1_3repE0EEENS1_52radix_sort_onesweep_histogram_config_static_selectorELNS0_4arch9wavefront6targetE0EEEvSD_.uses_flat_scratch, 0
	.set _ZN7rocprim17ROCPRIM_400000_NS6detail17trampoline_kernelINS0_14default_configENS1_35radix_sort_onesweep_config_selectorIfNS0_10empty_typeEEEZNS1_34radix_sort_onesweep_global_offsetsIS3_Lb0EPKfPS5_mNS0_19identity_decomposerEEE10hipError_tT1_T2_PT3_SF_jT4_jjP12ihipStream_tbEUlT_E0_NS1_11comp_targetILNS1_3genE3ELNS1_11target_archE908ELNS1_3gpuE7ELNS1_3repE0EEENS1_52radix_sort_onesweep_histogram_config_static_selectorELNS0_4arch9wavefront6targetE0EEEvSD_.has_dyn_sized_stack, 0
	.set _ZN7rocprim17ROCPRIM_400000_NS6detail17trampoline_kernelINS0_14default_configENS1_35radix_sort_onesweep_config_selectorIfNS0_10empty_typeEEEZNS1_34radix_sort_onesweep_global_offsetsIS3_Lb0EPKfPS5_mNS0_19identity_decomposerEEE10hipError_tT1_T2_PT3_SF_jT4_jjP12ihipStream_tbEUlT_E0_NS1_11comp_targetILNS1_3genE3ELNS1_11target_archE908ELNS1_3gpuE7ELNS1_3repE0EEENS1_52radix_sort_onesweep_histogram_config_static_selectorELNS0_4arch9wavefront6targetE0EEEvSD_.has_recursion, 0
	.set _ZN7rocprim17ROCPRIM_400000_NS6detail17trampoline_kernelINS0_14default_configENS1_35radix_sort_onesweep_config_selectorIfNS0_10empty_typeEEEZNS1_34radix_sort_onesweep_global_offsetsIS3_Lb0EPKfPS5_mNS0_19identity_decomposerEEE10hipError_tT1_T2_PT3_SF_jT4_jjP12ihipStream_tbEUlT_E0_NS1_11comp_targetILNS1_3genE3ELNS1_11target_archE908ELNS1_3gpuE7ELNS1_3repE0EEENS1_52radix_sort_onesweep_histogram_config_static_selectorELNS0_4arch9wavefront6targetE0EEEvSD_.has_indirect_call, 0
	.section	.AMDGPU.csdata,"",@progbits
; Kernel info:
; codeLenInByte = 0
; TotalNumSgprs: 0
; NumVgprs: 0
; ScratchSize: 0
; MemoryBound: 0
; FloatMode: 240
; IeeeMode: 1
; LDSByteSize: 0 bytes/workgroup (compile time only)
; SGPRBlocks: 0
; VGPRBlocks: 0
; NumSGPRsForWavesPerEU: 1
; NumVGPRsForWavesPerEU: 1
; NamedBarCnt: 0
; Occupancy: 16
; WaveLimiterHint : 0
; COMPUTE_PGM_RSRC2:SCRATCH_EN: 0
; COMPUTE_PGM_RSRC2:USER_SGPR: 2
; COMPUTE_PGM_RSRC2:TRAP_HANDLER: 0
; COMPUTE_PGM_RSRC2:TGID_X_EN: 1
; COMPUTE_PGM_RSRC2:TGID_Y_EN: 0
; COMPUTE_PGM_RSRC2:TGID_Z_EN: 0
; COMPUTE_PGM_RSRC2:TIDIG_COMP_CNT: 0
	.section	.text._ZN7rocprim17ROCPRIM_400000_NS6detail17trampoline_kernelINS0_14default_configENS1_35radix_sort_onesweep_config_selectorIfNS0_10empty_typeEEEZNS1_34radix_sort_onesweep_global_offsetsIS3_Lb0EPKfPS5_mNS0_19identity_decomposerEEE10hipError_tT1_T2_PT3_SF_jT4_jjP12ihipStream_tbEUlT_E0_NS1_11comp_targetILNS1_3genE10ELNS1_11target_archE1201ELNS1_3gpuE5ELNS1_3repE0EEENS1_52radix_sort_onesweep_histogram_config_static_selectorELNS0_4arch9wavefront6targetE0EEEvSD_,"axG",@progbits,_ZN7rocprim17ROCPRIM_400000_NS6detail17trampoline_kernelINS0_14default_configENS1_35radix_sort_onesweep_config_selectorIfNS0_10empty_typeEEEZNS1_34radix_sort_onesweep_global_offsetsIS3_Lb0EPKfPS5_mNS0_19identity_decomposerEEE10hipError_tT1_T2_PT3_SF_jT4_jjP12ihipStream_tbEUlT_E0_NS1_11comp_targetILNS1_3genE10ELNS1_11target_archE1201ELNS1_3gpuE5ELNS1_3repE0EEENS1_52radix_sort_onesweep_histogram_config_static_selectorELNS0_4arch9wavefront6targetE0EEEvSD_,comdat
	.protected	_ZN7rocprim17ROCPRIM_400000_NS6detail17trampoline_kernelINS0_14default_configENS1_35radix_sort_onesweep_config_selectorIfNS0_10empty_typeEEEZNS1_34radix_sort_onesweep_global_offsetsIS3_Lb0EPKfPS5_mNS0_19identity_decomposerEEE10hipError_tT1_T2_PT3_SF_jT4_jjP12ihipStream_tbEUlT_E0_NS1_11comp_targetILNS1_3genE10ELNS1_11target_archE1201ELNS1_3gpuE5ELNS1_3repE0EEENS1_52radix_sort_onesweep_histogram_config_static_selectorELNS0_4arch9wavefront6targetE0EEEvSD_ ; -- Begin function _ZN7rocprim17ROCPRIM_400000_NS6detail17trampoline_kernelINS0_14default_configENS1_35radix_sort_onesweep_config_selectorIfNS0_10empty_typeEEEZNS1_34radix_sort_onesweep_global_offsetsIS3_Lb0EPKfPS5_mNS0_19identity_decomposerEEE10hipError_tT1_T2_PT3_SF_jT4_jjP12ihipStream_tbEUlT_E0_NS1_11comp_targetILNS1_3genE10ELNS1_11target_archE1201ELNS1_3gpuE5ELNS1_3repE0EEENS1_52radix_sort_onesweep_histogram_config_static_selectorELNS0_4arch9wavefront6targetE0EEEvSD_
	.globl	_ZN7rocprim17ROCPRIM_400000_NS6detail17trampoline_kernelINS0_14default_configENS1_35radix_sort_onesweep_config_selectorIfNS0_10empty_typeEEEZNS1_34radix_sort_onesweep_global_offsetsIS3_Lb0EPKfPS5_mNS0_19identity_decomposerEEE10hipError_tT1_T2_PT3_SF_jT4_jjP12ihipStream_tbEUlT_E0_NS1_11comp_targetILNS1_3genE10ELNS1_11target_archE1201ELNS1_3gpuE5ELNS1_3repE0EEENS1_52radix_sort_onesweep_histogram_config_static_selectorELNS0_4arch9wavefront6targetE0EEEvSD_
	.p2align	8
	.type	_ZN7rocprim17ROCPRIM_400000_NS6detail17trampoline_kernelINS0_14default_configENS1_35radix_sort_onesweep_config_selectorIfNS0_10empty_typeEEEZNS1_34radix_sort_onesweep_global_offsetsIS3_Lb0EPKfPS5_mNS0_19identity_decomposerEEE10hipError_tT1_T2_PT3_SF_jT4_jjP12ihipStream_tbEUlT_E0_NS1_11comp_targetILNS1_3genE10ELNS1_11target_archE1201ELNS1_3gpuE5ELNS1_3repE0EEENS1_52radix_sort_onesweep_histogram_config_static_selectorELNS0_4arch9wavefront6targetE0EEEvSD_,@function
_ZN7rocprim17ROCPRIM_400000_NS6detail17trampoline_kernelINS0_14default_configENS1_35radix_sort_onesweep_config_selectorIfNS0_10empty_typeEEEZNS1_34radix_sort_onesweep_global_offsetsIS3_Lb0EPKfPS5_mNS0_19identity_decomposerEEE10hipError_tT1_T2_PT3_SF_jT4_jjP12ihipStream_tbEUlT_E0_NS1_11comp_targetILNS1_3genE10ELNS1_11target_archE1201ELNS1_3gpuE5ELNS1_3repE0EEENS1_52radix_sort_onesweep_histogram_config_static_selectorELNS0_4arch9wavefront6targetE0EEEvSD_: ; @_ZN7rocprim17ROCPRIM_400000_NS6detail17trampoline_kernelINS0_14default_configENS1_35radix_sort_onesweep_config_selectorIfNS0_10empty_typeEEEZNS1_34radix_sort_onesweep_global_offsetsIS3_Lb0EPKfPS5_mNS0_19identity_decomposerEEE10hipError_tT1_T2_PT3_SF_jT4_jjP12ihipStream_tbEUlT_E0_NS1_11comp_targetILNS1_3genE10ELNS1_11target_archE1201ELNS1_3gpuE5ELNS1_3repE0EEENS1_52radix_sort_onesweep_histogram_config_static_selectorELNS0_4arch9wavefront6targetE0EEEvSD_
; %bb.0:
	.section	.rodata,"a",@progbits
	.p2align	6, 0x0
	.amdhsa_kernel _ZN7rocprim17ROCPRIM_400000_NS6detail17trampoline_kernelINS0_14default_configENS1_35radix_sort_onesweep_config_selectorIfNS0_10empty_typeEEEZNS1_34radix_sort_onesweep_global_offsetsIS3_Lb0EPKfPS5_mNS0_19identity_decomposerEEE10hipError_tT1_T2_PT3_SF_jT4_jjP12ihipStream_tbEUlT_E0_NS1_11comp_targetILNS1_3genE10ELNS1_11target_archE1201ELNS1_3gpuE5ELNS1_3repE0EEENS1_52radix_sort_onesweep_histogram_config_static_selectorELNS0_4arch9wavefront6targetE0EEEvSD_
		.amdhsa_group_segment_fixed_size 0
		.amdhsa_private_segment_fixed_size 0
		.amdhsa_kernarg_size 8
		.amdhsa_user_sgpr_count 2
		.amdhsa_user_sgpr_dispatch_ptr 0
		.amdhsa_user_sgpr_queue_ptr 0
		.amdhsa_user_sgpr_kernarg_segment_ptr 1
		.amdhsa_user_sgpr_dispatch_id 0
		.amdhsa_user_sgpr_kernarg_preload_length 0
		.amdhsa_user_sgpr_kernarg_preload_offset 0
		.amdhsa_user_sgpr_private_segment_size 0
		.amdhsa_wavefront_size32 1
		.amdhsa_uses_dynamic_stack 0
		.amdhsa_enable_private_segment 0
		.amdhsa_system_sgpr_workgroup_id_x 1
		.amdhsa_system_sgpr_workgroup_id_y 0
		.amdhsa_system_sgpr_workgroup_id_z 0
		.amdhsa_system_sgpr_workgroup_info 0
		.amdhsa_system_vgpr_workitem_id 0
		.amdhsa_next_free_vgpr 1
		.amdhsa_next_free_sgpr 1
		.amdhsa_named_barrier_count 0
		.amdhsa_reserve_vcc 0
		.amdhsa_float_round_mode_32 0
		.amdhsa_float_round_mode_16_64 0
		.amdhsa_float_denorm_mode_32 3
		.amdhsa_float_denorm_mode_16_64 3
		.amdhsa_fp16_overflow 0
		.amdhsa_memory_ordered 1
		.amdhsa_forward_progress 1
		.amdhsa_inst_pref_size 0
		.amdhsa_round_robin_scheduling 0
		.amdhsa_exception_fp_ieee_invalid_op 0
		.amdhsa_exception_fp_denorm_src 0
		.amdhsa_exception_fp_ieee_div_zero 0
		.amdhsa_exception_fp_ieee_overflow 0
		.amdhsa_exception_fp_ieee_underflow 0
		.amdhsa_exception_fp_ieee_inexact 0
		.amdhsa_exception_int_div_zero 0
	.end_amdhsa_kernel
	.section	.text._ZN7rocprim17ROCPRIM_400000_NS6detail17trampoline_kernelINS0_14default_configENS1_35radix_sort_onesweep_config_selectorIfNS0_10empty_typeEEEZNS1_34radix_sort_onesweep_global_offsetsIS3_Lb0EPKfPS5_mNS0_19identity_decomposerEEE10hipError_tT1_T2_PT3_SF_jT4_jjP12ihipStream_tbEUlT_E0_NS1_11comp_targetILNS1_3genE10ELNS1_11target_archE1201ELNS1_3gpuE5ELNS1_3repE0EEENS1_52radix_sort_onesweep_histogram_config_static_selectorELNS0_4arch9wavefront6targetE0EEEvSD_,"axG",@progbits,_ZN7rocprim17ROCPRIM_400000_NS6detail17trampoline_kernelINS0_14default_configENS1_35radix_sort_onesweep_config_selectorIfNS0_10empty_typeEEEZNS1_34radix_sort_onesweep_global_offsetsIS3_Lb0EPKfPS5_mNS0_19identity_decomposerEEE10hipError_tT1_T2_PT3_SF_jT4_jjP12ihipStream_tbEUlT_E0_NS1_11comp_targetILNS1_3genE10ELNS1_11target_archE1201ELNS1_3gpuE5ELNS1_3repE0EEENS1_52radix_sort_onesweep_histogram_config_static_selectorELNS0_4arch9wavefront6targetE0EEEvSD_,comdat
.Lfunc_end1403:
	.size	_ZN7rocprim17ROCPRIM_400000_NS6detail17trampoline_kernelINS0_14default_configENS1_35radix_sort_onesweep_config_selectorIfNS0_10empty_typeEEEZNS1_34radix_sort_onesweep_global_offsetsIS3_Lb0EPKfPS5_mNS0_19identity_decomposerEEE10hipError_tT1_T2_PT3_SF_jT4_jjP12ihipStream_tbEUlT_E0_NS1_11comp_targetILNS1_3genE10ELNS1_11target_archE1201ELNS1_3gpuE5ELNS1_3repE0EEENS1_52radix_sort_onesweep_histogram_config_static_selectorELNS0_4arch9wavefront6targetE0EEEvSD_, .Lfunc_end1403-_ZN7rocprim17ROCPRIM_400000_NS6detail17trampoline_kernelINS0_14default_configENS1_35radix_sort_onesweep_config_selectorIfNS0_10empty_typeEEEZNS1_34radix_sort_onesweep_global_offsetsIS3_Lb0EPKfPS5_mNS0_19identity_decomposerEEE10hipError_tT1_T2_PT3_SF_jT4_jjP12ihipStream_tbEUlT_E0_NS1_11comp_targetILNS1_3genE10ELNS1_11target_archE1201ELNS1_3gpuE5ELNS1_3repE0EEENS1_52radix_sort_onesweep_histogram_config_static_selectorELNS0_4arch9wavefront6targetE0EEEvSD_
                                        ; -- End function
	.set _ZN7rocprim17ROCPRIM_400000_NS6detail17trampoline_kernelINS0_14default_configENS1_35radix_sort_onesweep_config_selectorIfNS0_10empty_typeEEEZNS1_34radix_sort_onesweep_global_offsetsIS3_Lb0EPKfPS5_mNS0_19identity_decomposerEEE10hipError_tT1_T2_PT3_SF_jT4_jjP12ihipStream_tbEUlT_E0_NS1_11comp_targetILNS1_3genE10ELNS1_11target_archE1201ELNS1_3gpuE5ELNS1_3repE0EEENS1_52radix_sort_onesweep_histogram_config_static_selectorELNS0_4arch9wavefront6targetE0EEEvSD_.num_vgpr, 0
	.set _ZN7rocprim17ROCPRIM_400000_NS6detail17trampoline_kernelINS0_14default_configENS1_35radix_sort_onesweep_config_selectorIfNS0_10empty_typeEEEZNS1_34radix_sort_onesweep_global_offsetsIS3_Lb0EPKfPS5_mNS0_19identity_decomposerEEE10hipError_tT1_T2_PT3_SF_jT4_jjP12ihipStream_tbEUlT_E0_NS1_11comp_targetILNS1_3genE10ELNS1_11target_archE1201ELNS1_3gpuE5ELNS1_3repE0EEENS1_52radix_sort_onesweep_histogram_config_static_selectorELNS0_4arch9wavefront6targetE0EEEvSD_.num_agpr, 0
	.set _ZN7rocprim17ROCPRIM_400000_NS6detail17trampoline_kernelINS0_14default_configENS1_35radix_sort_onesweep_config_selectorIfNS0_10empty_typeEEEZNS1_34radix_sort_onesweep_global_offsetsIS3_Lb0EPKfPS5_mNS0_19identity_decomposerEEE10hipError_tT1_T2_PT3_SF_jT4_jjP12ihipStream_tbEUlT_E0_NS1_11comp_targetILNS1_3genE10ELNS1_11target_archE1201ELNS1_3gpuE5ELNS1_3repE0EEENS1_52radix_sort_onesweep_histogram_config_static_selectorELNS0_4arch9wavefront6targetE0EEEvSD_.numbered_sgpr, 0
	.set _ZN7rocprim17ROCPRIM_400000_NS6detail17trampoline_kernelINS0_14default_configENS1_35radix_sort_onesweep_config_selectorIfNS0_10empty_typeEEEZNS1_34radix_sort_onesweep_global_offsetsIS3_Lb0EPKfPS5_mNS0_19identity_decomposerEEE10hipError_tT1_T2_PT3_SF_jT4_jjP12ihipStream_tbEUlT_E0_NS1_11comp_targetILNS1_3genE10ELNS1_11target_archE1201ELNS1_3gpuE5ELNS1_3repE0EEENS1_52radix_sort_onesweep_histogram_config_static_selectorELNS0_4arch9wavefront6targetE0EEEvSD_.num_named_barrier, 0
	.set _ZN7rocprim17ROCPRIM_400000_NS6detail17trampoline_kernelINS0_14default_configENS1_35radix_sort_onesweep_config_selectorIfNS0_10empty_typeEEEZNS1_34radix_sort_onesweep_global_offsetsIS3_Lb0EPKfPS5_mNS0_19identity_decomposerEEE10hipError_tT1_T2_PT3_SF_jT4_jjP12ihipStream_tbEUlT_E0_NS1_11comp_targetILNS1_3genE10ELNS1_11target_archE1201ELNS1_3gpuE5ELNS1_3repE0EEENS1_52radix_sort_onesweep_histogram_config_static_selectorELNS0_4arch9wavefront6targetE0EEEvSD_.private_seg_size, 0
	.set _ZN7rocprim17ROCPRIM_400000_NS6detail17trampoline_kernelINS0_14default_configENS1_35radix_sort_onesweep_config_selectorIfNS0_10empty_typeEEEZNS1_34radix_sort_onesweep_global_offsetsIS3_Lb0EPKfPS5_mNS0_19identity_decomposerEEE10hipError_tT1_T2_PT3_SF_jT4_jjP12ihipStream_tbEUlT_E0_NS1_11comp_targetILNS1_3genE10ELNS1_11target_archE1201ELNS1_3gpuE5ELNS1_3repE0EEENS1_52radix_sort_onesweep_histogram_config_static_selectorELNS0_4arch9wavefront6targetE0EEEvSD_.uses_vcc, 0
	.set _ZN7rocprim17ROCPRIM_400000_NS6detail17trampoline_kernelINS0_14default_configENS1_35radix_sort_onesweep_config_selectorIfNS0_10empty_typeEEEZNS1_34radix_sort_onesweep_global_offsetsIS3_Lb0EPKfPS5_mNS0_19identity_decomposerEEE10hipError_tT1_T2_PT3_SF_jT4_jjP12ihipStream_tbEUlT_E0_NS1_11comp_targetILNS1_3genE10ELNS1_11target_archE1201ELNS1_3gpuE5ELNS1_3repE0EEENS1_52radix_sort_onesweep_histogram_config_static_selectorELNS0_4arch9wavefront6targetE0EEEvSD_.uses_flat_scratch, 0
	.set _ZN7rocprim17ROCPRIM_400000_NS6detail17trampoline_kernelINS0_14default_configENS1_35radix_sort_onesweep_config_selectorIfNS0_10empty_typeEEEZNS1_34radix_sort_onesweep_global_offsetsIS3_Lb0EPKfPS5_mNS0_19identity_decomposerEEE10hipError_tT1_T2_PT3_SF_jT4_jjP12ihipStream_tbEUlT_E0_NS1_11comp_targetILNS1_3genE10ELNS1_11target_archE1201ELNS1_3gpuE5ELNS1_3repE0EEENS1_52radix_sort_onesweep_histogram_config_static_selectorELNS0_4arch9wavefront6targetE0EEEvSD_.has_dyn_sized_stack, 0
	.set _ZN7rocprim17ROCPRIM_400000_NS6detail17trampoline_kernelINS0_14default_configENS1_35radix_sort_onesweep_config_selectorIfNS0_10empty_typeEEEZNS1_34radix_sort_onesweep_global_offsetsIS3_Lb0EPKfPS5_mNS0_19identity_decomposerEEE10hipError_tT1_T2_PT3_SF_jT4_jjP12ihipStream_tbEUlT_E0_NS1_11comp_targetILNS1_3genE10ELNS1_11target_archE1201ELNS1_3gpuE5ELNS1_3repE0EEENS1_52radix_sort_onesweep_histogram_config_static_selectorELNS0_4arch9wavefront6targetE0EEEvSD_.has_recursion, 0
	.set _ZN7rocprim17ROCPRIM_400000_NS6detail17trampoline_kernelINS0_14default_configENS1_35radix_sort_onesweep_config_selectorIfNS0_10empty_typeEEEZNS1_34radix_sort_onesweep_global_offsetsIS3_Lb0EPKfPS5_mNS0_19identity_decomposerEEE10hipError_tT1_T2_PT3_SF_jT4_jjP12ihipStream_tbEUlT_E0_NS1_11comp_targetILNS1_3genE10ELNS1_11target_archE1201ELNS1_3gpuE5ELNS1_3repE0EEENS1_52radix_sort_onesweep_histogram_config_static_selectorELNS0_4arch9wavefront6targetE0EEEvSD_.has_indirect_call, 0
	.section	.AMDGPU.csdata,"",@progbits
; Kernel info:
; codeLenInByte = 0
; TotalNumSgprs: 0
; NumVgprs: 0
; ScratchSize: 0
; MemoryBound: 0
; FloatMode: 240
; IeeeMode: 1
; LDSByteSize: 0 bytes/workgroup (compile time only)
; SGPRBlocks: 0
; VGPRBlocks: 0
; NumSGPRsForWavesPerEU: 1
; NumVGPRsForWavesPerEU: 1
; NamedBarCnt: 0
; Occupancy: 16
; WaveLimiterHint : 0
; COMPUTE_PGM_RSRC2:SCRATCH_EN: 0
; COMPUTE_PGM_RSRC2:USER_SGPR: 2
; COMPUTE_PGM_RSRC2:TRAP_HANDLER: 0
; COMPUTE_PGM_RSRC2:TGID_X_EN: 1
; COMPUTE_PGM_RSRC2:TGID_Y_EN: 0
; COMPUTE_PGM_RSRC2:TGID_Z_EN: 0
; COMPUTE_PGM_RSRC2:TIDIG_COMP_CNT: 0
	.section	.text._ZN7rocprim17ROCPRIM_400000_NS6detail17trampoline_kernelINS0_14default_configENS1_35radix_sort_onesweep_config_selectorIfNS0_10empty_typeEEEZNS1_34radix_sort_onesweep_global_offsetsIS3_Lb0EPKfPS5_mNS0_19identity_decomposerEEE10hipError_tT1_T2_PT3_SF_jT4_jjP12ihipStream_tbEUlT_E0_NS1_11comp_targetILNS1_3genE9ELNS1_11target_archE1100ELNS1_3gpuE3ELNS1_3repE0EEENS1_52radix_sort_onesweep_histogram_config_static_selectorELNS0_4arch9wavefront6targetE0EEEvSD_,"axG",@progbits,_ZN7rocprim17ROCPRIM_400000_NS6detail17trampoline_kernelINS0_14default_configENS1_35radix_sort_onesweep_config_selectorIfNS0_10empty_typeEEEZNS1_34radix_sort_onesweep_global_offsetsIS3_Lb0EPKfPS5_mNS0_19identity_decomposerEEE10hipError_tT1_T2_PT3_SF_jT4_jjP12ihipStream_tbEUlT_E0_NS1_11comp_targetILNS1_3genE9ELNS1_11target_archE1100ELNS1_3gpuE3ELNS1_3repE0EEENS1_52radix_sort_onesweep_histogram_config_static_selectorELNS0_4arch9wavefront6targetE0EEEvSD_,comdat
	.protected	_ZN7rocprim17ROCPRIM_400000_NS6detail17trampoline_kernelINS0_14default_configENS1_35radix_sort_onesweep_config_selectorIfNS0_10empty_typeEEEZNS1_34radix_sort_onesweep_global_offsetsIS3_Lb0EPKfPS5_mNS0_19identity_decomposerEEE10hipError_tT1_T2_PT3_SF_jT4_jjP12ihipStream_tbEUlT_E0_NS1_11comp_targetILNS1_3genE9ELNS1_11target_archE1100ELNS1_3gpuE3ELNS1_3repE0EEENS1_52radix_sort_onesweep_histogram_config_static_selectorELNS0_4arch9wavefront6targetE0EEEvSD_ ; -- Begin function _ZN7rocprim17ROCPRIM_400000_NS6detail17trampoline_kernelINS0_14default_configENS1_35radix_sort_onesweep_config_selectorIfNS0_10empty_typeEEEZNS1_34radix_sort_onesweep_global_offsetsIS3_Lb0EPKfPS5_mNS0_19identity_decomposerEEE10hipError_tT1_T2_PT3_SF_jT4_jjP12ihipStream_tbEUlT_E0_NS1_11comp_targetILNS1_3genE9ELNS1_11target_archE1100ELNS1_3gpuE3ELNS1_3repE0EEENS1_52radix_sort_onesweep_histogram_config_static_selectorELNS0_4arch9wavefront6targetE0EEEvSD_
	.globl	_ZN7rocprim17ROCPRIM_400000_NS6detail17trampoline_kernelINS0_14default_configENS1_35radix_sort_onesweep_config_selectorIfNS0_10empty_typeEEEZNS1_34radix_sort_onesweep_global_offsetsIS3_Lb0EPKfPS5_mNS0_19identity_decomposerEEE10hipError_tT1_T2_PT3_SF_jT4_jjP12ihipStream_tbEUlT_E0_NS1_11comp_targetILNS1_3genE9ELNS1_11target_archE1100ELNS1_3gpuE3ELNS1_3repE0EEENS1_52radix_sort_onesweep_histogram_config_static_selectorELNS0_4arch9wavefront6targetE0EEEvSD_
	.p2align	8
	.type	_ZN7rocprim17ROCPRIM_400000_NS6detail17trampoline_kernelINS0_14default_configENS1_35radix_sort_onesweep_config_selectorIfNS0_10empty_typeEEEZNS1_34radix_sort_onesweep_global_offsetsIS3_Lb0EPKfPS5_mNS0_19identity_decomposerEEE10hipError_tT1_T2_PT3_SF_jT4_jjP12ihipStream_tbEUlT_E0_NS1_11comp_targetILNS1_3genE9ELNS1_11target_archE1100ELNS1_3gpuE3ELNS1_3repE0EEENS1_52radix_sort_onesweep_histogram_config_static_selectorELNS0_4arch9wavefront6targetE0EEEvSD_,@function
_ZN7rocprim17ROCPRIM_400000_NS6detail17trampoline_kernelINS0_14default_configENS1_35radix_sort_onesweep_config_selectorIfNS0_10empty_typeEEEZNS1_34radix_sort_onesweep_global_offsetsIS3_Lb0EPKfPS5_mNS0_19identity_decomposerEEE10hipError_tT1_T2_PT3_SF_jT4_jjP12ihipStream_tbEUlT_E0_NS1_11comp_targetILNS1_3genE9ELNS1_11target_archE1100ELNS1_3gpuE3ELNS1_3repE0EEENS1_52radix_sort_onesweep_histogram_config_static_selectorELNS0_4arch9wavefront6targetE0EEEvSD_: ; @_ZN7rocprim17ROCPRIM_400000_NS6detail17trampoline_kernelINS0_14default_configENS1_35radix_sort_onesweep_config_selectorIfNS0_10empty_typeEEEZNS1_34radix_sort_onesweep_global_offsetsIS3_Lb0EPKfPS5_mNS0_19identity_decomposerEEE10hipError_tT1_T2_PT3_SF_jT4_jjP12ihipStream_tbEUlT_E0_NS1_11comp_targetILNS1_3genE9ELNS1_11target_archE1100ELNS1_3gpuE3ELNS1_3repE0EEENS1_52radix_sort_onesweep_histogram_config_static_selectorELNS0_4arch9wavefront6targetE0EEEvSD_
; %bb.0:
	.section	.rodata,"a",@progbits
	.p2align	6, 0x0
	.amdhsa_kernel _ZN7rocprim17ROCPRIM_400000_NS6detail17trampoline_kernelINS0_14default_configENS1_35radix_sort_onesweep_config_selectorIfNS0_10empty_typeEEEZNS1_34radix_sort_onesweep_global_offsetsIS3_Lb0EPKfPS5_mNS0_19identity_decomposerEEE10hipError_tT1_T2_PT3_SF_jT4_jjP12ihipStream_tbEUlT_E0_NS1_11comp_targetILNS1_3genE9ELNS1_11target_archE1100ELNS1_3gpuE3ELNS1_3repE0EEENS1_52radix_sort_onesweep_histogram_config_static_selectorELNS0_4arch9wavefront6targetE0EEEvSD_
		.amdhsa_group_segment_fixed_size 0
		.amdhsa_private_segment_fixed_size 0
		.amdhsa_kernarg_size 8
		.amdhsa_user_sgpr_count 2
		.amdhsa_user_sgpr_dispatch_ptr 0
		.amdhsa_user_sgpr_queue_ptr 0
		.amdhsa_user_sgpr_kernarg_segment_ptr 1
		.amdhsa_user_sgpr_dispatch_id 0
		.amdhsa_user_sgpr_kernarg_preload_length 0
		.amdhsa_user_sgpr_kernarg_preload_offset 0
		.amdhsa_user_sgpr_private_segment_size 0
		.amdhsa_wavefront_size32 1
		.amdhsa_uses_dynamic_stack 0
		.amdhsa_enable_private_segment 0
		.amdhsa_system_sgpr_workgroup_id_x 1
		.amdhsa_system_sgpr_workgroup_id_y 0
		.amdhsa_system_sgpr_workgroup_id_z 0
		.amdhsa_system_sgpr_workgroup_info 0
		.amdhsa_system_vgpr_workitem_id 0
		.amdhsa_next_free_vgpr 1
		.amdhsa_next_free_sgpr 1
		.amdhsa_named_barrier_count 0
		.amdhsa_reserve_vcc 0
		.amdhsa_float_round_mode_32 0
		.amdhsa_float_round_mode_16_64 0
		.amdhsa_float_denorm_mode_32 3
		.amdhsa_float_denorm_mode_16_64 3
		.amdhsa_fp16_overflow 0
		.amdhsa_memory_ordered 1
		.amdhsa_forward_progress 1
		.amdhsa_inst_pref_size 0
		.amdhsa_round_robin_scheduling 0
		.amdhsa_exception_fp_ieee_invalid_op 0
		.amdhsa_exception_fp_denorm_src 0
		.amdhsa_exception_fp_ieee_div_zero 0
		.amdhsa_exception_fp_ieee_overflow 0
		.amdhsa_exception_fp_ieee_underflow 0
		.amdhsa_exception_fp_ieee_inexact 0
		.amdhsa_exception_int_div_zero 0
	.end_amdhsa_kernel
	.section	.text._ZN7rocprim17ROCPRIM_400000_NS6detail17trampoline_kernelINS0_14default_configENS1_35radix_sort_onesweep_config_selectorIfNS0_10empty_typeEEEZNS1_34radix_sort_onesweep_global_offsetsIS3_Lb0EPKfPS5_mNS0_19identity_decomposerEEE10hipError_tT1_T2_PT3_SF_jT4_jjP12ihipStream_tbEUlT_E0_NS1_11comp_targetILNS1_3genE9ELNS1_11target_archE1100ELNS1_3gpuE3ELNS1_3repE0EEENS1_52radix_sort_onesweep_histogram_config_static_selectorELNS0_4arch9wavefront6targetE0EEEvSD_,"axG",@progbits,_ZN7rocprim17ROCPRIM_400000_NS6detail17trampoline_kernelINS0_14default_configENS1_35radix_sort_onesweep_config_selectorIfNS0_10empty_typeEEEZNS1_34radix_sort_onesweep_global_offsetsIS3_Lb0EPKfPS5_mNS0_19identity_decomposerEEE10hipError_tT1_T2_PT3_SF_jT4_jjP12ihipStream_tbEUlT_E0_NS1_11comp_targetILNS1_3genE9ELNS1_11target_archE1100ELNS1_3gpuE3ELNS1_3repE0EEENS1_52radix_sort_onesweep_histogram_config_static_selectorELNS0_4arch9wavefront6targetE0EEEvSD_,comdat
.Lfunc_end1404:
	.size	_ZN7rocprim17ROCPRIM_400000_NS6detail17trampoline_kernelINS0_14default_configENS1_35radix_sort_onesweep_config_selectorIfNS0_10empty_typeEEEZNS1_34radix_sort_onesweep_global_offsetsIS3_Lb0EPKfPS5_mNS0_19identity_decomposerEEE10hipError_tT1_T2_PT3_SF_jT4_jjP12ihipStream_tbEUlT_E0_NS1_11comp_targetILNS1_3genE9ELNS1_11target_archE1100ELNS1_3gpuE3ELNS1_3repE0EEENS1_52radix_sort_onesweep_histogram_config_static_selectorELNS0_4arch9wavefront6targetE0EEEvSD_, .Lfunc_end1404-_ZN7rocprim17ROCPRIM_400000_NS6detail17trampoline_kernelINS0_14default_configENS1_35radix_sort_onesweep_config_selectorIfNS0_10empty_typeEEEZNS1_34radix_sort_onesweep_global_offsetsIS3_Lb0EPKfPS5_mNS0_19identity_decomposerEEE10hipError_tT1_T2_PT3_SF_jT4_jjP12ihipStream_tbEUlT_E0_NS1_11comp_targetILNS1_3genE9ELNS1_11target_archE1100ELNS1_3gpuE3ELNS1_3repE0EEENS1_52radix_sort_onesweep_histogram_config_static_selectorELNS0_4arch9wavefront6targetE0EEEvSD_
                                        ; -- End function
	.set _ZN7rocprim17ROCPRIM_400000_NS6detail17trampoline_kernelINS0_14default_configENS1_35radix_sort_onesweep_config_selectorIfNS0_10empty_typeEEEZNS1_34radix_sort_onesweep_global_offsetsIS3_Lb0EPKfPS5_mNS0_19identity_decomposerEEE10hipError_tT1_T2_PT3_SF_jT4_jjP12ihipStream_tbEUlT_E0_NS1_11comp_targetILNS1_3genE9ELNS1_11target_archE1100ELNS1_3gpuE3ELNS1_3repE0EEENS1_52radix_sort_onesweep_histogram_config_static_selectorELNS0_4arch9wavefront6targetE0EEEvSD_.num_vgpr, 0
	.set _ZN7rocprim17ROCPRIM_400000_NS6detail17trampoline_kernelINS0_14default_configENS1_35radix_sort_onesweep_config_selectorIfNS0_10empty_typeEEEZNS1_34radix_sort_onesweep_global_offsetsIS3_Lb0EPKfPS5_mNS0_19identity_decomposerEEE10hipError_tT1_T2_PT3_SF_jT4_jjP12ihipStream_tbEUlT_E0_NS1_11comp_targetILNS1_3genE9ELNS1_11target_archE1100ELNS1_3gpuE3ELNS1_3repE0EEENS1_52radix_sort_onesweep_histogram_config_static_selectorELNS0_4arch9wavefront6targetE0EEEvSD_.num_agpr, 0
	.set _ZN7rocprim17ROCPRIM_400000_NS6detail17trampoline_kernelINS0_14default_configENS1_35radix_sort_onesweep_config_selectorIfNS0_10empty_typeEEEZNS1_34radix_sort_onesweep_global_offsetsIS3_Lb0EPKfPS5_mNS0_19identity_decomposerEEE10hipError_tT1_T2_PT3_SF_jT4_jjP12ihipStream_tbEUlT_E0_NS1_11comp_targetILNS1_3genE9ELNS1_11target_archE1100ELNS1_3gpuE3ELNS1_3repE0EEENS1_52radix_sort_onesweep_histogram_config_static_selectorELNS0_4arch9wavefront6targetE0EEEvSD_.numbered_sgpr, 0
	.set _ZN7rocprim17ROCPRIM_400000_NS6detail17trampoline_kernelINS0_14default_configENS1_35radix_sort_onesweep_config_selectorIfNS0_10empty_typeEEEZNS1_34radix_sort_onesweep_global_offsetsIS3_Lb0EPKfPS5_mNS0_19identity_decomposerEEE10hipError_tT1_T2_PT3_SF_jT4_jjP12ihipStream_tbEUlT_E0_NS1_11comp_targetILNS1_3genE9ELNS1_11target_archE1100ELNS1_3gpuE3ELNS1_3repE0EEENS1_52radix_sort_onesweep_histogram_config_static_selectorELNS0_4arch9wavefront6targetE0EEEvSD_.num_named_barrier, 0
	.set _ZN7rocprim17ROCPRIM_400000_NS6detail17trampoline_kernelINS0_14default_configENS1_35radix_sort_onesweep_config_selectorIfNS0_10empty_typeEEEZNS1_34radix_sort_onesweep_global_offsetsIS3_Lb0EPKfPS5_mNS0_19identity_decomposerEEE10hipError_tT1_T2_PT3_SF_jT4_jjP12ihipStream_tbEUlT_E0_NS1_11comp_targetILNS1_3genE9ELNS1_11target_archE1100ELNS1_3gpuE3ELNS1_3repE0EEENS1_52radix_sort_onesweep_histogram_config_static_selectorELNS0_4arch9wavefront6targetE0EEEvSD_.private_seg_size, 0
	.set _ZN7rocprim17ROCPRIM_400000_NS6detail17trampoline_kernelINS0_14default_configENS1_35radix_sort_onesweep_config_selectorIfNS0_10empty_typeEEEZNS1_34radix_sort_onesweep_global_offsetsIS3_Lb0EPKfPS5_mNS0_19identity_decomposerEEE10hipError_tT1_T2_PT3_SF_jT4_jjP12ihipStream_tbEUlT_E0_NS1_11comp_targetILNS1_3genE9ELNS1_11target_archE1100ELNS1_3gpuE3ELNS1_3repE0EEENS1_52radix_sort_onesweep_histogram_config_static_selectorELNS0_4arch9wavefront6targetE0EEEvSD_.uses_vcc, 0
	.set _ZN7rocprim17ROCPRIM_400000_NS6detail17trampoline_kernelINS0_14default_configENS1_35radix_sort_onesweep_config_selectorIfNS0_10empty_typeEEEZNS1_34radix_sort_onesweep_global_offsetsIS3_Lb0EPKfPS5_mNS0_19identity_decomposerEEE10hipError_tT1_T2_PT3_SF_jT4_jjP12ihipStream_tbEUlT_E0_NS1_11comp_targetILNS1_3genE9ELNS1_11target_archE1100ELNS1_3gpuE3ELNS1_3repE0EEENS1_52radix_sort_onesweep_histogram_config_static_selectorELNS0_4arch9wavefront6targetE0EEEvSD_.uses_flat_scratch, 0
	.set _ZN7rocprim17ROCPRIM_400000_NS6detail17trampoline_kernelINS0_14default_configENS1_35radix_sort_onesweep_config_selectorIfNS0_10empty_typeEEEZNS1_34radix_sort_onesweep_global_offsetsIS3_Lb0EPKfPS5_mNS0_19identity_decomposerEEE10hipError_tT1_T2_PT3_SF_jT4_jjP12ihipStream_tbEUlT_E0_NS1_11comp_targetILNS1_3genE9ELNS1_11target_archE1100ELNS1_3gpuE3ELNS1_3repE0EEENS1_52radix_sort_onesweep_histogram_config_static_selectorELNS0_4arch9wavefront6targetE0EEEvSD_.has_dyn_sized_stack, 0
	.set _ZN7rocprim17ROCPRIM_400000_NS6detail17trampoline_kernelINS0_14default_configENS1_35radix_sort_onesweep_config_selectorIfNS0_10empty_typeEEEZNS1_34radix_sort_onesweep_global_offsetsIS3_Lb0EPKfPS5_mNS0_19identity_decomposerEEE10hipError_tT1_T2_PT3_SF_jT4_jjP12ihipStream_tbEUlT_E0_NS1_11comp_targetILNS1_3genE9ELNS1_11target_archE1100ELNS1_3gpuE3ELNS1_3repE0EEENS1_52radix_sort_onesweep_histogram_config_static_selectorELNS0_4arch9wavefront6targetE0EEEvSD_.has_recursion, 0
	.set _ZN7rocprim17ROCPRIM_400000_NS6detail17trampoline_kernelINS0_14default_configENS1_35radix_sort_onesweep_config_selectorIfNS0_10empty_typeEEEZNS1_34radix_sort_onesweep_global_offsetsIS3_Lb0EPKfPS5_mNS0_19identity_decomposerEEE10hipError_tT1_T2_PT3_SF_jT4_jjP12ihipStream_tbEUlT_E0_NS1_11comp_targetILNS1_3genE9ELNS1_11target_archE1100ELNS1_3gpuE3ELNS1_3repE0EEENS1_52radix_sort_onesweep_histogram_config_static_selectorELNS0_4arch9wavefront6targetE0EEEvSD_.has_indirect_call, 0
	.section	.AMDGPU.csdata,"",@progbits
; Kernel info:
; codeLenInByte = 0
; TotalNumSgprs: 0
; NumVgprs: 0
; ScratchSize: 0
; MemoryBound: 0
; FloatMode: 240
; IeeeMode: 1
; LDSByteSize: 0 bytes/workgroup (compile time only)
; SGPRBlocks: 0
; VGPRBlocks: 0
; NumSGPRsForWavesPerEU: 1
; NumVGPRsForWavesPerEU: 1
; NamedBarCnt: 0
; Occupancy: 16
; WaveLimiterHint : 0
; COMPUTE_PGM_RSRC2:SCRATCH_EN: 0
; COMPUTE_PGM_RSRC2:USER_SGPR: 2
; COMPUTE_PGM_RSRC2:TRAP_HANDLER: 0
; COMPUTE_PGM_RSRC2:TGID_X_EN: 1
; COMPUTE_PGM_RSRC2:TGID_Y_EN: 0
; COMPUTE_PGM_RSRC2:TGID_Z_EN: 0
; COMPUTE_PGM_RSRC2:TIDIG_COMP_CNT: 0
	.section	.text._ZN7rocprim17ROCPRIM_400000_NS6detail17trampoline_kernelINS0_14default_configENS1_35radix_sort_onesweep_config_selectorIfNS0_10empty_typeEEEZNS1_34radix_sort_onesweep_global_offsetsIS3_Lb0EPKfPS5_mNS0_19identity_decomposerEEE10hipError_tT1_T2_PT3_SF_jT4_jjP12ihipStream_tbEUlT_E0_NS1_11comp_targetILNS1_3genE8ELNS1_11target_archE1030ELNS1_3gpuE2ELNS1_3repE0EEENS1_52radix_sort_onesweep_histogram_config_static_selectorELNS0_4arch9wavefront6targetE0EEEvSD_,"axG",@progbits,_ZN7rocprim17ROCPRIM_400000_NS6detail17trampoline_kernelINS0_14default_configENS1_35radix_sort_onesweep_config_selectorIfNS0_10empty_typeEEEZNS1_34radix_sort_onesweep_global_offsetsIS3_Lb0EPKfPS5_mNS0_19identity_decomposerEEE10hipError_tT1_T2_PT3_SF_jT4_jjP12ihipStream_tbEUlT_E0_NS1_11comp_targetILNS1_3genE8ELNS1_11target_archE1030ELNS1_3gpuE2ELNS1_3repE0EEENS1_52radix_sort_onesweep_histogram_config_static_selectorELNS0_4arch9wavefront6targetE0EEEvSD_,comdat
	.protected	_ZN7rocprim17ROCPRIM_400000_NS6detail17trampoline_kernelINS0_14default_configENS1_35radix_sort_onesweep_config_selectorIfNS0_10empty_typeEEEZNS1_34radix_sort_onesweep_global_offsetsIS3_Lb0EPKfPS5_mNS0_19identity_decomposerEEE10hipError_tT1_T2_PT3_SF_jT4_jjP12ihipStream_tbEUlT_E0_NS1_11comp_targetILNS1_3genE8ELNS1_11target_archE1030ELNS1_3gpuE2ELNS1_3repE0EEENS1_52radix_sort_onesweep_histogram_config_static_selectorELNS0_4arch9wavefront6targetE0EEEvSD_ ; -- Begin function _ZN7rocprim17ROCPRIM_400000_NS6detail17trampoline_kernelINS0_14default_configENS1_35radix_sort_onesweep_config_selectorIfNS0_10empty_typeEEEZNS1_34radix_sort_onesweep_global_offsetsIS3_Lb0EPKfPS5_mNS0_19identity_decomposerEEE10hipError_tT1_T2_PT3_SF_jT4_jjP12ihipStream_tbEUlT_E0_NS1_11comp_targetILNS1_3genE8ELNS1_11target_archE1030ELNS1_3gpuE2ELNS1_3repE0EEENS1_52radix_sort_onesweep_histogram_config_static_selectorELNS0_4arch9wavefront6targetE0EEEvSD_
	.globl	_ZN7rocprim17ROCPRIM_400000_NS6detail17trampoline_kernelINS0_14default_configENS1_35radix_sort_onesweep_config_selectorIfNS0_10empty_typeEEEZNS1_34radix_sort_onesweep_global_offsetsIS3_Lb0EPKfPS5_mNS0_19identity_decomposerEEE10hipError_tT1_T2_PT3_SF_jT4_jjP12ihipStream_tbEUlT_E0_NS1_11comp_targetILNS1_3genE8ELNS1_11target_archE1030ELNS1_3gpuE2ELNS1_3repE0EEENS1_52radix_sort_onesweep_histogram_config_static_selectorELNS0_4arch9wavefront6targetE0EEEvSD_
	.p2align	8
	.type	_ZN7rocprim17ROCPRIM_400000_NS6detail17trampoline_kernelINS0_14default_configENS1_35radix_sort_onesweep_config_selectorIfNS0_10empty_typeEEEZNS1_34radix_sort_onesweep_global_offsetsIS3_Lb0EPKfPS5_mNS0_19identity_decomposerEEE10hipError_tT1_T2_PT3_SF_jT4_jjP12ihipStream_tbEUlT_E0_NS1_11comp_targetILNS1_3genE8ELNS1_11target_archE1030ELNS1_3gpuE2ELNS1_3repE0EEENS1_52radix_sort_onesweep_histogram_config_static_selectorELNS0_4arch9wavefront6targetE0EEEvSD_,@function
_ZN7rocprim17ROCPRIM_400000_NS6detail17trampoline_kernelINS0_14default_configENS1_35radix_sort_onesweep_config_selectorIfNS0_10empty_typeEEEZNS1_34radix_sort_onesweep_global_offsetsIS3_Lb0EPKfPS5_mNS0_19identity_decomposerEEE10hipError_tT1_T2_PT3_SF_jT4_jjP12ihipStream_tbEUlT_E0_NS1_11comp_targetILNS1_3genE8ELNS1_11target_archE1030ELNS1_3gpuE2ELNS1_3repE0EEENS1_52radix_sort_onesweep_histogram_config_static_selectorELNS0_4arch9wavefront6targetE0EEEvSD_: ; @_ZN7rocprim17ROCPRIM_400000_NS6detail17trampoline_kernelINS0_14default_configENS1_35radix_sort_onesweep_config_selectorIfNS0_10empty_typeEEEZNS1_34radix_sort_onesweep_global_offsetsIS3_Lb0EPKfPS5_mNS0_19identity_decomposerEEE10hipError_tT1_T2_PT3_SF_jT4_jjP12ihipStream_tbEUlT_E0_NS1_11comp_targetILNS1_3genE8ELNS1_11target_archE1030ELNS1_3gpuE2ELNS1_3repE0EEENS1_52radix_sort_onesweep_histogram_config_static_selectorELNS0_4arch9wavefront6targetE0EEEvSD_
; %bb.0:
	.section	.rodata,"a",@progbits
	.p2align	6, 0x0
	.amdhsa_kernel _ZN7rocprim17ROCPRIM_400000_NS6detail17trampoline_kernelINS0_14default_configENS1_35radix_sort_onesweep_config_selectorIfNS0_10empty_typeEEEZNS1_34radix_sort_onesweep_global_offsetsIS3_Lb0EPKfPS5_mNS0_19identity_decomposerEEE10hipError_tT1_T2_PT3_SF_jT4_jjP12ihipStream_tbEUlT_E0_NS1_11comp_targetILNS1_3genE8ELNS1_11target_archE1030ELNS1_3gpuE2ELNS1_3repE0EEENS1_52radix_sort_onesweep_histogram_config_static_selectorELNS0_4arch9wavefront6targetE0EEEvSD_
		.amdhsa_group_segment_fixed_size 0
		.amdhsa_private_segment_fixed_size 0
		.amdhsa_kernarg_size 8
		.amdhsa_user_sgpr_count 2
		.amdhsa_user_sgpr_dispatch_ptr 0
		.amdhsa_user_sgpr_queue_ptr 0
		.amdhsa_user_sgpr_kernarg_segment_ptr 1
		.amdhsa_user_sgpr_dispatch_id 0
		.amdhsa_user_sgpr_kernarg_preload_length 0
		.amdhsa_user_sgpr_kernarg_preload_offset 0
		.amdhsa_user_sgpr_private_segment_size 0
		.amdhsa_wavefront_size32 1
		.amdhsa_uses_dynamic_stack 0
		.amdhsa_enable_private_segment 0
		.amdhsa_system_sgpr_workgroup_id_x 1
		.amdhsa_system_sgpr_workgroup_id_y 0
		.amdhsa_system_sgpr_workgroup_id_z 0
		.amdhsa_system_sgpr_workgroup_info 0
		.amdhsa_system_vgpr_workitem_id 0
		.amdhsa_next_free_vgpr 1
		.amdhsa_next_free_sgpr 1
		.amdhsa_named_barrier_count 0
		.amdhsa_reserve_vcc 0
		.amdhsa_float_round_mode_32 0
		.amdhsa_float_round_mode_16_64 0
		.amdhsa_float_denorm_mode_32 3
		.amdhsa_float_denorm_mode_16_64 3
		.amdhsa_fp16_overflow 0
		.amdhsa_memory_ordered 1
		.amdhsa_forward_progress 1
		.amdhsa_inst_pref_size 0
		.amdhsa_round_robin_scheduling 0
		.amdhsa_exception_fp_ieee_invalid_op 0
		.amdhsa_exception_fp_denorm_src 0
		.amdhsa_exception_fp_ieee_div_zero 0
		.amdhsa_exception_fp_ieee_overflow 0
		.amdhsa_exception_fp_ieee_underflow 0
		.amdhsa_exception_fp_ieee_inexact 0
		.amdhsa_exception_int_div_zero 0
	.end_amdhsa_kernel
	.section	.text._ZN7rocprim17ROCPRIM_400000_NS6detail17trampoline_kernelINS0_14default_configENS1_35radix_sort_onesweep_config_selectorIfNS0_10empty_typeEEEZNS1_34radix_sort_onesweep_global_offsetsIS3_Lb0EPKfPS5_mNS0_19identity_decomposerEEE10hipError_tT1_T2_PT3_SF_jT4_jjP12ihipStream_tbEUlT_E0_NS1_11comp_targetILNS1_3genE8ELNS1_11target_archE1030ELNS1_3gpuE2ELNS1_3repE0EEENS1_52radix_sort_onesweep_histogram_config_static_selectorELNS0_4arch9wavefront6targetE0EEEvSD_,"axG",@progbits,_ZN7rocprim17ROCPRIM_400000_NS6detail17trampoline_kernelINS0_14default_configENS1_35radix_sort_onesweep_config_selectorIfNS0_10empty_typeEEEZNS1_34radix_sort_onesweep_global_offsetsIS3_Lb0EPKfPS5_mNS0_19identity_decomposerEEE10hipError_tT1_T2_PT3_SF_jT4_jjP12ihipStream_tbEUlT_E0_NS1_11comp_targetILNS1_3genE8ELNS1_11target_archE1030ELNS1_3gpuE2ELNS1_3repE0EEENS1_52radix_sort_onesweep_histogram_config_static_selectorELNS0_4arch9wavefront6targetE0EEEvSD_,comdat
.Lfunc_end1405:
	.size	_ZN7rocprim17ROCPRIM_400000_NS6detail17trampoline_kernelINS0_14default_configENS1_35radix_sort_onesweep_config_selectorIfNS0_10empty_typeEEEZNS1_34radix_sort_onesweep_global_offsetsIS3_Lb0EPKfPS5_mNS0_19identity_decomposerEEE10hipError_tT1_T2_PT3_SF_jT4_jjP12ihipStream_tbEUlT_E0_NS1_11comp_targetILNS1_3genE8ELNS1_11target_archE1030ELNS1_3gpuE2ELNS1_3repE0EEENS1_52radix_sort_onesweep_histogram_config_static_selectorELNS0_4arch9wavefront6targetE0EEEvSD_, .Lfunc_end1405-_ZN7rocprim17ROCPRIM_400000_NS6detail17trampoline_kernelINS0_14default_configENS1_35radix_sort_onesweep_config_selectorIfNS0_10empty_typeEEEZNS1_34radix_sort_onesweep_global_offsetsIS3_Lb0EPKfPS5_mNS0_19identity_decomposerEEE10hipError_tT1_T2_PT3_SF_jT4_jjP12ihipStream_tbEUlT_E0_NS1_11comp_targetILNS1_3genE8ELNS1_11target_archE1030ELNS1_3gpuE2ELNS1_3repE0EEENS1_52radix_sort_onesweep_histogram_config_static_selectorELNS0_4arch9wavefront6targetE0EEEvSD_
                                        ; -- End function
	.set _ZN7rocprim17ROCPRIM_400000_NS6detail17trampoline_kernelINS0_14default_configENS1_35radix_sort_onesweep_config_selectorIfNS0_10empty_typeEEEZNS1_34radix_sort_onesweep_global_offsetsIS3_Lb0EPKfPS5_mNS0_19identity_decomposerEEE10hipError_tT1_T2_PT3_SF_jT4_jjP12ihipStream_tbEUlT_E0_NS1_11comp_targetILNS1_3genE8ELNS1_11target_archE1030ELNS1_3gpuE2ELNS1_3repE0EEENS1_52radix_sort_onesweep_histogram_config_static_selectorELNS0_4arch9wavefront6targetE0EEEvSD_.num_vgpr, 0
	.set _ZN7rocprim17ROCPRIM_400000_NS6detail17trampoline_kernelINS0_14default_configENS1_35radix_sort_onesweep_config_selectorIfNS0_10empty_typeEEEZNS1_34radix_sort_onesweep_global_offsetsIS3_Lb0EPKfPS5_mNS0_19identity_decomposerEEE10hipError_tT1_T2_PT3_SF_jT4_jjP12ihipStream_tbEUlT_E0_NS1_11comp_targetILNS1_3genE8ELNS1_11target_archE1030ELNS1_3gpuE2ELNS1_3repE0EEENS1_52radix_sort_onesweep_histogram_config_static_selectorELNS0_4arch9wavefront6targetE0EEEvSD_.num_agpr, 0
	.set _ZN7rocprim17ROCPRIM_400000_NS6detail17trampoline_kernelINS0_14default_configENS1_35radix_sort_onesweep_config_selectorIfNS0_10empty_typeEEEZNS1_34radix_sort_onesweep_global_offsetsIS3_Lb0EPKfPS5_mNS0_19identity_decomposerEEE10hipError_tT1_T2_PT3_SF_jT4_jjP12ihipStream_tbEUlT_E0_NS1_11comp_targetILNS1_3genE8ELNS1_11target_archE1030ELNS1_3gpuE2ELNS1_3repE0EEENS1_52radix_sort_onesweep_histogram_config_static_selectorELNS0_4arch9wavefront6targetE0EEEvSD_.numbered_sgpr, 0
	.set _ZN7rocprim17ROCPRIM_400000_NS6detail17trampoline_kernelINS0_14default_configENS1_35radix_sort_onesweep_config_selectorIfNS0_10empty_typeEEEZNS1_34radix_sort_onesweep_global_offsetsIS3_Lb0EPKfPS5_mNS0_19identity_decomposerEEE10hipError_tT1_T2_PT3_SF_jT4_jjP12ihipStream_tbEUlT_E0_NS1_11comp_targetILNS1_3genE8ELNS1_11target_archE1030ELNS1_3gpuE2ELNS1_3repE0EEENS1_52radix_sort_onesweep_histogram_config_static_selectorELNS0_4arch9wavefront6targetE0EEEvSD_.num_named_barrier, 0
	.set _ZN7rocprim17ROCPRIM_400000_NS6detail17trampoline_kernelINS0_14default_configENS1_35radix_sort_onesweep_config_selectorIfNS0_10empty_typeEEEZNS1_34radix_sort_onesweep_global_offsetsIS3_Lb0EPKfPS5_mNS0_19identity_decomposerEEE10hipError_tT1_T2_PT3_SF_jT4_jjP12ihipStream_tbEUlT_E0_NS1_11comp_targetILNS1_3genE8ELNS1_11target_archE1030ELNS1_3gpuE2ELNS1_3repE0EEENS1_52radix_sort_onesweep_histogram_config_static_selectorELNS0_4arch9wavefront6targetE0EEEvSD_.private_seg_size, 0
	.set _ZN7rocprim17ROCPRIM_400000_NS6detail17trampoline_kernelINS0_14default_configENS1_35radix_sort_onesweep_config_selectorIfNS0_10empty_typeEEEZNS1_34radix_sort_onesweep_global_offsetsIS3_Lb0EPKfPS5_mNS0_19identity_decomposerEEE10hipError_tT1_T2_PT3_SF_jT4_jjP12ihipStream_tbEUlT_E0_NS1_11comp_targetILNS1_3genE8ELNS1_11target_archE1030ELNS1_3gpuE2ELNS1_3repE0EEENS1_52radix_sort_onesweep_histogram_config_static_selectorELNS0_4arch9wavefront6targetE0EEEvSD_.uses_vcc, 0
	.set _ZN7rocprim17ROCPRIM_400000_NS6detail17trampoline_kernelINS0_14default_configENS1_35radix_sort_onesweep_config_selectorIfNS0_10empty_typeEEEZNS1_34radix_sort_onesweep_global_offsetsIS3_Lb0EPKfPS5_mNS0_19identity_decomposerEEE10hipError_tT1_T2_PT3_SF_jT4_jjP12ihipStream_tbEUlT_E0_NS1_11comp_targetILNS1_3genE8ELNS1_11target_archE1030ELNS1_3gpuE2ELNS1_3repE0EEENS1_52radix_sort_onesweep_histogram_config_static_selectorELNS0_4arch9wavefront6targetE0EEEvSD_.uses_flat_scratch, 0
	.set _ZN7rocprim17ROCPRIM_400000_NS6detail17trampoline_kernelINS0_14default_configENS1_35radix_sort_onesweep_config_selectorIfNS0_10empty_typeEEEZNS1_34radix_sort_onesweep_global_offsetsIS3_Lb0EPKfPS5_mNS0_19identity_decomposerEEE10hipError_tT1_T2_PT3_SF_jT4_jjP12ihipStream_tbEUlT_E0_NS1_11comp_targetILNS1_3genE8ELNS1_11target_archE1030ELNS1_3gpuE2ELNS1_3repE0EEENS1_52radix_sort_onesweep_histogram_config_static_selectorELNS0_4arch9wavefront6targetE0EEEvSD_.has_dyn_sized_stack, 0
	.set _ZN7rocprim17ROCPRIM_400000_NS6detail17trampoline_kernelINS0_14default_configENS1_35radix_sort_onesweep_config_selectorIfNS0_10empty_typeEEEZNS1_34radix_sort_onesweep_global_offsetsIS3_Lb0EPKfPS5_mNS0_19identity_decomposerEEE10hipError_tT1_T2_PT3_SF_jT4_jjP12ihipStream_tbEUlT_E0_NS1_11comp_targetILNS1_3genE8ELNS1_11target_archE1030ELNS1_3gpuE2ELNS1_3repE0EEENS1_52radix_sort_onesweep_histogram_config_static_selectorELNS0_4arch9wavefront6targetE0EEEvSD_.has_recursion, 0
	.set _ZN7rocprim17ROCPRIM_400000_NS6detail17trampoline_kernelINS0_14default_configENS1_35radix_sort_onesweep_config_selectorIfNS0_10empty_typeEEEZNS1_34radix_sort_onesweep_global_offsetsIS3_Lb0EPKfPS5_mNS0_19identity_decomposerEEE10hipError_tT1_T2_PT3_SF_jT4_jjP12ihipStream_tbEUlT_E0_NS1_11comp_targetILNS1_3genE8ELNS1_11target_archE1030ELNS1_3gpuE2ELNS1_3repE0EEENS1_52radix_sort_onesweep_histogram_config_static_selectorELNS0_4arch9wavefront6targetE0EEEvSD_.has_indirect_call, 0
	.section	.AMDGPU.csdata,"",@progbits
; Kernel info:
; codeLenInByte = 0
; TotalNumSgprs: 0
; NumVgprs: 0
; ScratchSize: 0
; MemoryBound: 0
; FloatMode: 240
; IeeeMode: 1
; LDSByteSize: 0 bytes/workgroup (compile time only)
; SGPRBlocks: 0
; VGPRBlocks: 0
; NumSGPRsForWavesPerEU: 1
; NumVGPRsForWavesPerEU: 1
; NamedBarCnt: 0
; Occupancy: 16
; WaveLimiterHint : 0
; COMPUTE_PGM_RSRC2:SCRATCH_EN: 0
; COMPUTE_PGM_RSRC2:USER_SGPR: 2
; COMPUTE_PGM_RSRC2:TRAP_HANDLER: 0
; COMPUTE_PGM_RSRC2:TGID_X_EN: 1
; COMPUTE_PGM_RSRC2:TGID_Y_EN: 0
; COMPUTE_PGM_RSRC2:TGID_Z_EN: 0
; COMPUTE_PGM_RSRC2:TIDIG_COMP_CNT: 0
	.section	.text._ZN7rocprim17ROCPRIM_400000_NS6detail17trampoline_kernelINS0_14default_configENS1_35radix_sort_onesweep_config_selectorIfNS0_10empty_typeEEEZZNS1_29radix_sort_onesweep_iterationIS3_Lb0EPKfPfPS5_SB_mNS0_19identity_decomposerENS1_16block_id_wrapperIjLb1EEEEE10hipError_tT1_PNSt15iterator_traitsISG_E10value_typeET2_T3_PNSH_ISM_E10value_typeET4_T5_PSR_SS_PNS1_23onesweep_lookback_stateEbbT6_jjT7_P12ihipStream_tbENKUlT_T0_SG_SL_E_clIS9_SA_SB_SB_EEDaSZ_S10_SG_SL_EUlSZ_E_NS1_11comp_targetILNS1_3genE0ELNS1_11target_archE4294967295ELNS1_3gpuE0ELNS1_3repE0EEENS1_47radix_sort_onesweep_sort_config_static_selectorELNS0_4arch9wavefront6targetE0EEEvSG_,"axG",@progbits,_ZN7rocprim17ROCPRIM_400000_NS6detail17trampoline_kernelINS0_14default_configENS1_35radix_sort_onesweep_config_selectorIfNS0_10empty_typeEEEZZNS1_29radix_sort_onesweep_iterationIS3_Lb0EPKfPfPS5_SB_mNS0_19identity_decomposerENS1_16block_id_wrapperIjLb1EEEEE10hipError_tT1_PNSt15iterator_traitsISG_E10value_typeET2_T3_PNSH_ISM_E10value_typeET4_T5_PSR_SS_PNS1_23onesweep_lookback_stateEbbT6_jjT7_P12ihipStream_tbENKUlT_T0_SG_SL_E_clIS9_SA_SB_SB_EEDaSZ_S10_SG_SL_EUlSZ_E_NS1_11comp_targetILNS1_3genE0ELNS1_11target_archE4294967295ELNS1_3gpuE0ELNS1_3repE0EEENS1_47radix_sort_onesweep_sort_config_static_selectorELNS0_4arch9wavefront6targetE0EEEvSG_,comdat
	.protected	_ZN7rocprim17ROCPRIM_400000_NS6detail17trampoline_kernelINS0_14default_configENS1_35radix_sort_onesweep_config_selectorIfNS0_10empty_typeEEEZZNS1_29radix_sort_onesweep_iterationIS3_Lb0EPKfPfPS5_SB_mNS0_19identity_decomposerENS1_16block_id_wrapperIjLb1EEEEE10hipError_tT1_PNSt15iterator_traitsISG_E10value_typeET2_T3_PNSH_ISM_E10value_typeET4_T5_PSR_SS_PNS1_23onesweep_lookback_stateEbbT6_jjT7_P12ihipStream_tbENKUlT_T0_SG_SL_E_clIS9_SA_SB_SB_EEDaSZ_S10_SG_SL_EUlSZ_E_NS1_11comp_targetILNS1_3genE0ELNS1_11target_archE4294967295ELNS1_3gpuE0ELNS1_3repE0EEENS1_47radix_sort_onesweep_sort_config_static_selectorELNS0_4arch9wavefront6targetE0EEEvSG_ ; -- Begin function _ZN7rocprim17ROCPRIM_400000_NS6detail17trampoline_kernelINS0_14default_configENS1_35radix_sort_onesweep_config_selectorIfNS0_10empty_typeEEEZZNS1_29radix_sort_onesweep_iterationIS3_Lb0EPKfPfPS5_SB_mNS0_19identity_decomposerENS1_16block_id_wrapperIjLb1EEEEE10hipError_tT1_PNSt15iterator_traitsISG_E10value_typeET2_T3_PNSH_ISM_E10value_typeET4_T5_PSR_SS_PNS1_23onesweep_lookback_stateEbbT6_jjT7_P12ihipStream_tbENKUlT_T0_SG_SL_E_clIS9_SA_SB_SB_EEDaSZ_S10_SG_SL_EUlSZ_E_NS1_11comp_targetILNS1_3genE0ELNS1_11target_archE4294967295ELNS1_3gpuE0ELNS1_3repE0EEENS1_47radix_sort_onesweep_sort_config_static_selectorELNS0_4arch9wavefront6targetE0EEEvSG_
	.globl	_ZN7rocprim17ROCPRIM_400000_NS6detail17trampoline_kernelINS0_14default_configENS1_35radix_sort_onesweep_config_selectorIfNS0_10empty_typeEEEZZNS1_29radix_sort_onesweep_iterationIS3_Lb0EPKfPfPS5_SB_mNS0_19identity_decomposerENS1_16block_id_wrapperIjLb1EEEEE10hipError_tT1_PNSt15iterator_traitsISG_E10value_typeET2_T3_PNSH_ISM_E10value_typeET4_T5_PSR_SS_PNS1_23onesweep_lookback_stateEbbT6_jjT7_P12ihipStream_tbENKUlT_T0_SG_SL_E_clIS9_SA_SB_SB_EEDaSZ_S10_SG_SL_EUlSZ_E_NS1_11comp_targetILNS1_3genE0ELNS1_11target_archE4294967295ELNS1_3gpuE0ELNS1_3repE0EEENS1_47radix_sort_onesweep_sort_config_static_selectorELNS0_4arch9wavefront6targetE0EEEvSG_
	.p2align	8
	.type	_ZN7rocprim17ROCPRIM_400000_NS6detail17trampoline_kernelINS0_14default_configENS1_35radix_sort_onesweep_config_selectorIfNS0_10empty_typeEEEZZNS1_29radix_sort_onesweep_iterationIS3_Lb0EPKfPfPS5_SB_mNS0_19identity_decomposerENS1_16block_id_wrapperIjLb1EEEEE10hipError_tT1_PNSt15iterator_traitsISG_E10value_typeET2_T3_PNSH_ISM_E10value_typeET4_T5_PSR_SS_PNS1_23onesweep_lookback_stateEbbT6_jjT7_P12ihipStream_tbENKUlT_T0_SG_SL_E_clIS9_SA_SB_SB_EEDaSZ_S10_SG_SL_EUlSZ_E_NS1_11comp_targetILNS1_3genE0ELNS1_11target_archE4294967295ELNS1_3gpuE0ELNS1_3repE0EEENS1_47radix_sort_onesweep_sort_config_static_selectorELNS0_4arch9wavefront6targetE0EEEvSG_,@function
_ZN7rocprim17ROCPRIM_400000_NS6detail17trampoline_kernelINS0_14default_configENS1_35radix_sort_onesweep_config_selectorIfNS0_10empty_typeEEEZZNS1_29radix_sort_onesweep_iterationIS3_Lb0EPKfPfPS5_SB_mNS0_19identity_decomposerENS1_16block_id_wrapperIjLb1EEEEE10hipError_tT1_PNSt15iterator_traitsISG_E10value_typeET2_T3_PNSH_ISM_E10value_typeET4_T5_PSR_SS_PNS1_23onesweep_lookback_stateEbbT6_jjT7_P12ihipStream_tbENKUlT_T0_SG_SL_E_clIS9_SA_SB_SB_EEDaSZ_S10_SG_SL_EUlSZ_E_NS1_11comp_targetILNS1_3genE0ELNS1_11target_archE4294967295ELNS1_3gpuE0ELNS1_3repE0EEENS1_47radix_sort_onesweep_sort_config_static_selectorELNS0_4arch9wavefront6targetE0EEEvSG_: ; @_ZN7rocprim17ROCPRIM_400000_NS6detail17trampoline_kernelINS0_14default_configENS1_35radix_sort_onesweep_config_selectorIfNS0_10empty_typeEEEZZNS1_29radix_sort_onesweep_iterationIS3_Lb0EPKfPfPS5_SB_mNS0_19identity_decomposerENS1_16block_id_wrapperIjLb1EEEEE10hipError_tT1_PNSt15iterator_traitsISG_E10value_typeET2_T3_PNSH_ISM_E10value_typeET4_T5_PSR_SS_PNS1_23onesweep_lookback_stateEbbT6_jjT7_P12ihipStream_tbENKUlT_T0_SG_SL_E_clIS9_SA_SB_SB_EEDaSZ_S10_SG_SL_EUlSZ_E_NS1_11comp_targetILNS1_3genE0ELNS1_11target_archE4294967295ELNS1_3gpuE0ELNS1_3repE0EEENS1_47radix_sort_onesweep_sort_config_static_selectorELNS0_4arch9wavefront6targetE0EEEvSG_
; %bb.0:
	s_clause 0x1
	s_load_b128 s[12:15], s[0:1], 0x28
	s_load_b64 s[10:11], s[0:1], 0x38
	v_and_b32_e32 v14, 0x3ff, v0
	s_delay_alu instid0(VALU_DEP_1)
	v_cmp_eq_u32_e64 s2, 0, v14
	s_and_saveexec_b32 s3, s2
	s_cbranch_execz .LBB1406_4
; %bb.1:
	s_mov_b32 s5, exec_lo
	s_mov_b32 s4, exec_lo
	v_mbcnt_lo_u32_b32 v1, s5, 0
                                        ; implicit-def: $vgpr2
	s_delay_alu instid0(VALU_DEP_1)
	v_cmpx_eq_u32_e32 0, v1
	s_cbranch_execz .LBB1406_3
; %bb.2:
	s_load_b64 s[6:7], s[0:1], 0x50
	s_bcnt1_i32_b32 s5, s5
	s_delay_alu instid0(SALU_CYCLE_1)
	v_dual_mov_b32 v2, 0 :: v_dual_mov_b32 v3, s5
	s_wait_xcnt 0x0
	s_wait_kmcnt 0x0
	global_atomic_add_u32 v2, v2, v3, s[6:7] th:TH_ATOMIC_RETURN scope:SCOPE_DEV
.LBB1406_3:
	s_wait_xcnt 0x0
	s_or_b32 exec_lo, exec_lo, s4
	s_wait_loadcnt 0x0
	v_readfirstlane_b32 s4, v2
	s_delay_alu instid0(VALU_DEP_1)
	v_dual_mov_b32 v2, 0 :: v_dual_add_nc_u32 v1, s4, v1
	ds_store_b32 v2, v1 offset:18496
.LBB1406_4:
	s_or_b32 exec_lo, exec_lo, s3
	v_mov_b32_e32 v3, 0
	s_clause 0x2
	s_load_b128 s[16:19], s[0:1], 0x0
	s_load_b32 s3, s[0:1], 0x20
	s_load_b96 s[20:22], s[0:1], 0x44
	s_wait_dscnt 0x0
	s_barrier_signal -1
	s_barrier_wait -1
	ds_load_b32 v1, v3 offset:18496
	v_mbcnt_lo_u32_b32 v15, -1, 0
	v_and_b32_e32 v16, 0x3e0, v14
	s_mov_b32 s4, -1
	s_add_nc_u64 s[26:27], s[0:1], 0x58
	s_getreg_b32 s28, hwreg(HW_REG_IB_STS2, 6, 4)
	s_wait_dscnt 0x0
	s_barrier_signal -1
	s_barrier_wait -1
	s_wait_kmcnt 0x0
	v_cmp_le_u32_e32 vcc_lo, s22, v1
	v_readfirstlane_b32 s23, v1
	s_mul_i32 s24, s23, 0x1800
	s_cbranch_vccz .LBB1406_94
; %bb.5:
	s_mov_b32 s25, 0
	v_mul_u32_u24_e32 v1, 12, v16
	v_lshlrev_b32_e32 v2, 2, v15
	s_lshl_b64 s[4:5], s[24:25], 2
	v_bfrev_b32_e32 v12, -2
	s_add_nc_u64 s[4:5], s[16:17], s[4:5]
	v_or_b32_e32 v10, v15, v1
	v_add_nc_u64_e32 v[4:5], s[4:5], v[2:3]
	v_lshlrev_b32_e32 v2, 2, v1
	v_bfrev_b32_e32 v1, -2
	s_mulk_i32 s22, 0xe800
	s_delay_alu instid0(SALU_CYCLE_1) | instskip(SKIP_1) | instid1(VALU_DEP_3)
	s_add_co_i32 s22, s22, s3
	s_mov_b32 s3, exec_lo
	v_add_nc_u64_e32 v[2:3], v[4:5], v[2:3]
	v_cmpx_gt_u32_e64 s22, v10
	s_cbranch_execz .LBB1406_7
; %bb.6:
	global_load_b32 v1, v[2:3], off
.LBB1406_7:
	s_wait_xcnt 0x0
	s_or_b32 exec_lo, exec_lo, s3
	v_or_b32_e32 v4, 32, v10
	s_mov_b32 s3, exec_lo
	s_delay_alu instid0(VALU_DEP_1)
	v_cmpx_gt_u32_e64 s22, v4
	s_cbranch_execz .LBB1406_9
; %bb.8:
	global_load_b32 v12, v[2:3], off offset:128
.LBB1406_9:
	s_wait_xcnt 0x0
	s_or_b32 exec_lo, exec_lo, s3
	v_or_b32_e32 v4, 64, v10
	v_bfrev_b32_e32 v19, -2
	v_bfrev_b32_e32 v13, -2
	s_mov_b32 s3, exec_lo
	s_delay_alu instid0(VALU_DEP_3)
	v_cmpx_gt_u32_e64 s22, v4
	s_cbranch_execz .LBB1406_11
; %bb.10:
	global_load_b32 v13, v[2:3], off offset:256
.LBB1406_11:
	s_wait_xcnt 0x0
	s_or_b32 exec_lo, exec_lo, s3
	v_or_b32_e32 v4, 0x60, v10
	s_mov_b32 s3, exec_lo
	s_delay_alu instid0(VALU_DEP_1)
	v_cmpx_gt_u32_e64 s22, v4
	s_cbranch_execz .LBB1406_13
; %bb.12:
	global_load_b32 v19, v[2:3], off offset:384
.LBB1406_13:
	s_wait_xcnt 0x0
	s_or_b32 exec_lo, exec_lo, s3
	v_add_nc_u32_e32 v4, 0x80, v10
	v_bfrev_b32_e32 v24, -2
	v_bfrev_b32_e32 v21, -2
	s_mov_b32 s3, exec_lo
	s_delay_alu instid0(VALU_DEP_3)
	v_cmpx_gt_u32_e64 s22, v4
	s_cbranch_execz .LBB1406_15
; %bb.14:
	global_load_b32 v21, v[2:3], off offset:512
.LBB1406_15:
	s_wait_xcnt 0x0
	s_or_b32 exec_lo, exec_lo, s3
	v_add_nc_u32_e32 v4, 0xa0, v10
	s_mov_b32 s3, exec_lo
	s_delay_alu instid0(VALU_DEP_1)
	v_cmpx_gt_u32_e64 s22, v4
	s_cbranch_execz .LBB1406_17
; %bb.16:
	global_load_b32 v24, v[2:3], off offset:640
.LBB1406_17:
	s_wait_xcnt 0x0
	s_or_b32 exec_lo, exec_lo, s3
	v_add_nc_u32_e32 v4, 0xc0, v10
	v_bfrev_b32_e32 v8, -2
	v_bfrev_b32_e32 v9, -2
	s_mov_b32 s3, exec_lo
	s_delay_alu instid0(VALU_DEP_3)
	v_cmpx_gt_u32_e64 s22, v4
	s_cbranch_execz .LBB1406_19
; %bb.18:
	global_load_b32 v9, v[2:3], off offset:768
.LBB1406_19:
	s_wait_xcnt 0x0
	s_or_b32 exec_lo, exec_lo, s3
	v_add_nc_u32_e32 v4, 0xe0, v10
	;; [unrolled: 22-line block ×3, first 2 shown]
	s_mov_b32 s3, exec_lo
	s_delay_alu instid0(VALU_DEP_1)
	v_cmpx_gt_u32_e64 s22, v4
	s_cbranch_execz .LBB1406_25
; %bb.24:
	global_load_b32 v6, v[2:3], off offset:1152
.LBB1406_25:
	s_wait_xcnt 0x0
	s_or_b32 exec_lo, exec_lo, s3
	v_add_nc_u32_e32 v5, 0x140, v10
	v_bfrev_b32_e32 v4, -2
	s_delay_alu instid0(VALU_DEP_2)
	v_cmp_gt_u32_e32 vcc_lo, s22, v5
	v_bfrev_b32_e32 v5, -2
	s_and_saveexec_b32 s3, vcc_lo
	s_cbranch_execz .LBB1406_27
; %bb.26:
	global_load_b32 v5, v[2:3], off offset:1280
.LBB1406_27:
	s_wait_xcnt 0x0
	s_or_b32 exec_lo, exec_lo, s3
	v_add_nc_u32_e32 v10, 0x160, v10
	s_mov_b32 s3, exec_lo
	s_delay_alu instid0(VALU_DEP_1)
	v_cmpx_gt_u32_e64 s22, v10
	s_cbranch_execz .LBB1406_29
; %bb.28:
	global_load_b32 v4, v[2:3], off offset:1408
.LBB1406_29:
	s_wait_xcnt 0x0
	s_or_b32 exec_lo, exec_lo, s3
	s_wait_loadcnt 0x0
	v_cmp_lt_i32_e32 vcc_lo, -1, v1
	s_clause 0x1
	s_load_b32 s25, s[0:1], 0x58
	s_load_u16 s3, s[0:1], 0x66
	s_bfe_u32 s4, ttmp6, 0x4000c
	s_and_b32 s5, ttmp6, 15
	v_cndmask_b32_e64 v2, -1, 0x80000000, vcc_lo
	s_add_co_i32 s4, s4, 1
	v_bfe_u32 v10, v0, 20, 10
	s_mul_i32 s4, ttmp9, s4
	s_delay_alu instid0(SALU_CYCLE_1)
	s_add_co_i32 s5, s5, s4
	v_xor_b32_e32 v1, v2, v1
	s_cmp_eq_u32 s28, 0
	v_bfe_u32 v2, v0, 10, 10
	s_cselect_b32 s4, ttmp9, s5
	s_mov_b32 s5, 0
	v_cmp_ne_u32_e32 vcc_lo, 0x7fffffff, v1
	v_cndmask_b32_e32 v3, 0x80000000, v1, vcc_lo
	s_wait_kmcnt 0x0
	s_cmp_lt_u32 s4, s25
	v_mad_u32_u24 v2, v10, s3, v2
	s_cselect_b32 s4, 12, 18
	s_lshl_b32 s6, -1, s21
	v_lshrrev_b32_e32 v3, s20, v3
	s_add_nc_u64 s[4:5], s[26:27], s[4:5]
	s_not_b32 s29, s6
	s_load_u16 s7, s[4:5], 0x0
	s_delay_alu instid0(VALU_DEP_1) | instskip(SKIP_1) | instid1(VALU_DEP_2)
	v_bitop3_b32 v11, v3, s6, v3 bitop3:0x30
	v_bitop3_b32 v10, v3, 1, s6 bitop3:0x40
	v_dual_lshlrev_b32 v17, 30, v11 :: v_dual_lshlrev_b32 v20, 28, v11
	s_delay_alu instid0(VALU_DEP_2) | instskip(NEXT) | instid1(VALU_DEP_1)
	v_add_co_u32 v3, s3, v10, -1
	v_cndmask_b32_e64 v10, 0, 1, s3
	v_lshlrev_b32_e32 v18, 29, v11
	s_delay_alu instid0(VALU_DEP_4) | instskip(SKIP_1) | instid1(VALU_DEP_4)
	v_not_b32_e32 v25, v17
	v_dual_lshlrev_b32 v22, 27, v11 :: v_dual_lshlrev_b32 v23, 26, v11
	v_cmp_ne_u32_e32 vcc_lo, 0, v10
	v_cmp_gt_i32_e64 s3, 0, v17
	v_not_b32_e32 v10, v18
	s_wait_xcnt 0x0
	v_cmp_gt_i32_e64 s4, 0, v18
	v_ashrrev_i32_e32 v17, 31, v25
	v_not_b32_e32 v18, v20
	v_cmp_gt_i32_e64 s5, 0, v20
	v_dual_ashrrev_i32 v10, 31, v10 :: v_dual_bitop2_b32 v3, vcc_lo, v3 bitop3:0x14
	v_not_b32_e32 v20, v22
	s_delay_alu instid0(VALU_DEP_4) | instskip(NEXT) | instid1(VALU_DEP_3)
	v_dual_ashrrev_i32 v18, 31, v18 :: v_dual_bitop2_b32 v17, s3, v17 bitop3:0x14
	v_xor_b32_e32 v10, s4, v10
	v_cmp_gt_i32_e32 vcc_lo, 0, v22
	s_delay_alu instid0(VALU_DEP_4) | instskip(NEXT) | instid1(VALU_DEP_4)
	v_ashrrev_i32_e32 v20, 31, v20
	v_bitop3_b32 v3, v3, v17, exec_lo bitop3:0x80
	v_xor_b32_e32 v17, s5, v18
	v_not_b32_e32 v18, v23
	v_lshlrev_b32_e32 v22, 25, v11
	v_cmp_gt_i32_e64 s3, 0, v23
	v_lshlrev_b32_e32 v23, 24, v11
	s_wait_kmcnt 0x0
	v_mad_u32 v2, v2, s7, v14
	v_ashrrev_i32_e32 v18, 31, v18
	v_bitop3_b32 v3, v3, v17, v10 bitop3:0x80
	v_not_b32_e32 v10, v22
	v_xor_b32_e32 v17, vcc_lo, v20
	v_not_b32_e32 v20, v23
	v_xor_b32_e32 v18, s3, v18
	v_cmp_gt_i32_e32 vcc_lo, 0, v22
	v_cmp_gt_i32_e64 s3, 0, v23
	s_delay_alu instid0(VALU_DEP_4) | instskip(NEXT) | instid1(VALU_DEP_4)
	v_dual_ashrrev_i32 v20, 31, v20 :: v_dual_ashrrev_i32 v22, 31, v10
	v_bitop3_b32 v3, v3, v18, v17 bitop3:0x80
	v_lshrrev_b32_e32 v2, 5, v2
	v_mul_u32_u24_e32 v10, 36, v14
	s_delay_alu instid0(VALU_DEP_4) | instskip(SKIP_1) | instid1(VALU_DEP_4)
	v_xor_b32_e32 v18, s3, v20
	v_dual_mov_b32 v22, 0 :: v_dual_bitop2_b32 v17, vcc_lo, v22 bitop3:0x14
	v_lshlrev_b32_e32 v2, 2, v2
	ds_store_2addr_b32 v10, v22, v22 offset0:16 offset1:17
	ds_store_2addr_b32 v10, v22, v22 offset0:18 offset1:19
	;; [unrolled: 1-line block ×4, first 2 shown]
	v_bitop3_b32 v3, v3, v18, v17 bitop3:0x80
	v_mad_u32 v11, 0x44, v11, v2
	ds_store_b32 v10, v22 offset:96
	s_wait_dscnt 0x0
	s_barrier_signal -1
	v_mbcnt_lo_u32_b32 v20, v3, 0
	v_cmp_ne_u32_e64 s3, 0, v3
	s_barrier_wait -1
	s_delay_alu instid0(VALU_DEP_2) | instskip(SKIP_1) | instid1(SALU_CYCLE_1)
	v_cmp_eq_u32_e32 vcc_lo, 0, v20
	; wave barrier
	s_and_b32 s4, s3, vcc_lo
	s_and_saveexec_b32 s3, s4
; %bb.30:
	v_bcnt_u32_b32 v3, v3, 0
	ds_store_b32 v11, v3 offset:64
; %bb.31:
	s_or_b32 exec_lo, exec_lo, s3
	v_cmp_lt_i32_e32 vcc_lo, -1, v12
	; wave barrier
	v_cndmask_b32_e64 v3, -1, 0x80000000, vcc_lo
	s_delay_alu instid0(VALU_DEP_1) | instskip(NEXT) | instid1(VALU_DEP_1)
	v_xor_b32_e32 v17, v3, v12
	v_cmp_ne_u32_e32 vcc_lo, 0x7fffffff, v17
	v_cndmask_b32_e32 v3, 0x80000000, v17, vcc_lo
	s_delay_alu instid0(VALU_DEP_1) | instskip(NEXT) | instid1(VALU_DEP_1)
	v_lshrrev_b32_e32 v3, s20, v3
	v_and_b32_e32 v18, s29, v3
	v_bitop3_b32 v3, v3, 1, s29 bitop3:0x80
	s_delay_alu instid0(VALU_DEP_2) | instskip(NEXT) | instid1(VALU_DEP_2)
	v_lshlrev_b32_e32 v23, 30, v18
	v_add_co_u32 v3, s3, v3, -1
	s_delay_alu instid0(VALU_DEP_1) | instskip(NEXT) | instid1(VALU_DEP_1)
	v_cndmask_b32_e64 v22, 0, 1, s3
	v_cmp_ne_u32_e32 vcc_lo, 0, v22
	s_delay_alu instid0(VALU_DEP_4) | instskip(NEXT) | instid1(VALU_DEP_1)
	v_not_b32_e32 v22, v23
	v_ashrrev_i32_e32 v22, 31, v22
	v_dual_lshlrev_b32 v25, 29, v18 :: v_dual_lshlrev_b32 v26, 28, v18
	v_dual_lshlrev_b32 v27, 27, v18 :: v_dual_lshlrev_b32 v28, 26, v18
	v_cmp_gt_i32_e64 s3, 0, v23
	s_delay_alu instid0(VALU_DEP_3)
	v_cmp_gt_i32_e64 s4, 0, v25
	v_not_b32_e32 v23, v25
	v_not_b32_e32 v25, v26
	v_mad_u32 v12, 0x44, v18, v2
	v_dual_lshlrev_b32 v29, 25, v18 :: v_dual_lshlrev_b32 v18, 24, v18
	v_cmp_gt_i32_e64 s5, 0, v26
	v_cmp_gt_i32_e64 s6, 0, v27
	v_not_b32_e32 v26, v27
	v_not_b32_e32 v27, v28
	v_dual_ashrrev_i32 v25, 31, v25 :: v_dual_bitop2_b32 v3, vcc_lo, v3 bitop3:0x14
	v_dual_ashrrev_i32 v23, 31, v23 :: v_dual_bitop2_b32 v22, s3, v22 bitop3:0x14
	v_cmp_gt_i32_e64 s7, 0, v28
	v_not_b32_e32 v28, v29
	v_cmp_gt_i32_e64 s9, 0, v18
	v_not_b32_e32 v18, v18
	v_dual_ashrrev_i32 v26, 31, v26 :: v_dual_ashrrev_i32 v27, 31, v27
	v_xor_b32_e32 v23, s4, v23
	s_delay_alu instid0(VALU_DEP_3) | instskip(SKIP_4) | instid1(VALU_DEP_4)
	v_dual_ashrrev_i32 v18, 31, v18 :: v_dual_bitop2_b32 v25, s5, v25 bitop3:0x14
	v_bitop3_b32 v3, v3, v22, exec_lo bitop3:0x80
	v_cmp_gt_i32_e64 s8, 0, v29
	v_dual_ashrrev_i32 v22, 31, v28 :: v_dual_bitop2_b32 v26, s6, v26 bitop3:0x14
	v_xor_b32_e32 v27, s7, v27
	v_bitop3_b32 v3, v3, v25, v23 bitop3:0x80
	v_xor_b32_e32 v18, s9, v18
	s_delay_alu instid0(VALU_DEP_4) | instskip(SKIP_2) | instid1(VALU_DEP_1)
	v_xor_b32_e32 v23, s8, v22
	ds_load_b32 v22, v12 offset:64
	v_bitop3_b32 v3, v3, v27, v26 bitop3:0x80
	; wave barrier
	v_bitop3_b32 v3, v3, v18, v23 bitop3:0x80
	s_delay_alu instid0(VALU_DEP_1) | instskip(SKIP_1) | instid1(VALU_DEP_2)
	v_mbcnt_lo_u32_b32 v23, v3, 0
	v_cmp_ne_u32_e64 s3, 0, v3
	v_cmp_eq_u32_e32 vcc_lo, 0, v23
	s_and_b32 s4, s3, vcc_lo
	s_delay_alu instid0(SALU_CYCLE_1)
	s_and_saveexec_b32 s3, s4
	s_cbranch_execz .LBB1406_33
; %bb.32:
	s_wait_dscnt 0x0
	v_bcnt_u32_b32 v3, v3, v22
	ds_store_b32 v12, v3 offset:64
.LBB1406_33:
	s_or_b32 exec_lo, exec_lo, s3
	v_cmp_lt_i32_e32 vcc_lo, -1, v13
	; wave barrier
	v_cndmask_b32_e64 v3, -1, 0x80000000, vcc_lo
	s_delay_alu instid0(VALU_DEP_1) | instskip(NEXT) | instid1(VALU_DEP_1)
	v_xor_b32_e32 v18, v3, v13
	v_cmp_ne_u32_e32 vcc_lo, 0x7fffffff, v18
	v_cndmask_b32_e32 v3, 0x80000000, v18, vcc_lo
	s_delay_alu instid0(VALU_DEP_1) | instskip(NEXT) | instid1(VALU_DEP_1)
	v_lshrrev_b32_e32 v3, s20, v3
	v_and_b32_e32 v25, s29, v3
	v_bitop3_b32 v3, v3, 1, s29 bitop3:0x80
	s_delay_alu instid0(VALU_DEP_2) | instskip(NEXT) | instid1(VALU_DEP_2)
	v_lshlrev_b32_e32 v27, 30, v25
	v_add_co_u32 v3, s3, v3, -1
	s_delay_alu instid0(VALU_DEP_1) | instskip(NEXT) | instid1(VALU_DEP_1)
	v_cndmask_b32_e64 v26, 0, 1, s3
	v_cmp_ne_u32_e32 vcc_lo, 0, v26
	s_delay_alu instid0(VALU_DEP_4) | instskip(NEXT) | instid1(VALU_DEP_1)
	v_not_b32_e32 v26, v27
	v_dual_ashrrev_i32 v26, 31, v26 :: v_dual_lshlrev_b32 v28, 29, v25
	v_dual_lshlrev_b32 v29, 28, v25 :: v_dual_lshlrev_b32 v30, 27, v25
	v_lshlrev_b32_e32 v31, 26, v25
	v_cmp_gt_i32_e64 s3, 0, v27
	s_delay_alu instid0(VALU_DEP_4)
	v_cmp_gt_i32_e64 s4, 0, v28
	v_not_b32_e32 v27, v28
	v_not_b32_e32 v28, v29
	v_mad_u32 v13, 0x44, v25, v2
	v_dual_lshlrev_b32 v32, 25, v25 :: v_dual_lshlrev_b32 v25, 24, v25
	v_cmp_gt_i32_e64 s5, 0, v29
	v_cmp_gt_i32_e64 s6, 0, v30
	v_not_b32_e32 v29, v30
	v_not_b32_e32 v30, v31
	v_dual_ashrrev_i32 v28, 31, v28 :: v_dual_bitop2_b32 v3, vcc_lo, v3 bitop3:0x14
	v_dual_ashrrev_i32 v27, 31, v27 :: v_dual_bitop2_b32 v26, s3, v26 bitop3:0x14
	v_cmp_gt_i32_e64 s7, 0, v31
	v_not_b32_e32 v31, v32
	v_cmp_gt_i32_e64 s9, 0, v25
	v_not_b32_e32 v25, v25
	v_dual_ashrrev_i32 v29, 31, v29 :: v_dual_ashrrev_i32 v30, 31, v30
	v_xor_b32_e32 v27, s4, v27
	v_xor_b32_e32 v28, s5, v28
	v_bitop3_b32 v3, v3, v26, exec_lo bitop3:0x80
	v_cmp_gt_i32_e64 s8, 0, v32
	v_dual_ashrrev_i32 v26, 31, v31 :: v_dual_ashrrev_i32 v25, 31, v25
	v_xor_b32_e32 v29, s6, v29
	v_xor_b32_e32 v30, s7, v30
	v_bitop3_b32 v3, v3, v28, v27 bitop3:0x80
	s_delay_alu instid0(VALU_DEP_4) | instskip(SKIP_3) | instid1(VALU_DEP_1)
	v_xor_b32_e32 v26, s8, v26
	v_xor_b32_e32 v27, s9, v25
	ds_load_b32 v25, v13 offset:64
	v_bitop3_b32 v3, v3, v30, v29 bitop3:0x80
	; wave barrier
	v_bitop3_b32 v3, v3, v27, v26 bitop3:0x80
	s_delay_alu instid0(VALU_DEP_1) | instskip(SKIP_1) | instid1(VALU_DEP_2)
	v_mbcnt_lo_u32_b32 v26, v3, 0
	v_cmp_ne_u32_e64 s3, 0, v3
	v_cmp_eq_u32_e32 vcc_lo, 0, v26
	s_and_b32 s4, s3, vcc_lo
	s_delay_alu instid0(SALU_CYCLE_1)
	s_and_saveexec_b32 s3, s4
	s_cbranch_execz .LBB1406_35
; %bb.34:
	s_wait_dscnt 0x0
	v_bcnt_u32_b32 v3, v3, v25
	ds_store_b32 v13, v3 offset:64
.LBB1406_35:
	s_or_b32 exec_lo, exec_lo, s3
	v_cmp_lt_i32_e32 vcc_lo, -1, v19
	; wave barrier
	v_cndmask_b32_e64 v3, -1, 0x80000000, vcc_lo
	s_delay_alu instid0(VALU_DEP_1) | instskip(NEXT) | instid1(VALU_DEP_1)
	v_xor_b32_e32 v19, v3, v19
	v_cmp_ne_u32_e32 vcc_lo, 0x7fffffff, v19
	v_cndmask_b32_e32 v3, 0x80000000, v19, vcc_lo
	s_delay_alu instid0(VALU_DEP_1) | instskip(NEXT) | instid1(VALU_DEP_1)
	v_lshrrev_b32_e32 v3, s20, v3
	v_and_b32_e32 v27, s29, v3
	v_bitop3_b32 v3, v3, 1, s29 bitop3:0x80
	s_delay_alu instid0(VALU_DEP_2) | instskip(NEXT) | instid1(VALU_DEP_2)
	v_dual_lshlrev_b32 v29, 30, v27 :: v_dual_lshlrev_b32 v30, 29, v27
	v_add_co_u32 v3, s3, v3, -1
	s_delay_alu instid0(VALU_DEP_1) | instskip(SKIP_3) | instid1(VALU_DEP_4)
	v_cndmask_b32_e64 v28, 0, 1, s3
	v_dual_lshlrev_b32 v31, 28, v27 :: v_dual_lshlrev_b32 v32, 27, v27
	v_lshlrev_b32_e32 v34, 26, v27
	v_cmp_gt_i32_e64 s3, 0, v29
	v_cmp_ne_u32_e32 vcc_lo, 0, v28
	v_not_b32_e32 v28, v29
	v_cmp_gt_i32_e64 s4, 0, v30
	v_not_b32_e32 v29, v30
	v_cmp_gt_i32_e64 s5, 0, v31
	;; [unrolled: 2-line block ×3, first 2 shown]
	v_not_b32_e32 v31, v32
	v_not_b32_e32 v32, v34
	v_dual_ashrrev_i32 v28, 31, v28 :: v_dual_ashrrev_i32 v29, 31, v29
	s_delay_alu instid0(VALU_DEP_3) | instskip(NEXT) | instid1(VALU_DEP_3)
	v_dual_ashrrev_i32 v30, 31, v30 :: v_dual_ashrrev_i32 v31, 31, v31
	v_dual_ashrrev_i32 v32, 31, v32 :: v_dual_lshlrev_b32 v35, 25, v27
	v_mad_u32 v33, 0x44, v27, v2
	s_delay_alu instid0(VALU_DEP_4) | instskip(SKIP_1) | instid1(VALU_DEP_4)
	v_dual_lshlrev_b32 v27, 24, v27 :: v_dual_bitop2_b32 v28, s3, v28 bitop3:0x14
	v_cmp_gt_i32_e64 s7, 0, v34
	v_not_b32_e32 v34, v35
	v_xor_b32_e32 v3, vcc_lo, v3
	s_delay_alu instid0(VALU_DEP_4)
	v_cmp_gt_i32_e64 s9, 0, v27
	v_not_b32_e32 v27, v27
	v_xor_b32_e32 v29, s4, v29
	v_xor_b32_e32 v30, s5, v30
	v_bitop3_b32 v3, v3, v28, exec_lo bitop3:0x80
	v_cmp_gt_i32_e64 s8, 0, v35
	v_dual_ashrrev_i32 v28, 31, v34 :: v_dual_ashrrev_i32 v27, 31, v27
	v_xor_b32_e32 v31, s6, v31
	v_xor_b32_e32 v32, s7, v32
	v_bitop3_b32 v3, v3, v30, v29 bitop3:0x80
	s_delay_alu instid0(VALU_DEP_4) | instskip(SKIP_3) | instid1(VALU_DEP_1)
	v_xor_b32_e32 v29, s8, v28
	v_xor_b32_e32 v27, s9, v27
	ds_load_b32 v28, v33 offset:64
	v_bitop3_b32 v3, v3, v32, v31 bitop3:0x80
	; wave barrier
	v_bitop3_b32 v3, v3, v27, v29 bitop3:0x80
	s_delay_alu instid0(VALU_DEP_1) | instskip(SKIP_1) | instid1(VALU_DEP_2)
	v_mbcnt_lo_u32_b32 v29, v3, 0
	v_cmp_ne_u32_e64 s3, 0, v3
	v_cmp_eq_u32_e32 vcc_lo, 0, v29
	s_and_b32 s4, s3, vcc_lo
	s_delay_alu instid0(SALU_CYCLE_1)
	s_and_saveexec_b32 s3, s4
	s_cbranch_execz .LBB1406_37
; %bb.36:
	s_wait_dscnt 0x0
	v_bcnt_u32_b32 v3, v3, v28
	ds_store_b32 v33, v3 offset:64
.LBB1406_37:
	s_or_b32 exec_lo, exec_lo, s3
	v_cmp_lt_i32_e32 vcc_lo, -1, v21
	; wave barrier
	v_cndmask_b32_e64 v3, -1, 0x80000000, vcc_lo
	s_delay_alu instid0(VALU_DEP_1) | instskip(NEXT) | instid1(VALU_DEP_1)
	v_xor_b32_e32 v21, v3, v21
	v_cmp_ne_u32_e32 vcc_lo, 0x7fffffff, v21
	v_cndmask_b32_e32 v3, 0x80000000, v21, vcc_lo
	s_delay_alu instid0(VALU_DEP_1) | instskip(NEXT) | instid1(VALU_DEP_1)
	v_lshrrev_b32_e32 v3, s20, v3
	v_and_b32_e32 v27, s29, v3
	v_bitop3_b32 v3, v3, 1, s29 bitop3:0x80
	s_delay_alu instid0(VALU_DEP_2) | instskip(NEXT) | instid1(VALU_DEP_2)
	v_lshlrev_b32_e32 v31, 30, v27
	v_add_co_u32 v3, s3, v3, -1
	s_delay_alu instid0(VALU_DEP_1) | instskip(NEXT) | instid1(VALU_DEP_1)
	v_cndmask_b32_e64 v30, 0, 1, s3
	v_cmp_ne_u32_e32 vcc_lo, 0, v30
	s_delay_alu instid0(VALU_DEP_4) | instskip(NEXT) | instid1(VALU_DEP_1)
	v_not_b32_e32 v30, v31
	v_dual_ashrrev_i32 v30, 31, v30 :: v_dual_lshlrev_b32 v32, 29, v27
	v_dual_lshlrev_b32 v34, 28, v27 :: v_dual_lshlrev_b32 v35, 27, v27
	v_lshlrev_b32_e32 v36, 26, v27
	v_cmp_gt_i32_e64 s3, 0, v31
	s_delay_alu instid0(VALU_DEP_4)
	v_cmp_gt_i32_e64 s4, 0, v32
	v_not_b32_e32 v31, v32
	v_not_b32_e32 v32, v34
	v_mad_u32 v37, 0x44, v27, v2
	v_dual_lshlrev_b32 v38, 25, v27 :: v_dual_lshlrev_b32 v27, 24, v27
	v_cmp_gt_i32_e64 s5, 0, v34
	v_cmp_gt_i32_e64 s6, 0, v35
	v_not_b32_e32 v34, v35
	v_not_b32_e32 v35, v36
	v_dual_ashrrev_i32 v32, 31, v32 :: v_dual_bitop2_b32 v3, vcc_lo, v3 bitop3:0x14
	v_dual_ashrrev_i32 v31, 31, v31 :: v_dual_bitop2_b32 v30, s3, v30 bitop3:0x14
	v_cmp_gt_i32_e64 s7, 0, v36
	v_not_b32_e32 v36, v38
	v_cmp_gt_i32_e64 s9, 0, v27
	v_not_b32_e32 v27, v27
	v_dual_ashrrev_i32 v34, 31, v34 :: v_dual_ashrrev_i32 v35, 31, v35
	v_xor_b32_e32 v31, s4, v31
	s_delay_alu instid0(VALU_DEP_3) | instskip(SKIP_4) | instid1(VALU_DEP_4)
	v_dual_ashrrev_i32 v27, 31, v27 :: v_dual_bitop2_b32 v32, s5, v32 bitop3:0x14
	v_bitop3_b32 v3, v3, v30, exec_lo bitop3:0x80
	v_cmp_gt_i32_e64 s8, 0, v38
	v_dual_ashrrev_i32 v30, 31, v36 :: v_dual_bitop2_b32 v34, s6, v34 bitop3:0x14
	v_xor_b32_e32 v35, s7, v35
	v_bitop3_b32 v3, v3, v32, v31 bitop3:0x80
	v_xor_b32_e32 v27, s9, v27
	s_delay_alu instid0(VALU_DEP_4) | instskip(SKIP_2) | instid1(VALU_DEP_1)
	v_xor_b32_e32 v30, s8, v30
	ds_load_b32 v31, v37 offset:64
	v_bitop3_b32 v3, v3, v35, v34 bitop3:0x80
	; wave barrier
	v_bitop3_b32 v3, v3, v27, v30 bitop3:0x80
	s_delay_alu instid0(VALU_DEP_1) | instskip(SKIP_1) | instid1(VALU_DEP_2)
	v_mbcnt_lo_u32_b32 v32, v3, 0
	v_cmp_ne_u32_e64 s3, 0, v3
	v_cmp_eq_u32_e32 vcc_lo, 0, v32
	s_and_b32 s4, s3, vcc_lo
	s_delay_alu instid0(SALU_CYCLE_1)
	s_and_saveexec_b32 s3, s4
	s_cbranch_execz .LBB1406_39
; %bb.38:
	s_wait_dscnt 0x0
	v_bcnt_u32_b32 v3, v3, v31
	ds_store_b32 v37, v3 offset:64
.LBB1406_39:
	s_or_b32 exec_lo, exec_lo, s3
	v_cmp_lt_i32_e32 vcc_lo, -1, v24
	; wave barrier
	v_cndmask_b32_e64 v3, -1, 0x80000000, vcc_lo
	s_delay_alu instid0(VALU_DEP_1) | instskip(NEXT) | instid1(VALU_DEP_1)
	v_xor_b32_e32 v24, v3, v24
	v_cmp_ne_u32_e32 vcc_lo, 0x7fffffff, v24
	v_cndmask_b32_e32 v3, 0x80000000, v24, vcc_lo
	s_delay_alu instid0(VALU_DEP_1) | instskip(NEXT) | instid1(VALU_DEP_1)
	v_lshrrev_b32_e32 v3, s20, v3
	v_and_b32_e32 v27, s29, v3
	v_bitop3_b32 v3, v3, 1, s29 bitop3:0x80
	s_delay_alu instid0(VALU_DEP_2) | instskip(NEXT) | instid1(VALU_DEP_2)
	v_lshlrev_b32_e32 v34, 30, v27
	v_add_co_u32 v3, s3, v3, -1
	s_delay_alu instid0(VALU_DEP_1) | instskip(NEXT) | instid1(VALU_DEP_3)
	v_cndmask_b32_e64 v30, 0, 1, s3
	v_cmp_gt_i32_e64 s3, 0, v34
	s_delay_alu instid0(VALU_DEP_2) | instskip(SKIP_1) | instid1(VALU_DEP_1)
	v_cmp_ne_u32_e32 vcc_lo, 0, v30
	v_not_b32_e32 v30, v34
	v_dual_ashrrev_i32 v30, 31, v30 :: v_dual_lshlrev_b32 v35, 29, v27
	v_dual_lshlrev_b32 v36, 28, v27 :: v_dual_lshlrev_b32 v38, 27, v27
	v_lshlrev_b32_e32 v39, 26, v27
	v_mad_u32 v41, 0x44, v27, v2
	s_delay_alu instid0(VALU_DEP_4)
	v_cmp_gt_i32_e64 s4, 0, v35
	v_not_b32_e32 v34, v35
	v_not_b32_e32 v35, v36
	v_dual_lshlrev_b32 v40, 25, v27 :: v_dual_lshlrev_b32 v27, 24, v27
	v_cmp_gt_i32_e64 s5, 0, v36
	v_cmp_gt_i32_e64 s6, 0, v38
	v_not_b32_e32 v36, v38
	v_not_b32_e32 v38, v39
	v_dual_ashrrev_i32 v34, 31, v34 :: v_dual_bitop2_b32 v3, vcc_lo, v3 bitop3:0x14
	v_dual_ashrrev_i32 v35, 31, v35 :: v_dual_bitop2_b32 v30, s3, v30 bitop3:0x14
	v_cmp_gt_i32_e64 s7, 0, v39
	v_not_b32_e32 v39, v40
	v_cmp_gt_i32_e64 s9, 0, v27
	v_not_b32_e32 v27, v27
	v_dual_ashrrev_i32 v36, 31, v36 :: v_dual_ashrrev_i32 v38, 31, v38
	v_xor_b32_e32 v34, s4, v34
	v_xor_b32_e32 v35, s5, v35
	v_bitop3_b32 v3, v3, v30, exec_lo bitop3:0x80
	v_cmp_gt_i32_e64 s8, 0, v40
	v_ashrrev_i32_e32 v30, 31, v39
	v_dual_ashrrev_i32 v27, 31, v27 :: v_dual_bitop2_b32 v36, s6, v36 bitop3:0x14
	v_xor_b32_e32 v38, s7, v38
	v_bitop3_b32 v3, v3, v35, v34 bitop3:0x80
	s_delay_alu instid0(VALU_DEP_4) | instskip(NEXT) | instid1(VALU_DEP_4)
	v_xor_b32_e32 v30, s8, v30
	v_xor_b32_e32 v27, s9, v27
	ds_load_b32 v35, v41 offset:64
	v_bitop3_b32 v3, v3, v38, v36 bitop3:0x80
	; wave barrier
	s_delay_alu instid0(VALU_DEP_1) | instskip(NEXT) | instid1(VALU_DEP_1)
	v_bitop3_b32 v3, v3, v27, v30 bitop3:0x80
	v_mbcnt_lo_u32_b32 v36, v3, 0
	v_cmp_ne_u32_e64 s3, 0, v3
	s_delay_alu instid0(VALU_DEP_2) | instskip(SKIP_1) | instid1(SALU_CYCLE_1)
	v_cmp_eq_u32_e32 vcc_lo, 0, v36
	s_and_b32 s4, s3, vcc_lo
	s_and_saveexec_b32 s3, s4
	s_cbranch_execz .LBB1406_41
; %bb.40:
	s_wait_dscnt 0x0
	v_bcnt_u32_b32 v3, v3, v35
	ds_store_b32 v41, v3 offset:64
.LBB1406_41:
	s_or_b32 exec_lo, exec_lo, s3
	v_cmp_lt_i32_e32 vcc_lo, -1, v9
	; wave barrier
	v_cndmask_b32_e64 v3, -1, 0x80000000, vcc_lo
	s_delay_alu instid0(VALU_DEP_1) | instskip(NEXT) | instid1(VALU_DEP_1)
	v_xor_b32_e32 v27, v3, v9
	v_cmp_ne_u32_e32 vcc_lo, 0x7fffffff, v27
	v_cndmask_b32_e32 v3, 0x80000000, v27, vcc_lo
	s_delay_alu instid0(VALU_DEP_1) | instskip(NEXT) | instid1(VALU_DEP_1)
	v_lshrrev_b32_e32 v3, s20, v3
	v_and_b32_e32 v9, s29, v3
	v_bitop3_b32 v3, v3, 1, s29 bitop3:0x80
	s_delay_alu instid0(VALU_DEP_2) | instskip(NEXT) | instid1(VALU_DEP_2)
	v_lshlrev_b32_e32 v34, 30, v9
	v_add_co_u32 v3, s3, v3, -1
	s_delay_alu instid0(VALU_DEP_1) | instskip(NEXT) | instid1(VALU_DEP_3)
	v_cndmask_b32_e64 v30, 0, 1, s3
	v_cmp_gt_i32_e64 s3, 0, v34
	s_delay_alu instid0(VALU_DEP_2) | instskip(SKIP_1) | instid1(VALU_DEP_1)
	v_cmp_ne_u32_e32 vcc_lo, 0, v30
	v_not_b32_e32 v30, v34
	v_dual_ashrrev_i32 v30, 31, v30 :: v_dual_lshlrev_b32 v38, 29, v9
	v_dual_lshlrev_b32 v39, 28, v9 :: v_dual_lshlrev_b32 v40, 27, v9
	v_lshlrev_b32_e32 v42, 26, v9
	v_mad_u32 v45, 0x44, v9, v2
	s_delay_alu instid0(VALU_DEP_4)
	v_cmp_gt_i32_e64 s4, 0, v38
	v_not_b32_e32 v34, v38
	v_not_b32_e32 v38, v39
	v_dual_lshlrev_b32 v43, 25, v9 :: v_dual_lshlrev_b32 v9, 24, v9
	v_cmp_gt_i32_e64 s5, 0, v39
	v_cmp_gt_i32_e64 s6, 0, v40
	v_not_b32_e32 v39, v40
	v_not_b32_e32 v40, v42
	v_dual_ashrrev_i32 v34, 31, v34 :: v_dual_bitop2_b32 v3, vcc_lo, v3 bitop3:0x14
	s_delay_alu instid0(VALU_DEP_3) | instskip(NEXT) | instid1(VALU_DEP_3)
	v_dual_ashrrev_i32 v38, 31, v38 :: v_dual_ashrrev_i32 v39, 31, v39
	v_dual_ashrrev_i32 v40, 31, v40 :: v_dual_bitop2_b32 v30, s3, v30 bitop3:0x14
	v_cmp_gt_i32_e64 s7, 0, v42
	v_not_b32_e32 v42, v43
	v_cmp_gt_i32_e64 s9, 0, v9
	v_not_b32_e32 v9, v9
	v_xor_b32_e32 v34, s4, v34
	v_xor_b32_e32 v38, s5, v38
	v_bitop3_b32 v3, v3, v30, exec_lo bitop3:0x80
	v_cmp_gt_i32_e64 s8, 0, v43
	v_dual_ashrrev_i32 v30, 31, v42 :: v_dual_bitop2_b32 v39, s6, v39 bitop3:0x14
	v_dual_ashrrev_i32 v9, 31, v9 :: v_dual_bitop2_b32 v40, s7, v40 bitop3:0x14
	s_delay_alu instid0(VALU_DEP_4) | instskip(NEXT) | instid1(VALU_DEP_3)
	v_bitop3_b32 v3, v3, v38, v34 bitop3:0x80
	v_xor_b32_e32 v30, s8, v30
	s_delay_alu instid0(VALU_DEP_3) | instskip(NEXT) | instid1(VALU_DEP_3)
	v_xor_b32_e32 v9, s9, v9
	v_bitop3_b32 v3, v3, v40, v39 bitop3:0x80
	ds_load_b32 v39, v45 offset:64
	; wave barrier
	v_bitop3_b32 v3, v3, v9, v30 bitop3:0x80
	s_delay_alu instid0(VALU_DEP_1) | instskip(SKIP_1) | instid1(VALU_DEP_2)
	v_mbcnt_lo_u32_b32 v40, v3, 0
	v_cmp_ne_u32_e64 s3, 0, v3
	v_cmp_eq_u32_e32 vcc_lo, 0, v40
	s_and_b32 s4, s3, vcc_lo
	s_delay_alu instid0(SALU_CYCLE_1)
	s_and_saveexec_b32 s3, s4
	s_cbranch_execz .LBB1406_43
; %bb.42:
	s_wait_dscnt 0x0
	v_bcnt_u32_b32 v3, v3, v39
	ds_store_b32 v45, v3 offset:64
.LBB1406_43:
	s_or_b32 exec_lo, exec_lo, s3
	v_cmp_lt_i32_e32 vcc_lo, -1, v8
	; wave barrier
	v_cndmask_b32_e64 v3, -1, 0x80000000, vcc_lo
	s_delay_alu instid0(VALU_DEP_1) | instskip(NEXT) | instid1(VALU_DEP_1)
	v_xor_b32_e32 v30, v3, v8
	v_cmp_ne_u32_e32 vcc_lo, 0x7fffffff, v30
	v_cndmask_b32_e32 v3, 0x80000000, v30, vcc_lo
	s_delay_alu instid0(VALU_DEP_1) | instskip(NEXT) | instid1(VALU_DEP_1)
	v_lshrrev_b32_e32 v3, s20, v3
	v_and_b32_e32 v8, s29, v3
	v_bitop3_b32 v3, v3, 1, s29 bitop3:0x80
	s_delay_alu instid0(VALU_DEP_2) | instskip(NEXT) | instid1(VALU_DEP_2)
	v_lshlrev_b32_e32 v34, 30, v8
	v_add_co_u32 v3, s3, v3, -1
	s_delay_alu instid0(VALU_DEP_1) | instskip(NEXT) | instid1(VALU_DEP_3)
	v_cndmask_b32_e64 v9, 0, 1, s3
	v_cmp_gt_i32_e64 s3, 0, v34
	s_delay_alu instid0(VALU_DEP_2) | instskip(SKIP_1) | instid1(VALU_DEP_1)
	v_cmp_ne_u32_e32 vcc_lo, 0, v9
	v_not_b32_e32 v9, v34
	v_dual_ashrrev_i32 v9, 31, v9 :: v_dual_lshlrev_b32 v38, 29, v8
	v_dual_lshlrev_b32 v42, 28, v8 :: v_dual_lshlrev_b32 v43, 27, v8
	v_lshlrev_b32_e32 v44, 26, v8
	v_mad_u32 v48, 0x44, v8, v2
	s_delay_alu instid0(VALU_DEP_4)
	v_cmp_gt_i32_e64 s4, 0, v38
	v_not_b32_e32 v34, v38
	v_not_b32_e32 v38, v42
	v_dual_lshlrev_b32 v46, 25, v8 :: v_dual_lshlrev_b32 v8, 24, v8
	v_cmp_gt_i32_e64 s5, 0, v42
	v_cmp_gt_i32_e64 s6, 0, v43
	v_not_b32_e32 v42, v43
	v_not_b32_e32 v43, v44
	v_dual_ashrrev_i32 v34, 31, v34 :: v_dual_bitop2_b32 v3, vcc_lo, v3 bitop3:0x14
	v_dual_ashrrev_i32 v38, 31, v38 :: v_dual_bitop2_b32 v9, s3, v9 bitop3:0x14
	v_cmp_gt_i32_e64 s7, 0, v44
	v_not_b32_e32 v44, v46
	v_cmp_gt_i32_e64 s9, 0, v8
	v_not_b32_e32 v8, v8
	v_dual_ashrrev_i32 v42, 31, v42 :: v_dual_ashrrev_i32 v43, 31, v43
	v_xor_b32_e32 v34, s4, v34
	s_delay_alu instid0(VALU_DEP_3) | instskip(SKIP_4) | instid1(VALU_DEP_4)
	v_dual_ashrrev_i32 v8, 31, v8 :: v_dual_bitop2_b32 v38, s5, v38 bitop3:0x14
	v_bitop3_b32 v3, v3, v9, exec_lo bitop3:0x80
	v_cmp_gt_i32_e64 s8, 0, v46
	v_dual_ashrrev_i32 v9, 31, v44 :: v_dual_bitop2_b32 v42, s6, v42 bitop3:0x14
	v_xor_b32_e32 v43, s7, v43
	v_bitop3_b32 v3, v3, v38, v34 bitop3:0x80
	v_xor_b32_e32 v8, s9, v8
	s_delay_alu instid0(VALU_DEP_4) | instskip(NEXT) | instid1(VALU_DEP_3)
	v_xor_b32_e32 v9, s8, v9
	v_bitop3_b32 v3, v3, v43, v42 bitop3:0x80
	ds_load_b32 v43, v48 offset:64
	; wave barrier
	v_bitop3_b32 v3, v3, v8, v9 bitop3:0x80
	s_delay_alu instid0(VALU_DEP_1) | instskip(SKIP_1) | instid1(VALU_DEP_2)
	v_mbcnt_lo_u32_b32 v44, v3, 0
	v_cmp_ne_u32_e64 s3, 0, v3
	v_cmp_eq_u32_e32 vcc_lo, 0, v44
	s_and_b32 s4, s3, vcc_lo
	s_delay_alu instid0(SALU_CYCLE_1)
	s_and_saveexec_b32 s3, s4
	s_cbranch_execz .LBB1406_45
; %bb.44:
	s_wait_dscnt 0x0
	v_bcnt_u32_b32 v3, v3, v43
	ds_store_b32 v48, v3 offset:64
.LBB1406_45:
	s_or_b32 exec_lo, exec_lo, s3
	v_cmp_lt_i32_e32 vcc_lo, -1, v7
	; wave barrier
	v_cndmask_b32_e64 v3, -1, 0x80000000, vcc_lo
	s_delay_alu instid0(VALU_DEP_1) | instskip(NEXT) | instid1(VALU_DEP_1)
	v_xor_b32_e32 v34, v3, v7
	v_cmp_ne_u32_e32 vcc_lo, 0x7fffffff, v34
	v_cndmask_b32_e32 v3, 0x80000000, v34, vcc_lo
	s_delay_alu instid0(VALU_DEP_1) | instskip(NEXT) | instid1(VALU_DEP_1)
	v_lshrrev_b32_e32 v3, s20, v3
	v_and_b32_e32 v7, s29, v3
	v_bitop3_b32 v3, v3, 1, s29 bitop3:0x80
	s_delay_alu instid0(VALU_DEP_2) | instskip(NEXT) | instid1(VALU_DEP_2)
	v_lshlrev_b32_e32 v9, 30, v7
	v_add_co_u32 v3, s3, v3, -1
	s_delay_alu instid0(VALU_DEP_1) | instskip(SKIP_1) | instid1(VALU_DEP_4)
	v_cndmask_b32_e64 v8, 0, 1, s3
	v_lshlrev_b32_e32 v38, 29, v7
	v_cmp_gt_i32_e64 s3, 0, v9
	s_delay_alu instid0(VALU_DEP_3) | instskip(SKIP_1) | instid1(VALU_DEP_4)
	v_cmp_ne_u32_e32 vcc_lo, 0, v8
	v_not_b32_e32 v8, v9
	v_not_b32_e32 v9, v38
	v_cmp_gt_i32_e64 s4, 0, v38
	s_delay_alu instid0(VALU_DEP_2) | instskip(SKIP_3) | instid1(VALU_DEP_3)
	v_dual_ashrrev_i32 v8, 31, v8 :: v_dual_ashrrev_i32 v9, 31, v9
	v_dual_lshlrev_b32 v42, 28, v7 :: v_dual_lshlrev_b32 v46, 27, v7
	v_dual_lshlrev_b32 v47, 26, v7 :: v_dual_lshlrev_b32 v49, 25, v7
	v_mad_u32 v51, 0x44, v7, v2
	v_not_b32_e32 v38, v42
	v_lshlrev_b32_e32 v7, 24, v7
	v_cmp_gt_i32_e64 s5, 0, v42
	v_cmp_gt_i32_e64 s6, 0, v46
	v_not_b32_e32 v42, v46
	v_not_b32_e32 v46, v47
	v_dual_ashrrev_i32 v38, 31, v38 :: v_dual_bitop2_b32 v3, vcc_lo, v3 bitop3:0x14
	v_xor_b32_e32 v8, s3, v8
	v_cmp_gt_i32_e64 s7, 0, v47
	v_not_b32_e32 v47, v49
	v_cmp_gt_i32_e64 s9, 0, v7
	v_not_b32_e32 v7, v7
	v_ashrrev_i32_e32 v42, 31, v42
	v_dual_ashrrev_i32 v46, 31, v46 :: v_dual_bitop2_b32 v9, s4, v9 bitop3:0x14
	s_delay_alu instid0(VALU_DEP_3) | instskip(SKIP_4) | instid1(VALU_DEP_4)
	v_dual_ashrrev_i32 v7, 31, v7 :: v_dual_bitop2_b32 v38, s5, v38 bitop3:0x14
	v_bitop3_b32 v3, v3, v8, exec_lo bitop3:0x80
	v_cmp_gt_i32_e64 s8, 0, v49
	v_dual_ashrrev_i32 v8, 31, v47 :: v_dual_bitop2_b32 v42, s6, v42 bitop3:0x14
	v_xor_b32_e32 v46, s7, v46
	v_bitop3_b32 v3, v3, v38, v9 bitop3:0x80
	v_xor_b32_e32 v7, s9, v7
	s_delay_alu instid0(VALU_DEP_4) | instskip(SKIP_2) | instid1(VALU_DEP_1)
	v_xor_b32_e32 v8, s8, v8
	ds_load_b32 v47, v51 offset:64
	v_bitop3_b32 v3, v3, v46, v42 bitop3:0x80
	; wave barrier
	v_bitop3_b32 v3, v3, v7, v8 bitop3:0x80
	s_delay_alu instid0(VALU_DEP_1) | instskip(SKIP_1) | instid1(VALU_DEP_2)
	v_mbcnt_lo_u32_b32 v49, v3, 0
	v_cmp_ne_u32_e64 s3, 0, v3
	v_cmp_eq_u32_e32 vcc_lo, 0, v49
	s_and_b32 s4, s3, vcc_lo
	s_delay_alu instid0(SALU_CYCLE_1)
	s_and_saveexec_b32 s3, s4
	s_cbranch_execz .LBB1406_47
; %bb.46:
	s_wait_dscnt 0x0
	v_bcnt_u32_b32 v3, v3, v47
	ds_store_b32 v51, v3 offset:64
.LBB1406_47:
	s_or_b32 exec_lo, exec_lo, s3
	v_cmp_lt_i32_e32 vcc_lo, -1, v6
	; wave barrier
	v_cndmask_b32_e64 v3, -1, 0x80000000, vcc_lo
	s_delay_alu instid0(VALU_DEP_1) | instskip(NEXT) | instid1(VALU_DEP_1)
	v_xor_b32_e32 v38, v3, v6
	v_cmp_ne_u32_e32 vcc_lo, 0x7fffffff, v38
	v_cndmask_b32_e32 v3, 0x80000000, v38, vcc_lo
	s_delay_alu instid0(VALU_DEP_1) | instskip(NEXT) | instid1(VALU_DEP_1)
	v_lshrrev_b32_e32 v3, s20, v3
	v_and_b32_e32 v6, s29, v3
	v_bitop3_b32 v3, v3, 1, s29 bitop3:0x80
	s_delay_alu instid0(VALU_DEP_2) | instskip(NEXT) | instid1(VALU_DEP_2)
	v_dual_lshlrev_b32 v8, 30, v6 :: v_dual_lshlrev_b32 v9, 29, v6
	v_add_co_u32 v3, s3, v3, -1
	s_delay_alu instid0(VALU_DEP_1) | instskip(SKIP_1) | instid1(VALU_DEP_4)
	v_cndmask_b32_e64 v7, 0, 1, s3
	v_lshlrev_b32_e32 v42, 28, v6
	v_cmp_gt_i32_e64 s3, 0, v8
	v_cmp_gt_i32_e64 s4, 0, v9
	s_delay_alu instid0(VALU_DEP_4) | instskip(SKIP_3) | instid1(VALU_DEP_2)
	v_cmp_ne_u32_e32 vcc_lo, 0, v7
	v_not_b32_e32 v7, v8
	v_not_b32_e32 v8, v9
	;; [unrolled: 1-line block ×3, first 2 shown]
	v_dual_ashrrev_i32 v7, 31, v7 :: v_dual_ashrrev_i32 v8, 31, v8
	s_delay_alu instid0(VALU_DEP_2) | instskip(SKIP_4) | instid1(VALU_DEP_3)
	v_ashrrev_i32_e32 v9, 31, v9
	v_mad_u32 v53, 0x44, v6, v2
	v_dual_lshlrev_b32 v46, 27, v6 :: v_dual_lshlrev_b32 v50, 26, v6
	v_dual_lshlrev_b32 v52, 25, v6 :: v_dual_lshlrev_b32 v6, 24, v6
	v_cmp_gt_i32_e64 s5, 0, v42
	v_cmp_gt_i32_e64 s6, 0, v46
	v_not_b32_e32 v42, v46
	v_not_b32_e32 v46, v50
	v_xor_b32_e32 v3, vcc_lo, v3
	v_xor_b32_e32 v7, s3, v7
	v_cmp_gt_i32_e64 s7, 0, v50
	v_not_b32_e32 v50, v52
	v_cmp_gt_i32_e64 s9, 0, v6
	v_not_b32_e32 v6, v6
	v_ashrrev_i32_e32 v42, 31, v42
	v_dual_ashrrev_i32 v46, 31, v46 :: v_dual_bitop2_b32 v8, s4, v8 bitop3:0x14
	s_delay_alu instid0(VALU_DEP_3)
	v_dual_ashrrev_i32 v6, 31, v6 :: v_dual_bitop2_b32 v9, s5, v9 bitop3:0x14
	v_bitop3_b32 v3, v3, v7, exec_lo bitop3:0x80
	v_cmp_gt_i32_e64 s8, 0, v52
	v_ashrrev_i32_e32 v7, 31, v50
	v_xor_b32_e32 v42, s6, v42
	v_xor_b32_e32 v46, s7, v46
	v_bitop3_b32 v3, v3, v9, v8 bitop3:0x80
	v_xor_b32_e32 v6, s9, v6
	v_xor_b32_e32 v7, s8, v7
	ds_load_b32 v50, v53 offset:64
	v_bitop3_b32 v3, v3, v46, v42 bitop3:0x80
	; wave barrier
	s_delay_alu instid0(VALU_DEP_1) | instskip(NEXT) | instid1(VALU_DEP_1)
	v_bitop3_b32 v3, v3, v6, v7 bitop3:0x80
	v_mbcnt_lo_u32_b32 v52, v3, 0
	v_cmp_ne_u32_e64 s3, 0, v3
	s_delay_alu instid0(VALU_DEP_2) | instskip(SKIP_1) | instid1(SALU_CYCLE_1)
	v_cmp_eq_u32_e32 vcc_lo, 0, v52
	s_and_b32 s4, s3, vcc_lo
	s_and_saveexec_b32 s3, s4
	s_cbranch_execz .LBB1406_49
; %bb.48:
	s_wait_dscnt 0x0
	v_bcnt_u32_b32 v3, v3, v50
	ds_store_b32 v53, v3 offset:64
.LBB1406_49:
	s_or_b32 exec_lo, exec_lo, s3
	v_cmp_lt_i32_e32 vcc_lo, -1, v5
	; wave barrier
	v_cndmask_b32_e64 v3, -1, 0x80000000, vcc_lo
	s_delay_alu instid0(VALU_DEP_1) | instskip(NEXT) | instid1(VALU_DEP_1)
	v_xor_b32_e32 v42, v3, v5
	v_cmp_ne_u32_e32 vcc_lo, 0x7fffffff, v42
	v_cndmask_b32_e32 v3, 0x80000000, v42, vcc_lo
	s_delay_alu instid0(VALU_DEP_1) | instskip(NEXT) | instid1(VALU_DEP_1)
	v_lshrrev_b32_e32 v3, s20, v3
	v_and_b32_e32 v5, s29, v3
	v_bitop3_b32 v3, v3, 1, s29 bitop3:0x80
	s_delay_alu instid0(VALU_DEP_2) | instskip(NEXT) | instid1(VALU_DEP_2)
	v_lshlrev_b32_e32 v7, 30, v5
	v_add_co_u32 v3, s3, v3, -1
	s_delay_alu instid0(VALU_DEP_1) | instskip(NEXT) | instid1(VALU_DEP_1)
	v_cndmask_b32_e64 v6, 0, 1, s3
	v_cmp_ne_u32_e32 vcc_lo, 0, v6
	s_delay_alu instid0(VALU_DEP_4) | instskip(NEXT) | instid1(VALU_DEP_1)
	v_not_b32_e32 v6, v7
	v_dual_ashrrev_i32 v6, 31, v6 :: v_dual_lshlrev_b32 v8, 29, v5
	v_dual_lshlrev_b32 v9, 28, v5 :: v_dual_lshlrev_b32 v46, 27, v5
	v_lshlrev_b32_e32 v54, 26, v5
	v_cmp_gt_i32_e64 s3, 0, v7
	s_delay_alu instid0(VALU_DEP_4)
	v_cmp_gt_i32_e64 s4, 0, v8
	v_not_b32_e32 v7, v8
	v_not_b32_e32 v8, v9
	v_mad_u32 v56, 0x44, v5, v2
	v_dual_lshlrev_b32 v55, 25, v5 :: v_dual_lshlrev_b32 v5, 24, v5
	v_cmp_gt_i32_e64 s5, 0, v9
	v_cmp_gt_i32_e64 s6, 0, v46
	v_not_b32_e32 v9, v46
	v_not_b32_e32 v46, v54
	v_dual_ashrrev_i32 v8, 31, v8 :: v_dual_bitop2_b32 v3, vcc_lo, v3 bitop3:0x14
	v_dual_ashrrev_i32 v7, 31, v7 :: v_dual_bitop2_b32 v6, s3, v6 bitop3:0x14
	v_cmp_gt_i32_e64 s7, 0, v54
	v_not_b32_e32 v54, v55
	v_cmp_gt_i32_e64 s9, 0, v5
	v_not_b32_e32 v5, v5
	v_dual_ashrrev_i32 v9, 31, v9 :: v_dual_ashrrev_i32 v46, 31, v46
	v_xor_b32_e32 v7, s4, v7
	s_delay_alu instid0(VALU_DEP_3) | instskip(SKIP_4) | instid1(VALU_DEP_4)
	v_dual_ashrrev_i32 v5, 31, v5 :: v_dual_bitop2_b32 v8, s5, v8 bitop3:0x14
	v_bitop3_b32 v3, v3, v6, exec_lo bitop3:0x80
	v_cmp_gt_i32_e64 s8, 0, v55
	v_dual_ashrrev_i32 v6, 31, v54 :: v_dual_bitop2_b32 v9, s6, v9 bitop3:0x14
	v_xor_b32_e32 v46, s7, v46
	v_bitop3_b32 v3, v3, v8, v7 bitop3:0x80
	v_xor_b32_e32 v5, s9, v5
	s_delay_alu instid0(VALU_DEP_4) | instskip(SKIP_2) | instid1(VALU_DEP_1)
	v_xor_b32_e32 v6, s8, v6
	ds_load_b32 v54, v56 offset:64
	v_bitop3_b32 v3, v3, v46, v9 bitop3:0x80
	; wave barrier
	v_bitop3_b32 v3, v3, v5, v6 bitop3:0x80
	s_delay_alu instid0(VALU_DEP_1) | instskip(SKIP_1) | instid1(VALU_DEP_2)
	v_mbcnt_lo_u32_b32 v55, v3, 0
	v_cmp_ne_u32_e64 s3, 0, v3
	v_cmp_eq_u32_e32 vcc_lo, 0, v55
	s_and_b32 s4, s3, vcc_lo
	s_delay_alu instid0(SALU_CYCLE_1)
	s_and_saveexec_b32 s3, s4
	s_cbranch_execz .LBB1406_51
; %bb.50:
	s_wait_dscnt 0x0
	v_bcnt_u32_b32 v3, v3, v54
	ds_store_b32 v56, v3 offset:64
.LBB1406_51:
	s_or_b32 exec_lo, exec_lo, s3
	v_cmp_lt_i32_e32 vcc_lo, -1, v4
	; wave barrier
	v_cndmask_b32_e64 v3, -1, 0x80000000, vcc_lo
	s_delay_alu instid0(VALU_DEP_1) | instskip(NEXT) | instid1(VALU_DEP_1)
	v_xor_b32_e32 v46, v3, v4
	v_cmp_ne_u32_e32 vcc_lo, 0x7fffffff, v46
	v_cndmask_b32_e32 v3, 0x80000000, v46, vcc_lo
	s_delay_alu instid0(VALU_DEP_1) | instskip(NEXT) | instid1(VALU_DEP_1)
	v_lshrrev_b32_e32 v3, s20, v3
	v_and_b32_e32 v4, s29, v3
	v_bitop3_b32 v3, v3, 1, s29 bitop3:0x80
	s_delay_alu instid0(VALU_DEP_2) | instskip(NEXT) | instid1(VALU_DEP_2)
	v_mad_u32 v59, 0x44, v4, v2
	v_add_co_u32 v2, s3, v3, -1
	s_delay_alu instid0(VALU_DEP_1) | instskip(SKIP_1) | instid1(VALU_DEP_2)
	v_cndmask_b32_e64 v3, 0, 1, s3
	v_lshlrev_b32_e32 v5, 30, v4
	v_cmp_ne_u32_e32 vcc_lo, 0, v3
	s_delay_alu instid0(VALU_DEP_2) | instskip(NEXT) | instid1(VALU_DEP_1)
	v_not_b32_e32 v3, v5
	v_dual_ashrrev_i32 v3, 31, v3 :: v_dual_lshlrev_b32 v6, 29, v4
	v_dual_lshlrev_b32 v7, 28, v4 :: v_dual_lshlrev_b32 v8, 27, v4
	v_lshlrev_b32_e32 v9, 26, v4
	v_cmp_gt_i32_e64 s3, 0, v5
	s_delay_alu instid0(VALU_DEP_4)
	v_cmp_gt_i32_e64 s4, 0, v6
	v_not_b32_e32 v5, v6
	v_not_b32_e32 v6, v7
	v_dual_lshlrev_b32 v57, 25, v4 :: v_dual_lshlrev_b32 v4, 24, v4
	v_cmp_gt_i32_e64 s5, 0, v7
	v_cmp_gt_i32_e64 s6, 0, v8
	v_not_b32_e32 v7, v8
	v_not_b32_e32 v8, v9
	v_dual_ashrrev_i32 v5, 31, v5 :: v_dual_bitop2_b32 v2, vcc_lo, v2 bitop3:0x14
	v_dual_ashrrev_i32 v6, 31, v6 :: v_dual_bitop2_b32 v3, s3, v3 bitop3:0x14
	v_cmp_gt_i32_e64 s7, 0, v9
	v_not_b32_e32 v9, v57
	v_cmp_gt_i32_e64 s9, 0, v4
	v_not_b32_e32 v4, v4
	v_dual_ashrrev_i32 v7, 31, v7 :: v_dual_ashrrev_i32 v8, 31, v8
	v_xor_b32_e32 v5, s4, v5
	v_xor_b32_e32 v6, s5, v6
	v_bitop3_b32 v2, v2, v3, exec_lo bitop3:0x80
	v_cmp_gt_i32_e64 s8, 0, v57
	v_dual_ashrrev_i32 v3, 31, v9 :: v_dual_ashrrev_i32 v4, 31, v4
	v_xor_b32_e32 v7, s6, v7
	v_xor_b32_e32 v8, s7, v8
	v_bitop3_b32 v2, v2, v6, v5 bitop3:0x80
	s_delay_alu instid0(VALU_DEP_4) | instskip(SKIP_3) | instid1(VALU_DEP_1)
	v_xor_b32_e32 v3, s8, v3
	v_xor_b32_e32 v4, s9, v4
	ds_load_b32 v57, v59 offset:64
	v_bitop3_b32 v2, v2, v8, v7 bitop3:0x80
	; wave barrier
	v_bitop3_b32 v2, v2, v4, v3 bitop3:0x80
	s_delay_alu instid0(VALU_DEP_1) | instskip(SKIP_1) | instid1(VALU_DEP_2)
	v_mbcnt_lo_u32_b32 v58, v2, 0
	v_cmp_ne_u32_e64 s3, 0, v2
	v_cmp_eq_u32_e32 vcc_lo, 0, v58
	s_and_b32 s4, s3, vcc_lo
	s_delay_alu instid0(SALU_CYCLE_1)
	s_and_saveexec_b32 s3, s4
	s_cbranch_execz .LBB1406_53
; %bb.52:
	s_wait_dscnt 0x0
	v_bcnt_u32_b32 v2, v2, v57
	ds_store_b32 v59, v2 offset:64
.LBB1406_53:
	s_or_b32 exec_lo, exec_lo, s3
	; wave barrier
	s_wait_dscnt 0x0
	s_barrier_signal -1
	s_barrier_wait -1
	ds_load_2addr_b32 v[8:9], v10 offset0:16 offset1:17
	ds_load_2addr_b32 v[6:7], v10 offset0:18 offset1:19
	;; [unrolled: 1-line block ×4, first 2 shown]
	ds_load_b32 v60, v10 offset:96
	v_min_u32_e32 v63, 0x1e0, v16
	s_mov_b32 s7, exec_lo
	s_wait_dscnt 0x3
	v_add3_u32 v61, v9, v8, v6
	s_wait_dscnt 0x2
	s_delay_alu instid0(VALU_DEP_1) | instskip(SKIP_1) | instid1(VALU_DEP_1)
	v_add3_u32 v61, v61, v7, v4
	s_wait_dscnt 0x1
	v_add3_u32 v61, v61, v5, v2
	s_wait_dscnt 0x0
	s_delay_alu instid0(VALU_DEP_1) | instskip(SKIP_1) | instid1(VALU_DEP_2)
	v_add3_u32 v60, v61, v3, v60
	v_and_b32_e32 v61, 15, v15
	v_mov_b32_dpp v62, v60 row_shr:1 row_mask:0xf bank_mask:0xf
	s_delay_alu instid0(VALU_DEP_2) | instskip(NEXT) | instid1(VALU_DEP_2)
	v_cmp_eq_u32_e32 vcc_lo, 0, v61
	v_cndmask_b32_e64 v62, v62, 0, vcc_lo
	s_delay_alu instid0(VALU_DEP_1) | instskip(SKIP_3) | instid1(VALU_DEP_4)
	v_add_nc_u32_e32 v60, v62, v60
	v_cmp_lt_u32_e64 s3, 1, v61
	v_cmp_lt_u32_e64 s4, 3, v61
	;; [unrolled: 1-line block ×3, first 2 shown]
	v_mov_b32_dpp v62, v60 row_shr:2 row_mask:0xf bank_mask:0xf
	s_delay_alu instid0(VALU_DEP_1) | instskip(NEXT) | instid1(VALU_DEP_1)
	v_cndmask_b32_e64 v62, 0, v62, s3
	v_add_nc_u32_e32 v60, v60, v62
	s_delay_alu instid0(VALU_DEP_1) | instskip(NEXT) | instid1(VALU_DEP_1)
	v_mov_b32_dpp v62, v60 row_shr:4 row_mask:0xf bank_mask:0xf
	v_cndmask_b32_e64 v62, 0, v62, s4
	s_delay_alu instid0(VALU_DEP_1) | instskip(NEXT) | instid1(VALU_DEP_1)
	v_add_nc_u32_e32 v60, v60, v62
	v_mov_b32_dpp v62, v60 row_shr:8 row_mask:0xf bank_mask:0xf
	s_delay_alu instid0(VALU_DEP_1) | instskip(SKIP_1) | instid1(VALU_DEP_2)
	v_cndmask_b32_e64 v61, 0, v62, s5
	v_bfe_i32 v62, v15, 4, 1
	v_add_nc_u32_e32 v60, v60, v61
	ds_swizzle_b32 v61, v60 offset:swizzle(BROADCAST,32,15)
	s_wait_dscnt 0x0
	v_dual_lshrrev_b32 v61, 5, v14 :: v_dual_bitop2_b32 v62, v62, v61 bitop3:0x40
	s_delay_alu instid0(VALU_DEP_1) | instskip(NEXT) | instid1(VALU_DEP_1)
	v_dual_add_nc_u32 v60, v60, v62 :: v_dual_bitop2_b32 v63, 31, v63 bitop3:0x54
	v_cmpx_eq_u32_e64 v14, v63
; %bb.54:
	s_delay_alu instid0(VALU_DEP_3)
	v_lshlrev_b32_e32 v62, 2, v61
	ds_store_b32 v62, v60
; %bb.55:
	s_or_b32 exec_lo, exec_lo, s7
	s_delay_alu instid0(SALU_CYCLE_1)
	s_mov_b32 s7, exec_lo
	s_wait_dscnt 0x0
	s_barrier_signal -1
	s_barrier_wait -1
	v_cmpx_gt_u32_e32 16, v14
	s_cbranch_execz .LBB1406_57
; %bb.56:
	v_lshlrev_b32_e32 v62, 2, v14
	ds_load_b32 v63, v62
	s_wait_dscnt 0x0
	v_mov_b32_dpp v64, v63 row_shr:1 row_mask:0xf bank_mask:0xf
	s_delay_alu instid0(VALU_DEP_1) | instskip(NEXT) | instid1(VALU_DEP_1)
	v_cndmask_b32_e64 v64, v64, 0, vcc_lo
	v_add_nc_u32_e32 v63, v64, v63
	s_delay_alu instid0(VALU_DEP_1) | instskip(NEXT) | instid1(VALU_DEP_1)
	v_mov_b32_dpp v64, v63 row_shr:2 row_mask:0xf bank_mask:0xf
	v_cndmask_b32_e64 v64, 0, v64, s3
	s_delay_alu instid0(VALU_DEP_1) | instskip(NEXT) | instid1(VALU_DEP_1)
	v_add_nc_u32_e32 v63, v63, v64
	v_mov_b32_dpp v64, v63 row_shr:4 row_mask:0xf bank_mask:0xf
	s_delay_alu instid0(VALU_DEP_1) | instskip(NEXT) | instid1(VALU_DEP_1)
	v_cndmask_b32_e64 v64, 0, v64, s4
	v_add_nc_u32_e32 v63, v63, v64
	s_delay_alu instid0(VALU_DEP_1) | instskip(NEXT) | instid1(VALU_DEP_1)
	v_mov_b32_dpp v64, v63 row_shr:8 row_mask:0xf bank_mask:0xf
	v_cndmask_b32_e64 v64, 0, v64, s5
	s_delay_alu instid0(VALU_DEP_1)
	v_add_nc_u32_e32 v63, v63, v64
	ds_store_b32 v62, v63
.LBB1406_57:
	s_or_b32 exec_lo, exec_lo, s7
	v_mov_b32_e32 v62, 0
	s_mov_b32 s3, exec_lo
	s_wait_dscnt 0x0
	s_barrier_signal -1
	s_barrier_wait -1
	v_cmpx_lt_u32_e32 31, v14
; %bb.58:
	v_lshl_add_u32 v61, v61, 2, -4
	ds_load_b32 v62, v61
; %bb.59:
	s_or_b32 exec_lo, exec_lo, s3
	v_sub_co_u32 v61, vcc_lo, v15, 1
	s_wait_dscnt 0x0
	v_add_nc_u32_e32 v60, v62, v60
	s_delay_alu instid0(VALU_DEP_2) | instskip(NEXT) | instid1(VALU_DEP_1)
	v_cmp_gt_i32_e64 s3, 0, v61
	v_cndmask_b32_e64 v61, v61, v15, s3
	v_cmp_lt_u32_e64 s3, 0xff, v14
	s_delay_alu instid0(VALU_DEP_2) | instskip(SKIP_4) | instid1(VALU_DEP_2)
	v_lshlrev_b32_e32 v61, 2, v61
	ds_bpermute_b32 v60, v61, v60
	s_wait_dscnt 0x0
	v_cndmask_b32_e32 v60, v60, v62, vcc_lo
	v_cmp_gt_u32_e32 vcc_lo, 0x100, v14
	v_cndmask_b32_e64 v60, v60, 0, s2
	s_delay_alu instid0(VALU_DEP_1) | instskip(NEXT) | instid1(VALU_DEP_1)
	v_add_nc_u32_e32 v8, v60, v8
	v_add_nc_u32_e32 v9, v8, v9
	s_delay_alu instid0(VALU_DEP_1) | instskip(NEXT) | instid1(VALU_DEP_1)
	v_add_nc_u32_e32 v6, v9, v6
	v_add_nc_u32_e32 v7, v6, v7
	;; [unrolled: 3-line block ×4, first 2 shown]
	ds_store_2addr_b32 v10, v60, v8 offset0:16 offset1:17
	ds_store_2addr_b32 v10, v9, v6 offset0:18 offset1:19
	ds_store_2addr_b32 v10, v7, v4 offset0:20 offset1:21
	ds_store_2addr_b32 v10, v5, v2 offset0:22 offset1:23
	ds_store_b32 v10, v3 offset:96
	s_wait_dscnt 0x0
	s_barrier_signal -1
	s_barrier_wait -1
	ds_load_b32 v63, v11 offset:64
	ds_load_b32 v60, v12 offset:64
	;; [unrolled: 1-line block ×12, first 2 shown]
	v_mov_b64_e32 v[2:3], 0
                                        ; implicit-def: $vgpr4
	s_and_saveexec_b32 s5, vcc_lo
	s_cbranch_execz .LBB1406_63
; %bb.60:
	v_mul_u32_u24_e32 v2, 0x44, v14
	v_dual_mov_b32 v3, 0x1800 :: v_dual_add_nc_u32 v4, 1, v14
	s_mov_b32 s6, exec_lo
	ds_load_b32 v2, v2 offset:64
	v_cmpx_ne_u32_e32 0x100, v4
; %bb.61:
	v_mul_u32_u24_e32 v3, 0x44, v4
	ds_load_b32 v3, v3 offset:64
; %bb.62:
	s_or_b32 exec_lo, exec_lo, s6
	s_wait_dscnt 0x0
	v_dual_mov_b32 v3, 0 :: v_dual_sub_nc_u32 v4, v3, v2
.LBB1406_63:
	s_or_b32 exec_lo, exec_lo, s5
	v_dual_mov_b32 v7, 0 :: v_dual_lshlrev_b32 v5, 3, v14
	s_wait_dscnt 0x0
	s_barrier_signal -1
	s_barrier_wait -1
	s_and_saveexec_b32 s4, vcc_lo
	s_cbranch_execz .LBB1406_73
; %bb.64:
	v_lshl_add_u32 v6, s23, 8, v14
	v_dual_mov_b32 v10, 0 :: v_dual_bitop2_b32 v11, 2.0, v4 bitop3:0x54
	s_mov_b32 s5, 0
	s_mov_b32 s6, s23
	s_delay_alu instid0(VALU_DEP_2)
	v_lshl_add_u64 v[8:9], v[6:7], 2, s[10:11]
	global_store_b32 v6, v11, s[10:11] scale_offset scope:SCOPE_DEV
                                        ; implicit-def: $sgpr7
	s_branch .LBB1406_67
.LBB1406_65:                            ;   in Loop: Header=BB1406_67 Depth=1
	s_or_b32 exec_lo, exec_lo, s8
.LBB1406_66:                            ;   in Loop: Header=BB1406_67 Depth=1
	s_delay_alu instid0(SALU_CYCLE_1) | instskip(SKIP_2) | instid1(VALU_DEP_2)
	s_or_b32 exec_lo, exec_lo, s7
	v_and_b32_e32 v6, 0x3fffffff, v11
	v_cmp_gt_i32_e64 s7, -2.0, v11
	v_add_nc_u32_e32 v10, v6, v10
	s_and_b32 s8, exec_lo, s7
	s_delay_alu instid0(SALU_CYCLE_1) | instskip(NEXT) | instid1(SALU_CYCLE_1)
	s_or_b32 s5, s8, s5
	s_and_not1_b32 exec_lo, exec_lo, s5
	s_cbranch_execz .LBB1406_72
.LBB1406_67:                            ; =>This Loop Header: Depth=1
                                        ;     Child Loop BB1406_70 Depth 2
	s_or_b32 s7, s7, exec_lo
	s_cmp_eq_u32 s6, 0
	s_cbranch_scc1 .LBB1406_71
; %bb.68:                               ;   in Loop: Header=BB1406_67 Depth=1
	s_add_co_i32 s6, s6, -1
	s_mov_b32 s7, exec_lo
	s_wait_xcnt 0x0
	v_lshl_or_b32 v6, s6, 8, v14
	global_load_b32 v11, v6, s[10:11] scale_offset scope:SCOPE_DEV
	s_wait_loadcnt 0x0
	v_cmpx_gt_u32_e32 2.0, v11
	s_cbranch_execz .LBB1406_66
; %bb.69:                               ;   in Loop: Header=BB1406_67 Depth=1
	v_lshl_add_u64 v[12:13], v[6:7], 2, s[10:11]
	s_mov_b32 s8, 0
.LBB1406_70:                            ;   Parent Loop BB1406_67 Depth=1
                                        ; =>  This Inner Loop Header: Depth=2
	global_load_b32 v11, v[12:13], off scope:SCOPE_DEV
	s_wait_loadcnt 0x0
	v_cmp_lt_u32_e32 vcc_lo, 0x3fffffff, v11
	s_or_b32 s8, vcc_lo, s8
	s_wait_xcnt 0x0
	s_and_not1_b32 exec_lo, exec_lo, s8
	s_cbranch_execnz .LBB1406_70
	s_branch .LBB1406_65
.LBB1406_71:                            ;   in Loop: Header=BB1406_67 Depth=1
                                        ; implicit-def: $sgpr6
	s_and_b32 s8, exec_lo, s7
	s_delay_alu instid0(SALU_CYCLE_1)
	s_or_b32 s5, s8, s5
	s_wait_xcnt 0x0
	s_and_not1_b32 exec_lo, exec_lo, s5
	s_cbranch_execnz .LBB1406_67
.LBB1406_72:
	s_or_b32 exec_lo, exec_lo, s5
	v_dual_mov_b32 v11, 0 :: v_dual_add_nc_u32 v6, v10, v4
	s_delay_alu instid0(VALU_DEP_1) | instskip(SKIP_4) | instid1(VALU_DEP_1)
	v_or_b32_e32 v6, 0x80000000, v6
	global_store_b32 v[8:9], v6, off scope:SCOPE_DEV
	global_load_b64 v[6:7], v14, s[12:13] scale_offset
	v_sub_nc_u64_e32 v[8:9], v[10:11], v[2:3]
	s_wait_loadcnt 0x0
	v_add_nc_u64_e32 v[6:7], v[8:9], v[6:7]
	ds_store_b64 v5, v[6:7]
.LBB1406_73:
	s_wait_xcnt 0x0
	s_or_b32 exec_lo, exec_lo, s4
	v_dual_lshlrev_b32 v6, 2, v14 :: v_dual_add_nc_u32 v8, v63, v20
	v_mov_b32_e32 v7, 0
	v_add3_u32 v10, v55, v53, v54
	v_add3_u32 v9, v58, v56, v57
	s_delay_alu instid0(VALU_DEP_4)
	v_sub_nc_u32_e32 v53, 0, v6
	v_add3_u32 v11, v52, v51, v50
	v_add_nc_u64_e32 v[6:7], s[18:19], v[6:7]
	v_add3_u32 v12, v49, v48, v47
	v_add3_u32 v13, v44, v45, v43
	v_add3_u32 v20, v40, v41, v39
	v_add3_u32 v33, v36, v33, v35
	v_add3_u32 v31, v32, v37, v31
	v_add3_u32 v28, v29, v62, v28
	v_add_nc_u64_e32 v[6:7], 0x3800, v[6:7]
	v_add3_u32 v25, v26, v61, v25
	v_add3_u32 v22, v23, v60, v22
	v_add_nc_u32_e32 v23, 0xe00, v14
	v_add_nc_u32_e32 v26, v5, v53
	s_mov_b32 s4, 0
	s_mov_b32 s5, -1
	s_branch .LBB1406_75
.LBB1406_74:                            ;   in Loop: Header=BB1406_75 Depth=1
	s_wait_xcnt 0x0
	s_or_b32 exec_lo, exec_lo, s6
	v_add_nc_u64_e32 v[6:7], 0x4000, v[6:7]
	v_add_nc_u32_e32 v23, 0x1000, v23
	s_xor_b32 s5, s5, -1
	s_addk_co_i32 s4, 0xf000
	s_and_b32 vcc_lo, exec_lo, s5
	s_mov_b32 s5, 0
	s_wait_storecnt 0x0
	s_barrier_signal -1
	s_barrier_wait -1
	s_cbranch_vccnz .LBB1406_91
.LBB1406_75:                            ; =>This Inner Loop Header: Depth=1
	v_add_min_u32_e64 v29, v8, s4, 0x1000
	v_add_min_u32_e64 v32, v22, s4, 0x1000
	;; [unrolled: 1-line block ×5, first 2 shown]
	s_delay_alu instid0(VALU_DEP_4) | instskip(NEXT) | instid1(VALU_DEP_4)
	v_dual_lshlrev_b32 v29, 2, v29 :: v_dual_lshlrev_b32 v32, 2, v32
	v_lshlrev_b32_e32 v35, 2, v35
	v_add_min_u32_e64 v39, v33, s4, 0x1000
	s_mov_b32 s6, exec_lo
	ds_store_b32 v29, v1 offset:2048
	ds_store_b32 v32, v17 offset:2048
	v_add_min_u32_e64 v29, v20, s4, 0x1000
	v_lshlrev_b32_e32 v32, 2, v36
	ds_store_b32 v35, v18 offset:2048
	v_dual_lshlrev_b32 v35, 2, v37 :: v_dual_lshlrev_b32 v36, 2, v39
	v_add_min_u32_e64 v37, v13, s4, 0x1000
	v_lshlrev_b32_e32 v29, 2, v29
	ds_store_b32 v32, v19 offset:2048
	ds_store_b32 v35, v21 offset:2048
	;; [unrolled: 1-line block ×4, first 2 shown]
	v_add_min_u32_e64 v32, v12, s4, 0x1000
	v_add_min_u32_e64 v35, v11, s4, 0x1000
	;; [unrolled: 1-line block ×3, first 2 shown]
	v_lshlrev_b32_e32 v29, 2, v37
	v_add_min_u32_e64 v37, v9, s4, 0x1000
	ds_store_b32 v29, v30 offset:2048
	v_dual_lshlrev_b32 v29, 2, v32 :: v_dual_lshlrev_b32 v32, 2, v35
	v_dual_lshlrev_b32 v35, 2, v36 :: v_dual_lshlrev_b32 v36, 2, v37
	v_add_nc_u32_e32 v37, 0xfffff200, v23
	ds_store_b32 v29, v34 offset:2048
	ds_store_b32 v32, v38 offset:2048
	;; [unrolled: 1-line block ×4, first 2 shown]
	s_wait_storecnt_dscnt 0x0
	s_barrier_signal -1
	s_barrier_wait -1
	v_cmpx_gt_u32_e64 s22, v37
	s_cbranch_execz .LBB1406_77
; %bb.76:                               ;   in Loop: Header=BB1406_75 Depth=1
	ds_load_b32 v29, v26 offset:2048
	s_wait_dscnt 0x0
	v_cmp_ne_u32_e32 vcc_lo, 0x7fffffff, v29
	v_cndmask_b32_e32 v32, 0x80000000, v29, vcc_lo
	v_cmp_lt_i32_e32 vcc_lo, -1, v29
	s_delay_alu instid0(VALU_DEP_2) | instskip(NEXT) | instid1(VALU_DEP_1)
	v_lshrrev_b32_e32 v32, s20, v32
	v_and_b32_e32 v32, s29, v32
	s_delay_alu instid0(VALU_DEP_1) | instskip(SKIP_2) | instid1(VALU_DEP_1)
	v_lshlrev_b32_e32 v32, 3, v32
	ds_load_b64 v[36:37], v32
	v_cndmask_b32_e64 v32, 0x80000000, -1, vcc_lo
	v_xor_b32_e32 v29, v32, v29
	s_wait_dscnt 0x0
	v_lshl_add_u64 v[36:37], v[36:37], 2, v[6:7]
	global_store_b32 v[36:37], v29, off offset:-14336
.LBB1406_77:                            ;   in Loop: Header=BB1406_75 Depth=1
	s_wait_xcnt 0x0
	s_or_b32 exec_lo, exec_lo, s6
	v_add_nc_u32_e32 v29, 0xfffff400, v23
	s_mov_b32 s6, exec_lo
	s_delay_alu instid0(VALU_DEP_1)
	v_cmpx_gt_u32_e64 s22, v29
	s_cbranch_execz .LBB1406_79
; %bb.78:                               ;   in Loop: Header=BB1406_75 Depth=1
	ds_load_b32 v29, v26 offset:4096
	s_wait_dscnt 0x0
	v_cmp_ne_u32_e32 vcc_lo, 0x7fffffff, v29
	v_cndmask_b32_e32 v32, 0x80000000, v29, vcc_lo
	v_cmp_lt_i32_e32 vcc_lo, -1, v29
	s_delay_alu instid0(VALU_DEP_2) | instskip(NEXT) | instid1(VALU_DEP_1)
	v_lshrrev_b32_e32 v32, s20, v32
	v_and_b32_e32 v32, s29, v32
	s_delay_alu instid0(VALU_DEP_1) | instskip(SKIP_2) | instid1(VALU_DEP_1)
	v_lshlrev_b32_e32 v32, 3, v32
	ds_load_b64 v[36:37], v32
	v_cndmask_b32_e64 v32, 0x80000000, -1, vcc_lo
	v_xor_b32_e32 v29, v32, v29
	s_wait_dscnt 0x0
	v_lshl_add_u64 v[36:37], v[36:37], 2, v[6:7]
	global_store_b32 v[36:37], v29, off offset:-12288
.LBB1406_79:                            ;   in Loop: Header=BB1406_75 Depth=1
	s_wait_xcnt 0x0
	s_or_b32 exec_lo, exec_lo, s6
	v_add_nc_u32_e32 v29, 0xfffff600, v23
	s_mov_b32 s6, exec_lo
	s_delay_alu instid0(VALU_DEP_1)
	;; [unrolled: 25-line block ×6, first 2 shown]
	v_cmpx_gt_u32_e64 s22, v29
	s_cbranch_execz .LBB1406_89
; %bb.88:                               ;   in Loop: Header=BB1406_75 Depth=1
	ds_load_b32 v29, v26 offset:14336
	s_wait_dscnt 0x0
	v_cmp_ne_u32_e32 vcc_lo, 0x7fffffff, v29
	v_cndmask_b32_e32 v32, 0x80000000, v29, vcc_lo
	v_cmp_lt_i32_e32 vcc_lo, -1, v29
	s_delay_alu instid0(VALU_DEP_2) | instskip(NEXT) | instid1(VALU_DEP_1)
	v_lshrrev_b32_e32 v32, s20, v32
	v_and_b32_e32 v32, s29, v32
	s_delay_alu instid0(VALU_DEP_1) | instskip(SKIP_2) | instid1(VALU_DEP_1)
	v_lshlrev_b32_e32 v32, 3, v32
	ds_load_b64 v[36:37], v32
	v_cndmask_b32_e64 v32, 0x80000000, -1, vcc_lo
	v_xor_b32_e32 v29, v32, v29
	s_wait_dscnt 0x0
	v_lshl_add_u64 v[36:37], v[36:37], 2, v[6:7]
	global_store_b32 v[36:37], v29, off offset:-2048
.LBB1406_89:                            ;   in Loop: Header=BB1406_75 Depth=1
	s_wait_xcnt 0x0
	s_or_b32 exec_lo, exec_lo, s6
	s_delay_alu instid0(SALU_CYCLE_1)
	s_mov_b32 s6, exec_lo
	v_cmpx_gt_u32_e64 s22, v23
	s_cbranch_execz .LBB1406_74
; %bb.90:                               ;   in Loop: Header=BB1406_75 Depth=1
	ds_load_b32 v29, v26 offset:16384
	s_wait_dscnt 0x0
	v_cmp_ne_u32_e32 vcc_lo, 0x7fffffff, v29
	v_cndmask_b32_e32 v32, 0x80000000, v29, vcc_lo
	v_cmp_lt_i32_e32 vcc_lo, -1, v29
	s_delay_alu instid0(VALU_DEP_2) | instskip(NEXT) | instid1(VALU_DEP_1)
	v_lshrrev_b32_e32 v32, s20, v32
	v_and_b32_e32 v32, s29, v32
	s_delay_alu instid0(VALU_DEP_1) | instskip(SKIP_2) | instid1(VALU_DEP_1)
	v_lshlrev_b32_e32 v32, 3, v32
	ds_load_b64 v[36:37], v32
	v_cndmask_b32_e64 v32, 0x80000000, -1, vcc_lo
	v_xor_b32_e32 v29, v32, v29
	s_wait_dscnt 0x0
	v_lshl_add_u64 v[36:37], v[36:37], 2, v[6:7]
	global_store_b32 v[36:37], v29, off
	s_branch .LBB1406_74
.LBB1406_91:
	s_add_co_i32 s25, s25, -1
	s_delay_alu instid0(SALU_CYCLE_1) | instskip(SKIP_2) | instid1(SALU_CYCLE_1)
	s_cmp_eq_u32 s23, s25
	s_cselect_b32 s4, -1, 0
	s_xor_b32 s3, s3, -1
	s_and_b32 s4, s3, s4
	s_delay_alu instid0(SALU_CYCLE_1)
	s_and_saveexec_b32 s3, s4
	s_cbranch_execz .LBB1406_93
; %bb.92:
	ds_load_b64 v[6:7], v5
	v_mov_b32_e32 v5, 0
	s_delay_alu instid0(VALU_DEP_1) | instskip(SKIP_1) | instid1(VALU_DEP_1)
	v_add_nc_u64_e32 v[2:3], v[2:3], v[4:5]
	s_wait_dscnt 0x0
	v_add_nc_u64_e32 v[2:3], v[2:3], v[6:7]
	global_store_b64 v14, v[2:3], s[14:15] scale_offset
.LBB1406_93:
	s_wait_xcnt 0x0
	s_or_b32 exec_lo, exec_lo, s3
	s_mov_b32 s4, 0
.LBB1406_94:
	s_delay_alu instid0(SALU_CYCLE_1)
	s_and_b32 vcc_lo, exec_lo, s4
	s_cbranch_vccz .LBB1406_153
; %bb.95:
	s_mov_b32 s25, 0
	v_dual_mov_b32 v11, 0 :: v_dual_lshlrev_b32 v10, 2, v15
	s_lshl_b64 s[4:5], s[24:25], 2
	v_mul_u32_u24_e32 v1, 12, v16
	s_add_nc_u64 s[4:5], s[16:17], s[4:5]
	s_bfe_u32 s3, ttmp6, 0x4000c
	v_add_nc_u64_e32 v[2:3], s[4:5], v[10:11]
	s_add_co_i32 s3, s3, 1
	v_lshlrev_b32_e32 v10, 2, v1
	s_and_b32 s4, ttmp6, 15
	s_mul_i32 s3, ttmp9, s3
	s_delay_alu instid0(SALU_CYCLE_1) | instskip(NEXT) | instid1(VALU_DEP_1)
	s_add_co_i32 s4, s4, s3
	v_add_nc_u64_e32 v[18:19], v[2:3], v[10:11]
	s_cmp_eq_u32 s28, 0
	s_clause 0xb
	global_load_b32 v5, v[18:19], off
	global_load_b32 v12, v[18:19], off offset:128
	global_load_b32 v13, v[18:19], off offset:256
	;; [unrolled: 1-line block ×11, first 2 shown]
	s_load_b32 s8, s[0:1], 0x58
	s_cselect_b32 s3, ttmp9, s4
	s_load_u16 s4, s[0:1], 0x66
	s_wait_kmcnt 0x0
	s_cmp_lt_u32 s3, s8
	s_cselect_b32 s24, 12, 18
	s_lshl_b32 s9, -1, s21
	s_add_nc_u64 s[0:1], s[26:27], s[24:25]
	s_load_u16 s0, s[0:1], 0x0
	s_wait_loadcnt 0xb
	v_cmp_lt_i32_e32 vcc_lo, -1, v5
	v_cndmask_b32_e64 v10, -1, 0x80000000, vcc_lo
	s_delay_alu instid0(VALU_DEP_1) | instskip(SKIP_2) | instid1(VALU_DEP_3)
	v_xor_b32_e32 v17, v10, v5
	v_bfe_u32 v10, v0, 10, 10
	v_bfe_u32 v0, v0, 20, 10
	v_cmp_ne_u32_e32 vcc_lo, 0x7fffffff, v17
	s_delay_alu instid0(VALU_DEP_2) | instskip(SKIP_2) | instid1(VALU_DEP_2)
	v_mad_u32_u24 v0, v0, s4, v10
	v_cndmask_b32_e32 v5, 0x80000000, v17, vcc_lo
	s_wait_kmcnt 0x0
	v_mad_u32 v0, v0, s0, v14
	s_delay_alu instid0(VALU_DEP_2) | instskip(NEXT) | instid1(VALU_DEP_1)
	v_lshrrev_b32_e32 v5, s20, v5
	v_bitop3_b32 v10, v5, 1, s9 bitop3:0x40
	v_bitop3_b32 v19, v5, s9, v5 bitop3:0x30
	s_not_b32 s9, s9
	s_delay_alu instid0(VALU_DEP_4) | instskip(NEXT) | instid1(VALU_DEP_3)
	v_lshrrev_b32_e32 v0, 5, v0
	v_add_co_u32 v5, s0, v10, -1
	s_delay_alu instid0(VALU_DEP_1) | instskip(SKIP_2) | instid1(VALU_DEP_3)
	v_cndmask_b32_e64 v10, 0, 1, s0
	v_dual_lshlrev_b32 v18, 30, v19 :: v_dual_lshlrev_b32 v21, 29, v19
	v_dual_lshlrev_b32 v23, 27, v19 :: v_dual_lshlrev_b32 v22, 28, v19
	v_cmp_ne_u32_e32 vcc_lo, 0, v10
	s_delay_alu instid0(VALU_DEP_3)
	v_not_b32_e32 v10, v18
	v_dual_lshlrev_b32 v24, 26, v19 :: v_dual_lshlrev_b32 v25, 25, v19
	v_lshlrev_b32_e32 v26, 24, v19
	v_cmp_gt_i32_e64 s0, 0, v18
	v_cmp_gt_i32_e64 s1, 0, v21
	v_not_b32_e32 v18, v21
	v_not_b32_e32 v21, v22
	v_ashrrev_i32_e32 v10, 31, v10
	v_cmp_gt_i32_e64 s3, 0, v22
	v_cmp_gt_i32_e64 s4, 0, v23
	v_not_b32_e32 v22, v23
	v_not_b32_e32 v23, v24
	v_dual_ashrrev_i32 v18, 31, v18 :: v_dual_bitop2_b32 v5, vcc_lo, v5 bitop3:0x14
	v_dual_ashrrev_i32 v21, 31, v21 :: v_dual_bitop2_b32 v10, s0, v10 bitop3:0x14
	v_cmp_gt_i32_e64 s5, 0, v24
	v_cmp_gt_i32_e64 s6, 0, v25
	v_not_b32_e32 v24, v25
	v_not_b32_e32 v25, v26
	v_dual_ashrrev_i32 v22, 31, v22 :: v_dual_ashrrev_i32 v23, 31, v23
	v_xor_b32_e32 v18, s1, v18
	v_xor_b32_e32 v21, s3, v21
	v_bitop3_b32 v5, v5, v10, exec_lo bitop3:0x80
	v_cmp_gt_i32_e64 s7, 0, v26
	v_dual_ashrrev_i32 v10, 31, v24 :: v_dual_ashrrev_i32 v24, 31, v25
	v_xor_b32_e32 v22, s4, v22
	v_dual_lshlrev_b32 v0, 2, v0 :: v_dual_bitop2_b32 v23, s5, v23 bitop3:0x14
	v_bitop3_b32 v5, v5, v21, v18 bitop3:0x80
	s_delay_alu instid0(VALU_DEP_4)
	v_xor_b32_e32 v18, s6, v10
	v_xor_b32_e32 v21, s7, v24
	v_mul_u32_u24_e32 v10, 36, v14
	ds_store_2addr_b32 v10, v11, v11 offset0:16 offset1:17
	ds_store_2addr_b32 v10, v11, v11 offset0:18 offset1:19
	;; [unrolled: 1-line block ×4, first 2 shown]
	v_bitop3_b32 v5, v5, v23, v22 bitop3:0x80
	ds_store_b32 v10, v11 offset:96
	v_mad_u32 v11, 0x44, v19, v0
	s_wait_storecnt 0x0
	s_wait_loadcnt_dscnt 0x0
	s_barrier_signal -1
	v_bitop3_b32 v18, v5, v21, v18 bitop3:0x80
	s_barrier_wait -1
	; wave barrier
	s_delay_alu instid0(VALU_DEP_1) | instskip(SKIP_1) | instid1(VALU_DEP_2)
	v_mbcnt_lo_u32_b32 v5, v18, 0
	v_cmp_ne_u32_e64 s0, 0, v18
	v_cmp_eq_u32_e32 vcc_lo, 0, v5
	s_and_b32 s1, s0, vcc_lo
	s_delay_alu instid0(SALU_CYCLE_1)
	s_and_saveexec_b32 s0, s1
; %bb.96:
	v_bcnt_u32_b32 v18, v18, 0
	ds_store_b32 v11, v18 offset:64
; %bb.97:
	s_or_b32 exec_lo, exec_lo, s0
	v_cmp_lt_i32_e32 vcc_lo, -1, v12
	; wave barrier
	v_cndmask_b32_e64 v18, -1, 0x80000000, vcc_lo
	s_delay_alu instid0(VALU_DEP_1) | instskip(NEXT) | instid1(VALU_DEP_1)
	v_xor_b32_e32 v18, v18, v12
	v_cmp_ne_u32_e32 vcc_lo, 0x7fffffff, v18
	v_cndmask_b32_e32 v12, 0x80000000, v18, vcc_lo
	s_delay_alu instid0(VALU_DEP_1) | instskip(NEXT) | instid1(VALU_DEP_1)
	v_lshrrev_b32_e32 v12, s20, v12
	v_bitop3_b32 v21, v12, 1, s9 bitop3:0x80
	v_and_b32_e32 v19, s9, v12
	s_delay_alu instid0(VALU_DEP_2) | instskip(NEXT) | instid1(VALU_DEP_1)
	v_add_co_u32 v21, s0, v21, -1
	v_cndmask_b32_e64 v22, 0, 1, s0
	s_delay_alu instid0(VALU_DEP_3) | instskip(NEXT) | instid1(VALU_DEP_2)
	v_lshlrev_b32_e32 v23, 30, v19
	v_cmp_ne_u32_e32 vcc_lo, 0, v22
	s_delay_alu instid0(VALU_DEP_2) | instskip(SKIP_1) | instid1(VALU_DEP_2)
	v_not_b32_e32 v22, v23
	v_cmp_gt_i32_e64 s0, 0, v23
	v_dual_ashrrev_i32 v22, 31, v22 :: v_dual_lshlrev_b32 v24, 29, v19
	v_dual_lshlrev_b32 v25, 28, v19 :: v_dual_lshlrev_b32 v26, 27, v19
	v_lshlrev_b32_e32 v27, 26, v19
	v_mad_u32 v12, 0x44, v19, v0
	s_delay_alu instid0(VALU_DEP_4)
	v_cmp_gt_i32_e64 s1, 0, v24
	v_not_b32_e32 v23, v24
	v_not_b32_e32 v24, v25
	v_dual_lshlrev_b32 v28, 25, v19 :: v_dual_lshlrev_b32 v19, 24, v19
	v_cmp_gt_i32_e64 s3, 0, v25
	v_cmp_gt_i32_e64 s4, 0, v26
	v_not_b32_e32 v25, v26
	v_not_b32_e32 v26, v27
	v_dual_ashrrev_i32 v23, 31, v23 :: v_dual_bitop2_b32 v21, vcc_lo, v21 bitop3:0x14
	v_dual_ashrrev_i32 v24, 31, v24 :: v_dual_bitop2_b32 v22, s0, v22 bitop3:0x14
	v_cmp_gt_i32_e64 s5, 0, v27
	v_not_b32_e32 v27, v28
	v_cmp_gt_i32_e64 s7, 0, v19
	v_not_b32_e32 v19, v19
	v_dual_ashrrev_i32 v25, 31, v25 :: v_dual_ashrrev_i32 v26, 31, v26
	v_xor_b32_e32 v23, s1, v23
	v_xor_b32_e32 v24, s3, v24
	v_bitop3_b32 v21, v21, v22, exec_lo bitop3:0x80
	v_cmp_gt_i32_e64 s6, 0, v28
	v_ashrrev_i32_e32 v22, 31, v27
	v_dual_ashrrev_i32 v19, 31, v19 :: v_dual_bitop2_b32 v25, s4, v25 bitop3:0x14
	v_xor_b32_e32 v26, s5, v26
	v_bitop3_b32 v21, v21, v24, v23 bitop3:0x80
	s_delay_alu instid0(VALU_DEP_4) | instskip(NEXT) | instid1(VALU_DEP_4)
	v_xor_b32_e32 v23, s6, v22
	v_xor_b32_e32 v19, s7, v19
	ds_load_b32 v22, v12 offset:64
	v_bitop3_b32 v21, v21, v26, v25 bitop3:0x80
	; wave barrier
	s_delay_alu instid0(VALU_DEP_1) | instskip(NEXT) | instid1(VALU_DEP_1)
	v_bitop3_b32 v19, v21, v19, v23 bitop3:0x80
	v_mbcnt_lo_u32_b32 v23, v19, 0
	v_cmp_ne_u32_e64 s0, 0, v19
	s_delay_alu instid0(VALU_DEP_2) | instskip(SKIP_1) | instid1(SALU_CYCLE_1)
	v_cmp_eq_u32_e32 vcc_lo, 0, v23
	s_and_b32 s1, s0, vcc_lo
	s_and_saveexec_b32 s0, s1
	s_cbranch_execz .LBB1406_99
; %bb.98:
	s_wait_dscnt 0x0
	v_bcnt_u32_b32 v19, v19, v22
	ds_store_b32 v12, v19 offset:64
.LBB1406_99:
	s_or_b32 exec_lo, exec_lo, s0
	v_cmp_lt_i32_e32 vcc_lo, -1, v13
	; wave barrier
	v_cndmask_b32_e64 v19, -1, 0x80000000, vcc_lo
	s_delay_alu instid0(VALU_DEP_1) | instskip(NEXT) | instid1(VALU_DEP_1)
	v_xor_b32_e32 v19, v19, v13
	v_cmp_ne_u32_e32 vcc_lo, 0x7fffffff, v19
	v_cndmask_b32_e32 v13, 0x80000000, v19, vcc_lo
	s_delay_alu instid0(VALU_DEP_1) | instskip(NEXT) | instid1(VALU_DEP_1)
	v_lshrrev_b32_e32 v13, s20, v13
	v_bitop3_b32 v24, v13, 1, s9 bitop3:0x80
	v_and_b32_e32 v21, s9, v13
	s_delay_alu instid0(VALU_DEP_2) | instskip(NEXT) | instid1(VALU_DEP_1)
	v_add_co_u32 v24, s0, v24, -1
	v_cndmask_b32_e64 v25, 0, 1, s0
	s_delay_alu instid0(VALU_DEP_3) | instskip(NEXT) | instid1(VALU_DEP_2)
	v_dual_lshlrev_b32 v26, 30, v21 :: v_dual_lshlrev_b32 v27, 29, v21
	v_cmp_ne_u32_e32 vcc_lo, 0, v25
	s_delay_alu instid0(VALU_DEP_2) | instskip(SKIP_1) | instid1(VALU_DEP_4)
	v_cmp_gt_i32_e64 s0, 0, v26
	v_not_b32_e32 v25, v26
	v_not_b32_e32 v26, v27
	s_delay_alu instid0(VALU_DEP_2) | instskip(NEXT) | instid1(VALU_DEP_2)
	v_dual_ashrrev_i32 v25, 31, v25 :: v_dual_bitop2_b32 v24, vcc_lo, v24 bitop3:0x14
	v_dual_ashrrev_i32 v26, 31, v26 :: v_dual_lshlrev_b32 v28, 28, v21
	v_dual_lshlrev_b32 v29, 27, v21 :: v_dual_lshlrev_b32 v30, 26, v21
	v_cmp_gt_i32_e64 s1, 0, v27
	v_mad_u32 v13, 0x44, v21, v0
	s_delay_alu instid0(VALU_DEP_4)
	v_not_b32_e32 v27, v28
	v_dual_lshlrev_b32 v31, 25, v21 :: v_dual_lshlrev_b32 v21, 24, v21
	v_cmp_gt_i32_e64 s3, 0, v28
	v_cmp_gt_i32_e64 s4, 0, v29
	v_not_b32_e32 v28, v29
	v_not_b32_e32 v29, v30
	v_dual_ashrrev_i32 v27, 31, v27 :: v_dual_bitop2_b32 v25, s0, v25 bitop3:0x14
	v_cmp_gt_i32_e64 s5, 0, v30
	v_not_b32_e32 v30, v31
	v_cmp_gt_i32_e64 s7, 0, v21
	v_not_b32_e32 v21, v21
	v_dual_ashrrev_i32 v28, 31, v28 :: v_dual_ashrrev_i32 v29, 31, v29
	v_xor_b32_e32 v26, s1, v26
	v_xor_b32_e32 v27, s3, v27
	v_bitop3_b32 v24, v24, v25, exec_lo bitop3:0x80
	v_cmp_gt_i32_e64 s6, 0, v31
	v_dual_ashrrev_i32 v25, 31, v30 :: v_dual_ashrrev_i32 v21, 31, v21
	v_xor_b32_e32 v28, s4, v28
	v_xor_b32_e32 v29, s5, v29
	v_bitop3_b32 v24, v24, v27, v26 bitop3:0x80
	s_delay_alu instid0(VALU_DEP_4) | instskip(SKIP_3) | instid1(VALU_DEP_1)
	v_xor_b32_e32 v26, s6, v25
	v_xor_b32_e32 v21, s7, v21
	ds_load_b32 v25, v13 offset:64
	v_bitop3_b32 v24, v24, v29, v28 bitop3:0x80
	; wave barrier
	v_bitop3_b32 v21, v24, v21, v26 bitop3:0x80
	s_delay_alu instid0(VALU_DEP_1) | instskip(SKIP_1) | instid1(VALU_DEP_2)
	v_mbcnt_lo_u32_b32 v26, v21, 0
	v_cmp_ne_u32_e64 s0, 0, v21
	v_cmp_eq_u32_e32 vcc_lo, 0, v26
	s_and_b32 s1, s0, vcc_lo
	s_delay_alu instid0(SALU_CYCLE_1)
	s_and_saveexec_b32 s0, s1
	s_cbranch_execz .LBB1406_101
; %bb.100:
	s_wait_dscnt 0x0
	v_bcnt_u32_b32 v21, v21, v25
	ds_store_b32 v13, v21 offset:64
.LBB1406_101:
	s_or_b32 exec_lo, exec_lo, s0
	v_cmp_lt_i32_e32 vcc_lo, -1, v20
	; wave barrier
	v_cndmask_b32_e64 v21, -1, 0x80000000, vcc_lo
	s_delay_alu instid0(VALU_DEP_1) | instskip(NEXT) | instid1(VALU_DEP_1)
	v_xor_b32_e32 v20, v21, v20
	v_cmp_ne_u32_e32 vcc_lo, 0x7fffffff, v20
	v_cndmask_b32_e32 v21, 0x80000000, v20, vcc_lo
	s_delay_alu instid0(VALU_DEP_1) | instskip(NEXT) | instid1(VALU_DEP_1)
	v_lshrrev_b32_e32 v21, s20, v21
	v_and_b32_e32 v24, s9, v21
	v_bitop3_b32 v21, v21, 1, s9 bitop3:0x80
	s_delay_alu instid0(VALU_DEP_2) | instskip(NEXT) | instid1(VALU_DEP_2)
	v_lshlrev_b32_e32 v28, 30, v24
	v_add_co_u32 v21, s0, v21, -1
	s_delay_alu instid0(VALU_DEP_1) | instskip(NEXT) | instid1(VALU_DEP_1)
	v_cndmask_b32_e64 v27, 0, 1, s0
	v_cmp_ne_u32_e32 vcc_lo, 0, v27
	s_delay_alu instid0(VALU_DEP_4) | instskip(NEXT) | instid1(VALU_DEP_1)
	v_not_b32_e32 v27, v28
	v_dual_ashrrev_i32 v27, 31, v27 :: v_dual_bitop2_b32 v21, vcc_lo, v21 bitop3:0x14
	v_dual_lshlrev_b32 v29, 29, v24 :: v_dual_lshlrev_b32 v30, 28, v24
	v_lshlrev_b32_e32 v31, 27, v24
	v_mad_u32 v33, 0x44, v24, v0
	v_dual_lshlrev_b32 v32, 26, v24 :: v_dual_lshlrev_b32 v34, 25, v24
	v_lshlrev_b32_e32 v24, 24, v24
	v_cmp_gt_i32_e64 s0, 0, v28
	v_cmp_gt_i32_e64 s1, 0, v29
	v_not_b32_e32 v28, v29
	v_not_b32_e32 v29, v30
	v_cmp_gt_i32_e64 s3, 0, v30
	v_cmp_gt_i32_e64 s4, 0, v31
	v_not_b32_e32 v30, v31
	v_not_b32_e32 v31, v32
	v_cmp_gt_i32_e64 s7, 0, v24
	v_not_b32_e32 v24, v24
	v_dual_ashrrev_i32 v28, 31, v28 :: v_dual_ashrrev_i32 v29, 31, v29
	v_xor_b32_e32 v27, s0, v27
	v_cmp_gt_i32_e64 s5, 0, v32
	v_not_b32_e32 v32, v34
	v_dual_ashrrev_i32 v30, 31, v30 :: v_dual_ashrrev_i32 v31, 31, v31
	v_xor_b32_e32 v28, s1, v28
	v_dual_ashrrev_i32 v24, 31, v24 :: v_dual_bitop2_b32 v29, s3, v29 bitop3:0x14
	v_bitop3_b32 v21, v21, v27, exec_lo bitop3:0x80
	v_cmp_gt_i32_e64 s6, 0, v34
	v_dual_ashrrev_i32 v27, 31, v32 :: v_dual_bitop2_b32 v30, s4, v30 bitop3:0x14
	v_xor_b32_e32 v31, s5, v31
	s_delay_alu instid0(VALU_DEP_4) | instskip(SKIP_1) | instid1(VALU_DEP_4)
	v_bitop3_b32 v21, v21, v29, v28 bitop3:0x80
	v_xor_b32_e32 v24, s7, v24
	v_xor_b32_e32 v27, s6, v27
	ds_load_b32 v28, v33 offset:64
	v_bitop3_b32 v21, v21, v31, v30 bitop3:0x80
	; wave barrier
	s_delay_alu instid0(VALU_DEP_1) | instskip(NEXT) | instid1(VALU_DEP_1)
	v_bitop3_b32 v21, v21, v24, v27 bitop3:0x80
	v_mbcnt_lo_u32_b32 v29, v21, 0
	v_cmp_ne_u32_e64 s0, 0, v21
	s_delay_alu instid0(VALU_DEP_2) | instskip(SKIP_1) | instid1(SALU_CYCLE_1)
	v_cmp_eq_u32_e32 vcc_lo, 0, v29
	s_and_b32 s1, s0, vcc_lo
	s_and_saveexec_b32 s0, s1
	s_cbranch_execz .LBB1406_103
; %bb.102:
	s_wait_dscnt 0x0
	v_bcnt_u32_b32 v21, v21, v28
	ds_store_b32 v33, v21 offset:64
.LBB1406_103:
	s_or_b32 exec_lo, exec_lo, s0
	v_cmp_lt_i32_e32 vcc_lo, -1, v9
	; wave barrier
	v_cndmask_b32_e64 v21, -1, 0x80000000, vcc_lo
	s_delay_alu instid0(VALU_DEP_1) | instskip(NEXT) | instid1(VALU_DEP_1)
	v_xor_b32_e32 v21, v21, v9
	v_cmp_ne_u32_e32 vcc_lo, 0x7fffffff, v21
	v_cndmask_b32_e32 v9, 0x80000000, v21, vcc_lo
	s_delay_alu instid0(VALU_DEP_1) | instskip(NEXT) | instid1(VALU_DEP_1)
	v_lshrrev_b32_e32 v9, s20, v9
	v_and_b32_e32 v24, s9, v9
	v_bitop3_b32 v9, v9, 1, s9 bitop3:0x80
	s_delay_alu instid0(VALU_DEP_2) | instskip(NEXT) | instid1(VALU_DEP_2)
	v_lshlrev_b32_e32 v30, 30, v24
	v_add_co_u32 v9, s0, v9, -1
	s_delay_alu instid0(VALU_DEP_1) | instskip(NEXT) | instid1(VALU_DEP_3)
	v_cndmask_b32_e64 v27, 0, 1, s0
	v_cmp_gt_i32_e64 s0, 0, v30
	s_delay_alu instid0(VALU_DEP_2) | instskip(SKIP_1) | instid1(VALU_DEP_1)
	v_cmp_ne_u32_e32 vcc_lo, 0, v27
	v_not_b32_e32 v27, v30
	v_dual_ashrrev_i32 v27, 31, v27 :: v_dual_lshlrev_b32 v31, 29, v24
	v_dual_lshlrev_b32 v32, 28, v24 :: v_dual_lshlrev_b32 v34, 27, v24
	v_lshlrev_b32_e32 v35, 26, v24
	v_mad_u32 v37, 0x44, v24, v0
	s_delay_alu instid0(VALU_DEP_4)
	v_cmp_gt_i32_e64 s1, 0, v31
	v_not_b32_e32 v30, v31
	v_not_b32_e32 v31, v32
	v_dual_lshlrev_b32 v36, 25, v24 :: v_dual_lshlrev_b32 v24, 24, v24
	v_cmp_gt_i32_e64 s3, 0, v32
	v_cmp_gt_i32_e64 s4, 0, v34
	v_not_b32_e32 v32, v34
	v_not_b32_e32 v34, v35
	v_dual_ashrrev_i32 v30, 31, v30 :: v_dual_bitop2_b32 v9, vcc_lo, v9 bitop3:0x14
	s_delay_alu instid0(VALU_DEP_3) | instskip(NEXT) | instid1(VALU_DEP_3)
	v_dual_ashrrev_i32 v31, 31, v31 :: v_dual_ashrrev_i32 v32, 31, v32
	v_dual_ashrrev_i32 v34, 31, v34 :: v_dual_bitop2_b32 v27, s0, v27 bitop3:0x14
	v_cmp_gt_i32_e64 s5, 0, v35
	v_not_b32_e32 v35, v36
	v_cmp_gt_i32_e64 s7, 0, v24
	v_not_b32_e32 v24, v24
	v_xor_b32_e32 v30, s1, v30
	v_xor_b32_e32 v31, s3, v31
	v_bitop3_b32 v9, v9, v27, exec_lo bitop3:0x80
	v_cmp_gt_i32_e64 s6, 0, v36
	v_dual_ashrrev_i32 v27, 31, v35 :: v_dual_ashrrev_i32 v24, 31, v24
	v_xor_b32_e32 v32, s4, v32
	v_xor_b32_e32 v34, s5, v34
	v_bitop3_b32 v9, v9, v31, v30 bitop3:0x80
	s_delay_alu instid0(VALU_DEP_4) | instskip(SKIP_3) | instid1(VALU_DEP_1)
	v_xor_b32_e32 v27, s6, v27
	v_xor_b32_e32 v24, s7, v24
	ds_load_b32 v31, v37 offset:64
	v_bitop3_b32 v9, v9, v34, v32 bitop3:0x80
	; wave barrier
	v_bitop3_b32 v9, v9, v24, v27 bitop3:0x80
	s_delay_alu instid0(VALU_DEP_1) | instskip(SKIP_1) | instid1(VALU_DEP_2)
	v_mbcnt_lo_u32_b32 v32, v9, 0
	v_cmp_ne_u32_e64 s0, 0, v9
	v_cmp_eq_u32_e32 vcc_lo, 0, v32
	s_and_b32 s1, s0, vcc_lo
	s_delay_alu instid0(SALU_CYCLE_1)
	s_and_saveexec_b32 s0, s1
	s_cbranch_execz .LBB1406_105
; %bb.104:
	s_wait_dscnt 0x0
	v_bcnt_u32_b32 v9, v9, v31
	ds_store_b32 v37, v9 offset:64
.LBB1406_105:
	s_or_b32 exec_lo, exec_lo, s0
	v_cmp_lt_i32_e32 vcc_lo, -1, v8
	; wave barrier
	v_cndmask_b32_e64 v9, -1, 0x80000000, vcc_lo
	s_delay_alu instid0(VALU_DEP_1) | instskip(NEXT) | instid1(VALU_DEP_1)
	v_xor_b32_e32 v24, v9, v8
	v_cmp_ne_u32_e32 vcc_lo, 0x7fffffff, v24
	v_cndmask_b32_e32 v8, 0x80000000, v24, vcc_lo
	s_delay_alu instid0(VALU_DEP_1) | instskip(NEXT) | instid1(VALU_DEP_1)
	v_lshrrev_b32_e32 v8, s20, v8
	v_and_b32_e32 v9, s9, v8
	v_bitop3_b32 v8, v8, 1, s9 bitop3:0x80
	s_delay_alu instid0(VALU_DEP_2) | instskip(NEXT) | instid1(VALU_DEP_2)
	v_lshlrev_b32_e32 v30, 30, v9
	v_add_co_u32 v8, s0, v8, -1
	s_delay_alu instid0(VALU_DEP_1) | instskip(NEXT) | instid1(VALU_DEP_1)
	v_cndmask_b32_e64 v27, 0, 1, s0
	v_cmp_ne_u32_e32 vcc_lo, 0, v27
	s_delay_alu instid0(VALU_DEP_4) | instskip(NEXT) | instid1(VALU_DEP_1)
	v_not_b32_e32 v27, v30
	v_dual_ashrrev_i32 v27, 31, v27 :: v_dual_lshlrev_b32 v34, 29, v9
	v_dual_lshlrev_b32 v35, 28, v9 :: v_dual_lshlrev_b32 v36, 27, v9
	v_lshlrev_b32_e32 v38, 26, v9
	v_cmp_gt_i32_e64 s0, 0, v30
	s_delay_alu instid0(VALU_DEP_4)
	v_cmp_gt_i32_e64 s1, 0, v34
	v_not_b32_e32 v30, v34
	v_not_b32_e32 v34, v35
	v_mad_u32 v41, 0x44, v9, v0
	v_dual_lshlrev_b32 v39, 25, v9 :: v_dual_lshlrev_b32 v9, 24, v9
	v_cmp_gt_i32_e64 s3, 0, v35
	v_cmp_gt_i32_e64 s4, 0, v36
	v_not_b32_e32 v35, v36
	v_not_b32_e32 v36, v38
	v_dual_ashrrev_i32 v30, 31, v30 :: v_dual_bitop2_b32 v8, vcc_lo, v8 bitop3:0x14
	v_dual_ashrrev_i32 v34, 31, v34 :: v_dual_bitop2_b32 v27, s0, v27 bitop3:0x14
	v_cmp_gt_i32_e64 s5, 0, v38
	v_not_b32_e32 v38, v39
	v_cmp_gt_i32_e64 s7, 0, v9
	v_not_b32_e32 v9, v9
	v_dual_ashrrev_i32 v35, 31, v35 :: v_dual_ashrrev_i32 v36, 31, v36
	v_xor_b32_e32 v30, s1, v30
	v_xor_b32_e32 v34, s3, v34
	v_bitop3_b32 v8, v8, v27, exec_lo bitop3:0x80
	v_cmp_gt_i32_e64 s6, 0, v39
	v_dual_ashrrev_i32 v27, 31, v38 :: v_dual_bitop2_b32 v35, s4, v35 bitop3:0x14
	v_dual_ashrrev_i32 v9, 31, v9 :: v_dual_bitop2_b32 v36, s5, v36 bitop3:0x14
	s_delay_alu instid0(VALU_DEP_4) | instskip(NEXT) | instid1(VALU_DEP_3)
	v_bitop3_b32 v8, v8, v34, v30 bitop3:0x80
	v_xor_b32_e32 v27, s6, v27
	s_delay_alu instid0(VALU_DEP_3) | instskip(NEXT) | instid1(VALU_DEP_3)
	v_xor_b32_e32 v9, s7, v9
	v_bitop3_b32 v8, v8, v36, v35 bitop3:0x80
	ds_load_b32 v35, v41 offset:64
	; wave barrier
	v_bitop3_b32 v8, v8, v9, v27 bitop3:0x80
	s_delay_alu instid0(VALU_DEP_1) | instskip(SKIP_1) | instid1(VALU_DEP_2)
	v_mbcnt_lo_u32_b32 v36, v8, 0
	v_cmp_ne_u32_e64 s0, 0, v8
	v_cmp_eq_u32_e32 vcc_lo, 0, v36
	s_and_b32 s1, s0, vcc_lo
	s_delay_alu instid0(SALU_CYCLE_1)
	s_and_saveexec_b32 s0, s1
	s_cbranch_execz .LBB1406_107
; %bb.106:
	s_wait_dscnt 0x0
	v_bcnt_u32_b32 v8, v8, v35
	ds_store_b32 v41, v8 offset:64
.LBB1406_107:
	s_or_b32 exec_lo, exec_lo, s0
	v_cmp_lt_i32_e32 vcc_lo, -1, v7
	; wave barrier
	v_cndmask_b32_e64 v8, -1, 0x80000000, vcc_lo
	s_delay_alu instid0(VALU_DEP_1) | instskip(NEXT) | instid1(VALU_DEP_1)
	v_xor_b32_e32 v27, v8, v7
	v_cmp_ne_u32_e32 vcc_lo, 0x7fffffff, v27
	v_cndmask_b32_e32 v7, 0x80000000, v27, vcc_lo
	s_delay_alu instid0(VALU_DEP_1) | instskip(NEXT) | instid1(VALU_DEP_1)
	v_lshrrev_b32_e32 v7, s20, v7
	v_and_b32_e32 v8, s9, v7
	v_bitop3_b32 v7, v7, 1, s9 bitop3:0x80
	s_delay_alu instid0(VALU_DEP_2) | instskip(NEXT) | instid1(VALU_DEP_2)
	v_lshlrev_b32_e32 v30, 30, v8
	v_add_co_u32 v7, s0, v7, -1
	s_delay_alu instid0(VALU_DEP_1) | instskip(NEXT) | instid1(VALU_DEP_3)
	v_cndmask_b32_e64 v9, 0, 1, s0
	v_cmp_gt_i32_e64 s0, 0, v30
	s_delay_alu instid0(VALU_DEP_2) | instskip(SKIP_1) | instid1(VALU_DEP_1)
	v_cmp_ne_u32_e32 vcc_lo, 0, v9
	v_not_b32_e32 v9, v30
	v_dual_ashrrev_i32 v9, 31, v9 :: v_dual_lshlrev_b32 v34, 29, v8
	v_dual_lshlrev_b32 v38, 28, v8 :: v_dual_lshlrev_b32 v39, 27, v8
	v_lshlrev_b32_e32 v40, 26, v8
	v_mad_u32 v44, 0x44, v8, v0
	s_delay_alu instid0(VALU_DEP_4)
	v_cmp_gt_i32_e64 s1, 0, v34
	v_not_b32_e32 v30, v34
	v_not_b32_e32 v34, v38
	v_dual_lshlrev_b32 v42, 25, v8 :: v_dual_lshlrev_b32 v8, 24, v8
	v_cmp_gt_i32_e64 s3, 0, v38
	v_cmp_gt_i32_e64 s4, 0, v39
	v_not_b32_e32 v38, v39
	v_not_b32_e32 v39, v40
	v_dual_ashrrev_i32 v30, 31, v30 :: v_dual_bitop2_b32 v7, vcc_lo, v7 bitop3:0x14
	v_dual_ashrrev_i32 v34, 31, v34 :: v_dual_bitop2_b32 v9, s0, v9 bitop3:0x14
	v_cmp_gt_i32_e64 s5, 0, v40
	v_not_b32_e32 v40, v42
	v_cmp_gt_i32_e64 s7, 0, v8
	v_not_b32_e32 v8, v8
	v_dual_ashrrev_i32 v38, 31, v38 :: v_dual_ashrrev_i32 v39, 31, v39
	v_xor_b32_e32 v30, s1, v30
	s_delay_alu instid0(VALU_DEP_3) | instskip(SKIP_4) | instid1(VALU_DEP_4)
	v_dual_ashrrev_i32 v8, 31, v8 :: v_dual_bitop2_b32 v34, s3, v34 bitop3:0x14
	v_bitop3_b32 v7, v7, v9, exec_lo bitop3:0x80
	v_cmp_gt_i32_e64 s6, 0, v42
	v_dual_ashrrev_i32 v9, 31, v40 :: v_dual_bitop2_b32 v38, s4, v38 bitop3:0x14
	v_xor_b32_e32 v39, s5, v39
	v_bitop3_b32 v7, v7, v34, v30 bitop3:0x80
	v_xor_b32_e32 v8, s7, v8
	s_delay_alu instid0(VALU_DEP_4) | instskip(NEXT) | instid1(VALU_DEP_3)
	v_xor_b32_e32 v9, s6, v9
	v_bitop3_b32 v7, v7, v39, v38 bitop3:0x80
	ds_load_b32 v39, v44 offset:64
	; wave barrier
	v_bitop3_b32 v7, v7, v8, v9 bitop3:0x80
	s_delay_alu instid0(VALU_DEP_1) | instskip(SKIP_1) | instid1(VALU_DEP_2)
	v_mbcnt_lo_u32_b32 v40, v7, 0
	v_cmp_ne_u32_e64 s0, 0, v7
	v_cmp_eq_u32_e32 vcc_lo, 0, v40
	s_and_b32 s1, s0, vcc_lo
	s_delay_alu instid0(SALU_CYCLE_1)
	s_and_saveexec_b32 s0, s1
	s_cbranch_execz .LBB1406_109
; %bb.108:
	s_wait_dscnt 0x0
	v_bcnt_u32_b32 v7, v7, v39
	ds_store_b32 v44, v7 offset:64
.LBB1406_109:
	s_or_b32 exec_lo, exec_lo, s0
	v_cmp_lt_i32_e32 vcc_lo, -1, v6
	; wave barrier
	v_cndmask_b32_e64 v7, -1, 0x80000000, vcc_lo
	s_delay_alu instid0(VALU_DEP_1) | instskip(NEXT) | instid1(VALU_DEP_1)
	v_xor_b32_e32 v30, v7, v6
	v_cmp_ne_u32_e32 vcc_lo, 0x7fffffff, v30
	v_cndmask_b32_e32 v6, 0x80000000, v30, vcc_lo
	s_delay_alu instid0(VALU_DEP_1) | instskip(NEXT) | instid1(VALU_DEP_1)
	v_lshrrev_b32_e32 v6, s20, v6
	v_and_b32_e32 v7, s9, v6
	v_bitop3_b32 v6, v6, 1, s9 bitop3:0x80
	s_delay_alu instid0(VALU_DEP_2) | instskip(NEXT) | instid1(VALU_DEP_2)
	v_lshlrev_b32_e32 v9, 30, v7
	v_add_co_u32 v6, s0, v6, -1
	s_delay_alu instid0(VALU_DEP_1) | instskip(NEXT) | instid1(VALU_DEP_3)
	v_cndmask_b32_e64 v8, 0, 1, s0
	v_cmp_gt_i32_e64 s0, 0, v9
	s_delay_alu instid0(VALU_DEP_2) | instskip(SKIP_1) | instid1(VALU_DEP_1)
	v_cmp_ne_u32_e32 vcc_lo, 0, v8
	v_not_b32_e32 v8, v9
	v_dual_ashrrev_i32 v8, 31, v8 :: v_dual_lshlrev_b32 v34, 29, v7
	v_dual_lshlrev_b32 v38, 28, v7 :: v_dual_lshlrev_b32 v42, 27, v7
	v_lshlrev_b32_e32 v43, 26, v7
	v_mad_u32 v48, 0x44, v7, v0
	s_delay_alu instid0(VALU_DEP_4)
	v_cmp_gt_i32_e64 s1, 0, v34
	v_not_b32_e32 v9, v34
	v_not_b32_e32 v34, v38
	v_dual_lshlrev_b32 v45, 25, v7 :: v_dual_lshlrev_b32 v7, 24, v7
	v_cmp_gt_i32_e64 s3, 0, v38
	v_cmp_gt_i32_e64 s4, 0, v42
	v_not_b32_e32 v38, v42
	v_not_b32_e32 v42, v43
	v_dual_ashrrev_i32 v9, 31, v9 :: v_dual_bitop2_b32 v6, vcc_lo, v6 bitop3:0x14
	v_dual_ashrrev_i32 v34, 31, v34 :: v_dual_bitop2_b32 v8, s0, v8 bitop3:0x14
	v_cmp_gt_i32_e64 s5, 0, v43
	v_not_b32_e32 v43, v45
	v_cmp_gt_i32_e64 s7, 0, v7
	v_not_b32_e32 v7, v7
	v_dual_ashrrev_i32 v38, 31, v38 :: v_dual_bitop2_b32 v9, s1, v9 bitop3:0x14
	v_ashrrev_i32_e32 v42, 31, v42
	s_delay_alu instid0(VALU_DEP_3) | instskip(SKIP_4) | instid1(VALU_DEP_4)
	v_dual_ashrrev_i32 v7, 31, v7 :: v_dual_bitop2_b32 v34, s3, v34 bitop3:0x14
	v_bitop3_b32 v6, v6, v8, exec_lo bitop3:0x80
	v_cmp_gt_i32_e64 s6, 0, v45
	v_dual_ashrrev_i32 v8, 31, v43 :: v_dual_bitop2_b32 v38, s4, v38 bitop3:0x14
	v_xor_b32_e32 v42, s5, v42
	v_bitop3_b32 v6, v6, v34, v9 bitop3:0x80
	v_xor_b32_e32 v7, s7, v7
	s_delay_alu instid0(VALU_DEP_4) | instskip(SKIP_2) | instid1(VALU_DEP_1)
	v_xor_b32_e32 v8, s6, v8
	ds_load_b32 v43, v48 offset:64
	v_bitop3_b32 v6, v6, v42, v38 bitop3:0x80
	; wave barrier
	v_bitop3_b32 v6, v6, v7, v8 bitop3:0x80
	s_delay_alu instid0(VALU_DEP_1) | instskip(SKIP_1) | instid1(VALU_DEP_2)
	v_mbcnt_lo_u32_b32 v45, v6, 0
	v_cmp_ne_u32_e64 s0, 0, v6
	v_cmp_eq_u32_e32 vcc_lo, 0, v45
	s_and_b32 s1, s0, vcc_lo
	s_delay_alu instid0(SALU_CYCLE_1)
	s_and_saveexec_b32 s0, s1
	s_cbranch_execz .LBB1406_111
; %bb.110:
	s_wait_dscnt 0x0
	v_bcnt_u32_b32 v6, v6, v43
	ds_store_b32 v48, v6 offset:64
.LBB1406_111:
	s_or_b32 exec_lo, exec_lo, s0
	v_cmp_lt_i32_e32 vcc_lo, -1, v4
	; wave barrier
	v_cndmask_b32_e64 v6, -1, 0x80000000, vcc_lo
	s_delay_alu instid0(VALU_DEP_1) | instskip(NEXT) | instid1(VALU_DEP_1)
	v_xor_b32_e32 v34, v6, v4
	v_cmp_ne_u32_e32 vcc_lo, 0x7fffffff, v34
	v_cndmask_b32_e32 v4, 0x80000000, v34, vcc_lo
	s_delay_alu instid0(VALU_DEP_1) | instskip(NEXT) | instid1(VALU_DEP_1)
	v_lshrrev_b32_e32 v4, s20, v4
	v_and_b32_e32 v6, s9, v4
	v_bitop3_b32 v4, v4, 1, s9 bitop3:0x80
	s_delay_alu instid0(VALU_DEP_2) | instskip(NEXT) | instid1(VALU_DEP_2)
	v_dual_lshlrev_b32 v8, 30, v6 :: v_dual_lshlrev_b32 v9, 29, v6
	v_add_co_u32 v4, s0, v4, -1
	s_delay_alu instid0(VALU_DEP_1) | instskip(SKIP_1) | instid1(VALU_DEP_4)
	v_cndmask_b32_e64 v7, 0, 1, s0
	v_lshlrev_b32_e32 v38, 28, v6
	v_cmp_gt_i32_e64 s0, 0, v8
	v_cmp_gt_i32_e64 s1, 0, v9
	s_delay_alu instid0(VALU_DEP_4) | instskip(SKIP_3) | instid1(VALU_DEP_3)
	v_cmp_ne_u32_e32 vcc_lo, 0, v7
	v_not_b32_e32 v7, v8
	v_not_b32_e32 v8, v9
	;; [unrolled: 1-line block ×3, first 2 shown]
	v_dual_ashrrev_i32 v7, 31, v7 :: v_dual_bitop2_b32 v4, vcc_lo, v4 bitop3:0x14
	s_delay_alu instid0(VALU_DEP_2)
	v_dual_ashrrev_i32 v8, 31, v8 :: v_dual_ashrrev_i32 v9, 31, v9
	v_dual_lshlrev_b32 v42, 27, v6 :: v_dual_lshlrev_b32 v46, 26, v6
	v_lshlrev_b32_e32 v47, 25, v6
	v_mad_u32 v51, 0x44, v6, v0
	v_lshlrev_b32_e32 v6, 24, v6
	v_cmp_gt_i32_e64 s3, 0, v38
	v_cmp_gt_i32_e64 s4, 0, v42
	v_not_b32_e32 v38, v42
	v_not_b32_e32 v42, v46
	v_xor_b32_e32 v7, s0, v7
	v_cmp_gt_i32_e64 s5, 0, v46
	v_not_b32_e32 v46, v47
	v_cmp_gt_i32_e64 s7, 0, v6
	v_not_b32_e32 v6, v6
	v_dual_ashrrev_i32 v38, 31, v38 :: v_dual_bitop2_b32 v8, s1, v8 bitop3:0x14
	v_dual_ashrrev_i32 v42, 31, v42 :: v_dual_bitop2_b32 v9, s3, v9 bitop3:0x14
	v_bitop3_b32 v4, v4, v7, exec_lo bitop3:0x80
	v_cmp_gt_i32_e64 s6, 0, v47
	v_ashrrev_i32_e32 v7, 31, v46
	v_ashrrev_i32_e32 v6, 31, v6
	v_xor_b32_e32 v38, s4, v38
	v_xor_b32_e32 v42, s5, v42
	v_bitop3_b32 v4, v4, v9, v8 bitop3:0x80
	v_xor_b32_e32 v7, s6, v7
	v_xor_b32_e32 v6, s7, v6
	ds_load_b32 v47, v51 offset:64
	v_bitop3_b32 v4, v4, v42, v38 bitop3:0x80
	; wave barrier
	s_delay_alu instid0(VALU_DEP_1) | instskip(NEXT) | instid1(VALU_DEP_1)
	v_bitop3_b32 v4, v4, v6, v7 bitop3:0x80
	v_mbcnt_lo_u32_b32 v49, v4, 0
	v_cmp_ne_u32_e64 s0, 0, v4
	s_delay_alu instid0(VALU_DEP_2) | instskip(SKIP_1) | instid1(SALU_CYCLE_1)
	v_cmp_eq_u32_e32 vcc_lo, 0, v49
	s_and_b32 s1, s0, vcc_lo
	s_and_saveexec_b32 s0, s1
	s_cbranch_execz .LBB1406_113
; %bb.112:
	s_wait_dscnt 0x0
	v_bcnt_u32_b32 v4, v4, v47
	ds_store_b32 v51, v4 offset:64
.LBB1406_113:
	s_or_b32 exec_lo, exec_lo, s0
	v_cmp_lt_i32_e32 vcc_lo, -1, v3
	; wave barrier
	v_cndmask_b32_e64 v4, -1, 0x80000000, vcc_lo
	s_delay_alu instid0(VALU_DEP_1) | instskip(NEXT) | instid1(VALU_DEP_1)
	v_xor_b32_e32 v38, v4, v3
	v_cmp_ne_u32_e32 vcc_lo, 0x7fffffff, v38
	v_cndmask_b32_e32 v3, 0x80000000, v38, vcc_lo
	s_delay_alu instid0(VALU_DEP_1) | instskip(NEXT) | instid1(VALU_DEP_1)
	v_lshrrev_b32_e32 v3, s20, v3
	v_and_b32_e32 v4, s9, v3
	v_bitop3_b32 v3, v3, 1, s9 bitop3:0x80
	s_delay_alu instid0(VALU_DEP_2) | instskip(NEXT) | instid1(VALU_DEP_2)
	v_lshlrev_b32_e32 v7, 30, v4
	v_add_co_u32 v3, s0, v3, -1
	s_delay_alu instid0(VALU_DEP_1) | instskip(NEXT) | instid1(VALU_DEP_1)
	v_cndmask_b32_e64 v6, 0, 1, s0
	v_cmp_ne_u32_e32 vcc_lo, 0, v6
	s_delay_alu instid0(VALU_DEP_4) | instskip(NEXT) | instid1(VALU_DEP_1)
	v_not_b32_e32 v6, v7
	v_dual_ashrrev_i32 v6, 31, v6 :: v_dual_lshlrev_b32 v8, 29, v4
	v_dual_lshlrev_b32 v9, 28, v4 :: v_dual_lshlrev_b32 v42, 27, v4
	v_lshlrev_b32_e32 v46, 26, v4
	v_cmp_gt_i32_e64 s0, 0, v7
	s_delay_alu instid0(VALU_DEP_4)
	v_cmp_gt_i32_e64 s1, 0, v8
	v_not_b32_e32 v7, v8
	v_not_b32_e32 v8, v9
	v_mad_u32 v53, 0x44, v4, v0
	v_dual_lshlrev_b32 v50, 25, v4 :: v_dual_lshlrev_b32 v4, 24, v4
	v_cmp_gt_i32_e64 s3, 0, v9
	v_cmp_gt_i32_e64 s4, 0, v42
	v_not_b32_e32 v9, v42
	v_not_b32_e32 v42, v46
	v_dual_ashrrev_i32 v8, 31, v8 :: v_dual_bitop2_b32 v3, vcc_lo, v3 bitop3:0x14
	v_dual_ashrrev_i32 v7, 31, v7 :: v_dual_bitop2_b32 v6, s0, v6 bitop3:0x14
	v_cmp_gt_i32_e64 s5, 0, v46
	v_not_b32_e32 v46, v50
	v_cmp_gt_i32_e64 s7, 0, v4
	v_not_b32_e32 v4, v4
	v_dual_ashrrev_i32 v9, 31, v9 :: v_dual_ashrrev_i32 v42, 31, v42
	v_xor_b32_e32 v7, s1, v7
	v_xor_b32_e32 v8, s3, v8
	v_bitop3_b32 v3, v3, v6, exec_lo bitop3:0x80
	v_cmp_gt_i32_e64 s6, 0, v50
	v_dual_ashrrev_i32 v6, 31, v46 :: v_dual_ashrrev_i32 v4, 31, v4
	v_xor_b32_e32 v9, s4, v9
	v_xor_b32_e32 v42, s5, v42
	v_bitop3_b32 v3, v3, v8, v7 bitop3:0x80
	s_delay_alu instid0(VALU_DEP_4) | instskip(SKIP_3) | instid1(VALU_DEP_1)
	v_xor_b32_e32 v6, s6, v6
	v_xor_b32_e32 v4, s7, v4
	ds_load_b32 v50, v53 offset:64
	v_bitop3_b32 v3, v3, v42, v9 bitop3:0x80
	; wave barrier
	v_bitop3_b32 v3, v3, v4, v6 bitop3:0x80
	s_delay_alu instid0(VALU_DEP_1) | instskip(SKIP_1) | instid1(VALU_DEP_2)
	v_mbcnt_lo_u32_b32 v52, v3, 0
	v_cmp_ne_u32_e64 s0, 0, v3
	v_cmp_eq_u32_e32 vcc_lo, 0, v52
	s_and_b32 s1, s0, vcc_lo
	s_delay_alu instid0(SALU_CYCLE_1)
	s_and_saveexec_b32 s0, s1
	s_cbranch_execz .LBB1406_115
; %bb.114:
	s_wait_dscnt 0x0
	v_bcnt_u32_b32 v3, v3, v50
	ds_store_b32 v53, v3 offset:64
.LBB1406_115:
	s_or_b32 exec_lo, exec_lo, s0
	v_cmp_lt_i32_e32 vcc_lo, -1, v2
	; wave barrier
	v_cndmask_b32_e64 v3, -1, 0x80000000, vcc_lo
	s_delay_alu instid0(VALU_DEP_1) | instskip(NEXT) | instid1(VALU_DEP_1)
	v_xor_b32_e32 v42, v3, v2
	v_cmp_ne_u32_e32 vcc_lo, 0x7fffffff, v42
	v_cndmask_b32_e32 v2, 0x80000000, v42, vcc_lo
	s_delay_alu instid0(VALU_DEP_1) | instskip(NEXT) | instid1(VALU_DEP_1)
	v_lshrrev_b32_e32 v2, s20, v2
	v_and_b32_e32 v3, s9, v2
	v_bitop3_b32 v2, v2, 1, s9 bitop3:0x80
	s_delay_alu instid0(VALU_DEP_2) | instskip(NEXT) | instid1(VALU_DEP_2)
	v_lshlrev_b32_e32 v6, 30, v3
	v_add_co_u32 v2, s0, v2, -1
	s_delay_alu instid0(VALU_DEP_1) | instskip(NEXT) | instid1(VALU_DEP_1)
	v_cndmask_b32_e64 v4, 0, 1, s0
	v_cmp_ne_u32_e32 vcc_lo, 0, v4
	s_delay_alu instid0(VALU_DEP_4) | instskip(NEXT) | instid1(VALU_DEP_1)
	v_not_b32_e32 v4, v6
	v_dual_ashrrev_i32 v4, 31, v4 :: v_dual_lshlrev_b32 v7, 29, v3
	v_dual_lshlrev_b32 v8, 28, v3 :: v_dual_lshlrev_b32 v9, 27, v3
	v_lshlrev_b32_e32 v46, 26, v3
	v_cmp_gt_i32_e64 s0, 0, v6
	s_delay_alu instid0(VALU_DEP_4)
	v_cmp_gt_i32_e64 s1, 0, v7
	v_not_b32_e32 v6, v7
	v_not_b32_e32 v7, v8
	v_mad_u32 v56, 0x44, v3, v0
	v_dual_lshlrev_b32 v54, 25, v3 :: v_dual_lshlrev_b32 v3, 24, v3
	v_cmp_gt_i32_e64 s3, 0, v8
	v_cmp_gt_i32_e64 s4, 0, v9
	v_not_b32_e32 v8, v9
	v_not_b32_e32 v9, v46
	v_dual_ashrrev_i32 v7, 31, v7 :: v_dual_bitop2_b32 v2, vcc_lo, v2 bitop3:0x14
	v_dual_ashrrev_i32 v6, 31, v6 :: v_dual_bitop2_b32 v4, s0, v4 bitop3:0x14
	v_cmp_gt_i32_e64 s5, 0, v46
	v_not_b32_e32 v46, v54
	v_cmp_gt_i32_e64 s7, 0, v3
	v_not_b32_e32 v3, v3
	v_dual_ashrrev_i32 v8, 31, v8 :: v_dual_ashrrev_i32 v9, 31, v9
	v_xor_b32_e32 v6, s1, v6
	v_xor_b32_e32 v7, s3, v7
	v_bitop3_b32 v2, v2, v4, exec_lo bitop3:0x80
	v_cmp_gt_i32_e64 s6, 0, v54
	v_dual_ashrrev_i32 v4, 31, v46 :: v_dual_ashrrev_i32 v3, 31, v3
	v_xor_b32_e32 v8, s4, v8
	v_xor_b32_e32 v9, s5, v9
	v_bitop3_b32 v2, v2, v7, v6 bitop3:0x80
	s_delay_alu instid0(VALU_DEP_4) | instskip(SKIP_3) | instid1(VALU_DEP_1)
	v_xor_b32_e32 v4, s6, v4
	v_xor_b32_e32 v3, s7, v3
	ds_load_b32 v54, v56 offset:64
	v_bitop3_b32 v2, v2, v9, v8 bitop3:0x80
	; wave barrier
	v_bitop3_b32 v2, v2, v3, v4 bitop3:0x80
	s_delay_alu instid0(VALU_DEP_1) | instskip(SKIP_1) | instid1(VALU_DEP_2)
	v_mbcnt_lo_u32_b32 v55, v2, 0
	v_cmp_ne_u32_e64 s0, 0, v2
	v_cmp_eq_u32_e32 vcc_lo, 0, v55
	s_and_b32 s1, s0, vcc_lo
	s_delay_alu instid0(SALU_CYCLE_1)
	s_and_saveexec_b32 s0, s1
	s_cbranch_execz .LBB1406_117
; %bb.116:
	s_wait_dscnt 0x0
	v_bcnt_u32_b32 v2, v2, v54
	ds_store_b32 v56, v2 offset:64
.LBB1406_117:
	s_or_b32 exec_lo, exec_lo, s0
	v_cmp_lt_i32_e32 vcc_lo, -1, v1
	; wave barrier
	v_cndmask_b32_e64 v2, -1, 0x80000000, vcc_lo
	s_delay_alu instid0(VALU_DEP_1) | instskip(NEXT) | instid1(VALU_DEP_1)
	v_xor_b32_e32 v46, v2, v1
	v_cmp_ne_u32_e32 vcc_lo, 0x7fffffff, v46
	v_cndmask_b32_e32 v1, 0x80000000, v46, vcc_lo
	s_delay_alu instid0(VALU_DEP_1) | instskip(NEXT) | instid1(VALU_DEP_1)
	v_lshrrev_b32_e32 v1, s20, v1
	v_and_b32_e32 v2, s9, v1
	v_bitop3_b32 v1, v1, 1, s9 bitop3:0x80
	s_delay_alu instid0(VALU_DEP_2) | instskip(NEXT) | instid1(VALU_DEP_2)
	v_mad_u32 v59, 0x44, v2, v0
	v_add_co_u32 v0, s0, v1, -1
	s_delay_alu instid0(VALU_DEP_1) | instskip(SKIP_1) | instid1(VALU_DEP_2)
	v_cndmask_b32_e64 v1, 0, 1, s0
	v_lshlrev_b32_e32 v3, 30, v2
	v_cmp_ne_u32_e32 vcc_lo, 0, v1
	s_delay_alu instid0(VALU_DEP_2)
	v_not_b32_e32 v1, v3
	ds_load_b32 v57, v59 offset:64
	v_dual_ashrrev_i32 v1, 31, v1 :: v_dual_bitop2_b32 v0, vcc_lo, v0 bitop3:0x14
	v_dual_lshlrev_b32 v4, 29, v2 :: v_dual_lshlrev_b32 v6, 28, v2
	v_dual_lshlrev_b32 v7, 27, v2 :: v_dual_lshlrev_b32 v8, 26, v2
	v_lshlrev_b32_e32 v9, 25, v2
	v_cmp_gt_i32_e64 s0, 0, v3
	s_delay_alu instid0(VALU_DEP_4)
	v_cmp_gt_i32_e64 s1, 0, v4
	v_not_b32_e32 v3, v4
	v_not_b32_e32 v4, v6
	v_lshlrev_b32_e32 v2, 24, v2
	v_cmp_gt_i32_e64 s3, 0, v6
	v_cmp_gt_i32_e64 s4, 0, v7
	v_not_b32_e32 v6, v7
	v_not_b32_e32 v7, v8
	v_dual_ashrrev_i32 v3, 31, v3 :: v_dual_bitop2_b32 v1, s0, v1 bitop3:0x14
	v_ashrrev_i32_e32 v4, 31, v4
	v_cmp_gt_i32_e64 s5, 0, v8
	v_not_b32_e32 v8, v9
	v_cmp_gt_i32_e64 s7, 0, v2
	v_not_b32_e32 v2, v2
	v_dual_ashrrev_i32 v6, 31, v6 :: v_dual_ashrrev_i32 v7, 31, v7
	v_xor_b32_e32 v3, s1, v3
	s_delay_alu instid0(VALU_DEP_3) | instskip(SKIP_4) | instid1(VALU_DEP_4)
	v_dual_ashrrev_i32 v2, 31, v2 :: v_dual_bitop2_b32 v4, s3, v4 bitop3:0x14
	v_bitop3_b32 v0, v0, v1, exec_lo bitop3:0x80
	v_cmp_gt_i32_e64 s6, 0, v9
	v_dual_ashrrev_i32 v1, 31, v8 :: v_dual_bitop2_b32 v6, s4, v6 bitop3:0x14
	v_xor_b32_e32 v7, s5, v7
	v_bitop3_b32 v0, v0, v4, v3 bitop3:0x80
	v_xor_b32_e32 v2, s7, v2
	s_delay_alu instid0(VALU_DEP_4) | instskip(NEXT) | instid1(VALU_DEP_3)
	v_xor_b32_e32 v1, s6, v1
	; wave barrier
	v_bitop3_b32 v0, v0, v7, v6 bitop3:0x80
	s_delay_alu instid0(VALU_DEP_1) | instskip(NEXT) | instid1(VALU_DEP_1)
	v_bitop3_b32 v0, v0, v2, v1 bitop3:0x80
	v_mbcnt_lo_u32_b32 v58, v0, 0
	v_cmp_ne_u32_e64 s0, 0, v0
	s_delay_alu instid0(VALU_DEP_2) | instskip(SKIP_1) | instid1(SALU_CYCLE_1)
	v_cmp_eq_u32_e32 vcc_lo, 0, v58
	s_and_b32 s1, s0, vcc_lo
	s_and_saveexec_b32 s0, s1
	s_cbranch_execz .LBB1406_119
; %bb.118:
	s_wait_dscnt 0x0
	v_bcnt_u32_b32 v0, v0, v57
	ds_store_b32 v59, v0 offset:64
.LBB1406_119:
	s_or_b32 exec_lo, exec_lo, s0
	; wave barrier
	s_wait_dscnt 0x0
	s_barrier_signal -1
	s_barrier_wait -1
	ds_load_2addr_b32 v[8:9], v10 offset0:16 offset1:17
	ds_load_2addr_b32 v[6:7], v10 offset0:18 offset1:19
	;; [unrolled: 1-line block ×4, first 2 shown]
	ds_load_b32 v4, v10 offset:96
	v_min_u32_e32 v16, 0x1e0, v16
	s_mov_b32 s5, exec_lo
	s_wait_dscnt 0x3
	v_add3_u32 v60, v9, v8, v6
	s_wait_dscnt 0x2
	s_delay_alu instid0(VALU_DEP_1) | instskip(SKIP_1) | instid1(VALU_DEP_1)
	v_add3_u32 v60, v60, v7, v2
	s_wait_dscnt 0x1
	v_add3_u32 v60, v60, v3, v0
	s_wait_dscnt 0x0
	s_delay_alu instid0(VALU_DEP_1) | instskip(SKIP_1) | instid1(VALU_DEP_2)
	v_add3_u32 v4, v60, v1, v4
	v_and_b32_e32 v60, 15, v15
	v_mov_b32_dpp v61, v4 row_shr:1 row_mask:0xf bank_mask:0xf
	s_delay_alu instid0(VALU_DEP_2) | instskip(NEXT) | instid1(VALU_DEP_2)
	v_cmp_eq_u32_e32 vcc_lo, 0, v60
	v_cndmask_b32_e64 v61, v61, 0, vcc_lo
	s_delay_alu instid0(VALU_DEP_1) | instskip(SKIP_3) | instid1(VALU_DEP_4)
	v_add_nc_u32_e32 v4, v61, v4
	v_cmp_lt_u32_e64 s0, 1, v60
	v_cmp_lt_u32_e64 s1, 3, v60
	;; [unrolled: 1-line block ×3, first 2 shown]
	v_mov_b32_dpp v61, v4 row_shr:2 row_mask:0xf bank_mask:0xf
	s_delay_alu instid0(VALU_DEP_1) | instskip(NEXT) | instid1(VALU_DEP_1)
	v_cndmask_b32_e64 v61, 0, v61, s0
	v_add_nc_u32_e32 v4, v4, v61
	s_delay_alu instid0(VALU_DEP_1) | instskip(NEXT) | instid1(VALU_DEP_1)
	v_mov_b32_dpp v61, v4 row_shr:4 row_mask:0xf bank_mask:0xf
	v_cndmask_b32_e64 v61, 0, v61, s1
	s_delay_alu instid0(VALU_DEP_1) | instskip(NEXT) | instid1(VALU_DEP_1)
	v_add_nc_u32_e32 v4, v4, v61
	v_mov_b32_dpp v61, v4 row_shr:8 row_mask:0xf bank_mask:0xf
	s_delay_alu instid0(VALU_DEP_1) | instskip(SKIP_1) | instid1(VALU_DEP_2)
	v_cndmask_b32_e64 v60, 0, v61, s3
	v_bfe_i32 v61, v15, 4, 1
	v_add_nc_u32_e32 v4, v4, v60
	ds_swizzle_b32 v60, v4 offset:swizzle(BROADCAST,32,15)
	s_wait_dscnt 0x0
	v_dual_lshrrev_b32 v60, 5, v14 :: v_dual_bitop2_b32 v61, v61, v60 bitop3:0x40
	s_delay_alu instid0(VALU_DEP_1) | instskip(NEXT) | instid1(VALU_DEP_1)
	v_dual_add_nc_u32 v16, v4, v61 :: v_dual_bitop2_b32 v62, 31, v16 bitop3:0x54
	v_cmpx_eq_u32_e64 v14, v62
; %bb.120:
	s_delay_alu instid0(VALU_DEP_3)
	v_lshlrev_b32_e32 v4, 2, v60
	ds_store_b32 v4, v16
; %bb.121:
	s_or_b32 exec_lo, exec_lo, s5
	v_lshlrev_b32_e32 v4, 2, v14
	s_mov_b32 s5, exec_lo
	s_wait_dscnt 0x0
	s_barrier_signal -1
	s_barrier_wait -1
	v_cmpx_gt_u32_e32 16, v14
	s_cbranch_execz .LBB1406_123
; %bb.122:
	ds_load_b32 v61, v4
	s_wait_dscnt 0x0
	v_mov_b32_dpp v62, v61 row_shr:1 row_mask:0xf bank_mask:0xf
	s_delay_alu instid0(VALU_DEP_1) | instskip(NEXT) | instid1(VALU_DEP_1)
	v_cndmask_b32_e64 v62, v62, 0, vcc_lo
	v_add_nc_u32_e32 v61, v62, v61
	s_delay_alu instid0(VALU_DEP_1) | instskip(NEXT) | instid1(VALU_DEP_1)
	v_mov_b32_dpp v62, v61 row_shr:2 row_mask:0xf bank_mask:0xf
	v_cndmask_b32_e64 v62, 0, v62, s0
	s_delay_alu instid0(VALU_DEP_1) | instskip(NEXT) | instid1(VALU_DEP_1)
	v_add_nc_u32_e32 v61, v61, v62
	v_mov_b32_dpp v62, v61 row_shr:4 row_mask:0xf bank_mask:0xf
	s_delay_alu instid0(VALU_DEP_1) | instskip(NEXT) | instid1(VALU_DEP_1)
	v_cndmask_b32_e64 v62, 0, v62, s1
	v_add_nc_u32_e32 v61, v61, v62
	s_delay_alu instid0(VALU_DEP_1) | instskip(NEXT) | instid1(VALU_DEP_1)
	v_mov_b32_dpp v62, v61 row_shr:8 row_mask:0xf bank_mask:0xf
	v_cndmask_b32_e64 v62, 0, v62, s3
	s_delay_alu instid0(VALU_DEP_1)
	v_add_nc_u32_e32 v61, v61, v62
	ds_store_b32 v4, v61
.LBB1406_123:
	s_or_b32 exec_lo, exec_lo, s5
	v_mov_b32_e32 v61, 0
	s_mov_b32 s0, exec_lo
	s_wait_dscnt 0x0
	s_barrier_signal -1
	s_barrier_wait -1
	v_cmpx_lt_u32_e32 31, v14
; %bb.124:
	v_lshl_add_u32 v60, v60, 2, -4
	ds_load_b32 v61, v60
; %bb.125:
	s_or_b32 exec_lo, exec_lo, s0
	v_sub_co_u32 v60, vcc_lo, v15, 1
	s_wait_dscnt 0x0
	v_add_nc_u32_e32 v16, v61, v16
	s_delay_alu instid0(VALU_DEP_2) | instskip(NEXT) | instid1(VALU_DEP_1)
	v_cmp_gt_i32_e64 s0, 0, v60
	v_cndmask_b32_e64 v15, v60, v15, s0
	v_cmp_lt_u32_e64 s0, 0xff, v14
	s_delay_alu instid0(VALU_DEP_2) | instskip(SKIP_4) | instid1(VALU_DEP_2)
	v_lshlrev_b32_e32 v15, 2, v15
	ds_bpermute_b32 v15, v15, v16
	s_wait_dscnt 0x0
	v_cndmask_b32_e32 v15, v15, v61, vcc_lo
	v_cmp_gt_u32_e32 vcc_lo, 0x100, v14
	v_cndmask_b32_e64 v15, v15, 0, s2
	s_delay_alu instid0(VALU_DEP_1) | instskip(NEXT) | instid1(VALU_DEP_1)
	v_add_nc_u32_e32 v8, v15, v8
	v_add_nc_u32_e32 v9, v8, v9
	s_delay_alu instid0(VALU_DEP_1) | instskip(NEXT) | instid1(VALU_DEP_1)
	v_add_nc_u32_e32 v6, v9, v6
	v_add_nc_u32_e32 v7, v6, v7
	;; [unrolled: 3-line block ×4, first 2 shown]
	ds_store_2addr_b32 v10, v15, v8 offset0:16 offset1:17
	ds_store_2addr_b32 v10, v9, v6 offset0:18 offset1:19
	;; [unrolled: 1-line block ×4, first 2 shown]
	ds_store_b32 v10, v1 offset:96
	s_wait_dscnt 0x0
	s_barrier_signal -1
	s_barrier_wait -1
	ds_load_b32 v62, v11 offset:64
	ds_load_b32 v60, v12 offset:64
	;; [unrolled: 1-line block ×12, first 2 shown]
	v_mov_b64_e32 v[0:1], 0
                                        ; implicit-def: $vgpr2
	s_and_saveexec_b32 s2, vcc_lo
	s_cbranch_execz .LBB1406_129
; %bb.126:
	v_mul_u32_u24_e32 v0, 0x44, v14
	v_dual_mov_b32 v1, 0x1800 :: v_dual_add_nc_u32 v2, 1, v14
	s_mov_b32 s3, exec_lo
	ds_load_b32 v0, v0 offset:64
	v_cmpx_ne_u32_e32 0x100, v2
; %bb.127:
	v_mul_u32_u24_e32 v1, 0x44, v2
	ds_load_b32 v1, v1 offset:64
; %bb.128:
	s_or_b32 exec_lo, exec_lo, s3
	s_wait_dscnt 0x0
	v_dual_mov_b32 v1, 0 :: v_dual_sub_nc_u32 v2, v1, v0
.LBB1406_129:
	s_or_b32 exec_lo, exec_lo, s2
	v_dual_mov_b32 v7, 0 :: v_dual_lshlrev_b32 v3, 3, v14
	s_wait_dscnt 0x0
	s_barrier_signal -1
	s_barrier_wait -1
	s_and_saveexec_b32 s1, vcc_lo
	s_cbranch_execz .LBB1406_139
; %bb.130:
	v_lshl_add_u32 v6, s23, 8, v14
	v_dual_mov_b32 v10, 0 :: v_dual_bitop2_b32 v11, 2.0, v2 bitop3:0x54
	s_mov_b32 s2, 0
	s_mov_b32 s3, s23
	s_delay_alu instid0(VALU_DEP_2)
	v_lshl_add_u64 v[8:9], v[6:7], 2, s[10:11]
	global_store_b32 v6, v11, s[10:11] scale_offset scope:SCOPE_DEV
                                        ; implicit-def: $sgpr4
	s_branch .LBB1406_133
.LBB1406_131:                           ;   in Loop: Header=BB1406_133 Depth=1
	s_or_b32 exec_lo, exec_lo, s5
.LBB1406_132:                           ;   in Loop: Header=BB1406_133 Depth=1
	s_delay_alu instid0(SALU_CYCLE_1) | instskip(SKIP_2) | instid1(VALU_DEP_2)
	s_or_b32 exec_lo, exec_lo, s4
	v_and_b32_e32 v6, 0x3fffffff, v11
	v_cmp_gt_i32_e64 s4, -2.0, v11
	v_add_nc_u32_e32 v10, v6, v10
	s_and_b32 s5, exec_lo, s4
	s_delay_alu instid0(SALU_CYCLE_1) | instskip(NEXT) | instid1(SALU_CYCLE_1)
	s_or_b32 s2, s5, s2
	s_and_not1_b32 exec_lo, exec_lo, s2
	s_cbranch_execz .LBB1406_138
.LBB1406_133:                           ; =>This Loop Header: Depth=1
                                        ;     Child Loop BB1406_136 Depth 2
	s_or_b32 s4, s4, exec_lo
	s_cmp_eq_u32 s3, 0
	s_cbranch_scc1 .LBB1406_137
; %bb.134:                              ;   in Loop: Header=BB1406_133 Depth=1
	s_add_co_i32 s3, s3, -1
	s_mov_b32 s4, exec_lo
	s_wait_xcnt 0x0
	v_lshl_or_b32 v6, s3, 8, v14
	global_load_b32 v11, v6, s[10:11] scale_offset scope:SCOPE_DEV
	s_wait_loadcnt 0x0
	v_cmpx_gt_u32_e32 2.0, v11
	s_cbranch_execz .LBB1406_132
; %bb.135:                              ;   in Loop: Header=BB1406_133 Depth=1
	v_lshl_add_u64 v[12:13], v[6:7], 2, s[10:11]
	s_mov_b32 s5, 0
.LBB1406_136:                           ;   Parent Loop BB1406_133 Depth=1
                                        ; =>  This Inner Loop Header: Depth=2
	global_load_b32 v11, v[12:13], off scope:SCOPE_DEV
	s_wait_loadcnt 0x0
	v_cmp_lt_u32_e32 vcc_lo, 0x3fffffff, v11
	s_or_b32 s5, vcc_lo, s5
	s_wait_xcnt 0x0
	s_and_not1_b32 exec_lo, exec_lo, s5
	s_cbranch_execnz .LBB1406_136
	s_branch .LBB1406_131
.LBB1406_137:                           ;   in Loop: Header=BB1406_133 Depth=1
                                        ; implicit-def: $sgpr3
	s_and_b32 s5, exec_lo, s4
	s_delay_alu instid0(SALU_CYCLE_1)
	s_or_b32 s2, s5, s2
	s_wait_xcnt 0x0
	s_and_not1_b32 exec_lo, exec_lo, s2
	s_cbranch_execnz .LBB1406_133
.LBB1406_138:
	s_or_b32 exec_lo, exec_lo, s2
	v_dual_mov_b32 v11, 0 :: v_dual_add_nc_u32 v6, v10, v2
	s_delay_alu instid0(VALU_DEP_1) | instskip(SKIP_4) | instid1(VALU_DEP_1)
	v_or_b32_e32 v6, 0x80000000, v6
	global_store_b32 v[8:9], v6, off scope:SCOPE_DEV
	global_load_b64 v[6:7], v14, s[12:13] scale_offset
	v_sub_nc_u64_e32 v[8:9], v[10:11], v[0:1]
	s_wait_loadcnt 0x0
	v_add_nc_u64_e32 v[6:7], v[8:9], v[6:7]
	ds_store_b64 v3, v[6:7]
.LBB1406_139:
	s_wait_xcnt 0x0
	s_or_b32 exec_lo, exec_lo, s1
	v_dual_add_nc_u32 v6, v62, v5 :: v_dual_sub_nc_u32 v56, 0, v4
	v_mov_b32_e32 v5, 0
	v_add3_u32 v22, v23, v60, v22
	v_add3_u32 v7, v58, v53, v57
	;; [unrolled: 1-line block ×3, first 2 shown]
	v_add_nc_u32_e32 v23, v3, v56
	v_add_nc_u64_e32 v[4:5], s[18:19], v[4:5]
	v_add3_u32 v9, v52, v48, v50
	v_add3_u32 v10, v49, v44, v47
	;; [unrolled: 1-line block ×6, first 2 shown]
	v_add_nc_u64_e32 v[4:5], 0x2000, v[4:5]
	v_add3_u32 v16, v29, v16, v28
	v_add3_u32 v25, v26, v61, v25
	v_mov_b32_e32 v26, v14
	s_mov_b32 s1, 0
	s_mov_b32 s2, -1
	s_branch .LBB1406_141
.LBB1406_140:                           ;   in Loop: Header=BB1406_141 Depth=1
	s_wait_xcnt 0x0
	s_or_b32 exec_lo, exec_lo, s3
	v_add_nc_u64_e32 v[4:5], 0x4000, v[4:5]
	v_add_nc_u32_e32 v26, 0x1000, v26
	s_xor_b32 s2, s2, -1
	s_addk_co_i32 s1, 0xf000
	s_and_b32 vcc_lo, exec_lo, s2
	s_mov_b32 s2, 0
	s_wait_storecnt 0x0
	s_barrier_signal -1
	s_barrier_wait -1
	s_cbranch_vccnz .LBB1406_151
.LBB1406_141:                           ; =>This Inner Loop Header: Depth=1
	v_add_min_u32_e64 v28, v6, s1, 0x1000
	v_add_min_u32_e64 v29, v22, s1, 0x1000
	;; [unrolled: 1-line block ×5, first 2 shown]
	s_delay_alu instid0(VALU_DEP_4)
	v_dual_lshlrev_b32 v28, 2, v28 :: v_dual_lshlrev_b32 v29, 2, v29
	v_add_min_u32_e64 v35, v13, s1, 0x1000
	v_add_min_u32_e64 v36, v12, s1, 0x1000
	s_mov_b32 s3, exec_lo
	ds_store_b32 v28, v17 offset:2048
	ds_store_b32 v29, v18 offset:2048
	v_dual_lshlrev_b32 v28, 2, v31 :: v_dual_lshlrev_b32 v29, 2, v32
	v_dual_lshlrev_b32 v31, 2, v33 :: v_dual_lshlrev_b32 v32, 2, v35
	v_lshlrev_b32_e32 v33, 2, v36
	ds_store_b32 v28, v19 offset:2048
	ds_store_b32 v29, v20 offset:2048
	;; [unrolled: 1-line block ×5, first 2 shown]
	v_add_min_u32_e64 v28, v11, s1, 0x1000
	v_add_min_u32_e64 v29, v10, s1, 0x1000
	;; [unrolled: 1-line block ×5, first 2 shown]
	s_delay_alu instid0(VALU_DEP_4) | instskip(NEXT) | instid1(VALU_DEP_3)
	v_dual_lshlrev_b32 v28, 2, v28 :: v_dual_lshlrev_b32 v29, 2, v29
	v_dual_lshlrev_b32 v31, 2, v31 :: v_dual_lshlrev_b32 v32, 2, v32
	s_delay_alu instid0(VALU_DEP_3)
	v_lshlrev_b32_e32 v33, 2, v33
	ds_store_b32 v28, v30 offset:2048
	ds_store_b32 v29, v34 offset:2048
	;; [unrolled: 1-line block ×5, first 2 shown]
	s_wait_storecnt_dscnt 0x0
	s_barrier_signal -1
	s_barrier_wait -1
	ds_load_2addr_stride64_b32 v[28:29], v23 offset0:8 offset1:16
	s_wait_dscnt 0x0
	v_cmp_ne_u32_e32 vcc_lo, 0x7fffffff, v29
	v_cndmask_b32_e32 v31, 0x80000000, v29, vcc_lo
	v_cmp_ne_u32_e32 vcc_lo, 0x7fffffff, v28
	s_delay_alu instid0(VALU_DEP_2) | instskip(SKIP_1) | instid1(VALU_DEP_2)
	v_lshrrev_b32_e32 v31, s20, v31
	v_cndmask_b32_e32 v35, 0x80000000, v28, vcc_lo
	v_and_b32_e32 v31, s9, v31
	s_delay_alu instid0(VALU_DEP_2) | instskip(NEXT) | instid1(VALU_DEP_2)
	v_lshrrev_b32_e32 v35, s20, v35
	v_lshlrev_b32_e32 v31, 3, v31
	ds_load_b64 v[32:33], v31
	ds_load_b32 v31, v23 offset:6144
	v_and_b32_e32 v35, s9, v35
	s_delay_alu instid0(VALU_DEP_1) | instskip(SKIP_4) | instid1(VALU_DEP_2)
	v_lshlrev_b32_e32 v35, 3, v35
	s_wait_dscnt 0x0
	v_cmp_ne_u32_e32 vcc_lo, 0x7fffffff, v31
	v_cndmask_b32_e32 v36, 0x80000000, v31, vcc_lo
	v_cmp_lt_i32_e32 vcc_lo, -1, v28
	v_lshrrev_b32_e32 v36, s20, v36
	s_delay_alu instid0(VALU_DEP_1) | instskip(NEXT) | instid1(VALU_DEP_1)
	v_and_b32_e32 v36, s9, v36
	v_lshlrev_b32_e32 v39, 3, v36
	ds_load_b64 v[36:37], v35
	ds_load_b64 v[40:41], v39
	v_cndmask_b32_e64 v35, 0x80000000, -1, vcc_lo
	v_cmp_lt_i32_e32 vcc_lo, -1, v29
	s_delay_alu instid0(VALU_DEP_2) | instskip(SKIP_2) | instid1(VALU_DEP_2)
	v_xor_b32_e32 v35, v35, v28
	v_cndmask_b32_e64 v39, 0x80000000, -1, vcc_lo
	v_cmp_lt_i32_e32 vcc_lo, -1, v31
	v_xor_b32_e32 v39, v39, v29
	v_cndmask_b32_e64 v43, 0x80000000, -1, vcc_lo
	v_lshl_add_u64 v[28:29], v[32:33], 2, v[4:5]
	s_delay_alu instid0(VALU_DEP_2)
	v_xor_b32_e32 v31, v43, v31
	s_wait_dscnt 0x1
	v_lshl_add_u64 v[36:37], v[36:37], 2, v[4:5]
	s_wait_dscnt 0x0
	v_lshl_add_u64 v[32:33], v[40:41], 2, v[4:5]
	s_clause 0x2
	global_store_b32 v[36:37], v35, off offset:-8192
	global_store_b32 v[28:29], v39, off offset:-6144
	;; [unrolled: 1-line block ×3, first 2 shown]
	s_wait_xcnt 0x0
	v_cmpx_gt_u32_e32 0x1200, v26
	s_cbranch_execz .LBB1406_143
; %bb.142:                              ;   in Loop: Header=BB1406_141 Depth=1
	ds_load_b32 v31, v23 offset:8192
	s_wait_dscnt 0x0
	v_cmp_ne_u32_e32 vcc_lo, 0x7fffffff, v31
	v_cndmask_b32_e32 v28, 0x80000000, v31, vcc_lo
	v_cmp_lt_i32_e32 vcc_lo, -1, v31
	v_cndmask_b32_e64 v32, 0x80000000, -1, vcc_lo
	s_delay_alu instid0(VALU_DEP_1) | instskip(NEXT) | instid1(VALU_DEP_1)
	v_dual_lshrrev_b32 v28, s20, v28 :: v_dual_bitop2_b32 v31, v32, v31 bitop3:0x14
	v_and_b32_e32 v28, s9, v28
	s_delay_alu instid0(VALU_DEP_1)
	v_lshlrev_b32_e32 v28, 3, v28
	ds_load_b64 v[28:29], v28
	s_wait_dscnt 0x0
	v_lshl_add_u64 v[28:29], v[28:29], 2, v[4:5]
	global_store_b32 v[28:29], v31, off offset:-2048
.LBB1406_143:                           ;   in Loop: Header=BB1406_141 Depth=1
	s_wait_xcnt 0x0
	s_or_b32 exec_lo, exec_lo, s3
	v_add_nc_u32_e32 v28, 0x800, v26
	s_mov_b32 s3, exec_lo
	s_delay_alu instid0(VALU_DEP_1)
	v_cmpx_gt_u32_e32 0x1800, v28
	s_cbranch_execz .LBB1406_145
; %bb.144:                              ;   in Loop: Header=BB1406_141 Depth=1
	ds_load_b32 v31, v23 offset:10240
	s_wait_dscnt 0x0
	v_cmp_ne_u32_e32 vcc_lo, 0x7fffffff, v31
	v_cndmask_b32_e32 v28, 0x80000000, v31, vcc_lo
	v_cmp_lt_i32_e32 vcc_lo, -1, v31
	v_cndmask_b32_e64 v32, 0x80000000, -1, vcc_lo
	s_delay_alu instid0(VALU_DEP_1) | instskip(NEXT) | instid1(VALU_DEP_1)
	v_dual_lshrrev_b32 v28, s20, v28 :: v_dual_bitop2_b32 v31, v32, v31 bitop3:0x14
	v_and_b32_e32 v28, s9, v28
	s_delay_alu instid0(VALU_DEP_1)
	v_lshlrev_b32_e32 v28, 3, v28
	ds_load_b64 v[28:29], v28
	s_wait_dscnt 0x0
	v_lshl_add_u64 v[28:29], v[28:29], 2, v[4:5]
	global_store_b32 v[28:29], v31, off
.LBB1406_145:                           ;   in Loop: Header=BB1406_141 Depth=1
	s_wait_xcnt 0x0
	s_or_b32 exec_lo, exec_lo, s3
	s_delay_alu instid0(SALU_CYCLE_1)
	s_mov_b32 s3, exec_lo
	v_cmpx_gt_u32_e32 0xe00, v26
	s_cbranch_execz .LBB1406_147
; %bb.146:                              ;   in Loop: Header=BB1406_141 Depth=1
	ds_load_b32 v31, v23 offset:12288
	s_wait_dscnt 0x0
	v_cmp_ne_u32_e32 vcc_lo, 0x7fffffff, v31
	v_cndmask_b32_e32 v28, 0x80000000, v31, vcc_lo
	v_cmp_lt_i32_e32 vcc_lo, -1, v31
	v_cndmask_b32_e64 v32, 0x80000000, -1, vcc_lo
	s_delay_alu instid0(VALU_DEP_1) | instskip(NEXT) | instid1(VALU_DEP_1)
	v_dual_lshrrev_b32 v28, s20, v28 :: v_dual_bitop2_b32 v31, v32, v31 bitop3:0x14
	v_and_b32_e32 v28, s9, v28
	s_delay_alu instid0(VALU_DEP_1)
	v_lshlrev_b32_e32 v28, 3, v28
	ds_load_b64 v[28:29], v28
	s_wait_dscnt 0x0
	v_lshl_add_u64 v[28:29], v[28:29], 2, v[4:5]
	global_store_b32 v[28:29], v31, off offset:2048
.LBB1406_147:                           ;   in Loop: Header=BB1406_141 Depth=1
	s_wait_xcnt 0x0
	s_or_b32 exec_lo, exec_lo, s3
	v_add_nc_u32_e32 v28, 0xc00, v26
	s_mov_b32 s3, exec_lo
	s_delay_alu instid0(VALU_DEP_1)
	v_cmpx_gt_u32_e32 0x1800, v28
	s_cbranch_execz .LBB1406_149
; %bb.148:                              ;   in Loop: Header=BB1406_141 Depth=1
	ds_load_b32 v31, v23 offset:14336
	s_wait_dscnt 0x0
	v_cmp_ne_u32_e32 vcc_lo, 0x7fffffff, v31
	v_cndmask_b32_e32 v28, 0x80000000, v31, vcc_lo
	v_cmp_lt_i32_e32 vcc_lo, -1, v31
	v_cndmask_b32_e64 v32, 0x80000000, -1, vcc_lo
	s_delay_alu instid0(VALU_DEP_1) | instskip(NEXT) | instid1(VALU_DEP_1)
	v_dual_lshrrev_b32 v28, s20, v28 :: v_dual_bitop2_b32 v31, v32, v31 bitop3:0x14
	v_and_b32_e32 v28, s9, v28
	s_delay_alu instid0(VALU_DEP_1)
	v_lshlrev_b32_e32 v28, 3, v28
	ds_load_b64 v[28:29], v28
	s_wait_dscnt 0x0
	v_lshl_add_u64 v[28:29], v[28:29], 2, v[4:5]
	global_store_b32 v[28:29], v31, off offset:4096
.LBB1406_149:                           ;   in Loop: Header=BB1406_141 Depth=1
	s_wait_xcnt 0x0
	s_or_b32 exec_lo, exec_lo, s3
	s_delay_alu instid0(SALU_CYCLE_1)
	s_mov_b32 s3, exec_lo
	v_cmpx_gt_u32_e32 0xa00, v26
	s_cbranch_execz .LBB1406_140
; %bb.150:                              ;   in Loop: Header=BB1406_141 Depth=1
	ds_load_b32 v31, v23 offset:16384
	s_wait_dscnt 0x0
	v_cmp_ne_u32_e32 vcc_lo, 0x7fffffff, v31
	v_cndmask_b32_e32 v28, 0x80000000, v31, vcc_lo
	v_cmp_lt_i32_e32 vcc_lo, -1, v31
	v_cndmask_b32_e64 v32, 0x80000000, -1, vcc_lo
	s_delay_alu instid0(VALU_DEP_1) | instskip(NEXT) | instid1(VALU_DEP_1)
	v_dual_lshrrev_b32 v28, s20, v28 :: v_dual_bitop2_b32 v31, v32, v31 bitop3:0x14
	v_and_b32_e32 v28, s9, v28
	s_delay_alu instid0(VALU_DEP_1)
	v_lshlrev_b32_e32 v28, 3, v28
	ds_load_b64 v[28:29], v28
	s_wait_dscnt 0x0
	v_lshl_add_u64 v[28:29], v[28:29], 2, v[4:5]
	global_store_b32 v[28:29], v31, off offset:6144
	s_branch .LBB1406_140
.LBB1406_151:
	s_add_co_i32 s8, s8, -1
	s_delay_alu instid0(SALU_CYCLE_1) | instskip(SKIP_2) | instid1(SALU_CYCLE_1)
	s_cmp_eq_u32 s23, s8
	s_cselect_b32 s1, -1, 0
	s_xor_b32 s0, s0, -1
	s_and_b32 s0, s0, s1
	s_delay_alu instid0(SALU_CYCLE_1)
	s_and_saveexec_b32 s1, s0
	s_cbranch_execz .LBB1406_153
; %bb.152:
	ds_load_b64 v[4:5], v3
	v_mov_b32_e32 v3, 0
	s_delay_alu instid0(VALU_DEP_1) | instskip(SKIP_1) | instid1(VALU_DEP_1)
	v_add_nc_u64_e32 v[0:1], v[0:1], v[2:3]
	s_wait_dscnt 0x0
	v_add_nc_u64_e32 v[0:1], v[0:1], v[4:5]
	global_store_b64 v14, v[0:1], s[14:15] scale_offset
.LBB1406_153:
	s_sendmsg sendmsg(MSG_DEALLOC_VGPRS)
	s_endpgm
	.section	.rodata,"a",@progbits
	.p2align	6, 0x0
	.amdhsa_kernel _ZN7rocprim17ROCPRIM_400000_NS6detail17trampoline_kernelINS0_14default_configENS1_35radix_sort_onesweep_config_selectorIfNS0_10empty_typeEEEZZNS1_29radix_sort_onesweep_iterationIS3_Lb0EPKfPfPS5_SB_mNS0_19identity_decomposerENS1_16block_id_wrapperIjLb1EEEEE10hipError_tT1_PNSt15iterator_traitsISG_E10value_typeET2_T3_PNSH_ISM_E10value_typeET4_T5_PSR_SS_PNS1_23onesweep_lookback_stateEbbT6_jjT7_P12ihipStream_tbENKUlT_T0_SG_SL_E_clIS9_SA_SB_SB_EEDaSZ_S10_SG_SL_EUlSZ_E_NS1_11comp_targetILNS1_3genE0ELNS1_11target_archE4294967295ELNS1_3gpuE0ELNS1_3repE0EEENS1_47radix_sort_onesweep_sort_config_static_selectorELNS0_4arch9wavefront6targetE0EEEvSG_
		.amdhsa_group_segment_fixed_size 18504
		.amdhsa_private_segment_fixed_size 0
		.amdhsa_kernarg_size 344
		.amdhsa_user_sgpr_count 2
		.amdhsa_user_sgpr_dispatch_ptr 0
		.amdhsa_user_sgpr_queue_ptr 0
		.amdhsa_user_sgpr_kernarg_segment_ptr 1
		.amdhsa_user_sgpr_dispatch_id 0
		.amdhsa_user_sgpr_kernarg_preload_length 0
		.amdhsa_user_sgpr_kernarg_preload_offset 0
		.amdhsa_user_sgpr_private_segment_size 0
		.amdhsa_wavefront_size32 1
		.amdhsa_uses_dynamic_stack 0
		.amdhsa_enable_private_segment 0
		.amdhsa_system_sgpr_workgroup_id_x 1
		.amdhsa_system_sgpr_workgroup_id_y 0
		.amdhsa_system_sgpr_workgroup_id_z 0
		.amdhsa_system_sgpr_workgroup_info 0
		.amdhsa_system_vgpr_workitem_id 2
		.amdhsa_next_free_vgpr 65
		.amdhsa_next_free_sgpr 30
		.amdhsa_named_barrier_count 0
		.amdhsa_reserve_vcc 1
		.amdhsa_float_round_mode_32 0
		.amdhsa_float_round_mode_16_64 0
		.amdhsa_float_denorm_mode_32 3
		.amdhsa_float_denorm_mode_16_64 3
		.amdhsa_fp16_overflow 0
		.amdhsa_memory_ordered 1
		.amdhsa_forward_progress 1
		.amdhsa_inst_pref_size 136
		.amdhsa_round_robin_scheduling 0
		.amdhsa_exception_fp_ieee_invalid_op 0
		.amdhsa_exception_fp_denorm_src 0
		.amdhsa_exception_fp_ieee_div_zero 0
		.amdhsa_exception_fp_ieee_overflow 0
		.amdhsa_exception_fp_ieee_underflow 0
		.amdhsa_exception_fp_ieee_inexact 0
		.amdhsa_exception_int_div_zero 0
	.end_amdhsa_kernel
	.section	.text._ZN7rocprim17ROCPRIM_400000_NS6detail17trampoline_kernelINS0_14default_configENS1_35radix_sort_onesweep_config_selectorIfNS0_10empty_typeEEEZZNS1_29radix_sort_onesweep_iterationIS3_Lb0EPKfPfPS5_SB_mNS0_19identity_decomposerENS1_16block_id_wrapperIjLb1EEEEE10hipError_tT1_PNSt15iterator_traitsISG_E10value_typeET2_T3_PNSH_ISM_E10value_typeET4_T5_PSR_SS_PNS1_23onesweep_lookback_stateEbbT6_jjT7_P12ihipStream_tbENKUlT_T0_SG_SL_E_clIS9_SA_SB_SB_EEDaSZ_S10_SG_SL_EUlSZ_E_NS1_11comp_targetILNS1_3genE0ELNS1_11target_archE4294967295ELNS1_3gpuE0ELNS1_3repE0EEENS1_47radix_sort_onesweep_sort_config_static_selectorELNS0_4arch9wavefront6targetE0EEEvSG_,"axG",@progbits,_ZN7rocprim17ROCPRIM_400000_NS6detail17trampoline_kernelINS0_14default_configENS1_35radix_sort_onesweep_config_selectorIfNS0_10empty_typeEEEZZNS1_29radix_sort_onesweep_iterationIS3_Lb0EPKfPfPS5_SB_mNS0_19identity_decomposerENS1_16block_id_wrapperIjLb1EEEEE10hipError_tT1_PNSt15iterator_traitsISG_E10value_typeET2_T3_PNSH_ISM_E10value_typeET4_T5_PSR_SS_PNS1_23onesweep_lookback_stateEbbT6_jjT7_P12ihipStream_tbENKUlT_T0_SG_SL_E_clIS9_SA_SB_SB_EEDaSZ_S10_SG_SL_EUlSZ_E_NS1_11comp_targetILNS1_3genE0ELNS1_11target_archE4294967295ELNS1_3gpuE0ELNS1_3repE0EEENS1_47radix_sort_onesweep_sort_config_static_selectorELNS0_4arch9wavefront6targetE0EEEvSG_,comdat
.Lfunc_end1406:
	.size	_ZN7rocprim17ROCPRIM_400000_NS6detail17trampoline_kernelINS0_14default_configENS1_35radix_sort_onesweep_config_selectorIfNS0_10empty_typeEEEZZNS1_29radix_sort_onesweep_iterationIS3_Lb0EPKfPfPS5_SB_mNS0_19identity_decomposerENS1_16block_id_wrapperIjLb1EEEEE10hipError_tT1_PNSt15iterator_traitsISG_E10value_typeET2_T3_PNSH_ISM_E10value_typeET4_T5_PSR_SS_PNS1_23onesweep_lookback_stateEbbT6_jjT7_P12ihipStream_tbENKUlT_T0_SG_SL_E_clIS9_SA_SB_SB_EEDaSZ_S10_SG_SL_EUlSZ_E_NS1_11comp_targetILNS1_3genE0ELNS1_11target_archE4294967295ELNS1_3gpuE0ELNS1_3repE0EEENS1_47radix_sort_onesweep_sort_config_static_selectorELNS0_4arch9wavefront6targetE0EEEvSG_, .Lfunc_end1406-_ZN7rocprim17ROCPRIM_400000_NS6detail17trampoline_kernelINS0_14default_configENS1_35radix_sort_onesweep_config_selectorIfNS0_10empty_typeEEEZZNS1_29radix_sort_onesweep_iterationIS3_Lb0EPKfPfPS5_SB_mNS0_19identity_decomposerENS1_16block_id_wrapperIjLb1EEEEE10hipError_tT1_PNSt15iterator_traitsISG_E10value_typeET2_T3_PNSH_ISM_E10value_typeET4_T5_PSR_SS_PNS1_23onesweep_lookback_stateEbbT6_jjT7_P12ihipStream_tbENKUlT_T0_SG_SL_E_clIS9_SA_SB_SB_EEDaSZ_S10_SG_SL_EUlSZ_E_NS1_11comp_targetILNS1_3genE0ELNS1_11target_archE4294967295ELNS1_3gpuE0ELNS1_3repE0EEENS1_47radix_sort_onesweep_sort_config_static_selectorELNS0_4arch9wavefront6targetE0EEEvSG_
                                        ; -- End function
	.set _ZN7rocprim17ROCPRIM_400000_NS6detail17trampoline_kernelINS0_14default_configENS1_35radix_sort_onesweep_config_selectorIfNS0_10empty_typeEEEZZNS1_29radix_sort_onesweep_iterationIS3_Lb0EPKfPfPS5_SB_mNS0_19identity_decomposerENS1_16block_id_wrapperIjLb1EEEEE10hipError_tT1_PNSt15iterator_traitsISG_E10value_typeET2_T3_PNSH_ISM_E10value_typeET4_T5_PSR_SS_PNS1_23onesweep_lookback_stateEbbT6_jjT7_P12ihipStream_tbENKUlT_T0_SG_SL_E_clIS9_SA_SB_SB_EEDaSZ_S10_SG_SL_EUlSZ_E_NS1_11comp_targetILNS1_3genE0ELNS1_11target_archE4294967295ELNS1_3gpuE0ELNS1_3repE0EEENS1_47radix_sort_onesweep_sort_config_static_selectorELNS0_4arch9wavefront6targetE0EEEvSG_.num_vgpr, 65
	.set _ZN7rocprim17ROCPRIM_400000_NS6detail17trampoline_kernelINS0_14default_configENS1_35radix_sort_onesweep_config_selectorIfNS0_10empty_typeEEEZZNS1_29radix_sort_onesweep_iterationIS3_Lb0EPKfPfPS5_SB_mNS0_19identity_decomposerENS1_16block_id_wrapperIjLb1EEEEE10hipError_tT1_PNSt15iterator_traitsISG_E10value_typeET2_T3_PNSH_ISM_E10value_typeET4_T5_PSR_SS_PNS1_23onesweep_lookback_stateEbbT6_jjT7_P12ihipStream_tbENKUlT_T0_SG_SL_E_clIS9_SA_SB_SB_EEDaSZ_S10_SG_SL_EUlSZ_E_NS1_11comp_targetILNS1_3genE0ELNS1_11target_archE4294967295ELNS1_3gpuE0ELNS1_3repE0EEENS1_47radix_sort_onesweep_sort_config_static_selectorELNS0_4arch9wavefront6targetE0EEEvSG_.num_agpr, 0
	.set _ZN7rocprim17ROCPRIM_400000_NS6detail17trampoline_kernelINS0_14default_configENS1_35radix_sort_onesweep_config_selectorIfNS0_10empty_typeEEEZZNS1_29radix_sort_onesweep_iterationIS3_Lb0EPKfPfPS5_SB_mNS0_19identity_decomposerENS1_16block_id_wrapperIjLb1EEEEE10hipError_tT1_PNSt15iterator_traitsISG_E10value_typeET2_T3_PNSH_ISM_E10value_typeET4_T5_PSR_SS_PNS1_23onesweep_lookback_stateEbbT6_jjT7_P12ihipStream_tbENKUlT_T0_SG_SL_E_clIS9_SA_SB_SB_EEDaSZ_S10_SG_SL_EUlSZ_E_NS1_11comp_targetILNS1_3genE0ELNS1_11target_archE4294967295ELNS1_3gpuE0ELNS1_3repE0EEENS1_47radix_sort_onesweep_sort_config_static_selectorELNS0_4arch9wavefront6targetE0EEEvSG_.numbered_sgpr, 30
	.set _ZN7rocprim17ROCPRIM_400000_NS6detail17trampoline_kernelINS0_14default_configENS1_35radix_sort_onesweep_config_selectorIfNS0_10empty_typeEEEZZNS1_29radix_sort_onesweep_iterationIS3_Lb0EPKfPfPS5_SB_mNS0_19identity_decomposerENS1_16block_id_wrapperIjLb1EEEEE10hipError_tT1_PNSt15iterator_traitsISG_E10value_typeET2_T3_PNSH_ISM_E10value_typeET4_T5_PSR_SS_PNS1_23onesweep_lookback_stateEbbT6_jjT7_P12ihipStream_tbENKUlT_T0_SG_SL_E_clIS9_SA_SB_SB_EEDaSZ_S10_SG_SL_EUlSZ_E_NS1_11comp_targetILNS1_3genE0ELNS1_11target_archE4294967295ELNS1_3gpuE0ELNS1_3repE0EEENS1_47radix_sort_onesweep_sort_config_static_selectorELNS0_4arch9wavefront6targetE0EEEvSG_.num_named_barrier, 0
	.set _ZN7rocprim17ROCPRIM_400000_NS6detail17trampoline_kernelINS0_14default_configENS1_35radix_sort_onesweep_config_selectorIfNS0_10empty_typeEEEZZNS1_29radix_sort_onesweep_iterationIS3_Lb0EPKfPfPS5_SB_mNS0_19identity_decomposerENS1_16block_id_wrapperIjLb1EEEEE10hipError_tT1_PNSt15iterator_traitsISG_E10value_typeET2_T3_PNSH_ISM_E10value_typeET4_T5_PSR_SS_PNS1_23onesweep_lookback_stateEbbT6_jjT7_P12ihipStream_tbENKUlT_T0_SG_SL_E_clIS9_SA_SB_SB_EEDaSZ_S10_SG_SL_EUlSZ_E_NS1_11comp_targetILNS1_3genE0ELNS1_11target_archE4294967295ELNS1_3gpuE0ELNS1_3repE0EEENS1_47radix_sort_onesweep_sort_config_static_selectorELNS0_4arch9wavefront6targetE0EEEvSG_.private_seg_size, 0
	.set _ZN7rocprim17ROCPRIM_400000_NS6detail17trampoline_kernelINS0_14default_configENS1_35radix_sort_onesweep_config_selectorIfNS0_10empty_typeEEEZZNS1_29radix_sort_onesweep_iterationIS3_Lb0EPKfPfPS5_SB_mNS0_19identity_decomposerENS1_16block_id_wrapperIjLb1EEEEE10hipError_tT1_PNSt15iterator_traitsISG_E10value_typeET2_T3_PNSH_ISM_E10value_typeET4_T5_PSR_SS_PNS1_23onesweep_lookback_stateEbbT6_jjT7_P12ihipStream_tbENKUlT_T0_SG_SL_E_clIS9_SA_SB_SB_EEDaSZ_S10_SG_SL_EUlSZ_E_NS1_11comp_targetILNS1_3genE0ELNS1_11target_archE4294967295ELNS1_3gpuE0ELNS1_3repE0EEENS1_47radix_sort_onesweep_sort_config_static_selectorELNS0_4arch9wavefront6targetE0EEEvSG_.uses_vcc, 1
	.set _ZN7rocprim17ROCPRIM_400000_NS6detail17trampoline_kernelINS0_14default_configENS1_35radix_sort_onesweep_config_selectorIfNS0_10empty_typeEEEZZNS1_29radix_sort_onesweep_iterationIS3_Lb0EPKfPfPS5_SB_mNS0_19identity_decomposerENS1_16block_id_wrapperIjLb1EEEEE10hipError_tT1_PNSt15iterator_traitsISG_E10value_typeET2_T3_PNSH_ISM_E10value_typeET4_T5_PSR_SS_PNS1_23onesweep_lookback_stateEbbT6_jjT7_P12ihipStream_tbENKUlT_T0_SG_SL_E_clIS9_SA_SB_SB_EEDaSZ_S10_SG_SL_EUlSZ_E_NS1_11comp_targetILNS1_3genE0ELNS1_11target_archE4294967295ELNS1_3gpuE0ELNS1_3repE0EEENS1_47radix_sort_onesweep_sort_config_static_selectorELNS0_4arch9wavefront6targetE0EEEvSG_.uses_flat_scratch, 0
	.set _ZN7rocprim17ROCPRIM_400000_NS6detail17trampoline_kernelINS0_14default_configENS1_35radix_sort_onesweep_config_selectorIfNS0_10empty_typeEEEZZNS1_29radix_sort_onesweep_iterationIS3_Lb0EPKfPfPS5_SB_mNS0_19identity_decomposerENS1_16block_id_wrapperIjLb1EEEEE10hipError_tT1_PNSt15iterator_traitsISG_E10value_typeET2_T3_PNSH_ISM_E10value_typeET4_T5_PSR_SS_PNS1_23onesweep_lookback_stateEbbT6_jjT7_P12ihipStream_tbENKUlT_T0_SG_SL_E_clIS9_SA_SB_SB_EEDaSZ_S10_SG_SL_EUlSZ_E_NS1_11comp_targetILNS1_3genE0ELNS1_11target_archE4294967295ELNS1_3gpuE0ELNS1_3repE0EEENS1_47radix_sort_onesweep_sort_config_static_selectorELNS0_4arch9wavefront6targetE0EEEvSG_.has_dyn_sized_stack, 0
	.set _ZN7rocprim17ROCPRIM_400000_NS6detail17trampoline_kernelINS0_14default_configENS1_35radix_sort_onesweep_config_selectorIfNS0_10empty_typeEEEZZNS1_29radix_sort_onesweep_iterationIS3_Lb0EPKfPfPS5_SB_mNS0_19identity_decomposerENS1_16block_id_wrapperIjLb1EEEEE10hipError_tT1_PNSt15iterator_traitsISG_E10value_typeET2_T3_PNSH_ISM_E10value_typeET4_T5_PSR_SS_PNS1_23onesweep_lookback_stateEbbT6_jjT7_P12ihipStream_tbENKUlT_T0_SG_SL_E_clIS9_SA_SB_SB_EEDaSZ_S10_SG_SL_EUlSZ_E_NS1_11comp_targetILNS1_3genE0ELNS1_11target_archE4294967295ELNS1_3gpuE0ELNS1_3repE0EEENS1_47radix_sort_onesweep_sort_config_static_selectorELNS0_4arch9wavefront6targetE0EEEvSG_.has_recursion, 0
	.set _ZN7rocprim17ROCPRIM_400000_NS6detail17trampoline_kernelINS0_14default_configENS1_35radix_sort_onesweep_config_selectorIfNS0_10empty_typeEEEZZNS1_29radix_sort_onesweep_iterationIS3_Lb0EPKfPfPS5_SB_mNS0_19identity_decomposerENS1_16block_id_wrapperIjLb1EEEEE10hipError_tT1_PNSt15iterator_traitsISG_E10value_typeET2_T3_PNSH_ISM_E10value_typeET4_T5_PSR_SS_PNS1_23onesweep_lookback_stateEbbT6_jjT7_P12ihipStream_tbENKUlT_T0_SG_SL_E_clIS9_SA_SB_SB_EEDaSZ_S10_SG_SL_EUlSZ_E_NS1_11comp_targetILNS1_3genE0ELNS1_11target_archE4294967295ELNS1_3gpuE0ELNS1_3repE0EEENS1_47radix_sort_onesweep_sort_config_static_selectorELNS0_4arch9wavefront6targetE0EEEvSG_.has_indirect_call, 0
	.section	.AMDGPU.csdata,"",@progbits
; Kernel info:
; codeLenInByte = 17312
; TotalNumSgprs: 32
; NumVgprs: 65
; ScratchSize: 0
; MemoryBound: 0
; FloatMode: 240
; IeeeMode: 1
; LDSByteSize: 18504 bytes/workgroup (compile time only)
; SGPRBlocks: 0
; VGPRBlocks: 4
; NumSGPRsForWavesPerEU: 32
; NumVGPRsForWavesPerEU: 65
; NamedBarCnt: 0
; Occupancy: 12
; WaveLimiterHint : 1
; COMPUTE_PGM_RSRC2:SCRATCH_EN: 0
; COMPUTE_PGM_RSRC2:USER_SGPR: 2
; COMPUTE_PGM_RSRC2:TRAP_HANDLER: 0
; COMPUTE_PGM_RSRC2:TGID_X_EN: 1
; COMPUTE_PGM_RSRC2:TGID_Y_EN: 0
; COMPUTE_PGM_RSRC2:TGID_Z_EN: 0
; COMPUTE_PGM_RSRC2:TIDIG_COMP_CNT: 2
	.section	.text._ZN7rocprim17ROCPRIM_400000_NS6detail17trampoline_kernelINS0_14default_configENS1_35radix_sort_onesweep_config_selectorIfNS0_10empty_typeEEEZZNS1_29radix_sort_onesweep_iterationIS3_Lb0EPKfPfPS5_SB_mNS0_19identity_decomposerENS1_16block_id_wrapperIjLb1EEEEE10hipError_tT1_PNSt15iterator_traitsISG_E10value_typeET2_T3_PNSH_ISM_E10value_typeET4_T5_PSR_SS_PNS1_23onesweep_lookback_stateEbbT6_jjT7_P12ihipStream_tbENKUlT_T0_SG_SL_E_clIS9_SA_SB_SB_EEDaSZ_S10_SG_SL_EUlSZ_E_NS1_11comp_targetILNS1_3genE6ELNS1_11target_archE950ELNS1_3gpuE13ELNS1_3repE0EEENS1_47radix_sort_onesweep_sort_config_static_selectorELNS0_4arch9wavefront6targetE0EEEvSG_,"axG",@progbits,_ZN7rocprim17ROCPRIM_400000_NS6detail17trampoline_kernelINS0_14default_configENS1_35radix_sort_onesweep_config_selectorIfNS0_10empty_typeEEEZZNS1_29radix_sort_onesweep_iterationIS3_Lb0EPKfPfPS5_SB_mNS0_19identity_decomposerENS1_16block_id_wrapperIjLb1EEEEE10hipError_tT1_PNSt15iterator_traitsISG_E10value_typeET2_T3_PNSH_ISM_E10value_typeET4_T5_PSR_SS_PNS1_23onesweep_lookback_stateEbbT6_jjT7_P12ihipStream_tbENKUlT_T0_SG_SL_E_clIS9_SA_SB_SB_EEDaSZ_S10_SG_SL_EUlSZ_E_NS1_11comp_targetILNS1_3genE6ELNS1_11target_archE950ELNS1_3gpuE13ELNS1_3repE0EEENS1_47radix_sort_onesweep_sort_config_static_selectorELNS0_4arch9wavefront6targetE0EEEvSG_,comdat
	.protected	_ZN7rocprim17ROCPRIM_400000_NS6detail17trampoline_kernelINS0_14default_configENS1_35radix_sort_onesweep_config_selectorIfNS0_10empty_typeEEEZZNS1_29radix_sort_onesweep_iterationIS3_Lb0EPKfPfPS5_SB_mNS0_19identity_decomposerENS1_16block_id_wrapperIjLb1EEEEE10hipError_tT1_PNSt15iterator_traitsISG_E10value_typeET2_T3_PNSH_ISM_E10value_typeET4_T5_PSR_SS_PNS1_23onesweep_lookback_stateEbbT6_jjT7_P12ihipStream_tbENKUlT_T0_SG_SL_E_clIS9_SA_SB_SB_EEDaSZ_S10_SG_SL_EUlSZ_E_NS1_11comp_targetILNS1_3genE6ELNS1_11target_archE950ELNS1_3gpuE13ELNS1_3repE0EEENS1_47radix_sort_onesweep_sort_config_static_selectorELNS0_4arch9wavefront6targetE0EEEvSG_ ; -- Begin function _ZN7rocprim17ROCPRIM_400000_NS6detail17trampoline_kernelINS0_14default_configENS1_35radix_sort_onesweep_config_selectorIfNS0_10empty_typeEEEZZNS1_29radix_sort_onesweep_iterationIS3_Lb0EPKfPfPS5_SB_mNS0_19identity_decomposerENS1_16block_id_wrapperIjLb1EEEEE10hipError_tT1_PNSt15iterator_traitsISG_E10value_typeET2_T3_PNSH_ISM_E10value_typeET4_T5_PSR_SS_PNS1_23onesweep_lookback_stateEbbT6_jjT7_P12ihipStream_tbENKUlT_T0_SG_SL_E_clIS9_SA_SB_SB_EEDaSZ_S10_SG_SL_EUlSZ_E_NS1_11comp_targetILNS1_3genE6ELNS1_11target_archE950ELNS1_3gpuE13ELNS1_3repE0EEENS1_47radix_sort_onesweep_sort_config_static_selectorELNS0_4arch9wavefront6targetE0EEEvSG_
	.globl	_ZN7rocprim17ROCPRIM_400000_NS6detail17trampoline_kernelINS0_14default_configENS1_35radix_sort_onesweep_config_selectorIfNS0_10empty_typeEEEZZNS1_29radix_sort_onesweep_iterationIS3_Lb0EPKfPfPS5_SB_mNS0_19identity_decomposerENS1_16block_id_wrapperIjLb1EEEEE10hipError_tT1_PNSt15iterator_traitsISG_E10value_typeET2_T3_PNSH_ISM_E10value_typeET4_T5_PSR_SS_PNS1_23onesweep_lookback_stateEbbT6_jjT7_P12ihipStream_tbENKUlT_T0_SG_SL_E_clIS9_SA_SB_SB_EEDaSZ_S10_SG_SL_EUlSZ_E_NS1_11comp_targetILNS1_3genE6ELNS1_11target_archE950ELNS1_3gpuE13ELNS1_3repE0EEENS1_47radix_sort_onesweep_sort_config_static_selectorELNS0_4arch9wavefront6targetE0EEEvSG_
	.p2align	8
	.type	_ZN7rocprim17ROCPRIM_400000_NS6detail17trampoline_kernelINS0_14default_configENS1_35radix_sort_onesweep_config_selectorIfNS0_10empty_typeEEEZZNS1_29radix_sort_onesweep_iterationIS3_Lb0EPKfPfPS5_SB_mNS0_19identity_decomposerENS1_16block_id_wrapperIjLb1EEEEE10hipError_tT1_PNSt15iterator_traitsISG_E10value_typeET2_T3_PNSH_ISM_E10value_typeET4_T5_PSR_SS_PNS1_23onesweep_lookback_stateEbbT6_jjT7_P12ihipStream_tbENKUlT_T0_SG_SL_E_clIS9_SA_SB_SB_EEDaSZ_S10_SG_SL_EUlSZ_E_NS1_11comp_targetILNS1_3genE6ELNS1_11target_archE950ELNS1_3gpuE13ELNS1_3repE0EEENS1_47radix_sort_onesweep_sort_config_static_selectorELNS0_4arch9wavefront6targetE0EEEvSG_,@function
_ZN7rocprim17ROCPRIM_400000_NS6detail17trampoline_kernelINS0_14default_configENS1_35radix_sort_onesweep_config_selectorIfNS0_10empty_typeEEEZZNS1_29radix_sort_onesweep_iterationIS3_Lb0EPKfPfPS5_SB_mNS0_19identity_decomposerENS1_16block_id_wrapperIjLb1EEEEE10hipError_tT1_PNSt15iterator_traitsISG_E10value_typeET2_T3_PNSH_ISM_E10value_typeET4_T5_PSR_SS_PNS1_23onesweep_lookback_stateEbbT6_jjT7_P12ihipStream_tbENKUlT_T0_SG_SL_E_clIS9_SA_SB_SB_EEDaSZ_S10_SG_SL_EUlSZ_E_NS1_11comp_targetILNS1_3genE6ELNS1_11target_archE950ELNS1_3gpuE13ELNS1_3repE0EEENS1_47radix_sort_onesweep_sort_config_static_selectorELNS0_4arch9wavefront6targetE0EEEvSG_: ; @_ZN7rocprim17ROCPRIM_400000_NS6detail17trampoline_kernelINS0_14default_configENS1_35radix_sort_onesweep_config_selectorIfNS0_10empty_typeEEEZZNS1_29radix_sort_onesweep_iterationIS3_Lb0EPKfPfPS5_SB_mNS0_19identity_decomposerENS1_16block_id_wrapperIjLb1EEEEE10hipError_tT1_PNSt15iterator_traitsISG_E10value_typeET2_T3_PNSH_ISM_E10value_typeET4_T5_PSR_SS_PNS1_23onesweep_lookback_stateEbbT6_jjT7_P12ihipStream_tbENKUlT_T0_SG_SL_E_clIS9_SA_SB_SB_EEDaSZ_S10_SG_SL_EUlSZ_E_NS1_11comp_targetILNS1_3genE6ELNS1_11target_archE950ELNS1_3gpuE13ELNS1_3repE0EEENS1_47radix_sort_onesweep_sort_config_static_selectorELNS0_4arch9wavefront6targetE0EEEvSG_
; %bb.0:
	.section	.rodata,"a",@progbits
	.p2align	6, 0x0
	.amdhsa_kernel _ZN7rocprim17ROCPRIM_400000_NS6detail17trampoline_kernelINS0_14default_configENS1_35radix_sort_onesweep_config_selectorIfNS0_10empty_typeEEEZZNS1_29radix_sort_onesweep_iterationIS3_Lb0EPKfPfPS5_SB_mNS0_19identity_decomposerENS1_16block_id_wrapperIjLb1EEEEE10hipError_tT1_PNSt15iterator_traitsISG_E10value_typeET2_T3_PNSH_ISM_E10value_typeET4_T5_PSR_SS_PNS1_23onesweep_lookback_stateEbbT6_jjT7_P12ihipStream_tbENKUlT_T0_SG_SL_E_clIS9_SA_SB_SB_EEDaSZ_S10_SG_SL_EUlSZ_E_NS1_11comp_targetILNS1_3genE6ELNS1_11target_archE950ELNS1_3gpuE13ELNS1_3repE0EEENS1_47radix_sort_onesweep_sort_config_static_selectorELNS0_4arch9wavefront6targetE0EEEvSG_
		.amdhsa_group_segment_fixed_size 0
		.amdhsa_private_segment_fixed_size 0
		.amdhsa_kernarg_size 88
		.amdhsa_user_sgpr_count 2
		.amdhsa_user_sgpr_dispatch_ptr 0
		.amdhsa_user_sgpr_queue_ptr 0
		.amdhsa_user_sgpr_kernarg_segment_ptr 1
		.amdhsa_user_sgpr_dispatch_id 0
		.amdhsa_user_sgpr_kernarg_preload_length 0
		.amdhsa_user_sgpr_kernarg_preload_offset 0
		.amdhsa_user_sgpr_private_segment_size 0
		.amdhsa_wavefront_size32 1
		.amdhsa_uses_dynamic_stack 0
		.amdhsa_enable_private_segment 0
		.amdhsa_system_sgpr_workgroup_id_x 1
		.amdhsa_system_sgpr_workgroup_id_y 0
		.amdhsa_system_sgpr_workgroup_id_z 0
		.amdhsa_system_sgpr_workgroup_info 0
		.amdhsa_system_vgpr_workitem_id 0
		.amdhsa_next_free_vgpr 1
		.amdhsa_next_free_sgpr 1
		.amdhsa_named_barrier_count 0
		.amdhsa_reserve_vcc 0
		.amdhsa_float_round_mode_32 0
		.amdhsa_float_round_mode_16_64 0
		.amdhsa_float_denorm_mode_32 3
		.amdhsa_float_denorm_mode_16_64 3
		.amdhsa_fp16_overflow 0
		.amdhsa_memory_ordered 1
		.amdhsa_forward_progress 1
		.amdhsa_inst_pref_size 0
		.amdhsa_round_robin_scheduling 0
		.amdhsa_exception_fp_ieee_invalid_op 0
		.amdhsa_exception_fp_denorm_src 0
		.amdhsa_exception_fp_ieee_div_zero 0
		.amdhsa_exception_fp_ieee_overflow 0
		.amdhsa_exception_fp_ieee_underflow 0
		.amdhsa_exception_fp_ieee_inexact 0
		.amdhsa_exception_int_div_zero 0
	.end_amdhsa_kernel
	.section	.text._ZN7rocprim17ROCPRIM_400000_NS6detail17trampoline_kernelINS0_14default_configENS1_35radix_sort_onesweep_config_selectorIfNS0_10empty_typeEEEZZNS1_29radix_sort_onesweep_iterationIS3_Lb0EPKfPfPS5_SB_mNS0_19identity_decomposerENS1_16block_id_wrapperIjLb1EEEEE10hipError_tT1_PNSt15iterator_traitsISG_E10value_typeET2_T3_PNSH_ISM_E10value_typeET4_T5_PSR_SS_PNS1_23onesweep_lookback_stateEbbT6_jjT7_P12ihipStream_tbENKUlT_T0_SG_SL_E_clIS9_SA_SB_SB_EEDaSZ_S10_SG_SL_EUlSZ_E_NS1_11comp_targetILNS1_3genE6ELNS1_11target_archE950ELNS1_3gpuE13ELNS1_3repE0EEENS1_47radix_sort_onesweep_sort_config_static_selectorELNS0_4arch9wavefront6targetE0EEEvSG_,"axG",@progbits,_ZN7rocprim17ROCPRIM_400000_NS6detail17trampoline_kernelINS0_14default_configENS1_35radix_sort_onesweep_config_selectorIfNS0_10empty_typeEEEZZNS1_29radix_sort_onesweep_iterationIS3_Lb0EPKfPfPS5_SB_mNS0_19identity_decomposerENS1_16block_id_wrapperIjLb1EEEEE10hipError_tT1_PNSt15iterator_traitsISG_E10value_typeET2_T3_PNSH_ISM_E10value_typeET4_T5_PSR_SS_PNS1_23onesweep_lookback_stateEbbT6_jjT7_P12ihipStream_tbENKUlT_T0_SG_SL_E_clIS9_SA_SB_SB_EEDaSZ_S10_SG_SL_EUlSZ_E_NS1_11comp_targetILNS1_3genE6ELNS1_11target_archE950ELNS1_3gpuE13ELNS1_3repE0EEENS1_47radix_sort_onesweep_sort_config_static_selectorELNS0_4arch9wavefront6targetE0EEEvSG_,comdat
.Lfunc_end1407:
	.size	_ZN7rocprim17ROCPRIM_400000_NS6detail17trampoline_kernelINS0_14default_configENS1_35radix_sort_onesweep_config_selectorIfNS0_10empty_typeEEEZZNS1_29radix_sort_onesweep_iterationIS3_Lb0EPKfPfPS5_SB_mNS0_19identity_decomposerENS1_16block_id_wrapperIjLb1EEEEE10hipError_tT1_PNSt15iterator_traitsISG_E10value_typeET2_T3_PNSH_ISM_E10value_typeET4_T5_PSR_SS_PNS1_23onesweep_lookback_stateEbbT6_jjT7_P12ihipStream_tbENKUlT_T0_SG_SL_E_clIS9_SA_SB_SB_EEDaSZ_S10_SG_SL_EUlSZ_E_NS1_11comp_targetILNS1_3genE6ELNS1_11target_archE950ELNS1_3gpuE13ELNS1_3repE0EEENS1_47radix_sort_onesweep_sort_config_static_selectorELNS0_4arch9wavefront6targetE0EEEvSG_, .Lfunc_end1407-_ZN7rocprim17ROCPRIM_400000_NS6detail17trampoline_kernelINS0_14default_configENS1_35radix_sort_onesweep_config_selectorIfNS0_10empty_typeEEEZZNS1_29radix_sort_onesweep_iterationIS3_Lb0EPKfPfPS5_SB_mNS0_19identity_decomposerENS1_16block_id_wrapperIjLb1EEEEE10hipError_tT1_PNSt15iterator_traitsISG_E10value_typeET2_T3_PNSH_ISM_E10value_typeET4_T5_PSR_SS_PNS1_23onesweep_lookback_stateEbbT6_jjT7_P12ihipStream_tbENKUlT_T0_SG_SL_E_clIS9_SA_SB_SB_EEDaSZ_S10_SG_SL_EUlSZ_E_NS1_11comp_targetILNS1_3genE6ELNS1_11target_archE950ELNS1_3gpuE13ELNS1_3repE0EEENS1_47radix_sort_onesweep_sort_config_static_selectorELNS0_4arch9wavefront6targetE0EEEvSG_
                                        ; -- End function
	.set _ZN7rocprim17ROCPRIM_400000_NS6detail17trampoline_kernelINS0_14default_configENS1_35radix_sort_onesweep_config_selectorIfNS0_10empty_typeEEEZZNS1_29radix_sort_onesweep_iterationIS3_Lb0EPKfPfPS5_SB_mNS0_19identity_decomposerENS1_16block_id_wrapperIjLb1EEEEE10hipError_tT1_PNSt15iterator_traitsISG_E10value_typeET2_T3_PNSH_ISM_E10value_typeET4_T5_PSR_SS_PNS1_23onesweep_lookback_stateEbbT6_jjT7_P12ihipStream_tbENKUlT_T0_SG_SL_E_clIS9_SA_SB_SB_EEDaSZ_S10_SG_SL_EUlSZ_E_NS1_11comp_targetILNS1_3genE6ELNS1_11target_archE950ELNS1_3gpuE13ELNS1_3repE0EEENS1_47radix_sort_onesweep_sort_config_static_selectorELNS0_4arch9wavefront6targetE0EEEvSG_.num_vgpr, 0
	.set _ZN7rocprim17ROCPRIM_400000_NS6detail17trampoline_kernelINS0_14default_configENS1_35radix_sort_onesweep_config_selectorIfNS0_10empty_typeEEEZZNS1_29radix_sort_onesweep_iterationIS3_Lb0EPKfPfPS5_SB_mNS0_19identity_decomposerENS1_16block_id_wrapperIjLb1EEEEE10hipError_tT1_PNSt15iterator_traitsISG_E10value_typeET2_T3_PNSH_ISM_E10value_typeET4_T5_PSR_SS_PNS1_23onesweep_lookback_stateEbbT6_jjT7_P12ihipStream_tbENKUlT_T0_SG_SL_E_clIS9_SA_SB_SB_EEDaSZ_S10_SG_SL_EUlSZ_E_NS1_11comp_targetILNS1_3genE6ELNS1_11target_archE950ELNS1_3gpuE13ELNS1_3repE0EEENS1_47radix_sort_onesweep_sort_config_static_selectorELNS0_4arch9wavefront6targetE0EEEvSG_.num_agpr, 0
	.set _ZN7rocprim17ROCPRIM_400000_NS6detail17trampoline_kernelINS0_14default_configENS1_35radix_sort_onesweep_config_selectorIfNS0_10empty_typeEEEZZNS1_29radix_sort_onesweep_iterationIS3_Lb0EPKfPfPS5_SB_mNS0_19identity_decomposerENS1_16block_id_wrapperIjLb1EEEEE10hipError_tT1_PNSt15iterator_traitsISG_E10value_typeET2_T3_PNSH_ISM_E10value_typeET4_T5_PSR_SS_PNS1_23onesweep_lookback_stateEbbT6_jjT7_P12ihipStream_tbENKUlT_T0_SG_SL_E_clIS9_SA_SB_SB_EEDaSZ_S10_SG_SL_EUlSZ_E_NS1_11comp_targetILNS1_3genE6ELNS1_11target_archE950ELNS1_3gpuE13ELNS1_3repE0EEENS1_47radix_sort_onesweep_sort_config_static_selectorELNS0_4arch9wavefront6targetE0EEEvSG_.numbered_sgpr, 0
	.set _ZN7rocprim17ROCPRIM_400000_NS6detail17trampoline_kernelINS0_14default_configENS1_35radix_sort_onesweep_config_selectorIfNS0_10empty_typeEEEZZNS1_29radix_sort_onesweep_iterationIS3_Lb0EPKfPfPS5_SB_mNS0_19identity_decomposerENS1_16block_id_wrapperIjLb1EEEEE10hipError_tT1_PNSt15iterator_traitsISG_E10value_typeET2_T3_PNSH_ISM_E10value_typeET4_T5_PSR_SS_PNS1_23onesweep_lookback_stateEbbT6_jjT7_P12ihipStream_tbENKUlT_T0_SG_SL_E_clIS9_SA_SB_SB_EEDaSZ_S10_SG_SL_EUlSZ_E_NS1_11comp_targetILNS1_3genE6ELNS1_11target_archE950ELNS1_3gpuE13ELNS1_3repE0EEENS1_47radix_sort_onesweep_sort_config_static_selectorELNS0_4arch9wavefront6targetE0EEEvSG_.num_named_barrier, 0
	.set _ZN7rocprim17ROCPRIM_400000_NS6detail17trampoline_kernelINS0_14default_configENS1_35radix_sort_onesweep_config_selectorIfNS0_10empty_typeEEEZZNS1_29radix_sort_onesweep_iterationIS3_Lb0EPKfPfPS5_SB_mNS0_19identity_decomposerENS1_16block_id_wrapperIjLb1EEEEE10hipError_tT1_PNSt15iterator_traitsISG_E10value_typeET2_T3_PNSH_ISM_E10value_typeET4_T5_PSR_SS_PNS1_23onesweep_lookback_stateEbbT6_jjT7_P12ihipStream_tbENKUlT_T0_SG_SL_E_clIS9_SA_SB_SB_EEDaSZ_S10_SG_SL_EUlSZ_E_NS1_11comp_targetILNS1_3genE6ELNS1_11target_archE950ELNS1_3gpuE13ELNS1_3repE0EEENS1_47radix_sort_onesweep_sort_config_static_selectorELNS0_4arch9wavefront6targetE0EEEvSG_.private_seg_size, 0
	.set _ZN7rocprim17ROCPRIM_400000_NS6detail17trampoline_kernelINS0_14default_configENS1_35radix_sort_onesweep_config_selectorIfNS0_10empty_typeEEEZZNS1_29radix_sort_onesweep_iterationIS3_Lb0EPKfPfPS5_SB_mNS0_19identity_decomposerENS1_16block_id_wrapperIjLb1EEEEE10hipError_tT1_PNSt15iterator_traitsISG_E10value_typeET2_T3_PNSH_ISM_E10value_typeET4_T5_PSR_SS_PNS1_23onesweep_lookback_stateEbbT6_jjT7_P12ihipStream_tbENKUlT_T0_SG_SL_E_clIS9_SA_SB_SB_EEDaSZ_S10_SG_SL_EUlSZ_E_NS1_11comp_targetILNS1_3genE6ELNS1_11target_archE950ELNS1_3gpuE13ELNS1_3repE0EEENS1_47radix_sort_onesweep_sort_config_static_selectorELNS0_4arch9wavefront6targetE0EEEvSG_.uses_vcc, 0
	.set _ZN7rocprim17ROCPRIM_400000_NS6detail17trampoline_kernelINS0_14default_configENS1_35radix_sort_onesweep_config_selectorIfNS0_10empty_typeEEEZZNS1_29radix_sort_onesweep_iterationIS3_Lb0EPKfPfPS5_SB_mNS0_19identity_decomposerENS1_16block_id_wrapperIjLb1EEEEE10hipError_tT1_PNSt15iterator_traitsISG_E10value_typeET2_T3_PNSH_ISM_E10value_typeET4_T5_PSR_SS_PNS1_23onesweep_lookback_stateEbbT6_jjT7_P12ihipStream_tbENKUlT_T0_SG_SL_E_clIS9_SA_SB_SB_EEDaSZ_S10_SG_SL_EUlSZ_E_NS1_11comp_targetILNS1_3genE6ELNS1_11target_archE950ELNS1_3gpuE13ELNS1_3repE0EEENS1_47radix_sort_onesweep_sort_config_static_selectorELNS0_4arch9wavefront6targetE0EEEvSG_.uses_flat_scratch, 0
	.set _ZN7rocprim17ROCPRIM_400000_NS6detail17trampoline_kernelINS0_14default_configENS1_35radix_sort_onesweep_config_selectorIfNS0_10empty_typeEEEZZNS1_29radix_sort_onesweep_iterationIS3_Lb0EPKfPfPS5_SB_mNS0_19identity_decomposerENS1_16block_id_wrapperIjLb1EEEEE10hipError_tT1_PNSt15iterator_traitsISG_E10value_typeET2_T3_PNSH_ISM_E10value_typeET4_T5_PSR_SS_PNS1_23onesweep_lookback_stateEbbT6_jjT7_P12ihipStream_tbENKUlT_T0_SG_SL_E_clIS9_SA_SB_SB_EEDaSZ_S10_SG_SL_EUlSZ_E_NS1_11comp_targetILNS1_3genE6ELNS1_11target_archE950ELNS1_3gpuE13ELNS1_3repE0EEENS1_47radix_sort_onesweep_sort_config_static_selectorELNS0_4arch9wavefront6targetE0EEEvSG_.has_dyn_sized_stack, 0
	.set _ZN7rocprim17ROCPRIM_400000_NS6detail17trampoline_kernelINS0_14default_configENS1_35radix_sort_onesweep_config_selectorIfNS0_10empty_typeEEEZZNS1_29radix_sort_onesweep_iterationIS3_Lb0EPKfPfPS5_SB_mNS0_19identity_decomposerENS1_16block_id_wrapperIjLb1EEEEE10hipError_tT1_PNSt15iterator_traitsISG_E10value_typeET2_T3_PNSH_ISM_E10value_typeET4_T5_PSR_SS_PNS1_23onesweep_lookback_stateEbbT6_jjT7_P12ihipStream_tbENKUlT_T0_SG_SL_E_clIS9_SA_SB_SB_EEDaSZ_S10_SG_SL_EUlSZ_E_NS1_11comp_targetILNS1_3genE6ELNS1_11target_archE950ELNS1_3gpuE13ELNS1_3repE0EEENS1_47radix_sort_onesweep_sort_config_static_selectorELNS0_4arch9wavefront6targetE0EEEvSG_.has_recursion, 0
	.set _ZN7rocprim17ROCPRIM_400000_NS6detail17trampoline_kernelINS0_14default_configENS1_35radix_sort_onesweep_config_selectorIfNS0_10empty_typeEEEZZNS1_29radix_sort_onesweep_iterationIS3_Lb0EPKfPfPS5_SB_mNS0_19identity_decomposerENS1_16block_id_wrapperIjLb1EEEEE10hipError_tT1_PNSt15iterator_traitsISG_E10value_typeET2_T3_PNSH_ISM_E10value_typeET4_T5_PSR_SS_PNS1_23onesweep_lookback_stateEbbT6_jjT7_P12ihipStream_tbENKUlT_T0_SG_SL_E_clIS9_SA_SB_SB_EEDaSZ_S10_SG_SL_EUlSZ_E_NS1_11comp_targetILNS1_3genE6ELNS1_11target_archE950ELNS1_3gpuE13ELNS1_3repE0EEENS1_47radix_sort_onesweep_sort_config_static_selectorELNS0_4arch9wavefront6targetE0EEEvSG_.has_indirect_call, 0
	.section	.AMDGPU.csdata,"",@progbits
; Kernel info:
; codeLenInByte = 0
; TotalNumSgprs: 0
; NumVgprs: 0
; ScratchSize: 0
; MemoryBound: 0
; FloatMode: 240
; IeeeMode: 1
; LDSByteSize: 0 bytes/workgroup (compile time only)
; SGPRBlocks: 0
; VGPRBlocks: 0
; NumSGPRsForWavesPerEU: 1
; NumVGPRsForWavesPerEU: 1
; NamedBarCnt: 0
; Occupancy: 16
; WaveLimiterHint : 0
; COMPUTE_PGM_RSRC2:SCRATCH_EN: 0
; COMPUTE_PGM_RSRC2:USER_SGPR: 2
; COMPUTE_PGM_RSRC2:TRAP_HANDLER: 0
; COMPUTE_PGM_RSRC2:TGID_X_EN: 1
; COMPUTE_PGM_RSRC2:TGID_Y_EN: 0
; COMPUTE_PGM_RSRC2:TGID_Z_EN: 0
; COMPUTE_PGM_RSRC2:TIDIG_COMP_CNT: 0
	.section	.text._ZN7rocprim17ROCPRIM_400000_NS6detail17trampoline_kernelINS0_14default_configENS1_35radix_sort_onesweep_config_selectorIfNS0_10empty_typeEEEZZNS1_29radix_sort_onesweep_iterationIS3_Lb0EPKfPfPS5_SB_mNS0_19identity_decomposerENS1_16block_id_wrapperIjLb1EEEEE10hipError_tT1_PNSt15iterator_traitsISG_E10value_typeET2_T3_PNSH_ISM_E10value_typeET4_T5_PSR_SS_PNS1_23onesweep_lookback_stateEbbT6_jjT7_P12ihipStream_tbENKUlT_T0_SG_SL_E_clIS9_SA_SB_SB_EEDaSZ_S10_SG_SL_EUlSZ_E_NS1_11comp_targetILNS1_3genE5ELNS1_11target_archE942ELNS1_3gpuE9ELNS1_3repE0EEENS1_47radix_sort_onesweep_sort_config_static_selectorELNS0_4arch9wavefront6targetE0EEEvSG_,"axG",@progbits,_ZN7rocprim17ROCPRIM_400000_NS6detail17trampoline_kernelINS0_14default_configENS1_35radix_sort_onesweep_config_selectorIfNS0_10empty_typeEEEZZNS1_29radix_sort_onesweep_iterationIS3_Lb0EPKfPfPS5_SB_mNS0_19identity_decomposerENS1_16block_id_wrapperIjLb1EEEEE10hipError_tT1_PNSt15iterator_traitsISG_E10value_typeET2_T3_PNSH_ISM_E10value_typeET4_T5_PSR_SS_PNS1_23onesweep_lookback_stateEbbT6_jjT7_P12ihipStream_tbENKUlT_T0_SG_SL_E_clIS9_SA_SB_SB_EEDaSZ_S10_SG_SL_EUlSZ_E_NS1_11comp_targetILNS1_3genE5ELNS1_11target_archE942ELNS1_3gpuE9ELNS1_3repE0EEENS1_47radix_sort_onesweep_sort_config_static_selectorELNS0_4arch9wavefront6targetE0EEEvSG_,comdat
	.protected	_ZN7rocprim17ROCPRIM_400000_NS6detail17trampoline_kernelINS0_14default_configENS1_35radix_sort_onesweep_config_selectorIfNS0_10empty_typeEEEZZNS1_29radix_sort_onesweep_iterationIS3_Lb0EPKfPfPS5_SB_mNS0_19identity_decomposerENS1_16block_id_wrapperIjLb1EEEEE10hipError_tT1_PNSt15iterator_traitsISG_E10value_typeET2_T3_PNSH_ISM_E10value_typeET4_T5_PSR_SS_PNS1_23onesweep_lookback_stateEbbT6_jjT7_P12ihipStream_tbENKUlT_T0_SG_SL_E_clIS9_SA_SB_SB_EEDaSZ_S10_SG_SL_EUlSZ_E_NS1_11comp_targetILNS1_3genE5ELNS1_11target_archE942ELNS1_3gpuE9ELNS1_3repE0EEENS1_47radix_sort_onesweep_sort_config_static_selectorELNS0_4arch9wavefront6targetE0EEEvSG_ ; -- Begin function _ZN7rocprim17ROCPRIM_400000_NS6detail17trampoline_kernelINS0_14default_configENS1_35radix_sort_onesweep_config_selectorIfNS0_10empty_typeEEEZZNS1_29radix_sort_onesweep_iterationIS3_Lb0EPKfPfPS5_SB_mNS0_19identity_decomposerENS1_16block_id_wrapperIjLb1EEEEE10hipError_tT1_PNSt15iterator_traitsISG_E10value_typeET2_T3_PNSH_ISM_E10value_typeET4_T5_PSR_SS_PNS1_23onesweep_lookback_stateEbbT6_jjT7_P12ihipStream_tbENKUlT_T0_SG_SL_E_clIS9_SA_SB_SB_EEDaSZ_S10_SG_SL_EUlSZ_E_NS1_11comp_targetILNS1_3genE5ELNS1_11target_archE942ELNS1_3gpuE9ELNS1_3repE0EEENS1_47radix_sort_onesweep_sort_config_static_selectorELNS0_4arch9wavefront6targetE0EEEvSG_
	.globl	_ZN7rocprim17ROCPRIM_400000_NS6detail17trampoline_kernelINS0_14default_configENS1_35radix_sort_onesweep_config_selectorIfNS0_10empty_typeEEEZZNS1_29radix_sort_onesweep_iterationIS3_Lb0EPKfPfPS5_SB_mNS0_19identity_decomposerENS1_16block_id_wrapperIjLb1EEEEE10hipError_tT1_PNSt15iterator_traitsISG_E10value_typeET2_T3_PNSH_ISM_E10value_typeET4_T5_PSR_SS_PNS1_23onesweep_lookback_stateEbbT6_jjT7_P12ihipStream_tbENKUlT_T0_SG_SL_E_clIS9_SA_SB_SB_EEDaSZ_S10_SG_SL_EUlSZ_E_NS1_11comp_targetILNS1_3genE5ELNS1_11target_archE942ELNS1_3gpuE9ELNS1_3repE0EEENS1_47radix_sort_onesweep_sort_config_static_selectorELNS0_4arch9wavefront6targetE0EEEvSG_
	.p2align	8
	.type	_ZN7rocprim17ROCPRIM_400000_NS6detail17trampoline_kernelINS0_14default_configENS1_35radix_sort_onesweep_config_selectorIfNS0_10empty_typeEEEZZNS1_29radix_sort_onesweep_iterationIS3_Lb0EPKfPfPS5_SB_mNS0_19identity_decomposerENS1_16block_id_wrapperIjLb1EEEEE10hipError_tT1_PNSt15iterator_traitsISG_E10value_typeET2_T3_PNSH_ISM_E10value_typeET4_T5_PSR_SS_PNS1_23onesweep_lookback_stateEbbT6_jjT7_P12ihipStream_tbENKUlT_T0_SG_SL_E_clIS9_SA_SB_SB_EEDaSZ_S10_SG_SL_EUlSZ_E_NS1_11comp_targetILNS1_3genE5ELNS1_11target_archE942ELNS1_3gpuE9ELNS1_3repE0EEENS1_47radix_sort_onesweep_sort_config_static_selectorELNS0_4arch9wavefront6targetE0EEEvSG_,@function
_ZN7rocprim17ROCPRIM_400000_NS6detail17trampoline_kernelINS0_14default_configENS1_35radix_sort_onesweep_config_selectorIfNS0_10empty_typeEEEZZNS1_29radix_sort_onesweep_iterationIS3_Lb0EPKfPfPS5_SB_mNS0_19identity_decomposerENS1_16block_id_wrapperIjLb1EEEEE10hipError_tT1_PNSt15iterator_traitsISG_E10value_typeET2_T3_PNSH_ISM_E10value_typeET4_T5_PSR_SS_PNS1_23onesweep_lookback_stateEbbT6_jjT7_P12ihipStream_tbENKUlT_T0_SG_SL_E_clIS9_SA_SB_SB_EEDaSZ_S10_SG_SL_EUlSZ_E_NS1_11comp_targetILNS1_3genE5ELNS1_11target_archE942ELNS1_3gpuE9ELNS1_3repE0EEENS1_47radix_sort_onesweep_sort_config_static_selectorELNS0_4arch9wavefront6targetE0EEEvSG_: ; @_ZN7rocprim17ROCPRIM_400000_NS6detail17trampoline_kernelINS0_14default_configENS1_35radix_sort_onesweep_config_selectorIfNS0_10empty_typeEEEZZNS1_29radix_sort_onesweep_iterationIS3_Lb0EPKfPfPS5_SB_mNS0_19identity_decomposerENS1_16block_id_wrapperIjLb1EEEEE10hipError_tT1_PNSt15iterator_traitsISG_E10value_typeET2_T3_PNSH_ISM_E10value_typeET4_T5_PSR_SS_PNS1_23onesweep_lookback_stateEbbT6_jjT7_P12ihipStream_tbENKUlT_T0_SG_SL_E_clIS9_SA_SB_SB_EEDaSZ_S10_SG_SL_EUlSZ_E_NS1_11comp_targetILNS1_3genE5ELNS1_11target_archE942ELNS1_3gpuE9ELNS1_3repE0EEENS1_47radix_sort_onesweep_sort_config_static_selectorELNS0_4arch9wavefront6targetE0EEEvSG_
; %bb.0:
	.section	.rodata,"a",@progbits
	.p2align	6, 0x0
	.amdhsa_kernel _ZN7rocprim17ROCPRIM_400000_NS6detail17trampoline_kernelINS0_14default_configENS1_35radix_sort_onesweep_config_selectorIfNS0_10empty_typeEEEZZNS1_29radix_sort_onesweep_iterationIS3_Lb0EPKfPfPS5_SB_mNS0_19identity_decomposerENS1_16block_id_wrapperIjLb1EEEEE10hipError_tT1_PNSt15iterator_traitsISG_E10value_typeET2_T3_PNSH_ISM_E10value_typeET4_T5_PSR_SS_PNS1_23onesweep_lookback_stateEbbT6_jjT7_P12ihipStream_tbENKUlT_T0_SG_SL_E_clIS9_SA_SB_SB_EEDaSZ_S10_SG_SL_EUlSZ_E_NS1_11comp_targetILNS1_3genE5ELNS1_11target_archE942ELNS1_3gpuE9ELNS1_3repE0EEENS1_47radix_sort_onesweep_sort_config_static_selectorELNS0_4arch9wavefront6targetE0EEEvSG_
		.amdhsa_group_segment_fixed_size 0
		.amdhsa_private_segment_fixed_size 0
		.amdhsa_kernarg_size 88
		.amdhsa_user_sgpr_count 2
		.amdhsa_user_sgpr_dispatch_ptr 0
		.amdhsa_user_sgpr_queue_ptr 0
		.amdhsa_user_sgpr_kernarg_segment_ptr 1
		.amdhsa_user_sgpr_dispatch_id 0
		.amdhsa_user_sgpr_kernarg_preload_length 0
		.amdhsa_user_sgpr_kernarg_preload_offset 0
		.amdhsa_user_sgpr_private_segment_size 0
		.amdhsa_wavefront_size32 1
		.amdhsa_uses_dynamic_stack 0
		.amdhsa_enable_private_segment 0
		.amdhsa_system_sgpr_workgroup_id_x 1
		.amdhsa_system_sgpr_workgroup_id_y 0
		.amdhsa_system_sgpr_workgroup_id_z 0
		.amdhsa_system_sgpr_workgroup_info 0
		.amdhsa_system_vgpr_workitem_id 0
		.amdhsa_next_free_vgpr 1
		.amdhsa_next_free_sgpr 1
		.amdhsa_named_barrier_count 0
		.amdhsa_reserve_vcc 0
		.amdhsa_float_round_mode_32 0
		.amdhsa_float_round_mode_16_64 0
		.amdhsa_float_denorm_mode_32 3
		.amdhsa_float_denorm_mode_16_64 3
		.amdhsa_fp16_overflow 0
		.amdhsa_memory_ordered 1
		.amdhsa_forward_progress 1
		.amdhsa_inst_pref_size 0
		.amdhsa_round_robin_scheduling 0
		.amdhsa_exception_fp_ieee_invalid_op 0
		.amdhsa_exception_fp_denorm_src 0
		.amdhsa_exception_fp_ieee_div_zero 0
		.amdhsa_exception_fp_ieee_overflow 0
		.amdhsa_exception_fp_ieee_underflow 0
		.amdhsa_exception_fp_ieee_inexact 0
		.amdhsa_exception_int_div_zero 0
	.end_amdhsa_kernel
	.section	.text._ZN7rocprim17ROCPRIM_400000_NS6detail17trampoline_kernelINS0_14default_configENS1_35radix_sort_onesweep_config_selectorIfNS0_10empty_typeEEEZZNS1_29radix_sort_onesweep_iterationIS3_Lb0EPKfPfPS5_SB_mNS0_19identity_decomposerENS1_16block_id_wrapperIjLb1EEEEE10hipError_tT1_PNSt15iterator_traitsISG_E10value_typeET2_T3_PNSH_ISM_E10value_typeET4_T5_PSR_SS_PNS1_23onesweep_lookback_stateEbbT6_jjT7_P12ihipStream_tbENKUlT_T0_SG_SL_E_clIS9_SA_SB_SB_EEDaSZ_S10_SG_SL_EUlSZ_E_NS1_11comp_targetILNS1_3genE5ELNS1_11target_archE942ELNS1_3gpuE9ELNS1_3repE0EEENS1_47radix_sort_onesweep_sort_config_static_selectorELNS0_4arch9wavefront6targetE0EEEvSG_,"axG",@progbits,_ZN7rocprim17ROCPRIM_400000_NS6detail17trampoline_kernelINS0_14default_configENS1_35radix_sort_onesweep_config_selectorIfNS0_10empty_typeEEEZZNS1_29radix_sort_onesweep_iterationIS3_Lb0EPKfPfPS5_SB_mNS0_19identity_decomposerENS1_16block_id_wrapperIjLb1EEEEE10hipError_tT1_PNSt15iterator_traitsISG_E10value_typeET2_T3_PNSH_ISM_E10value_typeET4_T5_PSR_SS_PNS1_23onesweep_lookback_stateEbbT6_jjT7_P12ihipStream_tbENKUlT_T0_SG_SL_E_clIS9_SA_SB_SB_EEDaSZ_S10_SG_SL_EUlSZ_E_NS1_11comp_targetILNS1_3genE5ELNS1_11target_archE942ELNS1_3gpuE9ELNS1_3repE0EEENS1_47radix_sort_onesweep_sort_config_static_selectorELNS0_4arch9wavefront6targetE0EEEvSG_,comdat
.Lfunc_end1408:
	.size	_ZN7rocprim17ROCPRIM_400000_NS6detail17trampoline_kernelINS0_14default_configENS1_35radix_sort_onesweep_config_selectorIfNS0_10empty_typeEEEZZNS1_29radix_sort_onesweep_iterationIS3_Lb0EPKfPfPS5_SB_mNS0_19identity_decomposerENS1_16block_id_wrapperIjLb1EEEEE10hipError_tT1_PNSt15iterator_traitsISG_E10value_typeET2_T3_PNSH_ISM_E10value_typeET4_T5_PSR_SS_PNS1_23onesweep_lookback_stateEbbT6_jjT7_P12ihipStream_tbENKUlT_T0_SG_SL_E_clIS9_SA_SB_SB_EEDaSZ_S10_SG_SL_EUlSZ_E_NS1_11comp_targetILNS1_3genE5ELNS1_11target_archE942ELNS1_3gpuE9ELNS1_3repE0EEENS1_47radix_sort_onesweep_sort_config_static_selectorELNS0_4arch9wavefront6targetE0EEEvSG_, .Lfunc_end1408-_ZN7rocprim17ROCPRIM_400000_NS6detail17trampoline_kernelINS0_14default_configENS1_35radix_sort_onesweep_config_selectorIfNS0_10empty_typeEEEZZNS1_29radix_sort_onesweep_iterationIS3_Lb0EPKfPfPS5_SB_mNS0_19identity_decomposerENS1_16block_id_wrapperIjLb1EEEEE10hipError_tT1_PNSt15iterator_traitsISG_E10value_typeET2_T3_PNSH_ISM_E10value_typeET4_T5_PSR_SS_PNS1_23onesweep_lookback_stateEbbT6_jjT7_P12ihipStream_tbENKUlT_T0_SG_SL_E_clIS9_SA_SB_SB_EEDaSZ_S10_SG_SL_EUlSZ_E_NS1_11comp_targetILNS1_3genE5ELNS1_11target_archE942ELNS1_3gpuE9ELNS1_3repE0EEENS1_47radix_sort_onesweep_sort_config_static_selectorELNS0_4arch9wavefront6targetE0EEEvSG_
                                        ; -- End function
	.set _ZN7rocprim17ROCPRIM_400000_NS6detail17trampoline_kernelINS0_14default_configENS1_35radix_sort_onesweep_config_selectorIfNS0_10empty_typeEEEZZNS1_29radix_sort_onesweep_iterationIS3_Lb0EPKfPfPS5_SB_mNS0_19identity_decomposerENS1_16block_id_wrapperIjLb1EEEEE10hipError_tT1_PNSt15iterator_traitsISG_E10value_typeET2_T3_PNSH_ISM_E10value_typeET4_T5_PSR_SS_PNS1_23onesweep_lookback_stateEbbT6_jjT7_P12ihipStream_tbENKUlT_T0_SG_SL_E_clIS9_SA_SB_SB_EEDaSZ_S10_SG_SL_EUlSZ_E_NS1_11comp_targetILNS1_3genE5ELNS1_11target_archE942ELNS1_3gpuE9ELNS1_3repE0EEENS1_47radix_sort_onesweep_sort_config_static_selectorELNS0_4arch9wavefront6targetE0EEEvSG_.num_vgpr, 0
	.set _ZN7rocprim17ROCPRIM_400000_NS6detail17trampoline_kernelINS0_14default_configENS1_35radix_sort_onesweep_config_selectorIfNS0_10empty_typeEEEZZNS1_29radix_sort_onesweep_iterationIS3_Lb0EPKfPfPS5_SB_mNS0_19identity_decomposerENS1_16block_id_wrapperIjLb1EEEEE10hipError_tT1_PNSt15iterator_traitsISG_E10value_typeET2_T3_PNSH_ISM_E10value_typeET4_T5_PSR_SS_PNS1_23onesweep_lookback_stateEbbT6_jjT7_P12ihipStream_tbENKUlT_T0_SG_SL_E_clIS9_SA_SB_SB_EEDaSZ_S10_SG_SL_EUlSZ_E_NS1_11comp_targetILNS1_3genE5ELNS1_11target_archE942ELNS1_3gpuE9ELNS1_3repE0EEENS1_47radix_sort_onesweep_sort_config_static_selectorELNS0_4arch9wavefront6targetE0EEEvSG_.num_agpr, 0
	.set _ZN7rocprim17ROCPRIM_400000_NS6detail17trampoline_kernelINS0_14default_configENS1_35radix_sort_onesweep_config_selectorIfNS0_10empty_typeEEEZZNS1_29radix_sort_onesweep_iterationIS3_Lb0EPKfPfPS5_SB_mNS0_19identity_decomposerENS1_16block_id_wrapperIjLb1EEEEE10hipError_tT1_PNSt15iterator_traitsISG_E10value_typeET2_T3_PNSH_ISM_E10value_typeET4_T5_PSR_SS_PNS1_23onesweep_lookback_stateEbbT6_jjT7_P12ihipStream_tbENKUlT_T0_SG_SL_E_clIS9_SA_SB_SB_EEDaSZ_S10_SG_SL_EUlSZ_E_NS1_11comp_targetILNS1_3genE5ELNS1_11target_archE942ELNS1_3gpuE9ELNS1_3repE0EEENS1_47radix_sort_onesweep_sort_config_static_selectorELNS0_4arch9wavefront6targetE0EEEvSG_.numbered_sgpr, 0
	.set _ZN7rocprim17ROCPRIM_400000_NS6detail17trampoline_kernelINS0_14default_configENS1_35radix_sort_onesweep_config_selectorIfNS0_10empty_typeEEEZZNS1_29radix_sort_onesweep_iterationIS3_Lb0EPKfPfPS5_SB_mNS0_19identity_decomposerENS1_16block_id_wrapperIjLb1EEEEE10hipError_tT1_PNSt15iterator_traitsISG_E10value_typeET2_T3_PNSH_ISM_E10value_typeET4_T5_PSR_SS_PNS1_23onesweep_lookback_stateEbbT6_jjT7_P12ihipStream_tbENKUlT_T0_SG_SL_E_clIS9_SA_SB_SB_EEDaSZ_S10_SG_SL_EUlSZ_E_NS1_11comp_targetILNS1_3genE5ELNS1_11target_archE942ELNS1_3gpuE9ELNS1_3repE0EEENS1_47radix_sort_onesweep_sort_config_static_selectorELNS0_4arch9wavefront6targetE0EEEvSG_.num_named_barrier, 0
	.set _ZN7rocprim17ROCPRIM_400000_NS6detail17trampoline_kernelINS0_14default_configENS1_35radix_sort_onesweep_config_selectorIfNS0_10empty_typeEEEZZNS1_29radix_sort_onesweep_iterationIS3_Lb0EPKfPfPS5_SB_mNS0_19identity_decomposerENS1_16block_id_wrapperIjLb1EEEEE10hipError_tT1_PNSt15iterator_traitsISG_E10value_typeET2_T3_PNSH_ISM_E10value_typeET4_T5_PSR_SS_PNS1_23onesweep_lookback_stateEbbT6_jjT7_P12ihipStream_tbENKUlT_T0_SG_SL_E_clIS9_SA_SB_SB_EEDaSZ_S10_SG_SL_EUlSZ_E_NS1_11comp_targetILNS1_3genE5ELNS1_11target_archE942ELNS1_3gpuE9ELNS1_3repE0EEENS1_47radix_sort_onesweep_sort_config_static_selectorELNS0_4arch9wavefront6targetE0EEEvSG_.private_seg_size, 0
	.set _ZN7rocprim17ROCPRIM_400000_NS6detail17trampoline_kernelINS0_14default_configENS1_35radix_sort_onesweep_config_selectorIfNS0_10empty_typeEEEZZNS1_29radix_sort_onesweep_iterationIS3_Lb0EPKfPfPS5_SB_mNS0_19identity_decomposerENS1_16block_id_wrapperIjLb1EEEEE10hipError_tT1_PNSt15iterator_traitsISG_E10value_typeET2_T3_PNSH_ISM_E10value_typeET4_T5_PSR_SS_PNS1_23onesweep_lookback_stateEbbT6_jjT7_P12ihipStream_tbENKUlT_T0_SG_SL_E_clIS9_SA_SB_SB_EEDaSZ_S10_SG_SL_EUlSZ_E_NS1_11comp_targetILNS1_3genE5ELNS1_11target_archE942ELNS1_3gpuE9ELNS1_3repE0EEENS1_47radix_sort_onesweep_sort_config_static_selectorELNS0_4arch9wavefront6targetE0EEEvSG_.uses_vcc, 0
	.set _ZN7rocprim17ROCPRIM_400000_NS6detail17trampoline_kernelINS0_14default_configENS1_35radix_sort_onesweep_config_selectorIfNS0_10empty_typeEEEZZNS1_29radix_sort_onesweep_iterationIS3_Lb0EPKfPfPS5_SB_mNS0_19identity_decomposerENS1_16block_id_wrapperIjLb1EEEEE10hipError_tT1_PNSt15iterator_traitsISG_E10value_typeET2_T3_PNSH_ISM_E10value_typeET4_T5_PSR_SS_PNS1_23onesweep_lookback_stateEbbT6_jjT7_P12ihipStream_tbENKUlT_T0_SG_SL_E_clIS9_SA_SB_SB_EEDaSZ_S10_SG_SL_EUlSZ_E_NS1_11comp_targetILNS1_3genE5ELNS1_11target_archE942ELNS1_3gpuE9ELNS1_3repE0EEENS1_47radix_sort_onesweep_sort_config_static_selectorELNS0_4arch9wavefront6targetE0EEEvSG_.uses_flat_scratch, 0
	.set _ZN7rocprim17ROCPRIM_400000_NS6detail17trampoline_kernelINS0_14default_configENS1_35radix_sort_onesweep_config_selectorIfNS0_10empty_typeEEEZZNS1_29radix_sort_onesweep_iterationIS3_Lb0EPKfPfPS5_SB_mNS0_19identity_decomposerENS1_16block_id_wrapperIjLb1EEEEE10hipError_tT1_PNSt15iterator_traitsISG_E10value_typeET2_T3_PNSH_ISM_E10value_typeET4_T5_PSR_SS_PNS1_23onesweep_lookback_stateEbbT6_jjT7_P12ihipStream_tbENKUlT_T0_SG_SL_E_clIS9_SA_SB_SB_EEDaSZ_S10_SG_SL_EUlSZ_E_NS1_11comp_targetILNS1_3genE5ELNS1_11target_archE942ELNS1_3gpuE9ELNS1_3repE0EEENS1_47radix_sort_onesweep_sort_config_static_selectorELNS0_4arch9wavefront6targetE0EEEvSG_.has_dyn_sized_stack, 0
	.set _ZN7rocprim17ROCPRIM_400000_NS6detail17trampoline_kernelINS0_14default_configENS1_35radix_sort_onesweep_config_selectorIfNS0_10empty_typeEEEZZNS1_29radix_sort_onesweep_iterationIS3_Lb0EPKfPfPS5_SB_mNS0_19identity_decomposerENS1_16block_id_wrapperIjLb1EEEEE10hipError_tT1_PNSt15iterator_traitsISG_E10value_typeET2_T3_PNSH_ISM_E10value_typeET4_T5_PSR_SS_PNS1_23onesweep_lookback_stateEbbT6_jjT7_P12ihipStream_tbENKUlT_T0_SG_SL_E_clIS9_SA_SB_SB_EEDaSZ_S10_SG_SL_EUlSZ_E_NS1_11comp_targetILNS1_3genE5ELNS1_11target_archE942ELNS1_3gpuE9ELNS1_3repE0EEENS1_47radix_sort_onesweep_sort_config_static_selectorELNS0_4arch9wavefront6targetE0EEEvSG_.has_recursion, 0
	.set _ZN7rocprim17ROCPRIM_400000_NS6detail17trampoline_kernelINS0_14default_configENS1_35radix_sort_onesweep_config_selectorIfNS0_10empty_typeEEEZZNS1_29radix_sort_onesweep_iterationIS3_Lb0EPKfPfPS5_SB_mNS0_19identity_decomposerENS1_16block_id_wrapperIjLb1EEEEE10hipError_tT1_PNSt15iterator_traitsISG_E10value_typeET2_T3_PNSH_ISM_E10value_typeET4_T5_PSR_SS_PNS1_23onesweep_lookback_stateEbbT6_jjT7_P12ihipStream_tbENKUlT_T0_SG_SL_E_clIS9_SA_SB_SB_EEDaSZ_S10_SG_SL_EUlSZ_E_NS1_11comp_targetILNS1_3genE5ELNS1_11target_archE942ELNS1_3gpuE9ELNS1_3repE0EEENS1_47radix_sort_onesweep_sort_config_static_selectorELNS0_4arch9wavefront6targetE0EEEvSG_.has_indirect_call, 0
	.section	.AMDGPU.csdata,"",@progbits
; Kernel info:
; codeLenInByte = 0
; TotalNumSgprs: 0
; NumVgprs: 0
; ScratchSize: 0
; MemoryBound: 0
; FloatMode: 240
; IeeeMode: 1
; LDSByteSize: 0 bytes/workgroup (compile time only)
; SGPRBlocks: 0
; VGPRBlocks: 0
; NumSGPRsForWavesPerEU: 1
; NumVGPRsForWavesPerEU: 1
; NamedBarCnt: 0
; Occupancy: 16
; WaveLimiterHint : 0
; COMPUTE_PGM_RSRC2:SCRATCH_EN: 0
; COMPUTE_PGM_RSRC2:USER_SGPR: 2
; COMPUTE_PGM_RSRC2:TRAP_HANDLER: 0
; COMPUTE_PGM_RSRC2:TGID_X_EN: 1
; COMPUTE_PGM_RSRC2:TGID_Y_EN: 0
; COMPUTE_PGM_RSRC2:TGID_Z_EN: 0
; COMPUTE_PGM_RSRC2:TIDIG_COMP_CNT: 0
	.section	.text._ZN7rocprim17ROCPRIM_400000_NS6detail17trampoline_kernelINS0_14default_configENS1_35radix_sort_onesweep_config_selectorIfNS0_10empty_typeEEEZZNS1_29radix_sort_onesweep_iterationIS3_Lb0EPKfPfPS5_SB_mNS0_19identity_decomposerENS1_16block_id_wrapperIjLb1EEEEE10hipError_tT1_PNSt15iterator_traitsISG_E10value_typeET2_T3_PNSH_ISM_E10value_typeET4_T5_PSR_SS_PNS1_23onesweep_lookback_stateEbbT6_jjT7_P12ihipStream_tbENKUlT_T0_SG_SL_E_clIS9_SA_SB_SB_EEDaSZ_S10_SG_SL_EUlSZ_E_NS1_11comp_targetILNS1_3genE2ELNS1_11target_archE906ELNS1_3gpuE6ELNS1_3repE0EEENS1_47radix_sort_onesweep_sort_config_static_selectorELNS0_4arch9wavefront6targetE0EEEvSG_,"axG",@progbits,_ZN7rocprim17ROCPRIM_400000_NS6detail17trampoline_kernelINS0_14default_configENS1_35radix_sort_onesweep_config_selectorIfNS0_10empty_typeEEEZZNS1_29radix_sort_onesweep_iterationIS3_Lb0EPKfPfPS5_SB_mNS0_19identity_decomposerENS1_16block_id_wrapperIjLb1EEEEE10hipError_tT1_PNSt15iterator_traitsISG_E10value_typeET2_T3_PNSH_ISM_E10value_typeET4_T5_PSR_SS_PNS1_23onesweep_lookback_stateEbbT6_jjT7_P12ihipStream_tbENKUlT_T0_SG_SL_E_clIS9_SA_SB_SB_EEDaSZ_S10_SG_SL_EUlSZ_E_NS1_11comp_targetILNS1_3genE2ELNS1_11target_archE906ELNS1_3gpuE6ELNS1_3repE0EEENS1_47radix_sort_onesweep_sort_config_static_selectorELNS0_4arch9wavefront6targetE0EEEvSG_,comdat
	.protected	_ZN7rocprim17ROCPRIM_400000_NS6detail17trampoline_kernelINS0_14default_configENS1_35radix_sort_onesweep_config_selectorIfNS0_10empty_typeEEEZZNS1_29radix_sort_onesweep_iterationIS3_Lb0EPKfPfPS5_SB_mNS0_19identity_decomposerENS1_16block_id_wrapperIjLb1EEEEE10hipError_tT1_PNSt15iterator_traitsISG_E10value_typeET2_T3_PNSH_ISM_E10value_typeET4_T5_PSR_SS_PNS1_23onesweep_lookback_stateEbbT6_jjT7_P12ihipStream_tbENKUlT_T0_SG_SL_E_clIS9_SA_SB_SB_EEDaSZ_S10_SG_SL_EUlSZ_E_NS1_11comp_targetILNS1_3genE2ELNS1_11target_archE906ELNS1_3gpuE6ELNS1_3repE0EEENS1_47radix_sort_onesweep_sort_config_static_selectorELNS0_4arch9wavefront6targetE0EEEvSG_ ; -- Begin function _ZN7rocprim17ROCPRIM_400000_NS6detail17trampoline_kernelINS0_14default_configENS1_35radix_sort_onesweep_config_selectorIfNS0_10empty_typeEEEZZNS1_29radix_sort_onesweep_iterationIS3_Lb0EPKfPfPS5_SB_mNS0_19identity_decomposerENS1_16block_id_wrapperIjLb1EEEEE10hipError_tT1_PNSt15iterator_traitsISG_E10value_typeET2_T3_PNSH_ISM_E10value_typeET4_T5_PSR_SS_PNS1_23onesweep_lookback_stateEbbT6_jjT7_P12ihipStream_tbENKUlT_T0_SG_SL_E_clIS9_SA_SB_SB_EEDaSZ_S10_SG_SL_EUlSZ_E_NS1_11comp_targetILNS1_3genE2ELNS1_11target_archE906ELNS1_3gpuE6ELNS1_3repE0EEENS1_47radix_sort_onesweep_sort_config_static_selectorELNS0_4arch9wavefront6targetE0EEEvSG_
	.globl	_ZN7rocprim17ROCPRIM_400000_NS6detail17trampoline_kernelINS0_14default_configENS1_35radix_sort_onesweep_config_selectorIfNS0_10empty_typeEEEZZNS1_29radix_sort_onesweep_iterationIS3_Lb0EPKfPfPS5_SB_mNS0_19identity_decomposerENS1_16block_id_wrapperIjLb1EEEEE10hipError_tT1_PNSt15iterator_traitsISG_E10value_typeET2_T3_PNSH_ISM_E10value_typeET4_T5_PSR_SS_PNS1_23onesweep_lookback_stateEbbT6_jjT7_P12ihipStream_tbENKUlT_T0_SG_SL_E_clIS9_SA_SB_SB_EEDaSZ_S10_SG_SL_EUlSZ_E_NS1_11comp_targetILNS1_3genE2ELNS1_11target_archE906ELNS1_3gpuE6ELNS1_3repE0EEENS1_47radix_sort_onesweep_sort_config_static_selectorELNS0_4arch9wavefront6targetE0EEEvSG_
	.p2align	8
	.type	_ZN7rocprim17ROCPRIM_400000_NS6detail17trampoline_kernelINS0_14default_configENS1_35radix_sort_onesweep_config_selectorIfNS0_10empty_typeEEEZZNS1_29radix_sort_onesweep_iterationIS3_Lb0EPKfPfPS5_SB_mNS0_19identity_decomposerENS1_16block_id_wrapperIjLb1EEEEE10hipError_tT1_PNSt15iterator_traitsISG_E10value_typeET2_T3_PNSH_ISM_E10value_typeET4_T5_PSR_SS_PNS1_23onesweep_lookback_stateEbbT6_jjT7_P12ihipStream_tbENKUlT_T0_SG_SL_E_clIS9_SA_SB_SB_EEDaSZ_S10_SG_SL_EUlSZ_E_NS1_11comp_targetILNS1_3genE2ELNS1_11target_archE906ELNS1_3gpuE6ELNS1_3repE0EEENS1_47radix_sort_onesweep_sort_config_static_selectorELNS0_4arch9wavefront6targetE0EEEvSG_,@function
_ZN7rocprim17ROCPRIM_400000_NS6detail17trampoline_kernelINS0_14default_configENS1_35radix_sort_onesweep_config_selectorIfNS0_10empty_typeEEEZZNS1_29radix_sort_onesweep_iterationIS3_Lb0EPKfPfPS5_SB_mNS0_19identity_decomposerENS1_16block_id_wrapperIjLb1EEEEE10hipError_tT1_PNSt15iterator_traitsISG_E10value_typeET2_T3_PNSH_ISM_E10value_typeET4_T5_PSR_SS_PNS1_23onesweep_lookback_stateEbbT6_jjT7_P12ihipStream_tbENKUlT_T0_SG_SL_E_clIS9_SA_SB_SB_EEDaSZ_S10_SG_SL_EUlSZ_E_NS1_11comp_targetILNS1_3genE2ELNS1_11target_archE906ELNS1_3gpuE6ELNS1_3repE0EEENS1_47radix_sort_onesweep_sort_config_static_selectorELNS0_4arch9wavefront6targetE0EEEvSG_: ; @_ZN7rocprim17ROCPRIM_400000_NS6detail17trampoline_kernelINS0_14default_configENS1_35radix_sort_onesweep_config_selectorIfNS0_10empty_typeEEEZZNS1_29radix_sort_onesweep_iterationIS3_Lb0EPKfPfPS5_SB_mNS0_19identity_decomposerENS1_16block_id_wrapperIjLb1EEEEE10hipError_tT1_PNSt15iterator_traitsISG_E10value_typeET2_T3_PNSH_ISM_E10value_typeET4_T5_PSR_SS_PNS1_23onesweep_lookback_stateEbbT6_jjT7_P12ihipStream_tbENKUlT_T0_SG_SL_E_clIS9_SA_SB_SB_EEDaSZ_S10_SG_SL_EUlSZ_E_NS1_11comp_targetILNS1_3genE2ELNS1_11target_archE906ELNS1_3gpuE6ELNS1_3repE0EEENS1_47radix_sort_onesweep_sort_config_static_selectorELNS0_4arch9wavefront6targetE0EEEvSG_
; %bb.0:
	.section	.rodata,"a",@progbits
	.p2align	6, 0x0
	.amdhsa_kernel _ZN7rocprim17ROCPRIM_400000_NS6detail17trampoline_kernelINS0_14default_configENS1_35radix_sort_onesweep_config_selectorIfNS0_10empty_typeEEEZZNS1_29radix_sort_onesweep_iterationIS3_Lb0EPKfPfPS5_SB_mNS0_19identity_decomposerENS1_16block_id_wrapperIjLb1EEEEE10hipError_tT1_PNSt15iterator_traitsISG_E10value_typeET2_T3_PNSH_ISM_E10value_typeET4_T5_PSR_SS_PNS1_23onesweep_lookback_stateEbbT6_jjT7_P12ihipStream_tbENKUlT_T0_SG_SL_E_clIS9_SA_SB_SB_EEDaSZ_S10_SG_SL_EUlSZ_E_NS1_11comp_targetILNS1_3genE2ELNS1_11target_archE906ELNS1_3gpuE6ELNS1_3repE0EEENS1_47radix_sort_onesweep_sort_config_static_selectorELNS0_4arch9wavefront6targetE0EEEvSG_
		.amdhsa_group_segment_fixed_size 0
		.amdhsa_private_segment_fixed_size 0
		.amdhsa_kernarg_size 88
		.amdhsa_user_sgpr_count 2
		.amdhsa_user_sgpr_dispatch_ptr 0
		.amdhsa_user_sgpr_queue_ptr 0
		.amdhsa_user_sgpr_kernarg_segment_ptr 1
		.amdhsa_user_sgpr_dispatch_id 0
		.amdhsa_user_sgpr_kernarg_preload_length 0
		.amdhsa_user_sgpr_kernarg_preload_offset 0
		.amdhsa_user_sgpr_private_segment_size 0
		.amdhsa_wavefront_size32 1
		.amdhsa_uses_dynamic_stack 0
		.amdhsa_enable_private_segment 0
		.amdhsa_system_sgpr_workgroup_id_x 1
		.amdhsa_system_sgpr_workgroup_id_y 0
		.amdhsa_system_sgpr_workgroup_id_z 0
		.amdhsa_system_sgpr_workgroup_info 0
		.amdhsa_system_vgpr_workitem_id 0
		.amdhsa_next_free_vgpr 1
		.amdhsa_next_free_sgpr 1
		.amdhsa_named_barrier_count 0
		.amdhsa_reserve_vcc 0
		.amdhsa_float_round_mode_32 0
		.amdhsa_float_round_mode_16_64 0
		.amdhsa_float_denorm_mode_32 3
		.amdhsa_float_denorm_mode_16_64 3
		.amdhsa_fp16_overflow 0
		.amdhsa_memory_ordered 1
		.amdhsa_forward_progress 1
		.amdhsa_inst_pref_size 0
		.amdhsa_round_robin_scheduling 0
		.amdhsa_exception_fp_ieee_invalid_op 0
		.amdhsa_exception_fp_denorm_src 0
		.amdhsa_exception_fp_ieee_div_zero 0
		.amdhsa_exception_fp_ieee_overflow 0
		.amdhsa_exception_fp_ieee_underflow 0
		.amdhsa_exception_fp_ieee_inexact 0
		.amdhsa_exception_int_div_zero 0
	.end_amdhsa_kernel
	.section	.text._ZN7rocprim17ROCPRIM_400000_NS6detail17trampoline_kernelINS0_14default_configENS1_35radix_sort_onesweep_config_selectorIfNS0_10empty_typeEEEZZNS1_29radix_sort_onesweep_iterationIS3_Lb0EPKfPfPS5_SB_mNS0_19identity_decomposerENS1_16block_id_wrapperIjLb1EEEEE10hipError_tT1_PNSt15iterator_traitsISG_E10value_typeET2_T3_PNSH_ISM_E10value_typeET4_T5_PSR_SS_PNS1_23onesweep_lookback_stateEbbT6_jjT7_P12ihipStream_tbENKUlT_T0_SG_SL_E_clIS9_SA_SB_SB_EEDaSZ_S10_SG_SL_EUlSZ_E_NS1_11comp_targetILNS1_3genE2ELNS1_11target_archE906ELNS1_3gpuE6ELNS1_3repE0EEENS1_47radix_sort_onesweep_sort_config_static_selectorELNS0_4arch9wavefront6targetE0EEEvSG_,"axG",@progbits,_ZN7rocprim17ROCPRIM_400000_NS6detail17trampoline_kernelINS0_14default_configENS1_35radix_sort_onesweep_config_selectorIfNS0_10empty_typeEEEZZNS1_29radix_sort_onesweep_iterationIS3_Lb0EPKfPfPS5_SB_mNS0_19identity_decomposerENS1_16block_id_wrapperIjLb1EEEEE10hipError_tT1_PNSt15iterator_traitsISG_E10value_typeET2_T3_PNSH_ISM_E10value_typeET4_T5_PSR_SS_PNS1_23onesweep_lookback_stateEbbT6_jjT7_P12ihipStream_tbENKUlT_T0_SG_SL_E_clIS9_SA_SB_SB_EEDaSZ_S10_SG_SL_EUlSZ_E_NS1_11comp_targetILNS1_3genE2ELNS1_11target_archE906ELNS1_3gpuE6ELNS1_3repE0EEENS1_47radix_sort_onesweep_sort_config_static_selectorELNS0_4arch9wavefront6targetE0EEEvSG_,comdat
.Lfunc_end1409:
	.size	_ZN7rocprim17ROCPRIM_400000_NS6detail17trampoline_kernelINS0_14default_configENS1_35radix_sort_onesweep_config_selectorIfNS0_10empty_typeEEEZZNS1_29radix_sort_onesweep_iterationIS3_Lb0EPKfPfPS5_SB_mNS0_19identity_decomposerENS1_16block_id_wrapperIjLb1EEEEE10hipError_tT1_PNSt15iterator_traitsISG_E10value_typeET2_T3_PNSH_ISM_E10value_typeET4_T5_PSR_SS_PNS1_23onesweep_lookback_stateEbbT6_jjT7_P12ihipStream_tbENKUlT_T0_SG_SL_E_clIS9_SA_SB_SB_EEDaSZ_S10_SG_SL_EUlSZ_E_NS1_11comp_targetILNS1_3genE2ELNS1_11target_archE906ELNS1_3gpuE6ELNS1_3repE0EEENS1_47radix_sort_onesweep_sort_config_static_selectorELNS0_4arch9wavefront6targetE0EEEvSG_, .Lfunc_end1409-_ZN7rocprim17ROCPRIM_400000_NS6detail17trampoline_kernelINS0_14default_configENS1_35radix_sort_onesweep_config_selectorIfNS0_10empty_typeEEEZZNS1_29radix_sort_onesweep_iterationIS3_Lb0EPKfPfPS5_SB_mNS0_19identity_decomposerENS1_16block_id_wrapperIjLb1EEEEE10hipError_tT1_PNSt15iterator_traitsISG_E10value_typeET2_T3_PNSH_ISM_E10value_typeET4_T5_PSR_SS_PNS1_23onesweep_lookback_stateEbbT6_jjT7_P12ihipStream_tbENKUlT_T0_SG_SL_E_clIS9_SA_SB_SB_EEDaSZ_S10_SG_SL_EUlSZ_E_NS1_11comp_targetILNS1_3genE2ELNS1_11target_archE906ELNS1_3gpuE6ELNS1_3repE0EEENS1_47radix_sort_onesweep_sort_config_static_selectorELNS0_4arch9wavefront6targetE0EEEvSG_
                                        ; -- End function
	.set _ZN7rocprim17ROCPRIM_400000_NS6detail17trampoline_kernelINS0_14default_configENS1_35radix_sort_onesweep_config_selectorIfNS0_10empty_typeEEEZZNS1_29radix_sort_onesweep_iterationIS3_Lb0EPKfPfPS5_SB_mNS0_19identity_decomposerENS1_16block_id_wrapperIjLb1EEEEE10hipError_tT1_PNSt15iterator_traitsISG_E10value_typeET2_T3_PNSH_ISM_E10value_typeET4_T5_PSR_SS_PNS1_23onesweep_lookback_stateEbbT6_jjT7_P12ihipStream_tbENKUlT_T0_SG_SL_E_clIS9_SA_SB_SB_EEDaSZ_S10_SG_SL_EUlSZ_E_NS1_11comp_targetILNS1_3genE2ELNS1_11target_archE906ELNS1_3gpuE6ELNS1_3repE0EEENS1_47radix_sort_onesweep_sort_config_static_selectorELNS0_4arch9wavefront6targetE0EEEvSG_.num_vgpr, 0
	.set _ZN7rocprim17ROCPRIM_400000_NS6detail17trampoline_kernelINS0_14default_configENS1_35radix_sort_onesweep_config_selectorIfNS0_10empty_typeEEEZZNS1_29radix_sort_onesweep_iterationIS3_Lb0EPKfPfPS5_SB_mNS0_19identity_decomposerENS1_16block_id_wrapperIjLb1EEEEE10hipError_tT1_PNSt15iterator_traitsISG_E10value_typeET2_T3_PNSH_ISM_E10value_typeET4_T5_PSR_SS_PNS1_23onesweep_lookback_stateEbbT6_jjT7_P12ihipStream_tbENKUlT_T0_SG_SL_E_clIS9_SA_SB_SB_EEDaSZ_S10_SG_SL_EUlSZ_E_NS1_11comp_targetILNS1_3genE2ELNS1_11target_archE906ELNS1_3gpuE6ELNS1_3repE0EEENS1_47radix_sort_onesweep_sort_config_static_selectorELNS0_4arch9wavefront6targetE0EEEvSG_.num_agpr, 0
	.set _ZN7rocprim17ROCPRIM_400000_NS6detail17trampoline_kernelINS0_14default_configENS1_35radix_sort_onesweep_config_selectorIfNS0_10empty_typeEEEZZNS1_29radix_sort_onesweep_iterationIS3_Lb0EPKfPfPS5_SB_mNS0_19identity_decomposerENS1_16block_id_wrapperIjLb1EEEEE10hipError_tT1_PNSt15iterator_traitsISG_E10value_typeET2_T3_PNSH_ISM_E10value_typeET4_T5_PSR_SS_PNS1_23onesweep_lookback_stateEbbT6_jjT7_P12ihipStream_tbENKUlT_T0_SG_SL_E_clIS9_SA_SB_SB_EEDaSZ_S10_SG_SL_EUlSZ_E_NS1_11comp_targetILNS1_3genE2ELNS1_11target_archE906ELNS1_3gpuE6ELNS1_3repE0EEENS1_47radix_sort_onesweep_sort_config_static_selectorELNS0_4arch9wavefront6targetE0EEEvSG_.numbered_sgpr, 0
	.set _ZN7rocprim17ROCPRIM_400000_NS6detail17trampoline_kernelINS0_14default_configENS1_35radix_sort_onesweep_config_selectorIfNS0_10empty_typeEEEZZNS1_29radix_sort_onesweep_iterationIS3_Lb0EPKfPfPS5_SB_mNS0_19identity_decomposerENS1_16block_id_wrapperIjLb1EEEEE10hipError_tT1_PNSt15iterator_traitsISG_E10value_typeET2_T3_PNSH_ISM_E10value_typeET4_T5_PSR_SS_PNS1_23onesweep_lookback_stateEbbT6_jjT7_P12ihipStream_tbENKUlT_T0_SG_SL_E_clIS9_SA_SB_SB_EEDaSZ_S10_SG_SL_EUlSZ_E_NS1_11comp_targetILNS1_3genE2ELNS1_11target_archE906ELNS1_3gpuE6ELNS1_3repE0EEENS1_47radix_sort_onesweep_sort_config_static_selectorELNS0_4arch9wavefront6targetE0EEEvSG_.num_named_barrier, 0
	.set _ZN7rocprim17ROCPRIM_400000_NS6detail17trampoline_kernelINS0_14default_configENS1_35radix_sort_onesweep_config_selectorIfNS0_10empty_typeEEEZZNS1_29radix_sort_onesweep_iterationIS3_Lb0EPKfPfPS5_SB_mNS0_19identity_decomposerENS1_16block_id_wrapperIjLb1EEEEE10hipError_tT1_PNSt15iterator_traitsISG_E10value_typeET2_T3_PNSH_ISM_E10value_typeET4_T5_PSR_SS_PNS1_23onesweep_lookback_stateEbbT6_jjT7_P12ihipStream_tbENKUlT_T0_SG_SL_E_clIS9_SA_SB_SB_EEDaSZ_S10_SG_SL_EUlSZ_E_NS1_11comp_targetILNS1_3genE2ELNS1_11target_archE906ELNS1_3gpuE6ELNS1_3repE0EEENS1_47radix_sort_onesweep_sort_config_static_selectorELNS0_4arch9wavefront6targetE0EEEvSG_.private_seg_size, 0
	.set _ZN7rocprim17ROCPRIM_400000_NS6detail17trampoline_kernelINS0_14default_configENS1_35radix_sort_onesweep_config_selectorIfNS0_10empty_typeEEEZZNS1_29radix_sort_onesweep_iterationIS3_Lb0EPKfPfPS5_SB_mNS0_19identity_decomposerENS1_16block_id_wrapperIjLb1EEEEE10hipError_tT1_PNSt15iterator_traitsISG_E10value_typeET2_T3_PNSH_ISM_E10value_typeET4_T5_PSR_SS_PNS1_23onesweep_lookback_stateEbbT6_jjT7_P12ihipStream_tbENKUlT_T0_SG_SL_E_clIS9_SA_SB_SB_EEDaSZ_S10_SG_SL_EUlSZ_E_NS1_11comp_targetILNS1_3genE2ELNS1_11target_archE906ELNS1_3gpuE6ELNS1_3repE0EEENS1_47radix_sort_onesweep_sort_config_static_selectorELNS0_4arch9wavefront6targetE0EEEvSG_.uses_vcc, 0
	.set _ZN7rocprim17ROCPRIM_400000_NS6detail17trampoline_kernelINS0_14default_configENS1_35radix_sort_onesweep_config_selectorIfNS0_10empty_typeEEEZZNS1_29radix_sort_onesweep_iterationIS3_Lb0EPKfPfPS5_SB_mNS0_19identity_decomposerENS1_16block_id_wrapperIjLb1EEEEE10hipError_tT1_PNSt15iterator_traitsISG_E10value_typeET2_T3_PNSH_ISM_E10value_typeET4_T5_PSR_SS_PNS1_23onesweep_lookback_stateEbbT6_jjT7_P12ihipStream_tbENKUlT_T0_SG_SL_E_clIS9_SA_SB_SB_EEDaSZ_S10_SG_SL_EUlSZ_E_NS1_11comp_targetILNS1_3genE2ELNS1_11target_archE906ELNS1_3gpuE6ELNS1_3repE0EEENS1_47radix_sort_onesweep_sort_config_static_selectorELNS0_4arch9wavefront6targetE0EEEvSG_.uses_flat_scratch, 0
	.set _ZN7rocprim17ROCPRIM_400000_NS6detail17trampoline_kernelINS0_14default_configENS1_35radix_sort_onesweep_config_selectorIfNS0_10empty_typeEEEZZNS1_29radix_sort_onesweep_iterationIS3_Lb0EPKfPfPS5_SB_mNS0_19identity_decomposerENS1_16block_id_wrapperIjLb1EEEEE10hipError_tT1_PNSt15iterator_traitsISG_E10value_typeET2_T3_PNSH_ISM_E10value_typeET4_T5_PSR_SS_PNS1_23onesweep_lookback_stateEbbT6_jjT7_P12ihipStream_tbENKUlT_T0_SG_SL_E_clIS9_SA_SB_SB_EEDaSZ_S10_SG_SL_EUlSZ_E_NS1_11comp_targetILNS1_3genE2ELNS1_11target_archE906ELNS1_3gpuE6ELNS1_3repE0EEENS1_47radix_sort_onesweep_sort_config_static_selectorELNS0_4arch9wavefront6targetE0EEEvSG_.has_dyn_sized_stack, 0
	.set _ZN7rocprim17ROCPRIM_400000_NS6detail17trampoline_kernelINS0_14default_configENS1_35radix_sort_onesweep_config_selectorIfNS0_10empty_typeEEEZZNS1_29radix_sort_onesweep_iterationIS3_Lb0EPKfPfPS5_SB_mNS0_19identity_decomposerENS1_16block_id_wrapperIjLb1EEEEE10hipError_tT1_PNSt15iterator_traitsISG_E10value_typeET2_T3_PNSH_ISM_E10value_typeET4_T5_PSR_SS_PNS1_23onesweep_lookback_stateEbbT6_jjT7_P12ihipStream_tbENKUlT_T0_SG_SL_E_clIS9_SA_SB_SB_EEDaSZ_S10_SG_SL_EUlSZ_E_NS1_11comp_targetILNS1_3genE2ELNS1_11target_archE906ELNS1_3gpuE6ELNS1_3repE0EEENS1_47radix_sort_onesweep_sort_config_static_selectorELNS0_4arch9wavefront6targetE0EEEvSG_.has_recursion, 0
	.set _ZN7rocprim17ROCPRIM_400000_NS6detail17trampoline_kernelINS0_14default_configENS1_35radix_sort_onesweep_config_selectorIfNS0_10empty_typeEEEZZNS1_29radix_sort_onesweep_iterationIS3_Lb0EPKfPfPS5_SB_mNS0_19identity_decomposerENS1_16block_id_wrapperIjLb1EEEEE10hipError_tT1_PNSt15iterator_traitsISG_E10value_typeET2_T3_PNSH_ISM_E10value_typeET4_T5_PSR_SS_PNS1_23onesweep_lookback_stateEbbT6_jjT7_P12ihipStream_tbENKUlT_T0_SG_SL_E_clIS9_SA_SB_SB_EEDaSZ_S10_SG_SL_EUlSZ_E_NS1_11comp_targetILNS1_3genE2ELNS1_11target_archE906ELNS1_3gpuE6ELNS1_3repE0EEENS1_47radix_sort_onesweep_sort_config_static_selectorELNS0_4arch9wavefront6targetE0EEEvSG_.has_indirect_call, 0
	.section	.AMDGPU.csdata,"",@progbits
; Kernel info:
; codeLenInByte = 0
; TotalNumSgprs: 0
; NumVgprs: 0
; ScratchSize: 0
; MemoryBound: 0
; FloatMode: 240
; IeeeMode: 1
; LDSByteSize: 0 bytes/workgroup (compile time only)
; SGPRBlocks: 0
; VGPRBlocks: 0
; NumSGPRsForWavesPerEU: 1
; NumVGPRsForWavesPerEU: 1
; NamedBarCnt: 0
; Occupancy: 16
; WaveLimiterHint : 0
; COMPUTE_PGM_RSRC2:SCRATCH_EN: 0
; COMPUTE_PGM_RSRC2:USER_SGPR: 2
; COMPUTE_PGM_RSRC2:TRAP_HANDLER: 0
; COMPUTE_PGM_RSRC2:TGID_X_EN: 1
; COMPUTE_PGM_RSRC2:TGID_Y_EN: 0
; COMPUTE_PGM_RSRC2:TGID_Z_EN: 0
; COMPUTE_PGM_RSRC2:TIDIG_COMP_CNT: 0
	.section	.text._ZN7rocprim17ROCPRIM_400000_NS6detail17trampoline_kernelINS0_14default_configENS1_35radix_sort_onesweep_config_selectorIfNS0_10empty_typeEEEZZNS1_29radix_sort_onesweep_iterationIS3_Lb0EPKfPfPS5_SB_mNS0_19identity_decomposerENS1_16block_id_wrapperIjLb1EEEEE10hipError_tT1_PNSt15iterator_traitsISG_E10value_typeET2_T3_PNSH_ISM_E10value_typeET4_T5_PSR_SS_PNS1_23onesweep_lookback_stateEbbT6_jjT7_P12ihipStream_tbENKUlT_T0_SG_SL_E_clIS9_SA_SB_SB_EEDaSZ_S10_SG_SL_EUlSZ_E_NS1_11comp_targetILNS1_3genE4ELNS1_11target_archE910ELNS1_3gpuE8ELNS1_3repE0EEENS1_47radix_sort_onesweep_sort_config_static_selectorELNS0_4arch9wavefront6targetE0EEEvSG_,"axG",@progbits,_ZN7rocprim17ROCPRIM_400000_NS6detail17trampoline_kernelINS0_14default_configENS1_35radix_sort_onesweep_config_selectorIfNS0_10empty_typeEEEZZNS1_29radix_sort_onesweep_iterationIS3_Lb0EPKfPfPS5_SB_mNS0_19identity_decomposerENS1_16block_id_wrapperIjLb1EEEEE10hipError_tT1_PNSt15iterator_traitsISG_E10value_typeET2_T3_PNSH_ISM_E10value_typeET4_T5_PSR_SS_PNS1_23onesweep_lookback_stateEbbT6_jjT7_P12ihipStream_tbENKUlT_T0_SG_SL_E_clIS9_SA_SB_SB_EEDaSZ_S10_SG_SL_EUlSZ_E_NS1_11comp_targetILNS1_3genE4ELNS1_11target_archE910ELNS1_3gpuE8ELNS1_3repE0EEENS1_47radix_sort_onesweep_sort_config_static_selectorELNS0_4arch9wavefront6targetE0EEEvSG_,comdat
	.protected	_ZN7rocprim17ROCPRIM_400000_NS6detail17trampoline_kernelINS0_14default_configENS1_35radix_sort_onesweep_config_selectorIfNS0_10empty_typeEEEZZNS1_29radix_sort_onesweep_iterationIS3_Lb0EPKfPfPS5_SB_mNS0_19identity_decomposerENS1_16block_id_wrapperIjLb1EEEEE10hipError_tT1_PNSt15iterator_traitsISG_E10value_typeET2_T3_PNSH_ISM_E10value_typeET4_T5_PSR_SS_PNS1_23onesweep_lookback_stateEbbT6_jjT7_P12ihipStream_tbENKUlT_T0_SG_SL_E_clIS9_SA_SB_SB_EEDaSZ_S10_SG_SL_EUlSZ_E_NS1_11comp_targetILNS1_3genE4ELNS1_11target_archE910ELNS1_3gpuE8ELNS1_3repE0EEENS1_47radix_sort_onesweep_sort_config_static_selectorELNS0_4arch9wavefront6targetE0EEEvSG_ ; -- Begin function _ZN7rocprim17ROCPRIM_400000_NS6detail17trampoline_kernelINS0_14default_configENS1_35radix_sort_onesweep_config_selectorIfNS0_10empty_typeEEEZZNS1_29radix_sort_onesweep_iterationIS3_Lb0EPKfPfPS5_SB_mNS0_19identity_decomposerENS1_16block_id_wrapperIjLb1EEEEE10hipError_tT1_PNSt15iterator_traitsISG_E10value_typeET2_T3_PNSH_ISM_E10value_typeET4_T5_PSR_SS_PNS1_23onesweep_lookback_stateEbbT6_jjT7_P12ihipStream_tbENKUlT_T0_SG_SL_E_clIS9_SA_SB_SB_EEDaSZ_S10_SG_SL_EUlSZ_E_NS1_11comp_targetILNS1_3genE4ELNS1_11target_archE910ELNS1_3gpuE8ELNS1_3repE0EEENS1_47radix_sort_onesweep_sort_config_static_selectorELNS0_4arch9wavefront6targetE0EEEvSG_
	.globl	_ZN7rocprim17ROCPRIM_400000_NS6detail17trampoline_kernelINS0_14default_configENS1_35radix_sort_onesweep_config_selectorIfNS0_10empty_typeEEEZZNS1_29radix_sort_onesweep_iterationIS3_Lb0EPKfPfPS5_SB_mNS0_19identity_decomposerENS1_16block_id_wrapperIjLb1EEEEE10hipError_tT1_PNSt15iterator_traitsISG_E10value_typeET2_T3_PNSH_ISM_E10value_typeET4_T5_PSR_SS_PNS1_23onesweep_lookback_stateEbbT6_jjT7_P12ihipStream_tbENKUlT_T0_SG_SL_E_clIS9_SA_SB_SB_EEDaSZ_S10_SG_SL_EUlSZ_E_NS1_11comp_targetILNS1_3genE4ELNS1_11target_archE910ELNS1_3gpuE8ELNS1_3repE0EEENS1_47radix_sort_onesweep_sort_config_static_selectorELNS0_4arch9wavefront6targetE0EEEvSG_
	.p2align	8
	.type	_ZN7rocprim17ROCPRIM_400000_NS6detail17trampoline_kernelINS0_14default_configENS1_35radix_sort_onesweep_config_selectorIfNS0_10empty_typeEEEZZNS1_29radix_sort_onesweep_iterationIS3_Lb0EPKfPfPS5_SB_mNS0_19identity_decomposerENS1_16block_id_wrapperIjLb1EEEEE10hipError_tT1_PNSt15iterator_traitsISG_E10value_typeET2_T3_PNSH_ISM_E10value_typeET4_T5_PSR_SS_PNS1_23onesweep_lookback_stateEbbT6_jjT7_P12ihipStream_tbENKUlT_T0_SG_SL_E_clIS9_SA_SB_SB_EEDaSZ_S10_SG_SL_EUlSZ_E_NS1_11comp_targetILNS1_3genE4ELNS1_11target_archE910ELNS1_3gpuE8ELNS1_3repE0EEENS1_47radix_sort_onesweep_sort_config_static_selectorELNS0_4arch9wavefront6targetE0EEEvSG_,@function
_ZN7rocprim17ROCPRIM_400000_NS6detail17trampoline_kernelINS0_14default_configENS1_35radix_sort_onesweep_config_selectorIfNS0_10empty_typeEEEZZNS1_29radix_sort_onesweep_iterationIS3_Lb0EPKfPfPS5_SB_mNS0_19identity_decomposerENS1_16block_id_wrapperIjLb1EEEEE10hipError_tT1_PNSt15iterator_traitsISG_E10value_typeET2_T3_PNSH_ISM_E10value_typeET4_T5_PSR_SS_PNS1_23onesweep_lookback_stateEbbT6_jjT7_P12ihipStream_tbENKUlT_T0_SG_SL_E_clIS9_SA_SB_SB_EEDaSZ_S10_SG_SL_EUlSZ_E_NS1_11comp_targetILNS1_3genE4ELNS1_11target_archE910ELNS1_3gpuE8ELNS1_3repE0EEENS1_47radix_sort_onesweep_sort_config_static_selectorELNS0_4arch9wavefront6targetE0EEEvSG_: ; @_ZN7rocprim17ROCPRIM_400000_NS6detail17trampoline_kernelINS0_14default_configENS1_35radix_sort_onesweep_config_selectorIfNS0_10empty_typeEEEZZNS1_29radix_sort_onesweep_iterationIS3_Lb0EPKfPfPS5_SB_mNS0_19identity_decomposerENS1_16block_id_wrapperIjLb1EEEEE10hipError_tT1_PNSt15iterator_traitsISG_E10value_typeET2_T3_PNSH_ISM_E10value_typeET4_T5_PSR_SS_PNS1_23onesweep_lookback_stateEbbT6_jjT7_P12ihipStream_tbENKUlT_T0_SG_SL_E_clIS9_SA_SB_SB_EEDaSZ_S10_SG_SL_EUlSZ_E_NS1_11comp_targetILNS1_3genE4ELNS1_11target_archE910ELNS1_3gpuE8ELNS1_3repE0EEENS1_47radix_sort_onesweep_sort_config_static_selectorELNS0_4arch9wavefront6targetE0EEEvSG_
; %bb.0:
	.section	.rodata,"a",@progbits
	.p2align	6, 0x0
	.amdhsa_kernel _ZN7rocprim17ROCPRIM_400000_NS6detail17trampoline_kernelINS0_14default_configENS1_35radix_sort_onesweep_config_selectorIfNS0_10empty_typeEEEZZNS1_29radix_sort_onesweep_iterationIS3_Lb0EPKfPfPS5_SB_mNS0_19identity_decomposerENS1_16block_id_wrapperIjLb1EEEEE10hipError_tT1_PNSt15iterator_traitsISG_E10value_typeET2_T3_PNSH_ISM_E10value_typeET4_T5_PSR_SS_PNS1_23onesweep_lookback_stateEbbT6_jjT7_P12ihipStream_tbENKUlT_T0_SG_SL_E_clIS9_SA_SB_SB_EEDaSZ_S10_SG_SL_EUlSZ_E_NS1_11comp_targetILNS1_3genE4ELNS1_11target_archE910ELNS1_3gpuE8ELNS1_3repE0EEENS1_47radix_sort_onesweep_sort_config_static_selectorELNS0_4arch9wavefront6targetE0EEEvSG_
		.amdhsa_group_segment_fixed_size 0
		.amdhsa_private_segment_fixed_size 0
		.amdhsa_kernarg_size 88
		.amdhsa_user_sgpr_count 2
		.amdhsa_user_sgpr_dispatch_ptr 0
		.amdhsa_user_sgpr_queue_ptr 0
		.amdhsa_user_sgpr_kernarg_segment_ptr 1
		.amdhsa_user_sgpr_dispatch_id 0
		.amdhsa_user_sgpr_kernarg_preload_length 0
		.amdhsa_user_sgpr_kernarg_preload_offset 0
		.amdhsa_user_sgpr_private_segment_size 0
		.amdhsa_wavefront_size32 1
		.amdhsa_uses_dynamic_stack 0
		.amdhsa_enable_private_segment 0
		.amdhsa_system_sgpr_workgroup_id_x 1
		.amdhsa_system_sgpr_workgroup_id_y 0
		.amdhsa_system_sgpr_workgroup_id_z 0
		.amdhsa_system_sgpr_workgroup_info 0
		.amdhsa_system_vgpr_workitem_id 0
		.amdhsa_next_free_vgpr 1
		.amdhsa_next_free_sgpr 1
		.amdhsa_named_barrier_count 0
		.amdhsa_reserve_vcc 0
		.amdhsa_float_round_mode_32 0
		.amdhsa_float_round_mode_16_64 0
		.amdhsa_float_denorm_mode_32 3
		.amdhsa_float_denorm_mode_16_64 3
		.amdhsa_fp16_overflow 0
		.amdhsa_memory_ordered 1
		.amdhsa_forward_progress 1
		.amdhsa_inst_pref_size 0
		.amdhsa_round_robin_scheduling 0
		.amdhsa_exception_fp_ieee_invalid_op 0
		.amdhsa_exception_fp_denorm_src 0
		.amdhsa_exception_fp_ieee_div_zero 0
		.amdhsa_exception_fp_ieee_overflow 0
		.amdhsa_exception_fp_ieee_underflow 0
		.amdhsa_exception_fp_ieee_inexact 0
		.amdhsa_exception_int_div_zero 0
	.end_amdhsa_kernel
	.section	.text._ZN7rocprim17ROCPRIM_400000_NS6detail17trampoline_kernelINS0_14default_configENS1_35radix_sort_onesweep_config_selectorIfNS0_10empty_typeEEEZZNS1_29radix_sort_onesweep_iterationIS3_Lb0EPKfPfPS5_SB_mNS0_19identity_decomposerENS1_16block_id_wrapperIjLb1EEEEE10hipError_tT1_PNSt15iterator_traitsISG_E10value_typeET2_T3_PNSH_ISM_E10value_typeET4_T5_PSR_SS_PNS1_23onesweep_lookback_stateEbbT6_jjT7_P12ihipStream_tbENKUlT_T0_SG_SL_E_clIS9_SA_SB_SB_EEDaSZ_S10_SG_SL_EUlSZ_E_NS1_11comp_targetILNS1_3genE4ELNS1_11target_archE910ELNS1_3gpuE8ELNS1_3repE0EEENS1_47radix_sort_onesweep_sort_config_static_selectorELNS0_4arch9wavefront6targetE0EEEvSG_,"axG",@progbits,_ZN7rocprim17ROCPRIM_400000_NS6detail17trampoline_kernelINS0_14default_configENS1_35radix_sort_onesweep_config_selectorIfNS0_10empty_typeEEEZZNS1_29radix_sort_onesweep_iterationIS3_Lb0EPKfPfPS5_SB_mNS0_19identity_decomposerENS1_16block_id_wrapperIjLb1EEEEE10hipError_tT1_PNSt15iterator_traitsISG_E10value_typeET2_T3_PNSH_ISM_E10value_typeET4_T5_PSR_SS_PNS1_23onesweep_lookback_stateEbbT6_jjT7_P12ihipStream_tbENKUlT_T0_SG_SL_E_clIS9_SA_SB_SB_EEDaSZ_S10_SG_SL_EUlSZ_E_NS1_11comp_targetILNS1_3genE4ELNS1_11target_archE910ELNS1_3gpuE8ELNS1_3repE0EEENS1_47radix_sort_onesweep_sort_config_static_selectorELNS0_4arch9wavefront6targetE0EEEvSG_,comdat
.Lfunc_end1410:
	.size	_ZN7rocprim17ROCPRIM_400000_NS6detail17trampoline_kernelINS0_14default_configENS1_35radix_sort_onesweep_config_selectorIfNS0_10empty_typeEEEZZNS1_29radix_sort_onesweep_iterationIS3_Lb0EPKfPfPS5_SB_mNS0_19identity_decomposerENS1_16block_id_wrapperIjLb1EEEEE10hipError_tT1_PNSt15iterator_traitsISG_E10value_typeET2_T3_PNSH_ISM_E10value_typeET4_T5_PSR_SS_PNS1_23onesweep_lookback_stateEbbT6_jjT7_P12ihipStream_tbENKUlT_T0_SG_SL_E_clIS9_SA_SB_SB_EEDaSZ_S10_SG_SL_EUlSZ_E_NS1_11comp_targetILNS1_3genE4ELNS1_11target_archE910ELNS1_3gpuE8ELNS1_3repE0EEENS1_47radix_sort_onesweep_sort_config_static_selectorELNS0_4arch9wavefront6targetE0EEEvSG_, .Lfunc_end1410-_ZN7rocprim17ROCPRIM_400000_NS6detail17trampoline_kernelINS0_14default_configENS1_35radix_sort_onesweep_config_selectorIfNS0_10empty_typeEEEZZNS1_29radix_sort_onesweep_iterationIS3_Lb0EPKfPfPS5_SB_mNS0_19identity_decomposerENS1_16block_id_wrapperIjLb1EEEEE10hipError_tT1_PNSt15iterator_traitsISG_E10value_typeET2_T3_PNSH_ISM_E10value_typeET4_T5_PSR_SS_PNS1_23onesweep_lookback_stateEbbT6_jjT7_P12ihipStream_tbENKUlT_T0_SG_SL_E_clIS9_SA_SB_SB_EEDaSZ_S10_SG_SL_EUlSZ_E_NS1_11comp_targetILNS1_3genE4ELNS1_11target_archE910ELNS1_3gpuE8ELNS1_3repE0EEENS1_47radix_sort_onesweep_sort_config_static_selectorELNS0_4arch9wavefront6targetE0EEEvSG_
                                        ; -- End function
	.set _ZN7rocprim17ROCPRIM_400000_NS6detail17trampoline_kernelINS0_14default_configENS1_35radix_sort_onesweep_config_selectorIfNS0_10empty_typeEEEZZNS1_29radix_sort_onesweep_iterationIS3_Lb0EPKfPfPS5_SB_mNS0_19identity_decomposerENS1_16block_id_wrapperIjLb1EEEEE10hipError_tT1_PNSt15iterator_traitsISG_E10value_typeET2_T3_PNSH_ISM_E10value_typeET4_T5_PSR_SS_PNS1_23onesweep_lookback_stateEbbT6_jjT7_P12ihipStream_tbENKUlT_T0_SG_SL_E_clIS9_SA_SB_SB_EEDaSZ_S10_SG_SL_EUlSZ_E_NS1_11comp_targetILNS1_3genE4ELNS1_11target_archE910ELNS1_3gpuE8ELNS1_3repE0EEENS1_47radix_sort_onesweep_sort_config_static_selectorELNS0_4arch9wavefront6targetE0EEEvSG_.num_vgpr, 0
	.set _ZN7rocprim17ROCPRIM_400000_NS6detail17trampoline_kernelINS0_14default_configENS1_35radix_sort_onesweep_config_selectorIfNS0_10empty_typeEEEZZNS1_29radix_sort_onesweep_iterationIS3_Lb0EPKfPfPS5_SB_mNS0_19identity_decomposerENS1_16block_id_wrapperIjLb1EEEEE10hipError_tT1_PNSt15iterator_traitsISG_E10value_typeET2_T3_PNSH_ISM_E10value_typeET4_T5_PSR_SS_PNS1_23onesweep_lookback_stateEbbT6_jjT7_P12ihipStream_tbENKUlT_T0_SG_SL_E_clIS9_SA_SB_SB_EEDaSZ_S10_SG_SL_EUlSZ_E_NS1_11comp_targetILNS1_3genE4ELNS1_11target_archE910ELNS1_3gpuE8ELNS1_3repE0EEENS1_47radix_sort_onesweep_sort_config_static_selectorELNS0_4arch9wavefront6targetE0EEEvSG_.num_agpr, 0
	.set _ZN7rocprim17ROCPRIM_400000_NS6detail17trampoline_kernelINS0_14default_configENS1_35radix_sort_onesweep_config_selectorIfNS0_10empty_typeEEEZZNS1_29radix_sort_onesweep_iterationIS3_Lb0EPKfPfPS5_SB_mNS0_19identity_decomposerENS1_16block_id_wrapperIjLb1EEEEE10hipError_tT1_PNSt15iterator_traitsISG_E10value_typeET2_T3_PNSH_ISM_E10value_typeET4_T5_PSR_SS_PNS1_23onesweep_lookback_stateEbbT6_jjT7_P12ihipStream_tbENKUlT_T0_SG_SL_E_clIS9_SA_SB_SB_EEDaSZ_S10_SG_SL_EUlSZ_E_NS1_11comp_targetILNS1_3genE4ELNS1_11target_archE910ELNS1_3gpuE8ELNS1_3repE0EEENS1_47radix_sort_onesweep_sort_config_static_selectorELNS0_4arch9wavefront6targetE0EEEvSG_.numbered_sgpr, 0
	.set _ZN7rocprim17ROCPRIM_400000_NS6detail17trampoline_kernelINS0_14default_configENS1_35radix_sort_onesweep_config_selectorIfNS0_10empty_typeEEEZZNS1_29radix_sort_onesweep_iterationIS3_Lb0EPKfPfPS5_SB_mNS0_19identity_decomposerENS1_16block_id_wrapperIjLb1EEEEE10hipError_tT1_PNSt15iterator_traitsISG_E10value_typeET2_T3_PNSH_ISM_E10value_typeET4_T5_PSR_SS_PNS1_23onesweep_lookback_stateEbbT6_jjT7_P12ihipStream_tbENKUlT_T0_SG_SL_E_clIS9_SA_SB_SB_EEDaSZ_S10_SG_SL_EUlSZ_E_NS1_11comp_targetILNS1_3genE4ELNS1_11target_archE910ELNS1_3gpuE8ELNS1_3repE0EEENS1_47radix_sort_onesweep_sort_config_static_selectorELNS0_4arch9wavefront6targetE0EEEvSG_.num_named_barrier, 0
	.set _ZN7rocprim17ROCPRIM_400000_NS6detail17trampoline_kernelINS0_14default_configENS1_35radix_sort_onesweep_config_selectorIfNS0_10empty_typeEEEZZNS1_29radix_sort_onesweep_iterationIS3_Lb0EPKfPfPS5_SB_mNS0_19identity_decomposerENS1_16block_id_wrapperIjLb1EEEEE10hipError_tT1_PNSt15iterator_traitsISG_E10value_typeET2_T3_PNSH_ISM_E10value_typeET4_T5_PSR_SS_PNS1_23onesweep_lookback_stateEbbT6_jjT7_P12ihipStream_tbENKUlT_T0_SG_SL_E_clIS9_SA_SB_SB_EEDaSZ_S10_SG_SL_EUlSZ_E_NS1_11comp_targetILNS1_3genE4ELNS1_11target_archE910ELNS1_3gpuE8ELNS1_3repE0EEENS1_47radix_sort_onesweep_sort_config_static_selectorELNS0_4arch9wavefront6targetE0EEEvSG_.private_seg_size, 0
	.set _ZN7rocprim17ROCPRIM_400000_NS6detail17trampoline_kernelINS0_14default_configENS1_35radix_sort_onesweep_config_selectorIfNS0_10empty_typeEEEZZNS1_29radix_sort_onesweep_iterationIS3_Lb0EPKfPfPS5_SB_mNS0_19identity_decomposerENS1_16block_id_wrapperIjLb1EEEEE10hipError_tT1_PNSt15iterator_traitsISG_E10value_typeET2_T3_PNSH_ISM_E10value_typeET4_T5_PSR_SS_PNS1_23onesweep_lookback_stateEbbT6_jjT7_P12ihipStream_tbENKUlT_T0_SG_SL_E_clIS9_SA_SB_SB_EEDaSZ_S10_SG_SL_EUlSZ_E_NS1_11comp_targetILNS1_3genE4ELNS1_11target_archE910ELNS1_3gpuE8ELNS1_3repE0EEENS1_47radix_sort_onesweep_sort_config_static_selectorELNS0_4arch9wavefront6targetE0EEEvSG_.uses_vcc, 0
	.set _ZN7rocprim17ROCPRIM_400000_NS6detail17trampoline_kernelINS0_14default_configENS1_35radix_sort_onesweep_config_selectorIfNS0_10empty_typeEEEZZNS1_29radix_sort_onesweep_iterationIS3_Lb0EPKfPfPS5_SB_mNS0_19identity_decomposerENS1_16block_id_wrapperIjLb1EEEEE10hipError_tT1_PNSt15iterator_traitsISG_E10value_typeET2_T3_PNSH_ISM_E10value_typeET4_T5_PSR_SS_PNS1_23onesweep_lookback_stateEbbT6_jjT7_P12ihipStream_tbENKUlT_T0_SG_SL_E_clIS9_SA_SB_SB_EEDaSZ_S10_SG_SL_EUlSZ_E_NS1_11comp_targetILNS1_3genE4ELNS1_11target_archE910ELNS1_3gpuE8ELNS1_3repE0EEENS1_47radix_sort_onesweep_sort_config_static_selectorELNS0_4arch9wavefront6targetE0EEEvSG_.uses_flat_scratch, 0
	.set _ZN7rocprim17ROCPRIM_400000_NS6detail17trampoline_kernelINS0_14default_configENS1_35radix_sort_onesweep_config_selectorIfNS0_10empty_typeEEEZZNS1_29radix_sort_onesweep_iterationIS3_Lb0EPKfPfPS5_SB_mNS0_19identity_decomposerENS1_16block_id_wrapperIjLb1EEEEE10hipError_tT1_PNSt15iterator_traitsISG_E10value_typeET2_T3_PNSH_ISM_E10value_typeET4_T5_PSR_SS_PNS1_23onesweep_lookback_stateEbbT6_jjT7_P12ihipStream_tbENKUlT_T0_SG_SL_E_clIS9_SA_SB_SB_EEDaSZ_S10_SG_SL_EUlSZ_E_NS1_11comp_targetILNS1_3genE4ELNS1_11target_archE910ELNS1_3gpuE8ELNS1_3repE0EEENS1_47radix_sort_onesweep_sort_config_static_selectorELNS0_4arch9wavefront6targetE0EEEvSG_.has_dyn_sized_stack, 0
	.set _ZN7rocprim17ROCPRIM_400000_NS6detail17trampoline_kernelINS0_14default_configENS1_35radix_sort_onesweep_config_selectorIfNS0_10empty_typeEEEZZNS1_29radix_sort_onesweep_iterationIS3_Lb0EPKfPfPS5_SB_mNS0_19identity_decomposerENS1_16block_id_wrapperIjLb1EEEEE10hipError_tT1_PNSt15iterator_traitsISG_E10value_typeET2_T3_PNSH_ISM_E10value_typeET4_T5_PSR_SS_PNS1_23onesweep_lookback_stateEbbT6_jjT7_P12ihipStream_tbENKUlT_T0_SG_SL_E_clIS9_SA_SB_SB_EEDaSZ_S10_SG_SL_EUlSZ_E_NS1_11comp_targetILNS1_3genE4ELNS1_11target_archE910ELNS1_3gpuE8ELNS1_3repE0EEENS1_47radix_sort_onesweep_sort_config_static_selectorELNS0_4arch9wavefront6targetE0EEEvSG_.has_recursion, 0
	.set _ZN7rocprim17ROCPRIM_400000_NS6detail17trampoline_kernelINS0_14default_configENS1_35radix_sort_onesweep_config_selectorIfNS0_10empty_typeEEEZZNS1_29radix_sort_onesweep_iterationIS3_Lb0EPKfPfPS5_SB_mNS0_19identity_decomposerENS1_16block_id_wrapperIjLb1EEEEE10hipError_tT1_PNSt15iterator_traitsISG_E10value_typeET2_T3_PNSH_ISM_E10value_typeET4_T5_PSR_SS_PNS1_23onesweep_lookback_stateEbbT6_jjT7_P12ihipStream_tbENKUlT_T0_SG_SL_E_clIS9_SA_SB_SB_EEDaSZ_S10_SG_SL_EUlSZ_E_NS1_11comp_targetILNS1_3genE4ELNS1_11target_archE910ELNS1_3gpuE8ELNS1_3repE0EEENS1_47radix_sort_onesweep_sort_config_static_selectorELNS0_4arch9wavefront6targetE0EEEvSG_.has_indirect_call, 0
	.section	.AMDGPU.csdata,"",@progbits
; Kernel info:
; codeLenInByte = 0
; TotalNumSgprs: 0
; NumVgprs: 0
; ScratchSize: 0
; MemoryBound: 0
; FloatMode: 240
; IeeeMode: 1
; LDSByteSize: 0 bytes/workgroup (compile time only)
; SGPRBlocks: 0
; VGPRBlocks: 0
; NumSGPRsForWavesPerEU: 1
; NumVGPRsForWavesPerEU: 1
; NamedBarCnt: 0
; Occupancy: 16
; WaveLimiterHint : 0
; COMPUTE_PGM_RSRC2:SCRATCH_EN: 0
; COMPUTE_PGM_RSRC2:USER_SGPR: 2
; COMPUTE_PGM_RSRC2:TRAP_HANDLER: 0
; COMPUTE_PGM_RSRC2:TGID_X_EN: 1
; COMPUTE_PGM_RSRC2:TGID_Y_EN: 0
; COMPUTE_PGM_RSRC2:TGID_Z_EN: 0
; COMPUTE_PGM_RSRC2:TIDIG_COMP_CNT: 0
	.section	.text._ZN7rocprim17ROCPRIM_400000_NS6detail17trampoline_kernelINS0_14default_configENS1_35radix_sort_onesweep_config_selectorIfNS0_10empty_typeEEEZZNS1_29radix_sort_onesweep_iterationIS3_Lb0EPKfPfPS5_SB_mNS0_19identity_decomposerENS1_16block_id_wrapperIjLb1EEEEE10hipError_tT1_PNSt15iterator_traitsISG_E10value_typeET2_T3_PNSH_ISM_E10value_typeET4_T5_PSR_SS_PNS1_23onesweep_lookback_stateEbbT6_jjT7_P12ihipStream_tbENKUlT_T0_SG_SL_E_clIS9_SA_SB_SB_EEDaSZ_S10_SG_SL_EUlSZ_E_NS1_11comp_targetILNS1_3genE3ELNS1_11target_archE908ELNS1_3gpuE7ELNS1_3repE0EEENS1_47radix_sort_onesweep_sort_config_static_selectorELNS0_4arch9wavefront6targetE0EEEvSG_,"axG",@progbits,_ZN7rocprim17ROCPRIM_400000_NS6detail17trampoline_kernelINS0_14default_configENS1_35radix_sort_onesweep_config_selectorIfNS0_10empty_typeEEEZZNS1_29radix_sort_onesweep_iterationIS3_Lb0EPKfPfPS5_SB_mNS0_19identity_decomposerENS1_16block_id_wrapperIjLb1EEEEE10hipError_tT1_PNSt15iterator_traitsISG_E10value_typeET2_T3_PNSH_ISM_E10value_typeET4_T5_PSR_SS_PNS1_23onesweep_lookback_stateEbbT6_jjT7_P12ihipStream_tbENKUlT_T0_SG_SL_E_clIS9_SA_SB_SB_EEDaSZ_S10_SG_SL_EUlSZ_E_NS1_11comp_targetILNS1_3genE3ELNS1_11target_archE908ELNS1_3gpuE7ELNS1_3repE0EEENS1_47radix_sort_onesweep_sort_config_static_selectorELNS0_4arch9wavefront6targetE0EEEvSG_,comdat
	.protected	_ZN7rocprim17ROCPRIM_400000_NS6detail17trampoline_kernelINS0_14default_configENS1_35radix_sort_onesweep_config_selectorIfNS0_10empty_typeEEEZZNS1_29radix_sort_onesweep_iterationIS3_Lb0EPKfPfPS5_SB_mNS0_19identity_decomposerENS1_16block_id_wrapperIjLb1EEEEE10hipError_tT1_PNSt15iterator_traitsISG_E10value_typeET2_T3_PNSH_ISM_E10value_typeET4_T5_PSR_SS_PNS1_23onesweep_lookback_stateEbbT6_jjT7_P12ihipStream_tbENKUlT_T0_SG_SL_E_clIS9_SA_SB_SB_EEDaSZ_S10_SG_SL_EUlSZ_E_NS1_11comp_targetILNS1_3genE3ELNS1_11target_archE908ELNS1_3gpuE7ELNS1_3repE0EEENS1_47radix_sort_onesweep_sort_config_static_selectorELNS0_4arch9wavefront6targetE0EEEvSG_ ; -- Begin function _ZN7rocprim17ROCPRIM_400000_NS6detail17trampoline_kernelINS0_14default_configENS1_35radix_sort_onesweep_config_selectorIfNS0_10empty_typeEEEZZNS1_29radix_sort_onesweep_iterationIS3_Lb0EPKfPfPS5_SB_mNS0_19identity_decomposerENS1_16block_id_wrapperIjLb1EEEEE10hipError_tT1_PNSt15iterator_traitsISG_E10value_typeET2_T3_PNSH_ISM_E10value_typeET4_T5_PSR_SS_PNS1_23onesweep_lookback_stateEbbT6_jjT7_P12ihipStream_tbENKUlT_T0_SG_SL_E_clIS9_SA_SB_SB_EEDaSZ_S10_SG_SL_EUlSZ_E_NS1_11comp_targetILNS1_3genE3ELNS1_11target_archE908ELNS1_3gpuE7ELNS1_3repE0EEENS1_47radix_sort_onesweep_sort_config_static_selectorELNS0_4arch9wavefront6targetE0EEEvSG_
	.globl	_ZN7rocprim17ROCPRIM_400000_NS6detail17trampoline_kernelINS0_14default_configENS1_35radix_sort_onesweep_config_selectorIfNS0_10empty_typeEEEZZNS1_29radix_sort_onesweep_iterationIS3_Lb0EPKfPfPS5_SB_mNS0_19identity_decomposerENS1_16block_id_wrapperIjLb1EEEEE10hipError_tT1_PNSt15iterator_traitsISG_E10value_typeET2_T3_PNSH_ISM_E10value_typeET4_T5_PSR_SS_PNS1_23onesweep_lookback_stateEbbT6_jjT7_P12ihipStream_tbENKUlT_T0_SG_SL_E_clIS9_SA_SB_SB_EEDaSZ_S10_SG_SL_EUlSZ_E_NS1_11comp_targetILNS1_3genE3ELNS1_11target_archE908ELNS1_3gpuE7ELNS1_3repE0EEENS1_47radix_sort_onesweep_sort_config_static_selectorELNS0_4arch9wavefront6targetE0EEEvSG_
	.p2align	8
	.type	_ZN7rocprim17ROCPRIM_400000_NS6detail17trampoline_kernelINS0_14default_configENS1_35radix_sort_onesweep_config_selectorIfNS0_10empty_typeEEEZZNS1_29radix_sort_onesweep_iterationIS3_Lb0EPKfPfPS5_SB_mNS0_19identity_decomposerENS1_16block_id_wrapperIjLb1EEEEE10hipError_tT1_PNSt15iterator_traitsISG_E10value_typeET2_T3_PNSH_ISM_E10value_typeET4_T5_PSR_SS_PNS1_23onesweep_lookback_stateEbbT6_jjT7_P12ihipStream_tbENKUlT_T0_SG_SL_E_clIS9_SA_SB_SB_EEDaSZ_S10_SG_SL_EUlSZ_E_NS1_11comp_targetILNS1_3genE3ELNS1_11target_archE908ELNS1_3gpuE7ELNS1_3repE0EEENS1_47radix_sort_onesweep_sort_config_static_selectorELNS0_4arch9wavefront6targetE0EEEvSG_,@function
_ZN7rocprim17ROCPRIM_400000_NS6detail17trampoline_kernelINS0_14default_configENS1_35radix_sort_onesweep_config_selectorIfNS0_10empty_typeEEEZZNS1_29radix_sort_onesweep_iterationIS3_Lb0EPKfPfPS5_SB_mNS0_19identity_decomposerENS1_16block_id_wrapperIjLb1EEEEE10hipError_tT1_PNSt15iterator_traitsISG_E10value_typeET2_T3_PNSH_ISM_E10value_typeET4_T5_PSR_SS_PNS1_23onesweep_lookback_stateEbbT6_jjT7_P12ihipStream_tbENKUlT_T0_SG_SL_E_clIS9_SA_SB_SB_EEDaSZ_S10_SG_SL_EUlSZ_E_NS1_11comp_targetILNS1_3genE3ELNS1_11target_archE908ELNS1_3gpuE7ELNS1_3repE0EEENS1_47radix_sort_onesweep_sort_config_static_selectorELNS0_4arch9wavefront6targetE0EEEvSG_: ; @_ZN7rocprim17ROCPRIM_400000_NS6detail17trampoline_kernelINS0_14default_configENS1_35radix_sort_onesweep_config_selectorIfNS0_10empty_typeEEEZZNS1_29radix_sort_onesweep_iterationIS3_Lb0EPKfPfPS5_SB_mNS0_19identity_decomposerENS1_16block_id_wrapperIjLb1EEEEE10hipError_tT1_PNSt15iterator_traitsISG_E10value_typeET2_T3_PNSH_ISM_E10value_typeET4_T5_PSR_SS_PNS1_23onesweep_lookback_stateEbbT6_jjT7_P12ihipStream_tbENKUlT_T0_SG_SL_E_clIS9_SA_SB_SB_EEDaSZ_S10_SG_SL_EUlSZ_E_NS1_11comp_targetILNS1_3genE3ELNS1_11target_archE908ELNS1_3gpuE7ELNS1_3repE0EEENS1_47radix_sort_onesweep_sort_config_static_selectorELNS0_4arch9wavefront6targetE0EEEvSG_
; %bb.0:
	.section	.rodata,"a",@progbits
	.p2align	6, 0x0
	.amdhsa_kernel _ZN7rocprim17ROCPRIM_400000_NS6detail17trampoline_kernelINS0_14default_configENS1_35radix_sort_onesweep_config_selectorIfNS0_10empty_typeEEEZZNS1_29radix_sort_onesweep_iterationIS3_Lb0EPKfPfPS5_SB_mNS0_19identity_decomposerENS1_16block_id_wrapperIjLb1EEEEE10hipError_tT1_PNSt15iterator_traitsISG_E10value_typeET2_T3_PNSH_ISM_E10value_typeET4_T5_PSR_SS_PNS1_23onesweep_lookback_stateEbbT6_jjT7_P12ihipStream_tbENKUlT_T0_SG_SL_E_clIS9_SA_SB_SB_EEDaSZ_S10_SG_SL_EUlSZ_E_NS1_11comp_targetILNS1_3genE3ELNS1_11target_archE908ELNS1_3gpuE7ELNS1_3repE0EEENS1_47radix_sort_onesweep_sort_config_static_selectorELNS0_4arch9wavefront6targetE0EEEvSG_
		.amdhsa_group_segment_fixed_size 0
		.amdhsa_private_segment_fixed_size 0
		.amdhsa_kernarg_size 88
		.amdhsa_user_sgpr_count 2
		.amdhsa_user_sgpr_dispatch_ptr 0
		.amdhsa_user_sgpr_queue_ptr 0
		.amdhsa_user_sgpr_kernarg_segment_ptr 1
		.amdhsa_user_sgpr_dispatch_id 0
		.amdhsa_user_sgpr_kernarg_preload_length 0
		.amdhsa_user_sgpr_kernarg_preload_offset 0
		.amdhsa_user_sgpr_private_segment_size 0
		.amdhsa_wavefront_size32 1
		.amdhsa_uses_dynamic_stack 0
		.amdhsa_enable_private_segment 0
		.amdhsa_system_sgpr_workgroup_id_x 1
		.amdhsa_system_sgpr_workgroup_id_y 0
		.amdhsa_system_sgpr_workgroup_id_z 0
		.amdhsa_system_sgpr_workgroup_info 0
		.amdhsa_system_vgpr_workitem_id 0
		.amdhsa_next_free_vgpr 1
		.amdhsa_next_free_sgpr 1
		.amdhsa_named_barrier_count 0
		.amdhsa_reserve_vcc 0
		.amdhsa_float_round_mode_32 0
		.amdhsa_float_round_mode_16_64 0
		.amdhsa_float_denorm_mode_32 3
		.amdhsa_float_denorm_mode_16_64 3
		.amdhsa_fp16_overflow 0
		.amdhsa_memory_ordered 1
		.amdhsa_forward_progress 1
		.amdhsa_inst_pref_size 0
		.amdhsa_round_robin_scheduling 0
		.amdhsa_exception_fp_ieee_invalid_op 0
		.amdhsa_exception_fp_denorm_src 0
		.amdhsa_exception_fp_ieee_div_zero 0
		.amdhsa_exception_fp_ieee_overflow 0
		.amdhsa_exception_fp_ieee_underflow 0
		.amdhsa_exception_fp_ieee_inexact 0
		.amdhsa_exception_int_div_zero 0
	.end_amdhsa_kernel
	.section	.text._ZN7rocprim17ROCPRIM_400000_NS6detail17trampoline_kernelINS0_14default_configENS1_35radix_sort_onesweep_config_selectorIfNS0_10empty_typeEEEZZNS1_29radix_sort_onesweep_iterationIS3_Lb0EPKfPfPS5_SB_mNS0_19identity_decomposerENS1_16block_id_wrapperIjLb1EEEEE10hipError_tT1_PNSt15iterator_traitsISG_E10value_typeET2_T3_PNSH_ISM_E10value_typeET4_T5_PSR_SS_PNS1_23onesweep_lookback_stateEbbT6_jjT7_P12ihipStream_tbENKUlT_T0_SG_SL_E_clIS9_SA_SB_SB_EEDaSZ_S10_SG_SL_EUlSZ_E_NS1_11comp_targetILNS1_3genE3ELNS1_11target_archE908ELNS1_3gpuE7ELNS1_3repE0EEENS1_47radix_sort_onesweep_sort_config_static_selectorELNS0_4arch9wavefront6targetE0EEEvSG_,"axG",@progbits,_ZN7rocprim17ROCPRIM_400000_NS6detail17trampoline_kernelINS0_14default_configENS1_35radix_sort_onesweep_config_selectorIfNS0_10empty_typeEEEZZNS1_29radix_sort_onesweep_iterationIS3_Lb0EPKfPfPS5_SB_mNS0_19identity_decomposerENS1_16block_id_wrapperIjLb1EEEEE10hipError_tT1_PNSt15iterator_traitsISG_E10value_typeET2_T3_PNSH_ISM_E10value_typeET4_T5_PSR_SS_PNS1_23onesweep_lookback_stateEbbT6_jjT7_P12ihipStream_tbENKUlT_T0_SG_SL_E_clIS9_SA_SB_SB_EEDaSZ_S10_SG_SL_EUlSZ_E_NS1_11comp_targetILNS1_3genE3ELNS1_11target_archE908ELNS1_3gpuE7ELNS1_3repE0EEENS1_47radix_sort_onesweep_sort_config_static_selectorELNS0_4arch9wavefront6targetE0EEEvSG_,comdat
.Lfunc_end1411:
	.size	_ZN7rocprim17ROCPRIM_400000_NS6detail17trampoline_kernelINS0_14default_configENS1_35radix_sort_onesweep_config_selectorIfNS0_10empty_typeEEEZZNS1_29radix_sort_onesweep_iterationIS3_Lb0EPKfPfPS5_SB_mNS0_19identity_decomposerENS1_16block_id_wrapperIjLb1EEEEE10hipError_tT1_PNSt15iterator_traitsISG_E10value_typeET2_T3_PNSH_ISM_E10value_typeET4_T5_PSR_SS_PNS1_23onesweep_lookback_stateEbbT6_jjT7_P12ihipStream_tbENKUlT_T0_SG_SL_E_clIS9_SA_SB_SB_EEDaSZ_S10_SG_SL_EUlSZ_E_NS1_11comp_targetILNS1_3genE3ELNS1_11target_archE908ELNS1_3gpuE7ELNS1_3repE0EEENS1_47radix_sort_onesweep_sort_config_static_selectorELNS0_4arch9wavefront6targetE0EEEvSG_, .Lfunc_end1411-_ZN7rocprim17ROCPRIM_400000_NS6detail17trampoline_kernelINS0_14default_configENS1_35radix_sort_onesweep_config_selectorIfNS0_10empty_typeEEEZZNS1_29radix_sort_onesweep_iterationIS3_Lb0EPKfPfPS5_SB_mNS0_19identity_decomposerENS1_16block_id_wrapperIjLb1EEEEE10hipError_tT1_PNSt15iterator_traitsISG_E10value_typeET2_T3_PNSH_ISM_E10value_typeET4_T5_PSR_SS_PNS1_23onesweep_lookback_stateEbbT6_jjT7_P12ihipStream_tbENKUlT_T0_SG_SL_E_clIS9_SA_SB_SB_EEDaSZ_S10_SG_SL_EUlSZ_E_NS1_11comp_targetILNS1_3genE3ELNS1_11target_archE908ELNS1_3gpuE7ELNS1_3repE0EEENS1_47radix_sort_onesweep_sort_config_static_selectorELNS0_4arch9wavefront6targetE0EEEvSG_
                                        ; -- End function
	.set _ZN7rocprim17ROCPRIM_400000_NS6detail17trampoline_kernelINS0_14default_configENS1_35radix_sort_onesweep_config_selectorIfNS0_10empty_typeEEEZZNS1_29radix_sort_onesweep_iterationIS3_Lb0EPKfPfPS5_SB_mNS0_19identity_decomposerENS1_16block_id_wrapperIjLb1EEEEE10hipError_tT1_PNSt15iterator_traitsISG_E10value_typeET2_T3_PNSH_ISM_E10value_typeET4_T5_PSR_SS_PNS1_23onesweep_lookback_stateEbbT6_jjT7_P12ihipStream_tbENKUlT_T0_SG_SL_E_clIS9_SA_SB_SB_EEDaSZ_S10_SG_SL_EUlSZ_E_NS1_11comp_targetILNS1_3genE3ELNS1_11target_archE908ELNS1_3gpuE7ELNS1_3repE0EEENS1_47radix_sort_onesweep_sort_config_static_selectorELNS0_4arch9wavefront6targetE0EEEvSG_.num_vgpr, 0
	.set _ZN7rocprim17ROCPRIM_400000_NS6detail17trampoline_kernelINS0_14default_configENS1_35radix_sort_onesweep_config_selectorIfNS0_10empty_typeEEEZZNS1_29radix_sort_onesweep_iterationIS3_Lb0EPKfPfPS5_SB_mNS0_19identity_decomposerENS1_16block_id_wrapperIjLb1EEEEE10hipError_tT1_PNSt15iterator_traitsISG_E10value_typeET2_T3_PNSH_ISM_E10value_typeET4_T5_PSR_SS_PNS1_23onesweep_lookback_stateEbbT6_jjT7_P12ihipStream_tbENKUlT_T0_SG_SL_E_clIS9_SA_SB_SB_EEDaSZ_S10_SG_SL_EUlSZ_E_NS1_11comp_targetILNS1_3genE3ELNS1_11target_archE908ELNS1_3gpuE7ELNS1_3repE0EEENS1_47radix_sort_onesweep_sort_config_static_selectorELNS0_4arch9wavefront6targetE0EEEvSG_.num_agpr, 0
	.set _ZN7rocprim17ROCPRIM_400000_NS6detail17trampoline_kernelINS0_14default_configENS1_35radix_sort_onesweep_config_selectorIfNS0_10empty_typeEEEZZNS1_29radix_sort_onesweep_iterationIS3_Lb0EPKfPfPS5_SB_mNS0_19identity_decomposerENS1_16block_id_wrapperIjLb1EEEEE10hipError_tT1_PNSt15iterator_traitsISG_E10value_typeET2_T3_PNSH_ISM_E10value_typeET4_T5_PSR_SS_PNS1_23onesweep_lookback_stateEbbT6_jjT7_P12ihipStream_tbENKUlT_T0_SG_SL_E_clIS9_SA_SB_SB_EEDaSZ_S10_SG_SL_EUlSZ_E_NS1_11comp_targetILNS1_3genE3ELNS1_11target_archE908ELNS1_3gpuE7ELNS1_3repE0EEENS1_47radix_sort_onesweep_sort_config_static_selectorELNS0_4arch9wavefront6targetE0EEEvSG_.numbered_sgpr, 0
	.set _ZN7rocprim17ROCPRIM_400000_NS6detail17trampoline_kernelINS0_14default_configENS1_35radix_sort_onesweep_config_selectorIfNS0_10empty_typeEEEZZNS1_29radix_sort_onesweep_iterationIS3_Lb0EPKfPfPS5_SB_mNS0_19identity_decomposerENS1_16block_id_wrapperIjLb1EEEEE10hipError_tT1_PNSt15iterator_traitsISG_E10value_typeET2_T3_PNSH_ISM_E10value_typeET4_T5_PSR_SS_PNS1_23onesweep_lookback_stateEbbT6_jjT7_P12ihipStream_tbENKUlT_T0_SG_SL_E_clIS9_SA_SB_SB_EEDaSZ_S10_SG_SL_EUlSZ_E_NS1_11comp_targetILNS1_3genE3ELNS1_11target_archE908ELNS1_3gpuE7ELNS1_3repE0EEENS1_47radix_sort_onesweep_sort_config_static_selectorELNS0_4arch9wavefront6targetE0EEEvSG_.num_named_barrier, 0
	.set _ZN7rocprim17ROCPRIM_400000_NS6detail17trampoline_kernelINS0_14default_configENS1_35radix_sort_onesweep_config_selectorIfNS0_10empty_typeEEEZZNS1_29radix_sort_onesweep_iterationIS3_Lb0EPKfPfPS5_SB_mNS0_19identity_decomposerENS1_16block_id_wrapperIjLb1EEEEE10hipError_tT1_PNSt15iterator_traitsISG_E10value_typeET2_T3_PNSH_ISM_E10value_typeET4_T5_PSR_SS_PNS1_23onesweep_lookback_stateEbbT6_jjT7_P12ihipStream_tbENKUlT_T0_SG_SL_E_clIS9_SA_SB_SB_EEDaSZ_S10_SG_SL_EUlSZ_E_NS1_11comp_targetILNS1_3genE3ELNS1_11target_archE908ELNS1_3gpuE7ELNS1_3repE0EEENS1_47radix_sort_onesweep_sort_config_static_selectorELNS0_4arch9wavefront6targetE0EEEvSG_.private_seg_size, 0
	.set _ZN7rocprim17ROCPRIM_400000_NS6detail17trampoline_kernelINS0_14default_configENS1_35radix_sort_onesweep_config_selectorIfNS0_10empty_typeEEEZZNS1_29radix_sort_onesweep_iterationIS3_Lb0EPKfPfPS5_SB_mNS0_19identity_decomposerENS1_16block_id_wrapperIjLb1EEEEE10hipError_tT1_PNSt15iterator_traitsISG_E10value_typeET2_T3_PNSH_ISM_E10value_typeET4_T5_PSR_SS_PNS1_23onesweep_lookback_stateEbbT6_jjT7_P12ihipStream_tbENKUlT_T0_SG_SL_E_clIS9_SA_SB_SB_EEDaSZ_S10_SG_SL_EUlSZ_E_NS1_11comp_targetILNS1_3genE3ELNS1_11target_archE908ELNS1_3gpuE7ELNS1_3repE0EEENS1_47radix_sort_onesweep_sort_config_static_selectorELNS0_4arch9wavefront6targetE0EEEvSG_.uses_vcc, 0
	.set _ZN7rocprim17ROCPRIM_400000_NS6detail17trampoline_kernelINS0_14default_configENS1_35radix_sort_onesweep_config_selectorIfNS0_10empty_typeEEEZZNS1_29radix_sort_onesweep_iterationIS3_Lb0EPKfPfPS5_SB_mNS0_19identity_decomposerENS1_16block_id_wrapperIjLb1EEEEE10hipError_tT1_PNSt15iterator_traitsISG_E10value_typeET2_T3_PNSH_ISM_E10value_typeET4_T5_PSR_SS_PNS1_23onesweep_lookback_stateEbbT6_jjT7_P12ihipStream_tbENKUlT_T0_SG_SL_E_clIS9_SA_SB_SB_EEDaSZ_S10_SG_SL_EUlSZ_E_NS1_11comp_targetILNS1_3genE3ELNS1_11target_archE908ELNS1_3gpuE7ELNS1_3repE0EEENS1_47radix_sort_onesweep_sort_config_static_selectorELNS0_4arch9wavefront6targetE0EEEvSG_.uses_flat_scratch, 0
	.set _ZN7rocprim17ROCPRIM_400000_NS6detail17trampoline_kernelINS0_14default_configENS1_35radix_sort_onesweep_config_selectorIfNS0_10empty_typeEEEZZNS1_29radix_sort_onesweep_iterationIS3_Lb0EPKfPfPS5_SB_mNS0_19identity_decomposerENS1_16block_id_wrapperIjLb1EEEEE10hipError_tT1_PNSt15iterator_traitsISG_E10value_typeET2_T3_PNSH_ISM_E10value_typeET4_T5_PSR_SS_PNS1_23onesweep_lookback_stateEbbT6_jjT7_P12ihipStream_tbENKUlT_T0_SG_SL_E_clIS9_SA_SB_SB_EEDaSZ_S10_SG_SL_EUlSZ_E_NS1_11comp_targetILNS1_3genE3ELNS1_11target_archE908ELNS1_3gpuE7ELNS1_3repE0EEENS1_47radix_sort_onesweep_sort_config_static_selectorELNS0_4arch9wavefront6targetE0EEEvSG_.has_dyn_sized_stack, 0
	.set _ZN7rocprim17ROCPRIM_400000_NS6detail17trampoline_kernelINS0_14default_configENS1_35radix_sort_onesweep_config_selectorIfNS0_10empty_typeEEEZZNS1_29radix_sort_onesweep_iterationIS3_Lb0EPKfPfPS5_SB_mNS0_19identity_decomposerENS1_16block_id_wrapperIjLb1EEEEE10hipError_tT1_PNSt15iterator_traitsISG_E10value_typeET2_T3_PNSH_ISM_E10value_typeET4_T5_PSR_SS_PNS1_23onesweep_lookback_stateEbbT6_jjT7_P12ihipStream_tbENKUlT_T0_SG_SL_E_clIS9_SA_SB_SB_EEDaSZ_S10_SG_SL_EUlSZ_E_NS1_11comp_targetILNS1_3genE3ELNS1_11target_archE908ELNS1_3gpuE7ELNS1_3repE0EEENS1_47radix_sort_onesweep_sort_config_static_selectorELNS0_4arch9wavefront6targetE0EEEvSG_.has_recursion, 0
	.set _ZN7rocprim17ROCPRIM_400000_NS6detail17trampoline_kernelINS0_14default_configENS1_35radix_sort_onesweep_config_selectorIfNS0_10empty_typeEEEZZNS1_29radix_sort_onesweep_iterationIS3_Lb0EPKfPfPS5_SB_mNS0_19identity_decomposerENS1_16block_id_wrapperIjLb1EEEEE10hipError_tT1_PNSt15iterator_traitsISG_E10value_typeET2_T3_PNSH_ISM_E10value_typeET4_T5_PSR_SS_PNS1_23onesweep_lookback_stateEbbT6_jjT7_P12ihipStream_tbENKUlT_T0_SG_SL_E_clIS9_SA_SB_SB_EEDaSZ_S10_SG_SL_EUlSZ_E_NS1_11comp_targetILNS1_3genE3ELNS1_11target_archE908ELNS1_3gpuE7ELNS1_3repE0EEENS1_47radix_sort_onesweep_sort_config_static_selectorELNS0_4arch9wavefront6targetE0EEEvSG_.has_indirect_call, 0
	.section	.AMDGPU.csdata,"",@progbits
; Kernel info:
; codeLenInByte = 0
; TotalNumSgprs: 0
; NumVgprs: 0
; ScratchSize: 0
; MemoryBound: 0
; FloatMode: 240
; IeeeMode: 1
; LDSByteSize: 0 bytes/workgroup (compile time only)
; SGPRBlocks: 0
; VGPRBlocks: 0
; NumSGPRsForWavesPerEU: 1
; NumVGPRsForWavesPerEU: 1
; NamedBarCnt: 0
; Occupancy: 16
; WaveLimiterHint : 0
; COMPUTE_PGM_RSRC2:SCRATCH_EN: 0
; COMPUTE_PGM_RSRC2:USER_SGPR: 2
; COMPUTE_PGM_RSRC2:TRAP_HANDLER: 0
; COMPUTE_PGM_RSRC2:TGID_X_EN: 1
; COMPUTE_PGM_RSRC2:TGID_Y_EN: 0
; COMPUTE_PGM_RSRC2:TGID_Z_EN: 0
; COMPUTE_PGM_RSRC2:TIDIG_COMP_CNT: 0
	.section	.text._ZN7rocprim17ROCPRIM_400000_NS6detail17trampoline_kernelINS0_14default_configENS1_35radix_sort_onesweep_config_selectorIfNS0_10empty_typeEEEZZNS1_29radix_sort_onesweep_iterationIS3_Lb0EPKfPfPS5_SB_mNS0_19identity_decomposerENS1_16block_id_wrapperIjLb1EEEEE10hipError_tT1_PNSt15iterator_traitsISG_E10value_typeET2_T3_PNSH_ISM_E10value_typeET4_T5_PSR_SS_PNS1_23onesweep_lookback_stateEbbT6_jjT7_P12ihipStream_tbENKUlT_T0_SG_SL_E_clIS9_SA_SB_SB_EEDaSZ_S10_SG_SL_EUlSZ_E_NS1_11comp_targetILNS1_3genE10ELNS1_11target_archE1201ELNS1_3gpuE5ELNS1_3repE0EEENS1_47radix_sort_onesweep_sort_config_static_selectorELNS0_4arch9wavefront6targetE0EEEvSG_,"axG",@progbits,_ZN7rocprim17ROCPRIM_400000_NS6detail17trampoline_kernelINS0_14default_configENS1_35radix_sort_onesweep_config_selectorIfNS0_10empty_typeEEEZZNS1_29radix_sort_onesweep_iterationIS3_Lb0EPKfPfPS5_SB_mNS0_19identity_decomposerENS1_16block_id_wrapperIjLb1EEEEE10hipError_tT1_PNSt15iterator_traitsISG_E10value_typeET2_T3_PNSH_ISM_E10value_typeET4_T5_PSR_SS_PNS1_23onesweep_lookback_stateEbbT6_jjT7_P12ihipStream_tbENKUlT_T0_SG_SL_E_clIS9_SA_SB_SB_EEDaSZ_S10_SG_SL_EUlSZ_E_NS1_11comp_targetILNS1_3genE10ELNS1_11target_archE1201ELNS1_3gpuE5ELNS1_3repE0EEENS1_47radix_sort_onesweep_sort_config_static_selectorELNS0_4arch9wavefront6targetE0EEEvSG_,comdat
	.protected	_ZN7rocprim17ROCPRIM_400000_NS6detail17trampoline_kernelINS0_14default_configENS1_35radix_sort_onesweep_config_selectorIfNS0_10empty_typeEEEZZNS1_29radix_sort_onesweep_iterationIS3_Lb0EPKfPfPS5_SB_mNS0_19identity_decomposerENS1_16block_id_wrapperIjLb1EEEEE10hipError_tT1_PNSt15iterator_traitsISG_E10value_typeET2_T3_PNSH_ISM_E10value_typeET4_T5_PSR_SS_PNS1_23onesweep_lookback_stateEbbT6_jjT7_P12ihipStream_tbENKUlT_T0_SG_SL_E_clIS9_SA_SB_SB_EEDaSZ_S10_SG_SL_EUlSZ_E_NS1_11comp_targetILNS1_3genE10ELNS1_11target_archE1201ELNS1_3gpuE5ELNS1_3repE0EEENS1_47radix_sort_onesweep_sort_config_static_selectorELNS0_4arch9wavefront6targetE0EEEvSG_ ; -- Begin function _ZN7rocprim17ROCPRIM_400000_NS6detail17trampoline_kernelINS0_14default_configENS1_35radix_sort_onesweep_config_selectorIfNS0_10empty_typeEEEZZNS1_29radix_sort_onesweep_iterationIS3_Lb0EPKfPfPS5_SB_mNS0_19identity_decomposerENS1_16block_id_wrapperIjLb1EEEEE10hipError_tT1_PNSt15iterator_traitsISG_E10value_typeET2_T3_PNSH_ISM_E10value_typeET4_T5_PSR_SS_PNS1_23onesweep_lookback_stateEbbT6_jjT7_P12ihipStream_tbENKUlT_T0_SG_SL_E_clIS9_SA_SB_SB_EEDaSZ_S10_SG_SL_EUlSZ_E_NS1_11comp_targetILNS1_3genE10ELNS1_11target_archE1201ELNS1_3gpuE5ELNS1_3repE0EEENS1_47radix_sort_onesweep_sort_config_static_selectorELNS0_4arch9wavefront6targetE0EEEvSG_
	.globl	_ZN7rocprim17ROCPRIM_400000_NS6detail17trampoline_kernelINS0_14default_configENS1_35radix_sort_onesweep_config_selectorIfNS0_10empty_typeEEEZZNS1_29radix_sort_onesweep_iterationIS3_Lb0EPKfPfPS5_SB_mNS0_19identity_decomposerENS1_16block_id_wrapperIjLb1EEEEE10hipError_tT1_PNSt15iterator_traitsISG_E10value_typeET2_T3_PNSH_ISM_E10value_typeET4_T5_PSR_SS_PNS1_23onesweep_lookback_stateEbbT6_jjT7_P12ihipStream_tbENKUlT_T0_SG_SL_E_clIS9_SA_SB_SB_EEDaSZ_S10_SG_SL_EUlSZ_E_NS1_11comp_targetILNS1_3genE10ELNS1_11target_archE1201ELNS1_3gpuE5ELNS1_3repE0EEENS1_47radix_sort_onesweep_sort_config_static_selectorELNS0_4arch9wavefront6targetE0EEEvSG_
	.p2align	8
	.type	_ZN7rocprim17ROCPRIM_400000_NS6detail17trampoline_kernelINS0_14default_configENS1_35radix_sort_onesweep_config_selectorIfNS0_10empty_typeEEEZZNS1_29radix_sort_onesweep_iterationIS3_Lb0EPKfPfPS5_SB_mNS0_19identity_decomposerENS1_16block_id_wrapperIjLb1EEEEE10hipError_tT1_PNSt15iterator_traitsISG_E10value_typeET2_T3_PNSH_ISM_E10value_typeET4_T5_PSR_SS_PNS1_23onesweep_lookback_stateEbbT6_jjT7_P12ihipStream_tbENKUlT_T0_SG_SL_E_clIS9_SA_SB_SB_EEDaSZ_S10_SG_SL_EUlSZ_E_NS1_11comp_targetILNS1_3genE10ELNS1_11target_archE1201ELNS1_3gpuE5ELNS1_3repE0EEENS1_47radix_sort_onesweep_sort_config_static_selectorELNS0_4arch9wavefront6targetE0EEEvSG_,@function
_ZN7rocprim17ROCPRIM_400000_NS6detail17trampoline_kernelINS0_14default_configENS1_35radix_sort_onesweep_config_selectorIfNS0_10empty_typeEEEZZNS1_29radix_sort_onesweep_iterationIS3_Lb0EPKfPfPS5_SB_mNS0_19identity_decomposerENS1_16block_id_wrapperIjLb1EEEEE10hipError_tT1_PNSt15iterator_traitsISG_E10value_typeET2_T3_PNSH_ISM_E10value_typeET4_T5_PSR_SS_PNS1_23onesweep_lookback_stateEbbT6_jjT7_P12ihipStream_tbENKUlT_T0_SG_SL_E_clIS9_SA_SB_SB_EEDaSZ_S10_SG_SL_EUlSZ_E_NS1_11comp_targetILNS1_3genE10ELNS1_11target_archE1201ELNS1_3gpuE5ELNS1_3repE0EEENS1_47radix_sort_onesweep_sort_config_static_selectorELNS0_4arch9wavefront6targetE0EEEvSG_: ; @_ZN7rocprim17ROCPRIM_400000_NS6detail17trampoline_kernelINS0_14default_configENS1_35radix_sort_onesweep_config_selectorIfNS0_10empty_typeEEEZZNS1_29radix_sort_onesweep_iterationIS3_Lb0EPKfPfPS5_SB_mNS0_19identity_decomposerENS1_16block_id_wrapperIjLb1EEEEE10hipError_tT1_PNSt15iterator_traitsISG_E10value_typeET2_T3_PNSH_ISM_E10value_typeET4_T5_PSR_SS_PNS1_23onesweep_lookback_stateEbbT6_jjT7_P12ihipStream_tbENKUlT_T0_SG_SL_E_clIS9_SA_SB_SB_EEDaSZ_S10_SG_SL_EUlSZ_E_NS1_11comp_targetILNS1_3genE10ELNS1_11target_archE1201ELNS1_3gpuE5ELNS1_3repE0EEENS1_47radix_sort_onesweep_sort_config_static_selectorELNS0_4arch9wavefront6targetE0EEEvSG_
; %bb.0:
	.section	.rodata,"a",@progbits
	.p2align	6, 0x0
	.amdhsa_kernel _ZN7rocprim17ROCPRIM_400000_NS6detail17trampoline_kernelINS0_14default_configENS1_35radix_sort_onesweep_config_selectorIfNS0_10empty_typeEEEZZNS1_29radix_sort_onesweep_iterationIS3_Lb0EPKfPfPS5_SB_mNS0_19identity_decomposerENS1_16block_id_wrapperIjLb1EEEEE10hipError_tT1_PNSt15iterator_traitsISG_E10value_typeET2_T3_PNSH_ISM_E10value_typeET4_T5_PSR_SS_PNS1_23onesweep_lookback_stateEbbT6_jjT7_P12ihipStream_tbENKUlT_T0_SG_SL_E_clIS9_SA_SB_SB_EEDaSZ_S10_SG_SL_EUlSZ_E_NS1_11comp_targetILNS1_3genE10ELNS1_11target_archE1201ELNS1_3gpuE5ELNS1_3repE0EEENS1_47radix_sort_onesweep_sort_config_static_selectorELNS0_4arch9wavefront6targetE0EEEvSG_
		.amdhsa_group_segment_fixed_size 0
		.amdhsa_private_segment_fixed_size 0
		.amdhsa_kernarg_size 88
		.amdhsa_user_sgpr_count 2
		.amdhsa_user_sgpr_dispatch_ptr 0
		.amdhsa_user_sgpr_queue_ptr 0
		.amdhsa_user_sgpr_kernarg_segment_ptr 1
		.amdhsa_user_sgpr_dispatch_id 0
		.amdhsa_user_sgpr_kernarg_preload_length 0
		.amdhsa_user_sgpr_kernarg_preload_offset 0
		.amdhsa_user_sgpr_private_segment_size 0
		.amdhsa_wavefront_size32 1
		.amdhsa_uses_dynamic_stack 0
		.amdhsa_enable_private_segment 0
		.amdhsa_system_sgpr_workgroup_id_x 1
		.amdhsa_system_sgpr_workgroup_id_y 0
		.amdhsa_system_sgpr_workgroup_id_z 0
		.amdhsa_system_sgpr_workgroup_info 0
		.amdhsa_system_vgpr_workitem_id 0
		.amdhsa_next_free_vgpr 1
		.amdhsa_next_free_sgpr 1
		.amdhsa_named_barrier_count 0
		.amdhsa_reserve_vcc 0
		.amdhsa_float_round_mode_32 0
		.amdhsa_float_round_mode_16_64 0
		.amdhsa_float_denorm_mode_32 3
		.amdhsa_float_denorm_mode_16_64 3
		.amdhsa_fp16_overflow 0
		.amdhsa_memory_ordered 1
		.amdhsa_forward_progress 1
		.amdhsa_inst_pref_size 0
		.amdhsa_round_robin_scheduling 0
		.amdhsa_exception_fp_ieee_invalid_op 0
		.amdhsa_exception_fp_denorm_src 0
		.amdhsa_exception_fp_ieee_div_zero 0
		.amdhsa_exception_fp_ieee_overflow 0
		.amdhsa_exception_fp_ieee_underflow 0
		.amdhsa_exception_fp_ieee_inexact 0
		.amdhsa_exception_int_div_zero 0
	.end_amdhsa_kernel
	.section	.text._ZN7rocprim17ROCPRIM_400000_NS6detail17trampoline_kernelINS0_14default_configENS1_35radix_sort_onesweep_config_selectorIfNS0_10empty_typeEEEZZNS1_29radix_sort_onesweep_iterationIS3_Lb0EPKfPfPS5_SB_mNS0_19identity_decomposerENS1_16block_id_wrapperIjLb1EEEEE10hipError_tT1_PNSt15iterator_traitsISG_E10value_typeET2_T3_PNSH_ISM_E10value_typeET4_T5_PSR_SS_PNS1_23onesweep_lookback_stateEbbT6_jjT7_P12ihipStream_tbENKUlT_T0_SG_SL_E_clIS9_SA_SB_SB_EEDaSZ_S10_SG_SL_EUlSZ_E_NS1_11comp_targetILNS1_3genE10ELNS1_11target_archE1201ELNS1_3gpuE5ELNS1_3repE0EEENS1_47radix_sort_onesweep_sort_config_static_selectorELNS0_4arch9wavefront6targetE0EEEvSG_,"axG",@progbits,_ZN7rocprim17ROCPRIM_400000_NS6detail17trampoline_kernelINS0_14default_configENS1_35radix_sort_onesweep_config_selectorIfNS0_10empty_typeEEEZZNS1_29radix_sort_onesweep_iterationIS3_Lb0EPKfPfPS5_SB_mNS0_19identity_decomposerENS1_16block_id_wrapperIjLb1EEEEE10hipError_tT1_PNSt15iterator_traitsISG_E10value_typeET2_T3_PNSH_ISM_E10value_typeET4_T5_PSR_SS_PNS1_23onesweep_lookback_stateEbbT6_jjT7_P12ihipStream_tbENKUlT_T0_SG_SL_E_clIS9_SA_SB_SB_EEDaSZ_S10_SG_SL_EUlSZ_E_NS1_11comp_targetILNS1_3genE10ELNS1_11target_archE1201ELNS1_3gpuE5ELNS1_3repE0EEENS1_47radix_sort_onesweep_sort_config_static_selectorELNS0_4arch9wavefront6targetE0EEEvSG_,comdat
.Lfunc_end1412:
	.size	_ZN7rocprim17ROCPRIM_400000_NS6detail17trampoline_kernelINS0_14default_configENS1_35radix_sort_onesweep_config_selectorIfNS0_10empty_typeEEEZZNS1_29radix_sort_onesweep_iterationIS3_Lb0EPKfPfPS5_SB_mNS0_19identity_decomposerENS1_16block_id_wrapperIjLb1EEEEE10hipError_tT1_PNSt15iterator_traitsISG_E10value_typeET2_T3_PNSH_ISM_E10value_typeET4_T5_PSR_SS_PNS1_23onesweep_lookback_stateEbbT6_jjT7_P12ihipStream_tbENKUlT_T0_SG_SL_E_clIS9_SA_SB_SB_EEDaSZ_S10_SG_SL_EUlSZ_E_NS1_11comp_targetILNS1_3genE10ELNS1_11target_archE1201ELNS1_3gpuE5ELNS1_3repE0EEENS1_47radix_sort_onesweep_sort_config_static_selectorELNS0_4arch9wavefront6targetE0EEEvSG_, .Lfunc_end1412-_ZN7rocprim17ROCPRIM_400000_NS6detail17trampoline_kernelINS0_14default_configENS1_35radix_sort_onesweep_config_selectorIfNS0_10empty_typeEEEZZNS1_29radix_sort_onesweep_iterationIS3_Lb0EPKfPfPS5_SB_mNS0_19identity_decomposerENS1_16block_id_wrapperIjLb1EEEEE10hipError_tT1_PNSt15iterator_traitsISG_E10value_typeET2_T3_PNSH_ISM_E10value_typeET4_T5_PSR_SS_PNS1_23onesweep_lookback_stateEbbT6_jjT7_P12ihipStream_tbENKUlT_T0_SG_SL_E_clIS9_SA_SB_SB_EEDaSZ_S10_SG_SL_EUlSZ_E_NS1_11comp_targetILNS1_3genE10ELNS1_11target_archE1201ELNS1_3gpuE5ELNS1_3repE0EEENS1_47radix_sort_onesweep_sort_config_static_selectorELNS0_4arch9wavefront6targetE0EEEvSG_
                                        ; -- End function
	.set _ZN7rocprim17ROCPRIM_400000_NS6detail17trampoline_kernelINS0_14default_configENS1_35radix_sort_onesweep_config_selectorIfNS0_10empty_typeEEEZZNS1_29radix_sort_onesweep_iterationIS3_Lb0EPKfPfPS5_SB_mNS0_19identity_decomposerENS1_16block_id_wrapperIjLb1EEEEE10hipError_tT1_PNSt15iterator_traitsISG_E10value_typeET2_T3_PNSH_ISM_E10value_typeET4_T5_PSR_SS_PNS1_23onesweep_lookback_stateEbbT6_jjT7_P12ihipStream_tbENKUlT_T0_SG_SL_E_clIS9_SA_SB_SB_EEDaSZ_S10_SG_SL_EUlSZ_E_NS1_11comp_targetILNS1_3genE10ELNS1_11target_archE1201ELNS1_3gpuE5ELNS1_3repE0EEENS1_47radix_sort_onesweep_sort_config_static_selectorELNS0_4arch9wavefront6targetE0EEEvSG_.num_vgpr, 0
	.set _ZN7rocprim17ROCPRIM_400000_NS6detail17trampoline_kernelINS0_14default_configENS1_35radix_sort_onesweep_config_selectorIfNS0_10empty_typeEEEZZNS1_29radix_sort_onesweep_iterationIS3_Lb0EPKfPfPS5_SB_mNS0_19identity_decomposerENS1_16block_id_wrapperIjLb1EEEEE10hipError_tT1_PNSt15iterator_traitsISG_E10value_typeET2_T3_PNSH_ISM_E10value_typeET4_T5_PSR_SS_PNS1_23onesweep_lookback_stateEbbT6_jjT7_P12ihipStream_tbENKUlT_T0_SG_SL_E_clIS9_SA_SB_SB_EEDaSZ_S10_SG_SL_EUlSZ_E_NS1_11comp_targetILNS1_3genE10ELNS1_11target_archE1201ELNS1_3gpuE5ELNS1_3repE0EEENS1_47radix_sort_onesweep_sort_config_static_selectorELNS0_4arch9wavefront6targetE0EEEvSG_.num_agpr, 0
	.set _ZN7rocprim17ROCPRIM_400000_NS6detail17trampoline_kernelINS0_14default_configENS1_35radix_sort_onesweep_config_selectorIfNS0_10empty_typeEEEZZNS1_29radix_sort_onesweep_iterationIS3_Lb0EPKfPfPS5_SB_mNS0_19identity_decomposerENS1_16block_id_wrapperIjLb1EEEEE10hipError_tT1_PNSt15iterator_traitsISG_E10value_typeET2_T3_PNSH_ISM_E10value_typeET4_T5_PSR_SS_PNS1_23onesweep_lookback_stateEbbT6_jjT7_P12ihipStream_tbENKUlT_T0_SG_SL_E_clIS9_SA_SB_SB_EEDaSZ_S10_SG_SL_EUlSZ_E_NS1_11comp_targetILNS1_3genE10ELNS1_11target_archE1201ELNS1_3gpuE5ELNS1_3repE0EEENS1_47radix_sort_onesweep_sort_config_static_selectorELNS0_4arch9wavefront6targetE0EEEvSG_.numbered_sgpr, 0
	.set _ZN7rocprim17ROCPRIM_400000_NS6detail17trampoline_kernelINS0_14default_configENS1_35radix_sort_onesweep_config_selectorIfNS0_10empty_typeEEEZZNS1_29radix_sort_onesweep_iterationIS3_Lb0EPKfPfPS5_SB_mNS0_19identity_decomposerENS1_16block_id_wrapperIjLb1EEEEE10hipError_tT1_PNSt15iterator_traitsISG_E10value_typeET2_T3_PNSH_ISM_E10value_typeET4_T5_PSR_SS_PNS1_23onesweep_lookback_stateEbbT6_jjT7_P12ihipStream_tbENKUlT_T0_SG_SL_E_clIS9_SA_SB_SB_EEDaSZ_S10_SG_SL_EUlSZ_E_NS1_11comp_targetILNS1_3genE10ELNS1_11target_archE1201ELNS1_3gpuE5ELNS1_3repE0EEENS1_47radix_sort_onesweep_sort_config_static_selectorELNS0_4arch9wavefront6targetE0EEEvSG_.num_named_barrier, 0
	.set _ZN7rocprim17ROCPRIM_400000_NS6detail17trampoline_kernelINS0_14default_configENS1_35radix_sort_onesweep_config_selectorIfNS0_10empty_typeEEEZZNS1_29radix_sort_onesweep_iterationIS3_Lb0EPKfPfPS5_SB_mNS0_19identity_decomposerENS1_16block_id_wrapperIjLb1EEEEE10hipError_tT1_PNSt15iterator_traitsISG_E10value_typeET2_T3_PNSH_ISM_E10value_typeET4_T5_PSR_SS_PNS1_23onesweep_lookback_stateEbbT6_jjT7_P12ihipStream_tbENKUlT_T0_SG_SL_E_clIS9_SA_SB_SB_EEDaSZ_S10_SG_SL_EUlSZ_E_NS1_11comp_targetILNS1_3genE10ELNS1_11target_archE1201ELNS1_3gpuE5ELNS1_3repE0EEENS1_47radix_sort_onesweep_sort_config_static_selectorELNS0_4arch9wavefront6targetE0EEEvSG_.private_seg_size, 0
	.set _ZN7rocprim17ROCPRIM_400000_NS6detail17trampoline_kernelINS0_14default_configENS1_35radix_sort_onesweep_config_selectorIfNS0_10empty_typeEEEZZNS1_29radix_sort_onesweep_iterationIS3_Lb0EPKfPfPS5_SB_mNS0_19identity_decomposerENS1_16block_id_wrapperIjLb1EEEEE10hipError_tT1_PNSt15iterator_traitsISG_E10value_typeET2_T3_PNSH_ISM_E10value_typeET4_T5_PSR_SS_PNS1_23onesweep_lookback_stateEbbT6_jjT7_P12ihipStream_tbENKUlT_T0_SG_SL_E_clIS9_SA_SB_SB_EEDaSZ_S10_SG_SL_EUlSZ_E_NS1_11comp_targetILNS1_3genE10ELNS1_11target_archE1201ELNS1_3gpuE5ELNS1_3repE0EEENS1_47radix_sort_onesweep_sort_config_static_selectorELNS0_4arch9wavefront6targetE0EEEvSG_.uses_vcc, 0
	.set _ZN7rocprim17ROCPRIM_400000_NS6detail17trampoline_kernelINS0_14default_configENS1_35radix_sort_onesweep_config_selectorIfNS0_10empty_typeEEEZZNS1_29radix_sort_onesweep_iterationIS3_Lb0EPKfPfPS5_SB_mNS0_19identity_decomposerENS1_16block_id_wrapperIjLb1EEEEE10hipError_tT1_PNSt15iterator_traitsISG_E10value_typeET2_T3_PNSH_ISM_E10value_typeET4_T5_PSR_SS_PNS1_23onesweep_lookback_stateEbbT6_jjT7_P12ihipStream_tbENKUlT_T0_SG_SL_E_clIS9_SA_SB_SB_EEDaSZ_S10_SG_SL_EUlSZ_E_NS1_11comp_targetILNS1_3genE10ELNS1_11target_archE1201ELNS1_3gpuE5ELNS1_3repE0EEENS1_47radix_sort_onesweep_sort_config_static_selectorELNS0_4arch9wavefront6targetE0EEEvSG_.uses_flat_scratch, 0
	.set _ZN7rocprim17ROCPRIM_400000_NS6detail17trampoline_kernelINS0_14default_configENS1_35radix_sort_onesweep_config_selectorIfNS0_10empty_typeEEEZZNS1_29radix_sort_onesweep_iterationIS3_Lb0EPKfPfPS5_SB_mNS0_19identity_decomposerENS1_16block_id_wrapperIjLb1EEEEE10hipError_tT1_PNSt15iterator_traitsISG_E10value_typeET2_T3_PNSH_ISM_E10value_typeET4_T5_PSR_SS_PNS1_23onesweep_lookback_stateEbbT6_jjT7_P12ihipStream_tbENKUlT_T0_SG_SL_E_clIS9_SA_SB_SB_EEDaSZ_S10_SG_SL_EUlSZ_E_NS1_11comp_targetILNS1_3genE10ELNS1_11target_archE1201ELNS1_3gpuE5ELNS1_3repE0EEENS1_47radix_sort_onesweep_sort_config_static_selectorELNS0_4arch9wavefront6targetE0EEEvSG_.has_dyn_sized_stack, 0
	.set _ZN7rocprim17ROCPRIM_400000_NS6detail17trampoline_kernelINS0_14default_configENS1_35radix_sort_onesweep_config_selectorIfNS0_10empty_typeEEEZZNS1_29radix_sort_onesweep_iterationIS3_Lb0EPKfPfPS5_SB_mNS0_19identity_decomposerENS1_16block_id_wrapperIjLb1EEEEE10hipError_tT1_PNSt15iterator_traitsISG_E10value_typeET2_T3_PNSH_ISM_E10value_typeET4_T5_PSR_SS_PNS1_23onesweep_lookback_stateEbbT6_jjT7_P12ihipStream_tbENKUlT_T0_SG_SL_E_clIS9_SA_SB_SB_EEDaSZ_S10_SG_SL_EUlSZ_E_NS1_11comp_targetILNS1_3genE10ELNS1_11target_archE1201ELNS1_3gpuE5ELNS1_3repE0EEENS1_47radix_sort_onesweep_sort_config_static_selectorELNS0_4arch9wavefront6targetE0EEEvSG_.has_recursion, 0
	.set _ZN7rocprim17ROCPRIM_400000_NS6detail17trampoline_kernelINS0_14default_configENS1_35radix_sort_onesweep_config_selectorIfNS0_10empty_typeEEEZZNS1_29radix_sort_onesweep_iterationIS3_Lb0EPKfPfPS5_SB_mNS0_19identity_decomposerENS1_16block_id_wrapperIjLb1EEEEE10hipError_tT1_PNSt15iterator_traitsISG_E10value_typeET2_T3_PNSH_ISM_E10value_typeET4_T5_PSR_SS_PNS1_23onesweep_lookback_stateEbbT6_jjT7_P12ihipStream_tbENKUlT_T0_SG_SL_E_clIS9_SA_SB_SB_EEDaSZ_S10_SG_SL_EUlSZ_E_NS1_11comp_targetILNS1_3genE10ELNS1_11target_archE1201ELNS1_3gpuE5ELNS1_3repE0EEENS1_47radix_sort_onesweep_sort_config_static_selectorELNS0_4arch9wavefront6targetE0EEEvSG_.has_indirect_call, 0
	.section	.AMDGPU.csdata,"",@progbits
; Kernel info:
; codeLenInByte = 0
; TotalNumSgprs: 0
; NumVgprs: 0
; ScratchSize: 0
; MemoryBound: 0
; FloatMode: 240
; IeeeMode: 1
; LDSByteSize: 0 bytes/workgroup (compile time only)
; SGPRBlocks: 0
; VGPRBlocks: 0
; NumSGPRsForWavesPerEU: 1
; NumVGPRsForWavesPerEU: 1
; NamedBarCnt: 0
; Occupancy: 16
; WaveLimiterHint : 0
; COMPUTE_PGM_RSRC2:SCRATCH_EN: 0
; COMPUTE_PGM_RSRC2:USER_SGPR: 2
; COMPUTE_PGM_RSRC2:TRAP_HANDLER: 0
; COMPUTE_PGM_RSRC2:TGID_X_EN: 1
; COMPUTE_PGM_RSRC2:TGID_Y_EN: 0
; COMPUTE_PGM_RSRC2:TGID_Z_EN: 0
; COMPUTE_PGM_RSRC2:TIDIG_COMP_CNT: 0
	.section	.text._ZN7rocprim17ROCPRIM_400000_NS6detail17trampoline_kernelINS0_14default_configENS1_35radix_sort_onesweep_config_selectorIfNS0_10empty_typeEEEZZNS1_29radix_sort_onesweep_iterationIS3_Lb0EPKfPfPS5_SB_mNS0_19identity_decomposerENS1_16block_id_wrapperIjLb1EEEEE10hipError_tT1_PNSt15iterator_traitsISG_E10value_typeET2_T3_PNSH_ISM_E10value_typeET4_T5_PSR_SS_PNS1_23onesweep_lookback_stateEbbT6_jjT7_P12ihipStream_tbENKUlT_T0_SG_SL_E_clIS9_SA_SB_SB_EEDaSZ_S10_SG_SL_EUlSZ_E_NS1_11comp_targetILNS1_3genE9ELNS1_11target_archE1100ELNS1_3gpuE3ELNS1_3repE0EEENS1_47radix_sort_onesweep_sort_config_static_selectorELNS0_4arch9wavefront6targetE0EEEvSG_,"axG",@progbits,_ZN7rocprim17ROCPRIM_400000_NS6detail17trampoline_kernelINS0_14default_configENS1_35radix_sort_onesweep_config_selectorIfNS0_10empty_typeEEEZZNS1_29radix_sort_onesweep_iterationIS3_Lb0EPKfPfPS5_SB_mNS0_19identity_decomposerENS1_16block_id_wrapperIjLb1EEEEE10hipError_tT1_PNSt15iterator_traitsISG_E10value_typeET2_T3_PNSH_ISM_E10value_typeET4_T5_PSR_SS_PNS1_23onesweep_lookback_stateEbbT6_jjT7_P12ihipStream_tbENKUlT_T0_SG_SL_E_clIS9_SA_SB_SB_EEDaSZ_S10_SG_SL_EUlSZ_E_NS1_11comp_targetILNS1_3genE9ELNS1_11target_archE1100ELNS1_3gpuE3ELNS1_3repE0EEENS1_47radix_sort_onesweep_sort_config_static_selectorELNS0_4arch9wavefront6targetE0EEEvSG_,comdat
	.protected	_ZN7rocprim17ROCPRIM_400000_NS6detail17trampoline_kernelINS0_14default_configENS1_35radix_sort_onesweep_config_selectorIfNS0_10empty_typeEEEZZNS1_29radix_sort_onesweep_iterationIS3_Lb0EPKfPfPS5_SB_mNS0_19identity_decomposerENS1_16block_id_wrapperIjLb1EEEEE10hipError_tT1_PNSt15iterator_traitsISG_E10value_typeET2_T3_PNSH_ISM_E10value_typeET4_T5_PSR_SS_PNS1_23onesweep_lookback_stateEbbT6_jjT7_P12ihipStream_tbENKUlT_T0_SG_SL_E_clIS9_SA_SB_SB_EEDaSZ_S10_SG_SL_EUlSZ_E_NS1_11comp_targetILNS1_3genE9ELNS1_11target_archE1100ELNS1_3gpuE3ELNS1_3repE0EEENS1_47radix_sort_onesweep_sort_config_static_selectorELNS0_4arch9wavefront6targetE0EEEvSG_ ; -- Begin function _ZN7rocprim17ROCPRIM_400000_NS6detail17trampoline_kernelINS0_14default_configENS1_35radix_sort_onesweep_config_selectorIfNS0_10empty_typeEEEZZNS1_29radix_sort_onesweep_iterationIS3_Lb0EPKfPfPS5_SB_mNS0_19identity_decomposerENS1_16block_id_wrapperIjLb1EEEEE10hipError_tT1_PNSt15iterator_traitsISG_E10value_typeET2_T3_PNSH_ISM_E10value_typeET4_T5_PSR_SS_PNS1_23onesweep_lookback_stateEbbT6_jjT7_P12ihipStream_tbENKUlT_T0_SG_SL_E_clIS9_SA_SB_SB_EEDaSZ_S10_SG_SL_EUlSZ_E_NS1_11comp_targetILNS1_3genE9ELNS1_11target_archE1100ELNS1_3gpuE3ELNS1_3repE0EEENS1_47radix_sort_onesweep_sort_config_static_selectorELNS0_4arch9wavefront6targetE0EEEvSG_
	.globl	_ZN7rocprim17ROCPRIM_400000_NS6detail17trampoline_kernelINS0_14default_configENS1_35radix_sort_onesweep_config_selectorIfNS0_10empty_typeEEEZZNS1_29radix_sort_onesweep_iterationIS3_Lb0EPKfPfPS5_SB_mNS0_19identity_decomposerENS1_16block_id_wrapperIjLb1EEEEE10hipError_tT1_PNSt15iterator_traitsISG_E10value_typeET2_T3_PNSH_ISM_E10value_typeET4_T5_PSR_SS_PNS1_23onesweep_lookback_stateEbbT6_jjT7_P12ihipStream_tbENKUlT_T0_SG_SL_E_clIS9_SA_SB_SB_EEDaSZ_S10_SG_SL_EUlSZ_E_NS1_11comp_targetILNS1_3genE9ELNS1_11target_archE1100ELNS1_3gpuE3ELNS1_3repE0EEENS1_47radix_sort_onesweep_sort_config_static_selectorELNS0_4arch9wavefront6targetE0EEEvSG_
	.p2align	8
	.type	_ZN7rocprim17ROCPRIM_400000_NS6detail17trampoline_kernelINS0_14default_configENS1_35radix_sort_onesweep_config_selectorIfNS0_10empty_typeEEEZZNS1_29radix_sort_onesweep_iterationIS3_Lb0EPKfPfPS5_SB_mNS0_19identity_decomposerENS1_16block_id_wrapperIjLb1EEEEE10hipError_tT1_PNSt15iterator_traitsISG_E10value_typeET2_T3_PNSH_ISM_E10value_typeET4_T5_PSR_SS_PNS1_23onesweep_lookback_stateEbbT6_jjT7_P12ihipStream_tbENKUlT_T0_SG_SL_E_clIS9_SA_SB_SB_EEDaSZ_S10_SG_SL_EUlSZ_E_NS1_11comp_targetILNS1_3genE9ELNS1_11target_archE1100ELNS1_3gpuE3ELNS1_3repE0EEENS1_47radix_sort_onesweep_sort_config_static_selectorELNS0_4arch9wavefront6targetE0EEEvSG_,@function
_ZN7rocprim17ROCPRIM_400000_NS6detail17trampoline_kernelINS0_14default_configENS1_35radix_sort_onesweep_config_selectorIfNS0_10empty_typeEEEZZNS1_29radix_sort_onesweep_iterationIS3_Lb0EPKfPfPS5_SB_mNS0_19identity_decomposerENS1_16block_id_wrapperIjLb1EEEEE10hipError_tT1_PNSt15iterator_traitsISG_E10value_typeET2_T3_PNSH_ISM_E10value_typeET4_T5_PSR_SS_PNS1_23onesweep_lookback_stateEbbT6_jjT7_P12ihipStream_tbENKUlT_T0_SG_SL_E_clIS9_SA_SB_SB_EEDaSZ_S10_SG_SL_EUlSZ_E_NS1_11comp_targetILNS1_3genE9ELNS1_11target_archE1100ELNS1_3gpuE3ELNS1_3repE0EEENS1_47radix_sort_onesweep_sort_config_static_selectorELNS0_4arch9wavefront6targetE0EEEvSG_: ; @_ZN7rocprim17ROCPRIM_400000_NS6detail17trampoline_kernelINS0_14default_configENS1_35radix_sort_onesweep_config_selectorIfNS0_10empty_typeEEEZZNS1_29radix_sort_onesweep_iterationIS3_Lb0EPKfPfPS5_SB_mNS0_19identity_decomposerENS1_16block_id_wrapperIjLb1EEEEE10hipError_tT1_PNSt15iterator_traitsISG_E10value_typeET2_T3_PNSH_ISM_E10value_typeET4_T5_PSR_SS_PNS1_23onesweep_lookback_stateEbbT6_jjT7_P12ihipStream_tbENKUlT_T0_SG_SL_E_clIS9_SA_SB_SB_EEDaSZ_S10_SG_SL_EUlSZ_E_NS1_11comp_targetILNS1_3genE9ELNS1_11target_archE1100ELNS1_3gpuE3ELNS1_3repE0EEENS1_47radix_sort_onesweep_sort_config_static_selectorELNS0_4arch9wavefront6targetE0EEEvSG_
; %bb.0:
	.section	.rodata,"a",@progbits
	.p2align	6, 0x0
	.amdhsa_kernel _ZN7rocprim17ROCPRIM_400000_NS6detail17trampoline_kernelINS0_14default_configENS1_35radix_sort_onesweep_config_selectorIfNS0_10empty_typeEEEZZNS1_29radix_sort_onesweep_iterationIS3_Lb0EPKfPfPS5_SB_mNS0_19identity_decomposerENS1_16block_id_wrapperIjLb1EEEEE10hipError_tT1_PNSt15iterator_traitsISG_E10value_typeET2_T3_PNSH_ISM_E10value_typeET4_T5_PSR_SS_PNS1_23onesweep_lookback_stateEbbT6_jjT7_P12ihipStream_tbENKUlT_T0_SG_SL_E_clIS9_SA_SB_SB_EEDaSZ_S10_SG_SL_EUlSZ_E_NS1_11comp_targetILNS1_3genE9ELNS1_11target_archE1100ELNS1_3gpuE3ELNS1_3repE0EEENS1_47radix_sort_onesweep_sort_config_static_selectorELNS0_4arch9wavefront6targetE0EEEvSG_
		.amdhsa_group_segment_fixed_size 0
		.amdhsa_private_segment_fixed_size 0
		.amdhsa_kernarg_size 88
		.amdhsa_user_sgpr_count 2
		.amdhsa_user_sgpr_dispatch_ptr 0
		.amdhsa_user_sgpr_queue_ptr 0
		.amdhsa_user_sgpr_kernarg_segment_ptr 1
		.amdhsa_user_sgpr_dispatch_id 0
		.amdhsa_user_sgpr_kernarg_preload_length 0
		.amdhsa_user_sgpr_kernarg_preload_offset 0
		.amdhsa_user_sgpr_private_segment_size 0
		.amdhsa_wavefront_size32 1
		.amdhsa_uses_dynamic_stack 0
		.amdhsa_enable_private_segment 0
		.amdhsa_system_sgpr_workgroup_id_x 1
		.amdhsa_system_sgpr_workgroup_id_y 0
		.amdhsa_system_sgpr_workgroup_id_z 0
		.amdhsa_system_sgpr_workgroup_info 0
		.amdhsa_system_vgpr_workitem_id 0
		.amdhsa_next_free_vgpr 1
		.amdhsa_next_free_sgpr 1
		.amdhsa_named_barrier_count 0
		.amdhsa_reserve_vcc 0
		.amdhsa_float_round_mode_32 0
		.amdhsa_float_round_mode_16_64 0
		.amdhsa_float_denorm_mode_32 3
		.amdhsa_float_denorm_mode_16_64 3
		.amdhsa_fp16_overflow 0
		.amdhsa_memory_ordered 1
		.amdhsa_forward_progress 1
		.amdhsa_inst_pref_size 0
		.amdhsa_round_robin_scheduling 0
		.amdhsa_exception_fp_ieee_invalid_op 0
		.amdhsa_exception_fp_denorm_src 0
		.amdhsa_exception_fp_ieee_div_zero 0
		.amdhsa_exception_fp_ieee_overflow 0
		.amdhsa_exception_fp_ieee_underflow 0
		.amdhsa_exception_fp_ieee_inexact 0
		.amdhsa_exception_int_div_zero 0
	.end_amdhsa_kernel
	.section	.text._ZN7rocprim17ROCPRIM_400000_NS6detail17trampoline_kernelINS0_14default_configENS1_35radix_sort_onesweep_config_selectorIfNS0_10empty_typeEEEZZNS1_29radix_sort_onesweep_iterationIS3_Lb0EPKfPfPS5_SB_mNS0_19identity_decomposerENS1_16block_id_wrapperIjLb1EEEEE10hipError_tT1_PNSt15iterator_traitsISG_E10value_typeET2_T3_PNSH_ISM_E10value_typeET4_T5_PSR_SS_PNS1_23onesweep_lookback_stateEbbT6_jjT7_P12ihipStream_tbENKUlT_T0_SG_SL_E_clIS9_SA_SB_SB_EEDaSZ_S10_SG_SL_EUlSZ_E_NS1_11comp_targetILNS1_3genE9ELNS1_11target_archE1100ELNS1_3gpuE3ELNS1_3repE0EEENS1_47radix_sort_onesweep_sort_config_static_selectorELNS0_4arch9wavefront6targetE0EEEvSG_,"axG",@progbits,_ZN7rocprim17ROCPRIM_400000_NS6detail17trampoline_kernelINS0_14default_configENS1_35radix_sort_onesweep_config_selectorIfNS0_10empty_typeEEEZZNS1_29radix_sort_onesweep_iterationIS3_Lb0EPKfPfPS5_SB_mNS0_19identity_decomposerENS1_16block_id_wrapperIjLb1EEEEE10hipError_tT1_PNSt15iterator_traitsISG_E10value_typeET2_T3_PNSH_ISM_E10value_typeET4_T5_PSR_SS_PNS1_23onesweep_lookback_stateEbbT6_jjT7_P12ihipStream_tbENKUlT_T0_SG_SL_E_clIS9_SA_SB_SB_EEDaSZ_S10_SG_SL_EUlSZ_E_NS1_11comp_targetILNS1_3genE9ELNS1_11target_archE1100ELNS1_3gpuE3ELNS1_3repE0EEENS1_47radix_sort_onesweep_sort_config_static_selectorELNS0_4arch9wavefront6targetE0EEEvSG_,comdat
.Lfunc_end1413:
	.size	_ZN7rocprim17ROCPRIM_400000_NS6detail17trampoline_kernelINS0_14default_configENS1_35radix_sort_onesweep_config_selectorIfNS0_10empty_typeEEEZZNS1_29radix_sort_onesweep_iterationIS3_Lb0EPKfPfPS5_SB_mNS0_19identity_decomposerENS1_16block_id_wrapperIjLb1EEEEE10hipError_tT1_PNSt15iterator_traitsISG_E10value_typeET2_T3_PNSH_ISM_E10value_typeET4_T5_PSR_SS_PNS1_23onesweep_lookback_stateEbbT6_jjT7_P12ihipStream_tbENKUlT_T0_SG_SL_E_clIS9_SA_SB_SB_EEDaSZ_S10_SG_SL_EUlSZ_E_NS1_11comp_targetILNS1_3genE9ELNS1_11target_archE1100ELNS1_3gpuE3ELNS1_3repE0EEENS1_47radix_sort_onesweep_sort_config_static_selectorELNS0_4arch9wavefront6targetE0EEEvSG_, .Lfunc_end1413-_ZN7rocprim17ROCPRIM_400000_NS6detail17trampoline_kernelINS0_14default_configENS1_35radix_sort_onesweep_config_selectorIfNS0_10empty_typeEEEZZNS1_29radix_sort_onesweep_iterationIS3_Lb0EPKfPfPS5_SB_mNS0_19identity_decomposerENS1_16block_id_wrapperIjLb1EEEEE10hipError_tT1_PNSt15iterator_traitsISG_E10value_typeET2_T3_PNSH_ISM_E10value_typeET4_T5_PSR_SS_PNS1_23onesweep_lookback_stateEbbT6_jjT7_P12ihipStream_tbENKUlT_T0_SG_SL_E_clIS9_SA_SB_SB_EEDaSZ_S10_SG_SL_EUlSZ_E_NS1_11comp_targetILNS1_3genE9ELNS1_11target_archE1100ELNS1_3gpuE3ELNS1_3repE0EEENS1_47radix_sort_onesweep_sort_config_static_selectorELNS0_4arch9wavefront6targetE0EEEvSG_
                                        ; -- End function
	.set _ZN7rocprim17ROCPRIM_400000_NS6detail17trampoline_kernelINS0_14default_configENS1_35radix_sort_onesweep_config_selectorIfNS0_10empty_typeEEEZZNS1_29radix_sort_onesweep_iterationIS3_Lb0EPKfPfPS5_SB_mNS0_19identity_decomposerENS1_16block_id_wrapperIjLb1EEEEE10hipError_tT1_PNSt15iterator_traitsISG_E10value_typeET2_T3_PNSH_ISM_E10value_typeET4_T5_PSR_SS_PNS1_23onesweep_lookback_stateEbbT6_jjT7_P12ihipStream_tbENKUlT_T0_SG_SL_E_clIS9_SA_SB_SB_EEDaSZ_S10_SG_SL_EUlSZ_E_NS1_11comp_targetILNS1_3genE9ELNS1_11target_archE1100ELNS1_3gpuE3ELNS1_3repE0EEENS1_47radix_sort_onesweep_sort_config_static_selectorELNS0_4arch9wavefront6targetE0EEEvSG_.num_vgpr, 0
	.set _ZN7rocprim17ROCPRIM_400000_NS6detail17trampoline_kernelINS0_14default_configENS1_35radix_sort_onesweep_config_selectorIfNS0_10empty_typeEEEZZNS1_29radix_sort_onesweep_iterationIS3_Lb0EPKfPfPS5_SB_mNS0_19identity_decomposerENS1_16block_id_wrapperIjLb1EEEEE10hipError_tT1_PNSt15iterator_traitsISG_E10value_typeET2_T3_PNSH_ISM_E10value_typeET4_T5_PSR_SS_PNS1_23onesweep_lookback_stateEbbT6_jjT7_P12ihipStream_tbENKUlT_T0_SG_SL_E_clIS9_SA_SB_SB_EEDaSZ_S10_SG_SL_EUlSZ_E_NS1_11comp_targetILNS1_3genE9ELNS1_11target_archE1100ELNS1_3gpuE3ELNS1_3repE0EEENS1_47radix_sort_onesweep_sort_config_static_selectorELNS0_4arch9wavefront6targetE0EEEvSG_.num_agpr, 0
	.set _ZN7rocprim17ROCPRIM_400000_NS6detail17trampoline_kernelINS0_14default_configENS1_35radix_sort_onesweep_config_selectorIfNS0_10empty_typeEEEZZNS1_29radix_sort_onesweep_iterationIS3_Lb0EPKfPfPS5_SB_mNS0_19identity_decomposerENS1_16block_id_wrapperIjLb1EEEEE10hipError_tT1_PNSt15iterator_traitsISG_E10value_typeET2_T3_PNSH_ISM_E10value_typeET4_T5_PSR_SS_PNS1_23onesweep_lookback_stateEbbT6_jjT7_P12ihipStream_tbENKUlT_T0_SG_SL_E_clIS9_SA_SB_SB_EEDaSZ_S10_SG_SL_EUlSZ_E_NS1_11comp_targetILNS1_3genE9ELNS1_11target_archE1100ELNS1_3gpuE3ELNS1_3repE0EEENS1_47radix_sort_onesweep_sort_config_static_selectorELNS0_4arch9wavefront6targetE0EEEvSG_.numbered_sgpr, 0
	.set _ZN7rocprim17ROCPRIM_400000_NS6detail17trampoline_kernelINS0_14default_configENS1_35radix_sort_onesweep_config_selectorIfNS0_10empty_typeEEEZZNS1_29radix_sort_onesweep_iterationIS3_Lb0EPKfPfPS5_SB_mNS0_19identity_decomposerENS1_16block_id_wrapperIjLb1EEEEE10hipError_tT1_PNSt15iterator_traitsISG_E10value_typeET2_T3_PNSH_ISM_E10value_typeET4_T5_PSR_SS_PNS1_23onesweep_lookback_stateEbbT6_jjT7_P12ihipStream_tbENKUlT_T0_SG_SL_E_clIS9_SA_SB_SB_EEDaSZ_S10_SG_SL_EUlSZ_E_NS1_11comp_targetILNS1_3genE9ELNS1_11target_archE1100ELNS1_3gpuE3ELNS1_3repE0EEENS1_47radix_sort_onesweep_sort_config_static_selectorELNS0_4arch9wavefront6targetE0EEEvSG_.num_named_barrier, 0
	.set _ZN7rocprim17ROCPRIM_400000_NS6detail17trampoline_kernelINS0_14default_configENS1_35radix_sort_onesweep_config_selectorIfNS0_10empty_typeEEEZZNS1_29radix_sort_onesweep_iterationIS3_Lb0EPKfPfPS5_SB_mNS0_19identity_decomposerENS1_16block_id_wrapperIjLb1EEEEE10hipError_tT1_PNSt15iterator_traitsISG_E10value_typeET2_T3_PNSH_ISM_E10value_typeET4_T5_PSR_SS_PNS1_23onesweep_lookback_stateEbbT6_jjT7_P12ihipStream_tbENKUlT_T0_SG_SL_E_clIS9_SA_SB_SB_EEDaSZ_S10_SG_SL_EUlSZ_E_NS1_11comp_targetILNS1_3genE9ELNS1_11target_archE1100ELNS1_3gpuE3ELNS1_3repE0EEENS1_47radix_sort_onesweep_sort_config_static_selectorELNS0_4arch9wavefront6targetE0EEEvSG_.private_seg_size, 0
	.set _ZN7rocprim17ROCPRIM_400000_NS6detail17trampoline_kernelINS0_14default_configENS1_35radix_sort_onesweep_config_selectorIfNS0_10empty_typeEEEZZNS1_29radix_sort_onesweep_iterationIS3_Lb0EPKfPfPS5_SB_mNS0_19identity_decomposerENS1_16block_id_wrapperIjLb1EEEEE10hipError_tT1_PNSt15iterator_traitsISG_E10value_typeET2_T3_PNSH_ISM_E10value_typeET4_T5_PSR_SS_PNS1_23onesweep_lookback_stateEbbT6_jjT7_P12ihipStream_tbENKUlT_T0_SG_SL_E_clIS9_SA_SB_SB_EEDaSZ_S10_SG_SL_EUlSZ_E_NS1_11comp_targetILNS1_3genE9ELNS1_11target_archE1100ELNS1_3gpuE3ELNS1_3repE0EEENS1_47radix_sort_onesweep_sort_config_static_selectorELNS0_4arch9wavefront6targetE0EEEvSG_.uses_vcc, 0
	.set _ZN7rocprim17ROCPRIM_400000_NS6detail17trampoline_kernelINS0_14default_configENS1_35radix_sort_onesweep_config_selectorIfNS0_10empty_typeEEEZZNS1_29radix_sort_onesweep_iterationIS3_Lb0EPKfPfPS5_SB_mNS0_19identity_decomposerENS1_16block_id_wrapperIjLb1EEEEE10hipError_tT1_PNSt15iterator_traitsISG_E10value_typeET2_T3_PNSH_ISM_E10value_typeET4_T5_PSR_SS_PNS1_23onesweep_lookback_stateEbbT6_jjT7_P12ihipStream_tbENKUlT_T0_SG_SL_E_clIS9_SA_SB_SB_EEDaSZ_S10_SG_SL_EUlSZ_E_NS1_11comp_targetILNS1_3genE9ELNS1_11target_archE1100ELNS1_3gpuE3ELNS1_3repE0EEENS1_47radix_sort_onesweep_sort_config_static_selectorELNS0_4arch9wavefront6targetE0EEEvSG_.uses_flat_scratch, 0
	.set _ZN7rocprim17ROCPRIM_400000_NS6detail17trampoline_kernelINS0_14default_configENS1_35radix_sort_onesweep_config_selectorIfNS0_10empty_typeEEEZZNS1_29radix_sort_onesweep_iterationIS3_Lb0EPKfPfPS5_SB_mNS0_19identity_decomposerENS1_16block_id_wrapperIjLb1EEEEE10hipError_tT1_PNSt15iterator_traitsISG_E10value_typeET2_T3_PNSH_ISM_E10value_typeET4_T5_PSR_SS_PNS1_23onesweep_lookback_stateEbbT6_jjT7_P12ihipStream_tbENKUlT_T0_SG_SL_E_clIS9_SA_SB_SB_EEDaSZ_S10_SG_SL_EUlSZ_E_NS1_11comp_targetILNS1_3genE9ELNS1_11target_archE1100ELNS1_3gpuE3ELNS1_3repE0EEENS1_47radix_sort_onesweep_sort_config_static_selectorELNS0_4arch9wavefront6targetE0EEEvSG_.has_dyn_sized_stack, 0
	.set _ZN7rocprim17ROCPRIM_400000_NS6detail17trampoline_kernelINS0_14default_configENS1_35radix_sort_onesweep_config_selectorIfNS0_10empty_typeEEEZZNS1_29radix_sort_onesweep_iterationIS3_Lb0EPKfPfPS5_SB_mNS0_19identity_decomposerENS1_16block_id_wrapperIjLb1EEEEE10hipError_tT1_PNSt15iterator_traitsISG_E10value_typeET2_T3_PNSH_ISM_E10value_typeET4_T5_PSR_SS_PNS1_23onesweep_lookback_stateEbbT6_jjT7_P12ihipStream_tbENKUlT_T0_SG_SL_E_clIS9_SA_SB_SB_EEDaSZ_S10_SG_SL_EUlSZ_E_NS1_11comp_targetILNS1_3genE9ELNS1_11target_archE1100ELNS1_3gpuE3ELNS1_3repE0EEENS1_47radix_sort_onesweep_sort_config_static_selectorELNS0_4arch9wavefront6targetE0EEEvSG_.has_recursion, 0
	.set _ZN7rocprim17ROCPRIM_400000_NS6detail17trampoline_kernelINS0_14default_configENS1_35radix_sort_onesweep_config_selectorIfNS0_10empty_typeEEEZZNS1_29radix_sort_onesweep_iterationIS3_Lb0EPKfPfPS5_SB_mNS0_19identity_decomposerENS1_16block_id_wrapperIjLb1EEEEE10hipError_tT1_PNSt15iterator_traitsISG_E10value_typeET2_T3_PNSH_ISM_E10value_typeET4_T5_PSR_SS_PNS1_23onesweep_lookback_stateEbbT6_jjT7_P12ihipStream_tbENKUlT_T0_SG_SL_E_clIS9_SA_SB_SB_EEDaSZ_S10_SG_SL_EUlSZ_E_NS1_11comp_targetILNS1_3genE9ELNS1_11target_archE1100ELNS1_3gpuE3ELNS1_3repE0EEENS1_47radix_sort_onesweep_sort_config_static_selectorELNS0_4arch9wavefront6targetE0EEEvSG_.has_indirect_call, 0
	.section	.AMDGPU.csdata,"",@progbits
; Kernel info:
; codeLenInByte = 0
; TotalNumSgprs: 0
; NumVgprs: 0
; ScratchSize: 0
; MemoryBound: 0
; FloatMode: 240
; IeeeMode: 1
; LDSByteSize: 0 bytes/workgroup (compile time only)
; SGPRBlocks: 0
; VGPRBlocks: 0
; NumSGPRsForWavesPerEU: 1
; NumVGPRsForWavesPerEU: 1
; NamedBarCnt: 0
; Occupancy: 16
; WaveLimiterHint : 0
; COMPUTE_PGM_RSRC2:SCRATCH_EN: 0
; COMPUTE_PGM_RSRC2:USER_SGPR: 2
; COMPUTE_PGM_RSRC2:TRAP_HANDLER: 0
; COMPUTE_PGM_RSRC2:TGID_X_EN: 1
; COMPUTE_PGM_RSRC2:TGID_Y_EN: 0
; COMPUTE_PGM_RSRC2:TGID_Z_EN: 0
; COMPUTE_PGM_RSRC2:TIDIG_COMP_CNT: 0
	.section	.text._ZN7rocprim17ROCPRIM_400000_NS6detail17trampoline_kernelINS0_14default_configENS1_35radix_sort_onesweep_config_selectorIfNS0_10empty_typeEEEZZNS1_29radix_sort_onesweep_iterationIS3_Lb0EPKfPfPS5_SB_mNS0_19identity_decomposerENS1_16block_id_wrapperIjLb1EEEEE10hipError_tT1_PNSt15iterator_traitsISG_E10value_typeET2_T3_PNSH_ISM_E10value_typeET4_T5_PSR_SS_PNS1_23onesweep_lookback_stateEbbT6_jjT7_P12ihipStream_tbENKUlT_T0_SG_SL_E_clIS9_SA_SB_SB_EEDaSZ_S10_SG_SL_EUlSZ_E_NS1_11comp_targetILNS1_3genE8ELNS1_11target_archE1030ELNS1_3gpuE2ELNS1_3repE0EEENS1_47radix_sort_onesweep_sort_config_static_selectorELNS0_4arch9wavefront6targetE0EEEvSG_,"axG",@progbits,_ZN7rocprim17ROCPRIM_400000_NS6detail17trampoline_kernelINS0_14default_configENS1_35radix_sort_onesweep_config_selectorIfNS0_10empty_typeEEEZZNS1_29radix_sort_onesweep_iterationIS3_Lb0EPKfPfPS5_SB_mNS0_19identity_decomposerENS1_16block_id_wrapperIjLb1EEEEE10hipError_tT1_PNSt15iterator_traitsISG_E10value_typeET2_T3_PNSH_ISM_E10value_typeET4_T5_PSR_SS_PNS1_23onesweep_lookback_stateEbbT6_jjT7_P12ihipStream_tbENKUlT_T0_SG_SL_E_clIS9_SA_SB_SB_EEDaSZ_S10_SG_SL_EUlSZ_E_NS1_11comp_targetILNS1_3genE8ELNS1_11target_archE1030ELNS1_3gpuE2ELNS1_3repE0EEENS1_47radix_sort_onesweep_sort_config_static_selectorELNS0_4arch9wavefront6targetE0EEEvSG_,comdat
	.protected	_ZN7rocprim17ROCPRIM_400000_NS6detail17trampoline_kernelINS0_14default_configENS1_35radix_sort_onesweep_config_selectorIfNS0_10empty_typeEEEZZNS1_29radix_sort_onesweep_iterationIS3_Lb0EPKfPfPS5_SB_mNS0_19identity_decomposerENS1_16block_id_wrapperIjLb1EEEEE10hipError_tT1_PNSt15iterator_traitsISG_E10value_typeET2_T3_PNSH_ISM_E10value_typeET4_T5_PSR_SS_PNS1_23onesweep_lookback_stateEbbT6_jjT7_P12ihipStream_tbENKUlT_T0_SG_SL_E_clIS9_SA_SB_SB_EEDaSZ_S10_SG_SL_EUlSZ_E_NS1_11comp_targetILNS1_3genE8ELNS1_11target_archE1030ELNS1_3gpuE2ELNS1_3repE0EEENS1_47radix_sort_onesweep_sort_config_static_selectorELNS0_4arch9wavefront6targetE0EEEvSG_ ; -- Begin function _ZN7rocprim17ROCPRIM_400000_NS6detail17trampoline_kernelINS0_14default_configENS1_35radix_sort_onesweep_config_selectorIfNS0_10empty_typeEEEZZNS1_29radix_sort_onesweep_iterationIS3_Lb0EPKfPfPS5_SB_mNS0_19identity_decomposerENS1_16block_id_wrapperIjLb1EEEEE10hipError_tT1_PNSt15iterator_traitsISG_E10value_typeET2_T3_PNSH_ISM_E10value_typeET4_T5_PSR_SS_PNS1_23onesweep_lookback_stateEbbT6_jjT7_P12ihipStream_tbENKUlT_T0_SG_SL_E_clIS9_SA_SB_SB_EEDaSZ_S10_SG_SL_EUlSZ_E_NS1_11comp_targetILNS1_3genE8ELNS1_11target_archE1030ELNS1_3gpuE2ELNS1_3repE0EEENS1_47radix_sort_onesweep_sort_config_static_selectorELNS0_4arch9wavefront6targetE0EEEvSG_
	.globl	_ZN7rocprim17ROCPRIM_400000_NS6detail17trampoline_kernelINS0_14default_configENS1_35radix_sort_onesweep_config_selectorIfNS0_10empty_typeEEEZZNS1_29radix_sort_onesweep_iterationIS3_Lb0EPKfPfPS5_SB_mNS0_19identity_decomposerENS1_16block_id_wrapperIjLb1EEEEE10hipError_tT1_PNSt15iterator_traitsISG_E10value_typeET2_T3_PNSH_ISM_E10value_typeET4_T5_PSR_SS_PNS1_23onesweep_lookback_stateEbbT6_jjT7_P12ihipStream_tbENKUlT_T0_SG_SL_E_clIS9_SA_SB_SB_EEDaSZ_S10_SG_SL_EUlSZ_E_NS1_11comp_targetILNS1_3genE8ELNS1_11target_archE1030ELNS1_3gpuE2ELNS1_3repE0EEENS1_47radix_sort_onesweep_sort_config_static_selectorELNS0_4arch9wavefront6targetE0EEEvSG_
	.p2align	8
	.type	_ZN7rocprim17ROCPRIM_400000_NS6detail17trampoline_kernelINS0_14default_configENS1_35radix_sort_onesweep_config_selectorIfNS0_10empty_typeEEEZZNS1_29radix_sort_onesweep_iterationIS3_Lb0EPKfPfPS5_SB_mNS0_19identity_decomposerENS1_16block_id_wrapperIjLb1EEEEE10hipError_tT1_PNSt15iterator_traitsISG_E10value_typeET2_T3_PNSH_ISM_E10value_typeET4_T5_PSR_SS_PNS1_23onesweep_lookback_stateEbbT6_jjT7_P12ihipStream_tbENKUlT_T0_SG_SL_E_clIS9_SA_SB_SB_EEDaSZ_S10_SG_SL_EUlSZ_E_NS1_11comp_targetILNS1_3genE8ELNS1_11target_archE1030ELNS1_3gpuE2ELNS1_3repE0EEENS1_47radix_sort_onesweep_sort_config_static_selectorELNS0_4arch9wavefront6targetE0EEEvSG_,@function
_ZN7rocprim17ROCPRIM_400000_NS6detail17trampoline_kernelINS0_14default_configENS1_35radix_sort_onesweep_config_selectorIfNS0_10empty_typeEEEZZNS1_29radix_sort_onesweep_iterationIS3_Lb0EPKfPfPS5_SB_mNS0_19identity_decomposerENS1_16block_id_wrapperIjLb1EEEEE10hipError_tT1_PNSt15iterator_traitsISG_E10value_typeET2_T3_PNSH_ISM_E10value_typeET4_T5_PSR_SS_PNS1_23onesweep_lookback_stateEbbT6_jjT7_P12ihipStream_tbENKUlT_T0_SG_SL_E_clIS9_SA_SB_SB_EEDaSZ_S10_SG_SL_EUlSZ_E_NS1_11comp_targetILNS1_3genE8ELNS1_11target_archE1030ELNS1_3gpuE2ELNS1_3repE0EEENS1_47radix_sort_onesweep_sort_config_static_selectorELNS0_4arch9wavefront6targetE0EEEvSG_: ; @_ZN7rocprim17ROCPRIM_400000_NS6detail17trampoline_kernelINS0_14default_configENS1_35radix_sort_onesweep_config_selectorIfNS0_10empty_typeEEEZZNS1_29radix_sort_onesweep_iterationIS3_Lb0EPKfPfPS5_SB_mNS0_19identity_decomposerENS1_16block_id_wrapperIjLb1EEEEE10hipError_tT1_PNSt15iterator_traitsISG_E10value_typeET2_T3_PNSH_ISM_E10value_typeET4_T5_PSR_SS_PNS1_23onesweep_lookback_stateEbbT6_jjT7_P12ihipStream_tbENKUlT_T0_SG_SL_E_clIS9_SA_SB_SB_EEDaSZ_S10_SG_SL_EUlSZ_E_NS1_11comp_targetILNS1_3genE8ELNS1_11target_archE1030ELNS1_3gpuE2ELNS1_3repE0EEENS1_47radix_sort_onesweep_sort_config_static_selectorELNS0_4arch9wavefront6targetE0EEEvSG_
; %bb.0:
	.section	.rodata,"a",@progbits
	.p2align	6, 0x0
	.amdhsa_kernel _ZN7rocprim17ROCPRIM_400000_NS6detail17trampoline_kernelINS0_14default_configENS1_35radix_sort_onesweep_config_selectorIfNS0_10empty_typeEEEZZNS1_29radix_sort_onesweep_iterationIS3_Lb0EPKfPfPS5_SB_mNS0_19identity_decomposerENS1_16block_id_wrapperIjLb1EEEEE10hipError_tT1_PNSt15iterator_traitsISG_E10value_typeET2_T3_PNSH_ISM_E10value_typeET4_T5_PSR_SS_PNS1_23onesweep_lookback_stateEbbT6_jjT7_P12ihipStream_tbENKUlT_T0_SG_SL_E_clIS9_SA_SB_SB_EEDaSZ_S10_SG_SL_EUlSZ_E_NS1_11comp_targetILNS1_3genE8ELNS1_11target_archE1030ELNS1_3gpuE2ELNS1_3repE0EEENS1_47radix_sort_onesweep_sort_config_static_selectorELNS0_4arch9wavefront6targetE0EEEvSG_
		.amdhsa_group_segment_fixed_size 0
		.amdhsa_private_segment_fixed_size 0
		.amdhsa_kernarg_size 88
		.amdhsa_user_sgpr_count 2
		.amdhsa_user_sgpr_dispatch_ptr 0
		.amdhsa_user_sgpr_queue_ptr 0
		.amdhsa_user_sgpr_kernarg_segment_ptr 1
		.amdhsa_user_sgpr_dispatch_id 0
		.amdhsa_user_sgpr_kernarg_preload_length 0
		.amdhsa_user_sgpr_kernarg_preload_offset 0
		.amdhsa_user_sgpr_private_segment_size 0
		.amdhsa_wavefront_size32 1
		.amdhsa_uses_dynamic_stack 0
		.amdhsa_enable_private_segment 0
		.amdhsa_system_sgpr_workgroup_id_x 1
		.amdhsa_system_sgpr_workgroup_id_y 0
		.amdhsa_system_sgpr_workgroup_id_z 0
		.amdhsa_system_sgpr_workgroup_info 0
		.amdhsa_system_vgpr_workitem_id 0
		.amdhsa_next_free_vgpr 1
		.amdhsa_next_free_sgpr 1
		.amdhsa_named_barrier_count 0
		.amdhsa_reserve_vcc 0
		.amdhsa_float_round_mode_32 0
		.amdhsa_float_round_mode_16_64 0
		.amdhsa_float_denorm_mode_32 3
		.amdhsa_float_denorm_mode_16_64 3
		.amdhsa_fp16_overflow 0
		.amdhsa_memory_ordered 1
		.amdhsa_forward_progress 1
		.amdhsa_inst_pref_size 0
		.amdhsa_round_robin_scheduling 0
		.amdhsa_exception_fp_ieee_invalid_op 0
		.amdhsa_exception_fp_denorm_src 0
		.amdhsa_exception_fp_ieee_div_zero 0
		.amdhsa_exception_fp_ieee_overflow 0
		.amdhsa_exception_fp_ieee_underflow 0
		.amdhsa_exception_fp_ieee_inexact 0
		.amdhsa_exception_int_div_zero 0
	.end_amdhsa_kernel
	.section	.text._ZN7rocprim17ROCPRIM_400000_NS6detail17trampoline_kernelINS0_14default_configENS1_35radix_sort_onesweep_config_selectorIfNS0_10empty_typeEEEZZNS1_29radix_sort_onesweep_iterationIS3_Lb0EPKfPfPS5_SB_mNS0_19identity_decomposerENS1_16block_id_wrapperIjLb1EEEEE10hipError_tT1_PNSt15iterator_traitsISG_E10value_typeET2_T3_PNSH_ISM_E10value_typeET4_T5_PSR_SS_PNS1_23onesweep_lookback_stateEbbT6_jjT7_P12ihipStream_tbENKUlT_T0_SG_SL_E_clIS9_SA_SB_SB_EEDaSZ_S10_SG_SL_EUlSZ_E_NS1_11comp_targetILNS1_3genE8ELNS1_11target_archE1030ELNS1_3gpuE2ELNS1_3repE0EEENS1_47radix_sort_onesweep_sort_config_static_selectorELNS0_4arch9wavefront6targetE0EEEvSG_,"axG",@progbits,_ZN7rocprim17ROCPRIM_400000_NS6detail17trampoline_kernelINS0_14default_configENS1_35radix_sort_onesweep_config_selectorIfNS0_10empty_typeEEEZZNS1_29radix_sort_onesweep_iterationIS3_Lb0EPKfPfPS5_SB_mNS0_19identity_decomposerENS1_16block_id_wrapperIjLb1EEEEE10hipError_tT1_PNSt15iterator_traitsISG_E10value_typeET2_T3_PNSH_ISM_E10value_typeET4_T5_PSR_SS_PNS1_23onesweep_lookback_stateEbbT6_jjT7_P12ihipStream_tbENKUlT_T0_SG_SL_E_clIS9_SA_SB_SB_EEDaSZ_S10_SG_SL_EUlSZ_E_NS1_11comp_targetILNS1_3genE8ELNS1_11target_archE1030ELNS1_3gpuE2ELNS1_3repE0EEENS1_47radix_sort_onesweep_sort_config_static_selectorELNS0_4arch9wavefront6targetE0EEEvSG_,comdat
.Lfunc_end1414:
	.size	_ZN7rocprim17ROCPRIM_400000_NS6detail17trampoline_kernelINS0_14default_configENS1_35radix_sort_onesweep_config_selectorIfNS0_10empty_typeEEEZZNS1_29radix_sort_onesweep_iterationIS3_Lb0EPKfPfPS5_SB_mNS0_19identity_decomposerENS1_16block_id_wrapperIjLb1EEEEE10hipError_tT1_PNSt15iterator_traitsISG_E10value_typeET2_T3_PNSH_ISM_E10value_typeET4_T5_PSR_SS_PNS1_23onesweep_lookback_stateEbbT6_jjT7_P12ihipStream_tbENKUlT_T0_SG_SL_E_clIS9_SA_SB_SB_EEDaSZ_S10_SG_SL_EUlSZ_E_NS1_11comp_targetILNS1_3genE8ELNS1_11target_archE1030ELNS1_3gpuE2ELNS1_3repE0EEENS1_47radix_sort_onesweep_sort_config_static_selectorELNS0_4arch9wavefront6targetE0EEEvSG_, .Lfunc_end1414-_ZN7rocprim17ROCPRIM_400000_NS6detail17trampoline_kernelINS0_14default_configENS1_35radix_sort_onesweep_config_selectorIfNS0_10empty_typeEEEZZNS1_29radix_sort_onesweep_iterationIS3_Lb0EPKfPfPS5_SB_mNS0_19identity_decomposerENS1_16block_id_wrapperIjLb1EEEEE10hipError_tT1_PNSt15iterator_traitsISG_E10value_typeET2_T3_PNSH_ISM_E10value_typeET4_T5_PSR_SS_PNS1_23onesweep_lookback_stateEbbT6_jjT7_P12ihipStream_tbENKUlT_T0_SG_SL_E_clIS9_SA_SB_SB_EEDaSZ_S10_SG_SL_EUlSZ_E_NS1_11comp_targetILNS1_3genE8ELNS1_11target_archE1030ELNS1_3gpuE2ELNS1_3repE0EEENS1_47radix_sort_onesweep_sort_config_static_selectorELNS0_4arch9wavefront6targetE0EEEvSG_
                                        ; -- End function
	.set _ZN7rocprim17ROCPRIM_400000_NS6detail17trampoline_kernelINS0_14default_configENS1_35radix_sort_onesweep_config_selectorIfNS0_10empty_typeEEEZZNS1_29radix_sort_onesweep_iterationIS3_Lb0EPKfPfPS5_SB_mNS0_19identity_decomposerENS1_16block_id_wrapperIjLb1EEEEE10hipError_tT1_PNSt15iterator_traitsISG_E10value_typeET2_T3_PNSH_ISM_E10value_typeET4_T5_PSR_SS_PNS1_23onesweep_lookback_stateEbbT6_jjT7_P12ihipStream_tbENKUlT_T0_SG_SL_E_clIS9_SA_SB_SB_EEDaSZ_S10_SG_SL_EUlSZ_E_NS1_11comp_targetILNS1_3genE8ELNS1_11target_archE1030ELNS1_3gpuE2ELNS1_3repE0EEENS1_47radix_sort_onesweep_sort_config_static_selectorELNS0_4arch9wavefront6targetE0EEEvSG_.num_vgpr, 0
	.set _ZN7rocprim17ROCPRIM_400000_NS6detail17trampoline_kernelINS0_14default_configENS1_35radix_sort_onesweep_config_selectorIfNS0_10empty_typeEEEZZNS1_29radix_sort_onesweep_iterationIS3_Lb0EPKfPfPS5_SB_mNS0_19identity_decomposerENS1_16block_id_wrapperIjLb1EEEEE10hipError_tT1_PNSt15iterator_traitsISG_E10value_typeET2_T3_PNSH_ISM_E10value_typeET4_T5_PSR_SS_PNS1_23onesweep_lookback_stateEbbT6_jjT7_P12ihipStream_tbENKUlT_T0_SG_SL_E_clIS9_SA_SB_SB_EEDaSZ_S10_SG_SL_EUlSZ_E_NS1_11comp_targetILNS1_3genE8ELNS1_11target_archE1030ELNS1_3gpuE2ELNS1_3repE0EEENS1_47radix_sort_onesweep_sort_config_static_selectorELNS0_4arch9wavefront6targetE0EEEvSG_.num_agpr, 0
	.set _ZN7rocprim17ROCPRIM_400000_NS6detail17trampoline_kernelINS0_14default_configENS1_35radix_sort_onesweep_config_selectorIfNS0_10empty_typeEEEZZNS1_29radix_sort_onesweep_iterationIS3_Lb0EPKfPfPS5_SB_mNS0_19identity_decomposerENS1_16block_id_wrapperIjLb1EEEEE10hipError_tT1_PNSt15iterator_traitsISG_E10value_typeET2_T3_PNSH_ISM_E10value_typeET4_T5_PSR_SS_PNS1_23onesweep_lookback_stateEbbT6_jjT7_P12ihipStream_tbENKUlT_T0_SG_SL_E_clIS9_SA_SB_SB_EEDaSZ_S10_SG_SL_EUlSZ_E_NS1_11comp_targetILNS1_3genE8ELNS1_11target_archE1030ELNS1_3gpuE2ELNS1_3repE0EEENS1_47radix_sort_onesweep_sort_config_static_selectorELNS0_4arch9wavefront6targetE0EEEvSG_.numbered_sgpr, 0
	.set _ZN7rocprim17ROCPRIM_400000_NS6detail17trampoline_kernelINS0_14default_configENS1_35radix_sort_onesweep_config_selectorIfNS0_10empty_typeEEEZZNS1_29radix_sort_onesweep_iterationIS3_Lb0EPKfPfPS5_SB_mNS0_19identity_decomposerENS1_16block_id_wrapperIjLb1EEEEE10hipError_tT1_PNSt15iterator_traitsISG_E10value_typeET2_T3_PNSH_ISM_E10value_typeET4_T5_PSR_SS_PNS1_23onesweep_lookback_stateEbbT6_jjT7_P12ihipStream_tbENKUlT_T0_SG_SL_E_clIS9_SA_SB_SB_EEDaSZ_S10_SG_SL_EUlSZ_E_NS1_11comp_targetILNS1_3genE8ELNS1_11target_archE1030ELNS1_3gpuE2ELNS1_3repE0EEENS1_47radix_sort_onesweep_sort_config_static_selectorELNS0_4arch9wavefront6targetE0EEEvSG_.num_named_barrier, 0
	.set _ZN7rocprim17ROCPRIM_400000_NS6detail17trampoline_kernelINS0_14default_configENS1_35radix_sort_onesweep_config_selectorIfNS0_10empty_typeEEEZZNS1_29radix_sort_onesweep_iterationIS3_Lb0EPKfPfPS5_SB_mNS0_19identity_decomposerENS1_16block_id_wrapperIjLb1EEEEE10hipError_tT1_PNSt15iterator_traitsISG_E10value_typeET2_T3_PNSH_ISM_E10value_typeET4_T5_PSR_SS_PNS1_23onesweep_lookback_stateEbbT6_jjT7_P12ihipStream_tbENKUlT_T0_SG_SL_E_clIS9_SA_SB_SB_EEDaSZ_S10_SG_SL_EUlSZ_E_NS1_11comp_targetILNS1_3genE8ELNS1_11target_archE1030ELNS1_3gpuE2ELNS1_3repE0EEENS1_47radix_sort_onesweep_sort_config_static_selectorELNS0_4arch9wavefront6targetE0EEEvSG_.private_seg_size, 0
	.set _ZN7rocprim17ROCPRIM_400000_NS6detail17trampoline_kernelINS0_14default_configENS1_35radix_sort_onesweep_config_selectorIfNS0_10empty_typeEEEZZNS1_29radix_sort_onesweep_iterationIS3_Lb0EPKfPfPS5_SB_mNS0_19identity_decomposerENS1_16block_id_wrapperIjLb1EEEEE10hipError_tT1_PNSt15iterator_traitsISG_E10value_typeET2_T3_PNSH_ISM_E10value_typeET4_T5_PSR_SS_PNS1_23onesweep_lookback_stateEbbT6_jjT7_P12ihipStream_tbENKUlT_T0_SG_SL_E_clIS9_SA_SB_SB_EEDaSZ_S10_SG_SL_EUlSZ_E_NS1_11comp_targetILNS1_3genE8ELNS1_11target_archE1030ELNS1_3gpuE2ELNS1_3repE0EEENS1_47radix_sort_onesweep_sort_config_static_selectorELNS0_4arch9wavefront6targetE0EEEvSG_.uses_vcc, 0
	.set _ZN7rocprim17ROCPRIM_400000_NS6detail17trampoline_kernelINS0_14default_configENS1_35radix_sort_onesweep_config_selectorIfNS0_10empty_typeEEEZZNS1_29radix_sort_onesweep_iterationIS3_Lb0EPKfPfPS5_SB_mNS0_19identity_decomposerENS1_16block_id_wrapperIjLb1EEEEE10hipError_tT1_PNSt15iterator_traitsISG_E10value_typeET2_T3_PNSH_ISM_E10value_typeET4_T5_PSR_SS_PNS1_23onesweep_lookback_stateEbbT6_jjT7_P12ihipStream_tbENKUlT_T0_SG_SL_E_clIS9_SA_SB_SB_EEDaSZ_S10_SG_SL_EUlSZ_E_NS1_11comp_targetILNS1_3genE8ELNS1_11target_archE1030ELNS1_3gpuE2ELNS1_3repE0EEENS1_47radix_sort_onesweep_sort_config_static_selectorELNS0_4arch9wavefront6targetE0EEEvSG_.uses_flat_scratch, 0
	.set _ZN7rocprim17ROCPRIM_400000_NS6detail17trampoline_kernelINS0_14default_configENS1_35radix_sort_onesweep_config_selectorIfNS0_10empty_typeEEEZZNS1_29radix_sort_onesweep_iterationIS3_Lb0EPKfPfPS5_SB_mNS0_19identity_decomposerENS1_16block_id_wrapperIjLb1EEEEE10hipError_tT1_PNSt15iterator_traitsISG_E10value_typeET2_T3_PNSH_ISM_E10value_typeET4_T5_PSR_SS_PNS1_23onesweep_lookback_stateEbbT6_jjT7_P12ihipStream_tbENKUlT_T0_SG_SL_E_clIS9_SA_SB_SB_EEDaSZ_S10_SG_SL_EUlSZ_E_NS1_11comp_targetILNS1_3genE8ELNS1_11target_archE1030ELNS1_3gpuE2ELNS1_3repE0EEENS1_47radix_sort_onesweep_sort_config_static_selectorELNS0_4arch9wavefront6targetE0EEEvSG_.has_dyn_sized_stack, 0
	.set _ZN7rocprim17ROCPRIM_400000_NS6detail17trampoline_kernelINS0_14default_configENS1_35radix_sort_onesweep_config_selectorIfNS0_10empty_typeEEEZZNS1_29radix_sort_onesweep_iterationIS3_Lb0EPKfPfPS5_SB_mNS0_19identity_decomposerENS1_16block_id_wrapperIjLb1EEEEE10hipError_tT1_PNSt15iterator_traitsISG_E10value_typeET2_T3_PNSH_ISM_E10value_typeET4_T5_PSR_SS_PNS1_23onesweep_lookback_stateEbbT6_jjT7_P12ihipStream_tbENKUlT_T0_SG_SL_E_clIS9_SA_SB_SB_EEDaSZ_S10_SG_SL_EUlSZ_E_NS1_11comp_targetILNS1_3genE8ELNS1_11target_archE1030ELNS1_3gpuE2ELNS1_3repE0EEENS1_47radix_sort_onesweep_sort_config_static_selectorELNS0_4arch9wavefront6targetE0EEEvSG_.has_recursion, 0
	.set _ZN7rocprim17ROCPRIM_400000_NS6detail17trampoline_kernelINS0_14default_configENS1_35radix_sort_onesweep_config_selectorIfNS0_10empty_typeEEEZZNS1_29radix_sort_onesweep_iterationIS3_Lb0EPKfPfPS5_SB_mNS0_19identity_decomposerENS1_16block_id_wrapperIjLb1EEEEE10hipError_tT1_PNSt15iterator_traitsISG_E10value_typeET2_T3_PNSH_ISM_E10value_typeET4_T5_PSR_SS_PNS1_23onesweep_lookback_stateEbbT6_jjT7_P12ihipStream_tbENKUlT_T0_SG_SL_E_clIS9_SA_SB_SB_EEDaSZ_S10_SG_SL_EUlSZ_E_NS1_11comp_targetILNS1_3genE8ELNS1_11target_archE1030ELNS1_3gpuE2ELNS1_3repE0EEENS1_47radix_sort_onesweep_sort_config_static_selectorELNS0_4arch9wavefront6targetE0EEEvSG_.has_indirect_call, 0
	.section	.AMDGPU.csdata,"",@progbits
; Kernel info:
; codeLenInByte = 0
; TotalNumSgprs: 0
; NumVgprs: 0
; ScratchSize: 0
; MemoryBound: 0
; FloatMode: 240
; IeeeMode: 1
; LDSByteSize: 0 bytes/workgroup (compile time only)
; SGPRBlocks: 0
; VGPRBlocks: 0
; NumSGPRsForWavesPerEU: 1
; NumVGPRsForWavesPerEU: 1
; NamedBarCnt: 0
; Occupancy: 16
; WaveLimiterHint : 0
; COMPUTE_PGM_RSRC2:SCRATCH_EN: 0
; COMPUTE_PGM_RSRC2:USER_SGPR: 2
; COMPUTE_PGM_RSRC2:TRAP_HANDLER: 0
; COMPUTE_PGM_RSRC2:TGID_X_EN: 1
; COMPUTE_PGM_RSRC2:TGID_Y_EN: 0
; COMPUTE_PGM_RSRC2:TGID_Z_EN: 0
; COMPUTE_PGM_RSRC2:TIDIG_COMP_CNT: 0
	.section	.text._ZN7rocprim17ROCPRIM_400000_NS6detail17trampoline_kernelINS0_14default_configENS1_35radix_sort_onesweep_config_selectorIfNS0_10empty_typeEEEZZNS1_29radix_sort_onesweep_iterationIS3_Lb0EPKfPfPS5_SB_mNS0_19identity_decomposerENS1_16block_id_wrapperIjLb1EEEEE10hipError_tT1_PNSt15iterator_traitsISG_E10value_typeET2_T3_PNSH_ISM_E10value_typeET4_T5_PSR_SS_PNS1_23onesweep_lookback_stateEbbT6_jjT7_P12ihipStream_tbENKUlT_T0_SG_SL_E_clISA_SA_SB_SB_EEDaSZ_S10_SG_SL_EUlSZ_E_NS1_11comp_targetILNS1_3genE0ELNS1_11target_archE4294967295ELNS1_3gpuE0ELNS1_3repE0EEENS1_47radix_sort_onesweep_sort_config_static_selectorELNS0_4arch9wavefront6targetE0EEEvSG_,"axG",@progbits,_ZN7rocprim17ROCPRIM_400000_NS6detail17trampoline_kernelINS0_14default_configENS1_35radix_sort_onesweep_config_selectorIfNS0_10empty_typeEEEZZNS1_29radix_sort_onesweep_iterationIS3_Lb0EPKfPfPS5_SB_mNS0_19identity_decomposerENS1_16block_id_wrapperIjLb1EEEEE10hipError_tT1_PNSt15iterator_traitsISG_E10value_typeET2_T3_PNSH_ISM_E10value_typeET4_T5_PSR_SS_PNS1_23onesweep_lookback_stateEbbT6_jjT7_P12ihipStream_tbENKUlT_T0_SG_SL_E_clISA_SA_SB_SB_EEDaSZ_S10_SG_SL_EUlSZ_E_NS1_11comp_targetILNS1_3genE0ELNS1_11target_archE4294967295ELNS1_3gpuE0ELNS1_3repE0EEENS1_47radix_sort_onesweep_sort_config_static_selectorELNS0_4arch9wavefront6targetE0EEEvSG_,comdat
	.protected	_ZN7rocprim17ROCPRIM_400000_NS6detail17trampoline_kernelINS0_14default_configENS1_35radix_sort_onesweep_config_selectorIfNS0_10empty_typeEEEZZNS1_29radix_sort_onesweep_iterationIS3_Lb0EPKfPfPS5_SB_mNS0_19identity_decomposerENS1_16block_id_wrapperIjLb1EEEEE10hipError_tT1_PNSt15iterator_traitsISG_E10value_typeET2_T3_PNSH_ISM_E10value_typeET4_T5_PSR_SS_PNS1_23onesweep_lookback_stateEbbT6_jjT7_P12ihipStream_tbENKUlT_T0_SG_SL_E_clISA_SA_SB_SB_EEDaSZ_S10_SG_SL_EUlSZ_E_NS1_11comp_targetILNS1_3genE0ELNS1_11target_archE4294967295ELNS1_3gpuE0ELNS1_3repE0EEENS1_47radix_sort_onesweep_sort_config_static_selectorELNS0_4arch9wavefront6targetE0EEEvSG_ ; -- Begin function _ZN7rocprim17ROCPRIM_400000_NS6detail17trampoline_kernelINS0_14default_configENS1_35radix_sort_onesweep_config_selectorIfNS0_10empty_typeEEEZZNS1_29radix_sort_onesweep_iterationIS3_Lb0EPKfPfPS5_SB_mNS0_19identity_decomposerENS1_16block_id_wrapperIjLb1EEEEE10hipError_tT1_PNSt15iterator_traitsISG_E10value_typeET2_T3_PNSH_ISM_E10value_typeET4_T5_PSR_SS_PNS1_23onesweep_lookback_stateEbbT6_jjT7_P12ihipStream_tbENKUlT_T0_SG_SL_E_clISA_SA_SB_SB_EEDaSZ_S10_SG_SL_EUlSZ_E_NS1_11comp_targetILNS1_3genE0ELNS1_11target_archE4294967295ELNS1_3gpuE0ELNS1_3repE0EEENS1_47radix_sort_onesweep_sort_config_static_selectorELNS0_4arch9wavefront6targetE0EEEvSG_
	.globl	_ZN7rocprim17ROCPRIM_400000_NS6detail17trampoline_kernelINS0_14default_configENS1_35radix_sort_onesweep_config_selectorIfNS0_10empty_typeEEEZZNS1_29radix_sort_onesweep_iterationIS3_Lb0EPKfPfPS5_SB_mNS0_19identity_decomposerENS1_16block_id_wrapperIjLb1EEEEE10hipError_tT1_PNSt15iterator_traitsISG_E10value_typeET2_T3_PNSH_ISM_E10value_typeET4_T5_PSR_SS_PNS1_23onesweep_lookback_stateEbbT6_jjT7_P12ihipStream_tbENKUlT_T0_SG_SL_E_clISA_SA_SB_SB_EEDaSZ_S10_SG_SL_EUlSZ_E_NS1_11comp_targetILNS1_3genE0ELNS1_11target_archE4294967295ELNS1_3gpuE0ELNS1_3repE0EEENS1_47radix_sort_onesweep_sort_config_static_selectorELNS0_4arch9wavefront6targetE0EEEvSG_
	.p2align	8
	.type	_ZN7rocprim17ROCPRIM_400000_NS6detail17trampoline_kernelINS0_14default_configENS1_35radix_sort_onesweep_config_selectorIfNS0_10empty_typeEEEZZNS1_29radix_sort_onesweep_iterationIS3_Lb0EPKfPfPS5_SB_mNS0_19identity_decomposerENS1_16block_id_wrapperIjLb1EEEEE10hipError_tT1_PNSt15iterator_traitsISG_E10value_typeET2_T3_PNSH_ISM_E10value_typeET4_T5_PSR_SS_PNS1_23onesweep_lookback_stateEbbT6_jjT7_P12ihipStream_tbENKUlT_T0_SG_SL_E_clISA_SA_SB_SB_EEDaSZ_S10_SG_SL_EUlSZ_E_NS1_11comp_targetILNS1_3genE0ELNS1_11target_archE4294967295ELNS1_3gpuE0ELNS1_3repE0EEENS1_47radix_sort_onesweep_sort_config_static_selectorELNS0_4arch9wavefront6targetE0EEEvSG_,@function
_ZN7rocprim17ROCPRIM_400000_NS6detail17trampoline_kernelINS0_14default_configENS1_35radix_sort_onesweep_config_selectorIfNS0_10empty_typeEEEZZNS1_29radix_sort_onesweep_iterationIS3_Lb0EPKfPfPS5_SB_mNS0_19identity_decomposerENS1_16block_id_wrapperIjLb1EEEEE10hipError_tT1_PNSt15iterator_traitsISG_E10value_typeET2_T3_PNSH_ISM_E10value_typeET4_T5_PSR_SS_PNS1_23onesweep_lookback_stateEbbT6_jjT7_P12ihipStream_tbENKUlT_T0_SG_SL_E_clISA_SA_SB_SB_EEDaSZ_S10_SG_SL_EUlSZ_E_NS1_11comp_targetILNS1_3genE0ELNS1_11target_archE4294967295ELNS1_3gpuE0ELNS1_3repE0EEENS1_47radix_sort_onesweep_sort_config_static_selectorELNS0_4arch9wavefront6targetE0EEEvSG_: ; @_ZN7rocprim17ROCPRIM_400000_NS6detail17trampoline_kernelINS0_14default_configENS1_35radix_sort_onesweep_config_selectorIfNS0_10empty_typeEEEZZNS1_29radix_sort_onesweep_iterationIS3_Lb0EPKfPfPS5_SB_mNS0_19identity_decomposerENS1_16block_id_wrapperIjLb1EEEEE10hipError_tT1_PNSt15iterator_traitsISG_E10value_typeET2_T3_PNSH_ISM_E10value_typeET4_T5_PSR_SS_PNS1_23onesweep_lookback_stateEbbT6_jjT7_P12ihipStream_tbENKUlT_T0_SG_SL_E_clISA_SA_SB_SB_EEDaSZ_S10_SG_SL_EUlSZ_E_NS1_11comp_targetILNS1_3genE0ELNS1_11target_archE4294967295ELNS1_3gpuE0ELNS1_3repE0EEENS1_47radix_sort_onesweep_sort_config_static_selectorELNS0_4arch9wavefront6targetE0EEEvSG_
; %bb.0:
	s_clause 0x1
	s_load_b128 s[12:15], s[0:1], 0x28
	s_load_b64 s[10:11], s[0:1], 0x38
	v_and_b32_e32 v14, 0x3ff, v0
	s_delay_alu instid0(VALU_DEP_1)
	v_cmp_eq_u32_e64 s2, 0, v14
	s_and_saveexec_b32 s3, s2
	s_cbranch_execz .LBB1415_4
; %bb.1:
	s_mov_b32 s5, exec_lo
	s_mov_b32 s4, exec_lo
	v_mbcnt_lo_u32_b32 v1, s5, 0
                                        ; implicit-def: $vgpr2
	s_delay_alu instid0(VALU_DEP_1)
	v_cmpx_eq_u32_e32 0, v1
	s_cbranch_execz .LBB1415_3
; %bb.2:
	s_load_b64 s[6:7], s[0:1], 0x50
	s_bcnt1_i32_b32 s5, s5
	s_delay_alu instid0(SALU_CYCLE_1)
	v_dual_mov_b32 v2, 0 :: v_dual_mov_b32 v3, s5
	s_wait_xcnt 0x0
	s_wait_kmcnt 0x0
	global_atomic_add_u32 v2, v2, v3, s[6:7] th:TH_ATOMIC_RETURN scope:SCOPE_DEV
.LBB1415_3:
	s_wait_xcnt 0x0
	s_or_b32 exec_lo, exec_lo, s4
	s_wait_loadcnt 0x0
	v_readfirstlane_b32 s4, v2
	s_delay_alu instid0(VALU_DEP_1)
	v_dual_mov_b32 v2, 0 :: v_dual_add_nc_u32 v1, s4, v1
	ds_store_b32 v2, v1 offset:18496
.LBB1415_4:
	s_or_b32 exec_lo, exec_lo, s3
	v_mov_b32_e32 v3, 0
	s_clause 0x2
	s_load_b128 s[16:19], s[0:1], 0x0
	s_load_b32 s3, s[0:1], 0x20
	s_load_b96 s[20:22], s[0:1], 0x44
	s_wait_dscnt 0x0
	s_barrier_signal -1
	s_barrier_wait -1
	ds_load_b32 v1, v3 offset:18496
	v_mbcnt_lo_u32_b32 v15, -1, 0
	v_and_b32_e32 v16, 0x3e0, v14
	s_mov_b32 s4, -1
	s_add_nc_u64 s[26:27], s[0:1], 0x58
	s_getreg_b32 s28, hwreg(HW_REG_IB_STS2, 6, 4)
	s_wait_dscnt 0x0
	s_barrier_signal -1
	s_barrier_wait -1
	s_wait_kmcnt 0x0
	v_cmp_le_u32_e32 vcc_lo, s22, v1
	v_readfirstlane_b32 s23, v1
	s_mul_i32 s24, s23, 0x1800
	s_cbranch_vccz .LBB1415_94
; %bb.5:
	s_mov_b32 s25, 0
	v_mul_u32_u24_e32 v1, 12, v16
	v_lshlrev_b32_e32 v2, 2, v15
	s_lshl_b64 s[4:5], s[24:25], 2
	v_bfrev_b32_e32 v12, -2
	s_add_nc_u64 s[4:5], s[16:17], s[4:5]
	v_or_b32_e32 v10, v15, v1
	v_add_nc_u64_e32 v[4:5], s[4:5], v[2:3]
	v_lshlrev_b32_e32 v2, 2, v1
	v_bfrev_b32_e32 v1, -2
	s_mulk_i32 s22, 0xe800
	s_delay_alu instid0(SALU_CYCLE_1) | instskip(SKIP_1) | instid1(VALU_DEP_3)
	s_add_co_i32 s22, s22, s3
	s_mov_b32 s3, exec_lo
	v_add_nc_u64_e32 v[2:3], v[4:5], v[2:3]
	v_cmpx_gt_u32_e64 s22, v10
	s_cbranch_execz .LBB1415_7
; %bb.6:
	global_load_b32 v1, v[2:3], off
.LBB1415_7:
	s_wait_xcnt 0x0
	s_or_b32 exec_lo, exec_lo, s3
	v_or_b32_e32 v4, 32, v10
	s_mov_b32 s3, exec_lo
	s_delay_alu instid0(VALU_DEP_1)
	v_cmpx_gt_u32_e64 s22, v4
	s_cbranch_execz .LBB1415_9
; %bb.8:
	global_load_b32 v12, v[2:3], off offset:128
.LBB1415_9:
	s_wait_xcnt 0x0
	s_or_b32 exec_lo, exec_lo, s3
	v_or_b32_e32 v4, 64, v10
	v_bfrev_b32_e32 v19, -2
	v_bfrev_b32_e32 v13, -2
	s_mov_b32 s3, exec_lo
	s_delay_alu instid0(VALU_DEP_3)
	v_cmpx_gt_u32_e64 s22, v4
	s_cbranch_execz .LBB1415_11
; %bb.10:
	global_load_b32 v13, v[2:3], off offset:256
.LBB1415_11:
	s_wait_xcnt 0x0
	s_or_b32 exec_lo, exec_lo, s3
	v_or_b32_e32 v4, 0x60, v10
	s_mov_b32 s3, exec_lo
	s_delay_alu instid0(VALU_DEP_1)
	v_cmpx_gt_u32_e64 s22, v4
	s_cbranch_execz .LBB1415_13
; %bb.12:
	global_load_b32 v19, v[2:3], off offset:384
.LBB1415_13:
	s_wait_xcnt 0x0
	s_or_b32 exec_lo, exec_lo, s3
	v_add_nc_u32_e32 v4, 0x80, v10
	v_bfrev_b32_e32 v24, -2
	v_bfrev_b32_e32 v21, -2
	s_mov_b32 s3, exec_lo
	s_delay_alu instid0(VALU_DEP_3)
	v_cmpx_gt_u32_e64 s22, v4
	s_cbranch_execz .LBB1415_15
; %bb.14:
	global_load_b32 v21, v[2:3], off offset:512
.LBB1415_15:
	s_wait_xcnt 0x0
	s_or_b32 exec_lo, exec_lo, s3
	v_add_nc_u32_e32 v4, 0xa0, v10
	s_mov_b32 s3, exec_lo
	s_delay_alu instid0(VALU_DEP_1)
	v_cmpx_gt_u32_e64 s22, v4
	s_cbranch_execz .LBB1415_17
; %bb.16:
	global_load_b32 v24, v[2:3], off offset:640
.LBB1415_17:
	s_wait_xcnt 0x0
	s_or_b32 exec_lo, exec_lo, s3
	v_add_nc_u32_e32 v4, 0xc0, v10
	v_bfrev_b32_e32 v8, -2
	v_bfrev_b32_e32 v9, -2
	s_mov_b32 s3, exec_lo
	s_delay_alu instid0(VALU_DEP_3)
	v_cmpx_gt_u32_e64 s22, v4
	s_cbranch_execz .LBB1415_19
; %bb.18:
	global_load_b32 v9, v[2:3], off offset:768
.LBB1415_19:
	s_wait_xcnt 0x0
	s_or_b32 exec_lo, exec_lo, s3
	v_add_nc_u32_e32 v4, 0xe0, v10
	;; [unrolled: 22-line block ×3, first 2 shown]
	s_mov_b32 s3, exec_lo
	s_delay_alu instid0(VALU_DEP_1)
	v_cmpx_gt_u32_e64 s22, v4
	s_cbranch_execz .LBB1415_25
; %bb.24:
	global_load_b32 v6, v[2:3], off offset:1152
.LBB1415_25:
	s_wait_xcnt 0x0
	s_or_b32 exec_lo, exec_lo, s3
	v_add_nc_u32_e32 v5, 0x140, v10
	v_bfrev_b32_e32 v4, -2
	s_delay_alu instid0(VALU_DEP_2)
	v_cmp_gt_u32_e32 vcc_lo, s22, v5
	v_bfrev_b32_e32 v5, -2
	s_and_saveexec_b32 s3, vcc_lo
	s_cbranch_execz .LBB1415_27
; %bb.26:
	global_load_b32 v5, v[2:3], off offset:1280
.LBB1415_27:
	s_wait_xcnt 0x0
	s_or_b32 exec_lo, exec_lo, s3
	v_add_nc_u32_e32 v10, 0x160, v10
	s_mov_b32 s3, exec_lo
	s_delay_alu instid0(VALU_DEP_1)
	v_cmpx_gt_u32_e64 s22, v10
	s_cbranch_execz .LBB1415_29
; %bb.28:
	global_load_b32 v4, v[2:3], off offset:1408
.LBB1415_29:
	s_wait_xcnt 0x0
	s_or_b32 exec_lo, exec_lo, s3
	s_wait_loadcnt 0x0
	v_cmp_lt_i32_e32 vcc_lo, -1, v1
	s_clause 0x1
	s_load_b32 s25, s[0:1], 0x58
	s_load_u16 s3, s[0:1], 0x66
	s_bfe_u32 s4, ttmp6, 0x4000c
	s_and_b32 s5, ttmp6, 15
	v_cndmask_b32_e64 v2, -1, 0x80000000, vcc_lo
	s_add_co_i32 s4, s4, 1
	v_bfe_u32 v10, v0, 20, 10
	s_mul_i32 s4, ttmp9, s4
	s_delay_alu instid0(SALU_CYCLE_1)
	s_add_co_i32 s5, s5, s4
	v_xor_b32_e32 v1, v2, v1
	s_cmp_eq_u32 s28, 0
	v_bfe_u32 v2, v0, 10, 10
	s_cselect_b32 s4, ttmp9, s5
	s_mov_b32 s5, 0
	v_cmp_ne_u32_e32 vcc_lo, 0x7fffffff, v1
	v_cndmask_b32_e32 v3, 0x80000000, v1, vcc_lo
	s_wait_kmcnt 0x0
	s_cmp_lt_u32 s4, s25
	v_mad_u32_u24 v2, v10, s3, v2
	s_cselect_b32 s4, 12, 18
	s_lshl_b32 s6, -1, s21
	v_lshrrev_b32_e32 v3, s20, v3
	s_add_nc_u64 s[4:5], s[26:27], s[4:5]
	s_not_b32 s29, s6
	s_load_u16 s7, s[4:5], 0x0
	s_delay_alu instid0(VALU_DEP_1) | instskip(SKIP_1) | instid1(VALU_DEP_2)
	v_bitop3_b32 v11, v3, s6, v3 bitop3:0x30
	v_bitop3_b32 v10, v3, 1, s6 bitop3:0x40
	v_dual_lshlrev_b32 v17, 30, v11 :: v_dual_lshlrev_b32 v20, 28, v11
	s_delay_alu instid0(VALU_DEP_2) | instskip(NEXT) | instid1(VALU_DEP_1)
	v_add_co_u32 v3, s3, v10, -1
	v_cndmask_b32_e64 v10, 0, 1, s3
	v_lshlrev_b32_e32 v18, 29, v11
	s_delay_alu instid0(VALU_DEP_4) | instskip(SKIP_1) | instid1(VALU_DEP_4)
	v_not_b32_e32 v25, v17
	v_dual_lshlrev_b32 v22, 27, v11 :: v_dual_lshlrev_b32 v23, 26, v11
	v_cmp_ne_u32_e32 vcc_lo, 0, v10
	v_cmp_gt_i32_e64 s3, 0, v17
	v_not_b32_e32 v10, v18
	s_wait_xcnt 0x0
	v_cmp_gt_i32_e64 s4, 0, v18
	v_ashrrev_i32_e32 v17, 31, v25
	v_not_b32_e32 v18, v20
	v_cmp_gt_i32_e64 s5, 0, v20
	v_dual_ashrrev_i32 v10, 31, v10 :: v_dual_bitop2_b32 v3, vcc_lo, v3 bitop3:0x14
	v_not_b32_e32 v20, v22
	s_delay_alu instid0(VALU_DEP_4) | instskip(NEXT) | instid1(VALU_DEP_3)
	v_dual_ashrrev_i32 v18, 31, v18 :: v_dual_bitop2_b32 v17, s3, v17 bitop3:0x14
	v_xor_b32_e32 v10, s4, v10
	v_cmp_gt_i32_e32 vcc_lo, 0, v22
	s_delay_alu instid0(VALU_DEP_4) | instskip(NEXT) | instid1(VALU_DEP_4)
	v_ashrrev_i32_e32 v20, 31, v20
	v_bitop3_b32 v3, v3, v17, exec_lo bitop3:0x80
	v_xor_b32_e32 v17, s5, v18
	v_not_b32_e32 v18, v23
	v_lshlrev_b32_e32 v22, 25, v11
	v_cmp_gt_i32_e64 s3, 0, v23
	v_lshlrev_b32_e32 v23, 24, v11
	s_wait_kmcnt 0x0
	v_mad_u32 v2, v2, s7, v14
	v_ashrrev_i32_e32 v18, 31, v18
	v_bitop3_b32 v3, v3, v17, v10 bitop3:0x80
	v_not_b32_e32 v10, v22
	v_xor_b32_e32 v17, vcc_lo, v20
	v_not_b32_e32 v20, v23
	v_xor_b32_e32 v18, s3, v18
	v_cmp_gt_i32_e32 vcc_lo, 0, v22
	v_cmp_gt_i32_e64 s3, 0, v23
	s_delay_alu instid0(VALU_DEP_4) | instskip(NEXT) | instid1(VALU_DEP_4)
	v_dual_ashrrev_i32 v20, 31, v20 :: v_dual_ashrrev_i32 v22, 31, v10
	v_bitop3_b32 v3, v3, v18, v17 bitop3:0x80
	v_lshrrev_b32_e32 v2, 5, v2
	v_mul_u32_u24_e32 v10, 36, v14
	s_delay_alu instid0(VALU_DEP_4) | instskip(SKIP_1) | instid1(VALU_DEP_4)
	v_xor_b32_e32 v18, s3, v20
	v_dual_mov_b32 v22, 0 :: v_dual_bitop2_b32 v17, vcc_lo, v22 bitop3:0x14
	v_lshlrev_b32_e32 v2, 2, v2
	ds_store_2addr_b32 v10, v22, v22 offset0:16 offset1:17
	ds_store_2addr_b32 v10, v22, v22 offset0:18 offset1:19
	;; [unrolled: 1-line block ×4, first 2 shown]
	v_bitop3_b32 v3, v3, v18, v17 bitop3:0x80
	v_mad_u32 v11, 0x44, v11, v2
	ds_store_b32 v10, v22 offset:96
	s_wait_dscnt 0x0
	s_barrier_signal -1
	v_mbcnt_lo_u32_b32 v20, v3, 0
	v_cmp_ne_u32_e64 s3, 0, v3
	s_barrier_wait -1
	s_delay_alu instid0(VALU_DEP_2) | instskip(SKIP_1) | instid1(SALU_CYCLE_1)
	v_cmp_eq_u32_e32 vcc_lo, 0, v20
	; wave barrier
	s_and_b32 s4, s3, vcc_lo
	s_and_saveexec_b32 s3, s4
; %bb.30:
	v_bcnt_u32_b32 v3, v3, 0
	ds_store_b32 v11, v3 offset:64
; %bb.31:
	s_or_b32 exec_lo, exec_lo, s3
	v_cmp_lt_i32_e32 vcc_lo, -1, v12
	; wave barrier
	v_cndmask_b32_e64 v3, -1, 0x80000000, vcc_lo
	s_delay_alu instid0(VALU_DEP_1) | instskip(NEXT) | instid1(VALU_DEP_1)
	v_xor_b32_e32 v17, v3, v12
	v_cmp_ne_u32_e32 vcc_lo, 0x7fffffff, v17
	v_cndmask_b32_e32 v3, 0x80000000, v17, vcc_lo
	s_delay_alu instid0(VALU_DEP_1) | instskip(NEXT) | instid1(VALU_DEP_1)
	v_lshrrev_b32_e32 v3, s20, v3
	v_and_b32_e32 v18, s29, v3
	v_bitop3_b32 v3, v3, 1, s29 bitop3:0x80
	s_delay_alu instid0(VALU_DEP_2) | instskip(NEXT) | instid1(VALU_DEP_2)
	v_lshlrev_b32_e32 v23, 30, v18
	v_add_co_u32 v3, s3, v3, -1
	s_delay_alu instid0(VALU_DEP_1) | instskip(NEXT) | instid1(VALU_DEP_1)
	v_cndmask_b32_e64 v22, 0, 1, s3
	v_cmp_ne_u32_e32 vcc_lo, 0, v22
	s_delay_alu instid0(VALU_DEP_4) | instskip(NEXT) | instid1(VALU_DEP_1)
	v_not_b32_e32 v22, v23
	v_ashrrev_i32_e32 v22, 31, v22
	v_dual_lshlrev_b32 v25, 29, v18 :: v_dual_lshlrev_b32 v26, 28, v18
	v_dual_lshlrev_b32 v27, 27, v18 :: v_dual_lshlrev_b32 v28, 26, v18
	v_cmp_gt_i32_e64 s3, 0, v23
	s_delay_alu instid0(VALU_DEP_3)
	v_cmp_gt_i32_e64 s4, 0, v25
	v_not_b32_e32 v23, v25
	v_not_b32_e32 v25, v26
	v_mad_u32 v12, 0x44, v18, v2
	v_dual_lshlrev_b32 v29, 25, v18 :: v_dual_lshlrev_b32 v18, 24, v18
	v_cmp_gt_i32_e64 s5, 0, v26
	v_cmp_gt_i32_e64 s6, 0, v27
	v_not_b32_e32 v26, v27
	v_not_b32_e32 v27, v28
	v_dual_ashrrev_i32 v25, 31, v25 :: v_dual_bitop2_b32 v3, vcc_lo, v3 bitop3:0x14
	v_dual_ashrrev_i32 v23, 31, v23 :: v_dual_bitop2_b32 v22, s3, v22 bitop3:0x14
	v_cmp_gt_i32_e64 s7, 0, v28
	v_not_b32_e32 v28, v29
	v_cmp_gt_i32_e64 s9, 0, v18
	v_not_b32_e32 v18, v18
	v_dual_ashrrev_i32 v26, 31, v26 :: v_dual_ashrrev_i32 v27, 31, v27
	v_xor_b32_e32 v23, s4, v23
	s_delay_alu instid0(VALU_DEP_3) | instskip(SKIP_4) | instid1(VALU_DEP_4)
	v_dual_ashrrev_i32 v18, 31, v18 :: v_dual_bitop2_b32 v25, s5, v25 bitop3:0x14
	v_bitop3_b32 v3, v3, v22, exec_lo bitop3:0x80
	v_cmp_gt_i32_e64 s8, 0, v29
	v_dual_ashrrev_i32 v22, 31, v28 :: v_dual_bitop2_b32 v26, s6, v26 bitop3:0x14
	v_xor_b32_e32 v27, s7, v27
	v_bitop3_b32 v3, v3, v25, v23 bitop3:0x80
	v_xor_b32_e32 v18, s9, v18
	s_delay_alu instid0(VALU_DEP_4) | instskip(SKIP_2) | instid1(VALU_DEP_1)
	v_xor_b32_e32 v23, s8, v22
	ds_load_b32 v22, v12 offset:64
	v_bitop3_b32 v3, v3, v27, v26 bitop3:0x80
	; wave barrier
	v_bitop3_b32 v3, v3, v18, v23 bitop3:0x80
	s_delay_alu instid0(VALU_DEP_1) | instskip(SKIP_1) | instid1(VALU_DEP_2)
	v_mbcnt_lo_u32_b32 v23, v3, 0
	v_cmp_ne_u32_e64 s3, 0, v3
	v_cmp_eq_u32_e32 vcc_lo, 0, v23
	s_and_b32 s4, s3, vcc_lo
	s_delay_alu instid0(SALU_CYCLE_1)
	s_and_saveexec_b32 s3, s4
	s_cbranch_execz .LBB1415_33
; %bb.32:
	s_wait_dscnt 0x0
	v_bcnt_u32_b32 v3, v3, v22
	ds_store_b32 v12, v3 offset:64
.LBB1415_33:
	s_or_b32 exec_lo, exec_lo, s3
	v_cmp_lt_i32_e32 vcc_lo, -1, v13
	; wave barrier
	v_cndmask_b32_e64 v3, -1, 0x80000000, vcc_lo
	s_delay_alu instid0(VALU_DEP_1) | instskip(NEXT) | instid1(VALU_DEP_1)
	v_xor_b32_e32 v18, v3, v13
	v_cmp_ne_u32_e32 vcc_lo, 0x7fffffff, v18
	v_cndmask_b32_e32 v3, 0x80000000, v18, vcc_lo
	s_delay_alu instid0(VALU_DEP_1) | instskip(NEXT) | instid1(VALU_DEP_1)
	v_lshrrev_b32_e32 v3, s20, v3
	v_and_b32_e32 v25, s29, v3
	v_bitop3_b32 v3, v3, 1, s29 bitop3:0x80
	s_delay_alu instid0(VALU_DEP_2) | instskip(NEXT) | instid1(VALU_DEP_2)
	v_lshlrev_b32_e32 v27, 30, v25
	v_add_co_u32 v3, s3, v3, -1
	s_delay_alu instid0(VALU_DEP_1) | instskip(NEXT) | instid1(VALU_DEP_1)
	v_cndmask_b32_e64 v26, 0, 1, s3
	v_cmp_ne_u32_e32 vcc_lo, 0, v26
	s_delay_alu instid0(VALU_DEP_4) | instskip(NEXT) | instid1(VALU_DEP_1)
	v_not_b32_e32 v26, v27
	v_dual_ashrrev_i32 v26, 31, v26 :: v_dual_lshlrev_b32 v28, 29, v25
	v_dual_lshlrev_b32 v29, 28, v25 :: v_dual_lshlrev_b32 v30, 27, v25
	v_lshlrev_b32_e32 v31, 26, v25
	v_cmp_gt_i32_e64 s3, 0, v27
	s_delay_alu instid0(VALU_DEP_4)
	v_cmp_gt_i32_e64 s4, 0, v28
	v_not_b32_e32 v27, v28
	v_not_b32_e32 v28, v29
	v_mad_u32 v13, 0x44, v25, v2
	v_dual_lshlrev_b32 v32, 25, v25 :: v_dual_lshlrev_b32 v25, 24, v25
	v_cmp_gt_i32_e64 s5, 0, v29
	v_cmp_gt_i32_e64 s6, 0, v30
	v_not_b32_e32 v29, v30
	v_not_b32_e32 v30, v31
	v_dual_ashrrev_i32 v28, 31, v28 :: v_dual_bitop2_b32 v3, vcc_lo, v3 bitop3:0x14
	v_dual_ashrrev_i32 v27, 31, v27 :: v_dual_bitop2_b32 v26, s3, v26 bitop3:0x14
	v_cmp_gt_i32_e64 s7, 0, v31
	v_not_b32_e32 v31, v32
	v_cmp_gt_i32_e64 s9, 0, v25
	v_not_b32_e32 v25, v25
	v_dual_ashrrev_i32 v29, 31, v29 :: v_dual_ashrrev_i32 v30, 31, v30
	v_xor_b32_e32 v27, s4, v27
	v_xor_b32_e32 v28, s5, v28
	v_bitop3_b32 v3, v3, v26, exec_lo bitop3:0x80
	v_cmp_gt_i32_e64 s8, 0, v32
	v_dual_ashrrev_i32 v26, 31, v31 :: v_dual_ashrrev_i32 v25, 31, v25
	v_xor_b32_e32 v29, s6, v29
	v_xor_b32_e32 v30, s7, v30
	v_bitop3_b32 v3, v3, v28, v27 bitop3:0x80
	s_delay_alu instid0(VALU_DEP_4) | instskip(SKIP_3) | instid1(VALU_DEP_1)
	v_xor_b32_e32 v26, s8, v26
	v_xor_b32_e32 v27, s9, v25
	ds_load_b32 v25, v13 offset:64
	v_bitop3_b32 v3, v3, v30, v29 bitop3:0x80
	; wave barrier
	v_bitop3_b32 v3, v3, v27, v26 bitop3:0x80
	s_delay_alu instid0(VALU_DEP_1) | instskip(SKIP_1) | instid1(VALU_DEP_2)
	v_mbcnt_lo_u32_b32 v26, v3, 0
	v_cmp_ne_u32_e64 s3, 0, v3
	v_cmp_eq_u32_e32 vcc_lo, 0, v26
	s_and_b32 s4, s3, vcc_lo
	s_delay_alu instid0(SALU_CYCLE_1)
	s_and_saveexec_b32 s3, s4
	s_cbranch_execz .LBB1415_35
; %bb.34:
	s_wait_dscnt 0x0
	v_bcnt_u32_b32 v3, v3, v25
	ds_store_b32 v13, v3 offset:64
.LBB1415_35:
	s_or_b32 exec_lo, exec_lo, s3
	v_cmp_lt_i32_e32 vcc_lo, -1, v19
	; wave barrier
	v_cndmask_b32_e64 v3, -1, 0x80000000, vcc_lo
	s_delay_alu instid0(VALU_DEP_1) | instskip(NEXT) | instid1(VALU_DEP_1)
	v_xor_b32_e32 v19, v3, v19
	v_cmp_ne_u32_e32 vcc_lo, 0x7fffffff, v19
	v_cndmask_b32_e32 v3, 0x80000000, v19, vcc_lo
	s_delay_alu instid0(VALU_DEP_1) | instskip(NEXT) | instid1(VALU_DEP_1)
	v_lshrrev_b32_e32 v3, s20, v3
	v_and_b32_e32 v27, s29, v3
	v_bitop3_b32 v3, v3, 1, s29 bitop3:0x80
	s_delay_alu instid0(VALU_DEP_2) | instskip(NEXT) | instid1(VALU_DEP_2)
	v_dual_lshlrev_b32 v29, 30, v27 :: v_dual_lshlrev_b32 v30, 29, v27
	v_add_co_u32 v3, s3, v3, -1
	s_delay_alu instid0(VALU_DEP_1) | instskip(SKIP_3) | instid1(VALU_DEP_4)
	v_cndmask_b32_e64 v28, 0, 1, s3
	v_dual_lshlrev_b32 v31, 28, v27 :: v_dual_lshlrev_b32 v32, 27, v27
	v_lshlrev_b32_e32 v34, 26, v27
	v_cmp_gt_i32_e64 s3, 0, v29
	v_cmp_ne_u32_e32 vcc_lo, 0, v28
	v_not_b32_e32 v28, v29
	v_cmp_gt_i32_e64 s4, 0, v30
	v_not_b32_e32 v29, v30
	v_cmp_gt_i32_e64 s5, 0, v31
	;; [unrolled: 2-line block ×3, first 2 shown]
	v_not_b32_e32 v31, v32
	v_not_b32_e32 v32, v34
	v_dual_ashrrev_i32 v28, 31, v28 :: v_dual_ashrrev_i32 v29, 31, v29
	s_delay_alu instid0(VALU_DEP_3) | instskip(NEXT) | instid1(VALU_DEP_3)
	v_dual_ashrrev_i32 v30, 31, v30 :: v_dual_ashrrev_i32 v31, 31, v31
	v_dual_ashrrev_i32 v32, 31, v32 :: v_dual_lshlrev_b32 v35, 25, v27
	v_mad_u32 v33, 0x44, v27, v2
	s_delay_alu instid0(VALU_DEP_4) | instskip(SKIP_1) | instid1(VALU_DEP_4)
	v_dual_lshlrev_b32 v27, 24, v27 :: v_dual_bitop2_b32 v28, s3, v28 bitop3:0x14
	v_cmp_gt_i32_e64 s7, 0, v34
	v_not_b32_e32 v34, v35
	v_xor_b32_e32 v3, vcc_lo, v3
	s_delay_alu instid0(VALU_DEP_4)
	v_cmp_gt_i32_e64 s9, 0, v27
	v_not_b32_e32 v27, v27
	v_xor_b32_e32 v29, s4, v29
	v_xor_b32_e32 v30, s5, v30
	v_bitop3_b32 v3, v3, v28, exec_lo bitop3:0x80
	v_cmp_gt_i32_e64 s8, 0, v35
	v_dual_ashrrev_i32 v28, 31, v34 :: v_dual_ashrrev_i32 v27, 31, v27
	v_xor_b32_e32 v31, s6, v31
	v_xor_b32_e32 v32, s7, v32
	v_bitop3_b32 v3, v3, v30, v29 bitop3:0x80
	s_delay_alu instid0(VALU_DEP_4) | instskip(SKIP_3) | instid1(VALU_DEP_1)
	v_xor_b32_e32 v29, s8, v28
	v_xor_b32_e32 v27, s9, v27
	ds_load_b32 v28, v33 offset:64
	v_bitop3_b32 v3, v3, v32, v31 bitop3:0x80
	; wave barrier
	v_bitop3_b32 v3, v3, v27, v29 bitop3:0x80
	s_delay_alu instid0(VALU_DEP_1) | instskip(SKIP_1) | instid1(VALU_DEP_2)
	v_mbcnt_lo_u32_b32 v29, v3, 0
	v_cmp_ne_u32_e64 s3, 0, v3
	v_cmp_eq_u32_e32 vcc_lo, 0, v29
	s_and_b32 s4, s3, vcc_lo
	s_delay_alu instid0(SALU_CYCLE_1)
	s_and_saveexec_b32 s3, s4
	s_cbranch_execz .LBB1415_37
; %bb.36:
	s_wait_dscnt 0x0
	v_bcnt_u32_b32 v3, v3, v28
	ds_store_b32 v33, v3 offset:64
.LBB1415_37:
	s_or_b32 exec_lo, exec_lo, s3
	v_cmp_lt_i32_e32 vcc_lo, -1, v21
	; wave barrier
	v_cndmask_b32_e64 v3, -1, 0x80000000, vcc_lo
	s_delay_alu instid0(VALU_DEP_1) | instskip(NEXT) | instid1(VALU_DEP_1)
	v_xor_b32_e32 v21, v3, v21
	v_cmp_ne_u32_e32 vcc_lo, 0x7fffffff, v21
	v_cndmask_b32_e32 v3, 0x80000000, v21, vcc_lo
	s_delay_alu instid0(VALU_DEP_1) | instskip(NEXT) | instid1(VALU_DEP_1)
	v_lshrrev_b32_e32 v3, s20, v3
	v_and_b32_e32 v27, s29, v3
	v_bitop3_b32 v3, v3, 1, s29 bitop3:0x80
	s_delay_alu instid0(VALU_DEP_2) | instskip(NEXT) | instid1(VALU_DEP_2)
	v_lshlrev_b32_e32 v31, 30, v27
	v_add_co_u32 v3, s3, v3, -1
	s_delay_alu instid0(VALU_DEP_1) | instskip(NEXT) | instid1(VALU_DEP_1)
	v_cndmask_b32_e64 v30, 0, 1, s3
	v_cmp_ne_u32_e32 vcc_lo, 0, v30
	s_delay_alu instid0(VALU_DEP_4) | instskip(NEXT) | instid1(VALU_DEP_1)
	v_not_b32_e32 v30, v31
	v_dual_ashrrev_i32 v30, 31, v30 :: v_dual_lshlrev_b32 v32, 29, v27
	v_dual_lshlrev_b32 v34, 28, v27 :: v_dual_lshlrev_b32 v35, 27, v27
	v_lshlrev_b32_e32 v36, 26, v27
	v_cmp_gt_i32_e64 s3, 0, v31
	s_delay_alu instid0(VALU_DEP_4)
	v_cmp_gt_i32_e64 s4, 0, v32
	v_not_b32_e32 v31, v32
	v_not_b32_e32 v32, v34
	v_mad_u32 v37, 0x44, v27, v2
	v_dual_lshlrev_b32 v38, 25, v27 :: v_dual_lshlrev_b32 v27, 24, v27
	v_cmp_gt_i32_e64 s5, 0, v34
	v_cmp_gt_i32_e64 s6, 0, v35
	v_not_b32_e32 v34, v35
	v_not_b32_e32 v35, v36
	v_dual_ashrrev_i32 v32, 31, v32 :: v_dual_bitop2_b32 v3, vcc_lo, v3 bitop3:0x14
	v_dual_ashrrev_i32 v31, 31, v31 :: v_dual_bitop2_b32 v30, s3, v30 bitop3:0x14
	v_cmp_gt_i32_e64 s7, 0, v36
	v_not_b32_e32 v36, v38
	v_cmp_gt_i32_e64 s9, 0, v27
	v_not_b32_e32 v27, v27
	v_dual_ashrrev_i32 v34, 31, v34 :: v_dual_ashrrev_i32 v35, 31, v35
	v_xor_b32_e32 v31, s4, v31
	s_delay_alu instid0(VALU_DEP_3) | instskip(SKIP_4) | instid1(VALU_DEP_4)
	v_dual_ashrrev_i32 v27, 31, v27 :: v_dual_bitop2_b32 v32, s5, v32 bitop3:0x14
	v_bitop3_b32 v3, v3, v30, exec_lo bitop3:0x80
	v_cmp_gt_i32_e64 s8, 0, v38
	v_dual_ashrrev_i32 v30, 31, v36 :: v_dual_bitop2_b32 v34, s6, v34 bitop3:0x14
	v_xor_b32_e32 v35, s7, v35
	v_bitop3_b32 v3, v3, v32, v31 bitop3:0x80
	v_xor_b32_e32 v27, s9, v27
	s_delay_alu instid0(VALU_DEP_4) | instskip(SKIP_2) | instid1(VALU_DEP_1)
	v_xor_b32_e32 v30, s8, v30
	ds_load_b32 v31, v37 offset:64
	v_bitop3_b32 v3, v3, v35, v34 bitop3:0x80
	; wave barrier
	v_bitop3_b32 v3, v3, v27, v30 bitop3:0x80
	s_delay_alu instid0(VALU_DEP_1) | instskip(SKIP_1) | instid1(VALU_DEP_2)
	v_mbcnt_lo_u32_b32 v32, v3, 0
	v_cmp_ne_u32_e64 s3, 0, v3
	v_cmp_eq_u32_e32 vcc_lo, 0, v32
	s_and_b32 s4, s3, vcc_lo
	s_delay_alu instid0(SALU_CYCLE_1)
	s_and_saveexec_b32 s3, s4
	s_cbranch_execz .LBB1415_39
; %bb.38:
	s_wait_dscnt 0x0
	v_bcnt_u32_b32 v3, v3, v31
	ds_store_b32 v37, v3 offset:64
.LBB1415_39:
	s_or_b32 exec_lo, exec_lo, s3
	v_cmp_lt_i32_e32 vcc_lo, -1, v24
	; wave barrier
	v_cndmask_b32_e64 v3, -1, 0x80000000, vcc_lo
	s_delay_alu instid0(VALU_DEP_1) | instskip(NEXT) | instid1(VALU_DEP_1)
	v_xor_b32_e32 v24, v3, v24
	v_cmp_ne_u32_e32 vcc_lo, 0x7fffffff, v24
	v_cndmask_b32_e32 v3, 0x80000000, v24, vcc_lo
	s_delay_alu instid0(VALU_DEP_1) | instskip(NEXT) | instid1(VALU_DEP_1)
	v_lshrrev_b32_e32 v3, s20, v3
	v_and_b32_e32 v27, s29, v3
	v_bitop3_b32 v3, v3, 1, s29 bitop3:0x80
	s_delay_alu instid0(VALU_DEP_2) | instskip(NEXT) | instid1(VALU_DEP_2)
	v_lshlrev_b32_e32 v34, 30, v27
	v_add_co_u32 v3, s3, v3, -1
	s_delay_alu instid0(VALU_DEP_1) | instskip(NEXT) | instid1(VALU_DEP_3)
	v_cndmask_b32_e64 v30, 0, 1, s3
	v_cmp_gt_i32_e64 s3, 0, v34
	s_delay_alu instid0(VALU_DEP_2) | instskip(SKIP_1) | instid1(VALU_DEP_1)
	v_cmp_ne_u32_e32 vcc_lo, 0, v30
	v_not_b32_e32 v30, v34
	v_dual_ashrrev_i32 v30, 31, v30 :: v_dual_lshlrev_b32 v35, 29, v27
	v_dual_lshlrev_b32 v36, 28, v27 :: v_dual_lshlrev_b32 v38, 27, v27
	v_lshlrev_b32_e32 v39, 26, v27
	v_mad_u32 v41, 0x44, v27, v2
	s_delay_alu instid0(VALU_DEP_4)
	v_cmp_gt_i32_e64 s4, 0, v35
	v_not_b32_e32 v34, v35
	v_not_b32_e32 v35, v36
	v_dual_lshlrev_b32 v40, 25, v27 :: v_dual_lshlrev_b32 v27, 24, v27
	v_cmp_gt_i32_e64 s5, 0, v36
	v_cmp_gt_i32_e64 s6, 0, v38
	v_not_b32_e32 v36, v38
	v_not_b32_e32 v38, v39
	v_dual_ashrrev_i32 v34, 31, v34 :: v_dual_bitop2_b32 v3, vcc_lo, v3 bitop3:0x14
	v_dual_ashrrev_i32 v35, 31, v35 :: v_dual_bitop2_b32 v30, s3, v30 bitop3:0x14
	v_cmp_gt_i32_e64 s7, 0, v39
	v_not_b32_e32 v39, v40
	v_cmp_gt_i32_e64 s9, 0, v27
	v_not_b32_e32 v27, v27
	v_dual_ashrrev_i32 v36, 31, v36 :: v_dual_ashrrev_i32 v38, 31, v38
	v_xor_b32_e32 v34, s4, v34
	v_xor_b32_e32 v35, s5, v35
	v_bitop3_b32 v3, v3, v30, exec_lo bitop3:0x80
	v_cmp_gt_i32_e64 s8, 0, v40
	v_ashrrev_i32_e32 v30, 31, v39
	v_dual_ashrrev_i32 v27, 31, v27 :: v_dual_bitop2_b32 v36, s6, v36 bitop3:0x14
	v_xor_b32_e32 v38, s7, v38
	v_bitop3_b32 v3, v3, v35, v34 bitop3:0x80
	s_delay_alu instid0(VALU_DEP_4) | instskip(NEXT) | instid1(VALU_DEP_4)
	v_xor_b32_e32 v30, s8, v30
	v_xor_b32_e32 v27, s9, v27
	ds_load_b32 v35, v41 offset:64
	v_bitop3_b32 v3, v3, v38, v36 bitop3:0x80
	; wave barrier
	s_delay_alu instid0(VALU_DEP_1) | instskip(NEXT) | instid1(VALU_DEP_1)
	v_bitop3_b32 v3, v3, v27, v30 bitop3:0x80
	v_mbcnt_lo_u32_b32 v36, v3, 0
	v_cmp_ne_u32_e64 s3, 0, v3
	s_delay_alu instid0(VALU_DEP_2) | instskip(SKIP_1) | instid1(SALU_CYCLE_1)
	v_cmp_eq_u32_e32 vcc_lo, 0, v36
	s_and_b32 s4, s3, vcc_lo
	s_and_saveexec_b32 s3, s4
	s_cbranch_execz .LBB1415_41
; %bb.40:
	s_wait_dscnt 0x0
	v_bcnt_u32_b32 v3, v3, v35
	ds_store_b32 v41, v3 offset:64
.LBB1415_41:
	s_or_b32 exec_lo, exec_lo, s3
	v_cmp_lt_i32_e32 vcc_lo, -1, v9
	; wave barrier
	v_cndmask_b32_e64 v3, -1, 0x80000000, vcc_lo
	s_delay_alu instid0(VALU_DEP_1) | instskip(NEXT) | instid1(VALU_DEP_1)
	v_xor_b32_e32 v27, v3, v9
	v_cmp_ne_u32_e32 vcc_lo, 0x7fffffff, v27
	v_cndmask_b32_e32 v3, 0x80000000, v27, vcc_lo
	s_delay_alu instid0(VALU_DEP_1) | instskip(NEXT) | instid1(VALU_DEP_1)
	v_lshrrev_b32_e32 v3, s20, v3
	v_and_b32_e32 v9, s29, v3
	v_bitop3_b32 v3, v3, 1, s29 bitop3:0x80
	s_delay_alu instid0(VALU_DEP_2) | instskip(NEXT) | instid1(VALU_DEP_2)
	v_lshlrev_b32_e32 v34, 30, v9
	v_add_co_u32 v3, s3, v3, -1
	s_delay_alu instid0(VALU_DEP_1) | instskip(NEXT) | instid1(VALU_DEP_3)
	v_cndmask_b32_e64 v30, 0, 1, s3
	v_cmp_gt_i32_e64 s3, 0, v34
	s_delay_alu instid0(VALU_DEP_2) | instskip(SKIP_1) | instid1(VALU_DEP_1)
	v_cmp_ne_u32_e32 vcc_lo, 0, v30
	v_not_b32_e32 v30, v34
	v_dual_ashrrev_i32 v30, 31, v30 :: v_dual_lshlrev_b32 v38, 29, v9
	v_dual_lshlrev_b32 v39, 28, v9 :: v_dual_lshlrev_b32 v40, 27, v9
	v_lshlrev_b32_e32 v42, 26, v9
	v_mad_u32 v45, 0x44, v9, v2
	s_delay_alu instid0(VALU_DEP_4)
	v_cmp_gt_i32_e64 s4, 0, v38
	v_not_b32_e32 v34, v38
	v_not_b32_e32 v38, v39
	v_dual_lshlrev_b32 v43, 25, v9 :: v_dual_lshlrev_b32 v9, 24, v9
	v_cmp_gt_i32_e64 s5, 0, v39
	v_cmp_gt_i32_e64 s6, 0, v40
	v_not_b32_e32 v39, v40
	v_not_b32_e32 v40, v42
	v_dual_ashrrev_i32 v34, 31, v34 :: v_dual_bitop2_b32 v3, vcc_lo, v3 bitop3:0x14
	s_delay_alu instid0(VALU_DEP_3) | instskip(NEXT) | instid1(VALU_DEP_3)
	v_dual_ashrrev_i32 v38, 31, v38 :: v_dual_ashrrev_i32 v39, 31, v39
	v_dual_ashrrev_i32 v40, 31, v40 :: v_dual_bitop2_b32 v30, s3, v30 bitop3:0x14
	v_cmp_gt_i32_e64 s7, 0, v42
	v_not_b32_e32 v42, v43
	v_cmp_gt_i32_e64 s9, 0, v9
	v_not_b32_e32 v9, v9
	v_xor_b32_e32 v34, s4, v34
	v_xor_b32_e32 v38, s5, v38
	v_bitop3_b32 v3, v3, v30, exec_lo bitop3:0x80
	v_cmp_gt_i32_e64 s8, 0, v43
	v_dual_ashrrev_i32 v30, 31, v42 :: v_dual_bitop2_b32 v39, s6, v39 bitop3:0x14
	v_dual_ashrrev_i32 v9, 31, v9 :: v_dual_bitop2_b32 v40, s7, v40 bitop3:0x14
	s_delay_alu instid0(VALU_DEP_4) | instskip(NEXT) | instid1(VALU_DEP_3)
	v_bitop3_b32 v3, v3, v38, v34 bitop3:0x80
	v_xor_b32_e32 v30, s8, v30
	s_delay_alu instid0(VALU_DEP_3) | instskip(NEXT) | instid1(VALU_DEP_3)
	v_xor_b32_e32 v9, s9, v9
	v_bitop3_b32 v3, v3, v40, v39 bitop3:0x80
	ds_load_b32 v39, v45 offset:64
	; wave barrier
	v_bitop3_b32 v3, v3, v9, v30 bitop3:0x80
	s_delay_alu instid0(VALU_DEP_1) | instskip(SKIP_1) | instid1(VALU_DEP_2)
	v_mbcnt_lo_u32_b32 v40, v3, 0
	v_cmp_ne_u32_e64 s3, 0, v3
	v_cmp_eq_u32_e32 vcc_lo, 0, v40
	s_and_b32 s4, s3, vcc_lo
	s_delay_alu instid0(SALU_CYCLE_1)
	s_and_saveexec_b32 s3, s4
	s_cbranch_execz .LBB1415_43
; %bb.42:
	s_wait_dscnt 0x0
	v_bcnt_u32_b32 v3, v3, v39
	ds_store_b32 v45, v3 offset:64
.LBB1415_43:
	s_or_b32 exec_lo, exec_lo, s3
	v_cmp_lt_i32_e32 vcc_lo, -1, v8
	; wave barrier
	v_cndmask_b32_e64 v3, -1, 0x80000000, vcc_lo
	s_delay_alu instid0(VALU_DEP_1) | instskip(NEXT) | instid1(VALU_DEP_1)
	v_xor_b32_e32 v30, v3, v8
	v_cmp_ne_u32_e32 vcc_lo, 0x7fffffff, v30
	v_cndmask_b32_e32 v3, 0x80000000, v30, vcc_lo
	s_delay_alu instid0(VALU_DEP_1) | instskip(NEXT) | instid1(VALU_DEP_1)
	v_lshrrev_b32_e32 v3, s20, v3
	v_and_b32_e32 v8, s29, v3
	v_bitop3_b32 v3, v3, 1, s29 bitop3:0x80
	s_delay_alu instid0(VALU_DEP_2) | instskip(NEXT) | instid1(VALU_DEP_2)
	v_lshlrev_b32_e32 v34, 30, v8
	v_add_co_u32 v3, s3, v3, -1
	s_delay_alu instid0(VALU_DEP_1) | instskip(NEXT) | instid1(VALU_DEP_3)
	v_cndmask_b32_e64 v9, 0, 1, s3
	v_cmp_gt_i32_e64 s3, 0, v34
	s_delay_alu instid0(VALU_DEP_2) | instskip(SKIP_1) | instid1(VALU_DEP_1)
	v_cmp_ne_u32_e32 vcc_lo, 0, v9
	v_not_b32_e32 v9, v34
	v_dual_ashrrev_i32 v9, 31, v9 :: v_dual_lshlrev_b32 v38, 29, v8
	v_dual_lshlrev_b32 v42, 28, v8 :: v_dual_lshlrev_b32 v43, 27, v8
	v_lshlrev_b32_e32 v44, 26, v8
	v_mad_u32 v48, 0x44, v8, v2
	s_delay_alu instid0(VALU_DEP_4)
	v_cmp_gt_i32_e64 s4, 0, v38
	v_not_b32_e32 v34, v38
	v_not_b32_e32 v38, v42
	v_dual_lshlrev_b32 v46, 25, v8 :: v_dual_lshlrev_b32 v8, 24, v8
	v_cmp_gt_i32_e64 s5, 0, v42
	v_cmp_gt_i32_e64 s6, 0, v43
	v_not_b32_e32 v42, v43
	v_not_b32_e32 v43, v44
	v_dual_ashrrev_i32 v34, 31, v34 :: v_dual_bitop2_b32 v3, vcc_lo, v3 bitop3:0x14
	v_dual_ashrrev_i32 v38, 31, v38 :: v_dual_bitop2_b32 v9, s3, v9 bitop3:0x14
	v_cmp_gt_i32_e64 s7, 0, v44
	v_not_b32_e32 v44, v46
	v_cmp_gt_i32_e64 s9, 0, v8
	v_not_b32_e32 v8, v8
	v_dual_ashrrev_i32 v42, 31, v42 :: v_dual_ashrrev_i32 v43, 31, v43
	v_xor_b32_e32 v34, s4, v34
	s_delay_alu instid0(VALU_DEP_3) | instskip(SKIP_4) | instid1(VALU_DEP_4)
	v_dual_ashrrev_i32 v8, 31, v8 :: v_dual_bitop2_b32 v38, s5, v38 bitop3:0x14
	v_bitop3_b32 v3, v3, v9, exec_lo bitop3:0x80
	v_cmp_gt_i32_e64 s8, 0, v46
	v_dual_ashrrev_i32 v9, 31, v44 :: v_dual_bitop2_b32 v42, s6, v42 bitop3:0x14
	v_xor_b32_e32 v43, s7, v43
	v_bitop3_b32 v3, v3, v38, v34 bitop3:0x80
	v_xor_b32_e32 v8, s9, v8
	s_delay_alu instid0(VALU_DEP_4) | instskip(NEXT) | instid1(VALU_DEP_3)
	v_xor_b32_e32 v9, s8, v9
	v_bitop3_b32 v3, v3, v43, v42 bitop3:0x80
	ds_load_b32 v43, v48 offset:64
	; wave barrier
	v_bitop3_b32 v3, v3, v8, v9 bitop3:0x80
	s_delay_alu instid0(VALU_DEP_1) | instskip(SKIP_1) | instid1(VALU_DEP_2)
	v_mbcnt_lo_u32_b32 v44, v3, 0
	v_cmp_ne_u32_e64 s3, 0, v3
	v_cmp_eq_u32_e32 vcc_lo, 0, v44
	s_and_b32 s4, s3, vcc_lo
	s_delay_alu instid0(SALU_CYCLE_1)
	s_and_saveexec_b32 s3, s4
	s_cbranch_execz .LBB1415_45
; %bb.44:
	s_wait_dscnt 0x0
	v_bcnt_u32_b32 v3, v3, v43
	ds_store_b32 v48, v3 offset:64
.LBB1415_45:
	s_or_b32 exec_lo, exec_lo, s3
	v_cmp_lt_i32_e32 vcc_lo, -1, v7
	; wave barrier
	v_cndmask_b32_e64 v3, -1, 0x80000000, vcc_lo
	s_delay_alu instid0(VALU_DEP_1) | instskip(NEXT) | instid1(VALU_DEP_1)
	v_xor_b32_e32 v34, v3, v7
	v_cmp_ne_u32_e32 vcc_lo, 0x7fffffff, v34
	v_cndmask_b32_e32 v3, 0x80000000, v34, vcc_lo
	s_delay_alu instid0(VALU_DEP_1) | instskip(NEXT) | instid1(VALU_DEP_1)
	v_lshrrev_b32_e32 v3, s20, v3
	v_and_b32_e32 v7, s29, v3
	v_bitop3_b32 v3, v3, 1, s29 bitop3:0x80
	s_delay_alu instid0(VALU_DEP_2) | instskip(NEXT) | instid1(VALU_DEP_2)
	v_lshlrev_b32_e32 v9, 30, v7
	v_add_co_u32 v3, s3, v3, -1
	s_delay_alu instid0(VALU_DEP_1) | instskip(SKIP_1) | instid1(VALU_DEP_4)
	v_cndmask_b32_e64 v8, 0, 1, s3
	v_lshlrev_b32_e32 v38, 29, v7
	v_cmp_gt_i32_e64 s3, 0, v9
	s_delay_alu instid0(VALU_DEP_3) | instskip(SKIP_1) | instid1(VALU_DEP_4)
	v_cmp_ne_u32_e32 vcc_lo, 0, v8
	v_not_b32_e32 v8, v9
	v_not_b32_e32 v9, v38
	v_cmp_gt_i32_e64 s4, 0, v38
	s_delay_alu instid0(VALU_DEP_2) | instskip(SKIP_3) | instid1(VALU_DEP_3)
	v_dual_ashrrev_i32 v8, 31, v8 :: v_dual_ashrrev_i32 v9, 31, v9
	v_dual_lshlrev_b32 v42, 28, v7 :: v_dual_lshlrev_b32 v46, 27, v7
	v_dual_lshlrev_b32 v47, 26, v7 :: v_dual_lshlrev_b32 v49, 25, v7
	v_mad_u32 v51, 0x44, v7, v2
	v_not_b32_e32 v38, v42
	v_lshlrev_b32_e32 v7, 24, v7
	v_cmp_gt_i32_e64 s5, 0, v42
	v_cmp_gt_i32_e64 s6, 0, v46
	v_not_b32_e32 v42, v46
	v_not_b32_e32 v46, v47
	v_dual_ashrrev_i32 v38, 31, v38 :: v_dual_bitop2_b32 v3, vcc_lo, v3 bitop3:0x14
	v_xor_b32_e32 v8, s3, v8
	v_cmp_gt_i32_e64 s7, 0, v47
	v_not_b32_e32 v47, v49
	v_cmp_gt_i32_e64 s9, 0, v7
	v_not_b32_e32 v7, v7
	v_ashrrev_i32_e32 v42, 31, v42
	v_dual_ashrrev_i32 v46, 31, v46 :: v_dual_bitop2_b32 v9, s4, v9 bitop3:0x14
	s_delay_alu instid0(VALU_DEP_3) | instskip(SKIP_4) | instid1(VALU_DEP_4)
	v_dual_ashrrev_i32 v7, 31, v7 :: v_dual_bitop2_b32 v38, s5, v38 bitop3:0x14
	v_bitop3_b32 v3, v3, v8, exec_lo bitop3:0x80
	v_cmp_gt_i32_e64 s8, 0, v49
	v_dual_ashrrev_i32 v8, 31, v47 :: v_dual_bitop2_b32 v42, s6, v42 bitop3:0x14
	v_xor_b32_e32 v46, s7, v46
	v_bitop3_b32 v3, v3, v38, v9 bitop3:0x80
	v_xor_b32_e32 v7, s9, v7
	s_delay_alu instid0(VALU_DEP_4) | instskip(SKIP_2) | instid1(VALU_DEP_1)
	v_xor_b32_e32 v8, s8, v8
	ds_load_b32 v47, v51 offset:64
	v_bitop3_b32 v3, v3, v46, v42 bitop3:0x80
	; wave barrier
	v_bitop3_b32 v3, v3, v7, v8 bitop3:0x80
	s_delay_alu instid0(VALU_DEP_1) | instskip(SKIP_1) | instid1(VALU_DEP_2)
	v_mbcnt_lo_u32_b32 v49, v3, 0
	v_cmp_ne_u32_e64 s3, 0, v3
	v_cmp_eq_u32_e32 vcc_lo, 0, v49
	s_and_b32 s4, s3, vcc_lo
	s_delay_alu instid0(SALU_CYCLE_1)
	s_and_saveexec_b32 s3, s4
	s_cbranch_execz .LBB1415_47
; %bb.46:
	s_wait_dscnt 0x0
	v_bcnt_u32_b32 v3, v3, v47
	ds_store_b32 v51, v3 offset:64
.LBB1415_47:
	s_or_b32 exec_lo, exec_lo, s3
	v_cmp_lt_i32_e32 vcc_lo, -1, v6
	; wave barrier
	v_cndmask_b32_e64 v3, -1, 0x80000000, vcc_lo
	s_delay_alu instid0(VALU_DEP_1) | instskip(NEXT) | instid1(VALU_DEP_1)
	v_xor_b32_e32 v38, v3, v6
	v_cmp_ne_u32_e32 vcc_lo, 0x7fffffff, v38
	v_cndmask_b32_e32 v3, 0x80000000, v38, vcc_lo
	s_delay_alu instid0(VALU_DEP_1) | instskip(NEXT) | instid1(VALU_DEP_1)
	v_lshrrev_b32_e32 v3, s20, v3
	v_and_b32_e32 v6, s29, v3
	v_bitop3_b32 v3, v3, 1, s29 bitop3:0x80
	s_delay_alu instid0(VALU_DEP_2) | instskip(NEXT) | instid1(VALU_DEP_2)
	v_dual_lshlrev_b32 v8, 30, v6 :: v_dual_lshlrev_b32 v9, 29, v6
	v_add_co_u32 v3, s3, v3, -1
	s_delay_alu instid0(VALU_DEP_1) | instskip(SKIP_1) | instid1(VALU_DEP_4)
	v_cndmask_b32_e64 v7, 0, 1, s3
	v_lshlrev_b32_e32 v42, 28, v6
	v_cmp_gt_i32_e64 s3, 0, v8
	v_cmp_gt_i32_e64 s4, 0, v9
	s_delay_alu instid0(VALU_DEP_4) | instskip(SKIP_3) | instid1(VALU_DEP_2)
	v_cmp_ne_u32_e32 vcc_lo, 0, v7
	v_not_b32_e32 v7, v8
	v_not_b32_e32 v8, v9
	;; [unrolled: 1-line block ×3, first 2 shown]
	v_dual_ashrrev_i32 v7, 31, v7 :: v_dual_ashrrev_i32 v8, 31, v8
	s_delay_alu instid0(VALU_DEP_2) | instskip(SKIP_4) | instid1(VALU_DEP_3)
	v_ashrrev_i32_e32 v9, 31, v9
	v_mad_u32 v53, 0x44, v6, v2
	v_dual_lshlrev_b32 v46, 27, v6 :: v_dual_lshlrev_b32 v50, 26, v6
	v_dual_lshlrev_b32 v52, 25, v6 :: v_dual_lshlrev_b32 v6, 24, v6
	v_cmp_gt_i32_e64 s5, 0, v42
	v_cmp_gt_i32_e64 s6, 0, v46
	v_not_b32_e32 v42, v46
	v_not_b32_e32 v46, v50
	v_xor_b32_e32 v3, vcc_lo, v3
	v_xor_b32_e32 v7, s3, v7
	v_cmp_gt_i32_e64 s7, 0, v50
	v_not_b32_e32 v50, v52
	v_cmp_gt_i32_e64 s9, 0, v6
	v_not_b32_e32 v6, v6
	v_ashrrev_i32_e32 v42, 31, v42
	v_dual_ashrrev_i32 v46, 31, v46 :: v_dual_bitop2_b32 v8, s4, v8 bitop3:0x14
	s_delay_alu instid0(VALU_DEP_3)
	v_dual_ashrrev_i32 v6, 31, v6 :: v_dual_bitop2_b32 v9, s5, v9 bitop3:0x14
	v_bitop3_b32 v3, v3, v7, exec_lo bitop3:0x80
	v_cmp_gt_i32_e64 s8, 0, v52
	v_ashrrev_i32_e32 v7, 31, v50
	v_xor_b32_e32 v42, s6, v42
	v_xor_b32_e32 v46, s7, v46
	v_bitop3_b32 v3, v3, v9, v8 bitop3:0x80
	v_xor_b32_e32 v6, s9, v6
	v_xor_b32_e32 v7, s8, v7
	ds_load_b32 v50, v53 offset:64
	v_bitop3_b32 v3, v3, v46, v42 bitop3:0x80
	; wave barrier
	s_delay_alu instid0(VALU_DEP_1) | instskip(NEXT) | instid1(VALU_DEP_1)
	v_bitop3_b32 v3, v3, v6, v7 bitop3:0x80
	v_mbcnt_lo_u32_b32 v52, v3, 0
	v_cmp_ne_u32_e64 s3, 0, v3
	s_delay_alu instid0(VALU_DEP_2) | instskip(SKIP_1) | instid1(SALU_CYCLE_1)
	v_cmp_eq_u32_e32 vcc_lo, 0, v52
	s_and_b32 s4, s3, vcc_lo
	s_and_saveexec_b32 s3, s4
	s_cbranch_execz .LBB1415_49
; %bb.48:
	s_wait_dscnt 0x0
	v_bcnt_u32_b32 v3, v3, v50
	ds_store_b32 v53, v3 offset:64
.LBB1415_49:
	s_or_b32 exec_lo, exec_lo, s3
	v_cmp_lt_i32_e32 vcc_lo, -1, v5
	; wave barrier
	v_cndmask_b32_e64 v3, -1, 0x80000000, vcc_lo
	s_delay_alu instid0(VALU_DEP_1) | instskip(NEXT) | instid1(VALU_DEP_1)
	v_xor_b32_e32 v42, v3, v5
	v_cmp_ne_u32_e32 vcc_lo, 0x7fffffff, v42
	v_cndmask_b32_e32 v3, 0x80000000, v42, vcc_lo
	s_delay_alu instid0(VALU_DEP_1) | instskip(NEXT) | instid1(VALU_DEP_1)
	v_lshrrev_b32_e32 v3, s20, v3
	v_and_b32_e32 v5, s29, v3
	v_bitop3_b32 v3, v3, 1, s29 bitop3:0x80
	s_delay_alu instid0(VALU_DEP_2) | instskip(NEXT) | instid1(VALU_DEP_2)
	v_lshlrev_b32_e32 v7, 30, v5
	v_add_co_u32 v3, s3, v3, -1
	s_delay_alu instid0(VALU_DEP_1) | instskip(NEXT) | instid1(VALU_DEP_1)
	v_cndmask_b32_e64 v6, 0, 1, s3
	v_cmp_ne_u32_e32 vcc_lo, 0, v6
	s_delay_alu instid0(VALU_DEP_4) | instskip(NEXT) | instid1(VALU_DEP_1)
	v_not_b32_e32 v6, v7
	v_dual_ashrrev_i32 v6, 31, v6 :: v_dual_lshlrev_b32 v8, 29, v5
	v_dual_lshlrev_b32 v9, 28, v5 :: v_dual_lshlrev_b32 v46, 27, v5
	v_lshlrev_b32_e32 v54, 26, v5
	v_cmp_gt_i32_e64 s3, 0, v7
	s_delay_alu instid0(VALU_DEP_4)
	v_cmp_gt_i32_e64 s4, 0, v8
	v_not_b32_e32 v7, v8
	v_not_b32_e32 v8, v9
	v_mad_u32 v56, 0x44, v5, v2
	v_dual_lshlrev_b32 v55, 25, v5 :: v_dual_lshlrev_b32 v5, 24, v5
	v_cmp_gt_i32_e64 s5, 0, v9
	v_cmp_gt_i32_e64 s6, 0, v46
	v_not_b32_e32 v9, v46
	v_not_b32_e32 v46, v54
	v_dual_ashrrev_i32 v8, 31, v8 :: v_dual_bitop2_b32 v3, vcc_lo, v3 bitop3:0x14
	v_dual_ashrrev_i32 v7, 31, v7 :: v_dual_bitop2_b32 v6, s3, v6 bitop3:0x14
	v_cmp_gt_i32_e64 s7, 0, v54
	v_not_b32_e32 v54, v55
	v_cmp_gt_i32_e64 s9, 0, v5
	v_not_b32_e32 v5, v5
	v_dual_ashrrev_i32 v9, 31, v9 :: v_dual_ashrrev_i32 v46, 31, v46
	v_xor_b32_e32 v7, s4, v7
	s_delay_alu instid0(VALU_DEP_3) | instskip(SKIP_4) | instid1(VALU_DEP_4)
	v_dual_ashrrev_i32 v5, 31, v5 :: v_dual_bitop2_b32 v8, s5, v8 bitop3:0x14
	v_bitop3_b32 v3, v3, v6, exec_lo bitop3:0x80
	v_cmp_gt_i32_e64 s8, 0, v55
	v_dual_ashrrev_i32 v6, 31, v54 :: v_dual_bitop2_b32 v9, s6, v9 bitop3:0x14
	v_xor_b32_e32 v46, s7, v46
	v_bitop3_b32 v3, v3, v8, v7 bitop3:0x80
	v_xor_b32_e32 v5, s9, v5
	s_delay_alu instid0(VALU_DEP_4) | instskip(SKIP_2) | instid1(VALU_DEP_1)
	v_xor_b32_e32 v6, s8, v6
	ds_load_b32 v54, v56 offset:64
	v_bitop3_b32 v3, v3, v46, v9 bitop3:0x80
	; wave barrier
	v_bitop3_b32 v3, v3, v5, v6 bitop3:0x80
	s_delay_alu instid0(VALU_DEP_1) | instskip(SKIP_1) | instid1(VALU_DEP_2)
	v_mbcnt_lo_u32_b32 v55, v3, 0
	v_cmp_ne_u32_e64 s3, 0, v3
	v_cmp_eq_u32_e32 vcc_lo, 0, v55
	s_and_b32 s4, s3, vcc_lo
	s_delay_alu instid0(SALU_CYCLE_1)
	s_and_saveexec_b32 s3, s4
	s_cbranch_execz .LBB1415_51
; %bb.50:
	s_wait_dscnt 0x0
	v_bcnt_u32_b32 v3, v3, v54
	ds_store_b32 v56, v3 offset:64
.LBB1415_51:
	s_or_b32 exec_lo, exec_lo, s3
	v_cmp_lt_i32_e32 vcc_lo, -1, v4
	; wave barrier
	v_cndmask_b32_e64 v3, -1, 0x80000000, vcc_lo
	s_delay_alu instid0(VALU_DEP_1) | instskip(NEXT) | instid1(VALU_DEP_1)
	v_xor_b32_e32 v46, v3, v4
	v_cmp_ne_u32_e32 vcc_lo, 0x7fffffff, v46
	v_cndmask_b32_e32 v3, 0x80000000, v46, vcc_lo
	s_delay_alu instid0(VALU_DEP_1) | instskip(NEXT) | instid1(VALU_DEP_1)
	v_lshrrev_b32_e32 v3, s20, v3
	v_and_b32_e32 v4, s29, v3
	v_bitop3_b32 v3, v3, 1, s29 bitop3:0x80
	s_delay_alu instid0(VALU_DEP_2) | instskip(NEXT) | instid1(VALU_DEP_2)
	v_mad_u32 v59, 0x44, v4, v2
	v_add_co_u32 v2, s3, v3, -1
	s_delay_alu instid0(VALU_DEP_1) | instskip(SKIP_1) | instid1(VALU_DEP_2)
	v_cndmask_b32_e64 v3, 0, 1, s3
	v_lshlrev_b32_e32 v5, 30, v4
	v_cmp_ne_u32_e32 vcc_lo, 0, v3
	s_delay_alu instid0(VALU_DEP_2) | instskip(NEXT) | instid1(VALU_DEP_1)
	v_not_b32_e32 v3, v5
	v_dual_ashrrev_i32 v3, 31, v3 :: v_dual_lshlrev_b32 v6, 29, v4
	v_dual_lshlrev_b32 v7, 28, v4 :: v_dual_lshlrev_b32 v8, 27, v4
	v_lshlrev_b32_e32 v9, 26, v4
	v_cmp_gt_i32_e64 s3, 0, v5
	s_delay_alu instid0(VALU_DEP_4)
	v_cmp_gt_i32_e64 s4, 0, v6
	v_not_b32_e32 v5, v6
	v_not_b32_e32 v6, v7
	v_dual_lshlrev_b32 v57, 25, v4 :: v_dual_lshlrev_b32 v4, 24, v4
	v_cmp_gt_i32_e64 s5, 0, v7
	v_cmp_gt_i32_e64 s6, 0, v8
	v_not_b32_e32 v7, v8
	v_not_b32_e32 v8, v9
	v_dual_ashrrev_i32 v5, 31, v5 :: v_dual_bitop2_b32 v2, vcc_lo, v2 bitop3:0x14
	v_dual_ashrrev_i32 v6, 31, v6 :: v_dual_bitop2_b32 v3, s3, v3 bitop3:0x14
	v_cmp_gt_i32_e64 s7, 0, v9
	v_not_b32_e32 v9, v57
	v_cmp_gt_i32_e64 s9, 0, v4
	v_not_b32_e32 v4, v4
	v_dual_ashrrev_i32 v7, 31, v7 :: v_dual_ashrrev_i32 v8, 31, v8
	v_xor_b32_e32 v5, s4, v5
	v_xor_b32_e32 v6, s5, v6
	v_bitop3_b32 v2, v2, v3, exec_lo bitop3:0x80
	v_cmp_gt_i32_e64 s8, 0, v57
	v_dual_ashrrev_i32 v3, 31, v9 :: v_dual_ashrrev_i32 v4, 31, v4
	v_xor_b32_e32 v7, s6, v7
	v_xor_b32_e32 v8, s7, v8
	v_bitop3_b32 v2, v2, v6, v5 bitop3:0x80
	s_delay_alu instid0(VALU_DEP_4) | instskip(SKIP_3) | instid1(VALU_DEP_1)
	v_xor_b32_e32 v3, s8, v3
	v_xor_b32_e32 v4, s9, v4
	ds_load_b32 v57, v59 offset:64
	v_bitop3_b32 v2, v2, v8, v7 bitop3:0x80
	; wave barrier
	v_bitop3_b32 v2, v2, v4, v3 bitop3:0x80
	s_delay_alu instid0(VALU_DEP_1) | instskip(SKIP_1) | instid1(VALU_DEP_2)
	v_mbcnt_lo_u32_b32 v58, v2, 0
	v_cmp_ne_u32_e64 s3, 0, v2
	v_cmp_eq_u32_e32 vcc_lo, 0, v58
	s_and_b32 s4, s3, vcc_lo
	s_delay_alu instid0(SALU_CYCLE_1)
	s_and_saveexec_b32 s3, s4
	s_cbranch_execz .LBB1415_53
; %bb.52:
	s_wait_dscnt 0x0
	v_bcnt_u32_b32 v2, v2, v57
	ds_store_b32 v59, v2 offset:64
.LBB1415_53:
	s_or_b32 exec_lo, exec_lo, s3
	; wave barrier
	s_wait_dscnt 0x0
	s_barrier_signal -1
	s_barrier_wait -1
	ds_load_2addr_b32 v[8:9], v10 offset0:16 offset1:17
	ds_load_2addr_b32 v[6:7], v10 offset0:18 offset1:19
	;; [unrolled: 1-line block ×4, first 2 shown]
	ds_load_b32 v60, v10 offset:96
	v_min_u32_e32 v63, 0x1e0, v16
	s_mov_b32 s7, exec_lo
	s_wait_dscnt 0x3
	v_add3_u32 v61, v9, v8, v6
	s_wait_dscnt 0x2
	s_delay_alu instid0(VALU_DEP_1) | instskip(SKIP_1) | instid1(VALU_DEP_1)
	v_add3_u32 v61, v61, v7, v4
	s_wait_dscnt 0x1
	v_add3_u32 v61, v61, v5, v2
	s_wait_dscnt 0x0
	s_delay_alu instid0(VALU_DEP_1) | instskip(SKIP_1) | instid1(VALU_DEP_2)
	v_add3_u32 v60, v61, v3, v60
	v_and_b32_e32 v61, 15, v15
	v_mov_b32_dpp v62, v60 row_shr:1 row_mask:0xf bank_mask:0xf
	s_delay_alu instid0(VALU_DEP_2) | instskip(NEXT) | instid1(VALU_DEP_2)
	v_cmp_eq_u32_e32 vcc_lo, 0, v61
	v_cndmask_b32_e64 v62, v62, 0, vcc_lo
	s_delay_alu instid0(VALU_DEP_1) | instskip(SKIP_3) | instid1(VALU_DEP_4)
	v_add_nc_u32_e32 v60, v62, v60
	v_cmp_lt_u32_e64 s3, 1, v61
	v_cmp_lt_u32_e64 s4, 3, v61
	;; [unrolled: 1-line block ×3, first 2 shown]
	v_mov_b32_dpp v62, v60 row_shr:2 row_mask:0xf bank_mask:0xf
	s_delay_alu instid0(VALU_DEP_1) | instskip(NEXT) | instid1(VALU_DEP_1)
	v_cndmask_b32_e64 v62, 0, v62, s3
	v_add_nc_u32_e32 v60, v60, v62
	s_delay_alu instid0(VALU_DEP_1) | instskip(NEXT) | instid1(VALU_DEP_1)
	v_mov_b32_dpp v62, v60 row_shr:4 row_mask:0xf bank_mask:0xf
	v_cndmask_b32_e64 v62, 0, v62, s4
	s_delay_alu instid0(VALU_DEP_1) | instskip(NEXT) | instid1(VALU_DEP_1)
	v_add_nc_u32_e32 v60, v60, v62
	v_mov_b32_dpp v62, v60 row_shr:8 row_mask:0xf bank_mask:0xf
	s_delay_alu instid0(VALU_DEP_1) | instskip(SKIP_1) | instid1(VALU_DEP_2)
	v_cndmask_b32_e64 v61, 0, v62, s5
	v_bfe_i32 v62, v15, 4, 1
	v_add_nc_u32_e32 v60, v60, v61
	ds_swizzle_b32 v61, v60 offset:swizzle(BROADCAST,32,15)
	s_wait_dscnt 0x0
	v_dual_lshrrev_b32 v61, 5, v14 :: v_dual_bitop2_b32 v62, v62, v61 bitop3:0x40
	s_delay_alu instid0(VALU_DEP_1) | instskip(NEXT) | instid1(VALU_DEP_1)
	v_dual_add_nc_u32 v60, v60, v62 :: v_dual_bitop2_b32 v63, 31, v63 bitop3:0x54
	v_cmpx_eq_u32_e64 v14, v63
; %bb.54:
	s_delay_alu instid0(VALU_DEP_3)
	v_lshlrev_b32_e32 v62, 2, v61
	ds_store_b32 v62, v60
; %bb.55:
	s_or_b32 exec_lo, exec_lo, s7
	s_delay_alu instid0(SALU_CYCLE_1)
	s_mov_b32 s7, exec_lo
	s_wait_dscnt 0x0
	s_barrier_signal -1
	s_barrier_wait -1
	v_cmpx_gt_u32_e32 16, v14
	s_cbranch_execz .LBB1415_57
; %bb.56:
	v_lshlrev_b32_e32 v62, 2, v14
	ds_load_b32 v63, v62
	s_wait_dscnt 0x0
	v_mov_b32_dpp v64, v63 row_shr:1 row_mask:0xf bank_mask:0xf
	s_delay_alu instid0(VALU_DEP_1) | instskip(NEXT) | instid1(VALU_DEP_1)
	v_cndmask_b32_e64 v64, v64, 0, vcc_lo
	v_add_nc_u32_e32 v63, v64, v63
	s_delay_alu instid0(VALU_DEP_1) | instskip(NEXT) | instid1(VALU_DEP_1)
	v_mov_b32_dpp v64, v63 row_shr:2 row_mask:0xf bank_mask:0xf
	v_cndmask_b32_e64 v64, 0, v64, s3
	s_delay_alu instid0(VALU_DEP_1) | instskip(NEXT) | instid1(VALU_DEP_1)
	v_add_nc_u32_e32 v63, v63, v64
	v_mov_b32_dpp v64, v63 row_shr:4 row_mask:0xf bank_mask:0xf
	s_delay_alu instid0(VALU_DEP_1) | instskip(NEXT) | instid1(VALU_DEP_1)
	v_cndmask_b32_e64 v64, 0, v64, s4
	v_add_nc_u32_e32 v63, v63, v64
	s_delay_alu instid0(VALU_DEP_1) | instskip(NEXT) | instid1(VALU_DEP_1)
	v_mov_b32_dpp v64, v63 row_shr:8 row_mask:0xf bank_mask:0xf
	v_cndmask_b32_e64 v64, 0, v64, s5
	s_delay_alu instid0(VALU_DEP_1)
	v_add_nc_u32_e32 v63, v63, v64
	ds_store_b32 v62, v63
.LBB1415_57:
	s_or_b32 exec_lo, exec_lo, s7
	v_mov_b32_e32 v62, 0
	s_mov_b32 s3, exec_lo
	s_wait_dscnt 0x0
	s_barrier_signal -1
	s_barrier_wait -1
	v_cmpx_lt_u32_e32 31, v14
; %bb.58:
	v_lshl_add_u32 v61, v61, 2, -4
	ds_load_b32 v62, v61
; %bb.59:
	s_or_b32 exec_lo, exec_lo, s3
	v_sub_co_u32 v61, vcc_lo, v15, 1
	s_wait_dscnt 0x0
	v_add_nc_u32_e32 v60, v62, v60
	s_delay_alu instid0(VALU_DEP_2) | instskip(NEXT) | instid1(VALU_DEP_1)
	v_cmp_gt_i32_e64 s3, 0, v61
	v_cndmask_b32_e64 v61, v61, v15, s3
	v_cmp_lt_u32_e64 s3, 0xff, v14
	s_delay_alu instid0(VALU_DEP_2) | instskip(SKIP_4) | instid1(VALU_DEP_2)
	v_lshlrev_b32_e32 v61, 2, v61
	ds_bpermute_b32 v60, v61, v60
	s_wait_dscnt 0x0
	v_cndmask_b32_e32 v60, v60, v62, vcc_lo
	v_cmp_gt_u32_e32 vcc_lo, 0x100, v14
	v_cndmask_b32_e64 v60, v60, 0, s2
	s_delay_alu instid0(VALU_DEP_1) | instskip(NEXT) | instid1(VALU_DEP_1)
	v_add_nc_u32_e32 v8, v60, v8
	v_add_nc_u32_e32 v9, v8, v9
	s_delay_alu instid0(VALU_DEP_1) | instskip(NEXT) | instid1(VALU_DEP_1)
	v_add_nc_u32_e32 v6, v9, v6
	v_add_nc_u32_e32 v7, v6, v7
	;; [unrolled: 3-line block ×4, first 2 shown]
	ds_store_2addr_b32 v10, v60, v8 offset0:16 offset1:17
	ds_store_2addr_b32 v10, v9, v6 offset0:18 offset1:19
	;; [unrolled: 1-line block ×4, first 2 shown]
	ds_store_b32 v10, v3 offset:96
	s_wait_dscnt 0x0
	s_barrier_signal -1
	s_barrier_wait -1
	ds_load_b32 v63, v11 offset:64
	ds_load_b32 v60, v12 offset:64
	ds_load_b32 v61, v13 offset:64
	ds_load_b32 v62, v33 offset:64
	ds_load_b32 v37, v37 offset:64
	ds_load_b32 v33, v41 offset:64
	ds_load_b32 v41, v45 offset:64
	ds_load_b32 v45, v48 offset:64
	ds_load_b32 v48, v51 offset:64
	ds_load_b32 v51, v53 offset:64
	ds_load_b32 v53, v56 offset:64
	ds_load_b32 v56, v59 offset:64
	v_mov_b64_e32 v[2:3], 0
                                        ; implicit-def: $vgpr4
	s_and_saveexec_b32 s5, vcc_lo
	s_cbranch_execz .LBB1415_63
; %bb.60:
	v_mul_u32_u24_e32 v2, 0x44, v14
	v_dual_mov_b32 v3, 0x1800 :: v_dual_add_nc_u32 v4, 1, v14
	s_mov_b32 s6, exec_lo
	ds_load_b32 v2, v2 offset:64
	v_cmpx_ne_u32_e32 0x100, v4
; %bb.61:
	v_mul_u32_u24_e32 v3, 0x44, v4
	ds_load_b32 v3, v3 offset:64
; %bb.62:
	s_or_b32 exec_lo, exec_lo, s6
	s_wait_dscnt 0x0
	v_dual_mov_b32 v3, 0 :: v_dual_sub_nc_u32 v4, v3, v2
.LBB1415_63:
	s_or_b32 exec_lo, exec_lo, s5
	v_dual_mov_b32 v7, 0 :: v_dual_lshlrev_b32 v5, 3, v14
	s_wait_dscnt 0x0
	s_barrier_signal -1
	s_barrier_wait -1
	s_and_saveexec_b32 s4, vcc_lo
	s_cbranch_execz .LBB1415_73
; %bb.64:
	v_lshl_add_u32 v6, s23, 8, v14
	v_dual_mov_b32 v10, 0 :: v_dual_bitop2_b32 v11, 2.0, v4 bitop3:0x54
	s_mov_b32 s5, 0
	s_mov_b32 s6, s23
	s_delay_alu instid0(VALU_DEP_2)
	v_lshl_add_u64 v[8:9], v[6:7], 2, s[10:11]
	global_store_b32 v6, v11, s[10:11] scale_offset scope:SCOPE_DEV
                                        ; implicit-def: $sgpr7
	s_branch .LBB1415_67
.LBB1415_65:                            ;   in Loop: Header=BB1415_67 Depth=1
	s_or_b32 exec_lo, exec_lo, s8
.LBB1415_66:                            ;   in Loop: Header=BB1415_67 Depth=1
	s_delay_alu instid0(SALU_CYCLE_1) | instskip(SKIP_2) | instid1(VALU_DEP_2)
	s_or_b32 exec_lo, exec_lo, s7
	v_and_b32_e32 v6, 0x3fffffff, v11
	v_cmp_gt_i32_e64 s7, -2.0, v11
	v_add_nc_u32_e32 v10, v6, v10
	s_and_b32 s8, exec_lo, s7
	s_delay_alu instid0(SALU_CYCLE_1) | instskip(NEXT) | instid1(SALU_CYCLE_1)
	s_or_b32 s5, s8, s5
	s_and_not1_b32 exec_lo, exec_lo, s5
	s_cbranch_execz .LBB1415_72
.LBB1415_67:                            ; =>This Loop Header: Depth=1
                                        ;     Child Loop BB1415_70 Depth 2
	s_or_b32 s7, s7, exec_lo
	s_cmp_eq_u32 s6, 0
	s_cbranch_scc1 .LBB1415_71
; %bb.68:                               ;   in Loop: Header=BB1415_67 Depth=1
	s_add_co_i32 s6, s6, -1
	s_mov_b32 s7, exec_lo
	s_wait_xcnt 0x0
	v_lshl_or_b32 v6, s6, 8, v14
	global_load_b32 v11, v6, s[10:11] scale_offset scope:SCOPE_DEV
	s_wait_loadcnt 0x0
	v_cmpx_gt_u32_e32 2.0, v11
	s_cbranch_execz .LBB1415_66
; %bb.69:                               ;   in Loop: Header=BB1415_67 Depth=1
	v_lshl_add_u64 v[12:13], v[6:7], 2, s[10:11]
	s_mov_b32 s8, 0
.LBB1415_70:                            ;   Parent Loop BB1415_67 Depth=1
                                        ; =>  This Inner Loop Header: Depth=2
	global_load_b32 v11, v[12:13], off scope:SCOPE_DEV
	s_wait_loadcnt 0x0
	v_cmp_lt_u32_e32 vcc_lo, 0x3fffffff, v11
	s_or_b32 s8, vcc_lo, s8
	s_wait_xcnt 0x0
	s_and_not1_b32 exec_lo, exec_lo, s8
	s_cbranch_execnz .LBB1415_70
	s_branch .LBB1415_65
.LBB1415_71:                            ;   in Loop: Header=BB1415_67 Depth=1
                                        ; implicit-def: $sgpr6
	s_and_b32 s8, exec_lo, s7
	s_delay_alu instid0(SALU_CYCLE_1)
	s_or_b32 s5, s8, s5
	s_wait_xcnt 0x0
	s_and_not1_b32 exec_lo, exec_lo, s5
	s_cbranch_execnz .LBB1415_67
.LBB1415_72:
	s_or_b32 exec_lo, exec_lo, s5
	v_dual_mov_b32 v11, 0 :: v_dual_add_nc_u32 v6, v10, v4
	s_delay_alu instid0(VALU_DEP_1) | instskip(SKIP_4) | instid1(VALU_DEP_1)
	v_or_b32_e32 v6, 0x80000000, v6
	global_store_b32 v[8:9], v6, off scope:SCOPE_DEV
	global_load_b64 v[6:7], v14, s[12:13] scale_offset
	v_sub_nc_u64_e32 v[8:9], v[10:11], v[2:3]
	s_wait_loadcnt 0x0
	v_add_nc_u64_e32 v[6:7], v[8:9], v[6:7]
	ds_store_b64 v5, v[6:7]
.LBB1415_73:
	s_wait_xcnt 0x0
	s_or_b32 exec_lo, exec_lo, s4
	v_dual_lshlrev_b32 v6, 2, v14 :: v_dual_add_nc_u32 v8, v63, v20
	v_mov_b32_e32 v7, 0
	v_add3_u32 v10, v55, v53, v54
	v_add3_u32 v9, v58, v56, v57
	s_delay_alu instid0(VALU_DEP_4)
	v_sub_nc_u32_e32 v53, 0, v6
	v_add3_u32 v11, v52, v51, v50
	v_add_nc_u64_e32 v[6:7], s[18:19], v[6:7]
	v_add3_u32 v12, v49, v48, v47
	v_add3_u32 v13, v44, v45, v43
	;; [unrolled: 1-line block ×6, first 2 shown]
	v_add_nc_u64_e32 v[6:7], 0x3800, v[6:7]
	v_add3_u32 v25, v26, v61, v25
	v_add3_u32 v22, v23, v60, v22
	v_add_nc_u32_e32 v23, 0xe00, v14
	v_add_nc_u32_e32 v26, v5, v53
	s_mov_b32 s4, 0
	s_mov_b32 s5, -1
	s_branch .LBB1415_75
.LBB1415_74:                            ;   in Loop: Header=BB1415_75 Depth=1
	s_wait_xcnt 0x0
	s_or_b32 exec_lo, exec_lo, s6
	v_add_nc_u64_e32 v[6:7], 0x4000, v[6:7]
	v_add_nc_u32_e32 v23, 0x1000, v23
	s_xor_b32 s5, s5, -1
	s_addk_co_i32 s4, 0xf000
	s_and_b32 vcc_lo, exec_lo, s5
	s_mov_b32 s5, 0
	s_wait_storecnt 0x0
	s_barrier_signal -1
	s_barrier_wait -1
	s_cbranch_vccnz .LBB1415_91
.LBB1415_75:                            ; =>This Inner Loop Header: Depth=1
	v_add_min_u32_e64 v29, v8, s4, 0x1000
	v_add_min_u32_e64 v32, v22, s4, 0x1000
	;; [unrolled: 1-line block ×5, first 2 shown]
	s_delay_alu instid0(VALU_DEP_4) | instskip(NEXT) | instid1(VALU_DEP_4)
	v_dual_lshlrev_b32 v29, 2, v29 :: v_dual_lshlrev_b32 v32, 2, v32
	v_lshlrev_b32_e32 v35, 2, v35
	v_add_min_u32_e64 v39, v33, s4, 0x1000
	s_mov_b32 s6, exec_lo
	ds_store_b32 v29, v1 offset:2048
	ds_store_b32 v32, v17 offset:2048
	v_add_min_u32_e64 v29, v20, s4, 0x1000
	v_lshlrev_b32_e32 v32, 2, v36
	ds_store_b32 v35, v18 offset:2048
	v_dual_lshlrev_b32 v35, 2, v37 :: v_dual_lshlrev_b32 v36, 2, v39
	v_add_min_u32_e64 v37, v13, s4, 0x1000
	v_lshlrev_b32_e32 v29, 2, v29
	ds_store_b32 v32, v19 offset:2048
	ds_store_b32 v35, v21 offset:2048
	;; [unrolled: 1-line block ×4, first 2 shown]
	v_add_min_u32_e64 v32, v12, s4, 0x1000
	v_add_min_u32_e64 v35, v11, s4, 0x1000
	;; [unrolled: 1-line block ×3, first 2 shown]
	v_lshlrev_b32_e32 v29, 2, v37
	v_add_min_u32_e64 v37, v9, s4, 0x1000
	ds_store_b32 v29, v30 offset:2048
	v_dual_lshlrev_b32 v29, 2, v32 :: v_dual_lshlrev_b32 v32, 2, v35
	v_dual_lshlrev_b32 v35, 2, v36 :: v_dual_lshlrev_b32 v36, 2, v37
	v_add_nc_u32_e32 v37, 0xfffff200, v23
	ds_store_b32 v29, v34 offset:2048
	ds_store_b32 v32, v38 offset:2048
	ds_store_b32 v35, v42 offset:2048
	ds_store_b32 v36, v46 offset:2048
	s_wait_storecnt_dscnt 0x0
	s_barrier_signal -1
	s_barrier_wait -1
	v_cmpx_gt_u32_e64 s22, v37
	s_cbranch_execz .LBB1415_77
; %bb.76:                               ;   in Loop: Header=BB1415_75 Depth=1
	ds_load_b32 v29, v26 offset:2048
	s_wait_dscnt 0x0
	v_cmp_ne_u32_e32 vcc_lo, 0x7fffffff, v29
	v_cndmask_b32_e32 v32, 0x80000000, v29, vcc_lo
	v_cmp_lt_i32_e32 vcc_lo, -1, v29
	s_delay_alu instid0(VALU_DEP_2) | instskip(NEXT) | instid1(VALU_DEP_1)
	v_lshrrev_b32_e32 v32, s20, v32
	v_and_b32_e32 v32, s29, v32
	s_delay_alu instid0(VALU_DEP_1) | instskip(SKIP_2) | instid1(VALU_DEP_1)
	v_lshlrev_b32_e32 v32, 3, v32
	ds_load_b64 v[36:37], v32
	v_cndmask_b32_e64 v32, 0x80000000, -1, vcc_lo
	v_xor_b32_e32 v29, v32, v29
	s_wait_dscnt 0x0
	v_lshl_add_u64 v[36:37], v[36:37], 2, v[6:7]
	global_store_b32 v[36:37], v29, off offset:-14336
.LBB1415_77:                            ;   in Loop: Header=BB1415_75 Depth=1
	s_wait_xcnt 0x0
	s_or_b32 exec_lo, exec_lo, s6
	v_add_nc_u32_e32 v29, 0xfffff400, v23
	s_mov_b32 s6, exec_lo
	s_delay_alu instid0(VALU_DEP_1)
	v_cmpx_gt_u32_e64 s22, v29
	s_cbranch_execz .LBB1415_79
; %bb.78:                               ;   in Loop: Header=BB1415_75 Depth=1
	ds_load_b32 v29, v26 offset:4096
	s_wait_dscnt 0x0
	v_cmp_ne_u32_e32 vcc_lo, 0x7fffffff, v29
	v_cndmask_b32_e32 v32, 0x80000000, v29, vcc_lo
	v_cmp_lt_i32_e32 vcc_lo, -1, v29
	s_delay_alu instid0(VALU_DEP_2) | instskip(NEXT) | instid1(VALU_DEP_1)
	v_lshrrev_b32_e32 v32, s20, v32
	v_and_b32_e32 v32, s29, v32
	s_delay_alu instid0(VALU_DEP_1) | instskip(SKIP_2) | instid1(VALU_DEP_1)
	v_lshlrev_b32_e32 v32, 3, v32
	ds_load_b64 v[36:37], v32
	v_cndmask_b32_e64 v32, 0x80000000, -1, vcc_lo
	v_xor_b32_e32 v29, v32, v29
	s_wait_dscnt 0x0
	v_lshl_add_u64 v[36:37], v[36:37], 2, v[6:7]
	global_store_b32 v[36:37], v29, off offset:-12288
.LBB1415_79:                            ;   in Loop: Header=BB1415_75 Depth=1
	s_wait_xcnt 0x0
	s_or_b32 exec_lo, exec_lo, s6
	v_add_nc_u32_e32 v29, 0xfffff600, v23
	s_mov_b32 s6, exec_lo
	s_delay_alu instid0(VALU_DEP_1)
	;; [unrolled: 25-line block ×6, first 2 shown]
	v_cmpx_gt_u32_e64 s22, v29
	s_cbranch_execz .LBB1415_89
; %bb.88:                               ;   in Loop: Header=BB1415_75 Depth=1
	ds_load_b32 v29, v26 offset:14336
	s_wait_dscnt 0x0
	v_cmp_ne_u32_e32 vcc_lo, 0x7fffffff, v29
	v_cndmask_b32_e32 v32, 0x80000000, v29, vcc_lo
	v_cmp_lt_i32_e32 vcc_lo, -1, v29
	s_delay_alu instid0(VALU_DEP_2) | instskip(NEXT) | instid1(VALU_DEP_1)
	v_lshrrev_b32_e32 v32, s20, v32
	v_and_b32_e32 v32, s29, v32
	s_delay_alu instid0(VALU_DEP_1) | instskip(SKIP_2) | instid1(VALU_DEP_1)
	v_lshlrev_b32_e32 v32, 3, v32
	ds_load_b64 v[36:37], v32
	v_cndmask_b32_e64 v32, 0x80000000, -1, vcc_lo
	v_xor_b32_e32 v29, v32, v29
	s_wait_dscnt 0x0
	v_lshl_add_u64 v[36:37], v[36:37], 2, v[6:7]
	global_store_b32 v[36:37], v29, off offset:-2048
.LBB1415_89:                            ;   in Loop: Header=BB1415_75 Depth=1
	s_wait_xcnt 0x0
	s_or_b32 exec_lo, exec_lo, s6
	s_delay_alu instid0(SALU_CYCLE_1)
	s_mov_b32 s6, exec_lo
	v_cmpx_gt_u32_e64 s22, v23
	s_cbranch_execz .LBB1415_74
; %bb.90:                               ;   in Loop: Header=BB1415_75 Depth=1
	ds_load_b32 v29, v26 offset:16384
	s_wait_dscnt 0x0
	v_cmp_ne_u32_e32 vcc_lo, 0x7fffffff, v29
	v_cndmask_b32_e32 v32, 0x80000000, v29, vcc_lo
	v_cmp_lt_i32_e32 vcc_lo, -1, v29
	s_delay_alu instid0(VALU_DEP_2) | instskip(NEXT) | instid1(VALU_DEP_1)
	v_lshrrev_b32_e32 v32, s20, v32
	v_and_b32_e32 v32, s29, v32
	s_delay_alu instid0(VALU_DEP_1) | instskip(SKIP_2) | instid1(VALU_DEP_1)
	v_lshlrev_b32_e32 v32, 3, v32
	ds_load_b64 v[36:37], v32
	v_cndmask_b32_e64 v32, 0x80000000, -1, vcc_lo
	v_xor_b32_e32 v29, v32, v29
	s_wait_dscnt 0x0
	v_lshl_add_u64 v[36:37], v[36:37], 2, v[6:7]
	global_store_b32 v[36:37], v29, off
	s_branch .LBB1415_74
.LBB1415_91:
	s_add_co_i32 s25, s25, -1
	s_delay_alu instid0(SALU_CYCLE_1) | instskip(SKIP_2) | instid1(SALU_CYCLE_1)
	s_cmp_eq_u32 s23, s25
	s_cselect_b32 s4, -1, 0
	s_xor_b32 s3, s3, -1
	s_and_b32 s4, s3, s4
	s_delay_alu instid0(SALU_CYCLE_1)
	s_and_saveexec_b32 s3, s4
	s_cbranch_execz .LBB1415_93
; %bb.92:
	ds_load_b64 v[6:7], v5
	v_mov_b32_e32 v5, 0
	s_delay_alu instid0(VALU_DEP_1) | instskip(SKIP_1) | instid1(VALU_DEP_1)
	v_add_nc_u64_e32 v[2:3], v[2:3], v[4:5]
	s_wait_dscnt 0x0
	v_add_nc_u64_e32 v[2:3], v[2:3], v[6:7]
	global_store_b64 v14, v[2:3], s[14:15] scale_offset
.LBB1415_93:
	s_wait_xcnt 0x0
	s_or_b32 exec_lo, exec_lo, s3
	s_mov_b32 s4, 0
.LBB1415_94:
	s_delay_alu instid0(SALU_CYCLE_1)
	s_and_b32 vcc_lo, exec_lo, s4
	s_cbranch_vccz .LBB1415_153
; %bb.95:
	s_mov_b32 s25, 0
	v_dual_mov_b32 v11, 0 :: v_dual_lshlrev_b32 v10, 2, v15
	s_lshl_b64 s[4:5], s[24:25], 2
	v_mul_u32_u24_e32 v1, 12, v16
	s_add_nc_u64 s[4:5], s[16:17], s[4:5]
	s_bfe_u32 s3, ttmp6, 0x4000c
	v_add_nc_u64_e32 v[2:3], s[4:5], v[10:11]
	s_add_co_i32 s3, s3, 1
	v_lshlrev_b32_e32 v10, 2, v1
	s_and_b32 s4, ttmp6, 15
	s_mul_i32 s3, ttmp9, s3
	s_delay_alu instid0(SALU_CYCLE_1) | instskip(NEXT) | instid1(VALU_DEP_1)
	s_add_co_i32 s4, s4, s3
	v_add_nc_u64_e32 v[18:19], v[2:3], v[10:11]
	s_cmp_eq_u32 s28, 0
	s_clause 0xb
	global_load_b32 v5, v[18:19], off
	global_load_b32 v12, v[18:19], off offset:128
	global_load_b32 v13, v[18:19], off offset:256
	;; [unrolled: 1-line block ×11, first 2 shown]
	s_load_b32 s8, s[0:1], 0x58
	s_cselect_b32 s3, ttmp9, s4
	s_load_u16 s4, s[0:1], 0x66
	s_wait_kmcnt 0x0
	s_cmp_lt_u32 s3, s8
	s_cselect_b32 s24, 12, 18
	s_lshl_b32 s9, -1, s21
	s_add_nc_u64 s[0:1], s[26:27], s[24:25]
	s_load_u16 s0, s[0:1], 0x0
	s_wait_loadcnt 0xb
	v_cmp_lt_i32_e32 vcc_lo, -1, v5
	v_cndmask_b32_e64 v10, -1, 0x80000000, vcc_lo
	s_delay_alu instid0(VALU_DEP_1) | instskip(SKIP_2) | instid1(VALU_DEP_3)
	v_xor_b32_e32 v17, v10, v5
	v_bfe_u32 v10, v0, 10, 10
	v_bfe_u32 v0, v0, 20, 10
	v_cmp_ne_u32_e32 vcc_lo, 0x7fffffff, v17
	s_delay_alu instid0(VALU_DEP_2) | instskip(SKIP_2) | instid1(VALU_DEP_2)
	v_mad_u32_u24 v0, v0, s4, v10
	v_cndmask_b32_e32 v5, 0x80000000, v17, vcc_lo
	s_wait_kmcnt 0x0
	v_mad_u32 v0, v0, s0, v14
	s_delay_alu instid0(VALU_DEP_2) | instskip(NEXT) | instid1(VALU_DEP_1)
	v_lshrrev_b32_e32 v5, s20, v5
	v_bitop3_b32 v10, v5, 1, s9 bitop3:0x40
	v_bitop3_b32 v19, v5, s9, v5 bitop3:0x30
	s_not_b32 s9, s9
	s_delay_alu instid0(VALU_DEP_4) | instskip(NEXT) | instid1(VALU_DEP_3)
	v_lshrrev_b32_e32 v0, 5, v0
	v_add_co_u32 v5, s0, v10, -1
	s_delay_alu instid0(VALU_DEP_1) | instskip(SKIP_2) | instid1(VALU_DEP_3)
	v_cndmask_b32_e64 v10, 0, 1, s0
	v_dual_lshlrev_b32 v18, 30, v19 :: v_dual_lshlrev_b32 v21, 29, v19
	v_dual_lshlrev_b32 v23, 27, v19 :: v_dual_lshlrev_b32 v22, 28, v19
	v_cmp_ne_u32_e32 vcc_lo, 0, v10
	s_delay_alu instid0(VALU_DEP_3)
	v_not_b32_e32 v10, v18
	v_dual_lshlrev_b32 v24, 26, v19 :: v_dual_lshlrev_b32 v25, 25, v19
	v_lshlrev_b32_e32 v26, 24, v19
	v_cmp_gt_i32_e64 s0, 0, v18
	v_cmp_gt_i32_e64 s1, 0, v21
	v_not_b32_e32 v18, v21
	v_not_b32_e32 v21, v22
	v_ashrrev_i32_e32 v10, 31, v10
	v_cmp_gt_i32_e64 s3, 0, v22
	v_cmp_gt_i32_e64 s4, 0, v23
	v_not_b32_e32 v22, v23
	v_not_b32_e32 v23, v24
	v_dual_ashrrev_i32 v18, 31, v18 :: v_dual_bitop2_b32 v5, vcc_lo, v5 bitop3:0x14
	v_dual_ashrrev_i32 v21, 31, v21 :: v_dual_bitop2_b32 v10, s0, v10 bitop3:0x14
	v_cmp_gt_i32_e64 s5, 0, v24
	v_cmp_gt_i32_e64 s6, 0, v25
	v_not_b32_e32 v24, v25
	v_not_b32_e32 v25, v26
	v_dual_ashrrev_i32 v22, 31, v22 :: v_dual_ashrrev_i32 v23, 31, v23
	v_xor_b32_e32 v18, s1, v18
	v_xor_b32_e32 v21, s3, v21
	v_bitop3_b32 v5, v5, v10, exec_lo bitop3:0x80
	v_cmp_gt_i32_e64 s7, 0, v26
	v_dual_ashrrev_i32 v10, 31, v24 :: v_dual_ashrrev_i32 v24, 31, v25
	v_xor_b32_e32 v22, s4, v22
	v_dual_lshlrev_b32 v0, 2, v0 :: v_dual_bitop2_b32 v23, s5, v23 bitop3:0x14
	v_bitop3_b32 v5, v5, v21, v18 bitop3:0x80
	s_delay_alu instid0(VALU_DEP_4)
	v_xor_b32_e32 v18, s6, v10
	v_xor_b32_e32 v21, s7, v24
	v_mul_u32_u24_e32 v10, 36, v14
	ds_store_2addr_b32 v10, v11, v11 offset0:16 offset1:17
	ds_store_2addr_b32 v10, v11, v11 offset0:18 offset1:19
	;; [unrolled: 1-line block ×4, first 2 shown]
	v_bitop3_b32 v5, v5, v23, v22 bitop3:0x80
	ds_store_b32 v10, v11 offset:96
	v_mad_u32 v11, 0x44, v19, v0
	s_wait_storecnt 0x0
	s_wait_loadcnt_dscnt 0x0
	s_barrier_signal -1
	v_bitop3_b32 v18, v5, v21, v18 bitop3:0x80
	s_barrier_wait -1
	; wave barrier
	s_delay_alu instid0(VALU_DEP_1) | instskip(SKIP_1) | instid1(VALU_DEP_2)
	v_mbcnt_lo_u32_b32 v5, v18, 0
	v_cmp_ne_u32_e64 s0, 0, v18
	v_cmp_eq_u32_e32 vcc_lo, 0, v5
	s_and_b32 s1, s0, vcc_lo
	s_delay_alu instid0(SALU_CYCLE_1)
	s_and_saveexec_b32 s0, s1
; %bb.96:
	v_bcnt_u32_b32 v18, v18, 0
	ds_store_b32 v11, v18 offset:64
; %bb.97:
	s_or_b32 exec_lo, exec_lo, s0
	v_cmp_lt_i32_e32 vcc_lo, -1, v12
	; wave barrier
	v_cndmask_b32_e64 v18, -1, 0x80000000, vcc_lo
	s_delay_alu instid0(VALU_DEP_1) | instskip(NEXT) | instid1(VALU_DEP_1)
	v_xor_b32_e32 v18, v18, v12
	v_cmp_ne_u32_e32 vcc_lo, 0x7fffffff, v18
	v_cndmask_b32_e32 v12, 0x80000000, v18, vcc_lo
	s_delay_alu instid0(VALU_DEP_1) | instskip(NEXT) | instid1(VALU_DEP_1)
	v_lshrrev_b32_e32 v12, s20, v12
	v_bitop3_b32 v21, v12, 1, s9 bitop3:0x80
	v_and_b32_e32 v19, s9, v12
	s_delay_alu instid0(VALU_DEP_2) | instskip(NEXT) | instid1(VALU_DEP_1)
	v_add_co_u32 v21, s0, v21, -1
	v_cndmask_b32_e64 v22, 0, 1, s0
	s_delay_alu instid0(VALU_DEP_3) | instskip(NEXT) | instid1(VALU_DEP_2)
	v_lshlrev_b32_e32 v23, 30, v19
	v_cmp_ne_u32_e32 vcc_lo, 0, v22
	s_delay_alu instid0(VALU_DEP_2) | instskip(SKIP_1) | instid1(VALU_DEP_2)
	v_not_b32_e32 v22, v23
	v_cmp_gt_i32_e64 s0, 0, v23
	v_dual_ashrrev_i32 v22, 31, v22 :: v_dual_lshlrev_b32 v24, 29, v19
	v_dual_lshlrev_b32 v25, 28, v19 :: v_dual_lshlrev_b32 v26, 27, v19
	v_lshlrev_b32_e32 v27, 26, v19
	v_mad_u32 v12, 0x44, v19, v0
	s_delay_alu instid0(VALU_DEP_4)
	v_cmp_gt_i32_e64 s1, 0, v24
	v_not_b32_e32 v23, v24
	v_not_b32_e32 v24, v25
	v_dual_lshlrev_b32 v28, 25, v19 :: v_dual_lshlrev_b32 v19, 24, v19
	v_cmp_gt_i32_e64 s3, 0, v25
	v_cmp_gt_i32_e64 s4, 0, v26
	v_not_b32_e32 v25, v26
	v_not_b32_e32 v26, v27
	v_dual_ashrrev_i32 v23, 31, v23 :: v_dual_bitop2_b32 v21, vcc_lo, v21 bitop3:0x14
	v_dual_ashrrev_i32 v24, 31, v24 :: v_dual_bitop2_b32 v22, s0, v22 bitop3:0x14
	v_cmp_gt_i32_e64 s5, 0, v27
	v_not_b32_e32 v27, v28
	v_cmp_gt_i32_e64 s7, 0, v19
	v_not_b32_e32 v19, v19
	v_dual_ashrrev_i32 v25, 31, v25 :: v_dual_ashrrev_i32 v26, 31, v26
	v_xor_b32_e32 v23, s1, v23
	v_xor_b32_e32 v24, s3, v24
	v_bitop3_b32 v21, v21, v22, exec_lo bitop3:0x80
	v_cmp_gt_i32_e64 s6, 0, v28
	v_ashrrev_i32_e32 v22, 31, v27
	v_dual_ashrrev_i32 v19, 31, v19 :: v_dual_bitop2_b32 v25, s4, v25 bitop3:0x14
	v_xor_b32_e32 v26, s5, v26
	v_bitop3_b32 v21, v21, v24, v23 bitop3:0x80
	s_delay_alu instid0(VALU_DEP_4) | instskip(NEXT) | instid1(VALU_DEP_4)
	v_xor_b32_e32 v23, s6, v22
	v_xor_b32_e32 v19, s7, v19
	ds_load_b32 v22, v12 offset:64
	v_bitop3_b32 v21, v21, v26, v25 bitop3:0x80
	; wave barrier
	s_delay_alu instid0(VALU_DEP_1) | instskip(NEXT) | instid1(VALU_DEP_1)
	v_bitop3_b32 v19, v21, v19, v23 bitop3:0x80
	v_mbcnt_lo_u32_b32 v23, v19, 0
	v_cmp_ne_u32_e64 s0, 0, v19
	s_delay_alu instid0(VALU_DEP_2) | instskip(SKIP_1) | instid1(SALU_CYCLE_1)
	v_cmp_eq_u32_e32 vcc_lo, 0, v23
	s_and_b32 s1, s0, vcc_lo
	s_and_saveexec_b32 s0, s1
	s_cbranch_execz .LBB1415_99
; %bb.98:
	s_wait_dscnt 0x0
	v_bcnt_u32_b32 v19, v19, v22
	ds_store_b32 v12, v19 offset:64
.LBB1415_99:
	s_or_b32 exec_lo, exec_lo, s0
	v_cmp_lt_i32_e32 vcc_lo, -1, v13
	; wave barrier
	v_cndmask_b32_e64 v19, -1, 0x80000000, vcc_lo
	s_delay_alu instid0(VALU_DEP_1) | instskip(NEXT) | instid1(VALU_DEP_1)
	v_xor_b32_e32 v19, v19, v13
	v_cmp_ne_u32_e32 vcc_lo, 0x7fffffff, v19
	v_cndmask_b32_e32 v13, 0x80000000, v19, vcc_lo
	s_delay_alu instid0(VALU_DEP_1) | instskip(NEXT) | instid1(VALU_DEP_1)
	v_lshrrev_b32_e32 v13, s20, v13
	v_bitop3_b32 v24, v13, 1, s9 bitop3:0x80
	v_and_b32_e32 v21, s9, v13
	s_delay_alu instid0(VALU_DEP_2) | instskip(NEXT) | instid1(VALU_DEP_1)
	v_add_co_u32 v24, s0, v24, -1
	v_cndmask_b32_e64 v25, 0, 1, s0
	s_delay_alu instid0(VALU_DEP_3) | instskip(NEXT) | instid1(VALU_DEP_2)
	v_dual_lshlrev_b32 v26, 30, v21 :: v_dual_lshlrev_b32 v27, 29, v21
	v_cmp_ne_u32_e32 vcc_lo, 0, v25
	s_delay_alu instid0(VALU_DEP_2) | instskip(SKIP_1) | instid1(VALU_DEP_4)
	v_cmp_gt_i32_e64 s0, 0, v26
	v_not_b32_e32 v25, v26
	v_not_b32_e32 v26, v27
	s_delay_alu instid0(VALU_DEP_2) | instskip(NEXT) | instid1(VALU_DEP_2)
	v_dual_ashrrev_i32 v25, 31, v25 :: v_dual_bitop2_b32 v24, vcc_lo, v24 bitop3:0x14
	v_dual_ashrrev_i32 v26, 31, v26 :: v_dual_lshlrev_b32 v28, 28, v21
	v_dual_lshlrev_b32 v29, 27, v21 :: v_dual_lshlrev_b32 v30, 26, v21
	v_cmp_gt_i32_e64 s1, 0, v27
	v_mad_u32 v13, 0x44, v21, v0
	s_delay_alu instid0(VALU_DEP_4)
	v_not_b32_e32 v27, v28
	v_dual_lshlrev_b32 v31, 25, v21 :: v_dual_lshlrev_b32 v21, 24, v21
	v_cmp_gt_i32_e64 s3, 0, v28
	v_cmp_gt_i32_e64 s4, 0, v29
	v_not_b32_e32 v28, v29
	v_not_b32_e32 v29, v30
	v_dual_ashrrev_i32 v27, 31, v27 :: v_dual_bitop2_b32 v25, s0, v25 bitop3:0x14
	v_cmp_gt_i32_e64 s5, 0, v30
	v_not_b32_e32 v30, v31
	v_cmp_gt_i32_e64 s7, 0, v21
	v_not_b32_e32 v21, v21
	v_dual_ashrrev_i32 v28, 31, v28 :: v_dual_ashrrev_i32 v29, 31, v29
	v_xor_b32_e32 v26, s1, v26
	v_xor_b32_e32 v27, s3, v27
	v_bitop3_b32 v24, v24, v25, exec_lo bitop3:0x80
	v_cmp_gt_i32_e64 s6, 0, v31
	v_dual_ashrrev_i32 v25, 31, v30 :: v_dual_ashrrev_i32 v21, 31, v21
	v_xor_b32_e32 v28, s4, v28
	v_xor_b32_e32 v29, s5, v29
	v_bitop3_b32 v24, v24, v27, v26 bitop3:0x80
	s_delay_alu instid0(VALU_DEP_4) | instskip(SKIP_3) | instid1(VALU_DEP_1)
	v_xor_b32_e32 v26, s6, v25
	v_xor_b32_e32 v21, s7, v21
	ds_load_b32 v25, v13 offset:64
	v_bitop3_b32 v24, v24, v29, v28 bitop3:0x80
	; wave barrier
	v_bitop3_b32 v21, v24, v21, v26 bitop3:0x80
	s_delay_alu instid0(VALU_DEP_1) | instskip(SKIP_1) | instid1(VALU_DEP_2)
	v_mbcnt_lo_u32_b32 v26, v21, 0
	v_cmp_ne_u32_e64 s0, 0, v21
	v_cmp_eq_u32_e32 vcc_lo, 0, v26
	s_and_b32 s1, s0, vcc_lo
	s_delay_alu instid0(SALU_CYCLE_1)
	s_and_saveexec_b32 s0, s1
	s_cbranch_execz .LBB1415_101
; %bb.100:
	s_wait_dscnt 0x0
	v_bcnt_u32_b32 v21, v21, v25
	ds_store_b32 v13, v21 offset:64
.LBB1415_101:
	s_or_b32 exec_lo, exec_lo, s0
	v_cmp_lt_i32_e32 vcc_lo, -1, v20
	; wave barrier
	v_cndmask_b32_e64 v21, -1, 0x80000000, vcc_lo
	s_delay_alu instid0(VALU_DEP_1) | instskip(NEXT) | instid1(VALU_DEP_1)
	v_xor_b32_e32 v20, v21, v20
	v_cmp_ne_u32_e32 vcc_lo, 0x7fffffff, v20
	v_cndmask_b32_e32 v21, 0x80000000, v20, vcc_lo
	s_delay_alu instid0(VALU_DEP_1) | instskip(NEXT) | instid1(VALU_DEP_1)
	v_lshrrev_b32_e32 v21, s20, v21
	v_and_b32_e32 v24, s9, v21
	v_bitop3_b32 v21, v21, 1, s9 bitop3:0x80
	s_delay_alu instid0(VALU_DEP_2) | instskip(NEXT) | instid1(VALU_DEP_2)
	v_lshlrev_b32_e32 v28, 30, v24
	v_add_co_u32 v21, s0, v21, -1
	s_delay_alu instid0(VALU_DEP_1) | instskip(NEXT) | instid1(VALU_DEP_1)
	v_cndmask_b32_e64 v27, 0, 1, s0
	v_cmp_ne_u32_e32 vcc_lo, 0, v27
	s_delay_alu instid0(VALU_DEP_4) | instskip(NEXT) | instid1(VALU_DEP_1)
	v_not_b32_e32 v27, v28
	v_dual_ashrrev_i32 v27, 31, v27 :: v_dual_bitop2_b32 v21, vcc_lo, v21 bitop3:0x14
	v_dual_lshlrev_b32 v29, 29, v24 :: v_dual_lshlrev_b32 v30, 28, v24
	v_lshlrev_b32_e32 v31, 27, v24
	v_mad_u32 v33, 0x44, v24, v0
	v_dual_lshlrev_b32 v32, 26, v24 :: v_dual_lshlrev_b32 v34, 25, v24
	v_lshlrev_b32_e32 v24, 24, v24
	v_cmp_gt_i32_e64 s0, 0, v28
	v_cmp_gt_i32_e64 s1, 0, v29
	v_not_b32_e32 v28, v29
	v_not_b32_e32 v29, v30
	v_cmp_gt_i32_e64 s3, 0, v30
	v_cmp_gt_i32_e64 s4, 0, v31
	v_not_b32_e32 v30, v31
	v_not_b32_e32 v31, v32
	v_cmp_gt_i32_e64 s7, 0, v24
	v_not_b32_e32 v24, v24
	v_dual_ashrrev_i32 v28, 31, v28 :: v_dual_ashrrev_i32 v29, 31, v29
	v_xor_b32_e32 v27, s0, v27
	v_cmp_gt_i32_e64 s5, 0, v32
	v_not_b32_e32 v32, v34
	v_dual_ashrrev_i32 v30, 31, v30 :: v_dual_ashrrev_i32 v31, 31, v31
	v_xor_b32_e32 v28, s1, v28
	v_dual_ashrrev_i32 v24, 31, v24 :: v_dual_bitop2_b32 v29, s3, v29 bitop3:0x14
	v_bitop3_b32 v21, v21, v27, exec_lo bitop3:0x80
	v_cmp_gt_i32_e64 s6, 0, v34
	v_dual_ashrrev_i32 v27, 31, v32 :: v_dual_bitop2_b32 v30, s4, v30 bitop3:0x14
	v_xor_b32_e32 v31, s5, v31
	s_delay_alu instid0(VALU_DEP_4) | instskip(SKIP_1) | instid1(VALU_DEP_4)
	v_bitop3_b32 v21, v21, v29, v28 bitop3:0x80
	v_xor_b32_e32 v24, s7, v24
	v_xor_b32_e32 v27, s6, v27
	ds_load_b32 v28, v33 offset:64
	v_bitop3_b32 v21, v21, v31, v30 bitop3:0x80
	; wave barrier
	s_delay_alu instid0(VALU_DEP_1) | instskip(NEXT) | instid1(VALU_DEP_1)
	v_bitop3_b32 v21, v21, v24, v27 bitop3:0x80
	v_mbcnt_lo_u32_b32 v29, v21, 0
	v_cmp_ne_u32_e64 s0, 0, v21
	s_delay_alu instid0(VALU_DEP_2) | instskip(SKIP_1) | instid1(SALU_CYCLE_1)
	v_cmp_eq_u32_e32 vcc_lo, 0, v29
	s_and_b32 s1, s0, vcc_lo
	s_and_saveexec_b32 s0, s1
	s_cbranch_execz .LBB1415_103
; %bb.102:
	s_wait_dscnt 0x0
	v_bcnt_u32_b32 v21, v21, v28
	ds_store_b32 v33, v21 offset:64
.LBB1415_103:
	s_or_b32 exec_lo, exec_lo, s0
	v_cmp_lt_i32_e32 vcc_lo, -1, v9
	; wave barrier
	v_cndmask_b32_e64 v21, -1, 0x80000000, vcc_lo
	s_delay_alu instid0(VALU_DEP_1) | instskip(NEXT) | instid1(VALU_DEP_1)
	v_xor_b32_e32 v21, v21, v9
	v_cmp_ne_u32_e32 vcc_lo, 0x7fffffff, v21
	v_cndmask_b32_e32 v9, 0x80000000, v21, vcc_lo
	s_delay_alu instid0(VALU_DEP_1) | instskip(NEXT) | instid1(VALU_DEP_1)
	v_lshrrev_b32_e32 v9, s20, v9
	v_and_b32_e32 v24, s9, v9
	v_bitop3_b32 v9, v9, 1, s9 bitop3:0x80
	s_delay_alu instid0(VALU_DEP_2) | instskip(NEXT) | instid1(VALU_DEP_2)
	v_lshlrev_b32_e32 v30, 30, v24
	v_add_co_u32 v9, s0, v9, -1
	s_delay_alu instid0(VALU_DEP_1) | instskip(NEXT) | instid1(VALU_DEP_3)
	v_cndmask_b32_e64 v27, 0, 1, s0
	v_cmp_gt_i32_e64 s0, 0, v30
	s_delay_alu instid0(VALU_DEP_2) | instskip(SKIP_1) | instid1(VALU_DEP_1)
	v_cmp_ne_u32_e32 vcc_lo, 0, v27
	v_not_b32_e32 v27, v30
	v_dual_ashrrev_i32 v27, 31, v27 :: v_dual_lshlrev_b32 v31, 29, v24
	v_dual_lshlrev_b32 v32, 28, v24 :: v_dual_lshlrev_b32 v34, 27, v24
	v_lshlrev_b32_e32 v35, 26, v24
	v_mad_u32 v37, 0x44, v24, v0
	s_delay_alu instid0(VALU_DEP_4)
	v_cmp_gt_i32_e64 s1, 0, v31
	v_not_b32_e32 v30, v31
	v_not_b32_e32 v31, v32
	v_dual_lshlrev_b32 v36, 25, v24 :: v_dual_lshlrev_b32 v24, 24, v24
	v_cmp_gt_i32_e64 s3, 0, v32
	v_cmp_gt_i32_e64 s4, 0, v34
	v_not_b32_e32 v32, v34
	v_not_b32_e32 v34, v35
	v_dual_ashrrev_i32 v30, 31, v30 :: v_dual_bitop2_b32 v9, vcc_lo, v9 bitop3:0x14
	s_delay_alu instid0(VALU_DEP_3) | instskip(NEXT) | instid1(VALU_DEP_3)
	v_dual_ashrrev_i32 v31, 31, v31 :: v_dual_ashrrev_i32 v32, 31, v32
	v_dual_ashrrev_i32 v34, 31, v34 :: v_dual_bitop2_b32 v27, s0, v27 bitop3:0x14
	v_cmp_gt_i32_e64 s5, 0, v35
	v_not_b32_e32 v35, v36
	v_cmp_gt_i32_e64 s7, 0, v24
	v_not_b32_e32 v24, v24
	v_xor_b32_e32 v30, s1, v30
	v_xor_b32_e32 v31, s3, v31
	v_bitop3_b32 v9, v9, v27, exec_lo bitop3:0x80
	v_cmp_gt_i32_e64 s6, 0, v36
	v_dual_ashrrev_i32 v27, 31, v35 :: v_dual_ashrrev_i32 v24, 31, v24
	v_xor_b32_e32 v32, s4, v32
	v_xor_b32_e32 v34, s5, v34
	v_bitop3_b32 v9, v9, v31, v30 bitop3:0x80
	s_delay_alu instid0(VALU_DEP_4) | instskip(SKIP_3) | instid1(VALU_DEP_1)
	v_xor_b32_e32 v27, s6, v27
	v_xor_b32_e32 v24, s7, v24
	ds_load_b32 v31, v37 offset:64
	v_bitop3_b32 v9, v9, v34, v32 bitop3:0x80
	; wave barrier
	v_bitop3_b32 v9, v9, v24, v27 bitop3:0x80
	s_delay_alu instid0(VALU_DEP_1) | instskip(SKIP_1) | instid1(VALU_DEP_2)
	v_mbcnt_lo_u32_b32 v32, v9, 0
	v_cmp_ne_u32_e64 s0, 0, v9
	v_cmp_eq_u32_e32 vcc_lo, 0, v32
	s_and_b32 s1, s0, vcc_lo
	s_delay_alu instid0(SALU_CYCLE_1)
	s_and_saveexec_b32 s0, s1
	s_cbranch_execz .LBB1415_105
; %bb.104:
	s_wait_dscnt 0x0
	v_bcnt_u32_b32 v9, v9, v31
	ds_store_b32 v37, v9 offset:64
.LBB1415_105:
	s_or_b32 exec_lo, exec_lo, s0
	v_cmp_lt_i32_e32 vcc_lo, -1, v8
	; wave barrier
	v_cndmask_b32_e64 v9, -1, 0x80000000, vcc_lo
	s_delay_alu instid0(VALU_DEP_1) | instskip(NEXT) | instid1(VALU_DEP_1)
	v_xor_b32_e32 v24, v9, v8
	v_cmp_ne_u32_e32 vcc_lo, 0x7fffffff, v24
	v_cndmask_b32_e32 v8, 0x80000000, v24, vcc_lo
	s_delay_alu instid0(VALU_DEP_1) | instskip(NEXT) | instid1(VALU_DEP_1)
	v_lshrrev_b32_e32 v8, s20, v8
	v_and_b32_e32 v9, s9, v8
	v_bitop3_b32 v8, v8, 1, s9 bitop3:0x80
	s_delay_alu instid0(VALU_DEP_2) | instskip(NEXT) | instid1(VALU_DEP_2)
	v_lshlrev_b32_e32 v30, 30, v9
	v_add_co_u32 v8, s0, v8, -1
	s_delay_alu instid0(VALU_DEP_1) | instskip(NEXT) | instid1(VALU_DEP_1)
	v_cndmask_b32_e64 v27, 0, 1, s0
	v_cmp_ne_u32_e32 vcc_lo, 0, v27
	s_delay_alu instid0(VALU_DEP_4) | instskip(NEXT) | instid1(VALU_DEP_1)
	v_not_b32_e32 v27, v30
	v_dual_ashrrev_i32 v27, 31, v27 :: v_dual_lshlrev_b32 v34, 29, v9
	v_dual_lshlrev_b32 v35, 28, v9 :: v_dual_lshlrev_b32 v36, 27, v9
	v_lshlrev_b32_e32 v38, 26, v9
	v_cmp_gt_i32_e64 s0, 0, v30
	s_delay_alu instid0(VALU_DEP_4)
	v_cmp_gt_i32_e64 s1, 0, v34
	v_not_b32_e32 v30, v34
	v_not_b32_e32 v34, v35
	v_mad_u32 v41, 0x44, v9, v0
	v_dual_lshlrev_b32 v39, 25, v9 :: v_dual_lshlrev_b32 v9, 24, v9
	v_cmp_gt_i32_e64 s3, 0, v35
	v_cmp_gt_i32_e64 s4, 0, v36
	v_not_b32_e32 v35, v36
	v_not_b32_e32 v36, v38
	v_dual_ashrrev_i32 v30, 31, v30 :: v_dual_bitop2_b32 v8, vcc_lo, v8 bitop3:0x14
	v_dual_ashrrev_i32 v34, 31, v34 :: v_dual_bitop2_b32 v27, s0, v27 bitop3:0x14
	v_cmp_gt_i32_e64 s5, 0, v38
	v_not_b32_e32 v38, v39
	v_cmp_gt_i32_e64 s7, 0, v9
	v_not_b32_e32 v9, v9
	v_dual_ashrrev_i32 v35, 31, v35 :: v_dual_ashrrev_i32 v36, 31, v36
	v_xor_b32_e32 v30, s1, v30
	v_xor_b32_e32 v34, s3, v34
	v_bitop3_b32 v8, v8, v27, exec_lo bitop3:0x80
	v_cmp_gt_i32_e64 s6, 0, v39
	v_dual_ashrrev_i32 v27, 31, v38 :: v_dual_bitop2_b32 v35, s4, v35 bitop3:0x14
	v_dual_ashrrev_i32 v9, 31, v9 :: v_dual_bitop2_b32 v36, s5, v36 bitop3:0x14
	s_delay_alu instid0(VALU_DEP_4) | instskip(NEXT) | instid1(VALU_DEP_3)
	v_bitop3_b32 v8, v8, v34, v30 bitop3:0x80
	v_xor_b32_e32 v27, s6, v27
	s_delay_alu instid0(VALU_DEP_3) | instskip(NEXT) | instid1(VALU_DEP_3)
	v_xor_b32_e32 v9, s7, v9
	v_bitop3_b32 v8, v8, v36, v35 bitop3:0x80
	ds_load_b32 v35, v41 offset:64
	; wave barrier
	v_bitop3_b32 v8, v8, v9, v27 bitop3:0x80
	s_delay_alu instid0(VALU_DEP_1) | instskip(SKIP_1) | instid1(VALU_DEP_2)
	v_mbcnt_lo_u32_b32 v36, v8, 0
	v_cmp_ne_u32_e64 s0, 0, v8
	v_cmp_eq_u32_e32 vcc_lo, 0, v36
	s_and_b32 s1, s0, vcc_lo
	s_delay_alu instid0(SALU_CYCLE_1)
	s_and_saveexec_b32 s0, s1
	s_cbranch_execz .LBB1415_107
; %bb.106:
	s_wait_dscnt 0x0
	v_bcnt_u32_b32 v8, v8, v35
	ds_store_b32 v41, v8 offset:64
.LBB1415_107:
	s_or_b32 exec_lo, exec_lo, s0
	v_cmp_lt_i32_e32 vcc_lo, -1, v7
	; wave barrier
	v_cndmask_b32_e64 v8, -1, 0x80000000, vcc_lo
	s_delay_alu instid0(VALU_DEP_1) | instskip(NEXT) | instid1(VALU_DEP_1)
	v_xor_b32_e32 v27, v8, v7
	v_cmp_ne_u32_e32 vcc_lo, 0x7fffffff, v27
	v_cndmask_b32_e32 v7, 0x80000000, v27, vcc_lo
	s_delay_alu instid0(VALU_DEP_1) | instskip(NEXT) | instid1(VALU_DEP_1)
	v_lshrrev_b32_e32 v7, s20, v7
	v_and_b32_e32 v8, s9, v7
	v_bitop3_b32 v7, v7, 1, s9 bitop3:0x80
	s_delay_alu instid0(VALU_DEP_2) | instskip(NEXT) | instid1(VALU_DEP_2)
	v_lshlrev_b32_e32 v30, 30, v8
	v_add_co_u32 v7, s0, v7, -1
	s_delay_alu instid0(VALU_DEP_1) | instskip(NEXT) | instid1(VALU_DEP_3)
	v_cndmask_b32_e64 v9, 0, 1, s0
	v_cmp_gt_i32_e64 s0, 0, v30
	s_delay_alu instid0(VALU_DEP_2) | instskip(SKIP_1) | instid1(VALU_DEP_1)
	v_cmp_ne_u32_e32 vcc_lo, 0, v9
	v_not_b32_e32 v9, v30
	v_dual_ashrrev_i32 v9, 31, v9 :: v_dual_lshlrev_b32 v34, 29, v8
	v_dual_lshlrev_b32 v38, 28, v8 :: v_dual_lshlrev_b32 v39, 27, v8
	v_lshlrev_b32_e32 v40, 26, v8
	v_mad_u32 v44, 0x44, v8, v0
	s_delay_alu instid0(VALU_DEP_4)
	v_cmp_gt_i32_e64 s1, 0, v34
	v_not_b32_e32 v30, v34
	v_not_b32_e32 v34, v38
	v_dual_lshlrev_b32 v42, 25, v8 :: v_dual_lshlrev_b32 v8, 24, v8
	v_cmp_gt_i32_e64 s3, 0, v38
	v_cmp_gt_i32_e64 s4, 0, v39
	v_not_b32_e32 v38, v39
	v_not_b32_e32 v39, v40
	v_dual_ashrrev_i32 v30, 31, v30 :: v_dual_bitop2_b32 v7, vcc_lo, v7 bitop3:0x14
	v_dual_ashrrev_i32 v34, 31, v34 :: v_dual_bitop2_b32 v9, s0, v9 bitop3:0x14
	v_cmp_gt_i32_e64 s5, 0, v40
	v_not_b32_e32 v40, v42
	v_cmp_gt_i32_e64 s7, 0, v8
	v_not_b32_e32 v8, v8
	v_dual_ashrrev_i32 v38, 31, v38 :: v_dual_ashrrev_i32 v39, 31, v39
	v_xor_b32_e32 v30, s1, v30
	s_delay_alu instid0(VALU_DEP_3) | instskip(SKIP_4) | instid1(VALU_DEP_4)
	v_dual_ashrrev_i32 v8, 31, v8 :: v_dual_bitop2_b32 v34, s3, v34 bitop3:0x14
	v_bitop3_b32 v7, v7, v9, exec_lo bitop3:0x80
	v_cmp_gt_i32_e64 s6, 0, v42
	v_dual_ashrrev_i32 v9, 31, v40 :: v_dual_bitop2_b32 v38, s4, v38 bitop3:0x14
	v_xor_b32_e32 v39, s5, v39
	v_bitop3_b32 v7, v7, v34, v30 bitop3:0x80
	v_xor_b32_e32 v8, s7, v8
	s_delay_alu instid0(VALU_DEP_4) | instskip(NEXT) | instid1(VALU_DEP_3)
	v_xor_b32_e32 v9, s6, v9
	v_bitop3_b32 v7, v7, v39, v38 bitop3:0x80
	ds_load_b32 v39, v44 offset:64
	; wave barrier
	v_bitop3_b32 v7, v7, v8, v9 bitop3:0x80
	s_delay_alu instid0(VALU_DEP_1) | instskip(SKIP_1) | instid1(VALU_DEP_2)
	v_mbcnt_lo_u32_b32 v40, v7, 0
	v_cmp_ne_u32_e64 s0, 0, v7
	v_cmp_eq_u32_e32 vcc_lo, 0, v40
	s_and_b32 s1, s0, vcc_lo
	s_delay_alu instid0(SALU_CYCLE_1)
	s_and_saveexec_b32 s0, s1
	s_cbranch_execz .LBB1415_109
; %bb.108:
	s_wait_dscnt 0x0
	v_bcnt_u32_b32 v7, v7, v39
	ds_store_b32 v44, v7 offset:64
.LBB1415_109:
	s_or_b32 exec_lo, exec_lo, s0
	v_cmp_lt_i32_e32 vcc_lo, -1, v6
	; wave barrier
	v_cndmask_b32_e64 v7, -1, 0x80000000, vcc_lo
	s_delay_alu instid0(VALU_DEP_1) | instskip(NEXT) | instid1(VALU_DEP_1)
	v_xor_b32_e32 v30, v7, v6
	v_cmp_ne_u32_e32 vcc_lo, 0x7fffffff, v30
	v_cndmask_b32_e32 v6, 0x80000000, v30, vcc_lo
	s_delay_alu instid0(VALU_DEP_1) | instskip(NEXT) | instid1(VALU_DEP_1)
	v_lshrrev_b32_e32 v6, s20, v6
	v_and_b32_e32 v7, s9, v6
	v_bitop3_b32 v6, v6, 1, s9 bitop3:0x80
	s_delay_alu instid0(VALU_DEP_2) | instskip(NEXT) | instid1(VALU_DEP_2)
	v_lshlrev_b32_e32 v9, 30, v7
	v_add_co_u32 v6, s0, v6, -1
	s_delay_alu instid0(VALU_DEP_1) | instskip(NEXT) | instid1(VALU_DEP_3)
	v_cndmask_b32_e64 v8, 0, 1, s0
	v_cmp_gt_i32_e64 s0, 0, v9
	s_delay_alu instid0(VALU_DEP_2) | instskip(SKIP_1) | instid1(VALU_DEP_1)
	v_cmp_ne_u32_e32 vcc_lo, 0, v8
	v_not_b32_e32 v8, v9
	v_dual_ashrrev_i32 v8, 31, v8 :: v_dual_lshlrev_b32 v34, 29, v7
	v_dual_lshlrev_b32 v38, 28, v7 :: v_dual_lshlrev_b32 v42, 27, v7
	v_lshlrev_b32_e32 v43, 26, v7
	v_mad_u32 v48, 0x44, v7, v0
	s_delay_alu instid0(VALU_DEP_4)
	v_cmp_gt_i32_e64 s1, 0, v34
	v_not_b32_e32 v9, v34
	v_not_b32_e32 v34, v38
	v_dual_lshlrev_b32 v45, 25, v7 :: v_dual_lshlrev_b32 v7, 24, v7
	v_cmp_gt_i32_e64 s3, 0, v38
	v_cmp_gt_i32_e64 s4, 0, v42
	v_not_b32_e32 v38, v42
	v_not_b32_e32 v42, v43
	v_dual_ashrrev_i32 v9, 31, v9 :: v_dual_bitop2_b32 v6, vcc_lo, v6 bitop3:0x14
	v_dual_ashrrev_i32 v34, 31, v34 :: v_dual_bitop2_b32 v8, s0, v8 bitop3:0x14
	v_cmp_gt_i32_e64 s5, 0, v43
	v_not_b32_e32 v43, v45
	v_cmp_gt_i32_e64 s7, 0, v7
	v_not_b32_e32 v7, v7
	v_dual_ashrrev_i32 v38, 31, v38 :: v_dual_bitop2_b32 v9, s1, v9 bitop3:0x14
	v_ashrrev_i32_e32 v42, 31, v42
	s_delay_alu instid0(VALU_DEP_3) | instskip(SKIP_4) | instid1(VALU_DEP_4)
	v_dual_ashrrev_i32 v7, 31, v7 :: v_dual_bitop2_b32 v34, s3, v34 bitop3:0x14
	v_bitop3_b32 v6, v6, v8, exec_lo bitop3:0x80
	v_cmp_gt_i32_e64 s6, 0, v45
	v_dual_ashrrev_i32 v8, 31, v43 :: v_dual_bitop2_b32 v38, s4, v38 bitop3:0x14
	v_xor_b32_e32 v42, s5, v42
	v_bitop3_b32 v6, v6, v34, v9 bitop3:0x80
	v_xor_b32_e32 v7, s7, v7
	s_delay_alu instid0(VALU_DEP_4) | instskip(SKIP_2) | instid1(VALU_DEP_1)
	v_xor_b32_e32 v8, s6, v8
	ds_load_b32 v43, v48 offset:64
	v_bitop3_b32 v6, v6, v42, v38 bitop3:0x80
	; wave barrier
	v_bitop3_b32 v6, v6, v7, v8 bitop3:0x80
	s_delay_alu instid0(VALU_DEP_1) | instskip(SKIP_1) | instid1(VALU_DEP_2)
	v_mbcnt_lo_u32_b32 v45, v6, 0
	v_cmp_ne_u32_e64 s0, 0, v6
	v_cmp_eq_u32_e32 vcc_lo, 0, v45
	s_and_b32 s1, s0, vcc_lo
	s_delay_alu instid0(SALU_CYCLE_1)
	s_and_saveexec_b32 s0, s1
	s_cbranch_execz .LBB1415_111
; %bb.110:
	s_wait_dscnt 0x0
	v_bcnt_u32_b32 v6, v6, v43
	ds_store_b32 v48, v6 offset:64
.LBB1415_111:
	s_or_b32 exec_lo, exec_lo, s0
	v_cmp_lt_i32_e32 vcc_lo, -1, v4
	; wave barrier
	v_cndmask_b32_e64 v6, -1, 0x80000000, vcc_lo
	s_delay_alu instid0(VALU_DEP_1) | instskip(NEXT) | instid1(VALU_DEP_1)
	v_xor_b32_e32 v34, v6, v4
	v_cmp_ne_u32_e32 vcc_lo, 0x7fffffff, v34
	v_cndmask_b32_e32 v4, 0x80000000, v34, vcc_lo
	s_delay_alu instid0(VALU_DEP_1) | instskip(NEXT) | instid1(VALU_DEP_1)
	v_lshrrev_b32_e32 v4, s20, v4
	v_and_b32_e32 v6, s9, v4
	v_bitop3_b32 v4, v4, 1, s9 bitop3:0x80
	s_delay_alu instid0(VALU_DEP_2) | instskip(NEXT) | instid1(VALU_DEP_2)
	v_dual_lshlrev_b32 v8, 30, v6 :: v_dual_lshlrev_b32 v9, 29, v6
	v_add_co_u32 v4, s0, v4, -1
	s_delay_alu instid0(VALU_DEP_1) | instskip(SKIP_1) | instid1(VALU_DEP_4)
	v_cndmask_b32_e64 v7, 0, 1, s0
	v_lshlrev_b32_e32 v38, 28, v6
	v_cmp_gt_i32_e64 s0, 0, v8
	v_cmp_gt_i32_e64 s1, 0, v9
	s_delay_alu instid0(VALU_DEP_4) | instskip(SKIP_3) | instid1(VALU_DEP_3)
	v_cmp_ne_u32_e32 vcc_lo, 0, v7
	v_not_b32_e32 v7, v8
	v_not_b32_e32 v8, v9
	;; [unrolled: 1-line block ×3, first 2 shown]
	v_dual_ashrrev_i32 v7, 31, v7 :: v_dual_bitop2_b32 v4, vcc_lo, v4 bitop3:0x14
	s_delay_alu instid0(VALU_DEP_2)
	v_dual_ashrrev_i32 v8, 31, v8 :: v_dual_ashrrev_i32 v9, 31, v9
	v_dual_lshlrev_b32 v42, 27, v6 :: v_dual_lshlrev_b32 v46, 26, v6
	v_lshlrev_b32_e32 v47, 25, v6
	v_mad_u32 v51, 0x44, v6, v0
	v_lshlrev_b32_e32 v6, 24, v6
	v_cmp_gt_i32_e64 s3, 0, v38
	v_cmp_gt_i32_e64 s4, 0, v42
	v_not_b32_e32 v38, v42
	v_not_b32_e32 v42, v46
	v_xor_b32_e32 v7, s0, v7
	v_cmp_gt_i32_e64 s5, 0, v46
	v_not_b32_e32 v46, v47
	v_cmp_gt_i32_e64 s7, 0, v6
	v_not_b32_e32 v6, v6
	v_dual_ashrrev_i32 v38, 31, v38 :: v_dual_bitop2_b32 v8, s1, v8 bitop3:0x14
	v_dual_ashrrev_i32 v42, 31, v42 :: v_dual_bitop2_b32 v9, s3, v9 bitop3:0x14
	v_bitop3_b32 v4, v4, v7, exec_lo bitop3:0x80
	v_cmp_gt_i32_e64 s6, 0, v47
	v_ashrrev_i32_e32 v7, 31, v46
	v_ashrrev_i32_e32 v6, 31, v6
	v_xor_b32_e32 v38, s4, v38
	v_xor_b32_e32 v42, s5, v42
	v_bitop3_b32 v4, v4, v9, v8 bitop3:0x80
	v_xor_b32_e32 v7, s6, v7
	v_xor_b32_e32 v6, s7, v6
	ds_load_b32 v47, v51 offset:64
	v_bitop3_b32 v4, v4, v42, v38 bitop3:0x80
	; wave barrier
	s_delay_alu instid0(VALU_DEP_1) | instskip(NEXT) | instid1(VALU_DEP_1)
	v_bitop3_b32 v4, v4, v6, v7 bitop3:0x80
	v_mbcnt_lo_u32_b32 v49, v4, 0
	v_cmp_ne_u32_e64 s0, 0, v4
	s_delay_alu instid0(VALU_DEP_2) | instskip(SKIP_1) | instid1(SALU_CYCLE_1)
	v_cmp_eq_u32_e32 vcc_lo, 0, v49
	s_and_b32 s1, s0, vcc_lo
	s_and_saveexec_b32 s0, s1
	s_cbranch_execz .LBB1415_113
; %bb.112:
	s_wait_dscnt 0x0
	v_bcnt_u32_b32 v4, v4, v47
	ds_store_b32 v51, v4 offset:64
.LBB1415_113:
	s_or_b32 exec_lo, exec_lo, s0
	v_cmp_lt_i32_e32 vcc_lo, -1, v3
	; wave barrier
	v_cndmask_b32_e64 v4, -1, 0x80000000, vcc_lo
	s_delay_alu instid0(VALU_DEP_1) | instskip(NEXT) | instid1(VALU_DEP_1)
	v_xor_b32_e32 v38, v4, v3
	v_cmp_ne_u32_e32 vcc_lo, 0x7fffffff, v38
	v_cndmask_b32_e32 v3, 0x80000000, v38, vcc_lo
	s_delay_alu instid0(VALU_DEP_1) | instskip(NEXT) | instid1(VALU_DEP_1)
	v_lshrrev_b32_e32 v3, s20, v3
	v_and_b32_e32 v4, s9, v3
	v_bitop3_b32 v3, v3, 1, s9 bitop3:0x80
	s_delay_alu instid0(VALU_DEP_2) | instskip(NEXT) | instid1(VALU_DEP_2)
	v_lshlrev_b32_e32 v7, 30, v4
	v_add_co_u32 v3, s0, v3, -1
	s_delay_alu instid0(VALU_DEP_1) | instskip(NEXT) | instid1(VALU_DEP_1)
	v_cndmask_b32_e64 v6, 0, 1, s0
	v_cmp_ne_u32_e32 vcc_lo, 0, v6
	s_delay_alu instid0(VALU_DEP_4) | instskip(NEXT) | instid1(VALU_DEP_1)
	v_not_b32_e32 v6, v7
	v_dual_ashrrev_i32 v6, 31, v6 :: v_dual_lshlrev_b32 v8, 29, v4
	v_dual_lshlrev_b32 v9, 28, v4 :: v_dual_lshlrev_b32 v42, 27, v4
	v_lshlrev_b32_e32 v46, 26, v4
	v_cmp_gt_i32_e64 s0, 0, v7
	s_delay_alu instid0(VALU_DEP_4)
	v_cmp_gt_i32_e64 s1, 0, v8
	v_not_b32_e32 v7, v8
	v_not_b32_e32 v8, v9
	v_mad_u32 v53, 0x44, v4, v0
	v_dual_lshlrev_b32 v50, 25, v4 :: v_dual_lshlrev_b32 v4, 24, v4
	v_cmp_gt_i32_e64 s3, 0, v9
	v_cmp_gt_i32_e64 s4, 0, v42
	v_not_b32_e32 v9, v42
	v_not_b32_e32 v42, v46
	v_dual_ashrrev_i32 v8, 31, v8 :: v_dual_bitop2_b32 v3, vcc_lo, v3 bitop3:0x14
	v_dual_ashrrev_i32 v7, 31, v7 :: v_dual_bitop2_b32 v6, s0, v6 bitop3:0x14
	v_cmp_gt_i32_e64 s5, 0, v46
	v_not_b32_e32 v46, v50
	v_cmp_gt_i32_e64 s7, 0, v4
	v_not_b32_e32 v4, v4
	v_dual_ashrrev_i32 v9, 31, v9 :: v_dual_ashrrev_i32 v42, 31, v42
	v_xor_b32_e32 v7, s1, v7
	v_xor_b32_e32 v8, s3, v8
	v_bitop3_b32 v3, v3, v6, exec_lo bitop3:0x80
	v_cmp_gt_i32_e64 s6, 0, v50
	v_dual_ashrrev_i32 v6, 31, v46 :: v_dual_ashrrev_i32 v4, 31, v4
	v_xor_b32_e32 v9, s4, v9
	v_xor_b32_e32 v42, s5, v42
	v_bitop3_b32 v3, v3, v8, v7 bitop3:0x80
	s_delay_alu instid0(VALU_DEP_4) | instskip(SKIP_3) | instid1(VALU_DEP_1)
	v_xor_b32_e32 v6, s6, v6
	v_xor_b32_e32 v4, s7, v4
	ds_load_b32 v50, v53 offset:64
	v_bitop3_b32 v3, v3, v42, v9 bitop3:0x80
	; wave barrier
	v_bitop3_b32 v3, v3, v4, v6 bitop3:0x80
	s_delay_alu instid0(VALU_DEP_1) | instskip(SKIP_1) | instid1(VALU_DEP_2)
	v_mbcnt_lo_u32_b32 v52, v3, 0
	v_cmp_ne_u32_e64 s0, 0, v3
	v_cmp_eq_u32_e32 vcc_lo, 0, v52
	s_and_b32 s1, s0, vcc_lo
	s_delay_alu instid0(SALU_CYCLE_1)
	s_and_saveexec_b32 s0, s1
	s_cbranch_execz .LBB1415_115
; %bb.114:
	s_wait_dscnt 0x0
	v_bcnt_u32_b32 v3, v3, v50
	ds_store_b32 v53, v3 offset:64
.LBB1415_115:
	s_or_b32 exec_lo, exec_lo, s0
	v_cmp_lt_i32_e32 vcc_lo, -1, v2
	; wave barrier
	v_cndmask_b32_e64 v3, -1, 0x80000000, vcc_lo
	s_delay_alu instid0(VALU_DEP_1) | instskip(NEXT) | instid1(VALU_DEP_1)
	v_xor_b32_e32 v42, v3, v2
	v_cmp_ne_u32_e32 vcc_lo, 0x7fffffff, v42
	v_cndmask_b32_e32 v2, 0x80000000, v42, vcc_lo
	s_delay_alu instid0(VALU_DEP_1) | instskip(NEXT) | instid1(VALU_DEP_1)
	v_lshrrev_b32_e32 v2, s20, v2
	v_and_b32_e32 v3, s9, v2
	v_bitop3_b32 v2, v2, 1, s9 bitop3:0x80
	s_delay_alu instid0(VALU_DEP_2) | instskip(NEXT) | instid1(VALU_DEP_2)
	v_lshlrev_b32_e32 v6, 30, v3
	v_add_co_u32 v2, s0, v2, -1
	s_delay_alu instid0(VALU_DEP_1) | instskip(NEXT) | instid1(VALU_DEP_1)
	v_cndmask_b32_e64 v4, 0, 1, s0
	v_cmp_ne_u32_e32 vcc_lo, 0, v4
	s_delay_alu instid0(VALU_DEP_4) | instskip(NEXT) | instid1(VALU_DEP_1)
	v_not_b32_e32 v4, v6
	v_dual_ashrrev_i32 v4, 31, v4 :: v_dual_lshlrev_b32 v7, 29, v3
	v_dual_lshlrev_b32 v8, 28, v3 :: v_dual_lshlrev_b32 v9, 27, v3
	v_lshlrev_b32_e32 v46, 26, v3
	v_cmp_gt_i32_e64 s0, 0, v6
	s_delay_alu instid0(VALU_DEP_4)
	v_cmp_gt_i32_e64 s1, 0, v7
	v_not_b32_e32 v6, v7
	v_not_b32_e32 v7, v8
	v_mad_u32 v56, 0x44, v3, v0
	v_dual_lshlrev_b32 v54, 25, v3 :: v_dual_lshlrev_b32 v3, 24, v3
	v_cmp_gt_i32_e64 s3, 0, v8
	v_cmp_gt_i32_e64 s4, 0, v9
	v_not_b32_e32 v8, v9
	v_not_b32_e32 v9, v46
	v_dual_ashrrev_i32 v7, 31, v7 :: v_dual_bitop2_b32 v2, vcc_lo, v2 bitop3:0x14
	v_dual_ashrrev_i32 v6, 31, v6 :: v_dual_bitop2_b32 v4, s0, v4 bitop3:0x14
	v_cmp_gt_i32_e64 s5, 0, v46
	v_not_b32_e32 v46, v54
	v_cmp_gt_i32_e64 s7, 0, v3
	v_not_b32_e32 v3, v3
	v_dual_ashrrev_i32 v8, 31, v8 :: v_dual_ashrrev_i32 v9, 31, v9
	v_xor_b32_e32 v6, s1, v6
	v_xor_b32_e32 v7, s3, v7
	v_bitop3_b32 v2, v2, v4, exec_lo bitop3:0x80
	v_cmp_gt_i32_e64 s6, 0, v54
	v_dual_ashrrev_i32 v4, 31, v46 :: v_dual_ashrrev_i32 v3, 31, v3
	v_xor_b32_e32 v8, s4, v8
	v_xor_b32_e32 v9, s5, v9
	v_bitop3_b32 v2, v2, v7, v6 bitop3:0x80
	s_delay_alu instid0(VALU_DEP_4) | instskip(SKIP_3) | instid1(VALU_DEP_1)
	v_xor_b32_e32 v4, s6, v4
	v_xor_b32_e32 v3, s7, v3
	ds_load_b32 v54, v56 offset:64
	v_bitop3_b32 v2, v2, v9, v8 bitop3:0x80
	; wave barrier
	v_bitop3_b32 v2, v2, v3, v4 bitop3:0x80
	s_delay_alu instid0(VALU_DEP_1) | instskip(SKIP_1) | instid1(VALU_DEP_2)
	v_mbcnt_lo_u32_b32 v55, v2, 0
	v_cmp_ne_u32_e64 s0, 0, v2
	v_cmp_eq_u32_e32 vcc_lo, 0, v55
	s_and_b32 s1, s0, vcc_lo
	s_delay_alu instid0(SALU_CYCLE_1)
	s_and_saveexec_b32 s0, s1
	s_cbranch_execz .LBB1415_117
; %bb.116:
	s_wait_dscnt 0x0
	v_bcnt_u32_b32 v2, v2, v54
	ds_store_b32 v56, v2 offset:64
.LBB1415_117:
	s_or_b32 exec_lo, exec_lo, s0
	v_cmp_lt_i32_e32 vcc_lo, -1, v1
	; wave barrier
	v_cndmask_b32_e64 v2, -1, 0x80000000, vcc_lo
	s_delay_alu instid0(VALU_DEP_1) | instskip(NEXT) | instid1(VALU_DEP_1)
	v_xor_b32_e32 v46, v2, v1
	v_cmp_ne_u32_e32 vcc_lo, 0x7fffffff, v46
	v_cndmask_b32_e32 v1, 0x80000000, v46, vcc_lo
	s_delay_alu instid0(VALU_DEP_1) | instskip(NEXT) | instid1(VALU_DEP_1)
	v_lshrrev_b32_e32 v1, s20, v1
	v_and_b32_e32 v2, s9, v1
	v_bitop3_b32 v1, v1, 1, s9 bitop3:0x80
	s_delay_alu instid0(VALU_DEP_2) | instskip(NEXT) | instid1(VALU_DEP_2)
	v_mad_u32 v59, 0x44, v2, v0
	v_add_co_u32 v0, s0, v1, -1
	s_delay_alu instid0(VALU_DEP_1) | instskip(SKIP_1) | instid1(VALU_DEP_2)
	v_cndmask_b32_e64 v1, 0, 1, s0
	v_lshlrev_b32_e32 v3, 30, v2
	v_cmp_ne_u32_e32 vcc_lo, 0, v1
	s_delay_alu instid0(VALU_DEP_2)
	v_not_b32_e32 v1, v3
	ds_load_b32 v57, v59 offset:64
	v_dual_ashrrev_i32 v1, 31, v1 :: v_dual_bitop2_b32 v0, vcc_lo, v0 bitop3:0x14
	v_dual_lshlrev_b32 v4, 29, v2 :: v_dual_lshlrev_b32 v6, 28, v2
	v_dual_lshlrev_b32 v7, 27, v2 :: v_dual_lshlrev_b32 v8, 26, v2
	v_lshlrev_b32_e32 v9, 25, v2
	v_cmp_gt_i32_e64 s0, 0, v3
	s_delay_alu instid0(VALU_DEP_4)
	v_cmp_gt_i32_e64 s1, 0, v4
	v_not_b32_e32 v3, v4
	v_not_b32_e32 v4, v6
	v_lshlrev_b32_e32 v2, 24, v2
	v_cmp_gt_i32_e64 s3, 0, v6
	v_cmp_gt_i32_e64 s4, 0, v7
	v_not_b32_e32 v6, v7
	v_not_b32_e32 v7, v8
	v_dual_ashrrev_i32 v3, 31, v3 :: v_dual_bitop2_b32 v1, s0, v1 bitop3:0x14
	v_ashrrev_i32_e32 v4, 31, v4
	v_cmp_gt_i32_e64 s5, 0, v8
	v_not_b32_e32 v8, v9
	v_cmp_gt_i32_e64 s7, 0, v2
	v_not_b32_e32 v2, v2
	v_dual_ashrrev_i32 v6, 31, v6 :: v_dual_ashrrev_i32 v7, 31, v7
	v_xor_b32_e32 v3, s1, v3
	s_delay_alu instid0(VALU_DEP_3) | instskip(SKIP_4) | instid1(VALU_DEP_4)
	v_dual_ashrrev_i32 v2, 31, v2 :: v_dual_bitop2_b32 v4, s3, v4 bitop3:0x14
	v_bitop3_b32 v0, v0, v1, exec_lo bitop3:0x80
	v_cmp_gt_i32_e64 s6, 0, v9
	v_dual_ashrrev_i32 v1, 31, v8 :: v_dual_bitop2_b32 v6, s4, v6 bitop3:0x14
	v_xor_b32_e32 v7, s5, v7
	v_bitop3_b32 v0, v0, v4, v3 bitop3:0x80
	v_xor_b32_e32 v2, s7, v2
	s_delay_alu instid0(VALU_DEP_4) | instskip(NEXT) | instid1(VALU_DEP_3)
	v_xor_b32_e32 v1, s6, v1
	; wave barrier
	v_bitop3_b32 v0, v0, v7, v6 bitop3:0x80
	s_delay_alu instid0(VALU_DEP_1) | instskip(NEXT) | instid1(VALU_DEP_1)
	v_bitop3_b32 v0, v0, v2, v1 bitop3:0x80
	v_mbcnt_lo_u32_b32 v58, v0, 0
	v_cmp_ne_u32_e64 s0, 0, v0
	s_delay_alu instid0(VALU_DEP_2) | instskip(SKIP_1) | instid1(SALU_CYCLE_1)
	v_cmp_eq_u32_e32 vcc_lo, 0, v58
	s_and_b32 s1, s0, vcc_lo
	s_and_saveexec_b32 s0, s1
	s_cbranch_execz .LBB1415_119
; %bb.118:
	s_wait_dscnt 0x0
	v_bcnt_u32_b32 v0, v0, v57
	ds_store_b32 v59, v0 offset:64
.LBB1415_119:
	s_or_b32 exec_lo, exec_lo, s0
	; wave barrier
	s_wait_dscnt 0x0
	s_barrier_signal -1
	s_barrier_wait -1
	ds_load_2addr_b32 v[8:9], v10 offset0:16 offset1:17
	ds_load_2addr_b32 v[6:7], v10 offset0:18 offset1:19
	;; [unrolled: 1-line block ×4, first 2 shown]
	ds_load_b32 v4, v10 offset:96
	v_min_u32_e32 v16, 0x1e0, v16
	s_mov_b32 s5, exec_lo
	s_wait_dscnt 0x3
	v_add3_u32 v60, v9, v8, v6
	s_wait_dscnt 0x2
	s_delay_alu instid0(VALU_DEP_1) | instskip(SKIP_1) | instid1(VALU_DEP_1)
	v_add3_u32 v60, v60, v7, v2
	s_wait_dscnt 0x1
	v_add3_u32 v60, v60, v3, v0
	s_wait_dscnt 0x0
	s_delay_alu instid0(VALU_DEP_1) | instskip(SKIP_1) | instid1(VALU_DEP_2)
	v_add3_u32 v4, v60, v1, v4
	v_and_b32_e32 v60, 15, v15
	v_mov_b32_dpp v61, v4 row_shr:1 row_mask:0xf bank_mask:0xf
	s_delay_alu instid0(VALU_DEP_2) | instskip(NEXT) | instid1(VALU_DEP_2)
	v_cmp_eq_u32_e32 vcc_lo, 0, v60
	v_cndmask_b32_e64 v61, v61, 0, vcc_lo
	s_delay_alu instid0(VALU_DEP_1) | instskip(SKIP_3) | instid1(VALU_DEP_4)
	v_add_nc_u32_e32 v4, v61, v4
	v_cmp_lt_u32_e64 s0, 1, v60
	v_cmp_lt_u32_e64 s1, 3, v60
	v_cmp_lt_u32_e64 s3, 7, v60
	v_mov_b32_dpp v61, v4 row_shr:2 row_mask:0xf bank_mask:0xf
	s_delay_alu instid0(VALU_DEP_1) | instskip(NEXT) | instid1(VALU_DEP_1)
	v_cndmask_b32_e64 v61, 0, v61, s0
	v_add_nc_u32_e32 v4, v4, v61
	s_delay_alu instid0(VALU_DEP_1) | instskip(NEXT) | instid1(VALU_DEP_1)
	v_mov_b32_dpp v61, v4 row_shr:4 row_mask:0xf bank_mask:0xf
	v_cndmask_b32_e64 v61, 0, v61, s1
	s_delay_alu instid0(VALU_DEP_1) | instskip(NEXT) | instid1(VALU_DEP_1)
	v_add_nc_u32_e32 v4, v4, v61
	v_mov_b32_dpp v61, v4 row_shr:8 row_mask:0xf bank_mask:0xf
	s_delay_alu instid0(VALU_DEP_1) | instskip(SKIP_1) | instid1(VALU_DEP_2)
	v_cndmask_b32_e64 v60, 0, v61, s3
	v_bfe_i32 v61, v15, 4, 1
	v_add_nc_u32_e32 v4, v4, v60
	ds_swizzle_b32 v60, v4 offset:swizzle(BROADCAST,32,15)
	s_wait_dscnt 0x0
	v_dual_lshrrev_b32 v60, 5, v14 :: v_dual_bitop2_b32 v61, v61, v60 bitop3:0x40
	s_delay_alu instid0(VALU_DEP_1) | instskip(NEXT) | instid1(VALU_DEP_1)
	v_dual_add_nc_u32 v16, v4, v61 :: v_dual_bitop2_b32 v62, 31, v16 bitop3:0x54
	v_cmpx_eq_u32_e64 v14, v62
; %bb.120:
	s_delay_alu instid0(VALU_DEP_3)
	v_lshlrev_b32_e32 v4, 2, v60
	ds_store_b32 v4, v16
; %bb.121:
	s_or_b32 exec_lo, exec_lo, s5
	v_lshlrev_b32_e32 v4, 2, v14
	s_mov_b32 s5, exec_lo
	s_wait_dscnt 0x0
	s_barrier_signal -1
	s_barrier_wait -1
	v_cmpx_gt_u32_e32 16, v14
	s_cbranch_execz .LBB1415_123
; %bb.122:
	ds_load_b32 v61, v4
	s_wait_dscnt 0x0
	v_mov_b32_dpp v62, v61 row_shr:1 row_mask:0xf bank_mask:0xf
	s_delay_alu instid0(VALU_DEP_1) | instskip(NEXT) | instid1(VALU_DEP_1)
	v_cndmask_b32_e64 v62, v62, 0, vcc_lo
	v_add_nc_u32_e32 v61, v62, v61
	s_delay_alu instid0(VALU_DEP_1) | instskip(NEXT) | instid1(VALU_DEP_1)
	v_mov_b32_dpp v62, v61 row_shr:2 row_mask:0xf bank_mask:0xf
	v_cndmask_b32_e64 v62, 0, v62, s0
	s_delay_alu instid0(VALU_DEP_1) | instskip(NEXT) | instid1(VALU_DEP_1)
	v_add_nc_u32_e32 v61, v61, v62
	v_mov_b32_dpp v62, v61 row_shr:4 row_mask:0xf bank_mask:0xf
	s_delay_alu instid0(VALU_DEP_1) | instskip(NEXT) | instid1(VALU_DEP_1)
	v_cndmask_b32_e64 v62, 0, v62, s1
	v_add_nc_u32_e32 v61, v61, v62
	s_delay_alu instid0(VALU_DEP_1) | instskip(NEXT) | instid1(VALU_DEP_1)
	v_mov_b32_dpp v62, v61 row_shr:8 row_mask:0xf bank_mask:0xf
	v_cndmask_b32_e64 v62, 0, v62, s3
	s_delay_alu instid0(VALU_DEP_1)
	v_add_nc_u32_e32 v61, v61, v62
	ds_store_b32 v4, v61
.LBB1415_123:
	s_or_b32 exec_lo, exec_lo, s5
	v_mov_b32_e32 v61, 0
	s_mov_b32 s0, exec_lo
	s_wait_dscnt 0x0
	s_barrier_signal -1
	s_barrier_wait -1
	v_cmpx_lt_u32_e32 31, v14
; %bb.124:
	v_lshl_add_u32 v60, v60, 2, -4
	ds_load_b32 v61, v60
; %bb.125:
	s_or_b32 exec_lo, exec_lo, s0
	v_sub_co_u32 v60, vcc_lo, v15, 1
	s_wait_dscnt 0x0
	v_add_nc_u32_e32 v16, v61, v16
	s_delay_alu instid0(VALU_DEP_2) | instskip(NEXT) | instid1(VALU_DEP_1)
	v_cmp_gt_i32_e64 s0, 0, v60
	v_cndmask_b32_e64 v15, v60, v15, s0
	v_cmp_lt_u32_e64 s0, 0xff, v14
	s_delay_alu instid0(VALU_DEP_2) | instskip(SKIP_4) | instid1(VALU_DEP_2)
	v_lshlrev_b32_e32 v15, 2, v15
	ds_bpermute_b32 v15, v15, v16
	s_wait_dscnt 0x0
	v_cndmask_b32_e32 v15, v15, v61, vcc_lo
	v_cmp_gt_u32_e32 vcc_lo, 0x100, v14
	v_cndmask_b32_e64 v15, v15, 0, s2
	s_delay_alu instid0(VALU_DEP_1) | instskip(NEXT) | instid1(VALU_DEP_1)
	v_add_nc_u32_e32 v8, v15, v8
	v_add_nc_u32_e32 v9, v8, v9
	s_delay_alu instid0(VALU_DEP_1) | instskip(NEXT) | instid1(VALU_DEP_1)
	v_add_nc_u32_e32 v6, v9, v6
	v_add_nc_u32_e32 v7, v6, v7
	s_delay_alu instid0(VALU_DEP_1) | instskip(NEXT) | instid1(VALU_DEP_1)
	v_add_nc_u32_e32 v2, v7, v2
	v_add_nc_u32_e32 v3, v2, v3
	s_delay_alu instid0(VALU_DEP_1) | instskip(NEXT) | instid1(VALU_DEP_1)
	v_add_nc_u32_e32 v0, v3, v0
	v_add_nc_u32_e32 v1, v0, v1
	ds_store_2addr_b32 v10, v15, v8 offset0:16 offset1:17
	ds_store_2addr_b32 v10, v9, v6 offset0:18 offset1:19
	;; [unrolled: 1-line block ×4, first 2 shown]
	ds_store_b32 v10, v1 offset:96
	s_wait_dscnt 0x0
	s_barrier_signal -1
	s_barrier_wait -1
	ds_load_b32 v62, v11 offset:64
	ds_load_b32 v60, v12 offset:64
	;; [unrolled: 1-line block ×12, first 2 shown]
	v_mov_b64_e32 v[0:1], 0
                                        ; implicit-def: $vgpr2
	s_and_saveexec_b32 s2, vcc_lo
	s_cbranch_execz .LBB1415_129
; %bb.126:
	v_mul_u32_u24_e32 v0, 0x44, v14
	v_dual_mov_b32 v1, 0x1800 :: v_dual_add_nc_u32 v2, 1, v14
	s_mov_b32 s3, exec_lo
	ds_load_b32 v0, v0 offset:64
	v_cmpx_ne_u32_e32 0x100, v2
; %bb.127:
	v_mul_u32_u24_e32 v1, 0x44, v2
	ds_load_b32 v1, v1 offset:64
; %bb.128:
	s_or_b32 exec_lo, exec_lo, s3
	s_wait_dscnt 0x0
	v_dual_mov_b32 v1, 0 :: v_dual_sub_nc_u32 v2, v1, v0
.LBB1415_129:
	s_or_b32 exec_lo, exec_lo, s2
	v_dual_mov_b32 v7, 0 :: v_dual_lshlrev_b32 v3, 3, v14
	s_wait_dscnt 0x0
	s_barrier_signal -1
	s_barrier_wait -1
	s_and_saveexec_b32 s1, vcc_lo
	s_cbranch_execz .LBB1415_139
; %bb.130:
	v_lshl_add_u32 v6, s23, 8, v14
	v_dual_mov_b32 v10, 0 :: v_dual_bitop2_b32 v11, 2.0, v2 bitop3:0x54
	s_mov_b32 s2, 0
	s_mov_b32 s3, s23
	s_delay_alu instid0(VALU_DEP_2)
	v_lshl_add_u64 v[8:9], v[6:7], 2, s[10:11]
	global_store_b32 v6, v11, s[10:11] scale_offset scope:SCOPE_DEV
                                        ; implicit-def: $sgpr4
	s_branch .LBB1415_133
.LBB1415_131:                           ;   in Loop: Header=BB1415_133 Depth=1
	s_or_b32 exec_lo, exec_lo, s5
.LBB1415_132:                           ;   in Loop: Header=BB1415_133 Depth=1
	s_delay_alu instid0(SALU_CYCLE_1) | instskip(SKIP_2) | instid1(VALU_DEP_2)
	s_or_b32 exec_lo, exec_lo, s4
	v_and_b32_e32 v6, 0x3fffffff, v11
	v_cmp_gt_i32_e64 s4, -2.0, v11
	v_add_nc_u32_e32 v10, v6, v10
	s_and_b32 s5, exec_lo, s4
	s_delay_alu instid0(SALU_CYCLE_1) | instskip(NEXT) | instid1(SALU_CYCLE_1)
	s_or_b32 s2, s5, s2
	s_and_not1_b32 exec_lo, exec_lo, s2
	s_cbranch_execz .LBB1415_138
.LBB1415_133:                           ; =>This Loop Header: Depth=1
                                        ;     Child Loop BB1415_136 Depth 2
	s_or_b32 s4, s4, exec_lo
	s_cmp_eq_u32 s3, 0
	s_cbranch_scc1 .LBB1415_137
; %bb.134:                              ;   in Loop: Header=BB1415_133 Depth=1
	s_add_co_i32 s3, s3, -1
	s_mov_b32 s4, exec_lo
	s_wait_xcnt 0x0
	v_lshl_or_b32 v6, s3, 8, v14
	global_load_b32 v11, v6, s[10:11] scale_offset scope:SCOPE_DEV
	s_wait_loadcnt 0x0
	v_cmpx_gt_u32_e32 2.0, v11
	s_cbranch_execz .LBB1415_132
; %bb.135:                              ;   in Loop: Header=BB1415_133 Depth=1
	v_lshl_add_u64 v[12:13], v[6:7], 2, s[10:11]
	s_mov_b32 s5, 0
.LBB1415_136:                           ;   Parent Loop BB1415_133 Depth=1
                                        ; =>  This Inner Loop Header: Depth=2
	global_load_b32 v11, v[12:13], off scope:SCOPE_DEV
	s_wait_loadcnt 0x0
	v_cmp_lt_u32_e32 vcc_lo, 0x3fffffff, v11
	s_or_b32 s5, vcc_lo, s5
	s_wait_xcnt 0x0
	s_and_not1_b32 exec_lo, exec_lo, s5
	s_cbranch_execnz .LBB1415_136
	s_branch .LBB1415_131
.LBB1415_137:                           ;   in Loop: Header=BB1415_133 Depth=1
                                        ; implicit-def: $sgpr3
	s_and_b32 s5, exec_lo, s4
	s_delay_alu instid0(SALU_CYCLE_1)
	s_or_b32 s2, s5, s2
	s_wait_xcnt 0x0
	s_and_not1_b32 exec_lo, exec_lo, s2
	s_cbranch_execnz .LBB1415_133
.LBB1415_138:
	s_or_b32 exec_lo, exec_lo, s2
	v_dual_mov_b32 v11, 0 :: v_dual_add_nc_u32 v6, v10, v2
	s_delay_alu instid0(VALU_DEP_1) | instskip(SKIP_4) | instid1(VALU_DEP_1)
	v_or_b32_e32 v6, 0x80000000, v6
	global_store_b32 v[8:9], v6, off scope:SCOPE_DEV
	global_load_b64 v[6:7], v14, s[12:13] scale_offset
	v_sub_nc_u64_e32 v[8:9], v[10:11], v[0:1]
	s_wait_loadcnt 0x0
	v_add_nc_u64_e32 v[6:7], v[8:9], v[6:7]
	ds_store_b64 v3, v[6:7]
.LBB1415_139:
	s_wait_xcnt 0x0
	s_or_b32 exec_lo, exec_lo, s1
	v_dual_add_nc_u32 v6, v62, v5 :: v_dual_sub_nc_u32 v56, 0, v4
	v_mov_b32_e32 v5, 0
	v_add3_u32 v22, v23, v60, v22
	v_add3_u32 v7, v58, v53, v57
	;; [unrolled: 1-line block ×3, first 2 shown]
	v_add_nc_u32_e32 v23, v3, v56
	v_add_nc_u64_e32 v[4:5], s[18:19], v[4:5]
	v_add3_u32 v9, v52, v48, v50
	v_add3_u32 v10, v49, v44, v47
	;; [unrolled: 1-line block ×6, first 2 shown]
	v_add_nc_u64_e32 v[4:5], 0x2000, v[4:5]
	v_add3_u32 v16, v29, v16, v28
	v_add3_u32 v25, v26, v61, v25
	v_mov_b32_e32 v26, v14
	s_mov_b32 s1, 0
	s_mov_b32 s2, -1
	s_branch .LBB1415_141
.LBB1415_140:                           ;   in Loop: Header=BB1415_141 Depth=1
	s_wait_xcnt 0x0
	s_or_b32 exec_lo, exec_lo, s3
	v_add_nc_u64_e32 v[4:5], 0x4000, v[4:5]
	v_add_nc_u32_e32 v26, 0x1000, v26
	s_xor_b32 s2, s2, -1
	s_addk_co_i32 s1, 0xf000
	s_and_b32 vcc_lo, exec_lo, s2
	s_mov_b32 s2, 0
	s_wait_storecnt 0x0
	s_barrier_signal -1
	s_barrier_wait -1
	s_cbranch_vccnz .LBB1415_151
.LBB1415_141:                           ; =>This Inner Loop Header: Depth=1
	v_add_min_u32_e64 v28, v6, s1, 0x1000
	v_add_min_u32_e64 v29, v22, s1, 0x1000
	;; [unrolled: 1-line block ×5, first 2 shown]
	s_delay_alu instid0(VALU_DEP_4)
	v_dual_lshlrev_b32 v28, 2, v28 :: v_dual_lshlrev_b32 v29, 2, v29
	v_add_min_u32_e64 v35, v13, s1, 0x1000
	v_add_min_u32_e64 v36, v12, s1, 0x1000
	s_mov_b32 s3, exec_lo
	ds_store_b32 v28, v17 offset:2048
	ds_store_b32 v29, v18 offset:2048
	v_dual_lshlrev_b32 v28, 2, v31 :: v_dual_lshlrev_b32 v29, 2, v32
	v_dual_lshlrev_b32 v31, 2, v33 :: v_dual_lshlrev_b32 v32, 2, v35
	v_lshlrev_b32_e32 v33, 2, v36
	ds_store_b32 v28, v19 offset:2048
	ds_store_b32 v29, v20 offset:2048
	;; [unrolled: 1-line block ×5, first 2 shown]
	v_add_min_u32_e64 v28, v11, s1, 0x1000
	v_add_min_u32_e64 v29, v10, s1, 0x1000
	;; [unrolled: 1-line block ×5, first 2 shown]
	s_delay_alu instid0(VALU_DEP_4) | instskip(NEXT) | instid1(VALU_DEP_3)
	v_dual_lshlrev_b32 v28, 2, v28 :: v_dual_lshlrev_b32 v29, 2, v29
	v_dual_lshlrev_b32 v31, 2, v31 :: v_dual_lshlrev_b32 v32, 2, v32
	s_delay_alu instid0(VALU_DEP_3)
	v_lshlrev_b32_e32 v33, 2, v33
	ds_store_b32 v28, v30 offset:2048
	ds_store_b32 v29, v34 offset:2048
	;; [unrolled: 1-line block ×5, first 2 shown]
	s_wait_storecnt_dscnt 0x0
	s_barrier_signal -1
	s_barrier_wait -1
	ds_load_2addr_stride64_b32 v[28:29], v23 offset0:8 offset1:16
	s_wait_dscnt 0x0
	v_cmp_ne_u32_e32 vcc_lo, 0x7fffffff, v29
	v_cndmask_b32_e32 v31, 0x80000000, v29, vcc_lo
	v_cmp_ne_u32_e32 vcc_lo, 0x7fffffff, v28
	s_delay_alu instid0(VALU_DEP_2) | instskip(SKIP_1) | instid1(VALU_DEP_2)
	v_lshrrev_b32_e32 v31, s20, v31
	v_cndmask_b32_e32 v35, 0x80000000, v28, vcc_lo
	v_and_b32_e32 v31, s9, v31
	s_delay_alu instid0(VALU_DEP_2) | instskip(NEXT) | instid1(VALU_DEP_2)
	v_lshrrev_b32_e32 v35, s20, v35
	v_lshlrev_b32_e32 v31, 3, v31
	ds_load_b64 v[32:33], v31
	ds_load_b32 v31, v23 offset:6144
	v_and_b32_e32 v35, s9, v35
	s_delay_alu instid0(VALU_DEP_1) | instskip(SKIP_4) | instid1(VALU_DEP_2)
	v_lshlrev_b32_e32 v35, 3, v35
	s_wait_dscnt 0x0
	v_cmp_ne_u32_e32 vcc_lo, 0x7fffffff, v31
	v_cndmask_b32_e32 v36, 0x80000000, v31, vcc_lo
	v_cmp_lt_i32_e32 vcc_lo, -1, v28
	v_lshrrev_b32_e32 v36, s20, v36
	s_delay_alu instid0(VALU_DEP_1) | instskip(NEXT) | instid1(VALU_DEP_1)
	v_and_b32_e32 v36, s9, v36
	v_lshlrev_b32_e32 v39, 3, v36
	ds_load_b64 v[36:37], v35
	ds_load_b64 v[40:41], v39
	v_cndmask_b32_e64 v35, 0x80000000, -1, vcc_lo
	v_cmp_lt_i32_e32 vcc_lo, -1, v29
	s_delay_alu instid0(VALU_DEP_2) | instskip(SKIP_2) | instid1(VALU_DEP_2)
	v_xor_b32_e32 v35, v35, v28
	v_cndmask_b32_e64 v39, 0x80000000, -1, vcc_lo
	v_cmp_lt_i32_e32 vcc_lo, -1, v31
	v_xor_b32_e32 v39, v39, v29
	v_cndmask_b32_e64 v43, 0x80000000, -1, vcc_lo
	v_lshl_add_u64 v[28:29], v[32:33], 2, v[4:5]
	s_delay_alu instid0(VALU_DEP_2)
	v_xor_b32_e32 v31, v43, v31
	s_wait_dscnt 0x1
	v_lshl_add_u64 v[36:37], v[36:37], 2, v[4:5]
	s_wait_dscnt 0x0
	v_lshl_add_u64 v[32:33], v[40:41], 2, v[4:5]
	s_clause 0x2
	global_store_b32 v[36:37], v35, off offset:-8192
	global_store_b32 v[28:29], v39, off offset:-6144
	;; [unrolled: 1-line block ×3, first 2 shown]
	s_wait_xcnt 0x0
	v_cmpx_gt_u32_e32 0x1200, v26
	s_cbranch_execz .LBB1415_143
; %bb.142:                              ;   in Loop: Header=BB1415_141 Depth=1
	ds_load_b32 v31, v23 offset:8192
	s_wait_dscnt 0x0
	v_cmp_ne_u32_e32 vcc_lo, 0x7fffffff, v31
	v_cndmask_b32_e32 v28, 0x80000000, v31, vcc_lo
	v_cmp_lt_i32_e32 vcc_lo, -1, v31
	v_cndmask_b32_e64 v32, 0x80000000, -1, vcc_lo
	s_delay_alu instid0(VALU_DEP_1) | instskip(NEXT) | instid1(VALU_DEP_1)
	v_dual_lshrrev_b32 v28, s20, v28 :: v_dual_bitop2_b32 v31, v32, v31 bitop3:0x14
	v_and_b32_e32 v28, s9, v28
	s_delay_alu instid0(VALU_DEP_1)
	v_lshlrev_b32_e32 v28, 3, v28
	ds_load_b64 v[28:29], v28
	s_wait_dscnt 0x0
	v_lshl_add_u64 v[28:29], v[28:29], 2, v[4:5]
	global_store_b32 v[28:29], v31, off offset:-2048
.LBB1415_143:                           ;   in Loop: Header=BB1415_141 Depth=1
	s_wait_xcnt 0x0
	s_or_b32 exec_lo, exec_lo, s3
	v_add_nc_u32_e32 v28, 0x800, v26
	s_mov_b32 s3, exec_lo
	s_delay_alu instid0(VALU_DEP_1)
	v_cmpx_gt_u32_e32 0x1800, v28
	s_cbranch_execz .LBB1415_145
; %bb.144:                              ;   in Loop: Header=BB1415_141 Depth=1
	ds_load_b32 v31, v23 offset:10240
	s_wait_dscnt 0x0
	v_cmp_ne_u32_e32 vcc_lo, 0x7fffffff, v31
	v_cndmask_b32_e32 v28, 0x80000000, v31, vcc_lo
	v_cmp_lt_i32_e32 vcc_lo, -1, v31
	v_cndmask_b32_e64 v32, 0x80000000, -1, vcc_lo
	s_delay_alu instid0(VALU_DEP_1) | instskip(NEXT) | instid1(VALU_DEP_1)
	v_dual_lshrrev_b32 v28, s20, v28 :: v_dual_bitop2_b32 v31, v32, v31 bitop3:0x14
	v_and_b32_e32 v28, s9, v28
	s_delay_alu instid0(VALU_DEP_1)
	v_lshlrev_b32_e32 v28, 3, v28
	ds_load_b64 v[28:29], v28
	s_wait_dscnt 0x0
	v_lshl_add_u64 v[28:29], v[28:29], 2, v[4:5]
	global_store_b32 v[28:29], v31, off
.LBB1415_145:                           ;   in Loop: Header=BB1415_141 Depth=1
	s_wait_xcnt 0x0
	s_or_b32 exec_lo, exec_lo, s3
	s_delay_alu instid0(SALU_CYCLE_1)
	s_mov_b32 s3, exec_lo
	v_cmpx_gt_u32_e32 0xe00, v26
	s_cbranch_execz .LBB1415_147
; %bb.146:                              ;   in Loop: Header=BB1415_141 Depth=1
	ds_load_b32 v31, v23 offset:12288
	s_wait_dscnt 0x0
	v_cmp_ne_u32_e32 vcc_lo, 0x7fffffff, v31
	v_cndmask_b32_e32 v28, 0x80000000, v31, vcc_lo
	v_cmp_lt_i32_e32 vcc_lo, -1, v31
	v_cndmask_b32_e64 v32, 0x80000000, -1, vcc_lo
	s_delay_alu instid0(VALU_DEP_1) | instskip(NEXT) | instid1(VALU_DEP_1)
	v_dual_lshrrev_b32 v28, s20, v28 :: v_dual_bitop2_b32 v31, v32, v31 bitop3:0x14
	v_and_b32_e32 v28, s9, v28
	s_delay_alu instid0(VALU_DEP_1)
	v_lshlrev_b32_e32 v28, 3, v28
	ds_load_b64 v[28:29], v28
	s_wait_dscnt 0x0
	v_lshl_add_u64 v[28:29], v[28:29], 2, v[4:5]
	global_store_b32 v[28:29], v31, off offset:2048
.LBB1415_147:                           ;   in Loop: Header=BB1415_141 Depth=1
	s_wait_xcnt 0x0
	s_or_b32 exec_lo, exec_lo, s3
	v_add_nc_u32_e32 v28, 0xc00, v26
	s_mov_b32 s3, exec_lo
	s_delay_alu instid0(VALU_DEP_1)
	v_cmpx_gt_u32_e32 0x1800, v28
	s_cbranch_execz .LBB1415_149
; %bb.148:                              ;   in Loop: Header=BB1415_141 Depth=1
	ds_load_b32 v31, v23 offset:14336
	s_wait_dscnt 0x0
	v_cmp_ne_u32_e32 vcc_lo, 0x7fffffff, v31
	v_cndmask_b32_e32 v28, 0x80000000, v31, vcc_lo
	v_cmp_lt_i32_e32 vcc_lo, -1, v31
	v_cndmask_b32_e64 v32, 0x80000000, -1, vcc_lo
	s_delay_alu instid0(VALU_DEP_1) | instskip(NEXT) | instid1(VALU_DEP_1)
	v_dual_lshrrev_b32 v28, s20, v28 :: v_dual_bitop2_b32 v31, v32, v31 bitop3:0x14
	v_and_b32_e32 v28, s9, v28
	s_delay_alu instid0(VALU_DEP_1)
	v_lshlrev_b32_e32 v28, 3, v28
	ds_load_b64 v[28:29], v28
	s_wait_dscnt 0x0
	v_lshl_add_u64 v[28:29], v[28:29], 2, v[4:5]
	global_store_b32 v[28:29], v31, off offset:4096
.LBB1415_149:                           ;   in Loop: Header=BB1415_141 Depth=1
	s_wait_xcnt 0x0
	s_or_b32 exec_lo, exec_lo, s3
	s_delay_alu instid0(SALU_CYCLE_1)
	s_mov_b32 s3, exec_lo
	v_cmpx_gt_u32_e32 0xa00, v26
	s_cbranch_execz .LBB1415_140
; %bb.150:                              ;   in Loop: Header=BB1415_141 Depth=1
	ds_load_b32 v31, v23 offset:16384
	s_wait_dscnt 0x0
	v_cmp_ne_u32_e32 vcc_lo, 0x7fffffff, v31
	v_cndmask_b32_e32 v28, 0x80000000, v31, vcc_lo
	v_cmp_lt_i32_e32 vcc_lo, -1, v31
	v_cndmask_b32_e64 v32, 0x80000000, -1, vcc_lo
	s_delay_alu instid0(VALU_DEP_1) | instskip(NEXT) | instid1(VALU_DEP_1)
	v_dual_lshrrev_b32 v28, s20, v28 :: v_dual_bitop2_b32 v31, v32, v31 bitop3:0x14
	v_and_b32_e32 v28, s9, v28
	s_delay_alu instid0(VALU_DEP_1)
	v_lshlrev_b32_e32 v28, 3, v28
	ds_load_b64 v[28:29], v28
	s_wait_dscnt 0x0
	v_lshl_add_u64 v[28:29], v[28:29], 2, v[4:5]
	global_store_b32 v[28:29], v31, off offset:6144
	s_branch .LBB1415_140
.LBB1415_151:
	s_add_co_i32 s8, s8, -1
	s_delay_alu instid0(SALU_CYCLE_1) | instskip(SKIP_2) | instid1(SALU_CYCLE_1)
	s_cmp_eq_u32 s23, s8
	s_cselect_b32 s1, -1, 0
	s_xor_b32 s0, s0, -1
	s_and_b32 s0, s0, s1
	s_delay_alu instid0(SALU_CYCLE_1)
	s_and_saveexec_b32 s1, s0
	s_cbranch_execz .LBB1415_153
; %bb.152:
	ds_load_b64 v[4:5], v3
	v_mov_b32_e32 v3, 0
	s_delay_alu instid0(VALU_DEP_1) | instskip(SKIP_1) | instid1(VALU_DEP_1)
	v_add_nc_u64_e32 v[0:1], v[0:1], v[2:3]
	s_wait_dscnt 0x0
	v_add_nc_u64_e32 v[0:1], v[0:1], v[4:5]
	global_store_b64 v14, v[0:1], s[14:15] scale_offset
.LBB1415_153:
	s_sendmsg sendmsg(MSG_DEALLOC_VGPRS)
	s_endpgm
	.section	.rodata,"a",@progbits
	.p2align	6, 0x0
	.amdhsa_kernel _ZN7rocprim17ROCPRIM_400000_NS6detail17trampoline_kernelINS0_14default_configENS1_35radix_sort_onesweep_config_selectorIfNS0_10empty_typeEEEZZNS1_29radix_sort_onesweep_iterationIS3_Lb0EPKfPfPS5_SB_mNS0_19identity_decomposerENS1_16block_id_wrapperIjLb1EEEEE10hipError_tT1_PNSt15iterator_traitsISG_E10value_typeET2_T3_PNSH_ISM_E10value_typeET4_T5_PSR_SS_PNS1_23onesweep_lookback_stateEbbT6_jjT7_P12ihipStream_tbENKUlT_T0_SG_SL_E_clISA_SA_SB_SB_EEDaSZ_S10_SG_SL_EUlSZ_E_NS1_11comp_targetILNS1_3genE0ELNS1_11target_archE4294967295ELNS1_3gpuE0ELNS1_3repE0EEENS1_47radix_sort_onesweep_sort_config_static_selectorELNS0_4arch9wavefront6targetE0EEEvSG_
		.amdhsa_group_segment_fixed_size 18504
		.amdhsa_private_segment_fixed_size 0
		.amdhsa_kernarg_size 344
		.amdhsa_user_sgpr_count 2
		.amdhsa_user_sgpr_dispatch_ptr 0
		.amdhsa_user_sgpr_queue_ptr 0
		.amdhsa_user_sgpr_kernarg_segment_ptr 1
		.amdhsa_user_sgpr_dispatch_id 0
		.amdhsa_user_sgpr_kernarg_preload_length 0
		.amdhsa_user_sgpr_kernarg_preload_offset 0
		.amdhsa_user_sgpr_private_segment_size 0
		.amdhsa_wavefront_size32 1
		.amdhsa_uses_dynamic_stack 0
		.amdhsa_enable_private_segment 0
		.amdhsa_system_sgpr_workgroup_id_x 1
		.amdhsa_system_sgpr_workgroup_id_y 0
		.amdhsa_system_sgpr_workgroup_id_z 0
		.amdhsa_system_sgpr_workgroup_info 0
		.amdhsa_system_vgpr_workitem_id 2
		.amdhsa_next_free_vgpr 65
		.amdhsa_next_free_sgpr 30
		.amdhsa_named_barrier_count 0
		.amdhsa_reserve_vcc 1
		.amdhsa_float_round_mode_32 0
		.amdhsa_float_round_mode_16_64 0
		.amdhsa_float_denorm_mode_32 3
		.amdhsa_float_denorm_mode_16_64 3
		.amdhsa_fp16_overflow 0
		.amdhsa_memory_ordered 1
		.amdhsa_forward_progress 1
		.amdhsa_inst_pref_size 136
		.amdhsa_round_robin_scheduling 0
		.amdhsa_exception_fp_ieee_invalid_op 0
		.amdhsa_exception_fp_denorm_src 0
		.amdhsa_exception_fp_ieee_div_zero 0
		.amdhsa_exception_fp_ieee_overflow 0
		.amdhsa_exception_fp_ieee_underflow 0
		.amdhsa_exception_fp_ieee_inexact 0
		.amdhsa_exception_int_div_zero 0
	.end_amdhsa_kernel
	.section	.text._ZN7rocprim17ROCPRIM_400000_NS6detail17trampoline_kernelINS0_14default_configENS1_35radix_sort_onesweep_config_selectorIfNS0_10empty_typeEEEZZNS1_29radix_sort_onesweep_iterationIS3_Lb0EPKfPfPS5_SB_mNS0_19identity_decomposerENS1_16block_id_wrapperIjLb1EEEEE10hipError_tT1_PNSt15iterator_traitsISG_E10value_typeET2_T3_PNSH_ISM_E10value_typeET4_T5_PSR_SS_PNS1_23onesweep_lookback_stateEbbT6_jjT7_P12ihipStream_tbENKUlT_T0_SG_SL_E_clISA_SA_SB_SB_EEDaSZ_S10_SG_SL_EUlSZ_E_NS1_11comp_targetILNS1_3genE0ELNS1_11target_archE4294967295ELNS1_3gpuE0ELNS1_3repE0EEENS1_47radix_sort_onesweep_sort_config_static_selectorELNS0_4arch9wavefront6targetE0EEEvSG_,"axG",@progbits,_ZN7rocprim17ROCPRIM_400000_NS6detail17trampoline_kernelINS0_14default_configENS1_35radix_sort_onesweep_config_selectorIfNS0_10empty_typeEEEZZNS1_29radix_sort_onesweep_iterationIS3_Lb0EPKfPfPS5_SB_mNS0_19identity_decomposerENS1_16block_id_wrapperIjLb1EEEEE10hipError_tT1_PNSt15iterator_traitsISG_E10value_typeET2_T3_PNSH_ISM_E10value_typeET4_T5_PSR_SS_PNS1_23onesweep_lookback_stateEbbT6_jjT7_P12ihipStream_tbENKUlT_T0_SG_SL_E_clISA_SA_SB_SB_EEDaSZ_S10_SG_SL_EUlSZ_E_NS1_11comp_targetILNS1_3genE0ELNS1_11target_archE4294967295ELNS1_3gpuE0ELNS1_3repE0EEENS1_47radix_sort_onesweep_sort_config_static_selectorELNS0_4arch9wavefront6targetE0EEEvSG_,comdat
.Lfunc_end1415:
	.size	_ZN7rocprim17ROCPRIM_400000_NS6detail17trampoline_kernelINS0_14default_configENS1_35radix_sort_onesweep_config_selectorIfNS0_10empty_typeEEEZZNS1_29radix_sort_onesweep_iterationIS3_Lb0EPKfPfPS5_SB_mNS0_19identity_decomposerENS1_16block_id_wrapperIjLb1EEEEE10hipError_tT1_PNSt15iterator_traitsISG_E10value_typeET2_T3_PNSH_ISM_E10value_typeET4_T5_PSR_SS_PNS1_23onesweep_lookback_stateEbbT6_jjT7_P12ihipStream_tbENKUlT_T0_SG_SL_E_clISA_SA_SB_SB_EEDaSZ_S10_SG_SL_EUlSZ_E_NS1_11comp_targetILNS1_3genE0ELNS1_11target_archE4294967295ELNS1_3gpuE0ELNS1_3repE0EEENS1_47radix_sort_onesweep_sort_config_static_selectorELNS0_4arch9wavefront6targetE0EEEvSG_, .Lfunc_end1415-_ZN7rocprim17ROCPRIM_400000_NS6detail17trampoline_kernelINS0_14default_configENS1_35radix_sort_onesweep_config_selectorIfNS0_10empty_typeEEEZZNS1_29radix_sort_onesweep_iterationIS3_Lb0EPKfPfPS5_SB_mNS0_19identity_decomposerENS1_16block_id_wrapperIjLb1EEEEE10hipError_tT1_PNSt15iterator_traitsISG_E10value_typeET2_T3_PNSH_ISM_E10value_typeET4_T5_PSR_SS_PNS1_23onesweep_lookback_stateEbbT6_jjT7_P12ihipStream_tbENKUlT_T0_SG_SL_E_clISA_SA_SB_SB_EEDaSZ_S10_SG_SL_EUlSZ_E_NS1_11comp_targetILNS1_3genE0ELNS1_11target_archE4294967295ELNS1_3gpuE0ELNS1_3repE0EEENS1_47radix_sort_onesweep_sort_config_static_selectorELNS0_4arch9wavefront6targetE0EEEvSG_
                                        ; -- End function
	.set _ZN7rocprim17ROCPRIM_400000_NS6detail17trampoline_kernelINS0_14default_configENS1_35radix_sort_onesweep_config_selectorIfNS0_10empty_typeEEEZZNS1_29radix_sort_onesweep_iterationIS3_Lb0EPKfPfPS5_SB_mNS0_19identity_decomposerENS1_16block_id_wrapperIjLb1EEEEE10hipError_tT1_PNSt15iterator_traitsISG_E10value_typeET2_T3_PNSH_ISM_E10value_typeET4_T5_PSR_SS_PNS1_23onesweep_lookback_stateEbbT6_jjT7_P12ihipStream_tbENKUlT_T0_SG_SL_E_clISA_SA_SB_SB_EEDaSZ_S10_SG_SL_EUlSZ_E_NS1_11comp_targetILNS1_3genE0ELNS1_11target_archE4294967295ELNS1_3gpuE0ELNS1_3repE0EEENS1_47radix_sort_onesweep_sort_config_static_selectorELNS0_4arch9wavefront6targetE0EEEvSG_.num_vgpr, 65
	.set _ZN7rocprim17ROCPRIM_400000_NS6detail17trampoline_kernelINS0_14default_configENS1_35radix_sort_onesweep_config_selectorIfNS0_10empty_typeEEEZZNS1_29radix_sort_onesweep_iterationIS3_Lb0EPKfPfPS5_SB_mNS0_19identity_decomposerENS1_16block_id_wrapperIjLb1EEEEE10hipError_tT1_PNSt15iterator_traitsISG_E10value_typeET2_T3_PNSH_ISM_E10value_typeET4_T5_PSR_SS_PNS1_23onesweep_lookback_stateEbbT6_jjT7_P12ihipStream_tbENKUlT_T0_SG_SL_E_clISA_SA_SB_SB_EEDaSZ_S10_SG_SL_EUlSZ_E_NS1_11comp_targetILNS1_3genE0ELNS1_11target_archE4294967295ELNS1_3gpuE0ELNS1_3repE0EEENS1_47radix_sort_onesweep_sort_config_static_selectorELNS0_4arch9wavefront6targetE0EEEvSG_.num_agpr, 0
	.set _ZN7rocprim17ROCPRIM_400000_NS6detail17trampoline_kernelINS0_14default_configENS1_35radix_sort_onesweep_config_selectorIfNS0_10empty_typeEEEZZNS1_29radix_sort_onesweep_iterationIS3_Lb0EPKfPfPS5_SB_mNS0_19identity_decomposerENS1_16block_id_wrapperIjLb1EEEEE10hipError_tT1_PNSt15iterator_traitsISG_E10value_typeET2_T3_PNSH_ISM_E10value_typeET4_T5_PSR_SS_PNS1_23onesweep_lookback_stateEbbT6_jjT7_P12ihipStream_tbENKUlT_T0_SG_SL_E_clISA_SA_SB_SB_EEDaSZ_S10_SG_SL_EUlSZ_E_NS1_11comp_targetILNS1_3genE0ELNS1_11target_archE4294967295ELNS1_3gpuE0ELNS1_3repE0EEENS1_47radix_sort_onesweep_sort_config_static_selectorELNS0_4arch9wavefront6targetE0EEEvSG_.numbered_sgpr, 30
	.set _ZN7rocprim17ROCPRIM_400000_NS6detail17trampoline_kernelINS0_14default_configENS1_35radix_sort_onesweep_config_selectorIfNS0_10empty_typeEEEZZNS1_29radix_sort_onesweep_iterationIS3_Lb0EPKfPfPS5_SB_mNS0_19identity_decomposerENS1_16block_id_wrapperIjLb1EEEEE10hipError_tT1_PNSt15iterator_traitsISG_E10value_typeET2_T3_PNSH_ISM_E10value_typeET4_T5_PSR_SS_PNS1_23onesweep_lookback_stateEbbT6_jjT7_P12ihipStream_tbENKUlT_T0_SG_SL_E_clISA_SA_SB_SB_EEDaSZ_S10_SG_SL_EUlSZ_E_NS1_11comp_targetILNS1_3genE0ELNS1_11target_archE4294967295ELNS1_3gpuE0ELNS1_3repE0EEENS1_47radix_sort_onesweep_sort_config_static_selectorELNS0_4arch9wavefront6targetE0EEEvSG_.num_named_barrier, 0
	.set _ZN7rocprim17ROCPRIM_400000_NS6detail17trampoline_kernelINS0_14default_configENS1_35radix_sort_onesweep_config_selectorIfNS0_10empty_typeEEEZZNS1_29radix_sort_onesweep_iterationIS3_Lb0EPKfPfPS5_SB_mNS0_19identity_decomposerENS1_16block_id_wrapperIjLb1EEEEE10hipError_tT1_PNSt15iterator_traitsISG_E10value_typeET2_T3_PNSH_ISM_E10value_typeET4_T5_PSR_SS_PNS1_23onesweep_lookback_stateEbbT6_jjT7_P12ihipStream_tbENKUlT_T0_SG_SL_E_clISA_SA_SB_SB_EEDaSZ_S10_SG_SL_EUlSZ_E_NS1_11comp_targetILNS1_3genE0ELNS1_11target_archE4294967295ELNS1_3gpuE0ELNS1_3repE0EEENS1_47radix_sort_onesweep_sort_config_static_selectorELNS0_4arch9wavefront6targetE0EEEvSG_.private_seg_size, 0
	.set _ZN7rocprim17ROCPRIM_400000_NS6detail17trampoline_kernelINS0_14default_configENS1_35radix_sort_onesweep_config_selectorIfNS0_10empty_typeEEEZZNS1_29radix_sort_onesweep_iterationIS3_Lb0EPKfPfPS5_SB_mNS0_19identity_decomposerENS1_16block_id_wrapperIjLb1EEEEE10hipError_tT1_PNSt15iterator_traitsISG_E10value_typeET2_T3_PNSH_ISM_E10value_typeET4_T5_PSR_SS_PNS1_23onesweep_lookback_stateEbbT6_jjT7_P12ihipStream_tbENKUlT_T0_SG_SL_E_clISA_SA_SB_SB_EEDaSZ_S10_SG_SL_EUlSZ_E_NS1_11comp_targetILNS1_3genE0ELNS1_11target_archE4294967295ELNS1_3gpuE0ELNS1_3repE0EEENS1_47radix_sort_onesweep_sort_config_static_selectorELNS0_4arch9wavefront6targetE0EEEvSG_.uses_vcc, 1
	.set _ZN7rocprim17ROCPRIM_400000_NS6detail17trampoline_kernelINS0_14default_configENS1_35radix_sort_onesweep_config_selectorIfNS0_10empty_typeEEEZZNS1_29radix_sort_onesweep_iterationIS3_Lb0EPKfPfPS5_SB_mNS0_19identity_decomposerENS1_16block_id_wrapperIjLb1EEEEE10hipError_tT1_PNSt15iterator_traitsISG_E10value_typeET2_T3_PNSH_ISM_E10value_typeET4_T5_PSR_SS_PNS1_23onesweep_lookback_stateEbbT6_jjT7_P12ihipStream_tbENKUlT_T0_SG_SL_E_clISA_SA_SB_SB_EEDaSZ_S10_SG_SL_EUlSZ_E_NS1_11comp_targetILNS1_3genE0ELNS1_11target_archE4294967295ELNS1_3gpuE0ELNS1_3repE0EEENS1_47radix_sort_onesweep_sort_config_static_selectorELNS0_4arch9wavefront6targetE0EEEvSG_.uses_flat_scratch, 0
	.set _ZN7rocprim17ROCPRIM_400000_NS6detail17trampoline_kernelINS0_14default_configENS1_35radix_sort_onesweep_config_selectorIfNS0_10empty_typeEEEZZNS1_29radix_sort_onesweep_iterationIS3_Lb0EPKfPfPS5_SB_mNS0_19identity_decomposerENS1_16block_id_wrapperIjLb1EEEEE10hipError_tT1_PNSt15iterator_traitsISG_E10value_typeET2_T3_PNSH_ISM_E10value_typeET4_T5_PSR_SS_PNS1_23onesweep_lookback_stateEbbT6_jjT7_P12ihipStream_tbENKUlT_T0_SG_SL_E_clISA_SA_SB_SB_EEDaSZ_S10_SG_SL_EUlSZ_E_NS1_11comp_targetILNS1_3genE0ELNS1_11target_archE4294967295ELNS1_3gpuE0ELNS1_3repE0EEENS1_47radix_sort_onesweep_sort_config_static_selectorELNS0_4arch9wavefront6targetE0EEEvSG_.has_dyn_sized_stack, 0
	.set _ZN7rocprim17ROCPRIM_400000_NS6detail17trampoline_kernelINS0_14default_configENS1_35radix_sort_onesweep_config_selectorIfNS0_10empty_typeEEEZZNS1_29radix_sort_onesweep_iterationIS3_Lb0EPKfPfPS5_SB_mNS0_19identity_decomposerENS1_16block_id_wrapperIjLb1EEEEE10hipError_tT1_PNSt15iterator_traitsISG_E10value_typeET2_T3_PNSH_ISM_E10value_typeET4_T5_PSR_SS_PNS1_23onesweep_lookback_stateEbbT6_jjT7_P12ihipStream_tbENKUlT_T0_SG_SL_E_clISA_SA_SB_SB_EEDaSZ_S10_SG_SL_EUlSZ_E_NS1_11comp_targetILNS1_3genE0ELNS1_11target_archE4294967295ELNS1_3gpuE0ELNS1_3repE0EEENS1_47radix_sort_onesweep_sort_config_static_selectorELNS0_4arch9wavefront6targetE0EEEvSG_.has_recursion, 0
	.set _ZN7rocprim17ROCPRIM_400000_NS6detail17trampoline_kernelINS0_14default_configENS1_35radix_sort_onesweep_config_selectorIfNS0_10empty_typeEEEZZNS1_29radix_sort_onesweep_iterationIS3_Lb0EPKfPfPS5_SB_mNS0_19identity_decomposerENS1_16block_id_wrapperIjLb1EEEEE10hipError_tT1_PNSt15iterator_traitsISG_E10value_typeET2_T3_PNSH_ISM_E10value_typeET4_T5_PSR_SS_PNS1_23onesweep_lookback_stateEbbT6_jjT7_P12ihipStream_tbENKUlT_T0_SG_SL_E_clISA_SA_SB_SB_EEDaSZ_S10_SG_SL_EUlSZ_E_NS1_11comp_targetILNS1_3genE0ELNS1_11target_archE4294967295ELNS1_3gpuE0ELNS1_3repE0EEENS1_47radix_sort_onesweep_sort_config_static_selectorELNS0_4arch9wavefront6targetE0EEEvSG_.has_indirect_call, 0
	.section	.AMDGPU.csdata,"",@progbits
; Kernel info:
; codeLenInByte = 17312
; TotalNumSgprs: 32
; NumVgprs: 65
; ScratchSize: 0
; MemoryBound: 0
; FloatMode: 240
; IeeeMode: 1
; LDSByteSize: 18504 bytes/workgroup (compile time only)
; SGPRBlocks: 0
; VGPRBlocks: 4
; NumSGPRsForWavesPerEU: 32
; NumVGPRsForWavesPerEU: 65
; NamedBarCnt: 0
; Occupancy: 12
; WaveLimiterHint : 1
; COMPUTE_PGM_RSRC2:SCRATCH_EN: 0
; COMPUTE_PGM_RSRC2:USER_SGPR: 2
; COMPUTE_PGM_RSRC2:TRAP_HANDLER: 0
; COMPUTE_PGM_RSRC2:TGID_X_EN: 1
; COMPUTE_PGM_RSRC2:TGID_Y_EN: 0
; COMPUTE_PGM_RSRC2:TGID_Z_EN: 0
; COMPUTE_PGM_RSRC2:TIDIG_COMP_CNT: 2
	.section	.text._ZN7rocprim17ROCPRIM_400000_NS6detail17trampoline_kernelINS0_14default_configENS1_35radix_sort_onesweep_config_selectorIfNS0_10empty_typeEEEZZNS1_29radix_sort_onesweep_iterationIS3_Lb0EPKfPfPS5_SB_mNS0_19identity_decomposerENS1_16block_id_wrapperIjLb1EEEEE10hipError_tT1_PNSt15iterator_traitsISG_E10value_typeET2_T3_PNSH_ISM_E10value_typeET4_T5_PSR_SS_PNS1_23onesweep_lookback_stateEbbT6_jjT7_P12ihipStream_tbENKUlT_T0_SG_SL_E_clISA_SA_SB_SB_EEDaSZ_S10_SG_SL_EUlSZ_E_NS1_11comp_targetILNS1_3genE6ELNS1_11target_archE950ELNS1_3gpuE13ELNS1_3repE0EEENS1_47radix_sort_onesweep_sort_config_static_selectorELNS0_4arch9wavefront6targetE0EEEvSG_,"axG",@progbits,_ZN7rocprim17ROCPRIM_400000_NS6detail17trampoline_kernelINS0_14default_configENS1_35radix_sort_onesweep_config_selectorIfNS0_10empty_typeEEEZZNS1_29radix_sort_onesweep_iterationIS3_Lb0EPKfPfPS5_SB_mNS0_19identity_decomposerENS1_16block_id_wrapperIjLb1EEEEE10hipError_tT1_PNSt15iterator_traitsISG_E10value_typeET2_T3_PNSH_ISM_E10value_typeET4_T5_PSR_SS_PNS1_23onesweep_lookback_stateEbbT6_jjT7_P12ihipStream_tbENKUlT_T0_SG_SL_E_clISA_SA_SB_SB_EEDaSZ_S10_SG_SL_EUlSZ_E_NS1_11comp_targetILNS1_3genE6ELNS1_11target_archE950ELNS1_3gpuE13ELNS1_3repE0EEENS1_47radix_sort_onesweep_sort_config_static_selectorELNS0_4arch9wavefront6targetE0EEEvSG_,comdat
	.protected	_ZN7rocprim17ROCPRIM_400000_NS6detail17trampoline_kernelINS0_14default_configENS1_35radix_sort_onesweep_config_selectorIfNS0_10empty_typeEEEZZNS1_29radix_sort_onesweep_iterationIS3_Lb0EPKfPfPS5_SB_mNS0_19identity_decomposerENS1_16block_id_wrapperIjLb1EEEEE10hipError_tT1_PNSt15iterator_traitsISG_E10value_typeET2_T3_PNSH_ISM_E10value_typeET4_T5_PSR_SS_PNS1_23onesweep_lookback_stateEbbT6_jjT7_P12ihipStream_tbENKUlT_T0_SG_SL_E_clISA_SA_SB_SB_EEDaSZ_S10_SG_SL_EUlSZ_E_NS1_11comp_targetILNS1_3genE6ELNS1_11target_archE950ELNS1_3gpuE13ELNS1_3repE0EEENS1_47radix_sort_onesweep_sort_config_static_selectorELNS0_4arch9wavefront6targetE0EEEvSG_ ; -- Begin function _ZN7rocprim17ROCPRIM_400000_NS6detail17trampoline_kernelINS0_14default_configENS1_35radix_sort_onesweep_config_selectorIfNS0_10empty_typeEEEZZNS1_29radix_sort_onesweep_iterationIS3_Lb0EPKfPfPS5_SB_mNS0_19identity_decomposerENS1_16block_id_wrapperIjLb1EEEEE10hipError_tT1_PNSt15iterator_traitsISG_E10value_typeET2_T3_PNSH_ISM_E10value_typeET4_T5_PSR_SS_PNS1_23onesweep_lookback_stateEbbT6_jjT7_P12ihipStream_tbENKUlT_T0_SG_SL_E_clISA_SA_SB_SB_EEDaSZ_S10_SG_SL_EUlSZ_E_NS1_11comp_targetILNS1_3genE6ELNS1_11target_archE950ELNS1_3gpuE13ELNS1_3repE0EEENS1_47radix_sort_onesweep_sort_config_static_selectorELNS0_4arch9wavefront6targetE0EEEvSG_
	.globl	_ZN7rocprim17ROCPRIM_400000_NS6detail17trampoline_kernelINS0_14default_configENS1_35radix_sort_onesweep_config_selectorIfNS0_10empty_typeEEEZZNS1_29radix_sort_onesweep_iterationIS3_Lb0EPKfPfPS5_SB_mNS0_19identity_decomposerENS1_16block_id_wrapperIjLb1EEEEE10hipError_tT1_PNSt15iterator_traitsISG_E10value_typeET2_T3_PNSH_ISM_E10value_typeET4_T5_PSR_SS_PNS1_23onesweep_lookback_stateEbbT6_jjT7_P12ihipStream_tbENKUlT_T0_SG_SL_E_clISA_SA_SB_SB_EEDaSZ_S10_SG_SL_EUlSZ_E_NS1_11comp_targetILNS1_3genE6ELNS1_11target_archE950ELNS1_3gpuE13ELNS1_3repE0EEENS1_47radix_sort_onesweep_sort_config_static_selectorELNS0_4arch9wavefront6targetE0EEEvSG_
	.p2align	8
	.type	_ZN7rocprim17ROCPRIM_400000_NS6detail17trampoline_kernelINS0_14default_configENS1_35radix_sort_onesweep_config_selectorIfNS0_10empty_typeEEEZZNS1_29radix_sort_onesweep_iterationIS3_Lb0EPKfPfPS5_SB_mNS0_19identity_decomposerENS1_16block_id_wrapperIjLb1EEEEE10hipError_tT1_PNSt15iterator_traitsISG_E10value_typeET2_T3_PNSH_ISM_E10value_typeET4_T5_PSR_SS_PNS1_23onesweep_lookback_stateEbbT6_jjT7_P12ihipStream_tbENKUlT_T0_SG_SL_E_clISA_SA_SB_SB_EEDaSZ_S10_SG_SL_EUlSZ_E_NS1_11comp_targetILNS1_3genE6ELNS1_11target_archE950ELNS1_3gpuE13ELNS1_3repE0EEENS1_47radix_sort_onesweep_sort_config_static_selectorELNS0_4arch9wavefront6targetE0EEEvSG_,@function
_ZN7rocprim17ROCPRIM_400000_NS6detail17trampoline_kernelINS0_14default_configENS1_35radix_sort_onesweep_config_selectorIfNS0_10empty_typeEEEZZNS1_29radix_sort_onesweep_iterationIS3_Lb0EPKfPfPS5_SB_mNS0_19identity_decomposerENS1_16block_id_wrapperIjLb1EEEEE10hipError_tT1_PNSt15iterator_traitsISG_E10value_typeET2_T3_PNSH_ISM_E10value_typeET4_T5_PSR_SS_PNS1_23onesweep_lookback_stateEbbT6_jjT7_P12ihipStream_tbENKUlT_T0_SG_SL_E_clISA_SA_SB_SB_EEDaSZ_S10_SG_SL_EUlSZ_E_NS1_11comp_targetILNS1_3genE6ELNS1_11target_archE950ELNS1_3gpuE13ELNS1_3repE0EEENS1_47radix_sort_onesweep_sort_config_static_selectorELNS0_4arch9wavefront6targetE0EEEvSG_: ; @_ZN7rocprim17ROCPRIM_400000_NS6detail17trampoline_kernelINS0_14default_configENS1_35radix_sort_onesweep_config_selectorIfNS0_10empty_typeEEEZZNS1_29radix_sort_onesweep_iterationIS3_Lb0EPKfPfPS5_SB_mNS0_19identity_decomposerENS1_16block_id_wrapperIjLb1EEEEE10hipError_tT1_PNSt15iterator_traitsISG_E10value_typeET2_T3_PNSH_ISM_E10value_typeET4_T5_PSR_SS_PNS1_23onesweep_lookback_stateEbbT6_jjT7_P12ihipStream_tbENKUlT_T0_SG_SL_E_clISA_SA_SB_SB_EEDaSZ_S10_SG_SL_EUlSZ_E_NS1_11comp_targetILNS1_3genE6ELNS1_11target_archE950ELNS1_3gpuE13ELNS1_3repE0EEENS1_47radix_sort_onesweep_sort_config_static_selectorELNS0_4arch9wavefront6targetE0EEEvSG_
; %bb.0:
	.section	.rodata,"a",@progbits
	.p2align	6, 0x0
	.amdhsa_kernel _ZN7rocprim17ROCPRIM_400000_NS6detail17trampoline_kernelINS0_14default_configENS1_35radix_sort_onesweep_config_selectorIfNS0_10empty_typeEEEZZNS1_29radix_sort_onesweep_iterationIS3_Lb0EPKfPfPS5_SB_mNS0_19identity_decomposerENS1_16block_id_wrapperIjLb1EEEEE10hipError_tT1_PNSt15iterator_traitsISG_E10value_typeET2_T3_PNSH_ISM_E10value_typeET4_T5_PSR_SS_PNS1_23onesweep_lookback_stateEbbT6_jjT7_P12ihipStream_tbENKUlT_T0_SG_SL_E_clISA_SA_SB_SB_EEDaSZ_S10_SG_SL_EUlSZ_E_NS1_11comp_targetILNS1_3genE6ELNS1_11target_archE950ELNS1_3gpuE13ELNS1_3repE0EEENS1_47radix_sort_onesweep_sort_config_static_selectorELNS0_4arch9wavefront6targetE0EEEvSG_
		.amdhsa_group_segment_fixed_size 0
		.amdhsa_private_segment_fixed_size 0
		.amdhsa_kernarg_size 88
		.amdhsa_user_sgpr_count 2
		.amdhsa_user_sgpr_dispatch_ptr 0
		.amdhsa_user_sgpr_queue_ptr 0
		.amdhsa_user_sgpr_kernarg_segment_ptr 1
		.amdhsa_user_sgpr_dispatch_id 0
		.amdhsa_user_sgpr_kernarg_preload_length 0
		.amdhsa_user_sgpr_kernarg_preload_offset 0
		.amdhsa_user_sgpr_private_segment_size 0
		.amdhsa_wavefront_size32 1
		.amdhsa_uses_dynamic_stack 0
		.amdhsa_enable_private_segment 0
		.amdhsa_system_sgpr_workgroup_id_x 1
		.amdhsa_system_sgpr_workgroup_id_y 0
		.amdhsa_system_sgpr_workgroup_id_z 0
		.amdhsa_system_sgpr_workgroup_info 0
		.amdhsa_system_vgpr_workitem_id 0
		.amdhsa_next_free_vgpr 1
		.amdhsa_next_free_sgpr 1
		.amdhsa_named_barrier_count 0
		.amdhsa_reserve_vcc 0
		.amdhsa_float_round_mode_32 0
		.amdhsa_float_round_mode_16_64 0
		.amdhsa_float_denorm_mode_32 3
		.amdhsa_float_denorm_mode_16_64 3
		.amdhsa_fp16_overflow 0
		.amdhsa_memory_ordered 1
		.amdhsa_forward_progress 1
		.amdhsa_inst_pref_size 0
		.amdhsa_round_robin_scheduling 0
		.amdhsa_exception_fp_ieee_invalid_op 0
		.amdhsa_exception_fp_denorm_src 0
		.amdhsa_exception_fp_ieee_div_zero 0
		.amdhsa_exception_fp_ieee_overflow 0
		.amdhsa_exception_fp_ieee_underflow 0
		.amdhsa_exception_fp_ieee_inexact 0
		.amdhsa_exception_int_div_zero 0
	.end_amdhsa_kernel
	.section	.text._ZN7rocprim17ROCPRIM_400000_NS6detail17trampoline_kernelINS0_14default_configENS1_35radix_sort_onesweep_config_selectorIfNS0_10empty_typeEEEZZNS1_29radix_sort_onesweep_iterationIS3_Lb0EPKfPfPS5_SB_mNS0_19identity_decomposerENS1_16block_id_wrapperIjLb1EEEEE10hipError_tT1_PNSt15iterator_traitsISG_E10value_typeET2_T3_PNSH_ISM_E10value_typeET4_T5_PSR_SS_PNS1_23onesweep_lookback_stateEbbT6_jjT7_P12ihipStream_tbENKUlT_T0_SG_SL_E_clISA_SA_SB_SB_EEDaSZ_S10_SG_SL_EUlSZ_E_NS1_11comp_targetILNS1_3genE6ELNS1_11target_archE950ELNS1_3gpuE13ELNS1_3repE0EEENS1_47radix_sort_onesweep_sort_config_static_selectorELNS0_4arch9wavefront6targetE0EEEvSG_,"axG",@progbits,_ZN7rocprim17ROCPRIM_400000_NS6detail17trampoline_kernelINS0_14default_configENS1_35radix_sort_onesweep_config_selectorIfNS0_10empty_typeEEEZZNS1_29radix_sort_onesweep_iterationIS3_Lb0EPKfPfPS5_SB_mNS0_19identity_decomposerENS1_16block_id_wrapperIjLb1EEEEE10hipError_tT1_PNSt15iterator_traitsISG_E10value_typeET2_T3_PNSH_ISM_E10value_typeET4_T5_PSR_SS_PNS1_23onesweep_lookback_stateEbbT6_jjT7_P12ihipStream_tbENKUlT_T0_SG_SL_E_clISA_SA_SB_SB_EEDaSZ_S10_SG_SL_EUlSZ_E_NS1_11comp_targetILNS1_3genE6ELNS1_11target_archE950ELNS1_3gpuE13ELNS1_3repE0EEENS1_47radix_sort_onesweep_sort_config_static_selectorELNS0_4arch9wavefront6targetE0EEEvSG_,comdat
.Lfunc_end1416:
	.size	_ZN7rocprim17ROCPRIM_400000_NS6detail17trampoline_kernelINS0_14default_configENS1_35radix_sort_onesweep_config_selectorIfNS0_10empty_typeEEEZZNS1_29radix_sort_onesweep_iterationIS3_Lb0EPKfPfPS5_SB_mNS0_19identity_decomposerENS1_16block_id_wrapperIjLb1EEEEE10hipError_tT1_PNSt15iterator_traitsISG_E10value_typeET2_T3_PNSH_ISM_E10value_typeET4_T5_PSR_SS_PNS1_23onesweep_lookback_stateEbbT6_jjT7_P12ihipStream_tbENKUlT_T0_SG_SL_E_clISA_SA_SB_SB_EEDaSZ_S10_SG_SL_EUlSZ_E_NS1_11comp_targetILNS1_3genE6ELNS1_11target_archE950ELNS1_3gpuE13ELNS1_3repE0EEENS1_47radix_sort_onesweep_sort_config_static_selectorELNS0_4arch9wavefront6targetE0EEEvSG_, .Lfunc_end1416-_ZN7rocprim17ROCPRIM_400000_NS6detail17trampoline_kernelINS0_14default_configENS1_35radix_sort_onesweep_config_selectorIfNS0_10empty_typeEEEZZNS1_29radix_sort_onesweep_iterationIS3_Lb0EPKfPfPS5_SB_mNS0_19identity_decomposerENS1_16block_id_wrapperIjLb1EEEEE10hipError_tT1_PNSt15iterator_traitsISG_E10value_typeET2_T3_PNSH_ISM_E10value_typeET4_T5_PSR_SS_PNS1_23onesweep_lookback_stateEbbT6_jjT7_P12ihipStream_tbENKUlT_T0_SG_SL_E_clISA_SA_SB_SB_EEDaSZ_S10_SG_SL_EUlSZ_E_NS1_11comp_targetILNS1_3genE6ELNS1_11target_archE950ELNS1_3gpuE13ELNS1_3repE0EEENS1_47radix_sort_onesweep_sort_config_static_selectorELNS0_4arch9wavefront6targetE0EEEvSG_
                                        ; -- End function
	.set _ZN7rocprim17ROCPRIM_400000_NS6detail17trampoline_kernelINS0_14default_configENS1_35radix_sort_onesweep_config_selectorIfNS0_10empty_typeEEEZZNS1_29radix_sort_onesweep_iterationIS3_Lb0EPKfPfPS5_SB_mNS0_19identity_decomposerENS1_16block_id_wrapperIjLb1EEEEE10hipError_tT1_PNSt15iterator_traitsISG_E10value_typeET2_T3_PNSH_ISM_E10value_typeET4_T5_PSR_SS_PNS1_23onesweep_lookback_stateEbbT6_jjT7_P12ihipStream_tbENKUlT_T0_SG_SL_E_clISA_SA_SB_SB_EEDaSZ_S10_SG_SL_EUlSZ_E_NS1_11comp_targetILNS1_3genE6ELNS1_11target_archE950ELNS1_3gpuE13ELNS1_3repE0EEENS1_47radix_sort_onesweep_sort_config_static_selectorELNS0_4arch9wavefront6targetE0EEEvSG_.num_vgpr, 0
	.set _ZN7rocprim17ROCPRIM_400000_NS6detail17trampoline_kernelINS0_14default_configENS1_35radix_sort_onesweep_config_selectorIfNS0_10empty_typeEEEZZNS1_29radix_sort_onesweep_iterationIS3_Lb0EPKfPfPS5_SB_mNS0_19identity_decomposerENS1_16block_id_wrapperIjLb1EEEEE10hipError_tT1_PNSt15iterator_traitsISG_E10value_typeET2_T3_PNSH_ISM_E10value_typeET4_T5_PSR_SS_PNS1_23onesweep_lookback_stateEbbT6_jjT7_P12ihipStream_tbENKUlT_T0_SG_SL_E_clISA_SA_SB_SB_EEDaSZ_S10_SG_SL_EUlSZ_E_NS1_11comp_targetILNS1_3genE6ELNS1_11target_archE950ELNS1_3gpuE13ELNS1_3repE0EEENS1_47radix_sort_onesweep_sort_config_static_selectorELNS0_4arch9wavefront6targetE0EEEvSG_.num_agpr, 0
	.set _ZN7rocprim17ROCPRIM_400000_NS6detail17trampoline_kernelINS0_14default_configENS1_35radix_sort_onesweep_config_selectorIfNS0_10empty_typeEEEZZNS1_29radix_sort_onesweep_iterationIS3_Lb0EPKfPfPS5_SB_mNS0_19identity_decomposerENS1_16block_id_wrapperIjLb1EEEEE10hipError_tT1_PNSt15iterator_traitsISG_E10value_typeET2_T3_PNSH_ISM_E10value_typeET4_T5_PSR_SS_PNS1_23onesweep_lookback_stateEbbT6_jjT7_P12ihipStream_tbENKUlT_T0_SG_SL_E_clISA_SA_SB_SB_EEDaSZ_S10_SG_SL_EUlSZ_E_NS1_11comp_targetILNS1_3genE6ELNS1_11target_archE950ELNS1_3gpuE13ELNS1_3repE0EEENS1_47radix_sort_onesweep_sort_config_static_selectorELNS0_4arch9wavefront6targetE0EEEvSG_.numbered_sgpr, 0
	.set _ZN7rocprim17ROCPRIM_400000_NS6detail17trampoline_kernelINS0_14default_configENS1_35radix_sort_onesweep_config_selectorIfNS0_10empty_typeEEEZZNS1_29radix_sort_onesweep_iterationIS3_Lb0EPKfPfPS5_SB_mNS0_19identity_decomposerENS1_16block_id_wrapperIjLb1EEEEE10hipError_tT1_PNSt15iterator_traitsISG_E10value_typeET2_T3_PNSH_ISM_E10value_typeET4_T5_PSR_SS_PNS1_23onesweep_lookback_stateEbbT6_jjT7_P12ihipStream_tbENKUlT_T0_SG_SL_E_clISA_SA_SB_SB_EEDaSZ_S10_SG_SL_EUlSZ_E_NS1_11comp_targetILNS1_3genE6ELNS1_11target_archE950ELNS1_3gpuE13ELNS1_3repE0EEENS1_47radix_sort_onesweep_sort_config_static_selectorELNS0_4arch9wavefront6targetE0EEEvSG_.num_named_barrier, 0
	.set _ZN7rocprim17ROCPRIM_400000_NS6detail17trampoline_kernelINS0_14default_configENS1_35radix_sort_onesweep_config_selectorIfNS0_10empty_typeEEEZZNS1_29radix_sort_onesweep_iterationIS3_Lb0EPKfPfPS5_SB_mNS0_19identity_decomposerENS1_16block_id_wrapperIjLb1EEEEE10hipError_tT1_PNSt15iterator_traitsISG_E10value_typeET2_T3_PNSH_ISM_E10value_typeET4_T5_PSR_SS_PNS1_23onesweep_lookback_stateEbbT6_jjT7_P12ihipStream_tbENKUlT_T0_SG_SL_E_clISA_SA_SB_SB_EEDaSZ_S10_SG_SL_EUlSZ_E_NS1_11comp_targetILNS1_3genE6ELNS1_11target_archE950ELNS1_3gpuE13ELNS1_3repE0EEENS1_47radix_sort_onesweep_sort_config_static_selectorELNS0_4arch9wavefront6targetE0EEEvSG_.private_seg_size, 0
	.set _ZN7rocprim17ROCPRIM_400000_NS6detail17trampoline_kernelINS0_14default_configENS1_35radix_sort_onesweep_config_selectorIfNS0_10empty_typeEEEZZNS1_29radix_sort_onesweep_iterationIS3_Lb0EPKfPfPS5_SB_mNS0_19identity_decomposerENS1_16block_id_wrapperIjLb1EEEEE10hipError_tT1_PNSt15iterator_traitsISG_E10value_typeET2_T3_PNSH_ISM_E10value_typeET4_T5_PSR_SS_PNS1_23onesweep_lookback_stateEbbT6_jjT7_P12ihipStream_tbENKUlT_T0_SG_SL_E_clISA_SA_SB_SB_EEDaSZ_S10_SG_SL_EUlSZ_E_NS1_11comp_targetILNS1_3genE6ELNS1_11target_archE950ELNS1_3gpuE13ELNS1_3repE0EEENS1_47radix_sort_onesweep_sort_config_static_selectorELNS0_4arch9wavefront6targetE0EEEvSG_.uses_vcc, 0
	.set _ZN7rocprim17ROCPRIM_400000_NS6detail17trampoline_kernelINS0_14default_configENS1_35radix_sort_onesweep_config_selectorIfNS0_10empty_typeEEEZZNS1_29radix_sort_onesweep_iterationIS3_Lb0EPKfPfPS5_SB_mNS0_19identity_decomposerENS1_16block_id_wrapperIjLb1EEEEE10hipError_tT1_PNSt15iterator_traitsISG_E10value_typeET2_T3_PNSH_ISM_E10value_typeET4_T5_PSR_SS_PNS1_23onesweep_lookback_stateEbbT6_jjT7_P12ihipStream_tbENKUlT_T0_SG_SL_E_clISA_SA_SB_SB_EEDaSZ_S10_SG_SL_EUlSZ_E_NS1_11comp_targetILNS1_3genE6ELNS1_11target_archE950ELNS1_3gpuE13ELNS1_3repE0EEENS1_47radix_sort_onesweep_sort_config_static_selectorELNS0_4arch9wavefront6targetE0EEEvSG_.uses_flat_scratch, 0
	.set _ZN7rocprim17ROCPRIM_400000_NS6detail17trampoline_kernelINS0_14default_configENS1_35radix_sort_onesweep_config_selectorIfNS0_10empty_typeEEEZZNS1_29radix_sort_onesweep_iterationIS3_Lb0EPKfPfPS5_SB_mNS0_19identity_decomposerENS1_16block_id_wrapperIjLb1EEEEE10hipError_tT1_PNSt15iterator_traitsISG_E10value_typeET2_T3_PNSH_ISM_E10value_typeET4_T5_PSR_SS_PNS1_23onesweep_lookback_stateEbbT6_jjT7_P12ihipStream_tbENKUlT_T0_SG_SL_E_clISA_SA_SB_SB_EEDaSZ_S10_SG_SL_EUlSZ_E_NS1_11comp_targetILNS1_3genE6ELNS1_11target_archE950ELNS1_3gpuE13ELNS1_3repE0EEENS1_47radix_sort_onesweep_sort_config_static_selectorELNS0_4arch9wavefront6targetE0EEEvSG_.has_dyn_sized_stack, 0
	.set _ZN7rocprim17ROCPRIM_400000_NS6detail17trampoline_kernelINS0_14default_configENS1_35radix_sort_onesweep_config_selectorIfNS0_10empty_typeEEEZZNS1_29radix_sort_onesweep_iterationIS3_Lb0EPKfPfPS5_SB_mNS0_19identity_decomposerENS1_16block_id_wrapperIjLb1EEEEE10hipError_tT1_PNSt15iterator_traitsISG_E10value_typeET2_T3_PNSH_ISM_E10value_typeET4_T5_PSR_SS_PNS1_23onesweep_lookback_stateEbbT6_jjT7_P12ihipStream_tbENKUlT_T0_SG_SL_E_clISA_SA_SB_SB_EEDaSZ_S10_SG_SL_EUlSZ_E_NS1_11comp_targetILNS1_3genE6ELNS1_11target_archE950ELNS1_3gpuE13ELNS1_3repE0EEENS1_47radix_sort_onesweep_sort_config_static_selectorELNS0_4arch9wavefront6targetE0EEEvSG_.has_recursion, 0
	.set _ZN7rocprim17ROCPRIM_400000_NS6detail17trampoline_kernelINS0_14default_configENS1_35radix_sort_onesweep_config_selectorIfNS0_10empty_typeEEEZZNS1_29radix_sort_onesweep_iterationIS3_Lb0EPKfPfPS5_SB_mNS0_19identity_decomposerENS1_16block_id_wrapperIjLb1EEEEE10hipError_tT1_PNSt15iterator_traitsISG_E10value_typeET2_T3_PNSH_ISM_E10value_typeET4_T5_PSR_SS_PNS1_23onesweep_lookback_stateEbbT6_jjT7_P12ihipStream_tbENKUlT_T0_SG_SL_E_clISA_SA_SB_SB_EEDaSZ_S10_SG_SL_EUlSZ_E_NS1_11comp_targetILNS1_3genE6ELNS1_11target_archE950ELNS1_3gpuE13ELNS1_3repE0EEENS1_47radix_sort_onesweep_sort_config_static_selectorELNS0_4arch9wavefront6targetE0EEEvSG_.has_indirect_call, 0
	.section	.AMDGPU.csdata,"",@progbits
; Kernel info:
; codeLenInByte = 0
; TotalNumSgprs: 0
; NumVgprs: 0
; ScratchSize: 0
; MemoryBound: 0
; FloatMode: 240
; IeeeMode: 1
; LDSByteSize: 0 bytes/workgroup (compile time only)
; SGPRBlocks: 0
; VGPRBlocks: 0
; NumSGPRsForWavesPerEU: 1
; NumVGPRsForWavesPerEU: 1
; NamedBarCnt: 0
; Occupancy: 16
; WaveLimiterHint : 0
; COMPUTE_PGM_RSRC2:SCRATCH_EN: 0
; COMPUTE_PGM_RSRC2:USER_SGPR: 2
; COMPUTE_PGM_RSRC2:TRAP_HANDLER: 0
; COMPUTE_PGM_RSRC2:TGID_X_EN: 1
; COMPUTE_PGM_RSRC2:TGID_Y_EN: 0
; COMPUTE_PGM_RSRC2:TGID_Z_EN: 0
; COMPUTE_PGM_RSRC2:TIDIG_COMP_CNT: 0
	.section	.text._ZN7rocprim17ROCPRIM_400000_NS6detail17trampoline_kernelINS0_14default_configENS1_35radix_sort_onesweep_config_selectorIfNS0_10empty_typeEEEZZNS1_29radix_sort_onesweep_iterationIS3_Lb0EPKfPfPS5_SB_mNS0_19identity_decomposerENS1_16block_id_wrapperIjLb1EEEEE10hipError_tT1_PNSt15iterator_traitsISG_E10value_typeET2_T3_PNSH_ISM_E10value_typeET4_T5_PSR_SS_PNS1_23onesweep_lookback_stateEbbT6_jjT7_P12ihipStream_tbENKUlT_T0_SG_SL_E_clISA_SA_SB_SB_EEDaSZ_S10_SG_SL_EUlSZ_E_NS1_11comp_targetILNS1_3genE5ELNS1_11target_archE942ELNS1_3gpuE9ELNS1_3repE0EEENS1_47radix_sort_onesweep_sort_config_static_selectorELNS0_4arch9wavefront6targetE0EEEvSG_,"axG",@progbits,_ZN7rocprim17ROCPRIM_400000_NS6detail17trampoline_kernelINS0_14default_configENS1_35radix_sort_onesweep_config_selectorIfNS0_10empty_typeEEEZZNS1_29radix_sort_onesweep_iterationIS3_Lb0EPKfPfPS5_SB_mNS0_19identity_decomposerENS1_16block_id_wrapperIjLb1EEEEE10hipError_tT1_PNSt15iterator_traitsISG_E10value_typeET2_T3_PNSH_ISM_E10value_typeET4_T5_PSR_SS_PNS1_23onesweep_lookback_stateEbbT6_jjT7_P12ihipStream_tbENKUlT_T0_SG_SL_E_clISA_SA_SB_SB_EEDaSZ_S10_SG_SL_EUlSZ_E_NS1_11comp_targetILNS1_3genE5ELNS1_11target_archE942ELNS1_3gpuE9ELNS1_3repE0EEENS1_47radix_sort_onesweep_sort_config_static_selectorELNS0_4arch9wavefront6targetE0EEEvSG_,comdat
	.protected	_ZN7rocprim17ROCPRIM_400000_NS6detail17trampoline_kernelINS0_14default_configENS1_35radix_sort_onesweep_config_selectorIfNS0_10empty_typeEEEZZNS1_29radix_sort_onesweep_iterationIS3_Lb0EPKfPfPS5_SB_mNS0_19identity_decomposerENS1_16block_id_wrapperIjLb1EEEEE10hipError_tT1_PNSt15iterator_traitsISG_E10value_typeET2_T3_PNSH_ISM_E10value_typeET4_T5_PSR_SS_PNS1_23onesweep_lookback_stateEbbT6_jjT7_P12ihipStream_tbENKUlT_T0_SG_SL_E_clISA_SA_SB_SB_EEDaSZ_S10_SG_SL_EUlSZ_E_NS1_11comp_targetILNS1_3genE5ELNS1_11target_archE942ELNS1_3gpuE9ELNS1_3repE0EEENS1_47radix_sort_onesweep_sort_config_static_selectorELNS0_4arch9wavefront6targetE0EEEvSG_ ; -- Begin function _ZN7rocprim17ROCPRIM_400000_NS6detail17trampoline_kernelINS0_14default_configENS1_35radix_sort_onesweep_config_selectorIfNS0_10empty_typeEEEZZNS1_29radix_sort_onesweep_iterationIS3_Lb0EPKfPfPS5_SB_mNS0_19identity_decomposerENS1_16block_id_wrapperIjLb1EEEEE10hipError_tT1_PNSt15iterator_traitsISG_E10value_typeET2_T3_PNSH_ISM_E10value_typeET4_T5_PSR_SS_PNS1_23onesweep_lookback_stateEbbT6_jjT7_P12ihipStream_tbENKUlT_T0_SG_SL_E_clISA_SA_SB_SB_EEDaSZ_S10_SG_SL_EUlSZ_E_NS1_11comp_targetILNS1_3genE5ELNS1_11target_archE942ELNS1_3gpuE9ELNS1_3repE0EEENS1_47radix_sort_onesweep_sort_config_static_selectorELNS0_4arch9wavefront6targetE0EEEvSG_
	.globl	_ZN7rocprim17ROCPRIM_400000_NS6detail17trampoline_kernelINS0_14default_configENS1_35radix_sort_onesweep_config_selectorIfNS0_10empty_typeEEEZZNS1_29radix_sort_onesweep_iterationIS3_Lb0EPKfPfPS5_SB_mNS0_19identity_decomposerENS1_16block_id_wrapperIjLb1EEEEE10hipError_tT1_PNSt15iterator_traitsISG_E10value_typeET2_T3_PNSH_ISM_E10value_typeET4_T5_PSR_SS_PNS1_23onesweep_lookback_stateEbbT6_jjT7_P12ihipStream_tbENKUlT_T0_SG_SL_E_clISA_SA_SB_SB_EEDaSZ_S10_SG_SL_EUlSZ_E_NS1_11comp_targetILNS1_3genE5ELNS1_11target_archE942ELNS1_3gpuE9ELNS1_3repE0EEENS1_47radix_sort_onesweep_sort_config_static_selectorELNS0_4arch9wavefront6targetE0EEEvSG_
	.p2align	8
	.type	_ZN7rocprim17ROCPRIM_400000_NS6detail17trampoline_kernelINS0_14default_configENS1_35radix_sort_onesweep_config_selectorIfNS0_10empty_typeEEEZZNS1_29radix_sort_onesweep_iterationIS3_Lb0EPKfPfPS5_SB_mNS0_19identity_decomposerENS1_16block_id_wrapperIjLb1EEEEE10hipError_tT1_PNSt15iterator_traitsISG_E10value_typeET2_T3_PNSH_ISM_E10value_typeET4_T5_PSR_SS_PNS1_23onesweep_lookback_stateEbbT6_jjT7_P12ihipStream_tbENKUlT_T0_SG_SL_E_clISA_SA_SB_SB_EEDaSZ_S10_SG_SL_EUlSZ_E_NS1_11comp_targetILNS1_3genE5ELNS1_11target_archE942ELNS1_3gpuE9ELNS1_3repE0EEENS1_47radix_sort_onesweep_sort_config_static_selectorELNS0_4arch9wavefront6targetE0EEEvSG_,@function
_ZN7rocprim17ROCPRIM_400000_NS6detail17trampoline_kernelINS0_14default_configENS1_35radix_sort_onesweep_config_selectorIfNS0_10empty_typeEEEZZNS1_29radix_sort_onesweep_iterationIS3_Lb0EPKfPfPS5_SB_mNS0_19identity_decomposerENS1_16block_id_wrapperIjLb1EEEEE10hipError_tT1_PNSt15iterator_traitsISG_E10value_typeET2_T3_PNSH_ISM_E10value_typeET4_T5_PSR_SS_PNS1_23onesweep_lookback_stateEbbT6_jjT7_P12ihipStream_tbENKUlT_T0_SG_SL_E_clISA_SA_SB_SB_EEDaSZ_S10_SG_SL_EUlSZ_E_NS1_11comp_targetILNS1_3genE5ELNS1_11target_archE942ELNS1_3gpuE9ELNS1_3repE0EEENS1_47radix_sort_onesweep_sort_config_static_selectorELNS0_4arch9wavefront6targetE0EEEvSG_: ; @_ZN7rocprim17ROCPRIM_400000_NS6detail17trampoline_kernelINS0_14default_configENS1_35radix_sort_onesweep_config_selectorIfNS0_10empty_typeEEEZZNS1_29radix_sort_onesweep_iterationIS3_Lb0EPKfPfPS5_SB_mNS0_19identity_decomposerENS1_16block_id_wrapperIjLb1EEEEE10hipError_tT1_PNSt15iterator_traitsISG_E10value_typeET2_T3_PNSH_ISM_E10value_typeET4_T5_PSR_SS_PNS1_23onesweep_lookback_stateEbbT6_jjT7_P12ihipStream_tbENKUlT_T0_SG_SL_E_clISA_SA_SB_SB_EEDaSZ_S10_SG_SL_EUlSZ_E_NS1_11comp_targetILNS1_3genE5ELNS1_11target_archE942ELNS1_3gpuE9ELNS1_3repE0EEENS1_47radix_sort_onesweep_sort_config_static_selectorELNS0_4arch9wavefront6targetE0EEEvSG_
; %bb.0:
	.section	.rodata,"a",@progbits
	.p2align	6, 0x0
	.amdhsa_kernel _ZN7rocprim17ROCPRIM_400000_NS6detail17trampoline_kernelINS0_14default_configENS1_35radix_sort_onesweep_config_selectorIfNS0_10empty_typeEEEZZNS1_29radix_sort_onesweep_iterationIS3_Lb0EPKfPfPS5_SB_mNS0_19identity_decomposerENS1_16block_id_wrapperIjLb1EEEEE10hipError_tT1_PNSt15iterator_traitsISG_E10value_typeET2_T3_PNSH_ISM_E10value_typeET4_T5_PSR_SS_PNS1_23onesweep_lookback_stateEbbT6_jjT7_P12ihipStream_tbENKUlT_T0_SG_SL_E_clISA_SA_SB_SB_EEDaSZ_S10_SG_SL_EUlSZ_E_NS1_11comp_targetILNS1_3genE5ELNS1_11target_archE942ELNS1_3gpuE9ELNS1_3repE0EEENS1_47radix_sort_onesweep_sort_config_static_selectorELNS0_4arch9wavefront6targetE0EEEvSG_
		.amdhsa_group_segment_fixed_size 0
		.amdhsa_private_segment_fixed_size 0
		.amdhsa_kernarg_size 88
		.amdhsa_user_sgpr_count 2
		.amdhsa_user_sgpr_dispatch_ptr 0
		.amdhsa_user_sgpr_queue_ptr 0
		.amdhsa_user_sgpr_kernarg_segment_ptr 1
		.amdhsa_user_sgpr_dispatch_id 0
		.amdhsa_user_sgpr_kernarg_preload_length 0
		.amdhsa_user_sgpr_kernarg_preload_offset 0
		.amdhsa_user_sgpr_private_segment_size 0
		.amdhsa_wavefront_size32 1
		.amdhsa_uses_dynamic_stack 0
		.amdhsa_enable_private_segment 0
		.amdhsa_system_sgpr_workgroup_id_x 1
		.amdhsa_system_sgpr_workgroup_id_y 0
		.amdhsa_system_sgpr_workgroup_id_z 0
		.amdhsa_system_sgpr_workgroup_info 0
		.amdhsa_system_vgpr_workitem_id 0
		.amdhsa_next_free_vgpr 1
		.amdhsa_next_free_sgpr 1
		.amdhsa_named_barrier_count 0
		.amdhsa_reserve_vcc 0
		.amdhsa_float_round_mode_32 0
		.amdhsa_float_round_mode_16_64 0
		.amdhsa_float_denorm_mode_32 3
		.amdhsa_float_denorm_mode_16_64 3
		.amdhsa_fp16_overflow 0
		.amdhsa_memory_ordered 1
		.amdhsa_forward_progress 1
		.amdhsa_inst_pref_size 0
		.amdhsa_round_robin_scheduling 0
		.amdhsa_exception_fp_ieee_invalid_op 0
		.amdhsa_exception_fp_denorm_src 0
		.amdhsa_exception_fp_ieee_div_zero 0
		.amdhsa_exception_fp_ieee_overflow 0
		.amdhsa_exception_fp_ieee_underflow 0
		.amdhsa_exception_fp_ieee_inexact 0
		.amdhsa_exception_int_div_zero 0
	.end_amdhsa_kernel
	.section	.text._ZN7rocprim17ROCPRIM_400000_NS6detail17trampoline_kernelINS0_14default_configENS1_35radix_sort_onesweep_config_selectorIfNS0_10empty_typeEEEZZNS1_29radix_sort_onesweep_iterationIS3_Lb0EPKfPfPS5_SB_mNS0_19identity_decomposerENS1_16block_id_wrapperIjLb1EEEEE10hipError_tT1_PNSt15iterator_traitsISG_E10value_typeET2_T3_PNSH_ISM_E10value_typeET4_T5_PSR_SS_PNS1_23onesweep_lookback_stateEbbT6_jjT7_P12ihipStream_tbENKUlT_T0_SG_SL_E_clISA_SA_SB_SB_EEDaSZ_S10_SG_SL_EUlSZ_E_NS1_11comp_targetILNS1_3genE5ELNS1_11target_archE942ELNS1_3gpuE9ELNS1_3repE0EEENS1_47radix_sort_onesweep_sort_config_static_selectorELNS0_4arch9wavefront6targetE0EEEvSG_,"axG",@progbits,_ZN7rocprim17ROCPRIM_400000_NS6detail17trampoline_kernelINS0_14default_configENS1_35radix_sort_onesweep_config_selectorIfNS0_10empty_typeEEEZZNS1_29radix_sort_onesweep_iterationIS3_Lb0EPKfPfPS5_SB_mNS0_19identity_decomposerENS1_16block_id_wrapperIjLb1EEEEE10hipError_tT1_PNSt15iterator_traitsISG_E10value_typeET2_T3_PNSH_ISM_E10value_typeET4_T5_PSR_SS_PNS1_23onesweep_lookback_stateEbbT6_jjT7_P12ihipStream_tbENKUlT_T0_SG_SL_E_clISA_SA_SB_SB_EEDaSZ_S10_SG_SL_EUlSZ_E_NS1_11comp_targetILNS1_3genE5ELNS1_11target_archE942ELNS1_3gpuE9ELNS1_3repE0EEENS1_47radix_sort_onesweep_sort_config_static_selectorELNS0_4arch9wavefront6targetE0EEEvSG_,comdat
.Lfunc_end1417:
	.size	_ZN7rocprim17ROCPRIM_400000_NS6detail17trampoline_kernelINS0_14default_configENS1_35radix_sort_onesweep_config_selectorIfNS0_10empty_typeEEEZZNS1_29radix_sort_onesweep_iterationIS3_Lb0EPKfPfPS5_SB_mNS0_19identity_decomposerENS1_16block_id_wrapperIjLb1EEEEE10hipError_tT1_PNSt15iterator_traitsISG_E10value_typeET2_T3_PNSH_ISM_E10value_typeET4_T5_PSR_SS_PNS1_23onesweep_lookback_stateEbbT6_jjT7_P12ihipStream_tbENKUlT_T0_SG_SL_E_clISA_SA_SB_SB_EEDaSZ_S10_SG_SL_EUlSZ_E_NS1_11comp_targetILNS1_3genE5ELNS1_11target_archE942ELNS1_3gpuE9ELNS1_3repE0EEENS1_47radix_sort_onesweep_sort_config_static_selectorELNS0_4arch9wavefront6targetE0EEEvSG_, .Lfunc_end1417-_ZN7rocprim17ROCPRIM_400000_NS6detail17trampoline_kernelINS0_14default_configENS1_35radix_sort_onesweep_config_selectorIfNS0_10empty_typeEEEZZNS1_29radix_sort_onesweep_iterationIS3_Lb0EPKfPfPS5_SB_mNS0_19identity_decomposerENS1_16block_id_wrapperIjLb1EEEEE10hipError_tT1_PNSt15iterator_traitsISG_E10value_typeET2_T3_PNSH_ISM_E10value_typeET4_T5_PSR_SS_PNS1_23onesweep_lookback_stateEbbT6_jjT7_P12ihipStream_tbENKUlT_T0_SG_SL_E_clISA_SA_SB_SB_EEDaSZ_S10_SG_SL_EUlSZ_E_NS1_11comp_targetILNS1_3genE5ELNS1_11target_archE942ELNS1_3gpuE9ELNS1_3repE0EEENS1_47radix_sort_onesweep_sort_config_static_selectorELNS0_4arch9wavefront6targetE0EEEvSG_
                                        ; -- End function
	.set _ZN7rocprim17ROCPRIM_400000_NS6detail17trampoline_kernelINS0_14default_configENS1_35radix_sort_onesweep_config_selectorIfNS0_10empty_typeEEEZZNS1_29radix_sort_onesweep_iterationIS3_Lb0EPKfPfPS5_SB_mNS0_19identity_decomposerENS1_16block_id_wrapperIjLb1EEEEE10hipError_tT1_PNSt15iterator_traitsISG_E10value_typeET2_T3_PNSH_ISM_E10value_typeET4_T5_PSR_SS_PNS1_23onesweep_lookback_stateEbbT6_jjT7_P12ihipStream_tbENKUlT_T0_SG_SL_E_clISA_SA_SB_SB_EEDaSZ_S10_SG_SL_EUlSZ_E_NS1_11comp_targetILNS1_3genE5ELNS1_11target_archE942ELNS1_3gpuE9ELNS1_3repE0EEENS1_47radix_sort_onesweep_sort_config_static_selectorELNS0_4arch9wavefront6targetE0EEEvSG_.num_vgpr, 0
	.set _ZN7rocprim17ROCPRIM_400000_NS6detail17trampoline_kernelINS0_14default_configENS1_35radix_sort_onesweep_config_selectorIfNS0_10empty_typeEEEZZNS1_29radix_sort_onesweep_iterationIS3_Lb0EPKfPfPS5_SB_mNS0_19identity_decomposerENS1_16block_id_wrapperIjLb1EEEEE10hipError_tT1_PNSt15iterator_traitsISG_E10value_typeET2_T3_PNSH_ISM_E10value_typeET4_T5_PSR_SS_PNS1_23onesweep_lookback_stateEbbT6_jjT7_P12ihipStream_tbENKUlT_T0_SG_SL_E_clISA_SA_SB_SB_EEDaSZ_S10_SG_SL_EUlSZ_E_NS1_11comp_targetILNS1_3genE5ELNS1_11target_archE942ELNS1_3gpuE9ELNS1_3repE0EEENS1_47radix_sort_onesweep_sort_config_static_selectorELNS0_4arch9wavefront6targetE0EEEvSG_.num_agpr, 0
	.set _ZN7rocprim17ROCPRIM_400000_NS6detail17trampoline_kernelINS0_14default_configENS1_35radix_sort_onesweep_config_selectorIfNS0_10empty_typeEEEZZNS1_29radix_sort_onesweep_iterationIS3_Lb0EPKfPfPS5_SB_mNS0_19identity_decomposerENS1_16block_id_wrapperIjLb1EEEEE10hipError_tT1_PNSt15iterator_traitsISG_E10value_typeET2_T3_PNSH_ISM_E10value_typeET4_T5_PSR_SS_PNS1_23onesweep_lookback_stateEbbT6_jjT7_P12ihipStream_tbENKUlT_T0_SG_SL_E_clISA_SA_SB_SB_EEDaSZ_S10_SG_SL_EUlSZ_E_NS1_11comp_targetILNS1_3genE5ELNS1_11target_archE942ELNS1_3gpuE9ELNS1_3repE0EEENS1_47radix_sort_onesweep_sort_config_static_selectorELNS0_4arch9wavefront6targetE0EEEvSG_.numbered_sgpr, 0
	.set _ZN7rocprim17ROCPRIM_400000_NS6detail17trampoline_kernelINS0_14default_configENS1_35radix_sort_onesweep_config_selectorIfNS0_10empty_typeEEEZZNS1_29radix_sort_onesweep_iterationIS3_Lb0EPKfPfPS5_SB_mNS0_19identity_decomposerENS1_16block_id_wrapperIjLb1EEEEE10hipError_tT1_PNSt15iterator_traitsISG_E10value_typeET2_T3_PNSH_ISM_E10value_typeET4_T5_PSR_SS_PNS1_23onesweep_lookback_stateEbbT6_jjT7_P12ihipStream_tbENKUlT_T0_SG_SL_E_clISA_SA_SB_SB_EEDaSZ_S10_SG_SL_EUlSZ_E_NS1_11comp_targetILNS1_3genE5ELNS1_11target_archE942ELNS1_3gpuE9ELNS1_3repE0EEENS1_47radix_sort_onesweep_sort_config_static_selectorELNS0_4arch9wavefront6targetE0EEEvSG_.num_named_barrier, 0
	.set _ZN7rocprim17ROCPRIM_400000_NS6detail17trampoline_kernelINS0_14default_configENS1_35radix_sort_onesweep_config_selectorIfNS0_10empty_typeEEEZZNS1_29radix_sort_onesweep_iterationIS3_Lb0EPKfPfPS5_SB_mNS0_19identity_decomposerENS1_16block_id_wrapperIjLb1EEEEE10hipError_tT1_PNSt15iterator_traitsISG_E10value_typeET2_T3_PNSH_ISM_E10value_typeET4_T5_PSR_SS_PNS1_23onesweep_lookback_stateEbbT6_jjT7_P12ihipStream_tbENKUlT_T0_SG_SL_E_clISA_SA_SB_SB_EEDaSZ_S10_SG_SL_EUlSZ_E_NS1_11comp_targetILNS1_3genE5ELNS1_11target_archE942ELNS1_3gpuE9ELNS1_3repE0EEENS1_47radix_sort_onesweep_sort_config_static_selectorELNS0_4arch9wavefront6targetE0EEEvSG_.private_seg_size, 0
	.set _ZN7rocprim17ROCPRIM_400000_NS6detail17trampoline_kernelINS0_14default_configENS1_35radix_sort_onesweep_config_selectorIfNS0_10empty_typeEEEZZNS1_29radix_sort_onesweep_iterationIS3_Lb0EPKfPfPS5_SB_mNS0_19identity_decomposerENS1_16block_id_wrapperIjLb1EEEEE10hipError_tT1_PNSt15iterator_traitsISG_E10value_typeET2_T3_PNSH_ISM_E10value_typeET4_T5_PSR_SS_PNS1_23onesweep_lookback_stateEbbT6_jjT7_P12ihipStream_tbENKUlT_T0_SG_SL_E_clISA_SA_SB_SB_EEDaSZ_S10_SG_SL_EUlSZ_E_NS1_11comp_targetILNS1_3genE5ELNS1_11target_archE942ELNS1_3gpuE9ELNS1_3repE0EEENS1_47radix_sort_onesweep_sort_config_static_selectorELNS0_4arch9wavefront6targetE0EEEvSG_.uses_vcc, 0
	.set _ZN7rocprim17ROCPRIM_400000_NS6detail17trampoline_kernelINS0_14default_configENS1_35radix_sort_onesweep_config_selectorIfNS0_10empty_typeEEEZZNS1_29radix_sort_onesweep_iterationIS3_Lb0EPKfPfPS5_SB_mNS0_19identity_decomposerENS1_16block_id_wrapperIjLb1EEEEE10hipError_tT1_PNSt15iterator_traitsISG_E10value_typeET2_T3_PNSH_ISM_E10value_typeET4_T5_PSR_SS_PNS1_23onesweep_lookback_stateEbbT6_jjT7_P12ihipStream_tbENKUlT_T0_SG_SL_E_clISA_SA_SB_SB_EEDaSZ_S10_SG_SL_EUlSZ_E_NS1_11comp_targetILNS1_3genE5ELNS1_11target_archE942ELNS1_3gpuE9ELNS1_3repE0EEENS1_47radix_sort_onesweep_sort_config_static_selectorELNS0_4arch9wavefront6targetE0EEEvSG_.uses_flat_scratch, 0
	.set _ZN7rocprim17ROCPRIM_400000_NS6detail17trampoline_kernelINS0_14default_configENS1_35radix_sort_onesweep_config_selectorIfNS0_10empty_typeEEEZZNS1_29radix_sort_onesweep_iterationIS3_Lb0EPKfPfPS5_SB_mNS0_19identity_decomposerENS1_16block_id_wrapperIjLb1EEEEE10hipError_tT1_PNSt15iterator_traitsISG_E10value_typeET2_T3_PNSH_ISM_E10value_typeET4_T5_PSR_SS_PNS1_23onesweep_lookback_stateEbbT6_jjT7_P12ihipStream_tbENKUlT_T0_SG_SL_E_clISA_SA_SB_SB_EEDaSZ_S10_SG_SL_EUlSZ_E_NS1_11comp_targetILNS1_3genE5ELNS1_11target_archE942ELNS1_3gpuE9ELNS1_3repE0EEENS1_47radix_sort_onesweep_sort_config_static_selectorELNS0_4arch9wavefront6targetE0EEEvSG_.has_dyn_sized_stack, 0
	.set _ZN7rocprim17ROCPRIM_400000_NS6detail17trampoline_kernelINS0_14default_configENS1_35radix_sort_onesweep_config_selectorIfNS0_10empty_typeEEEZZNS1_29radix_sort_onesweep_iterationIS3_Lb0EPKfPfPS5_SB_mNS0_19identity_decomposerENS1_16block_id_wrapperIjLb1EEEEE10hipError_tT1_PNSt15iterator_traitsISG_E10value_typeET2_T3_PNSH_ISM_E10value_typeET4_T5_PSR_SS_PNS1_23onesweep_lookback_stateEbbT6_jjT7_P12ihipStream_tbENKUlT_T0_SG_SL_E_clISA_SA_SB_SB_EEDaSZ_S10_SG_SL_EUlSZ_E_NS1_11comp_targetILNS1_3genE5ELNS1_11target_archE942ELNS1_3gpuE9ELNS1_3repE0EEENS1_47radix_sort_onesweep_sort_config_static_selectorELNS0_4arch9wavefront6targetE0EEEvSG_.has_recursion, 0
	.set _ZN7rocprim17ROCPRIM_400000_NS6detail17trampoline_kernelINS0_14default_configENS1_35radix_sort_onesweep_config_selectorIfNS0_10empty_typeEEEZZNS1_29radix_sort_onesweep_iterationIS3_Lb0EPKfPfPS5_SB_mNS0_19identity_decomposerENS1_16block_id_wrapperIjLb1EEEEE10hipError_tT1_PNSt15iterator_traitsISG_E10value_typeET2_T3_PNSH_ISM_E10value_typeET4_T5_PSR_SS_PNS1_23onesweep_lookback_stateEbbT6_jjT7_P12ihipStream_tbENKUlT_T0_SG_SL_E_clISA_SA_SB_SB_EEDaSZ_S10_SG_SL_EUlSZ_E_NS1_11comp_targetILNS1_3genE5ELNS1_11target_archE942ELNS1_3gpuE9ELNS1_3repE0EEENS1_47radix_sort_onesweep_sort_config_static_selectorELNS0_4arch9wavefront6targetE0EEEvSG_.has_indirect_call, 0
	.section	.AMDGPU.csdata,"",@progbits
; Kernel info:
; codeLenInByte = 0
; TotalNumSgprs: 0
; NumVgprs: 0
; ScratchSize: 0
; MemoryBound: 0
; FloatMode: 240
; IeeeMode: 1
; LDSByteSize: 0 bytes/workgroup (compile time only)
; SGPRBlocks: 0
; VGPRBlocks: 0
; NumSGPRsForWavesPerEU: 1
; NumVGPRsForWavesPerEU: 1
; NamedBarCnt: 0
; Occupancy: 16
; WaveLimiterHint : 0
; COMPUTE_PGM_RSRC2:SCRATCH_EN: 0
; COMPUTE_PGM_RSRC2:USER_SGPR: 2
; COMPUTE_PGM_RSRC2:TRAP_HANDLER: 0
; COMPUTE_PGM_RSRC2:TGID_X_EN: 1
; COMPUTE_PGM_RSRC2:TGID_Y_EN: 0
; COMPUTE_PGM_RSRC2:TGID_Z_EN: 0
; COMPUTE_PGM_RSRC2:TIDIG_COMP_CNT: 0
	.section	.text._ZN7rocprim17ROCPRIM_400000_NS6detail17trampoline_kernelINS0_14default_configENS1_35radix_sort_onesweep_config_selectorIfNS0_10empty_typeEEEZZNS1_29radix_sort_onesweep_iterationIS3_Lb0EPKfPfPS5_SB_mNS0_19identity_decomposerENS1_16block_id_wrapperIjLb1EEEEE10hipError_tT1_PNSt15iterator_traitsISG_E10value_typeET2_T3_PNSH_ISM_E10value_typeET4_T5_PSR_SS_PNS1_23onesweep_lookback_stateEbbT6_jjT7_P12ihipStream_tbENKUlT_T0_SG_SL_E_clISA_SA_SB_SB_EEDaSZ_S10_SG_SL_EUlSZ_E_NS1_11comp_targetILNS1_3genE2ELNS1_11target_archE906ELNS1_3gpuE6ELNS1_3repE0EEENS1_47radix_sort_onesweep_sort_config_static_selectorELNS0_4arch9wavefront6targetE0EEEvSG_,"axG",@progbits,_ZN7rocprim17ROCPRIM_400000_NS6detail17trampoline_kernelINS0_14default_configENS1_35radix_sort_onesweep_config_selectorIfNS0_10empty_typeEEEZZNS1_29radix_sort_onesweep_iterationIS3_Lb0EPKfPfPS5_SB_mNS0_19identity_decomposerENS1_16block_id_wrapperIjLb1EEEEE10hipError_tT1_PNSt15iterator_traitsISG_E10value_typeET2_T3_PNSH_ISM_E10value_typeET4_T5_PSR_SS_PNS1_23onesweep_lookback_stateEbbT6_jjT7_P12ihipStream_tbENKUlT_T0_SG_SL_E_clISA_SA_SB_SB_EEDaSZ_S10_SG_SL_EUlSZ_E_NS1_11comp_targetILNS1_3genE2ELNS1_11target_archE906ELNS1_3gpuE6ELNS1_3repE0EEENS1_47radix_sort_onesweep_sort_config_static_selectorELNS0_4arch9wavefront6targetE0EEEvSG_,comdat
	.protected	_ZN7rocprim17ROCPRIM_400000_NS6detail17trampoline_kernelINS0_14default_configENS1_35radix_sort_onesweep_config_selectorIfNS0_10empty_typeEEEZZNS1_29radix_sort_onesweep_iterationIS3_Lb0EPKfPfPS5_SB_mNS0_19identity_decomposerENS1_16block_id_wrapperIjLb1EEEEE10hipError_tT1_PNSt15iterator_traitsISG_E10value_typeET2_T3_PNSH_ISM_E10value_typeET4_T5_PSR_SS_PNS1_23onesweep_lookback_stateEbbT6_jjT7_P12ihipStream_tbENKUlT_T0_SG_SL_E_clISA_SA_SB_SB_EEDaSZ_S10_SG_SL_EUlSZ_E_NS1_11comp_targetILNS1_3genE2ELNS1_11target_archE906ELNS1_3gpuE6ELNS1_3repE0EEENS1_47radix_sort_onesweep_sort_config_static_selectorELNS0_4arch9wavefront6targetE0EEEvSG_ ; -- Begin function _ZN7rocprim17ROCPRIM_400000_NS6detail17trampoline_kernelINS0_14default_configENS1_35radix_sort_onesweep_config_selectorIfNS0_10empty_typeEEEZZNS1_29radix_sort_onesweep_iterationIS3_Lb0EPKfPfPS5_SB_mNS0_19identity_decomposerENS1_16block_id_wrapperIjLb1EEEEE10hipError_tT1_PNSt15iterator_traitsISG_E10value_typeET2_T3_PNSH_ISM_E10value_typeET4_T5_PSR_SS_PNS1_23onesweep_lookback_stateEbbT6_jjT7_P12ihipStream_tbENKUlT_T0_SG_SL_E_clISA_SA_SB_SB_EEDaSZ_S10_SG_SL_EUlSZ_E_NS1_11comp_targetILNS1_3genE2ELNS1_11target_archE906ELNS1_3gpuE6ELNS1_3repE0EEENS1_47radix_sort_onesweep_sort_config_static_selectorELNS0_4arch9wavefront6targetE0EEEvSG_
	.globl	_ZN7rocprim17ROCPRIM_400000_NS6detail17trampoline_kernelINS0_14default_configENS1_35radix_sort_onesweep_config_selectorIfNS0_10empty_typeEEEZZNS1_29radix_sort_onesweep_iterationIS3_Lb0EPKfPfPS5_SB_mNS0_19identity_decomposerENS1_16block_id_wrapperIjLb1EEEEE10hipError_tT1_PNSt15iterator_traitsISG_E10value_typeET2_T3_PNSH_ISM_E10value_typeET4_T5_PSR_SS_PNS1_23onesweep_lookback_stateEbbT6_jjT7_P12ihipStream_tbENKUlT_T0_SG_SL_E_clISA_SA_SB_SB_EEDaSZ_S10_SG_SL_EUlSZ_E_NS1_11comp_targetILNS1_3genE2ELNS1_11target_archE906ELNS1_3gpuE6ELNS1_3repE0EEENS1_47radix_sort_onesweep_sort_config_static_selectorELNS0_4arch9wavefront6targetE0EEEvSG_
	.p2align	8
	.type	_ZN7rocprim17ROCPRIM_400000_NS6detail17trampoline_kernelINS0_14default_configENS1_35radix_sort_onesweep_config_selectorIfNS0_10empty_typeEEEZZNS1_29radix_sort_onesweep_iterationIS3_Lb0EPKfPfPS5_SB_mNS0_19identity_decomposerENS1_16block_id_wrapperIjLb1EEEEE10hipError_tT1_PNSt15iterator_traitsISG_E10value_typeET2_T3_PNSH_ISM_E10value_typeET4_T5_PSR_SS_PNS1_23onesweep_lookback_stateEbbT6_jjT7_P12ihipStream_tbENKUlT_T0_SG_SL_E_clISA_SA_SB_SB_EEDaSZ_S10_SG_SL_EUlSZ_E_NS1_11comp_targetILNS1_3genE2ELNS1_11target_archE906ELNS1_3gpuE6ELNS1_3repE0EEENS1_47radix_sort_onesweep_sort_config_static_selectorELNS0_4arch9wavefront6targetE0EEEvSG_,@function
_ZN7rocprim17ROCPRIM_400000_NS6detail17trampoline_kernelINS0_14default_configENS1_35radix_sort_onesweep_config_selectorIfNS0_10empty_typeEEEZZNS1_29radix_sort_onesweep_iterationIS3_Lb0EPKfPfPS5_SB_mNS0_19identity_decomposerENS1_16block_id_wrapperIjLb1EEEEE10hipError_tT1_PNSt15iterator_traitsISG_E10value_typeET2_T3_PNSH_ISM_E10value_typeET4_T5_PSR_SS_PNS1_23onesweep_lookback_stateEbbT6_jjT7_P12ihipStream_tbENKUlT_T0_SG_SL_E_clISA_SA_SB_SB_EEDaSZ_S10_SG_SL_EUlSZ_E_NS1_11comp_targetILNS1_3genE2ELNS1_11target_archE906ELNS1_3gpuE6ELNS1_3repE0EEENS1_47radix_sort_onesweep_sort_config_static_selectorELNS0_4arch9wavefront6targetE0EEEvSG_: ; @_ZN7rocprim17ROCPRIM_400000_NS6detail17trampoline_kernelINS0_14default_configENS1_35radix_sort_onesweep_config_selectorIfNS0_10empty_typeEEEZZNS1_29radix_sort_onesweep_iterationIS3_Lb0EPKfPfPS5_SB_mNS0_19identity_decomposerENS1_16block_id_wrapperIjLb1EEEEE10hipError_tT1_PNSt15iterator_traitsISG_E10value_typeET2_T3_PNSH_ISM_E10value_typeET4_T5_PSR_SS_PNS1_23onesweep_lookback_stateEbbT6_jjT7_P12ihipStream_tbENKUlT_T0_SG_SL_E_clISA_SA_SB_SB_EEDaSZ_S10_SG_SL_EUlSZ_E_NS1_11comp_targetILNS1_3genE2ELNS1_11target_archE906ELNS1_3gpuE6ELNS1_3repE0EEENS1_47radix_sort_onesweep_sort_config_static_selectorELNS0_4arch9wavefront6targetE0EEEvSG_
; %bb.0:
	.section	.rodata,"a",@progbits
	.p2align	6, 0x0
	.amdhsa_kernel _ZN7rocprim17ROCPRIM_400000_NS6detail17trampoline_kernelINS0_14default_configENS1_35radix_sort_onesweep_config_selectorIfNS0_10empty_typeEEEZZNS1_29radix_sort_onesweep_iterationIS3_Lb0EPKfPfPS5_SB_mNS0_19identity_decomposerENS1_16block_id_wrapperIjLb1EEEEE10hipError_tT1_PNSt15iterator_traitsISG_E10value_typeET2_T3_PNSH_ISM_E10value_typeET4_T5_PSR_SS_PNS1_23onesweep_lookback_stateEbbT6_jjT7_P12ihipStream_tbENKUlT_T0_SG_SL_E_clISA_SA_SB_SB_EEDaSZ_S10_SG_SL_EUlSZ_E_NS1_11comp_targetILNS1_3genE2ELNS1_11target_archE906ELNS1_3gpuE6ELNS1_3repE0EEENS1_47radix_sort_onesweep_sort_config_static_selectorELNS0_4arch9wavefront6targetE0EEEvSG_
		.amdhsa_group_segment_fixed_size 0
		.amdhsa_private_segment_fixed_size 0
		.amdhsa_kernarg_size 88
		.amdhsa_user_sgpr_count 2
		.amdhsa_user_sgpr_dispatch_ptr 0
		.amdhsa_user_sgpr_queue_ptr 0
		.amdhsa_user_sgpr_kernarg_segment_ptr 1
		.amdhsa_user_sgpr_dispatch_id 0
		.amdhsa_user_sgpr_kernarg_preload_length 0
		.amdhsa_user_sgpr_kernarg_preload_offset 0
		.amdhsa_user_sgpr_private_segment_size 0
		.amdhsa_wavefront_size32 1
		.amdhsa_uses_dynamic_stack 0
		.amdhsa_enable_private_segment 0
		.amdhsa_system_sgpr_workgroup_id_x 1
		.amdhsa_system_sgpr_workgroup_id_y 0
		.amdhsa_system_sgpr_workgroup_id_z 0
		.amdhsa_system_sgpr_workgroup_info 0
		.amdhsa_system_vgpr_workitem_id 0
		.amdhsa_next_free_vgpr 1
		.amdhsa_next_free_sgpr 1
		.amdhsa_named_barrier_count 0
		.amdhsa_reserve_vcc 0
		.amdhsa_float_round_mode_32 0
		.amdhsa_float_round_mode_16_64 0
		.amdhsa_float_denorm_mode_32 3
		.amdhsa_float_denorm_mode_16_64 3
		.amdhsa_fp16_overflow 0
		.amdhsa_memory_ordered 1
		.amdhsa_forward_progress 1
		.amdhsa_inst_pref_size 0
		.amdhsa_round_robin_scheduling 0
		.amdhsa_exception_fp_ieee_invalid_op 0
		.amdhsa_exception_fp_denorm_src 0
		.amdhsa_exception_fp_ieee_div_zero 0
		.amdhsa_exception_fp_ieee_overflow 0
		.amdhsa_exception_fp_ieee_underflow 0
		.amdhsa_exception_fp_ieee_inexact 0
		.amdhsa_exception_int_div_zero 0
	.end_amdhsa_kernel
	.section	.text._ZN7rocprim17ROCPRIM_400000_NS6detail17trampoline_kernelINS0_14default_configENS1_35radix_sort_onesweep_config_selectorIfNS0_10empty_typeEEEZZNS1_29radix_sort_onesweep_iterationIS3_Lb0EPKfPfPS5_SB_mNS0_19identity_decomposerENS1_16block_id_wrapperIjLb1EEEEE10hipError_tT1_PNSt15iterator_traitsISG_E10value_typeET2_T3_PNSH_ISM_E10value_typeET4_T5_PSR_SS_PNS1_23onesweep_lookback_stateEbbT6_jjT7_P12ihipStream_tbENKUlT_T0_SG_SL_E_clISA_SA_SB_SB_EEDaSZ_S10_SG_SL_EUlSZ_E_NS1_11comp_targetILNS1_3genE2ELNS1_11target_archE906ELNS1_3gpuE6ELNS1_3repE0EEENS1_47radix_sort_onesweep_sort_config_static_selectorELNS0_4arch9wavefront6targetE0EEEvSG_,"axG",@progbits,_ZN7rocprim17ROCPRIM_400000_NS6detail17trampoline_kernelINS0_14default_configENS1_35radix_sort_onesweep_config_selectorIfNS0_10empty_typeEEEZZNS1_29radix_sort_onesweep_iterationIS3_Lb0EPKfPfPS5_SB_mNS0_19identity_decomposerENS1_16block_id_wrapperIjLb1EEEEE10hipError_tT1_PNSt15iterator_traitsISG_E10value_typeET2_T3_PNSH_ISM_E10value_typeET4_T5_PSR_SS_PNS1_23onesweep_lookback_stateEbbT6_jjT7_P12ihipStream_tbENKUlT_T0_SG_SL_E_clISA_SA_SB_SB_EEDaSZ_S10_SG_SL_EUlSZ_E_NS1_11comp_targetILNS1_3genE2ELNS1_11target_archE906ELNS1_3gpuE6ELNS1_3repE0EEENS1_47radix_sort_onesweep_sort_config_static_selectorELNS0_4arch9wavefront6targetE0EEEvSG_,comdat
.Lfunc_end1418:
	.size	_ZN7rocprim17ROCPRIM_400000_NS6detail17trampoline_kernelINS0_14default_configENS1_35radix_sort_onesweep_config_selectorIfNS0_10empty_typeEEEZZNS1_29radix_sort_onesweep_iterationIS3_Lb0EPKfPfPS5_SB_mNS0_19identity_decomposerENS1_16block_id_wrapperIjLb1EEEEE10hipError_tT1_PNSt15iterator_traitsISG_E10value_typeET2_T3_PNSH_ISM_E10value_typeET4_T5_PSR_SS_PNS1_23onesweep_lookback_stateEbbT6_jjT7_P12ihipStream_tbENKUlT_T0_SG_SL_E_clISA_SA_SB_SB_EEDaSZ_S10_SG_SL_EUlSZ_E_NS1_11comp_targetILNS1_3genE2ELNS1_11target_archE906ELNS1_3gpuE6ELNS1_3repE0EEENS1_47radix_sort_onesweep_sort_config_static_selectorELNS0_4arch9wavefront6targetE0EEEvSG_, .Lfunc_end1418-_ZN7rocprim17ROCPRIM_400000_NS6detail17trampoline_kernelINS0_14default_configENS1_35radix_sort_onesweep_config_selectorIfNS0_10empty_typeEEEZZNS1_29radix_sort_onesweep_iterationIS3_Lb0EPKfPfPS5_SB_mNS0_19identity_decomposerENS1_16block_id_wrapperIjLb1EEEEE10hipError_tT1_PNSt15iterator_traitsISG_E10value_typeET2_T3_PNSH_ISM_E10value_typeET4_T5_PSR_SS_PNS1_23onesweep_lookback_stateEbbT6_jjT7_P12ihipStream_tbENKUlT_T0_SG_SL_E_clISA_SA_SB_SB_EEDaSZ_S10_SG_SL_EUlSZ_E_NS1_11comp_targetILNS1_3genE2ELNS1_11target_archE906ELNS1_3gpuE6ELNS1_3repE0EEENS1_47radix_sort_onesweep_sort_config_static_selectorELNS0_4arch9wavefront6targetE0EEEvSG_
                                        ; -- End function
	.set _ZN7rocprim17ROCPRIM_400000_NS6detail17trampoline_kernelINS0_14default_configENS1_35radix_sort_onesweep_config_selectorIfNS0_10empty_typeEEEZZNS1_29radix_sort_onesweep_iterationIS3_Lb0EPKfPfPS5_SB_mNS0_19identity_decomposerENS1_16block_id_wrapperIjLb1EEEEE10hipError_tT1_PNSt15iterator_traitsISG_E10value_typeET2_T3_PNSH_ISM_E10value_typeET4_T5_PSR_SS_PNS1_23onesweep_lookback_stateEbbT6_jjT7_P12ihipStream_tbENKUlT_T0_SG_SL_E_clISA_SA_SB_SB_EEDaSZ_S10_SG_SL_EUlSZ_E_NS1_11comp_targetILNS1_3genE2ELNS1_11target_archE906ELNS1_3gpuE6ELNS1_3repE0EEENS1_47radix_sort_onesweep_sort_config_static_selectorELNS0_4arch9wavefront6targetE0EEEvSG_.num_vgpr, 0
	.set _ZN7rocprim17ROCPRIM_400000_NS6detail17trampoline_kernelINS0_14default_configENS1_35radix_sort_onesweep_config_selectorIfNS0_10empty_typeEEEZZNS1_29radix_sort_onesweep_iterationIS3_Lb0EPKfPfPS5_SB_mNS0_19identity_decomposerENS1_16block_id_wrapperIjLb1EEEEE10hipError_tT1_PNSt15iterator_traitsISG_E10value_typeET2_T3_PNSH_ISM_E10value_typeET4_T5_PSR_SS_PNS1_23onesweep_lookback_stateEbbT6_jjT7_P12ihipStream_tbENKUlT_T0_SG_SL_E_clISA_SA_SB_SB_EEDaSZ_S10_SG_SL_EUlSZ_E_NS1_11comp_targetILNS1_3genE2ELNS1_11target_archE906ELNS1_3gpuE6ELNS1_3repE0EEENS1_47radix_sort_onesweep_sort_config_static_selectorELNS0_4arch9wavefront6targetE0EEEvSG_.num_agpr, 0
	.set _ZN7rocprim17ROCPRIM_400000_NS6detail17trampoline_kernelINS0_14default_configENS1_35radix_sort_onesweep_config_selectorIfNS0_10empty_typeEEEZZNS1_29radix_sort_onesweep_iterationIS3_Lb0EPKfPfPS5_SB_mNS0_19identity_decomposerENS1_16block_id_wrapperIjLb1EEEEE10hipError_tT1_PNSt15iterator_traitsISG_E10value_typeET2_T3_PNSH_ISM_E10value_typeET4_T5_PSR_SS_PNS1_23onesweep_lookback_stateEbbT6_jjT7_P12ihipStream_tbENKUlT_T0_SG_SL_E_clISA_SA_SB_SB_EEDaSZ_S10_SG_SL_EUlSZ_E_NS1_11comp_targetILNS1_3genE2ELNS1_11target_archE906ELNS1_3gpuE6ELNS1_3repE0EEENS1_47radix_sort_onesweep_sort_config_static_selectorELNS0_4arch9wavefront6targetE0EEEvSG_.numbered_sgpr, 0
	.set _ZN7rocprim17ROCPRIM_400000_NS6detail17trampoline_kernelINS0_14default_configENS1_35radix_sort_onesweep_config_selectorIfNS0_10empty_typeEEEZZNS1_29radix_sort_onesweep_iterationIS3_Lb0EPKfPfPS5_SB_mNS0_19identity_decomposerENS1_16block_id_wrapperIjLb1EEEEE10hipError_tT1_PNSt15iterator_traitsISG_E10value_typeET2_T3_PNSH_ISM_E10value_typeET4_T5_PSR_SS_PNS1_23onesweep_lookback_stateEbbT6_jjT7_P12ihipStream_tbENKUlT_T0_SG_SL_E_clISA_SA_SB_SB_EEDaSZ_S10_SG_SL_EUlSZ_E_NS1_11comp_targetILNS1_3genE2ELNS1_11target_archE906ELNS1_3gpuE6ELNS1_3repE0EEENS1_47radix_sort_onesweep_sort_config_static_selectorELNS0_4arch9wavefront6targetE0EEEvSG_.num_named_barrier, 0
	.set _ZN7rocprim17ROCPRIM_400000_NS6detail17trampoline_kernelINS0_14default_configENS1_35radix_sort_onesweep_config_selectorIfNS0_10empty_typeEEEZZNS1_29radix_sort_onesweep_iterationIS3_Lb0EPKfPfPS5_SB_mNS0_19identity_decomposerENS1_16block_id_wrapperIjLb1EEEEE10hipError_tT1_PNSt15iterator_traitsISG_E10value_typeET2_T3_PNSH_ISM_E10value_typeET4_T5_PSR_SS_PNS1_23onesweep_lookback_stateEbbT6_jjT7_P12ihipStream_tbENKUlT_T0_SG_SL_E_clISA_SA_SB_SB_EEDaSZ_S10_SG_SL_EUlSZ_E_NS1_11comp_targetILNS1_3genE2ELNS1_11target_archE906ELNS1_3gpuE6ELNS1_3repE0EEENS1_47radix_sort_onesweep_sort_config_static_selectorELNS0_4arch9wavefront6targetE0EEEvSG_.private_seg_size, 0
	.set _ZN7rocprim17ROCPRIM_400000_NS6detail17trampoline_kernelINS0_14default_configENS1_35radix_sort_onesweep_config_selectorIfNS0_10empty_typeEEEZZNS1_29radix_sort_onesweep_iterationIS3_Lb0EPKfPfPS5_SB_mNS0_19identity_decomposerENS1_16block_id_wrapperIjLb1EEEEE10hipError_tT1_PNSt15iterator_traitsISG_E10value_typeET2_T3_PNSH_ISM_E10value_typeET4_T5_PSR_SS_PNS1_23onesweep_lookback_stateEbbT6_jjT7_P12ihipStream_tbENKUlT_T0_SG_SL_E_clISA_SA_SB_SB_EEDaSZ_S10_SG_SL_EUlSZ_E_NS1_11comp_targetILNS1_3genE2ELNS1_11target_archE906ELNS1_3gpuE6ELNS1_3repE0EEENS1_47radix_sort_onesweep_sort_config_static_selectorELNS0_4arch9wavefront6targetE0EEEvSG_.uses_vcc, 0
	.set _ZN7rocprim17ROCPRIM_400000_NS6detail17trampoline_kernelINS0_14default_configENS1_35radix_sort_onesweep_config_selectorIfNS0_10empty_typeEEEZZNS1_29radix_sort_onesweep_iterationIS3_Lb0EPKfPfPS5_SB_mNS0_19identity_decomposerENS1_16block_id_wrapperIjLb1EEEEE10hipError_tT1_PNSt15iterator_traitsISG_E10value_typeET2_T3_PNSH_ISM_E10value_typeET4_T5_PSR_SS_PNS1_23onesweep_lookback_stateEbbT6_jjT7_P12ihipStream_tbENKUlT_T0_SG_SL_E_clISA_SA_SB_SB_EEDaSZ_S10_SG_SL_EUlSZ_E_NS1_11comp_targetILNS1_3genE2ELNS1_11target_archE906ELNS1_3gpuE6ELNS1_3repE0EEENS1_47radix_sort_onesweep_sort_config_static_selectorELNS0_4arch9wavefront6targetE0EEEvSG_.uses_flat_scratch, 0
	.set _ZN7rocprim17ROCPRIM_400000_NS6detail17trampoline_kernelINS0_14default_configENS1_35radix_sort_onesweep_config_selectorIfNS0_10empty_typeEEEZZNS1_29radix_sort_onesweep_iterationIS3_Lb0EPKfPfPS5_SB_mNS0_19identity_decomposerENS1_16block_id_wrapperIjLb1EEEEE10hipError_tT1_PNSt15iterator_traitsISG_E10value_typeET2_T3_PNSH_ISM_E10value_typeET4_T5_PSR_SS_PNS1_23onesweep_lookback_stateEbbT6_jjT7_P12ihipStream_tbENKUlT_T0_SG_SL_E_clISA_SA_SB_SB_EEDaSZ_S10_SG_SL_EUlSZ_E_NS1_11comp_targetILNS1_3genE2ELNS1_11target_archE906ELNS1_3gpuE6ELNS1_3repE0EEENS1_47radix_sort_onesweep_sort_config_static_selectorELNS0_4arch9wavefront6targetE0EEEvSG_.has_dyn_sized_stack, 0
	.set _ZN7rocprim17ROCPRIM_400000_NS6detail17trampoline_kernelINS0_14default_configENS1_35radix_sort_onesweep_config_selectorIfNS0_10empty_typeEEEZZNS1_29radix_sort_onesweep_iterationIS3_Lb0EPKfPfPS5_SB_mNS0_19identity_decomposerENS1_16block_id_wrapperIjLb1EEEEE10hipError_tT1_PNSt15iterator_traitsISG_E10value_typeET2_T3_PNSH_ISM_E10value_typeET4_T5_PSR_SS_PNS1_23onesweep_lookback_stateEbbT6_jjT7_P12ihipStream_tbENKUlT_T0_SG_SL_E_clISA_SA_SB_SB_EEDaSZ_S10_SG_SL_EUlSZ_E_NS1_11comp_targetILNS1_3genE2ELNS1_11target_archE906ELNS1_3gpuE6ELNS1_3repE0EEENS1_47radix_sort_onesweep_sort_config_static_selectorELNS0_4arch9wavefront6targetE0EEEvSG_.has_recursion, 0
	.set _ZN7rocprim17ROCPRIM_400000_NS6detail17trampoline_kernelINS0_14default_configENS1_35radix_sort_onesweep_config_selectorIfNS0_10empty_typeEEEZZNS1_29radix_sort_onesweep_iterationIS3_Lb0EPKfPfPS5_SB_mNS0_19identity_decomposerENS1_16block_id_wrapperIjLb1EEEEE10hipError_tT1_PNSt15iterator_traitsISG_E10value_typeET2_T3_PNSH_ISM_E10value_typeET4_T5_PSR_SS_PNS1_23onesweep_lookback_stateEbbT6_jjT7_P12ihipStream_tbENKUlT_T0_SG_SL_E_clISA_SA_SB_SB_EEDaSZ_S10_SG_SL_EUlSZ_E_NS1_11comp_targetILNS1_3genE2ELNS1_11target_archE906ELNS1_3gpuE6ELNS1_3repE0EEENS1_47radix_sort_onesweep_sort_config_static_selectorELNS0_4arch9wavefront6targetE0EEEvSG_.has_indirect_call, 0
	.section	.AMDGPU.csdata,"",@progbits
; Kernel info:
; codeLenInByte = 0
; TotalNumSgprs: 0
; NumVgprs: 0
; ScratchSize: 0
; MemoryBound: 0
; FloatMode: 240
; IeeeMode: 1
; LDSByteSize: 0 bytes/workgroup (compile time only)
; SGPRBlocks: 0
; VGPRBlocks: 0
; NumSGPRsForWavesPerEU: 1
; NumVGPRsForWavesPerEU: 1
; NamedBarCnt: 0
; Occupancy: 16
; WaveLimiterHint : 0
; COMPUTE_PGM_RSRC2:SCRATCH_EN: 0
; COMPUTE_PGM_RSRC2:USER_SGPR: 2
; COMPUTE_PGM_RSRC2:TRAP_HANDLER: 0
; COMPUTE_PGM_RSRC2:TGID_X_EN: 1
; COMPUTE_PGM_RSRC2:TGID_Y_EN: 0
; COMPUTE_PGM_RSRC2:TGID_Z_EN: 0
; COMPUTE_PGM_RSRC2:TIDIG_COMP_CNT: 0
	.section	.text._ZN7rocprim17ROCPRIM_400000_NS6detail17trampoline_kernelINS0_14default_configENS1_35radix_sort_onesweep_config_selectorIfNS0_10empty_typeEEEZZNS1_29radix_sort_onesweep_iterationIS3_Lb0EPKfPfPS5_SB_mNS0_19identity_decomposerENS1_16block_id_wrapperIjLb1EEEEE10hipError_tT1_PNSt15iterator_traitsISG_E10value_typeET2_T3_PNSH_ISM_E10value_typeET4_T5_PSR_SS_PNS1_23onesweep_lookback_stateEbbT6_jjT7_P12ihipStream_tbENKUlT_T0_SG_SL_E_clISA_SA_SB_SB_EEDaSZ_S10_SG_SL_EUlSZ_E_NS1_11comp_targetILNS1_3genE4ELNS1_11target_archE910ELNS1_3gpuE8ELNS1_3repE0EEENS1_47radix_sort_onesweep_sort_config_static_selectorELNS0_4arch9wavefront6targetE0EEEvSG_,"axG",@progbits,_ZN7rocprim17ROCPRIM_400000_NS6detail17trampoline_kernelINS0_14default_configENS1_35radix_sort_onesweep_config_selectorIfNS0_10empty_typeEEEZZNS1_29radix_sort_onesweep_iterationIS3_Lb0EPKfPfPS5_SB_mNS0_19identity_decomposerENS1_16block_id_wrapperIjLb1EEEEE10hipError_tT1_PNSt15iterator_traitsISG_E10value_typeET2_T3_PNSH_ISM_E10value_typeET4_T5_PSR_SS_PNS1_23onesweep_lookback_stateEbbT6_jjT7_P12ihipStream_tbENKUlT_T0_SG_SL_E_clISA_SA_SB_SB_EEDaSZ_S10_SG_SL_EUlSZ_E_NS1_11comp_targetILNS1_3genE4ELNS1_11target_archE910ELNS1_3gpuE8ELNS1_3repE0EEENS1_47radix_sort_onesweep_sort_config_static_selectorELNS0_4arch9wavefront6targetE0EEEvSG_,comdat
	.protected	_ZN7rocprim17ROCPRIM_400000_NS6detail17trampoline_kernelINS0_14default_configENS1_35radix_sort_onesweep_config_selectorIfNS0_10empty_typeEEEZZNS1_29radix_sort_onesweep_iterationIS3_Lb0EPKfPfPS5_SB_mNS0_19identity_decomposerENS1_16block_id_wrapperIjLb1EEEEE10hipError_tT1_PNSt15iterator_traitsISG_E10value_typeET2_T3_PNSH_ISM_E10value_typeET4_T5_PSR_SS_PNS1_23onesweep_lookback_stateEbbT6_jjT7_P12ihipStream_tbENKUlT_T0_SG_SL_E_clISA_SA_SB_SB_EEDaSZ_S10_SG_SL_EUlSZ_E_NS1_11comp_targetILNS1_3genE4ELNS1_11target_archE910ELNS1_3gpuE8ELNS1_3repE0EEENS1_47radix_sort_onesweep_sort_config_static_selectorELNS0_4arch9wavefront6targetE0EEEvSG_ ; -- Begin function _ZN7rocprim17ROCPRIM_400000_NS6detail17trampoline_kernelINS0_14default_configENS1_35radix_sort_onesweep_config_selectorIfNS0_10empty_typeEEEZZNS1_29radix_sort_onesweep_iterationIS3_Lb0EPKfPfPS5_SB_mNS0_19identity_decomposerENS1_16block_id_wrapperIjLb1EEEEE10hipError_tT1_PNSt15iterator_traitsISG_E10value_typeET2_T3_PNSH_ISM_E10value_typeET4_T5_PSR_SS_PNS1_23onesweep_lookback_stateEbbT6_jjT7_P12ihipStream_tbENKUlT_T0_SG_SL_E_clISA_SA_SB_SB_EEDaSZ_S10_SG_SL_EUlSZ_E_NS1_11comp_targetILNS1_3genE4ELNS1_11target_archE910ELNS1_3gpuE8ELNS1_3repE0EEENS1_47radix_sort_onesweep_sort_config_static_selectorELNS0_4arch9wavefront6targetE0EEEvSG_
	.globl	_ZN7rocprim17ROCPRIM_400000_NS6detail17trampoline_kernelINS0_14default_configENS1_35radix_sort_onesweep_config_selectorIfNS0_10empty_typeEEEZZNS1_29radix_sort_onesweep_iterationIS3_Lb0EPKfPfPS5_SB_mNS0_19identity_decomposerENS1_16block_id_wrapperIjLb1EEEEE10hipError_tT1_PNSt15iterator_traitsISG_E10value_typeET2_T3_PNSH_ISM_E10value_typeET4_T5_PSR_SS_PNS1_23onesweep_lookback_stateEbbT6_jjT7_P12ihipStream_tbENKUlT_T0_SG_SL_E_clISA_SA_SB_SB_EEDaSZ_S10_SG_SL_EUlSZ_E_NS1_11comp_targetILNS1_3genE4ELNS1_11target_archE910ELNS1_3gpuE8ELNS1_3repE0EEENS1_47radix_sort_onesweep_sort_config_static_selectorELNS0_4arch9wavefront6targetE0EEEvSG_
	.p2align	8
	.type	_ZN7rocprim17ROCPRIM_400000_NS6detail17trampoline_kernelINS0_14default_configENS1_35radix_sort_onesweep_config_selectorIfNS0_10empty_typeEEEZZNS1_29radix_sort_onesweep_iterationIS3_Lb0EPKfPfPS5_SB_mNS0_19identity_decomposerENS1_16block_id_wrapperIjLb1EEEEE10hipError_tT1_PNSt15iterator_traitsISG_E10value_typeET2_T3_PNSH_ISM_E10value_typeET4_T5_PSR_SS_PNS1_23onesweep_lookback_stateEbbT6_jjT7_P12ihipStream_tbENKUlT_T0_SG_SL_E_clISA_SA_SB_SB_EEDaSZ_S10_SG_SL_EUlSZ_E_NS1_11comp_targetILNS1_3genE4ELNS1_11target_archE910ELNS1_3gpuE8ELNS1_3repE0EEENS1_47radix_sort_onesweep_sort_config_static_selectorELNS0_4arch9wavefront6targetE0EEEvSG_,@function
_ZN7rocprim17ROCPRIM_400000_NS6detail17trampoline_kernelINS0_14default_configENS1_35radix_sort_onesweep_config_selectorIfNS0_10empty_typeEEEZZNS1_29radix_sort_onesweep_iterationIS3_Lb0EPKfPfPS5_SB_mNS0_19identity_decomposerENS1_16block_id_wrapperIjLb1EEEEE10hipError_tT1_PNSt15iterator_traitsISG_E10value_typeET2_T3_PNSH_ISM_E10value_typeET4_T5_PSR_SS_PNS1_23onesweep_lookback_stateEbbT6_jjT7_P12ihipStream_tbENKUlT_T0_SG_SL_E_clISA_SA_SB_SB_EEDaSZ_S10_SG_SL_EUlSZ_E_NS1_11comp_targetILNS1_3genE4ELNS1_11target_archE910ELNS1_3gpuE8ELNS1_3repE0EEENS1_47radix_sort_onesweep_sort_config_static_selectorELNS0_4arch9wavefront6targetE0EEEvSG_: ; @_ZN7rocprim17ROCPRIM_400000_NS6detail17trampoline_kernelINS0_14default_configENS1_35radix_sort_onesweep_config_selectorIfNS0_10empty_typeEEEZZNS1_29radix_sort_onesweep_iterationIS3_Lb0EPKfPfPS5_SB_mNS0_19identity_decomposerENS1_16block_id_wrapperIjLb1EEEEE10hipError_tT1_PNSt15iterator_traitsISG_E10value_typeET2_T3_PNSH_ISM_E10value_typeET4_T5_PSR_SS_PNS1_23onesweep_lookback_stateEbbT6_jjT7_P12ihipStream_tbENKUlT_T0_SG_SL_E_clISA_SA_SB_SB_EEDaSZ_S10_SG_SL_EUlSZ_E_NS1_11comp_targetILNS1_3genE4ELNS1_11target_archE910ELNS1_3gpuE8ELNS1_3repE0EEENS1_47radix_sort_onesweep_sort_config_static_selectorELNS0_4arch9wavefront6targetE0EEEvSG_
; %bb.0:
	.section	.rodata,"a",@progbits
	.p2align	6, 0x0
	.amdhsa_kernel _ZN7rocprim17ROCPRIM_400000_NS6detail17trampoline_kernelINS0_14default_configENS1_35radix_sort_onesweep_config_selectorIfNS0_10empty_typeEEEZZNS1_29radix_sort_onesweep_iterationIS3_Lb0EPKfPfPS5_SB_mNS0_19identity_decomposerENS1_16block_id_wrapperIjLb1EEEEE10hipError_tT1_PNSt15iterator_traitsISG_E10value_typeET2_T3_PNSH_ISM_E10value_typeET4_T5_PSR_SS_PNS1_23onesweep_lookback_stateEbbT6_jjT7_P12ihipStream_tbENKUlT_T0_SG_SL_E_clISA_SA_SB_SB_EEDaSZ_S10_SG_SL_EUlSZ_E_NS1_11comp_targetILNS1_3genE4ELNS1_11target_archE910ELNS1_3gpuE8ELNS1_3repE0EEENS1_47radix_sort_onesweep_sort_config_static_selectorELNS0_4arch9wavefront6targetE0EEEvSG_
		.amdhsa_group_segment_fixed_size 0
		.amdhsa_private_segment_fixed_size 0
		.amdhsa_kernarg_size 88
		.amdhsa_user_sgpr_count 2
		.amdhsa_user_sgpr_dispatch_ptr 0
		.amdhsa_user_sgpr_queue_ptr 0
		.amdhsa_user_sgpr_kernarg_segment_ptr 1
		.amdhsa_user_sgpr_dispatch_id 0
		.amdhsa_user_sgpr_kernarg_preload_length 0
		.amdhsa_user_sgpr_kernarg_preload_offset 0
		.amdhsa_user_sgpr_private_segment_size 0
		.amdhsa_wavefront_size32 1
		.amdhsa_uses_dynamic_stack 0
		.amdhsa_enable_private_segment 0
		.amdhsa_system_sgpr_workgroup_id_x 1
		.amdhsa_system_sgpr_workgroup_id_y 0
		.amdhsa_system_sgpr_workgroup_id_z 0
		.amdhsa_system_sgpr_workgroup_info 0
		.amdhsa_system_vgpr_workitem_id 0
		.amdhsa_next_free_vgpr 1
		.amdhsa_next_free_sgpr 1
		.amdhsa_named_barrier_count 0
		.amdhsa_reserve_vcc 0
		.amdhsa_float_round_mode_32 0
		.amdhsa_float_round_mode_16_64 0
		.amdhsa_float_denorm_mode_32 3
		.amdhsa_float_denorm_mode_16_64 3
		.amdhsa_fp16_overflow 0
		.amdhsa_memory_ordered 1
		.amdhsa_forward_progress 1
		.amdhsa_inst_pref_size 0
		.amdhsa_round_robin_scheduling 0
		.amdhsa_exception_fp_ieee_invalid_op 0
		.amdhsa_exception_fp_denorm_src 0
		.amdhsa_exception_fp_ieee_div_zero 0
		.amdhsa_exception_fp_ieee_overflow 0
		.amdhsa_exception_fp_ieee_underflow 0
		.amdhsa_exception_fp_ieee_inexact 0
		.amdhsa_exception_int_div_zero 0
	.end_amdhsa_kernel
	.section	.text._ZN7rocprim17ROCPRIM_400000_NS6detail17trampoline_kernelINS0_14default_configENS1_35radix_sort_onesweep_config_selectorIfNS0_10empty_typeEEEZZNS1_29radix_sort_onesweep_iterationIS3_Lb0EPKfPfPS5_SB_mNS0_19identity_decomposerENS1_16block_id_wrapperIjLb1EEEEE10hipError_tT1_PNSt15iterator_traitsISG_E10value_typeET2_T3_PNSH_ISM_E10value_typeET4_T5_PSR_SS_PNS1_23onesweep_lookback_stateEbbT6_jjT7_P12ihipStream_tbENKUlT_T0_SG_SL_E_clISA_SA_SB_SB_EEDaSZ_S10_SG_SL_EUlSZ_E_NS1_11comp_targetILNS1_3genE4ELNS1_11target_archE910ELNS1_3gpuE8ELNS1_3repE0EEENS1_47radix_sort_onesweep_sort_config_static_selectorELNS0_4arch9wavefront6targetE0EEEvSG_,"axG",@progbits,_ZN7rocprim17ROCPRIM_400000_NS6detail17trampoline_kernelINS0_14default_configENS1_35radix_sort_onesweep_config_selectorIfNS0_10empty_typeEEEZZNS1_29radix_sort_onesweep_iterationIS3_Lb0EPKfPfPS5_SB_mNS0_19identity_decomposerENS1_16block_id_wrapperIjLb1EEEEE10hipError_tT1_PNSt15iterator_traitsISG_E10value_typeET2_T3_PNSH_ISM_E10value_typeET4_T5_PSR_SS_PNS1_23onesweep_lookback_stateEbbT6_jjT7_P12ihipStream_tbENKUlT_T0_SG_SL_E_clISA_SA_SB_SB_EEDaSZ_S10_SG_SL_EUlSZ_E_NS1_11comp_targetILNS1_3genE4ELNS1_11target_archE910ELNS1_3gpuE8ELNS1_3repE0EEENS1_47radix_sort_onesweep_sort_config_static_selectorELNS0_4arch9wavefront6targetE0EEEvSG_,comdat
.Lfunc_end1419:
	.size	_ZN7rocprim17ROCPRIM_400000_NS6detail17trampoline_kernelINS0_14default_configENS1_35radix_sort_onesweep_config_selectorIfNS0_10empty_typeEEEZZNS1_29radix_sort_onesweep_iterationIS3_Lb0EPKfPfPS5_SB_mNS0_19identity_decomposerENS1_16block_id_wrapperIjLb1EEEEE10hipError_tT1_PNSt15iterator_traitsISG_E10value_typeET2_T3_PNSH_ISM_E10value_typeET4_T5_PSR_SS_PNS1_23onesweep_lookback_stateEbbT6_jjT7_P12ihipStream_tbENKUlT_T0_SG_SL_E_clISA_SA_SB_SB_EEDaSZ_S10_SG_SL_EUlSZ_E_NS1_11comp_targetILNS1_3genE4ELNS1_11target_archE910ELNS1_3gpuE8ELNS1_3repE0EEENS1_47radix_sort_onesweep_sort_config_static_selectorELNS0_4arch9wavefront6targetE0EEEvSG_, .Lfunc_end1419-_ZN7rocprim17ROCPRIM_400000_NS6detail17trampoline_kernelINS0_14default_configENS1_35radix_sort_onesweep_config_selectorIfNS0_10empty_typeEEEZZNS1_29radix_sort_onesweep_iterationIS3_Lb0EPKfPfPS5_SB_mNS0_19identity_decomposerENS1_16block_id_wrapperIjLb1EEEEE10hipError_tT1_PNSt15iterator_traitsISG_E10value_typeET2_T3_PNSH_ISM_E10value_typeET4_T5_PSR_SS_PNS1_23onesweep_lookback_stateEbbT6_jjT7_P12ihipStream_tbENKUlT_T0_SG_SL_E_clISA_SA_SB_SB_EEDaSZ_S10_SG_SL_EUlSZ_E_NS1_11comp_targetILNS1_3genE4ELNS1_11target_archE910ELNS1_3gpuE8ELNS1_3repE0EEENS1_47radix_sort_onesweep_sort_config_static_selectorELNS0_4arch9wavefront6targetE0EEEvSG_
                                        ; -- End function
	.set _ZN7rocprim17ROCPRIM_400000_NS6detail17trampoline_kernelINS0_14default_configENS1_35radix_sort_onesweep_config_selectorIfNS0_10empty_typeEEEZZNS1_29radix_sort_onesweep_iterationIS3_Lb0EPKfPfPS5_SB_mNS0_19identity_decomposerENS1_16block_id_wrapperIjLb1EEEEE10hipError_tT1_PNSt15iterator_traitsISG_E10value_typeET2_T3_PNSH_ISM_E10value_typeET4_T5_PSR_SS_PNS1_23onesweep_lookback_stateEbbT6_jjT7_P12ihipStream_tbENKUlT_T0_SG_SL_E_clISA_SA_SB_SB_EEDaSZ_S10_SG_SL_EUlSZ_E_NS1_11comp_targetILNS1_3genE4ELNS1_11target_archE910ELNS1_3gpuE8ELNS1_3repE0EEENS1_47radix_sort_onesweep_sort_config_static_selectorELNS0_4arch9wavefront6targetE0EEEvSG_.num_vgpr, 0
	.set _ZN7rocprim17ROCPRIM_400000_NS6detail17trampoline_kernelINS0_14default_configENS1_35radix_sort_onesweep_config_selectorIfNS0_10empty_typeEEEZZNS1_29radix_sort_onesweep_iterationIS3_Lb0EPKfPfPS5_SB_mNS0_19identity_decomposerENS1_16block_id_wrapperIjLb1EEEEE10hipError_tT1_PNSt15iterator_traitsISG_E10value_typeET2_T3_PNSH_ISM_E10value_typeET4_T5_PSR_SS_PNS1_23onesweep_lookback_stateEbbT6_jjT7_P12ihipStream_tbENKUlT_T0_SG_SL_E_clISA_SA_SB_SB_EEDaSZ_S10_SG_SL_EUlSZ_E_NS1_11comp_targetILNS1_3genE4ELNS1_11target_archE910ELNS1_3gpuE8ELNS1_3repE0EEENS1_47radix_sort_onesweep_sort_config_static_selectorELNS0_4arch9wavefront6targetE0EEEvSG_.num_agpr, 0
	.set _ZN7rocprim17ROCPRIM_400000_NS6detail17trampoline_kernelINS0_14default_configENS1_35radix_sort_onesweep_config_selectorIfNS0_10empty_typeEEEZZNS1_29radix_sort_onesweep_iterationIS3_Lb0EPKfPfPS5_SB_mNS0_19identity_decomposerENS1_16block_id_wrapperIjLb1EEEEE10hipError_tT1_PNSt15iterator_traitsISG_E10value_typeET2_T3_PNSH_ISM_E10value_typeET4_T5_PSR_SS_PNS1_23onesweep_lookback_stateEbbT6_jjT7_P12ihipStream_tbENKUlT_T0_SG_SL_E_clISA_SA_SB_SB_EEDaSZ_S10_SG_SL_EUlSZ_E_NS1_11comp_targetILNS1_3genE4ELNS1_11target_archE910ELNS1_3gpuE8ELNS1_3repE0EEENS1_47radix_sort_onesweep_sort_config_static_selectorELNS0_4arch9wavefront6targetE0EEEvSG_.numbered_sgpr, 0
	.set _ZN7rocprim17ROCPRIM_400000_NS6detail17trampoline_kernelINS0_14default_configENS1_35radix_sort_onesweep_config_selectorIfNS0_10empty_typeEEEZZNS1_29radix_sort_onesweep_iterationIS3_Lb0EPKfPfPS5_SB_mNS0_19identity_decomposerENS1_16block_id_wrapperIjLb1EEEEE10hipError_tT1_PNSt15iterator_traitsISG_E10value_typeET2_T3_PNSH_ISM_E10value_typeET4_T5_PSR_SS_PNS1_23onesweep_lookback_stateEbbT6_jjT7_P12ihipStream_tbENKUlT_T0_SG_SL_E_clISA_SA_SB_SB_EEDaSZ_S10_SG_SL_EUlSZ_E_NS1_11comp_targetILNS1_3genE4ELNS1_11target_archE910ELNS1_3gpuE8ELNS1_3repE0EEENS1_47radix_sort_onesweep_sort_config_static_selectorELNS0_4arch9wavefront6targetE0EEEvSG_.num_named_barrier, 0
	.set _ZN7rocprim17ROCPRIM_400000_NS6detail17trampoline_kernelINS0_14default_configENS1_35radix_sort_onesweep_config_selectorIfNS0_10empty_typeEEEZZNS1_29radix_sort_onesweep_iterationIS3_Lb0EPKfPfPS5_SB_mNS0_19identity_decomposerENS1_16block_id_wrapperIjLb1EEEEE10hipError_tT1_PNSt15iterator_traitsISG_E10value_typeET2_T3_PNSH_ISM_E10value_typeET4_T5_PSR_SS_PNS1_23onesweep_lookback_stateEbbT6_jjT7_P12ihipStream_tbENKUlT_T0_SG_SL_E_clISA_SA_SB_SB_EEDaSZ_S10_SG_SL_EUlSZ_E_NS1_11comp_targetILNS1_3genE4ELNS1_11target_archE910ELNS1_3gpuE8ELNS1_3repE0EEENS1_47radix_sort_onesweep_sort_config_static_selectorELNS0_4arch9wavefront6targetE0EEEvSG_.private_seg_size, 0
	.set _ZN7rocprim17ROCPRIM_400000_NS6detail17trampoline_kernelINS0_14default_configENS1_35radix_sort_onesweep_config_selectorIfNS0_10empty_typeEEEZZNS1_29radix_sort_onesweep_iterationIS3_Lb0EPKfPfPS5_SB_mNS0_19identity_decomposerENS1_16block_id_wrapperIjLb1EEEEE10hipError_tT1_PNSt15iterator_traitsISG_E10value_typeET2_T3_PNSH_ISM_E10value_typeET4_T5_PSR_SS_PNS1_23onesweep_lookback_stateEbbT6_jjT7_P12ihipStream_tbENKUlT_T0_SG_SL_E_clISA_SA_SB_SB_EEDaSZ_S10_SG_SL_EUlSZ_E_NS1_11comp_targetILNS1_3genE4ELNS1_11target_archE910ELNS1_3gpuE8ELNS1_3repE0EEENS1_47radix_sort_onesweep_sort_config_static_selectorELNS0_4arch9wavefront6targetE0EEEvSG_.uses_vcc, 0
	.set _ZN7rocprim17ROCPRIM_400000_NS6detail17trampoline_kernelINS0_14default_configENS1_35radix_sort_onesweep_config_selectorIfNS0_10empty_typeEEEZZNS1_29radix_sort_onesweep_iterationIS3_Lb0EPKfPfPS5_SB_mNS0_19identity_decomposerENS1_16block_id_wrapperIjLb1EEEEE10hipError_tT1_PNSt15iterator_traitsISG_E10value_typeET2_T3_PNSH_ISM_E10value_typeET4_T5_PSR_SS_PNS1_23onesweep_lookback_stateEbbT6_jjT7_P12ihipStream_tbENKUlT_T0_SG_SL_E_clISA_SA_SB_SB_EEDaSZ_S10_SG_SL_EUlSZ_E_NS1_11comp_targetILNS1_3genE4ELNS1_11target_archE910ELNS1_3gpuE8ELNS1_3repE0EEENS1_47radix_sort_onesweep_sort_config_static_selectorELNS0_4arch9wavefront6targetE0EEEvSG_.uses_flat_scratch, 0
	.set _ZN7rocprim17ROCPRIM_400000_NS6detail17trampoline_kernelINS0_14default_configENS1_35radix_sort_onesweep_config_selectorIfNS0_10empty_typeEEEZZNS1_29radix_sort_onesweep_iterationIS3_Lb0EPKfPfPS5_SB_mNS0_19identity_decomposerENS1_16block_id_wrapperIjLb1EEEEE10hipError_tT1_PNSt15iterator_traitsISG_E10value_typeET2_T3_PNSH_ISM_E10value_typeET4_T5_PSR_SS_PNS1_23onesweep_lookback_stateEbbT6_jjT7_P12ihipStream_tbENKUlT_T0_SG_SL_E_clISA_SA_SB_SB_EEDaSZ_S10_SG_SL_EUlSZ_E_NS1_11comp_targetILNS1_3genE4ELNS1_11target_archE910ELNS1_3gpuE8ELNS1_3repE0EEENS1_47radix_sort_onesweep_sort_config_static_selectorELNS0_4arch9wavefront6targetE0EEEvSG_.has_dyn_sized_stack, 0
	.set _ZN7rocprim17ROCPRIM_400000_NS6detail17trampoline_kernelINS0_14default_configENS1_35radix_sort_onesweep_config_selectorIfNS0_10empty_typeEEEZZNS1_29radix_sort_onesweep_iterationIS3_Lb0EPKfPfPS5_SB_mNS0_19identity_decomposerENS1_16block_id_wrapperIjLb1EEEEE10hipError_tT1_PNSt15iterator_traitsISG_E10value_typeET2_T3_PNSH_ISM_E10value_typeET4_T5_PSR_SS_PNS1_23onesweep_lookback_stateEbbT6_jjT7_P12ihipStream_tbENKUlT_T0_SG_SL_E_clISA_SA_SB_SB_EEDaSZ_S10_SG_SL_EUlSZ_E_NS1_11comp_targetILNS1_3genE4ELNS1_11target_archE910ELNS1_3gpuE8ELNS1_3repE0EEENS1_47radix_sort_onesweep_sort_config_static_selectorELNS0_4arch9wavefront6targetE0EEEvSG_.has_recursion, 0
	.set _ZN7rocprim17ROCPRIM_400000_NS6detail17trampoline_kernelINS0_14default_configENS1_35radix_sort_onesweep_config_selectorIfNS0_10empty_typeEEEZZNS1_29radix_sort_onesweep_iterationIS3_Lb0EPKfPfPS5_SB_mNS0_19identity_decomposerENS1_16block_id_wrapperIjLb1EEEEE10hipError_tT1_PNSt15iterator_traitsISG_E10value_typeET2_T3_PNSH_ISM_E10value_typeET4_T5_PSR_SS_PNS1_23onesweep_lookback_stateEbbT6_jjT7_P12ihipStream_tbENKUlT_T0_SG_SL_E_clISA_SA_SB_SB_EEDaSZ_S10_SG_SL_EUlSZ_E_NS1_11comp_targetILNS1_3genE4ELNS1_11target_archE910ELNS1_3gpuE8ELNS1_3repE0EEENS1_47radix_sort_onesweep_sort_config_static_selectorELNS0_4arch9wavefront6targetE0EEEvSG_.has_indirect_call, 0
	.section	.AMDGPU.csdata,"",@progbits
; Kernel info:
; codeLenInByte = 0
; TotalNumSgprs: 0
; NumVgprs: 0
; ScratchSize: 0
; MemoryBound: 0
; FloatMode: 240
; IeeeMode: 1
; LDSByteSize: 0 bytes/workgroup (compile time only)
; SGPRBlocks: 0
; VGPRBlocks: 0
; NumSGPRsForWavesPerEU: 1
; NumVGPRsForWavesPerEU: 1
; NamedBarCnt: 0
; Occupancy: 16
; WaveLimiterHint : 0
; COMPUTE_PGM_RSRC2:SCRATCH_EN: 0
; COMPUTE_PGM_RSRC2:USER_SGPR: 2
; COMPUTE_PGM_RSRC2:TRAP_HANDLER: 0
; COMPUTE_PGM_RSRC2:TGID_X_EN: 1
; COMPUTE_PGM_RSRC2:TGID_Y_EN: 0
; COMPUTE_PGM_RSRC2:TGID_Z_EN: 0
; COMPUTE_PGM_RSRC2:TIDIG_COMP_CNT: 0
	.section	.text._ZN7rocprim17ROCPRIM_400000_NS6detail17trampoline_kernelINS0_14default_configENS1_35radix_sort_onesweep_config_selectorIfNS0_10empty_typeEEEZZNS1_29radix_sort_onesweep_iterationIS3_Lb0EPKfPfPS5_SB_mNS0_19identity_decomposerENS1_16block_id_wrapperIjLb1EEEEE10hipError_tT1_PNSt15iterator_traitsISG_E10value_typeET2_T3_PNSH_ISM_E10value_typeET4_T5_PSR_SS_PNS1_23onesweep_lookback_stateEbbT6_jjT7_P12ihipStream_tbENKUlT_T0_SG_SL_E_clISA_SA_SB_SB_EEDaSZ_S10_SG_SL_EUlSZ_E_NS1_11comp_targetILNS1_3genE3ELNS1_11target_archE908ELNS1_3gpuE7ELNS1_3repE0EEENS1_47radix_sort_onesweep_sort_config_static_selectorELNS0_4arch9wavefront6targetE0EEEvSG_,"axG",@progbits,_ZN7rocprim17ROCPRIM_400000_NS6detail17trampoline_kernelINS0_14default_configENS1_35radix_sort_onesweep_config_selectorIfNS0_10empty_typeEEEZZNS1_29radix_sort_onesweep_iterationIS3_Lb0EPKfPfPS5_SB_mNS0_19identity_decomposerENS1_16block_id_wrapperIjLb1EEEEE10hipError_tT1_PNSt15iterator_traitsISG_E10value_typeET2_T3_PNSH_ISM_E10value_typeET4_T5_PSR_SS_PNS1_23onesweep_lookback_stateEbbT6_jjT7_P12ihipStream_tbENKUlT_T0_SG_SL_E_clISA_SA_SB_SB_EEDaSZ_S10_SG_SL_EUlSZ_E_NS1_11comp_targetILNS1_3genE3ELNS1_11target_archE908ELNS1_3gpuE7ELNS1_3repE0EEENS1_47radix_sort_onesweep_sort_config_static_selectorELNS0_4arch9wavefront6targetE0EEEvSG_,comdat
	.protected	_ZN7rocprim17ROCPRIM_400000_NS6detail17trampoline_kernelINS0_14default_configENS1_35radix_sort_onesweep_config_selectorIfNS0_10empty_typeEEEZZNS1_29radix_sort_onesweep_iterationIS3_Lb0EPKfPfPS5_SB_mNS0_19identity_decomposerENS1_16block_id_wrapperIjLb1EEEEE10hipError_tT1_PNSt15iterator_traitsISG_E10value_typeET2_T3_PNSH_ISM_E10value_typeET4_T5_PSR_SS_PNS1_23onesweep_lookback_stateEbbT6_jjT7_P12ihipStream_tbENKUlT_T0_SG_SL_E_clISA_SA_SB_SB_EEDaSZ_S10_SG_SL_EUlSZ_E_NS1_11comp_targetILNS1_3genE3ELNS1_11target_archE908ELNS1_3gpuE7ELNS1_3repE0EEENS1_47radix_sort_onesweep_sort_config_static_selectorELNS0_4arch9wavefront6targetE0EEEvSG_ ; -- Begin function _ZN7rocprim17ROCPRIM_400000_NS6detail17trampoline_kernelINS0_14default_configENS1_35radix_sort_onesweep_config_selectorIfNS0_10empty_typeEEEZZNS1_29radix_sort_onesweep_iterationIS3_Lb0EPKfPfPS5_SB_mNS0_19identity_decomposerENS1_16block_id_wrapperIjLb1EEEEE10hipError_tT1_PNSt15iterator_traitsISG_E10value_typeET2_T3_PNSH_ISM_E10value_typeET4_T5_PSR_SS_PNS1_23onesweep_lookback_stateEbbT6_jjT7_P12ihipStream_tbENKUlT_T0_SG_SL_E_clISA_SA_SB_SB_EEDaSZ_S10_SG_SL_EUlSZ_E_NS1_11comp_targetILNS1_3genE3ELNS1_11target_archE908ELNS1_3gpuE7ELNS1_3repE0EEENS1_47radix_sort_onesweep_sort_config_static_selectorELNS0_4arch9wavefront6targetE0EEEvSG_
	.globl	_ZN7rocprim17ROCPRIM_400000_NS6detail17trampoline_kernelINS0_14default_configENS1_35radix_sort_onesweep_config_selectorIfNS0_10empty_typeEEEZZNS1_29radix_sort_onesweep_iterationIS3_Lb0EPKfPfPS5_SB_mNS0_19identity_decomposerENS1_16block_id_wrapperIjLb1EEEEE10hipError_tT1_PNSt15iterator_traitsISG_E10value_typeET2_T3_PNSH_ISM_E10value_typeET4_T5_PSR_SS_PNS1_23onesweep_lookback_stateEbbT6_jjT7_P12ihipStream_tbENKUlT_T0_SG_SL_E_clISA_SA_SB_SB_EEDaSZ_S10_SG_SL_EUlSZ_E_NS1_11comp_targetILNS1_3genE3ELNS1_11target_archE908ELNS1_3gpuE7ELNS1_3repE0EEENS1_47radix_sort_onesweep_sort_config_static_selectorELNS0_4arch9wavefront6targetE0EEEvSG_
	.p2align	8
	.type	_ZN7rocprim17ROCPRIM_400000_NS6detail17trampoline_kernelINS0_14default_configENS1_35radix_sort_onesweep_config_selectorIfNS0_10empty_typeEEEZZNS1_29radix_sort_onesweep_iterationIS3_Lb0EPKfPfPS5_SB_mNS0_19identity_decomposerENS1_16block_id_wrapperIjLb1EEEEE10hipError_tT1_PNSt15iterator_traitsISG_E10value_typeET2_T3_PNSH_ISM_E10value_typeET4_T5_PSR_SS_PNS1_23onesweep_lookback_stateEbbT6_jjT7_P12ihipStream_tbENKUlT_T0_SG_SL_E_clISA_SA_SB_SB_EEDaSZ_S10_SG_SL_EUlSZ_E_NS1_11comp_targetILNS1_3genE3ELNS1_11target_archE908ELNS1_3gpuE7ELNS1_3repE0EEENS1_47radix_sort_onesweep_sort_config_static_selectorELNS0_4arch9wavefront6targetE0EEEvSG_,@function
_ZN7rocprim17ROCPRIM_400000_NS6detail17trampoline_kernelINS0_14default_configENS1_35radix_sort_onesweep_config_selectorIfNS0_10empty_typeEEEZZNS1_29radix_sort_onesweep_iterationIS3_Lb0EPKfPfPS5_SB_mNS0_19identity_decomposerENS1_16block_id_wrapperIjLb1EEEEE10hipError_tT1_PNSt15iterator_traitsISG_E10value_typeET2_T3_PNSH_ISM_E10value_typeET4_T5_PSR_SS_PNS1_23onesweep_lookback_stateEbbT6_jjT7_P12ihipStream_tbENKUlT_T0_SG_SL_E_clISA_SA_SB_SB_EEDaSZ_S10_SG_SL_EUlSZ_E_NS1_11comp_targetILNS1_3genE3ELNS1_11target_archE908ELNS1_3gpuE7ELNS1_3repE0EEENS1_47radix_sort_onesweep_sort_config_static_selectorELNS0_4arch9wavefront6targetE0EEEvSG_: ; @_ZN7rocprim17ROCPRIM_400000_NS6detail17trampoline_kernelINS0_14default_configENS1_35radix_sort_onesweep_config_selectorIfNS0_10empty_typeEEEZZNS1_29radix_sort_onesweep_iterationIS3_Lb0EPKfPfPS5_SB_mNS0_19identity_decomposerENS1_16block_id_wrapperIjLb1EEEEE10hipError_tT1_PNSt15iterator_traitsISG_E10value_typeET2_T3_PNSH_ISM_E10value_typeET4_T5_PSR_SS_PNS1_23onesweep_lookback_stateEbbT6_jjT7_P12ihipStream_tbENKUlT_T0_SG_SL_E_clISA_SA_SB_SB_EEDaSZ_S10_SG_SL_EUlSZ_E_NS1_11comp_targetILNS1_3genE3ELNS1_11target_archE908ELNS1_3gpuE7ELNS1_3repE0EEENS1_47radix_sort_onesweep_sort_config_static_selectorELNS0_4arch9wavefront6targetE0EEEvSG_
; %bb.0:
	.section	.rodata,"a",@progbits
	.p2align	6, 0x0
	.amdhsa_kernel _ZN7rocprim17ROCPRIM_400000_NS6detail17trampoline_kernelINS0_14default_configENS1_35radix_sort_onesweep_config_selectorIfNS0_10empty_typeEEEZZNS1_29radix_sort_onesweep_iterationIS3_Lb0EPKfPfPS5_SB_mNS0_19identity_decomposerENS1_16block_id_wrapperIjLb1EEEEE10hipError_tT1_PNSt15iterator_traitsISG_E10value_typeET2_T3_PNSH_ISM_E10value_typeET4_T5_PSR_SS_PNS1_23onesweep_lookback_stateEbbT6_jjT7_P12ihipStream_tbENKUlT_T0_SG_SL_E_clISA_SA_SB_SB_EEDaSZ_S10_SG_SL_EUlSZ_E_NS1_11comp_targetILNS1_3genE3ELNS1_11target_archE908ELNS1_3gpuE7ELNS1_3repE0EEENS1_47radix_sort_onesweep_sort_config_static_selectorELNS0_4arch9wavefront6targetE0EEEvSG_
		.amdhsa_group_segment_fixed_size 0
		.amdhsa_private_segment_fixed_size 0
		.amdhsa_kernarg_size 88
		.amdhsa_user_sgpr_count 2
		.amdhsa_user_sgpr_dispatch_ptr 0
		.amdhsa_user_sgpr_queue_ptr 0
		.amdhsa_user_sgpr_kernarg_segment_ptr 1
		.amdhsa_user_sgpr_dispatch_id 0
		.amdhsa_user_sgpr_kernarg_preload_length 0
		.amdhsa_user_sgpr_kernarg_preload_offset 0
		.amdhsa_user_sgpr_private_segment_size 0
		.amdhsa_wavefront_size32 1
		.amdhsa_uses_dynamic_stack 0
		.amdhsa_enable_private_segment 0
		.amdhsa_system_sgpr_workgroup_id_x 1
		.amdhsa_system_sgpr_workgroup_id_y 0
		.amdhsa_system_sgpr_workgroup_id_z 0
		.amdhsa_system_sgpr_workgroup_info 0
		.amdhsa_system_vgpr_workitem_id 0
		.amdhsa_next_free_vgpr 1
		.amdhsa_next_free_sgpr 1
		.amdhsa_named_barrier_count 0
		.amdhsa_reserve_vcc 0
		.amdhsa_float_round_mode_32 0
		.amdhsa_float_round_mode_16_64 0
		.amdhsa_float_denorm_mode_32 3
		.amdhsa_float_denorm_mode_16_64 3
		.amdhsa_fp16_overflow 0
		.amdhsa_memory_ordered 1
		.amdhsa_forward_progress 1
		.amdhsa_inst_pref_size 0
		.amdhsa_round_robin_scheduling 0
		.amdhsa_exception_fp_ieee_invalid_op 0
		.amdhsa_exception_fp_denorm_src 0
		.amdhsa_exception_fp_ieee_div_zero 0
		.amdhsa_exception_fp_ieee_overflow 0
		.amdhsa_exception_fp_ieee_underflow 0
		.amdhsa_exception_fp_ieee_inexact 0
		.amdhsa_exception_int_div_zero 0
	.end_amdhsa_kernel
	.section	.text._ZN7rocprim17ROCPRIM_400000_NS6detail17trampoline_kernelINS0_14default_configENS1_35radix_sort_onesweep_config_selectorIfNS0_10empty_typeEEEZZNS1_29radix_sort_onesweep_iterationIS3_Lb0EPKfPfPS5_SB_mNS0_19identity_decomposerENS1_16block_id_wrapperIjLb1EEEEE10hipError_tT1_PNSt15iterator_traitsISG_E10value_typeET2_T3_PNSH_ISM_E10value_typeET4_T5_PSR_SS_PNS1_23onesweep_lookback_stateEbbT6_jjT7_P12ihipStream_tbENKUlT_T0_SG_SL_E_clISA_SA_SB_SB_EEDaSZ_S10_SG_SL_EUlSZ_E_NS1_11comp_targetILNS1_3genE3ELNS1_11target_archE908ELNS1_3gpuE7ELNS1_3repE0EEENS1_47radix_sort_onesweep_sort_config_static_selectorELNS0_4arch9wavefront6targetE0EEEvSG_,"axG",@progbits,_ZN7rocprim17ROCPRIM_400000_NS6detail17trampoline_kernelINS0_14default_configENS1_35radix_sort_onesweep_config_selectorIfNS0_10empty_typeEEEZZNS1_29radix_sort_onesweep_iterationIS3_Lb0EPKfPfPS5_SB_mNS0_19identity_decomposerENS1_16block_id_wrapperIjLb1EEEEE10hipError_tT1_PNSt15iterator_traitsISG_E10value_typeET2_T3_PNSH_ISM_E10value_typeET4_T5_PSR_SS_PNS1_23onesweep_lookback_stateEbbT6_jjT7_P12ihipStream_tbENKUlT_T0_SG_SL_E_clISA_SA_SB_SB_EEDaSZ_S10_SG_SL_EUlSZ_E_NS1_11comp_targetILNS1_3genE3ELNS1_11target_archE908ELNS1_3gpuE7ELNS1_3repE0EEENS1_47radix_sort_onesweep_sort_config_static_selectorELNS0_4arch9wavefront6targetE0EEEvSG_,comdat
.Lfunc_end1420:
	.size	_ZN7rocprim17ROCPRIM_400000_NS6detail17trampoline_kernelINS0_14default_configENS1_35radix_sort_onesweep_config_selectorIfNS0_10empty_typeEEEZZNS1_29radix_sort_onesweep_iterationIS3_Lb0EPKfPfPS5_SB_mNS0_19identity_decomposerENS1_16block_id_wrapperIjLb1EEEEE10hipError_tT1_PNSt15iterator_traitsISG_E10value_typeET2_T3_PNSH_ISM_E10value_typeET4_T5_PSR_SS_PNS1_23onesweep_lookback_stateEbbT6_jjT7_P12ihipStream_tbENKUlT_T0_SG_SL_E_clISA_SA_SB_SB_EEDaSZ_S10_SG_SL_EUlSZ_E_NS1_11comp_targetILNS1_3genE3ELNS1_11target_archE908ELNS1_3gpuE7ELNS1_3repE0EEENS1_47radix_sort_onesweep_sort_config_static_selectorELNS0_4arch9wavefront6targetE0EEEvSG_, .Lfunc_end1420-_ZN7rocprim17ROCPRIM_400000_NS6detail17trampoline_kernelINS0_14default_configENS1_35radix_sort_onesweep_config_selectorIfNS0_10empty_typeEEEZZNS1_29radix_sort_onesweep_iterationIS3_Lb0EPKfPfPS5_SB_mNS0_19identity_decomposerENS1_16block_id_wrapperIjLb1EEEEE10hipError_tT1_PNSt15iterator_traitsISG_E10value_typeET2_T3_PNSH_ISM_E10value_typeET4_T5_PSR_SS_PNS1_23onesweep_lookback_stateEbbT6_jjT7_P12ihipStream_tbENKUlT_T0_SG_SL_E_clISA_SA_SB_SB_EEDaSZ_S10_SG_SL_EUlSZ_E_NS1_11comp_targetILNS1_3genE3ELNS1_11target_archE908ELNS1_3gpuE7ELNS1_3repE0EEENS1_47radix_sort_onesweep_sort_config_static_selectorELNS0_4arch9wavefront6targetE0EEEvSG_
                                        ; -- End function
	.set _ZN7rocprim17ROCPRIM_400000_NS6detail17trampoline_kernelINS0_14default_configENS1_35radix_sort_onesweep_config_selectorIfNS0_10empty_typeEEEZZNS1_29radix_sort_onesweep_iterationIS3_Lb0EPKfPfPS5_SB_mNS0_19identity_decomposerENS1_16block_id_wrapperIjLb1EEEEE10hipError_tT1_PNSt15iterator_traitsISG_E10value_typeET2_T3_PNSH_ISM_E10value_typeET4_T5_PSR_SS_PNS1_23onesweep_lookback_stateEbbT6_jjT7_P12ihipStream_tbENKUlT_T0_SG_SL_E_clISA_SA_SB_SB_EEDaSZ_S10_SG_SL_EUlSZ_E_NS1_11comp_targetILNS1_3genE3ELNS1_11target_archE908ELNS1_3gpuE7ELNS1_3repE0EEENS1_47radix_sort_onesweep_sort_config_static_selectorELNS0_4arch9wavefront6targetE0EEEvSG_.num_vgpr, 0
	.set _ZN7rocprim17ROCPRIM_400000_NS6detail17trampoline_kernelINS0_14default_configENS1_35radix_sort_onesweep_config_selectorIfNS0_10empty_typeEEEZZNS1_29radix_sort_onesweep_iterationIS3_Lb0EPKfPfPS5_SB_mNS0_19identity_decomposerENS1_16block_id_wrapperIjLb1EEEEE10hipError_tT1_PNSt15iterator_traitsISG_E10value_typeET2_T3_PNSH_ISM_E10value_typeET4_T5_PSR_SS_PNS1_23onesweep_lookback_stateEbbT6_jjT7_P12ihipStream_tbENKUlT_T0_SG_SL_E_clISA_SA_SB_SB_EEDaSZ_S10_SG_SL_EUlSZ_E_NS1_11comp_targetILNS1_3genE3ELNS1_11target_archE908ELNS1_3gpuE7ELNS1_3repE0EEENS1_47radix_sort_onesweep_sort_config_static_selectorELNS0_4arch9wavefront6targetE0EEEvSG_.num_agpr, 0
	.set _ZN7rocprim17ROCPRIM_400000_NS6detail17trampoline_kernelINS0_14default_configENS1_35radix_sort_onesweep_config_selectorIfNS0_10empty_typeEEEZZNS1_29radix_sort_onesweep_iterationIS3_Lb0EPKfPfPS5_SB_mNS0_19identity_decomposerENS1_16block_id_wrapperIjLb1EEEEE10hipError_tT1_PNSt15iterator_traitsISG_E10value_typeET2_T3_PNSH_ISM_E10value_typeET4_T5_PSR_SS_PNS1_23onesweep_lookback_stateEbbT6_jjT7_P12ihipStream_tbENKUlT_T0_SG_SL_E_clISA_SA_SB_SB_EEDaSZ_S10_SG_SL_EUlSZ_E_NS1_11comp_targetILNS1_3genE3ELNS1_11target_archE908ELNS1_3gpuE7ELNS1_3repE0EEENS1_47radix_sort_onesweep_sort_config_static_selectorELNS0_4arch9wavefront6targetE0EEEvSG_.numbered_sgpr, 0
	.set _ZN7rocprim17ROCPRIM_400000_NS6detail17trampoline_kernelINS0_14default_configENS1_35radix_sort_onesweep_config_selectorIfNS0_10empty_typeEEEZZNS1_29radix_sort_onesweep_iterationIS3_Lb0EPKfPfPS5_SB_mNS0_19identity_decomposerENS1_16block_id_wrapperIjLb1EEEEE10hipError_tT1_PNSt15iterator_traitsISG_E10value_typeET2_T3_PNSH_ISM_E10value_typeET4_T5_PSR_SS_PNS1_23onesweep_lookback_stateEbbT6_jjT7_P12ihipStream_tbENKUlT_T0_SG_SL_E_clISA_SA_SB_SB_EEDaSZ_S10_SG_SL_EUlSZ_E_NS1_11comp_targetILNS1_3genE3ELNS1_11target_archE908ELNS1_3gpuE7ELNS1_3repE0EEENS1_47radix_sort_onesweep_sort_config_static_selectorELNS0_4arch9wavefront6targetE0EEEvSG_.num_named_barrier, 0
	.set _ZN7rocprim17ROCPRIM_400000_NS6detail17trampoline_kernelINS0_14default_configENS1_35radix_sort_onesweep_config_selectorIfNS0_10empty_typeEEEZZNS1_29radix_sort_onesweep_iterationIS3_Lb0EPKfPfPS5_SB_mNS0_19identity_decomposerENS1_16block_id_wrapperIjLb1EEEEE10hipError_tT1_PNSt15iterator_traitsISG_E10value_typeET2_T3_PNSH_ISM_E10value_typeET4_T5_PSR_SS_PNS1_23onesweep_lookback_stateEbbT6_jjT7_P12ihipStream_tbENKUlT_T0_SG_SL_E_clISA_SA_SB_SB_EEDaSZ_S10_SG_SL_EUlSZ_E_NS1_11comp_targetILNS1_3genE3ELNS1_11target_archE908ELNS1_3gpuE7ELNS1_3repE0EEENS1_47radix_sort_onesweep_sort_config_static_selectorELNS0_4arch9wavefront6targetE0EEEvSG_.private_seg_size, 0
	.set _ZN7rocprim17ROCPRIM_400000_NS6detail17trampoline_kernelINS0_14default_configENS1_35radix_sort_onesweep_config_selectorIfNS0_10empty_typeEEEZZNS1_29radix_sort_onesweep_iterationIS3_Lb0EPKfPfPS5_SB_mNS0_19identity_decomposerENS1_16block_id_wrapperIjLb1EEEEE10hipError_tT1_PNSt15iterator_traitsISG_E10value_typeET2_T3_PNSH_ISM_E10value_typeET4_T5_PSR_SS_PNS1_23onesweep_lookback_stateEbbT6_jjT7_P12ihipStream_tbENKUlT_T0_SG_SL_E_clISA_SA_SB_SB_EEDaSZ_S10_SG_SL_EUlSZ_E_NS1_11comp_targetILNS1_3genE3ELNS1_11target_archE908ELNS1_3gpuE7ELNS1_3repE0EEENS1_47radix_sort_onesweep_sort_config_static_selectorELNS0_4arch9wavefront6targetE0EEEvSG_.uses_vcc, 0
	.set _ZN7rocprim17ROCPRIM_400000_NS6detail17trampoline_kernelINS0_14default_configENS1_35radix_sort_onesweep_config_selectorIfNS0_10empty_typeEEEZZNS1_29radix_sort_onesweep_iterationIS3_Lb0EPKfPfPS5_SB_mNS0_19identity_decomposerENS1_16block_id_wrapperIjLb1EEEEE10hipError_tT1_PNSt15iterator_traitsISG_E10value_typeET2_T3_PNSH_ISM_E10value_typeET4_T5_PSR_SS_PNS1_23onesweep_lookback_stateEbbT6_jjT7_P12ihipStream_tbENKUlT_T0_SG_SL_E_clISA_SA_SB_SB_EEDaSZ_S10_SG_SL_EUlSZ_E_NS1_11comp_targetILNS1_3genE3ELNS1_11target_archE908ELNS1_3gpuE7ELNS1_3repE0EEENS1_47radix_sort_onesweep_sort_config_static_selectorELNS0_4arch9wavefront6targetE0EEEvSG_.uses_flat_scratch, 0
	.set _ZN7rocprim17ROCPRIM_400000_NS6detail17trampoline_kernelINS0_14default_configENS1_35radix_sort_onesweep_config_selectorIfNS0_10empty_typeEEEZZNS1_29radix_sort_onesweep_iterationIS3_Lb0EPKfPfPS5_SB_mNS0_19identity_decomposerENS1_16block_id_wrapperIjLb1EEEEE10hipError_tT1_PNSt15iterator_traitsISG_E10value_typeET2_T3_PNSH_ISM_E10value_typeET4_T5_PSR_SS_PNS1_23onesweep_lookback_stateEbbT6_jjT7_P12ihipStream_tbENKUlT_T0_SG_SL_E_clISA_SA_SB_SB_EEDaSZ_S10_SG_SL_EUlSZ_E_NS1_11comp_targetILNS1_3genE3ELNS1_11target_archE908ELNS1_3gpuE7ELNS1_3repE0EEENS1_47radix_sort_onesweep_sort_config_static_selectorELNS0_4arch9wavefront6targetE0EEEvSG_.has_dyn_sized_stack, 0
	.set _ZN7rocprim17ROCPRIM_400000_NS6detail17trampoline_kernelINS0_14default_configENS1_35radix_sort_onesweep_config_selectorIfNS0_10empty_typeEEEZZNS1_29radix_sort_onesweep_iterationIS3_Lb0EPKfPfPS5_SB_mNS0_19identity_decomposerENS1_16block_id_wrapperIjLb1EEEEE10hipError_tT1_PNSt15iterator_traitsISG_E10value_typeET2_T3_PNSH_ISM_E10value_typeET4_T5_PSR_SS_PNS1_23onesweep_lookback_stateEbbT6_jjT7_P12ihipStream_tbENKUlT_T0_SG_SL_E_clISA_SA_SB_SB_EEDaSZ_S10_SG_SL_EUlSZ_E_NS1_11comp_targetILNS1_3genE3ELNS1_11target_archE908ELNS1_3gpuE7ELNS1_3repE0EEENS1_47radix_sort_onesweep_sort_config_static_selectorELNS0_4arch9wavefront6targetE0EEEvSG_.has_recursion, 0
	.set _ZN7rocprim17ROCPRIM_400000_NS6detail17trampoline_kernelINS0_14default_configENS1_35radix_sort_onesweep_config_selectorIfNS0_10empty_typeEEEZZNS1_29radix_sort_onesweep_iterationIS3_Lb0EPKfPfPS5_SB_mNS0_19identity_decomposerENS1_16block_id_wrapperIjLb1EEEEE10hipError_tT1_PNSt15iterator_traitsISG_E10value_typeET2_T3_PNSH_ISM_E10value_typeET4_T5_PSR_SS_PNS1_23onesweep_lookback_stateEbbT6_jjT7_P12ihipStream_tbENKUlT_T0_SG_SL_E_clISA_SA_SB_SB_EEDaSZ_S10_SG_SL_EUlSZ_E_NS1_11comp_targetILNS1_3genE3ELNS1_11target_archE908ELNS1_3gpuE7ELNS1_3repE0EEENS1_47radix_sort_onesweep_sort_config_static_selectorELNS0_4arch9wavefront6targetE0EEEvSG_.has_indirect_call, 0
	.section	.AMDGPU.csdata,"",@progbits
; Kernel info:
; codeLenInByte = 0
; TotalNumSgprs: 0
; NumVgprs: 0
; ScratchSize: 0
; MemoryBound: 0
; FloatMode: 240
; IeeeMode: 1
; LDSByteSize: 0 bytes/workgroup (compile time only)
; SGPRBlocks: 0
; VGPRBlocks: 0
; NumSGPRsForWavesPerEU: 1
; NumVGPRsForWavesPerEU: 1
; NamedBarCnt: 0
; Occupancy: 16
; WaveLimiterHint : 0
; COMPUTE_PGM_RSRC2:SCRATCH_EN: 0
; COMPUTE_PGM_RSRC2:USER_SGPR: 2
; COMPUTE_PGM_RSRC2:TRAP_HANDLER: 0
; COMPUTE_PGM_RSRC2:TGID_X_EN: 1
; COMPUTE_PGM_RSRC2:TGID_Y_EN: 0
; COMPUTE_PGM_RSRC2:TGID_Z_EN: 0
; COMPUTE_PGM_RSRC2:TIDIG_COMP_CNT: 0
	.section	.text._ZN7rocprim17ROCPRIM_400000_NS6detail17trampoline_kernelINS0_14default_configENS1_35radix_sort_onesweep_config_selectorIfNS0_10empty_typeEEEZZNS1_29radix_sort_onesweep_iterationIS3_Lb0EPKfPfPS5_SB_mNS0_19identity_decomposerENS1_16block_id_wrapperIjLb1EEEEE10hipError_tT1_PNSt15iterator_traitsISG_E10value_typeET2_T3_PNSH_ISM_E10value_typeET4_T5_PSR_SS_PNS1_23onesweep_lookback_stateEbbT6_jjT7_P12ihipStream_tbENKUlT_T0_SG_SL_E_clISA_SA_SB_SB_EEDaSZ_S10_SG_SL_EUlSZ_E_NS1_11comp_targetILNS1_3genE10ELNS1_11target_archE1201ELNS1_3gpuE5ELNS1_3repE0EEENS1_47radix_sort_onesweep_sort_config_static_selectorELNS0_4arch9wavefront6targetE0EEEvSG_,"axG",@progbits,_ZN7rocprim17ROCPRIM_400000_NS6detail17trampoline_kernelINS0_14default_configENS1_35radix_sort_onesweep_config_selectorIfNS0_10empty_typeEEEZZNS1_29radix_sort_onesweep_iterationIS3_Lb0EPKfPfPS5_SB_mNS0_19identity_decomposerENS1_16block_id_wrapperIjLb1EEEEE10hipError_tT1_PNSt15iterator_traitsISG_E10value_typeET2_T3_PNSH_ISM_E10value_typeET4_T5_PSR_SS_PNS1_23onesweep_lookback_stateEbbT6_jjT7_P12ihipStream_tbENKUlT_T0_SG_SL_E_clISA_SA_SB_SB_EEDaSZ_S10_SG_SL_EUlSZ_E_NS1_11comp_targetILNS1_3genE10ELNS1_11target_archE1201ELNS1_3gpuE5ELNS1_3repE0EEENS1_47radix_sort_onesweep_sort_config_static_selectorELNS0_4arch9wavefront6targetE0EEEvSG_,comdat
	.protected	_ZN7rocprim17ROCPRIM_400000_NS6detail17trampoline_kernelINS0_14default_configENS1_35radix_sort_onesweep_config_selectorIfNS0_10empty_typeEEEZZNS1_29radix_sort_onesweep_iterationIS3_Lb0EPKfPfPS5_SB_mNS0_19identity_decomposerENS1_16block_id_wrapperIjLb1EEEEE10hipError_tT1_PNSt15iterator_traitsISG_E10value_typeET2_T3_PNSH_ISM_E10value_typeET4_T5_PSR_SS_PNS1_23onesweep_lookback_stateEbbT6_jjT7_P12ihipStream_tbENKUlT_T0_SG_SL_E_clISA_SA_SB_SB_EEDaSZ_S10_SG_SL_EUlSZ_E_NS1_11comp_targetILNS1_3genE10ELNS1_11target_archE1201ELNS1_3gpuE5ELNS1_3repE0EEENS1_47radix_sort_onesweep_sort_config_static_selectorELNS0_4arch9wavefront6targetE0EEEvSG_ ; -- Begin function _ZN7rocprim17ROCPRIM_400000_NS6detail17trampoline_kernelINS0_14default_configENS1_35radix_sort_onesweep_config_selectorIfNS0_10empty_typeEEEZZNS1_29radix_sort_onesweep_iterationIS3_Lb0EPKfPfPS5_SB_mNS0_19identity_decomposerENS1_16block_id_wrapperIjLb1EEEEE10hipError_tT1_PNSt15iterator_traitsISG_E10value_typeET2_T3_PNSH_ISM_E10value_typeET4_T5_PSR_SS_PNS1_23onesweep_lookback_stateEbbT6_jjT7_P12ihipStream_tbENKUlT_T0_SG_SL_E_clISA_SA_SB_SB_EEDaSZ_S10_SG_SL_EUlSZ_E_NS1_11comp_targetILNS1_3genE10ELNS1_11target_archE1201ELNS1_3gpuE5ELNS1_3repE0EEENS1_47radix_sort_onesweep_sort_config_static_selectorELNS0_4arch9wavefront6targetE0EEEvSG_
	.globl	_ZN7rocprim17ROCPRIM_400000_NS6detail17trampoline_kernelINS0_14default_configENS1_35radix_sort_onesweep_config_selectorIfNS0_10empty_typeEEEZZNS1_29radix_sort_onesweep_iterationIS3_Lb0EPKfPfPS5_SB_mNS0_19identity_decomposerENS1_16block_id_wrapperIjLb1EEEEE10hipError_tT1_PNSt15iterator_traitsISG_E10value_typeET2_T3_PNSH_ISM_E10value_typeET4_T5_PSR_SS_PNS1_23onesweep_lookback_stateEbbT6_jjT7_P12ihipStream_tbENKUlT_T0_SG_SL_E_clISA_SA_SB_SB_EEDaSZ_S10_SG_SL_EUlSZ_E_NS1_11comp_targetILNS1_3genE10ELNS1_11target_archE1201ELNS1_3gpuE5ELNS1_3repE0EEENS1_47radix_sort_onesweep_sort_config_static_selectorELNS0_4arch9wavefront6targetE0EEEvSG_
	.p2align	8
	.type	_ZN7rocprim17ROCPRIM_400000_NS6detail17trampoline_kernelINS0_14default_configENS1_35radix_sort_onesweep_config_selectorIfNS0_10empty_typeEEEZZNS1_29radix_sort_onesweep_iterationIS3_Lb0EPKfPfPS5_SB_mNS0_19identity_decomposerENS1_16block_id_wrapperIjLb1EEEEE10hipError_tT1_PNSt15iterator_traitsISG_E10value_typeET2_T3_PNSH_ISM_E10value_typeET4_T5_PSR_SS_PNS1_23onesweep_lookback_stateEbbT6_jjT7_P12ihipStream_tbENKUlT_T0_SG_SL_E_clISA_SA_SB_SB_EEDaSZ_S10_SG_SL_EUlSZ_E_NS1_11comp_targetILNS1_3genE10ELNS1_11target_archE1201ELNS1_3gpuE5ELNS1_3repE0EEENS1_47radix_sort_onesweep_sort_config_static_selectorELNS0_4arch9wavefront6targetE0EEEvSG_,@function
_ZN7rocprim17ROCPRIM_400000_NS6detail17trampoline_kernelINS0_14default_configENS1_35radix_sort_onesweep_config_selectorIfNS0_10empty_typeEEEZZNS1_29radix_sort_onesweep_iterationIS3_Lb0EPKfPfPS5_SB_mNS0_19identity_decomposerENS1_16block_id_wrapperIjLb1EEEEE10hipError_tT1_PNSt15iterator_traitsISG_E10value_typeET2_T3_PNSH_ISM_E10value_typeET4_T5_PSR_SS_PNS1_23onesweep_lookback_stateEbbT6_jjT7_P12ihipStream_tbENKUlT_T0_SG_SL_E_clISA_SA_SB_SB_EEDaSZ_S10_SG_SL_EUlSZ_E_NS1_11comp_targetILNS1_3genE10ELNS1_11target_archE1201ELNS1_3gpuE5ELNS1_3repE0EEENS1_47radix_sort_onesweep_sort_config_static_selectorELNS0_4arch9wavefront6targetE0EEEvSG_: ; @_ZN7rocprim17ROCPRIM_400000_NS6detail17trampoline_kernelINS0_14default_configENS1_35radix_sort_onesweep_config_selectorIfNS0_10empty_typeEEEZZNS1_29radix_sort_onesweep_iterationIS3_Lb0EPKfPfPS5_SB_mNS0_19identity_decomposerENS1_16block_id_wrapperIjLb1EEEEE10hipError_tT1_PNSt15iterator_traitsISG_E10value_typeET2_T3_PNSH_ISM_E10value_typeET4_T5_PSR_SS_PNS1_23onesweep_lookback_stateEbbT6_jjT7_P12ihipStream_tbENKUlT_T0_SG_SL_E_clISA_SA_SB_SB_EEDaSZ_S10_SG_SL_EUlSZ_E_NS1_11comp_targetILNS1_3genE10ELNS1_11target_archE1201ELNS1_3gpuE5ELNS1_3repE0EEENS1_47radix_sort_onesweep_sort_config_static_selectorELNS0_4arch9wavefront6targetE0EEEvSG_
; %bb.0:
	.section	.rodata,"a",@progbits
	.p2align	6, 0x0
	.amdhsa_kernel _ZN7rocprim17ROCPRIM_400000_NS6detail17trampoline_kernelINS0_14default_configENS1_35radix_sort_onesweep_config_selectorIfNS0_10empty_typeEEEZZNS1_29radix_sort_onesweep_iterationIS3_Lb0EPKfPfPS5_SB_mNS0_19identity_decomposerENS1_16block_id_wrapperIjLb1EEEEE10hipError_tT1_PNSt15iterator_traitsISG_E10value_typeET2_T3_PNSH_ISM_E10value_typeET4_T5_PSR_SS_PNS1_23onesweep_lookback_stateEbbT6_jjT7_P12ihipStream_tbENKUlT_T0_SG_SL_E_clISA_SA_SB_SB_EEDaSZ_S10_SG_SL_EUlSZ_E_NS1_11comp_targetILNS1_3genE10ELNS1_11target_archE1201ELNS1_3gpuE5ELNS1_3repE0EEENS1_47radix_sort_onesweep_sort_config_static_selectorELNS0_4arch9wavefront6targetE0EEEvSG_
		.amdhsa_group_segment_fixed_size 0
		.amdhsa_private_segment_fixed_size 0
		.amdhsa_kernarg_size 88
		.amdhsa_user_sgpr_count 2
		.amdhsa_user_sgpr_dispatch_ptr 0
		.amdhsa_user_sgpr_queue_ptr 0
		.amdhsa_user_sgpr_kernarg_segment_ptr 1
		.amdhsa_user_sgpr_dispatch_id 0
		.amdhsa_user_sgpr_kernarg_preload_length 0
		.amdhsa_user_sgpr_kernarg_preload_offset 0
		.amdhsa_user_sgpr_private_segment_size 0
		.amdhsa_wavefront_size32 1
		.amdhsa_uses_dynamic_stack 0
		.amdhsa_enable_private_segment 0
		.amdhsa_system_sgpr_workgroup_id_x 1
		.amdhsa_system_sgpr_workgroup_id_y 0
		.amdhsa_system_sgpr_workgroup_id_z 0
		.amdhsa_system_sgpr_workgroup_info 0
		.amdhsa_system_vgpr_workitem_id 0
		.amdhsa_next_free_vgpr 1
		.amdhsa_next_free_sgpr 1
		.amdhsa_named_barrier_count 0
		.amdhsa_reserve_vcc 0
		.amdhsa_float_round_mode_32 0
		.amdhsa_float_round_mode_16_64 0
		.amdhsa_float_denorm_mode_32 3
		.amdhsa_float_denorm_mode_16_64 3
		.amdhsa_fp16_overflow 0
		.amdhsa_memory_ordered 1
		.amdhsa_forward_progress 1
		.amdhsa_inst_pref_size 0
		.amdhsa_round_robin_scheduling 0
		.amdhsa_exception_fp_ieee_invalid_op 0
		.amdhsa_exception_fp_denorm_src 0
		.amdhsa_exception_fp_ieee_div_zero 0
		.amdhsa_exception_fp_ieee_overflow 0
		.amdhsa_exception_fp_ieee_underflow 0
		.amdhsa_exception_fp_ieee_inexact 0
		.amdhsa_exception_int_div_zero 0
	.end_amdhsa_kernel
	.section	.text._ZN7rocprim17ROCPRIM_400000_NS6detail17trampoline_kernelINS0_14default_configENS1_35radix_sort_onesweep_config_selectorIfNS0_10empty_typeEEEZZNS1_29radix_sort_onesweep_iterationIS3_Lb0EPKfPfPS5_SB_mNS0_19identity_decomposerENS1_16block_id_wrapperIjLb1EEEEE10hipError_tT1_PNSt15iterator_traitsISG_E10value_typeET2_T3_PNSH_ISM_E10value_typeET4_T5_PSR_SS_PNS1_23onesweep_lookback_stateEbbT6_jjT7_P12ihipStream_tbENKUlT_T0_SG_SL_E_clISA_SA_SB_SB_EEDaSZ_S10_SG_SL_EUlSZ_E_NS1_11comp_targetILNS1_3genE10ELNS1_11target_archE1201ELNS1_3gpuE5ELNS1_3repE0EEENS1_47radix_sort_onesweep_sort_config_static_selectorELNS0_4arch9wavefront6targetE0EEEvSG_,"axG",@progbits,_ZN7rocprim17ROCPRIM_400000_NS6detail17trampoline_kernelINS0_14default_configENS1_35radix_sort_onesweep_config_selectorIfNS0_10empty_typeEEEZZNS1_29radix_sort_onesweep_iterationIS3_Lb0EPKfPfPS5_SB_mNS0_19identity_decomposerENS1_16block_id_wrapperIjLb1EEEEE10hipError_tT1_PNSt15iterator_traitsISG_E10value_typeET2_T3_PNSH_ISM_E10value_typeET4_T5_PSR_SS_PNS1_23onesweep_lookback_stateEbbT6_jjT7_P12ihipStream_tbENKUlT_T0_SG_SL_E_clISA_SA_SB_SB_EEDaSZ_S10_SG_SL_EUlSZ_E_NS1_11comp_targetILNS1_3genE10ELNS1_11target_archE1201ELNS1_3gpuE5ELNS1_3repE0EEENS1_47radix_sort_onesweep_sort_config_static_selectorELNS0_4arch9wavefront6targetE0EEEvSG_,comdat
.Lfunc_end1421:
	.size	_ZN7rocprim17ROCPRIM_400000_NS6detail17trampoline_kernelINS0_14default_configENS1_35radix_sort_onesweep_config_selectorIfNS0_10empty_typeEEEZZNS1_29radix_sort_onesweep_iterationIS3_Lb0EPKfPfPS5_SB_mNS0_19identity_decomposerENS1_16block_id_wrapperIjLb1EEEEE10hipError_tT1_PNSt15iterator_traitsISG_E10value_typeET2_T3_PNSH_ISM_E10value_typeET4_T5_PSR_SS_PNS1_23onesweep_lookback_stateEbbT6_jjT7_P12ihipStream_tbENKUlT_T0_SG_SL_E_clISA_SA_SB_SB_EEDaSZ_S10_SG_SL_EUlSZ_E_NS1_11comp_targetILNS1_3genE10ELNS1_11target_archE1201ELNS1_3gpuE5ELNS1_3repE0EEENS1_47radix_sort_onesweep_sort_config_static_selectorELNS0_4arch9wavefront6targetE0EEEvSG_, .Lfunc_end1421-_ZN7rocprim17ROCPRIM_400000_NS6detail17trampoline_kernelINS0_14default_configENS1_35radix_sort_onesweep_config_selectorIfNS0_10empty_typeEEEZZNS1_29radix_sort_onesweep_iterationIS3_Lb0EPKfPfPS5_SB_mNS0_19identity_decomposerENS1_16block_id_wrapperIjLb1EEEEE10hipError_tT1_PNSt15iterator_traitsISG_E10value_typeET2_T3_PNSH_ISM_E10value_typeET4_T5_PSR_SS_PNS1_23onesweep_lookback_stateEbbT6_jjT7_P12ihipStream_tbENKUlT_T0_SG_SL_E_clISA_SA_SB_SB_EEDaSZ_S10_SG_SL_EUlSZ_E_NS1_11comp_targetILNS1_3genE10ELNS1_11target_archE1201ELNS1_3gpuE5ELNS1_3repE0EEENS1_47radix_sort_onesweep_sort_config_static_selectorELNS0_4arch9wavefront6targetE0EEEvSG_
                                        ; -- End function
	.set _ZN7rocprim17ROCPRIM_400000_NS6detail17trampoline_kernelINS0_14default_configENS1_35radix_sort_onesweep_config_selectorIfNS0_10empty_typeEEEZZNS1_29radix_sort_onesweep_iterationIS3_Lb0EPKfPfPS5_SB_mNS0_19identity_decomposerENS1_16block_id_wrapperIjLb1EEEEE10hipError_tT1_PNSt15iterator_traitsISG_E10value_typeET2_T3_PNSH_ISM_E10value_typeET4_T5_PSR_SS_PNS1_23onesweep_lookback_stateEbbT6_jjT7_P12ihipStream_tbENKUlT_T0_SG_SL_E_clISA_SA_SB_SB_EEDaSZ_S10_SG_SL_EUlSZ_E_NS1_11comp_targetILNS1_3genE10ELNS1_11target_archE1201ELNS1_3gpuE5ELNS1_3repE0EEENS1_47radix_sort_onesweep_sort_config_static_selectorELNS0_4arch9wavefront6targetE0EEEvSG_.num_vgpr, 0
	.set _ZN7rocprim17ROCPRIM_400000_NS6detail17trampoline_kernelINS0_14default_configENS1_35radix_sort_onesweep_config_selectorIfNS0_10empty_typeEEEZZNS1_29radix_sort_onesweep_iterationIS3_Lb0EPKfPfPS5_SB_mNS0_19identity_decomposerENS1_16block_id_wrapperIjLb1EEEEE10hipError_tT1_PNSt15iterator_traitsISG_E10value_typeET2_T3_PNSH_ISM_E10value_typeET4_T5_PSR_SS_PNS1_23onesweep_lookback_stateEbbT6_jjT7_P12ihipStream_tbENKUlT_T0_SG_SL_E_clISA_SA_SB_SB_EEDaSZ_S10_SG_SL_EUlSZ_E_NS1_11comp_targetILNS1_3genE10ELNS1_11target_archE1201ELNS1_3gpuE5ELNS1_3repE0EEENS1_47radix_sort_onesweep_sort_config_static_selectorELNS0_4arch9wavefront6targetE0EEEvSG_.num_agpr, 0
	.set _ZN7rocprim17ROCPRIM_400000_NS6detail17trampoline_kernelINS0_14default_configENS1_35radix_sort_onesweep_config_selectorIfNS0_10empty_typeEEEZZNS1_29radix_sort_onesweep_iterationIS3_Lb0EPKfPfPS5_SB_mNS0_19identity_decomposerENS1_16block_id_wrapperIjLb1EEEEE10hipError_tT1_PNSt15iterator_traitsISG_E10value_typeET2_T3_PNSH_ISM_E10value_typeET4_T5_PSR_SS_PNS1_23onesweep_lookback_stateEbbT6_jjT7_P12ihipStream_tbENKUlT_T0_SG_SL_E_clISA_SA_SB_SB_EEDaSZ_S10_SG_SL_EUlSZ_E_NS1_11comp_targetILNS1_3genE10ELNS1_11target_archE1201ELNS1_3gpuE5ELNS1_3repE0EEENS1_47radix_sort_onesweep_sort_config_static_selectorELNS0_4arch9wavefront6targetE0EEEvSG_.numbered_sgpr, 0
	.set _ZN7rocprim17ROCPRIM_400000_NS6detail17trampoline_kernelINS0_14default_configENS1_35radix_sort_onesweep_config_selectorIfNS0_10empty_typeEEEZZNS1_29radix_sort_onesweep_iterationIS3_Lb0EPKfPfPS5_SB_mNS0_19identity_decomposerENS1_16block_id_wrapperIjLb1EEEEE10hipError_tT1_PNSt15iterator_traitsISG_E10value_typeET2_T3_PNSH_ISM_E10value_typeET4_T5_PSR_SS_PNS1_23onesweep_lookback_stateEbbT6_jjT7_P12ihipStream_tbENKUlT_T0_SG_SL_E_clISA_SA_SB_SB_EEDaSZ_S10_SG_SL_EUlSZ_E_NS1_11comp_targetILNS1_3genE10ELNS1_11target_archE1201ELNS1_3gpuE5ELNS1_3repE0EEENS1_47radix_sort_onesweep_sort_config_static_selectorELNS0_4arch9wavefront6targetE0EEEvSG_.num_named_barrier, 0
	.set _ZN7rocprim17ROCPRIM_400000_NS6detail17trampoline_kernelINS0_14default_configENS1_35radix_sort_onesweep_config_selectorIfNS0_10empty_typeEEEZZNS1_29radix_sort_onesweep_iterationIS3_Lb0EPKfPfPS5_SB_mNS0_19identity_decomposerENS1_16block_id_wrapperIjLb1EEEEE10hipError_tT1_PNSt15iterator_traitsISG_E10value_typeET2_T3_PNSH_ISM_E10value_typeET4_T5_PSR_SS_PNS1_23onesweep_lookback_stateEbbT6_jjT7_P12ihipStream_tbENKUlT_T0_SG_SL_E_clISA_SA_SB_SB_EEDaSZ_S10_SG_SL_EUlSZ_E_NS1_11comp_targetILNS1_3genE10ELNS1_11target_archE1201ELNS1_3gpuE5ELNS1_3repE0EEENS1_47radix_sort_onesweep_sort_config_static_selectorELNS0_4arch9wavefront6targetE0EEEvSG_.private_seg_size, 0
	.set _ZN7rocprim17ROCPRIM_400000_NS6detail17trampoline_kernelINS0_14default_configENS1_35radix_sort_onesweep_config_selectorIfNS0_10empty_typeEEEZZNS1_29radix_sort_onesweep_iterationIS3_Lb0EPKfPfPS5_SB_mNS0_19identity_decomposerENS1_16block_id_wrapperIjLb1EEEEE10hipError_tT1_PNSt15iterator_traitsISG_E10value_typeET2_T3_PNSH_ISM_E10value_typeET4_T5_PSR_SS_PNS1_23onesweep_lookback_stateEbbT6_jjT7_P12ihipStream_tbENKUlT_T0_SG_SL_E_clISA_SA_SB_SB_EEDaSZ_S10_SG_SL_EUlSZ_E_NS1_11comp_targetILNS1_3genE10ELNS1_11target_archE1201ELNS1_3gpuE5ELNS1_3repE0EEENS1_47radix_sort_onesweep_sort_config_static_selectorELNS0_4arch9wavefront6targetE0EEEvSG_.uses_vcc, 0
	.set _ZN7rocprim17ROCPRIM_400000_NS6detail17trampoline_kernelINS0_14default_configENS1_35radix_sort_onesweep_config_selectorIfNS0_10empty_typeEEEZZNS1_29radix_sort_onesweep_iterationIS3_Lb0EPKfPfPS5_SB_mNS0_19identity_decomposerENS1_16block_id_wrapperIjLb1EEEEE10hipError_tT1_PNSt15iterator_traitsISG_E10value_typeET2_T3_PNSH_ISM_E10value_typeET4_T5_PSR_SS_PNS1_23onesweep_lookback_stateEbbT6_jjT7_P12ihipStream_tbENKUlT_T0_SG_SL_E_clISA_SA_SB_SB_EEDaSZ_S10_SG_SL_EUlSZ_E_NS1_11comp_targetILNS1_3genE10ELNS1_11target_archE1201ELNS1_3gpuE5ELNS1_3repE0EEENS1_47radix_sort_onesweep_sort_config_static_selectorELNS0_4arch9wavefront6targetE0EEEvSG_.uses_flat_scratch, 0
	.set _ZN7rocprim17ROCPRIM_400000_NS6detail17trampoline_kernelINS0_14default_configENS1_35radix_sort_onesweep_config_selectorIfNS0_10empty_typeEEEZZNS1_29radix_sort_onesweep_iterationIS3_Lb0EPKfPfPS5_SB_mNS0_19identity_decomposerENS1_16block_id_wrapperIjLb1EEEEE10hipError_tT1_PNSt15iterator_traitsISG_E10value_typeET2_T3_PNSH_ISM_E10value_typeET4_T5_PSR_SS_PNS1_23onesweep_lookback_stateEbbT6_jjT7_P12ihipStream_tbENKUlT_T0_SG_SL_E_clISA_SA_SB_SB_EEDaSZ_S10_SG_SL_EUlSZ_E_NS1_11comp_targetILNS1_3genE10ELNS1_11target_archE1201ELNS1_3gpuE5ELNS1_3repE0EEENS1_47radix_sort_onesweep_sort_config_static_selectorELNS0_4arch9wavefront6targetE0EEEvSG_.has_dyn_sized_stack, 0
	.set _ZN7rocprim17ROCPRIM_400000_NS6detail17trampoline_kernelINS0_14default_configENS1_35radix_sort_onesweep_config_selectorIfNS0_10empty_typeEEEZZNS1_29radix_sort_onesweep_iterationIS3_Lb0EPKfPfPS5_SB_mNS0_19identity_decomposerENS1_16block_id_wrapperIjLb1EEEEE10hipError_tT1_PNSt15iterator_traitsISG_E10value_typeET2_T3_PNSH_ISM_E10value_typeET4_T5_PSR_SS_PNS1_23onesweep_lookback_stateEbbT6_jjT7_P12ihipStream_tbENKUlT_T0_SG_SL_E_clISA_SA_SB_SB_EEDaSZ_S10_SG_SL_EUlSZ_E_NS1_11comp_targetILNS1_3genE10ELNS1_11target_archE1201ELNS1_3gpuE5ELNS1_3repE0EEENS1_47radix_sort_onesweep_sort_config_static_selectorELNS0_4arch9wavefront6targetE0EEEvSG_.has_recursion, 0
	.set _ZN7rocprim17ROCPRIM_400000_NS6detail17trampoline_kernelINS0_14default_configENS1_35radix_sort_onesweep_config_selectorIfNS0_10empty_typeEEEZZNS1_29radix_sort_onesweep_iterationIS3_Lb0EPKfPfPS5_SB_mNS0_19identity_decomposerENS1_16block_id_wrapperIjLb1EEEEE10hipError_tT1_PNSt15iterator_traitsISG_E10value_typeET2_T3_PNSH_ISM_E10value_typeET4_T5_PSR_SS_PNS1_23onesweep_lookback_stateEbbT6_jjT7_P12ihipStream_tbENKUlT_T0_SG_SL_E_clISA_SA_SB_SB_EEDaSZ_S10_SG_SL_EUlSZ_E_NS1_11comp_targetILNS1_3genE10ELNS1_11target_archE1201ELNS1_3gpuE5ELNS1_3repE0EEENS1_47radix_sort_onesweep_sort_config_static_selectorELNS0_4arch9wavefront6targetE0EEEvSG_.has_indirect_call, 0
	.section	.AMDGPU.csdata,"",@progbits
; Kernel info:
; codeLenInByte = 0
; TotalNumSgprs: 0
; NumVgprs: 0
; ScratchSize: 0
; MemoryBound: 0
; FloatMode: 240
; IeeeMode: 1
; LDSByteSize: 0 bytes/workgroup (compile time only)
; SGPRBlocks: 0
; VGPRBlocks: 0
; NumSGPRsForWavesPerEU: 1
; NumVGPRsForWavesPerEU: 1
; NamedBarCnt: 0
; Occupancy: 16
; WaveLimiterHint : 0
; COMPUTE_PGM_RSRC2:SCRATCH_EN: 0
; COMPUTE_PGM_RSRC2:USER_SGPR: 2
; COMPUTE_PGM_RSRC2:TRAP_HANDLER: 0
; COMPUTE_PGM_RSRC2:TGID_X_EN: 1
; COMPUTE_PGM_RSRC2:TGID_Y_EN: 0
; COMPUTE_PGM_RSRC2:TGID_Z_EN: 0
; COMPUTE_PGM_RSRC2:TIDIG_COMP_CNT: 0
	.section	.text._ZN7rocprim17ROCPRIM_400000_NS6detail17trampoline_kernelINS0_14default_configENS1_35radix_sort_onesweep_config_selectorIfNS0_10empty_typeEEEZZNS1_29radix_sort_onesweep_iterationIS3_Lb0EPKfPfPS5_SB_mNS0_19identity_decomposerENS1_16block_id_wrapperIjLb1EEEEE10hipError_tT1_PNSt15iterator_traitsISG_E10value_typeET2_T3_PNSH_ISM_E10value_typeET4_T5_PSR_SS_PNS1_23onesweep_lookback_stateEbbT6_jjT7_P12ihipStream_tbENKUlT_T0_SG_SL_E_clISA_SA_SB_SB_EEDaSZ_S10_SG_SL_EUlSZ_E_NS1_11comp_targetILNS1_3genE9ELNS1_11target_archE1100ELNS1_3gpuE3ELNS1_3repE0EEENS1_47radix_sort_onesweep_sort_config_static_selectorELNS0_4arch9wavefront6targetE0EEEvSG_,"axG",@progbits,_ZN7rocprim17ROCPRIM_400000_NS6detail17trampoline_kernelINS0_14default_configENS1_35radix_sort_onesweep_config_selectorIfNS0_10empty_typeEEEZZNS1_29radix_sort_onesweep_iterationIS3_Lb0EPKfPfPS5_SB_mNS0_19identity_decomposerENS1_16block_id_wrapperIjLb1EEEEE10hipError_tT1_PNSt15iterator_traitsISG_E10value_typeET2_T3_PNSH_ISM_E10value_typeET4_T5_PSR_SS_PNS1_23onesweep_lookback_stateEbbT6_jjT7_P12ihipStream_tbENKUlT_T0_SG_SL_E_clISA_SA_SB_SB_EEDaSZ_S10_SG_SL_EUlSZ_E_NS1_11comp_targetILNS1_3genE9ELNS1_11target_archE1100ELNS1_3gpuE3ELNS1_3repE0EEENS1_47radix_sort_onesweep_sort_config_static_selectorELNS0_4arch9wavefront6targetE0EEEvSG_,comdat
	.protected	_ZN7rocprim17ROCPRIM_400000_NS6detail17trampoline_kernelINS0_14default_configENS1_35radix_sort_onesweep_config_selectorIfNS0_10empty_typeEEEZZNS1_29radix_sort_onesweep_iterationIS3_Lb0EPKfPfPS5_SB_mNS0_19identity_decomposerENS1_16block_id_wrapperIjLb1EEEEE10hipError_tT1_PNSt15iterator_traitsISG_E10value_typeET2_T3_PNSH_ISM_E10value_typeET4_T5_PSR_SS_PNS1_23onesweep_lookback_stateEbbT6_jjT7_P12ihipStream_tbENKUlT_T0_SG_SL_E_clISA_SA_SB_SB_EEDaSZ_S10_SG_SL_EUlSZ_E_NS1_11comp_targetILNS1_3genE9ELNS1_11target_archE1100ELNS1_3gpuE3ELNS1_3repE0EEENS1_47radix_sort_onesweep_sort_config_static_selectorELNS0_4arch9wavefront6targetE0EEEvSG_ ; -- Begin function _ZN7rocprim17ROCPRIM_400000_NS6detail17trampoline_kernelINS0_14default_configENS1_35radix_sort_onesweep_config_selectorIfNS0_10empty_typeEEEZZNS1_29radix_sort_onesweep_iterationIS3_Lb0EPKfPfPS5_SB_mNS0_19identity_decomposerENS1_16block_id_wrapperIjLb1EEEEE10hipError_tT1_PNSt15iterator_traitsISG_E10value_typeET2_T3_PNSH_ISM_E10value_typeET4_T5_PSR_SS_PNS1_23onesweep_lookback_stateEbbT6_jjT7_P12ihipStream_tbENKUlT_T0_SG_SL_E_clISA_SA_SB_SB_EEDaSZ_S10_SG_SL_EUlSZ_E_NS1_11comp_targetILNS1_3genE9ELNS1_11target_archE1100ELNS1_3gpuE3ELNS1_3repE0EEENS1_47radix_sort_onesweep_sort_config_static_selectorELNS0_4arch9wavefront6targetE0EEEvSG_
	.globl	_ZN7rocprim17ROCPRIM_400000_NS6detail17trampoline_kernelINS0_14default_configENS1_35radix_sort_onesweep_config_selectorIfNS0_10empty_typeEEEZZNS1_29radix_sort_onesweep_iterationIS3_Lb0EPKfPfPS5_SB_mNS0_19identity_decomposerENS1_16block_id_wrapperIjLb1EEEEE10hipError_tT1_PNSt15iterator_traitsISG_E10value_typeET2_T3_PNSH_ISM_E10value_typeET4_T5_PSR_SS_PNS1_23onesweep_lookback_stateEbbT6_jjT7_P12ihipStream_tbENKUlT_T0_SG_SL_E_clISA_SA_SB_SB_EEDaSZ_S10_SG_SL_EUlSZ_E_NS1_11comp_targetILNS1_3genE9ELNS1_11target_archE1100ELNS1_3gpuE3ELNS1_3repE0EEENS1_47radix_sort_onesweep_sort_config_static_selectorELNS0_4arch9wavefront6targetE0EEEvSG_
	.p2align	8
	.type	_ZN7rocprim17ROCPRIM_400000_NS6detail17trampoline_kernelINS0_14default_configENS1_35radix_sort_onesweep_config_selectorIfNS0_10empty_typeEEEZZNS1_29radix_sort_onesweep_iterationIS3_Lb0EPKfPfPS5_SB_mNS0_19identity_decomposerENS1_16block_id_wrapperIjLb1EEEEE10hipError_tT1_PNSt15iterator_traitsISG_E10value_typeET2_T3_PNSH_ISM_E10value_typeET4_T5_PSR_SS_PNS1_23onesweep_lookback_stateEbbT6_jjT7_P12ihipStream_tbENKUlT_T0_SG_SL_E_clISA_SA_SB_SB_EEDaSZ_S10_SG_SL_EUlSZ_E_NS1_11comp_targetILNS1_3genE9ELNS1_11target_archE1100ELNS1_3gpuE3ELNS1_3repE0EEENS1_47radix_sort_onesweep_sort_config_static_selectorELNS0_4arch9wavefront6targetE0EEEvSG_,@function
_ZN7rocprim17ROCPRIM_400000_NS6detail17trampoline_kernelINS0_14default_configENS1_35radix_sort_onesweep_config_selectorIfNS0_10empty_typeEEEZZNS1_29radix_sort_onesweep_iterationIS3_Lb0EPKfPfPS5_SB_mNS0_19identity_decomposerENS1_16block_id_wrapperIjLb1EEEEE10hipError_tT1_PNSt15iterator_traitsISG_E10value_typeET2_T3_PNSH_ISM_E10value_typeET4_T5_PSR_SS_PNS1_23onesweep_lookback_stateEbbT6_jjT7_P12ihipStream_tbENKUlT_T0_SG_SL_E_clISA_SA_SB_SB_EEDaSZ_S10_SG_SL_EUlSZ_E_NS1_11comp_targetILNS1_3genE9ELNS1_11target_archE1100ELNS1_3gpuE3ELNS1_3repE0EEENS1_47radix_sort_onesweep_sort_config_static_selectorELNS0_4arch9wavefront6targetE0EEEvSG_: ; @_ZN7rocprim17ROCPRIM_400000_NS6detail17trampoline_kernelINS0_14default_configENS1_35radix_sort_onesweep_config_selectorIfNS0_10empty_typeEEEZZNS1_29radix_sort_onesweep_iterationIS3_Lb0EPKfPfPS5_SB_mNS0_19identity_decomposerENS1_16block_id_wrapperIjLb1EEEEE10hipError_tT1_PNSt15iterator_traitsISG_E10value_typeET2_T3_PNSH_ISM_E10value_typeET4_T5_PSR_SS_PNS1_23onesweep_lookback_stateEbbT6_jjT7_P12ihipStream_tbENKUlT_T0_SG_SL_E_clISA_SA_SB_SB_EEDaSZ_S10_SG_SL_EUlSZ_E_NS1_11comp_targetILNS1_3genE9ELNS1_11target_archE1100ELNS1_3gpuE3ELNS1_3repE0EEENS1_47radix_sort_onesweep_sort_config_static_selectorELNS0_4arch9wavefront6targetE0EEEvSG_
; %bb.0:
	.section	.rodata,"a",@progbits
	.p2align	6, 0x0
	.amdhsa_kernel _ZN7rocprim17ROCPRIM_400000_NS6detail17trampoline_kernelINS0_14default_configENS1_35radix_sort_onesweep_config_selectorIfNS0_10empty_typeEEEZZNS1_29radix_sort_onesweep_iterationIS3_Lb0EPKfPfPS5_SB_mNS0_19identity_decomposerENS1_16block_id_wrapperIjLb1EEEEE10hipError_tT1_PNSt15iterator_traitsISG_E10value_typeET2_T3_PNSH_ISM_E10value_typeET4_T5_PSR_SS_PNS1_23onesweep_lookback_stateEbbT6_jjT7_P12ihipStream_tbENKUlT_T0_SG_SL_E_clISA_SA_SB_SB_EEDaSZ_S10_SG_SL_EUlSZ_E_NS1_11comp_targetILNS1_3genE9ELNS1_11target_archE1100ELNS1_3gpuE3ELNS1_3repE0EEENS1_47radix_sort_onesweep_sort_config_static_selectorELNS0_4arch9wavefront6targetE0EEEvSG_
		.amdhsa_group_segment_fixed_size 0
		.amdhsa_private_segment_fixed_size 0
		.amdhsa_kernarg_size 88
		.amdhsa_user_sgpr_count 2
		.amdhsa_user_sgpr_dispatch_ptr 0
		.amdhsa_user_sgpr_queue_ptr 0
		.amdhsa_user_sgpr_kernarg_segment_ptr 1
		.amdhsa_user_sgpr_dispatch_id 0
		.amdhsa_user_sgpr_kernarg_preload_length 0
		.amdhsa_user_sgpr_kernarg_preload_offset 0
		.amdhsa_user_sgpr_private_segment_size 0
		.amdhsa_wavefront_size32 1
		.amdhsa_uses_dynamic_stack 0
		.amdhsa_enable_private_segment 0
		.amdhsa_system_sgpr_workgroup_id_x 1
		.amdhsa_system_sgpr_workgroup_id_y 0
		.amdhsa_system_sgpr_workgroup_id_z 0
		.amdhsa_system_sgpr_workgroup_info 0
		.amdhsa_system_vgpr_workitem_id 0
		.amdhsa_next_free_vgpr 1
		.amdhsa_next_free_sgpr 1
		.amdhsa_named_barrier_count 0
		.amdhsa_reserve_vcc 0
		.amdhsa_float_round_mode_32 0
		.amdhsa_float_round_mode_16_64 0
		.amdhsa_float_denorm_mode_32 3
		.amdhsa_float_denorm_mode_16_64 3
		.amdhsa_fp16_overflow 0
		.amdhsa_memory_ordered 1
		.amdhsa_forward_progress 1
		.amdhsa_inst_pref_size 0
		.amdhsa_round_robin_scheduling 0
		.amdhsa_exception_fp_ieee_invalid_op 0
		.amdhsa_exception_fp_denorm_src 0
		.amdhsa_exception_fp_ieee_div_zero 0
		.amdhsa_exception_fp_ieee_overflow 0
		.amdhsa_exception_fp_ieee_underflow 0
		.amdhsa_exception_fp_ieee_inexact 0
		.amdhsa_exception_int_div_zero 0
	.end_amdhsa_kernel
	.section	.text._ZN7rocprim17ROCPRIM_400000_NS6detail17trampoline_kernelINS0_14default_configENS1_35radix_sort_onesweep_config_selectorIfNS0_10empty_typeEEEZZNS1_29radix_sort_onesweep_iterationIS3_Lb0EPKfPfPS5_SB_mNS0_19identity_decomposerENS1_16block_id_wrapperIjLb1EEEEE10hipError_tT1_PNSt15iterator_traitsISG_E10value_typeET2_T3_PNSH_ISM_E10value_typeET4_T5_PSR_SS_PNS1_23onesweep_lookback_stateEbbT6_jjT7_P12ihipStream_tbENKUlT_T0_SG_SL_E_clISA_SA_SB_SB_EEDaSZ_S10_SG_SL_EUlSZ_E_NS1_11comp_targetILNS1_3genE9ELNS1_11target_archE1100ELNS1_3gpuE3ELNS1_3repE0EEENS1_47radix_sort_onesweep_sort_config_static_selectorELNS0_4arch9wavefront6targetE0EEEvSG_,"axG",@progbits,_ZN7rocprim17ROCPRIM_400000_NS6detail17trampoline_kernelINS0_14default_configENS1_35radix_sort_onesweep_config_selectorIfNS0_10empty_typeEEEZZNS1_29radix_sort_onesweep_iterationIS3_Lb0EPKfPfPS5_SB_mNS0_19identity_decomposerENS1_16block_id_wrapperIjLb1EEEEE10hipError_tT1_PNSt15iterator_traitsISG_E10value_typeET2_T3_PNSH_ISM_E10value_typeET4_T5_PSR_SS_PNS1_23onesweep_lookback_stateEbbT6_jjT7_P12ihipStream_tbENKUlT_T0_SG_SL_E_clISA_SA_SB_SB_EEDaSZ_S10_SG_SL_EUlSZ_E_NS1_11comp_targetILNS1_3genE9ELNS1_11target_archE1100ELNS1_3gpuE3ELNS1_3repE0EEENS1_47radix_sort_onesweep_sort_config_static_selectorELNS0_4arch9wavefront6targetE0EEEvSG_,comdat
.Lfunc_end1422:
	.size	_ZN7rocprim17ROCPRIM_400000_NS6detail17trampoline_kernelINS0_14default_configENS1_35radix_sort_onesweep_config_selectorIfNS0_10empty_typeEEEZZNS1_29radix_sort_onesweep_iterationIS3_Lb0EPKfPfPS5_SB_mNS0_19identity_decomposerENS1_16block_id_wrapperIjLb1EEEEE10hipError_tT1_PNSt15iterator_traitsISG_E10value_typeET2_T3_PNSH_ISM_E10value_typeET4_T5_PSR_SS_PNS1_23onesweep_lookback_stateEbbT6_jjT7_P12ihipStream_tbENKUlT_T0_SG_SL_E_clISA_SA_SB_SB_EEDaSZ_S10_SG_SL_EUlSZ_E_NS1_11comp_targetILNS1_3genE9ELNS1_11target_archE1100ELNS1_3gpuE3ELNS1_3repE0EEENS1_47radix_sort_onesweep_sort_config_static_selectorELNS0_4arch9wavefront6targetE0EEEvSG_, .Lfunc_end1422-_ZN7rocprim17ROCPRIM_400000_NS6detail17trampoline_kernelINS0_14default_configENS1_35radix_sort_onesweep_config_selectorIfNS0_10empty_typeEEEZZNS1_29radix_sort_onesweep_iterationIS3_Lb0EPKfPfPS5_SB_mNS0_19identity_decomposerENS1_16block_id_wrapperIjLb1EEEEE10hipError_tT1_PNSt15iterator_traitsISG_E10value_typeET2_T3_PNSH_ISM_E10value_typeET4_T5_PSR_SS_PNS1_23onesweep_lookback_stateEbbT6_jjT7_P12ihipStream_tbENKUlT_T0_SG_SL_E_clISA_SA_SB_SB_EEDaSZ_S10_SG_SL_EUlSZ_E_NS1_11comp_targetILNS1_3genE9ELNS1_11target_archE1100ELNS1_3gpuE3ELNS1_3repE0EEENS1_47radix_sort_onesweep_sort_config_static_selectorELNS0_4arch9wavefront6targetE0EEEvSG_
                                        ; -- End function
	.set _ZN7rocprim17ROCPRIM_400000_NS6detail17trampoline_kernelINS0_14default_configENS1_35radix_sort_onesweep_config_selectorIfNS0_10empty_typeEEEZZNS1_29radix_sort_onesweep_iterationIS3_Lb0EPKfPfPS5_SB_mNS0_19identity_decomposerENS1_16block_id_wrapperIjLb1EEEEE10hipError_tT1_PNSt15iterator_traitsISG_E10value_typeET2_T3_PNSH_ISM_E10value_typeET4_T5_PSR_SS_PNS1_23onesweep_lookback_stateEbbT6_jjT7_P12ihipStream_tbENKUlT_T0_SG_SL_E_clISA_SA_SB_SB_EEDaSZ_S10_SG_SL_EUlSZ_E_NS1_11comp_targetILNS1_3genE9ELNS1_11target_archE1100ELNS1_3gpuE3ELNS1_3repE0EEENS1_47radix_sort_onesweep_sort_config_static_selectorELNS0_4arch9wavefront6targetE0EEEvSG_.num_vgpr, 0
	.set _ZN7rocprim17ROCPRIM_400000_NS6detail17trampoline_kernelINS0_14default_configENS1_35radix_sort_onesweep_config_selectorIfNS0_10empty_typeEEEZZNS1_29radix_sort_onesweep_iterationIS3_Lb0EPKfPfPS5_SB_mNS0_19identity_decomposerENS1_16block_id_wrapperIjLb1EEEEE10hipError_tT1_PNSt15iterator_traitsISG_E10value_typeET2_T3_PNSH_ISM_E10value_typeET4_T5_PSR_SS_PNS1_23onesweep_lookback_stateEbbT6_jjT7_P12ihipStream_tbENKUlT_T0_SG_SL_E_clISA_SA_SB_SB_EEDaSZ_S10_SG_SL_EUlSZ_E_NS1_11comp_targetILNS1_3genE9ELNS1_11target_archE1100ELNS1_3gpuE3ELNS1_3repE0EEENS1_47radix_sort_onesweep_sort_config_static_selectorELNS0_4arch9wavefront6targetE0EEEvSG_.num_agpr, 0
	.set _ZN7rocprim17ROCPRIM_400000_NS6detail17trampoline_kernelINS0_14default_configENS1_35radix_sort_onesweep_config_selectorIfNS0_10empty_typeEEEZZNS1_29radix_sort_onesweep_iterationIS3_Lb0EPKfPfPS5_SB_mNS0_19identity_decomposerENS1_16block_id_wrapperIjLb1EEEEE10hipError_tT1_PNSt15iterator_traitsISG_E10value_typeET2_T3_PNSH_ISM_E10value_typeET4_T5_PSR_SS_PNS1_23onesweep_lookback_stateEbbT6_jjT7_P12ihipStream_tbENKUlT_T0_SG_SL_E_clISA_SA_SB_SB_EEDaSZ_S10_SG_SL_EUlSZ_E_NS1_11comp_targetILNS1_3genE9ELNS1_11target_archE1100ELNS1_3gpuE3ELNS1_3repE0EEENS1_47radix_sort_onesweep_sort_config_static_selectorELNS0_4arch9wavefront6targetE0EEEvSG_.numbered_sgpr, 0
	.set _ZN7rocprim17ROCPRIM_400000_NS6detail17trampoline_kernelINS0_14default_configENS1_35radix_sort_onesweep_config_selectorIfNS0_10empty_typeEEEZZNS1_29radix_sort_onesweep_iterationIS3_Lb0EPKfPfPS5_SB_mNS0_19identity_decomposerENS1_16block_id_wrapperIjLb1EEEEE10hipError_tT1_PNSt15iterator_traitsISG_E10value_typeET2_T3_PNSH_ISM_E10value_typeET4_T5_PSR_SS_PNS1_23onesweep_lookback_stateEbbT6_jjT7_P12ihipStream_tbENKUlT_T0_SG_SL_E_clISA_SA_SB_SB_EEDaSZ_S10_SG_SL_EUlSZ_E_NS1_11comp_targetILNS1_3genE9ELNS1_11target_archE1100ELNS1_3gpuE3ELNS1_3repE0EEENS1_47radix_sort_onesweep_sort_config_static_selectorELNS0_4arch9wavefront6targetE0EEEvSG_.num_named_barrier, 0
	.set _ZN7rocprim17ROCPRIM_400000_NS6detail17trampoline_kernelINS0_14default_configENS1_35radix_sort_onesweep_config_selectorIfNS0_10empty_typeEEEZZNS1_29radix_sort_onesweep_iterationIS3_Lb0EPKfPfPS5_SB_mNS0_19identity_decomposerENS1_16block_id_wrapperIjLb1EEEEE10hipError_tT1_PNSt15iterator_traitsISG_E10value_typeET2_T3_PNSH_ISM_E10value_typeET4_T5_PSR_SS_PNS1_23onesweep_lookback_stateEbbT6_jjT7_P12ihipStream_tbENKUlT_T0_SG_SL_E_clISA_SA_SB_SB_EEDaSZ_S10_SG_SL_EUlSZ_E_NS1_11comp_targetILNS1_3genE9ELNS1_11target_archE1100ELNS1_3gpuE3ELNS1_3repE0EEENS1_47radix_sort_onesweep_sort_config_static_selectorELNS0_4arch9wavefront6targetE0EEEvSG_.private_seg_size, 0
	.set _ZN7rocprim17ROCPRIM_400000_NS6detail17trampoline_kernelINS0_14default_configENS1_35radix_sort_onesweep_config_selectorIfNS0_10empty_typeEEEZZNS1_29radix_sort_onesweep_iterationIS3_Lb0EPKfPfPS5_SB_mNS0_19identity_decomposerENS1_16block_id_wrapperIjLb1EEEEE10hipError_tT1_PNSt15iterator_traitsISG_E10value_typeET2_T3_PNSH_ISM_E10value_typeET4_T5_PSR_SS_PNS1_23onesweep_lookback_stateEbbT6_jjT7_P12ihipStream_tbENKUlT_T0_SG_SL_E_clISA_SA_SB_SB_EEDaSZ_S10_SG_SL_EUlSZ_E_NS1_11comp_targetILNS1_3genE9ELNS1_11target_archE1100ELNS1_3gpuE3ELNS1_3repE0EEENS1_47radix_sort_onesweep_sort_config_static_selectorELNS0_4arch9wavefront6targetE0EEEvSG_.uses_vcc, 0
	.set _ZN7rocprim17ROCPRIM_400000_NS6detail17trampoline_kernelINS0_14default_configENS1_35radix_sort_onesweep_config_selectorIfNS0_10empty_typeEEEZZNS1_29radix_sort_onesweep_iterationIS3_Lb0EPKfPfPS5_SB_mNS0_19identity_decomposerENS1_16block_id_wrapperIjLb1EEEEE10hipError_tT1_PNSt15iterator_traitsISG_E10value_typeET2_T3_PNSH_ISM_E10value_typeET4_T5_PSR_SS_PNS1_23onesweep_lookback_stateEbbT6_jjT7_P12ihipStream_tbENKUlT_T0_SG_SL_E_clISA_SA_SB_SB_EEDaSZ_S10_SG_SL_EUlSZ_E_NS1_11comp_targetILNS1_3genE9ELNS1_11target_archE1100ELNS1_3gpuE3ELNS1_3repE0EEENS1_47radix_sort_onesweep_sort_config_static_selectorELNS0_4arch9wavefront6targetE0EEEvSG_.uses_flat_scratch, 0
	.set _ZN7rocprim17ROCPRIM_400000_NS6detail17trampoline_kernelINS0_14default_configENS1_35radix_sort_onesweep_config_selectorIfNS0_10empty_typeEEEZZNS1_29radix_sort_onesweep_iterationIS3_Lb0EPKfPfPS5_SB_mNS0_19identity_decomposerENS1_16block_id_wrapperIjLb1EEEEE10hipError_tT1_PNSt15iterator_traitsISG_E10value_typeET2_T3_PNSH_ISM_E10value_typeET4_T5_PSR_SS_PNS1_23onesweep_lookback_stateEbbT6_jjT7_P12ihipStream_tbENKUlT_T0_SG_SL_E_clISA_SA_SB_SB_EEDaSZ_S10_SG_SL_EUlSZ_E_NS1_11comp_targetILNS1_3genE9ELNS1_11target_archE1100ELNS1_3gpuE3ELNS1_3repE0EEENS1_47radix_sort_onesweep_sort_config_static_selectorELNS0_4arch9wavefront6targetE0EEEvSG_.has_dyn_sized_stack, 0
	.set _ZN7rocprim17ROCPRIM_400000_NS6detail17trampoline_kernelINS0_14default_configENS1_35radix_sort_onesweep_config_selectorIfNS0_10empty_typeEEEZZNS1_29radix_sort_onesweep_iterationIS3_Lb0EPKfPfPS5_SB_mNS0_19identity_decomposerENS1_16block_id_wrapperIjLb1EEEEE10hipError_tT1_PNSt15iterator_traitsISG_E10value_typeET2_T3_PNSH_ISM_E10value_typeET4_T5_PSR_SS_PNS1_23onesweep_lookback_stateEbbT6_jjT7_P12ihipStream_tbENKUlT_T0_SG_SL_E_clISA_SA_SB_SB_EEDaSZ_S10_SG_SL_EUlSZ_E_NS1_11comp_targetILNS1_3genE9ELNS1_11target_archE1100ELNS1_3gpuE3ELNS1_3repE0EEENS1_47radix_sort_onesweep_sort_config_static_selectorELNS0_4arch9wavefront6targetE0EEEvSG_.has_recursion, 0
	.set _ZN7rocprim17ROCPRIM_400000_NS6detail17trampoline_kernelINS0_14default_configENS1_35radix_sort_onesweep_config_selectorIfNS0_10empty_typeEEEZZNS1_29radix_sort_onesweep_iterationIS3_Lb0EPKfPfPS5_SB_mNS0_19identity_decomposerENS1_16block_id_wrapperIjLb1EEEEE10hipError_tT1_PNSt15iterator_traitsISG_E10value_typeET2_T3_PNSH_ISM_E10value_typeET4_T5_PSR_SS_PNS1_23onesweep_lookback_stateEbbT6_jjT7_P12ihipStream_tbENKUlT_T0_SG_SL_E_clISA_SA_SB_SB_EEDaSZ_S10_SG_SL_EUlSZ_E_NS1_11comp_targetILNS1_3genE9ELNS1_11target_archE1100ELNS1_3gpuE3ELNS1_3repE0EEENS1_47radix_sort_onesweep_sort_config_static_selectorELNS0_4arch9wavefront6targetE0EEEvSG_.has_indirect_call, 0
	.section	.AMDGPU.csdata,"",@progbits
; Kernel info:
; codeLenInByte = 0
; TotalNumSgprs: 0
; NumVgprs: 0
; ScratchSize: 0
; MemoryBound: 0
; FloatMode: 240
; IeeeMode: 1
; LDSByteSize: 0 bytes/workgroup (compile time only)
; SGPRBlocks: 0
; VGPRBlocks: 0
; NumSGPRsForWavesPerEU: 1
; NumVGPRsForWavesPerEU: 1
; NamedBarCnt: 0
; Occupancy: 16
; WaveLimiterHint : 0
; COMPUTE_PGM_RSRC2:SCRATCH_EN: 0
; COMPUTE_PGM_RSRC2:USER_SGPR: 2
; COMPUTE_PGM_RSRC2:TRAP_HANDLER: 0
; COMPUTE_PGM_RSRC2:TGID_X_EN: 1
; COMPUTE_PGM_RSRC2:TGID_Y_EN: 0
; COMPUTE_PGM_RSRC2:TGID_Z_EN: 0
; COMPUTE_PGM_RSRC2:TIDIG_COMP_CNT: 0
	.section	.text._ZN7rocprim17ROCPRIM_400000_NS6detail17trampoline_kernelINS0_14default_configENS1_35radix_sort_onesweep_config_selectorIfNS0_10empty_typeEEEZZNS1_29radix_sort_onesweep_iterationIS3_Lb0EPKfPfPS5_SB_mNS0_19identity_decomposerENS1_16block_id_wrapperIjLb1EEEEE10hipError_tT1_PNSt15iterator_traitsISG_E10value_typeET2_T3_PNSH_ISM_E10value_typeET4_T5_PSR_SS_PNS1_23onesweep_lookback_stateEbbT6_jjT7_P12ihipStream_tbENKUlT_T0_SG_SL_E_clISA_SA_SB_SB_EEDaSZ_S10_SG_SL_EUlSZ_E_NS1_11comp_targetILNS1_3genE8ELNS1_11target_archE1030ELNS1_3gpuE2ELNS1_3repE0EEENS1_47radix_sort_onesweep_sort_config_static_selectorELNS0_4arch9wavefront6targetE0EEEvSG_,"axG",@progbits,_ZN7rocprim17ROCPRIM_400000_NS6detail17trampoline_kernelINS0_14default_configENS1_35radix_sort_onesweep_config_selectorIfNS0_10empty_typeEEEZZNS1_29radix_sort_onesweep_iterationIS3_Lb0EPKfPfPS5_SB_mNS0_19identity_decomposerENS1_16block_id_wrapperIjLb1EEEEE10hipError_tT1_PNSt15iterator_traitsISG_E10value_typeET2_T3_PNSH_ISM_E10value_typeET4_T5_PSR_SS_PNS1_23onesweep_lookback_stateEbbT6_jjT7_P12ihipStream_tbENKUlT_T0_SG_SL_E_clISA_SA_SB_SB_EEDaSZ_S10_SG_SL_EUlSZ_E_NS1_11comp_targetILNS1_3genE8ELNS1_11target_archE1030ELNS1_3gpuE2ELNS1_3repE0EEENS1_47radix_sort_onesweep_sort_config_static_selectorELNS0_4arch9wavefront6targetE0EEEvSG_,comdat
	.protected	_ZN7rocprim17ROCPRIM_400000_NS6detail17trampoline_kernelINS0_14default_configENS1_35radix_sort_onesweep_config_selectorIfNS0_10empty_typeEEEZZNS1_29radix_sort_onesweep_iterationIS3_Lb0EPKfPfPS5_SB_mNS0_19identity_decomposerENS1_16block_id_wrapperIjLb1EEEEE10hipError_tT1_PNSt15iterator_traitsISG_E10value_typeET2_T3_PNSH_ISM_E10value_typeET4_T5_PSR_SS_PNS1_23onesweep_lookback_stateEbbT6_jjT7_P12ihipStream_tbENKUlT_T0_SG_SL_E_clISA_SA_SB_SB_EEDaSZ_S10_SG_SL_EUlSZ_E_NS1_11comp_targetILNS1_3genE8ELNS1_11target_archE1030ELNS1_3gpuE2ELNS1_3repE0EEENS1_47radix_sort_onesweep_sort_config_static_selectorELNS0_4arch9wavefront6targetE0EEEvSG_ ; -- Begin function _ZN7rocprim17ROCPRIM_400000_NS6detail17trampoline_kernelINS0_14default_configENS1_35radix_sort_onesweep_config_selectorIfNS0_10empty_typeEEEZZNS1_29radix_sort_onesweep_iterationIS3_Lb0EPKfPfPS5_SB_mNS0_19identity_decomposerENS1_16block_id_wrapperIjLb1EEEEE10hipError_tT1_PNSt15iterator_traitsISG_E10value_typeET2_T3_PNSH_ISM_E10value_typeET4_T5_PSR_SS_PNS1_23onesweep_lookback_stateEbbT6_jjT7_P12ihipStream_tbENKUlT_T0_SG_SL_E_clISA_SA_SB_SB_EEDaSZ_S10_SG_SL_EUlSZ_E_NS1_11comp_targetILNS1_3genE8ELNS1_11target_archE1030ELNS1_3gpuE2ELNS1_3repE0EEENS1_47radix_sort_onesweep_sort_config_static_selectorELNS0_4arch9wavefront6targetE0EEEvSG_
	.globl	_ZN7rocprim17ROCPRIM_400000_NS6detail17trampoline_kernelINS0_14default_configENS1_35radix_sort_onesweep_config_selectorIfNS0_10empty_typeEEEZZNS1_29radix_sort_onesweep_iterationIS3_Lb0EPKfPfPS5_SB_mNS0_19identity_decomposerENS1_16block_id_wrapperIjLb1EEEEE10hipError_tT1_PNSt15iterator_traitsISG_E10value_typeET2_T3_PNSH_ISM_E10value_typeET4_T5_PSR_SS_PNS1_23onesweep_lookback_stateEbbT6_jjT7_P12ihipStream_tbENKUlT_T0_SG_SL_E_clISA_SA_SB_SB_EEDaSZ_S10_SG_SL_EUlSZ_E_NS1_11comp_targetILNS1_3genE8ELNS1_11target_archE1030ELNS1_3gpuE2ELNS1_3repE0EEENS1_47radix_sort_onesweep_sort_config_static_selectorELNS0_4arch9wavefront6targetE0EEEvSG_
	.p2align	8
	.type	_ZN7rocprim17ROCPRIM_400000_NS6detail17trampoline_kernelINS0_14default_configENS1_35radix_sort_onesweep_config_selectorIfNS0_10empty_typeEEEZZNS1_29radix_sort_onesweep_iterationIS3_Lb0EPKfPfPS5_SB_mNS0_19identity_decomposerENS1_16block_id_wrapperIjLb1EEEEE10hipError_tT1_PNSt15iterator_traitsISG_E10value_typeET2_T3_PNSH_ISM_E10value_typeET4_T5_PSR_SS_PNS1_23onesweep_lookback_stateEbbT6_jjT7_P12ihipStream_tbENKUlT_T0_SG_SL_E_clISA_SA_SB_SB_EEDaSZ_S10_SG_SL_EUlSZ_E_NS1_11comp_targetILNS1_3genE8ELNS1_11target_archE1030ELNS1_3gpuE2ELNS1_3repE0EEENS1_47radix_sort_onesweep_sort_config_static_selectorELNS0_4arch9wavefront6targetE0EEEvSG_,@function
_ZN7rocprim17ROCPRIM_400000_NS6detail17trampoline_kernelINS0_14default_configENS1_35radix_sort_onesweep_config_selectorIfNS0_10empty_typeEEEZZNS1_29radix_sort_onesweep_iterationIS3_Lb0EPKfPfPS5_SB_mNS0_19identity_decomposerENS1_16block_id_wrapperIjLb1EEEEE10hipError_tT1_PNSt15iterator_traitsISG_E10value_typeET2_T3_PNSH_ISM_E10value_typeET4_T5_PSR_SS_PNS1_23onesweep_lookback_stateEbbT6_jjT7_P12ihipStream_tbENKUlT_T0_SG_SL_E_clISA_SA_SB_SB_EEDaSZ_S10_SG_SL_EUlSZ_E_NS1_11comp_targetILNS1_3genE8ELNS1_11target_archE1030ELNS1_3gpuE2ELNS1_3repE0EEENS1_47radix_sort_onesweep_sort_config_static_selectorELNS0_4arch9wavefront6targetE0EEEvSG_: ; @_ZN7rocprim17ROCPRIM_400000_NS6detail17trampoline_kernelINS0_14default_configENS1_35radix_sort_onesweep_config_selectorIfNS0_10empty_typeEEEZZNS1_29radix_sort_onesweep_iterationIS3_Lb0EPKfPfPS5_SB_mNS0_19identity_decomposerENS1_16block_id_wrapperIjLb1EEEEE10hipError_tT1_PNSt15iterator_traitsISG_E10value_typeET2_T3_PNSH_ISM_E10value_typeET4_T5_PSR_SS_PNS1_23onesweep_lookback_stateEbbT6_jjT7_P12ihipStream_tbENKUlT_T0_SG_SL_E_clISA_SA_SB_SB_EEDaSZ_S10_SG_SL_EUlSZ_E_NS1_11comp_targetILNS1_3genE8ELNS1_11target_archE1030ELNS1_3gpuE2ELNS1_3repE0EEENS1_47radix_sort_onesweep_sort_config_static_selectorELNS0_4arch9wavefront6targetE0EEEvSG_
; %bb.0:
	.section	.rodata,"a",@progbits
	.p2align	6, 0x0
	.amdhsa_kernel _ZN7rocprim17ROCPRIM_400000_NS6detail17trampoline_kernelINS0_14default_configENS1_35radix_sort_onesweep_config_selectorIfNS0_10empty_typeEEEZZNS1_29radix_sort_onesweep_iterationIS3_Lb0EPKfPfPS5_SB_mNS0_19identity_decomposerENS1_16block_id_wrapperIjLb1EEEEE10hipError_tT1_PNSt15iterator_traitsISG_E10value_typeET2_T3_PNSH_ISM_E10value_typeET4_T5_PSR_SS_PNS1_23onesweep_lookback_stateEbbT6_jjT7_P12ihipStream_tbENKUlT_T0_SG_SL_E_clISA_SA_SB_SB_EEDaSZ_S10_SG_SL_EUlSZ_E_NS1_11comp_targetILNS1_3genE8ELNS1_11target_archE1030ELNS1_3gpuE2ELNS1_3repE0EEENS1_47radix_sort_onesweep_sort_config_static_selectorELNS0_4arch9wavefront6targetE0EEEvSG_
		.amdhsa_group_segment_fixed_size 0
		.amdhsa_private_segment_fixed_size 0
		.amdhsa_kernarg_size 88
		.amdhsa_user_sgpr_count 2
		.amdhsa_user_sgpr_dispatch_ptr 0
		.amdhsa_user_sgpr_queue_ptr 0
		.amdhsa_user_sgpr_kernarg_segment_ptr 1
		.amdhsa_user_sgpr_dispatch_id 0
		.amdhsa_user_sgpr_kernarg_preload_length 0
		.amdhsa_user_sgpr_kernarg_preload_offset 0
		.amdhsa_user_sgpr_private_segment_size 0
		.amdhsa_wavefront_size32 1
		.amdhsa_uses_dynamic_stack 0
		.amdhsa_enable_private_segment 0
		.amdhsa_system_sgpr_workgroup_id_x 1
		.amdhsa_system_sgpr_workgroup_id_y 0
		.amdhsa_system_sgpr_workgroup_id_z 0
		.amdhsa_system_sgpr_workgroup_info 0
		.amdhsa_system_vgpr_workitem_id 0
		.amdhsa_next_free_vgpr 1
		.amdhsa_next_free_sgpr 1
		.amdhsa_named_barrier_count 0
		.amdhsa_reserve_vcc 0
		.amdhsa_float_round_mode_32 0
		.amdhsa_float_round_mode_16_64 0
		.amdhsa_float_denorm_mode_32 3
		.amdhsa_float_denorm_mode_16_64 3
		.amdhsa_fp16_overflow 0
		.amdhsa_memory_ordered 1
		.amdhsa_forward_progress 1
		.amdhsa_inst_pref_size 0
		.amdhsa_round_robin_scheduling 0
		.amdhsa_exception_fp_ieee_invalid_op 0
		.amdhsa_exception_fp_denorm_src 0
		.amdhsa_exception_fp_ieee_div_zero 0
		.amdhsa_exception_fp_ieee_overflow 0
		.amdhsa_exception_fp_ieee_underflow 0
		.amdhsa_exception_fp_ieee_inexact 0
		.amdhsa_exception_int_div_zero 0
	.end_amdhsa_kernel
	.section	.text._ZN7rocprim17ROCPRIM_400000_NS6detail17trampoline_kernelINS0_14default_configENS1_35radix_sort_onesweep_config_selectorIfNS0_10empty_typeEEEZZNS1_29radix_sort_onesweep_iterationIS3_Lb0EPKfPfPS5_SB_mNS0_19identity_decomposerENS1_16block_id_wrapperIjLb1EEEEE10hipError_tT1_PNSt15iterator_traitsISG_E10value_typeET2_T3_PNSH_ISM_E10value_typeET4_T5_PSR_SS_PNS1_23onesweep_lookback_stateEbbT6_jjT7_P12ihipStream_tbENKUlT_T0_SG_SL_E_clISA_SA_SB_SB_EEDaSZ_S10_SG_SL_EUlSZ_E_NS1_11comp_targetILNS1_3genE8ELNS1_11target_archE1030ELNS1_3gpuE2ELNS1_3repE0EEENS1_47radix_sort_onesweep_sort_config_static_selectorELNS0_4arch9wavefront6targetE0EEEvSG_,"axG",@progbits,_ZN7rocprim17ROCPRIM_400000_NS6detail17trampoline_kernelINS0_14default_configENS1_35radix_sort_onesweep_config_selectorIfNS0_10empty_typeEEEZZNS1_29radix_sort_onesweep_iterationIS3_Lb0EPKfPfPS5_SB_mNS0_19identity_decomposerENS1_16block_id_wrapperIjLb1EEEEE10hipError_tT1_PNSt15iterator_traitsISG_E10value_typeET2_T3_PNSH_ISM_E10value_typeET4_T5_PSR_SS_PNS1_23onesweep_lookback_stateEbbT6_jjT7_P12ihipStream_tbENKUlT_T0_SG_SL_E_clISA_SA_SB_SB_EEDaSZ_S10_SG_SL_EUlSZ_E_NS1_11comp_targetILNS1_3genE8ELNS1_11target_archE1030ELNS1_3gpuE2ELNS1_3repE0EEENS1_47radix_sort_onesweep_sort_config_static_selectorELNS0_4arch9wavefront6targetE0EEEvSG_,comdat
.Lfunc_end1423:
	.size	_ZN7rocprim17ROCPRIM_400000_NS6detail17trampoline_kernelINS0_14default_configENS1_35radix_sort_onesweep_config_selectorIfNS0_10empty_typeEEEZZNS1_29radix_sort_onesweep_iterationIS3_Lb0EPKfPfPS5_SB_mNS0_19identity_decomposerENS1_16block_id_wrapperIjLb1EEEEE10hipError_tT1_PNSt15iterator_traitsISG_E10value_typeET2_T3_PNSH_ISM_E10value_typeET4_T5_PSR_SS_PNS1_23onesweep_lookback_stateEbbT6_jjT7_P12ihipStream_tbENKUlT_T0_SG_SL_E_clISA_SA_SB_SB_EEDaSZ_S10_SG_SL_EUlSZ_E_NS1_11comp_targetILNS1_3genE8ELNS1_11target_archE1030ELNS1_3gpuE2ELNS1_3repE0EEENS1_47radix_sort_onesweep_sort_config_static_selectorELNS0_4arch9wavefront6targetE0EEEvSG_, .Lfunc_end1423-_ZN7rocprim17ROCPRIM_400000_NS6detail17trampoline_kernelINS0_14default_configENS1_35radix_sort_onesweep_config_selectorIfNS0_10empty_typeEEEZZNS1_29radix_sort_onesweep_iterationIS3_Lb0EPKfPfPS5_SB_mNS0_19identity_decomposerENS1_16block_id_wrapperIjLb1EEEEE10hipError_tT1_PNSt15iterator_traitsISG_E10value_typeET2_T3_PNSH_ISM_E10value_typeET4_T5_PSR_SS_PNS1_23onesweep_lookback_stateEbbT6_jjT7_P12ihipStream_tbENKUlT_T0_SG_SL_E_clISA_SA_SB_SB_EEDaSZ_S10_SG_SL_EUlSZ_E_NS1_11comp_targetILNS1_3genE8ELNS1_11target_archE1030ELNS1_3gpuE2ELNS1_3repE0EEENS1_47radix_sort_onesweep_sort_config_static_selectorELNS0_4arch9wavefront6targetE0EEEvSG_
                                        ; -- End function
	.set _ZN7rocprim17ROCPRIM_400000_NS6detail17trampoline_kernelINS0_14default_configENS1_35radix_sort_onesweep_config_selectorIfNS0_10empty_typeEEEZZNS1_29radix_sort_onesweep_iterationIS3_Lb0EPKfPfPS5_SB_mNS0_19identity_decomposerENS1_16block_id_wrapperIjLb1EEEEE10hipError_tT1_PNSt15iterator_traitsISG_E10value_typeET2_T3_PNSH_ISM_E10value_typeET4_T5_PSR_SS_PNS1_23onesweep_lookback_stateEbbT6_jjT7_P12ihipStream_tbENKUlT_T0_SG_SL_E_clISA_SA_SB_SB_EEDaSZ_S10_SG_SL_EUlSZ_E_NS1_11comp_targetILNS1_3genE8ELNS1_11target_archE1030ELNS1_3gpuE2ELNS1_3repE0EEENS1_47radix_sort_onesweep_sort_config_static_selectorELNS0_4arch9wavefront6targetE0EEEvSG_.num_vgpr, 0
	.set _ZN7rocprim17ROCPRIM_400000_NS6detail17trampoline_kernelINS0_14default_configENS1_35radix_sort_onesweep_config_selectorIfNS0_10empty_typeEEEZZNS1_29radix_sort_onesweep_iterationIS3_Lb0EPKfPfPS5_SB_mNS0_19identity_decomposerENS1_16block_id_wrapperIjLb1EEEEE10hipError_tT1_PNSt15iterator_traitsISG_E10value_typeET2_T3_PNSH_ISM_E10value_typeET4_T5_PSR_SS_PNS1_23onesweep_lookback_stateEbbT6_jjT7_P12ihipStream_tbENKUlT_T0_SG_SL_E_clISA_SA_SB_SB_EEDaSZ_S10_SG_SL_EUlSZ_E_NS1_11comp_targetILNS1_3genE8ELNS1_11target_archE1030ELNS1_3gpuE2ELNS1_3repE0EEENS1_47radix_sort_onesweep_sort_config_static_selectorELNS0_4arch9wavefront6targetE0EEEvSG_.num_agpr, 0
	.set _ZN7rocprim17ROCPRIM_400000_NS6detail17trampoline_kernelINS0_14default_configENS1_35radix_sort_onesweep_config_selectorIfNS0_10empty_typeEEEZZNS1_29radix_sort_onesweep_iterationIS3_Lb0EPKfPfPS5_SB_mNS0_19identity_decomposerENS1_16block_id_wrapperIjLb1EEEEE10hipError_tT1_PNSt15iterator_traitsISG_E10value_typeET2_T3_PNSH_ISM_E10value_typeET4_T5_PSR_SS_PNS1_23onesweep_lookback_stateEbbT6_jjT7_P12ihipStream_tbENKUlT_T0_SG_SL_E_clISA_SA_SB_SB_EEDaSZ_S10_SG_SL_EUlSZ_E_NS1_11comp_targetILNS1_3genE8ELNS1_11target_archE1030ELNS1_3gpuE2ELNS1_3repE0EEENS1_47radix_sort_onesweep_sort_config_static_selectorELNS0_4arch9wavefront6targetE0EEEvSG_.numbered_sgpr, 0
	.set _ZN7rocprim17ROCPRIM_400000_NS6detail17trampoline_kernelINS0_14default_configENS1_35radix_sort_onesweep_config_selectorIfNS0_10empty_typeEEEZZNS1_29radix_sort_onesweep_iterationIS3_Lb0EPKfPfPS5_SB_mNS0_19identity_decomposerENS1_16block_id_wrapperIjLb1EEEEE10hipError_tT1_PNSt15iterator_traitsISG_E10value_typeET2_T3_PNSH_ISM_E10value_typeET4_T5_PSR_SS_PNS1_23onesweep_lookback_stateEbbT6_jjT7_P12ihipStream_tbENKUlT_T0_SG_SL_E_clISA_SA_SB_SB_EEDaSZ_S10_SG_SL_EUlSZ_E_NS1_11comp_targetILNS1_3genE8ELNS1_11target_archE1030ELNS1_3gpuE2ELNS1_3repE0EEENS1_47radix_sort_onesweep_sort_config_static_selectorELNS0_4arch9wavefront6targetE0EEEvSG_.num_named_barrier, 0
	.set _ZN7rocprim17ROCPRIM_400000_NS6detail17trampoline_kernelINS0_14default_configENS1_35radix_sort_onesweep_config_selectorIfNS0_10empty_typeEEEZZNS1_29radix_sort_onesweep_iterationIS3_Lb0EPKfPfPS5_SB_mNS0_19identity_decomposerENS1_16block_id_wrapperIjLb1EEEEE10hipError_tT1_PNSt15iterator_traitsISG_E10value_typeET2_T3_PNSH_ISM_E10value_typeET4_T5_PSR_SS_PNS1_23onesweep_lookback_stateEbbT6_jjT7_P12ihipStream_tbENKUlT_T0_SG_SL_E_clISA_SA_SB_SB_EEDaSZ_S10_SG_SL_EUlSZ_E_NS1_11comp_targetILNS1_3genE8ELNS1_11target_archE1030ELNS1_3gpuE2ELNS1_3repE0EEENS1_47radix_sort_onesweep_sort_config_static_selectorELNS0_4arch9wavefront6targetE0EEEvSG_.private_seg_size, 0
	.set _ZN7rocprim17ROCPRIM_400000_NS6detail17trampoline_kernelINS0_14default_configENS1_35radix_sort_onesweep_config_selectorIfNS0_10empty_typeEEEZZNS1_29radix_sort_onesweep_iterationIS3_Lb0EPKfPfPS5_SB_mNS0_19identity_decomposerENS1_16block_id_wrapperIjLb1EEEEE10hipError_tT1_PNSt15iterator_traitsISG_E10value_typeET2_T3_PNSH_ISM_E10value_typeET4_T5_PSR_SS_PNS1_23onesweep_lookback_stateEbbT6_jjT7_P12ihipStream_tbENKUlT_T0_SG_SL_E_clISA_SA_SB_SB_EEDaSZ_S10_SG_SL_EUlSZ_E_NS1_11comp_targetILNS1_3genE8ELNS1_11target_archE1030ELNS1_3gpuE2ELNS1_3repE0EEENS1_47radix_sort_onesweep_sort_config_static_selectorELNS0_4arch9wavefront6targetE0EEEvSG_.uses_vcc, 0
	.set _ZN7rocprim17ROCPRIM_400000_NS6detail17trampoline_kernelINS0_14default_configENS1_35radix_sort_onesweep_config_selectorIfNS0_10empty_typeEEEZZNS1_29radix_sort_onesweep_iterationIS3_Lb0EPKfPfPS5_SB_mNS0_19identity_decomposerENS1_16block_id_wrapperIjLb1EEEEE10hipError_tT1_PNSt15iterator_traitsISG_E10value_typeET2_T3_PNSH_ISM_E10value_typeET4_T5_PSR_SS_PNS1_23onesweep_lookback_stateEbbT6_jjT7_P12ihipStream_tbENKUlT_T0_SG_SL_E_clISA_SA_SB_SB_EEDaSZ_S10_SG_SL_EUlSZ_E_NS1_11comp_targetILNS1_3genE8ELNS1_11target_archE1030ELNS1_3gpuE2ELNS1_3repE0EEENS1_47radix_sort_onesweep_sort_config_static_selectorELNS0_4arch9wavefront6targetE0EEEvSG_.uses_flat_scratch, 0
	.set _ZN7rocprim17ROCPRIM_400000_NS6detail17trampoline_kernelINS0_14default_configENS1_35radix_sort_onesweep_config_selectorIfNS0_10empty_typeEEEZZNS1_29radix_sort_onesweep_iterationIS3_Lb0EPKfPfPS5_SB_mNS0_19identity_decomposerENS1_16block_id_wrapperIjLb1EEEEE10hipError_tT1_PNSt15iterator_traitsISG_E10value_typeET2_T3_PNSH_ISM_E10value_typeET4_T5_PSR_SS_PNS1_23onesweep_lookback_stateEbbT6_jjT7_P12ihipStream_tbENKUlT_T0_SG_SL_E_clISA_SA_SB_SB_EEDaSZ_S10_SG_SL_EUlSZ_E_NS1_11comp_targetILNS1_3genE8ELNS1_11target_archE1030ELNS1_3gpuE2ELNS1_3repE0EEENS1_47radix_sort_onesweep_sort_config_static_selectorELNS0_4arch9wavefront6targetE0EEEvSG_.has_dyn_sized_stack, 0
	.set _ZN7rocprim17ROCPRIM_400000_NS6detail17trampoline_kernelINS0_14default_configENS1_35radix_sort_onesweep_config_selectorIfNS0_10empty_typeEEEZZNS1_29radix_sort_onesweep_iterationIS3_Lb0EPKfPfPS5_SB_mNS0_19identity_decomposerENS1_16block_id_wrapperIjLb1EEEEE10hipError_tT1_PNSt15iterator_traitsISG_E10value_typeET2_T3_PNSH_ISM_E10value_typeET4_T5_PSR_SS_PNS1_23onesweep_lookback_stateEbbT6_jjT7_P12ihipStream_tbENKUlT_T0_SG_SL_E_clISA_SA_SB_SB_EEDaSZ_S10_SG_SL_EUlSZ_E_NS1_11comp_targetILNS1_3genE8ELNS1_11target_archE1030ELNS1_3gpuE2ELNS1_3repE0EEENS1_47radix_sort_onesweep_sort_config_static_selectorELNS0_4arch9wavefront6targetE0EEEvSG_.has_recursion, 0
	.set _ZN7rocprim17ROCPRIM_400000_NS6detail17trampoline_kernelINS0_14default_configENS1_35radix_sort_onesweep_config_selectorIfNS0_10empty_typeEEEZZNS1_29radix_sort_onesweep_iterationIS3_Lb0EPKfPfPS5_SB_mNS0_19identity_decomposerENS1_16block_id_wrapperIjLb1EEEEE10hipError_tT1_PNSt15iterator_traitsISG_E10value_typeET2_T3_PNSH_ISM_E10value_typeET4_T5_PSR_SS_PNS1_23onesweep_lookback_stateEbbT6_jjT7_P12ihipStream_tbENKUlT_T0_SG_SL_E_clISA_SA_SB_SB_EEDaSZ_S10_SG_SL_EUlSZ_E_NS1_11comp_targetILNS1_3genE8ELNS1_11target_archE1030ELNS1_3gpuE2ELNS1_3repE0EEENS1_47radix_sort_onesweep_sort_config_static_selectorELNS0_4arch9wavefront6targetE0EEEvSG_.has_indirect_call, 0
	.section	.AMDGPU.csdata,"",@progbits
; Kernel info:
; codeLenInByte = 0
; TotalNumSgprs: 0
; NumVgprs: 0
; ScratchSize: 0
; MemoryBound: 0
; FloatMode: 240
; IeeeMode: 1
; LDSByteSize: 0 bytes/workgroup (compile time only)
; SGPRBlocks: 0
; VGPRBlocks: 0
; NumSGPRsForWavesPerEU: 1
; NumVGPRsForWavesPerEU: 1
; NamedBarCnt: 0
; Occupancy: 16
; WaveLimiterHint : 0
; COMPUTE_PGM_RSRC2:SCRATCH_EN: 0
; COMPUTE_PGM_RSRC2:USER_SGPR: 2
; COMPUTE_PGM_RSRC2:TRAP_HANDLER: 0
; COMPUTE_PGM_RSRC2:TGID_X_EN: 1
; COMPUTE_PGM_RSRC2:TGID_Y_EN: 0
; COMPUTE_PGM_RSRC2:TGID_Z_EN: 0
; COMPUTE_PGM_RSRC2:TIDIG_COMP_CNT: 0
	.section	.text._ZN7rocprim17ROCPRIM_400000_NS6detail17trampoline_kernelINS0_14default_configENS1_35radix_sort_onesweep_config_selectorIfNS0_10empty_typeEEEZZNS1_29radix_sort_onesweep_iterationIS3_Lb0EPKfPfPS5_SB_mNS0_19identity_decomposerENS1_16block_id_wrapperIjLb0EEEEE10hipError_tT1_PNSt15iterator_traitsISG_E10value_typeET2_T3_PNSH_ISM_E10value_typeET4_T5_PSR_SS_PNS1_23onesweep_lookback_stateEbbT6_jjT7_P12ihipStream_tbENKUlT_T0_SG_SL_E_clIS9_SA_SB_SB_EEDaSZ_S10_SG_SL_EUlSZ_E_NS1_11comp_targetILNS1_3genE0ELNS1_11target_archE4294967295ELNS1_3gpuE0ELNS1_3repE0EEENS1_47radix_sort_onesweep_sort_config_static_selectorELNS0_4arch9wavefront6targetE0EEEvSG_,"axG",@progbits,_ZN7rocprim17ROCPRIM_400000_NS6detail17trampoline_kernelINS0_14default_configENS1_35radix_sort_onesweep_config_selectorIfNS0_10empty_typeEEEZZNS1_29radix_sort_onesweep_iterationIS3_Lb0EPKfPfPS5_SB_mNS0_19identity_decomposerENS1_16block_id_wrapperIjLb0EEEEE10hipError_tT1_PNSt15iterator_traitsISG_E10value_typeET2_T3_PNSH_ISM_E10value_typeET4_T5_PSR_SS_PNS1_23onesweep_lookback_stateEbbT6_jjT7_P12ihipStream_tbENKUlT_T0_SG_SL_E_clIS9_SA_SB_SB_EEDaSZ_S10_SG_SL_EUlSZ_E_NS1_11comp_targetILNS1_3genE0ELNS1_11target_archE4294967295ELNS1_3gpuE0ELNS1_3repE0EEENS1_47radix_sort_onesweep_sort_config_static_selectorELNS0_4arch9wavefront6targetE0EEEvSG_,comdat
	.protected	_ZN7rocprim17ROCPRIM_400000_NS6detail17trampoline_kernelINS0_14default_configENS1_35radix_sort_onesweep_config_selectorIfNS0_10empty_typeEEEZZNS1_29radix_sort_onesweep_iterationIS3_Lb0EPKfPfPS5_SB_mNS0_19identity_decomposerENS1_16block_id_wrapperIjLb0EEEEE10hipError_tT1_PNSt15iterator_traitsISG_E10value_typeET2_T3_PNSH_ISM_E10value_typeET4_T5_PSR_SS_PNS1_23onesweep_lookback_stateEbbT6_jjT7_P12ihipStream_tbENKUlT_T0_SG_SL_E_clIS9_SA_SB_SB_EEDaSZ_S10_SG_SL_EUlSZ_E_NS1_11comp_targetILNS1_3genE0ELNS1_11target_archE4294967295ELNS1_3gpuE0ELNS1_3repE0EEENS1_47radix_sort_onesweep_sort_config_static_selectorELNS0_4arch9wavefront6targetE0EEEvSG_ ; -- Begin function _ZN7rocprim17ROCPRIM_400000_NS6detail17trampoline_kernelINS0_14default_configENS1_35radix_sort_onesweep_config_selectorIfNS0_10empty_typeEEEZZNS1_29radix_sort_onesweep_iterationIS3_Lb0EPKfPfPS5_SB_mNS0_19identity_decomposerENS1_16block_id_wrapperIjLb0EEEEE10hipError_tT1_PNSt15iterator_traitsISG_E10value_typeET2_T3_PNSH_ISM_E10value_typeET4_T5_PSR_SS_PNS1_23onesweep_lookback_stateEbbT6_jjT7_P12ihipStream_tbENKUlT_T0_SG_SL_E_clIS9_SA_SB_SB_EEDaSZ_S10_SG_SL_EUlSZ_E_NS1_11comp_targetILNS1_3genE0ELNS1_11target_archE4294967295ELNS1_3gpuE0ELNS1_3repE0EEENS1_47radix_sort_onesweep_sort_config_static_selectorELNS0_4arch9wavefront6targetE0EEEvSG_
	.globl	_ZN7rocprim17ROCPRIM_400000_NS6detail17trampoline_kernelINS0_14default_configENS1_35radix_sort_onesweep_config_selectorIfNS0_10empty_typeEEEZZNS1_29radix_sort_onesweep_iterationIS3_Lb0EPKfPfPS5_SB_mNS0_19identity_decomposerENS1_16block_id_wrapperIjLb0EEEEE10hipError_tT1_PNSt15iterator_traitsISG_E10value_typeET2_T3_PNSH_ISM_E10value_typeET4_T5_PSR_SS_PNS1_23onesweep_lookback_stateEbbT6_jjT7_P12ihipStream_tbENKUlT_T0_SG_SL_E_clIS9_SA_SB_SB_EEDaSZ_S10_SG_SL_EUlSZ_E_NS1_11comp_targetILNS1_3genE0ELNS1_11target_archE4294967295ELNS1_3gpuE0ELNS1_3repE0EEENS1_47radix_sort_onesweep_sort_config_static_selectorELNS0_4arch9wavefront6targetE0EEEvSG_
	.p2align	8
	.type	_ZN7rocprim17ROCPRIM_400000_NS6detail17trampoline_kernelINS0_14default_configENS1_35radix_sort_onesweep_config_selectorIfNS0_10empty_typeEEEZZNS1_29radix_sort_onesweep_iterationIS3_Lb0EPKfPfPS5_SB_mNS0_19identity_decomposerENS1_16block_id_wrapperIjLb0EEEEE10hipError_tT1_PNSt15iterator_traitsISG_E10value_typeET2_T3_PNSH_ISM_E10value_typeET4_T5_PSR_SS_PNS1_23onesweep_lookback_stateEbbT6_jjT7_P12ihipStream_tbENKUlT_T0_SG_SL_E_clIS9_SA_SB_SB_EEDaSZ_S10_SG_SL_EUlSZ_E_NS1_11comp_targetILNS1_3genE0ELNS1_11target_archE4294967295ELNS1_3gpuE0ELNS1_3repE0EEENS1_47radix_sort_onesweep_sort_config_static_selectorELNS0_4arch9wavefront6targetE0EEEvSG_,@function
_ZN7rocprim17ROCPRIM_400000_NS6detail17trampoline_kernelINS0_14default_configENS1_35radix_sort_onesweep_config_selectorIfNS0_10empty_typeEEEZZNS1_29radix_sort_onesweep_iterationIS3_Lb0EPKfPfPS5_SB_mNS0_19identity_decomposerENS1_16block_id_wrapperIjLb0EEEEE10hipError_tT1_PNSt15iterator_traitsISG_E10value_typeET2_T3_PNSH_ISM_E10value_typeET4_T5_PSR_SS_PNS1_23onesweep_lookback_stateEbbT6_jjT7_P12ihipStream_tbENKUlT_T0_SG_SL_E_clIS9_SA_SB_SB_EEDaSZ_S10_SG_SL_EUlSZ_E_NS1_11comp_targetILNS1_3genE0ELNS1_11target_archE4294967295ELNS1_3gpuE0ELNS1_3repE0EEENS1_47radix_sort_onesweep_sort_config_static_selectorELNS0_4arch9wavefront6targetE0EEEvSG_: ; @_ZN7rocprim17ROCPRIM_400000_NS6detail17trampoline_kernelINS0_14default_configENS1_35radix_sort_onesweep_config_selectorIfNS0_10empty_typeEEEZZNS1_29radix_sort_onesweep_iterationIS3_Lb0EPKfPfPS5_SB_mNS0_19identity_decomposerENS1_16block_id_wrapperIjLb0EEEEE10hipError_tT1_PNSt15iterator_traitsISG_E10value_typeET2_T3_PNSH_ISM_E10value_typeET4_T5_PSR_SS_PNS1_23onesweep_lookback_stateEbbT6_jjT7_P12ihipStream_tbENKUlT_T0_SG_SL_E_clIS9_SA_SB_SB_EEDaSZ_S10_SG_SL_EUlSZ_E_NS1_11comp_targetILNS1_3genE0ELNS1_11target_archE4294967295ELNS1_3gpuE0ELNS1_3repE0EEENS1_47radix_sort_onesweep_sort_config_static_selectorELNS0_4arch9wavefront6targetE0EEEvSG_
; %bb.0:
	s_clause 0x3
	s_load_b96 s[20:22], s[0:1], 0x44
	s_load_b64 s[10:11], s[0:1], 0x38
	s_load_b128 s[16:19], s[0:1], 0x0
	s_load_b128 s[12:15], s[0:1], 0x28
	s_bfe_u32 s2, ttmp6, 0x4000c
	s_and_b32 s3, ttmp6, 15
	s_add_co_i32 s2, s2, 1
	s_getreg_b32 s4, hwreg(HW_REG_IB_STS2, 6, 4)
	s_mul_i32 s5, ttmp9, s2
	v_mbcnt_lo_u32_b32 v16, -1, 0
	s_add_co_i32 s3, s3, s5
	s_cmp_eq_u32 s4, 0
	v_and_b32_e32 v17, 0x1e0, v0
	s_cselect_b32 s9, ttmp9, s3
	s_mov_b32 s25, 0
	s_mov_b32 s2, -1
	s_mul_i32 s24, s9, 0x1800
	s_add_nc_u64 s[26:27], s[0:1], 0x58
	s_wait_kmcnt 0x0
	s_cmp_ge_u32 s9, s22
	s_cbranch_scc0 .LBB1424_90
; %bb.1:
	s_load_b32 s4, s[0:1], 0x20
	v_dual_mov_b32 v3, 0 :: v_dual_lshlrev_b32 v2, 2, v16
	s_lshl_b64 s[2:3], s[24:25], 2
	v_mul_u32_u24_e32 v1, 12, v17
	s_add_nc_u64 s[2:3], s[16:17], s[2:3]
	v_bfrev_b32_e32 v14, -2
	v_add_nc_u64_e32 v[4:5], s[2:3], v[2:3]
	v_bfrev_b32_e32 v7, -2
	v_dual_lshlrev_b32 v2, 2, v1 :: v_dual_bitop2_b32 v1, v16, v1 bitop3:0x54
	s_mul_i32 s2, s22, 0xffffe800
	s_delay_alu instid0(VALU_DEP_1)
	v_add_nc_u64_e32 v[2:3], v[4:5], v[2:3]
	s_wait_kmcnt 0x0
	s_add_co_i32 s22, s4, s2
	s_mov_b32 s2, exec_lo
	v_cmpx_gt_u32_e64 s22, v1
	s_cbranch_execz .LBB1424_3
; %bb.2:
	global_load_b32 v7, v[2:3], off
.LBB1424_3:
	s_wait_xcnt 0x0
	s_or_b32 exec_lo, exec_lo, s2
	v_or_b32_e32 v4, 32, v1
	s_mov_b32 s2, exec_lo
	s_delay_alu instid0(VALU_DEP_1)
	v_cmpx_gt_u32_e64 s22, v4
	s_cbranch_execz .LBB1424_5
; %bb.4:
	global_load_b32 v14, v[2:3], off offset:128
.LBB1424_5:
	s_wait_xcnt 0x0
	s_or_b32 exec_lo, exec_lo, s2
	v_or_b32_e32 v4, 64, v1
	v_bfrev_b32_e32 v21, -2
	v_bfrev_b32_e32 v15, -2
	s_mov_b32 s2, exec_lo
	s_delay_alu instid0(VALU_DEP_3)
	v_cmpx_gt_u32_e64 s22, v4
	s_cbranch_execz .LBB1424_7
; %bb.6:
	global_load_b32 v15, v[2:3], off offset:256
.LBB1424_7:
	s_wait_xcnt 0x0
	s_or_b32 exec_lo, exec_lo, s2
	v_or_b32_e32 v4, 0x60, v1
	s_mov_b32 s2, exec_lo
	s_delay_alu instid0(VALU_DEP_1)
	v_cmpx_gt_u32_e64 s22, v4
	s_cbranch_execz .LBB1424_9
; %bb.8:
	global_load_b32 v21, v[2:3], off offset:384
.LBB1424_9:
	s_wait_xcnt 0x0
	s_or_b32 exec_lo, exec_lo, s2
	v_add_nc_u32_e32 v4, 0x80, v1
	v_bfrev_b32_e32 v11, -2
	v_bfrev_b32_e32 v22, -2
	s_mov_b32 s2, exec_lo
	s_delay_alu instid0(VALU_DEP_3)
	v_cmpx_gt_u32_e64 s22, v4
	s_cbranch_execz .LBB1424_11
; %bb.10:
	global_load_b32 v22, v[2:3], off offset:512
.LBB1424_11:
	s_wait_xcnt 0x0
	s_or_b32 exec_lo, exec_lo, s2
	v_add_nc_u32_e32 v4, 0xa0, v1
	s_mov_b32 s2, exec_lo
	s_delay_alu instid0(VALU_DEP_1)
	v_cmpx_gt_u32_e64 s22, v4
	s_cbranch_execz .LBB1424_13
; %bb.12:
	global_load_b32 v11, v[2:3], off offset:640
.LBB1424_13:
	s_wait_xcnt 0x0
	s_or_b32 exec_lo, exec_lo, s2
	v_add_nc_u32_e32 v4, 0xc0, v1
	v_bfrev_b32_e32 v9, -2
	v_bfrev_b32_e32 v10, -2
	s_mov_b32 s2, exec_lo
	s_delay_alu instid0(VALU_DEP_3)
	v_cmpx_gt_u32_e64 s22, v4
	s_cbranch_execz .LBB1424_15
; %bb.14:
	global_load_b32 v10, v[2:3], off offset:768
.LBB1424_15:
	s_wait_xcnt 0x0
	s_or_b32 exec_lo, exec_lo, s2
	v_add_nc_u32_e32 v4, 0xe0, v1
	;; [unrolled: 22-line block ×3, first 2 shown]
	s_mov_b32 s2, exec_lo
	s_delay_alu instid0(VALU_DEP_1)
	v_cmpx_gt_u32_e64 s22, v4
	s_cbranch_execz .LBB1424_21
; %bb.20:
	global_load_b32 v6, v[2:3], off offset:1152
.LBB1424_21:
	s_wait_xcnt 0x0
	s_or_b32 exec_lo, exec_lo, s2
	v_add_nc_u32_e32 v5, 0x140, v1
	v_bfrev_b32_e32 v4, -2
	s_delay_alu instid0(VALU_DEP_2)
	v_cmp_gt_u32_e32 vcc_lo, s22, v5
	v_bfrev_b32_e32 v5, -2
	s_and_saveexec_b32 s2, vcc_lo
	s_cbranch_execz .LBB1424_23
; %bb.22:
	global_load_b32 v5, v[2:3], off offset:1280
.LBB1424_23:
	s_wait_xcnt 0x0
	s_or_b32 exec_lo, exec_lo, s2
	v_add_nc_u32_e32 v12, 0x160, v1
	v_and_b32_e32 v1, 0x3ff, v0
	s_mov_b32 s2, exec_lo
	s_delay_alu instid0(VALU_DEP_2)
	v_cmpx_gt_u32_e64 s22, v12
	s_cbranch_execz .LBB1424_25
; %bb.24:
	global_load_b32 v4, v[2:3], off offset:1408
.LBB1424_25:
	s_wait_xcnt 0x0
	s_or_b32 exec_lo, exec_lo, s2
	s_wait_loadcnt 0x0
	v_cmp_lt_i32_e32 vcc_lo, -1, v7
	s_clause 0x1
	s_load_b32 s23, s[0:1], 0x58
	s_load_u16 s4, s[0:1], 0x66
	v_bfe_u32 v3, v0, 10, 10
	s_mov_b32 s3, 0
	v_cndmask_b32_e64 v2, -1, 0x80000000, vcc_lo
	s_delay_alu instid0(VALU_DEP_1) | instskip(SKIP_1) | instid1(VALU_DEP_2)
	v_xor_b32_e32 v18, v2, v7
	v_bfe_u32 v7, v0, 20, 10
	v_cmp_ne_u32_e32 vcc_lo, 0x7fffffff, v18
	v_cndmask_b32_e32 v2, 0x80000000, v18, vcc_lo
	s_wait_kmcnt 0x0
	s_cmp_lt_u32 s9, s23
	v_mad_u32_u24 v3, v7, s4, v3
	s_cselect_b32 s2, 12, 18
	s_lshl_b32 s7, -1, s21
	v_lshrrev_b32_e32 v2, s20, v2
	s_add_nc_u64 s[2:3], s[26:27], s[2:3]
	s_not_b32 s25, s7
	s_load_u16 s8, s[2:3], 0x0
	s_delay_alu instid0(VALU_DEP_1) | instskip(SKIP_2) | instid1(VALU_DEP_2)
	v_bitop3_b32 v7, v2, 1, s7 bitop3:0x40
	v_bitop3_b32 v13, v2, s7, v2 bitop3:0x30
	s_wait_xcnt 0x0
	v_add_co_u32 v2, s2, v7, -1
	s_delay_alu instid0(VALU_DEP_1) | instskip(NEXT) | instid1(VALU_DEP_3)
	v_cndmask_b32_e64 v7, 0, 1, s2
	v_dual_lshlrev_b32 v12, 30, v13 :: v_dual_lshlrev_b32 v20, 28, v13
	v_dual_lshlrev_b32 v19, 29, v13 :: v_dual_lshlrev_b32 v23, 27, v13
	v_lshlrev_b32_e32 v24, 26, v13
	s_delay_alu instid0(VALU_DEP_4) | instskip(NEXT) | instid1(VALU_DEP_4)
	v_cmp_ne_u32_e32 vcc_lo, 0, v7
	v_not_b32_e32 v7, v12
	v_cmp_gt_i32_e64 s2, 0, v12
	v_cmp_gt_i32_e64 s3, 0, v19
	v_not_b32_e32 v12, v19
	v_not_b32_e32 v19, v20
	v_dual_ashrrev_i32 v7, 31, v7 :: v_dual_bitop2_b32 v2, vcc_lo, v2 bitop3:0x14
	v_dual_lshlrev_b32 v25, 25, v13 :: v_dual_lshlrev_b32 v26, 24, v13
	v_cmp_gt_i32_e64 s4, 0, v20
	v_cmp_gt_i32_e64 s5, 0, v23
	v_not_b32_e32 v20, v23
	v_not_b32_e32 v23, v24
	v_dual_ashrrev_i32 v12, 31, v12 :: v_dual_ashrrev_i32 v19, 31, v19
	s_delay_alu instid0(VALU_DEP_3)
	v_dual_ashrrev_i32 v20, 31, v20 :: v_dual_bitop2_b32 v7, s2, v7 bitop3:0x14
	s_wait_kmcnt 0x0
	v_mad_u32 v3, v3, s8, v1
	v_cmp_gt_i32_e64 s6, 0, v24
	v_dual_ashrrev_i32 v23, 31, v23 :: v_dual_bitop2_b32 v12, s3, v12 bitop3:0x14
	v_xor_b32_e32 v19, s4, v19
	v_bitop3_b32 v2, v2, v7, exec_lo bitop3:0x80
	v_not_b32_e32 v7, v25
	v_not_b32_e32 v24, v26
	v_xor_b32_e32 v20, s5, v20
	v_cmp_gt_i32_e32 vcc_lo, 0, v25
	v_bitop3_b32 v2, v2, v19, v12 bitop3:0x80
	s_delay_alu instid0(VALU_DEP_4) | instskip(SKIP_3) | instid1(VALU_DEP_4)
	v_dual_ashrrev_i32 v19, 31, v24 :: v_dual_bitop2_b32 v12, s6, v23 bitop3:0x14
	v_ashrrev_i32_e32 v7, 31, v7
	v_cmp_gt_i32_e64 s2, 0, v26
	v_lshrrev_b32_e32 v3, 5, v3
	v_bitop3_b32 v20, v2, v12, v20 bitop3:0x80
	s_delay_alu instid0(VALU_DEP_4) | instskip(NEXT) | instid1(VALU_DEP_4)
	v_dual_mov_b32 v23, 0 :: v_dual_bitop2_b32 v7, vcc_lo, v7 bitop3:0x14
	v_xor_b32_e32 v19, s2, v19
	s_delay_alu instid0(VALU_DEP_4)
	v_lshlrev_b32_e32 v2, 2, v3
	v_mul_u32_u24_e32 v12, 36, v1
	ds_store_2addr_b32 v12, v23, v23 offset0:16 offset1:17
	ds_store_2addr_b32 v12, v23, v23 offset0:18 offset1:19
	;; [unrolled: 1-line block ×4, first 2 shown]
	v_bitop3_b32 v3, v20, v19, v7 bitop3:0x80
	v_mad_u32 v13, 0x44, v13, v2
	ds_store_b32 v12, v23 offset:96
	s_wait_dscnt 0x0
	s_barrier_signal -1
	v_mbcnt_lo_u32_b32 v7, v3, 0
	v_cmp_ne_u32_e64 s2, 0, v3
	s_barrier_wait -1
	s_delay_alu instid0(VALU_DEP_2) | instskip(SKIP_1) | instid1(SALU_CYCLE_1)
	v_cmp_eq_u32_e32 vcc_lo, 0, v7
	; wave barrier
	s_and_b32 s3, s2, vcc_lo
	s_and_saveexec_b32 s2, s3
; %bb.26:
	v_bcnt_u32_b32 v3, v3, 0
	ds_store_b32 v13, v3 offset:64
; %bb.27:
	s_or_b32 exec_lo, exec_lo, s2
	v_cmp_lt_i32_e32 vcc_lo, -1, v14
	; wave barrier
	v_cndmask_b32_e64 v3, -1, 0x80000000, vcc_lo
	s_delay_alu instid0(VALU_DEP_1) | instskip(NEXT) | instid1(VALU_DEP_1)
	v_xor_b32_e32 v19, v3, v14
	v_cmp_ne_u32_e32 vcc_lo, 0x7fffffff, v19
	v_cndmask_b32_e32 v3, 0x80000000, v19, vcc_lo
	s_delay_alu instid0(VALU_DEP_1) | instskip(NEXT) | instid1(VALU_DEP_1)
	v_lshrrev_b32_e32 v3, s20, v3
	v_and_b32_e32 v20, s25, v3
	v_bitop3_b32 v3, v3, 1, s25 bitop3:0x80
	s_delay_alu instid0(VALU_DEP_2) | instskip(NEXT) | instid1(VALU_DEP_2)
	v_lshlrev_b32_e32 v24, 30, v20
	v_add_co_u32 v3, s2, v3, -1
	s_delay_alu instid0(VALU_DEP_1) | instskip(SKIP_1) | instid1(VALU_DEP_4)
	v_cndmask_b32_e64 v23, 0, 1, s2
	v_lshlrev_b32_e32 v25, 29, v20
	v_cmp_gt_i32_e64 s2, 0, v24
	s_delay_alu instid0(VALU_DEP_3) | instskip(SKIP_1) | instid1(VALU_DEP_4)
	v_cmp_ne_u32_e32 vcc_lo, 0, v23
	v_not_b32_e32 v23, v24
	v_not_b32_e32 v24, v25
	s_delay_alu instid0(VALU_DEP_1)
	v_ashrrev_i32_e32 v24, 31, v24
	v_lshlrev_b32_e32 v26, 28, v20
	v_mad_u32 v14, 0x44, v20, v2
	v_dual_lshlrev_b32 v27, 27, v20 :: v_dual_lshlrev_b32 v28, 26, v20
	v_dual_lshlrev_b32 v29, 25, v20 :: v_dual_lshlrev_b32 v20, 24, v20
	v_cmp_gt_i32_e64 s3, 0, v25
	v_not_b32_e32 v25, v26
	v_ashrrev_i32_e32 v23, 31, v23
	v_cmp_gt_i32_e64 s4, 0, v26
	v_cmp_gt_i32_e64 s5, 0, v27
	v_not_b32_e32 v26, v27
	v_not_b32_e32 v27, v28
	v_cmp_gt_i32_e64 s8, 0, v20
	v_not_b32_e32 v20, v20
	s_delay_alu instid0(VALU_DEP_4) | instskip(SKIP_1) | instid1(VALU_DEP_3)
	v_dual_ashrrev_i32 v26, 31, v26 :: v_dual_bitop2_b32 v3, vcc_lo, v3 bitop3:0x14
	v_dual_ashrrev_i32 v25, 31, v25 :: v_dual_bitop2_b32 v23, s2, v23 bitop3:0x14
	v_ashrrev_i32_e32 v20, 31, v20
	v_cmp_gt_i32_e64 s6, 0, v28
	v_not_b32_e32 v28, v29
	v_dual_ashrrev_i32 v27, 31, v27 :: v_dual_bitop2_b32 v24, s3, v24 bitop3:0x14
	v_xor_b32_e32 v25, s4, v25
	v_bitop3_b32 v3, v3, v23, exec_lo bitop3:0x80
	v_cmp_gt_i32_e64 s7, 0, v29
	v_dual_ashrrev_i32 v23, 31, v28 :: v_dual_bitop2_b32 v26, s5, v26 bitop3:0x14
	v_xor_b32_e32 v27, s6, v27
	s_delay_alu instid0(VALU_DEP_4) | instskip(SKIP_1) | instid1(VALU_DEP_4)
	v_bitop3_b32 v3, v3, v25, v24 bitop3:0x80
	v_xor_b32_e32 v20, s8, v20
	v_xor_b32_e32 v24, s7, v23
	ds_load_b32 v23, v14 offset:64
	v_bitop3_b32 v3, v3, v27, v26 bitop3:0x80
	; wave barrier
	s_delay_alu instid0(VALU_DEP_1) | instskip(NEXT) | instid1(VALU_DEP_1)
	v_bitop3_b32 v3, v3, v20, v24 bitop3:0x80
	v_mbcnt_lo_u32_b32 v24, v3, 0
	v_cmp_ne_u32_e64 s2, 0, v3
	s_delay_alu instid0(VALU_DEP_2) | instskip(SKIP_1) | instid1(SALU_CYCLE_1)
	v_cmp_eq_u32_e32 vcc_lo, 0, v24
	s_and_b32 s3, s2, vcc_lo
	s_and_saveexec_b32 s2, s3
	s_cbranch_execz .LBB1424_29
; %bb.28:
	s_wait_dscnt 0x0
	v_bcnt_u32_b32 v3, v3, v23
	ds_store_b32 v14, v3 offset:64
.LBB1424_29:
	s_or_b32 exec_lo, exec_lo, s2
	v_cmp_lt_i32_e32 vcc_lo, -1, v15
	; wave barrier
	v_cndmask_b32_e64 v3, -1, 0x80000000, vcc_lo
	s_delay_alu instid0(VALU_DEP_1) | instskip(NEXT) | instid1(VALU_DEP_1)
	v_xor_b32_e32 v20, v3, v15
	v_cmp_ne_u32_e32 vcc_lo, 0x7fffffff, v20
	v_cndmask_b32_e32 v3, 0x80000000, v20, vcc_lo
	s_delay_alu instid0(VALU_DEP_1) | instskip(NEXT) | instid1(VALU_DEP_1)
	v_lshrrev_b32_e32 v3, s20, v3
	v_and_b32_e32 v25, s25, v3
	s_delay_alu instid0(VALU_DEP_1) | instskip(SKIP_2) | instid1(VALU_DEP_3)
	v_lshlrev_b32_e32 v29, 28, v25
	v_bitop3_b32 v3, v3, 1, s25 bitop3:0x80
	v_lshlrev_b32_e32 v27, 30, v25
	v_cmp_gt_i32_e64 s4, 0, v29
	s_delay_alu instid0(VALU_DEP_3) | instskip(NEXT) | instid1(VALU_DEP_1)
	v_add_co_u32 v3, s2, v3, -1
	v_cndmask_b32_e64 v26, 0, 1, s2
	s_delay_alu instid0(VALU_DEP_4) | instskip(NEXT) | instid1(VALU_DEP_2)
	v_cmp_gt_i32_e64 s2, 0, v27
	v_cmp_ne_u32_e32 vcc_lo, 0, v26
	v_not_b32_e32 v26, v27
	s_delay_alu instid0(VALU_DEP_1) | instskip(SKIP_3) | instid1(VALU_DEP_4)
	v_dual_ashrrev_i32 v26, 31, v26 :: v_dual_lshlrev_b32 v28, 29, v25
	v_dual_lshlrev_b32 v30, 27, v25 :: v_dual_lshlrev_b32 v31, 26, v25
	v_mad_u32 v15, 0x44, v25, v2
	v_dual_lshlrev_b32 v32, 25, v25 :: v_dual_lshlrev_b32 v25, 24, v25
	v_cmp_gt_i32_e64 s3, 0, v28
	v_not_b32_e32 v27, v28
	v_not_b32_e32 v28, v29
	v_cmp_gt_i32_e64 s5, 0, v30
	v_not_b32_e32 v29, v30
	v_not_b32_e32 v30, v31
	s_delay_alu instid0(VALU_DEP_4)
	v_dual_ashrrev_i32 v28, 31, v28 :: v_dual_bitop2_b32 v3, vcc_lo, v3 bitop3:0x14
	v_dual_ashrrev_i32 v27, 31, v27 :: v_dual_bitop2_b32 v26, s2, v26 bitop3:0x14
	v_cmp_gt_i32_e64 s6, 0, v31
	v_not_b32_e32 v31, v32
	v_cmp_gt_i32_e64 s8, 0, v25
	v_not_b32_e32 v25, v25
	v_dual_ashrrev_i32 v29, 31, v29 :: v_dual_ashrrev_i32 v30, 31, v30
	v_xor_b32_e32 v27, s3, v27
	v_xor_b32_e32 v28, s4, v28
	v_bitop3_b32 v3, v3, v26, exec_lo bitop3:0x80
	v_cmp_gt_i32_e64 s7, 0, v32
	v_dual_ashrrev_i32 v26, 31, v31 :: v_dual_ashrrev_i32 v25, 31, v25
	v_xor_b32_e32 v29, s5, v29
	v_xor_b32_e32 v30, s6, v30
	v_bitop3_b32 v3, v3, v28, v27 bitop3:0x80
	s_delay_alu instid0(VALU_DEP_4) | instskip(SKIP_3) | instid1(VALU_DEP_1)
	v_xor_b32_e32 v27, s7, v26
	v_xor_b32_e32 v25, s8, v25
	ds_load_b32 v26, v15 offset:64
	v_bitop3_b32 v3, v3, v30, v29 bitop3:0x80
	; wave barrier
	v_bitop3_b32 v3, v3, v25, v27 bitop3:0x80
	s_delay_alu instid0(VALU_DEP_1) | instskip(SKIP_1) | instid1(VALU_DEP_2)
	v_mbcnt_lo_u32_b32 v27, v3, 0
	v_cmp_ne_u32_e64 s2, 0, v3
	v_cmp_eq_u32_e32 vcc_lo, 0, v27
	s_and_b32 s3, s2, vcc_lo
	s_delay_alu instid0(SALU_CYCLE_1)
	s_and_saveexec_b32 s2, s3
	s_cbranch_execz .LBB1424_31
; %bb.30:
	s_wait_dscnt 0x0
	v_bcnt_u32_b32 v3, v3, v26
	ds_store_b32 v15, v3 offset:64
.LBB1424_31:
	s_or_b32 exec_lo, exec_lo, s2
	v_cmp_lt_i32_e32 vcc_lo, -1, v21
	; wave barrier
	v_cndmask_b32_e64 v3, -1, 0x80000000, vcc_lo
	s_delay_alu instid0(VALU_DEP_1) | instskip(NEXT) | instid1(VALU_DEP_1)
	v_xor_b32_e32 v21, v3, v21
	v_cmp_ne_u32_e32 vcc_lo, 0x7fffffff, v21
	v_cndmask_b32_e32 v3, 0x80000000, v21, vcc_lo
	s_delay_alu instid0(VALU_DEP_1) | instskip(NEXT) | instid1(VALU_DEP_1)
	v_lshrrev_b32_e32 v3, s20, v3
	v_and_b32_e32 v25, s25, v3
	v_bitop3_b32 v3, v3, 1, s25 bitop3:0x80
	s_delay_alu instid0(VALU_DEP_2) | instskip(NEXT) | instid1(VALU_DEP_2)
	v_dual_lshlrev_b32 v29, 30, v25 :: v_dual_lshlrev_b32 v30, 29, v25
	v_add_co_u32 v3, s2, v3, -1
	s_delay_alu instid0(VALU_DEP_1) | instskip(NEXT) | instid1(VALU_DEP_3)
	v_cndmask_b32_e64 v28, 0, 1, s2
	v_cmp_gt_i32_e64 s2, 0, v29
	s_delay_alu instid0(VALU_DEP_4) | instskip(NEXT) | instid1(VALU_DEP_3)
	v_cmp_gt_i32_e64 s3, 0, v30
	v_cmp_ne_u32_e32 vcc_lo, 0, v28
	v_not_b32_e32 v28, v29
	v_not_b32_e32 v29, v30
	s_delay_alu instid0(VALU_DEP_2) | instskip(NEXT) | instid1(VALU_DEP_2)
	v_dual_ashrrev_i32 v28, 31, v28 :: v_dual_bitop2_b32 v3, vcc_lo, v3 bitop3:0x14
	v_ashrrev_i32_e32 v29, 31, v29
	v_dual_lshlrev_b32 v31, 28, v25 :: v_dual_lshlrev_b32 v32, 27, v25
	v_dual_lshlrev_b32 v33, 26, v25 :: v_dual_lshlrev_b32 v35, 25, v25
	v_mad_u32 v34, 0x44, v25, v2
	s_delay_alu instid0(VALU_DEP_3)
	v_not_b32_e32 v30, v31
	v_lshlrev_b32_e32 v25, 24, v25
	v_cmp_gt_i32_e64 s4, 0, v31
	v_cmp_gt_i32_e64 s5, 0, v32
	v_not_b32_e32 v31, v32
	v_not_b32_e32 v32, v33
	v_dual_ashrrev_i32 v30, 31, v30 :: v_dual_bitop2_b32 v28, s2, v28 bitop3:0x14
	v_cmp_gt_i32_e64 s6, 0, v33
	v_not_b32_e32 v33, v35
	v_cmp_gt_i32_e64 s8, 0, v25
	v_not_b32_e32 v25, v25
	v_dual_ashrrev_i32 v31, 31, v31 :: v_dual_ashrrev_i32 v32, 31, v32
	v_xor_b32_e32 v29, s3, v29
	v_xor_b32_e32 v30, s4, v30
	v_bitop3_b32 v3, v3, v28, exec_lo bitop3:0x80
	v_cmp_gt_i32_e64 s7, 0, v35
	v_ashrrev_i32_e32 v28, 31, v33
	v_dual_ashrrev_i32 v25, 31, v25 :: v_dual_bitop2_b32 v31, s5, v31 bitop3:0x14
	v_xor_b32_e32 v32, s6, v32
	v_bitop3_b32 v3, v3, v30, v29 bitop3:0x80
	s_delay_alu instid0(VALU_DEP_4) | instskip(NEXT) | instid1(VALU_DEP_4)
	v_xor_b32_e32 v28, s7, v28
	v_xor_b32_e32 v25, s8, v25
	ds_load_b32 v29, v34 offset:64
	v_bitop3_b32 v3, v3, v32, v31 bitop3:0x80
	; wave barrier
	s_delay_alu instid0(VALU_DEP_1) | instskip(NEXT) | instid1(VALU_DEP_1)
	v_bitop3_b32 v3, v3, v25, v28 bitop3:0x80
	v_mbcnt_lo_u32_b32 v30, v3, 0
	v_cmp_ne_u32_e64 s2, 0, v3
	s_delay_alu instid0(VALU_DEP_2) | instskip(SKIP_1) | instid1(SALU_CYCLE_1)
	v_cmp_eq_u32_e32 vcc_lo, 0, v30
	s_and_b32 s3, s2, vcc_lo
	s_and_saveexec_b32 s2, s3
	s_cbranch_execz .LBB1424_33
; %bb.32:
	s_wait_dscnt 0x0
	v_bcnt_u32_b32 v3, v3, v29
	ds_store_b32 v34, v3 offset:64
.LBB1424_33:
	s_or_b32 exec_lo, exec_lo, s2
	v_cmp_lt_i32_e32 vcc_lo, -1, v22
	; wave barrier
	v_cndmask_b32_e64 v3, -1, 0x80000000, vcc_lo
	s_delay_alu instid0(VALU_DEP_1) | instskip(NEXT) | instid1(VALU_DEP_1)
	v_xor_b32_e32 v22, v3, v22
	v_cmp_ne_u32_e32 vcc_lo, 0x7fffffff, v22
	v_cndmask_b32_e32 v3, 0x80000000, v22, vcc_lo
	s_delay_alu instid0(VALU_DEP_1) | instskip(NEXT) | instid1(VALU_DEP_1)
	v_lshrrev_b32_e32 v3, s20, v3
	v_and_b32_e32 v25, s25, v3
	v_bitop3_b32 v3, v3, 1, s25 bitop3:0x80
	s_delay_alu instid0(VALU_DEP_2) | instskip(NEXT) | instid1(VALU_DEP_2)
	v_lshlrev_b32_e32 v31, 30, v25
	v_add_co_u32 v3, s2, v3, -1
	s_delay_alu instid0(VALU_DEP_1) | instskip(NEXT) | instid1(VALU_DEP_1)
	v_cndmask_b32_e64 v28, 0, 1, s2
	v_cmp_ne_u32_e32 vcc_lo, 0, v28
	s_delay_alu instid0(VALU_DEP_4) | instskip(NEXT) | instid1(VALU_DEP_1)
	v_not_b32_e32 v28, v31
	v_dual_ashrrev_i32 v28, 31, v28 :: v_dual_lshlrev_b32 v32, 29, v25
	v_dual_lshlrev_b32 v33, 28, v25 :: v_dual_lshlrev_b32 v35, 27, v25
	v_lshlrev_b32_e32 v36, 26, v25
	v_cmp_gt_i32_e64 s2, 0, v31
	s_delay_alu instid0(VALU_DEP_4)
	v_cmp_gt_i32_e64 s3, 0, v32
	v_not_b32_e32 v31, v32
	v_not_b32_e32 v32, v33
	v_mad_u32 v38, 0x44, v25, v2
	v_dual_lshlrev_b32 v37, 25, v25 :: v_dual_lshlrev_b32 v25, 24, v25
	v_cmp_gt_i32_e64 s4, 0, v33
	v_cmp_gt_i32_e64 s5, 0, v35
	v_not_b32_e32 v33, v35
	v_not_b32_e32 v35, v36
	v_dual_ashrrev_i32 v32, 31, v32 :: v_dual_bitop2_b32 v3, vcc_lo, v3 bitop3:0x14
	v_dual_ashrrev_i32 v31, 31, v31 :: v_dual_bitop2_b32 v28, s2, v28 bitop3:0x14
	v_cmp_gt_i32_e64 s6, 0, v36
	v_not_b32_e32 v36, v37
	v_cmp_gt_i32_e64 s8, 0, v25
	v_not_b32_e32 v25, v25
	v_dual_ashrrev_i32 v33, 31, v33 :: v_dual_ashrrev_i32 v35, 31, v35
	v_xor_b32_e32 v31, s3, v31
	s_delay_alu instid0(VALU_DEP_3) | instskip(SKIP_4) | instid1(VALU_DEP_4)
	v_dual_ashrrev_i32 v25, 31, v25 :: v_dual_bitop2_b32 v32, s4, v32 bitop3:0x14
	v_bitop3_b32 v3, v3, v28, exec_lo bitop3:0x80
	v_cmp_gt_i32_e64 s7, 0, v37
	v_dual_ashrrev_i32 v28, 31, v36 :: v_dual_bitop2_b32 v33, s5, v33 bitop3:0x14
	v_xor_b32_e32 v35, s6, v35
	v_bitop3_b32 v3, v3, v32, v31 bitop3:0x80
	v_xor_b32_e32 v25, s8, v25
	s_delay_alu instid0(VALU_DEP_4) | instskip(SKIP_2) | instid1(VALU_DEP_1)
	v_xor_b32_e32 v28, s7, v28
	ds_load_b32 v32, v38 offset:64
	v_bitop3_b32 v3, v3, v35, v33 bitop3:0x80
	; wave barrier
	v_bitop3_b32 v3, v3, v25, v28 bitop3:0x80
	s_delay_alu instid0(VALU_DEP_1) | instskip(SKIP_1) | instid1(VALU_DEP_2)
	v_mbcnt_lo_u32_b32 v33, v3, 0
	v_cmp_ne_u32_e64 s2, 0, v3
	v_cmp_eq_u32_e32 vcc_lo, 0, v33
	s_and_b32 s3, s2, vcc_lo
	s_delay_alu instid0(SALU_CYCLE_1)
	s_and_saveexec_b32 s2, s3
	s_cbranch_execz .LBB1424_35
; %bb.34:
	s_wait_dscnt 0x0
	v_bcnt_u32_b32 v3, v3, v32
	ds_store_b32 v38, v3 offset:64
.LBB1424_35:
	s_or_b32 exec_lo, exec_lo, s2
	v_cmp_lt_i32_e32 vcc_lo, -1, v11
	; wave barrier
	v_cndmask_b32_e64 v3, -1, 0x80000000, vcc_lo
	s_delay_alu instid0(VALU_DEP_1) | instskip(NEXT) | instid1(VALU_DEP_1)
	v_xor_b32_e32 v25, v3, v11
	v_cmp_ne_u32_e32 vcc_lo, 0x7fffffff, v25
	v_cndmask_b32_e32 v3, 0x80000000, v25, vcc_lo
	s_delay_alu instid0(VALU_DEP_1) | instskip(NEXT) | instid1(VALU_DEP_1)
	v_lshrrev_b32_e32 v3, s20, v3
	v_and_b32_e32 v11, s25, v3
	v_bitop3_b32 v3, v3, 1, s25 bitop3:0x80
	s_delay_alu instid0(VALU_DEP_2) | instskip(NEXT) | instid1(VALU_DEP_2)
	v_lshlrev_b32_e32 v31, 30, v11
	v_add_co_u32 v3, s2, v3, -1
	s_delay_alu instid0(VALU_DEP_1) | instskip(SKIP_3) | instid1(VALU_DEP_4)
	v_cndmask_b32_e64 v28, 0, 1, s2
	v_dual_lshlrev_b32 v35, 29, v11 :: v_dual_lshlrev_b32 v37, 27, v11
	v_lshlrev_b32_e32 v36, 28, v11
	v_cmp_gt_i32_e64 s2, 0, v31
	v_cmp_ne_u32_e32 vcc_lo, 0, v28
	v_not_b32_e32 v28, v31
	v_cmp_gt_i32_e64 s3, 0, v35
	v_not_b32_e32 v31, v35
	v_cmp_gt_i32_e64 s4, 0, v36
	v_not_b32_e32 v35, v36
	v_not_b32_e32 v36, v37
	v_cmp_gt_i32_e64 s5, 0, v37
	v_ashrrev_i32_e32 v28, 31, v28
	s_delay_alu instid0(VALU_DEP_3) | instskip(SKIP_2) | instid1(VALU_DEP_4)
	v_dual_ashrrev_i32 v36, 31, v36 :: v_dual_lshlrev_b32 v39, 26, v11
	v_lshlrev_b32_e32 v40, 25, v11
	v_mad_u32 v42, 0x44, v11, v2
	v_dual_lshlrev_b32 v11, 24, v11 :: v_dual_bitop2_b32 v28, s2, v28 bitop3:0x14
	s_delay_alu instid0(VALU_DEP_4) | instskip(SKIP_3) | instid1(VALU_DEP_4)
	v_not_b32_e32 v37, v39
	v_cmp_gt_i32_e64 s6, 0, v39
	v_xor_b32_e32 v3, vcc_lo, v3
	v_dual_ashrrev_i32 v31, 31, v31 :: v_dual_bitop2_b32 v36, s5, v36 bitop3:0x14
	v_dual_ashrrev_i32 v37, 31, v37 :: v_dual_ashrrev_i32 v35, 31, v35
	v_not_b32_e32 v39, v40
	v_cmp_gt_i32_e64 s8, 0, v11
	v_not_b32_e32 v11, v11
	v_xor_b32_e32 v31, s3, v31
	v_bitop3_b32 v3, v3, v28, exec_lo bitop3:0x80
	v_xor_b32_e32 v37, s6, v37
	v_xor_b32_e32 v35, s4, v35
	v_cmp_gt_i32_e64 s7, 0, v40
	v_ashrrev_i32_e32 v28, 31, v39
	v_ashrrev_i32_e32 v11, 31, v11
	s_delay_alu instid0(VALU_DEP_4) | instskip(NEXT) | instid1(VALU_DEP_3)
	v_bitop3_b32 v3, v3, v35, v31 bitop3:0x80
	v_xor_b32_e32 v28, s7, v28
	s_delay_alu instid0(VALU_DEP_3) | instskip(NEXT) | instid1(VALU_DEP_3)
	v_xor_b32_e32 v11, s8, v11
	v_bitop3_b32 v3, v3, v37, v36 bitop3:0x80
	ds_load_b32 v36, v42 offset:64
	; wave barrier
	v_bitop3_b32 v3, v3, v11, v28 bitop3:0x80
	s_delay_alu instid0(VALU_DEP_1) | instskip(SKIP_1) | instid1(VALU_DEP_2)
	v_mbcnt_lo_u32_b32 v37, v3, 0
	v_cmp_ne_u32_e64 s2, 0, v3
	v_cmp_eq_u32_e32 vcc_lo, 0, v37
	s_and_b32 s3, s2, vcc_lo
	s_delay_alu instid0(SALU_CYCLE_1)
	s_and_saveexec_b32 s2, s3
	s_cbranch_execz .LBB1424_37
; %bb.36:
	s_wait_dscnt 0x0
	v_bcnt_u32_b32 v3, v3, v36
	ds_store_b32 v42, v3 offset:64
.LBB1424_37:
	s_or_b32 exec_lo, exec_lo, s2
	v_cmp_lt_i32_e32 vcc_lo, -1, v10
	; wave barrier
	v_cndmask_b32_e64 v3, -1, 0x80000000, vcc_lo
	s_delay_alu instid0(VALU_DEP_1) | instskip(NEXT) | instid1(VALU_DEP_1)
	v_xor_b32_e32 v28, v3, v10
	v_cmp_ne_u32_e32 vcc_lo, 0x7fffffff, v28
	v_cndmask_b32_e32 v3, 0x80000000, v28, vcc_lo
	s_delay_alu instid0(VALU_DEP_1) | instskip(NEXT) | instid1(VALU_DEP_1)
	v_lshrrev_b32_e32 v3, s20, v3
	v_and_b32_e32 v10, s25, v3
	v_bitop3_b32 v3, v3, 1, s25 bitop3:0x80
	s_delay_alu instid0(VALU_DEP_2) | instskip(NEXT) | instid1(VALU_DEP_2)
	v_dual_lshlrev_b32 v31, 30, v10 :: v_dual_lshlrev_b32 v35, 29, v10
	v_add_co_u32 v3, s2, v3, -1
	s_delay_alu instid0(VALU_DEP_1) | instskip(SKIP_3) | instid1(VALU_DEP_4)
	v_cndmask_b32_e64 v11, 0, 1, s2
	v_dual_lshlrev_b32 v39, 28, v10 :: v_dual_lshlrev_b32 v41, 26, v10
	v_lshlrev_b32_e32 v40, 27, v10
	v_cmp_gt_i32_e64 s2, 0, v31
	v_cmp_ne_u32_e32 vcc_lo, 0, v11
	v_not_b32_e32 v11, v31
	v_cmp_gt_i32_e64 s3, 0, v35
	v_not_b32_e32 v31, v35
	v_cmp_gt_i32_e64 s4, 0, v39
	;; [unrolled: 2-line block ×3, first 2 shown]
	v_not_b32_e32 v39, v40
	v_not_b32_e32 v40, v41
	v_cmp_gt_i32_e64 s6, 0, v41
	s_delay_alu instid0(VALU_DEP_2) | instskip(SKIP_2) | instid1(VALU_DEP_3)
	v_dual_ashrrev_i32 v39, 31, v39 :: v_dual_ashrrev_i32 v40, 31, v40
	v_mad_u32 v45, 0x44, v10, v2
	v_dual_lshlrev_b32 v43, 25, v10 :: v_dual_lshlrev_b32 v10, 24, v10
	v_dual_ashrrev_i32 v31, 31, v31 :: v_dual_bitop2_b32 v40, s6, v40 bitop3:0x14
	s_delay_alu instid0(VALU_DEP_4) | instskip(NEXT) | instid1(VALU_DEP_3)
	v_xor_b32_e32 v39, s5, v39
	v_not_b32_e32 v41, v43
	s_delay_alu instid0(VALU_DEP_4)
	v_cmp_gt_i32_e64 s8, 0, v10
	v_not_b32_e32 v10, v10
	v_ashrrev_i32_e32 v11, 31, v11
	v_xor_b32_e32 v3, vcc_lo, v3
	v_xor_b32_e32 v31, s3, v31
	v_cmp_gt_i32_e64 s7, 0, v43
	v_dual_ashrrev_i32 v10, 31, v10 :: v_dual_ashrrev_i32 v35, 31, v35
	v_xor_b32_e32 v11, s2, v11
	s_delay_alu instid0(VALU_DEP_2) | instskip(NEXT) | instid1(VALU_DEP_3)
	v_xor_b32_e32 v10, s8, v10
	v_xor_b32_e32 v35, s4, v35
	s_delay_alu instid0(VALU_DEP_3) | instskip(SKIP_1) | instid1(VALU_DEP_2)
	v_bitop3_b32 v3, v3, v11, exec_lo bitop3:0x80
	v_ashrrev_i32_e32 v11, 31, v41
	v_bitop3_b32 v3, v3, v35, v31 bitop3:0x80
	s_delay_alu instid0(VALU_DEP_2) | instskip(NEXT) | instid1(VALU_DEP_2)
	v_xor_b32_e32 v11, s7, v11
	v_bitop3_b32 v3, v3, v40, v39 bitop3:0x80
	ds_load_b32 v40, v45 offset:64
	; wave barrier
	v_bitop3_b32 v3, v3, v10, v11 bitop3:0x80
	s_delay_alu instid0(VALU_DEP_1) | instskip(SKIP_1) | instid1(VALU_DEP_2)
	v_mbcnt_lo_u32_b32 v41, v3, 0
	v_cmp_ne_u32_e64 s2, 0, v3
	v_cmp_eq_u32_e32 vcc_lo, 0, v41
	s_and_b32 s3, s2, vcc_lo
	s_delay_alu instid0(SALU_CYCLE_1)
	s_and_saveexec_b32 s2, s3
	s_cbranch_execz .LBB1424_39
; %bb.38:
	s_wait_dscnt 0x0
	v_bcnt_u32_b32 v3, v3, v40
	ds_store_b32 v45, v3 offset:64
.LBB1424_39:
	s_or_b32 exec_lo, exec_lo, s2
	v_cmp_lt_i32_e32 vcc_lo, -1, v9
	; wave barrier
	v_cndmask_b32_e64 v3, -1, 0x80000000, vcc_lo
	s_delay_alu instid0(VALU_DEP_1) | instskip(NEXT) | instid1(VALU_DEP_1)
	v_xor_b32_e32 v31, v3, v9
	v_cmp_ne_u32_e32 vcc_lo, 0x7fffffff, v31
	v_cndmask_b32_e32 v3, 0x80000000, v31, vcc_lo
	s_delay_alu instid0(VALU_DEP_1) | instskip(NEXT) | instid1(VALU_DEP_1)
	v_lshrrev_b32_e32 v3, s20, v3
	v_and_b32_e32 v9, s25, v3
	v_bitop3_b32 v3, v3, 1, s25 bitop3:0x80
	s_delay_alu instid0(VALU_DEP_2) | instskip(NEXT) | instid1(VALU_DEP_2)
	v_lshlrev_b32_e32 v11, 30, v9
	v_add_co_u32 v3, s2, v3, -1
	s_delay_alu instid0(VALU_DEP_1) | instskip(NEXT) | instid1(VALU_DEP_1)
	v_cndmask_b32_e64 v10, 0, 1, s2
	v_cmp_ne_u32_e32 vcc_lo, 0, v10
	s_delay_alu instid0(VALU_DEP_4) | instskip(NEXT) | instid1(VALU_DEP_1)
	v_not_b32_e32 v10, v11
	v_dual_ashrrev_i32 v10, 31, v10 :: v_dual_lshlrev_b32 v35, 29, v9
	v_dual_lshlrev_b32 v39, 28, v9 :: v_dual_lshlrev_b32 v43, 27, v9
	v_mad_u32 v49, 0x44, v9, v2
	v_dual_lshlrev_b32 v44, 26, v9 :: v_dual_lshlrev_b32 v46, 25, v9
	v_lshlrev_b32_e32 v9, 24, v9
	v_cmp_gt_i32_e64 s2, 0, v11
	v_cmp_gt_i32_e64 s3, 0, v35
	v_not_b32_e32 v11, v35
	v_not_b32_e32 v35, v39
	v_cmp_gt_i32_e64 s4, 0, v39
	v_cmp_gt_i32_e64 s5, 0, v43
	v_not_b32_e32 v39, v43
	v_cmp_gt_i32_e64 s6, 0, v44
	v_not_b32_e32 v43, v44
	v_not_b32_e32 v44, v46
	v_cmp_gt_i32_e64 s8, 0, v9
	v_not_b32_e32 v9, v9
	v_xor_b32_e32 v3, vcc_lo, v3
	v_dual_ashrrev_i32 v11, 31, v11 :: v_dual_bitop2_b32 v10, s2, v10 bitop3:0x14
	s_delay_alu instid0(VALU_DEP_3) | instskip(SKIP_2) | instid1(VALU_DEP_4)
	v_dual_ashrrev_i32 v35, 31, v35 :: v_dual_ashrrev_i32 v9, 31, v9
	v_cmp_gt_i32_e64 s7, 0, v46
	v_ashrrev_i32_e32 v43, 31, v43
	v_xor_b32_e32 v11, s3, v11
	s_delay_alu instid0(VALU_DEP_4) | instskip(SKIP_4) | instid1(VALU_DEP_4)
	v_xor_b32_e32 v35, s4, v35
	v_bitop3_b32 v3, v3, v10, exec_lo bitop3:0x80
	v_dual_ashrrev_i32 v10, 31, v44 :: v_dual_ashrrev_i32 v39, 31, v39
	v_xor_b32_e32 v9, s8, v9
	v_xor_b32_e32 v43, s6, v43
	v_bitop3_b32 v3, v3, v35, v11 bitop3:0x80
	s_delay_alu instid0(VALU_DEP_4) | instskip(SKIP_3) | instid1(VALU_DEP_1)
	v_xor_b32_e32 v10, s7, v10
	v_xor_b32_e32 v39, s5, v39
	ds_load_b32 v44, v49 offset:64
	; wave barrier
	v_bitop3_b32 v3, v3, v43, v39 bitop3:0x80
	v_bitop3_b32 v3, v3, v9, v10 bitop3:0x80
	s_delay_alu instid0(VALU_DEP_1) | instskip(SKIP_1) | instid1(VALU_DEP_2)
	v_mbcnt_lo_u32_b32 v46, v3, 0
	v_cmp_ne_u32_e64 s2, 0, v3
	v_cmp_eq_u32_e32 vcc_lo, 0, v46
	s_and_b32 s3, s2, vcc_lo
	s_delay_alu instid0(SALU_CYCLE_1)
	s_and_saveexec_b32 s2, s3
	s_cbranch_execz .LBB1424_41
; %bb.40:
	s_wait_dscnt 0x0
	v_bcnt_u32_b32 v3, v3, v44
	ds_store_b32 v49, v3 offset:64
.LBB1424_41:
	s_or_b32 exec_lo, exec_lo, s2
	v_cmp_lt_i32_e32 vcc_lo, -1, v8
	; wave barrier
	v_cndmask_b32_e64 v3, -1, 0x80000000, vcc_lo
	s_delay_alu instid0(VALU_DEP_1) | instskip(NEXT) | instid1(VALU_DEP_1)
	v_xor_b32_e32 v35, v3, v8
	v_cmp_ne_u32_e32 vcc_lo, 0x7fffffff, v35
	v_cndmask_b32_e32 v3, 0x80000000, v35, vcc_lo
	s_delay_alu instid0(VALU_DEP_1) | instskip(NEXT) | instid1(VALU_DEP_1)
	v_lshrrev_b32_e32 v3, s20, v3
	v_and_b32_e32 v8, s25, v3
	v_bitop3_b32 v3, v3, 1, s25 bitop3:0x80
	s_delay_alu instid0(VALU_DEP_2) | instskip(NEXT) | instid1(VALU_DEP_2)
	v_lshlrev_b32_e32 v10, 30, v8
	v_add_co_u32 v3, s2, v3, -1
	s_delay_alu instid0(VALU_DEP_1) | instskip(NEXT) | instid1(VALU_DEP_3)
	v_cndmask_b32_e64 v9, 0, 1, s2
	v_cmp_gt_i32_e64 s2, 0, v10
	s_delay_alu instid0(VALU_DEP_2) | instskip(SKIP_1) | instid1(VALU_DEP_1)
	v_cmp_ne_u32_e32 vcc_lo, 0, v9
	v_not_b32_e32 v9, v10
	v_dual_ashrrev_i32 v9, 31, v9 :: v_dual_lshlrev_b32 v11, 29, v8
	v_dual_lshlrev_b32 v39, 28, v8 :: v_dual_lshlrev_b32 v43, 27, v8
	v_lshlrev_b32_e32 v47, 26, v8
	v_mad_u32 v52, 0x44, v8, v2
	s_delay_alu instid0(VALU_DEP_4)
	v_cmp_gt_i32_e64 s3, 0, v11
	v_not_b32_e32 v10, v11
	v_not_b32_e32 v11, v39
	v_dual_lshlrev_b32 v48, 25, v8 :: v_dual_lshlrev_b32 v8, 24, v8
	v_cmp_gt_i32_e64 s4, 0, v39
	v_cmp_gt_i32_e64 s5, 0, v43
	v_not_b32_e32 v39, v43
	v_not_b32_e32 v43, v47
	v_dual_ashrrev_i32 v10, 31, v10 :: v_dual_bitop2_b32 v3, vcc_lo, v3 bitop3:0x14
	v_dual_ashrrev_i32 v11, 31, v11 :: v_dual_bitop2_b32 v9, s2, v9 bitop3:0x14
	v_cmp_gt_i32_e64 s6, 0, v47
	v_not_b32_e32 v47, v48
	v_cmp_gt_i32_e64 s8, 0, v8
	v_not_b32_e32 v8, v8
	v_dual_ashrrev_i32 v39, 31, v39 :: v_dual_bitop2_b32 v10, s3, v10 bitop3:0x14
	v_ashrrev_i32_e32 v43, 31, v43
	v_xor_b32_e32 v11, s4, v11
	v_bitop3_b32 v3, v3, v9, exec_lo bitop3:0x80
	v_cmp_gt_i32_e64 s7, 0, v48
	v_dual_ashrrev_i32 v8, 31, v8 :: v_dual_ashrrev_i32 v9, 31, v47
	v_xor_b32_e32 v39, s5, v39
	v_xor_b32_e32 v43, s6, v43
	v_bitop3_b32 v3, v3, v11, v10 bitop3:0x80
	s_delay_alu instid0(VALU_DEP_4) | instskip(SKIP_3) | instid1(VALU_DEP_1)
	v_xor_b32_e32 v8, s8, v8
	v_xor_b32_e32 v9, s7, v9
	ds_load_b32 v48, v52 offset:64
	v_bitop3_b32 v3, v3, v43, v39 bitop3:0x80
	; wave barrier
	v_bitop3_b32 v3, v3, v8, v9 bitop3:0x80
	s_delay_alu instid0(VALU_DEP_1) | instskip(SKIP_1) | instid1(VALU_DEP_2)
	v_mbcnt_lo_u32_b32 v50, v3, 0
	v_cmp_ne_u32_e64 s2, 0, v3
	v_cmp_eq_u32_e32 vcc_lo, 0, v50
	s_and_b32 s3, s2, vcc_lo
	s_delay_alu instid0(SALU_CYCLE_1)
	s_and_saveexec_b32 s2, s3
	s_cbranch_execz .LBB1424_43
; %bb.42:
	s_wait_dscnt 0x0
	v_bcnt_u32_b32 v3, v3, v48
	ds_store_b32 v52, v3 offset:64
.LBB1424_43:
	s_or_b32 exec_lo, exec_lo, s2
	v_cmp_lt_i32_e32 vcc_lo, -1, v6
	; wave barrier
	v_cndmask_b32_e64 v3, -1, 0x80000000, vcc_lo
	s_delay_alu instid0(VALU_DEP_1) | instskip(NEXT) | instid1(VALU_DEP_1)
	v_xor_b32_e32 v39, v3, v6
	v_cmp_ne_u32_e32 vcc_lo, 0x7fffffff, v39
	v_cndmask_b32_e32 v3, 0x80000000, v39, vcc_lo
	s_delay_alu instid0(VALU_DEP_1) | instskip(NEXT) | instid1(VALU_DEP_1)
	v_lshrrev_b32_e32 v3, s20, v3
	v_and_b32_e32 v6, s25, v3
	v_bitop3_b32 v3, v3, 1, s25 bitop3:0x80
	s_delay_alu instid0(VALU_DEP_2) | instskip(NEXT) | instid1(VALU_DEP_2)
	v_lshlrev_b32_e32 v9, 30, v6
	v_add_co_u32 v3, s2, v3, -1
	s_delay_alu instid0(VALU_DEP_1) | instskip(NEXT) | instid1(VALU_DEP_1)
	v_cndmask_b32_e64 v8, 0, 1, s2
	v_cmp_ne_u32_e32 vcc_lo, 0, v8
	s_delay_alu instid0(VALU_DEP_4) | instskip(NEXT) | instid1(VALU_DEP_1)
	v_not_b32_e32 v8, v9
	v_dual_ashrrev_i32 v8, 31, v8 :: v_dual_lshlrev_b32 v10, 29, v6
	v_dual_lshlrev_b32 v11, 28, v6 :: v_dual_lshlrev_b32 v43, 27, v6
	v_lshlrev_b32_e32 v47, 26, v6
	v_cmp_gt_i32_e64 s2, 0, v9
	s_delay_alu instid0(VALU_DEP_4)
	v_cmp_gt_i32_e64 s3, 0, v10
	v_not_b32_e32 v9, v10
	v_not_b32_e32 v10, v11
	v_mad_u32 v54, 0x44, v6, v2
	v_dual_lshlrev_b32 v51, 25, v6 :: v_dual_lshlrev_b32 v6, 24, v6
	v_cmp_gt_i32_e64 s4, 0, v11
	v_cmp_gt_i32_e64 s5, 0, v43
	v_not_b32_e32 v11, v43
	v_not_b32_e32 v43, v47
	v_dual_ashrrev_i32 v9, 31, v9 :: v_dual_bitop2_b32 v3, vcc_lo, v3 bitop3:0x14
	v_dual_ashrrev_i32 v10, 31, v10 :: v_dual_bitop2_b32 v8, s2, v8 bitop3:0x14
	v_cmp_gt_i32_e64 s6, 0, v47
	v_not_b32_e32 v47, v51
	v_cmp_gt_i32_e64 s8, 0, v6
	v_not_b32_e32 v6, v6
	v_dual_ashrrev_i32 v11, 31, v11 :: v_dual_bitop2_b32 v9, s3, v9 bitop3:0x14
	v_dual_ashrrev_i32 v43, 31, v43 :: v_dual_bitop2_b32 v10, s4, v10 bitop3:0x14
	v_bitop3_b32 v3, v3, v8, exec_lo bitop3:0x80
	v_cmp_gt_i32_e64 s7, 0, v51
	v_dual_ashrrev_i32 v8, 31, v47 :: v_dual_ashrrev_i32 v6, 31, v6
	v_xor_b32_e32 v11, s5, v11
	v_xor_b32_e32 v43, s6, v43
	v_bitop3_b32 v3, v3, v10, v9 bitop3:0x80
	s_delay_alu instid0(VALU_DEP_4) | instskip(SKIP_3) | instid1(VALU_DEP_1)
	v_xor_b32_e32 v8, s7, v8
	v_xor_b32_e32 v6, s8, v6
	ds_load_b32 v51, v54 offset:64
	v_bitop3_b32 v3, v3, v43, v11 bitop3:0x80
	; wave barrier
	v_bitop3_b32 v3, v3, v6, v8 bitop3:0x80
	s_delay_alu instid0(VALU_DEP_1) | instskip(SKIP_1) | instid1(VALU_DEP_2)
	v_mbcnt_lo_u32_b32 v53, v3, 0
	v_cmp_ne_u32_e64 s2, 0, v3
	v_cmp_eq_u32_e32 vcc_lo, 0, v53
	s_and_b32 s3, s2, vcc_lo
	s_delay_alu instid0(SALU_CYCLE_1)
	s_and_saveexec_b32 s2, s3
	s_cbranch_execz .LBB1424_45
; %bb.44:
	s_wait_dscnt 0x0
	v_bcnt_u32_b32 v3, v3, v51
	ds_store_b32 v54, v3 offset:64
.LBB1424_45:
	s_or_b32 exec_lo, exec_lo, s2
	v_cmp_lt_i32_e32 vcc_lo, -1, v5
	; wave barrier
	v_cndmask_b32_e64 v3, -1, 0x80000000, vcc_lo
	s_delay_alu instid0(VALU_DEP_1) | instskip(NEXT) | instid1(VALU_DEP_1)
	v_xor_b32_e32 v43, v3, v5
	v_cmp_ne_u32_e32 vcc_lo, 0x7fffffff, v43
	v_cndmask_b32_e32 v3, 0x80000000, v43, vcc_lo
	s_delay_alu instid0(VALU_DEP_1) | instskip(NEXT) | instid1(VALU_DEP_1)
	v_lshrrev_b32_e32 v3, s20, v3
	v_and_b32_e32 v5, s25, v3
	v_bitop3_b32 v3, v3, 1, s25 bitop3:0x80
	s_delay_alu instid0(VALU_DEP_2) | instskip(NEXT) | instid1(VALU_DEP_2)
	v_lshlrev_b32_e32 v8, 30, v5
	v_add_co_u32 v3, s2, v3, -1
	s_delay_alu instid0(VALU_DEP_1) | instskip(NEXT) | instid1(VALU_DEP_3)
	v_cndmask_b32_e64 v6, 0, 1, s2
	v_cmp_gt_i32_e64 s2, 0, v8
	s_delay_alu instid0(VALU_DEP_2) | instskip(SKIP_1) | instid1(VALU_DEP_1)
	v_cmp_ne_u32_e32 vcc_lo, 0, v6
	v_not_b32_e32 v6, v8
	v_dual_ashrrev_i32 v6, 31, v6 :: v_dual_lshlrev_b32 v9, 29, v5
	v_dual_lshlrev_b32 v10, 28, v5 :: v_dual_lshlrev_b32 v11, 27, v5
	v_lshlrev_b32_e32 v47, 26, v5
	v_mad_u32 v57, 0x44, v5, v2
	s_delay_alu instid0(VALU_DEP_4)
	v_cmp_gt_i32_e64 s3, 0, v9
	v_not_b32_e32 v8, v9
	v_not_b32_e32 v9, v10
	v_dual_lshlrev_b32 v55, 25, v5 :: v_dual_lshlrev_b32 v5, 24, v5
	v_cmp_gt_i32_e64 s4, 0, v10
	v_cmp_gt_i32_e64 s5, 0, v11
	v_not_b32_e32 v10, v11
	v_not_b32_e32 v11, v47
	v_dual_ashrrev_i32 v8, 31, v8 :: v_dual_bitop2_b32 v3, vcc_lo, v3 bitop3:0x14
	v_dual_ashrrev_i32 v9, 31, v9 :: v_dual_bitop2_b32 v6, s2, v6 bitop3:0x14
	v_cmp_gt_i32_e64 s6, 0, v47
	v_not_b32_e32 v47, v55
	v_cmp_gt_i32_e64 s8, 0, v5
	v_not_b32_e32 v5, v5
	v_dual_ashrrev_i32 v10, 31, v10 :: v_dual_ashrrev_i32 v11, 31, v11
	v_xor_b32_e32 v8, s3, v8
	v_xor_b32_e32 v9, s4, v9
	v_bitop3_b32 v3, v3, v6, exec_lo bitop3:0x80
	v_cmp_gt_i32_e64 s7, 0, v55
	v_dual_ashrrev_i32 v6, 31, v47 :: v_dual_ashrrev_i32 v5, 31, v5
	v_xor_b32_e32 v10, s5, v10
	v_xor_b32_e32 v11, s6, v11
	v_bitop3_b32 v3, v3, v9, v8 bitop3:0x80
	s_delay_alu instid0(VALU_DEP_4) | instskip(SKIP_3) | instid1(VALU_DEP_1)
	v_xor_b32_e32 v6, s7, v6
	v_xor_b32_e32 v5, s8, v5
	ds_load_b32 v55, v57 offset:64
	v_bitop3_b32 v3, v3, v11, v10 bitop3:0x80
	; wave barrier
	v_bitop3_b32 v3, v3, v5, v6 bitop3:0x80
	s_delay_alu instid0(VALU_DEP_1) | instskip(SKIP_1) | instid1(VALU_DEP_2)
	v_mbcnt_lo_u32_b32 v56, v3, 0
	v_cmp_ne_u32_e64 s2, 0, v3
	v_cmp_eq_u32_e32 vcc_lo, 0, v56
	s_and_b32 s3, s2, vcc_lo
	s_delay_alu instid0(SALU_CYCLE_1)
	s_and_saveexec_b32 s2, s3
	s_cbranch_execz .LBB1424_47
; %bb.46:
	s_wait_dscnt 0x0
	v_bcnt_u32_b32 v3, v3, v55
	ds_store_b32 v57, v3 offset:64
.LBB1424_47:
	s_or_b32 exec_lo, exec_lo, s2
	v_cmp_lt_i32_e32 vcc_lo, -1, v4
	; wave barrier
	v_cndmask_b32_e64 v3, -1, 0x80000000, vcc_lo
	s_delay_alu instid0(VALU_DEP_1) | instskip(NEXT) | instid1(VALU_DEP_1)
	v_xor_b32_e32 v47, v3, v4
	v_cmp_ne_u32_e32 vcc_lo, 0x7fffffff, v47
	v_cndmask_b32_e32 v3, 0x80000000, v47, vcc_lo
	s_delay_alu instid0(VALU_DEP_1) | instskip(NEXT) | instid1(VALU_DEP_1)
	v_lshrrev_b32_e32 v3, s20, v3
	v_and_b32_e32 v4, s25, v3
	v_bitop3_b32 v3, v3, 1, s25 bitop3:0x80
	s_delay_alu instid0(VALU_DEP_2) | instskip(NEXT) | instid1(VALU_DEP_2)
	v_mad_u32 v60, 0x44, v4, v2
	v_add_co_u32 v2, s2, v3, -1
	s_delay_alu instid0(VALU_DEP_1) | instskip(SKIP_1) | instid1(VALU_DEP_2)
	v_cndmask_b32_e64 v3, 0, 1, s2
	v_lshlrev_b32_e32 v5, 30, v4
	v_cmp_ne_u32_e32 vcc_lo, 0, v3
	s_delay_alu instid0(VALU_DEP_2)
	v_not_b32_e32 v3, v5
	ds_load_b32 v58, v60 offset:64
	; wave barrier
	v_dual_ashrrev_i32 v3, 31, v3 :: v_dual_lshlrev_b32 v6, 29, v4
	v_dual_lshlrev_b32 v8, 28, v4 :: v_dual_lshlrev_b32 v9, 27, v4
	v_lshlrev_b32_e32 v10, 26, v4
	v_cmp_gt_i32_e64 s2, 0, v5
	s_delay_alu instid0(VALU_DEP_4)
	v_cmp_gt_i32_e64 s3, 0, v6
	v_not_b32_e32 v5, v6
	v_not_b32_e32 v6, v8
	v_dual_lshlrev_b32 v11, 25, v4 :: v_dual_lshlrev_b32 v4, 24, v4
	v_cmp_gt_i32_e64 s4, 0, v8
	v_cmp_gt_i32_e64 s5, 0, v9
	v_not_b32_e32 v8, v9
	v_not_b32_e32 v9, v10
	v_dual_ashrrev_i32 v5, 31, v5 :: v_dual_bitop2_b32 v2, vcc_lo, v2 bitop3:0x14
	v_dual_ashrrev_i32 v6, 31, v6 :: v_dual_bitop2_b32 v3, s2, v3 bitop3:0x14
	v_cmp_gt_i32_e64 s6, 0, v10
	v_not_b32_e32 v10, v11
	v_cmp_gt_i32_e64 s8, 0, v4
	v_not_b32_e32 v4, v4
	v_dual_ashrrev_i32 v8, 31, v8 :: v_dual_ashrrev_i32 v9, 31, v9
	v_xor_b32_e32 v5, s3, v5
	s_delay_alu instid0(VALU_DEP_3) | instskip(SKIP_4) | instid1(VALU_DEP_4)
	v_dual_ashrrev_i32 v4, 31, v4 :: v_dual_bitop2_b32 v6, s4, v6 bitop3:0x14
	v_bitop3_b32 v2, v2, v3, exec_lo bitop3:0x80
	v_cmp_gt_i32_e64 s7, 0, v11
	v_dual_ashrrev_i32 v3, 31, v10 :: v_dual_bitop2_b32 v8, s5, v8 bitop3:0x14
	v_xor_b32_e32 v9, s6, v9
	v_bitop3_b32 v2, v2, v6, v5 bitop3:0x80
	v_xor_b32_e32 v4, s8, v4
	s_delay_alu instid0(VALU_DEP_4) | instskip(NEXT) | instid1(VALU_DEP_3)
	v_xor_b32_e32 v3, s7, v3
	v_bitop3_b32 v2, v2, v9, v8 bitop3:0x80
	s_delay_alu instid0(VALU_DEP_1) | instskip(NEXT) | instid1(VALU_DEP_1)
	v_bitop3_b32 v2, v2, v4, v3 bitop3:0x80
	v_mbcnt_lo_u32_b32 v59, v2, 0
	v_cmp_ne_u32_e64 s2, 0, v2
	s_delay_alu instid0(VALU_DEP_2) | instskip(SKIP_1) | instid1(SALU_CYCLE_1)
	v_cmp_eq_u32_e32 vcc_lo, 0, v59
	s_and_b32 s3, s2, vcc_lo
	s_and_saveexec_b32 s2, s3
	s_cbranch_execz .LBB1424_49
; %bb.48:
	s_wait_dscnt 0x0
	v_bcnt_u32_b32 v2, v2, v58
	ds_store_b32 v60, v2 offset:64
.LBB1424_49:
	s_or_b32 exec_lo, exec_lo, s2
	; wave barrier
	s_wait_dscnt 0x0
	s_barrier_signal -1
	s_barrier_wait -1
	ds_load_2addr_b32 v[10:11], v12 offset0:16 offset1:17
	ds_load_2addr_b32 v[8:9], v12 offset0:18 offset1:19
	ds_load_2addr_b32 v[4:5], v12 offset0:20 offset1:21
	ds_load_2addr_b32 v[2:3], v12 offset0:22 offset1:23
	ds_load_b32 v6, v12 offset:96
	v_min_u32_e32 v63, 0x1e0, v17
	s_mov_b32 s6, exec_lo
	s_delay_alu instid0(VALU_DEP_1) | instskip(SKIP_3) | instid1(VALU_DEP_1)
	v_or_b32_e32 v63, 31, v63
	s_wait_dscnt 0x3
	v_add3_u32 v61, v11, v10, v8
	s_wait_dscnt 0x2
	v_add3_u32 v61, v61, v9, v4
	s_wait_dscnt 0x1
	s_delay_alu instid0(VALU_DEP_1) | instskip(SKIP_1) | instid1(VALU_DEP_1)
	v_add3_u32 v61, v61, v5, v2
	s_wait_dscnt 0x0
	v_add3_u32 v6, v61, v3, v6
	v_and_b32_e32 v61, 15, v16
	s_delay_alu instid0(VALU_DEP_2) | instskip(NEXT) | instid1(VALU_DEP_2)
	v_mov_b32_dpp v62, v6 row_shr:1 row_mask:0xf bank_mask:0xf
	v_cmp_eq_u32_e32 vcc_lo, 0, v61
	s_delay_alu instid0(VALU_DEP_2) | instskip(NEXT) | instid1(VALU_DEP_1)
	v_cndmask_b32_e64 v62, v62, 0, vcc_lo
	v_add_nc_u32_e32 v6, v62, v6
	v_cmp_lt_u32_e64 s2, 1, v61
	v_cmp_lt_u32_e64 s3, 3, v61
	;; [unrolled: 1-line block ×3, first 2 shown]
	s_delay_alu instid0(VALU_DEP_4) | instskip(NEXT) | instid1(VALU_DEP_1)
	v_mov_b32_dpp v62, v6 row_shr:2 row_mask:0xf bank_mask:0xf
	v_cndmask_b32_e64 v62, 0, v62, s2
	s_delay_alu instid0(VALU_DEP_1) | instskip(NEXT) | instid1(VALU_DEP_1)
	v_add_nc_u32_e32 v6, v6, v62
	v_mov_b32_dpp v62, v6 row_shr:4 row_mask:0xf bank_mask:0xf
	s_delay_alu instid0(VALU_DEP_1) | instskip(NEXT) | instid1(VALU_DEP_1)
	v_cndmask_b32_e64 v62, 0, v62, s3
	v_add_nc_u32_e32 v6, v6, v62
	s_delay_alu instid0(VALU_DEP_1) | instskip(NEXT) | instid1(VALU_DEP_1)
	v_mov_b32_dpp v62, v6 row_shr:8 row_mask:0xf bank_mask:0xf
	v_cndmask_b32_e64 v61, 0, v62, s4
	v_bfe_i32 v62, v16, 4, 1
	s_delay_alu instid0(VALU_DEP_2) | instskip(SKIP_4) | instid1(VALU_DEP_2)
	v_add_nc_u32_e32 v6, v6, v61
	ds_swizzle_b32 v61, v6 offset:swizzle(BROADCAST,32,15)
	s_wait_dscnt 0x0
	v_and_b32_e32 v61, v62, v61
	v_lshrrev_b32_e32 v62, 5, v1
	v_add_nc_u32_e32 v61, v6, v61
	v_cmpx_eq_u32_e64 v1, v63
; %bb.50:
	s_delay_alu instid0(VALU_DEP_3)
	v_lshlrev_b32_e32 v6, 2, v62
	ds_store_b32 v6, v61
; %bb.51:
	s_or_b32 exec_lo, exec_lo, s6
	v_lshlrev_b32_e32 v6, 2, v1
	s_mov_b32 s6, exec_lo
	s_wait_dscnt 0x0
	s_barrier_signal -1
	s_barrier_wait -1
	v_cmpx_gt_u32_e32 16, v1
	s_cbranch_execz .LBB1424_53
; %bb.52:
	ds_load_b32 v63, v6
	s_wait_dscnt 0x0
	v_mov_b32_dpp v64, v63 row_shr:1 row_mask:0xf bank_mask:0xf
	s_delay_alu instid0(VALU_DEP_1) | instskip(NEXT) | instid1(VALU_DEP_1)
	v_cndmask_b32_e64 v64, v64, 0, vcc_lo
	v_add_nc_u32_e32 v63, v64, v63
	s_delay_alu instid0(VALU_DEP_1) | instskip(NEXT) | instid1(VALU_DEP_1)
	v_mov_b32_dpp v64, v63 row_shr:2 row_mask:0xf bank_mask:0xf
	v_cndmask_b32_e64 v64, 0, v64, s2
	s_delay_alu instid0(VALU_DEP_1) | instskip(NEXT) | instid1(VALU_DEP_1)
	v_add_nc_u32_e32 v63, v63, v64
	v_mov_b32_dpp v64, v63 row_shr:4 row_mask:0xf bank_mask:0xf
	s_delay_alu instid0(VALU_DEP_1) | instskip(NEXT) | instid1(VALU_DEP_1)
	v_cndmask_b32_e64 v64, 0, v64, s3
	v_add_nc_u32_e32 v63, v63, v64
	s_delay_alu instid0(VALU_DEP_1) | instskip(NEXT) | instid1(VALU_DEP_1)
	v_mov_b32_dpp v64, v63 row_shr:8 row_mask:0xf bank_mask:0xf
	v_cndmask_b32_e64 v64, 0, v64, s4
	s_delay_alu instid0(VALU_DEP_1)
	v_add_nc_u32_e32 v63, v63, v64
	ds_store_b32 v6, v63
.LBB1424_53:
	s_or_b32 exec_lo, exec_lo, s6
	v_mov_b32_e32 v63, 0
	s_mov_b32 s2, exec_lo
	s_wait_dscnt 0x0
	s_barrier_signal -1
	s_barrier_wait -1
	v_cmpx_lt_u32_e32 31, v1
; %bb.54:
	v_lshl_add_u32 v62, v62, 2, -4
	ds_load_b32 v63, v62
; %bb.55:
	s_or_b32 exec_lo, exec_lo, s2
	v_sub_co_u32 v62, vcc_lo, v16, 1
	s_wait_dscnt 0x0
	v_add_nc_u32_e32 v61, v63, v61
	s_delay_alu instid0(VALU_DEP_2) | instskip(NEXT) | instid1(VALU_DEP_1)
	v_cmp_gt_i32_e64 s2, 0, v62
	v_cndmask_b32_e64 v62, v62, v16, s2
	v_cmp_lt_u32_e64 s2, 0xff, v1
	s_delay_alu instid0(VALU_DEP_2) | instskip(SKIP_4) | instid1(VALU_DEP_2)
	v_lshlrev_b32_e32 v62, 2, v62
	ds_bpermute_b32 v61, v62, v61
	s_wait_dscnt 0x0
	v_cndmask_b32_e32 v61, v61, v63, vcc_lo
	v_cmp_ne_u32_e32 vcc_lo, 0, v1
	v_cndmask_b32_e32 v61, 0, v61, vcc_lo
	v_cmp_gt_u32_e32 vcc_lo, 0x100, v1
	s_delay_alu instid0(VALU_DEP_2) | instskip(NEXT) | instid1(VALU_DEP_1)
	v_add_nc_u32_e32 v10, v61, v10
	v_add_nc_u32_e32 v11, v10, v11
	s_delay_alu instid0(VALU_DEP_1) | instskip(NEXT) | instid1(VALU_DEP_1)
	v_add_nc_u32_e32 v8, v11, v8
	v_add_nc_u32_e32 v9, v8, v9
	s_delay_alu instid0(VALU_DEP_1) | instskip(NEXT) | instid1(VALU_DEP_1)
	;; [unrolled: 3-line block ×3, first 2 shown]
	v_add_nc_u32_e32 v2, v5, v2
	v_add_nc_u32_e32 v3, v2, v3
	ds_store_2addr_b32 v12, v61, v10 offset0:16 offset1:17
	ds_store_2addr_b32 v12, v11, v8 offset0:18 offset1:19
	;; [unrolled: 1-line block ×4, first 2 shown]
	ds_store_b32 v12, v3 offset:96
	s_wait_dscnt 0x0
	s_barrier_signal -1
	s_barrier_wait -1
	ds_load_b32 v63, v13 offset:64
	ds_load_b32 v61, v14 offset:64
	;; [unrolled: 1-line block ×12, first 2 shown]
	v_mov_b64_e32 v[2:3], 0
                                        ; implicit-def: $vgpr4
	s_and_saveexec_b32 s4, vcc_lo
	s_cbranch_execz .LBB1424_59
; %bb.56:
	v_mul_u32_u24_e32 v2, 0x44, v1
	v_dual_mov_b32 v3, 0x1800 :: v_dual_add_nc_u32 v4, 1, v1
	s_mov_b32 s5, exec_lo
	ds_load_b32 v2, v2 offset:64
	v_cmpx_ne_u32_e32 0x100, v4
; %bb.57:
	v_mul_u32_u24_e32 v3, 0x44, v4
	ds_load_b32 v3, v3 offset:64
; %bb.58:
	s_or_b32 exec_lo, exec_lo, s5
	s_wait_dscnt 0x0
	v_dual_mov_b32 v3, 0 :: v_dual_sub_nc_u32 v4, v3, v2
.LBB1424_59:
	s_or_b32 exec_lo, exec_lo, s4
	v_dual_mov_b32 v9, 0 :: v_dual_lshlrev_b32 v5, 3, v1
	s_wait_dscnt 0x0
	s_barrier_signal -1
	s_barrier_wait -1
	s_and_saveexec_b32 s3, vcc_lo
	s_cbranch_execz .LBB1424_69
; %bb.60:
	v_lshl_add_u32 v8, s9, 8, v1
	v_dual_mov_b32 v12, 0 :: v_dual_bitop2_b32 v13, 2.0, v4 bitop3:0x54
	s_mov_b32 s4, 0
	s_mov_b32 s5, s9
	s_delay_alu instid0(VALU_DEP_2)
	v_lshl_add_u64 v[10:11], v[8:9], 2, s[10:11]
	global_store_b32 v8, v13, s[10:11] scale_offset scope:SCOPE_DEV
                                        ; implicit-def: $sgpr6
	s_branch .LBB1424_63
.LBB1424_61:                            ;   in Loop: Header=BB1424_63 Depth=1
	s_or_b32 exec_lo, exec_lo, s7
.LBB1424_62:                            ;   in Loop: Header=BB1424_63 Depth=1
	s_delay_alu instid0(SALU_CYCLE_1) | instskip(SKIP_2) | instid1(VALU_DEP_2)
	s_or_b32 exec_lo, exec_lo, s6
	v_and_b32_e32 v8, 0x3fffffff, v13
	v_cmp_gt_i32_e64 s6, -2.0, v13
	v_add_nc_u32_e32 v12, v8, v12
	s_and_b32 s7, exec_lo, s6
	s_delay_alu instid0(SALU_CYCLE_1) | instskip(NEXT) | instid1(SALU_CYCLE_1)
	s_or_b32 s4, s7, s4
	s_and_not1_b32 exec_lo, exec_lo, s4
	s_cbranch_execz .LBB1424_68
.LBB1424_63:                            ; =>This Loop Header: Depth=1
                                        ;     Child Loop BB1424_66 Depth 2
	s_or_b32 s6, s6, exec_lo
	s_cmp_eq_u32 s5, 0
	s_cbranch_scc1 .LBB1424_67
; %bb.64:                               ;   in Loop: Header=BB1424_63 Depth=1
	s_add_co_i32 s5, s5, -1
	s_mov_b32 s6, exec_lo
	s_wait_xcnt 0x0
	v_lshl_or_b32 v8, s5, 8, v1
	global_load_b32 v13, v8, s[10:11] scale_offset scope:SCOPE_DEV
	s_wait_loadcnt 0x0
	v_cmpx_gt_u32_e32 2.0, v13
	s_cbranch_execz .LBB1424_62
; %bb.65:                               ;   in Loop: Header=BB1424_63 Depth=1
	v_lshl_add_u64 v[14:15], v[8:9], 2, s[10:11]
	s_mov_b32 s7, 0
.LBB1424_66:                            ;   Parent Loop BB1424_63 Depth=1
                                        ; =>  This Inner Loop Header: Depth=2
	global_load_b32 v13, v[14:15], off scope:SCOPE_DEV
	s_wait_loadcnt 0x0
	v_cmp_lt_u32_e32 vcc_lo, 0x3fffffff, v13
	s_or_b32 s7, vcc_lo, s7
	s_wait_xcnt 0x0
	s_and_not1_b32 exec_lo, exec_lo, s7
	s_cbranch_execnz .LBB1424_66
	s_branch .LBB1424_61
.LBB1424_67:                            ;   in Loop: Header=BB1424_63 Depth=1
                                        ; implicit-def: $sgpr5
	s_and_b32 s7, exec_lo, s6
	s_delay_alu instid0(SALU_CYCLE_1)
	s_or_b32 s4, s7, s4
	s_wait_xcnt 0x0
	s_and_not1_b32 exec_lo, exec_lo, s4
	s_cbranch_execnz .LBB1424_63
.LBB1424_68:
	s_or_b32 exec_lo, exec_lo, s4
	v_dual_mov_b32 v13, 0 :: v_dual_add_nc_u32 v8, v12, v4
	s_delay_alu instid0(VALU_DEP_1) | instskip(SKIP_4) | instid1(VALU_DEP_1)
	v_or_b32_e32 v8, 0x80000000, v8
	global_store_b32 v[10:11], v8, off scope:SCOPE_DEV
	global_load_b64 v[8:9], v1, s[12:13] scale_offset
	v_sub_nc_u64_e32 v[10:11], v[12:13], v[2:3]
	s_wait_loadcnt 0x0
	v_add_nc_u64_e32 v[8:9], v[10:11], v[8:9]
	ds_store_b64 v5, v[8:9]
.LBB1424_69:
	s_wait_xcnt 0x0
	s_or_b32 exec_lo, exec_lo, s3
	v_dual_add_nc_u32 v8, v63, v7 :: v_dual_sub_nc_u32 v63, 0, v6
	v_mov_b32_e32 v7, 0
	v_add3_u32 v23, v24, v61, v23
	v_add_nc_u32_e32 v24, 0xe00, v1
	v_add3_u32 v9, v59, v60, v58
	v_add3_u32 v10, v56, v57, v55
	v_add_nc_u64_e32 v[6:7], s[18:19], v[6:7]
	v_add3_u32 v11, v53, v54, v51
	v_add3_u32 v12, v50, v52, v48
	;; [unrolled: 1-line block ×6, first 2 shown]
	v_add_nc_u64_e32 v[6:7], 0x3800, v[6:7]
	v_add3_u32 v29, v30, v34, v29
	v_add3_u32 v26, v27, v62, v26
	v_add_nc_u32_e32 v27, v5, v63
	s_mov_b32 s3, 0
	s_mov_b32 s4, -1
	s_branch .LBB1424_71
.LBB1424_70:                            ;   in Loop: Header=BB1424_71 Depth=1
	s_wait_xcnt 0x0
	s_or_b32 exec_lo, exec_lo, s5
	v_add_nc_u64_e32 v[6:7], 0x4000, v[6:7]
	v_add_nc_u32_e32 v24, 0x1000, v24
	s_xor_b32 s4, s4, -1
	s_addk_co_i32 s3, 0xf000
	s_and_b32 vcc_lo, exec_lo, s4
	s_mov_b32 s4, 0
	s_wait_storecnt 0x0
	s_barrier_signal -1
	s_barrier_wait -1
	s_cbranch_vccnz .LBB1424_87
.LBB1424_71:                            ; =>This Inner Loop Header: Depth=1
	v_add_min_u32_e64 v30, v8, s3, 0x1000
	v_add_min_u32_e64 v33, v23, s3, 0x1000
	;; [unrolled: 1-line block ×5, first 2 shown]
	s_delay_alu instid0(VALU_DEP_4) | instskip(NEXT) | instid1(VALU_DEP_4)
	v_dual_lshlrev_b32 v30, 2, v30 :: v_dual_lshlrev_b32 v33, 2, v33
	v_lshlrev_b32_e32 v34, 2, v34
	v_add_min_u32_e64 v38, v15, s3, 0x1000
	s_mov_b32 s5, exec_lo
	ds_store_b32 v30, v18 offset:2048
	ds_store_b32 v33, v19 offset:2048
	v_add_min_u32_e64 v30, v14, s3, 0x1000
	v_lshlrev_b32_e32 v33, 2, v36
	ds_store_b32 v34, v20 offset:2048
	v_dual_lshlrev_b32 v34, 2, v37 :: v_dual_lshlrev_b32 v36, 2, v38
	v_add_min_u32_e64 v37, v13, s3, 0x1000
	v_lshlrev_b32_e32 v30, 2, v30
	ds_store_b32 v33, v21 offset:2048
	ds_store_b32 v34, v22 offset:2048
	ds_store_b32 v36, v25 offset:2048
	ds_store_b32 v30, v28 offset:2048
	v_add_min_u32_e64 v33, v12, s3, 0x1000
	v_add_min_u32_e64 v34, v11, s3, 0x1000
	v_lshlrev_b32_e32 v30, 2, v37
	v_add_min_u32_e64 v36, v10, s3, 0x1000
	v_add_min_u32_e64 v37, v9, s3, 0x1000
	ds_store_b32 v30, v31 offset:2048
	v_dual_lshlrev_b32 v30, 2, v33 :: v_dual_lshlrev_b32 v33, 2, v34
	v_dual_lshlrev_b32 v34, 2, v36 :: v_dual_lshlrev_b32 v36, 2, v37
	v_add_nc_u32_e32 v37, 0xfffff200, v24
	ds_store_b32 v30, v35 offset:2048
	ds_store_b32 v33, v39 offset:2048
	;; [unrolled: 1-line block ×4, first 2 shown]
	s_wait_storecnt_dscnt 0x0
	s_barrier_signal -1
	s_barrier_wait -1
	v_cmpx_gt_u32_e64 s22, v37
	s_cbranch_execz .LBB1424_73
; %bb.72:                               ;   in Loop: Header=BB1424_71 Depth=1
	ds_load_b32 v30, v27 offset:2048
	s_wait_dscnt 0x0
	v_cmp_ne_u32_e32 vcc_lo, 0x7fffffff, v30
	v_cndmask_b32_e32 v33, 0x80000000, v30, vcc_lo
	v_cmp_lt_i32_e32 vcc_lo, -1, v30
	s_delay_alu instid0(VALU_DEP_2) | instskip(NEXT) | instid1(VALU_DEP_1)
	v_lshrrev_b32_e32 v33, s20, v33
	v_and_b32_e32 v33, s25, v33
	s_delay_alu instid0(VALU_DEP_1) | instskip(SKIP_2) | instid1(VALU_DEP_1)
	v_lshlrev_b32_e32 v33, 3, v33
	ds_load_b64 v[36:37], v33
	v_cndmask_b32_e64 v33, 0x80000000, -1, vcc_lo
	v_xor_b32_e32 v30, v33, v30
	s_wait_dscnt 0x0
	v_lshl_add_u64 v[36:37], v[36:37], 2, v[6:7]
	global_store_b32 v[36:37], v30, off offset:-14336
.LBB1424_73:                            ;   in Loop: Header=BB1424_71 Depth=1
	s_wait_xcnt 0x0
	s_or_b32 exec_lo, exec_lo, s5
	v_add_nc_u32_e32 v30, 0xfffff400, v24
	s_mov_b32 s5, exec_lo
	s_delay_alu instid0(VALU_DEP_1)
	v_cmpx_gt_u32_e64 s22, v30
	s_cbranch_execz .LBB1424_75
; %bb.74:                               ;   in Loop: Header=BB1424_71 Depth=1
	ds_load_b32 v30, v27 offset:4096
	s_wait_dscnt 0x0
	v_cmp_ne_u32_e32 vcc_lo, 0x7fffffff, v30
	v_cndmask_b32_e32 v33, 0x80000000, v30, vcc_lo
	v_cmp_lt_i32_e32 vcc_lo, -1, v30
	s_delay_alu instid0(VALU_DEP_2) | instskip(NEXT) | instid1(VALU_DEP_1)
	v_lshrrev_b32_e32 v33, s20, v33
	v_and_b32_e32 v33, s25, v33
	s_delay_alu instid0(VALU_DEP_1) | instskip(SKIP_2) | instid1(VALU_DEP_1)
	v_lshlrev_b32_e32 v33, 3, v33
	ds_load_b64 v[36:37], v33
	v_cndmask_b32_e64 v33, 0x80000000, -1, vcc_lo
	v_xor_b32_e32 v30, v33, v30
	s_wait_dscnt 0x0
	v_lshl_add_u64 v[36:37], v[36:37], 2, v[6:7]
	global_store_b32 v[36:37], v30, off offset:-12288
.LBB1424_75:                            ;   in Loop: Header=BB1424_71 Depth=1
	s_wait_xcnt 0x0
	s_or_b32 exec_lo, exec_lo, s5
	v_add_nc_u32_e32 v30, 0xfffff600, v24
	s_mov_b32 s5, exec_lo
	s_delay_alu instid0(VALU_DEP_1)
	v_cmpx_gt_u32_e64 s22, v30
	s_cbranch_execz .LBB1424_77
; %bb.76:                               ;   in Loop: Header=BB1424_71 Depth=1
	ds_load_b32 v30, v27 offset:6144
	s_wait_dscnt 0x0
	v_cmp_ne_u32_e32 vcc_lo, 0x7fffffff, v30
	v_cndmask_b32_e32 v33, 0x80000000, v30, vcc_lo
	v_cmp_lt_i32_e32 vcc_lo, -1, v30
	s_delay_alu instid0(VALU_DEP_2) | instskip(NEXT) | instid1(VALU_DEP_1)
	v_lshrrev_b32_e32 v33, s20, v33
	v_and_b32_e32 v33, s25, v33
	s_delay_alu instid0(VALU_DEP_1) | instskip(SKIP_2) | instid1(VALU_DEP_1)
	v_lshlrev_b32_e32 v33, 3, v33
	ds_load_b64 v[36:37], v33
	v_cndmask_b32_e64 v33, 0x80000000, -1, vcc_lo
	v_xor_b32_e32 v30, v33, v30
	s_wait_dscnt 0x0
	v_lshl_add_u64 v[36:37], v[36:37], 2, v[6:7]
	global_store_b32 v[36:37], v30, off offset:-10240
.LBB1424_77:                            ;   in Loop: Header=BB1424_71 Depth=1
	s_wait_xcnt 0x0
	s_or_b32 exec_lo, exec_lo, s5
	v_add_nc_u32_e32 v30, 0xfffff800, v24
	s_mov_b32 s5, exec_lo
	s_delay_alu instid0(VALU_DEP_1)
	v_cmpx_gt_u32_e64 s22, v30
	s_cbranch_execz .LBB1424_79
; %bb.78:                               ;   in Loop: Header=BB1424_71 Depth=1
	ds_load_b32 v30, v27 offset:8192
	s_wait_dscnt 0x0
	v_cmp_ne_u32_e32 vcc_lo, 0x7fffffff, v30
	v_cndmask_b32_e32 v33, 0x80000000, v30, vcc_lo
	v_cmp_lt_i32_e32 vcc_lo, -1, v30
	s_delay_alu instid0(VALU_DEP_2) | instskip(NEXT) | instid1(VALU_DEP_1)
	v_lshrrev_b32_e32 v33, s20, v33
	v_and_b32_e32 v33, s25, v33
	s_delay_alu instid0(VALU_DEP_1) | instskip(SKIP_2) | instid1(VALU_DEP_1)
	v_lshlrev_b32_e32 v33, 3, v33
	ds_load_b64 v[36:37], v33
	v_cndmask_b32_e64 v33, 0x80000000, -1, vcc_lo
	v_xor_b32_e32 v30, v33, v30
	s_wait_dscnt 0x0
	v_lshl_add_u64 v[36:37], v[36:37], 2, v[6:7]
	global_store_b32 v[36:37], v30, off offset:-8192
.LBB1424_79:                            ;   in Loop: Header=BB1424_71 Depth=1
	s_wait_xcnt 0x0
	s_or_b32 exec_lo, exec_lo, s5
	v_add_nc_u32_e32 v30, 0xfffffa00, v24
	s_mov_b32 s5, exec_lo
	s_delay_alu instid0(VALU_DEP_1)
	v_cmpx_gt_u32_e64 s22, v30
	s_cbranch_execz .LBB1424_81
; %bb.80:                               ;   in Loop: Header=BB1424_71 Depth=1
	ds_load_b32 v30, v27 offset:10240
	s_wait_dscnt 0x0
	v_cmp_ne_u32_e32 vcc_lo, 0x7fffffff, v30
	v_cndmask_b32_e32 v33, 0x80000000, v30, vcc_lo
	v_cmp_lt_i32_e32 vcc_lo, -1, v30
	s_delay_alu instid0(VALU_DEP_2) | instskip(NEXT) | instid1(VALU_DEP_1)
	v_lshrrev_b32_e32 v33, s20, v33
	v_and_b32_e32 v33, s25, v33
	s_delay_alu instid0(VALU_DEP_1) | instskip(SKIP_2) | instid1(VALU_DEP_1)
	v_lshlrev_b32_e32 v33, 3, v33
	ds_load_b64 v[36:37], v33
	v_cndmask_b32_e64 v33, 0x80000000, -1, vcc_lo
	v_xor_b32_e32 v30, v33, v30
	s_wait_dscnt 0x0
	v_lshl_add_u64 v[36:37], v[36:37], 2, v[6:7]
	global_store_b32 v[36:37], v30, off offset:-6144
.LBB1424_81:                            ;   in Loop: Header=BB1424_71 Depth=1
	s_wait_xcnt 0x0
	s_or_b32 exec_lo, exec_lo, s5
	v_add_nc_u32_e32 v30, 0xfffffc00, v24
	s_mov_b32 s5, exec_lo
	s_delay_alu instid0(VALU_DEP_1)
	v_cmpx_gt_u32_e64 s22, v30
	s_cbranch_execz .LBB1424_83
; %bb.82:                               ;   in Loop: Header=BB1424_71 Depth=1
	ds_load_b32 v30, v27 offset:12288
	s_wait_dscnt 0x0
	v_cmp_ne_u32_e32 vcc_lo, 0x7fffffff, v30
	v_cndmask_b32_e32 v33, 0x80000000, v30, vcc_lo
	v_cmp_lt_i32_e32 vcc_lo, -1, v30
	s_delay_alu instid0(VALU_DEP_2) | instskip(NEXT) | instid1(VALU_DEP_1)
	v_lshrrev_b32_e32 v33, s20, v33
	v_and_b32_e32 v33, s25, v33
	s_delay_alu instid0(VALU_DEP_1) | instskip(SKIP_2) | instid1(VALU_DEP_1)
	v_lshlrev_b32_e32 v33, 3, v33
	ds_load_b64 v[36:37], v33
	v_cndmask_b32_e64 v33, 0x80000000, -1, vcc_lo
	v_xor_b32_e32 v30, v33, v30
	s_wait_dscnt 0x0
	v_lshl_add_u64 v[36:37], v[36:37], 2, v[6:7]
	global_store_b32 v[36:37], v30, off offset:-4096
.LBB1424_83:                            ;   in Loop: Header=BB1424_71 Depth=1
	s_wait_xcnt 0x0
	s_or_b32 exec_lo, exec_lo, s5
	v_add_nc_u32_e32 v30, 0xfffffe00, v24
	s_mov_b32 s5, exec_lo
	s_delay_alu instid0(VALU_DEP_1)
	v_cmpx_gt_u32_e64 s22, v30
	s_cbranch_execz .LBB1424_85
; %bb.84:                               ;   in Loop: Header=BB1424_71 Depth=1
	ds_load_b32 v30, v27 offset:14336
	s_wait_dscnt 0x0
	v_cmp_ne_u32_e32 vcc_lo, 0x7fffffff, v30
	v_cndmask_b32_e32 v33, 0x80000000, v30, vcc_lo
	v_cmp_lt_i32_e32 vcc_lo, -1, v30
	s_delay_alu instid0(VALU_DEP_2) | instskip(NEXT) | instid1(VALU_DEP_1)
	v_lshrrev_b32_e32 v33, s20, v33
	v_and_b32_e32 v33, s25, v33
	s_delay_alu instid0(VALU_DEP_1) | instskip(SKIP_2) | instid1(VALU_DEP_1)
	v_lshlrev_b32_e32 v33, 3, v33
	ds_load_b64 v[36:37], v33
	v_cndmask_b32_e64 v33, 0x80000000, -1, vcc_lo
	v_xor_b32_e32 v30, v33, v30
	s_wait_dscnt 0x0
	v_lshl_add_u64 v[36:37], v[36:37], 2, v[6:7]
	global_store_b32 v[36:37], v30, off offset:-2048
.LBB1424_85:                            ;   in Loop: Header=BB1424_71 Depth=1
	s_wait_xcnt 0x0
	s_or_b32 exec_lo, exec_lo, s5
	s_delay_alu instid0(SALU_CYCLE_1)
	s_mov_b32 s5, exec_lo
	v_cmpx_gt_u32_e64 s22, v24
	s_cbranch_execz .LBB1424_70
; %bb.86:                               ;   in Loop: Header=BB1424_71 Depth=1
	ds_load_b32 v30, v27 offset:16384
	s_wait_dscnt 0x0
	v_cmp_ne_u32_e32 vcc_lo, 0x7fffffff, v30
	v_cndmask_b32_e32 v33, 0x80000000, v30, vcc_lo
	v_cmp_lt_i32_e32 vcc_lo, -1, v30
	s_delay_alu instid0(VALU_DEP_2) | instskip(NEXT) | instid1(VALU_DEP_1)
	v_lshrrev_b32_e32 v33, s20, v33
	v_and_b32_e32 v33, s25, v33
	s_delay_alu instid0(VALU_DEP_1) | instskip(SKIP_2) | instid1(VALU_DEP_1)
	v_lshlrev_b32_e32 v33, 3, v33
	ds_load_b64 v[36:37], v33
	v_cndmask_b32_e64 v33, 0x80000000, -1, vcc_lo
	v_xor_b32_e32 v30, v33, v30
	s_wait_dscnt 0x0
	v_lshl_add_u64 v[36:37], v[36:37], 2, v[6:7]
	global_store_b32 v[36:37], v30, off
	s_branch .LBB1424_70
.LBB1424_87:
	s_add_co_i32 s23, s23, -1
	s_delay_alu instid0(SALU_CYCLE_1) | instskip(SKIP_2) | instid1(SALU_CYCLE_1)
	s_cmp_eq_u32 s9, s23
	s_cselect_b32 s3, -1, 0
	s_xor_b32 s2, s2, -1
	s_and_b32 s3, s2, s3
	s_delay_alu instid0(SALU_CYCLE_1)
	s_and_saveexec_b32 s2, s3
	s_cbranch_execz .LBB1424_89
; %bb.88:
	ds_load_b64 v[6:7], v5
	v_mov_b32_e32 v5, 0
	s_delay_alu instid0(VALU_DEP_1) | instskip(SKIP_1) | instid1(VALU_DEP_1)
	v_add_nc_u64_e32 v[2:3], v[2:3], v[4:5]
	s_wait_dscnt 0x0
	v_add_nc_u64_e32 v[2:3], v[2:3], v[6:7]
	global_store_b64 v1, v[2:3], s[14:15] scale_offset
.LBB1424_89:
	s_wait_xcnt 0x0
	s_or_b32 exec_lo, exec_lo, s2
	s_mov_b32 s2, 0
.LBB1424_90:
	s_delay_alu instid0(SALU_CYCLE_1)
	s_and_b32 vcc_lo, exec_lo, s2
	s_cbranch_vccz .LBB1424_149
; %bb.91:
	s_mov_b32 s25, 0
	v_dual_mov_b32 v11, 0 :: v_dual_lshlrev_b32 v10, 2, v16
	s_lshl_b64 s[2:3], s[24:25], 2
	v_mul_u32_u24_e32 v1, 12, v17
	s_add_nc_u64 s[2:3], s[16:17], s[2:3]
	v_bfe_u32 v18, v0, 20, 10
	v_add_nc_u64_e32 v[2:3], s[2:3], v[10:11]
	s_delay_alu instid0(VALU_DEP_3) | instskip(NEXT) | instid1(VALU_DEP_1)
	v_lshlrev_b32_e32 v10, 2, v1
	v_add_nc_u64_e32 v[14:15], v[2:3], v[10:11]
	s_clause 0xb
	global_load_b32 v5, v[14:15], off
	global_load_b32 v12, v[14:15], off offset:128
	global_load_b32 v13, v[14:15], off offset:256
	;; [unrolled: 1-line block ×11, first 2 shown]
	s_clause 0x1
	s_load_b32 s7, s[0:1], 0x58
	s_load_u16 s2, s[0:1], 0x66
	v_and_b32_e32 v15, 0x3ff, v0
	s_wait_kmcnt 0x0
	s_cmp_lt_u32 s9, s7
	s_cselect_b32 s24, 12, 18
	s_lshl_b32 s8, -1, s21
	s_add_nc_u64 s[0:1], s[26:27], s[24:25]
	s_load_u16 s0, s[0:1], 0x0
	s_wait_loadcnt 0xb
	v_cmp_lt_i32_e32 vcc_lo, -1, v5
	v_cndmask_b32_e64 v10, -1, 0x80000000, vcc_lo
	s_delay_alu instid0(VALU_DEP_1) | instskip(SKIP_1) | instid1(VALU_DEP_2)
	v_xor_b32_e32 v14, v10, v5
	v_bfe_u32 v10, v0, 10, 10
	v_cmp_ne_u32_e32 vcc_lo, 0x7fffffff, v14
	s_delay_alu instid0(VALU_DEP_2) | instskip(SKIP_2) | instid1(VALU_DEP_2)
	v_mad_u32_u24 v0, v18, s2, v10
	v_cndmask_b32_e32 v5, 0x80000000, v14, vcc_lo
	s_wait_kmcnt 0x0
	v_mad_u32 v0, v0, s0, v15
	s_delay_alu instid0(VALU_DEP_2) | instskip(NEXT) | instid1(VALU_DEP_1)
	v_lshrrev_b32_e32 v5, s20, v5
	v_bitop3_b32 v10, v5, 1, s8 bitop3:0x40
	v_bitop3_b32 v19, v5, s8, v5 bitop3:0x30
	s_not_b32 s8, s8
	s_delay_alu instid0(VALU_DEP_4) | instskip(NEXT) | instid1(VALU_DEP_3)
	v_lshrrev_b32_e32 v0, 5, v0
	v_add_co_u32 v5, s0, v10, -1
	s_delay_alu instid0(VALU_DEP_1) | instskip(SKIP_2) | instid1(VALU_DEP_3)
	v_cndmask_b32_e64 v10, 0, 1, s0
	v_dual_lshlrev_b32 v18, 30, v19 :: v_dual_lshlrev_b32 v21, 29, v19
	v_dual_lshlrev_b32 v22, 28, v19 :: v_dual_lshlrev_b32 v23, 27, v19
	v_cmp_ne_u32_e32 vcc_lo, 0, v10
	s_delay_alu instid0(VALU_DEP_3)
	v_not_b32_e32 v10, v18
	v_dual_lshlrev_b32 v24, 26, v19 :: v_dual_lshlrev_b32 v25, 25, v19
	v_lshlrev_b32_e32 v26, 24, v19
	v_cmp_gt_i32_e64 s0, 0, v18
	v_cmp_gt_i32_e64 s1, 0, v21
	v_not_b32_e32 v18, v21
	v_not_b32_e32 v21, v22
	v_ashrrev_i32_e32 v10, 31, v10
	v_cmp_gt_i32_e64 s2, 0, v22
	v_cmp_gt_i32_e64 s3, 0, v23
	v_not_b32_e32 v22, v23
	v_not_b32_e32 v23, v24
	v_dual_ashrrev_i32 v18, 31, v18 :: v_dual_bitop2_b32 v5, vcc_lo, v5 bitop3:0x14
	v_dual_ashrrev_i32 v21, 31, v21 :: v_dual_bitop2_b32 v10, s0, v10 bitop3:0x14
	v_cmp_gt_i32_e64 s4, 0, v24
	v_cmp_gt_i32_e64 s5, 0, v25
	v_not_b32_e32 v24, v25
	v_not_b32_e32 v25, v26
	v_dual_ashrrev_i32 v22, 31, v22 :: v_dual_ashrrev_i32 v23, 31, v23
	v_xor_b32_e32 v18, s1, v18
	v_xor_b32_e32 v21, s2, v21
	v_bitop3_b32 v5, v5, v10, exec_lo bitop3:0x80
	v_cmp_gt_i32_e64 s6, 0, v26
	v_dual_ashrrev_i32 v10, 31, v24 :: v_dual_ashrrev_i32 v24, 31, v25
	v_xor_b32_e32 v22, s3, v22
	v_dual_lshlrev_b32 v0, 2, v0 :: v_dual_bitop2_b32 v23, s4, v23 bitop3:0x14
	v_bitop3_b32 v5, v5, v21, v18 bitop3:0x80
	s_delay_alu instid0(VALU_DEP_4)
	v_xor_b32_e32 v18, s5, v10
	v_xor_b32_e32 v21, s6, v24
	v_mul_u32_u24_e32 v10, 36, v15
	ds_store_2addr_b32 v10, v11, v11 offset0:16 offset1:17
	ds_store_2addr_b32 v10, v11, v11 offset0:18 offset1:19
	;; [unrolled: 1-line block ×4, first 2 shown]
	v_bitop3_b32 v5, v5, v23, v22 bitop3:0x80
	ds_store_b32 v10, v11 offset:96
	v_mad_u32 v11, 0x44, v19, v0
	s_wait_storecnt 0x0
	s_wait_loadcnt_dscnt 0x0
	s_barrier_signal -1
	v_bitop3_b32 v18, v5, v21, v18 bitop3:0x80
	s_barrier_wait -1
	; wave barrier
	s_delay_alu instid0(VALU_DEP_1) | instskip(SKIP_1) | instid1(VALU_DEP_2)
	v_mbcnt_lo_u32_b32 v5, v18, 0
	v_cmp_ne_u32_e64 s0, 0, v18
	v_cmp_eq_u32_e32 vcc_lo, 0, v5
	s_and_b32 s1, s0, vcc_lo
	s_delay_alu instid0(SALU_CYCLE_1)
	s_and_saveexec_b32 s0, s1
; %bb.92:
	v_bcnt_u32_b32 v18, v18, 0
	ds_store_b32 v11, v18 offset:64
; %bb.93:
	s_or_b32 exec_lo, exec_lo, s0
	v_cmp_lt_i32_e32 vcc_lo, -1, v12
	; wave barrier
	v_cndmask_b32_e64 v18, -1, 0x80000000, vcc_lo
	s_delay_alu instid0(VALU_DEP_1) | instskip(NEXT) | instid1(VALU_DEP_1)
	v_xor_b32_e32 v18, v18, v12
	v_cmp_ne_u32_e32 vcc_lo, 0x7fffffff, v18
	v_cndmask_b32_e32 v12, 0x80000000, v18, vcc_lo
	s_delay_alu instid0(VALU_DEP_1) | instskip(NEXT) | instid1(VALU_DEP_1)
	v_lshrrev_b32_e32 v12, s20, v12
	v_bitop3_b32 v21, v12, 1, s8 bitop3:0x80
	v_and_b32_e32 v19, s8, v12
	s_delay_alu instid0(VALU_DEP_2) | instskip(NEXT) | instid1(VALU_DEP_1)
	v_add_co_u32 v21, s0, v21, -1
	v_cndmask_b32_e64 v22, 0, 1, s0
	s_delay_alu instid0(VALU_DEP_3) | instskip(NEXT) | instid1(VALU_DEP_2)
	v_lshlrev_b32_e32 v23, 30, v19
	v_cmp_ne_u32_e32 vcc_lo, 0, v22
	s_delay_alu instid0(VALU_DEP_2) | instskip(SKIP_1) | instid1(VALU_DEP_2)
	v_not_b32_e32 v22, v23
	v_cmp_gt_i32_e64 s0, 0, v23
	v_dual_ashrrev_i32 v22, 31, v22 :: v_dual_lshlrev_b32 v24, 29, v19
	v_dual_lshlrev_b32 v25, 28, v19 :: v_dual_lshlrev_b32 v26, 27, v19
	v_lshlrev_b32_e32 v27, 26, v19
	v_mad_u32 v12, 0x44, v19, v0
	s_delay_alu instid0(VALU_DEP_4)
	v_cmp_gt_i32_e64 s1, 0, v24
	v_not_b32_e32 v23, v24
	v_not_b32_e32 v24, v25
	v_dual_lshlrev_b32 v28, 25, v19 :: v_dual_lshlrev_b32 v19, 24, v19
	v_cmp_gt_i32_e64 s2, 0, v25
	v_cmp_gt_i32_e64 s3, 0, v26
	v_not_b32_e32 v25, v26
	v_not_b32_e32 v26, v27
	v_dual_ashrrev_i32 v23, 31, v23 :: v_dual_bitop2_b32 v21, vcc_lo, v21 bitop3:0x14
	v_dual_ashrrev_i32 v24, 31, v24 :: v_dual_bitop2_b32 v22, s0, v22 bitop3:0x14
	v_cmp_gt_i32_e64 s4, 0, v27
	v_not_b32_e32 v27, v28
	v_cmp_gt_i32_e64 s6, 0, v19
	v_not_b32_e32 v19, v19
	v_dual_ashrrev_i32 v25, 31, v25 :: v_dual_ashrrev_i32 v26, 31, v26
	v_xor_b32_e32 v23, s1, v23
	v_xor_b32_e32 v24, s2, v24
	v_bitop3_b32 v21, v21, v22, exec_lo bitop3:0x80
	v_cmp_gt_i32_e64 s5, 0, v28
	v_ashrrev_i32_e32 v22, 31, v27
	v_dual_ashrrev_i32 v19, 31, v19 :: v_dual_bitop2_b32 v25, s3, v25 bitop3:0x14
	v_xor_b32_e32 v26, s4, v26
	v_bitop3_b32 v21, v21, v24, v23 bitop3:0x80
	s_delay_alu instid0(VALU_DEP_4) | instskip(NEXT) | instid1(VALU_DEP_4)
	v_xor_b32_e32 v23, s5, v22
	v_xor_b32_e32 v19, s6, v19
	ds_load_b32 v22, v12 offset:64
	v_bitop3_b32 v21, v21, v26, v25 bitop3:0x80
	; wave barrier
	s_delay_alu instid0(VALU_DEP_1) | instskip(NEXT) | instid1(VALU_DEP_1)
	v_bitop3_b32 v19, v21, v19, v23 bitop3:0x80
	v_mbcnt_lo_u32_b32 v23, v19, 0
	v_cmp_ne_u32_e64 s0, 0, v19
	s_delay_alu instid0(VALU_DEP_2) | instskip(SKIP_1) | instid1(SALU_CYCLE_1)
	v_cmp_eq_u32_e32 vcc_lo, 0, v23
	s_and_b32 s1, s0, vcc_lo
	s_and_saveexec_b32 s0, s1
	s_cbranch_execz .LBB1424_95
; %bb.94:
	s_wait_dscnt 0x0
	v_bcnt_u32_b32 v19, v19, v22
	ds_store_b32 v12, v19 offset:64
.LBB1424_95:
	s_or_b32 exec_lo, exec_lo, s0
	v_cmp_lt_i32_e32 vcc_lo, -1, v13
	; wave barrier
	v_cndmask_b32_e64 v19, -1, 0x80000000, vcc_lo
	s_delay_alu instid0(VALU_DEP_1) | instskip(NEXT) | instid1(VALU_DEP_1)
	v_xor_b32_e32 v19, v19, v13
	v_cmp_ne_u32_e32 vcc_lo, 0x7fffffff, v19
	v_cndmask_b32_e32 v13, 0x80000000, v19, vcc_lo
	s_delay_alu instid0(VALU_DEP_1) | instskip(NEXT) | instid1(VALU_DEP_1)
	v_lshrrev_b32_e32 v13, s20, v13
	v_bitop3_b32 v24, v13, 1, s8 bitop3:0x80
	v_and_b32_e32 v21, s8, v13
	s_delay_alu instid0(VALU_DEP_2) | instskip(NEXT) | instid1(VALU_DEP_1)
	v_add_co_u32 v24, s0, v24, -1
	v_cndmask_b32_e64 v25, 0, 1, s0
	s_delay_alu instid0(VALU_DEP_3) | instskip(NEXT) | instid1(VALU_DEP_2)
	v_dual_lshlrev_b32 v26, 30, v21 :: v_dual_lshlrev_b32 v27, 29, v21
	v_cmp_ne_u32_e32 vcc_lo, 0, v25
	s_delay_alu instid0(VALU_DEP_2) | instskip(SKIP_1) | instid1(VALU_DEP_4)
	v_cmp_gt_i32_e64 s0, 0, v26
	v_not_b32_e32 v25, v26
	v_not_b32_e32 v26, v27
	s_delay_alu instid0(VALU_DEP_2) | instskip(NEXT) | instid1(VALU_DEP_2)
	v_dual_ashrrev_i32 v25, 31, v25 :: v_dual_bitop2_b32 v24, vcc_lo, v24 bitop3:0x14
	v_dual_ashrrev_i32 v26, 31, v26 :: v_dual_lshlrev_b32 v28, 28, v21
	v_dual_lshlrev_b32 v29, 27, v21 :: v_dual_lshlrev_b32 v30, 26, v21
	v_cmp_gt_i32_e64 s1, 0, v27
	v_mad_u32 v13, 0x44, v21, v0
	s_delay_alu instid0(VALU_DEP_4)
	v_not_b32_e32 v27, v28
	v_dual_lshlrev_b32 v31, 25, v21 :: v_dual_lshlrev_b32 v21, 24, v21
	v_cmp_gt_i32_e64 s2, 0, v28
	v_cmp_gt_i32_e64 s3, 0, v29
	v_not_b32_e32 v28, v29
	v_not_b32_e32 v29, v30
	v_dual_ashrrev_i32 v27, 31, v27 :: v_dual_bitop2_b32 v25, s0, v25 bitop3:0x14
	v_cmp_gt_i32_e64 s4, 0, v30
	v_not_b32_e32 v30, v31
	v_cmp_gt_i32_e64 s6, 0, v21
	v_not_b32_e32 v21, v21
	v_dual_ashrrev_i32 v28, 31, v28 :: v_dual_ashrrev_i32 v29, 31, v29
	v_xor_b32_e32 v26, s1, v26
	v_xor_b32_e32 v27, s2, v27
	v_bitop3_b32 v24, v24, v25, exec_lo bitop3:0x80
	v_cmp_gt_i32_e64 s5, 0, v31
	v_dual_ashrrev_i32 v25, 31, v30 :: v_dual_ashrrev_i32 v21, 31, v21
	v_xor_b32_e32 v28, s3, v28
	v_xor_b32_e32 v29, s4, v29
	v_bitop3_b32 v24, v24, v27, v26 bitop3:0x80
	s_delay_alu instid0(VALU_DEP_4) | instskip(SKIP_3) | instid1(VALU_DEP_1)
	v_xor_b32_e32 v26, s5, v25
	v_xor_b32_e32 v21, s6, v21
	ds_load_b32 v25, v13 offset:64
	v_bitop3_b32 v24, v24, v29, v28 bitop3:0x80
	; wave barrier
	v_bitop3_b32 v21, v24, v21, v26 bitop3:0x80
	s_delay_alu instid0(VALU_DEP_1) | instskip(SKIP_1) | instid1(VALU_DEP_2)
	v_mbcnt_lo_u32_b32 v26, v21, 0
	v_cmp_ne_u32_e64 s0, 0, v21
	v_cmp_eq_u32_e32 vcc_lo, 0, v26
	s_and_b32 s1, s0, vcc_lo
	s_delay_alu instid0(SALU_CYCLE_1)
	s_and_saveexec_b32 s0, s1
	s_cbranch_execz .LBB1424_97
; %bb.96:
	s_wait_dscnt 0x0
	v_bcnt_u32_b32 v21, v21, v25
	ds_store_b32 v13, v21 offset:64
.LBB1424_97:
	s_or_b32 exec_lo, exec_lo, s0
	v_cmp_lt_i32_e32 vcc_lo, -1, v20
	; wave barrier
	v_cndmask_b32_e64 v21, -1, 0x80000000, vcc_lo
	s_delay_alu instid0(VALU_DEP_1) | instskip(NEXT) | instid1(VALU_DEP_1)
	v_xor_b32_e32 v20, v21, v20
	v_cmp_ne_u32_e32 vcc_lo, 0x7fffffff, v20
	v_cndmask_b32_e32 v21, 0x80000000, v20, vcc_lo
	s_delay_alu instid0(VALU_DEP_1) | instskip(NEXT) | instid1(VALU_DEP_1)
	v_lshrrev_b32_e32 v21, s20, v21
	v_and_b32_e32 v24, s8, v21
	v_bitop3_b32 v21, v21, 1, s8 bitop3:0x80
	s_delay_alu instid0(VALU_DEP_2) | instskip(NEXT) | instid1(VALU_DEP_2)
	v_lshlrev_b32_e32 v28, 30, v24
	v_add_co_u32 v21, s0, v21, -1
	s_delay_alu instid0(VALU_DEP_1) | instskip(NEXT) | instid1(VALU_DEP_1)
	v_cndmask_b32_e64 v27, 0, 1, s0
	v_cmp_ne_u32_e32 vcc_lo, 0, v27
	s_delay_alu instid0(VALU_DEP_4) | instskip(NEXT) | instid1(VALU_DEP_1)
	v_not_b32_e32 v27, v28
	v_dual_ashrrev_i32 v27, 31, v27 :: v_dual_bitop2_b32 v21, vcc_lo, v21 bitop3:0x14
	v_dual_lshlrev_b32 v29, 29, v24 :: v_dual_lshlrev_b32 v30, 28, v24
	v_lshlrev_b32_e32 v31, 27, v24
	v_mad_u32 v33, 0x44, v24, v0
	v_dual_lshlrev_b32 v32, 26, v24 :: v_dual_lshlrev_b32 v34, 25, v24
	v_lshlrev_b32_e32 v24, 24, v24
	v_cmp_gt_i32_e64 s0, 0, v28
	v_cmp_gt_i32_e64 s1, 0, v29
	v_not_b32_e32 v28, v29
	v_not_b32_e32 v29, v30
	v_cmp_gt_i32_e64 s2, 0, v30
	v_cmp_gt_i32_e64 s3, 0, v31
	v_not_b32_e32 v30, v31
	v_not_b32_e32 v31, v32
	v_cmp_gt_i32_e64 s6, 0, v24
	v_not_b32_e32 v24, v24
	v_dual_ashrrev_i32 v28, 31, v28 :: v_dual_ashrrev_i32 v29, 31, v29
	v_xor_b32_e32 v27, s0, v27
	v_cmp_gt_i32_e64 s4, 0, v32
	v_not_b32_e32 v32, v34
	v_dual_ashrrev_i32 v30, 31, v30 :: v_dual_ashrrev_i32 v31, 31, v31
	v_xor_b32_e32 v28, s1, v28
	v_dual_ashrrev_i32 v24, 31, v24 :: v_dual_bitop2_b32 v29, s2, v29 bitop3:0x14
	v_bitop3_b32 v21, v21, v27, exec_lo bitop3:0x80
	v_cmp_gt_i32_e64 s5, 0, v34
	v_dual_ashrrev_i32 v27, 31, v32 :: v_dual_bitop2_b32 v30, s3, v30 bitop3:0x14
	v_xor_b32_e32 v31, s4, v31
	s_delay_alu instid0(VALU_DEP_4) | instskip(SKIP_1) | instid1(VALU_DEP_4)
	v_bitop3_b32 v21, v21, v29, v28 bitop3:0x80
	v_xor_b32_e32 v24, s6, v24
	v_xor_b32_e32 v27, s5, v27
	ds_load_b32 v28, v33 offset:64
	v_bitop3_b32 v21, v21, v31, v30 bitop3:0x80
	; wave barrier
	s_delay_alu instid0(VALU_DEP_1) | instskip(NEXT) | instid1(VALU_DEP_1)
	v_bitop3_b32 v21, v21, v24, v27 bitop3:0x80
	v_mbcnt_lo_u32_b32 v29, v21, 0
	v_cmp_ne_u32_e64 s0, 0, v21
	s_delay_alu instid0(VALU_DEP_2) | instskip(SKIP_1) | instid1(SALU_CYCLE_1)
	v_cmp_eq_u32_e32 vcc_lo, 0, v29
	s_and_b32 s1, s0, vcc_lo
	s_and_saveexec_b32 s0, s1
	s_cbranch_execz .LBB1424_99
; %bb.98:
	s_wait_dscnt 0x0
	v_bcnt_u32_b32 v21, v21, v28
	ds_store_b32 v33, v21 offset:64
.LBB1424_99:
	s_or_b32 exec_lo, exec_lo, s0
	v_cmp_lt_i32_e32 vcc_lo, -1, v9
	; wave barrier
	v_cndmask_b32_e64 v21, -1, 0x80000000, vcc_lo
	s_delay_alu instid0(VALU_DEP_1) | instskip(NEXT) | instid1(VALU_DEP_1)
	v_xor_b32_e32 v21, v21, v9
	v_cmp_ne_u32_e32 vcc_lo, 0x7fffffff, v21
	v_cndmask_b32_e32 v9, 0x80000000, v21, vcc_lo
	s_delay_alu instid0(VALU_DEP_1) | instskip(NEXT) | instid1(VALU_DEP_1)
	v_lshrrev_b32_e32 v9, s20, v9
	v_and_b32_e32 v24, s8, v9
	v_bitop3_b32 v9, v9, 1, s8 bitop3:0x80
	s_delay_alu instid0(VALU_DEP_2) | instskip(NEXT) | instid1(VALU_DEP_2)
	v_lshlrev_b32_e32 v30, 30, v24
	v_add_co_u32 v9, s0, v9, -1
	s_delay_alu instid0(VALU_DEP_1) | instskip(NEXT) | instid1(VALU_DEP_3)
	v_cndmask_b32_e64 v27, 0, 1, s0
	v_cmp_gt_i32_e64 s0, 0, v30
	s_delay_alu instid0(VALU_DEP_2) | instskip(SKIP_1) | instid1(VALU_DEP_1)
	v_cmp_ne_u32_e32 vcc_lo, 0, v27
	v_not_b32_e32 v27, v30
	v_dual_ashrrev_i32 v27, 31, v27 :: v_dual_lshlrev_b32 v31, 29, v24
	v_dual_lshlrev_b32 v32, 28, v24 :: v_dual_lshlrev_b32 v34, 27, v24
	v_lshlrev_b32_e32 v35, 26, v24
	v_mad_u32 v37, 0x44, v24, v0
	s_delay_alu instid0(VALU_DEP_4)
	v_cmp_gt_i32_e64 s1, 0, v31
	v_not_b32_e32 v30, v31
	v_not_b32_e32 v31, v32
	v_dual_lshlrev_b32 v36, 25, v24 :: v_dual_lshlrev_b32 v24, 24, v24
	v_cmp_gt_i32_e64 s2, 0, v32
	v_cmp_gt_i32_e64 s3, 0, v34
	v_not_b32_e32 v32, v34
	v_not_b32_e32 v34, v35
	v_dual_ashrrev_i32 v30, 31, v30 :: v_dual_bitop2_b32 v9, vcc_lo, v9 bitop3:0x14
	s_delay_alu instid0(VALU_DEP_3) | instskip(NEXT) | instid1(VALU_DEP_3)
	v_dual_ashrrev_i32 v31, 31, v31 :: v_dual_ashrrev_i32 v32, 31, v32
	v_dual_ashrrev_i32 v34, 31, v34 :: v_dual_bitop2_b32 v27, s0, v27 bitop3:0x14
	v_cmp_gt_i32_e64 s4, 0, v35
	v_not_b32_e32 v35, v36
	v_cmp_gt_i32_e64 s6, 0, v24
	v_not_b32_e32 v24, v24
	v_xor_b32_e32 v30, s1, v30
	v_xor_b32_e32 v31, s2, v31
	v_bitop3_b32 v9, v9, v27, exec_lo bitop3:0x80
	v_cmp_gt_i32_e64 s5, 0, v36
	v_dual_ashrrev_i32 v27, 31, v35 :: v_dual_ashrrev_i32 v24, 31, v24
	v_xor_b32_e32 v32, s3, v32
	v_xor_b32_e32 v34, s4, v34
	v_bitop3_b32 v9, v9, v31, v30 bitop3:0x80
	s_delay_alu instid0(VALU_DEP_4) | instskip(SKIP_3) | instid1(VALU_DEP_1)
	v_xor_b32_e32 v27, s5, v27
	v_xor_b32_e32 v24, s6, v24
	ds_load_b32 v31, v37 offset:64
	v_bitop3_b32 v9, v9, v34, v32 bitop3:0x80
	; wave barrier
	v_bitop3_b32 v9, v9, v24, v27 bitop3:0x80
	s_delay_alu instid0(VALU_DEP_1) | instskip(SKIP_1) | instid1(VALU_DEP_2)
	v_mbcnt_lo_u32_b32 v32, v9, 0
	v_cmp_ne_u32_e64 s0, 0, v9
	v_cmp_eq_u32_e32 vcc_lo, 0, v32
	s_and_b32 s1, s0, vcc_lo
	s_delay_alu instid0(SALU_CYCLE_1)
	s_and_saveexec_b32 s0, s1
	s_cbranch_execz .LBB1424_101
; %bb.100:
	s_wait_dscnt 0x0
	v_bcnt_u32_b32 v9, v9, v31
	ds_store_b32 v37, v9 offset:64
.LBB1424_101:
	s_or_b32 exec_lo, exec_lo, s0
	v_cmp_lt_i32_e32 vcc_lo, -1, v8
	; wave barrier
	v_cndmask_b32_e64 v9, -1, 0x80000000, vcc_lo
	s_delay_alu instid0(VALU_DEP_1) | instskip(NEXT) | instid1(VALU_DEP_1)
	v_xor_b32_e32 v24, v9, v8
	v_cmp_ne_u32_e32 vcc_lo, 0x7fffffff, v24
	v_cndmask_b32_e32 v8, 0x80000000, v24, vcc_lo
	s_delay_alu instid0(VALU_DEP_1) | instskip(NEXT) | instid1(VALU_DEP_1)
	v_lshrrev_b32_e32 v8, s20, v8
	v_and_b32_e32 v9, s8, v8
	v_bitop3_b32 v8, v8, 1, s8 bitop3:0x80
	s_delay_alu instid0(VALU_DEP_2) | instskip(NEXT) | instid1(VALU_DEP_2)
	v_lshlrev_b32_e32 v30, 30, v9
	v_add_co_u32 v8, s0, v8, -1
	s_delay_alu instid0(VALU_DEP_1) | instskip(NEXT) | instid1(VALU_DEP_1)
	v_cndmask_b32_e64 v27, 0, 1, s0
	v_cmp_ne_u32_e32 vcc_lo, 0, v27
	s_delay_alu instid0(VALU_DEP_4) | instskip(NEXT) | instid1(VALU_DEP_1)
	v_not_b32_e32 v27, v30
	v_dual_ashrrev_i32 v27, 31, v27 :: v_dual_lshlrev_b32 v34, 29, v9
	v_dual_lshlrev_b32 v35, 28, v9 :: v_dual_lshlrev_b32 v36, 27, v9
	v_lshlrev_b32_e32 v38, 26, v9
	v_cmp_gt_i32_e64 s0, 0, v30
	s_delay_alu instid0(VALU_DEP_4)
	v_cmp_gt_i32_e64 s1, 0, v34
	v_not_b32_e32 v30, v34
	v_not_b32_e32 v34, v35
	v_mad_u32 v41, 0x44, v9, v0
	v_dual_lshlrev_b32 v39, 25, v9 :: v_dual_lshlrev_b32 v9, 24, v9
	v_cmp_gt_i32_e64 s2, 0, v35
	v_cmp_gt_i32_e64 s3, 0, v36
	v_not_b32_e32 v35, v36
	v_not_b32_e32 v36, v38
	v_dual_ashrrev_i32 v30, 31, v30 :: v_dual_bitop2_b32 v8, vcc_lo, v8 bitop3:0x14
	v_dual_ashrrev_i32 v34, 31, v34 :: v_dual_bitop2_b32 v27, s0, v27 bitop3:0x14
	v_cmp_gt_i32_e64 s4, 0, v38
	v_not_b32_e32 v38, v39
	v_cmp_gt_i32_e64 s6, 0, v9
	v_not_b32_e32 v9, v9
	v_dual_ashrrev_i32 v35, 31, v35 :: v_dual_ashrrev_i32 v36, 31, v36
	v_xor_b32_e32 v30, s1, v30
	v_xor_b32_e32 v34, s2, v34
	v_bitop3_b32 v8, v8, v27, exec_lo bitop3:0x80
	v_cmp_gt_i32_e64 s5, 0, v39
	v_dual_ashrrev_i32 v27, 31, v38 :: v_dual_bitop2_b32 v35, s3, v35 bitop3:0x14
	v_dual_ashrrev_i32 v9, 31, v9 :: v_dual_bitop2_b32 v36, s4, v36 bitop3:0x14
	s_delay_alu instid0(VALU_DEP_4) | instskip(NEXT) | instid1(VALU_DEP_3)
	v_bitop3_b32 v8, v8, v34, v30 bitop3:0x80
	v_xor_b32_e32 v27, s5, v27
	s_delay_alu instid0(VALU_DEP_3) | instskip(NEXT) | instid1(VALU_DEP_3)
	v_xor_b32_e32 v9, s6, v9
	v_bitop3_b32 v8, v8, v36, v35 bitop3:0x80
	ds_load_b32 v35, v41 offset:64
	; wave barrier
	v_bitop3_b32 v8, v8, v9, v27 bitop3:0x80
	s_delay_alu instid0(VALU_DEP_1) | instskip(SKIP_1) | instid1(VALU_DEP_2)
	v_mbcnt_lo_u32_b32 v36, v8, 0
	v_cmp_ne_u32_e64 s0, 0, v8
	v_cmp_eq_u32_e32 vcc_lo, 0, v36
	s_and_b32 s1, s0, vcc_lo
	s_delay_alu instid0(SALU_CYCLE_1)
	s_and_saveexec_b32 s0, s1
	s_cbranch_execz .LBB1424_103
; %bb.102:
	s_wait_dscnt 0x0
	v_bcnt_u32_b32 v8, v8, v35
	ds_store_b32 v41, v8 offset:64
.LBB1424_103:
	s_or_b32 exec_lo, exec_lo, s0
	v_cmp_lt_i32_e32 vcc_lo, -1, v7
	; wave barrier
	v_cndmask_b32_e64 v8, -1, 0x80000000, vcc_lo
	s_delay_alu instid0(VALU_DEP_1) | instskip(NEXT) | instid1(VALU_DEP_1)
	v_xor_b32_e32 v27, v8, v7
	v_cmp_ne_u32_e32 vcc_lo, 0x7fffffff, v27
	v_cndmask_b32_e32 v7, 0x80000000, v27, vcc_lo
	s_delay_alu instid0(VALU_DEP_1) | instskip(NEXT) | instid1(VALU_DEP_1)
	v_lshrrev_b32_e32 v7, s20, v7
	v_and_b32_e32 v8, s8, v7
	v_bitop3_b32 v7, v7, 1, s8 bitop3:0x80
	s_delay_alu instid0(VALU_DEP_2) | instskip(NEXT) | instid1(VALU_DEP_2)
	v_lshlrev_b32_e32 v30, 30, v8
	v_add_co_u32 v7, s0, v7, -1
	s_delay_alu instid0(VALU_DEP_1) | instskip(NEXT) | instid1(VALU_DEP_3)
	v_cndmask_b32_e64 v9, 0, 1, s0
	v_cmp_gt_i32_e64 s0, 0, v30
	s_delay_alu instid0(VALU_DEP_2) | instskip(SKIP_1) | instid1(VALU_DEP_1)
	v_cmp_ne_u32_e32 vcc_lo, 0, v9
	v_not_b32_e32 v9, v30
	v_dual_ashrrev_i32 v9, 31, v9 :: v_dual_lshlrev_b32 v34, 29, v8
	v_dual_lshlrev_b32 v38, 28, v8 :: v_dual_lshlrev_b32 v39, 27, v8
	v_lshlrev_b32_e32 v40, 26, v8
	v_mad_u32 v44, 0x44, v8, v0
	s_delay_alu instid0(VALU_DEP_4)
	v_cmp_gt_i32_e64 s1, 0, v34
	v_not_b32_e32 v30, v34
	v_not_b32_e32 v34, v38
	v_dual_lshlrev_b32 v42, 25, v8 :: v_dual_lshlrev_b32 v8, 24, v8
	v_cmp_gt_i32_e64 s2, 0, v38
	v_cmp_gt_i32_e64 s3, 0, v39
	v_not_b32_e32 v38, v39
	v_not_b32_e32 v39, v40
	v_dual_ashrrev_i32 v30, 31, v30 :: v_dual_bitop2_b32 v7, vcc_lo, v7 bitop3:0x14
	v_dual_ashrrev_i32 v34, 31, v34 :: v_dual_bitop2_b32 v9, s0, v9 bitop3:0x14
	v_cmp_gt_i32_e64 s4, 0, v40
	v_not_b32_e32 v40, v42
	v_cmp_gt_i32_e64 s6, 0, v8
	v_not_b32_e32 v8, v8
	v_dual_ashrrev_i32 v38, 31, v38 :: v_dual_ashrrev_i32 v39, 31, v39
	v_xor_b32_e32 v30, s1, v30
	s_delay_alu instid0(VALU_DEP_3) | instskip(SKIP_4) | instid1(VALU_DEP_4)
	v_dual_ashrrev_i32 v8, 31, v8 :: v_dual_bitop2_b32 v34, s2, v34 bitop3:0x14
	v_bitop3_b32 v7, v7, v9, exec_lo bitop3:0x80
	v_cmp_gt_i32_e64 s5, 0, v42
	v_dual_ashrrev_i32 v9, 31, v40 :: v_dual_bitop2_b32 v38, s3, v38 bitop3:0x14
	v_xor_b32_e32 v39, s4, v39
	v_bitop3_b32 v7, v7, v34, v30 bitop3:0x80
	v_xor_b32_e32 v8, s6, v8
	s_delay_alu instid0(VALU_DEP_4) | instskip(NEXT) | instid1(VALU_DEP_3)
	v_xor_b32_e32 v9, s5, v9
	v_bitop3_b32 v7, v7, v39, v38 bitop3:0x80
	ds_load_b32 v39, v44 offset:64
	; wave barrier
	v_bitop3_b32 v7, v7, v8, v9 bitop3:0x80
	s_delay_alu instid0(VALU_DEP_1) | instskip(SKIP_1) | instid1(VALU_DEP_2)
	v_mbcnt_lo_u32_b32 v40, v7, 0
	v_cmp_ne_u32_e64 s0, 0, v7
	v_cmp_eq_u32_e32 vcc_lo, 0, v40
	s_and_b32 s1, s0, vcc_lo
	s_delay_alu instid0(SALU_CYCLE_1)
	s_and_saveexec_b32 s0, s1
	s_cbranch_execz .LBB1424_105
; %bb.104:
	s_wait_dscnt 0x0
	v_bcnt_u32_b32 v7, v7, v39
	ds_store_b32 v44, v7 offset:64
.LBB1424_105:
	s_or_b32 exec_lo, exec_lo, s0
	v_cmp_lt_i32_e32 vcc_lo, -1, v6
	; wave barrier
	v_cndmask_b32_e64 v7, -1, 0x80000000, vcc_lo
	s_delay_alu instid0(VALU_DEP_1) | instskip(NEXT) | instid1(VALU_DEP_1)
	v_xor_b32_e32 v30, v7, v6
	v_cmp_ne_u32_e32 vcc_lo, 0x7fffffff, v30
	v_cndmask_b32_e32 v6, 0x80000000, v30, vcc_lo
	s_delay_alu instid0(VALU_DEP_1) | instskip(NEXT) | instid1(VALU_DEP_1)
	v_lshrrev_b32_e32 v6, s20, v6
	v_and_b32_e32 v7, s8, v6
	v_bitop3_b32 v6, v6, 1, s8 bitop3:0x80
	s_delay_alu instid0(VALU_DEP_2) | instskip(NEXT) | instid1(VALU_DEP_2)
	v_lshlrev_b32_e32 v9, 30, v7
	v_add_co_u32 v6, s0, v6, -1
	s_delay_alu instid0(VALU_DEP_1) | instskip(NEXT) | instid1(VALU_DEP_3)
	v_cndmask_b32_e64 v8, 0, 1, s0
	v_cmp_gt_i32_e64 s0, 0, v9
	s_delay_alu instid0(VALU_DEP_2) | instskip(SKIP_1) | instid1(VALU_DEP_1)
	v_cmp_ne_u32_e32 vcc_lo, 0, v8
	v_not_b32_e32 v8, v9
	v_dual_ashrrev_i32 v8, 31, v8 :: v_dual_lshlrev_b32 v34, 29, v7
	v_dual_lshlrev_b32 v38, 28, v7 :: v_dual_lshlrev_b32 v42, 27, v7
	v_lshlrev_b32_e32 v43, 26, v7
	v_mad_u32 v48, 0x44, v7, v0
	s_delay_alu instid0(VALU_DEP_4)
	v_cmp_gt_i32_e64 s1, 0, v34
	v_not_b32_e32 v9, v34
	v_not_b32_e32 v34, v38
	v_dual_lshlrev_b32 v45, 25, v7 :: v_dual_lshlrev_b32 v7, 24, v7
	v_cmp_gt_i32_e64 s2, 0, v38
	v_cmp_gt_i32_e64 s3, 0, v42
	v_not_b32_e32 v38, v42
	v_not_b32_e32 v42, v43
	v_dual_ashrrev_i32 v9, 31, v9 :: v_dual_bitop2_b32 v6, vcc_lo, v6 bitop3:0x14
	v_dual_ashrrev_i32 v34, 31, v34 :: v_dual_bitop2_b32 v8, s0, v8 bitop3:0x14
	v_cmp_gt_i32_e64 s4, 0, v43
	v_not_b32_e32 v43, v45
	v_cmp_gt_i32_e64 s6, 0, v7
	v_not_b32_e32 v7, v7
	v_dual_ashrrev_i32 v38, 31, v38 :: v_dual_bitop2_b32 v9, s1, v9 bitop3:0x14
	v_ashrrev_i32_e32 v42, 31, v42
	s_delay_alu instid0(VALU_DEP_3) | instskip(SKIP_4) | instid1(VALU_DEP_4)
	v_dual_ashrrev_i32 v7, 31, v7 :: v_dual_bitop2_b32 v34, s2, v34 bitop3:0x14
	v_bitop3_b32 v6, v6, v8, exec_lo bitop3:0x80
	v_cmp_gt_i32_e64 s5, 0, v45
	v_dual_ashrrev_i32 v8, 31, v43 :: v_dual_bitop2_b32 v38, s3, v38 bitop3:0x14
	v_xor_b32_e32 v42, s4, v42
	v_bitop3_b32 v6, v6, v34, v9 bitop3:0x80
	v_xor_b32_e32 v7, s6, v7
	s_delay_alu instid0(VALU_DEP_4) | instskip(SKIP_2) | instid1(VALU_DEP_1)
	v_xor_b32_e32 v8, s5, v8
	ds_load_b32 v43, v48 offset:64
	v_bitop3_b32 v6, v6, v42, v38 bitop3:0x80
	; wave barrier
	v_bitop3_b32 v6, v6, v7, v8 bitop3:0x80
	s_delay_alu instid0(VALU_DEP_1) | instskip(SKIP_1) | instid1(VALU_DEP_2)
	v_mbcnt_lo_u32_b32 v45, v6, 0
	v_cmp_ne_u32_e64 s0, 0, v6
	v_cmp_eq_u32_e32 vcc_lo, 0, v45
	s_and_b32 s1, s0, vcc_lo
	s_delay_alu instid0(SALU_CYCLE_1)
	s_and_saveexec_b32 s0, s1
	s_cbranch_execz .LBB1424_107
; %bb.106:
	s_wait_dscnt 0x0
	v_bcnt_u32_b32 v6, v6, v43
	ds_store_b32 v48, v6 offset:64
.LBB1424_107:
	s_or_b32 exec_lo, exec_lo, s0
	v_cmp_lt_i32_e32 vcc_lo, -1, v4
	; wave barrier
	v_cndmask_b32_e64 v6, -1, 0x80000000, vcc_lo
	s_delay_alu instid0(VALU_DEP_1) | instskip(NEXT) | instid1(VALU_DEP_1)
	v_xor_b32_e32 v34, v6, v4
	v_cmp_ne_u32_e32 vcc_lo, 0x7fffffff, v34
	v_cndmask_b32_e32 v4, 0x80000000, v34, vcc_lo
	s_delay_alu instid0(VALU_DEP_1) | instskip(NEXT) | instid1(VALU_DEP_1)
	v_lshrrev_b32_e32 v4, s20, v4
	v_and_b32_e32 v6, s8, v4
	v_bitop3_b32 v4, v4, 1, s8 bitop3:0x80
	s_delay_alu instid0(VALU_DEP_2) | instskip(NEXT) | instid1(VALU_DEP_2)
	v_dual_lshlrev_b32 v8, 30, v6 :: v_dual_lshlrev_b32 v9, 29, v6
	v_add_co_u32 v4, s0, v4, -1
	s_delay_alu instid0(VALU_DEP_1) | instskip(SKIP_1) | instid1(VALU_DEP_4)
	v_cndmask_b32_e64 v7, 0, 1, s0
	v_lshlrev_b32_e32 v38, 28, v6
	v_cmp_gt_i32_e64 s0, 0, v8
	v_cmp_gt_i32_e64 s1, 0, v9
	s_delay_alu instid0(VALU_DEP_4) | instskip(SKIP_3) | instid1(VALU_DEP_3)
	v_cmp_ne_u32_e32 vcc_lo, 0, v7
	v_not_b32_e32 v7, v8
	v_not_b32_e32 v8, v9
	;; [unrolled: 1-line block ×3, first 2 shown]
	v_dual_ashrrev_i32 v7, 31, v7 :: v_dual_bitop2_b32 v4, vcc_lo, v4 bitop3:0x14
	s_delay_alu instid0(VALU_DEP_2)
	v_dual_ashrrev_i32 v8, 31, v8 :: v_dual_ashrrev_i32 v9, 31, v9
	v_dual_lshlrev_b32 v42, 27, v6 :: v_dual_lshlrev_b32 v46, 26, v6
	v_lshlrev_b32_e32 v47, 25, v6
	v_mad_u32 v51, 0x44, v6, v0
	v_lshlrev_b32_e32 v6, 24, v6
	v_cmp_gt_i32_e64 s2, 0, v38
	v_cmp_gt_i32_e64 s3, 0, v42
	v_not_b32_e32 v38, v42
	v_not_b32_e32 v42, v46
	v_xor_b32_e32 v7, s0, v7
	v_cmp_gt_i32_e64 s4, 0, v46
	v_not_b32_e32 v46, v47
	v_cmp_gt_i32_e64 s6, 0, v6
	v_not_b32_e32 v6, v6
	v_dual_ashrrev_i32 v38, 31, v38 :: v_dual_bitop2_b32 v8, s1, v8 bitop3:0x14
	v_dual_ashrrev_i32 v42, 31, v42 :: v_dual_bitop2_b32 v9, s2, v9 bitop3:0x14
	v_bitop3_b32 v4, v4, v7, exec_lo bitop3:0x80
	v_cmp_gt_i32_e64 s5, 0, v47
	v_ashrrev_i32_e32 v7, 31, v46
	v_ashrrev_i32_e32 v6, 31, v6
	v_xor_b32_e32 v38, s3, v38
	v_xor_b32_e32 v42, s4, v42
	v_bitop3_b32 v4, v4, v9, v8 bitop3:0x80
	v_xor_b32_e32 v7, s5, v7
	v_xor_b32_e32 v6, s6, v6
	ds_load_b32 v47, v51 offset:64
	v_bitop3_b32 v4, v4, v42, v38 bitop3:0x80
	; wave barrier
	s_delay_alu instid0(VALU_DEP_1) | instskip(NEXT) | instid1(VALU_DEP_1)
	v_bitop3_b32 v4, v4, v6, v7 bitop3:0x80
	v_mbcnt_lo_u32_b32 v49, v4, 0
	v_cmp_ne_u32_e64 s0, 0, v4
	s_delay_alu instid0(VALU_DEP_2) | instskip(SKIP_1) | instid1(SALU_CYCLE_1)
	v_cmp_eq_u32_e32 vcc_lo, 0, v49
	s_and_b32 s1, s0, vcc_lo
	s_and_saveexec_b32 s0, s1
	s_cbranch_execz .LBB1424_109
; %bb.108:
	s_wait_dscnt 0x0
	v_bcnt_u32_b32 v4, v4, v47
	ds_store_b32 v51, v4 offset:64
.LBB1424_109:
	s_or_b32 exec_lo, exec_lo, s0
	v_cmp_lt_i32_e32 vcc_lo, -1, v3
	; wave barrier
	v_cndmask_b32_e64 v4, -1, 0x80000000, vcc_lo
	s_delay_alu instid0(VALU_DEP_1) | instskip(NEXT) | instid1(VALU_DEP_1)
	v_xor_b32_e32 v38, v4, v3
	v_cmp_ne_u32_e32 vcc_lo, 0x7fffffff, v38
	v_cndmask_b32_e32 v3, 0x80000000, v38, vcc_lo
	s_delay_alu instid0(VALU_DEP_1) | instskip(NEXT) | instid1(VALU_DEP_1)
	v_lshrrev_b32_e32 v3, s20, v3
	v_and_b32_e32 v4, s8, v3
	v_bitop3_b32 v3, v3, 1, s8 bitop3:0x80
	s_delay_alu instid0(VALU_DEP_2) | instskip(NEXT) | instid1(VALU_DEP_2)
	v_lshlrev_b32_e32 v7, 30, v4
	v_add_co_u32 v3, s0, v3, -1
	s_delay_alu instid0(VALU_DEP_1) | instskip(NEXT) | instid1(VALU_DEP_1)
	v_cndmask_b32_e64 v6, 0, 1, s0
	v_cmp_ne_u32_e32 vcc_lo, 0, v6
	s_delay_alu instid0(VALU_DEP_4) | instskip(NEXT) | instid1(VALU_DEP_1)
	v_not_b32_e32 v6, v7
	v_dual_ashrrev_i32 v6, 31, v6 :: v_dual_lshlrev_b32 v8, 29, v4
	v_dual_lshlrev_b32 v9, 28, v4 :: v_dual_lshlrev_b32 v42, 27, v4
	v_lshlrev_b32_e32 v46, 26, v4
	v_cmp_gt_i32_e64 s0, 0, v7
	s_delay_alu instid0(VALU_DEP_4)
	v_cmp_gt_i32_e64 s1, 0, v8
	v_not_b32_e32 v7, v8
	v_not_b32_e32 v8, v9
	v_mad_u32 v53, 0x44, v4, v0
	v_dual_lshlrev_b32 v50, 25, v4 :: v_dual_lshlrev_b32 v4, 24, v4
	v_cmp_gt_i32_e64 s2, 0, v9
	v_cmp_gt_i32_e64 s3, 0, v42
	v_not_b32_e32 v9, v42
	v_not_b32_e32 v42, v46
	v_dual_ashrrev_i32 v8, 31, v8 :: v_dual_bitop2_b32 v3, vcc_lo, v3 bitop3:0x14
	v_dual_ashrrev_i32 v7, 31, v7 :: v_dual_bitop2_b32 v6, s0, v6 bitop3:0x14
	v_cmp_gt_i32_e64 s4, 0, v46
	v_not_b32_e32 v46, v50
	v_cmp_gt_i32_e64 s6, 0, v4
	v_not_b32_e32 v4, v4
	v_dual_ashrrev_i32 v9, 31, v9 :: v_dual_ashrrev_i32 v42, 31, v42
	v_xor_b32_e32 v7, s1, v7
	v_xor_b32_e32 v8, s2, v8
	v_bitop3_b32 v3, v3, v6, exec_lo bitop3:0x80
	v_cmp_gt_i32_e64 s5, 0, v50
	v_dual_ashrrev_i32 v6, 31, v46 :: v_dual_ashrrev_i32 v4, 31, v4
	v_xor_b32_e32 v9, s3, v9
	v_xor_b32_e32 v42, s4, v42
	v_bitop3_b32 v3, v3, v8, v7 bitop3:0x80
	s_delay_alu instid0(VALU_DEP_4) | instskip(SKIP_3) | instid1(VALU_DEP_1)
	v_xor_b32_e32 v6, s5, v6
	v_xor_b32_e32 v4, s6, v4
	ds_load_b32 v50, v53 offset:64
	v_bitop3_b32 v3, v3, v42, v9 bitop3:0x80
	; wave barrier
	v_bitop3_b32 v3, v3, v4, v6 bitop3:0x80
	s_delay_alu instid0(VALU_DEP_1) | instskip(SKIP_1) | instid1(VALU_DEP_2)
	v_mbcnt_lo_u32_b32 v52, v3, 0
	v_cmp_ne_u32_e64 s0, 0, v3
	v_cmp_eq_u32_e32 vcc_lo, 0, v52
	s_and_b32 s1, s0, vcc_lo
	s_delay_alu instid0(SALU_CYCLE_1)
	s_and_saveexec_b32 s0, s1
	s_cbranch_execz .LBB1424_111
; %bb.110:
	s_wait_dscnt 0x0
	v_bcnt_u32_b32 v3, v3, v50
	ds_store_b32 v53, v3 offset:64
.LBB1424_111:
	s_or_b32 exec_lo, exec_lo, s0
	v_cmp_lt_i32_e32 vcc_lo, -1, v2
	; wave barrier
	v_cndmask_b32_e64 v3, -1, 0x80000000, vcc_lo
	s_delay_alu instid0(VALU_DEP_1) | instskip(NEXT) | instid1(VALU_DEP_1)
	v_xor_b32_e32 v42, v3, v2
	v_cmp_ne_u32_e32 vcc_lo, 0x7fffffff, v42
	v_cndmask_b32_e32 v2, 0x80000000, v42, vcc_lo
	s_delay_alu instid0(VALU_DEP_1) | instskip(NEXT) | instid1(VALU_DEP_1)
	v_lshrrev_b32_e32 v2, s20, v2
	v_and_b32_e32 v3, s8, v2
	v_bitop3_b32 v2, v2, 1, s8 bitop3:0x80
	s_delay_alu instid0(VALU_DEP_2) | instskip(NEXT) | instid1(VALU_DEP_2)
	v_lshlrev_b32_e32 v6, 30, v3
	v_add_co_u32 v2, s0, v2, -1
	s_delay_alu instid0(VALU_DEP_1) | instskip(NEXT) | instid1(VALU_DEP_1)
	v_cndmask_b32_e64 v4, 0, 1, s0
	v_cmp_ne_u32_e32 vcc_lo, 0, v4
	s_delay_alu instid0(VALU_DEP_4) | instskip(NEXT) | instid1(VALU_DEP_1)
	v_not_b32_e32 v4, v6
	v_dual_ashrrev_i32 v4, 31, v4 :: v_dual_lshlrev_b32 v7, 29, v3
	v_dual_lshlrev_b32 v8, 28, v3 :: v_dual_lshlrev_b32 v9, 27, v3
	v_lshlrev_b32_e32 v46, 26, v3
	v_cmp_gt_i32_e64 s0, 0, v6
	s_delay_alu instid0(VALU_DEP_4)
	v_cmp_gt_i32_e64 s1, 0, v7
	v_not_b32_e32 v6, v7
	v_not_b32_e32 v7, v8
	v_mad_u32 v56, 0x44, v3, v0
	v_dual_lshlrev_b32 v54, 25, v3 :: v_dual_lshlrev_b32 v3, 24, v3
	v_cmp_gt_i32_e64 s2, 0, v8
	v_cmp_gt_i32_e64 s3, 0, v9
	v_not_b32_e32 v8, v9
	v_not_b32_e32 v9, v46
	v_dual_ashrrev_i32 v7, 31, v7 :: v_dual_bitop2_b32 v2, vcc_lo, v2 bitop3:0x14
	v_dual_ashrrev_i32 v6, 31, v6 :: v_dual_bitop2_b32 v4, s0, v4 bitop3:0x14
	v_cmp_gt_i32_e64 s4, 0, v46
	v_not_b32_e32 v46, v54
	v_cmp_gt_i32_e64 s6, 0, v3
	v_not_b32_e32 v3, v3
	v_dual_ashrrev_i32 v8, 31, v8 :: v_dual_ashrrev_i32 v9, 31, v9
	v_xor_b32_e32 v6, s1, v6
	v_xor_b32_e32 v7, s2, v7
	v_bitop3_b32 v2, v2, v4, exec_lo bitop3:0x80
	v_cmp_gt_i32_e64 s5, 0, v54
	v_dual_ashrrev_i32 v4, 31, v46 :: v_dual_ashrrev_i32 v3, 31, v3
	v_xor_b32_e32 v8, s3, v8
	v_xor_b32_e32 v9, s4, v9
	v_bitop3_b32 v2, v2, v7, v6 bitop3:0x80
	s_delay_alu instid0(VALU_DEP_4) | instskip(SKIP_3) | instid1(VALU_DEP_1)
	v_xor_b32_e32 v4, s5, v4
	v_xor_b32_e32 v3, s6, v3
	ds_load_b32 v54, v56 offset:64
	v_bitop3_b32 v2, v2, v9, v8 bitop3:0x80
	; wave barrier
	v_bitop3_b32 v2, v2, v3, v4 bitop3:0x80
	s_delay_alu instid0(VALU_DEP_1) | instskip(SKIP_1) | instid1(VALU_DEP_2)
	v_mbcnt_lo_u32_b32 v55, v2, 0
	v_cmp_ne_u32_e64 s0, 0, v2
	v_cmp_eq_u32_e32 vcc_lo, 0, v55
	s_and_b32 s1, s0, vcc_lo
	s_delay_alu instid0(SALU_CYCLE_1)
	s_and_saveexec_b32 s0, s1
	s_cbranch_execz .LBB1424_113
; %bb.112:
	s_wait_dscnt 0x0
	v_bcnt_u32_b32 v2, v2, v54
	ds_store_b32 v56, v2 offset:64
.LBB1424_113:
	s_or_b32 exec_lo, exec_lo, s0
	v_cmp_lt_i32_e32 vcc_lo, -1, v1
	; wave barrier
	v_cndmask_b32_e64 v2, -1, 0x80000000, vcc_lo
	s_delay_alu instid0(VALU_DEP_1) | instskip(NEXT) | instid1(VALU_DEP_1)
	v_xor_b32_e32 v46, v2, v1
	v_cmp_ne_u32_e32 vcc_lo, 0x7fffffff, v46
	v_cndmask_b32_e32 v1, 0x80000000, v46, vcc_lo
	s_delay_alu instid0(VALU_DEP_1) | instskip(NEXT) | instid1(VALU_DEP_1)
	v_lshrrev_b32_e32 v1, s20, v1
	v_and_b32_e32 v2, s8, v1
	v_bitop3_b32 v1, v1, 1, s8 bitop3:0x80
	s_delay_alu instid0(VALU_DEP_2) | instskip(NEXT) | instid1(VALU_DEP_2)
	v_mad_u32 v59, 0x44, v2, v0
	v_add_co_u32 v0, s0, v1, -1
	s_delay_alu instid0(VALU_DEP_1) | instskip(SKIP_1) | instid1(VALU_DEP_2)
	v_cndmask_b32_e64 v1, 0, 1, s0
	v_lshlrev_b32_e32 v3, 30, v2
	v_cmp_ne_u32_e32 vcc_lo, 0, v1
	s_delay_alu instid0(VALU_DEP_2)
	v_not_b32_e32 v1, v3
	ds_load_b32 v57, v59 offset:64
	v_dual_ashrrev_i32 v1, 31, v1 :: v_dual_bitop2_b32 v0, vcc_lo, v0 bitop3:0x14
	v_dual_lshlrev_b32 v4, 29, v2 :: v_dual_lshlrev_b32 v6, 28, v2
	v_dual_lshlrev_b32 v7, 27, v2 :: v_dual_lshlrev_b32 v8, 26, v2
	v_lshlrev_b32_e32 v9, 25, v2
	v_cmp_gt_i32_e64 s0, 0, v3
	s_delay_alu instid0(VALU_DEP_4)
	v_cmp_gt_i32_e64 s1, 0, v4
	v_not_b32_e32 v3, v4
	v_not_b32_e32 v4, v6
	v_lshlrev_b32_e32 v2, 24, v2
	v_cmp_gt_i32_e64 s2, 0, v6
	v_cmp_gt_i32_e64 s3, 0, v7
	v_not_b32_e32 v6, v7
	v_not_b32_e32 v7, v8
	v_dual_ashrrev_i32 v3, 31, v3 :: v_dual_bitop2_b32 v1, s0, v1 bitop3:0x14
	v_ashrrev_i32_e32 v4, 31, v4
	v_cmp_gt_i32_e64 s4, 0, v8
	v_not_b32_e32 v8, v9
	v_cmp_gt_i32_e64 s6, 0, v2
	v_not_b32_e32 v2, v2
	v_dual_ashrrev_i32 v6, 31, v6 :: v_dual_ashrrev_i32 v7, 31, v7
	v_xor_b32_e32 v3, s1, v3
	s_delay_alu instid0(VALU_DEP_3) | instskip(SKIP_4) | instid1(VALU_DEP_4)
	v_dual_ashrrev_i32 v2, 31, v2 :: v_dual_bitop2_b32 v4, s2, v4 bitop3:0x14
	v_bitop3_b32 v0, v0, v1, exec_lo bitop3:0x80
	v_cmp_gt_i32_e64 s5, 0, v9
	v_dual_ashrrev_i32 v1, 31, v8 :: v_dual_bitop2_b32 v6, s3, v6 bitop3:0x14
	v_xor_b32_e32 v7, s4, v7
	v_bitop3_b32 v0, v0, v4, v3 bitop3:0x80
	v_xor_b32_e32 v2, s6, v2
	s_delay_alu instid0(VALU_DEP_4) | instskip(NEXT) | instid1(VALU_DEP_3)
	v_xor_b32_e32 v1, s5, v1
	; wave barrier
	v_bitop3_b32 v0, v0, v7, v6 bitop3:0x80
	s_delay_alu instid0(VALU_DEP_1) | instskip(NEXT) | instid1(VALU_DEP_1)
	v_bitop3_b32 v0, v0, v2, v1 bitop3:0x80
	v_mbcnt_lo_u32_b32 v58, v0, 0
	v_cmp_ne_u32_e64 s0, 0, v0
	s_delay_alu instid0(VALU_DEP_2) | instskip(SKIP_1) | instid1(SALU_CYCLE_1)
	v_cmp_eq_u32_e32 vcc_lo, 0, v58
	s_and_b32 s1, s0, vcc_lo
	s_and_saveexec_b32 s0, s1
	s_cbranch_execz .LBB1424_115
; %bb.114:
	s_wait_dscnt 0x0
	v_bcnt_u32_b32 v0, v0, v57
	ds_store_b32 v59, v0 offset:64
.LBB1424_115:
	s_or_b32 exec_lo, exec_lo, s0
	; wave barrier
	s_wait_dscnt 0x0
	s_barrier_signal -1
	s_barrier_wait -1
	ds_load_2addr_b32 v[8:9], v10 offset0:16 offset1:17
	ds_load_2addr_b32 v[6:7], v10 offset0:18 offset1:19
	;; [unrolled: 1-line block ×4, first 2 shown]
	ds_load_b32 v4, v10 offset:96
	v_min_u32_e32 v17, 0x1e0, v17
	s_mov_b32 s4, exec_lo
	s_delay_alu instid0(VALU_DEP_1) | instskip(SKIP_3) | instid1(VALU_DEP_1)
	v_or_b32_e32 v62, 31, v17
	s_wait_dscnt 0x3
	v_add3_u32 v60, v9, v8, v6
	s_wait_dscnt 0x2
	v_add3_u32 v60, v60, v7, v2
	s_wait_dscnt 0x1
	s_delay_alu instid0(VALU_DEP_1) | instskip(SKIP_1) | instid1(VALU_DEP_1)
	v_add3_u32 v60, v60, v3, v0
	s_wait_dscnt 0x0
	v_add3_u32 v4, v60, v1, v4
	v_and_b32_e32 v60, 15, v16
	s_delay_alu instid0(VALU_DEP_2) | instskip(NEXT) | instid1(VALU_DEP_2)
	v_mov_b32_dpp v61, v4 row_shr:1 row_mask:0xf bank_mask:0xf
	v_cmp_eq_u32_e32 vcc_lo, 0, v60
	v_cmp_lt_u32_e64 s0, 1, v60
	s_delay_alu instid0(VALU_DEP_3) | instskip(NEXT) | instid1(VALU_DEP_1)
	v_cndmask_b32_e64 v61, v61, 0, vcc_lo
	v_add_nc_u32_e32 v4, v61, v4
	s_delay_alu instid0(VALU_DEP_1) | instskip(NEXT) | instid1(VALU_DEP_1)
	v_mov_b32_dpp v61, v4 row_shr:2 row_mask:0xf bank_mask:0xf
	v_cndmask_b32_e64 v61, 0, v61, s0
	v_cmp_lt_u32_e64 s2, 7, v60
	v_cmp_lt_u32_e64 s1, 3, v60
	s_delay_alu instid0(VALU_DEP_3) | instskip(NEXT) | instid1(VALU_DEP_1)
	v_add_nc_u32_e32 v4, v4, v61
	v_mov_b32_dpp v61, v4 row_shr:4 row_mask:0xf bank_mask:0xf
	s_delay_alu instid0(VALU_DEP_1) | instskip(NEXT) | instid1(VALU_DEP_1)
	v_cndmask_b32_e64 v61, 0, v61, s1
	v_add_nc_u32_e32 v4, v4, v61
	s_delay_alu instid0(VALU_DEP_1) | instskip(NEXT) | instid1(VALU_DEP_1)
	v_mov_b32_dpp v61, v4 row_shr:8 row_mask:0xf bank_mask:0xf
	v_cndmask_b32_e64 v60, 0, v61, s2
	v_bfe_i32 v61, v16, 4, 1
	s_delay_alu instid0(VALU_DEP_2) | instskip(SKIP_3) | instid1(VALU_DEP_1)
	v_add_nc_u32_e32 v4, v4, v60
	ds_swizzle_b32 v60, v4 offset:swizzle(BROADCAST,32,15)
	s_wait_dscnt 0x0
	v_dual_lshrrev_b32 v60, 5, v15 :: v_dual_bitop2_b32 v61, v61, v60 bitop3:0x40
	v_add_nc_u32_e32 v17, v4, v61
	v_cmpx_eq_u32_e64 v15, v62
; %bb.116:
	s_delay_alu instid0(VALU_DEP_3)
	v_lshlrev_b32_e32 v4, 2, v60
	ds_store_b32 v4, v17
; %bb.117:
	s_or_b32 exec_lo, exec_lo, s4
	v_lshlrev_b32_e32 v4, 2, v15
	s_mov_b32 s4, exec_lo
	s_wait_dscnt 0x0
	s_barrier_signal -1
	s_barrier_wait -1
	v_cmpx_gt_u32_e32 16, v15
	s_cbranch_execz .LBB1424_119
; %bb.118:
	ds_load_b32 v61, v4
	s_wait_dscnt 0x0
	v_mov_b32_dpp v62, v61 row_shr:1 row_mask:0xf bank_mask:0xf
	s_delay_alu instid0(VALU_DEP_1) | instskip(NEXT) | instid1(VALU_DEP_1)
	v_cndmask_b32_e64 v62, v62, 0, vcc_lo
	v_add_nc_u32_e32 v61, v62, v61
	s_delay_alu instid0(VALU_DEP_1) | instskip(NEXT) | instid1(VALU_DEP_1)
	v_mov_b32_dpp v62, v61 row_shr:2 row_mask:0xf bank_mask:0xf
	v_cndmask_b32_e64 v62, 0, v62, s0
	s_delay_alu instid0(VALU_DEP_1) | instskip(NEXT) | instid1(VALU_DEP_1)
	v_add_nc_u32_e32 v61, v61, v62
	v_mov_b32_dpp v62, v61 row_shr:4 row_mask:0xf bank_mask:0xf
	s_delay_alu instid0(VALU_DEP_1) | instskip(NEXT) | instid1(VALU_DEP_1)
	v_cndmask_b32_e64 v62, 0, v62, s1
	v_add_nc_u32_e32 v61, v61, v62
	s_delay_alu instid0(VALU_DEP_1) | instskip(NEXT) | instid1(VALU_DEP_1)
	v_mov_b32_dpp v62, v61 row_shr:8 row_mask:0xf bank_mask:0xf
	v_cndmask_b32_e64 v62, 0, v62, s2
	s_delay_alu instid0(VALU_DEP_1)
	v_add_nc_u32_e32 v61, v61, v62
	ds_store_b32 v4, v61
.LBB1424_119:
	s_or_b32 exec_lo, exec_lo, s4
	v_mov_b32_e32 v61, 0
	s_mov_b32 s0, exec_lo
	s_wait_dscnt 0x0
	s_barrier_signal -1
	s_barrier_wait -1
	v_cmpx_lt_u32_e32 31, v15
; %bb.120:
	v_lshl_add_u32 v60, v60, 2, -4
	ds_load_b32 v61, v60
; %bb.121:
	s_or_b32 exec_lo, exec_lo, s0
	v_sub_co_u32 v60, vcc_lo, v16, 1
	s_wait_dscnt 0x0
	v_add_nc_u32_e32 v17, v61, v17
	s_delay_alu instid0(VALU_DEP_2) | instskip(NEXT) | instid1(VALU_DEP_1)
	v_cmp_gt_i32_e64 s0, 0, v60
	v_cndmask_b32_e64 v16, v60, v16, s0
	v_cmp_lt_u32_e64 s0, 0xff, v15
	s_delay_alu instid0(VALU_DEP_2) | instskip(SKIP_4) | instid1(VALU_DEP_2)
	v_lshlrev_b32_e32 v16, 2, v16
	ds_bpermute_b32 v16, v16, v17
	s_wait_dscnt 0x0
	v_cndmask_b32_e32 v16, v16, v61, vcc_lo
	v_cmp_ne_u32_e32 vcc_lo, 0, v15
	v_cndmask_b32_e32 v16, 0, v16, vcc_lo
	v_cmp_gt_u32_e32 vcc_lo, 0x100, v15
	s_delay_alu instid0(VALU_DEP_2) | instskip(NEXT) | instid1(VALU_DEP_1)
	v_add_nc_u32_e32 v8, v16, v8
	v_add_nc_u32_e32 v9, v8, v9
	s_delay_alu instid0(VALU_DEP_1) | instskip(NEXT) | instid1(VALU_DEP_1)
	v_add_nc_u32_e32 v6, v9, v6
	v_add_nc_u32_e32 v7, v6, v7
	s_delay_alu instid0(VALU_DEP_1) | instskip(NEXT) | instid1(VALU_DEP_1)
	;; [unrolled: 3-line block ×3, first 2 shown]
	v_add_nc_u32_e32 v0, v3, v0
	v_add_nc_u32_e32 v1, v0, v1
	ds_store_2addr_b32 v10, v16, v8 offset0:16 offset1:17
	ds_store_2addr_b32 v10, v9, v6 offset0:18 offset1:19
	;; [unrolled: 1-line block ×4, first 2 shown]
	ds_store_b32 v10, v1 offset:96
	s_wait_dscnt 0x0
	s_barrier_signal -1
	s_barrier_wait -1
	ds_load_b32 v62, v11 offset:64
	ds_load_b32 v60, v12 offset:64
	;; [unrolled: 1-line block ×12, first 2 shown]
	v_mov_b64_e32 v[0:1], 0
                                        ; implicit-def: $vgpr2
	s_and_saveexec_b32 s2, vcc_lo
	s_cbranch_execz .LBB1424_125
; %bb.122:
	v_mul_u32_u24_e32 v0, 0x44, v15
	v_dual_mov_b32 v1, 0x1800 :: v_dual_add_nc_u32 v2, 1, v15
	s_mov_b32 s3, exec_lo
	ds_load_b32 v0, v0 offset:64
	v_cmpx_ne_u32_e32 0x100, v2
; %bb.123:
	v_mul_u32_u24_e32 v1, 0x44, v2
	ds_load_b32 v1, v1 offset:64
; %bb.124:
	s_or_b32 exec_lo, exec_lo, s3
	s_wait_dscnt 0x0
	v_dual_mov_b32 v1, 0 :: v_dual_sub_nc_u32 v2, v1, v0
.LBB1424_125:
	s_or_b32 exec_lo, exec_lo, s2
	v_dual_mov_b32 v7, 0 :: v_dual_lshlrev_b32 v3, 3, v15
	s_wait_dscnt 0x0
	s_barrier_signal -1
	s_barrier_wait -1
	s_and_saveexec_b32 s1, vcc_lo
	s_cbranch_execz .LBB1424_135
; %bb.126:
	v_lshl_add_u32 v6, s9, 8, v15
	v_dual_mov_b32 v10, 0 :: v_dual_bitop2_b32 v11, 2.0, v2 bitop3:0x54
	s_mov_b32 s2, 0
	s_mov_b32 s3, s9
	s_delay_alu instid0(VALU_DEP_2)
	v_lshl_add_u64 v[8:9], v[6:7], 2, s[10:11]
	global_store_b32 v6, v11, s[10:11] scale_offset scope:SCOPE_DEV
                                        ; implicit-def: $sgpr4
	s_branch .LBB1424_129
.LBB1424_127:                           ;   in Loop: Header=BB1424_129 Depth=1
	s_or_b32 exec_lo, exec_lo, s5
.LBB1424_128:                           ;   in Loop: Header=BB1424_129 Depth=1
	s_delay_alu instid0(SALU_CYCLE_1) | instskip(SKIP_2) | instid1(VALU_DEP_2)
	s_or_b32 exec_lo, exec_lo, s4
	v_and_b32_e32 v6, 0x3fffffff, v11
	v_cmp_gt_i32_e64 s4, -2.0, v11
	v_add_nc_u32_e32 v10, v6, v10
	s_and_b32 s5, exec_lo, s4
	s_delay_alu instid0(SALU_CYCLE_1) | instskip(NEXT) | instid1(SALU_CYCLE_1)
	s_or_b32 s2, s5, s2
	s_and_not1_b32 exec_lo, exec_lo, s2
	s_cbranch_execz .LBB1424_134
.LBB1424_129:                           ; =>This Loop Header: Depth=1
                                        ;     Child Loop BB1424_132 Depth 2
	s_or_b32 s4, s4, exec_lo
	s_cmp_eq_u32 s3, 0
	s_cbranch_scc1 .LBB1424_133
; %bb.130:                              ;   in Loop: Header=BB1424_129 Depth=1
	s_add_co_i32 s3, s3, -1
	s_mov_b32 s4, exec_lo
	s_wait_xcnt 0x0
	v_lshl_or_b32 v6, s3, 8, v15
	global_load_b32 v11, v6, s[10:11] scale_offset scope:SCOPE_DEV
	s_wait_loadcnt 0x0
	v_cmpx_gt_u32_e32 2.0, v11
	s_cbranch_execz .LBB1424_128
; %bb.131:                              ;   in Loop: Header=BB1424_129 Depth=1
	v_lshl_add_u64 v[12:13], v[6:7], 2, s[10:11]
	s_mov_b32 s5, 0
.LBB1424_132:                           ;   Parent Loop BB1424_129 Depth=1
                                        ; =>  This Inner Loop Header: Depth=2
	global_load_b32 v11, v[12:13], off scope:SCOPE_DEV
	s_wait_loadcnt 0x0
	v_cmp_lt_u32_e32 vcc_lo, 0x3fffffff, v11
	s_or_b32 s5, vcc_lo, s5
	s_wait_xcnt 0x0
	s_and_not1_b32 exec_lo, exec_lo, s5
	s_cbranch_execnz .LBB1424_132
	s_branch .LBB1424_127
.LBB1424_133:                           ;   in Loop: Header=BB1424_129 Depth=1
                                        ; implicit-def: $sgpr3
	s_and_b32 s5, exec_lo, s4
	s_delay_alu instid0(SALU_CYCLE_1)
	s_or_b32 s2, s5, s2
	s_wait_xcnt 0x0
	s_and_not1_b32 exec_lo, exec_lo, s2
	s_cbranch_execnz .LBB1424_129
.LBB1424_134:
	s_or_b32 exec_lo, exec_lo, s2
	v_dual_mov_b32 v11, 0 :: v_dual_add_nc_u32 v6, v10, v2
	s_delay_alu instid0(VALU_DEP_1) | instskip(SKIP_4) | instid1(VALU_DEP_1)
	v_or_b32_e32 v6, 0x80000000, v6
	global_store_b32 v[8:9], v6, off scope:SCOPE_DEV
	global_load_b64 v[6:7], v15, s[12:13] scale_offset
	v_sub_nc_u64_e32 v[8:9], v[10:11], v[0:1]
	s_wait_loadcnt 0x0
	v_add_nc_u64_e32 v[6:7], v[8:9], v[6:7]
	ds_store_b64 v3, v[6:7]
.LBB1424_135:
	s_wait_xcnt 0x0
	s_or_b32 exec_lo, exec_lo, s1
	v_dual_add_nc_u32 v6, v62, v5 :: v_dual_sub_nc_u32 v56, 0, v4
	v_mov_b32_e32 v5, 0
	v_add3_u32 v22, v23, v60, v22
	v_add3_u32 v7, v58, v53, v57
	;; [unrolled: 1-line block ×3, first 2 shown]
	v_add_nc_u32_e32 v23, v3, v56
	v_add_nc_u64_e32 v[4:5], s[18:19], v[4:5]
	v_add3_u32 v9, v52, v48, v50
	v_add3_u32 v10, v49, v44, v47
	;; [unrolled: 1-line block ×6, first 2 shown]
	v_add_nc_u64_e32 v[4:5], 0x2000, v[4:5]
	v_add3_u32 v17, v29, v17, v28
	v_add3_u32 v25, v26, v61, v25
	v_mov_b32_e32 v26, v15
	s_mov_b32 s1, 0
	s_mov_b32 s2, -1
	s_branch .LBB1424_137
.LBB1424_136:                           ;   in Loop: Header=BB1424_137 Depth=1
	s_wait_xcnt 0x0
	s_or_b32 exec_lo, exec_lo, s3
	v_add_nc_u64_e32 v[4:5], 0x4000, v[4:5]
	v_add_nc_u32_e32 v26, 0x1000, v26
	s_xor_b32 s2, s2, -1
	s_addk_co_i32 s1, 0xf000
	s_and_b32 vcc_lo, exec_lo, s2
	s_mov_b32 s2, 0
	s_wait_storecnt 0x0
	s_barrier_signal -1
	s_barrier_wait -1
	s_cbranch_vccnz .LBB1424_147
.LBB1424_137:                           ; =>This Inner Loop Header: Depth=1
	v_add_min_u32_e64 v28, v6, s1, 0x1000
	v_add_min_u32_e64 v29, v22, s1, 0x1000
	;; [unrolled: 1-line block ×5, first 2 shown]
	s_delay_alu instid0(VALU_DEP_4)
	v_dual_lshlrev_b32 v28, 2, v28 :: v_dual_lshlrev_b32 v29, 2, v29
	v_add_min_u32_e64 v35, v13, s1, 0x1000
	v_add_min_u32_e64 v36, v12, s1, 0x1000
	s_mov_b32 s3, exec_lo
	ds_store_b32 v28, v14 offset:2048
	ds_store_b32 v29, v18 offset:2048
	v_dual_lshlrev_b32 v28, 2, v31 :: v_dual_lshlrev_b32 v29, 2, v32
	v_dual_lshlrev_b32 v31, 2, v33 :: v_dual_lshlrev_b32 v32, 2, v35
	v_lshlrev_b32_e32 v33, 2, v36
	ds_store_b32 v28, v19 offset:2048
	ds_store_b32 v29, v20 offset:2048
	;; [unrolled: 1-line block ×5, first 2 shown]
	v_add_min_u32_e64 v28, v11, s1, 0x1000
	v_add_min_u32_e64 v29, v10, s1, 0x1000
	;; [unrolled: 1-line block ×5, first 2 shown]
	s_delay_alu instid0(VALU_DEP_4) | instskip(NEXT) | instid1(VALU_DEP_3)
	v_dual_lshlrev_b32 v28, 2, v28 :: v_dual_lshlrev_b32 v29, 2, v29
	v_dual_lshlrev_b32 v31, 2, v31 :: v_dual_lshlrev_b32 v32, 2, v32
	s_delay_alu instid0(VALU_DEP_3)
	v_lshlrev_b32_e32 v33, 2, v33
	ds_store_b32 v28, v30 offset:2048
	ds_store_b32 v29, v34 offset:2048
	;; [unrolled: 1-line block ×5, first 2 shown]
	s_wait_storecnt_dscnt 0x0
	s_barrier_signal -1
	s_barrier_wait -1
	ds_load_2addr_stride64_b32 v[28:29], v23 offset0:8 offset1:16
	s_wait_dscnt 0x0
	v_cmp_ne_u32_e32 vcc_lo, 0x7fffffff, v29
	v_cndmask_b32_e32 v31, 0x80000000, v29, vcc_lo
	v_cmp_ne_u32_e32 vcc_lo, 0x7fffffff, v28
	s_delay_alu instid0(VALU_DEP_2) | instskip(SKIP_1) | instid1(VALU_DEP_2)
	v_lshrrev_b32_e32 v31, s20, v31
	v_cndmask_b32_e32 v35, 0x80000000, v28, vcc_lo
	v_and_b32_e32 v31, s8, v31
	s_delay_alu instid0(VALU_DEP_2) | instskip(NEXT) | instid1(VALU_DEP_2)
	v_lshrrev_b32_e32 v35, s20, v35
	v_lshlrev_b32_e32 v31, 3, v31
	ds_load_b64 v[32:33], v31
	ds_load_b32 v31, v23 offset:6144
	v_and_b32_e32 v35, s8, v35
	s_delay_alu instid0(VALU_DEP_1) | instskip(SKIP_4) | instid1(VALU_DEP_2)
	v_lshlrev_b32_e32 v35, 3, v35
	s_wait_dscnt 0x0
	v_cmp_ne_u32_e32 vcc_lo, 0x7fffffff, v31
	v_cndmask_b32_e32 v36, 0x80000000, v31, vcc_lo
	v_cmp_lt_i32_e32 vcc_lo, -1, v28
	v_lshrrev_b32_e32 v36, s20, v36
	s_delay_alu instid0(VALU_DEP_1) | instskip(NEXT) | instid1(VALU_DEP_1)
	v_and_b32_e32 v36, s8, v36
	v_lshlrev_b32_e32 v39, 3, v36
	ds_load_b64 v[36:37], v35
	ds_load_b64 v[40:41], v39
	v_cndmask_b32_e64 v35, 0x80000000, -1, vcc_lo
	v_cmp_lt_i32_e32 vcc_lo, -1, v29
	s_delay_alu instid0(VALU_DEP_2) | instskip(SKIP_2) | instid1(VALU_DEP_2)
	v_xor_b32_e32 v35, v35, v28
	v_cndmask_b32_e64 v39, 0x80000000, -1, vcc_lo
	v_cmp_lt_i32_e32 vcc_lo, -1, v31
	v_xor_b32_e32 v39, v39, v29
	v_cndmask_b32_e64 v43, 0x80000000, -1, vcc_lo
	v_lshl_add_u64 v[28:29], v[32:33], 2, v[4:5]
	s_delay_alu instid0(VALU_DEP_2)
	v_xor_b32_e32 v31, v43, v31
	s_wait_dscnt 0x1
	v_lshl_add_u64 v[36:37], v[36:37], 2, v[4:5]
	s_wait_dscnt 0x0
	v_lshl_add_u64 v[32:33], v[40:41], 2, v[4:5]
	s_clause 0x2
	global_store_b32 v[36:37], v35, off offset:-8192
	global_store_b32 v[28:29], v39, off offset:-6144
	;; [unrolled: 1-line block ×3, first 2 shown]
	s_wait_xcnt 0x0
	v_cmpx_gt_u32_e32 0x1200, v26
	s_cbranch_execz .LBB1424_139
; %bb.138:                              ;   in Loop: Header=BB1424_137 Depth=1
	ds_load_b32 v31, v23 offset:8192
	s_wait_dscnt 0x0
	v_cmp_ne_u32_e32 vcc_lo, 0x7fffffff, v31
	v_cndmask_b32_e32 v28, 0x80000000, v31, vcc_lo
	v_cmp_lt_i32_e32 vcc_lo, -1, v31
	v_cndmask_b32_e64 v32, 0x80000000, -1, vcc_lo
	s_delay_alu instid0(VALU_DEP_1) | instskip(NEXT) | instid1(VALU_DEP_1)
	v_dual_lshrrev_b32 v28, s20, v28 :: v_dual_bitop2_b32 v31, v32, v31 bitop3:0x14
	v_and_b32_e32 v28, s8, v28
	s_delay_alu instid0(VALU_DEP_1)
	v_lshlrev_b32_e32 v28, 3, v28
	ds_load_b64 v[28:29], v28
	s_wait_dscnt 0x0
	v_lshl_add_u64 v[28:29], v[28:29], 2, v[4:5]
	global_store_b32 v[28:29], v31, off offset:-2048
.LBB1424_139:                           ;   in Loop: Header=BB1424_137 Depth=1
	s_wait_xcnt 0x0
	s_or_b32 exec_lo, exec_lo, s3
	v_add_nc_u32_e32 v28, 0x800, v26
	s_mov_b32 s3, exec_lo
	s_delay_alu instid0(VALU_DEP_1)
	v_cmpx_gt_u32_e32 0x1800, v28
	s_cbranch_execz .LBB1424_141
; %bb.140:                              ;   in Loop: Header=BB1424_137 Depth=1
	ds_load_b32 v31, v23 offset:10240
	s_wait_dscnt 0x0
	v_cmp_ne_u32_e32 vcc_lo, 0x7fffffff, v31
	v_cndmask_b32_e32 v28, 0x80000000, v31, vcc_lo
	v_cmp_lt_i32_e32 vcc_lo, -1, v31
	v_cndmask_b32_e64 v32, 0x80000000, -1, vcc_lo
	s_delay_alu instid0(VALU_DEP_1) | instskip(NEXT) | instid1(VALU_DEP_1)
	v_dual_lshrrev_b32 v28, s20, v28 :: v_dual_bitop2_b32 v31, v32, v31 bitop3:0x14
	v_and_b32_e32 v28, s8, v28
	s_delay_alu instid0(VALU_DEP_1)
	v_lshlrev_b32_e32 v28, 3, v28
	ds_load_b64 v[28:29], v28
	s_wait_dscnt 0x0
	v_lshl_add_u64 v[28:29], v[28:29], 2, v[4:5]
	global_store_b32 v[28:29], v31, off
.LBB1424_141:                           ;   in Loop: Header=BB1424_137 Depth=1
	s_wait_xcnt 0x0
	s_or_b32 exec_lo, exec_lo, s3
	s_delay_alu instid0(SALU_CYCLE_1)
	s_mov_b32 s3, exec_lo
	v_cmpx_gt_u32_e32 0xe00, v26
	s_cbranch_execz .LBB1424_143
; %bb.142:                              ;   in Loop: Header=BB1424_137 Depth=1
	ds_load_b32 v31, v23 offset:12288
	s_wait_dscnt 0x0
	v_cmp_ne_u32_e32 vcc_lo, 0x7fffffff, v31
	v_cndmask_b32_e32 v28, 0x80000000, v31, vcc_lo
	v_cmp_lt_i32_e32 vcc_lo, -1, v31
	v_cndmask_b32_e64 v32, 0x80000000, -1, vcc_lo
	s_delay_alu instid0(VALU_DEP_1) | instskip(NEXT) | instid1(VALU_DEP_1)
	v_dual_lshrrev_b32 v28, s20, v28 :: v_dual_bitop2_b32 v31, v32, v31 bitop3:0x14
	v_and_b32_e32 v28, s8, v28
	s_delay_alu instid0(VALU_DEP_1)
	v_lshlrev_b32_e32 v28, 3, v28
	ds_load_b64 v[28:29], v28
	s_wait_dscnt 0x0
	v_lshl_add_u64 v[28:29], v[28:29], 2, v[4:5]
	global_store_b32 v[28:29], v31, off offset:2048
.LBB1424_143:                           ;   in Loop: Header=BB1424_137 Depth=1
	s_wait_xcnt 0x0
	s_or_b32 exec_lo, exec_lo, s3
	v_add_nc_u32_e32 v28, 0xc00, v26
	s_mov_b32 s3, exec_lo
	s_delay_alu instid0(VALU_DEP_1)
	v_cmpx_gt_u32_e32 0x1800, v28
	s_cbranch_execz .LBB1424_145
; %bb.144:                              ;   in Loop: Header=BB1424_137 Depth=1
	ds_load_b32 v31, v23 offset:14336
	s_wait_dscnt 0x0
	v_cmp_ne_u32_e32 vcc_lo, 0x7fffffff, v31
	v_cndmask_b32_e32 v28, 0x80000000, v31, vcc_lo
	v_cmp_lt_i32_e32 vcc_lo, -1, v31
	v_cndmask_b32_e64 v32, 0x80000000, -1, vcc_lo
	s_delay_alu instid0(VALU_DEP_1) | instskip(NEXT) | instid1(VALU_DEP_1)
	v_dual_lshrrev_b32 v28, s20, v28 :: v_dual_bitop2_b32 v31, v32, v31 bitop3:0x14
	v_and_b32_e32 v28, s8, v28
	s_delay_alu instid0(VALU_DEP_1)
	v_lshlrev_b32_e32 v28, 3, v28
	ds_load_b64 v[28:29], v28
	s_wait_dscnt 0x0
	v_lshl_add_u64 v[28:29], v[28:29], 2, v[4:5]
	global_store_b32 v[28:29], v31, off offset:4096
.LBB1424_145:                           ;   in Loop: Header=BB1424_137 Depth=1
	s_wait_xcnt 0x0
	s_or_b32 exec_lo, exec_lo, s3
	s_delay_alu instid0(SALU_CYCLE_1)
	s_mov_b32 s3, exec_lo
	v_cmpx_gt_u32_e32 0xa00, v26
	s_cbranch_execz .LBB1424_136
; %bb.146:                              ;   in Loop: Header=BB1424_137 Depth=1
	ds_load_b32 v31, v23 offset:16384
	s_wait_dscnt 0x0
	v_cmp_ne_u32_e32 vcc_lo, 0x7fffffff, v31
	v_cndmask_b32_e32 v28, 0x80000000, v31, vcc_lo
	v_cmp_lt_i32_e32 vcc_lo, -1, v31
	v_cndmask_b32_e64 v32, 0x80000000, -1, vcc_lo
	s_delay_alu instid0(VALU_DEP_1) | instskip(NEXT) | instid1(VALU_DEP_1)
	v_dual_lshrrev_b32 v28, s20, v28 :: v_dual_bitop2_b32 v31, v32, v31 bitop3:0x14
	v_and_b32_e32 v28, s8, v28
	s_delay_alu instid0(VALU_DEP_1)
	v_lshlrev_b32_e32 v28, 3, v28
	ds_load_b64 v[28:29], v28
	s_wait_dscnt 0x0
	v_lshl_add_u64 v[28:29], v[28:29], 2, v[4:5]
	global_store_b32 v[28:29], v31, off offset:6144
	s_branch .LBB1424_136
.LBB1424_147:
	s_add_co_i32 s7, s7, -1
	s_delay_alu instid0(SALU_CYCLE_1) | instskip(SKIP_2) | instid1(SALU_CYCLE_1)
	s_cmp_eq_u32 s9, s7
	s_cselect_b32 s1, -1, 0
	s_xor_b32 s0, s0, -1
	s_and_b32 s0, s0, s1
	s_delay_alu instid0(SALU_CYCLE_1)
	s_and_saveexec_b32 s1, s0
	s_cbranch_execz .LBB1424_149
; %bb.148:
	ds_load_b64 v[4:5], v3
	v_mov_b32_e32 v3, 0
	s_delay_alu instid0(VALU_DEP_1) | instskip(SKIP_1) | instid1(VALU_DEP_1)
	v_add_nc_u64_e32 v[0:1], v[0:1], v[2:3]
	s_wait_dscnt 0x0
	v_add_nc_u64_e32 v[0:1], v[0:1], v[4:5]
	global_store_b64 v15, v[0:1], s[14:15] scale_offset
.LBB1424_149:
	s_sendmsg sendmsg(MSG_DEALLOC_VGPRS)
	s_endpgm
	.section	.rodata,"a",@progbits
	.p2align	6, 0x0
	.amdhsa_kernel _ZN7rocprim17ROCPRIM_400000_NS6detail17trampoline_kernelINS0_14default_configENS1_35radix_sort_onesweep_config_selectorIfNS0_10empty_typeEEEZZNS1_29radix_sort_onesweep_iterationIS3_Lb0EPKfPfPS5_SB_mNS0_19identity_decomposerENS1_16block_id_wrapperIjLb0EEEEE10hipError_tT1_PNSt15iterator_traitsISG_E10value_typeET2_T3_PNSH_ISM_E10value_typeET4_T5_PSR_SS_PNS1_23onesweep_lookback_stateEbbT6_jjT7_P12ihipStream_tbENKUlT_T0_SG_SL_E_clIS9_SA_SB_SB_EEDaSZ_S10_SG_SL_EUlSZ_E_NS1_11comp_targetILNS1_3genE0ELNS1_11target_archE4294967295ELNS1_3gpuE0ELNS1_3repE0EEENS1_47radix_sort_onesweep_sort_config_static_selectorELNS0_4arch9wavefront6targetE0EEEvSG_
		.amdhsa_group_segment_fixed_size 18504
		.amdhsa_private_segment_fixed_size 0
		.amdhsa_kernarg_size 344
		.amdhsa_user_sgpr_count 2
		.amdhsa_user_sgpr_dispatch_ptr 0
		.amdhsa_user_sgpr_queue_ptr 0
		.amdhsa_user_sgpr_kernarg_segment_ptr 1
		.amdhsa_user_sgpr_dispatch_id 0
		.amdhsa_user_sgpr_kernarg_preload_length 0
		.amdhsa_user_sgpr_kernarg_preload_offset 0
		.amdhsa_user_sgpr_private_segment_size 0
		.amdhsa_wavefront_size32 1
		.amdhsa_uses_dynamic_stack 0
		.amdhsa_enable_private_segment 0
		.amdhsa_system_sgpr_workgroup_id_x 1
		.amdhsa_system_sgpr_workgroup_id_y 0
		.amdhsa_system_sgpr_workgroup_id_z 0
		.amdhsa_system_sgpr_workgroup_info 0
		.amdhsa_system_vgpr_workitem_id 2
		.amdhsa_next_free_vgpr 65
		.amdhsa_next_free_sgpr 28
		.amdhsa_named_barrier_count 0
		.amdhsa_reserve_vcc 1
		.amdhsa_float_round_mode_32 0
		.amdhsa_float_round_mode_16_64 0
		.amdhsa_float_denorm_mode_32 3
		.amdhsa_float_denorm_mode_16_64 3
		.amdhsa_fp16_overflow 0
		.amdhsa_memory_ordered 1
		.amdhsa_forward_progress 1
		.amdhsa_inst_pref_size 134
		.amdhsa_round_robin_scheduling 0
		.amdhsa_exception_fp_ieee_invalid_op 0
		.amdhsa_exception_fp_denorm_src 0
		.amdhsa_exception_fp_ieee_div_zero 0
		.amdhsa_exception_fp_ieee_overflow 0
		.amdhsa_exception_fp_ieee_underflow 0
		.amdhsa_exception_fp_ieee_inexact 0
		.amdhsa_exception_int_div_zero 0
	.end_amdhsa_kernel
	.section	.text._ZN7rocprim17ROCPRIM_400000_NS6detail17trampoline_kernelINS0_14default_configENS1_35radix_sort_onesweep_config_selectorIfNS0_10empty_typeEEEZZNS1_29radix_sort_onesweep_iterationIS3_Lb0EPKfPfPS5_SB_mNS0_19identity_decomposerENS1_16block_id_wrapperIjLb0EEEEE10hipError_tT1_PNSt15iterator_traitsISG_E10value_typeET2_T3_PNSH_ISM_E10value_typeET4_T5_PSR_SS_PNS1_23onesweep_lookback_stateEbbT6_jjT7_P12ihipStream_tbENKUlT_T0_SG_SL_E_clIS9_SA_SB_SB_EEDaSZ_S10_SG_SL_EUlSZ_E_NS1_11comp_targetILNS1_3genE0ELNS1_11target_archE4294967295ELNS1_3gpuE0ELNS1_3repE0EEENS1_47radix_sort_onesweep_sort_config_static_selectorELNS0_4arch9wavefront6targetE0EEEvSG_,"axG",@progbits,_ZN7rocprim17ROCPRIM_400000_NS6detail17trampoline_kernelINS0_14default_configENS1_35radix_sort_onesweep_config_selectorIfNS0_10empty_typeEEEZZNS1_29radix_sort_onesweep_iterationIS3_Lb0EPKfPfPS5_SB_mNS0_19identity_decomposerENS1_16block_id_wrapperIjLb0EEEEE10hipError_tT1_PNSt15iterator_traitsISG_E10value_typeET2_T3_PNSH_ISM_E10value_typeET4_T5_PSR_SS_PNS1_23onesweep_lookback_stateEbbT6_jjT7_P12ihipStream_tbENKUlT_T0_SG_SL_E_clIS9_SA_SB_SB_EEDaSZ_S10_SG_SL_EUlSZ_E_NS1_11comp_targetILNS1_3genE0ELNS1_11target_archE4294967295ELNS1_3gpuE0ELNS1_3repE0EEENS1_47radix_sort_onesweep_sort_config_static_selectorELNS0_4arch9wavefront6targetE0EEEvSG_,comdat
.Lfunc_end1424:
	.size	_ZN7rocprim17ROCPRIM_400000_NS6detail17trampoline_kernelINS0_14default_configENS1_35radix_sort_onesweep_config_selectorIfNS0_10empty_typeEEEZZNS1_29radix_sort_onesweep_iterationIS3_Lb0EPKfPfPS5_SB_mNS0_19identity_decomposerENS1_16block_id_wrapperIjLb0EEEEE10hipError_tT1_PNSt15iterator_traitsISG_E10value_typeET2_T3_PNSH_ISM_E10value_typeET4_T5_PSR_SS_PNS1_23onesweep_lookback_stateEbbT6_jjT7_P12ihipStream_tbENKUlT_T0_SG_SL_E_clIS9_SA_SB_SB_EEDaSZ_S10_SG_SL_EUlSZ_E_NS1_11comp_targetILNS1_3genE0ELNS1_11target_archE4294967295ELNS1_3gpuE0ELNS1_3repE0EEENS1_47radix_sort_onesweep_sort_config_static_selectorELNS0_4arch9wavefront6targetE0EEEvSG_, .Lfunc_end1424-_ZN7rocprim17ROCPRIM_400000_NS6detail17trampoline_kernelINS0_14default_configENS1_35radix_sort_onesweep_config_selectorIfNS0_10empty_typeEEEZZNS1_29radix_sort_onesweep_iterationIS3_Lb0EPKfPfPS5_SB_mNS0_19identity_decomposerENS1_16block_id_wrapperIjLb0EEEEE10hipError_tT1_PNSt15iterator_traitsISG_E10value_typeET2_T3_PNSH_ISM_E10value_typeET4_T5_PSR_SS_PNS1_23onesweep_lookback_stateEbbT6_jjT7_P12ihipStream_tbENKUlT_T0_SG_SL_E_clIS9_SA_SB_SB_EEDaSZ_S10_SG_SL_EUlSZ_E_NS1_11comp_targetILNS1_3genE0ELNS1_11target_archE4294967295ELNS1_3gpuE0ELNS1_3repE0EEENS1_47radix_sort_onesweep_sort_config_static_selectorELNS0_4arch9wavefront6targetE0EEEvSG_
                                        ; -- End function
	.set _ZN7rocprim17ROCPRIM_400000_NS6detail17trampoline_kernelINS0_14default_configENS1_35radix_sort_onesweep_config_selectorIfNS0_10empty_typeEEEZZNS1_29radix_sort_onesweep_iterationIS3_Lb0EPKfPfPS5_SB_mNS0_19identity_decomposerENS1_16block_id_wrapperIjLb0EEEEE10hipError_tT1_PNSt15iterator_traitsISG_E10value_typeET2_T3_PNSH_ISM_E10value_typeET4_T5_PSR_SS_PNS1_23onesweep_lookback_stateEbbT6_jjT7_P12ihipStream_tbENKUlT_T0_SG_SL_E_clIS9_SA_SB_SB_EEDaSZ_S10_SG_SL_EUlSZ_E_NS1_11comp_targetILNS1_3genE0ELNS1_11target_archE4294967295ELNS1_3gpuE0ELNS1_3repE0EEENS1_47radix_sort_onesweep_sort_config_static_selectorELNS0_4arch9wavefront6targetE0EEEvSG_.num_vgpr, 65
	.set _ZN7rocprim17ROCPRIM_400000_NS6detail17trampoline_kernelINS0_14default_configENS1_35radix_sort_onesweep_config_selectorIfNS0_10empty_typeEEEZZNS1_29radix_sort_onesweep_iterationIS3_Lb0EPKfPfPS5_SB_mNS0_19identity_decomposerENS1_16block_id_wrapperIjLb0EEEEE10hipError_tT1_PNSt15iterator_traitsISG_E10value_typeET2_T3_PNSH_ISM_E10value_typeET4_T5_PSR_SS_PNS1_23onesweep_lookback_stateEbbT6_jjT7_P12ihipStream_tbENKUlT_T0_SG_SL_E_clIS9_SA_SB_SB_EEDaSZ_S10_SG_SL_EUlSZ_E_NS1_11comp_targetILNS1_3genE0ELNS1_11target_archE4294967295ELNS1_3gpuE0ELNS1_3repE0EEENS1_47radix_sort_onesweep_sort_config_static_selectorELNS0_4arch9wavefront6targetE0EEEvSG_.num_agpr, 0
	.set _ZN7rocprim17ROCPRIM_400000_NS6detail17trampoline_kernelINS0_14default_configENS1_35radix_sort_onesweep_config_selectorIfNS0_10empty_typeEEEZZNS1_29radix_sort_onesweep_iterationIS3_Lb0EPKfPfPS5_SB_mNS0_19identity_decomposerENS1_16block_id_wrapperIjLb0EEEEE10hipError_tT1_PNSt15iterator_traitsISG_E10value_typeET2_T3_PNSH_ISM_E10value_typeET4_T5_PSR_SS_PNS1_23onesweep_lookback_stateEbbT6_jjT7_P12ihipStream_tbENKUlT_T0_SG_SL_E_clIS9_SA_SB_SB_EEDaSZ_S10_SG_SL_EUlSZ_E_NS1_11comp_targetILNS1_3genE0ELNS1_11target_archE4294967295ELNS1_3gpuE0ELNS1_3repE0EEENS1_47radix_sort_onesweep_sort_config_static_selectorELNS0_4arch9wavefront6targetE0EEEvSG_.numbered_sgpr, 28
	.set _ZN7rocprim17ROCPRIM_400000_NS6detail17trampoline_kernelINS0_14default_configENS1_35radix_sort_onesweep_config_selectorIfNS0_10empty_typeEEEZZNS1_29radix_sort_onesweep_iterationIS3_Lb0EPKfPfPS5_SB_mNS0_19identity_decomposerENS1_16block_id_wrapperIjLb0EEEEE10hipError_tT1_PNSt15iterator_traitsISG_E10value_typeET2_T3_PNSH_ISM_E10value_typeET4_T5_PSR_SS_PNS1_23onesweep_lookback_stateEbbT6_jjT7_P12ihipStream_tbENKUlT_T0_SG_SL_E_clIS9_SA_SB_SB_EEDaSZ_S10_SG_SL_EUlSZ_E_NS1_11comp_targetILNS1_3genE0ELNS1_11target_archE4294967295ELNS1_3gpuE0ELNS1_3repE0EEENS1_47radix_sort_onesweep_sort_config_static_selectorELNS0_4arch9wavefront6targetE0EEEvSG_.num_named_barrier, 0
	.set _ZN7rocprim17ROCPRIM_400000_NS6detail17trampoline_kernelINS0_14default_configENS1_35radix_sort_onesweep_config_selectorIfNS0_10empty_typeEEEZZNS1_29radix_sort_onesweep_iterationIS3_Lb0EPKfPfPS5_SB_mNS0_19identity_decomposerENS1_16block_id_wrapperIjLb0EEEEE10hipError_tT1_PNSt15iterator_traitsISG_E10value_typeET2_T3_PNSH_ISM_E10value_typeET4_T5_PSR_SS_PNS1_23onesweep_lookback_stateEbbT6_jjT7_P12ihipStream_tbENKUlT_T0_SG_SL_E_clIS9_SA_SB_SB_EEDaSZ_S10_SG_SL_EUlSZ_E_NS1_11comp_targetILNS1_3genE0ELNS1_11target_archE4294967295ELNS1_3gpuE0ELNS1_3repE0EEENS1_47radix_sort_onesweep_sort_config_static_selectorELNS0_4arch9wavefront6targetE0EEEvSG_.private_seg_size, 0
	.set _ZN7rocprim17ROCPRIM_400000_NS6detail17trampoline_kernelINS0_14default_configENS1_35radix_sort_onesweep_config_selectorIfNS0_10empty_typeEEEZZNS1_29radix_sort_onesweep_iterationIS3_Lb0EPKfPfPS5_SB_mNS0_19identity_decomposerENS1_16block_id_wrapperIjLb0EEEEE10hipError_tT1_PNSt15iterator_traitsISG_E10value_typeET2_T3_PNSH_ISM_E10value_typeET4_T5_PSR_SS_PNS1_23onesweep_lookback_stateEbbT6_jjT7_P12ihipStream_tbENKUlT_T0_SG_SL_E_clIS9_SA_SB_SB_EEDaSZ_S10_SG_SL_EUlSZ_E_NS1_11comp_targetILNS1_3genE0ELNS1_11target_archE4294967295ELNS1_3gpuE0ELNS1_3repE0EEENS1_47radix_sort_onesweep_sort_config_static_selectorELNS0_4arch9wavefront6targetE0EEEvSG_.uses_vcc, 1
	.set _ZN7rocprim17ROCPRIM_400000_NS6detail17trampoline_kernelINS0_14default_configENS1_35radix_sort_onesweep_config_selectorIfNS0_10empty_typeEEEZZNS1_29radix_sort_onesweep_iterationIS3_Lb0EPKfPfPS5_SB_mNS0_19identity_decomposerENS1_16block_id_wrapperIjLb0EEEEE10hipError_tT1_PNSt15iterator_traitsISG_E10value_typeET2_T3_PNSH_ISM_E10value_typeET4_T5_PSR_SS_PNS1_23onesweep_lookback_stateEbbT6_jjT7_P12ihipStream_tbENKUlT_T0_SG_SL_E_clIS9_SA_SB_SB_EEDaSZ_S10_SG_SL_EUlSZ_E_NS1_11comp_targetILNS1_3genE0ELNS1_11target_archE4294967295ELNS1_3gpuE0ELNS1_3repE0EEENS1_47radix_sort_onesweep_sort_config_static_selectorELNS0_4arch9wavefront6targetE0EEEvSG_.uses_flat_scratch, 0
	.set _ZN7rocprim17ROCPRIM_400000_NS6detail17trampoline_kernelINS0_14default_configENS1_35radix_sort_onesweep_config_selectorIfNS0_10empty_typeEEEZZNS1_29radix_sort_onesweep_iterationIS3_Lb0EPKfPfPS5_SB_mNS0_19identity_decomposerENS1_16block_id_wrapperIjLb0EEEEE10hipError_tT1_PNSt15iterator_traitsISG_E10value_typeET2_T3_PNSH_ISM_E10value_typeET4_T5_PSR_SS_PNS1_23onesweep_lookback_stateEbbT6_jjT7_P12ihipStream_tbENKUlT_T0_SG_SL_E_clIS9_SA_SB_SB_EEDaSZ_S10_SG_SL_EUlSZ_E_NS1_11comp_targetILNS1_3genE0ELNS1_11target_archE4294967295ELNS1_3gpuE0ELNS1_3repE0EEENS1_47radix_sort_onesweep_sort_config_static_selectorELNS0_4arch9wavefront6targetE0EEEvSG_.has_dyn_sized_stack, 0
	.set _ZN7rocprim17ROCPRIM_400000_NS6detail17trampoline_kernelINS0_14default_configENS1_35radix_sort_onesweep_config_selectorIfNS0_10empty_typeEEEZZNS1_29radix_sort_onesweep_iterationIS3_Lb0EPKfPfPS5_SB_mNS0_19identity_decomposerENS1_16block_id_wrapperIjLb0EEEEE10hipError_tT1_PNSt15iterator_traitsISG_E10value_typeET2_T3_PNSH_ISM_E10value_typeET4_T5_PSR_SS_PNS1_23onesweep_lookback_stateEbbT6_jjT7_P12ihipStream_tbENKUlT_T0_SG_SL_E_clIS9_SA_SB_SB_EEDaSZ_S10_SG_SL_EUlSZ_E_NS1_11comp_targetILNS1_3genE0ELNS1_11target_archE4294967295ELNS1_3gpuE0ELNS1_3repE0EEENS1_47radix_sort_onesweep_sort_config_static_selectorELNS0_4arch9wavefront6targetE0EEEvSG_.has_recursion, 0
	.set _ZN7rocprim17ROCPRIM_400000_NS6detail17trampoline_kernelINS0_14default_configENS1_35radix_sort_onesweep_config_selectorIfNS0_10empty_typeEEEZZNS1_29radix_sort_onesweep_iterationIS3_Lb0EPKfPfPS5_SB_mNS0_19identity_decomposerENS1_16block_id_wrapperIjLb0EEEEE10hipError_tT1_PNSt15iterator_traitsISG_E10value_typeET2_T3_PNSH_ISM_E10value_typeET4_T5_PSR_SS_PNS1_23onesweep_lookback_stateEbbT6_jjT7_P12ihipStream_tbENKUlT_T0_SG_SL_E_clIS9_SA_SB_SB_EEDaSZ_S10_SG_SL_EUlSZ_E_NS1_11comp_targetILNS1_3genE0ELNS1_11target_archE4294967295ELNS1_3gpuE0ELNS1_3repE0EEENS1_47radix_sort_onesweep_sort_config_static_selectorELNS0_4arch9wavefront6targetE0EEEvSG_.has_indirect_call, 0
	.section	.AMDGPU.csdata,"",@progbits
; Kernel info:
; codeLenInByte = 17108
; TotalNumSgprs: 30
; NumVgprs: 65
; ScratchSize: 0
; MemoryBound: 0
; FloatMode: 240
; IeeeMode: 1
; LDSByteSize: 18504 bytes/workgroup (compile time only)
; SGPRBlocks: 0
; VGPRBlocks: 4
; NumSGPRsForWavesPerEU: 30
; NumVGPRsForWavesPerEU: 65
; NamedBarCnt: 0
; Occupancy: 12
; WaveLimiterHint : 1
; COMPUTE_PGM_RSRC2:SCRATCH_EN: 0
; COMPUTE_PGM_RSRC2:USER_SGPR: 2
; COMPUTE_PGM_RSRC2:TRAP_HANDLER: 0
; COMPUTE_PGM_RSRC2:TGID_X_EN: 1
; COMPUTE_PGM_RSRC2:TGID_Y_EN: 0
; COMPUTE_PGM_RSRC2:TGID_Z_EN: 0
; COMPUTE_PGM_RSRC2:TIDIG_COMP_CNT: 2
	.section	.text._ZN7rocprim17ROCPRIM_400000_NS6detail17trampoline_kernelINS0_14default_configENS1_35radix_sort_onesweep_config_selectorIfNS0_10empty_typeEEEZZNS1_29radix_sort_onesweep_iterationIS3_Lb0EPKfPfPS5_SB_mNS0_19identity_decomposerENS1_16block_id_wrapperIjLb0EEEEE10hipError_tT1_PNSt15iterator_traitsISG_E10value_typeET2_T3_PNSH_ISM_E10value_typeET4_T5_PSR_SS_PNS1_23onesweep_lookback_stateEbbT6_jjT7_P12ihipStream_tbENKUlT_T0_SG_SL_E_clIS9_SA_SB_SB_EEDaSZ_S10_SG_SL_EUlSZ_E_NS1_11comp_targetILNS1_3genE6ELNS1_11target_archE950ELNS1_3gpuE13ELNS1_3repE0EEENS1_47radix_sort_onesweep_sort_config_static_selectorELNS0_4arch9wavefront6targetE0EEEvSG_,"axG",@progbits,_ZN7rocprim17ROCPRIM_400000_NS6detail17trampoline_kernelINS0_14default_configENS1_35radix_sort_onesweep_config_selectorIfNS0_10empty_typeEEEZZNS1_29radix_sort_onesweep_iterationIS3_Lb0EPKfPfPS5_SB_mNS0_19identity_decomposerENS1_16block_id_wrapperIjLb0EEEEE10hipError_tT1_PNSt15iterator_traitsISG_E10value_typeET2_T3_PNSH_ISM_E10value_typeET4_T5_PSR_SS_PNS1_23onesweep_lookback_stateEbbT6_jjT7_P12ihipStream_tbENKUlT_T0_SG_SL_E_clIS9_SA_SB_SB_EEDaSZ_S10_SG_SL_EUlSZ_E_NS1_11comp_targetILNS1_3genE6ELNS1_11target_archE950ELNS1_3gpuE13ELNS1_3repE0EEENS1_47radix_sort_onesweep_sort_config_static_selectorELNS0_4arch9wavefront6targetE0EEEvSG_,comdat
	.protected	_ZN7rocprim17ROCPRIM_400000_NS6detail17trampoline_kernelINS0_14default_configENS1_35radix_sort_onesweep_config_selectorIfNS0_10empty_typeEEEZZNS1_29radix_sort_onesweep_iterationIS3_Lb0EPKfPfPS5_SB_mNS0_19identity_decomposerENS1_16block_id_wrapperIjLb0EEEEE10hipError_tT1_PNSt15iterator_traitsISG_E10value_typeET2_T3_PNSH_ISM_E10value_typeET4_T5_PSR_SS_PNS1_23onesweep_lookback_stateEbbT6_jjT7_P12ihipStream_tbENKUlT_T0_SG_SL_E_clIS9_SA_SB_SB_EEDaSZ_S10_SG_SL_EUlSZ_E_NS1_11comp_targetILNS1_3genE6ELNS1_11target_archE950ELNS1_3gpuE13ELNS1_3repE0EEENS1_47radix_sort_onesweep_sort_config_static_selectorELNS0_4arch9wavefront6targetE0EEEvSG_ ; -- Begin function _ZN7rocprim17ROCPRIM_400000_NS6detail17trampoline_kernelINS0_14default_configENS1_35radix_sort_onesweep_config_selectorIfNS0_10empty_typeEEEZZNS1_29radix_sort_onesweep_iterationIS3_Lb0EPKfPfPS5_SB_mNS0_19identity_decomposerENS1_16block_id_wrapperIjLb0EEEEE10hipError_tT1_PNSt15iterator_traitsISG_E10value_typeET2_T3_PNSH_ISM_E10value_typeET4_T5_PSR_SS_PNS1_23onesweep_lookback_stateEbbT6_jjT7_P12ihipStream_tbENKUlT_T0_SG_SL_E_clIS9_SA_SB_SB_EEDaSZ_S10_SG_SL_EUlSZ_E_NS1_11comp_targetILNS1_3genE6ELNS1_11target_archE950ELNS1_3gpuE13ELNS1_3repE0EEENS1_47radix_sort_onesweep_sort_config_static_selectorELNS0_4arch9wavefront6targetE0EEEvSG_
	.globl	_ZN7rocprim17ROCPRIM_400000_NS6detail17trampoline_kernelINS0_14default_configENS1_35radix_sort_onesweep_config_selectorIfNS0_10empty_typeEEEZZNS1_29radix_sort_onesweep_iterationIS3_Lb0EPKfPfPS5_SB_mNS0_19identity_decomposerENS1_16block_id_wrapperIjLb0EEEEE10hipError_tT1_PNSt15iterator_traitsISG_E10value_typeET2_T3_PNSH_ISM_E10value_typeET4_T5_PSR_SS_PNS1_23onesweep_lookback_stateEbbT6_jjT7_P12ihipStream_tbENKUlT_T0_SG_SL_E_clIS9_SA_SB_SB_EEDaSZ_S10_SG_SL_EUlSZ_E_NS1_11comp_targetILNS1_3genE6ELNS1_11target_archE950ELNS1_3gpuE13ELNS1_3repE0EEENS1_47radix_sort_onesweep_sort_config_static_selectorELNS0_4arch9wavefront6targetE0EEEvSG_
	.p2align	8
	.type	_ZN7rocprim17ROCPRIM_400000_NS6detail17trampoline_kernelINS0_14default_configENS1_35radix_sort_onesweep_config_selectorIfNS0_10empty_typeEEEZZNS1_29radix_sort_onesweep_iterationIS3_Lb0EPKfPfPS5_SB_mNS0_19identity_decomposerENS1_16block_id_wrapperIjLb0EEEEE10hipError_tT1_PNSt15iterator_traitsISG_E10value_typeET2_T3_PNSH_ISM_E10value_typeET4_T5_PSR_SS_PNS1_23onesweep_lookback_stateEbbT6_jjT7_P12ihipStream_tbENKUlT_T0_SG_SL_E_clIS9_SA_SB_SB_EEDaSZ_S10_SG_SL_EUlSZ_E_NS1_11comp_targetILNS1_3genE6ELNS1_11target_archE950ELNS1_3gpuE13ELNS1_3repE0EEENS1_47radix_sort_onesweep_sort_config_static_selectorELNS0_4arch9wavefront6targetE0EEEvSG_,@function
_ZN7rocprim17ROCPRIM_400000_NS6detail17trampoline_kernelINS0_14default_configENS1_35radix_sort_onesweep_config_selectorIfNS0_10empty_typeEEEZZNS1_29radix_sort_onesweep_iterationIS3_Lb0EPKfPfPS5_SB_mNS0_19identity_decomposerENS1_16block_id_wrapperIjLb0EEEEE10hipError_tT1_PNSt15iterator_traitsISG_E10value_typeET2_T3_PNSH_ISM_E10value_typeET4_T5_PSR_SS_PNS1_23onesweep_lookback_stateEbbT6_jjT7_P12ihipStream_tbENKUlT_T0_SG_SL_E_clIS9_SA_SB_SB_EEDaSZ_S10_SG_SL_EUlSZ_E_NS1_11comp_targetILNS1_3genE6ELNS1_11target_archE950ELNS1_3gpuE13ELNS1_3repE0EEENS1_47radix_sort_onesweep_sort_config_static_selectorELNS0_4arch9wavefront6targetE0EEEvSG_: ; @_ZN7rocprim17ROCPRIM_400000_NS6detail17trampoline_kernelINS0_14default_configENS1_35radix_sort_onesweep_config_selectorIfNS0_10empty_typeEEEZZNS1_29radix_sort_onesweep_iterationIS3_Lb0EPKfPfPS5_SB_mNS0_19identity_decomposerENS1_16block_id_wrapperIjLb0EEEEE10hipError_tT1_PNSt15iterator_traitsISG_E10value_typeET2_T3_PNSH_ISM_E10value_typeET4_T5_PSR_SS_PNS1_23onesweep_lookback_stateEbbT6_jjT7_P12ihipStream_tbENKUlT_T0_SG_SL_E_clIS9_SA_SB_SB_EEDaSZ_S10_SG_SL_EUlSZ_E_NS1_11comp_targetILNS1_3genE6ELNS1_11target_archE950ELNS1_3gpuE13ELNS1_3repE0EEENS1_47radix_sort_onesweep_sort_config_static_selectorELNS0_4arch9wavefront6targetE0EEEvSG_
; %bb.0:
	.section	.rodata,"a",@progbits
	.p2align	6, 0x0
	.amdhsa_kernel _ZN7rocprim17ROCPRIM_400000_NS6detail17trampoline_kernelINS0_14default_configENS1_35radix_sort_onesweep_config_selectorIfNS0_10empty_typeEEEZZNS1_29radix_sort_onesweep_iterationIS3_Lb0EPKfPfPS5_SB_mNS0_19identity_decomposerENS1_16block_id_wrapperIjLb0EEEEE10hipError_tT1_PNSt15iterator_traitsISG_E10value_typeET2_T3_PNSH_ISM_E10value_typeET4_T5_PSR_SS_PNS1_23onesweep_lookback_stateEbbT6_jjT7_P12ihipStream_tbENKUlT_T0_SG_SL_E_clIS9_SA_SB_SB_EEDaSZ_S10_SG_SL_EUlSZ_E_NS1_11comp_targetILNS1_3genE6ELNS1_11target_archE950ELNS1_3gpuE13ELNS1_3repE0EEENS1_47radix_sort_onesweep_sort_config_static_selectorELNS0_4arch9wavefront6targetE0EEEvSG_
		.amdhsa_group_segment_fixed_size 0
		.amdhsa_private_segment_fixed_size 0
		.amdhsa_kernarg_size 88
		.amdhsa_user_sgpr_count 2
		.amdhsa_user_sgpr_dispatch_ptr 0
		.amdhsa_user_sgpr_queue_ptr 0
		.amdhsa_user_sgpr_kernarg_segment_ptr 1
		.amdhsa_user_sgpr_dispatch_id 0
		.amdhsa_user_sgpr_kernarg_preload_length 0
		.amdhsa_user_sgpr_kernarg_preload_offset 0
		.amdhsa_user_sgpr_private_segment_size 0
		.amdhsa_wavefront_size32 1
		.amdhsa_uses_dynamic_stack 0
		.amdhsa_enable_private_segment 0
		.amdhsa_system_sgpr_workgroup_id_x 1
		.amdhsa_system_sgpr_workgroup_id_y 0
		.amdhsa_system_sgpr_workgroup_id_z 0
		.amdhsa_system_sgpr_workgroup_info 0
		.amdhsa_system_vgpr_workitem_id 0
		.amdhsa_next_free_vgpr 1
		.amdhsa_next_free_sgpr 1
		.amdhsa_named_barrier_count 0
		.amdhsa_reserve_vcc 0
		.amdhsa_float_round_mode_32 0
		.amdhsa_float_round_mode_16_64 0
		.amdhsa_float_denorm_mode_32 3
		.amdhsa_float_denorm_mode_16_64 3
		.amdhsa_fp16_overflow 0
		.amdhsa_memory_ordered 1
		.amdhsa_forward_progress 1
		.amdhsa_inst_pref_size 0
		.amdhsa_round_robin_scheduling 0
		.amdhsa_exception_fp_ieee_invalid_op 0
		.amdhsa_exception_fp_denorm_src 0
		.amdhsa_exception_fp_ieee_div_zero 0
		.amdhsa_exception_fp_ieee_overflow 0
		.amdhsa_exception_fp_ieee_underflow 0
		.amdhsa_exception_fp_ieee_inexact 0
		.amdhsa_exception_int_div_zero 0
	.end_amdhsa_kernel
	.section	.text._ZN7rocprim17ROCPRIM_400000_NS6detail17trampoline_kernelINS0_14default_configENS1_35radix_sort_onesweep_config_selectorIfNS0_10empty_typeEEEZZNS1_29radix_sort_onesweep_iterationIS3_Lb0EPKfPfPS5_SB_mNS0_19identity_decomposerENS1_16block_id_wrapperIjLb0EEEEE10hipError_tT1_PNSt15iterator_traitsISG_E10value_typeET2_T3_PNSH_ISM_E10value_typeET4_T5_PSR_SS_PNS1_23onesweep_lookback_stateEbbT6_jjT7_P12ihipStream_tbENKUlT_T0_SG_SL_E_clIS9_SA_SB_SB_EEDaSZ_S10_SG_SL_EUlSZ_E_NS1_11comp_targetILNS1_3genE6ELNS1_11target_archE950ELNS1_3gpuE13ELNS1_3repE0EEENS1_47radix_sort_onesweep_sort_config_static_selectorELNS0_4arch9wavefront6targetE0EEEvSG_,"axG",@progbits,_ZN7rocprim17ROCPRIM_400000_NS6detail17trampoline_kernelINS0_14default_configENS1_35radix_sort_onesweep_config_selectorIfNS0_10empty_typeEEEZZNS1_29radix_sort_onesweep_iterationIS3_Lb0EPKfPfPS5_SB_mNS0_19identity_decomposerENS1_16block_id_wrapperIjLb0EEEEE10hipError_tT1_PNSt15iterator_traitsISG_E10value_typeET2_T3_PNSH_ISM_E10value_typeET4_T5_PSR_SS_PNS1_23onesweep_lookback_stateEbbT6_jjT7_P12ihipStream_tbENKUlT_T0_SG_SL_E_clIS9_SA_SB_SB_EEDaSZ_S10_SG_SL_EUlSZ_E_NS1_11comp_targetILNS1_3genE6ELNS1_11target_archE950ELNS1_3gpuE13ELNS1_3repE0EEENS1_47radix_sort_onesweep_sort_config_static_selectorELNS0_4arch9wavefront6targetE0EEEvSG_,comdat
.Lfunc_end1425:
	.size	_ZN7rocprim17ROCPRIM_400000_NS6detail17trampoline_kernelINS0_14default_configENS1_35radix_sort_onesweep_config_selectorIfNS0_10empty_typeEEEZZNS1_29radix_sort_onesweep_iterationIS3_Lb0EPKfPfPS5_SB_mNS0_19identity_decomposerENS1_16block_id_wrapperIjLb0EEEEE10hipError_tT1_PNSt15iterator_traitsISG_E10value_typeET2_T3_PNSH_ISM_E10value_typeET4_T5_PSR_SS_PNS1_23onesweep_lookback_stateEbbT6_jjT7_P12ihipStream_tbENKUlT_T0_SG_SL_E_clIS9_SA_SB_SB_EEDaSZ_S10_SG_SL_EUlSZ_E_NS1_11comp_targetILNS1_3genE6ELNS1_11target_archE950ELNS1_3gpuE13ELNS1_3repE0EEENS1_47radix_sort_onesweep_sort_config_static_selectorELNS0_4arch9wavefront6targetE0EEEvSG_, .Lfunc_end1425-_ZN7rocprim17ROCPRIM_400000_NS6detail17trampoline_kernelINS0_14default_configENS1_35radix_sort_onesweep_config_selectorIfNS0_10empty_typeEEEZZNS1_29radix_sort_onesweep_iterationIS3_Lb0EPKfPfPS5_SB_mNS0_19identity_decomposerENS1_16block_id_wrapperIjLb0EEEEE10hipError_tT1_PNSt15iterator_traitsISG_E10value_typeET2_T3_PNSH_ISM_E10value_typeET4_T5_PSR_SS_PNS1_23onesweep_lookback_stateEbbT6_jjT7_P12ihipStream_tbENKUlT_T0_SG_SL_E_clIS9_SA_SB_SB_EEDaSZ_S10_SG_SL_EUlSZ_E_NS1_11comp_targetILNS1_3genE6ELNS1_11target_archE950ELNS1_3gpuE13ELNS1_3repE0EEENS1_47radix_sort_onesweep_sort_config_static_selectorELNS0_4arch9wavefront6targetE0EEEvSG_
                                        ; -- End function
	.set _ZN7rocprim17ROCPRIM_400000_NS6detail17trampoline_kernelINS0_14default_configENS1_35radix_sort_onesweep_config_selectorIfNS0_10empty_typeEEEZZNS1_29radix_sort_onesweep_iterationIS3_Lb0EPKfPfPS5_SB_mNS0_19identity_decomposerENS1_16block_id_wrapperIjLb0EEEEE10hipError_tT1_PNSt15iterator_traitsISG_E10value_typeET2_T3_PNSH_ISM_E10value_typeET4_T5_PSR_SS_PNS1_23onesweep_lookback_stateEbbT6_jjT7_P12ihipStream_tbENKUlT_T0_SG_SL_E_clIS9_SA_SB_SB_EEDaSZ_S10_SG_SL_EUlSZ_E_NS1_11comp_targetILNS1_3genE6ELNS1_11target_archE950ELNS1_3gpuE13ELNS1_3repE0EEENS1_47radix_sort_onesweep_sort_config_static_selectorELNS0_4arch9wavefront6targetE0EEEvSG_.num_vgpr, 0
	.set _ZN7rocprim17ROCPRIM_400000_NS6detail17trampoline_kernelINS0_14default_configENS1_35radix_sort_onesweep_config_selectorIfNS0_10empty_typeEEEZZNS1_29radix_sort_onesweep_iterationIS3_Lb0EPKfPfPS5_SB_mNS0_19identity_decomposerENS1_16block_id_wrapperIjLb0EEEEE10hipError_tT1_PNSt15iterator_traitsISG_E10value_typeET2_T3_PNSH_ISM_E10value_typeET4_T5_PSR_SS_PNS1_23onesweep_lookback_stateEbbT6_jjT7_P12ihipStream_tbENKUlT_T0_SG_SL_E_clIS9_SA_SB_SB_EEDaSZ_S10_SG_SL_EUlSZ_E_NS1_11comp_targetILNS1_3genE6ELNS1_11target_archE950ELNS1_3gpuE13ELNS1_3repE0EEENS1_47radix_sort_onesweep_sort_config_static_selectorELNS0_4arch9wavefront6targetE0EEEvSG_.num_agpr, 0
	.set _ZN7rocprim17ROCPRIM_400000_NS6detail17trampoline_kernelINS0_14default_configENS1_35radix_sort_onesweep_config_selectorIfNS0_10empty_typeEEEZZNS1_29radix_sort_onesweep_iterationIS3_Lb0EPKfPfPS5_SB_mNS0_19identity_decomposerENS1_16block_id_wrapperIjLb0EEEEE10hipError_tT1_PNSt15iterator_traitsISG_E10value_typeET2_T3_PNSH_ISM_E10value_typeET4_T5_PSR_SS_PNS1_23onesweep_lookback_stateEbbT6_jjT7_P12ihipStream_tbENKUlT_T0_SG_SL_E_clIS9_SA_SB_SB_EEDaSZ_S10_SG_SL_EUlSZ_E_NS1_11comp_targetILNS1_3genE6ELNS1_11target_archE950ELNS1_3gpuE13ELNS1_3repE0EEENS1_47radix_sort_onesweep_sort_config_static_selectorELNS0_4arch9wavefront6targetE0EEEvSG_.numbered_sgpr, 0
	.set _ZN7rocprim17ROCPRIM_400000_NS6detail17trampoline_kernelINS0_14default_configENS1_35radix_sort_onesweep_config_selectorIfNS0_10empty_typeEEEZZNS1_29radix_sort_onesweep_iterationIS3_Lb0EPKfPfPS5_SB_mNS0_19identity_decomposerENS1_16block_id_wrapperIjLb0EEEEE10hipError_tT1_PNSt15iterator_traitsISG_E10value_typeET2_T3_PNSH_ISM_E10value_typeET4_T5_PSR_SS_PNS1_23onesweep_lookback_stateEbbT6_jjT7_P12ihipStream_tbENKUlT_T0_SG_SL_E_clIS9_SA_SB_SB_EEDaSZ_S10_SG_SL_EUlSZ_E_NS1_11comp_targetILNS1_3genE6ELNS1_11target_archE950ELNS1_3gpuE13ELNS1_3repE0EEENS1_47radix_sort_onesweep_sort_config_static_selectorELNS0_4arch9wavefront6targetE0EEEvSG_.num_named_barrier, 0
	.set _ZN7rocprim17ROCPRIM_400000_NS6detail17trampoline_kernelINS0_14default_configENS1_35radix_sort_onesweep_config_selectorIfNS0_10empty_typeEEEZZNS1_29radix_sort_onesweep_iterationIS3_Lb0EPKfPfPS5_SB_mNS0_19identity_decomposerENS1_16block_id_wrapperIjLb0EEEEE10hipError_tT1_PNSt15iterator_traitsISG_E10value_typeET2_T3_PNSH_ISM_E10value_typeET4_T5_PSR_SS_PNS1_23onesweep_lookback_stateEbbT6_jjT7_P12ihipStream_tbENKUlT_T0_SG_SL_E_clIS9_SA_SB_SB_EEDaSZ_S10_SG_SL_EUlSZ_E_NS1_11comp_targetILNS1_3genE6ELNS1_11target_archE950ELNS1_3gpuE13ELNS1_3repE0EEENS1_47radix_sort_onesweep_sort_config_static_selectorELNS0_4arch9wavefront6targetE0EEEvSG_.private_seg_size, 0
	.set _ZN7rocprim17ROCPRIM_400000_NS6detail17trampoline_kernelINS0_14default_configENS1_35radix_sort_onesweep_config_selectorIfNS0_10empty_typeEEEZZNS1_29radix_sort_onesweep_iterationIS3_Lb0EPKfPfPS5_SB_mNS0_19identity_decomposerENS1_16block_id_wrapperIjLb0EEEEE10hipError_tT1_PNSt15iterator_traitsISG_E10value_typeET2_T3_PNSH_ISM_E10value_typeET4_T5_PSR_SS_PNS1_23onesweep_lookback_stateEbbT6_jjT7_P12ihipStream_tbENKUlT_T0_SG_SL_E_clIS9_SA_SB_SB_EEDaSZ_S10_SG_SL_EUlSZ_E_NS1_11comp_targetILNS1_3genE6ELNS1_11target_archE950ELNS1_3gpuE13ELNS1_3repE0EEENS1_47radix_sort_onesweep_sort_config_static_selectorELNS0_4arch9wavefront6targetE0EEEvSG_.uses_vcc, 0
	.set _ZN7rocprim17ROCPRIM_400000_NS6detail17trampoline_kernelINS0_14default_configENS1_35radix_sort_onesweep_config_selectorIfNS0_10empty_typeEEEZZNS1_29radix_sort_onesweep_iterationIS3_Lb0EPKfPfPS5_SB_mNS0_19identity_decomposerENS1_16block_id_wrapperIjLb0EEEEE10hipError_tT1_PNSt15iterator_traitsISG_E10value_typeET2_T3_PNSH_ISM_E10value_typeET4_T5_PSR_SS_PNS1_23onesweep_lookback_stateEbbT6_jjT7_P12ihipStream_tbENKUlT_T0_SG_SL_E_clIS9_SA_SB_SB_EEDaSZ_S10_SG_SL_EUlSZ_E_NS1_11comp_targetILNS1_3genE6ELNS1_11target_archE950ELNS1_3gpuE13ELNS1_3repE0EEENS1_47radix_sort_onesweep_sort_config_static_selectorELNS0_4arch9wavefront6targetE0EEEvSG_.uses_flat_scratch, 0
	.set _ZN7rocprim17ROCPRIM_400000_NS6detail17trampoline_kernelINS0_14default_configENS1_35radix_sort_onesweep_config_selectorIfNS0_10empty_typeEEEZZNS1_29radix_sort_onesweep_iterationIS3_Lb0EPKfPfPS5_SB_mNS0_19identity_decomposerENS1_16block_id_wrapperIjLb0EEEEE10hipError_tT1_PNSt15iterator_traitsISG_E10value_typeET2_T3_PNSH_ISM_E10value_typeET4_T5_PSR_SS_PNS1_23onesweep_lookback_stateEbbT6_jjT7_P12ihipStream_tbENKUlT_T0_SG_SL_E_clIS9_SA_SB_SB_EEDaSZ_S10_SG_SL_EUlSZ_E_NS1_11comp_targetILNS1_3genE6ELNS1_11target_archE950ELNS1_3gpuE13ELNS1_3repE0EEENS1_47radix_sort_onesweep_sort_config_static_selectorELNS0_4arch9wavefront6targetE0EEEvSG_.has_dyn_sized_stack, 0
	.set _ZN7rocprim17ROCPRIM_400000_NS6detail17trampoline_kernelINS0_14default_configENS1_35radix_sort_onesweep_config_selectorIfNS0_10empty_typeEEEZZNS1_29radix_sort_onesweep_iterationIS3_Lb0EPKfPfPS5_SB_mNS0_19identity_decomposerENS1_16block_id_wrapperIjLb0EEEEE10hipError_tT1_PNSt15iterator_traitsISG_E10value_typeET2_T3_PNSH_ISM_E10value_typeET4_T5_PSR_SS_PNS1_23onesweep_lookback_stateEbbT6_jjT7_P12ihipStream_tbENKUlT_T0_SG_SL_E_clIS9_SA_SB_SB_EEDaSZ_S10_SG_SL_EUlSZ_E_NS1_11comp_targetILNS1_3genE6ELNS1_11target_archE950ELNS1_3gpuE13ELNS1_3repE0EEENS1_47radix_sort_onesweep_sort_config_static_selectorELNS0_4arch9wavefront6targetE0EEEvSG_.has_recursion, 0
	.set _ZN7rocprim17ROCPRIM_400000_NS6detail17trampoline_kernelINS0_14default_configENS1_35radix_sort_onesweep_config_selectorIfNS0_10empty_typeEEEZZNS1_29radix_sort_onesweep_iterationIS3_Lb0EPKfPfPS5_SB_mNS0_19identity_decomposerENS1_16block_id_wrapperIjLb0EEEEE10hipError_tT1_PNSt15iterator_traitsISG_E10value_typeET2_T3_PNSH_ISM_E10value_typeET4_T5_PSR_SS_PNS1_23onesweep_lookback_stateEbbT6_jjT7_P12ihipStream_tbENKUlT_T0_SG_SL_E_clIS9_SA_SB_SB_EEDaSZ_S10_SG_SL_EUlSZ_E_NS1_11comp_targetILNS1_3genE6ELNS1_11target_archE950ELNS1_3gpuE13ELNS1_3repE0EEENS1_47radix_sort_onesweep_sort_config_static_selectorELNS0_4arch9wavefront6targetE0EEEvSG_.has_indirect_call, 0
	.section	.AMDGPU.csdata,"",@progbits
; Kernel info:
; codeLenInByte = 0
; TotalNumSgprs: 0
; NumVgprs: 0
; ScratchSize: 0
; MemoryBound: 0
; FloatMode: 240
; IeeeMode: 1
; LDSByteSize: 0 bytes/workgroup (compile time only)
; SGPRBlocks: 0
; VGPRBlocks: 0
; NumSGPRsForWavesPerEU: 1
; NumVGPRsForWavesPerEU: 1
; NamedBarCnt: 0
; Occupancy: 16
; WaveLimiterHint : 0
; COMPUTE_PGM_RSRC2:SCRATCH_EN: 0
; COMPUTE_PGM_RSRC2:USER_SGPR: 2
; COMPUTE_PGM_RSRC2:TRAP_HANDLER: 0
; COMPUTE_PGM_RSRC2:TGID_X_EN: 1
; COMPUTE_PGM_RSRC2:TGID_Y_EN: 0
; COMPUTE_PGM_RSRC2:TGID_Z_EN: 0
; COMPUTE_PGM_RSRC2:TIDIG_COMP_CNT: 0
	.section	.text._ZN7rocprim17ROCPRIM_400000_NS6detail17trampoline_kernelINS0_14default_configENS1_35radix_sort_onesweep_config_selectorIfNS0_10empty_typeEEEZZNS1_29radix_sort_onesweep_iterationIS3_Lb0EPKfPfPS5_SB_mNS0_19identity_decomposerENS1_16block_id_wrapperIjLb0EEEEE10hipError_tT1_PNSt15iterator_traitsISG_E10value_typeET2_T3_PNSH_ISM_E10value_typeET4_T5_PSR_SS_PNS1_23onesweep_lookback_stateEbbT6_jjT7_P12ihipStream_tbENKUlT_T0_SG_SL_E_clIS9_SA_SB_SB_EEDaSZ_S10_SG_SL_EUlSZ_E_NS1_11comp_targetILNS1_3genE5ELNS1_11target_archE942ELNS1_3gpuE9ELNS1_3repE0EEENS1_47radix_sort_onesweep_sort_config_static_selectorELNS0_4arch9wavefront6targetE0EEEvSG_,"axG",@progbits,_ZN7rocprim17ROCPRIM_400000_NS6detail17trampoline_kernelINS0_14default_configENS1_35radix_sort_onesweep_config_selectorIfNS0_10empty_typeEEEZZNS1_29radix_sort_onesweep_iterationIS3_Lb0EPKfPfPS5_SB_mNS0_19identity_decomposerENS1_16block_id_wrapperIjLb0EEEEE10hipError_tT1_PNSt15iterator_traitsISG_E10value_typeET2_T3_PNSH_ISM_E10value_typeET4_T5_PSR_SS_PNS1_23onesweep_lookback_stateEbbT6_jjT7_P12ihipStream_tbENKUlT_T0_SG_SL_E_clIS9_SA_SB_SB_EEDaSZ_S10_SG_SL_EUlSZ_E_NS1_11comp_targetILNS1_3genE5ELNS1_11target_archE942ELNS1_3gpuE9ELNS1_3repE0EEENS1_47radix_sort_onesweep_sort_config_static_selectorELNS0_4arch9wavefront6targetE0EEEvSG_,comdat
	.protected	_ZN7rocprim17ROCPRIM_400000_NS6detail17trampoline_kernelINS0_14default_configENS1_35radix_sort_onesweep_config_selectorIfNS0_10empty_typeEEEZZNS1_29radix_sort_onesweep_iterationIS3_Lb0EPKfPfPS5_SB_mNS0_19identity_decomposerENS1_16block_id_wrapperIjLb0EEEEE10hipError_tT1_PNSt15iterator_traitsISG_E10value_typeET2_T3_PNSH_ISM_E10value_typeET4_T5_PSR_SS_PNS1_23onesweep_lookback_stateEbbT6_jjT7_P12ihipStream_tbENKUlT_T0_SG_SL_E_clIS9_SA_SB_SB_EEDaSZ_S10_SG_SL_EUlSZ_E_NS1_11comp_targetILNS1_3genE5ELNS1_11target_archE942ELNS1_3gpuE9ELNS1_3repE0EEENS1_47radix_sort_onesweep_sort_config_static_selectorELNS0_4arch9wavefront6targetE0EEEvSG_ ; -- Begin function _ZN7rocprim17ROCPRIM_400000_NS6detail17trampoline_kernelINS0_14default_configENS1_35radix_sort_onesweep_config_selectorIfNS0_10empty_typeEEEZZNS1_29radix_sort_onesweep_iterationIS3_Lb0EPKfPfPS5_SB_mNS0_19identity_decomposerENS1_16block_id_wrapperIjLb0EEEEE10hipError_tT1_PNSt15iterator_traitsISG_E10value_typeET2_T3_PNSH_ISM_E10value_typeET4_T5_PSR_SS_PNS1_23onesweep_lookback_stateEbbT6_jjT7_P12ihipStream_tbENKUlT_T0_SG_SL_E_clIS9_SA_SB_SB_EEDaSZ_S10_SG_SL_EUlSZ_E_NS1_11comp_targetILNS1_3genE5ELNS1_11target_archE942ELNS1_3gpuE9ELNS1_3repE0EEENS1_47radix_sort_onesweep_sort_config_static_selectorELNS0_4arch9wavefront6targetE0EEEvSG_
	.globl	_ZN7rocprim17ROCPRIM_400000_NS6detail17trampoline_kernelINS0_14default_configENS1_35radix_sort_onesweep_config_selectorIfNS0_10empty_typeEEEZZNS1_29radix_sort_onesweep_iterationIS3_Lb0EPKfPfPS5_SB_mNS0_19identity_decomposerENS1_16block_id_wrapperIjLb0EEEEE10hipError_tT1_PNSt15iterator_traitsISG_E10value_typeET2_T3_PNSH_ISM_E10value_typeET4_T5_PSR_SS_PNS1_23onesweep_lookback_stateEbbT6_jjT7_P12ihipStream_tbENKUlT_T0_SG_SL_E_clIS9_SA_SB_SB_EEDaSZ_S10_SG_SL_EUlSZ_E_NS1_11comp_targetILNS1_3genE5ELNS1_11target_archE942ELNS1_3gpuE9ELNS1_3repE0EEENS1_47radix_sort_onesweep_sort_config_static_selectorELNS0_4arch9wavefront6targetE0EEEvSG_
	.p2align	8
	.type	_ZN7rocprim17ROCPRIM_400000_NS6detail17trampoline_kernelINS0_14default_configENS1_35radix_sort_onesweep_config_selectorIfNS0_10empty_typeEEEZZNS1_29radix_sort_onesweep_iterationIS3_Lb0EPKfPfPS5_SB_mNS0_19identity_decomposerENS1_16block_id_wrapperIjLb0EEEEE10hipError_tT1_PNSt15iterator_traitsISG_E10value_typeET2_T3_PNSH_ISM_E10value_typeET4_T5_PSR_SS_PNS1_23onesweep_lookback_stateEbbT6_jjT7_P12ihipStream_tbENKUlT_T0_SG_SL_E_clIS9_SA_SB_SB_EEDaSZ_S10_SG_SL_EUlSZ_E_NS1_11comp_targetILNS1_3genE5ELNS1_11target_archE942ELNS1_3gpuE9ELNS1_3repE0EEENS1_47radix_sort_onesweep_sort_config_static_selectorELNS0_4arch9wavefront6targetE0EEEvSG_,@function
_ZN7rocprim17ROCPRIM_400000_NS6detail17trampoline_kernelINS0_14default_configENS1_35radix_sort_onesweep_config_selectorIfNS0_10empty_typeEEEZZNS1_29radix_sort_onesweep_iterationIS3_Lb0EPKfPfPS5_SB_mNS0_19identity_decomposerENS1_16block_id_wrapperIjLb0EEEEE10hipError_tT1_PNSt15iterator_traitsISG_E10value_typeET2_T3_PNSH_ISM_E10value_typeET4_T5_PSR_SS_PNS1_23onesweep_lookback_stateEbbT6_jjT7_P12ihipStream_tbENKUlT_T0_SG_SL_E_clIS9_SA_SB_SB_EEDaSZ_S10_SG_SL_EUlSZ_E_NS1_11comp_targetILNS1_3genE5ELNS1_11target_archE942ELNS1_3gpuE9ELNS1_3repE0EEENS1_47radix_sort_onesweep_sort_config_static_selectorELNS0_4arch9wavefront6targetE0EEEvSG_: ; @_ZN7rocprim17ROCPRIM_400000_NS6detail17trampoline_kernelINS0_14default_configENS1_35radix_sort_onesweep_config_selectorIfNS0_10empty_typeEEEZZNS1_29radix_sort_onesweep_iterationIS3_Lb0EPKfPfPS5_SB_mNS0_19identity_decomposerENS1_16block_id_wrapperIjLb0EEEEE10hipError_tT1_PNSt15iterator_traitsISG_E10value_typeET2_T3_PNSH_ISM_E10value_typeET4_T5_PSR_SS_PNS1_23onesweep_lookback_stateEbbT6_jjT7_P12ihipStream_tbENKUlT_T0_SG_SL_E_clIS9_SA_SB_SB_EEDaSZ_S10_SG_SL_EUlSZ_E_NS1_11comp_targetILNS1_3genE5ELNS1_11target_archE942ELNS1_3gpuE9ELNS1_3repE0EEENS1_47radix_sort_onesweep_sort_config_static_selectorELNS0_4arch9wavefront6targetE0EEEvSG_
; %bb.0:
	.section	.rodata,"a",@progbits
	.p2align	6, 0x0
	.amdhsa_kernel _ZN7rocprim17ROCPRIM_400000_NS6detail17trampoline_kernelINS0_14default_configENS1_35radix_sort_onesweep_config_selectorIfNS0_10empty_typeEEEZZNS1_29radix_sort_onesweep_iterationIS3_Lb0EPKfPfPS5_SB_mNS0_19identity_decomposerENS1_16block_id_wrapperIjLb0EEEEE10hipError_tT1_PNSt15iterator_traitsISG_E10value_typeET2_T3_PNSH_ISM_E10value_typeET4_T5_PSR_SS_PNS1_23onesweep_lookback_stateEbbT6_jjT7_P12ihipStream_tbENKUlT_T0_SG_SL_E_clIS9_SA_SB_SB_EEDaSZ_S10_SG_SL_EUlSZ_E_NS1_11comp_targetILNS1_3genE5ELNS1_11target_archE942ELNS1_3gpuE9ELNS1_3repE0EEENS1_47radix_sort_onesweep_sort_config_static_selectorELNS0_4arch9wavefront6targetE0EEEvSG_
		.amdhsa_group_segment_fixed_size 0
		.amdhsa_private_segment_fixed_size 0
		.amdhsa_kernarg_size 88
		.amdhsa_user_sgpr_count 2
		.amdhsa_user_sgpr_dispatch_ptr 0
		.amdhsa_user_sgpr_queue_ptr 0
		.amdhsa_user_sgpr_kernarg_segment_ptr 1
		.amdhsa_user_sgpr_dispatch_id 0
		.amdhsa_user_sgpr_kernarg_preload_length 0
		.amdhsa_user_sgpr_kernarg_preload_offset 0
		.amdhsa_user_sgpr_private_segment_size 0
		.amdhsa_wavefront_size32 1
		.amdhsa_uses_dynamic_stack 0
		.amdhsa_enable_private_segment 0
		.amdhsa_system_sgpr_workgroup_id_x 1
		.amdhsa_system_sgpr_workgroup_id_y 0
		.amdhsa_system_sgpr_workgroup_id_z 0
		.amdhsa_system_sgpr_workgroup_info 0
		.amdhsa_system_vgpr_workitem_id 0
		.amdhsa_next_free_vgpr 1
		.amdhsa_next_free_sgpr 1
		.amdhsa_named_barrier_count 0
		.amdhsa_reserve_vcc 0
		.amdhsa_float_round_mode_32 0
		.amdhsa_float_round_mode_16_64 0
		.amdhsa_float_denorm_mode_32 3
		.amdhsa_float_denorm_mode_16_64 3
		.amdhsa_fp16_overflow 0
		.amdhsa_memory_ordered 1
		.amdhsa_forward_progress 1
		.amdhsa_inst_pref_size 0
		.amdhsa_round_robin_scheduling 0
		.amdhsa_exception_fp_ieee_invalid_op 0
		.amdhsa_exception_fp_denorm_src 0
		.amdhsa_exception_fp_ieee_div_zero 0
		.amdhsa_exception_fp_ieee_overflow 0
		.amdhsa_exception_fp_ieee_underflow 0
		.amdhsa_exception_fp_ieee_inexact 0
		.amdhsa_exception_int_div_zero 0
	.end_amdhsa_kernel
	.section	.text._ZN7rocprim17ROCPRIM_400000_NS6detail17trampoline_kernelINS0_14default_configENS1_35radix_sort_onesweep_config_selectorIfNS0_10empty_typeEEEZZNS1_29radix_sort_onesweep_iterationIS3_Lb0EPKfPfPS5_SB_mNS0_19identity_decomposerENS1_16block_id_wrapperIjLb0EEEEE10hipError_tT1_PNSt15iterator_traitsISG_E10value_typeET2_T3_PNSH_ISM_E10value_typeET4_T5_PSR_SS_PNS1_23onesweep_lookback_stateEbbT6_jjT7_P12ihipStream_tbENKUlT_T0_SG_SL_E_clIS9_SA_SB_SB_EEDaSZ_S10_SG_SL_EUlSZ_E_NS1_11comp_targetILNS1_3genE5ELNS1_11target_archE942ELNS1_3gpuE9ELNS1_3repE0EEENS1_47radix_sort_onesweep_sort_config_static_selectorELNS0_4arch9wavefront6targetE0EEEvSG_,"axG",@progbits,_ZN7rocprim17ROCPRIM_400000_NS6detail17trampoline_kernelINS0_14default_configENS1_35radix_sort_onesweep_config_selectorIfNS0_10empty_typeEEEZZNS1_29radix_sort_onesweep_iterationIS3_Lb0EPKfPfPS5_SB_mNS0_19identity_decomposerENS1_16block_id_wrapperIjLb0EEEEE10hipError_tT1_PNSt15iterator_traitsISG_E10value_typeET2_T3_PNSH_ISM_E10value_typeET4_T5_PSR_SS_PNS1_23onesweep_lookback_stateEbbT6_jjT7_P12ihipStream_tbENKUlT_T0_SG_SL_E_clIS9_SA_SB_SB_EEDaSZ_S10_SG_SL_EUlSZ_E_NS1_11comp_targetILNS1_3genE5ELNS1_11target_archE942ELNS1_3gpuE9ELNS1_3repE0EEENS1_47radix_sort_onesweep_sort_config_static_selectorELNS0_4arch9wavefront6targetE0EEEvSG_,comdat
.Lfunc_end1426:
	.size	_ZN7rocprim17ROCPRIM_400000_NS6detail17trampoline_kernelINS0_14default_configENS1_35radix_sort_onesweep_config_selectorIfNS0_10empty_typeEEEZZNS1_29radix_sort_onesweep_iterationIS3_Lb0EPKfPfPS5_SB_mNS0_19identity_decomposerENS1_16block_id_wrapperIjLb0EEEEE10hipError_tT1_PNSt15iterator_traitsISG_E10value_typeET2_T3_PNSH_ISM_E10value_typeET4_T5_PSR_SS_PNS1_23onesweep_lookback_stateEbbT6_jjT7_P12ihipStream_tbENKUlT_T0_SG_SL_E_clIS9_SA_SB_SB_EEDaSZ_S10_SG_SL_EUlSZ_E_NS1_11comp_targetILNS1_3genE5ELNS1_11target_archE942ELNS1_3gpuE9ELNS1_3repE0EEENS1_47radix_sort_onesweep_sort_config_static_selectorELNS0_4arch9wavefront6targetE0EEEvSG_, .Lfunc_end1426-_ZN7rocprim17ROCPRIM_400000_NS6detail17trampoline_kernelINS0_14default_configENS1_35radix_sort_onesweep_config_selectorIfNS0_10empty_typeEEEZZNS1_29radix_sort_onesweep_iterationIS3_Lb0EPKfPfPS5_SB_mNS0_19identity_decomposerENS1_16block_id_wrapperIjLb0EEEEE10hipError_tT1_PNSt15iterator_traitsISG_E10value_typeET2_T3_PNSH_ISM_E10value_typeET4_T5_PSR_SS_PNS1_23onesweep_lookback_stateEbbT6_jjT7_P12ihipStream_tbENKUlT_T0_SG_SL_E_clIS9_SA_SB_SB_EEDaSZ_S10_SG_SL_EUlSZ_E_NS1_11comp_targetILNS1_3genE5ELNS1_11target_archE942ELNS1_3gpuE9ELNS1_3repE0EEENS1_47radix_sort_onesweep_sort_config_static_selectorELNS0_4arch9wavefront6targetE0EEEvSG_
                                        ; -- End function
	.set _ZN7rocprim17ROCPRIM_400000_NS6detail17trampoline_kernelINS0_14default_configENS1_35radix_sort_onesweep_config_selectorIfNS0_10empty_typeEEEZZNS1_29radix_sort_onesweep_iterationIS3_Lb0EPKfPfPS5_SB_mNS0_19identity_decomposerENS1_16block_id_wrapperIjLb0EEEEE10hipError_tT1_PNSt15iterator_traitsISG_E10value_typeET2_T3_PNSH_ISM_E10value_typeET4_T5_PSR_SS_PNS1_23onesweep_lookback_stateEbbT6_jjT7_P12ihipStream_tbENKUlT_T0_SG_SL_E_clIS9_SA_SB_SB_EEDaSZ_S10_SG_SL_EUlSZ_E_NS1_11comp_targetILNS1_3genE5ELNS1_11target_archE942ELNS1_3gpuE9ELNS1_3repE0EEENS1_47radix_sort_onesweep_sort_config_static_selectorELNS0_4arch9wavefront6targetE0EEEvSG_.num_vgpr, 0
	.set _ZN7rocprim17ROCPRIM_400000_NS6detail17trampoline_kernelINS0_14default_configENS1_35radix_sort_onesweep_config_selectorIfNS0_10empty_typeEEEZZNS1_29radix_sort_onesweep_iterationIS3_Lb0EPKfPfPS5_SB_mNS0_19identity_decomposerENS1_16block_id_wrapperIjLb0EEEEE10hipError_tT1_PNSt15iterator_traitsISG_E10value_typeET2_T3_PNSH_ISM_E10value_typeET4_T5_PSR_SS_PNS1_23onesweep_lookback_stateEbbT6_jjT7_P12ihipStream_tbENKUlT_T0_SG_SL_E_clIS9_SA_SB_SB_EEDaSZ_S10_SG_SL_EUlSZ_E_NS1_11comp_targetILNS1_3genE5ELNS1_11target_archE942ELNS1_3gpuE9ELNS1_3repE0EEENS1_47radix_sort_onesweep_sort_config_static_selectorELNS0_4arch9wavefront6targetE0EEEvSG_.num_agpr, 0
	.set _ZN7rocprim17ROCPRIM_400000_NS6detail17trampoline_kernelINS0_14default_configENS1_35radix_sort_onesweep_config_selectorIfNS0_10empty_typeEEEZZNS1_29radix_sort_onesweep_iterationIS3_Lb0EPKfPfPS5_SB_mNS0_19identity_decomposerENS1_16block_id_wrapperIjLb0EEEEE10hipError_tT1_PNSt15iterator_traitsISG_E10value_typeET2_T3_PNSH_ISM_E10value_typeET4_T5_PSR_SS_PNS1_23onesweep_lookback_stateEbbT6_jjT7_P12ihipStream_tbENKUlT_T0_SG_SL_E_clIS9_SA_SB_SB_EEDaSZ_S10_SG_SL_EUlSZ_E_NS1_11comp_targetILNS1_3genE5ELNS1_11target_archE942ELNS1_3gpuE9ELNS1_3repE0EEENS1_47radix_sort_onesweep_sort_config_static_selectorELNS0_4arch9wavefront6targetE0EEEvSG_.numbered_sgpr, 0
	.set _ZN7rocprim17ROCPRIM_400000_NS6detail17trampoline_kernelINS0_14default_configENS1_35radix_sort_onesweep_config_selectorIfNS0_10empty_typeEEEZZNS1_29radix_sort_onesweep_iterationIS3_Lb0EPKfPfPS5_SB_mNS0_19identity_decomposerENS1_16block_id_wrapperIjLb0EEEEE10hipError_tT1_PNSt15iterator_traitsISG_E10value_typeET2_T3_PNSH_ISM_E10value_typeET4_T5_PSR_SS_PNS1_23onesweep_lookback_stateEbbT6_jjT7_P12ihipStream_tbENKUlT_T0_SG_SL_E_clIS9_SA_SB_SB_EEDaSZ_S10_SG_SL_EUlSZ_E_NS1_11comp_targetILNS1_3genE5ELNS1_11target_archE942ELNS1_3gpuE9ELNS1_3repE0EEENS1_47radix_sort_onesweep_sort_config_static_selectorELNS0_4arch9wavefront6targetE0EEEvSG_.num_named_barrier, 0
	.set _ZN7rocprim17ROCPRIM_400000_NS6detail17trampoline_kernelINS0_14default_configENS1_35radix_sort_onesweep_config_selectorIfNS0_10empty_typeEEEZZNS1_29radix_sort_onesweep_iterationIS3_Lb0EPKfPfPS5_SB_mNS0_19identity_decomposerENS1_16block_id_wrapperIjLb0EEEEE10hipError_tT1_PNSt15iterator_traitsISG_E10value_typeET2_T3_PNSH_ISM_E10value_typeET4_T5_PSR_SS_PNS1_23onesweep_lookback_stateEbbT6_jjT7_P12ihipStream_tbENKUlT_T0_SG_SL_E_clIS9_SA_SB_SB_EEDaSZ_S10_SG_SL_EUlSZ_E_NS1_11comp_targetILNS1_3genE5ELNS1_11target_archE942ELNS1_3gpuE9ELNS1_3repE0EEENS1_47radix_sort_onesweep_sort_config_static_selectorELNS0_4arch9wavefront6targetE0EEEvSG_.private_seg_size, 0
	.set _ZN7rocprim17ROCPRIM_400000_NS6detail17trampoline_kernelINS0_14default_configENS1_35radix_sort_onesweep_config_selectorIfNS0_10empty_typeEEEZZNS1_29radix_sort_onesweep_iterationIS3_Lb0EPKfPfPS5_SB_mNS0_19identity_decomposerENS1_16block_id_wrapperIjLb0EEEEE10hipError_tT1_PNSt15iterator_traitsISG_E10value_typeET2_T3_PNSH_ISM_E10value_typeET4_T5_PSR_SS_PNS1_23onesweep_lookback_stateEbbT6_jjT7_P12ihipStream_tbENKUlT_T0_SG_SL_E_clIS9_SA_SB_SB_EEDaSZ_S10_SG_SL_EUlSZ_E_NS1_11comp_targetILNS1_3genE5ELNS1_11target_archE942ELNS1_3gpuE9ELNS1_3repE0EEENS1_47radix_sort_onesweep_sort_config_static_selectorELNS0_4arch9wavefront6targetE0EEEvSG_.uses_vcc, 0
	.set _ZN7rocprim17ROCPRIM_400000_NS6detail17trampoline_kernelINS0_14default_configENS1_35radix_sort_onesweep_config_selectorIfNS0_10empty_typeEEEZZNS1_29radix_sort_onesweep_iterationIS3_Lb0EPKfPfPS5_SB_mNS0_19identity_decomposerENS1_16block_id_wrapperIjLb0EEEEE10hipError_tT1_PNSt15iterator_traitsISG_E10value_typeET2_T3_PNSH_ISM_E10value_typeET4_T5_PSR_SS_PNS1_23onesweep_lookback_stateEbbT6_jjT7_P12ihipStream_tbENKUlT_T0_SG_SL_E_clIS9_SA_SB_SB_EEDaSZ_S10_SG_SL_EUlSZ_E_NS1_11comp_targetILNS1_3genE5ELNS1_11target_archE942ELNS1_3gpuE9ELNS1_3repE0EEENS1_47radix_sort_onesweep_sort_config_static_selectorELNS0_4arch9wavefront6targetE0EEEvSG_.uses_flat_scratch, 0
	.set _ZN7rocprim17ROCPRIM_400000_NS6detail17trampoline_kernelINS0_14default_configENS1_35radix_sort_onesweep_config_selectorIfNS0_10empty_typeEEEZZNS1_29radix_sort_onesweep_iterationIS3_Lb0EPKfPfPS5_SB_mNS0_19identity_decomposerENS1_16block_id_wrapperIjLb0EEEEE10hipError_tT1_PNSt15iterator_traitsISG_E10value_typeET2_T3_PNSH_ISM_E10value_typeET4_T5_PSR_SS_PNS1_23onesweep_lookback_stateEbbT6_jjT7_P12ihipStream_tbENKUlT_T0_SG_SL_E_clIS9_SA_SB_SB_EEDaSZ_S10_SG_SL_EUlSZ_E_NS1_11comp_targetILNS1_3genE5ELNS1_11target_archE942ELNS1_3gpuE9ELNS1_3repE0EEENS1_47radix_sort_onesweep_sort_config_static_selectorELNS0_4arch9wavefront6targetE0EEEvSG_.has_dyn_sized_stack, 0
	.set _ZN7rocprim17ROCPRIM_400000_NS6detail17trampoline_kernelINS0_14default_configENS1_35radix_sort_onesweep_config_selectorIfNS0_10empty_typeEEEZZNS1_29radix_sort_onesweep_iterationIS3_Lb0EPKfPfPS5_SB_mNS0_19identity_decomposerENS1_16block_id_wrapperIjLb0EEEEE10hipError_tT1_PNSt15iterator_traitsISG_E10value_typeET2_T3_PNSH_ISM_E10value_typeET4_T5_PSR_SS_PNS1_23onesweep_lookback_stateEbbT6_jjT7_P12ihipStream_tbENKUlT_T0_SG_SL_E_clIS9_SA_SB_SB_EEDaSZ_S10_SG_SL_EUlSZ_E_NS1_11comp_targetILNS1_3genE5ELNS1_11target_archE942ELNS1_3gpuE9ELNS1_3repE0EEENS1_47radix_sort_onesweep_sort_config_static_selectorELNS0_4arch9wavefront6targetE0EEEvSG_.has_recursion, 0
	.set _ZN7rocprim17ROCPRIM_400000_NS6detail17trampoline_kernelINS0_14default_configENS1_35radix_sort_onesweep_config_selectorIfNS0_10empty_typeEEEZZNS1_29radix_sort_onesweep_iterationIS3_Lb0EPKfPfPS5_SB_mNS0_19identity_decomposerENS1_16block_id_wrapperIjLb0EEEEE10hipError_tT1_PNSt15iterator_traitsISG_E10value_typeET2_T3_PNSH_ISM_E10value_typeET4_T5_PSR_SS_PNS1_23onesweep_lookback_stateEbbT6_jjT7_P12ihipStream_tbENKUlT_T0_SG_SL_E_clIS9_SA_SB_SB_EEDaSZ_S10_SG_SL_EUlSZ_E_NS1_11comp_targetILNS1_3genE5ELNS1_11target_archE942ELNS1_3gpuE9ELNS1_3repE0EEENS1_47radix_sort_onesweep_sort_config_static_selectorELNS0_4arch9wavefront6targetE0EEEvSG_.has_indirect_call, 0
	.section	.AMDGPU.csdata,"",@progbits
; Kernel info:
; codeLenInByte = 0
; TotalNumSgprs: 0
; NumVgprs: 0
; ScratchSize: 0
; MemoryBound: 0
; FloatMode: 240
; IeeeMode: 1
; LDSByteSize: 0 bytes/workgroup (compile time only)
; SGPRBlocks: 0
; VGPRBlocks: 0
; NumSGPRsForWavesPerEU: 1
; NumVGPRsForWavesPerEU: 1
; NamedBarCnt: 0
; Occupancy: 16
; WaveLimiterHint : 0
; COMPUTE_PGM_RSRC2:SCRATCH_EN: 0
; COMPUTE_PGM_RSRC2:USER_SGPR: 2
; COMPUTE_PGM_RSRC2:TRAP_HANDLER: 0
; COMPUTE_PGM_RSRC2:TGID_X_EN: 1
; COMPUTE_PGM_RSRC2:TGID_Y_EN: 0
; COMPUTE_PGM_RSRC2:TGID_Z_EN: 0
; COMPUTE_PGM_RSRC2:TIDIG_COMP_CNT: 0
	.section	.text._ZN7rocprim17ROCPRIM_400000_NS6detail17trampoline_kernelINS0_14default_configENS1_35radix_sort_onesweep_config_selectorIfNS0_10empty_typeEEEZZNS1_29radix_sort_onesweep_iterationIS3_Lb0EPKfPfPS5_SB_mNS0_19identity_decomposerENS1_16block_id_wrapperIjLb0EEEEE10hipError_tT1_PNSt15iterator_traitsISG_E10value_typeET2_T3_PNSH_ISM_E10value_typeET4_T5_PSR_SS_PNS1_23onesweep_lookback_stateEbbT6_jjT7_P12ihipStream_tbENKUlT_T0_SG_SL_E_clIS9_SA_SB_SB_EEDaSZ_S10_SG_SL_EUlSZ_E_NS1_11comp_targetILNS1_3genE2ELNS1_11target_archE906ELNS1_3gpuE6ELNS1_3repE0EEENS1_47radix_sort_onesweep_sort_config_static_selectorELNS0_4arch9wavefront6targetE0EEEvSG_,"axG",@progbits,_ZN7rocprim17ROCPRIM_400000_NS6detail17trampoline_kernelINS0_14default_configENS1_35radix_sort_onesweep_config_selectorIfNS0_10empty_typeEEEZZNS1_29radix_sort_onesweep_iterationIS3_Lb0EPKfPfPS5_SB_mNS0_19identity_decomposerENS1_16block_id_wrapperIjLb0EEEEE10hipError_tT1_PNSt15iterator_traitsISG_E10value_typeET2_T3_PNSH_ISM_E10value_typeET4_T5_PSR_SS_PNS1_23onesweep_lookback_stateEbbT6_jjT7_P12ihipStream_tbENKUlT_T0_SG_SL_E_clIS9_SA_SB_SB_EEDaSZ_S10_SG_SL_EUlSZ_E_NS1_11comp_targetILNS1_3genE2ELNS1_11target_archE906ELNS1_3gpuE6ELNS1_3repE0EEENS1_47radix_sort_onesweep_sort_config_static_selectorELNS0_4arch9wavefront6targetE0EEEvSG_,comdat
	.protected	_ZN7rocprim17ROCPRIM_400000_NS6detail17trampoline_kernelINS0_14default_configENS1_35radix_sort_onesweep_config_selectorIfNS0_10empty_typeEEEZZNS1_29radix_sort_onesweep_iterationIS3_Lb0EPKfPfPS5_SB_mNS0_19identity_decomposerENS1_16block_id_wrapperIjLb0EEEEE10hipError_tT1_PNSt15iterator_traitsISG_E10value_typeET2_T3_PNSH_ISM_E10value_typeET4_T5_PSR_SS_PNS1_23onesweep_lookback_stateEbbT6_jjT7_P12ihipStream_tbENKUlT_T0_SG_SL_E_clIS9_SA_SB_SB_EEDaSZ_S10_SG_SL_EUlSZ_E_NS1_11comp_targetILNS1_3genE2ELNS1_11target_archE906ELNS1_3gpuE6ELNS1_3repE0EEENS1_47radix_sort_onesweep_sort_config_static_selectorELNS0_4arch9wavefront6targetE0EEEvSG_ ; -- Begin function _ZN7rocprim17ROCPRIM_400000_NS6detail17trampoline_kernelINS0_14default_configENS1_35radix_sort_onesweep_config_selectorIfNS0_10empty_typeEEEZZNS1_29radix_sort_onesweep_iterationIS3_Lb0EPKfPfPS5_SB_mNS0_19identity_decomposerENS1_16block_id_wrapperIjLb0EEEEE10hipError_tT1_PNSt15iterator_traitsISG_E10value_typeET2_T3_PNSH_ISM_E10value_typeET4_T5_PSR_SS_PNS1_23onesweep_lookback_stateEbbT6_jjT7_P12ihipStream_tbENKUlT_T0_SG_SL_E_clIS9_SA_SB_SB_EEDaSZ_S10_SG_SL_EUlSZ_E_NS1_11comp_targetILNS1_3genE2ELNS1_11target_archE906ELNS1_3gpuE6ELNS1_3repE0EEENS1_47radix_sort_onesweep_sort_config_static_selectorELNS0_4arch9wavefront6targetE0EEEvSG_
	.globl	_ZN7rocprim17ROCPRIM_400000_NS6detail17trampoline_kernelINS0_14default_configENS1_35radix_sort_onesweep_config_selectorIfNS0_10empty_typeEEEZZNS1_29radix_sort_onesweep_iterationIS3_Lb0EPKfPfPS5_SB_mNS0_19identity_decomposerENS1_16block_id_wrapperIjLb0EEEEE10hipError_tT1_PNSt15iterator_traitsISG_E10value_typeET2_T3_PNSH_ISM_E10value_typeET4_T5_PSR_SS_PNS1_23onesweep_lookback_stateEbbT6_jjT7_P12ihipStream_tbENKUlT_T0_SG_SL_E_clIS9_SA_SB_SB_EEDaSZ_S10_SG_SL_EUlSZ_E_NS1_11comp_targetILNS1_3genE2ELNS1_11target_archE906ELNS1_3gpuE6ELNS1_3repE0EEENS1_47radix_sort_onesweep_sort_config_static_selectorELNS0_4arch9wavefront6targetE0EEEvSG_
	.p2align	8
	.type	_ZN7rocprim17ROCPRIM_400000_NS6detail17trampoline_kernelINS0_14default_configENS1_35radix_sort_onesweep_config_selectorIfNS0_10empty_typeEEEZZNS1_29radix_sort_onesweep_iterationIS3_Lb0EPKfPfPS5_SB_mNS0_19identity_decomposerENS1_16block_id_wrapperIjLb0EEEEE10hipError_tT1_PNSt15iterator_traitsISG_E10value_typeET2_T3_PNSH_ISM_E10value_typeET4_T5_PSR_SS_PNS1_23onesweep_lookback_stateEbbT6_jjT7_P12ihipStream_tbENKUlT_T0_SG_SL_E_clIS9_SA_SB_SB_EEDaSZ_S10_SG_SL_EUlSZ_E_NS1_11comp_targetILNS1_3genE2ELNS1_11target_archE906ELNS1_3gpuE6ELNS1_3repE0EEENS1_47radix_sort_onesweep_sort_config_static_selectorELNS0_4arch9wavefront6targetE0EEEvSG_,@function
_ZN7rocprim17ROCPRIM_400000_NS6detail17trampoline_kernelINS0_14default_configENS1_35radix_sort_onesweep_config_selectorIfNS0_10empty_typeEEEZZNS1_29radix_sort_onesweep_iterationIS3_Lb0EPKfPfPS5_SB_mNS0_19identity_decomposerENS1_16block_id_wrapperIjLb0EEEEE10hipError_tT1_PNSt15iterator_traitsISG_E10value_typeET2_T3_PNSH_ISM_E10value_typeET4_T5_PSR_SS_PNS1_23onesweep_lookback_stateEbbT6_jjT7_P12ihipStream_tbENKUlT_T0_SG_SL_E_clIS9_SA_SB_SB_EEDaSZ_S10_SG_SL_EUlSZ_E_NS1_11comp_targetILNS1_3genE2ELNS1_11target_archE906ELNS1_3gpuE6ELNS1_3repE0EEENS1_47radix_sort_onesweep_sort_config_static_selectorELNS0_4arch9wavefront6targetE0EEEvSG_: ; @_ZN7rocprim17ROCPRIM_400000_NS6detail17trampoline_kernelINS0_14default_configENS1_35radix_sort_onesweep_config_selectorIfNS0_10empty_typeEEEZZNS1_29radix_sort_onesweep_iterationIS3_Lb0EPKfPfPS5_SB_mNS0_19identity_decomposerENS1_16block_id_wrapperIjLb0EEEEE10hipError_tT1_PNSt15iterator_traitsISG_E10value_typeET2_T3_PNSH_ISM_E10value_typeET4_T5_PSR_SS_PNS1_23onesweep_lookback_stateEbbT6_jjT7_P12ihipStream_tbENKUlT_T0_SG_SL_E_clIS9_SA_SB_SB_EEDaSZ_S10_SG_SL_EUlSZ_E_NS1_11comp_targetILNS1_3genE2ELNS1_11target_archE906ELNS1_3gpuE6ELNS1_3repE0EEENS1_47radix_sort_onesweep_sort_config_static_selectorELNS0_4arch9wavefront6targetE0EEEvSG_
; %bb.0:
	.section	.rodata,"a",@progbits
	.p2align	6, 0x0
	.amdhsa_kernel _ZN7rocprim17ROCPRIM_400000_NS6detail17trampoline_kernelINS0_14default_configENS1_35radix_sort_onesweep_config_selectorIfNS0_10empty_typeEEEZZNS1_29radix_sort_onesweep_iterationIS3_Lb0EPKfPfPS5_SB_mNS0_19identity_decomposerENS1_16block_id_wrapperIjLb0EEEEE10hipError_tT1_PNSt15iterator_traitsISG_E10value_typeET2_T3_PNSH_ISM_E10value_typeET4_T5_PSR_SS_PNS1_23onesweep_lookback_stateEbbT6_jjT7_P12ihipStream_tbENKUlT_T0_SG_SL_E_clIS9_SA_SB_SB_EEDaSZ_S10_SG_SL_EUlSZ_E_NS1_11comp_targetILNS1_3genE2ELNS1_11target_archE906ELNS1_3gpuE6ELNS1_3repE0EEENS1_47radix_sort_onesweep_sort_config_static_selectorELNS0_4arch9wavefront6targetE0EEEvSG_
		.amdhsa_group_segment_fixed_size 0
		.amdhsa_private_segment_fixed_size 0
		.amdhsa_kernarg_size 88
		.amdhsa_user_sgpr_count 2
		.amdhsa_user_sgpr_dispatch_ptr 0
		.amdhsa_user_sgpr_queue_ptr 0
		.amdhsa_user_sgpr_kernarg_segment_ptr 1
		.amdhsa_user_sgpr_dispatch_id 0
		.amdhsa_user_sgpr_kernarg_preload_length 0
		.amdhsa_user_sgpr_kernarg_preload_offset 0
		.amdhsa_user_sgpr_private_segment_size 0
		.amdhsa_wavefront_size32 1
		.amdhsa_uses_dynamic_stack 0
		.amdhsa_enable_private_segment 0
		.amdhsa_system_sgpr_workgroup_id_x 1
		.amdhsa_system_sgpr_workgroup_id_y 0
		.amdhsa_system_sgpr_workgroup_id_z 0
		.amdhsa_system_sgpr_workgroup_info 0
		.amdhsa_system_vgpr_workitem_id 0
		.amdhsa_next_free_vgpr 1
		.amdhsa_next_free_sgpr 1
		.amdhsa_named_barrier_count 0
		.amdhsa_reserve_vcc 0
		.amdhsa_float_round_mode_32 0
		.amdhsa_float_round_mode_16_64 0
		.amdhsa_float_denorm_mode_32 3
		.amdhsa_float_denorm_mode_16_64 3
		.amdhsa_fp16_overflow 0
		.amdhsa_memory_ordered 1
		.amdhsa_forward_progress 1
		.amdhsa_inst_pref_size 0
		.amdhsa_round_robin_scheduling 0
		.amdhsa_exception_fp_ieee_invalid_op 0
		.amdhsa_exception_fp_denorm_src 0
		.amdhsa_exception_fp_ieee_div_zero 0
		.amdhsa_exception_fp_ieee_overflow 0
		.amdhsa_exception_fp_ieee_underflow 0
		.amdhsa_exception_fp_ieee_inexact 0
		.amdhsa_exception_int_div_zero 0
	.end_amdhsa_kernel
	.section	.text._ZN7rocprim17ROCPRIM_400000_NS6detail17trampoline_kernelINS0_14default_configENS1_35radix_sort_onesweep_config_selectorIfNS0_10empty_typeEEEZZNS1_29radix_sort_onesweep_iterationIS3_Lb0EPKfPfPS5_SB_mNS0_19identity_decomposerENS1_16block_id_wrapperIjLb0EEEEE10hipError_tT1_PNSt15iterator_traitsISG_E10value_typeET2_T3_PNSH_ISM_E10value_typeET4_T5_PSR_SS_PNS1_23onesweep_lookback_stateEbbT6_jjT7_P12ihipStream_tbENKUlT_T0_SG_SL_E_clIS9_SA_SB_SB_EEDaSZ_S10_SG_SL_EUlSZ_E_NS1_11comp_targetILNS1_3genE2ELNS1_11target_archE906ELNS1_3gpuE6ELNS1_3repE0EEENS1_47radix_sort_onesweep_sort_config_static_selectorELNS0_4arch9wavefront6targetE0EEEvSG_,"axG",@progbits,_ZN7rocprim17ROCPRIM_400000_NS6detail17trampoline_kernelINS0_14default_configENS1_35radix_sort_onesweep_config_selectorIfNS0_10empty_typeEEEZZNS1_29radix_sort_onesweep_iterationIS3_Lb0EPKfPfPS5_SB_mNS0_19identity_decomposerENS1_16block_id_wrapperIjLb0EEEEE10hipError_tT1_PNSt15iterator_traitsISG_E10value_typeET2_T3_PNSH_ISM_E10value_typeET4_T5_PSR_SS_PNS1_23onesweep_lookback_stateEbbT6_jjT7_P12ihipStream_tbENKUlT_T0_SG_SL_E_clIS9_SA_SB_SB_EEDaSZ_S10_SG_SL_EUlSZ_E_NS1_11comp_targetILNS1_3genE2ELNS1_11target_archE906ELNS1_3gpuE6ELNS1_3repE0EEENS1_47radix_sort_onesweep_sort_config_static_selectorELNS0_4arch9wavefront6targetE0EEEvSG_,comdat
.Lfunc_end1427:
	.size	_ZN7rocprim17ROCPRIM_400000_NS6detail17trampoline_kernelINS0_14default_configENS1_35radix_sort_onesweep_config_selectorIfNS0_10empty_typeEEEZZNS1_29radix_sort_onesweep_iterationIS3_Lb0EPKfPfPS5_SB_mNS0_19identity_decomposerENS1_16block_id_wrapperIjLb0EEEEE10hipError_tT1_PNSt15iterator_traitsISG_E10value_typeET2_T3_PNSH_ISM_E10value_typeET4_T5_PSR_SS_PNS1_23onesweep_lookback_stateEbbT6_jjT7_P12ihipStream_tbENKUlT_T0_SG_SL_E_clIS9_SA_SB_SB_EEDaSZ_S10_SG_SL_EUlSZ_E_NS1_11comp_targetILNS1_3genE2ELNS1_11target_archE906ELNS1_3gpuE6ELNS1_3repE0EEENS1_47radix_sort_onesweep_sort_config_static_selectorELNS0_4arch9wavefront6targetE0EEEvSG_, .Lfunc_end1427-_ZN7rocprim17ROCPRIM_400000_NS6detail17trampoline_kernelINS0_14default_configENS1_35radix_sort_onesweep_config_selectorIfNS0_10empty_typeEEEZZNS1_29radix_sort_onesweep_iterationIS3_Lb0EPKfPfPS5_SB_mNS0_19identity_decomposerENS1_16block_id_wrapperIjLb0EEEEE10hipError_tT1_PNSt15iterator_traitsISG_E10value_typeET2_T3_PNSH_ISM_E10value_typeET4_T5_PSR_SS_PNS1_23onesweep_lookback_stateEbbT6_jjT7_P12ihipStream_tbENKUlT_T0_SG_SL_E_clIS9_SA_SB_SB_EEDaSZ_S10_SG_SL_EUlSZ_E_NS1_11comp_targetILNS1_3genE2ELNS1_11target_archE906ELNS1_3gpuE6ELNS1_3repE0EEENS1_47radix_sort_onesweep_sort_config_static_selectorELNS0_4arch9wavefront6targetE0EEEvSG_
                                        ; -- End function
	.set _ZN7rocprim17ROCPRIM_400000_NS6detail17trampoline_kernelINS0_14default_configENS1_35radix_sort_onesweep_config_selectorIfNS0_10empty_typeEEEZZNS1_29radix_sort_onesweep_iterationIS3_Lb0EPKfPfPS5_SB_mNS0_19identity_decomposerENS1_16block_id_wrapperIjLb0EEEEE10hipError_tT1_PNSt15iterator_traitsISG_E10value_typeET2_T3_PNSH_ISM_E10value_typeET4_T5_PSR_SS_PNS1_23onesweep_lookback_stateEbbT6_jjT7_P12ihipStream_tbENKUlT_T0_SG_SL_E_clIS9_SA_SB_SB_EEDaSZ_S10_SG_SL_EUlSZ_E_NS1_11comp_targetILNS1_3genE2ELNS1_11target_archE906ELNS1_3gpuE6ELNS1_3repE0EEENS1_47radix_sort_onesweep_sort_config_static_selectorELNS0_4arch9wavefront6targetE0EEEvSG_.num_vgpr, 0
	.set _ZN7rocprim17ROCPRIM_400000_NS6detail17trampoline_kernelINS0_14default_configENS1_35radix_sort_onesweep_config_selectorIfNS0_10empty_typeEEEZZNS1_29radix_sort_onesweep_iterationIS3_Lb0EPKfPfPS5_SB_mNS0_19identity_decomposerENS1_16block_id_wrapperIjLb0EEEEE10hipError_tT1_PNSt15iterator_traitsISG_E10value_typeET2_T3_PNSH_ISM_E10value_typeET4_T5_PSR_SS_PNS1_23onesweep_lookback_stateEbbT6_jjT7_P12ihipStream_tbENKUlT_T0_SG_SL_E_clIS9_SA_SB_SB_EEDaSZ_S10_SG_SL_EUlSZ_E_NS1_11comp_targetILNS1_3genE2ELNS1_11target_archE906ELNS1_3gpuE6ELNS1_3repE0EEENS1_47radix_sort_onesweep_sort_config_static_selectorELNS0_4arch9wavefront6targetE0EEEvSG_.num_agpr, 0
	.set _ZN7rocprim17ROCPRIM_400000_NS6detail17trampoline_kernelINS0_14default_configENS1_35radix_sort_onesweep_config_selectorIfNS0_10empty_typeEEEZZNS1_29radix_sort_onesweep_iterationIS3_Lb0EPKfPfPS5_SB_mNS0_19identity_decomposerENS1_16block_id_wrapperIjLb0EEEEE10hipError_tT1_PNSt15iterator_traitsISG_E10value_typeET2_T3_PNSH_ISM_E10value_typeET4_T5_PSR_SS_PNS1_23onesweep_lookback_stateEbbT6_jjT7_P12ihipStream_tbENKUlT_T0_SG_SL_E_clIS9_SA_SB_SB_EEDaSZ_S10_SG_SL_EUlSZ_E_NS1_11comp_targetILNS1_3genE2ELNS1_11target_archE906ELNS1_3gpuE6ELNS1_3repE0EEENS1_47radix_sort_onesweep_sort_config_static_selectorELNS0_4arch9wavefront6targetE0EEEvSG_.numbered_sgpr, 0
	.set _ZN7rocprim17ROCPRIM_400000_NS6detail17trampoline_kernelINS0_14default_configENS1_35radix_sort_onesweep_config_selectorIfNS0_10empty_typeEEEZZNS1_29radix_sort_onesweep_iterationIS3_Lb0EPKfPfPS5_SB_mNS0_19identity_decomposerENS1_16block_id_wrapperIjLb0EEEEE10hipError_tT1_PNSt15iterator_traitsISG_E10value_typeET2_T3_PNSH_ISM_E10value_typeET4_T5_PSR_SS_PNS1_23onesweep_lookback_stateEbbT6_jjT7_P12ihipStream_tbENKUlT_T0_SG_SL_E_clIS9_SA_SB_SB_EEDaSZ_S10_SG_SL_EUlSZ_E_NS1_11comp_targetILNS1_3genE2ELNS1_11target_archE906ELNS1_3gpuE6ELNS1_3repE0EEENS1_47radix_sort_onesweep_sort_config_static_selectorELNS0_4arch9wavefront6targetE0EEEvSG_.num_named_barrier, 0
	.set _ZN7rocprim17ROCPRIM_400000_NS6detail17trampoline_kernelINS0_14default_configENS1_35radix_sort_onesweep_config_selectorIfNS0_10empty_typeEEEZZNS1_29radix_sort_onesweep_iterationIS3_Lb0EPKfPfPS5_SB_mNS0_19identity_decomposerENS1_16block_id_wrapperIjLb0EEEEE10hipError_tT1_PNSt15iterator_traitsISG_E10value_typeET2_T3_PNSH_ISM_E10value_typeET4_T5_PSR_SS_PNS1_23onesweep_lookback_stateEbbT6_jjT7_P12ihipStream_tbENKUlT_T0_SG_SL_E_clIS9_SA_SB_SB_EEDaSZ_S10_SG_SL_EUlSZ_E_NS1_11comp_targetILNS1_3genE2ELNS1_11target_archE906ELNS1_3gpuE6ELNS1_3repE0EEENS1_47radix_sort_onesweep_sort_config_static_selectorELNS0_4arch9wavefront6targetE0EEEvSG_.private_seg_size, 0
	.set _ZN7rocprim17ROCPRIM_400000_NS6detail17trampoline_kernelINS0_14default_configENS1_35radix_sort_onesweep_config_selectorIfNS0_10empty_typeEEEZZNS1_29radix_sort_onesweep_iterationIS3_Lb0EPKfPfPS5_SB_mNS0_19identity_decomposerENS1_16block_id_wrapperIjLb0EEEEE10hipError_tT1_PNSt15iterator_traitsISG_E10value_typeET2_T3_PNSH_ISM_E10value_typeET4_T5_PSR_SS_PNS1_23onesweep_lookback_stateEbbT6_jjT7_P12ihipStream_tbENKUlT_T0_SG_SL_E_clIS9_SA_SB_SB_EEDaSZ_S10_SG_SL_EUlSZ_E_NS1_11comp_targetILNS1_3genE2ELNS1_11target_archE906ELNS1_3gpuE6ELNS1_3repE0EEENS1_47radix_sort_onesweep_sort_config_static_selectorELNS0_4arch9wavefront6targetE0EEEvSG_.uses_vcc, 0
	.set _ZN7rocprim17ROCPRIM_400000_NS6detail17trampoline_kernelINS0_14default_configENS1_35radix_sort_onesweep_config_selectorIfNS0_10empty_typeEEEZZNS1_29radix_sort_onesweep_iterationIS3_Lb0EPKfPfPS5_SB_mNS0_19identity_decomposerENS1_16block_id_wrapperIjLb0EEEEE10hipError_tT1_PNSt15iterator_traitsISG_E10value_typeET2_T3_PNSH_ISM_E10value_typeET4_T5_PSR_SS_PNS1_23onesweep_lookback_stateEbbT6_jjT7_P12ihipStream_tbENKUlT_T0_SG_SL_E_clIS9_SA_SB_SB_EEDaSZ_S10_SG_SL_EUlSZ_E_NS1_11comp_targetILNS1_3genE2ELNS1_11target_archE906ELNS1_3gpuE6ELNS1_3repE0EEENS1_47radix_sort_onesweep_sort_config_static_selectorELNS0_4arch9wavefront6targetE0EEEvSG_.uses_flat_scratch, 0
	.set _ZN7rocprim17ROCPRIM_400000_NS6detail17trampoline_kernelINS0_14default_configENS1_35radix_sort_onesweep_config_selectorIfNS0_10empty_typeEEEZZNS1_29radix_sort_onesweep_iterationIS3_Lb0EPKfPfPS5_SB_mNS0_19identity_decomposerENS1_16block_id_wrapperIjLb0EEEEE10hipError_tT1_PNSt15iterator_traitsISG_E10value_typeET2_T3_PNSH_ISM_E10value_typeET4_T5_PSR_SS_PNS1_23onesweep_lookback_stateEbbT6_jjT7_P12ihipStream_tbENKUlT_T0_SG_SL_E_clIS9_SA_SB_SB_EEDaSZ_S10_SG_SL_EUlSZ_E_NS1_11comp_targetILNS1_3genE2ELNS1_11target_archE906ELNS1_3gpuE6ELNS1_3repE0EEENS1_47radix_sort_onesweep_sort_config_static_selectorELNS0_4arch9wavefront6targetE0EEEvSG_.has_dyn_sized_stack, 0
	.set _ZN7rocprim17ROCPRIM_400000_NS6detail17trampoline_kernelINS0_14default_configENS1_35radix_sort_onesweep_config_selectorIfNS0_10empty_typeEEEZZNS1_29radix_sort_onesweep_iterationIS3_Lb0EPKfPfPS5_SB_mNS0_19identity_decomposerENS1_16block_id_wrapperIjLb0EEEEE10hipError_tT1_PNSt15iterator_traitsISG_E10value_typeET2_T3_PNSH_ISM_E10value_typeET4_T5_PSR_SS_PNS1_23onesweep_lookback_stateEbbT6_jjT7_P12ihipStream_tbENKUlT_T0_SG_SL_E_clIS9_SA_SB_SB_EEDaSZ_S10_SG_SL_EUlSZ_E_NS1_11comp_targetILNS1_3genE2ELNS1_11target_archE906ELNS1_3gpuE6ELNS1_3repE0EEENS1_47radix_sort_onesweep_sort_config_static_selectorELNS0_4arch9wavefront6targetE0EEEvSG_.has_recursion, 0
	.set _ZN7rocprim17ROCPRIM_400000_NS6detail17trampoline_kernelINS0_14default_configENS1_35radix_sort_onesweep_config_selectorIfNS0_10empty_typeEEEZZNS1_29radix_sort_onesweep_iterationIS3_Lb0EPKfPfPS5_SB_mNS0_19identity_decomposerENS1_16block_id_wrapperIjLb0EEEEE10hipError_tT1_PNSt15iterator_traitsISG_E10value_typeET2_T3_PNSH_ISM_E10value_typeET4_T5_PSR_SS_PNS1_23onesweep_lookback_stateEbbT6_jjT7_P12ihipStream_tbENKUlT_T0_SG_SL_E_clIS9_SA_SB_SB_EEDaSZ_S10_SG_SL_EUlSZ_E_NS1_11comp_targetILNS1_3genE2ELNS1_11target_archE906ELNS1_3gpuE6ELNS1_3repE0EEENS1_47radix_sort_onesweep_sort_config_static_selectorELNS0_4arch9wavefront6targetE0EEEvSG_.has_indirect_call, 0
	.section	.AMDGPU.csdata,"",@progbits
; Kernel info:
; codeLenInByte = 0
; TotalNumSgprs: 0
; NumVgprs: 0
; ScratchSize: 0
; MemoryBound: 0
; FloatMode: 240
; IeeeMode: 1
; LDSByteSize: 0 bytes/workgroup (compile time only)
; SGPRBlocks: 0
; VGPRBlocks: 0
; NumSGPRsForWavesPerEU: 1
; NumVGPRsForWavesPerEU: 1
; NamedBarCnt: 0
; Occupancy: 16
; WaveLimiterHint : 0
; COMPUTE_PGM_RSRC2:SCRATCH_EN: 0
; COMPUTE_PGM_RSRC2:USER_SGPR: 2
; COMPUTE_PGM_RSRC2:TRAP_HANDLER: 0
; COMPUTE_PGM_RSRC2:TGID_X_EN: 1
; COMPUTE_PGM_RSRC2:TGID_Y_EN: 0
; COMPUTE_PGM_RSRC2:TGID_Z_EN: 0
; COMPUTE_PGM_RSRC2:TIDIG_COMP_CNT: 0
	.section	.text._ZN7rocprim17ROCPRIM_400000_NS6detail17trampoline_kernelINS0_14default_configENS1_35radix_sort_onesweep_config_selectorIfNS0_10empty_typeEEEZZNS1_29radix_sort_onesweep_iterationIS3_Lb0EPKfPfPS5_SB_mNS0_19identity_decomposerENS1_16block_id_wrapperIjLb0EEEEE10hipError_tT1_PNSt15iterator_traitsISG_E10value_typeET2_T3_PNSH_ISM_E10value_typeET4_T5_PSR_SS_PNS1_23onesweep_lookback_stateEbbT6_jjT7_P12ihipStream_tbENKUlT_T0_SG_SL_E_clIS9_SA_SB_SB_EEDaSZ_S10_SG_SL_EUlSZ_E_NS1_11comp_targetILNS1_3genE4ELNS1_11target_archE910ELNS1_3gpuE8ELNS1_3repE0EEENS1_47radix_sort_onesweep_sort_config_static_selectorELNS0_4arch9wavefront6targetE0EEEvSG_,"axG",@progbits,_ZN7rocprim17ROCPRIM_400000_NS6detail17trampoline_kernelINS0_14default_configENS1_35radix_sort_onesweep_config_selectorIfNS0_10empty_typeEEEZZNS1_29radix_sort_onesweep_iterationIS3_Lb0EPKfPfPS5_SB_mNS0_19identity_decomposerENS1_16block_id_wrapperIjLb0EEEEE10hipError_tT1_PNSt15iterator_traitsISG_E10value_typeET2_T3_PNSH_ISM_E10value_typeET4_T5_PSR_SS_PNS1_23onesweep_lookback_stateEbbT6_jjT7_P12ihipStream_tbENKUlT_T0_SG_SL_E_clIS9_SA_SB_SB_EEDaSZ_S10_SG_SL_EUlSZ_E_NS1_11comp_targetILNS1_3genE4ELNS1_11target_archE910ELNS1_3gpuE8ELNS1_3repE0EEENS1_47radix_sort_onesweep_sort_config_static_selectorELNS0_4arch9wavefront6targetE0EEEvSG_,comdat
	.protected	_ZN7rocprim17ROCPRIM_400000_NS6detail17trampoline_kernelINS0_14default_configENS1_35radix_sort_onesweep_config_selectorIfNS0_10empty_typeEEEZZNS1_29radix_sort_onesweep_iterationIS3_Lb0EPKfPfPS5_SB_mNS0_19identity_decomposerENS1_16block_id_wrapperIjLb0EEEEE10hipError_tT1_PNSt15iterator_traitsISG_E10value_typeET2_T3_PNSH_ISM_E10value_typeET4_T5_PSR_SS_PNS1_23onesweep_lookback_stateEbbT6_jjT7_P12ihipStream_tbENKUlT_T0_SG_SL_E_clIS9_SA_SB_SB_EEDaSZ_S10_SG_SL_EUlSZ_E_NS1_11comp_targetILNS1_3genE4ELNS1_11target_archE910ELNS1_3gpuE8ELNS1_3repE0EEENS1_47radix_sort_onesweep_sort_config_static_selectorELNS0_4arch9wavefront6targetE0EEEvSG_ ; -- Begin function _ZN7rocprim17ROCPRIM_400000_NS6detail17trampoline_kernelINS0_14default_configENS1_35radix_sort_onesweep_config_selectorIfNS0_10empty_typeEEEZZNS1_29radix_sort_onesweep_iterationIS3_Lb0EPKfPfPS5_SB_mNS0_19identity_decomposerENS1_16block_id_wrapperIjLb0EEEEE10hipError_tT1_PNSt15iterator_traitsISG_E10value_typeET2_T3_PNSH_ISM_E10value_typeET4_T5_PSR_SS_PNS1_23onesweep_lookback_stateEbbT6_jjT7_P12ihipStream_tbENKUlT_T0_SG_SL_E_clIS9_SA_SB_SB_EEDaSZ_S10_SG_SL_EUlSZ_E_NS1_11comp_targetILNS1_3genE4ELNS1_11target_archE910ELNS1_3gpuE8ELNS1_3repE0EEENS1_47radix_sort_onesweep_sort_config_static_selectorELNS0_4arch9wavefront6targetE0EEEvSG_
	.globl	_ZN7rocprim17ROCPRIM_400000_NS6detail17trampoline_kernelINS0_14default_configENS1_35radix_sort_onesweep_config_selectorIfNS0_10empty_typeEEEZZNS1_29radix_sort_onesweep_iterationIS3_Lb0EPKfPfPS5_SB_mNS0_19identity_decomposerENS1_16block_id_wrapperIjLb0EEEEE10hipError_tT1_PNSt15iterator_traitsISG_E10value_typeET2_T3_PNSH_ISM_E10value_typeET4_T5_PSR_SS_PNS1_23onesweep_lookback_stateEbbT6_jjT7_P12ihipStream_tbENKUlT_T0_SG_SL_E_clIS9_SA_SB_SB_EEDaSZ_S10_SG_SL_EUlSZ_E_NS1_11comp_targetILNS1_3genE4ELNS1_11target_archE910ELNS1_3gpuE8ELNS1_3repE0EEENS1_47radix_sort_onesweep_sort_config_static_selectorELNS0_4arch9wavefront6targetE0EEEvSG_
	.p2align	8
	.type	_ZN7rocprim17ROCPRIM_400000_NS6detail17trampoline_kernelINS0_14default_configENS1_35radix_sort_onesweep_config_selectorIfNS0_10empty_typeEEEZZNS1_29radix_sort_onesweep_iterationIS3_Lb0EPKfPfPS5_SB_mNS0_19identity_decomposerENS1_16block_id_wrapperIjLb0EEEEE10hipError_tT1_PNSt15iterator_traitsISG_E10value_typeET2_T3_PNSH_ISM_E10value_typeET4_T5_PSR_SS_PNS1_23onesweep_lookback_stateEbbT6_jjT7_P12ihipStream_tbENKUlT_T0_SG_SL_E_clIS9_SA_SB_SB_EEDaSZ_S10_SG_SL_EUlSZ_E_NS1_11comp_targetILNS1_3genE4ELNS1_11target_archE910ELNS1_3gpuE8ELNS1_3repE0EEENS1_47radix_sort_onesweep_sort_config_static_selectorELNS0_4arch9wavefront6targetE0EEEvSG_,@function
_ZN7rocprim17ROCPRIM_400000_NS6detail17trampoline_kernelINS0_14default_configENS1_35radix_sort_onesweep_config_selectorIfNS0_10empty_typeEEEZZNS1_29radix_sort_onesweep_iterationIS3_Lb0EPKfPfPS5_SB_mNS0_19identity_decomposerENS1_16block_id_wrapperIjLb0EEEEE10hipError_tT1_PNSt15iterator_traitsISG_E10value_typeET2_T3_PNSH_ISM_E10value_typeET4_T5_PSR_SS_PNS1_23onesweep_lookback_stateEbbT6_jjT7_P12ihipStream_tbENKUlT_T0_SG_SL_E_clIS9_SA_SB_SB_EEDaSZ_S10_SG_SL_EUlSZ_E_NS1_11comp_targetILNS1_3genE4ELNS1_11target_archE910ELNS1_3gpuE8ELNS1_3repE0EEENS1_47radix_sort_onesweep_sort_config_static_selectorELNS0_4arch9wavefront6targetE0EEEvSG_: ; @_ZN7rocprim17ROCPRIM_400000_NS6detail17trampoline_kernelINS0_14default_configENS1_35radix_sort_onesweep_config_selectorIfNS0_10empty_typeEEEZZNS1_29radix_sort_onesweep_iterationIS3_Lb0EPKfPfPS5_SB_mNS0_19identity_decomposerENS1_16block_id_wrapperIjLb0EEEEE10hipError_tT1_PNSt15iterator_traitsISG_E10value_typeET2_T3_PNSH_ISM_E10value_typeET4_T5_PSR_SS_PNS1_23onesweep_lookback_stateEbbT6_jjT7_P12ihipStream_tbENKUlT_T0_SG_SL_E_clIS9_SA_SB_SB_EEDaSZ_S10_SG_SL_EUlSZ_E_NS1_11comp_targetILNS1_3genE4ELNS1_11target_archE910ELNS1_3gpuE8ELNS1_3repE0EEENS1_47radix_sort_onesweep_sort_config_static_selectorELNS0_4arch9wavefront6targetE0EEEvSG_
; %bb.0:
	.section	.rodata,"a",@progbits
	.p2align	6, 0x0
	.amdhsa_kernel _ZN7rocprim17ROCPRIM_400000_NS6detail17trampoline_kernelINS0_14default_configENS1_35radix_sort_onesweep_config_selectorIfNS0_10empty_typeEEEZZNS1_29radix_sort_onesweep_iterationIS3_Lb0EPKfPfPS5_SB_mNS0_19identity_decomposerENS1_16block_id_wrapperIjLb0EEEEE10hipError_tT1_PNSt15iterator_traitsISG_E10value_typeET2_T3_PNSH_ISM_E10value_typeET4_T5_PSR_SS_PNS1_23onesweep_lookback_stateEbbT6_jjT7_P12ihipStream_tbENKUlT_T0_SG_SL_E_clIS9_SA_SB_SB_EEDaSZ_S10_SG_SL_EUlSZ_E_NS1_11comp_targetILNS1_3genE4ELNS1_11target_archE910ELNS1_3gpuE8ELNS1_3repE0EEENS1_47radix_sort_onesweep_sort_config_static_selectorELNS0_4arch9wavefront6targetE0EEEvSG_
		.amdhsa_group_segment_fixed_size 0
		.amdhsa_private_segment_fixed_size 0
		.amdhsa_kernarg_size 88
		.amdhsa_user_sgpr_count 2
		.amdhsa_user_sgpr_dispatch_ptr 0
		.amdhsa_user_sgpr_queue_ptr 0
		.amdhsa_user_sgpr_kernarg_segment_ptr 1
		.amdhsa_user_sgpr_dispatch_id 0
		.amdhsa_user_sgpr_kernarg_preload_length 0
		.amdhsa_user_sgpr_kernarg_preload_offset 0
		.amdhsa_user_sgpr_private_segment_size 0
		.amdhsa_wavefront_size32 1
		.amdhsa_uses_dynamic_stack 0
		.amdhsa_enable_private_segment 0
		.amdhsa_system_sgpr_workgroup_id_x 1
		.amdhsa_system_sgpr_workgroup_id_y 0
		.amdhsa_system_sgpr_workgroup_id_z 0
		.amdhsa_system_sgpr_workgroup_info 0
		.amdhsa_system_vgpr_workitem_id 0
		.amdhsa_next_free_vgpr 1
		.amdhsa_next_free_sgpr 1
		.amdhsa_named_barrier_count 0
		.amdhsa_reserve_vcc 0
		.amdhsa_float_round_mode_32 0
		.amdhsa_float_round_mode_16_64 0
		.amdhsa_float_denorm_mode_32 3
		.amdhsa_float_denorm_mode_16_64 3
		.amdhsa_fp16_overflow 0
		.amdhsa_memory_ordered 1
		.amdhsa_forward_progress 1
		.amdhsa_inst_pref_size 0
		.amdhsa_round_robin_scheduling 0
		.amdhsa_exception_fp_ieee_invalid_op 0
		.amdhsa_exception_fp_denorm_src 0
		.amdhsa_exception_fp_ieee_div_zero 0
		.amdhsa_exception_fp_ieee_overflow 0
		.amdhsa_exception_fp_ieee_underflow 0
		.amdhsa_exception_fp_ieee_inexact 0
		.amdhsa_exception_int_div_zero 0
	.end_amdhsa_kernel
	.section	.text._ZN7rocprim17ROCPRIM_400000_NS6detail17trampoline_kernelINS0_14default_configENS1_35radix_sort_onesweep_config_selectorIfNS0_10empty_typeEEEZZNS1_29radix_sort_onesweep_iterationIS3_Lb0EPKfPfPS5_SB_mNS0_19identity_decomposerENS1_16block_id_wrapperIjLb0EEEEE10hipError_tT1_PNSt15iterator_traitsISG_E10value_typeET2_T3_PNSH_ISM_E10value_typeET4_T5_PSR_SS_PNS1_23onesweep_lookback_stateEbbT6_jjT7_P12ihipStream_tbENKUlT_T0_SG_SL_E_clIS9_SA_SB_SB_EEDaSZ_S10_SG_SL_EUlSZ_E_NS1_11comp_targetILNS1_3genE4ELNS1_11target_archE910ELNS1_3gpuE8ELNS1_3repE0EEENS1_47radix_sort_onesweep_sort_config_static_selectorELNS0_4arch9wavefront6targetE0EEEvSG_,"axG",@progbits,_ZN7rocprim17ROCPRIM_400000_NS6detail17trampoline_kernelINS0_14default_configENS1_35radix_sort_onesweep_config_selectorIfNS0_10empty_typeEEEZZNS1_29radix_sort_onesweep_iterationIS3_Lb0EPKfPfPS5_SB_mNS0_19identity_decomposerENS1_16block_id_wrapperIjLb0EEEEE10hipError_tT1_PNSt15iterator_traitsISG_E10value_typeET2_T3_PNSH_ISM_E10value_typeET4_T5_PSR_SS_PNS1_23onesweep_lookback_stateEbbT6_jjT7_P12ihipStream_tbENKUlT_T0_SG_SL_E_clIS9_SA_SB_SB_EEDaSZ_S10_SG_SL_EUlSZ_E_NS1_11comp_targetILNS1_3genE4ELNS1_11target_archE910ELNS1_3gpuE8ELNS1_3repE0EEENS1_47radix_sort_onesweep_sort_config_static_selectorELNS0_4arch9wavefront6targetE0EEEvSG_,comdat
.Lfunc_end1428:
	.size	_ZN7rocprim17ROCPRIM_400000_NS6detail17trampoline_kernelINS0_14default_configENS1_35radix_sort_onesweep_config_selectorIfNS0_10empty_typeEEEZZNS1_29radix_sort_onesweep_iterationIS3_Lb0EPKfPfPS5_SB_mNS0_19identity_decomposerENS1_16block_id_wrapperIjLb0EEEEE10hipError_tT1_PNSt15iterator_traitsISG_E10value_typeET2_T3_PNSH_ISM_E10value_typeET4_T5_PSR_SS_PNS1_23onesweep_lookback_stateEbbT6_jjT7_P12ihipStream_tbENKUlT_T0_SG_SL_E_clIS9_SA_SB_SB_EEDaSZ_S10_SG_SL_EUlSZ_E_NS1_11comp_targetILNS1_3genE4ELNS1_11target_archE910ELNS1_3gpuE8ELNS1_3repE0EEENS1_47radix_sort_onesweep_sort_config_static_selectorELNS0_4arch9wavefront6targetE0EEEvSG_, .Lfunc_end1428-_ZN7rocprim17ROCPRIM_400000_NS6detail17trampoline_kernelINS0_14default_configENS1_35radix_sort_onesweep_config_selectorIfNS0_10empty_typeEEEZZNS1_29radix_sort_onesweep_iterationIS3_Lb0EPKfPfPS5_SB_mNS0_19identity_decomposerENS1_16block_id_wrapperIjLb0EEEEE10hipError_tT1_PNSt15iterator_traitsISG_E10value_typeET2_T3_PNSH_ISM_E10value_typeET4_T5_PSR_SS_PNS1_23onesweep_lookback_stateEbbT6_jjT7_P12ihipStream_tbENKUlT_T0_SG_SL_E_clIS9_SA_SB_SB_EEDaSZ_S10_SG_SL_EUlSZ_E_NS1_11comp_targetILNS1_3genE4ELNS1_11target_archE910ELNS1_3gpuE8ELNS1_3repE0EEENS1_47radix_sort_onesweep_sort_config_static_selectorELNS0_4arch9wavefront6targetE0EEEvSG_
                                        ; -- End function
	.set _ZN7rocprim17ROCPRIM_400000_NS6detail17trampoline_kernelINS0_14default_configENS1_35radix_sort_onesweep_config_selectorIfNS0_10empty_typeEEEZZNS1_29radix_sort_onesweep_iterationIS3_Lb0EPKfPfPS5_SB_mNS0_19identity_decomposerENS1_16block_id_wrapperIjLb0EEEEE10hipError_tT1_PNSt15iterator_traitsISG_E10value_typeET2_T3_PNSH_ISM_E10value_typeET4_T5_PSR_SS_PNS1_23onesweep_lookback_stateEbbT6_jjT7_P12ihipStream_tbENKUlT_T0_SG_SL_E_clIS9_SA_SB_SB_EEDaSZ_S10_SG_SL_EUlSZ_E_NS1_11comp_targetILNS1_3genE4ELNS1_11target_archE910ELNS1_3gpuE8ELNS1_3repE0EEENS1_47radix_sort_onesweep_sort_config_static_selectorELNS0_4arch9wavefront6targetE0EEEvSG_.num_vgpr, 0
	.set _ZN7rocprim17ROCPRIM_400000_NS6detail17trampoline_kernelINS0_14default_configENS1_35radix_sort_onesweep_config_selectorIfNS0_10empty_typeEEEZZNS1_29radix_sort_onesweep_iterationIS3_Lb0EPKfPfPS5_SB_mNS0_19identity_decomposerENS1_16block_id_wrapperIjLb0EEEEE10hipError_tT1_PNSt15iterator_traitsISG_E10value_typeET2_T3_PNSH_ISM_E10value_typeET4_T5_PSR_SS_PNS1_23onesweep_lookback_stateEbbT6_jjT7_P12ihipStream_tbENKUlT_T0_SG_SL_E_clIS9_SA_SB_SB_EEDaSZ_S10_SG_SL_EUlSZ_E_NS1_11comp_targetILNS1_3genE4ELNS1_11target_archE910ELNS1_3gpuE8ELNS1_3repE0EEENS1_47radix_sort_onesweep_sort_config_static_selectorELNS0_4arch9wavefront6targetE0EEEvSG_.num_agpr, 0
	.set _ZN7rocprim17ROCPRIM_400000_NS6detail17trampoline_kernelINS0_14default_configENS1_35radix_sort_onesweep_config_selectorIfNS0_10empty_typeEEEZZNS1_29radix_sort_onesweep_iterationIS3_Lb0EPKfPfPS5_SB_mNS0_19identity_decomposerENS1_16block_id_wrapperIjLb0EEEEE10hipError_tT1_PNSt15iterator_traitsISG_E10value_typeET2_T3_PNSH_ISM_E10value_typeET4_T5_PSR_SS_PNS1_23onesweep_lookback_stateEbbT6_jjT7_P12ihipStream_tbENKUlT_T0_SG_SL_E_clIS9_SA_SB_SB_EEDaSZ_S10_SG_SL_EUlSZ_E_NS1_11comp_targetILNS1_3genE4ELNS1_11target_archE910ELNS1_3gpuE8ELNS1_3repE0EEENS1_47radix_sort_onesweep_sort_config_static_selectorELNS0_4arch9wavefront6targetE0EEEvSG_.numbered_sgpr, 0
	.set _ZN7rocprim17ROCPRIM_400000_NS6detail17trampoline_kernelINS0_14default_configENS1_35radix_sort_onesweep_config_selectorIfNS0_10empty_typeEEEZZNS1_29radix_sort_onesweep_iterationIS3_Lb0EPKfPfPS5_SB_mNS0_19identity_decomposerENS1_16block_id_wrapperIjLb0EEEEE10hipError_tT1_PNSt15iterator_traitsISG_E10value_typeET2_T3_PNSH_ISM_E10value_typeET4_T5_PSR_SS_PNS1_23onesweep_lookback_stateEbbT6_jjT7_P12ihipStream_tbENKUlT_T0_SG_SL_E_clIS9_SA_SB_SB_EEDaSZ_S10_SG_SL_EUlSZ_E_NS1_11comp_targetILNS1_3genE4ELNS1_11target_archE910ELNS1_3gpuE8ELNS1_3repE0EEENS1_47radix_sort_onesweep_sort_config_static_selectorELNS0_4arch9wavefront6targetE0EEEvSG_.num_named_barrier, 0
	.set _ZN7rocprim17ROCPRIM_400000_NS6detail17trampoline_kernelINS0_14default_configENS1_35radix_sort_onesweep_config_selectorIfNS0_10empty_typeEEEZZNS1_29radix_sort_onesweep_iterationIS3_Lb0EPKfPfPS5_SB_mNS0_19identity_decomposerENS1_16block_id_wrapperIjLb0EEEEE10hipError_tT1_PNSt15iterator_traitsISG_E10value_typeET2_T3_PNSH_ISM_E10value_typeET4_T5_PSR_SS_PNS1_23onesweep_lookback_stateEbbT6_jjT7_P12ihipStream_tbENKUlT_T0_SG_SL_E_clIS9_SA_SB_SB_EEDaSZ_S10_SG_SL_EUlSZ_E_NS1_11comp_targetILNS1_3genE4ELNS1_11target_archE910ELNS1_3gpuE8ELNS1_3repE0EEENS1_47radix_sort_onesweep_sort_config_static_selectorELNS0_4arch9wavefront6targetE0EEEvSG_.private_seg_size, 0
	.set _ZN7rocprim17ROCPRIM_400000_NS6detail17trampoline_kernelINS0_14default_configENS1_35radix_sort_onesweep_config_selectorIfNS0_10empty_typeEEEZZNS1_29radix_sort_onesweep_iterationIS3_Lb0EPKfPfPS5_SB_mNS0_19identity_decomposerENS1_16block_id_wrapperIjLb0EEEEE10hipError_tT1_PNSt15iterator_traitsISG_E10value_typeET2_T3_PNSH_ISM_E10value_typeET4_T5_PSR_SS_PNS1_23onesweep_lookback_stateEbbT6_jjT7_P12ihipStream_tbENKUlT_T0_SG_SL_E_clIS9_SA_SB_SB_EEDaSZ_S10_SG_SL_EUlSZ_E_NS1_11comp_targetILNS1_3genE4ELNS1_11target_archE910ELNS1_3gpuE8ELNS1_3repE0EEENS1_47radix_sort_onesweep_sort_config_static_selectorELNS0_4arch9wavefront6targetE0EEEvSG_.uses_vcc, 0
	.set _ZN7rocprim17ROCPRIM_400000_NS6detail17trampoline_kernelINS0_14default_configENS1_35radix_sort_onesweep_config_selectorIfNS0_10empty_typeEEEZZNS1_29radix_sort_onesweep_iterationIS3_Lb0EPKfPfPS5_SB_mNS0_19identity_decomposerENS1_16block_id_wrapperIjLb0EEEEE10hipError_tT1_PNSt15iterator_traitsISG_E10value_typeET2_T3_PNSH_ISM_E10value_typeET4_T5_PSR_SS_PNS1_23onesweep_lookback_stateEbbT6_jjT7_P12ihipStream_tbENKUlT_T0_SG_SL_E_clIS9_SA_SB_SB_EEDaSZ_S10_SG_SL_EUlSZ_E_NS1_11comp_targetILNS1_3genE4ELNS1_11target_archE910ELNS1_3gpuE8ELNS1_3repE0EEENS1_47radix_sort_onesweep_sort_config_static_selectorELNS0_4arch9wavefront6targetE0EEEvSG_.uses_flat_scratch, 0
	.set _ZN7rocprim17ROCPRIM_400000_NS6detail17trampoline_kernelINS0_14default_configENS1_35radix_sort_onesweep_config_selectorIfNS0_10empty_typeEEEZZNS1_29radix_sort_onesweep_iterationIS3_Lb0EPKfPfPS5_SB_mNS0_19identity_decomposerENS1_16block_id_wrapperIjLb0EEEEE10hipError_tT1_PNSt15iterator_traitsISG_E10value_typeET2_T3_PNSH_ISM_E10value_typeET4_T5_PSR_SS_PNS1_23onesweep_lookback_stateEbbT6_jjT7_P12ihipStream_tbENKUlT_T0_SG_SL_E_clIS9_SA_SB_SB_EEDaSZ_S10_SG_SL_EUlSZ_E_NS1_11comp_targetILNS1_3genE4ELNS1_11target_archE910ELNS1_3gpuE8ELNS1_3repE0EEENS1_47radix_sort_onesweep_sort_config_static_selectorELNS0_4arch9wavefront6targetE0EEEvSG_.has_dyn_sized_stack, 0
	.set _ZN7rocprim17ROCPRIM_400000_NS6detail17trampoline_kernelINS0_14default_configENS1_35radix_sort_onesweep_config_selectorIfNS0_10empty_typeEEEZZNS1_29radix_sort_onesweep_iterationIS3_Lb0EPKfPfPS5_SB_mNS0_19identity_decomposerENS1_16block_id_wrapperIjLb0EEEEE10hipError_tT1_PNSt15iterator_traitsISG_E10value_typeET2_T3_PNSH_ISM_E10value_typeET4_T5_PSR_SS_PNS1_23onesweep_lookback_stateEbbT6_jjT7_P12ihipStream_tbENKUlT_T0_SG_SL_E_clIS9_SA_SB_SB_EEDaSZ_S10_SG_SL_EUlSZ_E_NS1_11comp_targetILNS1_3genE4ELNS1_11target_archE910ELNS1_3gpuE8ELNS1_3repE0EEENS1_47radix_sort_onesweep_sort_config_static_selectorELNS0_4arch9wavefront6targetE0EEEvSG_.has_recursion, 0
	.set _ZN7rocprim17ROCPRIM_400000_NS6detail17trampoline_kernelINS0_14default_configENS1_35radix_sort_onesweep_config_selectorIfNS0_10empty_typeEEEZZNS1_29radix_sort_onesweep_iterationIS3_Lb0EPKfPfPS5_SB_mNS0_19identity_decomposerENS1_16block_id_wrapperIjLb0EEEEE10hipError_tT1_PNSt15iterator_traitsISG_E10value_typeET2_T3_PNSH_ISM_E10value_typeET4_T5_PSR_SS_PNS1_23onesweep_lookback_stateEbbT6_jjT7_P12ihipStream_tbENKUlT_T0_SG_SL_E_clIS9_SA_SB_SB_EEDaSZ_S10_SG_SL_EUlSZ_E_NS1_11comp_targetILNS1_3genE4ELNS1_11target_archE910ELNS1_3gpuE8ELNS1_3repE0EEENS1_47radix_sort_onesweep_sort_config_static_selectorELNS0_4arch9wavefront6targetE0EEEvSG_.has_indirect_call, 0
	.section	.AMDGPU.csdata,"",@progbits
; Kernel info:
; codeLenInByte = 0
; TotalNumSgprs: 0
; NumVgprs: 0
; ScratchSize: 0
; MemoryBound: 0
; FloatMode: 240
; IeeeMode: 1
; LDSByteSize: 0 bytes/workgroup (compile time only)
; SGPRBlocks: 0
; VGPRBlocks: 0
; NumSGPRsForWavesPerEU: 1
; NumVGPRsForWavesPerEU: 1
; NamedBarCnt: 0
; Occupancy: 16
; WaveLimiterHint : 0
; COMPUTE_PGM_RSRC2:SCRATCH_EN: 0
; COMPUTE_PGM_RSRC2:USER_SGPR: 2
; COMPUTE_PGM_RSRC2:TRAP_HANDLER: 0
; COMPUTE_PGM_RSRC2:TGID_X_EN: 1
; COMPUTE_PGM_RSRC2:TGID_Y_EN: 0
; COMPUTE_PGM_RSRC2:TGID_Z_EN: 0
; COMPUTE_PGM_RSRC2:TIDIG_COMP_CNT: 0
	.section	.text._ZN7rocprim17ROCPRIM_400000_NS6detail17trampoline_kernelINS0_14default_configENS1_35radix_sort_onesweep_config_selectorIfNS0_10empty_typeEEEZZNS1_29radix_sort_onesweep_iterationIS3_Lb0EPKfPfPS5_SB_mNS0_19identity_decomposerENS1_16block_id_wrapperIjLb0EEEEE10hipError_tT1_PNSt15iterator_traitsISG_E10value_typeET2_T3_PNSH_ISM_E10value_typeET4_T5_PSR_SS_PNS1_23onesweep_lookback_stateEbbT6_jjT7_P12ihipStream_tbENKUlT_T0_SG_SL_E_clIS9_SA_SB_SB_EEDaSZ_S10_SG_SL_EUlSZ_E_NS1_11comp_targetILNS1_3genE3ELNS1_11target_archE908ELNS1_3gpuE7ELNS1_3repE0EEENS1_47radix_sort_onesweep_sort_config_static_selectorELNS0_4arch9wavefront6targetE0EEEvSG_,"axG",@progbits,_ZN7rocprim17ROCPRIM_400000_NS6detail17trampoline_kernelINS0_14default_configENS1_35radix_sort_onesweep_config_selectorIfNS0_10empty_typeEEEZZNS1_29radix_sort_onesweep_iterationIS3_Lb0EPKfPfPS5_SB_mNS0_19identity_decomposerENS1_16block_id_wrapperIjLb0EEEEE10hipError_tT1_PNSt15iterator_traitsISG_E10value_typeET2_T3_PNSH_ISM_E10value_typeET4_T5_PSR_SS_PNS1_23onesweep_lookback_stateEbbT6_jjT7_P12ihipStream_tbENKUlT_T0_SG_SL_E_clIS9_SA_SB_SB_EEDaSZ_S10_SG_SL_EUlSZ_E_NS1_11comp_targetILNS1_3genE3ELNS1_11target_archE908ELNS1_3gpuE7ELNS1_3repE0EEENS1_47radix_sort_onesweep_sort_config_static_selectorELNS0_4arch9wavefront6targetE0EEEvSG_,comdat
	.protected	_ZN7rocprim17ROCPRIM_400000_NS6detail17trampoline_kernelINS0_14default_configENS1_35radix_sort_onesweep_config_selectorIfNS0_10empty_typeEEEZZNS1_29radix_sort_onesweep_iterationIS3_Lb0EPKfPfPS5_SB_mNS0_19identity_decomposerENS1_16block_id_wrapperIjLb0EEEEE10hipError_tT1_PNSt15iterator_traitsISG_E10value_typeET2_T3_PNSH_ISM_E10value_typeET4_T5_PSR_SS_PNS1_23onesweep_lookback_stateEbbT6_jjT7_P12ihipStream_tbENKUlT_T0_SG_SL_E_clIS9_SA_SB_SB_EEDaSZ_S10_SG_SL_EUlSZ_E_NS1_11comp_targetILNS1_3genE3ELNS1_11target_archE908ELNS1_3gpuE7ELNS1_3repE0EEENS1_47radix_sort_onesweep_sort_config_static_selectorELNS0_4arch9wavefront6targetE0EEEvSG_ ; -- Begin function _ZN7rocprim17ROCPRIM_400000_NS6detail17trampoline_kernelINS0_14default_configENS1_35radix_sort_onesweep_config_selectorIfNS0_10empty_typeEEEZZNS1_29radix_sort_onesweep_iterationIS3_Lb0EPKfPfPS5_SB_mNS0_19identity_decomposerENS1_16block_id_wrapperIjLb0EEEEE10hipError_tT1_PNSt15iterator_traitsISG_E10value_typeET2_T3_PNSH_ISM_E10value_typeET4_T5_PSR_SS_PNS1_23onesweep_lookback_stateEbbT6_jjT7_P12ihipStream_tbENKUlT_T0_SG_SL_E_clIS9_SA_SB_SB_EEDaSZ_S10_SG_SL_EUlSZ_E_NS1_11comp_targetILNS1_3genE3ELNS1_11target_archE908ELNS1_3gpuE7ELNS1_3repE0EEENS1_47radix_sort_onesweep_sort_config_static_selectorELNS0_4arch9wavefront6targetE0EEEvSG_
	.globl	_ZN7rocprim17ROCPRIM_400000_NS6detail17trampoline_kernelINS0_14default_configENS1_35radix_sort_onesweep_config_selectorIfNS0_10empty_typeEEEZZNS1_29radix_sort_onesweep_iterationIS3_Lb0EPKfPfPS5_SB_mNS0_19identity_decomposerENS1_16block_id_wrapperIjLb0EEEEE10hipError_tT1_PNSt15iterator_traitsISG_E10value_typeET2_T3_PNSH_ISM_E10value_typeET4_T5_PSR_SS_PNS1_23onesweep_lookback_stateEbbT6_jjT7_P12ihipStream_tbENKUlT_T0_SG_SL_E_clIS9_SA_SB_SB_EEDaSZ_S10_SG_SL_EUlSZ_E_NS1_11comp_targetILNS1_3genE3ELNS1_11target_archE908ELNS1_3gpuE7ELNS1_3repE0EEENS1_47radix_sort_onesweep_sort_config_static_selectorELNS0_4arch9wavefront6targetE0EEEvSG_
	.p2align	8
	.type	_ZN7rocprim17ROCPRIM_400000_NS6detail17trampoline_kernelINS0_14default_configENS1_35radix_sort_onesweep_config_selectorIfNS0_10empty_typeEEEZZNS1_29radix_sort_onesweep_iterationIS3_Lb0EPKfPfPS5_SB_mNS0_19identity_decomposerENS1_16block_id_wrapperIjLb0EEEEE10hipError_tT1_PNSt15iterator_traitsISG_E10value_typeET2_T3_PNSH_ISM_E10value_typeET4_T5_PSR_SS_PNS1_23onesweep_lookback_stateEbbT6_jjT7_P12ihipStream_tbENKUlT_T0_SG_SL_E_clIS9_SA_SB_SB_EEDaSZ_S10_SG_SL_EUlSZ_E_NS1_11comp_targetILNS1_3genE3ELNS1_11target_archE908ELNS1_3gpuE7ELNS1_3repE0EEENS1_47radix_sort_onesweep_sort_config_static_selectorELNS0_4arch9wavefront6targetE0EEEvSG_,@function
_ZN7rocprim17ROCPRIM_400000_NS6detail17trampoline_kernelINS0_14default_configENS1_35radix_sort_onesweep_config_selectorIfNS0_10empty_typeEEEZZNS1_29radix_sort_onesweep_iterationIS3_Lb0EPKfPfPS5_SB_mNS0_19identity_decomposerENS1_16block_id_wrapperIjLb0EEEEE10hipError_tT1_PNSt15iterator_traitsISG_E10value_typeET2_T3_PNSH_ISM_E10value_typeET4_T5_PSR_SS_PNS1_23onesweep_lookback_stateEbbT6_jjT7_P12ihipStream_tbENKUlT_T0_SG_SL_E_clIS9_SA_SB_SB_EEDaSZ_S10_SG_SL_EUlSZ_E_NS1_11comp_targetILNS1_3genE3ELNS1_11target_archE908ELNS1_3gpuE7ELNS1_3repE0EEENS1_47radix_sort_onesweep_sort_config_static_selectorELNS0_4arch9wavefront6targetE0EEEvSG_: ; @_ZN7rocprim17ROCPRIM_400000_NS6detail17trampoline_kernelINS0_14default_configENS1_35radix_sort_onesweep_config_selectorIfNS0_10empty_typeEEEZZNS1_29radix_sort_onesweep_iterationIS3_Lb0EPKfPfPS5_SB_mNS0_19identity_decomposerENS1_16block_id_wrapperIjLb0EEEEE10hipError_tT1_PNSt15iterator_traitsISG_E10value_typeET2_T3_PNSH_ISM_E10value_typeET4_T5_PSR_SS_PNS1_23onesweep_lookback_stateEbbT6_jjT7_P12ihipStream_tbENKUlT_T0_SG_SL_E_clIS9_SA_SB_SB_EEDaSZ_S10_SG_SL_EUlSZ_E_NS1_11comp_targetILNS1_3genE3ELNS1_11target_archE908ELNS1_3gpuE7ELNS1_3repE0EEENS1_47radix_sort_onesweep_sort_config_static_selectorELNS0_4arch9wavefront6targetE0EEEvSG_
; %bb.0:
	.section	.rodata,"a",@progbits
	.p2align	6, 0x0
	.amdhsa_kernel _ZN7rocprim17ROCPRIM_400000_NS6detail17trampoline_kernelINS0_14default_configENS1_35radix_sort_onesweep_config_selectorIfNS0_10empty_typeEEEZZNS1_29radix_sort_onesweep_iterationIS3_Lb0EPKfPfPS5_SB_mNS0_19identity_decomposerENS1_16block_id_wrapperIjLb0EEEEE10hipError_tT1_PNSt15iterator_traitsISG_E10value_typeET2_T3_PNSH_ISM_E10value_typeET4_T5_PSR_SS_PNS1_23onesweep_lookback_stateEbbT6_jjT7_P12ihipStream_tbENKUlT_T0_SG_SL_E_clIS9_SA_SB_SB_EEDaSZ_S10_SG_SL_EUlSZ_E_NS1_11comp_targetILNS1_3genE3ELNS1_11target_archE908ELNS1_3gpuE7ELNS1_3repE0EEENS1_47radix_sort_onesweep_sort_config_static_selectorELNS0_4arch9wavefront6targetE0EEEvSG_
		.amdhsa_group_segment_fixed_size 0
		.amdhsa_private_segment_fixed_size 0
		.amdhsa_kernarg_size 88
		.amdhsa_user_sgpr_count 2
		.amdhsa_user_sgpr_dispatch_ptr 0
		.amdhsa_user_sgpr_queue_ptr 0
		.amdhsa_user_sgpr_kernarg_segment_ptr 1
		.amdhsa_user_sgpr_dispatch_id 0
		.amdhsa_user_sgpr_kernarg_preload_length 0
		.amdhsa_user_sgpr_kernarg_preload_offset 0
		.amdhsa_user_sgpr_private_segment_size 0
		.amdhsa_wavefront_size32 1
		.amdhsa_uses_dynamic_stack 0
		.amdhsa_enable_private_segment 0
		.amdhsa_system_sgpr_workgroup_id_x 1
		.amdhsa_system_sgpr_workgroup_id_y 0
		.amdhsa_system_sgpr_workgroup_id_z 0
		.amdhsa_system_sgpr_workgroup_info 0
		.amdhsa_system_vgpr_workitem_id 0
		.amdhsa_next_free_vgpr 1
		.amdhsa_next_free_sgpr 1
		.amdhsa_named_barrier_count 0
		.amdhsa_reserve_vcc 0
		.amdhsa_float_round_mode_32 0
		.amdhsa_float_round_mode_16_64 0
		.amdhsa_float_denorm_mode_32 3
		.amdhsa_float_denorm_mode_16_64 3
		.amdhsa_fp16_overflow 0
		.amdhsa_memory_ordered 1
		.amdhsa_forward_progress 1
		.amdhsa_inst_pref_size 0
		.amdhsa_round_robin_scheduling 0
		.amdhsa_exception_fp_ieee_invalid_op 0
		.amdhsa_exception_fp_denorm_src 0
		.amdhsa_exception_fp_ieee_div_zero 0
		.amdhsa_exception_fp_ieee_overflow 0
		.amdhsa_exception_fp_ieee_underflow 0
		.amdhsa_exception_fp_ieee_inexact 0
		.amdhsa_exception_int_div_zero 0
	.end_amdhsa_kernel
	.section	.text._ZN7rocprim17ROCPRIM_400000_NS6detail17trampoline_kernelINS0_14default_configENS1_35radix_sort_onesweep_config_selectorIfNS0_10empty_typeEEEZZNS1_29radix_sort_onesweep_iterationIS3_Lb0EPKfPfPS5_SB_mNS0_19identity_decomposerENS1_16block_id_wrapperIjLb0EEEEE10hipError_tT1_PNSt15iterator_traitsISG_E10value_typeET2_T3_PNSH_ISM_E10value_typeET4_T5_PSR_SS_PNS1_23onesweep_lookback_stateEbbT6_jjT7_P12ihipStream_tbENKUlT_T0_SG_SL_E_clIS9_SA_SB_SB_EEDaSZ_S10_SG_SL_EUlSZ_E_NS1_11comp_targetILNS1_3genE3ELNS1_11target_archE908ELNS1_3gpuE7ELNS1_3repE0EEENS1_47radix_sort_onesweep_sort_config_static_selectorELNS0_4arch9wavefront6targetE0EEEvSG_,"axG",@progbits,_ZN7rocprim17ROCPRIM_400000_NS6detail17trampoline_kernelINS0_14default_configENS1_35radix_sort_onesweep_config_selectorIfNS0_10empty_typeEEEZZNS1_29radix_sort_onesweep_iterationIS3_Lb0EPKfPfPS5_SB_mNS0_19identity_decomposerENS1_16block_id_wrapperIjLb0EEEEE10hipError_tT1_PNSt15iterator_traitsISG_E10value_typeET2_T3_PNSH_ISM_E10value_typeET4_T5_PSR_SS_PNS1_23onesweep_lookback_stateEbbT6_jjT7_P12ihipStream_tbENKUlT_T0_SG_SL_E_clIS9_SA_SB_SB_EEDaSZ_S10_SG_SL_EUlSZ_E_NS1_11comp_targetILNS1_3genE3ELNS1_11target_archE908ELNS1_3gpuE7ELNS1_3repE0EEENS1_47radix_sort_onesweep_sort_config_static_selectorELNS0_4arch9wavefront6targetE0EEEvSG_,comdat
.Lfunc_end1429:
	.size	_ZN7rocprim17ROCPRIM_400000_NS6detail17trampoline_kernelINS0_14default_configENS1_35radix_sort_onesweep_config_selectorIfNS0_10empty_typeEEEZZNS1_29radix_sort_onesweep_iterationIS3_Lb0EPKfPfPS5_SB_mNS0_19identity_decomposerENS1_16block_id_wrapperIjLb0EEEEE10hipError_tT1_PNSt15iterator_traitsISG_E10value_typeET2_T3_PNSH_ISM_E10value_typeET4_T5_PSR_SS_PNS1_23onesweep_lookback_stateEbbT6_jjT7_P12ihipStream_tbENKUlT_T0_SG_SL_E_clIS9_SA_SB_SB_EEDaSZ_S10_SG_SL_EUlSZ_E_NS1_11comp_targetILNS1_3genE3ELNS1_11target_archE908ELNS1_3gpuE7ELNS1_3repE0EEENS1_47radix_sort_onesweep_sort_config_static_selectorELNS0_4arch9wavefront6targetE0EEEvSG_, .Lfunc_end1429-_ZN7rocprim17ROCPRIM_400000_NS6detail17trampoline_kernelINS0_14default_configENS1_35radix_sort_onesweep_config_selectorIfNS0_10empty_typeEEEZZNS1_29radix_sort_onesweep_iterationIS3_Lb0EPKfPfPS5_SB_mNS0_19identity_decomposerENS1_16block_id_wrapperIjLb0EEEEE10hipError_tT1_PNSt15iterator_traitsISG_E10value_typeET2_T3_PNSH_ISM_E10value_typeET4_T5_PSR_SS_PNS1_23onesweep_lookback_stateEbbT6_jjT7_P12ihipStream_tbENKUlT_T0_SG_SL_E_clIS9_SA_SB_SB_EEDaSZ_S10_SG_SL_EUlSZ_E_NS1_11comp_targetILNS1_3genE3ELNS1_11target_archE908ELNS1_3gpuE7ELNS1_3repE0EEENS1_47radix_sort_onesweep_sort_config_static_selectorELNS0_4arch9wavefront6targetE0EEEvSG_
                                        ; -- End function
	.set _ZN7rocprim17ROCPRIM_400000_NS6detail17trampoline_kernelINS0_14default_configENS1_35radix_sort_onesweep_config_selectorIfNS0_10empty_typeEEEZZNS1_29radix_sort_onesweep_iterationIS3_Lb0EPKfPfPS5_SB_mNS0_19identity_decomposerENS1_16block_id_wrapperIjLb0EEEEE10hipError_tT1_PNSt15iterator_traitsISG_E10value_typeET2_T3_PNSH_ISM_E10value_typeET4_T5_PSR_SS_PNS1_23onesweep_lookback_stateEbbT6_jjT7_P12ihipStream_tbENKUlT_T0_SG_SL_E_clIS9_SA_SB_SB_EEDaSZ_S10_SG_SL_EUlSZ_E_NS1_11comp_targetILNS1_3genE3ELNS1_11target_archE908ELNS1_3gpuE7ELNS1_3repE0EEENS1_47radix_sort_onesweep_sort_config_static_selectorELNS0_4arch9wavefront6targetE0EEEvSG_.num_vgpr, 0
	.set _ZN7rocprim17ROCPRIM_400000_NS6detail17trampoline_kernelINS0_14default_configENS1_35radix_sort_onesweep_config_selectorIfNS0_10empty_typeEEEZZNS1_29radix_sort_onesweep_iterationIS3_Lb0EPKfPfPS5_SB_mNS0_19identity_decomposerENS1_16block_id_wrapperIjLb0EEEEE10hipError_tT1_PNSt15iterator_traitsISG_E10value_typeET2_T3_PNSH_ISM_E10value_typeET4_T5_PSR_SS_PNS1_23onesweep_lookback_stateEbbT6_jjT7_P12ihipStream_tbENKUlT_T0_SG_SL_E_clIS9_SA_SB_SB_EEDaSZ_S10_SG_SL_EUlSZ_E_NS1_11comp_targetILNS1_3genE3ELNS1_11target_archE908ELNS1_3gpuE7ELNS1_3repE0EEENS1_47radix_sort_onesweep_sort_config_static_selectorELNS0_4arch9wavefront6targetE0EEEvSG_.num_agpr, 0
	.set _ZN7rocprim17ROCPRIM_400000_NS6detail17trampoline_kernelINS0_14default_configENS1_35radix_sort_onesweep_config_selectorIfNS0_10empty_typeEEEZZNS1_29radix_sort_onesweep_iterationIS3_Lb0EPKfPfPS5_SB_mNS0_19identity_decomposerENS1_16block_id_wrapperIjLb0EEEEE10hipError_tT1_PNSt15iterator_traitsISG_E10value_typeET2_T3_PNSH_ISM_E10value_typeET4_T5_PSR_SS_PNS1_23onesweep_lookback_stateEbbT6_jjT7_P12ihipStream_tbENKUlT_T0_SG_SL_E_clIS9_SA_SB_SB_EEDaSZ_S10_SG_SL_EUlSZ_E_NS1_11comp_targetILNS1_3genE3ELNS1_11target_archE908ELNS1_3gpuE7ELNS1_3repE0EEENS1_47radix_sort_onesweep_sort_config_static_selectorELNS0_4arch9wavefront6targetE0EEEvSG_.numbered_sgpr, 0
	.set _ZN7rocprim17ROCPRIM_400000_NS6detail17trampoline_kernelINS0_14default_configENS1_35radix_sort_onesweep_config_selectorIfNS0_10empty_typeEEEZZNS1_29radix_sort_onesweep_iterationIS3_Lb0EPKfPfPS5_SB_mNS0_19identity_decomposerENS1_16block_id_wrapperIjLb0EEEEE10hipError_tT1_PNSt15iterator_traitsISG_E10value_typeET2_T3_PNSH_ISM_E10value_typeET4_T5_PSR_SS_PNS1_23onesweep_lookback_stateEbbT6_jjT7_P12ihipStream_tbENKUlT_T0_SG_SL_E_clIS9_SA_SB_SB_EEDaSZ_S10_SG_SL_EUlSZ_E_NS1_11comp_targetILNS1_3genE3ELNS1_11target_archE908ELNS1_3gpuE7ELNS1_3repE0EEENS1_47radix_sort_onesweep_sort_config_static_selectorELNS0_4arch9wavefront6targetE0EEEvSG_.num_named_barrier, 0
	.set _ZN7rocprim17ROCPRIM_400000_NS6detail17trampoline_kernelINS0_14default_configENS1_35radix_sort_onesweep_config_selectorIfNS0_10empty_typeEEEZZNS1_29radix_sort_onesweep_iterationIS3_Lb0EPKfPfPS5_SB_mNS0_19identity_decomposerENS1_16block_id_wrapperIjLb0EEEEE10hipError_tT1_PNSt15iterator_traitsISG_E10value_typeET2_T3_PNSH_ISM_E10value_typeET4_T5_PSR_SS_PNS1_23onesweep_lookback_stateEbbT6_jjT7_P12ihipStream_tbENKUlT_T0_SG_SL_E_clIS9_SA_SB_SB_EEDaSZ_S10_SG_SL_EUlSZ_E_NS1_11comp_targetILNS1_3genE3ELNS1_11target_archE908ELNS1_3gpuE7ELNS1_3repE0EEENS1_47radix_sort_onesweep_sort_config_static_selectorELNS0_4arch9wavefront6targetE0EEEvSG_.private_seg_size, 0
	.set _ZN7rocprim17ROCPRIM_400000_NS6detail17trampoline_kernelINS0_14default_configENS1_35radix_sort_onesweep_config_selectorIfNS0_10empty_typeEEEZZNS1_29radix_sort_onesweep_iterationIS3_Lb0EPKfPfPS5_SB_mNS0_19identity_decomposerENS1_16block_id_wrapperIjLb0EEEEE10hipError_tT1_PNSt15iterator_traitsISG_E10value_typeET2_T3_PNSH_ISM_E10value_typeET4_T5_PSR_SS_PNS1_23onesweep_lookback_stateEbbT6_jjT7_P12ihipStream_tbENKUlT_T0_SG_SL_E_clIS9_SA_SB_SB_EEDaSZ_S10_SG_SL_EUlSZ_E_NS1_11comp_targetILNS1_3genE3ELNS1_11target_archE908ELNS1_3gpuE7ELNS1_3repE0EEENS1_47radix_sort_onesweep_sort_config_static_selectorELNS0_4arch9wavefront6targetE0EEEvSG_.uses_vcc, 0
	.set _ZN7rocprim17ROCPRIM_400000_NS6detail17trampoline_kernelINS0_14default_configENS1_35radix_sort_onesweep_config_selectorIfNS0_10empty_typeEEEZZNS1_29radix_sort_onesweep_iterationIS3_Lb0EPKfPfPS5_SB_mNS0_19identity_decomposerENS1_16block_id_wrapperIjLb0EEEEE10hipError_tT1_PNSt15iterator_traitsISG_E10value_typeET2_T3_PNSH_ISM_E10value_typeET4_T5_PSR_SS_PNS1_23onesweep_lookback_stateEbbT6_jjT7_P12ihipStream_tbENKUlT_T0_SG_SL_E_clIS9_SA_SB_SB_EEDaSZ_S10_SG_SL_EUlSZ_E_NS1_11comp_targetILNS1_3genE3ELNS1_11target_archE908ELNS1_3gpuE7ELNS1_3repE0EEENS1_47radix_sort_onesweep_sort_config_static_selectorELNS0_4arch9wavefront6targetE0EEEvSG_.uses_flat_scratch, 0
	.set _ZN7rocprim17ROCPRIM_400000_NS6detail17trampoline_kernelINS0_14default_configENS1_35radix_sort_onesweep_config_selectorIfNS0_10empty_typeEEEZZNS1_29radix_sort_onesweep_iterationIS3_Lb0EPKfPfPS5_SB_mNS0_19identity_decomposerENS1_16block_id_wrapperIjLb0EEEEE10hipError_tT1_PNSt15iterator_traitsISG_E10value_typeET2_T3_PNSH_ISM_E10value_typeET4_T5_PSR_SS_PNS1_23onesweep_lookback_stateEbbT6_jjT7_P12ihipStream_tbENKUlT_T0_SG_SL_E_clIS9_SA_SB_SB_EEDaSZ_S10_SG_SL_EUlSZ_E_NS1_11comp_targetILNS1_3genE3ELNS1_11target_archE908ELNS1_3gpuE7ELNS1_3repE0EEENS1_47radix_sort_onesweep_sort_config_static_selectorELNS0_4arch9wavefront6targetE0EEEvSG_.has_dyn_sized_stack, 0
	.set _ZN7rocprim17ROCPRIM_400000_NS6detail17trampoline_kernelINS0_14default_configENS1_35radix_sort_onesweep_config_selectorIfNS0_10empty_typeEEEZZNS1_29radix_sort_onesweep_iterationIS3_Lb0EPKfPfPS5_SB_mNS0_19identity_decomposerENS1_16block_id_wrapperIjLb0EEEEE10hipError_tT1_PNSt15iterator_traitsISG_E10value_typeET2_T3_PNSH_ISM_E10value_typeET4_T5_PSR_SS_PNS1_23onesweep_lookback_stateEbbT6_jjT7_P12ihipStream_tbENKUlT_T0_SG_SL_E_clIS9_SA_SB_SB_EEDaSZ_S10_SG_SL_EUlSZ_E_NS1_11comp_targetILNS1_3genE3ELNS1_11target_archE908ELNS1_3gpuE7ELNS1_3repE0EEENS1_47radix_sort_onesweep_sort_config_static_selectorELNS0_4arch9wavefront6targetE0EEEvSG_.has_recursion, 0
	.set _ZN7rocprim17ROCPRIM_400000_NS6detail17trampoline_kernelINS0_14default_configENS1_35radix_sort_onesweep_config_selectorIfNS0_10empty_typeEEEZZNS1_29radix_sort_onesweep_iterationIS3_Lb0EPKfPfPS5_SB_mNS0_19identity_decomposerENS1_16block_id_wrapperIjLb0EEEEE10hipError_tT1_PNSt15iterator_traitsISG_E10value_typeET2_T3_PNSH_ISM_E10value_typeET4_T5_PSR_SS_PNS1_23onesweep_lookback_stateEbbT6_jjT7_P12ihipStream_tbENKUlT_T0_SG_SL_E_clIS9_SA_SB_SB_EEDaSZ_S10_SG_SL_EUlSZ_E_NS1_11comp_targetILNS1_3genE3ELNS1_11target_archE908ELNS1_3gpuE7ELNS1_3repE0EEENS1_47radix_sort_onesweep_sort_config_static_selectorELNS0_4arch9wavefront6targetE0EEEvSG_.has_indirect_call, 0
	.section	.AMDGPU.csdata,"",@progbits
; Kernel info:
; codeLenInByte = 0
; TotalNumSgprs: 0
; NumVgprs: 0
; ScratchSize: 0
; MemoryBound: 0
; FloatMode: 240
; IeeeMode: 1
; LDSByteSize: 0 bytes/workgroup (compile time only)
; SGPRBlocks: 0
; VGPRBlocks: 0
; NumSGPRsForWavesPerEU: 1
; NumVGPRsForWavesPerEU: 1
; NamedBarCnt: 0
; Occupancy: 16
; WaveLimiterHint : 0
; COMPUTE_PGM_RSRC2:SCRATCH_EN: 0
; COMPUTE_PGM_RSRC2:USER_SGPR: 2
; COMPUTE_PGM_RSRC2:TRAP_HANDLER: 0
; COMPUTE_PGM_RSRC2:TGID_X_EN: 1
; COMPUTE_PGM_RSRC2:TGID_Y_EN: 0
; COMPUTE_PGM_RSRC2:TGID_Z_EN: 0
; COMPUTE_PGM_RSRC2:TIDIG_COMP_CNT: 0
	.section	.text._ZN7rocprim17ROCPRIM_400000_NS6detail17trampoline_kernelINS0_14default_configENS1_35radix_sort_onesweep_config_selectorIfNS0_10empty_typeEEEZZNS1_29radix_sort_onesweep_iterationIS3_Lb0EPKfPfPS5_SB_mNS0_19identity_decomposerENS1_16block_id_wrapperIjLb0EEEEE10hipError_tT1_PNSt15iterator_traitsISG_E10value_typeET2_T3_PNSH_ISM_E10value_typeET4_T5_PSR_SS_PNS1_23onesweep_lookback_stateEbbT6_jjT7_P12ihipStream_tbENKUlT_T0_SG_SL_E_clIS9_SA_SB_SB_EEDaSZ_S10_SG_SL_EUlSZ_E_NS1_11comp_targetILNS1_3genE10ELNS1_11target_archE1201ELNS1_3gpuE5ELNS1_3repE0EEENS1_47radix_sort_onesweep_sort_config_static_selectorELNS0_4arch9wavefront6targetE0EEEvSG_,"axG",@progbits,_ZN7rocprim17ROCPRIM_400000_NS6detail17trampoline_kernelINS0_14default_configENS1_35radix_sort_onesweep_config_selectorIfNS0_10empty_typeEEEZZNS1_29radix_sort_onesweep_iterationIS3_Lb0EPKfPfPS5_SB_mNS0_19identity_decomposerENS1_16block_id_wrapperIjLb0EEEEE10hipError_tT1_PNSt15iterator_traitsISG_E10value_typeET2_T3_PNSH_ISM_E10value_typeET4_T5_PSR_SS_PNS1_23onesweep_lookback_stateEbbT6_jjT7_P12ihipStream_tbENKUlT_T0_SG_SL_E_clIS9_SA_SB_SB_EEDaSZ_S10_SG_SL_EUlSZ_E_NS1_11comp_targetILNS1_3genE10ELNS1_11target_archE1201ELNS1_3gpuE5ELNS1_3repE0EEENS1_47radix_sort_onesweep_sort_config_static_selectorELNS0_4arch9wavefront6targetE0EEEvSG_,comdat
	.protected	_ZN7rocprim17ROCPRIM_400000_NS6detail17trampoline_kernelINS0_14default_configENS1_35radix_sort_onesweep_config_selectorIfNS0_10empty_typeEEEZZNS1_29radix_sort_onesweep_iterationIS3_Lb0EPKfPfPS5_SB_mNS0_19identity_decomposerENS1_16block_id_wrapperIjLb0EEEEE10hipError_tT1_PNSt15iterator_traitsISG_E10value_typeET2_T3_PNSH_ISM_E10value_typeET4_T5_PSR_SS_PNS1_23onesweep_lookback_stateEbbT6_jjT7_P12ihipStream_tbENKUlT_T0_SG_SL_E_clIS9_SA_SB_SB_EEDaSZ_S10_SG_SL_EUlSZ_E_NS1_11comp_targetILNS1_3genE10ELNS1_11target_archE1201ELNS1_3gpuE5ELNS1_3repE0EEENS1_47radix_sort_onesweep_sort_config_static_selectorELNS0_4arch9wavefront6targetE0EEEvSG_ ; -- Begin function _ZN7rocprim17ROCPRIM_400000_NS6detail17trampoline_kernelINS0_14default_configENS1_35radix_sort_onesweep_config_selectorIfNS0_10empty_typeEEEZZNS1_29radix_sort_onesweep_iterationIS3_Lb0EPKfPfPS5_SB_mNS0_19identity_decomposerENS1_16block_id_wrapperIjLb0EEEEE10hipError_tT1_PNSt15iterator_traitsISG_E10value_typeET2_T3_PNSH_ISM_E10value_typeET4_T5_PSR_SS_PNS1_23onesweep_lookback_stateEbbT6_jjT7_P12ihipStream_tbENKUlT_T0_SG_SL_E_clIS9_SA_SB_SB_EEDaSZ_S10_SG_SL_EUlSZ_E_NS1_11comp_targetILNS1_3genE10ELNS1_11target_archE1201ELNS1_3gpuE5ELNS1_3repE0EEENS1_47radix_sort_onesweep_sort_config_static_selectorELNS0_4arch9wavefront6targetE0EEEvSG_
	.globl	_ZN7rocprim17ROCPRIM_400000_NS6detail17trampoline_kernelINS0_14default_configENS1_35radix_sort_onesweep_config_selectorIfNS0_10empty_typeEEEZZNS1_29radix_sort_onesweep_iterationIS3_Lb0EPKfPfPS5_SB_mNS0_19identity_decomposerENS1_16block_id_wrapperIjLb0EEEEE10hipError_tT1_PNSt15iterator_traitsISG_E10value_typeET2_T3_PNSH_ISM_E10value_typeET4_T5_PSR_SS_PNS1_23onesweep_lookback_stateEbbT6_jjT7_P12ihipStream_tbENKUlT_T0_SG_SL_E_clIS9_SA_SB_SB_EEDaSZ_S10_SG_SL_EUlSZ_E_NS1_11comp_targetILNS1_3genE10ELNS1_11target_archE1201ELNS1_3gpuE5ELNS1_3repE0EEENS1_47radix_sort_onesweep_sort_config_static_selectorELNS0_4arch9wavefront6targetE0EEEvSG_
	.p2align	8
	.type	_ZN7rocprim17ROCPRIM_400000_NS6detail17trampoline_kernelINS0_14default_configENS1_35radix_sort_onesweep_config_selectorIfNS0_10empty_typeEEEZZNS1_29radix_sort_onesweep_iterationIS3_Lb0EPKfPfPS5_SB_mNS0_19identity_decomposerENS1_16block_id_wrapperIjLb0EEEEE10hipError_tT1_PNSt15iterator_traitsISG_E10value_typeET2_T3_PNSH_ISM_E10value_typeET4_T5_PSR_SS_PNS1_23onesweep_lookback_stateEbbT6_jjT7_P12ihipStream_tbENKUlT_T0_SG_SL_E_clIS9_SA_SB_SB_EEDaSZ_S10_SG_SL_EUlSZ_E_NS1_11comp_targetILNS1_3genE10ELNS1_11target_archE1201ELNS1_3gpuE5ELNS1_3repE0EEENS1_47radix_sort_onesweep_sort_config_static_selectorELNS0_4arch9wavefront6targetE0EEEvSG_,@function
_ZN7rocprim17ROCPRIM_400000_NS6detail17trampoline_kernelINS0_14default_configENS1_35radix_sort_onesweep_config_selectorIfNS0_10empty_typeEEEZZNS1_29radix_sort_onesweep_iterationIS3_Lb0EPKfPfPS5_SB_mNS0_19identity_decomposerENS1_16block_id_wrapperIjLb0EEEEE10hipError_tT1_PNSt15iterator_traitsISG_E10value_typeET2_T3_PNSH_ISM_E10value_typeET4_T5_PSR_SS_PNS1_23onesweep_lookback_stateEbbT6_jjT7_P12ihipStream_tbENKUlT_T0_SG_SL_E_clIS9_SA_SB_SB_EEDaSZ_S10_SG_SL_EUlSZ_E_NS1_11comp_targetILNS1_3genE10ELNS1_11target_archE1201ELNS1_3gpuE5ELNS1_3repE0EEENS1_47radix_sort_onesweep_sort_config_static_selectorELNS0_4arch9wavefront6targetE0EEEvSG_: ; @_ZN7rocprim17ROCPRIM_400000_NS6detail17trampoline_kernelINS0_14default_configENS1_35radix_sort_onesweep_config_selectorIfNS0_10empty_typeEEEZZNS1_29radix_sort_onesweep_iterationIS3_Lb0EPKfPfPS5_SB_mNS0_19identity_decomposerENS1_16block_id_wrapperIjLb0EEEEE10hipError_tT1_PNSt15iterator_traitsISG_E10value_typeET2_T3_PNSH_ISM_E10value_typeET4_T5_PSR_SS_PNS1_23onesweep_lookback_stateEbbT6_jjT7_P12ihipStream_tbENKUlT_T0_SG_SL_E_clIS9_SA_SB_SB_EEDaSZ_S10_SG_SL_EUlSZ_E_NS1_11comp_targetILNS1_3genE10ELNS1_11target_archE1201ELNS1_3gpuE5ELNS1_3repE0EEENS1_47radix_sort_onesweep_sort_config_static_selectorELNS0_4arch9wavefront6targetE0EEEvSG_
; %bb.0:
	.section	.rodata,"a",@progbits
	.p2align	6, 0x0
	.amdhsa_kernel _ZN7rocprim17ROCPRIM_400000_NS6detail17trampoline_kernelINS0_14default_configENS1_35radix_sort_onesweep_config_selectorIfNS0_10empty_typeEEEZZNS1_29radix_sort_onesweep_iterationIS3_Lb0EPKfPfPS5_SB_mNS0_19identity_decomposerENS1_16block_id_wrapperIjLb0EEEEE10hipError_tT1_PNSt15iterator_traitsISG_E10value_typeET2_T3_PNSH_ISM_E10value_typeET4_T5_PSR_SS_PNS1_23onesweep_lookback_stateEbbT6_jjT7_P12ihipStream_tbENKUlT_T0_SG_SL_E_clIS9_SA_SB_SB_EEDaSZ_S10_SG_SL_EUlSZ_E_NS1_11comp_targetILNS1_3genE10ELNS1_11target_archE1201ELNS1_3gpuE5ELNS1_3repE0EEENS1_47radix_sort_onesweep_sort_config_static_selectorELNS0_4arch9wavefront6targetE0EEEvSG_
		.amdhsa_group_segment_fixed_size 0
		.amdhsa_private_segment_fixed_size 0
		.amdhsa_kernarg_size 88
		.amdhsa_user_sgpr_count 2
		.amdhsa_user_sgpr_dispatch_ptr 0
		.amdhsa_user_sgpr_queue_ptr 0
		.amdhsa_user_sgpr_kernarg_segment_ptr 1
		.amdhsa_user_sgpr_dispatch_id 0
		.amdhsa_user_sgpr_kernarg_preload_length 0
		.amdhsa_user_sgpr_kernarg_preload_offset 0
		.amdhsa_user_sgpr_private_segment_size 0
		.amdhsa_wavefront_size32 1
		.amdhsa_uses_dynamic_stack 0
		.amdhsa_enable_private_segment 0
		.amdhsa_system_sgpr_workgroup_id_x 1
		.amdhsa_system_sgpr_workgroup_id_y 0
		.amdhsa_system_sgpr_workgroup_id_z 0
		.amdhsa_system_sgpr_workgroup_info 0
		.amdhsa_system_vgpr_workitem_id 0
		.amdhsa_next_free_vgpr 1
		.amdhsa_next_free_sgpr 1
		.amdhsa_named_barrier_count 0
		.amdhsa_reserve_vcc 0
		.amdhsa_float_round_mode_32 0
		.amdhsa_float_round_mode_16_64 0
		.amdhsa_float_denorm_mode_32 3
		.amdhsa_float_denorm_mode_16_64 3
		.amdhsa_fp16_overflow 0
		.amdhsa_memory_ordered 1
		.amdhsa_forward_progress 1
		.amdhsa_inst_pref_size 0
		.amdhsa_round_robin_scheduling 0
		.amdhsa_exception_fp_ieee_invalid_op 0
		.amdhsa_exception_fp_denorm_src 0
		.amdhsa_exception_fp_ieee_div_zero 0
		.amdhsa_exception_fp_ieee_overflow 0
		.amdhsa_exception_fp_ieee_underflow 0
		.amdhsa_exception_fp_ieee_inexact 0
		.amdhsa_exception_int_div_zero 0
	.end_amdhsa_kernel
	.section	.text._ZN7rocprim17ROCPRIM_400000_NS6detail17trampoline_kernelINS0_14default_configENS1_35radix_sort_onesweep_config_selectorIfNS0_10empty_typeEEEZZNS1_29radix_sort_onesweep_iterationIS3_Lb0EPKfPfPS5_SB_mNS0_19identity_decomposerENS1_16block_id_wrapperIjLb0EEEEE10hipError_tT1_PNSt15iterator_traitsISG_E10value_typeET2_T3_PNSH_ISM_E10value_typeET4_T5_PSR_SS_PNS1_23onesweep_lookback_stateEbbT6_jjT7_P12ihipStream_tbENKUlT_T0_SG_SL_E_clIS9_SA_SB_SB_EEDaSZ_S10_SG_SL_EUlSZ_E_NS1_11comp_targetILNS1_3genE10ELNS1_11target_archE1201ELNS1_3gpuE5ELNS1_3repE0EEENS1_47radix_sort_onesweep_sort_config_static_selectorELNS0_4arch9wavefront6targetE0EEEvSG_,"axG",@progbits,_ZN7rocprim17ROCPRIM_400000_NS6detail17trampoline_kernelINS0_14default_configENS1_35radix_sort_onesweep_config_selectorIfNS0_10empty_typeEEEZZNS1_29radix_sort_onesweep_iterationIS3_Lb0EPKfPfPS5_SB_mNS0_19identity_decomposerENS1_16block_id_wrapperIjLb0EEEEE10hipError_tT1_PNSt15iterator_traitsISG_E10value_typeET2_T3_PNSH_ISM_E10value_typeET4_T5_PSR_SS_PNS1_23onesweep_lookback_stateEbbT6_jjT7_P12ihipStream_tbENKUlT_T0_SG_SL_E_clIS9_SA_SB_SB_EEDaSZ_S10_SG_SL_EUlSZ_E_NS1_11comp_targetILNS1_3genE10ELNS1_11target_archE1201ELNS1_3gpuE5ELNS1_3repE0EEENS1_47radix_sort_onesweep_sort_config_static_selectorELNS0_4arch9wavefront6targetE0EEEvSG_,comdat
.Lfunc_end1430:
	.size	_ZN7rocprim17ROCPRIM_400000_NS6detail17trampoline_kernelINS0_14default_configENS1_35radix_sort_onesweep_config_selectorIfNS0_10empty_typeEEEZZNS1_29radix_sort_onesweep_iterationIS3_Lb0EPKfPfPS5_SB_mNS0_19identity_decomposerENS1_16block_id_wrapperIjLb0EEEEE10hipError_tT1_PNSt15iterator_traitsISG_E10value_typeET2_T3_PNSH_ISM_E10value_typeET4_T5_PSR_SS_PNS1_23onesweep_lookback_stateEbbT6_jjT7_P12ihipStream_tbENKUlT_T0_SG_SL_E_clIS9_SA_SB_SB_EEDaSZ_S10_SG_SL_EUlSZ_E_NS1_11comp_targetILNS1_3genE10ELNS1_11target_archE1201ELNS1_3gpuE5ELNS1_3repE0EEENS1_47radix_sort_onesweep_sort_config_static_selectorELNS0_4arch9wavefront6targetE0EEEvSG_, .Lfunc_end1430-_ZN7rocprim17ROCPRIM_400000_NS6detail17trampoline_kernelINS0_14default_configENS1_35radix_sort_onesweep_config_selectorIfNS0_10empty_typeEEEZZNS1_29radix_sort_onesweep_iterationIS3_Lb0EPKfPfPS5_SB_mNS0_19identity_decomposerENS1_16block_id_wrapperIjLb0EEEEE10hipError_tT1_PNSt15iterator_traitsISG_E10value_typeET2_T3_PNSH_ISM_E10value_typeET4_T5_PSR_SS_PNS1_23onesweep_lookback_stateEbbT6_jjT7_P12ihipStream_tbENKUlT_T0_SG_SL_E_clIS9_SA_SB_SB_EEDaSZ_S10_SG_SL_EUlSZ_E_NS1_11comp_targetILNS1_3genE10ELNS1_11target_archE1201ELNS1_3gpuE5ELNS1_3repE0EEENS1_47radix_sort_onesweep_sort_config_static_selectorELNS0_4arch9wavefront6targetE0EEEvSG_
                                        ; -- End function
	.set _ZN7rocprim17ROCPRIM_400000_NS6detail17trampoline_kernelINS0_14default_configENS1_35radix_sort_onesweep_config_selectorIfNS0_10empty_typeEEEZZNS1_29radix_sort_onesweep_iterationIS3_Lb0EPKfPfPS5_SB_mNS0_19identity_decomposerENS1_16block_id_wrapperIjLb0EEEEE10hipError_tT1_PNSt15iterator_traitsISG_E10value_typeET2_T3_PNSH_ISM_E10value_typeET4_T5_PSR_SS_PNS1_23onesweep_lookback_stateEbbT6_jjT7_P12ihipStream_tbENKUlT_T0_SG_SL_E_clIS9_SA_SB_SB_EEDaSZ_S10_SG_SL_EUlSZ_E_NS1_11comp_targetILNS1_3genE10ELNS1_11target_archE1201ELNS1_3gpuE5ELNS1_3repE0EEENS1_47radix_sort_onesweep_sort_config_static_selectorELNS0_4arch9wavefront6targetE0EEEvSG_.num_vgpr, 0
	.set _ZN7rocprim17ROCPRIM_400000_NS6detail17trampoline_kernelINS0_14default_configENS1_35radix_sort_onesweep_config_selectorIfNS0_10empty_typeEEEZZNS1_29radix_sort_onesweep_iterationIS3_Lb0EPKfPfPS5_SB_mNS0_19identity_decomposerENS1_16block_id_wrapperIjLb0EEEEE10hipError_tT1_PNSt15iterator_traitsISG_E10value_typeET2_T3_PNSH_ISM_E10value_typeET4_T5_PSR_SS_PNS1_23onesweep_lookback_stateEbbT6_jjT7_P12ihipStream_tbENKUlT_T0_SG_SL_E_clIS9_SA_SB_SB_EEDaSZ_S10_SG_SL_EUlSZ_E_NS1_11comp_targetILNS1_3genE10ELNS1_11target_archE1201ELNS1_3gpuE5ELNS1_3repE0EEENS1_47radix_sort_onesweep_sort_config_static_selectorELNS0_4arch9wavefront6targetE0EEEvSG_.num_agpr, 0
	.set _ZN7rocprim17ROCPRIM_400000_NS6detail17trampoline_kernelINS0_14default_configENS1_35radix_sort_onesweep_config_selectorIfNS0_10empty_typeEEEZZNS1_29radix_sort_onesweep_iterationIS3_Lb0EPKfPfPS5_SB_mNS0_19identity_decomposerENS1_16block_id_wrapperIjLb0EEEEE10hipError_tT1_PNSt15iterator_traitsISG_E10value_typeET2_T3_PNSH_ISM_E10value_typeET4_T5_PSR_SS_PNS1_23onesweep_lookback_stateEbbT6_jjT7_P12ihipStream_tbENKUlT_T0_SG_SL_E_clIS9_SA_SB_SB_EEDaSZ_S10_SG_SL_EUlSZ_E_NS1_11comp_targetILNS1_3genE10ELNS1_11target_archE1201ELNS1_3gpuE5ELNS1_3repE0EEENS1_47radix_sort_onesweep_sort_config_static_selectorELNS0_4arch9wavefront6targetE0EEEvSG_.numbered_sgpr, 0
	.set _ZN7rocprim17ROCPRIM_400000_NS6detail17trampoline_kernelINS0_14default_configENS1_35radix_sort_onesweep_config_selectorIfNS0_10empty_typeEEEZZNS1_29radix_sort_onesweep_iterationIS3_Lb0EPKfPfPS5_SB_mNS0_19identity_decomposerENS1_16block_id_wrapperIjLb0EEEEE10hipError_tT1_PNSt15iterator_traitsISG_E10value_typeET2_T3_PNSH_ISM_E10value_typeET4_T5_PSR_SS_PNS1_23onesweep_lookback_stateEbbT6_jjT7_P12ihipStream_tbENKUlT_T0_SG_SL_E_clIS9_SA_SB_SB_EEDaSZ_S10_SG_SL_EUlSZ_E_NS1_11comp_targetILNS1_3genE10ELNS1_11target_archE1201ELNS1_3gpuE5ELNS1_3repE0EEENS1_47radix_sort_onesweep_sort_config_static_selectorELNS0_4arch9wavefront6targetE0EEEvSG_.num_named_barrier, 0
	.set _ZN7rocprim17ROCPRIM_400000_NS6detail17trampoline_kernelINS0_14default_configENS1_35radix_sort_onesweep_config_selectorIfNS0_10empty_typeEEEZZNS1_29radix_sort_onesweep_iterationIS3_Lb0EPKfPfPS5_SB_mNS0_19identity_decomposerENS1_16block_id_wrapperIjLb0EEEEE10hipError_tT1_PNSt15iterator_traitsISG_E10value_typeET2_T3_PNSH_ISM_E10value_typeET4_T5_PSR_SS_PNS1_23onesweep_lookback_stateEbbT6_jjT7_P12ihipStream_tbENKUlT_T0_SG_SL_E_clIS9_SA_SB_SB_EEDaSZ_S10_SG_SL_EUlSZ_E_NS1_11comp_targetILNS1_3genE10ELNS1_11target_archE1201ELNS1_3gpuE5ELNS1_3repE0EEENS1_47radix_sort_onesweep_sort_config_static_selectorELNS0_4arch9wavefront6targetE0EEEvSG_.private_seg_size, 0
	.set _ZN7rocprim17ROCPRIM_400000_NS6detail17trampoline_kernelINS0_14default_configENS1_35radix_sort_onesweep_config_selectorIfNS0_10empty_typeEEEZZNS1_29radix_sort_onesweep_iterationIS3_Lb0EPKfPfPS5_SB_mNS0_19identity_decomposerENS1_16block_id_wrapperIjLb0EEEEE10hipError_tT1_PNSt15iterator_traitsISG_E10value_typeET2_T3_PNSH_ISM_E10value_typeET4_T5_PSR_SS_PNS1_23onesweep_lookback_stateEbbT6_jjT7_P12ihipStream_tbENKUlT_T0_SG_SL_E_clIS9_SA_SB_SB_EEDaSZ_S10_SG_SL_EUlSZ_E_NS1_11comp_targetILNS1_3genE10ELNS1_11target_archE1201ELNS1_3gpuE5ELNS1_3repE0EEENS1_47radix_sort_onesweep_sort_config_static_selectorELNS0_4arch9wavefront6targetE0EEEvSG_.uses_vcc, 0
	.set _ZN7rocprim17ROCPRIM_400000_NS6detail17trampoline_kernelINS0_14default_configENS1_35radix_sort_onesweep_config_selectorIfNS0_10empty_typeEEEZZNS1_29radix_sort_onesweep_iterationIS3_Lb0EPKfPfPS5_SB_mNS0_19identity_decomposerENS1_16block_id_wrapperIjLb0EEEEE10hipError_tT1_PNSt15iterator_traitsISG_E10value_typeET2_T3_PNSH_ISM_E10value_typeET4_T5_PSR_SS_PNS1_23onesweep_lookback_stateEbbT6_jjT7_P12ihipStream_tbENKUlT_T0_SG_SL_E_clIS9_SA_SB_SB_EEDaSZ_S10_SG_SL_EUlSZ_E_NS1_11comp_targetILNS1_3genE10ELNS1_11target_archE1201ELNS1_3gpuE5ELNS1_3repE0EEENS1_47radix_sort_onesweep_sort_config_static_selectorELNS0_4arch9wavefront6targetE0EEEvSG_.uses_flat_scratch, 0
	.set _ZN7rocprim17ROCPRIM_400000_NS6detail17trampoline_kernelINS0_14default_configENS1_35radix_sort_onesweep_config_selectorIfNS0_10empty_typeEEEZZNS1_29radix_sort_onesweep_iterationIS3_Lb0EPKfPfPS5_SB_mNS0_19identity_decomposerENS1_16block_id_wrapperIjLb0EEEEE10hipError_tT1_PNSt15iterator_traitsISG_E10value_typeET2_T3_PNSH_ISM_E10value_typeET4_T5_PSR_SS_PNS1_23onesweep_lookback_stateEbbT6_jjT7_P12ihipStream_tbENKUlT_T0_SG_SL_E_clIS9_SA_SB_SB_EEDaSZ_S10_SG_SL_EUlSZ_E_NS1_11comp_targetILNS1_3genE10ELNS1_11target_archE1201ELNS1_3gpuE5ELNS1_3repE0EEENS1_47radix_sort_onesweep_sort_config_static_selectorELNS0_4arch9wavefront6targetE0EEEvSG_.has_dyn_sized_stack, 0
	.set _ZN7rocprim17ROCPRIM_400000_NS6detail17trampoline_kernelINS0_14default_configENS1_35radix_sort_onesweep_config_selectorIfNS0_10empty_typeEEEZZNS1_29radix_sort_onesweep_iterationIS3_Lb0EPKfPfPS5_SB_mNS0_19identity_decomposerENS1_16block_id_wrapperIjLb0EEEEE10hipError_tT1_PNSt15iterator_traitsISG_E10value_typeET2_T3_PNSH_ISM_E10value_typeET4_T5_PSR_SS_PNS1_23onesweep_lookback_stateEbbT6_jjT7_P12ihipStream_tbENKUlT_T0_SG_SL_E_clIS9_SA_SB_SB_EEDaSZ_S10_SG_SL_EUlSZ_E_NS1_11comp_targetILNS1_3genE10ELNS1_11target_archE1201ELNS1_3gpuE5ELNS1_3repE0EEENS1_47radix_sort_onesweep_sort_config_static_selectorELNS0_4arch9wavefront6targetE0EEEvSG_.has_recursion, 0
	.set _ZN7rocprim17ROCPRIM_400000_NS6detail17trampoline_kernelINS0_14default_configENS1_35radix_sort_onesweep_config_selectorIfNS0_10empty_typeEEEZZNS1_29radix_sort_onesweep_iterationIS3_Lb0EPKfPfPS5_SB_mNS0_19identity_decomposerENS1_16block_id_wrapperIjLb0EEEEE10hipError_tT1_PNSt15iterator_traitsISG_E10value_typeET2_T3_PNSH_ISM_E10value_typeET4_T5_PSR_SS_PNS1_23onesweep_lookback_stateEbbT6_jjT7_P12ihipStream_tbENKUlT_T0_SG_SL_E_clIS9_SA_SB_SB_EEDaSZ_S10_SG_SL_EUlSZ_E_NS1_11comp_targetILNS1_3genE10ELNS1_11target_archE1201ELNS1_3gpuE5ELNS1_3repE0EEENS1_47radix_sort_onesweep_sort_config_static_selectorELNS0_4arch9wavefront6targetE0EEEvSG_.has_indirect_call, 0
	.section	.AMDGPU.csdata,"",@progbits
; Kernel info:
; codeLenInByte = 0
; TotalNumSgprs: 0
; NumVgprs: 0
; ScratchSize: 0
; MemoryBound: 0
; FloatMode: 240
; IeeeMode: 1
; LDSByteSize: 0 bytes/workgroup (compile time only)
; SGPRBlocks: 0
; VGPRBlocks: 0
; NumSGPRsForWavesPerEU: 1
; NumVGPRsForWavesPerEU: 1
; NamedBarCnt: 0
; Occupancy: 16
; WaveLimiterHint : 0
; COMPUTE_PGM_RSRC2:SCRATCH_EN: 0
; COMPUTE_PGM_RSRC2:USER_SGPR: 2
; COMPUTE_PGM_RSRC2:TRAP_HANDLER: 0
; COMPUTE_PGM_RSRC2:TGID_X_EN: 1
; COMPUTE_PGM_RSRC2:TGID_Y_EN: 0
; COMPUTE_PGM_RSRC2:TGID_Z_EN: 0
; COMPUTE_PGM_RSRC2:TIDIG_COMP_CNT: 0
	.section	.text._ZN7rocprim17ROCPRIM_400000_NS6detail17trampoline_kernelINS0_14default_configENS1_35radix_sort_onesweep_config_selectorIfNS0_10empty_typeEEEZZNS1_29radix_sort_onesweep_iterationIS3_Lb0EPKfPfPS5_SB_mNS0_19identity_decomposerENS1_16block_id_wrapperIjLb0EEEEE10hipError_tT1_PNSt15iterator_traitsISG_E10value_typeET2_T3_PNSH_ISM_E10value_typeET4_T5_PSR_SS_PNS1_23onesweep_lookback_stateEbbT6_jjT7_P12ihipStream_tbENKUlT_T0_SG_SL_E_clIS9_SA_SB_SB_EEDaSZ_S10_SG_SL_EUlSZ_E_NS1_11comp_targetILNS1_3genE9ELNS1_11target_archE1100ELNS1_3gpuE3ELNS1_3repE0EEENS1_47radix_sort_onesweep_sort_config_static_selectorELNS0_4arch9wavefront6targetE0EEEvSG_,"axG",@progbits,_ZN7rocprim17ROCPRIM_400000_NS6detail17trampoline_kernelINS0_14default_configENS1_35radix_sort_onesweep_config_selectorIfNS0_10empty_typeEEEZZNS1_29radix_sort_onesweep_iterationIS3_Lb0EPKfPfPS5_SB_mNS0_19identity_decomposerENS1_16block_id_wrapperIjLb0EEEEE10hipError_tT1_PNSt15iterator_traitsISG_E10value_typeET2_T3_PNSH_ISM_E10value_typeET4_T5_PSR_SS_PNS1_23onesweep_lookback_stateEbbT6_jjT7_P12ihipStream_tbENKUlT_T0_SG_SL_E_clIS9_SA_SB_SB_EEDaSZ_S10_SG_SL_EUlSZ_E_NS1_11comp_targetILNS1_3genE9ELNS1_11target_archE1100ELNS1_3gpuE3ELNS1_3repE0EEENS1_47radix_sort_onesweep_sort_config_static_selectorELNS0_4arch9wavefront6targetE0EEEvSG_,comdat
	.protected	_ZN7rocprim17ROCPRIM_400000_NS6detail17trampoline_kernelINS0_14default_configENS1_35radix_sort_onesweep_config_selectorIfNS0_10empty_typeEEEZZNS1_29radix_sort_onesweep_iterationIS3_Lb0EPKfPfPS5_SB_mNS0_19identity_decomposerENS1_16block_id_wrapperIjLb0EEEEE10hipError_tT1_PNSt15iterator_traitsISG_E10value_typeET2_T3_PNSH_ISM_E10value_typeET4_T5_PSR_SS_PNS1_23onesweep_lookback_stateEbbT6_jjT7_P12ihipStream_tbENKUlT_T0_SG_SL_E_clIS9_SA_SB_SB_EEDaSZ_S10_SG_SL_EUlSZ_E_NS1_11comp_targetILNS1_3genE9ELNS1_11target_archE1100ELNS1_3gpuE3ELNS1_3repE0EEENS1_47radix_sort_onesweep_sort_config_static_selectorELNS0_4arch9wavefront6targetE0EEEvSG_ ; -- Begin function _ZN7rocprim17ROCPRIM_400000_NS6detail17trampoline_kernelINS0_14default_configENS1_35radix_sort_onesweep_config_selectorIfNS0_10empty_typeEEEZZNS1_29radix_sort_onesweep_iterationIS3_Lb0EPKfPfPS5_SB_mNS0_19identity_decomposerENS1_16block_id_wrapperIjLb0EEEEE10hipError_tT1_PNSt15iterator_traitsISG_E10value_typeET2_T3_PNSH_ISM_E10value_typeET4_T5_PSR_SS_PNS1_23onesweep_lookback_stateEbbT6_jjT7_P12ihipStream_tbENKUlT_T0_SG_SL_E_clIS9_SA_SB_SB_EEDaSZ_S10_SG_SL_EUlSZ_E_NS1_11comp_targetILNS1_3genE9ELNS1_11target_archE1100ELNS1_3gpuE3ELNS1_3repE0EEENS1_47radix_sort_onesweep_sort_config_static_selectorELNS0_4arch9wavefront6targetE0EEEvSG_
	.globl	_ZN7rocprim17ROCPRIM_400000_NS6detail17trampoline_kernelINS0_14default_configENS1_35radix_sort_onesweep_config_selectorIfNS0_10empty_typeEEEZZNS1_29radix_sort_onesweep_iterationIS3_Lb0EPKfPfPS5_SB_mNS0_19identity_decomposerENS1_16block_id_wrapperIjLb0EEEEE10hipError_tT1_PNSt15iterator_traitsISG_E10value_typeET2_T3_PNSH_ISM_E10value_typeET4_T5_PSR_SS_PNS1_23onesweep_lookback_stateEbbT6_jjT7_P12ihipStream_tbENKUlT_T0_SG_SL_E_clIS9_SA_SB_SB_EEDaSZ_S10_SG_SL_EUlSZ_E_NS1_11comp_targetILNS1_3genE9ELNS1_11target_archE1100ELNS1_3gpuE3ELNS1_3repE0EEENS1_47radix_sort_onesweep_sort_config_static_selectorELNS0_4arch9wavefront6targetE0EEEvSG_
	.p2align	8
	.type	_ZN7rocprim17ROCPRIM_400000_NS6detail17trampoline_kernelINS0_14default_configENS1_35radix_sort_onesweep_config_selectorIfNS0_10empty_typeEEEZZNS1_29radix_sort_onesweep_iterationIS3_Lb0EPKfPfPS5_SB_mNS0_19identity_decomposerENS1_16block_id_wrapperIjLb0EEEEE10hipError_tT1_PNSt15iterator_traitsISG_E10value_typeET2_T3_PNSH_ISM_E10value_typeET4_T5_PSR_SS_PNS1_23onesweep_lookback_stateEbbT6_jjT7_P12ihipStream_tbENKUlT_T0_SG_SL_E_clIS9_SA_SB_SB_EEDaSZ_S10_SG_SL_EUlSZ_E_NS1_11comp_targetILNS1_3genE9ELNS1_11target_archE1100ELNS1_3gpuE3ELNS1_3repE0EEENS1_47radix_sort_onesweep_sort_config_static_selectorELNS0_4arch9wavefront6targetE0EEEvSG_,@function
_ZN7rocprim17ROCPRIM_400000_NS6detail17trampoline_kernelINS0_14default_configENS1_35radix_sort_onesweep_config_selectorIfNS0_10empty_typeEEEZZNS1_29radix_sort_onesweep_iterationIS3_Lb0EPKfPfPS5_SB_mNS0_19identity_decomposerENS1_16block_id_wrapperIjLb0EEEEE10hipError_tT1_PNSt15iterator_traitsISG_E10value_typeET2_T3_PNSH_ISM_E10value_typeET4_T5_PSR_SS_PNS1_23onesweep_lookback_stateEbbT6_jjT7_P12ihipStream_tbENKUlT_T0_SG_SL_E_clIS9_SA_SB_SB_EEDaSZ_S10_SG_SL_EUlSZ_E_NS1_11comp_targetILNS1_3genE9ELNS1_11target_archE1100ELNS1_3gpuE3ELNS1_3repE0EEENS1_47radix_sort_onesweep_sort_config_static_selectorELNS0_4arch9wavefront6targetE0EEEvSG_: ; @_ZN7rocprim17ROCPRIM_400000_NS6detail17trampoline_kernelINS0_14default_configENS1_35radix_sort_onesweep_config_selectorIfNS0_10empty_typeEEEZZNS1_29radix_sort_onesweep_iterationIS3_Lb0EPKfPfPS5_SB_mNS0_19identity_decomposerENS1_16block_id_wrapperIjLb0EEEEE10hipError_tT1_PNSt15iterator_traitsISG_E10value_typeET2_T3_PNSH_ISM_E10value_typeET4_T5_PSR_SS_PNS1_23onesweep_lookback_stateEbbT6_jjT7_P12ihipStream_tbENKUlT_T0_SG_SL_E_clIS9_SA_SB_SB_EEDaSZ_S10_SG_SL_EUlSZ_E_NS1_11comp_targetILNS1_3genE9ELNS1_11target_archE1100ELNS1_3gpuE3ELNS1_3repE0EEENS1_47radix_sort_onesweep_sort_config_static_selectorELNS0_4arch9wavefront6targetE0EEEvSG_
; %bb.0:
	.section	.rodata,"a",@progbits
	.p2align	6, 0x0
	.amdhsa_kernel _ZN7rocprim17ROCPRIM_400000_NS6detail17trampoline_kernelINS0_14default_configENS1_35radix_sort_onesweep_config_selectorIfNS0_10empty_typeEEEZZNS1_29radix_sort_onesweep_iterationIS3_Lb0EPKfPfPS5_SB_mNS0_19identity_decomposerENS1_16block_id_wrapperIjLb0EEEEE10hipError_tT1_PNSt15iterator_traitsISG_E10value_typeET2_T3_PNSH_ISM_E10value_typeET4_T5_PSR_SS_PNS1_23onesweep_lookback_stateEbbT6_jjT7_P12ihipStream_tbENKUlT_T0_SG_SL_E_clIS9_SA_SB_SB_EEDaSZ_S10_SG_SL_EUlSZ_E_NS1_11comp_targetILNS1_3genE9ELNS1_11target_archE1100ELNS1_3gpuE3ELNS1_3repE0EEENS1_47radix_sort_onesweep_sort_config_static_selectorELNS0_4arch9wavefront6targetE0EEEvSG_
		.amdhsa_group_segment_fixed_size 0
		.amdhsa_private_segment_fixed_size 0
		.amdhsa_kernarg_size 88
		.amdhsa_user_sgpr_count 2
		.amdhsa_user_sgpr_dispatch_ptr 0
		.amdhsa_user_sgpr_queue_ptr 0
		.amdhsa_user_sgpr_kernarg_segment_ptr 1
		.amdhsa_user_sgpr_dispatch_id 0
		.amdhsa_user_sgpr_kernarg_preload_length 0
		.amdhsa_user_sgpr_kernarg_preload_offset 0
		.amdhsa_user_sgpr_private_segment_size 0
		.amdhsa_wavefront_size32 1
		.amdhsa_uses_dynamic_stack 0
		.amdhsa_enable_private_segment 0
		.amdhsa_system_sgpr_workgroup_id_x 1
		.amdhsa_system_sgpr_workgroup_id_y 0
		.amdhsa_system_sgpr_workgroup_id_z 0
		.amdhsa_system_sgpr_workgroup_info 0
		.amdhsa_system_vgpr_workitem_id 0
		.amdhsa_next_free_vgpr 1
		.amdhsa_next_free_sgpr 1
		.amdhsa_named_barrier_count 0
		.amdhsa_reserve_vcc 0
		.amdhsa_float_round_mode_32 0
		.amdhsa_float_round_mode_16_64 0
		.amdhsa_float_denorm_mode_32 3
		.amdhsa_float_denorm_mode_16_64 3
		.amdhsa_fp16_overflow 0
		.amdhsa_memory_ordered 1
		.amdhsa_forward_progress 1
		.amdhsa_inst_pref_size 0
		.amdhsa_round_robin_scheduling 0
		.amdhsa_exception_fp_ieee_invalid_op 0
		.amdhsa_exception_fp_denorm_src 0
		.amdhsa_exception_fp_ieee_div_zero 0
		.amdhsa_exception_fp_ieee_overflow 0
		.amdhsa_exception_fp_ieee_underflow 0
		.amdhsa_exception_fp_ieee_inexact 0
		.amdhsa_exception_int_div_zero 0
	.end_amdhsa_kernel
	.section	.text._ZN7rocprim17ROCPRIM_400000_NS6detail17trampoline_kernelINS0_14default_configENS1_35radix_sort_onesweep_config_selectorIfNS0_10empty_typeEEEZZNS1_29radix_sort_onesweep_iterationIS3_Lb0EPKfPfPS5_SB_mNS0_19identity_decomposerENS1_16block_id_wrapperIjLb0EEEEE10hipError_tT1_PNSt15iterator_traitsISG_E10value_typeET2_T3_PNSH_ISM_E10value_typeET4_T5_PSR_SS_PNS1_23onesweep_lookback_stateEbbT6_jjT7_P12ihipStream_tbENKUlT_T0_SG_SL_E_clIS9_SA_SB_SB_EEDaSZ_S10_SG_SL_EUlSZ_E_NS1_11comp_targetILNS1_3genE9ELNS1_11target_archE1100ELNS1_3gpuE3ELNS1_3repE0EEENS1_47radix_sort_onesweep_sort_config_static_selectorELNS0_4arch9wavefront6targetE0EEEvSG_,"axG",@progbits,_ZN7rocprim17ROCPRIM_400000_NS6detail17trampoline_kernelINS0_14default_configENS1_35radix_sort_onesweep_config_selectorIfNS0_10empty_typeEEEZZNS1_29radix_sort_onesweep_iterationIS3_Lb0EPKfPfPS5_SB_mNS0_19identity_decomposerENS1_16block_id_wrapperIjLb0EEEEE10hipError_tT1_PNSt15iterator_traitsISG_E10value_typeET2_T3_PNSH_ISM_E10value_typeET4_T5_PSR_SS_PNS1_23onesweep_lookback_stateEbbT6_jjT7_P12ihipStream_tbENKUlT_T0_SG_SL_E_clIS9_SA_SB_SB_EEDaSZ_S10_SG_SL_EUlSZ_E_NS1_11comp_targetILNS1_3genE9ELNS1_11target_archE1100ELNS1_3gpuE3ELNS1_3repE0EEENS1_47radix_sort_onesweep_sort_config_static_selectorELNS0_4arch9wavefront6targetE0EEEvSG_,comdat
.Lfunc_end1431:
	.size	_ZN7rocprim17ROCPRIM_400000_NS6detail17trampoline_kernelINS0_14default_configENS1_35radix_sort_onesweep_config_selectorIfNS0_10empty_typeEEEZZNS1_29radix_sort_onesweep_iterationIS3_Lb0EPKfPfPS5_SB_mNS0_19identity_decomposerENS1_16block_id_wrapperIjLb0EEEEE10hipError_tT1_PNSt15iterator_traitsISG_E10value_typeET2_T3_PNSH_ISM_E10value_typeET4_T5_PSR_SS_PNS1_23onesweep_lookback_stateEbbT6_jjT7_P12ihipStream_tbENKUlT_T0_SG_SL_E_clIS9_SA_SB_SB_EEDaSZ_S10_SG_SL_EUlSZ_E_NS1_11comp_targetILNS1_3genE9ELNS1_11target_archE1100ELNS1_3gpuE3ELNS1_3repE0EEENS1_47radix_sort_onesweep_sort_config_static_selectorELNS0_4arch9wavefront6targetE0EEEvSG_, .Lfunc_end1431-_ZN7rocprim17ROCPRIM_400000_NS6detail17trampoline_kernelINS0_14default_configENS1_35radix_sort_onesweep_config_selectorIfNS0_10empty_typeEEEZZNS1_29radix_sort_onesweep_iterationIS3_Lb0EPKfPfPS5_SB_mNS0_19identity_decomposerENS1_16block_id_wrapperIjLb0EEEEE10hipError_tT1_PNSt15iterator_traitsISG_E10value_typeET2_T3_PNSH_ISM_E10value_typeET4_T5_PSR_SS_PNS1_23onesweep_lookback_stateEbbT6_jjT7_P12ihipStream_tbENKUlT_T0_SG_SL_E_clIS9_SA_SB_SB_EEDaSZ_S10_SG_SL_EUlSZ_E_NS1_11comp_targetILNS1_3genE9ELNS1_11target_archE1100ELNS1_3gpuE3ELNS1_3repE0EEENS1_47radix_sort_onesweep_sort_config_static_selectorELNS0_4arch9wavefront6targetE0EEEvSG_
                                        ; -- End function
	.set _ZN7rocprim17ROCPRIM_400000_NS6detail17trampoline_kernelINS0_14default_configENS1_35radix_sort_onesweep_config_selectorIfNS0_10empty_typeEEEZZNS1_29radix_sort_onesweep_iterationIS3_Lb0EPKfPfPS5_SB_mNS0_19identity_decomposerENS1_16block_id_wrapperIjLb0EEEEE10hipError_tT1_PNSt15iterator_traitsISG_E10value_typeET2_T3_PNSH_ISM_E10value_typeET4_T5_PSR_SS_PNS1_23onesweep_lookback_stateEbbT6_jjT7_P12ihipStream_tbENKUlT_T0_SG_SL_E_clIS9_SA_SB_SB_EEDaSZ_S10_SG_SL_EUlSZ_E_NS1_11comp_targetILNS1_3genE9ELNS1_11target_archE1100ELNS1_3gpuE3ELNS1_3repE0EEENS1_47radix_sort_onesweep_sort_config_static_selectorELNS0_4arch9wavefront6targetE0EEEvSG_.num_vgpr, 0
	.set _ZN7rocprim17ROCPRIM_400000_NS6detail17trampoline_kernelINS0_14default_configENS1_35radix_sort_onesweep_config_selectorIfNS0_10empty_typeEEEZZNS1_29radix_sort_onesweep_iterationIS3_Lb0EPKfPfPS5_SB_mNS0_19identity_decomposerENS1_16block_id_wrapperIjLb0EEEEE10hipError_tT1_PNSt15iterator_traitsISG_E10value_typeET2_T3_PNSH_ISM_E10value_typeET4_T5_PSR_SS_PNS1_23onesweep_lookback_stateEbbT6_jjT7_P12ihipStream_tbENKUlT_T0_SG_SL_E_clIS9_SA_SB_SB_EEDaSZ_S10_SG_SL_EUlSZ_E_NS1_11comp_targetILNS1_3genE9ELNS1_11target_archE1100ELNS1_3gpuE3ELNS1_3repE0EEENS1_47radix_sort_onesweep_sort_config_static_selectorELNS0_4arch9wavefront6targetE0EEEvSG_.num_agpr, 0
	.set _ZN7rocprim17ROCPRIM_400000_NS6detail17trampoline_kernelINS0_14default_configENS1_35radix_sort_onesweep_config_selectorIfNS0_10empty_typeEEEZZNS1_29radix_sort_onesweep_iterationIS3_Lb0EPKfPfPS5_SB_mNS0_19identity_decomposerENS1_16block_id_wrapperIjLb0EEEEE10hipError_tT1_PNSt15iterator_traitsISG_E10value_typeET2_T3_PNSH_ISM_E10value_typeET4_T5_PSR_SS_PNS1_23onesweep_lookback_stateEbbT6_jjT7_P12ihipStream_tbENKUlT_T0_SG_SL_E_clIS9_SA_SB_SB_EEDaSZ_S10_SG_SL_EUlSZ_E_NS1_11comp_targetILNS1_3genE9ELNS1_11target_archE1100ELNS1_3gpuE3ELNS1_3repE0EEENS1_47radix_sort_onesweep_sort_config_static_selectorELNS0_4arch9wavefront6targetE0EEEvSG_.numbered_sgpr, 0
	.set _ZN7rocprim17ROCPRIM_400000_NS6detail17trampoline_kernelINS0_14default_configENS1_35radix_sort_onesweep_config_selectorIfNS0_10empty_typeEEEZZNS1_29radix_sort_onesweep_iterationIS3_Lb0EPKfPfPS5_SB_mNS0_19identity_decomposerENS1_16block_id_wrapperIjLb0EEEEE10hipError_tT1_PNSt15iterator_traitsISG_E10value_typeET2_T3_PNSH_ISM_E10value_typeET4_T5_PSR_SS_PNS1_23onesweep_lookback_stateEbbT6_jjT7_P12ihipStream_tbENKUlT_T0_SG_SL_E_clIS9_SA_SB_SB_EEDaSZ_S10_SG_SL_EUlSZ_E_NS1_11comp_targetILNS1_3genE9ELNS1_11target_archE1100ELNS1_3gpuE3ELNS1_3repE0EEENS1_47radix_sort_onesweep_sort_config_static_selectorELNS0_4arch9wavefront6targetE0EEEvSG_.num_named_barrier, 0
	.set _ZN7rocprim17ROCPRIM_400000_NS6detail17trampoline_kernelINS0_14default_configENS1_35radix_sort_onesweep_config_selectorIfNS0_10empty_typeEEEZZNS1_29radix_sort_onesweep_iterationIS3_Lb0EPKfPfPS5_SB_mNS0_19identity_decomposerENS1_16block_id_wrapperIjLb0EEEEE10hipError_tT1_PNSt15iterator_traitsISG_E10value_typeET2_T3_PNSH_ISM_E10value_typeET4_T5_PSR_SS_PNS1_23onesweep_lookback_stateEbbT6_jjT7_P12ihipStream_tbENKUlT_T0_SG_SL_E_clIS9_SA_SB_SB_EEDaSZ_S10_SG_SL_EUlSZ_E_NS1_11comp_targetILNS1_3genE9ELNS1_11target_archE1100ELNS1_3gpuE3ELNS1_3repE0EEENS1_47radix_sort_onesweep_sort_config_static_selectorELNS0_4arch9wavefront6targetE0EEEvSG_.private_seg_size, 0
	.set _ZN7rocprim17ROCPRIM_400000_NS6detail17trampoline_kernelINS0_14default_configENS1_35radix_sort_onesweep_config_selectorIfNS0_10empty_typeEEEZZNS1_29radix_sort_onesweep_iterationIS3_Lb0EPKfPfPS5_SB_mNS0_19identity_decomposerENS1_16block_id_wrapperIjLb0EEEEE10hipError_tT1_PNSt15iterator_traitsISG_E10value_typeET2_T3_PNSH_ISM_E10value_typeET4_T5_PSR_SS_PNS1_23onesweep_lookback_stateEbbT6_jjT7_P12ihipStream_tbENKUlT_T0_SG_SL_E_clIS9_SA_SB_SB_EEDaSZ_S10_SG_SL_EUlSZ_E_NS1_11comp_targetILNS1_3genE9ELNS1_11target_archE1100ELNS1_3gpuE3ELNS1_3repE0EEENS1_47radix_sort_onesweep_sort_config_static_selectorELNS0_4arch9wavefront6targetE0EEEvSG_.uses_vcc, 0
	.set _ZN7rocprim17ROCPRIM_400000_NS6detail17trampoline_kernelINS0_14default_configENS1_35radix_sort_onesweep_config_selectorIfNS0_10empty_typeEEEZZNS1_29radix_sort_onesweep_iterationIS3_Lb0EPKfPfPS5_SB_mNS0_19identity_decomposerENS1_16block_id_wrapperIjLb0EEEEE10hipError_tT1_PNSt15iterator_traitsISG_E10value_typeET2_T3_PNSH_ISM_E10value_typeET4_T5_PSR_SS_PNS1_23onesweep_lookback_stateEbbT6_jjT7_P12ihipStream_tbENKUlT_T0_SG_SL_E_clIS9_SA_SB_SB_EEDaSZ_S10_SG_SL_EUlSZ_E_NS1_11comp_targetILNS1_3genE9ELNS1_11target_archE1100ELNS1_3gpuE3ELNS1_3repE0EEENS1_47radix_sort_onesweep_sort_config_static_selectorELNS0_4arch9wavefront6targetE0EEEvSG_.uses_flat_scratch, 0
	.set _ZN7rocprim17ROCPRIM_400000_NS6detail17trampoline_kernelINS0_14default_configENS1_35radix_sort_onesweep_config_selectorIfNS0_10empty_typeEEEZZNS1_29radix_sort_onesweep_iterationIS3_Lb0EPKfPfPS5_SB_mNS0_19identity_decomposerENS1_16block_id_wrapperIjLb0EEEEE10hipError_tT1_PNSt15iterator_traitsISG_E10value_typeET2_T3_PNSH_ISM_E10value_typeET4_T5_PSR_SS_PNS1_23onesweep_lookback_stateEbbT6_jjT7_P12ihipStream_tbENKUlT_T0_SG_SL_E_clIS9_SA_SB_SB_EEDaSZ_S10_SG_SL_EUlSZ_E_NS1_11comp_targetILNS1_3genE9ELNS1_11target_archE1100ELNS1_3gpuE3ELNS1_3repE0EEENS1_47radix_sort_onesweep_sort_config_static_selectorELNS0_4arch9wavefront6targetE0EEEvSG_.has_dyn_sized_stack, 0
	.set _ZN7rocprim17ROCPRIM_400000_NS6detail17trampoline_kernelINS0_14default_configENS1_35radix_sort_onesweep_config_selectorIfNS0_10empty_typeEEEZZNS1_29radix_sort_onesweep_iterationIS3_Lb0EPKfPfPS5_SB_mNS0_19identity_decomposerENS1_16block_id_wrapperIjLb0EEEEE10hipError_tT1_PNSt15iterator_traitsISG_E10value_typeET2_T3_PNSH_ISM_E10value_typeET4_T5_PSR_SS_PNS1_23onesweep_lookback_stateEbbT6_jjT7_P12ihipStream_tbENKUlT_T0_SG_SL_E_clIS9_SA_SB_SB_EEDaSZ_S10_SG_SL_EUlSZ_E_NS1_11comp_targetILNS1_3genE9ELNS1_11target_archE1100ELNS1_3gpuE3ELNS1_3repE0EEENS1_47radix_sort_onesweep_sort_config_static_selectorELNS0_4arch9wavefront6targetE0EEEvSG_.has_recursion, 0
	.set _ZN7rocprim17ROCPRIM_400000_NS6detail17trampoline_kernelINS0_14default_configENS1_35radix_sort_onesweep_config_selectorIfNS0_10empty_typeEEEZZNS1_29radix_sort_onesweep_iterationIS3_Lb0EPKfPfPS5_SB_mNS0_19identity_decomposerENS1_16block_id_wrapperIjLb0EEEEE10hipError_tT1_PNSt15iterator_traitsISG_E10value_typeET2_T3_PNSH_ISM_E10value_typeET4_T5_PSR_SS_PNS1_23onesweep_lookback_stateEbbT6_jjT7_P12ihipStream_tbENKUlT_T0_SG_SL_E_clIS9_SA_SB_SB_EEDaSZ_S10_SG_SL_EUlSZ_E_NS1_11comp_targetILNS1_3genE9ELNS1_11target_archE1100ELNS1_3gpuE3ELNS1_3repE0EEENS1_47radix_sort_onesweep_sort_config_static_selectorELNS0_4arch9wavefront6targetE0EEEvSG_.has_indirect_call, 0
	.section	.AMDGPU.csdata,"",@progbits
; Kernel info:
; codeLenInByte = 0
; TotalNumSgprs: 0
; NumVgprs: 0
; ScratchSize: 0
; MemoryBound: 0
; FloatMode: 240
; IeeeMode: 1
; LDSByteSize: 0 bytes/workgroup (compile time only)
; SGPRBlocks: 0
; VGPRBlocks: 0
; NumSGPRsForWavesPerEU: 1
; NumVGPRsForWavesPerEU: 1
; NamedBarCnt: 0
; Occupancy: 16
; WaveLimiterHint : 0
; COMPUTE_PGM_RSRC2:SCRATCH_EN: 0
; COMPUTE_PGM_RSRC2:USER_SGPR: 2
; COMPUTE_PGM_RSRC2:TRAP_HANDLER: 0
; COMPUTE_PGM_RSRC2:TGID_X_EN: 1
; COMPUTE_PGM_RSRC2:TGID_Y_EN: 0
; COMPUTE_PGM_RSRC2:TGID_Z_EN: 0
; COMPUTE_PGM_RSRC2:TIDIG_COMP_CNT: 0
	.section	.text._ZN7rocprim17ROCPRIM_400000_NS6detail17trampoline_kernelINS0_14default_configENS1_35radix_sort_onesweep_config_selectorIfNS0_10empty_typeEEEZZNS1_29radix_sort_onesweep_iterationIS3_Lb0EPKfPfPS5_SB_mNS0_19identity_decomposerENS1_16block_id_wrapperIjLb0EEEEE10hipError_tT1_PNSt15iterator_traitsISG_E10value_typeET2_T3_PNSH_ISM_E10value_typeET4_T5_PSR_SS_PNS1_23onesweep_lookback_stateEbbT6_jjT7_P12ihipStream_tbENKUlT_T0_SG_SL_E_clIS9_SA_SB_SB_EEDaSZ_S10_SG_SL_EUlSZ_E_NS1_11comp_targetILNS1_3genE8ELNS1_11target_archE1030ELNS1_3gpuE2ELNS1_3repE0EEENS1_47radix_sort_onesweep_sort_config_static_selectorELNS0_4arch9wavefront6targetE0EEEvSG_,"axG",@progbits,_ZN7rocprim17ROCPRIM_400000_NS6detail17trampoline_kernelINS0_14default_configENS1_35radix_sort_onesweep_config_selectorIfNS0_10empty_typeEEEZZNS1_29radix_sort_onesweep_iterationIS3_Lb0EPKfPfPS5_SB_mNS0_19identity_decomposerENS1_16block_id_wrapperIjLb0EEEEE10hipError_tT1_PNSt15iterator_traitsISG_E10value_typeET2_T3_PNSH_ISM_E10value_typeET4_T5_PSR_SS_PNS1_23onesweep_lookback_stateEbbT6_jjT7_P12ihipStream_tbENKUlT_T0_SG_SL_E_clIS9_SA_SB_SB_EEDaSZ_S10_SG_SL_EUlSZ_E_NS1_11comp_targetILNS1_3genE8ELNS1_11target_archE1030ELNS1_3gpuE2ELNS1_3repE0EEENS1_47radix_sort_onesweep_sort_config_static_selectorELNS0_4arch9wavefront6targetE0EEEvSG_,comdat
	.protected	_ZN7rocprim17ROCPRIM_400000_NS6detail17trampoline_kernelINS0_14default_configENS1_35radix_sort_onesweep_config_selectorIfNS0_10empty_typeEEEZZNS1_29radix_sort_onesweep_iterationIS3_Lb0EPKfPfPS5_SB_mNS0_19identity_decomposerENS1_16block_id_wrapperIjLb0EEEEE10hipError_tT1_PNSt15iterator_traitsISG_E10value_typeET2_T3_PNSH_ISM_E10value_typeET4_T5_PSR_SS_PNS1_23onesweep_lookback_stateEbbT6_jjT7_P12ihipStream_tbENKUlT_T0_SG_SL_E_clIS9_SA_SB_SB_EEDaSZ_S10_SG_SL_EUlSZ_E_NS1_11comp_targetILNS1_3genE8ELNS1_11target_archE1030ELNS1_3gpuE2ELNS1_3repE0EEENS1_47radix_sort_onesweep_sort_config_static_selectorELNS0_4arch9wavefront6targetE0EEEvSG_ ; -- Begin function _ZN7rocprim17ROCPRIM_400000_NS6detail17trampoline_kernelINS0_14default_configENS1_35radix_sort_onesweep_config_selectorIfNS0_10empty_typeEEEZZNS1_29radix_sort_onesweep_iterationIS3_Lb0EPKfPfPS5_SB_mNS0_19identity_decomposerENS1_16block_id_wrapperIjLb0EEEEE10hipError_tT1_PNSt15iterator_traitsISG_E10value_typeET2_T3_PNSH_ISM_E10value_typeET4_T5_PSR_SS_PNS1_23onesweep_lookback_stateEbbT6_jjT7_P12ihipStream_tbENKUlT_T0_SG_SL_E_clIS9_SA_SB_SB_EEDaSZ_S10_SG_SL_EUlSZ_E_NS1_11comp_targetILNS1_3genE8ELNS1_11target_archE1030ELNS1_3gpuE2ELNS1_3repE0EEENS1_47radix_sort_onesweep_sort_config_static_selectorELNS0_4arch9wavefront6targetE0EEEvSG_
	.globl	_ZN7rocprim17ROCPRIM_400000_NS6detail17trampoline_kernelINS0_14default_configENS1_35radix_sort_onesweep_config_selectorIfNS0_10empty_typeEEEZZNS1_29radix_sort_onesweep_iterationIS3_Lb0EPKfPfPS5_SB_mNS0_19identity_decomposerENS1_16block_id_wrapperIjLb0EEEEE10hipError_tT1_PNSt15iterator_traitsISG_E10value_typeET2_T3_PNSH_ISM_E10value_typeET4_T5_PSR_SS_PNS1_23onesweep_lookback_stateEbbT6_jjT7_P12ihipStream_tbENKUlT_T0_SG_SL_E_clIS9_SA_SB_SB_EEDaSZ_S10_SG_SL_EUlSZ_E_NS1_11comp_targetILNS1_3genE8ELNS1_11target_archE1030ELNS1_3gpuE2ELNS1_3repE0EEENS1_47radix_sort_onesweep_sort_config_static_selectorELNS0_4arch9wavefront6targetE0EEEvSG_
	.p2align	8
	.type	_ZN7rocprim17ROCPRIM_400000_NS6detail17trampoline_kernelINS0_14default_configENS1_35radix_sort_onesweep_config_selectorIfNS0_10empty_typeEEEZZNS1_29radix_sort_onesweep_iterationIS3_Lb0EPKfPfPS5_SB_mNS0_19identity_decomposerENS1_16block_id_wrapperIjLb0EEEEE10hipError_tT1_PNSt15iterator_traitsISG_E10value_typeET2_T3_PNSH_ISM_E10value_typeET4_T5_PSR_SS_PNS1_23onesweep_lookback_stateEbbT6_jjT7_P12ihipStream_tbENKUlT_T0_SG_SL_E_clIS9_SA_SB_SB_EEDaSZ_S10_SG_SL_EUlSZ_E_NS1_11comp_targetILNS1_3genE8ELNS1_11target_archE1030ELNS1_3gpuE2ELNS1_3repE0EEENS1_47radix_sort_onesweep_sort_config_static_selectorELNS0_4arch9wavefront6targetE0EEEvSG_,@function
_ZN7rocprim17ROCPRIM_400000_NS6detail17trampoline_kernelINS0_14default_configENS1_35radix_sort_onesweep_config_selectorIfNS0_10empty_typeEEEZZNS1_29radix_sort_onesweep_iterationIS3_Lb0EPKfPfPS5_SB_mNS0_19identity_decomposerENS1_16block_id_wrapperIjLb0EEEEE10hipError_tT1_PNSt15iterator_traitsISG_E10value_typeET2_T3_PNSH_ISM_E10value_typeET4_T5_PSR_SS_PNS1_23onesweep_lookback_stateEbbT6_jjT7_P12ihipStream_tbENKUlT_T0_SG_SL_E_clIS9_SA_SB_SB_EEDaSZ_S10_SG_SL_EUlSZ_E_NS1_11comp_targetILNS1_3genE8ELNS1_11target_archE1030ELNS1_3gpuE2ELNS1_3repE0EEENS1_47radix_sort_onesweep_sort_config_static_selectorELNS0_4arch9wavefront6targetE0EEEvSG_: ; @_ZN7rocprim17ROCPRIM_400000_NS6detail17trampoline_kernelINS0_14default_configENS1_35radix_sort_onesweep_config_selectorIfNS0_10empty_typeEEEZZNS1_29radix_sort_onesweep_iterationIS3_Lb0EPKfPfPS5_SB_mNS0_19identity_decomposerENS1_16block_id_wrapperIjLb0EEEEE10hipError_tT1_PNSt15iterator_traitsISG_E10value_typeET2_T3_PNSH_ISM_E10value_typeET4_T5_PSR_SS_PNS1_23onesweep_lookback_stateEbbT6_jjT7_P12ihipStream_tbENKUlT_T0_SG_SL_E_clIS9_SA_SB_SB_EEDaSZ_S10_SG_SL_EUlSZ_E_NS1_11comp_targetILNS1_3genE8ELNS1_11target_archE1030ELNS1_3gpuE2ELNS1_3repE0EEENS1_47radix_sort_onesweep_sort_config_static_selectorELNS0_4arch9wavefront6targetE0EEEvSG_
; %bb.0:
	.section	.rodata,"a",@progbits
	.p2align	6, 0x0
	.amdhsa_kernel _ZN7rocprim17ROCPRIM_400000_NS6detail17trampoline_kernelINS0_14default_configENS1_35radix_sort_onesweep_config_selectorIfNS0_10empty_typeEEEZZNS1_29radix_sort_onesweep_iterationIS3_Lb0EPKfPfPS5_SB_mNS0_19identity_decomposerENS1_16block_id_wrapperIjLb0EEEEE10hipError_tT1_PNSt15iterator_traitsISG_E10value_typeET2_T3_PNSH_ISM_E10value_typeET4_T5_PSR_SS_PNS1_23onesweep_lookback_stateEbbT6_jjT7_P12ihipStream_tbENKUlT_T0_SG_SL_E_clIS9_SA_SB_SB_EEDaSZ_S10_SG_SL_EUlSZ_E_NS1_11comp_targetILNS1_3genE8ELNS1_11target_archE1030ELNS1_3gpuE2ELNS1_3repE0EEENS1_47radix_sort_onesweep_sort_config_static_selectorELNS0_4arch9wavefront6targetE0EEEvSG_
		.amdhsa_group_segment_fixed_size 0
		.amdhsa_private_segment_fixed_size 0
		.amdhsa_kernarg_size 88
		.amdhsa_user_sgpr_count 2
		.amdhsa_user_sgpr_dispatch_ptr 0
		.amdhsa_user_sgpr_queue_ptr 0
		.amdhsa_user_sgpr_kernarg_segment_ptr 1
		.amdhsa_user_sgpr_dispatch_id 0
		.amdhsa_user_sgpr_kernarg_preload_length 0
		.amdhsa_user_sgpr_kernarg_preload_offset 0
		.amdhsa_user_sgpr_private_segment_size 0
		.amdhsa_wavefront_size32 1
		.amdhsa_uses_dynamic_stack 0
		.amdhsa_enable_private_segment 0
		.amdhsa_system_sgpr_workgroup_id_x 1
		.amdhsa_system_sgpr_workgroup_id_y 0
		.amdhsa_system_sgpr_workgroup_id_z 0
		.amdhsa_system_sgpr_workgroup_info 0
		.amdhsa_system_vgpr_workitem_id 0
		.amdhsa_next_free_vgpr 1
		.amdhsa_next_free_sgpr 1
		.amdhsa_named_barrier_count 0
		.amdhsa_reserve_vcc 0
		.amdhsa_float_round_mode_32 0
		.amdhsa_float_round_mode_16_64 0
		.amdhsa_float_denorm_mode_32 3
		.amdhsa_float_denorm_mode_16_64 3
		.amdhsa_fp16_overflow 0
		.amdhsa_memory_ordered 1
		.amdhsa_forward_progress 1
		.amdhsa_inst_pref_size 0
		.amdhsa_round_robin_scheduling 0
		.amdhsa_exception_fp_ieee_invalid_op 0
		.amdhsa_exception_fp_denorm_src 0
		.amdhsa_exception_fp_ieee_div_zero 0
		.amdhsa_exception_fp_ieee_overflow 0
		.amdhsa_exception_fp_ieee_underflow 0
		.amdhsa_exception_fp_ieee_inexact 0
		.amdhsa_exception_int_div_zero 0
	.end_amdhsa_kernel
	.section	.text._ZN7rocprim17ROCPRIM_400000_NS6detail17trampoline_kernelINS0_14default_configENS1_35radix_sort_onesweep_config_selectorIfNS0_10empty_typeEEEZZNS1_29radix_sort_onesweep_iterationIS3_Lb0EPKfPfPS5_SB_mNS0_19identity_decomposerENS1_16block_id_wrapperIjLb0EEEEE10hipError_tT1_PNSt15iterator_traitsISG_E10value_typeET2_T3_PNSH_ISM_E10value_typeET4_T5_PSR_SS_PNS1_23onesweep_lookback_stateEbbT6_jjT7_P12ihipStream_tbENKUlT_T0_SG_SL_E_clIS9_SA_SB_SB_EEDaSZ_S10_SG_SL_EUlSZ_E_NS1_11comp_targetILNS1_3genE8ELNS1_11target_archE1030ELNS1_3gpuE2ELNS1_3repE0EEENS1_47radix_sort_onesweep_sort_config_static_selectorELNS0_4arch9wavefront6targetE0EEEvSG_,"axG",@progbits,_ZN7rocprim17ROCPRIM_400000_NS6detail17trampoline_kernelINS0_14default_configENS1_35radix_sort_onesweep_config_selectorIfNS0_10empty_typeEEEZZNS1_29radix_sort_onesweep_iterationIS3_Lb0EPKfPfPS5_SB_mNS0_19identity_decomposerENS1_16block_id_wrapperIjLb0EEEEE10hipError_tT1_PNSt15iterator_traitsISG_E10value_typeET2_T3_PNSH_ISM_E10value_typeET4_T5_PSR_SS_PNS1_23onesweep_lookback_stateEbbT6_jjT7_P12ihipStream_tbENKUlT_T0_SG_SL_E_clIS9_SA_SB_SB_EEDaSZ_S10_SG_SL_EUlSZ_E_NS1_11comp_targetILNS1_3genE8ELNS1_11target_archE1030ELNS1_3gpuE2ELNS1_3repE0EEENS1_47radix_sort_onesweep_sort_config_static_selectorELNS0_4arch9wavefront6targetE0EEEvSG_,comdat
.Lfunc_end1432:
	.size	_ZN7rocprim17ROCPRIM_400000_NS6detail17trampoline_kernelINS0_14default_configENS1_35radix_sort_onesweep_config_selectorIfNS0_10empty_typeEEEZZNS1_29radix_sort_onesweep_iterationIS3_Lb0EPKfPfPS5_SB_mNS0_19identity_decomposerENS1_16block_id_wrapperIjLb0EEEEE10hipError_tT1_PNSt15iterator_traitsISG_E10value_typeET2_T3_PNSH_ISM_E10value_typeET4_T5_PSR_SS_PNS1_23onesweep_lookback_stateEbbT6_jjT7_P12ihipStream_tbENKUlT_T0_SG_SL_E_clIS9_SA_SB_SB_EEDaSZ_S10_SG_SL_EUlSZ_E_NS1_11comp_targetILNS1_3genE8ELNS1_11target_archE1030ELNS1_3gpuE2ELNS1_3repE0EEENS1_47radix_sort_onesweep_sort_config_static_selectorELNS0_4arch9wavefront6targetE0EEEvSG_, .Lfunc_end1432-_ZN7rocprim17ROCPRIM_400000_NS6detail17trampoline_kernelINS0_14default_configENS1_35radix_sort_onesweep_config_selectorIfNS0_10empty_typeEEEZZNS1_29radix_sort_onesweep_iterationIS3_Lb0EPKfPfPS5_SB_mNS0_19identity_decomposerENS1_16block_id_wrapperIjLb0EEEEE10hipError_tT1_PNSt15iterator_traitsISG_E10value_typeET2_T3_PNSH_ISM_E10value_typeET4_T5_PSR_SS_PNS1_23onesweep_lookback_stateEbbT6_jjT7_P12ihipStream_tbENKUlT_T0_SG_SL_E_clIS9_SA_SB_SB_EEDaSZ_S10_SG_SL_EUlSZ_E_NS1_11comp_targetILNS1_3genE8ELNS1_11target_archE1030ELNS1_3gpuE2ELNS1_3repE0EEENS1_47radix_sort_onesweep_sort_config_static_selectorELNS0_4arch9wavefront6targetE0EEEvSG_
                                        ; -- End function
	.set _ZN7rocprim17ROCPRIM_400000_NS6detail17trampoline_kernelINS0_14default_configENS1_35radix_sort_onesweep_config_selectorIfNS0_10empty_typeEEEZZNS1_29radix_sort_onesweep_iterationIS3_Lb0EPKfPfPS5_SB_mNS0_19identity_decomposerENS1_16block_id_wrapperIjLb0EEEEE10hipError_tT1_PNSt15iterator_traitsISG_E10value_typeET2_T3_PNSH_ISM_E10value_typeET4_T5_PSR_SS_PNS1_23onesweep_lookback_stateEbbT6_jjT7_P12ihipStream_tbENKUlT_T0_SG_SL_E_clIS9_SA_SB_SB_EEDaSZ_S10_SG_SL_EUlSZ_E_NS1_11comp_targetILNS1_3genE8ELNS1_11target_archE1030ELNS1_3gpuE2ELNS1_3repE0EEENS1_47radix_sort_onesweep_sort_config_static_selectorELNS0_4arch9wavefront6targetE0EEEvSG_.num_vgpr, 0
	.set _ZN7rocprim17ROCPRIM_400000_NS6detail17trampoline_kernelINS0_14default_configENS1_35radix_sort_onesweep_config_selectorIfNS0_10empty_typeEEEZZNS1_29radix_sort_onesweep_iterationIS3_Lb0EPKfPfPS5_SB_mNS0_19identity_decomposerENS1_16block_id_wrapperIjLb0EEEEE10hipError_tT1_PNSt15iterator_traitsISG_E10value_typeET2_T3_PNSH_ISM_E10value_typeET4_T5_PSR_SS_PNS1_23onesweep_lookback_stateEbbT6_jjT7_P12ihipStream_tbENKUlT_T0_SG_SL_E_clIS9_SA_SB_SB_EEDaSZ_S10_SG_SL_EUlSZ_E_NS1_11comp_targetILNS1_3genE8ELNS1_11target_archE1030ELNS1_3gpuE2ELNS1_3repE0EEENS1_47radix_sort_onesweep_sort_config_static_selectorELNS0_4arch9wavefront6targetE0EEEvSG_.num_agpr, 0
	.set _ZN7rocprim17ROCPRIM_400000_NS6detail17trampoline_kernelINS0_14default_configENS1_35radix_sort_onesweep_config_selectorIfNS0_10empty_typeEEEZZNS1_29radix_sort_onesweep_iterationIS3_Lb0EPKfPfPS5_SB_mNS0_19identity_decomposerENS1_16block_id_wrapperIjLb0EEEEE10hipError_tT1_PNSt15iterator_traitsISG_E10value_typeET2_T3_PNSH_ISM_E10value_typeET4_T5_PSR_SS_PNS1_23onesweep_lookback_stateEbbT6_jjT7_P12ihipStream_tbENKUlT_T0_SG_SL_E_clIS9_SA_SB_SB_EEDaSZ_S10_SG_SL_EUlSZ_E_NS1_11comp_targetILNS1_3genE8ELNS1_11target_archE1030ELNS1_3gpuE2ELNS1_3repE0EEENS1_47radix_sort_onesweep_sort_config_static_selectorELNS0_4arch9wavefront6targetE0EEEvSG_.numbered_sgpr, 0
	.set _ZN7rocprim17ROCPRIM_400000_NS6detail17trampoline_kernelINS0_14default_configENS1_35radix_sort_onesweep_config_selectorIfNS0_10empty_typeEEEZZNS1_29radix_sort_onesweep_iterationIS3_Lb0EPKfPfPS5_SB_mNS0_19identity_decomposerENS1_16block_id_wrapperIjLb0EEEEE10hipError_tT1_PNSt15iterator_traitsISG_E10value_typeET2_T3_PNSH_ISM_E10value_typeET4_T5_PSR_SS_PNS1_23onesweep_lookback_stateEbbT6_jjT7_P12ihipStream_tbENKUlT_T0_SG_SL_E_clIS9_SA_SB_SB_EEDaSZ_S10_SG_SL_EUlSZ_E_NS1_11comp_targetILNS1_3genE8ELNS1_11target_archE1030ELNS1_3gpuE2ELNS1_3repE0EEENS1_47radix_sort_onesweep_sort_config_static_selectorELNS0_4arch9wavefront6targetE0EEEvSG_.num_named_barrier, 0
	.set _ZN7rocprim17ROCPRIM_400000_NS6detail17trampoline_kernelINS0_14default_configENS1_35radix_sort_onesweep_config_selectorIfNS0_10empty_typeEEEZZNS1_29radix_sort_onesweep_iterationIS3_Lb0EPKfPfPS5_SB_mNS0_19identity_decomposerENS1_16block_id_wrapperIjLb0EEEEE10hipError_tT1_PNSt15iterator_traitsISG_E10value_typeET2_T3_PNSH_ISM_E10value_typeET4_T5_PSR_SS_PNS1_23onesweep_lookback_stateEbbT6_jjT7_P12ihipStream_tbENKUlT_T0_SG_SL_E_clIS9_SA_SB_SB_EEDaSZ_S10_SG_SL_EUlSZ_E_NS1_11comp_targetILNS1_3genE8ELNS1_11target_archE1030ELNS1_3gpuE2ELNS1_3repE0EEENS1_47radix_sort_onesweep_sort_config_static_selectorELNS0_4arch9wavefront6targetE0EEEvSG_.private_seg_size, 0
	.set _ZN7rocprim17ROCPRIM_400000_NS6detail17trampoline_kernelINS0_14default_configENS1_35radix_sort_onesweep_config_selectorIfNS0_10empty_typeEEEZZNS1_29radix_sort_onesweep_iterationIS3_Lb0EPKfPfPS5_SB_mNS0_19identity_decomposerENS1_16block_id_wrapperIjLb0EEEEE10hipError_tT1_PNSt15iterator_traitsISG_E10value_typeET2_T3_PNSH_ISM_E10value_typeET4_T5_PSR_SS_PNS1_23onesweep_lookback_stateEbbT6_jjT7_P12ihipStream_tbENKUlT_T0_SG_SL_E_clIS9_SA_SB_SB_EEDaSZ_S10_SG_SL_EUlSZ_E_NS1_11comp_targetILNS1_3genE8ELNS1_11target_archE1030ELNS1_3gpuE2ELNS1_3repE0EEENS1_47radix_sort_onesweep_sort_config_static_selectorELNS0_4arch9wavefront6targetE0EEEvSG_.uses_vcc, 0
	.set _ZN7rocprim17ROCPRIM_400000_NS6detail17trampoline_kernelINS0_14default_configENS1_35radix_sort_onesweep_config_selectorIfNS0_10empty_typeEEEZZNS1_29radix_sort_onesweep_iterationIS3_Lb0EPKfPfPS5_SB_mNS0_19identity_decomposerENS1_16block_id_wrapperIjLb0EEEEE10hipError_tT1_PNSt15iterator_traitsISG_E10value_typeET2_T3_PNSH_ISM_E10value_typeET4_T5_PSR_SS_PNS1_23onesweep_lookback_stateEbbT6_jjT7_P12ihipStream_tbENKUlT_T0_SG_SL_E_clIS9_SA_SB_SB_EEDaSZ_S10_SG_SL_EUlSZ_E_NS1_11comp_targetILNS1_3genE8ELNS1_11target_archE1030ELNS1_3gpuE2ELNS1_3repE0EEENS1_47radix_sort_onesweep_sort_config_static_selectorELNS0_4arch9wavefront6targetE0EEEvSG_.uses_flat_scratch, 0
	.set _ZN7rocprim17ROCPRIM_400000_NS6detail17trampoline_kernelINS0_14default_configENS1_35radix_sort_onesweep_config_selectorIfNS0_10empty_typeEEEZZNS1_29radix_sort_onesweep_iterationIS3_Lb0EPKfPfPS5_SB_mNS0_19identity_decomposerENS1_16block_id_wrapperIjLb0EEEEE10hipError_tT1_PNSt15iterator_traitsISG_E10value_typeET2_T3_PNSH_ISM_E10value_typeET4_T5_PSR_SS_PNS1_23onesweep_lookback_stateEbbT6_jjT7_P12ihipStream_tbENKUlT_T0_SG_SL_E_clIS9_SA_SB_SB_EEDaSZ_S10_SG_SL_EUlSZ_E_NS1_11comp_targetILNS1_3genE8ELNS1_11target_archE1030ELNS1_3gpuE2ELNS1_3repE0EEENS1_47radix_sort_onesweep_sort_config_static_selectorELNS0_4arch9wavefront6targetE0EEEvSG_.has_dyn_sized_stack, 0
	.set _ZN7rocprim17ROCPRIM_400000_NS6detail17trampoline_kernelINS0_14default_configENS1_35radix_sort_onesweep_config_selectorIfNS0_10empty_typeEEEZZNS1_29radix_sort_onesweep_iterationIS3_Lb0EPKfPfPS5_SB_mNS0_19identity_decomposerENS1_16block_id_wrapperIjLb0EEEEE10hipError_tT1_PNSt15iterator_traitsISG_E10value_typeET2_T3_PNSH_ISM_E10value_typeET4_T5_PSR_SS_PNS1_23onesweep_lookback_stateEbbT6_jjT7_P12ihipStream_tbENKUlT_T0_SG_SL_E_clIS9_SA_SB_SB_EEDaSZ_S10_SG_SL_EUlSZ_E_NS1_11comp_targetILNS1_3genE8ELNS1_11target_archE1030ELNS1_3gpuE2ELNS1_3repE0EEENS1_47radix_sort_onesweep_sort_config_static_selectorELNS0_4arch9wavefront6targetE0EEEvSG_.has_recursion, 0
	.set _ZN7rocprim17ROCPRIM_400000_NS6detail17trampoline_kernelINS0_14default_configENS1_35radix_sort_onesweep_config_selectorIfNS0_10empty_typeEEEZZNS1_29radix_sort_onesweep_iterationIS3_Lb0EPKfPfPS5_SB_mNS0_19identity_decomposerENS1_16block_id_wrapperIjLb0EEEEE10hipError_tT1_PNSt15iterator_traitsISG_E10value_typeET2_T3_PNSH_ISM_E10value_typeET4_T5_PSR_SS_PNS1_23onesweep_lookback_stateEbbT6_jjT7_P12ihipStream_tbENKUlT_T0_SG_SL_E_clIS9_SA_SB_SB_EEDaSZ_S10_SG_SL_EUlSZ_E_NS1_11comp_targetILNS1_3genE8ELNS1_11target_archE1030ELNS1_3gpuE2ELNS1_3repE0EEENS1_47radix_sort_onesweep_sort_config_static_selectorELNS0_4arch9wavefront6targetE0EEEvSG_.has_indirect_call, 0
	.section	.AMDGPU.csdata,"",@progbits
; Kernel info:
; codeLenInByte = 0
; TotalNumSgprs: 0
; NumVgprs: 0
; ScratchSize: 0
; MemoryBound: 0
; FloatMode: 240
; IeeeMode: 1
; LDSByteSize: 0 bytes/workgroup (compile time only)
; SGPRBlocks: 0
; VGPRBlocks: 0
; NumSGPRsForWavesPerEU: 1
; NumVGPRsForWavesPerEU: 1
; NamedBarCnt: 0
; Occupancy: 16
; WaveLimiterHint : 0
; COMPUTE_PGM_RSRC2:SCRATCH_EN: 0
; COMPUTE_PGM_RSRC2:USER_SGPR: 2
; COMPUTE_PGM_RSRC2:TRAP_HANDLER: 0
; COMPUTE_PGM_RSRC2:TGID_X_EN: 1
; COMPUTE_PGM_RSRC2:TGID_Y_EN: 0
; COMPUTE_PGM_RSRC2:TGID_Z_EN: 0
; COMPUTE_PGM_RSRC2:TIDIG_COMP_CNT: 0
	.section	.text._ZN7rocprim17ROCPRIM_400000_NS6detail17trampoline_kernelINS0_14default_configENS1_35radix_sort_onesweep_config_selectorIfNS0_10empty_typeEEEZZNS1_29radix_sort_onesweep_iterationIS3_Lb0EPKfPfPS5_SB_mNS0_19identity_decomposerENS1_16block_id_wrapperIjLb0EEEEE10hipError_tT1_PNSt15iterator_traitsISG_E10value_typeET2_T3_PNSH_ISM_E10value_typeET4_T5_PSR_SS_PNS1_23onesweep_lookback_stateEbbT6_jjT7_P12ihipStream_tbENKUlT_T0_SG_SL_E_clISA_SA_SB_SB_EEDaSZ_S10_SG_SL_EUlSZ_E_NS1_11comp_targetILNS1_3genE0ELNS1_11target_archE4294967295ELNS1_3gpuE0ELNS1_3repE0EEENS1_47radix_sort_onesweep_sort_config_static_selectorELNS0_4arch9wavefront6targetE0EEEvSG_,"axG",@progbits,_ZN7rocprim17ROCPRIM_400000_NS6detail17trampoline_kernelINS0_14default_configENS1_35radix_sort_onesweep_config_selectorIfNS0_10empty_typeEEEZZNS1_29radix_sort_onesweep_iterationIS3_Lb0EPKfPfPS5_SB_mNS0_19identity_decomposerENS1_16block_id_wrapperIjLb0EEEEE10hipError_tT1_PNSt15iterator_traitsISG_E10value_typeET2_T3_PNSH_ISM_E10value_typeET4_T5_PSR_SS_PNS1_23onesweep_lookback_stateEbbT6_jjT7_P12ihipStream_tbENKUlT_T0_SG_SL_E_clISA_SA_SB_SB_EEDaSZ_S10_SG_SL_EUlSZ_E_NS1_11comp_targetILNS1_3genE0ELNS1_11target_archE4294967295ELNS1_3gpuE0ELNS1_3repE0EEENS1_47radix_sort_onesweep_sort_config_static_selectorELNS0_4arch9wavefront6targetE0EEEvSG_,comdat
	.protected	_ZN7rocprim17ROCPRIM_400000_NS6detail17trampoline_kernelINS0_14default_configENS1_35radix_sort_onesweep_config_selectorIfNS0_10empty_typeEEEZZNS1_29radix_sort_onesweep_iterationIS3_Lb0EPKfPfPS5_SB_mNS0_19identity_decomposerENS1_16block_id_wrapperIjLb0EEEEE10hipError_tT1_PNSt15iterator_traitsISG_E10value_typeET2_T3_PNSH_ISM_E10value_typeET4_T5_PSR_SS_PNS1_23onesweep_lookback_stateEbbT6_jjT7_P12ihipStream_tbENKUlT_T0_SG_SL_E_clISA_SA_SB_SB_EEDaSZ_S10_SG_SL_EUlSZ_E_NS1_11comp_targetILNS1_3genE0ELNS1_11target_archE4294967295ELNS1_3gpuE0ELNS1_3repE0EEENS1_47radix_sort_onesweep_sort_config_static_selectorELNS0_4arch9wavefront6targetE0EEEvSG_ ; -- Begin function _ZN7rocprim17ROCPRIM_400000_NS6detail17trampoline_kernelINS0_14default_configENS1_35radix_sort_onesweep_config_selectorIfNS0_10empty_typeEEEZZNS1_29radix_sort_onesweep_iterationIS3_Lb0EPKfPfPS5_SB_mNS0_19identity_decomposerENS1_16block_id_wrapperIjLb0EEEEE10hipError_tT1_PNSt15iterator_traitsISG_E10value_typeET2_T3_PNSH_ISM_E10value_typeET4_T5_PSR_SS_PNS1_23onesweep_lookback_stateEbbT6_jjT7_P12ihipStream_tbENKUlT_T0_SG_SL_E_clISA_SA_SB_SB_EEDaSZ_S10_SG_SL_EUlSZ_E_NS1_11comp_targetILNS1_3genE0ELNS1_11target_archE4294967295ELNS1_3gpuE0ELNS1_3repE0EEENS1_47radix_sort_onesweep_sort_config_static_selectorELNS0_4arch9wavefront6targetE0EEEvSG_
	.globl	_ZN7rocprim17ROCPRIM_400000_NS6detail17trampoline_kernelINS0_14default_configENS1_35radix_sort_onesweep_config_selectorIfNS0_10empty_typeEEEZZNS1_29radix_sort_onesweep_iterationIS3_Lb0EPKfPfPS5_SB_mNS0_19identity_decomposerENS1_16block_id_wrapperIjLb0EEEEE10hipError_tT1_PNSt15iterator_traitsISG_E10value_typeET2_T3_PNSH_ISM_E10value_typeET4_T5_PSR_SS_PNS1_23onesweep_lookback_stateEbbT6_jjT7_P12ihipStream_tbENKUlT_T0_SG_SL_E_clISA_SA_SB_SB_EEDaSZ_S10_SG_SL_EUlSZ_E_NS1_11comp_targetILNS1_3genE0ELNS1_11target_archE4294967295ELNS1_3gpuE0ELNS1_3repE0EEENS1_47radix_sort_onesweep_sort_config_static_selectorELNS0_4arch9wavefront6targetE0EEEvSG_
	.p2align	8
	.type	_ZN7rocprim17ROCPRIM_400000_NS6detail17trampoline_kernelINS0_14default_configENS1_35radix_sort_onesweep_config_selectorIfNS0_10empty_typeEEEZZNS1_29radix_sort_onesweep_iterationIS3_Lb0EPKfPfPS5_SB_mNS0_19identity_decomposerENS1_16block_id_wrapperIjLb0EEEEE10hipError_tT1_PNSt15iterator_traitsISG_E10value_typeET2_T3_PNSH_ISM_E10value_typeET4_T5_PSR_SS_PNS1_23onesweep_lookback_stateEbbT6_jjT7_P12ihipStream_tbENKUlT_T0_SG_SL_E_clISA_SA_SB_SB_EEDaSZ_S10_SG_SL_EUlSZ_E_NS1_11comp_targetILNS1_3genE0ELNS1_11target_archE4294967295ELNS1_3gpuE0ELNS1_3repE0EEENS1_47radix_sort_onesweep_sort_config_static_selectorELNS0_4arch9wavefront6targetE0EEEvSG_,@function
_ZN7rocprim17ROCPRIM_400000_NS6detail17trampoline_kernelINS0_14default_configENS1_35radix_sort_onesweep_config_selectorIfNS0_10empty_typeEEEZZNS1_29radix_sort_onesweep_iterationIS3_Lb0EPKfPfPS5_SB_mNS0_19identity_decomposerENS1_16block_id_wrapperIjLb0EEEEE10hipError_tT1_PNSt15iterator_traitsISG_E10value_typeET2_T3_PNSH_ISM_E10value_typeET4_T5_PSR_SS_PNS1_23onesweep_lookback_stateEbbT6_jjT7_P12ihipStream_tbENKUlT_T0_SG_SL_E_clISA_SA_SB_SB_EEDaSZ_S10_SG_SL_EUlSZ_E_NS1_11comp_targetILNS1_3genE0ELNS1_11target_archE4294967295ELNS1_3gpuE0ELNS1_3repE0EEENS1_47radix_sort_onesweep_sort_config_static_selectorELNS0_4arch9wavefront6targetE0EEEvSG_: ; @_ZN7rocprim17ROCPRIM_400000_NS6detail17trampoline_kernelINS0_14default_configENS1_35radix_sort_onesweep_config_selectorIfNS0_10empty_typeEEEZZNS1_29radix_sort_onesweep_iterationIS3_Lb0EPKfPfPS5_SB_mNS0_19identity_decomposerENS1_16block_id_wrapperIjLb0EEEEE10hipError_tT1_PNSt15iterator_traitsISG_E10value_typeET2_T3_PNSH_ISM_E10value_typeET4_T5_PSR_SS_PNS1_23onesweep_lookback_stateEbbT6_jjT7_P12ihipStream_tbENKUlT_T0_SG_SL_E_clISA_SA_SB_SB_EEDaSZ_S10_SG_SL_EUlSZ_E_NS1_11comp_targetILNS1_3genE0ELNS1_11target_archE4294967295ELNS1_3gpuE0ELNS1_3repE0EEENS1_47radix_sort_onesweep_sort_config_static_selectorELNS0_4arch9wavefront6targetE0EEEvSG_
; %bb.0:
	s_clause 0x3
	s_load_b96 s[20:22], s[0:1], 0x44
	s_load_b64 s[10:11], s[0:1], 0x38
	s_load_b128 s[16:19], s[0:1], 0x0
	s_load_b128 s[12:15], s[0:1], 0x28
	s_bfe_u32 s2, ttmp6, 0x4000c
	s_and_b32 s3, ttmp6, 15
	s_add_co_i32 s2, s2, 1
	s_getreg_b32 s4, hwreg(HW_REG_IB_STS2, 6, 4)
	s_mul_i32 s5, ttmp9, s2
	v_mbcnt_lo_u32_b32 v16, -1, 0
	s_add_co_i32 s3, s3, s5
	s_cmp_eq_u32 s4, 0
	v_and_b32_e32 v17, 0x1e0, v0
	s_cselect_b32 s9, ttmp9, s3
	s_mov_b32 s25, 0
	s_mov_b32 s2, -1
	s_mul_i32 s24, s9, 0x1800
	s_add_nc_u64 s[26:27], s[0:1], 0x58
	s_wait_kmcnt 0x0
	s_cmp_ge_u32 s9, s22
	s_cbranch_scc0 .LBB1433_90
; %bb.1:
	s_load_b32 s4, s[0:1], 0x20
	v_dual_mov_b32 v3, 0 :: v_dual_lshlrev_b32 v2, 2, v16
	s_lshl_b64 s[2:3], s[24:25], 2
	v_mul_u32_u24_e32 v1, 12, v17
	s_add_nc_u64 s[2:3], s[16:17], s[2:3]
	v_bfrev_b32_e32 v14, -2
	v_add_nc_u64_e32 v[4:5], s[2:3], v[2:3]
	v_bfrev_b32_e32 v7, -2
	v_dual_lshlrev_b32 v2, 2, v1 :: v_dual_bitop2_b32 v1, v16, v1 bitop3:0x54
	s_mul_i32 s2, s22, 0xffffe800
	s_delay_alu instid0(VALU_DEP_1)
	v_add_nc_u64_e32 v[2:3], v[4:5], v[2:3]
	s_wait_kmcnt 0x0
	s_add_co_i32 s22, s4, s2
	s_mov_b32 s2, exec_lo
	v_cmpx_gt_u32_e64 s22, v1
	s_cbranch_execz .LBB1433_3
; %bb.2:
	global_load_b32 v7, v[2:3], off
.LBB1433_3:
	s_wait_xcnt 0x0
	s_or_b32 exec_lo, exec_lo, s2
	v_or_b32_e32 v4, 32, v1
	s_mov_b32 s2, exec_lo
	s_delay_alu instid0(VALU_DEP_1)
	v_cmpx_gt_u32_e64 s22, v4
	s_cbranch_execz .LBB1433_5
; %bb.4:
	global_load_b32 v14, v[2:3], off offset:128
.LBB1433_5:
	s_wait_xcnt 0x0
	s_or_b32 exec_lo, exec_lo, s2
	v_or_b32_e32 v4, 64, v1
	v_bfrev_b32_e32 v21, -2
	v_bfrev_b32_e32 v15, -2
	s_mov_b32 s2, exec_lo
	s_delay_alu instid0(VALU_DEP_3)
	v_cmpx_gt_u32_e64 s22, v4
	s_cbranch_execz .LBB1433_7
; %bb.6:
	global_load_b32 v15, v[2:3], off offset:256
.LBB1433_7:
	s_wait_xcnt 0x0
	s_or_b32 exec_lo, exec_lo, s2
	v_or_b32_e32 v4, 0x60, v1
	s_mov_b32 s2, exec_lo
	s_delay_alu instid0(VALU_DEP_1)
	v_cmpx_gt_u32_e64 s22, v4
	s_cbranch_execz .LBB1433_9
; %bb.8:
	global_load_b32 v21, v[2:3], off offset:384
.LBB1433_9:
	s_wait_xcnt 0x0
	s_or_b32 exec_lo, exec_lo, s2
	v_add_nc_u32_e32 v4, 0x80, v1
	v_bfrev_b32_e32 v11, -2
	v_bfrev_b32_e32 v22, -2
	s_mov_b32 s2, exec_lo
	s_delay_alu instid0(VALU_DEP_3)
	v_cmpx_gt_u32_e64 s22, v4
	s_cbranch_execz .LBB1433_11
; %bb.10:
	global_load_b32 v22, v[2:3], off offset:512
.LBB1433_11:
	s_wait_xcnt 0x0
	s_or_b32 exec_lo, exec_lo, s2
	v_add_nc_u32_e32 v4, 0xa0, v1
	s_mov_b32 s2, exec_lo
	s_delay_alu instid0(VALU_DEP_1)
	v_cmpx_gt_u32_e64 s22, v4
	s_cbranch_execz .LBB1433_13
; %bb.12:
	global_load_b32 v11, v[2:3], off offset:640
.LBB1433_13:
	s_wait_xcnt 0x0
	s_or_b32 exec_lo, exec_lo, s2
	v_add_nc_u32_e32 v4, 0xc0, v1
	v_bfrev_b32_e32 v9, -2
	v_bfrev_b32_e32 v10, -2
	s_mov_b32 s2, exec_lo
	s_delay_alu instid0(VALU_DEP_3)
	v_cmpx_gt_u32_e64 s22, v4
	s_cbranch_execz .LBB1433_15
; %bb.14:
	global_load_b32 v10, v[2:3], off offset:768
.LBB1433_15:
	s_wait_xcnt 0x0
	s_or_b32 exec_lo, exec_lo, s2
	v_add_nc_u32_e32 v4, 0xe0, v1
	;; [unrolled: 22-line block ×3, first 2 shown]
	s_mov_b32 s2, exec_lo
	s_delay_alu instid0(VALU_DEP_1)
	v_cmpx_gt_u32_e64 s22, v4
	s_cbranch_execz .LBB1433_21
; %bb.20:
	global_load_b32 v6, v[2:3], off offset:1152
.LBB1433_21:
	s_wait_xcnt 0x0
	s_or_b32 exec_lo, exec_lo, s2
	v_add_nc_u32_e32 v5, 0x140, v1
	v_bfrev_b32_e32 v4, -2
	s_delay_alu instid0(VALU_DEP_2)
	v_cmp_gt_u32_e32 vcc_lo, s22, v5
	v_bfrev_b32_e32 v5, -2
	s_and_saveexec_b32 s2, vcc_lo
	s_cbranch_execz .LBB1433_23
; %bb.22:
	global_load_b32 v5, v[2:3], off offset:1280
.LBB1433_23:
	s_wait_xcnt 0x0
	s_or_b32 exec_lo, exec_lo, s2
	v_add_nc_u32_e32 v12, 0x160, v1
	v_and_b32_e32 v1, 0x3ff, v0
	s_mov_b32 s2, exec_lo
	s_delay_alu instid0(VALU_DEP_2)
	v_cmpx_gt_u32_e64 s22, v12
	s_cbranch_execz .LBB1433_25
; %bb.24:
	global_load_b32 v4, v[2:3], off offset:1408
.LBB1433_25:
	s_wait_xcnt 0x0
	s_or_b32 exec_lo, exec_lo, s2
	s_wait_loadcnt 0x0
	v_cmp_lt_i32_e32 vcc_lo, -1, v7
	s_clause 0x1
	s_load_b32 s23, s[0:1], 0x58
	s_load_u16 s4, s[0:1], 0x66
	v_bfe_u32 v3, v0, 10, 10
	s_mov_b32 s3, 0
	v_cndmask_b32_e64 v2, -1, 0x80000000, vcc_lo
	s_delay_alu instid0(VALU_DEP_1) | instskip(SKIP_1) | instid1(VALU_DEP_2)
	v_xor_b32_e32 v18, v2, v7
	v_bfe_u32 v7, v0, 20, 10
	v_cmp_ne_u32_e32 vcc_lo, 0x7fffffff, v18
	v_cndmask_b32_e32 v2, 0x80000000, v18, vcc_lo
	s_wait_kmcnt 0x0
	s_cmp_lt_u32 s9, s23
	v_mad_u32_u24 v3, v7, s4, v3
	s_cselect_b32 s2, 12, 18
	s_lshl_b32 s7, -1, s21
	v_lshrrev_b32_e32 v2, s20, v2
	s_add_nc_u64 s[2:3], s[26:27], s[2:3]
	s_not_b32 s25, s7
	s_load_u16 s8, s[2:3], 0x0
	s_delay_alu instid0(VALU_DEP_1) | instskip(SKIP_2) | instid1(VALU_DEP_2)
	v_bitop3_b32 v7, v2, 1, s7 bitop3:0x40
	v_bitop3_b32 v13, v2, s7, v2 bitop3:0x30
	s_wait_xcnt 0x0
	v_add_co_u32 v2, s2, v7, -1
	s_delay_alu instid0(VALU_DEP_1) | instskip(NEXT) | instid1(VALU_DEP_3)
	v_cndmask_b32_e64 v7, 0, 1, s2
	v_dual_lshlrev_b32 v12, 30, v13 :: v_dual_lshlrev_b32 v20, 28, v13
	v_dual_lshlrev_b32 v19, 29, v13 :: v_dual_lshlrev_b32 v23, 27, v13
	v_lshlrev_b32_e32 v24, 26, v13
	s_delay_alu instid0(VALU_DEP_4) | instskip(NEXT) | instid1(VALU_DEP_4)
	v_cmp_ne_u32_e32 vcc_lo, 0, v7
	v_not_b32_e32 v7, v12
	v_cmp_gt_i32_e64 s2, 0, v12
	v_cmp_gt_i32_e64 s3, 0, v19
	v_not_b32_e32 v12, v19
	v_not_b32_e32 v19, v20
	v_dual_ashrrev_i32 v7, 31, v7 :: v_dual_bitop2_b32 v2, vcc_lo, v2 bitop3:0x14
	v_dual_lshlrev_b32 v25, 25, v13 :: v_dual_lshlrev_b32 v26, 24, v13
	v_cmp_gt_i32_e64 s4, 0, v20
	v_cmp_gt_i32_e64 s5, 0, v23
	v_not_b32_e32 v20, v23
	v_not_b32_e32 v23, v24
	v_dual_ashrrev_i32 v12, 31, v12 :: v_dual_ashrrev_i32 v19, 31, v19
	s_delay_alu instid0(VALU_DEP_3)
	v_dual_ashrrev_i32 v20, 31, v20 :: v_dual_bitop2_b32 v7, s2, v7 bitop3:0x14
	s_wait_kmcnt 0x0
	v_mad_u32 v3, v3, s8, v1
	v_cmp_gt_i32_e64 s6, 0, v24
	v_dual_ashrrev_i32 v23, 31, v23 :: v_dual_bitop2_b32 v12, s3, v12 bitop3:0x14
	v_xor_b32_e32 v19, s4, v19
	v_bitop3_b32 v2, v2, v7, exec_lo bitop3:0x80
	v_not_b32_e32 v7, v25
	v_not_b32_e32 v24, v26
	v_xor_b32_e32 v20, s5, v20
	v_cmp_gt_i32_e32 vcc_lo, 0, v25
	v_bitop3_b32 v2, v2, v19, v12 bitop3:0x80
	s_delay_alu instid0(VALU_DEP_4) | instskip(SKIP_3) | instid1(VALU_DEP_4)
	v_dual_ashrrev_i32 v19, 31, v24 :: v_dual_bitop2_b32 v12, s6, v23 bitop3:0x14
	v_ashrrev_i32_e32 v7, 31, v7
	v_cmp_gt_i32_e64 s2, 0, v26
	v_lshrrev_b32_e32 v3, 5, v3
	v_bitop3_b32 v20, v2, v12, v20 bitop3:0x80
	s_delay_alu instid0(VALU_DEP_4) | instskip(NEXT) | instid1(VALU_DEP_4)
	v_dual_mov_b32 v23, 0 :: v_dual_bitop2_b32 v7, vcc_lo, v7 bitop3:0x14
	v_xor_b32_e32 v19, s2, v19
	s_delay_alu instid0(VALU_DEP_4)
	v_lshlrev_b32_e32 v2, 2, v3
	v_mul_u32_u24_e32 v12, 36, v1
	ds_store_2addr_b32 v12, v23, v23 offset0:16 offset1:17
	ds_store_2addr_b32 v12, v23, v23 offset0:18 offset1:19
	;; [unrolled: 1-line block ×4, first 2 shown]
	v_bitop3_b32 v3, v20, v19, v7 bitop3:0x80
	v_mad_u32 v13, 0x44, v13, v2
	ds_store_b32 v12, v23 offset:96
	s_wait_dscnt 0x0
	s_barrier_signal -1
	v_mbcnt_lo_u32_b32 v7, v3, 0
	v_cmp_ne_u32_e64 s2, 0, v3
	s_barrier_wait -1
	s_delay_alu instid0(VALU_DEP_2) | instskip(SKIP_1) | instid1(SALU_CYCLE_1)
	v_cmp_eq_u32_e32 vcc_lo, 0, v7
	; wave barrier
	s_and_b32 s3, s2, vcc_lo
	s_and_saveexec_b32 s2, s3
; %bb.26:
	v_bcnt_u32_b32 v3, v3, 0
	ds_store_b32 v13, v3 offset:64
; %bb.27:
	s_or_b32 exec_lo, exec_lo, s2
	v_cmp_lt_i32_e32 vcc_lo, -1, v14
	; wave barrier
	v_cndmask_b32_e64 v3, -1, 0x80000000, vcc_lo
	s_delay_alu instid0(VALU_DEP_1) | instskip(NEXT) | instid1(VALU_DEP_1)
	v_xor_b32_e32 v19, v3, v14
	v_cmp_ne_u32_e32 vcc_lo, 0x7fffffff, v19
	v_cndmask_b32_e32 v3, 0x80000000, v19, vcc_lo
	s_delay_alu instid0(VALU_DEP_1) | instskip(NEXT) | instid1(VALU_DEP_1)
	v_lshrrev_b32_e32 v3, s20, v3
	v_and_b32_e32 v20, s25, v3
	v_bitop3_b32 v3, v3, 1, s25 bitop3:0x80
	s_delay_alu instid0(VALU_DEP_2) | instskip(NEXT) | instid1(VALU_DEP_2)
	v_lshlrev_b32_e32 v24, 30, v20
	v_add_co_u32 v3, s2, v3, -1
	s_delay_alu instid0(VALU_DEP_1) | instskip(SKIP_1) | instid1(VALU_DEP_4)
	v_cndmask_b32_e64 v23, 0, 1, s2
	v_lshlrev_b32_e32 v25, 29, v20
	v_cmp_gt_i32_e64 s2, 0, v24
	s_delay_alu instid0(VALU_DEP_3) | instskip(SKIP_1) | instid1(VALU_DEP_4)
	v_cmp_ne_u32_e32 vcc_lo, 0, v23
	v_not_b32_e32 v23, v24
	v_not_b32_e32 v24, v25
	s_delay_alu instid0(VALU_DEP_1)
	v_ashrrev_i32_e32 v24, 31, v24
	v_lshlrev_b32_e32 v26, 28, v20
	v_mad_u32 v14, 0x44, v20, v2
	v_dual_lshlrev_b32 v27, 27, v20 :: v_dual_lshlrev_b32 v28, 26, v20
	v_dual_lshlrev_b32 v29, 25, v20 :: v_dual_lshlrev_b32 v20, 24, v20
	v_cmp_gt_i32_e64 s3, 0, v25
	v_not_b32_e32 v25, v26
	v_ashrrev_i32_e32 v23, 31, v23
	v_cmp_gt_i32_e64 s4, 0, v26
	v_cmp_gt_i32_e64 s5, 0, v27
	v_not_b32_e32 v26, v27
	v_not_b32_e32 v27, v28
	v_cmp_gt_i32_e64 s8, 0, v20
	v_not_b32_e32 v20, v20
	s_delay_alu instid0(VALU_DEP_4) | instskip(SKIP_1) | instid1(VALU_DEP_3)
	v_dual_ashrrev_i32 v26, 31, v26 :: v_dual_bitop2_b32 v3, vcc_lo, v3 bitop3:0x14
	v_dual_ashrrev_i32 v25, 31, v25 :: v_dual_bitop2_b32 v23, s2, v23 bitop3:0x14
	v_ashrrev_i32_e32 v20, 31, v20
	v_cmp_gt_i32_e64 s6, 0, v28
	v_not_b32_e32 v28, v29
	v_dual_ashrrev_i32 v27, 31, v27 :: v_dual_bitop2_b32 v24, s3, v24 bitop3:0x14
	v_xor_b32_e32 v25, s4, v25
	v_bitop3_b32 v3, v3, v23, exec_lo bitop3:0x80
	v_cmp_gt_i32_e64 s7, 0, v29
	v_dual_ashrrev_i32 v23, 31, v28 :: v_dual_bitop2_b32 v26, s5, v26 bitop3:0x14
	v_xor_b32_e32 v27, s6, v27
	s_delay_alu instid0(VALU_DEP_4) | instskip(SKIP_1) | instid1(VALU_DEP_4)
	v_bitop3_b32 v3, v3, v25, v24 bitop3:0x80
	v_xor_b32_e32 v20, s8, v20
	v_xor_b32_e32 v24, s7, v23
	ds_load_b32 v23, v14 offset:64
	v_bitop3_b32 v3, v3, v27, v26 bitop3:0x80
	; wave barrier
	s_delay_alu instid0(VALU_DEP_1) | instskip(NEXT) | instid1(VALU_DEP_1)
	v_bitop3_b32 v3, v3, v20, v24 bitop3:0x80
	v_mbcnt_lo_u32_b32 v24, v3, 0
	v_cmp_ne_u32_e64 s2, 0, v3
	s_delay_alu instid0(VALU_DEP_2) | instskip(SKIP_1) | instid1(SALU_CYCLE_1)
	v_cmp_eq_u32_e32 vcc_lo, 0, v24
	s_and_b32 s3, s2, vcc_lo
	s_and_saveexec_b32 s2, s3
	s_cbranch_execz .LBB1433_29
; %bb.28:
	s_wait_dscnt 0x0
	v_bcnt_u32_b32 v3, v3, v23
	ds_store_b32 v14, v3 offset:64
.LBB1433_29:
	s_or_b32 exec_lo, exec_lo, s2
	v_cmp_lt_i32_e32 vcc_lo, -1, v15
	; wave barrier
	v_cndmask_b32_e64 v3, -1, 0x80000000, vcc_lo
	s_delay_alu instid0(VALU_DEP_1) | instskip(NEXT) | instid1(VALU_DEP_1)
	v_xor_b32_e32 v20, v3, v15
	v_cmp_ne_u32_e32 vcc_lo, 0x7fffffff, v20
	v_cndmask_b32_e32 v3, 0x80000000, v20, vcc_lo
	s_delay_alu instid0(VALU_DEP_1) | instskip(NEXT) | instid1(VALU_DEP_1)
	v_lshrrev_b32_e32 v3, s20, v3
	v_and_b32_e32 v25, s25, v3
	s_delay_alu instid0(VALU_DEP_1) | instskip(SKIP_2) | instid1(VALU_DEP_3)
	v_lshlrev_b32_e32 v29, 28, v25
	v_bitop3_b32 v3, v3, 1, s25 bitop3:0x80
	v_lshlrev_b32_e32 v27, 30, v25
	v_cmp_gt_i32_e64 s4, 0, v29
	s_delay_alu instid0(VALU_DEP_3) | instskip(NEXT) | instid1(VALU_DEP_1)
	v_add_co_u32 v3, s2, v3, -1
	v_cndmask_b32_e64 v26, 0, 1, s2
	s_delay_alu instid0(VALU_DEP_4) | instskip(NEXT) | instid1(VALU_DEP_2)
	v_cmp_gt_i32_e64 s2, 0, v27
	v_cmp_ne_u32_e32 vcc_lo, 0, v26
	v_not_b32_e32 v26, v27
	s_delay_alu instid0(VALU_DEP_1) | instskip(SKIP_3) | instid1(VALU_DEP_4)
	v_dual_ashrrev_i32 v26, 31, v26 :: v_dual_lshlrev_b32 v28, 29, v25
	v_dual_lshlrev_b32 v30, 27, v25 :: v_dual_lshlrev_b32 v31, 26, v25
	v_mad_u32 v15, 0x44, v25, v2
	v_dual_lshlrev_b32 v32, 25, v25 :: v_dual_lshlrev_b32 v25, 24, v25
	v_cmp_gt_i32_e64 s3, 0, v28
	v_not_b32_e32 v27, v28
	v_not_b32_e32 v28, v29
	v_cmp_gt_i32_e64 s5, 0, v30
	v_not_b32_e32 v29, v30
	v_not_b32_e32 v30, v31
	s_delay_alu instid0(VALU_DEP_4)
	v_dual_ashrrev_i32 v28, 31, v28 :: v_dual_bitop2_b32 v3, vcc_lo, v3 bitop3:0x14
	v_dual_ashrrev_i32 v27, 31, v27 :: v_dual_bitop2_b32 v26, s2, v26 bitop3:0x14
	v_cmp_gt_i32_e64 s6, 0, v31
	v_not_b32_e32 v31, v32
	v_cmp_gt_i32_e64 s8, 0, v25
	v_not_b32_e32 v25, v25
	v_dual_ashrrev_i32 v29, 31, v29 :: v_dual_ashrrev_i32 v30, 31, v30
	v_xor_b32_e32 v27, s3, v27
	v_xor_b32_e32 v28, s4, v28
	v_bitop3_b32 v3, v3, v26, exec_lo bitop3:0x80
	v_cmp_gt_i32_e64 s7, 0, v32
	v_dual_ashrrev_i32 v26, 31, v31 :: v_dual_ashrrev_i32 v25, 31, v25
	v_xor_b32_e32 v29, s5, v29
	v_xor_b32_e32 v30, s6, v30
	v_bitop3_b32 v3, v3, v28, v27 bitop3:0x80
	s_delay_alu instid0(VALU_DEP_4) | instskip(SKIP_3) | instid1(VALU_DEP_1)
	v_xor_b32_e32 v27, s7, v26
	v_xor_b32_e32 v25, s8, v25
	ds_load_b32 v26, v15 offset:64
	v_bitop3_b32 v3, v3, v30, v29 bitop3:0x80
	; wave barrier
	v_bitop3_b32 v3, v3, v25, v27 bitop3:0x80
	s_delay_alu instid0(VALU_DEP_1) | instskip(SKIP_1) | instid1(VALU_DEP_2)
	v_mbcnt_lo_u32_b32 v27, v3, 0
	v_cmp_ne_u32_e64 s2, 0, v3
	v_cmp_eq_u32_e32 vcc_lo, 0, v27
	s_and_b32 s3, s2, vcc_lo
	s_delay_alu instid0(SALU_CYCLE_1)
	s_and_saveexec_b32 s2, s3
	s_cbranch_execz .LBB1433_31
; %bb.30:
	s_wait_dscnt 0x0
	v_bcnt_u32_b32 v3, v3, v26
	ds_store_b32 v15, v3 offset:64
.LBB1433_31:
	s_or_b32 exec_lo, exec_lo, s2
	v_cmp_lt_i32_e32 vcc_lo, -1, v21
	; wave barrier
	v_cndmask_b32_e64 v3, -1, 0x80000000, vcc_lo
	s_delay_alu instid0(VALU_DEP_1) | instskip(NEXT) | instid1(VALU_DEP_1)
	v_xor_b32_e32 v21, v3, v21
	v_cmp_ne_u32_e32 vcc_lo, 0x7fffffff, v21
	v_cndmask_b32_e32 v3, 0x80000000, v21, vcc_lo
	s_delay_alu instid0(VALU_DEP_1) | instskip(NEXT) | instid1(VALU_DEP_1)
	v_lshrrev_b32_e32 v3, s20, v3
	v_and_b32_e32 v25, s25, v3
	v_bitop3_b32 v3, v3, 1, s25 bitop3:0x80
	s_delay_alu instid0(VALU_DEP_2) | instskip(NEXT) | instid1(VALU_DEP_2)
	v_dual_lshlrev_b32 v29, 30, v25 :: v_dual_lshlrev_b32 v30, 29, v25
	v_add_co_u32 v3, s2, v3, -1
	s_delay_alu instid0(VALU_DEP_1) | instskip(NEXT) | instid1(VALU_DEP_3)
	v_cndmask_b32_e64 v28, 0, 1, s2
	v_cmp_gt_i32_e64 s2, 0, v29
	s_delay_alu instid0(VALU_DEP_4) | instskip(NEXT) | instid1(VALU_DEP_3)
	v_cmp_gt_i32_e64 s3, 0, v30
	v_cmp_ne_u32_e32 vcc_lo, 0, v28
	v_not_b32_e32 v28, v29
	v_not_b32_e32 v29, v30
	s_delay_alu instid0(VALU_DEP_2) | instskip(NEXT) | instid1(VALU_DEP_2)
	v_dual_ashrrev_i32 v28, 31, v28 :: v_dual_bitop2_b32 v3, vcc_lo, v3 bitop3:0x14
	v_ashrrev_i32_e32 v29, 31, v29
	v_dual_lshlrev_b32 v31, 28, v25 :: v_dual_lshlrev_b32 v32, 27, v25
	v_dual_lshlrev_b32 v33, 26, v25 :: v_dual_lshlrev_b32 v35, 25, v25
	v_mad_u32 v34, 0x44, v25, v2
	s_delay_alu instid0(VALU_DEP_3)
	v_not_b32_e32 v30, v31
	v_lshlrev_b32_e32 v25, 24, v25
	v_cmp_gt_i32_e64 s4, 0, v31
	v_cmp_gt_i32_e64 s5, 0, v32
	v_not_b32_e32 v31, v32
	v_not_b32_e32 v32, v33
	v_dual_ashrrev_i32 v30, 31, v30 :: v_dual_bitop2_b32 v28, s2, v28 bitop3:0x14
	v_cmp_gt_i32_e64 s6, 0, v33
	v_not_b32_e32 v33, v35
	v_cmp_gt_i32_e64 s8, 0, v25
	v_not_b32_e32 v25, v25
	v_dual_ashrrev_i32 v31, 31, v31 :: v_dual_ashrrev_i32 v32, 31, v32
	v_xor_b32_e32 v29, s3, v29
	v_xor_b32_e32 v30, s4, v30
	v_bitop3_b32 v3, v3, v28, exec_lo bitop3:0x80
	v_cmp_gt_i32_e64 s7, 0, v35
	v_ashrrev_i32_e32 v28, 31, v33
	v_dual_ashrrev_i32 v25, 31, v25 :: v_dual_bitop2_b32 v31, s5, v31 bitop3:0x14
	v_xor_b32_e32 v32, s6, v32
	v_bitop3_b32 v3, v3, v30, v29 bitop3:0x80
	s_delay_alu instid0(VALU_DEP_4) | instskip(NEXT) | instid1(VALU_DEP_4)
	v_xor_b32_e32 v28, s7, v28
	v_xor_b32_e32 v25, s8, v25
	ds_load_b32 v29, v34 offset:64
	v_bitop3_b32 v3, v3, v32, v31 bitop3:0x80
	; wave barrier
	s_delay_alu instid0(VALU_DEP_1) | instskip(NEXT) | instid1(VALU_DEP_1)
	v_bitop3_b32 v3, v3, v25, v28 bitop3:0x80
	v_mbcnt_lo_u32_b32 v30, v3, 0
	v_cmp_ne_u32_e64 s2, 0, v3
	s_delay_alu instid0(VALU_DEP_2) | instskip(SKIP_1) | instid1(SALU_CYCLE_1)
	v_cmp_eq_u32_e32 vcc_lo, 0, v30
	s_and_b32 s3, s2, vcc_lo
	s_and_saveexec_b32 s2, s3
	s_cbranch_execz .LBB1433_33
; %bb.32:
	s_wait_dscnt 0x0
	v_bcnt_u32_b32 v3, v3, v29
	ds_store_b32 v34, v3 offset:64
.LBB1433_33:
	s_or_b32 exec_lo, exec_lo, s2
	v_cmp_lt_i32_e32 vcc_lo, -1, v22
	; wave barrier
	v_cndmask_b32_e64 v3, -1, 0x80000000, vcc_lo
	s_delay_alu instid0(VALU_DEP_1) | instskip(NEXT) | instid1(VALU_DEP_1)
	v_xor_b32_e32 v22, v3, v22
	v_cmp_ne_u32_e32 vcc_lo, 0x7fffffff, v22
	v_cndmask_b32_e32 v3, 0x80000000, v22, vcc_lo
	s_delay_alu instid0(VALU_DEP_1) | instskip(NEXT) | instid1(VALU_DEP_1)
	v_lshrrev_b32_e32 v3, s20, v3
	v_and_b32_e32 v25, s25, v3
	v_bitop3_b32 v3, v3, 1, s25 bitop3:0x80
	s_delay_alu instid0(VALU_DEP_2) | instskip(NEXT) | instid1(VALU_DEP_2)
	v_lshlrev_b32_e32 v31, 30, v25
	v_add_co_u32 v3, s2, v3, -1
	s_delay_alu instid0(VALU_DEP_1) | instskip(NEXT) | instid1(VALU_DEP_1)
	v_cndmask_b32_e64 v28, 0, 1, s2
	v_cmp_ne_u32_e32 vcc_lo, 0, v28
	s_delay_alu instid0(VALU_DEP_4) | instskip(NEXT) | instid1(VALU_DEP_1)
	v_not_b32_e32 v28, v31
	v_dual_ashrrev_i32 v28, 31, v28 :: v_dual_lshlrev_b32 v32, 29, v25
	v_dual_lshlrev_b32 v33, 28, v25 :: v_dual_lshlrev_b32 v35, 27, v25
	v_lshlrev_b32_e32 v36, 26, v25
	v_cmp_gt_i32_e64 s2, 0, v31
	s_delay_alu instid0(VALU_DEP_4)
	v_cmp_gt_i32_e64 s3, 0, v32
	v_not_b32_e32 v31, v32
	v_not_b32_e32 v32, v33
	v_mad_u32 v38, 0x44, v25, v2
	v_dual_lshlrev_b32 v37, 25, v25 :: v_dual_lshlrev_b32 v25, 24, v25
	v_cmp_gt_i32_e64 s4, 0, v33
	v_cmp_gt_i32_e64 s5, 0, v35
	v_not_b32_e32 v33, v35
	v_not_b32_e32 v35, v36
	v_dual_ashrrev_i32 v32, 31, v32 :: v_dual_bitop2_b32 v3, vcc_lo, v3 bitop3:0x14
	v_dual_ashrrev_i32 v31, 31, v31 :: v_dual_bitop2_b32 v28, s2, v28 bitop3:0x14
	v_cmp_gt_i32_e64 s6, 0, v36
	v_not_b32_e32 v36, v37
	v_cmp_gt_i32_e64 s8, 0, v25
	v_not_b32_e32 v25, v25
	v_dual_ashrrev_i32 v33, 31, v33 :: v_dual_ashrrev_i32 v35, 31, v35
	v_xor_b32_e32 v31, s3, v31
	s_delay_alu instid0(VALU_DEP_3) | instskip(SKIP_4) | instid1(VALU_DEP_4)
	v_dual_ashrrev_i32 v25, 31, v25 :: v_dual_bitop2_b32 v32, s4, v32 bitop3:0x14
	v_bitop3_b32 v3, v3, v28, exec_lo bitop3:0x80
	v_cmp_gt_i32_e64 s7, 0, v37
	v_dual_ashrrev_i32 v28, 31, v36 :: v_dual_bitop2_b32 v33, s5, v33 bitop3:0x14
	v_xor_b32_e32 v35, s6, v35
	v_bitop3_b32 v3, v3, v32, v31 bitop3:0x80
	v_xor_b32_e32 v25, s8, v25
	s_delay_alu instid0(VALU_DEP_4) | instskip(SKIP_2) | instid1(VALU_DEP_1)
	v_xor_b32_e32 v28, s7, v28
	ds_load_b32 v32, v38 offset:64
	v_bitop3_b32 v3, v3, v35, v33 bitop3:0x80
	; wave barrier
	v_bitop3_b32 v3, v3, v25, v28 bitop3:0x80
	s_delay_alu instid0(VALU_DEP_1) | instskip(SKIP_1) | instid1(VALU_DEP_2)
	v_mbcnt_lo_u32_b32 v33, v3, 0
	v_cmp_ne_u32_e64 s2, 0, v3
	v_cmp_eq_u32_e32 vcc_lo, 0, v33
	s_and_b32 s3, s2, vcc_lo
	s_delay_alu instid0(SALU_CYCLE_1)
	s_and_saveexec_b32 s2, s3
	s_cbranch_execz .LBB1433_35
; %bb.34:
	s_wait_dscnt 0x0
	v_bcnt_u32_b32 v3, v3, v32
	ds_store_b32 v38, v3 offset:64
.LBB1433_35:
	s_or_b32 exec_lo, exec_lo, s2
	v_cmp_lt_i32_e32 vcc_lo, -1, v11
	; wave barrier
	v_cndmask_b32_e64 v3, -1, 0x80000000, vcc_lo
	s_delay_alu instid0(VALU_DEP_1) | instskip(NEXT) | instid1(VALU_DEP_1)
	v_xor_b32_e32 v25, v3, v11
	v_cmp_ne_u32_e32 vcc_lo, 0x7fffffff, v25
	v_cndmask_b32_e32 v3, 0x80000000, v25, vcc_lo
	s_delay_alu instid0(VALU_DEP_1) | instskip(NEXT) | instid1(VALU_DEP_1)
	v_lshrrev_b32_e32 v3, s20, v3
	v_and_b32_e32 v11, s25, v3
	v_bitop3_b32 v3, v3, 1, s25 bitop3:0x80
	s_delay_alu instid0(VALU_DEP_2) | instskip(NEXT) | instid1(VALU_DEP_2)
	v_lshlrev_b32_e32 v31, 30, v11
	v_add_co_u32 v3, s2, v3, -1
	s_delay_alu instid0(VALU_DEP_1) | instskip(SKIP_3) | instid1(VALU_DEP_4)
	v_cndmask_b32_e64 v28, 0, 1, s2
	v_dual_lshlrev_b32 v35, 29, v11 :: v_dual_lshlrev_b32 v37, 27, v11
	v_lshlrev_b32_e32 v36, 28, v11
	v_cmp_gt_i32_e64 s2, 0, v31
	v_cmp_ne_u32_e32 vcc_lo, 0, v28
	v_not_b32_e32 v28, v31
	v_cmp_gt_i32_e64 s3, 0, v35
	v_not_b32_e32 v31, v35
	v_cmp_gt_i32_e64 s4, 0, v36
	v_not_b32_e32 v35, v36
	v_not_b32_e32 v36, v37
	v_cmp_gt_i32_e64 s5, 0, v37
	v_ashrrev_i32_e32 v28, 31, v28
	s_delay_alu instid0(VALU_DEP_3) | instskip(SKIP_2) | instid1(VALU_DEP_4)
	v_dual_ashrrev_i32 v36, 31, v36 :: v_dual_lshlrev_b32 v39, 26, v11
	v_lshlrev_b32_e32 v40, 25, v11
	v_mad_u32 v42, 0x44, v11, v2
	v_dual_lshlrev_b32 v11, 24, v11 :: v_dual_bitop2_b32 v28, s2, v28 bitop3:0x14
	s_delay_alu instid0(VALU_DEP_4) | instskip(SKIP_3) | instid1(VALU_DEP_4)
	v_not_b32_e32 v37, v39
	v_cmp_gt_i32_e64 s6, 0, v39
	v_xor_b32_e32 v3, vcc_lo, v3
	v_dual_ashrrev_i32 v31, 31, v31 :: v_dual_bitop2_b32 v36, s5, v36 bitop3:0x14
	v_dual_ashrrev_i32 v37, 31, v37 :: v_dual_ashrrev_i32 v35, 31, v35
	v_not_b32_e32 v39, v40
	v_cmp_gt_i32_e64 s8, 0, v11
	v_not_b32_e32 v11, v11
	v_xor_b32_e32 v31, s3, v31
	v_bitop3_b32 v3, v3, v28, exec_lo bitop3:0x80
	v_xor_b32_e32 v37, s6, v37
	v_xor_b32_e32 v35, s4, v35
	v_cmp_gt_i32_e64 s7, 0, v40
	v_ashrrev_i32_e32 v28, 31, v39
	v_ashrrev_i32_e32 v11, 31, v11
	s_delay_alu instid0(VALU_DEP_4) | instskip(NEXT) | instid1(VALU_DEP_3)
	v_bitop3_b32 v3, v3, v35, v31 bitop3:0x80
	v_xor_b32_e32 v28, s7, v28
	s_delay_alu instid0(VALU_DEP_3) | instskip(NEXT) | instid1(VALU_DEP_3)
	v_xor_b32_e32 v11, s8, v11
	v_bitop3_b32 v3, v3, v37, v36 bitop3:0x80
	ds_load_b32 v36, v42 offset:64
	; wave barrier
	v_bitop3_b32 v3, v3, v11, v28 bitop3:0x80
	s_delay_alu instid0(VALU_DEP_1) | instskip(SKIP_1) | instid1(VALU_DEP_2)
	v_mbcnt_lo_u32_b32 v37, v3, 0
	v_cmp_ne_u32_e64 s2, 0, v3
	v_cmp_eq_u32_e32 vcc_lo, 0, v37
	s_and_b32 s3, s2, vcc_lo
	s_delay_alu instid0(SALU_CYCLE_1)
	s_and_saveexec_b32 s2, s3
	s_cbranch_execz .LBB1433_37
; %bb.36:
	s_wait_dscnt 0x0
	v_bcnt_u32_b32 v3, v3, v36
	ds_store_b32 v42, v3 offset:64
.LBB1433_37:
	s_or_b32 exec_lo, exec_lo, s2
	v_cmp_lt_i32_e32 vcc_lo, -1, v10
	; wave barrier
	v_cndmask_b32_e64 v3, -1, 0x80000000, vcc_lo
	s_delay_alu instid0(VALU_DEP_1) | instskip(NEXT) | instid1(VALU_DEP_1)
	v_xor_b32_e32 v28, v3, v10
	v_cmp_ne_u32_e32 vcc_lo, 0x7fffffff, v28
	v_cndmask_b32_e32 v3, 0x80000000, v28, vcc_lo
	s_delay_alu instid0(VALU_DEP_1) | instskip(NEXT) | instid1(VALU_DEP_1)
	v_lshrrev_b32_e32 v3, s20, v3
	v_and_b32_e32 v10, s25, v3
	v_bitop3_b32 v3, v3, 1, s25 bitop3:0x80
	s_delay_alu instid0(VALU_DEP_2) | instskip(NEXT) | instid1(VALU_DEP_2)
	v_dual_lshlrev_b32 v31, 30, v10 :: v_dual_lshlrev_b32 v35, 29, v10
	v_add_co_u32 v3, s2, v3, -1
	s_delay_alu instid0(VALU_DEP_1) | instskip(SKIP_3) | instid1(VALU_DEP_4)
	v_cndmask_b32_e64 v11, 0, 1, s2
	v_dual_lshlrev_b32 v39, 28, v10 :: v_dual_lshlrev_b32 v41, 26, v10
	v_lshlrev_b32_e32 v40, 27, v10
	v_cmp_gt_i32_e64 s2, 0, v31
	v_cmp_ne_u32_e32 vcc_lo, 0, v11
	v_not_b32_e32 v11, v31
	v_cmp_gt_i32_e64 s3, 0, v35
	v_not_b32_e32 v31, v35
	v_cmp_gt_i32_e64 s4, 0, v39
	v_not_b32_e32 v35, v39
	v_cmp_gt_i32_e64 s5, 0, v40
	v_not_b32_e32 v39, v40
	v_not_b32_e32 v40, v41
	v_cmp_gt_i32_e64 s6, 0, v41
	s_delay_alu instid0(VALU_DEP_2) | instskip(SKIP_2) | instid1(VALU_DEP_3)
	v_dual_ashrrev_i32 v39, 31, v39 :: v_dual_ashrrev_i32 v40, 31, v40
	v_mad_u32 v45, 0x44, v10, v2
	v_dual_lshlrev_b32 v43, 25, v10 :: v_dual_lshlrev_b32 v10, 24, v10
	v_dual_ashrrev_i32 v31, 31, v31 :: v_dual_bitop2_b32 v40, s6, v40 bitop3:0x14
	s_delay_alu instid0(VALU_DEP_4) | instskip(NEXT) | instid1(VALU_DEP_3)
	v_xor_b32_e32 v39, s5, v39
	v_not_b32_e32 v41, v43
	s_delay_alu instid0(VALU_DEP_4)
	v_cmp_gt_i32_e64 s8, 0, v10
	v_not_b32_e32 v10, v10
	v_ashrrev_i32_e32 v11, 31, v11
	v_xor_b32_e32 v3, vcc_lo, v3
	v_xor_b32_e32 v31, s3, v31
	v_cmp_gt_i32_e64 s7, 0, v43
	v_dual_ashrrev_i32 v10, 31, v10 :: v_dual_ashrrev_i32 v35, 31, v35
	v_xor_b32_e32 v11, s2, v11
	s_delay_alu instid0(VALU_DEP_2) | instskip(NEXT) | instid1(VALU_DEP_3)
	v_xor_b32_e32 v10, s8, v10
	v_xor_b32_e32 v35, s4, v35
	s_delay_alu instid0(VALU_DEP_3) | instskip(SKIP_1) | instid1(VALU_DEP_2)
	v_bitop3_b32 v3, v3, v11, exec_lo bitop3:0x80
	v_ashrrev_i32_e32 v11, 31, v41
	v_bitop3_b32 v3, v3, v35, v31 bitop3:0x80
	s_delay_alu instid0(VALU_DEP_2) | instskip(NEXT) | instid1(VALU_DEP_2)
	v_xor_b32_e32 v11, s7, v11
	v_bitop3_b32 v3, v3, v40, v39 bitop3:0x80
	ds_load_b32 v40, v45 offset:64
	; wave barrier
	v_bitop3_b32 v3, v3, v10, v11 bitop3:0x80
	s_delay_alu instid0(VALU_DEP_1) | instskip(SKIP_1) | instid1(VALU_DEP_2)
	v_mbcnt_lo_u32_b32 v41, v3, 0
	v_cmp_ne_u32_e64 s2, 0, v3
	v_cmp_eq_u32_e32 vcc_lo, 0, v41
	s_and_b32 s3, s2, vcc_lo
	s_delay_alu instid0(SALU_CYCLE_1)
	s_and_saveexec_b32 s2, s3
	s_cbranch_execz .LBB1433_39
; %bb.38:
	s_wait_dscnt 0x0
	v_bcnt_u32_b32 v3, v3, v40
	ds_store_b32 v45, v3 offset:64
.LBB1433_39:
	s_or_b32 exec_lo, exec_lo, s2
	v_cmp_lt_i32_e32 vcc_lo, -1, v9
	; wave barrier
	v_cndmask_b32_e64 v3, -1, 0x80000000, vcc_lo
	s_delay_alu instid0(VALU_DEP_1) | instskip(NEXT) | instid1(VALU_DEP_1)
	v_xor_b32_e32 v31, v3, v9
	v_cmp_ne_u32_e32 vcc_lo, 0x7fffffff, v31
	v_cndmask_b32_e32 v3, 0x80000000, v31, vcc_lo
	s_delay_alu instid0(VALU_DEP_1) | instskip(NEXT) | instid1(VALU_DEP_1)
	v_lshrrev_b32_e32 v3, s20, v3
	v_and_b32_e32 v9, s25, v3
	v_bitop3_b32 v3, v3, 1, s25 bitop3:0x80
	s_delay_alu instid0(VALU_DEP_2) | instskip(NEXT) | instid1(VALU_DEP_2)
	v_lshlrev_b32_e32 v11, 30, v9
	v_add_co_u32 v3, s2, v3, -1
	s_delay_alu instid0(VALU_DEP_1) | instskip(NEXT) | instid1(VALU_DEP_1)
	v_cndmask_b32_e64 v10, 0, 1, s2
	v_cmp_ne_u32_e32 vcc_lo, 0, v10
	s_delay_alu instid0(VALU_DEP_4) | instskip(NEXT) | instid1(VALU_DEP_1)
	v_not_b32_e32 v10, v11
	v_dual_ashrrev_i32 v10, 31, v10 :: v_dual_lshlrev_b32 v35, 29, v9
	v_dual_lshlrev_b32 v39, 28, v9 :: v_dual_lshlrev_b32 v43, 27, v9
	v_mad_u32 v49, 0x44, v9, v2
	v_dual_lshlrev_b32 v44, 26, v9 :: v_dual_lshlrev_b32 v46, 25, v9
	v_lshlrev_b32_e32 v9, 24, v9
	v_cmp_gt_i32_e64 s2, 0, v11
	v_cmp_gt_i32_e64 s3, 0, v35
	v_not_b32_e32 v11, v35
	v_not_b32_e32 v35, v39
	v_cmp_gt_i32_e64 s4, 0, v39
	v_cmp_gt_i32_e64 s5, 0, v43
	v_not_b32_e32 v39, v43
	v_cmp_gt_i32_e64 s6, 0, v44
	v_not_b32_e32 v43, v44
	v_not_b32_e32 v44, v46
	v_cmp_gt_i32_e64 s8, 0, v9
	v_not_b32_e32 v9, v9
	v_xor_b32_e32 v3, vcc_lo, v3
	v_dual_ashrrev_i32 v11, 31, v11 :: v_dual_bitop2_b32 v10, s2, v10 bitop3:0x14
	s_delay_alu instid0(VALU_DEP_3) | instskip(SKIP_2) | instid1(VALU_DEP_4)
	v_dual_ashrrev_i32 v35, 31, v35 :: v_dual_ashrrev_i32 v9, 31, v9
	v_cmp_gt_i32_e64 s7, 0, v46
	v_ashrrev_i32_e32 v43, 31, v43
	v_xor_b32_e32 v11, s3, v11
	s_delay_alu instid0(VALU_DEP_4) | instskip(SKIP_4) | instid1(VALU_DEP_4)
	v_xor_b32_e32 v35, s4, v35
	v_bitop3_b32 v3, v3, v10, exec_lo bitop3:0x80
	v_dual_ashrrev_i32 v10, 31, v44 :: v_dual_ashrrev_i32 v39, 31, v39
	v_xor_b32_e32 v9, s8, v9
	v_xor_b32_e32 v43, s6, v43
	v_bitop3_b32 v3, v3, v35, v11 bitop3:0x80
	s_delay_alu instid0(VALU_DEP_4) | instskip(SKIP_3) | instid1(VALU_DEP_1)
	v_xor_b32_e32 v10, s7, v10
	v_xor_b32_e32 v39, s5, v39
	ds_load_b32 v44, v49 offset:64
	; wave barrier
	v_bitop3_b32 v3, v3, v43, v39 bitop3:0x80
	v_bitop3_b32 v3, v3, v9, v10 bitop3:0x80
	s_delay_alu instid0(VALU_DEP_1) | instskip(SKIP_1) | instid1(VALU_DEP_2)
	v_mbcnt_lo_u32_b32 v46, v3, 0
	v_cmp_ne_u32_e64 s2, 0, v3
	v_cmp_eq_u32_e32 vcc_lo, 0, v46
	s_and_b32 s3, s2, vcc_lo
	s_delay_alu instid0(SALU_CYCLE_1)
	s_and_saveexec_b32 s2, s3
	s_cbranch_execz .LBB1433_41
; %bb.40:
	s_wait_dscnt 0x0
	v_bcnt_u32_b32 v3, v3, v44
	ds_store_b32 v49, v3 offset:64
.LBB1433_41:
	s_or_b32 exec_lo, exec_lo, s2
	v_cmp_lt_i32_e32 vcc_lo, -1, v8
	; wave barrier
	v_cndmask_b32_e64 v3, -1, 0x80000000, vcc_lo
	s_delay_alu instid0(VALU_DEP_1) | instskip(NEXT) | instid1(VALU_DEP_1)
	v_xor_b32_e32 v35, v3, v8
	v_cmp_ne_u32_e32 vcc_lo, 0x7fffffff, v35
	v_cndmask_b32_e32 v3, 0x80000000, v35, vcc_lo
	s_delay_alu instid0(VALU_DEP_1) | instskip(NEXT) | instid1(VALU_DEP_1)
	v_lshrrev_b32_e32 v3, s20, v3
	v_and_b32_e32 v8, s25, v3
	v_bitop3_b32 v3, v3, 1, s25 bitop3:0x80
	s_delay_alu instid0(VALU_DEP_2) | instskip(NEXT) | instid1(VALU_DEP_2)
	v_lshlrev_b32_e32 v10, 30, v8
	v_add_co_u32 v3, s2, v3, -1
	s_delay_alu instid0(VALU_DEP_1) | instskip(NEXT) | instid1(VALU_DEP_3)
	v_cndmask_b32_e64 v9, 0, 1, s2
	v_cmp_gt_i32_e64 s2, 0, v10
	s_delay_alu instid0(VALU_DEP_2) | instskip(SKIP_1) | instid1(VALU_DEP_1)
	v_cmp_ne_u32_e32 vcc_lo, 0, v9
	v_not_b32_e32 v9, v10
	v_dual_ashrrev_i32 v9, 31, v9 :: v_dual_lshlrev_b32 v11, 29, v8
	v_dual_lshlrev_b32 v39, 28, v8 :: v_dual_lshlrev_b32 v43, 27, v8
	v_lshlrev_b32_e32 v47, 26, v8
	v_mad_u32 v52, 0x44, v8, v2
	s_delay_alu instid0(VALU_DEP_4)
	v_cmp_gt_i32_e64 s3, 0, v11
	v_not_b32_e32 v10, v11
	v_not_b32_e32 v11, v39
	v_dual_lshlrev_b32 v48, 25, v8 :: v_dual_lshlrev_b32 v8, 24, v8
	v_cmp_gt_i32_e64 s4, 0, v39
	v_cmp_gt_i32_e64 s5, 0, v43
	v_not_b32_e32 v39, v43
	v_not_b32_e32 v43, v47
	v_dual_ashrrev_i32 v10, 31, v10 :: v_dual_bitop2_b32 v3, vcc_lo, v3 bitop3:0x14
	v_dual_ashrrev_i32 v11, 31, v11 :: v_dual_bitop2_b32 v9, s2, v9 bitop3:0x14
	v_cmp_gt_i32_e64 s6, 0, v47
	v_not_b32_e32 v47, v48
	v_cmp_gt_i32_e64 s8, 0, v8
	v_not_b32_e32 v8, v8
	v_dual_ashrrev_i32 v39, 31, v39 :: v_dual_bitop2_b32 v10, s3, v10 bitop3:0x14
	v_ashrrev_i32_e32 v43, 31, v43
	v_xor_b32_e32 v11, s4, v11
	v_bitop3_b32 v3, v3, v9, exec_lo bitop3:0x80
	v_cmp_gt_i32_e64 s7, 0, v48
	v_dual_ashrrev_i32 v8, 31, v8 :: v_dual_ashrrev_i32 v9, 31, v47
	v_xor_b32_e32 v39, s5, v39
	v_xor_b32_e32 v43, s6, v43
	v_bitop3_b32 v3, v3, v11, v10 bitop3:0x80
	s_delay_alu instid0(VALU_DEP_4) | instskip(SKIP_3) | instid1(VALU_DEP_1)
	v_xor_b32_e32 v8, s8, v8
	v_xor_b32_e32 v9, s7, v9
	ds_load_b32 v48, v52 offset:64
	v_bitop3_b32 v3, v3, v43, v39 bitop3:0x80
	; wave barrier
	v_bitop3_b32 v3, v3, v8, v9 bitop3:0x80
	s_delay_alu instid0(VALU_DEP_1) | instskip(SKIP_1) | instid1(VALU_DEP_2)
	v_mbcnt_lo_u32_b32 v50, v3, 0
	v_cmp_ne_u32_e64 s2, 0, v3
	v_cmp_eq_u32_e32 vcc_lo, 0, v50
	s_and_b32 s3, s2, vcc_lo
	s_delay_alu instid0(SALU_CYCLE_1)
	s_and_saveexec_b32 s2, s3
	s_cbranch_execz .LBB1433_43
; %bb.42:
	s_wait_dscnt 0x0
	v_bcnt_u32_b32 v3, v3, v48
	ds_store_b32 v52, v3 offset:64
.LBB1433_43:
	s_or_b32 exec_lo, exec_lo, s2
	v_cmp_lt_i32_e32 vcc_lo, -1, v6
	; wave barrier
	v_cndmask_b32_e64 v3, -1, 0x80000000, vcc_lo
	s_delay_alu instid0(VALU_DEP_1) | instskip(NEXT) | instid1(VALU_DEP_1)
	v_xor_b32_e32 v39, v3, v6
	v_cmp_ne_u32_e32 vcc_lo, 0x7fffffff, v39
	v_cndmask_b32_e32 v3, 0x80000000, v39, vcc_lo
	s_delay_alu instid0(VALU_DEP_1) | instskip(NEXT) | instid1(VALU_DEP_1)
	v_lshrrev_b32_e32 v3, s20, v3
	v_and_b32_e32 v6, s25, v3
	v_bitop3_b32 v3, v3, 1, s25 bitop3:0x80
	s_delay_alu instid0(VALU_DEP_2) | instskip(NEXT) | instid1(VALU_DEP_2)
	v_lshlrev_b32_e32 v9, 30, v6
	v_add_co_u32 v3, s2, v3, -1
	s_delay_alu instid0(VALU_DEP_1) | instskip(NEXT) | instid1(VALU_DEP_1)
	v_cndmask_b32_e64 v8, 0, 1, s2
	v_cmp_ne_u32_e32 vcc_lo, 0, v8
	s_delay_alu instid0(VALU_DEP_4) | instskip(NEXT) | instid1(VALU_DEP_1)
	v_not_b32_e32 v8, v9
	v_dual_ashrrev_i32 v8, 31, v8 :: v_dual_lshlrev_b32 v10, 29, v6
	v_dual_lshlrev_b32 v11, 28, v6 :: v_dual_lshlrev_b32 v43, 27, v6
	v_lshlrev_b32_e32 v47, 26, v6
	v_cmp_gt_i32_e64 s2, 0, v9
	s_delay_alu instid0(VALU_DEP_4)
	v_cmp_gt_i32_e64 s3, 0, v10
	v_not_b32_e32 v9, v10
	v_not_b32_e32 v10, v11
	v_mad_u32 v54, 0x44, v6, v2
	v_dual_lshlrev_b32 v51, 25, v6 :: v_dual_lshlrev_b32 v6, 24, v6
	v_cmp_gt_i32_e64 s4, 0, v11
	v_cmp_gt_i32_e64 s5, 0, v43
	v_not_b32_e32 v11, v43
	v_not_b32_e32 v43, v47
	v_dual_ashrrev_i32 v9, 31, v9 :: v_dual_bitop2_b32 v3, vcc_lo, v3 bitop3:0x14
	v_dual_ashrrev_i32 v10, 31, v10 :: v_dual_bitop2_b32 v8, s2, v8 bitop3:0x14
	v_cmp_gt_i32_e64 s6, 0, v47
	v_not_b32_e32 v47, v51
	v_cmp_gt_i32_e64 s8, 0, v6
	v_not_b32_e32 v6, v6
	v_dual_ashrrev_i32 v11, 31, v11 :: v_dual_bitop2_b32 v9, s3, v9 bitop3:0x14
	v_dual_ashrrev_i32 v43, 31, v43 :: v_dual_bitop2_b32 v10, s4, v10 bitop3:0x14
	v_bitop3_b32 v3, v3, v8, exec_lo bitop3:0x80
	v_cmp_gt_i32_e64 s7, 0, v51
	v_dual_ashrrev_i32 v8, 31, v47 :: v_dual_ashrrev_i32 v6, 31, v6
	v_xor_b32_e32 v11, s5, v11
	v_xor_b32_e32 v43, s6, v43
	v_bitop3_b32 v3, v3, v10, v9 bitop3:0x80
	s_delay_alu instid0(VALU_DEP_4) | instskip(SKIP_3) | instid1(VALU_DEP_1)
	v_xor_b32_e32 v8, s7, v8
	v_xor_b32_e32 v6, s8, v6
	ds_load_b32 v51, v54 offset:64
	v_bitop3_b32 v3, v3, v43, v11 bitop3:0x80
	; wave barrier
	v_bitop3_b32 v3, v3, v6, v8 bitop3:0x80
	s_delay_alu instid0(VALU_DEP_1) | instskip(SKIP_1) | instid1(VALU_DEP_2)
	v_mbcnt_lo_u32_b32 v53, v3, 0
	v_cmp_ne_u32_e64 s2, 0, v3
	v_cmp_eq_u32_e32 vcc_lo, 0, v53
	s_and_b32 s3, s2, vcc_lo
	s_delay_alu instid0(SALU_CYCLE_1)
	s_and_saveexec_b32 s2, s3
	s_cbranch_execz .LBB1433_45
; %bb.44:
	s_wait_dscnt 0x0
	v_bcnt_u32_b32 v3, v3, v51
	ds_store_b32 v54, v3 offset:64
.LBB1433_45:
	s_or_b32 exec_lo, exec_lo, s2
	v_cmp_lt_i32_e32 vcc_lo, -1, v5
	; wave barrier
	v_cndmask_b32_e64 v3, -1, 0x80000000, vcc_lo
	s_delay_alu instid0(VALU_DEP_1) | instskip(NEXT) | instid1(VALU_DEP_1)
	v_xor_b32_e32 v43, v3, v5
	v_cmp_ne_u32_e32 vcc_lo, 0x7fffffff, v43
	v_cndmask_b32_e32 v3, 0x80000000, v43, vcc_lo
	s_delay_alu instid0(VALU_DEP_1) | instskip(NEXT) | instid1(VALU_DEP_1)
	v_lshrrev_b32_e32 v3, s20, v3
	v_and_b32_e32 v5, s25, v3
	v_bitop3_b32 v3, v3, 1, s25 bitop3:0x80
	s_delay_alu instid0(VALU_DEP_2) | instskip(NEXT) | instid1(VALU_DEP_2)
	v_lshlrev_b32_e32 v8, 30, v5
	v_add_co_u32 v3, s2, v3, -1
	s_delay_alu instid0(VALU_DEP_1) | instskip(NEXT) | instid1(VALU_DEP_3)
	v_cndmask_b32_e64 v6, 0, 1, s2
	v_cmp_gt_i32_e64 s2, 0, v8
	s_delay_alu instid0(VALU_DEP_2) | instskip(SKIP_1) | instid1(VALU_DEP_1)
	v_cmp_ne_u32_e32 vcc_lo, 0, v6
	v_not_b32_e32 v6, v8
	v_dual_ashrrev_i32 v6, 31, v6 :: v_dual_lshlrev_b32 v9, 29, v5
	v_dual_lshlrev_b32 v10, 28, v5 :: v_dual_lshlrev_b32 v11, 27, v5
	v_lshlrev_b32_e32 v47, 26, v5
	v_mad_u32 v57, 0x44, v5, v2
	s_delay_alu instid0(VALU_DEP_4)
	v_cmp_gt_i32_e64 s3, 0, v9
	v_not_b32_e32 v8, v9
	v_not_b32_e32 v9, v10
	v_dual_lshlrev_b32 v55, 25, v5 :: v_dual_lshlrev_b32 v5, 24, v5
	v_cmp_gt_i32_e64 s4, 0, v10
	v_cmp_gt_i32_e64 s5, 0, v11
	v_not_b32_e32 v10, v11
	v_not_b32_e32 v11, v47
	v_dual_ashrrev_i32 v8, 31, v8 :: v_dual_bitop2_b32 v3, vcc_lo, v3 bitop3:0x14
	v_dual_ashrrev_i32 v9, 31, v9 :: v_dual_bitop2_b32 v6, s2, v6 bitop3:0x14
	v_cmp_gt_i32_e64 s6, 0, v47
	v_not_b32_e32 v47, v55
	v_cmp_gt_i32_e64 s8, 0, v5
	v_not_b32_e32 v5, v5
	v_dual_ashrrev_i32 v10, 31, v10 :: v_dual_ashrrev_i32 v11, 31, v11
	v_xor_b32_e32 v8, s3, v8
	v_xor_b32_e32 v9, s4, v9
	v_bitop3_b32 v3, v3, v6, exec_lo bitop3:0x80
	v_cmp_gt_i32_e64 s7, 0, v55
	v_dual_ashrrev_i32 v6, 31, v47 :: v_dual_ashrrev_i32 v5, 31, v5
	v_xor_b32_e32 v10, s5, v10
	v_xor_b32_e32 v11, s6, v11
	v_bitop3_b32 v3, v3, v9, v8 bitop3:0x80
	s_delay_alu instid0(VALU_DEP_4) | instskip(SKIP_3) | instid1(VALU_DEP_1)
	v_xor_b32_e32 v6, s7, v6
	v_xor_b32_e32 v5, s8, v5
	ds_load_b32 v55, v57 offset:64
	v_bitop3_b32 v3, v3, v11, v10 bitop3:0x80
	; wave barrier
	v_bitop3_b32 v3, v3, v5, v6 bitop3:0x80
	s_delay_alu instid0(VALU_DEP_1) | instskip(SKIP_1) | instid1(VALU_DEP_2)
	v_mbcnt_lo_u32_b32 v56, v3, 0
	v_cmp_ne_u32_e64 s2, 0, v3
	v_cmp_eq_u32_e32 vcc_lo, 0, v56
	s_and_b32 s3, s2, vcc_lo
	s_delay_alu instid0(SALU_CYCLE_1)
	s_and_saveexec_b32 s2, s3
	s_cbranch_execz .LBB1433_47
; %bb.46:
	s_wait_dscnt 0x0
	v_bcnt_u32_b32 v3, v3, v55
	ds_store_b32 v57, v3 offset:64
.LBB1433_47:
	s_or_b32 exec_lo, exec_lo, s2
	v_cmp_lt_i32_e32 vcc_lo, -1, v4
	; wave barrier
	v_cndmask_b32_e64 v3, -1, 0x80000000, vcc_lo
	s_delay_alu instid0(VALU_DEP_1) | instskip(NEXT) | instid1(VALU_DEP_1)
	v_xor_b32_e32 v47, v3, v4
	v_cmp_ne_u32_e32 vcc_lo, 0x7fffffff, v47
	v_cndmask_b32_e32 v3, 0x80000000, v47, vcc_lo
	s_delay_alu instid0(VALU_DEP_1) | instskip(NEXT) | instid1(VALU_DEP_1)
	v_lshrrev_b32_e32 v3, s20, v3
	v_and_b32_e32 v4, s25, v3
	v_bitop3_b32 v3, v3, 1, s25 bitop3:0x80
	s_delay_alu instid0(VALU_DEP_2) | instskip(NEXT) | instid1(VALU_DEP_2)
	v_mad_u32 v60, 0x44, v4, v2
	v_add_co_u32 v2, s2, v3, -1
	s_delay_alu instid0(VALU_DEP_1) | instskip(SKIP_1) | instid1(VALU_DEP_2)
	v_cndmask_b32_e64 v3, 0, 1, s2
	v_lshlrev_b32_e32 v5, 30, v4
	v_cmp_ne_u32_e32 vcc_lo, 0, v3
	s_delay_alu instid0(VALU_DEP_2)
	v_not_b32_e32 v3, v5
	ds_load_b32 v58, v60 offset:64
	; wave barrier
	v_dual_ashrrev_i32 v3, 31, v3 :: v_dual_lshlrev_b32 v6, 29, v4
	v_dual_lshlrev_b32 v8, 28, v4 :: v_dual_lshlrev_b32 v9, 27, v4
	v_lshlrev_b32_e32 v10, 26, v4
	v_cmp_gt_i32_e64 s2, 0, v5
	s_delay_alu instid0(VALU_DEP_4)
	v_cmp_gt_i32_e64 s3, 0, v6
	v_not_b32_e32 v5, v6
	v_not_b32_e32 v6, v8
	v_dual_lshlrev_b32 v11, 25, v4 :: v_dual_lshlrev_b32 v4, 24, v4
	v_cmp_gt_i32_e64 s4, 0, v8
	v_cmp_gt_i32_e64 s5, 0, v9
	v_not_b32_e32 v8, v9
	v_not_b32_e32 v9, v10
	v_dual_ashrrev_i32 v5, 31, v5 :: v_dual_bitop2_b32 v2, vcc_lo, v2 bitop3:0x14
	v_dual_ashrrev_i32 v6, 31, v6 :: v_dual_bitop2_b32 v3, s2, v3 bitop3:0x14
	v_cmp_gt_i32_e64 s6, 0, v10
	v_not_b32_e32 v10, v11
	v_cmp_gt_i32_e64 s8, 0, v4
	v_not_b32_e32 v4, v4
	v_dual_ashrrev_i32 v8, 31, v8 :: v_dual_ashrrev_i32 v9, 31, v9
	v_xor_b32_e32 v5, s3, v5
	s_delay_alu instid0(VALU_DEP_3) | instskip(SKIP_4) | instid1(VALU_DEP_4)
	v_dual_ashrrev_i32 v4, 31, v4 :: v_dual_bitop2_b32 v6, s4, v6 bitop3:0x14
	v_bitop3_b32 v2, v2, v3, exec_lo bitop3:0x80
	v_cmp_gt_i32_e64 s7, 0, v11
	v_dual_ashrrev_i32 v3, 31, v10 :: v_dual_bitop2_b32 v8, s5, v8 bitop3:0x14
	v_xor_b32_e32 v9, s6, v9
	v_bitop3_b32 v2, v2, v6, v5 bitop3:0x80
	v_xor_b32_e32 v4, s8, v4
	s_delay_alu instid0(VALU_DEP_4) | instskip(NEXT) | instid1(VALU_DEP_3)
	v_xor_b32_e32 v3, s7, v3
	v_bitop3_b32 v2, v2, v9, v8 bitop3:0x80
	s_delay_alu instid0(VALU_DEP_1) | instskip(NEXT) | instid1(VALU_DEP_1)
	v_bitop3_b32 v2, v2, v4, v3 bitop3:0x80
	v_mbcnt_lo_u32_b32 v59, v2, 0
	v_cmp_ne_u32_e64 s2, 0, v2
	s_delay_alu instid0(VALU_DEP_2) | instskip(SKIP_1) | instid1(SALU_CYCLE_1)
	v_cmp_eq_u32_e32 vcc_lo, 0, v59
	s_and_b32 s3, s2, vcc_lo
	s_and_saveexec_b32 s2, s3
	s_cbranch_execz .LBB1433_49
; %bb.48:
	s_wait_dscnt 0x0
	v_bcnt_u32_b32 v2, v2, v58
	ds_store_b32 v60, v2 offset:64
.LBB1433_49:
	s_or_b32 exec_lo, exec_lo, s2
	; wave barrier
	s_wait_dscnt 0x0
	s_barrier_signal -1
	s_barrier_wait -1
	ds_load_2addr_b32 v[10:11], v12 offset0:16 offset1:17
	ds_load_2addr_b32 v[8:9], v12 offset0:18 offset1:19
	ds_load_2addr_b32 v[4:5], v12 offset0:20 offset1:21
	ds_load_2addr_b32 v[2:3], v12 offset0:22 offset1:23
	ds_load_b32 v6, v12 offset:96
	v_min_u32_e32 v63, 0x1e0, v17
	s_mov_b32 s6, exec_lo
	s_delay_alu instid0(VALU_DEP_1) | instskip(SKIP_3) | instid1(VALU_DEP_1)
	v_or_b32_e32 v63, 31, v63
	s_wait_dscnt 0x3
	v_add3_u32 v61, v11, v10, v8
	s_wait_dscnt 0x2
	v_add3_u32 v61, v61, v9, v4
	s_wait_dscnt 0x1
	s_delay_alu instid0(VALU_DEP_1) | instskip(SKIP_1) | instid1(VALU_DEP_1)
	v_add3_u32 v61, v61, v5, v2
	s_wait_dscnt 0x0
	v_add3_u32 v6, v61, v3, v6
	v_and_b32_e32 v61, 15, v16
	s_delay_alu instid0(VALU_DEP_2) | instskip(NEXT) | instid1(VALU_DEP_2)
	v_mov_b32_dpp v62, v6 row_shr:1 row_mask:0xf bank_mask:0xf
	v_cmp_eq_u32_e32 vcc_lo, 0, v61
	s_delay_alu instid0(VALU_DEP_2) | instskip(NEXT) | instid1(VALU_DEP_1)
	v_cndmask_b32_e64 v62, v62, 0, vcc_lo
	v_add_nc_u32_e32 v6, v62, v6
	v_cmp_lt_u32_e64 s2, 1, v61
	v_cmp_lt_u32_e64 s3, 3, v61
	;; [unrolled: 1-line block ×3, first 2 shown]
	s_delay_alu instid0(VALU_DEP_4) | instskip(NEXT) | instid1(VALU_DEP_1)
	v_mov_b32_dpp v62, v6 row_shr:2 row_mask:0xf bank_mask:0xf
	v_cndmask_b32_e64 v62, 0, v62, s2
	s_delay_alu instid0(VALU_DEP_1) | instskip(NEXT) | instid1(VALU_DEP_1)
	v_add_nc_u32_e32 v6, v6, v62
	v_mov_b32_dpp v62, v6 row_shr:4 row_mask:0xf bank_mask:0xf
	s_delay_alu instid0(VALU_DEP_1) | instskip(NEXT) | instid1(VALU_DEP_1)
	v_cndmask_b32_e64 v62, 0, v62, s3
	v_add_nc_u32_e32 v6, v6, v62
	s_delay_alu instid0(VALU_DEP_1) | instskip(NEXT) | instid1(VALU_DEP_1)
	v_mov_b32_dpp v62, v6 row_shr:8 row_mask:0xf bank_mask:0xf
	v_cndmask_b32_e64 v61, 0, v62, s4
	v_bfe_i32 v62, v16, 4, 1
	s_delay_alu instid0(VALU_DEP_2) | instskip(SKIP_4) | instid1(VALU_DEP_2)
	v_add_nc_u32_e32 v6, v6, v61
	ds_swizzle_b32 v61, v6 offset:swizzle(BROADCAST,32,15)
	s_wait_dscnt 0x0
	v_and_b32_e32 v61, v62, v61
	v_lshrrev_b32_e32 v62, 5, v1
	v_add_nc_u32_e32 v61, v6, v61
	v_cmpx_eq_u32_e64 v1, v63
; %bb.50:
	s_delay_alu instid0(VALU_DEP_3)
	v_lshlrev_b32_e32 v6, 2, v62
	ds_store_b32 v6, v61
; %bb.51:
	s_or_b32 exec_lo, exec_lo, s6
	v_lshlrev_b32_e32 v6, 2, v1
	s_mov_b32 s6, exec_lo
	s_wait_dscnt 0x0
	s_barrier_signal -1
	s_barrier_wait -1
	v_cmpx_gt_u32_e32 16, v1
	s_cbranch_execz .LBB1433_53
; %bb.52:
	ds_load_b32 v63, v6
	s_wait_dscnt 0x0
	v_mov_b32_dpp v64, v63 row_shr:1 row_mask:0xf bank_mask:0xf
	s_delay_alu instid0(VALU_DEP_1) | instskip(NEXT) | instid1(VALU_DEP_1)
	v_cndmask_b32_e64 v64, v64, 0, vcc_lo
	v_add_nc_u32_e32 v63, v64, v63
	s_delay_alu instid0(VALU_DEP_1) | instskip(NEXT) | instid1(VALU_DEP_1)
	v_mov_b32_dpp v64, v63 row_shr:2 row_mask:0xf bank_mask:0xf
	v_cndmask_b32_e64 v64, 0, v64, s2
	s_delay_alu instid0(VALU_DEP_1) | instskip(NEXT) | instid1(VALU_DEP_1)
	v_add_nc_u32_e32 v63, v63, v64
	v_mov_b32_dpp v64, v63 row_shr:4 row_mask:0xf bank_mask:0xf
	s_delay_alu instid0(VALU_DEP_1) | instskip(NEXT) | instid1(VALU_DEP_1)
	v_cndmask_b32_e64 v64, 0, v64, s3
	v_add_nc_u32_e32 v63, v63, v64
	s_delay_alu instid0(VALU_DEP_1) | instskip(NEXT) | instid1(VALU_DEP_1)
	v_mov_b32_dpp v64, v63 row_shr:8 row_mask:0xf bank_mask:0xf
	v_cndmask_b32_e64 v64, 0, v64, s4
	s_delay_alu instid0(VALU_DEP_1)
	v_add_nc_u32_e32 v63, v63, v64
	ds_store_b32 v6, v63
.LBB1433_53:
	s_or_b32 exec_lo, exec_lo, s6
	v_mov_b32_e32 v63, 0
	s_mov_b32 s2, exec_lo
	s_wait_dscnt 0x0
	s_barrier_signal -1
	s_barrier_wait -1
	v_cmpx_lt_u32_e32 31, v1
; %bb.54:
	v_lshl_add_u32 v62, v62, 2, -4
	ds_load_b32 v63, v62
; %bb.55:
	s_or_b32 exec_lo, exec_lo, s2
	v_sub_co_u32 v62, vcc_lo, v16, 1
	s_wait_dscnt 0x0
	v_add_nc_u32_e32 v61, v63, v61
	s_delay_alu instid0(VALU_DEP_2) | instskip(NEXT) | instid1(VALU_DEP_1)
	v_cmp_gt_i32_e64 s2, 0, v62
	v_cndmask_b32_e64 v62, v62, v16, s2
	v_cmp_lt_u32_e64 s2, 0xff, v1
	s_delay_alu instid0(VALU_DEP_2) | instskip(SKIP_4) | instid1(VALU_DEP_2)
	v_lshlrev_b32_e32 v62, 2, v62
	ds_bpermute_b32 v61, v62, v61
	s_wait_dscnt 0x0
	v_cndmask_b32_e32 v61, v61, v63, vcc_lo
	v_cmp_ne_u32_e32 vcc_lo, 0, v1
	v_cndmask_b32_e32 v61, 0, v61, vcc_lo
	v_cmp_gt_u32_e32 vcc_lo, 0x100, v1
	s_delay_alu instid0(VALU_DEP_2) | instskip(NEXT) | instid1(VALU_DEP_1)
	v_add_nc_u32_e32 v10, v61, v10
	v_add_nc_u32_e32 v11, v10, v11
	s_delay_alu instid0(VALU_DEP_1) | instskip(NEXT) | instid1(VALU_DEP_1)
	v_add_nc_u32_e32 v8, v11, v8
	v_add_nc_u32_e32 v9, v8, v9
	s_delay_alu instid0(VALU_DEP_1) | instskip(NEXT) | instid1(VALU_DEP_1)
	;; [unrolled: 3-line block ×3, first 2 shown]
	v_add_nc_u32_e32 v2, v5, v2
	v_add_nc_u32_e32 v3, v2, v3
	ds_store_2addr_b32 v12, v61, v10 offset0:16 offset1:17
	ds_store_2addr_b32 v12, v11, v8 offset0:18 offset1:19
	;; [unrolled: 1-line block ×4, first 2 shown]
	ds_store_b32 v12, v3 offset:96
	s_wait_dscnt 0x0
	s_barrier_signal -1
	s_barrier_wait -1
	ds_load_b32 v63, v13 offset:64
	ds_load_b32 v61, v14 offset:64
	;; [unrolled: 1-line block ×12, first 2 shown]
	v_mov_b64_e32 v[2:3], 0
                                        ; implicit-def: $vgpr4
	s_and_saveexec_b32 s4, vcc_lo
	s_cbranch_execz .LBB1433_59
; %bb.56:
	v_mul_u32_u24_e32 v2, 0x44, v1
	v_dual_mov_b32 v3, 0x1800 :: v_dual_add_nc_u32 v4, 1, v1
	s_mov_b32 s5, exec_lo
	ds_load_b32 v2, v2 offset:64
	v_cmpx_ne_u32_e32 0x100, v4
; %bb.57:
	v_mul_u32_u24_e32 v3, 0x44, v4
	ds_load_b32 v3, v3 offset:64
; %bb.58:
	s_or_b32 exec_lo, exec_lo, s5
	s_wait_dscnt 0x0
	v_dual_mov_b32 v3, 0 :: v_dual_sub_nc_u32 v4, v3, v2
.LBB1433_59:
	s_or_b32 exec_lo, exec_lo, s4
	v_dual_mov_b32 v9, 0 :: v_dual_lshlrev_b32 v5, 3, v1
	s_wait_dscnt 0x0
	s_barrier_signal -1
	s_barrier_wait -1
	s_and_saveexec_b32 s3, vcc_lo
	s_cbranch_execz .LBB1433_69
; %bb.60:
	v_lshl_add_u32 v8, s9, 8, v1
	v_dual_mov_b32 v12, 0 :: v_dual_bitop2_b32 v13, 2.0, v4 bitop3:0x54
	s_mov_b32 s4, 0
	s_mov_b32 s5, s9
	s_delay_alu instid0(VALU_DEP_2)
	v_lshl_add_u64 v[10:11], v[8:9], 2, s[10:11]
	global_store_b32 v8, v13, s[10:11] scale_offset scope:SCOPE_DEV
                                        ; implicit-def: $sgpr6
	s_branch .LBB1433_63
.LBB1433_61:                            ;   in Loop: Header=BB1433_63 Depth=1
	s_or_b32 exec_lo, exec_lo, s7
.LBB1433_62:                            ;   in Loop: Header=BB1433_63 Depth=1
	s_delay_alu instid0(SALU_CYCLE_1) | instskip(SKIP_2) | instid1(VALU_DEP_2)
	s_or_b32 exec_lo, exec_lo, s6
	v_and_b32_e32 v8, 0x3fffffff, v13
	v_cmp_gt_i32_e64 s6, -2.0, v13
	v_add_nc_u32_e32 v12, v8, v12
	s_and_b32 s7, exec_lo, s6
	s_delay_alu instid0(SALU_CYCLE_1) | instskip(NEXT) | instid1(SALU_CYCLE_1)
	s_or_b32 s4, s7, s4
	s_and_not1_b32 exec_lo, exec_lo, s4
	s_cbranch_execz .LBB1433_68
.LBB1433_63:                            ; =>This Loop Header: Depth=1
                                        ;     Child Loop BB1433_66 Depth 2
	s_or_b32 s6, s6, exec_lo
	s_cmp_eq_u32 s5, 0
	s_cbranch_scc1 .LBB1433_67
; %bb.64:                               ;   in Loop: Header=BB1433_63 Depth=1
	s_add_co_i32 s5, s5, -1
	s_mov_b32 s6, exec_lo
	s_wait_xcnt 0x0
	v_lshl_or_b32 v8, s5, 8, v1
	global_load_b32 v13, v8, s[10:11] scale_offset scope:SCOPE_DEV
	s_wait_loadcnt 0x0
	v_cmpx_gt_u32_e32 2.0, v13
	s_cbranch_execz .LBB1433_62
; %bb.65:                               ;   in Loop: Header=BB1433_63 Depth=1
	v_lshl_add_u64 v[14:15], v[8:9], 2, s[10:11]
	s_mov_b32 s7, 0
.LBB1433_66:                            ;   Parent Loop BB1433_63 Depth=1
                                        ; =>  This Inner Loop Header: Depth=2
	global_load_b32 v13, v[14:15], off scope:SCOPE_DEV
	s_wait_loadcnt 0x0
	v_cmp_lt_u32_e32 vcc_lo, 0x3fffffff, v13
	s_or_b32 s7, vcc_lo, s7
	s_wait_xcnt 0x0
	s_and_not1_b32 exec_lo, exec_lo, s7
	s_cbranch_execnz .LBB1433_66
	s_branch .LBB1433_61
.LBB1433_67:                            ;   in Loop: Header=BB1433_63 Depth=1
                                        ; implicit-def: $sgpr5
	s_and_b32 s7, exec_lo, s6
	s_delay_alu instid0(SALU_CYCLE_1)
	s_or_b32 s4, s7, s4
	s_wait_xcnt 0x0
	s_and_not1_b32 exec_lo, exec_lo, s4
	s_cbranch_execnz .LBB1433_63
.LBB1433_68:
	s_or_b32 exec_lo, exec_lo, s4
	v_dual_mov_b32 v13, 0 :: v_dual_add_nc_u32 v8, v12, v4
	s_delay_alu instid0(VALU_DEP_1) | instskip(SKIP_4) | instid1(VALU_DEP_1)
	v_or_b32_e32 v8, 0x80000000, v8
	global_store_b32 v[10:11], v8, off scope:SCOPE_DEV
	global_load_b64 v[8:9], v1, s[12:13] scale_offset
	v_sub_nc_u64_e32 v[10:11], v[12:13], v[2:3]
	s_wait_loadcnt 0x0
	v_add_nc_u64_e32 v[8:9], v[10:11], v[8:9]
	ds_store_b64 v5, v[8:9]
.LBB1433_69:
	s_wait_xcnt 0x0
	s_or_b32 exec_lo, exec_lo, s3
	v_dual_add_nc_u32 v8, v63, v7 :: v_dual_sub_nc_u32 v63, 0, v6
	v_mov_b32_e32 v7, 0
	v_add3_u32 v23, v24, v61, v23
	v_add_nc_u32_e32 v24, 0xe00, v1
	v_add3_u32 v9, v59, v60, v58
	v_add3_u32 v10, v56, v57, v55
	v_add_nc_u64_e32 v[6:7], s[18:19], v[6:7]
	v_add3_u32 v11, v53, v54, v51
	v_add3_u32 v12, v50, v52, v48
	;; [unrolled: 1-line block ×6, first 2 shown]
	v_add_nc_u64_e32 v[6:7], 0x3800, v[6:7]
	v_add3_u32 v29, v30, v34, v29
	v_add3_u32 v26, v27, v62, v26
	v_add_nc_u32_e32 v27, v5, v63
	s_mov_b32 s3, 0
	s_mov_b32 s4, -1
	s_branch .LBB1433_71
.LBB1433_70:                            ;   in Loop: Header=BB1433_71 Depth=1
	s_wait_xcnt 0x0
	s_or_b32 exec_lo, exec_lo, s5
	v_add_nc_u64_e32 v[6:7], 0x4000, v[6:7]
	v_add_nc_u32_e32 v24, 0x1000, v24
	s_xor_b32 s4, s4, -1
	s_addk_co_i32 s3, 0xf000
	s_and_b32 vcc_lo, exec_lo, s4
	s_mov_b32 s4, 0
	s_wait_storecnt 0x0
	s_barrier_signal -1
	s_barrier_wait -1
	s_cbranch_vccnz .LBB1433_87
.LBB1433_71:                            ; =>This Inner Loop Header: Depth=1
	v_add_min_u32_e64 v30, v8, s3, 0x1000
	v_add_min_u32_e64 v33, v23, s3, 0x1000
	;; [unrolled: 1-line block ×5, first 2 shown]
	s_delay_alu instid0(VALU_DEP_4) | instskip(NEXT) | instid1(VALU_DEP_4)
	v_dual_lshlrev_b32 v30, 2, v30 :: v_dual_lshlrev_b32 v33, 2, v33
	v_lshlrev_b32_e32 v34, 2, v34
	v_add_min_u32_e64 v38, v15, s3, 0x1000
	s_mov_b32 s5, exec_lo
	ds_store_b32 v30, v18 offset:2048
	ds_store_b32 v33, v19 offset:2048
	v_add_min_u32_e64 v30, v14, s3, 0x1000
	v_lshlrev_b32_e32 v33, 2, v36
	ds_store_b32 v34, v20 offset:2048
	v_dual_lshlrev_b32 v34, 2, v37 :: v_dual_lshlrev_b32 v36, 2, v38
	v_add_min_u32_e64 v37, v13, s3, 0x1000
	v_lshlrev_b32_e32 v30, 2, v30
	ds_store_b32 v33, v21 offset:2048
	ds_store_b32 v34, v22 offset:2048
	;; [unrolled: 1-line block ×4, first 2 shown]
	v_add_min_u32_e64 v33, v12, s3, 0x1000
	v_add_min_u32_e64 v34, v11, s3, 0x1000
	v_lshlrev_b32_e32 v30, 2, v37
	v_add_min_u32_e64 v36, v10, s3, 0x1000
	v_add_min_u32_e64 v37, v9, s3, 0x1000
	ds_store_b32 v30, v31 offset:2048
	v_dual_lshlrev_b32 v30, 2, v33 :: v_dual_lshlrev_b32 v33, 2, v34
	v_dual_lshlrev_b32 v34, 2, v36 :: v_dual_lshlrev_b32 v36, 2, v37
	v_add_nc_u32_e32 v37, 0xfffff200, v24
	ds_store_b32 v30, v35 offset:2048
	ds_store_b32 v33, v39 offset:2048
	;; [unrolled: 1-line block ×4, first 2 shown]
	s_wait_storecnt_dscnt 0x0
	s_barrier_signal -1
	s_barrier_wait -1
	v_cmpx_gt_u32_e64 s22, v37
	s_cbranch_execz .LBB1433_73
; %bb.72:                               ;   in Loop: Header=BB1433_71 Depth=1
	ds_load_b32 v30, v27 offset:2048
	s_wait_dscnt 0x0
	v_cmp_ne_u32_e32 vcc_lo, 0x7fffffff, v30
	v_cndmask_b32_e32 v33, 0x80000000, v30, vcc_lo
	v_cmp_lt_i32_e32 vcc_lo, -1, v30
	s_delay_alu instid0(VALU_DEP_2) | instskip(NEXT) | instid1(VALU_DEP_1)
	v_lshrrev_b32_e32 v33, s20, v33
	v_and_b32_e32 v33, s25, v33
	s_delay_alu instid0(VALU_DEP_1) | instskip(SKIP_2) | instid1(VALU_DEP_1)
	v_lshlrev_b32_e32 v33, 3, v33
	ds_load_b64 v[36:37], v33
	v_cndmask_b32_e64 v33, 0x80000000, -1, vcc_lo
	v_xor_b32_e32 v30, v33, v30
	s_wait_dscnt 0x0
	v_lshl_add_u64 v[36:37], v[36:37], 2, v[6:7]
	global_store_b32 v[36:37], v30, off offset:-14336
.LBB1433_73:                            ;   in Loop: Header=BB1433_71 Depth=1
	s_wait_xcnt 0x0
	s_or_b32 exec_lo, exec_lo, s5
	v_add_nc_u32_e32 v30, 0xfffff400, v24
	s_mov_b32 s5, exec_lo
	s_delay_alu instid0(VALU_DEP_1)
	v_cmpx_gt_u32_e64 s22, v30
	s_cbranch_execz .LBB1433_75
; %bb.74:                               ;   in Loop: Header=BB1433_71 Depth=1
	ds_load_b32 v30, v27 offset:4096
	s_wait_dscnt 0x0
	v_cmp_ne_u32_e32 vcc_lo, 0x7fffffff, v30
	v_cndmask_b32_e32 v33, 0x80000000, v30, vcc_lo
	v_cmp_lt_i32_e32 vcc_lo, -1, v30
	s_delay_alu instid0(VALU_DEP_2) | instskip(NEXT) | instid1(VALU_DEP_1)
	v_lshrrev_b32_e32 v33, s20, v33
	v_and_b32_e32 v33, s25, v33
	s_delay_alu instid0(VALU_DEP_1) | instskip(SKIP_2) | instid1(VALU_DEP_1)
	v_lshlrev_b32_e32 v33, 3, v33
	ds_load_b64 v[36:37], v33
	v_cndmask_b32_e64 v33, 0x80000000, -1, vcc_lo
	v_xor_b32_e32 v30, v33, v30
	s_wait_dscnt 0x0
	v_lshl_add_u64 v[36:37], v[36:37], 2, v[6:7]
	global_store_b32 v[36:37], v30, off offset:-12288
.LBB1433_75:                            ;   in Loop: Header=BB1433_71 Depth=1
	s_wait_xcnt 0x0
	s_or_b32 exec_lo, exec_lo, s5
	v_add_nc_u32_e32 v30, 0xfffff600, v24
	s_mov_b32 s5, exec_lo
	s_delay_alu instid0(VALU_DEP_1)
	;; [unrolled: 25-line block ×6, first 2 shown]
	v_cmpx_gt_u32_e64 s22, v30
	s_cbranch_execz .LBB1433_85
; %bb.84:                               ;   in Loop: Header=BB1433_71 Depth=1
	ds_load_b32 v30, v27 offset:14336
	s_wait_dscnt 0x0
	v_cmp_ne_u32_e32 vcc_lo, 0x7fffffff, v30
	v_cndmask_b32_e32 v33, 0x80000000, v30, vcc_lo
	v_cmp_lt_i32_e32 vcc_lo, -1, v30
	s_delay_alu instid0(VALU_DEP_2) | instskip(NEXT) | instid1(VALU_DEP_1)
	v_lshrrev_b32_e32 v33, s20, v33
	v_and_b32_e32 v33, s25, v33
	s_delay_alu instid0(VALU_DEP_1) | instskip(SKIP_2) | instid1(VALU_DEP_1)
	v_lshlrev_b32_e32 v33, 3, v33
	ds_load_b64 v[36:37], v33
	v_cndmask_b32_e64 v33, 0x80000000, -1, vcc_lo
	v_xor_b32_e32 v30, v33, v30
	s_wait_dscnt 0x0
	v_lshl_add_u64 v[36:37], v[36:37], 2, v[6:7]
	global_store_b32 v[36:37], v30, off offset:-2048
.LBB1433_85:                            ;   in Loop: Header=BB1433_71 Depth=1
	s_wait_xcnt 0x0
	s_or_b32 exec_lo, exec_lo, s5
	s_delay_alu instid0(SALU_CYCLE_1)
	s_mov_b32 s5, exec_lo
	v_cmpx_gt_u32_e64 s22, v24
	s_cbranch_execz .LBB1433_70
; %bb.86:                               ;   in Loop: Header=BB1433_71 Depth=1
	ds_load_b32 v30, v27 offset:16384
	s_wait_dscnt 0x0
	v_cmp_ne_u32_e32 vcc_lo, 0x7fffffff, v30
	v_cndmask_b32_e32 v33, 0x80000000, v30, vcc_lo
	v_cmp_lt_i32_e32 vcc_lo, -1, v30
	s_delay_alu instid0(VALU_DEP_2) | instskip(NEXT) | instid1(VALU_DEP_1)
	v_lshrrev_b32_e32 v33, s20, v33
	v_and_b32_e32 v33, s25, v33
	s_delay_alu instid0(VALU_DEP_1) | instskip(SKIP_2) | instid1(VALU_DEP_1)
	v_lshlrev_b32_e32 v33, 3, v33
	ds_load_b64 v[36:37], v33
	v_cndmask_b32_e64 v33, 0x80000000, -1, vcc_lo
	v_xor_b32_e32 v30, v33, v30
	s_wait_dscnt 0x0
	v_lshl_add_u64 v[36:37], v[36:37], 2, v[6:7]
	global_store_b32 v[36:37], v30, off
	s_branch .LBB1433_70
.LBB1433_87:
	s_add_co_i32 s23, s23, -1
	s_delay_alu instid0(SALU_CYCLE_1) | instskip(SKIP_2) | instid1(SALU_CYCLE_1)
	s_cmp_eq_u32 s9, s23
	s_cselect_b32 s3, -1, 0
	s_xor_b32 s2, s2, -1
	s_and_b32 s3, s2, s3
	s_delay_alu instid0(SALU_CYCLE_1)
	s_and_saveexec_b32 s2, s3
	s_cbranch_execz .LBB1433_89
; %bb.88:
	ds_load_b64 v[6:7], v5
	v_mov_b32_e32 v5, 0
	s_delay_alu instid0(VALU_DEP_1) | instskip(SKIP_1) | instid1(VALU_DEP_1)
	v_add_nc_u64_e32 v[2:3], v[2:3], v[4:5]
	s_wait_dscnt 0x0
	v_add_nc_u64_e32 v[2:3], v[2:3], v[6:7]
	global_store_b64 v1, v[2:3], s[14:15] scale_offset
.LBB1433_89:
	s_wait_xcnt 0x0
	s_or_b32 exec_lo, exec_lo, s2
	s_mov_b32 s2, 0
.LBB1433_90:
	s_delay_alu instid0(SALU_CYCLE_1)
	s_and_b32 vcc_lo, exec_lo, s2
	s_cbranch_vccz .LBB1433_149
; %bb.91:
	s_mov_b32 s25, 0
	v_dual_mov_b32 v11, 0 :: v_dual_lshlrev_b32 v10, 2, v16
	s_lshl_b64 s[2:3], s[24:25], 2
	v_mul_u32_u24_e32 v1, 12, v17
	s_add_nc_u64 s[2:3], s[16:17], s[2:3]
	v_bfe_u32 v18, v0, 20, 10
	v_add_nc_u64_e32 v[2:3], s[2:3], v[10:11]
	s_delay_alu instid0(VALU_DEP_3) | instskip(NEXT) | instid1(VALU_DEP_1)
	v_lshlrev_b32_e32 v10, 2, v1
	v_add_nc_u64_e32 v[14:15], v[2:3], v[10:11]
	s_clause 0xb
	global_load_b32 v5, v[14:15], off
	global_load_b32 v12, v[14:15], off offset:128
	global_load_b32 v13, v[14:15], off offset:256
	;; [unrolled: 1-line block ×11, first 2 shown]
	s_clause 0x1
	s_load_b32 s7, s[0:1], 0x58
	s_load_u16 s2, s[0:1], 0x66
	v_and_b32_e32 v15, 0x3ff, v0
	s_wait_kmcnt 0x0
	s_cmp_lt_u32 s9, s7
	s_cselect_b32 s24, 12, 18
	s_lshl_b32 s8, -1, s21
	s_add_nc_u64 s[0:1], s[26:27], s[24:25]
	s_load_u16 s0, s[0:1], 0x0
	s_wait_loadcnt 0xb
	v_cmp_lt_i32_e32 vcc_lo, -1, v5
	v_cndmask_b32_e64 v10, -1, 0x80000000, vcc_lo
	s_delay_alu instid0(VALU_DEP_1) | instskip(SKIP_1) | instid1(VALU_DEP_2)
	v_xor_b32_e32 v14, v10, v5
	v_bfe_u32 v10, v0, 10, 10
	v_cmp_ne_u32_e32 vcc_lo, 0x7fffffff, v14
	s_delay_alu instid0(VALU_DEP_2) | instskip(SKIP_2) | instid1(VALU_DEP_2)
	v_mad_u32_u24 v0, v18, s2, v10
	v_cndmask_b32_e32 v5, 0x80000000, v14, vcc_lo
	s_wait_kmcnt 0x0
	v_mad_u32 v0, v0, s0, v15
	s_delay_alu instid0(VALU_DEP_2) | instskip(NEXT) | instid1(VALU_DEP_1)
	v_lshrrev_b32_e32 v5, s20, v5
	v_bitop3_b32 v10, v5, 1, s8 bitop3:0x40
	v_bitop3_b32 v19, v5, s8, v5 bitop3:0x30
	s_not_b32 s8, s8
	s_delay_alu instid0(VALU_DEP_4) | instskip(NEXT) | instid1(VALU_DEP_3)
	v_lshrrev_b32_e32 v0, 5, v0
	v_add_co_u32 v5, s0, v10, -1
	s_delay_alu instid0(VALU_DEP_1) | instskip(SKIP_2) | instid1(VALU_DEP_3)
	v_cndmask_b32_e64 v10, 0, 1, s0
	v_dual_lshlrev_b32 v18, 30, v19 :: v_dual_lshlrev_b32 v21, 29, v19
	v_dual_lshlrev_b32 v22, 28, v19 :: v_dual_lshlrev_b32 v23, 27, v19
	v_cmp_ne_u32_e32 vcc_lo, 0, v10
	s_delay_alu instid0(VALU_DEP_3)
	v_not_b32_e32 v10, v18
	v_dual_lshlrev_b32 v24, 26, v19 :: v_dual_lshlrev_b32 v25, 25, v19
	v_lshlrev_b32_e32 v26, 24, v19
	v_cmp_gt_i32_e64 s0, 0, v18
	v_cmp_gt_i32_e64 s1, 0, v21
	v_not_b32_e32 v18, v21
	v_not_b32_e32 v21, v22
	v_ashrrev_i32_e32 v10, 31, v10
	v_cmp_gt_i32_e64 s2, 0, v22
	v_cmp_gt_i32_e64 s3, 0, v23
	v_not_b32_e32 v22, v23
	v_not_b32_e32 v23, v24
	v_dual_ashrrev_i32 v18, 31, v18 :: v_dual_bitop2_b32 v5, vcc_lo, v5 bitop3:0x14
	v_dual_ashrrev_i32 v21, 31, v21 :: v_dual_bitop2_b32 v10, s0, v10 bitop3:0x14
	v_cmp_gt_i32_e64 s4, 0, v24
	v_cmp_gt_i32_e64 s5, 0, v25
	v_not_b32_e32 v24, v25
	v_not_b32_e32 v25, v26
	v_dual_ashrrev_i32 v22, 31, v22 :: v_dual_ashrrev_i32 v23, 31, v23
	v_xor_b32_e32 v18, s1, v18
	v_xor_b32_e32 v21, s2, v21
	v_bitop3_b32 v5, v5, v10, exec_lo bitop3:0x80
	v_cmp_gt_i32_e64 s6, 0, v26
	v_dual_ashrrev_i32 v10, 31, v24 :: v_dual_ashrrev_i32 v24, 31, v25
	v_xor_b32_e32 v22, s3, v22
	v_dual_lshlrev_b32 v0, 2, v0 :: v_dual_bitop2_b32 v23, s4, v23 bitop3:0x14
	v_bitop3_b32 v5, v5, v21, v18 bitop3:0x80
	s_delay_alu instid0(VALU_DEP_4)
	v_xor_b32_e32 v18, s5, v10
	v_xor_b32_e32 v21, s6, v24
	v_mul_u32_u24_e32 v10, 36, v15
	ds_store_2addr_b32 v10, v11, v11 offset0:16 offset1:17
	ds_store_2addr_b32 v10, v11, v11 offset0:18 offset1:19
	;; [unrolled: 1-line block ×4, first 2 shown]
	v_bitop3_b32 v5, v5, v23, v22 bitop3:0x80
	ds_store_b32 v10, v11 offset:96
	v_mad_u32 v11, 0x44, v19, v0
	s_wait_storecnt 0x0
	s_wait_loadcnt_dscnt 0x0
	s_barrier_signal -1
	v_bitop3_b32 v18, v5, v21, v18 bitop3:0x80
	s_barrier_wait -1
	; wave barrier
	s_delay_alu instid0(VALU_DEP_1) | instskip(SKIP_1) | instid1(VALU_DEP_2)
	v_mbcnt_lo_u32_b32 v5, v18, 0
	v_cmp_ne_u32_e64 s0, 0, v18
	v_cmp_eq_u32_e32 vcc_lo, 0, v5
	s_and_b32 s1, s0, vcc_lo
	s_delay_alu instid0(SALU_CYCLE_1)
	s_and_saveexec_b32 s0, s1
; %bb.92:
	v_bcnt_u32_b32 v18, v18, 0
	ds_store_b32 v11, v18 offset:64
; %bb.93:
	s_or_b32 exec_lo, exec_lo, s0
	v_cmp_lt_i32_e32 vcc_lo, -1, v12
	; wave barrier
	v_cndmask_b32_e64 v18, -1, 0x80000000, vcc_lo
	s_delay_alu instid0(VALU_DEP_1) | instskip(NEXT) | instid1(VALU_DEP_1)
	v_xor_b32_e32 v18, v18, v12
	v_cmp_ne_u32_e32 vcc_lo, 0x7fffffff, v18
	v_cndmask_b32_e32 v12, 0x80000000, v18, vcc_lo
	s_delay_alu instid0(VALU_DEP_1) | instskip(NEXT) | instid1(VALU_DEP_1)
	v_lshrrev_b32_e32 v12, s20, v12
	v_bitop3_b32 v21, v12, 1, s8 bitop3:0x80
	v_and_b32_e32 v19, s8, v12
	s_delay_alu instid0(VALU_DEP_2) | instskip(NEXT) | instid1(VALU_DEP_1)
	v_add_co_u32 v21, s0, v21, -1
	v_cndmask_b32_e64 v22, 0, 1, s0
	s_delay_alu instid0(VALU_DEP_3) | instskip(NEXT) | instid1(VALU_DEP_2)
	v_lshlrev_b32_e32 v23, 30, v19
	v_cmp_ne_u32_e32 vcc_lo, 0, v22
	s_delay_alu instid0(VALU_DEP_2) | instskip(SKIP_1) | instid1(VALU_DEP_2)
	v_not_b32_e32 v22, v23
	v_cmp_gt_i32_e64 s0, 0, v23
	v_dual_ashrrev_i32 v22, 31, v22 :: v_dual_lshlrev_b32 v24, 29, v19
	v_dual_lshlrev_b32 v25, 28, v19 :: v_dual_lshlrev_b32 v26, 27, v19
	v_lshlrev_b32_e32 v27, 26, v19
	v_mad_u32 v12, 0x44, v19, v0
	s_delay_alu instid0(VALU_DEP_4)
	v_cmp_gt_i32_e64 s1, 0, v24
	v_not_b32_e32 v23, v24
	v_not_b32_e32 v24, v25
	v_dual_lshlrev_b32 v28, 25, v19 :: v_dual_lshlrev_b32 v19, 24, v19
	v_cmp_gt_i32_e64 s2, 0, v25
	v_cmp_gt_i32_e64 s3, 0, v26
	v_not_b32_e32 v25, v26
	v_not_b32_e32 v26, v27
	v_dual_ashrrev_i32 v23, 31, v23 :: v_dual_bitop2_b32 v21, vcc_lo, v21 bitop3:0x14
	v_dual_ashrrev_i32 v24, 31, v24 :: v_dual_bitop2_b32 v22, s0, v22 bitop3:0x14
	v_cmp_gt_i32_e64 s4, 0, v27
	v_not_b32_e32 v27, v28
	v_cmp_gt_i32_e64 s6, 0, v19
	v_not_b32_e32 v19, v19
	v_dual_ashrrev_i32 v25, 31, v25 :: v_dual_ashrrev_i32 v26, 31, v26
	v_xor_b32_e32 v23, s1, v23
	v_xor_b32_e32 v24, s2, v24
	v_bitop3_b32 v21, v21, v22, exec_lo bitop3:0x80
	v_cmp_gt_i32_e64 s5, 0, v28
	v_ashrrev_i32_e32 v22, 31, v27
	v_dual_ashrrev_i32 v19, 31, v19 :: v_dual_bitop2_b32 v25, s3, v25 bitop3:0x14
	v_xor_b32_e32 v26, s4, v26
	v_bitop3_b32 v21, v21, v24, v23 bitop3:0x80
	s_delay_alu instid0(VALU_DEP_4) | instskip(NEXT) | instid1(VALU_DEP_4)
	v_xor_b32_e32 v23, s5, v22
	v_xor_b32_e32 v19, s6, v19
	ds_load_b32 v22, v12 offset:64
	v_bitop3_b32 v21, v21, v26, v25 bitop3:0x80
	; wave barrier
	s_delay_alu instid0(VALU_DEP_1) | instskip(NEXT) | instid1(VALU_DEP_1)
	v_bitop3_b32 v19, v21, v19, v23 bitop3:0x80
	v_mbcnt_lo_u32_b32 v23, v19, 0
	v_cmp_ne_u32_e64 s0, 0, v19
	s_delay_alu instid0(VALU_DEP_2) | instskip(SKIP_1) | instid1(SALU_CYCLE_1)
	v_cmp_eq_u32_e32 vcc_lo, 0, v23
	s_and_b32 s1, s0, vcc_lo
	s_and_saveexec_b32 s0, s1
	s_cbranch_execz .LBB1433_95
; %bb.94:
	s_wait_dscnt 0x0
	v_bcnt_u32_b32 v19, v19, v22
	ds_store_b32 v12, v19 offset:64
.LBB1433_95:
	s_or_b32 exec_lo, exec_lo, s0
	v_cmp_lt_i32_e32 vcc_lo, -1, v13
	; wave barrier
	v_cndmask_b32_e64 v19, -1, 0x80000000, vcc_lo
	s_delay_alu instid0(VALU_DEP_1) | instskip(NEXT) | instid1(VALU_DEP_1)
	v_xor_b32_e32 v19, v19, v13
	v_cmp_ne_u32_e32 vcc_lo, 0x7fffffff, v19
	v_cndmask_b32_e32 v13, 0x80000000, v19, vcc_lo
	s_delay_alu instid0(VALU_DEP_1) | instskip(NEXT) | instid1(VALU_DEP_1)
	v_lshrrev_b32_e32 v13, s20, v13
	v_bitop3_b32 v24, v13, 1, s8 bitop3:0x80
	v_and_b32_e32 v21, s8, v13
	s_delay_alu instid0(VALU_DEP_2) | instskip(NEXT) | instid1(VALU_DEP_1)
	v_add_co_u32 v24, s0, v24, -1
	v_cndmask_b32_e64 v25, 0, 1, s0
	s_delay_alu instid0(VALU_DEP_3) | instskip(NEXT) | instid1(VALU_DEP_2)
	v_dual_lshlrev_b32 v26, 30, v21 :: v_dual_lshlrev_b32 v27, 29, v21
	v_cmp_ne_u32_e32 vcc_lo, 0, v25
	s_delay_alu instid0(VALU_DEP_2) | instskip(SKIP_1) | instid1(VALU_DEP_4)
	v_cmp_gt_i32_e64 s0, 0, v26
	v_not_b32_e32 v25, v26
	v_not_b32_e32 v26, v27
	s_delay_alu instid0(VALU_DEP_2) | instskip(NEXT) | instid1(VALU_DEP_2)
	v_dual_ashrrev_i32 v25, 31, v25 :: v_dual_bitop2_b32 v24, vcc_lo, v24 bitop3:0x14
	v_dual_ashrrev_i32 v26, 31, v26 :: v_dual_lshlrev_b32 v28, 28, v21
	v_dual_lshlrev_b32 v29, 27, v21 :: v_dual_lshlrev_b32 v30, 26, v21
	v_cmp_gt_i32_e64 s1, 0, v27
	v_mad_u32 v13, 0x44, v21, v0
	s_delay_alu instid0(VALU_DEP_4)
	v_not_b32_e32 v27, v28
	v_dual_lshlrev_b32 v31, 25, v21 :: v_dual_lshlrev_b32 v21, 24, v21
	v_cmp_gt_i32_e64 s2, 0, v28
	v_cmp_gt_i32_e64 s3, 0, v29
	v_not_b32_e32 v28, v29
	v_not_b32_e32 v29, v30
	v_dual_ashrrev_i32 v27, 31, v27 :: v_dual_bitop2_b32 v25, s0, v25 bitop3:0x14
	v_cmp_gt_i32_e64 s4, 0, v30
	v_not_b32_e32 v30, v31
	v_cmp_gt_i32_e64 s6, 0, v21
	v_not_b32_e32 v21, v21
	v_dual_ashrrev_i32 v28, 31, v28 :: v_dual_ashrrev_i32 v29, 31, v29
	v_xor_b32_e32 v26, s1, v26
	v_xor_b32_e32 v27, s2, v27
	v_bitop3_b32 v24, v24, v25, exec_lo bitop3:0x80
	v_cmp_gt_i32_e64 s5, 0, v31
	v_dual_ashrrev_i32 v25, 31, v30 :: v_dual_ashrrev_i32 v21, 31, v21
	v_xor_b32_e32 v28, s3, v28
	v_xor_b32_e32 v29, s4, v29
	v_bitop3_b32 v24, v24, v27, v26 bitop3:0x80
	s_delay_alu instid0(VALU_DEP_4) | instskip(SKIP_3) | instid1(VALU_DEP_1)
	v_xor_b32_e32 v26, s5, v25
	v_xor_b32_e32 v21, s6, v21
	ds_load_b32 v25, v13 offset:64
	v_bitop3_b32 v24, v24, v29, v28 bitop3:0x80
	; wave barrier
	v_bitop3_b32 v21, v24, v21, v26 bitop3:0x80
	s_delay_alu instid0(VALU_DEP_1) | instskip(SKIP_1) | instid1(VALU_DEP_2)
	v_mbcnt_lo_u32_b32 v26, v21, 0
	v_cmp_ne_u32_e64 s0, 0, v21
	v_cmp_eq_u32_e32 vcc_lo, 0, v26
	s_and_b32 s1, s0, vcc_lo
	s_delay_alu instid0(SALU_CYCLE_1)
	s_and_saveexec_b32 s0, s1
	s_cbranch_execz .LBB1433_97
; %bb.96:
	s_wait_dscnt 0x0
	v_bcnt_u32_b32 v21, v21, v25
	ds_store_b32 v13, v21 offset:64
.LBB1433_97:
	s_or_b32 exec_lo, exec_lo, s0
	v_cmp_lt_i32_e32 vcc_lo, -1, v20
	; wave barrier
	v_cndmask_b32_e64 v21, -1, 0x80000000, vcc_lo
	s_delay_alu instid0(VALU_DEP_1) | instskip(NEXT) | instid1(VALU_DEP_1)
	v_xor_b32_e32 v20, v21, v20
	v_cmp_ne_u32_e32 vcc_lo, 0x7fffffff, v20
	v_cndmask_b32_e32 v21, 0x80000000, v20, vcc_lo
	s_delay_alu instid0(VALU_DEP_1) | instskip(NEXT) | instid1(VALU_DEP_1)
	v_lshrrev_b32_e32 v21, s20, v21
	v_and_b32_e32 v24, s8, v21
	v_bitop3_b32 v21, v21, 1, s8 bitop3:0x80
	s_delay_alu instid0(VALU_DEP_2) | instskip(NEXT) | instid1(VALU_DEP_2)
	v_lshlrev_b32_e32 v28, 30, v24
	v_add_co_u32 v21, s0, v21, -1
	s_delay_alu instid0(VALU_DEP_1) | instskip(NEXT) | instid1(VALU_DEP_1)
	v_cndmask_b32_e64 v27, 0, 1, s0
	v_cmp_ne_u32_e32 vcc_lo, 0, v27
	s_delay_alu instid0(VALU_DEP_4) | instskip(NEXT) | instid1(VALU_DEP_1)
	v_not_b32_e32 v27, v28
	v_dual_ashrrev_i32 v27, 31, v27 :: v_dual_bitop2_b32 v21, vcc_lo, v21 bitop3:0x14
	v_dual_lshlrev_b32 v29, 29, v24 :: v_dual_lshlrev_b32 v30, 28, v24
	v_lshlrev_b32_e32 v31, 27, v24
	v_mad_u32 v33, 0x44, v24, v0
	v_dual_lshlrev_b32 v32, 26, v24 :: v_dual_lshlrev_b32 v34, 25, v24
	v_lshlrev_b32_e32 v24, 24, v24
	v_cmp_gt_i32_e64 s0, 0, v28
	v_cmp_gt_i32_e64 s1, 0, v29
	v_not_b32_e32 v28, v29
	v_not_b32_e32 v29, v30
	v_cmp_gt_i32_e64 s2, 0, v30
	v_cmp_gt_i32_e64 s3, 0, v31
	v_not_b32_e32 v30, v31
	v_not_b32_e32 v31, v32
	v_cmp_gt_i32_e64 s6, 0, v24
	v_not_b32_e32 v24, v24
	v_dual_ashrrev_i32 v28, 31, v28 :: v_dual_ashrrev_i32 v29, 31, v29
	v_xor_b32_e32 v27, s0, v27
	v_cmp_gt_i32_e64 s4, 0, v32
	v_not_b32_e32 v32, v34
	v_dual_ashrrev_i32 v30, 31, v30 :: v_dual_ashrrev_i32 v31, 31, v31
	v_xor_b32_e32 v28, s1, v28
	v_dual_ashrrev_i32 v24, 31, v24 :: v_dual_bitop2_b32 v29, s2, v29 bitop3:0x14
	v_bitop3_b32 v21, v21, v27, exec_lo bitop3:0x80
	v_cmp_gt_i32_e64 s5, 0, v34
	v_dual_ashrrev_i32 v27, 31, v32 :: v_dual_bitop2_b32 v30, s3, v30 bitop3:0x14
	v_xor_b32_e32 v31, s4, v31
	s_delay_alu instid0(VALU_DEP_4) | instskip(SKIP_1) | instid1(VALU_DEP_4)
	v_bitop3_b32 v21, v21, v29, v28 bitop3:0x80
	v_xor_b32_e32 v24, s6, v24
	v_xor_b32_e32 v27, s5, v27
	ds_load_b32 v28, v33 offset:64
	v_bitop3_b32 v21, v21, v31, v30 bitop3:0x80
	; wave barrier
	s_delay_alu instid0(VALU_DEP_1) | instskip(NEXT) | instid1(VALU_DEP_1)
	v_bitop3_b32 v21, v21, v24, v27 bitop3:0x80
	v_mbcnt_lo_u32_b32 v29, v21, 0
	v_cmp_ne_u32_e64 s0, 0, v21
	s_delay_alu instid0(VALU_DEP_2) | instskip(SKIP_1) | instid1(SALU_CYCLE_1)
	v_cmp_eq_u32_e32 vcc_lo, 0, v29
	s_and_b32 s1, s0, vcc_lo
	s_and_saveexec_b32 s0, s1
	s_cbranch_execz .LBB1433_99
; %bb.98:
	s_wait_dscnt 0x0
	v_bcnt_u32_b32 v21, v21, v28
	ds_store_b32 v33, v21 offset:64
.LBB1433_99:
	s_or_b32 exec_lo, exec_lo, s0
	v_cmp_lt_i32_e32 vcc_lo, -1, v9
	; wave barrier
	v_cndmask_b32_e64 v21, -1, 0x80000000, vcc_lo
	s_delay_alu instid0(VALU_DEP_1) | instskip(NEXT) | instid1(VALU_DEP_1)
	v_xor_b32_e32 v21, v21, v9
	v_cmp_ne_u32_e32 vcc_lo, 0x7fffffff, v21
	v_cndmask_b32_e32 v9, 0x80000000, v21, vcc_lo
	s_delay_alu instid0(VALU_DEP_1) | instskip(NEXT) | instid1(VALU_DEP_1)
	v_lshrrev_b32_e32 v9, s20, v9
	v_and_b32_e32 v24, s8, v9
	v_bitop3_b32 v9, v9, 1, s8 bitop3:0x80
	s_delay_alu instid0(VALU_DEP_2) | instskip(NEXT) | instid1(VALU_DEP_2)
	v_lshlrev_b32_e32 v30, 30, v24
	v_add_co_u32 v9, s0, v9, -1
	s_delay_alu instid0(VALU_DEP_1) | instskip(NEXT) | instid1(VALU_DEP_3)
	v_cndmask_b32_e64 v27, 0, 1, s0
	v_cmp_gt_i32_e64 s0, 0, v30
	s_delay_alu instid0(VALU_DEP_2) | instskip(SKIP_1) | instid1(VALU_DEP_1)
	v_cmp_ne_u32_e32 vcc_lo, 0, v27
	v_not_b32_e32 v27, v30
	v_dual_ashrrev_i32 v27, 31, v27 :: v_dual_lshlrev_b32 v31, 29, v24
	v_dual_lshlrev_b32 v32, 28, v24 :: v_dual_lshlrev_b32 v34, 27, v24
	v_lshlrev_b32_e32 v35, 26, v24
	v_mad_u32 v37, 0x44, v24, v0
	s_delay_alu instid0(VALU_DEP_4)
	v_cmp_gt_i32_e64 s1, 0, v31
	v_not_b32_e32 v30, v31
	v_not_b32_e32 v31, v32
	v_dual_lshlrev_b32 v36, 25, v24 :: v_dual_lshlrev_b32 v24, 24, v24
	v_cmp_gt_i32_e64 s2, 0, v32
	v_cmp_gt_i32_e64 s3, 0, v34
	v_not_b32_e32 v32, v34
	v_not_b32_e32 v34, v35
	v_dual_ashrrev_i32 v30, 31, v30 :: v_dual_bitop2_b32 v9, vcc_lo, v9 bitop3:0x14
	s_delay_alu instid0(VALU_DEP_3) | instskip(NEXT) | instid1(VALU_DEP_3)
	v_dual_ashrrev_i32 v31, 31, v31 :: v_dual_ashrrev_i32 v32, 31, v32
	v_dual_ashrrev_i32 v34, 31, v34 :: v_dual_bitop2_b32 v27, s0, v27 bitop3:0x14
	v_cmp_gt_i32_e64 s4, 0, v35
	v_not_b32_e32 v35, v36
	v_cmp_gt_i32_e64 s6, 0, v24
	v_not_b32_e32 v24, v24
	v_xor_b32_e32 v30, s1, v30
	v_xor_b32_e32 v31, s2, v31
	v_bitop3_b32 v9, v9, v27, exec_lo bitop3:0x80
	v_cmp_gt_i32_e64 s5, 0, v36
	v_dual_ashrrev_i32 v27, 31, v35 :: v_dual_ashrrev_i32 v24, 31, v24
	v_xor_b32_e32 v32, s3, v32
	v_xor_b32_e32 v34, s4, v34
	v_bitop3_b32 v9, v9, v31, v30 bitop3:0x80
	s_delay_alu instid0(VALU_DEP_4) | instskip(SKIP_3) | instid1(VALU_DEP_1)
	v_xor_b32_e32 v27, s5, v27
	v_xor_b32_e32 v24, s6, v24
	ds_load_b32 v31, v37 offset:64
	v_bitop3_b32 v9, v9, v34, v32 bitop3:0x80
	; wave barrier
	v_bitop3_b32 v9, v9, v24, v27 bitop3:0x80
	s_delay_alu instid0(VALU_DEP_1) | instskip(SKIP_1) | instid1(VALU_DEP_2)
	v_mbcnt_lo_u32_b32 v32, v9, 0
	v_cmp_ne_u32_e64 s0, 0, v9
	v_cmp_eq_u32_e32 vcc_lo, 0, v32
	s_and_b32 s1, s0, vcc_lo
	s_delay_alu instid0(SALU_CYCLE_1)
	s_and_saveexec_b32 s0, s1
	s_cbranch_execz .LBB1433_101
; %bb.100:
	s_wait_dscnt 0x0
	v_bcnt_u32_b32 v9, v9, v31
	ds_store_b32 v37, v9 offset:64
.LBB1433_101:
	s_or_b32 exec_lo, exec_lo, s0
	v_cmp_lt_i32_e32 vcc_lo, -1, v8
	; wave barrier
	v_cndmask_b32_e64 v9, -1, 0x80000000, vcc_lo
	s_delay_alu instid0(VALU_DEP_1) | instskip(NEXT) | instid1(VALU_DEP_1)
	v_xor_b32_e32 v24, v9, v8
	v_cmp_ne_u32_e32 vcc_lo, 0x7fffffff, v24
	v_cndmask_b32_e32 v8, 0x80000000, v24, vcc_lo
	s_delay_alu instid0(VALU_DEP_1) | instskip(NEXT) | instid1(VALU_DEP_1)
	v_lshrrev_b32_e32 v8, s20, v8
	v_and_b32_e32 v9, s8, v8
	v_bitop3_b32 v8, v8, 1, s8 bitop3:0x80
	s_delay_alu instid0(VALU_DEP_2) | instskip(NEXT) | instid1(VALU_DEP_2)
	v_lshlrev_b32_e32 v30, 30, v9
	v_add_co_u32 v8, s0, v8, -1
	s_delay_alu instid0(VALU_DEP_1) | instskip(NEXT) | instid1(VALU_DEP_1)
	v_cndmask_b32_e64 v27, 0, 1, s0
	v_cmp_ne_u32_e32 vcc_lo, 0, v27
	s_delay_alu instid0(VALU_DEP_4) | instskip(NEXT) | instid1(VALU_DEP_1)
	v_not_b32_e32 v27, v30
	v_dual_ashrrev_i32 v27, 31, v27 :: v_dual_lshlrev_b32 v34, 29, v9
	v_dual_lshlrev_b32 v35, 28, v9 :: v_dual_lshlrev_b32 v36, 27, v9
	v_lshlrev_b32_e32 v38, 26, v9
	v_cmp_gt_i32_e64 s0, 0, v30
	s_delay_alu instid0(VALU_DEP_4)
	v_cmp_gt_i32_e64 s1, 0, v34
	v_not_b32_e32 v30, v34
	v_not_b32_e32 v34, v35
	v_mad_u32 v41, 0x44, v9, v0
	v_dual_lshlrev_b32 v39, 25, v9 :: v_dual_lshlrev_b32 v9, 24, v9
	v_cmp_gt_i32_e64 s2, 0, v35
	v_cmp_gt_i32_e64 s3, 0, v36
	v_not_b32_e32 v35, v36
	v_not_b32_e32 v36, v38
	v_dual_ashrrev_i32 v30, 31, v30 :: v_dual_bitop2_b32 v8, vcc_lo, v8 bitop3:0x14
	v_dual_ashrrev_i32 v34, 31, v34 :: v_dual_bitop2_b32 v27, s0, v27 bitop3:0x14
	v_cmp_gt_i32_e64 s4, 0, v38
	v_not_b32_e32 v38, v39
	v_cmp_gt_i32_e64 s6, 0, v9
	v_not_b32_e32 v9, v9
	v_dual_ashrrev_i32 v35, 31, v35 :: v_dual_ashrrev_i32 v36, 31, v36
	v_xor_b32_e32 v30, s1, v30
	v_xor_b32_e32 v34, s2, v34
	v_bitop3_b32 v8, v8, v27, exec_lo bitop3:0x80
	v_cmp_gt_i32_e64 s5, 0, v39
	v_dual_ashrrev_i32 v27, 31, v38 :: v_dual_bitop2_b32 v35, s3, v35 bitop3:0x14
	v_dual_ashrrev_i32 v9, 31, v9 :: v_dual_bitop2_b32 v36, s4, v36 bitop3:0x14
	s_delay_alu instid0(VALU_DEP_4) | instskip(NEXT) | instid1(VALU_DEP_3)
	v_bitop3_b32 v8, v8, v34, v30 bitop3:0x80
	v_xor_b32_e32 v27, s5, v27
	s_delay_alu instid0(VALU_DEP_3) | instskip(NEXT) | instid1(VALU_DEP_3)
	v_xor_b32_e32 v9, s6, v9
	v_bitop3_b32 v8, v8, v36, v35 bitop3:0x80
	ds_load_b32 v35, v41 offset:64
	; wave barrier
	v_bitop3_b32 v8, v8, v9, v27 bitop3:0x80
	s_delay_alu instid0(VALU_DEP_1) | instskip(SKIP_1) | instid1(VALU_DEP_2)
	v_mbcnt_lo_u32_b32 v36, v8, 0
	v_cmp_ne_u32_e64 s0, 0, v8
	v_cmp_eq_u32_e32 vcc_lo, 0, v36
	s_and_b32 s1, s0, vcc_lo
	s_delay_alu instid0(SALU_CYCLE_1)
	s_and_saveexec_b32 s0, s1
	s_cbranch_execz .LBB1433_103
; %bb.102:
	s_wait_dscnt 0x0
	v_bcnt_u32_b32 v8, v8, v35
	ds_store_b32 v41, v8 offset:64
.LBB1433_103:
	s_or_b32 exec_lo, exec_lo, s0
	v_cmp_lt_i32_e32 vcc_lo, -1, v7
	; wave barrier
	v_cndmask_b32_e64 v8, -1, 0x80000000, vcc_lo
	s_delay_alu instid0(VALU_DEP_1) | instskip(NEXT) | instid1(VALU_DEP_1)
	v_xor_b32_e32 v27, v8, v7
	v_cmp_ne_u32_e32 vcc_lo, 0x7fffffff, v27
	v_cndmask_b32_e32 v7, 0x80000000, v27, vcc_lo
	s_delay_alu instid0(VALU_DEP_1) | instskip(NEXT) | instid1(VALU_DEP_1)
	v_lshrrev_b32_e32 v7, s20, v7
	v_and_b32_e32 v8, s8, v7
	v_bitop3_b32 v7, v7, 1, s8 bitop3:0x80
	s_delay_alu instid0(VALU_DEP_2) | instskip(NEXT) | instid1(VALU_DEP_2)
	v_lshlrev_b32_e32 v30, 30, v8
	v_add_co_u32 v7, s0, v7, -1
	s_delay_alu instid0(VALU_DEP_1) | instskip(NEXT) | instid1(VALU_DEP_3)
	v_cndmask_b32_e64 v9, 0, 1, s0
	v_cmp_gt_i32_e64 s0, 0, v30
	s_delay_alu instid0(VALU_DEP_2) | instskip(SKIP_1) | instid1(VALU_DEP_1)
	v_cmp_ne_u32_e32 vcc_lo, 0, v9
	v_not_b32_e32 v9, v30
	v_dual_ashrrev_i32 v9, 31, v9 :: v_dual_lshlrev_b32 v34, 29, v8
	v_dual_lshlrev_b32 v38, 28, v8 :: v_dual_lshlrev_b32 v39, 27, v8
	v_lshlrev_b32_e32 v40, 26, v8
	v_mad_u32 v44, 0x44, v8, v0
	s_delay_alu instid0(VALU_DEP_4)
	v_cmp_gt_i32_e64 s1, 0, v34
	v_not_b32_e32 v30, v34
	v_not_b32_e32 v34, v38
	v_dual_lshlrev_b32 v42, 25, v8 :: v_dual_lshlrev_b32 v8, 24, v8
	v_cmp_gt_i32_e64 s2, 0, v38
	v_cmp_gt_i32_e64 s3, 0, v39
	v_not_b32_e32 v38, v39
	v_not_b32_e32 v39, v40
	v_dual_ashrrev_i32 v30, 31, v30 :: v_dual_bitop2_b32 v7, vcc_lo, v7 bitop3:0x14
	v_dual_ashrrev_i32 v34, 31, v34 :: v_dual_bitop2_b32 v9, s0, v9 bitop3:0x14
	v_cmp_gt_i32_e64 s4, 0, v40
	v_not_b32_e32 v40, v42
	v_cmp_gt_i32_e64 s6, 0, v8
	v_not_b32_e32 v8, v8
	v_dual_ashrrev_i32 v38, 31, v38 :: v_dual_ashrrev_i32 v39, 31, v39
	v_xor_b32_e32 v30, s1, v30
	s_delay_alu instid0(VALU_DEP_3) | instskip(SKIP_4) | instid1(VALU_DEP_4)
	v_dual_ashrrev_i32 v8, 31, v8 :: v_dual_bitop2_b32 v34, s2, v34 bitop3:0x14
	v_bitop3_b32 v7, v7, v9, exec_lo bitop3:0x80
	v_cmp_gt_i32_e64 s5, 0, v42
	v_dual_ashrrev_i32 v9, 31, v40 :: v_dual_bitop2_b32 v38, s3, v38 bitop3:0x14
	v_xor_b32_e32 v39, s4, v39
	v_bitop3_b32 v7, v7, v34, v30 bitop3:0x80
	v_xor_b32_e32 v8, s6, v8
	s_delay_alu instid0(VALU_DEP_4) | instskip(NEXT) | instid1(VALU_DEP_3)
	v_xor_b32_e32 v9, s5, v9
	v_bitop3_b32 v7, v7, v39, v38 bitop3:0x80
	ds_load_b32 v39, v44 offset:64
	; wave barrier
	v_bitop3_b32 v7, v7, v8, v9 bitop3:0x80
	s_delay_alu instid0(VALU_DEP_1) | instskip(SKIP_1) | instid1(VALU_DEP_2)
	v_mbcnt_lo_u32_b32 v40, v7, 0
	v_cmp_ne_u32_e64 s0, 0, v7
	v_cmp_eq_u32_e32 vcc_lo, 0, v40
	s_and_b32 s1, s0, vcc_lo
	s_delay_alu instid0(SALU_CYCLE_1)
	s_and_saveexec_b32 s0, s1
	s_cbranch_execz .LBB1433_105
; %bb.104:
	s_wait_dscnt 0x0
	v_bcnt_u32_b32 v7, v7, v39
	ds_store_b32 v44, v7 offset:64
.LBB1433_105:
	s_or_b32 exec_lo, exec_lo, s0
	v_cmp_lt_i32_e32 vcc_lo, -1, v6
	; wave barrier
	v_cndmask_b32_e64 v7, -1, 0x80000000, vcc_lo
	s_delay_alu instid0(VALU_DEP_1) | instskip(NEXT) | instid1(VALU_DEP_1)
	v_xor_b32_e32 v30, v7, v6
	v_cmp_ne_u32_e32 vcc_lo, 0x7fffffff, v30
	v_cndmask_b32_e32 v6, 0x80000000, v30, vcc_lo
	s_delay_alu instid0(VALU_DEP_1) | instskip(NEXT) | instid1(VALU_DEP_1)
	v_lshrrev_b32_e32 v6, s20, v6
	v_and_b32_e32 v7, s8, v6
	v_bitop3_b32 v6, v6, 1, s8 bitop3:0x80
	s_delay_alu instid0(VALU_DEP_2) | instskip(NEXT) | instid1(VALU_DEP_2)
	v_lshlrev_b32_e32 v9, 30, v7
	v_add_co_u32 v6, s0, v6, -1
	s_delay_alu instid0(VALU_DEP_1) | instskip(NEXT) | instid1(VALU_DEP_3)
	v_cndmask_b32_e64 v8, 0, 1, s0
	v_cmp_gt_i32_e64 s0, 0, v9
	s_delay_alu instid0(VALU_DEP_2) | instskip(SKIP_1) | instid1(VALU_DEP_1)
	v_cmp_ne_u32_e32 vcc_lo, 0, v8
	v_not_b32_e32 v8, v9
	v_dual_ashrrev_i32 v8, 31, v8 :: v_dual_lshlrev_b32 v34, 29, v7
	v_dual_lshlrev_b32 v38, 28, v7 :: v_dual_lshlrev_b32 v42, 27, v7
	v_lshlrev_b32_e32 v43, 26, v7
	v_mad_u32 v48, 0x44, v7, v0
	s_delay_alu instid0(VALU_DEP_4)
	v_cmp_gt_i32_e64 s1, 0, v34
	v_not_b32_e32 v9, v34
	v_not_b32_e32 v34, v38
	v_dual_lshlrev_b32 v45, 25, v7 :: v_dual_lshlrev_b32 v7, 24, v7
	v_cmp_gt_i32_e64 s2, 0, v38
	v_cmp_gt_i32_e64 s3, 0, v42
	v_not_b32_e32 v38, v42
	v_not_b32_e32 v42, v43
	v_dual_ashrrev_i32 v9, 31, v9 :: v_dual_bitop2_b32 v6, vcc_lo, v6 bitop3:0x14
	v_dual_ashrrev_i32 v34, 31, v34 :: v_dual_bitop2_b32 v8, s0, v8 bitop3:0x14
	v_cmp_gt_i32_e64 s4, 0, v43
	v_not_b32_e32 v43, v45
	v_cmp_gt_i32_e64 s6, 0, v7
	v_not_b32_e32 v7, v7
	v_dual_ashrrev_i32 v38, 31, v38 :: v_dual_bitop2_b32 v9, s1, v9 bitop3:0x14
	v_ashrrev_i32_e32 v42, 31, v42
	s_delay_alu instid0(VALU_DEP_3) | instskip(SKIP_4) | instid1(VALU_DEP_4)
	v_dual_ashrrev_i32 v7, 31, v7 :: v_dual_bitop2_b32 v34, s2, v34 bitop3:0x14
	v_bitop3_b32 v6, v6, v8, exec_lo bitop3:0x80
	v_cmp_gt_i32_e64 s5, 0, v45
	v_dual_ashrrev_i32 v8, 31, v43 :: v_dual_bitop2_b32 v38, s3, v38 bitop3:0x14
	v_xor_b32_e32 v42, s4, v42
	v_bitop3_b32 v6, v6, v34, v9 bitop3:0x80
	v_xor_b32_e32 v7, s6, v7
	s_delay_alu instid0(VALU_DEP_4) | instskip(SKIP_2) | instid1(VALU_DEP_1)
	v_xor_b32_e32 v8, s5, v8
	ds_load_b32 v43, v48 offset:64
	v_bitop3_b32 v6, v6, v42, v38 bitop3:0x80
	; wave barrier
	v_bitop3_b32 v6, v6, v7, v8 bitop3:0x80
	s_delay_alu instid0(VALU_DEP_1) | instskip(SKIP_1) | instid1(VALU_DEP_2)
	v_mbcnt_lo_u32_b32 v45, v6, 0
	v_cmp_ne_u32_e64 s0, 0, v6
	v_cmp_eq_u32_e32 vcc_lo, 0, v45
	s_and_b32 s1, s0, vcc_lo
	s_delay_alu instid0(SALU_CYCLE_1)
	s_and_saveexec_b32 s0, s1
	s_cbranch_execz .LBB1433_107
; %bb.106:
	s_wait_dscnt 0x0
	v_bcnt_u32_b32 v6, v6, v43
	ds_store_b32 v48, v6 offset:64
.LBB1433_107:
	s_or_b32 exec_lo, exec_lo, s0
	v_cmp_lt_i32_e32 vcc_lo, -1, v4
	; wave barrier
	v_cndmask_b32_e64 v6, -1, 0x80000000, vcc_lo
	s_delay_alu instid0(VALU_DEP_1) | instskip(NEXT) | instid1(VALU_DEP_1)
	v_xor_b32_e32 v34, v6, v4
	v_cmp_ne_u32_e32 vcc_lo, 0x7fffffff, v34
	v_cndmask_b32_e32 v4, 0x80000000, v34, vcc_lo
	s_delay_alu instid0(VALU_DEP_1) | instskip(NEXT) | instid1(VALU_DEP_1)
	v_lshrrev_b32_e32 v4, s20, v4
	v_and_b32_e32 v6, s8, v4
	v_bitop3_b32 v4, v4, 1, s8 bitop3:0x80
	s_delay_alu instid0(VALU_DEP_2) | instskip(NEXT) | instid1(VALU_DEP_2)
	v_dual_lshlrev_b32 v8, 30, v6 :: v_dual_lshlrev_b32 v9, 29, v6
	v_add_co_u32 v4, s0, v4, -1
	s_delay_alu instid0(VALU_DEP_1) | instskip(SKIP_1) | instid1(VALU_DEP_4)
	v_cndmask_b32_e64 v7, 0, 1, s0
	v_lshlrev_b32_e32 v38, 28, v6
	v_cmp_gt_i32_e64 s0, 0, v8
	v_cmp_gt_i32_e64 s1, 0, v9
	s_delay_alu instid0(VALU_DEP_4) | instskip(SKIP_3) | instid1(VALU_DEP_3)
	v_cmp_ne_u32_e32 vcc_lo, 0, v7
	v_not_b32_e32 v7, v8
	v_not_b32_e32 v8, v9
	;; [unrolled: 1-line block ×3, first 2 shown]
	v_dual_ashrrev_i32 v7, 31, v7 :: v_dual_bitop2_b32 v4, vcc_lo, v4 bitop3:0x14
	s_delay_alu instid0(VALU_DEP_2)
	v_dual_ashrrev_i32 v8, 31, v8 :: v_dual_ashrrev_i32 v9, 31, v9
	v_dual_lshlrev_b32 v42, 27, v6 :: v_dual_lshlrev_b32 v46, 26, v6
	v_lshlrev_b32_e32 v47, 25, v6
	v_mad_u32 v51, 0x44, v6, v0
	v_lshlrev_b32_e32 v6, 24, v6
	v_cmp_gt_i32_e64 s2, 0, v38
	v_cmp_gt_i32_e64 s3, 0, v42
	v_not_b32_e32 v38, v42
	v_not_b32_e32 v42, v46
	v_xor_b32_e32 v7, s0, v7
	v_cmp_gt_i32_e64 s4, 0, v46
	v_not_b32_e32 v46, v47
	v_cmp_gt_i32_e64 s6, 0, v6
	v_not_b32_e32 v6, v6
	v_dual_ashrrev_i32 v38, 31, v38 :: v_dual_bitop2_b32 v8, s1, v8 bitop3:0x14
	v_dual_ashrrev_i32 v42, 31, v42 :: v_dual_bitop2_b32 v9, s2, v9 bitop3:0x14
	v_bitop3_b32 v4, v4, v7, exec_lo bitop3:0x80
	v_cmp_gt_i32_e64 s5, 0, v47
	v_ashrrev_i32_e32 v7, 31, v46
	v_ashrrev_i32_e32 v6, 31, v6
	v_xor_b32_e32 v38, s3, v38
	v_xor_b32_e32 v42, s4, v42
	v_bitop3_b32 v4, v4, v9, v8 bitop3:0x80
	v_xor_b32_e32 v7, s5, v7
	v_xor_b32_e32 v6, s6, v6
	ds_load_b32 v47, v51 offset:64
	v_bitop3_b32 v4, v4, v42, v38 bitop3:0x80
	; wave barrier
	s_delay_alu instid0(VALU_DEP_1) | instskip(NEXT) | instid1(VALU_DEP_1)
	v_bitop3_b32 v4, v4, v6, v7 bitop3:0x80
	v_mbcnt_lo_u32_b32 v49, v4, 0
	v_cmp_ne_u32_e64 s0, 0, v4
	s_delay_alu instid0(VALU_DEP_2) | instskip(SKIP_1) | instid1(SALU_CYCLE_1)
	v_cmp_eq_u32_e32 vcc_lo, 0, v49
	s_and_b32 s1, s0, vcc_lo
	s_and_saveexec_b32 s0, s1
	s_cbranch_execz .LBB1433_109
; %bb.108:
	s_wait_dscnt 0x0
	v_bcnt_u32_b32 v4, v4, v47
	ds_store_b32 v51, v4 offset:64
.LBB1433_109:
	s_or_b32 exec_lo, exec_lo, s0
	v_cmp_lt_i32_e32 vcc_lo, -1, v3
	; wave barrier
	v_cndmask_b32_e64 v4, -1, 0x80000000, vcc_lo
	s_delay_alu instid0(VALU_DEP_1) | instskip(NEXT) | instid1(VALU_DEP_1)
	v_xor_b32_e32 v38, v4, v3
	v_cmp_ne_u32_e32 vcc_lo, 0x7fffffff, v38
	v_cndmask_b32_e32 v3, 0x80000000, v38, vcc_lo
	s_delay_alu instid0(VALU_DEP_1) | instskip(NEXT) | instid1(VALU_DEP_1)
	v_lshrrev_b32_e32 v3, s20, v3
	v_and_b32_e32 v4, s8, v3
	v_bitop3_b32 v3, v3, 1, s8 bitop3:0x80
	s_delay_alu instid0(VALU_DEP_2) | instskip(NEXT) | instid1(VALU_DEP_2)
	v_lshlrev_b32_e32 v7, 30, v4
	v_add_co_u32 v3, s0, v3, -1
	s_delay_alu instid0(VALU_DEP_1) | instskip(NEXT) | instid1(VALU_DEP_1)
	v_cndmask_b32_e64 v6, 0, 1, s0
	v_cmp_ne_u32_e32 vcc_lo, 0, v6
	s_delay_alu instid0(VALU_DEP_4) | instskip(NEXT) | instid1(VALU_DEP_1)
	v_not_b32_e32 v6, v7
	v_dual_ashrrev_i32 v6, 31, v6 :: v_dual_lshlrev_b32 v8, 29, v4
	v_dual_lshlrev_b32 v9, 28, v4 :: v_dual_lshlrev_b32 v42, 27, v4
	v_lshlrev_b32_e32 v46, 26, v4
	v_cmp_gt_i32_e64 s0, 0, v7
	s_delay_alu instid0(VALU_DEP_4)
	v_cmp_gt_i32_e64 s1, 0, v8
	v_not_b32_e32 v7, v8
	v_not_b32_e32 v8, v9
	v_mad_u32 v53, 0x44, v4, v0
	v_dual_lshlrev_b32 v50, 25, v4 :: v_dual_lshlrev_b32 v4, 24, v4
	v_cmp_gt_i32_e64 s2, 0, v9
	v_cmp_gt_i32_e64 s3, 0, v42
	v_not_b32_e32 v9, v42
	v_not_b32_e32 v42, v46
	v_dual_ashrrev_i32 v8, 31, v8 :: v_dual_bitop2_b32 v3, vcc_lo, v3 bitop3:0x14
	v_dual_ashrrev_i32 v7, 31, v7 :: v_dual_bitop2_b32 v6, s0, v6 bitop3:0x14
	v_cmp_gt_i32_e64 s4, 0, v46
	v_not_b32_e32 v46, v50
	v_cmp_gt_i32_e64 s6, 0, v4
	v_not_b32_e32 v4, v4
	v_dual_ashrrev_i32 v9, 31, v9 :: v_dual_ashrrev_i32 v42, 31, v42
	v_xor_b32_e32 v7, s1, v7
	v_xor_b32_e32 v8, s2, v8
	v_bitop3_b32 v3, v3, v6, exec_lo bitop3:0x80
	v_cmp_gt_i32_e64 s5, 0, v50
	v_dual_ashrrev_i32 v6, 31, v46 :: v_dual_ashrrev_i32 v4, 31, v4
	v_xor_b32_e32 v9, s3, v9
	v_xor_b32_e32 v42, s4, v42
	v_bitop3_b32 v3, v3, v8, v7 bitop3:0x80
	s_delay_alu instid0(VALU_DEP_4) | instskip(SKIP_3) | instid1(VALU_DEP_1)
	v_xor_b32_e32 v6, s5, v6
	v_xor_b32_e32 v4, s6, v4
	ds_load_b32 v50, v53 offset:64
	v_bitop3_b32 v3, v3, v42, v9 bitop3:0x80
	; wave barrier
	v_bitop3_b32 v3, v3, v4, v6 bitop3:0x80
	s_delay_alu instid0(VALU_DEP_1) | instskip(SKIP_1) | instid1(VALU_DEP_2)
	v_mbcnt_lo_u32_b32 v52, v3, 0
	v_cmp_ne_u32_e64 s0, 0, v3
	v_cmp_eq_u32_e32 vcc_lo, 0, v52
	s_and_b32 s1, s0, vcc_lo
	s_delay_alu instid0(SALU_CYCLE_1)
	s_and_saveexec_b32 s0, s1
	s_cbranch_execz .LBB1433_111
; %bb.110:
	s_wait_dscnt 0x0
	v_bcnt_u32_b32 v3, v3, v50
	ds_store_b32 v53, v3 offset:64
.LBB1433_111:
	s_or_b32 exec_lo, exec_lo, s0
	v_cmp_lt_i32_e32 vcc_lo, -1, v2
	; wave barrier
	v_cndmask_b32_e64 v3, -1, 0x80000000, vcc_lo
	s_delay_alu instid0(VALU_DEP_1) | instskip(NEXT) | instid1(VALU_DEP_1)
	v_xor_b32_e32 v42, v3, v2
	v_cmp_ne_u32_e32 vcc_lo, 0x7fffffff, v42
	v_cndmask_b32_e32 v2, 0x80000000, v42, vcc_lo
	s_delay_alu instid0(VALU_DEP_1) | instskip(NEXT) | instid1(VALU_DEP_1)
	v_lshrrev_b32_e32 v2, s20, v2
	v_and_b32_e32 v3, s8, v2
	v_bitop3_b32 v2, v2, 1, s8 bitop3:0x80
	s_delay_alu instid0(VALU_DEP_2) | instskip(NEXT) | instid1(VALU_DEP_2)
	v_lshlrev_b32_e32 v6, 30, v3
	v_add_co_u32 v2, s0, v2, -1
	s_delay_alu instid0(VALU_DEP_1) | instskip(NEXT) | instid1(VALU_DEP_1)
	v_cndmask_b32_e64 v4, 0, 1, s0
	v_cmp_ne_u32_e32 vcc_lo, 0, v4
	s_delay_alu instid0(VALU_DEP_4) | instskip(NEXT) | instid1(VALU_DEP_1)
	v_not_b32_e32 v4, v6
	v_dual_ashrrev_i32 v4, 31, v4 :: v_dual_lshlrev_b32 v7, 29, v3
	v_dual_lshlrev_b32 v8, 28, v3 :: v_dual_lshlrev_b32 v9, 27, v3
	v_lshlrev_b32_e32 v46, 26, v3
	v_cmp_gt_i32_e64 s0, 0, v6
	s_delay_alu instid0(VALU_DEP_4)
	v_cmp_gt_i32_e64 s1, 0, v7
	v_not_b32_e32 v6, v7
	v_not_b32_e32 v7, v8
	v_mad_u32 v56, 0x44, v3, v0
	v_dual_lshlrev_b32 v54, 25, v3 :: v_dual_lshlrev_b32 v3, 24, v3
	v_cmp_gt_i32_e64 s2, 0, v8
	v_cmp_gt_i32_e64 s3, 0, v9
	v_not_b32_e32 v8, v9
	v_not_b32_e32 v9, v46
	v_dual_ashrrev_i32 v7, 31, v7 :: v_dual_bitop2_b32 v2, vcc_lo, v2 bitop3:0x14
	v_dual_ashrrev_i32 v6, 31, v6 :: v_dual_bitop2_b32 v4, s0, v4 bitop3:0x14
	v_cmp_gt_i32_e64 s4, 0, v46
	v_not_b32_e32 v46, v54
	v_cmp_gt_i32_e64 s6, 0, v3
	v_not_b32_e32 v3, v3
	v_dual_ashrrev_i32 v8, 31, v8 :: v_dual_ashrrev_i32 v9, 31, v9
	v_xor_b32_e32 v6, s1, v6
	v_xor_b32_e32 v7, s2, v7
	v_bitop3_b32 v2, v2, v4, exec_lo bitop3:0x80
	v_cmp_gt_i32_e64 s5, 0, v54
	v_dual_ashrrev_i32 v4, 31, v46 :: v_dual_ashrrev_i32 v3, 31, v3
	v_xor_b32_e32 v8, s3, v8
	v_xor_b32_e32 v9, s4, v9
	v_bitop3_b32 v2, v2, v7, v6 bitop3:0x80
	s_delay_alu instid0(VALU_DEP_4) | instskip(SKIP_3) | instid1(VALU_DEP_1)
	v_xor_b32_e32 v4, s5, v4
	v_xor_b32_e32 v3, s6, v3
	ds_load_b32 v54, v56 offset:64
	v_bitop3_b32 v2, v2, v9, v8 bitop3:0x80
	; wave barrier
	v_bitop3_b32 v2, v2, v3, v4 bitop3:0x80
	s_delay_alu instid0(VALU_DEP_1) | instskip(SKIP_1) | instid1(VALU_DEP_2)
	v_mbcnt_lo_u32_b32 v55, v2, 0
	v_cmp_ne_u32_e64 s0, 0, v2
	v_cmp_eq_u32_e32 vcc_lo, 0, v55
	s_and_b32 s1, s0, vcc_lo
	s_delay_alu instid0(SALU_CYCLE_1)
	s_and_saveexec_b32 s0, s1
	s_cbranch_execz .LBB1433_113
; %bb.112:
	s_wait_dscnt 0x0
	v_bcnt_u32_b32 v2, v2, v54
	ds_store_b32 v56, v2 offset:64
.LBB1433_113:
	s_or_b32 exec_lo, exec_lo, s0
	v_cmp_lt_i32_e32 vcc_lo, -1, v1
	; wave barrier
	v_cndmask_b32_e64 v2, -1, 0x80000000, vcc_lo
	s_delay_alu instid0(VALU_DEP_1) | instskip(NEXT) | instid1(VALU_DEP_1)
	v_xor_b32_e32 v46, v2, v1
	v_cmp_ne_u32_e32 vcc_lo, 0x7fffffff, v46
	v_cndmask_b32_e32 v1, 0x80000000, v46, vcc_lo
	s_delay_alu instid0(VALU_DEP_1) | instskip(NEXT) | instid1(VALU_DEP_1)
	v_lshrrev_b32_e32 v1, s20, v1
	v_and_b32_e32 v2, s8, v1
	v_bitop3_b32 v1, v1, 1, s8 bitop3:0x80
	s_delay_alu instid0(VALU_DEP_2) | instskip(NEXT) | instid1(VALU_DEP_2)
	v_mad_u32 v59, 0x44, v2, v0
	v_add_co_u32 v0, s0, v1, -1
	s_delay_alu instid0(VALU_DEP_1) | instskip(SKIP_1) | instid1(VALU_DEP_2)
	v_cndmask_b32_e64 v1, 0, 1, s0
	v_lshlrev_b32_e32 v3, 30, v2
	v_cmp_ne_u32_e32 vcc_lo, 0, v1
	s_delay_alu instid0(VALU_DEP_2)
	v_not_b32_e32 v1, v3
	ds_load_b32 v57, v59 offset:64
	v_dual_ashrrev_i32 v1, 31, v1 :: v_dual_bitop2_b32 v0, vcc_lo, v0 bitop3:0x14
	v_dual_lshlrev_b32 v4, 29, v2 :: v_dual_lshlrev_b32 v6, 28, v2
	v_dual_lshlrev_b32 v7, 27, v2 :: v_dual_lshlrev_b32 v8, 26, v2
	v_lshlrev_b32_e32 v9, 25, v2
	v_cmp_gt_i32_e64 s0, 0, v3
	s_delay_alu instid0(VALU_DEP_4)
	v_cmp_gt_i32_e64 s1, 0, v4
	v_not_b32_e32 v3, v4
	v_not_b32_e32 v4, v6
	v_lshlrev_b32_e32 v2, 24, v2
	v_cmp_gt_i32_e64 s2, 0, v6
	v_cmp_gt_i32_e64 s3, 0, v7
	v_not_b32_e32 v6, v7
	v_not_b32_e32 v7, v8
	v_dual_ashrrev_i32 v3, 31, v3 :: v_dual_bitop2_b32 v1, s0, v1 bitop3:0x14
	v_ashrrev_i32_e32 v4, 31, v4
	v_cmp_gt_i32_e64 s4, 0, v8
	v_not_b32_e32 v8, v9
	v_cmp_gt_i32_e64 s6, 0, v2
	v_not_b32_e32 v2, v2
	v_dual_ashrrev_i32 v6, 31, v6 :: v_dual_ashrrev_i32 v7, 31, v7
	v_xor_b32_e32 v3, s1, v3
	s_delay_alu instid0(VALU_DEP_3) | instskip(SKIP_4) | instid1(VALU_DEP_4)
	v_dual_ashrrev_i32 v2, 31, v2 :: v_dual_bitop2_b32 v4, s2, v4 bitop3:0x14
	v_bitop3_b32 v0, v0, v1, exec_lo bitop3:0x80
	v_cmp_gt_i32_e64 s5, 0, v9
	v_dual_ashrrev_i32 v1, 31, v8 :: v_dual_bitop2_b32 v6, s3, v6 bitop3:0x14
	v_xor_b32_e32 v7, s4, v7
	v_bitop3_b32 v0, v0, v4, v3 bitop3:0x80
	v_xor_b32_e32 v2, s6, v2
	s_delay_alu instid0(VALU_DEP_4) | instskip(NEXT) | instid1(VALU_DEP_3)
	v_xor_b32_e32 v1, s5, v1
	; wave barrier
	v_bitop3_b32 v0, v0, v7, v6 bitop3:0x80
	s_delay_alu instid0(VALU_DEP_1) | instskip(NEXT) | instid1(VALU_DEP_1)
	v_bitop3_b32 v0, v0, v2, v1 bitop3:0x80
	v_mbcnt_lo_u32_b32 v58, v0, 0
	v_cmp_ne_u32_e64 s0, 0, v0
	s_delay_alu instid0(VALU_DEP_2) | instskip(SKIP_1) | instid1(SALU_CYCLE_1)
	v_cmp_eq_u32_e32 vcc_lo, 0, v58
	s_and_b32 s1, s0, vcc_lo
	s_and_saveexec_b32 s0, s1
	s_cbranch_execz .LBB1433_115
; %bb.114:
	s_wait_dscnt 0x0
	v_bcnt_u32_b32 v0, v0, v57
	ds_store_b32 v59, v0 offset:64
.LBB1433_115:
	s_or_b32 exec_lo, exec_lo, s0
	; wave barrier
	s_wait_dscnt 0x0
	s_barrier_signal -1
	s_barrier_wait -1
	ds_load_2addr_b32 v[8:9], v10 offset0:16 offset1:17
	ds_load_2addr_b32 v[6:7], v10 offset0:18 offset1:19
	;; [unrolled: 1-line block ×4, first 2 shown]
	ds_load_b32 v4, v10 offset:96
	v_min_u32_e32 v17, 0x1e0, v17
	s_mov_b32 s4, exec_lo
	s_delay_alu instid0(VALU_DEP_1) | instskip(SKIP_3) | instid1(VALU_DEP_1)
	v_or_b32_e32 v62, 31, v17
	s_wait_dscnt 0x3
	v_add3_u32 v60, v9, v8, v6
	s_wait_dscnt 0x2
	v_add3_u32 v60, v60, v7, v2
	s_wait_dscnt 0x1
	s_delay_alu instid0(VALU_DEP_1) | instskip(SKIP_1) | instid1(VALU_DEP_1)
	v_add3_u32 v60, v60, v3, v0
	s_wait_dscnt 0x0
	v_add3_u32 v4, v60, v1, v4
	v_and_b32_e32 v60, 15, v16
	s_delay_alu instid0(VALU_DEP_2) | instskip(NEXT) | instid1(VALU_DEP_2)
	v_mov_b32_dpp v61, v4 row_shr:1 row_mask:0xf bank_mask:0xf
	v_cmp_eq_u32_e32 vcc_lo, 0, v60
	v_cmp_lt_u32_e64 s0, 1, v60
	s_delay_alu instid0(VALU_DEP_3) | instskip(NEXT) | instid1(VALU_DEP_1)
	v_cndmask_b32_e64 v61, v61, 0, vcc_lo
	v_add_nc_u32_e32 v4, v61, v4
	s_delay_alu instid0(VALU_DEP_1) | instskip(NEXT) | instid1(VALU_DEP_1)
	v_mov_b32_dpp v61, v4 row_shr:2 row_mask:0xf bank_mask:0xf
	v_cndmask_b32_e64 v61, 0, v61, s0
	v_cmp_lt_u32_e64 s2, 7, v60
	v_cmp_lt_u32_e64 s1, 3, v60
	s_delay_alu instid0(VALU_DEP_3) | instskip(NEXT) | instid1(VALU_DEP_1)
	v_add_nc_u32_e32 v4, v4, v61
	v_mov_b32_dpp v61, v4 row_shr:4 row_mask:0xf bank_mask:0xf
	s_delay_alu instid0(VALU_DEP_1) | instskip(NEXT) | instid1(VALU_DEP_1)
	v_cndmask_b32_e64 v61, 0, v61, s1
	v_add_nc_u32_e32 v4, v4, v61
	s_delay_alu instid0(VALU_DEP_1) | instskip(NEXT) | instid1(VALU_DEP_1)
	v_mov_b32_dpp v61, v4 row_shr:8 row_mask:0xf bank_mask:0xf
	v_cndmask_b32_e64 v60, 0, v61, s2
	v_bfe_i32 v61, v16, 4, 1
	s_delay_alu instid0(VALU_DEP_2) | instskip(SKIP_3) | instid1(VALU_DEP_1)
	v_add_nc_u32_e32 v4, v4, v60
	ds_swizzle_b32 v60, v4 offset:swizzle(BROADCAST,32,15)
	s_wait_dscnt 0x0
	v_dual_lshrrev_b32 v60, 5, v15 :: v_dual_bitop2_b32 v61, v61, v60 bitop3:0x40
	v_add_nc_u32_e32 v17, v4, v61
	v_cmpx_eq_u32_e64 v15, v62
; %bb.116:
	s_delay_alu instid0(VALU_DEP_3)
	v_lshlrev_b32_e32 v4, 2, v60
	ds_store_b32 v4, v17
; %bb.117:
	s_or_b32 exec_lo, exec_lo, s4
	v_lshlrev_b32_e32 v4, 2, v15
	s_mov_b32 s4, exec_lo
	s_wait_dscnt 0x0
	s_barrier_signal -1
	s_barrier_wait -1
	v_cmpx_gt_u32_e32 16, v15
	s_cbranch_execz .LBB1433_119
; %bb.118:
	ds_load_b32 v61, v4
	s_wait_dscnt 0x0
	v_mov_b32_dpp v62, v61 row_shr:1 row_mask:0xf bank_mask:0xf
	s_delay_alu instid0(VALU_DEP_1) | instskip(NEXT) | instid1(VALU_DEP_1)
	v_cndmask_b32_e64 v62, v62, 0, vcc_lo
	v_add_nc_u32_e32 v61, v62, v61
	s_delay_alu instid0(VALU_DEP_1) | instskip(NEXT) | instid1(VALU_DEP_1)
	v_mov_b32_dpp v62, v61 row_shr:2 row_mask:0xf bank_mask:0xf
	v_cndmask_b32_e64 v62, 0, v62, s0
	s_delay_alu instid0(VALU_DEP_1) | instskip(NEXT) | instid1(VALU_DEP_1)
	v_add_nc_u32_e32 v61, v61, v62
	v_mov_b32_dpp v62, v61 row_shr:4 row_mask:0xf bank_mask:0xf
	s_delay_alu instid0(VALU_DEP_1) | instskip(NEXT) | instid1(VALU_DEP_1)
	v_cndmask_b32_e64 v62, 0, v62, s1
	v_add_nc_u32_e32 v61, v61, v62
	s_delay_alu instid0(VALU_DEP_1) | instskip(NEXT) | instid1(VALU_DEP_1)
	v_mov_b32_dpp v62, v61 row_shr:8 row_mask:0xf bank_mask:0xf
	v_cndmask_b32_e64 v62, 0, v62, s2
	s_delay_alu instid0(VALU_DEP_1)
	v_add_nc_u32_e32 v61, v61, v62
	ds_store_b32 v4, v61
.LBB1433_119:
	s_or_b32 exec_lo, exec_lo, s4
	v_mov_b32_e32 v61, 0
	s_mov_b32 s0, exec_lo
	s_wait_dscnt 0x0
	s_barrier_signal -1
	s_barrier_wait -1
	v_cmpx_lt_u32_e32 31, v15
; %bb.120:
	v_lshl_add_u32 v60, v60, 2, -4
	ds_load_b32 v61, v60
; %bb.121:
	s_or_b32 exec_lo, exec_lo, s0
	v_sub_co_u32 v60, vcc_lo, v16, 1
	s_wait_dscnt 0x0
	v_add_nc_u32_e32 v17, v61, v17
	s_delay_alu instid0(VALU_DEP_2) | instskip(NEXT) | instid1(VALU_DEP_1)
	v_cmp_gt_i32_e64 s0, 0, v60
	v_cndmask_b32_e64 v16, v60, v16, s0
	v_cmp_lt_u32_e64 s0, 0xff, v15
	s_delay_alu instid0(VALU_DEP_2) | instskip(SKIP_4) | instid1(VALU_DEP_2)
	v_lshlrev_b32_e32 v16, 2, v16
	ds_bpermute_b32 v16, v16, v17
	s_wait_dscnt 0x0
	v_cndmask_b32_e32 v16, v16, v61, vcc_lo
	v_cmp_ne_u32_e32 vcc_lo, 0, v15
	v_cndmask_b32_e32 v16, 0, v16, vcc_lo
	v_cmp_gt_u32_e32 vcc_lo, 0x100, v15
	s_delay_alu instid0(VALU_DEP_2) | instskip(NEXT) | instid1(VALU_DEP_1)
	v_add_nc_u32_e32 v8, v16, v8
	v_add_nc_u32_e32 v9, v8, v9
	s_delay_alu instid0(VALU_DEP_1) | instskip(NEXT) | instid1(VALU_DEP_1)
	v_add_nc_u32_e32 v6, v9, v6
	v_add_nc_u32_e32 v7, v6, v7
	s_delay_alu instid0(VALU_DEP_1) | instskip(NEXT) | instid1(VALU_DEP_1)
	;; [unrolled: 3-line block ×3, first 2 shown]
	v_add_nc_u32_e32 v0, v3, v0
	v_add_nc_u32_e32 v1, v0, v1
	ds_store_2addr_b32 v10, v16, v8 offset0:16 offset1:17
	ds_store_2addr_b32 v10, v9, v6 offset0:18 offset1:19
	;; [unrolled: 1-line block ×4, first 2 shown]
	ds_store_b32 v10, v1 offset:96
	s_wait_dscnt 0x0
	s_barrier_signal -1
	s_barrier_wait -1
	ds_load_b32 v62, v11 offset:64
	ds_load_b32 v60, v12 offset:64
	;; [unrolled: 1-line block ×12, first 2 shown]
	v_mov_b64_e32 v[0:1], 0
                                        ; implicit-def: $vgpr2
	s_and_saveexec_b32 s2, vcc_lo
	s_cbranch_execz .LBB1433_125
; %bb.122:
	v_mul_u32_u24_e32 v0, 0x44, v15
	v_dual_mov_b32 v1, 0x1800 :: v_dual_add_nc_u32 v2, 1, v15
	s_mov_b32 s3, exec_lo
	ds_load_b32 v0, v0 offset:64
	v_cmpx_ne_u32_e32 0x100, v2
; %bb.123:
	v_mul_u32_u24_e32 v1, 0x44, v2
	ds_load_b32 v1, v1 offset:64
; %bb.124:
	s_or_b32 exec_lo, exec_lo, s3
	s_wait_dscnt 0x0
	v_dual_mov_b32 v1, 0 :: v_dual_sub_nc_u32 v2, v1, v0
.LBB1433_125:
	s_or_b32 exec_lo, exec_lo, s2
	v_dual_mov_b32 v7, 0 :: v_dual_lshlrev_b32 v3, 3, v15
	s_wait_dscnt 0x0
	s_barrier_signal -1
	s_barrier_wait -1
	s_and_saveexec_b32 s1, vcc_lo
	s_cbranch_execz .LBB1433_135
; %bb.126:
	v_lshl_add_u32 v6, s9, 8, v15
	v_dual_mov_b32 v10, 0 :: v_dual_bitop2_b32 v11, 2.0, v2 bitop3:0x54
	s_mov_b32 s2, 0
	s_mov_b32 s3, s9
	s_delay_alu instid0(VALU_DEP_2)
	v_lshl_add_u64 v[8:9], v[6:7], 2, s[10:11]
	global_store_b32 v6, v11, s[10:11] scale_offset scope:SCOPE_DEV
                                        ; implicit-def: $sgpr4
	s_branch .LBB1433_129
.LBB1433_127:                           ;   in Loop: Header=BB1433_129 Depth=1
	s_or_b32 exec_lo, exec_lo, s5
.LBB1433_128:                           ;   in Loop: Header=BB1433_129 Depth=1
	s_delay_alu instid0(SALU_CYCLE_1) | instskip(SKIP_2) | instid1(VALU_DEP_2)
	s_or_b32 exec_lo, exec_lo, s4
	v_and_b32_e32 v6, 0x3fffffff, v11
	v_cmp_gt_i32_e64 s4, -2.0, v11
	v_add_nc_u32_e32 v10, v6, v10
	s_and_b32 s5, exec_lo, s4
	s_delay_alu instid0(SALU_CYCLE_1) | instskip(NEXT) | instid1(SALU_CYCLE_1)
	s_or_b32 s2, s5, s2
	s_and_not1_b32 exec_lo, exec_lo, s2
	s_cbranch_execz .LBB1433_134
.LBB1433_129:                           ; =>This Loop Header: Depth=1
                                        ;     Child Loop BB1433_132 Depth 2
	s_or_b32 s4, s4, exec_lo
	s_cmp_eq_u32 s3, 0
	s_cbranch_scc1 .LBB1433_133
; %bb.130:                              ;   in Loop: Header=BB1433_129 Depth=1
	s_add_co_i32 s3, s3, -1
	s_mov_b32 s4, exec_lo
	s_wait_xcnt 0x0
	v_lshl_or_b32 v6, s3, 8, v15
	global_load_b32 v11, v6, s[10:11] scale_offset scope:SCOPE_DEV
	s_wait_loadcnt 0x0
	v_cmpx_gt_u32_e32 2.0, v11
	s_cbranch_execz .LBB1433_128
; %bb.131:                              ;   in Loop: Header=BB1433_129 Depth=1
	v_lshl_add_u64 v[12:13], v[6:7], 2, s[10:11]
	s_mov_b32 s5, 0
.LBB1433_132:                           ;   Parent Loop BB1433_129 Depth=1
                                        ; =>  This Inner Loop Header: Depth=2
	global_load_b32 v11, v[12:13], off scope:SCOPE_DEV
	s_wait_loadcnt 0x0
	v_cmp_lt_u32_e32 vcc_lo, 0x3fffffff, v11
	s_or_b32 s5, vcc_lo, s5
	s_wait_xcnt 0x0
	s_and_not1_b32 exec_lo, exec_lo, s5
	s_cbranch_execnz .LBB1433_132
	s_branch .LBB1433_127
.LBB1433_133:                           ;   in Loop: Header=BB1433_129 Depth=1
                                        ; implicit-def: $sgpr3
	s_and_b32 s5, exec_lo, s4
	s_delay_alu instid0(SALU_CYCLE_1)
	s_or_b32 s2, s5, s2
	s_wait_xcnt 0x0
	s_and_not1_b32 exec_lo, exec_lo, s2
	s_cbranch_execnz .LBB1433_129
.LBB1433_134:
	s_or_b32 exec_lo, exec_lo, s2
	v_dual_mov_b32 v11, 0 :: v_dual_add_nc_u32 v6, v10, v2
	s_delay_alu instid0(VALU_DEP_1) | instskip(SKIP_4) | instid1(VALU_DEP_1)
	v_or_b32_e32 v6, 0x80000000, v6
	global_store_b32 v[8:9], v6, off scope:SCOPE_DEV
	global_load_b64 v[6:7], v15, s[12:13] scale_offset
	v_sub_nc_u64_e32 v[8:9], v[10:11], v[0:1]
	s_wait_loadcnt 0x0
	v_add_nc_u64_e32 v[6:7], v[8:9], v[6:7]
	ds_store_b64 v3, v[6:7]
.LBB1433_135:
	s_wait_xcnt 0x0
	s_or_b32 exec_lo, exec_lo, s1
	v_dual_add_nc_u32 v6, v62, v5 :: v_dual_sub_nc_u32 v56, 0, v4
	v_mov_b32_e32 v5, 0
	v_add3_u32 v22, v23, v60, v22
	v_add3_u32 v7, v58, v53, v57
	;; [unrolled: 1-line block ×3, first 2 shown]
	v_add_nc_u32_e32 v23, v3, v56
	v_add_nc_u64_e32 v[4:5], s[18:19], v[4:5]
	v_add3_u32 v9, v52, v48, v50
	v_add3_u32 v10, v49, v44, v47
	;; [unrolled: 1-line block ×6, first 2 shown]
	v_add_nc_u64_e32 v[4:5], 0x2000, v[4:5]
	v_add3_u32 v17, v29, v17, v28
	v_add3_u32 v25, v26, v61, v25
	v_mov_b32_e32 v26, v15
	s_mov_b32 s1, 0
	s_mov_b32 s2, -1
	s_branch .LBB1433_137
.LBB1433_136:                           ;   in Loop: Header=BB1433_137 Depth=1
	s_wait_xcnt 0x0
	s_or_b32 exec_lo, exec_lo, s3
	v_add_nc_u64_e32 v[4:5], 0x4000, v[4:5]
	v_add_nc_u32_e32 v26, 0x1000, v26
	s_xor_b32 s2, s2, -1
	s_addk_co_i32 s1, 0xf000
	s_and_b32 vcc_lo, exec_lo, s2
	s_mov_b32 s2, 0
	s_wait_storecnt 0x0
	s_barrier_signal -1
	s_barrier_wait -1
	s_cbranch_vccnz .LBB1433_147
.LBB1433_137:                           ; =>This Inner Loop Header: Depth=1
	v_add_min_u32_e64 v28, v6, s1, 0x1000
	v_add_min_u32_e64 v29, v22, s1, 0x1000
	;; [unrolled: 1-line block ×5, first 2 shown]
	s_delay_alu instid0(VALU_DEP_4)
	v_dual_lshlrev_b32 v28, 2, v28 :: v_dual_lshlrev_b32 v29, 2, v29
	v_add_min_u32_e64 v35, v13, s1, 0x1000
	v_add_min_u32_e64 v36, v12, s1, 0x1000
	s_mov_b32 s3, exec_lo
	ds_store_b32 v28, v14 offset:2048
	ds_store_b32 v29, v18 offset:2048
	v_dual_lshlrev_b32 v28, 2, v31 :: v_dual_lshlrev_b32 v29, 2, v32
	v_dual_lshlrev_b32 v31, 2, v33 :: v_dual_lshlrev_b32 v32, 2, v35
	v_lshlrev_b32_e32 v33, 2, v36
	ds_store_b32 v28, v19 offset:2048
	ds_store_b32 v29, v20 offset:2048
	;; [unrolled: 1-line block ×5, first 2 shown]
	v_add_min_u32_e64 v28, v11, s1, 0x1000
	v_add_min_u32_e64 v29, v10, s1, 0x1000
	;; [unrolled: 1-line block ×5, first 2 shown]
	s_delay_alu instid0(VALU_DEP_4) | instskip(NEXT) | instid1(VALU_DEP_3)
	v_dual_lshlrev_b32 v28, 2, v28 :: v_dual_lshlrev_b32 v29, 2, v29
	v_dual_lshlrev_b32 v31, 2, v31 :: v_dual_lshlrev_b32 v32, 2, v32
	s_delay_alu instid0(VALU_DEP_3)
	v_lshlrev_b32_e32 v33, 2, v33
	ds_store_b32 v28, v30 offset:2048
	ds_store_b32 v29, v34 offset:2048
	ds_store_b32 v31, v38 offset:2048
	ds_store_b32 v32, v42 offset:2048
	ds_store_b32 v33, v46 offset:2048
	s_wait_storecnt_dscnt 0x0
	s_barrier_signal -1
	s_barrier_wait -1
	ds_load_2addr_stride64_b32 v[28:29], v23 offset0:8 offset1:16
	s_wait_dscnt 0x0
	v_cmp_ne_u32_e32 vcc_lo, 0x7fffffff, v29
	v_cndmask_b32_e32 v31, 0x80000000, v29, vcc_lo
	v_cmp_ne_u32_e32 vcc_lo, 0x7fffffff, v28
	s_delay_alu instid0(VALU_DEP_2) | instskip(SKIP_1) | instid1(VALU_DEP_2)
	v_lshrrev_b32_e32 v31, s20, v31
	v_cndmask_b32_e32 v35, 0x80000000, v28, vcc_lo
	v_and_b32_e32 v31, s8, v31
	s_delay_alu instid0(VALU_DEP_2) | instskip(NEXT) | instid1(VALU_DEP_2)
	v_lshrrev_b32_e32 v35, s20, v35
	v_lshlrev_b32_e32 v31, 3, v31
	ds_load_b64 v[32:33], v31
	ds_load_b32 v31, v23 offset:6144
	v_and_b32_e32 v35, s8, v35
	s_delay_alu instid0(VALU_DEP_1) | instskip(SKIP_4) | instid1(VALU_DEP_2)
	v_lshlrev_b32_e32 v35, 3, v35
	s_wait_dscnt 0x0
	v_cmp_ne_u32_e32 vcc_lo, 0x7fffffff, v31
	v_cndmask_b32_e32 v36, 0x80000000, v31, vcc_lo
	v_cmp_lt_i32_e32 vcc_lo, -1, v28
	v_lshrrev_b32_e32 v36, s20, v36
	s_delay_alu instid0(VALU_DEP_1) | instskip(NEXT) | instid1(VALU_DEP_1)
	v_and_b32_e32 v36, s8, v36
	v_lshlrev_b32_e32 v39, 3, v36
	ds_load_b64 v[36:37], v35
	ds_load_b64 v[40:41], v39
	v_cndmask_b32_e64 v35, 0x80000000, -1, vcc_lo
	v_cmp_lt_i32_e32 vcc_lo, -1, v29
	s_delay_alu instid0(VALU_DEP_2) | instskip(SKIP_2) | instid1(VALU_DEP_2)
	v_xor_b32_e32 v35, v35, v28
	v_cndmask_b32_e64 v39, 0x80000000, -1, vcc_lo
	v_cmp_lt_i32_e32 vcc_lo, -1, v31
	v_xor_b32_e32 v39, v39, v29
	v_cndmask_b32_e64 v43, 0x80000000, -1, vcc_lo
	v_lshl_add_u64 v[28:29], v[32:33], 2, v[4:5]
	s_delay_alu instid0(VALU_DEP_2)
	v_xor_b32_e32 v31, v43, v31
	s_wait_dscnt 0x1
	v_lshl_add_u64 v[36:37], v[36:37], 2, v[4:5]
	s_wait_dscnt 0x0
	v_lshl_add_u64 v[32:33], v[40:41], 2, v[4:5]
	s_clause 0x2
	global_store_b32 v[36:37], v35, off offset:-8192
	global_store_b32 v[28:29], v39, off offset:-6144
	;; [unrolled: 1-line block ×3, first 2 shown]
	s_wait_xcnt 0x0
	v_cmpx_gt_u32_e32 0x1200, v26
	s_cbranch_execz .LBB1433_139
; %bb.138:                              ;   in Loop: Header=BB1433_137 Depth=1
	ds_load_b32 v31, v23 offset:8192
	s_wait_dscnt 0x0
	v_cmp_ne_u32_e32 vcc_lo, 0x7fffffff, v31
	v_cndmask_b32_e32 v28, 0x80000000, v31, vcc_lo
	v_cmp_lt_i32_e32 vcc_lo, -1, v31
	v_cndmask_b32_e64 v32, 0x80000000, -1, vcc_lo
	s_delay_alu instid0(VALU_DEP_1) | instskip(NEXT) | instid1(VALU_DEP_1)
	v_dual_lshrrev_b32 v28, s20, v28 :: v_dual_bitop2_b32 v31, v32, v31 bitop3:0x14
	v_and_b32_e32 v28, s8, v28
	s_delay_alu instid0(VALU_DEP_1)
	v_lshlrev_b32_e32 v28, 3, v28
	ds_load_b64 v[28:29], v28
	s_wait_dscnt 0x0
	v_lshl_add_u64 v[28:29], v[28:29], 2, v[4:5]
	global_store_b32 v[28:29], v31, off offset:-2048
.LBB1433_139:                           ;   in Loop: Header=BB1433_137 Depth=1
	s_wait_xcnt 0x0
	s_or_b32 exec_lo, exec_lo, s3
	v_add_nc_u32_e32 v28, 0x800, v26
	s_mov_b32 s3, exec_lo
	s_delay_alu instid0(VALU_DEP_1)
	v_cmpx_gt_u32_e32 0x1800, v28
	s_cbranch_execz .LBB1433_141
; %bb.140:                              ;   in Loop: Header=BB1433_137 Depth=1
	ds_load_b32 v31, v23 offset:10240
	s_wait_dscnt 0x0
	v_cmp_ne_u32_e32 vcc_lo, 0x7fffffff, v31
	v_cndmask_b32_e32 v28, 0x80000000, v31, vcc_lo
	v_cmp_lt_i32_e32 vcc_lo, -1, v31
	v_cndmask_b32_e64 v32, 0x80000000, -1, vcc_lo
	s_delay_alu instid0(VALU_DEP_1) | instskip(NEXT) | instid1(VALU_DEP_1)
	v_dual_lshrrev_b32 v28, s20, v28 :: v_dual_bitop2_b32 v31, v32, v31 bitop3:0x14
	v_and_b32_e32 v28, s8, v28
	s_delay_alu instid0(VALU_DEP_1)
	v_lshlrev_b32_e32 v28, 3, v28
	ds_load_b64 v[28:29], v28
	s_wait_dscnt 0x0
	v_lshl_add_u64 v[28:29], v[28:29], 2, v[4:5]
	global_store_b32 v[28:29], v31, off
.LBB1433_141:                           ;   in Loop: Header=BB1433_137 Depth=1
	s_wait_xcnt 0x0
	s_or_b32 exec_lo, exec_lo, s3
	s_delay_alu instid0(SALU_CYCLE_1)
	s_mov_b32 s3, exec_lo
	v_cmpx_gt_u32_e32 0xe00, v26
	s_cbranch_execz .LBB1433_143
; %bb.142:                              ;   in Loop: Header=BB1433_137 Depth=1
	ds_load_b32 v31, v23 offset:12288
	s_wait_dscnt 0x0
	v_cmp_ne_u32_e32 vcc_lo, 0x7fffffff, v31
	v_cndmask_b32_e32 v28, 0x80000000, v31, vcc_lo
	v_cmp_lt_i32_e32 vcc_lo, -1, v31
	v_cndmask_b32_e64 v32, 0x80000000, -1, vcc_lo
	s_delay_alu instid0(VALU_DEP_1) | instskip(NEXT) | instid1(VALU_DEP_1)
	v_dual_lshrrev_b32 v28, s20, v28 :: v_dual_bitop2_b32 v31, v32, v31 bitop3:0x14
	v_and_b32_e32 v28, s8, v28
	s_delay_alu instid0(VALU_DEP_1)
	v_lshlrev_b32_e32 v28, 3, v28
	ds_load_b64 v[28:29], v28
	s_wait_dscnt 0x0
	v_lshl_add_u64 v[28:29], v[28:29], 2, v[4:5]
	global_store_b32 v[28:29], v31, off offset:2048
.LBB1433_143:                           ;   in Loop: Header=BB1433_137 Depth=1
	s_wait_xcnt 0x0
	s_or_b32 exec_lo, exec_lo, s3
	v_add_nc_u32_e32 v28, 0xc00, v26
	s_mov_b32 s3, exec_lo
	s_delay_alu instid0(VALU_DEP_1)
	v_cmpx_gt_u32_e32 0x1800, v28
	s_cbranch_execz .LBB1433_145
; %bb.144:                              ;   in Loop: Header=BB1433_137 Depth=1
	ds_load_b32 v31, v23 offset:14336
	s_wait_dscnt 0x0
	v_cmp_ne_u32_e32 vcc_lo, 0x7fffffff, v31
	v_cndmask_b32_e32 v28, 0x80000000, v31, vcc_lo
	v_cmp_lt_i32_e32 vcc_lo, -1, v31
	v_cndmask_b32_e64 v32, 0x80000000, -1, vcc_lo
	s_delay_alu instid0(VALU_DEP_1) | instskip(NEXT) | instid1(VALU_DEP_1)
	v_dual_lshrrev_b32 v28, s20, v28 :: v_dual_bitop2_b32 v31, v32, v31 bitop3:0x14
	v_and_b32_e32 v28, s8, v28
	s_delay_alu instid0(VALU_DEP_1)
	v_lshlrev_b32_e32 v28, 3, v28
	ds_load_b64 v[28:29], v28
	s_wait_dscnt 0x0
	v_lshl_add_u64 v[28:29], v[28:29], 2, v[4:5]
	global_store_b32 v[28:29], v31, off offset:4096
.LBB1433_145:                           ;   in Loop: Header=BB1433_137 Depth=1
	s_wait_xcnt 0x0
	s_or_b32 exec_lo, exec_lo, s3
	s_delay_alu instid0(SALU_CYCLE_1)
	s_mov_b32 s3, exec_lo
	v_cmpx_gt_u32_e32 0xa00, v26
	s_cbranch_execz .LBB1433_136
; %bb.146:                              ;   in Loop: Header=BB1433_137 Depth=1
	ds_load_b32 v31, v23 offset:16384
	s_wait_dscnt 0x0
	v_cmp_ne_u32_e32 vcc_lo, 0x7fffffff, v31
	v_cndmask_b32_e32 v28, 0x80000000, v31, vcc_lo
	v_cmp_lt_i32_e32 vcc_lo, -1, v31
	v_cndmask_b32_e64 v32, 0x80000000, -1, vcc_lo
	s_delay_alu instid0(VALU_DEP_1) | instskip(NEXT) | instid1(VALU_DEP_1)
	v_dual_lshrrev_b32 v28, s20, v28 :: v_dual_bitop2_b32 v31, v32, v31 bitop3:0x14
	v_and_b32_e32 v28, s8, v28
	s_delay_alu instid0(VALU_DEP_1)
	v_lshlrev_b32_e32 v28, 3, v28
	ds_load_b64 v[28:29], v28
	s_wait_dscnt 0x0
	v_lshl_add_u64 v[28:29], v[28:29], 2, v[4:5]
	global_store_b32 v[28:29], v31, off offset:6144
	s_branch .LBB1433_136
.LBB1433_147:
	s_add_co_i32 s7, s7, -1
	s_delay_alu instid0(SALU_CYCLE_1) | instskip(SKIP_2) | instid1(SALU_CYCLE_1)
	s_cmp_eq_u32 s9, s7
	s_cselect_b32 s1, -1, 0
	s_xor_b32 s0, s0, -1
	s_and_b32 s0, s0, s1
	s_delay_alu instid0(SALU_CYCLE_1)
	s_and_saveexec_b32 s1, s0
	s_cbranch_execz .LBB1433_149
; %bb.148:
	ds_load_b64 v[4:5], v3
	v_mov_b32_e32 v3, 0
	s_delay_alu instid0(VALU_DEP_1) | instskip(SKIP_1) | instid1(VALU_DEP_1)
	v_add_nc_u64_e32 v[0:1], v[0:1], v[2:3]
	s_wait_dscnt 0x0
	v_add_nc_u64_e32 v[0:1], v[0:1], v[4:5]
	global_store_b64 v15, v[0:1], s[14:15] scale_offset
.LBB1433_149:
	s_sendmsg sendmsg(MSG_DEALLOC_VGPRS)
	s_endpgm
	.section	.rodata,"a",@progbits
	.p2align	6, 0x0
	.amdhsa_kernel _ZN7rocprim17ROCPRIM_400000_NS6detail17trampoline_kernelINS0_14default_configENS1_35radix_sort_onesweep_config_selectorIfNS0_10empty_typeEEEZZNS1_29radix_sort_onesweep_iterationIS3_Lb0EPKfPfPS5_SB_mNS0_19identity_decomposerENS1_16block_id_wrapperIjLb0EEEEE10hipError_tT1_PNSt15iterator_traitsISG_E10value_typeET2_T3_PNSH_ISM_E10value_typeET4_T5_PSR_SS_PNS1_23onesweep_lookback_stateEbbT6_jjT7_P12ihipStream_tbENKUlT_T0_SG_SL_E_clISA_SA_SB_SB_EEDaSZ_S10_SG_SL_EUlSZ_E_NS1_11comp_targetILNS1_3genE0ELNS1_11target_archE4294967295ELNS1_3gpuE0ELNS1_3repE0EEENS1_47radix_sort_onesweep_sort_config_static_selectorELNS0_4arch9wavefront6targetE0EEEvSG_
		.amdhsa_group_segment_fixed_size 18504
		.amdhsa_private_segment_fixed_size 0
		.amdhsa_kernarg_size 344
		.amdhsa_user_sgpr_count 2
		.amdhsa_user_sgpr_dispatch_ptr 0
		.amdhsa_user_sgpr_queue_ptr 0
		.amdhsa_user_sgpr_kernarg_segment_ptr 1
		.amdhsa_user_sgpr_dispatch_id 0
		.amdhsa_user_sgpr_kernarg_preload_length 0
		.amdhsa_user_sgpr_kernarg_preload_offset 0
		.amdhsa_user_sgpr_private_segment_size 0
		.amdhsa_wavefront_size32 1
		.amdhsa_uses_dynamic_stack 0
		.amdhsa_enable_private_segment 0
		.amdhsa_system_sgpr_workgroup_id_x 1
		.amdhsa_system_sgpr_workgroup_id_y 0
		.amdhsa_system_sgpr_workgroup_id_z 0
		.amdhsa_system_sgpr_workgroup_info 0
		.amdhsa_system_vgpr_workitem_id 2
		.amdhsa_next_free_vgpr 65
		.amdhsa_next_free_sgpr 28
		.amdhsa_named_barrier_count 0
		.amdhsa_reserve_vcc 1
		.amdhsa_float_round_mode_32 0
		.amdhsa_float_round_mode_16_64 0
		.amdhsa_float_denorm_mode_32 3
		.amdhsa_float_denorm_mode_16_64 3
		.amdhsa_fp16_overflow 0
		.amdhsa_memory_ordered 1
		.amdhsa_forward_progress 1
		.amdhsa_inst_pref_size 134
		.amdhsa_round_robin_scheduling 0
		.amdhsa_exception_fp_ieee_invalid_op 0
		.amdhsa_exception_fp_denorm_src 0
		.amdhsa_exception_fp_ieee_div_zero 0
		.amdhsa_exception_fp_ieee_overflow 0
		.amdhsa_exception_fp_ieee_underflow 0
		.amdhsa_exception_fp_ieee_inexact 0
		.amdhsa_exception_int_div_zero 0
	.end_amdhsa_kernel
	.section	.text._ZN7rocprim17ROCPRIM_400000_NS6detail17trampoline_kernelINS0_14default_configENS1_35radix_sort_onesweep_config_selectorIfNS0_10empty_typeEEEZZNS1_29radix_sort_onesweep_iterationIS3_Lb0EPKfPfPS5_SB_mNS0_19identity_decomposerENS1_16block_id_wrapperIjLb0EEEEE10hipError_tT1_PNSt15iterator_traitsISG_E10value_typeET2_T3_PNSH_ISM_E10value_typeET4_T5_PSR_SS_PNS1_23onesweep_lookback_stateEbbT6_jjT7_P12ihipStream_tbENKUlT_T0_SG_SL_E_clISA_SA_SB_SB_EEDaSZ_S10_SG_SL_EUlSZ_E_NS1_11comp_targetILNS1_3genE0ELNS1_11target_archE4294967295ELNS1_3gpuE0ELNS1_3repE0EEENS1_47radix_sort_onesweep_sort_config_static_selectorELNS0_4arch9wavefront6targetE0EEEvSG_,"axG",@progbits,_ZN7rocprim17ROCPRIM_400000_NS6detail17trampoline_kernelINS0_14default_configENS1_35radix_sort_onesweep_config_selectorIfNS0_10empty_typeEEEZZNS1_29radix_sort_onesweep_iterationIS3_Lb0EPKfPfPS5_SB_mNS0_19identity_decomposerENS1_16block_id_wrapperIjLb0EEEEE10hipError_tT1_PNSt15iterator_traitsISG_E10value_typeET2_T3_PNSH_ISM_E10value_typeET4_T5_PSR_SS_PNS1_23onesweep_lookback_stateEbbT6_jjT7_P12ihipStream_tbENKUlT_T0_SG_SL_E_clISA_SA_SB_SB_EEDaSZ_S10_SG_SL_EUlSZ_E_NS1_11comp_targetILNS1_3genE0ELNS1_11target_archE4294967295ELNS1_3gpuE0ELNS1_3repE0EEENS1_47radix_sort_onesweep_sort_config_static_selectorELNS0_4arch9wavefront6targetE0EEEvSG_,comdat
.Lfunc_end1433:
	.size	_ZN7rocprim17ROCPRIM_400000_NS6detail17trampoline_kernelINS0_14default_configENS1_35radix_sort_onesweep_config_selectorIfNS0_10empty_typeEEEZZNS1_29radix_sort_onesweep_iterationIS3_Lb0EPKfPfPS5_SB_mNS0_19identity_decomposerENS1_16block_id_wrapperIjLb0EEEEE10hipError_tT1_PNSt15iterator_traitsISG_E10value_typeET2_T3_PNSH_ISM_E10value_typeET4_T5_PSR_SS_PNS1_23onesweep_lookback_stateEbbT6_jjT7_P12ihipStream_tbENKUlT_T0_SG_SL_E_clISA_SA_SB_SB_EEDaSZ_S10_SG_SL_EUlSZ_E_NS1_11comp_targetILNS1_3genE0ELNS1_11target_archE4294967295ELNS1_3gpuE0ELNS1_3repE0EEENS1_47radix_sort_onesweep_sort_config_static_selectorELNS0_4arch9wavefront6targetE0EEEvSG_, .Lfunc_end1433-_ZN7rocprim17ROCPRIM_400000_NS6detail17trampoline_kernelINS0_14default_configENS1_35radix_sort_onesweep_config_selectorIfNS0_10empty_typeEEEZZNS1_29radix_sort_onesweep_iterationIS3_Lb0EPKfPfPS5_SB_mNS0_19identity_decomposerENS1_16block_id_wrapperIjLb0EEEEE10hipError_tT1_PNSt15iterator_traitsISG_E10value_typeET2_T3_PNSH_ISM_E10value_typeET4_T5_PSR_SS_PNS1_23onesweep_lookback_stateEbbT6_jjT7_P12ihipStream_tbENKUlT_T0_SG_SL_E_clISA_SA_SB_SB_EEDaSZ_S10_SG_SL_EUlSZ_E_NS1_11comp_targetILNS1_3genE0ELNS1_11target_archE4294967295ELNS1_3gpuE0ELNS1_3repE0EEENS1_47radix_sort_onesweep_sort_config_static_selectorELNS0_4arch9wavefront6targetE0EEEvSG_
                                        ; -- End function
	.set _ZN7rocprim17ROCPRIM_400000_NS6detail17trampoline_kernelINS0_14default_configENS1_35radix_sort_onesweep_config_selectorIfNS0_10empty_typeEEEZZNS1_29radix_sort_onesweep_iterationIS3_Lb0EPKfPfPS5_SB_mNS0_19identity_decomposerENS1_16block_id_wrapperIjLb0EEEEE10hipError_tT1_PNSt15iterator_traitsISG_E10value_typeET2_T3_PNSH_ISM_E10value_typeET4_T5_PSR_SS_PNS1_23onesweep_lookback_stateEbbT6_jjT7_P12ihipStream_tbENKUlT_T0_SG_SL_E_clISA_SA_SB_SB_EEDaSZ_S10_SG_SL_EUlSZ_E_NS1_11comp_targetILNS1_3genE0ELNS1_11target_archE4294967295ELNS1_3gpuE0ELNS1_3repE0EEENS1_47radix_sort_onesweep_sort_config_static_selectorELNS0_4arch9wavefront6targetE0EEEvSG_.num_vgpr, 65
	.set _ZN7rocprim17ROCPRIM_400000_NS6detail17trampoline_kernelINS0_14default_configENS1_35radix_sort_onesweep_config_selectorIfNS0_10empty_typeEEEZZNS1_29radix_sort_onesweep_iterationIS3_Lb0EPKfPfPS5_SB_mNS0_19identity_decomposerENS1_16block_id_wrapperIjLb0EEEEE10hipError_tT1_PNSt15iterator_traitsISG_E10value_typeET2_T3_PNSH_ISM_E10value_typeET4_T5_PSR_SS_PNS1_23onesweep_lookback_stateEbbT6_jjT7_P12ihipStream_tbENKUlT_T0_SG_SL_E_clISA_SA_SB_SB_EEDaSZ_S10_SG_SL_EUlSZ_E_NS1_11comp_targetILNS1_3genE0ELNS1_11target_archE4294967295ELNS1_3gpuE0ELNS1_3repE0EEENS1_47radix_sort_onesweep_sort_config_static_selectorELNS0_4arch9wavefront6targetE0EEEvSG_.num_agpr, 0
	.set _ZN7rocprim17ROCPRIM_400000_NS6detail17trampoline_kernelINS0_14default_configENS1_35radix_sort_onesweep_config_selectorIfNS0_10empty_typeEEEZZNS1_29radix_sort_onesweep_iterationIS3_Lb0EPKfPfPS5_SB_mNS0_19identity_decomposerENS1_16block_id_wrapperIjLb0EEEEE10hipError_tT1_PNSt15iterator_traitsISG_E10value_typeET2_T3_PNSH_ISM_E10value_typeET4_T5_PSR_SS_PNS1_23onesweep_lookback_stateEbbT6_jjT7_P12ihipStream_tbENKUlT_T0_SG_SL_E_clISA_SA_SB_SB_EEDaSZ_S10_SG_SL_EUlSZ_E_NS1_11comp_targetILNS1_3genE0ELNS1_11target_archE4294967295ELNS1_3gpuE0ELNS1_3repE0EEENS1_47radix_sort_onesweep_sort_config_static_selectorELNS0_4arch9wavefront6targetE0EEEvSG_.numbered_sgpr, 28
	.set _ZN7rocprim17ROCPRIM_400000_NS6detail17trampoline_kernelINS0_14default_configENS1_35radix_sort_onesweep_config_selectorIfNS0_10empty_typeEEEZZNS1_29radix_sort_onesweep_iterationIS3_Lb0EPKfPfPS5_SB_mNS0_19identity_decomposerENS1_16block_id_wrapperIjLb0EEEEE10hipError_tT1_PNSt15iterator_traitsISG_E10value_typeET2_T3_PNSH_ISM_E10value_typeET4_T5_PSR_SS_PNS1_23onesweep_lookback_stateEbbT6_jjT7_P12ihipStream_tbENKUlT_T0_SG_SL_E_clISA_SA_SB_SB_EEDaSZ_S10_SG_SL_EUlSZ_E_NS1_11comp_targetILNS1_3genE0ELNS1_11target_archE4294967295ELNS1_3gpuE0ELNS1_3repE0EEENS1_47radix_sort_onesweep_sort_config_static_selectorELNS0_4arch9wavefront6targetE0EEEvSG_.num_named_barrier, 0
	.set _ZN7rocprim17ROCPRIM_400000_NS6detail17trampoline_kernelINS0_14default_configENS1_35radix_sort_onesweep_config_selectorIfNS0_10empty_typeEEEZZNS1_29radix_sort_onesweep_iterationIS3_Lb0EPKfPfPS5_SB_mNS0_19identity_decomposerENS1_16block_id_wrapperIjLb0EEEEE10hipError_tT1_PNSt15iterator_traitsISG_E10value_typeET2_T3_PNSH_ISM_E10value_typeET4_T5_PSR_SS_PNS1_23onesweep_lookback_stateEbbT6_jjT7_P12ihipStream_tbENKUlT_T0_SG_SL_E_clISA_SA_SB_SB_EEDaSZ_S10_SG_SL_EUlSZ_E_NS1_11comp_targetILNS1_3genE0ELNS1_11target_archE4294967295ELNS1_3gpuE0ELNS1_3repE0EEENS1_47radix_sort_onesweep_sort_config_static_selectorELNS0_4arch9wavefront6targetE0EEEvSG_.private_seg_size, 0
	.set _ZN7rocprim17ROCPRIM_400000_NS6detail17trampoline_kernelINS0_14default_configENS1_35radix_sort_onesweep_config_selectorIfNS0_10empty_typeEEEZZNS1_29radix_sort_onesweep_iterationIS3_Lb0EPKfPfPS5_SB_mNS0_19identity_decomposerENS1_16block_id_wrapperIjLb0EEEEE10hipError_tT1_PNSt15iterator_traitsISG_E10value_typeET2_T3_PNSH_ISM_E10value_typeET4_T5_PSR_SS_PNS1_23onesweep_lookback_stateEbbT6_jjT7_P12ihipStream_tbENKUlT_T0_SG_SL_E_clISA_SA_SB_SB_EEDaSZ_S10_SG_SL_EUlSZ_E_NS1_11comp_targetILNS1_3genE0ELNS1_11target_archE4294967295ELNS1_3gpuE0ELNS1_3repE0EEENS1_47radix_sort_onesweep_sort_config_static_selectorELNS0_4arch9wavefront6targetE0EEEvSG_.uses_vcc, 1
	.set _ZN7rocprim17ROCPRIM_400000_NS6detail17trampoline_kernelINS0_14default_configENS1_35radix_sort_onesweep_config_selectorIfNS0_10empty_typeEEEZZNS1_29radix_sort_onesweep_iterationIS3_Lb0EPKfPfPS5_SB_mNS0_19identity_decomposerENS1_16block_id_wrapperIjLb0EEEEE10hipError_tT1_PNSt15iterator_traitsISG_E10value_typeET2_T3_PNSH_ISM_E10value_typeET4_T5_PSR_SS_PNS1_23onesweep_lookback_stateEbbT6_jjT7_P12ihipStream_tbENKUlT_T0_SG_SL_E_clISA_SA_SB_SB_EEDaSZ_S10_SG_SL_EUlSZ_E_NS1_11comp_targetILNS1_3genE0ELNS1_11target_archE4294967295ELNS1_3gpuE0ELNS1_3repE0EEENS1_47radix_sort_onesweep_sort_config_static_selectorELNS0_4arch9wavefront6targetE0EEEvSG_.uses_flat_scratch, 0
	.set _ZN7rocprim17ROCPRIM_400000_NS6detail17trampoline_kernelINS0_14default_configENS1_35radix_sort_onesweep_config_selectorIfNS0_10empty_typeEEEZZNS1_29radix_sort_onesweep_iterationIS3_Lb0EPKfPfPS5_SB_mNS0_19identity_decomposerENS1_16block_id_wrapperIjLb0EEEEE10hipError_tT1_PNSt15iterator_traitsISG_E10value_typeET2_T3_PNSH_ISM_E10value_typeET4_T5_PSR_SS_PNS1_23onesweep_lookback_stateEbbT6_jjT7_P12ihipStream_tbENKUlT_T0_SG_SL_E_clISA_SA_SB_SB_EEDaSZ_S10_SG_SL_EUlSZ_E_NS1_11comp_targetILNS1_3genE0ELNS1_11target_archE4294967295ELNS1_3gpuE0ELNS1_3repE0EEENS1_47radix_sort_onesweep_sort_config_static_selectorELNS0_4arch9wavefront6targetE0EEEvSG_.has_dyn_sized_stack, 0
	.set _ZN7rocprim17ROCPRIM_400000_NS6detail17trampoline_kernelINS0_14default_configENS1_35radix_sort_onesweep_config_selectorIfNS0_10empty_typeEEEZZNS1_29radix_sort_onesweep_iterationIS3_Lb0EPKfPfPS5_SB_mNS0_19identity_decomposerENS1_16block_id_wrapperIjLb0EEEEE10hipError_tT1_PNSt15iterator_traitsISG_E10value_typeET2_T3_PNSH_ISM_E10value_typeET4_T5_PSR_SS_PNS1_23onesweep_lookback_stateEbbT6_jjT7_P12ihipStream_tbENKUlT_T0_SG_SL_E_clISA_SA_SB_SB_EEDaSZ_S10_SG_SL_EUlSZ_E_NS1_11comp_targetILNS1_3genE0ELNS1_11target_archE4294967295ELNS1_3gpuE0ELNS1_3repE0EEENS1_47radix_sort_onesweep_sort_config_static_selectorELNS0_4arch9wavefront6targetE0EEEvSG_.has_recursion, 0
	.set _ZN7rocprim17ROCPRIM_400000_NS6detail17trampoline_kernelINS0_14default_configENS1_35radix_sort_onesweep_config_selectorIfNS0_10empty_typeEEEZZNS1_29radix_sort_onesweep_iterationIS3_Lb0EPKfPfPS5_SB_mNS0_19identity_decomposerENS1_16block_id_wrapperIjLb0EEEEE10hipError_tT1_PNSt15iterator_traitsISG_E10value_typeET2_T3_PNSH_ISM_E10value_typeET4_T5_PSR_SS_PNS1_23onesweep_lookback_stateEbbT6_jjT7_P12ihipStream_tbENKUlT_T0_SG_SL_E_clISA_SA_SB_SB_EEDaSZ_S10_SG_SL_EUlSZ_E_NS1_11comp_targetILNS1_3genE0ELNS1_11target_archE4294967295ELNS1_3gpuE0ELNS1_3repE0EEENS1_47radix_sort_onesweep_sort_config_static_selectorELNS0_4arch9wavefront6targetE0EEEvSG_.has_indirect_call, 0
	.section	.AMDGPU.csdata,"",@progbits
; Kernel info:
; codeLenInByte = 17108
; TotalNumSgprs: 30
; NumVgprs: 65
; ScratchSize: 0
; MemoryBound: 0
; FloatMode: 240
; IeeeMode: 1
; LDSByteSize: 18504 bytes/workgroup (compile time only)
; SGPRBlocks: 0
; VGPRBlocks: 4
; NumSGPRsForWavesPerEU: 30
; NumVGPRsForWavesPerEU: 65
; NamedBarCnt: 0
; Occupancy: 12
; WaveLimiterHint : 1
; COMPUTE_PGM_RSRC2:SCRATCH_EN: 0
; COMPUTE_PGM_RSRC2:USER_SGPR: 2
; COMPUTE_PGM_RSRC2:TRAP_HANDLER: 0
; COMPUTE_PGM_RSRC2:TGID_X_EN: 1
; COMPUTE_PGM_RSRC2:TGID_Y_EN: 0
; COMPUTE_PGM_RSRC2:TGID_Z_EN: 0
; COMPUTE_PGM_RSRC2:TIDIG_COMP_CNT: 2
	.section	.text._ZN7rocprim17ROCPRIM_400000_NS6detail17trampoline_kernelINS0_14default_configENS1_35radix_sort_onesweep_config_selectorIfNS0_10empty_typeEEEZZNS1_29radix_sort_onesweep_iterationIS3_Lb0EPKfPfPS5_SB_mNS0_19identity_decomposerENS1_16block_id_wrapperIjLb0EEEEE10hipError_tT1_PNSt15iterator_traitsISG_E10value_typeET2_T3_PNSH_ISM_E10value_typeET4_T5_PSR_SS_PNS1_23onesweep_lookback_stateEbbT6_jjT7_P12ihipStream_tbENKUlT_T0_SG_SL_E_clISA_SA_SB_SB_EEDaSZ_S10_SG_SL_EUlSZ_E_NS1_11comp_targetILNS1_3genE6ELNS1_11target_archE950ELNS1_3gpuE13ELNS1_3repE0EEENS1_47radix_sort_onesweep_sort_config_static_selectorELNS0_4arch9wavefront6targetE0EEEvSG_,"axG",@progbits,_ZN7rocprim17ROCPRIM_400000_NS6detail17trampoline_kernelINS0_14default_configENS1_35radix_sort_onesweep_config_selectorIfNS0_10empty_typeEEEZZNS1_29radix_sort_onesweep_iterationIS3_Lb0EPKfPfPS5_SB_mNS0_19identity_decomposerENS1_16block_id_wrapperIjLb0EEEEE10hipError_tT1_PNSt15iterator_traitsISG_E10value_typeET2_T3_PNSH_ISM_E10value_typeET4_T5_PSR_SS_PNS1_23onesweep_lookback_stateEbbT6_jjT7_P12ihipStream_tbENKUlT_T0_SG_SL_E_clISA_SA_SB_SB_EEDaSZ_S10_SG_SL_EUlSZ_E_NS1_11comp_targetILNS1_3genE6ELNS1_11target_archE950ELNS1_3gpuE13ELNS1_3repE0EEENS1_47radix_sort_onesweep_sort_config_static_selectorELNS0_4arch9wavefront6targetE0EEEvSG_,comdat
	.protected	_ZN7rocprim17ROCPRIM_400000_NS6detail17trampoline_kernelINS0_14default_configENS1_35radix_sort_onesweep_config_selectorIfNS0_10empty_typeEEEZZNS1_29radix_sort_onesweep_iterationIS3_Lb0EPKfPfPS5_SB_mNS0_19identity_decomposerENS1_16block_id_wrapperIjLb0EEEEE10hipError_tT1_PNSt15iterator_traitsISG_E10value_typeET2_T3_PNSH_ISM_E10value_typeET4_T5_PSR_SS_PNS1_23onesweep_lookback_stateEbbT6_jjT7_P12ihipStream_tbENKUlT_T0_SG_SL_E_clISA_SA_SB_SB_EEDaSZ_S10_SG_SL_EUlSZ_E_NS1_11comp_targetILNS1_3genE6ELNS1_11target_archE950ELNS1_3gpuE13ELNS1_3repE0EEENS1_47radix_sort_onesweep_sort_config_static_selectorELNS0_4arch9wavefront6targetE0EEEvSG_ ; -- Begin function _ZN7rocprim17ROCPRIM_400000_NS6detail17trampoline_kernelINS0_14default_configENS1_35radix_sort_onesweep_config_selectorIfNS0_10empty_typeEEEZZNS1_29radix_sort_onesweep_iterationIS3_Lb0EPKfPfPS5_SB_mNS0_19identity_decomposerENS1_16block_id_wrapperIjLb0EEEEE10hipError_tT1_PNSt15iterator_traitsISG_E10value_typeET2_T3_PNSH_ISM_E10value_typeET4_T5_PSR_SS_PNS1_23onesweep_lookback_stateEbbT6_jjT7_P12ihipStream_tbENKUlT_T0_SG_SL_E_clISA_SA_SB_SB_EEDaSZ_S10_SG_SL_EUlSZ_E_NS1_11comp_targetILNS1_3genE6ELNS1_11target_archE950ELNS1_3gpuE13ELNS1_3repE0EEENS1_47radix_sort_onesweep_sort_config_static_selectorELNS0_4arch9wavefront6targetE0EEEvSG_
	.globl	_ZN7rocprim17ROCPRIM_400000_NS6detail17trampoline_kernelINS0_14default_configENS1_35radix_sort_onesweep_config_selectorIfNS0_10empty_typeEEEZZNS1_29radix_sort_onesweep_iterationIS3_Lb0EPKfPfPS5_SB_mNS0_19identity_decomposerENS1_16block_id_wrapperIjLb0EEEEE10hipError_tT1_PNSt15iterator_traitsISG_E10value_typeET2_T3_PNSH_ISM_E10value_typeET4_T5_PSR_SS_PNS1_23onesweep_lookback_stateEbbT6_jjT7_P12ihipStream_tbENKUlT_T0_SG_SL_E_clISA_SA_SB_SB_EEDaSZ_S10_SG_SL_EUlSZ_E_NS1_11comp_targetILNS1_3genE6ELNS1_11target_archE950ELNS1_3gpuE13ELNS1_3repE0EEENS1_47radix_sort_onesweep_sort_config_static_selectorELNS0_4arch9wavefront6targetE0EEEvSG_
	.p2align	8
	.type	_ZN7rocprim17ROCPRIM_400000_NS6detail17trampoline_kernelINS0_14default_configENS1_35radix_sort_onesweep_config_selectorIfNS0_10empty_typeEEEZZNS1_29radix_sort_onesweep_iterationIS3_Lb0EPKfPfPS5_SB_mNS0_19identity_decomposerENS1_16block_id_wrapperIjLb0EEEEE10hipError_tT1_PNSt15iterator_traitsISG_E10value_typeET2_T3_PNSH_ISM_E10value_typeET4_T5_PSR_SS_PNS1_23onesweep_lookback_stateEbbT6_jjT7_P12ihipStream_tbENKUlT_T0_SG_SL_E_clISA_SA_SB_SB_EEDaSZ_S10_SG_SL_EUlSZ_E_NS1_11comp_targetILNS1_3genE6ELNS1_11target_archE950ELNS1_3gpuE13ELNS1_3repE0EEENS1_47radix_sort_onesweep_sort_config_static_selectorELNS0_4arch9wavefront6targetE0EEEvSG_,@function
_ZN7rocprim17ROCPRIM_400000_NS6detail17trampoline_kernelINS0_14default_configENS1_35radix_sort_onesweep_config_selectorIfNS0_10empty_typeEEEZZNS1_29radix_sort_onesweep_iterationIS3_Lb0EPKfPfPS5_SB_mNS0_19identity_decomposerENS1_16block_id_wrapperIjLb0EEEEE10hipError_tT1_PNSt15iterator_traitsISG_E10value_typeET2_T3_PNSH_ISM_E10value_typeET4_T5_PSR_SS_PNS1_23onesweep_lookback_stateEbbT6_jjT7_P12ihipStream_tbENKUlT_T0_SG_SL_E_clISA_SA_SB_SB_EEDaSZ_S10_SG_SL_EUlSZ_E_NS1_11comp_targetILNS1_3genE6ELNS1_11target_archE950ELNS1_3gpuE13ELNS1_3repE0EEENS1_47radix_sort_onesweep_sort_config_static_selectorELNS0_4arch9wavefront6targetE0EEEvSG_: ; @_ZN7rocprim17ROCPRIM_400000_NS6detail17trampoline_kernelINS0_14default_configENS1_35radix_sort_onesweep_config_selectorIfNS0_10empty_typeEEEZZNS1_29radix_sort_onesweep_iterationIS3_Lb0EPKfPfPS5_SB_mNS0_19identity_decomposerENS1_16block_id_wrapperIjLb0EEEEE10hipError_tT1_PNSt15iterator_traitsISG_E10value_typeET2_T3_PNSH_ISM_E10value_typeET4_T5_PSR_SS_PNS1_23onesweep_lookback_stateEbbT6_jjT7_P12ihipStream_tbENKUlT_T0_SG_SL_E_clISA_SA_SB_SB_EEDaSZ_S10_SG_SL_EUlSZ_E_NS1_11comp_targetILNS1_3genE6ELNS1_11target_archE950ELNS1_3gpuE13ELNS1_3repE0EEENS1_47radix_sort_onesweep_sort_config_static_selectorELNS0_4arch9wavefront6targetE0EEEvSG_
; %bb.0:
	.section	.rodata,"a",@progbits
	.p2align	6, 0x0
	.amdhsa_kernel _ZN7rocprim17ROCPRIM_400000_NS6detail17trampoline_kernelINS0_14default_configENS1_35radix_sort_onesweep_config_selectorIfNS0_10empty_typeEEEZZNS1_29radix_sort_onesweep_iterationIS3_Lb0EPKfPfPS5_SB_mNS0_19identity_decomposerENS1_16block_id_wrapperIjLb0EEEEE10hipError_tT1_PNSt15iterator_traitsISG_E10value_typeET2_T3_PNSH_ISM_E10value_typeET4_T5_PSR_SS_PNS1_23onesweep_lookback_stateEbbT6_jjT7_P12ihipStream_tbENKUlT_T0_SG_SL_E_clISA_SA_SB_SB_EEDaSZ_S10_SG_SL_EUlSZ_E_NS1_11comp_targetILNS1_3genE6ELNS1_11target_archE950ELNS1_3gpuE13ELNS1_3repE0EEENS1_47radix_sort_onesweep_sort_config_static_selectorELNS0_4arch9wavefront6targetE0EEEvSG_
		.amdhsa_group_segment_fixed_size 0
		.amdhsa_private_segment_fixed_size 0
		.amdhsa_kernarg_size 88
		.amdhsa_user_sgpr_count 2
		.amdhsa_user_sgpr_dispatch_ptr 0
		.amdhsa_user_sgpr_queue_ptr 0
		.amdhsa_user_sgpr_kernarg_segment_ptr 1
		.amdhsa_user_sgpr_dispatch_id 0
		.amdhsa_user_sgpr_kernarg_preload_length 0
		.amdhsa_user_sgpr_kernarg_preload_offset 0
		.amdhsa_user_sgpr_private_segment_size 0
		.amdhsa_wavefront_size32 1
		.amdhsa_uses_dynamic_stack 0
		.amdhsa_enable_private_segment 0
		.amdhsa_system_sgpr_workgroup_id_x 1
		.amdhsa_system_sgpr_workgroup_id_y 0
		.amdhsa_system_sgpr_workgroup_id_z 0
		.amdhsa_system_sgpr_workgroup_info 0
		.amdhsa_system_vgpr_workitem_id 0
		.amdhsa_next_free_vgpr 1
		.amdhsa_next_free_sgpr 1
		.amdhsa_named_barrier_count 0
		.amdhsa_reserve_vcc 0
		.amdhsa_float_round_mode_32 0
		.amdhsa_float_round_mode_16_64 0
		.amdhsa_float_denorm_mode_32 3
		.amdhsa_float_denorm_mode_16_64 3
		.amdhsa_fp16_overflow 0
		.amdhsa_memory_ordered 1
		.amdhsa_forward_progress 1
		.amdhsa_inst_pref_size 0
		.amdhsa_round_robin_scheduling 0
		.amdhsa_exception_fp_ieee_invalid_op 0
		.amdhsa_exception_fp_denorm_src 0
		.amdhsa_exception_fp_ieee_div_zero 0
		.amdhsa_exception_fp_ieee_overflow 0
		.amdhsa_exception_fp_ieee_underflow 0
		.amdhsa_exception_fp_ieee_inexact 0
		.amdhsa_exception_int_div_zero 0
	.end_amdhsa_kernel
	.section	.text._ZN7rocprim17ROCPRIM_400000_NS6detail17trampoline_kernelINS0_14default_configENS1_35radix_sort_onesweep_config_selectorIfNS0_10empty_typeEEEZZNS1_29radix_sort_onesweep_iterationIS3_Lb0EPKfPfPS5_SB_mNS0_19identity_decomposerENS1_16block_id_wrapperIjLb0EEEEE10hipError_tT1_PNSt15iterator_traitsISG_E10value_typeET2_T3_PNSH_ISM_E10value_typeET4_T5_PSR_SS_PNS1_23onesweep_lookback_stateEbbT6_jjT7_P12ihipStream_tbENKUlT_T0_SG_SL_E_clISA_SA_SB_SB_EEDaSZ_S10_SG_SL_EUlSZ_E_NS1_11comp_targetILNS1_3genE6ELNS1_11target_archE950ELNS1_3gpuE13ELNS1_3repE0EEENS1_47radix_sort_onesweep_sort_config_static_selectorELNS0_4arch9wavefront6targetE0EEEvSG_,"axG",@progbits,_ZN7rocprim17ROCPRIM_400000_NS6detail17trampoline_kernelINS0_14default_configENS1_35radix_sort_onesweep_config_selectorIfNS0_10empty_typeEEEZZNS1_29radix_sort_onesweep_iterationIS3_Lb0EPKfPfPS5_SB_mNS0_19identity_decomposerENS1_16block_id_wrapperIjLb0EEEEE10hipError_tT1_PNSt15iterator_traitsISG_E10value_typeET2_T3_PNSH_ISM_E10value_typeET4_T5_PSR_SS_PNS1_23onesweep_lookback_stateEbbT6_jjT7_P12ihipStream_tbENKUlT_T0_SG_SL_E_clISA_SA_SB_SB_EEDaSZ_S10_SG_SL_EUlSZ_E_NS1_11comp_targetILNS1_3genE6ELNS1_11target_archE950ELNS1_3gpuE13ELNS1_3repE0EEENS1_47radix_sort_onesweep_sort_config_static_selectorELNS0_4arch9wavefront6targetE0EEEvSG_,comdat
.Lfunc_end1434:
	.size	_ZN7rocprim17ROCPRIM_400000_NS6detail17trampoline_kernelINS0_14default_configENS1_35radix_sort_onesweep_config_selectorIfNS0_10empty_typeEEEZZNS1_29radix_sort_onesweep_iterationIS3_Lb0EPKfPfPS5_SB_mNS0_19identity_decomposerENS1_16block_id_wrapperIjLb0EEEEE10hipError_tT1_PNSt15iterator_traitsISG_E10value_typeET2_T3_PNSH_ISM_E10value_typeET4_T5_PSR_SS_PNS1_23onesweep_lookback_stateEbbT6_jjT7_P12ihipStream_tbENKUlT_T0_SG_SL_E_clISA_SA_SB_SB_EEDaSZ_S10_SG_SL_EUlSZ_E_NS1_11comp_targetILNS1_3genE6ELNS1_11target_archE950ELNS1_3gpuE13ELNS1_3repE0EEENS1_47radix_sort_onesweep_sort_config_static_selectorELNS0_4arch9wavefront6targetE0EEEvSG_, .Lfunc_end1434-_ZN7rocprim17ROCPRIM_400000_NS6detail17trampoline_kernelINS0_14default_configENS1_35radix_sort_onesweep_config_selectorIfNS0_10empty_typeEEEZZNS1_29radix_sort_onesweep_iterationIS3_Lb0EPKfPfPS5_SB_mNS0_19identity_decomposerENS1_16block_id_wrapperIjLb0EEEEE10hipError_tT1_PNSt15iterator_traitsISG_E10value_typeET2_T3_PNSH_ISM_E10value_typeET4_T5_PSR_SS_PNS1_23onesweep_lookback_stateEbbT6_jjT7_P12ihipStream_tbENKUlT_T0_SG_SL_E_clISA_SA_SB_SB_EEDaSZ_S10_SG_SL_EUlSZ_E_NS1_11comp_targetILNS1_3genE6ELNS1_11target_archE950ELNS1_3gpuE13ELNS1_3repE0EEENS1_47radix_sort_onesweep_sort_config_static_selectorELNS0_4arch9wavefront6targetE0EEEvSG_
                                        ; -- End function
	.set _ZN7rocprim17ROCPRIM_400000_NS6detail17trampoline_kernelINS0_14default_configENS1_35radix_sort_onesweep_config_selectorIfNS0_10empty_typeEEEZZNS1_29radix_sort_onesweep_iterationIS3_Lb0EPKfPfPS5_SB_mNS0_19identity_decomposerENS1_16block_id_wrapperIjLb0EEEEE10hipError_tT1_PNSt15iterator_traitsISG_E10value_typeET2_T3_PNSH_ISM_E10value_typeET4_T5_PSR_SS_PNS1_23onesweep_lookback_stateEbbT6_jjT7_P12ihipStream_tbENKUlT_T0_SG_SL_E_clISA_SA_SB_SB_EEDaSZ_S10_SG_SL_EUlSZ_E_NS1_11comp_targetILNS1_3genE6ELNS1_11target_archE950ELNS1_3gpuE13ELNS1_3repE0EEENS1_47radix_sort_onesweep_sort_config_static_selectorELNS0_4arch9wavefront6targetE0EEEvSG_.num_vgpr, 0
	.set _ZN7rocprim17ROCPRIM_400000_NS6detail17trampoline_kernelINS0_14default_configENS1_35radix_sort_onesweep_config_selectorIfNS0_10empty_typeEEEZZNS1_29radix_sort_onesweep_iterationIS3_Lb0EPKfPfPS5_SB_mNS0_19identity_decomposerENS1_16block_id_wrapperIjLb0EEEEE10hipError_tT1_PNSt15iterator_traitsISG_E10value_typeET2_T3_PNSH_ISM_E10value_typeET4_T5_PSR_SS_PNS1_23onesweep_lookback_stateEbbT6_jjT7_P12ihipStream_tbENKUlT_T0_SG_SL_E_clISA_SA_SB_SB_EEDaSZ_S10_SG_SL_EUlSZ_E_NS1_11comp_targetILNS1_3genE6ELNS1_11target_archE950ELNS1_3gpuE13ELNS1_3repE0EEENS1_47radix_sort_onesweep_sort_config_static_selectorELNS0_4arch9wavefront6targetE0EEEvSG_.num_agpr, 0
	.set _ZN7rocprim17ROCPRIM_400000_NS6detail17trampoline_kernelINS0_14default_configENS1_35radix_sort_onesweep_config_selectorIfNS0_10empty_typeEEEZZNS1_29radix_sort_onesweep_iterationIS3_Lb0EPKfPfPS5_SB_mNS0_19identity_decomposerENS1_16block_id_wrapperIjLb0EEEEE10hipError_tT1_PNSt15iterator_traitsISG_E10value_typeET2_T3_PNSH_ISM_E10value_typeET4_T5_PSR_SS_PNS1_23onesweep_lookback_stateEbbT6_jjT7_P12ihipStream_tbENKUlT_T0_SG_SL_E_clISA_SA_SB_SB_EEDaSZ_S10_SG_SL_EUlSZ_E_NS1_11comp_targetILNS1_3genE6ELNS1_11target_archE950ELNS1_3gpuE13ELNS1_3repE0EEENS1_47radix_sort_onesweep_sort_config_static_selectorELNS0_4arch9wavefront6targetE0EEEvSG_.numbered_sgpr, 0
	.set _ZN7rocprim17ROCPRIM_400000_NS6detail17trampoline_kernelINS0_14default_configENS1_35radix_sort_onesweep_config_selectorIfNS0_10empty_typeEEEZZNS1_29radix_sort_onesweep_iterationIS3_Lb0EPKfPfPS5_SB_mNS0_19identity_decomposerENS1_16block_id_wrapperIjLb0EEEEE10hipError_tT1_PNSt15iterator_traitsISG_E10value_typeET2_T3_PNSH_ISM_E10value_typeET4_T5_PSR_SS_PNS1_23onesweep_lookback_stateEbbT6_jjT7_P12ihipStream_tbENKUlT_T0_SG_SL_E_clISA_SA_SB_SB_EEDaSZ_S10_SG_SL_EUlSZ_E_NS1_11comp_targetILNS1_3genE6ELNS1_11target_archE950ELNS1_3gpuE13ELNS1_3repE0EEENS1_47radix_sort_onesweep_sort_config_static_selectorELNS0_4arch9wavefront6targetE0EEEvSG_.num_named_barrier, 0
	.set _ZN7rocprim17ROCPRIM_400000_NS6detail17trampoline_kernelINS0_14default_configENS1_35radix_sort_onesweep_config_selectorIfNS0_10empty_typeEEEZZNS1_29radix_sort_onesweep_iterationIS3_Lb0EPKfPfPS5_SB_mNS0_19identity_decomposerENS1_16block_id_wrapperIjLb0EEEEE10hipError_tT1_PNSt15iterator_traitsISG_E10value_typeET2_T3_PNSH_ISM_E10value_typeET4_T5_PSR_SS_PNS1_23onesweep_lookback_stateEbbT6_jjT7_P12ihipStream_tbENKUlT_T0_SG_SL_E_clISA_SA_SB_SB_EEDaSZ_S10_SG_SL_EUlSZ_E_NS1_11comp_targetILNS1_3genE6ELNS1_11target_archE950ELNS1_3gpuE13ELNS1_3repE0EEENS1_47radix_sort_onesweep_sort_config_static_selectorELNS0_4arch9wavefront6targetE0EEEvSG_.private_seg_size, 0
	.set _ZN7rocprim17ROCPRIM_400000_NS6detail17trampoline_kernelINS0_14default_configENS1_35radix_sort_onesweep_config_selectorIfNS0_10empty_typeEEEZZNS1_29radix_sort_onesweep_iterationIS3_Lb0EPKfPfPS5_SB_mNS0_19identity_decomposerENS1_16block_id_wrapperIjLb0EEEEE10hipError_tT1_PNSt15iterator_traitsISG_E10value_typeET2_T3_PNSH_ISM_E10value_typeET4_T5_PSR_SS_PNS1_23onesweep_lookback_stateEbbT6_jjT7_P12ihipStream_tbENKUlT_T0_SG_SL_E_clISA_SA_SB_SB_EEDaSZ_S10_SG_SL_EUlSZ_E_NS1_11comp_targetILNS1_3genE6ELNS1_11target_archE950ELNS1_3gpuE13ELNS1_3repE0EEENS1_47radix_sort_onesweep_sort_config_static_selectorELNS0_4arch9wavefront6targetE0EEEvSG_.uses_vcc, 0
	.set _ZN7rocprim17ROCPRIM_400000_NS6detail17trampoline_kernelINS0_14default_configENS1_35radix_sort_onesweep_config_selectorIfNS0_10empty_typeEEEZZNS1_29radix_sort_onesweep_iterationIS3_Lb0EPKfPfPS5_SB_mNS0_19identity_decomposerENS1_16block_id_wrapperIjLb0EEEEE10hipError_tT1_PNSt15iterator_traitsISG_E10value_typeET2_T3_PNSH_ISM_E10value_typeET4_T5_PSR_SS_PNS1_23onesweep_lookback_stateEbbT6_jjT7_P12ihipStream_tbENKUlT_T0_SG_SL_E_clISA_SA_SB_SB_EEDaSZ_S10_SG_SL_EUlSZ_E_NS1_11comp_targetILNS1_3genE6ELNS1_11target_archE950ELNS1_3gpuE13ELNS1_3repE0EEENS1_47radix_sort_onesweep_sort_config_static_selectorELNS0_4arch9wavefront6targetE0EEEvSG_.uses_flat_scratch, 0
	.set _ZN7rocprim17ROCPRIM_400000_NS6detail17trampoline_kernelINS0_14default_configENS1_35radix_sort_onesweep_config_selectorIfNS0_10empty_typeEEEZZNS1_29radix_sort_onesweep_iterationIS3_Lb0EPKfPfPS5_SB_mNS0_19identity_decomposerENS1_16block_id_wrapperIjLb0EEEEE10hipError_tT1_PNSt15iterator_traitsISG_E10value_typeET2_T3_PNSH_ISM_E10value_typeET4_T5_PSR_SS_PNS1_23onesweep_lookback_stateEbbT6_jjT7_P12ihipStream_tbENKUlT_T0_SG_SL_E_clISA_SA_SB_SB_EEDaSZ_S10_SG_SL_EUlSZ_E_NS1_11comp_targetILNS1_3genE6ELNS1_11target_archE950ELNS1_3gpuE13ELNS1_3repE0EEENS1_47radix_sort_onesweep_sort_config_static_selectorELNS0_4arch9wavefront6targetE0EEEvSG_.has_dyn_sized_stack, 0
	.set _ZN7rocprim17ROCPRIM_400000_NS6detail17trampoline_kernelINS0_14default_configENS1_35radix_sort_onesweep_config_selectorIfNS0_10empty_typeEEEZZNS1_29radix_sort_onesweep_iterationIS3_Lb0EPKfPfPS5_SB_mNS0_19identity_decomposerENS1_16block_id_wrapperIjLb0EEEEE10hipError_tT1_PNSt15iterator_traitsISG_E10value_typeET2_T3_PNSH_ISM_E10value_typeET4_T5_PSR_SS_PNS1_23onesweep_lookback_stateEbbT6_jjT7_P12ihipStream_tbENKUlT_T0_SG_SL_E_clISA_SA_SB_SB_EEDaSZ_S10_SG_SL_EUlSZ_E_NS1_11comp_targetILNS1_3genE6ELNS1_11target_archE950ELNS1_3gpuE13ELNS1_3repE0EEENS1_47radix_sort_onesweep_sort_config_static_selectorELNS0_4arch9wavefront6targetE0EEEvSG_.has_recursion, 0
	.set _ZN7rocprim17ROCPRIM_400000_NS6detail17trampoline_kernelINS0_14default_configENS1_35radix_sort_onesweep_config_selectorIfNS0_10empty_typeEEEZZNS1_29radix_sort_onesweep_iterationIS3_Lb0EPKfPfPS5_SB_mNS0_19identity_decomposerENS1_16block_id_wrapperIjLb0EEEEE10hipError_tT1_PNSt15iterator_traitsISG_E10value_typeET2_T3_PNSH_ISM_E10value_typeET4_T5_PSR_SS_PNS1_23onesweep_lookback_stateEbbT6_jjT7_P12ihipStream_tbENKUlT_T0_SG_SL_E_clISA_SA_SB_SB_EEDaSZ_S10_SG_SL_EUlSZ_E_NS1_11comp_targetILNS1_3genE6ELNS1_11target_archE950ELNS1_3gpuE13ELNS1_3repE0EEENS1_47radix_sort_onesweep_sort_config_static_selectorELNS0_4arch9wavefront6targetE0EEEvSG_.has_indirect_call, 0
	.section	.AMDGPU.csdata,"",@progbits
; Kernel info:
; codeLenInByte = 0
; TotalNumSgprs: 0
; NumVgprs: 0
; ScratchSize: 0
; MemoryBound: 0
; FloatMode: 240
; IeeeMode: 1
; LDSByteSize: 0 bytes/workgroup (compile time only)
; SGPRBlocks: 0
; VGPRBlocks: 0
; NumSGPRsForWavesPerEU: 1
; NumVGPRsForWavesPerEU: 1
; NamedBarCnt: 0
; Occupancy: 16
; WaveLimiterHint : 0
; COMPUTE_PGM_RSRC2:SCRATCH_EN: 0
; COMPUTE_PGM_RSRC2:USER_SGPR: 2
; COMPUTE_PGM_RSRC2:TRAP_HANDLER: 0
; COMPUTE_PGM_RSRC2:TGID_X_EN: 1
; COMPUTE_PGM_RSRC2:TGID_Y_EN: 0
; COMPUTE_PGM_RSRC2:TGID_Z_EN: 0
; COMPUTE_PGM_RSRC2:TIDIG_COMP_CNT: 0
	.section	.text._ZN7rocprim17ROCPRIM_400000_NS6detail17trampoline_kernelINS0_14default_configENS1_35radix_sort_onesweep_config_selectorIfNS0_10empty_typeEEEZZNS1_29radix_sort_onesweep_iterationIS3_Lb0EPKfPfPS5_SB_mNS0_19identity_decomposerENS1_16block_id_wrapperIjLb0EEEEE10hipError_tT1_PNSt15iterator_traitsISG_E10value_typeET2_T3_PNSH_ISM_E10value_typeET4_T5_PSR_SS_PNS1_23onesweep_lookback_stateEbbT6_jjT7_P12ihipStream_tbENKUlT_T0_SG_SL_E_clISA_SA_SB_SB_EEDaSZ_S10_SG_SL_EUlSZ_E_NS1_11comp_targetILNS1_3genE5ELNS1_11target_archE942ELNS1_3gpuE9ELNS1_3repE0EEENS1_47radix_sort_onesweep_sort_config_static_selectorELNS0_4arch9wavefront6targetE0EEEvSG_,"axG",@progbits,_ZN7rocprim17ROCPRIM_400000_NS6detail17trampoline_kernelINS0_14default_configENS1_35radix_sort_onesweep_config_selectorIfNS0_10empty_typeEEEZZNS1_29radix_sort_onesweep_iterationIS3_Lb0EPKfPfPS5_SB_mNS0_19identity_decomposerENS1_16block_id_wrapperIjLb0EEEEE10hipError_tT1_PNSt15iterator_traitsISG_E10value_typeET2_T3_PNSH_ISM_E10value_typeET4_T5_PSR_SS_PNS1_23onesweep_lookback_stateEbbT6_jjT7_P12ihipStream_tbENKUlT_T0_SG_SL_E_clISA_SA_SB_SB_EEDaSZ_S10_SG_SL_EUlSZ_E_NS1_11comp_targetILNS1_3genE5ELNS1_11target_archE942ELNS1_3gpuE9ELNS1_3repE0EEENS1_47radix_sort_onesweep_sort_config_static_selectorELNS0_4arch9wavefront6targetE0EEEvSG_,comdat
	.protected	_ZN7rocprim17ROCPRIM_400000_NS6detail17trampoline_kernelINS0_14default_configENS1_35radix_sort_onesweep_config_selectorIfNS0_10empty_typeEEEZZNS1_29radix_sort_onesweep_iterationIS3_Lb0EPKfPfPS5_SB_mNS0_19identity_decomposerENS1_16block_id_wrapperIjLb0EEEEE10hipError_tT1_PNSt15iterator_traitsISG_E10value_typeET2_T3_PNSH_ISM_E10value_typeET4_T5_PSR_SS_PNS1_23onesweep_lookback_stateEbbT6_jjT7_P12ihipStream_tbENKUlT_T0_SG_SL_E_clISA_SA_SB_SB_EEDaSZ_S10_SG_SL_EUlSZ_E_NS1_11comp_targetILNS1_3genE5ELNS1_11target_archE942ELNS1_3gpuE9ELNS1_3repE0EEENS1_47radix_sort_onesweep_sort_config_static_selectorELNS0_4arch9wavefront6targetE0EEEvSG_ ; -- Begin function _ZN7rocprim17ROCPRIM_400000_NS6detail17trampoline_kernelINS0_14default_configENS1_35radix_sort_onesweep_config_selectorIfNS0_10empty_typeEEEZZNS1_29radix_sort_onesweep_iterationIS3_Lb0EPKfPfPS5_SB_mNS0_19identity_decomposerENS1_16block_id_wrapperIjLb0EEEEE10hipError_tT1_PNSt15iterator_traitsISG_E10value_typeET2_T3_PNSH_ISM_E10value_typeET4_T5_PSR_SS_PNS1_23onesweep_lookback_stateEbbT6_jjT7_P12ihipStream_tbENKUlT_T0_SG_SL_E_clISA_SA_SB_SB_EEDaSZ_S10_SG_SL_EUlSZ_E_NS1_11comp_targetILNS1_3genE5ELNS1_11target_archE942ELNS1_3gpuE9ELNS1_3repE0EEENS1_47radix_sort_onesweep_sort_config_static_selectorELNS0_4arch9wavefront6targetE0EEEvSG_
	.globl	_ZN7rocprim17ROCPRIM_400000_NS6detail17trampoline_kernelINS0_14default_configENS1_35radix_sort_onesweep_config_selectorIfNS0_10empty_typeEEEZZNS1_29radix_sort_onesweep_iterationIS3_Lb0EPKfPfPS5_SB_mNS0_19identity_decomposerENS1_16block_id_wrapperIjLb0EEEEE10hipError_tT1_PNSt15iterator_traitsISG_E10value_typeET2_T3_PNSH_ISM_E10value_typeET4_T5_PSR_SS_PNS1_23onesweep_lookback_stateEbbT6_jjT7_P12ihipStream_tbENKUlT_T0_SG_SL_E_clISA_SA_SB_SB_EEDaSZ_S10_SG_SL_EUlSZ_E_NS1_11comp_targetILNS1_3genE5ELNS1_11target_archE942ELNS1_3gpuE9ELNS1_3repE0EEENS1_47radix_sort_onesweep_sort_config_static_selectorELNS0_4arch9wavefront6targetE0EEEvSG_
	.p2align	8
	.type	_ZN7rocprim17ROCPRIM_400000_NS6detail17trampoline_kernelINS0_14default_configENS1_35radix_sort_onesweep_config_selectorIfNS0_10empty_typeEEEZZNS1_29radix_sort_onesweep_iterationIS3_Lb0EPKfPfPS5_SB_mNS0_19identity_decomposerENS1_16block_id_wrapperIjLb0EEEEE10hipError_tT1_PNSt15iterator_traitsISG_E10value_typeET2_T3_PNSH_ISM_E10value_typeET4_T5_PSR_SS_PNS1_23onesweep_lookback_stateEbbT6_jjT7_P12ihipStream_tbENKUlT_T0_SG_SL_E_clISA_SA_SB_SB_EEDaSZ_S10_SG_SL_EUlSZ_E_NS1_11comp_targetILNS1_3genE5ELNS1_11target_archE942ELNS1_3gpuE9ELNS1_3repE0EEENS1_47radix_sort_onesweep_sort_config_static_selectorELNS0_4arch9wavefront6targetE0EEEvSG_,@function
_ZN7rocprim17ROCPRIM_400000_NS6detail17trampoline_kernelINS0_14default_configENS1_35radix_sort_onesweep_config_selectorIfNS0_10empty_typeEEEZZNS1_29radix_sort_onesweep_iterationIS3_Lb0EPKfPfPS5_SB_mNS0_19identity_decomposerENS1_16block_id_wrapperIjLb0EEEEE10hipError_tT1_PNSt15iterator_traitsISG_E10value_typeET2_T3_PNSH_ISM_E10value_typeET4_T5_PSR_SS_PNS1_23onesweep_lookback_stateEbbT6_jjT7_P12ihipStream_tbENKUlT_T0_SG_SL_E_clISA_SA_SB_SB_EEDaSZ_S10_SG_SL_EUlSZ_E_NS1_11comp_targetILNS1_3genE5ELNS1_11target_archE942ELNS1_3gpuE9ELNS1_3repE0EEENS1_47radix_sort_onesweep_sort_config_static_selectorELNS0_4arch9wavefront6targetE0EEEvSG_: ; @_ZN7rocprim17ROCPRIM_400000_NS6detail17trampoline_kernelINS0_14default_configENS1_35radix_sort_onesweep_config_selectorIfNS0_10empty_typeEEEZZNS1_29radix_sort_onesweep_iterationIS3_Lb0EPKfPfPS5_SB_mNS0_19identity_decomposerENS1_16block_id_wrapperIjLb0EEEEE10hipError_tT1_PNSt15iterator_traitsISG_E10value_typeET2_T3_PNSH_ISM_E10value_typeET4_T5_PSR_SS_PNS1_23onesweep_lookback_stateEbbT6_jjT7_P12ihipStream_tbENKUlT_T0_SG_SL_E_clISA_SA_SB_SB_EEDaSZ_S10_SG_SL_EUlSZ_E_NS1_11comp_targetILNS1_3genE5ELNS1_11target_archE942ELNS1_3gpuE9ELNS1_3repE0EEENS1_47radix_sort_onesweep_sort_config_static_selectorELNS0_4arch9wavefront6targetE0EEEvSG_
; %bb.0:
	.section	.rodata,"a",@progbits
	.p2align	6, 0x0
	.amdhsa_kernel _ZN7rocprim17ROCPRIM_400000_NS6detail17trampoline_kernelINS0_14default_configENS1_35radix_sort_onesweep_config_selectorIfNS0_10empty_typeEEEZZNS1_29radix_sort_onesweep_iterationIS3_Lb0EPKfPfPS5_SB_mNS0_19identity_decomposerENS1_16block_id_wrapperIjLb0EEEEE10hipError_tT1_PNSt15iterator_traitsISG_E10value_typeET2_T3_PNSH_ISM_E10value_typeET4_T5_PSR_SS_PNS1_23onesweep_lookback_stateEbbT6_jjT7_P12ihipStream_tbENKUlT_T0_SG_SL_E_clISA_SA_SB_SB_EEDaSZ_S10_SG_SL_EUlSZ_E_NS1_11comp_targetILNS1_3genE5ELNS1_11target_archE942ELNS1_3gpuE9ELNS1_3repE0EEENS1_47radix_sort_onesweep_sort_config_static_selectorELNS0_4arch9wavefront6targetE0EEEvSG_
		.amdhsa_group_segment_fixed_size 0
		.amdhsa_private_segment_fixed_size 0
		.amdhsa_kernarg_size 88
		.amdhsa_user_sgpr_count 2
		.amdhsa_user_sgpr_dispatch_ptr 0
		.amdhsa_user_sgpr_queue_ptr 0
		.amdhsa_user_sgpr_kernarg_segment_ptr 1
		.amdhsa_user_sgpr_dispatch_id 0
		.amdhsa_user_sgpr_kernarg_preload_length 0
		.amdhsa_user_sgpr_kernarg_preload_offset 0
		.amdhsa_user_sgpr_private_segment_size 0
		.amdhsa_wavefront_size32 1
		.amdhsa_uses_dynamic_stack 0
		.amdhsa_enable_private_segment 0
		.amdhsa_system_sgpr_workgroup_id_x 1
		.amdhsa_system_sgpr_workgroup_id_y 0
		.amdhsa_system_sgpr_workgroup_id_z 0
		.amdhsa_system_sgpr_workgroup_info 0
		.amdhsa_system_vgpr_workitem_id 0
		.amdhsa_next_free_vgpr 1
		.amdhsa_next_free_sgpr 1
		.amdhsa_named_barrier_count 0
		.amdhsa_reserve_vcc 0
		.amdhsa_float_round_mode_32 0
		.amdhsa_float_round_mode_16_64 0
		.amdhsa_float_denorm_mode_32 3
		.amdhsa_float_denorm_mode_16_64 3
		.amdhsa_fp16_overflow 0
		.amdhsa_memory_ordered 1
		.amdhsa_forward_progress 1
		.amdhsa_inst_pref_size 0
		.amdhsa_round_robin_scheduling 0
		.amdhsa_exception_fp_ieee_invalid_op 0
		.amdhsa_exception_fp_denorm_src 0
		.amdhsa_exception_fp_ieee_div_zero 0
		.amdhsa_exception_fp_ieee_overflow 0
		.amdhsa_exception_fp_ieee_underflow 0
		.amdhsa_exception_fp_ieee_inexact 0
		.amdhsa_exception_int_div_zero 0
	.end_amdhsa_kernel
	.section	.text._ZN7rocprim17ROCPRIM_400000_NS6detail17trampoline_kernelINS0_14default_configENS1_35radix_sort_onesweep_config_selectorIfNS0_10empty_typeEEEZZNS1_29radix_sort_onesweep_iterationIS3_Lb0EPKfPfPS5_SB_mNS0_19identity_decomposerENS1_16block_id_wrapperIjLb0EEEEE10hipError_tT1_PNSt15iterator_traitsISG_E10value_typeET2_T3_PNSH_ISM_E10value_typeET4_T5_PSR_SS_PNS1_23onesweep_lookback_stateEbbT6_jjT7_P12ihipStream_tbENKUlT_T0_SG_SL_E_clISA_SA_SB_SB_EEDaSZ_S10_SG_SL_EUlSZ_E_NS1_11comp_targetILNS1_3genE5ELNS1_11target_archE942ELNS1_3gpuE9ELNS1_3repE0EEENS1_47radix_sort_onesweep_sort_config_static_selectorELNS0_4arch9wavefront6targetE0EEEvSG_,"axG",@progbits,_ZN7rocprim17ROCPRIM_400000_NS6detail17trampoline_kernelINS0_14default_configENS1_35radix_sort_onesweep_config_selectorIfNS0_10empty_typeEEEZZNS1_29radix_sort_onesweep_iterationIS3_Lb0EPKfPfPS5_SB_mNS0_19identity_decomposerENS1_16block_id_wrapperIjLb0EEEEE10hipError_tT1_PNSt15iterator_traitsISG_E10value_typeET2_T3_PNSH_ISM_E10value_typeET4_T5_PSR_SS_PNS1_23onesweep_lookback_stateEbbT6_jjT7_P12ihipStream_tbENKUlT_T0_SG_SL_E_clISA_SA_SB_SB_EEDaSZ_S10_SG_SL_EUlSZ_E_NS1_11comp_targetILNS1_3genE5ELNS1_11target_archE942ELNS1_3gpuE9ELNS1_3repE0EEENS1_47radix_sort_onesweep_sort_config_static_selectorELNS0_4arch9wavefront6targetE0EEEvSG_,comdat
.Lfunc_end1435:
	.size	_ZN7rocprim17ROCPRIM_400000_NS6detail17trampoline_kernelINS0_14default_configENS1_35radix_sort_onesweep_config_selectorIfNS0_10empty_typeEEEZZNS1_29radix_sort_onesweep_iterationIS3_Lb0EPKfPfPS5_SB_mNS0_19identity_decomposerENS1_16block_id_wrapperIjLb0EEEEE10hipError_tT1_PNSt15iterator_traitsISG_E10value_typeET2_T3_PNSH_ISM_E10value_typeET4_T5_PSR_SS_PNS1_23onesweep_lookback_stateEbbT6_jjT7_P12ihipStream_tbENKUlT_T0_SG_SL_E_clISA_SA_SB_SB_EEDaSZ_S10_SG_SL_EUlSZ_E_NS1_11comp_targetILNS1_3genE5ELNS1_11target_archE942ELNS1_3gpuE9ELNS1_3repE0EEENS1_47radix_sort_onesweep_sort_config_static_selectorELNS0_4arch9wavefront6targetE0EEEvSG_, .Lfunc_end1435-_ZN7rocprim17ROCPRIM_400000_NS6detail17trampoline_kernelINS0_14default_configENS1_35radix_sort_onesweep_config_selectorIfNS0_10empty_typeEEEZZNS1_29radix_sort_onesweep_iterationIS3_Lb0EPKfPfPS5_SB_mNS0_19identity_decomposerENS1_16block_id_wrapperIjLb0EEEEE10hipError_tT1_PNSt15iterator_traitsISG_E10value_typeET2_T3_PNSH_ISM_E10value_typeET4_T5_PSR_SS_PNS1_23onesweep_lookback_stateEbbT6_jjT7_P12ihipStream_tbENKUlT_T0_SG_SL_E_clISA_SA_SB_SB_EEDaSZ_S10_SG_SL_EUlSZ_E_NS1_11comp_targetILNS1_3genE5ELNS1_11target_archE942ELNS1_3gpuE9ELNS1_3repE0EEENS1_47radix_sort_onesweep_sort_config_static_selectorELNS0_4arch9wavefront6targetE0EEEvSG_
                                        ; -- End function
	.set _ZN7rocprim17ROCPRIM_400000_NS6detail17trampoline_kernelINS0_14default_configENS1_35radix_sort_onesweep_config_selectorIfNS0_10empty_typeEEEZZNS1_29radix_sort_onesweep_iterationIS3_Lb0EPKfPfPS5_SB_mNS0_19identity_decomposerENS1_16block_id_wrapperIjLb0EEEEE10hipError_tT1_PNSt15iterator_traitsISG_E10value_typeET2_T3_PNSH_ISM_E10value_typeET4_T5_PSR_SS_PNS1_23onesweep_lookback_stateEbbT6_jjT7_P12ihipStream_tbENKUlT_T0_SG_SL_E_clISA_SA_SB_SB_EEDaSZ_S10_SG_SL_EUlSZ_E_NS1_11comp_targetILNS1_3genE5ELNS1_11target_archE942ELNS1_3gpuE9ELNS1_3repE0EEENS1_47radix_sort_onesweep_sort_config_static_selectorELNS0_4arch9wavefront6targetE0EEEvSG_.num_vgpr, 0
	.set _ZN7rocprim17ROCPRIM_400000_NS6detail17trampoline_kernelINS0_14default_configENS1_35radix_sort_onesweep_config_selectorIfNS0_10empty_typeEEEZZNS1_29radix_sort_onesweep_iterationIS3_Lb0EPKfPfPS5_SB_mNS0_19identity_decomposerENS1_16block_id_wrapperIjLb0EEEEE10hipError_tT1_PNSt15iterator_traitsISG_E10value_typeET2_T3_PNSH_ISM_E10value_typeET4_T5_PSR_SS_PNS1_23onesweep_lookback_stateEbbT6_jjT7_P12ihipStream_tbENKUlT_T0_SG_SL_E_clISA_SA_SB_SB_EEDaSZ_S10_SG_SL_EUlSZ_E_NS1_11comp_targetILNS1_3genE5ELNS1_11target_archE942ELNS1_3gpuE9ELNS1_3repE0EEENS1_47radix_sort_onesweep_sort_config_static_selectorELNS0_4arch9wavefront6targetE0EEEvSG_.num_agpr, 0
	.set _ZN7rocprim17ROCPRIM_400000_NS6detail17trampoline_kernelINS0_14default_configENS1_35radix_sort_onesweep_config_selectorIfNS0_10empty_typeEEEZZNS1_29radix_sort_onesweep_iterationIS3_Lb0EPKfPfPS5_SB_mNS0_19identity_decomposerENS1_16block_id_wrapperIjLb0EEEEE10hipError_tT1_PNSt15iterator_traitsISG_E10value_typeET2_T3_PNSH_ISM_E10value_typeET4_T5_PSR_SS_PNS1_23onesweep_lookback_stateEbbT6_jjT7_P12ihipStream_tbENKUlT_T0_SG_SL_E_clISA_SA_SB_SB_EEDaSZ_S10_SG_SL_EUlSZ_E_NS1_11comp_targetILNS1_3genE5ELNS1_11target_archE942ELNS1_3gpuE9ELNS1_3repE0EEENS1_47radix_sort_onesweep_sort_config_static_selectorELNS0_4arch9wavefront6targetE0EEEvSG_.numbered_sgpr, 0
	.set _ZN7rocprim17ROCPRIM_400000_NS6detail17trampoline_kernelINS0_14default_configENS1_35radix_sort_onesweep_config_selectorIfNS0_10empty_typeEEEZZNS1_29radix_sort_onesweep_iterationIS3_Lb0EPKfPfPS5_SB_mNS0_19identity_decomposerENS1_16block_id_wrapperIjLb0EEEEE10hipError_tT1_PNSt15iterator_traitsISG_E10value_typeET2_T3_PNSH_ISM_E10value_typeET4_T5_PSR_SS_PNS1_23onesweep_lookback_stateEbbT6_jjT7_P12ihipStream_tbENKUlT_T0_SG_SL_E_clISA_SA_SB_SB_EEDaSZ_S10_SG_SL_EUlSZ_E_NS1_11comp_targetILNS1_3genE5ELNS1_11target_archE942ELNS1_3gpuE9ELNS1_3repE0EEENS1_47radix_sort_onesweep_sort_config_static_selectorELNS0_4arch9wavefront6targetE0EEEvSG_.num_named_barrier, 0
	.set _ZN7rocprim17ROCPRIM_400000_NS6detail17trampoline_kernelINS0_14default_configENS1_35radix_sort_onesweep_config_selectorIfNS0_10empty_typeEEEZZNS1_29radix_sort_onesweep_iterationIS3_Lb0EPKfPfPS5_SB_mNS0_19identity_decomposerENS1_16block_id_wrapperIjLb0EEEEE10hipError_tT1_PNSt15iterator_traitsISG_E10value_typeET2_T3_PNSH_ISM_E10value_typeET4_T5_PSR_SS_PNS1_23onesweep_lookback_stateEbbT6_jjT7_P12ihipStream_tbENKUlT_T0_SG_SL_E_clISA_SA_SB_SB_EEDaSZ_S10_SG_SL_EUlSZ_E_NS1_11comp_targetILNS1_3genE5ELNS1_11target_archE942ELNS1_3gpuE9ELNS1_3repE0EEENS1_47radix_sort_onesweep_sort_config_static_selectorELNS0_4arch9wavefront6targetE0EEEvSG_.private_seg_size, 0
	.set _ZN7rocprim17ROCPRIM_400000_NS6detail17trampoline_kernelINS0_14default_configENS1_35radix_sort_onesweep_config_selectorIfNS0_10empty_typeEEEZZNS1_29radix_sort_onesweep_iterationIS3_Lb0EPKfPfPS5_SB_mNS0_19identity_decomposerENS1_16block_id_wrapperIjLb0EEEEE10hipError_tT1_PNSt15iterator_traitsISG_E10value_typeET2_T3_PNSH_ISM_E10value_typeET4_T5_PSR_SS_PNS1_23onesweep_lookback_stateEbbT6_jjT7_P12ihipStream_tbENKUlT_T0_SG_SL_E_clISA_SA_SB_SB_EEDaSZ_S10_SG_SL_EUlSZ_E_NS1_11comp_targetILNS1_3genE5ELNS1_11target_archE942ELNS1_3gpuE9ELNS1_3repE0EEENS1_47radix_sort_onesweep_sort_config_static_selectorELNS0_4arch9wavefront6targetE0EEEvSG_.uses_vcc, 0
	.set _ZN7rocprim17ROCPRIM_400000_NS6detail17trampoline_kernelINS0_14default_configENS1_35radix_sort_onesweep_config_selectorIfNS0_10empty_typeEEEZZNS1_29radix_sort_onesweep_iterationIS3_Lb0EPKfPfPS5_SB_mNS0_19identity_decomposerENS1_16block_id_wrapperIjLb0EEEEE10hipError_tT1_PNSt15iterator_traitsISG_E10value_typeET2_T3_PNSH_ISM_E10value_typeET4_T5_PSR_SS_PNS1_23onesweep_lookback_stateEbbT6_jjT7_P12ihipStream_tbENKUlT_T0_SG_SL_E_clISA_SA_SB_SB_EEDaSZ_S10_SG_SL_EUlSZ_E_NS1_11comp_targetILNS1_3genE5ELNS1_11target_archE942ELNS1_3gpuE9ELNS1_3repE0EEENS1_47radix_sort_onesweep_sort_config_static_selectorELNS0_4arch9wavefront6targetE0EEEvSG_.uses_flat_scratch, 0
	.set _ZN7rocprim17ROCPRIM_400000_NS6detail17trampoline_kernelINS0_14default_configENS1_35radix_sort_onesweep_config_selectorIfNS0_10empty_typeEEEZZNS1_29radix_sort_onesweep_iterationIS3_Lb0EPKfPfPS5_SB_mNS0_19identity_decomposerENS1_16block_id_wrapperIjLb0EEEEE10hipError_tT1_PNSt15iterator_traitsISG_E10value_typeET2_T3_PNSH_ISM_E10value_typeET4_T5_PSR_SS_PNS1_23onesweep_lookback_stateEbbT6_jjT7_P12ihipStream_tbENKUlT_T0_SG_SL_E_clISA_SA_SB_SB_EEDaSZ_S10_SG_SL_EUlSZ_E_NS1_11comp_targetILNS1_3genE5ELNS1_11target_archE942ELNS1_3gpuE9ELNS1_3repE0EEENS1_47radix_sort_onesweep_sort_config_static_selectorELNS0_4arch9wavefront6targetE0EEEvSG_.has_dyn_sized_stack, 0
	.set _ZN7rocprim17ROCPRIM_400000_NS6detail17trampoline_kernelINS0_14default_configENS1_35radix_sort_onesweep_config_selectorIfNS0_10empty_typeEEEZZNS1_29radix_sort_onesweep_iterationIS3_Lb0EPKfPfPS5_SB_mNS0_19identity_decomposerENS1_16block_id_wrapperIjLb0EEEEE10hipError_tT1_PNSt15iterator_traitsISG_E10value_typeET2_T3_PNSH_ISM_E10value_typeET4_T5_PSR_SS_PNS1_23onesweep_lookback_stateEbbT6_jjT7_P12ihipStream_tbENKUlT_T0_SG_SL_E_clISA_SA_SB_SB_EEDaSZ_S10_SG_SL_EUlSZ_E_NS1_11comp_targetILNS1_3genE5ELNS1_11target_archE942ELNS1_3gpuE9ELNS1_3repE0EEENS1_47radix_sort_onesweep_sort_config_static_selectorELNS0_4arch9wavefront6targetE0EEEvSG_.has_recursion, 0
	.set _ZN7rocprim17ROCPRIM_400000_NS6detail17trampoline_kernelINS0_14default_configENS1_35radix_sort_onesweep_config_selectorIfNS0_10empty_typeEEEZZNS1_29radix_sort_onesweep_iterationIS3_Lb0EPKfPfPS5_SB_mNS0_19identity_decomposerENS1_16block_id_wrapperIjLb0EEEEE10hipError_tT1_PNSt15iterator_traitsISG_E10value_typeET2_T3_PNSH_ISM_E10value_typeET4_T5_PSR_SS_PNS1_23onesweep_lookback_stateEbbT6_jjT7_P12ihipStream_tbENKUlT_T0_SG_SL_E_clISA_SA_SB_SB_EEDaSZ_S10_SG_SL_EUlSZ_E_NS1_11comp_targetILNS1_3genE5ELNS1_11target_archE942ELNS1_3gpuE9ELNS1_3repE0EEENS1_47radix_sort_onesweep_sort_config_static_selectorELNS0_4arch9wavefront6targetE0EEEvSG_.has_indirect_call, 0
	.section	.AMDGPU.csdata,"",@progbits
; Kernel info:
; codeLenInByte = 0
; TotalNumSgprs: 0
; NumVgprs: 0
; ScratchSize: 0
; MemoryBound: 0
; FloatMode: 240
; IeeeMode: 1
; LDSByteSize: 0 bytes/workgroup (compile time only)
; SGPRBlocks: 0
; VGPRBlocks: 0
; NumSGPRsForWavesPerEU: 1
; NumVGPRsForWavesPerEU: 1
; NamedBarCnt: 0
; Occupancy: 16
; WaveLimiterHint : 0
; COMPUTE_PGM_RSRC2:SCRATCH_EN: 0
; COMPUTE_PGM_RSRC2:USER_SGPR: 2
; COMPUTE_PGM_RSRC2:TRAP_HANDLER: 0
; COMPUTE_PGM_RSRC2:TGID_X_EN: 1
; COMPUTE_PGM_RSRC2:TGID_Y_EN: 0
; COMPUTE_PGM_RSRC2:TGID_Z_EN: 0
; COMPUTE_PGM_RSRC2:TIDIG_COMP_CNT: 0
	.section	.text._ZN7rocprim17ROCPRIM_400000_NS6detail17trampoline_kernelINS0_14default_configENS1_35radix_sort_onesweep_config_selectorIfNS0_10empty_typeEEEZZNS1_29radix_sort_onesweep_iterationIS3_Lb0EPKfPfPS5_SB_mNS0_19identity_decomposerENS1_16block_id_wrapperIjLb0EEEEE10hipError_tT1_PNSt15iterator_traitsISG_E10value_typeET2_T3_PNSH_ISM_E10value_typeET4_T5_PSR_SS_PNS1_23onesweep_lookback_stateEbbT6_jjT7_P12ihipStream_tbENKUlT_T0_SG_SL_E_clISA_SA_SB_SB_EEDaSZ_S10_SG_SL_EUlSZ_E_NS1_11comp_targetILNS1_3genE2ELNS1_11target_archE906ELNS1_3gpuE6ELNS1_3repE0EEENS1_47radix_sort_onesweep_sort_config_static_selectorELNS0_4arch9wavefront6targetE0EEEvSG_,"axG",@progbits,_ZN7rocprim17ROCPRIM_400000_NS6detail17trampoline_kernelINS0_14default_configENS1_35radix_sort_onesweep_config_selectorIfNS0_10empty_typeEEEZZNS1_29radix_sort_onesweep_iterationIS3_Lb0EPKfPfPS5_SB_mNS0_19identity_decomposerENS1_16block_id_wrapperIjLb0EEEEE10hipError_tT1_PNSt15iterator_traitsISG_E10value_typeET2_T3_PNSH_ISM_E10value_typeET4_T5_PSR_SS_PNS1_23onesweep_lookback_stateEbbT6_jjT7_P12ihipStream_tbENKUlT_T0_SG_SL_E_clISA_SA_SB_SB_EEDaSZ_S10_SG_SL_EUlSZ_E_NS1_11comp_targetILNS1_3genE2ELNS1_11target_archE906ELNS1_3gpuE6ELNS1_3repE0EEENS1_47radix_sort_onesweep_sort_config_static_selectorELNS0_4arch9wavefront6targetE0EEEvSG_,comdat
	.protected	_ZN7rocprim17ROCPRIM_400000_NS6detail17trampoline_kernelINS0_14default_configENS1_35radix_sort_onesweep_config_selectorIfNS0_10empty_typeEEEZZNS1_29radix_sort_onesweep_iterationIS3_Lb0EPKfPfPS5_SB_mNS0_19identity_decomposerENS1_16block_id_wrapperIjLb0EEEEE10hipError_tT1_PNSt15iterator_traitsISG_E10value_typeET2_T3_PNSH_ISM_E10value_typeET4_T5_PSR_SS_PNS1_23onesweep_lookback_stateEbbT6_jjT7_P12ihipStream_tbENKUlT_T0_SG_SL_E_clISA_SA_SB_SB_EEDaSZ_S10_SG_SL_EUlSZ_E_NS1_11comp_targetILNS1_3genE2ELNS1_11target_archE906ELNS1_3gpuE6ELNS1_3repE0EEENS1_47radix_sort_onesweep_sort_config_static_selectorELNS0_4arch9wavefront6targetE0EEEvSG_ ; -- Begin function _ZN7rocprim17ROCPRIM_400000_NS6detail17trampoline_kernelINS0_14default_configENS1_35radix_sort_onesweep_config_selectorIfNS0_10empty_typeEEEZZNS1_29radix_sort_onesweep_iterationIS3_Lb0EPKfPfPS5_SB_mNS0_19identity_decomposerENS1_16block_id_wrapperIjLb0EEEEE10hipError_tT1_PNSt15iterator_traitsISG_E10value_typeET2_T3_PNSH_ISM_E10value_typeET4_T5_PSR_SS_PNS1_23onesweep_lookback_stateEbbT6_jjT7_P12ihipStream_tbENKUlT_T0_SG_SL_E_clISA_SA_SB_SB_EEDaSZ_S10_SG_SL_EUlSZ_E_NS1_11comp_targetILNS1_3genE2ELNS1_11target_archE906ELNS1_3gpuE6ELNS1_3repE0EEENS1_47radix_sort_onesweep_sort_config_static_selectorELNS0_4arch9wavefront6targetE0EEEvSG_
	.globl	_ZN7rocprim17ROCPRIM_400000_NS6detail17trampoline_kernelINS0_14default_configENS1_35radix_sort_onesweep_config_selectorIfNS0_10empty_typeEEEZZNS1_29radix_sort_onesweep_iterationIS3_Lb0EPKfPfPS5_SB_mNS0_19identity_decomposerENS1_16block_id_wrapperIjLb0EEEEE10hipError_tT1_PNSt15iterator_traitsISG_E10value_typeET2_T3_PNSH_ISM_E10value_typeET4_T5_PSR_SS_PNS1_23onesweep_lookback_stateEbbT6_jjT7_P12ihipStream_tbENKUlT_T0_SG_SL_E_clISA_SA_SB_SB_EEDaSZ_S10_SG_SL_EUlSZ_E_NS1_11comp_targetILNS1_3genE2ELNS1_11target_archE906ELNS1_3gpuE6ELNS1_3repE0EEENS1_47radix_sort_onesweep_sort_config_static_selectorELNS0_4arch9wavefront6targetE0EEEvSG_
	.p2align	8
	.type	_ZN7rocprim17ROCPRIM_400000_NS6detail17trampoline_kernelINS0_14default_configENS1_35radix_sort_onesweep_config_selectorIfNS0_10empty_typeEEEZZNS1_29radix_sort_onesweep_iterationIS3_Lb0EPKfPfPS5_SB_mNS0_19identity_decomposerENS1_16block_id_wrapperIjLb0EEEEE10hipError_tT1_PNSt15iterator_traitsISG_E10value_typeET2_T3_PNSH_ISM_E10value_typeET4_T5_PSR_SS_PNS1_23onesweep_lookback_stateEbbT6_jjT7_P12ihipStream_tbENKUlT_T0_SG_SL_E_clISA_SA_SB_SB_EEDaSZ_S10_SG_SL_EUlSZ_E_NS1_11comp_targetILNS1_3genE2ELNS1_11target_archE906ELNS1_3gpuE6ELNS1_3repE0EEENS1_47radix_sort_onesweep_sort_config_static_selectorELNS0_4arch9wavefront6targetE0EEEvSG_,@function
_ZN7rocprim17ROCPRIM_400000_NS6detail17trampoline_kernelINS0_14default_configENS1_35radix_sort_onesweep_config_selectorIfNS0_10empty_typeEEEZZNS1_29radix_sort_onesweep_iterationIS3_Lb0EPKfPfPS5_SB_mNS0_19identity_decomposerENS1_16block_id_wrapperIjLb0EEEEE10hipError_tT1_PNSt15iterator_traitsISG_E10value_typeET2_T3_PNSH_ISM_E10value_typeET4_T5_PSR_SS_PNS1_23onesweep_lookback_stateEbbT6_jjT7_P12ihipStream_tbENKUlT_T0_SG_SL_E_clISA_SA_SB_SB_EEDaSZ_S10_SG_SL_EUlSZ_E_NS1_11comp_targetILNS1_3genE2ELNS1_11target_archE906ELNS1_3gpuE6ELNS1_3repE0EEENS1_47radix_sort_onesweep_sort_config_static_selectorELNS0_4arch9wavefront6targetE0EEEvSG_: ; @_ZN7rocprim17ROCPRIM_400000_NS6detail17trampoline_kernelINS0_14default_configENS1_35radix_sort_onesweep_config_selectorIfNS0_10empty_typeEEEZZNS1_29radix_sort_onesweep_iterationIS3_Lb0EPKfPfPS5_SB_mNS0_19identity_decomposerENS1_16block_id_wrapperIjLb0EEEEE10hipError_tT1_PNSt15iterator_traitsISG_E10value_typeET2_T3_PNSH_ISM_E10value_typeET4_T5_PSR_SS_PNS1_23onesweep_lookback_stateEbbT6_jjT7_P12ihipStream_tbENKUlT_T0_SG_SL_E_clISA_SA_SB_SB_EEDaSZ_S10_SG_SL_EUlSZ_E_NS1_11comp_targetILNS1_3genE2ELNS1_11target_archE906ELNS1_3gpuE6ELNS1_3repE0EEENS1_47radix_sort_onesweep_sort_config_static_selectorELNS0_4arch9wavefront6targetE0EEEvSG_
; %bb.0:
	.section	.rodata,"a",@progbits
	.p2align	6, 0x0
	.amdhsa_kernel _ZN7rocprim17ROCPRIM_400000_NS6detail17trampoline_kernelINS0_14default_configENS1_35radix_sort_onesweep_config_selectorIfNS0_10empty_typeEEEZZNS1_29radix_sort_onesweep_iterationIS3_Lb0EPKfPfPS5_SB_mNS0_19identity_decomposerENS1_16block_id_wrapperIjLb0EEEEE10hipError_tT1_PNSt15iterator_traitsISG_E10value_typeET2_T3_PNSH_ISM_E10value_typeET4_T5_PSR_SS_PNS1_23onesweep_lookback_stateEbbT6_jjT7_P12ihipStream_tbENKUlT_T0_SG_SL_E_clISA_SA_SB_SB_EEDaSZ_S10_SG_SL_EUlSZ_E_NS1_11comp_targetILNS1_3genE2ELNS1_11target_archE906ELNS1_3gpuE6ELNS1_3repE0EEENS1_47radix_sort_onesweep_sort_config_static_selectorELNS0_4arch9wavefront6targetE0EEEvSG_
		.amdhsa_group_segment_fixed_size 0
		.amdhsa_private_segment_fixed_size 0
		.amdhsa_kernarg_size 88
		.amdhsa_user_sgpr_count 2
		.amdhsa_user_sgpr_dispatch_ptr 0
		.amdhsa_user_sgpr_queue_ptr 0
		.amdhsa_user_sgpr_kernarg_segment_ptr 1
		.amdhsa_user_sgpr_dispatch_id 0
		.amdhsa_user_sgpr_kernarg_preload_length 0
		.amdhsa_user_sgpr_kernarg_preload_offset 0
		.amdhsa_user_sgpr_private_segment_size 0
		.amdhsa_wavefront_size32 1
		.amdhsa_uses_dynamic_stack 0
		.amdhsa_enable_private_segment 0
		.amdhsa_system_sgpr_workgroup_id_x 1
		.amdhsa_system_sgpr_workgroup_id_y 0
		.amdhsa_system_sgpr_workgroup_id_z 0
		.amdhsa_system_sgpr_workgroup_info 0
		.amdhsa_system_vgpr_workitem_id 0
		.amdhsa_next_free_vgpr 1
		.amdhsa_next_free_sgpr 1
		.amdhsa_named_barrier_count 0
		.amdhsa_reserve_vcc 0
		.amdhsa_float_round_mode_32 0
		.amdhsa_float_round_mode_16_64 0
		.amdhsa_float_denorm_mode_32 3
		.amdhsa_float_denorm_mode_16_64 3
		.amdhsa_fp16_overflow 0
		.amdhsa_memory_ordered 1
		.amdhsa_forward_progress 1
		.amdhsa_inst_pref_size 0
		.amdhsa_round_robin_scheduling 0
		.amdhsa_exception_fp_ieee_invalid_op 0
		.amdhsa_exception_fp_denorm_src 0
		.amdhsa_exception_fp_ieee_div_zero 0
		.amdhsa_exception_fp_ieee_overflow 0
		.amdhsa_exception_fp_ieee_underflow 0
		.amdhsa_exception_fp_ieee_inexact 0
		.amdhsa_exception_int_div_zero 0
	.end_amdhsa_kernel
	.section	.text._ZN7rocprim17ROCPRIM_400000_NS6detail17trampoline_kernelINS0_14default_configENS1_35radix_sort_onesweep_config_selectorIfNS0_10empty_typeEEEZZNS1_29radix_sort_onesweep_iterationIS3_Lb0EPKfPfPS5_SB_mNS0_19identity_decomposerENS1_16block_id_wrapperIjLb0EEEEE10hipError_tT1_PNSt15iterator_traitsISG_E10value_typeET2_T3_PNSH_ISM_E10value_typeET4_T5_PSR_SS_PNS1_23onesweep_lookback_stateEbbT6_jjT7_P12ihipStream_tbENKUlT_T0_SG_SL_E_clISA_SA_SB_SB_EEDaSZ_S10_SG_SL_EUlSZ_E_NS1_11comp_targetILNS1_3genE2ELNS1_11target_archE906ELNS1_3gpuE6ELNS1_3repE0EEENS1_47radix_sort_onesweep_sort_config_static_selectorELNS0_4arch9wavefront6targetE0EEEvSG_,"axG",@progbits,_ZN7rocprim17ROCPRIM_400000_NS6detail17trampoline_kernelINS0_14default_configENS1_35radix_sort_onesweep_config_selectorIfNS0_10empty_typeEEEZZNS1_29radix_sort_onesweep_iterationIS3_Lb0EPKfPfPS5_SB_mNS0_19identity_decomposerENS1_16block_id_wrapperIjLb0EEEEE10hipError_tT1_PNSt15iterator_traitsISG_E10value_typeET2_T3_PNSH_ISM_E10value_typeET4_T5_PSR_SS_PNS1_23onesweep_lookback_stateEbbT6_jjT7_P12ihipStream_tbENKUlT_T0_SG_SL_E_clISA_SA_SB_SB_EEDaSZ_S10_SG_SL_EUlSZ_E_NS1_11comp_targetILNS1_3genE2ELNS1_11target_archE906ELNS1_3gpuE6ELNS1_3repE0EEENS1_47radix_sort_onesweep_sort_config_static_selectorELNS0_4arch9wavefront6targetE0EEEvSG_,comdat
.Lfunc_end1436:
	.size	_ZN7rocprim17ROCPRIM_400000_NS6detail17trampoline_kernelINS0_14default_configENS1_35radix_sort_onesweep_config_selectorIfNS0_10empty_typeEEEZZNS1_29radix_sort_onesweep_iterationIS3_Lb0EPKfPfPS5_SB_mNS0_19identity_decomposerENS1_16block_id_wrapperIjLb0EEEEE10hipError_tT1_PNSt15iterator_traitsISG_E10value_typeET2_T3_PNSH_ISM_E10value_typeET4_T5_PSR_SS_PNS1_23onesweep_lookback_stateEbbT6_jjT7_P12ihipStream_tbENKUlT_T0_SG_SL_E_clISA_SA_SB_SB_EEDaSZ_S10_SG_SL_EUlSZ_E_NS1_11comp_targetILNS1_3genE2ELNS1_11target_archE906ELNS1_3gpuE6ELNS1_3repE0EEENS1_47radix_sort_onesweep_sort_config_static_selectorELNS0_4arch9wavefront6targetE0EEEvSG_, .Lfunc_end1436-_ZN7rocprim17ROCPRIM_400000_NS6detail17trampoline_kernelINS0_14default_configENS1_35radix_sort_onesweep_config_selectorIfNS0_10empty_typeEEEZZNS1_29radix_sort_onesweep_iterationIS3_Lb0EPKfPfPS5_SB_mNS0_19identity_decomposerENS1_16block_id_wrapperIjLb0EEEEE10hipError_tT1_PNSt15iterator_traitsISG_E10value_typeET2_T3_PNSH_ISM_E10value_typeET4_T5_PSR_SS_PNS1_23onesweep_lookback_stateEbbT6_jjT7_P12ihipStream_tbENKUlT_T0_SG_SL_E_clISA_SA_SB_SB_EEDaSZ_S10_SG_SL_EUlSZ_E_NS1_11comp_targetILNS1_3genE2ELNS1_11target_archE906ELNS1_3gpuE6ELNS1_3repE0EEENS1_47radix_sort_onesweep_sort_config_static_selectorELNS0_4arch9wavefront6targetE0EEEvSG_
                                        ; -- End function
	.set _ZN7rocprim17ROCPRIM_400000_NS6detail17trampoline_kernelINS0_14default_configENS1_35radix_sort_onesweep_config_selectorIfNS0_10empty_typeEEEZZNS1_29radix_sort_onesweep_iterationIS3_Lb0EPKfPfPS5_SB_mNS0_19identity_decomposerENS1_16block_id_wrapperIjLb0EEEEE10hipError_tT1_PNSt15iterator_traitsISG_E10value_typeET2_T3_PNSH_ISM_E10value_typeET4_T5_PSR_SS_PNS1_23onesweep_lookback_stateEbbT6_jjT7_P12ihipStream_tbENKUlT_T0_SG_SL_E_clISA_SA_SB_SB_EEDaSZ_S10_SG_SL_EUlSZ_E_NS1_11comp_targetILNS1_3genE2ELNS1_11target_archE906ELNS1_3gpuE6ELNS1_3repE0EEENS1_47radix_sort_onesweep_sort_config_static_selectorELNS0_4arch9wavefront6targetE0EEEvSG_.num_vgpr, 0
	.set _ZN7rocprim17ROCPRIM_400000_NS6detail17trampoline_kernelINS0_14default_configENS1_35radix_sort_onesweep_config_selectorIfNS0_10empty_typeEEEZZNS1_29radix_sort_onesweep_iterationIS3_Lb0EPKfPfPS5_SB_mNS0_19identity_decomposerENS1_16block_id_wrapperIjLb0EEEEE10hipError_tT1_PNSt15iterator_traitsISG_E10value_typeET2_T3_PNSH_ISM_E10value_typeET4_T5_PSR_SS_PNS1_23onesweep_lookback_stateEbbT6_jjT7_P12ihipStream_tbENKUlT_T0_SG_SL_E_clISA_SA_SB_SB_EEDaSZ_S10_SG_SL_EUlSZ_E_NS1_11comp_targetILNS1_3genE2ELNS1_11target_archE906ELNS1_3gpuE6ELNS1_3repE0EEENS1_47radix_sort_onesweep_sort_config_static_selectorELNS0_4arch9wavefront6targetE0EEEvSG_.num_agpr, 0
	.set _ZN7rocprim17ROCPRIM_400000_NS6detail17trampoline_kernelINS0_14default_configENS1_35radix_sort_onesweep_config_selectorIfNS0_10empty_typeEEEZZNS1_29radix_sort_onesweep_iterationIS3_Lb0EPKfPfPS5_SB_mNS0_19identity_decomposerENS1_16block_id_wrapperIjLb0EEEEE10hipError_tT1_PNSt15iterator_traitsISG_E10value_typeET2_T3_PNSH_ISM_E10value_typeET4_T5_PSR_SS_PNS1_23onesweep_lookback_stateEbbT6_jjT7_P12ihipStream_tbENKUlT_T0_SG_SL_E_clISA_SA_SB_SB_EEDaSZ_S10_SG_SL_EUlSZ_E_NS1_11comp_targetILNS1_3genE2ELNS1_11target_archE906ELNS1_3gpuE6ELNS1_3repE0EEENS1_47radix_sort_onesweep_sort_config_static_selectorELNS0_4arch9wavefront6targetE0EEEvSG_.numbered_sgpr, 0
	.set _ZN7rocprim17ROCPRIM_400000_NS6detail17trampoline_kernelINS0_14default_configENS1_35radix_sort_onesweep_config_selectorIfNS0_10empty_typeEEEZZNS1_29radix_sort_onesweep_iterationIS3_Lb0EPKfPfPS5_SB_mNS0_19identity_decomposerENS1_16block_id_wrapperIjLb0EEEEE10hipError_tT1_PNSt15iterator_traitsISG_E10value_typeET2_T3_PNSH_ISM_E10value_typeET4_T5_PSR_SS_PNS1_23onesweep_lookback_stateEbbT6_jjT7_P12ihipStream_tbENKUlT_T0_SG_SL_E_clISA_SA_SB_SB_EEDaSZ_S10_SG_SL_EUlSZ_E_NS1_11comp_targetILNS1_3genE2ELNS1_11target_archE906ELNS1_3gpuE6ELNS1_3repE0EEENS1_47radix_sort_onesweep_sort_config_static_selectorELNS0_4arch9wavefront6targetE0EEEvSG_.num_named_barrier, 0
	.set _ZN7rocprim17ROCPRIM_400000_NS6detail17trampoline_kernelINS0_14default_configENS1_35radix_sort_onesweep_config_selectorIfNS0_10empty_typeEEEZZNS1_29radix_sort_onesweep_iterationIS3_Lb0EPKfPfPS5_SB_mNS0_19identity_decomposerENS1_16block_id_wrapperIjLb0EEEEE10hipError_tT1_PNSt15iterator_traitsISG_E10value_typeET2_T3_PNSH_ISM_E10value_typeET4_T5_PSR_SS_PNS1_23onesweep_lookback_stateEbbT6_jjT7_P12ihipStream_tbENKUlT_T0_SG_SL_E_clISA_SA_SB_SB_EEDaSZ_S10_SG_SL_EUlSZ_E_NS1_11comp_targetILNS1_3genE2ELNS1_11target_archE906ELNS1_3gpuE6ELNS1_3repE0EEENS1_47radix_sort_onesweep_sort_config_static_selectorELNS0_4arch9wavefront6targetE0EEEvSG_.private_seg_size, 0
	.set _ZN7rocprim17ROCPRIM_400000_NS6detail17trampoline_kernelINS0_14default_configENS1_35radix_sort_onesweep_config_selectorIfNS0_10empty_typeEEEZZNS1_29radix_sort_onesweep_iterationIS3_Lb0EPKfPfPS5_SB_mNS0_19identity_decomposerENS1_16block_id_wrapperIjLb0EEEEE10hipError_tT1_PNSt15iterator_traitsISG_E10value_typeET2_T3_PNSH_ISM_E10value_typeET4_T5_PSR_SS_PNS1_23onesweep_lookback_stateEbbT6_jjT7_P12ihipStream_tbENKUlT_T0_SG_SL_E_clISA_SA_SB_SB_EEDaSZ_S10_SG_SL_EUlSZ_E_NS1_11comp_targetILNS1_3genE2ELNS1_11target_archE906ELNS1_3gpuE6ELNS1_3repE0EEENS1_47radix_sort_onesweep_sort_config_static_selectorELNS0_4arch9wavefront6targetE0EEEvSG_.uses_vcc, 0
	.set _ZN7rocprim17ROCPRIM_400000_NS6detail17trampoline_kernelINS0_14default_configENS1_35radix_sort_onesweep_config_selectorIfNS0_10empty_typeEEEZZNS1_29radix_sort_onesweep_iterationIS3_Lb0EPKfPfPS5_SB_mNS0_19identity_decomposerENS1_16block_id_wrapperIjLb0EEEEE10hipError_tT1_PNSt15iterator_traitsISG_E10value_typeET2_T3_PNSH_ISM_E10value_typeET4_T5_PSR_SS_PNS1_23onesweep_lookback_stateEbbT6_jjT7_P12ihipStream_tbENKUlT_T0_SG_SL_E_clISA_SA_SB_SB_EEDaSZ_S10_SG_SL_EUlSZ_E_NS1_11comp_targetILNS1_3genE2ELNS1_11target_archE906ELNS1_3gpuE6ELNS1_3repE0EEENS1_47radix_sort_onesweep_sort_config_static_selectorELNS0_4arch9wavefront6targetE0EEEvSG_.uses_flat_scratch, 0
	.set _ZN7rocprim17ROCPRIM_400000_NS6detail17trampoline_kernelINS0_14default_configENS1_35radix_sort_onesweep_config_selectorIfNS0_10empty_typeEEEZZNS1_29radix_sort_onesweep_iterationIS3_Lb0EPKfPfPS5_SB_mNS0_19identity_decomposerENS1_16block_id_wrapperIjLb0EEEEE10hipError_tT1_PNSt15iterator_traitsISG_E10value_typeET2_T3_PNSH_ISM_E10value_typeET4_T5_PSR_SS_PNS1_23onesweep_lookback_stateEbbT6_jjT7_P12ihipStream_tbENKUlT_T0_SG_SL_E_clISA_SA_SB_SB_EEDaSZ_S10_SG_SL_EUlSZ_E_NS1_11comp_targetILNS1_3genE2ELNS1_11target_archE906ELNS1_3gpuE6ELNS1_3repE0EEENS1_47radix_sort_onesweep_sort_config_static_selectorELNS0_4arch9wavefront6targetE0EEEvSG_.has_dyn_sized_stack, 0
	.set _ZN7rocprim17ROCPRIM_400000_NS6detail17trampoline_kernelINS0_14default_configENS1_35radix_sort_onesweep_config_selectorIfNS0_10empty_typeEEEZZNS1_29radix_sort_onesweep_iterationIS3_Lb0EPKfPfPS5_SB_mNS0_19identity_decomposerENS1_16block_id_wrapperIjLb0EEEEE10hipError_tT1_PNSt15iterator_traitsISG_E10value_typeET2_T3_PNSH_ISM_E10value_typeET4_T5_PSR_SS_PNS1_23onesweep_lookback_stateEbbT6_jjT7_P12ihipStream_tbENKUlT_T0_SG_SL_E_clISA_SA_SB_SB_EEDaSZ_S10_SG_SL_EUlSZ_E_NS1_11comp_targetILNS1_3genE2ELNS1_11target_archE906ELNS1_3gpuE6ELNS1_3repE0EEENS1_47radix_sort_onesweep_sort_config_static_selectorELNS0_4arch9wavefront6targetE0EEEvSG_.has_recursion, 0
	.set _ZN7rocprim17ROCPRIM_400000_NS6detail17trampoline_kernelINS0_14default_configENS1_35radix_sort_onesweep_config_selectorIfNS0_10empty_typeEEEZZNS1_29radix_sort_onesweep_iterationIS3_Lb0EPKfPfPS5_SB_mNS0_19identity_decomposerENS1_16block_id_wrapperIjLb0EEEEE10hipError_tT1_PNSt15iterator_traitsISG_E10value_typeET2_T3_PNSH_ISM_E10value_typeET4_T5_PSR_SS_PNS1_23onesweep_lookback_stateEbbT6_jjT7_P12ihipStream_tbENKUlT_T0_SG_SL_E_clISA_SA_SB_SB_EEDaSZ_S10_SG_SL_EUlSZ_E_NS1_11comp_targetILNS1_3genE2ELNS1_11target_archE906ELNS1_3gpuE6ELNS1_3repE0EEENS1_47radix_sort_onesweep_sort_config_static_selectorELNS0_4arch9wavefront6targetE0EEEvSG_.has_indirect_call, 0
	.section	.AMDGPU.csdata,"",@progbits
; Kernel info:
; codeLenInByte = 0
; TotalNumSgprs: 0
; NumVgprs: 0
; ScratchSize: 0
; MemoryBound: 0
; FloatMode: 240
; IeeeMode: 1
; LDSByteSize: 0 bytes/workgroup (compile time only)
; SGPRBlocks: 0
; VGPRBlocks: 0
; NumSGPRsForWavesPerEU: 1
; NumVGPRsForWavesPerEU: 1
; NamedBarCnt: 0
; Occupancy: 16
; WaveLimiterHint : 0
; COMPUTE_PGM_RSRC2:SCRATCH_EN: 0
; COMPUTE_PGM_RSRC2:USER_SGPR: 2
; COMPUTE_PGM_RSRC2:TRAP_HANDLER: 0
; COMPUTE_PGM_RSRC2:TGID_X_EN: 1
; COMPUTE_PGM_RSRC2:TGID_Y_EN: 0
; COMPUTE_PGM_RSRC2:TGID_Z_EN: 0
; COMPUTE_PGM_RSRC2:TIDIG_COMP_CNT: 0
	.section	.text._ZN7rocprim17ROCPRIM_400000_NS6detail17trampoline_kernelINS0_14default_configENS1_35radix_sort_onesweep_config_selectorIfNS0_10empty_typeEEEZZNS1_29radix_sort_onesweep_iterationIS3_Lb0EPKfPfPS5_SB_mNS0_19identity_decomposerENS1_16block_id_wrapperIjLb0EEEEE10hipError_tT1_PNSt15iterator_traitsISG_E10value_typeET2_T3_PNSH_ISM_E10value_typeET4_T5_PSR_SS_PNS1_23onesweep_lookback_stateEbbT6_jjT7_P12ihipStream_tbENKUlT_T0_SG_SL_E_clISA_SA_SB_SB_EEDaSZ_S10_SG_SL_EUlSZ_E_NS1_11comp_targetILNS1_3genE4ELNS1_11target_archE910ELNS1_3gpuE8ELNS1_3repE0EEENS1_47radix_sort_onesweep_sort_config_static_selectorELNS0_4arch9wavefront6targetE0EEEvSG_,"axG",@progbits,_ZN7rocprim17ROCPRIM_400000_NS6detail17trampoline_kernelINS0_14default_configENS1_35radix_sort_onesweep_config_selectorIfNS0_10empty_typeEEEZZNS1_29radix_sort_onesweep_iterationIS3_Lb0EPKfPfPS5_SB_mNS0_19identity_decomposerENS1_16block_id_wrapperIjLb0EEEEE10hipError_tT1_PNSt15iterator_traitsISG_E10value_typeET2_T3_PNSH_ISM_E10value_typeET4_T5_PSR_SS_PNS1_23onesweep_lookback_stateEbbT6_jjT7_P12ihipStream_tbENKUlT_T0_SG_SL_E_clISA_SA_SB_SB_EEDaSZ_S10_SG_SL_EUlSZ_E_NS1_11comp_targetILNS1_3genE4ELNS1_11target_archE910ELNS1_3gpuE8ELNS1_3repE0EEENS1_47radix_sort_onesweep_sort_config_static_selectorELNS0_4arch9wavefront6targetE0EEEvSG_,comdat
	.protected	_ZN7rocprim17ROCPRIM_400000_NS6detail17trampoline_kernelINS0_14default_configENS1_35radix_sort_onesweep_config_selectorIfNS0_10empty_typeEEEZZNS1_29radix_sort_onesweep_iterationIS3_Lb0EPKfPfPS5_SB_mNS0_19identity_decomposerENS1_16block_id_wrapperIjLb0EEEEE10hipError_tT1_PNSt15iterator_traitsISG_E10value_typeET2_T3_PNSH_ISM_E10value_typeET4_T5_PSR_SS_PNS1_23onesweep_lookback_stateEbbT6_jjT7_P12ihipStream_tbENKUlT_T0_SG_SL_E_clISA_SA_SB_SB_EEDaSZ_S10_SG_SL_EUlSZ_E_NS1_11comp_targetILNS1_3genE4ELNS1_11target_archE910ELNS1_3gpuE8ELNS1_3repE0EEENS1_47radix_sort_onesweep_sort_config_static_selectorELNS0_4arch9wavefront6targetE0EEEvSG_ ; -- Begin function _ZN7rocprim17ROCPRIM_400000_NS6detail17trampoline_kernelINS0_14default_configENS1_35radix_sort_onesweep_config_selectorIfNS0_10empty_typeEEEZZNS1_29radix_sort_onesweep_iterationIS3_Lb0EPKfPfPS5_SB_mNS0_19identity_decomposerENS1_16block_id_wrapperIjLb0EEEEE10hipError_tT1_PNSt15iterator_traitsISG_E10value_typeET2_T3_PNSH_ISM_E10value_typeET4_T5_PSR_SS_PNS1_23onesweep_lookback_stateEbbT6_jjT7_P12ihipStream_tbENKUlT_T0_SG_SL_E_clISA_SA_SB_SB_EEDaSZ_S10_SG_SL_EUlSZ_E_NS1_11comp_targetILNS1_3genE4ELNS1_11target_archE910ELNS1_3gpuE8ELNS1_3repE0EEENS1_47radix_sort_onesweep_sort_config_static_selectorELNS0_4arch9wavefront6targetE0EEEvSG_
	.globl	_ZN7rocprim17ROCPRIM_400000_NS6detail17trampoline_kernelINS0_14default_configENS1_35radix_sort_onesweep_config_selectorIfNS0_10empty_typeEEEZZNS1_29radix_sort_onesweep_iterationIS3_Lb0EPKfPfPS5_SB_mNS0_19identity_decomposerENS1_16block_id_wrapperIjLb0EEEEE10hipError_tT1_PNSt15iterator_traitsISG_E10value_typeET2_T3_PNSH_ISM_E10value_typeET4_T5_PSR_SS_PNS1_23onesweep_lookback_stateEbbT6_jjT7_P12ihipStream_tbENKUlT_T0_SG_SL_E_clISA_SA_SB_SB_EEDaSZ_S10_SG_SL_EUlSZ_E_NS1_11comp_targetILNS1_3genE4ELNS1_11target_archE910ELNS1_3gpuE8ELNS1_3repE0EEENS1_47radix_sort_onesweep_sort_config_static_selectorELNS0_4arch9wavefront6targetE0EEEvSG_
	.p2align	8
	.type	_ZN7rocprim17ROCPRIM_400000_NS6detail17trampoline_kernelINS0_14default_configENS1_35radix_sort_onesweep_config_selectorIfNS0_10empty_typeEEEZZNS1_29radix_sort_onesweep_iterationIS3_Lb0EPKfPfPS5_SB_mNS0_19identity_decomposerENS1_16block_id_wrapperIjLb0EEEEE10hipError_tT1_PNSt15iterator_traitsISG_E10value_typeET2_T3_PNSH_ISM_E10value_typeET4_T5_PSR_SS_PNS1_23onesweep_lookback_stateEbbT6_jjT7_P12ihipStream_tbENKUlT_T0_SG_SL_E_clISA_SA_SB_SB_EEDaSZ_S10_SG_SL_EUlSZ_E_NS1_11comp_targetILNS1_3genE4ELNS1_11target_archE910ELNS1_3gpuE8ELNS1_3repE0EEENS1_47radix_sort_onesweep_sort_config_static_selectorELNS0_4arch9wavefront6targetE0EEEvSG_,@function
_ZN7rocprim17ROCPRIM_400000_NS6detail17trampoline_kernelINS0_14default_configENS1_35radix_sort_onesweep_config_selectorIfNS0_10empty_typeEEEZZNS1_29radix_sort_onesweep_iterationIS3_Lb0EPKfPfPS5_SB_mNS0_19identity_decomposerENS1_16block_id_wrapperIjLb0EEEEE10hipError_tT1_PNSt15iterator_traitsISG_E10value_typeET2_T3_PNSH_ISM_E10value_typeET4_T5_PSR_SS_PNS1_23onesweep_lookback_stateEbbT6_jjT7_P12ihipStream_tbENKUlT_T0_SG_SL_E_clISA_SA_SB_SB_EEDaSZ_S10_SG_SL_EUlSZ_E_NS1_11comp_targetILNS1_3genE4ELNS1_11target_archE910ELNS1_3gpuE8ELNS1_3repE0EEENS1_47radix_sort_onesweep_sort_config_static_selectorELNS0_4arch9wavefront6targetE0EEEvSG_: ; @_ZN7rocprim17ROCPRIM_400000_NS6detail17trampoline_kernelINS0_14default_configENS1_35radix_sort_onesweep_config_selectorIfNS0_10empty_typeEEEZZNS1_29radix_sort_onesweep_iterationIS3_Lb0EPKfPfPS5_SB_mNS0_19identity_decomposerENS1_16block_id_wrapperIjLb0EEEEE10hipError_tT1_PNSt15iterator_traitsISG_E10value_typeET2_T3_PNSH_ISM_E10value_typeET4_T5_PSR_SS_PNS1_23onesweep_lookback_stateEbbT6_jjT7_P12ihipStream_tbENKUlT_T0_SG_SL_E_clISA_SA_SB_SB_EEDaSZ_S10_SG_SL_EUlSZ_E_NS1_11comp_targetILNS1_3genE4ELNS1_11target_archE910ELNS1_3gpuE8ELNS1_3repE0EEENS1_47radix_sort_onesweep_sort_config_static_selectorELNS0_4arch9wavefront6targetE0EEEvSG_
; %bb.0:
	.section	.rodata,"a",@progbits
	.p2align	6, 0x0
	.amdhsa_kernel _ZN7rocprim17ROCPRIM_400000_NS6detail17trampoline_kernelINS0_14default_configENS1_35radix_sort_onesweep_config_selectorIfNS0_10empty_typeEEEZZNS1_29radix_sort_onesweep_iterationIS3_Lb0EPKfPfPS5_SB_mNS0_19identity_decomposerENS1_16block_id_wrapperIjLb0EEEEE10hipError_tT1_PNSt15iterator_traitsISG_E10value_typeET2_T3_PNSH_ISM_E10value_typeET4_T5_PSR_SS_PNS1_23onesweep_lookback_stateEbbT6_jjT7_P12ihipStream_tbENKUlT_T0_SG_SL_E_clISA_SA_SB_SB_EEDaSZ_S10_SG_SL_EUlSZ_E_NS1_11comp_targetILNS1_3genE4ELNS1_11target_archE910ELNS1_3gpuE8ELNS1_3repE0EEENS1_47radix_sort_onesweep_sort_config_static_selectorELNS0_4arch9wavefront6targetE0EEEvSG_
		.amdhsa_group_segment_fixed_size 0
		.amdhsa_private_segment_fixed_size 0
		.amdhsa_kernarg_size 88
		.amdhsa_user_sgpr_count 2
		.amdhsa_user_sgpr_dispatch_ptr 0
		.amdhsa_user_sgpr_queue_ptr 0
		.amdhsa_user_sgpr_kernarg_segment_ptr 1
		.amdhsa_user_sgpr_dispatch_id 0
		.amdhsa_user_sgpr_kernarg_preload_length 0
		.amdhsa_user_sgpr_kernarg_preload_offset 0
		.amdhsa_user_sgpr_private_segment_size 0
		.amdhsa_wavefront_size32 1
		.amdhsa_uses_dynamic_stack 0
		.amdhsa_enable_private_segment 0
		.amdhsa_system_sgpr_workgroup_id_x 1
		.amdhsa_system_sgpr_workgroup_id_y 0
		.amdhsa_system_sgpr_workgroup_id_z 0
		.amdhsa_system_sgpr_workgroup_info 0
		.amdhsa_system_vgpr_workitem_id 0
		.amdhsa_next_free_vgpr 1
		.amdhsa_next_free_sgpr 1
		.amdhsa_named_barrier_count 0
		.amdhsa_reserve_vcc 0
		.amdhsa_float_round_mode_32 0
		.amdhsa_float_round_mode_16_64 0
		.amdhsa_float_denorm_mode_32 3
		.amdhsa_float_denorm_mode_16_64 3
		.amdhsa_fp16_overflow 0
		.amdhsa_memory_ordered 1
		.amdhsa_forward_progress 1
		.amdhsa_inst_pref_size 0
		.amdhsa_round_robin_scheduling 0
		.amdhsa_exception_fp_ieee_invalid_op 0
		.amdhsa_exception_fp_denorm_src 0
		.amdhsa_exception_fp_ieee_div_zero 0
		.amdhsa_exception_fp_ieee_overflow 0
		.amdhsa_exception_fp_ieee_underflow 0
		.amdhsa_exception_fp_ieee_inexact 0
		.amdhsa_exception_int_div_zero 0
	.end_amdhsa_kernel
	.section	.text._ZN7rocprim17ROCPRIM_400000_NS6detail17trampoline_kernelINS0_14default_configENS1_35radix_sort_onesweep_config_selectorIfNS0_10empty_typeEEEZZNS1_29radix_sort_onesweep_iterationIS3_Lb0EPKfPfPS5_SB_mNS0_19identity_decomposerENS1_16block_id_wrapperIjLb0EEEEE10hipError_tT1_PNSt15iterator_traitsISG_E10value_typeET2_T3_PNSH_ISM_E10value_typeET4_T5_PSR_SS_PNS1_23onesweep_lookback_stateEbbT6_jjT7_P12ihipStream_tbENKUlT_T0_SG_SL_E_clISA_SA_SB_SB_EEDaSZ_S10_SG_SL_EUlSZ_E_NS1_11comp_targetILNS1_3genE4ELNS1_11target_archE910ELNS1_3gpuE8ELNS1_3repE0EEENS1_47radix_sort_onesweep_sort_config_static_selectorELNS0_4arch9wavefront6targetE0EEEvSG_,"axG",@progbits,_ZN7rocprim17ROCPRIM_400000_NS6detail17trampoline_kernelINS0_14default_configENS1_35radix_sort_onesweep_config_selectorIfNS0_10empty_typeEEEZZNS1_29radix_sort_onesweep_iterationIS3_Lb0EPKfPfPS5_SB_mNS0_19identity_decomposerENS1_16block_id_wrapperIjLb0EEEEE10hipError_tT1_PNSt15iterator_traitsISG_E10value_typeET2_T3_PNSH_ISM_E10value_typeET4_T5_PSR_SS_PNS1_23onesweep_lookback_stateEbbT6_jjT7_P12ihipStream_tbENKUlT_T0_SG_SL_E_clISA_SA_SB_SB_EEDaSZ_S10_SG_SL_EUlSZ_E_NS1_11comp_targetILNS1_3genE4ELNS1_11target_archE910ELNS1_3gpuE8ELNS1_3repE0EEENS1_47radix_sort_onesweep_sort_config_static_selectorELNS0_4arch9wavefront6targetE0EEEvSG_,comdat
.Lfunc_end1437:
	.size	_ZN7rocprim17ROCPRIM_400000_NS6detail17trampoline_kernelINS0_14default_configENS1_35radix_sort_onesweep_config_selectorIfNS0_10empty_typeEEEZZNS1_29radix_sort_onesweep_iterationIS3_Lb0EPKfPfPS5_SB_mNS0_19identity_decomposerENS1_16block_id_wrapperIjLb0EEEEE10hipError_tT1_PNSt15iterator_traitsISG_E10value_typeET2_T3_PNSH_ISM_E10value_typeET4_T5_PSR_SS_PNS1_23onesweep_lookback_stateEbbT6_jjT7_P12ihipStream_tbENKUlT_T0_SG_SL_E_clISA_SA_SB_SB_EEDaSZ_S10_SG_SL_EUlSZ_E_NS1_11comp_targetILNS1_3genE4ELNS1_11target_archE910ELNS1_3gpuE8ELNS1_3repE0EEENS1_47radix_sort_onesweep_sort_config_static_selectorELNS0_4arch9wavefront6targetE0EEEvSG_, .Lfunc_end1437-_ZN7rocprim17ROCPRIM_400000_NS6detail17trampoline_kernelINS0_14default_configENS1_35radix_sort_onesweep_config_selectorIfNS0_10empty_typeEEEZZNS1_29radix_sort_onesweep_iterationIS3_Lb0EPKfPfPS5_SB_mNS0_19identity_decomposerENS1_16block_id_wrapperIjLb0EEEEE10hipError_tT1_PNSt15iterator_traitsISG_E10value_typeET2_T3_PNSH_ISM_E10value_typeET4_T5_PSR_SS_PNS1_23onesweep_lookback_stateEbbT6_jjT7_P12ihipStream_tbENKUlT_T0_SG_SL_E_clISA_SA_SB_SB_EEDaSZ_S10_SG_SL_EUlSZ_E_NS1_11comp_targetILNS1_3genE4ELNS1_11target_archE910ELNS1_3gpuE8ELNS1_3repE0EEENS1_47radix_sort_onesweep_sort_config_static_selectorELNS0_4arch9wavefront6targetE0EEEvSG_
                                        ; -- End function
	.set _ZN7rocprim17ROCPRIM_400000_NS6detail17trampoline_kernelINS0_14default_configENS1_35radix_sort_onesweep_config_selectorIfNS0_10empty_typeEEEZZNS1_29radix_sort_onesweep_iterationIS3_Lb0EPKfPfPS5_SB_mNS0_19identity_decomposerENS1_16block_id_wrapperIjLb0EEEEE10hipError_tT1_PNSt15iterator_traitsISG_E10value_typeET2_T3_PNSH_ISM_E10value_typeET4_T5_PSR_SS_PNS1_23onesweep_lookback_stateEbbT6_jjT7_P12ihipStream_tbENKUlT_T0_SG_SL_E_clISA_SA_SB_SB_EEDaSZ_S10_SG_SL_EUlSZ_E_NS1_11comp_targetILNS1_3genE4ELNS1_11target_archE910ELNS1_3gpuE8ELNS1_3repE0EEENS1_47radix_sort_onesweep_sort_config_static_selectorELNS0_4arch9wavefront6targetE0EEEvSG_.num_vgpr, 0
	.set _ZN7rocprim17ROCPRIM_400000_NS6detail17trampoline_kernelINS0_14default_configENS1_35radix_sort_onesweep_config_selectorIfNS0_10empty_typeEEEZZNS1_29radix_sort_onesweep_iterationIS3_Lb0EPKfPfPS5_SB_mNS0_19identity_decomposerENS1_16block_id_wrapperIjLb0EEEEE10hipError_tT1_PNSt15iterator_traitsISG_E10value_typeET2_T3_PNSH_ISM_E10value_typeET4_T5_PSR_SS_PNS1_23onesweep_lookback_stateEbbT6_jjT7_P12ihipStream_tbENKUlT_T0_SG_SL_E_clISA_SA_SB_SB_EEDaSZ_S10_SG_SL_EUlSZ_E_NS1_11comp_targetILNS1_3genE4ELNS1_11target_archE910ELNS1_3gpuE8ELNS1_3repE0EEENS1_47radix_sort_onesweep_sort_config_static_selectorELNS0_4arch9wavefront6targetE0EEEvSG_.num_agpr, 0
	.set _ZN7rocprim17ROCPRIM_400000_NS6detail17trampoline_kernelINS0_14default_configENS1_35radix_sort_onesweep_config_selectorIfNS0_10empty_typeEEEZZNS1_29radix_sort_onesweep_iterationIS3_Lb0EPKfPfPS5_SB_mNS0_19identity_decomposerENS1_16block_id_wrapperIjLb0EEEEE10hipError_tT1_PNSt15iterator_traitsISG_E10value_typeET2_T3_PNSH_ISM_E10value_typeET4_T5_PSR_SS_PNS1_23onesweep_lookback_stateEbbT6_jjT7_P12ihipStream_tbENKUlT_T0_SG_SL_E_clISA_SA_SB_SB_EEDaSZ_S10_SG_SL_EUlSZ_E_NS1_11comp_targetILNS1_3genE4ELNS1_11target_archE910ELNS1_3gpuE8ELNS1_3repE0EEENS1_47radix_sort_onesweep_sort_config_static_selectorELNS0_4arch9wavefront6targetE0EEEvSG_.numbered_sgpr, 0
	.set _ZN7rocprim17ROCPRIM_400000_NS6detail17trampoline_kernelINS0_14default_configENS1_35radix_sort_onesweep_config_selectorIfNS0_10empty_typeEEEZZNS1_29radix_sort_onesweep_iterationIS3_Lb0EPKfPfPS5_SB_mNS0_19identity_decomposerENS1_16block_id_wrapperIjLb0EEEEE10hipError_tT1_PNSt15iterator_traitsISG_E10value_typeET2_T3_PNSH_ISM_E10value_typeET4_T5_PSR_SS_PNS1_23onesweep_lookback_stateEbbT6_jjT7_P12ihipStream_tbENKUlT_T0_SG_SL_E_clISA_SA_SB_SB_EEDaSZ_S10_SG_SL_EUlSZ_E_NS1_11comp_targetILNS1_3genE4ELNS1_11target_archE910ELNS1_3gpuE8ELNS1_3repE0EEENS1_47radix_sort_onesweep_sort_config_static_selectorELNS0_4arch9wavefront6targetE0EEEvSG_.num_named_barrier, 0
	.set _ZN7rocprim17ROCPRIM_400000_NS6detail17trampoline_kernelINS0_14default_configENS1_35radix_sort_onesweep_config_selectorIfNS0_10empty_typeEEEZZNS1_29radix_sort_onesweep_iterationIS3_Lb0EPKfPfPS5_SB_mNS0_19identity_decomposerENS1_16block_id_wrapperIjLb0EEEEE10hipError_tT1_PNSt15iterator_traitsISG_E10value_typeET2_T3_PNSH_ISM_E10value_typeET4_T5_PSR_SS_PNS1_23onesweep_lookback_stateEbbT6_jjT7_P12ihipStream_tbENKUlT_T0_SG_SL_E_clISA_SA_SB_SB_EEDaSZ_S10_SG_SL_EUlSZ_E_NS1_11comp_targetILNS1_3genE4ELNS1_11target_archE910ELNS1_3gpuE8ELNS1_3repE0EEENS1_47radix_sort_onesweep_sort_config_static_selectorELNS0_4arch9wavefront6targetE0EEEvSG_.private_seg_size, 0
	.set _ZN7rocprim17ROCPRIM_400000_NS6detail17trampoline_kernelINS0_14default_configENS1_35radix_sort_onesweep_config_selectorIfNS0_10empty_typeEEEZZNS1_29radix_sort_onesweep_iterationIS3_Lb0EPKfPfPS5_SB_mNS0_19identity_decomposerENS1_16block_id_wrapperIjLb0EEEEE10hipError_tT1_PNSt15iterator_traitsISG_E10value_typeET2_T3_PNSH_ISM_E10value_typeET4_T5_PSR_SS_PNS1_23onesweep_lookback_stateEbbT6_jjT7_P12ihipStream_tbENKUlT_T0_SG_SL_E_clISA_SA_SB_SB_EEDaSZ_S10_SG_SL_EUlSZ_E_NS1_11comp_targetILNS1_3genE4ELNS1_11target_archE910ELNS1_3gpuE8ELNS1_3repE0EEENS1_47radix_sort_onesweep_sort_config_static_selectorELNS0_4arch9wavefront6targetE0EEEvSG_.uses_vcc, 0
	.set _ZN7rocprim17ROCPRIM_400000_NS6detail17trampoline_kernelINS0_14default_configENS1_35radix_sort_onesweep_config_selectorIfNS0_10empty_typeEEEZZNS1_29radix_sort_onesweep_iterationIS3_Lb0EPKfPfPS5_SB_mNS0_19identity_decomposerENS1_16block_id_wrapperIjLb0EEEEE10hipError_tT1_PNSt15iterator_traitsISG_E10value_typeET2_T3_PNSH_ISM_E10value_typeET4_T5_PSR_SS_PNS1_23onesweep_lookback_stateEbbT6_jjT7_P12ihipStream_tbENKUlT_T0_SG_SL_E_clISA_SA_SB_SB_EEDaSZ_S10_SG_SL_EUlSZ_E_NS1_11comp_targetILNS1_3genE4ELNS1_11target_archE910ELNS1_3gpuE8ELNS1_3repE0EEENS1_47radix_sort_onesweep_sort_config_static_selectorELNS0_4arch9wavefront6targetE0EEEvSG_.uses_flat_scratch, 0
	.set _ZN7rocprim17ROCPRIM_400000_NS6detail17trampoline_kernelINS0_14default_configENS1_35radix_sort_onesweep_config_selectorIfNS0_10empty_typeEEEZZNS1_29radix_sort_onesweep_iterationIS3_Lb0EPKfPfPS5_SB_mNS0_19identity_decomposerENS1_16block_id_wrapperIjLb0EEEEE10hipError_tT1_PNSt15iterator_traitsISG_E10value_typeET2_T3_PNSH_ISM_E10value_typeET4_T5_PSR_SS_PNS1_23onesweep_lookback_stateEbbT6_jjT7_P12ihipStream_tbENKUlT_T0_SG_SL_E_clISA_SA_SB_SB_EEDaSZ_S10_SG_SL_EUlSZ_E_NS1_11comp_targetILNS1_3genE4ELNS1_11target_archE910ELNS1_3gpuE8ELNS1_3repE0EEENS1_47radix_sort_onesweep_sort_config_static_selectorELNS0_4arch9wavefront6targetE0EEEvSG_.has_dyn_sized_stack, 0
	.set _ZN7rocprim17ROCPRIM_400000_NS6detail17trampoline_kernelINS0_14default_configENS1_35radix_sort_onesweep_config_selectorIfNS0_10empty_typeEEEZZNS1_29radix_sort_onesweep_iterationIS3_Lb0EPKfPfPS5_SB_mNS0_19identity_decomposerENS1_16block_id_wrapperIjLb0EEEEE10hipError_tT1_PNSt15iterator_traitsISG_E10value_typeET2_T3_PNSH_ISM_E10value_typeET4_T5_PSR_SS_PNS1_23onesweep_lookback_stateEbbT6_jjT7_P12ihipStream_tbENKUlT_T0_SG_SL_E_clISA_SA_SB_SB_EEDaSZ_S10_SG_SL_EUlSZ_E_NS1_11comp_targetILNS1_3genE4ELNS1_11target_archE910ELNS1_3gpuE8ELNS1_3repE0EEENS1_47radix_sort_onesweep_sort_config_static_selectorELNS0_4arch9wavefront6targetE0EEEvSG_.has_recursion, 0
	.set _ZN7rocprim17ROCPRIM_400000_NS6detail17trampoline_kernelINS0_14default_configENS1_35radix_sort_onesweep_config_selectorIfNS0_10empty_typeEEEZZNS1_29radix_sort_onesweep_iterationIS3_Lb0EPKfPfPS5_SB_mNS0_19identity_decomposerENS1_16block_id_wrapperIjLb0EEEEE10hipError_tT1_PNSt15iterator_traitsISG_E10value_typeET2_T3_PNSH_ISM_E10value_typeET4_T5_PSR_SS_PNS1_23onesweep_lookback_stateEbbT6_jjT7_P12ihipStream_tbENKUlT_T0_SG_SL_E_clISA_SA_SB_SB_EEDaSZ_S10_SG_SL_EUlSZ_E_NS1_11comp_targetILNS1_3genE4ELNS1_11target_archE910ELNS1_3gpuE8ELNS1_3repE0EEENS1_47radix_sort_onesweep_sort_config_static_selectorELNS0_4arch9wavefront6targetE0EEEvSG_.has_indirect_call, 0
	.section	.AMDGPU.csdata,"",@progbits
; Kernel info:
; codeLenInByte = 0
; TotalNumSgprs: 0
; NumVgprs: 0
; ScratchSize: 0
; MemoryBound: 0
; FloatMode: 240
; IeeeMode: 1
; LDSByteSize: 0 bytes/workgroup (compile time only)
; SGPRBlocks: 0
; VGPRBlocks: 0
; NumSGPRsForWavesPerEU: 1
; NumVGPRsForWavesPerEU: 1
; NamedBarCnt: 0
; Occupancy: 16
; WaveLimiterHint : 0
; COMPUTE_PGM_RSRC2:SCRATCH_EN: 0
; COMPUTE_PGM_RSRC2:USER_SGPR: 2
; COMPUTE_PGM_RSRC2:TRAP_HANDLER: 0
; COMPUTE_PGM_RSRC2:TGID_X_EN: 1
; COMPUTE_PGM_RSRC2:TGID_Y_EN: 0
; COMPUTE_PGM_RSRC2:TGID_Z_EN: 0
; COMPUTE_PGM_RSRC2:TIDIG_COMP_CNT: 0
	.section	.text._ZN7rocprim17ROCPRIM_400000_NS6detail17trampoline_kernelINS0_14default_configENS1_35radix_sort_onesweep_config_selectorIfNS0_10empty_typeEEEZZNS1_29radix_sort_onesweep_iterationIS3_Lb0EPKfPfPS5_SB_mNS0_19identity_decomposerENS1_16block_id_wrapperIjLb0EEEEE10hipError_tT1_PNSt15iterator_traitsISG_E10value_typeET2_T3_PNSH_ISM_E10value_typeET4_T5_PSR_SS_PNS1_23onesweep_lookback_stateEbbT6_jjT7_P12ihipStream_tbENKUlT_T0_SG_SL_E_clISA_SA_SB_SB_EEDaSZ_S10_SG_SL_EUlSZ_E_NS1_11comp_targetILNS1_3genE3ELNS1_11target_archE908ELNS1_3gpuE7ELNS1_3repE0EEENS1_47radix_sort_onesweep_sort_config_static_selectorELNS0_4arch9wavefront6targetE0EEEvSG_,"axG",@progbits,_ZN7rocprim17ROCPRIM_400000_NS6detail17trampoline_kernelINS0_14default_configENS1_35radix_sort_onesweep_config_selectorIfNS0_10empty_typeEEEZZNS1_29radix_sort_onesweep_iterationIS3_Lb0EPKfPfPS5_SB_mNS0_19identity_decomposerENS1_16block_id_wrapperIjLb0EEEEE10hipError_tT1_PNSt15iterator_traitsISG_E10value_typeET2_T3_PNSH_ISM_E10value_typeET4_T5_PSR_SS_PNS1_23onesweep_lookback_stateEbbT6_jjT7_P12ihipStream_tbENKUlT_T0_SG_SL_E_clISA_SA_SB_SB_EEDaSZ_S10_SG_SL_EUlSZ_E_NS1_11comp_targetILNS1_3genE3ELNS1_11target_archE908ELNS1_3gpuE7ELNS1_3repE0EEENS1_47radix_sort_onesweep_sort_config_static_selectorELNS0_4arch9wavefront6targetE0EEEvSG_,comdat
	.protected	_ZN7rocprim17ROCPRIM_400000_NS6detail17trampoline_kernelINS0_14default_configENS1_35radix_sort_onesweep_config_selectorIfNS0_10empty_typeEEEZZNS1_29radix_sort_onesweep_iterationIS3_Lb0EPKfPfPS5_SB_mNS0_19identity_decomposerENS1_16block_id_wrapperIjLb0EEEEE10hipError_tT1_PNSt15iterator_traitsISG_E10value_typeET2_T3_PNSH_ISM_E10value_typeET4_T5_PSR_SS_PNS1_23onesweep_lookback_stateEbbT6_jjT7_P12ihipStream_tbENKUlT_T0_SG_SL_E_clISA_SA_SB_SB_EEDaSZ_S10_SG_SL_EUlSZ_E_NS1_11comp_targetILNS1_3genE3ELNS1_11target_archE908ELNS1_3gpuE7ELNS1_3repE0EEENS1_47radix_sort_onesweep_sort_config_static_selectorELNS0_4arch9wavefront6targetE0EEEvSG_ ; -- Begin function _ZN7rocprim17ROCPRIM_400000_NS6detail17trampoline_kernelINS0_14default_configENS1_35radix_sort_onesweep_config_selectorIfNS0_10empty_typeEEEZZNS1_29radix_sort_onesweep_iterationIS3_Lb0EPKfPfPS5_SB_mNS0_19identity_decomposerENS1_16block_id_wrapperIjLb0EEEEE10hipError_tT1_PNSt15iterator_traitsISG_E10value_typeET2_T3_PNSH_ISM_E10value_typeET4_T5_PSR_SS_PNS1_23onesweep_lookback_stateEbbT6_jjT7_P12ihipStream_tbENKUlT_T0_SG_SL_E_clISA_SA_SB_SB_EEDaSZ_S10_SG_SL_EUlSZ_E_NS1_11comp_targetILNS1_3genE3ELNS1_11target_archE908ELNS1_3gpuE7ELNS1_3repE0EEENS1_47radix_sort_onesweep_sort_config_static_selectorELNS0_4arch9wavefront6targetE0EEEvSG_
	.globl	_ZN7rocprim17ROCPRIM_400000_NS6detail17trampoline_kernelINS0_14default_configENS1_35radix_sort_onesweep_config_selectorIfNS0_10empty_typeEEEZZNS1_29radix_sort_onesweep_iterationIS3_Lb0EPKfPfPS5_SB_mNS0_19identity_decomposerENS1_16block_id_wrapperIjLb0EEEEE10hipError_tT1_PNSt15iterator_traitsISG_E10value_typeET2_T3_PNSH_ISM_E10value_typeET4_T5_PSR_SS_PNS1_23onesweep_lookback_stateEbbT6_jjT7_P12ihipStream_tbENKUlT_T0_SG_SL_E_clISA_SA_SB_SB_EEDaSZ_S10_SG_SL_EUlSZ_E_NS1_11comp_targetILNS1_3genE3ELNS1_11target_archE908ELNS1_3gpuE7ELNS1_3repE0EEENS1_47radix_sort_onesweep_sort_config_static_selectorELNS0_4arch9wavefront6targetE0EEEvSG_
	.p2align	8
	.type	_ZN7rocprim17ROCPRIM_400000_NS6detail17trampoline_kernelINS0_14default_configENS1_35radix_sort_onesweep_config_selectorIfNS0_10empty_typeEEEZZNS1_29radix_sort_onesweep_iterationIS3_Lb0EPKfPfPS5_SB_mNS0_19identity_decomposerENS1_16block_id_wrapperIjLb0EEEEE10hipError_tT1_PNSt15iterator_traitsISG_E10value_typeET2_T3_PNSH_ISM_E10value_typeET4_T5_PSR_SS_PNS1_23onesweep_lookback_stateEbbT6_jjT7_P12ihipStream_tbENKUlT_T0_SG_SL_E_clISA_SA_SB_SB_EEDaSZ_S10_SG_SL_EUlSZ_E_NS1_11comp_targetILNS1_3genE3ELNS1_11target_archE908ELNS1_3gpuE7ELNS1_3repE0EEENS1_47radix_sort_onesweep_sort_config_static_selectorELNS0_4arch9wavefront6targetE0EEEvSG_,@function
_ZN7rocprim17ROCPRIM_400000_NS6detail17trampoline_kernelINS0_14default_configENS1_35radix_sort_onesweep_config_selectorIfNS0_10empty_typeEEEZZNS1_29radix_sort_onesweep_iterationIS3_Lb0EPKfPfPS5_SB_mNS0_19identity_decomposerENS1_16block_id_wrapperIjLb0EEEEE10hipError_tT1_PNSt15iterator_traitsISG_E10value_typeET2_T3_PNSH_ISM_E10value_typeET4_T5_PSR_SS_PNS1_23onesweep_lookback_stateEbbT6_jjT7_P12ihipStream_tbENKUlT_T0_SG_SL_E_clISA_SA_SB_SB_EEDaSZ_S10_SG_SL_EUlSZ_E_NS1_11comp_targetILNS1_3genE3ELNS1_11target_archE908ELNS1_3gpuE7ELNS1_3repE0EEENS1_47radix_sort_onesweep_sort_config_static_selectorELNS0_4arch9wavefront6targetE0EEEvSG_: ; @_ZN7rocprim17ROCPRIM_400000_NS6detail17trampoline_kernelINS0_14default_configENS1_35radix_sort_onesweep_config_selectorIfNS0_10empty_typeEEEZZNS1_29radix_sort_onesweep_iterationIS3_Lb0EPKfPfPS5_SB_mNS0_19identity_decomposerENS1_16block_id_wrapperIjLb0EEEEE10hipError_tT1_PNSt15iterator_traitsISG_E10value_typeET2_T3_PNSH_ISM_E10value_typeET4_T5_PSR_SS_PNS1_23onesweep_lookback_stateEbbT6_jjT7_P12ihipStream_tbENKUlT_T0_SG_SL_E_clISA_SA_SB_SB_EEDaSZ_S10_SG_SL_EUlSZ_E_NS1_11comp_targetILNS1_3genE3ELNS1_11target_archE908ELNS1_3gpuE7ELNS1_3repE0EEENS1_47radix_sort_onesweep_sort_config_static_selectorELNS0_4arch9wavefront6targetE0EEEvSG_
; %bb.0:
	.section	.rodata,"a",@progbits
	.p2align	6, 0x0
	.amdhsa_kernel _ZN7rocprim17ROCPRIM_400000_NS6detail17trampoline_kernelINS0_14default_configENS1_35radix_sort_onesweep_config_selectorIfNS0_10empty_typeEEEZZNS1_29radix_sort_onesweep_iterationIS3_Lb0EPKfPfPS5_SB_mNS0_19identity_decomposerENS1_16block_id_wrapperIjLb0EEEEE10hipError_tT1_PNSt15iterator_traitsISG_E10value_typeET2_T3_PNSH_ISM_E10value_typeET4_T5_PSR_SS_PNS1_23onesweep_lookback_stateEbbT6_jjT7_P12ihipStream_tbENKUlT_T0_SG_SL_E_clISA_SA_SB_SB_EEDaSZ_S10_SG_SL_EUlSZ_E_NS1_11comp_targetILNS1_3genE3ELNS1_11target_archE908ELNS1_3gpuE7ELNS1_3repE0EEENS1_47radix_sort_onesweep_sort_config_static_selectorELNS0_4arch9wavefront6targetE0EEEvSG_
		.amdhsa_group_segment_fixed_size 0
		.amdhsa_private_segment_fixed_size 0
		.amdhsa_kernarg_size 88
		.amdhsa_user_sgpr_count 2
		.amdhsa_user_sgpr_dispatch_ptr 0
		.amdhsa_user_sgpr_queue_ptr 0
		.amdhsa_user_sgpr_kernarg_segment_ptr 1
		.amdhsa_user_sgpr_dispatch_id 0
		.amdhsa_user_sgpr_kernarg_preload_length 0
		.amdhsa_user_sgpr_kernarg_preload_offset 0
		.amdhsa_user_sgpr_private_segment_size 0
		.amdhsa_wavefront_size32 1
		.amdhsa_uses_dynamic_stack 0
		.amdhsa_enable_private_segment 0
		.amdhsa_system_sgpr_workgroup_id_x 1
		.amdhsa_system_sgpr_workgroup_id_y 0
		.amdhsa_system_sgpr_workgroup_id_z 0
		.amdhsa_system_sgpr_workgroup_info 0
		.amdhsa_system_vgpr_workitem_id 0
		.amdhsa_next_free_vgpr 1
		.amdhsa_next_free_sgpr 1
		.amdhsa_named_barrier_count 0
		.amdhsa_reserve_vcc 0
		.amdhsa_float_round_mode_32 0
		.amdhsa_float_round_mode_16_64 0
		.amdhsa_float_denorm_mode_32 3
		.amdhsa_float_denorm_mode_16_64 3
		.amdhsa_fp16_overflow 0
		.amdhsa_memory_ordered 1
		.amdhsa_forward_progress 1
		.amdhsa_inst_pref_size 0
		.amdhsa_round_robin_scheduling 0
		.amdhsa_exception_fp_ieee_invalid_op 0
		.amdhsa_exception_fp_denorm_src 0
		.amdhsa_exception_fp_ieee_div_zero 0
		.amdhsa_exception_fp_ieee_overflow 0
		.amdhsa_exception_fp_ieee_underflow 0
		.amdhsa_exception_fp_ieee_inexact 0
		.amdhsa_exception_int_div_zero 0
	.end_amdhsa_kernel
	.section	.text._ZN7rocprim17ROCPRIM_400000_NS6detail17trampoline_kernelINS0_14default_configENS1_35radix_sort_onesweep_config_selectorIfNS0_10empty_typeEEEZZNS1_29radix_sort_onesweep_iterationIS3_Lb0EPKfPfPS5_SB_mNS0_19identity_decomposerENS1_16block_id_wrapperIjLb0EEEEE10hipError_tT1_PNSt15iterator_traitsISG_E10value_typeET2_T3_PNSH_ISM_E10value_typeET4_T5_PSR_SS_PNS1_23onesweep_lookback_stateEbbT6_jjT7_P12ihipStream_tbENKUlT_T0_SG_SL_E_clISA_SA_SB_SB_EEDaSZ_S10_SG_SL_EUlSZ_E_NS1_11comp_targetILNS1_3genE3ELNS1_11target_archE908ELNS1_3gpuE7ELNS1_3repE0EEENS1_47radix_sort_onesweep_sort_config_static_selectorELNS0_4arch9wavefront6targetE0EEEvSG_,"axG",@progbits,_ZN7rocprim17ROCPRIM_400000_NS6detail17trampoline_kernelINS0_14default_configENS1_35radix_sort_onesweep_config_selectorIfNS0_10empty_typeEEEZZNS1_29radix_sort_onesweep_iterationIS3_Lb0EPKfPfPS5_SB_mNS0_19identity_decomposerENS1_16block_id_wrapperIjLb0EEEEE10hipError_tT1_PNSt15iterator_traitsISG_E10value_typeET2_T3_PNSH_ISM_E10value_typeET4_T5_PSR_SS_PNS1_23onesweep_lookback_stateEbbT6_jjT7_P12ihipStream_tbENKUlT_T0_SG_SL_E_clISA_SA_SB_SB_EEDaSZ_S10_SG_SL_EUlSZ_E_NS1_11comp_targetILNS1_3genE3ELNS1_11target_archE908ELNS1_3gpuE7ELNS1_3repE0EEENS1_47radix_sort_onesweep_sort_config_static_selectorELNS0_4arch9wavefront6targetE0EEEvSG_,comdat
.Lfunc_end1438:
	.size	_ZN7rocprim17ROCPRIM_400000_NS6detail17trampoline_kernelINS0_14default_configENS1_35radix_sort_onesweep_config_selectorIfNS0_10empty_typeEEEZZNS1_29radix_sort_onesweep_iterationIS3_Lb0EPKfPfPS5_SB_mNS0_19identity_decomposerENS1_16block_id_wrapperIjLb0EEEEE10hipError_tT1_PNSt15iterator_traitsISG_E10value_typeET2_T3_PNSH_ISM_E10value_typeET4_T5_PSR_SS_PNS1_23onesweep_lookback_stateEbbT6_jjT7_P12ihipStream_tbENKUlT_T0_SG_SL_E_clISA_SA_SB_SB_EEDaSZ_S10_SG_SL_EUlSZ_E_NS1_11comp_targetILNS1_3genE3ELNS1_11target_archE908ELNS1_3gpuE7ELNS1_3repE0EEENS1_47radix_sort_onesweep_sort_config_static_selectorELNS0_4arch9wavefront6targetE0EEEvSG_, .Lfunc_end1438-_ZN7rocprim17ROCPRIM_400000_NS6detail17trampoline_kernelINS0_14default_configENS1_35radix_sort_onesweep_config_selectorIfNS0_10empty_typeEEEZZNS1_29radix_sort_onesweep_iterationIS3_Lb0EPKfPfPS5_SB_mNS0_19identity_decomposerENS1_16block_id_wrapperIjLb0EEEEE10hipError_tT1_PNSt15iterator_traitsISG_E10value_typeET2_T3_PNSH_ISM_E10value_typeET4_T5_PSR_SS_PNS1_23onesweep_lookback_stateEbbT6_jjT7_P12ihipStream_tbENKUlT_T0_SG_SL_E_clISA_SA_SB_SB_EEDaSZ_S10_SG_SL_EUlSZ_E_NS1_11comp_targetILNS1_3genE3ELNS1_11target_archE908ELNS1_3gpuE7ELNS1_3repE0EEENS1_47radix_sort_onesweep_sort_config_static_selectorELNS0_4arch9wavefront6targetE0EEEvSG_
                                        ; -- End function
	.set _ZN7rocprim17ROCPRIM_400000_NS6detail17trampoline_kernelINS0_14default_configENS1_35radix_sort_onesweep_config_selectorIfNS0_10empty_typeEEEZZNS1_29radix_sort_onesweep_iterationIS3_Lb0EPKfPfPS5_SB_mNS0_19identity_decomposerENS1_16block_id_wrapperIjLb0EEEEE10hipError_tT1_PNSt15iterator_traitsISG_E10value_typeET2_T3_PNSH_ISM_E10value_typeET4_T5_PSR_SS_PNS1_23onesweep_lookback_stateEbbT6_jjT7_P12ihipStream_tbENKUlT_T0_SG_SL_E_clISA_SA_SB_SB_EEDaSZ_S10_SG_SL_EUlSZ_E_NS1_11comp_targetILNS1_3genE3ELNS1_11target_archE908ELNS1_3gpuE7ELNS1_3repE0EEENS1_47radix_sort_onesweep_sort_config_static_selectorELNS0_4arch9wavefront6targetE0EEEvSG_.num_vgpr, 0
	.set _ZN7rocprim17ROCPRIM_400000_NS6detail17trampoline_kernelINS0_14default_configENS1_35radix_sort_onesweep_config_selectorIfNS0_10empty_typeEEEZZNS1_29radix_sort_onesweep_iterationIS3_Lb0EPKfPfPS5_SB_mNS0_19identity_decomposerENS1_16block_id_wrapperIjLb0EEEEE10hipError_tT1_PNSt15iterator_traitsISG_E10value_typeET2_T3_PNSH_ISM_E10value_typeET4_T5_PSR_SS_PNS1_23onesweep_lookback_stateEbbT6_jjT7_P12ihipStream_tbENKUlT_T0_SG_SL_E_clISA_SA_SB_SB_EEDaSZ_S10_SG_SL_EUlSZ_E_NS1_11comp_targetILNS1_3genE3ELNS1_11target_archE908ELNS1_3gpuE7ELNS1_3repE0EEENS1_47radix_sort_onesweep_sort_config_static_selectorELNS0_4arch9wavefront6targetE0EEEvSG_.num_agpr, 0
	.set _ZN7rocprim17ROCPRIM_400000_NS6detail17trampoline_kernelINS0_14default_configENS1_35radix_sort_onesweep_config_selectorIfNS0_10empty_typeEEEZZNS1_29radix_sort_onesweep_iterationIS3_Lb0EPKfPfPS5_SB_mNS0_19identity_decomposerENS1_16block_id_wrapperIjLb0EEEEE10hipError_tT1_PNSt15iterator_traitsISG_E10value_typeET2_T3_PNSH_ISM_E10value_typeET4_T5_PSR_SS_PNS1_23onesweep_lookback_stateEbbT6_jjT7_P12ihipStream_tbENKUlT_T0_SG_SL_E_clISA_SA_SB_SB_EEDaSZ_S10_SG_SL_EUlSZ_E_NS1_11comp_targetILNS1_3genE3ELNS1_11target_archE908ELNS1_3gpuE7ELNS1_3repE0EEENS1_47radix_sort_onesweep_sort_config_static_selectorELNS0_4arch9wavefront6targetE0EEEvSG_.numbered_sgpr, 0
	.set _ZN7rocprim17ROCPRIM_400000_NS6detail17trampoline_kernelINS0_14default_configENS1_35radix_sort_onesweep_config_selectorIfNS0_10empty_typeEEEZZNS1_29radix_sort_onesweep_iterationIS3_Lb0EPKfPfPS5_SB_mNS0_19identity_decomposerENS1_16block_id_wrapperIjLb0EEEEE10hipError_tT1_PNSt15iterator_traitsISG_E10value_typeET2_T3_PNSH_ISM_E10value_typeET4_T5_PSR_SS_PNS1_23onesweep_lookback_stateEbbT6_jjT7_P12ihipStream_tbENKUlT_T0_SG_SL_E_clISA_SA_SB_SB_EEDaSZ_S10_SG_SL_EUlSZ_E_NS1_11comp_targetILNS1_3genE3ELNS1_11target_archE908ELNS1_3gpuE7ELNS1_3repE0EEENS1_47radix_sort_onesweep_sort_config_static_selectorELNS0_4arch9wavefront6targetE0EEEvSG_.num_named_barrier, 0
	.set _ZN7rocprim17ROCPRIM_400000_NS6detail17trampoline_kernelINS0_14default_configENS1_35radix_sort_onesweep_config_selectorIfNS0_10empty_typeEEEZZNS1_29radix_sort_onesweep_iterationIS3_Lb0EPKfPfPS5_SB_mNS0_19identity_decomposerENS1_16block_id_wrapperIjLb0EEEEE10hipError_tT1_PNSt15iterator_traitsISG_E10value_typeET2_T3_PNSH_ISM_E10value_typeET4_T5_PSR_SS_PNS1_23onesweep_lookback_stateEbbT6_jjT7_P12ihipStream_tbENKUlT_T0_SG_SL_E_clISA_SA_SB_SB_EEDaSZ_S10_SG_SL_EUlSZ_E_NS1_11comp_targetILNS1_3genE3ELNS1_11target_archE908ELNS1_3gpuE7ELNS1_3repE0EEENS1_47radix_sort_onesweep_sort_config_static_selectorELNS0_4arch9wavefront6targetE0EEEvSG_.private_seg_size, 0
	.set _ZN7rocprim17ROCPRIM_400000_NS6detail17trampoline_kernelINS0_14default_configENS1_35radix_sort_onesweep_config_selectorIfNS0_10empty_typeEEEZZNS1_29radix_sort_onesweep_iterationIS3_Lb0EPKfPfPS5_SB_mNS0_19identity_decomposerENS1_16block_id_wrapperIjLb0EEEEE10hipError_tT1_PNSt15iterator_traitsISG_E10value_typeET2_T3_PNSH_ISM_E10value_typeET4_T5_PSR_SS_PNS1_23onesweep_lookback_stateEbbT6_jjT7_P12ihipStream_tbENKUlT_T0_SG_SL_E_clISA_SA_SB_SB_EEDaSZ_S10_SG_SL_EUlSZ_E_NS1_11comp_targetILNS1_3genE3ELNS1_11target_archE908ELNS1_3gpuE7ELNS1_3repE0EEENS1_47radix_sort_onesweep_sort_config_static_selectorELNS0_4arch9wavefront6targetE0EEEvSG_.uses_vcc, 0
	.set _ZN7rocprim17ROCPRIM_400000_NS6detail17trampoline_kernelINS0_14default_configENS1_35radix_sort_onesweep_config_selectorIfNS0_10empty_typeEEEZZNS1_29radix_sort_onesweep_iterationIS3_Lb0EPKfPfPS5_SB_mNS0_19identity_decomposerENS1_16block_id_wrapperIjLb0EEEEE10hipError_tT1_PNSt15iterator_traitsISG_E10value_typeET2_T3_PNSH_ISM_E10value_typeET4_T5_PSR_SS_PNS1_23onesweep_lookback_stateEbbT6_jjT7_P12ihipStream_tbENKUlT_T0_SG_SL_E_clISA_SA_SB_SB_EEDaSZ_S10_SG_SL_EUlSZ_E_NS1_11comp_targetILNS1_3genE3ELNS1_11target_archE908ELNS1_3gpuE7ELNS1_3repE0EEENS1_47radix_sort_onesweep_sort_config_static_selectorELNS0_4arch9wavefront6targetE0EEEvSG_.uses_flat_scratch, 0
	.set _ZN7rocprim17ROCPRIM_400000_NS6detail17trampoline_kernelINS0_14default_configENS1_35radix_sort_onesweep_config_selectorIfNS0_10empty_typeEEEZZNS1_29radix_sort_onesweep_iterationIS3_Lb0EPKfPfPS5_SB_mNS0_19identity_decomposerENS1_16block_id_wrapperIjLb0EEEEE10hipError_tT1_PNSt15iterator_traitsISG_E10value_typeET2_T3_PNSH_ISM_E10value_typeET4_T5_PSR_SS_PNS1_23onesweep_lookback_stateEbbT6_jjT7_P12ihipStream_tbENKUlT_T0_SG_SL_E_clISA_SA_SB_SB_EEDaSZ_S10_SG_SL_EUlSZ_E_NS1_11comp_targetILNS1_3genE3ELNS1_11target_archE908ELNS1_3gpuE7ELNS1_3repE0EEENS1_47radix_sort_onesweep_sort_config_static_selectorELNS0_4arch9wavefront6targetE0EEEvSG_.has_dyn_sized_stack, 0
	.set _ZN7rocprim17ROCPRIM_400000_NS6detail17trampoline_kernelINS0_14default_configENS1_35radix_sort_onesweep_config_selectorIfNS0_10empty_typeEEEZZNS1_29radix_sort_onesweep_iterationIS3_Lb0EPKfPfPS5_SB_mNS0_19identity_decomposerENS1_16block_id_wrapperIjLb0EEEEE10hipError_tT1_PNSt15iterator_traitsISG_E10value_typeET2_T3_PNSH_ISM_E10value_typeET4_T5_PSR_SS_PNS1_23onesweep_lookback_stateEbbT6_jjT7_P12ihipStream_tbENKUlT_T0_SG_SL_E_clISA_SA_SB_SB_EEDaSZ_S10_SG_SL_EUlSZ_E_NS1_11comp_targetILNS1_3genE3ELNS1_11target_archE908ELNS1_3gpuE7ELNS1_3repE0EEENS1_47radix_sort_onesweep_sort_config_static_selectorELNS0_4arch9wavefront6targetE0EEEvSG_.has_recursion, 0
	.set _ZN7rocprim17ROCPRIM_400000_NS6detail17trampoline_kernelINS0_14default_configENS1_35radix_sort_onesweep_config_selectorIfNS0_10empty_typeEEEZZNS1_29radix_sort_onesweep_iterationIS3_Lb0EPKfPfPS5_SB_mNS0_19identity_decomposerENS1_16block_id_wrapperIjLb0EEEEE10hipError_tT1_PNSt15iterator_traitsISG_E10value_typeET2_T3_PNSH_ISM_E10value_typeET4_T5_PSR_SS_PNS1_23onesweep_lookback_stateEbbT6_jjT7_P12ihipStream_tbENKUlT_T0_SG_SL_E_clISA_SA_SB_SB_EEDaSZ_S10_SG_SL_EUlSZ_E_NS1_11comp_targetILNS1_3genE3ELNS1_11target_archE908ELNS1_3gpuE7ELNS1_3repE0EEENS1_47radix_sort_onesweep_sort_config_static_selectorELNS0_4arch9wavefront6targetE0EEEvSG_.has_indirect_call, 0
	.section	.AMDGPU.csdata,"",@progbits
; Kernel info:
; codeLenInByte = 0
; TotalNumSgprs: 0
; NumVgprs: 0
; ScratchSize: 0
; MemoryBound: 0
; FloatMode: 240
; IeeeMode: 1
; LDSByteSize: 0 bytes/workgroup (compile time only)
; SGPRBlocks: 0
; VGPRBlocks: 0
; NumSGPRsForWavesPerEU: 1
; NumVGPRsForWavesPerEU: 1
; NamedBarCnt: 0
; Occupancy: 16
; WaveLimiterHint : 0
; COMPUTE_PGM_RSRC2:SCRATCH_EN: 0
; COMPUTE_PGM_RSRC2:USER_SGPR: 2
; COMPUTE_PGM_RSRC2:TRAP_HANDLER: 0
; COMPUTE_PGM_RSRC2:TGID_X_EN: 1
; COMPUTE_PGM_RSRC2:TGID_Y_EN: 0
; COMPUTE_PGM_RSRC2:TGID_Z_EN: 0
; COMPUTE_PGM_RSRC2:TIDIG_COMP_CNT: 0
	.section	.text._ZN7rocprim17ROCPRIM_400000_NS6detail17trampoline_kernelINS0_14default_configENS1_35radix_sort_onesweep_config_selectorIfNS0_10empty_typeEEEZZNS1_29radix_sort_onesweep_iterationIS3_Lb0EPKfPfPS5_SB_mNS0_19identity_decomposerENS1_16block_id_wrapperIjLb0EEEEE10hipError_tT1_PNSt15iterator_traitsISG_E10value_typeET2_T3_PNSH_ISM_E10value_typeET4_T5_PSR_SS_PNS1_23onesweep_lookback_stateEbbT6_jjT7_P12ihipStream_tbENKUlT_T0_SG_SL_E_clISA_SA_SB_SB_EEDaSZ_S10_SG_SL_EUlSZ_E_NS1_11comp_targetILNS1_3genE10ELNS1_11target_archE1201ELNS1_3gpuE5ELNS1_3repE0EEENS1_47radix_sort_onesweep_sort_config_static_selectorELNS0_4arch9wavefront6targetE0EEEvSG_,"axG",@progbits,_ZN7rocprim17ROCPRIM_400000_NS6detail17trampoline_kernelINS0_14default_configENS1_35radix_sort_onesweep_config_selectorIfNS0_10empty_typeEEEZZNS1_29radix_sort_onesweep_iterationIS3_Lb0EPKfPfPS5_SB_mNS0_19identity_decomposerENS1_16block_id_wrapperIjLb0EEEEE10hipError_tT1_PNSt15iterator_traitsISG_E10value_typeET2_T3_PNSH_ISM_E10value_typeET4_T5_PSR_SS_PNS1_23onesweep_lookback_stateEbbT6_jjT7_P12ihipStream_tbENKUlT_T0_SG_SL_E_clISA_SA_SB_SB_EEDaSZ_S10_SG_SL_EUlSZ_E_NS1_11comp_targetILNS1_3genE10ELNS1_11target_archE1201ELNS1_3gpuE5ELNS1_3repE0EEENS1_47radix_sort_onesweep_sort_config_static_selectorELNS0_4arch9wavefront6targetE0EEEvSG_,comdat
	.protected	_ZN7rocprim17ROCPRIM_400000_NS6detail17trampoline_kernelINS0_14default_configENS1_35radix_sort_onesweep_config_selectorIfNS0_10empty_typeEEEZZNS1_29radix_sort_onesweep_iterationIS3_Lb0EPKfPfPS5_SB_mNS0_19identity_decomposerENS1_16block_id_wrapperIjLb0EEEEE10hipError_tT1_PNSt15iterator_traitsISG_E10value_typeET2_T3_PNSH_ISM_E10value_typeET4_T5_PSR_SS_PNS1_23onesweep_lookback_stateEbbT6_jjT7_P12ihipStream_tbENKUlT_T0_SG_SL_E_clISA_SA_SB_SB_EEDaSZ_S10_SG_SL_EUlSZ_E_NS1_11comp_targetILNS1_3genE10ELNS1_11target_archE1201ELNS1_3gpuE5ELNS1_3repE0EEENS1_47radix_sort_onesweep_sort_config_static_selectorELNS0_4arch9wavefront6targetE0EEEvSG_ ; -- Begin function _ZN7rocprim17ROCPRIM_400000_NS6detail17trampoline_kernelINS0_14default_configENS1_35radix_sort_onesweep_config_selectorIfNS0_10empty_typeEEEZZNS1_29radix_sort_onesweep_iterationIS3_Lb0EPKfPfPS5_SB_mNS0_19identity_decomposerENS1_16block_id_wrapperIjLb0EEEEE10hipError_tT1_PNSt15iterator_traitsISG_E10value_typeET2_T3_PNSH_ISM_E10value_typeET4_T5_PSR_SS_PNS1_23onesweep_lookback_stateEbbT6_jjT7_P12ihipStream_tbENKUlT_T0_SG_SL_E_clISA_SA_SB_SB_EEDaSZ_S10_SG_SL_EUlSZ_E_NS1_11comp_targetILNS1_3genE10ELNS1_11target_archE1201ELNS1_3gpuE5ELNS1_3repE0EEENS1_47radix_sort_onesweep_sort_config_static_selectorELNS0_4arch9wavefront6targetE0EEEvSG_
	.globl	_ZN7rocprim17ROCPRIM_400000_NS6detail17trampoline_kernelINS0_14default_configENS1_35radix_sort_onesweep_config_selectorIfNS0_10empty_typeEEEZZNS1_29radix_sort_onesweep_iterationIS3_Lb0EPKfPfPS5_SB_mNS0_19identity_decomposerENS1_16block_id_wrapperIjLb0EEEEE10hipError_tT1_PNSt15iterator_traitsISG_E10value_typeET2_T3_PNSH_ISM_E10value_typeET4_T5_PSR_SS_PNS1_23onesweep_lookback_stateEbbT6_jjT7_P12ihipStream_tbENKUlT_T0_SG_SL_E_clISA_SA_SB_SB_EEDaSZ_S10_SG_SL_EUlSZ_E_NS1_11comp_targetILNS1_3genE10ELNS1_11target_archE1201ELNS1_3gpuE5ELNS1_3repE0EEENS1_47radix_sort_onesweep_sort_config_static_selectorELNS0_4arch9wavefront6targetE0EEEvSG_
	.p2align	8
	.type	_ZN7rocprim17ROCPRIM_400000_NS6detail17trampoline_kernelINS0_14default_configENS1_35radix_sort_onesweep_config_selectorIfNS0_10empty_typeEEEZZNS1_29radix_sort_onesweep_iterationIS3_Lb0EPKfPfPS5_SB_mNS0_19identity_decomposerENS1_16block_id_wrapperIjLb0EEEEE10hipError_tT1_PNSt15iterator_traitsISG_E10value_typeET2_T3_PNSH_ISM_E10value_typeET4_T5_PSR_SS_PNS1_23onesweep_lookback_stateEbbT6_jjT7_P12ihipStream_tbENKUlT_T0_SG_SL_E_clISA_SA_SB_SB_EEDaSZ_S10_SG_SL_EUlSZ_E_NS1_11comp_targetILNS1_3genE10ELNS1_11target_archE1201ELNS1_3gpuE5ELNS1_3repE0EEENS1_47radix_sort_onesweep_sort_config_static_selectorELNS0_4arch9wavefront6targetE0EEEvSG_,@function
_ZN7rocprim17ROCPRIM_400000_NS6detail17trampoline_kernelINS0_14default_configENS1_35radix_sort_onesweep_config_selectorIfNS0_10empty_typeEEEZZNS1_29radix_sort_onesweep_iterationIS3_Lb0EPKfPfPS5_SB_mNS0_19identity_decomposerENS1_16block_id_wrapperIjLb0EEEEE10hipError_tT1_PNSt15iterator_traitsISG_E10value_typeET2_T3_PNSH_ISM_E10value_typeET4_T5_PSR_SS_PNS1_23onesweep_lookback_stateEbbT6_jjT7_P12ihipStream_tbENKUlT_T0_SG_SL_E_clISA_SA_SB_SB_EEDaSZ_S10_SG_SL_EUlSZ_E_NS1_11comp_targetILNS1_3genE10ELNS1_11target_archE1201ELNS1_3gpuE5ELNS1_3repE0EEENS1_47radix_sort_onesweep_sort_config_static_selectorELNS0_4arch9wavefront6targetE0EEEvSG_: ; @_ZN7rocprim17ROCPRIM_400000_NS6detail17trampoline_kernelINS0_14default_configENS1_35radix_sort_onesweep_config_selectorIfNS0_10empty_typeEEEZZNS1_29radix_sort_onesweep_iterationIS3_Lb0EPKfPfPS5_SB_mNS0_19identity_decomposerENS1_16block_id_wrapperIjLb0EEEEE10hipError_tT1_PNSt15iterator_traitsISG_E10value_typeET2_T3_PNSH_ISM_E10value_typeET4_T5_PSR_SS_PNS1_23onesweep_lookback_stateEbbT6_jjT7_P12ihipStream_tbENKUlT_T0_SG_SL_E_clISA_SA_SB_SB_EEDaSZ_S10_SG_SL_EUlSZ_E_NS1_11comp_targetILNS1_3genE10ELNS1_11target_archE1201ELNS1_3gpuE5ELNS1_3repE0EEENS1_47radix_sort_onesweep_sort_config_static_selectorELNS0_4arch9wavefront6targetE0EEEvSG_
; %bb.0:
	.section	.rodata,"a",@progbits
	.p2align	6, 0x0
	.amdhsa_kernel _ZN7rocprim17ROCPRIM_400000_NS6detail17trampoline_kernelINS0_14default_configENS1_35radix_sort_onesweep_config_selectorIfNS0_10empty_typeEEEZZNS1_29radix_sort_onesweep_iterationIS3_Lb0EPKfPfPS5_SB_mNS0_19identity_decomposerENS1_16block_id_wrapperIjLb0EEEEE10hipError_tT1_PNSt15iterator_traitsISG_E10value_typeET2_T3_PNSH_ISM_E10value_typeET4_T5_PSR_SS_PNS1_23onesweep_lookback_stateEbbT6_jjT7_P12ihipStream_tbENKUlT_T0_SG_SL_E_clISA_SA_SB_SB_EEDaSZ_S10_SG_SL_EUlSZ_E_NS1_11comp_targetILNS1_3genE10ELNS1_11target_archE1201ELNS1_3gpuE5ELNS1_3repE0EEENS1_47radix_sort_onesweep_sort_config_static_selectorELNS0_4arch9wavefront6targetE0EEEvSG_
		.amdhsa_group_segment_fixed_size 0
		.amdhsa_private_segment_fixed_size 0
		.amdhsa_kernarg_size 88
		.amdhsa_user_sgpr_count 2
		.amdhsa_user_sgpr_dispatch_ptr 0
		.amdhsa_user_sgpr_queue_ptr 0
		.amdhsa_user_sgpr_kernarg_segment_ptr 1
		.amdhsa_user_sgpr_dispatch_id 0
		.amdhsa_user_sgpr_kernarg_preload_length 0
		.amdhsa_user_sgpr_kernarg_preload_offset 0
		.amdhsa_user_sgpr_private_segment_size 0
		.amdhsa_wavefront_size32 1
		.amdhsa_uses_dynamic_stack 0
		.amdhsa_enable_private_segment 0
		.amdhsa_system_sgpr_workgroup_id_x 1
		.amdhsa_system_sgpr_workgroup_id_y 0
		.amdhsa_system_sgpr_workgroup_id_z 0
		.amdhsa_system_sgpr_workgroup_info 0
		.amdhsa_system_vgpr_workitem_id 0
		.amdhsa_next_free_vgpr 1
		.amdhsa_next_free_sgpr 1
		.amdhsa_named_barrier_count 0
		.amdhsa_reserve_vcc 0
		.amdhsa_float_round_mode_32 0
		.amdhsa_float_round_mode_16_64 0
		.amdhsa_float_denorm_mode_32 3
		.amdhsa_float_denorm_mode_16_64 3
		.amdhsa_fp16_overflow 0
		.amdhsa_memory_ordered 1
		.amdhsa_forward_progress 1
		.amdhsa_inst_pref_size 0
		.amdhsa_round_robin_scheduling 0
		.amdhsa_exception_fp_ieee_invalid_op 0
		.amdhsa_exception_fp_denorm_src 0
		.amdhsa_exception_fp_ieee_div_zero 0
		.amdhsa_exception_fp_ieee_overflow 0
		.amdhsa_exception_fp_ieee_underflow 0
		.amdhsa_exception_fp_ieee_inexact 0
		.amdhsa_exception_int_div_zero 0
	.end_amdhsa_kernel
	.section	.text._ZN7rocprim17ROCPRIM_400000_NS6detail17trampoline_kernelINS0_14default_configENS1_35radix_sort_onesweep_config_selectorIfNS0_10empty_typeEEEZZNS1_29radix_sort_onesweep_iterationIS3_Lb0EPKfPfPS5_SB_mNS0_19identity_decomposerENS1_16block_id_wrapperIjLb0EEEEE10hipError_tT1_PNSt15iterator_traitsISG_E10value_typeET2_T3_PNSH_ISM_E10value_typeET4_T5_PSR_SS_PNS1_23onesweep_lookback_stateEbbT6_jjT7_P12ihipStream_tbENKUlT_T0_SG_SL_E_clISA_SA_SB_SB_EEDaSZ_S10_SG_SL_EUlSZ_E_NS1_11comp_targetILNS1_3genE10ELNS1_11target_archE1201ELNS1_3gpuE5ELNS1_3repE0EEENS1_47radix_sort_onesweep_sort_config_static_selectorELNS0_4arch9wavefront6targetE0EEEvSG_,"axG",@progbits,_ZN7rocprim17ROCPRIM_400000_NS6detail17trampoline_kernelINS0_14default_configENS1_35radix_sort_onesweep_config_selectorIfNS0_10empty_typeEEEZZNS1_29radix_sort_onesweep_iterationIS3_Lb0EPKfPfPS5_SB_mNS0_19identity_decomposerENS1_16block_id_wrapperIjLb0EEEEE10hipError_tT1_PNSt15iterator_traitsISG_E10value_typeET2_T3_PNSH_ISM_E10value_typeET4_T5_PSR_SS_PNS1_23onesweep_lookback_stateEbbT6_jjT7_P12ihipStream_tbENKUlT_T0_SG_SL_E_clISA_SA_SB_SB_EEDaSZ_S10_SG_SL_EUlSZ_E_NS1_11comp_targetILNS1_3genE10ELNS1_11target_archE1201ELNS1_3gpuE5ELNS1_3repE0EEENS1_47radix_sort_onesweep_sort_config_static_selectorELNS0_4arch9wavefront6targetE0EEEvSG_,comdat
.Lfunc_end1439:
	.size	_ZN7rocprim17ROCPRIM_400000_NS6detail17trampoline_kernelINS0_14default_configENS1_35radix_sort_onesweep_config_selectorIfNS0_10empty_typeEEEZZNS1_29radix_sort_onesweep_iterationIS3_Lb0EPKfPfPS5_SB_mNS0_19identity_decomposerENS1_16block_id_wrapperIjLb0EEEEE10hipError_tT1_PNSt15iterator_traitsISG_E10value_typeET2_T3_PNSH_ISM_E10value_typeET4_T5_PSR_SS_PNS1_23onesweep_lookback_stateEbbT6_jjT7_P12ihipStream_tbENKUlT_T0_SG_SL_E_clISA_SA_SB_SB_EEDaSZ_S10_SG_SL_EUlSZ_E_NS1_11comp_targetILNS1_3genE10ELNS1_11target_archE1201ELNS1_3gpuE5ELNS1_3repE0EEENS1_47radix_sort_onesweep_sort_config_static_selectorELNS0_4arch9wavefront6targetE0EEEvSG_, .Lfunc_end1439-_ZN7rocprim17ROCPRIM_400000_NS6detail17trampoline_kernelINS0_14default_configENS1_35radix_sort_onesweep_config_selectorIfNS0_10empty_typeEEEZZNS1_29radix_sort_onesweep_iterationIS3_Lb0EPKfPfPS5_SB_mNS0_19identity_decomposerENS1_16block_id_wrapperIjLb0EEEEE10hipError_tT1_PNSt15iterator_traitsISG_E10value_typeET2_T3_PNSH_ISM_E10value_typeET4_T5_PSR_SS_PNS1_23onesweep_lookback_stateEbbT6_jjT7_P12ihipStream_tbENKUlT_T0_SG_SL_E_clISA_SA_SB_SB_EEDaSZ_S10_SG_SL_EUlSZ_E_NS1_11comp_targetILNS1_3genE10ELNS1_11target_archE1201ELNS1_3gpuE5ELNS1_3repE0EEENS1_47radix_sort_onesweep_sort_config_static_selectorELNS0_4arch9wavefront6targetE0EEEvSG_
                                        ; -- End function
	.set _ZN7rocprim17ROCPRIM_400000_NS6detail17trampoline_kernelINS0_14default_configENS1_35radix_sort_onesweep_config_selectorIfNS0_10empty_typeEEEZZNS1_29radix_sort_onesweep_iterationIS3_Lb0EPKfPfPS5_SB_mNS0_19identity_decomposerENS1_16block_id_wrapperIjLb0EEEEE10hipError_tT1_PNSt15iterator_traitsISG_E10value_typeET2_T3_PNSH_ISM_E10value_typeET4_T5_PSR_SS_PNS1_23onesweep_lookback_stateEbbT6_jjT7_P12ihipStream_tbENKUlT_T0_SG_SL_E_clISA_SA_SB_SB_EEDaSZ_S10_SG_SL_EUlSZ_E_NS1_11comp_targetILNS1_3genE10ELNS1_11target_archE1201ELNS1_3gpuE5ELNS1_3repE0EEENS1_47radix_sort_onesweep_sort_config_static_selectorELNS0_4arch9wavefront6targetE0EEEvSG_.num_vgpr, 0
	.set _ZN7rocprim17ROCPRIM_400000_NS6detail17trampoline_kernelINS0_14default_configENS1_35radix_sort_onesweep_config_selectorIfNS0_10empty_typeEEEZZNS1_29radix_sort_onesweep_iterationIS3_Lb0EPKfPfPS5_SB_mNS0_19identity_decomposerENS1_16block_id_wrapperIjLb0EEEEE10hipError_tT1_PNSt15iterator_traitsISG_E10value_typeET2_T3_PNSH_ISM_E10value_typeET4_T5_PSR_SS_PNS1_23onesweep_lookback_stateEbbT6_jjT7_P12ihipStream_tbENKUlT_T0_SG_SL_E_clISA_SA_SB_SB_EEDaSZ_S10_SG_SL_EUlSZ_E_NS1_11comp_targetILNS1_3genE10ELNS1_11target_archE1201ELNS1_3gpuE5ELNS1_3repE0EEENS1_47radix_sort_onesweep_sort_config_static_selectorELNS0_4arch9wavefront6targetE0EEEvSG_.num_agpr, 0
	.set _ZN7rocprim17ROCPRIM_400000_NS6detail17trampoline_kernelINS0_14default_configENS1_35radix_sort_onesweep_config_selectorIfNS0_10empty_typeEEEZZNS1_29radix_sort_onesweep_iterationIS3_Lb0EPKfPfPS5_SB_mNS0_19identity_decomposerENS1_16block_id_wrapperIjLb0EEEEE10hipError_tT1_PNSt15iterator_traitsISG_E10value_typeET2_T3_PNSH_ISM_E10value_typeET4_T5_PSR_SS_PNS1_23onesweep_lookback_stateEbbT6_jjT7_P12ihipStream_tbENKUlT_T0_SG_SL_E_clISA_SA_SB_SB_EEDaSZ_S10_SG_SL_EUlSZ_E_NS1_11comp_targetILNS1_3genE10ELNS1_11target_archE1201ELNS1_3gpuE5ELNS1_3repE0EEENS1_47radix_sort_onesweep_sort_config_static_selectorELNS0_4arch9wavefront6targetE0EEEvSG_.numbered_sgpr, 0
	.set _ZN7rocprim17ROCPRIM_400000_NS6detail17trampoline_kernelINS0_14default_configENS1_35radix_sort_onesweep_config_selectorIfNS0_10empty_typeEEEZZNS1_29radix_sort_onesweep_iterationIS3_Lb0EPKfPfPS5_SB_mNS0_19identity_decomposerENS1_16block_id_wrapperIjLb0EEEEE10hipError_tT1_PNSt15iterator_traitsISG_E10value_typeET2_T3_PNSH_ISM_E10value_typeET4_T5_PSR_SS_PNS1_23onesweep_lookback_stateEbbT6_jjT7_P12ihipStream_tbENKUlT_T0_SG_SL_E_clISA_SA_SB_SB_EEDaSZ_S10_SG_SL_EUlSZ_E_NS1_11comp_targetILNS1_3genE10ELNS1_11target_archE1201ELNS1_3gpuE5ELNS1_3repE0EEENS1_47radix_sort_onesweep_sort_config_static_selectorELNS0_4arch9wavefront6targetE0EEEvSG_.num_named_barrier, 0
	.set _ZN7rocprim17ROCPRIM_400000_NS6detail17trampoline_kernelINS0_14default_configENS1_35radix_sort_onesweep_config_selectorIfNS0_10empty_typeEEEZZNS1_29radix_sort_onesweep_iterationIS3_Lb0EPKfPfPS5_SB_mNS0_19identity_decomposerENS1_16block_id_wrapperIjLb0EEEEE10hipError_tT1_PNSt15iterator_traitsISG_E10value_typeET2_T3_PNSH_ISM_E10value_typeET4_T5_PSR_SS_PNS1_23onesweep_lookback_stateEbbT6_jjT7_P12ihipStream_tbENKUlT_T0_SG_SL_E_clISA_SA_SB_SB_EEDaSZ_S10_SG_SL_EUlSZ_E_NS1_11comp_targetILNS1_3genE10ELNS1_11target_archE1201ELNS1_3gpuE5ELNS1_3repE0EEENS1_47radix_sort_onesweep_sort_config_static_selectorELNS0_4arch9wavefront6targetE0EEEvSG_.private_seg_size, 0
	.set _ZN7rocprim17ROCPRIM_400000_NS6detail17trampoline_kernelINS0_14default_configENS1_35radix_sort_onesweep_config_selectorIfNS0_10empty_typeEEEZZNS1_29radix_sort_onesweep_iterationIS3_Lb0EPKfPfPS5_SB_mNS0_19identity_decomposerENS1_16block_id_wrapperIjLb0EEEEE10hipError_tT1_PNSt15iterator_traitsISG_E10value_typeET2_T3_PNSH_ISM_E10value_typeET4_T5_PSR_SS_PNS1_23onesweep_lookback_stateEbbT6_jjT7_P12ihipStream_tbENKUlT_T0_SG_SL_E_clISA_SA_SB_SB_EEDaSZ_S10_SG_SL_EUlSZ_E_NS1_11comp_targetILNS1_3genE10ELNS1_11target_archE1201ELNS1_3gpuE5ELNS1_3repE0EEENS1_47radix_sort_onesweep_sort_config_static_selectorELNS0_4arch9wavefront6targetE0EEEvSG_.uses_vcc, 0
	.set _ZN7rocprim17ROCPRIM_400000_NS6detail17trampoline_kernelINS0_14default_configENS1_35radix_sort_onesweep_config_selectorIfNS0_10empty_typeEEEZZNS1_29radix_sort_onesweep_iterationIS3_Lb0EPKfPfPS5_SB_mNS0_19identity_decomposerENS1_16block_id_wrapperIjLb0EEEEE10hipError_tT1_PNSt15iterator_traitsISG_E10value_typeET2_T3_PNSH_ISM_E10value_typeET4_T5_PSR_SS_PNS1_23onesweep_lookback_stateEbbT6_jjT7_P12ihipStream_tbENKUlT_T0_SG_SL_E_clISA_SA_SB_SB_EEDaSZ_S10_SG_SL_EUlSZ_E_NS1_11comp_targetILNS1_3genE10ELNS1_11target_archE1201ELNS1_3gpuE5ELNS1_3repE0EEENS1_47radix_sort_onesweep_sort_config_static_selectorELNS0_4arch9wavefront6targetE0EEEvSG_.uses_flat_scratch, 0
	.set _ZN7rocprim17ROCPRIM_400000_NS6detail17trampoline_kernelINS0_14default_configENS1_35radix_sort_onesweep_config_selectorIfNS0_10empty_typeEEEZZNS1_29radix_sort_onesweep_iterationIS3_Lb0EPKfPfPS5_SB_mNS0_19identity_decomposerENS1_16block_id_wrapperIjLb0EEEEE10hipError_tT1_PNSt15iterator_traitsISG_E10value_typeET2_T3_PNSH_ISM_E10value_typeET4_T5_PSR_SS_PNS1_23onesweep_lookback_stateEbbT6_jjT7_P12ihipStream_tbENKUlT_T0_SG_SL_E_clISA_SA_SB_SB_EEDaSZ_S10_SG_SL_EUlSZ_E_NS1_11comp_targetILNS1_3genE10ELNS1_11target_archE1201ELNS1_3gpuE5ELNS1_3repE0EEENS1_47radix_sort_onesweep_sort_config_static_selectorELNS0_4arch9wavefront6targetE0EEEvSG_.has_dyn_sized_stack, 0
	.set _ZN7rocprim17ROCPRIM_400000_NS6detail17trampoline_kernelINS0_14default_configENS1_35radix_sort_onesweep_config_selectorIfNS0_10empty_typeEEEZZNS1_29radix_sort_onesweep_iterationIS3_Lb0EPKfPfPS5_SB_mNS0_19identity_decomposerENS1_16block_id_wrapperIjLb0EEEEE10hipError_tT1_PNSt15iterator_traitsISG_E10value_typeET2_T3_PNSH_ISM_E10value_typeET4_T5_PSR_SS_PNS1_23onesweep_lookback_stateEbbT6_jjT7_P12ihipStream_tbENKUlT_T0_SG_SL_E_clISA_SA_SB_SB_EEDaSZ_S10_SG_SL_EUlSZ_E_NS1_11comp_targetILNS1_3genE10ELNS1_11target_archE1201ELNS1_3gpuE5ELNS1_3repE0EEENS1_47radix_sort_onesweep_sort_config_static_selectorELNS0_4arch9wavefront6targetE0EEEvSG_.has_recursion, 0
	.set _ZN7rocprim17ROCPRIM_400000_NS6detail17trampoline_kernelINS0_14default_configENS1_35radix_sort_onesweep_config_selectorIfNS0_10empty_typeEEEZZNS1_29radix_sort_onesweep_iterationIS3_Lb0EPKfPfPS5_SB_mNS0_19identity_decomposerENS1_16block_id_wrapperIjLb0EEEEE10hipError_tT1_PNSt15iterator_traitsISG_E10value_typeET2_T3_PNSH_ISM_E10value_typeET4_T5_PSR_SS_PNS1_23onesweep_lookback_stateEbbT6_jjT7_P12ihipStream_tbENKUlT_T0_SG_SL_E_clISA_SA_SB_SB_EEDaSZ_S10_SG_SL_EUlSZ_E_NS1_11comp_targetILNS1_3genE10ELNS1_11target_archE1201ELNS1_3gpuE5ELNS1_3repE0EEENS1_47radix_sort_onesweep_sort_config_static_selectorELNS0_4arch9wavefront6targetE0EEEvSG_.has_indirect_call, 0
	.section	.AMDGPU.csdata,"",@progbits
; Kernel info:
; codeLenInByte = 0
; TotalNumSgprs: 0
; NumVgprs: 0
; ScratchSize: 0
; MemoryBound: 0
; FloatMode: 240
; IeeeMode: 1
; LDSByteSize: 0 bytes/workgroup (compile time only)
; SGPRBlocks: 0
; VGPRBlocks: 0
; NumSGPRsForWavesPerEU: 1
; NumVGPRsForWavesPerEU: 1
; NamedBarCnt: 0
; Occupancy: 16
; WaveLimiterHint : 0
; COMPUTE_PGM_RSRC2:SCRATCH_EN: 0
; COMPUTE_PGM_RSRC2:USER_SGPR: 2
; COMPUTE_PGM_RSRC2:TRAP_HANDLER: 0
; COMPUTE_PGM_RSRC2:TGID_X_EN: 1
; COMPUTE_PGM_RSRC2:TGID_Y_EN: 0
; COMPUTE_PGM_RSRC2:TGID_Z_EN: 0
; COMPUTE_PGM_RSRC2:TIDIG_COMP_CNT: 0
	.section	.text._ZN7rocprim17ROCPRIM_400000_NS6detail17trampoline_kernelINS0_14default_configENS1_35radix_sort_onesweep_config_selectorIfNS0_10empty_typeEEEZZNS1_29radix_sort_onesweep_iterationIS3_Lb0EPKfPfPS5_SB_mNS0_19identity_decomposerENS1_16block_id_wrapperIjLb0EEEEE10hipError_tT1_PNSt15iterator_traitsISG_E10value_typeET2_T3_PNSH_ISM_E10value_typeET4_T5_PSR_SS_PNS1_23onesweep_lookback_stateEbbT6_jjT7_P12ihipStream_tbENKUlT_T0_SG_SL_E_clISA_SA_SB_SB_EEDaSZ_S10_SG_SL_EUlSZ_E_NS1_11comp_targetILNS1_3genE9ELNS1_11target_archE1100ELNS1_3gpuE3ELNS1_3repE0EEENS1_47radix_sort_onesweep_sort_config_static_selectorELNS0_4arch9wavefront6targetE0EEEvSG_,"axG",@progbits,_ZN7rocprim17ROCPRIM_400000_NS6detail17trampoline_kernelINS0_14default_configENS1_35radix_sort_onesweep_config_selectorIfNS0_10empty_typeEEEZZNS1_29radix_sort_onesweep_iterationIS3_Lb0EPKfPfPS5_SB_mNS0_19identity_decomposerENS1_16block_id_wrapperIjLb0EEEEE10hipError_tT1_PNSt15iterator_traitsISG_E10value_typeET2_T3_PNSH_ISM_E10value_typeET4_T5_PSR_SS_PNS1_23onesweep_lookback_stateEbbT6_jjT7_P12ihipStream_tbENKUlT_T0_SG_SL_E_clISA_SA_SB_SB_EEDaSZ_S10_SG_SL_EUlSZ_E_NS1_11comp_targetILNS1_3genE9ELNS1_11target_archE1100ELNS1_3gpuE3ELNS1_3repE0EEENS1_47radix_sort_onesweep_sort_config_static_selectorELNS0_4arch9wavefront6targetE0EEEvSG_,comdat
	.protected	_ZN7rocprim17ROCPRIM_400000_NS6detail17trampoline_kernelINS0_14default_configENS1_35radix_sort_onesweep_config_selectorIfNS0_10empty_typeEEEZZNS1_29radix_sort_onesweep_iterationIS3_Lb0EPKfPfPS5_SB_mNS0_19identity_decomposerENS1_16block_id_wrapperIjLb0EEEEE10hipError_tT1_PNSt15iterator_traitsISG_E10value_typeET2_T3_PNSH_ISM_E10value_typeET4_T5_PSR_SS_PNS1_23onesweep_lookback_stateEbbT6_jjT7_P12ihipStream_tbENKUlT_T0_SG_SL_E_clISA_SA_SB_SB_EEDaSZ_S10_SG_SL_EUlSZ_E_NS1_11comp_targetILNS1_3genE9ELNS1_11target_archE1100ELNS1_3gpuE3ELNS1_3repE0EEENS1_47radix_sort_onesweep_sort_config_static_selectorELNS0_4arch9wavefront6targetE0EEEvSG_ ; -- Begin function _ZN7rocprim17ROCPRIM_400000_NS6detail17trampoline_kernelINS0_14default_configENS1_35radix_sort_onesweep_config_selectorIfNS0_10empty_typeEEEZZNS1_29radix_sort_onesweep_iterationIS3_Lb0EPKfPfPS5_SB_mNS0_19identity_decomposerENS1_16block_id_wrapperIjLb0EEEEE10hipError_tT1_PNSt15iterator_traitsISG_E10value_typeET2_T3_PNSH_ISM_E10value_typeET4_T5_PSR_SS_PNS1_23onesweep_lookback_stateEbbT6_jjT7_P12ihipStream_tbENKUlT_T0_SG_SL_E_clISA_SA_SB_SB_EEDaSZ_S10_SG_SL_EUlSZ_E_NS1_11comp_targetILNS1_3genE9ELNS1_11target_archE1100ELNS1_3gpuE3ELNS1_3repE0EEENS1_47radix_sort_onesweep_sort_config_static_selectorELNS0_4arch9wavefront6targetE0EEEvSG_
	.globl	_ZN7rocprim17ROCPRIM_400000_NS6detail17trampoline_kernelINS0_14default_configENS1_35radix_sort_onesweep_config_selectorIfNS0_10empty_typeEEEZZNS1_29radix_sort_onesweep_iterationIS3_Lb0EPKfPfPS5_SB_mNS0_19identity_decomposerENS1_16block_id_wrapperIjLb0EEEEE10hipError_tT1_PNSt15iterator_traitsISG_E10value_typeET2_T3_PNSH_ISM_E10value_typeET4_T5_PSR_SS_PNS1_23onesweep_lookback_stateEbbT6_jjT7_P12ihipStream_tbENKUlT_T0_SG_SL_E_clISA_SA_SB_SB_EEDaSZ_S10_SG_SL_EUlSZ_E_NS1_11comp_targetILNS1_3genE9ELNS1_11target_archE1100ELNS1_3gpuE3ELNS1_3repE0EEENS1_47radix_sort_onesweep_sort_config_static_selectorELNS0_4arch9wavefront6targetE0EEEvSG_
	.p2align	8
	.type	_ZN7rocprim17ROCPRIM_400000_NS6detail17trampoline_kernelINS0_14default_configENS1_35radix_sort_onesweep_config_selectorIfNS0_10empty_typeEEEZZNS1_29radix_sort_onesweep_iterationIS3_Lb0EPKfPfPS5_SB_mNS0_19identity_decomposerENS1_16block_id_wrapperIjLb0EEEEE10hipError_tT1_PNSt15iterator_traitsISG_E10value_typeET2_T3_PNSH_ISM_E10value_typeET4_T5_PSR_SS_PNS1_23onesweep_lookback_stateEbbT6_jjT7_P12ihipStream_tbENKUlT_T0_SG_SL_E_clISA_SA_SB_SB_EEDaSZ_S10_SG_SL_EUlSZ_E_NS1_11comp_targetILNS1_3genE9ELNS1_11target_archE1100ELNS1_3gpuE3ELNS1_3repE0EEENS1_47radix_sort_onesweep_sort_config_static_selectorELNS0_4arch9wavefront6targetE0EEEvSG_,@function
_ZN7rocprim17ROCPRIM_400000_NS6detail17trampoline_kernelINS0_14default_configENS1_35radix_sort_onesweep_config_selectorIfNS0_10empty_typeEEEZZNS1_29radix_sort_onesweep_iterationIS3_Lb0EPKfPfPS5_SB_mNS0_19identity_decomposerENS1_16block_id_wrapperIjLb0EEEEE10hipError_tT1_PNSt15iterator_traitsISG_E10value_typeET2_T3_PNSH_ISM_E10value_typeET4_T5_PSR_SS_PNS1_23onesweep_lookback_stateEbbT6_jjT7_P12ihipStream_tbENKUlT_T0_SG_SL_E_clISA_SA_SB_SB_EEDaSZ_S10_SG_SL_EUlSZ_E_NS1_11comp_targetILNS1_3genE9ELNS1_11target_archE1100ELNS1_3gpuE3ELNS1_3repE0EEENS1_47radix_sort_onesweep_sort_config_static_selectorELNS0_4arch9wavefront6targetE0EEEvSG_: ; @_ZN7rocprim17ROCPRIM_400000_NS6detail17trampoline_kernelINS0_14default_configENS1_35radix_sort_onesweep_config_selectorIfNS0_10empty_typeEEEZZNS1_29radix_sort_onesweep_iterationIS3_Lb0EPKfPfPS5_SB_mNS0_19identity_decomposerENS1_16block_id_wrapperIjLb0EEEEE10hipError_tT1_PNSt15iterator_traitsISG_E10value_typeET2_T3_PNSH_ISM_E10value_typeET4_T5_PSR_SS_PNS1_23onesweep_lookback_stateEbbT6_jjT7_P12ihipStream_tbENKUlT_T0_SG_SL_E_clISA_SA_SB_SB_EEDaSZ_S10_SG_SL_EUlSZ_E_NS1_11comp_targetILNS1_3genE9ELNS1_11target_archE1100ELNS1_3gpuE3ELNS1_3repE0EEENS1_47radix_sort_onesweep_sort_config_static_selectorELNS0_4arch9wavefront6targetE0EEEvSG_
; %bb.0:
	.section	.rodata,"a",@progbits
	.p2align	6, 0x0
	.amdhsa_kernel _ZN7rocprim17ROCPRIM_400000_NS6detail17trampoline_kernelINS0_14default_configENS1_35radix_sort_onesweep_config_selectorIfNS0_10empty_typeEEEZZNS1_29radix_sort_onesweep_iterationIS3_Lb0EPKfPfPS5_SB_mNS0_19identity_decomposerENS1_16block_id_wrapperIjLb0EEEEE10hipError_tT1_PNSt15iterator_traitsISG_E10value_typeET2_T3_PNSH_ISM_E10value_typeET4_T5_PSR_SS_PNS1_23onesweep_lookback_stateEbbT6_jjT7_P12ihipStream_tbENKUlT_T0_SG_SL_E_clISA_SA_SB_SB_EEDaSZ_S10_SG_SL_EUlSZ_E_NS1_11comp_targetILNS1_3genE9ELNS1_11target_archE1100ELNS1_3gpuE3ELNS1_3repE0EEENS1_47radix_sort_onesweep_sort_config_static_selectorELNS0_4arch9wavefront6targetE0EEEvSG_
		.amdhsa_group_segment_fixed_size 0
		.amdhsa_private_segment_fixed_size 0
		.amdhsa_kernarg_size 88
		.amdhsa_user_sgpr_count 2
		.amdhsa_user_sgpr_dispatch_ptr 0
		.amdhsa_user_sgpr_queue_ptr 0
		.amdhsa_user_sgpr_kernarg_segment_ptr 1
		.amdhsa_user_sgpr_dispatch_id 0
		.amdhsa_user_sgpr_kernarg_preload_length 0
		.amdhsa_user_sgpr_kernarg_preload_offset 0
		.amdhsa_user_sgpr_private_segment_size 0
		.amdhsa_wavefront_size32 1
		.amdhsa_uses_dynamic_stack 0
		.amdhsa_enable_private_segment 0
		.amdhsa_system_sgpr_workgroup_id_x 1
		.amdhsa_system_sgpr_workgroup_id_y 0
		.amdhsa_system_sgpr_workgroup_id_z 0
		.amdhsa_system_sgpr_workgroup_info 0
		.amdhsa_system_vgpr_workitem_id 0
		.amdhsa_next_free_vgpr 1
		.amdhsa_next_free_sgpr 1
		.amdhsa_named_barrier_count 0
		.amdhsa_reserve_vcc 0
		.amdhsa_float_round_mode_32 0
		.amdhsa_float_round_mode_16_64 0
		.amdhsa_float_denorm_mode_32 3
		.amdhsa_float_denorm_mode_16_64 3
		.amdhsa_fp16_overflow 0
		.amdhsa_memory_ordered 1
		.amdhsa_forward_progress 1
		.amdhsa_inst_pref_size 0
		.amdhsa_round_robin_scheduling 0
		.amdhsa_exception_fp_ieee_invalid_op 0
		.amdhsa_exception_fp_denorm_src 0
		.amdhsa_exception_fp_ieee_div_zero 0
		.amdhsa_exception_fp_ieee_overflow 0
		.amdhsa_exception_fp_ieee_underflow 0
		.amdhsa_exception_fp_ieee_inexact 0
		.amdhsa_exception_int_div_zero 0
	.end_amdhsa_kernel
	.section	.text._ZN7rocprim17ROCPRIM_400000_NS6detail17trampoline_kernelINS0_14default_configENS1_35radix_sort_onesweep_config_selectorIfNS0_10empty_typeEEEZZNS1_29radix_sort_onesweep_iterationIS3_Lb0EPKfPfPS5_SB_mNS0_19identity_decomposerENS1_16block_id_wrapperIjLb0EEEEE10hipError_tT1_PNSt15iterator_traitsISG_E10value_typeET2_T3_PNSH_ISM_E10value_typeET4_T5_PSR_SS_PNS1_23onesweep_lookback_stateEbbT6_jjT7_P12ihipStream_tbENKUlT_T0_SG_SL_E_clISA_SA_SB_SB_EEDaSZ_S10_SG_SL_EUlSZ_E_NS1_11comp_targetILNS1_3genE9ELNS1_11target_archE1100ELNS1_3gpuE3ELNS1_3repE0EEENS1_47radix_sort_onesweep_sort_config_static_selectorELNS0_4arch9wavefront6targetE0EEEvSG_,"axG",@progbits,_ZN7rocprim17ROCPRIM_400000_NS6detail17trampoline_kernelINS0_14default_configENS1_35radix_sort_onesweep_config_selectorIfNS0_10empty_typeEEEZZNS1_29radix_sort_onesweep_iterationIS3_Lb0EPKfPfPS5_SB_mNS0_19identity_decomposerENS1_16block_id_wrapperIjLb0EEEEE10hipError_tT1_PNSt15iterator_traitsISG_E10value_typeET2_T3_PNSH_ISM_E10value_typeET4_T5_PSR_SS_PNS1_23onesweep_lookback_stateEbbT6_jjT7_P12ihipStream_tbENKUlT_T0_SG_SL_E_clISA_SA_SB_SB_EEDaSZ_S10_SG_SL_EUlSZ_E_NS1_11comp_targetILNS1_3genE9ELNS1_11target_archE1100ELNS1_3gpuE3ELNS1_3repE0EEENS1_47radix_sort_onesweep_sort_config_static_selectorELNS0_4arch9wavefront6targetE0EEEvSG_,comdat
.Lfunc_end1440:
	.size	_ZN7rocprim17ROCPRIM_400000_NS6detail17trampoline_kernelINS0_14default_configENS1_35radix_sort_onesweep_config_selectorIfNS0_10empty_typeEEEZZNS1_29radix_sort_onesweep_iterationIS3_Lb0EPKfPfPS5_SB_mNS0_19identity_decomposerENS1_16block_id_wrapperIjLb0EEEEE10hipError_tT1_PNSt15iterator_traitsISG_E10value_typeET2_T3_PNSH_ISM_E10value_typeET4_T5_PSR_SS_PNS1_23onesweep_lookback_stateEbbT6_jjT7_P12ihipStream_tbENKUlT_T0_SG_SL_E_clISA_SA_SB_SB_EEDaSZ_S10_SG_SL_EUlSZ_E_NS1_11comp_targetILNS1_3genE9ELNS1_11target_archE1100ELNS1_3gpuE3ELNS1_3repE0EEENS1_47radix_sort_onesweep_sort_config_static_selectorELNS0_4arch9wavefront6targetE0EEEvSG_, .Lfunc_end1440-_ZN7rocprim17ROCPRIM_400000_NS6detail17trampoline_kernelINS0_14default_configENS1_35radix_sort_onesweep_config_selectorIfNS0_10empty_typeEEEZZNS1_29radix_sort_onesweep_iterationIS3_Lb0EPKfPfPS5_SB_mNS0_19identity_decomposerENS1_16block_id_wrapperIjLb0EEEEE10hipError_tT1_PNSt15iterator_traitsISG_E10value_typeET2_T3_PNSH_ISM_E10value_typeET4_T5_PSR_SS_PNS1_23onesweep_lookback_stateEbbT6_jjT7_P12ihipStream_tbENKUlT_T0_SG_SL_E_clISA_SA_SB_SB_EEDaSZ_S10_SG_SL_EUlSZ_E_NS1_11comp_targetILNS1_3genE9ELNS1_11target_archE1100ELNS1_3gpuE3ELNS1_3repE0EEENS1_47radix_sort_onesweep_sort_config_static_selectorELNS0_4arch9wavefront6targetE0EEEvSG_
                                        ; -- End function
	.set _ZN7rocprim17ROCPRIM_400000_NS6detail17trampoline_kernelINS0_14default_configENS1_35radix_sort_onesweep_config_selectorIfNS0_10empty_typeEEEZZNS1_29radix_sort_onesweep_iterationIS3_Lb0EPKfPfPS5_SB_mNS0_19identity_decomposerENS1_16block_id_wrapperIjLb0EEEEE10hipError_tT1_PNSt15iterator_traitsISG_E10value_typeET2_T3_PNSH_ISM_E10value_typeET4_T5_PSR_SS_PNS1_23onesweep_lookback_stateEbbT6_jjT7_P12ihipStream_tbENKUlT_T0_SG_SL_E_clISA_SA_SB_SB_EEDaSZ_S10_SG_SL_EUlSZ_E_NS1_11comp_targetILNS1_3genE9ELNS1_11target_archE1100ELNS1_3gpuE3ELNS1_3repE0EEENS1_47radix_sort_onesweep_sort_config_static_selectorELNS0_4arch9wavefront6targetE0EEEvSG_.num_vgpr, 0
	.set _ZN7rocprim17ROCPRIM_400000_NS6detail17trampoline_kernelINS0_14default_configENS1_35radix_sort_onesweep_config_selectorIfNS0_10empty_typeEEEZZNS1_29radix_sort_onesweep_iterationIS3_Lb0EPKfPfPS5_SB_mNS0_19identity_decomposerENS1_16block_id_wrapperIjLb0EEEEE10hipError_tT1_PNSt15iterator_traitsISG_E10value_typeET2_T3_PNSH_ISM_E10value_typeET4_T5_PSR_SS_PNS1_23onesweep_lookback_stateEbbT6_jjT7_P12ihipStream_tbENKUlT_T0_SG_SL_E_clISA_SA_SB_SB_EEDaSZ_S10_SG_SL_EUlSZ_E_NS1_11comp_targetILNS1_3genE9ELNS1_11target_archE1100ELNS1_3gpuE3ELNS1_3repE0EEENS1_47radix_sort_onesweep_sort_config_static_selectorELNS0_4arch9wavefront6targetE0EEEvSG_.num_agpr, 0
	.set _ZN7rocprim17ROCPRIM_400000_NS6detail17trampoline_kernelINS0_14default_configENS1_35radix_sort_onesweep_config_selectorIfNS0_10empty_typeEEEZZNS1_29radix_sort_onesweep_iterationIS3_Lb0EPKfPfPS5_SB_mNS0_19identity_decomposerENS1_16block_id_wrapperIjLb0EEEEE10hipError_tT1_PNSt15iterator_traitsISG_E10value_typeET2_T3_PNSH_ISM_E10value_typeET4_T5_PSR_SS_PNS1_23onesweep_lookback_stateEbbT6_jjT7_P12ihipStream_tbENKUlT_T0_SG_SL_E_clISA_SA_SB_SB_EEDaSZ_S10_SG_SL_EUlSZ_E_NS1_11comp_targetILNS1_3genE9ELNS1_11target_archE1100ELNS1_3gpuE3ELNS1_3repE0EEENS1_47radix_sort_onesweep_sort_config_static_selectorELNS0_4arch9wavefront6targetE0EEEvSG_.numbered_sgpr, 0
	.set _ZN7rocprim17ROCPRIM_400000_NS6detail17trampoline_kernelINS0_14default_configENS1_35radix_sort_onesweep_config_selectorIfNS0_10empty_typeEEEZZNS1_29radix_sort_onesweep_iterationIS3_Lb0EPKfPfPS5_SB_mNS0_19identity_decomposerENS1_16block_id_wrapperIjLb0EEEEE10hipError_tT1_PNSt15iterator_traitsISG_E10value_typeET2_T3_PNSH_ISM_E10value_typeET4_T5_PSR_SS_PNS1_23onesweep_lookback_stateEbbT6_jjT7_P12ihipStream_tbENKUlT_T0_SG_SL_E_clISA_SA_SB_SB_EEDaSZ_S10_SG_SL_EUlSZ_E_NS1_11comp_targetILNS1_3genE9ELNS1_11target_archE1100ELNS1_3gpuE3ELNS1_3repE0EEENS1_47radix_sort_onesweep_sort_config_static_selectorELNS0_4arch9wavefront6targetE0EEEvSG_.num_named_barrier, 0
	.set _ZN7rocprim17ROCPRIM_400000_NS6detail17trampoline_kernelINS0_14default_configENS1_35radix_sort_onesweep_config_selectorIfNS0_10empty_typeEEEZZNS1_29radix_sort_onesweep_iterationIS3_Lb0EPKfPfPS5_SB_mNS0_19identity_decomposerENS1_16block_id_wrapperIjLb0EEEEE10hipError_tT1_PNSt15iterator_traitsISG_E10value_typeET2_T3_PNSH_ISM_E10value_typeET4_T5_PSR_SS_PNS1_23onesweep_lookback_stateEbbT6_jjT7_P12ihipStream_tbENKUlT_T0_SG_SL_E_clISA_SA_SB_SB_EEDaSZ_S10_SG_SL_EUlSZ_E_NS1_11comp_targetILNS1_3genE9ELNS1_11target_archE1100ELNS1_3gpuE3ELNS1_3repE0EEENS1_47radix_sort_onesweep_sort_config_static_selectorELNS0_4arch9wavefront6targetE0EEEvSG_.private_seg_size, 0
	.set _ZN7rocprim17ROCPRIM_400000_NS6detail17trampoline_kernelINS0_14default_configENS1_35radix_sort_onesweep_config_selectorIfNS0_10empty_typeEEEZZNS1_29radix_sort_onesweep_iterationIS3_Lb0EPKfPfPS5_SB_mNS0_19identity_decomposerENS1_16block_id_wrapperIjLb0EEEEE10hipError_tT1_PNSt15iterator_traitsISG_E10value_typeET2_T3_PNSH_ISM_E10value_typeET4_T5_PSR_SS_PNS1_23onesweep_lookback_stateEbbT6_jjT7_P12ihipStream_tbENKUlT_T0_SG_SL_E_clISA_SA_SB_SB_EEDaSZ_S10_SG_SL_EUlSZ_E_NS1_11comp_targetILNS1_3genE9ELNS1_11target_archE1100ELNS1_3gpuE3ELNS1_3repE0EEENS1_47radix_sort_onesweep_sort_config_static_selectorELNS0_4arch9wavefront6targetE0EEEvSG_.uses_vcc, 0
	.set _ZN7rocprim17ROCPRIM_400000_NS6detail17trampoline_kernelINS0_14default_configENS1_35radix_sort_onesweep_config_selectorIfNS0_10empty_typeEEEZZNS1_29radix_sort_onesweep_iterationIS3_Lb0EPKfPfPS5_SB_mNS0_19identity_decomposerENS1_16block_id_wrapperIjLb0EEEEE10hipError_tT1_PNSt15iterator_traitsISG_E10value_typeET2_T3_PNSH_ISM_E10value_typeET4_T5_PSR_SS_PNS1_23onesweep_lookback_stateEbbT6_jjT7_P12ihipStream_tbENKUlT_T0_SG_SL_E_clISA_SA_SB_SB_EEDaSZ_S10_SG_SL_EUlSZ_E_NS1_11comp_targetILNS1_3genE9ELNS1_11target_archE1100ELNS1_3gpuE3ELNS1_3repE0EEENS1_47radix_sort_onesweep_sort_config_static_selectorELNS0_4arch9wavefront6targetE0EEEvSG_.uses_flat_scratch, 0
	.set _ZN7rocprim17ROCPRIM_400000_NS6detail17trampoline_kernelINS0_14default_configENS1_35radix_sort_onesweep_config_selectorIfNS0_10empty_typeEEEZZNS1_29radix_sort_onesweep_iterationIS3_Lb0EPKfPfPS5_SB_mNS0_19identity_decomposerENS1_16block_id_wrapperIjLb0EEEEE10hipError_tT1_PNSt15iterator_traitsISG_E10value_typeET2_T3_PNSH_ISM_E10value_typeET4_T5_PSR_SS_PNS1_23onesweep_lookback_stateEbbT6_jjT7_P12ihipStream_tbENKUlT_T0_SG_SL_E_clISA_SA_SB_SB_EEDaSZ_S10_SG_SL_EUlSZ_E_NS1_11comp_targetILNS1_3genE9ELNS1_11target_archE1100ELNS1_3gpuE3ELNS1_3repE0EEENS1_47radix_sort_onesweep_sort_config_static_selectorELNS0_4arch9wavefront6targetE0EEEvSG_.has_dyn_sized_stack, 0
	.set _ZN7rocprim17ROCPRIM_400000_NS6detail17trampoline_kernelINS0_14default_configENS1_35radix_sort_onesweep_config_selectorIfNS0_10empty_typeEEEZZNS1_29radix_sort_onesweep_iterationIS3_Lb0EPKfPfPS5_SB_mNS0_19identity_decomposerENS1_16block_id_wrapperIjLb0EEEEE10hipError_tT1_PNSt15iterator_traitsISG_E10value_typeET2_T3_PNSH_ISM_E10value_typeET4_T5_PSR_SS_PNS1_23onesweep_lookback_stateEbbT6_jjT7_P12ihipStream_tbENKUlT_T0_SG_SL_E_clISA_SA_SB_SB_EEDaSZ_S10_SG_SL_EUlSZ_E_NS1_11comp_targetILNS1_3genE9ELNS1_11target_archE1100ELNS1_3gpuE3ELNS1_3repE0EEENS1_47radix_sort_onesweep_sort_config_static_selectorELNS0_4arch9wavefront6targetE0EEEvSG_.has_recursion, 0
	.set _ZN7rocprim17ROCPRIM_400000_NS6detail17trampoline_kernelINS0_14default_configENS1_35radix_sort_onesweep_config_selectorIfNS0_10empty_typeEEEZZNS1_29radix_sort_onesweep_iterationIS3_Lb0EPKfPfPS5_SB_mNS0_19identity_decomposerENS1_16block_id_wrapperIjLb0EEEEE10hipError_tT1_PNSt15iterator_traitsISG_E10value_typeET2_T3_PNSH_ISM_E10value_typeET4_T5_PSR_SS_PNS1_23onesweep_lookback_stateEbbT6_jjT7_P12ihipStream_tbENKUlT_T0_SG_SL_E_clISA_SA_SB_SB_EEDaSZ_S10_SG_SL_EUlSZ_E_NS1_11comp_targetILNS1_3genE9ELNS1_11target_archE1100ELNS1_3gpuE3ELNS1_3repE0EEENS1_47radix_sort_onesweep_sort_config_static_selectorELNS0_4arch9wavefront6targetE0EEEvSG_.has_indirect_call, 0
	.section	.AMDGPU.csdata,"",@progbits
; Kernel info:
; codeLenInByte = 0
; TotalNumSgprs: 0
; NumVgprs: 0
; ScratchSize: 0
; MemoryBound: 0
; FloatMode: 240
; IeeeMode: 1
; LDSByteSize: 0 bytes/workgroup (compile time only)
; SGPRBlocks: 0
; VGPRBlocks: 0
; NumSGPRsForWavesPerEU: 1
; NumVGPRsForWavesPerEU: 1
; NamedBarCnt: 0
; Occupancy: 16
; WaveLimiterHint : 0
; COMPUTE_PGM_RSRC2:SCRATCH_EN: 0
; COMPUTE_PGM_RSRC2:USER_SGPR: 2
; COMPUTE_PGM_RSRC2:TRAP_HANDLER: 0
; COMPUTE_PGM_RSRC2:TGID_X_EN: 1
; COMPUTE_PGM_RSRC2:TGID_Y_EN: 0
; COMPUTE_PGM_RSRC2:TGID_Z_EN: 0
; COMPUTE_PGM_RSRC2:TIDIG_COMP_CNT: 0
	.section	.text._ZN7rocprim17ROCPRIM_400000_NS6detail17trampoline_kernelINS0_14default_configENS1_35radix_sort_onesweep_config_selectorIfNS0_10empty_typeEEEZZNS1_29radix_sort_onesweep_iterationIS3_Lb0EPKfPfPS5_SB_mNS0_19identity_decomposerENS1_16block_id_wrapperIjLb0EEEEE10hipError_tT1_PNSt15iterator_traitsISG_E10value_typeET2_T3_PNSH_ISM_E10value_typeET4_T5_PSR_SS_PNS1_23onesweep_lookback_stateEbbT6_jjT7_P12ihipStream_tbENKUlT_T0_SG_SL_E_clISA_SA_SB_SB_EEDaSZ_S10_SG_SL_EUlSZ_E_NS1_11comp_targetILNS1_3genE8ELNS1_11target_archE1030ELNS1_3gpuE2ELNS1_3repE0EEENS1_47radix_sort_onesweep_sort_config_static_selectorELNS0_4arch9wavefront6targetE0EEEvSG_,"axG",@progbits,_ZN7rocprim17ROCPRIM_400000_NS6detail17trampoline_kernelINS0_14default_configENS1_35radix_sort_onesweep_config_selectorIfNS0_10empty_typeEEEZZNS1_29radix_sort_onesweep_iterationIS3_Lb0EPKfPfPS5_SB_mNS0_19identity_decomposerENS1_16block_id_wrapperIjLb0EEEEE10hipError_tT1_PNSt15iterator_traitsISG_E10value_typeET2_T3_PNSH_ISM_E10value_typeET4_T5_PSR_SS_PNS1_23onesweep_lookback_stateEbbT6_jjT7_P12ihipStream_tbENKUlT_T0_SG_SL_E_clISA_SA_SB_SB_EEDaSZ_S10_SG_SL_EUlSZ_E_NS1_11comp_targetILNS1_3genE8ELNS1_11target_archE1030ELNS1_3gpuE2ELNS1_3repE0EEENS1_47radix_sort_onesweep_sort_config_static_selectorELNS0_4arch9wavefront6targetE0EEEvSG_,comdat
	.protected	_ZN7rocprim17ROCPRIM_400000_NS6detail17trampoline_kernelINS0_14default_configENS1_35radix_sort_onesweep_config_selectorIfNS0_10empty_typeEEEZZNS1_29radix_sort_onesweep_iterationIS3_Lb0EPKfPfPS5_SB_mNS0_19identity_decomposerENS1_16block_id_wrapperIjLb0EEEEE10hipError_tT1_PNSt15iterator_traitsISG_E10value_typeET2_T3_PNSH_ISM_E10value_typeET4_T5_PSR_SS_PNS1_23onesweep_lookback_stateEbbT6_jjT7_P12ihipStream_tbENKUlT_T0_SG_SL_E_clISA_SA_SB_SB_EEDaSZ_S10_SG_SL_EUlSZ_E_NS1_11comp_targetILNS1_3genE8ELNS1_11target_archE1030ELNS1_3gpuE2ELNS1_3repE0EEENS1_47radix_sort_onesweep_sort_config_static_selectorELNS0_4arch9wavefront6targetE0EEEvSG_ ; -- Begin function _ZN7rocprim17ROCPRIM_400000_NS6detail17trampoline_kernelINS0_14default_configENS1_35radix_sort_onesweep_config_selectorIfNS0_10empty_typeEEEZZNS1_29radix_sort_onesweep_iterationIS3_Lb0EPKfPfPS5_SB_mNS0_19identity_decomposerENS1_16block_id_wrapperIjLb0EEEEE10hipError_tT1_PNSt15iterator_traitsISG_E10value_typeET2_T3_PNSH_ISM_E10value_typeET4_T5_PSR_SS_PNS1_23onesweep_lookback_stateEbbT6_jjT7_P12ihipStream_tbENKUlT_T0_SG_SL_E_clISA_SA_SB_SB_EEDaSZ_S10_SG_SL_EUlSZ_E_NS1_11comp_targetILNS1_3genE8ELNS1_11target_archE1030ELNS1_3gpuE2ELNS1_3repE0EEENS1_47radix_sort_onesweep_sort_config_static_selectorELNS0_4arch9wavefront6targetE0EEEvSG_
	.globl	_ZN7rocprim17ROCPRIM_400000_NS6detail17trampoline_kernelINS0_14default_configENS1_35radix_sort_onesweep_config_selectorIfNS0_10empty_typeEEEZZNS1_29radix_sort_onesweep_iterationIS3_Lb0EPKfPfPS5_SB_mNS0_19identity_decomposerENS1_16block_id_wrapperIjLb0EEEEE10hipError_tT1_PNSt15iterator_traitsISG_E10value_typeET2_T3_PNSH_ISM_E10value_typeET4_T5_PSR_SS_PNS1_23onesweep_lookback_stateEbbT6_jjT7_P12ihipStream_tbENKUlT_T0_SG_SL_E_clISA_SA_SB_SB_EEDaSZ_S10_SG_SL_EUlSZ_E_NS1_11comp_targetILNS1_3genE8ELNS1_11target_archE1030ELNS1_3gpuE2ELNS1_3repE0EEENS1_47radix_sort_onesweep_sort_config_static_selectorELNS0_4arch9wavefront6targetE0EEEvSG_
	.p2align	8
	.type	_ZN7rocprim17ROCPRIM_400000_NS6detail17trampoline_kernelINS0_14default_configENS1_35radix_sort_onesweep_config_selectorIfNS0_10empty_typeEEEZZNS1_29radix_sort_onesweep_iterationIS3_Lb0EPKfPfPS5_SB_mNS0_19identity_decomposerENS1_16block_id_wrapperIjLb0EEEEE10hipError_tT1_PNSt15iterator_traitsISG_E10value_typeET2_T3_PNSH_ISM_E10value_typeET4_T5_PSR_SS_PNS1_23onesweep_lookback_stateEbbT6_jjT7_P12ihipStream_tbENKUlT_T0_SG_SL_E_clISA_SA_SB_SB_EEDaSZ_S10_SG_SL_EUlSZ_E_NS1_11comp_targetILNS1_3genE8ELNS1_11target_archE1030ELNS1_3gpuE2ELNS1_3repE0EEENS1_47radix_sort_onesweep_sort_config_static_selectorELNS0_4arch9wavefront6targetE0EEEvSG_,@function
_ZN7rocprim17ROCPRIM_400000_NS6detail17trampoline_kernelINS0_14default_configENS1_35radix_sort_onesweep_config_selectorIfNS0_10empty_typeEEEZZNS1_29radix_sort_onesweep_iterationIS3_Lb0EPKfPfPS5_SB_mNS0_19identity_decomposerENS1_16block_id_wrapperIjLb0EEEEE10hipError_tT1_PNSt15iterator_traitsISG_E10value_typeET2_T3_PNSH_ISM_E10value_typeET4_T5_PSR_SS_PNS1_23onesweep_lookback_stateEbbT6_jjT7_P12ihipStream_tbENKUlT_T0_SG_SL_E_clISA_SA_SB_SB_EEDaSZ_S10_SG_SL_EUlSZ_E_NS1_11comp_targetILNS1_3genE8ELNS1_11target_archE1030ELNS1_3gpuE2ELNS1_3repE0EEENS1_47radix_sort_onesweep_sort_config_static_selectorELNS0_4arch9wavefront6targetE0EEEvSG_: ; @_ZN7rocprim17ROCPRIM_400000_NS6detail17trampoline_kernelINS0_14default_configENS1_35radix_sort_onesweep_config_selectorIfNS0_10empty_typeEEEZZNS1_29radix_sort_onesweep_iterationIS3_Lb0EPKfPfPS5_SB_mNS0_19identity_decomposerENS1_16block_id_wrapperIjLb0EEEEE10hipError_tT1_PNSt15iterator_traitsISG_E10value_typeET2_T3_PNSH_ISM_E10value_typeET4_T5_PSR_SS_PNS1_23onesweep_lookback_stateEbbT6_jjT7_P12ihipStream_tbENKUlT_T0_SG_SL_E_clISA_SA_SB_SB_EEDaSZ_S10_SG_SL_EUlSZ_E_NS1_11comp_targetILNS1_3genE8ELNS1_11target_archE1030ELNS1_3gpuE2ELNS1_3repE0EEENS1_47radix_sort_onesweep_sort_config_static_selectorELNS0_4arch9wavefront6targetE0EEEvSG_
; %bb.0:
	.section	.rodata,"a",@progbits
	.p2align	6, 0x0
	.amdhsa_kernel _ZN7rocprim17ROCPRIM_400000_NS6detail17trampoline_kernelINS0_14default_configENS1_35radix_sort_onesweep_config_selectorIfNS0_10empty_typeEEEZZNS1_29radix_sort_onesweep_iterationIS3_Lb0EPKfPfPS5_SB_mNS0_19identity_decomposerENS1_16block_id_wrapperIjLb0EEEEE10hipError_tT1_PNSt15iterator_traitsISG_E10value_typeET2_T3_PNSH_ISM_E10value_typeET4_T5_PSR_SS_PNS1_23onesweep_lookback_stateEbbT6_jjT7_P12ihipStream_tbENKUlT_T0_SG_SL_E_clISA_SA_SB_SB_EEDaSZ_S10_SG_SL_EUlSZ_E_NS1_11comp_targetILNS1_3genE8ELNS1_11target_archE1030ELNS1_3gpuE2ELNS1_3repE0EEENS1_47radix_sort_onesweep_sort_config_static_selectorELNS0_4arch9wavefront6targetE0EEEvSG_
		.amdhsa_group_segment_fixed_size 0
		.amdhsa_private_segment_fixed_size 0
		.amdhsa_kernarg_size 88
		.amdhsa_user_sgpr_count 2
		.amdhsa_user_sgpr_dispatch_ptr 0
		.amdhsa_user_sgpr_queue_ptr 0
		.amdhsa_user_sgpr_kernarg_segment_ptr 1
		.amdhsa_user_sgpr_dispatch_id 0
		.amdhsa_user_sgpr_kernarg_preload_length 0
		.amdhsa_user_sgpr_kernarg_preload_offset 0
		.amdhsa_user_sgpr_private_segment_size 0
		.amdhsa_wavefront_size32 1
		.amdhsa_uses_dynamic_stack 0
		.amdhsa_enable_private_segment 0
		.amdhsa_system_sgpr_workgroup_id_x 1
		.amdhsa_system_sgpr_workgroup_id_y 0
		.amdhsa_system_sgpr_workgroup_id_z 0
		.amdhsa_system_sgpr_workgroup_info 0
		.amdhsa_system_vgpr_workitem_id 0
		.amdhsa_next_free_vgpr 1
		.amdhsa_next_free_sgpr 1
		.amdhsa_named_barrier_count 0
		.amdhsa_reserve_vcc 0
		.amdhsa_float_round_mode_32 0
		.amdhsa_float_round_mode_16_64 0
		.amdhsa_float_denorm_mode_32 3
		.amdhsa_float_denorm_mode_16_64 3
		.amdhsa_fp16_overflow 0
		.amdhsa_memory_ordered 1
		.amdhsa_forward_progress 1
		.amdhsa_inst_pref_size 0
		.amdhsa_round_robin_scheduling 0
		.amdhsa_exception_fp_ieee_invalid_op 0
		.amdhsa_exception_fp_denorm_src 0
		.amdhsa_exception_fp_ieee_div_zero 0
		.amdhsa_exception_fp_ieee_overflow 0
		.amdhsa_exception_fp_ieee_underflow 0
		.amdhsa_exception_fp_ieee_inexact 0
		.amdhsa_exception_int_div_zero 0
	.end_amdhsa_kernel
	.section	.text._ZN7rocprim17ROCPRIM_400000_NS6detail17trampoline_kernelINS0_14default_configENS1_35radix_sort_onesweep_config_selectorIfNS0_10empty_typeEEEZZNS1_29radix_sort_onesweep_iterationIS3_Lb0EPKfPfPS5_SB_mNS0_19identity_decomposerENS1_16block_id_wrapperIjLb0EEEEE10hipError_tT1_PNSt15iterator_traitsISG_E10value_typeET2_T3_PNSH_ISM_E10value_typeET4_T5_PSR_SS_PNS1_23onesweep_lookback_stateEbbT6_jjT7_P12ihipStream_tbENKUlT_T0_SG_SL_E_clISA_SA_SB_SB_EEDaSZ_S10_SG_SL_EUlSZ_E_NS1_11comp_targetILNS1_3genE8ELNS1_11target_archE1030ELNS1_3gpuE2ELNS1_3repE0EEENS1_47radix_sort_onesweep_sort_config_static_selectorELNS0_4arch9wavefront6targetE0EEEvSG_,"axG",@progbits,_ZN7rocprim17ROCPRIM_400000_NS6detail17trampoline_kernelINS0_14default_configENS1_35radix_sort_onesweep_config_selectorIfNS0_10empty_typeEEEZZNS1_29radix_sort_onesweep_iterationIS3_Lb0EPKfPfPS5_SB_mNS0_19identity_decomposerENS1_16block_id_wrapperIjLb0EEEEE10hipError_tT1_PNSt15iterator_traitsISG_E10value_typeET2_T3_PNSH_ISM_E10value_typeET4_T5_PSR_SS_PNS1_23onesweep_lookback_stateEbbT6_jjT7_P12ihipStream_tbENKUlT_T0_SG_SL_E_clISA_SA_SB_SB_EEDaSZ_S10_SG_SL_EUlSZ_E_NS1_11comp_targetILNS1_3genE8ELNS1_11target_archE1030ELNS1_3gpuE2ELNS1_3repE0EEENS1_47radix_sort_onesweep_sort_config_static_selectorELNS0_4arch9wavefront6targetE0EEEvSG_,comdat
.Lfunc_end1441:
	.size	_ZN7rocprim17ROCPRIM_400000_NS6detail17trampoline_kernelINS0_14default_configENS1_35radix_sort_onesweep_config_selectorIfNS0_10empty_typeEEEZZNS1_29radix_sort_onesweep_iterationIS3_Lb0EPKfPfPS5_SB_mNS0_19identity_decomposerENS1_16block_id_wrapperIjLb0EEEEE10hipError_tT1_PNSt15iterator_traitsISG_E10value_typeET2_T3_PNSH_ISM_E10value_typeET4_T5_PSR_SS_PNS1_23onesweep_lookback_stateEbbT6_jjT7_P12ihipStream_tbENKUlT_T0_SG_SL_E_clISA_SA_SB_SB_EEDaSZ_S10_SG_SL_EUlSZ_E_NS1_11comp_targetILNS1_3genE8ELNS1_11target_archE1030ELNS1_3gpuE2ELNS1_3repE0EEENS1_47radix_sort_onesweep_sort_config_static_selectorELNS0_4arch9wavefront6targetE0EEEvSG_, .Lfunc_end1441-_ZN7rocprim17ROCPRIM_400000_NS6detail17trampoline_kernelINS0_14default_configENS1_35radix_sort_onesweep_config_selectorIfNS0_10empty_typeEEEZZNS1_29radix_sort_onesweep_iterationIS3_Lb0EPKfPfPS5_SB_mNS0_19identity_decomposerENS1_16block_id_wrapperIjLb0EEEEE10hipError_tT1_PNSt15iterator_traitsISG_E10value_typeET2_T3_PNSH_ISM_E10value_typeET4_T5_PSR_SS_PNS1_23onesweep_lookback_stateEbbT6_jjT7_P12ihipStream_tbENKUlT_T0_SG_SL_E_clISA_SA_SB_SB_EEDaSZ_S10_SG_SL_EUlSZ_E_NS1_11comp_targetILNS1_3genE8ELNS1_11target_archE1030ELNS1_3gpuE2ELNS1_3repE0EEENS1_47radix_sort_onesweep_sort_config_static_selectorELNS0_4arch9wavefront6targetE0EEEvSG_
                                        ; -- End function
	.set _ZN7rocprim17ROCPRIM_400000_NS6detail17trampoline_kernelINS0_14default_configENS1_35radix_sort_onesweep_config_selectorIfNS0_10empty_typeEEEZZNS1_29radix_sort_onesweep_iterationIS3_Lb0EPKfPfPS5_SB_mNS0_19identity_decomposerENS1_16block_id_wrapperIjLb0EEEEE10hipError_tT1_PNSt15iterator_traitsISG_E10value_typeET2_T3_PNSH_ISM_E10value_typeET4_T5_PSR_SS_PNS1_23onesweep_lookback_stateEbbT6_jjT7_P12ihipStream_tbENKUlT_T0_SG_SL_E_clISA_SA_SB_SB_EEDaSZ_S10_SG_SL_EUlSZ_E_NS1_11comp_targetILNS1_3genE8ELNS1_11target_archE1030ELNS1_3gpuE2ELNS1_3repE0EEENS1_47radix_sort_onesweep_sort_config_static_selectorELNS0_4arch9wavefront6targetE0EEEvSG_.num_vgpr, 0
	.set _ZN7rocprim17ROCPRIM_400000_NS6detail17trampoline_kernelINS0_14default_configENS1_35radix_sort_onesweep_config_selectorIfNS0_10empty_typeEEEZZNS1_29radix_sort_onesweep_iterationIS3_Lb0EPKfPfPS5_SB_mNS0_19identity_decomposerENS1_16block_id_wrapperIjLb0EEEEE10hipError_tT1_PNSt15iterator_traitsISG_E10value_typeET2_T3_PNSH_ISM_E10value_typeET4_T5_PSR_SS_PNS1_23onesweep_lookback_stateEbbT6_jjT7_P12ihipStream_tbENKUlT_T0_SG_SL_E_clISA_SA_SB_SB_EEDaSZ_S10_SG_SL_EUlSZ_E_NS1_11comp_targetILNS1_3genE8ELNS1_11target_archE1030ELNS1_3gpuE2ELNS1_3repE0EEENS1_47radix_sort_onesweep_sort_config_static_selectorELNS0_4arch9wavefront6targetE0EEEvSG_.num_agpr, 0
	.set _ZN7rocprim17ROCPRIM_400000_NS6detail17trampoline_kernelINS0_14default_configENS1_35radix_sort_onesweep_config_selectorIfNS0_10empty_typeEEEZZNS1_29radix_sort_onesweep_iterationIS3_Lb0EPKfPfPS5_SB_mNS0_19identity_decomposerENS1_16block_id_wrapperIjLb0EEEEE10hipError_tT1_PNSt15iterator_traitsISG_E10value_typeET2_T3_PNSH_ISM_E10value_typeET4_T5_PSR_SS_PNS1_23onesweep_lookback_stateEbbT6_jjT7_P12ihipStream_tbENKUlT_T0_SG_SL_E_clISA_SA_SB_SB_EEDaSZ_S10_SG_SL_EUlSZ_E_NS1_11comp_targetILNS1_3genE8ELNS1_11target_archE1030ELNS1_3gpuE2ELNS1_3repE0EEENS1_47radix_sort_onesweep_sort_config_static_selectorELNS0_4arch9wavefront6targetE0EEEvSG_.numbered_sgpr, 0
	.set _ZN7rocprim17ROCPRIM_400000_NS6detail17trampoline_kernelINS0_14default_configENS1_35radix_sort_onesweep_config_selectorIfNS0_10empty_typeEEEZZNS1_29radix_sort_onesweep_iterationIS3_Lb0EPKfPfPS5_SB_mNS0_19identity_decomposerENS1_16block_id_wrapperIjLb0EEEEE10hipError_tT1_PNSt15iterator_traitsISG_E10value_typeET2_T3_PNSH_ISM_E10value_typeET4_T5_PSR_SS_PNS1_23onesweep_lookback_stateEbbT6_jjT7_P12ihipStream_tbENKUlT_T0_SG_SL_E_clISA_SA_SB_SB_EEDaSZ_S10_SG_SL_EUlSZ_E_NS1_11comp_targetILNS1_3genE8ELNS1_11target_archE1030ELNS1_3gpuE2ELNS1_3repE0EEENS1_47radix_sort_onesweep_sort_config_static_selectorELNS0_4arch9wavefront6targetE0EEEvSG_.num_named_barrier, 0
	.set _ZN7rocprim17ROCPRIM_400000_NS6detail17trampoline_kernelINS0_14default_configENS1_35radix_sort_onesweep_config_selectorIfNS0_10empty_typeEEEZZNS1_29radix_sort_onesweep_iterationIS3_Lb0EPKfPfPS5_SB_mNS0_19identity_decomposerENS1_16block_id_wrapperIjLb0EEEEE10hipError_tT1_PNSt15iterator_traitsISG_E10value_typeET2_T3_PNSH_ISM_E10value_typeET4_T5_PSR_SS_PNS1_23onesweep_lookback_stateEbbT6_jjT7_P12ihipStream_tbENKUlT_T0_SG_SL_E_clISA_SA_SB_SB_EEDaSZ_S10_SG_SL_EUlSZ_E_NS1_11comp_targetILNS1_3genE8ELNS1_11target_archE1030ELNS1_3gpuE2ELNS1_3repE0EEENS1_47radix_sort_onesweep_sort_config_static_selectorELNS0_4arch9wavefront6targetE0EEEvSG_.private_seg_size, 0
	.set _ZN7rocprim17ROCPRIM_400000_NS6detail17trampoline_kernelINS0_14default_configENS1_35radix_sort_onesweep_config_selectorIfNS0_10empty_typeEEEZZNS1_29radix_sort_onesweep_iterationIS3_Lb0EPKfPfPS5_SB_mNS0_19identity_decomposerENS1_16block_id_wrapperIjLb0EEEEE10hipError_tT1_PNSt15iterator_traitsISG_E10value_typeET2_T3_PNSH_ISM_E10value_typeET4_T5_PSR_SS_PNS1_23onesweep_lookback_stateEbbT6_jjT7_P12ihipStream_tbENKUlT_T0_SG_SL_E_clISA_SA_SB_SB_EEDaSZ_S10_SG_SL_EUlSZ_E_NS1_11comp_targetILNS1_3genE8ELNS1_11target_archE1030ELNS1_3gpuE2ELNS1_3repE0EEENS1_47radix_sort_onesweep_sort_config_static_selectorELNS0_4arch9wavefront6targetE0EEEvSG_.uses_vcc, 0
	.set _ZN7rocprim17ROCPRIM_400000_NS6detail17trampoline_kernelINS0_14default_configENS1_35radix_sort_onesweep_config_selectorIfNS0_10empty_typeEEEZZNS1_29radix_sort_onesweep_iterationIS3_Lb0EPKfPfPS5_SB_mNS0_19identity_decomposerENS1_16block_id_wrapperIjLb0EEEEE10hipError_tT1_PNSt15iterator_traitsISG_E10value_typeET2_T3_PNSH_ISM_E10value_typeET4_T5_PSR_SS_PNS1_23onesweep_lookback_stateEbbT6_jjT7_P12ihipStream_tbENKUlT_T0_SG_SL_E_clISA_SA_SB_SB_EEDaSZ_S10_SG_SL_EUlSZ_E_NS1_11comp_targetILNS1_3genE8ELNS1_11target_archE1030ELNS1_3gpuE2ELNS1_3repE0EEENS1_47radix_sort_onesweep_sort_config_static_selectorELNS0_4arch9wavefront6targetE0EEEvSG_.uses_flat_scratch, 0
	.set _ZN7rocprim17ROCPRIM_400000_NS6detail17trampoline_kernelINS0_14default_configENS1_35radix_sort_onesweep_config_selectorIfNS0_10empty_typeEEEZZNS1_29radix_sort_onesweep_iterationIS3_Lb0EPKfPfPS5_SB_mNS0_19identity_decomposerENS1_16block_id_wrapperIjLb0EEEEE10hipError_tT1_PNSt15iterator_traitsISG_E10value_typeET2_T3_PNSH_ISM_E10value_typeET4_T5_PSR_SS_PNS1_23onesweep_lookback_stateEbbT6_jjT7_P12ihipStream_tbENKUlT_T0_SG_SL_E_clISA_SA_SB_SB_EEDaSZ_S10_SG_SL_EUlSZ_E_NS1_11comp_targetILNS1_3genE8ELNS1_11target_archE1030ELNS1_3gpuE2ELNS1_3repE0EEENS1_47radix_sort_onesweep_sort_config_static_selectorELNS0_4arch9wavefront6targetE0EEEvSG_.has_dyn_sized_stack, 0
	.set _ZN7rocprim17ROCPRIM_400000_NS6detail17trampoline_kernelINS0_14default_configENS1_35radix_sort_onesweep_config_selectorIfNS0_10empty_typeEEEZZNS1_29radix_sort_onesweep_iterationIS3_Lb0EPKfPfPS5_SB_mNS0_19identity_decomposerENS1_16block_id_wrapperIjLb0EEEEE10hipError_tT1_PNSt15iterator_traitsISG_E10value_typeET2_T3_PNSH_ISM_E10value_typeET4_T5_PSR_SS_PNS1_23onesweep_lookback_stateEbbT6_jjT7_P12ihipStream_tbENKUlT_T0_SG_SL_E_clISA_SA_SB_SB_EEDaSZ_S10_SG_SL_EUlSZ_E_NS1_11comp_targetILNS1_3genE8ELNS1_11target_archE1030ELNS1_3gpuE2ELNS1_3repE0EEENS1_47radix_sort_onesweep_sort_config_static_selectorELNS0_4arch9wavefront6targetE0EEEvSG_.has_recursion, 0
	.set _ZN7rocprim17ROCPRIM_400000_NS6detail17trampoline_kernelINS0_14default_configENS1_35radix_sort_onesweep_config_selectorIfNS0_10empty_typeEEEZZNS1_29radix_sort_onesweep_iterationIS3_Lb0EPKfPfPS5_SB_mNS0_19identity_decomposerENS1_16block_id_wrapperIjLb0EEEEE10hipError_tT1_PNSt15iterator_traitsISG_E10value_typeET2_T3_PNSH_ISM_E10value_typeET4_T5_PSR_SS_PNS1_23onesweep_lookback_stateEbbT6_jjT7_P12ihipStream_tbENKUlT_T0_SG_SL_E_clISA_SA_SB_SB_EEDaSZ_S10_SG_SL_EUlSZ_E_NS1_11comp_targetILNS1_3genE8ELNS1_11target_archE1030ELNS1_3gpuE2ELNS1_3repE0EEENS1_47radix_sort_onesweep_sort_config_static_selectorELNS0_4arch9wavefront6targetE0EEEvSG_.has_indirect_call, 0
	.section	.AMDGPU.csdata,"",@progbits
; Kernel info:
; codeLenInByte = 0
; TotalNumSgprs: 0
; NumVgprs: 0
; ScratchSize: 0
; MemoryBound: 0
; FloatMode: 240
; IeeeMode: 1
; LDSByteSize: 0 bytes/workgroup (compile time only)
; SGPRBlocks: 0
; VGPRBlocks: 0
; NumSGPRsForWavesPerEU: 1
; NumVGPRsForWavesPerEU: 1
; NamedBarCnt: 0
; Occupancy: 16
; WaveLimiterHint : 0
; COMPUTE_PGM_RSRC2:SCRATCH_EN: 0
; COMPUTE_PGM_RSRC2:USER_SGPR: 2
; COMPUTE_PGM_RSRC2:TRAP_HANDLER: 0
; COMPUTE_PGM_RSRC2:TGID_X_EN: 1
; COMPUTE_PGM_RSRC2:TGID_Y_EN: 0
; COMPUTE_PGM_RSRC2:TGID_Z_EN: 0
; COMPUTE_PGM_RSRC2:TIDIG_COMP_CNT: 0
	.section	.text._ZN7rocprim17ROCPRIM_400000_NS6detail17trampoline_kernelINS0_13kernel_configILj256ELj4ELj4294967295EEENS1_37radix_sort_block_sort_config_selectorIdNS0_10empty_typeEEEZNS1_21radix_sort_block_sortIS4_Lb1EPKdPdPS6_SC_NS0_19identity_decomposerEEE10hipError_tT1_T2_T3_T4_jRjT5_jjP12ihipStream_tbEUlT_E_NS1_11comp_targetILNS1_3genE0ELNS1_11target_archE4294967295ELNS1_3gpuE0ELNS1_3repE0EEENS1_44radix_sort_block_sort_config_static_selectorELNS0_4arch9wavefront6targetE0EEEvSF_,"axG",@progbits,_ZN7rocprim17ROCPRIM_400000_NS6detail17trampoline_kernelINS0_13kernel_configILj256ELj4ELj4294967295EEENS1_37radix_sort_block_sort_config_selectorIdNS0_10empty_typeEEEZNS1_21radix_sort_block_sortIS4_Lb1EPKdPdPS6_SC_NS0_19identity_decomposerEEE10hipError_tT1_T2_T3_T4_jRjT5_jjP12ihipStream_tbEUlT_E_NS1_11comp_targetILNS1_3genE0ELNS1_11target_archE4294967295ELNS1_3gpuE0ELNS1_3repE0EEENS1_44radix_sort_block_sort_config_static_selectorELNS0_4arch9wavefront6targetE0EEEvSF_,comdat
	.protected	_ZN7rocprim17ROCPRIM_400000_NS6detail17trampoline_kernelINS0_13kernel_configILj256ELj4ELj4294967295EEENS1_37radix_sort_block_sort_config_selectorIdNS0_10empty_typeEEEZNS1_21radix_sort_block_sortIS4_Lb1EPKdPdPS6_SC_NS0_19identity_decomposerEEE10hipError_tT1_T2_T3_T4_jRjT5_jjP12ihipStream_tbEUlT_E_NS1_11comp_targetILNS1_3genE0ELNS1_11target_archE4294967295ELNS1_3gpuE0ELNS1_3repE0EEENS1_44radix_sort_block_sort_config_static_selectorELNS0_4arch9wavefront6targetE0EEEvSF_ ; -- Begin function _ZN7rocprim17ROCPRIM_400000_NS6detail17trampoline_kernelINS0_13kernel_configILj256ELj4ELj4294967295EEENS1_37radix_sort_block_sort_config_selectorIdNS0_10empty_typeEEEZNS1_21radix_sort_block_sortIS4_Lb1EPKdPdPS6_SC_NS0_19identity_decomposerEEE10hipError_tT1_T2_T3_T4_jRjT5_jjP12ihipStream_tbEUlT_E_NS1_11comp_targetILNS1_3genE0ELNS1_11target_archE4294967295ELNS1_3gpuE0ELNS1_3repE0EEENS1_44radix_sort_block_sort_config_static_selectorELNS0_4arch9wavefront6targetE0EEEvSF_
	.globl	_ZN7rocprim17ROCPRIM_400000_NS6detail17trampoline_kernelINS0_13kernel_configILj256ELj4ELj4294967295EEENS1_37radix_sort_block_sort_config_selectorIdNS0_10empty_typeEEEZNS1_21radix_sort_block_sortIS4_Lb1EPKdPdPS6_SC_NS0_19identity_decomposerEEE10hipError_tT1_T2_T3_T4_jRjT5_jjP12ihipStream_tbEUlT_E_NS1_11comp_targetILNS1_3genE0ELNS1_11target_archE4294967295ELNS1_3gpuE0ELNS1_3repE0EEENS1_44radix_sort_block_sort_config_static_selectorELNS0_4arch9wavefront6targetE0EEEvSF_
	.p2align	8
	.type	_ZN7rocprim17ROCPRIM_400000_NS6detail17trampoline_kernelINS0_13kernel_configILj256ELj4ELj4294967295EEENS1_37radix_sort_block_sort_config_selectorIdNS0_10empty_typeEEEZNS1_21radix_sort_block_sortIS4_Lb1EPKdPdPS6_SC_NS0_19identity_decomposerEEE10hipError_tT1_T2_T3_T4_jRjT5_jjP12ihipStream_tbEUlT_E_NS1_11comp_targetILNS1_3genE0ELNS1_11target_archE4294967295ELNS1_3gpuE0ELNS1_3repE0EEENS1_44radix_sort_block_sort_config_static_selectorELNS0_4arch9wavefront6targetE0EEEvSF_,@function
_ZN7rocprim17ROCPRIM_400000_NS6detail17trampoline_kernelINS0_13kernel_configILj256ELj4ELj4294967295EEENS1_37radix_sort_block_sort_config_selectorIdNS0_10empty_typeEEEZNS1_21radix_sort_block_sortIS4_Lb1EPKdPdPS6_SC_NS0_19identity_decomposerEEE10hipError_tT1_T2_T3_T4_jRjT5_jjP12ihipStream_tbEUlT_E_NS1_11comp_targetILNS1_3genE0ELNS1_11target_archE4294967295ELNS1_3gpuE0ELNS1_3repE0EEENS1_44radix_sort_block_sort_config_static_selectorELNS0_4arch9wavefront6targetE0EEEvSF_: ; @_ZN7rocprim17ROCPRIM_400000_NS6detail17trampoline_kernelINS0_13kernel_configILj256ELj4ELj4294967295EEENS1_37radix_sort_block_sort_config_selectorIdNS0_10empty_typeEEEZNS1_21radix_sort_block_sortIS4_Lb1EPKdPdPS6_SC_NS0_19identity_decomposerEEE10hipError_tT1_T2_T3_T4_jRjT5_jjP12ihipStream_tbEUlT_E_NS1_11comp_targetILNS1_3genE0ELNS1_11target_archE4294967295ELNS1_3gpuE0ELNS1_3repE0EEENS1_44radix_sort_block_sort_config_static_selectorELNS0_4arch9wavefront6targetE0EEEvSF_
; %bb.0:
	s_clause 0x1
	s_load_b32 s4, s[0:1], 0x20
	s_load_b128 s[20:23], s[0:1], 0x0
	s_bfe_u32 s5, ttmp6, 0x4000c
	s_and_b32 s2, ttmp6, 15
	s_add_co_i32 s5, s5, 1
	s_getreg_b32 s6, hwreg(HW_REG_IB_STS2, 6, 4)
	s_mul_i32 s5, ttmp9, s5
	v_and_b32_e32 v20, 0x3ff, v0
	s_add_co_i32 s2, s2, s5
	s_cmp_eq_u32 s6, 0
	v_mbcnt_lo_u32_b32 v14, -1, 0
	s_cselect_b32 s5, ttmp9, s2
	v_dual_mov_b32 v11, 0 :: v_dual_lshlrev_b32 v1, 2, v20
	s_lshl_b32 s2, s5, 10
	s_mov_b32 s3, 0
	v_lshlrev_b32_e32 v10, 3, v14
	s_delay_alu instid0(VALU_DEP_2) | instskip(SKIP_2) | instid1(SALU_CYCLE_1)
	v_and_b32_e32 v1, 0x380, v1
	s_wait_kmcnt 0x0
	s_lshr_b32 s8, s4, 10
	s_cmp_lg_u32 s5, s8
	s_cselect_b32 s29, -1, 0
	s_lshl_b64 s[24:25], s[2:3], 3
	s_cmp_eq_u32 s5, s8
	s_add_nc_u64 s[6:7], s[20:21], s[24:25]
	s_mov_b32 s5, -1
	v_add_nc_u64_e32 v[2:3], s[6:7], v[10:11]
	v_lshlrev_b32_e32 v10, 3, v1
	s_delay_alu instid0(VALU_DEP_1)
	v_add_nc_u64_e32 v[12:13], v[2:3], v[10:11]
                                        ; implicit-def: $vgpr2_vgpr3_vgpr4_vgpr5_vgpr6_vgpr7_vgpr8_vgpr9
	s_cbranch_scc0 .LBB1442_26
; %bb.1:
	s_load_b64 s[20:21], s[0:1], 0x28
	s_and_not1_b32 vcc_lo, exec_lo, s5
	s_sub_co_i32 s28, s4, s2
	s_cbranch_vccz .LBB1442_27
.LBB1442_2:
	s_and_saveexec_b32 s2, s3
	s_cbranch_execz .LBB1442_4
.LBB1442_3:
	global_load_b64 v[8:9], v[12:13], off offset:768
.LBB1442_4:
	s_wait_xcnt 0x0
	s_or_b32 exec_lo, exec_lo, s2
	s_wait_loadcnt 0x2
	v_cmp_gt_i64_e32 vcc_lo, 0, v[2:3]
	s_load_b32 s2, s[0:1], 0x3c
	v_bfe_u32 v19, v0, 10, 10
	v_bfe_u32 v0, v0, 20, 10
	s_wait_loadcnt 0x0
	v_dual_ashrrev_i32 v11, 31, v3 :: v_dual_ashrrev_i32 v13, 31, v5
	v_dual_ashrrev_i32 v16, 31, v7 :: v_dual_ashrrev_i32 v18, 31, v9
	v_cndmask_b32_e64 v1, 0x7fffffff, 0, vcc_lo
	v_cmp_gt_i64_e32 vcc_lo, 0, v[4:5]
	v_and_b32_e32 v22, 0x3e0, v20
	v_not_b32_e32 v11, v11
	v_not_b32_e32 v13, v13
	v_dual_lshlrev_b32 v21, 5, v20 :: v_dual_bitop2_b32 v1, v1, v3 bitop3:0x14
	v_and_b32_e32 v23, 15, v14
	v_cndmask_b32_e64 v12, 0x7fffffff, 0, vcc_lo
	v_cmp_gt_i64_e32 vcc_lo, 0, v[6:7]
	s_wait_xcnt 0x0
	s_get_pc_i64 s[0:1]
	s_add_nc_u64 s[0:1], s[0:1], _ZN7rocprim17ROCPRIM_400000_NS16block_radix_sortIdLj256ELj4ENS0_10empty_typeELj1ELj1ELj0ELNS0_26block_radix_rank_algorithmE1ELNS0_18block_padding_hintE2ELNS0_4arch9wavefront6targetE0EE19radix_bits_per_passE@rel64+4
	s_mov_b32 s14, 0
	s_load_b32 s30, s[0:1], 0x0
	s_wait_kmcnt 0x0
	s_lshr_b32 s3, s2, 16
	s_and_b32 s2, s2, 0xffff
	v_mad_u32_u24 v0, v0, s3, v19
	v_cndmask_b32_e64 v15, 0x7fffffff, 0, vcc_lo
	v_cmp_gt_i64_e32 vcc_lo, 0, v[8:9]
	v_xor_b32_e32 v3, v12, v5
	v_not_b32_e32 v12, v16
	v_mad_u32 v19, v0, s2, v20
	v_xor_b32_e32 v5, v15, v7
	v_not_b32_e32 v15, v18
	v_xor_b32_e32 v0, v11, v2
	v_cndmask_b32_e64 v17, 0x7fffffff, 0, vcc_lo
	v_xor_b32_e32 v2, v13, v4
	v_xor_b32_e32 v4, v12, v6
	;; [unrolled: 1-line block ×3, first 2 shown]
	v_and_b32_e32 v24, 16, v14
	v_xor_b32_e32 v7, v17, v9
	v_min_u32_e32 v9, 0xe0, v22
	v_lshrrev_b32_e32 v11, 3, v19
	v_mul_i32_i24_e32 v12, 0xffffffe4, v20
	v_cmp_eq_u32_e64 s5, 0, v24
	s_mov_b32 s15, s14
	v_or_b32_e32 v8, 31, v9
	v_sub_co_u32 v9, s2, v14, 1
	v_and_b32_e32 v22, 0x1ffffffc, v11
	v_and_b32_e32 v11, 7, v14
	s_delay_alu instid0(VALU_DEP_4) | instskip(NEXT) | instid1(VALU_DEP_4)
	v_cmp_eq_u32_e64 s6, v20, v8
	v_cmp_gt_i32_e32 vcc_lo, 0, v9
	s_mov_b32 s16, s14
	s_mov_b32 s17, s14
	v_cmp_eq_u32_e64 s0, 0, v23
	v_cmp_lt_u32_e64 s1, 1, v23
	v_dual_cndmask_b32 v8, v9, v14 :: v_dual_lshrrev_b32 v9, 3, v20
	v_cmp_lt_u32_e64 s3, 3, v23
	v_cmp_lt_u32_e64 s4, 7, v23
	v_cmp_eq_u32_e64 s10, 0, v11
	s_delay_alu instid0(VALU_DEP_4)
	v_lshlrev_b32_e32 v23, 2, v8
	v_and_b32_e32 v24, 0x7c, v9
	v_cmp_lt_u32_e64 s11, 1, v11
	v_cmp_lt_u32_e64 s12, 3, v11
	v_lshl_add_u32 v26, v14, 3, v10
	v_mov_b64_e32 v[8:9], s[14:15]
	v_mov_b64_e32 v[10:11], s[16:17]
	v_cmp_gt_u32_e64 s7, 8, v20
	v_cmp_lt_u32_e64 s8, 31, v20
	v_cmp_eq_u32_e64 s9, 0, v20
	v_add_nc_u32_e32 v25, -4, v24
	v_add_nc_u32_e32 v27, v21, v12
	s_mov_b64 s[26:27], 0x8000000000000000
	s_add_co_i32 s31, s21, s20
	s_branch .LBB1442_6
.LBB1442_5:                             ;   in Loop: Header=BB1442_6 Depth=1
	s_and_not1_b32 vcc_lo, exec_lo, s13
	s_cbranch_vccz .LBB1442_22
.LBB1442_6:                             ; =>This Inner Loop Header: Depth=1
	v_mov_b64_e32 v[12:13], v[0:1]
	s_min_u32 s13, s30, s21
	ds_store_2addr_b64 v21, v[8:9], v[10:11] offset0:4 offset1:5
	ds_store_2addr_b64 v21, v[8:9], v[10:11] offset0:6 offset1:7
	s_lshl_b32 s33, -1, s13
	s_wait_dscnt 0x0
	s_barrier_signal -1
	s_barrier_wait -1
	v_cmp_ne_u64_e32 vcc_lo, s[26:27], v[12:13]
	; wave barrier
	v_cndmask_b32_e32 v1, 0x7fffffff, v13, vcc_lo
	v_cndmask_b32_e32 v0, -1, v12, vcc_lo
	s_delay_alu instid0(VALU_DEP_1) | instskip(NEXT) | instid1(VALU_DEP_1)
	v_lshrrev_b64 v[0:1], s20, v[0:1]
	v_bitop3_b32 v1, v0, 1, s33 bitop3:0x40
	v_bitop3_b32 v29, v0, s33, v0 bitop3:0x30
	s_delay_alu instid0(VALU_DEP_2) | instskip(NEXT) | instid1(VALU_DEP_1)
	v_add_co_u32 v0, s13, v1, -1
	v_cndmask_b32_e64 v1, 0, 1, s13
	s_delay_alu instid0(VALU_DEP_3) | instskip(SKIP_2) | instid1(VALU_DEP_4)
	v_dual_lshlrev_b32 v14, 30, v29 :: v_dual_lshlrev_b32 v15, 29, v29
	v_dual_lshlrev_b32 v16, 28, v29 :: v_dual_lshlrev_b32 v17, 27, v29
	v_lshlrev_b32_e32 v18, 26, v29
	v_cmp_ne_u32_e32 vcc_lo, 0, v1
	s_delay_alu instid0(VALU_DEP_4)
	v_not_b32_e32 v1, v14
	v_cmp_gt_i32_e64 s13, 0, v14
	v_cmp_gt_i32_e64 s14, 0, v15
	v_not_b32_e32 v14, v15
	v_not_b32_e32 v15, v16
	v_dual_ashrrev_i32 v1, 31, v1 :: v_dual_bitop2_b32 v0, vcc_lo, v0 bitop3:0x14
	v_dual_lshlrev_b32 v19, 25, v29 :: v_dual_lshlrev_b32 v28, 24, v29
	v_cmp_gt_i32_e64 s15, 0, v16
	v_cmp_gt_i32_e64 s16, 0, v17
	v_not_b32_e32 v16, v17
	v_not_b32_e32 v17, v18
	v_dual_ashrrev_i32 v14, 31, v14 :: v_dual_ashrrev_i32 v15, 31, v15
	v_xor_b32_e32 v1, s13, v1
	v_cmp_gt_i32_e64 s17, 0, v18
	v_cmp_gt_i32_e64 s18, 0, v19
	v_not_b32_e32 v18, v19
	v_not_b32_e32 v19, v28
	v_dual_ashrrev_i32 v16, 31, v16 :: v_dual_ashrrev_i32 v17, 31, v17
	v_xor_b32_e32 v14, s14, v14
	v_xor_b32_e32 v15, s15, v15
	v_bitop3_b32 v0, v0, v1, exec_lo bitop3:0x80
	v_cmp_gt_i32_e64 s19, 0, v28
	v_dual_ashrrev_i32 v1, 31, v18 :: v_dual_ashrrev_i32 v18, 31, v19
	v_xor_b32_e32 v16, s16, v16
	v_xor_b32_e32 v17, s17, v17
	v_bitop3_b32 v0, v0, v15, v14 bitop3:0x80
	s_delay_alu instid0(VALU_DEP_4) | instskip(SKIP_2) | instid1(VALU_DEP_4)
	v_xor_b32_e32 v1, s18, v1
	v_xor_b32_e32 v14, s19, v18
	v_mov_b64_e32 v[18:19], v[2:3]
	v_bitop3_b32 v0, v0, v17, v16 bitop3:0x80
	v_mov_b64_e32 v[16:17], v[4:5]
	s_delay_alu instid0(VALU_DEP_2) | instskip(SKIP_2) | instid1(VALU_DEP_3)
	v_bitop3_b32 v0, v0, v14, v1 bitop3:0x80
	v_lshlrev_b32_e32 v1, 5, v29
	v_mov_b64_e32 v[14:15], v[6:7]
	v_mbcnt_lo_u32_b32 v28, v0, 0
	v_cmp_ne_u32_e64 s13, 0, v0
	s_delay_alu instid0(VALU_DEP_4) | instskip(NEXT) | instid1(VALU_DEP_3)
	v_add_nc_u32_e32 v29, v22, v1
	v_cmp_eq_u32_e32 vcc_lo, 0, v28
	s_and_b32 s14, s13, vcc_lo
	s_delay_alu instid0(SALU_CYCLE_1)
	s_and_saveexec_b32 s13, s14
; %bb.7:                                ;   in Loop: Header=BB1442_6 Depth=1
	v_bcnt_u32_b32 v0, v0, 0
	ds_store_b32 v29, v0 offset:32
; %bb.8:                                ;   in Loop: Header=BB1442_6 Depth=1
	s_or_b32 exec_lo, exec_lo, s13
	v_cmp_ne_u64_e32 vcc_lo, s[26:27], v[18:19]
	s_not_b32 s33, s33
	; wave barrier
	v_cndmask_b32_e32 v1, 0x7fffffff, v19, vcc_lo
	v_cndmask_b32_e32 v0, -1, v18, vcc_lo
	s_delay_alu instid0(VALU_DEP_1) | instskip(NEXT) | instid1(VALU_DEP_1)
	v_lshrrev_b64 v[0:1], s20, v[0:1]
	v_and_b32_e32 v1, s33, v0
	v_bitop3_b32 v0, v0, 1, s33 bitop3:0x80
	s_delay_alu instid0(VALU_DEP_2) | instskip(NEXT) | instid1(VALU_DEP_2)
	v_lshlrev_b32_e32 v4, 30, v1
	v_add_co_u32 v0, s13, v0, -1
	s_delay_alu instid0(VALU_DEP_1) | instskip(NEXT) | instid1(VALU_DEP_1)
	v_cndmask_b32_e64 v3, 0, 1, s13
	v_cmp_ne_u32_e32 vcc_lo, 0, v3
	s_delay_alu instid0(VALU_DEP_4) | instskip(NEXT) | instid1(VALU_DEP_1)
	v_not_b32_e32 v3, v4
	v_dual_ashrrev_i32 v3, 31, v3 :: v_dual_bitop2_b32 v0, vcc_lo, v0 bitop3:0x14
	v_dual_lshlrev_b32 v5, 29, v1 :: v_dual_lshlrev_b32 v6, 28, v1
	v_dual_lshlrev_b32 v7, 27, v1 :: v_dual_lshlrev_b32 v30, 26, v1
	v_lshlrev_b32_e32 v31, 25, v1
	v_cmp_gt_i32_e64 s13, 0, v4
	s_delay_alu instid0(VALU_DEP_4)
	v_cmp_gt_i32_e64 s14, 0, v5
	v_not_b32_e32 v4, v5
	v_not_b32_e32 v5, v6
	v_dual_lshlrev_b32 v2, 5, v1 :: v_dual_lshlrev_b32 v1, 24, v1
	v_cmp_gt_i32_e64 s15, 0, v6
	v_cmp_gt_i32_e64 s16, 0, v7
	v_not_b32_e32 v6, v7
	v_not_b32_e32 v7, v30
	v_dual_ashrrev_i32 v4, 31, v4 :: v_dual_ashrrev_i32 v5, 31, v5
	v_xor_b32_e32 v3, s13, v3
	v_cmp_gt_i32_e64 s17, 0, v30
	v_not_b32_e32 v30, v31
	v_cmp_gt_i32_e64 s19, 0, v1
	v_not_b32_e32 v1, v1
	v_dual_ashrrev_i32 v6, 31, v6 :: v_dual_ashrrev_i32 v7, 31, v7
	v_xor_b32_e32 v4, s14, v4
	v_xor_b32_e32 v5, s15, v5
	v_bitop3_b32 v0, v0, v3, exec_lo bitop3:0x80
	v_cmp_gt_i32_e64 s18, 0, v31
	v_dual_ashrrev_i32 v3, 31, v30 :: v_dual_ashrrev_i32 v1, 31, v1
	v_xor_b32_e32 v6, s16, v6
	v_dual_add_nc_u32 v31, v22, v2 :: v_dual_bitop2_b32 v7, s17, v7 bitop3:0x14
	v_bitop3_b32 v0, v0, v5, v4 bitop3:0x80
	s_delay_alu instid0(VALU_DEP_4) | instskip(SKIP_3) | instid1(VALU_DEP_1)
	v_xor_b32_e32 v2, s18, v3
	v_xor_b32_e32 v1, s19, v1
	ds_load_b32 v30, v31 offset:32
	v_bitop3_b32 v0, v0, v7, v6 bitop3:0x80
	; wave barrier
	v_bitop3_b32 v0, v0, v1, v2 bitop3:0x80
	s_delay_alu instid0(VALU_DEP_1) | instskip(SKIP_1) | instid1(VALU_DEP_2)
	v_mbcnt_lo_u32_b32 v32, v0, 0
	v_cmp_ne_u32_e64 s13, 0, v0
	v_cmp_eq_u32_e32 vcc_lo, 0, v32
	s_and_b32 s14, s13, vcc_lo
	s_delay_alu instid0(SALU_CYCLE_1)
	s_and_saveexec_b32 s13, s14
	s_cbranch_execz .LBB1442_10
; %bb.9:                                ;   in Loop: Header=BB1442_6 Depth=1
	s_wait_dscnt 0x0
	v_bcnt_u32_b32 v0, v0, v30
	ds_store_b32 v31, v0 offset:32
.LBB1442_10:                            ;   in Loop: Header=BB1442_6 Depth=1
	s_or_b32 exec_lo, exec_lo, s13
	v_cmp_ne_u64_e32 vcc_lo, s[26:27], v[16:17]
	; wave barrier
	v_cndmask_b32_e32 v1, 0x7fffffff, v17, vcc_lo
	v_cndmask_b32_e32 v0, -1, v16, vcc_lo
	s_delay_alu instid0(VALU_DEP_1) | instskip(NEXT) | instid1(VALU_DEP_1)
	v_lshrrev_b64 v[0:1], s20, v[0:1]
	v_and_b32_e32 v1, s33, v0
	v_bitop3_b32 v0, v0, 1, s33 bitop3:0x80
	s_delay_alu instid0(VALU_DEP_2) | instskip(NEXT) | instid1(VALU_DEP_2)
	v_lshlrev_b32_e32 v4, 30, v1
	v_add_co_u32 v0, s13, v0, -1
	s_delay_alu instid0(VALU_DEP_1) | instskip(NEXT) | instid1(VALU_DEP_1)
	v_cndmask_b32_e64 v3, 0, 1, s13
	v_cmp_ne_u32_e32 vcc_lo, 0, v3
	s_delay_alu instid0(VALU_DEP_4) | instskip(NEXT) | instid1(VALU_DEP_1)
	v_not_b32_e32 v3, v4
	v_dual_ashrrev_i32 v3, 31, v3 :: v_dual_bitop2_b32 v0, vcc_lo, v0 bitop3:0x14
	v_dual_lshlrev_b32 v5, 29, v1 :: v_dual_lshlrev_b32 v6, 28, v1
	v_dual_lshlrev_b32 v7, 27, v1 :: v_dual_lshlrev_b32 v33, 26, v1
	v_lshlrev_b32_e32 v34, 25, v1
	v_cmp_gt_i32_e64 s13, 0, v4
	s_delay_alu instid0(VALU_DEP_4)
	v_cmp_gt_i32_e64 s14, 0, v5
	v_not_b32_e32 v4, v5
	v_not_b32_e32 v5, v6
	v_dual_lshlrev_b32 v2, 5, v1 :: v_dual_lshlrev_b32 v1, 24, v1
	v_cmp_gt_i32_e64 s15, 0, v6
	v_cmp_gt_i32_e64 s16, 0, v7
	v_not_b32_e32 v6, v7
	v_not_b32_e32 v7, v33
	v_dual_ashrrev_i32 v4, 31, v4 :: v_dual_ashrrev_i32 v5, 31, v5
	v_xor_b32_e32 v3, s13, v3
	v_cmp_gt_i32_e64 s17, 0, v33
	v_not_b32_e32 v33, v34
	v_cmp_gt_i32_e64 s19, 0, v1
	v_not_b32_e32 v1, v1
	v_dual_ashrrev_i32 v6, 31, v6 :: v_dual_ashrrev_i32 v7, 31, v7
	v_xor_b32_e32 v4, s14, v4
	v_dual_add_nc_u32 v35, v22, v2 :: v_dual_bitop2_b32 v5, s15, v5 bitop3:0x14
	v_bitop3_b32 v0, v0, v3, exec_lo bitop3:0x80
	v_cmp_gt_i32_e64 s18, 0, v34
	v_ashrrev_i32_e32 v3, 31, v33
	v_dual_ashrrev_i32 v1, 31, v1 :: v_dual_bitop2_b32 v6, s16, v6 bitop3:0x14
	v_xor_b32_e32 v7, s17, v7
	v_bitop3_b32 v0, v0, v5, v4 bitop3:0x80
	s_delay_alu instid0(VALU_DEP_4) | instskip(NEXT) | instid1(VALU_DEP_4)
	v_xor_b32_e32 v2, s18, v3
	v_xor_b32_e32 v1, s19, v1
	ds_load_b32 v33, v35 offset:32
	v_bitop3_b32 v0, v0, v7, v6 bitop3:0x80
	; wave barrier
	s_delay_alu instid0(VALU_DEP_1) | instskip(NEXT) | instid1(VALU_DEP_1)
	v_bitop3_b32 v0, v0, v1, v2 bitop3:0x80
	v_mbcnt_lo_u32_b32 v34, v0, 0
	v_cmp_ne_u32_e64 s13, 0, v0
	s_delay_alu instid0(VALU_DEP_2) | instskip(SKIP_1) | instid1(SALU_CYCLE_1)
	v_cmp_eq_u32_e32 vcc_lo, 0, v34
	s_and_b32 s14, s13, vcc_lo
	s_and_saveexec_b32 s13, s14
	s_cbranch_execz .LBB1442_12
; %bb.11:                               ;   in Loop: Header=BB1442_6 Depth=1
	s_wait_dscnt 0x0
	v_bcnt_u32_b32 v0, v0, v33
	ds_store_b32 v35, v0 offset:32
.LBB1442_12:                            ;   in Loop: Header=BB1442_6 Depth=1
	s_or_b32 exec_lo, exec_lo, s13
	v_cmp_ne_u64_e32 vcc_lo, s[26:27], v[14:15]
	; wave barrier
	v_cndmask_b32_e32 v1, 0x7fffffff, v15, vcc_lo
	v_cndmask_b32_e32 v0, -1, v14, vcc_lo
	s_delay_alu instid0(VALU_DEP_1) | instskip(NEXT) | instid1(VALU_DEP_1)
	v_lshrrev_b64 v[0:1], s20, v[0:1]
	v_and_b32_e32 v1, s33, v0
	v_bitop3_b32 v0, v0, 1, s33 bitop3:0x80
	s_delay_alu instid0(VALU_DEP_2) | instskip(NEXT) | instid1(VALU_DEP_2)
	v_lshlrev_b32_e32 v4, 30, v1
	v_add_co_u32 v0, s13, v0, -1
	s_delay_alu instid0(VALU_DEP_1) | instskip(NEXT) | instid1(VALU_DEP_1)
	v_cndmask_b32_e64 v3, 0, 1, s13
	v_cmp_ne_u32_e32 vcc_lo, 0, v3
	s_delay_alu instid0(VALU_DEP_4) | instskip(NEXT) | instid1(VALU_DEP_1)
	v_not_b32_e32 v3, v4
	v_dual_ashrrev_i32 v3, 31, v3 :: v_dual_bitop2_b32 v0, vcc_lo, v0 bitop3:0x14
	v_dual_lshlrev_b32 v5, 29, v1 :: v_dual_lshlrev_b32 v6, 28, v1
	v_dual_lshlrev_b32 v7, 27, v1 :: v_dual_lshlrev_b32 v36, 26, v1
	v_lshlrev_b32_e32 v37, 25, v1
	v_cmp_gt_i32_e64 s13, 0, v4
	s_delay_alu instid0(VALU_DEP_4)
	v_cmp_gt_i32_e64 s14, 0, v5
	v_not_b32_e32 v4, v5
	v_not_b32_e32 v5, v6
	v_dual_lshlrev_b32 v2, 5, v1 :: v_dual_lshlrev_b32 v1, 24, v1
	v_cmp_gt_i32_e64 s15, 0, v6
	v_cmp_gt_i32_e64 s16, 0, v7
	v_not_b32_e32 v6, v7
	v_not_b32_e32 v7, v36
	v_dual_ashrrev_i32 v4, 31, v4 :: v_dual_ashrrev_i32 v5, 31, v5
	v_xor_b32_e32 v3, s13, v3
	v_cmp_gt_i32_e64 s17, 0, v36
	v_not_b32_e32 v36, v37
	v_cmp_gt_i32_e64 s19, 0, v1
	v_not_b32_e32 v1, v1
	v_dual_ashrrev_i32 v6, 31, v6 :: v_dual_ashrrev_i32 v7, 31, v7
	v_xor_b32_e32 v4, s14, v4
	v_xor_b32_e32 v5, s15, v5
	v_bitop3_b32 v0, v0, v3, exec_lo bitop3:0x80
	v_cmp_gt_i32_e64 s18, 0, v37
	v_dual_ashrrev_i32 v3, 31, v36 :: v_dual_ashrrev_i32 v1, 31, v1
	v_xor_b32_e32 v6, s16, v6
	v_dual_add_nc_u32 v38, v22, v2 :: v_dual_bitop2_b32 v7, s17, v7 bitop3:0x14
	v_bitop3_b32 v0, v0, v5, v4 bitop3:0x80
	s_delay_alu instid0(VALU_DEP_4) | instskip(SKIP_3) | instid1(VALU_DEP_1)
	v_xor_b32_e32 v2, s18, v3
	v_xor_b32_e32 v1, s19, v1
	ds_load_b32 v36, v38 offset:32
	v_bitop3_b32 v0, v0, v7, v6 bitop3:0x80
	; wave barrier
	v_bitop3_b32 v0, v0, v1, v2 bitop3:0x80
	s_delay_alu instid0(VALU_DEP_1) | instskip(SKIP_1) | instid1(VALU_DEP_2)
	v_mbcnt_lo_u32_b32 v37, v0, 0
	v_cmp_ne_u32_e64 s13, 0, v0
	v_cmp_eq_u32_e32 vcc_lo, 0, v37
	s_and_b32 s14, s13, vcc_lo
	s_delay_alu instid0(SALU_CYCLE_1)
	s_and_saveexec_b32 s13, s14
	s_cbranch_execz .LBB1442_14
; %bb.13:                               ;   in Loop: Header=BB1442_6 Depth=1
	s_wait_dscnt 0x0
	v_bcnt_u32_b32 v0, v0, v36
	ds_store_b32 v38, v0 offset:32
.LBB1442_14:                            ;   in Loop: Header=BB1442_6 Depth=1
	s_or_b32 exec_lo, exec_lo, s13
	; wave barrier
	s_wait_dscnt 0x0
	s_barrier_signal -1
	s_barrier_wait -1
	ds_load_2addr_b64 v[4:7], v21 offset0:4 offset1:5
	ds_load_2addr_b64 v[0:3], v21 offset0:6 offset1:7
	s_wait_dscnt 0x1
	v_add_nc_u32_e32 v39, v5, v4
	s_delay_alu instid0(VALU_DEP_1) | instskip(SKIP_1) | instid1(VALU_DEP_1)
	v_add3_u32 v39, v39, v6, v7
	s_wait_dscnt 0x0
	v_add3_u32 v39, v39, v0, v1
	s_delay_alu instid0(VALU_DEP_1) | instskip(NEXT) | instid1(VALU_DEP_1)
	v_add3_u32 v3, v39, v2, v3
	v_mov_b32_dpp v39, v3 row_shr:1 row_mask:0xf bank_mask:0xf
	s_delay_alu instid0(VALU_DEP_1) | instskip(NEXT) | instid1(VALU_DEP_1)
	v_cndmask_b32_e64 v39, v39, 0, s0
	v_add_nc_u32_e32 v3, v39, v3
	s_delay_alu instid0(VALU_DEP_1) | instskip(NEXT) | instid1(VALU_DEP_1)
	v_mov_b32_dpp v39, v3 row_shr:2 row_mask:0xf bank_mask:0xf
	v_cndmask_b32_e64 v39, 0, v39, s1
	s_delay_alu instid0(VALU_DEP_1) | instskip(NEXT) | instid1(VALU_DEP_1)
	v_add_nc_u32_e32 v3, v3, v39
	v_mov_b32_dpp v39, v3 row_shr:4 row_mask:0xf bank_mask:0xf
	s_delay_alu instid0(VALU_DEP_1) | instskip(NEXT) | instid1(VALU_DEP_1)
	v_cndmask_b32_e64 v39, 0, v39, s3
	v_add_nc_u32_e32 v3, v3, v39
	s_delay_alu instid0(VALU_DEP_1) | instskip(NEXT) | instid1(VALU_DEP_1)
	v_mov_b32_dpp v39, v3 row_shr:8 row_mask:0xf bank_mask:0xf
	v_cndmask_b32_e64 v39, 0, v39, s4
	s_delay_alu instid0(VALU_DEP_1) | instskip(SKIP_3) | instid1(VALU_DEP_1)
	v_add_nc_u32_e32 v3, v3, v39
	ds_swizzle_b32 v39, v3 offset:swizzle(BROADCAST,32,15)
	s_wait_dscnt 0x0
	v_cndmask_b32_e64 v39, v39, 0, s5
	v_add_nc_u32_e32 v3, v3, v39
	s_and_saveexec_b32 s13, s6
; %bb.15:                               ;   in Loop: Header=BB1442_6 Depth=1
	ds_store_b32 v24, v3
; %bb.16:                               ;   in Loop: Header=BB1442_6 Depth=1
	s_or_b32 exec_lo, exec_lo, s13
	s_wait_dscnt 0x0
	s_barrier_signal -1
	s_barrier_wait -1
	s_and_saveexec_b32 s13, s7
	s_cbranch_execz .LBB1442_18
; %bb.17:                               ;   in Loop: Header=BB1442_6 Depth=1
	ds_load_b32 v39, v27
	s_wait_dscnt 0x0
	v_mov_b32_dpp v40, v39 row_shr:1 row_mask:0xf bank_mask:0xf
	s_delay_alu instid0(VALU_DEP_1) | instskip(NEXT) | instid1(VALU_DEP_1)
	v_cndmask_b32_e64 v40, v40, 0, s10
	v_add_nc_u32_e32 v39, v40, v39
	s_delay_alu instid0(VALU_DEP_1) | instskip(NEXT) | instid1(VALU_DEP_1)
	v_mov_b32_dpp v40, v39 row_shr:2 row_mask:0xf bank_mask:0xf
	v_cndmask_b32_e64 v40, 0, v40, s11
	s_delay_alu instid0(VALU_DEP_1) | instskip(NEXT) | instid1(VALU_DEP_1)
	v_add_nc_u32_e32 v39, v39, v40
	v_mov_b32_dpp v40, v39 row_shr:4 row_mask:0xf bank_mask:0xf
	s_delay_alu instid0(VALU_DEP_1) | instskip(NEXT) | instid1(VALU_DEP_1)
	v_cndmask_b32_e64 v40, 0, v40, s12
	v_add_nc_u32_e32 v39, v39, v40
	ds_store_b32 v27, v39
.LBB1442_18:                            ;   in Loop: Header=BB1442_6 Depth=1
	s_or_b32 exec_lo, exec_lo, s13
	v_mov_b32_e32 v39, 0
	s_wait_dscnt 0x0
	s_barrier_signal -1
	s_barrier_wait -1
	s_and_saveexec_b32 s13, s8
; %bb.19:                               ;   in Loop: Header=BB1442_6 Depth=1
	ds_load_b32 v39, v25
; %bb.20:                               ;   in Loop: Header=BB1442_6 Depth=1
	s_or_b32 exec_lo, exec_lo, s13
	s_wait_dscnt 0x0
	v_add_nc_u32_e32 v3, v39, v3
	s_add_co_i32 s20, s20, 8
	s_mov_b32 s13, -1
	s_cmp_ge_u32 s20, s31
	ds_bpermute_b32 v3, v23, v3
	s_wait_dscnt 0x0
	v_cndmask_b32_e64 v3, v3, v39, s2
	s_delay_alu instid0(VALU_DEP_1) | instskip(NEXT) | instid1(VALU_DEP_1)
	v_cndmask_b32_e64 v40, v3, 0, s9
	v_add_nc_u32_e32 v41, v40, v4
	s_delay_alu instid0(VALU_DEP_1) | instskip(NEXT) | instid1(VALU_DEP_1)
	v_add_nc_u32_e32 v4, v41, v5
	v_add_nc_u32_e32 v5, v4, v6
	s_delay_alu instid0(VALU_DEP_1) | instskip(NEXT) | instid1(VALU_DEP_1)
	v_add_nc_u32_e32 v6, v5, v7
	;; [unrolled: 3-line block ×3, first 2 shown]
	v_add_nc_u32_e32 v1, v0, v2
	ds_store_2addr_b64 v21, v[40:41], v[4:5] offset0:4 offset1:5
	ds_store_2addr_b64 v21, v[6:7], v[0:1] offset0:6 offset1:7
	s_wait_dscnt 0x0
	s_barrier_signal -1
	s_barrier_wait -1
	ds_load_b32 v0, v31 offset:32
	ds_load_b32 v1, v35 offset:32
	;; [unrolled: 1-line block ×4, first 2 shown]
	v_lshlrev_b32_e32 v4, 3, v28
	v_dual_lshlrev_b32 v5, 3, v32 :: v_dual_lshlrev_b32 v6, 3, v30
	v_dual_lshlrev_b32 v7, 3, v34 :: v_dual_lshlrev_b32 v30, 3, v33
	;; [unrolled: 1-line block ×3, first 2 shown]
	s_wait_dscnt 0x0
	v_dual_lshlrev_b32 v0, 3, v0 :: v_dual_lshlrev_b32 v1, 3, v1
	v_lshlrev_b32_e32 v2, 3, v2
	v_lshl_add_u32 v28, v3, 3, v4
	s_delay_alu instid0(VALU_DEP_3) | instskip(NEXT) | instid1(VALU_DEP_4)
	v_add3_u32 v29, v5, v6, v0
	v_add3_u32 v30, v7, v30, v1
	s_delay_alu instid0(VALU_DEP_4)
	v_add3_u32 v31, v31, v32, v2
                                        ; implicit-def: $vgpr6_vgpr7
                                        ; implicit-def: $vgpr2_vgpr3
	s_cbranch_scc1 .LBB1442_5
; %bb.21:                               ;   in Loop: Header=BB1442_6 Depth=1
	s_barrier_signal -1
	s_barrier_wait -1
	ds_store_b64 v28, v[12:13]
	ds_store_b64 v29, v[18:19]
	;; [unrolled: 1-line block ×4, first 2 shown]
	s_wait_dscnt 0x0
	s_barrier_signal -1
	s_barrier_wait -1
	ds_load_2addr_b64 v[0:3], v26 offset1:32
	ds_load_2addr_b64 v[4:7], v26 offset0:64 offset1:96
	s_add_co_i32 s21, s21, -8
	s_mov_b32 s13, 0
	s_wait_dscnt 0x0
	s_barrier_signal -1
	s_barrier_wait -1
	s_branch .LBB1442_5
.LBB1442_22:
	v_dual_mov_b32 v5, 0 :: v_dual_lshlrev_b32 v4, 3, v20
	s_barrier_signal -1
	s_barrier_wait -1
	ds_store_b64 v28, v[12:13]
	ds_store_b64 v29, v[18:19]
	;; [unrolled: 1-line block ×4, first 2 shown]
	s_wait_dscnt 0x0
	s_barrier_signal -1
	s_barrier_wait -1
	ds_load_2addr_stride64_b64 v[8:11], v4 offset1:4
	ds_load_2addr_stride64_b64 v[0:3], v4 offset0:8 offset1:12
	s_add_nc_u64 s[0:1], s[22:23], s[24:25]
	s_delay_alu instid0(SALU_CYCLE_1)
	v_add_nc_u64_e32 v[4:5], s[0:1], v[4:5]
	s_mov_b32 s0, 0
	s_mov_b32 s1, -1
	s_wait_dscnt 0x1
	v_cmp_gt_i64_e32 vcc_lo, 0, v[8:9]
	v_dual_ashrrev_i32 v7, 31, v9 :: v_dual_ashrrev_i32 v13, 31, v11
	s_delay_alu instid0(VALU_DEP_1) | instskip(SKIP_2) | instid1(VALU_DEP_3)
	v_not_b32_e32 v16, v7
	v_cndmask_b32_e64 v6, 0x7fffffff, 0, vcc_lo
	v_cmp_gt_i64_e32 vcc_lo, 0, v[10:11]
	v_xor_b32_e32 v8, v16, v8
	s_delay_alu instid0(VALU_DEP_3) | instskip(SKIP_4) | instid1(VALU_DEP_3)
	v_xor_b32_e32 v9, v6, v9
	v_not_b32_e32 v6, v13
	v_cndmask_b32_e64 v12, 0x7fffffff, 0, vcc_lo
	s_wait_dscnt 0x0
	v_cmp_gt_i64_e32 vcc_lo, 0, v[0:1]
	v_dual_ashrrev_i32 v14, 31, v1 :: v_dual_bitop2_b32 v6, v6, v10 bitop3:0x14
	s_delay_alu instid0(VALU_DEP_3) | instskip(NEXT) | instid1(VALU_DEP_2)
	v_xor_b32_e32 v7, v12, v11
	v_not_b32_e32 v13, v14
	v_cndmask_b32_e64 v15, 0x7fffffff, 0, vcc_lo
	s_and_not1_b32 vcc_lo, exec_lo, s29
	s_delay_alu instid0(VALU_DEP_2) | instskip(NEXT) | instid1(VALU_DEP_2)
	v_xor_b32_e32 v0, v13, v0
	v_xor_b32_e32 v1, v15, v1
	s_cbranch_vccz .LBB1442_34
; %bb.23:
	s_and_not1_b32 vcc_lo, exec_lo, s1
	s_cbranch_vccz .LBB1442_35
.LBB1442_24:
	s_wait_xcnt 0x0
	s_and_saveexec_b32 s1, s0
	s_cbranch_execnz .LBB1442_42
.LBB1442_25:
	s_endpgm
.LBB1442_26:
	s_clause 0x2
	global_load_b64 v[2:3], v[12:13], off
	global_load_b64 v[4:5], v[12:13], off offset:256
	global_load_b64 v[6:7], v[12:13], off offset:512
	s_mov_b32 s3, -1
	s_load_b64 s[20:21], s[0:1], 0x28
	s_sub_co_i32 s28, s4, s2
	s_cbranch_execnz .LBB1442_2
.LBB1442_27:
	s_wait_loadcnt 0x2
	v_dual_mov_b32 v2, -1 :: v_dual_bitop2_b32 v1, v14, v1 bitop3:0x54
	s_mov_b32 s2, exec_lo
	s_wait_loadcnt 0x1
	s_delay_alu instid0(VALU_DEP_1)
	v_dual_mov_b32 v3, v2 :: v_dual_mov_b32 v4, v2
	s_wait_loadcnt 0x0
	v_dual_mov_b32 v5, v2 :: v_dual_mov_b32 v6, v2
	v_dual_mov_b32 v7, v2 :: v_dual_mov_b32 v8, v2
	v_mov_b32_e32 v9, v2
	v_cmpx_gt_u32_e64 s28, v1
	s_cbranch_execz .LBB1442_29
; %bb.28:
	global_load_b64 v[22:23], v[12:13], off
	v_dual_mov_b32 v24, v2 :: v_dual_mov_b32 v25, v2
	v_dual_mov_b32 v26, v2 :: v_dual_mov_b32 v27, v2
	;; [unrolled: 1-line block ×3, first 2 shown]
	s_wait_loadcnt 0x0
	v_mov_b64_e32 v[2:3], v[22:23]
	v_mov_b64_e32 v[4:5], v[24:25]
	;; [unrolled: 1-line block ×4, first 2 shown]
.LBB1442_29:
	s_or_b32 exec_lo, exec_lo, s2
	v_or_b32_e32 v11, 32, v1
	s_mov_b32 s2, exec_lo
	s_delay_alu instid0(VALU_DEP_1)
	v_cmpx_gt_u32_e64 s28, v11
	s_cbranch_execz .LBB1442_31
; %bb.30:
	global_load_b64 v[4:5], v[12:13], off offset:256
.LBB1442_31:
	s_wait_xcnt 0x0
	s_or_b32 exec_lo, exec_lo, s2
	v_or_b32_e32 v11, 64, v1
	s_mov_b32 s2, exec_lo
	s_delay_alu instid0(VALU_DEP_1)
	v_cmpx_gt_u32_e64 s28, v11
	s_cbranch_execz .LBB1442_33
; %bb.32:
	global_load_b64 v[6:7], v[12:13], off offset:512
.LBB1442_33:
	s_wait_xcnt 0x0
	s_or_b32 exec_lo, exec_lo, s2
	v_or_b32_e32 v1, 0x60, v1
	s_delay_alu instid0(VALU_DEP_1)
	v_cmp_gt_u32_e64 s3, s28, v1
	s_and_saveexec_b32 s2, s3
	s_cbranch_execnz .LBB1442_3
	s_branch .LBB1442_4
.LBB1442_34:
	s_mov_b32 s0, -1
	s_clause 0x2
	global_store_b64 v[4:5], v[8:9], off
	global_store_b64 v[4:5], v[6:7], off offset:2048
	global_store_b64 v[4:5], v[0:1], off offset:4096
	s_cbranch_execnz .LBB1442_24
.LBB1442_35:
	s_mov_b32 s0, exec_lo
	s_wait_xcnt 0x0
	v_cmpx_gt_u32_e64 s28, v20
	s_cbranch_execz .LBB1442_37
; %bb.36:
	global_store_b64 v[4:5], v[8:9], off
.LBB1442_37:
	s_wait_xcnt 0x0
	s_or_b32 exec_lo, exec_lo, s0
	v_add_nc_u32_e32 v8, 0x100, v20
	s_mov_b32 s0, exec_lo
	s_delay_alu instid0(VALU_DEP_1)
	v_cmpx_gt_u32_e64 s28, v8
	s_cbranch_execz .LBB1442_39
; %bb.38:
	global_store_b64 v[4:5], v[6:7], off offset:2048
.LBB1442_39:
	s_wait_xcnt 0x0
	s_or_b32 exec_lo, exec_lo, s0
	v_add_nc_u32_e32 v6, 0x200, v20
	s_mov_b32 s0, exec_lo
	s_delay_alu instid0(VALU_DEP_1)
	v_cmpx_gt_u32_e64 s28, v6
	s_cbranch_execz .LBB1442_41
; %bb.40:
	global_store_b64 v[4:5], v[0:1], off offset:4096
.LBB1442_41:
	s_wait_xcnt 0x0
	s_or_b32 exec_lo, exec_lo, s0
	v_add_nc_u32_e32 v0, 0x300, v20
	s_delay_alu instid0(VALU_DEP_1)
	v_cmp_gt_u32_e64 s0, s28, v0
	s_and_saveexec_b32 s1, s0
	s_cbranch_execz .LBB1442_25
.LBB1442_42:
	v_cmp_gt_i64_e32 vcc_lo, 0, v[2:3]
	v_cndmask_b32_e64 v1, 0x7fffffff, 0, vcc_lo
	s_delay_alu instid0(VALU_DEP_1) | instskip(NEXT) | instid1(VALU_DEP_1)
	v_dual_ashrrev_i32 v0, 31, v3 :: v_dual_bitop2_b32 v1, v1, v3 bitop3:0x14
	v_not_b32_e32 v0, v0
	s_delay_alu instid0(VALU_DEP_1)
	v_xor_b32_e32 v0, v0, v2
	global_store_b64 v[4:5], v[0:1], off offset:6144
	s_endpgm
	.section	.rodata,"a",@progbits
	.p2align	6, 0x0
	.amdhsa_kernel _ZN7rocprim17ROCPRIM_400000_NS6detail17trampoline_kernelINS0_13kernel_configILj256ELj4ELj4294967295EEENS1_37radix_sort_block_sort_config_selectorIdNS0_10empty_typeEEEZNS1_21radix_sort_block_sortIS4_Lb1EPKdPdPS6_SC_NS0_19identity_decomposerEEE10hipError_tT1_T2_T3_T4_jRjT5_jjP12ihipStream_tbEUlT_E_NS1_11comp_targetILNS1_3genE0ELNS1_11target_archE4294967295ELNS1_3gpuE0ELNS1_3repE0EEENS1_44radix_sort_block_sort_config_static_selectorELNS0_4arch9wavefront6targetE0EEEvSF_
		.amdhsa_group_segment_fixed_size 8224
		.amdhsa_private_segment_fixed_size 0
		.amdhsa_kernarg_size 304
		.amdhsa_user_sgpr_count 2
		.amdhsa_user_sgpr_dispatch_ptr 0
		.amdhsa_user_sgpr_queue_ptr 0
		.amdhsa_user_sgpr_kernarg_segment_ptr 1
		.amdhsa_user_sgpr_dispatch_id 0
		.amdhsa_user_sgpr_kernarg_preload_length 0
		.amdhsa_user_sgpr_kernarg_preload_offset 0
		.amdhsa_user_sgpr_private_segment_size 0
		.amdhsa_wavefront_size32 1
		.amdhsa_uses_dynamic_stack 0
		.amdhsa_enable_private_segment 0
		.amdhsa_system_sgpr_workgroup_id_x 1
		.amdhsa_system_sgpr_workgroup_id_y 0
		.amdhsa_system_sgpr_workgroup_id_z 0
		.amdhsa_system_sgpr_workgroup_info 0
		.amdhsa_system_vgpr_workitem_id 2
		.amdhsa_next_free_vgpr 42
		.amdhsa_next_free_sgpr 34
		.amdhsa_named_barrier_count 0
		.amdhsa_reserve_vcc 1
		.amdhsa_float_round_mode_32 0
		.amdhsa_float_round_mode_16_64 0
		.amdhsa_float_denorm_mode_32 3
		.amdhsa_float_denorm_mode_16_64 3
		.amdhsa_fp16_overflow 0
		.amdhsa_memory_ordered 1
		.amdhsa_forward_progress 1
		.amdhsa_inst_pref_size 31
		.amdhsa_round_robin_scheduling 0
		.amdhsa_exception_fp_ieee_invalid_op 0
		.amdhsa_exception_fp_denorm_src 0
		.amdhsa_exception_fp_ieee_div_zero 0
		.amdhsa_exception_fp_ieee_overflow 0
		.amdhsa_exception_fp_ieee_underflow 0
		.amdhsa_exception_fp_ieee_inexact 0
		.amdhsa_exception_int_div_zero 0
	.end_amdhsa_kernel
	.section	.text._ZN7rocprim17ROCPRIM_400000_NS6detail17trampoline_kernelINS0_13kernel_configILj256ELj4ELj4294967295EEENS1_37radix_sort_block_sort_config_selectorIdNS0_10empty_typeEEEZNS1_21radix_sort_block_sortIS4_Lb1EPKdPdPS6_SC_NS0_19identity_decomposerEEE10hipError_tT1_T2_T3_T4_jRjT5_jjP12ihipStream_tbEUlT_E_NS1_11comp_targetILNS1_3genE0ELNS1_11target_archE4294967295ELNS1_3gpuE0ELNS1_3repE0EEENS1_44radix_sort_block_sort_config_static_selectorELNS0_4arch9wavefront6targetE0EEEvSF_,"axG",@progbits,_ZN7rocprim17ROCPRIM_400000_NS6detail17trampoline_kernelINS0_13kernel_configILj256ELj4ELj4294967295EEENS1_37radix_sort_block_sort_config_selectorIdNS0_10empty_typeEEEZNS1_21radix_sort_block_sortIS4_Lb1EPKdPdPS6_SC_NS0_19identity_decomposerEEE10hipError_tT1_T2_T3_T4_jRjT5_jjP12ihipStream_tbEUlT_E_NS1_11comp_targetILNS1_3genE0ELNS1_11target_archE4294967295ELNS1_3gpuE0ELNS1_3repE0EEENS1_44radix_sort_block_sort_config_static_selectorELNS0_4arch9wavefront6targetE0EEEvSF_,comdat
.Lfunc_end1442:
	.size	_ZN7rocprim17ROCPRIM_400000_NS6detail17trampoline_kernelINS0_13kernel_configILj256ELj4ELj4294967295EEENS1_37radix_sort_block_sort_config_selectorIdNS0_10empty_typeEEEZNS1_21radix_sort_block_sortIS4_Lb1EPKdPdPS6_SC_NS0_19identity_decomposerEEE10hipError_tT1_T2_T3_T4_jRjT5_jjP12ihipStream_tbEUlT_E_NS1_11comp_targetILNS1_3genE0ELNS1_11target_archE4294967295ELNS1_3gpuE0ELNS1_3repE0EEENS1_44radix_sort_block_sort_config_static_selectorELNS0_4arch9wavefront6targetE0EEEvSF_, .Lfunc_end1442-_ZN7rocprim17ROCPRIM_400000_NS6detail17trampoline_kernelINS0_13kernel_configILj256ELj4ELj4294967295EEENS1_37radix_sort_block_sort_config_selectorIdNS0_10empty_typeEEEZNS1_21radix_sort_block_sortIS4_Lb1EPKdPdPS6_SC_NS0_19identity_decomposerEEE10hipError_tT1_T2_T3_T4_jRjT5_jjP12ihipStream_tbEUlT_E_NS1_11comp_targetILNS1_3genE0ELNS1_11target_archE4294967295ELNS1_3gpuE0ELNS1_3repE0EEENS1_44radix_sort_block_sort_config_static_selectorELNS0_4arch9wavefront6targetE0EEEvSF_
                                        ; -- End function
	.set _ZN7rocprim17ROCPRIM_400000_NS6detail17trampoline_kernelINS0_13kernel_configILj256ELj4ELj4294967295EEENS1_37radix_sort_block_sort_config_selectorIdNS0_10empty_typeEEEZNS1_21radix_sort_block_sortIS4_Lb1EPKdPdPS6_SC_NS0_19identity_decomposerEEE10hipError_tT1_T2_T3_T4_jRjT5_jjP12ihipStream_tbEUlT_E_NS1_11comp_targetILNS1_3genE0ELNS1_11target_archE4294967295ELNS1_3gpuE0ELNS1_3repE0EEENS1_44radix_sort_block_sort_config_static_selectorELNS0_4arch9wavefront6targetE0EEEvSF_.num_vgpr, 42
	.set _ZN7rocprim17ROCPRIM_400000_NS6detail17trampoline_kernelINS0_13kernel_configILj256ELj4ELj4294967295EEENS1_37radix_sort_block_sort_config_selectorIdNS0_10empty_typeEEEZNS1_21radix_sort_block_sortIS4_Lb1EPKdPdPS6_SC_NS0_19identity_decomposerEEE10hipError_tT1_T2_T3_T4_jRjT5_jjP12ihipStream_tbEUlT_E_NS1_11comp_targetILNS1_3genE0ELNS1_11target_archE4294967295ELNS1_3gpuE0ELNS1_3repE0EEENS1_44radix_sort_block_sort_config_static_selectorELNS0_4arch9wavefront6targetE0EEEvSF_.num_agpr, 0
	.set _ZN7rocprim17ROCPRIM_400000_NS6detail17trampoline_kernelINS0_13kernel_configILj256ELj4ELj4294967295EEENS1_37radix_sort_block_sort_config_selectorIdNS0_10empty_typeEEEZNS1_21radix_sort_block_sortIS4_Lb1EPKdPdPS6_SC_NS0_19identity_decomposerEEE10hipError_tT1_T2_T3_T4_jRjT5_jjP12ihipStream_tbEUlT_E_NS1_11comp_targetILNS1_3genE0ELNS1_11target_archE4294967295ELNS1_3gpuE0ELNS1_3repE0EEENS1_44radix_sort_block_sort_config_static_selectorELNS0_4arch9wavefront6targetE0EEEvSF_.numbered_sgpr, 34
	.set _ZN7rocprim17ROCPRIM_400000_NS6detail17trampoline_kernelINS0_13kernel_configILj256ELj4ELj4294967295EEENS1_37radix_sort_block_sort_config_selectorIdNS0_10empty_typeEEEZNS1_21radix_sort_block_sortIS4_Lb1EPKdPdPS6_SC_NS0_19identity_decomposerEEE10hipError_tT1_T2_T3_T4_jRjT5_jjP12ihipStream_tbEUlT_E_NS1_11comp_targetILNS1_3genE0ELNS1_11target_archE4294967295ELNS1_3gpuE0ELNS1_3repE0EEENS1_44radix_sort_block_sort_config_static_selectorELNS0_4arch9wavefront6targetE0EEEvSF_.num_named_barrier, 0
	.set _ZN7rocprim17ROCPRIM_400000_NS6detail17trampoline_kernelINS0_13kernel_configILj256ELj4ELj4294967295EEENS1_37radix_sort_block_sort_config_selectorIdNS0_10empty_typeEEEZNS1_21radix_sort_block_sortIS4_Lb1EPKdPdPS6_SC_NS0_19identity_decomposerEEE10hipError_tT1_T2_T3_T4_jRjT5_jjP12ihipStream_tbEUlT_E_NS1_11comp_targetILNS1_3genE0ELNS1_11target_archE4294967295ELNS1_3gpuE0ELNS1_3repE0EEENS1_44radix_sort_block_sort_config_static_selectorELNS0_4arch9wavefront6targetE0EEEvSF_.private_seg_size, 0
	.set _ZN7rocprim17ROCPRIM_400000_NS6detail17trampoline_kernelINS0_13kernel_configILj256ELj4ELj4294967295EEENS1_37radix_sort_block_sort_config_selectorIdNS0_10empty_typeEEEZNS1_21radix_sort_block_sortIS4_Lb1EPKdPdPS6_SC_NS0_19identity_decomposerEEE10hipError_tT1_T2_T3_T4_jRjT5_jjP12ihipStream_tbEUlT_E_NS1_11comp_targetILNS1_3genE0ELNS1_11target_archE4294967295ELNS1_3gpuE0ELNS1_3repE0EEENS1_44radix_sort_block_sort_config_static_selectorELNS0_4arch9wavefront6targetE0EEEvSF_.uses_vcc, 1
	.set _ZN7rocprim17ROCPRIM_400000_NS6detail17trampoline_kernelINS0_13kernel_configILj256ELj4ELj4294967295EEENS1_37radix_sort_block_sort_config_selectorIdNS0_10empty_typeEEEZNS1_21radix_sort_block_sortIS4_Lb1EPKdPdPS6_SC_NS0_19identity_decomposerEEE10hipError_tT1_T2_T3_T4_jRjT5_jjP12ihipStream_tbEUlT_E_NS1_11comp_targetILNS1_3genE0ELNS1_11target_archE4294967295ELNS1_3gpuE0ELNS1_3repE0EEENS1_44radix_sort_block_sort_config_static_selectorELNS0_4arch9wavefront6targetE0EEEvSF_.uses_flat_scratch, 0
	.set _ZN7rocprim17ROCPRIM_400000_NS6detail17trampoline_kernelINS0_13kernel_configILj256ELj4ELj4294967295EEENS1_37radix_sort_block_sort_config_selectorIdNS0_10empty_typeEEEZNS1_21radix_sort_block_sortIS4_Lb1EPKdPdPS6_SC_NS0_19identity_decomposerEEE10hipError_tT1_T2_T3_T4_jRjT5_jjP12ihipStream_tbEUlT_E_NS1_11comp_targetILNS1_3genE0ELNS1_11target_archE4294967295ELNS1_3gpuE0ELNS1_3repE0EEENS1_44radix_sort_block_sort_config_static_selectorELNS0_4arch9wavefront6targetE0EEEvSF_.has_dyn_sized_stack, 0
	.set _ZN7rocprim17ROCPRIM_400000_NS6detail17trampoline_kernelINS0_13kernel_configILj256ELj4ELj4294967295EEENS1_37radix_sort_block_sort_config_selectorIdNS0_10empty_typeEEEZNS1_21radix_sort_block_sortIS4_Lb1EPKdPdPS6_SC_NS0_19identity_decomposerEEE10hipError_tT1_T2_T3_T4_jRjT5_jjP12ihipStream_tbEUlT_E_NS1_11comp_targetILNS1_3genE0ELNS1_11target_archE4294967295ELNS1_3gpuE0ELNS1_3repE0EEENS1_44radix_sort_block_sort_config_static_selectorELNS0_4arch9wavefront6targetE0EEEvSF_.has_recursion, 0
	.set _ZN7rocprim17ROCPRIM_400000_NS6detail17trampoline_kernelINS0_13kernel_configILj256ELj4ELj4294967295EEENS1_37radix_sort_block_sort_config_selectorIdNS0_10empty_typeEEEZNS1_21radix_sort_block_sortIS4_Lb1EPKdPdPS6_SC_NS0_19identity_decomposerEEE10hipError_tT1_T2_T3_T4_jRjT5_jjP12ihipStream_tbEUlT_E_NS1_11comp_targetILNS1_3genE0ELNS1_11target_archE4294967295ELNS1_3gpuE0ELNS1_3repE0EEENS1_44radix_sort_block_sort_config_static_selectorELNS0_4arch9wavefront6targetE0EEEvSF_.has_indirect_call, 0
	.section	.AMDGPU.csdata,"",@progbits
; Kernel info:
; codeLenInByte = 3880
; TotalNumSgprs: 36
; NumVgprs: 42
; ScratchSize: 0
; MemoryBound: 1
; FloatMode: 240
; IeeeMode: 1
; LDSByteSize: 8224 bytes/workgroup (compile time only)
; SGPRBlocks: 0
; VGPRBlocks: 2
; NumSGPRsForWavesPerEU: 36
; NumVGPRsForWavesPerEU: 42
; NamedBarCnt: 0
; Occupancy: 16
; WaveLimiterHint : 1
; COMPUTE_PGM_RSRC2:SCRATCH_EN: 0
; COMPUTE_PGM_RSRC2:USER_SGPR: 2
; COMPUTE_PGM_RSRC2:TRAP_HANDLER: 0
; COMPUTE_PGM_RSRC2:TGID_X_EN: 1
; COMPUTE_PGM_RSRC2:TGID_Y_EN: 0
; COMPUTE_PGM_RSRC2:TGID_Z_EN: 0
; COMPUTE_PGM_RSRC2:TIDIG_COMP_CNT: 2
	.section	.text._ZN7rocprim17ROCPRIM_400000_NS6detail17trampoline_kernelINS0_13kernel_configILj256ELj4ELj4294967295EEENS1_37radix_sort_block_sort_config_selectorIdNS0_10empty_typeEEEZNS1_21radix_sort_block_sortIS4_Lb1EPKdPdPS6_SC_NS0_19identity_decomposerEEE10hipError_tT1_T2_T3_T4_jRjT5_jjP12ihipStream_tbEUlT_E_NS1_11comp_targetILNS1_3genE5ELNS1_11target_archE942ELNS1_3gpuE9ELNS1_3repE0EEENS1_44radix_sort_block_sort_config_static_selectorELNS0_4arch9wavefront6targetE0EEEvSF_,"axG",@progbits,_ZN7rocprim17ROCPRIM_400000_NS6detail17trampoline_kernelINS0_13kernel_configILj256ELj4ELj4294967295EEENS1_37radix_sort_block_sort_config_selectorIdNS0_10empty_typeEEEZNS1_21radix_sort_block_sortIS4_Lb1EPKdPdPS6_SC_NS0_19identity_decomposerEEE10hipError_tT1_T2_T3_T4_jRjT5_jjP12ihipStream_tbEUlT_E_NS1_11comp_targetILNS1_3genE5ELNS1_11target_archE942ELNS1_3gpuE9ELNS1_3repE0EEENS1_44radix_sort_block_sort_config_static_selectorELNS0_4arch9wavefront6targetE0EEEvSF_,comdat
	.protected	_ZN7rocprim17ROCPRIM_400000_NS6detail17trampoline_kernelINS0_13kernel_configILj256ELj4ELj4294967295EEENS1_37radix_sort_block_sort_config_selectorIdNS0_10empty_typeEEEZNS1_21radix_sort_block_sortIS4_Lb1EPKdPdPS6_SC_NS0_19identity_decomposerEEE10hipError_tT1_T2_T3_T4_jRjT5_jjP12ihipStream_tbEUlT_E_NS1_11comp_targetILNS1_3genE5ELNS1_11target_archE942ELNS1_3gpuE9ELNS1_3repE0EEENS1_44radix_sort_block_sort_config_static_selectorELNS0_4arch9wavefront6targetE0EEEvSF_ ; -- Begin function _ZN7rocprim17ROCPRIM_400000_NS6detail17trampoline_kernelINS0_13kernel_configILj256ELj4ELj4294967295EEENS1_37radix_sort_block_sort_config_selectorIdNS0_10empty_typeEEEZNS1_21radix_sort_block_sortIS4_Lb1EPKdPdPS6_SC_NS0_19identity_decomposerEEE10hipError_tT1_T2_T3_T4_jRjT5_jjP12ihipStream_tbEUlT_E_NS1_11comp_targetILNS1_3genE5ELNS1_11target_archE942ELNS1_3gpuE9ELNS1_3repE0EEENS1_44radix_sort_block_sort_config_static_selectorELNS0_4arch9wavefront6targetE0EEEvSF_
	.globl	_ZN7rocprim17ROCPRIM_400000_NS6detail17trampoline_kernelINS0_13kernel_configILj256ELj4ELj4294967295EEENS1_37radix_sort_block_sort_config_selectorIdNS0_10empty_typeEEEZNS1_21radix_sort_block_sortIS4_Lb1EPKdPdPS6_SC_NS0_19identity_decomposerEEE10hipError_tT1_T2_T3_T4_jRjT5_jjP12ihipStream_tbEUlT_E_NS1_11comp_targetILNS1_3genE5ELNS1_11target_archE942ELNS1_3gpuE9ELNS1_3repE0EEENS1_44radix_sort_block_sort_config_static_selectorELNS0_4arch9wavefront6targetE0EEEvSF_
	.p2align	8
	.type	_ZN7rocprim17ROCPRIM_400000_NS6detail17trampoline_kernelINS0_13kernel_configILj256ELj4ELj4294967295EEENS1_37radix_sort_block_sort_config_selectorIdNS0_10empty_typeEEEZNS1_21radix_sort_block_sortIS4_Lb1EPKdPdPS6_SC_NS0_19identity_decomposerEEE10hipError_tT1_T2_T3_T4_jRjT5_jjP12ihipStream_tbEUlT_E_NS1_11comp_targetILNS1_3genE5ELNS1_11target_archE942ELNS1_3gpuE9ELNS1_3repE0EEENS1_44radix_sort_block_sort_config_static_selectorELNS0_4arch9wavefront6targetE0EEEvSF_,@function
_ZN7rocprim17ROCPRIM_400000_NS6detail17trampoline_kernelINS0_13kernel_configILj256ELj4ELj4294967295EEENS1_37radix_sort_block_sort_config_selectorIdNS0_10empty_typeEEEZNS1_21radix_sort_block_sortIS4_Lb1EPKdPdPS6_SC_NS0_19identity_decomposerEEE10hipError_tT1_T2_T3_T4_jRjT5_jjP12ihipStream_tbEUlT_E_NS1_11comp_targetILNS1_3genE5ELNS1_11target_archE942ELNS1_3gpuE9ELNS1_3repE0EEENS1_44radix_sort_block_sort_config_static_selectorELNS0_4arch9wavefront6targetE0EEEvSF_: ; @_ZN7rocprim17ROCPRIM_400000_NS6detail17trampoline_kernelINS0_13kernel_configILj256ELj4ELj4294967295EEENS1_37radix_sort_block_sort_config_selectorIdNS0_10empty_typeEEEZNS1_21radix_sort_block_sortIS4_Lb1EPKdPdPS6_SC_NS0_19identity_decomposerEEE10hipError_tT1_T2_T3_T4_jRjT5_jjP12ihipStream_tbEUlT_E_NS1_11comp_targetILNS1_3genE5ELNS1_11target_archE942ELNS1_3gpuE9ELNS1_3repE0EEENS1_44radix_sort_block_sort_config_static_selectorELNS0_4arch9wavefront6targetE0EEEvSF_
; %bb.0:
	.section	.rodata,"a",@progbits
	.p2align	6, 0x0
	.amdhsa_kernel _ZN7rocprim17ROCPRIM_400000_NS6detail17trampoline_kernelINS0_13kernel_configILj256ELj4ELj4294967295EEENS1_37radix_sort_block_sort_config_selectorIdNS0_10empty_typeEEEZNS1_21radix_sort_block_sortIS4_Lb1EPKdPdPS6_SC_NS0_19identity_decomposerEEE10hipError_tT1_T2_T3_T4_jRjT5_jjP12ihipStream_tbEUlT_E_NS1_11comp_targetILNS1_3genE5ELNS1_11target_archE942ELNS1_3gpuE9ELNS1_3repE0EEENS1_44radix_sort_block_sort_config_static_selectorELNS0_4arch9wavefront6targetE0EEEvSF_
		.amdhsa_group_segment_fixed_size 0
		.amdhsa_private_segment_fixed_size 0
		.amdhsa_kernarg_size 48
		.amdhsa_user_sgpr_count 2
		.amdhsa_user_sgpr_dispatch_ptr 0
		.amdhsa_user_sgpr_queue_ptr 0
		.amdhsa_user_sgpr_kernarg_segment_ptr 1
		.amdhsa_user_sgpr_dispatch_id 0
		.amdhsa_user_sgpr_kernarg_preload_length 0
		.amdhsa_user_sgpr_kernarg_preload_offset 0
		.amdhsa_user_sgpr_private_segment_size 0
		.amdhsa_wavefront_size32 1
		.amdhsa_uses_dynamic_stack 0
		.amdhsa_enable_private_segment 0
		.amdhsa_system_sgpr_workgroup_id_x 1
		.amdhsa_system_sgpr_workgroup_id_y 0
		.amdhsa_system_sgpr_workgroup_id_z 0
		.amdhsa_system_sgpr_workgroup_info 0
		.amdhsa_system_vgpr_workitem_id 0
		.amdhsa_next_free_vgpr 1
		.amdhsa_next_free_sgpr 1
		.amdhsa_named_barrier_count 0
		.amdhsa_reserve_vcc 0
		.amdhsa_float_round_mode_32 0
		.amdhsa_float_round_mode_16_64 0
		.amdhsa_float_denorm_mode_32 3
		.amdhsa_float_denorm_mode_16_64 3
		.amdhsa_fp16_overflow 0
		.amdhsa_memory_ordered 1
		.amdhsa_forward_progress 1
		.amdhsa_inst_pref_size 0
		.amdhsa_round_robin_scheduling 0
		.amdhsa_exception_fp_ieee_invalid_op 0
		.amdhsa_exception_fp_denorm_src 0
		.amdhsa_exception_fp_ieee_div_zero 0
		.amdhsa_exception_fp_ieee_overflow 0
		.amdhsa_exception_fp_ieee_underflow 0
		.amdhsa_exception_fp_ieee_inexact 0
		.amdhsa_exception_int_div_zero 0
	.end_amdhsa_kernel
	.section	.text._ZN7rocprim17ROCPRIM_400000_NS6detail17trampoline_kernelINS0_13kernel_configILj256ELj4ELj4294967295EEENS1_37radix_sort_block_sort_config_selectorIdNS0_10empty_typeEEEZNS1_21radix_sort_block_sortIS4_Lb1EPKdPdPS6_SC_NS0_19identity_decomposerEEE10hipError_tT1_T2_T3_T4_jRjT5_jjP12ihipStream_tbEUlT_E_NS1_11comp_targetILNS1_3genE5ELNS1_11target_archE942ELNS1_3gpuE9ELNS1_3repE0EEENS1_44radix_sort_block_sort_config_static_selectorELNS0_4arch9wavefront6targetE0EEEvSF_,"axG",@progbits,_ZN7rocprim17ROCPRIM_400000_NS6detail17trampoline_kernelINS0_13kernel_configILj256ELj4ELj4294967295EEENS1_37radix_sort_block_sort_config_selectorIdNS0_10empty_typeEEEZNS1_21radix_sort_block_sortIS4_Lb1EPKdPdPS6_SC_NS0_19identity_decomposerEEE10hipError_tT1_T2_T3_T4_jRjT5_jjP12ihipStream_tbEUlT_E_NS1_11comp_targetILNS1_3genE5ELNS1_11target_archE942ELNS1_3gpuE9ELNS1_3repE0EEENS1_44radix_sort_block_sort_config_static_selectorELNS0_4arch9wavefront6targetE0EEEvSF_,comdat
.Lfunc_end1443:
	.size	_ZN7rocprim17ROCPRIM_400000_NS6detail17trampoline_kernelINS0_13kernel_configILj256ELj4ELj4294967295EEENS1_37radix_sort_block_sort_config_selectorIdNS0_10empty_typeEEEZNS1_21radix_sort_block_sortIS4_Lb1EPKdPdPS6_SC_NS0_19identity_decomposerEEE10hipError_tT1_T2_T3_T4_jRjT5_jjP12ihipStream_tbEUlT_E_NS1_11comp_targetILNS1_3genE5ELNS1_11target_archE942ELNS1_3gpuE9ELNS1_3repE0EEENS1_44radix_sort_block_sort_config_static_selectorELNS0_4arch9wavefront6targetE0EEEvSF_, .Lfunc_end1443-_ZN7rocprim17ROCPRIM_400000_NS6detail17trampoline_kernelINS0_13kernel_configILj256ELj4ELj4294967295EEENS1_37radix_sort_block_sort_config_selectorIdNS0_10empty_typeEEEZNS1_21radix_sort_block_sortIS4_Lb1EPKdPdPS6_SC_NS0_19identity_decomposerEEE10hipError_tT1_T2_T3_T4_jRjT5_jjP12ihipStream_tbEUlT_E_NS1_11comp_targetILNS1_3genE5ELNS1_11target_archE942ELNS1_3gpuE9ELNS1_3repE0EEENS1_44radix_sort_block_sort_config_static_selectorELNS0_4arch9wavefront6targetE0EEEvSF_
                                        ; -- End function
	.set _ZN7rocprim17ROCPRIM_400000_NS6detail17trampoline_kernelINS0_13kernel_configILj256ELj4ELj4294967295EEENS1_37radix_sort_block_sort_config_selectorIdNS0_10empty_typeEEEZNS1_21radix_sort_block_sortIS4_Lb1EPKdPdPS6_SC_NS0_19identity_decomposerEEE10hipError_tT1_T2_T3_T4_jRjT5_jjP12ihipStream_tbEUlT_E_NS1_11comp_targetILNS1_3genE5ELNS1_11target_archE942ELNS1_3gpuE9ELNS1_3repE0EEENS1_44radix_sort_block_sort_config_static_selectorELNS0_4arch9wavefront6targetE0EEEvSF_.num_vgpr, 0
	.set _ZN7rocprim17ROCPRIM_400000_NS6detail17trampoline_kernelINS0_13kernel_configILj256ELj4ELj4294967295EEENS1_37radix_sort_block_sort_config_selectorIdNS0_10empty_typeEEEZNS1_21radix_sort_block_sortIS4_Lb1EPKdPdPS6_SC_NS0_19identity_decomposerEEE10hipError_tT1_T2_T3_T4_jRjT5_jjP12ihipStream_tbEUlT_E_NS1_11comp_targetILNS1_3genE5ELNS1_11target_archE942ELNS1_3gpuE9ELNS1_3repE0EEENS1_44radix_sort_block_sort_config_static_selectorELNS0_4arch9wavefront6targetE0EEEvSF_.num_agpr, 0
	.set _ZN7rocprim17ROCPRIM_400000_NS6detail17trampoline_kernelINS0_13kernel_configILj256ELj4ELj4294967295EEENS1_37radix_sort_block_sort_config_selectorIdNS0_10empty_typeEEEZNS1_21radix_sort_block_sortIS4_Lb1EPKdPdPS6_SC_NS0_19identity_decomposerEEE10hipError_tT1_T2_T3_T4_jRjT5_jjP12ihipStream_tbEUlT_E_NS1_11comp_targetILNS1_3genE5ELNS1_11target_archE942ELNS1_3gpuE9ELNS1_3repE0EEENS1_44radix_sort_block_sort_config_static_selectorELNS0_4arch9wavefront6targetE0EEEvSF_.numbered_sgpr, 0
	.set _ZN7rocprim17ROCPRIM_400000_NS6detail17trampoline_kernelINS0_13kernel_configILj256ELj4ELj4294967295EEENS1_37radix_sort_block_sort_config_selectorIdNS0_10empty_typeEEEZNS1_21radix_sort_block_sortIS4_Lb1EPKdPdPS6_SC_NS0_19identity_decomposerEEE10hipError_tT1_T2_T3_T4_jRjT5_jjP12ihipStream_tbEUlT_E_NS1_11comp_targetILNS1_3genE5ELNS1_11target_archE942ELNS1_3gpuE9ELNS1_3repE0EEENS1_44radix_sort_block_sort_config_static_selectorELNS0_4arch9wavefront6targetE0EEEvSF_.num_named_barrier, 0
	.set _ZN7rocprim17ROCPRIM_400000_NS6detail17trampoline_kernelINS0_13kernel_configILj256ELj4ELj4294967295EEENS1_37radix_sort_block_sort_config_selectorIdNS0_10empty_typeEEEZNS1_21radix_sort_block_sortIS4_Lb1EPKdPdPS6_SC_NS0_19identity_decomposerEEE10hipError_tT1_T2_T3_T4_jRjT5_jjP12ihipStream_tbEUlT_E_NS1_11comp_targetILNS1_3genE5ELNS1_11target_archE942ELNS1_3gpuE9ELNS1_3repE0EEENS1_44radix_sort_block_sort_config_static_selectorELNS0_4arch9wavefront6targetE0EEEvSF_.private_seg_size, 0
	.set _ZN7rocprim17ROCPRIM_400000_NS6detail17trampoline_kernelINS0_13kernel_configILj256ELj4ELj4294967295EEENS1_37radix_sort_block_sort_config_selectorIdNS0_10empty_typeEEEZNS1_21radix_sort_block_sortIS4_Lb1EPKdPdPS6_SC_NS0_19identity_decomposerEEE10hipError_tT1_T2_T3_T4_jRjT5_jjP12ihipStream_tbEUlT_E_NS1_11comp_targetILNS1_3genE5ELNS1_11target_archE942ELNS1_3gpuE9ELNS1_3repE0EEENS1_44radix_sort_block_sort_config_static_selectorELNS0_4arch9wavefront6targetE0EEEvSF_.uses_vcc, 0
	.set _ZN7rocprim17ROCPRIM_400000_NS6detail17trampoline_kernelINS0_13kernel_configILj256ELj4ELj4294967295EEENS1_37radix_sort_block_sort_config_selectorIdNS0_10empty_typeEEEZNS1_21radix_sort_block_sortIS4_Lb1EPKdPdPS6_SC_NS0_19identity_decomposerEEE10hipError_tT1_T2_T3_T4_jRjT5_jjP12ihipStream_tbEUlT_E_NS1_11comp_targetILNS1_3genE5ELNS1_11target_archE942ELNS1_3gpuE9ELNS1_3repE0EEENS1_44radix_sort_block_sort_config_static_selectorELNS0_4arch9wavefront6targetE0EEEvSF_.uses_flat_scratch, 0
	.set _ZN7rocprim17ROCPRIM_400000_NS6detail17trampoline_kernelINS0_13kernel_configILj256ELj4ELj4294967295EEENS1_37radix_sort_block_sort_config_selectorIdNS0_10empty_typeEEEZNS1_21radix_sort_block_sortIS4_Lb1EPKdPdPS6_SC_NS0_19identity_decomposerEEE10hipError_tT1_T2_T3_T4_jRjT5_jjP12ihipStream_tbEUlT_E_NS1_11comp_targetILNS1_3genE5ELNS1_11target_archE942ELNS1_3gpuE9ELNS1_3repE0EEENS1_44radix_sort_block_sort_config_static_selectorELNS0_4arch9wavefront6targetE0EEEvSF_.has_dyn_sized_stack, 0
	.set _ZN7rocprim17ROCPRIM_400000_NS6detail17trampoline_kernelINS0_13kernel_configILj256ELj4ELj4294967295EEENS1_37radix_sort_block_sort_config_selectorIdNS0_10empty_typeEEEZNS1_21radix_sort_block_sortIS4_Lb1EPKdPdPS6_SC_NS0_19identity_decomposerEEE10hipError_tT1_T2_T3_T4_jRjT5_jjP12ihipStream_tbEUlT_E_NS1_11comp_targetILNS1_3genE5ELNS1_11target_archE942ELNS1_3gpuE9ELNS1_3repE0EEENS1_44radix_sort_block_sort_config_static_selectorELNS0_4arch9wavefront6targetE0EEEvSF_.has_recursion, 0
	.set _ZN7rocprim17ROCPRIM_400000_NS6detail17trampoline_kernelINS0_13kernel_configILj256ELj4ELj4294967295EEENS1_37radix_sort_block_sort_config_selectorIdNS0_10empty_typeEEEZNS1_21radix_sort_block_sortIS4_Lb1EPKdPdPS6_SC_NS0_19identity_decomposerEEE10hipError_tT1_T2_T3_T4_jRjT5_jjP12ihipStream_tbEUlT_E_NS1_11comp_targetILNS1_3genE5ELNS1_11target_archE942ELNS1_3gpuE9ELNS1_3repE0EEENS1_44radix_sort_block_sort_config_static_selectorELNS0_4arch9wavefront6targetE0EEEvSF_.has_indirect_call, 0
	.section	.AMDGPU.csdata,"",@progbits
; Kernel info:
; codeLenInByte = 0
; TotalNumSgprs: 0
; NumVgprs: 0
; ScratchSize: 0
; MemoryBound: 0
; FloatMode: 240
; IeeeMode: 1
; LDSByteSize: 0 bytes/workgroup (compile time only)
; SGPRBlocks: 0
; VGPRBlocks: 0
; NumSGPRsForWavesPerEU: 1
; NumVGPRsForWavesPerEU: 1
; NamedBarCnt: 0
; Occupancy: 16
; WaveLimiterHint : 0
; COMPUTE_PGM_RSRC2:SCRATCH_EN: 0
; COMPUTE_PGM_RSRC2:USER_SGPR: 2
; COMPUTE_PGM_RSRC2:TRAP_HANDLER: 0
; COMPUTE_PGM_RSRC2:TGID_X_EN: 1
; COMPUTE_PGM_RSRC2:TGID_Y_EN: 0
; COMPUTE_PGM_RSRC2:TGID_Z_EN: 0
; COMPUTE_PGM_RSRC2:TIDIG_COMP_CNT: 0
	.section	.text._ZN7rocprim17ROCPRIM_400000_NS6detail17trampoline_kernelINS0_13kernel_configILj256ELj4ELj4294967295EEENS1_37radix_sort_block_sort_config_selectorIdNS0_10empty_typeEEEZNS1_21radix_sort_block_sortIS4_Lb1EPKdPdPS6_SC_NS0_19identity_decomposerEEE10hipError_tT1_T2_T3_T4_jRjT5_jjP12ihipStream_tbEUlT_E_NS1_11comp_targetILNS1_3genE4ELNS1_11target_archE910ELNS1_3gpuE8ELNS1_3repE0EEENS1_44radix_sort_block_sort_config_static_selectorELNS0_4arch9wavefront6targetE0EEEvSF_,"axG",@progbits,_ZN7rocprim17ROCPRIM_400000_NS6detail17trampoline_kernelINS0_13kernel_configILj256ELj4ELj4294967295EEENS1_37radix_sort_block_sort_config_selectorIdNS0_10empty_typeEEEZNS1_21radix_sort_block_sortIS4_Lb1EPKdPdPS6_SC_NS0_19identity_decomposerEEE10hipError_tT1_T2_T3_T4_jRjT5_jjP12ihipStream_tbEUlT_E_NS1_11comp_targetILNS1_3genE4ELNS1_11target_archE910ELNS1_3gpuE8ELNS1_3repE0EEENS1_44radix_sort_block_sort_config_static_selectorELNS0_4arch9wavefront6targetE0EEEvSF_,comdat
	.protected	_ZN7rocprim17ROCPRIM_400000_NS6detail17trampoline_kernelINS0_13kernel_configILj256ELj4ELj4294967295EEENS1_37radix_sort_block_sort_config_selectorIdNS0_10empty_typeEEEZNS1_21radix_sort_block_sortIS4_Lb1EPKdPdPS6_SC_NS0_19identity_decomposerEEE10hipError_tT1_T2_T3_T4_jRjT5_jjP12ihipStream_tbEUlT_E_NS1_11comp_targetILNS1_3genE4ELNS1_11target_archE910ELNS1_3gpuE8ELNS1_3repE0EEENS1_44radix_sort_block_sort_config_static_selectorELNS0_4arch9wavefront6targetE0EEEvSF_ ; -- Begin function _ZN7rocprim17ROCPRIM_400000_NS6detail17trampoline_kernelINS0_13kernel_configILj256ELj4ELj4294967295EEENS1_37radix_sort_block_sort_config_selectorIdNS0_10empty_typeEEEZNS1_21radix_sort_block_sortIS4_Lb1EPKdPdPS6_SC_NS0_19identity_decomposerEEE10hipError_tT1_T2_T3_T4_jRjT5_jjP12ihipStream_tbEUlT_E_NS1_11comp_targetILNS1_3genE4ELNS1_11target_archE910ELNS1_3gpuE8ELNS1_3repE0EEENS1_44radix_sort_block_sort_config_static_selectorELNS0_4arch9wavefront6targetE0EEEvSF_
	.globl	_ZN7rocprim17ROCPRIM_400000_NS6detail17trampoline_kernelINS0_13kernel_configILj256ELj4ELj4294967295EEENS1_37radix_sort_block_sort_config_selectorIdNS0_10empty_typeEEEZNS1_21radix_sort_block_sortIS4_Lb1EPKdPdPS6_SC_NS0_19identity_decomposerEEE10hipError_tT1_T2_T3_T4_jRjT5_jjP12ihipStream_tbEUlT_E_NS1_11comp_targetILNS1_3genE4ELNS1_11target_archE910ELNS1_3gpuE8ELNS1_3repE0EEENS1_44radix_sort_block_sort_config_static_selectorELNS0_4arch9wavefront6targetE0EEEvSF_
	.p2align	8
	.type	_ZN7rocprim17ROCPRIM_400000_NS6detail17trampoline_kernelINS0_13kernel_configILj256ELj4ELj4294967295EEENS1_37radix_sort_block_sort_config_selectorIdNS0_10empty_typeEEEZNS1_21radix_sort_block_sortIS4_Lb1EPKdPdPS6_SC_NS0_19identity_decomposerEEE10hipError_tT1_T2_T3_T4_jRjT5_jjP12ihipStream_tbEUlT_E_NS1_11comp_targetILNS1_3genE4ELNS1_11target_archE910ELNS1_3gpuE8ELNS1_3repE0EEENS1_44radix_sort_block_sort_config_static_selectorELNS0_4arch9wavefront6targetE0EEEvSF_,@function
_ZN7rocprim17ROCPRIM_400000_NS6detail17trampoline_kernelINS0_13kernel_configILj256ELj4ELj4294967295EEENS1_37radix_sort_block_sort_config_selectorIdNS0_10empty_typeEEEZNS1_21radix_sort_block_sortIS4_Lb1EPKdPdPS6_SC_NS0_19identity_decomposerEEE10hipError_tT1_T2_T3_T4_jRjT5_jjP12ihipStream_tbEUlT_E_NS1_11comp_targetILNS1_3genE4ELNS1_11target_archE910ELNS1_3gpuE8ELNS1_3repE0EEENS1_44radix_sort_block_sort_config_static_selectorELNS0_4arch9wavefront6targetE0EEEvSF_: ; @_ZN7rocprim17ROCPRIM_400000_NS6detail17trampoline_kernelINS0_13kernel_configILj256ELj4ELj4294967295EEENS1_37radix_sort_block_sort_config_selectorIdNS0_10empty_typeEEEZNS1_21radix_sort_block_sortIS4_Lb1EPKdPdPS6_SC_NS0_19identity_decomposerEEE10hipError_tT1_T2_T3_T4_jRjT5_jjP12ihipStream_tbEUlT_E_NS1_11comp_targetILNS1_3genE4ELNS1_11target_archE910ELNS1_3gpuE8ELNS1_3repE0EEENS1_44radix_sort_block_sort_config_static_selectorELNS0_4arch9wavefront6targetE0EEEvSF_
; %bb.0:
	.section	.rodata,"a",@progbits
	.p2align	6, 0x0
	.amdhsa_kernel _ZN7rocprim17ROCPRIM_400000_NS6detail17trampoline_kernelINS0_13kernel_configILj256ELj4ELj4294967295EEENS1_37radix_sort_block_sort_config_selectorIdNS0_10empty_typeEEEZNS1_21radix_sort_block_sortIS4_Lb1EPKdPdPS6_SC_NS0_19identity_decomposerEEE10hipError_tT1_T2_T3_T4_jRjT5_jjP12ihipStream_tbEUlT_E_NS1_11comp_targetILNS1_3genE4ELNS1_11target_archE910ELNS1_3gpuE8ELNS1_3repE0EEENS1_44radix_sort_block_sort_config_static_selectorELNS0_4arch9wavefront6targetE0EEEvSF_
		.amdhsa_group_segment_fixed_size 0
		.amdhsa_private_segment_fixed_size 0
		.amdhsa_kernarg_size 48
		.amdhsa_user_sgpr_count 2
		.amdhsa_user_sgpr_dispatch_ptr 0
		.amdhsa_user_sgpr_queue_ptr 0
		.amdhsa_user_sgpr_kernarg_segment_ptr 1
		.amdhsa_user_sgpr_dispatch_id 0
		.amdhsa_user_sgpr_kernarg_preload_length 0
		.amdhsa_user_sgpr_kernarg_preload_offset 0
		.amdhsa_user_sgpr_private_segment_size 0
		.amdhsa_wavefront_size32 1
		.amdhsa_uses_dynamic_stack 0
		.amdhsa_enable_private_segment 0
		.amdhsa_system_sgpr_workgroup_id_x 1
		.amdhsa_system_sgpr_workgroup_id_y 0
		.amdhsa_system_sgpr_workgroup_id_z 0
		.amdhsa_system_sgpr_workgroup_info 0
		.amdhsa_system_vgpr_workitem_id 0
		.amdhsa_next_free_vgpr 1
		.amdhsa_next_free_sgpr 1
		.amdhsa_named_barrier_count 0
		.amdhsa_reserve_vcc 0
		.amdhsa_float_round_mode_32 0
		.amdhsa_float_round_mode_16_64 0
		.amdhsa_float_denorm_mode_32 3
		.amdhsa_float_denorm_mode_16_64 3
		.amdhsa_fp16_overflow 0
		.amdhsa_memory_ordered 1
		.amdhsa_forward_progress 1
		.amdhsa_inst_pref_size 0
		.amdhsa_round_robin_scheduling 0
		.amdhsa_exception_fp_ieee_invalid_op 0
		.amdhsa_exception_fp_denorm_src 0
		.amdhsa_exception_fp_ieee_div_zero 0
		.amdhsa_exception_fp_ieee_overflow 0
		.amdhsa_exception_fp_ieee_underflow 0
		.amdhsa_exception_fp_ieee_inexact 0
		.amdhsa_exception_int_div_zero 0
	.end_amdhsa_kernel
	.section	.text._ZN7rocprim17ROCPRIM_400000_NS6detail17trampoline_kernelINS0_13kernel_configILj256ELj4ELj4294967295EEENS1_37radix_sort_block_sort_config_selectorIdNS0_10empty_typeEEEZNS1_21radix_sort_block_sortIS4_Lb1EPKdPdPS6_SC_NS0_19identity_decomposerEEE10hipError_tT1_T2_T3_T4_jRjT5_jjP12ihipStream_tbEUlT_E_NS1_11comp_targetILNS1_3genE4ELNS1_11target_archE910ELNS1_3gpuE8ELNS1_3repE0EEENS1_44radix_sort_block_sort_config_static_selectorELNS0_4arch9wavefront6targetE0EEEvSF_,"axG",@progbits,_ZN7rocprim17ROCPRIM_400000_NS6detail17trampoline_kernelINS0_13kernel_configILj256ELj4ELj4294967295EEENS1_37radix_sort_block_sort_config_selectorIdNS0_10empty_typeEEEZNS1_21radix_sort_block_sortIS4_Lb1EPKdPdPS6_SC_NS0_19identity_decomposerEEE10hipError_tT1_T2_T3_T4_jRjT5_jjP12ihipStream_tbEUlT_E_NS1_11comp_targetILNS1_3genE4ELNS1_11target_archE910ELNS1_3gpuE8ELNS1_3repE0EEENS1_44radix_sort_block_sort_config_static_selectorELNS0_4arch9wavefront6targetE0EEEvSF_,comdat
.Lfunc_end1444:
	.size	_ZN7rocprim17ROCPRIM_400000_NS6detail17trampoline_kernelINS0_13kernel_configILj256ELj4ELj4294967295EEENS1_37radix_sort_block_sort_config_selectorIdNS0_10empty_typeEEEZNS1_21radix_sort_block_sortIS4_Lb1EPKdPdPS6_SC_NS0_19identity_decomposerEEE10hipError_tT1_T2_T3_T4_jRjT5_jjP12ihipStream_tbEUlT_E_NS1_11comp_targetILNS1_3genE4ELNS1_11target_archE910ELNS1_3gpuE8ELNS1_3repE0EEENS1_44radix_sort_block_sort_config_static_selectorELNS0_4arch9wavefront6targetE0EEEvSF_, .Lfunc_end1444-_ZN7rocprim17ROCPRIM_400000_NS6detail17trampoline_kernelINS0_13kernel_configILj256ELj4ELj4294967295EEENS1_37radix_sort_block_sort_config_selectorIdNS0_10empty_typeEEEZNS1_21radix_sort_block_sortIS4_Lb1EPKdPdPS6_SC_NS0_19identity_decomposerEEE10hipError_tT1_T2_T3_T4_jRjT5_jjP12ihipStream_tbEUlT_E_NS1_11comp_targetILNS1_3genE4ELNS1_11target_archE910ELNS1_3gpuE8ELNS1_3repE0EEENS1_44radix_sort_block_sort_config_static_selectorELNS0_4arch9wavefront6targetE0EEEvSF_
                                        ; -- End function
	.set _ZN7rocprim17ROCPRIM_400000_NS6detail17trampoline_kernelINS0_13kernel_configILj256ELj4ELj4294967295EEENS1_37radix_sort_block_sort_config_selectorIdNS0_10empty_typeEEEZNS1_21radix_sort_block_sortIS4_Lb1EPKdPdPS6_SC_NS0_19identity_decomposerEEE10hipError_tT1_T2_T3_T4_jRjT5_jjP12ihipStream_tbEUlT_E_NS1_11comp_targetILNS1_3genE4ELNS1_11target_archE910ELNS1_3gpuE8ELNS1_3repE0EEENS1_44radix_sort_block_sort_config_static_selectorELNS0_4arch9wavefront6targetE0EEEvSF_.num_vgpr, 0
	.set _ZN7rocprim17ROCPRIM_400000_NS6detail17trampoline_kernelINS0_13kernel_configILj256ELj4ELj4294967295EEENS1_37radix_sort_block_sort_config_selectorIdNS0_10empty_typeEEEZNS1_21radix_sort_block_sortIS4_Lb1EPKdPdPS6_SC_NS0_19identity_decomposerEEE10hipError_tT1_T2_T3_T4_jRjT5_jjP12ihipStream_tbEUlT_E_NS1_11comp_targetILNS1_3genE4ELNS1_11target_archE910ELNS1_3gpuE8ELNS1_3repE0EEENS1_44radix_sort_block_sort_config_static_selectorELNS0_4arch9wavefront6targetE0EEEvSF_.num_agpr, 0
	.set _ZN7rocprim17ROCPRIM_400000_NS6detail17trampoline_kernelINS0_13kernel_configILj256ELj4ELj4294967295EEENS1_37radix_sort_block_sort_config_selectorIdNS0_10empty_typeEEEZNS1_21radix_sort_block_sortIS4_Lb1EPKdPdPS6_SC_NS0_19identity_decomposerEEE10hipError_tT1_T2_T3_T4_jRjT5_jjP12ihipStream_tbEUlT_E_NS1_11comp_targetILNS1_3genE4ELNS1_11target_archE910ELNS1_3gpuE8ELNS1_3repE0EEENS1_44radix_sort_block_sort_config_static_selectorELNS0_4arch9wavefront6targetE0EEEvSF_.numbered_sgpr, 0
	.set _ZN7rocprim17ROCPRIM_400000_NS6detail17trampoline_kernelINS0_13kernel_configILj256ELj4ELj4294967295EEENS1_37radix_sort_block_sort_config_selectorIdNS0_10empty_typeEEEZNS1_21radix_sort_block_sortIS4_Lb1EPKdPdPS6_SC_NS0_19identity_decomposerEEE10hipError_tT1_T2_T3_T4_jRjT5_jjP12ihipStream_tbEUlT_E_NS1_11comp_targetILNS1_3genE4ELNS1_11target_archE910ELNS1_3gpuE8ELNS1_3repE0EEENS1_44radix_sort_block_sort_config_static_selectorELNS0_4arch9wavefront6targetE0EEEvSF_.num_named_barrier, 0
	.set _ZN7rocprim17ROCPRIM_400000_NS6detail17trampoline_kernelINS0_13kernel_configILj256ELj4ELj4294967295EEENS1_37radix_sort_block_sort_config_selectorIdNS0_10empty_typeEEEZNS1_21radix_sort_block_sortIS4_Lb1EPKdPdPS6_SC_NS0_19identity_decomposerEEE10hipError_tT1_T2_T3_T4_jRjT5_jjP12ihipStream_tbEUlT_E_NS1_11comp_targetILNS1_3genE4ELNS1_11target_archE910ELNS1_3gpuE8ELNS1_3repE0EEENS1_44radix_sort_block_sort_config_static_selectorELNS0_4arch9wavefront6targetE0EEEvSF_.private_seg_size, 0
	.set _ZN7rocprim17ROCPRIM_400000_NS6detail17trampoline_kernelINS0_13kernel_configILj256ELj4ELj4294967295EEENS1_37radix_sort_block_sort_config_selectorIdNS0_10empty_typeEEEZNS1_21radix_sort_block_sortIS4_Lb1EPKdPdPS6_SC_NS0_19identity_decomposerEEE10hipError_tT1_T2_T3_T4_jRjT5_jjP12ihipStream_tbEUlT_E_NS1_11comp_targetILNS1_3genE4ELNS1_11target_archE910ELNS1_3gpuE8ELNS1_3repE0EEENS1_44radix_sort_block_sort_config_static_selectorELNS0_4arch9wavefront6targetE0EEEvSF_.uses_vcc, 0
	.set _ZN7rocprim17ROCPRIM_400000_NS6detail17trampoline_kernelINS0_13kernel_configILj256ELj4ELj4294967295EEENS1_37radix_sort_block_sort_config_selectorIdNS0_10empty_typeEEEZNS1_21radix_sort_block_sortIS4_Lb1EPKdPdPS6_SC_NS0_19identity_decomposerEEE10hipError_tT1_T2_T3_T4_jRjT5_jjP12ihipStream_tbEUlT_E_NS1_11comp_targetILNS1_3genE4ELNS1_11target_archE910ELNS1_3gpuE8ELNS1_3repE0EEENS1_44radix_sort_block_sort_config_static_selectorELNS0_4arch9wavefront6targetE0EEEvSF_.uses_flat_scratch, 0
	.set _ZN7rocprim17ROCPRIM_400000_NS6detail17trampoline_kernelINS0_13kernel_configILj256ELj4ELj4294967295EEENS1_37radix_sort_block_sort_config_selectorIdNS0_10empty_typeEEEZNS1_21radix_sort_block_sortIS4_Lb1EPKdPdPS6_SC_NS0_19identity_decomposerEEE10hipError_tT1_T2_T3_T4_jRjT5_jjP12ihipStream_tbEUlT_E_NS1_11comp_targetILNS1_3genE4ELNS1_11target_archE910ELNS1_3gpuE8ELNS1_3repE0EEENS1_44radix_sort_block_sort_config_static_selectorELNS0_4arch9wavefront6targetE0EEEvSF_.has_dyn_sized_stack, 0
	.set _ZN7rocprim17ROCPRIM_400000_NS6detail17trampoline_kernelINS0_13kernel_configILj256ELj4ELj4294967295EEENS1_37radix_sort_block_sort_config_selectorIdNS0_10empty_typeEEEZNS1_21radix_sort_block_sortIS4_Lb1EPKdPdPS6_SC_NS0_19identity_decomposerEEE10hipError_tT1_T2_T3_T4_jRjT5_jjP12ihipStream_tbEUlT_E_NS1_11comp_targetILNS1_3genE4ELNS1_11target_archE910ELNS1_3gpuE8ELNS1_3repE0EEENS1_44radix_sort_block_sort_config_static_selectorELNS0_4arch9wavefront6targetE0EEEvSF_.has_recursion, 0
	.set _ZN7rocprim17ROCPRIM_400000_NS6detail17trampoline_kernelINS0_13kernel_configILj256ELj4ELj4294967295EEENS1_37radix_sort_block_sort_config_selectorIdNS0_10empty_typeEEEZNS1_21radix_sort_block_sortIS4_Lb1EPKdPdPS6_SC_NS0_19identity_decomposerEEE10hipError_tT1_T2_T3_T4_jRjT5_jjP12ihipStream_tbEUlT_E_NS1_11comp_targetILNS1_3genE4ELNS1_11target_archE910ELNS1_3gpuE8ELNS1_3repE0EEENS1_44radix_sort_block_sort_config_static_selectorELNS0_4arch9wavefront6targetE0EEEvSF_.has_indirect_call, 0
	.section	.AMDGPU.csdata,"",@progbits
; Kernel info:
; codeLenInByte = 0
; TotalNumSgprs: 0
; NumVgprs: 0
; ScratchSize: 0
; MemoryBound: 0
; FloatMode: 240
; IeeeMode: 1
; LDSByteSize: 0 bytes/workgroup (compile time only)
; SGPRBlocks: 0
; VGPRBlocks: 0
; NumSGPRsForWavesPerEU: 1
; NumVGPRsForWavesPerEU: 1
; NamedBarCnt: 0
; Occupancy: 16
; WaveLimiterHint : 0
; COMPUTE_PGM_RSRC2:SCRATCH_EN: 0
; COMPUTE_PGM_RSRC2:USER_SGPR: 2
; COMPUTE_PGM_RSRC2:TRAP_HANDLER: 0
; COMPUTE_PGM_RSRC2:TGID_X_EN: 1
; COMPUTE_PGM_RSRC2:TGID_Y_EN: 0
; COMPUTE_PGM_RSRC2:TGID_Z_EN: 0
; COMPUTE_PGM_RSRC2:TIDIG_COMP_CNT: 0
	.section	.text._ZN7rocprim17ROCPRIM_400000_NS6detail17trampoline_kernelINS0_13kernel_configILj256ELj4ELj4294967295EEENS1_37radix_sort_block_sort_config_selectorIdNS0_10empty_typeEEEZNS1_21radix_sort_block_sortIS4_Lb1EPKdPdPS6_SC_NS0_19identity_decomposerEEE10hipError_tT1_T2_T3_T4_jRjT5_jjP12ihipStream_tbEUlT_E_NS1_11comp_targetILNS1_3genE3ELNS1_11target_archE908ELNS1_3gpuE7ELNS1_3repE0EEENS1_44radix_sort_block_sort_config_static_selectorELNS0_4arch9wavefront6targetE0EEEvSF_,"axG",@progbits,_ZN7rocprim17ROCPRIM_400000_NS6detail17trampoline_kernelINS0_13kernel_configILj256ELj4ELj4294967295EEENS1_37radix_sort_block_sort_config_selectorIdNS0_10empty_typeEEEZNS1_21radix_sort_block_sortIS4_Lb1EPKdPdPS6_SC_NS0_19identity_decomposerEEE10hipError_tT1_T2_T3_T4_jRjT5_jjP12ihipStream_tbEUlT_E_NS1_11comp_targetILNS1_3genE3ELNS1_11target_archE908ELNS1_3gpuE7ELNS1_3repE0EEENS1_44radix_sort_block_sort_config_static_selectorELNS0_4arch9wavefront6targetE0EEEvSF_,comdat
	.protected	_ZN7rocprim17ROCPRIM_400000_NS6detail17trampoline_kernelINS0_13kernel_configILj256ELj4ELj4294967295EEENS1_37radix_sort_block_sort_config_selectorIdNS0_10empty_typeEEEZNS1_21radix_sort_block_sortIS4_Lb1EPKdPdPS6_SC_NS0_19identity_decomposerEEE10hipError_tT1_T2_T3_T4_jRjT5_jjP12ihipStream_tbEUlT_E_NS1_11comp_targetILNS1_3genE3ELNS1_11target_archE908ELNS1_3gpuE7ELNS1_3repE0EEENS1_44radix_sort_block_sort_config_static_selectorELNS0_4arch9wavefront6targetE0EEEvSF_ ; -- Begin function _ZN7rocprim17ROCPRIM_400000_NS6detail17trampoline_kernelINS0_13kernel_configILj256ELj4ELj4294967295EEENS1_37radix_sort_block_sort_config_selectorIdNS0_10empty_typeEEEZNS1_21radix_sort_block_sortIS4_Lb1EPKdPdPS6_SC_NS0_19identity_decomposerEEE10hipError_tT1_T2_T3_T4_jRjT5_jjP12ihipStream_tbEUlT_E_NS1_11comp_targetILNS1_3genE3ELNS1_11target_archE908ELNS1_3gpuE7ELNS1_3repE0EEENS1_44radix_sort_block_sort_config_static_selectorELNS0_4arch9wavefront6targetE0EEEvSF_
	.globl	_ZN7rocprim17ROCPRIM_400000_NS6detail17trampoline_kernelINS0_13kernel_configILj256ELj4ELj4294967295EEENS1_37radix_sort_block_sort_config_selectorIdNS0_10empty_typeEEEZNS1_21radix_sort_block_sortIS4_Lb1EPKdPdPS6_SC_NS0_19identity_decomposerEEE10hipError_tT1_T2_T3_T4_jRjT5_jjP12ihipStream_tbEUlT_E_NS1_11comp_targetILNS1_3genE3ELNS1_11target_archE908ELNS1_3gpuE7ELNS1_3repE0EEENS1_44radix_sort_block_sort_config_static_selectorELNS0_4arch9wavefront6targetE0EEEvSF_
	.p2align	8
	.type	_ZN7rocprim17ROCPRIM_400000_NS6detail17trampoline_kernelINS0_13kernel_configILj256ELj4ELj4294967295EEENS1_37radix_sort_block_sort_config_selectorIdNS0_10empty_typeEEEZNS1_21radix_sort_block_sortIS4_Lb1EPKdPdPS6_SC_NS0_19identity_decomposerEEE10hipError_tT1_T2_T3_T4_jRjT5_jjP12ihipStream_tbEUlT_E_NS1_11comp_targetILNS1_3genE3ELNS1_11target_archE908ELNS1_3gpuE7ELNS1_3repE0EEENS1_44radix_sort_block_sort_config_static_selectorELNS0_4arch9wavefront6targetE0EEEvSF_,@function
_ZN7rocprim17ROCPRIM_400000_NS6detail17trampoline_kernelINS0_13kernel_configILj256ELj4ELj4294967295EEENS1_37radix_sort_block_sort_config_selectorIdNS0_10empty_typeEEEZNS1_21radix_sort_block_sortIS4_Lb1EPKdPdPS6_SC_NS0_19identity_decomposerEEE10hipError_tT1_T2_T3_T4_jRjT5_jjP12ihipStream_tbEUlT_E_NS1_11comp_targetILNS1_3genE3ELNS1_11target_archE908ELNS1_3gpuE7ELNS1_3repE0EEENS1_44radix_sort_block_sort_config_static_selectorELNS0_4arch9wavefront6targetE0EEEvSF_: ; @_ZN7rocprim17ROCPRIM_400000_NS6detail17trampoline_kernelINS0_13kernel_configILj256ELj4ELj4294967295EEENS1_37radix_sort_block_sort_config_selectorIdNS0_10empty_typeEEEZNS1_21radix_sort_block_sortIS4_Lb1EPKdPdPS6_SC_NS0_19identity_decomposerEEE10hipError_tT1_T2_T3_T4_jRjT5_jjP12ihipStream_tbEUlT_E_NS1_11comp_targetILNS1_3genE3ELNS1_11target_archE908ELNS1_3gpuE7ELNS1_3repE0EEENS1_44radix_sort_block_sort_config_static_selectorELNS0_4arch9wavefront6targetE0EEEvSF_
; %bb.0:
	.section	.rodata,"a",@progbits
	.p2align	6, 0x0
	.amdhsa_kernel _ZN7rocprim17ROCPRIM_400000_NS6detail17trampoline_kernelINS0_13kernel_configILj256ELj4ELj4294967295EEENS1_37radix_sort_block_sort_config_selectorIdNS0_10empty_typeEEEZNS1_21radix_sort_block_sortIS4_Lb1EPKdPdPS6_SC_NS0_19identity_decomposerEEE10hipError_tT1_T2_T3_T4_jRjT5_jjP12ihipStream_tbEUlT_E_NS1_11comp_targetILNS1_3genE3ELNS1_11target_archE908ELNS1_3gpuE7ELNS1_3repE0EEENS1_44radix_sort_block_sort_config_static_selectorELNS0_4arch9wavefront6targetE0EEEvSF_
		.amdhsa_group_segment_fixed_size 0
		.amdhsa_private_segment_fixed_size 0
		.amdhsa_kernarg_size 48
		.amdhsa_user_sgpr_count 2
		.amdhsa_user_sgpr_dispatch_ptr 0
		.amdhsa_user_sgpr_queue_ptr 0
		.amdhsa_user_sgpr_kernarg_segment_ptr 1
		.amdhsa_user_sgpr_dispatch_id 0
		.amdhsa_user_sgpr_kernarg_preload_length 0
		.amdhsa_user_sgpr_kernarg_preload_offset 0
		.amdhsa_user_sgpr_private_segment_size 0
		.amdhsa_wavefront_size32 1
		.amdhsa_uses_dynamic_stack 0
		.amdhsa_enable_private_segment 0
		.amdhsa_system_sgpr_workgroup_id_x 1
		.amdhsa_system_sgpr_workgroup_id_y 0
		.amdhsa_system_sgpr_workgroup_id_z 0
		.amdhsa_system_sgpr_workgroup_info 0
		.amdhsa_system_vgpr_workitem_id 0
		.amdhsa_next_free_vgpr 1
		.amdhsa_next_free_sgpr 1
		.amdhsa_named_barrier_count 0
		.amdhsa_reserve_vcc 0
		.amdhsa_float_round_mode_32 0
		.amdhsa_float_round_mode_16_64 0
		.amdhsa_float_denorm_mode_32 3
		.amdhsa_float_denorm_mode_16_64 3
		.amdhsa_fp16_overflow 0
		.amdhsa_memory_ordered 1
		.amdhsa_forward_progress 1
		.amdhsa_inst_pref_size 0
		.amdhsa_round_robin_scheduling 0
		.amdhsa_exception_fp_ieee_invalid_op 0
		.amdhsa_exception_fp_denorm_src 0
		.amdhsa_exception_fp_ieee_div_zero 0
		.amdhsa_exception_fp_ieee_overflow 0
		.amdhsa_exception_fp_ieee_underflow 0
		.amdhsa_exception_fp_ieee_inexact 0
		.amdhsa_exception_int_div_zero 0
	.end_amdhsa_kernel
	.section	.text._ZN7rocprim17ROCPRIM_400000_NS6detail17trampoline_kernelINS0_13kernel_configILj256ELj4ELj4294967295EEENS1_37radix_sort_block_sort_config_selectorIdNS0_10empty_typeEEEZNS1_21radix_sort_block_sortIS4_Lb1EPKdPdPS6_SC_NS0_19identity_decomposerEEE10hipError_tT1_T2_T3_T4_jRjT5_jjP12ihipStream_tbEUlT_E_NS1_11comp_targetILNS1_3genE3ELNS1_11target_archE908ELNS1_3gpuE7ELNS1_3repE0EEENS1_44radix_sort_block_sort_config_static_selectorELNS0_4arch9wavefront6targetE0EEEvSF_,"axG",@progbits,_ZN7rocprim17ROCPRIM_400000_NS6detail17trampoline_kernelINS0_13kernel_configILj256ELj4ELj4294967295EEENS1_37radix_sort_block_sort_config_selectorIdNS0_10empty_typeEEEZNS1_21radix_sort_block_sortIS4_Lb1EPKdPdPS6_SC_NS0_19identity_decomposerEEE10hipError_tT1_T2_T3_T4_jRjT5_jjP12ihipStream_tbEUlT_E_NS1_11comp_targetILNS1_3genE3ELNS1_11target_archE908ELNS1_3gpuE7ELNS1_3repE0EEENS1_44radix_sort_block_sort_config_static_selectorELNS0_4arch9wavefront6targetE0EEEvSF_,comdat
.Lfunc_end1445:
	.size	_ZN7rocprim17ROCPRIM_400000_NS6detail17trampoline_kernelINS0_13kernel_configILj256ELj4ELj4294967295EEENS1_37radix_sort_block_sort_config_selectorIdNS0_10empty_typeEEEZNS1_21radix_sort_block_sortIS4_Lb1EPKdPdPS6_SC_NS0_19identity_decomposerEEE10hipError_tT1_T2_T3_T4_jRjT5_jjP12ihipStream_tbEUlT_E_NS1_11comp_targetILNS1_3genE3ELNS1_11target_archE908ELNS1_3gpuE7ELNS1_3repE0EEENS1_44radix_sort_block_sort_config_static_selectorELNS0_4arch9wavefront6targetE0EEEvSF_, .Lfunc_end1445-_ZN7rocprim17ROCPRIM_400000_NS6detail17trampoline_kernelINS0_13kernel_configILj256ELj4ELj4294967295EEENS1_37radix_sort_block_sort_config_selectorIdNS0_10empty_typeEEEZNS1_21radix_sort_block_sortIS4_Lb1EPKdPdPS6_SC_NS0_19identity_decomposerEEE10hipError_tT1_T2_T3_T4_jRjT5_jjP12ihipStream_tbEUlT_E_NS1_11comp_targetILNS1_3genE3ELNS1_11target_archE908ELNS1_3gpuE7ELNS1_3repE0EEENS1_44radix_sort_block_sort_config_static_selectorELNS0_4arch9wavefront6targetE0EEEvSF_
                                        ; -- End function
	.set _ZN7rocprim17ROCPRIM_400000_NS6detail17trampoline_kernelINS0_13kernel_configILj256ELj4ELj4294967295EEENS1_37radix_sort_block_sort_config_selectorIdNS0_10empty_typeEEEZNS1_21radix_sort_block_sortIS4_Lb1EPKdPdPS6_SC_NS0_19identity_decomposerEEE10hipError_tT1_T2_T3_T4_jRjT5_jjP12ihipStream_tbEUlT_E_NS1_11comp_targetILNS1_3genE3ELNS1_11target_archE908ELNS1_3gpuE7ELNS1_3repE0EEENS1_44radix_sort_block_sort_config_static_selectorELNS0_4arch9wavefront6targetE0EEEvSF_.num_vgpr, 0
	.set _ZN7rocprim17ROCPRIM_400000_NS6detail17trampoline_kernelINS0_13kernel_configILj256ELj4ELj4294967295EEENS1_37radix_sort_block_sort_config_selectorIdNS0_10empty_typeEEEZNS1_21radix_sort_block_sortIS4_Lb1EPKdPdPS6_SC_NS0_19identity_decomposerEEE10hipError_tT1_T2_T3_T4_jRjT5_jjP12ihipStream_tbEUlT_E_NS1_11comp_targetILNS1_3genE3ELNS1_11target_archE908ELNS1_3gpuE7ELNS1_3repE0EEENS1_44radix_sort_block_sort_config_static_selectorELNS0_4arch9wavefront6targetE0EEEvSF_.num_agpr, 0
	.set _ZN7rocprim17ROCPRIM_400000_NS6detail17trampoline_kernelINS0_13kernel_configILj256ELj4ELj4294967295EEENS1_37radix_sort_block_sort_config_selectorIdNS0_10empty_typeEEEZNS1_21radix_sort_block_sortIS4_Lb1EPKdPdPS6_SC_NS0_19identity_decomposerEEE10hipError_tT1_T2_T3_T4_jRjT5_jjP12ihipStream_tbEUlT_E_NS1_11comp_targetILNS1_3genE3ELNS1_11target_archE908ELNS1_3gpuE7ELNS1_3repE0EEENS1_44radix_sort_block_sort_config_static_selectorELNS0_4arch9wavefront6targetE0EEEvSF_.numbered_sgpr, 0
	.set _ZN7rocprim17ROCPRIM_400000_NS6detail17trampoline_kernelINS0_13kernel_configILj256ELj4ELj4294967295EEENS1_37radix_sort_block_sort_config_selectorIdNS0_10empty_typeEEEZNS1_21radix_sort_block_sortIS4_Lb1EPKdPdPS6_SC_NS0_19identity_decomposerEEE10hipError_tT1_T2_T3_T4_jRjT5_jjP12ihipStream_tbEUlT_E_NS1_11comp_targetILNS1_3genE3ELNS1_11target_archE908ELNS1_3gpuE7ELNS1_3repE0EEENS1_44radix_sort_block_sort_config_static_selectorELNS0_4arch9wavefront6targetE0EEEvSF_.num_named_barrier, 0
	.set _ZN7rocprim17ROCPRIM_400000_NS6detail17trampoline_kernelINS0_13kernel_configILj256ELj4ELj4294967295EEENS1_37radix_sort_block_sort_config_selectorIdNS0_10empty_typeEEEZNS1_21radix_sort_block_sortIS4_Lb1EPKdPdPS6_SC_NS0_19identity_decomposerEEE10hipError_tT1_T2_T3_T4_jRjT5_jjP12ihipStream_tbEUlT_E_NS1_11comp_targetILNS1_3genE3ELNS1_11target_archE908ELNS1_3gpuE7ELNS1_3repE0EEENS1_44radix_sort_block_sort_config_static_selectorELNS0_4arch9wavefront6targetE0EEEvSF_.private_seg_size, 0
	.set _ZN7rocprim17ROCPRIM_400000_NS6detail17trampoline_kernelINS0_13kernel_configILj256ELj4ELj4294967295EEENS1_37radix_sort_block_sort_config_selectorIdNS0_10empty_typeEEEZNS1_21radix_sort_block_sortIS4_Lb1EPKdPdPS6_SC_NS0_19identity_decomposerEEE10hipError_tT1_T2_T3_T4_jRjT5_jjP12ihipStream_tbEUlT_E_NS1_11comp_targetILNS1_3genE3ELNS1_11target_archE908ELNS1_3gpuE7ELNS1_3repE0EEENS1_44radix_sort_block_sort_config_static_selectorELNS0_4arch9wavefront6targetE0EEEvSF_.uses_vcc, 0
	.set _ZN7rocprim17ROCPRIM_400000_NS6detail17trampoline_kernelINS0_13kernel_configILj256ELj4ELj4294967295EEENS1_37radix_sort_block_sort_config_selectorIdNS0_10empty_typeEEEZNS1_21radix_sort_block_sortIS4_Lb1EPKdPdPS6_SC_NS0_19identity_decomposerEEE10hipError_tT1_T2_T3_T4_jRjT5_jjP12ihipStream_tbEUlT_E_NS1_11comp_targetILNS1_3genE3ELNS1_11target_archE908ELNS1_3gpuE7ELNS1_3repE0EEENS1_44radix_sort_block_sort_config_static_selectorELNS0_4arch9wavefront6targetE0EEEvSF_.uses_flat_scratch, 0
	.set _ZN7rocprim17ROCPRIM_400000_NS6detail17trampoline_kernelINS0_13kernel_configILj256ELj4ELj4294967295EEENS1_37radix_sort_block_sort_config_selectorIdNS0_10empty_typeEEEZNS1_21radix_sort_block_sortIS4_Lb1EPKdPdPS6_SC_NS0_19identity_decomposerEEE10hipError_tT1_T2_T3_T4_jRjT5_jjP12ihipStream_tbEUlT_E_NS1_11comp_targetILNS1_3genE3ELNS1_11target_archE908ELNS1_3gpuE7ELNS1_3repE0EEENS1_44radix_sort_block_sort_config_static_selectorELNS0_4arch9wavefront6targetE0EEEvSF_.has_dyn_sized_stack, 0
	.set _ZN7rocprim17ROCPRIM_400000_NS6detail17trampoline_kernelINS0_13kernel_configILj256ELj4ELj4294967295EEENS1_37radix_sort_block_sort_config_selectorIdNS0_10empty_typeEEEZNS1_21radix_sort_block_sortIS4_Lb1EPKdPdPS6_SC_NS0_19identity_decomposerEEE10hipError_tT1_T2_T3_T4_jRjT5_jjP12ihipStream_tbEUlT_E_NS1_11comp_targetILNS1_3genE3ELNS1_11target_archE908ELNS1_3gpuE7ELNS1_3repE0EEENS1_44radix_sort_block_sort_config_static_selectorELNS0_4arch9wavefront6targetE0EEEvSF_.has_recursion, 0
	.set _ZN7rocprim17ROCPRIM_400000_NS6detail17trampoline_kernelINS0_13kernel_configILj256ELj4ELj4294967295EEENS1_37radix_sort_block_sort_config_selectorIdNS0_10empty_typeEEEZNS1_21radix_sort_block_sortIS4_Lb1EPKdPdPS6_SC_NS0_19identity_decomposerEEE10hipError_tT1_T2_T3_T4_jRjT5_jjP12ihipStream_tbEUlT_E_NS1_11comp_targetILNS1_3genE3ELNS1_11target_archE908ELNS1_3gpuE7ELNS1_3repE0EEENS1_44radix_sort_block_sort_config_static_selectorELNS0_4arch9wavefront6targetE0EEEvSF_.has_indirect_call, 0
	.section	.AMDGPU.csdata,"",@progbits
; Kernel info:
; codeLenInByte = 0
; TotalNumSgprs: 0
; NumVgprs: 0
; ScratchSize: 0
; MemoryBound: 0
; FloatMode: 240
; IeeeMode: 1
; LDSByteSize: 0 bytes/workgroup (compile time only)
; SGPRBlocks: 0
; VGPRBlocks: 0
; NumSGPRsForWavesPerEU: 1
; NumVGPRsForWavesPerEU: 1
; NamedBarCnt: 0
; Occupancy: 16
; WaveLimiterHint : 0
; COMPUTE_PGM_RSRC2:SCRATCH_EN: 0
; COMPUTE_PGM_RSRC2:USER_SGPR: 2
; COMPUTE_PGM_RSRC2:TRAP_HANDLER: 0
; COMPUTE_PGM_RSRC2:TGID_X_EN: 1
; COMPUTE_PGM_RSRC2:TGID_Y_EN: 0
; COMPUTE_PGM_RSRC2:TGID_Z_EN: 0
; COMPUTE_PGM_RSRC2:TIDIG_COMP_CNT: 0
	.section	.text._ZN7rocprim17ROCPRIM_400000_NS6detail17trampoline_kernelINS0_13kernel_configILj256ELj4ELj4294967295EEENS1_37radix_sort_block_sort_config_selectorIdNS0_10empty_typeEEEZNS1_21radix_sort_block_sortIS4_Lb1EPKdPdPS6_SC_NS0_19identity_decomposerEEE10hipError_tT1_T2_T3_T4_jRjT5_jjP12ihipStream_tbEUlT_E_NS1_11comp_targetILNS1_3genE2ELNS1_11target_archE906ELNS1_3gpuE6ELNS1_3repE0EEENS1_44radix_sort_block_sort_config_static_selectorELNS0_4arch9wavefront6targetE0EEEvSF_,"axG",@progbits,_ZN7rocprim17ROCPRIM_400000_NS6detail17trampoline_kernelINS0_13kernel_configILj256ELj4ELj4294967295EEENS1_37radix_sort_block_sort_config_selectorIdNS0_10empty_typeEEEZNS1_21radix_sort_block_sortIS4_Lb1EPKdPdPS6_SC_NS0_19identity_decomposerEEE10hipError_tT1_T2_T3_T4_jRjT5_jjP12ihipStream_tbEUlT_E_NS1_11comp_targetILNS1_3genE2ELNS1_11target_archE906ELNS1_3gpuE6ELNS1_3repE0EEENS1_44radix_sort_block_sort_config_static_selectorELNS0_4arch9wavefront6targetE0EEEvSF_,comdat
	.protected	_ZN7rocprim17ROCPRIM_400000_NS6detail17trampoline_kernelINS0_13kernel_configILj256ELj4ELj4294967295EEENS1_37radix_sort_block_sort_config_selectorIdNS0_10empty_typeEEEZNS1_21radix_sort_block_sortIS4_Lb1EPKdPdPS6_SC_NS0_19identity_decomposerEEE10hipError_tT1_T2_T3_T4_jRjT5_jjP12ihipStream_tbEUlT_E_NS1_11comp_targetILNS1_3genE2ELNS1_11target_archE906ELNS1_3gpuE6ELNS1_3repE0EEENS1_44radix_sort_block_sort_config_static_selectorELNS0_4arch9wavefront6targetE0EEEvSF_ ; -- Begin function _ZN7rocprim17ROCPRIM_400000_NS6detail17trampoline_kernelINS0_13kernel_configILj256ELj4ELj4294967295EEENS1_37radix_sort_block_sort_config_selectorIdNS0_10empty_typeEEEZNS1_21radix_sort_block_sortIS4_Lb1EPKdPdPS6_SC_NS0_19identity_decomposerEEE10hipError_tT1_T2_T3_T4_jRjT5_jjP12ihipStream_tbEUlT_E_NS1_11comp_targetILNS1_3genE2ELNS1_11target_archE906ELNS1_3gpuE6ELNS1_3repE0EEENS1_44radix_sort_block_sort_config_static_selectorELNS0_4arch9wavefront6targetE0EEEvSF_
	.globl	_ZN7rocprim17ROCPRIM_400000_NS6detail17trampoline_kernelINS0_13kernel_configILj256ELj4ELj4294967295EEENS1_37radix_sort_block_sort_config_selectorIdNS0_10empty_typeEEEZNS1_21radix_sort_block_sortIS4_Lb1EPKdPdPS6_SC_NS0_19identity_decomposerEEE10hipError_tT1_T2_T3_T4_jRjT5_jjP12ihipStream_tbEUlT_E_NS1_11comp_targetILNS1_3genE2ELNS1_11target_archE906ELNS1_3gpuE6ELNS1_3repE0EEENS1_44radix_sort_block_sort_config_static_selectorELNS0_4arch9wavefront6targetE0EEEvSF_
	.p2align	8
	.type	_ZN7rocprim17ROCPRIM_400000_NS6detail17trampoline_kernelINS0_13kernel_configILj256ELj4ELj4294967295EEENS1_37radix_sort_block_sort_config_selectorIdNS0_10empty_typeEEEZNS1_21radix_sort_block_sortIS4_Lb1EPKdPdPS6_SC_NS0_19identity_decomposerEEE10hipError_tT1_T2_T3_T4_jRjT5_jjP12ihipStream_tbEUlT_E_NS1_11comp_targetILNS1_3genE2ELNS1_11target_archE906ELNS1_3gpuE6ELNS1_3repE0EEENS1_44radix_sort_block_sort_config_static_selectorELNS0_4arch9wavefront6targetE0EEEvSF_,@function
_ZN7rocprim17ROCPRIM_400000_NS6detail17trampoline_kernelINS0_13kernel_configILj256ELj4ELj4294967295EEENS1_37radix_sort_block_sort_config_selectorIdNS0_10empty_typeEEEZNS1_21radix_sort_block_sortIS4_Lb1EPKdPdPS6_SC_NS0_19identity_decomposerEEE10hipError_tT1_T2_T3_T4_jRjT5_jjP12ihipStream_tbEUlT_E_NS1_11comp_targetILNS1_3genE2ELNS1_11target_archE906ELNS1_3gpuE6ELNS1_3repE0EEENS1_44radix_sort_block_sort_config_static_selectorELNS0_4arch9wavefront6targetE0EEEvSF_: ; @_ZN7rocprim17ROCPRIM_400000_NS6detail17trampoline_kernelINS0_13kernel_configILj256ELj4ELj4294967295EEENS1_37radix_sort_block_sort_config_selectorIdNS0_10empty_typeEEEZNS1_21radix_sort_block_sortIS4_Lb1EPKdPdPS6_SC_NS0_19identity_decomposerEEE10hipError_tT1_T2_T3_T4_jRjT5_jjP12ihipStream_tbEUlT_E_NS1_11comp_targetILNS1_3genE2ELNS1_11target_archE906ELNS1_3gpuE6ELNS1_3repE0EEENS1_44radix_sort_block_sort_config_static_selectorELNS0_4arch9wavefront6targetE0EEEvSF_
; %bb.0:
	.section	.rodata,"a",@progbits
	.p2align	6, 0x0
	.amdhsa_kernel _ZN7rocprim17ROCPRIM_400000_NS6detail17trampoline_kernelINS0_13kernel_configILj256ELj4ELj4294967295EEENS1_37radix_sort_block_sort_config_selectorIdNS0_10empty_typeEEEZNS1_21radix_sort_block_sortIS4_Lb1EPKdPdPS6_SC_NS0_19identity_decomposerEEE10hipError_tT1_T2_T3_T4_jRjT5_jjP12ihipStream_tbEUlT_E_NS1_11comp_targetILNS1_3genE2ELNS1_11target_archE906ELNS1_3gpuE6ELNS1_3repE0EEENS1_44radix_sort_block_sort_config_static_selectorELNS0_4arch9wavefront6targetE0EEEvSF_
		.amdhsa_group_segment_fixed_size 0
		.amdhsa_private_segment_fixed_size 0
		.amdhsa_kernarg_size 48
		.amdhsa_user_sgpr_count 2
		.amdhsa_user_sgpr_dispatch_ptr 0
		.amdhsa_user_sgpr_queue_ptr 0
		.amdhsa_user_sgpr_kernarg_segment_ptr 1
		.amdhsa_user_sgpr_dispatch_id 0
		.amdhsa_user_sgpr_kernarg_preload_length 0
		.amdhsa_user_sgpr_kernarg_preload_offset 0
		.amdhsa_user_sgpr_private_segment_size 0
		.amdhsa_wavefront_size32 1
		.amdhsa_uses_dynamic_stack 0
		.amdhsa_enable_private_segment 0
		.amdhsa_system_sgpr_workgroup_id_x 1
		.amdhsa_system_sgpr_workgroup_id_y 0
		.amdhsa_system_sgpr_workgroup_id_z 0
		.amdhsa_system_sgpr_workgroup_info 0
		.amdhsa_system_vgpr_workitem_id 0
		.amdhsa_next_free_vgpr 1
		.amdhsa_next_free_sgpr 1
		.amdhsa_named_barrier_count 0
		.amdhsa_reserve_vcc 0
		.amdhsa_float_round_mode_32 0
		.amdhsa_float_round_mode_16_64 0
		.amdhsa_float_denorm_mode_32 3
		.amdhsa_float_denorm_mode_16_64 3
		.amdhsa_fp16_overflow 0
		.amdhsa_memory_ordered 1
		.amdhsa_forward_progress 1
		.amdhsa_inst_pref_size 0
		.amdhsa_round_robin_scheduling 0
		.amdhsa_exception_fp_ieee_invalid_op 0
		.amdhsa_exception_fp_denorm_src 0
		.amdhsa_exception_fp_ieee_div_zero 0
		.amdhsa_exception_fp_ieee_overflow 0
		.amdhsa_exception_fp_ieee_underflow 0
		.amdhsa_exception_fp_ieee_inexact 0
		.amdhsa_exception_int_div_zero 0
	.end_amdhsa_kernel
	.section	.text._ZN7rocprim17ROCPRIM_400000_NS6detail17trampoline_kernelINS0_13kernel_configILj256ELj4ELj4294967295EEENS1_37radix_sort_block_sort_config_selectorIdNS0_10empty_typeEEEZNS1_21radix_sort_block_sortIS4_Lb1EPKdPdPS6_SC_NS0_19identity_decomposerEEE10hipError_tT1_T2_T3_T4_jRjT5_jjP12ihipStream_tbEUlT_E_NS1_11comp_targetILNS1_3genE2ELNS1_11target_archE906ELNS1_3gpuE6ELNS1_3repE0EEENS1_44radix_sort_block_sort_config_static_selectorELNS0_4arch9wavefront6targetE0EEEvSF_,"axG",@progbits,_ZN7rocprim17ROCPRIM_400000_NS6detail17trampoline_kernelINS0_13kernel_configILj256ELj4ELj4294967295EEENS1_37radix_sort_block_sort_config_selectorIdNS0_10empty_typeEEEZNS1_21radix_sort_block_sortIS4_Lb1EPKdPdPS6_SC_NS0_19identity_decomposerEEE10hipError_tT1_T2_T3_T4_jRjT5_jjP12ihipStream_tbEUlT_E_NS1_11comp_targetILNS1_3genE2ELNS1_11target_archE906ELNS1_3gpuE6ELNS1_3repE0EEENS1_44radix_sort_block_sort_config_static_selectorELNS0_4arch9wavefront6targetE0EEEvSF_,comdat
.Lfunc_end1446:
	.size	_ZN7rocprim17ROCPRIM_400000_NS6detail17trampoline_kernelINS0_13kernel_configILj256ELj4ELj4294967295EEENS1_37radix_sort_block_sort_config_selectorIdNS0_10empty_typeEEEZNS1_21radix_sort_block_sortIS4_Lb1EPKdPdPS6_SC_NS0_19identity_decomposerEEE10hipError_tT1_T2_T3_T4_jRjT5_jjP12ihipStream_tbEUlT_E_NS1_11comp_targetILNS1_3genE2ELNS1_11target_archE906ELNS1_3gpuE6ELNS1_3repE0EEENS1_44radix_sort_block_sort_config_static_selectorELNS0_4arch9wavefront6targetE0EEEvSF_, .Lfunc_end1446-_ZN7rocprim17ROCPRIM_400000_NS6detail17trampoline_kernelINS0_13kernel_configILj256ELj4ELj4294967295EEENS1_37radix_sort_block_sort_config_selectorIdNS0_10empty_typeEEEZNS1_21radix_sort_block_sortIS4_Lb1EPKdPdPS6_SC_NS0_19identity_decomposerEEE10hipError_tT1_T2_T3_T4_jRjT5_jjP12ihipStream_tbEUlT_E_NS1_11comp_targetILNS1_3genE2ELNS1_11target_archE906ELNS1_3gpuE6ELNS1_3repE0EEENS1_44radix_sort_block_sort_config_static_selectorELNS0_4arch9wavefront6targetE0EEEvSF_
                                        ; -- End function
	.set _ZN7rocprim17ROCPRIM_400000_NS6detail17trampoline_kernelINS0_13kernel_configILj256ELj4ELj4294967295EEENS1_37radix_sort_block_sort_config_selectorIdNS0_10empty_typeEEEZNS1_21radix_sort_block_sortIS4_Lb1EPKdPdPS6_SC_NS0_19identity_decomposerEEE10hipError_tT1_T2_T3_T4_jRjT5_jjP12ihipStream_tbEUlT_E_NS1_11comp_targetILNS1_3genE2ELNS1_11target_archE906ELNS1_3gpuE6ELNS1_3repE0EEENS1_44radix_sort_block_sort_config_static_selectorELNS0_4arch9wavefront6targetE0EEEvSF_.num_vgpr, 0
	.set _ZN7rocprim17ROCPRIM_400000_NS6detail17trampoline_kernelINS0_13kernel_configILj256ELj4ELj4294967295EEENS1_37radix_sort_block_sort_config_selectorIdNS0_10empty_typeEEEZNS1_21radix_sort_block_sortIS4_Lb1EPKdPdPS6_SC_NS0_19identity_decomposerEEE10hipError_tT1_T2_T3_T4_jRjT5_jjP12ihipStream_tbEUlT_E_NS1_11comp_targetILNS1_3genE2ELNS1_11target_archE906ELNS1_3gpuE6ELNS1_3repE0EEENS1_44radix_sort_block_sort_config_static_selectorELNS0_4arch9wavefront6targetE0EEEvSF_.num_agpr, 0
	.set _ZN7rocprim17ROCPRIM_400000_NS6detail17trampoline_kernelINS0_13kernel_configILj256ELj4ELj4294967295EEENS1_37radix_sort_block_sort_config_selectorIdNS0_10empty_typeEEEZNS1_21radix_sort_block_sortIS4_Lb1EPKdPdPS6_SC_NS0_19identity_decomposerEEE10hipError_tT1_T2_T3_T4_jRjT5_jjP12ihipStream_tbEUlT_E_NS1_11comp_targetILNS1_3genE2ELNS1_11target_archE906ELNS1_3gpuE6ELNS1_3repE0EEENS1_44radix_sort_block_sort_config_static_selectorELNS0_4arch9wavefront6targetE0EEEvSF_.numbered_sgpr, 0
	.set _ZN7rocprim17ROCPRIM_400000_NS6detail17trampoline_kernelINS0_13kernel_configILj256ELj4ELj4294967295EEENS1_37radix_sort_block_sort_config_selectorIdNS0_10empty_typeEEEZNS1_21radix_sort_block_sortIS4_Lb1EPKdPdPS6_SC_NS0_19identity_decomposerEEE10hipError_tT1_T2_T3_T4_jRjT5_jjP12ihipStream_tbEUlT_E_NS1_11comp_targetILNS1_3genE2ELNS1_11target_archE906ELNS1_3gpuE6ELNS1_3repE0EEENS1_44radix_sort_block_sort_config_static_selectorELNS0_4arch9wavefront6targetE0EEEvSF_.num_named_barrier, 0
	.set _ZN7rocprim17ROCPRIM_400000_NS6detail17trampoline_kernelINS0_13kernel_configILj256ELj4ELj4294967295EEENS1_37radix_sort_block_sort_config_selectorIdNS0_10empty_typeEEEZNS1_21radix_sort_block_sortIS4_Lb1EPKdPdPS6_SC_NS0_19identity_decomposerEEE10hipError_tT1_T2_T3_T4_jRjT5_jjP12ihipStream_tbEUlT_E_NS1_11comp_targetILNS1_3genE2ELNS1_11target_archE906ELNS1_3gpuE6ELNS1_3repE0EEENS1_44radix_sort_block_sort_config_static_selectorELNS0_4arch9wavefront6targetE0EEEvSF_.private_seg_size, 0
	.set _ZN7rocprim17ROCPRIM_400000_NS6detail17trampoline_kernelINS0_13kernel_configILj256ELj4ELj4294967295EEENS1_37radix_sort_block_sort_config_selectorIdNS0_10empty_typeEEEZNS1_21radix_sort_block_sortIS4_Lb1EPKdPdPS6_SC_NS0_19identity_decomposerEEE10hipError_tT1_T2_T3_T4_jRjT5_jjP12ihipStream_tbEUlT_E_NS1_11comp_targetILNS1_3genE2ELNS1_11target_archE906ELNS1_3gpuE6ELNS1_3repE0EEENS1_44radix_sort_block_sort_config_static_selectorELNS0_4arch9wavefront6targetE0EEEvSF_.uses_vcc, 0
	.set _ZN7rocprim17ROCPRIM_400000_NS6detail17trampoline_kernelINS0_13kernel_configILj256ELj4ELj4294967295EEENS1_37radix_sort_block_sort_config_selectorIdNS0_10empty_typeEEEZNS1_21radix_sort_block_sortIS4_Lb1EPKdPdPS6_SC_NS0_19identity_decomposerEEE10hipError_tT1_T2_T3_T4_jRjT5_jjP12ihipStream_tbEUlT_E_NS1_11comp_targetILNS1_3genE2ELNS1_11target_archE906ELNS1_3gpuE6ELNS1_3repE0EEENS1_44radix_sort_block_sort_config_static_selectorELNS0_4arch9wavefront6targetE0EEEvSF_.uses_flat_scratch, 0
	.set _ZN7rocprim17ROCPRIM_400000_NS6detail17trampoline_kernelINS0_13kernel_configILj256ELj4ELj4294967295EEENS1_37radix_sort_block_sort_config_selectorIdNS0_10empty_typeEEEZNS1_21radix_sort_block_sortIS4_Lb1EPKdPdPS6_SC_NS0_19identity_decomposerEEE10hipError_tT1_T2_T3_T4_jRjT5_jjP12ihipStream_tbEUlT_E_NS1_11comp_targetILNS1_3genE2ELNS1_11target_archE906ELNS1_3gpuE6ELNS1_3repE0EEENS1_44radix_sort_block_sort_config_static_selectorELNS0_4arch9wavefront6targetE0EEEvSF_.has_dyn_sized_stack, 0
	.set _ZN7rocprim17ROCPRIM_400000_NS6detail17trampoline_kernelINS0_13kernel_configILj256ELj4ELj4294967295EEENS1_37radix_sort_block_sort_config_selectorIdNS0_10empty_typeEEEZNS1_21radix_sort_block_sortIS4_Lb1EPKdPdPS6_SC_NS0_19identity_decomposerEEE10hipError_tT1_T2_T3_T4_jRjT5_jjP12ihipStream_tbEUlT_E_NS1_11comp_targetILNS1_3genE2ELNS1_11target_archE906ELNS1_3gpuE6ELNS1_3repE0EEENS1_44radix_sort_block_sort_config_static_selectorELNS0_4arch9wavefront6targetE0EEEvSF_.has_recursion, 0
	.set _ZN7rocprim17ROCPRIM_400000_NS6detail17trampoline_kernelINS0_13kernel_configILj256ELj4ELj4294967295EEENS1_37radix_sort_block_sort_config_selectorIdNS0_10empty_typeEEEZNS1_21radix_sort_block_sortIS4_Lb1EPKdPdPS6_SC_NS0_19identity_decomposerEEE10hipError_tT1_T2_T3_T4_jRjT5_jjP12ihipStream_tbEUlT_E_NS1_11comp_targetILNS1_3genE2ELNS1_11target_archE906ELNS1_3gpuE6ELNS1_3repE0EEENS1_44radix_sort_block_sort_config_static_selectorELNS0_4arch9wavefront6targetE0EEEvSF_.has_indirect_call, 0
	.section	.AMDGPU.csdata,"",@progbits
; Kernel info:
; codeLenInByte = 0
; TotalNumSgprs: 0
; NumVgprs: 0
; ScratchSize: 0
; MemoryBound: 0
; FloatMode: 240
; IeeeMode: 1
; LDSByteSize: 0 bytes/workgroup (compile time only)
; SGPRBlocks: 0
; VGPRBlocks: 0
; NumSGPRsForWavesPerEU: 1
; NumVGPRsForWavesPerEU: 1
; NamedBarCnt: 0
; Occupancy: 16
; WaveLimiterHint : 0
; COMPUTE_PGM_RSRC2:SCRATCH_EN: 0
; COMPUTE_PGM_RSRC2:USER_SGPR: 2
; COMPUTE_PGM_RSRC2:TRAP_HANDLER: 0
; COMPUTE_PGM_RSRC2:TGID_X_EN: 1
; COMPUTE_PGM_RSRC2:TGID_Y_EN: 0
; COMPUTE_PGM_RSRC2:TGID_Z_EN: 0
; COMPUTE_PGM_RSRC2:TIDIG_COMP_CNT: 0
	.section	.text._ZN7rocprim17ROCPRIM_400000_NS6detail17trampoline_kernelINS0_13kernel_configILj256ELj4ELj4294967295EEENS1_37radix_sort_block_sort_config_selectorIdNS0_10empty_typeEEEZNS1_21radix_sort_block_sortIS4_Lb1EPKdPdPS6_SC_NS0_19identity_decomposerEEE10hipError_tT1_T2_T3_T4_jRjT5_jjP12ihipStream_tbEUlT_E_NS1_11comp_targetILNS1_3genE10ELNS1_11target_archE1201ELNS1_3gpuE5ELNS1_3repE0EEENS1_44radix_sort_block_sort_config_static_selectorELNS0_4arch9wavefront6targetE0EEEvSF_,"axG",@progbits,_ZN7rocprim17ROCPRIM_400000_NS6detail17trampoline_kernelINS0_13kernel_configILj256ELj4ELj4294967295EEENS1_37radix_sort_block_sort_config_selectorIdNS0_10empty_typeEEEZNS1_21radix_sort_block_sortIS4_Lb1EPKdPdPS6_SC_NS0_19identity_decomposerEEE10hipError_tT1_T2_T3_T4_jRjT5_jjP12ihipStream_tbEUlT_E_NS1_11comp_targetILNS1_3genE10ELNS1_11target_archE1201ELNS1_3gpuE5ELNS1_3repE0EEENS1_44radix_sort_block_sort_config_static_selectorELNS0_4arch9wavefront6targetE0EEEvSF_,comdat
	.protected	_ZN7rocprim17ROCPRIM_400000_NS6detail17trampoline_kernelINS0_13kernel_configILj256ELj4ELj4294967295EEENS1_37radix_sort_block_sort_config_selectorIdNS0_10empty_typeEEEZNS1_21radix_sort_block_sortIS4_Lb1EPKdPdPS6_SC_NS0_19identity_decomposerEEE10hipError_tT1_T2_T3_T4_jRjT5_jjP12ihipStream_tbEUlT_E_NS1_11comp_targetILNS1_3genE10ELNS1_11target_archE1201ELNS1_3gpuE5ELNS1_3repE0EEENS1_44radix_sort_block_sort_config_static_selectorELNS0_4arch9wavefront6targetE0EEEvSF_ ; -- Begin function _ZN7rocprim17ROCPRIM_400000_NS6detail17trampoline_kernelINS0_13kernel_configILj256ELj4ELj4294967295EEENS1_37radix_sort_block_sort_config_selectorIdNS0_10empty_typeEEEZNS1_21radix_sort_block_sortIS4_Lb1EPKdPdPS6_SC_NS0_19identity_decomposerEEE10hipError_tT1_T2_T3_T4_jRjT5_jjP12ihipStream_tbEUlT_E_NS1_11comp_targetILNS1_3genE10ELNS1_11target_archE1201ELNS1_3gpuE5ELNS1_3repE0EEENS1_44radix_sort_block_sort_config_static_selectorELNS0_4arch9wavefront6targetE0EEEvSF_
	.globl	_ZN7rocprim17ROCPRIM_400000_NS6detail17trampoline_kernelINS0_13kernel_configILj256ELj4ELj4294967295EEENS1_37radix_sort_block_sort_config_selectorIdNS0_10empty_typeEEEZNS1_21radix_sort_block_sortIS4_Lb1EPKdPdPS6_SC_NS0_19identity_decomposerEEE10hipError_tT1_T2_T3_T4_jRjT5_jjP12ihipStream_tbEUlT_E_NS1_11comp_targetILNS1_3genE10ELNS1_11target_archE1201ELNS1_3gpuE5ELNS1_3repE0EEENS1_44radix_sort_block_sort_config_static_selectorELNS0_4arch9wavefront6targetE0EEEvSF_
	.p2align	8
	.type	_ZN7rocprim17ROCPRIM_400000_NS6detail17trampoline_kernelINS0_13kernel_configILj256ELj4ELj4294967295EEENS1_37radix_sort_block_sort_config_selectorIdNS0_10empty_typeEEEZNS1_21radix_sort_block_sortIS4_Lb1EPKdPdPS6_SC_NS0_19identity_decomposerEEE10hipError_tT1_T2_T3_T4_jRjT5_jjP12ihipStream_tbEUlT_E_NS1_11comp_targetILNS1_3genE10ELNS1_11target_archE1201ELNS1_3gpuE5ELNS1_3repE0EEENS1_44radix_sort_block_sort_config_static_selectorELNS0_4arch9wavefront6targetE0EEEvSF_,@function
_ZN7rocprim17ROCPRIM_400000_NS6detail17trampoline_kernelINS0_13kernel_configILj256ELj4ELj4294967295EEENS1_37radix_sort_block_sort_config_selectorIdNS0_10empty_typeEEEZNS1_21radix_sort_block_sortIS4_Lb1EPKdPdPS6_SC_NS0_19identity_decomposerEEE10hipError_tT1_T2_T3_T4_jRjT5_jjP12ihipStream_tbEUlT_E_NS1_11comp_targetILNS1_3genE10ELNS1_11target_archE1201ELNS1_3gpuE5ELNS1_3repE0EEENS1_44radix_sort_block_sort_config_static_selectorELNS0_4arch9wavefront6targetE0EEEvSF_: ; @_ZN7rocprim17ROCPRIM_400000_NS6detail17trampoline_kernelINS0_13kernel_configILj256ELj4ELj4294967295EEENS1_37radix_sort_block_sort_config_selectorIdNS0_10empty_typeEEEZNS1_21radix_sort_block_sortIS4_Lb1EPKdPdPS6_SC_NS0_19identity_decomposerEEE10hipError_tT1_T2_T3_T4_jRjT5_jjP12ihipStream_tbEUlT_E_NS1_11comp_targetILNS1_3genE10ELNS1_11target_archE1201ELNS1_3gpuE5ELNS1_3repE0EEENS1_44radix_sort_block_sort_config_static_selectorELNS0_4arch9wavefront6targetE0EEEvSF_
; %bb.0:
	.section	.rodata,"a",@progbits
	.p2align	6, 0x0
	.amdhsa_kernel _ZN7rocprim17ROCPRIM_400000_NS6detail17trampoline_kernelINS0_13kernel_configILj256ELj4ELj4294967295EEENS1_37radix_sort_block_sort_config_selectorIdNS0_10empty_typeEEEZNS1_21radix_sort_block_sortIS4_Lb1EPKdPdPS6_SC_NS0_19identity_decomposerEEE10hipError_tT1_T2_T3_T4_jRjT5_jjP12ihipStream_tbEUlT_E_NS1_11comp_targetILNS1_3genE10ELNS1_11target_archE1201ELNS1_3gpuE5ELNS1_3repE0EEENS1_44radix_sort_block_sort_config_static_selectorELNS0_4arch9wavefront6targetE0EEEvSF_
		.amdhsa_group_segment_fixed_size 0
		.amdhsa_private_segment_fixed_size 0
		.amdhsa_kernarg_size 48
		.amdhsa_user_sgpr_count 2
		.amdhsa_user_sgpr_dispatch_ptr 0
		.amdhsa_user_sgpr_queue_ptr 0
		.amdhsa_user_sgpr_kernarg_segment_ptr 1
		.amdhsa_user_sgpr_dispatch_id 0
		.amdhsa_user_sgpr_kernarg_preload_length 0
		.amdhsa_user_sgpr_kernarg_preload_offset 0
		.amdhsa_user_sgpr_private_segment_size 0
		.amdhsa_wavefront_size32 1
		.amdhsa_uses_dynamic_stack 0
		.amdhsa_enable_private_segment 0
		.amdhsa_system_sgpr_workgroup_id_x 1
		.amdhsa_system_sgpr_workgroup_id_y 0
		.amdhsa_system_sgpr_workgroup_id_z 0
		.amdhsa_system_sgpr_workgroup_info 0
		.amdhsa_system_vgpr_workitem_id 0
		.amdhsa_next_free_vgpr 1
		.amdhsa_next_free_sgpr 1
		.amdhsa_named_barrier_count 0
		.amdhsa_reserve_vcc 0
		.amdhsa_float_round_mode_32 0
		.amdhsa_float_round_mode_16_64 0
		.amdhsa_float_denorm_mode_32 3
		.amdhsa_float_denorm_mode_16_64 3
		.amdhsa_fp16_overflow 0
		.amdhsa_memory_ordered 1
		.amdhsa_forward_progress 1
		.amdhsa_inst_pref_size 0
		.amdhsa_round_robin_scheduling 0
		.amdhsa_exception_fp_ieee_invalid_op 0
		.amdhsa_exception_fp_denorm_src 0
		.amdhsa_exception_fp_ieee_div_zero 0
		.amdhsa_exception_fp_ieee_overflow 0
		.amdhsa_exception_fp_ieee_underflow 0
		.amdhsa_exception_fp_ieee_inexact 0
		.amdhsa_exception_int_div_zero 0
	.end_amdhsa_kernel
	.section	.text._ZN7rocprim17ROCPRIM_400000_NS6detail17trampoline_kernelINS0_13kernel_configILj256ELj4ELj4294967295EEENS1_37radix_sort_block_sort_config_selectorIdNS0_10empty_typeEEEZNS1_21radix_sort_block_sortIS4_Lb1EPKdPdPS6_SC_NS0_19identity_decomposerEEE10hipError_tT1_T2_T3_T4_jRjT5_jjP12ihipStream_tbEUlT_E_NS1_11comp_targetILNS1_3genE10ELNS1_11target_archE1201ELNS1_3gpuE5ELNS1_3repE0EEENS1_44radix_sort_block_sort_config_static_selectorELNS0_4arch9wavefront6targetE0EEEvSF_,"axG",@progbits,_ZN7rocprim17ROCPRIM_400000_NS6detail17trampoline_kernelINS0_13kernel_configILj256ELj4ELj4294967295EEENS1_37radix_sort_block_sort_config_selectorIdNS0_10empty_typeEEEZNS1_21radix_sort_block_sortIS4_Lb1EPKdPdPS6_SC_NS0_19identity_decomposerEEE10hipError_tT1_T2_T3_T4_jRjT5_jjP12ihipStream_tbEUlT_E_NS1_11comp_targetILNS1_3genE10ELNS1_11target_archE1201ELNS1_3gpuE5ELNS1_3repE0EEENS1_44radix_sort_block_sort_config_static_selectorELNS0_4arch9wavefront6targetE0EEEvSF_,comdat
.Lfunc_end1447:
	.size	_ZN7rocprim17ROCPRIM_400000_NS6detail17trampoline_kernelINS0_13kernel_configILj256ELj4ELj4294967295EEENS1_37radix_sort_block_sort_config_selectorIdNS0_10empty_typeEEEZNS1_21radix_sort_block_sortIS4_Lb1EPKdPdPS6_SC_NS0_19identity_decomposerEEE10hipError_tT1_T2_T3_T4_jRjT5_jjP12ihipStream_tbEUlT_E_NS1_11comp_targetILNS1_3genE10ELNS1_11target_archE1201ELNS1_3gpuE5ELNS1_3repE0EEENS1_44radix_sort_block_sort_config_static_selectorELNS0_4arch9wavefront6targetE0EEEvSF_, .Lfunc_end1447-_ZN7rocprim17ROCPRIM_400000_NS6detail17trampoline_kernelINS0_13kernel_configILj256ELj4ELj4294967295EEENS1_37radix_sort_block_sort_config_selectorIdNS0_10empty_typeEEEZNS1_21radix_sort_block_sortIS4_Lb1EPKdPdPS6_SC_NS0_19identity_decomposerEEE10hipError_tT1_T2_T3_T4_jRjT5_jjP12ihipStream_tbEUlT_E_NS1_11comp_targetILNS1_3genE10ELNS1_11target_archE1201ELNS1_3gpuE5ELNS1_3repE0EEENS1_44radix_sort_block_sort_config_static_selectorELNS0_4arch9wavefront6targetE0EEEvSF_
                                        ; -- End function
	.set _ZN7rocprim17ROCPRIM_400000_NS6detail17trampoline_kernelINS0_13kernel_configILj256ELj4ELj4294967295EEENS1_37radix_sort_block_sort_config_selectorIdNS0_10empty_typeEEEZNS1_21radix_sort_block_sortIS4_Lb1EPKdPdPS6_SC_NS0_19identity_decomposerEEE10hipError_tT1_T2_T3_T4_jRjT5_jjP12ihipStream_tbEUlT_E_NS1_11comp_targetILNS1_3genE10ELNS1_11target_archE1201ELNS1_3gpuE5ELNS1_3repE0EEENS1_44radix_sort_block_sort_config_static_selectorELNS0_4arch9wavefront6targetE0EEEvSF_.num_vgpr, 0
	.set _ZN7rocprim17ROCPRIM_400000_NS6detail17trampoline_kernelINS0_13kernel_configILj256ELj4ELj4294967295EEENS1_37radix_sort_block_sort_config_selectorIdNS0_10empty_typeEEEZNS1_21radix_sort_block_sortIS4_Lb1EPKdPdPS6_SC_NS0_19identity_decomposerEEE10hipError_tT1_T2_T3_T4_jRjT5_jjP12ihipStream_tbEUlT_E_NS1_11comp_targetILNS1_3genE10ELNS1_11target_archE1201ELNS1_3gpuE5ELNS1_3repE0EEENS1_44radix_sort_block_sort_config_static_selectorELNS0_4arch9wavefront6targetE0EEEvSF_.num_agpr, 0
	.set _ZN7rocprim17ROCPRIM_400000_NS6detail17trampoline_kernelINS0_13kernel_configILj256ELj4ELj4294967295EEENS1_37radix_sort_block_sort_config_selectorIdNS0_10empty_typeEEEZNS1_21radix_sort_block_sortIS4_Lb1EPKdPdPS6_SC_NS0_19identity_decomposerEEE10hipError_tT1_T2_T3_T4_jRjT5_jjP12ihipStream_tbEUlT_E_NS1_11comp_targetILNS1_3genE10ELNS1_11target_archE1201ELNS1_3gpuE5ELNS1_3repE0EEENS1_44radix_sort_block_sort_config_static_selectorELNS0_4arch9wavefront6targetE0EEEvSF_.numbered_sgpr, 0
	.set _ZN7rocprim17ROCPRIM_400000_NS6detail17trampoline_kernelINS0_13kernel_configILj256ELj4ELj4294967295EEENS1_37radix_sort_block_sort_config_selectorIdNS0_10empty_typeEEEZNS1_21radix_sort_block_sortIS4_Lb1EPKdPdPS6_SC_NS0_19identity_decomposerEEE10hipError_tT1_T2_T3_T4_jRjT5_jjP12ihipStream_tbEUlT_E_NS1_11comp_targetILNS1_3genE10ELNS1_11target_archE1201ELNS1_3gpuE5ELNS1_3repE0EEENS1_44radix_sort_block_sort_config_static_selectorELNS0_4arch9wavefront6targetE0EEEvSF_.num_named_barrier, 0
	.set _ZN7rocprim17ROCPRIM_400000_NS6detail17trampoline_kernelINS0_13kernel_configILj256ELj4ELj4294967295EEENS1_37radix_sort_block_sort_config_selectorIdNS0_10empty_typeEEEZNS1_21radix_sort_block_sortIS4_Lb1EPKdPdPS6_SC_NS0_19identity_decomposerEEE10hipError_tT1_T2_T3_T4_jRjT5_jjP12ihipStream_tbEUlT_E_NS1_11comp_targetILNS1_3genE10ELNS1_11target_archE1201ELNS1_3gpuE5ELNS1_3repE0EEENS1_44radix_sort_block_sort_config_static_selectorELNS0_4arch9wavefront6targetE0EEEvSF_.private_seg_size, 0
	.set _ZN7rocprim17ROCPRIM_400000_NS6detail17trampoline_kernelINS0_13kernel_configILj256ELj4ELj4294967295EEENS1_37radix_sort_block_sort_config_selectorIdNS0_10empty_typeEEEZNS1_21radix_sort_block_sortIS4_Lb1EPKdPdPS6_SC_NS0_19identity_decomposerEEE10hipError_tT1_T2_T3_T4_jRjT5_jjP12ihipStream_tbEUlT_E_NS1_11comp_targetILNS1_3genE10ELNS1_11target_archE1201ELNS1_3gpuE5ELNS1_3repE0EEENS1_44radix_sort_block_sort_config_static_selectorELNS0_4arch9wavefront6targetE0EEEvSF_.uses_vcc, 0
	.set _ZN7rocprim17ROCPRIM_400000_NS6detail17trampoline_kernelINS0_13kernel_configILj256ELj4ELj4294967295EEENS1_37radix_sort_block_sort_config_selectorIdNS0_10empty_typeEEEZNS1_21radix_sort_block_sortIS4_Lb1EPKdPdPS6_SC_NS0_19identity_decomposerEEE10hipError_tT1_T2_T3_T4_jRjT5_jjP12ihipStream_tbEUlT_E_NS1_11comp_targetILNS1_3genE10ELNS1_11target_archE1201ELNS1_3gpuE5ELNS1_3repE0EEENS1_44radix_sort_block_sort_config_static_selectorELNS0_4arch9wavefront6targetE0EEEvSF_.uses_flat_scratch, 0
	.set _ZN7rocprim17ROCPRIM_400000_NS6detail17trampoline_kernelINS0_13kernel_configILj256ELj4ELj4294967295EEENS1_37radix_sort_block_sort_config_selectorIdNS0_10empty_typeEEEZNS1_21radix_sort_block_sortIS4_Lb1EPKdPdPS6_SC_NS0_19identity_decomposerEEE10hipError_tT1_T2_T3_T4_jRjT5_jjP12ihipStream_tbEUlT_E_NS1_11comp_targetILNS1_3genE10ELNS1_11target_archE1201ELNS1_3gpuE5ELNS1_3repE0EEENS1_44radix_sort_block_sort_config_static_selectorELNS0_4arch9wavefront6targetE0EEEvSF_.has_dyn_sized_stack, 0
	.set _ZN7rocprim17ROCPRIM_400000_NS6detail17trampoline_kernelINS0_13kernel_configILj256ELj4ELj4294967295EEENS1_37radix_sort_block_sort_config_selectorIdNS0_10empty_typeEEEZNS1_21radix_sort_block_sortIS4_Lb1EPKdPdPS6_SC_NS0_19identity_decomposerEEE10hipError_tT1_T2_T3_T4_jRjT5_jjP12ihipStream_tbEUlT_E_NS1_11comp_targetILNS1_3genE10ELNS1_11target_archE1201ELNS1_3gpuE5ELNS1_3repE0EEENS1_44radix_sort_block_sort_config_static_selectorELNS0_4arch9wavefront6targetE0EEEvSF_.has_recursion, 0
	.set _ZN7rocprim17ROCPRIM_400000_NS6detail17trampoline_kernelINS0_13kernel_configILj256ELj4ELj4294967295EEENS1_37radix_sort_block_sort_config_selectorIdNS0_10empty_typeEEEZNS1_21radix_sort_block_sortIS4_Lb1EPKdPdPS6_SC_NS0_19identity_decomposerEEE10hipError_tT1_T2_T3_T4_jRjT5_jjP12ihipStream_tbEUlT_E_NS1_11comp_targetILNS1_3genE10ELNS1_11target_archE1201ELNS1_3gpuE5ELNS1_3repE0EEENS1_44radix_sort_block_sort_config_static_selectorELNS0_4arch9wavefront6targetE0EEEvSF_.has_indirect_call, 0
	.section	.AMDGPU.csdata,"",@progbits
; Kernel info:
; codeLenInByte = 0
; TotalNumSgprs: 0
; NumVgprs: 0
; ScratchSize: 0
; MemoryBound: 0
; FloatMode: 240
; IeeeMode: 1
; LDSByteSize: 0 bytes/workgroup (compile time only)
; SGPRBlocks: 0
; VGPRBlocks: 0
; NumSGPRsForWavesPerEU: 1
; NumVGPRsForWavesPerEU: 1
; NamedBarCnt: 0
; Occupancy: 16
; WaveLimiterHint : 0
; COMPUTE_PGM_RSRC2:SCRATCH_EN: 0
; COMPUTE_PGM_RSRC2:USER_SGPR: 2
; COMPUTE_PGM_RSRC2:TRAP_HANDLER: 0
; COMPUTE_PGM_RSRC2:TGID_X_EN: 1
; COMPUTE_PGM_RSRC2:TGID_Y_EN: 0
; COMPUTE_PGM_RSRC2:TGID_Z_EN: 0
; COMPUTE_PGM_RSRC2:TIDIG_COMP_CNT: 0
	.section	.text._ZN7rocprim17ROCPRIM_400000_NS6detail17trampoline_kernelINS0_13kernel_configILj256ELj4ELj4294967295EEENS1_37radix_sort_block_sort_config_selectorIdNS0_10empty_typeEEEZNS1_21radix_sort_block_sortIS4_Lb1EPKdPdPS6_SC_NS0_19identity_decomposerEEE10hipError_tT1_T2_T3_T4_jRjT5_jjP12ihipStream_tbEUlT_E_NS1_11comp_targetILNS1_3genE10ELNS1_11target_archE1200ELNS1_3gpuE4ELNS1_3repE0EEENS1_44radix_sort_block_sort_config_static_selectorELNS0_4arch9wavefront6targetE0EEEvSF_,"axG",@progbits,_ZN7rocprim17ROCPRIM_400000_NS6detail17trampoline_kernelINS0_13kernel_configILj256ELj4ELj4294967295EEENS1_37radix_sort_block_sort_config_selectorIdNS0_10empty_typeEEEZNS1_21radix_sort_block_sortIS4_Lb1EPKdPdPS6_SC_NS0_19identity_decomposerEEE10hipError_tT1_T2_T3_T4_jRjT5_jjP12ihipStream_tbEUlT_E_NS1_11comp_targetILNS1_3genE10ELNS1_11target_archE1200ELNS1_3gpuE4ELNS1_3repE0EEENS1_44radix_sort_block_sort_config_static_selectorELNS0_4arch9wavefront6targetE0EEEvSF_,comdat
	.protected	_ZN7rocprim17ROCPRIM_400000_NS6detail17trampoline_kernelINS0_13kernel_configILj256ELj4ELj4294967295EEENS1_37radix_sort_block_sort_config_selectorIdNS0_10empty_typeEEEZNS1_21radix_sort_block_sortIS4_Lb1EPKdPdPS6_SC_NS0_19identity_decomposerEEE10hipError_tT1_T2_T3_T4_jRjT5_jjP12ihipStream_tbEUlT_E_NS1_11comp_targetILNS1_3genE10ELNS1_11target_archE1200ELNS1_3gpuE4ELNS1_3repE0EEENS1_44radix_sort_block_sort_config_static_selectorELNS0_4arch9wavefront6targetE0EEEvSF_ ; -- Begin function _ZN7rocprim17ROCPRIM_400000_NS6detail17trampoline_kernelINS0_13kernel_configILj256ELj4ELj4294967295EEENS1_37radix_sort_block_sort_config_selectorIdNS0_10empty_typeEEEZNS1_21radix_sort_block_sortIS4_Lb1EPKdPdPS6_SC_NS0_19identity_decomposerEEE10hipError_tT1_T2_T3_T4_jRjT5_jjP12ihipStream_tbEUlT_E_NS1_11comp_targetILNS1_3genE10ELNS1_11target_archE1200ELNS1_3gpuE4ELNS1_3repE0EEENS1_44radix_sort_block_sort_config_static_selectorELNS0_4arch9wavefront6targetE0EEEvSF_
	.globl	_ZN7rocprim17ROCPRIM_400000_NS6detail17trampoline_kernelINS0_13kernel_configILj256ELj4ELj4294967295EEENS1_37radix_sort_block_sort_config_selectorIdNS0_10empty_typeEEEZNS1_21radix_sort_block_sortIS4_Lb1EPKdPdPS6_SC_NS0_19identity_decomposerEEE10hipError_tT1_T2_T3_T4_jRjT5_jjP12ihipStream_tbEUlT_E_NS1_11comp_targetILNS1_3genE10ELNS1_11target_archE1200ELNS1_3gpuE4ELNS1_3repE0EEENS1_44radix_sort_block_sort_config_static_selectorELNS0_4arch9wavefront6targetE0EEEvSF_
	.p2align	8
	.type	_ZN7rocprim17ROCPRIM_400000_NS6detail17trampoline_kernelINS0_13kernel_configILj256ELj4ELj4294967295EEENS1_37radix_sort_block_sort_config_selectorIdNS0_10empty_typeEEEZNS1_21radix_sort_block_sortIS4_Lb1EPKdPdPS6_SC_NS0_19identity_decomposerEEE10hipError_tT1_T2_T3_T4_jRjT5_jjP12ihipStream_tbEUlT_E_NS1_11comp_targetILNS1_3genE10ELNS1_11target_archE1200ELNS1_3gpuE4ELNS1_3repE0EEENS1_44radix_sort_block_sort_config_static_selectorELNS0_4arch9wavefront6targetE0EEEvSF_,@function
_ZN7rocprim17ROCPRIM_400000_NS6detail17trampoline_kernelINS0_13kernel_configILj256ELj4ELj4294967295EEENS1_37radix_sort_block_sort_config_selectorIdNS0_10empty_typeEEEZNS1_21radix_sort_block_sortIS4_Lb1EPKdPdPS6_SC_NS0_19identity_decomposerEEE10hipError_tT1_T2_T3_T4_jRjT5_jjP12ihipStream_tbEUlT_E_NS1_11comp_targetILNS1_3genE10ELNS1_11target_archE1200ELNS1_3gpuE4ELNS1_3repE0EEENS1_44radix_sort_block_sort_config_static_selectorELNS0_4arch9wavefront6targetE0EEEvSF_: ; @_ZN7rocprim17ROCPRIM_400000_NS6detail17trampoline_kernelINS0_13kernel_configILj256ELj4ELj4294967295EEENS1_37radix_sort_block_sort_config_selectorIdNS0_10empty_typeEEEZNS1_21radix_sort_block_sortIS4_Lb1EPKdPdPS6_SC_NS0_19identity_decomposerEEE10hipError_tT1_T2_T3_T4_jRjT5_jjP12ihipStream_tbEUlT_E_NS1_11comp_targetILNS1_3genE10ELNS1_11target_archE1200ELNS1_3gpuE4ELNS1_3repE0EEENS1_44radix_sort_block_sort_config_static_selectorELNS0_4arch9wavefront6targetE0EEEvSF_
; %bb.0:
	.section	.rodata,"a",@progbits
	.p2align	6, 0x0
	.amdhsa_kernel _ZN7rocprim17ROCPRIM_400000_NS6detail17trampoline_kernelINS0_13kernel_configILj256ELj4ELj4294967295EEENS1_37radix_sort_block_sort_config_selectorIdNS0_10empty_typeEEEZNS1_21radix_sort_block_sortIS4_Lb1EPKdPdPS6_SC_NS0_19identity_decomposerEEE10hipError_tT1_T2_T3_T4_jRjT5_jjP12ihipStream_tbEUlT_E_NS1_11comp_targetILNS1_3genE10ELNS1_11target_archE1200ELNS1_3gpuE4ELNS1_3repE0EEENS1_44radix_sort_block_sort_config_static_selectorELNS0_4arch9wavefront6targetE0EEEvSF_
		.amdhsa_group_segment_fixed_size 0
		.amdhsa_private_segment_fixed_size 0
		.amdhsa_kernarg_size 48
		.amdhsa_user_sgpr_count 2
		.amdhsa_user_sgpr_dispatch_ptr 0
		.amdhsa_user_sgpr_queue_ptr 0
		.amdhsa_user_sgpr_kernarg_segment_ptr 1
		.amdhsa_user_sgpr_dispatch_id 0
		.amdhsa_user_sgpr_kernarg_preload_length 0
		.amdhsa_user_sgpr_kernarg_preload_offset 0
		.amdhsa_user_sgpr_private_segment_size 0
		.amdhsa_wavefront_size32 1
		.amdhsa_uses_dynamic_stack 0
		.amdhsa_enable_private_segment 0
		.amdhsa_system_sgpr_workgroup_id_x 1
		.amdhsa_system_sgpr_workgroup_id_y 0
		.amdhsa_system_sgpr_workgroup_id_z 0
		.amdhsa_system_sgpr_workgroup_info 0
		.amdhsa_system_vgpr_workitem_id 0
		.amdhsa_next_free_vgpr 1
		.amdhsa_next_free_sgpr 1
		.amdhsa_named_barrier_count 0
		.amdhsa_reserve_vcc 0
		.amdhsa_float_round_mode_32 0
		.amdhsa_float_round_mode_16_64 0
		.amdhsa_float_denorm_mode_32 3
		.amdhsa_float_denorm_mode_16_64 3
		.amdhsa_fp16_overflow 0
		.amdhsa_memory_ordered 1
		.amdhsa_forward_progress 1
		.amdhsa_inst_pref_size 0
		.amdhsa_round_robin_scheduling 0
		.amdhsa_exception_fp_ieee_invalid_op 0
		.amdhsa_exception_fp_denorm_src 0
		.amdhsa_exception_fp_ieee_div_zero 0
		.amdhsa_exception_fp_ieee_overflow 0
		.amdhsa_exception_fp_ieee_underflow 0
		.amdhsa_exception_fp_ieee_inexact 0
		.amdhsa_exception_int_div_zero 0
	.end_amdhsa_kernel
	.section	.text._ZN7rocprim17ROCPRIM_400000_NS6detail17trampoline_kernelINS0_13kernel_configILj256ELj4ELj4294967295EEENS1_37radix_sort_block_sort_config_selectorIdNS0_10empty_typeEEEZNS1_21radix_sort_block_sortIS4_Lb1EPKdPdPS6_SC_NS0_19identity_decomposerEEE10hipError_tT1_T2_T3_T4_jRjT5_jjP12ihipStream_tbEUlT_E_NS1_11comp_targetILNS1_3genE10ELNS1_11target_archE1200ELNS1_3gpuE4ELNS1_3repE0EEENS1_44radix_sort_block_sort_config_static_selectorELNS0_4arch9wavefront6targetE0EEEvSF_,"axG",@progbits,_ZN7rocprim17ROCPRIM_400000_NS6detail17trampoline_kernelINS0_13kernel_configILj256ELj4ELj4294967295EEENS1_37radix_sort_block_sort_config_selectorIdNS0_10empty_typeEEEZNS1_21radix_sort_block_sortIS4_Lb1EPKdPdPS6_SC_NS0_19identity_decomposerEEE10hipError_tT1_T2_T3_T4_jRjT5_jjP12ihipStream_tbEUlT_E_NS1_11comp_targetILNS1_3genE10ELNS1_11target_archE1200ELNS1_3gpuE4ELNS1_3repE0EEENS1_44radix_sort_block_sort_config_static_selectorELNS0_4arch9wavefront6targetE0EEEvSF_,comdat
.Lfunc_end1448:
	.size	_ZN7rocprim17ROCPRIM_400000_NS6detail17trampoline_kernelINS0_13kernel_configILj256ELj4ELj4294967295EEENS1_37radix_sort_block_sort_config_selectorIdNS0_10empty_typeEEEZNS1_21radix_sort_block_sortIS4_Lb1EPKdPdPS6_SC_NS0_19identity_decomposerEEE10hipError_tT1_T2_T3_T4_jRjT5_jjP12ihipStream_tbEUlT_E_NS1_11comp_targetILNS1_3genE10ELNS1_11target_archE1200ELNS1_3gpuE4ELNS1_3repE0EEENS1_44radix_sort_block_sort_config_static_selectorELNS0_4arch9wavefront6targetE0EEEvSF_, .Lfunc_end1448-_ZN7rocprim17ROCPRIM_400000_NS6detail17trampoline_kernelINS0_13kernel_configILj256ELj4ELj4294967295EEENS1_37radix_sort_block_sort_config_selectorIdNS0_10empty_typeEEEZNS1_21radix_sort_block_sortIS4_Lb1EPKdPdPS6_SC_NS0_19identity_decomposerEEE10hipError_tT1_T2_T3_T4_jRjT5_jjP12ihipStream_tbEUlT_E_NS1_11comp_targetILNS1_3genE10ELNS1_11target_archE1200ELNS1_3gpuE4ELNS1_3repE0EEENS1_44radix_sort_block_sort_config_static_selectorELNS0_4arch9wavefront6targetE0EEEvSF_
                                        ; -- End function
	.set _ZN7rocprim17ROCPRIM_400000_NS6detail17trampoline_kernelINS0_13kernel_configILj256ELj4ELj4294967295EEENS1_37radix_sort_block_sort_config_selectorIdNS0_10empty_typeEEEZNS1_21radix_sort_block_sortIS4_Lb1EPKdPdPS6_SC_NS0_19identity_decomposerEEE10hipError_tT1_T2_T3_T4_jRjT5_jjP12ihipStream_tbEUlT_E_NS1_11comp_targetILNS1_3genE10ELNS1_11target_archE1200ELNS1_3gpuE4ELNS1_3repE0EEENS1_44radix_sort_block_sort_config_static_selectorELNS0_4arch9wavefront6targetE0EEEvSF_.num_vgpr, 0
	.set _ZN7rocprim17ROCPRIM_400000_NS6detail17trampoline_kernelINS0_13kernel_configILj256ELj4ELj4294967295EEENS1_37radix_sort_block_sort_config_selectorIdNS0_10empty_typeEEEZNS1_21radix_sort_block_sortIS4_Lb1EPKdPdPS6_SC_NS0_19identity_decomposerEEE10hipError_tT1_T2_T3_T4_jRjT5_jjP12ihipStream_tbEUlT_E_NS1_11comp_targetILNS1_3genE10ELNS1_11target_archE1200ELNS1_3gpuE4ELNS1_3repE0EEENS1_44radix_sort_block_sort_config_static_selectorELNS0_4arch9wavefront6targetE0EEEvSF_.num_agpr, 0
	.set _ZN7rocprim17ROCPRIM_400000_NS6detail17trampoline_kernelINS0_13kernel_configILj256ELj4ELj4294967295EEENS1_37radix_sort_block_sort_config_selectorIdNS0_10empty_typeEEEZNS1_21radix_sort_block_sortIS4_Lb1EPKdPdPS6_SC_NS0_19identity_decomposerEEE10hipError_tT1_T2_T3_T4_jRjT5_jjP12ihipStream_tbEUlT_E_NS1_11comp_targetILNS1_3genE10ELNS1_11target_archE1200ELNS1_3gpuE4ELNS1_3repE0EEENS1_44radix_sort_block_sort_config_static_selectorELNS0_4arch9wavefront6targetE0EEEvSF_.numbered_sgpr, 0
	.set _ZN7rocprim17ROCPRIM_400000_NS6detail17trampoline_kernelINS0_13kernel_configILj256ELj4ELj4294967295EEENS1_37radix_sort_block_sort_config_selectorIdNS0_10empty_typeEEEZNS1_21radix_sort_block_sortIS4_Lb1EPKdPdPS6_SC_NS0_19identity_decomposerEEE10hipError_tT1_T2_T3_T4_jRjT5_jjP12ihipStream_tbEUlT_E_NS1_11comp_targetILNS1_3genE10ELNS1_11target_archE1200ELNS1_3gpuE4ELNS1_3repE0EEENS1_44radix_sort_block_sort_config_static_selectorELNS0_4arch9wavefront6targetE0EEEvSF_.num_named_barrier, 0
	.set _ZN7rocprim17ROCPRIM_400000_NS6detail17trampoline_kernelINS0_13kernel_configILj256ELj4ELj4294967295EEENS1_37radix_sort_block_sort_config_selectorIdNS0_10empty_typeEEEZNS1_21radix_sort_block_sortIS4_Lb1EPKdPdPS6_SC_NS0_19identity_decomposerEEE10hipError_tT1_T2_T3_T4_jRjT5_jjP12ihipStream_tbEUlT_E_NS1_11comp_targetILNS1_3genE10ELNS1_11target_archE1200ELNS1_3gpuE4ELNS1_3repE0EEENS1_44radix_sort_block_sort_config_static_selectorELNS0_4arch9wavefront6targetE0EEEvSF_.private_seg_size, 0
	.set _ZN7rocprim17ROCPRIM_400000_NS6detail17trampoline_kernelINS0_13kernel_configILj256ELj4ELj4294967295EEENS1_37radix_sort_block_sort_config_selectorIdNS0_10empty_typeEEEZNS1_21radix_sort_block_sortIS4_Lb1EPKdPdPS6_SC_NS0_19identity_decomposerEEE10hipError_tT1_T2_T3_T4_jRjT5_jjP12ihipStream_tbEUlT_E_NS1_11comp_targetILNS1_3genE10ELNS1_11target_archE1200ELNS1_3gpuE4ELNS1_3repE0EEENS1_44radix_sort_block_sort_config_static_selectorELNS0_4arch9wavefront6targetE0EEEvSF_.uses_vcc, 0
	.set _ZN7rocprim17ROCPRIM_400000_NS6detail17trampoline_kernelINS0_13kernel_configILj256ELj4ELj4294967295EEENS1_37radix_sort_block_sort_config_selectorIdNS0_10empty_typeEEEZNS1_21radix_sort_block_sortIS4_Lb1EPKdPdPS6_SC_NS0_19identity_decomposerEEE10hipError_tT1_T2_T3_T4_jRjT5_jjP12ihipStream_tbEUlT_E_NS1_11comp_targetILNS1_3genE10ELNS1_11target_archE1200ELNS1_3gpuE4ELNS1_3repE0EEENS1_44radix_sort_block_sort_config_static_selectorELNS0_4arch9wavefront6targetE0EEEvSF_.uses_flat_scratch, 0
	.set _ZN7rocprim17ROCPRIM_400000_NS6detail17trampoline_kernelINS0_13kernel_configILj256ELj4ELj4294967295EEENS1_37radix_sort_block_sort_config_selectorIdNS0_10empty_typeEEEZNS1_21radix_sort_block_sortIS4_Lb1EPKdPdPS6_SC_NS0_19identity_decomposerEEE10hipError_tT1_T2_T3_T4_jRjT5_jjP12ihipStream_tbEUlT_E_NS1_11comp_targetILNS1_3genE10ELNS1_11target_archE1200ELNS1_3gpuE4ELNS1_3repE0EEENS1_44radix_sort_block_sort_config_static_selectorELNS0_4arch9wavefront6targetE0EEEvSF_.has_dyn_sized_stack, 0
	.set _ZN7rocprim17ROCPRIM_400000_NS6detail17trampoline_kernelINS0_13kernel_configILj256ELj4ELj4294967295EEENS1_37radix_sort_block_sort_config_selectorIdNS0_10empty_typeEEEZNS1_21radix_sort_block_sortIS4_Lb1EPKdPdPS6_SC_NS0_19identity_decomposerEEE10hipError_tT1_T2_T3_T4_jRjT5_jjP12ihipStream_tbEUlT_E_NS1_11comp_targetILNS1_3genE10ELNS1_11target_archE1200ELNS1_3gpuE4ELNS1_3repE0EEENS1_44radix_sort_block_sort_config_static_selectorELNS0_4arch9wavefront6targetE0EEEvSF_.has_recursion, 0
	.set _ZN7rocprim17ROCPRIM_400000_NS6detail17trampoline_kernelINS0_13kernel_configILj256ELj4ELj4294967295EEENS1_37radix_sort_block_sort_config_selectorIdNS0_10empty_typeEEEZNS1_21radix_sort_block_sortIS4_Lb1EPKdPdPS6_SC_NS0_19identity_decomposerEEE10hipError_tT1_T2_T3_T4_jRjT5_jjP12ihipStream_tbEUlT_E_NS1_11comp_targetILNS1_3genE10ELNS1_11target_archE1200ELNS1_3gpuE4ELNS1_3repE0EEENS1_44radix_sort_block_sort_config_static_selectorELNS0_4arch9wavefront6targetE0EEEvSF_.has_indirect_call, 0
	.section	.AMDGPU.csdata,"",@progbits
; Kernel info:
; codeLenInByte = 0
; TotalNumSgprs: 0
; NumVgprs: 0
; ScratchSize: 0
; MemoryBound: 0
; FloatMode: 240
; IeeeMode: 1
; LDSByteSize: 0 bytes/workgroup (compile time only)
; SGPRBlocks: 0
; VGPRBlocks: 0
; NumSGPRsForWavesPerEU: 1
; NumVGPRsForWavesPerEU: 1
; NamedBarCnt: 0
; Occupancy: 16
; WaveLimiterHint : 0
; COMPUTE_PGM_RSRC2:SCRATCH_EN: 0
; COMPUTE_PGM_RSRC2:USER_SGPR: 2
; COMPUTE_PGM_RSRC2:TRAP_HANDLER: 0
; COMPUTE_PGM_RSRC2:TGID_X_EN: 1
; COMPUTE_PGM_RSRC2:TGID_Y_EN: 0
; COMPUTE_PGM_RSRC2:TGID_Z_EN: 0
; COMPUTE_PGM_RSRC2:TIDIG_COMP_CNT: 0
	.section	.text._ZN7rocprim17ROCPRIM_400000_NS6detail17trampoline_kernelINS0_13kernel_configILj256ELj4ELj4294967295EEENS1_37radix_sort_block_sort_config_selectorIdNS0_10empty_typeEEEZNS1_21radix_sort_block_sortIS4_Lb1EPKdPdPS6_SC_NS0_19identity_decomposerEEE10hipError_tT1_T2_T3_T4_jRjT5_jjP12ihipStream_tbEUlT_E_NS1_11comp_targetILNS1_3genE9ELNS1_11target_archE1100ELNS1_3gpuE3ELNS1_3repE0EEENS1_44radix_sort_block_sort_config_static_selectorELNS0_4arch9wavefront6targetE0EEEvSF_,"axG",@progbits,_ZN7rocprim17ROCPRIM_400000_NS6detail17trampoline_kernelINS0_13kernel_configILj256ELj4ELj4294967295EEENS1_37radix_sort_block_sort_config_selectorIdNS0_10empty_typeEEEZNS1_21radix_sort_block_sortIS4_Lb1EPKdPdPS6_SC_NS0_19identity_decomposerEEE10hipError_tT1_T2_T3_T4_jRjT5_jjP12ihipStream_tbEUlT_E_NS1_11comp_targetILNS1_3genE9ELNS1_11target_archE1100ELNS1_3gpuE3ELNS1_3repE0EEENS1_44radix_sort_block_sort_config_static_selectorELNS0_4arch9wavefront6targetE0EEEvSF_,comdat
	.protected	_ZN7rocprim17ROCPRIM_400000_NS6detail17trampoline_kernelINS0_13kernel_configILj256ELj4ELj4294967295EEENS1_37radix_sort_block_sort_config_selectorIdNS0_10empty_typeEEEZNS1_21radix_sort_block_sortIS4_Lb1EPKdPdPS6_SC_NS0_19identity_decomposerEEE10hipError_tT1_T2_T3_T4_jRjT5_jjP12ihipStream_tbEUlT_E_NS1_11comp_targetILNS1_3genE9ELNS1_11target_archE1100ELNS1_3gpuE3ELNS1_3repE0EEENS1_44radix_sort_block_sort_config_static_selectorELNS0_4arch9wavefront6targetE0EEEvSF_ ; -- Begin function _ZN7rocprim17ROCPRIM_400000_NS6detail17trampoline_kernelINS0_13kernel_configILj256ELj4ELj4294967295EEENS1_37radix_sort_block_sort_config_selectorIdNS0_10empty_typeEEEZNS1_21radix_sort_block_sortIS4_Lb1EPKdPdPS6_SC_NS0_19identity_decomposerEEE10hipError_tT1_T2_T3_T4_jRjT5_jjP12ihipStream_tbEUlT_E_NS1_11comp_targetILNS1_3genE9ELNS1_11target_archE1100ELNS1_3gpuE3ELNS1_3repE0EEENS1_44radix_sort_block_sort_config_static_selectorELNS0_4arch9wavefront6targetE0EEEvSF_
	.globl	_ZN7rocprim17ROCPRIM_400000_NS6detail17trampoline_kernelINS0_13kernel_configILj256ELj4ELj4294967295EEENS1_37radix_sort_block_sort_config_selectorIdNS0_10empty_typeEEEZNS1_21radix_sort_block_sortIS4_Lb1EPKdPdPS6_SC_NS0_19identity_decomposerEEE10hipError_tT1_T2_T3_T4_jRjT5_jjP12ihipStream_tbEUlT_E_NS1_11comp_targetILNS1_3genE9ELNS1_11target_archE1100ELNS1_3gpuE3ELNS1_3repE0EEENS1_44radix_sort_block_sort_config_static_selectorELNS0_4arch9wavefront6targetE0EEEvSF_
	.p2align	8
	.type	_ZN7rocprim17ROCPRIM_400000_NS6detail17trampoline_kernelINS0_13kernel_configILj256ELj4ELj4294967295EEENS1_37radix_sort_block_sort_config_selectorIdNS0_10empty_typeEEEZNS1_21radix_sort_block_sortIS4_Lb1EPKdPdPS6_SC_NS0_19identity_decomposerEEE10hipError_tT1_T2_T3_T4_jRjT5_jjP12ihipStream_tbEUlT_E_NS1_11comp_targetILNS1_3genE9ELNS1_11target_archE1100ELNS1_3gpuE3ELNS1_3repE0EEENS1_44radix_sort_block_sort_config_static_selectorELNS0_4arch9wavefront6targetE0EEEvSF_,@function
_ZN7rocprim17ROCPRIM_400000_NS6detail17trampoline_kernelINS0_13kernel_configILj256ELj4ELj4294967295EEENS1_37radix_sort_block_sort_config_selectorIdNS0_10empty_typeEEEZNS1_21radix_sort_block_sortIS4_Lb1EPKdPdPS6_SC_NS0_19identity_decomposerEEE10hipError_tT1_T2_T3_T4_jRjT5_jjP12ihipStream_tbEUlT_E_NS1_11comp_targetILNS1_3genE9ELNS1_11target_archE1100ELNS1_3gpuE3ELNS1_3repE0EEENS1_44radix_sort_block_sort_config_static_selectorELNS0_4arch9wavefront6targetE0EEEvSF_: ; @_ZN7rocprim17ROCPRIM_400000_NS6detail17trampoline_kernelINS0_13kernel_configILj256ELj4ELj4294967295EEENS1_37radix_sort_block_sort_config_selectorIdNS0_10empty_typeEEEZNS1_21radix_sort_block_sortIS4_Lb1EPKdPdPS6_SC_NS0_19identity_decomposerEEE10hipError_tT1_T2_T3_T4_jRjT5_jjP12ihipStream_tbEUlT_E_NS1_11comp_targetILNS1_3genE9ELNS1_11target_archE1100ELNS1_3gpuE3ELNS1_3repE0EEENS1_44radix_sort_block_sort_config_static_selectorELNS0_4arch9wavefront6targetE0EEEvSF_
; %bb.0:
	.section	.rodata,"a",@progbits
	.p2align	6, 0x0
	.amdhsa_kernel _ZN7rocprim17ROCPRIM_400000_NS6detail17trampoline_kernelINS0_13kernel_configILj256ELj4ELj4294967295EEENS1_37radix_sort_block_sort_config_selectorIdNS0_10empty_typeEEEZNS1_21radix_sort_block_sortIS4_Lb1EPKdPdPS6_SC_NS0_19identity_decomposerEEE10hipError_tT1_T2_T3_T4_jRjT5_jjP12ihipStream_tbEUlT_E_NS1_11comp_targetILNS1_3genE9ELNS1_11target_archE1100ELNS1_3gpuE3ELNS1_3repE0EEENS1_44radix_sort_block_sort_config_static_selectorELNS0_4arch9wavefront6targetE0EEEvSF_
		.amdhsa_group_segment_fixed_size 0
		.amdhsa_private_segment_fixed_size 0
		.amdhsa_kernarg_size 48
		.amdhsa_user_sgpr_count 2
		.amdhsa_user_sgpr_dispatch_ptr 0
		.amdhsa_user_sgpr_queue_ptr 0
		.amdhsa_user_sgpr_kernarg_segment_ptr 1
		.amdhsa_user_sgpr_dispatch_id 0
		.amdhsa_user_sgpr_kernarg_preload_length 0
		.amdhsa_user_sgpr_kernarg_preload_offset 0
		.amdhsa_user_sgpr_private_segment_size 0
		.amdhsa_wavefront_size32 1
		.amdhsa_uses_dynamic_stack 0
		.amdhsa_enable_private_segment 0
		.amdhsa_system_sgpr_workgroup_id_x 1
		.amdhsa_system_sgpr_workgroup_id_y 0
		.amdhsa_system_sgpr_workgroup_id_z 0
		.amdhsa_system_sgpr_workgroup_info 0
		.amdhsa_system_vgpr_workitem_id 0
		.amdhsa_next_free_vgpr 1
		.amdhsa_next_free_sgpr 1
		.amdhsa_named_barrier_count 0
		.amdhsa_reserve_vcc 0
		.amdhsa_float_round_mode_32 0
		.amdhsa_float_round_mode_16_64 0
		.amdhsa_float_denorm_mode_32 3
		.amdhsa_float_denorm_mode_16_64 3
		.amdhsa_fp16_overflow 0
		.amdhsa_memory_ordered 1
		.amdhsa_forward_progress 1
		.amdhsa_inst_pref_size 0
		.amdhsa_round_robin_scheduling 0
		.amdhsa_exception_fp_ieee_invalid_op 0
		.amdhsa_exception_fp_denorm_src 0
		.amdhsa_exception_fp_ieee_div_zero 0
		.amdhsa_exception_fp_ieee_overflow 0
		.amdhsa_exception_fp_ieee_underflow 0
		.amdhsa_exception_fp_ieee_inexact 0
		.amdhsa_exception_int_div_zero 0
	.end_amdhsa_kernel
	.section	.text._ZN7rocprim17ROCPRIM_400000_NS6detail17trampoline_kernelINS0_13kernel_configILj256ELj4ELj4294967295EEENS1_37radix_sort_block_sort_config_selectorIdNS0_10empty_typeEEEZNS1_21radix_sort_block_sortIS4_Lb1EPKdPdPS6_SC_NS0_19identity_decomposerEEE10hipError_tT1_T2_T3_T4_jRjT5_jjP12ihipStream_tbEUlT_E_NS1_11comp_targetILNS1_3genE9ELNS1_11target_archE1100ELNS1_3gpuE3ELNS1_3repE0EEENS1_44radix_sort_block_sort_config_static_selectorELNS0_4arch9wavefront6targetE0EEEvSF_,"axG",@progbits,_ZN7rocprim17ROCPRIM_400000_NS6detail17trampoline_kernelINS0_13kernel_configILj256ELj4ELj4294967295EEENS1_37radix_sort_block_sort_config_selectorIdNS0_10empty_typeEEEZNS1_21radix_sort_block_sortIS4_Lb1EPKdPdPS6_SC_NS0_19identity_decomposerEEE10hipError_tT1_T2_T3_T4_jRjT5_jjP12ihipStream_tbEUlT_E_NS1_11comp_targetILNS1_3genE9ELNS1_11target_archE1100ELNS1_3gpuE3ELNS1_3repE0EEENS1_44radix_sort_block_sort_config_static_selectorELNS0_4arch9wavefront6targetE0EEEvSF_,comdat
.Lfunc_end1449:
	.size	_ZN7rocprim17ROCPRIM_400000_NS6detail17trampoline_kernelINS0_13kernel_configILj256ELj4ELj4294967295EEENS1_37radix_sort_block_sort_config_selectorIdNS0_10empty_typeEEEZNS1_21radix_sort_block_sortIS4_Lb1EPKdPdPS6_SC_NS0_19identity_decomposerEEE10hipError_tT1_T2_T3_T4_jRjT5_jjP12ihipStream_tbEUlT_E_NS1_11comp_targetILNS1_3genE9ELNS1_11target_archE1100ELNS1_3gpuE3ELNS1_3repE0EEENS1_44radix_sort_block_sort_config_static_selectorELNS0_4arch9wavefront6targetE0EEEvSF_, .Lfunc_end1449-_ZN7rocprim17ROCPRIM_400000_NS6detail17trampoline_kernelINS0_13kernel_configILj256ELj4ELj4294967295EEENS1_37radix_sort_block_sort_config_selectorIdNS0_10empty_typeEEEZNS1_21radix_sort_block_sortIS4_Lb1EPKdPdPS6_SC_NS0_19identity_decomposerEEE10hipError_tT1_T2_T3_T4_jRjT5_jjP12ihipStream_tbEUlT_E_NS1_11comp_targetILNS1_3genE9ELNS1_11target_archE1100ELNS1_3gpuE3ELNS1_3repE0EEENS1_44radix_sort_block_sort_config_static_selectorELNS0_4arch9wavefront6targetE0EEEvSF_
                                        ; -- End function
	.set _ZN7rocprim17ROCPRIM_400000_NS6detail17trampoline_kernelINS0_13kernel_configILj256ELj4ELj4294967295EEENS1_37radix_sort_block_sort_config_selectorIdNS0_10empty_typeEEEZNS1_21radix_sort_block_sortIS4_Lb1EPKdPdPS6_SC_NS0_19identity_decomposerEEE10hipError_tT1_T2_T3_T4_jRjT5_jjP12ihipStream_tbEUlT_E_NS1_11comp_targetILNS1_3genE9ELNS1_11target_archE1100ELNS1_3gpuE3ELNS1_3repE0EEENS1_44radix_sort_block_sort_config_static_selectorELNS0_4arch9wavefront6targetE0EEEvSF_.num_vgpr, 0
	.set _ZN7rocprim17ROCPRIM_400000_NS6detail17trampoline_kernelINS0_13kernel_configILj256ELj4ELj4294967295EEENS1_37radix_sort_block_sort_config_selectorIdNS0_10empty_typeEEEZNS1_21radix_sort_block_sortIS4_Lb1EPKdPdPS6_SC_NS0_19identity_decomposerEEE10hipError_tT1_T2_T3_T4_jRjT5_jjP12ihipStream_tbEUlT_E_NS1_11comp_targetILNS1_3genE9ELNS1_11target_archE1100ELNS1_3gpuE3ELNS1_3repE0EEENS1_44radix_sort_block_sort_config_static_selectorELNS0_4arch9wavefront6targetE0EEEvSF_.num_agpr, 0
	.set _ZN7rocprim17ROCPRIM_400000_NS6detail17trampoline_kernelINS0_13kernel_configILj256ELj4ELj4294967295EEENS1_37radix_sort_block_sort_config_selectorIdNS0_10empty_typeEEEZNS1_21radix_sort_block_sortIS4_Lb1EPKdPdPS6_SC_NS0_19identity_decomposerEEE10hipError_tT1_T2_T3_T4_jRjT5_jjP12ihipStream_tbEUlT_E_NS1_11comp_targetILNS1_3genE9ELNS1_11target_archE1100ELNS1_3gpuE3ELNS1_3repE0EEENS1_44radix_sort_block_sort_config_static_selectorELNS0_4arch9wavefront6targetE0EEEvSF_.numbered_sgpr, 0
	.set _ZN7rocprim17ROCPRIM_400000_NS6detail17trampoline_kernelINS0_13kernel_configILj256ELj4ELj4294967295EEENS1_37radix_sort_block_sort_config_selectorIdNS0_10empty_typeEEEZNS1_21radix_sort_block_sortIS4_Lb1EPKdPdPS6_SC_NS0_19identity_decomposerEEE10hipError_tT1_T2_T3_T4_jRjT5_jjP12ihipStream_tbEUlT_E_NS1_11comp_targetILNS1_3genE9ELNS1_11target_archE1100ELNS1_3gpuE3ELNS1_3repE0EEENS1_44radix_sort_block_sort_config_static_selectorELNS0_4arch9wavefront6targetE0EEEvSF_.num_named_barrier, 0
	.set _ZN7rocprim17ROCPRIM_400000_NS6detail17trampoline_kernelINS0_13kernel_configILj256ELj4ELj4294967295EEENS1_37radix_sort_block_sort_config_selectorIdNS0_10empty_typeEEEZNS1_21radix_sort_block_sortIS4_Lb1EPKdPdPS6_SC_NS0_19identity_decomposerEEE10hipError_tT1_T2_T3_T4_jRjT5_jjP12ihipStream_tbEUlT_E_NS1_11comp_targetILNS1_3genE9ELNS1_11target_archE1100ELNS1_3gpuE3ELNS1_3repE0EEENS1_44radix_sort_block_sort_config_static_selectorELNS0_4arch9wavefront6targetE0EEEvSF_.private_seg_size, 0
	.set _ZN7rocprim17ROCPRIM_400000_NS6detail17trampoline_kernelINS0_13kernel_configILj256ELj4ELj4294967295EEENS1_37radix_sort_block_sort_config_selectorIdNS0_10empty_typeEEEZNS1_21radix_sort_block_sortIS4_Lb1EPKdPdPS6_SC_NS0_19identity_decomposerEEE10hipError_tT1_T2_T3_T4_jRjT5_jjP12ihipStream_tbEUlT_E_NS1_11comp_targetILNS1_3genE9ELNS1_11target_archE1100ELNS1_3gpuE3ELNS1_3repE0EEENS1_44radix_sort_block_sort_config_static_selectorELNS0_4arch9wavefront6targetE0EEEvSF_.uses_vcc, 0
	.set _ZN7rocprim17ROCPRIM_400000_NS6detail17trampoline_kernelINS0_13kernel_configILj256ELj4ELj4294967295EEENS1_37radix_sort_block_sort_config_selectorIdNS0_10empty_typeEEEZNS1_21radix_sort_block_sortIS4_Lb1EPKdPdPS6_SC_NS0_19identity_decomposerEEE10hipError_tT1_T2_T3_T4_jRjT5_jjP12ihipStream_tbEUlT_E_NS1_11comp_targetILNS1_3genE9ELNS1_11target_archE1100ELNS1_3gpuE3ELNS1_3repE0EEENS1_44radix_sort_block_sort_config_static_selectorELNS0_4arch9wavefront6targetE0EEEvSF_.uses_flat_scratch, 0
	.set _ZN7rocprim17ROCPRIM_400000_NS6detail17trampoline_kernelINS0_13kernel_configILj256ELj4ELj4294967295EEENS1_37radix_sort_block_sort_config_selectorIdNS0_10empty_typeEEEZNS1_21radix_sort_block_sortIS4_Lb1EPKdPdPS6_SC_NS0_19identity_decomposerEEE10hipError_tT1_T2_T3_T4_jRjT5_jjP12ihipStream_tbEUlT_E_NS1_11comp_targetILNS1_3genE9ELNS1_11target_archE1100ELNS1_3gpuE3ELNS1_3repE0EEENS1_44radix_sort_block_sort_config_static_selectorELNS0_4arch9wavefront6targetE0EEEvSF_.has_dyn_sized_stack, 0
	.set _ZN7rocprim17ROCPRIM_400000_NS6detail17trampoline_kernelINS0_13kernel_configILj256ELj4ELj4294967295EEENS1_37radix_sort_block_sort_config_selectorIdNS0_10empty_typeEEEZNS1_21radix_sort_block_sortIS4_Lb1EPKdPdPS6_SC_NS0_19identity_decomposerEEE10hipError_tT1_T2_T3_T4_jRjT5_jjP12ihipStream_tbEUlT_E_NS1_11comp_targetILNS1_3genE9ELNS1_11target_archE1100ELNS1_3gpuE3ELNS1_3repE0EEENS1_44radix_sort_block_sort_config_static_selectorELNS0_4arch9wavefront6targetE0EEEvSF_.has_recursion, 0
	.set _ZN7rocprim17ROCPRIM_400000_NS6detail17trampoline_kernelINS0_13kernel_configILj256ELj4ELj4294967295EEENS1_37radix_sort_block_sort_config_selectorIdNS0_10empty_typeEEEZNS1_21radix_sort_block_sortIS4_Lb1EPKdPdPS6_SC_NS0_19identity_decomposerEEE10hipError_tT1_T2_T3_T4_jRjT5_jjP12ihipStream_tbEUlT_E_NS1_11comp_targetILNS1_3genE9ELNS1_11target_archE1100ELNS1_3gpuE3ELNS1_3repE0EEENS1_44radix_sort_block_sort_config_static_selectorELNS0_4arch9wavefront6targetE0EEEvSF_.has_indirect_call, 0
	.section	.AMDGPU.csdata,"",@progbits
; Kernel info:
; codeLenInByte = 0
; TotalNumSgprs: 0
; NumVgprs: 0
; ScratchSize: 0
; MemoryBound: 0
; FloatMode: 240
; IeeeMode: 1
; LDSByteSize: 0 bytes/workgroup (compile time only)
; SGPRBlocks: 0
; VGPRBlocks: 0
; NumSGPRsForWavesPerEU: 1
; NumVGPRsForWavesPerEU: 1
; NamedBarCnt: 0
; Occupancy: 16
; WaveLimiterHint : 0
; COMPUTE_PGM_RSRC2:SCRATCH_EN: 0
; COMPUTE_PGM_RSRC2:USER_SGPR: 2
; COMPUTE_PGM_RSRC2:TRAP_HANDLER: 0
; COMPUTE_PGM_RSRC2:TGID_X_EN: 1
; COMPUTE_PGM_RSRC2:TGID_Y_EN: 0
; COMPUTE_PGM_RSRC2:TGID_Z_EN: 0
; COMPUTE_PGM_RSRC2:TIDIG_COMP_CNT: 0
	.section	.text._ZN7rocprim17ROCPRIM_400000_NS6detail17trampoline_kernelINS0_13kernel_configILj256ELj4ELj4294967295EEENS1_37radix_sort_block_sort_config_selectorIdNS0_10empty_typeEEEZNS1_21radix_sort_block_sortIS4_Lb1EPKdPdPS6_SC_NS0_19identity_decomposerEEE10hipError_tT1_T2_T3_T4_jRjT5_jjP12ihipStream_tbEUlT_E_NS1_11comp_targetILNS1_3genE8ELNS1_11target_archE1030ELNS1_3gpuE2ELNS1_3repE0EEENS1_44radix_sort_block_sort_config_static_selectorELNS0_4arch9wavefront6targetE0EEEvSF_,"axG",@progbits,_ZN7rocprim17ROCPRIM_400000_NS6detail17trampoline_kernelINS0_13kernel_configILj256ELj4ELj4294967295EEENS1_37radix_sort_block_sort_config_selectorIdNS0_10empty_typeEEEZNS1_21radix_sort_block_sortIS4_Lb1EPKdPdPS6_SC_NS0_19identity_decomposerEEE10hipError_tT1_T2_T3_T4_jRjT5_jjP12ihipStream_tbEUlT_E_NS1_11comp_targetILNS1_3genE8ELNS1_11target_archE1030ELNS1_3gpuE2ELNS1_3repE0EEENS1_44radix_sort_block_sort_config_static_selectorELNS0_4arch9wavefront6targetE0EEEvSF_,comdat
	.protected	_ZN7rocprim17ROCPRIM_400000_NS6detail17trampoline_kernelINS0_13kernel_configILj256ELj4ELj4294967295EEENS1_37radix_sort_block_sort_config_selectorIdNS0_10empty_typeEEEZNS1_21radix_sort_block_sortIS4_Lb1EPKdPdPS6_SC_NS0_19identity_decomposerEEE10hipError_tT1_T2_T3_T4_jRjT5_jjP12ihipStream_tbEUlT_E_NS1_11comp_targetILNS1_3genE8ELNS1_11target_archE1030ELNS1_3gpuE2ELNS1_3repE0EEENS1_44radix_sort_block_sort_config_static_selectorELNS0_4arch9wavefront6targetE0EEEvSF_ ; -- Begin function _ZN7rocprim17ROCPRIM_400000_NS6detail17trampoline_kernelINS0_13kernel_configILj256ELj4ELj4294967295EEENS1_37radix_sort_block_sort_config_selectorIdNS0_10empty_typeEEEZNS1_21radix_sort_block_sortIS4_Lb1EPKdPdPS6_SC_NS0_19identity_decomposerEEE10hipError_tT1_T2_T3_T4_jRjT5_jjP12ihipStream_tbEUlT_E_NS1_11comp_targetILNS1_3genE8ELNS1_11target_archE1030ELNS1_3gpuE2ELNS1_3repE0EEENS1_44radix_sort_block_sort_config_static_selectorELNS0_4arch9wavefront6targetE0EEEvSF_
	.globl	_ZN7rocprim17ROCPRIM_400000_NS6detail17trampoline_kernelINS0_13kernel_configILj256ELj4ELj4294967295EEENS1_37radix_sort_block_sort_config_selectorIdNS0_10empty_typeEEEZNS1_21radix_sort_block_sortIS4_Lb1EPKdPdPS6_SC_NS0_19identity_decomposerEEE10hipError_tT1_T2_T3_T4_jRjT5_jjP12ihipStream_tbEUlT_E_NS1_11comp_targetILNS1_3genE8ELNS1_11target_archE1030ELNS1_3gpuE2ELNS1_3repE0EEENS1_44radix_sort_block_sort_config_static_selectorELNS0_4arch9wavefront6targetE0EEEvSF_
	.p2align	8
	.type	_ZN7rocprim17ROCPRIM_400000_NS6detail17trampoline_kernelINS0_13kernel_configILj256ELj4ELj4294967295EEENS1_37radix_sort_block_sort_config_selectorIdNS0_10empty_typeEEEZNS1_21radix_sort_block_sortIS4_Lb1EPKdPdPS6_SC_NS0_19identity_decomposerEEE10hipError_tT1_T2_T3_T4_jRjT5_jjP12ihipStream_tbEUlT_E_NS1_11comp_targetILNS1_3genE8ELNS1_11target_archE1030ELNS1_3gpuE2ELNS1_3repE0EEENS1_44radix_sort_block_sort_config_static_selectorELNS0_4arch9wavefront6targetE0EEEvSF_,@function
_ZN7rocprim17ROCPRIM_400000_NS6detail17trampoline_kernelINS0_13kernel_configILj256ELj4ELj4294967295EEENS1_37radix_sort_block_sort_config_selectorIdNS0_10empty_typeEEEZNS1_21radix_sort_block_sortIS4_Lb1EPKdPdPS6_SC_NS0_19identity_decomposerEEE10hipError_tT1_T2_T3_T4_jRjT5_jjP12ihipStream_tbEUlT_E_NS1_11comp_targetILNS1_3genE8ELNS1_11target_archE1030ELNS1_3gpuE2ELNS1_3repE0EEENS1_44radix_sort_block_sort_config_static_selectorELNS0_4arch9wavefront6targetE0EEEvSF_: ; @_ZN7rocprim17ROCPRIM_400000_NS6detail17trampoline_kernelINS0_13kernel_configILj256ELj4ELj4294967295EEENS1_37radix_sort_block_sort_config_selectorIdNS0_10empty_typeEEEZNS1_21radix_sort_block_sortIS4_Lb1EPKdPdPS6_SC_NS0_19identity_decomposerEEE10hipError_tT1_T2_T3_T4_jRjT5_jjP12ihipStream_tbEUlT_E_NS1_11comp_targetILNS1_3genE8ELNS1_11target_archE1030ELNS1_3gpuE2ELNS1_3repE0EEENS1_44radix_sort_block_sort_config_static_selectorELNS0_4arch9wavefront6targetE0EEEvSF_
; %bb.0:
	.section	.rodata,"a",@progbits
	.p2align	6, 0x0
	.amdhsa_kernel _ZN7rocprim17ROCPRIM_400000_NS6detail17trampoline_kernelINS0_13kernel_configILj256ELj4ELj4294967295EEENS1_37radix_sort_block_sort_config_selectorIdNS0_10empty_typeEEEZNS1_21radix_sort_block_sortIS4_Lb1EPKdPdPS6_SC_NS0_19identity_decomposerEEE10hipError_tT1_T2_T3_T4_jRjT5_jjP12ihipStream_tbEUlT_E_NS1_11comp_targetILNS1_3genE8ELNS1_11target_archE1030ELNS1_3gpuE2ELNS1_3repE0EEENS1_44radix_sort_block_sort_config_static_selectorELNS0_4arch9wavefront6targetE0EEEvSF_
		.amdhsa_group_segment_fixed_size 0
		.amdhsa_private_segment_fixed_size 0
		.amdhsa_kernarg_size 48
		.amdhsa_user_sgpr_count 2
		.amdhsa_user_sgpr_dispatch_ptr 0
		.amdhsa_user_sgpr_queue_ptr 0
		.amdhsa_user_sgpr_kernarg_segment_ptr 1
		.amdhsa_user_sgpr_dispatch_id 0
		.amdhsa_user_sgpr_kernarg_preload_length 0
		.amdhsa_user_sgpr_kernarg_preload_offset 0
		.amdhsa_user_sgpr_private_segment_size 0
		.amdhsa_wavefront_size32 1
		.amdhsa_uses_dynamic_stack 0
		.amdhsa_enable_private_segment 0
		.amdhsa_system_sgpr_workgroup_id_x 1
		.amdhsa_system_sgpr_workgroup_id_y 0
		.amdhsa_system_sgpr_workgroup_id_z 0
		.amdhsa_system_sgpr_workgroup_info 0
		.amdhsa_system_vgpr_workitem_id 0
		.amdhsa_next_free_vgpr 1
		.amdhsa_next_free_sgpr 1
		.amdhsa_named_barrier_count 0
		.amdhsa_reserve_vcc 0
		.amdhsa_float_round_mode_32 0
		.amdhsa_float_round_mode_16_64 0
		.amdhsa_float_denorm_mode_32 3
		.amdhsa_float_denorm_mode_16_64 3
		.amdhsa_fp16_overflow 0
		.amdhsa_memory_ordered 1
		.amdhsa_forward_progress 1
		.amdhsa_inst_pref_size 0
		.amdhsa_round_robin_scheduling 0
		.amdhsa_exception_fp_ieee_invalid_op 0
		.amdhsa_exception_fp_denorm_src 0
		.amdhsa_exception_fp_ieee_div_zero 0
		.amdhsa_exception_fp_ieee_overflow 0
		.amdhsa_exception_fp_ieee_underflow 0
		.amdhsa_exception_fp_ieee_inexact 0
		.amdhsa_exception_int_div_zero 0
	.end_amdhsa_kernel
	.section	.text._ZN7rocprim17ROCPRIM_400000_NS6detail17trampoline_kernelINS0_13kernel_configILj256ELj4ELj4294967295EEENS1_37radix_sort_block_sort_config_selectorIdNS0_10empty_typeEEEZNS1_21radix_sort_block_sortIS4_Lb1EPKdPdPS6_SC_NS0_19identity_decomposerEEE10hipError_tT1_T2_T3_T4_jRjT5_jjP12ihipStream_tbEUlT_E_NS1_11comp_targetILNS1_3genE8ELNS1_11target_archE1030ELNS1_3gpuE2ELNS1_3repE0EEENS1_44radix_sort_block_sort_config_static_selectorELNS0_4arch9wavefront6targetE0EEEvSF_,"axG",@progbits,_ZN7rocprim17ROCPRIM_400000_NS6detail17trampoline_kernelINS0_13kernel_configILj256ELj4ELj4294967295EEENS1_37radix_sort_block_sort_config_selectorIdNS0_10empty_typeEEEZNS1_21radix_sort_block_sortIS4_Lb1EPKdPdPS6_SC_NS0_19identity_decomposerEEE10hipError_tT1_T2_T3_T4_jRjT5_jjP12ihipStream_tbEUlT_E_NS1_11comp_targetILNS1_3genE8ELNS1_11target_archE1030ELNS1_3gpuE2ELNS1_3repE0EEENS1_44radix_sort_block_sort_config_static_selectorELNS0_4arch9wavefront6targetE0EEEvSF_,comdat
.Lfunc_end1450:
	.size	_ZN7rocprim17ROCPRIM_400000_NS6detail17trampoline_kernelINS0_13kernel_configILj256ELj4ELj4294967295EEENS1_37radix_sort_block_sort_config_selectorIdNS0_10empty_typeEEEZNS1_21radix_sort_block_sortIS4_Lb1EPKdPdPS6_SC_NS0_19identity_decomposerEEE10hipError_tT1_T2_T3_T4_jRjT5_jjP12ihipStream_tbEUlT_E_NS1_11comp_targetILNS1_3genE8ELNS1_11target_archE1030ELNS1_3gpuE2ELNS1_3repE0EEENS1_44radix_sort_block_sort_config_static_selectorELNS0_4arch9wavefront6targetE0EEEvSF_, .Lfunc_end1450-_ZN7rocprim17ROCPRIM_400000_NS6detail17trampoline_kernelINS0_13kernel_configILj256ELj4ELj4294967295EEENS1_37radix_sort_block_sort_config_selectorIdNS0_10empty_typeEEEZNS1_21radix_sort_block_sortIS4_Lb1EPKdPdPS6_SC_NS0_19identity_decomposerEEE10hipError_tT1_T2_T3_T4_jRjT5_jjP12ihipStream_tbEUlT_E_NS1_11comp_targetILNS1_3genE8ELNS1_11target_archE1030ELNS1_3gpuE2ELNS1_3repE0EEENS1_44radix_sort_block_sort_config_static_selectorELNS0_4arch9wavefront6targetE0EEEvSF_
                                        ; -- End function
	.set _ZN7rocprim17ROCPRIM_400000_NS6detail17trampoline_kernelINS0_13kernel_configILj256ELj4ELj4294967295EEENS1_37radix_sort_block_sort_config_selectorIdNS0_10empty_typeEEEZNS1_21radix_sort_block_sortIS4_Lb1EPKdPdPS6_SC_NS0_19identity_decomposerEEE10hipError_tT1_T2_T3_T4_jRjT5_jjP12ihipStream_tbEUlT_E_NS1_11comp_targetILNS1_3genE8ELNS1_11target_archE1030ELNS1_3gpuE2ELNS1_3repE0EEENS1_44radix_sort_block_sort_config_static_selectorELNS0_4arch9wavefront6targetE0EEEvSF_.num_vgpr, 0
	.set _ZN7rocprim17ROCPRIM_400000_NS6detail17trampoline_kernelINS0_13kernel_configILj256ELj4ELj4294967295EEENS1_37radix_sort_block_sort_config_selectorIdNS0_10empty_typeEEEZNS1_21radix_sort_block_sortIS4_Lb1EPKdPdPS6_SC_NS0_19identity_decomposerEEE10hipError_tT1_T2_T3_T4_jRjT5_jjP12ihipStream_tbEUlT_E_NS1_11comp_targetILNS1_3genE8ELNS1_11target_archE1030ELNS1_3gpuE2ELNS1_3repE0EEENS1_44radix_sort_block_sort_config_static_selectorELNS0_4arch9wavefront6targetE0EEEvSF_.num_agpr, 0
	.set _ZN7rocprim17ROCPRIM_400000_NS6detail17trampoline_kernelINS0_13kernel_configILj256ELj4ELj4294967295EEENS1_37radix_sort_block_sort_config_selectorIdNS0_10empty_typeEEEZNS1_21radix_sort_block_sortIS4_Lb1EPKdPdPS6_SC_NS0_19identity_decomposerEEE10hipError_tT1_T2_T3_T4_jRjT5_jjP12ihipStream_tbEUlT_E_NS1_11comp_targetILNS1_3genE8ELNS1_11target_archE1030ELNS1_3gpuE2ELNS1_3repE0EEENS1_44radix_sort_block_sort_config_static_selectorELNS0_4arch9wavefront6targetE0EEEvSF_.numbered_sgpr, 0
	.set _ZN7rocprim17ROCPRIM_400000_NS6detail17trampoline_kernelINS0_13kernel_configILj256ELj4ELj4294967295EEENS1_37radix_sort_block_sort_config_selectorIdNS0_10empty_typeEEEZNS1_21radix_sort_block_sortIS4_Lb1EPKdPdPS6_SC_NS0_19identity_decomposerEEE10hipError_tT1_T2_T3_T4_jRjT5_jjP12ihipStream_tbEUlT_E_NS1_11comp_targetILNS1_3genE8ELNS1_11target_archE1030ELNS1_3gpuE2ELNS1_3repE0EEENS1_44radix_sort_block_sort_config_static_selectorELNS0_4arch9wavefront6targetE0EEEvSF_.num_named_barrier, 0
	.set _ZN7rocprim17ROCPRIM_400000_NS6detail17trampoline_kernelINS0_13kernel_configILj256ELj4ELj4294967295EEENS1_37radix_sort_block_sort_config_selectorIdNS0_10empty_typeEEEZNS1_21radix_sort_block_sortIS4_Lb1EPKdPdPS6_SC_NS0_19identity_decomposerEEE10hipError_tT1_T2_T3_T4_jRjT5_jjP12ihipStream_tbEUlT_E_NS1_11comp_targetILNS1_3genE8ELNS1_11target_archE1030ELNS1_3gpuE2ELNS1_3repE0EEENS1_44radix_sort_block_sort_config_static_selectorELNS0_4arch9wavefront6targetE0EEEvSF_.private_seg_size, 0
	.set _ZN7rocprim17ROCPRIM_400000_NS6detail17trampoline_kernelINS0_13kernel_configILj256ELj4ELj4294967295EEENS1_37radix_sort_block_sort_config_selectorIdNS0_10empty_typeEEEZNS1_21radix_sort_block_sortIS4_Lb1EPKdPdPS6_SC_NS0_19identity_decomposerEEE10hipError_tT1_T2_T3_T4_jRjT5_jjP12ihipStream_tbEUlT_E_NS1_11comp_targetILNS1_3genE8ELNS1_11target_archE1030ELNS1_3gpuE2ELNS1_3repE0EEENS1_44radix_sort_block_sort_config_static_selectorELNS0_4arch9wavefront6targetE0EEEvSF_.uses_vcc, 0
	.set _ZN7rocprim17ROCPRIM_400000_NS6detail17trampoline_kernelINS0_13kernel_configILj256ELj4ELj4294967295EEENS1_37radix_sort_block_sort_config_selectorIdNS0_10empty_typeEEEZNS1_21radix_sort_block_sortIS4_Lb1EPKdPdPS6_SC_NS0_19identity_decomposerEEE10hipError_tT1_T2_T3_T4_jRjT5_jjP12ihipStream_tbEUlT_E_NS1_11comp_targetILNS1_3genE8ELNS1_11target_archE1030ELNS1_3gpuE2ELNS1_3repE0EEENS1_44radix_sort_block_sort_config_static_selectorELNS0_4arch9wavefront6targetE0EEEvSF_.uses_flat_scratch, 0
	.set _ZN7rocprim17ROCPRIM_400000_NS6detail17trampoline_kernelINS0_13kernel_configILj256ELj4ELj4294967295EEENS1_37radix_sort_block_sort_config_selectorIdNS0_10empty_typeEEEZNS1_21radix_sort_block_sortIS4_Lb1EPKdPdPS6_SC_NS0_19identity_decomposerEEE10hipError_tT1_T2_T3_T4_jRjT5_jjP12ihipStream_tbEUlT_E_NS1_11comp_targetILNS1_3genE8ELNS1_11target_archE1030ELNS1_3gpuE2ELNS1_3repE0EEENS1_44radix_sort_block_sort_config_static_selectorELNS0_4arch9wavefront6targetE0EEEvSF_.has_dyn_sized_stack, 0
	.set _ZN7rocprim17ROCPRIM_400000_NS6detail17trampoline_kernelINS0_13kernel_configILj256ELj4ELj4294967295EEENS1_37radix_sort_block_sort_config_selectorIdNS0_10empty_typeEEEZNS1_21radix_sort_block_sortIS4_Lb1EPKdPdPS6_SC_NS0_19identity_decomposerEEE10hipError_tT1_T2_T3_T4_jRjT5_jjP12ihipStream_tbEUlT_E_NS1_11comp_targetILNS1_3genE8ELNS1_11target_archE1030ELNS1_3gpuE2ELNS1_3repE0EEENS1_44radix_sort_block_sort_config_static_selectorELNS0_4arch9wavefront6targetE0EEEvSF_.has_recursion, 0
	.set _ZN7rocprim17ROCPRIM_400000_NS6detail17trampoline_kernelINS0_13kernel_configILj256ELj4ELj4294967295EEENS1_37radix_sort_block_sort_config_selectorIdNS0_10empty_typeEEEZNS1_21radix_sort_block_sortIS4_Lb1EPKdPdPS6_SC_NS0_19identity_decomposerEEE10hipError_tT1_T2_T3_T4_jRjT5_jjP12ihipStream_tbEUlT_E_NS1_11comp_targetILNS1_3genE8ELNS1_11target_archE1030ELNS1_3gpuE2ELNS1_3repE0EEENS1_44radix_sort_block_sort_config_static_selectorELNS0_4arch9wavefront6targetE0EEEvSF_.has_indirect_call, 0
	.section	.AMDGPU.csdata,"",@progbits
; Kernel info:
; codeLenInByte = 0
; TotalNumSgprs: 0
; NumVgprs: 0
; ScratchSize: 0
; MemoryBound: 0
; FloatMode: 240
; IeeeMode: 1
; LDSByteSize: 0 bytes/workgroup (compile time only)
; SGPRBlocks: 0
; VGPRBlocks: 0
; NumSGPRsForWavesPerEU: 1
; NumVGPRsForWavesPerEU: 1
; NamedBarCnt: 0
; Occupancy: 16
; WaveLimiterHint : 0
; COMPUTE_PGM_RSRC2:SCRATCH_EN: 0
; COMPUTE_PGM_RSRC2:USER_SGPR: 2
; COMPUTE_PGM_RSRC2:TRAP_HANDLER: 0
; COMPUTE_PGM_RSRC2:TGID_X_EN: 1
; COMPUTE_PGM_RSRC2:TGID_Y_EN: 0
; COMPUTE_PGM_RSRC2:TGID_Z_EN: 0
; COMPUTE_PGM_RSRC2:TIDIG_COMP_CNT: 0
	.section	.text._ZN7rocprim17ROCPRIM_400000_NS6detail44device_merge_sort_compile_time_verifier_archINS1_11comp_targetILNS1_3genE0ELNS1_11target_archE4294967295ELNS1_3gpuE0ELNS1_3repE0EEES8_NS1_28merge_sort_block_sort_configILj256ELj4ELNS0_20block_sort_algorithmE0EEENS0_14default_configENS1_37merge_sort_block_sort_config_selectorIdNS0_10empty_typeEEENS1_38merge_sort_block_merge_config_selectorIdSE_EEEEvv,"axG",@progbits,_ZN7rocprim17ROCPRIM_400000_NS6detail44device_merge_sort_compile_time_verifier_archINS1_11comp_targetILNS1_3genE0ELNS1_11target_archE4294967295ELNS1_3gpuE0ELNS1_3repE0EEES8_NS1_28merge_sort_block_sort_configILj256ELj4ELNS0_20block_sort_algorithmE0EEENS0_14default_configENS1_37merge_sort_block_sort_config_selectorIdNS0_10empty_typeEEENS1_38merge_sort_block_merge_config_selectorIdSE_EEEEvv,comdat
	.protected	_ZN7rocprim17ROCPRIM_400000_NS6detail44device_merge_sort_compile_time_verifier_archINS1_11comp_targetILNS1_3genE0ELNS1_11target_archE4294967295ELNS1_3gpuE0ELNS1_3repE0EEES8_NS1_28merge_sort_block_sort_configILj256ELj4ELNS0_20block_sort_algorithmE0EEENS0_14default_configENS1_37merge_sort_block_sort_config_selectorIdNS0_10empty_typeEEENS1_38merge_sort_block_merge_config_selectorIdSE_EEEEvv ; -- Begin function _ZN7rocprim17ROCPRIM_400000_NS6detail44device_merge_sort_compile_time_verifier_archINS1_11comp_targetILNS1_3genE0ELNS1_11target_archE4294967295ELNS1_3gpuE0ELNS1_3repE0EEES8_NS1_28merge_sort_block_sort_configILj256ELj4ELNS0_20block_sort_algorithmE0EEENS0_14default_configENS1_37merge_sort_block_sort_config_selectorIdNS0_10empty_typeEEENS1_38merge_sort_block_merge_config_selectorIdSE_EEEEvv
	.globl	_ZN7rocprim17ROCPRIM_400000_NS6detail44device_merge_sort_compile_time_verifier_archINS1_11comp_targetILNS1_3genE0ELNS1_11target_archE4294967295ELNS1_3gpuE0ELNS1_3repE0EEES8_NS1_28merge_sort_block_sort_configILj256ELj4ELNS0_20block_sort_algorithmE0EEENS0_14default_configENS1_37merge_sort_block_sort_config_selectorIdNS0_10empty_typeEEENS1_38merge_sort_block_merge_config_selectorIdSE_EEEEvv
	.p2align	8
	.type	_ZN7rocprim17ROCPRIM_400000_NS6detail44device_merge_sort_compile_time_verifier_archINS1_11comp_targetILNS1_3genE0ELNS1_11target_archE4294967295ELNS1_3gpuE0ELNS1_3repE0EEES8_NS1_28merge_sort_block_sort_configILj256ELj4ELNS0_20block_sort_algorithmE0EEENS0_14default_configENS1_37merge_sort_block_sort_config_selectorIdNS0_10empty_typeEEENS1_38merge_sort_block_merge_config_selectorIdSE_EEEEvv,@function
_ZN7rocprim17ROCPRIM_400000_NS6detail44device_merge_sort_compile_time_verifier_archINS1_11comp_targetILNS1_3genE0ELNS1_11target_archE4294967295ELNS1_3gpuE0ELNS1_3repE0EEES8_NS1_28merge_sort_block_sort_configILj256ELj4ELNS0_20block_sort_algorithmE0EEENS0_14default_configENS1_37merge_sort_block_sort_config_selectorIdNS0_10empty_typeEEENS1_38merge_sort_block_merge_config_selectorIdSE_EEEEvv: ; @_ZN7rocprim17ROCPRIM_400000_NS6detail44device_merge_sort_compile_time_verifier_archINS1_11comp_targetILNS1_3genE0ELNS1_11target_archE4294967295ELNS1_3gpuE0ELNS1_3repE0EEES8_NS1_28merge_sort_block_sort_configILj256ELj4ELNS0_20block_sort_algorithmE0EEENS0_14default_configENS1_37merge_sort_block_sort_config_selectorIdNS0_10empty_typeEEENS1_38merge_sort_block_merge_config_selectorIdSE_EEEEvv
; %bb.0:
	s_endpgm
	.section	.rodata,"a",@progbits
	.p2align	6, 0x0
	.amdhsa_kernel _ZN7rocprim17ROCPRIM_400000_NS6detail44device_merge_sort_compile_time_verifier_archINS1_11comp_targetILNS1_3genE0ELNS1_11target_archE4294967295ELNS1_3gpuE0ELNS1_3repE0EEES8_NS1_28merge_sort_block_sort_configILj256ELj4ELNS0_20block_sort_algorithmE0EEENS0_14default_configENS1_37merge_sort_block_sort_config_selectorIdNS0_10empty_typeEEENS1_38merge_sort_block_merge_config_selectorIdSE_EEEEvv
		.amdhsa_group_segment_fixed_size 0
		.amdhsa_private_segment_fixed_size 0
		.amdhsa_kernarg_size 0
		.amdhsa_user_sgpr_count 0
		.amdhsa_user_sgpr_dispatch_ptr 0
		.amdhsa_user_sgpr_queue_ptr 0
		.amdhsa_user_sgpr_kernarg_segment_ptr 0
		.amdhsa_user_sgpr_dispatch_id 0
		.amdhsa_user_sgpr_kernarg_preload_length 0
		.amdhsa_user_sgpr_kernarg_preload_offset 0
		.amdhsa_user_sgpr_private_segment_size 0
		.amdhsa_wavefront_size32 1
		.amdhsa_uses_dynamic_stack 0
		.amdhsa_enable_private_segment 0
		.amdhsa_system_sgpr_workgroup_id_x 1
		.amdhsa_system_sgpr_workgroup_id_y 0
		.amdhsa_system_sgpr_workgroup_id_z 0
		.amdhsa_system_sgpr_workgroup_info 0
		.amdhsa_system_vgpr_workitem_id 0
		.amdhsa_next_free_vgpr 1
		.amdhsa_next_free_sgpr 1
		.amdhsa_named_barrier_count 0
		.amdhsa_reserve_vcc 0
		.amdhsa_float_round_mode_32 0
		.amdhsa_float_round_mode_16_64 0
		.amdhsa_float_denorm_mode_32 3
		.amdhsa_float_denorm_mode_16_64 3
		.amdhsa_fp16_overflow 0
		.amdhsa_memory_ordered 1
		.amdhsa_forward_progress 1
		.amdhsa_inst_pref_size 1
		.amdhsa_round_robin_scheduling 0
		.amdhsa_exception_fp_ieee_invalid_op 0
		.amdhsa_exception_fp_denorm_src 0
		.amdhsa_exception_fp_ieee_div_zero 0
		.amdhsa_exception_fp_ieee_overflow 0
		.amdhsa_exception_fp_ieee_underflow 0
		.amdhsa_exception_fp_ieee_inexact 0
		.amdhsa_exception_int_div_zero 0
	.end_amdhsa_kernel
	.section	.text._ZN7rocprim17ROCPRIM_400000_NS6detail44device_merge_sort_compile_time_verifier_archINS1_11comp_targetILNS1_3genE0ELNS1_11target_archE4294967295ELNS1_3gpuE0ELNS1_3repE0EEES8_NS1_28merge_sort_block_sort_configILj256ELj4ELNS0_20block_sort_algorithmE0EEENS0_14default_configENS1_37merge_sort_block_sort_config_selectorIdNS0_10empty_typeEEENS1_38merge_sort_block_merge_config_selectorIdSE_EEEEvv,"axG",@progbits,_ZN7rocprim17ROCPRIM_400000_NS6detail44device_merge_sort_compile_time_verifier_archINS1_11comp_targetILNS1_3genE0ELNS1_11target_archE4294967295ELNS1_3gpuE0ELNS1_3repE0EEES8_NS1_28merge_sort_block_sort_configILj256ELj4ELNS0_20block_sort_algorithmE0EEENS0_14default_configENS1_37merge_sort_block_sort_config_selectorIdNS0_10empty_typeEEENS1_38merge_sort_block_merge_config_selectorIdSE_EEEEvv,comdat
.Lfunc_end1451:
	.size	_ZN7rocprim17ROCPRIM_400000_NS6detail44device_merge_sort_compile_time_verifier_archINS1_11comp_targetILNS1_3genE0ELNS1_11target_archE4294967295ELNS1_3gpuE0ELNS1_3repE0EEES8_NS1_28merge_sort_block_sort_configILj256ELj4ELNS0_20block_sort_algorithmE0EEENS0_14default_configENS1_37merge_sort_block_sort_config_selectorIdNS0_10empty_typeEEENS1_38merge_sort_block_merge_config_selectorIdSE_EEEEvv, .Lfunc_end1451-_ZN7rocprim17ROCPRIM_400000_NS6detail44device_merge_sort_compile_time_verifier_archINS1_11comp_targetILNS1_3genE0ELNS1_11target_archE4294967295ELNS1_3gpuE0ELNS1_3repE0EEES8_NS1_28merge_sort_block_sort_configILj256ELj4ELNS0_20block_sort_algorithmE0EEENS0_14default_configENS1_37merge_sort_block_sort_config_selectorIdNS0_10empty_typeEEENS1_38merge_sort_block_merge_config_selectorIdSE_EEEEvv
                                        ; -- End function
	.set _ZN7rocprim17ROCPRIM_400000_NS6detail44device_merge_sort_compile_time_verifier_archINS1_11comp_targetILNS1_3genE0ELNS1_11target_archE4294967295ELNS1_3gpuE0ELNS1_3repE0EEES8_NS1_28merge_sort_block_sort_configILj256ELj4ELNS0_20block_sort_algorithmE0EEENS0_14default_configENS1_37merge_sort_block_sort_config_selectorIdNS0_10empty_typeEEENS1_38merge_sort_block_merge_config_selectorIdSE_EEEEvv.num_vgpr, 0
	.set _ZN7rocprim17ROCPRIM_400000_NS6detail44device_merge_sort_compile_time_verifier_archINS1_11comp_targetILNS1_3genE0ELNS1_11target_archE4294967295ELNS1_3gpuE0ELNS1_3repE0EEES8_NS1_28merge_sort_block_sort_configILj256ELj4ELNS0_20block_sort_algorithmE0EEENS0_14default_configENS1_37merge_sort_block_sort_config_selectorIdNS0_10empty_typeEEENS1_38merge_sort_block_merge_config_selectorIdSE_EEEEvv.num_agpr, 0
	.set _ZN7rocprim17ROCPRIM_400000_NS6detail44device_merge_sort_compile_time_verifier_archINS1_11comp_targetILNS1_3genE0ELNS1_11target_archE4294967295ELNS1_3gpuE0ELNS1_3repE0EEES8_NS1_28merge_sort_block_sort_configILj256ELj4ELNS0_20block_sort_algorithmE0EEENS0_14default_configENS1_37merge_sort_block_sort_config_selectorIdNS0_10empty_typeEEENS1_38merge_sort_block_merge_config_selectorIdSE_EEEEvv.numbered_sgpr, 0
	.set _ZN7rocprim17ROCPRIM_400000_NS6detail44device_merge_sort_compile_time_verifier_archINS1_11comp_targetILNS1_3genE0ELNS1_11target_archE4294967295ELNS1_3gpuE0ELNS1_3repE0EEES8_NS1_28merge_sort_block_sort_configILj256ELj4ELNS0_20block_sort_algorithmE0EEENS0_14default_configENS1_37merge_sort_block_sort_config_selectorIdNS0_10empty_typeEEENS1_38merge_sort_block_merge_config_selectorIdSE_EEEEvv.num_named_barrier, 0
	.set _ZN7rocprim17ROCPRIM_400000_NS6detail44device_merge_sort_compile_time_verifier_archINS1_11comp_targetILNS1_3genE0ELNS1_11target_archE4294967295ELNS1_3gpuE0ELNS1_3repE0EEES8_NS1_28merge_sort_block_sort_configILj256ELj4ELNS0_20block_sort_algorithmE0EEENS0_14default_configENS1_37merge_sort_block_sort_config_selectorIdNS0_10empty_typeEEENS1_38merge_sort_block_merge_config_selectorIdSE_EEEEvv.private_seg_size, 0
	.set _ZN7rocprim17ROCPRIM_400000_NS6detail44device_merge_sort_compile_time_verifier_archINS1_11comp_targetILNS1_3genE0ELNS1_11target_archE4294967295ELNS1_3gpuE0ELNS1_3repE0EEES8_NS1_28merge_sort_block_sort_configILj256ELj4ELNS0_20block_sort_algorithmE0EEENS0_14default_configENS1_37merge_sort_block_sort_config_selectorIdNS0_10empty_typeEEENS1_38merge_sort_block_merge_config_selectorIdSE_EEEEvv.uses_vcc, 0
	.set _ZN7rocprim17ROCPRIM_400000_NS6detail44device_merge_sort_compile_time_verifier_archINS1_11comp_targetILNS1_3genE0ELNS1_11target_archE4294967295ELNS1_3gpuE0ELNS1_3repE0EEES8_NS1_28merge_sort_block_sort_configILj256ELj4ELNS0_20block_sort_algorithmE0EEENS0_14default_configENS1_37merge_sort_block_sort_config_selectorIdNS0_10empty_typeEEENS1_38merge_sort_block_merge_config_selectorIdSE_EEEEvv.uses_flat_scratch, 0
	.set _ZN7rocprim17ROCPRIM_400000_NS6detail44device_merge_sort_compile_time_verifier_archINS1_11comp_targetILNS1_3genE0ELNS1_11target_archE4294967295ELNS1_3gpuE0ELNS1_3repE0EEES8_NS1_28merge_sort_block_sort_configILj256ELj4ELNS0_20block_sort_algorithmE0EEENS0_14default_configENS1_37merge_sort_block_sort_config_selectorIdNS0_10empty_typeEEENS1_38merge_sort_block_merge_config_selectorIdSE_EEEEvv.has_dyn_sized_stack, 0
	.set _ZN7rocprim17ROCPRIM_400000_NS6detail44device_merge_sort_compile_time_verifier_archINS1_11comp_targetILNS1_3genE0ELNS1_11target_archE4294967295ELNS1_3gpuE0ELNS1_3repE0EEES8_NS1_28merge_sort_block_sort_configILj256ELj4ELNS0_20block_sort_algorithmE0EEENS0_14default_configENS1_37merge_sort_block_sort_config_selectorIdNS0_10empty_typeEEENS1_38merge_sort_block_merge_config_selectorIdSE_EEEEvv.has_recursion, 0
	.set _ZN7rocprim17ROCPRIM_400000_NS6detail44device_merge_sort_compile_time_verifier_archINS1_11comp_targetILNS1_3genE0ELNS1_11target_archE4294967295ELNS1_3gpuE0ELNS1_3repE0EEES8_NS1_28merge_sort_block_sort_configILj256ELj4ELNS0_20block_sort_algorithmE0EEENS0_14default_configENS1_37merge_sort_block_sort_config_selectorIdNS0_10empty_typeEEENS1_38merge_sort_block_merge_config_selectorIdSE_EEEEvv.has_indirect_call, 0
	.section	.AMDGPU.csdata,"",@progbits
; Kernel info:
; codeLenInByte = 4
; TotalNumSgprs: 0
; NumVgprs: 0
; ScratchSize: 0
; MemoryBound: 0
; FloatMode: 240
; IeeeMode: 1
; LDSByteSize: 0 bytes/workgroup (compile time only)
; SGPRBlocks: 0
; VGPRBlocks: 0
; NumSGPRsForWavesPerEU: 1
; NumVGPRsForWavesPerEU: 1
; NamedBarCnt: 0
; Occupancy: 16
; WaveLimiterHint : 0
; COMPUTE_PGM_RSRC2:SCRATCH_EN: 0
; COMPUTE_PGM_RSRC2:USER_SGPR: 0
; COMPUTE_PGM_RSRC2:TRAP_HANDLER: 0
; COMPUTE_PGM_RSRC2:TGID_X_EN: 1
; COMPUTE_PGM_RSRC2:TGID_Y_EN: 0
; COMPUTE_PGM_RSRC2:TGID_Z_EN: 0
; COMPUTE_PGM_RSRC2:TIDIG_COMP_CNT: 0
	.section	.text._ZN7rocprim17ROCPRIM_400000_NS6detail44device_merge_sort_compile_time_verifier_archINS1_11comp_targetILNS1_3genE5ELNS1_11target_archE942ELNS1_3gpuE9ELNS1_3repE0EEES8_NS1_28merge_sort_block_sort_configILj256ELj4ELNS0_20block_sort_algorithmE0EEENS0_14default_configENS1_37merge_sort_block_sort_config_selectorIdNS0_10empty_typeEEENS1_38merge_sort_block_merge_config_selectorIdSE_EEEEvv,"axG",@progbits,_ZN7rocprim17ROCPRIM_400000_NS6detail44device_merge_sort_compile_time_verifier_archINS1_11comp_targetILNS1_3genE5ELNS1_11target_archE942ELNS1_3gpuE9ELNS1_3repE0EEES8_NS1_28merge_sort_block_sort_configILj256ELj4ELNS0_20block_sort_algorithmE0EEENS0_14default_configENS1_37merge_sort_block_sort_config_selectorIdNS0_10empty_typeEEENS1_38merge_sort_block_merge_config_selectorIdSE_EEEEvv,comdat
	.protected	_ZN7rocprim17ROCPRIM_400000_NS6detail44device_merge_sort_compile_time_verifier_archINS1_11comp_targetILNS1_3genE5ELNS1_11target_archE942ELNS1_3gpuE9ELNS1_3repE0EEES8_NS1_28merge_sort_block_sort_configILj256ELj4ELNS0_20block_sort_algorithmE0EEENS0_14default_configENS1_37merge_sort_block_sort_config_selectorIdNS0_10empty_typeEEENS1_38merge_sort_block_merge_config_selectorIdSE_EEEEvv ; -- Begin function _ZN7rocprim17ROCPRIM_400000_NS6detail44device_merge_sort_compile_time_verifier_archINS1_11comp_targetILNS1_3genE5ELNS1_11target_archE942ELNS1_3gpuE9ELNS1_3repE0EEES8_NS1_28merge_sort_block_sort_configILj256ELj4ELNS0_20block_sort_algorithmE0EEENS0_14default_configENS1_37merge_sort_block_sort_config_selectorIdNS0_10empty_typeEEENS1_38merge_sort_block_merge_config_selectorIdSE_EEEEvv
	.globl	_ZN7rocprim17ROCPRIM_400000_NS6detail44device_merge_sort_compile_time_verifier_archINS1_11comp_targetILNS1_3genE5ELNS1_11target_archE942ELNS1_3gpuE9ELNS1_3repE0EEES8_NS1_28merge_sort_block_sort_configILj256ELj4ELNS0_20block_sort_algorithmE0EEENS0_14default_configENS1_37merge_sort_block_sort_config_selectorIdNS0_10empty_typeEEENS1_38merge_sort_block_merge_config_selectorIdSE_EEEEvv
	.p2align	8
	.type	_ZN7rocprim17ROCPRIM_400000_NS6detail44device_merge_sort_compile_time_verifier_archINS1_11comp_targetILNS1_3genE5ELNS1_11target_archE942ELNS1_3gpuE9ELNS1_3repE0EEES8_NS1_28merge_sort_block_sort_configILj256ELj4ELNS0_20block_sort_algorithmE0EEENS0_14default_configENS1_37merge_sort_block_sort_config_selectorIdNS0_10empty_typeEEENS1_38merge_sort_block_merge_config_selectorIdSE_EEEEvv,@function
_ZN7rocprim17ROCPRIM_400000_NS6detail44device_merge_sort_compile_time_verifier_archINS1_11comp_targetILNS1_3genE5ELNS1_11target_archE942ELNS1_3gpuE9ELNS1_3repE0EEES8_NS1_28merge_sort_block_sort_configILj256ELj4ELNS0_20block_sort_algorithmE0EEENS0_14default_configENS1_37merge_sort_block_sort_config_selectorIdNS0_10empty_typeEEENS1_38merge_sort_block_merge_config_selectorIdSE_EEEEvv: ; @_ZN7rocprim17ROCPRIM_400000_NS6detail44device_merge_sort_compile_time_verifier_archINS1_11comp_targetILNS1_3genE5ELNS1_11target_archE942ELNS1_3gpuE9ELNS1_3repE0EEES8_NS1_28merge_sort_block_sort_configILj256ELj4ELNS0_20block_sort_algorithmE0EEENS0_14default_configENS1_37merge_sort_block_sort_config_selectorIdNS0_10empty_typeEEENS1_38merge_sort_block_merge_config_selectorIdSE_EEEEvv
; %bb.0:
	s_endpgm
	.section	.rodata,"a",@progbits
	.p2align	6, 0x0
	.amdhsa_kernel _ZN7rocprim17ROCPRIM_400000_NS6detail44device_merge_sort_compile_time_verifier_archINS1_11comp_targetILNS1_3genE5ELNS1_11target_archE942ELNS1_3gpuE9ELNS1_3repE0EEES8_NS1_28merge_sort_block_sort_configILj256ELj4ELNS0_20block_sort_algorithmE0EEENS0_14default_configENS1_37merge_sort_block_sort_config_selectorIdNS0_10empty_typeEEENS1_38merge_sort_block_merge_config_selectorIdSE_EEEEvv
		.amdhsa_group_segment_fixed_size 0
		.amdhsa_private_segment_fixed_size 0
		.amdhsa_kernarg_size 0
		.amdhsa_user_sgpr_count 0
		.amdhsa_user_sgpr_dispatch_ptr 0
		.amdhsa_user_sgpr_queue_ptr 0
		.amdhsa_user_sgpr_kernarg_segment_ptr 0
		.amdhsa_user_sgpr_dispatch_id 0
		.amdhsa_user_sgpr_kernarg_preload_length 0
		.amdhsa_user_sgpr_kernarg_preload_offset 0
		.amdhsa_user_sgpr_private_segment_size 0
		.amdhsa_wavefront_size32 1
		.amdhsa_uses_dynamic_stack 0
		.amdhsa_enable_private_segment 0
		.amdhsa_system_sgpr_workgroup_id_x 1
		.amdhsa_system_sgpr_workgroup_id_y 0
		.amdhsa_system_sgpr_workgroup_id_z 0
		.amdhsa_system_sgpr_workgroup_info 0
		.amdhsa_system_vgpr_workitem_id 0
		.amdhsa_next_free_vgpr 1
		.amdhsa_next_free_sgpr 1
		.amdhsa_named_barrier_count 0
		.amdhsa_reserve_vcc 0
		.amdhsa_float_round_mode_32 0
		.amdhsa_float_round_mode_16_64 0
		.amdhsa_float_denorm_mode_32 3
		.amdhsa_float_denorm_mode_16_64 3
		.amdhsa_fp16_overflow 0
		.amdhsa_memory_ordered 1
		.amdhsa_forward_progress 1
		.amdhsa_inst_pref_size 1
		.amdhsa_round_robin_scheduling 0
		.amdhsa_exception_fp_ieee_invalid_op 0
		.amdhsa_exception_fp_denorm_src 0
		.amdhsa_exception_fp_ieee_div_zero 0
		.amdhsa_exception_fp_ieee_overflow 0
		.amdhsa_exception_fp_ieee_underflow 0
		.amdhsa_exception_fp_ieee_inexact 0
		.amdhsa_exception_int_div_zero 0
	.end_amdhsa_kernel
	.section	.text._ZN7rocprim17ROCPRIM_400000_NS6detail44device_merge_sort_compile_time_verifier_archINS1_11comp_targetILNS1_3genE5ELNS1_11target_archE942ELNS1_3gpuE9ELNS1_3repE0EEES8_NS1_28merge_sort_block_sort_configILj256ELj4ELNS0_20block_sort_algorithmE0EEENS0_14default_configENS1_37merge_sort_block_sort_config_selectorIdNS0_10empty_typeEEENS1_38merge_sort_block_merge_config_selectorIdSE_EEEEvv,"axG",@progbits,_ZN7rocprim17ROCPRIM_400000_NS6detail44device_merge_sort_compile_time_verifier_archINS1_11comp_targetILNS1_3genE5ELNS1_11target_archE942ELNS1_3gpuE9ELNS1_3repE0EEES8_NS1_28merge_sort_block_sort_configILj256ELj4ELNS0_20block_sort_algorithmE0EEENS0_14default_configENS1_37merge_sort_block_sort_config_selectorIdNS0_10empty_typeEEENS1_38merge_sort_block_merge_config_selectorIdSE_EEEEvv,comdat
.Lfunc_end1452:
	.size	_ZN7rocprim17ROCPRIM_400000_NS6detail44device_merge_sort_compile_time_verifier_archINS1_11comp_targetILNS1_3genE5ELNS1_11target_archE942ELNS1_3gpuE9ELNS1_3repE0EEES8_NS1_28merge_sort_block_sort_configILj256ELj4ELNS0_20block_sort_algorithmE0EEENS0_14default_configENS1_37merge_sort_block_sort_config_selectorIdNS0_10empty_typeEEENS1_38merge_sort_block_merge_config_selectorIdSE_EEEEvv, .Lfunc_end1452-_ZN7rocprim17ROCPRIM_400000_NS6detail44device_merge_sort_compile_time_verifier_archINS1_11comp_targetILNS1_3genE5ELNS1_11target_archE942ELNS1_3gpuE9ELNS1_3repE0EEES8_NS1_28merge_sort_block_sort_configILj256ELj4ELNS0_20block_sort_algorithmE0EEENS0_14default_configENS1_37merge_sort_block_sort_config_selectorIdNS0_10empty_typeEEENS1_38merge_sort_block_merge_config_selectorIdSE_EEEEvv
                                        ; -- End function
	.set _ZN7rocprim17ROCPRIM_400000_NS6detail44device_merge_sort_compile_time_verifier_archINS1_11comp_targetILNS1_3genE5ELNS1_11target_archE942ELNS1_3gpuE9ELNS1_3repE0EEES8_NS1_28merge_sort_block_sort_configILj256ELj4ELNS0_20block_sort_algorithmE0EEENS0_14default_configENS1_37merge_sort_block_sort_config_selectorIdNS0_10empty_typeEEENS1_38merge_sort_block_merge_config_selectorIdSE_EEEEvv.num_vgpr, 0
	.set _ZN7rocprim17ROCPRIM_400000_NS6detail44device_merge_sort_compile_time_verifier_archINS1_11comp_targetILNS1_3genE5ELNS1_11target_archE942ELNS1_3gpuE9ELNS1_3repE0EEES8_NS1_28merge_sort_block_sort_configILj256ELj4ELNS0_20block_sort_algorithmE0EEENS0_14default_configENS1_37merge_sort_block_sort_config_selectorIdNS0_10empty_typeEEENS1_38merge_sort_block_merge_config_selectorIdSE_EEEEvv.num_agpr, 0
	.set _ZN7rocprim17ROCPRIM_400000_NS6detail44device_merge_sort_compile_time_verifier_archINS1_11comp_targetILNS1_3genE5ELNS1_11target_archE942ELNS1_3gpuE9ELNS1_3repE0EEES8_NS1_28merge_sort_block_sort_configILj256ELj4ELNS0_20block_sort_algorithmE0EEENS0_14default_configENS1_37merge_sort_block_sort_config_selectorIdNS0_10empty_typeEEENS1_38merge_sort_block_merge_config_selectorIdSE_EEEEvv.numbered_sgpr, 0
	.set _ZN7rocprim17ROCPRIM_400000_NS6detail44device_merge_sort_compile_time_verifier_archINS1_11comp_targetILNS1_3genE5ELNS1_11target_archE942ELNS1_3gpuE9ELNS1_3repE0EEES8_NS1_28merge_sort_block_sort_configILj256ELj4ELNS0_20block_sort_algorithmE0EEENS0_14default_configENS1_37merge_sort_block_sort_config_selectorIdNS0_10empty_typeEEENS1_38merge_sort_block_merge_config_selectorIdSE_EEEEvv.num_named_barrier, 0
	.set _ZN7rocprim17ROCPRIM_400000_NS6detail44device_merge_sort_compile_time_verifier_archINS1_11comp_targetILNS1_3genE5ELNS1_11target_archE942ELNS1_3gpuE9ELNS1_3repE0EEES8_NS1_28merge_sort_block_sort_configILj256ELj4ELNS0_20block_sort_algorithmE0EEENS0_14default_configENS1_37merge_sort_block_sort_config_selectorIdNS0_10empty_typeEEENS1_38merge_sort_block_merge_config_selectorIdSE_EEEEvv.private_seg_size, 0
	.set _ZN7rocprim17ROCPRIM_400000_NS6detail44device_merge_sort_compile_time_verifier_archINS1_11comp_targetILNS1_3genE5ELNS1_11target_archE942ELNS1_3gpuE9ELNS1_3repE0EEES8_NS1_28merge_sort_block_sort_configILj256ELj4ELNS0_20block_sort_algorithmE0EEENS0_14default_configENS1_37merge_sort_block_sort_config_selectorIdNS0_10empty_typeEEENS1_38merge_sort_block_merge_config_selectorIdSE_EEEEvv.uses_vcc, 0
	.set _ZN7rocprim17ROCPRIM_400000_NS6detail44device_merge_sort_compile_time_verifier_archINS1_11comp_targetILNS1_3genE5ELNS1_11target_archE942ELNS1_3gpuE9ELNS1_3repE0EEES8_NS1_28merge_sort_block_sort_configILj256ELj4ELNS0_20block_sort_algorithmE0EEENS0_14default_configENS1_37merge_sort_block_sort_config_selectorIdNS0_10empty_typeEEENS1_38merge_sort_block_merge_config_selectorIdSE_EEEEvv.uses_flat_scratch, 0
	.set _ZN7rocprim17ROCPRIM_400000_NS6detail44device_merge_sort_compile_time_verifier_archINS1_11comp_targetILNS1_3genE5ELNS1_11target_archE942ELNS1_3gpuE9ELNS1_3repE0EEES8_NS1_28merge_sort_block_sort_configILj256ELj4ELNS0_20block_sort_algorithmE0EEENS0_14default_configENS1_37merge_sort_block_sort_config_selectorIdNS0_10empty_typeEEENS1_38merge_sort_block_merge_config_selectorIdSE_EEEEvv.has_dyn_sized_stack, 0
	.set _ZN7rocprim17ROCPRIM_400000_NS6detail44device_merge_sort_compile_time_verifier_archINS1_11comp_targetILNS1_3genE5ELNS1_11target_archE942ELNS1_3gpuE9ELNS1_3repE0EEES8_NS1_28merge_sort_block_sort_configILj256ELj4ELNS0_20block_sort_algorithmE0EEENS0_14default_configENS1_37merge_sort_block_sort_config_selectorIdNS0_10empty_typeEEENS1_38merge_sort_block_merge_config_selectorIdSE_EEEEvv.has_recursion, 0
	.set _ZN7rocprim17ROCPRIM_400000_NS6detail44device_merge_sort_compile_time_verifier_archINS1_11comp_targetILNS1_3genE5ELNS1_11target_archE942ELNS1_3gpuE9ELNS1_3repE0EEES8_NS1_28merge_sort_block_sort_configILj256ELj4ELNS0_20block_sort_algorithmE0EEENS0_14default_configENS1_37merge_sort_block_sort_config_selectorIdNS0_10empty_typeEEENS1_38merge_sort_block_merge_config_selectorIdSE_EEEEvv.has_indirect_call, 0
	.section	.AMDGPU.csdata,"",@progbits
; Kernel info:
; codeLenInByte = 4
; TotalNumSgprs: 0
; NumVgprs: 0
; ScratchSize: 0
; MemoryBound: 0
; FloatMode: 240
; IeeeMode: 1
; LDSByteSize: 0 bytes/workgroup (compile time only)
; SGPRBlocks: 0
; VGPRBlocks: 0
; NumSGPRsForWavesPerEU: 1
; NumVGPRsForWavesPerEU: 1
; NamedBarCnt: 0
; Occupancy: 16
; WaveLimiterHint : 0
; COMPUTE_PGM_RSRC2:SCRATCH_EN: 0
; COMPUTE_PGM_RSRC2:USER_SGPR: 0
; COMPUTE_PGM_RSRC2:TRAP_HANDLER: 0
; COMPUTE_PGM_RSRC2:TGID_X_EN: 1
; COMPUTE_PGM_RSRC2:TGID_Y_EN: 0
; COMPUTE_PGM_RSRC2:TGID_Z_EN: 0
; COMPUTE_PGM_RSRC2:TIDIG_COMP_CNT: 0
	.section	.text._ZN7rocprim17ROCPRIM_400000_NS6detail44device_merge_sort_compile_time_verifier_archINS1_11comp_targetILNS1_3genE4ELNS1_11target_archE910ELNS1_3gpuE8ELNS1_3repE0EEES8_NS1_28merge_sort_block_sort_configILj256ELj4ELNS0_20block_sort_algorithmE0EEENS0_14default_configENS1_37merge_sort_block_sort_config_selectorIdNS0_10empty_typeEEENS1_38merge_sort_block_merge_config_selectorIdSE_EEEEvv,"axG",@progbits,_ZN7rocprim17ROCPRIM_400000_NS6detail44device_merge_sort_compile_time_verifier_archINS1_11comp_targetILNS1_3genE4ELNS1_11target_archE910ELNS1_3gpuE8ELNS1_3repE0EEES8_NS1_28merge_sort_block_sort_configILj256ELj4ELNS0_20block_sort_algorithmE0EEENS0_14default_configENS1_37merge_sort_block_sort_config_selectorIdNS0_10empty_typeEEENS1_38merge_sort_block_merge_config_selectorIdSE_EEEEvv,comdat
	.protected	_ZN7rocprim17ROCPRIM_400000_NS6detail44device_merge_sort_compile_time_verifier_archINS1_11comp_targetILNS1_3genE4ELNS1_11target_archE910ELNS1_3gpuE8ELNS1_3repE0EEES8_NS1_28merge_sort_block_sort_configILj256ELj4ELNS0_20block_sort_algorithmE0EEENS0_14default_configENS1_37merge_sort_block_sort_config_selectorIdNS0_10empty_typeEEENS1_38merge_sort_block_merge_config_selectorIdSE_EEEEvv ; -- Begin function _ZN7rocprim17ROCPRIM_400000_NS6detail44device_merge_sort_compile_time_verifier_archINS1_11comp_targetILNS1_3genE4ELNS1_11target_archE910ELNS1_3gpuE8ELNS1_3repE0EEES8_NS1_28merge_sort_block_sort_configILj256ELj4ELNS0_20block_sort_algorithmE0EEENS0_14default_configENS1_37merge_sort_block_sort_config_selectorIdNS0_10empty_typeEEENS1_38merge_sort_block_merge_config_selectorIdSE_EEEEvv
	.globl	_ZN7rocprim17ROCPRIM_400000_NS6detail44device_merge_sort_compile_time_verifier_archINS1_11comp_targetILNS1_3genE4ELNS1_11target_archE910ELNS1_3gpuE8ELNS1_3repE0EEES8_NS1_28merge_sort_block_sort_configILj256ELj4ELNS0_20block_sort_algorithmE0EEENS0_14default_configENS1_37merge_sort_block_sort_config_selectorIdNS0_10empty_typeEEENS1_38merge_sort_block_merge_config_selectorIdSE_EEEEvv
	.p2align	8
	.type	_ZN7rocprim17ROCPRIM_400000_NS6detail44device_merge_sort_compile_time_verifier_archINS1_11comp_targetILNS1_3genE4ELNS1_11target_archE910ELNS1_3gpuE8ELNS1_3repE0EEES8_NS1_28merge_sort_block_sort_configILj256ELj4ELNS0_20block_sort_algorithmE0EEENS0_14default_configENS1_37merge_sort_block_sort_config_selectorIdNS0_10empty_typeEEENS1_38merge_sort_block_merge_config_selectorIdSE_EEEEvv,@function
_ZN7rocprim17ROCPRIM_400000_NS6detail44device_merge_sort_compile_time_verifier_archINS1_11comp_targetILNS1_3genE4ELNS1_11target_archE910ELNS1_3gpuE8ELNS1_3repE0EEES8_NS1_28merge_sort_block_sort_configILj256ELj4ELNS0_20block_sort_algorithmE0EEENS0_14default_configENS1_37merge_sort_block_sort_config_selectorIdNS0_10empty_typeEEENS1_38merge_sort_block_merge_config_selectorIdSE_EEEEvv: ; @_ZN7rocprim17ROCPRIM_400000_NS6detail44device_merge_sort_compile_time_verifier_archINS1_11comp_targetILNS1_3genE4ELNS1_11target_archE910ELNS1_3gpuE8ELNS1_3repE0EEES8_NS1_28merge_sort_block_sort_configILj256ELj4ELNS0_20block_sort_algorithmE0EEENS0_14default_configENS1_37merge_sort_block_sort_config_selectorIdNS0_10empty_typeEEENS1_38merge_sort_block_merge_config_selectorIdSE_EEEEvv
; %bb.0:
	s_endpgm
	.section	.rodata,"a",@progbits
	.p2align	6, 0x0
	.amdhsa_kernel _ZN7rocprim17ROCPRIM_400000_NS6detail44device_merge_sort_compile_time_verifier_archINS1_11comp_targetILNS1_3genE4ELNS1_11target_archE910ELNS1_3gpuE8ELNS1_3repE0EEES8_NS1_28merge_sort_block_sort_configILj256ELj4ELNS0_20block_sort_algorithmE0EEENS0_14default_configENS1_37merge_sort_block_sort_config_selectorIdNS0_10empty_typeEEENS1_38merge_sort_block_merge_config_selectorIdSE_EEEEvv
		.amdhsa_group_segment_fixed_size 0
		.amdhsa_private_segment_fixed_size 0
		.amdhsa_kernarg_size 0
		.amdhsa_user_sgpr_count 0
		.amdhsa_user_sgpr_dispatch_ptr 0
		.amdhsa_user_sgpr_queue_ptr 0
		.amdhsa_user_sgpr_kernarg_segment_ptr 0
		.amdhsa_user_sgpr_dispatch_id 0
		.amdhsa_user_sgpr_kernarg_preload_length 0
		.amdhsa_user_sgpr_kernarg_preload_offset 0
		.amdhsa_user_sgpr_private_segment_size 0
		.amdhsa_wavefront_size32 1
		.amdhsa_uses_dynamic_stack 0
		.amdhsa_enable_private_segment 0
		.amdhsa_system_sgpr_workgroup_id_x 1
		.amdhsa_system_sgpr_workgroup_id_y 0
		.amdhsa_system_sgpr_workgroup_id_z 0
		.amdhsa_system_sgpr_workgroup_info 0
		.amdhsa_system_vgpr_workitem_id 0
		.amdhsa_next_free_vgpr 1
		.amdhsa_next_free_sgpr 1
		.amdhsa_named_barrier_count 0
		.amdhsa_reserve_vcc 0
		.amdhsa_float_round_mode_32 0
		.amdhsa_float_round_mode_16_64 0
		.amdhsa_float_denorm_mode_32 3
		.amdhsa_float_denorm_mode_16_64 3
		.amdhsa_fp16_overflow 0
		.amdhsa_memory_ordered 1
		.amdhsa_forward_progress 1
		.amdhsa_inst_pref_size 1
		.amdhsa_round_robin_scheduling 0
		.amdhsa_exception_fp_ieee_invalid_op 0
		.amdhsa_exception_fp_denorm_src 0
		.amdhsa_exception_fp_ieee_div_zero 0
		.amdhsa_exception_fp_ieee_overflow 0
		.amdhsa_exception_fp_ieee_underflow 0
		.amdhsa_exception_fp_ieee_inexact 0
		.amdhsa_exception_int_div_zero 0
	.end_amdhsa_kernel
	.section	.text._ZN7rocprim17ROCPRIM_400000_NS6detail44device_merge_sort_compile_time_verifier_archINS1_11comp_targetILNS1_3genE4ELNS1_11target_archE910ELNS1_3gpuE8ELNS1_3repE0EEES8_NS1_28merge_sort_block_sort_configILj256ELj4ELNS0_20block_sort_algorithmE0EEENS0_14default_configENS1_37merge_sort_block_sort_config_selectorIdNS0_10empty_typeEEENS1_38merge_sort_block_merge_config_selectorIdSE_EEEEvv,"axG",@progbits,_ZN7rocprim17ROCPRIM_400000_NS6detail44device_merge_sort_compile_time_verifier_archINS1_11comp_targetILNS1_3genE4ELNS1_11target_archE910ELNS1_3gpuE8ELNS1_3repE0EEES8_NS1_28merge_sort_block_sort_configILj256ELj4ELNS0_20block_sort_algorithmE0EEENS0_14default_configENS1_37merge_sort_block_sort_config_selectorIdNS0_10empty_typeEEENS1_38merge_sort_block_merge_config_selectorIdSE_EEEEvv,comdat
.Lfunc_end1453:
	.size	_ZN7rocprim17ROCPRIM_400000_NS6detail44device_merge_sort_compile_time_verifier_archINS1_11comp_targetILNS1_3genE4ELNS1_11target_archE910ELNS1_3gpuE8ELNS1_3repE0EEES8_NS1_28merge_sort_block_sort_configILj256ELj4ELNS0_20block_sort_algorithmE0EEENS0_14default_configENS1_37merge_sort_block_sort_config_selectorIdNS0_10empty_typeEEENS1_38merge_sort_block_merge_config_selectorIdSE_EEEEvv, .Lfunc_end1453-_ZN7rocprim17ROCPRIM_400000_NS6detail44device_merge_sort_compile_time_verifier_archINS1_11comp_targetILNS1_3genE4ELNS1_11target_archE910ELNS1_3gpuE8ELNS1_3repE0EEES8_NS1_28merge_sort_block_sort_configILj256ELj4ELNS0_20block_sort_algorithmE0EEENS0_14default_configENS1_37merge_sort_block_sort_config_selectorIdNS0_10empty_typeEEENS1_38merge_sort_block_merge_config_selectorIdSE_EEEEvv
                                        ; -- End function
	.set _ZN7rocprim17ROCPRIM_400000_NS6detail44device_merge_sort_compile_time_verifier_archINS1_11comp_targetILNS1_3genE4ELNS1_11target_archE910ELNS1_3gpuE8ELNS1_3repE0EEES8_NS1_28merge_sort_block_sort_configILj256ELj4ELNS0_20block_sort_algorithmE0EEENS0_14default_configENS1_37merge_sort_block_sort_config_selectorIdNS0_10empty_typeEEENS1_38merge_sort_block_merge_config_selectorIdSE_EEEEvv.num_vgpr, 0
	.set _ZN7rocprim17ROCPRIM_400000_NS6detail44device_merge_sort_compile_time_verifier_archINS1_11comp_targetILNS1_3genE4ELNS1_11target_archE910ELNS1_3gpuE8ELNS1_3repE0EEES8_NS1_28merge_sort_block_sort_configILj256ELj4ELNS0_20block_sort_algorithmE0EEENS0_14default_configENS1_37merge_sort_block_sort_config_selectorIdNS0_10empty_typeEEENS1_38merge_sort_block_merge_config_selectorIdSE_EEEEvv.num_agpr, 0
	.set _ZN7rocprim17ROCPRIM_400000_NS6detail44device_merge_sort_compile_time_verifier_archINS1_11comp_targetILNS1_3genE4ELNS1_11target_archE910ELNS1_3gpuE8ELNS1_3repE0EEES8_NS1_28merge_sort_block_sort_configILj256ELj4ELNS0_20block_sort_algorithmE0EEENS0_14default_configENS1_37merge_sort_block_sort_config_selectorIdNS0_10empty_typeEEENS1_38merge_sort_block_merge_config_selectorIdSE_EEEEvv.numbered_sgpr, 0
	.set _ZN7rocprim17ROCPRIM_400000_NS6detail44device_merge_sort_compile_time_verifier_archINS1_11comp_targetILNS1_3genE4ELNS1_11target_archE910ELNS1_3gpuE8ELNS1_3repE0EEES8_NS1_28merge_sort_block_sort_configILj256ELj4ELNS0_20block_sort_algorithmE0EEENS0_14default_configENS1_37merge_sort_block_sort_config_selectorIdNS0_10empty_typeEEENS1_38merge_sort_block_merge_config_selectorIdSE_EEEEvv.num_named_barrier, 0
	.set _ZN7rocprim17ROCPRIM_400000_NS6detail44device_merge_sort_compile_time_verifier_archINS1_11comp_targetILNS1_3genE4ELNS1_11target_archE910ELNS1_3gpuE8ELNS1_3repE0EEES8_NS1_28merge_sort_block_sort_configILj256ELj4ELNS0_20block_sort_algorithmE0EEENS0_14default_configENS1_37merge_sort_block_sort_config_selectorIdNS0_10empty_typeEEENS1_38merge_sort_block_merge_config_selectorIdSE_EEEEvv.private_seg_size, 0
	.set _ZN7rocprim17ROCPRIM_400000_NS6detail44device_merge_sort_compile_time_verifier_archINS1_11comp_targetILNS1_3genE4ELNS1_11target_archE910ELNS1_3gpuE8ELNS1_3repE0EEES8_NS1_28merge_sort_block_sort_configILj256ELj4ELNS0_20block_sort_algorithmE0EEENS0_14default_configENS1_37merge_sort_block_sort_config_selectorIdNS0_10empty_typeEEENS1_38merge_sort_block_merge_config_selectorIdSE_EEEEvv.uses_vcc, 0
	.set _ZN7rocprim17ROCPRIM_400000_NS6detail44device_merge_sort_compile_time_verifier_archINS1_11comp_targetILNS1_3genE4ELNS1_11target_archE910ELNS1_3gpuE8ELNS1_3repE0EEES8_NS1_28merge_sort_block_sort_configILj256ELj4ELNS0_20block_sort_algorithmE0EEENS0_14default_configENS1_37merge_sort_block_sort_config_selectorIdNS0_10empty_typeEEENS1_38merge_sort_block_merge_config_selectorIdSE_EEEEvv.uses_flat_scratch, 0
	.set _ZN7rocprim17ROCPRIM_400000_NS6detail44device_merge_sort_compile_time_verifier_archINS1_11comp_targetILNS1_3genE4ELNS1_11target_archE910ELNS1_3gpuE8ELNS1_3repE0EEES8_NS1_28merge_sort_block_sort_configILj256ELj4ELNS0_20block_sort_algorithmE0EEENS0_14default_configENS1_37merge_sort_block_sort_config_selectorIdNS0_10empty_typeEEENS1_38merge_sort_block_merge_config_selectorIdSE_EEEEvv.has_dyn_sized_stack, 0
	.set _ZN7rocprim17ROCPRIM_400000_NS6detail44device_merge_sort_compile_time_verifier_archINS1_11comp_targetILNS1_3genE4ELNS1_11target_archE910ELNS1_3gpuE8ELNS1_3repE0EEES8_NS1_28merge_sort_block_sort_configILj256ELj4ELNS0_20block_sort_algorithmE0EEENS0_14default_configENS1_37merge_sort_block_sort_config_selectorIdNS0_10empty_typeEEENS1_38merge_sort_block_merge_config_selectorIdSE_EEEEvv.has_recursion, 0
	.set _ZN7rocprim17ROCPRIM_400000_NS6detail44device_merge_sort_compile_time_verifier_archINS1_11comp_targetILNS1_3genE4ELNS1_11target_archE910ELNS1_3gpuE8ELNS1_3repE0EEES8_NS1_28merge_sort_block_sort_configILj256ELj4ELNS0_20block_sort_algorithmE0EEENS0_14default_configENS1_37merge_sort_block_sort_config_selectorIdNS0_10empty_typeEEENS1_38merge_sort_block_merge_config_selectorIdSE_EEEEvv.has_indirect_call, 0
	.section	.AMDGPU.csdata,"",@progbits
; Kernel info:
; codeLenInByte = 4
; TotalNumSgprs: 0
; NumVgprs: 0
; ScratchSize: 0
; MemoryBound: 0
; FloatMode: 240
; IeeeMode: 1
; LDSByteSize: 0 bytes/workgroup (compile time only)
; SGPRBlocks: 0
; VGPRBlocks: 0
; NumSGPRsForWavesPerEU: 1
; NumVGPRsForWavesPerEU: 1
; NamedBarCnt: 0
; Occupancy: 16
; WaveLimiterHint : 0
; COMPUTE_PGM_RSRC2:SCRATCH_EN: 0
; COMPUTE_PGM_RSRC2:USER_SGPR: 0
; COMPUTE_PGM_RSRC2:TRAP_HANDLER: 0
; COMPUTE_PGM_RSRC2:TGID_X_EN: 1
; COMPUTE_PGM_RSRC2:TGID_Y_EN: 0
; COMPUTE_PGM_RSRC2:TGID_Z_EN: 0
; COMPUTE_PGM_RSRC2:TIDIG_COMP_CNT: 0
	.section	.text._ZN7rocprim17ROCPRIM_400000_NS6detail44device_merge_sort_compile_time_verifier_archINS1_11comp_targetILNS1_3genE3ELNS1_11target_archE908ELNS1_3gpuE7ELNS1_3repE0EEES8_NS1_28merge_sort_block_sort_configILj256ELj4ELNS0_20block_sort_algorithmE0EEENS0_14default_configENS1_37merge_sort_block_sort_config_selectorIdNS0_10empty_typeEEENS1_38merge_sort_block_merge_config_selectorIdSE_EEEEvv,"axG",@progbits,_ZN7rocprim17ROCPRIM_400000_NS6detail44device_merge_sort_compile_time_verifier_archINS1_11comp_targetILNS1_3genE3ELNS1_11target_archE908ELNS1_3gpuE7ELNS1_3repE0EEES8_NS1_28merge_sort_block_sort_configILj256ELj4ELNS0_20block_sort_algorithmE0EEENS0_14default_configENS1_37merge_sort_block_sort_config_selectorIdNS0_10empty_typeEEENS1_38merge_sort_block_merge_config_selectorIdSE_EEEEvv,comdat
	.protected	_ZN7rocprim17ROCPRIM_400000_NS6detail44device_merge_sort_compile_time_verifier_archINS1_11comp_targetILNS1_3genE3ELNS1_11target_archE908ELNS1_3gpuE7ELNS1_3repE0EEES8_NS1_28merge_sort_block_sort_configILj256ELj4ELNS0_20block_sort_algorithmE0EEENS0_14default_configENS1_37merge_sort_block_sort_config_selectorIdNS0_10empty_typeEEENS1_38merge_sort_block_merge_config_selectorIdSE_EEEEvv ; -- Begin function _ZN7rocprim17ROCPRIM_400000_NS6detail44device_merge_sort_compile_time_verifier_archINS1_11comp_targetILNS1_3genE3ELNS1_11target_archE908ELNS1_3gpuE7ELNS1_3repE0EEES8_NS1_28merge_sort_block_sort_configILj256ELj4ELNS0_20block_sort_algorithmE0EEENS0_14default_configENS1_37merge_sort_block_sort_config_selectorIdNS0_10empty_typeEEENS1_38merge_sort_block_merge_config_selectorIdSE_EEEEvv
	.globl	_ZN7rocprim17ROCPRIM_400000_NS6detail44device_merge_sort_compile_time_verifier_archINS1_11comp_targetILNS1_3genE3ELNS1_11target_archE908ELNS1_3gpuE7ELNS1_3repE0EEES8_NS1_28merge_sort_block_sort_configILj256ELj4ELNS0_20block_sort_algorithmE0EEENS0_14default_configENS1_37merge_sort_block_sort_config_selectorIdNS0_10empty_typeEEENS1_38merge_sort_block_merge_config_selectorIdSE_EEEEvv
	.p2align	8
	.type	_ZN7rocprim17ROCPRIM_400000_NS6detail44device_merge_sort_compile_time_verifier_archINS1_11comp_targetILNS1_3genE3ELNS1_11target_archE908ELNS1_3gpuE7ELNS1_3repE0EEES8_NS1_28merge_sort_block_sort_configILj256ELj4ELNS0_20block_sort_algorithmE0EEENS0_14default_configENS1_37merge_sort_block_sort_config_selectorIdNS0_10empty_typeEEENS1_38merge_sort_block_merge_config_selectorIdSE_EEEEvv,@function
_ZN7rocprim17ROCPRIM_400000_NS6detail44device_merge_sort_compile_time_verifier_archINS1_11comp_targetILNS1_3genE3ELNS1_11target_archE908ELNS1_3gpuE7ELNS1_3repE0EEES8_NS1_28merge_sort_block_sort_configILj256ELj4ELNS0_20block_sort_algorithmE0EEENS0_14default_configENS1_37merge_sort_block_sort_config_selectorIdNS0_10empty_typeEEENS1_38merge_sort_block_merge_config_selectorIdSE_EEEEvv: ; @_ZN7rocprim17ROCPRIM_400000_NS6detail44device_merge_sort_compile_time_verifier_archINS1_11comp_targetILNS1_3genE3ELNS1_11target_archE908ELNS1_3gpuE7ELNS1_3repE0EEES8_NS1_28merge_sort_block_sort_configILj256ELj4ELNS0_20block_sort_algorithmE0EEENS0_14default_configENS1_37merge_sort_block_sort_config_selectorIdNS0_10empty_typeEEENS1_38merge_sort_block_merge_config_selectorIdSE_EEEEvv
; %bb.0:
	s_endpgm
	.section	.rodata,"a",@progbits
	.p2align	6, 0x0
	.amdhsa_kernel _ZN7rocprim17ROCPRIM_400000_NS6detail44device_merge_sort_compile_time_verifier_archINS1_11comp_targetILNS1_3genE3ELNS1_11target_archE908ELNS1_3gpuE7ELNS1_3repE0EEES8_NS1_28merge_sort_block_sort_configILj256ELj4ELNS0_20block_sort_algorithmE0EEENS0_14default_configENS1_37merge_sort_block_sort_config_selectorIdNS0_10empty_typeEEENS1_38merge_sort_block_merge_config_selectorIdSE_EEEEvv
		.amdhsa_group_segment_fixed_size 0
		.amdhsa_private_segment_fixed_size 0
		.amdhsa_kernarg_size 0
		.amdhsa_user_sgpr_count 0
		.amdhsa_user_sgpr_dispatch_ptr 0
		.amdhsa_user_sgpr_queue_ptr 0
		.amdhsa_user_sgpr_kernarg_segment_ptr 0
		.amdhsa_user_sgpr_dispatch_id 0
		.amdhsa_user_sgpr_kernarg_preload_length 0
		.amdhsa_user_sgpr_kernarg_preload_offset 0
		.amdhsa_user_sgpr_private_segment_size 0
		.amdhsa_wavefront_size32 1
		.amdhsa_uses_dynamic_stack 0
		.amdhsa_enable_private_segment 0
		.amdhsa_system_sgpr_workgroup_id_x 1
		.amdhsa_system_sgpr_workgroup_id_y 0
		.amdhsa_system_sgpr_workgroup_id_z 0
		.amdhsa_system_sgpr_workgroup_info 0
		.amdhsa_system_vgpr_workitem_id 0
		.amdhsa_next_free_vgpr 1
		.amdhsa_next_free_sgpr 1
		.amdhsa_named_barrier_count 0
		.amdhsa_reserve_vcc 0
		.amdhsa_float_round_mode_32 0
		.amdhsa_float_round_mode_16_64 0
		.amdhsa_float_denorm_mode_32 3
		.amdhsa_float_denorm_mode_16_64 3
		.amdhsa_fp16_overflow 0
		.amdhsa_memory_ordered 1
		.amdhsa_forward_progress 1
		.amdhsa_inst_pref_size 1
		.amdhsa_round_robin_scheduling 0
		.amdhsa_exception_fp_ieee_invalid_op 0
		.amdhsa_exception_fp_denorm_src 0
		.amdhsa_exception_fp_ieee_div_zero 0
		.amdhsa_exception_fp_ieee_overflow 0
		.amdhsa_exception_fp_ieee_underflow 0
		.amdhsa_exception_fp_ieee_inexact 0
		.amdhsa_exception_int_div_zero 0
	.end_amdhsa_kernel
	.section	.text._ZN7rocprim17ROCPRIM_400000_NS6detail44device_merge_sort_compile_time_verifier_archINS1_11comp_targetILNS1_3genE3ELNS1_11target_archE908ELNS1_3gpuE7ELNS1_3repE0EEES8_NS1_28merge_sort_block_sort_configILj256ELj4ELNS0_20block_sort_algorithmE0EEENS0_14default_configENS1_37merge_sort_block_sort_config_selectorIdNS0_10empty_typeEEENS1_38merge_sort_block_merge_config_selectorIdSE_EEEEvv,"axG",@progbits,_ZN7rocprim17ROCPRIM_400000_NS6detail44device_merge_sort_compile_time_verifier_archINS1_11comp_targetILNS1_3genE3ELNS1_11target_archE908ELNS1_3gpuE7ELNS1_3repE0EEES8_NS1_28merge_sort_block_sort_configILj256ELj4ELNS0_20block_sort_algorithmE0EEENS0_14default_configENS1_37merge_sort_block_sort_config_selectorIdNS0_10empty_typeEEENS1_38merge_sort_block_merge_config_selectorIdSE_EEEEvv,comdat
.Lfunc_end1454:
	.size	_ZN7rocprim17ROCPRIM_400000_NS6detail44device_merge_sort_compile_time_verifier_archINS1_11comp_targetILNS1_3genE3ELNS1_11target_archE908ELNS1_3gpuE7ELNS1_3repE0EEES8_NS1_28merge_sort_block_sort_configILj256ELj4ELNS0_20block_sort_algorithmE0EEENS0_14default_configENS1_37merge_sort_block_sort_config_selectorIdNS0_10empty_typeEEENS1_38merge_sort_block_merge_config_selectorIdSE_EEEEvv, .Lfunc_end1454-_ZN7rocprim17ROCPRIM_400000_NS6detail44device_merge_sort_compile_time_verifier_archINS1_11comp_targetILNS1_3genE3ELNS1_11target_archE908ELNS1_3gpuE7ELNS1_3repE0EEES8_NS1_28merge_sort_block_sort_configILj256ELj4ELNS0_20block_sort_algorithmE0EEENS0_14default_configENS1_37merge_sort_block_sort_config_selectorIdNS0_10empty_typeEEENS1_38merge_sort_block_merge_config_selectorIdSE_EEEEvv
                                        ; -- End function
	.set _ZN7rocprim17ROCPRIM_400000_NS6detail44device_merge_sort_compile_time_verifier_archINS1_11comp_targetILNS1_3genE3ELNS1_11target_archE908ELNS1_3gpuE7ELNS1_3repE0EEES8_NS1_28merge_sort_block_sort_configILj256ELj4ELNS0_20block_sort_algorithmE0EEENS0_14default_configENS1_37merge_sort_block_sort_config_selectorIdNS0_10empty_typeEEENS1_38merge_sort_block_merge_config_selectorIdSE_EEEEvv.num_vgpr, 0
	.set _ZN7rocprim17ROCPRIM_400000_NS6detail44device_merge_sort_compile_time_verifier_archINS1_11comp_targetILNS1_3genE3ELNS1_11target_archE908ELNS1_3gpuE7ELNS1_3repE0EEES8_NS1_28merge_sort_block_sort_configILj256ELj4ELNS0_20block_sort_algorithmE0EEENS0_14default_configENS1_37merge_sort_block_sort_config_selectorIdNS0_10empty_typeEEENS1_38merge_sort_block_merge_config_selectorIdSE_EEEEvv.num_agpr, 0
	.set _ZN7rocprim17ROCPRIM_400000_NS6detail44device_merge_sort_compile_time_verifier_archINS1_11comp_targetILNS1_3genE3ELNS1_11target_archE908ELNS1_3gpuE7ELNS1_3repE0EEES8_NS1_28merge_sort_block_sort_configILj256ELj4ELNS0_20block_sort_algorithmE0EEENS0_14default_configENS1_37merge_sort_block_sort_config_selectorIdNS0_10empty_typeEEENS1_38merge_sort_block_merge_config_selectorIdSE_EEEEvv.numbered_sgpr, 0
	.set _ZN7rocprim17ROCPRIM_400000_NS6detail44device_merge_sort_compile_time_verifier_archINS1_11comp_targetILNS1_3genE3ELNS1_11target_archE908ELNS1_3gpuE7ELNS1_3repE0EEES8_NS1_28merge_sort_block_sort_configILj256ELj4ELNS0_20block_sort_algorithmE0EEENS0_14default_configENS1_37merge_sort_block_sort_config_selectorIdNS0_10empty_typeEEENS1_38merge_sort_block_merge_config_selectorIdSE_EEEEvv.num_named_barrier, 0
	.set _ZN7rocprim17ROCPRIM_400000_NS6detail44device_merge_sort_compile_time_verifier_archINS1_11comp_targetILNS1_3genE3ELNS1_11target_archE908ELNS1_3gpuE7ELNS1_3repE0EEES8_NS1_28merge_sort_block_sort_configILj256ELj4ELNS0_20block_sort_algorithmE0EEENS0_14default_configENS1_37merge_sort_block_sort_config_selectorIdNS0_10empty_typeEEENS1_38merge_sort_block_merge_config_selectorIdSE_EEEEvv.private_seg_size, 0
	.set _ZN7rocprim17ROCPRIM_400000_NS6detail44device_merge_sort_compile_time_verifier_archINS1_11comp_targetILNS1_3genE3ELNS1_11target_archE908ELNS1_3gpuE7ELNS1_3repE0EEES8_NS1_28merge_sort_block_sort_configILj256ELj4ELNS0_20block_sort_algorithmE0EEENS0_14default_configENS1_37merge_sort_block_sort_config_selectorIdNS0_10empty_typeEEENS1_38merge_sort_block_merge_config_selectorIdSE_EEEEvv.uses_vcc, 0
	.set _ZN7rocprim17ROCPRIM_400000_NS6detail44device_merge_sort_compile_time_verifier_archINS1_11comp_targetILNS1_3genE3ELNS1_11target_archE908ELNS1_3gpuE7ELNS1_3repE0EEES8_NS1_28merge_sort_block_sort_configILj256ELj4ELNS0_20block_sort_algorithmE0EEENS0_14default_configENS1_37merge_sort_block_sort_config_selectorIdNS0_10empty_typeEEENS1_38merge_sort_block_merge_config_selectorIdSE_EEEEvv.uses_flat_scratch, 0
	.set _ZN7rocprim17ROCPRIM_400000_NS6detail44device_merge_sort_compile_time_verifier_archINS1_11comp_targetILNS1_3genE3ELNS1_11target_archE908ELNS1_3gpuE7ELNS1_3repE0EEES8_NS1_28merge_sort_block_sort_configILj256ELj4ELNS0_20block_sort_algorithmE0EEENS0_14default_configENS1_37merge_sort_block_sort_config_selectorIdNS0_10empty_typeEEENS1_38merge_sort_block_merge_config_selectorIdSE_EEEEvv.has_dyn_sized_stack, 0
	.set _ZN7rocprim17ROCPRIM_400000_NS6detail44device_merge_sort_compile_time_verifier_archINS1_11comp_targetILNS1_3genE3ELNS1_11target_archE908ELNS1_3gpuE7ELNS1_3repE0EEES8_NS1_28merge_sort_block_sort_configILj256ELj4ELNS0_20block_sort_algorithmE0EEENS0_14default_configENS1_37merge_sort_block_sort_config_selectorIdNS0_10empty_typeEEENS1_38merge_sort_block_merge_config_selectorIdSE_EEEEvv.has_recursion, 0
	.set _ZN7rocprim17ROCPRIM_400000_NS6detail44device_merge_sort_compile_time_verifier_archINS1_11comp_targetILNS1_3genE3ELNS1_11target_archE908ELNS1_3gpuE7ELNS1_3repE0EEES8_NS1_28merge_sort_block_sort_configILj256ELj4ELNS0_20block_sort_algorithmE0EEENS0_14default_configENS1_37merge_sort_block_sort_config_selectorIdNS0_10empty_typeEEENS1_38merge_sort_block_merge_config_selectorIdSE_EEEEvv.has_indirect_call, 0
	.section	.AMDGPU.csdata,"",@progbits
; Kernel info:
; codeLenInByte = 4
; TotalNumSgprs: 0
; NumVgprs: 0
; ScratchSize: 0
; MemoryBound: 0
; FloatMode: 240
; IeeeMode: 1
; LDSByteSize: 0 bytes/workgroup (compile time only)
; SGPRBlocks: 0
; VGPRBlocks: 0
; NumSGPRsForWavesPerEU: 1
; NumVGPRsForWavesPerEU: 1
; NamedBarCnt: 0
; Occupancy: 16
; WaveLimiterHint : 0
; COMPUTE_PGM_RSRC2:SCRATCH_EN: 0
; COMPUTE_PGM_RSRC2:USER_SGPR: 0
; COMPUTE_PGM_RSRC2:TRAP_HANDLER: 0
; COMPUTE_PGM_RSRC2:TGID_X_EN: 1
; COMPUTE_PGM_RSRC2:TGID_Y_EN: 0
; COMPUTE_PGM_RSRC2:TGID_Z_EN: 0
; COMPUTE_PGM_RSRC2:TIDIG_COMP_CNT: 0
	.section	.text._ZN7rocprim17ROCPRIM_400000_NS6detail44device_merge_sort_compile_time_verifier_archINS1_11comp_targetILNS1_3genE2ELNS1_11target_archE906ELNS1_3gpuE6ELNS1_3repE0EEES8_NS1_28merge_sort_block_sort_configILj256ELj4ELNS0_20block_sort_algorithmE0EEENS0_14default_configENS1_37merge_sort_block_sort_config_selectorIdNS0_10empty_typeEEENS1_38merge_sort_block_merge_config_selectorIdSE_EEEEvv,"axG",@progbits,_ZN7rocprim17ROCPRIM_400000_NS6detail44device_merge_sort_compile_time_verifier_archINS1_11comp_targetILNS1_3genE2ELNS1_11target_archE906ELNS1_3gpuE6ELNS1_3repE0EEES8_NS1_28merge_sort_block_sort_configILj256ELj4ELNS0_20block_sort_algorithmE0EEENS0_14default_configENS1_37merge_sort_block_sort_config_selectorIdNS0_10empty_typeEEENS1_38merge_sort_block_merge_config_selectorIdSE_EEEEvv,comdat
	.protected	_ZN7rocprim17ROCPRIM_400000_NS6detail44device_merge_sort_compile_time_verifier_archINS1_11comp_targetILNS1_3genE2ELNS1_11target_archE906ELNS1_3gpuE6ELNS1_3repE0EEES8_NS1_28merge_sort_block_sort_configILj256ELj4ELNS0_20block_sort_algorithmE0EEENS0_14default_configENS1_37merge_sort_block_sort_config_selectorIdNS0_10empty_typeEEENS1_38merge_sort_block_merge_config_selectorIdSE_EEEEvv ; -- Begin function _ZN7rocprim17ROCPRIM_400000_NS6detail44device_merge_sort_compile_time_verifier_archINS1_11comp_targetILNS1_3genE2ELNS1_11target_archE906ELNS1_3gpuE6ELNS1_3repE0EEES8_NS1_28merge_sort_block_sort_configILj256ELj4ELNS0_20block_sort_algorithmE0EEENS0_14default_configENS1_37merge_sort_block_sort_config_selectorIdNS0_10empty_typeEEENS1_38merge_sort_block_merge_config_selectorIdSE_EEEEvv
	.globl	_ZN7rocprim17ROCPRIM_400000_NS6detail44device_merge_sort_compile_time_verifier_archINS1_11comp_targetILNS1_3genE2ELNS1_11target_archE906ELNS1_3gpuE6ELNS1_3repE0EEES8_NS1_28merge_sort_block_sort_configILj256ELj4ELNS0_20block_sort_algorithmE0EEENS0_14default_configENS1_37merge_sort_block_sort_config_selectorIdNS0_10empty_typeEEENS1_38merge_sort_block_merge_config_selectorIdSE_EEEEvv
	.p2align	8
	.type	_ZN7rocprim17ROCPRIM_400000_NS6detail44device_merge_sort_compile_time_verifier_archINS1_11comp_targetILNS1_3genE2ELNS1_11target_archE906ELNS1_3gpuE6ELNS1_3repE0EEES8_NS1_28merge_sort_block_sort_configILj256ELj4ELNS0_20block_sort_algorithmE0EEENS0_14default_configENS1_37merge_sort_block_sort_config_selectorIdNS0_10empty_typeEEENS1_38merge_sort_block_merge_config_selectorIdSE_EEEEvv,@function
_ZN7rocprim17ROCPRIM_400000_NS6detail44device_merge_sort_compile_time_verifier_archINS1_11comp_targetILNS1_3genE2ELNS1_11target_archE906ELNS1_3gpuE6ELNS1_3repE0EEES8_NS1_28merge_sort_block_sort_configILj256ELj4ELNS0_20block_sort_algorithmE0EEENS0_14default_configENS1_37merge_sort_block_sort_config_selectorIdNS0_10empty_typeEEENS1_38merge_sort_block_merge_config_selectorIdSE_EEEEvv: ; @_ZN7rocprim17ROCPRIM_400000_NS6detail44device_merge_sort_compile_time_verifier_archINS1_11comp_targetILNS1_3genE2ELNS1_11target_archE906ELNS1_3gpuE6ELNS1_3repE0EEES8_NS1_28merge_sort_block_sort_configILj256ELj4ELNS0_20block_sort_algorithmE0EEENS0_14default_configENS1_37merge_sort_block_sort_config_selectorIdNS0_10empty_typeEEENS1_38merge_sort_block_merge_config_selectorIdSE_EEEEvv
; %bb.0:
	s_endpgm
	.section	.rodata,"a",@progbits
	.p2align	6, 0x0
	.amdhsa_kernel _ZN7rocprim17ROCPRIM_400000_NS6detail44device_merge_sort_compile_time_verifier_archINS1_11comp_targetILNS1_3genE2ELNS1_11target_archE906ELNS1_3gpuE6ELNS1_3repE0EEES8_NS1_28merge_sort_block_sort_configILj256ELj4ELNS0_20block_sort_algorithmE0EEENS0_14default_configENS1_37merge_sort_block_sort_config_selectorIdNS0_10empty_typeEEENS1_38merge_sort_block_merge_config_selectorIdSE_EEEEvv
		.amdhsa_group_segment_fixed_size 0
		.amdhsa_private_segment_fixed_size 0
		.amdhsa_kernarg_size 0
		.amdhsa_user_sgpr_count 0
		.amdhsa_user_sgpr_dispatch_ptr 0
		.amdhsa_user_sgpr_queue_ptr 0
		.amdhsa_user_sgpr_kernarg_segment_ptr 0
		.amdhsa_user_sgpr_dispatch_id 0
		.amdhsa_user_sgpr_kernarg_preload_length 0
		.amdhsa_user_sgpr_kernarg_preload_offset 0
		.amdhsa_user_sgpr_private_segment_size 0
		.amdhsa_wavefront_size32 1
		.amdhsa_uses_dynamic_stack 0
		.amdhsa_enable_private_segment 0
		.amdhsa_system_sgpr_workgroup_id_x 1
		.amdhsa_system_sgpr_workgroup_id_y 0
		.amdhsa_system_sgpr_workgroup_id_z 0
		.amdhsa_system_sgpr_workgroup_info 0
		.amdhsa_system_vgpr_workitem_id 0
		.amdhsa_next_free_vgpr 1
		.amdhsa_next_free_sgpr 1
		.amdhsa_named_barrier_count 0
		.amdhsa_reserve_vcc 0
		.amdhsa_float_round_mode_32 0
		.amdhsa_float_round_mode_16_64 0
		.amdhsa_float_denorm_mode_32 3
		.amdhsa_float_denorm_mode_16_64 3
		.amdhsa_fp16_overflow 0
		.amdhsa_memory_ordered 1
		.amdhsa_forward_progress 1
		.amdhsa_inst_pref_size 1
		.amdhsa_round_robin_scheduling 0
		.amdhsa_exception_fp_ieee_invalid_op 0
		.amdhsa_exception_fp_denorm_src 0
		.amdhsa_exception_fp_ieee_div_zero 0
		.amdhsa_exception_fp_ieee_overflow 0
		.amdhsa_exception_fp_ieee_underflow 0
		.amdhsa_exception_fp_ieee_inexact 0
		.amdhsa_exception_int_div_zero 0
	.end_amdhsa_kernel
	.section	.text._ZN7rocprim17ROCPRIM_400000_NS6detail44device_merge_sort_compile_time_verifier_archINS1_11comp_targetILNS1_3genE2ELNS1_11target_archE906ELNS1_3gpuE6ELNS1_3repE0EEES8_NS1_28merge_sort_block_sort_configILj256ELj4ELNS0_20block_sort_algorithmE0EEENS0_14default_configENS1_37merge_sort_block_sort_config_selectorIdNS0_10empty_typeEEENS1_38merge_sort_block_merge_config_selectorIdSE_EEEEvv,"axG",@progbits,_ZN7rocprim17ROCPRIM_400000_NS6detail44device_merge_sort_compile_time_verifier_archINS1_11comp_targetILNS1_3genE2ELNS1_11target_archE906ELNS1_3gpuE6ELNS1_3repE0EEES8_NS1_28merge_sort_block_sort_configILj256ELj4ELNS0_20block_sort_algorithmE0EEENS0_14default_configENS1_37merge_sort_block_sort_config_selectorIdNS0_10empty_typeEEENS1_38merge_sort_block_merge_config_selectorIdSE_EEEEvv,comdat
.Lfunc_end1455:
	.size	_ZN7rocprim17ROCPRIM_400000_NS6detail44device_merge_sort_compile_time_verifier_archINS1_11comp_targetILNS1_3genE2ELNS1_11target_archE906ELNS1_3gpuE6ELNS1_3repE0EEES8_NS1_28merge_sort_block_sort_configILj256ELj4ELNS0_20block_sort_algorithmE0EEENS0_14default_configENS1_37merge_sort_block_sort_config_selectorIdNS0_10empty_typeEEENS1_38merge_sort_block_merge_config_selectorIdSE_EEEEvv, .Lfunc_end1455-_ZN7rocprim17ROCPRIM_400000_NS6detail44device_merge_sort_compile_time_verifier_archINS1_11comp_targetILNS1_3genE2ELNS1_11target_archE906ELNS1_3gpuE6ELNS1_3repE0EEES8_NS1_28merge_sort_block_sort_configILj256ELj4ELNS0_20block_sort_algorithmE0EEENS0_14default_configENS1_37merge_sort_block_sort_config_selectorIdNS0_10empty_typeEEENS1_38merge_sort_block_merge_config_selectorIdSE_EEEEvv
                                        ; -- End function
	.set _ZN7rocprim17ROCPRIM_400000_NS6detail44device_merge_sort_compile_time_verifier_archINS1_11comp_targetILNS1_3genE2ELNS1_11target_archE906ELNS1_3gpuE6ELNS1_3repE0EEES8_NS1_28merge_sort_block_sort_configILj256ELj4ELNS0_20block_sort_algorithmE0EEENS0_14default_configENS1_37merge_sort_block_sort_config_selectorIdNS0_10empty_typeEEENS1_38merge_sort_block_merge_config_selectorIdSE_EEEEvv.num_vgpr, 0
	.set _ZN7rocprim17ROCPRIM_400000_NS6detail44device_merge_sort_compile_time_verifier_archINS1_11comp_targetILNS1_3genE2ELNS1_11target_archE906ELNS1_3gpuE6ELNS1_3repE0EEES8_NS1_28merge_sort_block_sort_configILj256ELj4ELNS0_20block_sort_algorithmE0EEENS0_14default_configENS1_37merge_sort_block_sort_config_selectorIdNS0_10empty_typeEEENS1_38merge_sort_block_merge_config_selectorIdSE_EEEEvv.num_agpr, 0
	.set _ZN7rocprim17ROCPRIM_400000_NS6detail44device_merge_sort_compile_time_verifier_archINS1_11comp_targetILNS1_3genE2ELNS1_11target_archE906ELNS1_3gpuE6ELNS1_3repE0EEES8_NS1_28merge_sort_block_sort_configILj256ELj4ELNS0_20block_sort_algorithmE0EEENS0_14default_configENS1_37merge_sort_block_sort_config_selectorIdNS0_10empty_typeEEENS1_38merge_sort_block_merge_config_selectorIdSE_EEEEvv.numbered_sgpr, 0
	.set _ZN7rocprim17ROCPRIM_400000_NS6detail44device_merge_sort_compile_time_verifier_archINS1_11comp_targetILNS1_3genE2ELNS1_11target_archE906ELNS1_3gpuE6ELNS1_3repE0EEES8_NS1_28merge_sort_block_sort_configILj256ELj4ELNS0_20block_sort_algorithmE0EEENS0_14default_configENS1_37merge_sort_block_sort_config_selectorIdNS0_10empty_typeEEENS1_38merge_sort_block_merge_config_selectorIdSE_EEEEvv.num_named_barrier, 0
	.set _ZN7rocprim17ROCPRIM_400000_NS6detail44device_merge_sort_compile_time_verifier_archINS1_11comp_targetILNS1_3genE2ELNS1_11target_archE906ELNS1_3gpuE6ELNS1_3repE0EEES8_NS1_28merge_sort_block_sort_configILj256ELj4ELNS0_20block_sort_algorithmE0EEENS0_14default_configENS1_37merge_sort_block_sort_config_selectorIdNS0_10empty_typeEEENS1_38merge_sort_block_merge_config_selectorIdSE_EEEEvv.private_seg_size, 0
	.set _ZN7rocprim17ROCPRIM_400000_NS6detail44device_merge_sort_compile_time_verifier_archINS1_11comp_targetILNS1_3genE2ELNS1_11target_archE906ELNS1_3gpuE6ELNS1_3repE0EEES8_NS1_28merge_sort_block_sort_configILj256ELj4ELNS0_20block_sort_algorithmE0EEENS0_14default_configENS1_37merge_sort_block_sort_config_selectorIdNS0_10empty_typeEEENS1_38merge_sort_block_merge_config_selectorIdSE_EEEEvv.uses_vcc, 0
	.set _ZN7rocprim17ROCPRIM_400000_NS6detail44device_merge_sort_compile_time_verifier_archINS1_11comp_targetILNS1_3genE2ELNS1_11target_archE906ELNS1_3gpuE6ELNS1_3repE0EEES8_NS1_28merge_sort_block_sort_configILj256ELj4ELNS0_20block_sort_algorithmE0EEENS0_14default_configENS1_37merge_sort_block_sort_config_selectorIdNS0_10empty_typeEEENS1_38merge_sort_block_merge_config_selectorIdSE_EEEEvv.uses_flat_scratch, 0
	.set _ZN7rocprim17ROCPRIM_400000_NS6detail44device_merge_sort_compile_time_verifier_archINS1_11comp_targetILNS1_3genE2ELNS1_11target_archE906ELNS1_3gpuE6ELNS1_3repE0EEES8_NS1_28merge_sort_block_sort_configILj256ELj4ELNS0_20block_sort_algorithmE0EEENS0_14default_configENS1_37merge_sort_block_sort_config_selectorIdNS0_10empty_typeEEENS1_38merge_sort_block_merge_config_selectorIdSE_EEEEvv.has_dyn_sized_stack, 0
	.set _ZN7rocprim17ROCPRIM_400000_NS6detail44device_merge_sort_compile_time_verifier_archINS1_11comp_targetILNS1_3genE2ELNS1_11target_archE906ELNS1_3gpuE6ELNS1_3repE0EEES8_NS1_28merge_sort_block_sort_configILj256ELj4ELNS0_20block_sort_algorithmE0EEENS0_14default_configENS1_37merge_sort_block_sort_config_selectorIdNS0_10empty_typeEEENS1_38merge_sort_block_merge_config_selectorIdSE_EEEEvv.has_recursion, 0
	.set _ZN7rocprim17ROCPRIM_400000_NS6detail44device_merge_sort_compile_time_verifier_archINS1_11comp_targetILNS1_3genE2ELNS1_11target_archE906ELNS1_3gpuE6ELNS1_3repE0EEES8_NS1_28merge_sort_block_sort_configILj256ELj4ELNS0_20block_sort_algorithmE0EEENS0_14default_configENS1_37merge_sort_block_sort_config_selectorIdNS0_10empty_typeEEENS1_38merge_sort_block_merge_config_selectorIdSE_EEEEvv.has_indirect_call, 0
	.section	.AMDGPU.csdata,"",@progbits
; Kernel info:
; codeLenInByte = 4
; TotalNumSgprs: 0
; NumVgprs: 0
; ScratchSize: 0
; MemoryBound: 0
; FloatMode: 240
; IeeeMode: 1
; LDSByteSize: 0 bytes/workgroup (compile time only)
; SGPRBlocks: 0
; VGPRBlocks: 0
; NumSGPRsForWavesPerEU: 1
; NumVGPRsForWavesPerEU: 1
; NamedBarCnt: 0
; Occupancy: 16
; WaveLimiterHint : 0
; COMPUTE_PGM_RSRC2:SCRATCH_EN: 0
; COMPUTE_PGM_RSRC2:USER_SGPR: 0
; COMPUTE_PGM_RSRC2:TRAP_HANDLER: 0
; COMPUTE_PGM_RSRC2:TGID_X_EN: 1
; COMPUTE_PGM_RSRC2:TGID_Y_EN: 0
; COMPUTE_PGM_RSRC2:TGID_Z_EN: 0
; COMPUTE_PGM_RSRC2:TIDIG_COMP_CNT: 0
	.section	.text._ZN7rocprim17ROCPRIM_400000_NS6detail44device_merge_sort_compile_time_verifier_archINS1_11comp_targetILNS1_3genE10ELNS1_11target_archE1201ELNS1_3gpuE5ELNS1_3repE0EEES8_NS1_28merge_sort_block_sort_configILj256ELj4ELNS0_20block_sort_algorithmE0EEENS0_14default_configENS1_37merge_sort_block_sort_config_selectorIdNS0_10empty_typeEEENS1_38merge_sort_block_merge_config_selectorIdSE_EEEEvv,"axG",@progbits,_ZN7rocprim17ROCPRIM_400000_NS6detail44device_merge_sort_compile_time_verifier_archINS1_11comp_targetILNS1_3genE10ELNS1_11target_archE1201ELNS1_3gpuE5ELNS1_3repE0EEES8_NS1_28merge_sort_block_sort_configILj256ELj4ELNS0_20block_sort_algorithmE0EEENS0_14default_configENS1_37merge_sort_block_sort_config_selectorIdNS0_10empty_typeEEENS1_38merge_sort_block_merge_config_selectorIdSE_EEEEvv,comdat
	.protected	_ZN7rocprim17ROCPRIM_400000_NS6detail44device_merge_sort_compile_time_verifier_archINS1_11comp_targetILNS1_3genE10ELNS1_11target_archE1201ELNS1_3gpuE5ELNS1_3repE0EEES8_NS1_28merge_sort_block_sort_configILj256ELj4ELNS0_20block_sort_algorithmE0EEENS0_14default_configENS1_37merge_sort_block_sort_config_selectorIdNS0_10empty_typeEEENS1_38merge_sort_block_merge_config_selectorIdSE_EEEEvv ; -- Begin function _ZN7rocprim17ROCPRIM_400000_NS6detail44device_merge_sort_compile_time_verifier_archINS1_11comp_targetILNS1_3genE10ELNS1_11target_archE1201ELNS1_3gpuE5ELNS1_3repE0EEES8_NS1_28merge_sort_block_sort_configILj256ELj4ELNS0_20block_sort_algorithmE0EEENS0_14default_configENS1_37merge_sort_block_sort_config_selectorIdNS0_10empty_typeEEENS1_38merge_sort_block_merge_config_selectorIdSE_EEEEvv
	.globl	_ZN7rocprim17ROCPRIM_400000_NS6detail44device_merge_sort_compile_time_verifier_archINS1_11comp_targetILNS1_3genE10ELNS1_11target_archE1201ELNS1_3gpuE5ELNS1_3repE0EEES8_NS1_28merge_sort_block_sort_configILj256ELj4ELNS0_20block_sort_algorithmE0EEENS0_14default_configENS1_37merge_sort_block_sort_config_selectorIdNS0_10empty_typeEEENS1_38merge_sort_block_merge_config_selectorIdSE_EEEEvv
	.p2align	8
	.type	_ZN7rocprim17ROCPRIM_400000_NS6detail44device_merge_sort_compile_time_verifier_archINS1_11comp_targetILNS1_3genE10ELNS1_11target_archE1201ELNS1_3gpuE5ELNS1_3repE0EEES8_NS1_28merge_sort_block_sort_configILj256ELj4ELNS0_20block_sort_algorithmE0EEENS0_14default_configENS1_37merge_sort_block_sort_config_selectorIdNS0_10empty_typeEEENS1_38merge_sort_block_merge_config_selectorIdSE_EEEEvv,@function
_ZN7rocprim17ROCPRIM_400000_NS6detail44device_merge_sort_compile_time_verifier_archINS1_11comp_targetILNS1_3genE10ELNS1_11target_archE1201ELNS1_3gpuE5ELNS1_3repE0EEES8_NS1_28merge_sort_block_sort_configILj256ELj4ELNS0_20block_sort_algorithmE0EEENS0_14default_configENS1_37merge_sort_block_sort_config_selectorIdNS0_10empty_typeEEENS1_38merge_sort_block_merge_config_selectorIdSE_EEEEvv: ; @_ZN7rocprim17ROCPRIM_400000_NS6detail44device_merge_sort_compile_time_verifier_archINS1_11comp_targetILNS1_3genE10ELNS1_11target_archE1201ELNS1_3gpuE5ELNS1_3repE0EEES8_NS1_28merge_sort_block_sort_configILj256ELj4ELNS0_20block_sort_algorithmE0EEENS0_14default_configENS1_37merge_sort_block_sort_config_selectorIdNS0_10empty_typeEEENS1_38merge_sort_block_merge_config_selectorIdSE_EEEEvv
; %bb.0:
	s_endpgm
	.section	.rodata,"a",@progbits
	.p2align	6, 0x0
	.amdhsa_kernel _ZN7rocprim17ROCPRIM_400000_NS6detail44device_merge_sort_compile_time_verifier_archINS1_11comp_targetILNS1_3genE10ELNS1_11target_archE1201ELNS1_3gpuE5ELNS1_3repE0EEES8_NS1_28merge_sort_block_sort_configILj256ELj4ELNS0_20block_sort_algorithmE0EEENS0_14default_configENS1_37merge_sort_block_sort_config_selectorIdNS0_10empty_typeEEENS1_38merge_sort_block_merge_config_selectorIdSE_EEEEvv
		.amdhsa_group_segment_fixed_size 0
		.amdhsa_private_segment_fixed_size 0
		.amdhsa_kernarg_size 0
		.amdhsa_user_sgpr_count 0
		.amdhsa_user_sgpr_dispatch_ptr 0
		.amdhsa_user_sgpr_queue_ptr 0
		.amdhsa_user_sgpr_kernarg_segment_ptr 0
		.amdhsa_user_sgpr_dispatch_id 0
		.amdhsa_user_sgpr_kernarg_preload_length 0
		.amdhsa_user_sgpr_kernarg_preload_offset 0
		.amdhsa_user_sgpr_private_segment_size 0
		.amdhsa_wavefront_size32 1
		.amdhsa_uses_dynamic_stack 0
		.amdhsa_enable_private_segment 0
		.amdhsa_system_sgpr_workgroup_id_x 1
		.amdhsa_system_sgpr_workgroup_id_y 0
		.amdhsa_system_sgpr_workgroup_id_z 0
		.amdhsa_system_sgpr_workgroup_info 0
		.amdhsa_system_vgpr_workitem_id 0
		.amdhsa_next_free_vgpr 1
		.amdhsa_next_free_sgpr 1
		.amdhsa_named_barrier_count 0
		.amdhsa_reserve_vcc 0
		.amdhsa_float_round_mode_32 0
		.amdhsa_float_round_mode_16_64 0
		.amdhsa_float_denorm_mode_32 3
		.amdhsa_float_denorm_mode_16_64 3
		.amdhsa_fp16_overflow 0
		.amdhsa_memory_ordered 1
		.amdhsa_forward_progress 1
		.amdhsa_inst_pref_size 1
		.amdhsa_round_robin_scheduling 0
		.amdhsa_exception_fp_ieee_invalid_op 0
		.amdhsa_exception_fp_denorm_src 0
		.amdhsa_exception_fp_ieee_div_zero 0
		.amdhsa_exception_fp_ieee_overflow 0
		.amdhsa_exception_fp_ieee_underflow 0
		.amdhsa_exception_fp_ieee_inexact 0
		.amdhsa_exception_int_div_zero 0
	.end_amdhsa_kernel
	.section	.text._ZN7rocprim17ROCPRIM_400000_NS6detail44device_merge_sort_compile_time_verifier_archINS1_11comp_targetILNS1_3genE10ELNS1_11target_archE1201ELNS1_3gpuE5ELNS1_3repE0EEES8_NS1_28merge_sort_block_sort_configILj256ELj4ELNS0_20block_sort_algorithmE0EEENS0_14default_configENS1_37merge_sort_block_sort_config_selectorIdNS0_10empty_typeEEENS1_38merge_sort_block_merge_config_selectorIdSE_EEEEvv,"axG",@progbits,_ZN7rocprim17ROCPRIM_400000_NS6detail44device_merge_sort_compile_time_verifier_archINS1_11comp_targetILNS1_3genE10ELNS1_11target_archE1201ELNS1_3gpuE5ELNS1_3repE0EEES8_NS1_28merge_sort_block_sort_configILj256ELj4ELNS0_20block_sort_algorithmE0EEENS0_14default_configENS1_37merge_sort_block_sort_config_selectorIdNS0_10empty_typeEEENS1_38merge_sort_block_merge_config_selectorIdSE_EEEEvv,comdat
.Lfunc_end1456:
	.size	_ZN7rocprim17ROCPRIM_400000_NS6detail44device_merge_sort_compile_time_verifier_archINS1_11comp_targetILNS1_3genE10ELNS1_11target_archE1201ELNS1_3gpuE5ELNS1_3repE0EEES8_NS1_28merge_sort_block_sort_configILj256ELj4ELNS0_20block_sort_algorithmE0EEENS0_14default_configENS1_37merge_sort_block_sort_config_selectorIdNS0_10empty_typeEEENS1_38merge_sort_block_merge_config_selectorIdSE_EEEEvv, .Lfunc_end1456-_ZN7rocprim17ROCPRIM_400000_NS6detail44device_merge_sort_compile_time_verifier_archINS1_11comp_targetILNS1_3genE10ELNS1_11target_archE1201ELNS1_3gpuE5ELNS1_3repE0EEES8_NS1_28merge_sort_block_sort_configILj256ELj4ELNS0_20block_sort_algorithmE0EEENS0_14default_configENS1_37merge_sort_block_sort_config_selectorIdNS0_10empty_typeEEENS1_38merge_sort_block_merge_config_selectorIdSE_EEEEvv
                                        ; -- End function
	.set _ZN7rocprim17ROCPRIM_400000_NS6detail44device_merge_sort_compile_time_verifier_archINS1_11comp_targetILNS1_3genE10ELNS1_11target_archE1201ELNS1_3gpuE5ELNS1_3repE0EEES8_NS1_28merge_sort_block_sort_configILj256ELj4ELNS0_20block_sort_algorithmE0EEENS0_14default_configENS1_37merge_sort_block_sort_config_selectorIdNS0_10empty_typeEEENS1_38merge_sort_block_merge_config_selectorIdSE_EEEEvv.num_vgpr, 0
	.set _ZN7rocprim17ROCPRIM_400000_NS6detail44device_merge_sort_compile_time_verifier_archINS1_11comp_targetILNS1_3genE10ELNS1_11target_archE1201ELNS1_3gpuE5ELNS1_3repE0EEES8_NS1_28merge_sort_block_sort_configILj256ELj4ELNS0_20block_sort_algorithmE0EEENS0_14default_configENS1_37merge_sort_block_sort_config_selectorIdNS0_10empty_typeEEENS1_38merge_sort_block_merge_config_selectorIdSE_EEEEvv.num_agpr, 0
	.set _ZN7rocprim17ROCPRIM_400000_NS6detail44device_merge_sort_compile_time_verifier_archINS1_11comp_targetILNS1_3genE10ELNS1_11target_archE1201ELNS1_3gpuE5ELNS1_3repE0EEES8_NS1_28merge_sort_block_sort_configILj256ELj4ELNS0_20block_sort_algorithmE0EEENS0_14default_configENS1_37merge_sort_block_sort_config_selectorIdNS0_10empty_typeEEENS1_38merge_sort_block_merge_config_selectorIdSE_EEEEvv.numbered_sgpr, 0
	.set _ZN7rocprim17ROCPRIM_400000_NS6detail44device_merge_sort_compile_time_verifier_archINS1_11comp_targetILNS1_3genE10ELNS1_11target_archE1201ELNS1_3gpuE5ELNS1_3repE0EEES8_NS1_28merge_sort_block_sort_configILj256ELj4ELNS0_20block_sort_algorithmE0EEENS0_14default_configENS1_37merge_sort_block_sort_config_selectorIdNS0_10empty_typeEEENS1_38merge_sort_block_merge_config_selectorIdSE_EEEEvv.num_named_barrier, 0
	.set _ZN7rocprim17ROCPRIM_400000_NS6detail44device_merge_sort_compile_time_verifier_archINS1_11comp_targetILNS1_3genE10ELNS1_11target_archE1201ELNS1_3gpuE5ELNS1_3repE0EEES8_NS1_28merge_sort_block_sort_configILj256ELj4ELNS0_20block_sort_algorithmE0EEENS0_14default_configENS1_37merge_sort_block_sort_config_selectorIdNS0_10empty_typeEEENS1_38merge_sort_block_merge_config_selectorIdSE_EEEEvv.private_seg_size, 0
	.set _ZN7rocprim17ROCPRIM_400000_NS6detail44device_merge_sort_compile_time_verifier_archINS1_11comp_targetILNS1_3genE10ELNS1_11target_archE1201ELNS1_3gpuE5ELNS1_3repE0EEES8_NS1_28merge_sort_block_sort_configILj256ELj4ELNS0_20block_sort_algorithmE0EEENS0_14default_configENS1_37merge_sort_block_sort_config_selectorIdNS0_10empty_typeEEENS1_38merge_sort_block_merge_config_selectorIdSE_EEEEvv.uses_vcc, 0
	.set _ZN7rocprim17ROCPRIM_400000_NS6detail44device_merge_sort_compile_time_verifier_archINS1_11comp_targetILNS1_3genE10ELNS1_11target_archE1201ELNS1_3gpuE5ELNS1_3repE0EEES8_NS1_28merge_sort_block_sort_configILj256ELj4ELNS0_20block_sort_algorithmE0EEENS0_14default_configENS1_37merge_sort_block_sort_config_selectorIdNS0_10empty_typeEEENS1_38merge_sort_block_merge_config_selectorIdSE_EEEEvv.uses_flat_scratch, 0
	.set _ZN7rocprim17ROCPRIM_400000_NS6detail44device_merge_sort_compile_time_verifier_archINS1_11comp_targetILNS1_3genE10ELNS1_11target_archE1201ELNS1_3gpuE5ELNS1_3repE0EEES8_NS1_28merge_sort_block_sort_configILj256ELj4ELNS0_20block_sort_algorithmE0EEENS0_14default_configENS1_37merge_sort_block_sort_config_selectorIdNS0_10empty_typeEEENS1_38merge_sort_block_merge_config_selectorIdSE_EEEEvv.has_dyn_sized_stack, 0
	.set _ZN7rocprim17ROCPRIM_400000_NS6detail44device_merge_sort_compile_time_verifier_archINS1_11comp_targetILNS1_3genE10ELNS1_11target_archE1201ELNS1_3gpuE5ELNS1_3repE0EEES8_NS1_28merge_sort_block_sort_configILj256ELj4ELNS0_20block_sort_algorithmE0EEENS0_14default_configENS1_37merge_sort_block_sort_config_selectorIdNS0_10empty_typeEEENS1_38merge_sort_block_merge_config_selectorIdSE_EEEEvv.has_recursion, 0
	.set _ZN7rocprim17ROCPRIM_400000_NS6detail44device_merge_sort_compile_time_verifier_archINS1_11comp_targetILNS1_3genE10ELNS1_11target_archE1201ELNS1_3gpuE5ELNS1_3repE0EEES8_NS1_28merge_sort_block_sort_configILj256ELj4ELNS0_20block_sort_algorithmE0EEENS0_14default_configENS1_37merge_sort_block_sort_config_selectorIdNS0_10empty_typeEEENS1_38merge_sort_block_merge_config_selectorIdSE_EEEEvv.has_indirect_call, 0
	.section	.AMDGPU.csdata,"",@progbits
; Kernel info:
; codeLenInByte = 4
; TotalNumSgprs: 0
; NumVgprs: 0
; ScratchSize: 0
; MemoryBound: 0
; FloatMode: 240
; IeeeMode: 1
; LDSByteSize: 0 bytes/workgroup (compile time only)
; SGPRBlocks: 0
; VGPRBlocks: 0
; NumSGPRsForWavesPerEU: 1
; NumVGPRsForWavesPerEU: 1
; NamedBarCnt: 0
; Occupancy: 16
; WaveLimiterHint : 0
; COMPUTE_PGM_RSRC2:SCRATCH_EN: 0
; COMPUTE_PGM_RSRC2:USER_SGPR: 0
; COMPUTE_PGM_RSRC2:TRAP_HANDLER: 0
; COMPUTE_PGM_RSRC2:TGID_X_EN: 1
; COMPUTE_PGM_RSRC2:TGID_Y_EN: 0
; COMPUTE_PGM_RSRC2:TGID_Z_EN: 0
; COMPUTE_PGM_RSRC2:TIDIG_COMP_CNT: 0
	.section	.text._ZN7rocprim17ROCPRIM_400000_NS6detail44device_merge_sort_compile_time_verifier_archINS1_11comp_targetILNS1_3genE10ELNS1_11target_archE1200ELNS1_3gpuE4ELNS1_3repE0EEENS3_ILS4_10ELS5_1201ELS6_5ELS7_0EEENS1_28merge_sort_block_sort_configILj256ELj4ELNS0_20block_sort_algorithmE0EEENS0_14default_configENS1_37merge_sort_block_sort_config_selectorIdNS0_10empty_typeEEENS1_38merge_sort_block_merge_config_selectorIdSF_EEEEvv,"axG",@progbits,_ZN7rocprim17ROCPRIM_400000_NS6detail44device_merge_sort_compile_time_verifier_archINS1_11comp_targetILNS1_3genE10ELNS1_11target_archE1200ELNS1_3gpuE4ELNS1_3repE0EEENS3_ILS4_10ELS5_1201ELS6_5ELS7_0EEENS1_28merge_sort_block_sort_configILj256ELj4ELNS0_20block_sort_algorithmE0EEENS0_14default_configENS1_37merge_sort_block_sort_config_selectorIdNS0_10empty_typeEEENS1_38merge_sort_block_merge_config_selectorIdSF_EEEEvv,comdat
	.protected	_ZN7rocprim17ROCPRIM_400000_NS6detail44device_merge_sort_compile_time_verifier_archINS1_11comp_targetILNS1_3genE10ELNS1_11target_archE1200ELNS1_3gpuE4ELNS1_3repE0EEENS3_ILS4_10ELS5_1201ELS6_5ELS7_0EEENS1_28merge_sort_block_sort_configILj256ELj4ELNS0_20block_sort_algorithmE0EEENS0_14default_configENS1_37merge_sort_block_sort_config_selectorIdNS0_10empty_typeEEENS1_38merge_sort_block_merge_config_selectorIdSF_EEEEvv ; -- Begin function _ZN7rocprim17ROCPRIM_400000_NS6detail44device_merge_sort_compile_time_verifier_archINS1_11comp_targetILNS1_3genE10ELNS1_11target_archE1200ELNS1_3gpuE4ELNS1_3repE0EEENS3_ILS4_10ELS5_1201ELS6_5ELS7_0EEENS1_28merge_sort_block_sort_configILj256ELj4ELNS0_20block_sort_algorithmE0EEENS0_14default_configENS1_37merge_sort_block_sort_config_selectorIdNS0_10empty_typeEEENS1_38merge_sort_block_merge_config_selectorIdSF_EEEEvv
	.globl	_ZN7rocprim17ROCPRIM_400000_NS6detail44device_merge_sort_compile_time_verifier_archINS1_11comp_targetILNS1_3genE10ELNS1_11target_archE1200ELNS1_3gpuE4ELNS1_3repE0EEENS3_ILS4_10ELS5_1201ELS6_5ELS7_0EEENS1_28merge_sort_block_sort_configILj256ELj4ELNS0_20block_sort_algorithmE0EEENS0_14default_configENS1_37merge_sort_block_sort_config_selectorIdNS0_10empty_typeEEENS1_38merge_sort_block_merge_config_selectorIdSF_EEEEvv
	.p2align	8
	.type	_ZN7rocprim17ROCPRIM_400000_NS6detail44device_merge_sort_compile_time_verifier_archINS1_11comp_targetILNS1_3genE10ELNS1_11target_archE1200ELNS1_3gpuE4ELNS1_3repE0EEENS3_ILS4_10ELS5_1201ELS6_5ELS7_0EEENS1_28merge_sort_block_sort_configILj256ELj4ELNS0_20block_sort_algorithmE0EEENS0_14default_configENS1_37merge_sort_block_sort_config_selectorIdNS0_10empty_typeEEENS1_38merge_sort_block_merge_config_selectorIdSF_EEEEvv,@function
_ZN7rocprim17ROCPRIM_400000_NS6detail44device_merge_sort_compile_time_verifier_archINS1_11comp_targetILNS1_3genE10ELNS1_11target_archE1200ELNS1_3gpuE4ELNS1_3repE0EEENS3_ILS4_10ELS5_1201ELS6_5ELS7_0EEENS1_28merge_sort_block_sort_configILj256ELj4ELNS0_20block_sort_algorithmE0EEENS0_14default_configENS1_37merge_sort_block_sort_config_selectorIdNS0_10empty_typeEEENS1_38merge_sort_block_merge_config_selectorIdSF_EEEEvv: ; @_ZN7rocprim17ROCPRIM_400000_NS6detail44device_merge_sort_compile_time_verifier_archINS1_11comp_targetILNS1_3genE10ELNS1_11target_archE1200ELNS1_3gpuE4ELNS1_3repE0EEENS3_ILS4_10ELS5_1201ELS6_5ELS7_0EEENS1_28merge_sort_block_sort_configILj256ELj4ELNS0_20block_sort_algorithmE0EEENS0_14default_configENS1_37merge_sort_block_sort_config_selectorIdNS0_10empty_typeEEENS1_38merge_sort_block_merge_config_selectorIdSF_EEEEvv
; %bb.0:
	s_endpgm
	.section	.rodata,"a",@progbits
	.p2align	6, 0x0
	.amdhsa_kernel _ZN7rocprim17ROCPRIM_400000_NS6detail44device_merge_sort_compile_time_verifier_archINS1_11comp_targetILNS1_3genE10ELNS1_11target_archE1200ELNS1_3gpuE4ELNS1_3repE0EEENS3_ILS4_10ELS5_1201ELS6_5ELS7_0EEENS1_28merge_sort_block_sort_configILj256ELj4ELNS0_20block_sort_algorithmE0EEENS0_14default_configENS1_37merge_sort_block_sort_config_selectorIdNS0_10empty_typeEEENS1_38merge_sort_block_merge_config_selectorIdSF_EEEEvv
		.amdhsa_group_segment_fixed_size 0
		.amdhsa_private_segment_fixed_size 0
		.amdhsa_kernarg_size 0
		.amdhsa_user_sgpr_count 0
		.amdhsa_user_sgpr_dispatch_ptr 0
		.amdhsa_user_sgpr_queue_ptr 0
		.amdhsa_user_sgpr_kernarg_segment_ptr 0
		.amdhsa_user_sgpr_dispatch_id 0
		.amdhsa_user_sgpr_kernarg_preload_length 0
		.amdhsa_user_sgpr_kernarg_preload_offset 0
		.amdhsa_user_sgpr_private_segment_size 0
		.amdhsa_wavefront_size32 1
		.amdhsa_uses_dynamic_stack 0
		.amdhsa_enable_private_segment 0
		.amdhsa_system_sgpr_workgroup_id_x 1
		.amdhsa_system_sgpr_workgroup_id_y 0
		.amdhsa_system_sgpr_workgroup_id_z 0
		.amdhsa_system_sgpr_workgroup_info 0
		.amdhsa_system_vgpr_workitem_id 0
		.amdhsa_next_free_vgpr 1
		.amdhsa_next_free_sgpr 1
		.amdhsa_named_barrier_count 0
		.amdhsa_reserve_vcc 0
		.amdhsa_float_round_mode_32 0
		.amdhsa_float_round_mode_16_64 0
		.amdhsa_float_denorm_mode_32 3
		.amdhsa_float_denorm_mode_16_64 3
		.amdhsa_fp16_overflow 0
		.amdhsa_memory_ordered 1
		.amdhsa_forward_progress 1
		.amdhsa_inst_pref_size 1
		.amdhsa_round_robin_scheduling 0
		.amdhsa_exception_fp_ieee_invalid_op 0
		.amdhsa_exception_fp_denorm_src 0
		.amdhsa_exception_fp_ieee_div_zero 0
		.amdhsa_exception_fp_ieee_overflow 0
		.amdhsa_exception_fp_ieee_underflow 0
		.amdhsa_exception_fp_ieee_inexact 0
		.amdhsa_exception_int_div_zero 0
	.end_amdhsa_kernel
	.section	.text._ZN7rocprim17ROCPRIM_400000_NS6detail44device_merge_sort_compile_time_verifier_archINS1_11comp_targetILNS1_3genE10ELNS1_11target_archE1200ELNS1_3gpuE4ELNS1_3repE0EEENS3_ILS4_10ELS5_1201ELS6_5ELS7_0EEENS1_28merge_sort_block_sort_configILj256ELj4ELNS0_20block_sort_algorithmE0EEENS0_14default_configENS1_37merge_sort_block_sort_config_selectorIdNS0_10empty_typeEEENS1_38merge_sort_block_merge_config_selectorIdSF_EEEEvv,"axG",@progbits,_ZN7rocprim17ROCPRIM_400000_NS6detail44device_merge_sort_compile_time_verifier_archINS1_11comp_targetILNS1_3genE10ELNS1_11target_archE1200ELNS1_3gpuE4ELNS1_3repE0EEENS3_ILS4_10ELS5_1201ELS6_5ELS7_0EEENS1_28merge_sort_block_sort_configILj256ELj4ELNS0_20block_sort_algorithmE0EEENS0_14default_configENS1_37merge_sort_block_sort_config_selectorIdNS0_10empty_typeEEENS1_38merge_sort_block_merge_config_selectorIdSF_EEEEvv,comdat
.Lfunc_end1457:
	.size	_ZN7rocprim17ROCPRIM_400000_NS6detail44device_merge_sort_compile_time_verifier_archINS1_11comp_targetILNS1_3genE10ELNS1_11target_archE1200ELNS1_3gpuE4ELNS1_3repE0EEENS3_ILS4_10ELS5_1201ELS6_5ELS7_0EEENS1_28merge_sort_block_sort_configILj256ELj4ELNS0_20block_sort_algorithmE0EEENS0_14default_configENS1_37merge_sort_block_sort_config_selectorIdNS0_10empty_typeEEENS1_38merge_sort_block_merge_config_selectorIdSF_EEEEvv, .Lfunc_end1457-_ZN7rocprim17ROCPRIM_400000_NS6detail44device_merge_sort_compile_time_verifier_archINS1_11comp_targetILNS1_3genE10ELNS1_11target_archE1200ELNS1_3gpuE4ELNS1_3repE0EEENS3_ILS4_10ELS5_1201ELS6_5ELS7_0EEENS1_28merge_sort_block_sort_configILj256ELj4ELNS0_20block_sort_algorithmE0EEENS0_14default_configENS1_37merge_sort_block_sort_config_selectorIdNS0_10empty_typeEEENS1_38merge_sort_block_merge_config_selectorIdSF_EEEEvv
                                        ; -- End function
	.set _ZN7rocprim17ROCPRIM_400000_NS6detail44device_merge_sort_compile_time_verifier_archINS1_11comp_targetILNS1_3genE10ELNS1_11target_archE1200ELNS1_3gpuE4ELNS1_3repE0EEENS3_ILS4_10ELS5_1201ELS6_5ELS7_0EEENS1_28merge_sort_block_sort_configILj256ELj4ELNS0_20block_sort_algorithmE0EEENS0_14default_configENS1_37merge_sort_block_sort_config_selectorIdNS0_10empty_typeEEENS1_38merge_sort_block_merge_config_selectorIdSF_EEEEvv.num_vgpr, 0
	.set _ZN7rocprim17ROCPRIM_400000_NS6detail44device_merge_sort_compile_time_verifier_archINS1_11comp_targetILNS1_3genE10ELNS1_11target_archE1200ELNS1_3gpuE4ELNS1_3repE0EEENS3_ILS4_10ELS5_1201ELS6_5ELS7_0EEENS1_28merge_sort_block_sort_configILj256ELj4ELNS0_20block_sort_algorithmE0EEENS0_14default_configENS1_37merge_sort_block_sort_config_selectorIdNS0_10empty_typeEEENS1_38merge_sort_block_merge_config_selectorIdSF_EEEEvv.num_agpr, 0
	.set _ZN7rocprim17ROCPRIM_400000_NS6detail44device_merge_sort_compile_time_verifier_archINS1_11comp_targetILNS1_3genE10ELNS1_11target_archE1200ELNS1_3gpuE4ELNS1_3repE0EEENS3_ILS4_10ELS5_1201ELS6_5ELS7_0EEENS1_28merge_sort_block_sort_configILj256ELj4ELNS0_20block_sort_algorithmE0EEENS0_14default_configENS1_37merge_sort_block_sort_config_selectorIdNS0_10empty_typeEEENS1_38merge_sort_block_merge_config_selectorIdSF_EEEEvv.numbered_sgpr, 0
	.set _ZN7rocprim17ROCPRIM_400000_NS6detail44device_merge_sort_compile_time_verifier_archINS1_11comp_targetILNS1_3genE10ELNS1_11target_archE1200ELNS1_3gpuE4ELNS1_3repE0EEENS3_ILS4_10ELS5_1201ELS6_5ELS7_0EEENS1_28merge_sort_block_sort_configILj256ELj4ELNS0_20block_sort_algorithmE0EEENS0_14default_configENS1_37merge_sort_block_sort_config_selectorIdNS0_10empty_typeEEENS1_38merge_sort_block_merge_config_selectorIdSF_EEEEvv.num_named_barrier, 0
	.set _ZN7rocprim17ROCPRIM_400000_NS6detail44device_merge_sort_compile_time_verifier_archINS1_11comp_targetILNS1_3genE10ELNS1_11target_archE1200ELNS1_3gpuE4ELNS1_3repE0EEENS3_ILS4_10ELS5_1201ELS6_5ELS7_0EEENS1_28merge_sort_block_sort_configILj256ELj4ELNS0_20block_sort_algorithmE0EEENS0_14default_configENS1_37merge_sort_block_sort_config_selectorIdNS0_10empty_typeEEENS1_38merge_sort_block_merge_config_selectorIdSF_EEEEvv.private_seg_size, 0
	.set _ZN7rocprim17ROCPRIM_400000_NS6detail44device_merge_sort_compile_time_verifier_archINS1_11comp_targetILNS1_3genE10ELNS1_11target_archE1200ELNS1_3gpuE4ELNS1_3repE0EEENS3_ILS4_10ELS5_1201ELS6_5ELS7_0EEENS1_28merge_sort_block_sort_configILj256ELj4ELNS0_20block_sort_algorithmE0EEENS0_14default_configENS1_37merge_sort_block_sort_config_selectorIdNS0_10empty_typeEEENS1_38merge_sort_block_merge_config_selectorIdSF_EEEEvv.uses_vcc, 0
	.set _ZN7rocprim17ROCPRIM_400000_NS6detail44device_merge_sort_compile_time_verifier_archINS1_11comp_targetILNS1_3genE10ELNS1_11target_archE1200ELNS1_3gpuE4ELNS1_3repE0EEENS3_ILS4_10ELS5_1201ELS6_5ELS7_0EEENS1_28merge_sort_block_sort_configILj256ELj4ELNS0_20block_sort_algorithmE0EEENS0_14default_configENS1_37merge_sort_block_sort_config_selectorIdNS0_10empty_typeEEENS1_38merge_sort_block_merge_config_selectorIdSF_EEEEvv.uses_flat_scratch, 0
	.set _ZN7rocprim17ROCPRIM_400000_NS6detail44device_merge_sort_compile_time_verifier_archINS1_11comp_targetILNS1_3genE10ELNS1_11target_archE1200ELNS1_3gpuE4ELNS1_3repE0EEENS3_ILS4_10ELS5_1201ELS6_5ELS7_0EEENS1_28merge_sort_block_sort_configILj256ELj4ELNS0_20block_sort_algorithmE0EEENS0_14default_configENS1_37merge_sort_block_sort_config_selectorIdNS0_10empty_typeEEENS1_38merge_sort_block_merge_config_selectorIdSF_EEEEvv.has_dyn_sized_stack, 0
	.set _ZN7rocprim17ROCPRIM_400000_NS6detail44device_merge_sort_compile_time_verifier_archINS1_11comp_targetILNS1_3genE10ELNS1_11target_archE1200ELNS1_3gpuE4ELNS1_3repE0EEENS3_ILS4_10ELS5_1201ELS6_5ELS7_0EEENS1_28merge_sort_block_sort_configILj256ELj4ELNS0_20block_sort_algorithmE0EEENS0_14default_configENS1_37merge_sort_block_sort_config_selectorIdNS0_10empty_typeEEENS1_38merge_sort_block_merge_config_selectorIdSF_EEEEvv.has_recursion, 0
	.set _ZN7rocprim17ROCPRIM_400000_NS6detail44device_merge_sort_compile_time_verifier_archINS1_11comp_targetILNS1_3genE10ELNS1_11target_archE1200ELNS1_3gpuE4ELNS1_3repE0EEENS3_ILS4_10ELS5_1201ELS6_5ELS7_0EEENS1_28merge_sort_block_sort_configILj256ELj4ELNS0_20block_sort_algorithmE0EEENS0_14default_configENS1_37merge_sort_block_sort_config_selectorIdNS0_10empty_typeEEENS1_38merge_sort_block_merge_config_selectorIdSF_EEEEvv.has_indirect_call, 0
	.section	.AMDGPU.csdata,"",@progbits
; Kernel info:
; codeLenInByte = 4
; TotalNumSgprs: 0
; NumVgprs: 0
; ScratchSize: 0
; MemoryBound: 0
; FloatMode: 240
; IeeeMode: 1
; LDSByteSize: 0 bytes/workgroup (compile time only)
; SGPRBlocks: 0
; VGPRBlocks: 0
; NumSGPRsForWavesPerEU: 1
; NumVGPRsForWavesPerEU: 1
; NamedBarCnt: 0
; Occupancy: 16
; WaveLimiterHint : 0
; COMPUTE_PGM_RSRC2:SCRATCH_EN: 0
; COMPUTE_PGM_RSRC2:USER_SGPR: 0
; COMPUTE_PGM_RSRC2:TRAP_HANDLER: 0
; COMPUTE_PGM_RSRC2:TGID_X_EN: 1
; COMPUTE_PGM_RSRC2:TGID_Y_EN: 0
; COMPUTE_PGM_RSRC2:TGID_Z_EN: 0
; COMPUTE_PGM_RSRC2:TIDIG_COMP_CNT: 0
	.section	.text._ZN7rocprim17ROCPRIM_400000_NS6detail44device_merge_sort_compile_time_verifier_archINS1_11comp_targetILNS1_3genE9ELNS1_11target_archE1100ELNS1_3gpuE3ELNS1_3repE0EEES8_NS1_28merge_sort_block_sort_configILj256ELj4ELNS0_20block_sort_algorithmE0EEENS0_14default_configENS1_37merge_sort_block_sort_config_selectorIdNS0_10empty_typeEEENS1_38merge_sort_block_merge_config_selectorIdSE_EEEEvv,"axG",@progbits,_ZN7rocprim17ROCPRIM_400000_NS6detail44device_merge_sort_compile_time_verifier_archINS1_11comp_targetILNS1_3genE9ELNS1_11target_archE1100ELNS1_3gpuE3ELNS1_3repE0EEES8_NS1_28merge_sort_block_sort_configILj256ELj4ELNS0_20block_sort_algorithmE0EEENS0_14default_configENS1_37merge_sort_block_sort_config_selectorIdNS0_10empty_typeEEENS1_38merge_sort_block_merge_config_selectorIdSE_EEEEvv,comdat
	.protected	_ZN7rocprim17ROCPRIM_400000_NS6detail44device_merge_sort_compile_time_verifier_archINS1_11comp_targetILNS1_3genE9ELNS1_11target_archE1100ELNS1_3gpuE3ELNS1_3repE0EEES8_NS1_28merge_sort_block_sort_configILj256ELj4ELNS0_20block_sort_algorithmE0EEENS0_14default_configENS1_37merge_sort_block_sort_config_selectorIdNS0_10empty_typeEEENS1_38merge_sort_block_merge_config_selectorIdSE_EEEEvv ; -- Begin function _ZN7rocprim17ROCPRIM_400000_NS6detail44device_merge_sort_compile_time_verifier_archINS1_11comp_targetILNS1_3genE9ELNS1_11target_archE1100ELNS1_3gpuE3ELNS1_3repE0EEES8_NS1_28merge_sort_block_sort_configILj256ELj4ELNS0_20block_sort_algorithmE0EEENS0_14default_configENS1_37merge_sort_block_sort_config_selectorIdNS0_10empty_typeEEENS1_38merge_sort_block_merge_config_selectorIdSE_EEEEvv
	.globl	_ZN7rocprim17ROCPRIM_400000_NS6detail44device_merge_sort_compile_time_verifier_archINS1_11comp_targetILNS1_3genE9ELNS1_11target_archE1100ELNS1_3gpuE3ELNS1_3repE0EEES8_NS1_28merge_sort_block_sort_configILj256ELj4ELNS0_20block_sort_algorithmE0EEENS0_14default_configENS1_37merge_sort_block_sort_config_selectorIdNS0_10empty_typeEEENS1_38merge_sort_block_merge_config_selectorIdSE_EEEEvv
	.p2align	8
	.type	_ZN7rocprim17ROCPRIM_400000_NS6detail44device_merge_sort_compile_time_verifier_archINS1_11comp_targetILNS1_3genE9ELNS1_11target_archE1100ELNS1_3gpuE3ELNS1_3repE0EEES8_NS1_28merge_sort_block_sort_configILj256ELj4ELNS0_20block_sort_algorithmE0EEENS0_14default_configENS1_37merge_sort_block_sort_config_selectorIdNS0_10empty_typeEEENS1_38merge_sort_block_merge_config_selectorIdSE_EEEEvv,@function
_ZN7rocprim17ROCPRIM_400000_NS6detail44device_merge_sort_compile_time_verifier_archINS1_11comp_targetILNS1_3genE9ELNS1_11target_archE1100ELNS1_3gpuE3ELNS1_3repE0EEES8_NS1_28merge_sort_block_sort_configILj256ELj4ELNS0_20block_sort_algorithmE0EEENS0_14default_configENS1_37merge_sort_block_sort_config_selectorIdNS0_10empty_typeEEENS1_38merge_sort_block_merge_config_selectorIdSE_EEEEvv: ; @_ZN7rocprim17ROCPRIM_400000_NS6detail44device_merge_sort_compile_time_verifier_archINS1_11comp_targetILNS1_3genE9ELNS1_11target_archE1100ELNS1_3gpuE3ELNS1_3repE0EEES8_NS1_28merge_sort_block_sort_configILj256ELj4ELNS0_20block_sort_algorithmE0EEENS0_14default_configENS1_37merge_sort_block_sort_config_selectorIdNS0_10empty_typeEEENS1_38merge_sort_block_merge_config_selectorIdSE_EEEEvv
; %bb.0:
	s_endpgm
	.section	.rodata,"a",@progbits
	.p2align	6, 0x0
	.amdhsa_kernel _ZN7rocprim17ROCPRIM_400000_NS6detail44device_merge_sort_compile_time_verifier_archINS1_11comp_targetILNS1_3genE9ELNS1_11target_archE1100ELNS1_3gpuE3ELNS1_3repE0EEES8_NS1_28merge_sort_block_sort_configILj256ELj4ELNS0_20block_sort_algorithmE0EEENS0_14default_configENS1_37merge_sort_block_sort_config_selectorIdNS0_10empty_typeEEENS1_38merge_sort_block_merge_config_selectorIdSE_EEEEvv
		.amdhsa_group_segment_fixed_size 0
		.amdhsa_private_segment_fixed_size 0
		.amdhsa_kernarg_size 0
		.amdhsa_user_sgpr_count 0
		.amdhsa_user_sgpr_dispatch_ptr 0
		.amdhsa_user_sgpr_queue_ptr 0
		.amdhsa_user_sgpr_kernarg_segment_ptr 0
		.amdhsa_user_sgpr_dispatch_id 0
		.amdhsa_user_sgpr_kernarg_preload_length 0
		.amdhsa_user_sgpr_kernarg_preload_offset 0
		.amdhsa_user_sgpr_private_segment_size 0
		.amdhsa_wavefront_size32 1
		.amdhsa_uses_dynamic_stack 0
		.amdhsa_enable_private_segment 0
		.amdhsa_system_sgpr_workgroup_id_x 1
		.amdhsa_system_sgpr_workgroup_id_y 0
		.amdhsa_system_sgpr_workgroup_id_z 0
		.amdhsa_system_sgpr_workgroup_info 0
		.amdhsa_system_vgpr_workitem_id 0
		.amdhsa_next_free_vgpr 1
		.amdhsa_next_free_sgpr 1
		.amdhsa_named_barrier_count 0
		.amdhsa_reserve_vcc 0
		.amdhsa_float_round_mode_32 0
		.amdhsa_float_round_mode_16_64 0
		.amdhsa_float_denorm_mode_32 3
		.amdhsa_float_denorm_mode_16_64 3
		.amdhsa_fp16_overflow 0
		.amdhsa_memory_ordered 1
		.amdhsa_forward_progress 1
		.amdhsa_inst_pref_size 1
		.amdhsa_round_robin_scheduling 0
		.amdhsa_exception_fp_ieee_invalid_op 0
		.amdhsa_exception_fp_denorm_src 0
		.amdhsa_exception_fp_ieee_div_zero 0
		.amdhsa_exception_fp_ieee_overflow 0
		.amdhsa_exception_fp_ieee_underflow 0
		.amdhsa_exception_fp_ieee_inexact 0
		.amdhsa_exception_int_div_zero 0
	.end_amdhsa_kernel
	.section	.text._ZN7rocprim17ROCPRIM_400000_NS6detail44device_merge_sort_compile_time_verifier_archINS1_11comp_targetILNS1_3genE9ELNS1_11target_archE1100ELNS1_3gpuE3ELNS1_3repE0EEES8_NS1_28merge_sort_block_sort_configILj256ELj4ELNS0_20block_sort_algorithmE0EEENS0_14default_configENS1_37merge_sort_block_sort_config_selectorIdNS0_10empty_typeEEENS1_38merge_sort_block_merge_config_selectorIdSE_EEEEvv,"axG",@progbits,_ZN7rocprim17ROCPRIM_400000_NS6detail44device_merge_sort_compile_time_verifier_archINS1_11comp_targetILNS1_3genE9ELNS1_11target_archE1100ELNS1_3gpuE3ELNS1_3repE0EEES8_NS1_28merge_sort_block_sort_configILj256ELj4ELNS0_20block_sort_algorithmE0EEENS0_14default_configENS1_37merge_sort_block_sort_config_selectorIdNS0_10empty_typeEEENS1_38merge_sort_block_merge_config_selectorIdSE_EEEEvv,comdat
.Lfunc_end1458:
	.size	_ZN7rocprim17ROCPRIM_400000_NS6detail44device_merge_sort_compile_time_verifier_archINS1_11comp_targetILNS1_3genE9ELNS1_11target_archE1100ELNS1_3gpuE3ELNS1_3repE0EEES8_NS1_28merge_sort_block_sort_configILj256ELj4ELNS0_20block_sort_algorithmE0EEENS0_14default_configENS1_37merge_sort_block_sort_config_selectorIdNS0_10empty_typeEEENS1_38merge_sort_block_merge_config_selectorIdSE_EEEEvv, .Lfunc_end1458-_ZN7rocprim17ROCPRIM_400000_NS6detail44device_merge_sort_compile_time_verifier_archINS1_11comp_targetILNS1_3genE9ELNS1_11target_archE1100ELNS1_3gpuE3ELNS1_3repE0EEES8_NS1_28merge_sort_block_sort_configILj256ELj4ELNS0_20block_sort_algorithmE0EEENS0_14default_configENS1_37merge_sort_block_sort_config_selectorIdNS0_10empty_typeEEENS1_38merge_sort_block_merge_config_selectorIdSE_EEEEvv
                                        ; -- End function
	.set _ZN7rocprim17ROCPRIM_400000_NS6detail44device_merge_sort_compile_time_verifier_archINS1_11comp_targetILNS1_3genE9ELNS1_11target_archE1100ELNS1_3gpuE3ELNS1_3repE0EEES8_NS1_28merge_sort_block_sort_configILj256ELj4ELNS0_20block_sort_algorithmE0EEENS0_14default_configENS1_37merge_sort_block_sort_config_selectorIdNS0_10empty_typeEEENS1_38merge_sort_block_merge_config_selectorIdSE_EEEEvv.num_vgpr, 0
	.set _ZN7rocprim17ROCPRIM_400000_NS6detail44device_merge_sort_compile_time_verifier_archINS1_11comp_targetILNS1_3genE9ELNS1_11target_archE1100ELNS1_3gpuE3ELNS1_3repE0EEES8_NS1_28merge_sort_block_sort_configILj256ELj4ELNS0_20block_sort_algorithmE0EEENS0_14default_configENS1_37merge_sort_block_sort_config_selectorIdNS0_10empty_typeEEENS1_38merge_sort_block_merge_config_selectorIdSE_EEEEvv.num_agpr, 0
	.set _ZN7rocprim17ROCPRIM_400000_NS6detail44device_merge_sort_compile_time_verifier_archINS1_11comp_targetILNS1_3genE9ELNS1_11target_archE1100ELNS1_3gpuE3ELNS1_3repE0EEES8_NS1_28merge_sort_block_sort_configILj256ELj4ELNS0_20block_sort_algorithmE0EEENS0_14default_configENS1_37merge_sort_block_sort_config_selectorIdNS0_10empty_typeEEENS1_38merge_sort_block_merge_config_selectorIdSE_EEEEvv.numbered_sgpr, 0
	.set _ZN7rocprim17ROCPRIM_400000_NS6detail44device_merge_sort_compile_time_verifier_archINS1_11comp_targetILNS1_3genE9ELNS1_11target_archE1100ELNS1_3gpuE3ELNS1_3repE0EEES8_NS1_28merge_sort_block_sort_configILj256ELj4ELNS0_20block_sort_algorithmE0EEENS0_14default_configENS1_37merge_sort_block_sort_config_selectorIdNS0_10empty_typeEEENS1_38merge_sort_block_merge_config_selectorIdSE_EEEEvv.num_named_barrier, 0
	.set _ZN7rocprim17ROCPRIM_400000_NS6detail44device_merge_sort_compile_time_verifier_archINS1_11comp_targetILNS1_3genE9ELNS1_11target_archE1100ELNS1_3gpuE3ELNS1_3repE0EEES8_NS1_28merge_sort_block_sort_configILj256ELj4ELNS0_20block_sort_algorithmE0EEENS0_14default_configENS1_37merge_sort_block_sort_config_selectorIdNS0_10empty_typeEEENS1_38merge_sort_block_merge_config_selectorIdSE_EEEEvv.private_seg_size, 0
	.set _ZN7rocprim17ROCPRIM_400000_NS6detail44device_merge_sort_compile_time_verifier_archINS1_11comp_targetILNS1_3genE9ELNS1_11target_archE1100ELNS1_3gpuE3ELNS1_3repE0EEES8_NS1_28merge_sort_block_sort_configILj256ELj4ELNS0_20block_sort_algorithmE0EEENS0_14default_configENS1_37merge_sort_block_sort_config_selectorIdNS0_10empty_typeEEENS1_38merge_sort_block_merge_config_selectorIdSE_EEEEvv.uses_vcc, 0
	.set _ZN7rocprim17ROCPRIM_400000_NS6detail44device_merge_sort_compile_time_verifier_archINS1_11comp_targetILNS1_3genE9ELNS1_11target_archE1100ELNS1_3gpuE3ELNS1_3repE0EEES8_NS1_28merge_sort_block_sort_configILj256ELj4ELNS0_20block_sort_algorithmE0EEENS0_14default_configENS1_37merge_sort_block_sort_config_selectorIdNS0_10empty_typeEEENS1_38merge_sort_block_merge_config_selectorIdSE_EEEEvv.uses_flat_scratch, 0
	.set _ZN7rocprim17ROCPRIM_400000_NS6detail44device_merge_sort_compile_time_verifier_archINS1_11comp_targetILNS1_3genE9ELNS1_11target_archE1100ELNS1_3gpuE3ELNS1_3repE0EEES8_NS1_28merge_sort_block_sort_configILj256ELj4ELNS0_20block_sort_algorithmE0EEENS0_14default_configENS1_37merge_sort_block_sort_config_selectorIdNS0_10empty_typeEEENS1_38merge_sort_block_merge_config_selectorIdSE_EEEEvv.has_dyn_sized_stack, 0
	.set _ZN7rocprim17ROCPRIM_400000_NS6detail44device_merge_sort_compile_time_verifier_archINS1_11comp_targetILNS1_3genE9ELNS1_11target_archE1100ELNS1_3gpuE3ELNS1_3repE0EEES8_NS1_28merge_sort_block_sort_configILj256ELj4ELNS0_20block_sort_algorithmE0EEENS0_14default_configENS1_37merge_sort_block_sort_config_selectorIdNS0_10empty_typeEEENS1_38merge_sort_block_merge_config_selectorIdSE_EEEEvv.has_recursion, 0
	.set _ZN7rocprim17ROCPRIM_400000_NS6detail44device_merge_sort_compile_time_verifier_archINS1_11comp_targetILNS1_3genE9ELNS1_11target_archE1100ELNS1_3gpuE3ELNS1_3repE0EEES8_NS1_28merge_sort_block_sort_configILj256ELj4ELNS0_20block_sort_algorithmE0EEENS0_14default_configENS1_37merge_sort_block_sort_config_selectorIdNS0_10empty_typeEEENS1_38merge_sort_block_merge_config_selectorIdSE_EEEEvv.has_indirect_call, 0
	.section	.AMDGPU.csdata,"",@progbits
; Kernel info:
; codeLenInByte = 4
; TotalNumSgprs: 0
; NumVgprs: 0
; ScratchSize: 0
; MemoryBound: 0
; FloatMode: 240
; IeeeMode: 1
; LDSByteSize: 0 bytes/workgroup (compile time only)
; SGPRBlocks: 0
; VGPRBlocks: 0
; NumSGPRsForWavesPerEU: 1
; NumVGPRsForWavesPerEU: 1
; NamedBarCnt: 0
; Occupancy: 16
; WaveLimiterHint : 0
; COMPUTE_PGM_RSRC2:SCRATCH_EN: 0
; COMPUTE_PGM_RSRC2:USER_SGPR: 0
; COMPUTE_PGM_RSRC2:TRAP_HANDLER: 0
; COMPUTE_PGM_RSRC2:TGID_X_EN: 1
; COMPUTE_PGM_RSRC2:TGID_Y_EN: 0
; COMPUTE_PGM_RSRC2:TGID_Z_EN: 0
; COMPUTE_PGM_RSRC2:TIDIG_COMP_CNT: 0
	.section	.text._ZN7rocprim17ROCPRIM_400000_NS6detail44device_merge_sort_compile_time_verifier_archINS1_11comp_targetILNS1_3genE8ELNS1_11target_archE1030ELNS1_3gpuE2ELNS1_3repE0EEES8_NS1_28merge_sort_block_sort_configILj256ELj4ELNS0_20block_sort_algorithmE0EEENS0_14default_configENS1_37merge_sort_block_sort_config_selectorIdNS0_10empty_typeEEENS1_38merge_sort_block_merge_config_selectorIdSE_EEEEvv,"axG",@progbits,_ZN7rocprim17ROCPRIM_400000_NS6detail44device_merge_sort_compile_time_verifier_archINS1_11comp_targetILNS1_3genE8ELNS1_11target_archE1030ELNS1_3gpuE2ELNS1_3repE0EEES8_NS1_28merge_sort_block_sort_configILj256ELj4ELNS0_20block_sort_algorithmE0EEENS0_14default_configENS1_37merge_sort_block_sort_config_selectorIdNS0_10empty_typeEEENS1_38merge_sort_block_merge_config_selectorIdSE_EEEEvv,comdat
	.protected	_ZN7rocprim17ROCPRIM_400000_NS6detail44device_merge_sort_compile_time_verifier_archINS1_11comp_targetILNS1_3genE8ELNS1_11target_archE1030ELNS1_3gpuE2ELNS1_3repE0EEES8_NS1_28merge_sort_block_sort_configILj256ELj4ELNS0_20block_sort_algorithmE0EEENS0_14default_configENS1_37merge_sort_block_sort_config_selectorIdNS0_10empty_typeEEENS1_38merge_sort_block_merge_config_selectorIdSE_EEEEvv ; -- Begin function _ZN7rocprim17ROCPRIM_400000_NS6detail44device_merge_sort_compile_time_verifier_archINS1_11comp_targetILNS1_3genE8ELNS1_11target_archE1030ELNS1_3gpuE2ELNS1_3repE0EEES8_NS1_28merge_sort_block_sort_configILj256ELj4ELNS0_20block_sort_algorithmE0EEENS0_14default_configENS1_37merge_sort_block_sort_config_selectorIdNS0_10empty_typeEEENS1_38merge_sort_block_merge_config_selectorIdSE_EEEEvv
	.globl	_ZN7rocprim17ROCPRIM_400000_NS6detail44device_merge_sort_compile_time_verifier_archINS1_11comp_targetILNS1_3genE8ELNS1_11target_archE1030ELNS1_3gpuE2ELNS1_3repE0EEES8_NS1_28merge_sort_block_sort_configILj256ELj4ELNS0_20block_sort_algorithmE0EEENS0_14default_configENS1_37merge_sort_block_sort_config_selectorIdNS0_10empty_typeEEENS1_38merge_sort_block_merge_config_selectorIdSE_EEEEvv
	.p2align	8
	.type	_ZN7rocprim17ROCPRIM_400000_NS6detail44device_merge_sort_compile_time_verifier_archINS1_11comp_targetILNS1_3genE8ELNS1_11target_archE1030ELNS1_3gpuE2ELNS1_3repE0EEES8_NS1_28merge_sort_block_sort_configILj256ELj4ELNS0_20block_sort_algorithmE0EEENS0_14default_configENS1_37merge_sort_block_sort_config_selectorIdNS0_10empty_typeEEENS1_38merge_sort_block_merge_config_selectorIdSE_EEEEvv,@function
_ZN7rocprim17ROCPRIM_400000_NS6detail44device_merge_sort_compile_time_verifier_archINS1_11comp_targetILNS1_3genE8ELNS1_11target_archE1030ELNS1_3gpuE2ELNS1_3repE0EEES8_NS1_28merge_sort_block_sort_configILj256ELj4ELNS0_20block_sort_algorithmE0EEENS0_14default_configENS1_37merge_sort_block_sort_config_selectorIdNS0_10empty_typeEEENS1_38merge_sort_block_merge_config_selectorIdSE_EEEEvv: ; @_ZN7rocprim17ROCPRIM_400000_NS6detail44device_merge_sort_compile_time_verifier_archINS1_11comp_targetILNS1_3genE8ELNS1_11target_archE1030ELNS1_3gpuE2ELNS1_3repE0EEES8_NS1_28merge_sort_block_sort_configILj256ELj4ELNS0_20block_sort_algorithmE0EEENS0_14default_configENS1_37merge_sort_block_sort_config_selectorIdNS0_10empty_typeEEENS1_38merge_sort_block_merge_config_selectorIdSE_EEEEvv
; %bb.0:
	s_endpgm
	.section	.rodata,"a",@progbits
	.p2align	6, 0x0
	.amdhsa_kernel _ZN7rocprim17ROCPRIM_400000_NS6detail44device_merge_sort_compile_time_verifier_archINS1_11comp_targetILNS1_3genE8ELNS1_11target_archE1030ELNS1_3gpuE2ELNS1_3repE0EEES8_NS1_28merge_sort_block_sort_configILj256ELj4ELNS0_20block_sort_algorithmE0EEENS0_14default_configENS1_37merge_sort_block_sort_config_selectorIdNS0_10empty_typeEEENS1_38merge_sort_block_merge_config_selectorIdSE_EEEEvv
		.amdhsa_group_segment_fixed_size 0
		.amdhsa_private_segment_fixed_size 0
		.amdhsa_kernarg_size 0
		.amdhsa_user_sgpr_count 0
		.amdhsa_user_sgpr_dispatch_ptr 0
		.amdhsa_user_sgpr_queue_ptr 0
		.amdhsa_user_sgpr_kernarg_segment_ptr 0
		.amdhsa_user_sgpr_dispatch_id 0
		.amdhsa_user_sgpr_kernarg_preload_length 0
		.amdhsa_user_sgpr_kernarg_preload_offset 0
		.amdhsa_user_sgpr_private_segment_size 0
		.amdhsa_wavefront_size32 1
		.amdhsa_uses_dynamic_stack 0
		.amdhsa_enable_private_segment 0
		.amdhsa_system_sgpr_workgroup_id_x 1
		.amdhsa_system_sgpr_workgroup_id_y 0
		.amdhsa_system_sgpr_workgroup_id_z 0
		.amdhsa_system_sgpr_workgroup_info 0
		.amdhsa_system_vgpr_workitem_id 0
		.amdhsa_next_free_vgpr 1
		.amdhsa_next_free_sgpr 1
		.amdhsa_named_barrier_count 0
		.amdhsa_reserve_vcc 0
		.amdhsa_float_round_mode_32 0
		.amdhsa_float_round_mode_16_64 0
		.amdhsa_float_denorm_mode_32 3
		.amdhsa_float_denorm_mode_16_64 3
		.amdhsa_fp16_overflow 0
		.amdhsa_memory_ordered 1
		.amdhsa_forward_progress 1
		.amdhsa_inst_pref_size 1
		.amdhsa_round_robin_scheduling 0
		.amdhsa_exception_fp_ieee_invalid_op 0
		.amdhsa_exception_fp_denorm_src 0
		.amdhsa_exception_fp_ieee_div_zero 0
		.amdhsa_exception_fp_ieee_overflow 0
		.amdhsa_exception_fp_ieee_underflow 0
		.amdhsa_exception_fp_ieee_inexact 0
		.amdhsa_exception_int_div_zero 0
	.end_amdhsa_kernel
	.section	.text._ZN7rocprim17ROCPRIM_400000_NS6detail44device_merge_sort_compile_time_verifier_archINS1_11comp_targetILNS1_3genE8ELNS1_11target_archE1030ELNS1_3gpuE2ELNS1_3repE0EEES8_NS1_28merge_sort_block_sort_configILj256ELj4ELNS0_20block_sort_algorithmE0EEENS0_14default_configENS1_37merge_sort_block_sort_config_selectorIdNS0_10empty_typeEEENS1_38merge_sort_block_merge_config_selectorIdSE_EEEEvv,"axG",@progbits,_ZN7rocprim17ROCPRIM_400000_NS6detail44device_merge_sort_compile_time_verifier_archINS1_11comp_targetILNS1_3genE8ELNS1_11target_archE1030ELNS1_3gpuE2ELNS1_3repE0EEES8_NS1_28merge_sort_block_sort_configILj256ELj4ELNS0_20block_sort_algorithmE0EEENS0_14default_configENS1_37merge_sort_block_sort_config_selectorIdNS0_10empty_typeEEENS1_38merge_sort_block_merge_config_selectorIdSE_EEEEvv,comdat
.Lfunc_end1459:
	.size	_ZN7rocprim17ROCPRIM_400000_NS6detail44device_merge_sort_compile_time_verifier_archINS1_11comp_targetILNS1_3genE8ELNS1_11target_archE1030ELNS1_3gpuE2ELNS1_3repE0EEES8_NS1_28merge_sort_block_sort_configILj256ELj4ELNS0_20block_sort_algorithmE0EEENS0_14default_configENS1_37merge_sort_block_sort_config_selectorIdNS0_10empty_typeEEENS1_38merge_sort_block_merge_config_selectorIdSE_EEEEvv, .Lfunc_end1459-_ZN7rocprim17ROCPRIM_400000_NS6detail44device_merge_sort_compile_time_verifier_archINS1_11comp_targetILNS1_3genE8ELNS1_11target_archE1030ELNS1_3gpuE2ELNS1_3repE0EEES8_NS1_28merge_sort_block_sort_configILj256ELj4ELNS0_20block_sort_algorithmE0EEENS0_14default_configENS1_37merge_sort_block_sort_config_selectorIdNS0_10empty_typeEEENS1_38merge_sort_block_merge_config_selectorIdSE_EEEEvv
                                        ; -- End function
	.set _ZN7rocprim17ROCPRIM_400000_NS6detail44device_merge_sort_compile_time_verifier_archINS1_11comp_targetILNS1_3genE8ELNS1_11target_archE1030ELNS1_3gpuE2ELNS1_3repE0EEES8_NS1_28merge_sort_block_sort_configILj256ELj4ELNS0_20block_sort_algorithmE0EEENS0_14default_configENS1_37merge_sort_block_sort_config_selectorIdNS0_10empty_typeEEENS1_38merge_sort_block_merge_config_selectorIdSE_EEEEvv.num_vgpr, 0
	.set _ZN7rocprim17ROCPRIM_400000_NS6detail44device_merge_sort_compile_time_verifier_archINS1_11comp_targetILNS1_3genE8ELNS1_11target_archE1030ELNS1_3gpuE2ELNS1_3repE0EEES8_NS1_28merge_sort_block_sort_configILj256ELj4ELNS0_20block_sort_algorithmE0EEENS0_14default_configENS1_37merge_sort_block_sort_config_selectorIdNS0_10empty_typeEEENS1_38merge_sort_block_merge_config_selectorIdSE_EEEEvv.num_agpr, 0
	.set _ZN7rocprim17ROCPRIM_400000_NS6detail44device_merge_sort_compile_time_verifier_archINS1_11comp_targetILNS1_3genE8ELNS1_11target_archE1030ELNS1_3gpuE2ELNS1_3repE0EEES8_NS1_28merge_sort_block_sort_configILj256ELj4ELNS0_20block_sort_algorithmE0EEENS0_14default_configENS1_37merge_sort_block_sort_config_selectorIdNS0_10empty_typeEEENS1_38merge_sort_block_merge_config_selectorIdSE_EEEEvv.numbered_sgpr, 0
	.set _ZN7rocprim17ROCPRIM_400000_NS6detail44device_merge_sort_compile_time_verifier_archINS1_11comp_targetILNS1_3genE8ELNS1_11target_archE1030ELNS1_3gpuE2ELNS1_3repE0EEES8_NS1_28merge_sort_block_sort_configILj256ELj4ELNS0_20block_sort_algorithmE0EEENS0_14default_configENS1_37merge_sort_block_sort_config_selectorIdNS0_10empty_typeEEENS1_38merge_sort_block_merge_config_selectorIdSE_EEEEvv.num_named_barrier, 0
	.set _ZN7rocprim17ROCPRIM_400000_NS6detail44device_merge_sort_compile_time_verifier_archINS1_11comp_targetILNS1_3genE8ELNS1_11target_archE1030ELNS1_3gpuE2ELNS1_3repE0EEES8_NS1_28merge_sort_block_sort_configILj256ELj4ELNS0_20block_sort_algorithmE0EEENS0_14default_configENS1_37merge_sort_block_sort_config_selectorIdNS0_10empty_typeEEENS1_38merge_sort_block_merge_config_selectorIdSE_EEEEvv.private_seg_size, 0
	.set _ZN7rocprim17ROCPRIM_400000_NS6detail44device_merge_sort_compile_time_verifier_archINS1_11comp_targetILNS1_3genE8ELNS1_11target_archE1030ELNS1_3gpuE2ELNS1_3repE0EEES8_NS1_28merge_sort_block_sort_configILj256ELj4ELNS0_20block_sort_algorithmE0EEENS0_14default_configENS1_37merge_sort_block_sort_config_selectorIdNS0_10empty_typeEEENS1_38merge_sort_block_merge_config_selectorIdSE_EEEEvv.uses_vcc, 0
	.set _ZN7rocprim17ROCPRIM_400000_NS6detail44device_merge_sort_compile_time_verifier_archINS1_11comp_targetILNS1_3genE8ELNS1_11target_archE1030ELNS1_3gpuE2ELNS1_3repE0EEES8_NS1_28merge_sort_block_sort_configILj256ELj4ELNS0_20block_sort_algorithmE0EEENS0_14default_configENS1_37merge_sort_block_sort_config_selectorIdNS0_10empty_typeEEENS1_38merge_sort_block_merge_config_selectorIdSE_EEEEvv.uses_flat_scratch, 0
	.set _ZN7rocprim17ROCPRIM_400000_NS6detail44device_merge_sort_compile_time_verifier_archINS1_11comp_targetILNS1_3genE8ELNS1_11target_archE1030ELNS1_3gpuE2ELNS1_3repE0EEES8_NS1_28merge_sort_block_sort_configILj256ELj4ELNS0_20block_sort_algorithmE0EEENS0_14default_configENS1_37merge_sort_block_sort_config_selectorIdNS0_10empty_typeEEENS1_38merge_sort_block_merge_config_selectorIdSE_EEEEvv.has_dyn_sized_stack, 0
	.set _ZN7rocprim17ROCPRIM_400000_NS6detail44device_merge_sort_compile_time_verifier_archINS1_11comp_targetILNS1_3genE8ELNS1_11target_archE1030ELNS1_3gpuE2ELNS1_3repE0EEES8_NS1_28merge_sort_block_sort_configILj256ELj4ELNS0_20block_sort_algorithmE0EEENS0_14default_configENS1_37merge_sort_block_sort_config_selectorIdNS0_10empty_typeEEENS1_38merge_sort_block_merge_config_selectorIdSE_EEEEvv.has_recursion, 0
	.set _ZN7rocprim17ROCPRIM_400000_NS6detail44device_merge_sort_compile_time_verifier_archINS1_11comp_targetILNS1_3genE8ELNS1_11target_archE1030ELNS1_3gpuE2ELNS1_3repE0EEES8_NS1_28merge_sort_block_sort_configILj256ELj4ELNS0_20block_sort_algorithmE0EEENS0_14default_configENS1_37merge_sort_block_sort_config_selectorIdNS0_10empty_typeEEENS1_38merge_sort_block_merge_config_selectorIdSE_EEEEvv.has_indirect_call, 0
	.section	.AMDGPU.csdata,"",@progbits
; Kernel info:
; codeLenInByte = 4
; TotalNumSgprs: 0
; NumVgprs: 0
; ScratchSize: 0
; MemoryBound: 0
; FloatMode: 240
; IeeeMode: 1
; LDSByteSize: 0 bytes/workgroup (compile time only)
; SGPRBlocks: 0
; VGPRBlocks: 0
; NumSGPRsForWavesPerEU: 1
; NumVGPRsForWavesPerEU: 1
; NamedBarCnt: 0
; Occupancy: 16
; WaveLimiterHint : 0
; COMPUTE_PGM_RSRC2:SCRATCH_EN: 0
; COMPUTE_PGM_RSRC2:USER_SGPR: 0
; COMPUTE_PGM_RSRC2:TRAP_HANDLER: 0
; COMPUTE_PGM_RSRC2:TGID_X_EN: 1
; COMPUTE_PGM_RSRC2:TGID_Y_EN: 0
; COMPUTE_PGM_RSRC2:TGID_Z_EN: 0
; COMPUTE_PGM_RSRC2:TIDIG_COMP_CNT: 0
	.section	.text._ZN7rocprim17ROCPRIM_400000_NS6detail17trampoline_kernelINS0_14default_configENS1_38merge_sort_block_merge_config_selectorIdNS0_10empty_typeEEEZZNS1_27merge_sort_block_merge_implIS3_PdPS5_jNS1_19radix_merge_compareILb1ELb0EdNS0_19identity_decomposerEEEEE10hipError_tT0_T1_T2_jT3_P12ihipStream_tbPNSt15iterator_traitsISE_E10value_typeEPNSK_ISF_E10value_typeEPSG_NS1_7vsmem_tEENKUlT_SE_SF_SG_E_clIS8_S8_S9_S9_EESD_ST_SE_SF_SG_EUlST_E_NS1_11comp_targetILNS1_3genE0ELNS1_11target_archE4294967295ELNS1_3gpuE0ELNS1_3repE0EEENS1_48merge_mergepath_partition_config_static_selectorELNS0_4arch9wavefront6targetE0EEEvSF_,"axG",@progbits,_ZN7rocprim17ROCPRIM_400000_NS6detail17trampoline_kernelINS0_14default_configENS1_38merge_sort_block_merge_config_selectorIdNS0_10empty_typeEEEZZNS1_27merge_sort_block_merge_implIS3_PdPS5_jNS1_19radix_merge_compareILb1ELb0EdNS0_19identity_decomposerEEEEE10hipError_tT0_T1_T2_jT3_P12ihipStream_tbPNSt15iterator_traitsISE_E10value_typeEPNSK_ISF_E10value_typeEPSG_NS1_7vsmem_tEENKUlT_SE_SF_SG_E_clIS8_S8_S9_S9_EESD_ST_SE_SF_SG_EUlST_E_NS1_11comp_targetILNS1_3genE0ELNS1_11target_archE4294967295ELNS1_3gpuE0ELNS1_3repE0EEENS1_48merge_mergepath_partition_config_static_selectorELNS0_4arch9wavefront6targetE0EEEvSF_,comdat
	.protected	_ZN7rocprim17ROCPRIM_400000_NS6detail17trampoline_kernelINS0_14default_configENS1_38merge_sort_block_merge_config_selectorIdNS0_10empty_typeEEEZZNS1_27merge_sort_block_merge_implIS3_PdPS5_jNS1_19radix_merge_compareILb1ELb0EdNS0_19identity_decomposerEEEEE10hipError_tT0_T1_T2_jT3_P12ihipStream_tbPNSt15iterator_traitsISE_E10value_typeEPNSK_ISF_E10value_typeEPSG_NS1_7vsmem_tEENKUlT_SE_SF_SG_E_clIS8_S8_S9_S9_EESD_ST_SE_SF_SG_EUlST_E_NS1_11comp_targetILNS1_3genE0ELNS1_11target_archE4294967295ELNS1_3gpuE0ELNS1_3repE0EEENS1_48merge_mergepath_partition_config_static_selectorELNS0_4arch9wavefront6targetE0EEEvSF_ ; -- Begin function _ZN7rocprim17ROCPRIM_400000_NS6detail17trampoline_kernelINS0_14default_configENS1_38merge_sort_block_merge_config_selectorIdNS0_10empty_typeEEEZZNS1_27merge_sort_block_merge_implIS3_PdPS5_jNS1_19radix_merge_compareILb1ELb0EdNS0_19identity_decomposerEEEEE10hipError_tT0_T1_T2_jT3_P12ihipStream_tbPNSt15iterator_traitsISE_E10value_typeEPNSK_ISF_E10value_typeEPSG_NS1_7vsmem_tEENKUlT_SE_SF_SG_E_clIS8_S8_S9_S9_EESD_ST_SE_SF_SG_EUlST_E_NS1_11comp_targetILNS1_3genE0ELNS1_11target_archE4294967295ELNS1_3gpuE0ELNS1_3repE0EEENS1_48merge_mergepath_partition_config_static_selectorELNS0_4arch9wavefront6targetE0EEEvSF_
	.globl	_ZN7rocprim17ROCPRIM_400000_NS6detail17trampoline_kernelINS0_14default_configENS1_38merge_sort_block_merge_config_selectorIdNS0_10empty_typeEEEZZNS1_27merge_sort_block_merge_implIS3_PdPS5_jNS1_19radix_merge_compareILb1ELb0EdNS0_19identity_decomposerEEEEE10hipError_tT0_T1_T2_jT3_P12ihipStream_tbPNSt15iterator_traitsISE_E10value_typeEPNSK_ISF_E10value_typeEPSG_NS1_7vsmem_tEENKUlT_SE_SF_SG_E_clIS8_S8_S9_S9_EESD_ST_SE_SF_SG_EUlST_E_NS1_11comp_targetILNS1_3genE0ELNS1_11target_archE4294967295ELNS1_3gpuE0ELNS1_3repE0EEENS1_48merge_mergepath_partition_config_static_selectorELNS0_4arch9wavefront6targetE0EEEvSF_
	.p2align	8
	.type	_ZN7rocprim17ROCPRIM_400000_NS6detail17trampoline_kernelINS0_14default_configENS1_38merge_sort_block_merge_config_selectorIdNS0_10empty_typeEEEZZNS1_27merge_sort_block_merge_implIS3_PdPS5_jNS1_19radix_merge_compareILb1ELb0EdNS0_19identity_decomposerEEEEE10hipError_tT0_T1_T2_jT3_P12ihipStream_tbPNSt15iterator_traitsISE_E10value_typeEPNSK_ISF_E10value_typeEPSG_NS1_7vsmem_tEENKUlT_SE_SF_SG_E_clIS8_S8_S9_S9_EESD_ST_SE_SF_SG_EUlST_E_NS1_11comp_targetILNS1_3genE0ELNS1_11target_archE4294967295ELNS1_3gpuE0ELNS1_3repE0EEENS1_48merge_mergepath_partition_config_static_selectorELNS0_4arch9wavefront6targetE0EEEvSF_,@function
_ZN7rocprim17ROCPRIM_400000_NS6detail17trampoline_kernelINS0_14default_configENS1_38merge_sort_block_merge_config_selectorIdNS0_10empty_typeEEEZZNS1_27merge_sort_block_merge_implIS3_PdPS5_jNS1_19radix_merge_compareILb1ELb0EdNS0_19identity_decomposerEEEEE10hipError_tT0_T1_T2_jT3_P12ihipStream_tbPNSt15iterator_traitsISE_E10value_typeEPNSK_ISF_E10value_typeEPSG_NS1_7vsmem_tEENKUlT_SE_SF_SG_E_clIS8_S8_S9_S9_EESD_ST_SE_SF_SG_EUlST_E_NS1_11comp_targetILNS1_3genE0ELNS1_11target_archE4294967295ELNS1_3gpuE0ELNS1_3repE0EEENS1_48merge_mergepath_partition_config_static_selectorELNS0_4arch9wavefront6targetE0EEEvSF_: ; @_ZN7rocprim17ROCPRIM_400000_NS6detail17trampoline_kernelINS0_14default_configENS1_38merge_sort_block_merge_config_selectorIdNS0_10empty_typeEEEZZNS1_27merge_sort_block_merge_implIS3_PdPS5_jNS1_19radix_merge_compareILb1ELb0EdNS0_19identity_decomposerEEEEE10hipError_tT0_T1_T2_jT3_P12ihipStream_tbPNSt15iterator_traitsISE_E10value_typeEPNSK_ISF_E10value_typeEPSG_NS1_7vsmem_tEENKUlT_SE_SF_SG_E_clIS8_S8_S9_S9_EESD_ST_SE_SF_SG_EUlST_E_NS1_11comp_targetILNS1_3genE0ELNS1_11target_archE4294967295ELNS1_3gpuE0ELNS1_3repE0EEENS1_48merge_mergepath_partition_config_static_selectorELNS0_4arch9wavefront6targetE0EEEvSF_
; %bb.0:
	s_load_b32 s2, s[0:1], 0x0
	s_bfe_u32 s3, ttmp6, 0x4000c
	s_and_b32 s4, ttmp6, 15
	s_add_co_i32 s3, s3, 1
	s_getreg_b32 s5, hwreg(HW_REG_IB_STS2, 6, 4)
	s_mul_i32 s3, ttmp9, s3
	s_delay_alu instid0(SALU_CYCLE_1) | instskip(SKIP_2) | instid1(SALU_CYCLE_1)
	s_add_co_i32 s4, s4, s3
	s_cmp_eq_u32 s5, 0
	s_cselect_b32 s3, ttmp9, s4
	v_lshl_or_b32 v8, s3, 7, v0
	s_wait_kmcnt 0x0
	s_delay_alu instid0(VALU_DEP_1)
	v_cmp_gt_u32_e32 vcc_lo, s2, v8
	s_and_saveexec_b32 s2, vcc_lo
	s_cbranch_execz .LBB1460_6
; %bb.1:
	s_load_b64 s[2:3], s[0:1], 0x4
	s_wait_kmcnt 0x0
	s_lshr_b32 s4, s2, 9
	s_delay_alu instid0(SALU_CYCLE_1) | instskip(NEXT) | instid1(SALU_CYCLE_1)
	s_and_b32 s4, s4, 0x7ffffe
	s_sub_co_i32 s5, 0, s4
	s_add_co_i32 s4, s4, -1
	s_delay_alu instid0(SALU_CYCLE_1) | instskip(SKIP_2) | instid1(VALU_DEP_1)
	v_and_b32_e32 v1, s4, v8
	v_and_b32_e32 v0, s5, v8
	s_mov_b32 s4, exec_lo
	v_dual_lshlrev_b32 v1, 10, v1 :: v_dual_lshlrev_b32 v0, 10, v0
	s_delay_alu instid0(VALU_DEP_1) | instskip(SKIP_1) | instid1(VALU_DEP_2)
	v_add_min_u32_e64 v2, v0, s2, s3
	v_min_u32_e32 v0, s3, v0
	v_add_min_u32_e64 v3, v2, s2, s3
	s_load_b64 s[2:3], s[0:1], 0x20
	s_delay_alu instid0(VALU_DEP_1) | instskip(NEXT) | instid1(VALU_DEP_1)
	v_dual_sub_nc_u32 v4, v3, v0 :: v_dual_sub_nc_u32 v3, v3, v2
	v_min_u32_e32 v10, v4, v1
	v_sub_nc_u32_e32 v1, v2, v0
	s_delay_alu instid0(VALU_DEP_2) | instskip(NEXT) | instid1(VALU_DEP_2)
	v_sub_nc_u32_e64 v9, v10, v3 clamp
	v_min_u32_e32 v11, v10, v1
	s_delay_alu instid0(VALU_DEP_1)
	v_cmpx_lt_u32_e64 v9, v11
	s_cbranch_execz .LBB1460_5
; %bb.2:
	s_wait_xcnt 0x0
	s_load_b64 s[0:1], s[0:1], 0x10
	v_mov_b32_e32 v3, 0
	s_delay_alu instid0(VALU_DEP_1) | instskip(SKIP_1) | instid1(VALU_DEP_1)
	v_mov_b32_e32 v1, v3
	s_wait_kmcnt 0x0
	v_lshl_add_u64 v[4:5], v[0:1], 3, s[0:1]
	v_lshl_add_u64 v[6:7], v[2:3], 3, s[0:1]
	s_mov_b32 s0, 0
.LBB1460_3:                             ; =>This Inner Loop Header: Depth=1
	v_add_nc_u32_e32 v1, v11, v9
	s_delay_alu instid0(VALU_DEP_1) | instskip(NEXT) | instid1(VALU_DEP_1)
	v_dual_mov_b32 v13, v3 :: v_dual_lshrrev_b32 v2, 1, v1
	v_xad_u32 v12, v2, -1, v10
	v_lshl_add_u64 v[14:15], v[2:3], 3, v[4:5]
	s_delay_alu instid0(VALU_DEP_2)
	v_lshl_add_u64 v[12:13], v[12:13], 3, v[6:7]
	s_clause 0x1
	global_load_b64 v[16:17], v[14:15], off
	global_load_b64 v[18:19], v[12:13], off
	s_wait_loadcnt 0x0
	v_add_f64_e32 v[14:15], 0, v[18:19]
	s_delay_alu instid0(VALU_DEP_1) | instskip(NEXT) | instid1(VALU_DEP_1)
	v_dual_add_f64 v[12:13], 0, v[16:17] :: v_dual_ashrrev_i32 v16, 31, v15
	v_dual_ashrrev_i32 v1, 31, v13 :: v_dual_bitop2_b32 v14, v16, v14 bitop3:0x14
	s_delay_alu instid0(VALU_DEP_1) | instskip(SKIP_1) | instid1(VALU_DEP_4)
	v_or_b32_e32 v17, 0x80000000, v1
	v_or_b32_e32 v18, 0x80000000, v16
	v_dual_add_nc_u32 v1, 1, v2 :: v_dual_bitop2_b32 v12, v1, v12 bitop3:0x14
	s_delay_alu instid0(VALU_DEP_3) | instskip(NEXT) | instid1(VALU_DEP_3)
	v_xor_b32_e32 v13, v17, v13
	v_xor_b32_e32 v15, v18, v15
	s_delay_alu instid0(VALU_DEP_1) | instskip(NEXT) | instid1(VALU_DEP_4)
	v_cmp_gt_u64_e32 vcc_lo, v[14:15], v[12:13]
	v_dual_cndmask_b32 v11, v11, v2, vcc_lo :: v_dual_cndmask_b32 v9, v1, v9, vcc_lo
	s_delay_alu instid0(VALU_DEP_1) | instskip(SKIP_1) | instid1(SALU_CYCLE_1)
	v_cmp_ge_u32_e32 vcc_lo, v9, v11
	s_or_b32 s0, vcc_lo, s0
	s_and_not1_b32 exec_lo, exec_lo, s0
	s_cbranch_execnz .LBB1460_3
; %bb.4:
	s_or_b32 exec_lo, exec_lo, s0
.LBB1460_5:
	s_delay_alu instid0(SALU_CYCLE_1)
	s_or_b32 exec_lo, exec_lo, s4
	v_add_nc_u32_e32 v0, v9, v0
	s_wait_kmcnt 0x0
	global_store_b32 v8, v0, s[2:3] scale_offset
.LBB1460_6:
	s_endpgm
	.section	.rodata,"a",@progbits
	.p2align	6, 0x0
	.amdhsa_kernel _ZN7rocprim17ROCPRIM_400000_NS6detail17trampoline_kernelINS0_14default_configENS1_38merge_sort_block_merge_config_selectorIdNS0_10empty_typeEEEZZNS1_27merge_sort_block_merge_implIS3_PdPS5_jNS1_19radix_merge_compareILb1ELb0EdNS0_19identity_decomposerEEEEE10hipError_tT0_T1_T2_jT3_P12ihipStream_tbPNSt15iterator_traitsISE_E10value_typeEPNSK_ISF_E10value_typeEPSG_NS1_7vsmem_tEENKUlT_SE_SF_SG_E_clIS8_S8_S9_S9_EESD_ST_SE_SF_SG_EUlST_E_NS1_11comp_targetILNS1_3genE0ELNS1_11target_archE4294967295ELNS1_3gpuE0ELNS1_3repE0EEENS1_48merge_mergepath_partition_config_static_selectorELNS0_4arch9wavefront6targetE0EEEvSF_
		.amdhsa_group_segment_fixed_size 0
		.amdhsa_private_segment_fixed_size 0
		.amdhsa_kernarg_size 40
		.amdhsa_user_sgpr_count 2
		.amdhsa_user_sgpr_dispatch_ptr 0
		.amdhsa_user_sgpr_queue_ptr 0
		.amdhsa_user_sgpr_kernarg_segment_ptr 1
		.amdhsa_user_sgpr_dispatch_id 0
		.amdhsa_user_sgpr_kernarg_preload_length 0
		.amdhsa_user_sgpr_kernarg_preload_offset 0
		.amdhsa_user_sgpr_private_segment_size 0
		.amdhsa_wavefront_size32 1
		.amdhsa_uses_dynamic_stack 0
		.amdhsa_enable_private_segment 0
		.amdhsa_system_sgpr_workgroup_id_x 1
		.amdhsa_system_sgpr_workgroup_id_y 0
		.amdhsa_system_sgpr_workgroup_id_z 0
		.amdhsa_system_sgpr_workgroup_info 0
		.amdhsa_system_vgpr_workitem_id 0
		.amdhsa_next_free_vgpr 20
		.amdhsa_next_free_sgpr 6
		.amdhsa_named_barrier_count 0
		.amdhsa_reserve_vcc 1
		.amdhsa_float_round_mode_32 0
		.amdhsa_float_round_mode_16_64 0
		.amdhsa_float_denorm_mode_32 3
		.amdhsa_float_denorm_mode_16_64 3
		.amdhsa_fp16_overflow 0
		.amdhsa_memory_ordered 1
		.amdhsa_forward_progress 1
		.amdhsa_inst_pref_size 4
		.amdhsa_round_robin_scheduling 0
		.amdhsa_exception_fp_ieee_invalid_op 0
		.amdhsa_exception_fp_denorm_src 0
		.amdhsa_exception_fp_ieee_div_zero 0
		.amdhsa_exception_fp_ieee_overflow 0
		.amdhsa_exception_fp_ieee_underflow 0
		.amdhsa_exception_fp_ieee_inexact 0
		.amdhsa_exception_int_div_zero 0
	.end_amdhsa_kernel
	.section	.text._ZN7rocprim17ROCPRIM_400000_NS6detail17trampoline_kernelINS0_14default_configENS1_38merge_sort_block_merge_config_selectorIdNS0_10empty_typeEEEZZNS1_27merge_sort_block_merge_implIS3_PdPS5_jNS1_19radix_merge_compareILb1ELb0EdNS0_19identity_decomposerEEEEE10hipError_tT0_T1_T2_jT3_P12ihipStream_tbPNSt15iterator_traitsISE_E10value_typeEPNSK_ISF_E10value_typeEPSG_NS1_7vsmem_tEENKUlT_SE_SF_SG_E_clIS8_S8_S9_S9_EESD_ST_SE_SF_SG_EUlST_E_NS1_11comp_targetILNS1_3genE0ELNS1_11target_archE4294967295ELNS1_3gpuE0ELNS1_3repE0EEENS1_48merge_mergepath_partition_config_static_selectorELNS0_4arch9wavefront6targetE0EEEvSF_,"axG",@progbits,_ZN7rocprim17ROCPRIM_400000_NS6detail17trampoline_kernelINS0_14default_configENS1_38merge_sort_block_merge_config_selectorIdNS0_10empty_typeEEEZZNS1_27merge_sort_block_merge_implIS3_PdPS5_jNS1_19radix_merge_compareILb1ELb0EdNS0_19identity_decomposerEEEEE10hipError_tT0_T1_T2_jT3_P12ihipStream_tbPNSt15iterator_traitsISE_E10value_typeEPNSK_ISF_E10value_typeEPSG_NS1_7vsmem_tEENKUlT_SE_SF_SG_E_clIS8_S8_S9_S9_EESD_ST_SE_SF_SG_EUlST_E_NS1_11comp_targetILNS1_3genE0ELNS1_11target_archE4294967295ELNS1_3gpuE0ELNS1_3repE0EEENS1_48merge_mergepath_partition_config_static_selectorELNS0_4arch9wavefront6targetE0EEEvSF_,comdat
.Lfunc_end1460:
	.size	_ZN7rocprim17ROCPRIM_400000_NS6detail17trampoline_kernelINS0_14default_configENS1_38merge_sort_block_merge_config_selectorIdNS0_10empty_typeEEEZZNS1_27merge_sort_block_merge_implIS3_PdPS5_jNS1_19radix_merge_compareILb1ELb0EdNS0_19identity_decomposerEEEEE10hipError_tT0_T1_T2_jT3_P12ihipStream_tbPNSt15iterator_traitsISE_E10value_typeEPNSK_ISF_E10value_typeEPSG_NS1_7vsmem_tEENKUlT_SE_SF_SG_E_clIS8_S8_S9_S9_EESD_ST_SE_SF_SG_EUlST_E_NS1_11comp_targetILNS1_3genE0ELNS1_11target_archE4294967295ELNS1_3gpuE0ELNS1_3repE0EEENS1_48merge_mergepath_partition_config_static_selectorELNS0_4arch9wavefront6targetE0EEEvSF_, .Lfunc_end1460-_ZN7rocprim17ROCPRIM_400000_NS6detail17trampoline_kernelINS0_14default_configENS1_38merge_sort_block_merge_config_selectorIdNS0_10empty_typeEEEZZNS1_27merge_sort_block_merge_implIS3_PdPS5_jNS1_19radix_merge_compareILb1ELb0EdNS0_19identity_decomposerEEEEE10hipError_tT0_T1_T2_jT3_P12ihipStream_tbPNSt15iterator_traitsISE_E10value_typeEPNSK_ISF_E10value_typeEPSG_NS1_7vsmem_tEENKUlT_SE_SF_SG_E_clIS8_S8_S9_S9_EESD_ST_SE_SF_SG_EUlST_E_NS1_11comp_targetILNS1_3genE0ELNS1_11target_archE4294967295ELNS1_3gpuE0ELNS1_3repE0EEENS1_48merge_mergepath_partition_config_static_selectorELNS0_4arch9wavefront6targetE0EEEvSF_
                                        ; -- End function
	.set _ZN7rocprim17ROCPRIM_400000_NS6detail17trampoline_kernelINS0_14default_configENS1_38merge_sort_block_merge_config_selectorIdNS0_10empty_typeEEEZZNS1_27merge_sort_block_merge_implIS3_PdPS5_jNS1_19radix_merge_compareILb1ELb0EdNS0_19identity_decomposerEEEEE10hipError_tT0_T1_T2_jT3_P12ihipStream_tbPNSt15iterator_traitsISE_E10value_typeEPNSK_ISF_E10value_typeEPSG_NS1_7vsmem_tEENKUlT_SE_SF_SG_E_clIS8_S8_S9_S9_EESD_ST_SE_SF_SG_EUlST_E_NS1_11comp_targetILNS1_3genE0ELNS1_11target_archE4294967295ELNS1_3gpuE0ELNS1_3repE0EEENS1_48merge_mergepath_partition_config_static_selectorELNS0_4arch9wavefront6targetE0EEEvSF_.num_vgpr, 20
	.set _ZN7rocprim17ROCPRIM_400000_NS6detail17trampoline_kernelINS0_14default_configENS1_38merge_sort_block_merge_config_selectorIdNS0_10empty_typeEEEZZNS1_27merge_sort_block_merge_implIS3_PdPS5_jNS1_19radix_merge_compareILb1ELb0EdNS0_19identity_decomposerEEEEE10hipError_tT0_T1_T2_jT3_P12ihipStream_tbPNSt15iterator_traitsISE_E10value_typeEPNSK_ISF_E10value_typeEPSG_NS1_7vsmem_tEENKUlT_SE_SF_SG_E_clIS8_S8_S9_S9_EESD_ST_SE_SF_SG_EUlST_E_NS1_11comp_targetILNS1_3genE0ELNS1_11target_archE4294967295ELNS1_3gpuE0ELNS1_3repE0EEENS1_48merge_mergepath_partition_config_static_selectorELNS0_4arch9wavefront6targetE0EEEvSF_.num_agpr, 0
	.set _ZN7rocprim17ROCPRIM_400000_NS6detail17trampoline_kernelINS0_14default_configENS1_38merge_sort_block_merge_config_selectorIdNS0_10empty_typeEEEZZNS1_27merge_sort_block_merge_implIS3_PdPS5_jNS1_19radix_merge_compareILb1ELb0EdNS0_19identity_decomposerEEEEE10hipError_tT0_T1_T2_jT3_P12ihipStream_tbPNSt15iterator_traitsISE_E10value_typeEPNSK_ISF_E10value_typeEPSG_NS1_7vsmem_tEENKUlT_SE_SF_SG_E_clIS8_S8_S9_S9_EESD_ST_SE_SF_SG_EUlST_E_NS1_11comp_targetILNS1_3genE0ELNS1_11target_archE4294967295ELNS1_3gpuE0ELNS1_3repE0EEENS1_48merge_mergepath_partition_config_static_selectorELNS0_4arch9wavefront6targetE0EEEvSF_.numbered_sgpr, 6
	.set _ZN7rocprim17ROCPRIM_400000_NS6detail17trampoline_kernelINS0_14default_configENS1_38merge_sort_block_merge_config_selectorIdNS0_10empty_typeEEEZZNS1_27merge_sort_block_merge_implIS3_PdPS5_jNS1_19radix_merge_compareILb1ELb0EdNS0_19identity_decomposerEEEEE10hipError_tT0_T1_T2_jT3_P12ihipStream_tbPNSt15iterator_traitsISE_E10value_typeEPNSK_ISF_E10value_typeEPSG_NS1_7vsmem_tEENKUlT_SE_SF_SG_E_clIS8_S8_S9_S9_EESD_ST_SE_SF_SG_EUlST_E_NS1_11comp_targetILNS1_3genE0ELNS1_11target_archE4294967295ELNS1_3gpuE0ELNS1_3repE0EEENS1_48merge_mergepath_partition_config_static_selectorELNS0_4arch9wavefront6targetE0EEEvSF_.num_named_barrier, 0
	.set _ZN7rocprim17ROCPRIM_400000_NS6detail17trampoline_kernelINS0_14default_configENS1_38merge_sort_block_merge_config_selectorIdNS0_10empty_typeEEEZZNS1_27merge_sort_block_merge_implIS3_PdPS5_jNS1_19radix_merge_compareILb1ELb0EdNS0_19identity_decomposerEEEEE10hipError_tT0_T1_T2_jT3_P12ihipStream_tbPNSt15iterator_traitsISE_E10value_typeEPNSK_ISF_E10value_typeEPSG_NS1_7vsmem_tEENKUlT_SE_SF_SG_E_clIS8_S8_S9_S9_EESD_ST_SE_SF_SG_EUlST_E_NS1_11comp_targetILNS1_3genE0ELNS1_11target_archE4294967295ELNS1_3gpuE0ELNS1_3repE0EEENS1_48merge_mergepath_partition_config_static_selectorELNS0_4arch9wavefront6targetE0EEEvSF_.private_seg_size, 0
	.set _ZN7rocprim17ROCPRIM_400000_NS6detail17trampoline_kernelINS0_14default_configENS1_38merge_sort_block_merge_config_selectorIdNS0_10empty_typeEEEZZNS1_27merge_sort_block_merge_implIS3_PdPS5_jNS1_19radix_merge_compareILb1ELb0EdNS0_19identity_decomposerEEEEE10hipError_tT0_T1_T2_jT3_P12ihipStream_tbPNSt15iterator_traitsISE_E10value_typeEPNSK_ISF_E10value_typeEPSG_NS1_7vsmem_tEENKUlT_SE_SF_SG_E_clIS8_S8_S9_S9_EESD_ST_SE_SF_SG_EUlST_E_NS1_11comp_targetILNS1_3genE0ELNS1_11target_archE4294967295ELNS1_3gpuE0ELNS1_3repE0EEENS1_48merge_mergepath_partition_config_static_selectorELNS0_4arch9wavefront6targetE0EEEvSF_.uses_vcc, 1
	.set _ZN7rocprim17ROCPRIM_400000_NS6detail17trampoline_kernelINS0_14default_configENS1_38merge_sort_block_merge_config_selectorIdNS0_10empty_typeEEEZZNS1_27merge_sort_block_merge_implIS3_PdPS5_jNS1_19radix_merge_compareILb1ELb0EdNS0_19identity_decomposerEEEEE10hipError_tT0_T1_T2_jT3_P12ihipStream_tbPNSt15iterator_traitsISE_E10value_typeEPNSK_ISF_E10value_typeEPSG_NS1_7vsmem_tEENKUlT_SE_SF_SG_E_clIS8_S8_S9_S9_EESD_ST_SE_SF_SG_EUlST_E_NS1_11comp_targetILNS1_3genE0ELNS1_11target_archE4294967295ELNS1_3gpuE0ELNS1_3repE0EEENS1_48merge_mergepath_partition_config_static_selectorELNS0_4arch9wavefront6targetE0EEEvSF_.uses_flat_scratch, 0
	.set _ZN7rocprim17ROCPRIM_400000_NS6detail17trampoline_kernelINS0_14default_configENS1_38merge_sort_block_merge_config_selectorIdNS0_10empty_typeEEEZZNS1_27merge_sort_block_merge_implIS3_PdPS5_jNS1_19radix_merge_compareILb1ELb0EdNS0_19identity_decomposerEEEEE10hipError_tT0_T1_T2_jT3_P12ihipStream_tbPNSt15iterator_traitsISE_E10value_typeEPNSK_ISF_E10value_typeEPSG_NS1_7vsmem_tEENKUlT_SE_SF_SG_E_clIS8_S8_S9_S9_EESD_ST_SE_SF_SG_EUlST_E_NS1_11comp_targetILNS1_3genE0ELNS1_11target_archE4294967295ELNS1_3gpuE0ELNS1_3repE0EEENS1_48merge_mergepath_partition_config_static_selectorELNS0_4arch9wavefront6targetE0EEEvSF_.has_dyn_sized_stack, 0
	.set _ZN7rocprim17ROCPRIM_400000_NS6detail17trampoline_kernelINS0_14default_configENS1_38merge_sort_block_merge_config_selectorIdNS0_10empty_typeEEEZZNS1_27merge_sort_block_merge_implIS3_PdPS5_jNS1_19radix_merge_compareILb1ELb0EdNS0_19identity_decomposerEEEEE10hipError_tT0_T1_T2_jT3_P12ihipStream_tbPNSt15iterator_traitsISE_E10value_typeEPNSK_ISF_E10value_typeEPSG_NS1_7vsmem_tEENKUlT_SE_SF_SG_E_clIS8_S8_S9_S9_EESD_ST_SE_SF_SG_EUlST_E_NS1_11comp_targetILNS1_3genE0ELNS1_11target_archE4294967295ELNS1_3gpuE0ELNS1_3repE0EEENS1_48merge_mergepath_partition_config_static_selectorELNS0_4arch9wavefront6targetE0EEEvSF_.has_recursion, 0
	.set _ZN7rocprim17ROCPRIM_400000_NS6detail17trampoline_kernelINS0_14default_configENS1_38merge_sort_block_merge_config_selectorIdNS0_10empty_typeEEEZZNS1_27merge_sort_block_merge_implIS3_PdPS5_jNS1_19radix_merge_compareILb1ELb0EdNS0_19identity_decomposerEEEEE10hipError_tT0_T1_T2_jT3_P12ihipStream_tbPNSt15iterator_traitsISE_E10value_typeEPNSK_ISF_E10value_typeEPSG_NS1_7vsmem_tEENKUlT_SE_SF_SG_E_clIS8_S8_S9_S9_EESD_ST_SE_SF_SG_EUlST_E_NS1_11comp_targetILNS1_3genE0ELNS1_11target_archE4294967295ELNS1_3gpuE0ELNS1_3repE0EEENS1_48merge_mergepath_partition_config_static_selectorELNS0_4arch9wavefront6targetE0EEEvSF_.has_indirect_call, 0
	.section	.AMDGPU.csdata,"",@progbits
; Kernel info:
; codeLenInByte = 504
; TotalNumSgprs: 8
; NumVgprs: 20
; ScratchSize: 0
; MemoryBound: 0
; FloatMode: 240
; IeeeMode: 1
; LDSByteSize: 0 bytes/workgroup (compile time only)
; SGPRBlocks: 0
; VGPRBlocks: 1
; NumSGPRsForWavesPerEU: 8
; NumVGPRsForWavesPerEU: 20
; NamedBarCnt: 0
; Occupancy: 16
; WaveLimiterHint : 0
; COMPUTE_PGM_RSRC2:SCRATCH_EN: 0
; COMPUTE_PGM_RSRC2:USER_SGPR: 2
; COMPUTE_PGM_RSRC2:TRAP_HANDLER: 0
; COMPUTE_PGM_RSRC2:TGID_X_EN: 1
; COMPUTE_PGM_RSRC2:TGID_Y_EN: 0
; COMPUTE_PGM_RSRC2:TGID_Z_EN: 0
; COMPUTE_PGM_RSRC2:TIDIG_COMP_CNT: 0
	.section	.text._ZN7rocprim17ROCPRIM_400000_NS6detail17trampoline_kernelINS0_14default_configENS1_38merge_sort_block_merge_config_selectorIdNS0_10empty_typeEEEZZNS1_27merge_sort_block_merge_implIS3_PdPS5_jNS1_19radix_merge_compareILb1ELb0EdNS0_19identity_decomposerEEEEE10hipError_tT0_T1_T2_jT3_P12ihipStream_tbPNSt15iterator_traitsISE_E10value_typeEPNSK_ISF_E10value_typeEPSG_NS1_7vsmem_tEENKUlT_SE_SF_SG_E_clIS8_S8_S9_S9_EESD_ST_SE_SF_SG_EUlST_E_NS1_11comp_targetILNS1_3genE10ELNS1_11target_archE1201ELNS1_3gpuE5ELNS1_3repE0EEENS1_48merge_mergepath_partition_config_static_selectorELNS0_4arch9wavefront6targetE0EEEvSF_,"axG",@progbits,_ZN7rocprim17ROCPRIM_400000_NS6detail17trampoline_kernelINS0_14default_configENS1_38merge_sort_block_merge_config_selectorIdNS0_10empty_typeEEEZZNS1_27merge_sort_block_merge_implIS3_PdPS5_jNS1_19radix_merge_compareILb1ELb0EdNS0_19identity_decomposerEEEEE10hipError_tT0_T1_T2_jT3_P12ihipStream_tbPNSt15iterator_traitsISE_E10value_typeEPNSK_ISF_E10value_typeEPSG_NS1_7vsmem_tEENKUlT_SE_SF_SG_E_clIS8_S8_S9_S9_EESD_ST_SE_SF_SG_EUlST_E_NS1_11comp_targetILNS1_3genE10ELNS1_11target_archE1201ELNS1_3gpuE5ELNS1_3repE0EEENS1_48merge_mergepath_partition_config_static_selectorELNS0_4arch9wavefront6targetE0EEEvSF_,comdat
	.protected	_ZN7rocprim17ROCPRIM_400000_NS6detail17trampoline_kernelINS0_14default_configENS1_38merge_sort_block_merge_config_selectorIdNS0_10empty_typeEEEZZNS1_27merge_sort_block_merge_implIS3_PdPS5_jNS1_19radix_merge_compareILb1ELb0EdNS0_19identity_decomposerEEEEE10hipError_tT0_T1_T2_jT3_P12ihipStream_tbPNSt15iterator_traitsISE_E10value_typeEPNSK_ISF_E10value_typeEPSG_NS1_7vsmem_tEENKUlT_SE_SF_SG_E_clIS8_S8_S9_S9_EESD_ST_SE_SF_SG_EUlST_E_NS1_11comp_targetILNS1_3genE10ELNS1_11target_archE1201ELNS1_3gpuE5ELNS1_3repE0EEENS1_48merge_mergepath_partition_config_static_selectorELNS0_4arch9wavefront6targetE0EEEvSF_ ; -- Begin function _ZN7rocprim17ROCPRIM_400000_NS6detail17trampoline_kernelINS0_14default_configENS1_38merge_sort_block_merge_config_selectorIdNS0_10empty_typeEEEZZNS1_27merge_sort_block_merge_implIS3_PdPS5_jNS1_19radix_merge_compareILb1ELb0EdNS0_19identity_decomposerEEEEE10hipError_tT0_T1_T2_jT3_P12ihipStream_tbPNSt15iterator_traitsISE_E10value_typeEPNSK_ISF_E10value_typeEPSG_NS1_7vsmem_tEENKUlT_SE_SF_SG_E_clIS8_S8_S9_S9_EESD_ST_SE_SF_SG_EUlST_E_NS1_11comp_targetILNS1_3genE10ELNS1_11target_archE1201ELNS1_3gpuE5ELNS1_3repE0EEENS1_48merge_mergepath_partition_config_static_selectorELNS0_4arch9wavefront6targetE0EEEvSF_
	.globl	_ZN7rocprim17ROCPRIM_400000_NS6detail17trampoline_kernelINS0_14default_configENS1_38merge_sort_block_merge_config_selectorIdNS0_10empty_typeEEEZZNS1_27merge_sort_block_merge_implIS3_PdPS5_jNS1_19radix_merge_compareILb1ELb0EdNS0_19identity_decomposerEEEEE10hipError_tT0_T1_T2_jT3_P12ihipStream_tbPNSt15iterator_traitsISE_E10value_typeEPNSK_ISF_E10value_typeEPSG_NS1_7vsmem_tEENKUlT_SE_SF_SG_E_clIS8_S8_S9_S9_EESD_ST_SE_SF_SG_EUlST_E_NS1_11comp_targetILNS1_3genE10ELNS1_11target_archE1201ELNS1_3gpuE5ELNS1_3repE0EEENS1_48merge_mergepath_partition_config_static_selectorELNS0_4arch9wavefront6targetE0EEEvSF_
	.p2align	8
	.type	_ZN7rocprim17ROCPRIM_400000_NS6detail17trampoline_kernelINS0_14default_configENS1_38merge_sort_block_merge_config_selectorIdNS0_10empty_typeEEEZZNS1_27merge_sort_block_merge_implIS3_PdPS5_jNS1_19radix_merge_compareILb1ELb0EdNS0_19identity_decomposerEEEEE10hipError_tT0_T1_T2_jT3_P12ihipStream_tbPNSt15iterator_traitsISE_E10value_typeEPNSK_ISF_E10value_typeEPSG_NS1_7vsmem_tEENKUlT_SE_SF_SG_E_clIS8_S8_S9_S9_EESD_ST_SE_SF_SG_EUlST_E_NS1_11comp_targetILNS1_3genE10ELNS1_11target_archE1201ELNS1_3gpuE5ELNS1_3repE0EEENS1_48merge_mergepath_partition_config_static_selectorELNS0_4arch9wavefront6targetE0EEEvSF_,@function
_ZN7rocprim17ROCPRIM_400000_NS6detail17trampoline_kernelINS0_14default_configENS1_38merge_sort_block_merge_config_selectorIdNS0_10empty_typeEEEZZNS1_27merge_sort_block_merge_implIS3_PdPS5_jNS1_19radix_merge_compareILb1ELb0EdNS0_19identity_decomposerEEEEE10hipError_tT0_T1_T2_jT3_P12ihipStream_tbPNSt15iterator_traitsISE_E10value_typeEPNSK_ISF_E10value_typeEPSG_NS1_7vsmem_tEENKUlT_SE_SF_SG_E_clIS8_S8_S9_S9_EESD_ST_SE_SF_SG_EUlST_E_NS1_11comp_targetILNS1_3genE10ELNS1_11target_archE1201ELNS1_3gpuE5ELNS1_3repE0EEENS1_48merge_mergepath_partition_config_static_selectorELNS0_4arch9wavefront6targetE0EEEvSF_: ; @_ZN7rocprim17ROCPRIM_400000_NS6detail17trampoline_kernelINS0_14default_configENS1_38merge_sort_block_merge_config_selectorIdNS0_10empty_typeEEEZZNS1_27merge_sort_block_merge_implIS3_PdPS5_jNS1_19radix_merge_compareILb1ELb0EdNS0_19identity_decomposerEEEEE10hipError_tT0_T1_T2_jT3_P12ihipStream_tbPNSt15iterator_traitsISE_E10value_typeEPNSK_ISF_E10value_typeEPSG_NS1_7vsmem_tEENKUlT_SE_SF_SG_E_clIS8_S8_S9_S9_EESD_ST_SE_SF_SG_EUlST_E_NS1_11comp_targetILNS1_3genE10ELNS1_11target_archE1201ELNS1_3gpuE5ELNS1_3repE0EEENS1_48merge_mergepath_partition_config_static_selectorELNS0_4arch9wavefront6targetE0EEEvSF_
; %bb.0:
	.section	.rodata,"a",@progbits
	.p2align	6, 0x0
	.amdhsa_kernel _ZN7rocprim17ROCPRIM_400000_NS6detail17trampoline_kernelINS0_14default_configENS1_38merge_sort_block_merge_config_selectorIdNS0_10empty_typeEEEZZNS1_27merge_sort_block_merge_implIS3_PdPS5_jNS1_19radix_merge_compareILb1ELb0EdNS0_19identity_decomposerEEEEE10hipError_tT0_T1_T2_jT3_P12ihipStream_tbPNSt15iterator_traitsISE_E10value_typeEPNSK_ISF_E10value_typeEPSG_NS1_7vsmem_tEENKUlT_SE_SF_SG_E_clIS8_S8_S9_S9_EESD_ST_SE_SF_SG_EUlST_E_NS1_11comp_targetILNS1_3genE10ELNS1_11target_archE1201ELNS1_3gpuE5ELNS1_3repE0EEENS1_48merge_mergepath_partition_config_static_selectorELNS0_4arch9wavefront6targetE0EEEvSF_
		.amdhsa_group_segment_fixed_size 0
		.amdhsa_private_segment_fixed_size 0
		.amdhsa_kernarg_size 40
		.amdhsa_user_sgpr_count 2
		.amdhsa_user_sgpr_dispatch_ptr 0
		.amdhsa_user_sgpr_queue_ptr 0
		.amdhsa_user_sgpr_kernarg_segment_ptr 1
		.amdhsa_user_sgpr_dispatch_id 0
		.amdhsa_user_sgpr_kernarg_preload_length 0
		.amdhsa_user_sgpr_kernarg_preload_offset 0
		.amdhsa_user_sgpr_private_segment_size 0
		.amdhsa_wavefront_size32 1
		.amdhsa_uses_dynamic_stack 0
		.amdhsa_enable_private_segment 0
		.amdhsa_system_sgpr_workgroup_id_x 1
		.amdhsa_system_sgpr_workgroup_id_y 0
		.amdhsa_system_sgpr_workgroup_id_z 0
		.amdhsa_system_sgpr_workgroup_info 0
		.amdhsa_system_vgpr_workitem_id 0
		.amdhsa_next_free_vgpr 1
		.amdhsa_next_free_sgpr 1
		.amdhsa_named_barrier_count 0
		.amdhsa_reserve_vcc 0
		.amdhsa_float_round_mode_32 0
		.amdhsa_float_round_mode_16_64 0
		.amdhsa_float_denorm_mode_32 3
		.amdhsa_float_denorm_mode_16_64 3
		.amdhsa_fp16_overflow 0
		.amdhsa_memory_ordered 1
		.amdhsa_forward_progress 1
		.amdhsa_inst_pref_size 0
		.amdhsa_round_robin_scheduling 0
		.amdhsa_exception_fp_ieee_invalid_op 0
		.amdhsa_exception_fp_denorm_src 0
		.amdhsa_exception_fp_ieee_div_zero 0
		.amdhsa_exception_fp_ieee_overflow 0
		.amdhsa_exception_fp_ieee_underflow 0
		.amdhsa_exception_fp_ieee_inexact 0
		.amdhsa_exception_int_div_zero 0
	.end_amdhsa_kernel
	.section	.text._ZN7rocprim17ROCPRIM_400000_NS6detail17trampoline_kernelINS0_14default_configENS1_38merge_sort_block_merge_config_selectorIdNS0_10empty_typeEEEZZNS1_27merge_sort_block_merge_implIS3_PdPS5_jNS1_19radix_merge_compareILb1ELb0EdNS0_19identity_decomposerEEEEE10hipError_tT0_T1_T2_jT3_P12ihipStream_tbPNSt15iterator_traitsISE_E10value_typeEPNSK_ISF_E10value_typeEPSG_NS1_7vsmem_tEENKUlT_SE_SF_SG_E_clIS8_S8_S9_S9_EESD_ST_SE_SF_SG_EUlST_E_NS1_11comp_targetILNS1_3genE10ELNS1_11target_archE1201ELNS1_3gpuE5ELNS1_3repE0EEENS1_48merge_mergepath_partition_config_static_selectorELNS0_4arch9wavefront6targetE0EEEvSF_,"axG",@progbits,_ZN7rocprim17ROCPRIM_400000_NS6detail17trampoline_kernelINS0_14default_configENS1_38merge_sort_block_merge_config_selectorIdNS0_10empty_typeEEEZZNS1_27merge_sort_block_merge_implIS3_PdPS5_jNS1_19radix_merge_compareILb1ELb0EdNS0_19identity_decomposerEEEEE10hipError_tT0_T1_T2_jT3_P12ihipStream_tbPNSt15iterator_traitsISE_E10value_typeEPNSK_ISF_E10value_typeEPSG_NS1_7vsmem_tEENKUlT_SE_SF_SG_E_clIS8_S8_S9_S9_EESD_ST_SE_SF_SG_EUlST_E_NS1_11comp_targetILNS1_3genE10ELNS1_11target_archE1201ELNS1_3gpuE5ELNS1_3repE0EEENS1_48merge_mergepath_partition_config_static_selectorELNS0_4arch9wavefront6targetE0EEEvSF_,comdat
.Lfunc_end1461:
	.size	_ZN7rocprim17ROCPRIM_400000_NS6detail17trampoline_kernelINS0_14default_configENS1_38merge_sort_block_merge_config_selectorIdNS0_10empty_typeEEEZZNS1_27merge_sort_block_merge_implIS3_PdPS5_jNS1_19radix_merge_compareILb1ELb0EdNS0_19identity_decomposerEEEEE10hipError_tT0_T1_T2_jT3_P12ihipStream_tbPNSt15iterator_traitsISE_E10value_typeEPNSK_ISF_E10value_typeEPSG_NS1_7vsmem_tEENKUlT_SE_SF_SG_E_clIS8_S8_S9_S9_EESD_ST_SE_SF_SG_EUlST_E_NS1_11comp_targetILNS1_3genE10ELNS1_11target_archE1201ELNS1_3gpuE5ELNS1_3repE0EEENS1_48merge_mergepath_partition_config_static_selectorELNS0_4arch9wavefront6targetE0EEEvSF_, .Lfunc_end1461-_ZN7rocprim17ROCPRIM_400000_NS6detail17trampoline_kernelINS0_14default_configENS1_38merge_sort_block_merge_config_selectorIdNS0_10empty_typeEEEZZNS1_27merge_sort_block_merge_implIS3_PdPS5_jNS1_19radix_merge_compareILb1ELb0EdNS0_19identity_decomposerEEEEE10hipError_tT0_T1_T2_jT3_P12ihipStream_tbPNSt15iterator_traitsISE_E10value_typeEPNSK_ISF_E10value_typeEPSG_NS1_7vsmem_tEENKUlT_SE_SF_SG_E_clIS8_S8_S9_S9_EESD_ST_SE_SF_SG_EUlST_E_NS1_11comp_targetILNS1_3genE10ELNS1_11target_archE1201ELNS1_3gpuE5ELNS1_3repE0EEENS1_48merge_mergepath_partition_config_static_selectorELNS0_4arch9wavefront6targetE0EEEvSF_
                                        ; -- End function
	.set _ZN7rocprim17ROCPRIM_400000_NS6detail17trampoline_kernelINS0_14default_configENS1_38merge_sort_block_merge_config_selectorIdNS0_10empty_typeEEEZZNS1_27merge_sort_block_merge_implIS3_PdPS5_jNS1_19radix_merge_compareILb1ELb0EdNS0_19identity_decomposerEEEEE10hipError_tT0_T1_T2_jT3_P12ihipStream_tbPNSt15iterator_traitsISE_E10value_typeEPNSK_ISF_E10value_typeEPSG_NS1_7vsmem_tEENKUlT_SE_SF_SG_E_clIS8_S8_S9_S9_EESD_ST_SE_SF_SG_EUlST_E_NS1_11comp_targetILNS1_3genE10ELNS1_11target_archE1201ELNS1_3gpuE5ELNS1_3repE0EEENS1_48merge_mergepath_partition_config_static_selectorELNS0_4arch9wavefront6targetE0EEEvSF_.num_vgpr, 0
	.set _ZN7rocprim17ROCPRIM_400000_NS6detail17trampoline_kernelINS0_14default_configENS1_38merge_sort_block_merge_config_selectorIdNS0_10empty_typeEEEZZNS1_27merge_sort_block_merge_implIS3_PdPS5_jNS1_19radix_merge_compareILb1ELb0EdNS0_19identity_decomposerEEEEE10hipError_tT0_T1_T2_jT3_P12ihipStream_tbPNSt15iterator_traitsISE_E10value_typeEPNSK_ISF_E10value_typeEPSG_NS1_7vsmem_tEENKUlT_SE_SF_SG_E_clIS8_S8_S9_S9_EESD_ST_SE_SF_SG_EUlST_E_NS1_11comp_targetILNS1_3genE10ELNS1_11target_archE1201ELNS1_3gpuE5ELNS1_3repE0EEENS1_48merge_mergepath_partition_config_static_selectorELNS0_4arch9wavefront6targetE0EEEvSF_.num_agpr, 0
	.set _ZN7rocprim17ROCPRIM_400000_NS6detail17trampoline_kernelINS0_14default_configENS1_38merge_sort_block_merge_config_selectorIdNS0_10empty_typeEEEZZNS1_27merge_sort_block_merge_implIS3_PdPS5_jNS1_19radix_merge_compareILb1ELb0EdNS0_19identity_decomposerEEEEE10hipError_tT0_T1_T2_jT3_P12ihipStream_tbPNSt15iterator_traitsISE_E10value_typeEPNSK_ISF_E10value_typeEPSG_NS1_7vsmem_tEENKUlT_SE_SF_SG_E_clIS8_S8_S9_S9_EESD_ST_SE_SF_SG_EUlST_E_NS1_11comp_targetILNS1_3genE10ELNS1_11target_archE1201ELNS1_3gpuE5ELNS1_3repE0EEENS1_48merge_mergepath_partition_config_static_selectorELNS0_4arch9wavefront6targetE0EEEvSF_.numbered_sgpr, 0
	.set _ZN7rocprim17ROCPRIM_400000_NS6detail17trampoline_kernelINS0_14default_configENS1_38merge_sort_block_merge_config_selectorIdNS0_10empty_typeEEEZZNS1_27merge_sort_block_merge_implIS3_PdPS5_jNS1_19radix_merge_compareILb1ELb0EdNS0_19identity_decomposerEEEEE10hipError_tT0_T1_T2_jT3_P12ihipStream_tbPNSt15iterator_traitsISE_E10value_typeEPNSK_ISF_E10value_typeEPSG_NS1_7vsmem_tEENKUlT_SE_SF_SG_E_clIS8_S8_S9_S9_EESD_ST_SE_SF_SG_EUlST_E_NS1_11comp_targetILNS1_3genE10ELNS1_11target_archE1201ELNS1_3gpuE5ELNS1_3repE0EEENS1_48merge_mergepath_partition_config_static_selectorELNS0_4arch9wavefront6targetE0EEEvSF_.num_named_barrier, 0
	.set _ZN7rocprim17ROCPRIM_400000_NS6detail17trampoline_kernelINS0_14default_configENS1_38merge_sort_block_merge_config_selectorIdNS0_10empty_typeEEEZZNS1_27merge_sort_block_merge_implIS3_PdPS5_jNS1_19radix_merge_compareILb1ELb0EdNS0_19identity_decomposerEEEEE10hipError_tT0_T1_T2_jT3_P12ihipStream_tbPNSt15iterator_traitsISE_E10value_typeEPNSK_ISF_E10value_typeEPSG_NS1_7vsmem_tEENKUlT_SE_SF_SG_E_clIS8_S8_S9_S9_EESD_ST_SE_SF_SG_EUlST_E_NS1_11comp_targetILNS1_3genE10ELNS1_11target_archE1201ELNS1_3gpuE5ELNS1_3repE0EEENS1_48merge_mergepath_partition_config_static_selectorELNS0_4arch9wavefront6targetE0EEEvSF_.private_seg_size, 0
	.set _ZN7rocprim17ROCPRIM_400000_NS6detail17trampoline_kernelINS0_14default_configENS1_38merge_sort_block_merge_config_selectorIdNS0_10empty_typeEEEZZNS1_27merge_sort_block_merge_implIS3_PdPS5_jNS1_19radix_merge_compareILb1ELb0EdNS0_19identity_decomposerEEEEE10hipError_tT0_T1_T2_jT3_P12ihipStream_tbPNSt15iterator_traitsISE_E10value_typeEPNSK_ISF_E10value_typeEPSG_NS1_7vsmem_tEENKUlT_SE_SF_SG_E_clIS8_S8_S9_S9_EESD_ST_SE_SF_SG_EUlST_E_NS1_11comp_targetILNS1_3genE10ELNS1_11target_archE1201ELNS1_3gpuE5ELNS1_3repE0EEENS1_48merge_mergepath_partition_config_static_selectorELNS0_4arch9wavefront6targetE0EEEvSF_.uses_vcc, 0
	.set _ZN7rocprim17ROCPRIM_400000_NS6detail17trampoline_kernelINS0_14default_configENS1_38merge_sort_block_merge_config_selectorIdNS0_10empty_typeEEEZZNS1_27merge_sort_block_merge_implIS3_PdPS5_jNS1_19radix_merge_compareILb1ELb0EdNS0_19identity_decomposerEEEEE10hipError_tT0_T1_T2_jT3_P12ihipStream_tbPNSt15iterator_traitsISE_E10value_typeEPNSK_ISF_E10value_typeEPSG_NS1_7vsmem_tEENKUlT_SE_SF_SG_E_clIS8_S8_S9_S9_EESD_ST_SE_SF_SG_EUlST_E_NS1_11comp_targetILNS1_3genE10ELNS1_11target_archE1201ELNS1_3gpuE5ELNS1_3repE0EEENS1_48merge_mergepath_partition_config_static_selectorELNS0_4arch9wavefront6targetE0EEEvSF_.uses_flat_scratch, 0
	.set _ZN7rocprim17ROCPRIM_400000_NS6detail17trampoline_kernelINS0_14default_configENS1_38merge_sort_block_merge_config_selectorIdNS0_10empty_typeEEEZZNS1_27merge_sort_block_merge_implIS3_PdPS5_jNS1_19radix_merge_compareILb1ELb0EdNS0_19identity_decomposerEEEEE10hipError_tT0_T1_T2_jT3_P12ihipStream_tbPNSt15iterator_traitsISE_E10value_typeEPNSK_ISF_E10value_typeEPSG_NS1_7vsmem_tEENKUlT_SE_SF_SG_E_clIS8_S8_S9_S9_EESD_ST_SE_SF_SG_EUlST_E_NS1_11comp_targetILNS1_3genE10ELNS1_11target_archE1201ELNS1_3gpuE5ELNS1_3repE0EEENS1_48merge_mergepath_partition_config_static_selectorELNS0_4arch9wavefront6targetE0EEEvSF_.has_dyn_sized_stack, 0
	.set _ZN7rocprim17ROCPRIM_400000_NS6detail17trampoline_kernelINS0_14default_configENS1_38merge_sort_block_merge_config_selectorIdNS0_10empty_typeEEEZZNS1_27merge_sort_block_merge_implIS3_PdPS5_jNS1_19radix_merge_compareILb1ELb0EdNS0_19identity_decomposerEEEEE10hipError_tT0_T1_T2_jT3_P12ihipStream_tbPNSt15iterator_traitsISE_E10value_typeEPNSK_ISF_E10value_typeEPSG_NS1_7vsmem_tEENKUlT_SE_SF_SG_E_clIS8_S8_S9_S9_EESD_ST_SE_SF_SG_EUlST_E_NS1_11comp_targetILNS1_3genE10ELNS1_11target_archE1201ELNS1_3gpuE5ELNS1_3repE0EEENS1_48merge_mergepath_partition_config_static_selectorELNS0_4arch9wavefront6targetE0EEEvSF_.has_recursion, 0
	.set _ZN7rocprim17ROCPRIM_400000_NS6detail17trampoline_kernelINS0_14default_configENS1_38merge_sort_block_merge_config_selectorIdNS0_10empty_typeEEEZZNS1_27merge_sort_block_merge_implIS3_PdPS5_jNS1_19radix_merge_compareILb1ELb0EdNS0_19identity_decomposerEEEEE10hipError_tT0_T1_T2_jT3_P12ihipStream_tbPNSt15iterator_traitsISE_E10value_typeEPNSK_ISF_E10value_typeEPSG_NS1_7vsmem_tEENKUlT_SE_SF_SG_E_clIS8_S8_S9_S9_EESD_ST_SE_SF_SG_EUlST_E_NS1_11comp_targetILNS1_3genE10ELNS1_11target_archE1201ELNS1_3gpuE5ELNS1_3repE0EEENS1_48merge_mergepath_partition_config_static_selectorELNS0_4arch9wavefront6targetE0EEEvSF_.has_indirect_call, 0
	.section	.AMDGPU.csdata,"",@progbits
; Kernel info:
; codeLenInByte = 0
; TotalNumSgprs: 0
; NumVgprs: 0
; ScratchSize: 0
; MemoryBound: 0
; FloatMode: 240
; IeeeMode: 1
; LDSByteSize: 0 bytes/workgroup (compile time only)
; SGPRBlocks: 0
; VGPRBlocks: 0
; NumSGPRsForWavesPerEU: 1
; NumVGPRsForWavesPerEU: 1
; NamedBarCnt: 0
; Occupancy: 16
; WaveLimiterHint : 0
; COMPUTE_PGM_RSRC2:SCRATCH_EN: 0
; COMPUTE_PGM_RSRC2:USER_SGPR: 2
; COMPUTE_PGM_RSRC2:TRAP_HANDLER: 0
; COMPUTE_PGM_RSRC2:TGID_X_EN: 1
; COMPUTE_PGM_RSRC2:TGID_Y_EN: 0
; COMPUTE_PGM_RSRC2:TGID_Z_EN: 0
; COMPUTE_PGM_RSRC2:TIDIG_COMP_CNT: 0
	.section	.text._ZN7rocprim17ROCPRIM_400000_NS6detail17trampoline_kernelINS0_14default_configENS1_38merge_sort_block_merge_config_selectorIdNS0_10empty_typeEEEZZNS1_27merge_sort_block_merge_implIS3_PdPS5_jNS1_19radix_merge_compareILb1ELb0EdNS0_19identity_decomposerEEEEE10hipError_tT0_T1_T2_jT3_P12ihipStream_tbPNSt15iterator_traitsISE_E10value_typeEPNSK_ISF_E10value_typeEPSG_NS1_7vsmem_tEENKUlT_SE_SF_SG_E_clIS8_S8_S9_S9_EESD_ST_SE_SF_SG_EUlST_E_NS1_11comp_targetILNS1_3genE5ELNS1_11target_archE942ELNS1_3gpuE9ELNS1_3repE0EEENS1_48merge_mergepath_partition_config_static_selectorELNS0_4arch9wavefront6targetE0EEEvSF_,"axG",@progbits,_ZN7rocprim17ROCPRIM_400000_NS6detail17trampoline_kernelINS0_14default_configENS1_38merge_sort_block_merge_config_selectorIdNS0_10empty_typeEEEZZNS1_27merge_sort_block_merge_implIS3_PdPS5_jNS1_19radix_merge_compareILb1ELb0EdNS0_19identity_decomposerEEEEE10hipError_tT0_T1_T2_jT3_P12ihipStream_tbPNSt15iterator_traitsISE_E10value_typeEPNSK_ISF_E10value_typeEPSG_NS1_7vsmem_tEENKUlT_SE_SF_SG_E_clIS8_S8_S9_S9_EESD_ST_SE_SF_SG_EUlST_E_NS1_11comp_targetILNS1_3genE5ELNS1_11target_archE942ELNS1_3gpuE9ELNS1_3repE0EEENS1_48merge_mergepath_partition_config_static_selectorELNS0_4arch9wavefront6targetE0EEEvSF_,comdat
	.protected	_ZN7rocprim17ROCPRIM_400000_NS6detail17trampoline_kernelINS0_14default_configENS1_38merge_sort_block_merge_config_selectorIdNS0_10empty_typeEEEZZNS1_27merge_sort_block_merge_implIS3_PdPS5_jNS1_19radix_merge_compareILb1ELb0EdNS0_19identity_decomposerEEEEE10hipError_tT0_T1_T2_jT3_P12ihipStream_tbPNSt15iterator_traitsISE_E10value_typeEPNSK_ISF_E10value_typeEPSG_NS1_7vsmem_tEENKUlT_SE_SF_SG_E_clIS8_S8_S9_S9_EESD_ST_SE_SF_SG_EUlST_E_NS1_11comp_targetILNS1_3genE5ELNS1_11target_archE942ELNS1_3gpuE9ELNS1_3repE0EEENS1_48merge_mergepath_partition_config_static_selectorELNS0_4arch9wavefront6targetE0EEEvSF_ ; -- Begin function _ZN7rocprim17ROCPRIM_400000_NS6detail17trampoline_kernelINS0_14default_configENS1_38merge_sort_block_merge_config_selectorIdNS0_10empty_typeEEEZZNS1_27merge_sort_block_merge_implIS3_PdPS5_jNS1_19radix_merge_compareILb1ELb0EdNS0_19identity_decomposerEEEEE10hipError_tT0_T1_T2_jT3_P12ihipStream_tbPNSt15iterator_traitsISE_E10value_typeEPNSK_ISF_E10value_typeEPSG_NS1_7vsmem_tEENKUlT_SE_SF_SG_E_clIS8_S8_S9_S9_EESD_ST_SE_SF_SG_EUlST_E_NS1_11comp_targetILNS1_3genE5ELNS1_11target_archE942ELNS1_3gpuE9ELNS1_3repE0EEENS1_48merge_mergepath_partition_config_static_selectorELNS0_4arch9wavefront6targetE0EEEvSF_
	.globl	_ZN7rocprim17ROCPRIM_400000_NS6detail17trampoline_kernelINS0_14default_configENS1_38merge_sort_block_merge_config_selectorIdNS0_10empty_typeEEEZZNS1_27merge_sort_block_merge_implIS3_PdPS5_jNS1_19radix_merge_compareILb1ELb0EdNS0_19identity_decomposerEEEEE10hipError_tT0_T1_T2_jT3_P12ihipStream_tbPNSt15iterator_traitsISE_E10value_typeEPNSK_ISF_E10value_typeEPSG_NS1_7vsmem_tEENKUlT_SE_SF_SG_E_clIS8_S8_S9_S9_EESD_ST_SE_SF_SG_EUlST_E_NS1_11comp_targetILNS1_3genE5ELNS1_11target_archE942ELNS1_3gpuE9ELNS1_3repE0EEENS1_48merge_mergepath_partition_config_static_selectorELNS0_4arch9wavefront6targetE0EEEvSF_
	.p2align	8
	.type	_ZN7rocprim17ROCPRIM_400000_NS6detail17trampoline_kernelINS0_14default_configENS1_38merge_sort_block_merge_config_selectorIdNS0_10empty_typeEEEZZNS1_27merge_sort_block_merge_implIS3_PdPS5_jNS1_19radix_merge_compareILb1ELb0EdNS0_19identity_decomposerEEEEE10hipError_tT0_T1_T2_jT3_P12ihipStream_tbPNSt15iterator_traitsISE_E10value_typeEPNSK_ISF_E10value_typeEPSG_NS1_7vsmem_tEENKUlT_SE_SF_SG_E_clIS8_S8_S9_S9_EESD_ST_SE_SF_SG_EUlST_E_NS1_11comp_targetILNS1_3genE5ELNS1_11target_archE942ELNS1_3gpuE9ELNS1_3repE0EEENS1_48merge_mergepath_partition_config_static_selectorELNS0_4arch9wavefront6targetE0EEEvSF_,@function
_ZN7rocprim17ROCPRIM_400000_NS6detail17trampoline_kernelINS0_14default_configENS1_38merge_sort_block_merge_config_selectorIdNS0_10empty_typeEEEZZNS1_27merge_sort_block_merge_implIS3_PdPS5_jNS1_19radix_merge_compareILb1ELb0EdNS0_19identity_decomposerEEEEE10hipError_tT0_T1_T2_jT3_P12ihipStream_tbPNSt15iterator_traitsISE_E10value_typeEPNSK_ISF_E10value_typeEPSG_NS1_7vsmem_tEENKUlT_SE_SF_SG_E_clIS8_S8_S9_S9_EESD_ST_SE_SF_SG_EUlST_E_NS1_11comp_targetILNS1_3genE5ELNS1_11target_archE942ELNS1_3gpuE9ELNS1_3repE0EEENS1_48merge_mergepath_partition_config_static_selectorELNS0_4arch9wavefront6targetE0EEEvSF_: ; @_ZN7rocprim17ROCPRIM_400000_NS6detail17trampoline_kernelINS0_14default_configENS1_38merge_sort_block_merge_config_selectorIdNS0_10empty_typeEEEZZNS1_27merge_sort_block_merge_implIS3_PdPS5_jNS1_19radix_merge_compareILb1ELb0EdNS0_19identity_decomposerEEEEE10hipError_tT0_T1_T2_jT3_P12ihipStream_tbPNSt15iterator_traitsISE_E10value_typeEPNSK_ISF_E10value_typeEPSG_NS1_7vsmem_tEENKUlT_SE_SF_SG_E_clIS8_S8_S9_S9_EESD_ST_SE_SF_SG_EUlST_E_NS1_11comp_targetILNS1_3genE5ELNS1_11target_archE942ELNS1_3gpuE9ELNS1_3repE0EEENS1_48merge_mergepath_partition_config_static_selectorELNS0_4arch9wavefront6targetE0EEEvSF_
; %bb.0:
	.section	.rodata,"a",@progbits
	.p2align	6, 0x0
	.amdhsa_kernel _ZN7rocprim17ROCPRIM_400000_NS6detail17trampoline_kernelINS0_14default_configENS1_38merge_sort_block_merge_config_selectorIdNS0_10empty_typeEEEZZNS1_27merge_sort_block_merge_implIS3_PdPS5_jNS1_19radix_merge_compareILb1ELb0EdNS0_19identity_decomposerEEEEE10hipError_tT0_T1_T2_jT3_P12ihipStream_tbPNSt15iterator_traitsISE_E10value_typeEPNSK_ISF_E10value_typeEPSG_NS1_7vsmem_tEENKUlT_SE_SF_SG_E_clIS8_S8_S9_S9_EESD_ST_SE_SF_SG_EUlST_E_NS1_11comp_targetILNS1_3genE5ELNS1_11target_archE942ELNS1_3gpuE9ELNS1_3repE0EEENS1_48merge_mergepath_partition_config_static_selectorELNS0_4arch9wavefront6targetE0EEEvSF_
		.amdhsa_group_segment_fixed_size 0
		.amdhsa_private_segment_fixed_size 0
		.amdhsa_kernarg_size 40
		.amdhsa_user_sgpr_count 2
		.amdhsa_user_sgpr_dispatch_ptr 0
		.amdhsa_user_sgpr_queue_ptr 0
		.amdhsa_user_sgpr_kernarg_segment_ptr 1
		.amdhsa_user_sgpr_dispatch_id 0
		.amdhsa_user_sgpr_kernarg_preload_length 0
		.amdhsa_user_sgpr_kernarg_preload_offset 0
		.amdhsa_user_sgpr_private_segment_size 0
		.amdhsa_wavefront_size32 1
		.amdhsa_uses_dynamic_stack 0
		.amdhsa_enable_private_segment 0
		.amdhsa_system_sgpr_workgroup_id_x 1
		.amdhsa_system_sgpr_workgroup_id_y 0
		.amdhsa_system_sgpr_workgroup_id_z 0
		.amdhsa_system_sgpr_workgroup_info 0
		.amdhsa_system_vgpr_workitem_id 0
		.amdhsa_next_free_vgpr 1
		.amdhsa_next_free_sgpr 1
		.amdhsa_named_barrier_count 0
		.amdhsa_reserve_vcc 0
		.amdhsa_float_round_mode_32 0
		.amdhsa_float_round_mode_16_64 0
		.amdhsa_float_denorm_mode_32 3
		.amdhsa_float_denorm_mode_16_64 3
		.amdhsa_fp16_overflow 0
		.amdhsa_memory_ordered 1
		.amdhsa_forward_progress 1
		.amdhsa_inst_pref_size 0
		.amdhsa_round_robin_scheduling 0
		.amdhsa_exception_fp_ieee_invalid_op 0
		.amdhsa_exception_fp_denorm_src 0
		.amdhsa_exception_fp_ieee_div_zero 0
		.amdhsa_exception_fp_ieee_overflow 0
		.amdhsa_exception_fp_ieee_underflow 0
		.amdhsa_exception_fp_ieee_inexact 0
		.amdhsa_exception_int_div_zero 0
	.end_amdhsa_kernel
	.section	.text._ZN7rocprim17ROCPRIM_400000_NS6detail17trampoline_kernelINS0_14default_configENS1_38merge_sort_block_merge_config_selectorIdNS0_10empty_typeEEEZZNS1_27merge_sort_block_merge_implIS3_PdPS5_jNS1_19radix_merge_compareILb1ELb0EdNS0_19identity_decomposerEEEEE10hipError_tT0_T1_T2_jT3_P12ihipStream_tbPNSt15iterator_traitsISE_E10value_typeEPNSK_ISF_E10value_typeEPSG_NS1_7vsmem_tEENKUlT_SE_SF_SG_E_clIS8_S8_S9_S9_EESD_ST_SE_SF_SG_EUlST_E_NS1_11comp_targetILNS1_3genE5ELNS1_11target_archE942ELNS1_3gpuE9ELNS1_3repE0EEENS1_48merge_mergepath_partition_config_static_selectorELNS0_4arch9wavefront6targetE0EEEvSF_,"axG",@progbits,_ZN7rocprim17ROCPRIM_400000_NS6detail17trampoline_kernelINS0_14default_configENS1_38merge_sort_block_merge_config_selectorIdNS0_10empty_typeEEEZZNS1_27merge_sort_block_merge_implIS3_PdPS5_jNS1_19radix_merge_compareILb1ELb0EdNS0_19identity_decomposerEEEEE10hipError_tT0_T1_T2_jT3_P12ihipStream_tbPNSt15iterator_traitsISE_E10value_typeEPNSK_ISF_E10value_typeEPSG_NS1_7vsmem_tEENKUlT_SE_SF_SG_E_clIS8_S8_S9_S9_EESD_ST_SE_SF_SG_EUlST_E_NS1_11comp_targetILNS1_3genE5ELNS1_11target_archE942ELNS1_3gpuE9ELNS1_3repE0EEENS1_48merge_mergepath_partition_config_static_selectorELNS0_4arch9wavefront6targetE0EEEvSF_,comdat
.Lfunc_end1462:
	.size	_ZN7rocprim17ROCPRIM_400000_NS6detail17trampoline_kernelINS0_14default_configENS1_38merge_sort_block_merge_config_selectorIdNS0_10empty_typeEEEZZNS1_27merge_sort_block_merge_implIS3_PdPS5_jNS1_19radix_merge_compareILb1ELb0EdNS0_19identity_decomposerEEEEE10hipError_tT0_T1_T2_jT3_P12ihipStream_tbPNSt15iterator_traitsISE_E10value_typeEPNSK_ISF_E10value_typeEPSG_NS1_7vsmem_tEENKUlT_SE_SF_SG_E_clIS8_S8_S9_S9_EESD_ST_SE_SF_SG_EUlST_E_NS1_11comp_targetILNS1_3genE5ELNS1_11target_archE942ELNS1_3gpuE9ELNS1_3repE0EEENS1_48merge_mergepath_partition_config_static_selectorELNS0_4arch9wavefront6targetE0EEEvSF_, .Lfunc_end1462-_ZN7rocprim17ROCPRIM_400000_NS6detail17trampoline_kernelINS0_14default_configENS1_38merge_sort_block_merge_config_selectorIdNS0_10empty_typeEEEZZNS1_27merge_sort_block_merge_implIS3_PdPS5_jNS1_19radix_merge_compareILb1ELb0EdNS0_19identity_decomposerEEEEE10hipError_tT0_T1_T2_jT3_P12ihipStream_tbPNSt15iterator_traitsISE_E10value_typeEPNSK_ISF_E10value_typeEPSG_NS1_7vsmem_tEENKUlT_SE_SF_SG_E_clIS8_S8_S9_S9_EESD_ST_SE_SF_SG_EUlST_E_NS1_11comp_targetILNS1_3genE5ELNS1_11target_archE942ELNS1_3gpuE9ELNS1_3repE0EEENS1_48merge_mergepath_partition_config_static_selectorELNS0_4arch9wavefront6targetE0EEEvSF_
                                        ; -- End function
	.set _ZN7rocprim17ROCPRIM_400000_NS6detail17trampoline_kernelINS0_14default_configENS1_38merge_sort_block_merge_config_selectorIdNS0_10empty_typeEEEZZNS1_27merge_sort_block_merge_implIS3_PdPS5_jNS1_19radix_merge_compareILb1ELb0EdNS0_19identity_decomposerEEEEE10hipError_tT0_T1_T2_jT3_P12ihipStream_tbPNSt15iterator_traitsISE_E10value_typeEPNSK_ISF_E10value_typeEPSG_NS1_7vsmem_tEENKUlT_SE_SF_SG_E_clIS8_S8_S9_S9_EESD_ST_SE_SF_SG_EUlST_E_NS1_11comp_targetILNS1_3genE5ELNS1_11target_archE942ELNS1_3gpuE9ELNS1_3repE0EEENS1_48merge_mergepath_partition_config_static_selectorELNS0_4arch9wavefront6targetE0EEEvSF_.num_vgpr, 0
	.set _ZN7rocprim17ROCPRIM_400000_NS6detail17trampoline_kernelINS0_14default_configENS1_38merge_sort_block_merge_config_selectorIdNS0_10empty_typeEEEZZNS1_27merge_sort_block_merge_implIS3_PdPS5_jNS1_19radix_merge_compareILb1ELb0EdNS0_19identity_decomposerEEEEE10hipError_tT0_T1_T2_jT3_P12ihipStream_tbPNSt15iterator_traitsISE_E10value_typeEPNSK_ISF_E10value_typeEPSG_NS1_7vsmem_tEENKUlT_SE_SF_SG_E_clIS8_S8_S9_S9_EESD_ST_SE_SF_SG_EUlST_E_NS1_11comp_targetILNS1_3genE5ELNS1_11target_archE942ELNS1_3gpuE9ELNS1_3repE0EEENS1_48merge_mergepath_partition_config_static_selectorELNS0_4arch9wavefront6targetE0EEEvSF_.num_agpr, 0
	.set _ZN7rocprim17ROCPRIM_400000_NS6detail17trampoline_kernelINS0_14default_configENS1_38merge_sort_block_merge_config_selectorIdNS0_10empty_typeEEEZZNS1_27merge_sort_block_merge_implIS3_PdPS5_jNS1_19radix_merge_compareILb1ELb0EdNS0_19identity_decomposerEEEEE10hipError_tT0_T1_T2_jT3_P12ihipStream_tbPNSt15iterator_traitsISE_E10value_typeEPNSK_ISF_E10value_typeEPSG_NS1_7vsmem_tEENKUlT_SE_SF_SG_E_clIS8_S8_S9_S9_EESD_ST_SE_SF_SG_EUlST_E_NS1_11comp_targetILNS1_3genE5ELNS1_11target_archE942ELNS1_3gpuE9ELNS1_3repE0EEENS1_48merge_mergepath_partition_config_static_selectorELNS0_4arch9wavefront6targetE0EEEvSF_.numbered_sgpr, 0
	.set _ZN7rocprim17ROCPRIM_400000_NS6detail17trampoline_kernelINS0_14default_configENS1_38merge_sort_block_merge_config_selectorIdNS0_10empty_typeEEEZZNS1_27merge_sort_block_merge_implIS3_PdPS5_jNS1_19radix_merge_compareILb1ELb0EdNS0_19identity_decomposerEEEEE10hipError_tT0_T1_T2_jT3_P12ihipStream_tbPNSt15iterator_traitsISE_E10value_typeEPNSK_ISF_E10value_typeEPSG_NS1_7vsmem_tEENKUlT_SE_SF_SG_E_clIS8_S8_S9_S9_EESD_ST_SE_SF_SG_EUlST_E_NS1_11comp_targetILNS1_3genE5ELNS1_11target_archE942ELNS1_3gpuE9ELNS1_3repE0EEENS1_48merge_mergepath_partition_config_static_selectorELNS0_4arch9wavefront6targetE0EEEvSF_.num_named_barrier, 0
	.set _ZN7rocprim17ROCPRIM_400000_NS6detail17trampoline_kernelINS0_14default_configENS1_38merge_sort_block_merge_config_selectorIdNS0_10empty_typeEEEZZNS1_27merge_sort_block_merge_implIS3_PdPS5_jNS1_19radix_merge_compareILb1ELb0EdNS0_19identity_decomposerEEEEE10hipError_tT0_T1_T2_jT3_P12ihipStream_tbPNSt15iterator_traitsISE_E10value_typeEPNSK_ISF_E10value_typeEPSG_NS1_7vsmem_tEENKUlT_SE_SF_SG_E_clIS8_S8_S9_S9_EESD_ST_SE_SF_SG_EUlST_E_NS1_11comp_targetILNS1_3genE5ELNS1_11target_archE942ELNS1_3gpuE9ELNS1_3repE0EEENS1_48merge_mergepath_partition_config_static_selectorELNS0_4arch9wavefront6targetE0EEEvSF_.private_seg_size, 0
	.set _ZN7rocprim17ROCPRIM_400000_NS6detail17trampoline_kernelINS0_14default_configENS1_38merge_sort_block_merge_config_selectorIdNS0_10empty_typeEEEZZNS1_27merge_sort_block_merge_implIS3_PdPS5_jNS1_19radix_merge_compareILb1ELb0EdNS0_19identity_decomposerEEEEE10hipError_tT0_T1_T2_jT3_P12ihipStream_tbPNSt15iterator_traitsISE_E10value_typeEPNSK_ISF_E10value_typeEPSG_NS1_7vsmem_tEENKUlT_SE_SF_SG_E_clIS8_S8_S9_S9_EESD_ST_SE_SF_SG_EUlST_E_NS1_11comp_targetILNS1_3genE5ELNS1_11target_archE942ELNS1_3gpuE9ELNS1_3repE0EEENS1_48merge_mergepath_partition_config_static_selectorELNS0_4arch9wavefront6targetE0EEEvSF_.uses_vcc, 0
	.set _ZN7rocprim17ROCPRIM_400000_NS6detail17trampoline_kernelINS0_14default_configENS1_38merge_sort_block_merge_config_selectorIdNS0_10empty_typeEEEZZNS1_27merge_sort_block_merge_implIS3_PdPS5_jNS1_19radix_merge_compareILb1ELb0EdNS0_19identity_decomposerEEEEE10hipError_tT0_T1_T2_jT3_P12ihipStream_tbPNSt15iterator_traitsISE_E10value_typeEPNSK_ISF_E10value_typeEPSG_NS1_7vsmem_tEENKUlT_SE_SF_SG_E_clIS8_S8_S9_S9_EESD_ST_SE_SF_SG_EUlST_E_NS1_11comp_targetILNS1_3genE5ELNS1_11target_archE942ELNS1_3gpuE9ELNS1_3repE0EEENS1_48merge_mergepath_partition_config_static_selectorELNS0_4arch9wavefront6targetE0EEEvSF_.uses_flat_scratch, 0
	.set _ZN7rocprim17ROCPRIM_400000_NS6detail17trampoline_kernelINS0_14default_configENS1_38merge_sort_block_merge_config_selectorIdNS0_10empty_typeEEEZZNS1_27merge_sort_block_merge_implIS3_PdPS5_jNS1_19radix_merge_compareILb1ELb0EdNS0_19identity_decomposerEEEEE10hipError_tT0_T1_T2_jT3_P12ihipStream_tbPNSt15iterator_traitsISE_E10value_typeEPNSK_ISF_E10value_typeEPSG_NS1_7vsmem_tEENKUlT_SE_SF_SG_E_clIS8_S8_S9_S9_EESD_ST_SE_SF_SG_EUlST_E_NS1_11comp_targetILNS1_3genE5ELNS1_11target_archE942ELNS1_3gpuE9ELNS1_3repE0EEENS1_48merge_mergepath_partition_config_static_selectorELNS0_4arch9wavefront6targetE0EEEvSF_.has_dyn_sized_stack, 0
	.set _ZN7rocprim17ROCPRIM_400000_NS6detail17trampoline_kernelINS0_14default_configENS1_38merge_sort_block_merge_config_selectorIdNS0_10empty_typeEEEZZNS1_27merge_sort_block_merge_implIS3_PdPS5_jNS1_19radix_merge_compareILb1ELb0EdNS0_19identity_decomposerEEEEE10hipError_tT0_T1_T2_jT3_P12ihipStream_tbPNSt15iterator_traitsISE_E10value_typeEPNSK_ISF_E10value_typeEPSG_NS1_7vsmem_tEENKUlT_SE_SF_SG_E_clIS8_S8_S9_S9_EESD_ST_SE_SF_SG_EUlST_E_NS1_11comp_targetILNS1_3genE5ELNS1_11target_archE942ELNS1_3gpuE9ELNS1_3repE0EEENS1_48merge_mergepath_partition_config_static_selectorELNS0_4arch9wavefront6targetE0EEEvSF_.has_recursion, 0
	.set _ZN7rocprim17ROCPRIM_400000_NS6detail17trampoline_kernelINS0_14default_configENS1_38merge_sort_block_merge_config_selectorIdNS0_10empty_typeEEEZZNS1_27merge_sort_block_merge_implIS3_PdPS5_jNS1_19radix_merge_compareILb1ELb0EdNS0_19identity_decomposerEEEEE10hipError_tT0_T1_T2_jT3_P12ihipStream_tbPNSt15iterator_traitsISE_E10value_typeEPNSK_ISF_E10value_typeEPSG_NS1_7vsmem_tEENKUlT_SE_SF_SG_E_clIS8_S8_S9_S9_EESD_ST_SE_SF_SG_EUlST_E_NS1_11comp_targetILNS1_3genE5ELNS1_11target_archE942ELNS1_3gpuE9ELNS1_3repE0EEENS1_48merge_mergepath_partition_config_static_selectorELNS0_4arch9wavefront6targetE0EEEvSF_.has_indirect_call, 0
	.section	.AMDGPU.csdata,"",@progbits
; Kernel info:
; codeLenInByte = 0
; TotalNumSgprs: 0
; NumVgprs: 0
; ScratchSize: 0
; MemoryBound: 0
; FloatMode: 240
; IeeeMode: 1
; LDSByteSize: 0 bytes/workgroup (compile time only)
; SGPRBlocks: 0
; VGPRBlocks: 0
; NumSGPRsForWavesPerEU: 1
; NumVGPRsForWavesPerEU: 1
; NamedBarCnt: 0
; Occupancy: 16
; WaveLimiterHint : 0
; COMPUTE_PGM_RSRC2:SCRATCH_EN: 0
; COMPUTE_PGM_RSRC2:USER_SGPR: 2
; COMPUTE_PGM_RSRC2:TRAP_HANDLER: 0
; COMPUTE_PGM_RSRC2:TGID_X_EN: 1
; COMPUTE_PGM_RSRC2:TGID_Y_EN: 0
; COMPUTE_PGM_RSRC2:TGID_Z_EN: 0
; COMPUTE_PGM_RSRC2:TIDIG_COMP_CNT: 0
	.section	.text._ZN7rocprim17ROCPRIM_400000_NS6detail17trampoline_kernelINS0_14default_configENS1_38merge_sort_block_merge_config_selectorIdNS0_10empty_typeEEEZZNS1_27merge_sort_block_merge_implIS3_PdPS5_jNS1_19radix_merge_compareILb1ELb0EdNS0_19identity_decomposerEEEEE10hipError_tT0_T1_T2_jT3_P12ihipStream_tbPNSt15iterator_traitsISE_E10value_typeEPNSK_ISF_E10value_typeEPSG_NS1_7vsmem_tEENKUlT_SE_SF_SG_E_clIS8_S8_S9_S9_EESD_ST_SE_SF_SG_EUlST_E_NS1_11comp_targetILNS1_3genE4ELNS1_11target_archE910ELNS1_3gpuE8ELNS1_3repE0EEENS1_48merge_mergepath_partition_config_static_selectorELNS0_4arch9wavefront6targetE0EEEvSF_,"axG",@progbits,_ZN7rocprim17ROCPRIM_400000_NS6detail17trampoline_kernelINS0_14default_configENS1_38merge_sort_block_merge_config_selectorIdNS0_10empty_typeEEEZZNS1_27merge_sort_block_merge_implIS3_PdPS5_jNS1_19radix_merge_compareILb1ELb0EdNS0_19identity_decomposerEEEEE10hipError_tT0_T1_T2_jT3_P12ihipStream_tbPNSt15iterator_traitsISE_E10value_typeEPNSK_ISF_E10value_typeEPSG_NS1_7vsmem_tEENKUlT_SE_SF_SG_E_clIS8_S8_S9_S9_EESD_ST_SE_SF_SG_EUlST_E_NS1_11comp_targetILNS1_3genE4ELNS1_11target_archE910ELNS1_3gpuE8ELNS1_3repE0EEENS1_48merge_mergepath_partition_config_static_selectorELNS0_4arch9wavefront6targetE0EEEvSF_,comdat
	.protected	_ZN7rocprim17ROCPRIM_400000_NS6detail17trampoline_kernelINS0_14default_configENS1_38merge_sort_block_merge_config_selectorIdNS0_10empty_typeEEEZZNS1_27merge_sort_block_merge_implIS3_PdPS5_jNS1_19radix_merge_compareILb1ELb0EdNS0_19identity_decomposerEEEEE10hipError_tT0_T1_T2_jT3_P12ihipStream_tbPNSt15iterator_traitsISE_E10value_typeEPNSK_ISF_E10value_typeEPSG_NS1_7vsmem_tEENKUlT_SE_SF_SG_E_clIS8_S8_S9_S9_EESD_ST_SE_SF_SG_EUlST_E_NS1_11comp_targetILNS1_3genE4ELNS1_11target_archE910ELNS1_3gpuE8ELNS1_3repE0EEENS1_48merge_mergepath_partition_config_static_selectorELNS0_4arch9wavefront6targetE0EEEvSF_ ; -- Begin function _ZN7rocprim17ROCPRIM_400000_NS6detail17trampoline_kernelINS0_14default_configENS1_38merge_sort_block_merge_config_selectorIdNS0_10empty_typeEEEZZNS1_27merge_sort_block_merge_implIS3_PdPS5_jNS1_19radix_merge_compareILb1ELb0EdNS0_19identity_decomposerEEEEE10hipError_tT0_T1_T2_jT3_P12ihipStream_tbPNSt15iterator_traitsISE_E10value_typeEPNSK_ISF_E10value_typeEPSG_NS1_7vsmem_tEENKUlT_SE_SF_SG_E_clIS8_S8_S9_S9_EESD_ST_SE_SF_SG_EUlST_E_NS1_11comp_targetILNS1_3genE4ELNS1_11target_archE910ELNS1_3gpuE8ELNS1_3repE0EEENS1_48merge_mergepath_partition_config_static_selectorELNS0_4arch9wavefront6targetE0EEEvSF_
	.globl	_ZN7rocprim17ROCPRIM_400000_NS6detail17trampoline_kernelINS0_14default_configENS1_38merge_sort_block_merge_config_selectorIdNS0_10empty_typeEEEZZNS1_27merge_sort_block_merge_implIS3_PdPS5_jNS1_19radix_merge_compareILb1ELb0EdNS0_19identity_decomposerEEEEE10hipError_tT0_T1_T2_jT3_P12ihipStream_tbPNSt15iterator_traitsISE_E10value_typeEPNSK_ISF_E10value_typeEPSG_NS1_7vsmem_tEENKUlT_SE_SF_SG_E_clIS8_S8_S9_S9_EESD_ST_SE_SF_SG_EUlST_E_NS1_11comp_targetILNS1_3genE4ELNS1_11target_archE910ELNS1_3gpuE8ELNS1_3repE0EEENS1_48merge_mergepath_partition_config_static_selectorELNS0_4arch9wavefront6targetE0EEEvSF_
	.p2align	8
	.type	_ZN7rocprim17ROCPRIM_400000_NS6detail17trampoline_kernelINS0_14default_configENS1_38merge_sort_block_merge_config_selectorIdNS0_10empty_typeEEEZZNS1_27merge_sort_block_merge_implIS3_PdPS5_jNS1_19radix_merge_compareILb1ELb0EdNS0_19identity_decomposerEEEEE10hipError_tT0_T1_T2_jT3_P12ihipStream_tbPNSt15iterator_traitsISE_E10value_typeEPNSK_ISF_E10value_typeEPSG_NS1_7vsmem_tEENKUlT_SE_SF_SG_E_clIS8_S8_S9_S9_EESD_ST_SE_SF_SG_EUlST_E_NS1_11comp_targetILNS1_3genE4ELNS1_11target_archE910ELNS1_3gpuE8ELNS1_3repE0EEENS1_48merge_mergepath_partition_config_static_selectorELNS0_4arch9wavefront6targetE0EEEvSF_,@function
_ZN7rocprim17ROCPRIM_400000_NS6detail17trampoline_kernelINS0_14default_configENS1_38merge_sort_block_merge_config_selectorIdNS0_10empty_typeEEEZZNS1_27merge_sort_block_merge_implIS3_PdPS5_jNS1_19radix_merge_compareILb1ELb0EdNS0_19identity_decomposerEEEEE10hipError_tT0_T1_T2_jT3_P12ihipStream_tbPNSt15iterator_traitsISE_E10value_typeEPNSK_ISF_E10value_typeEPSG_NS1_7vsmem_tEENKUlT_SE_SF_SG_E_clIS8_S8_S9_S9_EESD_ST_SE_SF_SG_EUlST_E_NS1_11comp_targetILNS1_3genE4ELNS1_11target_archE910ELNS1_3gpuE8ELNS1_3repE0EEENS1_48merge_mergepath_partition_config_static_selectorELNS0_4arch9wavefront6targetE0EEEvSF_: ; @_ZN7rocprim17ROCPRIM_400000_NS6detail17trampoline_kernelINS0_14default_configENS1_38merge_sort_block_merge_config_selectorIdNS0_10empty_typeEEEZZNS1_27merge_sort_block_merge_implIS3_PdPS5_jNS1_19radix_merge_compareILb1ELb0EdNS0_19identity_decomposerEEEEE10hipError_tT0_T1_T2_jT3_P12ihipStream_tbPNSt15iterator_traitsISE_E10value_typeEPNSK_ISF_E10value_typeEPSG_NS1_7vsmem_tEENKUlT_SE_SF_SG_E_clIS8_S8_S9_S9_EESD_ST_SE_SF_SG_EUlST_E_NS1_11comp_targetILNS1_3genE4ELNS1_11target_archE910ELNS1_3gpuE8ELNS1_3repE0EEENS1_48merge_mergepath_partition_config_static_selectorELNS0_4arch9wavefront6targetE0EEEvSF_
; %bb.0:
	.section	.rodata,"a",@progbits
	.p2align	6, 0x0
	.amdhsa_kernel _ZN7rocprim17ROCPRIM_400000_NS6detail17trampoline_kernelINS0_14default_configENS1_38merge_sort_block_merge_config_selectorIdNS0_10empty_typeEEEZZNS1_27merge_sort_block_merge_implIS3_PdPS5_jNS1_19radix_merge_compareILb1ELb0EdNS0_19identity_decomposerEEEEE10hipError_tT0_T1_T2_jT3_P12ihipStream_tbPNSt15iterator_traitsISE_E10value_typeEPNSK_ISF_E10value_typeEPSG_NS1_7vsmem_tEENKUlT_SE_SF_SG_E_clIS8_S8_S9_S9_EESD_ST_SE_SF_SG_EUlST_E_NS1_11comp_targetILNS1_3genE4ELNS1_11target_archE910ELNS1_3gpuE8ELNS1_3repE0EEENS1_48merge_mergepath_partition_config_static_selectorELNS0_4arch9wavefront6targetE0EEEvSF_
		.amdhsa_group_segment_fixed_size 0
		.amdhsa_private_segment_fixed_size 0
		.amdhsa_kernarg_size 40
		.amdhsa_user_sgpr_count 2
		.amdhsa_user_sgpr_dispatch_ptr 0
		.amdhsa_user_sgpr_queue_ptr 0
		.amdhsa_user_sgpr_kernarg_segment_ptr 1
		.amdhsa_user_sgpr_dispatch_id 0
		.amdhsa_user_sgpr_kernarg_preload_length 0
		.amdhsa_user_sgpr_kernarg_preload_offset 0
		.amdhsa_user_sgpr_private_segment_size 0
		.amdhsa_wavefront_size32 1
		.amdhsa_uses_dynamic_stack 0
		.amdhsa_enable_private_segment 0
		.amdhsa_system_sgpr_workgroup_id_x 1
		.amdhsa_system_sgpr_workgroup_id_y 0
		.amdhsa_system_sgpr_workgroup_id_z 0
		.amdhsa_system_sgpr_workgroup_info 0
		.amdhsa_system_vgpr_workitem_id 0
		.amdhsa_next_free_vgpr 1
		.amdhsa_next_free_sgpr 1
		.amdhsa_named_barrier_count 0
		.amdhsa_reserve_vcc 0
		.amdhsa_float_round_mode_32 0
		.amdhsa_float_round_mode_16_64 0
		.amdhsa_float_denorm_mode_32 3
		.amdhsa_float_denorm_mode_16_64 3
		.amdhsa_fp16_overflow 0
		.amdhsa_memory_ordered 1
		.amdhsa_forward_progress 1
		.amdhsa_inst_pref_size 0
		.amdhsa_round_robin_scheduling 0
		.amdhsa_exception_fp_ieee_invalid_op 0
		.amdhsa_exception_fp_denorm_src 0
		.amdhsa_exception_fp_ieee_div_zero 0
		.amdhsa_exception_fp_ieee_overflow 0
		.amdhsa_exception_fp_ieee_underflow 0
		.amdhsa_exception_fp_ieee_inexact 0
		.amdhsa_exception_int_div_zero 0
	.end_amdhsa_kernel
	.section	.text._ZN7rocprim17ROCPRIM_400000_NS6detail17trampoline_kernelINS0_14default_configENS1_38merge_sort_block_merge_config_selectorIdNS0_10empty_typeEEEZZNS1_27merge_sort_block_merge_implIS3_PdPS5_jNS1_19radix_merge_compareILb1ELb0EdNS0_19identity_decomposerEEEEE10hipError_tT0_T1_T2_jT3_P12ihipStream_tbPNSt15iterator_traitsISE_E10value_typeEPNSK_ISF_E10value_typeEPSG_NS1_7vsmem_tEENKUlT_SE_SF_SG_E_clIS8_S8_S9_S9_EESD_ST_SE_SF_SG_EUlST_E_NS1_11comp_targetILNS1_3genE4ELNS1_11target_archE910ELNS1_3gpuE8ELNS1_3repE0EEENS1_48merge_mergepath_partition_config_static_selectorELNS0_4arch9wavefront6targetE0EEEvSF_,"axG",@progbits,_ZN7rocprim17ROCPRIM_400000_NS6detail17trampoline_kernelINS0_14default_configENS1_38merge_sort_block_merge_config_selectorIdNS0_10empty_typeEEEZZNS1_27merge_sort_block_merge_implIS3_PdPS5_jNS1_19radix_merge_compareILb1ELb0EdNS0_19identity_decomposerEEEEE10hipError_tT0_T1_T2_jT3_P12ihipStream_tbPNSt15iterator_traitsISE_E10value_typeEPNSK_ISF_E10value_typeEPSG_NS1_7vsmem_tEENKUlT_SE_SF_SG_E_clIS8_S8_S9_S9_EESD_ST_SE_SF_SG_EUlST_E_NS1_11comp_targetILNS1_3genE4ELNS1_11target_archE910ELNS1_3gpuE8ELNS1_3repE0EEENS1_48merge_mergepath_partition_config_static_selectorELNS0_4arch9wavefront6targetE0EEEvSF_,comdat
.Lfunc_end1463:
	.size	_ZN7rocprim17ROCPRIM_400000_NS6detail17trampoline_kernelINS0_14default_configENS1_38merge_sort_block_merge_config_selectorIdNS0_10empty_typeEEEZZNS1_27merge_sort_block_merge_implIS3_PdPS5_jNS1_19radix_merge_compareILb1ELb0EdNS0_19identity_decomposerEEEEE10hipError_tT0_T1_T2_jT3_P12ihipStream_tbPNSt15iterator_traitsISE_E10value_typeEPNSK_ISF_E10value_typeEPSG_NS1_7vsmem_tEENKUlT_SE_SF_SG_E_clIS8_S8_S9_S9_EESD_ST_SE_SF_SG_EUlST_E_NS1_11comp_targetILNS1_3genE4ELNS1_11target_archE910ELNS1_3gpuE8ELNS1_3repE0EEENS1_48merge_mergepath_partition_config_static_selectorELNS0_4arch9wavefront6targetE0EEEvSF_, .Lfunc_end1463-_ZN7rocprim17ROCPRIM_400000_NS6detail17trampoline_kernelINS0_14default_configENS1_38merge_sort_block_merge_config_selectorIdNS0_10empty_typeEEEZZNS1_27merge_sort_block_merge_implIS3_PdPS5_jNS1_19radix_merge_compareILb1ELb0EdNS0_19identity_decomposerEEEEE10hipError_tT0_T1_T2_jT3_P12ihipStream_tbPNSt15iterator_traitsISE_E10value_typeEPNSK_ISF_E10value_typeEPSG_NS1_7vsmem_tEENKUlT_SE_SF_SG_E_clIS8_S8_S9_S9_EESD_ST_SE_SF_SG_EUlST_E_NS1_11comp_targetILNS1_3genE4ELNS1_11target_archE910ELNS1_3gpuE8ELNS1_3repE0EEENS1_48merge_mergepath_partition_config_static_selectorELNS0_4arch9wavefront6targetE0EEEvSF_
                                        ; -- End function
	.set _ZN7rocprim17ROCPRIM_400000_NS6detail17trampoline_kernelINS0_14default_configENS1_38merge_sort_block_merge_config_selectorIdNS0_10empty_typeEEEZZNS1_27merge_sort_block_merge_implIS3_PdPS5_jNS1_19radix_merge_compareILb1ELb0EdNS0_19identity_decomposerEEEEE10hipError_tT0_T1_T2_jT3_P12ihipStream_tbPNSt15iterator_traitsISE_E10value_typeEPNSK_ISF_E10value_typeEPSG_NS1_7vsmem_tEENKUlT_SE_SF_SG_E_clIS8_S8_S9_S9_EESD_ST_SE_SF_SG_EUlST_E_NS1_11comp_targetILNS1_3genE4ELNS1_11target_archE910ELNS1_3gpuE8ELNS1_3repE0EEENS1_48merge_mergepath_partition_config_static_selectorELNS0_4arch9wavefront6targetE0EEEvSF_.num_vgpr, 0
	.set _ZN7rocprim17ROCPRIM_400000_NS6detail17trampoline_kernelINS0_14default_configENS1_38merge_sort_block_merge_config_selectorIdNS0_10empty_typeEEEZZNS1_27merge_sort_block_merge_implIS3_PdPS5_jNS1_19radix_merge_compareILb1ELb0EdNS0_19identity_decomposerEEEEE10hipError_tT0_T1_T2_jT3_P12ihipStream_tbPNSt15iterator_traitsISE_E10value_typeEPNSK_ISF_E10value_typeEPSG_NS1_7vsmem_tEENKUlT_SE_SF_SG_E_clIS8_S8_S9_S9_EESD_ST_SE_SF_SG_EUlST_E_NS1_11comp_targetILNS1_3genE4ELNS1_11target_archE910ELNS1_3gpuE8ELNS1_3repE0EEENS1_48merge_mergepath_partition_config_static_selectorELNS0_4arch9wavefront6targetE0EEEvSF_.num_agpr, 0
	.set _ZN7rocprim17ROCPRIM_400000_NS6detail17trampoline_kernelINS0_14default_configENS1_38merge_sort_block_merge_config_selectorIdNS0_10empty_typeEEEZZNS1_27merge_sort_block_merge_implIS3_PdPS5_jNS1_19radix_merge_compareILb1ELb0EdNS0_19identity_decomposerEEEEE10hipError_tT0_T1_T2_jT3_P12ihipStream_tbPNSt15iterator_traitsISE_E10value_typeEPNSK_ISF_E10value_typeEPSG_NS1_7vsmem_tEENKUlT_SE_SF_SG_E_clIS8_S8_S9_S9_EESD_ST_SE_SF_SG_EUlST_E_NS1_11comp_targetILNS1_3genE4ELNS1_11target_archE910ELNS1_3gpuE8ELNS1_3repE0EEENS1_48merge_mergepath_partition_config_static_selectorELNS0_4arch9wavefront6targetE0EEEvSF_.numbered_sgpr, 0
	.set _ZN7rocprim17ROCPRIM_400000_NS6detail17trampoline_kernelINS0_14default_configENS1_38merge_sort_block_merge_config_selectorIdNS0_10empty_typeEEEZZNS1_27merge_sort_block_merge_implIS3_PdPS5_jNS1_19radix_merge_compareILb1ELb0EdNS0_19identity_decomposerEEEEE10hipError_tT0_T1_T2_jT3_P12ihipStream_tbPNSt15iterator_traitsISE_E10value_typeEPNSK_ISF_E10value_typeEPSG_NS1_7vsmem_tEENKUlT_SE_SF_SG_E_clIS8_S8_S9_S9_EESD_ST_SE_SF_SG_EUlST_E_NS1_11comp_targetILNS1_3genE4ELNS1_11target_archE910ELNS1_3gpuE8ELNS1_3repE0EEENS1_48merge_mergepath_partition_config_static_selectorELNS0_4arch9wavefront6targetE0EEEvSF_.num_named_barrier, 0
	.set _ZN7rocprim17ROCPRIM_400000_NS6detail17trampoline_kernelINS0_14default_configENS1_38merge_sort_block_merge_config_selectorIdNS0_10empty_typeEEEZZNS1_27merge_sort_block_merge_implIS3_PdPS5_jNS1_19radix_merge_compareILb1ELb0EdNS0_19identity_decomposerEEEEE10hipError_tT0_T1_T2_jT3_P12ihipStream_tbPNSt15iterator_traitsISE_E10value_typeEPNSK_ISF_E10value_typeEPSG_NS1_7vsmem_tEENKUlT_SE_SF_SG_E_clIS8_S8_S9_S9_EESD_ST_SE_SF_SG_EUlST_E_NS1_11comp_targetILNS1_3genE4ELNS1_11target_archE910ELNS1_3gpuE8ELNS1_3repE0EEENS1_48merge_mergepath_partition_config_static_selectorELNS0_4arch9wavefront6targetE0EEEvSF_.private_seg_size, 0
	.set _ZN7rocprim17ROCPRIM_400000_NS6detail17trampoline_kernelINS0_14default_configENS1_38merge_sort_block_merge_config_selectorIdNS0_10empty_typeEEEZZNS1_27merge_sort_block_merge_implIS3_PdPS5_jNS1_19radix_merge_compareILb1ELb0EdNS0_19identity_decomposerEEEEE10hipError_tT0_T1_T2_jT3_P12ihipStream_tbPNSt15iterator_traitsISE_E10value_typeEPNSK_ISF_E10value_typeEPSG_NS1_7vsmem_tEENKUlT_SE_SF_SG_E_clIS8_S8_S9_S9_EESD_ST_SE_SF_SG_EUlST_E_NS1_11comp_targetILNS1_3genE4ELNS1_11target_archE910ELNS1_3gpuE8ELNS1_3repE0EEENS1_48merge_mergepath_partition_config_static_selectorELNS0_4arch9wavefront6targetE0EEEvSF_.uses_vcc, 0
	.set _ZN7rocprim17ROCPRIM_400000_NS6detail17trampoline_kernelINS0_14default_configENS1_38merge_sort_block_merge_config_selectorIdNS0_10empty_typeEEEZZNS1_27merge_sort_block_merge_implIS3_PdPS5_jNS1_19radix_merge_compareILb1ELb0EdNS0_19identity_decomposerEEEEE10hipError_tT0_T1_T2_jT3_P12ihipStream_tbPNSt15iterator_traitsISE_E10value_typeEPNSK_ISF_E10value_typeEPSG_NS1_7vsmem_tEENKUlT_SE_SF_SG_E_clIS8_S8_S9_S9_EESD_ST_SE_SF_SG_EUlST_E_NS1_11comp_targetILNS1_3genE4ELNS1_11target_archE910ELNS1_3gpuE8ELNS1_3repE0EEENS1_48merge_mergepath_partition_config_static_selectorELNS0_4arch9wavefront6targetE0EEEvSF_.uses_flat_scratch, 0
	.set _ZN7rocprim17ROCPRIM_400000_NS6detail17trampoline_kernelINS0_14default_configENS1_38merge_sort_block_merge_config_selectorIdNS0_10empty_typeEEEZZNS1_27merge_sort_block_merge_implIS3_PdPS5_jNS1_19radix_merge_compareILb1ELb0EdNS0_19identity_decomposerEEEEE10hipError_tT0_T1_T2_jT3_P12ihipStream_tbPNSt15iterator_traitsISE_E10value_typeEPNSK_ISF_E10value_typeEPSG_NS1_7vsmem_tEENKUlT_SE_SF_SG_E_clIS8_S8_S9_S9_EESD_ST_SE_SF_SG_EUlST_E_NS1_11comp_targetILNS1_3genE4ELNS1_11target_archE910ELNS1_3gpuE8ELNS1_3repE0EEENS1_48merge_mergepath_partition_config_static_selectorELNS0_4arch9wavefront6targetE0EEEvSF_.has_dyn_sized_stack, 0
	.set _ZN7rocprim17ROCPRIM_400000_NS6detail17trampoline_kernelINS0_14default_configENS1_38merge_sort_block_merge_config_selectorIdNS0_10empty_typeEEEZZNS1_27merge_sort_block_merge_implIS3_PdPS5_jNS1_19radix_merge_compareILb1ELb0EdNS0_19identity_decomposerEEEEE10hipError_tT0_T1_T2_jT3_P12ihipStream_tbPNSt15iterator_traitsISE_E10value_typeEPNSK_ISF_E10value_typeEPSG_NS1_7vsmem_tEENKUlT_SE_SF_SG_E_clIS8_S8_S9_S9_EESD_ST_SE_SF_SG_EUlST_E_NS1_11comp_targetILNS1_3genE4ELNS1_11target_archE910ELNS1_3gpuE8ELNS1_3repE0EEENS1_48merge_mergepath_partition_config_static_selectorELNS0_4arch9wavefront6targetE0EEEvSF_.has_recursion, 0
	.set _ZN7rocprim17ROCPRIM_400000_NS6detail17trampoline_kernelINS0_14default_configENS1_38merge_sort_block_merge_config_selectorIdNS0_10empty_typeEEEZZNS1_27merge_sort_block_merge_implIS3_PdPS5_jNS1_19radix_merge_compareILb1ELb0EdNS0_19identity_decomposerEEEEE10hipError_tT0_T1_T2_jT3_P12ihipStream_tbPNSt15iterator_traitsISE_E10value_typeEPNSK_ISF_E10value_typeEPSG_NS1_7vsmem_tEENKUlT_SE_SF_SG_E_clIS8_S8_S9_S9_EESD_ST_SE_SF_SG_EUlST_E_NS1_11comp_targetILNS1_3genE4ELNS1_11target_archE910ELNS1_3gpuE8ELNS1_3repE0EEENS1_48merge_mergepath_partition_config_static_selectorELNS0_4arch9wavefront6targetE0EEEvSF_.has_indirect_call, 0
	.section	.AMDGPU.csdata,"",@progbits
; Kernel info:
; codeLenInByte = 0
; TotalNumSgprs: 0
; NumVgprs: 0
; ScratchSize: 0
; MemoryBound: 0
; FloatMode: 240
; IeeeMode: 1
; LDSByteSize: 0 bytes/workgroup (compile time only)
; SGPRBlocks: 0
; VGPRBlocks: 0
; NumSGPRsForWavesPerEU: 1
; NumVGPRsForWavesPerEU: 1
; NamedBarCnt: 0
; Occupancy: 16
; WaveLimiterHint : 0
; COMPUTE_PGM_RSRC2:SCRATCH_EN: 0
; COMPUTE_PGM_RSRC2:USER_SGPR: 2
; COMPUTE_PGM_RSRC2:TRAP_HANDLER: 0
; COMPUTE_PGM_RSRC2:TGID_X_EN: 1
; COMPUTE_PGM_RSRC2:TGID_Y_EN: 0
; COMPUTE_PGM_RSRC2:TGID_Z_EN: 0
; COMPUTE_PGM_RSRC2:TIDIG_COMP_CNT: 0
	.section	.text._ZN7rocprim17ROCPRIM_400000_NS6detail17trampoline_kernelINS0_14default_configENS1_38merge_sort_block_merge_config_selectorIdNS0_10empty_typeEEEZZNS1_27merge_sort_block_merge_implIS3_PdPS5_jNS1_19radix_merge_compareILb1ELb0EdNS0_19identity_decomposerEEEEE10hipError_tT0_T1_T2_jT3_P12ihipStream_tbPNSt15iterator_traitsISE_E10value_typeEPNSK_ISF_E10value_typeEPSG_NS1_7vsmem_tEENKUlT_SE_SF_SG_E_clIS8_S8_S9_S9_EESD_ST_SE_SF_SG_EUlST_E_NS1_11comp_targetILNS1_3genE3ELNS1_11target_archE908ELNS1_3gpuE7ELNS1_3repE0EEENS1_48merge_mergepath_partition_config_static_selectorELNS0_4arch9wavefront6targetE0EEEvSF_,"axG",@progbits,_ZN7rocprim17ROCPRIM_400000_NS6detail17trampoline_kernelINS0_14default_configENS1_38merge_sort_block_merge_config_selectorIdNS0_10empty_typeEEEZZNS1_27merge_sort_block_merge_implIS3_PdPS5_jNS1_19radix_merge_compareILb1ELb0EdNS0_19identity_decomposerEEEEE10hipError_tT0_T1_T2_jT3_P12ihipStream_tbPNSt15iterator_traitsISE_E10value_typeEPNSK_ISF_E10value_typeEPSG_NS1_7vsmem_tEENKUlT_SE_SF_SG_E_clIS8_S8_S9_S9_EESD_ST_SE_SF_SG_EUlST_E_NS1_11comp_targetILNS1_3genE3ELNS1_11target_archE908ELNS1_3gpuE7ELNS1_3repE0EEENS1_48merge_mergepath_partition_config_static_selectorELNS0_4arch9wavefront6targetE0EEEvSF_,comdat
	.protected	_ZN7rocprim17ROCPRIM_400000_NS6detail17trampoline_kernelINS0_14default_configENS1_38merge_sort_block_merge_config_selectorIdNS0_10empty_typeEEEZZNS1_27merge_sort_block_merge_implIS3_PdPS5_jNS1_19radix_merge_compareILb1ELb0EdNS0_19identity_decomposerEEEEE10hipError_tT0_T1_T2_jT3_P12ihipStream_tbPNSt15iterator_traitsISE_E10value_typeEPNSK_ISF_E10value_typeEPSG_NS1_7vsmem_tEENKUlT_SE_SF_SG_E_clIS8_S8_S9_S9_EESD_ST_SE_SF_SG_EUlST_E_NS1_11comp_targetILNS1_3genE3ELNS1_11target_archE908ELNS1_3gpuE7ELNS1_3repE0EEENS1_48merge_mergepath_partition_config_static_selectorELNS0_4arch9wavefront6targetE0EEEvSF_ ; -- Begin function _ZN7rocprim17ROCPRIM_400000_NS6detail17trampoline_kernelINS0_14default_configENS1_38merge_sort_block_merge_config_selectorIdNS0_10empty_typeEEEZZNS1_27merge_sort_block_merge_implIS3_PdPS5_jNS1_19radix_merge_compareILb1ELb0EdNS0_19identity_decomposerEEEEE10hipError_tT0_T1_T2_jT3_P12ihipStream_tbPNSt15iterator_traitsISE_E10value_typeEPNSK_ISF_E10value_typeEPSG_NS1_7vsmem_tEENKUlT_SE_SF_SG_E_clIS8_S8_S9_S9_EESD_ST_SE_SF_SG_EUlST_E_NS1_11comp_targetILNS1_3genE3ELNS1_11target_archE908ELNS1_3gpuE7ELNS1_3repE0EEENS1_48merge_mergepath_partition_config_static_selectorELNS0_4arch9wavefront6targetE0EEEvSF_
	.globl	_ZN7rocprim17ROCPRIM_400000_NS6detail17trampoline_kernelINS0_14default_configENS1_38merge_sort_block_merge_config_selectorIdNS0_10empty_typeEEEZZNS1_27merge_sort_block_merge_implIS3_PdPS5_jNS1_19radix_merge_compareILb1ELb0EdNS0_19identity_decomposerEEEEE10hipError_tT0_T1_T2_jT3_P12ihipStream_tbPNSt15iterator_traitsISE_E10value_typeEPNSK_ISF_E10value_typeEPSG_NS1_7vsmem_tEENKUlT_SE_SF_SG_E_clIS8_S8_S9_S9_EESD_ST_SE_SF_SG_EUlST_E_NS1_11comp_targetILNS1_3genE3ELNS1_11target_archE908ELNS1_3gpuE7ELNS1_3repE0EEENS1_48merge_mergepath_partition_config_static_selectorELNS0_4arch9wavefront6targetE0EEEvSF_
	.p2align	8
	.type	_ZN7rocprim17ROCPRIM_400000_NS6detail17trampoline_kernelINS0_14default_configENS1_38merge_sort_block_merge_config_selectorIdNS0_10empty_typeEEEZZNS1_27merge_sort_block_merge_implIS3_PdPS5_jNS1_19radix_merge_compareILb1ELb0EdNS0_19identity_decomposerEEEEE10hipError_tT0_T1_T2_jT3_P12ihipStream_tbPNSt15iterator_traitsISE_E10value_typeEPNSK_ISF_E10value_typeEPSG_NS1_7vsmem_tEENKUlT_SE_SF_SG_E_clIS8_S8_S9_S9_EESD_ST_SE_SF_SG_EUlST_E_NS1_11comp_targetILNS1_3genE3ELNS1_11target_archE908ELNS1_3gpuE7ELNS1_3repE0EEENS1_48merge_mergepath_partition_config_static_selectorELNS0_4arch9wavefront6targetE0EEEvSF_,@function
_ZN7rocprim17ROCPRIM_400000_NS6detail17trampoline_kernelINS0_14default_configENS1_38merge_sort_block_merge_config_selectorIdNS0_10empty_typeEEEZZNS1_27merge_sort_block_merge_implIS3_PdPS5_jNS1_19radix_merge_compareILb1ELb0EdNS0_19identity_decomposerEEEEE10hipError_tT0_T1_T2_jT3_P12ihipStream_tbPNSt15iterator_traitsISE_E10value_typeEPNSK_ISF_E10value_typeEPSG_NS1_7vsmem_tEENKUlT_SE_SF_SG_E_clIS8_S8_S9_S9_EESD_ST_SE_SF_SG_EUlST_E_NS1_11comp_targetILNS1_3genE3ELNS1_11target_archE908ELNS1_3gpuE7ELNS1_3repE0EEENS1_48merge_mergepath_partition_config_static_selectorELNS0_4arch9wavefront6targetE0EEEvSF_: ; @_ZN7rocprim17ROCPRIM_400000_NS6detail17trampoline_kernelINS0_14default_configENS1_38merge_sort_block_merge_config_selectorIdNS0_10empty_typeEEEZZNS1_27merge_sort_block_merge_implIS3_PdPS5_jNS1_19radix_merge_compareILb1ELb0EdNS0_19identity_decomposerEEEEE10hipError_tT0_T1_T2_jT3_P12ihipStream_tbPNSt15iterator_traitsISE_E10value_typeEPNSK_ISF_E10value_typeEPSG_NS1_7vsmem_tEENKUlT_SE_SF_SG_E_clIS8_S8_S9_S9_EESD_ST_SE_SF_SG_EUlST_E_NS1_11comp_targetILNS1_3genE3ELNS1_11target_archE908ELNS1_3gpuE7ELNS1_3repE0EEENS1_48merge_mergepath_partition_config_static_selectorELNS0_4arch9wavefront6targetE0EEEvSF_
; %bb.0:
	.section	.rodata,"a",@progbits
	.p2align	6, 0x0
	.amdhsa_kernel _ZN7rocprim17ROCPRIM_400000_NS6detail17trampoline_kernelINS0_14default_configENS1_38merge_sort_block_merge_config_selectorIdNS0_10empty_typeEEEZZNS1_27merge_sort_block_merge_implIS3_PdPS5_jNS1_19radix_merge_compareILb1ELb0EdNS0_19identity_decomposerEEEEE10hipError_tT0_T1_T2_jT3_P12ihipStream_tbPNSt15iterator_traitsISE_E10value_typeEPNSK_ISF_E10value_typeEPSG_NS1_7vsmem_tEENKUlT_SE_SF_SG_E_clIS8_S8_S9_S9_EESD_ST_SE_SF_SG_EUlST_E_NS1_11comp_targetILNS1_3genE3ELNS1_11target_archE908ELNS1_3gpuE7ELNS1_3repE0EEENS1_48merge_mergepath_partition_config_static_selectorELNS0_4arch9wavefront6targetE0EEEvSF_
		.amdhsa_group_segment_fixed_size 0
		.amdhsa_private_segment_fixed_size 0
		.amdhsa_kernarg_size 40
		.amdhsa_user_sgpr_count 2
		.amdhsa_user_sgpr_dispatch_ptr 0
		.amdhsa_user_sgpr_queue_ptr 0
		.amdhsa_user_sgpr_kernarg_segment_ptr 1
		.amdhsa_user_sgpr_dispatch_id 0
		.amdhsa_user_sgpr_kernarg_preload_length 0
		.amdhsa_user_sgpr_kernarg_preload_offset 0
		.amdhsa_user_sgpr_private_segment_size 0
		.amdhsa_wavefront_size32 1
		.amdhsa_uses_dynamic_stack 0
		.amdhsa_enable_private_segment 0
		.amdhsa_system_sgpr_workgroup_id_x 1
		.amdhsa_system_sgpr_workgroup_id_y 0
		.amdhsa_system_sgpr_workgroup_id_z 0
		.amdhsa_system_sgpr_workgroup_info 0
		.amdhsa_system_vgpr_workitem_id 0
		.amdhsa_next_free_vgpr 1
		.amdhsa_next_free_sgpr 1
		.amdhsa_named_barrier_count 0
		.amdhsa_reserve_vcc 0
		.amdhsa_float_round_mode_32 0
		.amdhsa_float_round_mode_16_64 0
		.amdhsa_float_denorm_mode_32 3
		.amdhsa_float_denorm_mode_16_64 3
		.amdhsa_fp16_overflow 0
		.amdhsa_memory_ordered 1
		.amdhsa_forward_progress 1
		.amdhsa_inst_pref_size 0
		.amdhsa_round_robin_scheduling 0
		.amdhsa_exception_fp_ieee_invalid_op 0
		.amdhsa_exception_fp_denorm_src 0
		.amdhsa_exception_fp_ieee_div_zero 0
		.amdhsa_exception_fp_ieee_overflow 0
		.amdhsa_exception_fp_ieee_underflow 0
		.amdhsa_exception_fp_ieee_inexact 0
		.amdhsa_exception_int_div_zero 0
	.end_amdhsa_kernel
	.section	.text._ZN7rocprim17ROCPRIM_400000_NS6detail17trampoline_kernelINS0_14default_configENS1_38merge_sort_block_merge_config_selectorIdNS0_10empty_typeEEEZZNS1_27merge_sort_block_merge_implIS3_PdPS5_jNS1_19radix_merge_compareILb1ELb0EdNS0_19identity_decomposerEEEEE10hipError_tT0_T1_T2_jT3_P12ihipStream_tbPNSt15iterator_traitsISE_E10value_typeEPNSK_ISF_E10value_typeEPSG_NS1_7vsmem_tEENKUlT_SE_SF_SG_E_clIS8_S8_S9_S9_EESD_ST_SE_SF_SG_EUlST_E_NS1_11comp_targetILNS1_3genE3ELNS1_11target_archE908ELNS1_3gpuE7ELNS1_3repE0EEENS1_48merge_mergepath_partition_config_static_selectorELNS0_4arch9wavefront6targetE0EEEvSF_,"axG",@progbits,_ZN7rocprim17ROCPRIM_400000_NS6detail17trampoline_kernelINS0_14default_configENS1_38merge_sort_block_merge_config_selectorIdNS0_10empty_typeEEEZZNS1_27merge_sort_block_merge_implIS3_PdPS5_jNS1_19radix_merge_compareILb1ELb0EdNS0_19identity_decomposerEEEEE10hipError_tT0_T1_T2_jT3_P12ihipStream_tbPNSt15iterator_traitsISE_E10value_typeEPNSK_ISF_E10value_typeEPSG_NS1_7vsmem_tEENKUlT_SE_SF_SG_E_clIS8_S8_S9_S9_EESD_ST_SE_SF_SG_EUlST_E_NS1_11comp_targetILNS1_3genE3ELNS1_11target_archE908ELNS1_3gpuE7ELNS1_3repE0EEENS1_48merge_mergepath_partition_config_static_selectorELNS0_4arch9wavefront6targetE0EEEvSF_,comdat
.Lfunc_end1464:
	.size	_ZN7rocprim17ROCPRIM_400000_NS6detail17trampoline_kernelINS0_14default_configENS1_38merge_sort_block_merge_config_selectorIdNS0_10empty_typeEEEZZNS1_27merge_sort_block_merge_implIS3_PdPS5_jNS1_19radix_merge_compareILb1ELb0EdNS0_19identity_decomposerEEEEE10hipError_tT0_T1_T2_jT3_P12ihipStream_tbPNSt15iterator_traitsISE_E10value_typeEPNSK_ISF_E10value_typeEPSG_NS1_7vsmem_tEENKUlT_SE_SF_SG_E_clIS8_S8_S9_S9_EESD_ST_SE_SF_SG_EUlST_E_NS1_11comp_targetILNS1_3genE3ELNS1_11target_archE908ELNS1_3gpuE7ELNS1_3repE0EEENS1_48merge_mergepath_partition_config_static_selectorELNS0_4arch9wavefront6targetE0EEEvSF_, .Lfunc_end1464-_ZN7rocprim17ROCPRIM_400000_NS6detail17trampoline_kernelINS0_14default_configENS1_38merge_sort_block_merge_config_selectorIdNS0_10empty_typeEEEZZNS1_27merge_sort_block_merge_implIS3_PdPS5_jNS1_19radix_merge_compareILb1ELb0EdNS0_19identity_decomposerEEEEE10hipError_tT0_T1_T2_jT3_P12ihipStream_tbPNSt15iterator_traitsISE_E10value_typeEPNSK_ISF_E10value_typeEPSG_NS1_7vsmem_tEENKUlT_SE_SF_SG_E_clIS8_S8_S9_S9_EESD_ST_SE_SF_SG_EUlST_E_NS1_11comp_targetILNS1_3genE3ELNS1_11target_archE908ELNS1_3gpuE7ELNS1_3repE0EEENS1_48merge_mergepath_partition_config_static_selectorELNS0_4arch9wavefront6targetE0EEEvSF_
                                        ; -- End function
	.set _ZN7rocprim17ROCPRIM_400000_NS6detail17trampoline_kernelINS0_14default_configENS1_38merge_sort_block_merge_config_selectorIdNS0_10empty_typeEEEZZNS1_27merge_sort_block_merge_implIS3_PdPS5_jNS1_19radix_merge_compareILb1ELb0EdNS0_19identity_decomposerEEEEE10hipError_tT0_T1_T2_jT3_P12ihipStream_tbPNSt15iterator_traitsISE_E10value_typeEPNSK_ISF_E10value_typeEPSG_NS1_7vsmem_tEENKUlT_SE_SF_SG_E_clIS8_S8_S9_S9_EESD_ST_SE_SF_SG_EUlST_E_NS1_11comp_targetILNS1_3genE3ELNS1_11target_archE908ELNS1_3gpuE7ELNS1_3repE0EEENS1_48merge_mergepath_partition_config_static_selectorELNS0_4arch9wavefront6targetE0EEEvSF_.num_vgpr, 0
	.set _ZN7rocprim17ROCPRIM_400000_NS6detail17trampoline_kernelINS0_14default_configENS1_38merge_sort_block_merge_config_selectorIdNS0_10empty_typeEEEZZNS1_27merge_sort_block_merge_implIS3_PdPS5_jNS1_19radix_merge_compareILb1ELb0EdNS0_19identity_decomposerEEEEE10hipError_tT0_T1_T2_jT3_P12ihipStream_tbPNSt15iterator_traitsISE_E10value_typeEPNSK_ISF_E10value_typeEPSG_NS1_7vsmem_tEENKUlT_SE_SF_SG_E_clIS8_S8_S9_S9_EESD_ST_SE_SF_SG_EUlST_E_NS1_11comp_targetILNS1_3genE3ELNS1_11target_archE908ELNS1_3gpuE7ELNS1_3repE0EEENS1_48merge_mergepath_partition_config_static_selectorELNS0_4arch9wavefront6targetE0EEEvSF_.num_agpr, 0
	.set _ZN7rocprim17ROCPRIM_400000_NS6detail17trampoline_kernelINS0_14default_configENS1_38merge_sort_block_merge_config_selectorIdNS0_10empty_typeEEEZZNS1_27merge_sort_block_merge_implIS3_PdPS5_jNS1_19radix_merge_compareILb1ELb0EdNS0_19identity_decomposerEEEEE10hipError_tT0_T1_T2_jT3_P12ihipStream_tbPNSt15iterator_traitsISE_E10value_typeEPNSK_ISF_E10value_typeEPSG_NS1_7vsmem_tEENKUlT_SE_SF_SG_E_clIS8_S8_S9_S9_EESD_ST_SE_SF_SG_EUlST_E_NS1_11comp_targetILNS1_3genE3ELNS1_11target_archE908ELNS1_3gpuE7ELNS1_3repE0EEENS1_48merge_mergepath_partition_config_static_selectorELNS0_4arch9wavefront6targetE0EEEvSF_.numbered_sgpr, 0
	.set _ZN7rocprim17ROCPRIM_400000_NS6detail17trampoline_kernelINS0_14default_configENS1_38merge_sort_block_merge_config_selectorIdNS0_10empty_typeEEEZZNS1_27merge_sort_block_merge_implIS3_PdPS5_jNS1_19radix_merge_compareILb1ELb0EdNS0_19identity_decomposerEEEEE10hipError_tT0_T1_T2_jT3_P12ihipStream_tbPNSt15iterator_traitsISE_E10value_typeEPNSK_ISF_E10value_typeEPSG_NS1_7vsmem_tEENKUlT_SE_SF_SG_E_clIS8_S8_S9_S9_EESD_ST_SE_SF_SG_EUlST_E_NS1_11comp_targetILNS1_3genE3ELNS1_11target_archE908ELNS1_3gpuE7ELNS1_3repE0EEENS1_48merge_mergepath_partition_config_static_selectorELNS0_4arch9wavefront6targetE0EEEvSF_.num_named_barrier, 0
	.set _ZN7rocprim17ROCPRIM_400000_NS6detail17trampoline_kernelINS0_14default_configENS1_38merge_sort_block_merge_config_selectorIdNS0_10empty_typeEEEZZNS1_27merge_sort_block_merge_implIS3_PdPS5_jNS1_19radix_merge_compareILb1ELb0EdNS0_19identity_decomposerEEEEE10hipError_tT0_T1_T2_jT3_P12ihipStream_tbPNSt15iterator_traitsISE_E10value_typeEPNSK_ISF_E10value_typeEPSG_NS1_7vsmem_tEENKUlT_SE_SF_SG_E_clIS8_S8_S9_S9_EESD_ST_SE_SF_SG_EUlST_E_NS1_11comp_targetILNS1_3genE3ELNS1_11target_archE908ELNS1_3gpuE7ELNS1_3repE0EEENS1_48merge_mergepath_partition_config_static_selectorELNS0_4arch9wavefront6targetE0EEEvSF_.private_seg_size, 0
	.set _ZN7rocprim17ROCPRIM_400000_NS6detail17trampoline_kernelINS0_14default_configENS1_38merge_sort_block_merge_config_selectorIdNS0_10empty_typeEEEZZNS1_27merge_sort_block_merge_implIS3_PdPS5_jNS1_19radix_merge_compareILb1ELb0EdNS0_19identity_decomposerEEEEE10hipError_tT0_T1_T2_jT3_P12ihipStream_tbPNSt15iterator_traitsISE_E10value_typeEPNSK_ISF_E10value_typeEPSG_NS1_7vsmem_tEENKUlT_SE_SF_SG_E_clIS8_S8_S9_S9_EESD_ST_SE_SF_SG_EUlST_E_NS1_11comp_targetILNS1_3genE3ELNS1_11target_archE908ELNS1_3gpuE7ELNS1_3repE0EEENS1_48merge_mergepath_partition_config_static_selectorELNS0_4arch9wavefront6targetE0EEEvSF_.uses_vcc, 0
	.set _ZN7rocprim17ROCPRIM_400000_NS6detail17trampoline_kernelINS0_14default_configENS1_38merge_sort_block_merge_config_selectorIdNS0_10empty_typeEEEZZNS1_27merge_sort_block_merge_implIS3_PdPS5_jNS1_19radix_merge_compareILb1ELb0EdNS0_19identity_decomposerEEEEE10hipError_tT0_T1_T2_jT3_P12ihipStream_tbPNSt15iterator_traitsISE_E10value_typeEPNSK_ISF_E10value_typeEPSG_NS1_7vsmem_tEENKUlT_SE_SF_SG_E_clIS8_S8_S9_S9_EESD_ST_SE_SF_SG_EUlST_E_NS1_11comp_targetILNS1_3genE3ELNS1_11target_archE908ELNS1_3gpuE7ELNS1_3repE0EEENS1_48merge_mergepath_partition_config_static_selectorELNS0_4arch9wavefront6targetE0EEEvSF_.uses_flat_scratch, 0
	.set _ZN7rocprim17ROCPRIM_400000_NS6detail17trampoline_kernelINS0_14default_configENS1_38merge_sort_block_merge_config_selectorIdNS0_10empty_typeEEEZZNS1_27merge_sort_block_merge_implIS3_PdPS5_jNS1_19radix_merge_compareILb1ELb0EdNS0_19identity_decomposerEEEEE10hipError_tT0_T1_T2_jT3_P12ihipStream_tbPNSt15iterator_traitsISE_E10value_typeEPNSK_ISF_E10value_typeEPSG_NS1_7vsmem_tEENKUlT_SE_SF_SG_E_clIS8_S8_S9_S9_EESD_ST_SE_SF_SG_EUlST_E_NS1_11comp_targetILNS1_3genE3ELNS1_11target_archE908ELNS1_3gpuE7ELNS1_3repE0EEENS1_48merge_mergepath_partition_config_static_selectorELNS0_4arch9wavefront6targetE0EEEvSF_.has_dyn_sized_stack, 0
	.set _ZN7rocprim17ROCPRIM_400000_NS6detail17trampoline_kernelINS0_14default_configENS1_38merge_sort_block_merge_config_selectorIdNS0_10empty_typeEEEZZNS1_27merge_sort_block_merge_implIS3_PdPS5_jNS1_19radix_merge_compareILb1ELb0EdNS0_19identity_decomposerEEEEE10hipError_tT0_T1_T2_jT3_P12ihipStream_tbPNSt15iterator_traitsISE_E10value_typeEPNSK_ISF_E10value_typeEPSG_NS1_7vsmem_tEENKUlT_SE_SF_SG_E_clIS8_S8_S9_S9_EESD_ST_SE_SF_SG_EUlST_E_NS1_11comp_targetILNS1_3genE3ELNS1_11target_archE908ELNS1_3gpuE7ELNS1_3repE0EEENS1_48merge_mergepath_partition_config_static_selectorELNS0_4arch9wavefront6targetE0EEEvSF_.has_recursion, 0
	.set _ZN7rocprim17ROCPRIM_400000_NS6detail17trampoline_kernelINS0_14default_configENS1_38merge_sort_block_merge_config_selectorIdNS0_10empty_typeEEEZZNS1_27merge_sort_block_merge_implIS3_PdPS5_jNS1_19radix_merge_compareILb1ELb0EdNS0_19identity_decomposerEEEEE10hipError_tT0_T1_T2_jT3_P12ihipStream_tbPNSt15iterator_traitsISE_E10value_typeEPNSK_ISF_E10value_typeEPSG_NS1_7vsmem_tEENKUlT_SE_SF_SG_E_clIS8_S8_S9_S9_EESD_ST_SE_SF_SG_EUlST_E_NS1_11comp_targetILNS1_3genE3ELNS1_11target_archE908ELNS1_3gpuE7ELNS1_3repE0EEENS1_48merge_mergepath_partition_config_static_selectorELNS0_4arch9wavefront6targetE0EEEvSF_.has_indirect_call, 0
	.section	.AMDGPU.csdata,"",@progbits
; Kernel info:
; codeLenInByte = 0
; TotalNumSgprs: 0
; NumVgprs: 0
; ScratchSize: 0
; MemoryBound: 0
; FloatMode: 240
; IeeeMode: 1
; LDSByteSize: 0 bytes/workgroup (compile time only)
; SGPRBlocks: 0
; VGPRBlocks: 0
; NumSGPRsForWavesPerEU: 1
; NumVGPRsForWavesPerEU: 1
; NamedBarCnt: 0
; Occupancy: 16
; WaveLimiterHint : 0
; COMPUTE_PGM_RSRC2:SCRATCH_EN: 0
; COMPUTE_PGM_RSRC2:USER_SGPR: 2
; COMPUTE_PGM_RSRC2:TRAP_HANDLER: 0
; COMPUTE_PGM_RSRC2:TGID_X_EN: 1
; COMPUTE_PGM_RSRC2:TGID_Y_EN: 0
; COMPUTE_PGM_RSRC2:TGID_Z_EN: 0
; COMPUTE_PGM_RSRC2:TIDIG_COMP_CNT: 0
	.section	.text._ZN7rocprim17ROCPRIM_400000_NS6detail17trampoline_kernelINS0_14default_configENS1_38merge_sort_block_merge_config_selectorIdNS0_10empty_typeEEEZZNS1_27merge_sort_block_merge_implIS3_PdPS5_jNS1_19radix_merge_compareILb1ELb0EdNS0_19identity_decomposerEEEEE10hipError_tT0_T1_T2_jT3_P12ihipStream_tbPNSt15iterator_traitsISE_E10value_typeEPNSK_ISF_E10value_typeEPSG_NS1_7vsmem_tEENKUlT_SE_SF_SG_E_clIS8_S8_S9_S9_EESD_ST_SE_SF_SG_EUlST_E_NS1_11comp_targetILNS1_3genE2ELNS1_11target_archE906ELNS1_3gpuE6ELNS1_3repE0EEENS1_48merge_mergepath_partition_config_static_selectorELNS0_4arch9wavefront6targetE0EEEvSF_,"axG",@progbits,_ZN7rocprim17ROCPRIM_400000_NS6detail17trampoline_kernelINS0_14default_configENS1_38merge_sort_block_merge_config_selectorIdNS0_10empty_typeEEEZZNS1_27merge_sort_block_merge_implIS3_PdPS5_jNS1_19radix_merge_compareILb1ELb0EdNS0_19identity_decomposerEEEEE10hipError_tT0_T1_T2_jT3_P12ihipStream_tbPNSt15iterator_traitsISE_E10value_typeEPNSK_ISF_E10value_typeEPSG_NS1_7vsmem_tEENKUlT_SE_SF_SG_E_clIS8_S8_S9_S9_EESD_ST_SE_SF_SG_EUlST_E_NS1_11comp_targetILNS1_3genE2ELNS1_11target_archE906ELNS1_3gpuE6ELNS1_3repE0EEENS1_48merge_mergepath_partition_config_static_selectorELNS0_4arch9wavefront6targetE0EEEvSF_,comdat
	.protected	_ZN7rocprim17ROCPRIM_400000_NS6detail17trampoline_kernelINS0_14default_configENS1_38merge_sort_block_merge_config_selectorIdNS0_10empty_typeEEEZZNS1_27merge_sort_block_merge_implIS3_PdPS5_jNS1_19radix_merge_compareILb1ELb0EdNS0_19identity_decomposerEEEEE10hipError_tT0_T1_T2_jT3_P12ihipStream_tbPNSt15iterator_traitsISE_E10value_typeEPNSK_ISF_E10value_typeEPSG_NS1_7vsmem_tEENKUlT_SE_SF_SG_E_clIS8_S8_S9_S9_EESD_ST_SE_SF_SG_EUlST_E_NS1_11comp_targetILNS1_3genE2ELNS1_11target_archE906ELNS1_3gpuE6ELNS1_3repE0EEENS1_48merge_mergepath_partition_config_static_selectorELNS0_4arch9wavefront6targetE0EEEvSF_ ; -- Begin function _ZN7rocprim17ROCPRIM_400000_NS6detail17trampoline_kernelINS0_14default_configENS1_38merge_sort_block_merge_config_selectorIdNS0_10empty_typeEEEZZNS1_27merge_sort_block_merge_implIS3_PdPS5_jNS1_19radix_merge_compareILb1ELb0EdNS0_19identity_decomposerEEEEE10hipError_tT0_T1_T2_jT3_P12ihipStream_tbPNSt15iterator_traitsISE_E10value_typeEPNSK_ISF_E10value_typeEPSG_NS1_7vsmem_tEENKUlT_SE_SF_SG_E_clIS8_S8_S9_S9_EESD_ST_SE_SF_SG_EUlST_E_NS1_11comp_targetILNS1_3genE2ELNS1_11target_archE906ELNS1_3gpuE6ELNS1_3repE0EEENS1_48merge_mergepath_partition_config_static_selectorELNS0_4arch9wavefront6targetE0EEEvSF_
	.globl	_ZN7rocprim17ROCPRIM_400000_NS6detail17trampoline_kernelINS0_14default_configENS1_38merge_sort_block_merge_config_selectorIdNS0_10empty_typeEEEZZNS1_27merge_sort_block_merge_implIS3_PdPS5_jNS1_19radix_merge_compareILb1ELb0EdNS0_19identity_decomposerEEEEE10hipError_tT0_T1_T2_jT3_P12ihipStream_tbPNSt15iterator_traitsISE_E10value_typeEPNSK_ISF_E10value_typeEPSG_NS1_7vsmem_tEENKUlT_SE_SF_SG_E_clIS8_S8_S9_S9_EESD_ST_SE_SF_SG_EUlST_E_NS1_11comp_targetILNS1_3genE2ELNS1_11target_archE906ELNS1_3gpuE6ELNS1_3repE0EEENS1_48merge_mergepath_partition_config_static_selectorELNS0_4arch9wavefront6targetE0EEEvSF_
	.p2align	8
	.type	_ZN7rocprim17ROCPRIM_400000_NS6detail17trampoline_kernelINS0_14default_configENS1_38merge_sort_block_merge_config_selectorIdNS0_10empty_typeEEEZZNS1_27merge_sort_block_merge_implIS3_PdPS5_jNS1_19radix_merge_compareILb1ELb0EdNS0_19identity_decomposerEEEEE10hipError_tT0_T1_T2_jT3_P12ihipStream_tbPNSt15iterator_traitsISE_E10value_typeEPNSK_ISF_E10value_typeEPSG_NS1_7vsmem_tEENKUlT_SE_SF_SG_E_clIS8_S8_S9_S9_EESD_ST_SE_SF_SG_EUlST_E_NS1_11comp_targetILNS1_3genE2ELNS1_11target_archE906ELNS1_3gpuE6ELNS1_3repE0EEENS1_48merge_mergepath_partition_config_static_selectorELNS0_4arch9wavefront6targetE0EEEvSF_,@function
_ZN7rocprim17ROCPRIM_400000_NS6detail17trampoline_kernelINS0_14default_configENS1_38merge_sort_block_merge_config_selectorIdNS0_10empty_typeEEEZZNS1_27merge_sort_block_merge_implIS3_PdPS5_jNS1_19radix_merge_compareILb1ELb0EdNS0_19identity_decomposerEEEEE10hipError_tT0_T1_T2_jT3_P12ihipStream_tbPNSt15iterator_traitsISE_E10value_typeEPNSK_ISF_E10value_typeEPSG_NS1_7vsmem_tEENKUlT_SE_SF_SG_E_clIS8_S8_S9_S9_EESD_ST_SE_SF_SG_EUlST_E_NS1_11comp_targetILNS1_3genE2ELNS1_11target_archE906ELNS1_3gpuE6ELNS1_3repE0EEENS1_48merge_mergepath_partition_config_static_selectorELNS0_4arch9wavefront6targetE0EEEvSF_: ; @_ZN7rocprim17ROCPRIM_400000_NS6detail17trampoline_kernelINS0_14default_configENS1_38merge_sort_block_merge_config_selectorIdNS0_10empty_typeEEEZZNS1_27merge_sort_block_merge_implIS3_PdPS5_jNS1_19radix_merge_compareILb1ELb0EdNS0_19identity_decomposerEEEEE10hipError_tT0_T1_T2_jT3_P12ihipStream_tbPNSt15iterator_traitsISE_E10value_typeEPNSK_ISF_E10value_typeEPSG_NS1_7vsmem_tEENKUlT_SE_SF_SG_E_clIS8_S8_S9_S9_EESD_ST_SE_SF_SG_EUlST_E_NS1_11comp_targetILNS1_3genE2ELNS1_11target_archE906ELNS1_3gpuE6ELNS1_3repE0EEENS1_48merge_mergepath_partition_config_static_selectorELNS0_4arch9wavefront6targetE0EEEvSF_
; %bb.0:
	.section	.rodata,"a",@progbits
	.p2align	6, 0x0
	.amdhsa_kernel _ZN7rocprim17ROCPRIM_400000_NS6detail17trampoline_kernelINS0_14default_configENS1_38merge_sort_block_merge_config_selectorIdNS0_10empty_typeEEEZZNS1_27merge_sort_block_merge_implIS3_PdPS5_jNS1_19radix_merge_compareILb1ELb0EdNS0_19identity_decomposerEEEEE10hipError_tT0_T1_T2_jT3_P12ihipStream_tbPNSt15iterator_traitsISE_E10value_typeEPNSK_ISF_E10value_typeEPSG_NS1_7vsmem_tEENKUlT_SE_SF_SG_E_clIS8_S8_S9_S9_EESD_ST_SE_SF_SG_EUlST_E_NS1_11comp_targetILNS1_3genE2ELNS1_11target_archE906ELNS1_3gpuE6ELNS1_3repE0EEENS1_48merge_mergepath_partition_config_static_selectorELNS0_4arch9wavefront6targetE0EEEvSF_
		.amdhsa_group_segment_fixed_size 0
		.amdhsa_private_segment_fixed_size 0
		.amdhsa_kernarg_size 40
		.amdhsa_user_sgpr_count 2
		.amdhsa_user_sgpr_dispatch_ptr 0
		.amdhsa_user_sgpr_queue_ptr 0
		.amdhsa_user_sgpr_kernarg_segment_ptr 1
		.amdhsa_user_sgpr_dispatch_id 0
		.amdhsa_user_sgpr_kernarg_preload_length 0
		.amdhsa_user_sgpr_kernarg_preload_offset 0
		.amdhsa_user_sgpr_private_segment_size 0
		.amdhsa_wavefront_size32 1
		.amdhsa_uses_dynamic_stack 0
		.amdhsa_enable_private_segment 0
		.amdhsa_system_sgpr_workgroup_id_x 1
		.amdhsa_system_sgpr_workgroup_id_y 0
		.amdhsa_system_sgpr_workgroup_id_z 0
		.amdhsa_system_sgpr_workgroup_info 0
		.amdhsa_system_vgpr_workitem_id 0
		.amdhsa_next_free_vgpr 1
		.amdhsa_next_free_sgpr 1
		.amdhsa_named_barrier_count 0
		.amdhsa_reserve_vcc 0
		.amdhsa_float_round_mode_32 0
		.amdhsa_float_round_mode_16_64 0
		.amdhsa_float_denorm_mode_32 3
		.amdhsa_float_denorm_mode_16_64 3
		.amdhsa_fp16_overflow 0
		.amdhsa_memory_ordered 1
		.amdhsa_forward_progress 1
		.amdhsa_inst_pref_size 0
		.amdhsa_round_robin_scheduling 0
		.amdhsa_exception_fp_ieee_invalid_op 0
		.amdhsa_exception_fp_denorm_src 0
		.amdhsa_exception_fp_ieee_div_zero 0
		.amdhsa_exception_fp_ieee_overflow 0
		.amdhsa_exception_fp_ieee_underflow 0
		.amdhsa_exception_fp_ieee_inexact 0
		.amdhsa_exception_int_div_zero 0
	.end_amdhsa_kernel
	.section	.text._ZN7rocprim17ROCPRIM_400000_NS6detail17trampoline_kernelINS0_14default_configENS1_38merge_sort_block_merge_config_selectorIdNS0_10empty_typeEEEZZNS1_27merge_sort_block_merge_implIS3_PdPS5_jNS1_19radix_merge_compareILb1ELb0EdNS0_19identity_decomposerEEEEE10hipError_tT0_T1_T2_jT3_P12ihipStream_tbPNSt15iterator_traitsISE_E10value_typeEPNSK_ISF_E10value_typeEPSG_NS1_7vsmem_tEENKUlT_SE_SF_SG_E_clIS8_S8_S9_S9_EESD_ST_SE_SF_SG_EUlST_E_NS1_11comp_targetILNS1_3genE2ELNS1_11target_archE906ELNS1_3gpuE6ELNS1_3repE0EEENS1_48merge_mergepath_partition_config_static_selectorELNS0_4arch9wavefront6targetE0EEEvSF_,"axG",@progbits,_ZN7rocprim17ROCPRIM_400000_NS6detail17trampoline_kernelINS0_14default_configENS1_38merge_sort_block_merge_config_selectorIdNS0_10empty_typeEEEZZNS1_27merge_sort_block_merge_implIS3_PdPS5_jNS1_19radix_merge_compareILb1ELb0EdNS0_19identity_decomposerEEEEE10hipError_tT0_T1_T2_jT3_P12ihipStream_tbPNSt15iterator_traitsISE_E10value_typeEPNSK_ISF_E10value_typeEPSG_NS1_7vsmem_tEENKUlT_SE_SF_SG_E_clIS8_S8_S9_S9_EESD_ST_SE_SF_SG_EUlST_E_NS1_11comp_targetILNS1_3genE2ELNS1_11target_archE906ELNS1_3gpuE6ELNS1_3repE0EEENS1_48merge_mergepath_partition_config_static_selectorELNS0_4arch9wavefront6targetE0EEEvSF_,comdat
.Lfunc_end1465:
	.size	_ZN7rocprim17ROCPRIM_400000_NS6detail17trampoline_kernelINS0_14default_configENS1_38merge_sort_block_merge_config_selectorIdNS0_10empty_typeEEEZZNS1_27merge_sort_block_merge_implIS3_PdPS5_jNS1_19radix_merge_compareILb1ELb0EdNS0_19identity_decomposerEEEEE10hipError_tT0_T1_T2_jT3_P12ihipStream_tbPNSt15iterator_traitsISE_E10value_typeEPNSK_ISF_E10value_typeEPSG_NS1_7vsmem_tEENKUlT_SE_SF_SG_E_clIS8_S8_S9_S9_EESD_ST_SE_SF_SG_EUlST_E_NS1_11comp_targetILNS1_3genE2ELNS1_11target_archE906ELNS1_3gpuE6ELNS1_3repE0EEENS1_48merge_mergepath_partition_config_static_selectorELNS0_4arch9wavefront6targetE0EEEvSF_, .Lfunc_end1465-_ZN7rocprim17ROCPRIM_400000_NS6detail17trampoline_kernelINS0_14default_configENS1_38merge_sort_block_merge_config_selectorIdNS0_10empty_typeEEEZZNS1_27merge_sort_block_merge_implIS3_PdPS5_jNS1_19radix_merge_compareILb1ELb0EdNS0_19identity_decomposerEEEEE10hipError_tT0_T1_T2_jT3_P12ihipStream_tbPNSt15iterator_traitsISE_E10value_typeEPNSK_ISF_E10value_typeEPSG_NS1_7vsmem_tEENKUlT_SE_SF_SG_E_clIS8_S8_S9_S9_EESD_ST_SE_SF_SG_EUlST_E_NS1_11comp_targetILNS1_3genE2ELNS1_11target_archE906ELNS1_3gpuE6ELNS1_3repE0EEENS1_48merge_mergepath_partition_config_static_selectorELNS0_4arch9wavefront6targetE0EEEvSF_
                                        ; -- End function
	.set _ZN7rocprim17ROCPRIM_400000_NS6detail17trampoline_kernelINS0_14default_configENS1_38merge_sort_block_merge_config_selectorIdNS0_10empty_typeEEEZZNS1_27merge_sort_block_merge_implIS3_PdPS5_jNS1_19radix_merge_compareILb1ELb0EdNS0_19identity_decomposerEEEEE10hipError_tT0_T1_T2_jT3_P12ihipStream_tbPNSt15iterator_traitsISE_E10value_typeEPNSK_ISF_E10value_typeEPSG_NS1_7vsmem_tEENKUlT_SE_SF_SG_E_clIS8_S8_S9_S9_EESD_ST_SE_SF_SG_EUlST_E_NS1_11comp_targetILNS1_3genE2ELNS1_11target_archE906ELNS1_3gpuE6ELNS1_3repE0EEENS1_48merge_mergepath_partition_config_static_selectorELNS0_4arch9wavefront6targetE0EEEvSF_.num_vgpr, 0
	.set _ZN7rocprim17ROCPRIM_400000_NS6detail17trampoline_kernelINS0_14default_configENS1_38merge_sort_block_merge_config_selectorIdNS0_10empty_typeEEEZZNS1_27merge_sort_block_merge_implIS3_PdPS5_jNS1_19radix_merge_compareILb1ELb0EdNS0_19identity_decomposerEEEEE10hipError_tT0_T1_T2_jT3_P12ihipStream_tbPNSt15iterator_traitsISE_E10value_typeEPNSK_ISF_E10value_typeEPSG_NS1_7vsmem_tEENKUlT_SE_SF_SG_E_clIS8_S8_S9_S9_EESD_ST_SE_SF_SG_EUlST_E_NS1_11comp_targetILNS1_3genE2ELNS1_11target_archE906ELNS1_3gpuE6ELNS1_3repE0EEENS1_48merge_mergepath_partition_config_static_selectorELNS0_4arch9wavefront6targetE0EEEvSF_.num_agpr, 0
	.set _ZN7rocprim17ROCPRIM_400000_NS6detail17trampoline_kernelINS0_14default_configENS1_38merge_sort_block_merge_config_selectorIdNS0_10empty_typeEEEZZNS1_27merge_sort_block_merge_implIS3_PdPS5_jNS1_19radix_merge_compareILb1ELb0EdNS0_19identity_decomposerEEEEE10hipError_tT0_T1_T2_jT3_P12ihipStream_tbPNSt15iterator_traitsISE_E10value_typeEPNSK_ISF_E10value_typeEPSG_NS1_7vsmem_tEENKUlT_SE_SF_SG_E_clIS8_S8_S9_S9_EESD_ST_SE_SF_SG_EUlST_E_NS1_11comp_targetILNS1_3genE2ELNS1_11target_archE906ELNS1_3gpuE6ELNS1_3repE0EEENS1_48merge_mergepath_partition_config_static_selectorELNS0_4arch9wavefront6targetE0EEEvSF_.numbered_sgpr, 0
	.set _ZN7rocprim17ROCPRIM_400000_NS6detail17trampoline_kernelINS0_14default_configENS1_38merge_sort_block_merge_config_selectorIdNS0_10empty_typeEEEZZNS1_27merge_sort_block_merge_implIS3_PdPS5_jNS1_19radix_merge_compareILb1ELb0EdNS0_19identity_decomposerEEEEE10hipError_tT0_T1_T2_jT3_P12ihipStream_tbPNSt15iterator_traitsISE_E10value_typeEPNSK_ISF_E10value_typeEPSG_NS1_7vsmem_tEENKUlT_SE_SF_SG_E_clIS8_S8_S9_S9_EESD_ST_SE_SF_SG_EUlST_E_NS1_11comp_targetILNS1_3genE2ELNS1_11target_archE906ELNS1_3gpuE6ELNS1_3repE0EEENS1_48merge_mergepath_partition_config_static_selectorELNS0_4arch9wavefront6targetE0EEEvSF_.num_named_barrier, 0
	.set _ZN7rocprim17ROCPRIM_400000_NS6detail17trampoline_kernelINS0_14default_configENS1_38merge_sort_block_merge_config_selectorIdNS0_10empty_typeEEEZZNS1_27merge_sort_block_merge_implIS3_PdPS5_jNS1_19radix_merge_compareILb1ELb0EdNS0_19identity_decomposerEEEEE10hipError_tT0_T1_T2_jT3_P12ihipStream_tbPNSt15iterator_traitsISE_E10value_typeEPNSK_ISF_E10value_typeEPSG_NS1_7vsmem_tEENKUlT_SE_SF_SG_E_clIS8_S8_S9_S9_EESD_ST_SE_SF_SG_EUlST_E_NS1_11comp_targetILNS1_3genE2ELNS1_11target_archE906ELNS1_3gpuE6ELNS1_3repE0EEENS1_48merge_mergepath_partition_config_static_selectorELNS0_4arch9wavefront6targetE0EEEvSF_.private_seg_size, 0
	.set _ZN7rocprim17ROCPRIM_400000_NS6detail17trampoline_kernelINS0_14default_configENS1_38merge_sort_block_merge_config_selectorIdNS0_10empty_typeEEEZZNS1_27merge_sort_block_merge_implIS3_PdPS5_jNS1_19radix_merge_compareILb1ELb0EdNS0_19identity_decomposerEEEEE10hipError_tT0_T1_T2_jT3_P12ihipStream_tbPNSt15iterator_traitsISE_E10value_typeEPNSK_ISF_E10value_typeEPSG_NS1_7vsmem_tEENKUlT_SE_SF_SG_E_clIS8_S8_S9_S9_EESD_ST_SE_SF_SG_EUlST_E_NS1_11comp_targetILNS1_3genE2ELNS1_11target_archE906ELNS1_3gpuE6ELNS1_3repE0EEENS1_48merge_mergepath_partition_config_static_selectorELNS0_4arch9wavefront6targetE0EEEvSF_.uses_vcc, 0
	.set _ZN7rocprim17ROCPRIM_400000_NS6detail17trampoline_kernelINS0_14default_configENS1_38merge_sort_block_merge_config_selectorIdNS0_10empty_typeEEEZZNS1_27merge_sort_block_merge_implIS3_PdPS5_jNS1_19radix_merge_compareILb1ELb0EdNS0_19identity_decomposerEEEEE10hipError_tT0_T1_T2_jT3_P12ihipStream_tbPNSt15iterator_traitsISE_E10value_typeEPNSK_ISF_E10value_typeEPSG_NS1_7vsmem_tEENKUlT_SE_SF_SG_E_clIS8_S8_S9_S9_EESD_ST_SE_SF_SG_EUlST_E_NS1_11comp_targetILNS1_3genE2ELNS1_11target_archE906ELNS1_3gpuE6ELNS1_3repE0EEENS1_48merge_mergepath_partition_config_static_selectorELNS0_4arch9wavefront6targetE0EEEvSF_.uses_flat_scratch, 0
	.set _ZN7rocprim17ROCPRIM_400000_NS6detail17trampoline_kernelINS0_14default_configENS1_38merge_sort_block_merge_config_selectorIdNS0_10empty_typeEEEZZNS1_27merge_sort_block_merge_implIS3_PdPS5_jNS1_19radix_merge_compareILb1ELb0EdNS0_19identity_decomposerEEEEE10hipError_tT0_T1_T2_jT3_P12ihipStream_tbPNSt15iterator_traitsISE_E10value_typeEPNSK_ISF_E10value_typeEPSG_NS1_7vsmem_tEENKUlT_SE_SF_SG_E_clIS8_S8_S9_S9_EESD_ST_SE_SF_SG_EUlST_E_NS1_11comp_targetILNS1_3genE2ELNS1_11target_archE906ELNS1_3gpuE6ELNS1_3repE0EEENS1_48merge_mergepath_partition_config_static_selectorELNS0_4arch9wavefront6targetE0EEEvSF_.has_dyn_sized_stack, 0
	.set _ZN7rocprim17ROCPRIM_400000_NS6detail17trampoline_kernelINS0_14default_configENS1_38merge_sort_block_merge_config_selectorIdNS0_10empty_typeEEEZZNS1_27merge_sort_block_merge_implIS3_PdPS5_jNS1_19radix_merge_compareILb1ELb0EdNS0_19identity_decomposerEEEEE10hipError_tT0_T1_T2_jT3_P12ihipStream_tbPNSt15iterator_traitsISE_E10value_typeEPNSK_ISF_E10value_typeEPSG_NS1_7vsmem_tEENKUlT_SE_SF_SG_E_clIS8_S8_S9_S9_EESD_ST_SE_SF_SG_EUlST_E_NS1_11comp_targetILNS1_3genE2ELNS1_11target_archE906ELNS1_3gpuE6ELNS1_3repE0EEENS1_48merge_mergepath_partition_config_static_selectorELNS0_4arch9wavefront6targetE0EEEvSF_.has_recursion, 0
	.set _ZN7rocprim17ROCPRIM_400000_NS6detail17trampoline_kernelINS0_14default_configENS1_38merge_sort_block_merge_config_selectorIdNS0_10empty_typeEEEZZNS1_27merge_sort_block_merge_implIS3_PdPS5_jNS1_19radix_merge_compareILb1ELb0EdNS0_19identity_decomposerEEEEE10hipError_tT0_T1_T2_jT3_P12ihipStream_tbPNSt15iterator_traitsISE_E10value_typeEPNSK_ISF_E10value_typeEPSG_NS1_7vsmem_tEENKUlT_SE_SF_SG_E_clIS8_S8_S9_S9_EESD_ST_SE_SF_SG_EUlST_E_NS1_11comp_targetILNS1_3genE2ELNS1_11target_archE906ELNS1_3gpuE6ELNS1_3repE0EEENS1_48merge_mergepath_partition_config_static_selectorELNS0_4arch9wavefront6targetE0EEEvSF_.has_indirect_call, 0
	.section	.AMDGPU.csdata,"",@progbits
; Kernel info:
; codeLenInByte = 0
; TotalNumSgprs: 0
; NumVgprs: 0
; ScratchSize: 0
; MemoryBound: 0
; FloatMode: 240
; IeeeMode: 1
; LDSByteSize: 0 bytes/workgroup (compile time only)
; SGPRBlocks: 0
; VGPRBlocks: 0
; NumSGPRsForWavesPerEU: 1
; NumVGPRsForWavesPerEU: 1
; NamedBarCnt: 0
; Occupancy: 16
; WaveLimiterHint : 0
; COMPUTE_PGM_RSRC2:SCRATCH_EN: 0
; COMPUTE_PGM_RSRC2:USER_SGPR: 2
; COMPUTE_PGM_RSRC2:TRAP_HANDLER: 0
; COMPUTE_PGM_RSRC2:TGID_X_EN: 1
; COMPUTE_PGM_RSRC2:TGID_Y_EN: 0
; COMPUTE_PGM_RSRC2:TGID_Z_EN: 0
; COMPUTE_PGM_RSRC2:TIDIG_COMP_CNT: 0
	.section	.text._ZN7rocprim17ROCPRIM_400000_NS6detail17trampoline_kernelINS0_14default_configENS1_38merge_sort_block_merge_config_selectorIdNS0_10empty_typeEEEZZNS1_27merge_sort_block_merge_implIS3_PdPS5_jNS1_19radix_merge_compareILb1ELb0EdNS0_19identity_decomposerEEEEE10hipError_tT0_T1_T2_jT3_P12ihipStream_tbPNSt15iterator_traitsISE_E10value_typeEPNSK_ISF_E10value_typeEPSG_NS1_7vsmem_tEENKUlT_SE_SF_SG_E_clIS8_S8_S9_S9_EESD_ST_SE_SF_SG_EUlST_E_NS1_11comp_targetILNS1_3genE9ELNS1_11target_archE1100ELNS1_3gpuE3ELNS1_3repE0EEENS1_48merge_mergepath_partition_config_static_selectorELNS0_4arch9wavefront6targetE0EEEvSF_,"axG",@progbits,_ZN7rocprim17ROCPRIM_400000_NS6detail17trampoline_kernelINS0_14default_configENS1_38merge_sort_block_merge_config_selectorIdNS0_10empty_typeEEEZZNS1_27merge_sort_block_merge_implIS3_PdPS5_jNS1_19radix_merge_compareILb1ELb0EdNS0_19identity_decomposerEEEEE10hipError_tT0_T1_T2_jT3_P12ihipStream_tbPNSt15iterator_traitsISE_E10value_typeEPNSK_ISF_E10value_typeEPSG_NS1_7vsmem_tEENKUlT_SE_SF_SG_E_clIS8_S8_S9_S9_EESD_ST_SE_SF_SG_EUlST_E_NS1_11comp_targetILNS1_3genE9ELNS1_11target_archE1100ELNS1_3gpuE3ELNS1_3repE0EEENS1_48merge_mergepath_partition_config_static_selectorELNS0_4arch9wavefront6targetE0EEEvSF_,comdat
	.protected	_ZN7rocprim17ROCPRIM_400000_NS6detail17trampoline_kernelINS0_14default_configENS1_38merge_sort_block_merge_config_selectorIdNS0_10empty_typeEEEZZNS1_27merge_sort_block_merge_implIS3_PdPS5_jNS1_19radix_merge_compareILb1ELb0EdNS0_19identity_decomposerEEEEE10hipError_tT0_T1_T2_jT3_P12ihipStream_tbPNSt15iterator_traitsISE_E10value_typeEPNSK_ISF_E10value_typeEPSG_NS1_7vsmem_tEENKUlT_SE_SF_SG_E_clIS8_S8_S9_S9_EESD_ST_SE_SF_SG_EUlST_E_NS1_11comp_targetILNS1_3genE9ELNS1_11target_archE1100ELNS1_3gpuE3ELNS1_3repE0EEENS1_48merge_mergepath_partition_config_static_selectorELNS0_4arch9wavefront6targetE0EEEvSF_ ; -- Begin function _ZN7rocprim17ROCPRIM_400000_NS6detail17trampoline_kernelINS0_14default_configENS1_38merge_sort_block_merge_config_selectorIdNS0_10empty_typeEEEZZNS1_27merge_sort_block_merge_implIS3_PdPS5_jNS1_19radix_merge_compareILb1ELb0EdNS0_19identity_decomposerEEEEE10hipError_tT0_T1_T2_jT3_P12ihipStream_tbPNSt15iterator_traitsISE_E10value_typeEPNSK_ISF_E10value_typeEPSG_NS1_7vsmem_tEENKUlT_SE_SF_SG_E_clIS8_S8_S9_S9_EESD_ST_SE_SF_SG_EUlST_E_NS1_11comp_targetILNS1_3genE9ELNS1_11target_archE1100ELNS1_3gpuE3ELNS1_3repE0EEENS1_48merge_mergepath_partition_config_static_selectorELNS0_4arch9wavefront6targetE0EEEvSF_
	.globl	_ZN7rocprim17ROCPRIM_400000_NS6detail17trampoline_kernelINS0_14default_configENS1_38merge_sort_block_merge_config_selectorIdNS0_10empty_typeEEEZZNS1_27merge_sort_block_merge_implIS3_PdPS5_jNS1_19radix_merge_compareILb1ELb0EdNS0_19identity_decomposerEEEEE10hipError_tT0_T1_T2_jT3_P12ihipStream_tbPNSt15iterator_traitsISE_E10value_typeEPNSK_ISF_E10value_typeEPSG_NS1_7vsmem_tEENKUlT_SE_SF_SG_E_clIS8_S8_S9_S9_EESD_ST_SE_SF_SG_EUlST_E_NS1_11comp_targetILNS1_3genE9ELNS1_11target_archE1100ELNS1_3gpuE3ELNS1_3repE0EEENS1_48merge_mergepath_partition_config_static_selectorELNS0_4arch9wavefront6targetE0EEEvSF_
	.p2align	8
	.type	_ZN7rocprim17ROCPRIM_400000_NS6detail17trampoline_kernelINS0_14default_configENS1_38merge_sort_block_merge_config_selectorIdNS0_10empty_typeEEEZZNS1_27merge_sort_block_merge_implIS3_PdPS5_jNS1_19radix_merge_compareILb1ELb0EdNS0_19identity_decomposerEEEEE10hipError_tT0_T1_T2_jT3_P12ihipStream_tbPNSt15iterator_traitsISE_E10value_typeEPNSK_ISF_E10value_typeEPSG_NS1_7vsmem_tEENKUlT_SE_SF_SG_E_clIS8_S8_S9_S9_EESD_ST_SE_SF_SG_EUlST_E_NS1_11comp_targetILNS1_3genE9ELNS1_11target_archE1100ELNS1_3gpuE3ELNS1_3repE0EEENS1_48merge_mergepath_partition_config_static_selectorELNS0_4arch9wavefront6targetE0EEEvSF_,@function
_ZN7rocprim17ROCPRIM_400000_NS6detail17trampoline_kernelINS0_14default_configENS1_38merge_sort_block_merge_config_selectorIdNS0_10empty_typeEEEZZNS1_27merge_sort_block_merge_implIS3_PdPS5_jNS1_19radix_merge_compareILb1ELb0EdNS0_19identity_decomposerEEEEE10hipError_tT0_T1_T2_jT3_P12ihipStream_tbPNSt15iterator_traitsISE_E10value_typeEPNSK_ISF_E10value_typeEPSG_NS1_7vsmem_tEENKUlT_SE_SF_SG_E_clIS8_S8_S9_S9_EESD_ST_SE_SF_SG_EUlST_E_NS1_11comp_targetILNS1_3genE9ELNS1_11target_archE1100ELNS1_3gpuE3ELNS1_3repE0EEENS1_48merge_mergepath_partition_config_static_selectorELNS0_4arch9wavefront6targetE0EEEvSF_: ; @_ZN7rocprim17ROCPRIM_400000_NS6detail17trampoline_kernelINS0_14default_configENS1_38merge_sort_block_merge_config_selectorIdNS0_10empty_typeEEEZZNS1_27merge_sort_block_merge_implIS3_PdPS5_jNS1_19radix_merge_compareILb1ELb0EdNS0_19identity_decomposerEEEEE10hipError_tT0_T1_T2_jT3_P12ihipStream_tbPNSt15iterator_traitsISE_E10value_typeEPNSK_ISF_E10value_typeEPSG_NS1_7vsmem_tEENKUlT_SE_SF_SG_E_clIS8_S8_S9_S9_EESD_ST_SE_SF_SG_EUlST_E_NS1_11comp_targetILNS1_3genE9ELNS1_11target_archE1100ELNS1_3gpuE3ELNS1_3repE0EEENS1_48merge_mergepath_partition_config_static_selectorELNS0_4arch9wavefront6targetE0EEEvSF_
; %bb.0:
	.section	.rodata,"a",@progbits
	.p2align	6, 0x0
	.amdhsa_kernel _ZN7rocprim17ROCPRIM_400000_NS6detail17trampoline_kernelINS0_14default_configENS1_38merge_sort_block_merge_config_selectorIdNS0_10empty_typeEEEZZNS1_27merge_sort_block_merge_implIS3_PdPS5_jNS1_19radix_merge_compareILb1ELb0EdNS0_19identity_decomposerEEEEE10hipError_tT0_T1_T2_jT3_P12ihipStream_tbPNSt15iterator_traitsISE_E10value_typeEPNSK_ISF_E10value_typeEPSG_NS1_7vsmem_tEENKUlT_SE_SF_SG_E_clIS8_S8_S9_S9_EESD_ST_SE_SF_SG_EUlST_E_NS1_11comp_targetILNS1_3genE9ELNS1_11target_archE1100ELNS1_3gpuE3ELNS1_3repE0EEENS1_48merge_mergepath_partition_config_static_selectorELNS0_4arch9wavefront6targetE0EEEvSF_
		.amdhsa_group_segment_fixed_size 0
		.amdhsa_private_segment_fixed_size 0
		.amdhsa_kernarg_size 40
		.amdhsa_user_sgpr_count 2
		.amdhsa_user_sgpr_dispatch_ptr 0
		.amdhsa_user_sgpr_queue_ptr 0
		.amdhsa_user_sgpr_kernarg_segment_ptr 1
		.amdhsa_user_sgpr_dispatch_id 0
		.amdhsa_user_sgpr_kernarg_preload_length 0
		.amdhsa_user_sgpr_kernarg_preload_offset 0
		.amdhsa_user_sgpr_private_segment_size 0
		.amdhsa_wavefront_size32 1
		.amdhsa_uses_dynamic_stack 0
		.amdhsa_enable_private_segment 0
		.amdhsa_system_sgpr_workgroup_id_x 1
		.amdhsa_system_sgpr_workgroup_id_y 0
		.amdhsa_system_sgpr_workgroup_id_z 0
		.amdhsa_system_sgpr_workgroup_info 0
		.amdhsa_system_vgpr_workitem_id 0
		.amdhsa_next_free_vgpr 1
		.amdhsa_next_free_sgpr 1
		.amdhsa_named_barrier_count 0
		.amdhsa_reserve_vcc 0
		.amdhsa_float_round_mode_32 0
		.amdhsa_float_round_mode_16_64 0
		.amdhsa_float_denorm_mode_32 3
		.amdhsa_float_denorm_mode_16_64 3
		.amdhsa_fp16_overflow 0
		.amdhsa_memory_ordered 1
		.amdhsa_forward_progress 1
		.amdhsa_inst_pref_size 0
		.amdhsa_round_robin_scheduling 0
		.amdhsa_exception_fp_ieee_invalid_op 0
		.amdhsa_exception_fp_denorm_src 0
		.amdhsa_exception_fp_ieee_div_zero 0
		.amdhsa_exception_fp_ieee_overflow 0
		.amdhsa_exception_fp_ieee_underflow 0
		.amdhsa_exception_fp_ieee_inexact 0
		.amdhsa_exception_int_div_zero 0
	.end_amdhsa_kernel
	.section	.text._ZN7rocprim17ROCPRIM_400000_NS6detail17trampoline_kernelINS0_14default_configENS1_38merge_sort_block_merge_config_selectorIdNS0_10empty_typeEEEZZNS1_27merge_sort_block_merge_implIS3_PdPS5_jNS1_19radix_merge_compareILb1ELb0EdNS0_19identity_decomposerEEEEE10hipError_tT0_T1_T2_jT3_P12ihipStream_tbPNSt15iterator_traitsISE_E10value_typeEPNSK_ISF_E10value_typeEPSG_NS1_7vsmem_tEENKUlT_SE_SF_SG_E_clIS8_S8_S9_S9_EESD_ST_SE_SF_SG_EUlST_E_NS1_11comp_targetILNS1_3genE9ELNS1_11target_archE1100ELNS1_3gpuE3ELNS1_3repE0EEENS1_48merge_mergepath_partition_config_static_selectorELNS0_4arch9wavefront6targetE0EEEvSF_,"axG",@progbits,_ZN7rocprim17ROCPRIM_400000_NS6detail17trampoline_kernelINS0_14default_configENS1_38merge_sort_block_merge_config_selectorIdNS0_10empty_typeEEEZZNS1_27merge_sort_block_merge_implIS3_PdPS5_jNS1_19radix_merge_compareILb1ELb0EdNS0_19identity_decomposerEEEEE10hipError_tT0_T1_T2_jT3_P12ihipStream_tbPNSt15iterator_traitsISE_E10value_typeEPNSK_ISF_E10value_typeEPSG_NS1_7vsmem_tEENKUlT_SE_SF_SG_E_clIS8_S8_S9_S9_EESD_ST_SE_SF_SG_EUlST_E_NS1_11comp_targetILNS1_3genE9ELNS1_11target_archE1100ELNS1_3gpuE3ELNS1_3repE0EEENS1_48merge_mergepath_partition_config_static_selectorELNS0_4arch9wavefront6targetE0EEEvSF_,comdat
.Lfunc_end1466:
	.size	_ZN7rocprim17ROCPRIM_400000_NS6detail17trampoline_kernelINS0_14default_configENS1_38merge_sort_block_merge_config_selectorIdNS0_10empty_typeEEEZZNS1_27merge_sort_block_merge_implIS3_PdPS5_jNS1_19radix_merge_compareILb1ELb0EdNS0_19identity_decomposerEEEEE10hipError_tT0_T1_T2_jT3_P12ihipStream_tbPNSt15iterator_traitsISE_E10value_typeEPNSK_ISF_E10value_typeEPSG_NS1_7vsmem_tEENKUlT_SE_SF_SG_E_clIS8_S8_S9_S9_EESD_ST_SE_SF_SG_EUlST_E_NS1_11comp_targetILNS1_3genE9ELNS1_11target_archE1100ELNS1_3gpuE3ELNS1_3repE0EEENS1_48merge_mergepath_partition_config_static_selectorELNS0_4arch9wavefront6targetE0EEEvSF_, .Lfunc_end1466-_ZN7rocprim17ROCPRIM_400000_NS6detail17trampoline_kernelINS0_14default_configENS1_38merge_sort_block_merge_config_selectorIdNS0_10empty_typeEEEZZNS1_27merge_sort_block_merge_implIS3_PdPS5_jNS1_19radix_merge_compareILb1ELb0EdNS0_19identity_decomposerEEEEE10hipError_tT0_T1_T2_jT3_P12ihipStream_tbPNSt15iterator_traitsISE_E10value_typeEPNSK_ISF_E10value_typeEPSG_NS1_7vsmem_tEENKUlT_SE_SF_SG_E_clIS8_S8_S9_S9_EESD_ST_SE_SF_SG_EUlST_E_NS1_11comp_targetILNS1_3genE9ELNS1_11target_archE1100ELNS1_3gpuE3ELNS1_3repE0EEENS1_48merge_mergepath_partition_config_static_selectorELNS0_4arch9wavefront6targetE0EEEvSF_
                                        ; -- End function
	.set _ZN7rocprim17ROCPRIM_400000_NS6detail17trampoline_kernelINS0_14default_configENS1_38merge_sort_block_merge_config_selectorIdNS0_10empty_typeEEEZZNS1_27merge_sort_block_merge_implIS3_PdPS5_jNS1_19radix_merge_compareILb1ELb0EdNS0_19identity_decomposerEEEEE10hipError_tT0_T1_T2_jT3_P12ihipStream_tbPNSt15iterator_traitsISE_E10value_typeEPNSK_ISF_E10value_typeEPSG_NS1_7vsmem_tEENKUlT_SE_SF_SG_E_clIS8_S8_S9_S9_EESD_ST_SE_SF_SG_EUlST_E_NS1_11comp_targetILNS1_3genE9ELNS1_11target_archE1100ELNS1_3gpuE3ELNS1_3repE0EEENS1_48merge_mergepath_partition_config_static_selectorELNS0_4arch9wavefront6targetE0EEEvSF_.num_vgpr, 0
	.set _ZN7rocprim17ROCPRIM_400000_NS6detail17trampoline_kernelINS0_14default_configENS1_38merge_sort_block_merge_config_selectorIdNS0_10empty_typeEEEZZNS1_27merge_sort_block_merge_implIS3_PdPS5_jNS1_19radix_merge_compareILb1ELb0EdNS0_19identity_decomposerEEEEE10hipError_tT0_T1_T2_jT3_P12ihipStream_tbPNSt15iterator_traitsISE_E10value_typeEPNSK_ISF_E10value_typeEPSG_NS1_7vsmem_tEENKUlT_SE_SF_SG_E_clIS8_S8_S9_S9_EESD_ST_SE_SF_SG_EUlST_E_NS1_11comp_targetILNS1_3genE9ELNS1_11target_archE1100ELNS1_3gpuE3ELNS1_3repE0EEENS1_48merge_mergepath_partition_config_static_selectorELNS0_4arch9wavefront6targetE0EEEvSF_.num_agpr, 0
	.set _ZN7rocprim17ROCPRIM_400000_NS6detail17trampoline_kernelINS0_14default_configENS1_38merge_sort_block_merge_config_selectorIdNS0_10empty_typeEEEZZNS1_27merge_sort_block_merge_implIS3_PdPS5_jNS1_19radix_merge_compareILb1ELb0EdNS0_19identity_decomposerEEEEE10hipError_tT0_T1_T2_jT3_P12ihipStream_tbPNSt15iterator_traitsISE_E10value_typeEPNSK_ISF_E10value_typeEPSG_NS1_7vsmem_tEENKUlT_SE_SF_SG_E_clIS8_S8_S9_S9_EESD_ST_SE_SF_SG_EUlST_E_NS1_11comp_targetILNS1_3genE9ELNS1_11target_archE1100ELNS1_3gpuE3ELNS1_3repE0EEENS1_48merge_mergepath_partition_config_static_selectorELNS0_4arch9wavefront6targetE0EEEvSF_.numbered_sgpr, 0
	.set _ZN7rocprim17ROCPRIM_400000_NS6detail17trampoline_kernelINS0_14default_configENS1_38merge_sort_block_merge_config_selectorIdNS0_10empty_typeEEEZZNS1_27merge_sort_block_merge_implIS3_PdPS5_jNS1_19radix_merge_compareILb1ELb0EdNS0_19identity_decomposerEEEEE10hipError_tT0_T1_T2_jT3_P12ihipStream_tbPNSt15iterator_traitsISE_E10value_typeEPNSK_ISF_E10value_typeEPSG_NS1_7vsmem_tEENKUlT_SE_SF_SG_E_clIS8_S8_S9_S9_EESD_ST_SE_SF_SG_EUlST_E_NS1_11comp_targetILNS1_3genE9ELNS1_11target_archE1100ELNS1_3gpuE3ELNS1_3repE0EEENS1_48merge_mergepath_partition_config_static_selectorELNS0_4arch9wavefront6targetE0EEEvSF_.num_named_barrier, 0
	.set _ZN7rocprim17ROCPRIM_400000_NS6detail17trampoline_kernelINS0_14default_configENS1_38merge_sort_block_merge_config_selectorIdNS0_10empty_typeEEEZZNS1_27merge_sort_block_merge_implIS3_PdPS5_jNS1_19radix_merge_compareILb1ELb0EdNS0_19identity_decomposerEEEEE10hipError_tT0_T1_T2_jT3_P12ihipStream_tbPNSt15iterator_traitsISE_E10value_typeEPNSK_ISF_E10value_typeEPSG_NS1_7vsmem_tEENKUlT_SE_SF_SG_E_clIS8_S8_S9_S9_EESD_ST_SE_SF_SG_EUlST_E_NS1_11comp_targetILNS1_3genE9ELNS1_11target_archE1100ELNS1_3gpuE3ELNS1_3repE0EEENS1_48merge_mergepath_partition_config_static_selectorELNS0_4arch9wavefront6targetE0EEEvSF_.private_seg_size, 0
	.set _ZN7rocprim17ROCPRIM_400000_NS6detail17trampoline_kernelINS0_14default_configENS1_38merge_sort_block_merge_config_selectorIdNS0_10empty_typeEEEZZNS1_27merge_sort_block_merge_implIS3_PdPS5_jNS1_19radix_merge_compareILb1ELb0EdNS0_19identity_decomposerEEEEE10hipError_tT0_T1_T2_jT3_P12ihipStream_tbPNSt15iterator_traitsISE_E10value_typeEPNSK_ISF_E10value_typeEPSG_NS1_7vsmem_tEENKUlT_SE_SF_SG_E_clIS8_S8_S9_S9_EESD_ST_SE_SF_SG_EUlST_E_NS1_11comp_targetILNS1_3genE9ELNS1_11target_archE1100ELNS1_3gpuE3ELNS1_3repE0EEENS1_48merge_mergepath_partition_config_static_selectorELNS0_4arch9wavefront6targetE0EEEvSF_.uses_vcc, 0
	.set _ZN7rocprim17ROCPRIM_400000_NS6detail17trampoline_kernelINS0_14default_configENS1_38merge_sort_block_merge_config_selectorIdNS0_10empty_typeEEEZZNS1_27merge_sort_block_merge_implIS3_PdPS5_jNS1_19radix_merge_compareILb1ELb0EdNS0_19identity_decomposerEEEEE10hipError_tT0_T1_T2_jT3_P12ihipStream_tbPNSt15iterator_traitsISE_E10value_typeEPNSK_ISF_E10value_typeEPSG_NS1_7vsmem_tEENKUlT_SE_SF_SG_E_clIS8_S8_S9_S9_EESD_ST_SE_SF_SG_EUlST_E_NS1_11comp_targetILNS1_3genE9ELNS1_11target_archE1100ELNS1_3gpuE3ELNS1_3repE0EEENS1_48merge_mergepath_partition_config_static_selectorELNS0_4arch9wavefront6targetE0EEEvSF_.uses_flat_scratch, 0
	.set _ZN7rocprim17ROCPRIM_400000_NS6detail17trampoline_kernelINS0_14default_configENS1_38merge_sort_block_merge_config_selectorIdNS0_10empty_typeEEEZZNS1_27merge_sort_block_merge_implIS3_PdPS5_jNS1_19radix_merge_compareILb1ELb0EdNS0_19identity_decomposerEEEEE10hipError_tT0_T1_T2_jT3_P12ihipStream_tbPNSt15iterator_traitsISE_E10value_typeEPNSK_ISF_E10value_typeEPSG_NS1_7vsmem_tEENKUlT_SE_SF_SG_E_clIS8_S8_S9_S9_EESD_ST_SE_SF_SG_EUlST_E_NS1_11comp_targetILNS1_3genE9ELNS1_11target_archE1100ELNS1_3gpuE3ELNS1_3repE0EEENS1_48merge_mergepath_partition_config_static_selectorELNS0_4arch9wavefront6targetE0EEEvSF_.has_dyn_sized_stack, 0
	.set _ZN7rocprim17ROCPRIM_400000_NS6detail17trampoline_kernelINS0_14default_configENS1_38merge_sort_block_merge_config_selectorIdNS0_10empty_typeEEEZZNS1_27merge_sort_block_merge_implIS3_PdPS5_jNS1_19radix_merge_compareILb1ELb0EdNS0_19identity_decomposerEEEEE10hipError_tT0_T1_T2_jT3_P12ihipStream_tbPNSt15iterator_traitsISE_E10value_typeEPNSK_ISF_E10value_typeEPSG_NS1_7vsmem_tEENKUlT_SE_SF_SG_E_clIS8_S8_S9_S9_EESD_ST_SE_SF_SG_EUlST_E_NS1_11comp_targetILNS1_3genE9ELNS1_11target_archE1100ELNS1_3gpuE3ELNS1_3repE0EEENS1_48merge_mergepath_partition_config_static_selectorELNS0_4arch9wavefront6targetE0EEEvSF_.has_recursion, 0
	.set _ZN7rocprim17ROCPRIM_400000_NS6detail17trampoline_kernelINS0_14default_configENS1_38merge_sort_block_merge_config_selectorIdNS0_10empty_typeEEEZZNS1_27merge_sort_block_merge_implIS3_PdPS5_jNS1_19radix_merge_compareILb1ELb0EdNS0_19identity_decomposerEEEEE10hipError_tT0_T1_T2_jT3_P12ihipStream_tbPNSt15iterator_traitsISE_E10value_typeEPNSK_ISF_E10value_typeEPSG_NS1_7vsmem_tEENKUlT_SE_SF_SG_E_clIS8_S8_S9_S9_EESD_ST_SE_SF_SG_EUlST_E_NS1_11comp_targetILNS1_3genE9ELNS1_11target_archE1100ELNS1_3gpuE3ELNS1_3repE0EEENS1_48merge_mergepath_partition_config_static_selectorELNS0_4arch9wavefront6targetE0EEEvSF_.has_indirect_call, 0
	.section	.AMDGPU.csdata,"",@progbits
; Kernel info:
; codeLenInByte = 0
; TotalNumSgprs: 0
; NumVgprs: 0
; ScratchSize: 0
; MemoryBound: 0
; FloatMode: 240
; IeeeMode: 1
; LDSByteSize: 0 bytes/workgroup (compile time only)
; SGPRBlocks: 0
; VGPRBlocks: 0
; NumSGPRsForWavesPerEU: 1
; NumVGPRsForWavesPerEU: 1
; NamedBarCnt: 0
; Occupancy: 16
; WaveLimiterHint : 0
; COMPUTE_PGM_RSRC2:SCRATCH_EN: 0
; COMPUTE_PGM_RSRC2:USER_SGPR: 2
; COMPUTE_PGM_RSRC2:TRAP_HANDLER: 0
; COMPUTE_PGM_RSRC2:TGID_X_EN: 1
; COMPUTE_PGM_RSRC2:TGID_Y_EN: 0
; COMPUTE_PGM_RSRC2:TGID_Z_EN: 0
; COMPUTE_PGM_RSRC2:TIDIG_COMP_CNT: 0
	.section	.text._ZN7rocprim17ROCPRIM_400000_NS6detail17trampoline_kernelINS0_14default_configENS1_38merge_sort_block_merge_config_selectorIdNS0_10empty_typeEEEZZNS1_27merge_sort_block_merge_implIS3_PdPS5_jNS1_19radix_merge_compareILb1ELb0EdNS0_19identity_decomposerEEEEE10hipError_tT0_T1_T2_jT3_P12ihipStream_tbPNSt15iterator_traitsISE_E10value_typeEPNSK_ISF_E10value_typeEPSG_NS1_7vsmem_tEENKUlT_SE_SF_SG_E_clIS8_S8_S9_S9_EESD_ST_SE_SF_SG_EUlST_E_NS1_11comp_targetILNS1_3genE8ELNS1_11target_archE1030ELNS1_3gpuE2ELNS1_3repE0EEENS1_48merge_mergepath_partition_config_static_selectorELNS0_4arch9wavefront6targetE0EEEvSF_,"axG",@progbits,_ZN7rocprim17ROCPRIM_400000_NS6detail17trampoline_kernelINS0_14default_configENS1_38merge_sort_block_merge_config_selectorIdNS0_10empty_typeEEEZZNS1_27merge_sort_block_merge_implIS3_PdPS5_jNS1_19radix_merge_compareILb1ELb0EdNS0_19identity_decomposerEEEEE10hipError_tT0_T1_T2_jT3_P12ihipStream_tbPNSt15iterator_traitsISE_E10value_typeEPNSK_ISF_E10value_typeEPSG_NS1_7vsmem_tEENKUlT_SE_SF_SG_E_clIS8_S8_S9_S9_EESD_ST_SE_SF_SG_EUlST_E_NS1_11comp_targetILNS1_3genE8ELNS1_11target_archE1030ELNS1_3gpuE2ELNS1_3repE0EEENS1_48merge_mergepath_partition_config_static_selectorELNS0_4arch9wavefront6targetE0EEEvSF_,comdat
	.protected	_ZN7rocprim17ROCPRIM_400000_NS6detail17trampoline_kernelINS0_14default_configENS1_38merge_sort_block_merge_config_selectorIdNS0_10empty_typeEEEZZNS1_27merge_sort_block_merge_implIS3_PdPS5_jNS1_19radix_merge_compareILb1ELb0EdNS0_19identity_decomposerEEEEE10hipError_tT0_T1_T2_jT3_P12ihipStream_tbPNSt15iterator_traitsISE_E10value_typeEPNSK_ISF_E10value_typeEPSG_NS1_7vsmem_tEENKUlT_SE_SF_SG_E_clIS8_S8_S9_S9_EESD_ST_SE_SF_SG_EUlST_E_NS1_11comp_targetILNS1_3genE8ELNS1_11target_archE1030ELNS1_3gpuE2ELNS1_3repE0EEENS1_48merge_mergepath_partition_config_static_selectorELNS0_4arch9wavefront6targetE0EEEvSF_ ; -- Begin function _ZN7rocprim17ROCPRIM_400000_NS6detail17trampoline_kernelINS0_14default_configENS1_38merge_sort_block_merge_config_selectorIdNS0_10empty_typeEEEZZNS1_27merge_sort_block_merge_implIS3_PdPS5_jNS1_19radix_merge_compareILb1ELb0EdNS0_19identity_decomposerEEEEE10hipError_tT0_T1_T2_jT3_P12ihipStream_tbPNSt15iterator_traitsISE_E10value_typeEPNSK_ISF_E10value_typeEPSG_NS1_7vsmem_tEENKUlT_SE_SF_SG_E_clIS8_S8_S9_S9_EESD_ST_SE_SF_SG_EUlST_E_NS1_11comp_targetILNS1_3genE8ELNS1_11target_archE1030ELNS1_3gpuE2ELNS1_3repE0EEENS1_48merge_mergepath_partition_config_static_selectorELNS0_4arch9wavefront6targetE0EEEvSF_
	.globl	_ZN7rocprim17ROCPRIM_400000_NS6detail17trampoline_kernelINS0_14default_configENS1_38merge_sort_block_merge_config_selectorIdNS0_10empty_typeEEEZZNS1_27merge_sort_block_merge_implIS3_PdPS5_jNS1_19radix_merge_compareILb1ELb0EdNS0_19identity_decomposerEEEEE10hipError_tT0_T1_T2_jT3_P12ihipStream_tbPNSt15iterator_traitsISE_E10value_typeEPNSK_ISF_E10value_typeEPSG_NS1_7vsmem_tEENKUlT_SE_SF_SG_E_clIS8_S8_S9_S9_EESD_ST_SE_SF_SG_EUlST_E_NS1_11comp_targetILNS1_3genE8ELNS1_11target_archE1030ELNS1_3gpuE2ELNS1_3repE0EEENS1_48merge_mergepath_partition_config_static_selectorELNS0_4arch9wavefront6targetE0EEEvSF_
	.p2align	8
	.type	_ZN7rocprim17ROCPRIM_400000_NS6detail17trampoline_kernelINS0_14default_configENS1_38merge_sort_block_merge_config_selectorIdNS0_10empty_typeEEEZZNS1_27merge_sort_block_merge_implIS3_PdPS5_jNS1_19radix_merge_compareILb1ELb0EdNS0_19identity_decomposerEEEEE10hipError_tT0_T1_T2_jT3_P12ihipStream_tbPNSt15iterator_traitsISE_E10value_typeEPNSK_ISF_E10value_typeEPSG_NS1_7vsmem_tEENKUlT_SE_SF_SG_E_clIS8_S8_S9_S9_EESD_ST_SE_SF_SG_EUlST_E_NS1_11comp_targetILNS1_3genE8ELNS1_11target_archE1030ELNS1_3gpuE2ELNS1_3repE0EEENS1_48merge_mergepath_partition_config_static_selectorELNS0_4arch9wavefront6targetE0EEEvSF_,@function
_ZN7rocprim17ROCPRIM_400000_NS6detail17trampoline_kernelINS0_14default_configENS1_38merge_sort_block_merge_config_selectorIdNS0_10empty_typeEEEZZNS1_27merge_sort_block_merge_implIS3_PdPS5_jNS1_19radix_merge_compareILb1ELb0EdNS0_19identity_decomposerEEEEE10hipError_tT0_T1_T2_jT3_P12ihipStream_tbPNSt15iterator_traitsISE_E10value_typeEPNSK_ISF_E10value_typeEPSG_NS1_7vsmem_tEENKUlT_SE_SF_SG_E_clIS8_S8_S9_S9_EESD_ST_SE_SF_SG_EUlST_E_NS1_11comp_targetILNS1_3genE8ELNS1_11target_archE1030ELNS1_3gpuE2ELNS1_3repE0EEENS1_48merge_mergepath_partition_config_static_selectorELNS0_4arch9wavefront6targetE0EEEvSF_: ; @_ZN7rocprim17ROCPRIM_400000_NS6detail17trampoline_kernelINS0_14default_configENS1_38merge_sort_block_merge_config_selectorIdNS0_10empty_typeEEEZZNS1_27merge_sort_block_merge_implIS3_PdPS5_jNS1_19radix_merge_compareILb1ELb0EdNS0_19identity_decomposerEEEEE10hipError_tT0_T1_T2_jT3_P12ihipStream_tbPNSt15iterator_traitsISE_E10value_typeEPNSK_ISF_E10value_typeEPSG_NS1_7vsmem_tEENKUlT_SE_SF_SG_E_clIS8_S8_S9_S9_EESD_ST_SE_SF_SG_EUlST_E_NS1_11comp_targetILNS1_3genE8ELNS1_11target_archE1030ELNS1_3gpuE2ELNS1_3repE0EEENS1_48merge_mergepath_partition_config_static_selectorELNS0_4arch9wavefront6targetE0EEEvSF_
; %bb.0:
	.section	.rodata,"a",@progbits
	.p2align	6, 0x0
	.amdhsa_kernel _ZN7rocprim17ROCPRIM_400000_NS6detail17trampoline_kernelINS0_14default_configENS1_38merge_sort_block_merge_config_selectorIdNS0_10empty_typeEEEZZNS1_27merge_sort_block_merge_implIS3_PdPS5_jNS1_19radix_merge_compareILb1ELb0EdNS0_19identity_decomposerEEEEE10hipError_tT0_T1_T2_jT3_P12ihipStream_tbPNSt15iterator_traitsISE_E10value_typeEPNSK_ISF_E10value_typeEPSG_NS1_7vsmem_tEENKUlT_SE_SF_SG_E_clIS8_S8_S9_S9_EESD_ST_SE_SF_SG_EUlST_E_NS1_11comp_targetILNS1_3genE8ELNS1_11target_archE1030ELNS1_3gpuE2ELNS1_3repE0EEENS1_48merge_mergepath_partition_config_static_selectorELNS0_4arch9wavefront6targetE0EEEvSF_
		.amdhsa_group_segment_fixed_size 0
		.amdhsa_private_segment_fixed_size 0
		.amdhsa_kernarg_size 40
		.amdhsa_user_sgpr_count 2
		.amdhsa_user_sgpr_dispatch_ptr 0
		.amdhsa_user_sgpr_queue_ptr 0
		.amdhsa_user_sgpr_kernarg_segment_ptr 1
		.amdhsa_user_sgpr_dispatch_id 0
		.amdhsa_user_sgpr_kernarg_preload_length 0
		.amdhsa_user_sgpr_kernarg_preload_offset 0
		.amdhsa_user_sgpr_private_segment_size 0
		.amdhsa_wavefront_size32 1
		.amdhsa_uses_dynamic_stack 0
		.amdhsa_enable_private_segment 0
		.amdhsa_system_sgpr_workgroup_id_x 1
		.amdhsa_system_sgpr_workgroup_id_y 0
		.amdhsa_system_sgpr_workgroup_id_z 0
		.amdhsa_system_sgpr_workgroup_info 0
		.amdhsa_system_vgpr_workitem_id 0
		.amdhsa_next_free_vgpr 1
		.amdhsa_next_free_sgpr 1
		.amdhsa_named_barrier_count 0
		.amdhsa_reserve_vcc 0
		.amdhsa_float_round_mode_32 0
		.amdhsa_float_round_mode_16_64 0
		.amdhsa_float_denorm_mode_32 3
		.amdhsa_float_denorm_mode_16_64 3
		.amdhsa_fp16_overflow 0
		.amdhsa_memory_ordered 1
		.amdhsa_forward_progress 1
		.amdhsa_inst_pref_size 0
		.amdhsa_round_robin_scheduling 0
		.amdhsa_exception_fp_ieee_invalid_op 0
		.amdhsa_exception_fp_denorm_src 0
		.amdhsa_exception_fp_ieee_div_zero 0
		.amdhsa_exception_fp_ieee_overflow 0
		.amdhsa_exception_fp_ieee_underflow 0
		.amdhsa_exception_fp_ieee_inexact 0
		.amdhsa_exception_int_div_zero 0
	.end_amdhsa_kernel
	.section	.text._ZN7rocprim17ROCPRIM_400000_NS6detail17trampoline_kernelINS0_14default_configENS1_38merge_sort_block_merge_config_selectorIdNS0_10empty_typeEEEZZNS1_27merge_sort_block_merge_implIS3_PdPS5_jNS1_19radix_merge_compareILb1ELb0EdNS0_19identity_decomposerEEEEE10hipError_tT0_T1_T2_jT3_P12ihipStream_tbPNSt15iterator_traitsISE_E10value_typeEPNSK_ISF_E10value_typeEPSG_NS1_7vsmem_tEENKUlT_SE_SF_SG_E_clIS8_S8_S9_S9_EESD_ST_SE_SF_SG_EUlST_E_NS1_11comp_targetILNS1_3genE8ELNS1_11target_archE1030ELNS1_3gpuE2ELNS1_3repE0EEENS1_48merge_mergepath_partition_config_static_selectorELNS0_4arch9wavefront6targetE0EEEvSF_,"axG",@progbits,_ZN7rocprim17ROCPRIM_400000_NS6detail17trampoline_kernelINS0_14default_configENS1_38merge_sort_block_merge_config_selectorIdNS0_10empty_typeEEEZZNS1_27merge_sort_block_merge_implIS3_PdPS5_jNS1_19radix_merge_compareILb1ELb0EdNS0_19identity_decomposerEEEEE10hipError_tT0_T1_T2_jT3_P12ihipStream_tbPNSt15iterator_traitsISE_E10value_typeEPNSK_ISF_E10value_typeEPSG_NS1_7vsmem_tEENKUlT_SE_SF_SG_E_clIS8_S8_S9_S9_EESD_ST_SE_SF_SG_EUlST_E_NS1_11comp_targetILNS1_3genE8ELNS1_11target_archE1030ELNS1_3gpuE2ELNS1_3repE0EEENS1_48merge_mergepath_partition_config_static_selectorELNS0_4arch9wavefront6targetE0EEEvSF_,comdat
.Lfunc_end1467:
	.size	_ZN7rocprim17ROCPRIM_400000_NS6detail17trampoline_kernelINS0_14default_configENS1_38merge_sort_block_merge_config_selectorIdNS0_10empty_typeEEEZZNS1_27merge_sort_block_merge_implIS3_PdPS5_jNS1_19radix_merge_compareILb1ELb0EdNS0_19identity_decomposerEEEEE10hipError_tT0_T1_T2_jT3_P12ihipStream_tbPNSt15iterator_traitsISE_E10value_typeEPNSK_ISF_E10value_typeEPSG_NS1_7vsmem_tEENKUlT_SE_SF_SG_E_clIS8_S8_S9_S9_EESD_ST_SE_SF_SG_EUlST_E_NS1_11comp_targetILNS1_3genE8ELNS1_11target_archE1030ELNS1_3gpuE2ELNS1_3repE0EEENS1_48merge_mergepath_partition_config_static_selectorELNS0_4arch9wavefront6targetE0EEEvSF_, .Lfunc_end1467-_ZN7rocprim17ROCPRIM_400000_NS6detail17trampoline_kernelINS0_14default_configENS1_38merge_sort_block_merge_config_selectorIdNS0_10empty_typeEEEZZNS1_27merge_sort_block_merge_implIS3_PdPS5_jNS1_19radix_merge_compareILb1ELb0EdNS0_19identity_decomposerEEEEE10hipError_tT0_T1_T2_jT3_P12ihipStream_tbPNSt15iterator_traitsISE_E10value_typeEPNSK_ISF_E10value_typeEPSG_NS1_7vsmem_tEENKUlT_SE_SF_SG_E_clIS8_S8_S9_S9_EESD_ST_SE_SF_SG_EUlST_E_NS1_11comp_targetILNS1_3genE8ELNS1_11target_archE1030ELNS1_3gpuE2ELNS1_3repE0EEENS1_48merge_mergepath_partition_config_static_selectorELNS0_4arch9wavefront6targetE0EEEvSF_
                                        ; -- End function
	.set _ZN7rocprim17ROCPRIM_400000_NS6detail17trampoline_kernelINS0_14default_configENS1_38merge_sort_block_merge_config_selectorIdNS0_10empty_typeEEEZZNS1_27merge_sort_block_merge_implIS3_PdPS5_jNS1_19radix_merge_compareILb1ELb0EdNS0_19identity_decomposerEEEEE10hipError_tT0_T1_T2_jT3_P12ihipStream_tbPNSt15iterator_traitsISE_E10value_typeEPNSK_ISF_E10value_typeEPSG_NS1_7vsmem_tEENKUlT_SE_SF_SG_E_clIS8_S8_S9_S9_EESD_ST_SE_SF_SG_EUlST_E_NS1_11comp_targetILNS1_3genE8ELNS1_11target_archE1030ELNS1_3gpuE2ELNS1_3repE0EEENS1_48merge_mergepath_partition_config_static_selectorELNS0_4arch9wavefront6targetE0EEEvSF_.num_vgpr, 0
	.set _ZN7rocprim17ROCPRIM_400000_NS6detail17trampoline_kernelINS0_14default_configENS1_38merge_sort_block_merge_config_selectorIdNS0_10empty_typeEEEZZNS1_27merge_sort_block_merge_implIS3_PdPS5_jNS1_19radix_merge_compareILb1ELb0EdNS0_19identity_decomposerEEEEE10hipError_tT0_T1_T2_jT3_P12ihipStream_tbPNSt15iterator_traitsISE_E10value_typeEPNSK_ISF_E10value_typeEPSG_NS1_7vsmem_tEENKUlT_SE_SF_SG_E_clIS8_S8_S9_S9_EESD_ST_SE_SF_SG_EUlST_E_NS1_11comp_targetILNS1_3genE8ELNS1_11target_archE1030ELNS1_3gpuE2ELNS1_3repE0EEENS1_48merge_mergepath_partition_config_static_selectorELNS0_4arch9wavefront6targetE0EEEvSF_.num_agpr, 0
	.set _ZN7rocprim17ROCPRIM_400000_NS6detail17trampoline_kernelINS0_14default_configENS1_38merge_sort_block_merge_config_selectorIdNS0_10empty_typeEEEZZNS1_27merge_sort_block_merge_implIS3_PdPS5_jNS1_19radix_merge_compareILb1ELb0EdNS0_19identity_decomposerEEEEE10hipError_tT0_T1_T2_jT3_P12ihipStream_tbPNSt15iterator_traitsISE_E10value_typeEPNSK_ISF_E10value_typeEPSG_NS1_7vsmem_tEENKUlT_SE_SF_SG_E_clIS8_S8_S9_S9_EESD_ST_SE_SF_SG_EUlST_E_NS1_11comp_targetILNS1_3genE8ELNS1_11target_archE1030ELNS1_3gpuE2ELNS1_3repE0EEENS1_48merge_mergepath_partition_config_static_selectorELNS0_4arch9wavefront6targetE0EEEvSF_.numbered_sgpr, 0
	.set _ZN7rocprim17ROCPRIM_400000_NS6detail17trampoline_kernelINS0_14default_configENS1_38merge_sort_block_merge_config_selectorIdNS0_10empty_typeEEEZZNS1_27merge_sort_block_merge_implIS3_PdPS5_jNS1_19radix_merge_compareILb1ELb0EdNS0_19identity_decomposerEEEEE10hipError_tT0_T1_T2_jT3_P12ihipStream_tbPNSt15iterator_traitsISE_E10value_typeEPNSK_ISF_E10value_typeEPSG_NS1_7vsmem_tEENKUlT_SE_SF_SG_E_clIS8_S8_S9_S9_EESD_ST_SE_SF_SG_EUlST_E_NS1_11comp_targetILNS1_3genE8ELNS1_11target_archE1030ELNS1_3gpuE2ELNS1_3repE0EEENS1_48merge_mergepath_partition_config_static_selectorELNS0_4arch9wavefront6targetE0EEEvSF_.num_named_barrier, 0
	.set _ZN7rocprim17ROCPRIM_400000_NS6detail17trampoline_kernelINS0_14default_configENS1_38merge_sort_block_merge_config_selectorIdNS0_10empty_typeEEEZZNS1_27merge_sort_block_merge_implIS3_PdPS5_jNS1_19radix_merge_compareILb1ELb0EdNS0_19identity_decomposerEEEEE10hipError_tT0_T1_T2_jT3_P12ihipStream_tbPNSt15iterator_traitsISE_E10value_typeEPNSK_ISF_E10value_typeEPSG_NS1_7vsmem_tEENKUlT_SE_SF_SG_E_clIS8_S8_S9_S9_EESD_ST_SE_SF_SG_EUlST_E_NS1_11comp_targetILNS1_3genE8ELNS1_11target_archE1030ELNS1_3gpuE2ELNS1_3repE0EEENS1_48merge_mergepath_partition_config_static_selectorELNS0_4arch9wavefront6targetE0EEEvSF_.private_seg_size, 0
	.set _ZN7rocprim17ROCPRIM_400000_NS6detail17trampoline_kernelINS0_14default_configENS1_38merge_sort_block_merge_config_selectorIdNS0_10empty_typeEEEZZNS1_27merge_sort_block_merge_implIS3_PdPS5_jNS1_19radix_merge_compareILb1ELb0EdNS0_19identity_decomposerEEEEE10hipError_tT0_T1_T2_jT3_P12ihipStream_tbPNSt15iterator_traitsISE_E10value_typeEPNSK_ISF_E10value_typeEPSG_NS1_7vsmem_tEENKUlT_SE_SF_SG_E_clIS8_S8_S9_S9_EESD_ST_SE_SF_SG_EUlST_E_NS1_11comp_targetILNS1_3genE8ELNS1_11target_archE1030ELNS1_3gpuE2ELNS1_3repE0EEENS1_48merge_mergepath_partition_config_static_selectorELNS0_4arch9wavefront6targetE0EEEvSF_.uses_vcc, 0
	.set _ZN7rocprim17ROCPRIM_400000_NS6detail17trampoline_kernelINS0_14default_configENS1_38merge_sort_block_merge_config_selectorIdNS0_10empty_typeEEEZZNS1_27merge_sort_block_merge_implIS3_PdPS5_jNS1_19radix_merge_compareILb1ELb0EdNS0_19identity_decomposerEEEEE10hipError_tT0_T1_T2_jT3_P12ihipStream_tbPNSt15iterator_traitsISE_E10value_typeEPNSK_ISF_E10value_typeEPSG_NS1_7vsmem_tEENKUlT_SE_SF_SG_E_clIS8_S8_S9_S9_EESD_ST_SE_SF_SG_EUlST_E_NS1_11comp_targetILNS1_3genE8ELNS1_11target_archE1030ELNS1_3gpuE2ELNS1_3repE0EEENS1_48merge_mergepath_partition_config_static_selectorELNS0_4arch9wavefront6targetE0EEEvSF_.uses_flat_scratch, 0
	.set _ZN7rocprim17ROCPRIM_400000_NS6detail17trampoline_kernelINS0_14default_configENS1_38merge_sort_block_merge_config_selectorIdNS0_10empty_typeEEEZZNS1_27merge_sort_block_merge_implIS3_PdPS5_jNS1_19radix_merge_compareILb1ELb0EdNS0_19identity_decomposerEEEEE10hipError_tT0_T1_T2_jT3_P12ihipStream_tbPNSt15iterator_traitsISE_E10value_typeEPNSK_ISF_E10value_typeEPSG_NS1_7vsmem_tEENKUlT_SE_SF_SG_E_clIS8_S8_S9_S9_EESD_ST_SE_SF_SG_EUlST_E_NS1_11comp_targetILNS1_3genE8ELNS1_11target_archE1030ELNS1_3gpuE2ELNS1_3repE0EEENS1_48merge_mergepath_partition_config_static_selectorELNS0_4arch9wavefront6targetE0EEEvSF_.has_dyn_sized_stack, 0
	.set _ZN7rocprim17ROCPRIM_400000_NS6detail17trampoline_kernelINS0_14default_configENS1_38merge_sort_block_merge_config_selectorIdNS0_10empty_typeEEEZZNS1_27merge_sort_block_merge_implIS3_PdPS5_jNS1_19radix_merge_compareILb1ELb0EdNS0_19identity_decomposerEEEEE10hipError_tT0_T1_T2_jT3_P12ihipStream_tbPNSt15iterator_traitsISE_E10value_typeEPNSK_ISF_E10value_typeEPSG_NS1_7vsmem_tEENKUlT_SE_SF_SG_E_clIS8_S8_S9_S9_EESD_ST_SE_SF_SG_EUlST_E_NS1_11comp_targetILNS1_3genE8ELNS1_11target_archE1030ELNS1_3gpuE2ELNS1_3repE0EEENS1_48merge_mergepath_partition_config_static_selectorELNS0_4arch9wavefront6targetE0EEEvSF_.has_recursion, 0
	.set _ZN7rocprim17ROCPRIM_400000_NS6detail17trampoline_kernelINS0_14default_configENS1_38merge_sort_block_merge_config_selectorIdNS0_10empty_typeEEEZZNS1_27merge_sort_block_merge_implIS3_PdPS5_jNS1_19radix_merge_compareILb1ELb0EdNS0_19identity_decomposerEEEEE10hipError_tT0_T1_T2_jT3_P12ihipStream_tbPNSt15iterator_traitsISE_E10value_typeEPNSK_ISF_E10value_typeEPSG_NS1_7vsmem_tEENKUlT_SE_SF_SG_E_clIS8_S8_S9_S9_EESD_ST_SE_SF_SG_EUlST_E_NS1_11comp_targetILNS1_3genE8ELNS1_11target_archE1030ELNS1_3gpuE2ELNS1_3repE0EEENS1_48merge_mergepath_partition_config_static_selectorELNS0_4arch9wavefront6targetE0EEEvSF_.has_indirect_call, 0
	.section	.AMDGPU.csdata,"",@progbits
; Kernel info:
; codeLenInByte = 0
; TotalNumSgprs: 0
; NumVgprs: 0
; ScratchSize: 0
; MemoryBound: 0
; FloatMode: 240
; IeeeMode: 1
; LDSByteSize: 0 bytes/workgroup (compile time only)
; SGPRBlocks: 0
; VGPRBlocks: 0
; NumSGPRsForWavesPerEU: 1
; NumVGPRsForWavesPerEU: 1
; NamedBarCnt: 0
; Occupancy: 16
; WaveLimiterHint : 0
; COMPUTE_PGM_RSRC2:SCRATCH_EN: 0
; COMPUTE_PGM_RSRC2:USER_SGPR: 2
; COMPUTE_PGM_RSRC2:TRAP_HANDLER: 0
; COMPUTE_PGM_RSRC2:TGID_X_EN: 1
; COMPUTE_PGM_RSRC2:TGID_Y_EN: 0
; COMPUTE_PGM_RSRC2:TGID_Z_EN: 0
; COMPUTE_PGM_RSRC2:TIDIG_COMP_CNT: 0
	.section	.text._ZN7rocprim17ROCPRIM_400000_NS6detail17trampoline_kernelINS0_14default_configENS1_38merge_sort_block_merge_config_selectorIdNS0_10empty_typeEEEZZNS1_27merge_sort_block_merge_implIS3_PdPS5_jNS1_19radix_merge_compareILb1ELb0EdNS0_19identity_decomposerEEEEE10hipError_tT0_T1_T2_jT3_P12ihipStream_tbPNSt15iterator_traitsISE_E10value_typeEPNSK_ISF_E10value_typeEPSG_NS1_7vsmem_tEENKUlT_SE_SF_SG_E_clIS8_S8_S9_S9_EESD_ST_SE_SF_SG_EUlST_E0_NS1_11comp_targetILNS1_3genE0ELNS1_11target_archE4294967295ELNS1_3gpuE0ELNS1_3repE0EEENS1_38merge_mergepath_config_static_selectorELNS0_4arch9wavefront6targetE0EEEvSF_,"axG",@progbits,_ZN7rocprim17ROCPRIM_400000_NS6detail17trampoline_kernelINS0_14default_configENS1_38merge_sort_block_merge_config_selectorIdNS0_10empty_typeEEEZZNS1_27merge_sort_block_merge_implIS3_PdPS5_jNS1_19radix_merge_compareILb1ELb0EdNS0_19identity_decomposerEEEEE10hipError_tT0_T1_T2_jT3_P12ihipStream_tbPNSt15iterator_traitsISE_E10value_typeEPNSK_ISF_E10value_typeEPSG_NS1_7vsmem_tEENKUlT_SE_SF_SG_E_clIS8_S8_S9_S9_EESD_ST_SE_SF_SG_EUlST_E0_NS1_11comp_targetILNS1_3genE0ELNS1_11target_archE4294967295ELNS1_3gpuE0ELNS1_3repE0EEENS1_38merge_mergepath_config_static_selectorELNS0_4arch9wavefront6targetE0EEEvSF_,comdat
	.protected	_ZN7rocprim17ROCPRIM_400000_NS6detail17trampoline_kernelINS0_14default_configENS1_38merge_sort_block_merge_config_selectorIdNS0_10empty_typeEEEZZNS1_27merge_sort_block_merge_implIS3_PdPS5_jNS1_19radix_merge_compareILb1ELb0EdNS0_19identity_decomposerEEEEE10hipError_tT0_T1_T2_jT3_P12ihipStream_tbPNSt15iterator_traitsISE_E10value_typeEPNSK_ISF_E10value_typeEPSG_NS1_7vsmem_tEENKUlT_SE_SF_SG_E_clIS8_S8_S9_S9_EESD_ST_SE_SF_SG_EUlST_E0_NS1_11comp_targetILNS1_3genE0ELNS1_11target_archE4294967295ELNS1_3gpuE0ELNS1_3repE0EEENS1_38merge_mergepath_config_static_selectorELNS0_4arch9wavefront6targetE0EEEvSF_ ; -- Begin function _ZN7rocprim17ROCPRIM_400000_NS6detail17trampoline_kernelINS0_14default_configENS1_38merge_sort_block_merge_config_selectorIdNS0_10empty_typeEEEZZNS1_27merge_sort_block_merge_implIS3_PdPS5_jNS1_19radix_merge_compareILb1ELb0EdNS0_19identity_decomposerEEEEE10hipError_tT0_T1_T2_jT3_P12ihipStream_tbPNSt15iterator_traitsISE_E10value_typeEPNSK_ISF_E10value_typeEPSG_NS1_7vsmem_tEENKUlT_SE_SF_SG_E_clIS8_S8_S9_S9_EESD_ST_SE_SF_SG_EUlST_E0_NS1_11comp_targetILNS1_3genE0ELNS1_11target_archE4294967295ELNS1_3gpuE0ELNS1_3repE0EEENS1_38merge_mergepath_config_static_selectorELNS0_4arch9wavefront6targetE0EEEvSF_
	.globl	_ZN7rocprim17ROCPRIM_400000_NS6detail17trampoline_kernelINS0_14default_configENS1_38merge_sort_block_merge_config_selectorIdNS0_10empty_typeEEEZZNS1_27merge_sort_block_merge_implIS3_PdPS5_jNS1_19radix_merge_compareILb1ELb0EdNS0_19identity_decomposerEEEEE10hipError_tT0_T1_T2_jT3_P12ihipStream_tbPNSt15iterator_traitsISE_E10value_typeEPNSK_ISF_E10value_typeEPSG_NS1_7vsmem_tEENKUlT_SE_SF_SG_E_clIS8_S8_S9_S9_EESD_ST_SE_SF_SG_EUlST_E0_NS1_11comp_targetILNS1_3genE0ELNS1_11target_archE4294967295ELNS1_3gpuE0ELNS1_3repE0EEENS1_38merge_mergepath_config_static_selectorELNS0_4arch9wavefront6targetE0EEEvSF_
	.p2align	8
	.type	_ZN7rocprim17ROCPRIM_400000_NS6detail17trampoline_kernelINS0_14default_configENS1_38merge_sort_block_merge_config_selectorIdNS0_10empty_typeEEEZZNS1_27merge_sort_block_merge_implIS3_PdPS5_jNS1_19radix_merge_compareILb1ELb0EdNS0_19identity_decomposerEEEEE10hipError_tT0_T1_T2_jT3_P12ihipStream_tbPNSt15iterator_traitsISE_E10value_typeEPNSK_ISF_E10value_typeEPSG_NS1_7vsmem_tEENKUlT_SE_SF_SG_E_clIS8_S8_S9_S9_EESD_ST_SE_SF_SG_EUlST_E0_NS1_11comp_targetILNS1_3genE0ELNS1_11target_archE4294967295ELNS1_3gpuE0ELNS1_3repE0EEENS1_38merge_mergepath_config_static_selectorELNS0_4arch9wavefront6targetE0EEEvSF_,@function
_ZN7rocprim17ROCPRIM_400000_NS6detail17trampoline_kernelINS0_14default_configENS1_38merge_sort_block_merge_config_selectorIdNS0_10empty_typeEEEZZNS1_27merge_sort_block_merge_implIS3_PdPS5_jNS1_19radix_merge_compareILb1ELb0EdNS0_19identity_decomposerEEEEE10hipError_tT0_T1_T2_jT3_P12ihipStream_tbPNSt15iterator_traitsISE_E10value_typeEPNSK_ISF_E10value_typeEPSG_NS1_7vsmem_tEENKUlT_SE_SF_SG_E_clIS8_S8_S9_S9_EESD_ST_SE_SF_SG_EUlST_E0_NS1_11comp_targetILNS1_3genE0ELNS1_11target_archE4294967295ELNS1_3gpuE0ELNS1_3repE0EEENS1_38merge_mergepath_config_static_selectorELNS0_4arch9wavefront6targetE0EEEvSF_: ; @_ZN7rocprim17ROCPRIM_400000_NS6detail17trampoline_kernelINS0_14default_configENS1_38merge_sort_block_merge_config_selectorIdNS0_10empty_typeEEEZZNS1_27merge_sort_block_merge_implIS3_PdPS5_jNS1_19radix_merge_compareILb1ELb0EdNS0_19identity_decomposerEEEEE10hipError_tT0_T1_T2_jT3_P12ihipStream_tbPNSt15iterator_traitsISE_E10value_typeEPNSK_ISF_E10value_typeEPSG_NS1_7vsmem_tEENKUlT_SE_SF_SG_E_clIS8_S8_S9_S9_EESD_ST_SE_SF_SG_EUlST_E0_NS1_11comp_targetILNS1_3genE0ELNS1_11target_archE4294967295ELNS1_3gpuE0ELNS1_3repE0EEENS1_38merge_mergepath_config_static_selectorELNS0_4arch9wavefront6targetE0EEEvSF_
; %bb.0:
	s_bfe_u32 s2, ttmp6, 0x40010
	s_and_b32 s4, ttmp7, 0xffff
	s_add_co_i32 s5, s2, 1
	s_clause 0x1
	s_load_b32 s6, s[0:1], 0x30
	s_load_b64 s[2:3], s[0:1], 0x40
	s_bfe_u32 s8, ttmp6, 0x4000c
	s_mul_i32 s5, s4, s5
	s_bfe_u32 s7, ttmp6, 0x40004
	s_add_co_i32 s8, s8, 1
	s_bfe_u32 s9, ttmp6, 0x40014
	s_add_co_i32 s7, s7, s5
	s_and_b32 s5, ttmp6, 15
	s_mul_i32 s8, ttmp9, s8
	s_lshr_b32 s10, ttmp7, 16
	s_add_co_i32 s9, s9, 1
	s_add_co_i32 s5, s5, s8
	s_mul_i32 s8, s10, s9
	s_bfe_u32 s9, ttmp6, 0x40008
	s_getreg_b32 s11, hwreg(HW_REG_IB_STS2, 6, 4)
	s_add_co_i32 s9, s9, s8
	s_cmp_eq_u32 s11, 0
	s_cselect_b32 s8, s10, s9
	s_cselect_b32 s4, s4, s7
	s_wait_kmcnt 0x0
	s_mul_i32 s8, s3, s8
	s_cselect_b32 s3, ttmp9, s5
	s_add_co_i32 s4, s8, s4
	s_mov_b32 s5, 0
	s_mul_i32 s4, s4, s2
	s_delay_alu instid0(SALU_CYCLE_1) | instskip(NEXT) | instid1(SALU_CYCLE_1)
	s_add_co_i32 s4, s4, s3
	s_cmp_ge_u32 s4, s6
	s_cbranch_scc1 .LBB1468_45
; %bb.1:
	v_mov_b32_e32 v11, 0
	s_add_nc_u64 s[10:11], s[0:1], 64
	v_lshlrev_b32_e32 v10, 3, v0
	global_load_b32 v1, v11, s[10:11] offset:14
	s_clause 0x2
	s_load_b64 s[6:7], s[0:1], 0x28
	s_load_b64 s[8:9], s[0:1], 0x38
	;; [unrolled: 1-line block ×3, first 2 shown]
	s_wait_kmcnt 0x0
	s_lshr_b32 s15, s6, 10
	s_delay_alu instid0(SALU_CYCLE_1) | instskip(SKIP_2) | instid1(SALU_CYCLE_1)
	s_cmp_lg_u32 s4, s15
	s_cselect_b32 s14, -1, 0
	s_lshl_b64 s[12:13], s[4:5], 2
	s_add_nc_u64 s[8:9], s[8:9], s[12:13]
	s_load_b64 s[12:13], s[8:9], 0x0
	s_wait_xcnt 0x0
	s_lshr_b32 s8, s7, 9
	s_delay_alu instid0(SALU_CYCLE_1) | instskip(NEXT) | instid1(SALU_CYCLE_1)
	s_and_b32 s8, s8, 0x7ffffe
	s_sub_co_i32 s9, 0, s8
	s_lshl_b32 s8, s4, 10
	s_and_b32 s18, s4, s9
	s_or_b32 s9, s4, s9
	s_lshl_b32 s19, s18, 11
	s_lshl_b32 s18, s18, 10
	s_add_co_i32 s19, s19, s7
	s_sub_co_i32 s20, s8, s18
	s_sub_co_i32 s18, s19, s18
	s_add_co_i32 s19, s19, s20
	s_min_u32 s20, s6, s18
	s_add_co_i32 s7, s18, s7
	s_wait_kmcnt 0x0
	s_sub_co_i32 s18, s19, s12
	s_sub_co_i32 s19, s19, s13
	s_min_u32 s18, s6, s18
	s_add_co_i32 s21, s19, 0x400
	s_cmp_eq_u32 s9, -1
	s_mov_b32 s19, s5
	s_cselect_b32 s7, s7, s21
	s_cselect_b32 s9, s20, s13
	s_mov_b32 s13, s5
	s_lshl_b64 s[20:21], s[18:19], 3
	s_min_u32 s19, s7, s6
	s_sub_co_i32 s7, s9, s12
	s_lshl_b64 s[12:13], s[12:13], 3
	s_sub_co_i32 s9, s19, s18
	s_cmp_lt_u32 s3, s2
	s_mov_b32 s3, s5
	s_cselect_b32 s2, 12, 18
	s_add_nc_u64 s[12:13], s[16:17], s[12:13]
	s_add_nc_u64 s[2:3], s[10:11], s[2:3]
	s_cmp_eq_u32 s4, s15
	s_load_u16 s2, s[2:3], 0x0
	s_add_nc_u64 s[10:11], s[16:17], s[20:21]
	s_wait_loadcnt 0x0
	v_lshrrev_b32_e32 v2, 16, v1
	v_and_b32_e32 v1, 0xffff, v1
	s_delay_alu instid0(VALU_DEP_1) | instskip(SKIP_1) | instid1(VALU_DEP_1)
	v_mul_lo_u32 v1, v1, v2
	s_wait_kmcnt 0x0
	v_mul_lo_u32 v1, v1, s2
	s_mov_b32 s2, -1
	s_delay_alu instid0(VALU_DEP_1) | instskip(NEXT) | instid1(VALU_DEP_1)
	v_add_nc_u32_e32 v14, v1, v0
	v_add_nc_u32_e32 v12, v14, v1
	s_cbranch_scc1 .LBB1468_3
; %bb.2:
	v_sub_co_u32 v4, vcc_lo, v0, s7
	v_dual_mov_b32 v5, v11 :: v_dual_mov_b32 v15, v11
	s_delay_alu instid0(VALU_DEP_3)
	v_dual_mov_b32 v17, v11 :: v_dual_add_nc_u32 v16, v12, v1
	v_add_nc_u64_e32 v[2:3], s[12:13], v[10:11]
	v_dual_mov_b32 v13, v11 :: v_dual_mov_b32 v9, v11
	v_sub_co_u32 v8, s2, v14, s7
	v_lshl_add_u64 v[4:5], v[4:5], 3, s[10:11]
	v_sub_co_u32 v20, s3, v12, s7
	v_mov_b32_e32 v21, v11
	v_lshl_add_u64 v[22:23], v[16:17], 3, s[12:13]
	v_sub_co_u32 v16, s4, v16, s7
	v_lshl_add_u64 v[6:7], v[14:15], 3, s[12:13]
	v_lshl_add_u64 v[8:9], v[8:9], 3, s[10:11]
	;; [unrolled: 1-line block ×3, first 2 shown]
	v_cndmask_b32_e32 v25, v5, v3, vcc_lo
	v_lshl_add_u64 v[20:21], v[20:21], 3, s[10:11]
	v_cndmask_b32_e32 v24, v4, v2, vcc_lo
	v_lshl_add_u64 v[2:3], v[16:17], 3, s[10:11]
	v_dual_cndmask_b32 v17, v9, v7, s2 :: v_dual_cndmask_b32 v16, v8, v6, s2
	s_delay_alu instid0(VALU_DEP_4) | instskip(NEXT) | instid1(VALU_DEP_3)
	v_dual_cndmask_b32 v19, v21, v19, s3 :: v_dual_cndmask_b32 v18, v20, v18, s3
	v_dual_cndmask_b32 v21, v3, v23, s4 :: v_dual_cndmask_b32 v20, v2, v22, s4
	global_load_b64 v[2:3], v[24:25], off
	global_load_b64 v[4:5], v[16:17], off
	;; [unrolled: 1-line block ×4, first 2 shown]
	s_add_co_i32 s4, s9, s7
	s_cbranch_execz .LBB1468_4
	s_branch .LBB1468_11
.LBB1468_3:
                                        ; implicit-def: $vgpr2_vgpr3_vgpr4_vgpr5_vgpr6_vgpr7_vgpr8_vgpr9
                                        ; implicit-def: $sgpr4
	s_and_not1_b32 vcc_lo, exec_lo, s2
	s_cbranch_vccnz .LBB1468_11
.LBB1468_4:
	s_wait_loadcnt 0x3
	v_mov_b32_e32 v2, 0
	s_add_co_i32 s4, s9, s7
	s_mov_b32 s2, exec_lo
	s_wait_loadcnt 0x2
	s_delay_alu instid0(VALU_DEP_1)
	v_dual_mov_b32 v3, v2 :: v_dual_mov_b32 v4, v2
	s_wait_loadcnt 0x1
	v_dual_mov_b32 v5, v2 :: v_dual_mov_b32 v6, v2
	s_wait_loadcnt 0x0
	v_dual_mov_b32 v7, v2 :: v_dual_mov_b32 v8, v2
	v_mov_b32_e32 v9, v2
	v_cmpx_gt_u32_e64 s4, v0
	s_cbranch_execnz .LBB1468_46
; %bb.5:
	s_or_b32 exec_lo, exec_lo, s2
	s_delay_alu instid0(SALU_CYCLE_1)
	s_mov_b32 s2, exec_lo
	v_cmpx_gt_u32_e64 s4, v14
	s_cbranch_execnz .LBB1468_47
.LBB1468_6:
	s_or_b32 exec_lo, exec_lo, s2
	s_delay_alu instid0(SALU_CYCLE_1)
	s_mov_b32 s2, exec_lo
	v_cmpx_gt_u32_e64 s4, v12
	s_cbranch_execz .LBB1468_8
.LBB1468_7:
	v_sub_co_u32 v14, vcc_lo, v12, s7
	v_mov_b32_e32 v13, 0
	s_delay_alu instid0(VALU_DEP_1) | instskip(SKIP_1) | instid1(VALU_DEP_1)
	v_lshl_add_u64 v[6:7], v[12:13], 3, s[12:13]
	v_mov_b32_e32 v15, v13
	v_lshl_add_u64 v[14:15], v[14:15], 3, s[10:11]
	s_delay_alu instid0(VALU_DEP_1)
	v_dual_cndmask_b32 v7, v15, v7 :: v_dual_cndmask_b32 v6, v14, v6
	global_load_b64 v[6:7], v[6:7], off
.LBB1468_8:
	s_wait_xcnt 0x0
	s_or_b32 exec_lo, exec_lo, s2
	v_add_nc_u32_e32 v12, v12, v1
	s_mov_b32 s2, exec_lo
	s_delay_alu instid0(VALU_DEP_1)
	v_cmpx_gt_u32_e64 s4, v12
	s_cbranch_execz .LBB1468_10
; %bb.9:
	v_mov_b32_e32 v13, 0
	s_delay_alu instid0(VALU_DEP_1) | instskip(SKIP_1) | instid1(VALU_DEP_1)
	v_lshl_add_u64 v[8:9], v[12:13], 3, s[12:13]
	v_sub_co_u32 v12, vcc_lo, v12, s7
	v_lshl_add_u64 v[12:13], v[12:13], 3, s[10:11]
	s_delay_alu instid0(VALU_DEP_1)
	v_dual_cndmask_b32 v9, v13, v9 :: v_dual_cndmask_b32 v8, v12, v8
	global_load_b64 v[8:9], v[8:9], off
.LBB1468_10:
	s_wait_xcnt 0x0
	s_or_b32 exec_lo, exec_lo, s2
.LBB1468_11:
	s_load_b64 s[2:3], s[0:1], 0x10
	v_lshlrev_b32_e32 v1, 2, v0
	s_wait_xcnt 0x0
	s_mov_b32 s0, exec_lo
	s_wait_loadcnt 0x0
	ds_store_2addr_stride64_b64 v10, v[2:3], v[4:5] offset1:4
	ds_store_2addr_stride64_b64 v10, v[6:7], v[8:9] offset0:8 offset1:12
	s_wait_dscnt 0x0
	s_barrier_signal -1
	v_min_u32_e32 v12, s4, v1
	s_barrier_wait -1
	s_delay_alu instid0(VALU_DEP_1) | instskip(SKIP_1) | instid1(VALU_DEP_1)
	v_sub_nc_u32_e64 v11, v12, s9 clamp
	v_min_u32_e32 v13, s7, v12
	v_cmpx_lt_u32_e64 v11, v13
	s_cbranch_execz .LBB1468_15
; %bb.12:
	v_lshlrev_b32_e32 v14, 3, v12
	s_mov_b32 s1, 0
	s_delay_alu instid0(VALU_DEP_1)
	v_lshl_add_u32 v14, s7, 3, v14
.LBB1468_13:                            ; =>This Inner Loop Header: Depth=1
	v_add_nc_u32_e32 v15, v13, v11
	s_delay_alu instid0(VALU_DEP_1) | instskip(NEXT) | instid1(VALU_DEP_1)
	v_lshrrev_b32_e32 v15, 1, v15
	v_not_b32_e32 v16, v15
	v_lshlrev_b32_e32 v17, 3, v15
	s_delay_alu instid0(VALU_DEP_2) | instskip(SKIP_4) | instid1(VALU_DEP_1)
	v_lshl_add_u32 v18, v16, 3, v14
	ds_load_b64 v[16:17], v17
	ds_load_b64 v[18:19], v18
	s_wait_dscnt 0x1
	v_add_f64_e32 v[16:17], 0, v[16:17]
	v_ashrrev_i32_e32 v20, 31, v17
	s_delay_alu instid0(VALU_DEP_1) | instskip(SKIP_1) | instid1(VALU_DEP_3)
	v_or_b32_e32 v22, 0x80000000, v20
	s_wait_dscnt 0x0
	v_dual_add_f64 v[18:19], 0, v[18:19] :: v_dual_bitop2_b32 v16, v20, v16 bitop3:0x14
	s_delay_alu instid0(VALU_DEP_1) | instskip(NEXT) | instid1(VALU_DEP_1)
	v_dual_ashrrev_i32 v21, 31, v19 :: v_dual_bitop2_b32 v17, v22, v17 bitop3:0x14
	v_or_b32_e32 v23, 0x80000000, v21
	s_delay_alu instid0(VALU_DEP_1) | instskip(NEXT) | instid1(VALU_DEP_4)
	v_xor_b32_e32 v19, v23, v19
	v_xor_b32_e32 v18, v21, v18
	s_delay_alu instid0(VALU_DEP_1) | instskip(SKIP_1) | instid1(VALU_DEP_1)
	v_cmp_gt_u64_e32 vcc_lo, v[18:19], v[16:17]
	v_dual_cndmask_b32 v13, v13, v15 :: v_dual_add_nc_u32 v16, 1, v15
	v_cndmask_b32_e32 v11, v16, v11, vcc_lo
	s_delay_alu instid0(VALU_DEP_1) | instskip(SKIP_1) | instid1(SALU_CYCLE_1)
	v_cmp_ge_u32_e32 vcc_lo, v11, v13
	s_or_b32 s1, vcc_lo, s1
	s_and_not1_b32 exec_lo, exec_lo, s1
	s_cbranch_execnz .LBB1468_13
; %bb.14:
	s_or_b32 exec_lo, exec_lo, s1
.LBB1468_15:
	s_delay_alu instid0(SALU_CYCLE_1) | instskip(SKIP_2) | instid1(VALU_DEP_2)
	s_or_b32 exec_lo, exec_lo, s0
	v_sub_nc_u32_e32 v12, v12, v11
	v_cmp_ge_u32_e32 vcc_lo, s7, v11
	v_add_nc_u32_e32 v12, s7, v12
	s_delay_alu instid0(VALU_DEP_1) | instskip(SKIP_1) | instid1(SALU_CYCLE_1)
	v_cmp_ge_u32_e64 s0, s4, v12
	s_or_b32 s0, vcc_lo, s0
	s_and_saveexec_b32 s1, s0
	s_cbranch_execz .LBB1468_35
; %bb.16:
	s_mov_b32 s5, exec_lo
	v_cmp_le_u32_e32 vcc_lo, s7, v11
                                        ; implicit-def: $vgpr2_vgpr3
	v_cmpx_gt_u32_e64 s7, v11
; %bb.17:
	v_lshlrev_b32_e32 v2, 3, v11
	ds_load_b64 v[2:3], v2
; %bb.18:
	s_or_b32 exec_lo, exec_lo, s5
	v_cmp_le_u32_e64 s5, s4, v12
	s_mov_b32 s9, exec_lo
                                        ; implicit-def: $vgpr6_vgpr7
	v_cmpx_gt_u32_e64 s4, v12
; %bb.19:
	v_lshlrev_b32_e32 v4, 3, v12
	ds_load_b64 v[6:7], v4
; %bb.20:
	s_or_b32 exec_lo, exec_lo, s9
	s_nor_b32 s9, vcc_lo, s5
	s_delay_alu instid0(SALU_CYCLE_1)
	s_and_saveexec_b32 s0, s9
	s_cbranch_execz .LBB1468_22
; %bb.21:
	s_wait_dscnt 0x0
	v_add_f64_e32 v[8:9], 0, v[2:3]
	v_add_f64_e32 v[4:5], 0, v[6:7]
	s_and_not1_b32 s5, s5, exec_lo
	s_delay_alu instid0(VALU_DEP_2) | instskip(NEXT) | instid1(VALU_DEP_2)
	v_ashrrev_i32_e32 v14, 31, v9
	v_ashrrev_i32_e32 v13, 31, v5
	s_delay_alu instid0(VALU_DEP_2) | instskip(NEXT) | instid1(VALU_DEP_2)
	v_or_b32_e32 v16, 0x80000000, v14
	v_or_b32_e32 v15, 0x80000000, v13
	v_xor_b32_e32 v4, v13, v4
	v_xor_b32_e32 v8, v14, v8
	s_delay_alu instid0(VALU_DEP_4) | instskip(NEXT) | instid1(VALU_DEP_4)
	v_xor_b32_e32 v9, v16, v9
	v_xor_b32_e32 v5, v15, v5
	s_delay_alu instid0(VALU_DEP_1) | instskip(SKIP_1) | instid1(SALU_CYCLE_1)
	v_cmp_le_u64_e32 vcc_lo, v[4:5], v[8:9]
	s_and_b32 s9, vcc_lo, exec_lo
	s_or_b32 s5, s5, s9
.LBB1468_22:
	s_or_b32 exec_lo, exec_lo, s0
	v_dual_mov_b32 v4, s7 :: v_dual_cndmask_b32 v5, v12, v11, s5
	s_mov_b32 s0, -1
	s_mov_b32 s9, -1
	s_mov_b32 s10, exec_lo
	s_delay_alu instid0(VALU_DEP_1) | instskip(NEXT) | instid1(VALU_DEP_1)
	v_dual_cndmask_b32 v4, s4, v4, s5 :: v_dual_add_nc_u32 v5, 1, v5
	v_add_min_u32_e64 v4, v4, -1, v5
	s_delay_alu instid0(VALU_DEP_1)
	v_dual_cndmask_b32 v11, v11, v5, s5 :: v_dual_lshlrev_b32 v4, 3, v4
	ds_load_b64 v[8:9], v4
	s_wait_dscnt 0x0
	v_dual_cndmask_b32 v12, v5, v12, s5 :: v_dual_cndmask_b32 v4, v8, v6, s5
	v_dual_cndmask_b32 v5, v9, v7, s5 :: v_dual_cndmask_b32 v9, v3, v9, s5
	v_cndmask_b32_e64 v8, v2, v8, s5
	s_delay_alu instid0(VALU_DEP_3)
	v_cmpx_gt_u32_e64 s4, v12
	s_cbranch_execz .LBB1468_26
; %bb.23:
	s_mov_b32 s11, 0
	s_mov_b32 s9, exec_lo
	v_cmpx_gt_u32_e64 s7, v11
	s_cbranch_execz .LBB1468_25
; %bb.24:
	v_add_f64_e32 v[14:15], 0, v[4:5]
	s_delay_alu instid0(VALU_DEP_1) | instskip(NEXT) | instid1(VALU_DEP_1)
	v_dual_add_f64 v[16:17], 0, v[8:9] :: v_dual_ashrrev_i32 v13, 31, v15
	v_dual_ashrrev_i32 v18, 31, v17 :: v_dual_bitop2_b32 v14, v13, v14 bitop3:0x14
	v_or_b32_e32 v19, 0x80000000, v13
	s_delay_alu instid0(VALU_DEP_2) | instskip(NEXT) | instid1(VALU_DEP_4)
	v_or_b32_e32 v20, 0x80000000, v18
	v_xor_b32_e32 v16, v18, v16
	s_delay_alu instid0(VALU_DEP_3) | instskip(NEXT) | instid1(VALU_DEP_3)
	v_xor_b32_e32 v15, v19, v15
	v_xor_b32_e32 v17, v20, v17
	s_delay_alu instid0(VALU_DEP_1)
	v_cmp_le_u64_e32 vcc_lo, v[14:15], v[16:17]
	s_and_b32 s11, vcc_lo, exec_lo
.LBB1468_25:
	s_or_b32 exec_lo, exec_lo, s9
	s_delay_alu instid0(SALU_CYCLE_1)
	s_or_not1_b32 s9, s11, exec_lo
.LBB1468_26:
	s_or_b32 exec_lo, exec_lo, s10
	v_dual_mov_b32 v13, s7 :: v_dual_cndmask_b32 v14, v12, v11, s9
	s_mov_b32 s10, exec_lo
	s_delay_alu instid0(VALU_DEP_1) | instskip(NEXT) | instid1(VALU_DEP_1)
	v_dual_cndmask_b32 v13, s4, v13, s9 :: v_dual_add_nc_u32 v16, 1, v14
	v_add_min_u32_e64 v13, v13, -1, v16
	s_delay_alu instid0(VALU_DEP_1)
	v_dual_cndmask_b32 v18, v16, v12, s9 :: v_dual_lshlrev_b32 v13, 3, v13
	ds_load_b64 v[14:15], v13
	v_cndmask_b32_e64 v11, v11, v16, s9
	s_wait_dscnt 0x0
	v_dual_cndmask_b32 v13, v15, v5, s9 :: v_dual_cndmask_b32 v12, v14, v4, s9
	v_dual_cndmask_b32 v15, v9, v15, s9 :: v_dual_cndmask_b32 v14, v8, v14, s9
	v_cmpx_gt_u32_e64 s4, v18
	s_cbranch_execz .LBB1468_30
; %bb.27:
	s_mov_b32 s11, 0
	s_mov_b32 s0, exec_lo
	v_cmpx_gt_u32_e64 s7, v11
	s_cbranch_execz .LBB1468_29
; %bb.28:
	v_add_f64_e32 v[16:17], 0, v[12:13]
	s_delay_alu instid0(VALU_DEP_1) | instskip(NEXT) | instid1(VALU_DEP_1)
	v_dual_add_f64 v[20:21], 0, v[14:15] :: v_dual_ashrrev_i32 v19, 31, v17
	v_dual_ashrrev_i32 v22, 31, v21 :: v_dual_bitop2_b32 v16, v19, v16 bitop3:0x14
	v_or_b32_e32 v23, 0x80000000, v19
	s_delay_alu instid0(VALU_DEP_2) | instskip(NEXT) | instid1(VALU_DEP_4)
	v_or_b32_e32 v24, 0x80000000, v22
	v_xor_b32_e32 v20, v22, v20
	s_delay_alu instid0(VALU_DEP_3) | instskip(NEXT) | instid1(VALU_DEP_3)
	v_xor_b32_e32 v17, v23, v17
	v_xor_b32_e32 v21, v24, v21
	s_delay_alu instid0(VALU_DEP_1)
	v_cmp_le_u64_e32 vcc_lo, v[16:17], v[20:21]
	s_and_b32 s11, vcc_lo, exec_lo
.LBB1468_29:
	s_or_b32 exec_lo, exec_lo, s0
	s_delay_alu instid0(SALU_CYCLE_1)
	s_or_not1_b32 s0, s11, exec_lo
.LBB1468_30:
	s_or_b32 exec_lo, exec_lo, s10
	v_dual_mov_b32 v16, s7 :: v_dual_cndmask_b32 v17, v18, v11, s0
	v_dual_cndmask_b32 v4, v4, v8, s9 :: v_dual_cndmask_b32 v3, v7, v3, s5
	v_dual_cndmask_b32 v2, v6, v2, s5 :: v_dual_cndmask_b32 v7, v13, v15, s0
	s_delay_alu instid0(VALU_DEP_3) | instskip(SKIP_1) | instid1(VALU_DEP_2)
	v_dual_cndmask_b32 v16, s4, v16, s0 :: v_dual_add_nc_u32 v19, 1, v17
	v_cndmask_b32_e64 v5, v5, v9, s9
	v_add_min_u32_e64 v16, v16, -1, v19
	s_delay_alu instid0(VALU_DEP_1)
	v_lshlrev_b32_e32 v16, 3, v16
	ds_load_b64 v[16:17], v16
	v_cndmask_b32_e64 v18, v19, v18, s0
	s_wait_dscnt 0x0
	v_dual_cndmask_b32 v6, v12, v14, s0 :: v_dual_cndmask_b32 v9, v15, v17, s0
	v_cndmask_b32_e64 v8, v14, v16, s0
	s_delay_alu instid0(VALU_DEP_3)
	v_cmp_gt_u32_e32 vcc_lo, s4, v18
	s_and_saveexec_b32 s4, vcc_lo
	s_cbranch_execz .LBB1468_34
; %bb.31:
	v_dual_cndmask_b32 v11, v11, v19, s0 :: v_dual_cndmask_b32 v13, v17, v13, s0
	v_cndmask_b32_e64 v12, v16, v12, s0
	s_mov_b32 s0, exec_lo
	s_delay_alu instid0(VALU_DEP_2)
	v_cmpx_gt_u32_e64 s7, v11
	s_cbranch_execz .LBB1468_33
; %bb.32:
	s_delay_alu instid0(VALU_DEP_2) | instskip(NEXT) | instid1(VALU_DEP_1)
	v_add_f64_e32 v[14:15], 0, v[12:13]
	v_dual_add_f64 v[16:17], 0, v[8:9] :: v_dual_ashrrev_i32 v11, 31, v15
	s_delay_alu instid0(VALU_DEP_1) | instskip(SKIP_1) | instid1(VALU_DEP_2)
	v_dual_ashrrev_i32 v18, 31, v17 :: v_dual_bitop2_b32 v14, v11, v14 bitop3:0x14
	v_or_b32_e32 v19, 0x80000000, v11
	v_or_b32_e32 v20, 0x80000000, v18
	s_delay_alu instid0(VALU_DEP_4) | instskip(NEXT) | instid1(VALU_DEP_3)
	v_xor_b32_e32 v16, v18, v16
	v_xor_b32_e32 v15, v19, v15
	s_delay_alu instid0(VALU_DEP_3) | instskip(NEXT) | instid1(VALU_DEP_1)
	v_xor_b32_e32 v17, v20, v17
	v_cmp_gt_u64_e32 vcc_lo, v[14:15], v[16:17]
	v_dual_cndmask_b32 v13, v9, v13 :: v_dual_cndmask_b32 v12, v8, v12
.LBB1468_33:
	s_or_b32 exec_lo, exec_lo, s0
	s_delay_alu instid0(VALU_DEP_1)
	v_mov_b64_e32 v[8:9], v[12:13]
.LBB1468_34:
	s_or_b32 exec_lo, exec_lo, s4
.LBB1468_35:
	s_delay_alu instid0(SALU_CYCLE_1) | instskip(SKIP_4) | instid1(VALU_DEP_4)
	s_or_b32 exec_lo, exec_lo, s1
	v_and_b32_e32 v11, 0xf8, v0
	v_or_b32_e32 v13, 0x100, v0
	v_or_b32_e32 v12, 0x200, v0
	v_lshrrev_b32_e32 v14, 2, v0
	v_lshl_add_u32 v11, v1, 3, v11
	v_or_b32_e32 v1, 0x300, v0
	s_barrier_signal -1
	s_barrier_wait -1
	s_barrier_signal -1
	s_barrier_wait -1
	v_dual_lshrrev_b32 v15, 2, v13 :: v_dual_lshrrev_b32 v16, 2, v12
	ds_store_2addr_b64 v11, v[2:3], v[4:5] offset1:1
	ds_store_2addr_b64 v11, v[6:7], v[8:9] offset0:2 offset1:3
	v_lshrrev_b32_e32 v2, 2, v1
	s_mov_b32 s9, 0
	v_dual_mov_b32 v11, 0 :: v_dual_bitop2_b32 v3, 56, v14 bitop3:0x40
	s_lshl_b64 s[0:1], s[8:9], 3
	v_and_b32_e32 v4, 0x78, v15
	v_and_b32_e32 v5, 0xb8, v16
	;; [unrolled: 1-line block ×3, first 2 shown]
	s_wait_kmcnt 0x0
	s_add_nc_u64 s[0:1], s[2:3], s[0:1]
	v_dual_add_nc_u32 v14, v3, v10 :: v_dual_add_nc_u32 v6, v4, v10
	v_add_nc_u64_e32 v[2:3], s[0:1], v[10:11]
	v_dual_add_nc_u32 v7, v5, v10 :: v_dual_add_nc_u32 v10, v8, v10
	s_and_b32 vcc_lo, exec_lo, s14
	s_wait_dscnt 0x0
	s_cbranch_vccz .LBB1468_37
; %bb.36:
	s_barrier_signal -1
	s_barrier_wait -1
	ds_load_b64 v[8:9], v14
	ds_load_b64 v[16:17], v6 offset:2048
	ds_load_b64 v[18:19], v7 offset:4096
	;; [unrolled: 1-line block ×3, first 2 shown]
	s_mov_b32 s9, -1
	s_wait_dscnt 0x3
	global_store_b64 v[2:3], v[8:9], off
	s_wait_dscnt 0x2
	global_store_b64 v[2:3], v[16:17], off offset:2048
	s_wait_dscnt 0x1
	global_store_b64 v[2:3], v[18:19], off offset:4096
	s_cbranch_execz .LBB1468_38
	s_branch .LBB1468_43
.LBB1468_37:
                                        ; implicit-def: $vgpr4_vgpr5
.LBB1468_38:
	s_barrier_signal -1
	s_barrier_wait -1
	s_wait_storecnt_dscnt 0x0
	s_wait_xcnt 0x2
	ds_load_b64 v[8:9], v6 offset:2048
	ds_load_b64 v[6:7], v7 offset:4096
	;; [unrolled: 1-line block ×3, first 2 shown]
	s_sub_co_i32 s0, s6, s8
	s_mov_b32 s1, exec_lo
	s_wait_xcnt 0x0
	v_cmpx_gt_u32_e64 s0, v0
	s_cbranch_execnz .LBB1468_48
; %bb.39:
	s_or_b32 exec_lo, exec_lo, s1
	s_delay_alu instid0(SALU_CYCLE_1)
	s_mov_b32 s1, exec_lo
	v_cmpx_gt_u32_e64 s0, v13
	s_cbranch_execnz .LBB1468_49
.LBB1468_40:
	s_or_b32 exec_lo, exec_lo, s1
	s_delay_alu instid0(SALU_CYCLE_1)
	s_mov_b32 s1, exec_lo
	v_cmpx_gt_u32_e64 s0, v12
	s_cbranch_execz .LBB1468_42
.LBB1468_41:
	s_wait_dscnt 0x1
	global_store_b64 v[2:3], v[6:7], off offset:4096
.LBB1468_42:
	s_wait_xcnt 0x0
	s_or_b32 exec_lo, exec_lo, s1
	v_cmp_gt_u32_e64 s9, s0, v1
.LBB1468_43:
	s_wait_xcnt 0x0
	s_delay_alu instid0(VALU_DEP_1)
	s_and_saveexec_b32 s0, s9
	s_cbranch_execz .LBB1468_45
; %bb.44:
	s_wait_dscnt 0x0
	global_store_b64 v[2:3], v[4:5], off offset:6144
.LBB1468_45:
	s_endpgm
.LBB1468_46:
	v_dual_mov_b32 v11, v2 :: v_dual_mov_b32 v5, v2
	v_sub_co_u32 v4, vcc_lo, v0, s7
	v_dual_mov_b32 v18, v2 :: v_dual_mov_b32 v19, v2
	s_delay_alu instid0(VALU_DEP_3) | instskip(NEXT) | instid1(VALU_DEP_3)
	v_add_nc_u64_e32 v[6:7], s[12:13], v[10:11]
	v_lshl_add_u64 v[4:5], v[4:5], 3, s[10:11]
	v_dual_mov_b32 v20, v2 :: v_dual_mov_b32 v21, v2
	v_dual_mov_b32 v22, v2 :: v_dual_mov_b32 v23, v2
	s_delay_alu instid0(VALU_DEP_3)
	v_dual_cndmask_b32 v5, v5, v7 :: v_dual_cndmask_b32 v4, v4, v6
	global_load_b64 v[16:17], v[4:5], off
	s_wait_loadcnt 0x0
	v_mov_b64_e32 v[2:3], v[16:17]
	v_mov_b64_e32 v[4:5], v[18:19]
	;; [unrolled: 1-line block ×4, first 2 shown]
	s_or_b32 exec_lo, exec_lo, s2
	s_delay_alu instid0(SALU_CYCLE_1)
	s_mov_b32 s2, exec_lo
	v_cmpx_gt_u32_e64 s4, v14
	s_cbranch_execz .LBB1468_6
.LBB1468_47:
	v_mov_b32_e32 v15, 0
	s_delay_alu instid0(VALU_DEP_1) | instskip(SKIP_1) | instid1(VALU_DEP_1)
	v_lshl_add_u64 v[4:5], v[14:15], 3, s[12:13]
	v_sub_co_u32 v14, vcc_lo, v14, s7
	v_lshl_add_u64 v[14:15], v[14:15], 3, s[10:11]
	s_delay_alu instid0(VALU_DEP_1) | instskip(SKIP_3) | instid1(SALU_CYCLE_1)
	v_dual_cndmask_b32 v5, v15, v5 :: v_dual_cndmask_b32 v4, v14, v4
	global_load_b64 v[4:5], v[4:5], off
	s_wait_xcnt 0x0
	s_or_b32 exec_lo, exec_lo, s2
	s_mov_b32 s2, exec_lo
	v_cmpx_gt_u32_e64 s4, v12
	s_cbranch_execnz .LBB1468_7
	s_branch .LBB1468_8
.LBB1468_48:
	ds_load_b64 v[10:11], v14
	s_wait_dscnt 0x0
	global_store_b64 v[2:3], v[10:11], off
	s_wait_xcnt 0x0
	s_or_b32 exec_lo, exec_lo, s1
	s_delay_alu instid0(SALU_CYCLE_1)
	s_mov_b32 s1, exec_lo
	v_cmpx_gt_u32_e64 s0, v13
	s_cbranch_execz .LBB1468_40
.LBB1468_49:
	s_wait_dscnt 0x2
	global_store_b64 v[2:3], v[8:9], off offset:2048
	s_wait_xcnt 0x0
	s_or_b32 exec_lo, exec_lo, s1
	s_delay_alu instid0(SALU_CYCLE_1)
	s_mov_b32 s1, exec_lo
	v_cmpx_gt_u32_e64 s0, v12
	s_cbranch_execnz .LBB1468_41
	s_branch .LBB1468_42
	.section	.rodata,"a",@progbits
	.p2align	6, 0x0
	.amdhsa_kernel _ZN7rocprim17ROCPRIM_400000_NS6detail17trampoline_kernelINS0_14default_configENS1_38merge_sort_block_merge_config_selectorIdNS0_10empty_typeEEEZZNS1_27merge_sort_block_merge_implIS3_PdPS5_jNS1_19radix_merge_compareILb1ELb0EdNS0_19identity_decomposerEEEEE10hipError_tT0_T1_T2_jT3_P12ihipStream_tbPNSt15iterator_traitsISE_E10value_typeEPNSK_ISF_E10value_typeEPSG_NS1_7vsmem_tEENKUlT_SE_SF_SG_E_clIS8_S8_S9_S9_EESD_ST_SE_SF_SG_EUlST_E0_NS1_11comp_targetILNS1_3genE0ELNS1_11target_archE4294967295ELNS1_3gpuE0ELNS1_3repE0EEENS1_38merge_mergepath_config_static_selectorELNS0_4arch9wavefront6targetE0EEEvSF_
		.amdhsa_group_segment_fixed_size 8448
		.amdhsa_private_segment_fixed_size 0
		.amdhsa_kernarg_size 320
		.amdhsa_user_sgpr_count 2
		.amdhsa_user_sgpr_dispatch_ptr 0
		.amdhsa_user_sgpr_queue_ptr 0
		.amdhsa_user_sgpr_kernarg_segment_ptr 1
		.amdhsa_user_sgpr_dispatch_id 0
		.amdhsa_user_sgpr_kernarg_preload_length 0
		.amdhsa_user_sgpr_kernarg_preload_offset 0
		.amdhsa_user_sgpr_private_segment_size 0
		.amdhsa_wavefront_size32 1
		.amdhsa_uses_dynamic_stack 0
		.amdhsa_enable_private_segment 0
		.amdhsa_system_sgpr_workgroup_id_x 1
		.amdhsa_system_sgpr_workgroup_id_y 1
		.amdhsa_system_sgpr_workgroup_id_z 1
		.amdhsa_system_sgpr_workgroup_info 0
		.amdhsa_system_vgpr_workitem_id 0
		.amdhsa_next_free_vgpr 26
		.amdhsa_next_free_sgpr 22
		.amdhsa_named_barrier_count 0
		.amdhsa_reserve_vcc 1
		.amdhsa_float_round_mode_32 0
		.amdhsa_float_round_mode_16_64 0
		.amdhsa_float_denorm_mode_32 3
		.amdhsa_float_denorm_mode_16_64 3
		.amdhsa_fp16_overflow 0
		.amdhsa_memory_ordered 1
		.amdhsa_forward_progress 1
		.amdhsa_inst_pref_size 24
		.amdhsa_round_robin_scheduling 0
		.amdhsa_exception_fp_ieee_invalid_op 0
		.amdhsa_exception_fp_denorm_src 0
		.amdhsa_exception_fp_ieee_div_zero 0
		.amdhsa_exception_fp_ieee_overflow 0
		.amdhsa_exception_fp_ieee_underflow 0
		.amdhsa_exception_fp_ieee_inexact 0
		.amdhsa_exception_int_div_zero 0
	.end_amdhsa_kernel
	.section	.text._ZN7rocprim17ROCPRIM_400000_NS6detail17trampoline_kernelINS0_14default_configENS1_38merge_sort_block_merge_config_selectorIdNS0_10empty_typeEEEZZNS1_27merge_sort_block_merge_implIS3_PdPS5_jNS1_19radix_merge_compareILb1ELb0EdNS0_19identity_decomposerEEEEE10hipError_tT0_T1_T2_jT3_P12ihipStream_tbPNSt15iterator_traitsISE_E10value_typeEPNSK_ISF_E10value_typeEPSG_NS1_7vsmem_tEENKUlT_SE_SF_SG_E_clIS8_S8_S9_S9_EESD_ST_SE_SF_SG_EUlST_E0_NS1_11comp_targetILNS1_3genE0ELNS1_11target_archE4294967295ELNS1_3gpuE0ELNS1_3repE0EEENS1_38merge_mergepath_config_static_selectorELNS0_4arch9wavefront6targetE0EEEvSF_,"axG",@progbits,_ZN7rocprim17ROCPRIM_400000_NS6detail17trampoline_kernelINS0_14default_configENS1_38merge_sort_block_merge_config_selectorIdNS0_10empty_typeEEEZZNS1_27merge_sort_block_merge_implIS3_PdPS5_jNS1_19radix_merge_compareILb1ELb0EdNS0_19identity_decomposerEEEEE10hipError_tT0_T1_T2_jT3_P12ihipStream_tbPNSt15iterator_traitsISE_E10value_typeEPNSK_ISF_E10value_typeEPSG_NS1_7vsmem_tEENKUlT_SE_SF_SG_E_clIS8_S8_S9_S9_EESD_ST_SE_SF_SG_EUlST_E0_NS1_11comp_targetILNS1_3genE0ELNS1_11target_archE4294967295ELNS1_3gpuE0ELNS1_3repE0EEENS1_38merge_mergepath_config_static_selectorELNS0_4arch9wavefront6targetE0EEEvSF_,comdat
.Lfunc_end1468:
	.size	_ZN7rocprim17ROCPRIM_400000_NS6detail17trampoline_kernelINS0_14default_configENS1_38merge_sort_block_merge_config_selectorIdNS0_10empty_typeEEEZZNS1_27merge_sort_block_merge_implIS3_PdPS5_jNS1_19radix_merge_compareILb1ELb0EdNS0_19identity_decomposerEEEEE10hipError_tT0_T1_T2_jT3_P12ihipStream_tbPNSt15iterator_traitsISE_E10value_typeEPNSK_ISF_E10value_typeEPSG_NS1_7vsmem_tEENKUlT_SE_SF_SG_E_clIS8_S8_S9_S9_EESD_ST_SE_SF_SG_EUlST_E0_NS1_11comp_targetILNS1_3genE0ELNS1_11target_archE4294967295ELNS1_3gpuE0ELNS1_3repE0EEENS1_38merge_mergepath_config_static_selectorELNS0_4arch9wavefront6targetE0EEEvSF_, .Lfunc_end1468-_ZN7rocprim17ROCPRIM_400000_NS6detail17trampoline_kernelINS0_14default_configENS1_38merge_sort_block_merge_config_selectorIdNS0_10empty_typeEEEZZNS1_27merge_sort_block_merge_implIS3_PdPS5_jNS1_19radix_merge_compareILb1ELb0EdNS0_19identity_decomposerEEEEE10hipError_tT0_T1_T2_jT3_P12ihipStream_tbPNSt15iterator_traitsISE_E10value_typeEPNSK_ISF_E10value_typeEPSG_NS1_7vsmem_tEENKUlT_SE_SF_SG_E_clIS8_S8_S9_S9_EESD_ST_SE_SF_SG_EUlST_E0_NS1_11comp_targetILNS1_3genE0ELNS1_11target_archE4294967295ELNS1_3gpuE0ELNS1_3repE0EEENS1_38merge_mergepath_config_static_selectorELNS0_4arch9wavefront6targetE0EEEvSF_
                                        ; -- End function
	.set _ZN7rocprim17ROCPRIM_400000_NS6detail17trampoline_kernelINS0_14default_configENS1_38merge_sort_block_merge_config_selectorIdNS0_10empty_typeEEEZZNS1_27merge_sort_block_merge_implIS3_PdPS5_jNS1_19radix_merge_compareILb1ELb0EdNS0_19identity_decomposerEEEEE10hipError_tT0_T1_T2_jT3_P12ihipStream_tbPNSt15iterator_traitsISE_E10value_typeEPNSK_ISF_E10value_typeEPSG_NS1_7vsmem_tEENKUlT_SE_SF_SG_E_clIS8_S8_S9_S9_EESD_ST_SE_SF_SG_EUlST_E0_NS1_11comp_targetILNS1_3genE0ELNS1_11target_archE4294967295ELNS1_3gpuE0ELNS1_3repE0EEENS1_38merge_mergepath_config_static_selectorELNS0_4arch9wavefront6targetE0EEEvSF_.num_vgpr, 26
	.set _ZN7rocprim17ROCPRIM_400000_NS6detail17trampoline_kernelINS0_14default_configENS1_38merge_sort_block_merge_config_selectorIdNS0_10empty_typeEEEZZNS1_27merge_sort_block_merge_implIS3_PdPS5_jNS1_19radix_merge_compareILb1ELb0EdNS0_19identity_decomposerEEEEE10hipError_tT0_T1_T2_jT3_P12ihipStream_tbPNSt15iterator_traitsISE_E10value_typeEPNSK_ISF_E10value_typeEPSG_NS1_7vsmem_tEENKUlT_SE_SF_SG_E_clIS8_S8_S9_S9_EESD_ST_SE_SF_SG_EUlST_E0_NS1_11comp_targetILNS1_3genE0ELNS1_11target_archE4294967295ELNS1_3gpuE0ELNS1_3repE0EEENS1_38merge_mergepath_config_static_selectorELNS0_4arch9wavefront6targetE0EEEvSF_.num_agpr, 0
	.set _ZN7rocprim17ROCPRIM_400000_NS6detail17trampoline_kernelINS0_14default_configENS1_38merge_sort_block_merge_config_selectorIdNS0_10empty_typeEEEZZNS1_27merge_sort_block_merge_implIS3_PdPS5_jNS1_19radix_merge_compareILb1ELb0EdNS0_19identity_decomposerEEEEE10hipError_tT0_T1_T2_jT3_P12ihipStream_tbPNSt15iterator_traitsISE_E10value_typeEPNSK_ISF_E10value_typeEPSG_NS1_7vsmem_tEENKUlT_SE_SF_SG_E_clIS8_S8_S9_S9_EESD_ST_SE_SF_SG_EUlST_E0_NS1_11comp_targetILNS1_3genE0ELNS1_11target_archE4294967295ELNS1_3gpuE0ELNS1_3repE0EEENS1_38merge_mergepath_config_static_selectorELNS0_4arch9wavefront6targetE0EEEvSF_.numbered_sgpr, 22
	.set _ZN7rocprim17ROCPRIM_400000_NS6detail17trampoline_kernelINS0_14default_configENS1_38merge_sort_block_merge_config_selectorIdNS0_10empty_typeEEEZZNS1_27merge_sort_block_merge_implIS3_PdPS5_jNS1_19radix_merge_compareILb1ELb0EdNS0_19identity_decomposerEEEEE10hipError_tT0_T1_T2_jT3_P12ihipStream_tbPNSt15iterator_traitsISE_E10value_typeEPNSK_ISF_E10value_typeEPSG_NS1_7vsmem_tEENKUlT_SE_SF_SG_E_clIS8_S8_S9_S9_EESD_ST_SE_SF_SG_EUlST_E0_NS1_11comp_targetILNS1_3genE0ELNS1_11target_archE4294967295ELNS1_3gpuE0ELNS1_3repE0EEENS1_38merge_mergepath_config_static_selectorELNS0_4arch9wavefront6targetE0EEEvSF_.num_named_barrier, 0
	.set _ZN7rocprim17ROCPRIM_400000_NS6detail17trampoline_kernelINS0_14default_configENS1_38merge_sort_block_merge_config_selectorIdNS0_10empty_typeEEEZZNS1_27merge_sort_block_merge_implIS3_PdPS5_jNS1_19radix_merge_compareILb1ELb0EdNS0_19identity_decomposerEEEEE10hipError_tT0_T1_T2_jT3_P12ihipStream_tbPNSt15iterator_traitsISE_E10value_typeEPNSK_ISF_E10value_typeEPSG_NS1_7vsmem_tEENKUlT_SE_SF_SG_E_clIS8_S8_S9_S9_EESD_ST_SE_SF_SG_EUlST_E0_NS1_11comp_targetILNS1_3genE0ELNS1_11target_archE4294967295ELNS1_3gpuE0ELNS1_3repE0EEENS1_38merge_mergepath_config_static_selectorELNS0_4arch9wavefront6targetE0EEEvSF_.private_seg_size, 0
	.set _ZN7rocprim17ROCPRIM_400000_NS6detail17trampoline_kernelINS0_14default_configENS1_38merge_sort_block_merge_config_selectorIdNS0_10empty_typeEEEZZNS1_27merge_sort_block_merge_implIS3_PdPS5_jNS1_19radix_merge_compareILb1ELb0EdNS0_19identity_decomposerEEEEE10hipError_tT0_T1_T2_jT3_P12ihipStream_tbPNSt15iterator_traitsISE_E10value_typeEPNSK_ISF_E10value_typeEPSG_NS1_7vsmem_tEENKUlT_SE_SF_SG_E_clIS8_S8_S9_S9_EESD_ST_SE_SF_SG_EUlST_E0_NS1_11comp_targetILNS1_3genE0ELNS1_11target_archE4294967295ELNS1_3gpuE0ELNS1_3repE0EEENS1_38merge_mergepath_config_static_selectorELNS0_4arch9wavefront6targetE0EEEvSF_.uses_vcc, 1
	.set _ZN7rocprim17ROCPRIM_400000_NS6detail17trampoline_kernelINS0_14default_configENS1_38merge_sort_block_merge_config_selectorIdNS0_10empty_typeEEEZZNS1_27merge_sort_block_merge_implIS3_PdPS5_jNS1_19radix_merge_compareILb1ELb0EdNS0_19identity_decomposerEEEEE10hipError_tT0_T1_T2_jT3_P12ihipStream_tbPNSt15iterator_traitsISE_E10value_typeEPNSK_ISF_E10value_typeEPSG_NS1_7vsmem_tEENKUlT_SE_SF_SG_E_clIS8_S8_S9_S9_EESD_ST_SE_SF_SG_EUlST_E0_NS1_11comp_targetILNS1_3genE0ELNS1_11target_archE4294967295ELNS1_3gpuE0ELNS1_3repE0EEENS1_38merge_mergepath_config_static_selectorELNS0_4arch9wavefront6targetE0EEEvSF_.uses_flat_scratch, 0
	.set _ZN7rocprim17ROCPRIM_400000_NS6detail17trampoline_kernelINS0_14default_configENS1_38merge_sort_block_merge_config_selectorIdNS0_10empty_typeEEEZZNS1_27merge_sort_block_merge_implIS3_PdPS5_jNS1_19radix_merge_compareILb1ELb0EdNS0_19identity_decomposerEEEEE10hipError_tT0_T1_T2_jT3_P12ihipStream_tbPNSt15iterator_traitsISE_E10value_typeEPNSK_ISF_E10value_typeEPSG_NS1_7vsmem_tEENKUlT_SE_SF_SG_E_clIS8_S8_S9_S9_EESD_ST_SE_SF_SG_EUlST_E0_NS1_11comp_targetILNS1_3genE0ELNS1_11target_archE4294967295ELNS1_3gpuE0ELNS1_3repE0EEENS1_38merge_mergepath_config_static_selectorELNS0_4arch9wavefront6targetE0EEEvSF_.has_dyn_sized_stack, 0
	.set _ZN7rocprim17ROCPRIM_400000_NS6detail17trampoline_kernelINS0_14default_configENS1_38merge_sort_block_merge_config_selectorIdNS0_10empty_typeEEEZZNS1_27merge_sort_block_merge_implIS3_PdPS5_jNS1_19radix_merge_compareILb1ELb0EdNS0_19identity_decomposerEEEEE10hipError_tT0_T1_T2_jT3_P12ihipStream_tbPNSt15iterator_traitsISE_E10value_typeEPNSK_ISF_E10value_typeEPSG_NS1_7vsmem_tEENKUlT_SE_SF_SG_E_clIS8_S8_S9_S9_EESD_ST_SE_SF_SG_EUlST_E0_NS1_11comp_targetILNS1_3genE0ELNS1_11target_archE4294967295ELNS1_3gpuE0ELNS1_3repE0EEENS1_38merge_mergepath_config_static_selectorELNS0_4arch9wavefront6targetE0EEEvSF_.has_recursion, 0
	.set _ZN7rocprim17ROCPRIM_400000_NS6detail17trampoline_kernelINS0_14default_configENS1_38merge_sort_block_merge_config_selectorIdNS0_10empty_typeEEEZZNS1_27merge_sort_block_merge_implIS3_PdPS5_jNS1_19radix_merge_compareILb1ELb0EdNS0_19identity_decomposerEEEEE10hipError_tT0_T1_T2_jT3_P12ihipStream_tbPNSt15iterator_traitsISE_E10value_typeEPNSK_ISF_E10value_typeEPSG_NS1_7vsmem_tEENKUlT_SE_SF_SG_E_clIS8_S8_S9_S9_EESD_ST_SE_SF_SG_EUlST_E0_NS1_11comp_targetILNS1_3genE0ELNS1_11target_archE4294967295ELNS1_3gpuE0ELNS1_3repE0EEENS1_38merge_mergepath_config_static_selectorELNS0_4arch9wavefront6targetE0EEEvSF_.has_indirect_call, 0
	.section	.AMDGPU.csdata,"",@progbits
; Kernel info:
; codeLenInByte = 3020
; TotalNumSgprs: 24
; NumVgprs: 26
; ScratchSize: 0
; MemoryBound: 0
; FloatMode: 240
; IeeeMode: 1
; LDSByteSize: 8448 bytes/workgroup (compile time only)
; SGPRBlocks: 0
; VGPRBlocks: 1
; NumSGPRsForWavesPerEU: 24
; NumVGPRsForWavesPerEU: 26
; NamedBarCnt: 0
; Occupancy: 16
; WaveLimiterHint : 1
; COMPUTE_PGM_RSRC2:SCRATCH_EN: 0
; COMPUTE_PGM_RSRC2:USER_SGPR: 2
; COMPUTE_PGM_RSRC2:TRAP_HANDLER: 0
; COMPUTE_PGM_RSRC2:TGID_X_EN: 1
; COMPUTE_PGM_RSRC2:TGID_Y_EN: 1
; COMPUTE_PGM_RSRC2:TGID_Z_EN: 1
; COMPUTE_PGM_RSRC2:TIDIG_COMP_CNT: 0
	.section	.text._ZN7rocprim17ROCPRIM_400000_NS6detail17trampoline_kernelINS0_14default_configENS1_38merge_sort_block_merge_config_selectorIdNS0_10empty_typeEEEZZNS1_27merge_sort_block_merge_implIS3_PdPS5_jNS1_19radix_merge_compareILb1ELb0EdNS0_19identity_decomposerEEEEE10hipError_tT0_T1_T2_jT3_P12ihipStream_tbPNSt15iterator_traitsISE_E10value_typeEPNSK_ISF_E10value_typeEPSG_NS1_7vsmem_tEENKUlT_SE_SF_SG_E_clIS8_S8_S9_S9_EESD_ST_SE_SF_SG_EUlST_E0_NS1_11comp_targetILNS1_3genE10ELNS1_11target_archE1201ELNS1_3gpuE5ELNS1_3repE0EEENS1_38merge_mergepath_config_static_selectorELNS0_4arch9wavefront6targetE0EEEvSF_,"axG",@progbits,_ZN7rocprim17ROCPRIM_400000_NS6detail17trampoline_kernelINS0_14default_configENS1_38merge_sort_block_merge_config_selectorIdNS0_10empty_typeEEEZZNS1_27merge_sort_block_merge_implIS3_PdPS5_jNS1_19radix_merge_compareILb1ELb0EdNS0_19identity_decomposerEEEEE10hipError_tT0_T1_T2_jT3_P12ihipStream_tbPNSt15iterator_traitsISE_E10value_typeEPNSK_ISF_E10value_typeEPSG_NS1_7vsmem_tEENKUlT_SE_SF_SG_E_clIS8_S8_S9_S9_EESD_ST_SE_SF_SG_EUlST_E0_NS1_11comp_targetILNS1_3genE10ELNS1_11target_archE1201ELNS1_3gpuE5ELNS1_3repE0EEENS1_38merge_mergepath_config_static_selectorELNS0_4arch9wavefront6targetE0EEEvSF_,comdat
	.protected	_ZN7rocprim17ROCPRIM_400000_NS6detail17trampoline_kernelINS0_14default_configENS1_38merge_sort_block_merge_config_selectorIdNS0_10empty_typeEEEZZNS1_27merge_sort_block_merge_implIS3_PdPS5_jNS1_19radix_merge_compareILb1ELb0EdNS0_19identity_decomposerEEEEE10hipError_tT0_T1_T2_jT3_P12ihipStream_tbPNSt15iterator_traitsISE_E10value_typeEPNSK_ISF_E10value_typeEPSG_NS1_7vsmem_tEENKUlT_SE_SF_SG_E_clIS8_S8_S9_S9_EESD_ST_SE_SF_SG_EUlST_E0_NS1_11comp_targetILNS1_3genE10ELNS1_11target_archE1201ELNS1_3gpuE5ELNS1_3repE0EEENS1_38merge_mergepath_config_static_selectorELNS0_4arch9wavefront6targetE0EEEvSF_ ; -- Begin function _ZN7rocprim17ROCPRIM_400000_NS6detail17trampoline_kernelINS0_14default_configENS1_38merge_sort_block_merge_config_selectorIdNS0_10empty_typeEEEZZNS1_27merge_sort_block_merge_implIS3_PdPS5_jNS1_19radix_merge_compareILb1ELb0EdNS0_19identity_decomposerEEEEE10hipError_tT0_T1_T2_jT3_P12ihipStream_tbPNSt15iterator_traitsISE_E10value_typeEPNSK_ISF_E10value_typeEPSG_NS1_7vsmem_tEENKUlT_SE_SF_SG_E_clIS8_S8_S9_S9_EESD_ST_SE_SF_SG_EUlST_E0_NS1_11comp_targetILNS1_3genE10ELNS1_11target_archE1201ELNS1_3gpuE5ELNS1_3repE0EEENS1_38merge_mergepath_config_static_selectorELNS0_4arch9wavefront6targetE0EEEvSF_
	.globl	_ZN7rocprim17ROCPRIM_400000_NS6detail17trampoline_kernelINS0_14default_configENS1_38merge_sort_block_merge_config_selectorIdNS0_10empty_typeEEEZZNS1_27merge_sort_block_merge_implIS3_PdPS5_jNS1_19radix_merge_compareILb1ELb0EdNS0_19identity_decomposerEEEEE10hipError_tT0_T1_T2_jT3_P12ihipStream_tbPNSt15iterator_traitsISE_E10value_typeEPNSK_ISF_E10value_typeEPSG_NS1_7vsmem_tEENKUlT_SE_SF_SG_E_clIS8_S8_S9_S9_EESD_ST_SE_SF_SG_EUlST_E0_NS1_11comp_targetILNS1_3genE10ELNS1_11target_archE1201ELNS1_3gpuE5ELNS1_3repE0EEENS1_38merge_mergepath_config_static_selectorELNS0_4arch9wavefront6targetE0EEEvSF_
	.p2align	8
	.type	_ZN7rocprim17ROCPRIM_400000_NS6detail17trampoline_kernelINS0_14default_configENS1_38merge_sort_block_merge_config_selectorIdNS0_10empty_typeEEEZZNS1_27merge_sort_block_merge_implIS3_PdPS5_jNS1_19radix_merge_compareILb1ELb0EdNS0_19identity_decomposerEEEEE10hipError_tT0_T1_T2_jT3_P12ihipStream_tbPNSt15iterator_traitsISE_E10value_typeEPNSK_ISF_E10value_typeEPSG_NS1_7vsmem_tEENKUlT_SE_SF_SG_E_clIS8_S8_S9_S9_EESD_ST_SE_SF_SG_EUlST_E0_NS1_11comp_targetILNS1_3genE10ELNS1_11target_archE1201ELNS1_3gpuE5ELNS1_3repE0EEENS1_38merge_mergepath_config_static_selectorELNS0_4arch9wavefront6targetE0EEEvSF_,@function
_ZN7rocprim17ROCPRIM_400000_NS6detail17trampoline_kernelINS0_14default_configENS1_38merge_sort_block_merge_config_selectorIdNS0_10empty_typeEEEZZNS1_27merge_sort_block_merge_implIS3_PdPS5_jNS1_19radix_merge_compareILb1ELb0EdNS0_19identity_decomposerEEEEE10hipError_tT0_T1_T2_jT3_P12ihipStream_tbPNSt15iterator_traitsISE_E10value_typeEPNSK_ISF_E10value_typeEPSG_NS1_7vsmem_tEENKUlT_SE_SF_SG_E_clIS8_S8_S9_S9_EESD_ST_SE_SF_SG_EUlST_E0_NS1_11comp_targetILNS1_3genE10ELNS1_11target_archE1201ELNS1_3gpuE5ELNS1_3repE0EEENS1_38merge_mergepath_config_static_selectorELNS0_4arch9wavefront6targetE0EEEvSF_: ; @_ZN7rocprim17ROCPRIM_400000_NS6detail17trampoline_kernelINS0_14default_configENS1_38merge_sort_block_merge_config_selectorIdNS0_10empty_typeEEEZZNS1_27merge_sort_block_merge_implIS3_PdPS5_jNS1_19radix_merge_compareILb1ELb0EdNS0_19identity_decomposerEEEEE10hipError_tT0_T1_T2_jT3_P12ihipStream_tbPNSt15iterator_traitsISE_E10value_typeEPNSK_ISF_E10value_typeEPSG_NS1_7vsmem_tEENKUlT_SE_SF_SG_E_clIS8_S8_S9_S9_EESD_ST_SE_SF_SG_EUlST_E0_NS1_11comp_targetILNS1_3genE10ELNS1_11target_archE1201ELNS1_3gpuE5ELNS1_3repE0EEENS1_38merge_mergepath_config_static_selectorELNS0_4arch9wavefront6targetE0EEEvSF_
; %bb.0:
	.section	.rodata,"a",@progbits
	.p2align	6, 0x0
	.amdhsa_kernel _ZN7rocprim17ROCPRIM_400000_NS6detail17trampoline_kernelINS0_14default_configENS1_38merge_sort_block_merge_config_selectorIdNS0_10empty_typeEEEZZNS1_27merge_sort_block_merge_implIS3_PdPS5_jNS1_19radix_merge_compareILb1ELb0EdNS0_19identity_decomposerEEEEE10hipError_tT0_T1_T2_jT3_P12ihipStream_tbPNSt15iterator_traitsISE_E10value_typeEPNSK_ISF_E10value_typeEPSG_NS1_7vsmem_tEENKUlT_SE_SF_SG_E_clIS8_S8_S9_S9_EESD_ST_SE_SF_SG_EUlST_E0_NS1_11comp_targetILNS1_3genE10ELNS1_11target_archE1201ELNS1_3gpuE5ELNS1_3repE0EEENS1_38merge_mergepath_config_static_selectorELNS0_4arch9wavefront6targetE0EEEvSF_
		.amdhsa_group_segment_fixed_size 0
		.amdhsa_private_segment_fixed_size 0
		.amdhsa_kernarg_size 64
		.amdhsa_user_sgpr_count 2
		.amdhsa_user_sgpr_dispatch_ptr 0
		.amdhsa_user_sgpr_queue_ptr 0
		.amdhsa_user_sgpr_kernarg_segment_ptr 1
		.amdhsa_user_sgpr_dispatch_id 0
		.amdhsa_user_sgpr_kernarg_preload_length 0
		.amdhsa_user_sgpr_kernarg_preload_offset 0
		.amdhsa_user_sgpr_private_segment_size 0
		.amdhsa_wavefront_size32 1
		.amdhsa_uses_dynamic_stack 0
		.amdhsa_enable_private_segment 0
		.amdhsa_system_sgpr_workgroup_id_x 1
		.amdhsa_system_sgpr_workgroup_id_y 0
		.amdhsa_system_sgpr_workgroup_id_z 0
		.amdhsa_system_sgpr_workgroup_info 0
		.amdhsa_system_vgpr_workitem_id 0
		.amdhsa_next_free_vgpr 1
		.amdhsa_next_free_sgpr 1
		.amdhsa_named_barrier_count 0
		.amdhsa_reserve_vcc 0
		.amdhsa_float_round_mode_32 0
		.amdhsa_float_round_mode_16_64 0
		.amdhsa_float_denorm_mode_32 3
		.amdhsa_float_denorm_mode_16_64 3
		.amdhsa_fp16_overflow 0
		.amdhsa_memory_ordered 1
		.amdhsa_forward_progress 1
		.amdhsa_inst_pref_size 0
		.amdhsa_round_robin_scheduling 0
		.amdhsa_exception_fp_ieee_invalid_op 0
		.amdhsa_exception_fp_denorm_src 0
		.amdhsa_exception_fp_ieee_div_zero 0
		.amdhsa_exception_fp_ieee_overflow 0
		.amdhsa_exception_fp_ieee_underflow 0
		.amdhsa_exception_fp_ieee_inexact 0
		.amdhsa_exception_int_div_zero 0
	.end_amdhsa_kernel
	.section	.text._ZN7rocprim17ROCPRIM_400000_NS6detail17trampoline_kernelINS0_14default_configENS1_38merge_sort_block_merge_config_selectorIdNS0_10empty_typeEEEZZNS1_27merge_sort_block_merge_implIS3_PdPS5_jNS1_19radix_merge_compareILb1ELb0EdNS0_19identity_decomposerEEEEE10hipError_tT0_T1_T2_jT3_P12ihipStream_tbPNSt15iterator_traitsISE_E10value_typeEPNSK_ISF_E10value_typeEPSG_NS1_7vsmem_tEENKUlT_SE_SF_SG_E_clIS8_S8_S9_S9_EESD_ST_SE_SF_SG_EUlST_E0_NS1_11comp_targetILNS1_3genE10ELNS1_11target_archE1201ELNS1_3gpuE5ELNS1_3repE0EEENS1_38merge_mergepath_config_static_selectorELNS0_4arch9wavefront6targetE0EEEvSF_,"axG",@progbits,_ZN7rocprim17ROCPRIM_400000_NS6detail17trampoline_kernelINS0_14default_configENS1_38merge_sort_block_merge_config_selectorIdNS0_10empty_typeEEEZZNS1_27merge_sort_block_merge_implIS3_PdPS5_jNS1_19radix_merge_compareILb1ELb0EdNS0_19identity_decomposerEEEEE10hipError_tT0_T1_T2_jT3_P12ihipStream_tbPNSt15iterator_traitsISE_E10value_typeEPNSK_ISF_E10value_typeEPSG_NS1_7vsmem_tEENKUlT_SE_SF_SG_E_clIS8_S8_S9_S9_EESD_ST_SE_SF_SG_EUlST_E0_NS1_11comp_targetILNS1_3genE10ELNS1_11target_archE1201ELNS1_3gpuE5ELNS1_3repE0EEENS1_38merge_mergepath_config_static_selectorELNS0_4arch9wavefront6targetE0EEEvSF_,comdat
.Lfunc_end1469:
	.size	_ZN7rocprim17ROCPRIM_400000_NS6detail17trampoline_kernelINS0_14default_configENS1_38merge_sort_block_merge_config_selectorIdNS0_10empty_typeEEEZZNS1_27merge_sort_block_merge_implIS3_PdPS5_jNS1_19radix_merge_compareILb1ELb0EdNS0_19identity_decomposerEEEEE10hipError_tT0_T1_T2_jT3_P12ihipStream_tbPNSt15iterator_traitsISE_E10value_typeEPNSK_ISF_E10value_typeEPSG_NS1_7vsmem_tEENKUlT_SE_SF_SG_E_clIS8_S8_S9_S9_EESD_ST_SE_SF_SG_EUlST_E0_NS1_11comp_targetILNS1_3genE10ELNS1_11target_archE1201ELNS1_3gpuE5ELNS1_3repE0EEENS1_38merge_mergepath_config_static_selectorELNS0_4arch9wavefront6targetE0EEEvSF_, .Lfunc_end1469-_ZN7rocprim17ROCPRIM_400000_NS6detail17trampoline_kernelINS0_14default_configENS1_38merge_sort_block_merge_config_selectorIdNS0_10empty_typeEEEZZNS1_27merge_sort_block_merge_implIS3_PdPS5_jNS1_19radix_merge_compareILb1ELb0EdNS0_19identity_decomposerEEEEE10hipError_tT0_T1_T2_jT3_P12ihipStream_tbPNSt15iterator_traitsISE_E10value_typeEPNSK_ISF_E10value_typeEPSG_NS1_7vsmem_tEENKUlT_SE_SF_SG_E_clIS8_S8_S9_S9_EESD_ST_SE_SF_SG_EUlST_E0_NS1_11comp_targetILNS1_3genE10ELNS1_11target_archE1201ELNS1_3gpuE5ELNS1_3repE0EEENS1_38merge_mergepath_config_static_selectorELNS0_4arch9wavefront6targetE0EEEvSF_
                                        ; -- End function
	.set _ZN7rocprim17ROCPRIM_400000_NS6detail17trampoline_kernelINS0_14default_configENS1_38merge_sort_block_merge_config_selectorIdNS0_10empty_typeEEEZZNS1_27merge_sort_block_merge_implIS3_PdPS5_jNS1_19radix_merge_compareILb1ELb0EdNS0_19identity_decomposerEEEEE10hipError_tT0_T1_T2_jT3_P12ihipStream_tbPNSt15iterator_traitsISE_E10value_typeEPNSK_ISF_E10value_typeEPSG_NS1_7vsmem_tEENKUlT_SE_SF_SG_E_clIS8_S8_S9_S9_EESD_ST_SE_SF_SG_EUlST_E0_NS1_11comp_targetILNS1_3genE10ELNS1_11target_archE1201ELNS1_3gpuE5ELNS1_3repE0EEENS1_38merge_mergepath_config_static_selectorELNS0_4arch9wavefront6targetE0EEEvSF_.num_vgpr, 0
	.set _ZN7rocprim17ROCPRIM_400000_NS6detail17trampoline_kernelINS0_14default_configENS1_38merge_sort_block_merge_config_selectorIdNS0_10empty_typeEEEZZNS1_27merge_sort_block_merge_implIS3_PdPS5_jNS1_19radix_merge_compareILb1ELb0EdNS0_19identity_decomposerEEEEE10hipError_tT0_T1_T2_jT3_P12ihipStream_tbPNSt15iterator_traitsISE_E10value_typeEPNSK_ISF_E10value_typeEPSG_NS1_7vsmem_tEENKUlT_SE_SF_SG_E_clIS8_S8_S9_S9_EESD_ST_SE_SF_SG_EUlST_E0_NS1_11comp_targetILNS1_3genE10ELNS1_11target_archE1201ELNS1_3gpuE5ELNS1_3repE0EEENS1_38merge_mergepath_config_static_selectorELNS0_4arch9wavefront6targetE0EEEvSF_.num_agpr, 0
	.set _ZN7rocprim17ROCPRIM_400000_NS6detail17trampoline_kernelINS0_14default_configENS1_38merge_sort_block_merge_config_selectorIdNS0_10empty_typeEEEZZNS1_27merge_sort_block_merge_implIS3_PdPS5_jNS1_19radix_merge_compareILb1ELb0EdNS0_19identity_decomposerEEEEE10hipError_tT0_T1_T2_jT3_P12ihipStream_tbPNSt15iterator_traitsISE_E10value_typeEPNSK_ISF_E10value_typeEPSG_NS1_7vsmem_tEENKUlT_SE_SF_SG_E_clIS8_S8_S9_S9_EESD_ST_SE_SF_SG_EUlST_E0_NS1_11comp_targetILNS1_3genE10ELNS1_11target_archE1201ELNS1_3gpuE5ELNS1_3repE0EEENS1_38merge_mergepath_config_static_selectorELNS0_4arch9wavefront6targetE0EEEvSF_.numbered_sgpr, 0
	.set _ZN7rocprim17ROCPRIM_400000_NS6detail17trampoline_kernelINS0_14default_configENS1_38merge_sort_block_merge_config_selectorIdNS0_10empty_typeEEEZZNS1_27merge_sort_block_merge_implIS3_PdPS5_jNS1_19radix_merge_compareILb1ELb0EdNS0_19identity_decomposerEEEEE10hipError_tT0_T1_T2_jT3_P12ihipStream_tbPNSt15iterator_traitsISE_E10value_typeEPNSK_ISF_E10value_typeEPSG_NS1_7vsmem_tEENKUlT_SE_SF_SG_E_clIS8_S8_S9_S9_EESD_ST_SE_SF_SG_EUlST_E0_NS1_11comp_targetILNS1_3genE10ELNS1_11target_archE1201ELNS1_3gpuE5ELNS1_3repE0EEENS1_38merge_mergepath_config_static_selectorELNS0_4arch9wavefront6targetE0EEEvSF_.num_named_barrier, 0
	.set _ZN7rocprim17ROCPRIM_400000_NS6detail17trampoline_kernelINS0_14default_configENS1_38merge_sort_block_merge_config_selectorIdNS0_10empty_typeEEEZZNS1_27merge_sort_block_merge_implIS3_PdPS5_jNS1_19radix_merge_compareILb1ELb0EdNS0_19identity_decomposerEEEEE10hipError_tT0_T1_T2_jT3_P12ihipStream_tbPNSt15iterator_traitsISE_E10value_typeEPNSK_ISF_E10value_typeEPSG_NS1_7vsmem_tEENKUlT_SE_SF_SG_E_clIS8_S8_S9_S9_EESD_ST_SE_SF_SG_EUlST_E0_NS1_11comp_targetILNS1_3genE10ELNS1_11target_archE1201ELNS1_3gpuE5ELNS1_3repE0EEENS1_38merge_mergepath_config_static_selectorELNS0_4arch9wavefront6targetE0EEEvSF_.private_seg_size, 0
	.set _ZN7rocprim17ROCPRIM_400000_NS6detail17trampoline_kernelINS0_14default_configENS1_38merge_sort_block_merge_config_selectorIdNS0_10empty_typeEEEZZNS1_27merge_sort_block_merge_implIS3_PdPS5_jNS1_19radix_merge_compareILb1ELb0EdNS0_19identity_decomposerEEEEE10hipError_tT0_T1_T2_jT3_P12ihipStream_tbPNSt15iterator_traitsISE_E10value_typeEPNSK_ISF_E10value_typeEPSG_NS1_7vsmem_tEENKUlT_SE_SF_SG_E_clIS8_S8_S9_S9_EESD_ST_SE_SF_SG_EUlST_E0_NS1_11comp_targetILNS1_3genE10ELNS1_11target_archE1201ELNS1_3gpuE5ELNS1_3repE0EEENS1_38merge_mergepath_config_static_selectorELNS0_4arch9wavefront6targetE0EEEvSF_.uses_vcc, 0
	.set _ZN7rocprim17ROCPRIM_400000_NS6detail17trampoline_kernelINS0_14default_configENS1_38merge_sort_block_merge_config_selectorIdNS0_10empty_typeEEEZZNS1_27merge_sort_block_merge_implIS3_PdPS5_jNS1_19radix_merge_compareILb1ELb0EdNS0_19identity_decomposerEEEEE10hipError_tT0_T1_T2_jT3_P12ihipStream_tbPNSt15iterator_traitsISE_E10value_typeEPNSK_ISF_E10value_typeEPSG_NS1_7vsmem_tEENKUlT_SE_SF_SG_E_clIS8_S8_S9_S9_EESD_ST_SE_SF_SG_EUlST_E0_NS1_11comp_targetILNS1_3genE10ELNS1_11target_archE1201ELNS1_3gpuE5ELNS1_3repE0EEENS1_38merge_mergepath_config_static_selectorELNS0_4arch9wavefront6targetE0EEEvSF_.uses_flat_scratch, 0
	.set _ZN7rocprim17ROCPRIM_400000_NS6detail17trampoline_kernelINS0_14default_configENS1_38merge_sort_block_merge_config_selectorIdNS0_10empty_typeEEEZZNS1_27merge_sort_block_merge_implIS3_PdPS5_jNS1_19radix_merge_compareILb1ELb0EdNS0_19identity_decomposerEEEEE10hipError_tT0_T1_T2_jT3_P12ihipStream_tbPNSt15iterator_traitsISE_E10value_typeEPNSK_ISF_E10value_typeEPSG_NS1_7vsmem_tEENKUlT_SE_SF_SG_E_clIS8_S8_S9_S9_EESD_ST_SE_SF_SG_EUlST_E0_NS1_11comp_targetILNS1_3genE10ELNS1_11target_archE1201ELNS1_3gpuE5ELNS1_3repE0EEENS1_38merge_mergepath_config_static_selectorELNS0_4arch9wavefront6targetE0EEEvSF_.has_dyn_sized_stack, 0
	.set _ZN7rocprim17ROCPRIM_400000_NS6detail17trampoline_kernelINS0_14default_configENS1_38merge_sort_block_merge_config_selectorIdNS0_10empty_typeEEEZZNS1_27merge_sort_block_merge_implIS3_PdPS5_jNS1_19radix_merge_compareILb1ELb0EdNS0_19identity_decomposerEEEEE10hipError_tT0_T1_T2_jT3_P12ihipStream_tbPNSt15iterator_traitsISE_E10value_typeEPNSK_ISF_E10value_typeEPSG_NS1_7vsmem_tEENKUlT_SE_SF_SG_E_clIS8_S8_S9_S9_EESD_ST_SE_SF_SG_EUlST_E0_NS1_11comp_targetILNS1_3genE10ELNS1_11target_archE1201ELNS1_3gpuE5ELNS1_3repE0EEENS1_38merge_mergepath_config_static_selectorELNS0_4arch9wavefront6targetE0EEEvSF_.has_recursion, 0
	.set _ZN7rocprim17ROCPRIM_400000_NS6detail17trampoline_kernelINS0_14default_configENS1_38merge_sort_block_merge_config_selectorIdNS0_10empty_typeEEEZZNS1_27merge_sort_block_merge_implIS3_PdPS5_jNS1_19radix_merge_compareILb1ELb0EdNS0_19identity_decomposerEEEEE10hipError_tT0_T1_T2_jT3_P12ihipStream_tbPNSt15iterator_traitsISE_E10value_typeEPNSK_ISF_E10value_typeEPSG_NS1_7vsmem_tEENKUlT_SE_SF_SG_E_clIS8_S8_S9_S9_EESD_ST_SE_SF_SG_EUlST_E0_NS1_11comp_targetILNS1_3genE10ELNS1_11target_archE1201ELNS1_3gpuE5ELNS1_3repE0EEENS1_38merge_mergepath_config_static_selectorELNS0_4arch9wavefront6targetE0EEEvSF_.has_indirect_call, 0
	.section	.AMDGPU.csdata,"",@progbits
; Kernel info:
; codeLenInByte = 0
; TotalNumSgprs: 0
; NumVgprs: 0
; ScratchSize: 0
; MemoryBound: 0
; FloatMode: 240
; IeeeMode: 1
; LDSByteSize: 0 bytes/workgroup (compile time only)
; SGPRBlocks: 0
; VGPRBlocks: 0
; NumSGPRsForWavesPerEU: 1
; NumVGPRsForWavesPerEU: 1
; NamedBarCnt: 0
; Occupancy: 16
; WaveLimiterHint : 0
; COMPUTE_PGM_RSRC2:SCRATCH_EN: 0
; COMPUTE_PGM_RSRC2:USER_SGPR: 2
; COMPUTE_PGM_RSRC2:TRAP_HANDLER: 0
; COMPUTE_PGM_RSRC2:TGID_X_EN: 1
; COMPUTE_PGM_RSRC2:TGID_Y_EN: 0
; COMPUTE_PGM_RSRC2:TGID_Z_EN: 0
; COMPUTE_PGM_RSRC2:TIDIG_COMP_CNT: 0
	.section	.text._ZN7rocprim17ROCPRIM_400000_NS6detail17trampoline_kernelINS0_14default_configENS1_38merge_sort_block_merge_config_selectorIdNS0_10empty_typeEEEZZNS1_27merge_sort_block_merge_implIS3_PdPS5_jNS1_19radix_merge_compareILb1ELb0EdNS0_19identity_decomposerEEEEE10hipError_tT0_T1_T2_jT3_P12ihipStream_tbPNSt15iterator_traitsISE_E10value_typeEPNSK_ISF_E10value_typeEPSG_NS1_7vsmem_tEENKUlT_SE_SF_SG_E_clIS8_S8_S9_S9_EESD_ST_SE_SF_SG_EUlST_E0_NS1_11comp_targetILNS1_3genE5ELNS1_11target_archE942ELNS1_3gpuE9ELNS1_3repE0EEENS1_38merge_mergepath_config_static_selectorELNS0_4arch9wavefront6targetE0EEEvSF_,"axG",@progbits,_ZN7rocprim17ROCPRIM_400000_NS6detail17trampoline_kernelINS0_14default_configENS1_38merge_sort_block_merge_config_selectorIdNS0_10empty_typeEEEZZNS1_27merge_sort_block_merge_implIS3_PdPS5_jNS1_19radix_merge_compareILb1ELb0EdNS0_19identity_decomposerEEEEE10hipError_tT0_T1_T2_jT3_P12ihipStream_tbPNSt15iterator_traitsISE_E10value_typeEPNSK_ISF_E10value_typeEPSG_NS1_7vsmem_tEENKUlT_SE_SF_SG_E_clIS8_S8_S9_S9_EESD_ST_SE_SF_SG_EUlST_E0_NS1_11comp_targetILNS1_3genE5ELNS1_11target_archE942ELNS1_3gpuE9ELNS1_3repE0EEENS1_38merge_mergepath_config_static_selectorELNS0_4arch9wavefront6targetE0EEEvSF_,comdat
	.protected	_ZN7rocprim17ROCPRIM_400000_NS6detail17trampoline_kernelINS0_14default_configENS1_38merge_sort_block_merge_config_selectorIdNS0_10empty_typeEEEZZNS1_27merge_sort_block_merge_implIS3_PdPS5_jNS1_19radix_merge_compareILb1ELb0EdNS0_19identity_decomposerEEEEE10hipError_tT0_T1_T2_jT3_P12ihipStream_tbPNSt15iterator_traitsISE_E10value_typeEPNSK_ISF_E10value_typeEPSG_NS1_7vsmem_tEENKUlT_SE_SF_SG_E_clIS8_S8_S9_S9_EESD_ST_SE_SF_SG_EUlST_E0_NS1_11comp_targetILNS1_3genE5ELNS1_11target_archE942ELNS1_3gpuE9ELNS1_3repE0EEENS1_38merge_mergepath_config_static_selectorELNS0_4arch9wavefront6targetE0EEEvSF_ ; -- Begin function _ZN7rocprim17ROCPRIM_400000_NS6detail17trampoline_kernelINS0_14default_configENS1_38merge_sort_block_merge_config_selectorIdNS0_10empty_typeEEEZZNS1_27merge_sort_block_merge_implIS3_PdPS5_jNS1_19radix_merge_compareILb1ELb0EdNS0_19identity_decomposerEEEEE10hipError_tT0_T1_T2_jT3_P12ihipStream_tbPNSt15iterator_traitsISE_E10value_typeEPNSK_ISF_E10value_typeEPSG_NS1_7vsmem_tEENKUlT_SE_SF_SG_E_clIS8_S8_S9_S9_EESD_ST_SE_SF_SG_EUlST_E0_NS1_11comp_targetILNS1_3genE5ELNS1_11target_archE942ELNS1_3gpuE9ELNS1_3repE0EEENS1_38merge_mergepath_config_static_selectorELNS0_4arch9wavefront6targetE0EEEvSF_
	.globl	_ZN7rocprim17ROCPRIM_400000_NS6detail17trampoline_kernelINS0_14default_configENS1_38merge_sort_block_merge_config_selectorIdNS0_10empty_typeEEEZZNS1_27merge_sort_block_merge_implIS3_PdPS5_jNS1_19radix_merge_compareILb1ELb0EdNS0_19identity_decomposerEEEEE10hipError_tT0_T1_T2_jT3_P12ihipStream_tbPNSt15iterator_traitsISE_E10value_typeEPNSK_ISF_E10value_typeEPSG_NS1_7vsmem_tEENKUlT_SE_SF_SG_E_clIS8_S8_S9_S9_EESD_ST_SE_SF_SG_EUlST_E0_NS1_11comp_targetILNS1_3genE5ELNS1_11target_archE942ELNS1_3gpuE9ELNS1_3repE0EEENS1_38merge_mergepath_config_static_selectorELNS0_4arch9wavefront6targetE0EEEvSF_
	.p2align	8
	.type	_ZN7rocprim17ROCPRIM_400000_NS6detail17trampoline_kernelINS0_14default_configENS1_38merge_sort_block_merge_config_selectorIdNS0_10empty_typeEEEZZNS1_27merge_sort_block_merge_implIS3_PdPS5_jNS1_19radix_merge_compareILb1ELb0EdNS0_19identity_decomposerEEEEE10hipError_tT0_T1_T2_jT3_P12ihipStream_tbPNSt15iterator_traitsISE_E10value_typeEPNSK_ISF_E10value_typeEPSG_NS1_7vsmem_tEENKUlT_SE_SF_SG_E_clIS8_S8_S9_S9_EESD_ST_SE_SF_SG_EUlST_E0_NS1_11comp_targetILNS1_3genE5ELNS1_11target_archE942ELNS1_3gpuE9ELNS1_3repE0EEENS1_38merge_mergepath_config_static_selectorELNS0_4arch9wavefront6targetE0EEEvSF_,@function
_ZN7rocprim17ROCPRIM_400000_NS6detail17trampoline_kernelINS0_14default_configENS1_38merge_sort_block_merge_config_selectorIdNS0_10empty_typeEEEZZNS1_27merge_sort_block_merge_implIS3_PdPS5_jNS1_19radix_merge_compareILb1ELb0EdNS0_19identity_decomposerEEEEE10hipError_tT0_T1_T2_jT3_P12ihipStream_tbPNSt15iterator_traitsISE_E10value_typeEPNSK_ISF_E10value_typeEPSG_NS1_7vsmem_tEENKUlT_SE_SF_SG_E_clIS8_S8_S9_S9_EESD_ST_SE_SF_SG_EUlST_E0_NS1_11comp_targetILNS1_3genE5ELNS1_11target_archE942ELNS1_3gpuE9ELNS1_3repE0EEENS1_38merge_mergepath_config_static_selectorELNS0_4arch9wavefront6targetE0EEEvSF_: ; @_ZN7rocprim17ROCPRIM_400000_NS6detail17trampoline_kernelINS0_14default_configENS1_38merge_sort_block_merge_config_selectorIdNS0_10empty_typeEEEZZNS1_27merge_sort_block_merge_implIS3_PdPS5_jNS1_19radix_merge_compareILb1ELb0EdNS0_19identity_decomposerEEEEE10hipError_tT0_T1_T2_jT3_P12ihipStream_tbPNSt15iterator_traitsISE_E10value_typeEPNSK_ISF_E10value_typeEPSG_NS1_7vsmem_tEENKUlT_SE_SF_SG_E_clIS8_S8_S9_S9_EESD_ST_SE_SF_SG_EUlST_E0_NS1_11comp_targetILNS1_3genE5ELNS1_11target_archE942ELNS1_3gpuE9ELNS1_3repE0EEENS1_38merge_mergepath_config_static_selectorELNS0_4arch9wavefront6targetE0EEEvSF_
; %bb.0:
	.section	.rodata,"a",@progbits
	.p2align	6, 0x0
	.amdhsa_kernel _ZN7rocprim17ROCPRIM_400000_NS6detail17trampoline_kernelINS0_14default_configENS1_38merge_sort_block_merge_config_selectorIdNS0_10empty_typeEEEZZNS1_27merge_sort_block_merge_implIS3_PdPS5_jNS1_19radix_merge_compareILb1ELb0EdNS0_19identity_decomposerEEEEE10hipError_tT0_T1_T2_jT3_P12ihipStream_tbPNSt15iterator_traitsISE_E10value_typeEPNSK_ISF_E10value_typeEPSG_NS1_7vsmem_tEENKUlT_SE_SF_SG_E_clIS8_S8_S9_S9_EESD_ST_SE_SF_SG_EUlST_E0_NS1_11comp_targetILNS1_3genE5ELNS1_11target_archE942ELNS1_3gpuE9ELNS1_3repE0EEENS1_38merge_mergepath_config_static_selectorELNS0_4arch9wavefront6targetE0EEEvSF_
		.amdhsa_group_segment_fixed_size 0
		.amdhsa_private_segment_fixed_size 0
		.amdhsa_kernarg_size 64
		.amdhsa_user_sgpr_count 2
		.amdhsa_user_sgpr_dispatch_ptr 0
		.amdhsa_user_sgpr_queue_ptr 0
		.amdhsa_user_sgpr_kernarg_segment_ptr 1
		.amdhsa_user_sgpr_dispatch_id 0
		.amdhsa_user_sgpr_kernarg_preload_length 0
		.amdhsa_user_sgpr_kernarg_preload_offset 0
		.amdhsa_user_sgpr_private_segment_size 0
		.amdhsa_wavefront_size32 1
		.amdhsa_uses_dynamic_stack 0
		.amdhsa_enable_private_segment 0
		.amdhsa_system_sgpr_workgroup_id_x 1
		.amdhsa_system_sgpr_workgroup_id_y 0
		.amdhsa_system_sgpr_workgroup_id_z 0
		.amdhsa_system_sgpr_workgroup_info 0
		.amdhsa_system_vgpr_workitem_id 0
		.amdhsa_next_free_vgpr 1
		.amdhsa_next_free_sgpr 1
		.amdhsa_named_barrier_count 0
		.amdhsa_reserve_vcc 0
		.amdhsa_float_round_mode_32 0
		.amdhsa_float_round_mode_16_64 0
		.amdhsa_float_denorm_mode_32 3
		.amdhsa_float_denorm_mode_16_64 3
		.amdhsa_fp16_overflow 0
		.amdhsa_memory_ordered 1
		.amdhsa_forward_progress 1
		.amdhsa_inst_pref_size 0
		.amdhsa_round_robin_scheduling 0
		.amdhsa_exception_fp_ieee_invalid_op 0
		.amdhsa_exception_fp_denorm_src 0
		.amdhsa_exception_fp_ieee_div_zero 0
		.amdhsa_exception_fp_ieee_overflow 0
		.amdhsa_exception_fp_ieee_underflow 0
		.amdhsa_exception_fp_ieee_inexact 0
		.amdhsa_exception_int_div_zero 0
	.end_amdhsa_kernel
	.section	.text._ZN7rocprim17ROCPRIM_400000_NS6detail17trampoline_kernelINS0_14default_configENS1_38merge_sort_block_merge_config_selectorIdNS0_10empty_typeEEEZZNS1_27merge_sort_block_merge_implIS3_PdPS5_jNS1_19radix_merge_compareILb1ELb0EdNS0_19identity_decomposerEEEEE10hipError_tT0_T1_T2_jT3_P12ihipStream_tbPNSt15iterator_traitsISE_E10value_typeEPNSK_ISF_E10value_typeEPSG_NS1_7vsmem_tEENKUlT_SE_SF_SG_E_clIS8_S8_S9_S9_EESD_ST_SE_SF_SG_EUlST_E0_NS1_11comp_targetILNS1_3genE5ELNS1_11target_archE942ELNS1_3gpuE9ELNS1_3repE0EEENS1_38merge_mergepath_config_static_selectorELNS0_4arch9wavefront6targetE0EEEvSF_,"axG",@progbits,_ZN7rocprim17ROCPRIM_400000_NS6detail17trampoline_kernelINS0_14default_configENS1_38merge_sort_block_merge_config_selectorIdNS0_10empty_typeEEEZZNS1_27merge_sort_block_merge_implIS3_PdPS5_jNS1_19radix_merge_compareILb1ELb0EdNS0_19identity_decomposerEEEEE10hipError_tT0_T1_T2_jT3_P12ihipStream_tbPNSt15iterator_traitsISE_E10value_typeEPNSK_ISF_E10value_typeEPSG_NS1_7vsmem_tEENKUlT_SE_SF_SG_E_clIS8_S8_S9_S9_EESD_ST_SE_SF_SG_EUlST_E0_NS1_11comp_targetILNS1_3genE5ELNS1_11target_archE942ELNS1_3gpuE9ELNS1_3repE0EEENS1_38merge_mergepath_config_static_selectorELNS0_4arch9wavefront6targetE0EEEvSF_,comdat
.Lfunc_end1470:
	.size	_ZN7rocprim17ROCPRIM_400000_NS6detail17trampoline_kernelINS0_14default_configENS1_38merge_sort_block_merge_config_selectorIdNS0_10empty_typeEEEZZNS1_27merge_sort_block_merge_implIS3_PdPS5_jNS1_19radix_merge_compareILb1ELb0EdNS0_19identity_decomposerEEEEE10hipError_tT0_T1_T2_jT3_P12ihipStream_tbPNSt15iterator_traitsISE_E10value_typeEPNSK_ISF_E10value_typeEPSG_NS1_7vsmem_tEENKUlT_SE_SF_SG_E_clIS8_S8_S9_S9_EESD_ST_SE_SF_SG_EUlST_E0_NS1_11comp_targetILNS1_3genE5ELNS1_11target_archE942ELNS1_3gpuE9ELNS1_3repE0EEENS1_38merge_mergepath_config_static_selectorELNS0_4arch9wavefront6targetE0EEEvSF_, .Lfunc_end1470-_ZN7rocprim17ROCPRIM_400000_NS6detail17trampoline_kernelINS0_14default_configENS1_38merge_sort_block_merge_config_selectorIdNS0_10empty_typeEEEZZNS1_27merge_sort_block_merge_implIS3_PdPS5_jNS1_19radix_merge_compareILb1ELb0EdNS0_19identity_decomposerEEEEE10hipError_tT0_T1_T2_jT3_P12ihipStream_tbPNSt15iterator_traitsISE_E10value_typeEPNSK_ISF_E10value_typeEPSG_NS1_7vsmem_tEENKUlT_SE_SF_SG_E_clIS8_S8_S9_S9_EESD_ST_SE_SF_SG_EUlST_E0_NS1_11comp_targetILNS1_3genE5ELNS1_11target_archE942ELNS1_3gpuE9ELNS1_3repE0EEENS1_38merge_mergepath_config_static_selectorELNS0_4arch9wavefront6targetE0EEEvSF_
                                        ; -- End function
	.set _ZN7rocprim17ROCPRIM_400000_NS6detail17trampoline_kernelINS0_14default_configENS1_38merge_sort_block_merge_config_selectorIdNS0_10empty_typeEEEZZNS1_27merge_sort_block_merge_implIS3_PdPS5_jNS1_19radix_merge_compareILb1ELb0EdNS0_19identity_decomposerEEEEE10hipError_tT0_T1_T2_jT3_P12ihipStream_tbPNSt15iterator_traitsISE_E10value_typeEPNSK_ISF_E10value_typeEPSG_NS1_7vsmem_tEENKUlT_SE_SF_SG_E_clIS8_S8_S9_S9_EESD_ST_SE_SF_SG_EUlST_E0_NS1_11comp_targetILNS1_3genE5ELNS1_11target_archE942ELNS1_3gpuE9ELNS1_3repE0EEENS1_38merge_mergepath_config_static_selectorELNS0_4arch9wavefront6targetE0EEEvSF_.num_vgpr, 0
	.set _ZN7rocprim17ROCPRIM_400000_NS6detail17trampoline_kernelINS0_14default_configENS1_38merge_sort_block_merge_config_selectorIdNS0_10empty_typeEEEZZNS1_27merge_sort_block_merge_implIS3_PdPS5_jNS1_19radix_merge_compareILb1ELb0EdNS0_19identity_decomposerEEEEE10hipError_tT0_T1_T2_jT3_P12ihipStream_tbPNSt15iterator_traitsISE_E10value_typeEPNSK_ISF_E10value_typeEPSG_NS1_7vsmem_tEENKUlT_SE_SF_SG_E_clIS8_S8_S9_S9_EESD_ST_SE_SF_SG_EUlST_E0_NS1_11comp_targetILNS1_3genE5ELNS1_11target_archE942ELNS1_3gpuE9ELNS1_3repE0EEENS1_38merge_mergepath_config_static_selectorELNS0_4arch9wavefront6targetE0EEEvSF_.num_agpr, 0
	.set _ZN7rocprim17ROCPRIM_400000_NS6detail17trampoline_kernelINS0_14default_configENS1_38merge_sort_block_merge_config_selectorIdNS0_10empty_typeEEEZZNS1_27merge_sort_block_merge_implIS3_PdPS5_jNS1_19radix_merge_compareILb1ELb0EdNS0_19identity_decomposerEEEEE10hipError_tT0_T1_T2_jT3_P12ihipStream_tbPNSt15iterator_traitsISE_E10value_typeEPNSK_ISF_E10value_typeEPSG_NS1_7vsmem_tEENKUlT_SE_SF_SG_E_clIS8_S8_S9_S9_EESD_ST_SE_SF_SG_EUlST_E0_NS1_11comp_targetILNS1_3genE5ELNS1_11target_archE942ELNS1_3gpuE9ELNS1_3repE0EEENS1_38merge_mergepath_config_static_selectorELNS0_4arch9wavefront6targetE0EEEvSF_.numbered_sgpr, 0
	.set _ZN7rocprim17ROCPRIM_400000_NS6detail17trampoline_kernelINS0_14default_configENS1_38merge_sort_block_merge_config_selectorIdNS0_10empty_typeEEEZZNS1_27merge_sort_block_merge_implIS3_PdPS5_jNS1_19radix_merge_compareILb1ELb0EdNS0_19identity_decomposerEEEEE10hipError_tT0_T1_T2_jT3_P12ihipStream_tbPNSt15iterator_traitsISE_E10value_typeEPNSK_ISF_E10value_typeEPSG_NS1_7vsmem_tEENKUlT_SE_SF_SG_E_clIS8_S8_S9_S9_EESD_ST_SE_SF_SG_EUlST_E0_NS1_11comp_targetILNS1_3genE5ELNS1_11target_archE942ELNS1_3gpuE9ELNS1_3repE0EEENS1_38merge_mergepath_config_static_selectorELNS0_4arch9wavefront6targetE0EEEvSF_.num_named_barrier, 0
	.set _ZN7rocprim17ROCPRIM_400000_NS6detail17trampoline_kernelINS0_14default_configENS1_38merge_sort_block_merge_config_selectorIdNS0_10empty_typeEEEZZNS1_27merge_sort_block_merge_implIS3_PdPS5_jNS1_19radix_merge_compareILb1ELb0EdNS0_19identity_decomposerEEEEE10hipError_tT0_T1_T2_jT3_P12ihipStream_tbPNSt15iterator_traitsISE_E10value_typeEPNSK_ISF_E10value_typeEPSG_NS1_7vsmem_tEENKUlT_SE_SF_SG_E_clIS8_S8_S9_S9_EESD_ST_SE_SF_SG_EUlST_E0_NS1_11comp_targetILNS1_3genE5ELNS1_11target_archE942ELNS1_3gpuE9ELNS1_3repE0EEENS1_38merge_mergepath_config_static_selectorELNS0_4arch9wavefront6targetE0EEEvSF_.private_seg_size, 0
	.set _ZN7rocprim17ROCPRIM_400000_NS6detail17trampoline_kernelINS0_14default_configENS1_38merge_sort_block_merge_config_selectorIdNS0_10empty_typeEEEZZNS1_27merge_sort_block_merge_implIS3_PdPS5_jNS1_19radix_merge_compareILb1ELb0EdNS0_19identity_decomposerEEEEE10hipError_tT0_T1_T2_jT3_P12ihipStream_tbPNSt15iterator_traitsISE_E10value_typeEPNSK_ISF_E10value_typeEPSG_NS1_7vsmem_tEENKUlT_SE_SF_SG_E_clIS8_S8_S9_S9_EESD_ST_SE_SF_SG_EUlST_E0_NS1_11comp_targetILNS1_3genE5ELNS1_11target_archE942ELNS1_3gpuE9ELNS1_3repE0EEENS1_38merge_mergepath_config_static_selectorELNS0_4arch9wavefront6targetE0EEEvSF_.uses_vcc, 0
	.set _ZN7rocprim17ROCPRIM_400000_NS6detail17trampoline_kernelINS0_14default_configENS1_38merge_sort_block_merge_config_selectorIdNS0_10empty_typeEEEZZNS1_27merge_sort_block_merge_implIS3_PdPS5_jNS1_19radix_merge_compareILb1ELb0EdNS0_19identity_decomposerEEEEE10hipError_tT0_T1_T2_jT3_P12ihipStream_tbPNSt15iterator_traitsISE_E10value_typeEPNSK_ISF_E10value_typeEPSG_NS1_7vsmem_tEENKUlT_SE_SF_SG_E_clIS8_S8_S9_S9_EESD_ST_SE_SF_SG_EUlST_E0_NS1_11comp_targetILNS1_3genE5ELNS1_11target_archE942ELNS1_3gpuE9ELNS1_3repE0EEENS1_38merge_mergepath_config_static_selectorELNS0_4arch9wavefront6targetE0EEEvSF_.uses_flat_scratch, 0
	.set _ZN7rocprim17ROCPRIM_400000_NS6detail17trampoline_kernelINS0_14default_configENS1_38merge_sort_block_merge_config_selectorIdNS0_10empty_typeEEEZZNS1_27merge_sort_block_merge_implIS3_PdPS5_jNS1_19radix_merge_compareILb1ELb0EdNS0_19identity_decomposerEEEEE10hipError_tT0_T1_T2_jT3_P12ihipStream_tbPNSt15iterator_traitsISE_E10value_typeEPNSK_ISF_E10value_typeEPSG_NS1_7vsmem_tEENKUlT_SE_SF_SG_E_clIS8_S8_S9_S9_EESD_ST_SE_SF_SG_EUlST_E0_NS1_11comp_targetILNS1_3genE5ELNS1_11target_archE942ELNS1_3gpuE9ELNS1_3repE0EEENS1_38merge_mergepath_config_static_selectorELNS0_4arch9wavefront6targetE0EEEvSF_.has_dyn_sized_stack, 0
	.set _ZN7rocprim17ROCPRIM_400000_NS6detail17trampoline_kernelINS0_14default_configENS1_38merge_sort_block_merge_config_selectorIdNS0_10empty_typeEEEZZNS1_27merge_sort_block_merge_implIS3_PdPS5_jNS1_19radix_merge_compareILb1ELb0EdNS0_19identity_decomposerEEEEE10hipError_tT0_T1_T2_jT3_P12ihipStream_tbPNSt15iterator_traitsISE_E10value_typeEPNSK_ISF_E10value_typeEPSG_NS1_7vsmem_tEENKUlT_SE_SF_SG_E_clIS8_S8_S9_S9_EESD_ST_SE_SF_SG_EUlST_E0_NS1_11comp_targetILNS1_3genE5ELNS1_11target_archE942ELNS1_3gpuE9ELNS1_3repE0EEENS1_38merge_mergepath_config_static_selectorELNS0_4arch9wavefront6targetE0EEEvSF_.has_recursion, 0
	.set _ZN7rocprim17ROCPRIM_400000_NS6detail17trampoline_kernelINS0_14default_configENS1_38merge_sort_block_merge_config_selectorIdNS0_10empty_typeEEEZZNS1_27merge_sort_block_merge_implIS3_PdPS5_jNS1_19radix_merge_compareILb1ELb0EdNS0_19identity_decomposerEEEEE10hipError_tT0_T1_T2_jT3_P12ihipStream_tbPNSt15iterator_traitsISE_E10value_typeEPNSK_ISF_E10value_typeEPSG_NS1_7vsmem_tEENKUlT_SE_SF_SG_E_clIS8_S8_S9_S9_EESD_ST_SE_SF_SG_EUlST_E0_NS1_11comp_targetILNS1_3genE5ELNS1_11target_archE942ELNS1_3gpuE9ELNS1_3repE0EEENS1_38merge_mergepath_config_static_selectorELNS0_4arch9wavefront6targetE0EEEvSF_.has_indirect_call, 0
	.section	.AMDGPU.csdata,"",@progbits
; Kernel info:
; codeLenInByte = 0
; TotalNumSgprs: 0
; NumVgprs: 0
; ScratchSize: 0
; MemoryBound: 0
; FloatMode: 240
; IeeeMode: 1
; LDSByteSize: 0 bytes/workgroup (compile time only)
; SGPRBlocks: 0
; VGPRBlocks: 0
; NumSGPRsForWavesPerEU: 1
; NumVGPRsForWavesPerEU: 1
; NamedBarCnt: 0
; Occupancy: 16
; WaveLimiterHint : 0
; COMPUTE_PGM_RSRC2:SCRATCH_EN: 0
; COMPUTE_PGM_RSRC2:USER_SGPR: 2
; COMPUTE_PGM_RSRC2:TRAP_HANDLER: 0
; COMPUTE_PGM_RSRC2:TGID_X_EN: 1
; COMPUTE_PGM_RSRC2:TGID_Y_EN: 0
; COMPUTE_PGM_RSRC2:TGID_Z_EN: 0
; COMPUTE_PGM_RSRC2:TIDIG_COMP_CNT: 0
	.section	.text._ZN7rocprim17ROCPRIM_400000_NS6detail17trampoline_kernelINS0_14default_configENS1_38merge_sort_block_merge_config_selectorIdNS0_10empty_typeEEEZZNS1_27merge_sort_block_merge_implIS3_PdPS5_jNS1_19radix_merge_compareILb1ELb0EdNS0_19identity_decomposerEEEEE10hipError_tT0_T1_T2_jT3_P12ihipStream_tbPNSt15iterator_traitsISE_E10value_typeEPNSK_ISF_E10value_typeEPSG_NS1_7vsmem_tEENKUlT_SE_SF_SG_E_clIS8_S8_S9_S9_EESD_ST_SE_SF_SG_EUlST_E0_NS1_11comp_targetILNS1_3genE4ELNS1_11target_archE910ELNS1_3gpuE8ELNS1_3repE0EEENS1_38merge_mergepath_config_static_selectorELNS0_4arch9wavefront6targetE0EEEvSF_,"axG",@progbits,_ZN7rocprim17ROCPRIM_400000_NS6detail17trampoline_kernelINS0_14default_configENS1_38merge_sort_block_merge_config_selectorIdNS0_10empty_typeEEEZZNS1_27merge_sort_block_merge_implIS3_PdPS5_jNS1_19radix_merge_compareILb1ELb0EdNS0_19identity_decomposerEEEEE10hipError_tT0_T1_T2_jT3_P12ihipStream_tbPNSt15iterator_traitsISE_E10value_typeEPNSK_ISF_E10value_typeEPSG_NS1_7vsmem_tEENKUlT_SE_SF_SG_E_clIS8_S8_S9_S9_EESD_ST_SE_SF_SG_EUlST_E0_NS1_11comp_targetILNS1_3genE4ELNS1_11target_archE910ELNS1_3gpuE8ELNS1_3repE0EEENS1_38merge_mergepath_config_static_selectorELNS0_4arch9wavefront6targetE0EEEvSF_,comdat
	.protected	_ZN7rocprim17ROCPRIM_400000_NS6detail17trampoline_kernelINS0_14default_configENS1_38merge_sort_block_merge_config_selectorIdNS0_10empty_typeEEEZZNS1_27merge_sort_block_merge_implIS3_PdPS5_jNS1_19radix_merge_compareILb1ELb0EdNS0_19identity_decomposerEEEEE10hipError_tT0_T1_T2_jT3_P12ihipStream_tbPNSt15iterator_traitsISE_E10value_typeEPNSK_ISF_E10value_typeEPSG_NS1_7vsmem_tEENKUlT_SE_SF_SG_E_clIS8_S8_S9_S9_EESD_ST_SE_SF_SG_EUlST_E0_NS1_11comp_targetILNS1_3genE4ELNS1_11target_archE910ELNS1_3gpuE8ELNS1_3repE0EEENS1_38merge_mergepath_config_static_selectorELNS0_4arch9wavefront6targetE0EEEvSF_ ; -- Begin function _ZN7rocprim17ROCPRIM_400000_NS6detail17trampoline_kernelINS0_14default_configENS1_38merge_sort_block_merge_config_selectorIdNS0_10empty_typeEEEZZNS1_27merge_sort_block_merge_implIS3_PdPS5_jNS1_19radix_merge_compareILb1ELb0EdNS0_19identity_decomposerEEEEE10hipError_tT0_T1_T2_jT3_P12ihipStream_tbPNSt15iterator_traitsISE_E10value_typeEPNSK_ISF_E10value_typeEPSG_NS1_7vsmem_tEENKUlT_SE_SF_SG_E_clIS8_S8_S9_S9_EESD_ST_SE_SF_SG_EUlST_E0_NS1_11comp_targetILNS1_3genE4ELNS1_11target_archE910ELNS1_3gpuE8ELNS1_3repE0EEENS1_38merge_mergepath_config_static_selectorELNS0_4arch9wavefront6targetE0EEEvSF_
	.globl	_ZN7rocprim17ROCPRIM_400000_NS6detail17trampoline_kernelINS0_14default_configENS1_38merge_sort_block_merge_config_selectorIdNS0_10empty_typeEEEZZNS1_27merge_sort_block_merge_implIS3_PdPS5_jNS1_19radix_merge_compareILb1ELb0EdNS0_19identity_decomposerEEEEE10hipError_tT0_T1_T2_jT3_P12ihipStream_tbPNSt15iterator_traitsISE_E10value_typeEPNSK_ISF_E10value_typeEPSG_NS1_7vsmem_tEENKUlT_SE_SF_SG_E_clIS8_S8_S9_S9_EESD_ST_SE_SF_SG_EUlST_E0_NS1_11comp_targetILNS1_3genE4ELNS1_11target_archE910ELNS1_3gpuE8ELNS1_3repE0EEENS1_38merge_mergepath_config_static_selectorELNS0_4arch9wavefront6targetE0EEEvSF_
	.p2align	8
	.type	_ZN7rocprim17ROCPRIM_400000_NS6detail17trampoline_kernelINS0_14default_configENS1_38merge_sort_block_merge_config_selectorIdNS0_10empty_typeEEEZZNS1_27merge_sort_block_merge_implIS3_PdPS5_jNS1_19radix_merge_compareILb1ELb0EdNS0_19identity_decomposerEEEEE10hipError_tT0_T1_T2_jT3_P12ihipStream_tbPNSt15iterator_traitsISE_E10value_typeEPNSK_ISF_E10value_typeEPSG_NS1_7vsmem_tEENKUlT_SE_SF_SG_E_clIS8_S8_S9_S9_EESD_ST_SE_SF_SG_EUlST_E0_NS1_11comp_targetILNS1_3genE4ELNS1_11target_archE910ELNS1_3gpuE8ELNS1_3repE0EEENS1_38merge_mergepath_config_static_selectorELNS0_4arch9wavefront6targetE0EEEvSF_,@function
_ZN7rocprim17ROCPRIM_400000_NS6detail17trampoline_kernelINS0_14default_configENS1_38merge_sort_block_merge_config_selectorIdNS0_10empty_typeEEEZZNS1_27merge_sort_block_merge_implIS3_PdPS5_jNS1_19radix_merge_compareILb1ELb0EdNS0_19identity_decomposerEEEEE10hipError_tT0_T1_T2_jT3_P12ihipStream_tbPNSt15iterator_traitsISE_E10value_typeEPNSK_ISF_E10value_typeEPSG_NS1_7vsmem_tEENKUlT_SE_SF_SG_E_clIS8_S8_S9_S9_EESD_ST_SE_SF_SG_EUlST_E0_NS1_11comp_targetILNS1_3genE4ELNS1_11target_archE910ELNS1_3gpuE8ELNS1_3repE0EEENS1_38merge_mergepath_config_static_selectorELNS0_4arch9wavefront6targetE0EEEvSF_: ; @_ZN7rocprim17ROCPRIM_400000_NS6detail17trampoline_kernelINS0_14default_configENS1_38merge_sort_block_merge_config_selectorIdNS0_10empty_typeEEEZZNS1_27merge_sort_block_merge_implIS3_PdPS5_jNS1_19radix_merge_compareILb1ELb0EdNS0_19identity_decomposerEEEEE10hipError_tT0_T1_T2_jT3_P12ihipStream_tbPNSt15iterator_traitsISE_E10value_typeEPNSK_ISF_E10value_typeEPSG_NS1_7vsmem_tEENKUlT_SE_SF_SG_E_clIS8_S8_S9_S9_EESD_ST_SE_SF_SG_EUlST_E0_NS1_11comp_targetILNS1_3genE4ELNS1_11target_archE910ELNS1_3gpuE8ELNS1_3repE0EEENS1_38merge_mergepath_config_static_selectorELNS0_4arch9wavefront6targetE0EEEvSF_
; %bb.0:
	.section	.rodata,"a",@progbits
	.p2align	6, 0x0
	.amdhsa_kernel _ZN7rocprim17ROCPRIM_400000_NS6detail17trampoline_kernelINS0_14default_configENS1_38merge_sort_block_merge_config_selectorIdNS0_10empty_typeEEEZZNS1_27merge_sort_block_merge_implIS3_PdPS5_jNS1_19radix_merge_compareILb1ELb0EdNS0_19identity_decomposerEEEEE10hipError_tT0_T1_T2_jT3_P12ihipStream_tbPNSt15iterator_traitsISE_E10value_typeEPNSK_ISF_E10value_typeEPSG_NS1_7vsmem_tEENKUlT_SE_SF_SG_E_clIS8_S8_S9_S9_EESD_ST_SE_SF_SG_EUlST_E0_NS1_11comp_targetILNS1_3genE4ELNS1_11target_archE910ELNS1_3gpuE8ELNS1_3repE0EEENS1_38merge_mergepath_config_static_selectorELNS0_4arch9wavefront6targetE0EEEvSF_
		.amdhsa_group_segment_fixed_size 0
		.amdhsa_private_segment_fixed_size 0
		.amdhsa_kernarg_size 64
		.amdhsa_user_sgpr_count 2
		.amdhsa_user_sgpr_dispatch_ptr 0
		.amdhsa_user_sgpr_queue_ptr 0
		.amdhsa_user_sgpr_kernarg_segment_ptr 1
		.amdhsa_user_sgpr_dispatch_id 0
		.amdhsa_user_sgpr_kernarg_preload_length 0
		.amdhsa_user_sgpr_kernarg_preload_offset 0
		.amdhsa_user_sgpr_private_segment_size 0
		.amdhsa_wavefront_size32 1
		.amdhsa_uses_dynamic_stack 0
		.amdhsa_enable_private_segment 0
		.amdhsa_system_sgpr_workgroup_id_x 1
		.amdhsa_system_sgpr_workgroup_id_y 0
		.amdhsa_system_sgpr_workgroup_id_z 0
		.amdhsa_system_sgpr_workgroup_info 0
		.amdhsa_system_vgpr_workitem_id 0
		.amdhsa_next_free_vgpr 1
		.amdhsa_next_free_sgpr 1
		.amdhsa_named_barrier_count 0
		.amdhsa_reserve_vcc 0
		.amdhsa_float_round_mode_32 0
		.amdhsa_float_round_mode_16_64 0
		.amdhsa_float_denorm_mode_32 3
		.amdhsa_float_denorm_mode_16_64 3
		.amdhsa_fp16_overflow 0
		.amdhsa_memory_ordered 1
		.amdhsa_forward_progress 1
		.amdhsa_inst_pref_size 0
		.amdhsa_round_robin_scheduling 0
		.amdhsa_exception_fp_ieee_invalid_op 0
		.amdhsa_exception_fp_denorm_src 0
		.amdhsa_exception_fp_ieee_div_zero 0
		.amdhsa_exception_fp_ieee_overflow 0
		.amdhsa_exception_fp_ieee_underflow 0
		.amdhsa_exception_fp_ieee_inexact 0
		.amdhsa_exception_int_div_zero 0
	.end_amdhsa_kernel
	.section	.text._ZN7rocprim17ROCPRIM_400000_NS6detail17trampoline_kernelINS0_14default_configENS1_38merge_sort_block_merge_config_selectorIdNS0_10empty_typeEEEZZNS1_27merge_sort_block_merge_implIS3_PdPS5_jNS1_19radix_merge_compareILb1ELb0EdNS0_19identity_decomposerEEEEE10hipError_tT0_T1_T2_jT3_P12ihipStream_tbPNSt15iterator_traitsISE_E10value_typeEPNSK_ISF_E10value_typeEPSG_NS1_7vsmem_tEENKUlT_SE_SF_SG_E_clIS8_S8_S9_S9_EESD_ST_SE_SF_SG_EUlST_E0_NS1_11comp_targetILNS1_3genE4ELNS1_11target_archE910ELNS1_3gpuE8ELNS1_3repE0EEENS1_38merge_mergepath_config_static_selectorELNS0_4arch9wavefront6targetE0EEEvSF_,"axG",@progbits,_ZN7rocprim17ROCPRIM_400000_NS6detail17trampoline_kernelINS0_14default_configENS1_38merge_sort_block_merge_config_selectorIdNS0_10empty_typeEEEZZNS1_27merge_sort_block_merge_implIS3_PdPS5_jNS1_19radix_merge_compareILb1ELb0EdNS0_19identity_decomposerEEEEE10hipError_tT0_T1_T2_jT3_P12ihipStream_tbPNSt15iterator_traitsISE_E10value_typeEPNSK_ISF_E10value_typeEPSG_NS1_7vsmem_tEENKUlT_SE_SF_SG_E_clIS8_S8_S9_S9_EESD_ST_SE_SF_SG_EUlST_E0_NS1_11comp_targetILNS1_3genE4ELNS1_11target_archE910ELNS1_3gpuE8ELNS1_3repE0EEENS1_38merge_mergepath_config_static_selectorELNS0_4arch9wavefront6targetE0EEEvSF_,comdat
.Lfunc_end1471:
	.size	_ZN7rocprim17ROCPRIM_400000_NS6detail17trampoline_kernelINS0_14default_configENS1_38merge_sort_block_merge_config_selectorIdNS0_10empty_typeEEEZZNS1_27merge_sort_block_merge_implIS3_PdPS5_jNS1_19radix_merge_compareILb1ELb0EdNS0_19identity_decomposerEEEEE10hipError_tT0_T1_T2_jT3_P12ihipStream_tbPNSt15iterator_traitsISE_E10value_typeEPNSK_ISF_E10value_typeEPSG_NS1_7vsmem_tEENKUlT_SE_SF_SG_E_clIS8_S8_S9_S9_EESD_ST_SE_SF_SG_EUlST_E0_NS1_11comp_targetILNS1_3genE4ELNS1_11target_archE910ELNS1_3gpuE8ELNS1_3repE0EEENS1_38merge_mergepath_config_static_selectorELNS0_4arch9wavefront6targetE0EEEvSF_, .Lfunc_end1471-_ZN7rocprim17ROCPRIM_400000_NS6detail17trampoline_kernelINS0_14default_configENS1_38merge_sort_block_merge_config_selectorIdNS0_10empty_typeEEEZZNS1_27merge_sort_block_merge_implIS3_PdPS5_jNS1_19radix_merge_compareILb1ELb0EdNS0_19identity_decomposerEEEEE10hipError_tT0_T1_T2_jT3_P12ihipStream_tbPNSt15iterator_traitsISE_E10value_typeEPNSK_ISF_E10value_typeEPSG_NS1_7vsmem_tEENKUlT_SE_SF_SG_E_clIS8_S8_S9_S9_EESD_ST_SE_SF_SG_EUlST_E0_NS1_11comp_targetILNS1_3genE4ELNS1_11target_archE910ELNS1_3gpuE8ELNS1_3repE0EEENS1_38merge_mergepath_config_static_selectorELNS0_4arch9wavefront6targetE0EEEvSF_
                                        ; -- End function
	.set _ZN7rocprim17ROCPRIM_400000_NS6detail17trampoline_kernelINS0_14default_configENS1_38merge_sort_block_merge_config_selectorIdNS0_10empty_typeEEEZZNS1_27merge_sort_block_merge_implIS3_PdPS5_jNS1_19radix_merge_compareILb1ELb0EdNS0_19identity_decomposerEEEEE10hipError_tT0_T1_T2_jT3_P12ihipStream_tbPNSt15iterator_traitsISE_E10value_typeEPNSK_ISF_E10value_typeEPSG_NS1_7vsmem_tEENKUlT_SE_SF_SG_E_clIS8_S8_S9_S9_EESD_ST_SE_SF_SG_EUlST_E0_NS1_11comp_targetILNS1_3genE4ELNS1_11target_archE910ELNS1_3gpuE8ELNS1_3repE0EEENS1_38merge_mergepath_config_static_selectorELNS0_4arch9wavefront6targetE0EEEvSF_.num_vgpr, 0
	.set _ZN7rocprim17ROCPRIM_400000_NS6detail17trampoline_kernelINS0_14default_configENS1_38merge_sort_block_merge_config_selectorIdNS0_10empty_typeEEEZZNS1_27merge_sort_block_merge_implIS3_PdPS5_jNS1_19radix_merge_compareILb1ELb0EdNS0_19identity_decomposerEEEEE10hipError_tT0_T1_T2_jT3_P12ihipStream_tbPNSt15iterator_traitsISE_E10value_typeEPNSK_ISF_E10value_typeEPSG_NS1_7vsmem_tEENKUlT_SE_SF_SG_E_clIS8_S8_S9_S9_EESD_ST_SE_SF_SG_EUlST_E0_NS1_11comp_targetILNS1_3genE4ELNS1_11target_archE910ELNS1_3gpuE8ELNS1_3repE0EEENS1_38merge_mergepath_config_static_selectorELNS0_4arch9wavefront6targetE0EEEvSF_.num_agpr, 0
	.set _ZN7rocprim17ROCPRIM_400000_NS6detail17trampoline_kernelINS0_14default_configENS1_38merge_sort_block_merge_config_selectorIdNS0_10empty_typeEEEZZNS1_27merge_sort_block_merge_implIS3_PdPS5_jNS1_19radix_merge_compareILb1ELb0EdNS0_19identity_decomposerEEEEE10hipError_tT0_T1_T2_jT3_P12ihipStream_tbPNSt15iterator_traitsISE_E10value_typeEPNSK_ISF_E10value_typeEPSG_NS1_7vsmem_tEENKUlT_SE_SF_SG_E_clIS8_S8_S9_S9_EESD_ST_SE_SF_SG_EUlST_E0_NS1_11comp_targetILNS1_3genE4ELNS1_11target_archE910ELNS1_3gpuE8ELNS1_3repE0EEENS1_38merge_mergepath_config_static_selectorELNS0_4arch9wavefront6targetE0EEEvSF_.numbered_sgpr, 0
	.set _ZN7rocprim17ROCPRIM_400000_NS6detail17trampoline_kernelINS0_14default_configENS1_38merge_sort_block_merge_config_selectorIdNS0_10empty_typeEEEZZNS1_27merge_sort_block_merge_implIS3_PdPS5_jNS1_19radix_merge_compareILb1ELb0EdNS0_19identity_decomposerEEEEE10hipError_tT0_T1_T2_jT3_P12ihipStream_tbPNSt15iterator_traitsISE_E10value_typeEPNSK_ISF_E10value_typeEPSG_NS1_7vsmem_tEENKUlT_SE_SF_SG_E_clIS8_S8_S9_S9_EESD_ST_SE_SF_SG_EUlST_E0_NS1_11comp_targetILNS1_3genE4ELNS1_11target_archE910ELNS1_3gpuE8ELNS1_3repE0EEENS1_38merge_mergepath_config_static_selectorELNS0_4arch9wavefront6targetE0EEEvSF_.num_named_barrier, 0
	.set _ZN7rocprim17ROCPRIM_400000_NS6detail17trampoline_kernelINS0_14default_configENS1_38merge_sort_block_merge_config_selectorIdNS0_10empty_typeEEEZZNS1_27merge_sort_block_merge_implIS3_PdPS5_jNS1_19radix_merge_compareILb1ELb0EdNS0_19identity_decomposerEEEEE10hipError_tT0_T1_T2_jT3_P12ihipStream_tbPNSt15iterator_traitsISE_E10value_typeEPNSK_ISF_E10value_typeEPSG_NS1_7vsmem_tEENKUlT_SE_SF_SG_E_clIS8_S8_S9_S9_EESD_ST_SE_SF_SG_EUlST_E0_NS1_11comp_targetILNS1_3genE4ELNS1_11target_archE910ELNS1_3gpuE8ELNS1_3repE0EEENS1_38merge_mergepath_config_static_selectorELNS0_4arch9wavefront6targetE0EEEvSF_.private_seg_size, 0
	.set _ZN7rocprim17ROCPRIM_400000_NS6detail17trampoline_kernelINS0_14default_configENS1_38merge_sort_block_merge_config_selectorIdNS0_10empty_typeEEEZZNS1_27merge_sort_block_merge_implIS3_PdPS5_jNS1_19radix_merge_compareILb1ELb0EdNS0_19identity_decomposerEEEEE10hipError_tT0_T1_T2_jT3_P12ihipStream_tbPNSt15iterator_traitsISE_E10value_typeEPNSK_ISF_E10value_typeEPSG_NS1_7vsmem_tEENKUlT_SE_SF_SG_E_clIS8_S8_S9_S9_EESD_ST_SE_SF_SG_EUlST_E0_NS1_11comp_targetILNS1_3genE4ELNS1_11target_archE910ELNS1_3gpuE8ELNS1_3repE0EEENS1_38merge_mergepath_config_static_selectorELNS0_4arch9wavefront6targetE0EEEvSF_.uses_vcc, 0
	.set _ZN7rocprim17ROCPRIM_400000_NS6detail17trampoline_kernelINS0_14default_configENS1_38merge_sort_block_merge_config_selectorIdNS0_10empty_typeEEEZZNS1_27merge_sort_block_merge_implIS3_PdPS5_jNS1_19radix_merge_compareILb1ELb0EdNS0_19identity_decomposerEEEEE10hipError_tT0_T1_T2_jT3_P12ihipStream_tbPNSt15iterator_traitsISE_E10value_typeEPNSK_ISF_E10value_typeEPSG_NS1_7vsmem_tEENKUlT_SE_SF_SG_E_clIS8_S8_S9_S9_EESD_ST_SE_SF_SG_EUlST_E0_NS1_11comp_targetILNS1_3genE4ELNS1_11target_archE910ELNS1_3gpuE8ELNS1_3repE0EEENS1_38merge_mergepath_config_static_selectorELNS0_4arch9wavefront6targetE0EEEvSF_.uses_flat_scratch, 0
	.set _ZN7rocprim17ROCPRIM_400000_NS6detail17trampoline_kernelINS0_14default_configENS1_38merge_sort_block_merge_config_selectorIdNS0_10empty_typeEEEZZNS1_27merge_sort_block_merge_implIS3_PdPS5_jNS1_19radix_merge_compareILb1ELb0EdNS0_19identity_decomposerEEEEE10hipError_tT0_T1_T2_jT3_P12ihipStream_tbPNSt15iterator_traitsISE_E10value_typeEPNSK_ISF_E10value_typeEPSG_NS1_7vsmem_tEENKUlT_SE_SF_SG_E_clIS8_S8_S9_S9_EESD_ST_SE_SF_SG_EUlST_E0_NS1_11comp_targetILNS1_3genE4ELNS1_11target_archE910ELNS1_3gpuE8ELNS1_3repE0EEENS1_38merge_mergepath_config_static_selectorELNS0_4arch9wavefront6targetE0EEEvSF_.has_dyn_sized_stack, 0
	.set _ZN7rocprim17ROCPRIM_400000_NS6detail17trampoline_kernelINS0_14default_configENS1_38merge_sort_block_merge_config_selectorIdNS0_10empty_typeEEEZZNS1_27merge_sort_block_merge_implIS3_PdPS5_jNS1_19radix_merge_compareILb1ELb0EdNS0_19identity_decomposerEEEEE10hipError_tT0_T1_T2_jT3_P12ihipStream_tbPNSt15iterator_traitsISE_E10value_typeEPNSK_ISF_E10value_typeEPSG_NS1_7vsmem_tEENKUlT_SE_SF_SG_E_clIS8_S8_S9_S9_EESD_ST_SE_SF_SG_EUlST_E0_NS1_11comp_targetILNS1_3genE4ELNS1_11target_archE910ELNS1_3gpuE8ELNS1_3repE0EEENS1_38merge_mergepath_config_static_selectorELNS0_4arch9wavefront6targetE0EEEvSF_.has_recursion, 0
	.set _ZN7rocprim17ROCPRIM_400000_NS6detail17trampoline_kernelINS0_14default_configENS1_38merge_sort_block_merge_config_selectorIdNS0_10empty_typeEEEZZNS1_27merge_sort_block_merge_implIS3_PdPS5_jNS1_19radix_merge_compareILb1ELb0EdNS0_19identity_decomposerEEEEE10hipError_tT0_T1_T2_jT3_P12ihipStream_tbPNSt15iterator_traitsISE_E10value_typeEPNSK_ISF_E10value_typeEPSG_NS1_7vsmem_tEENKUlT_SE_SF_SG_E_clIS8_S8_S9_S9_EESD_ST_SE_SF_SG_EUlST_E0_NS1_11comp_targetILNS1_3genE4ELNS1_11target_archE910ELNS1_3gpuE8ELNS1_3repE0EEENS1_38merge_mergepath_config_static_selectorELNS0_4arch9wavefront6targetE0EEEvSF_.has_indirect_call, 0
	.section	.AMDGPU.csdata,"",@progbits
; Kernel info:
; codeLenInByte = 0
; TotalNumSgprs: 0
; NumVgprs: 0
; ScratchSize: 0
; MemoryBound: 0
; FloatMode: 240
; IeeeMode: 1
; LDSByteSize: 0 bytes/workgroup (compile time only)
; SGPRBlocks: 0
; VGPRBlocks: 0
; NumSGPRsForWavesPerEU: 1
; NumVGPRsForWavesPerEU: 1
; NamedBarCnt: 0
; Occupancy: 16
; WaveLimiterHint : 0
; COMPUTE_PGM_RSRC2:SCRATCH_EN: 0
; COMPUTE_PGM_RSRC2:USER_SGPR: 2
; COMPUTE_PGM_RSRC2:TRAP_HANDLER: 0
; COMPUTE_PGM_RSRC2:TGID_X_EN: 1
; COMPUTE_PGM_RSRC2:TGID_Y_EN: 0
; COMPUTE_PGM_RSRC2:TGID_Z_EN: 0
; COMPUTE_PGM_RSRC2:TIDIG_COMP_CNT: 0
	.section	.text._ZN7rocprim17ROCPRIM_400000_NS6detail17trampoline_kernelINS0_14default_configENS1_38merge_sort_block_merge_config_selectorIdNS0_10empty_typeEEEZZNS1_27merge_sort_block_merge_implIS3_PdPS5_jNS1_19radix_merge_compareILb1ELb0EdNS0_19identity_decomposerEEEEE10hipError_tT0_T1_T2_jT3_P12ihipStream_tbPNSt15iterator_traitsISE_E10value_typeEPNSK_ISF_E10value_typeEPSG_NS1_7vsmem_tEENKUlT_SE_SF_SG_E_clIS8_S8_S9_S9_EESD_ST_SE_SF_SG_EUlST_E0_NS1_11comp_targetILNS1_3genE3ELNS1_11target_archE908ELNS1_3gpuE7ELNS1_3repE0EEENS1_38merge_mergepath_config_static_selectorELNS0_4arch9wavefront6targetE0EEEvSF_,"axG",@progbits,_ZN7rocprim17ROCPRIM_400000_NS6detail17trampoline_kernelINS0_14default_configENS1_38merge_sort_block_merge_config_selectorIdNS0_10empty_typeEEEZZNS1_27merge_sort_block_merge_implIS3_PdPS5_jNS1_19radix_merge_compareILb1ELb0EdNS0_19identity_decomposerEEEEE10hipError_tT0_T1_T2_jT3_P12ihipStream_tbPNSt15iterator_traitsISE_E10value_typeEPNSK_ISF_E10value_typeEPSG_NS1_7vsmem_tEENKUlT_SE_SF_SG_E_clIS8_S8_S9_S9_EESD_ST_SE_SF_SG_EUlST_E0_NS1_11comp_targetILNS1_3genE3ELNS1_11target_archE908ELNS1_3gpuE7ELNS1_3repE0EEENS1_38merge_mergepath_config_static_selectorELNS0_4arch9wavefront6targetE0EEEvSF_,comdat
	.protected	_ZN7rocprim17ROCPRIM_400000_NS6detail17trampoline_kernelINS0_14default_configENS1_38merge_sort_block_merge_config_selectorIdNS0_10empty_typeEEEZZNS1_27merge_sort_block_merge_implIS3_PdPS5_jNS1_19radix_merge_compareILb1ELb0EdNS0_19identity_decomposerEEEEE10hipError_tT0_T1_T2_jT3_P12ihipStream_tbPNSt15iterator_traitsISE_E10value_typeEPNSK_ISF_E10value_typeEPSG_NS1_7vsmem_tEENKUlT_SE_SF_SG_E_clIS8_S8_S9_S9_EESD_ST_SE_SF_SG_EUlST_E0_NS1_11comp_targetILNS1_3genE3ELNS1_11target_archE908ELNS1_3gpuE7ELNS1_3repE0EEENS1_38merge_mergepath_config_static_selectorELNS0_4arch9wavefront6targetE0EEEvSF_ ; -- Begin function _ZN7rocprim17ROCPRIM_400000_NS6detail17trampoline_kernelINS0_14default_configENS1_38merge_sort_block_merge_config_selectorIdNS0_10empty_typeEEEZZNS1_27merge_sort_block_merge_implIS3_PdPS5_jNS1_19radix_merge_compareILb1ELb0EdNS0_19identity_decomposerEEEEE10hipError_tT0_T1_T2_jT3_P12ihipStream_tbPNSt15iterator_traitsISE_E10value_typeEPNSK_ISF_E10value_typeEPSG_NS1_7vsmem_tEENKUlT_SE_SF_SG_E_clIS8_S8_S9_S9_EESD_ST_SE_SF_SG_EUlST_E0_NS1_11comp_targetILNS1_3genE3ELNS1_11target_archE908ELNS1_3gpuE7ELNS1_3repE0EEENS1_38merge_mergepath_config_static_selectorELNS0_4arch9wavefront6targetE0EEEvSF_
	.globl	_ZN7rocprim17ROCPRIM_400000_NS6detail17trampoline_kernelINS0_14default_configENS1_38merge_sort_block_merge_config_selectorIdNS0_10empty_typeEEEZZNS1_27merge_sort_block_merge_implIS3_PdPS5_jNS1_19radix_merge_compareILb1ELb0EdNS0_19identity_decomposerEEEEE10hipError_tT0_T1_T2_jT3_P12ihipStream_tbPNSt15iterator_traitsISE_E10value_typeEPNSK_ISF_E10value_typeEPSG_NS1_7vsmem_tEENKUlT_SE_SF_SG_E_clIS8_S8_S9_S9_EESD_ST_SE_SF_SG_EUlST_E0_NS1_11comp_targetILNS1_3genE3ELNS1_11target_archE908ELNS1_3gpuE7ELNS1_3repE0EEENS1_38merge_mergepath_config_static_selectorELNS0_4arch9wavefront6targetE0EEEvSF_
	.p2align	8
	.type	_ZN7rocprim17ROCPRIM_400000_NS6detail17trampoline_kernelINS0_14default_configENS1_38merge_sort_block_merge_config_selectorIdNS0_10empty_typeEEEZZNS1_27merge_sort_block_merge_implIS3_PdPS5_jNS1_19radix_merge_compareILb1ELb0EdNS0_19identity_decomposerEEEEE10hipError_tT0_T1_T2_jT3_P12ihipStream_tbPNSt15iterator_traitsISE_E10value_typeEPNSK_ISF_E10value_typeEPSG_NS1_7vsmem_tEENKUlT_SE_SF_SG_E_clIS8_S8_S9_S9_EESD_ST_SE_SF_SG_EUlST_E0_NS1_11comp_targetILNS1_3genE3ELNS1_11target_archE908ELNS1_3gpuE7ELNS1_3repE0EEENS1_38merge_mergepath_config_static_selectorELNS0_4arch9wavefront6targetE0EEEvSF_,@function
_ZN7rocprim17ROCPRIM_400000_NS6detail17trampoline_kernelINS0_14default_configENS1_38merge_sort_block_merge_config_selectorIdNS0_10empty_typeEEEZZNS1_27merge_sort_block_merge_implIS3_PdPS5_jNS1_19radix_merge_compareILb1ELb0EdNS0_19identity_decomposerEEEEE10hipError_tT0_T1_T2_jT3_P12ihipStream_tbPNSt15iterator_traitsISE_E10value_typeEPNSK_ISF_E10value_typeEPSG_NS1_7vsmem_tEENKUlT_SE_SF_SG_E_clIS8_S8_S9_S9_EESD_ST_SE_SF_SG_EUlST_E0_NS1_11comp_targetILNS1_3genE3ELNS1_11target_archE908ELNS1_3gpuE7ELNS1_3repE0EEENS1_38merge_mergepath_config_static_selectorELNS0_4arch9wavefront6targetE0EEEvSF_: ; @_ZN7rocprim17ROCPRIM_400000_NS6detail17trampoline_kernelINS0_14default_configENS1_38merge_sort_block_merge_config_selectorIdNS0_10empty_typeEEEZZNS1_27merge_sort_block_merge_implIS3_PdPS5_jNS1_19radix_merge_compareILb1ELb0EdNS0_19identity_decomposerEEEEE10hipError_tT0_T1_T2_jT3_P12ihipStream_tbPNSt15iterator_traitsISE_E10value_typeEPNSK_ISF_E10value_typeEPSG_NS1_7vsmem_tEENKUlT_SE_SF_SG_E_clIS8_S8_S9_S9_EESD_ST_SE_SF_SG_EUlST_E0_NS1_11comp_targetILNS1_3genE3ELNS1_11target_archE908ELNS1_3gpuE7ELNS1_3repE0EEENS1_38merge_mergepath_config_static_selectorELNS0_4arch9wavefront6targetE0EEEvSF_
; %bb.0:
	.section	.rodata,"a",@progbits
	.p2align	6, 0x0
	.amdhsa_kernel _ZN7rocprim17ROCPRIM_400000_NS6detail17trampoline_kernelINS0_14default_configENS1_38merge_sort_block_merge_config_selectorIdNS0_10empty_typeEEEZZNS1_27merge_sort_block_merge_implIS3_PdPS5_jNS1_19radix_merge_compareILb1ELb0EdNS0_19identity_decomposerEEEEE10hipError_tT0_T1_T2_jT3_P12ihipStream_tbPNSt15iterator_traitsISE_E10value_typeEPNSK_ISF_E10value_typeEPSG_NS1_7vsmem_tEENKUlT_SE_SF_SG_E_clIS8_S8_S9_S9_EESD_ST_SE_SF_SG_EUlST_E0_NS1_11comp_targetILNS1_3genE3ELNS1_11target_archE908ELNS1_3gpuE7ELNS1_3repE0EEENS1_38merge_mergepath_config_static_selectorELNS0_4arch9wavefront6targetE0EEEvSF_
		.amdhsa_group_segment_fixed_size 0
		.amdhsa_private_segment_fixed_size 0
		.amdhsa_kernarg_size 64
		.amdhsa_user_sgpr_count 2
		.amdhsa_user_sgpr_dispatch_ptr 0
		.amdhsa_user_sgpr_queue_ptr 0
		.amdhsa_user_sgpr_kernarg_segment_ptr 1
		.amdhsa_user_sgpr_dispatch_id 0
		.amdhsa_user_sgpr_kernarg_preload_length 0
		.amdhsa_user_sgpr_kernarg_preload_offset 0
		.amdhsa_user_sgpr_private_segment_size 0
		.amdhsa_wavefront_size32 1
		.amdhsa_uses_dynamic_stack 0
		.amdhsa_enable_private_segment 0
		.amdhsa_system_sgpr_workgroup_id_x 1
		.amdhsa_system_sgpr_workgroup_id_y 0
		.amdhsa_system_sgpr_workgroup_id_z 0
		.amdhsa_system_sgpr_workgroup_info 0
		.amdhsa_system_vgpr_workitem_id 0
		.amdhsa_next_free_vgpr 1
		.amdhsa_next_free_sgpr 1
		.amdhsa_named_barrier_count 0
		.amdhsa_reserve_vcc 0
		.amdhsa_float_round_mode_32 0
		.amdhsa_float_round_mode_16_64 0
		.amdhsa_float_denorm_mode_32 3
		.amdhsa_float_denorm_mode_16_64 3
		.amdhsa_fp16_overflow 0
		.amdhsa_memory_ordered 1
		.amdhsa_forward_progress 1
		.amdhsa_inst_pref_size 0
		.amdhsa_round_robin_scheduling 0
		.amdhsa_exception_fp_ieee_invalid_op 0
		.amdhsa_exception_fp_denorm_src 0
		.amdhsa_exception_fp_ieee_div_zero 0
		.amdhsa_exception_fp_ieee_overflow 0
		.amdhsa_exception_fp_ieee_underflow 0
		.amdhsa_exception_fp_ieee_inexact 0
		.amdhsa_exception_int_div_zero 0
	.end_amdhsa_kernel
	.section	.text._ZN7rocprim17ROCPRIM_400000_NS6detail17trampoline_kernelINS0_14default_configENS1_38merge_sort_block_merge_config_selectorIdNS0_10empty_typeEEEZZNS1_27merge_sort_block_merge_implIS3_PdPS5_jNS1_19radix_merge_compareILb1ELb0EdNS0_19identity_decomposerEEEEE10hipError_tT0_T1_T2_jT3_P12ihipStream_tbPNSt15iterator_traitsISE_E10value_typeEPNSK_ISF_E10value_typeEPSG_NS1_7vsmem_tEENKUlT_SE_SF_SG_E_clIS8_S8_S9_S9_EESD_ST_SE_SF_SG_EUlST_E0_NS1_11comp_targetILNS1_3genE3ELNS1_11target_archE908ELNS1_3gpuE7ELNS1_3repE0EEENS1_38merge_mergepath_config_static_selectorELNS0_4arch9wavefront6targetE0EEEvSF_,"axG",@progbits,_ZN7rocprim17ROCPRIM_400000_NS6detail17trampoline_kernelINS0_14default_configENS1_38merge_sort_block_merge_config_selectorIdNS0_10empty_typeEEEZZNS1_27merge_sort_block_merge_implIS3_PdPS5_jNS1_19radix_merge_compareILb1ELb0EdNS0_19identity_decomposerEEEEE10hipError_tT0_T1_T2_jT3_P12ihipStream_tbPNSt15iterator_traitsISE_E10value_typeEPNSK_ISF_E10value_typeEPSG_NS1_7vsmem_tEENKUlT_SE_SF_SG_E_clIS8_S8_S9_S9_EESD_ST_SE_SF_SG_EUlST_E0_NS1_11comp_targetILNS1_3genE3ELNS1_11target_archE908ELNS1_3gpuE7ELNS1_3repE0EEENS1_38merge_mergepath_config_static_selectorELNS0_4arch9wavefront6targetE0EEEvSF_,comdat
.Lfunc_end1472:
	.size	_ZN7rocprim17ROCPRIM_400000_NS6detail17trampoline_kernelINS0_14default_configENS1_38merge_sort_block_merge_config_selectorIdNS0_10empty_typeEEEZZNS1_27merge_sort_block_merge_implIS3_PdPS5_jNS1_19radix_merge_compareILb1ELb0EdNS0_19identity_decomposerEEEEE10hipError_tT0_T1_T2_jT3_P12ihipStream_tbPNSt15iterator_traitsISE_E10value_typeEPNSK_ISF_E10value_typeEPSG_NS1_7vsmem_tEENKUlT_SE_SF_SG_E_clIS8_S8_S9_S9_EESD_ST_SE_SF_SG_EUlST_E0_NS1_11comp_targetILNS1_3genE3ELNS1_11target_archE908ELNS1_3gpuE7ELNS1_3repE0EEENS1_38merge_mergepath_config_static_selectorELNS0_4arch9wavefront6targetE0EEEvSF_, .Lfunc_end1472-_ZN7rocprim17ROCPRIM_400000_NS6detail17trampoline_kernelINS0_14default_configENS1_38merge_sort_block_merge_config_selectorIdNS0_10empty_typeEEEZZNS1_27merge_sort_block_merge_implIS3_PdPS5_jNS1_19radix_merge_compareILb1ELb0EdNS0_19identity_decomposerEEEEE10hipError_tT0_T1_T2_jT3_P12ihipStream_tbPNSt15iterator_traitsISE_E10value_typeEPNSK_ISF_E10value_typeEPSG_NS1_7vsmem_tEENKUlT_SE_SF_SG_E_clIS8_S8_S9_S9_EESD_ST_SE_SF_SG_EUlST_E0_NS1_11comp_targetILNS1_3genE3ELNS1_11target_archE908ELNS1_3gpuE7ELNS1_3repE0EEENS1_38merge_mergepath_config_static_selectorELNS0_4arch9wavefront6targetE0EEEvSF_
                                        ; -- End function
	.set _ZN7rocprim17ROCPRIM_400000_NS6detail17trampoline_kernelINS0_14default_configENS1_38merge_sort_block_merge_config_selectorIdNS0_10empty_typeEEEZZNS1_27merge_sort_block_merge_implIS3_PdPS5_jNS1_19radix_merge_compareILb1ELb0EdNS0_19identity_decomposerEEEEE10hipError_tT0_T1_T2_jT3_P12ihipStream_tbPNSt15iterator_traitsISE_E10value_typeEPNSK_ISF_E10value_typeEPSG_NS1_7vsmem_tEENKUlT_SE_SF_SG_E_clIS8_S8_S9_S9_EESD_ST_SE_SF_SG_EUlST_E0_NS1_11comp_targetILNS1_3genE3ELNS1_11target_archE908ELNS1_3gpuE7ELNS1_3repE0EEENS1_38merge_mergepath_config_static_selectorELNS0_4arch9wavefront6targetE0EEEvSF_.num_vgpr, 0
	.set _ZN7rocprim17ROCPRIM_400000_NS6detail17trampoline_kernelINS0_14default_configENS1_38merge_sort_block_merge_config_selectorIdNS0_10empty_typeEEEZZNS1_27merge_sort_block_merge_implIS3_PdPS5_jNS1_19radix_merge_compareILb1ELb0EdNS0_19identity_decomposerEEEEE10hipError_tT0_T1_T2_jT3_P12ihipStream_tbPNSt15iterator_traitsISE_E10value_typeEPNSK_ISF_E10value_typeEPSG_NS1_7vsmem_tEENKUlT_SE_SF_SG_E_clIS8_S8_S9_S9_EESD_ST_SE_SF_SG_EUlST_E0_NS1_11comp_targetILNS1_3genE3ELNS1_11target_archE908ELNS1_3gpuE7ELNS1_3repE0EEENS1_38merge_mergepath_config_static_selectorELNS0_4arch9wavefront6targetE0EEEvSF_.num_agpr, 0
	.set _ZN7rocprim17ROCPRIM_400000_NS6detail17trampoline_kernelINS0_14default_configENS1_38merge_sort_block_merge_config_selectorIdNS0_10empty_typeEEEZZNS1_27merge_sort_block_merge_implIS3_PdPS5_jNS1_19radix_merge_compareILb1ELb0EdNS0_19identity_decomposerEEEEE10hipError_tT0_T1_T2_jT3_P12ihipStream_tbPNSt15iterator_traitsISE_E10value_typeEPNSK_ISF_E10value_typeEPSG_NS1_7vsmem_tEENKUlT_SE_SF_SG_E_clIS8_S8_S9_S9_EESD_ST_SE_SF_SG_EUlST_E0_NS1_11comp_targetILNS1_3genE3ELNS1_11target_archE908ELNS1_3gpuE7ELNS1_3repE0EEENS1_38merge_mergepath_config_static_selectorELNS0_4arch9wavefront6targetE0EEEvSF_.numbered_sgpr, 0
	.set _ZN7rocprim17ROCPRIM_400000_NS6detail17trampoline_kernelINS0_14default_configENS1_38merge_sort_block_merge_config_selectorIdNS0_10empty_typeEEEZZNS1_27merge_sort_block_merge_implIS3_PdPS5_jNS1_19radix_merge_compareILb1ELb0EdNS0_19identity_decomposerEEEEE10hipError_tT0_T1_T2_jT3_P12ihipStream_tbPNSt15iterator_traitsISE_E10value_typeEPNSK_ISF_E10value_typeEPSG_NS1_7vsmem_tEENKUlT_SE_SF_SG_E_clIS8_S8_S9_S9_EESD_ST_SE_SF_SG_EUlST_E0_NS1_11comp_targetILNS1_3genE3ELNS1_11target_archE908ELNS1_3gpuE7ELNS1_3repE0EEENS1_38merge_mergepath_config_static_selectorELNS0_4arch9wavefront6targetE0EEEvSF_.num_named_barrier, 0
	.set _ZN7rocprim17ROCPRIM_400000_NS6detail17trampoline_kernelINS0_14default_configENS1_38merge_sort_block_merge_config_selectorIdNS0_10empty_typeEEEZZNS1_27merge_sort_block_merge_implIS3_PdPS5_jNS1_19radix_merge_compareILb1ELb0EdNS0_19identity_decomposerEEEEE10hipError_tT0_T1_T2_jT3_P12ihipStream_tbPNSt15iterator_traitsISE_E10value_typeEPNSK_ISF_E10value_typeEPSG_NS1_7vsmem_tEENKUlT_SE_SF_SG_E_clIS8_S8_S9_S9_EESD_ST_SE_SF_SG_EUlST_E0_NS1_11comp_targetILNS1_3genE3ELNS1_11target_archE908ELNS1_3gpuE7ELNS1_3repE0EEENS1_38merge_mergepath_config_static_selectorELNS0_4arch9wavefront6targetE0EEEvSF_.private_seg_size, 0
	.set _ZN7rocprim17ROCPRIM_400000_NS6detail17trampoline_kernelINS0_14default_configENS1_38merge_sort_block_merge_config_selectorIdNS0_10empty_typeEEEZZNS1_27merge_sort_block_merge_implIS3_PdPS5_jNS1_19radix_merge_compareILb1ELb0EdNS0_19identity_decomposerEEEEE10hipError_tT0_T1_T2_jT3_P12ihipStream_tbPNSt15iterator_traitsISE_E10value_typeEPNSK_ISF_E10value_typeEPSG_NS1_7vsmem_tEENKUlT_SE_SF_SG_E_clIS8_S8_S9_S9_EESD_ST_SE_SF_SG_EUlST_E0_NS1_11comp_targetILNS1_3genE3ELNS1_11target_archE908ELNS1_3gpuE7ELNS1_3repE0EEENS1_38merge_mergepath_config_static_selectorELNS0_4arch9wavefront6targetE0EEEvSF_.uses_vcc, 0
	.set _ZN7rocprim17ROCPRIM_400000_NS6detail17trampoline_kernelINS0_14default_configENS1_38merge_sort_block_merge_config_selectorIdNS0_10empty_typeEEEZZNS1_27merge_sort_block_merge_implIS3_PdPS5_jNS1_19radix_merge_compareILb1ELb0EdNS0_19identity_decomposerEEEEE10hipError_tT0_T1_T2_jT3_P12ihipStream_tbPNSt15iterator_traitsISE_E10value_typeEPNSK_ISF_E10value_typeEPSG_NS1_7vsmem_tEENKUlT_SE_SF_SG_E_clIS8_S8_S9_S9_EESD_ST_SE_SF_SG_EUlST_E0_NS1_11comp_targetILNS1_3genE3ELNS1_11target_archE908ELNS1_3gpuE7ELNS1_3repE0EEENS1_38merge_mergepath_config_static_selectorELNS0_4arch9wavefront6targetE0EEEvSF_.uses_flat_scratch, 0
	.set _ZN7rocprim17ROCPRIM_400000_NS6detail17trampoline_kernelINS0_14default_configENS1_38merge_sort_block_merge_config_selectorIdNS0_10empty_typeEEEZZNS1_27merge_sort_block_merge_implIS3_PdPS5_jNS1_19radix_merge_compareILb1ELb0EdNS0_19identity_decomposerEEEEE10hipError_tT0_T1_T2_jT3_P12ihipStream_tbPNSt15iterator_traitsISE_E10value_typeEPNSK_ISF_E10value_typeEPSG_NS1_7vsmem_tEENKUlT_SE_SF_SG_E_clIS8_S8_S9_S9_EESD_ST_SE_SF_SG_EUlST_E0_NS1_11comp_targetILNS1_3genE3ELNS1_11target_archE908ELNS1_3gpuE7ELNS1_3repE0EEENS1_38merge_mergepath_config_static_selectorELNS0_4arch9wavefront6targetE0EEEvSF_.has_dyn_sized_stack, 0
	.set _ZN7rocprim17ROCPRIM_400000_NS6detail17trampoline_kernelINS0_14default_configENS1_38merge_sort_block_merge_config_selectorIdNS0_10empty_typeEEEZZNS1_27merge_sort_block_merge_implIS3_PdPS5_jNS1_19radix_merge_compareILb1ELb0EdNS0_19identity_decomposerEEEEE10hipError_tT0_T1_T2_jT3_P12ihipStream_tbPNSt15iterator_traitsISE_E10value_typeEPNSK_ISF_E10value_typeEPSG_NS1_7vsmem_tEENKUlT_SE_SF_SG_E_clIS8_S8_S9_S9_EESD_ST_SE_SF_SG_EUlST_E0_NS1_11comp_targetILNS1_3genE3ELNS1_11target_archE908ELNS1_3gpuE7ELNS1_3repE0EEENS1_38merge_mergepath_config_static_selectorELNS0_4arch9wavefront6targetE0EEEvSF_.has_recursion, 0
	.set _ZN7rocprim17ROCPRIM_400000_NS6detail17trampoline_kernelINS0_14default_configENS1_38merge_sort_block_merge_config_selectorIdNS0_10empty_typeEEEZZNS1_27merge_sort_block_merge_implIS3_PdPS5_jNS1_19radix_merge_compareILb1ELb0EdNS0_19identity_decomposerEEEEE10hipError_tT0_T1_T2_jT3_P12ihipStream_tbPNSt15iterator_traitsISE_E10value_typeEPNSK_ISF_E10value_typeEPSG_NS1_7vsmem_tEENKUlT_SE_SF_SG_E_clIS8_S8_S9_S9_EESD_ST_SE_SF_SG_EUlST_E0_NS1_11comp_targetILNS1_3genE3ELNS1_11target_archE908ELNS1_3gpuE7ELNS1_3repE0EEENS1_38merge_mergepath_config_static_selectorELNS0_4arch9wavefront6targetE0EEEvSF_.has_indirect_call, 0
	.section	.AMDGPU.csdata,"",@progbits
; Kernel info:
; codeLenInByte = 0
; TotalNumSgprs: 0
; NumVgprs: 0
; ScratchSize: 0
; MemoryBound: 0
; FloatMode: 240
; IeeeMode: 1
; LDSByteSize: 0 bytes/workgroup (compile time only)
; SGPRBlocks: 0
; VGPRBlocks: 0
; NumSGPRsForWavesPerEU: 1
; NumVGPRsForWavesPerEU: 1
; NamedBarCnt: 0
; Occupancy: 16
; WaveLimiterHint : 0
; COMPUTE_PGM_RSRC2:SCRATCH_EN: 0
; COMPUTE_PGM_RSRC2:USER_SGPR: 2
; COMPUTE_PGM_RSRC2:TRAP_HANDLER: 0
; COMPUTE_PGM_RSRC2:TGID_X_EN: 1
; COMPUTE_PGM_RSRC2:TGID_Y_EN: 0
; COMPUTE_PGM_RSRC2:TGID_Z_EN: 0
; COMPUTE_PGM_RSRC2:TIDIG_COMP_CNT: 0
	.section	.text._ZN7rocprim17ROCPRIM_400000_NS6detail17trampoline_kernelINS0_14default_configENS1_38merge_sort_block_merge_config_selectorIdNS0_10empty_typeEEEZZNS1_27merge_sort_block_merge_implIS3_PdPS5_jNS1_19radix_merge_compareILb1ELb0EdNS0_19identity_decomposerEEEEE10hipError_tT0_T1_T2_jT3_P12ihipStream_tbPNSt15iterator_traitsISE_E10value_typeEPNSK_ISF_E10value_typeEPSG_NS1_7vsmem_tEENKUlT_SE_SF_SG_E_clIS8_S8_S9_S9_EESD_ST_SE_SF_SG_EUlST_E0_NS1_11comp_targetILNS1_3genE2ELNS1_11target_archE906ELNS1_3gpuE6ELNS1_3repE0EEENS1_38merge_mergepath_config_static_selectorELNS0_4arch9wavefront6targetE0EEEvSF_,"axG",@progbits,_ZN7rocprim17ROCPRIM_400000_NS6detail17trampoline_kernelINS0_14default_configENS1_38merge_sort_block_merge_config_selectorIdNS0_10empty_typeEEEZZNS1_27merge_sort_block_merge_implIS3_PdPS5_jNS1_19radix_merge_compareILb1ELb0EdNS0_19identity_decomposerEEEEE10hipError_tT0_T1_T2_jT3_P12ihipStream_tbPNSt15iterator_traitsISE_E10value_typeEPNSK_ISF_E10value_typeEPSG_NS1_7vsmem_tEENKUlT_SE_SF_SG_E_clIS8_S8_S9_S9_EESD_ST_SE_SF_SG_EUlST_E0_NS1_11comp_targetILNS1_3genE2ELNS1_11target_archE906ELNS1_3gpuE6ELNS1_3repE0EEENS1_38merge_mergepath_config_static_selectorELNS0_4arch9wavefront6targetE0EEEvSF_,comdat
	.protected	_ZN7rocprim17ROCPRIM_400000_NS6detail17trampoline_kernelINS0_14default_configENS1_38merge_sort_block_merge_config_selectorIdNS0_10empty_typeEEEZZNS1_27merge_sort_block_merge_implIS3_PdPS5_jNS1_19radix_merge_compareILb1ELb0EdNS0_19identity_decomposerEEEEE10hipError_tT0_T1_T2_jT3_P12ihipStream_tbPNSt15iterator_traitsISE_E10value_typeEPNSK_ISF_E10value_typeEPSG_NS1_7vsmem_tEENKUlT_SE_SF_SG_E_clIS8_S8_S9_S9_EESD_ST_SE_SF_SG_EUlST_E0_NS1_11comp_targetILNS1_3genE2ELNS1_11target_archE906ELNS1_3gpuE6ELNS1_3repE0EEENS1_38merge_mergepath_config_static_selectorELNS0_4arch9wavefront6targetE0EEEvSF_ ; -- Begin function _ZN7rocprim17ROCPRIM_400000_NS6detail17trampoline_kernelINS0_14default_configENS1_38merge_sort_block_merge_config_selectorIdNS0_10empty_typeEEEZZNS1_27merge_sort_block_merge_implIS3_PdPS5_jNS1_19radix_merge_compareILb1ELb0EdNS0_19identity_decomposerEEEEE10hipError_tT0_T1_T2_jT3_P12ihipStream_tbPNSt15iterator_traitsISE_E10value_typeEPNSK_ISF_E10value_typeEPSG_NS1_7vsmem_tEENKUlT_SE_SF_SG_E_clIS8_S8_S9_S9_EESD_ST_SE_SF_SG_EUlST_E0_NS1_11comp_targetILNS1_3genE2ELNS1_11target_archE906ELNS1_3gpuE6ELNS1_3repE0EEENS1_38merge_mergepath_config_static_selectorELNS0_4arch9wavefront6targetE0EEEvSF_
	.globl	_ZN7rocprim17ROCPRIM_400000_NS6detail17trampoline_kernelINS0_14default_configENS1_38merge_sort_block_merge_config_selectorIdNS0_10empty_typeEEEZZNS1_27merge_sort_block_merge_implIS3_PdPS5_jNS1_19radix_merge_compareILb1ELb0EdNS0_19identity_decomposerEEEEE10hipError_tT0_T1_T2_jT3_P12ihipStream_tbPNSt15iterator_traitsISE_E10value_typeEPNSK_ISF_E10value_typeEPSG_NS1_7vsmem_tEENKUlT_SE_SF_SG_E_clIS8_S8_S9_S9_EESD_ST_SE_SF_SG_EUlST_E0_NS1_11comp_targetILNS1_3genE2ELNS1_11target_archE906ELNS1_3gpuE6ELNS1_3repE0EEENS1_38merge_mergepath_config_static_selectorELNS0_4arch9wavefront6targetE0EEEvSF_
	.p2align	8
	.type	_ZN7rocprim17ROCPRIM_400000_NS6detail17trampoline_kernelINS0_14default_configENS1_38merge_sort_block_merge_config_selectorIdNS0_10empty_typeEEEZZNS1_27merge_sort_block_merge_implIS3_PdPS5_jNS1_19radix_merge_compareILb1ELb0EdNS0_19identity_decomposerEEEEE10hipError_tT0_T1_T2_jT3_P12ihipStream_tbPNSt15iterator_traitsISE_E10value_typeEPNSK_ISF_E10value_typeEPSG_NS1_7vsmem_tEENKUlT_SE_SF_SG_E_clIS8_S8_S9_S9_EESD_ST_SE_SF_SG_EUlST_E0_NS1_11comp_targetILNS1_3genE2ELNS1_11target_archE906ELNS1_3gpuE6ELNS1_3repE0EEENS1_38merge_mergepath_config_static_selectorELNS0_4arch9wavefront6targetE0EEEvSF_,@function
_ZN7rocprim17ROCPRIM_400000_NS6detail17trampoline_kernelINS0_14default_configENS1_38merge_sort_block_merge_config_selectorIdNS0_10empty_typeEEEZZNS1_27merge_sort_block_merge_implIS3_PdPS5_jNS1_19radix_merge_compareILb1ELb0EdNS0_19identity_decomposerEEEEE10hipError_tT0_T1_T2_jT3_P12ihipStream_tbPNSt15iterator_traitsISE_E10value_typeEPNSK_ISF_E10value_typeEPSG_NS1_7vsmem_tEENKUlT_SE_SF_SG_E_clIS8_S8_S9_S9_EESD_ST_SE_SF_SG_EUlST_E0_NS1_11comp_targetILNS1_3genE2ELNS1_11target_archE906ELNS1_3gpuE6ELNS1_3repE0EEENS1_38merge_mergepath_config_static_selectorELNS0_4arch9wavefront6targetE0EEEvSF_: ; @_ZN7rocprim17ROCPRIM_400000_NS6detail17trampoline_kernelINS0_14default_configENS1_38merge_sort_block_merge_config_selectorIdNS0_10empty_typeEEEZZNS1_27merge_sort_block_merge_implIS3_PdPS5_jNS1_19radix_merge_compareILb1ELb0EdNS0_19identity_decomposerEEEEE10hipError_tT0_T1_T2_jT3_P12ihipStream_tbPNSt15iterator_traitsISE_E10value_typeEPNSK_ISF_E10value_typeEPSG_NS1_7vsmem_tEENKUlT_SE_SF_SG_E_clIS8_S8_S9_S9_EESD_ST_SE_SF_SG_EUlST_E0_NS1_11comp_targetILNS1_3genE2ELNS1_11target_archE906ELNS1_3gpuE6ELNS1_3repE0EEENS1_38merge_mergepath_config_static_selectorELNS0_4arch9wavefront6targetE0EEEvSF_
; %bb.0:
	.section	.rodata,"a",@progbits
	.p2align	6, 0x0
	.amdhsa_kernel _ZN7rocprim17ROCPRIM_400000_NS6detail17trampoline_kernelINS0_14default_configENS1_38merge_sort_block_merge_config_selectorIdNS0_10empty_typeEEEZZNS1_27merge_sort_block_merge_implIS3_PdPS5_jNS1_19radix_merge_compareILb1ELb0EdNS0_19identity_decomposerEEEEE10hipError_tT0_T1_T2_jT3_P12ihipStream_tbPNSt15iterator_traitsISE_E10value_typeEPNSK_ISF_E10value_typeEPSG_NS1_7vsmem_tEENKUlT_SE_SF_SG_E_clIS8_S8_S9_S9_EESD_ST_SE_SF_SG_EUlST_E0_NS1_11comp_targetILNS1_3genE2ELNS1_11target_archE906ELNS1_3gpuE6ELNS1_3repE0EEENS1_38merge_mergepath_config_static_selectorELNS0_4arch9wavefront6targetE0EEEvSF_
		.amdhsa_group_segment_fixed_size 0
		.amdhsa_private_segment_fixed_size 0
		.amdhsa_kernarg_size 64
		.amdhsa_user_sgpr_count 2
		.amdhsa_user_sgpr_dispatch_ptr 0
		.amdhsa_user_sgpr_queue_ptr 0
		.amdhsa_user_sgpr_kernarg_segment_ptr 1
		.amdhsa_user_sgpr_dispatch_id 0
		.amdhsa_user_sgpr_kernarg_preload_length 0
		.amdhsa_user_sgpr_kernarg_preload_offset 0
		.amdhsa_user_sgpr_private_segment_size 0
		.amdhsa_wavefront_size32 1
		.amdhsa_uses_dynamic_stack 0
		.amdhsa_enable_private_segment 0
		.amdhsa_system_sgpr_workgroup_id_x 1
		.amdhsa_system_sgpr_workgroup_id_y 0
		.amdhsa_system_sgpr_workgroup_id_z 0
		.amdhsa_system_sgpr_workgroup_info 0
		.amdhsa_system_vgpr_workitem_id 0
		.amdhsa_next_free_vgpr 1
		.amdhsa_next_free_sgpr 1
		.amdhsa_named_barrier_count 0
		.amdhsa_reserve_vcc 0
		.amdhsa_float_round_mode_32 0
		.amdhsa_float_round_mode_16_64 0
		.amdhsa_float_denorm_mode_32 3
		.amdhsa_float_denorm_mode_16_64 3
		.amdhsa_fp16_overflow 0
		.amdhsa_memory_ordered 1
		.amdhsa_forward_progress 1
		.amdhsa_inst_pref_size 0
		.amdhsa_round_robin_scheduling 0
		.amdhsa_exception_fp_ieee_invalid_op 0
		.amdhsa_exception_fp_denorm_src 0
		.amdhsa_exception_fp_ieee_div_zero 0
		.amdhsa_exception_fp_ieee_overflow 0
		.amdhsa_exception_fp_ieee_underflow 0
		.amdhsa_exception_fp_ieee_inexact 0
		.amdhsa_exception_int_div_zero 0
	.end_amdhsa_kernel
	.section	.text._ZN7rocprim17ROCPRIM_400000_NS6detail17trampoline_kernelINS0_14default_configENS1_38merge_sort_block_merge_config_selectorIdNS0_10empty_typeEEEZZNS1_27merge_sort_block_merge_implIS3_PdPS5_jNS1_19radix_merge_compareILb1ELb0EdNS0_19identity_decomposerEEEEE10hipError_tT0_T1_T2_jT3_P12ihipStream_tbPNSt15iterator_traitsISE_E10value_typeEPNSK_ISF_E10value_typeEPSG_NS1_7vsmem_tEENKUlT_SE_SF_SG_E_clIS8_S8_S9_S9_EESD_ST_SE_SF_SG_EUlST_E0_NS1_11comp_targetILNS1_3genE2ELNS1_11target_archE906ELNS1_3gpuE6ELNS1_3repE0EEENS1_38merge_mergepath_config_static_selectorELNS0_4arch9wavefront6targetE0EEEvSF_,"axG",@progbits,_ZN7rocprim17ROCPRIM_400000_NS6detail17trampoline_kernelINS0_14default_configENS1_38merge_sort_block_merge_config_selectorIdNS0_10empty_typeEEEZZNS1_27merge_sort_block_merge_implIS3_PdPS5_jNS1_19radix_merge_compareILb1ELb0EdNS0_19identity_decomposerEEEEE10hipError_tT0_T1_T2_jT3_P12ihipStream_tbPNSt15iterator_traitsISE_E10value_typeEPNSK_ISF_E10value_typeEPSG_NS1_7vsmem_tEENKUlT_SE_SF_SG_E_clIS8_S8_S9_S9_EESD_ST_SE_SF_SG_EUlST_E0_NS1_11comp_targetILNS1_3genE2ELNS1_11target_archE906ELNS1_3gpuE6ELNS1_3repE0EEENS1_38merge_mergepath_config_static_selectorELNS0_4arch9wavefront6targetE0EEEvSF_,comdat
.Lfunc_end1473:
	.size	_ZN7rocprim17ROCPRIM_400000_NS6detail17trampoline_kernelINS0_14default_configENS1_38merge_sort_block_merge_config_selectorIdNS0_10empty_typeEEEZZNS1_27merge_sort_block_merge_implIS3_PdPS5_jNS1_19radix_merge_compareILb1ELb0EdNS0_19identity_decomposerEEEEE10hipError_tT0_T1_T2_jT3_P12ihipStream_tbPNSt15iterator_traitsISE_E10value_typeEPNSK_ISF_E10value_typeEPSG_NS1_7vsmem_tEENKUlT_SE_SF_SG_E_clIS8_S8_S9_S9_EESD_ST_SE_SF_SG_EUlST_E0_NS1_11comp_targetILNS1_3genE2ELNS1_11target_archE906ELNS1_3gpuE6ELNS1_3repE0EEENS1_38merge_mergepath_config_static_selectorELNS0_4arch9wavefront6targetE0EEEvSF_, .Lfunc_end1473-_ZN7rocprim17ROCPRIM_400000_NS6detail17trampoline_kernelINS0_14default_configENS1_38merge_sort_block_merge_config_selectorIdNS0_10empty_typeEEEZZNS1_27merge_sort_block_merge_implIS3_PdPS5_jNS1_19radix_merge_compareILb1ELb0EdNS0_19identity_decomposerEEEEE10hipError_tT0_T1_T2_jT3_P12ihipStream_tbPNSt15iterator_traitsISE_E10value_typeEPNSK_ISF_E10value_typeEPSG_NS1_7vsmem_tEENKUlT_SE_SF_SG_E_clIS8_S8_S9_S9_EESD_ST_SE_SF_SG_EUlST_E0_NS1_11comp_targetILNS1_3genE2ELNS1_11target_archE906ELNS1_3gpuE6ELNS1_3repE0EEENS1_38merge_mergepath_config_static_selectorELNS0_4arch9wavefront6targetE0EEEvSF_
                                        ; -- End function
	.set _ZN7rocprim17ROCPRIM_400000_NS6detail17trampoline_kernelINS0_14default_configENS1_38merge_sort_block_merge_config_selectorIdNS0_10empty_typeEEEZZNS1_27merge_sort_block_merge_implIS3_PdPS5_jNS1_19radix_merge_compareILb1ELb0EdNS0_19identity_decomposerEEEEE10hipError_tT0_T1_T2_jT3_P12ihipStream_tbPNSt15iterator_traitsISE_E10value_typeEPNSK_ISF_E10value_typeEPSG_NS1_7vsmem_tEENKUlT_SE_SF_SG_E_clIS8_S8_S9_S9_EESD_ST_SE_SF_SG_EUlST_E0_NS1_11comp_targetILNS1_3genE2ELNS1_11target_archE906ELNS1_3gpuE6ELNS1_3repE0EEENS1_38merge_mergepath_config_static_selectorELNS0_4arch9wavefront6targetE0EEEvSF_.num_vgpr, 0
	.set _ZN7rocprim17ROCPRIM_400000_NS6detail17trampoline_kernelINS0_14default_configENS1_38merge_sort_block_merge_config_selectorIdNS0_10empty_typeEEEZZNS1_27merge_sort_block_merge_implIS3_PdPS5_jNS1_19radix_merge_compareILb1ELb0EdNS0_19identity_decomposerEEEEE10hipError_tT0_T1_T2_jT3_P12ihipStream_tbPNSt15iterator_traitsISE_E10value_typeEPNSK_ISF_E10value_typeEPSG_NS1_7vsmem_tEENKUlT_SE_SF_SG_E_clIS8_S8_S9_S9_EESD_ST_SE_SF_SG_EUlST_E0_NS1_11comp_targetILNS1_3genE2ELNS1_11target_archE906ELNS1_3gpuE6ELNS1_3repE0EEENS1_38merge_mergepath_config_static_selectorELNS0_4arch9wavefront6targetE0EEEvSF_.num_agpr, 0
	.set _ZN7rocprim17ROCPRIM_400000_NS6detail17trampoline_kernelINS0_14default_configENS1_38merge_sort_block_merge_config_selectorIdNS0_10empty_typeEEEZZNS1_27merge_sort_block_merge_implIS3_PdPS5_jNS1_19radix_merge_compareILb1ELb0EdNS0_19identity_decomposerEEEEE10hipError_tT0_T1_T2_jT3_P12ihipStream_tbPNSt15iterator_traitsISE_E10value_typeEPNSK_ISF_E10value_typeEPSG_NS1_7vsmem_tEENKUlT_SE_SF_SG_E_clIS8_S8_S9_S9_EESD_ST_SE_SF_SG_EUlST_E0_NS1_11comp_targetILNS1_3genE2ELNS1_11target_archE906ELNS1_3gpuE6ELNS1_3repE0EEENS1_38merge_mergepath_config_static_selectorELNS0_4arch9wavefront6targetE0EEEvSF_.numbered_sgpr, 0
	.set _ZN7rocprim17ROCPRIM_400000_NS6detail17trampoline_kernelINS0_14default_configENS1_38merge_sort_block_merge_config_selectorIdNS0_10empty_typeEEEZZNS1_27merge_sort_block_merge_implIS3_PdPS5_jNS1_19radix_merge_compareILb1ELb0EdNS0_19identity_decomposerEEEEE10hipError_tT0_T1_T2_jT3_P12ihipStream_tbPNSt15iterator_traitsISE_E10value_typeEPNSK_ISF_E10value_typeEPSG_NS1_7vsmem_tEENKUlT_SE_SF_SG_E_clIS8_S8_S9_S9_EESD_ST_SE_SF_SG_EUlST_E0_NS1_11comp_targetILNS1_3genE2ELNS1_11target_archE906ELNS1_3gpuE6ELNS1_3repE0EEENS1_38merge_mergepath_config_static_selectorELNS0_4arch9wavefront6targetE0EEEvSF_.num_named_barrier, 0
	.set _ZN7rocprim17ROCPRIM_400000_NS6detail17trampoline_kernelINS0_14default_configENS1_38merge_sort_block_merge_config_selectorIdNS0_10empty_typeEEEZZNS1_27merge_sort_block_merge_implIS3_PdPS5_jNS1_19radix_merge_compareILb1ELb0EdNS0_19identity_decomposerEEEEE10hipError_tT0_T1_T2_jT3_P12ihipStream_tbPNSt15iterator_traitsISE_E10value_typeEPNSK_ISF_E10value_typeEPSG_NS1_7vsmem_tEENKUlT_SE_SF_SG_E_clIS8_S8_S9_S9_EESD_ST_SE_SF_SG_EUlST_E0_NS1_11comp_targetILNS1_3genE2ELNS1_11target_archE906ELNS1_3gpuE6ELNS1_3repE0EEENS1_38merge_mergepath_config_static_selectorELNS0_4arch9wavefront6targetE0EEEvSF_.private_seg_size, 0
	.set _ZN7rocprim17ROCPRIM_400000_NS6detail17trampoline_kernelINS0_14default_configENS1_38merge_sort_block_merge_config_selectorIdNS0_10empty_typeEEEZZNS1_27merge_sort_block_merge_implIS3_PdPS5_jNS1_19radix_merge_compareILb1ELb0EdNS0_19identity_decomposerEEEEE10hipError_tT0_T1_T2_jT3_P12ihipStream_tbPNSt15iterator_traitsISE_E10value_typeEPNSK_ISF_E10value_typeEPSG_NS1_7vsmem_tEENKUlT_SE_SF_SG_E_clIS8_S8_S9_S9_EESD_ST_SE_SF_SG_EUlST_E0_NS1_11comp_targetILNS1_3genE2ELNS1_11target_archE906ELNS1_3gpuE6ELNS1_3repE0EEENS1_38merge_mergepath_config_static_selectorELNS0_4arch9wavefront6targetE0EEEvSF_.uses_vcc, 0
	.set _ZN7rocprim17ROCPRIM_400000_NS6detail17trampoline_kernelINS0_14default_configENS1_38merge_sort_block_merge_config_selectorIdNS0_10empty_typeEEEZZNS1_27merge_sort_block_merge_implIS3_PdPS5_jNS1_19radix_merge_compareILb1ELb0EdNS0_19identity_decomposerEEEEE10hipError_tT0_T1_T2_jT3_P12ihipStream_tbPNSt15iterator_traitsISE_E10value_typeEPNSK_ISF_E10value_typeEPSG_NS1_7vsmem_tEENKUlT_SE_SF_SG_E_clIS8_S8_S9_S9_EESD_ST_SE_SF_SG_EUlST_E0_NS1_11comp_targetILNS1_3genE2ELNS1_11target_archE906ELNS1_3gpuE6ELNS1_3repE0EEENS1_38merge_mergepath_config_static_selectorELNS0_4arch9wavefront6targetE0EEEvSF_.uses_flat_scratch, 0
	.set _ZN7rocprim17ROCPRIM_400000_NS6detail17trampoline_kernelINS0_14default_configENS1_38merge_sort_block_merge_config_selectorIdNS0_10empty_typeEEEZZNS1_27merge_sort_block_merge_implIS3_PdPS5_jNS1_19radix_merge_compareILb1ELb0EdNS0_19identity_decomposerEEEEE10hipError_tT0_T1_T2_jT3_P12ihipStream_tbPNSt15iterator_traitsISE_E10value_typeEPNSK_ISF_E10value_typeEPSG_NS1_7vsmem_tEENKUlT_SE_SF_SG_E_clIS8_S8_S9_S9_EESD_ST_SE_SF_SG_EUlST_E0_NS1_11comp_targetILNS1_3genE2ELNS1_11target_archE906ELNS1_3gpuE6ELNS1_3repE0EEENS1_38merge_mergepath_config_static_selectorELNS0_4arch9wavefront6targetE0EEEvSF_.has_dyn_sized_stack, 0
	.set _ZN7rocprim17ROCPRIM_400000_NS6detail17trampoline_kernelINS0_14default_configENS1_38merge_sort_block_merge_config_selectorIdNS0_10empty_typeEEEZZNS1_27merge_sort_block_merge_implIS3_PdPS5_jNS1_19radix_merge_compareILb1ELb0EdNS0_19identity_decomposerEEEEE10hipError_tT0_T1_T2_jT3_P12ihipStream_tbPNSt15iterator_traitsISE_E10value_typeEPNSK_ISF_E10value_typeEPSG_NS1_7vsmem_tEENKUlT_SE_SF_SG_E_clIS8_S8_S9_S9_EESD_ST_SE_SF_SG_EUlST_E0_NS1_11comp_targetILNS1_3genE2ELNS1_11target_archE906ELNS1_3gpuE6ELNS1_3repE0EEENS1_38merge_mergepath_config_static_selectorELNS0_4arch9wavefront6targetE0EEEvSF_.has_recursion, 0
	.set _ZN7rocprim17ROCPRIM_400000_NS6detail17trampoline_kernelINS0_14default_configENS1_38merge_sort_block_merge_config_selectorIdNS0_10empty_typeEEEZZNS1_27merge_sort_block_merge_implIS3_PdPS5_jNS1_19radix_merge_compareILb1ELb0EdNS0_19identity_decomposerEEEEE10hipError_tT0_T1_T2_jT3_P12ihipStream_tbPNSt15iterator_traitsISE_E10value_typeEPNSK_ISF_E10value_typeEPSG_NS1_7vsmem_tEENKUlT_SE_SF_SG_E_clIS8_S8_S9_S9_EESD_ST_SE_SF_SG_EUlST_E0_NS1_11comp_targetILNS1_3genE2ELNS1_11target_archE906ELNS1_3gpuE6ELNS1_3repE0EEENS1_38merge_mergepath_config_static_selectorELNS0_4arch9wavefront6targetE0EEEvSF_.has_indirect_call, 0
	.section	.AMDGPU.csdata,"",@progbits
; Kernel info:
; codeLenInByte = 0
; TotalNumSgprs: 0
; NumVgprs: 0
; ScratchSize: 0
; MemoryBound: 0
; FloatMode: 240
; IeeeMode: 1
; LDSByteSize: 0 bytes/workgroup (compile time only)
; SGPRBlocks: 0
; VGPRBlocks: 0
; NumSGPRsForWavesPerEU: 1
; NumVGPRsForWavesPerEU: 1
; NamedBarCnt: 0
; Occupancy: 16
; WaveLimiterHint : 0
; COMPUTE_PGM_RSRC2:SCRATCH_EN: 0
; COMPUTE_PGM_RSRC2:USER_SGPR: 2
; COMPUTE_PGM_RSRC2:TRAP_HANDLER: 0
; COMPUTE_PGM_RSRC2:TGID_X_EN: 1
; COMPUTE_PGM_RSRC2:TGID_Y_EN: 0
; COMPUTE_PGM_RSRC2:TGID_Z_EN: 0
; COMPUTE_PGM_RSRC2:TIDIG_COMP_CNT: 0
	.section	.text._ZN7rocprim17ROCPRIM_400000_NS6detail17trampoline_kernelINS0_14default_configENS1_38merge_sort_block_merge_config_selectorIdNS0_10empty_typeEEEZZNS1_27merge_sort_block_merge_implIS3_PdPS5_jNS1_19radix_merge_compareILb1ELb0EdNS0_19identity_decomposerEEEEE10hipError_tT0_T1_T2_jT3_P12ihipStream_tbPNSt15iterator_traitsISE_E10value_typeEPNSK_ISF_E10value_typeEPSG_NS1_7vsmem_tEENKUlT_SE_SF_SG_E_clIS8_S8_S9_S9_EESD_ST_SE_SF_SG_EUlST_E0_NS1_11comp_targetILNS1_3genE9ELNS1_11target_archE1100ELNS1_3gpuE3ELNS1_3repE0EEENS1_38merge_mergepath_config_static_selectorELNS0_4arch9wavefront6targetE0EEEvSF_,"axG",@progbits,_ZN7rocprim17ROCPRIM_400000_NS6detail17trampoline_kernelINS0_14default_configENS1_38merge_sort_block_merge_config_selectorIdNS0_10empty_typeEEEZZNS1_27merge_sort_block_merge_implIS3_PdPS5_jNS1_19radix_merge_compareILb1ELb0EdNS0_19identity_decomposerEEEEE10hipError_tT0_T1_T2_jT3_P12ihipStream_tbPNSt15iterator_traitsISE_E10value_typeEPNSK_ISF_E10value_typeEPSG_NS1_7vsmem_tEENKUlT_SE_SF_SG_E_clIS8_S8_S9_S9_EESD_ST_SE_SF_SG_EUlST_E0_NS1_11comp_targetILNS1_3genE9ELNS1_11target_archE1100ELNS1_3gpuE3ELNS1_3repE0EEENS1_38merge_mergepath_config_static_selectorELNS0_4arch9wavefront6targetE0EEEvSF_,comdat
	.protected	_ZN7rocprim17ROCPRIM_400000_NS6detail17trampoline_kernelINS0_14default_configENS1_38merge_sort_block_merge_config_selectorIdNS0_10empty_typeEEEZZNS1_27merge_sort_block_merge_implIS3_PdPS5_jNS1_19radix_merge_compareILb1ELb0EdNS0_19identity_decomposerEEEEE10hipError_tT0_T1_T2_jT3_P12ihipStream_tbPNSt15iterator_traitsISE_E10value_typeEPNSK_ISF_E10value_typeEPSG_NS1_7vsmem_tEENKUlT_SE_SF_SG_E_clIS8_S8_S9_S9_EESD_ST_SE_SF_SG_EUlST_E0_NS1_11comp_targetILNS1_3genE9ELNS1_11target_archE1100ELNS1_3gpuE3ELNS1_3repE0EEENS1_38merge_mergepath_config_static_selectorELNS0_4arch9wavefront6targetE0EEEvSF_ ; -- Begin function _ZN7rocprim17ROCPRIM_400000_NS6detail17trampoline_kernelINS0_14default_configENS1_38merge_sort_block_merge_config_selectorIdNS0_10empty_typeEEEZZNS1_27merge_sort_block_merge_implIS3_PdPS5_jNS1_19radix_merge_compareILb1ELb0EdNS0_19identity_decomposerEEEEE10hipError_tT0_T1_T2_jT3_P12ihipStream_tbPNSt15iterator_traitsISE_E10value_typeEPNSK_ISF_E10value_typeEPSG_NS1_7vsmem_tEENKUlT_SE_SF_SG_E_clIS8_S8_S9_S9_EESD_ST_SE_SF_SG_EUlST_E0_NS1_11comp_targetILNS1_3genE9ELNS1_11target_archE1100ELNS1_3gpuE3ELNS1_3repE0EEENS1_38merge_mergepath_config_static_selectorELNS0_4arch9wavefront6targetE0EEEvSF_
	.globl	_ZN7rocprim17ROCPRIM_400000_NS6detail17trampoline_kernelINS0_14default_configENS1_38merge_sort_block_merge_config_selectorIdNS0_10empty_typeEEEZZNS1_27merge_sort_block_merge_implIS3_PdPS5_jNS1_19radix_merge_compareILb1ELb0EdNS0_19identity_decomposerEEEEE10hipError_tT0_T1_T2_jT3_P12ihipStream_tbPNSt15iterator_traitsISE_E10value_typeEPNSK_ISF_E10value_typeEPSG_NS1_7vsmem_tEENKUlT_SE_SF_SG_E_clIS8_S8_S9_S9_EESD_ST_SE_SF_SG_EUlST_E0_NS1_11comp_targetILNS1_3genE9ELNS1_11target_archE1100ELNS1_3gpuE3ELNS1_3repE0EEENS1_38merge_mergepath_config_static_selectorELNS0_4arch9wavefront6targetE0EEEvSF_
	.p2align	8
	.type	_ZN7rocprim17ROCPRIM_400000_NS6detail17trampoline_kernelINS0_14default_configENS1_38merge_sort_block_merge_config_selectorIdNS0_10empty_typeEEEZZNS1_27merge_sort_block_merge_implIS3_PdPS5_jNS1_19radix_merge_compareILb1ELb0EdNS0_19identity_decomposerEEEEE10hipError_tT0_T1_T2_jT3_P12ihipStream_tbPNSt15iterator_traitsISE_E10value_typeEPNSK_ISF_E10value_typeEPSG_NS1_7vsmem_tEENKUlT_SE_SF_SG_E_clIS8_S8_S9_S9_EESD_ST_SE_SF_SG_EUlST_E0_NS1_11comp_targetILNS1_3genE9ELNS1_11target_archE1100ELNS1_3gpuE3ELNS1_3repE0EEENS1_38merge_mergepath_config_static_selectorELNS0_4arch9wavefront6targetE0EEEvSF_,@function
_ZN7rocprim17ROCPRIM_400000_NS6detail17trampoline_kernelINS0_14default_configENS1_38merge_sort_block_merge_config_selectorIdNS0_10empty_typeEEEZZNS1_27merge_sort_block_merge_implIS3_PdPS5_jNS1_19radix_merge_compareILb1ELb0EdNS0_19identity_decomposerEEEEE10hipError_tT0_T1_T2_jT3_P12ihipStream_tbPNSt15iterator_traitsISE_E10value_typeEPNSK_ISF_E10value_typeEPSG_NS1_7vsmem_tEENKUlT_SE_SF_SG_E_clIS8_S8_S9_S9_EESD_ST_SE_SF_SG_EUlST_E0_NS1_11comp_targetILNS1_3genE9ELNS1_11target_archE1100ELNS1_3gpuE3ELNS1_3repE0EEENS1_38merge_mergepath_config_static_selectorELNS0_4arch9wavefront6targetE0EEEvSF_: ; @_ZN7rocprim17ROCPRIM_400000_NS6detail17trampoline_kernelINS0_14default_configENS1_38merge_sort_block_merge_config_selectorIdNS0_10empty_typeEEEZZNS1_27merge_sort_block_merge_implIS3_PdPS5_jNS1_19radix_merge_compareILb1ELb0EdNS0_19identity_decomposerEEEEE10hipError_tT0_T1_T2_jT3_P12ihipStream_tbPNSt15iterator_traitsISE_E10value_typeEPNSK_ISF_E10value_typeEPSG_NS1_7vsmem_tEENKUlT_SE_SF_SG_E_clIS8_S8_S9_S9_EESD_ST_SE_SF_SG_EUlST_E0_NS1_11comp_targetILNS1_3genE9ELNS1_11target_archE1100ELNS1_3gpuE3ELNS1_3repE0EEENS1_38merge_mergepath_config_static_selectorELNS0_4arch9wavefront6targetE0EEEvSF_
; %bb.0:
	.section	.rodata,"a",@progbits
	.p2align	6, 0x0
	.amdhsa_kernel _ZN7rocprim17ROCPRIM_400000_NS6detail17trampoline_kernelINS0_14default_configENS1_38merge_sort_block_merge_config_selectorIdNS0_10empty_typeEEEZZNS1_27merge_sort_block_merge_implIS3_PdPS5_jNS1_19radix_merge_compareILb1ELb0EdNS0_19identity_decomposerEEEEE10hipError_tT0_T1_T2_jT3_P12ihipStream_tbPNSt15iterator_traitsISE_E10value_typeEPNSK_ISF_E10value_typeEPSG_NS1_7vsmem_tEENKUlT_SE_SF_SG_E_clIS8_S8_S9_S9_EESD_ST_SE_SF_SG_EUlST_E0_NS1_11comp_targetILNS1_3genE9ELNS1_11target_archE1100ELNS1_3gpuE3ELNS1_3repE0EEENS1_38merge_mergepath_config_static_selectorELNS0_4arch9wavefront6targetE0EEEvSF_
		.amdhsa_group_segment_fixed_size 0
		.amdhsa_private_segment_fixed_size 0
		.amdhsa_kernarg_size 64
		.amdhsa_user_sgpr_count 2
		.amdhsa_user_sgpr_dispatch_ptr 0
		.amdhsa_user_sgpr_queue_ptr 0
		.amdhsa_user_sgpr_kernarg_segment_ptr 1
		.amdhsa_user_sgpr_dispatch_id 0
		.amdhsa_user_sgpr_kernarg_preload_length 0
		.amdhsa_user_sgpr_kernarg_preload_offset 0
		.amdhsa_user_sgpr_private_segment_size 0
		.amdhsa_wavefront_size32 1
		.amdhsa_uses_dynamic_stack 0
		.amdhsa_enable_private_segment 0
		.amdhsa_system_sgpr_workgroup_id_x 1
		.amdhsa_system_sgpr_workgroup_id_y 0
		.amdhsa_system_sgpr_workgroup_id_z 0
		.amdhsa_system_sgpr_workgroup_info 0
		.amdhsa_system_vgpr_workitem_id 0
		.amdhsa_next_free_vgpr 1
		.amdhsa_next_free_sgpr 1
		.amdhsa_named_barrier_count 0
		.amdhsa_reserve_vcc 0
		.amdhsa_float_round_mode_32 0
		.amdhsa_float_round_mode_16_64 0
		.amdhsa_float_denorm_mode_32 3
		.amdhsa_float_denorm_mode_16_64 3
		.amdhsa_fp16_overflow 0
		.amdhsa_memory_ordered 1
		.amdhsa_forward_progress 1
		.amdhsa_inst_pref_size 0
		.amdhsa_round_robin_scheduling 0
		.amdhsa_exception_fp_ieee_invalid_op 0
		.amdhsa_exception_fp_denorm_src 0
		.amdhsa_exception_fp_ieee_div_zero 0
		.amdhsa_exception_fp_ieee_overflow 0
		.amdhsa_exception_fp_ieee_underflow 0
		.amdhsa_exception_fp_ieee_inexact 0
		.amdhsa_exception_int_div_zero 0
	.end_amdhsa_kernel
	.section	.text._ZN7rocprim17ROCPRIM_400000_NS6detail17trampoline_kernelINS0_14default_configENS1_38merge_sort_block_merge_config_selectorIdNS0_10empty_typeEEEZZNS1_27merge_sort_block_merge_implIS3_PdPS5_jNS1_19radix_merge_compareILb1ELb0EdNS0_19identity_decomposerEEEEE10hipError_tT0_T1_T2_jT3_P12ihipStream_tbPNSt15iterator_traitsISE_E10value_typeEPNSK_ISF_E10value_typeEPSG_NS1_7vsmem_tEENKUlT_SE_SF_SG_E_clIS8_S8_S9_S9_EESD_ST_SE_SF_SG_EUlST_E0_NS1_11comp_targetILNS1_3genE9ELNS1_11target_archE1100ELNS1_3gpuE3ELNS1_3repE0EEENS1_38merge_mergepath_config_static_selectorELNS0_4arch9wavefront6targetE0EEEvSF_,"axG",@progbits,_ZN7rocprim17ROCPRIM_400000_NS6detail17trampoline_kernelINS0_14default_configENS1_38merge_sort_block_merge_config_selectorIdNS0_10empty_typeEEEZZNS1_27merge_sort_block_merge_implIS3_PdPS5_jNS1_19radix_merge_compareILb1ELb0EdNS0_19identity_decomposerEEEEE10hipError_tT0_T1_T2_jT3_P12ihipStream_tbPNSt15iterator_traitsISE_E10value_typeEPNSK_ISF_E10value_typeEPSG_NS1_7vsmem_tEENKUlT_SE_SF_SG_E_clIS8_S8_S9_S9_EESD_ST_SE_SF_SG_EUlST_E0_NS1_11comp_targetILNS1_3genE9ELNS1_11target_archE1100ELNS1_3gpuE3ELNS1_3repE0EEENS1_38merge_mergepath_config_static_selectorELNS0_4arch9wavefront6targetE0EEEvSF_,comdat
.Lfunc_end1474:
	.size	_ZN7rocprim17ROCPRIM_400000_NS6detail17trampoline_kernelINS0_14default_configENS1_38merge_sort_block_merge_config_selectorIdNS0_10empty_typeEEEZZNS1_27merge_sort_block_merge_implIS3_PdPS5_jNS1_19radix_merge_compareILb1ELb0EdNS0_19identity_decomposerEEEEE10hipError_tT0_T1_T2_jT3_P12ihipStream_tbPNSt15iterator_traitsISE_E10value_typeEPNSK_ISF_E10value_typeEPSG_NS1_7vsmem_tEENKUlT_SE_SF_SG_E_clIS8_S8_S9_S9_EESD_ST_SE_SF_SG_EUlST_E0_NS1_11comp_targetILNS1_3genE9ELNS1_11target_archE1100ELNS1_3gpuE3ELNS1_3repE0EEENS1_38merge_mergepath_config_static_selectorELNS0_4arch9wavefront6targetE0EEEvSF_, .Lfunc_end1474-_ZN7rocprim17ROCPRIM_400000_NS6detail17trampoline_kernelINS0_14default_configENS1_38merge_sort_block_merge_config_selectorIdNS0_10empty_typeEEEZZNS1_27merge_sort_block_merge_implIS3_PdPS5_jNS1_19radix_merge_compareILb1ELb0EdNS0_19identity_decomposerEEEEE10hipError_tT0_T1_T2_jT3_P12ihipStream_tbPNSt15iterator_traitsISE_E10value_typeEPNSK_ISF_E10value_typeEPSG_NS1_7vsmem_tEENKUlT_SE_SF_SG_E_clIS8_S8_S9_S9_EESD_ST_SE_SF_SG_EUlST_E0_NS1_11comp_targetILNS1_3genE9ELNS1_11target_archE1100ELNS1_3gpuE3ELNS1_3repE0EEENS1_38merge_mergepath_config_static_selectorELNS0_4arch9wavefront6targetE0EEEvSF_
                                        ; -- End function
	.set _ZN7rocprim17ROCPRIM_400000_NS6detail17trampoline_kernelINS0_14default_configENS1_38merge_sort_block_merge_config_selectorIdNS0_10empty_typeEEEZZNS1_27merge_sort_block_merge_implIS3_PdPS5_jNS1_19radix_merge_compareILb1ELb0EdNS0_19identity_decomposerEEEEE10hipError_tT0_T1_T2_jT3_P12ihipStream_tbPNSt15iterator_traitsISE_E10value_typeEPNSK_ISF_E10value_typeEPSG_NS1_7vsmem_tEENKUlT_SE_SF_SG_E_clIS8_S8_S9_S9_EESD_ST_SE_SF_SG_EUlST_E0_NS1_11comp_targetILNS1_3genE9ELNS1_11target_archE1100ELNS1_3gpuE3ELNS1_3repE0EEENS1_38merge_mergepath_config_static_selectorELNS0_4arch9wavefront6targetE0EEEvSF_.num_vgpr, 0
	.set _ZN7rocprim17ROCPRIM_400000_NS6detail17trampoline_kernelINS0_14default_configENS1_38merge_sort_block_merge_config_selectorIdNS0_10empty_typeEEEZZNS1_27merge_sort_block_merge_implIS3_PdPS5_jNS1_19radix_merge_compareILb1ELb0EdNS0_19identity_decomposerEEEEE10hipError_tT0_T1_T2_jT3_P12ihipStream_tbPNSt15iterator_traitsISE_E10value_typeEPNSK_ISF_E10value_typeEPSG_NS1_7vsmem_tEENKUlT_SE_SF_SG_E_clIS8_S8_S9_S9_EESD_ST_SE_SF_SG_EUlST_E0_NS1_11comp_targetILNS1_3genE9ELNS1_11target_archE1100ELNS1_3gpuE3ELNS1_3repE0EEENS1_38merge_mergepath_config_static_selectorELNS0_4arch9wavefront6targetE0EEEvSF_.num_agpr, 0
	.set _ZN7rocprim17ROCPRIM_400000_NS6detail17trampoline_kernelINS0_14default_configENS1_38merge_sort_block_merge_config_selectorIdNS0_10empty_typeEEEZZNS1_27merge_sort_block_merge_implIS3_PdPS5_jNS1_19radix_merge_compareILb1ELb0EdNS0_19identity_decomposerEEEEE10hipError_tT0_T1_T2_jT3_P12ihipStream_tbPNSt15iterator_traitsISE_E10value_typeEPNSK_ISF_E10value_typeEPSG_NS1_7vsmem_tEENKUlT_SE_SF_SG_E_clIS8_S8_S9_S9_EESD_ST_SE_SF_SG_EUlST_E0_NS1_11comp_targetILNS1_3genE9ELNS1_11target_archE1100ELNS1_3gpuE3ELNS1_3repE0EEENS1_38merge_mergepath_config_static_selectorELNS0_4arch9wavefront6targetE0EEEvSF_.numbered_sgpr, 0
	.set _ZN7rocprim17ROCPRIM_400000_NS6detail17trampoline_kernelINS0_14default_configENS1_38merge_sort_block_merge_config_selectorIdNS0_10empty_typeEEEZZNS1_27merge_sort_block_merge_implIS3_PdPS5_jNS1_19radix_merge_compareILb1ELb0EdNS0_19identity_decomposerEEEEE10hipError_tT0_T1_T2_jT3_P12ihipStream_tbPNSt15iterator_traitsISE_E10value_typeEPNSK_ISF_E10value_typeEPSG_NS1_7vsmem_tEENKUlT_SE_SF_SG_E_clIS8_S8_S9_S9_EESD_ST_SE_SF_SG_EUlST_E0_NS1_11comp_targetILNS1_3genE9ELNS1_11target_archE1100ELNS1_3gpuE3ELNS1_3repE0EEENS1_38merge_mergepath_config_static_selectorELNS0_4arch9wavefront6targetE0EEEvSF_.num_named_barrier, 0
	.set _ZN7rocprim17ROCPRIM_400000_NS6detail17trampoline_kernelINS0_14default_configENS1_38merge_sort_block_merge_config_selectorIdNS0_10empty_typeEEEZZNS1_27merge_sort_block_merge_implIS3_PdPS5_jNS1_19radix_merge_compareILb1ELb0EdNS0_19identity_decomposerEEEEE10hipError_tT0_T1_T2_jT3_P12ihipStream_tbPNSt15iterator_traitsISE_E10value_typeEPNSK_ISF_E10value_typeEPSG_NS1_7vsmem_tEENKUlT_SE_SF_SG_E_clIS8_S8_S9_S9_EESD_ST_SE_SF_SG_EUlST_E0_NS1_11comp_targetILNS1_3genE9ELNS1_11target_archE1100ELNS1_3gpuE3ELNS1_3repE0EEENS1_38merge_mergepath_config_static_selectorELNS0_4arch9wavefront6targetE0EEEvSF_.private_seg_size, 0
	.set _ZN7rocprim17ROCPRIM_400000_NS6detail17trampoline_kernelINS0_14default_configENS1_38merge_sort_block_merge_config_selectorIdNS0_10empty_typeEEEZZNS1_27merge_sort_block_merge_implIS3_PdPS5_jNS1_19radix_merge_compareILb1ELb0EdNS0_19identity_decomposerEEEEE10hipError_tT0_T1_T2_jT3_P12ihipStream_tbPNSt15iterator_traitsISE_E10value_typeEPNSK_ISF_E10value_typeEPSG_NS1_7vsmem_tEENKUlT_SE_SF_SG_E_clIS8_S8_S9_S9_EESD_ST_SE_SF_SG_EUlST_E0_NS1_11comp_targetILNS1_3genE9ELNS1_11target_archE1100ELNS1_3gpuE3ELNS1_3repE0EEENS1_38merge_mergepath_config_static_selectorELNS0_4arch9wavefront6targetE0EEEvSF_.uses_vcc, 0
	.set _ZN7rocprim17ROCPRIM_400000_NS6detail17trampoline_kernelINS0_14default_configENS1_38merge_sort_block_merge_config_selectorIdNS0_10empty_typeEEEZZNS1_27merge_sort_block_merge_implIS3_PdPS5_jNS1_19radix_merge_compareILb1ELb0EdNS0_19identity_decomposerEEEEE10hipError_tT0_T1_T2_jT3_P12ihipStream_tbPNSt15iterator_traitsISE_E10value_typeEPNSK_ISF_E10value_typeEPSG_NS1_7vsmem_tEENKUlT_SE_SF_SG_E_clIS8_S8_S9_S9_EESD_ST_SE_SF_SG_EUlST_E0_NS1_11comp_targetILNS1_3genE9ELNS1_11target_archE1100ELNS1_3gpuE3ELNS1_3repE0EEENS1_38merge_mergepath_config_static_selectorELNS0_4arch9wavefront6targetE0EEEvSF_.uses_flat_scratch, 0
	.set _ZN7rocprim17ROCPRIM_400000_NS6detail17trampoline_kernelINS0_14default_configENS1_38merge_sort_block_merge_config_selectorIdNS0_10empty_typeEEEZZNS1_27merge_sort_block_merge_implIS3_PdPS5_jNS1_19radix_merge_compareILb1ELb0EdNS0_19identity_decomposerEEEEE10hipError_tT0_T1_T2_jT3_P12ihipStream_tbPNSt15iterator_traitsISE_E10value_typeEPNSK_ISF_E10value_typeEPSG_NS1_7vsmem_tEENKUlT_SE_SF_SG_E_clIS8_S8_S9_S9_EESD_ST_SE_SF_SG_EUlST_E0_NS1_11comp_targetILNS1_3genE9ELNS1_11target_archE1100ELNS1_3gpuE3ELNS1_3repE0EEENS1_38merge_mergepath_config_static_selectorELNS0_4arch9wavefront6targetE0EEEvSF_.has_dyn_sized_stack, 0
	.set _ZN7rocprim17ROCPRIM_400000_NS6detail17trampoline_kernelINS0_14default_configENS1_38merge_sort_block_merge_config_selectorIdNS0_10empty_typeEEEZZNS1_27merge_sort_block_merge_implIS3_PdPS5_jNS1_19radix_merge_compareILb1ELb0EdNS0_19identity_decomposerEEEEE10hipError_tT0_T1_T2_jT3_P12ihipStream_tbPNSt15iterator_traitsISE_E10value_typeEPNSK_ISF_E10value_typeEPSG_NS1_7vsmem_tEENKUlT_SE_SF_SG_E_clIS8_S8_S9_S9_EESD_ST_SE_SF_SG_EUlST_E0_NS1_11comp_targetILNS1_3genE9ELNS1_11target_archE1100ELNS1_3gpuE3ELNS1_3repE0EEENS1_38merge_mergepath_config_static_selectorELNS0_4arch9wavefront6targetE0EEEvSF_.has_recursion, 0
	.set _ZN7rocprim17ROCPRIM_400000_NS6detail17trampoline_kernelINS0_14default_configENS1_38merge_sort_block_merge_config_selectorIdNS0_10empty_typeEEEZZNS1_27merge_sort_block_merge_implIS3_PdPS5_jNS1_19radix_merge_compareILb1ELb0EdNS0_19identity_decomposerEEEEE10hipError_tT0_T1_T2_jT3_P12ihipStream_tbPNSt15iterator_traitsISE_E10value_typeEPNSK_ISF_E10value_typeEPSG_NS1_7vsmem_tEENKUlT_SE_SF_SG_E_clIS8_S8_S9_S9_EESD_ST_SE_SF_SG_EUlST_E0_NS1_11comp_targetILNS1_3genE9ELNS1_11target_archE1100ELNS1_3gpuE3ELNS1_3repE0EEENS1_38merge_mergepath_config_static_selectorELNS0_4arch9wavefront6targetE0EEEvSF_.has_indirect_call, 0
	.section	.AMDGPU.csdata,"",@progbits
; Kernel info:
; codeLenInByte = 0
; TotalNumSgprs: 0
; NumVgprs: 0
; ScratchSize: 0
; MemoryBound: 0
; FloatMode: 240
; IeeeMode: 1
; LDSByteSize: 0 bytes/workgroup (compile time only)
; SGPRBlocks: 0
; VGPRBlocks: 0
; NumSGPRsForWavesPerEU: 1
; NumVGPRsForWavesPerEU: 1
; NamedBarCnt: 0
; Occupancy: 16
; WaveLimiterHint : 0
; COMPUTE_PGM_RSRC2:SCRATCH_EN: 0
; COMPUTE_PGM_RSRC2:USER_SGPR: 2
; COMPUTE_PGM_RSRC2:TRAP_HANDLER: 0
; COMPUTE_PGM_RSRC2:TGID_X_EN: 1
; COMPUTE_PGM_RSRC2:TGID_Y_EN: 0
; COMPUTE_PGM_RSRC2:TGID_Z_EN: 0
; COMPUTE_PGM_RSRC2:TIDIG_COMP_CNT: 0
	.section	.text._ZN7rocprim17ROCPRIM_400000_NS6detail17trampoline_kernelINS0_14default_configENS1_38merge_sort_block_merge_config_selectorIdNS0_10empty_typeEEEZZNS1_27merge_sort_block_merge_implIS3_PdPS5_jNS1_19radix_merge_compareILb1ELb0EdNS0_19identity_decomposerEEEEE10hipError_tT0_T1_T2_jT3_P12ihipStream_tbPNSt15iterator_traitsISE_E10value_typeEPNSK_ISF_E10value_typeEPSG_NS1_7vsmem_tEENKUlT_SE_SF_SG_E_clIS8_S8_S9_S9_EESD_ST_SE_SF_SG_EUlST_E0_NS1_11comp_targetILNS1_3genE8ELNS1_11target_archE1030ELNS1_3gpuE2ELNS1_3repE0EEENS1_38merge_mergepath_config_static_selectorELNS0_4arch9wavefront6targetE0EEEvSF_,"axG",@progbits,_ZN7rocprim17ROCPRIM_400000_NS6detail17trampoline_kernelINS0_14default_configENS1_38merge_sort_block_merge_config_selectorIdNS0_10empty_typeEEEZZNS1_27merge_sort_block_merge_implIS3_PdPS5_jNS1_19radix_merge_compareILb1ELb0EdNS0_19identity_decomposerEEEEE10hipError_tT0_T1_T2_jT3_P12ihipStream_tbPNSt15iterator_traitsISE_E10value_typeEPNSK_ISF_E10value_typeEPSG_NS1_7vsmem_tEENKUlT_SE_SF_SG_E_clIS8_S8_S9_S9_EESD_ST_SE_SF_SG_EUlST_E0_NS1_11comp_targetILNS1_3genE8ELNS1_11target_archE1030ELNS1_3gpuE2ELNS1_3repE0EEENS1_38merge_mergepath_config_static_selectorELNS0_4arch9wavefront6targetE0EEEvSF_,comdat
	.protected	_ZN7rocprim17ROCPRIM_400000_NS6detail17trampoline_kernelINS0_14default_configENS1_38merge_sort_block_merge_config_selectorIdNS0_10empty_typeEEEZZNS1_27merge_sort_block_merge_implIS3_PdPS5_jNS1_19radix_merge_compareILb1ELb0EdNS0_19identity_decomposerEEEEE10hipError_tT0_T1_T2_jT3_P12ihipStream_tbPNSt15iterator_traitsISE_E10value_typeEPNSK_ISF_E10value_typeEPSG_NS1_7vsmem_tEENKUlT_SE_SF_SG_E_clIS8_S8_S9_S9_EESD_ST_SE_SF_SG_EUlST_E0_NS1_11comp_targetILNS1_3genE8ELNS1_11target_archE1030ELNS1_3gpuE2ELNS1_3repE0EEENS1_38merge_mergepath_config_static_selectorELNS0_4arch9wavefront6targetE0EEEvSF_ ; -- Begin function _ZN7rocprim17ROCPRIM_400000_NS6detail17trampoline_kernelINS0_14default_configENS1_38merge_sort_block_merge_config_selectorIdNS0_10empty_typeEEEZZNS1_27merge_sort_block_merge_implIS3_PdPS5_jNS1_19radix_merge_compareILb1ELb0EdNS0_19identity_decomposerEEEEE10hipError_tT0_T1_T2_jT3_P12ihipStream_tbPNSt15iterator_traitsISE_E10value_typeEPNSK_ISF_E10value_typeEPSG_NS1_7vsmem_tEENKUlT_SE_SF_SG_E_clIS8_S8_S9_S9_EESD_ST_SE_SF_SG_EUlST_E0_NS1_11comp_targetILNS1_3genE8ELNS1_11target_archE1030ELNS1_3gpuE2ELNS1_3repE0EEENS1_38merge_mergepath_config_static_selectorELNS0_4arch9wavefront6targetE0EEEvSF_
	.globl	_ZN7rocprim17ROCPRIM_400000_NS6detail17trampoline_kernelINS0_14default_configENS1_38merge_sort_block_merge_config_selectorIdNS0_10empty_typeEEEZZNS1_27merge_sort_block_merge_implIS3_PdPS5_jNS1_19radix_merge_compareILb1ELb0EdNS0_19identity_decomposerEEEEE10hipError_tT0_T1_T2_jT3_P12ihipStream_tbPNSt15iterator_traitsISE_E10value_typeEPNSK_ISF_E10value_typeEPSG_NS1_7vsmem_tEENKUlT_SE_SF_SG_E_clIS8_S8_S9_S9_EESD_ST_SE_SF_SG_EUlST_E0_NS1_11comp_targetILNS1_3genE8ELNS1_11target_archE1030ELNS1_3gpuE2ELNS1_3repE0EEENS1_38merge_mergepath_config_static_selectorELNS0_4arch9wavefront6targetE0EEEvSF_
	.p2align	8
	.type	_ZN7rocprim17ROCPRIM_400000_NS6detail17trampoline_kernelINS0_14default_configENS1_38merge_sort_block_merge_config_selectorIdNS0_10empty_typeEEEZZNS1_27merge_sort_block_merge_implIS3_PdPS5_jNS1_19radix_merge_compareILb1ELb0EdNS0_19identity_decomposerEEEEE10hipError_tT0_T1_T2_jT3_P12ihipStream_tbPNSt15iterator_traitsISE_E10value_typeEPNSK_ISF_E10value_typeEPSG_NS1_7vsmem_tEENKUlT_SE_SF_SG_E_clIS8_S8_S9_S9_EESD_ST_SE_SF_SG_EUlST_E0_NS1_11comp_targetILNS1_3genE8ELNS1_11target_archE1030ELNS1_3gpuE2ELNS1_3repE0EEENS1_38merge_mergepath_config_static_selectorELNS0_4arch9wavefront6targetE0EEEvSF_,@function
_ZN7rocprim17ROCPRIM_400000_NS6detail17trampoline_kernelINS0_14default_configENS1_38merge_sort_block_merge_config_selectorIdNS0_10empty_typeEEEZZNS1_27merge_sort_block_merge_implIS3_PdPS5_jNS1_19radix_merge_compareILb1ELb0EdNS0_19identity_decomposerEEEEE10hipError_tT0_T1_T2_jT3_P12ihipStream_tbPNSt15iterator_traitsISE_E10value_typeEPNSK_ISF_E10value_typeEPSG_NS1_7vsmem_tEENKUlT_SE_SF_SG_E_clIS8_S8_S9_S9_EESD_ST_SE_SF_SG_EUlST_E0_NS1_11comp_targetILNS1_3genE8ELNS1_11target_archE1030ELNS1_3gpuE2ELNS1_3repE0EEENS1_38merge_mergepath_config_static_selectorELNS0_4arch9wavefront6targetE0EEEvSF_: ; @_ZN7rocprim17ROCPRIM_400000_NS6detail17trampoline_kernelINS0_14default_configENS1_38merge_sort_block_merge_config_selectorIdNS0_10empty_typeEEEZZNS1_27merge_sort_block_merge_implIS3_PdPS5_jNS1_19radix_merge_compareILb1ELb0EdNS0_19identity_decomposerEEEEE10hipError_tT0_T1_T2_jT3_P12ihipStream_tbPNSt15iterator_traitsISE_E10value_typeEPNSK_ISF_E10value_typeEPSG_NS1_7vsmem_tEENKUlT_SE_SF_SG_E_clIS8_S8_S9_S9_EESD_ST_SE_SF_SG_EUlST_E0_NS1_11comp_targetILNS1_3genE8ELNS1_11target_archE1030ELNS1_3gpuE2ELNS1_3repE0EEENS1_38merge_mergepath_config_static_selectorELNS0_4arch9wavefront6targetE0EEEvSF_
; %bb.0:
	.section	.rodata,"a",@progbits
	.p2align	6, 0x0
	.amdhsa_kernel _ZN7rocprim17ROCPRIM_400000_NS6detail17trampoline_kernelINS0_14default_configENS1_38merge_sort_block_merge_config_selectorIdNS0_10empty_typeEEEZZNS1_27merge_sort_block_merge_implIS3_PdPS5_jNS1_19radix_merge_compareILb1ELb0EdNS0_19identity_decomposerEEEEE10hipError_tT0_T1_T2_jT3_P12ihipStream_tbPNSt15iterator_traitsISE_E10value_typeEPNSK_ISF_E10value_typeEPSG_NS1_7vsmem_tEENKUlT_SE_SF_SG_E_clIS8_S8_S9_S9_EESD_ST_SE_SF_SG_EUlST_E0_NS1_11comp_targetILNS1_3genE8ELNS1_11target_archE1030ELNS1_3gpuE2ELNS1_3repE0EEENS1_38merge_mergepath_config_static_selectorELNS0_4arch9wavefront6targetE0EEEvSF_
		.amdhsa_group_segment_fixed_size 0
		.amdhsa_private_segment_fixed_size 0
		.amdhsa_kernarg_size 64
		.amdhsa_user_sgpr_count 2
		.amdhsa_user_sgpr_dispatch_ptr 0
		.amdhsa_user_sgpr_queue_ptr 0
		.amdhsa_user_sgpr_kernarg_segment_ptr 1
		.amdhsa_user_sgpr_dispatch_id 0
		.amdhsa_user_sgpr_kernarg_preload_length 0
		.amdhsa_user_sgpr_kernarg_preload_offset 0
		.amdhsa_user_sgpr_private_segment_size 0
		.amdhsa_wavefront_size32 1
		.amdhsa_uses_dynamic_stack 0
		.amdhsa_enable_private_segment 0
		.amdhsa_system_sgpr_workgroup_id_x 1
		.amdhsa_system_sgpr_workgroup_id_y 0
		.amdhsa_system_sgpr_workgroup_id_z 0
		.amdhsa_system_sgpr_workgroup_info 0
		.amdhsa_system_vgpr_workitem_id 0
		.amdhsa_next_free_vgpr 1
		.amdhsa_next_free_sgpr 1
		.amdhsa_named_barrier_count 0
		.amdhsa_reserve_vcc 0
		.amdhsa_float_round_mode_32 0
		.amdhsa_float_round_mode_16_64 0
		.amdhsa_float_denorm_mode_32 3
		.amdhsa_float_denorm_mode_16_64 3
		.amdhsa_fp16_overflow 0
		.amdhsa_memory_ordered 1
		.amdhsa_forward_progress 1
		.amdhsa_inst_pref_size 0
		.amdhsa_round_robin_scheduling 0
		.amdhsa_exception_fp_ieee_invalid_op 0
		.amdhsa_exception_fp_denorm_src 0
		.amdhsa_exception_fp_ieee_div_zero 0
		.amdhsa_exception_fp_ieee_overflow 0
		.amdhsa_exception_fp_ieee_underflow 0
		.amdhsa_exception_fp_ieee_inexact 0
		.amdhsa_exception_int_div_zero 0
	.end_amdhsa_kernel
	.section	.text._ZN7rocprim17ROCPRIM_400000_NS6detail17trampoline_kernelINS0_14default_configENS1_38merge_sort_block_merge_config_selectorIdNS0_10empty_typeEEEZZNS1_27merge_sort_block_merge_implIS3_PdPS5_jNS1_19radix_merge_compareILb1ELb0EdNS0_19identity_decomposerEEEEE10hipError_tT0_T1_T2_jT3_P12ihipStream_tbPNSt15iterator_traitsISE_E10value_typeEPNSK_ISF_E10value_typeEPSG_NS1_7vsmem_tEENKUlT_SE_SF_SG_E_clIS8_S8_S9_S9_EESD_ST_SE_SF_SG_EUlST_E0_NS1_11comp_targetILNS1_3genE8ELNS1_11target_archE1030ELNS1_3gpuE2ELNS1_3repE0EEENS1_38merge_mergepath_config_static_selectorELNS0_4arch9wavefront6targetE0EEEvSF_,"axG",@progbits,_ZN7rocprim17ROCPRIM_400000_NS6detail17trampoline_kernelINS0_14default_configENS1_38merge_sort_block_merge_config_selectorIdNS0_10empty_typeEEEZZNS1_27merge_sort_block_merge_implIS3_PdPS5_jNS1_19radix_merge_compareILb1ELb0EdNS0_19identity_decomposerEEEEE10hipError_tT0_T1_T2_jT3_P12ihipStream_tbPNSt15iterator_traitsISE_E10value_typeEPNSK_ISF_E10value_typeEPSG_NS1_7vsmem_tEENKUlT_SE_SF_SG_E_clIS8_S8_S9_S9_EESD_ST_SE_SF_SG_EUlST_E0_NS1_11comp_targetILNS1_3genE8ELNS1_11target_archE1030ELNS1_3gpuE2ELNS1_3repE0EEENS1_38merge_mergepath_config_static_selectorELNS0_4arch9wavefront6targetE0EEEvSF_,comdat
.Lfunc_end1475:
	.size	_ZN7rocprim17ROCPRIM_400000_NS6detail17trampoline_kernelINS0_14default_configENS1_38merge_sort_block_merge_config_selectorIdNS0_10empty_typeEEEZZNS1_27merge_sort_block_merge_implIS3_PdPS5_jNS1_19radix_merge_compareILb1ELb0EdNS0_19identity_decomposerEEEEE10hipError_tT0_T1_T2_jT3_P12ihipStream_tbPNSt15iterator_traitsISE_E10value_typeEPNSK_ISF_E10value_typeEPSG_NS1_7vsmem_tEENKUlT_SE_SF_SG_E_clIS8_S8_S9_S9_EESD_ST_SE_SF_SG_EUlST_E0_NS1_11comp_targetILNS1_3genE8ELNS1_11target_archE1030ELNS1_3gpuE2ELNS1_3repE0EEENS1_38merge_mergepath_config_static_selectorELNS0_4arch9wavefront6targetE0EEEvSF_, .Lfunc_end1475-_ZN7rocprim17ROCPRIM_400000_NS6detail17trampoline_kernelINS0_14default_configENS1_38merge_sort_block_merge_config_selectorIdNS0_10empty_typeEEEZZNS1_27merge_sort_block_merge_implIS3_PdPS5_jNS1_19radix_merge_compareILb1ELb0EdNS0_19identity_decomposerEEEEE10hipError_tT0_T1_T2_jT3_P12ihipStream_tbPNSt15iterator_traitsISE_E10value_typeEPNSK_ISF_E10value_typeEPSG_NS1_7vsmem_tEENKUlT_SE_SF_SG_E_clIS8_S8_S9_S9_EESD_ST_SE_SF_SG_EUlST_E0_NS1_11comp_targetILNS1_3genE8ELNS1_11target_archE1030ELNS1_3gpuE2ELNS1_3repE0EEENS1_38merge_mergepath_config_static_selectorELNS0_4arch9wavefront6targetE0EEEvSF_
                                        ; -- End function
	.set _ZN7rocprim17ROCPRIM_400000_NS6detail17trampoline_kernelINS0_14default_configENS1_38merge_sort_block_merge_config_selectorIdNS0_10empty_typeEEEZZNS1_27merge_sort_block_merge_implIS3_PdPS5_jNS1_19radix_merge_compareILb1ELb0EdNS0_19identity_decomposerEEEEE10hipError_tT0_T1_T2_jT3_P12ihipStream_tbPNSt15iterator_traitsISE_E10value_typeEPNSK_ISF_E10value_typeEPSG_NS1_7vsmem_tEENKUlT_SE_SF_SG_E_clIS8_S8_S9_S9_EESD_ST_SE_SF_SG_EUlST_E0_NS1_11comp_targetILNS1_3genE8ELNS1_11target_archE1030ELNS1_3gpuE2ELNS1_3repE0EEENS1_38merge_mergepath_config_static_selectorELNS0_4arch9wavefront6targetE0EEEvSF_.num_vgpr, 0
	.set _ZN7rocprim17ROCPRIM_400000_NS6detail17trampoline_kernelINS0_14default_configENS1_38merge_sort_block_merge_config_selectorIdNS0_10empty_typeEEEZZNS1_27merge_sort_block_merge_implIS3_PdPS5_jNS1_19radix_merge_compareILb1ELb0EdNS0_19identity_decomposerEEEEE10hipError_tT0_T1_T2_jT3_P12ihipStream_tbPNSt15iterator_traitsISE_E10value_typeEPNSK_ISF_E10value_typeEPSG_NS1_7vsmem_tEENKUlT_SE_SF_SG_E_clIS8_S8_S9_S9_EESD_ST_SE_SF_SG_EUlST_E0_NS1_11comp_targetILNS1_3genE8ELNS1_11target_archE1030ELNS1_3gpuE2ELNS1_3repE0EEENS1_38merge_mergepath_config_static_selectorELNS0_4arch9wavefront6targetE0EEEvSF_.num_agpr, 0
	.set _ZN7rocprim17ROCPRIM_400000_NS6detail17trampoline_kernelINS0_14default_configENS1_38merge_sort_block_merge_config_selectorIdNS0_10empty_typeEEEZZNS1_27merge_sort_block_merge_implIS3_PdPS5_jNS1_19radix_merge_compareILb1ELb0EdNS0_19identity_decomposerEEEEE10hipError_tT0_T1_T2_jT3_P12ihipStream_tbPNSt15iterator_traitsISE_E10value_typeEPNSK_ISF_E10value_typeEPSG_NS1_7vsmem_tEENKUlT_SE_SF_SG_E_clIS8_S8_S9_S9_EESD_ST_SE_SF_SG_EUlST_E0_NS1_11comp_targetILNS1_3genE8ELNS1_11target_archE1030ELNS1_3gpuE2ELNS1_3repE0EEENS1_38merge_mergepath_config_static_selectorELNS0_4arch9wavefront6targetE0EEEvSF_.numbered_sgpr, 0
	.set _ZN7rocprim17ROCPRIM_400000_NS6detail17trampoline_kernelINS0_14default_configENS1_38merge_sort_block_merge_config_selectorIdNS0_10empty_typeEEEZZNS1_27merge_sort_block_merge_implIS3_PdPS5_jNS1_19radix_merge_compareILb1ELb0EdNS0_19identity_decomposerEEEEE10hipError_tT0_T1_T2_jT3_P12ihipStream_tbPNSt15iterator_traitsISE_E10value_typeEPNSK_ISF_E10value_typeEPSG_NS1_7vsmem_tEENKUlT_SE_SF_SG_E_clIS8_S8_S9_S9_EESD_ST_SE_SF_SG_EUlST_E0_NS1_11comp_targetILNS1_3genE8ELNS1_11target_archE1030ELNS1_3gpuE2ELNS1_3repE0EEENS1_38merge_mergepath_config_static_selectorELNS0_4arch9wavefront6targetE0EEEvSF_.num_named_barrier, 0
	.set _ZN7rocprim17ROCPRIM_400000_NS6detail17trampoline_kernelINS0_14default_configENS1_38merge_sort_block_merge_config_selectorIdNS0_10empty_typeEEEZZNS1_27merge_sort_block_merge_implIS3_PdPS5_jNS1_19radix_merge_compareILb1ELb0EdNS0_19identity_decomposerEEEEE10hipError_tT0_T1_T2_jT3_P12ihipStream_tbPNSt15iterator_traitsISE_E10value_typeEPNSK_ISF_E10value_typeEPSG_NS1_7vsmem_tEENKUlT_SE_SF_SG_E_clIS8_S8_S9_S9_EESD_ST_SE_SF_SG_EUlST_E0_NS1_11comp_targetILNS1_3genE8ELNS1_11target_archE1030ELNS1_3gpuE2ELNS1_3repE0EEENS1_38merge_mergepath_config_static_selectorELNS0_4arch9wavefront6targetE0EEEvSF_.private_seg_size, 0
	.set _ZN7rocprim17ROCPRIM_400000_NS6detail17trampoline_kernelINS0_14default_configENS1_38merge_sort_block_merge_config_selectorIdNS0_10empty_typeEEEZZNS1_27merge_sort_block_merge_implIS3_PdPS5_jNS1_19radix_merge_compareILb1ELb0EdNS0_19identity_decomposerEEEEE10hipError_tT0_T1_T2_jT3_P12ihipStream_tbPNSt15iterator_traitsISE_E10value_typeEPNSK_ISF_E10value_typeEPSG_NS1_7vsmem_tEENKUlT_SE_SF_SG_E_clIS8_S8_S9_S9_EESD_ST_SE_SF_SG_EUlST_E0_NS1_11comp_targetILNS1_3genE8ELNS1_11target_archE1030ELNS1_3gpuE2ELNS1_3repE0EEENS1_38merge_mergepath_config_static_selectorELNS0_4arch9wavefront6targetE0EEEvSF_.uses_vcc, 0
	.set _ZN7rocprim17ROCPRIM_400000_NS6detail17trampoline_kernelINS0_14default_configENS1_38merge_sort_block_merge_config_selectorIdNS0_10empty_typeEEEZZNS1_27merge_sort_block_merge_implIS3_PdPS5_jNS1_19radix_merge_compareILb1ELb0EdNS0_19identity_decomposerEEEEE10hipError_tT0_T1_T2_jT3_P12ihipStream_tbPNSt15iterator_traitsISE_E10value_typeEPNSK_ISF_E10value_typeEPSG_NS1_7vsmem_tEENKUlT_SE_SF_SG_E_clIS8_S8_S9_S9_EESD_ST_SE_SF_SG_EUlST_E0_NS1_11comp_targetILNS1_3genE8ELNS1_11target_archE1030ELNS1_3gpuE2ELNS1_3repE0EEENS1_38merge_mergepath_config_static_selectorELNS0_4arch9wavefront6targetE0EEEvSF_.uses_flat_scratch, 0
	.set _ZN7rocprim17ROCPRIM_400000_NS6detail17trampoline_kernelINS0_14default_configENS1_38merge_sort_block_merge_config_selectorIdNS0_10empty_typeEEEZZNS1_27merge_sort_block_merge_implIS3_PdPS5_jNS1_19radix_merge_compareILb1ELb0EdNS0_19identity_decomposerEEEEE10hipError_tT0_T1_T2_jT3_P12ihipStream_tbPNSt15iterator_traitsISE_E10value_typeEPNSK_ISF_E10value_typeEPSG_NS1_7vsmem_tEENKUlT_SE_SF_SG_E_clIS8_S8_S9_S9_EESD_ST_SE_SF_SG_EUlST_E0_NS1_11comp_targetILNS1_3genE8ELNS1_11target_archE1030ELNS1_3gpuE2ELNS1_3repE0EEENS1_38merge_mergepath_config_static_selectorELNS0_4arch9wavefront6targetE0EEEvSF_.has_dyn_sized_stack, 0
	.set _ZN7rocprim17ROCPRIM_400000_NS6detail17trampoline_kernelINS0_14default_configENS1_38merge_sort_block_merge_config_selectorIdNS0_10empty_typeEEEZZNS1_27merge_sort_block_merge_implIS3_PdPS5_jNS1_19radix_merge_compareILb1ELb0EdNS0_19identity_decomposerEEEEE10hipError_tT0_T1_T2_jT3_P12ihipStream_tbPNSt15iterator_traitsISE_E10value_typeEPNSK_ISF_E10value_typeEPSG_NS1_7vsmem_tEENKUlT_SE_SF_SG_E_clIS8_S8_S9_S9_EESD_ST_SE_SF_SG_EUlST_E0_NS1_11comp_targetILNS1_3genE8ELNS1_11target_archE1030ELNS1_3gpuE2ELNS1_3repE0EEENS1_38merge_mergepath_config_static_selectorELNS0_4arch9wavefront6targetE0EEEvSF_.has_recursion, 0
	.set _ZN7rocprim17ROCPRIM_400000_NS6detail17trampoline_kernelINS0_14default_configENS1_38merge_sort_block_merge_config_selectorIdNS0_10empty_typeEEEZZNS1_27merge_sort_block_merge_implIS3_PdPS5_jNS1_19radix_merge_compareILb1ELb0EdNS0_19identity_decomposerEEEEE10hipError_tT0_T1_T2_jT3_P12ihipStream_tbPNSt15iterator_traitsISE_E10value_typeEPNSK_ISF_E10value_typeEPSG_NS1_7vsmem_tEENKUlT_SE_SF_SG_E_clIS8_S8_S9_S9_EESD_ST_SE_SF_SG_EUlST_E0_NS1_11comp_targetILNS1_3genE8ELNS1_11target_archE1030ELNS1_3gpuE2ELNS1_3repE0EEENS1_38merge_mergepath_config_static_selectorELNS0_4arch9wavefront6targetE0EEEvSF_.has_indirect_call, 0
	.section	.AMDGPU.csdata,"",@progbits
; Kernel info:
; codeLenInByte = 0
; TotalNumSgprs: 0
; NumVgprs: 0
; ScratchSize: 0
; MemoryBound: 0
; FloatMode: 240
; IeeeMode: 1
; LDSByteSize: 0 bytes/workgroup (compile time only)
; SGPRBlocks: 0
; VGPRBlocks: 0
; NumSGPRsForWavesPerEU: 1
; NumVGPRsForWavesPerEU: 1
; NamedBarCnt: 0
; Occupancy: 16
; WaveLimiterHint : 0
; COMPUTE_PGM_RSRC2:SCRATCH_EN: 0
; COMPUTE_PGM_RSRC2:USER_SGPR: 2
; COMPUTE_PGM_RSRC2:TRAP_HANDLER: 0
; COMPUTE_PGM_RSRC2:TGID_X_EN: 1
; COMPUTE_PGM_RSRC2:TGID_Y_EN: 0
; COMPUTE_PGM_RSRC2:TGID_Z_EN: 0
; COMPUTE_PGM_RSRC2:TIDIG_COMP_CNT: 0
	.section	.text._ZN7rocprim17ROCPRIM_400000_NS6detail17trampoline_kernelINS0_14default_configENS1_38merge_sort_block_merge_config_selectorIdNS0_10empty_typeEEEZZNS1_27merge_sort_block_merge_implIS3_PdPS5_jNS1_19radix_merge_compareILb1ELb0EdNS0_19identity_decomposerEEEEE10hipError_tT0_T1_T2_jT3_P12ihipStream_tbPNSt15iterator_traitsISE_E10value_typeEPNSK_ISF_E10value_typeEPSG_NS1_7vsmem_tEENKUlT_SE_SF_SG_E_clIS8_S8_S9_S9_EESD_ST_SE_SF_SG_EUlST_E1_NS1_11comp_targetILNS1_3genE0ELNS1_11target_archE4294967295ELNS1_3gpuE0ELNS1_3repE0EEENS1_36merge_oddeven_config_static_selectorELNS0_4arch9wavefront6targetE0EEEvSF_,"axG",@progbits,_ZN7rocprim17ROCPRIM_400000_NS6detail17trampoline_kernelINS0_14default_configENS1_38merge_sort_block_merge_config_selectorIdNS0_10empty_typeEEEZZNS1_27merge_sort_block_merge_implIS3_PdPS5_jNS1_19radix_merge_compareILb1ELb0EdNS0_19identity_decomposerEEEEE10hipError_tT0_T1_T2_jT3_P12ihipStream_tbPNSt15iterator_traitsISE_E10value_typeEPNSK_ISF_E10value_typeEPSG_NS1_7vsmem_tEENKUlT_SE_SF_SG_E_clIS8_S8_S9_S9_EESD_ST_SE_SF_SG_EUlST_E1_NS1_11comp_targetILNS1_3genE0ELNS1_11target_archE4294967295ELNS1_3gpuE0ELNS1_3repE0EEENS1_36merge_oddeven_config_static_selectorELNS0_4arch9wavefront6targetE0EEEvSF_,comdat
	.protected	_ZN7rocprim17ROCPRIM_400000_NS6detail17trampoline_kernelINS0_14default_configENS1_38merge_sort_block_merge_config_selectorIdNS0_10empty_typeEEEZZNS1_27merge_sort_block_merge_implIS3_PdPS5_jNS1_19radix_merge_compareILb1ELb0EdNS0_19identity_decomposerEEEEE10hipError_tT0_T1_T2_jT3_P12ihipStream_tbPNSt15iterator_traitsISE_E10value_typeEPNSK_ISF_E10value_typeEPSG_NS1_7vsmem_tEENKUlT_SE_SF_SG_E_clIS8_S8_S9_S9_EESD_ST_SE_SF_SG_EUlST_E1_NS1_11comp_targetILNS1_3genE0ELNS1_11target_archE4294967295ELNS1_3gpuE0ELNS1_3repE0EEENS1_36merge_oddeven_config_static_selectorELNS0_4arch9wavefront6targetE0EEEvSF_ ; -- Begin function _ZN7rocprim17ROCPRIM_400000_NS6detail17trampoline_kernelINS0_14default_configENS1_38merge_sort_block_merge_config_selectorIdNS0_10empty_typeEEEZZNS1_27merge_sort_block_merge_implIS3_PdPS5_jNS1_19radix_merge_compareILb1ELb0EdNS0_19identity_decomposerEEEEE10hipError_tT0_T1_T2_jT3_P12ihipStream_tbPNSt15iterator_traitsISE_E10value_typeEPNSK_ISF_E10value_typeEPSG_NS1_7vsmem_tEENKUlT_SE_SF_SG_E_clIS8_S8_S9_S9_EESD_ST_SE_SF_SG_EUlST_E1_NS1_11comp_targetILNS1_3genE0ELNS1_11target_archE4294967295ELNS1_3gpuE0ELNS1_3repE0EEENS1_36merge_oddeven_config_static_selectorELNS0_4arch9wavefront6targetE0EEEvSF_
	.globl	_ZN7rocprim17ROCPRIM_400000_NS6detail17trampoline_kernelINS0_14default_configENS1_38merge_sort_block_merge_config_selectorIdNS0_10empty_typeEEEZZNS1_27merge_sort_block_merge_implIS3_PdPS5_jNS1_19radix_merge_compareILb1ELb0EdNS0_19identity_decomposerEEEEE10hipError_tT0_T1_T2_jT3_P12ihipStream_tbPNSt15iterator_traitsISE_E10value_typeEPNSK_ISF_E10value_typeEPSG_NS1_7vsmem_tEENKUlT_SE_SF_SG_E_clIS8_S8_S9_S9_EESD_ST_SE_SF_SG_EUlST_E1_NS1_11comp_targetILNS1_3genE0ELNS1_11target_archE4294967295ELNS1_3gpuE0ELNS1_3repE0EEENS1_36merge_oddeven_config_static_selectorELNS0_4arch9wavefront6targetE0EEEvSF_
	.p2align	8
	.type	_ZN7rocprim17ROCPRIM_400000_NS6detail17trampoline_kernelINS0_14default_configENS1_38merge_sort_block_merge_config_selectorIdNS0_10empty_typeEEEZZNS1_27merge_sort_block_merge_implIS3_PdPS5_jNS1_19radix_merge_compareILb1ELb0EdNS0_19identity_decomposerEEEEE10hipError_tT0_T1_T2_jT3_P12ihipStream_tbPNSt15iterator_traitsISE_E10value_typeEPNSK_ISF_E10value_typeEPSG_NS1_7vsmem_tEENKUlT_SE_SF_SG_E_clIS8_S8_S9_S9_EESD_ST_SE_SF_SG_EUlST_E1_NS1_11comp_targetILNS1_3genE0ELNS1_11target_archE4294967295ELNS1_3gpuE0ELNS1_3repE0EEENS1_36merge_oddeven_config_static_selectorELNS0_4arch9wavefront6targetE0EEEvSF_,@function
_ZN7rocprim17ROCPRIM_400000_NS6detail17trampoline_kernelINS0_14default_configENS1_38merge_sort_block_merge_config_selectorIdNS0_10empty_typeEEEZZNS1_27merge_sort_block_merge_implIS3_PdPS5_jNS1_19radix_merge_compareILb1ELb0EdNS0_19identity_decomposerEEEEE10hipError_tT0_T1_T2_jT3_P12ihipStream_tbPNSt15iterator_traitsISE_E10value_typeEPNSK_ISF_E10value_typeEPSG_NS1_7vsmem_tEENKUlT_SE_SF_SG_E_clIS8_S8_S9_S9_EESD_ST_SE_SF_SG_EUlST_E1_NS1_11comp_targetILNS1_3genE0ELNS1_11target_archE4294967295ELNS1_3gpuE0ELNS1_3repE0EEENS1_36merge_oddeven_config_static_selectorELNS0_4arch9wavefront6targetE0EEEvSF_: ; @_ZN7rocprim17ROCPRIM_400000_NS6detail17trampoline_kernelINS0_14default_configENS1_38merge_sort_block_merge_config_selectorIdNS0_10empty_typeEEEZZNS1_27merge_sort_block_merge_implIS3_PdPS5_jNS1_19radix_merge_compareILb1ELb0EdNS0_19identity_decomposerEEEEE10hipError_tT0_T1_T2_jT3_P12ihipStream_tbPNSt15iterator_traitsISE_E10value_typeEPNSK_ISF_E10value_typeEPSG_NS1_7vsmem_tEENKUlT_SE_SF_SG_E_clIS8_S8_S9_S9_EESD_ST_SE_SF_SG_EUlST_E1_NS1_11comp_targetILNS1_3genE0ELNS1_11target_archE4294967295ELNS1_3gpuE0ELNS1_3repE0EEENS1_36merge_oddeven_config_static_selectorELNS0_4arch9wavefront6targetE0EEEvSF_
; %bb.0:
	s_load_b32 s10, s[0:1], 0x20
	s_bfe_u32 s2, ttmp6, 0x4000c
	s_and_b32 s3, ttmp6, 15
	s_add_co_i32 s2, s2, 1
	s_getreg_b32 s4, hwreg(HW_REG_IB_STS2, 6, 4)
	s_mul_i32 s2, ttmp9, s2
	s_mov_b32 s9, 0
	s_add_co_i32 s3, s3, s2
	s_cmp_eq_u32 s4, 0
	s_cselect_b32 s13, ttmp9, s3
	s_wait_kmcnt 0x0
	s_lshr_b32 s2, s10, 8
	s_delay_alu instid0(SALU_CYCLE_1) | instskip(SKIP_4) | instid1(SALU_CYCLE_1)
	s_cmp_lg_u32 s13, s2
	s_cselect_b32 s3, -1, 0
	s_cmp_eq_u32 s13, s2
	s_cselect_b32 s11, -1, 0
	s_lshl_b32 s8, s13, 8
	s_sub_co_i32 s2, s10, s8
	s_delay_alu instid0(SALU_CYCLE_1) | instskip(SKIP_1) | instid1(SALU_CYCLE_1)
	v_cmp_gt_u32_e64 s2, s2, v0
	s_or_b32 s4, s3, s2
	s_and_saveexec_b32 s5, s4
	s_cbranch_execz .LBB1476_20
; %bb.1:
	s_clause 0x1
	s_load_b128 s[4:7], s[0:1], 0x0
	s_load_b32 s12, s[0:1], 0x24
	s_lshl_b64 s[14:15], s[8:9], 3
	v_add_nc_u32_e32 v5, s8, v0
	s_wait_kmcnt 0x0
	s_add_nc_u64 s[0:1], s[4:5], s[14:15]
	global_load_b64 v[2:3], v0, s[0:1] scale_offset
	s_wait_xcnt 0x0
	s_lshr_b32 s0, s12, 8
	s_delay_alu instid0(SALU_CYCLE_1) | instskip(NEXT) | instid1(SALU_CYCLE_1)
	s_sub_co_i32 s1, 0, s0
	s_and_b32 s1, s13, s1
	s_delay_alu instid0(SALU_CYCLE_1) | instskip(SKIP_4) | instid1(SALU_CYCLE_1)
	s_and_b32 s0, s1, s0
	s_lshl_b32 s13, s1, 8
	s_sub_co_i32 s1, 0, s12
	s_cmp_eq_u32 s0, 0
	s_cselect_b32 s0, -1, 0
	s_and_b32 s14, s0, exec_lo
	s_cselect_b32 s1, s12, s1
	s_delay_alu instid0(SALU_CYCLE_1) | instskip(NEXT) | instid1(SALU_CYCLE_1)
	s_add_co_i32 s1, s1, s13
	s_cmp_gt_u32 s10, s1
	s_cbranch_scc1 .LBB1476_3
; %bb.2:
	v_cmp_gt_u32_e32 vcc_lo, s10, v5
	s_or_b32 s8, vcc_lo, s3
	s_delay_alu instid0(SALU_CYCLE_1)
	s_and_b32 s9, s8, exec_lo
	s_cbranch_execz .LBB1476_4
	s_branch .LBB1476_18
.LBB1476_3:
.LBB1476_4:
	s_min_u32 s3, s1, s10
	s_and_b32 vcc_lo, exec_lo, s11
	s_add_co_i32 s8, s13, s3
	s_add_co_i32 s12, s3, s12
	v_subrev_nc_u32_e32 v4, s8, v5
	s_min_u32 s8, s13, s3
	s_wait_loadcnt 0x0
	s_delay_alu instid0(VALU_DEP_1) | instskip(SKIP_1) | instid1(VALU_DEP_1)
	v_dual_add_f64 v[0:1], 0, v[2:3] :: v_dual_add_nc_u32 v4, s8, v4
	s_min_u32 s8, s12, s10
	v_ashrrev_i32_e32 v6, 31, v1
	s_delay_alu instid0(VALU_DEP_1) | instskip(NEXT) | instid1(VALU_DEP_1)
	v_or_b32_e32 v5, 0x80000000, v6
	v_xor_b32_e32 v1, v5, v1
	s_delay_alu instid0(VALU_DEP_4)
	v_xor_b32_e32 v0, v6, v0
	s_cbranch_vccz .LBB1476_12
; %bb.5:
                                        ; implicit-def: $vgpr5
	s_and_saveexec_b32 s10, s2
	s_cbranch_execz .LBB1476_11
; %bb.6:
	v_mov_b32_e32 v5, s3
	s_cmp_ge_u32 s1, s8
	s_cbranch_scc1 .LBB1476_10
; %bb.7:
	v_dual_mov_b32 v6, s8 :: v_dual_mov_b32 v5, s3
	s_mov_b32 s2, 0
.LBB1476_8:                             ; =>This Inner Loop Header: Depth=1
	s_delay_alu instid0(VALU_DEP_1) | instskip(NEXT) | instid1(VALU_DEP_1)
	v_add_nc_u32_e32 v7, v5, v6
	v_lshrrev_b32_e32 v7, 1, v7
	global_load_b64 v[8:9], v7, s[4:5] scale_offset
	s_wait_loadcnt 0x0
	v_add_f64_e32 v[8:9], 0, v[8:9]
	s_delay_alu instid0(VALU_DEP_1) | instskip(NEXT) | instid1(VALU_DEP_1)
	v_ashrrev_i32_e32 v10, 31, v9
	v_or_b32_e32 v11, 0x80000000, v10
	s_delay_alu instid0(VALU_DEP_3) | instskip(NEXT) | instid1(VALU_DEP_2)
	v_xor_b32_e32 v8, v10, v8
	v_xor_b32_e32 v9, v11, v9
	s_delay_alu instid0(VALU_DEP_1) | instskip(SKIP_4) | instid1(VALU_DEP_1)
	v_cmp_gt_u64_e32 vcc_lo, v[8:9], v[0:1]
	v_cndmask_b32_e64 v10, 0, 1, vcc_lo
	v_cmp_le_u64_e32 vcc_lo, v[0:1], v[8:9]
	v_add_nc_u32_e32 v9, 1, v7
	v_cndmask_b32_e64 v8, 0, 1, vcc_lo
	v_cndmask_b32_e64 v8, v8, v10, s0
	s_delay_alu instid0(VALU_DEP_1) | instskip(NEXT) | instid1(VALU_DEP_1)
	v_and_b32_e32 v8, 1, v8
	v_cmp_eq_u32_e32 vcc_lo, 1, v8
	v_dual_cndmask_b32 v6, v7, v6 :: v_dual_cndmask_b32 v5, v5, v9
	s_delay_alu instid0(VALU_DEP_1) | instskip(SKIP_1) | instid1(SALU_CYCLE_1)
	v_cmp_ge_u32_e32 vcc_lo, v5, v6
	s_or_b32 s2, vcc_lo, s2
	s_and_not1_b32 exec_lo, exec_lo, s2
	s_cbranch_execnz .LBB1476_8
; %bb.9:
	s_or_b32 exec_lo, exec_lo, s2
.LBB1476_10:
	s_delay_alu instid0(VALU_DEP_1)
	v_add_nc_u32_e32 v5, v5, v4
	s_or_b32 s9, s9, exec_lo
.LBB1476_11:
	s_or_b32 exec_lo, exec_lo, s10
	s_branch .LBB1476_18
.LBB1476_12:
                                        ; implicit-def: $vgpr5
	s_cbranch_execz .LBB1476_18
; %bb.13:
	v_mov_b32_e32 v5, s3
	s_cmp_ge_u32 s1, s8
	s_cbranch_scc1 .LBB1476_17
; %bb.14:
	v_dual_mov_b32 v6, s8 :: v_dual_mov_b32 v5, s3
	s_mov_b32 s1, 0
.LBB1476_15:                            ; =>This Inner Loop Header: Depth=1
	s_delay_alu instid0(VALU_DEP_1) | instskip(NEXT) | instid1(VALU_DEP_1)
	v_add_nc_u32_e32 v7, v5, v6
	v_lshrrev_b32_e32 v7, 1, v7
	global_load_b64 v[8:9], v7, s[4:5] scale_offset
	s_wait_loadcnt 0x0
	v_add_f64_e32 v[8:9], 0, v[8:9]
	s_delay_alu instid0(VALU_DEP_1) | instskip(NEXT) | instid1(VALU_DEP_1)
	v_ashrrev_i32_e32 v10, 31, v9
	v_or_b32_e32 v11, 0x80000000, v10
	s_delay_alu instid0(VALU_DEP_3) | instskip(NEXT) | instid1(VALU_DEP_2)
	v_xor_b32_e32 v8, v10, v8
	v_xor_b32_e32 v9, v11, v9
	s_delay_alu instid0(VALU_DEP_1) | instskip(SKIP_4) | instid1(VALU_DEP_1)
	v_cmp_gt_u64_e32 vcc_lo, v[8:9], v[0:1]
	v_cndmask_b32_e64 v10, 0, 1, vcc_lo
	v_cmp_le_u64_e32 vcc_lo, v[0:1], v[8:9]
	v_add_nc_u32_e32 v9, 1, v7
	v_cndmask_b32_e64 v8, 0, 1, vcc_lo
	v_cndmask_b32_e64 v8, v8, v10, s0
	s_delay_alu instid0(VALU_DEP_1) | instskip(NEXT) | instid1(VALU_DEP_1)
	v_and_b32_e32 v8, 1, v8
	v_cmp_eq_u32_e32 vcc_lo, 1, v8
	v_dual_cndmask_b32 v6, v7, v6 :: v_dual_cndmask_b32 v5, v5, v9
	s_delay_alu instid0(VALU_DEP_1) | instskip(SKIP_1) | instid1(SALU_CYCLE_1)
	v_cmp_ge_u32_e32 vcc_lo, v5, v6
	s_or_b32 s1, vcc_lo, s1
	s_and_not1_b32 exec_lo, exec_lo, s1
	s_cbranch_execnz .LBB1476_15
; %bb.16:
	s_or_b32 exec_lo, exec_lo, s1
.LBB1476_17:
	s_delay_alu instid0(VALU_DEP_1)
	v_add_nc_u32_e32 v5, v5, v4
	s_mov_b32 s9, -1
.LBB1476_18:
	s_delay_alu instid0(SALU_CYCLE_1)
	s_and_b32 exec_lo, exec_lo, s9
	s_cbranch_execz .LBB1476_20
; %bb.19:
	s_wait_loadcnt 0x0
	global_store_b64 v5, v[2:3], s[6:7] scale_offset
.LBB1476_20:
	s_endpgm
	.section	.rodata,"a",@progbits
	.p2align	6, 0x0
	.amdhsa_kernel _ZN7rocprim17ROCPRIM_400000_NS6detail17trampoline_kernelINS0_14default_configENS1_38merge_sort_block_merge_config_selectorIdNS0_10empty_typeEEEZZNS1_27merge_sort_block_merge_implIS3_PdPS5_jNS1_19radix_merge_compareILb1ELb0EdNS0_19identity_decomposerEEEEE10hipError_tT0_T1_T2_jT3_P12ihipStream_tbPNSt15iterator_traitsISE_E10value_typeEPNSK_ISF_E10value_typeEPSG_NS1_7vsmem_tEENKUlT_SE_SF_SG_E_clIS8_S8_S9_S9_EESD_ST_SE_SF_SG_EUlST_E1_NS1_11comp_targetILNS1_3genE0ELNS1_11target_archE4294967295ELNS1_3gpuE0ELNS1_3repE0EEENS1_36merge_oddeven_config_static_selectorELNS0_4arch9wavefront6targetE0EEEvSF_
		.amdhsa_group_segment_fixed_size 0
		.amdhsa_private_segment_fixed_size 0
		.amdhsa_kernarg_size 48
		.amdhsa_user_sgpr_count 2
		.amdhsa_user_sgpr_dispatch_ptr 0
		.amdhsa_user_sgpr_queue_ptr 0
		.amdhsa_user_sgpr_kernarg_segment_ptr 1
		.amdhsa_user_sgpr_dispatch_id 0
		.amdhsa_user_sgpr_kernarg_preload_length 0
		.amdhsa_user_sgpr_kernarg_preload_offset 0
		.amdhsa_user_sgpr_private_segment_size 0
		.amdhsa_wavefront_size32 1
		.amdhsa_uses_dynamic_stack 0
		.amdhsa_enable_private_segment 0
		.amdhsa_system_sgpr_workgroup_id_x 1
		.amdhsa_system_sgpr_workgroup_id_y 0
		.amdhsa_system_sgpr_workgroup_id_z 0
		.amdhsa_system_sgpr_workgroup_info 0
		.amdhsa_system_vgpr_workitem_id 0
		.amdhsa_next_free_vgpr 12
		.amdhsa_next_free_sgpr 16
		.amdhsa_named_barrier_count 0
		.amdhsa_reserve_vcc 1
		.amdhsa_float_round_mode_32 0
		.amdhsa_float_round_mode_16_64 0
		.amdhsa_float_denorm_mode_32 3
		.amdhsa_float_denorm_mode_16_64 3
		.amdhsa_fp16_overflow 0
		.amdhsa_memory_ordered 1
		.amdhsa_forward_progress 1
		.amdhsa_inst_pref_size 6
		.amdhsa_round_robin_scheduling 0
		.amdhsa_exception_fp_ieee_invalid_op 0
		.amdhsa_exception_fp_denorm_src 0
		.amdhsa_exception_fp_ieee_div_zero 0
		.amdhsa_exception_fp_ieee_overflow 0
		.amdhsa_exception_fp_ieee_underflow 0
		.amdhsa_exception_fp_ieee_inexact 0
		.amdhsa_exception_int_div_zero 0
	.end_amdhsa_kernel
	.section	.text._ZN7rocprim17ROCPRIM_400000_NS6detail17trampoline_kernelINS0_14default_configENS1_38merge_sort_block_merge_config_selectorIdNS0_10empty_typeEEEZZNS1_27merge_sort_block_merge_implIS3_PdPS5_jNS1_19radix_merge_compareILb1ELb0EdNS0_19identity_decomposerEEEEE10hipError_tT0_T1_T2_jT3_P12ihipStream_tbPNSt15iterator_traitsISE_E10value_typeEPNSK_ISF_E10value_typeEPSG_NS1_7vsmem_tEENKUlT_SE_SF_SG_E_clIS8_S8_S9_S9_EESD_ST_SE_SF_SG_EUlST_E1_NS1_11comp_targetILNS1_3genE0ELNS1_11target_archE4294967295ELNS1_3gpuE0ELNS1_3repE0EEENS1_36merge_oddeven_config_static_selectorELNS0_4arch9wavefront6targetE0EEEvSF_,"axG",@progbits,_ZN7rocprim17ROCPRIM_400000_NS6detail17trampoline_kernelINS0_14default_configENS1_38merge_sort_block_merge_config_selectorIdNS0_10empty_typeEEEZZNS1_27merge_sort_block_merge_implIS3_PdPS5_jNS1_19radix_merge_compareILb1ELb0EdNS0_19identity_decomposerEEEEE10hipError_tT0_T1_T2_jT3_P12ihipStream_tbPNSt15iterator_traitsISE_E10value_typeEPNSK_ISF_E10value_typeEPSG_NS1_7vsmem_tEENKUlT_SE_SF_SG_E_clIS8_S8_S9_S9_EESD_ST_SE_SF_SG_EUlST_E1_NS1_11comp_targetILNS1_3genE0ELNS1_11target_archE4294967295ELNS1_3gpuE0ELNS1_3repE0EEENS1_36merge_oddeven_config_static_selectorELNS0_4arch9wavefront6targetE0EEEvSF_,comdat
.Lfunc_end1476:
	.size	_ZN7rocprim17ROCPRIM_400000_NS6detail17trampoline_kernelINS0_14default_configENS1_38merge_sort_block_merge_config_selectorIdNS0_10empty_typeEEEZZNS1_27merge_sort_block_merge_implIS3_PdPS5_jNS1_19radix_merge_compareILb1ELb0EdNS0_19identity_decomposerEEEEE10hipError_tT0_T1_T2_jT3_P12ihipStream_tbPNSt15iterator_traitsISE_E10value_typeEPNSK_ISF_E10value_typeEPSG_NS1_7vsmem_tEENKUlT_SE_SF_SG_E_clIS8_S8_S9_S9_EESD_ST_SE_SF_SG_EUlST_E1_NS1_11comp_targetILNS1_3genE0ELNS1_11target_archE4294967295ELNS1_3gpuE0ELNS1_3repE0EEENS1_36merge_oddeven_config_static_selectorELNS0_4arch9wavefront6targetE0EEEvSF_, .Lfunc_end1476-_ZN7rocprim17ROCPRIM_400000_NS6detail17trampoline_kernelINS0_14default_configENS1_38merge_sort_block_merge_config_selectorIdNS0_10empty_typeEEEZZNS1_27merge_sort_block_merge_implIS3_PdPS5_jNS1_19radix_merge_compareILb1ELb0EdNS0_19identity_decomposerEEEEE10hipError_tT0_T1_T2_jT3_P12ihipStream_tbPNSt15iterator_traitsISE_E10value_typeEPNSK_ISF_E10value_typeEPSG_NS1_7vsmem_tEENKUlT_SE_SF_SG_E_clIS8_S8_S9_S9_EESD_ST_SE_SF_SG_EUlST_E1_NS1_11comp_targetILNS1_3genE0ELNS1_11target_archE4294967295ELNS1_3gpuE0ELNS1_3repE0EEENS1_36merge_oddeven_config_static_selectorELNS0_4arch9wavefront6targetE0EEEvSF_
                                        ; -- End function
	.set _ZN7rocprim17ROCPRIM_400000_NS6detail17trampoline_kernelINS0_14default_configENS1_38merge_sort_block_merge_config_selectorIdNS0_10empty_typeEEEZZNS1_27merge_sort_block_merge_implIS3_PdPS5_jNS1_19radix_merge_compareILb1ELb0EdNS0_19identity_decomposerEEEEE10hipError_tT0_T1_T2_jT3_P12ihipStream_tbPNSt15iterator_traitsISE_E10value_typeEPNSK_ISF_E10value_typeEPSG_NS1_7vsmem_tEENKUlT_SE_SF_SG_E_clIS8_S8_S9_S9_EESD_ST_SE_SF_SG_EUlST_E1_NS1_11comp_targetILNS1_3genE0ELNS1_11target_archE4294967295ELNS1_3gpuE0ELNS1_3repE0EEENS1_36merge_oddeven_config_static_selectorELNS0_4arch9wavefront6targetE0EEEvSF_.num_vgpr, 12
	.set _ZN7rocprim17ROCPRIM_400000_NS6detail17trampoline_kernelINS0_14default_configENS1_38merge_sort_block_merge_config_selectorIdNS0_10empty_typeEEEZZNS1_27merge_sort_block_merge_implIS3_PdPS5_jNS1_19radix_merge_compareILb1ELb0EdNS0_19identity_decomposerEEEEE10hipError_tT0_T1_T2_jT3_P12ihipStream_tbPNSt15iterator_traitsISE_E10value_typeEPNSK_ISF_E10value_typeEPSG_NS1_7vsmem_tEENKUlT_SE_SF_SG_E_clIS8_S8_S9_S9_EESD_ST_SE_SF_SG_EUlST_E1_NS1_11comp_targetILNS1_3genE0ELNS1_11target_archE4294967295ELNS1_3gpuE0ELNS1_3repE0EEENS1_36merge_oddeven_config_static_selectorELNS0_4arch9wavefront6targetE0EEEvSF_.num_agpr, 0
	.set _ZN7rocprim17ROCPRIM_400000_NS6detail17trampoline_kernelINS0_14default_configENS1_38merge_sort_block_merge_config_selectorIdNS0_10empty_typeEEEZZNS1_27merge_sort_block_merge_implIS3_PdPS5_jNS1_19radix_merge_compareILb1ELb0EdNS0_19identity_decomposerEEEEE10hipError_tT0_T1_T2_jT3_P12ihipStream_tbPNSt15iterator_traitsISE_E10value_typeEPNSK_ISF_E10value_typeEPSG_NS1_7vsmem_tEENKUlT_SE_SF_SG_E_clIS8_S8_S9_S9_EESD_ST_SE_SF_SG_EUlST_E1_NS1_11comp_targetILNS1_3genE0ELNS1_11target_archE4294967295ELNS1_3gpuE0ELNS1_3repE0EEENS1_36merge_oddeven_config_static_selectorELNS0_4arch9wavefront6targetE0EEEvSF_.numbered_sgpr, 16
	.set _ZN7rocprim17ROCPRIM_400000_NS6detail17trampoline_kernelINS0_14default_configENS1_38merge_sort_block_merge_config_selectorIdNS0_10empty_typeEEEZZNS1_27merge_sort_block_merge_implIS3_PdPS5_jNS1_19radix_merge_compareILb1ELb0EdNS0_19identity_decomposerEEEEE10hipError_tT0_T1_T2_jT3_P12ihipStream_tbPNSt15iterator_traitsISE_E10value_typeEPNSK_ISF_E10value_typeEPSG_NS1_7vsmem_tEENKUlT_SE_SF_SG_E_clIS8_S8_S9_S9_EESD_ST_SE_SF_SG_EUlST_E1_NS1_11comp_targetILNS1_3genE0ELNS1_11target_archE4294967295ELNS1_3gpuE0ELNS1_3repE0EEENS1_36merge_oddeven_config_static_selectorELNS0_4arch9wavefront6targetE0EEEvSF_.num_named_barrier, 0
	.set _ZN7rocprim17ROCPRIM_400000_NS6detail17trampoline_kernelINS0_14default_configENS1_38merge_sort_block_merge_config_selectorIdNS0_10empty_typeEEEZZNS1_27merge_sort_block_merge_implIS3_PdPS5_jNS1_19radix_merge_compareILb1ELb0EdNS0_19identity_decomposerEEEEE10hipError_tT0_T1_T2_jT3_P12ihipStream_tbPNSt15iterator_traitsISE_E10value_typeEPNSK_ISF_E10value_typeEPSG_NS1_7vsmem_tEENKUlT_SE_SF_SG_E_clIS8_S8_S9_S9_EESD_ST_SE_SF_SG_EUlST_E1_NS1_11comp_targetILNS1_3genE0ELNS1_11target_archE4294967295ELNS1_3gpuE0ELNS1_3repE0EEENS1_36merge_oddeven_config_static_selectorELNS0_4arch9wavefront6targetE0EEEvSF_.private_seg_size, 0
	.set _ZN7rocprim17ROCPRIM_400000_NS6detail17trampoline_kernelINS0_14default_configENS1_38merge_sort_block_merge_config_selectorIdNS0_10empty_typeEEEZZNS1_27merge_sort_block_merge_implIS3_PdPS5_jNS1_19radix_merge_compareILb1ELb0EdNS0_19identity_decomposerEEEEE10hipError_tT0_T1_T2_jT3_P12ihipStream_tbPNSt15iterator_traitsISE_E10value_typeEPNSK_ISF_E10value_typeEPSG_NS1_7vsmem_tEENKUlT_SE_SF_SG_E_clIS8_S8_S9_S9_EESD_ST_SE_SF_SG_EUlST_E1_NS1_11comp_targetILNS1_3genE0ELNS1_11target_archE4294967295ELNS1_3gpuE0ELNS1_3repE0EEENS1_36merge_oddeven_config_static_selectorELNS0_4arch9wavefront6targetE0EEEvSF_.uses_vcc, 1
	.set _ZN7rocprim17ROCPRIM_400000_NS6detail17trampoline_kernelINS0_14default_configENS1_38merge_sort_block_merge_config_selectorIdNS0_10empty_typeEEEZZNS1_27merge_sort_block_merge_implIS3_PdPS5_jNS1_19radix_merge_compareILb1ELb0EdNS0_19identity_decomposerEEEEE10hipError_tT0_T1_T2_jT3_P12ihipStream_tbPNSt15iterator_traitsISE_E10value_typeEPNSK_ISF_E10value_typeEPSG_NS1_7vsmem_tEENKUlT_SE_SF_SG_E_clIS8_S8_S9_S9_EESD_ST_SE_SF_SG_EUlST_E1_NS1_11comp_targetILNS1_3genE0ELNS1_11target_archE4294967295ELNS1_3gpuE0ELNS1_3repE0EEENS1_36merge_oddeven_config_static_selectorELNS0_4arch9wavefront6targetE0EEEvSF_.uses_flat_scratch, 0
	.set _ZN7rocprim17ROCPRIM_400000_NS6detail17trampoline_kernelINS0_14default_configENS1_38merge_sort_block_merge_config_selectorIdNS0_10empty_typeEEEZZNS1_27merge_sort_block_merge_implIS3_PdPS5_jNS1_19radix_merge_compareILb1ELb0EdNS0_19identity_decomposerEEEEE10hipError_tT0_T1_T2_jT3_P12ihipStream_tbPNSt15iterator_traitsISE_E10value_typeEPNSK_ISF_E10value_typeEPSG_NS1_7vsmem_tEENKUlT_SE_SF_SG_E_clIS8_S8_S9_S9_EESD_ST_SE_SF_SG_EUlST_E1_NS1_11comp_targetILNS1_3genE0ELNS1_11target_archE4294967295ELNS1_3gpuE0ELNS1_3repE0EEENS1_36merge_oddeven_config_static_selectorELNS0_4arch9wavefront6targetE0EEEvSF_.has_dyn_sized_stack, 0
	.set _ZN7rocprim17ROCPRIM_400000_NS6detail17trampoline_kernelINS0_14default_configENS1_38merge_sort_block_merge_config_selectorIdNS0_10empty_typeEEEZZNS1_27merge_sort_block_merge_implIS3_PdPS5_jNS1_19radix_merge_compareILb1ELb0EdNS0_19identity_decomposerEEEEE10hipError_tT0_T1_T2_jT3_P12ihipStream_tbPNSt15iterator_traitsISE_E10value_typeEPNSK_ISF_E10value_typeEPSG_NS1_7vsmem_tEENKUlT_SE_SF_SG_E_clIS8_S8_S9_S9_EESD_ST_SE_SF_SG_EUlST_E1_NS1_11comp_targetILNS1_3genE0ELNS1_11target_archE4294967295ELNS1_3gpuE0ELNS1_3repE0EEENS1_36merge_oddeven_config_static_selectorELNS0_4arch9wavefront6targetE0EEEvSF_.has_recursion, 0
	.set _ZN7rocprim17ROCPRIM_400000_NS6detail17trampoline_kernelINS0_14default_configENS1_38merge_sort_block_merge_config_selectorIdNS0_10empty_typeEEEZZNS1_27merge_sort_block_merge_implIS3_PdPS5_jNS1_19radix_merge_compareILb1ELb0EdNS0_19identity_decomposerEEEEE10hipError_tT0_T1_T2_jT3_P12ihipStream_tbPNSt15iterator_traitsISE_E10value_typeEPNSK_ISF_E10value_typeEPSG_NS1_7vsmem_tEENKUlT_SE_SF_SG_E_clIS8_S8_S9_S9_EESD_ST_SE_SF_SG_EUlST_E1_NS1_11comp_targetILNS1_3genE0ELNS1_11target_archE4294967295ELNS1_3gpuE0ELNS1_3repE0EEENS1_36merge_oddeven_config_static_selectorELNS0_4arch9wavefront6targetE0EEEvSF_.has_indirect_call, 0
	.section	.AMDGPU.csdata,"",@progbits
; Kernel info:
; codeLenInByte = 740
; TotalNumSgprs: 18
; NumVgprs: 12
; ScratchSize: 0
; MemoryBound: 0
; FloatMode: 240
; IeeeMode: 1
; LDSByteSize: 0 bytes/workgroup (compile time only)
; SGPRBlocks: 0
; VGPRBlocks: 0
; NumSGPRsForWavesPerEU: 18
; NumVGPRsForWavesPerEU: 12
; NamedBarCnt: 0
; Occupancy: 16
; WaveLimiterHint : 0
; COMPUTE_PGM_RSRC2:SCRATCH_EN: 0
; COMPUTE_PGM_RSRC2:USER_SGPR: 2
; COMPUTE_PGM_RSRC2:TRAP_HANDLER: 0
; COMPUTE_PGM_RSRC2:TGID_X_EN: 1
; COMPUTE_PGM_RSRC2:TGID_Y_EN: 0
; COMPUTE_PGM_RSRC2:TGID_Z_EN: 0
; COMPUTE_PGM_RSRC2:TIDIG_COMP_CNT: 0
	.section	.text._ZN7rocprim17ROCPRIM_400000_NS6detail17trampoline_kernelINS0_14default_configENS1_38merge_sort_block_merge_config_selectorIdNS0_10empty_typeEEEZZNS1_27merge_sort_block_merge_implIS3_PdPS5_jNS1_19radix_merge_compareILb1ELb0EdNS0_19identity_decomposerEEEEE10hipError_tT0_T1_T2_jT3_P12ihipStream_tbPNSt15iterator_traitsISE_E10value_typeEPNSK_ISF_E10value_typeEPSG_NS1_7vsmem_tEENKUlT_SE_SF_SG_E_clIS8_S8_S9_S9_EESD_ST_SE_SF_SG_EUlST_E1_NS1_11comp_targetILNS1_3genE10ELNS1_11target_archE1201ELNS1_3gpuE5ELNS1_3repE0EEENS1_36merge_oddeven_config_static_selectorELNS0_4arch9wavefront6targetE0EEEvSF_,"axG",@progbits,_ZN7rocprim17ROCPRIM_400000_NS6detail17trampoline_kernelINS0_14default_configENS1_38merge_sort_block_merge_config_selectorIdNS0_10empty_typeEEEZZNS1_27merge_sort_block_merge_implIS3_PdPS5_jNS1_19radix_merge_compareILb1ELb0EdNS0_19identity_decomposerEEEEE10hipError_tT0_T1_T2_jT3_P12ihipStream_tbPNSt15iterator_traitsISE_E10value_typeEPNSK_ISF_E10value_typeEPSG_NS1_7vsmem_tEENKUlT_SE_SF_SG_E_clIS8_S8_S9_S9_EESD_ST_SE_SF_SG_EUlST_E1_NS1_11comp_targetILNS1_3genE10ELNS1_11target_archE1201ELNS1_3gpuE5ELNS1_3repE0EEENS1_36merge_oddeven_config_static_selectorELNS0_4arch9wavefront6targetE0EEEvSF_,comdat
	.protected	_ZN7rocprim17ROCPRIM_400000_NS6detail17trampoline_kernelINS0_14default_configENS1_38merge_sort_block_merge_config_selectorIdNS0_10empty_typeEEEZZNS1_27merge_sort_block_merge_implIS3_PdPS5_jNS1_19radix_merge_compareILb1ELb0EdNS0_19identity_decomposerEEEEE10hipError_tT0_T1_T2_jT3_P12ihipStream_tbPNSt15iterator_traitsISE_E10value_typeEPNSK_ISF_E10value_typeEPSG_NS1_7vsmem_tEENKUlT_SE_SF_SG_E_clIS8_S8_S9_S9_EESD_ST_SE_SF_SG_EUlST_E1_NS1_11comp_targetILNS1_3genE10ELNS1_11target_archE1201ELNS1_3gpuE5ELNS1_3repE0EEENS1_36merge_oddeven_config_static_selectorELNS0_4arch9wavefront6targetE0EEEvSF_ ; -- Begin function _ZN7rocprim17ROCPRIM_400000_NS6detail17trampoline_kernelINS0_14default_configENS1_38merge_sort_block_merge_config_selectorIdNS0_10empty_typeEEEZZNS1_27merge_sort_block_merge_implIS3_PdPS5_jNS1_19radix_merge_compareILb1ELb0EdNS0_19identity_decomposerEEEEE10hipError_tT0_T1_T2_jT3_P12ihipStream_tbPNSt15iterator_traitsISE_E10value_typeEPNSK_ISF_E10value_typeEPSG_NS1_7vsmem_tEENKUlT_SE_SF_SG_E_clIS8_S8_S9_S9_EESD_ST_SE_SF_SG_EUlST_E1_NS1_11comp_targetILNS1_3genE10ELNS1_11target_archE1201ELNS1_3gpuE5ELNS1_3repE0EEENS1_36merge_oddeven_config_static_selectorELNS0_4arch9wavefront6targetE0EEEvSF_
	.globl	_ZN7rocprim17ROCPRIM_400000_NS6detail17trampoline_kernelINS0_14default_configENS1_38merge_sort_block_merge_config_selectorIdNS0_10empty_typeEEEZZNS1_27merge_sort_block_merge_implIS3_PdPS5_jNS1_19radix_merge_compareILb1ELb0EdNS0_19identity_decomposerEEEEE10hipError_tT0_T1_T2_jT3_P12ihipStream_tbPNSt15iterator_traitsISE_E10value_typeEPNSK_ISF_E10value_typeEPSG_NS1_7vsmem_tEENKUlT_SE_SF_SG_E_clIS8_S8_S9_S9_EESD_ST_SE_SF_SG_EUlST_E1_NS1_11comp_targetILNS1_3genE10ELNS1_11target_archE1201ELNS1_3gpuE5ELNS1_3repE0EEENS1_36merge_oddeven_config_static_selectorELNS0_4arch9wavefront6targetE0EEEvSF_
	.p2align	8
	.type	_ZN7rocprim17ROCPRIM_400000_NS6detail17trampoline_kernelINS0_14default_configENS1_38merge_sort_block_merge_config_selectorIdNS0_10empty_typeEEEZZNS1_27merge_sort_block_merge_implIS3_PdPS5_jNS1_19radix_merge_compareILb1ELb0EdNS0_19identity_decomposerEEEEE10hipError_tT0_T1_T2_jT3_P12ihipStream_tbPNSt15iterator_traitsISE_E10value_typeEPNSK_ISF_E10value_typeEPSG_NS1_7vsmem_tEENKUlT_SE_SF_SG_E_clIS8_S8_S9_S9_EESD_ST_SE_SF_SG_EUlST_E1_NS1_11comp_targetILNS1_3genE10ELNS1_11target_archE1201ELNS1_3gpuE5ELNS1_3repE0EEENS1_36merge_oddeven_config_static_selectorELNS0_4arch9wavefront6targetE0EEEvSF_,@function
_ZN7rocprim17ROCPRIM_400000_NS6detail17trampoline_kernelINS0_14default_configENS1_38merge_sort_block_merge_config_selectorIdNS0_10empty_typeEEEZZNS1_27merge_sort_block_merge_implIS3_PdPS5_jNS1_19radix_merge_compareILb1ELb0EdNS0_19identity_decomposerEEEEE10hipError_tT0_T1_T2_jT3_P12ihipStream_tbPNSt15iterator_traitsISE_E10value_typeEPNSK_ISF_E10value_typeEPSG_NS1_7vsmem_tEENKUlT_SE_SF_SG_E_clIS8_S8_S9_S9_EESD_ST_SE_SF_SG_EUlST_E1_NS1_11comp_targetILNS1_3genE10ELNS1_11target_archE1201ELNS1_3gpuE5ELNS1_3repE0EEENS1_36merge_oddeven_config_static_selectorELNS0_4arch9wavefront6targetE0EEEvSF_: ; @_ZN7rocprim17ROCPRIM_400000_NS6detail17trampoline_kernelINS0_14default_configENS1_38merge_sort_block_merge_config_selectorIdNS0_10empty_typeEEEZZNS1_27merge_sort_block_merge_implIS3_PdPS5_jNS1_19radix_merge_compareILb1ELb0EdNS0_19identity_decomposerEEEEE10hipError_tT0_T1_T2_jT3_P12ihipStream_tbPNSt15iterator_traitsISE_E10value_typeEPNSK_ISF_E10value_typeEPSG_NS1_7vsmem_tEENKUlT_SE_SF_SG_E_clIS8_S8_S9_S9_EESD_ST_SE_SF_SG_EUlST_E1_NS1_11comp_targetILNS1_3genE10ELNS1_11target_archE1201ELNS1_3gpuE5ELNS1_3repE0EEENS1_36merge_oddeven_config_static_selectorELNS0_4arch9wavefront6targetE0EEEvSF_
; %bb.0:
	.section	.rodata,"a",@progbits
	.p2align	6, 0x0
	.amdhsa_kernel _ZN7rocprim17ROCPRIM_400000_NS6detail17trampoline_kernelINS0_14default_configENS1_38merge_sort_block_merge_config_selectorIdNS0_10empty_typeEEEZZNS1_27merge_sort_block_merge_implIS3_PdPS5_jNS1_19radix_merge_compareILb1ELb0EdNS0_19identity_decomposerEEEEE10hipError_tT0_T1_T2_jT3_P12ihipStream_tbPNSt15iterator_traitsISE_E10value_typeEPNSK_ISF_E10value_typeEPSG_NS1_7vsmem_tEENKUlT_SE_SF_SG_E_clIS8_S8_S9_S9_EESD_ST_SE_SF_SG_EUlST_E1_NS1_11comp_targetILNS1_3genE10ELNS1_11target_archE1201ELNS1_3gpuE5ELNS1_3repE0EEENS1_36merge_oddeven_config_static_selectorELNS0_4arch9wavefront6targetE0EEEvSF_
		.amdhsa_group_segment_fixed_size 0
		.amdhsa_private_segment_fixed_size 0
		.amdhsa_kernarg_size 48
		.amdhsa_user_sgpr_count 2
		.amdhsa_user_sgpr_dispatch_ptr 0
		.amdhsa_user_sgpr_queue_ptr 0
		.amdhsa_user_sgpr_kernarg_segment_ptr 1
		.amdhsa_user_sgpr_dispatch_id 0
		.amdhsa_user_sgpr_kernarg_preload_length 0
		.amdhsa_user_sgpr_kernarg_preload_offset 0
		.amdhsa_user_sgpr_private_segment_size 0
		.amdhsa_wavefront_size32 1
		.amdhsa_uses_dynamic_stack 0
		.amdhsa_enable_private_segment 0
		.amdhsa_system_sgpr_workgroup_id_x 1
		.amdhsa_system_sgpr_workgroup_id_y 0
		.amdhsa_system_sgpr_workgroup_id_z 0
		.amdhsa_system_sgpr_workgroup_info 0
		.amdhsa_system_vgpr_workitem_id 0
		.amdhsa_next_free_vgpr 1
		.amdhsa_next_free_sgpr 1
		.amdhsa_named_barrier_count 0
		.amdhsa_reserve_vcc 0
		.amdhsa_float_round_mode_32 0
		.amdhsa_float_round_mode_16_64 0
		.amdhsa_float_denorm_mode_32 3
		.amdhsa_float_denorm_mode_16_64 3
		.amdhsa_fp16_overflow 0
		.amdhsa_memory_ordered 1
		.amdhsa_forward_progress 1
		.amdhsa_inst_pref_size 0
		.amdhsa_round_robin_scheduling 0
		.amdhsa_exception_fp_ieee_invalid_op 0
		.amdhsa_exception_fp_denorm_src 0
		.amdhsa_exception_fp_ieee_div_zero 0
		.amdhsa_exception_fp_ieee_overflow 0
		.amdhsa_exception_fp_ieee_underflow 0
		.amdhsa_exception_fp_ieee_inexact 0
		.amdhsa_exception_int_div_zero 0
	.end_amdhsa_kernel
	.section	.text._ZN7rocprim17ROCPRIM_400000_NS6detail17trampoline_kernelINS0_14default_configENS1_38merge_sort_block_merge_config_selectorIdNS0_10empty_typeEEEZZNS1_27merge_sort_block_merge_implIS3_PdPS5_jNS1_19radix_merge_compareILb1ELb0EdNS0_19identity_decomposerEEEEE10hipError_tT0_T1_T2_jT3_P12ihipStream_tbPNSt15iterator_traitsISE_E10value_typeEPNSK_ISF_E10value_typeEPSG_NS1_7vsmem_tEENKUlT_SE_SF_SG_E_clIS8_S8_S9_S9_EESD_ST_SE_SF_SG_EUlST_E1_NS1_11comp_targetILNS1_3genE10ELNS1_11target_archE1201ELNS1_3gpuE5ELNS1_3repE0EEENS1_36merge_oddeven_config_static_selectorELNS0_4arch9wavefront6targetE0EEEvSF_,"axG",@progbits,_ZN7rocprim17ROCPRIM_400000_NS6detail17trampoline_kernelINS0_14default_configENS1_38merge_sort_block_merge_config_selectorIdNS0_10empty_typeEEEZZNS1_27merge_sort_block_merge_implIS3_PdPS5_jNS1_19radix_merge_compareILb1ELb0EdNS0_19identity_decomposerEEEEE10hipError_tT0_T1_T2_jT3_P12ihipStream_tbPNSt15iterator_traitsISE_E10value_typeEPNSK_ISF_E10value_typeEPSG_NS1_7vsmem_tEENKUlT_SE_SF_SG_E_clIS8_S8_S9_S9_EESD_ST_SE_SF_SG_EUlST_E1_NS1_11comp_targetILNS1_3genE10ELNS1_11target_archE1201ELNS1_3gpuE5ELNS1_3repE0EEENS1_36merge_oddeven_config_static_selectorELNS0_4arch9wavefront6targetE0EEEvSF_,comdat
.Lfunc_end1477:
	.size	_ZN7rocprim17ROCPRIM_400000_NS6detail17trampoline_kernelINS0_14default_configENS1_38merge_sort_block_merge_config_selectorIdNS0_10empty_typeEEEZZNS1_27merge_sort_block_merge_implIS3_PdPS5_jNS1_19radix_merge_compareILb1ELb0EdNS0_19identity_decomposerEEEEE10hipError_tT0_T1_T2_jT3_P12ihipStream_tbPNSt15iterator_traitsISE_E10value_typeEPNSK_ISF_E10value_typeEPSG_NS1_7vsmem_tEENKUlT_SE_SF_SG_E_clIS8_S8_S9_S9_EESD_ST_SE_SF_SG_EUlST_E1_NS1_11comp_targetILNS1_3genE10ELNS1_11target_archE1201ELNS1_3gpuE5ELNS1_3repE0EEENS1_36merge_oddeven_config_static_selectorELNS0_4arch9wavefront6targetE0EEEvSF_, .Lfunc_end1477-_ZN7rocprim17ROCPRIM_400000_NS6detail17trampoline_kernelINS0_14default_configENS1_38merge_sort_block_merge_config_selectorIdNS0_10empty_typeEEEZZNS1_27merge_sort_block_merge_implIS3_PdPS5_jNS1_19radix_merge_compareILb1ELb0EdNS0_19identity_decomposerEEEEE10hipError_tT0_T1_T2_jT3_P12ihipStream_tbPNSt15iterator_traitsISE_E10value_typeEPNSK_ISF_E10value_typeEPSG_NS1_7vsmem_tEENKUlT_SE_SF_SG_E_clIS8_S8_S9_S9_EESD_ST_SE_SF_SG_EUlST_E1_NS1_11comp_targetILNS1_3genE10ELNS1_11target_archE1201ELNS1_3gpuE5ELNS1_3repE0EEENS1_36merge_oddeven_config_static_selectorELNS0_4arch9wavefront6targetE0EEEvSF_
                                        ; -- End function
	.set _ZN7rocprim17ROCPRIM_400000_NS6detail17trampoline_kernelINS0_14default_configENS1_38merge_sort_block_merge_config_selectorIdNS0_10empty_typeEEEZZNS1_27merge_sort_block_merge_implIS3_PdPS5_jNS1_19radix_merge_compareILb1ELb0EdNS0_19identity_decomposerEEEEE10hipError_tT0_T1_T2_jT3_P12ihipStream_tbPNSt15iterator_traitsISE_E10value_typeEPNSK_ISF_E10value_typeEPSG_NS1_7vsmem_tEENKUlT_SE_SF_SG_E_clIS8_S8_S9_S9_EESD_ST_SE_SF_SG_EUlST_E1_NS1_11comp_targetILNS1_3genE10ELNS1_11target_archE1201ELNS1_3gpuE5ELNS1_3repE0EEENS1_36merge_oddeven_config_static_selectorELNS0_4arch9wavefront6targetE0EEEvSF_.num_vgpr, 0
	.set _ZN7rocprim17ROCPRIM_400000_NS6detail17trampoline_kernelINS0_14default_configENS1_38merge_sort_block_merge_config_selectorIdNS0_10empty_typeEEEZZNS1_27merge_sort_block_merge_implIS3_PdPS5_jNS1_19radix_merge_compareILb1ELb0EdNS0_19identity_decomposerEEEEE10hipError_tT0_T1_T2_jT3_P12ihipStream_tbPNSt15iterator_traitsISE_E10value_typeEPNSK_ISF_E10value_typeEPSG_NS1_7vsmem_tEENKUlT_SE_SF_SG_E_clIS8_S8_S9_S9_EESD_ST_SE_SF_SG_EUlST_E1_NS1_11comp_targetILNS1_3genE10ELNS1_11target_archE1201ELNS1_3gpuE5ELNS1_3repE0EEENS1_36merge_oddeven_config_static_selectorELNS0_4arch9wavefront6targetE0EEEvSF_.num_agpr, 0
	.set _ZN7rocprim17ROCPRIM_400000_NS6detail17trampoline_kernelINS0_14default_configENS1_38merge_sort_block_merge_config_selectorIdNS0_10empty_typeEEEZZNS1_27merge_sort_block_merge_implIS3_PdPS5_jNS1_19radix_merge_compareILb1ELb0EdNS0_19identity_decomposerEEEEE10hipError_tT0_T1_T2_jT3_P12ihipStream_tbPNSt15iterator_traitsISE_E10value_typeEPNSK_ISF_E10value_typeEPSG_NS1_7vsmem_tEENKUlT_SE_SF_SG_E_clIS8_S8_S9_S9_EESD_ST_SE_SF_SG_EUlST_E1_NS1_11comp_targetILNS1_3genE10ELNS1_11target_archE1201ELNS1_3gpuE5ELNS1_3repE0EEENS1_36merge_oddeven_config_static_selectorELNS0_4arch9wavefront6targetE0EEEvSF_.numbered_sgpr, 0
	.set _ZN7rocprim17ROCPRIM_400000_NS6detail17trampoline_kernelINS0_14default_configENS1_38merge_sort_block_merge_config_selectorIdNS0_10empty_typeEEEZZNS1_27merge_sort_block_merge_implIS3_PdPS5_jNS1_19radix_merge_compareILb1ELb0EdNS0_19identity_decomposerEEEEE10hipError_tT0_T1_T2_jT3_P12ihipStream_tbPNSt15iterator_traitsISE_E10value_typeEPNSK_ISF_E10value_typeEPSG_NS1_7vsmem_tEENKUlT_SE_SF_SG_E_clIS8_S8_S9_S9_EESD_ST_SE_SF_SG_EUlST_E1_NS1_11comp_targetILNS1_3genE10ELNS1_11target_archE1201ELNS1_3gpuE5ELNS1_3repE0EEENS1_36merge_oddeven_config_static_selectorELNS0_4arch9wavefront6targetE0EEEvSF_.num_named_barrier, 0
	.set _ZN7rocprim17ROCPRIM_400000_NS6detail17trampoline_kernelINS0_14default_configENS1_38merge_sort_block_merge_config_selectorIdNS0_10empty_typeEEEZZNS1_27merge_sort_block_merge_implIS3_PdPS5_jNS1_19radix_merge_compareILb1ELb0EdNS0_19identity_decomposerEEEEE10hipError_tT0_T1_T2_jT3_P12ihipStream_tbPNSt15iterator_traitsISE_E10value_typeEPNSK_ISF_E10value_typeEPSG_NS1_7vsmem_tEENKUlT_SE_SF_SG_E_clIS8_S8_S9_S9_EESD_ST_SE_SF_SG_EUlST_E1_NS1_11comp_targetILNS1_3genE10ELNS1_11target_archE1201ELNS1_3gpuE5ELNS1_3repE0EEENS1_36merge_oddeven_config_static_selectorELNS0_4arch9wavefront6targetE0EEEvSF_.private_seg_size, 0
	.set _ZN7rocprim17ROCPRIM_400000_NS6detail17trampoline_kernelINS0_14default_configENS1_38merge_sort_block_merge_config_selectorIdNS0_10empty_typeEEEZZNS1_27merge_sort_block_merge_implIS3_PdPS5_jNS1_19radix_merge_compareILb1ELb0EdNS0_19identity_decomposerEEEEE10hipError_tT0_T1_T2_jT3_P12ihipStream_tbPNSt15iterator_traitsISE_E10value_typeEPNSK_ISF_E10value_typeEPSG_NS1_7vsmem_tEENKUlT_SE_SF_SG_E_clIS8_S8_S9_S9_EESD_ST_SE_SF_SG_EUlST_E1_NS1_11comp_targetILNS1_3genE10ELNS1_11target_archE1201ELNS1_3gpuE5ELNS1_3repE0EEENS1_36merge_oddeven_config_static_selectorELNS0_4arch9wavefront6targetE0EEEvSF_.uses_vcc, 0
	.set _ZN7rocprim17ROCPRIM_400000_NS6detail17trampoline_kernelINS0_14default_configENS1_38merge_sort_block_merge_config_selectorIdNS0_10empty_typeEEEZZNS1_27merge_sort_block_merge_implIS3_PdPS5_jNS1_19radix_merge_compareILb1ELb0EdNS0_19identity_decomposerEEEEE10hipError_tT0_T1_T2_jT3_P12ihipStream_tbPNSt15iterator_traitsISE_E10value_typeEPNSK_ISF_E10value_typeEPSG_NS1_7vsmem_tEENKUlT_SE_SF_SG_E_clIS8_S8_S9_S9_EESD_ST_SE_SF_SG_EUlST_E1_NS1_11comp_targetILNS1_3genE10ELNS1_11target_archE1201ELNS1_3gpuE5ELNS1_3repE0EEENS1_36merge_oddeven_config_static_selectorELNS0_4arch9wavefront6targetE0EEEvSF_.uses_flat_scratch, 0
	.set _ZN7rocprim17ROCPRIM_400000_NS6detail17trampoline_kernelINS0_14default_configENS1_38merge_sort_block_merge_config_selectorIdNS0_10empty_typeEEEZZNS1_27merge_sort_block_merge_implIS3_PdPS5_jNS1_19radix_merge_compareILb1ELb0EdNS0_19identity_decomposerEEEEE10hipError_tT0_T1_T2_jT3_P12ihipStream_tbPNSt15iterator_traitsISE_E10value_typeEPNSK_ISF_E10value_typeEPSG_NS1_7vsmem_tEENKUlT_SE_SF_SG_E_clIS8_S8_S9_S9_EESD_ST_SE_SF_SG_EUlST_E1_NS1_11comp_targetILNS1_3genE10ELNS1_11target_archE1201ELNS1_3gpuE5ELNS1_3repE0EEENS1_36merge_oddeven_config_static_selectorELNS0_4arch9wavefront6targetE0EEEvSF_.has_dyn_sized_stack, 0
	.set _ZN7rocprim17ROCPRIM_400000_NS6detail17trampoline_kernelINS0_14default_configENS1_38merge_sort_block_merge_config_selectorIdNS0_10empty_typeEEEZZNS1_27merge_sort_block_merge_implIS3_PdPS5_jNS1_19radix_merge_compareILb1ELb0EdNS0_19identity_decomposerEEEEE10hipError_tT0_T1_T2_jT3_P12ihipStream_tbPNSt15iterator_traitsISE_E10value_typeEPNSK_ISF_E10value_typeEPSG_NS1_7vsmem_tEENKUlT_SE_SF_SG_E_clIS8_S8_S9_S9_EESD_ST_SE_SF_SG_EUlST_E1_NS1_11comp_targetILNS1_3genE10ELNS1_11target_archE1201ELNS1_3gpuE5ELNS1_3repE0EEENS1_36merge_oddeven_config_static_selectorELNS0_4arch9wavefront6targetE0EEEvSF_.has_recursion, 0
	.set _ZN7rocprim17ROCPRIM_400000_NS6detail17trampoline_kernelINS0_14default_configENS1_38merge_sort_block_merge_config_selectorIdNS0_10empty_typeEEEZZNS1_27merge_sort_block_merge_implIS3_PdPS5_jNS1_19radix_merge_compareILb1ELb0EdNS0_19identity_decomposerEEEEE10hipError_tT0_T1_T2_jT3_P12ihipStream_tbPNSt15iterator_traitsISE_E10value_typeEPNSK_ISF_E10value_typeEPSG_NS1_7vsmem_tEENKUlT_SE_SF_SG_E_clIS8_S8_S9_S9_EESD_ST_SE_SF_SG_EUlST_E1_NS1_11comp_targetILNS1_3genE10ELNS1_11target_archE1201ELNS1_3gpuE5ELNS1_3repE0EEENS1_36merge_oddeven_config_static_selectorELNS0_4arch9wavefront6targetE0EEEvSF_.has_indirect_call, 0
	.section	.AMDGPU.csdata,"",@progbits
; Kernel info:
; codeLenInByte = 0
; TotalNumSgprs: 0
; NumVgprs: 0
; ScratchSize: 0
; MemoryBound: 0
; FloatMode: 240
; IeeeMode: 1
; LDSByteSize: 0 bytes/workgroup (compile time only)
; SGPRBlocks: 0
; VGPRBlocks: 0
; NumSGPRsForWavesPerEU: 1
; NumVGPRsForWavesPerEU: 1
; NamedBarCnt: 0
; Occupancy: 16
; WaveLimiterHint : 0
; COMPUTE_PGM_RSRC2:SCRATCH_EN: 0
; COMPUTE_PGM_RSRC2:USER_SGPR: 2
; COMPUTE_PGM_RSRC2:TRAP_HANDLER: 0
; COMPUTE_PGM_RSRC2:TGID_X_EN: 1
; COMPUTE_PGM_RSRC2:TGID_Y_EN: 0
; COMPUTE_PGM_RSRC2:TGID_Z_EN: 0
; COMPUTE_PGM_RSRC2:TIDIG_COMP_CNT: 0
	.section	.text._ZN7rocprim17ROCPRIM_400000_NS6detail17trampoline_kernelINS0_14default_configENS1_38merge_sort_block_merge_config_selectorIdNS0_10empty_typeEEEZZNS1_27merge_sort_block_merge_implIS3_PdPS5_jNS1_19radix_merge_compareILb1ELb0EdNS0_19identity_decomposerEEEEE10hipError_tT0_T1_T2_jT3_P12ihipStream_tbPNSt15iterator_traitsISE_E10value_typeEPNSK_ISF_E10value_typeEPSG_NS1_7vsmem_tEENKUlT_SE_SF_SG_E_clIS8_S8_S9_S9_EESD_ST_SE_SF_SG_EUlST_E1_NS1_11comp_targetILNS1_3genE5ELNS1_11target_archE942ELNS1_3gpuE9ELNS1_3repE0EEENS1_36merge_oddeven_config_static_selectorELNS0_4arch9wavefront6targetE0EEEvSF_,"axG",@progbits,_ZN7rocprim17ROCPRIM_400000_NS6detail17trampoline_kernelINS0_14default_configENS1_38merge_sort_block_merge_config_selectorIdNS0_10empty_typeEEEZZNS1_27merge_sort_block_merge_implIS3_PdPS5_jNS1_19radix_merge_compareILb1ELb0EdNS0_19identity_decomposerEEEEE10hipError_tT0_T1_T2_jT3_P12ihipStream_tbPNSt15iterator_traitsISE_E10value_typeEPNSK_ISF_E10value_typeEPSG_NS1_7vsmem_tEENKUlT_SE_SF_SG_E_clIS8_S8_S9_S9_EESD_ST_SE_SF_SG_EUlST_E1_NS1_11comp_targetILNS1_3genE5ELNS1_11target_archE942ELNS1_3gpuE9ELNS1_3repE0EEENS1_36merge_oddeven_config_static_selectorELNS0_4arch9wavefront6targetE0EEEvSF_,comdat
	.protected	_ZN7rocprim17ROCPRIM_400000_NS6detail17trampoline_kernelINS0_14default_configENS1_38merge_sort_block_merge_config_selectorIdNS0_10empty_typeEEEZZNS1_27merge_sort_block_merge_implIS3_PdPS5_jNS1_19radix_merge_compareILb1ELb0EdNS0_19identity_decomposerEEEEE10hipError_tT0_T1_T2_jT3_P12ihipStream_tbPNSt15iterator_traitsISE_E10value_typeEPNSK_ISF_E10value_typeEPSG_NS1_7vsmem_tEENKUlT_SE_SF_SG_E_clIS8_S8_S9_S9_EESD_ST_SE_SF_SG_EUlST_E1_NS1_11comp_targetILNS1_3genE5ELNS1_11target_archE942ELNS1_3gpuE9ELNS1_3repE0EEENS1_36merge_oddeven_config_static_selectorELNS0_4arch9wavefront6targetE0EEEvSF_ ; -- Begin function _ZN7rocprim17ROCPRIM_400000_NS6detail17trampoline_kernelINS0_14default_configENS1_38merge_sort_block_merge_config_selectorIdNS0_10empty_typeEEEZZNS1_27merge_sort_block_merge_implIS3_PdPS5_jNS1_19radix_merge_compareILb1ELb0EdNS0_19identity_decomposerEEEEE10hipError_tT0_T1_T2_jT3_P12ihipStream_tbPNSt15iterator_traitsISE_E10value_typeEPNSK_ISF_E10value_typeEPSG_NS1_7vsmem_tEENKUlT_SE_SF_SG_E_clIS8_S8_S9_S9_EESD_ST_SE_SF_SG_EUlST_E1_NS1_11comp_targetILNS1_3genE5ELNS1_11target_archE942ELNS1_3gpuE9ELNS1_3repE0EEENS1_36merge_oddeven_config_static_selectorELNS0_4arch9wavefront6targetE0EEEvSF_
	.globl	_ZN7rocprim17ROCPRIM_400000_NS6detail17trampoline_kernelINS0_14default_configENS1_38merge_sort_block_merge_config_selectorIdNS0_10empty_typeEEEZZNS1_27merge_sort_block_merge_implIS3_PdPS5_jNS1_19radix_merge_compareILb1ELb0EdNS0_19identity_decomposerEEEEE10hipError_tT0_T1_T2_jT3_P12ihipStream_tbPNSt15iterator_traitsISE_E10value_typeEPNSK_ISF_E10value_typeEPSG_NS1_7vsmem_tEENKUlT_SE_SF_SG_E_clIS8_S8_S9_S9_EESD_ST_SE_SF_SG_EUlST_E1_NS1_11comp_targetILNS1_3genE5ELNS1_11target_archE942ELNS1_3gpuE9ELNS1_3repE0EEENS1_36merge_oddeven_config_static_selectorELNS0_4arch9wavefront6targetE0EEEvSF_
	.p2align	8
	.type	_ZN7rocprim17ROCPRIM_400000_NS6detail17trampoline_kernelINS0_14default_configENS1_38merge_sort_block_merge_config_selectorIdNS0_10empty_typeEEEZZNS1_27merge_sort_block_merge_implIS3_PdPS5_jNS1_19radix_merge_compareILb1ELb0EdNS0_19identity_decomposerEEEEE10hipError_tT0_T1_T2_jT3_P12ihipStream_tbPNSt15iterator_traitsISE_E10value_typeEPNSK_ISF_E10value_typeEPSG_NS1_7vsmem_tEENKUlT_SE_SF_SG_E_clIS8_S8_S9_S9_EESD_ST_SE_SF_SG_EUlST_E1_NS1_11comp_targetILNS1_3genE5ELNS1_11target_archE942ELNS1_3gpuE9ELNS1_3repE0EEENS1_36merge_oddeven_config_static_selectorELNS0_4arch9wavefront6targetE0EEEvSF_,@function
_ZN7rocprim17ROCPRIM_400000_NS6detail17trampoline_kernelINS0_14default_configENS1_38merge_sort_block_merge_config_selectorIdNS0_10empty_typeEEEZZNS1_27merge_sort_block_merge_implIS3_PdPS5_jNS1_19radix_merge_compareILb1ELb0EdNS0_19identity_decomposerEEEEE10hipError_tT0_T1_T2_jT3_P12ihipStream_tbPNSt15iterator_traitsISE_E10value_typeEPNSK_ISF_E10value_typeEPSG_NS1_7vsmem_tEENKUlT_SE_SF_SG_E_clIS8_S8_S9_S9_EESD_ST_SE_SF_SG_EUlST_E1_NS1_11comp_targetILNS1_3genE5ELNS1_11target_archE942ELNS1_3gpuE9ELNS1_3repE0EEENS1_36merge_oddeven_config_static_selectorELNS0_4arch9wavefront6targetE0EEEvSF_: ; @_ZN7rocprim17ROCPRIM_400000_NS6detail17trampoline_kernelINS0_14default_configENS1_38merge_sort_block_merge_config_selectorIdNS0_10empty_typeEEEZZNS1_27merge_sort_block_merge_implIS3_PdPS5_jNS1_19radix_merge_compareILb1ELb0EdNS0_19identity_decomposerEEEEE10hipError_tT0_T1_T2_jT3_P12ihipStream_tbPNSt15iterator_traitsISE_E10value_typeEPNSK_ISF_E10value_typeEPSG_NS1_7vsmem_tEENKUlT_SE_SF_SG_E_clIS8_S8_S9_S9_EESD_ST_SE_SF_SG_EUlST_E1_NS1_11comp_targetILNS1_3genE5ELNS1_11target_archE942ELNS1_3gpuE9ELNS1_3repE0EEENS1_36merge_oddeven_config_static_selectorELNS0_4arch9wavefront6targetE0EEEvSF_
; %bb.0:
	.section	.rodata,"a",@progbits
	.p2align	6, 0x0
	.amdhsa_kernel _ZN7rocprim17ROCPRIM_400000_NS6detail17trampoline_kernelINS0_14default_configENS1_38merge_sort_block_merge_config_selectorIdNS0_10empty_typeEEEZZNS1_27merge_sort_block_merge_implIS3_PdPS5_jNS1_19radix_merge_compareILb1ELb0EdNS0_19identity_decomposerEEEEE10hipError_tT0_T1_T2_jT3_P12ihipStream_tbPNSt15iterator_traitsISE_E10value_typeEPNSK_ISF_E10value_typeEPSG_NS1_7vsmem_tEENKUlT_SE_SF_SG_E_clIS8_S8_S9_S9_EESD_ST_SE_SF_SG_EUlST_E1_NS1_11comp_targetILNS1_3genE5ELNS1_11target_archE942ELNS1_3gpuE9ELNS1_3repE0EEENS1_36merge_oddeven_config_static_selectorELNS0_4arch9wavefront6targetE0EEEvSF_
		.amdhsa_group_segment_fixed_size 0
		.amdhsa_private_segment_fixed_size 0
		.amdhsa_kernarg_size 48
		.amdhsa_user_sgpr_count 2
		.amdhsa_user_sgpr_dispatch_ptr 0
		.amdhsa_user_sgpr_queue_ptr 0
		.amdhsa_user_sgpr_kernarg_segment_ptr 1
		.amdhsa_user_sgpr_dispatch_id 0
		.amdhsa_user_sgpr_kernarg_preload_length 0
		.amdhsa_user_sgpr_kernarg_preload_offset 0
		.amdhsa_user_sgpr_private_segment_size 0
		.amdhsa_wavefront_size32 1
		.amdhsa_uses_dynamic_stack 0
		.amdhsa_enable_private_segment 0
		.amdhsa_system_sgpr_workgroup_id_x 1
		.amdhsa_system_sgpr_workgroup_id_y 0
		.amdhsa_system_sgpr_workgroup_id_z 0
		.amdhsa_system_sgpr_workgroup_info 0
		.amdhsa_system_vgpr_workitem_id 0
		.amdhsa_next_free_vgpr 1
		.amdhsa_next_free_sgpr 1
		.amdhsa_named_barrier_count 0
		.amdhsa_reserve_vcc 0
		.amdhsa_float_round_mode_32 0
		.amdhsa_float_round_mode_16_64 0
		.amdhsa_float_denorm_mode_32 3
		.amdhsa_float_denorm_mode_16_64 3
		.amdhsa_fp16_overflow 0
		.amdhsa_memory_ordered 1
		.amdhsa_forward_progress 1
		.amdhsa_inst_pref_size 0
		.amdhsa_round_robin_scheduling 0
		.amdhsa_exception_fp_ieee_invalid_op 0
		.amdhsa_exception_fp_denorm_src 0
		.amdhsa_exception_fp_ieee_div_zero 0
		.amdhsa_exception_fp_ieee_overflow 0
		.amdhsa_exception_fp_ieee_underflow 0
		.amdhsa_exception_fp_ieee_inexact 0
		.amdhsa_exception_int_div_zero 0
	.end_amdhsa_kernel
	.section	.text._ZN7rocprim17ROCPRIM_400000_NS6detail17trampoline_kernelINS0_14default_configENS1_38merge_sort_block_merge_config_selectorIdNS0_10empty_typeEEEZZNS1_27merge_sort_block_merge_implIS3_PdPS5_jNS1_19radix_merge_compareILb1ELb0EdNS0_19identity_decomposerEEEEE10hipError_tT0_T1_T2_jT3_P12ihipStream_tbPNSt15iterator_traitsISE_E10value_typeEPNSK_ISF_E10value_typeEPSG_NS1_7vsmem_tEENKUlT_SE_SF_SG_E_clIS8_S8_S9_S9_EESD_ST_SE_SF_SG_EUlST_E1_NS1_11comp_targetILNS1_3genE5ELNS1_11target_archE942ELNS1_3gpuE9ELNS1_3repE0EEENS1_36merge_oddeven_config_static_selectorELNS0_4arch9wavefront6targetE0EEEvSF_,"axG",@progbits,_ZN7rocprim17ROCPRIM_400000_NS6detail17trampoline_kernelINS0_14default_configENS1_38merge_sort_block_merge_config_selectorIdNS0_10empty_typeEEEZZNS1_27merge_sort_block_merge_implIS3_PdPS5_jNS1_19radix_merge_compareILb1ELb0EdNS0_19identity_decomposerEEEEE10hipError_tT0_T1_T2_jT3_P12ihipStream_tbPNSt15iterator_traitsISE_E10value_typeEPNSK_ISF_E10value_typeEPSG_NS1_7vsmem_tEENKUlT_SE_SF_SG_E_clIS8_S8_S9_S9_EESD_ST_SE_SF_SG_EUlST_E1_NS1_11comp_targetILNS1_3genE5ELNS1_11target_archE942ELNS1_3gpuE9ELNS1_3repE0EEENS1_36merge_oddeven_config_static_selectorELNS0_4arch9wavefront6targetE0EEEvSF_,comdat
.Lfunc_end1478:
	.size	_ZN7rocprim17ROCPRIM_400000_NS6detail17trampoline_kernelINS0_14default_configENS1_38merge_sort_block_merge_config_selectorIdNS0_10empty_typeEEEZZNS1_27merge_sort_block_merge_implIS3_PdPS5_jNS1_19radix_merge_compareILb1ELb0EdNS0_19identity_decomposerEEEEE10hipError_tT0_T1_T2_jT3_P12ihipStream_tbPNSt15iterator_traitsISE_E10value_typeEPNSK_ISF_E10value_typeEPSG_NS1_7vsmem_tEENKUlT_SE_SF_SG_E_clIS8_S8_S9_S9_EESD_ST_SE_SF_SG_EUlST_E1_NS1_11comp_targetILNS1_3genE5ELNS1_11target_archE942ELNS1_3gpuE9ELNS1_3repE0EEENS1_36merge_oddeven_config_static_selectorELNS0_4arch9wavefront6targetE0EEEvSF_, .Lfunc_end1478-_ZN7rocprim17ROCPRIM_400000_NS6detail17trampoline_kernelINS0_14default_configENS1_38merge_sort_block_merge_config_selectorIdNS0_10empty_typeEEEZZNS1_27merge_sort_block_merge_implIS3_PdPS5_jNS1_19radix_merge_compareILb1ELb0EdNS0_19identity_decomposerEEEEE10hipError_tT0_T1_T2_jT3_P12ihipStream_tbPNSt15iterator_traitsISE_E10value_typeEPNSK_ISF_E10value_typeEPSG_NS1_7vsmem_tEENKUlT_SE_SF_SG_E_clIS8_S8_S9_S9_EESD_ST_SE_SF_SG_EUlST_E1_NS1_11comp_targetILNS1_3genE5ELNS1_11target_archE942ELNS1_3gpuE9ELNS1_3repE0EEENS1_36merge_oddeven_config_static_selectorELNS0_4arch9wavefront6targetE0EEEvSF_
                                        ; -- End function
	.set _ZN7rocprim17ROCPRIM_400000_NS6detail17trampoline_kernelINS0_14default_configENS1_38merge_sort_block_merge_config_selectorIdNS0_10empty_typeEEEZZNS1_27merge_sort_block_merge_implIS3_PdPS5_jNS1_19radix_merge_compareILb1ELb0EdNS0_19identity_decomposerEEEEE10hipError_tT0_T1_T2_jT3_P12ihipStream_tbPNSt15iterator_traitsISE_E10value_typeEPNSK_ISF_E10value_typeEPSG_NS1_7vsmem_tEENKUlT_SE_SF_SG_E_clIS8_S8_S9_S9_EESD_ST_SE_SF_SG_EUlST_E1_NS1_11comp_targetILNS1_3genE5ELNS1_11target_archE942ELNS1_3gpuE9ELNS1_3repE0EEENS1_36merge_oddeven_config_static_selectorELNS0_4arch9wavefront6targetE0EEEvSF_.num_vgpr, 0
	.set _ZN7rocprim17ROCPRIM_400000_NS6detail17trampoline_kernelINS0_14default_configENS1_38merge_sort_block_merge_config_selectorIdNS0_10empty_typeEEEZZNS1_27merge_sort_block_merge_implIS3_PdPS5_jNS1_19radix_merge_compareILb1ELb0EdNS0_19identity_decomposerEEEEE10hipError_tT0_T1_T2_jT3_P12ihipStream_tbPNSt15iterator_traitsISE_E10value_typeEPNSK_ISF_E10value_typeEPSG_NS1_7vsmem_tEENKUlT_SE_SF_SG_E_clIS8_S8_S9_S9_EESD_ST_SE_SF_SG_EUlST_E1_NS1_11comp_targetILNS1_3genE5ELNS1_11target_archE942ELNS1_3gpuE9ELNS1_3repE0EEENS1_36merge_oddeven_config_static_selectorELNS0_4arch9wavefront6targetE0EEEvSF_.num_agpr, 0
	.set _ZN7rocprim17ROCPRIM_400000_NS6detail17trampoline_kernelINS0_14default_configENS1_38merge_sort_block_merge_config_selectorIdNS0_10empty_typeEEEZZNS1_27merge_sort_block_merge_implIS3_PdPS5_jNS1_19radix_merge_compareILb1ELb0EdNS0_19identity_decomposerEEEEE10hipError_tT0_T1_T2_jT3_P12ihipStream_tbPNSt15iterator_traitsISE_E10value_typeEPNSK_ISF_E10value_typeEPSG_NS1_7vsmem_tEENKUlT_SE_SF_SG_E_clIS8_S8_S9_S9_EESD_ST_SE_SF_SG_EUlST_E1_NS1_11comp_targetILNS1_3genE5ELNS1_11target_archE942ELNS1_3gpuE9ELNS1_3repE0EEENS1_36merge_oddeven_config_static_selectorELNS0_4arch9wavefront6targetE0EEEvSF_.numbered_sgpr, 0
	.set _ZN7rocprim17ROCPRIM_400000_NS6detail17trampoline_kernelINS0_14default_configENS1_38merge_sort_block_merge_config_selectorIdNS0_10empty_typeEEEZZNS1_27merge_sort_block_merge_implIS3_PdPS5_jNS1_19radix_merge_compareILb1ELb0EdNS0_19identity_decomposerEEEEE10hipError_tT0_T1_T2_jT3_P12ihipStream_tbPNSt15iterator_traitsISE_E10value_typeEPNSK_ISF_E10value_typeEPSG_NS1_7vsmem_tEENKUlT_SE_SF_SG_E_clIS8_S8_S9_S9_EESD_ST_SE_SF_SG_EUlST_E1_NS1_11comp_targetILNS1_3genE5ELNS1_11target_archE942ELNS1_3gpuE9ELNS1_3repE0EEENS1_36merge_oddeven_config_static_selectorELNS0_4arch9wavefront6targetE0EEEvSF_.num_named_barrier, 0
	.set _ZN7rocprim17ROCPRIM_400000_NS6detail17trampoline_kernelINS0_14default_configENS1_38merge_sort_block_merge_config_selectorIdNS0_10empty_typeEEEZZNS1_27merge_sort_block_merge_implIS3_PdPS5_jNS1_19radix_merge_compareILb1ELb0EdNS0_19identity_decomposerEEEEE10hipError_tT0_T1_T2_jT3_P12ihipStream_tbPNSt15iterator_traitsISE_E10value_typeEPNSK_ISF_E10value_typeEPSG_NS1_7vsmem_tEENKUlT_SE_SF_SG_E_clIS8_S8_S9_S9_EESD_ST_SE_SF_SG_EUlST_E1_NS1_11comp_targetILNS1_3genE5ELNS1_11target_archE942ELNS1_3gpuE9ELNS1_3repE0EEENS1_36merge_oddeven_config_static_selectorELNS0_4arch9wavefront6targetE0EEEvSF_.private_seg_size, 0
	.set _ZN7rocprim17ROCPRIM_400000_NS6detail17trampoline_kernelINS0_14default_configENS1_38merge_sort_block_merge_config_selectorIdNS0_10empty_typeEEEZZNS1_27merge_sort_block_merge_implIS3_PdPS5_jNS1_19radix_merge_compareILb1ELb0EdNS0_19identity_decomposerEEEEE10hipError_tT0_T1_T2_jT3_P12ihipStream_tbPNSt15iterator_traitsISE_E10value_typeEPNSK_ISF_E10value_typeEPSG_NS1_7vsmem_tEENKUlT_SE_SF_SG_E_clIS8_S8_S9_S9_EESD_ST_SE_SF_SG_EUlST_E1_NS1_11comp_targetILNS1_3genE5ELNS1_11target_archE942ELNS1_3gpuE9ELNS1_3repE0EEENS1_36merge_oddeven_config_static_selectorELNS0_4arch9wavefront6targetE0EEEvSF_.uses_vcc, 0
	.set _ZN7rocprim17ROCPRIM_400000_NS6detail17trampoline_kernelINS0_14default_configENS1_38merge_sort_block_merge_config_selectorIdNS0_10empty_typeEEEZZNS1_27merge_sort_block_merge_implIS3_PdPS5_jNS1_19radix_merge_compareILb1ELb0EdNS0_19identity_decomposerEEEEE10hipError_tT0_T1_T2_jT3_P12ihipStream_tbPNSt15iterator_traitsISE_E10value_typeEPNSK_ISF_E10value_typeEPSG_NS1_7vsmem_tEENKUlT_SE_SF_SG_E_clIS8_S8_S9_S9_EESD_ST_SE_SF_SG_EUlST_E1_NS1_11comp_targetILNS1_3genE5ELNS1_11target_archE942ELNS1_3gpuE9ELNS1_3repE0EEENS1_36merge_oddeven_config_static_selectorELNS0_4arch9wavefront6targetE0EEEvSF_.uses_flat_scratch, 0
	.set _ZN7rocprim17ROCPRIM_400000_NS6detail17trampoline_kernelINS0_14default_configENS1_38merge_sort_block_merge_config_selectorIdNS0_10empty_typeEEEZZNS1_27merge_sort_block_merge_implIS3_PdPS5_jNS1_19radix_merge_compareILb1ELb0EdNS0_19identity_decomposerEEEEE10hipError_tT0_T1_T2_jT3_P12ihipStream_tbPNSt15iterator_traitsISE_E10value_typeEPNSK_ISF_E10value_typeEPSG_NS1_7vsmem_tEENKUlT_SE_SF_SG_E_clIS8_S8_S9_S9_EESD_ST_SE_SF_SG_EUlST_E1_NS1_11comp_targetILNS1_3genE5ELNS1_11target_archE942ELNS1_3gpuE9ELNS1_3repE0EEENS1_36merge_oddeven_config_static_selectorELNS0_4arch9wavefront6targetE0EEEvSF_.has_dyn_sized_stack, 0
	.set _ZN7rocprim17ROCPRIM_400000_NS6detail17trampoline_kernelINS0_14default_configENS1_38merge_sort_block_merge_config_selectorIdNS0_10empty_typeEEEZZNS1_27merge_sort_block_merge_implIS3_PdPS5_jNS1_19radix_merge_compareILb1ELb0EdNS0_19identity_decomposerEEEEE10hipError_tT0_T1_T2_jT3_P12ihipStream_tbPNSt15iterator_traitsISE_E10value_typeEPNSK_ISF_E10value_typeEPSG_NS1_7vsmem_tEENKUlT_SE_SF_SG_E_clIS8_S8_S9_S9_EESD_ST_SE_SF_SG_EUlST_E1_NS1_11comp_targetILNS1_3genE5ELNS1_11target_archE942ELNS1_3gpuE9ELNS1_3repE0EEENS1_36merge_oddeven_config_static_selectorELNS0_4arch9wavefront6targetE0EEEvSF_.has_recursion, 0
	.set _ZN7rocprim17ROCPRIM_400000_NS6detail17trampoline_kernelINS0_14default_configENS1_38merge_sort_block_merge_config_selectorIdNS0_10empty_typeEEEZZNS1_27merge_sort_block_merge_implIS3_PdPS5_jNS1_19radix_merge_compareILb1ELb0EdNS0_19identity_decomposerEEEEE10hipError_tT0_T1_T2_jT3_P12ihipStream_tbPNSt15iterator_traitsISE_E10value_typeEPNSK_ISF_E10value_typeEPSG_NS1_7vsmem_tEENKUlT_SE_SF_SG_E_clIS8_S8_S9_S9_EESD_ST_SE_SF_SG_EUlST_E1_NS1_11comp_targetILNS1_3genE5ELNS1_11target_archE942ELNS1_3gpuE9ELNS1_3repE0EEENS1_36merge_oddeven_config_static_selectorELNS0_4arch9wavefront6targetE0EEEvSF_.has_indirect_call, 0
	.section	.AMDGPU.csdata,"",@progbits
; Kernel info:
; codeLenInByte = 0
; TotalNumSgprs: 0
; NumVgprs: 0
; ScratchSize: 0
; MemoryBound: 0
; FloatMode: 240
; IeeeMode: 1
; LDSByteSize: 0 bytes/workgroup (compile time only)
; SGPRBlocks: 0
; VGPRBlocks: 0
; NumSGPRsForWavesPerEU: 1
; NumVGPRsForWavesPerEU: 1
; NamedBarCnt: 0
; Occupancy: 16
; WaveLimiterHint : 0
; COMPUTE_PGM_RSRC2:SCRATCH_EN: 0
; COMPUTE_PGM_RSRC2:USER_SGPR: 2
; COMPUTE_PGM_RSRC2:TRAP_HANDLER: 0
; COMPUTE_PGM_RSRC2:TGID_X_EN: 1
; COMPUTE_PGM_RSRC2:TGID_Y_EN: 0
; COMPUTE_PGM_RSRC2:TGID_Z_EN: 0
; COMPUTE_PGM_RSRC2:TIDIG_COMP_CNT: 0
	.section	.text._ZN7rocprim17ROCPRIM_400000_NS6detail17trampoline_kernelINS0_14default_configENS1_38merge_sort_block_merge_config_selectorIdNS0_10empty_typeEEEZZNS1_27merge_sort_block_merge_implIS3_PdPS5_jNS1_19radix_merge_compareILb1ELb0EdNS0_19identity_decomposerEEEEE10hipError_tT0_T1_T2_jT3_P12ihipStream_tbPNSt15iterator_traitsISE_E10value_typeEPNSK_ISF_E10value_typeEPSG_NS1_7vsmem_tEENKUlT_SE_SF_SG_E_clIS8_S8_S9_S9_EESD_ST_SE_SF_SG_EUlST_E1_NS1_11comp_targetILNS1_3genE4ELNS1_11target_archE910ELNS1_3gpuE8ELNS1_3repE0EEENS1_36merge_oddeven_config_static_selectorELNS0_4arch9wavefront6targetE0EEEvSF_,"axG",@progbits,_ZN7rocprim17ROCPRIM_400000_NS6detail17trampoline_kernelINS0_14default_configENS1_38merge_sort_block_merge_config_selectorIdNS0_10empty_typeEEEZZNS1_27merge_sort_block_merge_implIS3_PdPS5_jNS1_19radix_merge_compareILb1ELb0EdNS0_19identity_decomposerEEEEE10hipError_tT0_T1_T2_jT3_P12ihipStream_tbPNSt15iterator_traitsISE_E10value_typeEPNSK_ISF_E10value_typeEPSG_NS1_7vsmem_tEENKUlT_SE_SF_SG_E_clIS8_S8_S9_S9_EESD_ST_SE_SF_SG_EUlST_E1_NS1_11comp_targetILNS1_3genE4ELNS1_11target_archE910ELNS1_3gpuE8ELNS1_3repE0EEENS1_36merge_oddeven_config_static_selectorELNS0_4arch9wavefront6targetE0EEEvSF_,comdat
	.protected	_ZN7rocprim17ROCPRIM_400000_NS6detail17trampoline_kernelINS0_14default_configENS1_38merge_sort_block_merge_config_selectorIdNS0_10empty_typeEEEZZNS1_27merge_sort_block_merge_implIS3_PdPS5_jNS1_19radix_merge_compareILb1ELb0EdNS0_19identity_decomposerEEEEE10hipError_tT0_T1_T2_jT3_P12ihipStream_tbPNSt15iterator_traitsISE_E10value_typeEPNSK_ISF_E10value_typeEPSG_NS1_7vsmem_tEENKUlT_SE_SF_SG_E_clIS8_S8_S9_S9_EESD_ST_SE_SF_SG_EUlST_E1_NS1_11comp_targetILNS1_3genE4ELNS1_11target_archE910ELNS1_3gpuE8ELNS1_3repE0EEENS1_36merge_oddeven_config_static_selectorELNS0_4arch9wavefront6targetE0EEEvSF_ ; -- Begin function _ZN7rocprim17ROCPRIM_400000_NS6detail17trampoline_kernelINS0_14default_configENS1_38merge_sort_block_merge_config_selectorIdNS0_10empty_typeEEEZZNS1_27merge_sort_block_merge_implIS3_PdPS5_jNS1_19radix_merge_compareILb1ELb0EdNS0_19identity_decomposerEEEEE10hipError_tT0_T1_T2_jT3_P12ihipStream_tbPNSt15iterator_traitsISE_E10value_typeEPNSK_ISF_E10value_typeEPSG_NS1_7vsmem_tEENKUlT_SE_SF_SG_E_clIS8_S8_S9_S9_EESD_ST_SE_SF_SG_EUlST_E1_NS1_11comp_targetILNS1_3genE4ELNS1_11target_archE910ELNS1_3gpuE8ELNS1_3repE0EEENS1_36merge_oddeven_config_static_selectorELNS0_4arch9wavefront6targetE0EEEvSF_
	.globl	_ZN7rocprim17ROCPRIM_400000_NS6detail17trampoline_kernelINS0_14default_configENS1_38merge_sort_block_merge_config_selectorIdNS0_10empty_typeEEEZZNS1_27merge_sort_block_merge_implIS3_PdPS5_jNS1_19radix_merge_compareILb1ELb0EdNS0_19identity_decomposerEEEEE10hipError_tT0_T1_T2_jT3_P12ihipStream_tbPNSt15iterator_traitsISE_E10value_typeEPNSK_ISF_E10value_typeEPSG_NS1_7vsmem_tEENKUlT_SE_SF_SG_E_clIS8_S8_S9_S9_EESD_ST_SE_SF_SG_EUlST_E1_NS1_11comp_targetILNS1_3genE4ELNS1_11target_archE910ELNS1_3gpuE8ELNS1_3repE0EEENS1_36merge_oddeven_config_static_selectorELNS0_4arch9wavefront6targetE0EEEvSF_
	.p2align	8
	.type	_ZN7rocprim17ROCPRIM_400000_NS6detail17trampoline_kernelINS0_14default_configENS1_38merge_sort_block_merge_config_selectorIdNS0_10empty_typeEEEZZNS1_27merge_sort_block_merge_implIS3_PdPS5_jNS1_19radix_merge_compareILb1ELb0EdNS0_19identity_decomposerEEEEE10hipError_tT0_T1_T2_jT3_P12ihipStream_tbPNSt15iterator_traitsISE_E10value_typeEPNSK_ISF_E10value_typeEPSG_NS1_7vsmem_tEENKUlT_SE_SF_SG_E_clIS8_S8_S9_S9_EESD_ST_SE_SF_SG_EUlST_E1_NS1_11comp_targetILNS1_3genE4ELNS1_11target_archE910ELNS1_3gpuE8ELNS1_3repE0EEENS1_36merge_oddeven_config_static_selectorELNS0_4arch9wavefront6targetE0EEEvSF_,@function
_ZN7rocprim17ROCPRIM_400000_NS6detail17trampoline_kernelINS0_14default_configENS1_38merge_sort_block_merge_config_selectorIdNS0_10empty_typeEEEZZNS1_27merge_sort_block_merge_implIS3_PdPS5_jNS1_19radix_merge_compareILb1ELb0EdNS0_19identity_decomposerEEEEE10hipError_tT0_T1_T2_jT3_P12ihipStream_tbPNSt15iterator_traitsISE_E10value_typeEPNSK_ISF_E10value_typeEPSG_NS1_7vsmem_tEENKUlT_SE_SF_SG_E_clIS8_S8_S9_S9_EESD_ST_SE_SF_SG_EUlST_E1_NS1_11comp_targetILNS1_3genE4ELNS1_11target_archE910ELNS1_3gpuE8ELNS1_3repE0EEENS1_36merge_oddeven_config_static_selectorELNS0_4arch9wavefront6targetE0EEEvSF_: ; @_ZN7rocprim17ROCPRIM_400000_NS6detail17trampoline_kernelINS0_14default_configENS1_38merge_sort_block_merge_config_selectorIdNS0_10empty_typeEEEZZNS1_27merge_sort_block_merge_implIS3_PdPS5_jNS1_19radix_merge_compareILb1ELb0EdNS0_19identity_decomposerEEEEE10hipError_tT0_T1_T2_jT3_P12ihipStream_tbPNSt15iterator_traitsISE_E10value_typeEPNSK_ISF_E10value_typeEPSG_NS1_7vsmem_tEENKUlT_SE_SF_SG_E_clIS8_S8_S9_S9_EESD_ST_SE_SF_SG_EUlST_E1_NS1_11comp_targetILNS1_3genE4ELNS1_11target_archE910ELNS1_3gpuE8ELNS1_3repE0EEENS1_36merge_oddeven_config_static_selectorELNS0_4arch9wavefront6targetE0EEEvSF_
; %bb.0:
	.section	.rodata,"a",@progbits
	.p2align	6, 0x0
	.amdhsa_kernel _ZN7rocprim17ROCPRIM_400000_NS6detail17trampoline_kernelINS0_14default_configENS1_38merge_sort_block_merge_config_selectorIdNS0_10empty_typeEEEZZNS1_27merge_sort_block_merge_implIS3_PdPS5_jNS1_19radix_merge_compareILb1ELb0EdNS0_19identity_decomposerEEEEE10hipError_tT0_T1_T2_jT3_P12ihipStream_tbPNSt15iterator_traitsISE_E10value_typeEPNSK_ISF_E10value_typeEPSG_NS1_7vsmem_tEENKUlT_SE_SF_SG_E_clIS8_S8_S9_S9_EESD_ST_SE_SF_SG_EUlST_E1_NS1_11comp_targetILNS1_3genE4ELNS1_11target_archE910ELNS1_3gpuE8ELNS1_3repE0EEENS1_36merge_oddeven_config_static_selectorELNS0_4arch9wavefront6targetE0EEEvSF_
		.amdhsa_group_segment_fixed_size 0
		.amdhsa_private_segment_fixed_size 0
		.amdhsa_kernarg_size 48
		.amdhsa_user_sgpr_count 2
		.amdhsa_user_sgpr_dispatch_ptr 0
		.amdhsa_user_sgpr_queue_ptr 0
		.amdhsa_user_sgpr_kernarg_segment_ptr 1
		.amdhsa_user_sgpr_dispatch_id 0
		.amdhsa_user_sgpr_kernarg_preload_length 0
		.amdhsa_user_sgpr_kernarg_preload_offset 0
		.amdhsa_user_sgpr_private_segment_size 0
		.amdhsa_wavefront_size32 1
		.amdhsa_uses_dynamic_stack 0
		.amdhsa_enable_private_segment 0
		.amdhsa_system_sgpr_workgroup_id_x 1
		.amdhsa_system_sgpr_workgroup_id_y 0
		.amdhsa_system_sgpr_workgroup_id_z 0
		.amdhsa_system_sgpr_workgroup_info 0
		.amdhsa_system_vgpr_workitem_id 0
		.amdhsa_next_free_vgpr 1
		.amdhsa_next_free_sgpr 1
		.amdhsa_named_barrier_count 0
		.amdhsa_reserve_vcc 0
		.amdhsa_float_round_mode_32 0
		.amdhsa_float_round_mode_16_64 0
		.amdhsa_float_denorm_mode_32 3
		.amdhsa_float_denorm_mode_16_64 3
		.amdhsa_fp16_overflow 0
		.amdhsa_memory_ordered 1
		.amdhsa_forward_progress 1
		.amdhsa_inst_pref_size 0
		.amdhsa_round_robin_scheduling 0
		.amdhsa_exception_fp_ieee_invalid_op 0
		.amdhsa_exception_fp_denorm_src 0
		.amdhsa_exception_fp_ieee_div_zero 0
		.amdhsa_exception_fp_ieee_overflow 0
		.amdhsa_exception_fp_ieee_underflow 0
		.amdhsa_exception_fp_ieee_inexact 0
		.amdhsa_exception_int_div_zero 0
	.end_amdhsa_kernel
	.section	.text._ZN7rocprim17ROCPRIM_400000_NS6detail17trampoline_kernelINS0_14default_configENS1_38merge_sort_block_merge_config_selectorIdNS0_10empty_typeEEEZZNS1_27merge_sort_block_merge_implIS3_PdPS5_jNS1_19radix_merge_compareILb1ELb0EdNS0_19identity_decomposerEEEEE10hipError_tT0_T1_T2_jT3_P12ihipStream_tbPNSt15iterator_traitsISE_E10value_typeEPNSK_ISF_E10value_typeEPSG_NS1_7vsmem_tEENKUlT_SE_SF_SG_E_clIS8_S8_S9_S9_EESD_ST_SE_SF_SG_EUlST_E1_NS1_11comp_targetILNS1_3genE4ELNS1_11target_archE910ELNS1_3gpuE8ELNS1_3repE0EEENS1_36merge_oddeven_config_static_selectorELNS0_4arch9wavefront6targetE0EEEvSF_,"axG",@progbits,_ZN7rocprim17ROCPRIM_400000_NS6detail17trampoline_kernelINS0_14default_configENS1_38merge_sort_block_merge_config_selectorIdNS0_10empty_typeEEEZZNS1_27merge_sort_block_merge_implIS3_PdPS5_jNS1_19radix_merge_compareILb1ELb0EdNS0_19identity_decomposerEEEEE10hipError_tT0_T1_T2_jT3_P12ihipStream_tbPNSt15iterator_traitsISE_E10value_typeEPNSK_ISF_E10value_typeEPSG_NS1_7vsmem_tEENKUlT_SE_SF_SG_E_clIS8_S8_S9_S9_EESD_ST_SE_SF_SG_EUlST_E1_NS1_11comp_targetILNS1_3genE4ELNS1_11target_archE910ELNS1_3gpuE8ELNS1_3repE0EEENS1_36merge_oddeven_config_static_selectorELNS0_4arch9wavefront6targetE0EEEvSF_,comdat
.Lfunc_end1479:
	.size	_ZN7rocprim17ROCPRIM_400000_NS6detail17trampoline_kernelINS0_14default_configENS1_38merge_sort_block_merge_config_selectorIdNS0_10empty_typeEEEZZNS1_27merge_sort_block_merge_implIS3_PdPS5_jNS1_19radix_merge_compareILb1ELb0EdNS0_19identity_decomposerEEEEE10hipError_tT0_T1_T2_jT3_P12ihipStream_tbPNSt15iterator_traitsISE_E10value_typeEPNSK_ISF_E10value_typeEPSG_NS1_7vsmem_tEENKUlT_SE_SF_SG_E_clIS8_S8_S9_S9_EESD_ST_SE_SF_SG_EUlST_E1_NS1_11comp_targetILNS1_3genE4ELNS1_11target_archE910ELNS1_3gpuE8ELNS1_3repE0EEENS1_36merge_oddeven_config_static_selectorELNS0_4arch9wavefront6targetE0EEEvSF_, .Lfunc_end1479-_ZN7rocprim17ROCPRIM_400000_NS6detail17trampoline_kernelINS0_14default_configENS1_38merge_sort_block_merge_config_selectorIdNS0_10empty_typeEEEZZNS1_27merge_sort_block_merge_implIS3_PdPS5_jNS1_19radix_merge_compareILb1ELb0EdNS0_19identity_decomposerEEEEE10hipError_tT0_T1_T2_jT3_P12ihipStream_tbPNSt15iterator_traitsISE_E10value_typeEPNSK_ISF_E10value_typeEPSG_NS1_7vsmem_tEENKUlT_SE_SF_SG_E_clIS8_S8_S9_S9_EESD_ST_SE_SF_SG_EUlST_E1_NS1_11comp_targetILNS1_3genE4ELNS1_11target_archE910ELNS1_3gpuE8ELNS1_3repE0EEENS1_36merge_oddeven_config_static_selectorELNS0_4arch9wavefront6targetE0EEEvSF_
                                        ; -- End function
	.set _ZN7rocprim17ROCPRIM_400000_NS6detail17trampoline_kernelINS0_14default_configENS1_38merge_sort_block_merge_config_selectorIdNS0_10empty_typeEEEZZNS1_27merge_sort_block_merge_implIS3_PdPS5_jNS1_19radix_merge_compareILb1ELb0EdNS0_19identity_decomposerEEEEE10hipError_tT0_T1_T2_jT3_P12ihipStream_tbPNSt15iterator_traitsISE_E10value_typeEPNSK_ISF_E10value_typeEPSG_NS1_7vsmem_tEENKUlT_SE_SF_SG_E_clIS8_S8_S9_S9_EESD_ST_SE_SF_SG_EUlST_E1_NS1_11comp_targetILNS1_3genE4ELNS1_11target_archE910ELNS1_3gpuE8ELNS1_3repE0EEENS1_36merge_oddeven_config_static_selectorELNS0_4arch9wavefront6targetE0EEEvSF_.num_vgpr, 0
	.set _ZN7rocprim17ROCPRIM_400000_NS6detail17trampoline_kernelINS0_14default_configENS1_38merge_sort_block_merge_config_selectorIdNS0_10empty_typeEEEZZNS1_27merge_sort_block_merge_implIS3_PdPS5_jNS1_19radix_merge_compareILb1ELb0EdNS0_19identity_decomposerEEEEE10hipError_tT0_T1_T2_jT3_P12ihipStream_tbPNSt15iterator_traitsISE_E10value_typeEPNSK_ISF_E10value_typeEPSG_NS1_7vsmem_tEENKUlT_SE_SF_SG_E_clIS8_S8_S9_S9_EESD_ST_SE_SF_SG_EUlST_E1_NS1_11comp_targetILNS1_3genE4ELNS1_11target_archE910ELNS1_3gpuE8ELNS1_3repE0EEENS1_36merge_oddeven_config_static_selectorELNS0_4arch9wavefront6targetE0EEEvSF_.num_agpr, 0
	.set _ZN7rocprim17ROCPRIM_400000_NS6detail17trampoline_kernelINS0_14default_configENS1_38merge_sort_block_merge_config_selectorIdNS0_10empty_typeEEEZZNS1_27merge_sort_block_merge_implIS3_PdPS5_jNS1_19radix_merge_compareILb1ELb0EdNS0_19identity_decomposerEEEEE10hipError_tT0_T1_T2_jT3_P12ihipStream_tbPNSt15iterator_traitsISE_E10value_typeEPNSK_ISF_E10value_typeEPSG_NS1_7vsmem_tEENKUlT_SE_SF_SG_E_clIS8_S8_S9_S9_EESD_ST_SE_SF_SG_EUlST_E1_NS1_11comp_targetILNS1_3genE4ELNS1_11target_archE910ELNS1_3gpuE8ELNS1_3repE0EEENS1_36merge_oddeven_config_static_selectorELNS0_4arch9wavefront6targetE0EEEvSF_.numbered_sgpr, 0
	.set _ZN7rocprim17ROCPRIM_400000_NS6detail17trampoline_kernelINS0_14default_configENS1_38merge_sort_block_merge_config_selectorIdNS0_10empty_typeEEEZZNS1_27merge_sort_block_merge_implIS3_PdPS5_jNS1_19radix_merge_compareILb1ELb0EdNS0_19identity_decomposerEEEEE10hipError_tT0_T1_T2_jT3_P12ihipStream_tbPNSt15iterator_traitsISE_E10value_typeEPNSK_ISF_E10value_typeEPSG_NS1_7vsmem_tEENKUlT_SE_SF_SG_E_clIS8_S8_S9_S9_EESD_ST_SE_SF_SG_EUlST_E1_NS1_11comp_targetILNS1_3genE4ELNS1_11target_archE910ELNS1_3gpuE8ELNS1_3repE0EEENS1_36merge_oddeven_config_static_selectorELNS0_4arch9wavefront6targetE0EEEvSF_.num_named_barrier, 0
	.set _ZN7rocprim17ROCPRIM_400000_NS6detail17trampoline_kernelINS0_14default_configENS1_38merge_sort_block_merge_config_selectorIdNS0_10empty_typeEEEZZNS1_27merge_sort_block_merge_implIS3_PdPS5_jNS1_19radix_merge_compareILb1ELb0EdNS0_19identity_decomposerEEEEE10hipError_tT0_T1_T2_jT3_P12ihipStream_tbPNSt15iterator_traitsISE_E10value_typeEPNSK_ISF_E10value_typeEPSG_NS1_7vsmem_tEENKUlT_SE_SF_SG_E_clIS8_S8_S9_S9_EESD_ST_SE_SF_SG_EUlST_E1_NS1_11comp_targetILNS1_3genE4ELNS1_11target_archE910ELNS1_3gpuE8ELNS1_3repE0EEENS1_36merge_oddeven_config_static_selectorELNS0_4arch9wavefront6targetE0EEEvSF_.private_seg_size, 0
	.set _ZN7rocprim17ROCPRIM_400000_NS6detail17trampoline_kernelINS0_14default_configENS1_38merge_sort_block_merge_config_selectorIdNS0_10empty_typeEEEZZNS1_27merge_sort_block_merge_implIS3_PdPS5_jNS1_19radix_merge_compareILb1ELb0EdNS0_19identity_decomposerEEEEE10hipError_tT0_T1_T2_jT3_P12ihipStream_tbPNSt15iterator_traitsISE_E10value_typeEPNSK_ISF_E10value_typeEPSG_NS1_7vsmem_tEENKUlT_SE_SF_SG_E_clIS8_S8_S9_S9_EESD_ST_SE_SF_SG_EUlST_E1_NS1_11comp_targetILNS1_3genE4ELNS1_11target_archE910ELNS1_3gpuE8ELNS1_3repE0EEENS1_36merge_oddeven_config_static_selectorELNS0_4arch9wavefront6targetE0EEEvSF_.uses_vcc, 0
	.set _ZN7rocprim17ROCPRIM_400000_NS6detail17trampoline_kernelINS0_14default_configENS1_38merge_sort_block_merge_config_selectorIdNS0_10empty_typeEEEZZNS1_27merge_sort_block_merge_implIS3_PdPS5_jNS1_19radix_merge_compareILb1ELb0EdNS0_19identity_decomposerEEEEE10hipError_tT0_T1_T2_jT3_P12ihipStream_tbPNSt15iterator_traitsISE_E10value_typeEPNSK_ISF_E10value_typeEPSG_NS1_7vsmem_tEENKUlT_SE_SF_SG_E_clIS8_S8_S9_S9_EESD_ST_SE_SF_SG_EUlST_E1_NS1_11comp_targetILNS1_3genE4ELNS1_11target_archE910ELNS1_3gpuE8ELNS1_3repE0EEENS1_36merge_oddeven_config_static_selectorELNS0_4arch9wavefront6targetE0EEEvSF_.uses_flat_scratch, 0
	.set _ZN7rocprim17ROCPRIM_400000_NS6detail17trampoline_kernelINS0_14default_configENS1_38merge_sort_block_merge_config_selectorIdNS0_10empty_typeEEEZZNS1_27merge_sort_block_merge_implIS3_PdPS5_jNS1_19radix_merge_compareILb1ELb0EdNS0_19identity_decomposerEEEEE10hipError_tT0_T1_T2_jT3_P12ihipStream_tbPNSt15iterator_traitsISE_E10value_typeEPNSK_ISF_E10value_typeEPSG_NS1_7vsmem_tEENKUlT_SE_SF_SG_E_clIS8_S8_S9_S9_EESD_ST_SE_SF_SG_EUlST_E1_NS1_11comp_targetILNS1_3genE4ELNS1_11target_archE910ELNS1_3gpuE8ELNS1_3repE0EEENS1_36merge_oddeven_config_static_selectorELNS0_4arch9wavefront6targetE0EEEvSF_.has_dyn_sized_stack, 0
	.set _ZN7rocprim17ROCPRIM_400000_NS6detail17trampoline_kernelINS0_14default_configENS1_38merge_sort_block_merge_config_selectorIdNS0_10empty_typeEEEZZNS1_27merge_sort_block_merge_implIS3_PdPS5_jNS1_19radix_merge_compareILb1ELb0EdNS0_19identity_decomposerEEEEE10hipError_tT0_T1_T2_jT3_P12ihipStream_tbPNSt15iterator_traitsISE_E10value_typeEPNSK_ISF_E10value_typeEPSG_NS1_7vsmem_tEENKUlT_SE_SF_SG_E_clIS8_S8_S9_S9_EESD_ST_SE_SF_SG_EUlST_E1_NS1_11comp_targetILNS1_3genE4ELNS1_11target_archE910ELNS1_3gpuE8ELNS1_3repE0EEENS1_36merge_oddeven_config_static_selectorELNS0_4arch9wavefront6targetE0EEEvSF_.has_recursion, 0
	.set _ZN7rocprim17ROCPRIM_400000_NS6detail17trampoline_kernelINS0_14default_configENS1_38merge_sort_block_merge_config_selectorIdNS0_10empty_typeEEEZZNS1_27merge_sort_block_merge_implIS3_PdPS5_jNS1_19radix_merge_compareILb1ELb0EdNS0_19identity_decomposerEEEEE10hipError_tT0_T1_T2_jT3_P12ihipStream_tbPNSt15iterator_traitsISE_E10value_typeEPNSK_ISF_E10value_typeEPSG_NS1_7vsmem_tEENKUlT_SE_SF_SG_E_clIS8_S8_S9_S9_EESD_ST_SE_SF_SG_EUlST_E1_NS1_11comp_targetILNS1_3genE4ELNS1_11target_archE910ELNS1_3gpuE8ELNS1_3repE0EEENS1_36merge_oddeven_config_static_selectorELNS0_4arch9wavefront6targetE0EEEvSF_.has_indirect_call, 0
	.section	.AMDGPU.csdata,"",@progbits
; Kernel info:
; codeLenInByte = 0
; TotalNumSgprs: 0
; NumVgprs: 0
; ScratchSize: 0
; MemoryBound: 0
; FloatMode: 240
; IeeeMode: 1
; LDSByteSize: 0 bytes/workgroup (compile time only)
; SGPRBlocks: 0
; VGPRBlocks: 0
; NumSGPRsForWavesPerEU: 1
; NumVGPRsForWavesPerEU: 1
; NamedBarCnt: 0
; Occupancy: 16
; WaveLimiterHint : 0
; COMPUTE_PGM_RSRC2:SCRATCH_EN: 0
; COMPUTE_PGM_RSRC2:USER_SGPR: 2
; COMPUTE_PGM_RSRC2:TRAP_HANDLER: 0
; COMPUTE_PGM_RSRC2:TGID_X_EN: 1
; COMPUTE_PGM_RSRC2:TGID_Y_EN: 0
; COMPUTE_PGM_RSRC2:TGID_Z_EN: 0
; COMPUTE_PGM_RSRC2:TIDIG_COMP_CNT: 0
	.section	.text._ZN7rocprim17ROCPRIM_400000_NS6detail17trampoline_kernelINS0_14default_configENS1_38merge_sort_block_merge_config_selectorIdNS0_10empty_typeEEEZZNS1_27merge_sort_block_merge_implIS3_PdPS5_jNS1_19radix_merge_compareILb1ELb0EdNS0_19identity_decomposerEEEEE10hipError_tT0_T1_T2_jT3_P12ihipStream_tbPNSt15iterator_traitsISE_E10value_typeEPNSK_ISF_E10value_typeEPSG_NS1_7vsmem_tEENKUlT_SE_SF_SG_E_clIS8_S8_S9_S9_EESD_ST_SE_SF_SG_EUlST_E1_NS1_11comp_targetILNS1_3genE3ELNS1_11target_archE908ELNS1_3gpuE7ELNS1_3repE0EEENS1_36merge_oddeven_config_static_selectorELNS0_4arch9wavefront6targetE0EEEvSF_,"axG",@progbits,_ZN7rocprim17ROCPRIM_400000_NS6detail17trampoline_kernelINS0_14default_configENS1_38merge_sort_block_merge_config_selectorIdNS0_10empty_typeEEEZZNS1_27merge_sort_block_merge_implIS3_PdPS5_jNS1_19radix_merge_compareILb1ELb0EdNS0_19identity_decomposerEEEEE10hipError_tT0_T1_T2_jT3_P12ihipStream_tbPNSt15iterator_traitsISE_E10value_typeEPNSK_ISF_E10value_typeEPSG_NS1_7vsmem_tEENKUlT_SE_SF_SG_E_clIS8_S8_S9_S9_EESD_ST_SE_SF_SG_EUlST_E1_NS1_11comp_targetILNS1_3genE3ELNS1_11target_archE908ELNS1_3gpuE7ELNS1_3repE0EEENS1_36merge_oddeven_config_static_selectorELNS0_4arch9wavefront6targetE0EEEvSF_,comdat
	.protected	_ZN7rocprim17ROCPRIM_400000_NS6detail17trampoline_kernelINS0_14default_configENS1_38merge_sort_block_merge_config_selectorIdNS0_10empty_typeEEEZZNS1_27merge_sort_block_merge_implIS3_PdPS5_jNS1_19radix_merge_compareILb1ELb0EdNS0_19identity_decomposerEEEEE10hipError_tT0_T1_T2_jT3_P12ihipStream_tbPNSt15iterator_traitsISE_E10value_typeEPNSK_ISF_E10value_typeEPSG_NS1_7vsmem_tEENKUlT_SE_SF_SG_E_clIS8_S8_S9_S9_EESD_ST_SE_SF_SG_EUlST_E1_NS1_11comp_targetILNS1_3genE3ELNS1_11target_archE908ELNS1_3gpuE7ELNS1_3repE0EEENS1_36merge_oddeven_config_static_selectorELNS0_4arch9wavefront6targetE0EEEvSF_ ; -- Begin function _ZN7rocprim17ROCPRIM_400000_NS6detail17trampoline_kernelINS0_14default_configENS1_38merge_sort_block_merge_config_selectorIdNS0_10empty_typeEEEZZNS1_27merge_sort_block_merge_implIS3_PdPS5_jNS1_19radix_merge_compareILb1ELb0EdNS0_19identity_decomposerEEEEE10hipError_tT0_T1_T2_jT3_P12ihipStream_tbPNSt15iterator_traitsISE_E10value_typeEPNSK_ISF_E10value_typeEPSG_NS1_7vsmem_tEENKUlT_SE_SF_SG_E_clIS8_S8_S9_S9_EESD_ST_SE_SF_SG_EUlST_E1_NS1_11comp_targetILNS1_3genE3ELNS1_11target_archE908ELNS1_3gpuE7ELNS1_3repE0EEENS1_36merge_oddeven_config_static_selectorELNS0_4arch9wavefront6targetE0EEEvSF_
	.globl	_ZN7rocprim17ROCPRIM_400000_NS6detail17trampoline_kernelINS0_14default_configENS1_38merge_sort_block_merge_config_selectorIdNS0_10empty_typeEEEZZNS1_27merge_sort_block_merge_implIS3_PdPS5_jNS1_19radix_merge_compareILb1ELb0EdNS0_19identity_decomposerEEEEE10hipError_tT0_T1_T2_jT3_P12ihipStream_tbPNSt15iterator_traitsISE_E10value_typeEPNSK_ISF_E10value_typeEPSG_NS1_7vsmem_tEENKUlT_SE_SF_SG_E_clIS8_S8_S9_S9_EESD_ST_SE_SF_SG_EUlST_E1_NS1_11comp_targetILNS1_3genE3ELNS1_11target_archE908ELNS1_3gpuE7ELNS1_3repE0EEENS1_36merge_oddeven_config_static_selectorELNS0_4arch9wavefront6targetE0EEEvSF_
	.p2align	8
	.type	_ZN7rocprim17ROCPRIM_400000_NS6detail17trampoline_kernelINS0_14default_configENS1_38merge_sort_block_merge_config_selectorIdNS0_10empty_typeEEEZZNS1_27merge_sort_block_merge_implIS3_PdPS5_jNS1_19radix_merge_compareILb1ELb0EdNS0_19identity_decomposerEEEEE10hipError_tT0_T1_T2_jT3_P12ihipStream_tbPNSt15iterator_traitsISE_E10value_typeEPNSK_ISF_E10value_typeEPSG_NS1_7vsmem_tEENKUlT_SE_SF_SG_E_clIS8_S8_S9_S9_EESD_ST_SE_SF_SG_EUlST_E1_NS1_11comp_targetILNS1_3genE3ELNS1_11target_archE908ELNS1_3gpuE7ELNS1_3repE0EEENS1_36merge_oddeven_config_static_selectorELNS0_4arch9wavefront6targetE0EEEvSF_,@function
_ZN7rocprim17ROCPRIM_400000_NS6detail17trampoline_kernelINS0_14default_configENS1_38merge_sort_block_merge_config_selectorIdNS0_10empty_typeEEEZZNS1_27merge_sort_block_merge_implIS3_PdPS5_jNS1_19radix_merge_compareILb1ELb0EdNS0_19identity_decomposerEEEEE10hipError_tT0_T1_T2_jT3_P12ihipStream_tbPNSt15iterator_traitsISE_E10value_typeEPNSK_ISF_E10value_typeEPSG_NS1_7vsmem_tEENKUlT_SE_SF_SG_E_clIS8_S8_S9_S9_EESD_ST_SE_SF_SG_EUlST_E1_NS1_11comp_targetILNS1_3genE3ELNS1_11target_archE908ELNS1_3gpuE7ELNS1_3repE0EEENS1_36merge_oddeven_config_static_selectorELNS0_4arch9wavefront6targetE0EEEvSF_: ; @_ZN7rocprim17ROCPRIM_400000_NS6detail17trampoline_kernelINS0_14default_configENS1_38merge_sort_block_merge_config_selectorIdNS0_10empty_typeEEEZZNS1_27merge_sort_block_merge_implIS3_PdPS5_jNS1_19radix_merge_compareILb1ELb0EdNS0_19identity_decomposerEEEEE10hipError_tT0_T1_T2_jT3_P12ihipStream_tbPNSt15iterator_traitsISE_E10value_typeEPNSK_ISF_E10value_typeEPSG_NS1_7vsmem_tEENKUlT_SE_SF_SG_E_clIS8_S8_S9_S9_EESD_ST_SE_SF_SG_EUlST_E1_NS1_11comp_targetILNS1_3genE3ELNS1_11target_archE908ELNS1_3gpuE7ELNS1_3repE0EEENS1_36merge_oddeven_config_static_selectorELNS0_4arch9wavefront6targetE0EEEvSF_
; %bb.0:
	.section	.rodata,"a",@progbits
	.p2align	6, 0x0
	.amdhsa_kernel _ZN7rocprim17ROCPRIM_400000_NS6detail17trampoline_kernelINS0_14default_configENS1_38merge_sort_block_merge_config_selectorIdNS0_10empty_typeEEEZZNS1_27merge_sort_block_merge_implIS3_PdPS5_jNS1_19radix_merge_compareILb1ELb0EdNS0_19identity_decomposerEEEEE10hipError_tT0_T1_T2_jT3_P12ihipStream_tbPNSt15iterator_traitsISE_E10value_typeEPNSK_ISF_E10value_typeEPSG_NS1_7vsmem_tEENKUlT_SE_SF_SG_E_clIS8_S8_S9_S9_EESD_ST_SE_SF_SG_EUlST_E1_NS1_11comp_targetILNS1_3genE3ELNS1_11target_archE908ELNS1_3gpuE7ELNS1_3repE0EEENS1_36merge_oddeven_config_static_selectorELNS0_4arch9wavefront6targetE0EEEvSF_
		.amdhsa_group_segment_fixed_size 0
		.amdhsa_private_segment_fixed_size 0
		.amdhsa_kernarg_size 48
		.amdhsa_user_sgpr_count 2
		.amdhsa_user_sgpr_dispatch_ptr 0
		.amdhsa_user_sgpr_queue_ptr 0
		.amdhsa_user_sgpr_kernarg_segment_ptr 1
		.amdhsa_user_sgpr_dispatch_id 0
		.amdhsa_user_sgpr_kernarg_preload_length 0
		.amdhsa_user_sgpr_kernarg_preload_offset 0
		.amdhsa_user_sgpr_private_segment_size 0
		.amdhsa_wavefront_size32 1
		.amdhsa_uses_dynamic_stack 0
		.amdhsa_enable_private_segment 0
		.amdhsa_system_sgpr_workgroup_id_x 1
		.amdhsa_system_sgpr_workgroup_id_y 0
		.amdhsa_system_sgpr_workgroup_id_z 0
		.amdhsa_system_sgpr_workgroup_info 0
		.amdhsa_system_vgpr_workitem_id 0
		.amdhsa_next_free_vgpr 1
		.amdhsa_next_free_sgpr 1
		.amdhsa_named_barrier_count 0
		.amdhsa_reserve_vcc 0
		.amdhsa_float_round_mode_32 0
		.amdhsa_float_round_mode_16_64 0
		.amdhsa_float_denorm_mode_32 3
		.amdhsa_float_denorm_mode_16_64 3
		.amdhsa_fp16_overflow 0
		.amdhsa_memory_ordered 1
		.amdhsa_forward_progress 1
		.amdhsa_inst_pref_size 0
		.amdhsa_round_robin_scheduling 0
		.amdhsa_exception_fp_ieee_invalid_op 0
		.amdhsa_exception_fp_denorm_src 0
		.amdhsa_exception_fp_ieee_div_zero 0
		.amdhsa_exception_fp_ieee_overflow 0
		.amdhsa_exception_fp_ieee_underflow 0
		.amdhsa_exception_fp_ieee_inexact 0
		.amdhsa_exception_int_div_zero 0
	.end_amdhsa_kernel
	.section	.text._ZN7rocprim17ROCPRIM_400000_NS6detail17trampoline_kernelINS0_14default_configENS1_38merge_sort_block_merge_config_selectorIdNS0_10empty_typeEEEZZNS1_27merge_sort_block_merge_implIS3_PdPS5_jNS1_19radix_merge_compareILb1ELb0EdNS0_19identity_decomposerEEEEE10hipError_tT0_T1_T2_jT3_P12ihipStream_tbPNSt15iterator_traitsISE_E10value_typeEPNSK_ISF_E10value_typeEPSG_NS1_7vsmem_tEENKUlT_SE_SF_SG_E_clIS8_S8_S9_S9_EESD_ST_SE_SF_SG_EUlST_E1_NS1_11comp_targetILNS1_3genE3ELNS1_11target_archE908ELNS1_3gpuE7ELNS1_3repE0EEENS1_36merge_oddeven_config_static_selectorELNS0_4arch9wavefront6targetE0EEEvSF_,"axG",@progbits,_ZN7rocprim17ROCPRIM_400000_NS6detail17trampoline_kernelINS0_14default_configENS1_38merge_sort_block_merge_config_selectorIdNS0_10empty_typeEEEZZNS1_27merge_sort_block_merge_implIS3_PdPS5_jNS1_19radix_merge_compareILb1ELb0EdNS0_19identity_decomposerEEEEE10hipError_tT0_T1_T2_jT3_P12ihipStream_tbPNSt15iterator_traitsISE_E10value_typeEPNSK_ISF_E10value_typeEPSG_NS1_7vsmem_tEENKUlT_SE_SF_SG_E_clIS8_S8_S9_S9_EESD_ST_SE_SF_SG_EUlST_E1_NS1_11comp_targetILNS1_3genE3ELNS1_11target_archE908ELNS1_3gpuE7ELNS1_3repE0EEENS1_36merge_oddeven_config_static_selectorELNS0_4arch9wavefront6targetE0EEEvSF_,comdat
.Lfunc_end1480:
	.size	_ZN7rocprim17ROCPRIM_400000_NS6detail17trampoline_kernelINS0_14default_configENS1_38merge_sort_block_merge_config_selectorIdNS0_10empty_typeEEEZZNS1_27merge_sort_block_merge_implIS3_PdPS5_jNS1_19radix_merge_compareILb1ELb0EdNS0_19identity_decomposerEEEEE10hipError_tT0_T1_T2_jT3_P12ihipStream_tbPNSt15iterator_traitsISE_E10value_typeEPNSK_ISF_E10value_typeEPSG_NS1_7vsmem_tEENKUlT_SE_SF_SG_E_clIS8_S8_S9_S9_EESD_ST_SE_SF_SG_EUlST_E1_NS1_11comp_targetILNS1_3genE3ELNS1_11target_archE908ELNS1_3gpuE7ELNS1_3repE0EEENS1_36merge_oddeven_config_static_selectorELNS0_4arch9wavefront6targetE0EEEvSF_, .Lfunc_end1480-_ZN7rocprim17ROCPRIM_400000_NS6detail17trampoline_kernelINS0_14default_configENS1_38merge_sort_block_merge_config_selectorIdNS0_10empty_typeEEEZZNS1_27merge_sort_block_merge_implIS3_PdPS5_jNS1_19radix_merge_compareILb1ELb0EdNS0_19identity_decomposerEEEEE10hipError_tT0_T1_T2_jT3_P12ihipStream_tbPNSt15iterator_traitsISE_E10value_typeEPNSK_ISF_E10value_typeEPSG_NS1_7vsmem_tEENKUlT_SE_SF_SG_E_clIS8_S8_S9_S9_EESD_ST_SE_SF_SG_EUlST_E1_NS1_11comp_targetILNS1_3genE3ELNS1_11target_archE908ELNS1_3gpuE7ELNS1_3repE0EEENS1_36merge_oddeven_config_static_selectorELNS0_4arch9wavefront6targetE0EEEvSF_
                                        ; -- End function
	.set _ZN7rocprim17ROCPRIM_400000_NS6detail17trampoline_kernelINS0_14default_configENS1_38merge_sort_block_merge_config_selectorIdNS0_10empty_typeEEEZZNS1_27merge_sort_block_merge_implIS3_PdPS5_jNS1_19radix_merge_compareILb1ELb0EdNS0_19identity_decomposerEEEEE10hipError_tT0_T1_T2_jT3_P12ihipStream_tbPNSt15iterator_traitsISE_E10value_typeEPNSK_ISF_E10value_typeEPSG_NS1_7vsmem_tEENKUlT_SE_SF_SG_E_clIS8_S8_S9_S9_EESD_ST_SE_SF_SG_EUlST_E1_NS1_11comp_targetILNS1_3genE3ELNS1_11target_archE908ELNS1_3gpuE7ELNS1_3repE0EEENS1_36merge_oddeven_config_static_selectorELNS0_4arch9wavefront6targetE0EEEvSF_.num_vgpr, 0
	.set _ZN7rocprim17ROCPRIM_400000_NS6detail17trampoline_kernelINS0_14default_configENS1_38merge_sort_block_merge_config_selectorIdNS0_10empty_typeEEEZZNS1_27merge_sort_block_merge_implIS3_PdPS5_jNS1_19radix_merge_compareILb1ELb0EdNS0_19identity_decomposerEEEEE10hipError_tT0_T1_T2_jT3_P12ihipStream_tbPNSt15iterator_traitsISE_E10value_typeEPNSK_ISF_E10value_typeEPSG_NS1_7vsmem_tEENKUlT_SE_SF_SG_E_clIS8_S8_S9_S9_EESD_ST_SE_SF_SG_EUlST_E1_NS1_11comp_targetILNS1_3genE3ELNS1_11target_archE908ELNS1_3gpuE7ELNS1_3repE0EEENS1_36merge_oddeven_config_static_selectorELNS0_4arch9wavefront6targetE0EEEvSF_.num_agpr, 0
	.set _ZN7rocprim17ROCPRIM_400000_NS6detail17trampoline_kernelINS0_14default_configENS1_38merge_sort_block_merge_config_selectorIdNS0_10empty_typeEEEZZNS1_27merge_sort_block_merge_implIS3_PdPS5_jNS1_19radix_merge_compareILb1ELb0EdNS0_19identity_decomposerEEEEE10hipError_tT0_T1_T2_jT3_P12ihipStream_tbPNSt15iterator_traitsISE_E10value_typeEPNSK_ISF_E10value_typeEPSG_NS1_7vsmem_tEENKUlT_SE_SF_SG_E_clIS8_S8_S9_S9_EESD_ST_SE_SF_SG_EUlST_E1_NS1_11comp_targetILNS1_3genE3ELNS1_11target_archE908ELNS1_3gpuE7ELNS1_3repE0EEENS1_36merge_oddeven_config_static_selectorELNS0_4arch9wavefront6targetE0EEEvSF_.numbered_sgpr, 0
	.set _ZN7rocprim17ROCPRIM_400000_NS6detail17trampoline_kernelINS0_14default_configENS1_38merge_sort_block_merge_config_selectorIdNS0_10empty_typeEEEZZNS1_27merge_sort_block_merge_implIS3_PdPS5_jNS1_19radix_merge_compareILb1ELb0EdNS0_19identity_decomposerEEEEE10hipError_tT0_T1_T2_jT3_P12ihipStream_tbPNSt15iterator_traitsISE_E10value_typeEPNSK_ISF_E10value_typeEPSG_NS1_7vsmem_tEENKUlT_SE_SF_SG_E_clIS8_S8_S9_S9_EESD_ST_SE_SF_SG_EUlST_E1_NS1_11comp_targetILNS1_3genE3ELNS1_11target_archE908ELNS1_3gpuE7ELNS1_3repE0EEENS1_36merge_oddeven_config_static_selectorELNS0_4arch9wavefront6targetE0EEEvSF_.num_named_barrier, 0
	.set _ZN7rocprim17ROCPRIM_400000_NS6detail17trampoline_kernelINS0_14default_configENS1_38merge_sort_block_merge_config_selectorIdNS0_10empty_typeEEEZZNS1_27merge_sort_block_merge_implIS3_PdPS5_jNS1_19radix_merge_compareILb1ELb0EdNS0_19identity_decomposerEEEEE10hipError_tT0_T1_T2_jT3_P12ihipStream_tbPNSt15iterator_traitsISE_E10value_typeEPNSK_ISF_E10value_typeEPSG_NS1_7vsmem_tEENKUlT_SE_SF_SG_E_clIS8_S8_S9_S9_EESD_ST_SE_SF_SG_EUlST_E1_NS1_11comp_targetILNS1_3genE3ELNS1_11target_archE908ELNS1_3gpuE7ELNS1_3repE0EEENS1_36merge_oddeven_config_static_selectorELNS0_4arch9wavefront6targetE0EEEvSF_.private_seg_size, 0
	.set _ZN7rocprim17ROCPRIM_400000_NS6detail17trampoline_kernelINS0_14default_configENS1_38merge_sort_block_merge_config_selectorIdNS0_10empty_typeEEEZZNS1_27merge_sort_block_merge_implIS3_PdPS5_jNS1_19radix_merge_compareILb1ELb0EdNS0_19identity_decomposerEEEEE10hipError_tT0_T1_T2_jT3_P12ihipStream_tbPNSt15iterator_traitsISE_E10value_typeEPNSK_ISF_E10value_typeEPSG_NS1_7vsmem_tEENKUlT_SE_SF_SG_E_clIS8_S8_S9_S9_EESD_ST_SE_SF_SG_EUlST_E1_NS1_11comp_targetILNS1_3genE3ELNS1_11target_archE908ELNS1_3gpuE7ELNS1_3repE0EEENS1_36merge_oddeven_config_static_selectorELNS0_4arch9wavefront6targetE0EEEvSF_.uses_vcc, 0
	.set _ZN7rocprim17ROCPRIM_400000_NS6detail17trampoline_kernelINS0_14default_configENS1_38merge_sort_block_merge_config_selectorIdNS0_10empty_typeEEEZZNS1_27merge_sort_block_merge_implIS3_PdPS5_jNS1_19radix_merge_compareILb1ELb0EdNS0_19identity_decomposerEEEEE10hipError_tT0_T1_T2_jT3_P12ihipStream_tbPNSt15iterator_traitsISE_E10value_typeEPNSK_ISF_E10value_typeEPSG_NS1_7vsmem_tEENKUlT_SE_SF_SG_E_clIS8_S8_S9_S9_EESD_ST_SE_SF_SG_EUlST_E1_NS1_11comp_targetILNS1_3genE3ELNS1_11target_archE908ELNS1_3gpuE7ELNS1_3repE0EEENS1_36merge_oddeven_config_static_selectorELNS0_4arch9wavefront6targetE0EEEvSF_.uses_flat_scratch, 0
	.set _ZN7rocprim17ROCPRIM_400000_NS6detail17trampoline_kernelINS0_14default_configENS1_38merge_sort_block_merge_config_selectorIdNS0_10empty_typeEEEZZNS1_27merge_sort_block_merge_implIS3_PdPS5_jNS1_19radix_merge_compareILb1ELb0EdNS0_19identity_decomposerEEEEE10hipError_tT0_T1_T2_jT3_P12ihipStream_tbPNSt15iterator_traitsISE_E10value_typeEPNSK_ISF_E10value_typeEPSG_NS1_7vsmem_tEENKUlT_SE_SF_SG_E_clIS8_S8_S9_S9_EESD_ST_SE_SF_SG_EUlST_E1_NS1_11comp_targetILNS1_3genE3ELNS1_11target_archE908ELNS1_3gpuE7ELNS1_3repE0EEENS1_36merge_oddeven_config_static_selectorELNS0_4arch9wavefront6targetE0EEEvSF_.has_dyn_sized_stack, 0
	.set _ZN7rocprim17ROCPRIM_400000_NS6detail17trampoline_kernelINS0_14default_configENS1_38merge_sort_block_merge_config_selectorIdNS0_10empty_typeEEEZZNS1_27merge_sort_block_merge_implIS3_PdPS5_jNS1_19radix_merge_compareILb1ELb0EdNS0_19identity_decomposerEEEEE10hipError_tT0_T1_T2_jT3_P12ihipStream_tbPNSt15iterator_traitsISE_E10value_typeEPNSK_ISF_E10value_typeEPSG_NS1_7vsmem_tEENKUlT_SE_SF_SG_E_clIS8_S8_S9_S9_EESD_ST_SE_SF_SG_EUlST_E1_NS1_11comp_targetILNS1_3genE3ELNS1_11target_archE908ELNS1_3gpuE7ELNS1_3repE0EEENS1_36merge_oddeven_config_static_selectorELNS0_4arch9wavefront6targetE0EEEvSF_.has_recursion, 0
	.set _ZN7rocprim17ROCPRIM_400000_NS6detail17trampoline_kernelINS0_14default_configENS1_38merge_sort_block_merge_config_selectorIdNS0_10empty_typeEEEZZNS1_27merge_sort_block_merge_implIS3_PdPS5_jNS1_19radix_merge_compareILb1ELb0EdNS0_19identity_decomposerEEEEE10hipError_tT0_T1_T2_jT3_P12ihipStream_tbPNSt15iterator_traitsISE_E10value_typeEPNSK_ISF_E10value_typeEPSG_NS1_7vsmem_tEENKUlT_SE_SF_SG_E_clIS8_S8_S9_S9_EESD_ST_SE_SF_SG_EUlST_E1_NS1_11comp_targetILNS1_3genE3ELNS1_11target_archE908ELNS1_3gpuE7ELNS1_3repE0EEENS1_36merge_oddeven_config_static_selectorELNS0_4arch9wavefront6targetE0EEEvSF_.has_indirect_call, 0
	.section	.AMDGPU.csdata,"",@progbits
; Kernel info:
; codeLenInByte = 0
; TotalNumSgprs: 0
; NumVgprs: 0
; ScratchSize: 0
; MemoryBound: 0
; FloatMode: 240
; IeeeMode: 1
; LDSByteSize: 0 bytes/workgroup (compile time only)
; SGPRBlocks: 0
; VGPRBlocks: 0
; NumSGPRsForWavesPerEU: 1
; NumVGPRsForWavesPerEU: 1
; NamedBarCnt: 0
; Occupancy: 16
; WaveLimiterHint : 0
; COMPUTE_PGM_RSRC2:SCRATCH_EN: 0
; COMPUTE_PGM_RSRC2:USER_SGPR: 2
; COMPUTE_PGM_RSRC2:TRAP_HANDLER: 0
; COMPUTE_PGM_RSRC2:TGID_X_EN: 1
; COMPUTE_PGM_RSRC2:TGID_Y_EN: 0
; COMPUTE_PGM_RSRC2:TGID_Z_EN: 0
; COMPUTE_PGM_RSRC2:TIDIG_COMP_CNT: 0
	.section	.text._ZN7rocprim17ROCPRIM_400000_NS6detail17trampoline_kernelINS0_14default_configENS1_38merge_sort_block_merge_config_selectorIdNS0_10empty_typeEEEZZNS1_27merge_sort_block_merge_implIS3_PdPS5_jNS1_19radix_merge_compareILb1ELb0EdNS0_19identity_decomposerEEEEE10hipError_tT0_T1_T2_jT3_P12ihipStream_tbPNSt15iterator_traitsISE_E10value_typeEPNSK_ISF_E10value_typeEPSG_NS1_7vsmem_tEENKUlT_SE_SF_SG_E_clIS8_S8_S9_S9_EESD_ST_SE_SF_SG_EUlST_E1_NS1_11comp_targetILNS1_3genE2ELNS1_11target_archE906ELNS1_3gpuE6ELNS1_3repE0EEENS1_36merge_oddeven_config_static_selectorELNS0_4arch9wavefront6targetE0EEEvSF_,"axG",@progbits,_ZN7rocprim17ROCPRIM_400000_NS6detail17trampoline_kernelINS0_14default_configENS1_38merge_sort_block_merge_config_selectorIdNS0_10empty_typeEEEZZNS1_27merge_sort_block_merge_implIS3_PdPS5_jNS1_19radix_merge_compareILb1ELb0EdNS0_19identity_decomposerEEEEE10hipError_tT0_T1_T2_jT3_P12ihipStream_tbPNSt15iterator_traitsISE_E10value_typeEPNSK_ISF_E10value_typeEPSG_NS1_7vsmem_tEENKUlT_SE_SF_SG_E_clIS8_S8_S9_S9_EESD_ST_SE_SF_SG_EUlST_E1_NS1_11comp_targetILNS1_3genE2ELNS1_11target_archE906ELNS1_3gpuE6ELNS1_3repE0EEENS1_36merge_oddeven_config_static_selectorELNS0_4arch9wavefront6targetE0EEEvSF_,comdat
	.protected	_ZN7rocprim17ROCPRIM_400000_NS6detail17trampoline_kernelINS0_14default_configENS1_38merge_sort_block_merge_config_selectorIdNS0_10empty_typeEEEZZNS1_27merge_sort_block_merge_implIS3_PdPS5_jNS1_19radix_merge_compareILb1ELb0EdNS0_19identity_decomposerEEEEE10hipError_tT0_T1_T2_jT3_P12ihipStream_tbPNSt15iterator_traitsISE_E10value_typeEPNSK_ISF_E10value_typeEPSG_NS1_7vsmem_tEENKUlT_SE_SF_SG_E_clIS8_S8_S9_S9_EESD_ST_SE_SF_SG_EUlST_E1_NS1_11comp_targetILNS1_3genE2ELNS1_11target_archE906ELNS1_3gpuE6ELNS1_3repE0EEENS1_36merge_oddeven_config_static_selectorELNS0_4arch9wavefront6targetE0EEEvSF_ ; -- Begin function _ZN7rocprim17ROCPRIM_400000_NS6detail17trampoline_kernelINS0_14default_configENS1_38merge_sort_block_merge_config_selectorIdNS0_10empty_typeEEEZZNS1_27merge_sort_block_merge_implIS3_PdPS5_jNS1_19radix_merge_compareILb1ELb0EdNS0_19identity_decomposerEEEEE10hipError_tT0_T1_T2_jT3_P12ihipStream_tbPNSt15iterator_traitsISE_E10value_typeEPNSK_ISF_E10value_typeEPSG_NS1_7vsmem_tEENKUlT_SE_SF_SG_E_clIS8_S8_S9_S9_EESD_ST_SE_SF_SG_EUlST_E1_NS1_11comp_targetILNS1_3genE2ELNS1_11target_archE906ELNS1_3gpuE6ELNS1_3repE0EEENS1_36merge_oddeven_config_static_selectorELNS0_4arch9wavefront6targetE0EEEvSF_
	.globl	_ZN7rocprim17ROCPRIM_400000_NS6detail17trampoline_kernelINS0_14default_configENS1_38merge_sort_block_merge_config_selectorIdNS0_10empty_typeEEEZZNS1_27merge_sort_block_merge_implIS3_PdPS5_jNS1_19radix_merge_compareILb1ELb0EdNS0_19identity_decomposerEEEEE10hipError_tT0_T1_T2_jT3_P12ihipStream_tbPNSt15iterator_traitsISE_E10value_typeEPNSK_ISF_E10value_typeEPSG_NS1_7vsmem_tEENKUlT_SE_SF_SG_E_clIS8_S8_S9_S9_EESD_ST_SE_SF_SG_EUlST_E1_NS1_11comp_targetILNS1_3genE2ELNS1_11target_archE906ELNS1_3gpuE6ELNS1_3repE0EEENS1_36merge_oddeven_config_static_selectorELNS0_4arch9wavefront6targetE0EEEvSF_
	.p2align	8
	.type	_ZN7rocprim17ROCPRIM_400000_NS6detail17trampoline_kernelINS0_14default_configENS1_38merge_sort_block_merge_config_selectorIdNS0_10empty_typeEEEZZNS1_27merge_sort_block_merge_implIS3_PdPS5_jNS1_19radix_merge_compareILb1ELb0EdNS0_19identity_decomposerEEEEE10hipError_tT0_T1_T2_jT3_P12ihipStream_tbPNSt15iterator_traitsISE_E10value_typeEPNSK_ISF_E10value_typeEPSG_NS1_7vsmem_tEENKUlT_SE_SF_SG_E_clIS8_S8_S9_S9_EESD_ST_SE_SF_SG_EUlST_E1_NS1_11comp_targetILNS1_3genE2ELNS1_11target_archE906ELNS1_3gpuE6ELNS1_3repE0EEENS1_36merge_oddeven_config_static_selectorELNS0_4arch9wavefront6targetE0EEEvSF_,@function
_ZN7rocprim17ROCPRIM_400000_NS6detail17trampoline_kernelINS0_14default_configENS1_38merge_sort_block_merge_config_selectorIdNS0_10empty_typeEEEZZNS1_27merge_sort_block_merge_implIS3_PdPS5_jNS1_19radix_merge_compareILb1ELb0EdNS0_19identity_decomposerEEEEE10hipError_tT0_T1_T2_jT3_P12ihipStream_tbPNSt15iterator_traitsISE_E10value_typeEPNSK_ISF_E10value_typeEPSG_NS1_7vsmem_tEENKUlT_SE_SF_SG_E_clIS8_S8_S9_S9_EESD_ST_SE_SF_SG_EUlST_E1_NS1_11comp_targetILNS1_3genE2ELNS1_11target_archE906ELNS1_3gpuE6ELNS1_3repE0EEENS1_36merge_oddeven_config_static_selectorELNS0_4arch9wavefront6targetE0EEEvSF_: ; @_ZN7rocprim17ROCPRIM_400000_NS6detail17trampoline_kernelINS0_14default_configENS1_38merge_sort_block_merge_config_selectorIdNS0_10empty_typeEEEZZNS1_27merge_sort_block_merge_implIS3_PdPS5_jNS1_19radix_merge_compareILb1ELb0EdNS0_19identity_decomposerEEEEE10hipError_tT0_T1_T2_jT3_P12ihipStream_tbPNSt15iterator_traitsISE_E10value_typeEPNSK_ISF_E10value_typeEPSG_NS1_7vsmem_tEENKUlT_SE_SF_SG_E_clIS8_S8_S9_S9_EESD_ST_SE_SF_SG_EUlST_E1_NS1_11comp_targetILNS1_3genE2ELNS1_11target_archE906ELNS1_3gpuE6ELNS1_3repE0EEENS1_36merge_oddeven_config_static_selectorELNS0_4arch9wavefront6targetE0EEEvSF_
; %bb.0:
	.section	.rodata,"a",@progbits
	.p2align	6, 0x0
	.amdhsa_kernel _ZN7rocprim17ROCPRIM_400000_NS6detail17trampoline_kernelINS0_14default_configENS1_38merge_sort_block_merge_config_selectorIdNS0_10empty_typeEEEZZNS1_27merge_sort_block_merge_implIS3_PdPS5_jNS1_19radix_merge_compareILb1ELb0EdNS0_19identity_decomposerEEEEE10hipError_tT0_T1_T2_jT3_P12ihipStream_tbPNSt15iterator_traitsISE_E10value_typeEPNSK_ISF_E10value_typeEPSG_NS1_7vsmem_tEENKUlT_SE_SF_SG_E_clIS8_S8_S9_S9_EESD_ST_SE_SF_SG_EUlST_E1_NS1_11comp_targetILNS1_3genE2ELNS1_11target_archE906ELNS1_3gpuE6ELNS1_3repE0EEENS1_36merge_oddeven_config_static_selectorELNS0_4arch9wavefront6targetE0EEEvSF_
		.amdhsa_group_segment_fixed_size 0
		.amdhsa_private_segment_fixed_size 0
		.amdhsa_kernarg_size 48
		.amdhsa_user_sgpr_count 2
		.amdhsa_user_sgpr_dispatch_ptr 0
		.amdhsa_user_sgpr_queue_ptr 0
		.amdhsa_user_sgpr_kernarg_segment_ptr 1
		.amdhsa_user_sgpr_dispatch_id 0
		.amdhsa_user_sgpr_kernarg_preload_length 0
		.amdhsa_user_sgpr_kernarg_preload_offset 0
		.amdhsa_user_sgpr_private_segment_size 0
		.amdhsa_wavefront_size32 1
		.amdhsa_uses_dynamic_stack 0
		.amdhsa_enable_private_segment 0
		.amdhsa_system_sgpr_workgroup_id_x 1
		.amdhsa_system_sgpr_workgroup_id_y 0
		.amdhsa_system_sgpr_workgroup_id_z 0
		.amdhsa_system_sgpr_workgroup_info 0
		.amdhsa_system_vgpr_workitem_id 0
		.amdhsa_next_free_vgpr 1
		.amdhsa_next_free_sgpr 1
		.amdhsa_named_barrier_count 0
		.amdhsa_reserve_vcc 0
		.amdhsa_float_round_mode_32 0
		.amdhsa_float_round_mode_16_64 0
		.amdhsa_float_denorm_mode_32 3
		.amdhsa_float_denorm_mode_16_64 3
		.amdhsa_fp16_overflow 0
		.amdhsa_memory_ordered 1
		.amdhsa_forward_progress 1
		.amdhsa_inst_pref_size 0
		.amdhsa_round_robin_scheduling 0
		.amdhsa_exception_fp_ieee_invalid_op 0
		.amdhsa_exception_fp_denorm_src 0
		.amdhsa_exception_fp_ieee_div_zero 0
		.amdhsa_exception_fp_ieee_overflow 0
		.amdhsa_exception_fp_ieee_underflow 0
		.amdhsa_exception_fp_ieee_inexact 0
		.amdhsa_exception_int_div_zero 0
	.end_amdhsa_kernel
	.section	.text._ZN7rocprim17ROCPRIM_400000_NS6detail17trampoline_kernelINS0_14default_configENS1_38merge_sort_block_merge_config_selectorIdNS0_10empty_typeEEEZZNS1_27merge_sort_block_merge_implIS3_PdPS5_jNS1_19radix_merge_compareILb1ELb0EdNS0_19identity_decomposerEEEEE10hipError_tT0_T1_T2_jT3_P12ihipStream_tbPNSt15iterator_traitsISE_E10value_typeEPNSK_ISF_E10value_typeEPSG_NS1_7vsmem_tEENKUlT_SE_SF_SG_E_clIS8_S8_S9_S9_EESD_ST_SE_SF_SG_EUlST_E1_NS1_11comp_targetILNS1_3genE2ELNS1_11target_archE906ELNS1_3gpuE6ELNS1_3repE0EEENS1_36merge_oddeven_config_static_selectorELNS0_4arch9wavefront6targetE0EEEvSF_,"axG",@progbits,_ZN7rocprim17ROCPRIM_400000_NS6detail17trampoline_kernelINS0_14default_configENS1_38merge_sort_block_merge_config_selectorIdNS0_10empty_typeEEEZZNS1_27merge_sort_block_merge_implIS3_PdPS5_jNS1_19radix_merge_compareILb1ELb0EdNS0_19identity_decomposerEEEEE10hipError_tT0_T1_T2_jT3_P12ihipStream_tbPNSt15iterator_traitsISE_E10value_typeEPNSK_ISF_E10value_typeEPSG_NS1_7vsmem_tEENKUlT_SE_SF_SG_E_clIS8_S8_S9_S9_EESD_ST_SE_SF_SG_EUlST_E1_NS1_11comp_targetILNS1_3genE2ELNS1_11target_archE906ELNS1_3gpuE6ELNS1_3repE0EEENS1_36merge_oddeven_config_static_selectorELNS0_4arch9wavefront6targetE0EEEvSF_,comdat
.Lfunc_end1481:
	.size	_ZN7rocprim17ROCPRIM_400000_NS6detail17trampoline_kernelINS0_14default_configENS1_38merge_sort_block_merge_config_selectorIdNS0_10empty_typeEEEZZNS1_27merge_sort_block_merge_implIS3_PdPS5_jNS1_19radix_merge_compareILb1ELb0EdNS0_19identity_decomposerEEEEE10hipError_tT0_T1_T2_jT3_P12ihipStream_tbPNSt15iterator_traitsISE_E10value_typeEPNSK_ISF_E10value_typeEPSG_NS1_7vsmem_tEENKUlT_SE_SF_SG_E_clIS8_S8_S9_S9_EESD_ST_SE_SF_SG_EUlST_E1_NS1_11comp_targetILNS1_3genE2ELNS1_11target_archE906ELNS1_3gpuE6ELNS1_3repE0EEENS1_36merge_oddeven_config_static_selectorELNS0_4arch9wavefront6targetE0EEEvSF_, .Lfunc_end1481-_ZN7rocprim17ROCPRIM_400000_NS6detail17trampoline_kernelINS0_14default_configENS1_38merge_sort_block_merge_config_selectorIdNS0_10empty_typeEEEZZNS1_27merge_sort_block_merge_implIS3_PdPS5_jNS1_19radix_merge_compareILb1ELb0EdNS0_19identity_decomposerEEEEE10hipError_tT0_T1_T2_jT3_P12ihipStream_tbPNSt15iterator_traitsISE_E10value_typeEPNSK_ISF_E10value_typeEPSG_NS1_7vsmem_tEENKUlT_SE_SF_SG_E_clIS8_S8_S9_S9_EESD_ST_SE_SF_SG_EUlST_E1_NS1_11comp_targetILNS1_3genE2ELNS1_11target_archE906ELNS1_3gpuE6ELNS1_3repE0EEENS1_36merge_oddeven_config_static_selectorELNS0_4arch9wavefront6targetE0EEEvSF_
                                        ; -- End function
	.set _ZN7rocprim17ROCPRIM_400000_NS6detail17trampoline_kernelINS0_14default_configENS1_38merge_sort_block_merge_config_selectorIdNS0_10empty_typeEEEZZNS1_27merge_sort_block_merge_implIS3_PdPS5_jNS1_19radix_merge_compareILb1ELb0EdNS0_19identity_decomposerEEEEE10hipError_tT0_T1_T2_jT3_P12ihipStream_tbPNSt15iterator_traitsISE_E10value_typeEPNSK_ISF_E10value_typeEPSG_NS1_7vsmem_tEENKUlT_SE_SF_SG_E_clIS8_S8_S9_S9_EESD_ST_SE_SF_SG_EUlST_E1_NS1_11comp_targetILNS1_3genE2ELNS1_11target_archE906ELNS1_3gpuE6ELNS1_3repE0EEENS1_36merge_oddeven_config_static_selectorELNS0_4arch9wavefront6targetE0EEEvSF_.num_vgpr, 0
	.set _ZN7rocprim17ROCPRIM_400000_NS6detail17trampoline_kernelINS0_14default_configENS1_38merge_sort_block_merge_config_selectorIdNS0_10empty_typeEEEZZNS1_27merge_sort_block_merge_implIS3_PdPS5_jNS1_19radix_merge_compareILb1ELb0EdNS0_19identity_decomposerEEEEE10hipError_tT0_T1_T2_jT3_P12ihipStream_tbPNSt15iterator_traitsISE_E10value_typeEPNSK_ISF_E10value_typeEPSG_NS1_7vsmem_tEENKUlT_SE_SF_SG_E_clIS8_S8_S9_S9_EESD_ST_SE_SF_SG_EUlST_E1_NS1_11comp_targetILNS1_3genE2ELNS1_11target_archE906ELNS1_3gpuE6ELNS1_3repE0EEENS1_36merge_oddeven_config_static_selectorELNS0_4arch9wavefront6targetE0EEEvSF_.num_agpr, 0
	.set _ZN7rocprim17ROCPRIM_400000_NS6detail17trampoline_kernelINS0_14default_configENS1_38merge_sort_block_merge_config_selectorIdNS0_10empty_typeEEEZZNS1_27merge_sort_block_merge_implIS3_PdPS5_jNS1_19radix_merge_compareILb1ELb0EdNS0_19identity_decomposerEEEEE10hipError_tT0_T1_T2_jT3_P12ihipStream_tbPNSt15iterator_traitsISE_E10value_typeEPNSK_ISF_E10value_typeEPSG_NS1_7vsmem_tEENKUlT_SE_SF_SG_E_clIS8_S8_S9_S9_EESD_ST_SE_SF_SG_EUlST_E1_NS1_11comp_targetILNS1_3genE2ELNS1_11target_archE906ELNS1_3gpuE6ELNS1_3repE0EEENS1_36merge_oddeven_config_static_selectorELNS0_4arch9wavefront6targetE0EEEvSF_.numbered_sgpr, 0
	.set _ZN7rocprim17ROCPRIM_400000_NS6detail17trampoline_kernelINS0_14default_configENS1_38merge_sort_block_merge_config_selectorIdNS0_10empty_typeEEEZZNS1_27merge_sort_block_merge_implIS3_PdPS5_jNS1_19radix_merge_compareILb1ELb0EdNS0_19identity_decomposerEEEEE10hipError_tT0_T1_T2_jT3_P12ihipStream_tbPNSt15iterator_traitsISE_E10value_typeEPNSK_ISF_E10value_typeEPSG_NS1_7vsmem_tEENKUlT_SE_SF_SG_E_clIS8_S8_S9_S9_EESD_ST_SE_SF_SG_EUlST_E1_NS1_11comp_targetILNS1_3genE2ELNS1_11target_archE906ELNS1_3gpuE6ELNS1_3repE0EEENS1_36merge_oddeven_config_static_selectorELNS0_4arch9wavefront6targetE0EEEvSF_.num_named_barrier, 0
	.set _ZN7rocprim17ROCPRIM_400000_NS6detail17trampoline_kernelINS0_14default_configENS1_38merge_sort_block_merge_config_selectorIdNS0_10empty_typeEEEZZNS1_27merge_sort_block_merge_implIS3_PdPS5_jNS1_19radix_merge_compareILb1ELb0EdNS0_19identity_decomposerEEEEE10hipError_tT0_T1_T2_jT3_P12ihipStream_tbPNSt15iterator_traitsISE_E10value_typeEPNSK_ISF_E10value_typeEPSG_NS1_7vsmem_tEENKUlT_SE_SF_SG_E_clIS8_S8_S9_S9_EESD_ST_SE_SF_SG_EUlST_E1_NS1_11comp_targetILNS1_3genE2ELNS1_11target_archE906ELNS1_3gpuE6ELNS1_3repE0EEENS1_36merge_oddeven_config_static_selectorELNS0_4arch9wavefront6targetE0EEEvSF_.private_seg_size, 0
	.set _ZN7rocprim17ROCPRIM_400000_NS6detail17trampoline_kernelINS0_14default_configENS1_38merge_sort_block_merge_config_selectorIdNS0_10empty_typeEEEZZNS1_27merge_sort_block_merge_implIS3_PdPS5_jNS1_19radix_merge_compareILb1ELb0EdNS0_19identity_decomposerEEEEE10hipError_tT0_T1_T2_jT3_P12ihipStream_tbPNSt15iterator_traitsISE_E10value_typeEPNSK_ISF_E10value_typeEPSG_NS1_7vsmem_tEENKUlT_SE_SF_SG_E_clIS8_S8_S9_S9_EESD_ST_SE_SF_SG_EUlST_E1_NS1_11comp_targetILNS1_3genE2ELNS1_11target_archE906ELNS1_3gpuE6ELNS1_3repE0EEENS1_36merge_oddeven_config_static_selectorELNS0_4arch9wavefront6targetE0EEEvSF_.uses_vcc, 0
	.set _ZN7rocprim17ROCPRIM_400000_NS6detail17trampoline_kernelINS0_14default_configENS1_38merge_sort_block_merge_config_selectorIdNS0_10empty_typeEEEZZNS1_27merge_sort_block_merge_implIS3_PdPS5_jNS1_19radix_merge_compareILb1ELb0EdNS0_19identity_decomposerEEEEE10hipError_tT0_T1_T2_jT3_P12ihipStream_tbPNSt15iterator_traitsISE_E10value_typeEPNSK_ISF_E10value_typeEPSG_NS1_7vsmem_tEENKUlT_SE_SF_SG_E_clIS8_S8_S9_S9_EESD_ST_SE_SF_SG_EUlST_E1_NS1_11comp_targetILNS1_3genE2ELNS1_11target_archE906ELNS1_3gpuE6ELNS1_3repE0EEENS1_36merge_oddeven_config_static_selectorELNS0_4arch9wavefront6targetE0EEEvSF_.uses_flat_scratch, 0
	.set _ZN7rocprim17ROCPRIM_400000_NS6detail17trampoline_kernelINS0_14default_configENS1_38merge_sort_block_merge_config_selectorIdNS0_10empty_typeEEEZZNS1_27merge_sort_block_merge_implIS3_PdPS5_jNS1_19radix_merge_compareILb1ELb0EdNS0_19identity_decomposerEEEEE10hipError_tT0_T1_T2_jT3_P12ihipStream_tbPNSt15iterator_traitsISE_E10value_typeEPNSK_ISF_E10value_typeEPSG_NS1_7vsmem_tEENKUlT_SE_SF_SG_E_clIS8_S8_S9_S9_EESD_ST_SE_SF_SG_EUlST_E1_NS1_11comp_targetILNS1_3genE2ELNS1_11target_archE906ELNS1_3gpuE6ELNS1_3repE0EEENS1_36merge_oddeven_config_static_selectorELNS0_4arch9wavefront6targetE0EEEvSF_.has_dyn_sized_stack, 0
	.set _ZN7rocprim17ROCPRIM_400000_NS6detail17trampoline_kernelINS0_14default_configENS1_38merge_sort_block_merge_config_selectorIdNS0_10empty_typeEEEZZNS1_27merge_sort_block_merge_implIS3_PdPS5_jNS1_19radix_merge_compareILb1ELb0EdNS0_19identity_decomposerEEEEE10hipError_tT0_T1_T2_jT3_P12ihipStream_tbPNSt15iterator_traitsISE_E10value_typeEPNSK_ISF_E10value_typeEPSG_NS1_7vsmem_tEENKUlT_SE_SF_SG_E_clIS8_S8_S9_S9_EESD_ST_SE_SF_SG_EUlST_E1_NS1_11comp_targetILNS1_3genE2ELNS1_11target_archE906ELNS1_3gpuE6ELNS1_3repE0EEENS1_36merge_oddeven_config_static_selectorELNS0_4arch9wavefront6targetE0EEEvSF_.has_recursion, 0
	.set _ZN7rocprim17ROCPRIM_400000_NS6detail17trampoline_kernelINS0_14default_configENS1_38merge_sort_block_merge_config_selectorIdNS0_10empty_typeEEEZZNS1_27merge_sort_block_merge_implIS3_PdPS5_jNS1_19radix_merge_compareILb1ELb0EdNS0_19identity_decomposerEEEEE10hipError_tT0_T1_T2_jT3_P12ihipStream_tbPNSt15iterator_traitsISE_E10value_typeEPNSK_ISF_E10value_typeEPSG_NS1_7vsmem_tEENKUlT_SE_SF_SG_E_clIS8_S8_S9_S9_EESD_ST_SE_SF_SG_EUlST_E1_NS1_11comp_targetILNS1_3genE2ELNS1_11target_archE906ELNS1_3gpuE6ELNS1_3repE0EEENS1_36merge_oddeven_config_static_selectorELNS0_4arch9wavefront6targetE0EEEvSF_.has_indirect_call, 0
	.section	.AMDGPU.csdata,"",@progbits
; Kernel info:
; codeLenInByte = 0
; TotalNumSgprs: 0
; NumVgprs: 0
; ScratchSize: 0
; MemoryBound: 0
; FloatMode: 240
; IeeeMode: 1
; LDSByteSize: 0 bytes/workgroup (compile time only)
; SGPRBlocks: 0
; VGPRBlocks: 0
; NumSGPRsForWavesPerEU: 1
; NumVGPRsForWavesPerEU: 1
; NamedBarCnt: 0
; Occupancy: 16
; WaveLimiterHint : 0
; COMPUTE_PGM_RSRC2:SCRATCH_EN: 0
; COMPUTE_PGM_RSRC2:USER_SGPR: 2
; COMPUTE_PGM_RSRC2:TRAP_HANDLER: 0
; COMPUTE_PGM_RSRC2:TGID_X_EN: 1
; COMPUTE_PGM_RSRC2:TGID_Y_EN: 0
; COMPUTE_PGM_RSRC2:TGID_Z_EN: 0
; COMPUTE_PGM_RSRC2:TIDIG_COMP_CNT: 0
	.section	.text._ZN7rocprim17ROCPRIM_400000_NS6detail17trampoline_kernelINS0_14default_configENS1_38merge_sort_block_merge_config_selectorIdNS0_10empty_typeEEEZZNS1_27merge_sort_block_merge_implIS3_PdPS5_jNS1_19radix_merge_compareILb1ELb0EdNS0_19identity_decomposerEEEEE10hipError_tT0_T1_T2_jT3_P12ihipStream_tbPNSt15iterator_traitsISE_E10value_typeEPNSK_ISF_E10value_typeEPSG_NS1_7vsmem_tEENKUlT_SE_SF_SG_E_clIS8_S8_S9_S9_EESD_ST_SE_SF_SG_EUlST_E1_NS1_11comp_targetILNS1_3genE9ELNS1_11target_archE1100ELNS1_3gpuE3ELNS1_3repE0EEENS1_36merge_oddeven_config_static_selectorELNS0_4arch9wavefront6targetE0EEEvSF_,"axG",@progbits,_ZN7rocprim17ROCPRIM_400000_NS6detail17trampoline_kernelINS0_14default_configENS1_38merge_sort_block_merge_config_selectorIdNS0_10empty_typeEEEZZNS1_27merge_sort_block_merge_implIS3_PdPS5_jNS1_19radix_merge_compareILb1ELb0EdNS0_19identity_decomposerEEEEE10hipError_tT0_T1_T2_jT3_P12ihipStream_tbPNSt15iterator_traitsISE_E10value_typeEPNSK_ISF_E10value_typeEPSG_NS1_7vsmem_tEENKUlT_SE_SF_SG_E_clIS8_S8_S9_S9_EESD_ST_SE_SF_SG_EUlST_E1_NS1_11comp_targetILNS1_3genE9ELNS1_11target_archE1100ELNS1_3gpuE3ELNS1_3repE0EEENS1_36merge_oddeven_config_static_selectorELNS0_4arch9wavefront6targetE0EEEvSF_,comdat
	.protected	_ZN7rocprim17ROCPRIM_400000_NS6detail17trampoline_kernelINS0_14default_configENS1_38merge_sort_block_merge_config_selectorIdNS0_10empty_typeEEEZZNS1_27merge_sort_block_merge_implIS3_PdPS5_jNS1_19radix_merge_compareILb1ELb0EdNS0_19identity_decomposerEEEEE10hipError_tT0_T1_T2_jT3_P12ihipStream_tbPNSt15iterator_traitsISE_E10value_typeEPNSK_ISF_E10value_typeEPSG_NS1_7vsmem_tEENKUlT_SE_SF_SG_E_clIS8_S8_S9_S9_EESD_ST_SE_SF_SG_EUlST_E1_NS1_11comp_targetILNS1_3genE9ELNS1_11target_archE1100ELNS1_3gpuE3ELNS1_3repE0EEENS1_36merge_oddeven_config_static_selectorELNS0_4arch9wavefront6targetE0EEEvSF_ ; -- Begin function _ZN7rocprim17ROCPRIM_400000_NS6detail17trampoline_kernelINS0_14default_configENS1_38merge_sort_block_merge_config_selectorIdNS0_10empty_typeEEEZZNS1_27merge_sort_block_merge_implIS3_PdPS5_jNS1_19radix_merge_compareILb1ELb0EdNS0_19identity_decomposerEEEEE10hipError_tT0_T1_T2_jT3_P12ihipStream_tbPNSt15iterator_traitsISE_E10value_typeEPNSK_ISF_E10value_typeEPSG_NS1_7vsmem_tEENKUlT_SE_SF_SG_E_clIS8_S8_S9_S9_EESD_ST_SE_SF_SG_EUlST_E1_NS1_11comp_targetILNS1_3genE9ELNS1_11target_archE1100ELNS1_3gpuE3ELNS1_3repE0EEENS1_36merge_oddeven_config_static_selectorELNS0_4arch9wavefront6targetE0EEEvSF_
	.globl	_ZN7rocprim17ROCPRIM_400000_NS6detail17trampoline_kernelINS0_14default_configENS1_38merge_sort_block_merge_config_selectorIdNS0_10empty_typeEEEZZNS1_27merge_sort_block_merge_implIS3_PdPS5_jNS1_19radix_merge_compareILb1ELb0EdNS0_19identity_decomposerEEEEE10hipError_tT0_T1_T2_jT3_P12ihipStream_tbPNSt15iterator_traitsISE_E10value_typeEPNSK_ISF_E10value_typeEPSG_NS1_7vsmem_tEENKUlT_SE_SF_SG_E_clIS8_S8_S9_S9_EESD_ST_SE_SF_SG_EUlST_E1_NS1_11comp_targetILNS1_3genE9ELNS1_11target_archE1100ELNS1_3gpuE3ELNS1_3repE0EEENS1_36merge_oddeven_config_static_selectorELNS0_4arch9wavefront6targetE0EEEvSF_
	.p2align	8
	.type	_ZN7rocprim17ROCPRIM_400000_NS6detail17trampoline_kernelINS0_14default_configENS1_38merge_sort_block_merge_config_selectorIdNS0_10empty_typeEEEZZNS1_27merge_sort_block_merge_implIS3_PdPS5_jNS1_19radix_merge_compareILb1ELb0EdNS0_19identity_decomposerEEEEE10hipError_tT0_T1_T2_jT3_P12ihipStream_tbPNSt15iterator_traitsISE_E10value_typeEPNSK_ISF_E10value_typeEPSG_NS1_7vsmem_tEENKUlT_SE_SF_SG_E_clIS8_S8_S9_S9_EESD_ST_SE_SF_SG_EUlST_E1_NS1_11comp_targetILNS1_3genE9ELNS1_11target_archE1100ELNS1_3gpuE3ELNS1_3repE0EEENS1_36merge_oddeven_config_static_selectorELNS0_4arch9wavefront6targetE0EEEvSF_,@function
_ZN7rocprim17ROCPRIM_400000_NS6detail17trampoline_kernelINS0_14default_configENS1_38merge_sort_block_merge_config_selectorIdNS0_10empty_typeEEEZZNS1_27merge_sort_block_merge_implIS3_PdPS5_jNS1_19radix_merge_compareILb1ELb0EdNS0_19identity_decomposerEEEEE10hipError_tT0_T1_T2_jT3_P12ihipStream_tbPNSt15iterator_traitsISE_E10value_typeEPNSK_ISF_E10value_typeEPSG_NS1_7vsmem_tEENKUlT_SE_SF_SG_E_clIS8_S8_S9_S9_EESD_ST_SE_SF_SG_EUlST_E1_NS1_11comp_targetILNS1_3genE9ELNS1_11target_archE1100ELNS1_3gpuE3ELNS1_3repE0EEENS1_36merge_oddeven_config_static_selectorELNS0_4arch9wavefront6targetE0EEEvSF_: ; @_ZN7rocprim17ROCPRIM_400000_NS6detail17trampoline_kernelINS0_14default_configENS1_38merge_sort_block_merge_config_selectorIdNS0_10empty_typeEEEZZNS1_27merge_sort_block_merge_implIS3_PdPS5_jNS1_19radix_merge_compareILb1ELb0EdNS0_19identity_decomposerEEEEE10hipError_tT0_T1_T2_jT3_P12ihipStream_tbPNSt15iterator_traitsISE_E10value_typeEPNSK_ISF_E10value_typeEPSG_NS1_7vsmem_tEENKUlT_SE_SF_SG_E_clIS8_S8_S9_S9_EESD_ST_SE_SF_SG_EUlST_E1_NS1_11comp_targetILNS1_3genE9ELNS1_11target_archE1100ELNS1_3gpuE3ELNS1_3repE0EEENS1_36merge_oddeven_config_static_selectorELNS0_4arch9wavefront6targetE0EEEvSF_
; %bb.0:
	.section	.rodata,"a",@progbits
	.p2align	6, 0x0
	.amdhsa_kernel _ZN7rocprim17ROCPRIM_400000_NS6detail17trampoline_kernelINS0_14default_configENS1_38merge_sort_block_merge_config_selectorIdNS0_10empty_typeEEEZZNS1_27merge_sort_block_merge_implIS3_PdPS5_jNS1_19radix_merge_compareILb1ELb0EdNS0_19identity_decomposerEEEEE10hipError_tT0_T1_T2_jT3_P12ihipStream_tbPNSt15iterator_traitsISE_E10value_typeEPNSK_ISF_E10value_typeEPSG_NS1_7vsmem_tEENKUlT_SE_SF_SG_E_clIS8_S8_S9_S9_EESD_ST_SE_SF_SG_EUlST_E1_NS1_11comp_targetILNS1_3genE9ELNS1_11target_archE1100ELNS1_3gpuE3ELNS1_3repE0EEENS1_36merge_oddeven_config_static_selectorELNS0_4arch9wavefront6targetE0EEEvSF_
		.amdhsa_group_segment_fixed_size 0
		.amdhsa_private_segment_fixed_size 0
		.amdhsa_kernarg_size 48
		.amdhsa_user_sgpr_count 2
		.amdhsa_user_sgpr_dispatch_ptr 0
		.amdhsa_user_sgpr_queue_ptr 0
		.amdhsa_user_sgpr_kernarg_segment_ptr 1
		.amdhsa_user_sgpr_dispatch_id 0
		.amdhsa_user_sgpr_kernarg_preload_length 0
		.amdhsa_user_sgpr_kernarg_preload_offset 0
		.amdhsa_user_sgpr_private_segment_size 0
		.amdhsa_wavefront_size32 1
		.amdhsa_uses_dynamic_stack 0
		.amdhsa_enable_private_segment 0
		.amdhsa_system_sgpr_workgroup_id_x 1
		.amdhsa_system_sgpr_workgroup_id_y 0
		.amdhsa_system_sgpr_workgroup_id_z 0
		.amdhsa_system_sgpr_workgroup_info 0
		.amdhsa_system_vgpr_workitem_id 0
		.amdhsa_next_free_vgpr 1
		.amdhsa_next_free_sgpr 1
		.amdhsa_named_barrier_count 0
		.amdhsa_reserve_vcc 0
		.amdhsa_float_round_mode_32 0
		.amdhsa_float_round_mode_16_64 0
		.amdhsa_float_denorm_mode_32 3
		.amdhsa_float_denorm_mode_16_64 3
		.amdhsa_fp16_overflow 0
		.amdhsa_memory_ordered 1
		.amdhsa_forward_progress 1
		.amdhsa_inst_pref_size 0
		.amdhsa_round_robin_scheduling 0
		.amdhsa_exception_fp_ieee_invalid_op 0
		.amdhsa_exception_fp_denorm_src 0
		.amdhsa_exception_fp_ieee_div_zero 0
		.amdhsa_exception_fp_ieee_overflow 0
		.amdhsa_exception_fp_ieee_underflow 0
		.amdhsa_exception_fp_ieee_inexact 0
		.amdhsa_exception_int_div_zero 0
	.end_amdhsa_kernel
	.section	.text._ZN7rocprim17ROCPRIM_400000_NS6detail17trampoline_kernelINS0_14default_configENS1_38merge_sort_block_merge_config_selectorIdNS0_10empty_typeEEEZZNS1_27merge_sort_block_merge_implIS3_PdPS5_jNS1_19radix_merge_compareILb1ELb0EdNS0_19identity_decomposerEEEEE10hipError_tT0_T1_T2_jT3_P12ihipStream_tbPNSt15iterator_traitsISE_E10value_typeEPNSK_ISF_E10value_typeEPSG_NS1_7vsmem_tEENKUlT_SE_SF_SG_E_clIS8_S8_S9_S9_EESD_ST_SE_SF_SG_EUlST_E1_NS1_11comp_targetILNS1_3genE9ELNS1_11target_archE1100ELNS1_3gpuE3ELNS1_3repE0EEENS1_36merge_oddeven_config_static_selectorELNS0_4arch9wavefront6targetE0EEEvSF_,"axG",@progbits,_ZN7rocprim17ROCPRIM_400000_NS6detail17trampoline_kernelINS0_14default_configENS1_38merge_sort_block_merge_config_selectorIdNS0_10empty_typeEEEZZNS1_27merge_sort_block_merge_implIS3_PdPS5_jNS1_19radix_merge_compareILb1ELb0EdNS0_19identity_decomposerEEEEE10hipError_tT0_T1_T2_jT3_P12ihipStream_tbPNSt15iterator_traitsISE_E10value_typeEPNSK_ISF_E10value_typeEPSG_NS1_7vsmem_tEENKUlT_SE_SF_SG_E_clIS8_S8_S9_S9_EESD_ST_SE_SF_SG_EUlST_E1_NS1_11comp_targetILNS1_3genE9ELNS1_11target_archE1100ELNS1_3gpuE3ELNS1_3repE0EEENS1_36merge_oddeven_config_static_selectorELNS0_4arch9wavefront6targetE0EEEvSF_,comdat
.Lfunc_end1482:
	.size	_ZN7rocprim17ROCPRIM_400000_NS6detail17trampoline_kernelINS0_14default_configENS1_38merge_sort_block_merge_config_selectorIdNS0_10empty_typeEEEZZNS1_27merge_sort_block_merge_implIS3_PdPS5_jNS1_19radix_merge_compareILb1ELb0EdNS0_19identity_decomposerEEEEE10hipError_tT0_T1_T2_jT3_P12ihipStream_tbPNSt15iterator_traitsISE_E10value_typeEPNSK_ISF_E10value_typeEPSG_NS1_7vsmem_tEENKUlT_SE_SF_SG_E_clIS8_S8_S9_S9_EESD_ST_SE_SF_SG_EUlST_E1_NS1_11comp_targetILNS1_3genE9ELNS1_11target_archE1100ELNS1_3gpuE3ELNS1_3repE0EEENS1_36merge_oddeven_config_static_selectorELNS0_4arch9wavefront6targetE0EEEvSF_, .Lfunc_end1482-_ZN7rocprim17ROCPRIM_400000_NS6detail17trampoline_kernelINS0_14default_configENS1_38merge_sort_block_merge_config_selectorIdNS0_10empty_typeEEEZZNS1_27merge_sort_block_merge_implIS3_PdPS5_jNS1_19radix_merge_compareILb1ELb0EdNS0_19identity_decomposerEEEEE10hipError_tT0_T1_T2_jT3_P12ihipStream_tbPNSt15iterator_traitsISE_E10value_typeEPNSK_ISF_E10value_typeEPSG_NS1_7vsmem_tEENKUlT_SE_SF_SG_E_clIS8_S8_S9_S9_EESD_ST_SE_SF_SG_EUlST_E1_NS1_11comp_targetILNS1_3genE9ELNS1_11target_archE1100ELNS1_3gpuE3ELNS1_3repE0EEENS1_36merge_oddeven_config_static_selectorELNS0_4arch9wavefront6targetE0EEEvSF_
                                        ; -- End function
	.set _ZN7rocprim17ROCPRIM_400000_NS6detail17trampoline_kernelINS0_14default_configENS1_38merge_sort_block_merge_config_selectorIdNS0_10empty_typeEEEZZNS1_27merge_sort_block_merge_implIS3_PdPS5_jNS1_19radix_merge_compareILb1ELb0EdNS0_19identity_decomposerEEEEE10hipError_tT0_T1_T2_jT3_P12ihipStream_tbPNSt15iterator_traitsISE_E10value_typeEPNSK_ISF_E10value_typeEPSG_NS1_7vsmem_tEENKUlT_SE_SF_SG_E_clIS8_S8_S9_S9_EESD_ST_SE_SF_SG_EUlST_E1_NS1_11comp_targetILNS1_3genE9ELNS1_11target_archE1100ELNS1_3gpuE3ELNS1_3repE0EEENS1_36merge_oddeven_config_static_selectorELNS0_4arch9wavefront6targetE0EEEvSF_.num_vgpr, 0
	.set _ZN7rocprim17ROCPRIM_400000_NS6detail17trampoline_kernelINS0_14default_configENS1_38merge_sort_block_merge_config_selectorIdNS0_10empty_typeEEEZZNS1_27merge_sort_block_merge_implIS3_PdPS5_jNS1_19radix_merge_compareILb1ELb0EdNS0_19identity_decomposerEEEEE10hipError_tT0_T1_T2_jT3_P12ihipStream_tbPNSt15iterator_traitsISE_E10value_typeEPNSK_ISF_E10value_typeEPSG_NS1_7vsmem_tEENKUlT_SE_SF_SG_E_clIS8_S8_S9_S9_EESD_ST_SE_SF_SG_EUlST_E1_NS1_11comp_targetILNS1_3genE9ELNS1_11target_archE1100ELNS1_3gpuE3ELNS1_3repE0EEENS1_36merge_oddeven_config_static_selectorELNS0_4arch9wavefront6targetE0EEEvSF_.num_agpr, 0
	.set _ZN7rocprim17ROCPRIM_400000_NS6detail17trampoline_kernelINS0_14default_configENS1_38merge_sort_block_merge_config_selectorIdNS0_10empty_typeEEEZZNS1_27merge_sort_block_merge_implIS3_PdPS5_jNS1_19radix_merge_compareILb1ELb0EdNS0_19identity_decomposerEEEEE10hipError_tT0_T1_T2_jT3_P12ihipStream_tbPNSt15iterator_traitsISE_E10value_typeEPNSK_ISF_E10value_typeEPSG_NS1_7vsmem_tEENKUlT_SE_SF_SG_E_clIS8_S8_S9_S9_EESD_ST_SE_SF_SG_EUlST_E1_NS1_11comp_targetILNS1_3genE9ELNS1_11target_archE1100ELNS1_3gpuE3ELNS1_3repE0EEENS1_36merge_oddeven_config_static_selectorELNS0_4arch9wavefront6targetE0EEEvSF_.numbered_sgpr, 0
	.set _ZN7rocprim17ROCPRIM_400000_NS6detail17trampoline_kernelINS0_14default_configENS1_38merge_sort_block_merge_config_selectorIdNS0_10empty_typeEEEZZNS1_27merge_sort_block_merge_implIS3_PdPS5_jNS1_19radix_merge_compareILb1ELb0EdNS0_19identity_decomposerEEEEE10hipError_tT0_T1_T2_jT3_P12ihipStream_tbPNSt15iterator_traitsISE_E10value_typeEPNSK_ISF_E10value_typeEPSG_NS1_7vsmem_tEENKUlT_SE_SF_SG_E_clIS8_S8_S9_S9_EESD_ST_SE_SF_SG_EUlST_E1_NS1_11comp_targetILNS1_3genE9ELNS1_11target_archE1100ELNS1_3gpuE3ELNS1_3repE0EEENS1_36merge_oddeven_config_static_selectorELNS0_4arch9wavefront6targetE0EEEvSF_.num_named_barrier, 0
	.set _ZN7rocprim17ROCPRIM_400000_NS6detail17trampoline_kernelINS0_14default_configENS1_38merge_sort_block_merge_config_selectorIdNS0_10empty_typeEEEZZNS1_27merge_sort_block_merge_implIS3_PdPS5_jNS1_19radix_merge_compareILb1ELb0EdNS0_19identity_decomposerEEEEE10hipError_tT0_T1_T2_jT3_P12ihipStream_tbPNSt15iterator_traitsISE_E10value_typeEPNSK_ISF_E10value_typeEPSG_NS1_7vsmem_tEENKUlT_SE_SF_SG_E_clIS8_S8_S9_S9_EESD_ST_SE_SF_SG_EUlST_E1_NS1_11comp_targetILNS1_3genE9ELNS1_11target_archE1100ELNS1_3gpuE3ELNS1_3repE0EEENS1_36merge_oddeven_config_static_selectorELNS0_4arch9wavefront6targetE0EEEvSF_.private_seg_size, 0
	.set _ZN7rocprim17ROCPRIM_400000_NS6detail17trampoline_kernelINS0_14default_configENS1_38merge_sort_block_merge_config_selectorIdNS0_10empty_typeEEEZZNS1_27merge_sort_block_merge_implIS3_PdPS5_jNS1_19radix_merge_compareILb1ELb0EdNS0_19identity_decomposerEEEEE10hipError_tT0_T1_T2_jT3_P12ihipStream_tbPNSt15iterator_traitsISE_E10value_typeEPNSK_ISF_E10value_typeEPSG_NS1_7vsmem_tEENKUlT_SE_SF_SG_E_clIS8_S8_S9_S9_EESD_ST_SE_SF_SG_EUlST_E1_NS1_11comp_targetILNS1_3genE9ELNS1_11target_archE1100ELNS1_3gpuE3ELNS1_3repE0EEENS1_36merge_oddeven_config_static_selectorELNS0_4arch9wavefront6targetE0EEEvSF_.uses_vcc, 0
	.set _ZN7rocprim17ROCPRIM_400000_NS6detail17trampoline_kernelINS0_14default_configENS1_38merge_sort_block_merge_config_selectorIdNS0_10empty_typeEEEZZNS1_27merge_sort_block_merge_implIS3_PdPS5_jNS1_19radix_merge_compareILb1ELb0EdNS0_19identity_decomposerEEEEE10hipError_tT0_T1_T2_jT3_P12ihipStream_tbPNSt15iterator_traitsISE_E10value_typeEPNSK_ISF_E10value_typeEPSG_NS1_7vsmem_tEENKUlT_SE_SF_SG_E_clIS8_S8_S9_S9_EESD_ST_SE_SF_SG_EUlST_E1_NS1_11comp_targetILNS1_3genE9ELNS1_11target_archE1100ELNS1_3gpuE3ELNS1_3repE0EEENS1_36merge_oddeven_config_static_selectorELNS0_4arch9wavefront6targetE0EEEvSF_.uses_flat_scratch, 0
	.set _ZN7rocprim17ROCPRIM_400000_NS6detail17trampoline_kernelINS0_14default_configENS1_38merge_sort_block_merge_config_selectorIdNS0_10empty_typeEEEZZNS1_27merge_sort_block_merge_implIS3_PdPS5_jNS1_19radix_merge_compareILb1ELb0EdNS0_19identity_decomposerEEEEE10hipError_tT0_T1_T2_jT3_P12ihipStream_tbPNSt15iterator_traitsISE_E10value_typeEPNSK_ISF_E10value_typeEPSG_NS1_7vsmem_tEENKUlT_SE_SF_SG_E_clIS8_S8_S9_S9_EESD_ST_SE_SF_SG_EUlST_E1_NS1_11comp_targetILNS1_3genE9ELNS1_11target_archE1100ELNS1_3gpuE3ELNS1_3repE0EEENS1_36merge_oddeven_config_static_selectorELNS0_4arch9wavefront6targetE0EEEvSF_.has_dyn_sized_stack, 0
	.set _ZN7rocprim17ROCPRIM_400000_NS6detail17trampoline_kernelINS0_14default_configENS1_38merge_sort_block_merge_config_selectorIdNS0_10empty_typeEEEZZNS1_27merge_sort_block_merge_implIS3_PdPS5_jNS1_19radix_merge_compareILb1ELb0EdNS0_19identity_decomposerEEEEE10hipError_tT0_T1_T2_jT3_P12ihipStream_tbPNSt15iterator_traitsISE_E10value_typeEPNSK_ISF_E10value_typeEPSG_NS1_7vsmem_tEENKUlT_SE_SF_SG_E_clIS8_S8_S9_S9_EESD_ST_SE_SF_SG_EUlST_E1_NS1_11comp_targetILNS1_3genE9ELNS1_11target_archE1100ELNS1_3gpuE3ELNS1_3repE0EEENS1_36merge_oddeven_config_static_selectorELNS0_4arch9wavefront6targetE0EEEvSF_.has_recursion, 0
	.set _ZN7rocprim17ROCPRIM_400000_NS6detail17trampoline_kernelINS0_14default_configENS1_38merge_sort_block_merge_config_selectorIdNS0_10empty_typeEEEZZNS1_27merge_sort_block_merge_implIS3_PdPS5_jNS1_19radix_merge_compareILb1ELb0EdNS0_19identity_decomposerEEEEE10hipError_tT0_T1_T2_jT3_P12ihipStream_tbPNSt15iterator_traitsISE_E10value_typeEPNSK_ISF_E10value_typeEPSG_NS1_7vsmem_tEENKUlT_SE_SF_SG_E_clIS8_S8_S9_S9_EESD_ST_SE_SF_SG_EUlST_E1_NS1_11comp_targetILNS1_3genE9ELNS1_11target_archE1100ELNS1_3gpuE3ELNS1_3repE0EEENS1_36merge_oddeven_config_static_selectorELNS0_4arch9wavefront6targetE0EEEvSF_.has_indirect_call, 0
	.section	.AMDGPU.csdata,"",@progbits
; Kernel info:
; codeLenInByte = 0
; TotalNumSgprs: 0
; NumVgprs: 0
; ScratchSize: 0
; MemoryBound: 0
; FloatMode: 240
; IeeeMode: 1
; LDSByteSize: 0 bytes/workgroup (compile time only)
; SGPRBlocks: 0
; VGPRBlocks: 0
; NumSGPRsForWavesPerEU: 1
; NumVGPRsForWavesPerEU: 1
; NamedBarCnt: 0
; Occupancy: 16
; WaveLimiterHint : 0
; COMPUTE_PGM_RSRC2:SCRATCH_EN: 0
; COMPUTE_PGM_RSRC2:USER_SGPR: 2
; COMPUTE_PGM_RSRC2:TRAP_HANDLER: 0
; COMPUTE_PGM_RSRC2:TGID_X_EN: 1
; COMPUTE_PGM_RSRC2:TGID_Y_EN: 0
; COMPUTE_PGM_RSRC2:TGID_Z_EN: 0
; COMPUTE_PGM_RSRC2:TIDIG_COMP_CNT: 0
	.section	.text._ZN7rocprim17ROCPRIM_400000_NS6detail17trampoline_kernelINS0_14default_configENS1_38merge_sort_block_merge_config_selectorIdNS0_10empty_typeEEEZZNS1_27merge_sort_block_merge_implIS3_PdPS5_jNS1_19radix_merge_compareILb1ELb0EdNS0_19identity_decomposerEEEEE10hipError_tT0_T1_T2_jT3_P12ihipStream_tbPNSt15iterator_traitsISE_E10value_typeEPNSK_ISF_E10value_typeEPSG_NS1_7vsmem_tEENKUlT_SE_SF_SG_E_clIS8_S8_S9_S9_EESD_ST_SE_SF_SG_EUlST_E1_NS1_11comp_targetILNS1_3genE8ELNS1_11target_archE1030ELNS1_3gpuE2ELNS1_3repE0EEENS1_36merge_oddeven_config_static_selectorELNS0_4arch9wavefront6targetE0EEEvSF_,"axG",@progbits,_ZN7rocprim17ROCPRIM_400000_NS6detail17trampoline_kernelINS0_14default_configENS1_38merge_sort_block_merge_config_selectorIdNS0_10empty_typeEEEZZNS1_27merge_sort_block_merge_implIS3_PdPS5_jNS1_19radix_merge_compareILb1ELb0EdNS0_19identity_decomposerEEEEE10hipError_tT0_T1_T2_jT3_P12ihipStream_tbPNSt15iterator_traitsISE_E10value_typeEPNSK_ISF_E10value_typeEPSG_NS1_7vsmem_tEENKUlT_SE_SF_SG_E_clIS8_S8_S9_S9_EESD_ST_SE_SF_SG_EUlST_E1_NS1_11comp_targetILNS1_3genE8ELNS1_11target_archE1030ELNS1_3gpuE2ELNS1_3repE0EEENS1_36merge_oddeven_config_static_selectorELNS0_4arch9wavefront6targetE0EEEvSF_,comdat
	.protected	_ZN7rocprim17ROCPRIM_400000_NS6detail17trampoline_kernelINS0_14default_configENS1_38merge_sort_block_merge_config_selectorIdNS0_10empty_typeEEEZZNS1_27merge_sort_block_merge_implIS3_PdPS5_jNS1_19radix_merge_compareILb1ELb0EdNS0_19identity_decomposerEEEEE10hipError_tT0_T1_T2_jT3_P12ihipStream_tbPNSt15iterator_traitsISE_E10value_typeEPNSK_ISF_E10value_typeEPSG_NS1_7vsmem_tEENKUlT_SE_SF_SG_E_clIS8_S8_S9_S9_EESD_ST_SE_SF_SG_EUlST_E1_NS1_11comp_targetILNS1_3genE8ELNS1_11target_archE1030ELNS1_3gpuE2ELNS1_3repE0EEENS1_36merge_oddeven_config_static_selectorELNS0_4arch9wavefront6targetE0EEEvSF_ ; -- Begin function _ZN7rocprim17ROCPRIM_400000_NS6detail17trampoline_kernelINS0_14default_configENS1_38merge_sort_block_merge_config_selectorIdNS0_10empty_typeEEEZZNS1_27merge_sort_block_merge_implIS3_PdPS5_jNS1_19radix_merge_compareILb1ELb0EdNS0_19identity_decomposerEEEEE10hipError_tT0_T1_T2_jT3_P12ihipStream_tbPNSt15iterator_traitsISE_E10value_typeEPNSK_ISF_E10value_typeEPSG_NS1_7vsmem_tEENKUlT_SE_SF_SG_E_clIS8_S8_S9_S9_EESD_ST_SE_SF_SG_EUlST_E1_NS1_11comp_targetILNS1_3genE8ELNS1_11target_archE1030ELNS1_3gpuE2ELNS1_3repE0EEENS1_36merge_oddeven_config_static_selectorELNS0_4arch9wavefront6targetE0EEEvSF_
	.globl	_ZN7rocprim17ROCPRIM_400000_NS6detail17trampoline_kernelINS0_14default_configENS1_38merge_sort_block_merge_config_selectorIdNS0_10empty_typeEEEZZNS1_27merge_sort_block_merge_implIS3_PdPS5_jNS1_19radix_merge_compareILb1ELb0EdNS0_19identity_decomposerEEEEE10hipError_tT0_T1_T2_jT3_P12ihipStream_tbPNSt15iterator_traitsISE_E10value_typeEPNSK_ISF_E10value_typeEPSG_NS1_7vsmem_tEENKUlT_SE_SF_SG_E_clIS8_S8_S9_S9_EESD_ST_SE_SF_SG_EUlST_E1_NS1_11comp_targetILNS1_3genE8ELNS1_11target_archE1030ELNS1_3gpuE2ELNS1_3repE0EEENS1_36merge_oddeven_config_static_selectorELNS0_4arch9wavefront6targetE0EEEvSF_
	.p2align	8
	.type	_ZN7rocprim17ROCPRIM_400000_NS6detail17trampoline_kernelINS0_14default_configENS1_38merge_sort_block_merge_config_selectorIdNS0_10empty_typeEEEZZNS1_27merge_sort_block_merge_implIS3_PdPS5_jNS1_19radix_merge_compareILb1ELb0EdNS0_19identity_decomposerEEEEE10hipError_tT0_T1_T2_jT3_P12ihipStream_tbPNSt15iterator_traitsISE_E10value_typeEPNSK_ISF_E10value_typeEPSG_NS1_7vsmem_tEENKUlT_SE_SF_SG_E_clIS8_S8_S9_S9_EESD_ST_SE_SF_SG_EUlST_E1_NS1_11comp_targetILNS1_3genE8ELNS1_11target_archE1030ELNS1_3gpuE2ELNS1_3repE0EEENS1_36merge_oddeven_config_static_selectorELNS0_4arch9wavefront6targetE0EEEvSF_,@function
_ZN7rocprim17ROCPRIM_400000_NS6detail17trampoline_kernelINS0_14default_configENS1_38merge_sort_block_merge_config_selectorIdNS0_10empty_typeEEEZZNS1_27merge_sort_block_merge_implIS3_PdPS5_jNS1_19radix_merge_compareILb1ELb0EdNS0_19identity_decomposerEEEEE10hipError_tT0_T1_T2_jT3_P12ihipStream_tbPNSt15iterator_traitsISE_E10value_typeEPNSK_ISF_E10value_typeEPSG_NS1_7vsmem_tEENKUlT_SE_SF_SG_E_clIS8_S8_S9_S9_EESD_ST_SE_SF_SG_EUlST_E1_NS1_11comp_targetILNS1_3genE8ELNS1_11target_archE1030ELNS1_3gpuE2ELNS1_3repE0EEENS1_36merge_oddeven_config_static_selectorELNS0_4arch9wavefront6targetE0EEEvSF_: ; @_ZN7rocprim17ROCPRIM_400000_NS6detail17trampoline_kernelINS0_14default_configENS1_38merge_sort_block_merge_config_selectorIdNS0_10empty_typeEEEZZNS1_27merge_sort_block_merge_implIS3_PdPS5_jNS1_19radix_merge_compareILb1ELb0EdNS0_19identity_decomposerEEEEE10hipError_tT0_T1_T2_jT3_P12ihipStream_tbPNSt15iterator_traitsISE_E10value_typeEPNSK_ISF_E10value_typeEPSG_NS1_7vsmem_tEENKUlT_SE_SF_SG_E_clIS8_S8_S9_S9_EESD_ST_SE_SF_SG_EUlST_E1_NS1_11comp_targetILNS1_3genE8ELNS1_11target_archE1030ELNS1_3gpuE2ELNS1_3repE0EEENS1_36merge_oddeven_config_static_selectorELNS0_4arch9wavefront6targetE0EEEvSF_
; %bb.0:
	.section	.rodata,"a",@progbits
	.p2align	6, 0x0
	.amdhsa_kernel _ZN7rocprim17ROCPRIM_400000_NS6detail17trampoline_kernelINS0_14default_configENS1_38merge_sort_block_merge_config_selectorIdNS0_10empty_typeEEEZZNS1_27merge_sort_block_merge_implIS3_PdPS5_jNS1_19radix_merge_compareILb1ELb0EdNS0_19identity_decomposerEEEEE10hipError_tT0_T1_T2_jT3_P12ihipStream_tbPNSt15iterator_traitsISE_E10value_typeEPNSK_ISF_E10value_typeEPSG_NS1_7vsmem_tEENKUlT_SE_SF_SG_E_clIS8_S8_S9_S9_EESD_ST_SE_SF_SG_EUlST_E1_NS1_11comp_targetILNS1_3genE8ELNS1_11target_archE1030ELNS1_3gpuE2ELNS1_3repE0EEENS1_36merge_oddeven_config_static_selectorELNS0_4arch9wavefront6targetE0EEEvSF_
		.amdhsa_group_segment_fixed_size 0
		.amdhsa_private_segment_fixed_size 0
		.amdhsa_kernarg_size 48
		.amdhsa_user_sgpr_count 2
		.amdhsa_user_sgpr_dispatch_ptr 0
		.amdhsa_user_sgpr_queue_ptr 0
		.amdhsa_user_sgpr_kernarg_segment_ptr 1
		.amdhsa_user_sgpr_dispatch_id 0
		.amdhsa_user_sgpr_kernarg_preload_length 0
		.amdhsa_user_sgpr_kernarg_preload_offset 0
		.amdhsa_user_sgpr_private_segment_size 0
		.amdhsa_wavefront_size32 1
		.amdhsa_uses_dynamic_stack 0
		.amdhsa_enable_private_segment 0
		.amdhsa_system_sgpr_workgroup_id_x 1
		.amdhsa_system_sgpr_workgroup_id_y 0
		.amdhsa_system_sgpr_workgroup_id_z 0
		.amdhsa_system_sgpr_workgroup_info 0
		.amdhsa_system_vgpr_workitem_id 0
		.amdhsa_next_free_vgpr 1
		.amdhsa_next_free_sgpr 1
		.amdhsa_named_barrier_count 0
		.amdhsa_reserve_vcc 0
		.amdhsa_float_round_mode_32 0
		.amdhsa_float_round_mode_16_64 0
		.amdhsa_float_denorm_mode_32 3
		.amdhsa_float_denorm_mode_16_64 3
		.amdhsa_fp16_overflow 0
		.amdhsa_memory_ordered 1
		.amdhsa_forward_progress 1
		.amdhsa_inst_pref_size 0
		.amdhsa_round_robin_scheduling 0
		.amdhsa_exception_fp_ieee_invalid_op 0
		.amdhsa_exception_fp_denorm_src 0
		.amdhsa_exception_fp_ieee_div_zero 0
		.amdhsa_exception_fp_ieee_overflow 0
		.amdhsa_exception_fp_ieee_underflow 0
		.amdhsa_exception_fp_ieee_inexact 0
		.amdhsa_exception_int_div_zero 0
	.end_amdhsa_kernel
	.section	.text._ZN7rocprim17ROCPRIM_400000_NS6detail17trampoline_kernelINS0_14default_configENS1_38merge_sort_block_merge_config_selectorIdNS0_10empty_typeEEEZZNS1_27merge_sort_block_merge_implIS3_PdPS5_jNS1_19radix_merge_compareILb1ELb0EdNS0_19identity_decomposerEEEEE10hipError_tT0_T1_T2_jT3_P12ihipStream_tbPNSt15iterator_traitsISE_E10value_typeEPNSK_ISF_E10value_typeEPSG_NS1_7vsmem_tEENKUlT_SE_SF_SG_E_clIS8_S8_S9_S9_EESD_ST_SE_SF_SG_EUlST_E1_NS1_11comp_targetILNS1_3genE8ELNS1_11target_archE1030ELNS1_3gpuE2ELNS1_3repE0EEENS1_36merge_oddeven_config_static_selectorELNS0_4arch9wavefront6targetE0EEEvSF_,"axG",@progbits,_ZN7rocprim17ROCPRIM_400000_NS6detail17trampoline_kernelINS0_14default_configENS1_38merge_sort_block_merge_config_selectorIdNS0_10empty_typeEEEZZNS1_27merge_sort_block_merge_implIS3_PdPS5_jNS1_19radix_merge_compareILb1ELb0EdNS0_19identity_decomposerEEEEE10hipError_tT0_T1_T2_jT3_P12ihipStream_tbPNSt15iterator_traitsISE_E10value_typeEPNSK_ISF_E10value_typeEPSG_NS1_7vsmem_tEENKUlT_SE_SF_SG_E_clIS8_S8_S9_S9_EESD_ST_SE_SF_SG_EUlST_E1_NS1_11comp_targetILNS1_3genE8ELNS1_11target_archE1030ELNS1_3gpuE2ELNS1_3repE0EEENS1_36merge_oddeven_config_static_selectorELNS0_4arch9wavefront6targetE0EEEvSF_,comdat
.Lfunc_end1483:
	.size	_ZN7rocprim17ROCPRIM_400000_NS6detail17trampoline_kernelINS0_14default_configENS1_38merge_sort_block_merge_config_selectorIdNS0_10empty_typeEEEZZNS1_27merge_sort_block_merge_implIS3_PdPS5_jNS1_19radix_merge_compareILb1ELb0EdNS0_19identity_decomposerEEEEE10hipError_tT0_T1_T2_jT3_P12ihipStream_tbPNSt15iterator_traitsISE_E10value_typeEPNSK_ISF_E10value_typeEPSG_NS1_7vsmem_tEENKUlT_SE_SF_SG_E_clIS8_S8_S9_S9_EESD_ST_SE_SF_SG_EUlST_E1_NS1_11comp_targetILNS1_3genE8ELNS1_11target_archE1030ELNS1_3gpuE2ELNS1_3repE0EEENS1_36merge_oddeven_config_static_selectorELNS0_4arch9wavefront6targetE0EEEvSF_, .Lfunc_end1483-_ZN7rocprim17ROCPRIM_400000_NS6detail17trampoline_kernelINS0_14default_configENS1_38merge_sort_block_merge_config_selectorIdNS0_10empty_typeEEEZZNS1_27merge_sort_block_merge_implIS3_PdPS5_jNS1_19radix_merge_compareILb1ELb0EdNS0_19identity_decomposerEEEEE10hipError_tT0_T1_T2_jT3_P12ihipStream_tbPNSt15iterator_traitsISE_E10value_typeEPNSK_ISF_E10value_typeEPSG_NS1_7vsmem_tEENKUlT_SE_SF_SG_E_clIS8_S8_S9_S9_EESD_ST_SE_SF_SG_EUlST_E1_NS1_11comp_targetILNS1_3genE8ELNS1_11target_archE1030ELNS1_3gpuE2ELNS1_3repE0EEENS1_36merge_oddeven_config_static_selectorELNS0_4arch9wavefront6targetE0EEEvSF_
                                        ; -- End function
	.set _ZN7rocprim17ROCPRIM_400000_NS6detail17trampoline_kernelINS0_14default_configENS1_38merge_sort_block_merge_config_selectorIdNS0_10empty_typeEEEZZNS1_27merge_sort_block_merge_implIS3_PdPS5_jNS1_19radix_merge_compareILb1ELb0EdNS0_19identity_decomposerEEEEE10hipError_tT0_T1_T2_jT3_P12ihipStream_tbPNSt15iterator_traitsISE_E10value_typeEPNSK_ISF_E10value_typeEPSG_NS1_7vsmem_tEENKUlT_SE_SF_SG_E_clIS8_S8_S9_S9_EESD_ST_SE_SF_SG_EUlST_E1_NS1_11comp_targetILNS1_3genE8ELNS1_11target_archE1030ELNS1_3gpuE2ELNS1_3repE0EEENS1_36merge_oddeven_config_static_selectorELNS0_4arch9wavefront6targetE0EEEvSF_.num_vgpr, 0
	.set _ZN7rocprim17ROCPRIM_400000_NS6detail17trampoline_kernelINS0_14default_configENS1_38merge_sort_block_merge_config_selectorIdNS0_10empty_typeEEEZZNS1_27merge_sort_block_merge_implIS3_PdPS5_jNS1_19radix_merge_compareILb1ELb0EdNS0_19identity_decomposerEEEEE10hipError_tT0_T1_T2_jT3_P12ihipStream_tbPNSt15iterator_traitsISE_E10value_typeEPNSK_ISF_E10value_typeEPSG_NS1_7vsmem_tEENKUlT_SE_SF_SG_E_clIS8_S8_S9_S9_EESD_ST_SE_SF_SG_EUlST_E1_NS1_11comp_targetILNS1_3genE8ELNS1_11target_archE1030ELNS1_3gpuE2ELNS1_3repE0EEENS1_36merge_oddeven_config_static_selectorELNS0_4arch9wavefront6targetE0EEEvSF_.num_agpr, 0
	.set _ZN7rocprim17ROCPRIM_400000_NS6detail17trampoline_kernelINS0_14default_configENS1_38merge_sort_block_merge_config_selectorIdNS0_10empty_typeEEEZZNS1_27merge_sort_block_merge_implIS3_PdPS5_jNS1_19radix_merge_compareILb1ELb0EdNS0_19identity_decomposerEEEEE10hipError_tT0_T1_T2_jT3_P12ihipStream_tbPNSt15iterator_traitsISE_E10value_typeEPNSK_ISF_E10value_typeEPSG_NS1_7vsmem_tEENKUlT_SE_SF_SG_E_clIS8_S8_S9_S9_EESD_ST_SE_SF_SG_EUlST_E1_NS1_11comp_targetILNS1_3genE8ELNS1_11target_archE1030ELNS1_3gpuE2ELNS1_3repE0EEENS1_36merge_oddeven_config_static_selectorELNS0_4arch9wavefront6targetE0EEEvSF_.numbered_sgpr, 0
	.set _ZN7rocprim17ROCPRIM_400000_NS6detail17trampoline_kernelINS0_14default_configENS1_38merge_sort_block_merge_config_selectorIdNS0_10empty_typeEEEZZNS1_27merge_sort_block_merge_implIS3_PdPS5_jNS1_19radix_merge_compareILb1ELb0EdNS0_19identity_decomposerEEEEE10hipError_tT0_T1_T2_jT3_P12ihipStream_tbPNSt15iterator_traitsISE_E10value_typeEPNSK_ISF_E10value_typeEPSG_NS1_7vsmem_tEENKUlT_SE_SF_SG_E_clIS8_S8_S9_S9_EESD_ST_SE_SF_SG_EUlST_E1_NS1_11comp_targetILNS1_3genE8ELNS1_11target_archE1030ELNS1_3gpuE2ELNS1_3repE0EEENS1_36merge_oddeven_config_static_selectorELNS0_4arch9wavefront6targetE0EEEvSF_.num_named_barrier, 0
	.set _ZN7rocprim17ROCPRIM_400000_NS6detail17trampoline_kernelINS0_14default_configENS1_38merge_sort_block_merge_config_selectorIdNS0_10empty_typeEEEZZNS1_27merge_sort_block_merge_implIS3_PdPS5_jNS1_19radix_merge_compareILb1ELb0EdNS0_19identity_decomposerEEEEE10hipError_tT0_T1_T2_jT3_P12ihipStream_tbPNSt15iterator_traitsISE_E10value_typeEPNSK_ISF_E10value_typeEPSG_NS1_7vsmem_tEENKUlT_SE_SF_SG_E_clIS8_S8_S9_S9_EESD_ST_SE_SF_SG_EUlST_E1_NS1_11comp_targetILNS1_3genE8ELNS1_11target_archE1030ELNS1_3gpuE2ELNS1_3repE0EEENS1_36merge_oddeven_config_static_selectorELNS0_4arch9wavefront6targetE0EEEvSF_.private_seg_size, 0
	.set _ZN7rocprim17ROCPRIM_400000_NS6detail17trampoline_kernelINS0_14default_configENS1_38merge_sort_block_merge_config_selectorIdNS0_10empty_typeEEEZZNS1_27merge_sort_block_merge_implIS3_PdPS5_jNS1_19radix_merge_compareILb1ELb0EdNS0_19identity_decomposerEEEEE10hipError_tT0_T1_T2_jT3_P12ihipStream_tbPNSt15iterator_traitsISE_E10value_typeEPNSK_ISF_E10value_typeEPSG_NS1_7vsmem_tEENKUlT_SE_SF_SG_E_clIS8_S8_S9_S9_EESD_ST_SE_SF_SG_EUlST_E1_NS1_11comp_targetILNS1_3genE8ELNS1_11target_archE1030ELNS1_3gpuE2ELNS1_3repE0EEENS1_36merge_oddeven_config_static_selectorELNS0_4arch9wavefront6targetE0EEEvSF_.uses_vcc, 0
	.set _ZN7rocprim17ROCPRIM_400000_NS6detail17trampoline_kernelINS0_14default_configENS1_38merge_sort_block_merge_config_selectorIdNS0_10empty_typeEEEZZNS1_27merge_sort_block_merge_implIS3_PdPS5_jNS1_19radix_merge_compareILb1ELb0EdNS0_19identity_decomposerEEEEE10hipError_tT0_T1_T2_jT3_P12ihipStream_tbPNSt15iterator_traitsISE_E10value_typeEPNSK_ISF_E10value_typeEPSG_NS1_7vsmem_tEENKUlT_SE_SF_SG_E_clIS8_S8_S9_S9_EESD_ST_SE_SF_SG_EUlST_E1_NS1_11comp_targetILNS1_3genE8ELNS1_11target_archE1030ELNS1_3gpuE2ELNS1_3repE0EEENS1_36merge_oddeven_config_static_selectorELNS0_4arch9wavefront6targetE0EEEvSF_.uses_flat_scratch, 0
	.set _ZN7rocprim17ROCPRIM_400000_NS6detail17trampoline_kernelINS0_14default_configENS1_38merge_sort_block_merge_config_selectorIdNS0_10empty_typeEEEZZNS1_27merge_sort_block_merge_implIS3_PdPS5_jNS1_19radix_merge_compareILb1ELb0EdNS0_19identity_decomposerEEEEE10hipError_tT0_T1_T2_jT3_P12ihipStream_tbPNSt15iterator_traitsISE_E10value_typeEPNSK_ISF_E10value_typeEPSG_NS1_7vsmem_tEENKUlT_SE_SF_SG_E_clIS8_S8_S9_S9_EESD_ST_SE_SF_SG_EUlST_E1_NS1_11comp_targetILNS1_3genE8ELNS1_11target_archE1030ELNS1_3gpuE2ELNS1_3repE0EEENS1_36merge_oddeven_config_static_selectorELNS0_4arch9wavefront6targetE0EEEvSF_.has_dyn_sized_stack, 0
	.set _ZN7rocprim17ROCPRIM_400000_NS6detail17trampoline_kernelINS0_14default_configENS1_38merge_sort_block_merge_config_selectorIdNS0_10empty_typeEEEZZNS1_27merge_sort_block_merge_implIS3_PdPS5_jNS1_19radix_merge_compareILb1ELb0EdNS0_19identity_decomposerEEEEE10hipError_tT0_T1_T2_jT3_P12ihipStream_tbPNSt15iterator_traitsISE_E10value_typeEPNSK_ISF_E10value_typeEPSG_NS1_7vsmem_tEENKUlT_SE_SF_SG_E_clIS8_S8_S9_S9_EESD_ST_SE_SF_SG_EUlST_E1_NS1_11comp_targetILNS1_3genE8ELNS1_11target_archE1030ELNS1_3gpuE2ELNS1_3repE0EEENS1_36merge_oddeven_config_static_selectorELNS0_4arch9wavefront6targetE0EEEvSF_.has_recursion, 0
	.set _ZN7rocprim17ROCPRIM_400000_NS6detail17trampoline_kernelINS0_14default_configENS1_38merge_sort_block_merge_config_selectorIdNS0_10empty_typeEEEZZNS1_27merge_sort_block_merge_implIS3_PdPS5_jNS1_19radix_merge_compareILb1ELb0EdNS0_19identity_decomposerEEEEE10hipError_tT0_T1_T2_jT3_P12ihipStream_tbPNSt15iterator_traitsISE_E10value_typeEPNSK_ISF_E10value_typeEPSG_NS1_7vsmem_tEENKUlT_SE_SF_SG_E_clIS8_S8_S9_S9_EESD_ST_SE_SF_SG_EUlST_E1_NS1_11comp_targetILNS1_3genE8ELNS1_11target_archE1030ELNS1_3gpuE2ELNS1_3repE0EEENS1_36merge_oddeven_config_static_selectorELNS0_4arch9wavefront6targetE0EEEvSF_.has_indirect_call, 0
	.section	.AMDGPU.csdata,"",@progbits
; Kernel info:
; codeLenInByte = 0
; TotalNumSgprs: 0
; NumVgprs: 0
; ScratchSize: 0
; MemoryBound: 0
; FloatMode: 240
; IeeeMode: 1
; LDSByteSize: 0 bytes/workgroup (compile time only)
; SGPRBlocks: 0
; VGPRBlocks: 0
; NumSGPRsForWavesPerEU: 1
; NumVGPRsForWavesPerEU: 1
; NamedBarCnt: 0
; Occupancy: 16
; WaveLimiterHint : 0
; COMPUTE_PGM_RSRC2:SCRATCH_EN: 0
; COMPUTE_PGM_RSRC2:USER_SGPR: 2
; COMPUTE_PGM_RSRC2:TRAP_HANDLER: 0
; COMPUTE_PGM_RSRC2:TGID_X_EN: 1
; COMPUTE_PGM_RSRC2:TGID_Y_EN: 0
; COMPUTE_PGM_RSRC2:TGID_Z_EN: 0
; COMPUTE_PGM_RSRC2:TIDIG_COMP_CNT: 0
	.section	.text._ZN7rocprim17ROCPRIM_400000_NS6detail17trampoline_kernelINS0_14default_configENS1_25transform_config_selectorIdLb1EEEZNS1_14transform_implILb1ES3_S5_PdS7_NS0_8identityIdEEEE10hipError_tT2_T3_mT4_P12ihipStream_tbEUlT_E_NS1_11comp_targetILNS1_3genE0ELNS1_11target_archE4294967295ELNS1_3gpuE0ELNS1_3repE0EEENS1_30default_config_static_selectorELNS0_4arch9wavefront6targetE0EEEvT1_,"axG",@progbits,_ZN7rocprim17ROCPRIM_400000_NS6detail17trampoline_kernelINS0_14default_configENS1_25transform_config_selectorIdLb1EEEZNS1_14transform_implILb1ES3_S5_PdS7_NS0_8identityIdEEEE10hipError_tT2_T3_mT4_P12ihipStream_tbEUlT_E_NS1_11comp_targetILNS1_3genE0ELNS1_11target_archE4294967295ELNS1_3gpuE0ELNS1_3repE0EEENS1_30default_config_static_selectorELNS0_4arch9wavefront6targetE0EEEvT1_,comdat
	.protected	_ZN7rocprim17ROCPRIM_400000_NS6detail17trampoline_kernelINS0_14default_configENS1_25transform_config_selectorIdLb1EEEZNS1_14transform_implILb1ES3_S5_PdS7_NS0_8identityIdEEEE10hipError_tT2_T3_mT4_P12ihipStream_tbEUlT_E_NS1_11comp_targetILNS1_3genE0ELNS1_11target_archE4294967295ELNS1_3gpuE0ELNS1_3repE0EEENS1_30default_config_static_selectorELNS0_4arch9wavefront6targetE0EEEvT1_ ; -- Begin function _ZN7rocprim17ROCPRIM_400000_NS6detail17trampoline_kernelINS0_14default_configENS1_25transform_config_selectorIdLb1EEEZNS1_14transform_implILb1ES3_S5_PdS7_NS0_8identityIdEEEE10hipError_tT2_T3_mT4_P12ihipStream_tbEUlT_E_NS1_11comp_targetILNS1_3genE0ELNS1_11target_archE4294967295ELNS1_3gpuE0ELNS1_3repE0EEENS1_30default_config_static_selectorELNS0_4arch9wavefront6targetE0EEEvT1_
	.globl	_ZN7rocprim17ROCPRIM_400000_NS6detail17trampoline_kernelINS0_14default_configENS1_25transform_config_selectorIdLb1EEEZNS1_14transform_implILb1ES3_S5_PdS7_NS0_8identityIdEEEE10hipError_tT2_T3_mT4_P12ihipStream_tbEUlT_E_NS1_11comp_targetILNS1_3genE0ELNS1_11target_archE4294967295ELNS1_3gpuE0ELNS1_3repE0EEENS1_30default_config_static_selectorELNS0_4arch9wavefront6targetE0EEEvT1_
	.p2align	8
	.type	_ZN7rocprim17ROCPRIM_400000_NS6detail17trampoline_kernelINS0_14default_configENS1_25transform_config_selectorIdLb1EEEZNS1_14transform_implILb1ES3_S5_PdS7_NS0_8identityIdEEEE10hipError_tT2_T3_mT4_P12ihipStream_tbEUlT_E_NS1_11comp_targetILNS1_3genE0ELNS1_11target_archE4294967295ELNS1_3gpuE0ELNS1_3repE0EEENS1_30default_config_static_selectorELNS0_4arch9wavefront6targetE0EEEvT1_,@function
_ZN7rocprim17ROCPRIM_400000_NS6detail17trampoline_kernelINS0_14default_configENS1_25transform_config_selectorIdLb1EEEZNS1_14transform_implILb1ES3_S5_PdS7_NS0_8identityIdEEEE10hipError_tT2_T3_mT4_P12ihipStream_tbEUlT_E_NS1_11comp_targetILNS1_3genE0ELNS1_11target_archE4294967295ELNS1_3gpuE0ELNS1_3repE0EEENS1_30default_config_static_selectorELNS0_4arch9wavefront6targetE0EEEvT1_: ; @_ZN7rocprim17ROCPRIM_400000_NS6detail17trampoline_kernelINS0_14default_configENS1_25transform_config_selectorIdLb1EEEZNS1_14transform_implILb1ES3_S5_PdS7_NS0_8identityIdEEEE10hipError_tT2_T3_mT4_P12ihipStream_tbEUlT_E_NS1_11comp_targetILNS1_3genE0ELNS1_11target_archE4294967295ELNS1_3gpuE0ELNS1_3repE0EEENS1_30default_config_static_selectorELNS0_4arch9wavefront6targetE0EEEvT1_
; %bb.0:
	s_clause 0x1
	s_load_b32 s2, s[0:1], 0x28
	s_load_b32 s3, s[0:1], 0x10
	s_bfe_u32 s4, ttmp6, 0x4000c
	s_and_b32 s5, ttmp6, 15
	s_add_co_i32 s4, s4, 1
	s_getreg_b32 s6, hwreg(HW_REG_IB_STS2, 6, 4)
	s_mul_i32 s4, ttmp9, s4
	s_delay_alu instid0(SALU_CYCLE_1)
	s_add_co_i32 s5, s5, s4
	s_cmp_eq_u32 s6, 0
	s_cselect_b32 s4, ttmp9, s5
	s_wait_kmcnt 0x0
	s_add_co_i32 s5, s2, -1
	s_lshl_b32 s2, s4, 7
	s_cmp_lg_u32 s4, s5
	s_cselect_b32 s4, -1, 0
	s_sub_co_i32 s3, s3, s2
	s_delay_alu instid0(SALU_CYCLE_1) | instskip(SKIP_2) | instid1(SALU_CYCLE_1)
	v_cmp_gt_u32_e32 vcc_lo, s3, v0
	s_mov_b32 s3, 0
	s_or_b32 s4, vcc_lo, s4
	s_and_saveexec_b32 s5, s4
	s_cbranch_execz .LBB1484_2
; %bb.1:
	s_clause 0x1
	s_load_b128 s[4:7], s[0:1], 0x0
	s_load_b64 s[8:9], s[0:1], 0x18
	s_lshl_b64 s[2:3], s[2:3], 3
	s_wait_kmcnt 0x0
	s_lshl_b64 s[0:1], s[6:7], 3
	s_delay_alu instid0(SALU_CYCLE_1)
	s_add_nc_u64 s[4:5], s[4:5], s[0:1]
	s_add_nc_u64 s[0:1], s[8:9], s[0:1]
	;; [unrolled: 1-line block ×4, first 2 shown]
	global_load_b64 v[2:3], v0, s[4:5] scale_offset
	s_wait_loadcnt 0x0
	global_store_b64 v0, v[2:3], s[0:1] scale_offset
.LBB1484_2:
	s_endpgm
	.section	.rodata,"a",@progbits
	.p2align	6, 0x0
	.amdhsa_kernel _ZN7rocprim17ROCPRIM_400000_NS6detail17trampoline_kernelINS0_14default_configENS1_25transform_config_selectorIdLb1EEEZNS1_14transform_implILb1ES3_S5_PdS7_NS0_8identityIdEEEE10hipError_tT2_T3_mT4_P12ihipStream_tbEUlT_E_NS1_11comp_targetILNS1_3genE0ELNS1_11target_archE4294967295ELNS1_3gpuE0ELNS1_3repE0EEENS1_30default_config_static_selectorELNS0_4arch9wavefront6targetE0EEEvT1_
		.amdhsa_group_segment_fixed_size 0
		.amdhsa_private_segment_fixed_size 0
		.amdhsa_kernarg_size 296
		.amdhsa_user_sgpr_count 2
		.amdhsa_user_sgpr_dispatch_ptr 0
		.amdhsa_user_sgpr_queue_ptr 0
		.amdhsa_user_sgpr_kernarg_segment_ptr 1
		.amdhsa_user_sgpr_dispatch_id 0
		.amdhsa_user_sgpr_kernarg_preload_length 0
		.amdhsa_user_sgpr_kernarg_preload_offset 0
		.amdhsa_user_sgpr_private_segment_size 0
		.amdhsa_wavefront_size32 1
		.amdhsa_uses_dynamic_stack 0
		.amdhsa_enable_private_segment 0
		.amdhsa_system_sgpr_workgroup_id_x 1
		.amdhsa_system_sgpr_workgroup_id_y 0
		.amdhsa_system_sgpr_workgroup_id_z 0
		.amdhsa_system_sgpr_workgroup_info 0
		.amdhsa_system_vgpr_workitem_id 0
		.amdhsa_next_free_vgpr 4
		.amdhsa_next_free_sgpr 10
		.amdhsa_named_barrier_count 0
		.amdhsa_reserve_vcc 1
		.amdhsa_float_round_mode_32 0
		.amdhsa_float_round_mode_16_64 0
		.amdhsa_float_denorm_mode_32 3
		.amdhsa_float_denorm_mode_16_64 3
		.amdhsa_fp16_overflow 0
		.amdhsa_memory_ordered 1
		.amdhsa_forward_progress 1
		.amdhsa_inst_pref_size 2
		.amdhsa_round_robin_scheduling 0
		.amdhsa_exception_fp_ieee_invalid_op 0
		.amdhsa_exception_fp_denorm_src 0
		.amdhsa_exception_fp_ieee_div_zero 0
		.amdhsa_exception_fp_ieee_overflow 0
		.amdhsa_exception_fp_ieee_underflow 0
		.amdhsa_exception_fp_ieee_inexact 0
		.amdhsa_exception_int_div_zero 0
	.end_amdhsa_kernel
	.section	.text._ZN7rocprim17ROCPRIM_400000_NS6detail17trampoline_kernelINS0_14default_configENS1_25transform_config_selectorIdLb1EEEZNS1_14transform_implILb1ES3_S5_PdS7_NS0_8identityIdEEEE10hipError_tT2_T3_mT4_P12ihipStream_tbEUlT_E_NS1_11comp_targetILNS1_3genE0ELNS1_11target_archE4294967295ELNS1_3gpuE0ELNS1_3repE0EEENS1_30default_config_static_selectorELNS0_4arch9wavefront6targetE0EEEvT1_,"axG",@progbits,_ZN7rocprim17ROCPRIM_400000_NS6detail17trampoline_kernelINS0_14default_configENS1_25transform_config_selectorIdLb1EEEZNS1_14transform_implILb1ES3_S5_PdS7_NS0_8identityIdEEEE10hipError_tT2_T3_mT4_P12ihipStream_tbEUlT_E_NS1_11comp_targetILNS1_3genE0ELNS1_11target_archE4294967295ELNS1_3gpuE0ELNS1_3repE0EEENS1_30default_config_static_selectorELNS0_4arch9wavefront6targetE0EEEvT1_,comdat
.Lfunc_end1484:
	.size	_ZN7rocprim17ROCPRIM_400000_NS6detail17trampoline_kernelINS0_14default_configENS1_25transform_config_selectorIdLb1EEEZNS1_14transform_implILb1ES3_S5_PdS7_NS0_8identityIdEEEE10hipError_tT2_T3_mT4_P12ihipStream_tbEUlT_E_NS1_11comp_targetILNS1_3genE0ELNS1_11target_archE4294967295ELNS1_3gpuE0ELNS1_3repE0EEENS1_30default_config_static_selectorELNS0_4arch9wavefront6targetE0EEEvT1_, .Lfunc_end1484-_ZN7rocprim17ROCPRIM_400000_NS6detail17trampoline_kernelINS0_14default_configENS1_25transform_config_selectorIdLb1EEEZNS1_14transform_implILb1ES3_S5_PdS7_NS0_8identityIdEEEE10hipError_tT2_T3_mT4_P12ihipStream_tbEUlT_E_NS1_11comp_targetILNS1_3genE0ELNS1_11target_archE4294967295ELNS1_3gpuE0ELNS1_3repE0EEENS1_30default_config_static_selectorELNS0_4arch9wavefront6targetE0EEEvT1_
                                        ; -- End function
	.set _ZN7rocprim17ROCPRIM_400000_NS6detail17trampoline_kernelINS0_14default_configENS1_25transform_config_selectorIdLb1EEEZNS1_14transform_implILb1ES3_S5_PdS7_NS0_8identityIdEEEE10hipError_tT2_T3_mT4_P12ihipStream_tbEUlT_E_NS1_11comp_targetILNS1_3genE0ELNS1_11target_archE4294967295ELNS1_3gpuE0ELNS1_3repE0EEENS1_30default_config_static_selectorELNS0_4arch9wavefront6targetE0EEEvT1_.num_vgpr, 4
	.set _ZN7rocprim17ROCPRIM_400000_NS6detail17trampoline_kernelINS0_14default_configENS1_25transform_config_selectorIdLb1EEEZNS1_14transform_implILb1ES3_S5_PdS7_NS0_8identityIdEEEE10hipError_tT2_T3_mT4_P12ihipStream_tbEUlT_E_NS1_11comp_targetILNS1_3genE0ELNS1_11target_archE4294967295ELNS1_3gpuE0ELNS1_3repE0EEENS1_30default_config_static_selectorELNS0_4arch9wavefront6targetE0EEEvT1_.num_agpr, 0
	.set _ZN7rocprim17ROCPRIM_400000_NS6detail17trampoline_kernelINS0_14default_configENS1_25transform_config_selectorIdLb1EEEZNS1_14transform_implILb1ES3_S5_PdS7_NS0_8identityIdEEEE10hipError_tT2_T3_mT4_P12ihipStream_tbEUlT_E_NS1_11comp_targetILNS1_3genE0ELNS1_11target_archE4294967295ELNS1_3gpuE0ELNS1_3repE0EEENS1_30default_config_static_selectorELNS0_4arch9wavefront6targetE0EEEvT1_.numbered_sgpr, 10
	.set _ZN7rocprim17ROCPRIM_400000_NS6detail17trampoline_kernelINS0_14default_configENS1_25transform_config_selectorIdLb1EEEZNS1_14transform_implILb1ES3_S5_PdS7_NS0_8identityIdEEEE10hipError_tT2_T3_mT4_P12ihipStream_tbEUlT_E_NS1_11comp_targetILNS1_3genE0ELNS1_11target_archE4294967295ELNS1_3gpuE0ELNS1_3repE0EEENS1_30default_config_static_selectorELNS0_4arch9wavefront6targetE0EEEvT1_.num_named_barrier, 0
	.set _ZN7rocprim17ROCPRIM_400000_NS6detail17trampoline_kernelINS0_14default_configENS1_25transform_config_selectorIdLb1EEEZNS1_14transform_implILb1ES3_S5_PdS7_NS0_8identityIdEEEE10hipError_tT2_T3_mT4_P12ihipStream_tbEUlT_E_NS1_11comp_targetILNS1_3genE0ELNS1_11target_archE4294967295ELNS1_3gpuE0ELNS1_3repE0EEENS1_30default_config_static_selectorELNS0_4arch9wavefront6targetE0EEEvT1_.private_seg_size, 0
	.set _ZN7rocprim17ROCPRIM_400000_NS6detail17trampoline_kernelINS0_14default_configENS1_25transform_config_selectorIdLb1EEEZNS1_14transform_implILb1ES3_S5_PdS7_NS0_8identityIdEEEE10hipError_tT2_T3_mT4_P12ihipStream_tbEUlT_E_NS1_11comp_targetILNS1_3genE0ELNS1_11target_archE4294967295ELNS1_3gpuE0ELNS1_3repE0EEENS1_30default_config_static_selectorELNS0_4arch9wavefront6targetE0EEEvT1_.uses_vcc, 1
	.set _ZN7rocprim17ROCPRIM_400000_NS6detail17trampoline_kernelINS0_14default_configENS1_25transform_config_selectorIdLb1EEEZNS1_14transform_implILb1ES3_S5_PdS7_NS0_8identityIdEEEE10hipError_tT2_T3_mT4_P12ihipStream_tbEUlT_E_NS1_11comp_targetILNS1_3genE0ELNS1_11target_archE4294967295ELNS1_3gpuE0ELNS1_3repE0EEENS1_30default_config_static_selectorELNS0_4arch9wavefront6targetE0EEEvT1_.uses_flat_scratch, 0
	.set _ZN7rocprim17ROCPRIM_400000_NS6detail17trampoline_kernelINS0_14default_configENS1_25transform_config_selectorIdLb1EEEZNS1_14transform_implILb1ES3_S5_PdS7_NS0_8identityIdEEEE10hipError_tT2_T3_mT4_P12ihipStream_tbEUlT_E_NS1_11comp_targetILNS1_3genE0ELNS1_11target_archE4294967295ELNS1_3gpuE0ELNS1_3repE0EEENS1_30default_config_static_selectorELNS0_4arch9wavefront6targetE0EEEvT1_.has_dyn_sized_stack, 0
	.set _ZN7rocprim17ROCPRIM_400000_NS6detail17trampoline_kernelINS0_14default_configENS1_25transform_config_selectorIdLb1EEEZNS1_14transform_implILb1ES3_S5_PdS7_NS0_8identityIdEEEE10hipError_tT2_T3_mT4_P12ihipStream_tbEUlT_E_NS1_11comp_targetILNS1_3genE0ELNS1_11target_archE4294967295ELNS1_3gpuE0ELNS1_3repE0EEENS1_30default_config_static_selectorELNS0_4arch9wavefront6targetE0EEEvT1_.has_recursion, 0
	.set _ZN7rocprim17ROCPRIM_400000_NS6detail17trampoline_kernelINS0_14default_configENS1_25transform_config_selectorIdLb1EEEZNS1_14transform_implILb1ES3_S5_PdS7_NS0_8identityIdEEEE10hipError_tT2_T3_mT4_P12ihipStream_tbEUlT_E_NS1_11comp_targetILNS1_3genE0ELNS1_11target_archE4294967295ELNS1_3gpuE0ELNS1_3repE0EEENS1_30default_config_static_selectorELNS0_4arch9wavefront6targetE0EEEvT1_.has_indirect_call, 0
	.section	.AMDGPU.csdata,"",@progbits
; Kernel info:
; codeLenInByte = 192
; TotalNumSgprs: 12
; NumVgprs: 4
; ScratchSize: 0
; MemoryBound: 0
; FloatMode: 240
; IeeeMode: 1
; LDSByteSize: 0 bytes/workgroup (compile time only)
; SGPRBlocks: 0
; VGPRBlocks: 0
; NumSGPRsForWavesPerEU: 12
; NumVGPRsForWavesPerEU: 4
; NamedBarCnt: 0
; Occupancy: 16
; WaveLimiterHint : 0
; COMPUTE_PGM_RSRC2:SCRATCH_EN: 0
; COMPUTE_PGM_RSRC2:USER_SGPR: 2
; COMPUTE_PGM_RSRC2:TRAP_HANDLER: 0
; COMPUTE_PGM_RSRC2:TGID_X_EN: 1
; COMPUTE_PGM_RSRC2:TGID_Y_EN: 0
; COMPUTE_PGM_RSRC2:TGID_Z_EN: 0
; COMPUTE_PGM_RSRC2:TIDIG_COMP_CNT: 0
	.section	.text._ZN7rocprim17ROCPRIM_400000_NS6detail17trampoline_kernelINS0_14default_configENS1_25transform_config_selectorIdLb1EEEZNS1_14transform_implILb1ES3_S5_PdS7_NS0_8identityIdEEEE10hipError_tT2_T3_mT4_P12ihipStream_tbEUlT_E_NS1_11comp_targetILNS1_3genE10ELNS1_11target_archE1201ELNS1_3gpuE5ELNS1_3repE0EEENS1_30default_config_static_selectorELNS0_4arch9wavefront6targetE0EEEvT1_,"axG",@progbits,_ZN7rocprim17ROCPRIM_400000_NS6detail17trampoline_kernelINS0_14default_configENS1_25transform_config_selectorIdLb1EEEZNS1_14transform_implILb1ES3_S5_PdS7_NS0_8identityIdEEEE10hipError_tT2_T3_mT4_P12ihipStream_tbEUlT_E_NS1_11comp_targetILNS1_3genE10ELNS1_11target_archE1201ELNS1_3gpuE5ELNS1_3repE0EEENS1_30default_config_static_selectorELNS0_4arch9wavefront6targetE0EEEvT1_,comdat
	.protected	_ZN7rocprim17ROCPRIM_400000_NS6detail17trampoline_kernelINS0_14default_configENS1_25transform_config_selectorIdLb1EEEZNS1_14transform_implILb1ES3_S5_PdS7_NS0_8identityIdEEEE10hipError_tT2_T3_mT4_P12ihipStream_tbEUlT_E_NS1_11comp_targetILNS1_3genE10ELNS1_11target_archE1201ELNS1_3gpuE5ELNS1_3repE0EEENS1_30default_config_static_selectorELNS0_4arch9wavefront6targetE0EEEvT1_ ; -- Begin function _ZN7rocprim17ROCPRIM_400000_NS6detail17trampoline_kernelINS0_14default_configENS1_25transform_config_selectorIdLb1EEEZNS1_14transform_implILb1ES3_S5_PdS7_NS0_8identityIdEEEE10hipError_tT2_T3_mT4_P12ihipStream_tbEUlT_E_NS1_11comp_targetILNS1_3genE10ELNS1_11target_archE1201ELNS1_3gpuE5ELNS1_3repE0EEENS1_30default_config_static_selectorELNS0_4arch9wavefront6targetE0EEEvT1_
	.globl	_ZN7rocprim17ROCPRIM_400000_NS6detail17trampoline_kernelINS0_14default_configENS1_25transform_config_selectorIdLb1EEEZNS1_14transform_implILb1ES3_S5_PdS7_NS0_8identityIdEEEE10hipError_tT2_T3_mT4_P12ihipStream_tbEUlT_E_NS1_11comp_targetILNS1_3genE10ELNS1_11target_archE1201ELNS1_3gpuE5ELNS1_3repE0EEENS1_30default_config_static_selectorELNS0_4arch9wavefront6targetE0EEEvT1_
	.p2align	8
	.type	_ZN7rocprim17ROCPRIM_400000_NS6detail17trampoline_kernelINS0_14default_configENS1_25transform_config_selectorIdLb1EEEZNS1_14transform_implILb1ES3_S5_PdS7_NS0_8identityIdEEEE10hipError_tT2_T3_mT4_P12ihipStream_tbEUlT_E_NS1_11comp_targetILNS1_3genE10ELNS1_11target_archE1201ELNS1_3gpuE5ELNS1_3repE0EEENS1_30default_config_static_selectorELNS0_4arch9wavefront6targetE0EEEvT1_,@function
_ZN7rocprim17ROCPRIM_400000_NS6detail17trampoline_kernelINS0_14default_configENS1_25transform_config_selectorIdLb1EEEZNS1_14transform_implILb1ES3_S5_PdS7_NS0_8identityIdEEEE10hipError_tT2_T3_mT4_P12ihipStream_tbEUlT_E_NS1_11comp_targetILNS1_3genE10ELNS1_11target_archE1201ELNS1_3gpuE5ELNS1_3repE0EEENS1_30default_config_static_selectorELNS0_4arch9wavefront6targetE0EEEvT1_: ; @_ZN7rocprim17ROCPRIM_400000_NS6detail17trampoline_kernelINS0_14default_configENS1_25transform_config_selectorIdLb1EEEZNS1_14transform_implILb1ES3_S5_PdS7_NS0_8identityIdEEEE10hipError_tT2_T3_mT4_P12ihipStream_tbEUlT_E_NS1_11comp_targetILNS1_3genE10ELNS1_11target_archE1201ELNS1_3gpuE5ELNS1_3repE0EEENS1_30default_config_static_selectorELNS0_4arch9wavefront6targetE0EEEvT1_
; %bb.0:
	.section	.rodata,"a",@progbits
	.p2align	6, 0x0
	.amdhsa_kernel _ZN7rocprim17ROCPRIM_400000_NS6detail17trampoline_kernelINS0_14default_configENS1_25transform_config_selectorIdLb1EEEZNS1_14transform_implILb1ES3_S5_PdS7_NS0_8identityIdEEEE10hipError_tT2_T3_mT4_P12ihipStream_tbEUlT_E_NS1_11comp_targetILNS1_3genE10ELNS1_11target_archE1201ELNS1_3gpuE5ELNS1_3repE0EEENS1_30default_config_static_selectorELNS0_4arch9wavefront6targetE0EEEvT1_
		.amdhsa_group_segment_fixed_size 0
		.amdhsa_private_segment_fixed_size 0
		.amdhsa_kernarg_size 40
		.amdhsa_user_sgpr_count 2
		.amdhsa_user_sgpr_dispatch_ptr 0
		.amdhsa_user_sgpr_queue_ptr 0
		.amdhsa_user_sgpr_kernarg_segment_ptr 1
		.amdhsa_user_sgpr_dispatch_id 0
		.amdhsa_user_sgpr_kernarg_preload_length 0
		.amdhsa_user_sgpr_kernarg_preload_offset 0
		.amdhsa_user_sgpr_private_segment_size 0
		.amdhsa_wavefront_size32 1
		.amdhsa_uses_dynamic_stack 0
		.amdhsa_enable_private_segment 0
		.amdhsa_system_sgpr_workgroup_id_x 1
		.amdhsa_system_sgpr_workgroup_id_y 0
		.amdhsa_system_sgpr_workgroup_id_z 0
		.amdhsa_system_sgpr_workgroup_info 0
		.amdhsa_system_vgpr_workitem_id 0
		.amdhsa_next_free_vgpr 1
		.amdhsa_next_free_sgpr 1
		.amdhsa_named_barrier_count 0
		.amdhsa_reserve_vcc 0
		.amdhsa_float_round_mode_32 0
		.amdhsa_float_round_mode_16_64 0
		.amdhsa_float_denorm_mode_32 3
		.amdhsa_float_denorm_mode_16_64 3
		.amdhsa_fp16_overflow 0
		.amdhsa_memory_ordered 1
		.amdhsa_forward_progress 1
		.amdhsa_inst_pref_size 0
		.amdhsa_round_robin_scheduling 0
		.amdhsa_exception_fp_ieee_invalid_op 0
		.amdhsa_exception_fp_denorm_src 0
		.amdhsa_exception_fp_ieee_div_zero 0
		.amdhsa_exception_fp_ieee_overflow 0
		.amdhsa_exception_fp_ieee_underflow 0
		.amdhsa_exception_fp_ieee_inexact 0
		.amdhsa_exception_int_div_zero 0
	.end_amdhsa_kernel
	.section	.text._ZN7rocprim17ROCPRIM_400000_NS6detail17trampoline_kernelINS0_14default_configENS1_25transform_config_selectorIdLb1EEEZNS1_14transform_implILb1ES3_S5_PdS7_NS0_8identityIdEEEE10hipError_tT2_T3_mT4_P12ihipStream_tbEUlT_E_NS1_11comp_targetILNS1_3genE10ELNS1_11target_archE1201ELNS1_3gpuE5ELNS1_3repE0EEENS1_30default_config_static_selectorELNS0_4arch9wavefront6targetE0EEEvT1_,"axG",@progbits,_ZN7rocprim17ROCPRIM_400000_NS6detail17trampoline_kernelINS0_14default_configENS1_25transform_config_selectorIdLb1EEEZNS1_14transform_implILb1ES3_S5_PdS7_NS0_8identityIdEEEE10hipError_tT2_T3_mT4_P12ihipStream_tbEUlT_E_NS1_11comp_targetILNS1_3genE10ELNS1_11target_archE1201ELNS1_3gpuE5ELNS1_3repE0EEENS1_30default_config_static_selectorELNS0_4arch9wavefront6targetE0EEEvT1_,comdat
.Lfunc_end1485:
	.size	_ZN7rocprim17ROCPRIM_400000_NS6detail17trampoline_kernelINS0_14default_configENS1_25transform_config_selectorIdLb1EEEZNS1_14transform_implILb1ES3_S5_PdS7_NS0_8identityIdEEEE10hipError_tT2_T3_mT4_P12ihipStream_tbEUlT_E_NS1_11comp_targetILNS1_3genE10ELNS1_11target_archE1201ELNS1_3gpuE5ELNS1_3repE0EEENS1_30default_config_static_selectorELNS0_4arch9wavefront6targetE0EEEvT1_, .Lfunc_end1485-_ZN7rocprim17ROCPRIM_400000_NS6detail17trampoline_kernelINS0_14default_configENS1_25transform_config_selectorIdLb1EEEZNS1_14transform_implILb1ES3_S5_PdS7_NS0_8identityIdEEEE10hipError_tT2_T3_mT4_P12ihipStream_tbEUlT_E_NS1_11comp_targetILNS1_3genE10ELNS1_11target_archE1201ELNS1_3gpuE5ELNS1_3repE0EEENS1_30default_config_static_selectorELNS0_4arch9wavefront6targetE0EEEvT1_
                                        ; -- End function
	.set _ZN7rocprim17ROCPRIM_400000_NS6detail17trampoline_kernelINS0_14default_configENS1_25transform_config_selectorIdLb1EEEZNS1_14transform_implILb1ES3_S5_PdS7_NS0_8identityIdEEEE10hipError_tT2_T3_mT4_P12ihipStream_tbEUlT_E_NS1_11comp_targetILNS1_3genE10ELNS1_11target_archE1201ELNS1_3gpuE5ELNS1_3repE0EEENS1_30default_config_static_selectorELNS0_4arch9wavefront6targetE0EEEvT1_.num_vgpr, 0
	.set _ZN7rocprim17ROCPRIM_400000_NS6detail17trampoline_kernelINS0_14default_configENS1_25transform_config_selectorIdLb1EEEZNS1_14transform_implILb1ES3_S5_PdS7_NS0_8identityIdEEEE10hipError_tT2_T3_mT4_P12ihipStream_tbEUlT_E_NS1_11comp_targetILNS1_3genE10ELNS1_11target_archE1201ELNS1_3gpuE5ELNS1_3repE0EEENS1_30default_config_static_selectorELNS0_4arch9wavefront6targetE0EEEvT1_.num_agpr, 0
	.set _ZN7rocprim17ROCPRIM_400000_NS6detail17trampoline_kernelINS0_14default_configENS1_25transform_config_selectorIdLb1EEEZNS1_14transform_implILb1ES3_S5_PdS7_NS0_8identityIdEEEE10hipError_tT2_T3_mT4_P12ihipStream_tbEUlT_E_NS1_11comp_targetILNS1_3genE10ELNS1_11target_archE1201ELNS1_3gpuE5ELNS1_3repE0EEENS1_30default_config_static_selectorELNS0_4arch9wavefront6targetE0EEEvT1_.numbered_sgpr, 0
	.set _ZN7rocprim17ROCPRIM_400000_NS6detail17trampoline_kernelINS0_14default_configENS1_25transform_config_selectorIdLb1EEEZNS1_14transform_implILb1ES3_S5_PdS7_NS0_8identityIdEEEE10hipError_tT2_T3_mT4_P12ihipStream_tbEUlT_E_NS1_11comp_targetILNS1_3genE10ELNS1_11target_archE1201ELNS1_3gpuE5ELNS1_3repE0EEENS1_30default_config_static_selectorELNS0_4arch9wavefront6targetE0EEEvT1_.num_named_barrier, 0
	.set _ZN7rocprim17ROCPRIM_400000_NS6detail17trampoline_kernelINS0_14default_configENS1_25transform_config_selectorIdLb1EEEZNS1_14transform_implILb1ES3_S5_PdS7_NS0_8identityIdEEEE10hipError_tT2_T3_mT4_P12ihipStream_tbEUlT_E_NS1_11comp_targetILNS1_3genE10ELNS1_11target_archE1201ELNS1_3gpuE5ELNS1_3repE0EEENS1_30default_config_static_selectorELNS0_4arch9wavefront6targetE0EEEvT1_.private_seg_size, 0
	.set _ZN7rocprim17ROCPRIM_400000_NS6detail17trampoline_kernelINS0_14default_configENS1_25transform_config_selectorIdLb1EEEZNS1_14transform_implILb1ES3_S5_PdS7_NS0_8identityIdEEEE10hipError_tT2_T3_mT4_P12ihipStream_tbEUlT_E_NS1_11comp_targetILNS1_3genE10ELNS1_11target_archE1201ELNS1_3gpuE5ELNS1_3repE0EEENS1_30default_config_static_selectorELNS0_4arch9wavefront6targetE0EEEvT1_.uses_vcc, 0
	.set _ZN7rocprim17ROCPRIM_400000_NS6detail17trampoline_kernelINS0_14default_configENS1_25transform_config_selectorIdLb1EEEZNS1_14transform_implILb1ES3_S5_PdS7_NS0_8identityIdEEEE10hipError_tT2_T3_mT4_P12ihipStream_tbEUlT_E_NS1_11comp_targetILNS1_3genE10ELNS1_11target_archE1201ELNS1_3gpuE5ELNS1_3repE0EEENS1_30default_config_static_selectorELNS0_4arch9wavefront6targetE0EEEvT1_.uses_flat_scratch, 0
	.set _ZN7rocprim17ROCPRIM_400000_NS6detail17trampoline_kernelINS0_14default_configENS1_25transform_config_selectorIdLb1EEEZNS1_14transform_implILb1ES3_S5_PdS7_NS0_8identityIdEEEE10hipError_tT2_T3_mT4_P12ihipStream_tbEUlT_E_NS1_11comp_targetILNS1_3genE10ELNS1_11target_archE1201ELNS1_3gpuE5ELNS1_3repE0EEENS1_30default_config_static_selectorELNS0_4arch9wavefront6targetE0EEEvT1_.has_dyn_sized_stack, 0
	.set _ZN7rocprim17ROCPRIM_400000_NS6detail17trampoline_kernelINS0_14default_configENS1_25transform_config_selectorIdLb1EEEZNS1_14transform_implILb1ES3_S5_PdS7_NS0_8identityIdEEEE10hipError_tT2_T3_mT4_P12ihipStream_tbEUlT_E_NS1_11comp_targetILNS1_3genE10ELNS1_11target_archE1201ELNS1_3gpuE5ELNS1_3repE0EEENS1_30default_config_static_selectorELNS0_4arch9wavefront6targetE0EEEvT1_.has_recursion, 0
	.set _ZN7rocprim17ROCPRIM_400000_NS6detail17trampoline_kernelINS0_14default_configENS1_25transform_config_selectorIdLb1EEEZNS1_14transform_implILb1ES3_S5_PdS7_NS0_8identityIdEEEE10hipError_tT2_T3_mT4_P12ihipStream_tbEUlT_E_NS1_11comp_targetILNS1_3genE10ELNS1_11target_archE1201ELNS1_3gpuE5ELNS1_3repE0EEENS1_30default_config_static_selectorELNS0_4arch9wavefront6targetE0EEEvT1_.has_indirect_call, 0
	.section	.AMDGPU.csdata,"",@progbits
; Kernel info:
; codeLenInByte = 0
; TotalNumSgprs: 0
; NumVgprs: 0
; ScratchSize: 0
; MemoryBound: 0
; FloatMode: 240
; IeeeMode: 1
; LDSByteSize: 0 bytes/workgroup (compile time only)
; SGPRBlocks: 0
; VGPRBlocks: 0
; NumSGPRsForWavesPerEU: 1
; NumVGPRsForWavesPerEU: 1
; NamedBarCnt: 0
; Occupancy: 16
; WaveLimiterHint : 0
; COMPUTE_PGM_RSRC2:SCRATCH_EN: 0
; COMPUTE_PGM_RSRC2:USER_SGPR: 2
; COMPUTE_PGM_RSRC2:TRAP_HANDLER: 0
; COMPUTE_PGM_RSRC2:TGID_X_EN: 1
; COMPUTE_PGM_RSRC2:TGID_Y_EN: 0
; COMPUTE_PGM_RSRC2:TGID_Z_EN: 0
; COMPUTE_PGM_RSRC2:TIDIG_COMP_CNT: 0
	.section	.text._ZN7rocprim17ROCPRIM_400000_NS6detail17trampoline_kernelINS0_14default_configENS1_25transform_config_selectorIdLb1EEEZNS1_14transform_implILb1ES3_S5_PdS7_NS0_8identityIdEEEE10hipError_tT2_T3_mT4_P12ihipStream_tbEUlT_E_NS1_11comp_targetILNS1_3genE5ELNS1_11target_archE942ELNS1_3gpuE9ELNS1_3repE0EEENS1_30default_config_static_selectorELNS0_4arch9wavefront6targetE0EEEvT1_,"axG",@progbits,_ZN7rocprim17ROCPRIM_400000_NS6detail17trampoline_kernelINS0_14default_configENS1_25transform_config_selectorIdLb1EEEZNS1_14transform_implILb1ES3_S5_PdS7_NS0_8identityIdEEEE10hipError_tT2_T3_mT4_P12ihipStream_tbEUlT_E_NS1_11comp_targetILNS1_3genE5ELNS1_11target_archE942ELNS1_3gpuE9ELNS1_3repE0EEENS1_30default_config_static_selectorELNS0_4arch9wavefront6targetE0EEEvT1_,comdat
	.protected	_ZN7rocprim17ROCPRIM_400000_NS6detail17trampoline_kernelINS0_14default_configENS1_25transform_config_selectorIdLb1EEEZNS1_14transform_implILb1ES3_S5_PdS7_NS0_8identityIdEEEE10hipError_tT2_T3_mT4_P12ihipStream_tbEUlT_E_NS1_11comp_targetILNS1_3genE5ELNS1_11target_archE942ELNS1_3gpuE9ELNS1_3repE0EEENS1_30default_config_static_selectorELNS0_4arch9wavefront6targetE0EEEvT1_ ; -- Begin function _ZN7rocprim17ROCPRIM_400000_NS6detail17trampoline_kernelINS0_14default_configENS1_25transform_config_selectorIdLb1EEEZNS1_14transform_implILb1ES3_S5_PdS7_NS0_8identityIdEEEE10hipError_tT2_T3_mT4_P12ihipStream_tbEUlT_E_NS1_11comp_targetILNS1_3genE5ELNS1_11target_archE942ELNS1_3gpuE9ELNS1_3repE0EEENS1_30default_config_static_selectorELNS0_4arch9wavefront6targetE0EEEvT1_
	.globl	_ZN7rocprim17ROCPRIM_400000_NS6detail17trampoline_kernelINS0_14default_configENS1_25transform_config_selectorIdLb1EEEZNS1_14transform_implILb1ES3_S5_PdS7_NS0_8identityIdEEEE10hipError_tT2_T3_mT4_P12ihipStream_tbEUlT_E_NS1_11comp_targetILNS1_3genE5ELNS1_11target_archE942ELNS1_3gpuE9ELNS1_3repE0EEENS1_30default_config_static_selectorELNS0_4arch9wavefront6targetE0EEEvT1_
	.p2align	8
	.type	_ZN7rocprim17ROCPRIM_400000_NS6detail17trampoline_kernelINS0_14default_configENS1_25transform_config_selectorIdLb1EEEZNS1_14transform_implILb1ES3_S5_PdS7_NS0_8identityIdEEEE10hipError_tT2_T3_mT4_P12ihipStream_tbEUlT_E_NS1_11comp_targetILNS1_3genE5ELNS1_11target_archE942ELNS1_3gpuE9ELNS1_3repE0EEENS1_30default_config_static_selectorELNS0_4arch9wavefront6targetE0EEEvT1_,@function
_ZN7rocprim17ROCPRIM_400000_NS6detail17trampoline_kernelINS0_14default_configENS1_25transform_config_selectorIdLb1EEEZNS1_14transform_implILb1ES3_S5_PdS7_NS0_8identityIdEEEE10hipError_tT2_T3_mT4_P12ihipStream_tbEUlT_E_NS1_11comp_targetILNS1_3genE5ELNS1_11target_archE942ELNS1_3gpuE9ELNS1_3repE0EEENS1_30default_config_static_selectorELNS0_4arch9wavefront6targetE0EEEvT1_: ; @_ZN7rocprim17ROCPRIM_400000_NS6detail17trampoline_kernelINS0_14default_configENS1_25transform_config_selectorIdLb1EEEZNS1_14transform_implILb1ES3_S5_PdS7_NS0_8identityIdEEEE10hipError_tT2_T3_mT4_P12ihipStream_tbEUlT_E_NS1_11comp_targetILNS1_3genE5ELNS1_11target_archE942ELNS1_3gpuE9ELNS1_3repE0EEENS1_30default_config_static_selectorELNS0_4arch9wavefront6targetE0EEEvT1_
; %bb.0:
	.section	.rodata,"a",@progbits
	.p2align	6, 0x0
	.amdhsa_kernel _ZN7rocprim17ROCPRIM_400000_NS6detail17trampoline_kernelINS0_14default_configENS1_25transform_config_selectorIdLb1EEEZNS1_14transform_implILb1ES3_S5_PdS7_NS0_8identityIdEEEE10hipError_tT2_T3_mT4_P12ihipStream_tbEUlT_E_NS1_11comp_targetILNS1_3genE5ELNS1_11target_archE942ELNS1_3gpuE9ELNS1_3repE0EEENS1_30default_config_static_selectorELNS0_4arch9wavefront6targetE0EEEvT1_
		.amdhsa_group_segment_fixed_size 0
		.amdhsa_private_segment_fixed_size 0
		.amdhsa_kernarg_size 40
		.amdhsa_user_sgpr_count 2
		.amdhsa_user_sgpr_dispatch_ptr 0
		.amdhsa_user_sgpr_queue_ptr 0
		.amdhsa_user_sgpr_kernarg_segment_ptr 1
		.amdhsa_user_sgpr_dispatch_id 0
		.amdhsa_user_sgpr_kernarg_preload_length 0
		.amdhsa_user_sgpr_kernarg_preload_offset 0
		.amdhsa_user_sgpr_private_segment_size 0
		.amdhsa_wavefront_size32 1
		.amdhsa_uses_dynamic_stack 0
		.amdhsa_enable_private_segment 0
		.amdhsa_system_sgpr_workgroup_id_x 1
		.amdhsa_system_sgpr_workgroup_id_y 0
		.amdhsa_system_sgpr_workgroup_id_z 0
		.amdhsa_system_sgpr_workgroup_info 0
		.amdhsa_system_vgpr_workitem_id 0
		.amdhsa_next_free_vgpr 1
		.amdhsa_next_free_sgpr 1
		.amdhsa_named_barrier_count 0
		.amdhsa_reserve_vcc 0
		.amdhsa_float_round_mode_32 0
		.amdhsa_float_round_mode_16_64 0
		.amdhsa_float_denorm_mode_32 3
		.amdhsa_float_denorm_mode_16_64 3
		.amdhsa_fp16_overflow 0
		.amdhsa_memory_ordered 1
		.amdhsa_forward_progress 1
		.amdhsa_inst_pref_size 0
		.amdhsa_round_robin_scheduling 0
		.amdhsa_exception_fp_ieee_invalid_op 0
		.amdhsa_exception_fp_denorm_src 0
		.amdhsa_exception_fp_ieee_div_zero 0
		.amdhsa_exception_fp_ieee_overflow 0
		.amdhsa_exception_fp_ieee_underflow 0
		.amdhsa_exception_fp_ieee_inexact 0
		.amdhsa_exception_int_div_zero 0
	.end_amdhsa_kernel
	.section	.text._ZN7rocprim17ROCPRIM_400000_NS6detail17trampoline_kernelINS0_14default_configENS1_25transform_config_selectorIdLb1EEEZNS1_14transform_implILb1ES3_S5_PdS7_NS0_8identityIdEEEE10hipError_tT2_T3_mT4_P12ihipStream_tbEUlT_E_NS1_11comp_targetILNS1_3genE5ELNS1_11target_archE942ELNS1_3gpuE9ELNS1_3repE0EEENS1_30default_config_static_selectorELNS0_4arch9wavefront6targetE0EEEvT1_,"axG",@progbits,_ZN7rocprim17ROCPRIM_400000_NS6detail17trampoline_kernelINS0_14default_configENS1_25transform_config_selectorIdLb1EEEZNS1_14transform_implILb1ES3_S5_PdS7_NS0_8identityIdEEEE10hipError_tT2_T3_mT4_P12ihipStream_tbEUlT_E_NS1_11comp_targetILNS1_3genE5ELNS1_11target_archE942ELNS1_3gpuE9ELNS1_3repE0EEENS1_30default_config_static_selectorELNS0_4arch9wavefront6targetE0EEEvT1_,comdat
.Lfunc_end1486:
	.size	_ZN7rocprim17ROCPRIM_400000_NS6detail17trampoline_kernelINS0_14default_configENS1_25transform_config_selectorIdLb1EEEZNS1_14transform_implILb1ES3_S5_PdS7_NS0_8identityIdEEEE10hipError_tT2_T3_mT4_P12ihipStream_tbEUlT_E_NS1_11comp_targetILNS1_3genE5ELNS1_11target_archE942ELNS1_3gpuE9ELNS1_3repE0EEENS1_30default_config_static_selectorELNS0_4arch9wavefront6targetE0EEEvT1_, .Lfunc_end1486-_ZN7rocprim17ROCPRIM_400000_NS6detail17trampoline_kernelINS0_14default_configENS1_25transform_config_selectorIdLb1EEEZNS1_14transform_implILb1ES3_S5_PdS7_NS0_8identityIdEEEE10hipError_tT2_T3_mT4_P12ihipStream_tbEUlT_E_NS1_11comp_targetILNS1_3genE5ELNS1_11target_archE942ELNS1_3gpuE9ELNS1_3repE0EEENS1_30default_config_static_selectorELNS0_4arch9wavefront6targetE0EEEvT1_
                                        ; -- End function
	.set _ZN7rocprim17ROCPRIM_400000_NS6detail17trampoline_kernelINS0_14default_configENS1_25transform_config_selectorIdLb1EEEZNS1_14transform_implILb1ES3_S5_PdS7_NS0_8identityIdEEEE10hipError_tT2_T3_mT4_P12ihipStream_tbEUlT_E_NS1_11comp_targetILNS1_3genE5ELNS1_11target_archE942ELNS1_3gpuE9ELNS1_3repE0EEENS1_30default_config_static_selectorELNS0_4arch9wavefront6targetE0EEEvT1_.num_vgpr, 0
	.set _ZN7rocprim17ROCPRIM_400000_NS6detail17trampoline_kernelINS0_14default_configENS1_25transform_config_selectorIdLb1EEEZNS1_14transform_implILb1ES3_S5_PdS7_NS0_8identityIdEEEE10hipError_tT2_T3_mT4_P12ihipStream_tbEUlT_E_NS1_11comp_targetILNS1_3genE5ELNS1_11target_archE942ELNS1_3gpuE9ELNS1_3repE0EEENS1_30default_config_static_selectorELNS0_4arch9wavefront6targetE0EEEvT1_.num_agpr, 0
	.set _ZN7rocprim17ROCPRIM_400000_NS6detail17trampoline_kernelINS0_14default_configENS1_25transform_config_selectorIdLb1EEEZNS1_14transform_implILb1ES3_S5_PdS7_NS0_8identityIdEEEE10hipError_tT2_T3_mT4_P12ihipStream_tbEUlT_E_NS1_11comp_targetILNS1_3genE5ELNS1_11target_archE942ELNS1_3gpuE9ELNS1_3repE0EEENS1_30default_config_static_selectorELNS0_4arch9wavefront6targetE0EEEvT1_.numbered_sgpr, 0
	.set _ZN7rocprim17ROCPRIM_400000_NS6detail17trampoline_kernelINS0_14default_configENS1_25transform_config_selectorIdLb1EEEZNS1_14transform_implILb1ES3_S5_PdS7_NS0_8identityIdEEEE10hipError_tT2_T3_mT4_P12ihipStream_tbEUlT_E_NS1_11comp_targetILNS1_3genE5ELNS1_11target_archE942ELNS1_3gpuE9ELNS1_3repE0EEENS1_30default_config_static_selectorELNS0_4arch9wavefront6targetE0EEEvT1_.num_named_barrier, 0
	.set _ZN7rocprim17ROCPRIM_400000_NS6detail17trampoline_kernelINS0_14default_configENS1_25transform_config_selectorIdLb1EEEZNS1_14transform_implILb1ES3_S5_PdS7_NS0_8identityIdEEEE10hipError_tT2_T3_mT4_P12ihipStream_tbEUlT_E_NS1_11comp_targetILNS1_3genE5ELNS1_11target_archE942ELNS1_3gpuE9ELNS1_3repE0EEENS1_30default_config_static_selectorELNS0_4arch9wavefront6targetE0EEEvT1_.private_seg_size, 0
	.set _ZN7rocprim17ROCPRIM_400000_NS6detail17trampoline_kernelINS0_14default_configENS1_25transform_config_selectorIdLb1EEEZNS1_14transform_implILb1ES3_S5_PdS7_NS0_8identityIdEEEE10hipError_tT2_T3_mT4_P12ihipStream_tbEUlT_E_NS1_11comp_targetILNS1_3genE5ELNS1_11target_archE942ELNS1_3gpuE9ELNS1_3repE0EEENS1_30default_config_static_selectorELNS0_4arch9wavefront6targetE0EEEvT1_.uses_vcc, 0
	.set _ZN7rocprim17ROCPRIM_400000_NS6detail17trampoline_kernelINS0_14default_configENS1_25transform_config_selectorIdLb1EEEZNS1_14transform_implILb1ES3_S5_PdS7_NS0_8identityIdEEEE10hipError_tT2_T3_mT4_P12ihipStream_tbEUlT_E_NS1_11comp_targetILNS1_3genE5ELNS1_11target_archE942ELNS1_3gpuE9ELNS1_3repE0EEENS1_30default_config_static_selectorELNS0_4arch9wavefront6targetE0EEEvT1_.uses_flat_scratch, 0
	.set _ZN7rocprim17ROCPRIM_400000_NS6detail17trampoline_kernelINS0_14default_configENS1_25transform_config_selectorIdLb1EEEZNS1_14transform_implILb1ES3_S5_PdS7_NS0_8identityIdEEEE10hipError_tT2_T3_mT4_P12ihipStream_tbEUlT_E_NS1_11comp_targetILNS1_3genE5ELNS1_11target_archE942ELNS1_3gpuE9ELNS1_3repE0EEENS1_30default_config_static_selectorELNS0_4arch9wavefront6targetE0EEEvT1_.has_dyn_sized_stack, 0
	.set _ZN7rocprim17ROCPRIM_400000_NS6detail17trampoline_kernelINS0_14default_configENS1_25transform_config_selectorIdLb1EEEZNS1_14transform_implILb1ES3_S5_PdS7_NS0_8identityIdEEEE10hipError_tT2_T3_mT4_P12ihipStream_tbEUlT_E_NS1_11comp_targetILNS1_3genE5ELNS1_11target_archE942ELNS1_3gpuE9ELNS1_3repE0EEENS1_30default_config_static_selectorELNS0_4arch9wavefront6targetE0EEEvT1_.has_recursion, 0
	.set _ZN7rocprim17ROCPRIM_400000_NS6detail17trampoline_kernelINS0_14default_configENS1_25transform_config_selectorIdLb1EEEZNS1_14transform_implILb1ES3_S5_PdS7_NS0_8identityIdEEEE10hipError_tT2_T3_mT4_P12ihipStream_tbEUlT_E_NS1_11comp_targetILNS1_3genE5ELNS1_11target_archE942ELNS1_3gpuE9ELNS1_3repE0EEENS1_30default_config_static_selectorELNS0_4arch9wavefront6targetE0EEEvT1_.has_indirect_call, 0
	.section	.AMDGPU.csdata,"",@progbits
; Kernel info:
; codeLenInByte = 0
; TotalNumSgprs: 0
; NumVgprs: 0
; ScratchSize: 0
; MemoryBound: 0
; FloatMode: 240
; IeeeMode: 1
; LDSByteSize: 0 bytes/workgroup (compile time only)
; SGPRBlocks: 0
; VGPRBlocks: 0
; NumSGPRsForWavesPerEU: 1
; NumVGPRsForWavesPerEU: 1
; NamedBarCnt: 0
; Occupancy: 16
; WaveLimiterHint : 0
; COMPUTE_PGM_RSRC2:SCRATCH_EN: 0
; COMPUTE_PGM_RSRC2:USER_SGPR: 2
; COMPUTE_PGM_RSRC2:TRAP_HANDLER: 0
; COMPUTE_PGM_RSRC2:TGID_X_EN: 1
; COMPUTE_PGM_RSRC2:TGID_Y_EN: 0
; COMPUTE_PGM_RSRC2:TGID_Z_EN: 0
; COMPUTE_PGM_RSRC2:TIDIG_COMP_CNT: 0
	.section	.text._ZN7rocprim17ROCPRIM_400000_NS6detail17trampoline_kernelINS0_14default_configENS1_25transform_config_selectorIdLb1EEEZNS1_14transform_implILb1ES3_S5_PdS7_NS0_8identityIdEEEE10hipError_tT2_T3_mT4_P12ihipStream_tbEUlT_E_NS1_11comp_targetILNS1_3genE4ELNS1_11target_archE910ELNS1_3gpuE8ELNS1_3repE0EEENS1_30default_config_static_selectorELNS0_4arch9wavefront6targetE0EEEvT1_,"axG",@progbits,_ZN7rocprim17ROCPRIM_400000_NS6detail17trampoline_kernelINS0_14default_configENS1_25transform_config_selectorIdLb1EEEZNS1_14transform_implILb1ES3_S5_PdS7_NS0_8identityIdEEEE10hipError_tT2_T3_mT4_P12ihipStream_tbEUlT_E_NS1_11comp_targetILNS1_3genE4ELNS1_11target_archE910ELNS1_3gpuE8ELNS1_3repE0EEENS1_30default_config_static_selectorELNS0_4arch9wavefront6targetE0EEEvT1_,comdat
	.protected	_ZN7rocprim17ROCPRIM_400000_NS6detail17trampoline_kernelINS0_14default_configENS1_25transform_config_selectorIdLb1EEEZNS1_14transform_implILb1ES3_S5_PdS7_NS0_8identityIdEEEE10hipError_tT2_T3_mT4_P12ihipStream_tbEUlT_E_NS1_11comp_targetILNS1_3genE4ELNS1_11target_archE910ELNS1_3gpuE8ELNS1_3repE0EEENS1_30default_config_static_selectorELNS0_4arch9wavefront6targetE0EEEvT1_ ; -- Begin function _ZN7rocprim17ROCPRIM_400000_NS6detail17trampoline_kernelINS0_14default_configENS1_25transform_config_selectorIdLb1EEEZNS1_14transform_implILb1ES3_S5_PdS7_NS0_8identityIdEEEE10hipError_tT2_T3_mT4_P12ihipStream_tbEUlT_E_NS1_11comp_targetILNS1_3genE4ELNS1_11target_archE910ELNS1_3gpuE8ELNS1_3repE0EEENS1_30default_config_static_selectorELNS0_4arch9wavefront6targetE0EEEvT1_
	.globl	_ZN7rocprim17ROCPRIM_400000_NS6detail17trampoline_kernelINS0_14default_configENS1_25transform_config_selectorIdLb1EEEZNS1_14transform_implILb1ES3_S5_PdS7_NS0_8identityIdEEEE10hipError_tT2_T3_mT4_P12ihipStream_tbEUlT_E_NS1_11comp_targetILNS1_3genE4ELNS1_11target_archE910ELNS1_3gpuE8ELNS1_3repE0EEENS1_30default_config_static_selectorELNS0_4arch9wavefront6targetE0EEEvT1_
	.p2align	8
	.type	_ZN7rocprim17ROCPRIM_400000_NS6detail17trampoline_kernelINS0_14default_configENS1_25transform_config_selectorIdLb1EEEZNS1_14transform_implILb1ES3_S5_PdS7_NS0_8identityIdEEEE10hipError_tT2_T3_mT4_P12ihipStream_tbEUlT_E_NS1_11comp_targetILNS1_3genE4ELNS1_11target_archE910ELNS1_3gpuE8ELNS1_3repE0EEENS1_30default_config_static_selectorELNS0_4arch9wavefront6targetE0EEEvT1_,@function
_ZN7rocprim17ROCPRIM_400000_NS6detail17trampoline_kernelINS0_14default_configENS1_25transform_config_selectorIdLb1EEEZNS1_14transform_implILb1ES3_S5_PdS7_NS0_8identityIdEEEE10hipError_tT2_T3_mT4_P12ihipStream_tbEUlT_E_NS1_11comp_targetILNS1_3genE4ELNS1_11target_archE910ELNS1_3gpuE8ELNS1_3repE0EEENS1_30default_config_static_selectorELNS0_4arch9wavefront6targetE0EEEvT1_: ; @_ZN7rocprim17ROCPRIM_400000_NS6detail17trampoline_kernelINS0_14default_configENS1_25transform_config_selectorIdLb1EEEZNS1_14transform_implILb1ES3_S5_PdS7_NS0_8identityIdEEEE10hipError_tT2_T3_mT4_P12ihipStream_tbEUlT_E_NS1_11comp_targetILNS1_3genE4ELNS1_11target_archE910ELNS1_3gpuE8ELNS1_3repE0EEENS1_30default_config_static_selectorELNS0_4arch9wavefront6targetE0EEEvT1_
; %bb.0:
	.section	.rodata,"a",@progbits
	.p2align	6, 0x0
	.amdhsa_kernel _ZN7rocprim17ROCPRIM_400000_NS6detail17trampoline_kernelINS0_14default_configENS1_25transform_config_selectorIdLb1EEEZNS1_14transform_implILb1ES3_S5_PdS7_NS0_8identityIdEEEE10hipError_tT2_T3_mT4_P12ihipStream_tbEUlT_E_NS1_11comp_targetILNS1_3genE4ELNS1_11target_archE910ELNS1_3gpuE8ELNS1_3repE0EEENS1_30default_config_static_selectorELNS0_4arch9wavefront6targetE0EEEvT1_
		.amdhsa_group_segment_fixed_size 0
		.amdhsa_private_segment_fixed_size 0
		.amdhsa_kernarg_size 40
		.amdhsa_user_sgpr_count 2
		.amdhsa_user_sgpr_dispatch_ptr 0
		.amdhsa_user_sgpr_queue_ptr 0
		.amdhsa_user_sgpr_kernarg_segment_ptr 1
		.amdhsa_user_sgpr_dispatch_id 0
		.amdhsa_user_sgpr_kernarg_preload_length 0
		.amdhsa_user_sgpr_kernarg_preload_offset 0
		.amdhsa_user_sgpr_private_segment_size 0
		.amdhsa_wavefront_size32 1
		.amdhsa_uses_dynamic_stack 0
		.amdhsa_enable_private_segment 0
		.amdhsa_system_sgpr_workgroup_id_x 1
		.amdhsa_system_sgpr_workgroup_id_y 0
		.amdhsa_system_sgpr_workgroup_id_z 0
		.amdhsa_system_sgpr_workgroup_info 0
		.amdhsa_system_vgpr_workitem_id 0
		.amdhsa_next_free_vgpr 1
		.amdhsa_next_free_sgpr 1
		.amdhsa_named_barrier_count 0
		.amdhsa_reserve_vcc 0
		.amdhsa_float_round_mode_32 0
		.amdhsa_float_round_mode_16_64 0
		.amdhsa_float_denorm_mode_32 3
		.amdhsa_float_denorm_mode_16_64 3
		.amdhsa_fp16_overflow 0
		.amdhsa_memory_ordered 1
		.amdhsa_forward_progress 1
		.amdhsa_inst_pref_size 0
		.amdhsa_round_robin_scheduling 0
		.amdhsa_exception_fp_ieee_invalid_op 0
		.amdhsa_exception_fp_denorm_src 0
		.amdhsa_exception_fp_ieee_div_zero 0
		.amdhsa_exception_fp_ieee_overflow 0
		.amdhsa_exception_fp_ieee_underflow 0
		.amdhsa_exception_fp_ieee_inexact 0
		.amdhsa_exception_int_div_zero 0
	.end_amdhsa_kernel
	.section	.text._ZN7rocprim17ROCPRIM_400000_NS6detail17trampoline_kernelINS0_14default_configENS1_25transform_config_selectorIdLb1EEEZNS1_14transform_implILb1ES3_S5_PdS7_NS0_8identityIdEEEE10hipError_tT2_T3_mT4_P12ihipStream_tbEUlT_E_NS1_11comp_targetILNS1_3genE4ELNS1_11target_archE910ELNS1_3gpuE8ELNS1_3repE0EEENS1_30default_config_static_selectorELNS0_4arch9wavefront6targetE0EEEvT1_,"axG",@progbits,_ZN7rocprim17ROCPRIM_400000_NS6detail17trampoline_kernelINS0_14default_configENS1_25transform_config_selectorIdLb1EEEZNS1_14transform_implILb1ES3_S5_PdS7_NS0_8identityIdEEEE10hipError_tT2_T3_mT4_P12ihipStream_tbEUlT_E_NS1_11comp_targetILNS1_3genE4ELNS1_11target_archE910ELNS1_3gpuE8ELNS1_3repE0EEENS1_30default_config_static_selectorELNS0_4arch9wavefront6targetE0EEEvT1_,comdat
.Lfunc_end1487:
	.size	_ZN7rocprim17ROCPRIM_400000_NS6detail17trampoline_kernelINS0_14default_configENS1_25transform_config_selectorIdLb1EEEZNS1_14transform_implILb1ES3_S5_PdS7_NS0_8identityIdEEEE10hipError_tT2_T3_mT4_P12ihipStream_tbEUlT_E_NS1_11comp_targetILNS1_3genE4ELNS1_11target_archE910ELNS1_3gpuE8ELNS1_3repE0EEENS1_30default_config_static_selectorELNS0_4arch9wavefront6targetE0EEEvT1_, .Lfunc_end1487-_ZN7rocprim17ROCPRIM_400000_NS6detail17trampoline_kernelINS0_14default_configENS1_25transform_config_selectorIdLb1EEEZNS1_14transform_implILb1ES3_S5_PdS7_NS0_8identityIdEEEE10hipError_tT2_T3_mT4_P12ihipStream_tbEUlT_E_NS1_11comp_targetILNS1_3genE4ELNS1_11target_archE910ELNS1_3gpuE8ELNS1_3repE0EEENS1_30default_config_static_selectorELNS0_4arch9wavefront6targetE0EEEvT1_
                                        ; -- End function
	.set _ZN7rocprim17ROCPRIM_400000_NS6detail17trampoline_kernelINS0_14default_configENS1_25transform_config_selectorIdLb1EEEZNS1_14transform_implILb1ES3_S5_PdS7_NS0_8identityIdEEEE10hipError_tT2_T3_mT4_P12ihipStream_tbEUlT_E_NS1_11comp_targetILNS1_3genE4ELNS1_11target_archE910ELNS1_3gpuE8ELNS1_3repE0EEENS1_30default_config_static_selectorELNS0_4arch9wavefront6targetE0EEEvT1_.num_vgpr, 0
	.set _ZN7rocprim17ROCPRIM_400000_NS6detail17trampoline_kernelINS0_14default_configENS1_25transform_config_selectorIdLb1EEEZNS1_14transform_implILb1ES3_S5_PdS7_NS0_8identityIdEEEE10hipError_tT2_T3_mT4_P12ihipStream_tbEUlT_E_NS1_11comp_targetILNS1_3genE4ELNS1_11target_archE910ELNS1_3gpuE8ELNS1_3repE0EEENS1_30default_config_static_selectorELNS0_4arch9wavefront6targetE0EEEvT1_.num_agpr, 0
	.set _ZN7rocprim17ROCPRIM_400000_NS6detail17trampoline_kernelINS0_14default_configENS1_25transform_config_selectorIdLb1EEEZNS1_14transform_implILb1ES3_S5_PdS7_NS0_8identityIdEEEE10hipError_tT2_T3_mT4_P12ihipStream_tbEUlT_E_NS1_11comp_targetILNS1_3genE4ELNS1_11target_archE910ELNS1_3gpuE8ELNS1_3repE0EEENS1_30default_config_static_selectorELNS0_4arch9wavefront6targetE0EEEvT1_.numbered_sgpr, 0
	.set _ZN7rocprim17ROCPRIM_400000_NS6detail17trampoline_kernelINS0_14default_configENS1_25transform_config_selectorIdLb1EEEZNS1_14transform_implILb1ES3_S5_PdS7_NS0_8identityIdEEEE10hipError_tT2_T3_mT4_P12ihipStream_tbEUlT_E_NS1_11comp_targetILNS1_3genE4ELNS1_11target_archE910ELNS1_3gpuE8ELNS1_3repE0EEENS1_30default_config_static_selectorELNS0_4arch9wavefront6targetE0EEEvT1_.num_named_barrier, 0
	.set _ZN7rocprim17ROCPRIM_400000_NS6detail17trampoline_kernelINS0_14default_configENS1_25transform_config_selectorIdLb1EEEZNS1_14transform_implILb1ES3_S5_PdS7_NS0_8identityIdEEEE10hipError_tT2_T3_mT4_P12ihipStream_tbEUlT_E_NS1_11comp_targetILNS1_3genE4ELNS1_11target_archE910ELNS1_3gpuE8ELNS1_3repE0EEENS1_30default_config_static_selectorELNS0_4arch9wavefront6targetE0EEEvT1_.private_seg_size, 0
	.set _ZN7rocprim17ROCPRIM_400000_NS6detail17trampoline_kernelINS0_14default_configENS1_25transform_config_selectorIdLb1EEEZNS1_14transform_implILb1ES3_S5_PdS7_NS0_8identityIdEEEE10hipError_tT2_T3_mT4_P12ihipStream_tbEUlT_E_NS1_11comp_targetILNS1_3genE4ELNS1_11target_archE910ELNS1_3gpuE8ELNS1_3repE0EEENS1_30default_config_static_selectorELNS0_4arch9wavefront6targetE0EEEvT1_.uses_vcc, 0
	.set _ZN7rocprim17ROCPRIM_400000_NS6detail17trampoline_kernelINS0_14default_configENS1_25transform_config_selectorIdLb1EEEZNS1_14transform_implILb1ES3_S5_PdS7_NS0_8identityIdEEEE10hipError_tT2_T3_mT4_P12ihipStream_tbEUlT_E_NS1_11comp_targetILNS1_3genE4ELNS1_11target_archE910ELNS1_3gpuE8ELNS1_3repE0EEENS1_30default_config_static_selectorELNS0_4arch9wavefront6targetE0EEEvT1_.uses_flat_scratch, 0
	.set _ZN7rocprim17ROCPRIM_400000_NS6detail17trampoline_kernelINS0_14default_configENS1_25transform_config_selectorIdLb1EEEZNS1_14transform_implILb1ES3_S5_PdS7_NS0_8identityIdEEEE10hipError_tT2_T3_mT4_P12ihipStream_tbEUlT_E_NS1_11comp_targetILNS1_3genE4ELNS1_11target_archE910ELNS1_3gpuE8ELNS1_3repE0EEENS1_30default_config_static_selectorELNS0_4arch9wavefront6targetE0EEEvT1_.has_dyn_sized_stack, 0
	.set _ZN7rocprim17ROCPRIM_400000_NS6detail17trampoline_kernelINS0_14default_configENS1_25transform_config_selectorIdLb1EEEZNS1_14transform_implILb1ES3_S5_PdS7_NS0_8identityIdEEEE10hipError_tT2_T3_mT4_P12ihipStream_tbEUlT_E_NS1_11comp_targetILNS1_3genE4ELNS1_11target_archE910ELNS1_3gpuE8ELNS1_3repE0EEENS1_30default_config_static_selectorELNS0_4arch9wavefront6targetE0EEEvT1_.has_recursion, 0
	.set _ZN7rocprim17ROCPRIM_400000_NS6detail17trampoline_kernelINS0_14default_configENS1_25transform_config_selectorIdLb1EEEZNS1_14transform_implILb1ES3_S5_PdS7_NS0_8identityIdEEEE10hipError_tT2_T3_mT4_P12ihipStream_tbEUlT_E_NS1_11comp_targetILNS1_3genE4ELNS1_11target_archE910ELNS1_3gpuE8ELNS1_3repE0EEENS1_30default_config_static_selectorELNS0_4arch9wavefront6targetE0EEEvT1_.has_indirect_call, 0
	.section	.AMDGPU.csdata,"",@progbits
; Kernel info:
; codeLenInByte = 0
; TotalNumSgprs: 0
; NumVgprs: 0
; ScratchSize: 0
; MemoryBound: 0
; FloatMode: 240
; IeeeMode: 1
; LDSByteSize: 0 bytes/workgroup (compile time only)
; SGPRBlocks: 0
; VGPRBlocks: 0
; NumSGPRsForWavesPerEU: 1
; NumVGPRsForWavesPerEU: 1
; NamedBarCnt: 0
; Occupancy: 16
; WaveLimiterHint : 0
; COMPUTE_PGM_RSRC2:SCRATCH_EN: 0
; COMPUTE_PGM_RSRC2:USER_SGPR: 2
; COMPUTE_PGM_RSRC2:TRAP_HANDLER: 0
; COMPUTE_PGM_RSRC2:TGID_X_EN: 1
; COMPUTE_PGM_RSRC2:TGID_Y_EN: 0
; COMPUTE_PGM_RSRC2:TGID_Z_EN: 0
; COMPUTE_PGM_RSRC2:TIDIG_COMP_CNT: 0
	.section	.text._ZN7rocprim17ROCPRIM_400000_NS6detail17trampoline_kernelINS0_14default_configENS1_25transform_config_selectorIdLb1EEEZNS1_14transform_implILb1ES3_S5_PdS7_NS0_8identityIdEEEE10hipError_tT2_T3_mT4_P12ihipStream_tbEUlT_E_NS1_11comp_targetILNS1_3genE3ELNS1_11target_archE908ELNS1_3gpuE7ELNS1_3repE0EEENS1_30default_config_static_selectorELNS0_4arch9wavefront6targetE0EEEvT1_,"axG",@progbits,_ZN7rocprim17ROCPRIM_400000_NS6detail17trampoline_kernelINS0_14default_configENS1_25transform_config_selectorIdLb1EEEZNS1_14transform_implILb1ES3_S5_PdS7_NS0_8identityIdEEEE10hipError_tT2_T3_mT4_P12ihipStream_tbEUlT_E_NS1_11comp_targetILNS1_3genE3ELNS1_11target_archE908ELNS1_3gpuE7ELNS1_3repE0EEENS1_30default_config_static_selectorELNS0_4arch9wavefront6targetE0EEEvT1_,comdat
	.protected	_ZN7rocprim17ROCPRIM_400000_NS6detail17trampoline_kernelINS0_14default_configENS1_25transform_config_selectorIdLb1EEEZNS1_14transform_implILb1ES3_S5_PdS7_NS0_8identityIdEEEE10hipError_tT2_T3_mT4_P12ihipStream_tbEUlT_E_NS1_11comp_targetILNS1_3genE3ELNS1_11target_archE908ELNS1_3gpuE7ELNS1_3repE0EEENS1_30default_config_static_selectorELNS0_4arch9wavefront6targetE0EEEvT1_ ; -- Begin function _ZN7rocprim17ROCPRIM_400000_NS6detail17trampoline_kernelINS0_14default_configENS1_25transform_config_selectorIdLb1EEEZNS1_14transform_implILb1ES3_S5_PdS7_NS0_8identityIdEEEE10hipError_tT2_T3_mT4_P12ihipStream_tbEUlT_E_NS1_11comp_targetILNS1_3genE3ELNS1_11target_archE908ELNS1_3gpuE7ELNS1_3repE0EEENS1_30default_config_static_selectorELNS0_4arch9wavefront6targetE0EEEvT1_
	.globl	_ZN7rocprim17ROCPRIM_400000_NS6detail17trampoline_kernelINS0_14default_configENS1_25transform_config_selectorIdLb1EEEZNS1_14transform_implILb1ES3_S5_PdS7_NS0_8identityIdEEEE10hipError_tT2_T3_mT4_P12ihipStream_tbEUlT_E_NS1_11comp_targetILNS1_3genE3ELNS1_11target_archE908ELNS1_3gpuE7ELNS1_3repE0EEENS1_30default_config_static_selectorELNS0_4arch9wavefront6targetE0EEEvT1_
	.p2align	8
	.type	_ZN7rocprim17ROCPRIM_400000_NS6detail17trampoline_kernelINS0_14default_configENS1_25transform_config_selectorIdLb1EEEZNS1_14transform_implILb1ES3_S5_PdS7_NS0_8identityIdEEEE10hipError_tT2_T3_mT4_P12ihipStream_tbEUlT_E_NS1_11comp_targetILNS1_3genE3ELNS1_11target_archE908ELNS1_3gpuE7ELNS1_3repE0EEENS1_30default_config_static_selectorELNS0_4arch9wavefront6targetE0EEEvT1_,@function
_ZN7rocprim17ROCPRIM_400000_NS6detail17trampoline_kernelINS0_14default_configENS1_25transform_config_selectorIdLb1EEEZNS1_14transform_implILb1ES3_S5_PdS7_NS0_8identityIdEEEE10hipError_tT2_T3_mT4_P12ihipStream_tbEUlT_E_NS1_11comp_targetILNS1_3genE3ELNS1_11target_archE908ELNS1_3gpuE7ELNS1_3repE0EEENS1_30default_config_static_selectorELNS0_4arch9wavefront6targetE0EEEvT1_: ; @_ZN7rocprim17ROCPRIM_400000_NS6detail17trampoline_kernelINS0_14default_configENS1_25transform_config_selectorIdLb1EEEZNS1_14transform_implILb1ES3_S5_PdS7_NS0_8identityIdEEEE10hipError_tT2_T3_mT4_P12ihipStream_tbEUlT_E_NS1_11comp_targetILNS1_3genE3ELNS1_11target_archE908ELNS1_3gpuE7ELNS1_3repE0EEENS1_30default_config_static_selectorELNS0_4arch9wavefront6targetE0EEEvT1_
; %bb.0:
	.section	.rodata,"a",@progbits
	.p2align	6, 0x0
	.amdhsa_kernel _ZN7rocprim17ROCPRIM_400000_NS6detail17trampoline_kernelINS0_14default_configENS1_25transform_config_selectorIdLb1EEEZNS1_14transform_implILb1ES3_S5_PdS7_NS0_8identityIdEEEE10hipError_tT2_T3_mT4_P12ihipStream_tbEUlT_E_NS1_11comp_targetILNS1_3genE3ELNS1_11target_archE908ELNS1_3gpuE7ELNS1_3repE0EEENS1_30default_config_static_selectorELNS0_4arch9wavefront6targetE0EEEvT1_
		.amdhsa_group_segment_fixed_size 0
		.amdhsa_private_segment_fixed_size 0
		.amdhsa_kernarg_size 40
		.amdhsa_user_sgpr_count 2
		.amdhsa_user_sgpr_dispatch_ptr 0
		.amdhsa_user_sgpr_queue_ptr 0
		.amdhsa_user_sgpr_kernarg_segment_ptr 1
		.amdhsa_user_sgpr_dispatch_id 0
		.amdhsa_user_sgpr_kernarg_preload_length 0
		.amdhsa_user_sgpr_kernarg_preload_offset 0
		.amdhsa_user_sgpr_private_segment_size 0
		.amdhsa_wavefront_size32 1
		.amdhsa_uses_dynamic_stack 0
		.amdhsa_enable_private_segment 0
		.amdhsa_system_sgpr_workgroup_id_x 1
		.amdhsa_system_sgpr_workgroup_id_y 0
		.amdhsa_system_sgpr_workgroup_id_z 0
		.amdhsa_system_sgpr_workgroup_info 0
		.amdhsa_system_vgpr_workitem_id 0
		.amdhsa_next_free_vgpr 1
		.amdhsa_next_free_sgpr 1
		.amdhsa_named_barrier_count 0
		.amdhsa_reserve_vcc 0
		.amdhsa_float_round_mode_32 0
		.amdhsa_float_round_mode_16_64 0
		.amdhsa_float_denorm_mode_32 3
		.amdhsa_float_denorm_mode_16_64 3
		.amdhsa_fp16_overflow 0
		.amdhsa_memory_ordered 1
		.amdhsa_forward_progress 1
		.amdhsa_inst_pref_size 0
		.amdhsa_round_robin_scheduling 0
		.amdhsa_exception_fp_ieee_invalid_op 0
		.amdhsa_exception_fp_denorm_src 0
		.amdhsa_exception_fp_ieee_div_zero 0
		.amdhsa_exception_fp_ieee_overflow 0
		.amdhsa_exception_fp_ieee_underflow 0
		.amdhsa_exception_fp_ieee_inexact 0
		.amdhsa_exception_int_div_zero 0
	.end_amdhsa_kernel
	.section	.text._ZN7rocprim17ROCPRIM_400000_NS6detail17trampoline_kernelINS0_14default_configENS1_25transform_config_selectorIdLb1EEEZNS1_14transform_implILb1ES3_S5_PdS7_NS0_8identityIdEEEE10hipError_tT2_T3_mT4_P12ihipStream_tbEUlT_E_NS1_11comp_targetILNS1_3genE3ELNS1_11target_archE908ELNS1_3gpuE7ELNS1_3repE0EEENS1_30default_config_static_selectorELNS0_4arch9wavefront6targetE0EEEvT1_,"axG",@progbits,_ZN7rocprim17ROCPRIM_400000_NS6detail17trampoline_kernelINS0_14default_configENS1_25transform_config_selectorIdLb1EEEZNS1_14transform_implILb1ES3_S5_PdS7_NS0_8identityIdEEEE10hipError_tT2_T3_mT4_P12ihipStream_tbEUlT_E_NS1_11comp_targetILNS1_3genE3ELNS1_11target_archE908ELNS1_3gpuE7ELNS1_3repE0EEENS1_30default_config_static_selectorELNS0_4arch9wavefront6targetE0EEEvT1_,comdat
.Lfunc_end1488:
	.size	_ZN7rocprim17ROCPRIM_400000_NS6detail17trampoline_kernelINS0_14default_configENS1_25transform_config_selectorIdLb1EEEZNS1_14transform_implILb1ES3_S5_PdS7_NS0_8identityIdEEEE10hipError_tT2_T3_mT4_P12ihipStream_tbEUlT_E_NS1_11comp_targetILNS1_3genE3ELNS1_11target_archE908ELNS1_3gpuE7ELNS1_3repE0EEENS1_30default_config_static_selectorELNS0_4arch9wavefront6targetE0EEEvT1_, .Lfunc_end1488-_ZN7rocprim17ROCPRIM_400000_NS6detail17trampoline_kernelINS0_14default_configENS1_25transform_config_selectorIdLb1EEEZNS1_14transform_implILb1ES3_S5_PdS7_NS0_8identityIdEEEE10hipError_tT2_T3_mT4_P12ihipStream_tbEUlT_E_NS1_11comp_targetILNS1_3genE3ELNS1_11target_archE908ELNS1_3gpuE7ELNS1_3repE0EEENS1_30default_config_static_selectorELNS0_4arch9wavefront6targetE0EEEvT1_
                                        ; -- End function
	.set _ZN7rocprim17ROCPRIM_400000_NS6detail17trampoline_kernelINS0_14default_configENS1_25transform_config_selectorIdLb1EEEZNS1_14transform_implILb1ES3_S5_PdS7_NS0_8identityIdEEEE10hipError_tT2_T3_mT4_P12ihipStream_tbEUlT_E_NS1_11comp_targetILNS1_3genE3ELNS1_11target_archE908ELNS1_3gpuE7ELNS1_3repE0EEENS1_30default_config_static_selectorELNS0_4arch9wavefront6targetE0EEEvT1_.num_vgpr, 0
	.set _ZN7rocprim17ROCPRIM_400000_NS6detail17trampoline_kernelINS0_14default_configENS1_25transform_config_selectorIdLb1EEEZNS1_14transform_implILb1ES3_S5_PdS7_NS0_8identityIdEEEE10hipError_tT2_T3_mT4_P12ihipStream_tbEUlT_E_NS1_11comp_targetILNS1_3genE3ELNS1_11target_archE908ELNS1_3gpuE7ELNS1_3repE0EEENS1_30default_config_static_selectorELNS0_4arch9wavefront6targetE0EEEvT1_.num_agpr, 0
	.set _ZN7rocprim17ROCPRIM_400000_NS6detail17trampoline_kernelINS0_14default_configENS1_25transform_config_selectorIdLb1EEEZNS1_14transform_implILb1ES3_S5_PdS7_NS0_8identityIdEEEE10hipError_tT2_T3_mT4_P12ihipStream_tbEUlT_E_NS1_11comp_targetILNS1_3genE3ELNS1_11target_archE908ELNS1_3gpuE7ELNS1_3repE0EEENS1_30default_config_static_selectorELNS0_4arch9wavefront6targetE0EEEvT1_.numbered_sgpr, 0
	.set _ZN7rocprim17ROCPRIM_400000_NS6detail17trampoline_kernelINS0_14default_configENS1_25transform_config_selectorIdLb1EEEZNS1_14transform_implILb1ES3_S5_PdS7_NS0_8identityIdEEEE10hipError_tT2_T3_mT4_P12ihipStream_tbEUlT_E_NS1_11comp_targetILNS1_3genE3ELNS1_11target_archE908ELNS1_3gpuE7ELNS1_3repE0EEENS1_30default_config_static_selectorELNS0_4arch9wavefront6targetE0EEEvT1_.num_named_barrier, 0
	.set _ZN7rocprim17ROCPRIM_400000_NS6detail17trampoline_kernelINS0_14default_configENS1_25transform_config_selectorIdLb1EEEZNS1_14transform_implILb1ES3_S5_PdS7_NS0_8identityIdEEEE10hipError_tT2_T3_mT4_P12ihipStream_tbEUlT_E_NS1_11comp_targetILNS1_3genE3ELNS1_11target_archE908ELNS1_3gpuE7ELNS1_3repE0EEENS1_30default_config_static_selectorELNS0_4arch9wavefront6targetE0EEEvT1_.private_seg_size, 0
	.set _ZN7rocprim17ROCPRIM_400000_NS6detail17trampoline_kernelINS0_14default_configENS1_25transform_config_selectorIdLb1EEEZNS1_14transform_implILb1ES3_S5_PdS7_NS0_8identityIdEEEE10hipError_tT2_T3_mT4_P12ihipStream_tbEUlT_E_NS1_11comp_targetILNS1_3genE3ELNS1_11target_archE908ELNS1_3gpuE7ELNS1_3repE0EEENS1_30default_config_static_selectorELNS0_4arch9wavefront6targetE0EEEvT1_.uses_vcc, 0
	.set _ZN7rocprim17ROCPRIM_400000_NS6detail17trampoline_kernelINS0_14default_configENS1_25transform_config_selectorIdLb1EEEZNS1_14transform_implILb1ES3_S5_PdS7_NS0_8identityIdEEEE10hipError_tT2_T3_mT4_P12ihipStream_tbEUlT_E_NS1_11comp_targetILNS1_3genE3ELNS1_11target_archE908ELNS1_3gpuE7ELNS1_3repE0EEENS1_30default_config_static_selectorELNS0_4arch9wavefront6targetE0EEEvT1_.uses_flat_scratch, 0
	.set _ZN7rocprim17ROCPRIM_400000_NS6detail17trampoline_kernelINS0_14default_configENS1_25transform_config_selectorIdLb1EEEZNS1_14transform_implILb1ES3_S5_PdS7_NS0_8identityIdEEEE10hipError_tT2_T3_mT4_P12ihipStream_tbEUlT_E_NS1_11comp_targetILNS1_3genE3ELNS1_11target_archE908ELNS1_3gpuE7ELNS1_3repE0EEENS1_30default_config_static_selectorELNS0_4arch9wavefront6targetE0EEEvT1_.has_dyn_sized_stack, 0
	.set _ZN7rocprim17ROCPRIM_400000_NS6detail17trampoline_kernelINS0_14default_configENS1_25transform_config_selectorIdLb1EEEZNS1_14transform_implILb1ES3_S5_PdS7_NS0_8identityIdEEEE10hipError_tT2_T3_mT4_P12ihipStream_tbEUlT_E_NS1_11comp_targetILNS1_3genE3ELNS1_11target_archE908ELNS1_3gpuE7ELNS1_3repE0EEENS1_30default_config_static_selectorELNS0_4arch9wavefront6targetE0EEEvT1_.has_recursion, 0
	.set _ZN7rocprim17ROCPRIM_400000_NS6detail17trampoline_kernelINS0_14default_configENS1_25transform_config_selectorIdLb1EEEZNS1_14transform_implILb1ES3_S5_PdS7_NS0_8identityIdEEEE10hipError_tT2_T3_mT4_P12ihipStream_tbEUlT_E_NS1_11comp_targetILNS1_3genE3ELNS1_11target_archE908ELNS1_3gpuE7ELNS1_3repE0EEENS1_30default_config_static_selectorELNS0_4arch9wavefront6targetE0EEEvT1_.has_indirect_call, 0
	.section	.AMDGPU.csdata,"",@progbits
; Kernel info:
; codeLenInByte = 0
; TotalNumSgprs: 0
; NumVgprs: 0
; ScratchSize: 0
; MemoryBound: 0
; FloatMode: 240
; IeeeMode: 1
; LDSByteSize: 0 bytes/workgroup (compile time only)
; SGPRBlocks: 0
; VGPRBlocks: 0
; NumSGPRsForWavesPerEU: 1
; NumVGPRsForWavesPerEU: 1
; NamedBarCnt: 0
; Occupancy: 16
; WaveLimiterHint : 0
; COMPUTE_PGM_RSRC2:SCRATCH_EN: 0
; COMPUTE_PGM_RSRC2:USER_SGPR: 2
; COMPUTE_PGM_RSRC2:TRAP_HANDLER: 0
; COMPUTE_PGM_RSRC2:TGID_X_EN: 1
; COMPUTE_PGM_RSRC2:TGID_Y_EN: 0
; COMPUTE_PGM_RSRC2:TGID_Z_EN: 0
; COMPUTE_PGM_RSRC2:TIDIG_COMP_CNT: 0
	.section	.text._ZN7rocprim17ROCPRIM_400000_NS6detail17trampoline_kernelINS0_14default_configENS1_25transform_config_selectorIdLb1EEEZNS1_14transform_implILb1ES3_S5_PdS7_NS0_8identityIdEEEE10hipError_tT2_T3_mT4_P12ihipStream_tbEUlT_E_NS1_11comp_targetILNS1_3genE2ELNS1_11target_archE906ELNS1_3gpuE6ELNS1_3repE0EEENS1_30default_config_static_selectorELNS0_4arch9wavefront6targetE0EEEvT1_,"axG",@progbits,_ZN7rocprim17ROCPRIM_400000_NS6detail17trampoline_kernelINS0_14default_configENS1_25transform_config_selectorIdLb1EEEZNS1_14transform_implILb1ES3_S5_PdS7_NS0_8identityIdEEEE10hipError_tT2_T3_mT4_P12ihipStream_tbEUlT_E_NS1_11comp_targetILNS1_3genE2ELNS1_11target_archE906ELNS1_3gpuE6ELNS1_3repE0EEENS1_30default_config_static_selectorELNS0_4arch9wavefront6targetE0EEEvT1_,comdat
	.protected	_ZN7rocprim17ROCPRIM_400000_NS6detail17trampoline_kernelINS0_14default_configENS1_25transform_config_selectorIdLb1EEEZNS1_14transform_implILb1ES3_S5_PdS7_NS0_8identityIdEEEE10hipError_tT2_T3_mT4_P12ihipStream_tbEUlT_E_NS1_11comp_targetILNS1_3genE2ELNS1_11target_archE906ELNS1_3gpuE6ELNS1_3repE0EEENS1_30default_config_static_selectorELNS0_4arch9wavefront6targetE0EEEvT1_ ; -- Begin function _ZN7rocprim17ROCPRIM_400000_NS6detail17trampoline_kernelINS0_14default_configENS1_25transform_config_selectorIdLb1EEEZNS1_14transform_implILb1ES3_S5_PdS7_NS0_8identityIdEEEE10hipError_tT2_T3_mT4_P12ihipStream_tbEUlT_E_NS1_11comp_targetILNS1_3genE2ELNS1_11target_archE906ELNS1_3gpuE6ELNS1_3repE0EEENS1_30default_config_static_selectorELNS0_4arch9wavefront6targetE0EEEvT1_
	.globl	_ZN7rocprim17ROCPRIM_400000_NS6detail17trampoline_kernelINS0_14default_configENS1_25transform_config_selectorIdLb1EEEZNS1_14transform_implILb1ES3_S5_PdS7_NS0_8identityIdEEEE10hipError_tT2_T3_mT4_P12ihipStream_tbEUlT_E_NS1_11comp_targetILNS1_3genE2ELNS1_11target_archE906ELNS1_3gpuE6ELNS1_3repE0EEENS1_30default_config_static_selectorELNS0_4arch9wavefront6targetE0EEEvT1_
	.p2align	8
	.type	_ZN7rocprim17ROCPRIM_400000_NS6detail17trampoline_kernelINS0_14default_configENS1_25transform_config_selectorIdLb1EEEZNS1_14transform_implILb1ES3_S5_PdS7_NS0_8identityIdEEEE10hipError_tT2_T3_mT4_P12ihipStream_tbEUlT_E_NS1_11comp_targetILNS1_3genE2ELNS1_11target_archE906ELNS1_3gpuE6ELNS1_3repE0EEENS1_30default_config_static_selectorELNS0_4arch9wavefront6targetE0EEEvT1_,@function
_ZN7rocprim17ROCPRIM_400000_NS6detail17trampoline_kernelINS0_14default_configENS1_25transform_config_selectorIdLb1EEEZNS1_14transform_implILb1ES3_S5_PdS7_NS0_8identityIdEEEE10hipError_tT2_T3_mT4_P12ihipStream_tbEUlT_E_NS1_11comp_targetILNS1_3genE2ELNS1_11target_archE906ELNS1_3gpuE6ELNS1_3repE0EEENS1_30default_config_static_selectorELNS0_4arch9wavefront6targetE0EEEvT1_: ; @_ZN7rocprim17ROCPRIM_400000_NS6detail17trampoline_kernelINS0_14default_configENS1_25transform_config_selectorIdLb1EEEZNS1_14transform_implILb1ES3_S5_PdS7_NS0_8identityIdEEEE10hipError_tT2_T3_mT4_P12ihipStream_tbEUlT_E_NS1_11comp_targetILNS1_3genE2ELNS1_11target_archE906ELNS1_3gpuE6ELNS1_3repE0EEENS1_30default_config_static_selectorELNS0_4arch9wavefront6targetE0EEEvT1_
; %bb.0:
	.section	.rodata,"a",@progbits
	.p2align	6, 0x0
	.amdhsa_kernel _ZN7rocprim17ROCPRIM_400000_NS6detail17trampoline_kernelINS0_14default_configENS1_25transform_config_selectorIdLb1EEEZNS1_14transform_implILb1ES3_S5_PdS7_NS0_8identityIdEEEE10hipError_tT2_T3_mT4_P12ihipStream_tbEUlT_E_NS1_11comp_targetILNS1_3genE2ELNS1_11target_archE906ELNS1_3gpuE6ELNS1_3repE0EEENS1_30default_config_static_selectorELNS0_4arch9wavefront6targetE0EEEvT1_
		.amdhsa_group_segment_fixed_size 0
		.amdhsa_private_segment_fixed_size 0
		.amdhsa_kernarg_size 40
		.amdhsa_user_sgpr_count 2
		.amdhsa_user_sgpr_dispatch_ptr 0
		.amdhsa_user_sgpr_queue_ptr 0
		.amdhsa_user_sgpr_kernarg_segment_ptr 1
		.amdhsa_user_sgpr_dispatch_id 0
		.amdhsa_user_sgpr_kernarg_preload_length 0
		.amdhsa_user_sgpr_kernarg_preload_offset 0
		.amdhsa_user_sgpr_private_segment_size 0
		.amdhsa_wavefront_size32 1
		.amdhsa_uses_dynamic_stack 0
		.amdhsa_enable_private_segment 0
		.amdhsa_system_sgpr_workgroup_id_x 1
		.amdhsa_system_sgpr_workgroup_id_y 0
		.amdhsa_system_sgpr_workgroup_id_z 0
		.amdhsa_system_sgpr_workgroup_info 0
		.amdhsa_system_vgpr_workitem_id 0
		.amdhsa_next_free_vgpr 1
		.amdhsa_next_free_sgpr 1
		.amdhsa_named_barrier_count 0
		.amdhsa_reserve_vcc 0
		.amdhsa_float_round_mode_32 0
		.amdhsa_float_round_mode_16_64 0
		.amdhsa_float_denorm_mode_32 3
		.amdhsa_float_denorm_mode_16_64 3
		.amdhsa_fp16_overflow 0
		.amdhsa_memory_ordered 1
		.amdhsa_forward_progress 1
		.amdhsa_inst_pref_size 0
		.amdhsa_round_robin_scheduling 0
		.amdhsa_exception_fp_ieee_invalid_op 0
		.amdhsa_exception_fp_denorm_src 0
		.amdhsa_exception_fp_ieee_div_zero 0
		.amdhsa_exception_fp_ieee_overflow 0
		.amdhsa_exception_fp_ieee_underflow 0
		.amdhsa_exception_fp_ieee_inexact 0
		.amdhsa_exception_int_div_zero 0
	.end_amdhsa_kernel
	.section	.text._ZN7rocprim17ROCPRIM_400000_NS6detail17trampoline_kernelINS0_14default_configENS1_25transform_config_selectorIdLb1EEEZNS1_14transform_implILb1ES3_S5_PdS7_NS0_8identityIdEEEE10hipError_tT2_T3_mT4_P12ihipStream_tbEUlT_E_NS1_11comp_targetILNS1_3genE2ELNS1_11target_archE906ELNS1_3gpuE6ELNS1_3repE0EEENS1_30default_config_static_selectorELNS0_4arch9wavefront6targetE0EEEvT1_,"axG",@progbits,_ZN7rocprim17ROCPRIM_400000_NS6detail17trampoline_kernelINS0_14default_configENS1_25transform_config_selectorIdLb1EEEZNS1_14transform_implILb1ES3_S5_PdS7_NS0_8identityIdEEEE10hipError_tT2_T3_mT4_P12ihipStream_tbEUlT_E_NS1_11comp_targetILNS1_3genE2ELNS1_11target_archE906ELNS1_3gpuE6ELNS1_3repE0EEENS1_30default_config_static_selectorELNS0_4arch9wavefront6targetE0EEEvT1_,comdat
.Lfunc_end1489:
	.size	_ZN7rocprim17ROCPRIM_400000_NS6detail17trampoline_kernelINS0_14default_configENS1_25transform_config_selectorIdLb1EEEZNS1_14transform_implILb1ES3_S5_PdS7_NS0_8identityIdEEEE10hipError_tT2_T3_mT4_P12ihipStream_tbEUlT_E_NS1_11comp_targetILNS1_3genE2ELNS1_11target_archE906ELNS1_3gpuE6ELNS1_3repE0EEENS1_30default_config_static_selectorELNS0_4arch9wavefront6targetE0EEEvT1_, .Lfunc_end1489-_ZN7rocprim17ROCPRIM_400000_NS6detail17trampoline_kernelINS0_14default_configENS1_25transform_config_selectorIdLb1EEEZNS1_14transform_implILb1ES3_S5_PdS7_NS0_8identityIdEEEE10hipError_tT2_T3_mT4_P12ihipStream_tbEUlT_E_NS1_11comp_targetILNS1_3genE2ELNS1_11target_archE906ELNS1_3gpuE6ELNS1_3repE0EEENS1_30default_config_static_selectorELNS0_4arch9wavefront6targetE0EEEvT1_
                                        ; -- End function
	.set _ZN7rocprim17ROCPRIM_400000_NS6detail17trampoline_kernelINS0_14default_configENS1_25transform_config_selectorIdLb1EEEZNS1_14transform_implILb1ES3_S5_PdS7_NS0_8identityIdEEEE10hipError_tT2_T3_mT4_P12ihipStream_tbEUlT_E_NS1_11comp_targetILNS1_3genE2ELNS1_11target_archE906ELNS1_3gpuE6ELNS1_3repE0EEENS1_30default_config_static_selectorELNS0_4arch9wavefront6targetE0EEEvT1_.num_vgpr, 0
	.set _ZN7rocprim17ROCPRIM_400000_NS6detail17trampoline_kernelINS0_14default_configENS1_25transform_config_selectorIdLb1EEEZNS1_14transform_implILb1ES3_S5_PdS7_NS0_8identityIdEEEE10hipError_tT2_T3_mT4_P12ihipStream_tbEUlT_E_NS1_11comp_targetILNS1_3genE2ELNS1_11target_archE906ELNS1_3gpuE6ELNS1_3repE0EEENS1_30default_config_static_selectorELNS0_4arch9wavefront6targetE0EEEvT1_.num_agpr, 0
	.set _ZN7rocprim17ROCPRIM_400000_NS6detail17trampoline_kernelINS0_14default_configENS1_25transform_config_selectorIdLb1EEEZNS1_14transform_implILb1ES3_S5_PdS7_NS0_8identityIdEEEE10hipError_tT2_T3_mT4_P12ihipStream_tbEUlT_E_NS1_11comp_targetILNS1_3genE2ELNS1_11target_archE906ELNS1_3gpuE6ELNS1_3repE0EEENS1_30default_config_static_selectorELNS0_4arch9wavefront6targetE0EEEvT1_.numbered_sgpr, 0
	.set _ZN7rocprim17ROCPRIM_400000_NS6detail17trampoline_kernelINS0_14default_configENS1_25transform_config_selectorIdLb1EEEZNS1_14transform_implILb1ES3_S5_PdS7_NS0_8identityIdEEEE10hipError_tT2_T3_mT4_P12ihipStream_tbEUlT_E_NS1_11comp_targetILNS1_3genE2ELNS1_11target_archE906ELNS1_3gpuE6ELNS1_3repE0EEENS1_30default_config_static_selectorELNS0_4arch9wavefront6targetE0EEEvT1_.num_named_barrier, 0
	.set _ZN7rocprim17ROCPRIM_400000_NS6detail17trampoline_kernelINS0_14default_configENS1_25transform_config_selectorIdLb1EEEZNS1_14transform_implILb1ES3_S5_PdS7_NS0_8identityIdEEEE10hipError_tT2_T3_mT4_P12ihipStream_tbEUlT_E_NS1_11comp_targetILNS1_3genE2ELNS1_11target_archE906ELNS1_3gpuE6ELNS1_3repE0EEENS1_30default_config_static_selectorELNS0_4arch9wavefront6targetE0EEEvT1_.private_seg_size, 0
	.set _ZN7rocprim17ROCPRIM_400000_NS6detail17trampoline_kernelINS0_14default_configENS1_25transform_config_selectorIdLb1EEEZNS1_14transform_implILb1ES3_S5_PdS7_NS0_8identityIdEEEE10hipError_tT2_T3_mT4_P12ihipStream_tbEUlT_E_NS1_11comp_targetILNS1_3genE2ELNS1_11target_archE906ELNS1_3gpuE6ELNS1_3repE0EEENS1_30default_config_static_selectorELNS0_4arch9wavefront6targetE0EEEvT1_.uses_vcc, 0
	.set _ZN7rocprim17ROCPRIM_400000_NS6detail17trampoline_kernelINS0_14default_configENS1_25transform_config_selectorIdLb1EEEZNS1_14transform_implILb1ES3_S5_PdS7_NS0_8identityIdEEEE10hipError_tT2_T3_mT4_P12ihipStream_tbEUlT_E_NS1_11comp_targetILNS1_3genE2ELNS1_11target_archE906ELNS1_3gpuE6ELNS1_3repE0EEENS1_30default_config_static_selectorELNS0_4arch9wavefront6targetE0EEEvT1_.uses_flat_scratch, 0
	.set _ZN7rocprim17ROCPRIM_400000_NS6detail17trampoline_kernelINS0_14default_configENS1_25transform_config_selectorIdLb1EEEZNS1_14transform_implILb1ES3_S5_PdS7_NS0_8identityIdEEEE10hipError_tT2_T3_mT4_P12ihipStream_tbEUlT_E_NS1_11comp_targetILNS1_3genE2ELNS1_11target_archE906ELNS1_3gpuE6ELNS1_3repE0EEENS1_30default_config_static_selectorELNS0_4arch9wavefront6targetE0EEEvT1_.has_dyn_sized_stack, 0
	.set _ZN7rocprim17ROCPRIM_400000_NS6detail17trampoline_kernelINS0_14default_configENS1_25transform_config_selectorIdLb1EEEZNS1_14transform_implILb1ES3_S5_PdS7_NS0_8identityIdEEEE10hipError_tT2_T3_mT4_P12ihipStream_tbEUlT_E_NS1_11comp_targetILNS1_3genE2ELNS1_11target_archE906ELNS1_3gpuE6ELNS1_3repE0EEENS1_30default_config_static_selectorELNS0_4arch9wavefront6targetE0EEEvT1_.has_recursion, 0
	.set _ZN7rocprim17ROCPRIM_400000_NS6detail17trampoline_kernelINS0_14default_configENS1_25transform_config_selectorIdLb1EEEZNS1_14transform_implILb1ES3_S5_PdS7_NS0_8identityIdEEEE10hipError_tT2_T3_mT4_P12ihipStream_tbEUlT_E_NS1_11comp_targetILNS1_3genE2ELNS1_11target_archE906ELNS1_3gpuE6ELNS1_3repE0EEENS1_30default_config_static_selectorELNS0_4arch9wavefront6targetE0EEEvT1_.has_indirect_call, 0
	.section	.AMDGPU.csdata,"",@progbits
; Kernel info:
; codeLenInByte = 0
; TotalNumSgprs: 0
; NumVgprs: 0
; ScratchSize: 0
; MemoryBound: 0
; FloatMode: 240
; IeeeMode: 1
; LDSByteSize: 0 bytes/workgroup (compile time only)
; SGPRBlocks: 0
; VGPRBlocks: 0
; NumSGPRsForWavesPerEU: 1
; NumVGPRsForWavesPerEU: 1
; NamedBarCnt: 0
; Occupancy: 16
; WaveLimiterHint : 0
; COMPUTE_PGM_RSRC2:SCRATCH_EN: 0
; COMPUTE_PGM_RSRC2:USER_SGPR: 2
; COMPUTE_PGM_RSRC2:TRAP_HANDLER: 0
; COMPUTE_PGM_RSRC2:TGID_X_EN: 1
; COMPUTE_PGM_RSRC2:TGID_Y_EN: 0
; COMPUTE_PGM_RSRC2:TGID_Z_EN: 0
; COMPUTE_PGM_RSRC2:TIDIG_COMP_CNT: 0
	.section	.text._ZN7rocprim17ROCPRIM_400000_NS6detail17trampoline_kernelINS0_14default_configENS1_25transform_config_selectorIdLb1EEEZNS1_14transform_implILb1ES3_S5_PdS7_NS0_8identityIdEEEE10hipError_tT2_T3_mT4_P12ihipStream_tbEUlT_E_NS1_11comp_targetILNS1_3genE9ELNS1_11target_archE1100ELNS1_3gpuE3ELNS1_3repE0EEENS1_30default_config_static_selectorELNS0_4arch9wavefront6targetE0EEEvT1_,"axG",@progbits,_ZN7rocprim17ROCPRIM_400000_NS6detail17trampoline_kernelINS0_14default_configENS1_25transform_config_selectorIdLb1EEEZNS1_14transform_implILb1ES3_S5_PdS7_NS0_8identityIdEEEE10hipError_tT2_T3_mT4_P12ihipStream_tbEUlT_E_NS1_11comp_targetILNS1_3genE9ELNS1_11target_archE1100ELNS1_3gpuE3ELNS1_3repE0EEENS1_30default_config_static_selectorELNS0_4arch9wavefront6targetE0EEEvT1_,comdat
	.protected	_ZN7rocprim17ROCPRIM_400000_NS6detail17trampoline_kernelINS0_14default_configENS1_25transform_config_selectorIdLb1EEEZNS1_14transform_implILb1ES3_S5_PdS7_NS0_8identityIdEEEE10hipError_tT2_T3_mT4_P12ihipStream_tbEUlT_E_NS1_11comp_targetILNS1_3genE9ELNS1_11target_archE1100ELNS1_3gpuE3ELNS1_3repE0EEENS1_30default_config_static_selectorELNS0_4arch9wavefront6targetE0EEEvT1_ ; -- Begin function _ZN7rocprim17ROCPRIM_400000_NS6detail17trampoline_kernelINS0_14default_configENS1_25transform_config_selectorIdLb1EEEZNS1_14transform_implILb1ES3_S5_PdS7_NS0_8identityIdEEEE10hipError_tT2_T3_mT4_P12ihipStream_tbEUlT_E_NS1_11comp_targetILNS1_3genE9ELNS1_11target_archE1100ELNS1_3gpuE3ELNS1_3repE0EEENS1_30default_config_static_selectorELNS0_4arch9wavefront6targetE0EEEvT1_
	.globl	_ZN7rocprim17ROCPRIM_400000_NS6detail17trampoline_kernelINS0_14default_configENS1_25transform_config_selectorIdLb1EEEZNS1_14transform_implILb1ES3_S5_PdS7_NS0_8identityIdEEEE10hipError_tT2_T3_mT4_P12ihipStream_tbEUlT_E_NS1_11comp_targetILNS1_3genE9ELNS1_11target_archE1100ELNS1_3gpuE3ELNS1_3repE0EEENS1_30default_config_static_selectorELNS0_4arch9wavefront6targetE0EEEvT1_
	.p2align	8
	.type	_ZN7rocprim17ROCPRIM_400000_NS6detail17trampoline_kernelINS0_14default_configENS1_25transform_config_selectorIdLb1EEEZNS1_14transform_implILb1ES3_S5_PdS7_NS0_8identityIdEEEE10hipError_tT2_T3_mT4_P12ihipStream_tbEUlT_E_NS1_11comp_targetILNS1_3genE9ELNS1_11target_archE1100ELNS1_3gpuE3ELNS1_3repE0EEENS1_30default_config_static_selectorELNS0_4arch9wavefront6targetE0EEEvT1_,@function
_ZN7rocprim17ROCPRIM_400000_NS6detail17trampoline_kernelINS0_14default_configENS1_25transform_config_selectorIdLb1EEEZNS1_14transform_implILb1ES3_S5_PdS7_NS0_8identityIdEEEE10hipError_tT2_T3_mT4_P12ihipStream_tbEUlT_E_NS1_11comp_targetILNS1_3genE9ELNS1_11target_archE1100ELNS1_3gpuE3ELNS1_3repE0EEENS1_30default_config_static_selectorELNS0_4arch9wavefront6targetE0EEEvT1_: ; @_ZN7rocprim17ROCPRIM_400000_NS6detail17trampoline_kernelINS0_14default_configENS1_25transform_config_selectorIdLb1EEEZNS1_14transform_implILb1ES3_S5_PdS7_NS0_8identityIdEEEE10hipError_tT2_T3_mT4_P12ihipStream_tbEUlT_E_NS1_11comp_targetILNS1_3genE9ELNS1_11target_archE1100ELNS1_3gpuE3ELNS1_3repE0EEENS1_30default_config_static_selectorELNS0_4arch9wavefront6targetE0EEEvT1_
; %bb.0:
	.section	.rodata,"a",@progbits
	.p2align	6, 0x0
	.amdhsa_kernel _ZN7rocprim17ROCPRIM_400000_NS6detail17trampoline_kernelINS0_14default_configENS1_25transform_config_selectorIdLb1EEEZNS1_14transform_implILb1ES3_S5_PdS7_NS0_8identityIdEEEE10hipError_tT2_T3_mT4_P12ihipStream_tbEUlT_E_NS1_11comp_targetILNS1_3genE9ELNS1_11target_archE1100ELNS1_3gpuE3ELNS1_3repE0EEENS1_30default_config_static_selectorELNS0_4arch9wavefront6targetE0EEEvT1_
		.amdhsa_group_segment_fixed_size 0
		.amdhsa_private_segment_fixed_size 0
		.amdhsa_kernarg_size 40
		.amdhsa_user_sgpr_count 2
		.amdhsa_user_sgpr_dispatch_ptr 0
		.amdhsa_user_sgpr_queue_ptr 0
		.amdhsa_user_sgpr_kernarg_segment_ptr 1
		.amdhsa_user_sgpr_dispatch_id 0
		.amdhsa_user_sgpr_kernarg_preload_length 0
		.amdhsa_user_sgpr_kernarg_preload_offset 0
		.amdhsa_user_sgpr_private_segment_size 0
		.amdhsa_wavefront_size32 1
		.amdhsa_uses_dynamic_stack 0
		.amdhsa_enable_private_segment 0
		.amdhsa_system_sgpr_workgroup_id_x 1
		.amdhsa_system_sgpr_workgroup_id_y 0
		.amdhsa_system_sgpr_workgroup_id_z 0
		.amdhsa_system_sgpr_workgroup_info 0
		.amdhsa_system_vgpr_workitem_id 0
		.amdhsa_next_free_vgpr 1
		.amdhsa_next_free_sgpr 1
		.amdhsa_named_barrier_count 0
		.amdhsa_reserve_vcc 0
		.amdhsa_float_round_mode_32 0
		.amdhsa_float_round_mode_16_64 0
		.amdhsa_float_denorm_mode_32 3
		.amdhsa_float_denorm_mode_16_64 3
		.amdhsa_fp16_overflow 0
		.amdhsa_memory_ordered 1
		.amdhsa_forward_progress 1
		.amdhsa_inst_pref_size 0
		.amdhsa_round_robin_scheduling 0
		.amdhsa_exception_fp_ieee_invalid_op 0
		.amdhsa_exception_fp_denorm_src 0
		.amdhsa_exception_fp_ieee_div_zero 0
		.amdhsa_exception_fp_ieee_overflow 0
		.amdhsa_exception_fp_ieee_underflow 0
		.amdhsa_exception_fp_ieee_inexact 0
		.amdhsa_exception_int_div_zero 0
	.end_amdhsa_kernel
	.section	.text._ZN7rocprim17ROCPRIM_400000_NS6detail17trampoline_kernelINS0_14default_configENS1_25transform_config_selectorIdLb1EEEZNS1_14transform_implILb1ES3_S5_PdS7_NS0_8identityIdEEEE10hipError_tT2_T3_mT4_P12ihipStream_tbEUlT_E_NS1_11comp_targetILNS1_3genE9ELNS1_11target_archE1100ELNS1_3gpuE3ELNS1_3repE0EEENS1_30default_config_static_selectorELNS0_4arch9wavefront6targetE0EEEvT1_,"axG",@progbits,_ZN7rocprim17ROCPRIM_400000_NS6detail17trampoline_kernelINS0_14default_configENS1_25transform_config_selectorIdLb1EEEZNS1_14transform_implILb1ES3_S5_PdS7_NS0_8identityIdEEEE10hipError_tT2_T3_mT4_P12ihipStream_tbEUlT_E_NS1_11comp_targetILNS1_3genE9ELNS1_11target_archE1100ELNS1_3gpuE3ELNS1_3repE0EEENS1_30default_config_static_selectorELNS0_4arch9wavefront6targetE0EEEvT1_,comdat
.Lfunc_end1490:
	.size	_ZN7rocprim17ROCPRIM_400000_NS6detail17trampoline_kernelINS0_14default_configENS1_25transform_config_selectorIdLb1EEEZNS1_14transform_implILb1ES3_S5_PdS7_NS0_8identityIdEEEE10hipError_tT2_T3_mT4_P12ihipStream_tbEUlT_E_NS1_11comp_targetILNS1_3genE9ELNS1_11target_archE1100ELNS1_3gpuE3ELNS1_3repE0EEENS1_30default_config_static_selectorELNS0_4arch9wavefront6targetE0EEEvT1_, .Lfunc_end1490-_ZN7rocprim17ROCPRIM_400000_NS6detail17trampoline_kernelINS0_14default_configENS1_25transform_config_selectorIdLb1EEEZNS1_14transform_implILb1ES3_S5_PdS7_NS0_8identityIdEEEE10hipError_tT2_T3_mT4_P12ihipStream_tbEUlT_E_NS1_11comp_targetILNS1_3genE9ELNS1_11target_archE1100ELNS1_3gpuE3ELNS1_3repE0EEENS1_30default_config_static_selectorELNS0_4arch9wavefront6targetE0EEEvT1_
                                        ; -- End function
	.set _ZN7rocprim17ROCPRIM_400000_NS6detail17trampoline_kernelINS0_14default_configENS1_25transform_config_selectorIdLb1EEEZNS1_14transform_implILb1ES3_S5_PdS7_NS0_8identityIdEEEE10hipError_tT2_T3_mT4_P12ihipStream_tbEUlT_E_NS1_11comp_targetILNS1_3genE9ELNS1_11target_archE1100ELNS1_3gpuE3ELNS1_3repE0EEENS1_30default_config_static_selectorELNS0_4arch9wavefront6targetE0EEEvT1_.num_vgpr, 0
	.set _ZN7rocprim17ROCPRIM_400000_NS6detail17trampoline_kernelINS0_14default_configENS1_25transform_config_selectorIdLb1EEEZNS1_14transform_implILb1ES3_S5_PdS7_NS0_8identityIdEEEE10hipError_tT2_T3_mT4_P12ihipStream_tbEUlT_E_NS1_11comp_targetILNS1_3genE9ELNS1_11target_archE1100ELNS1_3gpuE3ELNS1_3repE0EEENS1_30default_config_static_selectorELNS0_4arch9wavefront6targetE0EEEvT1_.num_agpr, 0
	.set _ZN7rocprim17ROCPRIM_400000_NS6detail17trampoline_kernelINS0_14default_configENS1_25transform_config_selectorIdLb1EEEZNS1_14transform_implILb1ES3_S5_PdS7_NS0_8identityIdEEEE10hipError_tT2_T3_mT4_P12ihipStream_tbEUlT_E_NS1_11comp_targetILNS1_3genE9ELNS1_11target_archE1100ELNS1_3gpuE3ELNS1_3repE0EEENS1_30default_config_static_selectorELNS0_4arch9wavefront6targetE0EEEvT1_.numbered_sgpr, 0
	.set _ZN7rocprim17ROCPRIM_400000_NS6detail17trampoline_kernelINS0_14default_configENS1_25transform_config_selectorIdLb1EEEZNS1_14transform_implILb1ES3_S5_PdS7_NS0_8identityIdEEEE10hipError_tT2_T3_mT4_P12ihipStream_tbEUlT_E_NS1_11comp_targetILNS1_3genE9ELNS1_11target_archE1100ELNS1_3gpuE3ELNS1_3repE0EEENS1_30default_config_static_selectorELNS0_4arch9wavefront6targetE0EEEvT1_.num_named_barrier, 0
	.set _ZN7rocprim17ROCPRIM_400000_NS6detail17trampoline_kernelINS0_14default_configENS1_25transform_config_selectorIdLb1EEEZNS1_14transform_implILb1ES3_S5_PdS7_NS0_8identityIdEEEE10hipError_tT2_T3_mT4_P12ihipStream_tbEUlT_E_NS1_11comp_targetILNS1_3genE9ELNS1_11target_archE1100ELNS1_3gpuE3ELNS1_3repE0EEENS1_30default_config_static_selectorELNS0_4arch9wavefront6targetE0EEEvT1_.private_seg_size, 0
	.set _ZN7rocprim17ROCPRIM_400000_NS6detail17trampoline_kernelINS0_14default_configENS1_25transform_config_selectorIdLb1EEEZNS1_14transform_implILb1ES3_S5_PdS7_NS0_8identityIdEEEE10hipError_tT2_T3_mT4_P12ihipStream_tbEUlT_E_NS1_11comp_targetILNS1_3genE9ELNS1_11target_archE1100ELNS1_3gpuE3ELNS1_3repE0EEENS1_30default_config_static_selectorELNS0_4arch9wavefront6targetE0EEEvT1_.uses_vcc, 0
	.set _ZN7rocprim17ROCPRIM_400000_NS6detail17trampoline_kernelINS0_14default_configENS1_25transform_config_selectorIdLb1EEEZNS1_14transform_implILb1ES3_S5_PdS7_NS0_8identityIdEEEE10hipError_tT2_T3_mT4_P12ihipStream_tbEUlT_E_NS1_11comp_targetILNS1_3genE9ELNS1_11target_archE1100ELNS1_3gpuE3ELNS1_3repE0EEENS1_30default_config_static_selectorELNS0_4arch9wavefront6targetE0EEEvT1_.uses_flat_scratch, 0
	.set _ZN7rocprim17ROCPRIM_400000_NS6detail17trampoline_kernelINS0_14default_configENS1_25transform_config_selectorIdLb1EEEZNS1_14transform_implILb1ES3_S5_PdS7_NS0_8identityIdEEEE10hipError_tT2_T3_mT4_P12ihipStream_tbEUlT_E_NS1_11comp_targetILNS1_3genE9ELNS1_11target_archE1100ELNS1_3gpuE3ELNS1_3repE0EEENS1_30default_config_static_selectorELNS0_4arch9wavefront6targetE0EEEvT1_.has_dyn_sized_stack, 0
	.set _ZN7rocprim17ROCPRIM_400000_NS6detail17trampoline_kernelINS0_14default_configENS1_25transform_config_selectorIdLb1EEEZNS1_14transform_implILb1ES3_S5_PdS7_NS0_8identityIdEEEE10hipError_tT2_T3_mT4_P12ihipStream_tbEUlT_E_NS1_11comp_targetILNS1_3genE9ELNS1_11target_archE1100ELNS1_3gpuE3ELNS1_3repE0EEENS1_30default_config_static_selectorELNS0_4arch9wavefront6targetE0EEEvT1_.has_recursion, 0
	.set _ZN7rocprim17ROCPRIM_400000_NS6detail17trampoline_kernelINS0_14default_configENS1_25transform_config_selectorIdLb1EEEZNS1_14transform_implILb1ES3_S5_PdS7_NS0_8identityIdEEEE10hipError_tT2_T3_mT4_P12ihipStream_tbEUlT_E_NS1_11comp_targetILNS1_3genE9ELNS1_11target_archE1100ELNS1_3gpuE3ELNS1_3repE0EEENS1_30default_config_static_selectorELNS0_4arch9wavefront6targetE0EEEvT1_.has_indirect_call, 0
	.section	.AMDGPU.csdata,"",@progbits
; Kernel info:
; codeLenInByte = 0
; TotalNumSgprs: 0
; NumVgprs: 0
; ScratchSize: 0
; MemoryBound: 0
; FloatMode: 240
; IeeeMode: 1
; LDSByteSize: 0 bytes/workgroup (compile time only)
; SGPRBlocks: 0
; VGPRBlocks: 0
; NumSGPRsForWavesPerEU: 1
; NumVGPRsForWavesPerEU: 1
; NamedBarCnt: 0
; Occupancy: 16
; WaveLimiterHint : 0
; COMPUTE_PGM_RSRC2:SCRATCH_EN: 0
; COMPUTE_PGM_RSRC2:USER_SGPR: 2
; COMPUTE_PGM_RSRC2:TRAP_HANDLER: 0
; COMPUTE_PGM_RSRC2:TGID_X_EN: 1
; COMPUTE_PGM_RSRC2:TGID_Y_EN: 0
; COMPUTE_PGM_RSRC2:TGID_Z_EN: 0
; COMPUTE_PGM_RSRC2:TIDIG_COMP_CNT: 0
	.section	.text._ZN7rocprim17ROCPRIM_400000_NS6detail17trampoline_kernelINS0_14default_configENS1_25transform_config_selectorIdLb1EEEZNS1_14transform_implILb1ES3_S5_PdS7_NS0_8identityIdEEEE10hipError_tT2_T3_mT4_P12ihipStream_tbEUlT_E_NS1_11comp_targetILNS1_3genE8ELNS1_11target_archE1030ELNS1_3gpuE2ELNS1_3repE0EEENS1_30default_config_static_selectorELNS0_4arch9wavefront6targetE0EEEvT1_,"axG",@progbits,_ZN7rocprim17ROCPRIM_400000_NS6detail17trampoline_kernelINS0_14default_configENS1_25transform_config_selectorIdLb1EEEZNS1_14transform_implILb1ES3_S5_PdS7_NS0_8identityIdEEEE10hipError_tT2_T3_mT4_P12ihipStream_tbEUlT_E_NS1_11comp_targetILNS1_3genE8ELNS1_11target_archE1030ELNS1_3gpuE2ELNS1_3repE0EEENS1_30default_config_static_selectorELNS0_4arch9wavefront6targetE0EEEvT1_,comdat
	.protected	_ZN7rocprim17ROCPRIM_400000_NS6detail17trampoline_kernelINS0_14default_configENS1_25transform_config_selectorIdLb1EEEZNS1_14transform_implILb1ES3_S5_PdS7_NS0_8identityIdEEEE10hipError_tT2_T3_mT4_P12ihipStream_tbEUlT_E_NS1_11comp_targetILNS1_3genE8ELNS1_11target_archE1030ELNS1_3gpuE2ELNS1_3repE0EEENS1_30default_config_static_selectorELNS0_4arch9wavefront6targetE0EEEvT1_ ; -- Begin function _ZN7rocprim17ROCPRIM_400000_NS6detail17trampoline_kernelINS0_14default_configENS1_25transform_config_selectorIdLb1EEEZNS1_14transform_implILb1ES3_S5_PdS7_NS0_8identityIdEEEE10hipError_tT2_T3_mT4_P12ihipStream_tbEUlT_E_NS1_11comp_targetILNS1_3genE8ELNS1_11target_archE1030ELNS1_3gpuE2ELNS1_3repE0EEENS1_30default_config_static_selectorELNS0_4arch9wavefront6targetE0EEEvT1_
	.globl	_ZN7rocprim17ROCPRIM_400000_NS6detail17trampoline_kernelINS0_14default_configENS1_25transform_config_selectorIdLb1EEEZNS1_14transform_implILb1ES3_S5_PdS7_NS0_8identityIdEEEE10hipError_tT2_T3_mT4_P12ihipStream_tbEUlT_E_NS1_11comp_targetILNS1_3genE8ELNS1_11target_archE1030ELNS1_3gpuE2ELNS1_3repE0EEENS1_30default_config_static_selectorELNS0_4arch9wavefront6targetE0EEEvT1_
	.p2align	8
	.type	_ZN7rocprim17ROCPRIM_400000_NS6detail17trampoline_kernelINS0_14default_configENS1_25transform_config_selectorIdLb1EEEZNS1_14transform_implILb1ES3_S5_PdS7_NS0_8identityIdEEEE10hipError_tT2_T3_mT4_P12ihipStream_tbEUlT_E_NS1_11comp_targetILNS1_3genE8ELNS1_11target_archE1030ELNS1_3gpuE2ELNS1_3repE0EEENS1_30default_config_static_selectorELNS0_4arch9wavefront6targetE0EEEvT1_,@function
_ZN7rocprim17ROCPRIM_400000_NS6detail17trampoline_kernelINS0_14default_configENS1_25transform_config_selectorIdLb1EEEZNS1_14transform_implILb1ES3_S5_PdS7_NS0_8identityIdEEEE10hipError_tT2_T3_mT4_P12ihipStream_tbEUlT_E_NS1_11comp_targetILNS1_3genE8ELNS1_11target_archE1030ELNS1_3gpuE2ELNS1_3repE0EEENS1_30default_config_static_selectorELNS0_4arch9wavefront6targetE0EEEvT1_: ; @_ZN7rocprim17ROCPRIM_400000_NS6detail17trampoline_kernelINS0_14default_configENS1_25transform_config_selectorIdLb1EEEZNS1_14transform_implILb1ES3_S5_PdS7_NS0_8identityIdEEEE10hipError_tT2_T3_mT4_P12ihipStream_tbEUlT_E_NS1_11comp_targetILNS1_3genE8ELNS1_11target_archE1030ELNS1_3gpuE2ELNS1_3repE0EEENS1_30default_config_static_selectorELNS0_4arch9wavefront6targetE0EEEvT1_
; %bb.0:
	.section	.rodata,"a",@progbits
	.p2align	6, 0x0
	.amdhsa_kernel _ZN7rocprim17ROCPRIM_400000_NS6detail17trampoline_kernelINS0_14default_configENS1_25transform_config_selectorIdLb1EEEZNS1_14transform_implILb1ES3_S5_PdS7_NS0_8identityIdEEEE10hipError_tT2_T3_mT4_P12ihipStream_tbEUlT_E_NS1_11comp_targetILNS1_3genE8ELNS1_11target_archE1030ELNS1_3gpuE2ELNS1_3repE0EEENS1_30default_config_static_selectorELNS0_4arch9wavefront6targetE0EEEvT1_
		.amdhsa_group_segment_fixed_size 0
		.amdhsa_private_segment_fixed_size 0
		.amdhsa_kernarg_size 40
		.amdhsa_user_sgpr_count 2
		.amdhsa_user_sgpr_dispatch_ptr 0
		.amdhsa_user_sgpr_queue_ptr 0
		.amdhsa_user_sgpr_kernarg_segment_ptr 1
		.amdhsa_user_sgpr_dispatch_id 0
		.amdhsa_user_sgpr_kernarg_preload_length 0
		.amdhsa_user_sgpr_kernarg_preload_offset 0
		.amdhsa_user_sgpr_private_segment_size 0
		.amdhsa_wavefront_size32 1
		.amdhsa_uses_dynamic_stack 0
		.amdhsa_enable_private_segment 0
		.amdhsa_system_sgpr_workgroup_id_x 1
		.amdhsa_system_sgpr_workgroup_id_y 0
		.amdhsa_system_sgpr_workgroup_id_z 0
		.amdhsa_system_sgpr_workgroup_info 0
		.amdhsa_system_vgpr_workitem_id 0
		.amdhsa_next_free_vgpr 1
		.amdhsa_next_free_sgpr 1
		.amdhsa_named_barrier_count 0
		.amdhsa_reserve_vcc 0
		.amdhsa_float_round_mode_32 0
		.amdhsa_float_round_mode_16_64 0
		.amdhsa_float_denorm_mode_32 3
		.amdhsa_float_denorm_mode_16_64 3
		.amdhsa_fp16_overflow 0
		.amdhsa_memory_ordered 1
		.amdhsa_forward_progress 1
		.amdhsa_inst_pref_size 0
		.amdhsa_round_robin_scheduling 0
		.amdhsa_exception_fp_ieee_invalid_op 0
		.amdhsa_exception_fp_denorm_src 0
		.amdhsa_exception_fp_ieee_div_zero 0
		.amdhsa_exception_fp_ieee_overflow 0
		.amdhsa_exception_fp_ieee_underflow 0
		.amdhsa_exception_fp_ieee_inexact 0
		.amdhsa_exception_int_div_zero 0
	.end_amdhsa_kernel
	.section	.text._ZN7rocprim17ROCPRIM_400000_NS6detail17trampoline_kernelINS0_14default_configENS1_25transform_config_selectorIdLb1EEEZNS1_14transform_implILb1ES3_S5_PdS7_NS0_8identityIdEEEE10hipError_tT2_T3_mT4_P12ihipStream_tbEUlT_E_NS1_11comp_targetILNS1_3genE8ELNS1_11target_archE1030ELNS1_3gpuE2ELNS1_3repE0EEENS1_30default_config_static_selectorELNS0_4arch9wavefront6targetE0EEEvT1_,"axG",@progbits,_ZN7rocprim17ROCPRIM_400000_NS6detail17trampoline_kernelINS0_14default_configENS1_25transform_config_selectorIdLb1EEEZNS1_14transform_implILb1ES3_S5_PdS7_NS0_8identityIdEEEE10hipError_tT2_T3_mT4_P12ihipStream_tbEUlT_E_NS1_11comp_targetILNS1_3genE8ELNS1_11target_archE1030ELNS1_3gpuE2ELNS1_3repE0EEENS1_30default_config_static_selectorELNS0_4arch9wavefront6targetE0EEEvT1_,comdat
.Lfunc_end1491:
	.size	_ZN7rocprim17ROCPRIM_400000_NS6detail17trampoline_kernelINS0_14default_configENS1_25transform_config_selectorIdLb1EEEZNS1_14transform_implILb1ES3_S5_PdS7_NS0_8identityIdEEEE10hipError_tT2_T3_mT4_P12ihipStream_tbEUlT_E_NS1_11comp_targetILNS1_3genE8ELNS1_11target_archE1030ELNS1_3gpuE2ELNS1_3repE0EEENS1_30default_config_static_selectorELNS0_4arch9wavefront6targetE0EEEvT1_, .Lfunc_end1491-_ZN7rocprim17ROCPRIM_400000_NS6detail17trampoline_kernelINS0_14default_configENS1_25transform_config_selectorIdLb1EEEZNS1_14transform_implILb1ES3_S5_PdS7_NS0_8identityIdEEEE10hipError_tT2_T3_mT4_P12ihipStream_tbEUlT_E_NS1_11comp_targetILNS1_3genE8ELNS1_11target_archE1030ELNS1_3gpuE2ELNS1_3repE0EEENS1_30default_config_static_selectorELNS0_4arch9wavefront6targetE0EEEvT1_
                                        ; -- End function
	.set _ZN7rocprim17ROCPRIM_400000_NS6detail17trampoline_kernelINS0_14default_configENS1_25transform_config_selectorIdLb1EEEZNS1_14transform_implILb1ES3_S5_PdS7_NS0_8identityIdEEEE10hipError_tT2_T3_mT4_P12ihipStream_tbEUlT_E_NS1_11comp_targetILNS1_3genE8ELNS1_11target_archE1030ELNS1_3gpuE2ELNS1_3repE0EEENS1_30default_config_static_selectorELNS0_4arch9wavefront6targetE0EEEvT1_.num_vgpr, 0
	.set _ZN7rocprim17ROCPRIM_400000_NS6detail17trampoline_kernelINS0_14default_configENS1_25transform_config_selectorIdLb1EEEZNS1_14transform_implILb1ES3_S5_PdS7_NS0_8identityIdEEEE10hipError_tT2_T3_mT4_P12ihipStream_tbEUlT_E_NS1_11comp_targetILNS1_3genE8ELNS1_11target_archE1030ELNS1_3gpuE2ELNS1_3repE0EEENS1_30default_config_static_selectorELNS0_4arch9wavefront6targetE0EEEvT1_.num_agpr, 0
	.set _ZN7rocprim17ROCPRIM_400000_NS6detail17trampoline_kernelINS0_14default_configENS1_25transform_config_selectorIdLb1EEEZNS1_14transform_implILb1ES3_S5_PdS7_NS0_8identityIdEEEE10hipError_tT2_T3_mT4_P12ihipStream_tbEUlT_E_NS1_11comp_targetILNS1_3genE8ELNS1_11target_archE1030ELNS1_3gpuE2ELNS1_3repE0EEENS1_30default_config_static_selectorELNS0_4arch9wavefront6targetE0EEEvT1_.numbered_sgpr, 0
	.set _ZN7rocprim17ROCPRIM_400000_NS6detail17trampoline_kernelINS0_14default_configENS1_25transform_config_selectorIdLb1EEEZNS1_14transform_implILb1ES3_S5_PdS7_NS0_8identityIdEEEE10hipError_tT2_T3_mT4_P12ihipStream_tbEUlT_E_NS1_11comp_targetILNS1_3genE8ELNS1_11target_archE1030ELNS1_3gpuE2ELNS1_3repE0EEENS1_30default_config_static_selectorELNS0_4arch9wavefront6targetE0EEEvT1_.num_named_barrier, 0
	.set _ZN7rocprim17ROCPRIM_400000_NS6detail17trampoline_kernelINS0_14default_configENS1_25transform_config_selectorIdLb1EEEZNS1_14transform_implILb1ES3_S5_PdS7_NS0_8identityIdEEEE10hipError_tT2_T3_mT4_P12ihipStream_tbEUlT_E_NS1_11comp_targetILNS1_3genE8ELNS1_11target_archE1030ELNS1_3gpuE2ELNS1_3repE0EEENS1_30default_config_static_selectorELNS0_4arch9wavefront6targetE0EEEvT1_.private_seg_size, 0
	.set _ZN7rocprim17ROCPRIM_400000_NS6detail17trampoline_kernelINS0_14default_configENS1_25transform_config_selectorIdLb1EEEZNS1_14transform_implILb1ES3_S5_PdS7_NS0_8identityIdEEEE10hipError_tT2_T3_mT4_P12ihipStream_tbEUlT_E_NS1_11comp_targetILNS1_3genE8ELNS1_11target_archE1030ELNS1_3gpuE2ELNS1_3repE0EEENS1_30default_config_static_selectorELNS0_4arch9wavefront6targetE0EEEvT1_.uses_vcc, 0
	.set _ZN7rocprim17ROCPRIM_400000_NS6detail17trampoline_kernelINS0_14default_configENS1_25transform_config_selectorIdLb1EEEZNS1_14transform_implILb1ES3_S5_PdS7_NS0_8identityIdEEEE10hipError_tT2_T3_mT4_P12ihipStream_tbEUlT_E_NS1_11comp_targetILNS1_3genE8ELNS1_11target_archE1030ELNS1_3gpuE2ELNS1_3repE0EEENS1_30default_config_static_selectorELNS0_4arch9wavefront6targetE0EEEvT1_.uses_flat_scratch, 0
	.set _ZN7rocprim17ROCPRIM_400000_NS6detail17trampoline_kernelINS0_14default_configENS1_25transform_config_selectorIdLb1EEEZNS1_14transform_implILb1ES3_S5_PdS7_NS0_8identityIdEEEE10hipError_tT2_T3_mT4_P12ihipStream_tbEUlT_E_NS1_11comp_targetILNS1_3genE8ELNS1_11target_archE1030ELNS1_3gpuE2ELNS1_3repE0EEENS1_30default_config_static_selectorELNS0_4arch9wavefront6targetE0EEEvT1_.has_dyn_sized_stack, 0
	.set _ZN7rocprim17ROCPRIM_400000_NS6detail17trampoline_kernelINS0_14default_configENS1_25transform_config_selectorIdLb1EEEZNS1_14transform_implILb1ES3_S5_PdS7_NS0_8identityIdEEEE10hipError_tT2_T3_mT4_P12ihipStream_tbEUlT_E_NS1_11comp_targetILNS1_3genE8ELNS1_11target_archE1030ELNS1_3gpuE2ELNS1_3repE0EEENS1_30default_config_static_selectorELNS0_4arch9wavefront6targetE0EEEvT1_.has_recursion, 0
	.set _ZN7rocprim17ROCPRIM_400000_NS6detail17trampoline_kernelINS0_14default_configENS1_25transform_config_selectorIdLb1EEEZNS1_14transform_implILb1ES3_S5_PdS7_NS0_8identityIdEEEE10hipError_tT2_T3_mT4_P12ihipStream_tbEUlT_E_NS1_11comp_targetILNS1_3genE8ELNS1_11target_archE1030ELNS1_3gpuE2ELNS1_3repE0EEENS1_30default_config_static_selectorELNS0_4arch9wavefront6targetE0EEEvT1_.has_indirect_call, 0
	.section	.AMDGPU.csdata,"",@progbits
; Kernel info:
; codeLenInByte = 0
; TotalNumSgprs: 0
; NumVgprs: 0
; ScratchSize: 0
; MemoryBound: 0
; FloatMode: 240
; IeeeMode: 1
; LDSByteSize: 0 bytes/workgroup (compile time only)
; SGPRBlocks: 0
; VGPRBlocks: 0
; NumSGPRsForWavesPerEU: 1
; NumVGPRsForWavesPerEU: 1
; NamedBarCnt: 0
; Occupancy: 16
; WaveLimiterHint : 0
; COMPUTE_PGM_RSRC2:SCRATCH_EN: 0
; COMPUTE_PGM_RSRC2:USER_SGPR: 2
; COMPUTE_PGM_RSRC2:TRAP_HANDLER: 0
; COMPUTE_PGM_RSRC2:TGID_X_EN: 1
; COMPUTE_PGM_RSRC2:TGID_Y_EN: 0
; COMPUTE_PGM_RSRC2:TGID_Z_EN: 0
; COMPUTE_PGM_RSRC2:TIDIG_COMP_CNT: 0
	.section	.text._ZN7rocprim17ROCPRIM_400000_NS6detail17trampoline_kernelINS0_14default_configENS1_35radix_sort_onesweep_config_selectorIdNS0_10empty_typeEEEZNS1_34radix_sort_onesweep_global_offsetsIS3_Lb1EPKdPS5_mNS0_19identity_decomposerEEE10hipError_tT1_T2_PT3_SF_jT4_jjP12ihipStream_tbEUlT_E_NS1_11comp_targetILNS1_3genE0ELNS1_11target_archE4294967295ELNS1_3gpuE0ELNS1_3repE0EEENS1_52radix_sort_onesweep_histogram_config_static_selectorELNS0_4arch9wavefront6targetE0EEEvSD_,"axG",@progbits,_ZN7rocprim17ROCPRIM_400000_NS6detail17trampoline_kernelINS0_14default_configENS1_35radix_sort_onesweep_config_selectorIdNS0_10empty_typeEEEZNS1_34radix_sort_onesweep_global_offsetsIS3_Lb1EPKdPS5_mNS0_19identity_decomposerEEE10hipError_tT1_T2_PT3_SF_jT4_jjP12ihipStream_tbEUlT_E_NS1_11comp_targetILNS1_3genE0ELNS1_11target_archE4294967295ELNS1_3gpuE0ELNS1_3repE0EEENS1_52radix_sort_onesweep_histogram_config_static_selectorELNS0_4arch9wavefront6targetE0EEEvSD_,comdat
	.protected	_ZN7rocprim17ROCPRIM_400000_NS6detail17trampoline_kernelINS0_14default_configENS1_35radix_sort_onesweep_config_selectorIdNS0_10empty_typeEEEZNS1_34radix_sort_onesweep_global_offsetsIS3_Lb1EPKdPS5_mNS0_19identity_decomposerEEE10hipError_tT1_T2_PT3_SF_jT4_jjP12ihipStream_tbEUlT_E_NS1_11comp_targetILNS1_3genE0ELNS1_11target_archE4294967295ELNS1_3gpuE0ELNS1_3repE0EEENS1_52radix_sort_onesweep_histogram_config_static_selectorELNS0_4arch9wavefront6targetE0EEEvSD_ ; -- Begin function _ZN7rocprim17ROCPRIM_400000_NS6detail17trampoline_kernelINS0_14default_configENS1_35radix_sort_onesweep_config_selectorIdNS0_10empty_typeEEEZNS1_34radix_sort_onesweep_global_offsetsIS3_Lb1EPKdPS5_mNS0_19identity_decomposerEEE10hipError_tT1_T2_PT3_SF_jT4_jjP12ihipStream_tbEUlT_E_NS1_11comp_targetILNS1_3genE0ELNS1_11target_archE4294967295ELNS1_3gpuE0ELNS1_3repE0EEENS1_52radix_sort_onesweep_histogram_config_static_selectorELNS0_4arch9wavefront6targetE0EEEvSD_
	.globl	_ZN7rocprim17ROCPRIM_400000_NS6detail17trampoline_kernelINS0_14default_configENS1_35radix_sort_onesweep_config_selectorIdNS0_10empty_typeEEEZNS1_34radix_sort_onesweep_global_offsetsIS3_Lb1EPKdPS5_mNS0_19identity_decomposerEEE10hipError_tT1_T2_PT3_SF_jT4_jjP12ihipStream_tbEUlT_E_NS1_11comp_targetILNS1_3genE0ELNS1_11target_archE4294967295ELNS1_3gpuE0ELNS1_3repE0EEENS1_52radix_sort_onesweep_histogram_config_static_selectorELNS0_4arch9wavefront6targetE0EEEvSD_
	.p2align	8
	.type	_ZN7rocprim17ROCPRIM_400000_NS6detail17trampoline_kernelINS0_14default_configENS1_35radix_sort_onesweep_config_selectorIdNS0_10empty_typeEEEZNS1_34radix_sort_onesweep_global_offsetsIS3_Lb1EPKdPS5_mNS0_19identity_decomposerEEE10hipError_tT1_T2_PT3_SF_jT4_jjP12ihipStream_tbEUlT_E_NS1_11comp_targetILNS1_3genE0ELNS1_11target_archE4294967295ELNS1_3gpuE0ELNS1_3repE0EEENS1_52radix_sort_onesweep_histogram_config_static_selectorELNS0_4arch9wavefront6targetE0EEEvSD_,@function
_ZN7rocprim17ROCPRIM_400000_NS6detail17trampoline_kernelINS0_14default_configENS1_35radix_sort_onesweep_config_selectorIdNS0_10empty_typeEEEZNS1_34radix_sort_onesweep_global_offsetsIS3_Lb1EPKdPS5_mNS0_19identity_decomposerEEE10hipError_tT1_T2_PT3_SF_jT4_jjP12ihipStream_tbEUlT_E_NS1_11comp_targetILNS1_3genE0ELNS1_11target_archE4294967295ELNS1_3gpuE0ELNS1_3repE0EEENS1_52radix_sort_onesweep_histogram_config_static_selectorELNS0_4arch9wavefront6targetE0EEEvSD_: ; @_ZN7rocprim17ROCPRIM_400000_NS6detail17trampoline_kernelINS0_14default_configENS1_35radix_sort_onesweep_config_selectorIdNS0_10empty_typeEEEZNS1_34radix_sort_onesweep_global_offsetsIS3_Lb1EPKdPS5_mNS0_19identity_decomposerEEE10hipError_tT1_T2_PT3_SF_jT4_jjP12ihipStream_tbEUlT_E_NS1_11comp_targetILNS1_3genE0ELNS1_11target_archE4294967295ELNS1_3gpuE0ELNS1_3repE0EEENS1_52radix_sort_onesweep_histogram_config_static_selectorELNS0_4arch9wavefront6targetE0EEEvSD_
; %bb.0:
	s_clause 0x1
	s_load_b64 s[8:9], s[0:1], 0x18
	s_load_b128 s[4:7], s[0:1], 0x0
	s_bfe_u32 s10, ttmp6, 0x4000c
	s_load_b64 s[2:3], s[0:1], 0x24
	s_add_co_i32 s10, s10, 1
	s_and_b32 s11, ttmp6, 15
	s_mul_i32 s10, ttmp9, s10
	s_getreg_b32 s12, hwreg(HW_REG_IB_STS2, 6, 4)
	s_add_co_i32 s10, s11, s10
	s_cmp_eq_u32 s12, 0
	s_mov_b32 s11, 0
	s_cselect_b32 s10, ttmp9, s10
	s_wait_kmcnt 0x0
	v_cmp_le_u64_e64 s9, s[8:9], s[10:11]
	s_lshl_b64 s[10:11], s[10:11], 15
	s_delay_alu instid0(SALU_CYCLE_1)
	s_add_nc_u64 s[4:5], s[4:5], s[10:11]
	s_and_b32 vcc_lo, exec_lo, s9
	s_mov_b32 s9, -1
	s_cbranch_vccz .LBB1492_321
; %bb.1:
	s_load_b32 s0, s[0:1], 0x10
	s_wait_xcnt 0x0
	s_lshl_b32 s1, s8, 12
                                        ; implicit-def: $vgpr16_vgpr17
	s_wait_kmcnt 0x0
	s_sub_co_i32 s1, s0, s1
	s_mov_b32 s0, exec_lo
	v_cmpx_gt_u32_e64 s1, v0
	s_cbranch_execz .LBB1492_3
; %bb.2:
	global_load_b64 v[16:17], v0, s[4:5] scale_offset
.LBB1492_3:
	s_wait_xcnt 0x0
	s_or_b32 exec_lo, exec_lo, s0
	v_or_b32_e32 v24, 0x200, v0
	s_mov_b32 s0, exec_lo
                                        ; implicit-def: $vgpr14_vgpr15
	s_delay_alu instid0(VALU_DEP_1)
	v_cmpx_gt_u32_e64 s1, v24
	s_cbranch_execz .LBB1492_5
; %bb.4:
	global_load_b64 v[14:15], v0, s[4:5] offset:4096 scale_offset
.LBB1492_5:
	s_wait_xcnt 0x0
	s_or_b32 exec_lo, exec_lo, s0
	v_or_b32_e32 v23, 0x400, v0
	s_mov_b32 s0, exec_lo
                                        ; implicit-def: $vgpr12_vgpr13
	s_delay_alu instid0(VALU_DEP_1)
	v_cmpx_gt_u32_e64 s1, v23
	s_cbranch_execz .LBB1492_7
; %bb.6:
	global_load_b64 v[12:13], v0, s[4:5] offset:8192 scale_offset
.LBB1492_7:
	s_wait_xcnt 0x0
	s_or_b32 exec_lo, exec_lo, s0
	v_or_b32_e32 v22, 0x600, v0
	s_mov_b32 s0, exec_lo
                                        ; implicit-def: $vgpr10_vgpr11
	s_delay_alu instid0(VALU_DEP_1)
	v_cmpx_gt_u32_e64 s1, v22
	s_cbranch_execz .LBB1492_9
; %bb.8:
	global_load_b64 v[10:11], v0, s[4:5] offset:12288 scale_offset
.LBB1492_9:
	s_wait_xcnt 0x0
	s_or_b32 exec_lo, exec_lo, s0
	v_or_b32_e32 v21, 0x800, v0
	s_mov_b32 s0, exec_lo
                                        ; implicit-def: $vgpr8_vgpr9
	s_delay_alu instid0(VALU_DEP_1)
	v_cmpx_gt_u32_e64 s1, v21
	s_cbranch_execz .LBB1492_11
; %bb.10:
	global_load_b64 v[8:9], v0, s[4:5] offset:16384 scale_offset
.LBB1492_11:
	s_wait_xcnt 0x0
	s_or_b32 exec_lo, exec_lo, s0
	v_or_b32_e32 v20, 0xa00, v0
	s_mov_b32 s0, exec_lo
                                        ; implicit-def: $vgpr6_vgpr7
	s_delay_alu instid0(VALU_DEP_1)
	v_cmpx_gt_u32_e64 s1, v20
	s_cbranch_execz .LBB1492_13
; %bb.12:
	global_load_b64 v[6:7], v0, s[4:5] offset:20480 scale_offset
.LBB1492_13:
	s_wait_xcnt 0x0
	s_or_b32 exec_lo, exec_lo, s0
	v_or_b32_e32 v19, 0xc00, v0
	s_mov_b32 s0, exec_lo
                                        ; implicit-def: $vgpr4_vgpr5
	s_delay_alu instid0(VALU_DEP_1)
	v_cmpx_gt_u32_e64 s1, v19
	s_cbranch_execz .LBB1492_15
; %bb.14:
	global_load_b64 v[4:5], v0, s[4:5] offset:24576 scale_offset
.LBB1492_15:
	s_wait_xcnt 0x0
	s_or_b32 exec_lo, exec_lo, s0
	v_or_b32_e32 v18, 0xe00, v0
	s_mov_b32 s0, exec_lo
                                        ; implicit-def: $vgpr2_vgpr3
	s_delay_alu instid0(VALU_DEP_1)
	v_cmpx_gt_u32_e64 s1, v18
	s_cbranch_execz .LBB1492_17
; %bb.16:
	global_load_b64 v[2:3], v0, s[4:5] offset:28672 scale_offset
.LBB1492_17:
	s_wait_xcnt 0x0
	s_or_b32 exec_lo, exec_lo, s0
	v_or_b32_e32 v1, 0xfffffe00, v0
	v_dual_mov_b32 v26, 0 :: v_dual_lshlrev_b32 v25, 2, v0
	s_mov_b32 s0, 0
.LBB1492_18:                            ; =>This Inner Loop Header: Depth=1
	s_delay_alu instid0(VALU_DEP_2) | instskip(SKIP_4) | instid1(SALU_CYCLE_1)
	v_add_nc_u32_e32 v1, 0x200, v1
	ds_store_b32 v25, v26
	v_add_nc_u32_e32 v25, 0x800, v25
	v_cmp_lt_u32_e32 vcc_lo, 0x1dff, v1
	s_or_b32 s0, vcc_lo, s0
	s_and_not1_b32 exec_lo, exec_lo, s0
	s_cbranch_execnz .LBB1492_18
; %bb.19:
	s_or_b32 exec_lo, exec_lo, s0
	s_wait_loadcnt 0x0
	v_cmp_gt_i64_e32 vcc_lo, 0, v[16:17]
	v_dual_ashrrev_i32 v25, 31, v17 :: v_dual_bitop2_b32 v1, 3, v0 bitop3:0x40
	s_cmp_le_u32 s3, s2
	s_wait_dscnt 0x0
	s_cselect_b32 s8, -1, 0
	s_delay_alu instid0(VALU_DEP_1)
	v_not_b32_e32 v25, v25
	v_cndmask_b32_e64 v26, 0x7fffffff, 0, vcc_lo
	s_and_b32 s0, s8, exec_lo
	v_cmp_le_u32_e32 vcc_lo, s1, v0
	s_cselect_b32 s9, 8, 10
	v_xor_b32_e32 v16, v25, v16
	v_dual_mov_b32 v25, s9 :: v_dual_bitop2_b32 v17, v26, v17 bitop3:0x14
	s_nor_b32 s0, s8, vcc_lo
	s_barrier_signal -1
	s_barrier_wait -1
	s_and_saveexec_b32 s10, s0
	s_cbranch_execz .LBB1492_21
; %bb.20:
	s_mov_b64 s[12:13], 0x8000000000000000
	v_lshlrev_b32_e32 v25, 2, v1
	v_cmp_ne_u64_e64 s0, s[12:13], v[16:17]
	s_delay_alu instid0(VALU_DEP_1) | instskip(SKIP_2) | instid1(SALU_CYCLE_1)
	v_cndmask_b32_e64 v27, 0x7fffffff, v17, s0
	v_cndmask_b32_e64 v26, -1, v16, s0
	s_sub_co_i32 s0, s3, s2
	s_min_u32 s0, s0, 8
	s_delay_alu instid0(VALU_DEP_1) | instskip(NEXT) | instid1(VALU_DEP_1)
	v_lshrrev_b64 v[26:27], s2, v[26:27]
	v_bfe_u32 v26, v26, 0, s0
	s_delay_alu instid0(VALU_DEP_1)
	v_lshl_or_b32 v25, v26, 4, v25
	v_mov_b32_e32 v26, 1
	ds_add_u32 v25, v26
	v_mov_b32_e32 v25, 0
.LBB1492_21:
	s_or_b32 exec_lo, exec_lo, s10
	s_mov_b32 s11, -1
	s_mov_b32 s10, exec_lo
	s_delay_alu instid0(VALU_DEP_1)
	v_cmpx_gt_i32_e32 10, v25
; %bb.22:
	v_cmp_eq_u32_e64 s0, 0, v25
	s_or_not1_b32 s11, s0, exec_lo
; %bb.23:
	s_or_b32 exec_lo, exec_lo, s10
	s_and_saveexec_b32 s10, s11
	s_cbranch_execz .LBB1492_56
; %bb.24:
	s_add_co_i32 s12, s2, 8
	s_delay_alu instid0(SALU_CYCLE_1) | instskip(SKIP_1) | instid1(SALU_CYCLE_1)
	s_cmp_le_u32 s3, s12
	s_cselect_b32 s0, -1, 0
	s_and_b32 s11, s0, exec_lo
	s_cselect_b32 s11, 8, 10
	s_nor_b32 s0, s0, vcc_lo
	v_mov_b32_e32 v25, s11
	s_and_saveexec_b32 s11, s0
	s_cbranch_execz .LBB1492_26
; %bb.25:
	s_mov_b64 s[14:15], 0x8000000000000000
	v_lshlrev_b32_e32 v25, 2, v1
	v_cmp_ne_u64_e64 s0, s[14:15], v[16:17]
	s_delay_alu instid0(VALU_DEP_1) | instskip(SKIP_2) | instid1(SALU_CYCLE_1)
	v_cndmask_b32_e64 v27, 0x7fffffff, v17, s0
	v_cndmask_b32_e64 v26, -1, v16, s0
	s_sub_co_i32 s0, s3, s12
	s_min_u32 s0, s0, 8
	s_delay_alu instid0(VALU_DEP_1) | instskip(NEXT) | instid1(VALU_DEP_1)
	v_lshrrev_b64 v[26:27], s12, v[26:27]
	v_bfe_u32 v26, v26, 0, s0
	s_delay_alu instid0(VALU_DEP_1)
	v_lshl_or_b32 v25, v26, 4, v25
	v_mov_b32_e32 v26, 1
	ds_add_u32 v25, v26 offset:4096
	v_mov_b32_e32 v25, 0
.LBB1492_26:
	s_or_b32 exec_lo, exec_lo, s11
	s_mov_b32 s11, -1
	s_mov_b32 s12, exec_lo
	s_delay_alu instid0(VALU_DEP_1)
	v_cmpx_gt_i32_e32 10, v25
; %bb.27:
	v_cmp_eq_u32_e64 s0, 0, v25
	s_or_not1_b32 s11, s0, exec_lo
; %bb.28:
	s_or_b32 exec_lo, exec_lo, s12
	s_delay_alu instid0(SALU_CYCLE_1)
	s_and_b32 exec_lo, exec_lo, s11
	s_cbranch_execz .LBB1492_56
; %bb.29:
	s_add_co_i32 s12, s2, 16
	s_delay_alu instid0(SALU_CYCLE_1) | instskip(SKIP_1) | instid1(SALU_CYCLE_1)
	s_cmp_le_u32 s3, s12
	s_cselect_b32 s0, -1, 0
	s_and_b32 s11, s0, exec_lo
	s_cselect_b32 s11, 8, 10
	s_nor_b32 s0, s0, vcc_lo
	v_mov_b32_e32 v25, s11
	s_and_saveexec_b32 s11, s0
	s_cbranch_execz .LBB1492_31
; %bb.30:
	s_mov_b64 s[14:15], 0x8000000000000000
	v_lshlrev_b32_e32 v25, 2, v1
	v_cmp_ne_u64_e64 s0, s[14:15], v[16:17]
	s_delay_alu instid0(VALU_DEP_1) | instskip(SKIP_2) | instid1(SALU_CYCLE_1)
	v_cndmask_b32_e64 v27, 0x7fffffff, v17, s0
	v_cndmask_b32_e64 v26, -1, v16, s0
	s_sub_co_i32 s0, s3, s12
	s_min_u32 s0, s0, 8
	s_delay_alu instid0(VALU_DEP_1) | instskip(NEXT) | instid1(VALU_DEP_1)
	v_lshrrev_b64 v[26:27], s12, v[26:27]
	v_bfe_u32 v26, v26, 0, s0
	s_delay_alu instid0(VALU_DEP_1)
	v_lshl_or_b32 v25, v26, 4, v25
	v_mov_b32_e32 v26, 1
	ds_add_u32 v25, v26 offset:8192
	v_mov_b32_e32 v25, 0
.LBB1492_31:
	s_or_b32 exec_lo, exec_lo, s11
	s_mov_b32 s11, -1
	s_mov_b32 s12, exec_lo
	s_delay_alu instid0(VALU_DEP_1)
	v_cmpx_gt_i32_e32 10, v25
; %bb.32:
	v_cmp_eq_u32_e64 s0, 0, v25
	s_or_not1_b32 s11, s0, exec_lo
; %bb.33:
	s_or_b32 exec_lo, exec_lo, s12
	s_delay_alu instid0(SALU_CYCLE_1)
	s_and_b32 exec_lo, exec_lo, s11
	s_cbranch_execz .LBB1492_56
; %bb.34:
	s_add_co_i32 s12, s2, 24
	s_delay_alu instid0(SALU_CYCLE_1) | instskip(SKIP_1) | instid1(SALU_CYCLE_1)
	s_cmp_le_u32 s3, s12
	s_cselect_b32 s0, -1, 0
	s_and_b32 s11, s0, exec_lo
	s_cselect_b32 s11, 8, 10
	s_nor_b32 s0, s0, vcc_lo
	v_mov_b32_e32 v25, s11
	s_and_saveexec_b32 s11, s0
	s_cbranch_execz .LBB1492_36
; %bb.35:
	s_mov_b64 s[14:15], 0x8000000000000000
	v_lshlrev_b32_e32 v25, 2, v1
	v_cmp_ne_u64_e64 s0, s[14:15], v[16:17]
	s_delay_alu instid0(VALU_DEP_1) | instskip(SKIP_2) | instid1(SALU_CYCLE_1)
	v_cndmask_b32_e64 v27, 0x7fffffff, v17, s0
	v_cndmask_b32_e64 v26, -1, v16, s0
	s_sub_co_i32 s0, s3, s12
	s_min_u32 s0, s0, 8
	s_delay_alu instid0(VALU_DEP_1) | instskip(NEXT) | instid1(VALU_DEP_1)
	v_lshrrev_b64 v[26:27], s12, v[26:27]
	v_bfe_u32 v26, v26, 0, s0
	s_delay_alu instid0(VALU_DEP_1)
	v_lshl_or_b32 v25, v26, 4, v25
	v_mov_b32_e32 v26, 1
	ds_add_u32 v25, v26 offset:12288
	v_mov_b32_e32 v25, 0
.LBB1492_36:
	s_or_b32 exec_lo, exec_lo, s11
	s_mov_b32 s11, -1
	s_mov_b32 s12, exec_lo
	s_delay_alu instid0(VALU_DEP_1)
	v_cmpx_gt_i32_e32 10, v25
; %bb.37:
	v_cmp_eq_u32_e64 s0, 0, v25
	s_or_not1_b32 s11, s0, exec_lo
; %bb.38:
	s_or_b32 exec_lo, exec_lo, s12
	s_delay_alu instid0(SALU_CYCLE_1)
	s_and_b32 exec_lo, exec_lo, s11
	s_cbranch_execz .LBB1492_56
; %bb.39:
	s_add_co_i32 s12, s2, 32
	s_delay_alu instid0(SALU_CYCLE_1) | instskip(SKIP_1) | instid1(SALU_CYCLE_1)
	s_cmp_le_u32 s3, s12
	s_cselect_b32 s0, -1, 0
	s_and_b32 s11, s0, exec_lo
	s_cselect_b32 s11, 8, 10
	s_nor_b32 s0, s0, vcc_lo
	v_mov_b32_e32 v25, s11
	s_and_saveexec_b32 s11, s0
	s_cbranch_execz .LBB1492_41
; %bb.40:
	s_mov_b64 s[14:15], 0x8000000000000000
	v_lshlrev_b32_e32 v25, 2, v1
	v_cmp_ne_u64_e64 s0, s[14:15], v[16:17]
	s_delay_alu instid0(VALU_DEP_1) | instskip(SKIP_2) | instid1(SALU_CYCLE_1)
	v_cndmask_b32_e64 v27, 0x7fffffff, v17, s0
	v_cndmask_b32_e64 v26, -1, v16, s0
	s_sub_co_i32 s0, s3, s12
	s_min_u32 s0, s0, 8
	s_delay_alu instid0(VALU_DEP_1) | instskip(NEXT) | instid1(VALU_DEP_1)
	v_lshrrev_b64 v[26:27], s12, v[26:27]
	v_bfe_u32 v26, v26, 0, s0
	s_delay_alu instid0(VALU_DEP_1)
	v_lshl_or_b32 v25, v26, 4, v25
	v_mov_b32_e32 v26, 1
	ds_add_u32 v25, v26 offset:16384
	v_mov_b32_e32 v25, 0
.LBB1492_41:
	s_or_b32 exec_lo, exec_lo, s11
	s_mov_b32 s11, -1
	s_mov_b32 s12, exec_lo
	s_delay_alu instid0(VALU_DEP_1)
	v_cmpx_gt_i32_e32 10, v25
; %bb.42:
	v_cmp_eq_u32_e64 s0, 0, v25
	s_or_not1_b32 s11, s0, exec_lo
; %bb.43:
	s_or_b32 exec_lo, exec_lo, s12
	s_delay_alu instid0(SALU_CYCLE_1)
	s_and_b32 exec_lo, exec_lo, s11
	s_cbranch_execz .LBB1492_56
; %bb.44:
	s_add_co_i32 s12, s2, 40
	s_delay_alu instid0(SALU_CYCLE_1) | instskip(SKIP_1) | instid1(SALU_CYCLE_1)
	s_cmp_le_u32 s3, s12
	s_cselect_b32 s0, -1, 0
	s_and_b32 s11, s0, exec_lo
	s_cselect_b32 s11, 8, 10
	s_nor_b32 s0, s0, vcc_lo
	v_mov_b32_e32 v25, s11
	s_and_saveexec_b32 s11, s0
	s_cbranch_execz .LBB1492_46
; %bb.45:
	s_mov_b64 s[14:15], 0x8000000000000000
	v_lshlrev_b32_e32 v25, 2, v1
	v_cmp_ne_u64_e64 s0, s[14:15], v[16:17]
	s_delay_alu instid0(VALU_DEP_1) | instskip(SKIP_2) | instid1(SALU_CYCLE_1)
	v_cndmask_b32_e64 v27, 0x7fffffff, v17, s0
	v_cndmask_b32_e64 v26, -1, v16, s0
	s_sub_co_i32 s0, s3, s12
	s_min_u32 s0, s0, 8
	s_delay_alu instid0(VALU_DEP_1) | instskip(NEXT) | instid1(VALU_DEP_1)
	v_lshrrev_b64 v[26:27], s12, v[26:27]
	v_bfe_u32 v26, v26, 0, s0
	s_delay_alu instid0(VALU_DEP_1)
	v_lshl_or_b32 v25, v26, 4, v25
	v_mov_b32_e32 v26, 1
	ds_add_u32 v25, v26 offset:20480
	v_mov_b32_e32 v25, 0
.LBB1492_46:
	s_or_b32 exec_lo, exec_lo, s11
	s_mov_b32 s11, -1
	s_mov_b32 s12, exec_lo
	s_delay_alu instid0(VALU_DEP_1)
	v_cmpx_gt_i32_e32 10, v25
; %bb.47:
	v_cmp_eq_u32_e64 s0, 0, v25
	s_or_not1_b32 s11, s0, exec_lo
; %bb.48:
	s_or_b32 exec_lo, exec_lo, s12
	s_delay_alu instid0(SALU_CYCLE_1)
	s_and_b32 exec_lo, exec_lo, s11
	s_cbranch_execz .LBB1492_56
; %bb.49:
	s_add_co_i32 s12, s2, 48
	s_delay_alu instid0(SALU_CYCLE_1) | instskip(SKIP_1) | instid1(SALU_CYCLE_1)
	s_cmp_le_u32 s3, s12
	s_cselect_b32 s0, -1, 0
	s_and_b32 s11, s0, exec_lo
	s_cselect_b32 s11, 8, 10
	s_nor_b32 s0, s0, vcc_lo
	v_mov_b32_e32 v25, s11
	s_and_saveexec_b32 s11, s0
	s_cbranch_execz .LBB1492_51
; %bb.50:
	s_mov_b64 s[14:15], 0x8000000000000000
	v_lshlrev_b32_e32 v25, 2, v1
	v_cmp_ne_u64_e64 s0, s[14:15], v[16:17]
	s_delay_alu instid0(VALU_DEP_1) | instskip(SKIP_2) | instid1(SALU_CYCLE_1)
	v_cndmask_b32_e64 v27, 0x7fffffff, v17, s0
	v_cndmask_b32_e64 v26, -1, v16, s0
	s_sub_co_i32 s0, s3, s12
	s_min_u32 s0, s0, 8
	s_delay_alu instid0(VALU_DEP_1) | instskip(NEXT) | instid1(VALU_DEP_1)
	v_lshrrev_b64 v[26:27], s12, v[26:27]
	v_bfe_u32 v26, v26, 0, s0
	s_delay_alu instid0(VALU_DEP_1)
	v_lshl_or_b32 v25, v26, 4, v25
	v_mov_b32_e32 v26, 1
	ds_add_u32 v25, v26 offset:24576
	v_mov_b32_e32 v25, 0
.LBB1492_51:
	s_or_b32 exec_lo, exec_lo, s11
	s_mov_b32 s11, -1
	s_mov_b32 s12, exec_lo
	s_delay_alu instid0(VALU_DEP_1)
	v_cmpx_gt_i32_e32 10, v25
; %bb.52:
	v_cmp_eq_u32_e64 s0, 0, v25
	s_or_not1_b32 s11, s0, exec_lo
; %bb.53:
	s_or_b32 exec_lo, exec_lo, s12
	s_delay_alu instid0(SALU_CYCLE_1)
	s_and_b32 exec_lo, exec_lo, s11
	s_cbranch_execz .LBB1492_56
; %bb.54:
	s_add_co_i32 s0, s2, 56
	s_delay_alu instid0(SALU_CYCLE_1) | instskip(SKIP_2) | instid1(SALU_CYCLE_1)
	s_cmp_gt_u32 s3, s0
	s_cselect_b32 s11, -1, 0
	s_xor_b32 s12, vcc_lo, -1
	s_and_b32 s11, s11, s12
	s_delay_alu instid0(SALU_CYCLE_1)
	s_and_b32 exec_lo, exec_lo, s11
	s_cbranch_execz .LBB1492_56
; %bb.55:
	s_mov_b64 s[12:13], 0x8000000000000000
	s_delay_alu instid0(SALU_CYCLE_1) | instskip(SKIP_2) | instid1(VALU_DEP_1)
	v_cmp_ne_u64_e32 vcc_lo, s[12:13], v[16:17]
	v_cndmask_b32_e32 v17, 0x7fffffff, v17, vcc_lo
	v_cndmask_b32_e32 v16, -1, v16, vcc_lo
	v_lshrrev_b64 v[16:17], s0, v[16:17]
	s_sub_co_i32 s0, s3, s0
	v_lshlrev_b32_e32 v17, 2, v1
	s_min_u32 s0, s0, 8
	s_delay_alu instid0(VALU_DEP_2) | instid1(SALU_CYCLE_1)
	v_bfe_u32 v16, v16, 0, s0
	s_delay_alu instid0(VALU_DEP_1)
	v_lshl_or_b32 v16, v16, 4, v17
	v_mov_b32_e32 v17, 1
	ds_add_u32 v16, v17 offset:28672
.LBB1492_56:
	s_or_b32 exec_lo, exec_lo, s10
	v_cmp_gt_i64_e32 vcc_lo, 0, v[14:15]
	v_cndmask_b32_e64 v17, 0x7fffffff, 0, vcc_lo
	v_ashrrev_i32_e32 v16, 31, v15
	v_cmp_le_u32_e32 vcc_lo, s1, v24
	s_delay_alu instid0(VALU_DEP_3) | instskip(NEXT) | instid1(VALU_DEP_3)
	v_xor_b32_e32 v15, v17, v15
	v_not_b32_e32 v16, v16
	s_nor_b32 s0, s8, vcc_lo
	s_delay_alu instid0(VALU_DEP_1)
	v_dual_mov_b32 v16, s9 :: v_dual_bitop2_b32 v14, v16, v14 bitop3:0x14
	s_and_saveexec_b32 s10, s0
	s_cbranch_execz .LBB1492_58
; %bb.57:
	s_mov_b64 s[12:13], 0x8000000000000000
	s_delay_alu instid0(VALU_DEP_1) | instid1(SALU_CYCLE_1)
	v_cmp_ne_u64_e64 s0, s[12:13], v[14:15]
	s_delay_alu instid0(VALU_DEP_1) | instskip(SKIP_2) | instid1(SALU_CYCLE_1)
	v_cndmask_b32_e64 v17, 0x7fffffff, v15, s0
	v_cndmask_b32_e64 v16, -1, v14, s0
	s_sub_co_i32 s0, s3, s2
	s_min_u32 s0, s0, 8
	s_delay_alu instid0(VALU_DEP_1) | instskip(SKIP_1) | instid1(VALU_DEP_2)
	v_lshrrev_b64 v[16:17], s2, v[16:17]
	v_lshlrev_b32_e32 v17, 2, v1
	v_bfe_u32 v16, v16, 0, s0
	s_delay_alu instid0(VALU_DEP_1)
	v_lshl_or_b32 v16, v16, 4, v17
	v_mov_b32_e32 v17, 1
	ds_add_u32 v16, v17
	v_mov_b32_e32 v16, 0
.LBB1492_58:
	s_or_b32 exec_lo, exec_lo, s10
	s_mov_b32 s11, -1
	s_mov_b32 s10, exec_lo
	s_delay_alu instid0(VALU_DEP_1)
	v_cmpx_gt_i32_e32 10, v16
; %bb.59:
	v_cmp_eq_u32_e64 s0, 0, v16
	s_or_not1_b32 s11, s0, exec_lo
; %bb.60:
	s_or_b32 exec_lo, exec_lo, s10
	s_and_saveexec_b32 s10, s11
	s_cbranch_execz .LBB1492_93
; %bb.61:
	s_add_co_i32 s12, s2, 8
	s_delay_alu instid0(SALU_CYCLE_1) | instskip(SKIP_1) | instid1(SALU_CYCLE_1)
	s_cmp_le_u32 s3, s12
	s_cselect_b32 s0, -1, 0
	s_and_b32 s11, s0, exec_lo
	s_cselect_b32 s11, 8, 10
	s_nor_b32 s0, s0, vcc_lo
	v_mov_b32_e32 v16, s11
	s_and_saveexec_b32 s11, s0
	s_cbranch_execz .LBB1492_63
; %bb.62:
	s_mov_b64 s[14:15], 0x8000000000000000
	s_delay_alu instid0(SALU_CYCLE_1) | instskip(NEXT) | instid1(VALU_DEP_1)
	v_cmp_ne_u64_e64 s0, s[14:15], v[14:15]
	v_cndmask_b32_e64 v17, 0x7fffffff, v15, s0
	v_cndmask_b32_e64 v16, -1, v14, s0
	s_sub_co_i32 s0, s3, s12
	s_delay_alu instid0(SALU_CYCLE_1) | instskip(NEXT) | instid1(VALU_DEP_1)
	s_min_u32 s0, s0, 8
	v_lshrrev_b64 v[16:17], s12, v[16:17]
	v_lshlrev_b32_e32 v17, 2, v1
	s_delay_alu instid0(VALU_DEP_2) | instskip(NEXT) | instid1(VALU_DEP_1)
	v_bfe_u32 v16, v16, 0, s0
	v_lshl_or_b32 v16, v16, 4, v17
	v_mov_b32_e32 v17, 1
	ds_add_u32 v16, v17 offset:4096
	v_mov_b32_e32 v16, 0
.LBB1492_63:
	s_or_b32 exec_lo, exec_lo, s11
	s_mov_b32 s11, -1
	s_mov_b32 s12, exec_lo
	s_delay_alu instid0(VALU_DEP_1)
	v_cmpx_gt_i32_e32 10, v16
; %bb.64:
	v_cmp_eq_u32_e64 s0, 0, v16
	s_or_not1_b32 s11, s0, exec_lo
; %bb.65:
	s_or_b32 exec_lo, exec_lo, s12
	s_delay_alu instid0(SALU_CYCLE_1)
	s_and_b32 exec_lo, exec_lo, s11
	s_cbranch_execz .LBB1492_93
; %bb.66:
	s_add_co_i32 s12, s2, 16
	s_delay_alu instid0(SALU_CYCLE_1) | instskip(SKIP_1) | instid1(SALU_CYCLE_1)
	s_cmp_le_u32 s3, s12
	s_cselect_b32 s0, -1, 0
	s_and_b32 s11, s0, exec_lo
	s_cselect_b32 s11, 8, 10
	s_nor_b32 s0, s0, vcc_lo
	v_mov_b32_e32 v16, s11
	s_and_saveexec_b32 s11, s0
	s_cbranch_execz .LBB1492_68
; %bb.67:
	s_mov_b64 s[14:15], 0x8000000000000000
	s_delay_alu instid0(SALU_CYCLE_1) | instskip(NEXT) | instid1(VALU_DEP_1)
	v_cmp_ne_u64_e64 s0, s[14:15], v[14:15]
	v_cndmask_b32_e64 v17, 0x7fffffff, v15, s0
	v_cndmask_b32_e64 v16, -1, v14, s0
	s_sub_co_i32 s0, s3, s12
	s_delay_alu instid0(SALU_CYCLE_1) | instskip(NEXT) | instid1(VALU_DEP_1)
	s_min_u32 s0, s0, 8
	v_lshrrev_b64 v[16:17], s12, v[16:17]
	v_lshlrev_b32_e32 v17, 2, v1
	s_delay_alu instid0(VALU_DEP_2) | instskip(NEXT) | instid1(VALU_DEP_1)
	v_bfe_u32 v16, v16, 0, s0
	v_lshl_or_b32 v16, v16, 4, v17
	v_mov_b32_e32 v17, 1
	ds_add_u32 v16, v17 offset:8192
	v_mov_b32_e32 v16, 0
.LBB1492_68:
	s_or_b32 exec_lo, exec_lo, s11
	s_mov_b32 s11, -1
	s_mov_b32 s12, exec_lo
	s_delay_alu instid0(VALU_DEP_1)
	v_cmpx_gt_i32_e32 10, v16
; %bb.69:
	v_cmp_eq_u32_e64 s0, 0, v16
	s_or_not1_b32 s11, s0, exec_lo
; %bb.70:
	s_or_b32 exec_lo, exec_lo, s12
	s_delay_alu instid0(SALU_CYCLE_1)
	s_and_b32 exec_lo, exec_lo, s11
	s_cbranch_execz .LBB1492_93
; %bb.71:
	s_add_co_i32 s12, s2, 24
	s_delay_alu instid0(SALU_CYCLE_1) | instskip(SKIP_1) | instid1(SALU_CYCLE_1)
	s_cmp_le_u32 s3, s12
	s_cselect_b32 s0, -1, 0
	s_and_b32 s11, s0, exec_lo
	s_cselect_b32 s11, 8, 10
	s_nor_b32 s0, s0, vcc_lo
	v_mov_b32_e32 v16, s11
	s_and_saveexec_b32 s11, s0
	s_cbranch_execz .LBB1492_73
; %bb.72:
	s_mov_b64 s[14:15], 0x8000000000000000
	s_delay_alu instid0(SALU_CYCLE_1) | instskip(NEXT) | instid1(VALU_DEP_1)
	v_cmp_ne_u64_e64 s0, s[14:15], v[14:15]
	v_cndmask_b32_e64 v17, 0x7fffffff, v15, s0
	v_cndmask_b32_e64 v16, -1, v14, s0
	s_sub_co_i32 s0, s3, s12
	s_delay_alu instid0(SALU_CYCLE_1) | instskip(NEXT) | instid1(VALU_DEP_1)
	s_min_u32 s0, s0, 8
	v_lshrrev_b64 v[16:17], s12, v[16:17]
	v_lshlrev_b32_e32 v17, 2, v1
	s_delay_alu instid0(VALU_DEP_2) | instskip(NEXT) | instid1(VALU_DEP_1)
	v_bfe_u32 v16, v16, 0, s0
	v_lshl_or_b32 v16, v16, 4, v17
	v_mov_b32_e32 v17, 1
	ds_add_u32 v16, v17 offset:12288
	v_mov_b32_e32 v16, 0
.LBB1492_73:
	s_or_b32 exec_lo, exec_lo, s11
	s_mov_b32 s11, -1
	s_mov_b32 s12, exec_lo
	s_delay_alu instid0(VALU_DEP_1)
	v_cmpx_gt_i32_e32 10, v16
; %bb.74:
	v_cmp_eq_u32_e64 s0, 0, v16
	s_or_not1_b32 s11, s0, exec_lo
; %bb.75:
	s_or_b32 exec_lo, exec_lo, s12
	s_delay_alu instid0(SALU_CYCLE_1)
	s_and_b32 exec_lo, exec_lo, s11
	s_cbranch_execz .LBB1492_93
; %bb.76:
	s_add_co_i32 s12, s2, 32
	s_delay_alu instid0(SALU_CYCLE_1) | instskip(SKIP_1) | instid1(SALU_CYCLE_1)
	s_cmp_le_u32 s3, s12
	s_cselect_b32 s0, -1, 0
	s_and_b32 s11, s0, exec_lo
	s_cselect_b32 s11, 8, 10
	s_nor_b32 s0, s0, vcc_lo
	v_mov_b32_e32 v16, s11
	s_and_saveexec_b32 s11, s0
	s_cbranch_execz .LBB1492_78
; %bb.77:
	s_mov_b64 s[14:15], 0x8000000000000000
	s_delay_alu instid0(SALU_CYCLE_1) | instskip(NEXT) | instid1(VALU_DEP_1)
	v_cmp_ne_u64_e64 s0, s[14:15], v[14:15]
	v_cndmask_b32_e64 v17, 0x7fffffff, v15, s0
	v_cndmask_b32_e64 v16, -1, v14, s0
	s_sub_co_i32 s0, s3, s12
	s_delay_alu instid0(SALU_CYCLE_1) | instskip(NEXT) | instid1(VALU_DEP_1)
	s_min_u32 s0, s0, 8
	v_lshrrev_b64 v[16:17], s12, v[16:17]
	v_lshlrev_b32_e32 v17, 2, v1
	s_delay_alu instid0(VALU_DEP_2) | instskip(NEXT) | instid1(VALU_DEP_1)
	v_bfe_u32 v16, v16, 0, s0
	v_lshl_or_b32 v16, v16, 4, v17
	v_mov_b32_e32 v17, 1
	ds_add_u32 v16, v17 offset:16384
	v_mov_b32_e32 v16, 0
.LBB1492_78:
	s_or_b32 exec_lo, exec_lo, s11
	s_mov_b32 s11, -1
	s_mov_b32 s12, exec_lo
	s_delay_alu instid0(VALU_DEP_1)
	v_cmpx_gt_i32_e32 10, v16
; %bb.79:
	v_cmp_eq_u32_e64 s0, 0, v16
	s_or_not1_b32 s11, s0, exec_lo
; %bb.80:
	s_or_b32 exec_lo, exec_lo, s12
	s_delay_alu instid0(SALU_CYCLE_1)
	s_and_b32 exec_lo, exec_lo, s11
	s_cbranch_execz .LBB1492_93
; %bb.81:
	s_add_co_i32 s12, s2, 40
	s_delay_alu instid0(SALU_CYCLE_1) | instskip(SKIP_1) | instid1(SALU_CYCLE_1)
	s_cmp_le_u32 s3, s12
	s_cselect_b32 s0, -1, 0
	s_and_b32 s11, s0, exec_lo
	s_cselect_b32 s11, 8, 10
	s_nor_b32 s0, s0, vcc_lo
	v_mov_b32_e32 v16, s11
	s_and_saveexec_b32 s11, s0
	s_cbranch_execz .LBB1492_83
; %bb.82:
	s_mov_b64 s[14:15], 0x8000000000000000
	s_delay_alu instid0(SALU_CYCLE_1) | instskip(NEXT) | instid1(VALU_DEP_1)
	v_cmp_ne_u64_e64 s0, s[14:15], v[14:15]
	v_cndmask_b32_e64 v17, 0x7fffffff, v15, s0
	v_cndmask_b32_e64 v16, -1, v14, s0
	s_sub_co_i32 s0, s3, s12
	s_delay_alu instid0(SALU_CYCLE_1) | instskip(NEXT) | instid1(VALU_DEP_1)
	s_min_u32 s0, s0, 8
	v_lshrrev_b64 v[16:17], s12, v[16:17]
	v_lshlrev_b32_e32 v17, 2, v1
	s_delay_alu instid0(VALU_DEP_2) | instskip(NEXT) | instid1(VALU_DEP_1)
	v_bfe_u32 v16, v16, 0, s0
	v_lshl_or_b32 v16, v16, 4, v17
	v_mov_b32_e32 v17, 1
	ds_add_u32 v16, v17 offset:20480
	v_mov_b32_e32 v16, 0
.LBB1492_83:
	s_or_b32 exec_lo, exec_lo, s11
	s_mov_b32 s11, -1
	s_mov_b32 s12, exec_lo
	s_delay_alu instid0(VALU_DEP_1)
	v_cmpx_gt_i32_e32 10, v16
; %bb.84:
	v_cmp_eq_u32_e64 s0, 0, v16
	s_or_not1_b32 s11, s0, exec_lo
; %bb.85:
	s_or_b32 exec_lo, exec_lo, s12
	s_delay_alu instid0(SALU_CYCLE_1)
	s_and_b32 exec_lo, exec_lo, s11
	s_cbranch_execz .LBB1492_93
; %bb.86:
	s_add_co_i32 s12, s2, 48
	s_delay_alu instid0(SALU_CYCLE_1) | instskip(SKIP_1) | instid1(SALU_CYCLE_1)
	s_cmp_le_u32 s3, s12
	s_cselect_b32 s0, -1, 0
	s_and_b32 s11, s0, exec_lo
	s_cselect_b32 s11, 8, 10
	s_nor_b32 s0, s0, vcc_lo
	v_mov_b32_e32 v16, s11
	s_and_saveexec_b32 s11, s0
	s_cbranch_execz .LBB1492_88
; %bb.87:
	s_mov_b64 s[14:15], 0x8000000000000000
	s_delay_alu instid0(SALU_CYCLE_1) | instskip(NEXT) | instid1(VALU_DEP_1)
	v_cmp_ne_u64_e64 s0, s[14:15], v[14:15]
	v_cndmask_b32_e64 v17, 0x7fffffff, v15, s0
	v_cndmask_b32_e64 v16, -1, v14, s0
	s_sub_co_i32 s0, s3, s12
	s_delay_alu instid0(SALU_CYCLE_1) | instskip(NEXT) | instid1(VALU_DEP_1)
	s_min_u32 s0, s0, 8
	v_lshrrev_b64 v[16:17], s12, v[16:17]
	v_lshlrev_b32_e32 v17, 2, v1
	s_delay_alu instid0(VALU_DEP_2) | instskip(NEXT) | instid1(VALU_DEP_1)
	v_bfe_u32 v16, v16, 0, s0
	v_lshl_or_b32 v16, v16, 4, v17
	v_mov_b32_e32 v17, 1
	ds_add_u32 v16, v17 offset:24576
	v_mov_b32_e32 v16, 0
.LBB1492_88:
	s_or_b32 exec_lo, exec_lo, s11
	s_mov_b32 s11, -1
	s_mov_b32 s12, exec_lo
	s_delay_alu instid0(VALU_DEP_1)
	v_cmpx_gt_i32_e32 10, v16
; %bb.89:
	v_cmp_eq_u32_e64 s0, 0, v16
	s_or_not1_b32 s11, s0, exec_lo
; %bb.90:
	s_or_b32 exec_lo, exec_lo, s12
	s_delay_alu instid0(SALU_CYCLE_1)
	s_and_b32 exec_lo, exec_lo, s11
	s_cbranch_execz .LBB1492_93
; %bb.91:
	s_add_co_i32 s0, s2, 56
	s_delay_alu instid0(SALU_CYCLE_1) | instskip(SKIP_2) | instid1(SALU_CYCLE_1)
	s_cmp_gt_u32 s3, s0
	s_cselect_b32 s11, -1, 0
	s_xor_b32 s12, vcc_lo, -1
	s_and_b32 s11, s11, s12
	s_delay_alu instid0(SALU_CYCLE_1)
	s_and_b32 exec_lo, exec_lo, s11
	s_cbranch_execz .LBB1492_93
; %bb.92:
	s_mov_b64 s[12:13], 0x8000000000000000
	s_delay_alu instid0(SALU_CYCLE_1) | instskip(SKIP_2) | instid1(VALU_DEP_1)
	v_cmp_ne_u64_e32 vcc_lo, s[12:13], v[14:15]
	v_cndmask_b32_e32 v15, 0x7fffffff, v15, vcc_lo
	v_cndmask_b32_e32 v14, -1, v14, vcc_lo
	v_lshrrev_b64 v[14:15], s0, v[14:15]
	s_sub_co_i32 s0, s3, s0
	v_lshlrev_b32_e32 v15, 2, v1
	s_min_u32 s0, s0, 8
	s_delay_alu instid0(VALU_DEP_2) | instid1(SALU_CYCLE_1)
	v_bfe_u32 v14, v14, 0, s0
	s_delay_alu instid0(VALU_DEP_1)
	v_lshl_or_b32 v14, v14, 4, v15
	v_mov_b32_e32 v15, 1
	ds_add_u32 v14, v15 offset:28672
.LBB1492_93:
	s_or_b32 exec_lo, exec_lo, s10
	v_cmp_gt_i64_e32 vcc_lo, 0, v[12:13]
	v_cndmask_b32_e64 v15, 0x7fffffff, 0, vcc_lo
	v_ashrrev_i32_e32 v14, 31, v13
	v_cmp_le_u32_e32 vcc_lo, s1, v23
	s_delay_alu instid0(VALU_DEP_3) | instskip(NEXT) | instid1(VALU_DEP_3)
	v_xor_b32_e32 v13, v15, v13
	v_not_b32_e32 v14, v14
	s_nor_b32 s0, s8, vcc_lo
	s_delay_alu instid0(VALU_DEP_1)
	v_dual_mov_b32 v14, s9 :: v_dual_bitop2_b32 v12, v14, v12 bitop3:0x14
	s_and_saveexec_b32 s10, s0
	s_cbranch_execz .LBB1492_95
; %bb.94:
	s_mov_b64 s[12:13], 0x8000000000000000
	s_delay_alu instid0(VALU_DEP_1) | instid1(SALU_CYCLE_1)
	v_cmp_ne_u64_e64 s0, s[12:13], v[12:13]
	s_delay_alu instid0(VALU_DEP_1) | instskip(SKIP_2) | instid1(SALU_CYCLE_1)
	v_cndmask_b32_e64 v15, 0x7fffffff, v13, s0
	v_cndmask_b32_e64 v14, -1, v12, s0
	s_sub_co_i32 s0, s3, s2
	s_min_u32 s0, s0, 8
	s_delay_alu instid0(VALU_DEP_1) | instskip(SKIP_1) | instid1(VALU_DEP_2)
	v_lshrrev_b64 v[14:15], s2, v[14:15]
	v_lshlrev_b32_e32 v15, 2, v1
	v_bfe_u32 v14, v14, 0, s0
	s_delay_alu instid0(VALU_DEP_1)
	v_lshl_or_b32 v14, v14, 4, v15
	v_mov_b32_e32 v15, 1
	ds_add_u32 v14, v15
	v_mov_b32_e32 v14, 0
.LBB1492_95:
	s_or_b32 exec_lo, exec_lo, s10
	s_mov_b32 s11, -1
	s_mov_b32 s10, exec_lo
	s_delay_alu instid0(VALU_DEP_1)
	v_cmpx_gt_i32_e32 10, v14
; %bb.96:
	v_cmp_eq_u32_e64 s0, 0, v14
	s_or_not1_b32 s11, s0, exec_lo
; %bb.97:
	s_or_b32 exec_lo, exec_lo, s10
	s_and_saveexec_b32 s10, s11
	s_cbranch_execz .LBB1492_130
; %bb.98:
	s_add_co_i32 s12, s2, 8
	s_delay_alu instid0(SALU_CYCLE_1) | instskip(SKIP_1) | instid1(SALU_CYCLE_1)
	s_cmp_le_u32 s3, s12
	s_cselect_b32 s0, -1, 0
	s_and_b32 s11, s0, exec_lo
	s_cselect_b32 s11, 8, 10
	s_nor_b32 s0, s0, vcc_lo
	v_mov_b32_e32 v14, s11
	s_and_saveexec_b32 s11, s0
	s_cbranch_execz .LBB1492_100
; %bb.99:
	s_mov_b64 s[14:15], 0x8000000000000000
	s_delay_alu instid0(SALU_CYCLE_1) | instskip(NEXT) | instid1(VALU_DEP_1)
	v_cmp_ne_u64_e64 s0, s[14:15], v[12:13]
	v_cndmask_b32_e64 v15, 0x7fffffff, v13, s0
	v_cndmask_b32_e64 v14, -1, v12, s0
	s_sub_co_i32 s0, s3, s12
	s_delay_alu instid0(SALU_CYCLE_1) | instskip(NEXT) | instid1(VALU_DEP_1)
	s_min_u32 s0, s0, 8
	v_lshrrev_b64 v[14:15], s12, v[14:15]
	v_lshlrev_b32_e32 v15, 2, v1
	s_delay_alu instid0(VALU_DEP_2) | instskip(NEXT) | instid1(VALU_DEP_1)
	v_bfe_u32 v14, v14, 0, s0
	v_lshl_or_b32 v14, v14, 4, v15
	v_mov_b32_e32 v15, 1
	ds_add_u32 v14, v15 offset:4096
	v_mov_b32_e32 v14, 0
.LBB1492_100:
	s_or_b32 exec_lo, exec_lo, s11
	s_mov_b32 s11, -1
	s_mov_b32 s12, exec_lo
	s_delay_alu instid0(VALU_DEP_1)
	v_cmpx_gt_i32_e32 10, v14
; %bb.101:
	v_cmp_eq_u32_e64 s0, 0, v14
	s_or_not1_b32 s11, s0, exec_lo
; %bb.102:
	s_or_b32 exec_lo, exec_lo, s12
	s_delay_alu instid0(SALU_CYCLE_1)
	s_and_b32 exec_lo, exec_lo, s11
	s_cbranch_execz .LBB1492_130
; %bb.103:
	s_add_co_i32 s12, s2, 16
	s_delay_alu instid0(SALU_CYCLE_1) | instskip(SKIP_1) | instid1(SALU_CYCLE_1)
	s_cmp_le_u32 s3, s12
	s_cselect_b32 s0, -1, 0
	s_and_b32 s11, s0, exec_lo
	s_cselect_b32 s11, 8, 10
	s_nor_b32 s0, s0, vcc_lo
	v_mov_b32_e32 v14, s11
	s_and_saveexec_b32 s11, s0
	s_cbranch_execz .LBB1492_105
; %bb.104:
	s_mov_b64 s[14:15], 0x8000000000000000
	s_delay_alu instid0(SALU_CYCLE_1) | instskip(NEXT) | instid1(VALU_DEP_1)
	v_cmp_ne_u64_e64 s0, s[14:15], v[12:13]
	v_cndmask_b32_e64 v15, 0x7fffffff, v13, s0
	v_cndmask_b32_e64 v14, -1, v12, s0
	s_sub_co_i32 s0, s3, s12
	s_delay_alu instid0(SALU_CYCLE_1) | instskip(NEXT) | instid1(VALU_DEP_1)
	s_min_u32 s0, s0, 8
	v_lshrrev_b64 v[14:15], s12, v[14:15]
	v_lshlrev_b32_e32 v15, 2, v1
	s_delay_alu instid0(VALU_DEP_2) | instskip(NEXT) | instid1(VALU_DEP_1)
	v_bfe_u32 v14, v14, 0, s0
	v_lshl_or_b32 v14, v14, 4, v15
	v_mov_b32_e32 v15, 1
	ds_add_u32 v14, v15 offset:8192
	v_mov_b32_e32 v14, 0
.LBB1492_105:
	s_or_b32 exec_lo, exec_lo, s11
	s_mov_b32 s11, -1
	s_mov_b32 s12, exec_lo
	s_delay_alu instid0(VALU_DEP_1)
	v_cmpx_gt_i32_e32 10, v14
; %bb.106:
	v_cmp_eq_u32_e64 s0, 0, v14
	s_or_not1_b32 s11, s0, exec_lo
; %bb.107:
	s_or_b32 exec_lo, exec_lo, s12
	s_delay_alu instid0(SALU_CYCLE_1)
	s_and_b32 exec_lo, exec_lo, s11
	;; [unrolled: 42-line block ×6, first 2 shown]
	s_cbranch_execz .LBB1492_130
; %bb.128:
	s_add_co_i32 s0, s2, 56
	s_delay_alu instid0(SALU_CYCLE_1) | instskip(SKIP_2) | instid1(SALU_CYCLE_1)
	s_cmp_gt_u32 s3, s0
	s_cselect_b32 s11, -1, 0
	s_xor_b32 s12, vcc_lo, -1
	s_and_b32 s11, s11, s12
	s_delay_alu instid0(SALU_CYCLE_1)
	s_and_b32 exec_lo, exec_lo, s11
	s_cbranch_execz .LBB1492_130
; %bb.129:
	s_mov_b64 s[12:13], 0x8000000000000000
	s_delay_alu instid0(SALU_CYCLE_1) | instskip(SKIP_2) | instid1(VALU_DEP_1)
	v_cmp_ne_u64_e32 vcc_lo, s[12:13], v[12:13]
	v_cndmask_b32_e32 v13, 0x7fffffff, v13, vcc_lo
	v_cndmask_b32_e32 v12, -1, v12, vcc_lo
	v_lshrrev_b64 v[12:13], s0, v[12:13]
	s_sub_co_i32 s0, s3, s0
	v_lshlrev_b32_e32 v13, 2, v1
	s_min_u32 s0, s0, 8
	s_delay_alu instid0(VALU_DEP_2) | instid1(SALU_CYCLE_1)
	v_bfe_u32 v12, v12, 0, s0
	s_delay_alu instid0(VALU_DEP_1)
	v_lshl_or_b32 v12, v12, 4, v13
	v_mov_b32_e32 v13, 1
	ds_add_u32 v12, v13 offset:28672
.LBB1492_130:
	s_or_b32 exec_lo, exec_lo, s10
	v_cmp_gt_i64_e32 vcc_lo, 0, v[10:11]
	v_cndmask_b32_e64 v13, 0x7fffffff, 0, vcc_lo
	v_ashrrev_i32_e32 v12, 31, v11
	v_cmp_le_u32_e32 vcc_lo, s1, v22
	s_delay_alu instid0(VALU_DEP_3) | instskip(NEXT) | instid1(VALU_DEP_3)
	v_xor_b32_e32 v11, v13, v11
	v_not_b32_e32 v12, v12
	s_nor_b32 s0, s8, vcc_lo
	s_delay_alu instid0(VALU_DEP_1)
	v_dual_mov_b32 v12, s9 :: v_dual_bitop2_b32 v10, v12, v10 bitop3:0x14
	s_and_saveexec_b32 s10, s0
	s_cbranch_execz .LBB1492_132
; %bb.131:
	s_mov_b64 s[12:13], 0x8000000000000000
	s_delay_alu instid0(VALU_DEP_1) | instid1(SALU_CYCLE_1)
	v_cmp_ne_u64_e64 s0, s[12:13], v[10:11]
	s_delay_alu instid0(VALU_DEP_1) | instskip(SKIP_2) | instid1(SALU_CYCLE_1)
	v_cndmask_b32_e64 v13, 0x7fffffff, v11, s0
	v_cndmask_b32_e64 v12, -1, v10, s0
	s_sub_co_i32 s0, s3, s2
	s_min_u32 s0, s0, 8
	s_delay_alu instid0(VALU_DEP_1) | instskip(SKIP_1) | instid1(VALU_DEP_2)
	v_lshrrev_b64 v[12:13], s2, v[12:13]
	v_lshlrev_b32_e32 v13, 2, v1
	v_bfe_u32 v12, v12, 0, s0
	s_delay_alu instid0(VALU_DEP_1)
	v_lshl_or_b32 v12, v12, 4, v13
	v_mov_b32_e32 v13, 1
	ds_add_u32 v12, v13
	v_mov_b32_e32 v12, 0
.LBB1492_132:
	s_or_b32 exec_lo, exec_lo, s10
	s_mov_b32 s11, -1
	s_mov_b32 s10, exec_lo
	s_delay_alu instid0(VALU_DEP_1)
	v_cmpx_gt_i32_e32 10, v12
; %bb.133:
	v_cmp_eq_u32_e64 s0, 0, v12
	s_or_not1_b32 s11, s0, exec_lo
; %bb.134:
	s_or_b32 exec_lo, exec_lo, s10
	s_and_saveexec_b32 s10, s11
	s_cbranch_execz .LBB1492_167
; %bb.135:
	s_add_co_i32 s12, s2, 8
	s_delay_alu instid0(SALU_CYCLE_1) | instskip(SKIP_1) | instid1(SALU_CYCLE_1)
	s_cmp_le_u32 s3, s12
	s_cselect_b32 s0, -1, 0
	s_and_b32 s11, s0, exec_lo
	s_cselect_b32 s11, 8, 10
	s_nor_b32 s0, s0, vcc_lo
	v_mov_b32_e32 v12, s11
	s_and_saveexec_b32 s11, s0
	s_cbranch_execz .LBB1492_137
; %bb.136:
	s_mov_b64 s[14:15], 0x8000000000000000
	s_delay_alu instid0(SALU_CYCLE_1) | instskip(NEXT) | instid1(VALU_DEP_1)
	v_cmp_ne_u64_e64 s0, s[14:15], v[10:11]
	v_cndmask_b32_e64 v13, 0x7fffffff, v11, s0
	v_cndmask_b32_e64 v12, -1, v10, s0
	s_sub_co_i32 s0, s3, s12
	s_delay_alu instid0(SALU_CYCLE_1) | instskip(NEXT) | instid1(VALU_DEP_1)
	s_min_u32 s0, s0, 8
	v_lshrrev_b64 v[12:13], s12, v[12:13]
	v_lshlrev_b32_e32 v13, 2, v1
	s_delay_alu instid0(VALU_DEP_2) | instskip(NEXT) | instid1(VALU_DEP_1)
	v_bfe_u32 v12, v12, 0, s0
	v_lshl_or_b32 v12, v12, 4, v13
	v_mov_b32_e32 v13, 1
	ds_add_u32 v12, v13 offset:4096
	v_mov_b32_e32 v12, 0
.LBB1492_137:
	s_or_b32 exec_lo, exec_lo, s11
	s_mov_b32 s11, -1
	s_mov_b32 s12, exec_lo
	s_delay_alu instid0(VALU_DEP_1)
	v_cmpx_gt_i32_e32 10, v12
; %bb.138:
	v_cmp_eq_u32_e64 s0, 0, v12
	s_or_not1_b32 s11, s0, exec_lo
; %bb.139:
	s_or_b32 exec_lo, exec_lo, s12
	s_delay_alu instid0(SALU_CYCLE_1)
	s_and_b32 exec_lo, exec_lo, s11
	s_cbranch_execz .LBB1492_167
; %bb.140:
	s_add_co_i32 s12, s2, 16
	s_delay_alu instid0(SALU_CYCLE_1) | instskip(SKIP_1) | instid1(SALU_CYCLE_1)
	s_cmp_le_u32 s3, s12
	s_cselect_b32 s0, -1, 0
	s_and_b32 s11, s0, exec_lo
	s_cselect_b32 s11, 8, 10
	s_nor_b32 s0, s0, vcc_lo
	v_mov_b32_e32 v12, s11
	s_and_saveexec_b32 s11, s0
	s_cbranch_execz .LBB1492_142
; %bb.141:
	s_mov_b64 s[14:15], 0x8000000000000000
	s_delay_alu instid0(SALU_CYCLE_1) | instskip(NEXT) | instid1(VALU_DEP_1)
	v_cmp_ne_u64_e64 s0, s[14:15], v[10:11]
	v_cndmask_b32_e64 v13, 0x7fffffff, v11, s0
	v_cndmask_b32_e64 v12, -1, v10, s0
	s_sub_co_i32 s0, s3, s12
	s_delay_alu instid0(SALU_CYCLE_1) | instskip(NEXT) | instid1(VALU_DEP_1)
	s_min_u32 s0, s0, 8
	v_lshrrev_b64 v[12:13], s12, v[12:13]
	v_lshlrev_b32_e32 v13, 2, v1
	s_delay_alu instid0(VALU_DEP_2) | instskip(NEXT) | instid1(VALU_DEP_1)
	v_bfe_u32 v12, v12, 0, s0
	v_lshl_or_b32 v12, v12, 4, v13
	v_mov_b32_e32 v13, 1
	ds_add_u32 v12, v13 offset:8192
	v_mov_b32_e32 v12, 0
.LBB1492_142:
	s_or_b32 exec_lo, exec_lo, s11
	s_mov_b32 s11, -1
	s_mov_b32 s12, exec_lo
	s_delay_alu instid0(VALU_DEP_1)
	v_cmpx_gt_i32_e32 10, v12
; %bb.143:
	v_cmp_eq_u32_e64 s0, 0, v12
	s_or_not1_b32 s11, s0, exec_lo
; %bb.144:
	s_or_b32 exec_lo, exec_lo, s12
	s_delay_alu instid0(SALU_CYCLE_1)
	s_and_b32 exec_lo, exec_lo, s11
	;; [unrolled: 42-line block ×6, first 2 shown]
	s_cbranch_execz .LBB1492_167
; %bb.165:
	s_add_co_i32 s0, s2, 56
	s_delay_alu instid0(SALU_CYCLE_1) | instskip(SKIP_2) | instid1(SALU_CYCLE_1)
	s_cmp_gt_u32 s3, s0
	s_cselect_b32 s11, -1, 0
	s_xor_b32 s12, vcc_lo, -1
	s_and_b32 s11, s11, s12
	s_delay_alu instid0(SALU_CYCLE_1)
	s_and_b32 exec_lo, exec_lo, s11
	s_cbranch_execz .LBB1492_167
; %bb.166:
	s_mov_b64 s[12:13], 0x8000000000000000
	s_delay_alu instid0(SALU_CYCLE_1) | instskip(SKIP_2) | instid1(VALU_DEP_1)
	v_cmp_ne_u64_e32 vcc_lo, s[12:13], v[10:11]
	v_cndmask_b32_e32 v11, 0x7fffffff, v11, vcc_lo
	v_cndmask_b32_e32 v10, -1, v10, vcc_lo
	v_lshrrev_b64 v[10:11], s0, v[10:11]
	s_sub_co_i32 s0, s3, s0
	v_lshlrev_b32_e32 v11, 2, v1
	s_min_u32 s0, s0, 8
	s_delay_alu instid0(VALU_DEP_2) | instid1(SALU_CYCLE_1)
	v_bfe_u32 v10, v10, 0, s0
	s_delay_alu instid0(VALU_DEP_1)
	v_lshl_or_b32 v10, v10, 4, v11
	v_mov_b32_e32 v11, 1
	ds_add_u32 v10, v11 offset:28672
.LBB1492_167:
	s_or_b32 exec_lo, exec_lo, s10
	v_cmp_gt_i64_e32 vcc_lo, 0, v[8:9]
	v_cndmask_b32_e64 v11, 0x7fffffff, 0, vcc_lo
	v_ashrrev_i32_e32 v10, 31, v9
	v_cmp_le_u32_e32 vcc_lo, s1, v21
	s_delay_alu instid0(VALU_DEP_3) | instskip(NEXT) | instid1(VALU_DEP_3)
	v_xor_b32_e32 v9, v11, v9
	v_not_b32_e32 v10, v10
	s_nor_b32 s0, s8, vcc_lo
	s_delay_alu instid0(VALU_DEP_1)
	v_dual_mov_b32 v10, s9 :: v_dual_bitop2_b32 v8, v10, v8 bitop3:0x14
	s_and_saveexec_b32 s10, s0
	s_cbranch_execz .LBB1492_169
; %bb.168:
	s_mov_b64 s[12:13], 0x8000000000000000
	s_delay_alu instid0(VALU_DEP_1) | instid1(SALU_CYCLE_1)
	v_cmp_ne_u64_e64 s0, s[12:13], v[8:9]
	s_delay_alu instid0(VALU_DEP_1) | instskip(SKIP_2) | instid1(SALU_CYCLE_1)
	v_cndmask_b32_e64 v11, 0x7fffffff, v9, s0
	v_cndmask_b32_e64 v10, -1, v8, s0
	s_sub_co_i32 s0, s3, s2
	s_min_u32 s0, s0, 8
	s_delay_alu instid0(VALU_DEP_1) | instskip(SKIP_1) | instid1(VALU_DEP_2)
	v_lshrrev_b64 v[10:11], s2, v[10:11]
	v_lshlrev_b32_e32 v11, 2, v1
	v_bfe_u32 v10, v10, 0, s0
	s_delay_alu instid0(VALU_DEP_1)
	v_lshl_or_b32 v10, v10, 4, v11
	v_mov_b32_e32 v11, 1
	ds_add_u32 v10, v11
	v_mov_b32_e32 v10, 0
.LBB1492_169:
	s_or_b32 exec_lo, exec_lo, s10
	s_mov_b32 s11, -1
	s_mov_b32 s10, exec_lo
	s_delay_alu instid0(VALU_DEP_1)
	v_cmpx_gt_i32_e32 10, v10
; %bb.170:
	v_cmp_eq_u32_e64 s0, 0, v10
	s_or_not1_b32 s11, s0, exec_lo
; %bb.171:
	s_or_b32 exec_lo, exec_lo, s10
	s_and_saveexec_b32 s10, s11
	s_cbranch_execz .LBB1492_204
; %bb.172:
	s_add_co_i32 s12, s2, 8
	s_delay_alu instid0(SALU_CYCLE_1) | instskip(SKIP_1) | instid1(SALU_CYCLE_1)
	s_cmp_le_u32 s3, s12
	s_cselect_b32 s0, -1, 0
	s_and_b32 s11, s0, exec_lo
	s_cselect_b32 s11, 8, 10
	s_nor_b32 s0, s0, vcc_lo
	v_mov_b32_e32 v10, s11
	s_and_saveexec_b32 s11, s0
	s_cbranch_execz .LBB1492_174
; %bb.173:
	s_mov_b64 s[14:15], 0x8000000000000000
	s_delay_alu instid0(SALU_CYCLE_1) | instskip(NEXT) | instid1(VALU_DEP_1)
	v_cmp_ne_u64_e64 s0, s[14:15], v[8:9]
	v_cndmask_b32_e64 v11, 0x7fffffff, v9, s0
	v_cndmask_b32_e64 v10, -1, v8, s0
	s_sub_co_i32 s0, s3, s12
	s_delay_alu instid0(SALU_CYCLE_1) | instskip(NEXT) | instid1(VALU_DEP_1)
	s_min_u32 s0, s0, 8
	v_lshrrev_b64 v[10:11], s12, v[10:11]
	v_lshlrev_b32_e32 v11, 2, v1
	s_delay_alu instid0(VALU_DEP_2) | instskip(NEXT) | instid1(VALU_DEP_1)
	v_bfe_u32 v10, v10, 0, s0
	v_lshl_or_b32 v10, v10, 4, v11
	v_mov_b32_e32 v11, 1
	ds_add_u32 v10, v11 offset:4096
	v_mov_b32_e32 v10, 0
.LBB1492_174:
	s_or_b32 exec_lo, exec_lo, s11
	s_mov_b32 s11, -1
	s_mov_b32 s12, exec_lo
	s_delay_alu instid0(VALU_DEP_1)
	v_cmpx_gt_i32_e32 10, v10
; %bb.175:
	v_cmp_eq_u32_e64 s0, 0, v10
	s_or_not1_b32 s11, s0, exec_lo
; %bb.176:
	s_or_b32 exec_lo, exec_lo, s12
	s_delay_alu instid0(SALU_CYCLE_1)
	s_and_b32 exec_lo, exec_lo, s11
	s_cbranch_execz .LBB1492_204
; %bb.177:
	s_add_co_i32 s12, s2, 16
	s_delay_alu instid0(SALU_CYCLE_1) | instskip(SKIP_1) | instid1(SALU_CYCLE_1)
	s_cmp_le_u32 s3, s12
	s_cselect_b32 s0, -1, 0
	s_and_b32 s11, s0, exec_lo
	s_cselect_b32 s11, 8, 10
	s_nor_b32 s0, s0, vcc_lo
	v_mov_b32_e32 v10, s11
	s_and_saveexec_b32 s11, s0
	s_cbranch_execz .LBB1492_179
; %bb.178:
	s_mov_b64 s[14:15], 0x8000000000000000
	s_delay_alu instid0(SALU_CYCLE_1) | instskip(NEXT) | instid1(VALU_DEP_1)
	v_cmp_ne_u64_e64 s0, s[14:15], v[8:9]
	v_cndmask_b32_e64 v11, 0x7fffffff, v9, s0
	v_cndmask_b32_e64 v10, -1, v8, s0
	s_sub_co_i32 s0, s3, s12
	s_delay_alu instid0(SALU_CYCLE_1) | instskip(NEXT) | instid1(VALU_DEP_1)
	s_min_u32 s0, s0, 8
	v_lshrrev_b64 v[10:11], s12, v[10:11]
	v_lshlrev_b32_e32 v11, 2, v1
	s_delay_alu instid0(VALU_DEP_2) | instskip(NEXT) | instid1(VALU_DEP_1)
	v_bfe_u32 v10, v10, 0, s0
	v_lshl_or_b32 v10, v10, 4, v11
	v_mov_b32_e32 v11, 1
	ds_add_u32 v10, v11 offset:8192
	v_mov_b32_e32 v10, 0
.LBB1492_179:
	s_or_b32 exec_lo, exec_lo, s11
	s_mov_b32 s11, -1
	s_mov_b32 s12, exec_lo
	s_delay_alu instid0(VALU_DEP_1)
	v_cmpx_gt_i32_e32 10, v10
; %bb.180:
	v_cmp_eq_u32_e64 s0, 0, v10
	s_or_not1_b32 s11, s0, exec_lo
; %bb.181:
	s_or_b32 exec_lo, exec_lo, s12
	s_delay_alu instid0(SALU_CYCLE_1)
	s_and_b32 exec_lo, exec_lo, s11
	s_cbranch_execz .LBB1492_204
; %bb.182:
	s_add_co_i32 s12, s2, 24
	s_delay_alu instid0(SALU_CYCLE_1) | instskip(SKIP_1) | instid1(SALU_CYCLE_1)
	s_cmp_le_u32 s3, s12
	s_cselect_b32 s0, -1, 0
	s_and_b32 s11, s0, exec_lo
	s_cselect_b32 s11, 8, 10
	s_nor_b32 s0, s0, vcc_lo
	v_mov_b32_e32 v10, s11
	s_and_saveexec_b32 s11, s0
	s_cbranch_execz .LBB1492_184
; %bb.183:
	s_mov_b64 s[14:15], 0x8000000000000000
	s_delay_alu instid0(SALU_CYCLE_1) | instskip(NEXT) | instid1(VALU_DEP_1)
	v_cmp_ne_u64_e64 s0, s[14:15], v[8:9]
	v_cndmask_b32_e64 v11, 0x7fffffff, v9, s0
	v_cndmask_b32_e64 v10, -1, v8, s0
	s_sub_co_i32 s0, s3, s12
	s_delay_alu instid0(SALU_CYCLE_1) | instskip(NEXT) | instid1(VALU_DEP_1)
	s_min_u32 s0, s0, 8
	v_lshrrev_b64 v[10:11], s12, v[10:11]
	v_lshlrev_b32_e32 v11, 2, v1
	s_delay_alu instid0(VALU_DEP_2) | instskip(NEXT) | instid1(VALU_DEP_1)
	v_bfe_u32 v10, v10, 0, s0
	v_lshl_or_b32 v10, v10, 4, v11
	v_mov_b32_e32 v11, 1
	ds_add_u32 v10, v11 offset:12288
	v_mov_b32_e32 v10, 0
.LBB1492_184:
	s_or_b32 exec_lo, exec_lo, s11
	s_mov_b32 s11, -1
	s_mov_b32 s12, exec_lo
	s_delay_alu instid0(VALU_DEP_1)
	v_cmpx_gt_i32_e32 10, v10
; %bb.185:
	v_cmp_eq_u32_e64 s0, 0, v10
	s_or_not1_b32 s11, s0, exec_lo
; %bb.186:
	s_or_b32 exec_lo, exec_lo, s12
	s_delay_alu instid0(SALU_CYCLE_1)
	s_and_b32 exec_lo, exec_lo, s11
	s_cbranch_execz .LBB1492_204
; %bb.187:
	s_add_co_i32 s12, s2, 32
	s_delay_alu instid0(SALU_CYCLE_1) | instskip(SKIP_1) | instid1(SALU_CYCLE_1)
	s_cmp_le_u32 s3, s12
	s_cselect_b32 s0, -1, 0
	s_and_b32 s11, s0, exec_lo
	s_cselect_b32 s11, 8, 10
	s_nor_b32 s0, s0, vcc_lo
	v_mov_b32_e32 v10, s11
	s_and_saveexec_b32 s11, s0
	s_cbranch_execz .LBB1492_189
; %bb.188:
	s_mov_b64 s[14:15], 0x8000000000000000
	s_delay_alu instid0(SALU_CYCLE_1) | instskip(NEXT) | instid1(VALU_DEP_1)
	v_cmp_ne_u64_e64 s0, s[14:15], v[8:9]
	v_cndmask_b32_e64 v11, 0x7fffffff, v9, s0
	v_cndmask_b32_e64 v10, -1, v8, s0
	s_sub_co_i32 s0, s3, s12
	s_delay_alu instid0(SALU_CYCLE_1) | instskip(NEXT) | instid1(VALU_DEP_1)
	s_min_u32 s0, s0, 8
	v_lshrrev_b64 v[10:11], s12, v[10:11]
	v_lshlrev_b32_e32 v11, 2, v1
	s_delay_alu instid0(VALU_DEP_2) | instskip(NEXT) | instid1(VALU_DEP_1)
	v_bfe_u32 v10, v10, 0, s0
	v_lshl_or_b32 v10, v10, 4, v11
	v_mov_b32_e32 v11, 1
	ds_add_u32 v10, v11 offset:16384
	v_mov_b32_e32 v10, 0
.LBB1492_189:
	s_or_b32 exec_lo, exec_lo, s11
	s_mov_b32 s11, -1
	s_mov_b32 s12, exec_lo
	s_delay_alu instid0(VALU_DEP_1)
	v_cmpx_gt_i32_e32 10, v10
; %bb.190:
	v_cmp_eq_u32_e64 s0, 0, v10
	s_or_not1_b32 s11, s0, exec_lo
; %bb.191:
	s_or_b32 exec_lo, exec_lo, s12
	s_delay_alu instid0(SALU_CYCLE_1)
	s_and_b32 exec_lo, exec_lo, s11
	s_cbranch_execz .LBB1492_204
; %bb.192:
	s_add_co_i32 s12, s2, 40
	s_delay_alu instid0(SALU_CYCLE_1) | instskip(SKIP_1) | instid1(SALU_CYCLE_1)
	s_cmp_le_u32 s3, s12
	s_cselect_b32 s0, -1, 0
	s_and_b32 s11, s0, exec_lo
	s_cselect_b32 s11, 8, 10
	s_nor_b32 s0, s0, vcc_lo
	v_mov_b32_e32 v10, s11
	s_and_saveexec_b32 s11, s0
	s_cbranch_execz .LBB1492_194
; %bb.193:
	s_mov_b64 s[14:15], 0x8000000000000000
	s_delay_alu instid0(SALU_CYCLE_1) | instskip(NEXT) | instid1(VALU_DEP_1)
	v_cmp_ne_u64_e64 s0, s[14:15], v[8:9]
	v_cndmask_b32_e64 v11, 0x7fffffff, v9, s0
	v_cndmask_b32_e64 v10, -1, v8, s0
	s_sub_co_i32 s0, s3, s12
	s_delay_alu instid0(SALU_CYCLE_1) | instskip(NEXT) | instid1(VALU_DEP_1)
	s_min_u32 s0, s0, 8
	v_lshrrev_b64 v[10:11], s12, v[10:11]
	v_lshlrev_b32_e32 v11, 2, v1
	s_delay_alu instid0(VALU_DEP_2) | instskip(NEXT) | instid1(VALU_DEP_1)
	v_bfe_u32 v10, v10, 0, s0
	v_lshl_or_b32 v10, v10, 4, v11
	v_mov_b32_e32 v11, 1
	ds_add_u32 v10, v11 offset:20480
	v_mov_b32_e32 v10, 0
.LBB1492_194:
	s_or_b32 exec_lo, exec_lo, s11
	s_mov_b32 s11, -1
	s_mov_b32 s12, exec_lo
	s_delay_alu instid0(VALU_DEP_1)
	v_cmpx_gt_i32_e32 10, v10
; %bb.195:
	v_cmp_eq_u32_e64 s0, 0, v10
	s_or_not1_b32 s11, s0, exec_lo
; %bb.196:
	s_or_b32 exec_lo, exec_lo, s12
	s_delay_alu instid0(SALU_CYCLE_1)
	s_and_b32 exec_lo, exec_lo, s11
	s_cbranch_execz .LBB1492_204
; %bb.197:
	s_add_co_i32 s12, s2, 48
	s_delay_alu instid0(SALU_CYCLE_1) | instskip(SKIP_1) | instid1(SALU_CYCLE_1)
	s_cmp_le_u32 s3, s12
	s_cselect_b32 s0, -1, 0
	s_and_b32 s11, s0, exec_lo
	s_cselect_b32 s11, 8, 10
	s_nor_b32 s0, s0, vcc_lo
	v_mov_b32_e32 v10, s11
	s_and_saveexec_b32 s11, s0
	s_cbranch_execz .LBB1492_199
; %bb.198:
	s_mov_b64 s[14:15], 0x8000000000000000
	s_delay_alu instid0(SALU_CYCLE_1) | instskip(NEXT) | instid1(VALU_DEP_1)
	v_cmp_ne_u64_e64 s0, s[14:15], v[8:9]
	v_cndmask_b32_e64 v11, 0x7fffffff, v9, s0
	v_cndmask_b32_e64 v10, -1, v8, s0
	s_sub_co_i32 s0, s3, s12
	s_delay_alu instid0(SALU_CYCLE_1) | instskip(NEXT) | instid1(VALU_DEP_1)
	s_min_u32 s0, s0, 8
	v_lshrrev_b64 v[10:11], s12, v[10:11]
	v_lshlrev_b32_e32 v11, 2, v1
	s_delay_alu instid0(VALU_DEP_2) | instskip(NEXT) | instid1(VALU_DEP_1)
	v_bfe_u32 v10, v10, 0, s0
	v_lshl_or_b32 v10, v10, 4, v11
	v_mov_b32_e32 v11, 1
	ds_add_u32 v10, v11 offset:24576
	v_mov_b32_e32 v10, 0
.LBB1492_199:
	s_or_b32 exec_lo, exec_lo, s11
	s_mov_b32 s11, -1
	s_mov_b32 s12, exec_lo
	s_delay_alu instid0(VALU_DEP_1)
	v_cmpx_gt_i32_e32 10, v10
; %bb.200:
	v_cmp_eq_u32_e64 s0, 0, v10
	s_or_not1_b32 s11, s0, exec_lo
; %bb.201:
	s_or_b32 exec_lo, exec_lo, s12
	s_delay_alu instid0(SALU_CYCLE_1)
	s_and_b32 exec_lo, exec_lo, s11
	s_cbranch_execz .LBB1492_204
; %bb.202:
	s_add_co_i32 s0, s2, 56
	s_delay_alu instid0(SALU_CYCLE_1) | instskip(SKIP_2) | instid1(SALU_CYCLE_1)
	s_cmp_gt_u32 s3, s0
	s_cselect_b32 s11, -1, 0
	s_xor_b32 s12, vcc_lo, -1
	s_and_b32 s11, s11, s12
	s_delay_alu instid0(SALU_CYCLE_1)
	s_and_b32 exec_lo, exec_lo, s11
	s_cbranch_execz .LBB1492_204
; %bb.203:
	s_mov_b64 s[12:13], 0x8000000000000000
	s_delay_alu instid0(SALU_CYCLE_1) | instskip(SKIP_2) | instid1(VALU_DEP_1)
	v_cmp_ne_u64_e32 vcc_lo, s[12:13], v[8:9]
	v_cndmask_b32_e32 v9, 0x7fffffff, v9, vcc_lo
	v_cndmask_b32_e32 v8, -1, v8, vcc_lo
	v_lshrrev_b64 v[8:9], s0, v[8:9]
	s_sub_co_i32 s0, s3, s0
	v_lshlrev_b32_e32 v9, 2, v1
	s_min_u32 s0, s0, 8
	s_delay_alu instid0(VALU_DEP_2) | instid1(SALU_CYCLE_1)
	v_bfe_u32 v8, v8, 0, s0
	s_delay_alu instid0(VALU_DEP_1)
	v_lshl_or_b32 v8, v8, 4, v9
	v_mov_b32_e32 v9, 1
	ds_add_u32 v8, v9 offset:28672
.LBB1492_204:
	s_or_b32 exec_lo, exec_lo, s10
	v_cmp_gt_i64_e32 vcc_lo, 0, v[6:7]
	v_cndmask_b32_e64 v9, 0x7fffffff, 0, vcc_lo
	v_ashrrev_i32_e32 v8, 31, v7
	v_cmp_le_u32_e32 vcc_lo, s1, v20
	s_delay_alu instid0(VALU_DEP_3) | instskip(NEXT) | instid1(VALU_DEP_3)
	v_xor_b32_e32 v7, v9, v7
	v_not_b32_e32 v8, v8
	s_nor_b32 s0, s8, vcc_lo
	s_delay_alu instid0(VALU_DEP_1)
	v_dual_mov_b32 v8, s9 :: v_dual_bitop2_b32 v6, v8, v6 bitop3:0x14
	s_and_saveexec_b32 s10, s0
	s_cbranch_execz .LBB1492_206
; %bb.205:
	s_mov_b64 s[12:13], 0x8000000000000000
	s_delay_alu instid0(VALU_DEP_1) | instid1(SALU_CYCLE_1)
	v_cmp_ne_u64_e64 s0, s[12:13], v[6:7]
	s_delay_alu instid0(VALU_DEP_1) | instskip(SKIP_2) | instid1(SALU_CYCLE_1)
	v_cndmask_b32_e64 v9, 0x7fffffff, v7, s0
	v_cndmask_b32_e64 v8, -1, v6, s0
	s_sub_co_i32 s0, s3, s2
	s_min_u32 s0, s0, 8
	s_delay_alu instid0(VALU_DEP_1) | instskip(SKIP_1) | instid1(VALU_DEP_2)
	v_lshrrev_b64 v[8:9], s2, v[8:9]
	v_lshlrev_b32_e32 v9, 2, v1
	v_bfe_u32 v8, v8, 0, s0
	s_delay_alu instid0(VALU_DEP_1)
	v_lshl_or_b32 v8, v8, 4, v9
	v_mov_b32_e32 v9, 1
	ds_add_u32 v8, v9
	v_mov_b32_e32 v8, 0
.LBB1492_206:
	s_or_b32 exec_lo, exec_lo, s10
	s_mov_b32 s11, -1
	s_mov_b32 s10, exec_lo
	s_delay_alu instid0(VALU_DEP_1)
	v_cmpx_gt_i32_e32 10, v8
; %bb.207:
	v_cmp_eq_u32_e64 s0, 0, v8
	s_or_not1_b32 s11, s0, exec_lo
; %bb.208:
	s_or_b32 exec_lo, exec_lo, s10
	s_and_saveexec_b32 s10, s11
	s_cbranch_execz .LBB1492_241
; %bb.209:
	s_add_co_i32 s12, s2, 8
	s_delay_alu instid0(SALU_CYCLE_1) | instskip(SKIP_1) | instid1(SALU_CYCLE_1)
	s_cmp_le_u32 s3, s12
	s_cselect_b32 s0, -1, 0
	s_and_b32 s11, s0, exec_lo
	s_cselect_b32 s11, 8, 10
	s_nor_b32 s0, s0, vcc_lo
	v_mov_b32_e32 v8, s11
	s_and_saveexec_b32 s11, s0
	s_cbranch_execz .LBB1492_211
; %bb.210:
	s_mov_b64 s[14:15], 0x8000000000000000
	s_delay_alu instid0(SALU_CYCLE_1) | instskip(NEXT) | instid1(VALU_DEP_1)
	v_cmp_ne_u64_e64 s0, s[14:15], v[6:7]
	v_cndmask_b32_e64 v9, 0x7fffffff, v7, s0
	v_cndmask_b32_e64 v8, -1, v6, s0
	s_sub_co_i32 s0, s3, s12
	s_delay_alu instid0(SALU_CYCLE_1) | instskip(NEXT) | instid1(VALU_DEP_1)
	s_min_u32 s0, s0, 8
	v_lshrrev_b64 v[8:9], s12, v[8:9]
	v_lshlrev_b32_e32 v9, 2, v1
	s_delay_alu instid0(VALU_DEP_2) | instskip(NEXT) | instid1(VALU_DEP_1)
	v_bfe_u32 v8, v8, 0, s0
	v_lshl_or_b32 v8, v8, 4, v9
	v_mov_b32_e32 v9, 1
	ds_add_u32 v8, v9 offset:4096
	v_mov_b32_e32 v8, 0
.LBB1492_211:
	s_or_b32 exec_lo, exec_lo, s11
	s_mov_b32 s11, -1
	s_mov_b32 s12, exec_lo
	s_delay_alu instid0(VALU_DEP_1)
	v_cmpx_gt_i32_e32 10, v8
; %bb.212:
	v_cmp_eq_u32_e64 s0, 0, v8
	s_or_not1_b32 s11, s0, exec_lo
; %bb.213:
	s_or_b32 exec_lo, exec_lo, s12
	s_delay_alu instid0(SALU_CYCLE_1)
	s_and_b32 exec_lo, exec_lo, s11
	s_cbranch_execz .LBB1492_241
; %bb.214:
	s_add_co_i32 s12, s2, 16
	s_delay_alu instid0(SALU_CYCLE_1) | instskip(SKIP_1) | instid1(SALU_CYCLE_1)
	s_cmp_le_u32 s3, s12
	s_cselect_b32 s0, -1, 0
	s_and_b32 s11, s0, exec_lo
	s_cselect_b32 s11, 8, 10
	s_nor_b32 s0, s0, vcc_lo
	v_mov_b32_e32 v8, s11
	s_and_saveexec_b32 s11, s0
	s_cbranch_execz .LBB1492_216
; %bb.215:
	s_mov_b64 s[14:15], 0x8000000000000000
	s_delay_alu instid0(SALU_CYCLE_1) | instskip(NEXT) | instid1(VALU_DEP_1)
	v_cmp_ne_u64_e64 s0, s[14:15], v[6:7]
	v_cndmask_b32_e64 v9, 0x7fffffff, v7, s0
	v_cndmask_b32_e64 v8, -1, v6, s0
	s_sub_co_i32 s0, s3, s12
	s_delay_alu instid0(SALU_CYCLE_1) | instskip(NEXT) | instid1(VALU_DEP_1)
	s_min_u32 s0, s0, 8
	v_lshrrev_b64 v[8:9], s12, v[8:9]
	v_lshlrev_b32_e32 v9, 2, v1
	s_delay_alu instid0(VALU_DEP_2) | instskip(NEXT) | instid1(VALU_DEP_1)
	v_bfe_u32 v8, v8, 0, s0
	v_lshl_or_b32 v8, v8, 4, v9
	v_mov_b32_e32 v9, 1
	ds_add_u32 v8, v9 offset:8192
	v_mov_b32_e32 v8, 0
.LBB1492_216:
	s_or_b32 exec_lo, exec_lo, s11
	s_mov_b32 s11, -1
	s_mov_b32 s12, exec_lo
	s_delay_alu instid0(VALU_DEP_1)
	v_cmpx_gt_i32_e32 10, v8
; %bb.217:
	v_cmp_eq_u32_e64 s0, 0, v8
	s_or_not1_b32 s11, s0, exec_lo
; %bb.218:
	s_or_b32 exec_lo, exec_lo, s12
	s_delay_alu instid0(SALU_CYCLE_1)
	s_and_b32 exec_lo, exec_lo, s11
	;; [unrolled: 42-line block ×6, first 2 shown]
	s_cbranch_execz .LBB1492_241
; %bb.239:
	s_add_co_i32 s0, s2, 56
	s_delay_alu instid0(SALU_CYCLE_1) | instskip(SKIP_2) | instid1(SALU_CYCLE_1)
	s_cmp_gt_u32 s3, s0
	s_cselect_b32 s11, -1, 0
	s_xor_b32 s12, vcc_lo, -1
	s_and_b32 s11, s11, s12
	s_delay_alu instid0(SALU_CYCLE_1)
	s_and_b32 exec_lo, exec_lo, s11
	s_cbranch_execz .LBB1492_241
; %bb.240:
	s_mov_b64 s[12:13], 0x8000000000000000
	s_delay_alu instid0(SALU_CYCLE_1) | instskip(SKIP_2) | instid1(VALU_DEP_1)
	v_cmp_ne_u64_e32 vcc_lo, s[12:13], v[6:7]
	v_cndmask_b32_e32 v7, 0x7fffffff, v7, vcc_lo
	v_cndmask_b32_e32 v6, -1, v6, vcc_lo
	v_lshrrev_b64 v[6:7], s0, v[6:7]
	s_sub_co_i32 s0, s3, s0
	v_lshlrev_b32_e32 v7, 2, v1
	s_min_u32 s0, s0, 8
	s_delay_alu instid0(VALU_DEP_2) | instid1(SALU_CYCLE_1)
	v_bfe_u32 v6, v6, 0, s0
	s_delay_alu instid0(VALU_DEP_1)
	v_lshl_or_b32 v6, v6, 4, v7
	v_mov_b32_e32 v7, 1
	ds_add_u32 v6, v7 offset:28672
.LBB1492_241:
	s_or_b32 exec_lo, exec_lo, s10
	v_cmp_gt_i64_e32 vcc_lo, 0, v[4:5]
	v_cndmask_b32_e64 v7, 0x7fffffff, 0, vcc_lo
	v_ashrrev_i32_e32 v6, 31, v5
	v_cmp_le_u32_e32 vcc_lo, s1, v19
	s_delay_alu instid0(VALU_DEP_3) | instskip(NEXT) | instid1(VALU_DEP_3)
	v_xor_b32_e32 v5, v7, v5
	v_not_b32_e32 v6, v6
	s_nor_b32 s0, s8, vcc_lo
	s_delay_alu instid0(VALU_DEP_1)
	v_dual_mov_b32 v6, s9 :: v_dual_bitop2_b32 v4, v6, v4 bitop3:0x14
	s_and_saveexec_b32 s10, s0
	s_cbranch_execz .LBB1492_243
; %bb.242:
	s_mov_b64 s[12:13], 0x8000000000000000
	s_delay_alu instid0(VALU_DEP_1) | instid1(SALU_CYCLE_1)
	v_cmp_ne_u64_e64 s0, s[12:13], v[4:5]
	s_delay_alu instid0(VALU_DEP_1) | instskip(SKIP_2) | instid1(SALU_CYCLE_1)
	v_cndmask_b32_e64 v7, 0x7fffffff, v5, s0
	v_cndmask_b32_e64 v6, -1, v4, s0
	s_sub_co_i32 s0, s3, s2
	s_min_u32 s0, s0, 8
	s_delay_alu instid0(VALU_DEP_1) | instskip(SKIP_1) | instid1(VALU_DEP_2)
	v_lshrrev_b64 v[6:7], s2, v[6:7]
	v_lshlrev_b32_e32 v7, 2, v1
	v_bfe_u32 v6, v6, 0, s0
	s_delay_alu instid0(VALU_DEP_1)
	v_lshl_or_b32 v6, v6, 4, v7
	v_mov_b32_e32 v7, 1
	ds_add_u32 v6, v7
	v_mov_b32_e32 v6, 0
.LBB1492_243:
	s_or_b32 exec_lo, exec_lo, s10
	s_mov_b32 s11, -1
	s_mov_b32 s10, exec_lo
	s_delay_alu instid0(VALU_DEP_1)
	v_cmpx_gt_i32_e32 10, v6
; %bb.244:
	v_cmp_eq_u32_e64 s0, 0, v6
	s_or_not1_b32 s11, s0, exec_lo
; %bb.245:
	s_or_b32 exec_lo, exec_lo, s10
	s_and_saveexec_b32 s10, s11
	s_cbranch_execz .LBB1492_278
; %bb.246:
	s_add_co_i32 s12, s2, 8
	s_delay_alu instid0(SALU_CYCLE_1) | instskip(SKIP_1) | instid1(SALU_CYCLE_1)
	s_cmp_le_u32 s3, s12
	s_cselect_b32 s0, -1, 0
	s_and_b32 s11, s0, exec_lo
	s_cselect_b32 s11, 8, 10
	s_nor_b32 s0, s0, vcc_lo
	v_mov_b32_e32 v6, s11
	s_and_saveexec_b32 s11, s0
	s_cbranch_execz .LBB1492_248
; %bb.247:
	s_mov_b64 s[14:15], 0x8000000000000000
	s_delay_alu instid0(SALU_CYCLE_1) | instskip(NEXT) | instid1(VALU_DEP_1)
	v_cmp_ne_u64_e64 s0, s[14:15], v[4:5]
	v_cndmask_b32_e64 v7, 0x7fffffff, v5, s0
	v_cndmask_b32_e64 v6, -1, v4, s0
	s_sub_co_i32 s0, s3, s12
	s_delay_alu instid0(SALU_CYCLE_1) | instskip(NEXT) | instid1(VALU_DEP_1)
	s_min_u32 s0, s0, 8
	v_lshrrev_b64 v[6:7], s12, v[6:7]
	v_lshlrev_b32_e32 v7, 2, v1
	s_delay_alu instid0(VALU_DEP_2) | instskip(NEXT) | instid1(VALU_DEP_1)
	v_bfe_u32 v6, v6, 0, s0
	v_lshl_or_b32 v6, v6, 4, v7
	v_mov_b32_e32 v7, 1
	ds_add_u32 v6, v7 offset:4096
	v_mov_b32_e32 v6, 0
.LBB1492_248:
	s_or_b32 exec_lo, exec_lo, s11
	s_mov_b32 s11, -1
	s_mov_b32 s12, exec_lo
	s_delay_alu instid0(VALU_DEP_1)
	v_cmpx_gt_i32_e32 10, v6
; %bb.249:
	v_cmp_eq_u32_e64 s0, 0, v6
	s_or_not1_b32 s11, s0, exec_lo
; %bb.250:
	s_or_b32 exec_lo, exec_lo, s12
	s_delay_alu instid0(SALU_CYCLE_1)
	s_and_b32 exec_lo, exec_lo, s11
	s_cbranch_execz .LBB1492_278
; %bb.251:
	s_add_co_i32 s12, s2, 16
	s_delay_alu instid0(SALU_CYCLE_1) | instskip(SKIP_1) | instid1(SALU_CYCLE_1)
	s_cmp_le_u32 s3, s12
	s_cselect_b32 s0, -1, 0
	s_and_b32 s11, s0, exec_lo
	s_cselect_b32 s11, 8, 10
	s_nor_b32 s0, s0, vcc_lo
	v_mov_b32_e32 v6, s11
	s_and_saveexec_b32 s11, s0
	s_cbranch_execz .LBB1492_253
; %bb.252:
	s_mov_b64 s[14:15], 0x8000000000000000
	s_delay_alu instid0(SALU_CYCLE_1) | instskip(NEXT) | instid1(VALU_DEP_1)
	v_cmp_ne_u64_e64 s0, s[14:15], v[4:5]
	v_cndmask_b32_e64 v7, 0x7fffffff, v5, s0
	v_cndmask_b32_e64 v6, -1, v4, s0
	s_sub_co_i32 s0, s3, s12
	s_delay_alu instid0(SALU_CYCLE_1) | instskip(NEXT) | instid1(VALU_DEP_1)
	s_min_u32 s0, s0, 8
	v_lshrrev_b64 v[6:7], s12, v[6:7]
	v_lshlrev_b32_e32 v7, 2, v1
	s_delay_alu instid0(VALU_DEP_2) | instskip(NEXT) | instid1(VALU_DEP_1)
	v_bfe_u32 v6, v6, 0, s0
	v_lshl_or_b32 v6, v6, 4, v7
	v_mov_b32_e32 v7, 1
	ds_add_u32 v6, v7 offset:8192
	v_mov_b32_e32 v6, 0
.LBB1492_253:
	s_or_b32 exec_lo, exec_lo, s11
	s_mov_b32 s11, -1
	s_mov_b32 s12, exec_lo
	s_delay_alu instid0(VALU_DEP_1)
	v_cmpx_gt_i32_e32 10, v6
; %bb.254:
	v_cmp_eq_u32_e64 s0, 0, v6
	s_or_not1_b32 s11, s0, exec_lo
; %bb.255:
	s_or_b32 exec_lo, exec_lo, s12
	s_delay_alu instid0(SALU_CYCLE_1)
	s_and_b32 exec_lo, exec_lo, s11
	;; [unrolled: 42-line block ×6, first 2 shown]
	s_cbranch_execz .LBB1492_278
; %bb.276:
	s_add_co_i32 s0, s2, 56
	s_delay_alu instid0(SALU_CYCLE_1) | instskip(SKIP_2) | instid1(SALU_CYCLE_1)
	s_cmp_gt_u32 s3, s0
	s_cselect_b32 s11, -1, 0
	s_xor_b32 s12, vcc_lo, -1
	s_and_b32 s11, s11, s12
	s_delay_alu instid0(SALU_CYCLE_1)
	s_and_b32 exec_lo, exec_lo, s11
	s_cbranch_execz .LBB1492_278
; %bb.277:
	s_mov_b64 s[12:13], 0x8000000000000000
	s_delay_alu instid0(SALU_CYCLE_1) | instskip(SKIP_2) | instid1(VALU_DEP_1)
	v_cmp_ne_u64_e32 vcc_lo, s[12:13], v[4:5]
	v_cndmask_b32_e32 v5, 0x7fffffff, v5, vcc_lo
	v_cndmask_b32_e32 v4, -1, v4, vcc_lo
	v_lshrrev_b64 v[4:5], s0, v[4:5]
	s_sub_co_i32 s0, s3, s0
	v_lshlrev_b32_e32 v5, 2, v1
	s_min_u32 s0, s0, 8
	s_delay_alu instid0(VALU_DEP_2) | instid1(SALU_CYCLE_1)
	v_bfe_u32 v4, v4, 0, s0
	s_delay_alu instid0(VALU_DEP_1)
	v_lshl_or_b32 v4, v4, 4, v5
	v_mov_b32_e32 v5, 1
	ds_add_u32 v4, v5 offset:28672
.LBB1492_278:
	s_or_b32 exec_lo, exec_lo, s10
	v_cmp_gt_i64_e32 vcc_lo, 0, v[2:3]
	v_cndmask_b32_e64 v5, 0x7fffffff, 0, vcc_lo
	v_ashrrev_i32_e32 v4, 31, v3
	v_cmp_le_u32_e32 vcc_lo, s1, v18
	s_delay_alu instid0(VALU_DEP_3) | instskip(NEXT) | instid1(VALU_DEP_3)
	v_xor_b32_e32 v3, v5, v3
	v_not_b32_e32 v4, v4
	s_nor_b32 s0, s8, vcc_lo
	s_delay_alu instid0(VALU_DEP_1)
	v_dual_mov_b32 v4, s9 :: v_dual_bitop2_b32 v2, v4, v2 bitop3:0x14
	s_and_saveexec_b32 s1, s0
	s_cbranch_execz .LBB1492_280
; %bb.279:
	s_mov_b64 s[8:9], 0x8000000000000000
	s_delay_alu instid0(VALU_DEP_1) | instid1(SALU_CYCLE_1)
	v_cmp_ne_u64_e64 s0, s[8:9], v[2:3]
	s_delay_alu instid0(VALU_DEP_1) | instskip(SKIP_2) | instid1(SALU_CYCLE_1)
	v_cndmask_b32_e64 v5, 0x7fffffff, v3, s0
	v_cndmask_b32_e64 v4, -1, v2, s0
	s_sub_co_i32 s0, s3, s2
	s_min_u32 s0, s0, 8
	s_delay_alu instid0(VALU_DEP_1) | instskip(SKIP_1) | instid1(VALU_DEP_2)
	v_lshrrev_b64 v[4:5], s2, v[4:5]
	v_lshlrev_b32_e32 v5, 2, v1
	v_bfe_u32 v4, v4, 0, s0
	s_delay_alu instid0(VALU_DEP_1)
	v_lshl_or_b32 v4, v4, 4, v5
	v_mov_b32_e32 v5, 1
	ds_add_u32 v4, v5
	v_mov_b32_e32 v4, 0
.LBB1492_280:
	s_or_b32 exec_lo, exec_lo, s1
	s_mov_b32 s8, -1
	s_mov_b32 s1, exec_lo
	s_delay_alu instid0(VALU_DEP_1)
	v_cmpx_gt_i32_e32 10, v4
; %bb.281:
	v_cmp_eq_u32_e64 s0, 0, v4
	s_or_not1_b32 s8, s0, exec_lo
; %bb.282:
	s_or_b32 exec_lo, exec_lo, s1
	s_and_saveexec_b32 s1, s8
	s_cbranch_execz .LBB1492_315
; %bb.283:
	s_add_co_i32 s9, s2, 8
	s_delay_alu instid0(SALU_CYCLE_1) | instskip(SKIP_1) | instid1(SALU_CYCLE_1)
	s_cmp_le_u32 s3, s9
	s_cselect_b32 s0, -1, 0
	s_and_b32 s8, s0, exec_lo
	s_cselect_b32 s8, 8, 10
	s_nor_b32 s0, s0, vcc_lo
	v_mov_b32_e32 v4, s8
	s_and_saveexec_b32 s8, s0
	s_cbranch_execz .LBB1492_285
; %bb.284:
	s_mov_b64 s[10:11], 0x8000000000000000
	s_delay_alu instid0(SALU_CYCLE_1) | instskip(NEXT) | instid1(VALU_DEP_1)
	v_cmp_ne_u64_e64 s0, s[10:11], v[2:3]
	v_cndmask_b32_e64 v5, 0x7fffffff, v3, s0
	v_cndmask_b32_e64 v4, -1, v2, s0
	s_sub_co_i32 s0, s3, s9
	s_delay_alu instid0(SALU_CYCLE_1) | instskip(NEXT) | instid1(VALU_DEP_1)
	s_min_u32 s0, s0, 8
	v_lshrrev_b64 v[4:5], s9, v[4:5]
	v_lshlrev_b32_e32 v5, 2, v1
	s_delay_alu instid0(VALU_DEP_2) | instskip(NEXT) | instid1(VALU_DEP_1)
	v_bfe_u32 v4, v4, 0, s0
	v_lshl_or_b32 v4, v4, 4, v5
	v_mov_b32_e32 v5, 1
	ds_add_u32 v4, v5 offset:4096
	v_mov_b32_e32 v4, 0
.LBB1492_285:
	s_or_b32 exec_lo, exec_lo, s8
	s_mov_b32 s8, -1
	s_mov_b32 s9, exec_lo
	s_delay_alu instid0(VALU_DEP_1)
	v_cmpx_gt_i32_e32 10, v4
; %bb.286:
	v_cmp_eq_u32_e64 s0, 0, v4
	s_or_not1_b32 s8, s0, exec_lo
; %bb.287:
	s_or_b32 exec_lo, exec_lo, s9
	s_delay_alu instid0(SALU_CYCLE_1)
	s_and_b32 exec_lo, exec_lo, s8
	s_cbranch_execz .LBB1492_315
; %bb.288:
	s_add_co_i32 s9, s2, 16
	s_delay_alu instid0(SALU_CYCLE_1) | instskip(SKIP_1) | instid1(SALU_CYCLE_1)
	s_cmp_le_u32 s3, s9
	s_cselect_b32 s0, -1, 0
	s_and_b32 s8, s0, exec_lo
	s_cselect_b32 s8, 8, 10
	s_nor_b32 s0, s0, vcc_lo
	v_mov_b32_e32 v4, s8
	s_and_saveexec_b32 s8, s0
	s_cbranch_execz .LBB1492_290
; %bb.289:
	s_mov_b64 s[10:11], 0x8000000000000000
	s_delay_alu instid0(SALU_CYCLE_1) | instskip(NEXT) | instid1(VALU_DEP_1)
	v_cmp_ne_u64_e64 s0, s[10:11], v[2:3]
	v_cndmask_b32_e64 v5, 0x7fffffff, v3, s0
	v_cndmask_b32_e64 v4, -1, v2, s0
	s_sub_co_i32 s0, s3, s9
	s_delay_alu instid0(SALU_CYCLE_1) | instskip(NEXT) | instid1(VALU_DEP_1)
	s_min_u32 s0, s0, 8
	v_lshrrev_b64 v[4:5], s9, v[4:5]
	v_lshlrev_b32_e32 v5, 2, v1
	s_delay_alu instid0(VALU_DEP_2) | instskip(NEXT) | instid1(VALU_DEP_1)
	v_bfe_u32 v4, v4, 0, s0
	v_lshl_or_b32 v4, v4, 4, v5
	v_mov_b32_e32 v5, 1
	ds_add_u32 v4, v5 offset:8192
	v_mov_b32_e32 v4, 0
.LBB1492_290:
	s_or_b32 exec_lo, exec_lo, s8
	s_mov_b32 s8, -1
	s_mov_b32 s9, exec_lo
	s_delay_alu instid0(VALU_DEP_1)
	v_cmpx_gt_i32_e32 10, v4
; %bb.291:
	v_cmp_eq_u32_e64 s0, 0, v4
	s_or_not1_b32 s8, s0, exec_lo
; %bb.292:
	s_or_b32 exec_lo, exec_lo, s9
	s_delay_alu instid0(SALU_CYCLE_1)
	s_and_b32 exec_lo, exec_lo, s8
	;; [unrolled: 42-line block ×6, first 2 shown]
	s_cbranch_execz .LBB1492_315
; %bb.313:
	s_add_co_i32 s0, s2, 56
	s_delay_alu instid0(SALU_CYCLE_1) | instskip(SKIP_2) | instid1(SALU_CYCLE_1)
	s_cmp_gt_u32 s3, s0
	s_cselect_b32 s8, -1, 0
	s_xor_b32 s9, vcc_lo, -1
	s_and_b32 s8, s8, s9
	s_delay_alu instid0(SALU_CYCLE_1)
	s_and_b32 exec_lo, exec_lo, s8
	s_cbranch_execz .LBB1492_315
; %bb.314:
	s_mov_b64 s[8:9], 0x8000000000000000
	v_lshlrev_b32_e32 v1, 2, v1
	v_cmp_ne_u64_e32 vcc_lo, s[8:9], v[2:3]
	v_cndmask_b32_e32 v3, 0x7fffffff, v3, vcc_lo
	v_cndmask_b32_e32 v2, -1, v2, vcc_lo
	s_delay_alu instid0(VALU_DEP_1) | instskip(SKIP_1) | instid1(SALU_CYCLE_1)
	v_lshrrev_b64 v[2:3], s0, v[2:3]
	s_sub_co_i32 s0, s3, s0
	s_min_u32 s0, s0, 8
	s_delay_alu instid0(VALU_DEP_1) | instid1(SALU_CYCLE_1)
	v_bfe_u32 v2, v2, 0, s0
	s_delay_alu instid0(VALU_DEP_1)
	v_lshl_or_b32 v1, v2, 4, v1
	v_mov_b32_e32 v2, 1
	ds_add_u32 v1, v2 offset:28672
.LBB1492_315:
	s_or_b32 exec_lo, exec_lo, s1
	s_cmp_gt_u32 s3, s2
	s_wait_dscnt 0x0
	s_barrier_signal -1
	s_barrier_wait -1
	s_cbranch_scc0 .LBB1492_320
; %bb.316:
	v_dual_lshlrev_b32 v1, 4, v0 :: v_dual_mov_b32 v3, 0
	v_mov_b32_e32 v4, v0
	s_mov_b32 s0, s2
	v_cmp_gt_u32_e32 vcc_lo, 0x100, v0
	s_branch .LBB1492_318
.LBB1492_317:                           ;   in Loop: Header=BB1492_318 Depth=1
	s_wait_xcnt 0x0
	s_or_b32 exec_lo, exec_lo, s1
	v_add_nc_u32_e32 v4, 0x100, v4
	v_add_nc_u32_e32 v1, 0x1000, v1
	s_add_co_i32 s0, s0, 8
	s_delay_alu instid0(SALU_CYCLE_1)
	s_cmp_lt_u32 s0, s3
	s_cbranch_scc0 .LBB1492_320
.LBB1492_318:                           ; =>This Inner Loop Header: Depth=1
	s_and_saveexec_b32 s1, vcc_lo
	s_cbranch_execz .LBB1492_317
; %bb.319:                              ;   in Loop: Header=BB1492_318 Depth=1
	ds_load_2addr_b32 v[6:7], v1 offset1:1
	ds_load_2addr_b32 v[8:9], v1 offset0:2 offset1:3
	s_wait_dscnt 0x1
	v_add_nc_u32_e32 v2, v7, v6
	s_wait_dscnt 0x0
	s_delay_alu instid0(VALU_DEP_1)
	v_add3_u32 v2, v2, v8, v9
	global_atomic_add_u64 v4, v[2:3], s[6:7] scale_offset scope:SCOPE_DEV
	s_branch .LBB1492_317
.LBB1492_320:
	s_mov_b32 s9, 0
.LBB1492_321:
	s_delay_alu instid0(SALU_CYCLE_1)
	s_and_b32 vcc_lo, exec_lo, s9
	s_cbranch_vccz .LBB1492_417
; %bb.322:
	s_clause 0x7
	global_load_b64 v[16:17], v0, s[4:5] scale_offset
	global_load_b64 v[14:15], v0, s[4:5] offset:4096 scale_offset
	global_load_b64 v[12:13], v0, s[4:5] offset:8192 scale_offset
	;; [unrolled: 1-line block ×7, first 2 shown]
	s_cmp_eq_u32 s2, 0
	v_dual_mov_b32 v18, 0 :: v_dual_lshlrev_b32 v22, 2, v0
	s_cselect_b32 s1, -1, 0
	s_cmp_eq_u32 s3, 64
	v_or_b32_e32 v1, 0xfffffe00, v0
	s_wait_xcnt 0x0
	s_cselect_b32 s4, -1, 0
	s_mov_b32 s0, 0
	s_and_b32 s1, s1, s4
	s_delay_alu instid0(SALU_CYCLE_1)
	s_and_b32 vcc_lo, exec_lo, s1
	s_mov_b32 s1, -1
	s_cbranch_vccnz .LBB1492_412
; %bb.323:
	v_or_b32_e32 v19, 0xfffffe00, v0
	v_lshlrev_b32_e32 v20, 2, v0
.LBB1492_324:                           ; =>This Inner Loop Header: Depth=1
	s_delay_alu instid0(VALU_DEP_2) | instskip(SKIP_4) | instid1(SALU_CYCLE_1)
	v_add_nc_u32_e32 v19, 0x200, v19
	ds_store_b32 v20, v18
	v_add_nc_u32_e32 v20, 0x800, v20
	v_cmp_lt_u32_e32 vcc_lo, 0x1dff, v19
	s_or_b32 s0, vcc_lo, s0
	s_and_not1_b32 exec_lo, exec_lo, s0
	s_cbranch_execnz .LBB1492_324
; %bb.325:
	s_or_b32 exec_lo, exec_lo, s0
	s_cmp_gt_u32 s3, s2
	s_wait_storecnt 0x0
	s_wait_loadcnt_dscnt 0x0
	s_cselect_b32 s4, -1, 0
	s_barrier_signal -1
	s_and_b32 vcc_lo, exec_lo, s4
	s_barrier_wait -1
	s_cbranch_vccz .LBB1492_406
; %bb.326:
	v_cmp_gt_i64_e32 vcc_lo, 0, v[16:17]
	v_and_b32_e32 v23, 3, v0
	s_mov_b64 s[0:1], 0x8000000000000000
	s_sub_co_i32 s5, s3, s2
	s_add_co_i32 s8, s2, 8
	s_min_u32 s5, s5, 8
	s_mov_b32 s10, 0
	v_cndmask_b32_e64 v19, 0x7fffffff, 0, vcc_lo
	v_ashrrev_i32_e32 v18, 31, v17
	s_lshl_b32 s5, -1, s5
	s_mov_b32 s11, -1
                                        ; implicit-def: $vgpr25
	s_delay_alu instid0(VALU_DEP_2) | instskip(NEXT) | instid1(VALU_DEP_2)
	v_dual_lshlrev_b32 v24, 2, v23 :: v_dual_bitop2_b32 v19, v19, v17 bitop3:0x14
	v_not_b32_e32 v18, v18
	s_delay_alu instid0(VALU_DEP_1) | instskip(NEXT) | instid1(VALU_DEP_1)
	v_xor_b32_e32 v18, v18, v16
	v_cmp_ne_u64_e32 vcc_lo, s[0:1], v[18:19]
	v_cndmask_b32_e32 v19, 0x7fffffff, v19, vcc_lo
	v_cndmask_b32_e32 v18, -1, v18, vcc_lo
	v_cmp_gt_i64_e32 vcc_lo, 0, v[14:15]
	s_delay_alu instid0(VALU_DEP_2) | instskip(SKIP_1) | instid1(VALU_DEP_2)
	v_lshrrev_b64 v[20:21], s2, v[18:19]
	v_mov_b32_e32 v21, 1
	v_bitop3_b32 v20, v20, s5, v20 bitop3:0x30
	s_not_b32 s5, s5
	s_cmp_le_u32 s3, s8
	s_cselect_b32 s9, -1, 0
	s_delay_alu instid0(VALU_DEP_1) | instskip(SKIP_4) | instid1(VALU_DEP_2)
	v_lshl_or_b32 v20, v20, 4, v24
	ds_add_u32 v20, v21
	v_ashrrev_i32_e32 v20, 31, v15
	v_cndmask_b32_e64 v21, 0x7fffffff, 0, vcc_lo
	s_and_b32 vcc_lo, exec_lo, s9
	v_not_b32_e32 v20, v20
	s_delay_alu instid0(VALU_DEP_2) | instskip(NEXT) | instid1(VALU_DEP_2)
	v_xor_b32_e32 v21, v21, v15
	v_xor_b32_e32 v20, v20, v14
	s_cbranch_vccz .LBB1492_328
; %bb.327:
	s_delay_alu instid0(VALU_DEP_1) | instskip(SKIP_4) | instid1(VALU_DEP_1)
	v_cmp_ne_u64_e32 vcc_lo, s[0:1], v[20:21]
	s_mov_b32 s10, -1
	s_mov_b32 s11, 0
	v_cndmask_b32_e32 v27, 0x7fffffff, v21, vcc_lo
	v_cndmask_b32_e32 v26, -1, v20, vcc_lo
	v_lshrrev_b64 v[26:27], s2, v[26:27]
	s_delay_alu instid0(VALU_DEP_1) | instskip(NEXT) | instid1(VALU_DEP_1)
	v_and_b32_e32 v25, s5, v26
	v_lshlrev_b32_e32 v25, 4, v25
.LBB1492_328:
	s_and_not1_b32 vcc_lo, exec_lo, s11
	s_cbranch_vccnz .LBB1492_344
; %bb.329:
	v_lshrrev_b64 v[26:27], s8, v[18:19]
	s_sub_co_i32 s0, s3, s8
	s_delay_alu instid0(SALU_CYCLE_1) | instskip(NEXT) | instid1(SALU_CYCLE_1)
	s_min_u32 s0, s0, 8
	s_lshl_b32 s1, -1, s0
	s_add_co_i32 s0, s2, 16
	s_delay_alu instid0(VALU_DEP_1) | instskip(SKIP_3) | instid1(VALU_DEP_1)
	v_bitop3_b32 v25, v26, s1, v26 bitop3:0x30
	s_not_b32 s11, s1
	s_cmp_gt_u32 s3, s0
	s_cselect_b32 s1, -1, 0
	v_lshl_or_b32 v26, v25, 4, v24
	v_mov_b32_e32 v25, 1
	s_cmp_le_u32 s3, s0
	ds_add_u32 v26, v25 offset:4096
	s_cbranch_scc1 .LBB1492_336
; %bb.330:
	v_lshrrev_b64 v[26:27], s0, v[18:19]
	s_sub_co_i32 s12, s3, s0
	s_delay_alu instid0(SALU_CYCLE_1)
	s_min_u32 s12, s12, 8
	s_delay_alu instid0(VALU_DEP_1) | instid1(SALU_CYCLE_1)
	v_bfe_u32 v26, v26, 0, s12
	s_add_co_i32 s12, s2, 24
	s_delay_alu instid0(SALU_CYCLE_1) | instskip(NEXT) | instid1(VALU_DEP_1)
	s_cmp_le_u32 s3, s12
	v_lshl_or_b32 v26, v26, 4, v24
	ds_add_u32 v26, v25 offset:8192
	s_cbranch_scc1 .LBB1492_336
; %bb.331:
	v_lshrrev_b64 v[26:27], s12, v[18:19]
	s_sub_co_i32 s12, s3, s12
	s_delay_alu instid0(SALU_CYCLE_1)
	s_min_u32 s12, s12, 8
	s_delay_alu instid0(VALU_DEP_1) | instid1(SALU_CYCLE_1)
	v_bfe_u32 v26, v26, 0, s12
	s_add_co_i32 s12, s2, 32
	s_delay_alu instid0(SALU_CYCLE_1) | instskip(NEXT) | instid1(VALU_DEP_1)
	s_cmp_le_u32 s3, s12
	v_lshl_or_b32 v27, v26, 4, v24
	v_mov_b32_e32 v26, 1
	ds_add_u32 v27, v26 offset:12288
	s_cbranch_scc1 .LBB1492_336
; %bb.332:
	v_lshrrev_b64 v[28:29], s12, v[18:19]
	s_sub_co_i32 s12, s3, s12
	s_delay_alu instid0(SALU_CYCLE_1)
	s_min_u32 s12, s12, 8
	s_delay_alu instid0(VALU_DEP_1) | instid1(SALU_CYCLE_1)
	v_bfe_u32 v27, v28, 0, s12
	s_add_co_i32 s12, s2, 40
	s_delay_alu instid0(SALU_CYCLE_1) | instskip(NEXT) | instid1(VALU_DEP_1)
	s_cmp_le_u32 s3, s12
	v_lshl_or_b32 v27, v27, 4, v24
	ds_add_u32 v27, v26 offset:16384
	s_cbranch_scc1 .LBB1492_336
; %bb.333:
	v_lshrrev_b64 v[26:27], s12, v[18:19]
	s_sub_co_i32 s12, s3, s12
	s_delay_alu instid0(SALU_CYCLE_1)
	s_min_u32 s12, s12, 8
	s_delay_alu instid0(VALU_DEP_1) | instid1(SALU_CYCLE_1)
	v_bfe_u32 v26, v26, 0, s12
	s_add_co_i32 s12, s2, 48
	s_delay_alu instid0(SALU_CYCLE_1) | instskip(NEXT) | instid1(VALU_DEP_1)
	s_cmp_le_u32 s3, s12
	v_lshl_or_b32 v27, v26, 4, v24
	v_mov_b32_e32 v26, 1
	ds_add_u32 v27, v26 offset:20480
	s_cbranch_scc1 .LBB1492_336
; %bb.334:
	v_lshrrev_b64 v[28:29], s12, v[18:19]
	s_sub_co_i32 s12, s3, s12
	s_delay_alu instid0(SALU_CYCLE_1)
	s_min_u32 s12, s12, 8
	s_delay_alu instid0(VALU_DEP_1) | instid1(SALU_CYCLE_1)
	v_bfe_u32 v27, v28, 0, s12
	s_add_co_i32 s12, s2, 56
	s_delay_alu instid0(SALU_CYCLE_1) | instskip(NEXT) | instid1(VALU_DEP_1)
	s_cmp_le_u32 s3, s12
	v_lshl_or_b32 v27, v27, 4, v24
	ds_add_u32 v27, v26 offset:24576
	s_cbranch_scc1 .LBB1492_336
; %bb.335:
	v_lshrrev_b64 v[18:19], s12, v[18:19]
	s_sub_co_i32 s12, s3, s12
	v_mov_b32_e32 v19, 1
	s_min_u32 s12, s12, 8
	s_delay_alu instid0(VALU_DEP_2) | instid1(SALU_CYCLE_1)
	v_bfe_u32 v18, v18, 0, s12
	s_delay_alu instid0(VALU_DEP_1)
	v_lshl_or_b32 v18, v18, 4, v24
	ds_add_u32 v18, v19 offset:28672
.LBB1492_336:
	s_mov_b64 s[12:13], 0x8000000000000000
	s_delay_alu instid0(SALU_CYCLE_1) | instskip(SKIP_3) | instid1(VALU_DEP_1)
	v_cmp_ne_u64_e32 vcc_lo, s[12:13], v[20:21]
	v_cndmask_b32_e32 v19, 0x7fffffff, v21, vcc_lo
	v_cndmask_b32_e32 v18, -1, v20, vcc_lo
	s_and_not1_b32 vcc_lo, exec_lo, s1
	v_lshrrev_b64 v[20:21], s2, v[18:19]
	s_delay_alu instid0(VALU_DEP_1) | instskip(SKIP_1) | instid1(VALU_DEP_2)
	v_and_b32_e32 v20, s5, v20
	v_lshrrev_b64 v[26:27], s8, v[18:19]
	v_lshl_or_b32 v20, v20, 4, v24
	s_delay_alu instid0(VALU_DEP_2) | instskip(NEXT) | instid1(VALU_DEP_1)
	v_and_b32_e32 v21, s11, v26
	v_lshl_or_b32 v21, v21, 4, v24
	ds_add_u32 v20, v25
	ds_add_u32 v21, v25 offset:4096
	s_cbranch_vccnz .LBB1492_343
; %bb.337:
	v_lshrrev_b64 v[20:21], s0, v[18:19]
	s_sub_co_i32 s0, s3, s0
	s_delay_alu instid0(SALU_CYCLE_1)
	s_min_u32 s0, s0, 8
	s_delay_alu instid0(VALU_DEP_1) | instid1(SALU_CYCLE_1)
	v_bfe_u32 v20, v20, 0, s0
	s_add_co_i32 s0, s2, 24
	s_delay_alu instid0(SALU_CYCLE_1) | instskip(NEXT) | instid1(VALU_DEP_1)
	s_cmp_gt_u32 s3, s0
	v_lshl_or_b32 v21, v20, 4, v24
	v_mov_b32_e32 v20, 1
	ds_add_u32 v21, v20 offset:8192
	s_cbranch_scc0 .LBB1492_343
; %bb.338:
	v_lshrrev_b64 v[26:27], s0, v[18:19]
	s_sub_co_i32 s0, s3, s0
	s_delay_alu instid0(SALU_CYCLE_1)
	s_min_u32 s0, s0, 8
	s_delay_alu instid0(VALU_DEP_1) | instid1(SALU_CYCLE_1)
	v_bfe_u32 v21, v26, 0, s0
	s_add_co_i32 s0, s2, 32
	s_delay_alu instid0(SALU_CYCLE_1) | instskip(NEXT) | instid1(VALU_DEP_1)
	s_cmp_gt_u32 s3, s0
	v_lshl_or_b32 v21, v21, 4, v24
	ds_add_u32 v21, v20 offset:12288
	s_cbranch_scc0 .LBB1492_343
; %bb.339:
	v_lshrrev_b64 v[20:21], s0, v[18:19]
	s_sub_co_i32 s0, s3, s0
	s_delay_alu instid0(SALU_CYCLE_1)
	s_min_u32 s0, s0, 8
	s_delay_alu instid0(VALU_DEP_1) | instid1(SALU_CYCLE_1)
	v_bfe_u32 v20, v20, 0, s0
	s_add_co_i32 s0, s2, 40
	s_delay_alu instid0(SALU_CYCLE_1) | instskip(NEXT) | instid1(VALU_DEP_1)
	s_cmp_gt_u32 s3, s0
	v_lshl_or_b32 v21, v20, 4, v24
	v_mov_b32_e32 v20, 1
	ds_add_u32 v21, v20 offset:16384
	s_cbranch_scc0 .LBB1492_343
; %bb.340:
	v_lshrrev_b64 v[26:27], s0, v[18:19]
	s_sub_co_i32 s0, s3, s0
	s_delay_alu instid0(SALU_CYCLE_1)
	s_min_u32 s0, s0, 8
	s_delay_alu instid0(VALU_DEP_1) | instid1(SALU_CYCLE_1)
	v_bfe_u32 v21, v26, 0, s0
	s_add_co_i32 s0, s2, 48
	s_delay_alu instid0(SALU_CYCLE_1) | instskip(NEXT) | instid1(VALU_DEP_1)
	s_cmp_gt_u32 s3, s0
	v_lshl_or_b32 v21, v21, 4, v24
	ds_add_u32 v21, v20 offset:20480
	s_cbranch_scc0 .LBB1492_343
; %bb.341:
	v_lshrrev_b64 v[20:21], s0, v[18:19]
	s_sub_co_i32 s0, s3, s0
	v_mov_b32_e32 v21, 1
	s_min_u32 s0, s0, 8
                                        ; implicit-def: $vgpr25
	s_delay_alu instid0(VALU_DEP_2) | instid1(SALU_CYCLE_1)
	v_bfe_u32 v20, v20, 0, s0
	s_add_co_i32 s0, s2, 56
	s_delay_alu instid0(SALU_CYCLE_1) | instskip(NEXT) | instid1(VALU_DEP_1)
	s_cmp_gt_u32 s3, s0
	v_lshl_or_b32 v20, v20, 4, v24
	ds_add_u32 v20, v21 offset:24576
	s_cbranch_scc0 .LBB1492_344
; %bb.342:
	v_lshrrev_b64 v[18:19], s0, v[18:19]
	s_sub_co_i32 s0, s3, s0
	s_mov_b32 s10, -1
	s_min_u32 s0, s0, 8
	s_delay_alu instid0(VALU_DEP_1) | instid1(SALU_CYCLE_1)
	v_bfe_u32 v18, v18, 0, s0
	s_delay_alu instid0(VALU_DEP_1)
	v_lshl_add_u32 v25, v18, 4, 0x7000
	s_branch .LBB1492_344
.LBB1492_343:
                                        ; implicit-def: $vgpr25
.LBB1492_344:
	s_and_b32 vcc_lo, exec_lo, s10
	s_cbranch_vccz .LBB1492_346
; %bb.345:
	s_delay_alu instid0(VALU_DEP_1)
	v_lshl_add_u32 v18, v23, 2, v25
	v_mov_b32_e32 v19, 1
	ds_add_u32 v18, v19
.LBB1492_346:
	v_cmp_gt_i64_e32 vcc_lo, 0, v[12:13]
	s_mov_b64 s[0:1], 0x8000000000000000
	s_mov_b32 s10, 0
	s_mov_b32 s11, -1
                                        ; implicit-def: $vgpr25
	v_cndmask_b32_e64 v19, 0x7fffffff, 0, vcc_lo
	s_delay_alu instid0(VALU_DEP_1) | instskip(NEXT) | instid1(VALU_DEP_1)
	v_dual_ashrrev_i32 v18, 31, v13 :: v_dual_bitop2_b32 v19, v19, v13 bitop3:0x14
	v_not_b32_e32 v18, v18
	s_delay_alu instid0(VALU_DEP_1) | instskip(NEXT) | instid1(VALU_DEP_1)
	v_xor_b32_e32 v18, v18, v12
	v_cmp_ne_u64_e32 vcc_lo, s[0:1], v[18:19]
	v_cndmask_b32_e32 v19, 0x7fffffff, v19, vcc_lo
	v_cndmask_b32_e32 v18, -1, v18, vcc_lo
	v_cmp_gt_i64_e32 vcc_lo, 0, v[10:11]
	s_delay_alu instid0(VALU_DEP_2) | instskip(NEXT) | instid1(VALU_DEP_1)
	v_lshrrev_b64 v[20:21], s2, v[18:19]
	v_dual_mov_b32 v21, 1 :: v_dual_bitop2_b32 v20, s5, v20 bitop3:0x40
	s_delay_alu instid0(VALU_DEP_1) | instskip(SKIP_4) | instid1(VALU_DEP_2)
	v_lshl_or_b32 v20, v20, 4, v24
	ds_add_u32 v20, v21
	v_cndmask_b32_e64 v21, 0x7fffffff, 0, vcc_lo
	v_ashrrev_i32_e32 v20, 31, v11
	s_and_b32 vcc_lo, exec_lo, s9
	v_xor_b32_e32 v21, v21, v11
	s_delay_alu instid0(VALU_DEP_2) | instskip(NEXT) | instid1(VALU_DEP_1)
	v_not_b32_e32 v20, v20
	v_xor_b32_e32 v20, v20, v10
	s_cbranch_vccz .LBB1492_348
; %bb.347:
	s_delay_alu instid0(VALU_DEP_1) | instskip(SKIP_4) | instid1(VALU_DEP_1)
	v_cmp_ne_u64_e32 vcc_lo, s[0:1], v[20:21]
	s_mov_b32 s10, -1
	s_mov_b32 s11, 0
	v_cndmask_b32_e32 v27, 0x7fffffff, v21, vcc_lo
	v_cndmask_b32_e32 v26, -1, v20, vcc_lo
	v_lshrrev_b64 v[26:27], s2, v[26:27]
	s_delay_alu instid0(VALU_DEP_1) | instskip(NEXT) | instid1(VALU_DEP_1)
	v_and_b32_e32 v25, s5, v26
	v_lshlrev_b32_e32 v25, 4, v25
.LBB1492_348:
	s_and_not1_b32 vcc_lo, exec_lo, s11
	s_cbranch_vccnz .LBB1492_364
; %bb.349:
	v_lshrrev_b64 v[26:27], s8, v[18:19]
	s_sub_co_i32 s0, s3, s8
	s_delay_alu instid0(SALU_CYCLE_1) | instskip(NEXT) | instid1(SALU_CYCLE_1)
	s_min_u32 s0, s0, 8
	s_lshl_b32 s1, -1, s0
	s_add_co_i32 s0, s2, 16
	s_delay_alu instid0(VALU_DEP_1) | instskip(SKIP_3) | instid1(VALU_DEP_1)
	v_bitop3_b32 v25, v26, s1, v26 bitop3:0x30
	s_not_b32 s11, s1
	s_cmp_gt_u32 s3, s0
	s_cselect_b32 s1, -1, 0
	v_lshl_or_b32 v26, v25, 4, v24
	v_mov_b32_e32 v25, 1
	s_cmp_le_u32 s3, s0
	ds_add_u32 v26, v25 offset:4096
	s_cbranch_scc1 .LBB1492_356
; %bb.350:
	v_lshrrev_b64 v[26:27], s0, v[18:19]
	s_sub_co_i32 s12, s3, s0
	s_delay_alu instid0(SALU_CYCLE_1)
	s_min_u32 s12, s12, 8
	s_delay_alu instid0(VALU_DEP_1) | instid1(SALU_CYCLE_1)
	v_bfe_u32 v26, v26, 0, s12
	s_add_co_i32 s12, s2, 24
	s_delay_alu instid0(SALU_CYCLE_1) | instskip(NEXT) | instid1(VALU_DEP_1)
	s_cmp_le_u32 s3, s12
	v_lshl_or_b32 v26, v26, 4, v24
	ds_add_u32 v26, v25 offset:8192
	s_cbranch_scc1 .LBB1492_356
; %bb.351:
	v_lshrrev_b64 v[26:27], s12, v[18:19]
	s_sub_co_i32 s12, s3, s12
	s_delay_alu instid0(SALU_CYCLE_1)
	s_min_u32 s12, s12, 8
	s_delay_alu instid0(VALU_DEP_1) | instid1(SALU_CYCLE_1)
	v_bfe_u32 v26, v26, 0, s12
	s_add_co_i32 s12, s2, 32
	s_delay_alu instid0(SALU_CYCLE_1) | instskip(NEXT) | instid1(VALU_DEP_1)
	s_cmp_le_u32 s3, s12
	v_lshl_or_b32 v27, v26, 4, v24
	v_mov_b32_e32 v26, 1
	ds_add_u32 v27, v26 offset:12288
	s_cbranch_scc1 .LBB1492_356
; %bb.352:
	v_lshrrev_b64 v[28:29], s12, v[18:19]
	s_sub_co_i32 s12, s3, s12
	s_delay_alu instid0(SALU_CYCLE_1)
	s_min_u32 s12, s12, 8
	s_delay_alu instid0(VALU_DEP_1) | instid1(SALU_CYCLE_1)
	v_bfe_u32 v27, v28, 0, s12
	s_add_co_i32 s12, s2, 40
	s_delay_alu instid0(SALU_CYCLE_1) | instskip(NEXT) | instid1(VALU_DEP_1)
	s_cmp_le_u32 s3, s12
	v_lshl_or_b32 v27, v27, 4, v24
	ds_add_u32 v27, v26 offset:16384
	s_cbranch_scc1 .LBB1492_356
; %bb.353:
	v_lshrrev_b64 v[26:27], s12, v[18:19]
	s_sub_co_i32 s12, s3, s12
	s_delay_alu instid0(SALU_CYCLE_1)
	s_min_u32 s12, s12, 8
	s_delay_alu instid0(VALU_DEP_1) | instid1(SALU_CYCLE_1)
	v_bfe_u32 v26, v26, 0, s12
	s_add_co_i32 s12, s2, 48
	s_delay_alu instid0(SALU_CYCLE_1) | instskip(NEXT) | instid1(VALU_DEP_1)
	s_cmp_le_u32 s3, s12
	v_lshl_or_b32 v27, v26, 4, v24
	v_mov_b32_e32 v26, 1
	ds_add_u32 v27, v26 offset:20480
	s_cbranch_scc1 .LBB1492_356
; %bb.354:
	v_lshrrev_b64 v[28:29], s12, v[18:19]
	s_sub_co_i32 s12, s3, s12
	s_delay_alu instid0(SALU_CYCLE_1)
	s_min_u32 s12, s12, 8
	s_delay_alu instid0(VALU_DEP_1) | instid1(SALU_CYCLE_1)
	v_bfe_u32 v27, v28, 0, s12
	s_add_co_i32 s12, s2, 56
	s_delay_alu instid0(SALU_CYCLE_1) | instskip(NEXT) | instid1(VALU_DEP_1)
	s_cmp_le_u32 s3, s12
	v_lshl_or_b32 v27, v27, 4, v24
	ds_add_u32 v27, v26 offset:24576
	s_cbranch_scc1 .LBB1492_356
; %bb.355:
	v_lshrrev_b64 v[18:19], s12, v[18:19]
	s_sub_co_i32 s12, s3, s12
	v_mov_b32_e32 v19, 1
	s_min_u32 s12, s12, 8
	s_delay_alu instid0(VALU_DEP_2) | instid1(SALU_CYCLE_1)
	v_bfe_u32 v18, v18, 0, s12
	s_delay_alu instid0(VALU_DEP_1)
	v_lshl_or_b32 v18, v18, 4, v24
	ds_add_u32 v18, v19 offset:28672
.LBB1492_356:
	s_mov_b64 s[12:13], 0x8000000000000000
	s_delay_alu instid0(SALU_CYCLE_1) | instskip(SKIP_3) | instid1(VALU_DEP_1)
	v_cmp_ne_u64_e32 vcc_lo, s[12:13], v[20:21]
	v_cndmask_b32_e32 v19, 0x7fffffff, v21, vcc_lo
	v_cndmask_b32_e32 v18, -1, v20, vcc_lo
	s_and_not1_b32 vcc_lo, exec_lo, s1
	v_lshrrev_b64 v[20:21], s2, v[18:19]
	s_delay_alu instid0(VALU_DEP_1) | instskip(SKIP_1) | instid1(VALU_DEP_2)
	v_and_b32_e32 v20, s5, v20
	v_lshrrev_b64 v[26:27], s8, v[18:19]
	v_lshl_or_b32 v20, v20, 4, v24
	s_delay_alu instid0(VALU_DEP_2) | instskip(NEXT) | instid1(VALU_DEP_1)
	v_and_b32_e32 v21, s11, v26
	v_lshl_or_b32 v21, v21, 4, v24
	ds_add_u32 v20, v25
	ds_add_u32 v21, v25 offset:4096
	s_cbranch_vccnz .LBB1492_363
; %bb.357:
	v_lshrrev_b64 v[20:21], s0, v[18:19]
	s_sub_co_i32 s0, s3, s0
	s_delay_alu instid0(SALU_CYCLE_1)
	s_min_u32 s0, s0, 8
	s_delay_alu instid0(VALU_DEP_1) | instid1(SALU_CYCLE_1)
	v_bfe_u32 v20, v20, 0, s0
	s_add_co_i32 s0, s2, 24
	s_delay_alu instid0(SALU_CYCLE_1) | instskip(NEXT) | instid1(VALU_DEP_1)
	s_cmp_gt_u32 s3, s0
	v_lshl_or_b32 v21, v20, 4, v24
	v_mov_b32_e32 v20, 1
	ds_add_u32 v21, v20 offset:8192
	s_cbranch_scc0 .LBB1492_363
; %bb.358:
	v_lshrrev_b64 v[26:27], s0, v[18:19]
	s_sub_co_i32 s0, s3, s0
	s_delay_alu instid0(SALU_CYCLE_1)
	s_min_u32 s0, s0, 8
	s_delay_alu instid0(VALU_DEP_1) | instid1(SALU_CYCLE_1)
	v_bfe_u32 v21, v26, 0, s0
	s_add_co_i32 s0, s2, 32
	s_delay_alu instid0(SALU_CYCLE_1) | instskip(NEXT) | instid1(VALU_DEP_1)
	s_cmp_gt_u32 s3, s0
	v_lshl_or_b32 v21, v21, 4, v24
	ds_add_u32 v21, v20 offset:12288
	s_cbranch_scc0 .LBB1492_363
; %bb.359:
	v_lshrrev_b64 v[20:21], s0, v[18:19]
	s_sub_co_i32 s0, s3, s0
	s_delay_alu instid0(SALU_CYCLE_1)
	s_min_u32 s0, s0, 8
	s_delay_alu instid0(VALU_DEP_1) | instid1(SALU_CYCLE_1)
	v_bfe_u32 v20, v20, 0, s0
	s_add_co_i32 s0, s2, 40
	s_delay_alu instid0(SALU_CYCLE_1) | instskip(NEXT) | instid1(VALU_DEP_1)
	s_cmp_gt_u32 s3, s0
	v_lshl_or_b32 v21, v20, 4, v24
	v_mov_b32_e32 v20, 1
	ds_add_u32 v21, v20 offset:16384
	s_cbranch_scc0 .LBB1492_363
; %bb.360:
	v_lshrrev_b64 v[26:27], s0, v[18:19]
	s_sub_co_i32 s0, s3, s0
	s_delay_alu instid0(SALU_CYCLE_1)
	s_min_u32 s0, s0, 8
	s_delay_alu instid0(VALU_DEP_1) | instid1(SALU_CYCLE_1)
	v_bfe_u32 v21, v26, 0, s0
	s_add_co_i32 s0, s2, 48
	s_delay_alu instid0(SALU_CYCLE_1) | instskip(NEXT) | instid1(VALU_DEP_1)
	s_cmp_gt_u32 s3, s0
	v_lshl_or_b32 v21, v21, 4, v24
	ds_add_u32 v21, v20 offset:20480
	s_cbranch_scc0 .LBB1492_363
; %bb.361:
	v_lshrrev_b64 v[20:21], s0, v[18:19]
	s_sub_co_i32 s0, s3, s0
	v_mov_b32_e32 v21, 1
	s_min_u32 s0, s0, 8
                                        ; implicit-def: $vgpr25
	s_delay_alu instid0(VALU_DEP_2) | instid1(SALU_CYCLE_1)
	v_bfe_u32 v20, v20, 0, s0
	s_add_co_i32 s0, s2, 56
	s_delay_alu instid0(SALU_CYCLE_1) | instskip(NEXT) | instid1(VALU_DEP_1)
	s_cmp_gt_u32 s3, s0
	v_lshl_or_b32 v20, v20, 4, v24
	ds_add_u32 v20, v21 offset:24576
	s_cbranch_scc0 .LBB1492_364
; %bb.362:
	v_lshrrev_b64 v[18:19], s0, v[18:19]
	s_sub_co_i32 s0, s3, s0
	s_mov_b32 s10, -1
	s_min_u32 s0, s0, 8
	s_delay_alu instid0(VALU_DEP_1) | instid1(SALU_CYCLE_1)
	v_bfe_u32 v18, v18, 0, s0
	s_delay_alu instid0(VALU_DEP_1)
	v_lshl_add_u32 v25, v18, 4, 0x7000
	s_branch .LBB1492_364
.LBB1492_363:
                                        ; implicit-def: $vgpr25
.LBB1492_364:
	s_and_b32 vcc_lo, exec_lo, s10
	s_cbranch_vccz .LBB1492_366
; %bb.365:
	s_delay_alu instid0(VALU_DEP_1)
	v_lshl_add_u32 v18, v23, 2, v25
	v_mov_b32_e32 v19, 1
	ds_add_u32 v18, v19
.LBB1492_366:
	v_cmp_gt_i64_e32 vcc_lo, 0, v[8:9]
	s_mov_b64 s[0:1], 0x8000000000000000
	s_mov_b32 s10, 0
	s_mov_b32 s11, -1
                                        ; implicit-def: $vgpr25
	v_cndmask_b32_e64 v19, 0x7fffffff, 0, vcc_lo
	s_delay_alu instid0(VALU_DEP_1) | instskip(NEXT) | instid1(VALU_DEP_1)
	v_dual_ashrrev_i32 v18, 31, v9 :: v_dual_bitop2_b32 v19, v19, v9 bitop3:0x14
	v_not_b32_e32 v18, v18
	s_delay_alu instid0(VALU_DEP_1) | instskip(NEXT) | instid1(VALU_DEP_1)
	v_xor_b32_e32 v18, v18, v8
	v_cmp_ne_u64_e32 vcc_lo, s[0:1], v[18:19]
	v_cndmask_b32_e32 v19, 0x7fffffff, v19, vcc_lo
	v_cndmask_b32_e32 v18, -1, v18, vcc_lo
	v_cmp_gt_i64_e32 vcc_lo, 0, v[6:7]
	s_delay_alu instid0(VALU_DEP_2) | instskip(NEXT) | instid1(VALU_DEP_1)
	v_lshrrev_b64 v[20:21], s2, v[18:19]
	v_dual_mov_b32 v21, 1 :: v_dual_bitop2_b32 v20, s5, v20 bitop3:0x40
	s_delay_alu instid0(VALU_DEP_1) | instskip(SKIP_4) | instid1(VALU_DEP_2)
	v_lshl_or_b32 v20, v20, 4, v24
	ds_add_u32 v20, v21
	v_cndmask_b32_e64 v21, 0x7fffffff, 0, vcc_lo
	v_ashrrev_i32_e32 v20, 31, v7
	s_and_b32 vcc_lo, exec_lo, s9
	v_xor_b32_e32 v21, v21, v7
	s_delay_alu instid0(VALU_DEP_2) | instskip(NEXT) | instid1(VALU_DEP_1)
	v_not_b32_e32 v20, v20
	v_xor_b32_e32 v20, v20, v6
	s_cbranch_vccz .LBB1492_368
; %bb.367:
	s_delay_alu instid0(VALU_DEP_1) | instskip(SKIP_4) | instid1(VALU_DEP_1)
	v_cmp_ne_u64_e32 vcc_lo, s[0:1], v[20:21]
	s_mov_b32 s10, -1
	s_mov_b32 s11, 0
	v_cndmask_b32_e32 v27, 0x7fffffff, v21, vcc_lo
	v_cndmask_b32_e32 v26, -1, v20, vcc_lo
	v_lshrrev_b64 v[26:27], s2, v[26:27]
	s_delay_alu instid0(VALU_DEP_1) | instskip(NEXT) | instid1(VALU_DEP_1)
	v_and_b32_e32 v25, s5, v26
	v_lshlrev_b32_e32 v25, 4, v25
.LBB1492_368:
	s_and_not1_b32 vcc_lo, exec_lo, s11
	s_cbranch_vccnz .LBB1492_384
; %bb.369:
	v_lshrrev_b64 v[26:27], s8, v[18:19]
	s_sub_co_i32 s0, s3, s8
	s_delay_alu instid0(SALU_CYCLE_1) | instskip(NEXT) | instid1(SALU_CYCLE_1)
	s_min_u32 s0, s0, 8
	s_lshl_b32 s1, -1, s0
	s_add_co_i32 s0, s2, 16
	s_delay_alu instid0(VALU_DEP_1) | instskip(SKIP_3) | instid1(VALU_DEP_1)
	v_bitop3_b32 v25, v26, s1, v26 bitop3:0x30
	s_not_b32 s11, s1
	s_cmp_gt_u32 s3, s0
	s_cselect_b32 s1, -1, 0
	v_lshl_or_b32 v26, v25, 4, v24
	v_mov_b32_e32 v25, 1
	s_cmp_le_u32 s3, s0
	ds_add_u32 v26, v25 offset:4096
	s_cbranch_scc1 .LBB1492_376
; %bb.370:
	v_lshrrev_b64 v[26:27], s0, v[18:19]
	s_sub_co_i32 s12, s3, s0
	s_delay_alu instid0(SALU_CYCLE_1)
	s_min_u32 s12, s12, 8
	s_delay_alu instid0(VALU_DEP_1) | instid1(SALU_CYCLE_1)
	v_bfe_u32 v26, v26, 0, s12
	s_add_co_i32 s12, s2, 24
	s_delay_alu instid0(SALU_CYCLE_1) | instskip(NEXT) | instid1(VALU_DEP_1)
	s_cmp_le_u32 s3, s12
	v_lshl_or_b32 v26, v26, 4, v24
	ds_add_u32 v26, v25 offset:8192
	s_cbranch_scc1 .LBB1492_376
; %bb.371:
	v_lshrrev_b64 v[26:27], s12, v[18:19]
	s_sub_co_i32 s12, s3, s12
	s_delay_alu instid0(SALU_CYCLE_1)
	s_min_u32 s12, s12, 8
	s_delay_alu instid0(VALU_DEP_1) | instid1(SALU_CYCLE_1)
	v_bfe_u32 v26, v26, 0, s12
	s_add_co_i32 s12, s2, 32
	s_delay_alu instid0(SALU_CYCLE_1) | instskip(NEXT) | instid1(VALU_DEP_1)
	s_cmp_le_u32 s3, s12
	v_lshl_or_b32 v27, v26, 4, v24
	v_mov_b32_e32 v26, 1
	ds_add_u32 v27, v26 offset:12288
	s_cbranch_scc1 .LBB1492_376
; %bb.372:
	v_lshrrev_b64 v[28:29], s12, v[18:19]
	s_sub_co_i32 s12, s3, s12
	s_delay_alu instid0(SALU_CYCLE_1)
	s_min_u32 s12, s12, 8
	s_delay_alu instid0(VALU_DEP_1) | instid1(SALU_CYCLE_1)
	v_bfe_u32 v27, v28, 0, s12
	s_add_co_i32 s12, s2, 40
	s_delay_alu instid0(SALU_CYCLE_1) | instskip(NEXT) | instid1(VALU_DEP_1)
	s_cmp_le_u32 s3, s12
	v_lshl_or_b32 v27, v27, 4, v24
	ds_add_u32 v27, v26 offset:16384
	s_cbranch_scc1 .LBB1492_376
; %bb.373:
	v_lshrrev_b64 v[26:27], s12, v[18:19]
	s_sub_co_i32 s12, s3, s12
	s_delay_alu instid0(SALU_CYCLE_1)
	s_min_u32 s12, s12, 8
	s_delay_alu instid0(VALU_DEP_1) | instid1(SALU_CYCLE_1)
	v_bfe_u32 v26, v26, 0, s12
	s_add_co_i32 s12, s2, 48
	s_delay_alu instid0(SALU_CYCLE_1) | instskip(NEXT) | instid1(VALU_DEP_1)
	s_cmp_le_u32 s3, s12
	v_lshl_or_b32 v27, v26, 4, v24
	v_mov_b32_e32 v26, 1
	ds_add_u32 v27, v26 offset:20480
	s_cbranch_scc1 .LBB1492_376
; %bb.374:
	v_lshrrev_b64 v[28:29], s12, v[18:19]
	s_sub_co_i32 s12, s3, s12
	s_delay_alu instid0(SALU_CYCLE_1)
	s_min_u32 s12, s12, 8
	s_delay_alu instid0(VALU_DEP_1) | instid1(SALU_CYCLE_1)
	v_bfe_u32 v27, v28, 0, s12
	s_add_co_i32 s12, s2, 56
	s_delay_alu instid0(SALU_CYCLE_1) | instskip(NEXT) | instid1(VALU_DEP_1)
	s_cmp_le_u32 s3, s12
	v_lshl_or_b32 v27, v27, 4, v24
	ds_add_u32 v27, v26 offset:24576
	s_cbranch_scc1 .LBB1492_376
; %bb.375:
	v_lshrrev_b64 v[18:19], s12, v[18:19]
	s_sub_co_i32 s12, s3, s12
	v_mov_b32_e32 v19, 1
	s_min_u32 s12, s12, 8
	s_delay_alu instid0(VALU_DEP_2) | instid1(SALU_CYCLE_1)
	v_bfe_u32 v18, v18, 0, s12
	s_delay_alu instid0(VALU_DEP_1)
	v_lshl_or_b32 v18, v18, 4, v24
	ds_add_u32 v18, v19 offset:28672
.LBB1492_376:
	s_mov_b64 s[12:13], 0x8000000000000000
	s_delay_alu instid0(SALU_CYCLE_1) | instskip(SKIP_3) | instid1(VALU_DEP_1)
	v_cmp_ne_u64_e32 vcc_lo, s[12:13], v[20:21]
	v_cndmask_b32_e32 v19, 0x7fffffff, v21, vcc_lo
	v_cndmask_b32_e32 v18, -1, v20, vcc_lo
	s_and_not1_b32 vcc_lo, exec_lo, s1
	v_lshrrev_b64 v[20:21], s2, v[18:19]
	s_delay_alu instid0(VALU_DEP_1) | instskip(SKIP_1) | instid1(VALU_DEP_2)
	v_and_b32_e32 v20, s5, v20
	v_lshrrev_b64 v[26:27], s8, v[18:19]
	v_lshl_or_b32 v20, v20, 4, v24
	s_delay_alu instid0(VALU_DEP_2) | instskip(NEXT) | instid1(VALU_DEP_1)
	v_and_b32_e32 v21, s11, v26
	v_lshl_or_b32 v21, v21, 4, v24
	ds_add_u32 v20, v25
	ds_add_u32 v21, v25 offset:4096
	s_cbranch_vccnz .LBB1492_383
; %bb.377:
	v_lshrrev_b64 v[20:21], s0, v[18:19]
	s_sub_co_i32 s0, s3, s0
	s_delay_alu instid0(SALU_CYCLE_1)
	s_min_u32 s0, s0, 8
	s_delay_alu instid0(VALU_DEP_1) | instid1(SALU_CYCLE_1)
	v_bfe_u32 v20, v20, 0, s0
	s_add_co_i32 s0, s2, 24
	s_delay_alu instid0(SALU_CYCLE_1) | instskip(NEXT) | instid1(VALU_DEP_1)
	s_cmp_gt_u32 s3, s0
	v_lshl_or_b32 v21, v20, 4, v24
	v_mov_b32_e32 v20, 1
	ds_add_u32 v21, v20 offset:8192
	s_cbranch_scc0 .LBB1492_383
; %bb.378:
	v_lshrrev_b64 v[26:27], s0, v[18:19]
	s_sub_co_i32 s0, s3, s0
	s_delay_alu instid0(SALU_CYCLE_1)
	s_min_u32 s0, s0, 8
	s_delay_alu instid0(VALU_DEP_1) | instid1(SALU_CYCLE_1)
	v_bfe_u32 v21, v26, 0, s0
	s_add_co_i32 s0, s2, 32
	s_delay_alu instid0(SALU_CYCLE_1) | instskip(NEXT) | instid1(VALU_DEP_1)
	s_cmp_gt_u32 s3, s0
	v_lshl_or_b32 v21, v21, 4, v24
	ds_add_u32 v21, v20 offset:12288
	s_cbranch_scc0 .LBB1492_383
; %bb.379:
	v_lshrrev_b64 v[20:21], s0, v[18:19]
	s_sub_co_i32 s0, s3, s0
	s_delay_alu instid0(SALU_CYCLE_1)
	s_min_u32 s0, s0, 8
	s_delay_alu instid0(VALU_DEP_1) | instid1(SALU_CYCLE_1)
	v_bfe_u32 v20, v20, 0, s0
	s_add_co_i32 s0, s2, 40
	s_delay_alu instid0(SALU_CYCLE_1) | instskip(NEXT) | instid1(VALU_DEP_1)
	s_cmp_gt_u32 s3, s0
	v_lshl_or_b32 v21, v20, 4, v24
	v_mov_b32_e32 v20, 1
	ds_add_u32 v21, v20 offset:16384
	s_cbranch_scc0 .LBB1492_383
; %bb.380:
	v_lshrrev_b64 v[26:27], s0, v[18:19]
	s_sub_co_i32 s0, s3, s0
	s_delay_alu instid0(SALU_CYCLE_1)
	s_min_u32 s0, s0, 8
	s_delay_alu instid0(VALU_DEP_1) | instid1(SALU_CYCLE_1)
	v_bfe_u32 v21, v26, 0, s0
	s_add_co_i32 s0, s2, 48
	s_delay_alu instid0(SALU_CYCLE_1) | instskip(NEXT) | instid1(VALU_DEP_1)
	s_cmp_gt_u32 s3, s0
	v_lshl_or_b32 v21, v21, 4, v24
	ds_add_u32 v21, v20 offset:20480
	s_cbranch_scc0 .LBB1492_383
; %bb.381:
	v_lshrrev_b64 v[20:21], s0, v[18:19]
	s_sub_co_i32 s0, s3, s0
	v_mov_b32_e32 v21, 1
	s_min_u32 s0, s0, 8
                                        ; implicit-def: $vgpr25
	s_delay_alu instid0(VALU_DEP_2) | instid1(SALU_CYCLE_1)
	v_bfe_u32 v20, v20, 0, s0
	s_add_co_i32 s0, s2, 56
	s_delay_alu instid0(SALU_CYCLE_1) | instskip(NEXT) | instid1(VALU_DEP_1)
	s_cmp_gt_u32 s3, s0
	v_lshl_or_b32 v20, v20, 4, v24
	ds_add_u32 v20, v21 offset:24576
	s_cbranch_scc0 .LBB1492_384
; %bb.382:
	v_lshrrev_b64 v[18:19], s0, v[18:19]
	s_sub_co_i32 s0, s3, s0
	s_mov_b32 s10, -1
	s_min_u32 s0, s0, 8
	s_delay_alu instid0(VALU_DEP_1) | instid1(SALU_CYCLE_1)
	v_bfe_u32 v18, v18, 0, s0
	s_delay_alu instid0(VALU_DEP_1)
	v_lshl_add_u32 v25, v18, 4, 0x7000
	s_branch .LBB1492_384
.LBB1492_383:
                                        ; implicit-def: $vgpr25
.LBB1492_384:
	s_and_b32 vcc_lo, exec_lo, s10
	s_cbranch_vccz .LBB1492_386
; %bb.385:
	s_delay_alu instid0(VALU_DEP_1)
	v_lshl_add_u32 v18, v23, 2, v25
	v_mov_b32_e32 v19, 1
	ds_add_u32 v18, v19
.LBB1492_386:
	v_cmp_gt_i64_e32 vcc_lo, 0, v[4:5]
	s_mov_b64 s[0:1], 0x8000000000000000
	s_mov_b32 s10, 0
                                        ; implicit-def: $vgpr25
	v_cndmask_b32_e64 v19, 0x7fffffff, 0, vcc_lo
	s_delay_alu instid0(VALU_DEP_1) | instskip(NEXT) | instid1(VALU_DEP_1)
	v_dual_ashrrev_i32 v18, 31, v5 :: v_dual_bitop2_b32 v19, v19, v5 bitop3:0x14
	v_not_b32_e32 v18, v18
	s_delay_alu instid0(VALU_DEP_1) | instskip(NEXT) | instid1(VALU_DEP_1)
	v_xor_b32_e32 v18, v18, v4
	v_cmp_ne_u64_e32 vcc_lo, s[0:1], v[18:19]
	v_cndmask_b32_e32 v19, 0x7fffffff, v19, vcc_lo
	v_cndmask_b32_e32 v18, -1, v18, vcc_lo
	v_cmp_gt_i64_e32 vcc_lo, 0, v[2:3]
	s_delay_alu instid0(VALU_DEP_2) | instskip(NEXT) | instid1(VALU_DEP_1)
	v_lshrrev_b64 v[20:21], s2, v[18:19]
	v_dual_mov_b32 v21, 1 :: v_dual_bitop2_b32 v20, s5, v20 bitop3:0x40
	s_delay_alu instid0(VALU_DEP_1)
	v_lshl_or_b32 v20, v20, 4, v24
	ds_add_u32 v20, v21
	v_cndmask_b32_e64 v21, 0x7fffffff, 0, vcc_lo
	v_ashrrev_i32_e32 v20, 31, v3
	s_and_b32 vcc_lo, exec_lo, s9
	s_mov_b32 s9, -1
	s_delay_alu instid0(VALU_DEP_2) | instskip(NEXT) | instid1(VALU_DEP_2)
	v_xor_b32_e32 v21, v21, v3
	v_not_b32_e32 v20, v20
	s_delay_alu instid0(VALU_DEP_1)
	v_xor_b32_e32 v20, v20, v2
	s_cbranch_vccz .LBB1492_388
; %bb.387:
	s_delay_alu instid0(VALU_DEP_1) | instskip(SKIP_4) | instid1(VALU_DEP_1)
	v_cmp_ne_u64_e32 vcc_lo, s[0:1], v[20:21]
	s_mov_b32 s10, -1
	s_mov_b32 s9, 0
	v_cndmask_b32_e32 v27, 0x7fffffff, v21, vcc_lo
	v_cndmask_b32_e32 v26, -1, v20, vcc_lo
	v_lshrrev_b64 v[26:27], s2, v[26:27]
	s_delay_alu instid0(VALU_DEP_1) | instskip(NEXT) | instid1(VALU_DEP_1)
	v_and_b32_e32 v25, s5, v26
	v_lshlrev_b32_e32 v25, 4, v25
.LBB1492_388:
	s_and_not1_b32 vcc_lo, exec_lo, s9
	s_cbranch_vccnz .LBB1492_404
; %bb.389:
	v_lshrrev_b64 v[26:27], s8, v[18:19]
	s_sub_co_i32 s0, s3, s8
	s_delay_alu instid0(SALU_CYCLE_1) | instskip(NEXT) | instid1(SALU_CYCLE_1)
	s_min_u32 s0, s0, 8
	s_lshl_b32 s1, -1, s0
	s_add_co_i32 s0, s2, 16
	s_delay_alu instid0(VALU_DEP_1) | instskip(SKIP_3) | instid1(VALU_DEP_1)
	v_bitop3_b32 v25, v26, s1, v26 bitop3:0x30
	s_not_b32 s9, s1
	s_cmp_gt_u32 s3, s0
	s_cselect_b32 s1, -1, 0
	v_lshl_or_b32 v26, v25, 4, v24
	v_mov_b32_e32 v25, 1
	s_cmp_le_u32 s3, s0
	ds_add_u32 v26, v25 offset:4096
	s_cbranch_scc1 .LBB1492_396
; %bb.390:
	v_lshrrev_b64 v[26:27], s0, v[18:19]
	s_sub_co_i32 s11, s3, s0
	s_delay_alu instid0(SALU_CYCLE_1)
	s_min_u32 s11, s11, 8
	s_delay_alu instid0(VALU_DEP_1) | instid1(SALU_CYCLE_1)
	v_bfe_u32 v26, v26, 0, s11
	s_add_co_i32 s11, s2, 24
	s_delay_alu instid0(SALU_CYCLE_1) | instskip(NEXT) | instid1(VALU_DEP_1)
	s_cmp_le_u32 s3, s11
	v_lshl_or_b32 v26, v26, 4, v24
	ds_add_u32 v26, v25 offset:8192
	s_cbranch_scc1 .LBB1492_396
; %bb.391:
	v_lshrrev_b64 v[26:27], s11, v[18:19]
	s_sub_co_i32 s11, s3, s11
	s_delay_alu instid0(SALU_CYCLE_1)
	s_min_u32 s11, s11, 8
	s_delay_alu instid0(VALU_DEP_1) | instid1(SALU_CYCLE_1)
	v_bfe_u32 v26, v26, 0, s11
	s_add_co_i32 s11, s2, 32
	s_delay_alu instid0(SALU_CYCLE_1) | instskip(NEXT) | instid1(VALU_DEP_1)
	s_cmp_le_u32 s3, s11
	v_lshl_or_b32 v27, v26, 4, v24
	v_mov_b32_e32 v26, 1
	ds_add_u32 v27, v26 offset:12288
	s_cbranch_scc1 .LBB1492_396
; %bb.392:
	v_lshrrev_b64 v[28:29], s11, v[18:19]
	s_sub_co_i32 s11, s3, s11
	s_delay_alu instid0(SALU_CYCLE_1)
	s_min_u32 s11, s11, 8
	s_delay_alu instid0(VALU_DEP_1) | instid1(SALU_CYCLE_1)
	v_bfe_u32 v27, v28, 0, s11
	s_add_co_i32 s11, s2, 40
	s_delay_alu instid0(SALU_CYCLE_1) | instskip(NEXT) | instid1(VALU_DEP_1)
	s_cmp_le_u32 s3, s11
	v_lshl_or_b32 v27, v27, 4, v24
	ds_add_u32 v27, v26 offset:16384
	s_cbranch_scc1 .LBB1492_396
; %bb.393:
	v_lshrrev_b64 v[26:27], s11, v[18:19]
	s_sub_co_i32 s11, s3, s11
	s_delay_alu instid0(SALU_CYCLE_1)
	s_min_u32 s11, s11, 8
	s_delay_alu instid0(VALU_DEP_1) | instid1(SALU_CYCLE_1)
	v_bfe_u32 v26, v26, 0, s11
	s_add_co_i32 s11, s2, 48
	s_delay_alu instid0(SALU_CYCLE_1) | instskip(NEXT) | instid1(VALU_DEP_1)
	s_cmp_le_u32 s3, s11
	v_lshl_or_b32 v27, v26, 4, v24
	v_mov_b32_e32 v26, 1
	ds_add_u32 v27, v26 offset:20480
	s_cbranch_scc1 .LBB1492_396
; %bb.394:
	v_lshrrev_b64 v[28:29], s11, v[18:19]
	s_sub_co_i32 s11, s3, s11
	s_delay_alu instid0(SALU_CYCLE_1)
	s_min_u32 s11, s11, 8
	s_delay_alu instid0(VALU_DEP_1) | instid1(SALU_CYCLE_1)
	v_bfe_u32 v27, v28, 0, s11
	s_add_co_i32 s11, s2, 56
	s_delay_alu instid0(SALU_CYCLE_1) | instskip(NEXT) | instid1(VALU_DEP_1)
	s_cmp_le_u32 s3, s11
	v_lshl_or_b32 v27, v27, 4, v24
	ds_add_u32 v27, v26 offset:24576
	s_cbranch_scc1 .LBB1492_396
; %bb.395:
	v_lshrrev_b64 v[18:19], s11, v[18:19]
	s_sub_co_i32 s11, s3, s11
	v_mov_b32_e32 v19, 1
	s_min_u32 s11, s11, 8
	s_delay_alu instid0(VALU_DEP_2) | instid1(SALU_CYCLE_1)
	v_bfe_u32 v18, v18, 0, s11
	s_delay_alu instid0(VALU_DEP_1)
	v_lshl_or_b32 v18, v18, 4, v24
	ds_add_u32 v18, v19 offset:28672
.LBB1492_396:
	s_mov_b64 s[12:13], 0x8000000000000000
	s_delay_alu instid0(SALU_CYCLE_1) | instskip(SKIP_3) | instid1(VALU_DEP_1)
	v_cmp_ne_u64_e32 vcc_lo, s[12:13], v[20:21]
	v_cndmask_b32_e32 v19, 0x7fffffff, v21, vcc_lo
	v_cndmask_b32_e32 v18, -1, v20, vcc_lo
	s_and_not1_b32 vcc_lo, exec_lo, s1
	v_lshrrev_b64 v[20:21], s2, v[18:19]
	s_delay_alu instid0(VALU_DEP_1) | instskip(SKIP_1) | instid1(VALU_DEP_2)
	v_and_b32_e32 v20, s5, v20
	v_lshrrev_b64 v[26:27], s8, v[18:19]
	v_lshl_or_b32 v20, v20, 4, v24
	s_delay_alu instid0(VALU_DEP_2) | instskip(NEXT) | instid1(VALU_DEP_1)
	v_and_b32_e32 v21, s9, v26
	v_lshl_or_b32 v21, v21, 4, v24
	ds_add_u32 v20, v25
	ds_add_u32 v21, v25 offset:4096
	s_cbranch_vccnz .LBB1492_403
; %bb.397:
	v_lshrrev_b64 v[20:21], s0, v[18:19]
	s_sub_co_i32 s0, s3, s0
	s_delay_alu instid0(SALU_CYCLE_1)
	s_min_u32 s0, s0, 8
	s_delay_alu instid0(VALU_DEP_1) | instid1(SALU_CYCLE_1)
	v_bfe_u32 v20, v20, 0, s0
	s_add_co_i32 s0, s2, 24
	s_delay_alu instid0(SALU_CYCLE_1) | instskip(NEXT) | instid1(VALU_DEP_1)
	s_cmp_gt_u32 s3, s0
	v_lshl_or_b32 v21, v20, 4, v24
	v_mov_b32_e32 v20, 1
	ds_add_u32 v21, v20 offset:8192
	s_cbranch_scc0 .LBB1492_403
; %bb.398:
	v_lshrrev_b64 v[26:27], s0, v[18:19]
	s_sub_co_i32 s0, s3, s0
	s_delay_alu instid0(SALU_CYCLE_1)
	s_min_u32 s0, s0, 8
	s_delay_alu instid0(VALU_DEP_1) | instid1(SALU_CYCLE_1)
	v_bfe_u32 v21, v26, 0, s0
	s_add_co_i32 s0, s2, 32
	s_delay_alu instid0(SALU_CYCLE_1) | instskip(NEXT) | instid1(VALU_DEP_1)
	s_cmp_gt_u32 s3, s0
	v_lshl_or_b32 v21, v21, 4, v24
	ds_add_u32 v21, v20 offset:12288
	s_cbranch_scc0 .LBB1492_403
; %bb.399:
	v_lshrrev_b64 v[20:21], s0, v[18:19]
	s_sub_co_i32 s0, s3, s0
	s_delay_alu instid0(SALU_CYCLE_1)
	s_min_u32 s0, s0, 8
	s_delay_alu instid0(VALU_DEP_1) | instid1(SALU_CYCLE_1)
	v_bfe_u32 v20, v20, 0, s0
	s_add_co_i32 s0, s2, 40
	s_delay_alu instid0(SALU_CYCLE_1) | instskip(NEXT) | instid1(VALU_DEP_1)
	s_cmp_gt_u32 s3, s0
	v_lshl_or_b32 v21, v20, 4, v24
	v_mov_b32_e32 v20, 1
	ds_add_u32 v21, v20 offset:16384
	s_cbranch_scc0 .LBB1492_403
; %bb.400:
	v_lshrrev_b64 v[26:27], s0, v[18:19]
	s_sub_co_i32 s0, s3, s0
	s_delay_alu instid0(SALU_CYCLE_1)
	s_min_u32 s0, s0, 8
	s_delay_alu instid0(VALU_DEP_1) | instid1(SALU_CYCLE_1)
	v_bfe_u32 v21, v26, 0, s0
	s_add_co_i32 s0, s2, 48
	s_delay_alu instid0(SALU_CYCLE_1) | instskip(NEXT) | instid1(VALU_DEP_1)
	s_cmp_gt_u32 s3, s0
	v_lshl_or_b32 v21, v21, 4, v24
	ds_add_u32 v21, v20 offset:20480
	s_cbranch_scc0 .LBB1492_403
; %bb.401:
	v_lshrrev_b64 v[20:21], s0, v[18:19]
	s_sub_co_i32 s0, s3, s0
	v_mov_b32_e32 v21, 1
	s_min_u32 s0, s0, 8
                                        ; implicit-def: $vgpr25
	s_delay_alu instid0(VALU_DEP_2) | instid1(SALU_CYCLE_1)
	v_bfe_u32 v20, v20, 0, s0
	s_add_co_i32 s0, s2, 56
	s_delay_alu instid0(SALU_CYCLE_1) | instskip(NEXT) | instid1(VALU_DEP_1)
	s_cmp_gt_u32 s3, s0
	v_lshl_or_b32 v20, v20, 4, v24
	ds_add_u32 v20, v21 offset:24576
	s_cbranch_scc0 .LBB1492_404
; %bb.402:
	v_lshrrev_b64 v[18:19], s0, v[18:19]
	s_sub_co_i32 s0, s3, s0
	s_mov_b32 s10, -1
	s_min_u32 s0, s0, 8
	s_delay_alu instid0(VALU_DEP_1) | instid1(SALU_CYCLE_1)
	v_bfe_u32 v18, v18, 0, s0
	s_delay_alu instid0(VALU_DEP_1)
	v_lshl_add_u32 v25, v18, 4, 0x7000
	s_branch .LBB1492_404
.LBB1492_403:
                                        ; implicit-def: $vgpr25
.LBB1492_404:
	s_and_b32 vcc_lo, exec_lo, s10
	s_cbranch_vccz .LBB1492_406
; %bb.405:
	s_delay_alu instid0(VALU_DEP_1)
	v_lshl_add_u32 v18, v23, 2, v25
	v_mov_b32_e32 v19, 1
	ds_add_u32 v18, v19
.LBB1492_406:
	s_and_b32 vcc_lo, exec_lo, s4
	s_wait_dscnt 0x0
	s_barrier_signal -1
	s_barrier_wait -1
	s_cbranch_vccz .LBB1492_411
; %bb.407:
	v_dual_mov_b32 v19, 0 :: v_dual_lshlrev_b32 v20, 4, v0
	v_mov_b32_e32 v21, v0
	v_cmp_gt_u32_e32 vcc_lo, 0x100, v0
	s_branch .LBB1492_409
.LBB1492_408:                           ;   in Loop: Header=BB1492_409 Depth=1
	s_wait_xcnt 0x0
	s_or_b32 exec_lo, exec_lo, s0
	v_add_nc_u32_e32 v21, 0x100, v21
	v_add_nc_u32_e32 v20, 0x1000, v20
	s_add_co_i32 s2, s2, 8
	s_delay_alu instid0(SALU_CYCLE_1)
	s_cmp_ge_u32 s2, s3
	s_cbranch_scc1 .LBB1492_411
.LBB1492_409:                           ; =>This Inner Loop Header: Depth=1
	s_and_saveexec_b32 s0, vcc_lo
	s_cbranch_execz .LBB1492_408
; %bb.410:                              ;   in Loop: Header=BB1492_409 Depth=1
	ds_load_2addr_b32 v[24:25], v20 offset1:1
	ds_load_2addr_b32 v[26:27], v20 offset0:2 offset1:3
	s_wait_dscnt 0x1
	v_add_nc_u32_e32 v18, v25, v24
	s_wait_dscnt 0x0
	s_delay_alu instid0(VALU_DEP_1)
	v_add3_u32 v18, v18, v26, v27
	global_atomic_add_u64 v21, v[18:19], s[6:7] scale_offset scope:SCOPE_DEV
	s_branch .LBB1492_408
.LBB1492_411:
	s_mov_b32 s1, 0
.LBB1492_412:
	s_delay_alu instid0(SALU_CYCLE_1)
	s_and_b32 vcc_lo, exec_lo, s1
	s_cbranch_vccz .LBB1492_417
; %bb.413:
	v_mov_b32_e32 v18, 0
	s_mov_b32 s0, 0
.LBB1492_414:                           ; =>This Inner Loop Header: Depth=1
	v_add_nc_u32_e32 v1, 0x200, v1
	ds_store_b32 v22, v18
	v_add_nc_u32_e32 v22, 0x800, v22
	v_cmp_lt_u32_e32 vcc_lo, 0x1dff, v1
	s_or_b32 s0, vcc_lo, s0
	s_delay_alu instid0(SALU_CYCLE_1)
	s_and_not1_b32 exec_lo, exec_lo, s0
	s_cbranch_execnz .LBB1492_414
; %bb.415:
	s_or_b32 exec_lo, exec_lo, s0
	s_wait_loadcnt 0x7
	v_cmp_gt_i64_e32 vcc_lo, 0, v[16:17]
	s_wait_loadcnt 0x6
	v_dual_ashrrev_i32 v1, 31, v17 :: v_dual_ashrrev_i32 v19, 31, v15
	s_mov_b64 s[0:1], 0x8000000000000000
	s_wait_storecnt 0x0
	s_wait_loadcnt_dscnt 0x0
	s_barrier_signal -1
	v_not_b32_e32 v1, v1
	v_cndmask_b32_e64 v18, 0x7fffffff, 0, vcc_lo
	v_cmp_gt_i64_e32 vcc_lo, 0, v[14:15]
	v_not_b32_e32 v19, v19
	s_barrier_wait -1
	v_dual_ashrrev_i32 v1, 31, v13 :: v_dual_bitop2_b32 v16, v1, v16 bitop3:0x14
	v_xor_b32_e32 v17, v18, v17
	s_delay_alu instid0(VALU_DEP_3) | instskip(SKIP_3) | instid1(VALU_DEP_3)
	v_xor_b32_e32 v14, v19, v14
	v_cndmask_b32_e64 v18, 0x7fffffff, 0, vcc_lo
	v_cmp_gt_i64_e32 vcc_lo, 0, v[12:13]
	v_not_b32_e32 v1, v1
	v_dual_ashrrev_i32 v19, 31, v9 :: v_dual_bitop2_b32 v15, v18, v15 bitop3:0x14
	s_delay_alu instid0(VALU_DEP_2) | instskip(SKIP_3) | instid1(VALU_DEP_4)
	v_dual_ashrrev_i32 v18, 31, v11 :: v_dual_bitop2_b32 v12, v1, v12 bitop3:0x14
	v_ashrrev_i32_e32 v21, 31, v5
	v_cndmask_b32_e64 v20, 0x7fffffff, 0, vcc_lo
	v_cmp_gt_i64_e32 vcc_lo, 0, v[10:11]
	v_not_b32_e32 v18, v18
	s_delay_alu instid0(VALU_DEP_3) | instskip(NEXT) | instid1(VALU_DEP_2)
	v_xor_b32_e32 v13, v20, v13
	v_xor_b32_e32 v10, v18, v10
	v_cndmask_b32_e64 v1, 0x7fffffff, 0, vcc_lo
	v_cmp_gt_i64_e32 vcc_lo, 0, v[8:9]
	v_not_b32_e32 v18, v19
	s_delay_alu instid0(VALU_DEP_1) | instskip(SKIP_3) | instid1(VALU_DEP_1)
	v_xor_b32_e32 v8, v18, v8
	v_cndmask_b32_e64 v20, 0x7fffffff, 0, vcc_lo
	v_cmp_gt_i64_e32 vcc_lo, 0, v[6:7]
	v_and_b32_e32 v18, 3, v0
	v_dual_lshlrev_b32 v18, 2, v18 :: v_dual_bitop2_b32 v9, v20, v9 bitop3:0x14
	v_cndmask_b32_e64 v19, 0x7fffffff, 0, vcc_lo
	v_cmp_gt_i64_e32 vcc_lo, 0, v[4:5]
	v_cndmask_b32_e64 v20, 0x7fffffff, 0, vcc_lo
	v_cmp_ne_u64_e32 vcc_lo, s[0:1], v[16:17]
	v_dual_cndmask_b32 v16, -1, v16, vcc_lo :: v_dual_bitop2_b32 v11, v1, v11 bitop3:0x14
	v_ashrrev_i32_e32 v1, 31, v7
	v_cndmask_b32_e32 v17, 0x7fffffff, v17, vcc_lo
	v_cmp_gt_i64_e32 vcc_lo, 0, v[2:3]
	v_xor_b32_e32 v7, v19, v7
	v_ashrrev_i32_e32 v19, 31, v3
	v_not_b32_e32 v1, v1
	v_dual_lshrrev_b32 v23, 20, v16 :: v_dual_bitop2_b32 v5, v20, v5 bitop3:0x14
	v_lshrrev_b32_e32 v22, 12, v16
	v_cndmask_b32_e64 v20, 0x7fffffff, 0, vcc_lo
	s_delay_alu instid0(VALU_DEP_4) | instskip(SKIP_4) | instid1(VALU_DEP_4)
	v_xor_b32_e32 v6, v1, v6
	v_not_b32_e32 v1, v21
	v_lshlrev_b32_e32 v21, 4, v16
	v_cmp_ne_u64_e32 vcc_lo, s[0:1], v[14:15]
	v_xor_b32_e32 v3, v20, v3
	v_xor_b32_e32 v4, v1, v4
	v_not_b32_e32 v1, v19
	v_lshrrev_b32_e32 v19, 4, v16
	v_and_or_b32 v20, 0xff0, v21, v18
	v_dual_mov_b32 v21, 1 :: v_dual_cndmask_b32 v14, -1, v14
	v_cndmask_b32_e32 v15, 0x7fffffff, v15, vcc_lo
	s_delay_alu instid0(VALU_DEP_4)
	v_and_or_b32 v19, 0xff0, v19, v18
	v_xor_b32_e32 v2, v1, v2
	ds_add_u32 v20, v21
	v_and_or_b32 v1, 0xff0, v22, v18
	v_alignbit_b32 v16, v17, v16, 30
	ds_add_u32 v19, v21 offset:4096
	v_and_or_b32 v19, 0xff0, v23, v18
	v_lshrrev_b32_e32 v20, 6, v17
	ds_add_u32 v1, v21 offset:8192
	v_and_b32_e32 v1, 0x3fc, v16
	v_cmp_ne_u64_e32 vcc_lo, s[0:1], v[12:13]
	ds_add_u32 v19, v21 offset:12288
	v_and_b32_e32 v16, 0x3fc, v20
	v_dual_lshlrev_b32 v20, 4, v14 :: v_dual_lshrrev_b32 v19, 14, v17
	v_lshrrev_b32_e32 v17, 22, v17
	v_lshl_or_b32 v1, v1, 2, v18
	s_delay_alu instid0(VALU_DEP_4)
	v_lshl_or_b32 v16, v16, 2, v18
	ds_add_u32 v1, v21 offset:16384
	ds_add_u32 v16, v21 offset:20480
	v_and_b32_e32 v19, 0x3fc, v19
	v_and_b32_e32 v17, 0x3fc, v17
	v_cndmask_b32_e32 v12, -1, v12, vcc_lo
	v_cndmask_b32_e32 v13, 0x7fffffff, v13, vcc_lo
	v_cmp_ne_u64_e32 vcc_lo, s[0:1], v[10:11]
	v_lshl_or_b32 v1, v19, 2, v18
	v_lshrrev_b32_e32 v19, 4, v14
	v_lshl_or_b32 v16, v17, 2, v18
	v_and_or_b32 v17, 0xff0, v20, v18
	v_lshrrev_b32_e32 v20, 12, v14
	ds_add_u32 v1, v21 offset:24576
	ds_add_u32 v16, v21 offset:28672
	ds_add_u32 v17, v21
	v_lshrrev_b32_e32 v17, 20, v14
	v_and_or_b32 v1, 0xff0, v19, v18
	v_and_or_b32 v16, 0xff0, v20, v18
	v_lshrrev_b32_e32 v19, 6, v15
	ds_add_u32 v1, v21 offset:4096
	ds_add_u32 v16, v21 offset:8192
	v_and_or_b32 v1, 0xff0, v17, v18
	v_lshrrev_b32_e32 v17, 14, v15
	v_alignbit_b32 v14, v15, v14, 30
	v_and_b32_e32 v16, 0x3fc, v19
	v_lshrrev_b32_e32 v15, 22, v15
	ds_add_u32 v1, v21 offset:12288
	v_cndmask_b32_e32 v10, -1, v10, vcc_lo
	v_and_b32_e32 v14, 0x3fc, v14
	v_cndmask_b32_e32 v11, 0x7fffffff, v11, vcc_lo
	v_and_b32_e32 v15, 0x3fc, v15
	v_cmp_ne_u64_e32 vcc_lo, s[0:1], v[8:9]
	s_delay_alu instid0(VALU_DEP_4)
	v_lshl_or_b32 v1, v14, 2, v18
	v_lshl_or_b32 v14, v16, 2, v18
	v_and_b32_e32 v16, 0x3fc, v17
	ds_add_u32 v1, v21 offset:16384
	ds_add_u32 v14, v21 offset:20480
	v_lshl_or_b32 v14, v15, 2, v18
	v_lshl_or_b32 v1, v16, 2, v18
	v_dual_lshlrev_b32 v15, 4, v12 :: v_dual_lshrrev_b32 v17, 12, v12
	v_lshrrev_b32_e32 v16, 4, v12
	ds_add_u32 v1, v21 offset:24576
	ds_add_u32 v14, v21 offset:28672
	v_and_or_b32 v1, 0xff0, v15, v18
	v_and_or_b32 v15, 0xff0, v17, v18
	;; [unrolled: 1-line block ×3, first 2 shown]
	v_lshrrev_b32_e32 v16, 20, v12
	v_alignbit_b32 v12, v13, v12, 30
	ds_add_u32 v1, v21
	ds_add_u32 v14, v21 offset:4096
	ds_add_u32 v15, v21 offset:8192
	v_lshrrev_b32_e32 v14, 6, v13
	v_and_or_b32 v1, 0xff0, v16, v18
	v_and_b32_e32 v12, 0x3fc, v12
	v_dual_lshrrev_b32 v15, 14, v13 :: v_dual_lshrrev_b32 v13, 22, v13
	v_cndmask_b32_e32 v8, -1, v8, vcc_lo
	ds_add_u32 v1, v21 offset:12288
	v_lshl_or_b32 v1, v12, 2, v18
	v_and_b32_e32 v12, 0x3fc, v14
	v_and_b32_e32 v14, 0x3fc, v15
	;; [unrolled: 1-line block ×3, first 2 shown]
	v_cndmask_b32_e32 v9, 0x7fffffff, v9, vcc_lo
	ds_add_u32 v1, v21 offset:16384
	v_lshl_or_b32 v12, v12, 2, v18
	v_lshl_or_b32 v1, v14, 2, v18
	v_lshlrev_b32_e32 v14, 4, v10
	v_lshl_or_b32 v13, v13, 2, v18
	v_cmp_ne_u64_e32 vcc_lo, s[0:1], v[6:7]
	ds_add_u32 v12, v21 offset:20480
	ds_add_u32 v1, v21 offset:24576
	;; [unrolled: 1-line block ×3, first 2 shown]
	v_and_or_b32 v1, 0xff0, v14, v18
	v_lshrrev_b32_e32 v13, 12, v10
	v_cndmask_b32_e32 v6, -1, v6, vcc_lo
	v_cndmask_b32_e32 v7, 0x7fffffff, v7, vcc_lo
	ds_add_u32 v1, v21
	v_and_or_b32 v1, 0xff0, v13, v18
	v_dual_lshrrev_b32 v13, 6, v11 :: v_dual_lshrrev_b32 v12, 4, v10
	v_lshrrev_b32_e32 v14, 20, v10
	v_alignbit_b32 v10, v11, v10, 30
	v_cmp_ne_u64_e32 vcc_lo, s[0:1], v[4:5]
	s_delay_alu instid0(VALU_DEP_4) | instskip(NEXT) | instid1(VALU_DEP_3)
	v_and_or_b32 v12, 0xff0, v12, v18
	v_and_b32_e32 v10, 0x3fc, v10
	ds_add_u32 v12, v21 offset:4096
	v_and_or_b32 v12, 0xff0, v14, v18
	ds_add_u32 v1, v21 offset:8192
	v_lshl_or_b32 v1, v10, 2, v18
	v_and_b32_e32 v10, 0x3fc, v13
	v_lshrrev_b32_e32 v13, 12, v8
	ds_add_u32 v12, v21 offset:12288
	v_dual_lshrrev_b32 v12, 14, v11 :: v_dual_lshrrev_b32 v11, 22, v11
	v_lshl_or_b32 v10, v10, 2, v18
	ds_add_u32 v1, v21 offset:16384
	v_lshlrev_b32_e32 v1, 4, v8
	v_and_b32_e32 v12, 0x3fc, v12
	v_and_b32_e32 v11, 0x3fc, v11
	ds_add_u32 v10, v21 offset:20480
	v_cndmask_b32_e32 v4, -1, v4, vcc_lo
	v_and_or_b32 v1, 0xff0, v1, v18
	v_lshl_or_b32 v10, v12, 2, v18
	v_lshrrev_b32_e32 v12, 4, v8
	v_lshl_or_b32 v11, v11, 2, v18
	ds_add_u32 v10, v21 offset:24576
	ds_add_u32 v11, v21 offset:28672
	v_and_or_b32 v10, 0xff0, v12, v18
	ds_add_u32 v1, v21
	v_and_or_b32 v1, 0xff0, v13, v18
	v_lshrrev_b32_e32 v11, 20, v8
	v_alignbit_b32 v8, v9, v8, 30
	ds_add_u32 v10, v21 offset:4096
	v_lshrrev_b32_e32 v10, 6, v9
	ds_add_u32 v1, v21 offset:8192
	v_and_or_b32 v1, 0xff0, v11, v18
	v_and_b32_e32 v8, 0x3fc, v8
	v_dual_lshrrev_b32 v11, 14, v9 :: v_dual_lshrrev_b32 v9, 22, v9
	v_and_b32_e32 v10, 0x3fc, v10
	ds_add_u32 v1, v21 offset:12288
	v_lshl_or_b32 v1, v8, 2, v18
	v_and_b32_e32 v8, 0x3fc, v11
	v_and_b32_e32 v9, 0x3fc, v9
	v_lshl_or_b32 v10, v10, 2, v18
	ds_add_u32 v1, v21 offset:16384
	ds_add_u32 v10, v21 offset:20480
	v_lshl_or_b32 v8, v8, 2, v18
	v_dual_lshlrev_b32 v1, 4, v6 :: v_dual_lshrrev_b32 v10, 12, v6
	v_cndmask_b32_e32 v5, 0x7fffffff, v5, vcc_lo
	v_cmp_ne_u64_e32 vcc_lo, s[0:1], v[2:3]
	ds_add_u32 v8, v21 offset:24576
	v_lshl_or_b32 v8, v9, 2, v18
	v_lshrrev_b32_e32 v9, 4, v6
	v_and_or_b32 v1, 0xff0, v1, v18
	s_mov_b32 s0, exec_lo
	ds_add_u32 v8, v21 offset:28672
	v_and_or_b32 v8, 0xff0, v9, v18
	v_and_or_b32 v9, 0xff0, v10, v18
	ds_add_u32 v1, v21
	ds_add_u32 v8, v21 offset:4096
	ds_add_u32 v9, v21 offset:8192
	v_dual_lshrrev_b32 v8, 14, v7 :: v_dual_lshrrev_b32 v11, 20, v6
	v_alignbit_b32 v6, v7, v6, 30
	v_dual_cndmask_b32 v2, -1, v2 :: v_dual_lshlrev_b32 v9, 4, v4
	s_delay_alu instid0(VALU_DEP_3) | instskip(NEXT) | instid1(VALU_DEP_4)
	v_and_b32_e32 v8, 0x3fc, v8
	v_and_or_b32 v1, 0xff0, v11, v18
	v_cndmask_b32_e32 v3, 0x7fffffff, v3, vcc_lo
	ds_add_u32 v1, v21 offset:12288
	v_and_b32_e32 v1, 0x3fc, v6
	v_dual_lshrrev_b32 v6, 6, v7 :: v_dual_lshrrev_b32 v7, 22, v7
	s_delay_alu instid0(VALU_DEP_2) | instskip(NEXT) | instid1(VALU_DEP_2)
	v_lshl_or_b32 v1, v1, 2, v18
	v_and_b32_e32 v6, 0x3fc, v6
	s_delay_alu instid0(VALU_DEP_3)
	v_and_b32_e32 v7, 0x3fc, v7
	ds_add_u32 v1, v21 offset:16384
	v_lshl_or_b32 v6, v6, 2, v18
	v_lshl_or_b32 v1, v8, 2, v18
	;; [unrolled: 1-line block ×3, first 2 shown]
	v_and_or_b32 v8, 0xff0, v9, v18
	ds_add_u32 v6, v21 offset:20480
	v_lshrrev_b32_e32 v6, 4, v4
	ds_add_u32 v1, v21 offset:24576
	ds_add_u32 v7, v21 offset:28672
	ds_add_u32 v8, v21
	v_dual_lshrrev_b32 v1, 12, v4 :: v_dual_lshrrev_b32 v7, 20, v4
	v_lshrrev_b32_e32 v8, 6, v5
	v_and_or_b32 v6, 0xff0, v6, v18
	v_alignbit_b32 v4, v5, v4, 30
	s_delay_alu instid0(VALU_DEP_4)
	v_and_or_b32 v1, 0xff0, v1, v18
	ds_add_u32 v6, v21 offset:4096
	v_and_or_b32 v6, 0xff0, v7, v18
	v_and_b32_e32 v4, 0x3fc, v4
	v_and_b32_e32 v7, 0x3fc, v8
	ds_add_u32 v1, v21 offset:8192
	ds_add_u32 v6, v21 offset:12288
	v_lshl_or_b32 v1, v4, 2, v18
	v_dual_lshrrev_b32 v6, 14, v5 :: v_dual_lshrrev_b32 v5, 22, v5
	v_lshl_or_b32 v4, v7, 2, v18
	ds_add_u32 v1, v21 offset:16384
	ds_add_u32 v4, v21 offset:20480
	v_and_b32_e32 v1, 0x3fc, v6
	v_and_b32_e32 v4, 0x3fc, v5
	v_dual_lshlrev_b32 v5, 4, v2 :: v_dual_lshrrev_b32 v7, 12, v2
	v_lshrrev_b32_e32 v6, 4, v2
	s_delay_alu instid0(VALU_DEP_4) | instskip(NEXT) | instid1(VALU_DEP_4)
	v_lshl_or_b32 v1, v1, 2, v18
	v_lshl_or_b32 v4, v4, 2, v18
	s_delay_alu instid0(VALU_DEP_4)
	v_and_or_b32 v5, 0xff0, v5, v18
	v_and_or_b32 v7, 0xff0, v7, v18
	;; [unrolled: 1-line block ×3, first 2 shown]
	ds_add_u32 v1, v21 offset:24576
	ds_add_u32 v4, v21 offset:28672
	ds_add_u32 v5, v21
	ds_add_u32 v6, v21 offset:4096
	ds_add_u32 v7, v21 offset:8192
	v_lshrrev_b32_e32 v4, 6, v3
	v_alignbit_b32 v1, v3, v2, 30
	v_dual_lshrrev_b32 v5, 14, v3 :: v_dual_lshrrev_b32 v3, 22, v3
	v_lshrrev_b32_e32 v2, 20, v2
	s_delay_alu instid0(VALU_DEP_4) | instskip(NEXT) | instid1(VALU_DEP_4)
	v_and_b32_e32 v4, 0x3fc, v4
	v_and_b32_e32 v1, 0x3fc, v1
	s_delay_alu instid0(VALU_DEP_4)
	v_and_b32_e32 v5, 0x3fc, v5
	v_and_b32_e32 v3, 0x3fc, v3
	v_and_or_b32 v2, 0xff0, v2, v18
	v_lshl_or_b32 v4, v4, 2, v18
	v_lshl_or_b32 v1, v1, 2, v18
	;; [unrolled: 1-line block ×4, first 2 shown]
	ds_add_u32 v2, v21 offset:12288
	ds_add_u32 v1, v21 offset:16384
	;; [unrolled: 1-line block ×5, first 2 shown]
	s_wait_dscnt 0x0
	s_barrier_signal -1
	s_barrier_wait -1
	v_cmpx_gt_u32_e32 0x100, v0
	s_cbranch_execz .LBB1492_417
; %bb.416:
	v_lshlrev_b32_e32 v1, 4, v0
	ds_load_2addr_b32 v[2:3], v1 offset1:1
	ds_load_2addr_b32 v[4:5], v1 offset0:2 offset1:3
	s_wait_dscnt 0x1
	v_dual_mov_b32 v3, 0 :: v_dual_add_nc_u32 v2, v3, v2
	v_add_nc_u32_e32 v6, 0x1008, v1
	s_wait_dscnt 0x0
	s_delay_alu instid0(VALU_DEP_2)
	v_add3_u32 v2, v2, v4, v5
	v_add_nc_u32_e32 v4, 0x1000, v1
	global_atomic_add_u64 v0, v[2:3], s[6:7] scale_offset scope:SCOPE_DEV
	ds_load_2addr_b32 v[4:5], v4 offset1:1
	ds_load_2addr_b32 v[6:7], v6 offset1:1
	s_wait_dscnt 0x1
	s_wait_xcnt 0x0
	v_add_nc_u32_e32 v2, v5, v4
	v_or_b32_e32 v4, 0x2000, v1
	s_wait_dscnt 0x0
	s_delay_alu instid0(VALU_DEP_2)
	v_add3_u32 v2, v2, v6, v7
	v_or_b32_e32 v6, 0x2008, v1
	global_atomic_add_u64 v0, v[2:3], s[6:7] offset:2048 scale_offset scope:SCOPE_DEV
	ds_load_2addr_b32 v[4:5], v4 offset1:1
	ds_load_2addr_b32 v[6:7], v6 offset1:1
	s_wait_dscnt 0x1
	s_wait_xcnt 0x0
	v_add_nc_u32_e32 v2, v5, v4
	v_add_nc_u32_e32 v4, 0x3000, v1
	s_wait_dscnt 0x0
	s_delay_alu instid0(VALU_DEP_2)
	v_add3_u32 v2, v2, v6, v7
	v_add_nc_u32_e32 v6, 0x3008, v1
	global_atomic_add_u64 v0, v[2:3], s[6:7] offset:4096 scale_offset scope:SCOPE_DEV
	ds_load_2addr_b32 v[4:5], v4 offset1:1
	ds_load_2addr_b32 v[6:7], v6 offset1:1
	s_wait_dscnt 0x1
	s_wait_xcnt 0x0
	v_add_nc_u32_e32 v2, v5, v4
	v_or_b32_e32 v4, 0x4000, v1
	s_wait_dscnt 0x0
	s_delay_alu instid0(VALU_DEP_2)
	v_add3_u32 v2, v2, v6, v7
	v_or_b32_e32 v6, 0x4008, v1
	global_atomic_add_u64 v0, v[2:3], s[6:7] offset:6144 scale_offset scope:SCOPE_DEV
	ds_load_2addr_b32 v[4:5], v4 offset1:1
	ds_load_2addr_b32 v[6:7], v6 offset1:1
	s_wait_dscnt 0x1
	s_wait_xcnt 0x0
	v_add_nc_u32_e32 v2, v5, v4
	v_add_nc_u32_e32 v4, 0x5000, v1
	s_wait_dscnt 0x0
	s_delay_alu instid0(VALU_DEP_2)
	v_add3_u32 v2, v2, v6, v7
	v_add_nc_u32_e32 v6, 0x5008, v1
	global_atomic_add_u64 v0, v[2:3], s[6:7] offset:8192 scale_offset scope:SCOPE_DEV
	ds_load_2addr_b32 v[4:5], v4 offset1:1
	ds_load_2addr_b32 v[6:7], v6 offset1:1
	s_wait_dscnt 0x1
	s_wait_xcnt 0x0
	v_add_nc_u32_e32 v2, v5, v4
	v_or_b32_e32 v4, 0x6000, v1
	s_wait_dscnt 0x0
	s_delay_alu instid0(VALU_DEP_2)
	v_add3_u32 v2, v2, v6, v7
	v_or_b32_e32 v6, 0x6008, v1
	global_atomic_add_u64 v0, v[2:3], s[6:7] offset:10240 scale_offset scope:SCOPE_DEV
	ds_load_2addr_b32 v[4:5], v4 offset1:1
	ds_load_2addr_b32 v[6:7], v6 offset1:1
	s_wait_dscnt 0x1
	s_wait_xcnt 0x0
	v_add_nc_u32_e32 v2, v5, v4
	v_add_nc_u32_e32 v4, 0x7000, v1
	;; [unrolled: 1-line block ×3, first 2 shown]
	s_wait_dscnt 0x0
	s_delay_alu instid0(VALU_DEP_3)
	v_add3_u32 v2, v2, v6, v7
	global_atomic_add_u64 v0, v[2:3], s[6:7] offset:12288 scale_offset scope:SCOPE_DEV
	ds_load_2addr_b32 v[4:5], v4 offset1:1
	ds_load_2addr_b32 v[6:7], v1 offset1:1
	s_wait_dscnt 0x1
	v_add_nc_u32_e32 v1, v5, v4
	s_wait_dscnt 0x0
	s_wait_xcnt 0x0
	s_delay_alu instid0(VALU_DEP_1)
	v_add3_u32 v2, v1, v6, v7
	global_atomic_add_u64 v0, v[2:3], s[6:7] offset:14336 scale_offset scope:SCOPE_DEV
.LBB1492_417:
	s_endpgm
	.section	.rodata,"a",@progbits
	.p2align	6, 0x0
	.amdhsa_kernel _ZN7rocprim17ROCPRIM_400000_NS6detail17trampoline_kernelINS0_14default_configENS1_35radix_sort_onesweep_config_selectorIdNS0_10empty_typeEEEZNS1_34radix_sort_onesweep_global_offsetsIS3_Lb1EPKdPS5_mNS0_19identity_decomposerEEE10hipError_tT1_T2_PT3_SF_jT4_jjP12ihipStream_tbEUlT_E_NS1_11comp_targetILNS1_3genE0ELNS1_11target_archE4294967295ELNS1_3gpuE0ELNS1_3repE0EEENS1_52radix_sort_onesweep_histogram_config_static_selectorELNS0_4arch9wavefront6targetE0EEEvSD_
		.amdhsa_group_segment_fixed_size 32768
		.amdhsa_private_segment_fixed_size 0
		.amdhsa_kernarg_size 48
		.amdhsa_user_sgpr_count 2
		.amdhsa_user_sgpr_dispatch_ptr 0
		.amdhsa_user_sgpr_queue_ptr 0
		.amdhsa_user_sgpr_kernarg_segment_ptr 1
		.amdhsa_user_sgpr_dispatch_id 0
		.amdhsa_user_sgpr_kernarg_preload_length 0
		.amdhsa_user_sgpr_kernarg_preload_offset 0
		.amdhsa_user_sgpr_private_segment_size 0
		.amdhsa_wavefront_size32 1
		.amdhsa_uses_dynamic_stack 0
		.amdhsa_enable_private_segment 0
		.amdhsa_system_sgpr_workgroup_id_x 1
		.amdhsa_system_sgpr_workgroup_id_y 0
		.amdhsa_system_sgpr_workgroup_id_z 0
		.amdhsa_system_sgpr_workgroup_info 0
		.amdhsa_system_vgpr_workitem_id 0
		.amdhsa_next_free_vgpr 30
		.amdhsa_next_free_sgpr 16
		.amdhsa_named_barrier_count 0
		.amdhsa_reserve_vcc 1
		.amdhsa_float_round_mode_32 0
		.amdhsa_float_round_mode_16_64 0
		.amdhsa_float_denorm_mode_32 3
		.amdhsa_float_denorm_mode_16_64 3
		.amdhsa_fp16_overflow 0
		.amdhsa_memory_ordered 1
		.amdhsa_forward_progress 1
		.amdhsa_inst_pref_size 164
		.amdhsa_round_robin_scheduling 0
		.amdhsa_exception_fp_ieee_invalid_op 0
		.amdhsa_exception_fp_denorm_src 0
		.amdhsa_exception_fp_ieee_div_zero 0
		.amdhsa_exception_fp_ieee_overflow 0
		.amdhsa_exception_fp_ieee_underflow 0
		.amdhsa_exception_fp_ieee_inexact 0
		.amdhsa_exception_int_div_zero 0
	.end_amdhsa_kernel
	.section	.text._ZN7rocprim17ROCPRIM_400000_NS6detail17trampoline_kernelINS0_14default_configENS1_35radix_sort_onesweep_config_selectorIdNS0_10empty_typeEEEZNS1_34radix_sort_onesweep_global_offsetsIS3_Lb1EPKdPS5_mNS0_19identity_decomposerEEE10hipError_tT1_T2_PT3_SF_jT4_jjP12ihipStream_tbEUlT_E_NS1_11comp_targetILNS1_3genE0ELNS1_11target_archE4294967295ELNS1_3gpuE0ELNS1_3repE0EEENS1_52radix_sort_onesweep_histogram_config_static_selectorELNS0_4arch9wavefront6targetE0EEEvSD_,"axG",@progbits,_ZN7rocprim17ROCPRIM_400000_NS6detail17trampoline_kernelINS0_14default_configENS1_35radix_sort_onesweep_config_selectorIdNS0_10empty_typeEEEZNS1_34radix_sort_onesweep_global_offsetsIS3_Lb1EPKdPS5_mNS0_19identity_decomposerEEE10hipError_tT1_T2_PT3_SF_jT4_jjP12ihipStream_tbEUlT_E_NS1_11comp_targetILNS1_3genE0ELNS1_11target_archE4294967295ELNS1_3gpuE0ELNS1_3repE0EEENS1_52radix_sort_onesweep_histogram_config_static_selectorELNS0_4arch9wavefront6targetE0EEEvSD_,comdat
.Lfunc_end1492:
	.size	_ZN7rocprim17ROCPRIM_400000_NS6detail17trampoline_kernelINS0_14default_configENS1_35radix_sort_onesweep_config_selectorIdNS0_10empty_typeEEEZNS1_34radix_sort_onesweep_global_offsetsIS3_Lb1EPKdPS5_mNS0_19identity_decomposerEEE10hipError_tT1_T2_PT3_SF_jT4_jjP12ihipStream_tbEUlT_E_NS1_11comp_targetILNS1_3genE0ELNS1_11target_archE4294967295ELNS1_3gpuE0ELNS1_3repE0EEENS1_52radix_sort_onesweep_histogram_config_static_selectorELNS0_4arch9wavefront6targetE0EEEvSD_, .Lfunc_end1492-_ZN7rocprim17ROCPRIM_400000_NS6detail17trampoline_kernelINS0_14default_configENS1_35radix_sort_onesweep_config_selectorIdNS0_10empty_typeEEEZNS1_34radix_sort_onesweep_global_offsetsIS3_Lb1EPKdPS5_mNS0_19identity_decomposerEEE10hipError_tT1_T2_PT3_SF_jT4_jjP12ihipStream_tbEUlT_E_NS1_11comp_targetILNS1_3genE0ELNS1_11target_archE4294967295ELNS1_3gpuE0ELNS1_3repE0EEENS1_52radix_sort_onesweep_histogram_config_static_selectorELNS0_4arch9wavefront6targetE0EEEvSD_
                                        ; -- End function
	.set _ZN7rocprim17ROCPRIM_400000_NS6detail17trampoline_kernelINS0_14default_configENS1_35radix_sort_onesweep_config_selectorIdNS0_10empty_typeEEEZNS1_34radix_sort_onesweep_global_offsetsIS3_Lb1EPKdPS5_mNS0_19identity_decomposerEEE10hipError_tT1_T2_PT3_SF_jT4_jjP12ihipStream_tbEUlT_E_NS1_11comp_targetILNS1_3genE0ELNS1_11target_archE4294967295ELNS1_3gpuE0ELNS1_3repE0EEENS1_52radix_sort_onesweep_histogram_config_static_selectorELNS0_4arch9wavefront6targetE0EEEvSD_.num_vgpr, 30
	.set _ZN7rocprim17ROCPRIM_400000_NS6detail17trampoline_kernelINS0_14default_configENS1_35radix_sort_onesweep_config_selectorIdNS0_10empty_typeEEEZNS1_34radix_sort_onesweep_global_offsetsIS3_Lb1EPKdPS5_mNS0_19identity_decomposerEEE10hipError_tT1_T2_PT3_SF_jT4_jjP12ihipStream_tbEUlT_E_NS1_11comp_targetILNS1_3genE0ELNS1_11target_archE4294967295ELNS1_3gpuE0ELNS1_3repE0EEENS1_52radix_sort_onesweep_histogram_config_static_selectorELNS0_4arch9wavefront6targetE0EEEvSD_.num_agpr, 0
	.set _ZN7rocprim17ROCPRIM_400000_NS6detail17trampoline_kernelINS0_14default_configENS1_35radix_sort_onesweep_config_selectorIdNS0_10empty_typeEEEZNS1_34radix_sort_onesweep_global_offsetsIS3_Lb1EPKdPS5_mNS0_19identity_decomposerEEE10hipError_tT1_T2_PT3_SF_jT4_jjP12ihipStream_tbEUlT_E_NS1_11comp_targetILNS1_3genE0ELNS1_11target_archE4294967295ELNS1_3gpuE0ELNS1_3repE0EEENS1_52radix_sort_onesweep_histogram_config_static_selectorELNS0_4arch9wavefront6targetE0EEEvSD_.numbered_sgpr, 16
	.set _ZN7rocprim17ROCPRIM_400000_NS6detail17trampoline_kernelINS0_14default_configENS1_35radix_sort_onesweep_config_selectorIdNS0_10empty_typeEEEZNS1_34radix_sort_onesweep_global_offsetsIS3_Lb1EPKdPS5_mNS0_19identity_decomposerEEE10hipError_tT1_T2_PT3_SF_jT4_jjP12ihipStream_tbEUlT_E_NS1_11comp_targetILNS1_3genE0ELNS1_11target_archE4294967295ELNS1_3gpuE0ELNS1_3repE0EEENS1_52radix_sort_onesweep_histogram_config_static_selectorELNS0_4arch9wavefront6targetE0EEEvSD_.num_named_barrier, 0
	.set _ZN7rocprim17ROCPRIM_400000_NS6detail17trampoline_kernelINS0_14default_configENS1_35radix_sort_onesweep_config_selectorIdNS0_10empty_typeEEEZNS1_34radix_sort_onesweep_global_offsetsIS3_Lb1EPKdPS5_mNS0_19identity_decomposerEEE10hipError_tT1_T2_PT3_SF_jT4_jjP12ihipStream_tbEUlT_E_NS1_11comp_targetILNS1_3genE0ELNS1_11target_archE4294967295ELNS1_3gpuE0ELNS1_3repE0EEENS1_52radix_sort_onesweep_histogram_config_static_selectorELNS0_4arch9wavefront6targetE0EEEvSD_.private_seg_size, 0
	.set _ZN7rocprim17ROCPRIM_400000_NS6detail17trampoline_kernelINS0_14default_configENS1_35radix_sort_onesweep_config_selectorIdNS0_10empty_typeEEEZNS1_34radix_sort_onesweep_global_offsetsIS3_Lb1EPKdPS5_mNS0_19identity_decomposerEEE10hipError_tT1_T2_PT3_SF_jT4_jjP12ihipStream_tbEUlT_E_NS1_11comp_targetILNS1_3genE0ELNS1_11target_archE4294967295ELNS1_3gpuE0ELNS1_3repE0EEENS1_52radix_sort_onesweep_histogram_config_static_selectorELNS0_4arch9wavefront6targetE0EEEvSD_.uses_vcc, 1
	.set _ZN7rocprim17ROCPRIM_400000_NS6detail17trampoline_kernelINS0_14default_configENS1_35radix_sort_onesweep_config_selectorIdNS0_10empty_typeEEEZNS1_34radix_sort_onesweep_global_offsetsIS3_Lb1EPKdPS5_mNS0_19identity_decomposerEEE10hipError_tT1_T2_PT3_SF_jT4_jjP12ihipStream_tbEUlT_E_NS1_11comp_targetILNS1_3genE0ELNS1_11target_archE4294967295ELNS1_3gpuE0ELNS1_3repE0EEENS1_52radix_sort_onesweep_histogram_config_static_selectorELNS0_4arch9wavefront6targetE0EEEvSD_.uses_flat_scratch, 0
	.set _ZN7rocprim17ROCPRIM_400000_NS6detail17trampoline_kernelINS0_14default_configENS1_35radix_sort_onesweep_config_selectorIdNS0_10empty_typeEEEZNS1_34radix_sort_onesweep_global_offsetsIS3_Lb1EPKdPS5_mNS0_19identity_decomposerEEE10hipError_tT1_T2_PT3_SF_jT4_jjP12ihipStream_tbEUlT_E_NS1_11comp_targetILNS1_3genE0ELNS1_11target_archE4294967295ELNS1_3gpuE0ELNS1_3repE0EEENS1_52radix_sort_onesweep_histogram_config_static_selectorELNS0_4arch9wavefront6targetE0EEEvSD_.has_dyn_sized_stack, 0
	.set _ZN7rocprim17ROCPRIM_400000_NS6detail17trampoline_kernelINS0_14default_configENS1_35radix_sort_onesweep_config_selectorIdNS0_10empty_typeEEEZNS1_34radix_sort_onesweep_global_offsetsIS3_Lb1EPKdPS5_mNS0_19identity_decomposerEEE10hipError_tT1_T2_PT3_SF_jT4_jjP12ihipStream_tbEUlT_E_NS1_11comp_targetILNS1_3genE0ELNS1_11target_archE4294967295ELNS1_3gpuE0ELNS1_3repE0EEENS1_52radix_sort_onesweep_histogram_config_static_selectorELNS0_4arch9wavefront6targetE0EEEvSD_.has_recursion, 0
	.set _ZN7rocprim17ROCPRIM_400000_NS6detail17trampoline_kernelINS0_14default_configENS1_35radix_sort_onesweep_config_selectorIdNS0_10empty_typeEEEZNS1_34radix_sort_onesweep_global_offsetsIS3_Lb1EPKdPS5_mNS0_19identity_decomposerEEE10hipError_tT1_T2_PT3_SF_jT4_jjP12ihipStream_tbEUlT_E_NS1_11comp_targetILNS1_3genE0ELNS1_11target_archE4294967295ELNS1_3gpuE0ELNS1_3repE0EEENS1_52radix_sort_onesweep_histogram_config_static_selectorELNS0_4arch9wavefront6targetE0EEEvSD_.has_indirect_call, 0
	.section	.AMDGPU.csdata,"",@progbits
; Kernel info:
; codeLenInByte = 20940
; TotalNumSgprs: 18
; NumVgprs: 30
; ScratchSize: 0
; MemoryBound: 0
; FloatMode: 240
; IeeeMode: 1
; LDSByteSize: 32768 bytes/workgroup (compile time only)
; SGPRBlocks: 0
; VGPRBlocks: 1
; NumSGPRsForWavesPerEU: 18
; NumVGPRsForWavesPerEU: 30
; NamedBarCnt: 0
; Occupancy: 16
; WaveLimiterHint : 1
; COMPUTE_PGM_RSRC2:SCRATCH_EN: 0
; COMPUTE_PGM_RSRC2:USER_SGPR: 2
; COMPUTE_PGM_RSRC2:TRAP_HANDLER: 0
; COMPUTE_PGM_RSRC2:TGID_X_EN: 1
; COMPUTE_PGM_RSRC2:TGID_Y_EN: 0
; COMPUTE_PGM_RSRC2:TGID_Z_EN: 0
; COMPUTE_PGM_RSRC2:TIDIG_COMP_CNT: 0
	.section	.text._ZN7rocprim17ROCPRIM_400000_NS6detail17trampoline_kernelINS0_14default_configENS1_35radix_sort_onesweep_config_selectorIdNS0_10empty_typeEEEZNS1_34radix_sort_onesweep_global_offsetsIS3_Lb1EPKdPS5_mNS0_19identity_decomposerEEE10hipError_tT1_T2_PT3_SF_jT4_jjP12ihipStream_tbEUlT_E_NS1_11comp_targetILNS1_3genE6ELNS1_11target_archE950ELNS1_3gpuE13ELNS1_3repE0EEENS1_52radix_sort_onesweep_histogram_config_static_selectorELNS0_4arch9wavefront6targetE0EEEvSD_,"axG",@progbits,_ZN7rocprim17ROCPRIM_400000_NS6detail17trampoline_kernelINS0_14default_configENS1_35radix_sort_onesweep_config_selectorIdNS0_10empty_typeEEEZNS1_34radix_sort_onesweep_global_offsetsIS3_Lb1EPKdPS5_mNS0_19identity_decomposerEEE10hipError_tT1_T2_PT3_SF_jT4_jjP12ihipStream_tbEUlT_E_NS1_11comp_targetILNS1_3genE6ELNS1_11target_archE950ELNS1_3gpuE13ELNS1_3repE0EEENS1_52radix_sort_onesweep_histogram_config_static_selectorELNS0_4arch9wavefront6targetE0EEEvSD_,comdat
	.protected	_ZN7rocprim17ROCPRIM_400000_NS6detail17trampoline_kernelINS0_14default_configENS1_35radix_sort_onesweep_config_selectorIdNS0_10empty_typeEEEZNS1_34radix_sort_onesweep_global_offsetsIS3_Lb1EPKdPS5_mNS0_19identity_decomposerEEE10hipError_tT1_T2_PT3_SF_jT4_jjP12ihipStream_tbEUlT_E_NS1_11comp_targetILNS1_3genE6ELNS1_11target_archE950ELNS1_3gpuE13ELNS1_3repE0EEENS1_52radix_sort_onesweep_histogram_config_static_selectorELNS0_4arch9wavefront6targetE0EEEvSD_ ; -- Begin function _ZN7rocprim17ROCPRIM_400000_NS6detail17trampoline_kernelINS0_14default_configENS1_35radix_sort_onesweep_config_selectorIdNS0_10empty_typeEEEZNS1_34radix_sort_onesweep_global_offsetsIS3_Lb1EPKdPS5_mNS0_19identity_decomposerEEE10hipError_tT1_T2_PT3_SF_jT4_jjP12ihipStream_tbEUlT_E_NS1_11comp_targetILNS1_3genE6ELNS1_11target_archE950ELNS1_3gpuE13ELNS1_3repE0EEENS1_52radix_sort_onesweep_histogram_config_static_selectorELNS0_4arch9wavefront6targetE0EEEvSD_
	.globl	_ZN7rocprim17ROCPRIM_400000_NS6detail17trampoline_kernelINS0_14default_configENS1_35radix_sort_onesweep_config_selectorIdNS0_10empty_typeEEEZNS1_34radix_sort_onesweep_global_offsetsIS3_Lb1EPKdPS5_mNS0_19identity_decomposerEEE10hipError_tT1_T2_PT3_SF_jT4_jjP12ihipStream_tbEUlT_E_NS1_11comp_targetILNS1_3genE6ELNS1_11target_archE950ELNS1_3gpuE13ELNS1_3repE0EEENS1_52radix_sort_onesweep_histogram_config_static_selectorELNS0_4arch9wavefront6targetE0EEEvSD_
	.p2align	8
	.type	_ZN7rocprim17ROCPRIM_400000_NS6detail17trampoline_kernelINS0_14default_configENS1_35radix_sort_onesweep_config_selectorIdNS0_10empty_typeEEEZNS1_34radix_sort_onesweep_global_offsetsIS3_Lb1EPKdPS5_mNS0_19identity_decomposerEEE10hipError_tT1_T2_PT3_SF_jT4_jjP12ihipStream_tbEUlT_E_NS1_11comp_targetILNS1_3genE6ELNS1_11target_archE950ELNS1_3gpuE13ELNS1_3repE0EEENS1_52radix_sort_onesweep_histogram_config_static_selectorELNS0_4arch9wavefront6targetE0EEEvSD_,@function
_ZN7rocprim17ROCPRIM_400000_NS6detail17trampoline_kernelINS0_14default_configENS1_35radix_sort_onesweep_config_selectorIdNS0_10empty_typeEEEZNS1_34radix_sort_onesweep_global_offsetsIS3_Lb1EPKdPS5_mNS0_19identity_decomposerEEE10hipError_tT1_T2_PT3_SF_jT4_jjP12ihipStream_tbEUlT_E_NS1_11comp_targetILNS1_3genE6ELNS1_11target_archE950ELNS1_3gpuE13ELNS1_3repE0EEENS1_52radix_sort_onesweep_histogram_config_static_selectorELNS0_4arch9wavefront6targetE0EEEvSD_: ; @_ZN7rocprim17ROCPRIM_400000_NS6detail17trampoline_kernelINS0_14default_configENS1_35radix_sort_onesweep_config_selectorIdNS0_10empty_typeEEEZNS1_34radix_sort_onesweep_global_offsetsIS3_Lb1EPKdPS5_mNS0_19identity_decomposerEEE10hipError_tT1_T2_PT3_SF_jT4_jjP12ihipStream_tbEUlT_E_NS1_11comp_targetILNS1_3genE6ELNS1_11target_archE950ELNS1_3gpuE13ELNS1_3repE0EEENS1_52radix_sort_onesweep_histogram_config_static_selectorELNS0_4arch9wavefront6targetE0EEEvSD_
; %bb.0:
	.section	.rodata,"a",@progbits
	.p2align	6, 0x0
	.amdhsa_kernel _ZN7rocprim17ROCPRIM_400000_NS6detail17trampoline_kernelINS0_14default_configENS1_35radix_sort_onesweep_config_selectorIdNS0_10empty_typeEEEZNS1_34radix_sort_onesweep_global_offsetsIS3_Lb1EPKdPS5_mNS0_19identity_decomposerEEE10hipError_tT1_T2_PT3_SF_jT4_jjP12ihipStream_tbEUlT_E_NS1_11comp_targetILNS1_3genE6ELNS1_11target_archE950ELNS1_3gpuE13ELNS1_3repE0EEENS1_52radix_sort_onesweep_histogram_config_static_selectorELNS0_4arch9wavefront6targetE0EEEvSD_
		.amdhsa_group_segment_fixed_size 0
		.amdhsa_private_segment_fixed_size 0
		.amdhsa_kernarg_size 48
		.amdhsa_user_sgpr_count 2
		.amdhsa_user_sgpr_dispatch_ptr 0
		.amdhsa_user_sgpr_queue_ptr 0
		.amdhsa_user_sgpr_kernarg_segment_ptr 1
		.amdhsa_user_sgpr_dispatch_id 0
		.amdhsa_user_sgpr_kernarg_preload_length 0
		.amdhsa_user_sgpr_kernarg_preload_offset 0
		.amdhsa_user_sgpr_private_segment_size 0
		.amdhsa_wavefront_size32 1
		.amdhsa_uses_dynamic_stack 0
		.amdhsa_enable_private_segment 0
		.amdhsa_system_sgpr_workgroup_id_x 1
		.amdhsa_system_sgpr_workgroup_id_y 0
		.amdhsa_system_sgpr_workgroup_id_z 0
		.amdhsa_system_sgpr_workgroup_info 0
		.amdhsa_system_vgpr_workitem_id 0
		.amdhsa_next_free_vgpr 1
		.amdhsa_next_free_sgpr 1
		.amdhsa_named_barrier_count 0
		.amdhsa_reserve_vcc 0
		.amdhsa_float_round_mode_32 0
		.amdhsa_float_round_mode_16_64 0
		.amdhsa_float_denorm_mode_32 3
		.amdhsa_float_denorm_mode_16_64 3
		.amdhsa_fp16_overflow 0
		.amdhsa_memory_ordered 1
		.amdhsa_forward_progress 1
		.amdhsa_inst_pref_size 0
		.amdhsa_round_robin_scheduling 0
		.amdhsa_exception_fp_ieee_invalid_op 0
		.amdhsa_exception_fp_denorm_src 0
		.amdhsa_exception_fp_ieee_div_zero 0
		.amdhsa_exception_fp_ieee_overflow 0
		.amdhsa_exception_fp_ieee_underflow 0
		.amdhsa_exception_fp_ieee_inexact 0
		.amdhsa_exception_int_div_zero 0
	.end_amdhsa_kernel
	.section	.text._ZN7rocprim17ROCPRIM_400000_NS6detail17trampoline_kernelINS0_14default_configENS1_35radix_sort_onesweep_config_selectorIdNS0_10empty_typeEEEZNS1_34radix_sort_onesweep_global_offsetsIS3_Lb1EPKdPS5_mNS0_19identity_decomposerEEE10hipError_tT1_T2_PT3_SF_jT4_jjP12ihipStream_tbEUlT_E_NS1_11comp_targetILNS1_3genE6ELNS1_11target_archE950ELNS1_3gpuE13ELNS1_3repE0EEENS1_52radix_sort_onesweep_histogram_config_static_selectorELNS0_4arch9wavefront6targetE0EEEvSD_,"axG",@progbits,_ZN7rocprim17ROCPRIM_400000_NS6detail17trampoline_kernelINS0_14default_configENS1_35radix_sort_onesweep_config_selectorIdNS0_10empty_typeEEEZNS1_34radix_sort_onesweep_global_offsetsIS3_Lb1EPKdPS5_mNS0_19identity_decomposerEEE10hipError_tT1_T2_PT3_SF_jT4_jjP12ihipStream_tbEUlT_E_NS1_11comp_targetILNS1_3genE6ELNS1_11target_archE950ELNS1_3gpuE13ELNS1_3repE0EEENS1_52radix_sort_onesweep_histogram_config_static_selectorELNS0_4arch9wavefront6targetE0EEEvSD_,comdat
.Lfunc_end1493:
	.size	_ZN7rocprim17ROCPRIM_400000_NS6detail17trampoline_kernelINS0_14default_configENS1_35radix_sort_onesweep_config_selectorIdNS0_10empty_typeEEEZNS1_34radix_sort_onesweep_global_offsetsIS3_Lb1EPKdPS5_mNS0_19identity_decomposerEEE10hipError_tT1_T2_PT3_SF_jT4_jjP12ihipStream_tbEUlT_E_NS1_11comp_targetILNS1_3genE6ELNS1_11target_archE950ELNS1_3gpuE13ELNS1_3repE0EEENS1_52radix_sort_onesweep_histogram_config_static_selectorELNS0_4arch9wavefront6targetE0EEEvSD_, .Lfunc_end1493-_ZN7rocprim17ROCPRIM_400000_NS6detail17trampoline_kernelINS0_14default_configENS1_35radix_sort_onesweep_config_selectorIdNS0_10empty_typeEEEZNS1_34radix_sort_onesweep_global_offsetsIS3_Lb1EPKdPS5_mNS0_19identity_decomposerEEE10hipError_tT1_T2_PT3_SF_jT4_jjP12ihipStream_tbEUlT_E_NS1_11comp_targetILNS1_3genE6ELNS1_11target_archE950ELNS1_3gpuE13ELNS1_3repE0EEENS1_52radix_sort_onesweep_histogram_config_static_selectorELNS0_4arch9wavefront6targetE0EEEvSD_
                                        ; -- End function
	.set _ZN7rocprim17ROCPRIM_400000_NS6detail17trampoline_kernelINS0_14default_configENS1_35radix_sort_onesweep_config_selectorIdNS0_10empty_typeEEEZNS1_34radix_sort_onesweep_global_offsetsIS3_Lb1EPKdPS5_mNS0_19identity_decomposerEEE10hipError_tT1_T2_PT3_SF_jT4_jjP12ihipStream_tbEUlT_E_NS1_11comp_targetILNS1_3genE6ELNS1_11target_archE950ELNS1_3gpuE13ELNS1_3repE0EEENS1_52radix_sort_onesweep_histogram_config_static_selectorELNS0_4arch9wavefront6targetE0EEEvSD_.num_vgpr, 0
	.set _ZN7rocprim17ROCPRIM_400000_NS6detail17trampoline_kernelINS0_14default_configENS1_35radix_sort_onesweep_config_selectorIdNS0_10empty_typeEEEZNS1_34radix_sort_onesweep_global_offsetsIS3_Lb1EPKdPS5_mNS0_19identity_decomposerEEE10hipError_tT1_T2_PT3_SF_jT4_jjP12ihipStream_tbEUlT_E_NS1_11comp_targetILNS1_3genE6ELNS1_11target_archE950ELNS1_3gpuE13ELNS1_3repE0EEENS1_52radix_sort_onesweep_histogram_config_static_selectorELNS0_4arch9wavefront6targetE0EEEvSD_.num_agpr, 0
	.set _ZN7rocprim17ROCPRIM_400000_NS6detail17trampoline_kernelINS0_14default_configENS1_35radix_sort_onesweep_config_selectorIdNS0_10empty_typeEEEZNS1_34radix_sort_onesweep_global_offsetsIS3_Lb1EPKdPS5_mNS0_19identity_decomposerEEE10hipError_tT1_T2_PT3_SF_jT4_jjP12ihipStream_tbEUlT_E_NS1_11comp_targetILNS1_3genE6ELNS1_11target_archE950ELNS1_3gpuE13ELNS1_3repE0EEENS1_52radix_sort_onesweep_histogram_config_static_selectorELNS0_4arch9wavefront6targetE0EEEvSD_.numbered_sgpr, 0
	.set _ZN7rocprim17ROCPRIM_400000_NS6detail17trampoline_kernelINS0_14default_configENS1_35radix_sort_onesweep_config_selectorIdNS0_10empty_typeEEEZNS1_34radix_sort_onesweep_global_offsetsIS3_Lb1EPKdPS5_mNS0_19identity_decomposerEEE10hipError_tT1_T2_PT3_SF_jT4_jjP12ihipStream_tbEUlT_E_NS1_11comp_targetILNS1_3genE6ELNS1_11target_archE950ELNS1_3gpuE13ELNS1_3repE0EEENS1_52radix_sort_onesweep_histogram_config_static_selectorELNS0_4arch9wavefront6targetE0EEEvSD_.num_named_barrier, 0
	.set _ZN7rocprim17ROCPRIM_400000_NS6detail17trampoline_kernelINS0_14default_configENS1_35radix_sort_onesweep_config_selectorIdNS0_10empty_typeEEEZNS1_34radix_sort_onesweep_global_offsetsIS3_Lb1EPKdPS5_mNS0_19identity_decomposerEEE10hipError_tT1_T2_PT3_SF_jT4_jjP12ihipStream_tbEUlT_E_NS1_11comp_targetILNS1_3genE6ELNS1_11target_archE950ELNS1_3gpuE13ELNS1_3repE0EEENS1_52radix_sort_onesweep_histogram_config_static_selectorELNS0_4arch9wavefront6targetE0EEEvSD_.private_seg_size, 0
	.set _ZN7rocprim17ROCPRIM_400000_NS6detail17trampoline_kernelINS0_14default_configENS1_35radix_sort_onesweep_config_selectorIdNS0_10empty_typeEEEZNS1_34radix_sort_onesweep_global_offsetsIS3_Lb1EPKdPS5_mNS0_19identity_decomposerEEE10hipError_tT1_T2_PT3_SF_jT4_jjP12ihipStream_tbEUlT_E_NS1_11comp_targetILNS1_3genE6ELNS1_11target_archE950ELNS1_3gpuE13ELNS1_3repE0EEENS1_52radix_sort_onesweep_histogram_config_static_selectorELNS0_4arch9wavefront6targetE0EEEvSD_.uses_vcc, 0
	.set _ZN7rocprim17ROCPRIM_400000_NS6detail17trampoline_kernelINS0_14default_configENS1_35radix_sort_onesweep_config_selectorIdNS0_10empty_typeEEEZNS1_34radix_sort_onesweep_global_offsetsIS3_Lb1EPKdPS5_mNS0_19identity_decomposerEEE10hipError_tT1_T2_PT3_SF_jT4_jjP12ihipStream_tbEUlT_E_NS1_11comp_targetILNS1_3genE6ELNS1_11target_archE950ELNS1_3gpuE13ELNS1_3repE0EEENS1_52radix_sort_onesweep_histogram_config_static_selectorELNS0_4arch9wavefront6targetE0EEEvSD_.uses_flat_scratch, 0
	.set _ZN7rocprim17ROCPRIM_400000_NS6detail17trampoline_kernelINS0_14default_configENS1_35radix_sort_onesweep_config_selectorIdNS0_10empty_typeEEEZNS1_34radix_sort_onesweep_global_offsetsIS3_Lb1EPKdPS5_mNS0_19identity_decomposerEEE10hipError_tT1_T2_PT3_SF_jT4_jjP12ihipStream_tbEUlT_E_NS1_11comp_targetILNS1_3genE6ELNS1_11target_archE950ELNS1_3gpuE13ELNS1_3repE0EEENS1_52radix_sort_onesweep_histogram_config_static_selectorELNS0_4arch9wavefront6targetE0EEEvSD_.has_dyn_sized_stack, 0
	.set _ZN7rocprim17ROCPRIM_400000_NS6detail17trampoline_kernelINS0_14default_configENS1_35radix_sort_onesweep_config_selectorIdNS0_10empty_typeEEEZNS1_34radix_sort_onesweep_global_offsetsIS3_Lb1EPKdPS5_mNS0_19identity_decomposerEEE10hipError_tT1_T2_PT3_SF_jT4_jjP12ihipStream_tbEUlT_E_NS1_11comp_targetILNS1_3genE6ELNS1_11target_archE950ELNS1_3gpuE13ELNS1_3repE0EEENS1_52radix_sort_onesweep_histogram_config_static_selectorELNS0_4arch9wavefront6targetE0EEEvSD_.has_recursion, 0
	.set _ZN7rocprim17ROCPRIM_400000_NS6detail17trampoline_kernelINS0_14default_configENS1_35radix_sort_onesweep_config_selectorIdNS0_10empty_typeEEEZNS1_34radix_sort_onesweep_global_offsetsIS3_Lb1EPKdPS5_mNS0_19identity_decomposerEEE10hipError_tT1_T2_PT3_SF_jT4_jjP12ihipStream_tbEUlT_E_NS1_11comp_targetILNS1_3genE6ELNS1_11target_archE950ELNS1_3gpuE13ELNS1_3repE0EEENS1_52radix_sort_onesweep_histogram_config_static_selectorELNS0_4arch9wavefront6targetE0EEEvSD_.has_indirect_call, 0
	.section	.AMDGPU.csdata,"",@progbits
; Kernel info:
; codeLenInByte = 0
; TotalNumSgprs: 0
; NumVgprs: 0
; ScratchSize: 0
; MemoryBound: 0
; FloatMode: 240
; IeeeMode: 1
; LDSByteSize: 0 bytes/workgroup (compile time only)
; SGPRBlocks: 0
; VGPRBlocks: 0
; NumSGPRsForWavesPerEU: 1
; NumVGPRsForWavesPerEU: 1
; NamedBarCnt: 0
; Occupancy: 16
; WaveLimiterHint : 0
; COMPUTE_PGM_RSRC2:SCRATCH_EN: 0
; COMPUTE_PGM_RSRC2:USER_SGPR: 2
; COMPUTE_PGM_RSRC2:TRAP_HANDLER: 0
; COMPUTE_PGM_RSRC2:TGID_X_EN: 1
; COMPUTE_PGM_RSRC2:TGID_Y_EN: 0
; COMPUTE_PGM_RSRC2:TGID_Z_EN: 0
; COMPUTE_PGM_RSRC2:TIDIG_COMP_CNT: 0
	.section	.text._ZN7rocprim17ROCPRIM_400000_NS6detail17trampoline_kernelINS0_14default_configENS1_35radix_sort_onesweep_config_selectorIdNS0_10empty_typeEEEZNS1_34radix_sort_onesweep_global_offsetsIS3_Lb1EPKdPS5_mNS0_19identity_decomposerEEE10hipError_tT1_T2_PT3_SF_jT4_jjP12ihipStream_tbEUlT_E_NS1_11comp_targetILNS1_3genE5ELNS1_11target_archE942ELNS1_3gpuE9ELNS1_3repE0EEENS1_52radix_sort_onesweep_histogram_config_static_selectorELNS0_4arch9wavefront6targetE0EEEvSD_,"axG",@progbits,_ZN7rocprim17ROCPRIM_400000_NS6detail17trampoline_kernelINS0_14default_configENS1_35radix_sort_onesweep_config_selectorIdNS0_10empty_typeEEEZNS1_34radix_sort_onesweep_global_offsetsIS3_Lb1EPKdPS5_mNS0_19identity_decomposerEEE10hipError_tT1_T2_PT3_SF_jT4_jjP12ihipStream_tbEUlT_E_NS1_11comp_targetILNS1_3genE5ELNS1_11target_archE942ELNS1_3gpuE9ELNS1_3repE0EEENS1_52radix_sort_onesweep_histogram_config_static_selectorELNS0_4arch9wavefront6targetE0EEEvSD_,comdat
	.protected	_ZN7rocprim17ROCPRIM_400000_NS6detail17trampoline_kernelINS0_14default_configENS1_35radix_sort_onesweep_config_selectorIdNS0_10empty_typeEEEZNS1_34radix_sort_onesweep_global_offsetsIS3_Lb1EPKdPS5_mNS0_19identity_decomposerEEE10hipError_tT1_T2_PT3_SF_jT4_jjP12ihipStream_tbEUlT_E_NS1_11comp_targetILNS1_3genE5ELNS1_11target_archE942ELNS1_3gpuE9ELNS1_3repE0EEENS1_52radix_sort_onesweep_histogram_config_static_selectorELNS0_4arch9wavefront6targetE0EEEvSD_ ; -- Begin function _ZN7rocprim17ROCPRIM_400000_NS6detail17trampoline_kernelINS0_14default_configENS1_35radix_sort_onesweep_config_selectorIdNS0_10empty_typeEEEZNS1_34radix_sort_onesweep_global_offsetsIS3_Lb1EPKdPS5_mNS0_19identity_decomposerEEE10hipError_tT1_T2_PT3_SF_jT4_jjP12ihipStream_tbEUlT_E_NS1_11comp_targetILNS1_3genE5ELNS1_11target_archE942ELNS1_3gpuE9ELNS1_3repE0EEENS1_52radix_sort_onesweep_histogram_config_static_selectorELNS0_4arch9wavefront6targetE0EEEvSD_
	.globl	_ZN7rocprim17ROCPRIM_400000_NS6detail17trampoline_kernelINS0_14default_configENS1_35radix_sort_onesweep_config_selectorIdNS0_10empty_typeEEEZNS1_34radix_sort_onesweep_global_offsetsIS3_Lb1EPKdPS5_mNS0_19identity_decomposerEEE10hipError_tT1_T2_PT3_SF_jT4_jjP12ihipStream_tbEUlT_E_NS1_11comp_targetILNS1_3genE5ELNS1_11target_archE942ELNS1_3gpuE9ELNS1_3repE0EEENS1_52radix_sort_onesweep_histogram_config_static_selectorELNS0_4arch9wavefront6targetE0EEEvSD_
	.p2align	8
	.type	_ZN7rocprim17ROCPRIM_400000_NS6detail17trampoline_kernelINS0_14default_configENS1_35radix_sort_onesweep_config_selectorIdNS0_10empty_typeEEEZNS1_34radix_sort_onesweep_global_offsetsIS3_Lb1EPKdPS5_mNS0_19identity_decomposerEEE10hipError_tT1_T2_PT3_SF_jT4_jjP12ihipStream_tbEUlT_E_NS1_11comp_targetILNS1_3genE5ELNS1_11target_archE942ELNS1_3gpuE9ELNS1_3repE0EEENS1_52radix_sort_onesweep_histogram_config_static_selectorELNS0_4arch9wavefront6targetE0EEEvSD_,@function
_ZN7rocprim17ROCPRIM_400000_NS6detail17trampoline_kernelINS0_14default_configENS1_35radix_sort_onesweep_config_selectorIdNS0_10empty_typeEEEZNS1_34radix_sort_onesweep_global_offsetsIS3_Lb1EPKdPS5_mNS0_19identity_decomposerEEE10hipError_tT1_T2_PT3_SF_jT4_jjP12ihipStream_tbEUlT_E_NS1_11comp_targetILNS1_3genE5ELNS1_11target_archE942ELNS1_3gpuE9ELNS1_3repE0EEENS1_52radix_sort_onesweep_histogram_config_static_selectorELNS0_4arch9wavefront6targetE0EEEvSD_: ; @_ZN7rocprim17ROCPRIM_400000_NS6detail17trampoline_kernelINS0_14default_configENS1_35radix_sort_onesweep_config_selectorIdNS0_10empty_typeEEEZNS1_34radix_sort_onesweep_global_offsetsIS3_Lb1EPKdPS5_mNS0_19identity_decomposerEEE10hipError_tT1_T2_PT3_SF_jT4_jjP12ihipStream_tbEUlT_E_NS1_11comp_targetILNS1_3genE5ELNS1_11target_archE942ELNS1_3gpuE9ELNS1_3repE0EEENS1_52radix_sort_onesweep_histogram_config_static_selectorELNS0_4arch9wavefront6targetE0EEEvSD_
; %bb.0:
	.section	.rodata,"a",@progbits
	.p2align	6, 0x0
	.amdhsa_kernel _ZN7rocprim17ROCPRIM_400000_NS6detail17trampoline_kernelINS0_14default_configENS1_35radix_sort_onesweep_config_selectorIdNS0_10empty_typeEEEZNS1_34radix_sort_onesweep_global_offsetsIS3_Lb1EPKdPS5_mNS0_19identity_decomposerEEE10hipError_tT1_T2_PT3_SF_jT4_jjP12ihipStream_tbEUlT_E_NS1_11comp_targetILNS1_3genE5ELNS1_11target_archE942ELNS1_3gpuE9ELNS1_3repE0EEENS1_52radix_sort_onesweep_histogram_config_static_selectorELNS0_4arch9wavefront6targetE0EEEvSD_
		.amdhsa_group_segment_fixed_size 0
		.amdhsa_private_segment_fixed_size 0
		.amdhsa_kernarg_size 48
		.amdhsa_user_sgpr_count 2
		.amdhsa_user_sgpr_dispatch_ptr 0
		.amdhsa_user_sgpr_queue_ptr 0
		.amdhsa_user_sgpr_kernarg_segment_ptr 1
		.amdhsa_user_sgpr_dispatch_id 0
		.amdhsa_user_sgpr_kernarg_preload_length 0
		.amdhsa_user_sgpr_kernarg_preload_offset 0
		.amdhsa_user_sgpr_private_segment_size 0
		.amdhsa_wavefront_size32 1
		.amdhsa_uses_dynamic_stack 0
		.amdhsa_enable_private_segment 0
		.amdhsa_system_sgpr_workgroup_id_x 1
		.amdhsa_system_sgpr_workgroup_id_y 0
		.amdhsa_system_sgpr_workgroup_id_z 0
		.amdhsa_system_sgpr_workgroup_info 0
		.amdhsa_system_vgpr_workitem_id 0
		.amdhsa_next_free_vgpr 1
		.amdhsa_next_free_sgpr 1
		.amdhsa_named_barrier_count 0
		.amdhsa_reserve_vcc 0
		.amdhsa_float_round_mode_32 0
		.amdhsa_float_round_mode_16_64 0
		.amdhsa_float_denorm_mode_32 3
		.amdhsa_float_denorm_mode_16_64 3
		.amdhsa_fp16_overflow 0
		.amdhsa_memory_ordered 1
		.amdhsa_forward_progress 1
		.amdhsa_inst_pref_size 0
		.amdhsa_round_robin_scheduling 0
		.amdhsa_exception_fp_ieee_invalid_op 0
		.amdhsa_exception_fp_denorm_src 0
		.amdhsa_exception_fp_ieee_div_zero 0
		.amdhsa_exception_fp_ieee_overflow 0
		.amdhsa_exception_fp_ieee_underflow 0
		.amdhsa_exception_fp_ieee_inexact 0
		.amdhsa_exception_int_div_zero 0
	.end_amdhsa_kernel
	.section	.text._ZN7rocprim17ROCPRIM_400000_NS6detail17trampoline_kernelINS0_14default_configENS1_35radix_sort_onesweep_config_selectorIdNS0_10empty_typeEEEZNS1_34radix_sort_onesweep_global_offsetsIS3_Lb1EPKdPS5_mNS0_19identity_decomposerEEE10hipError_tT1_T2_PT3_SF_jT4_jjP12ihipStream_tbEUlT_E_NS1_11comp_targetILNS1_3genE5ELNS1_11target_archE942ELNS1_3gpuE9ELNS1_3repE0EEENS1_52radix_sort_onesweep_histogram_config_static_selectorELNS0_4arch9wavefront6targetE0EEEvSD_,"axG",@progbits,_ZN7rocprim17ROCPRIM_400000_NS6detail17trampoline_kernelINS0_14default_configENS1_35radix_sort_onesweep_config_selectorIdNS0_10empty_typeEEEZNS1_34radix_sort_onesweep_global_offsetsIS3_Lb1EPKdPS5_mNS0_19identity_decomposerEEE10hipError_tT1_T2_PT3_SF_jT4_jjP12ihipStream_tbEUlT_E_NS1_11comp_targetILNS1_3genE5ELNS1_11target_archE942ELNS1_3gpuE9ELNS1_3repE0EEENS1_52radix_sort_onesweep_histogram_config_static_selectorELNS0_4arch9wavefront6targetE0EEEvSD_,comdat
.Lfunc_end1494:
	.size	_ZN7rocprim17ROCPRIM_400000_NS6detail17trampoline_kernelINS0_14default_configENS1_35radix_sort_onesweep_config_selectorIdNS0_10empty_typeEEEZNS1_34radix_sort_onesweep_global_offsetsIS3_Lb1EPKdPS5_mNS0_19identity_decomposerEEE10hipError_tT1_T2_PT3_SF_jT4_jjP12ihipStream_tbEUlT_E_NS1_11comp_targetILNS1_3genE5ELNS1_11target_archE942ELNS1_3gpuE9ELNS1_3repE0EEENS1_52radix_sort_onesweep_histogram_config_static_selectorELNS0_4arch9wavefront6targetE0EEEvSD_, .Lfunc_end1494-_ZN7rocprim17ROCPRIM_400000_NS6detail17trampoline_kernelINS0_14default_configENS1_35radix_sort_onesweep_config_selectorIdNS0_10empty_typeEEEZNS1_34radix_sort_onesweep_global_offsetsIS3_Lb1EPKdPS5_mNS0_19identity_decomposerEEE10hipError_tT1_T2_PT3_SF_jT4_jjP12ihipStream_tbEUlT_E_NS1_11comp_targetILNS1_3genE5ELNS1_11target_archE942ELNS1_3gpuE9ELNS1_3repE0EEENS1_52radix_sort_onesweep_histogram_config_static_selectorELNS0_4arch9wavefront6targetE0EEEvSD_
                                        ; -- End function
	.set _ZN7rocprim17ROCPRIM_400000_NS6detail17trampoline_kernelINS0_14default_configENS1_35radix_sort_onesweep_config_selectorIdNS0_10empty_typeEEEZNS1_34radix_sort_onesweep_global_offsetsIS3_Lb1EPKdPS5_mNS0_19identity_decomposerEEE10hipError_tT1_T2_PT3_SF_jT4_jjP12ihipStream_tbEUlT_E_NS1_11comp_targetILNS1_3genE5ELNS1_11target_archE942ELNS1_3gpuE9ELNS1_3repE0EEENS1_52radix_sort_onesweep_histogram_config_static_selectorELNS0_4arch9wavefront6targetE0EEEvSD_.num_vgpr, 0
	.set _ZN7rocprim17ROCPRIM_400000_NS6detail17trampoline_kernelINS0_14default_configENS1_35radix_sort_onesweep_config_selectorIdNS0_10empty_typeEEEZNS1_34radix_sort_onesweep_global_offsetsIS3_Lb1EPKdPS5_mNS0_19identity_decomposerEEE10hipError_tT1_T2_PT3_SF_jT4_jjP12ihipStream_tbEUlT_E_NS1_11comp_targetILNS1_3genE5ELNS1_11target_archE942ELNS1_3gpuE9ELNS1_3repE0EEENS1_52radix_sort_onesweep_histogram_config_static_selectorELNS0_4arch9wavefront6targetE0EEEvSD_.num_agpr, 0
	.set _ZN7rocprim17ROCPRIM_400000_NS6detail17trampoline_kernelINS0_14default_configENS1_35radix_sort_onesweep_config_selectorIdNS0_10empty_typeEEEZNS1_34radix_sort_onesweep_global_offsetsIS3_Lb1EPKdPS5_mNS0_19identity_decomposerEEE10hipError_tT1_T2_PT3_SF_jT4_jjP12ihipStream_tbEUlT_E_NS1_11comp_targetILNS1_3genE5ELNS1_11target_archE942ELNS1_3gpuE9ELNS1_3repE0EEENS1_52radix_sort_onesweep_histogram_config_static_selectorELNS0_4arch9wavefront6targetE0EEEvSD_.numbered_sgpr, 0
	.set _ZN7rocprim17ROCPRIM_400000_NS6detail17trampoline_kernelINS0_14default_configENS1_35radix_sort_onesweep_config_selectorIdNS0_10empty_typeEEEZNS1_34radix_sort_onesweep_global_offsetsIS3_Lb1EPKdPS5_mNS0_19identity_decomposerEEE10hipError_tT1_T2_PT3_SF_jT4_jjP12ihipStream_tbEUlT_E_NS1_11comp_targetILNS1_3genE5ELNS1_11target_archE942ELNS1_3gpuE9ELNS1_3repE0EEENS1_52radix_sort_onesweep_histogram_config_static_selectorELNS0_4arch9wavefront6targetE0EEEvSD_.num_named_barrier, 0
	.set _ZN7rocprim17ROCPRIM_400000_NS6detail17trampoline_kernelINS0_14default_configENS1_35radix_sort_onesweep_config_selectorIdNS0_10empty_typeEEEZNS1_34radix_sort_onesweep_global_offsetsIS3_Lb1EPKdPS5_mNS0_19identity_decomposerEEE10hipError_tT1_T2_PT3_SF_jT4_jjP12ihipStream_tbEUlT_E_NS1_11comp_targetILNS1_3genE5ELNS1_11target_archE942ELNS1_3gpuE9ELNS1_3repE0EEENS1_52radix_sort_onesweep_histogram_config_static_selectorELNS0_4arch9wavefront6targetE0EEEvSD_.private_seg_size, 0
	.set _ZN7rocprim17ROCPRIM_400000_NS6detail17trampoline_kernelINS0_14default_configENS1_35radix_sort_onesweep_config_selectorIdNS0_10empty_typeEEEZNS1_34radix_sort_onesweep_global_offsetsIS3_Lb1EPKdPS5_mNS0_19identity_decomposerEEE10hipError_tT1_T2_PT3_SF_jT4_jjP12ihipStream_tbEUlT_E_NS1_11comp_targetILNS1_3genE5ELNS1_11target_archE942ELNS1_3gpuE9ELNS1_3repE0EEENS1_52radix_sort_onesweep_histogram_config_static_selectorELNS0_4arch9wavefront6targetE0EEEvSD_.uses_vcc, 0
	.set _ZN7rocprim17ROCPRIM_400000_NS6detail17trampoline_kernelINS0_14default_configENS1_35radix_sort_onesweep_config_selectorIdNS0_10empty_typeEEEZNS1_34radix_sort_onesweep_global_offsetsIS3_Lb1EPKdPS5_mNS0_19identity_decomposerEEE10hipError_tT1_T2_PT3_SF_jT4_jjP12ihipStream_tbEUlT_E_NS1_11comp_targetILNS1_3genE5ELNS1_11target_archE942ELNS1_3gpuE9ELNS1_3repE0EEENS1_52radix_sort_onesweep_histogram_config_static_selectorELNS0_4arch9wavefront6targetE0EEEvSD_.uses_flat_scratch, 0
	.set _ZN7rocprim17ROCPRIM_400000_NS6detail17trampoline_kernelINS0_14default_configENS1_35radix_sort_onesweep_config_selectorIdNS0_10empty_typeEEEZNS1_34radix_sort_onesweep_global_offsetsIS3_Lb1EPKdPS5_mNS0_19identity_decomposerEEE10hipError_tT1_T2_PT3_SF_jT4_jjP12ihipStream_tbEUlT_E_NS1_11comp_targetILNS1_3genE5ELNS1_11target_archE942ELNS1_3gpuE9ELNS1_3repE0EEENS1_52radix_sort_onesweep_histogram_config_static_selectorELNS0_4arch9wavefront6targetE0EEEvSD_.has_dyn_sized_stack, 0
	.set _ZN7rocprim17ROCPRIM_400000_NS6detail17trampoline_kernelINS0_14default_configENS1_35radix_sort_onesweep_config_selectorIdNS0_10empty_typeEEEZNS1_34radix_sort_onesweep_global_offsetsIS3_Lb1EPKdPS5_mNS0_19identity_decomposerEEE10hipError_tT1_T2_PT3_SF_jT4_jjP12ihipStream_tbEUlT_E_NS1_11comp_targetILNS1_3genE5ELNS1_11target_archE942ELNS1_3gpuE9ELNS1_3repE0EEENS1_52radix_sort_onesweep_histogram_config_static_selectorELNS0_4arch9wavefront6targetE0EEEvSD_.has_recursion, 0
	.set _ZN7rocprim17ROCPRIM_400000_NS6detail17trampoline_kernelINS0_14default_configENS1_35radix_sort_onesweep_config_selectorIdNS0_10empty_typeEEEZNS1_34radix_sort_onesweep_global_offsetsIS3_Lb1EPKdPS5_mNS0_19identity_decomposerEEE10hipError_tT1_T2_PT3_SF_jT4_jjP12ihipStream_tbEUlT_E_NS1_11comp_targetILNS1_3genE5ELNS1_11target_archE942ELNS1_3gpuE9ELNS1_3repE0EEENS1_52radix_sort_onesweep_histogram_config_static_selectorELNS0_4arch9wavefront6targetE0EEEvSD_.has_indirect_call, 0
	.section	.AMDGPU.csdata,"",@progbits
; Kernel info:
; codeLenInByte = 0
; TotalNumSgprs: 0
; NumVgprs: 0
; ScratchSize: 0
; MemoryBound: 0
; FloatMode: 240
; IeeeMode: 1
; LDSByteSize: 0 bytes/workgroup (compile time only)
; SGPRBlocks: 0
; VGPRBlocks: 0
; NumSGPRsForWavesPerEU: 1
; NumVGPRsForWavesPerEU: 1
; NamedBarCnt: 0
; Occupancy: 16
; WaveLimiterHint : 0
; COMPUTE_PGM_RSRC2:SCRATCH_EN: 0
; COMPUTE_PGM_RSRC2:USER_SGPR: 2
; COMPUTE_PGM_RSRC2:TRAP_HANDLER: 0
; COMPUTE_PGM_RSRC2:TGID_X_EN: 1
; COMPUTE_PGM_RSRC2:TGID_Y_EN: 0
; COMPUTE_PGM_RSRC2:TGID_Z_EN: 0
; COMPUTE_PGM_RSRC2:TIDIG_COMP_CNT: 0
	.section	.text._ZN7rocprim17ROCPRIM_400000_NS6detail17trampoline_kernelINS0_14default_configENS1_35radix_sort_onesweep_config_selectorIdNS0_10empty_typeEEEZNS1_34radix_sort_onesweep_global_offsetsIS3_Lb1EPKdPS5_mNS0_19identity_decomposerEEE10hipError_tT1_T2_PT3_SF_jT4_jjP12ihipStream_tbEUlT_E_NS1_11comp_targetILNS1_3genE2ELNS1_11target_archE906ELNS1_3gpuE6ELNS1_3repE0EEENS1_52radix_sort_onesweep_histogram_config_static_selectorELNS0_4arch9wavefront6targetE0EEEvSD_,"axG",@progbits,_ZN7rocprim17ROCPRIM_400000_NS6detail17trampoline_kernelINS0_14default_configENS1_35radix_sort_onesweep_config_selectorIdNS0_10empty_typeEEEZNS1_34radix_sort_onesweep_global_offsetsIS3_Lb1EPKdPS5_mNS0_19identity_decomposerEEE10hipError_tT1_T2_PT3_SF_jT4_jjP12ihipStream_tbEUlT_E_NS1_11comp_targetILNS1_3genE2ELNS1_11target_archE906ELNS1_3gpuE6ELNS1_3repE0EEENS1_52radix_sort_onesweep_histogram_config_static_selectorELNS0_4arch9wavefront6targetE0EEEvSD_,comdat
	.protected	_ZN7rocprim17ROCPRIM_400000_NS6detail17trampoline_kernelINS0_14default_configENS1_35radix_sort_onesweep_config_selectorIdNS0_10empty_typeEEEZNS1_34radix_sort_onesweep_global_offsetsIS3_Lb1EPKdPS5_mNS0_19identity_decomposerEEE10hipError_tT1_T2_PT3_SF_jT4_jjP12ihipStream_tbEUlT_E_NS1_11comp_targetILNS1_3genE2ELNS1_11target_archE906ELNS1_3gpuE6ELNS1_3repE0EEENS1_52radix_sort_onesweep_histogram_config_static_selectorELNS0_4arch9wavefront6targetE0EEEvSD_ ; -- Begin function _ZN7rocprim17ROCPRIM_400000_NS6detail17trampoline_kernelINS0_14default_configENS1_35radix_sort_onesweep_config_selectorIdNS0_10empty_typeEEEZNS1_34radix_sort_onesweep_global_offsetsIS3_Lb1EPKdPS5_mNS0_19identity_decomposerEEE10hipError_tT1_T2_PT3_SF_jT4_jjP12ihipStream_tbEUlT_E_NS1_11comp_targetILNS1_3genE2ELNS1_11target_archE906ELNS1_3gpuE6ELNS1_3repE0EEENS1_52radix_sort_onesweep_histogram_config_static_selectorELNS0_4arch9wavefront6targetE0EEEvSD_
	.globl	_ZN7rocprim17ROCPRIM_400000_NS6detail17trampoline_kernelINS0_14default_configENS1_35radix_sort_onesweep_config_selectorIdNS0_10empty_typeEEEZNS1_34radix_sort_onesweep_global_offsetsIS3_Lb1EPKdPS5_mNS0_19identity_decomposerEEE10hipError_tT1_T2_PT3_SF_jT4_jjP12ihipStream_tbEUlT_E_NS1_11comp_targetILNS1_3genE2ELNS1_11target_archE906ELNS1_3gpuE6ELNS1_3repE0EEENS1_52radix_sort_onesweep_histogram_config_static_selectorELNS0_4arch9wavefront6targetE0EEEvSD_
	.p2align	8
	.type	_ZN7rocprim17ROCPRIM_400000_NS6detail17trampoline_kernelINS0_14default_configENS1_35radix_sort_onesweep_config_selectorIdNS0_10empty_typeEEEZNS1_34radix_sort_onesweep_global_offsetsIS3_Lb1EPKdPS5_mNS0_19identity_decomposerEEE10hipError_tT1_T2_PT3_SF_jT4_jjP12ihipStream_tbEUlT_E_NS1_11comp_targetILNS1_3genE2ELNS1_11target_archE906ELNS1_3gpuE6ELNS1_3repE0EEENS1_52radix_sort_onesweep_histogram_config_static_selectorELNS0_4arch9wavefront6targetE0EEEvSD_,@function
_ZN7rocprim17ROCPRIM_400000_NS6detail17trampoline_kernelINS0_14default_configENS1_35radix_sort_onesweep_config_selectorIdNS0_10empty_typeEEEZNS1_34radix_sort_onesweep_global_offsetsIS3_Lb1EPKdPS5_mNS0_19identity_decomposerEEE10hipError_tT1_T2_PT3_SF_jT4_jjP12ihipStream_tbEUlT_E_NS1_11comp_targetILNS1_3genE2ELNS1_11target_archE906ELNS1_3gpuE6ELNS1_3repE0EEENS1_52radix_sort_onesweep_histogram_config_static_selectorELNS0_4arch9wavefront6targetE0EEEvSD_: ; @_ZN7rocprim17ROCPRIM_400000_NS6detail17trampoline_kernelINS0_14default_configENS1_35radix_sort_onesweep_config_selectorIdNS0_10empty_typeEEEZNS1_34radix_sort_onesweep_global_offsetsIS3_Lb1EPKdPS5_mNS0_19identity_decomposerEEE10hipError_tT1_T2_PT3_SF_jT4_jjP12ihipStream_tbEUlT_E_NS1_11comp_targetILNS1_3genE2ELNS1_11target_archE906ELNS1_3gpuE6ELNS1_3repE0EEENS1_52radix_sort_onesweep_histogram_config_static_selectorELNS0_4arch9wavefront6targetE0EEEvSD_
; %bb.0:
	.section	.rodata,"a",@progbits
	.p2align	6, 0x0
	.amdhsa_kernel _ZN7rocprim17ROCPRIM_400000_NS6detail17trampoline_kernelINS0_14default_configENS1_35radix_sort_onesweep_config_selectorIdNS0_10empty_typeEEEZNS1_34radix_sort_onesweep_global_offsetsIS3_Lb1EPKdPS5_mNS0_19identity_decomposerEEE10hipError_tT1_T2_PT3_SF_jT4_jjP12ihipStream_tbEUlT_E_NS1_11comp_targetILNS1_3genE2ELNS1_11target_archE906ELNS1_3gpuE6ELNS1_3repE0EEENS1_52radix_sort_onesweep_histogram_config_static_selectorELNS0_4arch9wavefront6targetE0EEEvSD_
		.amdhsa_group_segment_fixed_size 0
		.amdhsa_private_segment_fixed_size 0
		.amdhsa_kernarg_size 48
		.amdhsa_user_sgpr_count 2
		.amdhsa_user_sgpr_dispatch_ptr 0
		.amdhsa_user_sgpr_queue_ptr 0
		.amdhsa_user_sgpr_kernarg_segment_ptr 1
		.amdhsa_user_sgpr_dispatch_id 0
		.amdhsa_user_sgpr_kernarg_preload_length 0
		.amdhsa_user_sgpr_kernarg_preload_offset 0
		.amdhsa_user_sgpr_private_segment_size 0
		.amdhsa_wavefront_size32 1
		.amdhsa_uses_dynamic_stack 0
		.amdhsa_enable_private_segment 0
		.amdhsa_system_sgpr_workgroup_id_x 1
		.amdhsa_system_sgpr_workgroup_id_y 0
		.amdhsa_system_sgpr_workgroup_id_z 0
		.amdhsa_system_sgpr_workgroup_info 0
		.amdhsa_system_vgpr_workitem_id 0
		.amdhsa_next_free_vgpr 1
		.amdhsa_next_free_sgpr 1
		.amdhsa_named_barrier_count 0
		.amdhsa_reserve_vcc 0
		.amdhsa_float_round_mode_32 0
		.amdhsa_float_round_mode_16_64 0
		.amdhsa_float_denorm_mode_32 3
		.amdhsa_float_denorm_mode_16_64 3
		.amdhsa_fp16_overflow 0
		.amdhsa_memory_ordered 1
		.amdhsa_forward_progress 1
		.amdhsa_inst_pref_size 0
		.amdhsa_round_robin_scheduling 0
		.amdhsa_exception_fp_ieee_invalid_op 0
		.amdhsa_exception_fp_denorm_src 0
		.amdhsa_exception_fp_ieee_div_zero 0
		.amdhsa_exception_fp_ieee_overflow 0
		.amdhsa_exception_fp_ieee_underflow 0
		.amdhsa_exception_fp_ieee_inexact 0
		.amdhsa_exception_int_div_zero 0
	.end_amdhsa_kernel
	.section	.text._ZN7rocprim17ROCPRIM_400000_NS6detail17trampoline_kernelINS0_14default_configENS1_35radix_sort_onesweep_config_selectorIdNS0_10empty_typeEEEZNS1_34radix_sort_onesweep_global_offsetsIS3_Lb1EPKdPS5_mNS0_19identity_decomposerEEE10hipError_tT1_T2_PT3_SF_jT4_jjP12ihipStream_tbEUlT_E_NS1_11comp_targetILNS1_3genE2ELNS1_11target_archE906ELNS1_3gpuE6ELNS1_3repE0EEENS1_52radix_sort_onesweep_histogram_config_static_selectorELNS0_4arch9wavefront6targetE0EEEvSD_,"axG",@progbits,_ZN7rocprim17ROCPRIM_400000_NS6detail17trampoline_kernelINS0_14default_configENS1_35radix_sort_onesweep_config_selectorIdNS0_10empty_typeEEEZNS1_34radix_sort_onesweep_global_offsetsIS3_Lb1EPKdPS5_mNS0_19identity_decomposerEEE10hipError_tT1_T2_PT3_SF_jT4_jjP12ihipStream_tbEUlT_E_NS1_11comp_targetILNS1_3genE2ELNS1_11target_archE906ELNS1_3gpuE6ELNS1_3repE0EEENS1_52radix_sort_onesweep_histogram_config_static_selectorELNS0_4arch9wavefront6targetE0EEEvSD_,comdat
.Lfunc_end1495:
	.size	_ZN7rocprim17ROCPRIM_400000_NS6detail17trampoline_kernelINS0_14default_configENS1_35radix_sort_onesweep_config_selectorIdNS0_10empty_typeEEEZNS1_34radix_sort_onesweep_global_offsetsIS3_Lb1EPKdPS5_mNS0_19identity_decomposerEEE10hipError_tT1_T2_PT3_SF_jT4_jjP12ihipStream_tbEUlT_E_NS1_11comp_targetILNS1_3genE2ELNS1_11target_archE906ELNS1_3gpuE6ELNS1_3repE0EEENS1_52radix_sort_onesweep_histogram_config_static_selectorELNS0_4arch9wavefront6targetE0EEEvSD_, .Lfunc_end1495-_ZN7rocprim17ROCPRIM_400000_NS6detail17trampoline_kernelINS0_14default_configENS1_35radix_sort_onesweep_config_selectorIdNS0_10empty_typeEEEZNS1_34radix_sort_onesweep_global_offsetsIS3_Lb1EPKdPS5_mNS0_19identity_decomposerEEE10hipError_tT1_T2_PT3_SF_jT4_jjP12ihipStream_tbEUlT_E_NS1_11comp_targetILNS1_3genE2ELNS1_11target_archE906ELNS1_3gpuE6ELNS1_3repE0EEENS1_52radix_sort_onesweep_histogram_config_static_selectorELNS0_4arch9wavefront6targetE0EEEvSD_
                                        ; -- End function
	.set _ZN7rocprim17ROCPRIM_400000_NS6detail17trampoline_kernelINS0_14default_configENS1_35radix_sort_onesweep_config_selectorIdNS0_10empty_typeEEEZNS1_34radix_sort_onesweep_global_offsetsIS3_Lb1EPKdPS5_mNS0_19identity_decomposerEEE10hipError_tT1_T2_PT3_SF_jT4_jjP12ihipStream_tbEUlT_E_NS1_11comp_targetILNS1_3genE2ELNS1_11target_archE906ELNS1_3gpuE6ELNS1_3repE0EEENS1_52radix_sort_onesweep_histogram_config_static_selectorELNS0_4arch9wavefront6targetE0EEEvSD_.num_vgpr, 0
	.set _ZN7rocprim17ROCPRIM_400000_NS6detail17trampoline_kernelINS0_14default_configENS1_35radix_sort_onesweep_config_selectorIdNS0_10empty_typeEEEZNS1_34radix_sort_onesweep_global_offsetsIS3_Lb1EPKdPS5_mNS0_19identity_decomposerEEE10hipError_tT1_T2_PT3_SF_jT4_jjP12ihipStream_tbEUlT_E_NS1_11comp_targetILNS1_3genE2ELNS1_11target_archE906ELNS1_3gpuE6ELNS1_3repE0EEENS1_52radix_sort_onesweep_histogram_config_static_selectorELNS0_4arch9wavefront6targetE0EEEvSD_.num_agpr, 0
	.set _ZN7rocprim17ROCPRIM_400000_NS6detail17trampoline_kernelINS0_14default_configENS1_35radix_sort_onesweep_config_selectorIdNS0_10empty_typeEEEZNS1_34radix_sort_onesweep_global_offsetsIS3_Lb1EPKdPS5_mNS0_19identity_decomposerEEE10hipError_tT1_T2_PT3_SF_jT4_jjP12ihipStream_tbEUlT_E_NS1_11comp_targetILNS1_3genE2ELNS1_11target_archE906ELNS1_3gpuE6ELNS1_3repE0EEENS1_52radix_sort_onesweep_histogram_config_static_selectorELNS0_4arch9wavefront6targetE0EEEvSD_.numbered_sgpr, 0
	.set _ZN7rocprim17ROCPRIM_400000_NS6detail17trampoline_kernelINS0_14default_configENS1_35radix_sort_onesweep_config_selectorIdNS0_10empty_typeEEEZNS1_34radix_sort_onesweep_global_offsetsIS3_Lb1EPKdPS5_mNS0_19identity_decomposerEEE10hipError_tT1_T2_PT3_SF_jT4_jjP12ihipStream_tbEUlT_E_NS1_11comp_targetILNS1_3genE2ELNS1_11target_archE906ELNS1_3gpuE6ELNS1_3repE0EEENS1_52radix_sort_onesweep_histogram_config_static_selectorELNS0_4arch9wavefront6targetE0EEEvSD_.num_named_barrier, 0
	.set _ZN7rocprim17ROCPRIM_400000_NS6detail17trampoline_kernelINS0_14default_configENS1_35radix_sort_onesweep_config_selectorIdNS0_10empty_typeEEEZNS1_34radix_sort_onesweep_global_offsetsIS3_Lb1EPKdPS5_mNS0_19identity_decomposerEEE10hipError_tT1_T2_PT3_SF_jT4_jjP12ihipStream_tbEUlT_E_NS1_11comp_targetILNS1_3genE2ELNS1_11target_archE906ELNS1_3gpuE6ELNS1_3repE0EEENS1_52radix_sort_onesweep_histogram_config_static_selectorELNS0_4arch9wavefront6targetE0EEEvSD_.private_seg_size, 0
	.set _ZN7rocprim17ROCPRIM_400000_NS6detail17trampoline_kernelINS0_14default_configENS1_35radix_sort_onesweep_config_selectorIdNS0_10empty_typeEEEZNS1_34radix_sort_onesweep_global_offsetsIS3_Lb1EPKdPS5_mNS0_19identity_decomposerEEE10hipError_tT1_T2_PT3_SF_jT4_jjP12ihipStream_tbEUlT_E_NS1_11comp_targetILNS1_3genE2ELNS1_11target_archE906ELNS1_3gpuE6ELNS1_3repE0EEENS1_52radix_sort_onesweep_histogram_config_static_selectorELNS0_4arch9wavefront6targetE0EEEvSD_.uses_vcc, 0
	.set _ZN7rocprim17ROCPRIM_400000_NS6detail17trampoline_kernelINS0_14default_configENS1_35radix_sort_onesweep_config_selectorIdNS0_10empty_typeEEEZNS1_34radix_sort_onesweep_global_offsetsIS3_Lb1EPKdPS5_mNS0_19identity_decomposerEEE10hipError_tT1_T2_PT3_SF_jT4_jjP12ihipStream_tbEUlT_E_NS1_11comp_targetILNS1_3genE2ELNS1_11target_archE906ELNS1_3gpuE6ELNS1_3repE0EEENS1_52radix_sort_onesweep_histogram_config_static_selectorELNS0_4arch9wavefront6targetE0EEEvSD_.uses_flat_scratch, 0
	.set _ZN7rocprim17ROCPRIM_400000_NS6detail17trampoline_kernelINS0_14default_configENS1_35radix_sort_onesweep_config_selectorIdNS0_10empty_typeEEEZNS1_34radix_sort_onesweep_global_offsetsIS3_Lb1EPKdPS5_mNS0_19identity_decomposerEEE10hipError_tT1_T2_PT3_SF_jT4_jjP12ihipStream_tbEUlT_E_NS1_11comp_targetILNS1_3genE2ELNS1_11target_archE906ELNS1_3gpuE6ELNS1_3repE0EEENS1_52radix_sort_onesweep_histogram_config_static_selectorELNS0_4arch9wavefront6targetE0EEEvSD_.has_dyn_sized_stack, 0
	.set _ZN7rocprim17ROCPRIM_400000_NS6detail17trampoline_kernelINS0_14default_configENS1_35radix_sort_onesweep_config_selectorIdNS0_10empty_typeEEEZNS1_34radix_sort_onesweep_global_offsetsIS3_Lb1EPKdPS5_mNS0_19identity_decomposerEEE10hipError_tT1_T2_PT3_SF_jT4_jjP12ihipStream_tbEUlT_E_NS1_11comp_targetILNS1_3genE2ELNS1_11target_archE906ELNS1_3gpuE6ELNS1_3repE0EEENS1_52radix_sort_onesweep_histogram_config_static_selectorELNS0_4arch9wavefront6targetE0EEEvSD_.has_recursion, 0
	.set _ZN7rocprim17ROCPRIM_400000_NS6detail17trampoline_kernelINS0_14default_configENS1_35radix_sort_onesweep_config_selectorIdNS0_10empty_typeEEEZNS1_34radix_sort_onesweep_global_offsetsIS3_Lb1EPKdPS5_mNS0_19identity_decomposerEEE10hipError_tT1_T2_PT3_SF_jT4_jjP12ihipStream_tbEUlT_E_NS1_11comp_targetILNS1_3genE2ELNS1_11target_archE906ELNS1_3gpuE6ELNS1_3repE0EEENS1_52radix_sort_onesweep_histogram_config_static_selectorELNS0_4arch9wavefront6targetE0EEEvSD_.has_indirect_call, 0
	.section	.AMDGPU.csdata,"",@progbits
; Kernel info:
; codeLenInByte = 0
; TotalNumSgprs: 0
; NumVgprs: 0
; ScratchSize: 0
; MemoryBound: 0
; FloatMode: 240
; IeeeMode: 1
; LDSByteSize: 0 bytes/workgroup (compile time only)
; SGPRBlocks: 0
; VGPRBlocks: 0
; NumSGPRsForWavesPerEU: 1
; NumVGPRsForWavesPerEU: 1
; NamedBarCnt: 0
; Occupancy: 16
; WaveLimiterHint : 0
; COMPUTE_PGM_RSRC2:SCRATCH_EN: 0
; COMPUTE_PGM_RSRC2:USER_SGPR: 2
; COMPUTE_PGM_RSRC2:TRAP_HANDLER: 0
; COMPUTE_PGM_RSRC2:TGID_X_EN: 1
; COMPUTE_PGM_RSRC2:TGID_Y_EN: 0
; COMPUTE_PGM_RSRC2:TGID_Z_EN: 0
; COMPUTE_PGM_RSRC2:TIDIG_COMP_CNT: 0
	.section	.text._ZN7rocprim17ROCPRIM_400000_NS6detail17trampoline_kernelINS0_14default_configENS1_35radix_sort_onesweep_config_selectorIdNS0_10empty_typeEEEZNS1_34radix_sort_onesweep_global_offsetsIS3_Lb1EPKdPS5_mNS0_19identity_decomposerEEE10hipError_tT1_T2_PT3_SF_jT4_jjP12ihipStream_tbEUlT_E_NS1_11comp_targetILNS1_3genE4ELNS1_11target_archE910ELNS1_3gpuE8ELNS1_3repE0EEENS1_52radix_sort_onesweep_histogram_config_static_selectorELNS0_4arch9wavefront6targetE0EEEvSD_,"axG",@progbits,_ZN7rocprim17ROCPRIM_400000_NS6detail17trampoline_kernelINS0_14default_configENS1_35radix_sort_onesweep_config_selectorIdNS0_10empty_typeEEEZNS1_34radix_sort_onesweep_global_offsetsIS3_Lb1EPKdPS5_mNS0_19identity_decomposerEEE10hipError_tT1_T2_PT3_SF_jT4_jjP12ihipStream_tbEUlT_E_NS1_11comp_targetILNS1_3genE4ELNS1_11target_archE910ELNS1_3gpuE8ELNS1_3repE0EEENS1_52radix_sort_onesweep_histogram_config_static_selectorELNS0_4arch9wavefront6targetE0EEEvSD_,comdat
	.protected	_ZN7rocprim17ROCPRIM_400000_NS6detail17trampoline_kernelINS0_14default_configENS1_35radix_sort_onesweep_config_selectorIdNS0_10empty_typeEEEZNS1_34radix_sort_onesweep_global_offsetsIS3_Lb1EPKdPS5_mNS0_19identity_decomposerEEE10hipError_tT1_T2_PT3_SF_jT4_jjP12ihipStream_tbEUlT_E_NS1_11comp_targetILNS1_3genE4ELNS1_11target_archE910ELNS1_3gpuE8ELNS1_3repE0EEENS1_52radix_sort_onesweep_histogram_config_static_selectorELNS0_4arch9wavefront6targetE0EEEvSD_ ; -- Begin function _ZN7rocprim17ROCPRIM_400000_NS6detail17trampoline_kernelINS0_14default_configENS1_35radix_sort_onesweep_config_selectorIdNS0_10empty_typeEEEZNS1_34radix_sort_onesweep_global_offsetsIS3_Lb1EPKdPS5_mNS0_19identity_decomposerEEE10hipError_tT1_T2_PT3_SF_jT4_jjP12ihipStream_tbEUlT_E_NS1_11comp_targetILNS1_3genE4ELNS1_11target_archE910ELNS1_3gpuE8ELNS1_3repE0EEENS1_52radix_sort_onesweep_histogram_config_static_selectorELNS0_4arch9wavefront6targetE0EEEvSD_
	.globl	_ZN7rocprim17ROCPRIM_400000_NS6detail17trampoline_kernelINS0_14default_configENS1_35radix_sort_onesweep_config_selectorIdNS0_10empty_typeEEEZNS1_34radix_sort_onesweep_global_offsetsIS3_Lb1EPKdPS5_mNS0_19identity_decomposerEEE10hipError_tT1_T2_PT3_SF_jT4_jjP12ihipStream_tbEUlT_E_NS1_11comp_targetILNS1_3genE4ELNS1_11target_archE910ELNS1_3gpuE8ELNS1_3repE0EEENS1_52radix_sort_onesweep_histogram_config_static_selectorELNS0_4arch9wavefront6targetE0EEEvSD_
	.p2align	8
	.type	_ZN7rocprim17ROCPRIM_400000_NS6detail17trampoline_kernelINS0_14default_configENS1_35radix_sort_onesweep_config_selectorIdNS0_10empty_typeEEEZNS1_34radix_sort_onesweep_global_offsetsIS3_Lb1EPKdPS5_mNS0_19identity_decomposerEEE10hipError_tT1_T2_PT3_SF_jT4_jjP12ihipStream_tbEUlT_E_NS1_11comp_targetILNS1_3genE4ELNS1_11target_archE910ELNS1_3gpuE8ELNS1_3repE0EEENS1_52radix_sort_onesweep_histogram_config_static_selectorELNS0_4arch9wavefront6targetE0EEEvSD_,@function
_ZN7rocprim17ROCPRIM_400000_NS6detail17trampoline_kernelINS0_14default_configENS1_35radix_sort_onesweep_config_selectorIdNS0_10empty_typeEEEZNS1_34radix_sort_onesweep_global_offsetsIS3_Lb1EPKdPS5_mNS0_19identity_decomposerEEE10hipError_tT1_T2_PT3_SF_jT4_jjP12ihipStream_tbEUlT_E_NS1_11comp_targetILNS1_3genE4ELNS1_11target_archE910ELNS1_3gpuE8ELNS1_3repE0EEENS1_52radix_sort_onesweep_histogram_config_static_selectorELNS0_4arch9wavefront6targetE0EEEvSD_: ; @_ZN7rocprim17ROCPRIM_400000_NS6detail17trampoline_kernelINS0_14default_configENS1_35radix_sort_onesweep_config_selectorIdNS0_10empty_typeEEEZNS1_34radix_sort_onesweep_global_offsetsIS3_Lb1EPKdPS5_mNS0_19identity_decomposerEEE10hipError_tT1_T2_PT3_SF_jT4_jjP12ihipStream_tbEUlT_E_NS1_11comp_targetILNS1_3genE4ELNS1_11target_archE910ELNS1_3gpuE8ELNS1_3repE0EEENS1_52radix_sort_onesweep_histogram_config_static_selectorELNS0_4arch9wavefront6targetE0EEEvSD_
; %bb.0:
	.section	.rodata,"a",@progbits
	.p2align	6, 0x0
	.amdhsa_kernel _ZN7rocprim17ROCPRIM_400000_NS6detail17trampoline_kernelINS0_14default_configENS1_35radix_sort_onesweep_config_selectorIdNS0_10empty_typeEEEZNS1_34radix_sort_onesweep_global_offsetsIS3_Lb1EPKdPS5_mNS0_19identity_decomposerEEE10hipError_tT1_T2_PT3_SF_jT4_jjP12ihipStream_tbEUlT_E_NS1_11comp_targetILNS1_3genE4ELNS1_11target_archE910ELNS1_3gpuE8ELNS1_3repE0EEENS1_52radix_sort_onesweep_histogram_config_static_selectorELNS0_4arch9wavefront6targetE0EEEvSD_
		.amdhsa_group_segment_fixed_size 0
		.amdhsa_private_segment_fixed_size 0
		.amdhsa_kernarg_size 48
		.amdhsa_user_sgpr_count 2
		.amdhsa_user_sgpr_dispatch_ptr 0
		.amdhsa_user_sgpr_queue_ptr 0
		.amdhsa_user_sgpr_kernarg_segment_ptr 1
		.amdhsa_user_sgpr_dispatch_id 0
		.amdhsa_user_sgpr_kernarg_preload_length 0
		.amdhsa_user_sgpr_kernarg_preload_offset 0
		.amdhsa_user_sgpr_private_segment_size 0
		.amdhsa_wavefront_size32 1
		.amdhsa_uses_dynamic_stack 0
		.amdhsa_enable_private_segment 0
		.amdhsa_system_sgpr_workgroup_id_x 1
		.amdhsa_system_sgpr_workgroup_id_y 0
		.amdhsa_system_sgpr_workgroup_id_z 0
		.amdhsa_system_sgpr_workgroup_info 0
		.amdhsa_system_vgpr_workitem_id 0
		.amdhsa_next_free_vgpr 1
		.amdhsa_next_free_sgpr 1
		.amdhsa_named_barrier_count 0
		.amdhsa_reserve_vcc 0
		.amdhsa_float_round_mode_32 0
		.amdhsa_float_round_mode_16_64 0
		.amdhsa_float_denorm_mode_32 3
		.amdhsa_float_denorm_mode_16_64 3
		.amdhsa_fp16_overflow 0
		.amdhsa_memory_ordered 1
		.amdhsa_forward_progress 1
		.amdhsa_inst_pref_size 0
		.amdhsa_round_robin_scheduling 0
		.amdhsa_exception_fp_ieee_invalid_op 0
		.amdhsa_exception_fp_denorm_src 0
		.amdhsa_exception_fp_ieee_div_zero 0
		.amdhsa_exception_fp_ieee_overflow 0
		.amdhsa_exception_fp_ieee_underflow 0
		.amdhsa_exception_fp_ieee_inexact 0
		.amdhsa_exception_int_div_zero 0
	.end_amdhsa_kernel
	.section	.text._ZN7rocprim17ROCPRIM_400000_NS6detail17trampoline_kernelINS0_14default_configENS1_35radix_sort_onesweep_config_selectorIdNS0_10empty_typeEEEZNS1_34radix_sort_onesweep_global_offsetsIS3_Lb1EPKdPS5_mNS0_19identity_decomposerEEE10hipError_tT1_T2_PT3_SF_jT4_jjP12ihipStream_tbEUlT_E_NS1_11comp_targetILNS1_3genE4ELNS1_11target_archE910ELNS1_3gpuE8ELNS1_3repE0EEENS1_52radix_sort_onesweep_histogram_config_static_selectorELNS0_4arch9wavefront6targetE0EEEvSD_,"axG",@progbits,_ZN7rocprim17ROCPRIM_400000_NS6detail17trampoline_kernelINS0_14default_configENS1_35radix_sort_onesweep_config_selectorIdNS0_10empty_typeEEEZNS1_34radix_sort_onesweep_global_offsetsIS3_Lb1EPKdPS5_mNS0_19identity_decomposerEEE10hipError_tT1_T2_PT3_SF_jT4_jjP12ihipStream_tbEUlT_E_NS1_11comp_targetILNS1_3genE4ELNS1_11target_archE910ELNS1_3gpuE8ELNS1_3repE0EEENS1_52radix_sort_onesweep_histogram_config_static_selectorELNS0_4arch9wavefront6targetE0EEEvSD_,comdat
.Lfunc_end1496:
	.size	_ZN7rocprim17ROCPRIM_400000_NS6detail17trampoline_kernelINS0_14default_configENS1_35radix_sort_onesweep_config_selectorIdNS0_10empty_typeEEEZNS1_34radix_sort_onesweep_global_offsetsIS3_Lb1EPKdPS5_mNS0_19identity_decomposerEEE10hipError_tT1_T2_PT3_SF_jT4_jjP12ihipStream_tbEUlT_E_NS1_11comp_targetILNS1_3genE4ELNS1_11target_archE910ELNS1_3gpuE8ELNS1_3repE0EEENS1_52radix_sort_onesweep_histogram_config_static_selectorELNS0_4arch9wavefront6targetE0EEEvSD_, .Lfunc_end1496-_ZN7rocprim17ROCPRIM_400000_NS6detail17trampoline_kernelINS0_14default_configENS1_35radix_sort_onesweep_config_selectorIdNS0_10empty_typeEEEZNS1_34radix_sort_onesweep_global_offsetsIS3_Lb1EPKdPS5_mNS0_19identity_decomposerEEE10hipError_tT1_T2_PT3_SF_jT4_jjP12ihipStream_tbEUlT_E_NS1_11comp_targetILNS1_3genE4ELNS1_11target_archE910ELNS1_3gpuE8ELNS1_3repE0EEENS1_52radix_sort_onesweep_histogram_config_static_selectorELNS0_4arch9wavefront6targetE0EEEvSD_
                                        ; -- End function
	.set _ZN7rocprim17ROCPRIM_400000_NS6detail17trampoline_kernelINS0_14default_configENS1_35radix_sort_onesweep_config_selectorIdNS0_10empty_typeEEEZNS1_34radix_sort_onesweep_global_offsetsIS3_Lb1EPKdPS5_mNS0_19identity_decomposerEEE10hipError_tT1_T2_PT3_SF_jT4_jjP12ihipStream_tbEUlT_E_NS1_11comp_targetILNS1_3genE4ELNS1_11target_archE910ELNS1_3gpuE8ELNS1_3repE0EEENS1_52radix_sort_onesweep_histogram_config_static_selectorELNS0_4arch9wavefront6targetE0EEEvSD_.num_vgpr, 0
	.set _ZN7rocprim17ROCPRIM_400000_NS6detail17trampoline_kernelINS0_14default_configENS1_35radix_sort_onesweep_config_selectorIdNS0_10empty_typeEEEZNS1_34radix_sort_onesweep_global_offsetsIS3_Lb1EPKdPS5_mNS0_19identity_decomposerEEE10hipError_tT1_T2_PT3_SF_jT4_jjP12ihipStream_tbEUlT_E_NS1_11comp_targetILNS1_3genE4ELNS1_11target_archE910ELNS1_3gpuE8ELNS1_3repE0EEENS1_52radix_sort_onesweep_histogram_config_static_selectorELNS0_4arch9wavefront6targetE0EEEvSD_.num_agpr, 0
	.set _ZN7rocprim17ROCPRIM_400000_NS6detail17trampoline_kernelINS0_14default_configENS1_35radix_sort_onesweep_config_selectorIdNS0_10empty_typeEEEZNS1_34radix_sort_onesweep_global_offsetsIS3_Lb1EPKdPS5_mNS0_19identity_decomposerEEE10hipError_tT1_T2_PT3_SF_jT4_jjP12ihipStream_tbEUlT_E_NS1_11comp_targetILNS1_3genE4ELNS1_11target_archE910ELNS1_3gpuE8ELNS1_3repE0EEENS1_52radix_sort_onesweep_histogram_config_static_selectorELNS0_4arch9wavefront6targetE0EEEvSD_.numbered_sgpr, 0
	.set _ZN7rocprim17ROCPRIM_400000_NS6detail17trampoline_kernelINS0_14default_configENS1_35radix_sort_onesweep_config_selectorIdNS0_10empty_typeEEEZNS1_34radix_sort_onesweep_global_offsetsIS3_Lb1EPKdPS5_mNS0_19identity_decomposerEEE10hipError_tT1_T2_PT3_SF_jT4_jjP12ihipStream_tbEUlT_E_NS1_11comp_targetILNS1_3genE4ELNS1_11target_archE910ELNS1_3gpuE8ELNS1_3repE0EEENS1_52radix_sort_onesweep_histogram_config_static_selectorELNS0_4arch9wavefront6targetE0EEEvSD_.num_named_barrier, 0
	.set _ZN7rocprim17ROCPRIM_400000_NS6detail17trampoline_kernelINS0_14default_configENS1_35radix_sort_onesweep_config_selectorIdNS0_10empty_typeEEEZNS1_34radix_sort_onesweep_global_offsetsIS3_Lb1EPKdPS5_mNS0_19identity_decomposerEEE10hipError_tT1_T2_PT3_SF_jT4_jjP12ihipStream_tbEUlT_E_NS1_11comp_targetILNS1_3genE4ELNS1_11target_archE910ELNS1_3gpuE8ELNS1_3repE0EEENS1_52radix_sort_onesweep_histogram_config_static_selectorELNS0_4arch9wavefront6targetE0EEEvSD_.private_seg_size, 0
	.set _ZN7rocprim17ROCPRIM_400000_NS6detail17trampoline_kernelINS0_14default_configENS1_35radix_sort_onesweep_config_selectorIdNS0_10empty_typeEEEZNS1_34radix_sort_onesweep_global_offsetsIS3_Lb1EPKdPS5_mNS0_19identity_decomposerEEE10hipError_tT1_T2_PT3_SF_jT4_jjP12ihipStream_tbEUlT_E_NS1_11comp_targetILNS1_3genE4ELNS1_11target_archE910ELNS1_3gpuE8ELNS1_3repE0EEENS1_52radix_sort_onesweep_histogram_config_static_selectorELNS0_4arch9wavefront6targetE0EEEvSD_.uses_vcc, 0
	.set _ZN7rocprim17ROCPRIM_400000_NS6detail17trampoline_kernelINS0_14default_configENS1_35radix_sort_onesweep_config_selectorIdNS0_10empty_typeEEEZNS1_34radix_sort_onesweep_global_offsetsIS3_Lb1EPKdPS5_mNS0_19identity_decomposerEEE10hipError_tT1_T2_PT3_SF_jT4_jjP12ihipStream_tbEUlT_E_NS1_11comp_targetILNS1_3genE4ELNS1_11target_archE910ELNS1_3gpuE8ELNS1_3repE0EEENS1_52radix_sort_onesweep_histogram_config_static_selectorELNS0_4arch9wavefront6targetE0EEEvSD_.uses_flat_scratch, 0
	.set _ZN7rocprim17ROCPRIM_400000_NS6detail17trampoline_kernelINS0_14default_configENS1_35radix_sort_onesweep_config_selectorIdNS0_10empty_typeEEEZNS1_34radix_sort_onesweep_global_offsetsIS3_Lb1EPKdPS5_mNS0_19identity_decomposerEEE10hipError_tT1_T2_PT3_SF_jT4_jjP12ihipStream_tbEUlT_E_NS1_11comp_targetILNS1_3genE4ELNS1_11target_archE910ELNS1_3gpuE8ELNS1_3repE0EEENS1_52radix_sort_onesweep_histogram_config_static_selectorELNS0_4arch9wavefront6targetE0EEEvSD_.has_dyn_sized_stack, 0
	.set _ZN7rocprim17ROCPRIM_400000_NS6detail17trampoline_kernelINS0_14default_configENS1_35radix_sort_onesweep_config_selectorIdNS0_10empty_typeEEEZNS1_34radix_sort_onesweep_global_offsetsIS3_Lb1EPKdPS5_mNS0_19identity_decomposerEEE10hipError_tT1_T2_PT3_SF_jT4_jjP12ihipStream_tbEUlT_E_NS1_11comp_targetILNS1_3genE4ELNS1_11target_archE910ELNS1_3gpuE8ELNS1_3repE0EEENS1_52radix_sort_onesweep_histogram_config_static_selectorELNS0_4arch9wavefront6targetE0EEEvSD_.has_recursion, 0
	.set _ZN7rocprim17ROCPRIM_400000_NS6detail17trampoline_kernelINS0_14default_configENS1_35radix_sort_onesweep_config_selectorIdNS0_10empty_typeEEEZNS1_34radix_sort_onesweep_global_offsetsIS3_Lb1EPKdPS5_mNS0_19identity_decomposerEEE10hipError_tT1_T2_PT3_SF_jT4_jjP12ihipStream_tbEUlT_E_NS1_11comp_targetILNS1_3genE4ELNS1_11target_archE910ELNS1_3gpuE8ELNS1_3repE0EEENS1_52radix_sort_onesweep_histogram_config_static_selectorELNS0_4arch9wavefront6targetE0EEEvSD_.has_indirect_call, 0
	.section	.AMDGPU.csdata,"",@progbits
; Kernel info:
; codeLenInByte = 0
; TotalNumSgprs: 0
; NumVgprs: 0
; ScratchSize: 0
; MemoryBound: 0
; FloatMode: 240
; IeeeMode: 1
; LDSByteSize: 0 bytes/workgroup (compile time only)
; SGPRBlocks: 0
; VGPRBlocks: 0
; NumSGPRsForWavesPerEU: 1
; NumVGPRsForWavesPerEU: 1
; NamedBarCnt: 0
; Occupancy: 16
; WaveLimiterHint : 0
; COMPUTE_PGM_RSRC2:SCRATCH_EN: 0
; COMPUTE_PGM_RSRC2:USER_SGPR: 2
; COMPUTE_PGM_RSRC2:TRAP_HANDLER: 0
; COMPUTE_PGM_RSRC2:TGID_X_EN: 1
; COMPUTE_PGM_RSRC2:TGID_Y_EN: 0
; COMPUTE_PGM_RSRC2:TGID_Z_EN: 0
; COMPUTE_PGM_RSRC2:TIDIG_COMP_CNT: 0
	.section	.text._ZN7rocprim17ROCPRIM_400000_NS6detail17trampoline_kernelINS0_14default_configENS1_35radix_sort_onesweep_config_selectorIdNS0_10empty_typeEEEZNS1_34radix_sort_onesweep_global_offsetsIS3_Lb1EPKdPS5_mNS0_19identity_decomposerEEE10hipError_tT1_T2_PT3_SF_jT4_jjP12ihipStream_tbEUlT_E_NS1_11comp_targetILNS1_3genE3ELNS1_11target_archE908ELNS1_3gpuE7ELNS1_3repE0EEENS1_52radix_sort_onesweep_histogram_config_static_selectorELNS0_4arch9wavefront6targetE0EEEvSD_,"axG",@progbits,_ZN7rocprim17ROCPRIM_400000_NS6detail17trampoline_kernelINS0_14default_configENS1_35radix_sort_onesweep_config_selectorIdNS0_10empty_typeEEEZNS1_34radix_sort_onesweep_global_offsetsIS3_Lb1EPKdPS5_mNS0_19identity_decomposerEEE10hipError_tT1_T2_PT3_SF_jT4_jjP12ihipStream_tbEUlT_E_NS1_11comp_targetILNS1_3genE3ELNS1_11target_archE908ELNS1_3gpuE7ELNS1_3repE0EEENS1_52radix_sort_onesweep_histogram_config_static_selectorELNS0_4arch9wavefront6targetE0EEEvSD_,comdat
	.protected	_ZN7rocprim17ROCPRIM_400000_NS6detail17trampoline_kernelINS0_14default_configENS1_35radix_sort_onesweep_config_selectorIdNS0_10empty_typeEEEZNS1_34radix_sort_onesweep_global_offsetsIS3_Lb1EPKdPS5_mNS0_19identity_decomposerEEE10hipError_tT1_T2_PT3_SF_jT4_jjP12ihipStream_tbEUlT_E_NS1_11comp_targetILNS1_3genE3ELNS1_11target_archE908ELNS1_3gpuE7ELNS1_3repE0EEENS1_52radix_sort_onesweep_histogram_config_static_selectorELNS0_4arch9wavefront6targetE0EEEvSD_ ; -- Begin function _ZN7rocprim17ROCPRIM_400000_NS6detail17trampoline_kernelINS0_14default_configENS1_35radix_sort_onesweep_config_selectorIdNS0_10empty_typeEEEZNS1_34radix_sort_onesweep_global_offsetsIS3_Lb1EPKdPS5_mNS0_19identity_decomposerEEE10hipError_tT1_T2_PT3_SF_jT4_jjP12ihipStream_tbEUlT_E_NS1_11comp_targetILNS1_3genE3ELNS1_11target_archE908ELNS1_3gpuE7ELNS1_3repE0EEENS1_52radix_sort_onesweep_histogram_config_static_selectorELNS0_4arch9wavefront6targetE0EEEvSD_
	.globl	_ZN7rocprim17ROCPRIM_400000_NS6detail17trampoline_kernelINS0_14default_configENS1_35radix_sort_onesweep_config_selectorIdNS0_10empty_typeEEEZNS1_34radix_sort_onesweep_global_offsetsIS3_Lb1EPKdPS5_mNS0_19identity_decomposerEEE10hipError_tT1_T2_PT3_SF_jT4_jjP12ihipStream_tbEUlT_E_NS1_11comp_targetILNS1_3genE3ELNS1_11target_archE908ELNS1_3gpuE7ELNS1_3repE0EEENS1_52radix_sort_onesweep_histogram_config_static_selectorELNS0_4arch9wavefront6targetE0EEEvSD_
	.p2align	8
	.type	_ZN7rocprim17ROCPRIM_400000_NS6detail17trampoline_kernelINS0_14default_configENS1_35radix_sort_onesweep_config_selectorIdNS0_10empty_typeEEEZNS1_34radix_sort_onesweep_global_offsetsIS3_Lb1EPKdPS5_mNS0_19identity_decomposerEEE10hipError_tT1_T2_PT3_SF_jT4_jjP12ihipStream_tbEUlT_E_NS1_11comp_targetILNS1_3genE3ELNS1_11target_archE908ELNS1_3gpuE7ELNS1_3repE0EEENS1_52radix_sort_onesweep_histogram_config_static_selectorELNS0_4arch9wavefront6targetE0EEEvSD_,@function
_ZN7rocprim17ROCPRIM_400000_NS6detail17trampoline_kernelINS0_14default_configENS1_35radix_sort_onesweep_config_selectorIdNS0_10empty_typeEEEZNS1_34radix_sort_onesweep_global_offsetsIS3_Lb1EPKdPS5_mNS0_19identity_decomposerEEE10hipError_tT1_T2_PT3_SF_jT4_jjP12ihipStream_tbEUlT_E_NS1_11comp_targetILNS1_3genE3ELNS1_11target_archE908ELNS1_3gpuE7ELNS1_3repE0EEENS1_52radix_sort_onesweep_histogram_config_static_selectorELNS0_4arch9wavefront6targetE0EEEvSD_: ; @_ZN7rocprim17ROCPRIM_400000_NS6detail17trampoline_kernelINS0_14default_configENS1_35radix_sort_onesweep_config_selectorIdNS0_10empty_typeEEEZNS1_34radix_sort_onesweep_global_offsetsIS3_Lb1EPKdPS5_mNS0_19identity_decomposerEEE10hipError_tT1_T2_PT3_SF_jT4_jjP12ihipStream_tbEUlT_E_NS1_11comp_targetILNS1_3genE3ELNS1_11target_archE908ELNS1_3gpuE7ELNS1_3repE0EEENS1_52radix_sort_onesweep_histogram_config_static_selectorELNS0_4arch9wavefront6targetE0EEEvSD_
; %bb.0:
	.section	.rodata,"a",@progbits
	.p2align	6, 0x0
	.amdhsa_kernel _ZN7rocprim17ROCPRIM_400000_NS6detail17trampoline_kernelINS0_14default_configENS1_35radix_sort_onesweep_config_selectorIdNS0_10empty_typeEEEZNS1_34radix_sort_onesweep_global_offsetsIS3_Lb1EPKdPS5_mNS0_19identity_decomposerEEE10hipError_tT1_T2_PT3_SF_jT4_jjP12ihipStream_tbEUlT_E_NS1_11comp_targetILNS1_3genE3ELNS1_11target_archE908ELNS1_3gpuE7ELNS1_3repE0EEENS1_52radix_sort_onesweep_histogram_config_static_selectorELNS0_4arch9wavefront6targetE0EEEvSD_
		.amdhsa_group_segment_fixed_size 0
		.amdhsa_private_segment_fixed_size 0
		.amdhsa_kernarg_size 48
		.amdhsa_user_sgpr_count 2
		.amdhsa_user_sgpr_dispatch_ptr 0
		.amdhsa_user_sgpr_queue_ptr 0
		.amdhsa_user_sgpr_kernarg_segment_ptr 1
		.amdhsa_user_sgpr_dispatch_id 0
		.amdhsa_user_sgpr_kernarg_preload_length 0
		.amdhsa_user_sgpr_kernarg_preload_offset 0
		.amdhsa_user_sgpr_private_segment_size 0
		.amdhsa_wavefront_size32 1
		.amdhsa_uses_dynamic_stack 0
		.amdhsa_enable_private_segment 0
		.amdhsa_system_sgpr_workgroup_id_x 1
		.amdhsa_system_sgpr_workgroup_id_y 0
		.amdhsa_system_sgpr_workgroup_id_z 0
		.amdhsa_system_sgpr_workgroup_info 0
		.amdhsa_system_vgpr_workitem_id 0
		.amdhsa_next_free_vgpr 1
		.amdhsa_next_free_sgpr 1
		.amdhsa_named_barrier_count 0
		.amdhsa_reserve_vcc 0
		.amdhsa_float_round_mode_32 0
		.amdhsa_float_round_mode_16_64 0
		.amdhsa_float_denorm_mode_32 3
		.amdhsa_float_denorm_mode_16_64 3
		.amdhsa_fp16_overflow 0
		.amdhsa_memory_ordered 1
		.amdhsa_forward_progress 1
		.amdhsa_inst_pref_size 0
		.amdhsa_round_robin_scheduling 0
		.amdhsa_exception_fp_ieee_invalid_op 0
		.amdhsa_exception_fp_denorm_src 0
		.amdhsa_exception_fp_ieee_div_zero 0
		.amdhsa_exception_fp_ieee_overflow 0
		.amdhsa_exception_fp_ieee_underflow 0
		.amdhsa_exception_fp_ieee_inexact 0
		.amdhsa_exception_int_div_zero 0
	.end_amdhsa_kernel
	.section	.text._ZN7rocprim17ROCPRIM_400000_NS6detail17trampoline_kernelINS0_14default_configENS1_35radix_sort_onesweep_config_selectorIdNS0_10empty_typeEEEZNS1_34radix_sort_onesweep_global_offsetsIS3_Lb1EPKdPS5_mNS0_19identity_decomposerEEE10hipError_tT1_T2_PT3_SF_jT4_jjP12ihipStream_tbEUlT_E_NS1_11comp_targetILNS1_3genE3ELNS1_11target_archE908ELNS1_3gpuE7ELNS1_3repE0EEENS1_52radix_sort_onesweep_histogram_config_static_selectorELNS0_4arch9wavefront6targetE0EEEvSD_,"axG",@progbits,_ZN7rocprim17ROCPRIM_400000_NS6detail17trampoline_kernelINS0_14default_configENS1_35radix_sort_onesweep_config_selectorIdNS0_10empty_typeEEEZNS1_34radix_sort_onesweep_global_offsetsIS3_Lb1EPKdPS5_mNS0_19identity_decomposerEEE10hipError_tT1_T2_PT3_SF_jT4_jjP12ihipStream_tbEUlT_E_NS1_11comp_targetILNS1_3genE3ELNS1_11target_archE908ELNS1_3gpuE7ELNS1_3repE0EEENS1_52radix_sort_onesweep_histogram_config_static_selectorELNS0_4arch9wavefront6targetE0EEEvSD_,comdat
.Lfunc_end1497:
	.size	_ZN7rocprim17ROCPRIM_400000_NS6detail17trampoline_kernelINS0_14default_configENS1_35radix_sort_onesweep_config_selectorIdNS0_10empty_typeEEEZNS1_34radix_sort_onesweep_global_offsetsIS3_Lb1EPKdPS5_mNS0_19identity_decomposerEEE10hipError_tT1_T2_PT3_SF_jT4_jjP12ihipStream_tbEUlT_E_NS1_11comp_targetILNS1_3genE3ELNS1_11target_archE908ELNS1_3gpuE7ELNS1_3repE0EEENS1_52radix_sort_onesweep_histogram_config_static_selectorELNS0_4arch9wavefront6targetE0EEEvSD_, .Lfunc_end1497-_ZN7rocprim17ROCPRIM_400000_NS6detail17trampoline_kernelINS0_14default_configENS1_35radix_sort_onesweep_config_selectorIdNS0_10empty_typeEEEZNS1_34radix_sort_onesweep_global_offsetsIS3_Lb1EPKdPS5_mNS0_19identity_decomposerEEE10hipError_tT1_T2_PT3_SF_jT4_jjP12ihipStream_tbEUlT_E_NS1_11comp_targetILNS1_3genE3ELNS1_11target_archE908ELNS1_3gpuE7ELNS1_3repE0EEENS1_52radix_sort_onesweep_histogram_config_static_selectorELNS0_4arch9wavefront6targetE0EEEvSD_
                                        ; -- End function
	.set _ZN7rocprim17ROCPRIM_400000_NS6detail17trampoline_kernelINS0_14default_configENS1_35radix_sort_onesweep_config_selectorIdNS0_10empty_typeEEEZNS1_34radix_sort_onesweep_global_offsetsIS3_Lb1EPKdPS5_mNS0_19identity_decomposerEEE10hipError_tT1_T2_PT3_SF_jT4_jjP12ihipStream_tbEUlT_E_NS1_11comp_targetILNS1_3genE3ELNS1_11target_archE908ELNS1_3gpuE7ELNS1_3repE0EEENS1_52radix_sort_onesweep_histogram_config_static_selectorELNS0_4arch9wavefront6targetE0EEEvSD_.num_vgpr, 0
	.set _ZN7rocprim17ROCPRIM_400000_NS6detail17trampoline_kernelINS0_14default_configENS1_35radix_sort_onesweep_config_selectorIdNS0_10empty_typeEEEZNS1_34radix_sort_onesweep_global_offsetsIS3_Lb1EPKdPS5_mNS0_19identity_decomposerEEE10hipError_tT1_T2_PT3_SF_jT4_jjP12ihipStream_tbEUlT_E_NS1_11comp_targetILNS1_3genE3ELNS1_11target_archE908ELNS1_3gpuE7ELNS1_3repE0EEENS1_52radix_sort_onesweep_histogram_config_static_selectorELNS0_4arch9wavefront6targetE0EEEvSD_.num_agpr, 0
	.set _ZN7rocprim17ROCPRIM_400000_NS6detail17trampoline_kernelINS0_14default_configENS1_35radix_sort_onesweep_config_selectorIdNS0_10empty_typeEEEZNS1_34radix_sort_onesweep_global_offsetsIS3_Lb1EPKdPS5_mNS0_19identity_decomposerEEE10hipError_tT1_T2_PT3_SF_jT4_jjP12ihipStream_tbEUlT_E_NS1_11comp_targetILNS1_3genE3ELNS1_11target_archE908ELNS1_3gpuE7ELNS1_3repE0EEENS1_52radix_sort_onesweep_histogram_config_static_selectorELNS0_4arch9wavefront6targetE0EEEvSD_.numbered_sgpr, 0
	.set _ZN7rocprim17ROCPRIM_400000_NS6detail17trampoline_kernelINS0_14default_configENS1_35radix_sort_onesweep_config_selectorIdNS0_10empty_typeEEEZNS1_34radix_sort_onesweep_global_offsetsIS3_Lb1EPKdPS5_mNS0_19identity_decomposerEEE10hipError_tT1_T2_PT3_SF_jT4_jjP12ihipStream_tbEUlT_E_NS1_11comp_targetILNS1_3genE3ELNS1_11target_archE908ELNS1_3gpuE7ELNS1_3repE0EEENS1_52radix_sort_onesweep_histogram_config_static_selectorELNS0_4arch9wavefront6targetE0EEEvSD_.num_named_barrier, 0
	.set _ZN7rocprim17ROCPRIM_400000_NS6detail17trampoline_kernelINS0_14default_configENS1_35radix_sort_onesweep_config_selectorIdNS0_10empty_typeEEEZNS1_34radix_sort_onesweep_global_offsetsIS3_Lb1EPKdPS5_mNS0_19identity_decomposerEEE10hipError_tT1_T2_PT3_SF_jT4_jjP12ihipStream_tbEUlT_E_NS1_11comp_targetILNS1_3genE3ELNS1_11target_archE908ELNS1_3gpuE7ELNS1_3repE0EEENS1_52radix_sort_onesweep_histogram_config_static_selectorELNS0_4arch9wavefront6targetE0EEEvSD_.private_seg_size, 0
	.set _ZN7rocprim17ROCPRIM_400000_NS6detail17trampoline_kernelINS0_14default_configENS1_35radix_sort_onesweep_config_selectorIdNS0_10empty_typeEEEZNS1_34radix_sort_onesweep_global_offsetsIS3_Lb1EPKdPS5_mNS0_19identity_decomposerEEE10hipError_tT1_T2_PT3_SF_jT4_jjP12ihipStream_tbEUlT_E_NS1_11comp_targetILNS1_3genE3ELNS1_11target_archE908ELNS1_3gpuE7ELNS1_3repE0EEENS1_52radix_sort_onesweep_histogram_config_static_selectorELNS0_4arch9wavefront6targetE0EEEvSD_.uses_vcc, 0
	.set _ZN7rocprim17ROCPRIM_400000_NS6detail17trampoline_kernelINS0_14default_configENS1_35radix_sort_onesweep_config_selectorIdNS0_10empty_typeEEEZNS1_34radix_sort_onesweep_global_offsetsIS3_Lb1EPKdPS5_mNS0_19identity_decomposerEEE10hipError_tT1_T2_PT3_SF_jT4_jjP12ihipStream_tbEUlT_E_NS1_11comp_targetILNS1_3genE3ELNS1_11target_archE908ELNS1_3gpuE7ELNS1_3repE0EEENS1_52radix_sort_onesweep_histogram_config_static_selectorELNS0_4arch9wavefront6targetE0EEEvSD_.uses_flat_scratch, 0
	.set _ZN7rocprim17ROCPRIM_400000_NS6detail17trampoline_kernelINS0_14default_configENS1_35radix_sort_onesweep_config_selectorIdNS0_10empty_typeEEEZNS1_34radix_sort_onesweep_global_offsetsIS3_Lb1EPKdPS5_mNS0_19identity_decomposerEEE10hipError_tT1_T2_PT3_SF_jT4_jjP12ihipStream_tbEUlT_E_NS1_11comp_targetILNS1_3genE3ELNS1_11target_archE908ELNS1_3gpuE7ELNS1_3repE0EEENS1_52radix_sort_onesweep_histogram_config_static_selectorELNS0_4arch9wavefront6targetE0EEEvSD_.has_dyn_sized_stack, 0
	.set _ZN7rocprim17ROCPRIM_400000_NS6detail17trampoline_kernelINS0_14default_configENS1_35radix_sort_onesweep_config_selectorIdNS0_10empty_typeEEEZNS1_34radix_sort_onesweep_global_offsetsIS3_Lb1EPKdPS5_mNS0_19identity_decomposerEEE10hipError_tT1_T2_PT3_SF_jT4_jjP12ihipStream_tbEUlT_E_NS1_11comp_targetILNS1_3genE3ELNS1_11target_archE908ELNS1_3gpuE7ELNS1_3repE0EEENS1_52radix_sort_onesweep_histogram_config_static_selectorELNS0_4arch9wavefront6targetE0EEEvSD_.has_recursion, 0
	.set _ZN7rocprim17ROCPRIM_400000_NS6detail17trampoline_kernelINS0_14default_configENS1_35radix_sort_onesweep_config_selectorIdNS0_10empty_typeEEEZNS1_34radix_sort_onesweep_global_offsetsIS3_Lb1EPKdPS5_mNS0_19identity_decomposerEEE10hipError_tT1_T2_PT3_SF_jT4_jjP12ihipStream_tbEUlT_E_NS1_11comp_targetILNS1_3genE3ELNS1_11target_archE908ELNS1_3gpuE7ELNS1_3repE0EEENS1_52radix_sort_onesweep_histogram_config_static_selectorELNS0_4arch9wavefront6targetE0EEEvSD_.has_indirect_call, 0
	.section	.AMDGPU.csdata,"",@progbits
; Kernel info:
; codeLenInByte = 0
; TotalNumSgprs: 0
; NumVgprs: 0
; ScratchSize: 0
; MemoryBound: 0
; FloatMode: 240
; IeeeMode: 1
; LDSByteSize: 0 bytes/workgroup (compile time only)
; SGPRBlocks: 0
; VGPRBlocks: 0
; NumSGPRsForWavesPerEU: 1
; NumVGPRsForWavesPerEU: 1
; NamedBarCnt: 0
; Occupancy: 16
; WaveLimiterHint : 0
; COMPUTE_PGM_RSRC2:SCRATCH_EN: 0
; COMPUTE_PGM_RSRC2:USER_SGPR: 2
; COMPUTE_PGM_RSRC2:TRAP_HANDLER: 0
; COMPUTE_PGM_RSRC2:TGID_X_EN: 1
; COMPUTE_PGM_RSRC2:TGID_Y_EN: 0
; COMPUTE_PGM_RSRC2:TGID_Z_EN: 0
; COMPUTE_PGM_RSRC2:TIDIG_COMP_CNT: 0
	.section	.text._ZN7rocprim17ROCPRIM_400000_NS6detail17trampoline_kernelINS0_14default_configENS1_35radix_sort_onesweep_config_selectorIdNS0_10empty_typeEEEZNS1_34radix_sort_onesweep_global_offsetsIS3_Lb1EPKdPS5_mNS0_19identity_decomposerEEE10hipError_tT1_T2_PT3_SF_jT4_jjP12ihipStream_tbEUlT_E_NS1_11comp_targetILNS1_3genE10ELNS1_11target_archE1201ELNS1_3gpuE5ELNS1_3repE0EEENS1_52radix_sort_onesweep_histogram_config_static_selectorELNS0_4arch9wavefront6targetE0EEEvSD_,"axG",@progbits,_ZN7rocprim17ROCPRIM_400000_NS6detail17trampoline_kernelINS0_14default_configENS1_35radix_sort_onesweep_config_selectorIdNS0_10empty_typeEEEZNS1_34radix_sort_onesweep_global_offsetsIS3_Lb1EPKdPS5_mNS0_19identity_decomposerEEE10hipError_tT1_T2_PT3_SF_jT4_jjP12ihipStream_tbEUlT_E_NS1_11comp_targetILNS1_3genE10ELNS1_11target_archE1201ELNS1_3gpuE5ELNS1_3repE0EEENS1_52radix_sort_onesweep_histogram_config_static_selectorELNS0_4arch9wavefront6targetE0EEEvSD_,comdat
	.protected	_ZN7rocprim17ROCPRIM_400000_NS6detail17trampoline_kernelINS0_14default_configENS1_35radix_sort_onesweep_config_selectorIdNS0_10empty_typeEEEZNS1_34radix_sort_onesweep_global_offsetsIS3_Lb1EPKdPS5_mNS0_19identity_decomposerEEE10hipError_tT1_T2_PT3_SF_jT4_jjP12ihipStream_tbEUlT_E_NS1_11comp_targetILNS1_3genE10ELNS1_11target_archE1201ELNS1_3gpuE5ELNS1_3repE0EEENS1_52radix_sort_onesweep_histogram_config_static_selectorELNS0_4arch9wavefront6targetE0EEEvSD_ ; -- Begin function _ZN7rocprim17ROCPRIM_400000_NS6detail17trampoline_kernelINS0_14default_configENS1_35radix_sort_onesweep_config_selectorIdNS0_10empty_typeEEEZNS1_34radix_sort_onesweep_global_offsetsIS3_Lb1EPKdPS5_mNS0_19identity_decomposerEEE10hipError_tT1_T2_PT3_SF_jT4_jjP12ihipStream_tbEUlT_E_NS1_11comp_targetILNS1_3genE10ELNS1_11target_archE1201ELNS1_3gpuE5ELNS1_3repE0EEENS1_52radix_sort_onesweep_histogram_config_static_selectorELNS0_4arch9wavefront6targetE0EEEvSD_
	.globl	_ZN7rocprim17ROCPRIM_400000_NS6detail17trampoline_kernelINS0_14default_configENS1_35radix_sort_onesweep_config_selectorIdNS0_10empty_typeEEEZNS1_34radix_sort_onesweep_global_offsetsIS3_Lb1EPKdPS5_mNS0_19identity_decomposerEEE10hipError_tT1_T2_PT3_SF_jT4_jjP12ihipStream_tbEUlT_E_NS1_11comp_targetILNS1_3genE10ELNS1_11target_archE1201ELNS1_3gpuE5ELNS1_3repE0EEENS1_52radix_sort_onesweep_histogram_config_static_selectorELNS0_4arch9wavefront6targetE0EEEvSD_
	.p2align	8
	.type	_ZN7rocprim17ROCPRIM_400000_NS6detail17trampoline_kernelINS0_14default_configENS1_35radix_sort_onesweep_config_selectorIdNS0_10empty_typeEEEZNS1_34radix_sort_onesweep_global_offsetsIS3_Lb1EPKdPS5_mNS0_19identity_decomposerEEE10hipError_tT1_T2_PT3_SF_jT4_jjP12ihipStream_tbEUlT_E_NS1_11comp_targetILNS1_3genE10ELNS1_11target_archE1201ELNS1_3gpuE5ELNS1_3repE0EEENS1_52radix_sort_onesweep_histogram_config_static_selectorELNS0_4arch9wavefront6targetE0EEEvSD_,@function
_ZN7rocprim17ROCPRIM_400000_NS6detail17trampoline_kernelINS0_14default_configENS1_35radix_sort_onesweep_config_selectorIdNS0_10empty_typeEEEZNS1_34radix_sort_onesweep_global_offsetsIS3_Lb1EPKdPS5_mNS0_19identity_decomposerEEE10hipError_tT1_T2_PT3_SF_jT4_jjP12ihipStream_tbEUlT_E_NS1_11comp_targetILNS1_3genE10ELNS1_11target_archE1201ELNS1_3gpuE5ELNS1_3repE0EEENS1_52radix_sort_onesweep_histogram_config_static_selectorELNS0_4arch9wavefront6targetE0EEEvSD_: ; @_ZN7rocprim17ROCPRIM_400000_NS6detail17trampoline_kernelINS0_14default_configENS1_35radix_sort_onesweep_config_selectorIdNS0_10empty_typeEEEZNS1_34radix_sort_onesweep_global_offsetsIS3_Lb1EPKdPS5_mNS0_19identity_decomposerEEE10hipError_tT1_T2_PT3_SF_jT4_jjP12ihipStream_tbEUlT_E_NS1_11comp_targetILNS1_3genE10ELNS1_11target_archE1201ELNS1_3gpuE5ELNS1_3repE0EEENS1_52radix_sort_onesweep_histogram_config_static_selectorELNS0_4arch9wavefront6targetE0EEEvSD_
; %bb.0:
	.section	.rodata,"a",@progbits
	.p2align	6, 0x0
	.amdhsa_kernel _ZN7rocprim17ROCPRIM_400000_NS6detail17trampoline_kernelINS0_14default_configENS1_35radix_sort_onesweep_config_selectorIdNS0_10empty_typeEEEZNS1_34radix_sort_onesweep_global_offsetsIS3_Lb1EPKdPS5_mNS0_19identity_decomposerEEE10hipError_tT1_T2_PT3_SF_jT4_jjP12ihipStream_tbEUlT_E_NS1_11comp_targetILNS1_3genE10ELNS1_11target_archE1201ELNS1_3gpuE5ELNS1_3repE0EEENS1_52radix_sort_onesweep_histogram_config_static_selectorELNS0_4arch9wavefront6targetE0EEEvSD_
		.amdhsa_group_segment_fixed_size 0
		.amdhsa_private_segment_fixed_size 0
		.amdhsa_kernarg_size 48
		.amdhsa_user_sgpr_count 2
		.amdhsa_user_sgpr_dispatch_ptr 0
		.amdhsa_user_sgpr_queue_ptr 0
		.amdhsa_user_sgpr_kernarg_segment_ptr 1
		.amdhsa_user_sgpr_dispatch_id 0
		.amdhsa_user_sgpr_kernarg_preload_length 0
		.amdhsa_user_sgpr_kernarg_preload_offset 0
		.amdhsa_user_sgpr_private_segment_size 0
		.amdhsa_wavefront_size32 1
		.amdhsa_uses_dynamic_stack 0
		.amdhsa_enable_private_segment 0
		.amdhsa_system_sgpr_workgroup_id_x 1
		.amdhsa_system_sgpr_workgroup_id_y 0
		.amdhsa_system_sgpr_workgroup_id_z 0
		.amdhsa_system_sgpr_workgroup_info 0
		.amdhsa_system_vgpr_workitem_id 0
		.amdhsa_next_free_vgpr 1
		.amdhsa_next_free_sgpr 1
		.amdhsa_named_barrier_count 0
		.amdhsa_reserve_vcc 0
		.amdhsa_float_round_mode_32 0
		.amdhsa_float_round_mode_16_64 0
		.amdhsa_float_denorm_mode_32 3
		.amdhsa_float_denorm_mode_16_64 3
		.amdhsa_fp16_overflow 0
		.amdhsa_memory_ordered 1
		.amdhsa_forward_progress 1
		.amdhsa_inst_pref_size 0
		.amdhsa_round_robin_scheduling 0
		.amdhsa_exception_fp_ieee_invalid_op 0
		.amdhsa_exception_fp_denorm_src 0
		.amdhsa_exception_fp_ieee_div_zero 0
		.amdhsa_exception_fp_ieee_overflow 0
		.amdhsa_exception_fp_ieee_underflow 0
		.amdhsa_exception_fp_ieee_inexact 0
		.amdhsa_exception_int_div_zero 0
	.end_amdhsa_kernel
	.section	.text._ZN7rocprim17ROCPRIM_400000_NS6detail17trampoline_kernelINS0_14default_configENS1_35radix_sort_onesweep_config_selectorIdNS0_10empty_typeEEEZNS1_34radix_sort_onesweep_global_offsetsIS3_Lb1EPKdPS5_mNS0_19identity_decomposerEEE10hipError_tT1_T2_PT3_SF_jT4_jjP12ihipStream_tbEUlT_E_NS1_11comp_targetILNS1_3genE10ELNS1_11target_archE1201ELNS1_3gpuE5ELNS1_3repE0EEENS1_52radix_sort_onesweep_histogram_config_static_selectorELNS0_4arch9wavefront6targetE0EEEvSD_,"axG",@progbits,_ZN7rocprim17ROCPRIM_400000_NS6detail17trampoline_kernelINS0_14default_configENS1_35radix_sort_onesweep_config_selectorIdNS0_10empty_typeEEEZNS1_34radix_sort_onesweep_global_offsetsIS3_Lb1EPKdPS5_mNS0_19identity_decomposerEEE10hipError_tT1_T2_PT3_SF_jT4_jjP12ihipStream_tbEUlT_E_NS1_11comp_targetILNS1_3genE10ELNS1_11target_archE1201ELNS1_3gpuE5ELNS1_3repE0EEENS1_52radix_sort_onesweep_histogram_config_static_selectorELNS0_4arch9wavefront6targetE0EEEvSD_,comdat
.Lfunc_end1498:
	.size	_ZN7rocprim17ROCPRIM_400000_NS6detail17trampoline_kernelINS0_14default_configENS1_35radix_sort_onesweep_config_selectorIdNS0_10empty_typeEEEZNS1_34radix_sort_onesweep_global_offsetsIS3_Lb1EPKdPS5_mNS0_19identity_decomposerEEE10hipError_tT1_T2_PT3_SF_jT4_jjP12ihipStream_tbEUlT_E_NS1_11comp_targetILNS1_3genE10ELNS1_11target_archE1201ELNS1_3gpuE5ELNS1_3repE0EEENS1_52radix_sort_onesweep_histogram_config_static_selectorELNS0_4arch9wavefront6targetE0EEEvSD_, .Lfunc_end1498-_ZN7rocprim17ROCPRIM_400000_NS6detail17trampoline_kernelINS0_14default_configENS1_35radix_sort_onesweep_config_selectorIdNS0_10empty_typeEEEZNS1_34radix_sort_onesweep_global_offsetsIS3_Lb1EPKdPS5_mNS0_19identity_decomposerEEE10hipError_tT1_T2_PT3_SF_jT4_jjP12ihipStream_tbEUlT_E_NS1_11comp_targetILNS1_3genE10ELNS1_11target_archE1201ELNS1_3gpuE5ELNS1_3repE0EEENS1_52radix_sort_onesweep_histogram_config_static_selectorELNS0_4arch9wavefront6targetE0EEEvSD_
                                        ; -- End function
	.set _ZN7rocprim17ROCPRIM_400000_NS6detail17trampoline_kernelINS0_14default_configENS1_35radix_sort_onesweep_config_selectorIdNS0_10empty_typeEEEZNS1_34radix_sort_onesweep_global_offsetsIS3_Lb1EPKdPS5_mNS0_19identity_decomposerEEE10hipError_tT1_T2_PT3_SF_jT4_jjP12ihipStream_tbEUlT_E_NS1_11comp_targetILNS1_3genE10ELNS1_11target_archE1201ELNS1_3gpuE5ELNS1_3repE0EEENS1_52radix_sort_onesweep_histogram_config_static_selectorELNS0_4arch9wavefront6targetE0EEEvSD_.num_vgpr, 0
	.set _ZN7rocprim17ROCPRIM_400000_NS6detail17trampoline_kernelINS0_14default_configENS1_35radix_sort_onesweep_config_selectorIdNS0_10empty_typeEEEZNS1_34radix_sort_onesweep_global_offsetsIS3_Lb1EPKdPS5_mNS0_19identity_decomposerEEE10hipError_tT1_T2_PT3_SF_jT4_jjP12ihipStream_tbEUlT_E_NS1_11comp_targetILNS1_3genE10ELNS1_11target_archE1201ELNS1_3gpuE5ELNS1_3repE0EEENS1_52radix_sort_onesweep_histogram_config_static_selectorELNS0_4arch9wavefront6targetE0EEEvSD_.num_agpr, 0
	.set _ZN7rocprim17ROCPRIM_400000_NS6detail17trampoline_kernelINS0_14default_configENS1_35radix_sort_onesweep_config_selectorIdNS0_10empty_typeEEEZNS1_34radix_sort_onesweep_global_offsetsIS3_Lb1EPKdPS5_mNS0_19identity_decomposerEEE10hipError_tT1_T2_PT3_SF_jT4_jjP12ihipStream_tbEUlT_E_NS1_11comp_targetILNS1_3genE10ELNS1_11target_archE1201ELNS1_3gpuE5ELNS1_3repE0EEENS1_52radix_sort_onesweep_histogram_config_static_selectorELNS0_4arch9wavefront6targetE0EEEvSD_.numbered_sgpr, 0
	.set _ZN7rocprim17ROCPRIM_400000_NS6detail17trampoline_kernelINS0_14default_configENS1_35radix_sort_onesweep_config_selectorIdNS0_10empty_typeEEEZNS1_34radix_sort_onesweep_global_offsetsIS3_Lb1EPKdPS5_mNS0_19identity_decomposerEEE10hipError_tT1_T2_PT3_SF_jT4_jjP12ihipStream_tbEUlT_E_NS1_11comp_targetILNS1_3genE10ELNS1_11target_archE1201ELNS1_3gpuE5ELNS1_3repE0EEENS1_52radix_sort_onesweep_histogram_config_static_selectorELNS0_4arch9wavefront6targetE0EEEvSD_.num_named_barrier, 0
	.set _ZN7rocprim17ROCPRIM_400000_NS6detail17trampoline_kernelINS0_14default_configENS1_35radix_sort_onesweep_config_selectorIdNS0_10empty_typeEEEZNS1_34radix_sort_onesweep_global_offsetsIS3_Lb1EPKdPS5_mNS0_19identity_decomposerEEE10hipError_tT1_T2_PT3_SF_jT4_jjP12ihipStream_tbEUlT_E_NS1_11comp_targetILNS1_3genE10ELNS1_11target_archE1201ELNS1_3gpuE5ELNS1_3repE0EEENS1_52radix_sort_onesweep_histogram_config_static_selectorELNS0_4arch9wavefront6targetE0EEEvSD_.private_seg_size, 0
	.set _ZN7rocprim17ROCPRIM_400000_NS6detail17trampoline_kernelINS0_14default_configENS1_35radix_sort_onesweep_config_selectorIdNS0_10empty_typeEEEZNS1_34radix_sort_onesweep_global_offsetsIS3_Lb1EPKdPS5_mNS0_19identity_decomposerEEE10hipError_tT1_T2_PT3_SF_jT4_jjP12ihipStream_tbEUlT_E_NS1_11comp_targetILNS1_3genE10ELNS1_11target_archE1201ELNS1_3gpuE5ELNS1_3repE0EEENS1_52radix_sort_onesweep_histogram_config_static_selectorELNS0_4arch9wavefront6targetE0EEEvSD_.uses_vcc, 0
	.set _ZN7rocprim17ROCPRIM_400000_NS6detail17trampoline_kernelINS0_14default_configENS1_35radix_sort_onesweep_config_selectorIdNS0_10empty_typeEEEZNS1_34radix_sort_onesweep_global_offsetsIS3_Lb1EPKdPS5_mNS0_19identity_decomposerEEE10hipError_tT1_T2_PT3_SF_jT4_jjP12ihipStream_tbEUlT_E_NS1_11comp_targetILNS1_3genE10ELNS1_11target_archE1201ELNS1_3gpuE5ELNS1_3repE0EEENS1_52radix_sort_onesweep_histogram_config_static_selectorELNS0_4arch9wavefront6targetE0EEEvSD_.uses_flat_scratch, 0
	.set _ZN7rocprim17ROCPRIM_400000_NS6detail17trampoline_kernelINS0_14default_configENS1_35radix_sort_onesweep_config_selectorIdNS0_10empty_typeEEEZNS1_34radix_sort_onesweep_global_offsetsIS3_Lb1EPKdPS5_mNS0_19identity_decomposerEEE10hipError_tT1_T2_PT3_SF_jT4_jjP12ihipStream_tbEUlT_E_NS1_11comp_targetILNS1_3genE10ELNS1_11target_archE1201ELNS1_3gpuE5ELNS1_3repE0EEENS1_52radix_sort_onesweep_histogram_config_static_selectorELNS0_4arch9wavefront6targetE0EEEvSD_.has_dyn_sized_stack, 0
	.set _ZN7rocprim17ROCPRIM_400000_NS6detail17trampoline_kernelINS0_14default_configENS1_35radix_sort_onesweep_config_selectorIdNS0_10empty_typeEEEZNS1_34radix_sort_onesweep_global_offsetsIS3_Lb1EPKdPS5_mNS0_19identity_decomposerEEE10hipError_tT1_T2_PT3_SF_jT4_jjP12ihipStream_tbEUlT_E_NS1_11comp_targetILNS1_3genE10ELNS1_11target_archE1201ELNS1_3gpuE5ELNS1_3repE0EEENS1_52radix_sort_onesweep_histogram_config_static_selectorELNS0_4arch9wavefront6targetE0EEEvSD_.has_recursion, 0
	.set _ZN7rocprim17ROCPRIM_400000_NS6detail17trampoline_kernelINS0_14default_configENS1_35radix_sort_onesweep_config_selectorIdNS0_10empty_typeEEEZNS1_34radix_sort_onesweep_global_offsetsIS3_Lb1EPKdPS5_mNS0_19identity_decomposerEEE10hipError_tT1_T2_PT3_SF_jT4_jjP12ihipStream_tbEUlT_E_NS1_11comp_targetILNS1_3genE10ELNS1_11target_archE1201ELNS1_3gpuE5ELNS1_3repE0EEENS1_52radix_sort_onesweep_histogram_config_static_selectorELNS0_4arch9wavefront6targetE0EEEvSD_.has_indirect_call, 0
	.section	.AMDGPU.csdata,"",@progbits
; Kernel info:
; codeLenInByte = 0
; TotalNumSgprs: 0
; NumVgprs: 0
; ScratchSize: 0
; MemoryBound: 0
; FloatMode: 240
; IeeeMode: 1
; LDSByteSize: 0 bytes/workgroup (compile time only)
; SGPRBlocks: 0
; VGPRBlocks: 0
; NumSGPRsForWavesPerEU: 1
; NumVGPRsForWavesPerEU: 1
; NamedBarCnt: 0
; Occupancy: 16
; WaveLimiterHint : 0
; COMPUTE_PGM_RSRC2:SCRATCH_EN: 0
; COMPUTE_PGM_RSRC2:USER_SGPR: 2
; COMPUTE_PGM_RSRC2:TRAP_HANDLER: 0
; COMPUTE_PGM_RSRC2:TGID_X_EN: 1
; COMPUTE_PGM_RSRC2:TGID_Y_EN: 0
; COMPUTE_PGM_RSRC2:TGID_Z_EN: 0
; COMPUTE_PGM_RSRC2:TIDIG_COMP_CNT: 0
	.section	.text._ZN7rocprim17ROCPRIM_400000_NS6detail17trampoline_kernelINS0_14default_configENS1_35radix_sort_onesweep_config_selectorIdNS0_10empty_typeEEEZNS1_34radix_sort_onesweep_global_offsetsIS3_Lb1EPKdPS5_mNS0_19identity_decomposerEEE10hipError_tT1_T2_PT3_SF_jT4_jjP12ihipStream_tbEUlT_E_NS1_11comp_targetILNS1_3genE9ELNS1_11target_archE1100ELNS1_3gpuE3ELNS1_3repE0EEENS1_52radix_sort_onesweep_histogram_config_static_selectorELNS0_4arch9wavefront6targetE0EEEvSD_,"axG",@progbits,_ZN7rocprim17ROCPRIM_400000_NS6detail17trampoline_kernelINS0_14default_configENS1_35radix_sort_onesweep_config_selectorIdNS0_10empty_typeEEEZNS1_34radix_sort_onesweep_global_offsetsIS3_Lb1EPKdPS5_mNS0_19identity_decomposerEEE10hipError_tT1_T2_PT3_SF_jT4_jjP12ihipStream_tbEUlT_E_NS1_11comp_targetILNS1_3genE9ELNS1_11target_archE1100ELNS1_3gpuE3ELNS1_3repE0EEENS1_52radix_sort_onesweep_histogram_config_static_selectorELNS0_4arch9wavefront6targetE0EEEvSD_,comdat
	.protected	_ZN7rocprim17ROCPRIM_400000_NS6detail17trampoline_kernelINS0_14default_configENS1_35radix_sort_onesweep_config_selectorIdNS0_10empty_typeEEEZNS1_34radix_sort_onesweep_global_offsetsIS3_Lb1EPKdPS5_mNS0_19identity_decomposerEEE10hipError_tT1_T2_PT3_SF_jT4_jjP12ihipStream_tbEUlT_E_NS1_11comp_targetILNS1_3genE9ELNS1_11target_archE1100ELNS1_3gpuE3ELNS1_3repE0EEENS1_52radix_sort_onesweep_histogram_config_static_selectorELNS0_4arch9wavefront6targetE0EEEvSD_ ; -- Begin function _ZN7rocprim17ROCPRIM_400000_NS6detail17trampoline_kernelINS0_14default_configENS1_35radix_sort_onesweep_config_selectorIdNS0_10empty_typeEEEZNS1_34radix_sort_onesweep_global_offsetsIS3_Lb1EPKdPS5_mNS0_19identity_decomposerEEE10hipError_tT1_T2_PT3_SF_jT4_jjP12ihipStream_tbEUlT_E_NS1_11comp_targetILNS1_3genE9ELNS1_11target_archE1100ELNS1_3gpuE3ELNS1_3repE0EEENS1_52radix_sort_onesweep_histogram_config_static_selectorELNS0_4arch9wavefront6targetE0EEEvSD_
	.globl	_ZN7rocprim17ROCPRIM_400000_NS6detail17trampoline_kernelINS0_14default_configENS1_35radix_sort_onesweep_config_selectorIdNS0_10empty_typeEEEZNS1_34radix_sort_onesweep_global_offsetsIS3_Lb1EPKdPS5_mNS0_19identity_decomposerEEE10hipError_tT1_T2_PT3_SF_jT4_jjP12ihipStream_tbEUlT_E_NS1_11comp_targetILNS1_3genE9ELNS1_11target_archE1100ELNS1_3gpuE3ELNS1_3repE0EEENS1_52radix_sort_onesweep_histogram_config_static_selectorELNS0_4arch9wavefront6targetE0EEEvSD_
	.p2align	8
	.type	_ZN7rocprim17ROCPRIM_400000_NS6detail17trampoline_kernelINS0_14default_configENS1_35radix_sort_onesweep_config_selectorIdNS0_10empty_typeEEEZNS1_34radix_sort_onesweep_global_offsetsIS3_Lb1EPKdPS5_mNS0_19identity_decomposerEEE10hipError_tT1_T2_PT3_SF_jT4_jjP12ihipStream_tbEUlT_E_NS1_11comp_targetILNS1_3genE9ELNS1_11target_archE1100ELNS1_3gpuE3ELNS1_3repE0EEENS1_52radix_sort_onesweep_histogram_config_static_selectorELNS0_4arch9wavefront6targetE0EEEvSD_,@function
_ZN7rocprim17ROCPRIM_400000_NS6detail17trampoline_kernelINS0_14default_configENS1_35radix_sort_onesweep_config_selectorIdNS0_10empty_typeEEEZNS1_34radix_sort_onesweep_global_offsetsIS3_Lb1EPKdPS5_mNS0_19identity_decomposerEEE10hipError_tT1_T2_PT3_SF_jT4_jjP12ihipStream_tbEUlT_E_NS1_11comp_targetILNS1_3genE9ELNS1_11target_archE1100ELNS1_3gpuE3ELNS1_3repE0EEENS1_52radix_sort_onesweep_histogram_config_static_selectorELNS0_4arch9wavefront6targetE0EEEvSD_: ; @_ZN7rocprim17ROCPRIM_400000_NS6detail17trampoline_kernelINS0_14default_configENS1_35radix_sort_onesweep_config_selectorIdNS0_10empty_typeEEEZNS1_34radix_sort_onesweep_global_offsetsIS3_Lb1EPKdPS5_mNS0_19identity_decomposerEEE10hipError_tT1_T2_PT3_SF_jT4_jjP12ihipStream_tbEUlT_E_NS1_11comp_targetILNS1_3genE9ELNS1_11target_archE1100ELNS1_3gpuE3ELNS1_3repE0EEENS1_52radix_sort_onesweep_histogram_config_static_selectorELNS0_4arch9wavefront6targetE0EEEvSD_
; %bb.0:
	.section	.rodata,"a",@progbits
	.p2align	6, 0x0
	.amdhsa_kernel _ZN7rocprim17ROCPRIM_400000_NS6detail17trampoline_kernelINS0_14default_configENS1_35radix_sort_onesweep_config_selectorIdNS0_10empty_typeEEEZNS1_34radix_sort_onesweep_global_offsetsIS3_Lb1EPKdPS5_mNS0_19identity_decomposerEEE10hipError_tT1_T2_PT3_SF_jT4_jjP12ihipStream_tbEUlT_E_NS1_11comp_targetILNS1_3genE9ELNS1_11target_archE1100ELNS1_3gpuE3ELNS1_3repE0EEENS1_52radix_sort_onesweep_histogram_config_static_selectorELNS0_4arch9wavefront6targetE0EEEvSD_
		.amdhsa_group_segment_fixed_size 0
		.amdhsa_private_segment_fixed_size 0
		.amdhsa_kernarg_size 48
		.amdhsa_user_sgpr_count 2
		.amdhsa_user_sgpr_dispatch_ptr 0
		.amdhsa_user_sgpr_queue_ptr 0
		.amdhsa_user_sgpr_kernarg_segment_ptr 1
		.amdhsa_user_sgpr_dispatch_id 0
		.amdhsa_user_sgpr_kernarg_preload_length 0
		.amdhsa_user_sgpr_kernarg_preload_offset 0
		.amdhsa_user_sgpr_private_segment_size 0
		.amdhsa_wavefront_size32 1
		.amdhsa_uses_dynamic_stack 0
		.amdhsa_enable_private_segment 0
		.amdhsa_system_sgpr_workgroup_id_x 1
		.amdhsa_system_sgpr_workgroup_id_y 0
		.amdhsa_system_sgpr_workgroup_id_z 0
		.amdhsa_system_sgpr_workgroup_info 0
		.amdhsa_system_vgpr_workitem_id 0
		.amdhsa_next_free_vgpr 1
		.amdhsa_next_free_sgpr 1
		.amdhsa_named_barrier_count 0
		.amdhsa_reserve_vcc 0
		.amdhsa_float_round_mode_32 0
		.amdhsa_float_round_mode_16_64 0
		.amdhsa_float_denorm_mode_32 3
		.amdhsa_float_denorm_mode_16_64 3
		.amdhsa_fp16_overflow 0
		.amdhsa_memory_ordered 1
		.amdhsa_forward_progress 1
		.amdhsa_inst_pref_size 0
		.amdhsa_round_robin_scheduling 0
		.amdhsa_exception_fp_ieee_invalid_op 0
		.amdhsa_exception_fp_denorm_src 0
		.amdhsa_exception_fp_ieee_div_zero 0
		.amdhsa_exception_fp_ieee_overflow 0
		.amdhsa_exception_fp_ieee_underflow 0
		.amdhsa_exception_fp_ieee_inexact 0
		.amdhsa_exception_int_div_zero 0
	.end_amdhsa_kernel
	.section	.text._ZN7rocprim17ROCPRIM_400000_NS6detail17trampoline_kernelINS0_14default_configENS1_35radix_sort_onesweep_config_selectorIdNS0_10empty_typeEEEZNS1_34radix_sort_onesweep_global_offsetsIS3_Lb1EPKdPS5_mNS0_19identity_decomposerEEE10hipError_tT1_T2_PT3_SF_jT4_jjP12ihipStream_tbEUlT_E_NS1_11comp_targetILNS1_3genE9ELNS1_11target_archE1100ELNS1_3gpuE3ELNS1_3repE0EEENS1_52radix_sort_onesweep_histogram_config_static_selectorELNS0_4arch9wavefront6targetE0EEEvSD_,"axG",@progbits,_ZN7rocprim17ROCPRIM_400000_NS6detail17trampoline_kernelINS0_14default_configENS1_35radix_sort_onesweep_config_selectorIdNS0_10empty_typeEEEZNS1_34radix_sort_onesweep_global_offsetsIS3_Lb1EPKdPS5_mNS0_19identity_decomposerEEE10hipError_tT1_T2_PT3_SF_jT4_jjP12ihipStream_tbEUlT_E_NS1_11comp_targetILNS1_3genE9ELNS1_11target_archE1100ELNS1_3gpuE3ELNS1_3repE0EEENS1_52radix_sort_onesweep_histogram_config_static_selectorELNS0_4arch9wavefront6targetE0EEEvSD_,comdat
.Lfunc_end1499:
	.size	_ZN7rocprim17ROCPRIM_400000_NS6detail17trampoline_kernelINS0_14default_configENS1_35radix_sort_onesweep_config_selectorIdNS0_10empty_typeEEEZNS1_34radix_sort_onesweep_global_offsetsIS3_Lb1EPKdPS5_mNS0_19identity_decomposerEEE10hipError_tT1_T2_PT3_SF_jT4_jjP12ihipStream_tbEUlT_E_NS1_11comp_targetILNS1_3genE9ELNS1_11target_archE1100ELNS1_3gpuE3ELNS1_3repE0EEENS1_52radix_sort_onesweep_histogram_config_static_selectorELNS0_4arch9wavefront6targetE0EEEvSD_, .Lfunc_end1499-_ZN7rocprim17ROCPRIM_400000_NS6detail17trampoline_kernelINS0_14default_configENS1_35radix_sort_onesweep_config_selectorIdNS0_10empty_typeEEEZNS1_34radix_sort_onesweep_global_offsetsIS3_Lb1EPKdPS5_mNS0_19identity_decomposerEEE10hipError_tT1_T2_PT3_SF_jT4_jjP12ihipStream_tbEUlT_E_NS1_11comp_targetILNS1_3genE9ELNS1_11target_archE1100ELNS1_3gpuE3ELNS1_3repE0EEENS1_52radix_sort_onesweep_histogram_config_static_selectorELNS0_4arch9wavefront6targetE0EEEvSD_
                                        ; -- End function
	.set _ZN7rocprim17ROCPRIM_400000_NS6detail17trampoline_kernelINS0_14default_configENS1_35radix_sort_onesweep_config_selectorIdNS0_10empty_typeEEEZNS1_34radix_sort_onesweep_global_offsetsIS3_Lb1EPKdPS5_mNS0_19identity_decomposerEEE10hipError_tT1_T2_PT3_SF_jT4_jjP12ihipStream_tbEUlT_E_NS1_11comp_targetILNS1_3genE9ELNS1_11target_archE1100ELNS1_3gpuE3ELNS1_3repE0EEENS1_52radix_sort_onesweep_histogram_config_static_selectorELNS0_4arch9wavefront6targetE0EEEvSD_.num_vgpr, 0
	.set _ZN7rocprim17ROCPRIM_400000_NS6detail17trampoline_kernelINS0_14default_configENS1_35radix_sort_onesweep_config_selectorIdNS0_10empty_typeEEEZNS1_34radix_sort_onesweep_global_offsetsIS3_Lb1EPKdPS5_mNS0_19identity_decomposerEEE10hipError_tT1_T2_PT3_SF_jT4_jjP12ihipStream_tbEUlT_E_NS1_11comp_targetILNS1_3genE9ELNS1_11target_archE1100ELNS1_3gpuE3ELNS1_3repE0EEENS1_52radix_sort_onesweep_histogram_config_static_selectorELNS0_4arch9wavefront6targetE0EEEvSD_.num_agpr, 0
	.set _ZN7rocprim17ROCPRIM_400000_NS6detail17trampoline_kernelINS0_14default_configENS1_35radix_sort_onesweep_config_selectorIdNS0_10empty_typeEEEZNS1_34radix_sort_onesweep_global_offsetsIS3_Lb1EPKdPS5_mNS0_19identity_decomposerEEE10hipError_tT1_T2_PT3_SF_jT4_jjP12ihipStream_tbEUlT_E_NS1_11comp_targetILNS1_3genE9ELNS1_11target_archE1100ELNS1_3gpuE3ELNS1_3repE0EEENS1_52radix_sort_onesweep_histogram_config_static_selectorELNS0_4arch9wavefront6targetE0EEEvSD_.numbered_sgpr, 0
	.set _ZN7rocprim17ROCPRIM_400000_NS6detail17trampoline_kernelINS0_14default_configENS1_35radix_sort_onesweep_config_selectorIdNS0_10empty_typeEEEZNS1_34radix_sort_onesweep_global_offsetsIS3_Lb1EPKdPS5_mNS0_19identity_decomposerEEE10hipError_tT1_T2_PT3_SF_jT4_jjP12ihipStream_tbEUlT_E_NS1_11comp_targetILNS1_3genE9ELNS1_11target_archE1100ELNS1_3gpuE3ELNS1_3repE0EEENS1_52radix_sort_onesweep_histogram_config_static_selectorELNS0_4arch9wavefront6targetE0EEEvSD_.num_named_barrier, 0
	.set _ZN7rocprim17ROCPRIM_400000_NS6detail17trampoline_kernelINS0_14default_configENS1_35radix_sort_onesweep_config_selectorIdNS0_10empty_typeEEEZNS1_34radix_sort_onesweep_global_offsetsIS3_Lb1EPKdPS5_mNS0_19identity_decomposerEEE10hipError_tT1_T2_PT3_SF_jT4_jjP12ihipStream_tbEUlT_E_NS1_11comp_targetILNS1_3genE9ELNS1_11target_archE1100ELNS1_3gpuE3ELNS1_3repE0EEENS1_52radix_sort_onesweep_histogram_config_static_selectorELNS0_4arch9wavefront6targetE0EEEvSD_.private_seg_size, 0
	.set _ZN7rocprim17ROCPRIM_400000_NS6detail17trampoline_kernelINS0_14default_configENS1_35radix_sort_onesweep_config_selectorIdNS0_10empty_typeEEEZNS1_34radix_sort_onesweep_global_offsetsIS3_Lb1EPKdPS5_mNS0_19identity_decomposerEEE10hipError_tT1_T2_PT3_SF_jT4_jjP12ihipStream_tbEUlT_E_NS1_11comp_targetILNS1_3genE9ELNS1_11target_archE1100ELNS1_3gpuE3ELNS1_3repE0EEENS1_52radix_sort_onesweep_histogram_config_static_selectorELNS0_4arch9wavefront6targetE0EEEvSD_.uses_vcc, 0
	.set _ZN7rocprim17ROCPRIM_400000_NS6detail17trampoline_kernelINS0_14default_configENS1_35radix_sort_onesweep_config_selectorIdNS0_10empty_typeEEEZNS1_34radix_sort_onesweep_global_offsetsIS3_Lb1EPKdPS5_mNS0_19identity_decomposerEEE10hipError_tT1_T2_PT3_SF_jT4_jjP12ihipStream_tbEUlT_E_NS1_11comp_targetILNS1_3genE9ELNS1_11target_archE1100ELNS1_3gpuE3ELNS1_3repE0EEENS1_52radix_sort_onesweep_histogram_config_static_selectorELNS0_4arch9wavefront6targetE0EEEvSD_.uses_flat_scratch, 0
	.set _ZN7rocprim17ROCPRIM_400000_NS6detail17trampoline_kernelINS0_14default_configENS1_35radix_sort_onesweep_config_selectorIdNS0_10empty_typeEEEZNS1_34radix_sort_onesweep_global_offsetsIS3_Lb1EPKdPS5_mNS0_19identity_decomposerEEE10hipError_tT1_T2_PT3_SF_jT4_jjP12ihipStream_tbEUlT_E_NS1_11comp_targetILNS1_3genE9ELNS1_11target_archE1100ELNS1_3gpuE3ELNS1_3repE0EEENS1_52radix_sort_onesweep_histogram_config_static_selectorELNS0_4arch9wavefront6targetE0EEEvSD_.has_dyn_sized_stack, 0
	.set _ZN7rocprim17ROCPRIM_400000_NS6detail17trampoline_kernelINS0_14default_configENS1_35radix_sort_onesweep_config_selectorIdNS0_10empty_typeEEEZNS1_34radix_sort_onesweep_global_offsetsIS3_Lb1EPKdPS5_mNS0_19identity_decomposerEEE10hipError_tT1_T2_PT3_SF_jT4_jjP12ihipStream_tbEUlT_E_NS1_11comp_targetILNS1_3genE9ELNS1_11target_archE1100ELNS1_3gpuE3ELNS1_3repE0EEENS1_52radix_sort_onesweep_histogram_config_static_selectorELNS0_4arch9wavefront6targetE0EEEvSD_.has_recursion, 0
	.set _ZN7rocprim17ROCPRIM_400000_NS6detail17trampoline_kernelINS0_14default_configENS1_35radix_sort_onesweep_config_selectorIdNS0_10empty_typeEEEZNS1_34radix_sort_onesweep_global_offsetsIS3_Lb1EPKdPS5_mNS0_19identity_decomposerEEE10hipError_tT1_T2_PT3_SF_jT4_jjP12ihipStream_tbEUlT_E_NS1_11comp_targetILNS1_3genE9ELNS1_11target_archE1100ELNS1_3gpuE3ELNS1_3repE0EEENS1_52radix_sort_onesweep_histogram_config_static_selectorELNS0_4arch9wavefront6targetE0EEEvSD_.has_indirect_call, 0
	.section	.AMDGPU.csdata,"",@progbits
; Kernel info:
; codeLenInByte = 0
; TotalNumSgprs: 0
; NumVgprs: 0
; ScratchSize: 0
; MemoryBound: 0
; FloatMode: 240
; IeeeMode: 1
; LDSByteSize: 0 bytes/workgroup (compile time only)
; SGPRBlocks: 0
; VGPRBlocks: 0
; NumSGPRsForWavesPerEU: 1
; NumVGPRsForWavesPerEU: 1
; NamedBarCnt: 0
; Occupancy: 16
; WaveLimiterHint : 0
; COMPUTE_PGM_RSRC2:SCRATCH_EN: 0
; COMPUTE_PGM_RSRC2:USER_SGPR: 2
; COMPUTE_PGM_RSRC2:TRAP_HANDLER: 0
; COMPUTE_PGM_RSRC2:TGID_X_EN: 1
; COMPUTE_PGM_RSRC2:TGID_Y_EN: 0
; COMPUTE_PGM_RSRC2:TGID_Z_EN: 0
; COMPUTE_PGM_RSRC2:TIDIG_COMP_CNT: 0
	.section	.text._ZN7rocprim17ROCPRIM_400000_NS6detail17trampoline_kernelINS0_14default_configENS1_35radix_sort_onesweep_config_selectorIdNS0_10empty_typeEEEZNS1_34radix_sort_onesweep_global_offsetsIS3_Lb1EPKdPS5_mNS0_19identity_decomposerEEE10hipError_tT1_T2_PT3_SF_jT4_jjP12ihipStream_tbEUlT_E_NS1_11comp_targetILNS1_3genE8ELNS1_11target_archE1030ELNS1_3gpuE2ELNS1_3repE0EEENS1_52radix_sort_onesweep_histogram_config_static_selectorELNS0_4arch9wavefront6targetE0EEEvSD_,"axG",@progbits,_ZN7rocprim17ROCPRIM_400000_NS6detail17trampoline_kernelINS0_14default_configENS1_35radix_sort_onesweep_config_selectorIdNS0_10empty_typeEEEZNS1_34radix_sort_onesweep_global_offsetsIS3_Lb1EPKdPS5_mNS0_19identity_decomposerEEE10hipError_tT1_T2_PT3_SF_jT4_jjP12ihipStream_tbEUlT_E_NS1_11comp_targetILNS1_3genE8ELNS1_11target_archE1030ELNS1_3gpuE2ELNS1_3repE0EEENS1_52radix_sort_onesweep_histogram_config_static_selectorELNS0_4arch9wavefront6targetE0EEEvSD_,comdat
	.protected	_ZN7rocprim17ROCPRIM_400000_NS6detail17trampoline_kernelINS0_14default_configENS1_35radix_sort_onesweep_config_selectorIdNS0_10empty_typeEEEZNS1_34radix_sort_onesweep_global_offsetsIS3_Lb1EPKdPS5_mNS0_19identity_decomposerEEE10hipError_tT1_T2_PT3_SF_jT4_jjP12ihipStream_tbEUlT_E_NS1_11comp_targetILNS1_3genE8ELNS1_11target_archE1030ELNS1_3gpuE2ELNS1_3repE0EEENS1_52radix_sort_onesweep_histogram_config_static_selectorELNS0_4arch9wavefront6targetE0EEEvSD_ ; -- Begin function _ZN7rocprim17ROCPRIM_400000_NS6detail17trampoline_kernelINS0_14default_configENS1_35radix_sort_onesweep_config_selectorIdNS0_10empty_typeEEEZNS1_34radix_sort_onesweep_global_offsetsIS3_Lb1EPKdPS5_mNS0_19identity_decomposerEEE10hipError_tT1_T2_PT3_SF_jT4_jjP12ihipStream_tbEUlT_E_NS1_11comp_targetILNS1_3genE8ELNS1_11target_archE1030ELNS1_3gpuE2ELNS1_3repE0EEENS1_52radix_sort_onesweep_histogram_config_static_selectorELNS0_4arch9wavefront6targetE0EEEvSD_
	.globl	_ZN7rocprim17ROCPRIM_400000_NS6detail17trampoline_kernelINS0_14default_configENS1_35radix_sort_onesweep_config_selectorIdNS0_10empty_typeEEEZNS1_34radix_sort_onesweep_global_offsetsIS3_Lb1EPKdPS5_mNS0_19identity_decomposerEEE10hipError_tT1_T2_PT3_SF_jT4_jjP12ihipStream_tbEUlT_E_NS1_11comp_targetILNS1_3genE8ELNS1_11target_archE1030ELNS1_3gpuE2ELNS1_3repE0EEENS1_52radix_sort_onesweep_histogram_config_static_selectorELNS0_4arch9wavefront6targetE0EEEvSD_
	.p2align	8
	.type	_ZN7rocprim17ROCPRIM_400000_NS6detail17trampoline_kernelINS0_14default_configENS1_35radix_sort_onesweep_config_selectorIdNS0_10empty_typeEEEZNS1_34radix_sort_onesweep_global_offsetsIS3_Lb1EPKdPS5_mNS0_19identity_decomposerEEE10hipError_tT1_T2_PT3_SF_jT4_jjP12ihipStream_tbEUlT_E_NS1_11comp_targetILNS1_3genE8ELNS1_11target_archE1030ELNS1_3gpuE2ELNS1_3repE0EEENS1_52radix_sort_onesweep_histogram_config_static_selectorELNS0_4arch9wavefront6targetE0EEEvSD_,@function
_ZN7rocprim17ROCPRIM_400000_NS6detail17trampoline_kernelINS0_14default_configENS1_35radix_sort_onesweep_config_selectorIdNS0_10empty_typeEEEZNS1_34radix_sort_onesweep_global_offsetsIS3_Lb1EPKdPS5_mNS0_19identity_decomposerEEE10hipError_tT1_T2_PT3_SF_jT4_jjP12ihipStream_tbEUlT_E_NS1_11comp_targetILNS1_3genE8ELNS1_11target_archE1030ELNS1_3gpuE2ELNS1_3repE0EEENS1_52radix_sort_onesweep_histogram_config_static_selectorELNS0_4arch9wavefront6targetE0EEEvSD_: ; @_ZN7rocprim17ROCPRIM_400000_NS6detail17trampoline_kernelINS0_14default_configENS1_35radix_sort_onesweep_config_selectorIdNS0_10empty_typeEEEZNS1_34radix_sort_onesweep_global_offsetsIS3_Lb1EPKdPS5_mNS0_19identity_decomposerEEE10hipError_tT1_T2_PT3_SF_jT4_jjP12ihipStream_tbEUlT_E_NS1_11comp_targetILNS1_3genE8ELNS1_11target_archE1030ELNS1_3gpuE2ELNS1_3repE0EEENS1_52radix_sort_onesweep_histogram_config_static_selectorELNS0_4arch9wavefront6targetE0EEEvSD_
; %bb.0:
	.section	.rodata,"a",@progbits
	.p2align	6, 0x0
	.amdhsa_kernel _ZN7rocprim17ROCPRIM_400000_NS6detail17trampoline_kernelINS0_14default_configENS1_35radix_sort_onesweep_config_selectorIdNS0_10empty_typeEEEZNS1_34radix_sort_onesweep_global_offsetsIS3_Lb1EPKdPS5_mNS0_19identity_decomposerEEE10hipError_tT1_T2_PT3_SF_jT4_jjP12ihipStream_tbEUlT_E_NS1_11comp_targetILNS1_3genE8ELNS1_11target_archE1030ELNS1_3gpuE2ELNS1_3repE0EEENS1_52radix_sort_onesweep_histogram_config_static_selectorELNS0_4arch9wavefront6targetE0EEEvSD_
		.amdhsa_group_segment_fixed_size 0
		.amdhsa_private_segment_fixed_size 0
		.amdhsa_kernarg_size 48
		.amdhsa_user_sgpr_count 2
		.amdhsa_user_sgpr_dispatch_ptr 0
		.amdhsa_user_sgpr_queue_ptr 0
		.amdhsa_user_sgpr_kernarg_segment_ptr 1
		.amdhsa_user_sgpr_dispatch_id 0
		.amdhsa_user_sgpr_kernarg_preload_length 0
		.amdhsa_user_sgpr_kernarg_preload_offset 0
		.amdhsa_user_sgpr_private_segment_size 0
		.amdhsa_wavefront_size32 1
		.amdhsa_uses_dynamic_stack 0
		.amdhsa_enable_private_segment 0
		.amdhsa_system_sgpr_workgroup_id_x 1
		.amdhsa_system_sgpr_workgroup_id_y 0
		.amdhsa_system_sgpr_workgroup_id_z 0
		.amdhsa_system_sgpr_workgroup_info 0
		.amdhsa_system_vgpr_workitem_id 0
		.amdhsa_next_free_vgpr 1
		.amdhsa_next_free_sgpr 1
		.amdhsa_named_barrier_count 0
		.amdhsa_reserve_vcc 0
		.amdhsa_float_round_mode_32 0
		.amdhsa_float_round_mode_16_64 0
		.amdhsa_float_denorm_mode_32 3
		.amdhsa_float_denorm_mode_16_64 3
		.amdhsa_fp16_overflow 0
		.amdhsa_memory_ordered 1
		.amdhsa_forward_progress 1
		.amdhsa_inst_pref_size 0
		.amdhsa_round_robin_scheduling 0
		.amdhsa_exception_fp_ieee_invalid_op 0
		.amdhsa_exception_fp_denorm_src 0
		.amdhsa_exception_fp_ieee_div_zero 0
		.amdhsa_exception_fp_ieee_overflow 0
		.amdhsa_exception_fp_ieee_underflow 0
		.amdhsa_exception_fp_ieee_inexact 0
		.amdhsa_exception_int_div_zero 0
	.end_amdhsa_kernel
	.section	.text._ZN7rocprim17ROCPRIM_400000_NS6detail17trampoline_kernelINS0_14default_configENS1_35radix_sort_onesweep_config_selectorIdNS0_10empty_typeEEEZNS1_34radix_sort_onesweep_global_offsetsIS3_Lb1EPKdPS5_mNS0_19identity_decomposerEEE10hipError_tT1_T2_PT3_SF_jT4_jjP12ihipStream_tbEUlT_E_NS1_11comp_targetILNS1_3genE8ELNS1_11target_archE1030ELNS1_3gpuE2ELNS1_3repE0EEENS1_52radix_sort_onesweep_histogram_config_static_selectorELNS0_4arch9wavefront6targetE0EEEvSD_,"axG",@progbits,_ZN7rocprim17ROCPRIM_400000_NS6detail17trampoline_kernelINS0_14default_configENS1_35radix_sort_onesweep_config_selectorIdNS0_10empty_typeEEEZNS1_34radix_sort_onesweep_global_offsetsIS3_Lb1EPKdPS5_mNS0_19identity_decomposerEEE10hipError_tT1_T2_PT3_SF_jT4_jjP12ihipStream_tbEUlT_E_NS1_11comp_targetILNS1_3genE8ELNS1_11target_archE1030ELNS1_3gpuE2ELNS1_3repE0EEENS1_52radix_sort_onesweep_histogram_config_static_selectorELNS0_4arch9wavefront6targetE0EEEvSD_,comdat
.Lfunc_end1500:
	.size	_ZN7rocprim17ROCPRIM_400000_NS6detail17trampoline_kernelINS0_14default_configENS1_35radix_sort_onesweep_config_selectorIdNS0_10empty_typeEEEZNS1_34radix_sort_onesweep_global_offsetsIS3_Lb1EPKdPS5_mNS0_19identity_decomposerEEE10hipError_tT1_T2_PT3_SF_jT4_jjP12ihipStream_tbEUlT_E_NS1_11comp_targetILNS1_3genE8ELNS1_11target_archE1030ELNS1_3gpuE2ELNS1_3repE0EEENS1_52radix_sort_onesweep_histogram_config_static_selectorELNS0_4arch9wavefront6targetE0EEEvSD_, .Lfunc_end1500-_ZN7rocprim17ROCPRIM_400000_NS6detail17trampoline_kernelINS0_14default_configENS1_35radix_sort_onesweep_config_selectorIdNS0_10empty_typeEEEZNS1_34radix_sort_onesweep_global_offsetsIS3_Lb1EPKdPS5_mNS0_19identity_decomposerEEE10hipError_tT1_T2_PT3_SF_jT4_jjP12ihipStream_tbEUlT_E_NS1_11comp_targetILNS1_3genE8ELNS1_11target_archE1030ELNS1_3gpuE2ELNS1_3repE0EEENS1_52radix_sort_onesweep_histogram_config_static_selectorELNS0_4arch9wavefront6targetE0EEEvSD_
                                        ; -- End function
	.set _ZN7rocprim17ROCPRIM_400000_NS6detail17trampoline_kernelINS0_14default_configENS1_35radix_sort_onesweep_config_selectorIdNS0_10empty_typeEEEZNS1_34radix_sort_onesweep_global_offsetsIS3_Lb1EPKdPS5_mNS0_19identity_decomposerEEE10hipError_tT1_T2_PT3_SF_jT4_jjP12ihipStream_tbEUlT_E_NS1_11comp_targetILNS1_3genE8ELNS1_11target_archE1030ELNS1_3gpuE2ELNS1_3repE0EEENS1_52radix_sort_onesweep_histogram_config_static_selectorELNS0_4arch9wavefront6targetE0EEEvSD_.num_vgpr, 0
	.set _ZN7rocprim17ROCPRIM_400000_NS6detail17trampoline_kernelINS0_14default_configENS1_35radix_sort_onesweep_config_selectorIdNS0_10empty_typeEEEZNS1_34radix_sort_onesweep_global_offsetsIS3_Lb1EPKdPS5_mNS0_19identity_decomposerEEE10hipError_tT1_T2_PT3_SF_jT4_jjP12ihipStream_tbEUlT_E_NS1_11comp_targetILNS1_3genE8ELNS1_11target_archE1030ELNS1_3gpuE2ELNS1_3repE0EEENS1_52radix_sort_onesweep_histogram_config_static_selectorELNS0_4arch9wavefront6targetE0EEEvSD_.num_agpr, 0
	.set _ZN7rocprim17ROCPRIM_400000_NS6detail17trampoline_kernelINS0_14default_configENS1_35radix_sort_onesweep_config_selectorIdNS0_10empty_typeEEEZNS1_34radix_sort_onesweep_global_offsetsIS3_Lb1EPKdPS5_mNS0_19identity_decomposerEEE10hipError_tT1_T2_PT3_SF_jT4_jjP12ihipStream_tbEUlT_E_NS1_11comp_targetILNS1_3genE8ELNS1_11target_archE1030ELNS1_3gpuE2ELNS1_3repE0EEENS1_52radix_sort_onesweep_histogram_config_static_selectorELNS0_4arch9wavefront6targetE0EEEvSD_.numbered_sgpr, 0
	.set _ZN7rocprim17ROCPRIM_400000_NS6detail17trampoline_kernelINS0_14default_configENS1_35radix_sort_onesweep_config_selectorIdNS0_10empty_typeEEEZNS1_34radix_sort_onesweep_global_offsetsIS3_Lb1EPKdPS5_mNS0_19identity_decomposerEEE10hipError_tT1_T2_PT3_SF_jT4_jjP12ihipStream_tbEUlT_E_NS1_11comp_targetILNS1_3genE8ELNS1_11target_archE1030ELNS1_3gpuE2ELNS1_3repE0EEENS1_52radix_sort_onesweep_histogram_config_static_selectorELNS0_4arch9wavefront6targetE0EEEvSD_.num_named_barrier, 0
	.set _ZN7rocprim17ROCPRIM_400000_NS6detail17trampoline_kernelINS0_14default_configENS1_35radix_sort_onesweep_config_selectorIdNS0_10empty_typeEEEZNS1_34radix_sort_onesweep_global_offsetsIS3_Lb1EPKdPS5_mNS0_19identity_decomposerEEE10hipError_tT1_T2_PT3_SF_jT4_jjP12ihipStream_tbEUlT_E_NS1_11comp_targetILNS1_3genE8ELNS1_11target_archE1030ELNS1_3gpuE2ELNS1_3repE0EEENS1_52radix_sort_onesweep_histogram_config_static_selectorELNS0_4arch9wavefront6targetE0EEEvSD_.private_seg_size, 0
	.set _ZN7rocprim17ROCPRIM_400000_NS6detail17trampoline_kernelINS0_14default_configENS1_35radix_sort_onesweep_config_selectorIdNS0_10empty_typeEEEZNS1_34radix_sort_onesweep_global_offsetsIS3_Lb1EPKdPS5_mNS0_19identity_decomposerEEE10hipError_tT1_T2_PT3_SF_jT4_jjP12ihipStream_tbEUlT_E_NS1_11comp_targetILNS1_3genE8ELNS1_11target_archE1030ELNS1_3gpuE2ELNS1_3repE0EEENS1_52radix_sort_onesweep_histogram_config_static_selectorELNS0_4arch9wavefront6targetE0EEEvSD_.uses_vcc, 0
	.set _ZN7rocprim17ROCPRIM_400000_NS6detail17trampoline_kernelINS0_14default_configENS1_35radix_sort_onesweep_config_selectorIdNS0_10empty_typeEEEZNS1_34radix_sort_onesweep_global_offsetsIS3_Lb1EPKdPS5_mNS0_19identity_decomposerEEE10hipError_tT1_T2_PT3_SF_jT4_jjP12ihipStream_tbEUlT_E_NS1_11comp_targetILNS1_3genE8ELNS1_11target_archE1030ELNS1_3gpuE2ELNS1_3repE0EEENS1_52radix_sort_onesweep_histogram_config_static_selectorELNS0_4arch9wavefront6targetE0EEEvSD_.uses_flat_scratch, 0
	.set _ZN7rocprim17ROCPRIM_400000_NS6detail17trampoline_kernelINS0_14default_configENS1_35radix_sort_onesweep_config_selectorIdNS0_10empty_typeEEEZNS1_34radix_sort_onesweep_global_offsetsIS3_Lb1EPKdPS5_mNS0_19identity_decomposerEEE10hipError_tT1_T2_PT3_SF_jT4_jjP12ihipStream_tbEUlT_E_NS1_11comp_targetILNS1_3genE8ELNS1_11target_archE1030ELNS1_3gpuE2ELNS1_3repE0EEENS1_52radix_sort_onesweep_histogram_config_static_selectorELNS0_4arch9wavefront6targetE0EEEvSD_.has_dyn_sized_stack, 0
	.set _ZN7rocprim17ROCPRIM_400000_NS6detail17trampoline_kernelINS0_14default_configENS1_35radix_sort_onesweep_config_selectorIdNS0_10empty_typeEEEZNS1_34radix_sort_onesweep_global_offsetsIS3_Lb1EPKdPS5_mNS0_19identity_decomposerEEE10hipError_tT1_T2_PT3_SF_jT4_jjP12ihipStream_tbEUlT_E_NS1_11comp_targetILNS1_3genE8ELNS1_11target_archE1030ELNS1_3gpuE2ELNS1_3repE0EEENS1_52radix_sort_onesweep_histogram_config_static_selectorELNS0_4arch9wavefront6targetE0EEEvSD_.has_recursion, 0
	.set _ZN7rocprim17ROCPRIM_400000_NS6detail17trampoline_kernelINS0_14default_configENS1_35radix_sort_onesweep_config_selectorIdNS0_10empty_typeEEEZNS1_34radix_sort_onesweep_global_offsetsIS3_Lb1EPKdPS5_mNS0_19identity_decomposerEEE10hipError_tT1_T2_PT3_SF_jT4_jjP12ihipStream_tbEUlT_E_NS1_11comp_targetILNS1_3genE8ELNS1_11target_archE1030ELNS1_3gpuE2ELNS1_3repE0EEENS1_52radix_sort_onesweep_histogram_config_static_selectorELNS0_4arch9wavefront6targetE0EEEvSD_.has_indirect_call, 0
	.section	.AMDGPU.csdata,"",@progbits
; Kernel info:
; codeLenInByte = 0
; TotalNumSgprs: 0
; NumVgprs: 0
; ScratchSize: 0
; MemoryBound: 0
; FloatMode: 240
; IeeeMode: 1
; LDSByteSize: 0 bytes/workgroup (compile time only)
; SGPRBlocks: 0
; VGPRBlocks: 0
; NumSGPRsForWavesPerEU: 1
; NumVGPRsForWavesPerEU: 1
; NamedBarCnt: 0
; Occupancy: 16
; WaveLimiterHint : 0
; COMPUTE_PGM_RSRC2:SCRATCH_EN: 0
; COMPUTE_PGM_RSRC2:USER_SGPR: 2
; COMPUTE_PGM_RSRC2:TRAP_HANDLER: 0
; COMPUTE_PGM_RSRC2:TGID_X_EN: 1
; COMPUTE_PGM_RSRC2:TGID_Y_EN: 0
; COMPUTE_PGM_RSRC2:TGID_Z_EN: 0
; COMPUTE_PGM_RSRC2:TIDIG_COMP_CNT: 0
	.section	.text._ZN7rocprim17ROCPRIM_400000_NS6detail17trampoline_kernelINS0_14default_configENS1_35radix_sort_onesweep_config_selectorIdNS0_10empty_typeEEEZNS1_34radix_sort_onesweep_global_offsetsIS3_Lb1EPKdPS5_mNS0_19identity_decomposerEEE10hipError_tT1_T2_PT3_SF_jT4_jjP12ihipStream_tbEUlT_E0_NS1_11comp_targetILNS1_3genE0ELNS1_11target_archE4294967295ELNS1_3gpuE0ELNS1_3repE0EEENS1_52radix_sort_onesweep_histogram_config_static_selectorELNS0_4arch9wavefront6targetE0EEEvSD_,"axG",@progbits,_ZN7rocprim17ROCPRIM_400000_NS6detail17trampoline_kernelINS0_14default_configENS1_35radix_sort_onesweep_config_selectorIdNS0_10empty_typeEEEZNS1_34radix_sort_onesweep_global_offsetsIS3_Lb1EPKdPS5_mNS0_19identity_decomposerEEE10hipError_tT1_T2_PT3_SF_jT4_jjP12ihipStream_tbEUlT_E0_NS1_11comp_targetILNS1_3genE0ELNS1_11target_archE4294967295ELNS1_3gpuE0ELNS1_3repE0EEENS1_52radix_sort_onesweep_histogram_config_static_selectorELNS0_4arch9wavefront6targetE0EEEvSD_,comdat
	.protected	_ZN7rocprim17ROCPRIM_400000_NS6detail17trampoline_kernelINS0_14default_configENS1_35radix_sort_onesweep_config_selectorIdNS0_10empty_typeEEEZNS1_34radix_sort_onesweep_global_offsetsIS3_Lb1EPKdPS5_mNS0_19identity_decomposerEEE10hipError_tT1_T2_PT3_SF_jT4_jjP12ihipStream_tbEUlT_E0_NS1_11comp_targetILNS1_3genE0ELNS1_11target_archE4294967295ELNS1_3gpuE0ELNS1_3repE0EEENS1_52radix_sort_onesweep_histogram_config_static_selectorELNS0_4arch9wavefront6targetE0EEEvSD_ ; -- Begin function _ZN7rocprim17ROCPRIM_400000_NS6detail17trampoline_kernelINS0_14default_configENS1_35radix_sort_onesweep_config_selectorIdNS0_10empty_typeEEEZNS1_34radix_sort_onesweep_global_offsetsIS3_Lb1EPKdPS5_mNS0_19identity_decomposerEEE10hipError_tT1_T2_PT3_SF_jT4_jjP12ihipStream_tbEUlT_E0_NS1_11comp_targetILNS1_3genE0ELNS1_11target_archE4294967295ELNS1_3gpuE0ELNS1_3repE0EEENS1_52radix_sort_onesweep_histogram_config_static_selectorELNS0_4arch9wavefront6targetE0EEEvSD_
	.globl	_ZN7rocprim17ROCPRIM_400000_NS6detail17trampoline_kernelINS0_14default_configENS1_35radix_sort_onesweep_config_selectorIdNS0_10empty_typeEEEZNS1_34radix_sort_onesweep_global_offsetsIS3_Lb1EPKdPS5_mNS0_19identity_decomposerEEE10hipError_tT1_T2_PT3_SF_jT4_jjP12ihipStream_tbEUlT_E0_NS1_11comp_targetILNS1_3genE0ELNS1_11target_archE4294967295ELNS1_3gpuE0ELNS1_3repE0EEENS1_52radix_sort_onesweep_histogram_config_static_selectorELNS0_4arch9wavefront6targetE0EEEvSD_
	.p2align	8
	.type	_ZN7rocprim17ROCPRIM_400000_NS6detail17trampoline_kernelINS0_14default_configENS1_35radix_sort_onesweep_config_selectorIdNS0_10empty_typeEEEZNS1_34radix_sort_onesweep_global_offsetsIS3_Lb1EPKdPS5_mNS0_19identity_decomposerEEE10hipError_tT1_T2_PT3_SF_jT4_jjP12ihipStream_tbEUlT_E0_NS1_11comp_targetILNS1_3genE0ELNS1_11target_archE4294967295ELNS1_3gpuE0ELNS1_3repE0EEENS1_52radix_sort_onesweep_histogram_config_static_selectorELNS0_4arch9wavefront6targetE0EEEvSD_,@function
_ZN7rocprim17ROCPRIM_400000_NS6detail17trampoline_kernelINS0_14default_configENS1_35radix_sort_onesweep_config_selectorIdNS0_10empty_typeEEEZNS1_34radix_sort_onesweep_global_offsetsIS3_Lb1EPKdPS5_mNS0_19identity_decomposerEEE10hipError_tT1_T2_PT3_SF_jT4_jjP12ihipStream_tbEUlT_E0_NS1_11comp_targetILNS1_3genE0ELNS1_11target_archE4294967295ELNS1_3gpuE0ELNS1_3repE0EEENS1_52radix_sort_onesweep_histogram_config_static_selectorELNS0_4arch9wavefront6targetE0EEEvSD_: ; @_ZN7rocprim17ROCPRIM_400000_NS6detail17trampoline_kernelINS0_14default_configENS1_35radix_sort_onesweep_config_selectorIdNS0_10empty_typeEEEZNS1_34radix_sort_onesweep_global_offsetsIS3_Lb1EPKdPS5_mNS0_19identity_decomposerEEE10hipError_tT1_T2_PT3_SF_jT4_jjP12ihipStream_tbEUlT_E0_NS1_11comp_targetILNS1_3genE0ELNS1_11target_archE4294967295ELNS1_3gpuE0ELNS1_3repE0EEENS1_52radix_sort_onesweep_histogram_config_static_selectorELNS0_4arch9wavefront6targetE0EEEvSD_
; %bb.0:
	s_load_b64 s[0:1], s[0:1], 0x0
	s_bfe_u32 s2, ttmp6, 0x4000c
	s_and_b32 s3, ttmp6, 15
	s_add_co_i32 s2, s2, 1
	s_getreg_b32 s4, hwreg(HW_REG_IB_STS2, 6, 4)
	s_mul_i32 s2, ttmp9, s2
	v_cmp_gt_u32_e32 vcc_lo, 0x100, v0
	s_add_co_i32 s3, s3, s2
	s_cmp_eq_u32 s4, 0
                                        ; implicit-def: $vgpr2_vgpr3
	s_cselect_b32 s2, ttmp9, s3
	s_mov_b32 s3, 0
	s_lshl_b32 s2, s2, 8
	s_delay_alu instid0(SALU_CYCLE_1)
	s_lshl_b64 s[2:3], s[2:3], 3
	s_wait_kmcnt 0x0
	s_add_nc_u64 s[6:7], s[0:1], s[2:3]
	s_and_saveexec_b32 s0, vcc_lo
	s_cbranch_execz .LBB1501_2
; %bb.1:
	global_load_b64 v[2:3], v0, s[6:7] scale_offset
.LBB1501_2:
	s_wait_xcnt 0x0
	s_or_b32 exec_lo, exec_lo, s0
	v_mbcnt_lo_u32_b32 v1, -1, 0
	s_wait_loadcnt 0x0
	v_mov_b32_dpp v6, v2 row_shr:1 row_mask:0xf bank_mask:0xf
	v_mov_b32_dpp v9, v3 row_shr:1 row_mask:0xf bank_mask:0xf
	s_delay_alu instid0(VALU_DEP_3) | instskip(NEXT) | instid1(VALU_DEP_1)
	v_dual_mov_b32 v4, v2 :: v_dual_bitop2_b32 v10, 15, v1 bitop3:0x40
	v_cmp_ne_u32_e64 s0, 0, v10
	s_and_saveexec_b32 s1, s0
; %bb.3:
	v_mov_b32_e32 v8, 0
	s_delay_alu instid0(VALU_DEP_1) | instskip(NEXT) | instid1(VALU_DEP_1)
	v_mov_b32_e32 v7, v8
	v_add_nc_u64_e32 v[4:5], v[2:3], v[6:7]
	s_delay_alu instid0(VALU_DEP_1)
	v_add_nc_u64_e32 v[2:3], v[8:9], v[4:5]
; %bb.4:
	s_or_b32 exec_lo, exec_lo, s1
	v_mov_b32_dpp v6, v4 row_shr:2 row_mask:0xf bank_mask:0xf
	s_delay_alu instid0(VALU_DEP_2)
	v_mov_b32_dpp v9, v3 row_shr:2 row_mask:0xf bank_mask:0xf
	v_cmp_lt_u32_e64 s1, 1, v10
	s_and_saveexec_b32 s2, s1
; %bb.5:
	v_mov_b32_e32 v8, 0
	s_delay_alu instid0(VALU_DEP_1) | instskip(NEXT) | instid1(VALU_DEP_1)
	v_mov_b32_e32 v7, v8
	v_add_nc_u64_e32 v[4:5], v[2:3], v[6:7]
	s_delay_alu instid0(VALU_DEP_1)
	v_add_nc_u64_e32 v[2:3], v[8:9], v[4:5]
; %bb.6:
	s_or_b32 exec_lo, exec_lo, s2
	v_mov_b32_dpp v6, v4 row_shr:4 row_mask:0xf bank_mask:0xf
	s_delay_alu instid0(VALU_DEP_2)
	v_mov_b32_dpp v9, v3 row_shr:4 row_mask:0xf bank_mask:0xf
	v_cmp_lt_u32_e64 s2, 3, v10
	;; [unrolled: 14-line block ×3, first 2 shown]
	s_and_saveexec_b32 s4, s3
; %bb.9:
	v_mov_b32_e32 v8, 0
	s_delay_alu instid0(VALU_DEP_1) | instskip(NEXT) | instid1(VALU_DEP_1)
	v_mov_b32_e32 v7, v8
	v_add_nc_u64_e32 v[4:5], v[2:3], v[6:7]
	s_delay_alu instid0(VALU_DEP_1)
	v_add_nc_u64_e32 v[2:3], v[8:9], v[4:5]
; %bb.10:
	s_or_b32 exec_lo, exec_lo, s4
	ds_swizzle_b32 v4, v4 offset:swizzle(BROADCAST,32,15)
	ds_swizzle_b32 v7, v3 offset:swizzle(BROADCAST,32,15)
	v_and_b32_e32 v5, 16, v1
	s_mov_b32 s5, exec_lo
	s_delay_alu instid0(VALU_DEP_1)
	v_cmpx_ne_u32_e32 0, v5
	s_cbranch_execz .LBB1501_12
; %bb.11:
	v_mov_b32_e32 v6, 0
	s_delay_alu instid0(VALU_DEP_1) | instskip(SKIP_1) | instid1(VALU_DEP_1)
	v_mov_b32_e32 v5, v6
	s_wait_dscnt 0x1
	v_add_nc_u64_e32 v[2:3], v[2:3], v[4:5]
	s_wait_dscnt 0x0
	s_delay_alu instid0(VALU_DEP_1)
	v_add_nc_u64_e32 v[2:3], v[2:3], v[6:7]
.LBB1501_12:
	s_or_b32 exec_lo, exec_lo, s5
	s_wait_dscnt 0x1
	v_dual_lshrrev_b32 v12, 5, v0 :: v_dual_bitop2_b32 v4, 31, v0 bitop3:0x54
	s_mov_b32 s5, exec_lo
	s_delay_alu instid0(VALU_DEP_1)
	v_cmpx_eq_u32_e64 v0, v4
; %bb.13:
	s_delay_alu instid0(VALU_DEP_2)
	v_lshlrev_b32_e32 v4, 3, v12
	ds_store_b64 v4, v[2:3]
; %bb.14:
	s_or_b32 exec_lo, exec_lo, s5
	s_delay_alu instid0(SALU_CYCLE_1)
	s_mov_b32 s5, exec_lo
	s_wait_dscnt 0x0
	s_barrier_signal -1
	s_barrier_wait -1
	v_cmpx_gt_u32_e32 16, v0
	s_cbranch_execz .LBB1501_24
; %bb.15:
	v_lshlrev_b32_e32 v13, 3, v0
	ds_load_b64 v[4:5], v13
	s_wait_dscnt 0x0
	v_mov_b32_dpp v8, v4 row_shr:1 row_mask:0xf bank_mask:0xf
	v_mov_b32_dpp v11, v5 row_shr:1 row_mask:0xf bank_mask:0xf
	v_mov_b32_e32 v6, v4
	s_and_saveexec_b32 s4, s0
; %bb.16:
	v_mov_b32_e32 v10, 0
	s_delay_alu instid0(VALU_DEP_1) | instskip(NEXT) | instid1(VALU_DEP_1)
	v_mov_b32_e32 v9, v10
	v_add_nc_u64_e32 v[6:7], v[4:5], v[8:9]
	s_delay_alu instid0(VALU_DEP_1)
	v_add_nc_u64_e32 v[4:5], v[10:11], v[6:7]
; %bb.17:
	s_or_b32 exec_lo, exec_lo, s4
	v_mov_b32_dpp v8, v6 row_shr:2 row_mask:0xf bank_mask:0xf
	s_delay_alu instid0(VALU_DEP_2)
	v_mov_b32_dpp v11, v5 row_shr:2 row_mask:0xf bank_mask:0xf
	s_and_saveexec_b32 s0, s1
; %bb.18:
	v_mov_b32_e32 v10, 0
	s_delay_alu instid0(VALU_DEP_1) | instskip(NEXT) | instid1(VALU_DEP_1)
	v_mov_b32_e32 v9, v10
	v_add_nc_u64_e32 v[6:7], v[4:5], v[8:9]
	s_delay_alu instid0(VALU_DEP_1)
	v_add_nc_u64_e32 v[4:5], v[10:11], v[6:7]
; %bb.19:
	s_or_b32 exec_lo, exec_lo, s0
	v_mov_b32_dpp v8, v6 row_shr:4 row_mask:0xf bank_mask:0xf
	s_delay_alu instid0(VALU_DEP_2)
	v_mov_b32_dpp v11, v5 row_shr:4 row_mask:0xf bank_mask:0xf
	;; [unrolled: 13-line block ×3, first 2 shown]
	s_and_saveexec_b32 s0, s3
; %bb.22:
	v_mov_b32_e32 v8, 0
	s_delay_alu instid0(VALU_DEP_1) | instskip(NEXT) | instid1(VALU_DEP_1)
	v_mov_b32_e32 v7, v8
	v_add_nc_u64_e32 v[4:5], v[4:5], v[6:7]
	s_delay_alu instid0(VALU_DEP_1)
	v_add_nc_u64_e32 v[4:5], v[4:5], v[8:9]
; %bb.23:
	s_or_b32 exec_lo, exec_lo, s0
	ds_store_b64 v13, v[4:5]
.LBB1501_24:
	s_or_b32 exec_lo, exec_lo, s5
	v_mov_b64_e32 v[4:5], 0
	s_mov_b32 s1, exec_lo
	s_wait_dscnt 0x0
	s_barrier_signal -1
	s_barrier_wait -1
	v_cmpx_lt_u32_e32 31, v0
; %bb.25:
	v_lshl_add_u32 v4, v12, 3, -8
	ds_load_b64 v[4:5], v4
; %bb.26:
	s_or_b32 exec_lo, exec_lo, s1
	v_add_nc_u32_e32 v6, -1, v1
	s_wait_dscnt 0x0
	v_add_nc_u64_e32 v[2:3], v[4:5], v[2:3]
	s_delay_alu instid0(VALU_DEP_2) | instskip(NEXT) | instid1(VALU_DEP_1)
	v_cmp_gt_i32_e64 s0, 0, v6
	v_cndmask_b32_e64 v6, v6, v1, s0
	s_delay_alu instid0(VALU_DEP_1)
	v_lshlrev_b32_e32 v6, 2, v6
	ds_bpermute_b32 v2, v6, v2
	ds_bpermute_b32 v3, v6, v3
	s_and_saveexec_b32 s0, vcc_lo
	s_cbranch_execz .LBB1501_28
; %bb.27:
	v_cmp_eq_u32_e32 vcc_lo, 0, v1
	s_wait_dscnt 0x0
	v_dual_cndmask_b32 v3, v3, v5 :: v_dual_cndmask_b32 v2, v2, v4
	global_store_b64 v0, v[2:3], s[6:7] scale_offset
.LBB1501_28:
	s_endpgm
	.section	.rodata,"a",@progbits
	.p2align	6, 0x0
	.amdhsa_kernel _ZN7rocprim17ROCPRIM_400000_NS6detail17trampoline_kernelINS0_14default_configENS1_35radix_sort_onesweep_config_selectorIdNS0_10empty_typeEEEZNS1_34radix_sort_onesweep_global_offsetsIS3_Lb1EPKdPS5_mNS0_19identity_decomposerEEE10hipError_tT1_T2_PT3_SF_jT4_jjP12ihipStream_tbEUlT_E0_NS1_11comp_targetILNS1_3genE0ELNS1_11target_archE4294967295ELNS1_3gpuE0ELNS1_3repE0EEENS1_52radix_sort_onesweep_histogram_config_static_selectorELNS0_4arch9wavefront6targetE0EEEvSD_
		.amdhsa_group_segment_fixed_size 128
		.amdhsa_private_segment_fixed_size 0
		.amdhsa_kernarg_size 8
		.amdhsa_user_sgpr_count 2
		.amdhsa_user_sgpr_dispatch_ptr 0
		.amdhsa_user_sgpr_queue_ptr 0
		.amdhsa_user_sgpr_kernarg_segment_ptr 1
		.amdhsa_user_sgpr_dispatch_id 0
		.amdhsa_user_sgpr_kernarg_preload_length 0
		.amdhsa_user_sgpr_kernarg_preload_offset 0
		.amdhsa_user_sgpr_private_segment_size 0
		.amdhsa_wavefront_size32 1
		.amdhsa_uses_dynamic_stack 0
		.amdhsa_enable_private_segment 0
		.amdhsa_system_sgpr_workgroup_id_x 1
		.amdhsa_system_sgpr_workgroup_id_y 0
		.amdhsa_system_sgpr_workgroup_id_z 0
		.amdhsa_system_sgpr_workgroup_info 0
		.amdhsa_system_vgpr_workitem_id 0
		.amdhsa_next_free_vgpr 14
		.amdhsa_next_free_sgpr 8
		.amdhsa_named_barrier_count 0
		.amdhsa_reserve_vcc 1
		.amdhsa_float_round_mode_32 0
		.amdhsa_float_round_mode_16_64 0
		.amdhsa_float_denorm_mode_32 3
		.amdhsa_float_denorm_mode_16_64 3
		.amdhsa_fp16_overflow 0
		.amdhsa_memory_ordered 1
		.amdhsa_forward_progress 1
		.amdhsa_inst_pref_size 7
		.amdhsa_round_robin_scheduling 0
		.amdhsa_exception_fp_ieee_invalid_op 0
		.amdhsa_exception_fp_denorm_src 0
		.amdhsa_exception_fp_ieee_div_zero 0
		.amdhsa_exception_fp_ieee_overflow 0
		.amdhsa_exception_fp_ieee_underflow 0
		.amdhsa_exception_fp_ieee_inexact 0
		.amdhsa_exception_int_div_zero 0
	.end_amdhsa_kernel
	.section	.text._ZN7rocprim17ROCPRIM_400000_NS6detail17trampoline_kernelINS0_14default_configENS1_35radix_sort_onesweep_config_selectorIdNS0_10empty_typeEEEZNS1_34radix_sort_onesweep_global_offsetsIS3_Lb1EPKdPS5_mNS0_19identity_decomposerEEE10hipError_tT1_T2_PT3_SF_jT4_jjP12ihipStream_tbEUlT_E0_NS1_11comp_targetILNS1_3genE0ELNS1_11target_archE4294967295ELNS1_3gpuE0ELNS1_3repE0EEENS1_52radix_sort_onesweep_histogram_config_static_selectorELNS0_4arch9wavefront6targetE0EEEvSD_,"axG",@progbits,_ZN7rocprim17ROCPRIM_400000_NS6detail17trampoline_kernelINS0_14default_configENS1_35radix_sort_onesweep_config_selectorIdNS0_10empty_typeEEEZNS1_34radix_sort_onesweep_global_offsetsIS3_Lb1EPKdPS5_mNS0_19identity_decomposerEEE10hipError_tT1_T2_PT3_SF_jT4_jjP12ihipStream_tbEUlT_E0_NS1_11comp_targetILNS1_3genE0ELNS1_11target_archE4294967295ELNS1_3gpuE0ELNS1_3repE0EEENS1_52radix_sort_onesweep_histogram_config_static_selectorELNS0_4arch9wavefront6targetE0EEEvSD_,comdat
.Lfunc_end1501:
	.size	_ZN7rocprim17ROCPRIM_400000_NS6detail17trampoline_kernelINS0_14default_configENS1_35radix_sort_onesweep_config_selectorIdNS0_10empty_typeEEEZNS1_34radix_sort_onesweep_global_offsetsIS3_Lb1EPKdPS5_mNS0_19identity_decomposerEEE10hipError_tT1_T2_PT3_SF_jT4_jjP12ihipStream_tbEUlT_E0_NS1_11comp_targetILNS1_3genE0ELNS1_11target_archE4294967295ELNS1_3gpuE0ELNS1_3repE0EEENS1_52radix_sort_onesweep_histogram_config_static_selectorELNS0_4arch9wavefront6targetE0EEEvSD_, .Lfunc_end1501-_ZN7rocprim17ROCPRIM_400000_NS6detail17trampoline_kernelINS0_14default_configENS1_35radix_sort_onesweep_config_selectorIdNS0_10empty_typeEEEZNS1_34radix_sort_onesweep_global_offsetsIS3_Lb1EPKdPS5_mNS0_19identity_decomposerEEE10hipError_tT1_T2_PT3_SF_jT4_jjP12ihipStream_tbEUlT_E0_NS1_11comp_targetILNS1_3genE0ELNS1_11target_archE4294967295ELNS1_3gpuE0ELNS1_3repE0EEENS1_52radix_sort_onesweep_histogram_config_static_selectorELNS0_4arch9wavefront6targetE0EEEvSD_
                                        ; -- End function
	.set _ZN7rocprim17ROCPRIM_400000_NS6detail17trampoline_kernelINS0_14default_configENS1_35radix_sort_onesweep_config_selectorIdNS0_10empty_typeEEEZNS1_34radix_sort_onesweep_global_offsetsIS3_Lb1EPKdPS5_mNS0_19identity_decomposerEEE10hipError_tT1_T2_PT3_SF_jT4_jjP12ihipStream_tbEUlT_E0_NS1_11comp_targetILNS1_3genE0ELNS1_11target_archE4294967295ELNS1_3gpuE0ELNS1_3repE0EEENS1_52radix_sort_onesweep_histogram_config_static_selectorELNS0_4arch9wavefront6targetE0EEEvSD_.num_vgpr, 14
	.set _ZN7rocprim17ROCPRIM_400000_NS6detail17trampoline_kernelINS0_14default_configENS1_35radix_sort_onesweep_config_selectorIdNS0_10empty_typeEEEZNS1_34radix_sort_onesweep_global_offsetsIS3_Lb1EPKdPS5_mNS0_19identity_decomposerEEE10hipError_tT1_T2_PT3_SF_jT4_jjP12ihipStream_tbEUlT_E0_NS1_11comp_targetILNS1_3genE0ELNS1_11target_archE4294967295ELNS1_3gpuE0ELNS1_3repE0EEENS1_52radix_sort_onesweep_histogram_config_static_selectorELNS0_4arch9wavefront6targetE0EEEvSD_.num_agpr, 0
	.set _ZN7rocprim17ROCPRIM_400000_NS6detail17trampoline_kernelINS0_14default_configENS1_35radix_sort_onesweep_config_selectorIdNS0_10empty_typeEEEZNS1_34radix_sort_onesweep_global_offsetsIS3_Lb1EPKdPS5_mNS0_19identity_decomposerEEE10hipError_tT1_T2_PT3_SF_jT4_jjP12ihipStream_tbEUlT_E0_NS1_11comp_targetILNS1_3genE0ELNS1_11target_archE4294967295ELNS1_3gpuE0ELNS1_3repE0EEENS1_52radix_sort_onesweep_histogram_config_static_selectorELNS0_4arch9wavefront6targetE0EEEvSD_.numbered_sgpr, 8
	.set _ZN7rocprim17ROCPRIM_400000_NS6detail17trampoline_kernelINS0_14default_configENS1_35radix_sort_onesweep_config_selectorIdNS0_10empty_typeEEEZNS1_34radix_sort_onesweep_global_offsetsIS3_Lb1EPKdPS5_mNS0_19identity_decomposerEEE10hipError_tT1_T2_PT3_SF_jT4_jjP12ihipStream_tbEUlT_E0_NS1_11comp_targetILNS1_3genE0ELNS1_11target_archE4294967295ELNS1_3gpuE0ELNS1_3repE0EEENS1_52radix_sort_onesweep_histogram_config_static_selectorELNS0_4arch9wavefront6targetE0EEEvSD_.num_named_barrier, 0
	.set _ZN7rocprim17ROCPRIM_400000_NS6detail17trampoline_kernelINS0_14default_configENS1_35radix_sort_onesweep_config_selectorIdNS0_10empty_typeEEEZNS1_34radix_sort_onesweep_global_offsetsIS3_Lb1EPKdPS5_mNS0_19identity_decomposerEEE10hipError_tT1_T2_PT3_SF_jT4_jjP12ihipStream_tbEUlT_E0_NS1_11comp_targetILNS1_3genE0ELNS1_11target_archE4294967295ELNS1_3gpuE0ELNS1_3repE0EEENS1_52radix_sort_onesweep_histogram_config_static_selectorELNS0_4arch9wavefront6targetE0EEEvSD_.private_seg_size, 0
	.set _ZN7rocprim17ROCPRIM_400000_NS6detail17trampoline_kernelINS0_14default_configENS1_35radix_sort_onesweep_config_selectorIdNS0_10empty_typeEEEZNS1_34radix_sort_onesweep_global_offsetsIS3_Lb1EPKdPS5_mNS0_19identity_decomposerEEE10hipError_tT1_T2_PT3_SF_jT4_jjP12ihipStream_tbEUlT_E0_NS1_11comp_targetILNS1_3genE0ELNS1_11target_archE4294967295ELNS1_3gpuE0ELNS1_3repE0EEENS1_52radix_sort_onesweep_histogram_config_static_selectorELNS0_4arch9wavefront6targetE0EEEvSD_.uses_vcc, 1
	.set _ZN7rocprim17ROCPRIM_400000_NS6detail17trampoline_kernelINS0_14default_configENS1_35radix_sort_onesweep_config_selectorIdNS0_10empty_typeEEEZNS1_34radix_sort_onesweep_global_offsetsIS3_Lb1EPKdPS5_mNS0_19identity_decomposerEEE10hipError_tT1_T2_PT3_SF_jT4_jjP12ihipStream_tbEUlT_E0_NS1_11comp_targetILNS1_3genE0ELNS1_11target_archE4294967295ELNS1_3gpuE0ELNS1_3repE0EEENS1_52radix_sort_onesweep_histogram_config_static_selectorELNS0_4arch9wavefront6targetE0EEEvSD_.uses_flat_scratch, 0
	.set _ZN7rocprim17ROCPRIM_400000_NS6detail17trampoline_kernelINS0_14default_configENS1_35radix_sort_onesweep_config_selectorIdNS0_10empty_typeEEEZNS1_34radix_sort_onesweep_global_offsetsIS3_Lb1EPKdPS5_mNS0_19identity_decomposerEEE10hipError_tT1_T2_PT3_SF_jT4_jjP12ihipStream_tbEUlT_E0_NS1_11comp_targetILNS1_3genE0ELNS1_11target_archE4294967295ELNS1_3gpuE0ELNS1_3repE0EEENS1_52radix_sort_onesweep_histogram_config_static_selectorELNS0_4arch9wavefront6targetE0EEEvSD_.has_dyn_sized_stack, 0
	.set _ZN7rocprim17ROCPRIM_400000_NS6detail17trampoline_kernelINS0_14default_configENS1_35radix_sort_onesweep_config_selectorIdNS0_10empty_typeEEEZNS1_34radix_sort_onesweep_global_offsetsIS3_Lb1EPKdPS5_mNS0_19identity_decomposerEEE10hipError_tT1_T2_PT3_SF_jT4_jjP12ihipStream_tbEUlT_E0_NS1_11comp_targetILNS1_3genE0ELNS1_11target_archE4294967295ELNS1_3gpuE0ELNS1_3repE0EEENS1_52radix_sort_onesweep_histogram_config_static_selectorELNS0_4arch9wavefront6targetE0EEEvSD_.has_recursion, 0
	.set _ZN7rocprim17ROCPRIM_400000_NS6detail17trampoline_kernelINS0_14default_configENS1_35radix_sort_onesweep_config_selectorIdNS0_10empty_typeEEEZNS1_34radix_sort_onesweep_global_offsetsIS3_Lb1EPKdPS5_mNS0_19identity_decomposerEEE10hipError_tT1_T2_PT3_SF_jT4_jjP12ihipStream_tbEUlT_E0_NS1_11comp_targetILNS1_3genE0ELNS1_11target_archE4294967295ELNS1_3gpuE0ELNS1_3repE0EEENS1_52radix_sort_onesweep_histogram_config_static_selectorELNS0_4arch9wavefront6targetE0EEEvSD_.has_indirect_call, 0
	.section	.AMDGPU.csdata,"",@progbits
; Kernel info:
; codeLenInByte = 896
; TotalNumSgprs: 10
; NumVgprs: 14
; ScratchSize: 0
; MemoryBound: 0
; FloatMode: 240
; IeeeMode: 1
; LDSByteSize: 128 bytes/workgroup (compile time only)
; SGPRBlocks: 0
; VGPRBlocks: 0
; NumSGPRsForWavesPerEU: 10
; NumVGPRsForWavesPerEU: 14
; NamedBarCnt: 0
; Occupancy: 16
; WaveLimiterHint : 0
; COMPUTE_PGM_RSRC2:SCRATCH_EN: 0
; COMPUTE_PGM_RSRC2:USER_SGPR: 2
; COMPUTE_PGM_RSRC2:TRAP_HANDLER: 0
; COMPUTE_PGM_RSRC2:TGID_X_EN: 1
; COMPUTE_PGM_RSRC2:TGID_Y_EN: 0
; COMPUTE_PGM_RSRC2:TGID_Z_EN: 0
; COMPUTE_PGM_RSRC2:TIDIG_COMP_CNT: 0
	.section	.text._ZN7rocprim17ROCPRIM_400000_NS6detail17trampoline_kernelINS0_14default_configENS1_35radix_sort_onesweep_config_selectorIdNS0_10empty_typeEEEZNS1_34radix_sort_onesweep_global_offsetsIS3_Lb1EPKdPS5_mNS0_19identity_decomposerEEE10hipError_tT1_T2_PT3_SF_jT4_jjP12ihipStream_tbEUlT_E0_NS1_11comp_targetILNS1_3genE6ELNS1_11target_archE950ELNS1_3gpuE13ELNS1_3repE0EEENS1_52radix_sort_onesweep_histogram_config_static_selectorELNS0_4arch9wavefront6targetE0EEEvSD_,"axG",@progbits,_ZN7rocprim17ROCPRIM_400000_NS6detail17trampoline_kernelINS0_14default_configENS1_35radix_sort_onesweep_config_selectorIdNS0_10empty_typeEEEZNS1_34radix_sort_onesweep_global_offsetsIS3_Lb1EPKdPS5_mNS0_19identity_decomposerEEE10hipError_tT1_T2_PT3_SF_jT4_jjP12ihipStream_tbEUlT_E0_NS1_11comp_targetILNS1_3genE6ELNS1_11target_archE950ELNS1_3gpuE13ELNS1_3repE0EEENS1_52radix_sort_onesweep_histogram_config_static_selectorELNS0_4arch9wavefront6targetE0EEEvSD_,comdat
	.protected	_ZN7rocprim17ROCPRIM_400000_NS6detail17trampoline_kernelINS0_14default_configENS1_35radix_sort_onesweep_config_selectorIdNS0_10empty_typeEEEZNS1_34radix_sort_onesweep_global_offsetsIS3_Lb1EPKdPS5_mNS0_19identity_decomposerEEE10hipError_tT1_T2_PT3_SF_jT4_jjP12ihipStream_tbEUlT_E0_NS1_11comp_targetILNS1_3genE6ELNS1_11target_archE950ELNS1_3gpuE13ELNS1_3repE0EEENS1_52radix_sort_onesweep_histogram_config_static_selectorELNS0_4arch9wavefront6targetE0EEEvSD_ ; -- Begin function _ZN7rocprim17ROCPRIM_400000_NS6detail17trampoline_kernelINS0_14default_configENS1_35radix_sort_onesweep_config_selectorIdNS0_10empty_typeEEEZNS1_34radix_sort_onesweep_global_offsetsIS3_Lb1EPKdPS5_mNS0_19identity_decomposerEEE10hipError_tT1_T2_PT3_SF_jT4_jjP12ihipStream_tbEUlT_E0_NS1_11comp_targetILNS1_3genE6ELNS1_11target_archE950ELNS1_3gpuE13ELNS1_3repE0EEENS1_52radix_sort_onesweep_histogram_config_static_selectorELNS0_4arch9wavefront6targetE0EEEvSD_
	.globl	_ZN7rocprim17ROCPRIM_400000_NS6detail17trampoline_kernelINS0_14default_configENS1_35radix_sort_onesweep_config_selectorIdNS0_10empty_typeEEEZNS1_34radix_sort_onesweep_global_offsetsIS3_Lb1EPKdPS5_mNS0_19identity_decomposerEEE10hipError_tT1_T2_PT3_SF_jT4_jjP12ihipStream_tbEUlT_E0_NS1_11comp_targetILNS1_3genE6ELNS1_11target_archE950ELNS1_3gpuE13ELNS1_3repE0EEENS1_52radix_sort_onesweep_histogram_config_static_selectorELNS0_4arch9wavefront6targetE0EEEvSD_
	.p2align	8
	.type	_ZN7rocprim17ROCPRIM_400000_NS6detail17trampoline_kernelINS0_14default_configENS1_35radix_sort_onesweep_config_selectorIdNS0_10empty_typeEEEZNS1_34radix_sort_onesweep_global_offsetsIS3_Lb1EPKdPS5_mNS0_19identity_decomposerEEE10hipError_tT1_T2_PT3_SF_jT4_jjP12ihipStream_tbEUlT_E0_NS1_11comp_targetILNS1_3genE6ELNS1_11target_archE950ELNS1_3gpuE13ELNS1_3repE0EEENS1_52radix_sort_onesweep_histogram_config_static_selectorELNS0_4arch9wavefront6targetE0EEEvSD_,@function
_ZN7rocprim17ROCPRIM_400000_NS6detail17trampoline_kernelINS0_14default_configENS1_35radix_sort_onesweep_config_selectorIdNS0_10empty_typeEEEZNS1_34radix_sort_onesweep_global_offsetsIS3_Lb1EPKdPS5_mNS0_19identity_decomposerEEE10hipError_tT1_T2_PT3_SF_jT4_jjP12ihipStream_tbEUlT_E0_NS1_11comp_targetILNS1_3genE6ELNS1_11target_archE950ELNS1_3gpuE13ELNS1_3repE0EEENS1_52radix_sort_onesweep_histogram_config_static_selectorELNS0_4arch9wavefront6targetE0EEEvSD_: ; @_ZN7rocprim17ROCPRIM_400000_NS6detail17trampoline_kernelINS0_14default_configENS1_35radix_sort_onesweep_config_selectorIdNS0_10empty_typeEEEZNS1_34radix_sort_onesweep_global_offsetsIS3_Lb1EPKdPS5_mNS0_19identity_decomposerEEE10hipError_tT1_T2_PT3_SF_jT4_jjP12ihipStream_tbEUlT_E0_NS1_11comp_targetILNS1_3genE6ELNS1_11target_archE950ELNS1_3gpuE13ELNS1_3repE0EEENS1_52radix_sort_onesweep_histogram_config_static_selectorELNS0_4arch9wavefront6targetE0EEEvSD_
; %bb.0:
	.section	.rodata,"a",@progbits
	.p2align	6, 0x0
	.amdhsa_kernel _ZN7rocprim17ROCPRIM_400000_NS6detail17trampoline_kernelINS0_14default_configENS1_35radix_sort_onesweep_config_selectorIdNS0_10empty_typeEEEZNS1_34radix_sort_onesweep_global_offsetsIS3_Lb1EPKdPS5_mNS0_19identity_decomposerEEE10hipError_tT1_T2_PT3_SF_jT4_jjP12ihipStream_tbEUlT_E0_NS1_11comp_targetILNS1_3genE6ELNS1_11target_archE950ELNS1_3gpuE13ELNS1_3repE0EEENS1_52radix_sort_onesweep_histogram_config_static_selectorELNS0_4arch9wavefront6targetE0EEEvSD_
		.amdhsa_group_segment_fixed_size 0
		.amdhsa_private_segment_fixed_size 0
		.amdhsa_kernarg_size 8
		.amdhsa_user_sgpr_count 2
		.amdhsa_user_sgpr_dispatch_ptr 0
		.amdhsa_user_sgpr_queue_ptr 0
		.amdhsa_user_sgpr_kernarg_segment_ptr 1
		.amdhsa_user_sgpr_dispatch_id 0
		.amdhsa_user_sgpr_kernarg_preload_length 0
		.amdhsa_user_sgpr_kernarg_preload_offset 0
		.amdhsa_user_sgpr_private_segment_size 0
		.amdhsa_wavefront_size32 1
		.amdhsa_uses_dynamic_stack 0
		.amdhsa_enable_private_segment 0
		.amdhsa_system_sgpr_workgroup_id_x 1
		.amdhsa_system_sgpr_workgroup_id_y 0
		.amdhsa_system_sgpr_workgroup_id_z 0
		.amdhsa_system_sgpr_workgroup_info 0
		.amdhsa_system_vgpr_workitem_id 0
		.amdhsa_next_free_vgpr 1
		.amdhsa_next_free_sgpr 1
		.amdhsa_named_barrier_count 0
		.amdhsa_reserve_vcc 0
		.amdhsa_float_round_mode_32 0
		.amdhsa_float_round_mode_16_64 0
		.amdhsa_float_denorm_mode_32 3
		.amdhsa_float_denorm_mode_16_64 3
		.amdhsa_fp16_overflow 0
		.amdhsa_memory_ordered 1
		.amdhsa_forward_progress 1
		.amdhsa_inst_pref_size 0
		.amdhsa_round_robin_scheduling 0
		.amdhsa_exception_fp_ieee_invalid_op 0
		.amdhsa_exception_fp_denorm_src 0
		.amdhsa_exception_fp_ieee_div_zero 0
		.amdhsa_exception_fp_ieee_overflow 0
		.amdhsa_exception_fp_ieee_underflow 0
		.amdhsa_exception_fp_ieee_inexact 0
		.amdhsa_exception_int_div_zero 0
	.end_amdhsa_kernel
	.section	.text._ZN7rocprim17ROCPRIM_400000_NS6detail17trampoline_kernelINS0_14default_configENS1_35radix_sort_onesweep_config_selectorIdNS0_10empty_typeEEEZNS1_34radix_sort_onesweep_global_offsetsIS3_Lb1EPKdPS5_mNS0_19identity_decomposerEEE10hipError_tT1_T2_PT3_SF_jT4_jjP12ihipStream_tbEUlT_E0_NS1_11comp_targetILNS1_3genE6ELNS1_11target_archE950ELNS1_3gpuE13ELNS1_3repE0EEENS1_52radix_sort_onesweep_histogram_config_static_selectorELNS0_4arch9wavefront6targetE0EEEvSD_,"axG",@progbits,_ZN7rocprim17ROCPRIM_400000_NS6detail17trampoline_kernelINS0_14default_configENS1_35radix_sort_onesweep_config_selectorIdNS0_10empty_typeEEEZNS1_34radix_sort_onesweep_global_offsetsIS3_Lb1EPKdPS5_mNS0_19identity_decomposerEEE10hipError_tT1_T2_PT3_SF_jT4_jjP12ihipStream_tbEUlT_E0_NS1_11comp_targetILNS1_3genE6ELNS1_11target_archE950ELNS1_3gpuE13ELNS1_3repE0EEENS1_52radix_sort_onesweep_histogram_config_static_selectorELNS0_4arch9wavefront6targetE0EEEvSD_,comdat
.Lfunc_end1502:
	.size	_ZN7rocprim17ROCPRIM_400000_NS6detail17trampoline_kernelINS0_14default_configENS1_35radix_sort_onesweep_config_selectorIdNS0_10empty_typeEEEZNS1_34radix_sort_onesweep_global_offsetsIS3_Lb1EPKdPS5_mNS0_19identity_decomposerEEE10hipError_tT1_T2_PT3_SF_jT4_jjP12ihipStream_tbEUlT_E0_NS1_11comp_targetILNS1_3genE6ELNS1_11target_archE950ELNS1_3gpuE13ELNS1_3repE0EEENS1_52radix_sort_onesweep_histogram_config_static_selectorELNS0_4arch9wavefront6targetE0EEEvSD_, .Lfunc_end1502-_ZN7rocprim17ROCPRIM_400000_NS6detail17trampoline_kernelINS0_14default_configENS1_35radix_sort_onesweep_config_selectorIdNS0_10empty_typeEEEZNS1_34radix_sort_onesweep_global_offsetsIS3_Lb1EPKdPS5_mNS0_19identity_decomposerEEE10hipError_tT1_T2_PT3_SF_jT4_jjP12ihipStream_tbEUlT_E0_NS1_11comp_targetILNS1_3genE6ELNS1_11target_archE950ELNS1_3gpuE13ELNS1_3repE0EEENS1_52radix_sort_onesweep_histogram_config_static_selectorELNS0_4arch9wavefront6targetE0EEEvSD_
                                        ; -- End function
	.set _ZN7rocprim17ROCPRIM_400000_NS6detail17trampoline_kernelINS0_14default_configENS1_35radix_sort_onesweep_config_selectorIdNS0_10empty_typeEEEZNS1_34radix_sort_onesweep_global_offsetsIS3_Lb1EPKdPS5_mNS0_19identity_decomposerEEE10hipError_tT1_T2_PT3_SF_jT4_jjP12ihipStream_tbEUlT_E0_NS1_11comp_targetILNS1_3genE6ELNS1_11target_archE950ELNS1_3gpuE13ELNS1_3repE0EEENS1_52radix_sort_onesweep_histogram_config_static_selectorELNS0_4arch9wavefront6targetE0EEEvSD_.num_vgpr, 0
	.set _ZN7rocprim17ROCPRIM_400000_NS6detail17trampoline_kernelINS0_14default_configENS1_35radix_sort_onesweep_config_selectorIdNS0_10empty_typeEEEZNS1_34radix_sort_onesweep_global_offsetsIS3_Lb1EPKdPS5_mNS0_19identity_decomposerEEE10hipError_tT1_T2_PT3_SF_jT4_jjP12ihipStream_tbEUlT_E0_NS1_11comp_targetILNS1_3genE6ELNS1_11target_archE950ELNS1_3gpuE13ELNS1_3repE0EEENS1_52radix_sort_onesweep_histogram_config_static_selectorELNS0_4arch9wavefront6targetE0EEEvSD_.num_agpr, 0
	.set _ZN7rocprim17ROCPRIM_400000_NS6detail17trampoline_kernelINS0_14default_configENS1_35radix_sort_onesweep_config_selectorIdNS0_10empty_typeEEEZNS1_34radix_sort_onesweep_global_offsetsIS3_Lb1EPKdPS5_mNS0_19identity_decomposerEEE10hipError_tT1_T2_PT3_SF_jT4_jjP12ihipStream_tbEUlT_E0_NS1_11comp_targetILNS1_3genE6ELNS1_11target_archE950ELNS1_3gpuE13ELNS1_3repE0EEENS1_52radix_sort_onesweep_histogram_config_static_selectorELNS0_4arch9wavefront6targetE0EEEvSD_.numbered_sgpr, 0
	.set _ZN7rocprim17ROCPRIM_400000_NS6detail17trampoline_kernelINS0_14default_configENS1_35radix_sort_onesweep_config_selectorIdNS0_10empty_typeEEEZNS1_34radix_sort_onesweep_global_offsetsIS3_Lb1EPKdPS5_mNS0_19identity_decomposerEEE10hipError_tT1_T2_PT3_SF_jT4_jjP12ihipStream_tbEUlT_E0_NS1_11comp_targetILNS1_3genE6ELNS1_11target_archE950ELNS1_3gpuE13ELNS1_3repE0EEENS1_52radix_sort_onesweep_histogram_config_static_selectorELNS0_4arch9wavefront6targetE0EEEvSD_.num_named_barrier, 0
	.set _ZN7rocprim17ROCPRIM_400000_NS6detail17trampoline_kernelINS0_14default_configENS1_35radix_sort_onesweep_config_selectorIdNS0_10empty_typeEEEZNS1_34radix_sort_onesweep_global_offsetsIS3_Lb1EPKdPS5_mNS0_19identity_decomposerEEE10hipError_tT1_T2_PT3_SF_jT4_jjP12ihipStream_tbEUlT_E0_NS1_11comp_targetILNS1_3genE6ELNS1_11target_archE950ELNS1_3gpuE13ELNS1_3repE0EEENS1_52radix_sort_onesweep_histogram_config_static_selectorELNS0_4arch9wavefront6targetE0EEEvSD_.private_seg_size, 0
	.set _ZN7rocprim17ROCPRIM_400000_NS6detail17trampoline_kernelINS0_14default_configENS1_35radix_sort_onesweep_config_selectorIdNS0_10empty_typeEEEZNS1_34radix_sort_onesweep_global_offsetsIS3_Lb1EPKdPS5_mNS0_19identity_decomposerEEE10hipError_tT1_T2_PT3_SF_jT4_jjP12ihipStream_tbEUlT_E0_NS1_11comp_targetILNS1_3genE6ELNS1_11target_archE950ELNS1_3gpuE13ELNS1_3repE0EEENS1_52radix_sort_onesweep_histogram_config_static_selectorELNS0_4arch9wavefront6targetE0EEEvSD_.uses_vcc, 0
	.set _ZN7rocprim17ROCPRIM_400000_NS6detail17trampoline_kernelINS0_14default_configENS1_35radix_sort_onesweep_config_selectorIdNS0_10empty_typeEEEZNS1_34radix_sort_onesweep_global_offsetsIS3_Lb1EPKdPS5_mNS0_19identity_decomposerEEE10hipError_tT1_T2_PT3_SF_jT4_jjP12ihipStream_tbEUlT_E0_NS1_11comp_targetILNS1_3genE6ELNS1_11target_archE950ELNS1_3gpuE13ELNS1_3repE0EEENS1_52radix_sort_onesweep_histogram_config_static_selectorELNS0_4arch9wavefront6targetE0EEEvSD_.uses_flat_scratch, 0
	.set _ZN7rocprim17ROCPRIM_400000_NS6detail17trampoline_kernelINS0_14default_configENS1_35radix_sort_onesweep_config_selectorIdNS0_10empty_typeEEEZNS1_34radix_sort_onesweep_global_offsetsIS3_Lb1EPKdPS5_mNS0_19identity_decomposerEEE10hipError_tT1_T2_PT3_SF_jT4_jjP12ihipStream_tbEUlT_E0_NS1_11comp_targetILNS1_3genE6ELNS1_11target_archE950ELNS1_3gpuE13ELNS1_3repE0EEENS1_52radix_sort_onesweep_histogram_config_static_selectorELNS0_4arch9wavefront6targetE0EEEvSD_.has_dyn_sized_stack, 0
	.set _ZN7rocprim17ROCPRIM_400000_NS6detail17trampoline_kernelINS0_14default_configENS1_35radix_sort_onesweep_config_selectorIdNS0_10empty_typeEEEZNS1_34radix_sort_onesweep_global_offsetsIS3_Lb1EPKdPS5_mNS0_19identity_decomposerEEE10hipError_tT1_T2_PT3_SF_jT4_jjP12ihipStream_tbEUlT_E0_NS1_11comp_targetILNS1_3genE6ELNS1_11target_archE950ELNS1_3gpuE13ELNS1_3repE0EEENS1_52radix_sort_onesweep_histogram_config_static_selectorELNS0_4arch9wavefront6targetE0EEEvSD_.has_recursion, 0
	.set _ZN7rocprim17ROCPRIM_400000_NS6detail17trampoline_kernelINS0_14default_configENS1_35radix_sort_onesweep_config_selectorIdNS0_10empty_typeEEEZNS1_34radix_sort_onesweep_global_offsetsIS3_Lb1EPKdPS5_mNS0_19identity_decomposerEEE10hipError_tT1_T2_PT3_SF_jT4_jjP12ihipStream_tbEUlT_E0_NS1_11comp_targetILNS1_3genE6ELNS1_11target_archE950ELNS1_3gpuE13ELNS1_3repE0EEENS1_52radix_sort_onesweep_histogram_config_static_selectorELNS0_4arch9wavefront6targetE0EEEvSD_.has_indirect_call, 0
	.section	.AMDGPU.csdata,"",@progbits
; Kernel info:
; codeLenInByte = 0
; TotalNumSgprs: 0
; NumVgprs: 0
; ScratchSize: 0
; MemoryBound: 0
; FloatMode: 240
; IeeeMode: 1
; LDSByteSize: 0 bytes/workgroup (compile time only)
; SGPRBlocks: 0
; VGPRBlocks: 0
; NumSGPRsForWavesPerEU: 1
; NumVGPRsForWavesPerEU: 1
; NamedBarCnt: 0
; Occupancy: 16
; WaveLimiterHint : 0
; COMPUTE_PGM_RSRC2:SCRATCH_EN: 0
; COMPUTE_PGM_RSRC2:USER_SGPR: 2
; COMPUTE_PGM_RSRC2:TRAP_HANDLER: 0
; COMPUTE_PGM_RSRC2:TGID_X_EN: 1
; COMPUTE_PGM_RSRC2:TGID_Y_EN: 0
; COMPUTE_PGM_RSRC2:TGID_Z_EN: 0
; COMPUTE_PGM_RSRC2:TIDIG_COMP_CNT: 0
	.section	.text._ZN7rocprim17ROCPRIM_400000_NS6detail17trampoline_kernelINS0_14default_configENS1_35radix_sort_onesweep_config_selectorIdNS0_10empty_typeEEEZNS1_34radix_sort_onesweep_global_offsetsIS3_Lb1EPKdPS5_mNS0_19identity_decomposerEEE10hipError_tT1_T2_PT3_SF_jT4_jjP12ihipStream_tbEUlT_E0_NS1_11comp_targetILNS1_3genE5ELNS1_11target_archE942ELNS1_3gpuE9ELNS1_3repE0EEENS1_52radix_sort_onesweep_histogram_config_static_selectorELNS0_4arch9wavefront6targetE0EEEvSD_,"axG",@progbits,_ZN7rocprim17ROCPRIM_400000_NS6detail17trampoline_kernelINS0_14default_configENS1_35radix_sort_onesweep_config_selectorIdNS0_10empty_typeEEEZNS1_34radix_sort_onesweep_global_offsetsIS3_Lb1EPKdPS5_mNS0_19identity_decomposerEEE10hipError_tT1_T2_PT3_SF_jT4_jjP12ihipStream_tbEUlT_E0_NS1_11comp_targetILNS1_3genE5ELNS1_11target_archE942ELNS1_3gpuE9ELNS1_3repE0EEENS1_52radix_sort_onesweep_histogram_config_static_selectorELNS0_4arch9wavefront6targetE0EEEvSD_,comdat
	.protected	_ZN7rocprim17ROCPRIM_400000_NS6detail17trampoline_kernelINS0_14default_configENS1_35radix_sort_onesweep_config_selectorIdNS0_10empty_typeEEEZNS1_34radix_sort_onesweep_global_offsetsIS3_Lb1EPKdPS5_mNS0_19identity_decomposerEEE10hipError_tT1_T2_PT3_SF_jT4_jjP12ihipStream_tbEUlT_E0_NS1_11comp_targetILNS1_3genE5ELNS1_11target_archE942ELNS1_3gpuE9ELNS1_3repE0EEENS1_52radix_sort_onesweep_histogram_config_static_selectorELNS0_4arch9wavefront6targetE0EEEvSD_ ; -- Begin function _ZN7rocprim17ROCPRIM_400000_NS6detail17trampoline_kernelINS0_14default_configENS1_35radix_sort_onesweep_config_selectorIdNS0_10empty_typeEEEZNS1_34radix_sort_onesweep_global_offsetsIS3_Lb1EPKdPS5_mNS0_19identity_decomposerEEE10hipError_tT1_T2_PT3_SF_jT4_jjP12ihipStream_tbEUlT_E0_NS1_11comp_targetILNS1_3genE5ELNS1_11target_archE942ELNS1_3gpuE9ELNS1_3repE0EEENS1_52radix_sort_onesweep_histogram_config_static_selectorELNS0_4arch9wavefront6targetE0EEEvSD_
	.globl	_ZN7rocprim17ROCPRIM_400000_NS6detail17trampoline_kernelINS0_14default_configENS1_35radix_sort_onesweep_config_selectorIdNS0_10empty_typeEEEZNS1_34radix_sort_onesweep_global_offsetsIS3_Lb1EPKdPS5_mNS0_19identity_decomposerEEE10hipError_tT1_T2_PT3_SF_jT4_jjP12ihipStream_tbEUlT_E0_NS1_11comp_targetILNS1_3genE5ELNS1_11target_archE942ELNS1_3gpuE9ELNS1_3repE0EEENS1_52radix_sort_onesweep_histogram_config_static_selectorELNS0_4arch9wavefront6targetE0EEEvSD_
	.p2align	8
	.type	_ZN7rocprim17ROCPRIM_400000_NS6detail17trampoline_kernelINS0_14default_configENS1_35radix_sort_onesweep_config_selectorIdNS0_10empty_typeEEEZNS1_34radix_sort_onesweep_global_offsetsIS3_Lb1EPKdPS5_mNS0_19identity_decomposerEEE10hipError_tT1_T2_PT3_SF_jT4_jjP12ihipStream_tbEUlT_E0_NS1_11comp_targetILNS1_3genE5ELNS1_11target_archE942ELNS1_3gpuE9ELNS1_3repE0EEENS1_52radix_sort_onesweep_histogram_config_static_selectorELNS0_4arch9wavefront6targetE0EEEvSD_,@function
_ZN7rocprim17ROCPRIM_400000_NS6detail17trampoline_kernelINS0_14default_configENS1_35radix_sort_onesweep_config_selectorIdNS0_10empty_typeEEEZNS1_34radix_sort_onesweep_global_offsetsIS3_Lb1EPKdPS5_mNS0_19identity_decomposerEEE10hipError_tT1_T2_PT3_SF_jT4_jjP12ihipStream_tbEUlT_E0_NS1_11comp_targetILNS1_3genE5ELNS1_11target_archE942ELNS1_3gpuE9ELNS1_3repE0EEENS1_52radix_sort_onesweep_histogram_config_static_selectorELNS0_4arch9wavefront6targetE0EEEvSD_: ; @_ZN7rocprim17ROCPRIM_400000_NS6detail17trampoline_kernelINS0_14default_configENS1_35radix_sort_onesweep_config_selectorIdNS0_10empty_typeEEEZNS1_34radix_sort_onesweep_global_offsetsIS3_Lb1EPKdPS5_mNS0_19identity_decomposerEEE10hipError_tT1_T2_PT3_SF_jT4_jjP12ihipStream_tbEUlT_E0_NS1_11comp_targetILNS1_3genE5ELNS1_11target_archE942ELNS1_3gpuE9ELNS1_3repE0EEENS1_52radix_sort_onesweep_histogram_config_static_selectorELNS0_4arch9wavefront6targetE0EEEvSD_
; %bb.0:
	.section	.rodata,"a",@progbits
	.p2align	6, 0x0
	.amdhsa_kernel _ZN7rocprim17ROCPRIM_400000_NS6detail17trampoline_kernelINS0_14default_configENS1_35radix_sort_onesweep_config_selectorIdNS0_10empty_typeEEEZNS1_34radix_sort_onesweep_global_offsetsIS3_Lb1EPKdPS5_mNS0_19identity_decomposerEEE10hipError_tT1_T2_PT3_SF_jT4_jjP12ihipStream_tbEUlT_E0_NS1_11comp_targetILNS1_3genE5ELNS1_11target_archE942ELNS1_3gpuE9ELNS1_3repE0EEENS1_52radix_sort_onesweep_histogram_config_static_selectorELNS0_4arch9wavefront6targetE0EEEvSD_
		.amdhsa_group_segment_fixed_size 0
		.amdhsa_private_segment_fixed_size 0
		.amdhsa_kernarg_size 8
		.amdhsa_user_sgpr_count 2
		.amdhsa_user_sgpr_dispatch_ptr 0
		.amdhsa_user_sgpr_queue_ptr 0
		.amdhsa_user_sgpr_kernarg_segment_ptr 1
		.amdhsa_user_sgpr_dispatch_id 0
		.amdhsa_user_sgpr_kernarg_preload_length 0
		.amdhsa_user_sgpr_kernarg_preload_offset 0
		.amdhsa_user_sgpr_private_segment_size 0
		.amdhsa_wavefront_size32 1
		.amdhsa_uses_dynamic_stack 0
		.amdhsa_enable_private_segment 0
		.amdhsa_system_sgpr_workgroup_id_x 1
		.amdhsa_system_sgpr_workgroup_id_y 0
		.amdhsa_system_sgpr_workgroup_id_z 0
		.amdhsa_system_sgpr_workgroup_info 0
		.amdhsa_system_vgpr_workitem_id 0
		.amdhsa_next_free_vgpr 1
		.amdhsa_next_free_sgpr 1
		.amdhsa_named_barrier_count 0
		.amdhsa_reserve_vcc 0
		.amdhsa_float_round_mode_32 0
		.amdhsa_float_round_mode_16_64 0
		.amdhsa_float_denorm_mode_32 3
		.amdhsa_float_denorm_mode_16_64 3
		.amdhsa_fp16_overflow 0
		.amdhsa_memory_ordered 1
		.amdhsa_forward_progress 1
		.amdhsa_inst_pref_size 0
		.amdhsa_round_robin_scheduling 0
		.amdhsa_exception_fp_ieee_invalid_op 0
		.amdhsa_exception_fp_denorm_src 0
		.amdhsa_exception_fp_ieee_div_zero 0
		.amdhsa_exception_fp_ieee_overflow 0
		.amdhsa_exception_fp_ieee_underflow 0
		.amdhsa_exception_fp_ieee_inexact 0
		.amdhsa_exception_int_div_zero 0
	.end_amdhsa_kernel
	.section	.text._ZN7rocprim17ROCPRIM_400000_NS6detail17trampoline_kernelINS0_14default_configENS1_35radix_sort_onesweep_config_selectorIdNS0_10empty_typeEEEZNS1_34radix_sort_onesweep_global_offsetsIS3_Lb1EPKdPS5_mNS0_19identity_decomposerEEE10hipError_tT1_T2_PT3_SF_jT4_jjP12ihipStream_tbEUlT_E0_NS1_11comp_targetILNS1_3genE5ELNS1_11target_archE942ELNS1_3gpuE9ELNS1_3repE0EEENS1_52radix_sort_onesweep_histogram_config_static_selectorELNS0_4arch9wavefront6targetE0EEEvSD_,"axG",@progbits,_ZN7rocprim17ROCPRIM_400000_NS6detail17trampoline_kernelINS0_14default_configENS1_35radix_sort_onesweep_config_selectorIdNS0_10empty_typeEEEZNS1_34radix_sort_onesweep_global_offsetsIS3_Lb1EPKdPS5_mNS0_19identity_decomposerEEE10hipError_tT1_T2_PT3_SF_jT4_jjP12ihipStream_tbEUlT_E0_NS1_11comp_targetILNS1_3genE5ELNS1_11target_archE942ELNS1_3gpuE9ELNS1_3repE0EEENS1_52radix_sort_onesweep_histogram_config_static_selectorELNS0_4arch9wavefront6targetE0EEEvSD_,comdat
.Lfunc_end1503:
	.size	_ZN7rocprim17ROCPRIM_400000_NS6detail17trampoline_kernelINS0_14default_configENS1_35radix_sort_onesweep_config_selectorIdNS0_10empty_typeEEEZNS1_34radix_sort_onesweep_global_offsetsIS3_Lb1EPKdPS5_mNS0_19identity_decomposerEEE10hipError_tT1_T2_PT3_SF_jT4_jjP12ihipStream_tbEUlT_E0_NS1_11comp_targetILNS1_3genE5ELNS1_11target_archE942ELNS1_3gpuE9ELNS1_3repE0EEENS1_52radix_sort_onesweep_histogram_config_static_selectorELNS0_4arch9wavefront6targetE0EEEvSD_, .Lfunc_end1503-_ZN7rocprim17ROCPRIM_400000_NS6detail17trampoline_kernelINS0_14default_configENS1_35radix_sort_onesweep_config_selectorIdNS0_10empty_typeEEEZNS1_34radix_sort_onesweep_global_offsetsIS3_Lb1EPKdPS5_mNS0_19identity_decomposerEEE10hipError_tT1_T2_PT3_SF_jT4_jjP12ihipStream_tbEUlT_E0_NS1_11comp_targetILNS1_3genE5ELNS1_11target_archE942ELNS1_3gpuE9ELNS1_3repE0EEENS1_52radix_sort_onesweep_histogram_config_static_selectorELNS0_4arch9wavefront6targetE0EEEvSD_
                                        ; -- End function
	.set _ZN7rocprim17ROCPRIM_400000_NS6detail17trampoline_kernelINS0_14default_configENS1_35radix_sort_onesweep_config_selectorIdNS0_10empty_typeEEEZNS1_34radix_sort_onesweep_global_offsetsIS3_Lb1EPKdPS5_mNS0_19identity_decomposerEEE10hipError_tT1_T2_PT3_SF_jT4_jjP12ihipStream_tbEUlT_E0_NS1_11comp_targetILNS1_3genE5ELNS1_11target_archE942ELNS1_3gpuE9ELNS1_3repE0EEENS1_52radix_sort_onesweep_histogram_config_static_selectorELNS0_4arch9wavefront6targetE0EEEvSD_.num_vgpr, 0
	.set _ZN7rocprim17ROCPRIM_400000_NS6detail17trampoline_kernelINS0_14default_configENS1_35radix_sort_onesweep_config_selectorIdNS0_10empty_typeEEEZNS1_34radix_sort_onesweep_global_offsetsIS3_Lb1EPKdPS5_mNS0_19identity_decomposerEEE10hipError_tT1_T2_PT3_SF_jT4_jjP12ihipStream_tbEUlT_E0_NS1_11comp_targetILNS1_3genE5ELNS1_11target_archE942ELNS1_3gpuE9ELNS1_3repE0EEENS1_52radix_sort_onesweep_histogram_config_static_selectorELNS0_4arch9wavefront6targetE0EEEvSD_.num_agpr, 0
	.set _ZN7rocprim17ROCPRIM_400000_NS6detail17trampoline_kernelINS0_14default_configENS1_35radix_sort_onesweep_config_selectorIdNS0_10empty_typeEEEZNS1_34radix_sort_onesweep_global_offsetsIS3_Lb1EPKdPS5_mNS0_19identity_decomposerEEE10hipError_tT1_T2_PT3_SF_jT4_jjP12ihipStream_tbEUlT_E0_NS1_11comp_targetILNS1_3genE5ELNS1_11target_archE942ELNS1_3gpuE9ELNS1_3repE0EEENS1_52radix_sort_onesweep_histogram_config_static_selectorELNS0_4arch9wavefront6targetE0EEEvSD_.numbered_sgpr, 0
	.set _ZN7rocprim17ROCPRIM_400000_NS6detail17trampoline_kernelINS0_14default_configENS1_35radix_sort_onesweep_config_selectorIdNS0_10empty_typeEEEZNS1_34radix_sort_onesweep_global_offsetsIS3_Lb1EPKdPS5_mNS0_19identity_decomposerEEE10hipError_tT1_T2_PT3_SF_jT4_jjP12ihipStream_tbEUlT_E0_NS1_11comp_targetILNS1_3genE5ELNS1_11target_archE942ELNS1_3gpuE9ELNS1_3repE0EEENS1_52radix_sort_onesweep_histogram_config_static_selectorELNS0_4arch9wavefront6targetE0EEEvSD_.num_named_barrier, 0
	.set _ZN7rocprim17ROCPRIM_400000_NS6detail17trampoline_kernelINS0_14default_configENS1_35radix_sort_onesweep_config_selectorIdNS0_10empty_typeEEEZNS1_34radix_sort_onesweep_global_offsetsIS3_Lb1EPKdPS5_mNS0_19identity_decomposerEEE10hipError_tT1_T2_PT3_SF_jT4_jjP12ihipStream_tbEUlT_E0_NS1_11comp_targetILNS1_3genE5ELNS1_11target_archE942ELNS1_3gpuE9ELNS1_3repE0EEENS1_52radix_sort_onesweep_histogram_config_static_selectorELNS0_4arch9wavefront6targetE0EEEvSD_.private_seg_size, 0
	.set _ZN7rocprim17ROCPRIM_400000_NS6detail17trampoline_kernelINS0_14default_configENS1_35radix_sort_onesweep_config_selectorIdNS0_10empty_typeEEEZNS1_34radix_sort_onesweep_global_offsetsIS3_Lb1EPKdPS5_mNS0_19identity_decomposerEEE10hipError_tT1_T2_PT3_SF_jT4_jjP12ihipStream_tbEUlT_E0_NS1_11comp_targetILNS1_3genE5ELNS1_11target_archE942ELNS1_3gpuE9ELNS1_3repE0EEENS1_52radix_sort_onesweep_histogram_config_static_selectorELNS0_4arch9wavefront6targetE0EEEvSD_.uses_vcc, 0
	.set _ZN7rocprim17ROCPRIM_400000_NS6detail17trampoline_kernelINS0_14default_configENS1_35radix_sort_onesweep_config_selectorIdNS0_10empty_typeEEEZNS1_34radix_sort_onesweep_global_offsetsIS3_Lb1EPKdPS5_mNS0_19identity_decomposerEEE10hipError_tT1_T2_PT3_SF_jT4_jjP12ihipStream_tbEUlT_E0_NS1_11comp_targetILNS1_3genE5ELNS1_11target_archE942ELNS1_3gpuE9ELNS1_3repE0EEENS1_52radix_sort_onesweep_histogram_config_static_selectorELNS0_4arch9wavefront6targetE0EEEvSD_.uses_flat_scratch, 0
	.set _ZN7rocprim17ROCPRIM_400000_NS6detail17trampoline_kernelINS0_14default_configENS1_35radix_sort_onesweep_config_selectorIdNS0_10empty_typeEEEZNS1_34radix_sort_onesweep_global_offsetsIS3_Lb1EPKdPS5_mNS0_19identity_decomposerEEE10hipError_tT1_T2_PT3_SF_jT4_jjP12ihipStream_tbEUlT_E0_NS1_11comp_targetILNS1_3genE5ELNS1_11target_archE942ELNS1_3gpuE9ELNS1_3repE0EEENS1_52radix_sort_onesweep_histogram_config_static_selectorELNS0_4arch9wavefront6targetE0EEEvSD_.has_dyn_sized_stack, 0
	.set _ZN7rocprim17ROCPRIM_400000_NS6detail17trampoline_kernelINS0_14default_configENS1_35radix_sort_onesweep_config_selectorIdNS0_10empty_typeEEEZNS1_34radix_sort_onesweep_global_offsetsIS3_Lb1EPKdPS5_mNS0_19identity_decomposerEEE10hipError_tT1_T2_PT3_SF_jT4_jjP12ihipStream_tbEUlT_E0_NS1_11comp_targetILNS1_3genE5ELNS1_11target_archE942ELNS1_3gpuE9ELNS1_3repE0EEENS1_52radix_sort_onesweep_histogram_config_static_selectorELNS0_4arch9wavefront6targetE0EEEvSD_.has_recursion, 0
	.set _ZN7rocprim17ROCPRIM_400000_NS6detail17trampoline_kernelINS0_14default_configENS1_35radix_sort_onesweep_config_selectorIdNS0_10empty_typeEEEZNS1_34radix_sort_onesweep_global_offsetsIS3_Lb1EPKdPS5_mNS0_19identity_decomposerEEE10hipError_tT1_T2_PT3_SF_jT4_jjP12ihipStream_tbEUlT_E0_NS1_11comp_targetILNS1_3genE5ELNS1_11target_archE942ELNS1_3gpuE9ELNS1_3repE0EEENS1_52radix_sort_onesweep_histogram_config_static_selectorELNS0_4arch9wavefront6targetE0EEEvSD_.has_indirect_call, 0
	.section	.AMDGPU.csdata,"",@progbits
; Kernel info:
; codeLenInByte = 0
; TotalNumSgprs: 0
; NumVgprs: 0
; ScratchSize: 0
; MemoryBound: 0
; FloatMode: 240
; IeeeMode: 1
; LDSByteSize: 0 bytes/workgroup (compile time only)
; SGPRBlocks: 0
; VGPRBlocks: 0
; NumSGPRsForWavesPerEU: 1
; NumVGPRsForWavesPerEU: 1
; NamedBarCnt: 0
; Occupancy: 16
; WaveLimiterHint : 0
; COMPUTE_PGM_RSRC2:SCRATCH_EN: 0
; COMPUTE_PGM_RSRC2:USER_SGPR: 2
; COMPUTE_PGM_RSRC2:TRAP_HANDLER: 0
; COMPUTE_PGM_RSRC2:TGID_X_EN: 1
; COMPUTE_PGM_RSRC2:TGID_Y_EN: 0
; COMPUTE_PGM_RSRC2:TGID_Z_EN: 0
; COMPUTE_PGM_RSRC2:TIDIG_COMP_CNT: 0
	.section	.text._ZN7rocprim17ROCPRIM_400000_NS6detail17trampoline_kernelINS0_14default_configENS1_35radix_sort_onesweep_config_selectorIdNS0_10empty_typeEEEZNS1_34radix_sort_onesweep_global_offsetsIS3_Lb1EPKdPS5_mNS0_19identity_decomposerEEE10hipError_tT1_T2_PT3_SF_jT4_jjP12ihipStream_tbEUlT_E0_NS1_11comp_targetILNS1_3genE2ELNS1_11target_archE906ELNS1_3gpuE6ELNS1_3repE0EEENS1_52radix_sort_onesweep_histogram_config_static_selectorELNS0_4arch9wavefront6targetE0EEEvSD_,"axG",@progbits,_ZN7rocprim17ROCPRIM_400000_NS6detail17trampoline_kernelINS0_14default_configENS1_35radix_sort_onesweep_config_selectorIdNS0_10empty_typeEEEZNS1_34radix_sort_onesweep_global_offsetsIS3_Lb1EPKdPS5_mNS0_19identity_decomposerEEE10hipError_tT1_T2_PT3_SF_jT4_jjP12ihipStream_tbEUlT_E0_NS1_11comp_targetILNS1_3genE2ELNS1_11target_archE906ELNS1_3gpuE6ELNS1_3repE0EEENS1_52radix_sort_onesweep_histogram_config_static_selectorELNS0_4arch9wavefront6targetE0EEEvSD_,comdat
	.protected	_ZN7rocprim17ROCPRIM_400000_NS6detail17trampoline_kernelINS0_14default_configENS1_35radix_sort_onesweep_config_selectorIdNS0_10empty_typeEEEZNS1_34radix_sort_onesweep_global_offsetsIS3_Lb1EPKdPS5_mNS0_19identity_decomposerEEE10hipError_tT1_T2_PT3_SF_jT4_jjP12ihipStream_tbEUlT_E0_NS1_11comp_targetILNS1_3genE2ELNS1_11target_archE906ELNS1_3gpuE6ELNS1_3repE0EEENS1_52radix_sort_onesweep_histogram_config_static_selectorELNS0_4arch9wavefront6targetE0EEEvSD_ ; -- Begin function _ZN7rocprim17ROCPRIM_400000_NS6detail17trampoline_kernelINS0_14default_configENS1_35radix_sort_onesweep_config_selectorIdNS0_10empty_typeEEEZNS1_34radix_sort_onesweep_global_offsetsIS3_Lb1EPKdPS5_mNS0_19identity_decomposerEEE10hipError_tT1_T2_PT3_SF_jT4_jjP12ihipStream_tbEUlT_E0_NS1_11comp_targetILNS1_3genE2ELNS1_11target_archE906ELNS1_3gpuE6ELNS1_3repE0EEENS1_52radix_sort_onesweep_histogram_config_static_selectorELNS0_4arch9wavefront6targetE0EEEvSD_
	.globl	_ZN7rocprim17ROCPRIM_400000_NS6detail17trampoline_kernelINS0_14default_configENS1_35radix_sort_onesweep_config_selectorIdNS0_10empty_typeEEEZNS1_34radix_sort_onesweep_global_offsetsIS3_Lb1EPKdPS5_mNS0_19identity_decomposerEEE10hipError_tT1_T2_PT3_SF_jT4_jjP12ihipStream_tbEUlT_E0_NS1_11comp_targetILNS1_3genE2ELNS1_11target_archE906ELNS1_3gpuE6ELNS1_3repE0EEENS1_52radix_sort_onesweep_histogram_config_static_selectorELNS0_4arch9wavefront6targetE0EEEvSD_
	.p2align	8
	.type	_ZN7rocprim17ROCPRIM_400000_NS6detail17trampoline_kernelINS0_14default_configENS1_35radix_sort_onesweep_config_selectorIdNS0_10empty_typeEEEZNS1_34radix_sort_onesweep_global_offsetsIS3_Lb1EPKdPS5_mNS0_19identity_decomposerEEE10hipError_tT1_T2_PT3_SF_jT4_jjP12ihipStream_tbEUlT_E0_NS1_11comp_targetILNS1_3genE2ELNS1_11target_archE906ELNS1_3gpuE6ELNS1_3repE0EEENS1_52radix_sort_onesweep_histogram_config_static_selectorELNS0_4arch9wavefront6targetE0EEEvSD_,@function
_ZN7rocprim17ROCPRIM_400000_NS6detail17trampoline_kernelINS0_14default_configENS1_35radix_sort_onesweep_config_selectorIdNS0_10empty_typeEEEZNS1_34radix_sort_onesweep_global_offsetsIS3_Lb1EPKdPS5_mNS0_19identity_decomposerEEE10hipError_tT1_T2_PT3_SF_jT4_jjP12ihipStream_tbEUlT_E0_NS1_11comp_targetILNS1_3genE2ELNS1_11target_archE906ELNS1_3gpuE6ELNS1_3repE0EEENS1_52radix_sort_onesweep_histogram_config_static_selectorELNS0_4arch9wavefront6targetE0EEEvSD_: ; @_ZN7rocprim17ROCPRIM_400000_NS6detail17trampoline_kernelINS0_14default_configENS1_35radix_sort_onesweep_config_selectorIdNS0_10empty_typeEEEZNS1_34radix_sort_onesweep_global_offsetsIS3_Lb1EPKdPS5_mNS0_19identity_decomposerEEE10hipError_tT1_T2_PT3_SF_jT4_jjP12ihipStream_tbEUlT_E0_NS1_11comp_targetILNS1_3genE2ELNS1_11target_archE906ELNS1_3gpuE6ELNS1_3repE0EEENS1_52radix_sort_onesweep_histogram_config_static_selectorELNS0_4arch9wavefront6targetE0EEEvSD_
; %bb.0:
	.section	.rodata,"a",@progbits
	.p2align	6, 0x0
	.amdhsa_kernel _ZN7rocprim17ROCPRIM_400000_NS6detail17trampoline_kernelINS0_14default_configENS1_35radix_sort_onesweep_config_selectorIdNS0_10empty_typeEEEZNS1_34radix_sort_onesweep_global_offsetsIS3_Lb1EPKdPS5_mNS0_19identity_decomposerEEE10hipError_tT1_T2_PT3_SF_jT4_jjP12ihipStream_tbEUlT_E0_NS1_11comp_targetILNS1_3genE2ELNS1_11target_archE906ELNS1_3gpuE6ELNS1_3repE0EEENS1_52radix_sort_onesweep_histogram_config_static_selectorELNS0_4arch9wavefront6targetE0EEEvSD_
		.amdhsa_group_segment_fixed_size 0
		.amdhsa_private_segment_fixed_size 0
		.amdhsa_kernarg_size 8
		.amdhsa_user_sgpr_count 2
		.amdhsa_user_sgpr_dispatch_ptr 0
		.amdhsa_user_sgpr_queue_ptr 0
		.amdhsa_user_sgpr_kernarg_segment_ptr 1
		.amdhsa_user_sgpr_dispatch_id 0
		.amdhsa_user_sgpr_kernarg_preload_length 0
		.amdhsa_user_sgpr_kernarg_preload_offset 0
		.amdhsa_user_sgpr_private_segment_size 0
		.amdhsa_wavefront_size32 1
		.amdhsa_uses_dynamic_stack 0
		.amdhsa_enable_private_segment 0
		.amdhsa_system_sgpr_workgroup_id_x 1
		.amdhsa_system_sgpr_workgroup_id_y 0
		.amdhsa_system_sgpr_workgroup_id_z 0
		.amdhsa_system_sgpr_workgroup_info 0
		.amdhsa_system_vgpr_workitem_id 0
		.amdhsa_next_free_vgpr 1
		.amdhsa_next_free_sgpr 1
		.amdhsa_named_barrier_count 0
		.amdhsa_reserve_vcc 0
		.amdhsa_float_round_mode_32 0
		.amdhsa_float_round_mode_16_64 0
		.amdhsa_float_denorm_mode_32 3
		.amdhsa_float_denorm_mode_16_64 3
		.amdhsa_fp16_overflow 0
		.amdhsa_memory_ordered 1
		.amdhsa_forward_progress 1
		.amdhsa_inst_pref_size 0
		.amdhsa_round_robin_scheduling 0
		.amdhsa_exception_fp_ieee_invalid_op 0
		.amdhsa_exception_fp_denorm_src 0
		.amdhsa_exception_fp_ieee_div_zero 0
		.amdhsa_exception_fp_ieee_overflow 0
		.amdhsa_exception_fp_ieee_underflow 0
		.amdhsa_exception_fp_ieee_inexact 0
		.amdhsa_exception_int_div_zero 0
	.end_amdhsa_kernel
	.section	.text._ZN7rocprim17ROCPRIM_400000_NS6detail17trampoline_kernelINS0_14default_configENS1_35radix_sort_onesweep_config_selectorIdNS0_10empty_typeEEEZNS1_34radix_sort_onesweep_global_offsetsIS3_Lb1EPKdPS5_mNS0_19identity_decomposerEEE10hipError_tT1_T2_PT3_SF_jT4_jjP12ihipStream_tbEUlT_E0_NS1_11comp_targetILNS1_3genE2ELNS1_11target_archE906ELNS1_3gpuE6ELNS1_3repE0EEENS1_52radix_sort_onesweep_histogram_config_static_selectorELNS0_4arch9wavefront6targetE0EEEvSD_,"axG",@progbits,_ZN7rocprim17ROCPRIM_400000_NS6detail17trampoline_kernelINS0_14default_configENS1_35radix_sort_onesweep_config_selectorIdNS0_10empty_typeEEEZNS1_34radix_sort_onesweep_global_offsetsIS3_Lb1EPKdPS5_mNS0_19identity_decomposerEEE10hipError_tT1_T2_PT3_SF_jT4_jjP12ihipStream_tbEUlT_E0_NS1_11comp_targetILNS1_3genE2ELNS1_11target_archE906ELNS1_3gpuE6ELNS1_3repE0EEENS1_52radix_sort_onesweep_histogram_config_static_selectorELNS0_4arch9wavefront6targetE0EEEvSD_,comdat
.Lfunc_end1504:
	.size	_ZN7rocprim17ROCPRIM_400000_NS6detail17trampoline_kernelINS0_14default_configENS1_35radix_sort_onesweep_config_selectorIdNS0_10empty_typeEEEZNS1_34radix_sort_onesweep_global_offsetsIS3_Lb1EPKdPS5_mNS0_19identity_decomposerEEE10hipError_tT1_T2_PT3_SF_jT4_jjP12ihipStream_tbEUlT_E0_NS1_11comp_targetILNS1_3genE2ELNS1_11target_archE906ELNS1_3gpuE6ELNS1_3repE0EEENS1_52radix_sort_onesweep_histogram_config_static_selectorELNS0_4arch9wavefront6targetE0EEEvSD_, .Lfunc_end1504-_ZN7rocprim17ROCPRIM_400000_NS6detail17trampoline_kernelINS0_14default_configENS1_35radix_sort_onesweep_config_selectorIdNS0_10empty_typeEEEZNS1_34radix_sort_onesweep_global_offsetsIS3_Lb1EPKdPS5_mNS0_19identity_decomposerEEE10hipError_tT1_T2_PT3_SF_jT4_jjP12ihipStream_tbEUlT_E0_NS1_11comp_targetILNS1_3genE2ELNS1_11target_archE906ELNS1_3gpuE6ELNS1_3repE0EEENS1_52radix_sort_onesweep_histogram_config_static_selectorELNS0_4arch9wavefront6targetE0EEEvSD_
                                        ; -- End function
	.set _ZN7rocprim17ROCPRIM_400000_NS6detail17trampoline_kernelINS0_14default_configENS1_35radix_sort_onesweep_config_selectorIdNS0_10empty_typeEEEZNS1_34radix_sort_onesweep_global_offsetsIS3_Lb1EPKdPS5_mNS0_19identity_decomposerEEE10hipError_tT1_T2_PT3_SF_jT4_jjP12ihipStream_tbEUlT_E0_NS1_11comp_targetILNS1_3genE2ELNS1_11target_archE906ELNS1_3gpuE6ELNS1_3repE0EEENS1_52radix_sort_onesweep_histogram_config_static_selectorELNS0_4arch9wavefront6targetE0EEEvSD_.num_vgpr, 0
	.set _ZN7rocprim17ROCPRIM_400000_NS6detail17trampoline_kernelINS0_14default_configENS1_35radix_sort_onesweep_config_selectorIdNS0_10empty_typeEEEZNS1_34radix_sort_onesweep_global_offsetsIS3_Lb1EPKdPS5_mNS0_19identity_decomposerEEE10hipError_tT1_T2_PT3_SF_jT4_jjP12ihipStream_tbEUlT_E0_NS1_11comp_targetILNS1_3genE2ELNS1_11target_archE906ELNS1_3gpuE6ELNS1_3repE0EEENS1_52radix_sort_onesweep_histogram_config_static_selectorELNS0_4arch9wavefront6targetE0EEEvSD_.num_agpr, 0
	.set _ZN7rocprim17ROCPRIM_400000_NS6detail17trampoline_kernelINS0_14default_configENS1_35radix_sort_onesweep_config_selectorIdNS0_10empty_typeEEEZNS1_34radix_sort_onesweep_global_offsetsIS3_Lb1EPKdPS5_mNS0_19identity_decomposerEEE10hipError_tT1_T2_PT3_SF_jT4_jjP12ihipStream_tbEUlT_E0_NS1_11comp_targetILNS1_3genE2ELNS1_11target_archE906ELNS1_3gpuE6ELNS1_3repE0EEENS1_52radix_sort_onesweep_histogram_config_static_selectorELNS0_4arch9wavefront6targetE0EEEvSD_.numbered_sgpr, 0
	.set _ZN7rocprim17ROCPRIM_400000_NS6detail17trampoline_kernelINS0_14default_configENS1_35radix_sort_onesweep_config_selectorIdNS0_10empty_typeEEEZNS1_34radix_sort_onesweep_global_offsetsIS3_Lb1EPKdPS5_mNS0_19identity_decomposerEEE10hipError_tT1_T2_PT3_SF_jT4_jjP12ihipStream_tbEUlT_E0_NS1_11comp_targetILNS1_3genE2ELNS1_11target_archE906ELNS1_3gpuE6ELNS1_3repE0EEENS1_52radix_sort_onesweep_histogram_config_static_selectorELNS0_4arch9wavefront6targetE0EEEvSD_.num_named_barrier, 0
	.set _ZN7rocprim17ROCPRIM_400000_NS6detail17trampoline_kernelINS0_14default_configENS1_35radix_sort_onesweep_config_selectorIdNS0_10empty_typeEEEZNS1_34radix_sort_onesweep_global_offsetsIS3_Lb1EPKdPS5_mNS0_19identity_decomposerEEE10hipError_tT1_T2_PT3_SF_jT4_jjP12ihipStream_tbEUlT_E0_NS1_11comp_targetILNS1_3genE2ELNS1_11target_archE906ELNS1_3gpuE6ELNS1_3repE0EEENS1_52radix_sort_onesweep_histogram_config_static_selectorELNS0_4arch9wavefront6targetE0EEEvSD_.private_seg_size, 0
	.set _ZN7rocprim17ROCPRIM_400000_NS6detail17trampoline_kernelINS0_14default_configENS1_35radix_sort_onesweep_config_selectorIdNS0_10empty_typeEEEZNS1_34radix_sort_onesweep_global_offsetsIS3_Lb1EPKdPS5_mNS0_19identity_decomposerEEE10hipError_tT1_T2_PT3_SF_jT4_jjP12ihipStream_tbEUlT_E0_NS1_11comp_targetILNS1_3genE2ELNS1_11target_archE906ELNS1_3gpuE6ELNS1_3repE0EEENS1_52radix_sort_onesweep_histogram_config_static_selectorELNS0_4arch9wavefront6targetE0EEEvSD_.uses_vcc, 0
	.set _ZN7rocprim17ROCPRIM_400000_NS6detail17trampoline_kernelINS0_14default_configENS1_35radix_sort_onesweep_config_selectorIdNS0_10empty_typeEEEZNS1_34radix_sort_onesweep_global_offsetsIS3_Lb1EPKdPS5_mNS0_19identity_decomposerEEE10hipError_tT1_T2_PT3_SF_jT4_jjP12ihipStream_tbEUlT_E0_NS1_11comp_targetILNS1_3genE2ELNS1_11target_archE906ELNS1_3gpuE6ELNS1_3repE0EEENS1_52radix_sort_onesweep_histogram_config_static_selectorELNS0_4arch9wavefront6targetE0EEEvSD_.uses_flat_scratch, 0
	.set _ZN7rocprim17ROCPRIM_400000_NS6detail17trampoline_kernelINS0_14default_configENS1_35radix_sort_onesweep_config_selectorIdNS0_10empty_typeEEEZNS1_34radix_sort_onesweep_global_offsetsIS3_Lb1EPKdPS5_mNS0_19identity_decomposerEEE10hipError_tT1_T2_PT3_SF_jT4_jjP12ihipStream_tbEUlT_E0_NS1_11comp_targetILNS1_3genE2ELNS1_11target_archE906ELNS1_3gpuE6ELNS1_3repE0EEENS1_52radix_sort_onesweep_histogram_config_static_selectorELNS0_4arch9wavefront6targetE0EEEvSD_.has_dyn_sized_stack, 0
	.set _ZN7rocprim17ROCPRIM_400000_NS6detail17trampoline_kernelINS0_14default_configENS1_35radix_sort_onesweep_config_selectorIdNS0_10empty_typeEEEZNS1_34radix_sort_onesweep_global_offsetsIS3_Lb1EPKdPS5_mNS0_19identity_decomposerEEE10hipError_tT1_T2_PT3_SF_jT4_jjP12ihipStream_tbEUlT_E0_NS1_11comp_targetILNS1_3genE2ELNS1_11target_archE906ELNS1_3gpuE6ELNS1_3repE0EEENS1_52radix_sort_onesweep_histogram_config_static_selectorELNS0_4arch9wavefront6targetE0EEEvSD_.has_recursion, 0
	.set _ZN7rocprim17ROCPRIM_400000_NS6detail17trampoline_kernelINS0_14default_configENS1_35radix_sort_onesweep_config_selectorIdNS0_10empty_typeEEEZNS1_34radix_sort_onesweep_global_offsetsIS3_Lb1EPKdPS5_mNS0_19identity_decomposerEEE10hipError_tT1_T2_PT3_SF_jT4_jjP12ihipStream_tbEUlT_E0_NS1_11comp_targetILNS1_3genE2ELNS1_11target_archE906ELNS1_3gpuE6ELNS1_3repE0EEENS1_52radix_sort_onesweep_histogram_config_static_selectorELNS0_4arch9wavefront6targetE0EEEvSD_.has_indirect_call, 0
	.section	.AMDGPU.csdata,"",@progbits
; Kernel info:
; codeLenInByte = 0
; TotalNumSgprs: 0
; NumVgprs: 0
; ScratchSize: 0
; MemoryBound: 0
; FloatMode: 240
; IeeeMode: 1
; LDSByteSize: 0 bytes/workgroup (compile time only)
; SGPRBlocks: 0
; VGPRBlocks: 0
; NumSGPRsForWavesPerEU: 1
; NumVGPRsForWavesPerEU: 1
; NamedBarCnt: 0
; Occupancy: 16
; WaveLimiterHint : 0
; COMPUTE_PGM_RSRC2:SCRATCH_EN: 0
; COMPUTE_PGM_RSRC2:USER_SGPR: 2
; COMPUTE_PGM_RSRC2:TRAP_HANDLER: 0
; COMPUTE_PGM_RSRC2:TGID_X_EN: 1
; COMPUTE_PGM_RSRC2:TGID_Y_EN: 0
; COMPUTE_PGM_RSRC2:TGID_Z_EN: 0
; COMPUTE_PGM_RSRC2:TIDIG_COMP_CNT: 0
	.section	.text._ZN7rocprim17ROCPRIM_400000_NS6detail17trampoline_kernelINS0_14default_configENS1_35radix_sort_onesweep_config_selectorIdNS0_10empty_typeEEEZNS1_34radix_sort_onesweep_global_offsetsIS3_Lb1EPKdPS5_mNS0_19identity_decomposerEEE10hipError_tT1_T2_PT3_SF_jT4_jjP12ihipStream_tbEUlT_E0_NS1_11comp_targetILNS1_3genE4ELNS1_11target_archE910ELNS1_3gpuE8ELNS1_3repE0EEENS1_52radix_sort_onesweep_histogram_config_static_selectorELNS0_4arch9wavefront6targetE0EEEvSD_,"axG",@progbits,_ZN7rocprim17ROCPRIM_400000_NS6detail17trampoline_kernelINS0_14default_configENS1_35radix_sort_onesweep_config_selectorIdNS0_10empty_typeEEEZNS1_34radix_sort_onesweep_global_offsetsIS3_Lb1EPKdPS5_mNS0_19identity_decomposerEEE10hipError_tT1_T2_PT3_SF_jT4_jjP12ihipStream_tbEUlT_E0_NS1_11comp_targetILNS1_3genE4ELNS1_11target_archE910ELNS1_3gpuE8ELNS1_3repE0EEENS1_52radix_sort_onesweep_histogram_config_static_selectorELNS0_4arch9wavefront6targetE0EEEvSD_,comdat
	.protected	_ZN7rocprim17ROCPRIM_400000_NS6detail17trampoline_kernelINS0_14default_configENS1_35radix_sort_onesweep_config_selectorIdNS0_10empty_typeEEEZNS1_34radix_sort_onesweep_global_offsetsIS3_Lb1EPKdPS5_mNS0_19identity_decomposerEEE10hipError_tT1_T2_PT3_SF_jT4_jjP12ihipStream_tbEUlT_E0_NS1_11comp_targetILNS1_3genE4ELNS1_11target_archE910ELNS1_3gpuE8ELNS1_3repE0EEENS1_52radix_sort_onesweep_histogram_config_static_selectorELNS0_4arch9wavefront6targetE0EEEvSD_ ; -- Begin function _ZN7rocprim17ROCPRIM_400000_NS6detail17trampoline_kernelINS0_14default_configENS1_35radix_sort_onesweep_config_selectorIdNS0_10empty_typeEEEZNS1_34radix_sort_onesweep_global_offsetsIS3_Lb1EPKdPS5_mNS0_19identity_decomposerEEE10hipError_tT1_T2_PT3_SF_jT4_jjP12ihipStream_tbEUlT_E0_NS1_11comp_targetILNS1_3genE4ELNS1_11target_archE910ELNS1_3gpuE8ELNS1_3repE0EEENS1_52radix_sort_onesweep_histogram_config_static_selectorELNS0_4arch9wavefront6targetE0EEEvSD_
	.globl	_ZN7rocprim17ROCPRIM_400000_NS6detail17trampoline_kernelINS0_14default_configENS1_35radix_sort_onesweep_config_selectorIdNS0_10empty_typeEEEZNS1_34radix_sort_onesweep_global_offsetsIS3_Lb1EPKdPS5_mNS0_19identity_decomposerEEE10hipError_tT1_T2_PT3_SF_jT4_jjP12ihipStream_tbEUlT_E0_NS1_11comp_targetILNS1_3genE4ELNS1_11target_archE910ELNS1_3gpuE8ELNS1_3repE0EEENS1_52radix_sort_onesweep_histogram_config_static_selectorELNS0_4arch9wavefront6targetE0EEEvSD_
	.p2align	8
	.type	_ZN7rocprim17ROCPRIM_400000_NS6detail17trampoline_kernelINS0_14default_configENS1_35radix_sort_onesweep_config_selectorIdNS0_10empty_typeEEEZNS1_34radix_sort_onesweep_global_offsetsIS3_Lb1EPKdPS5_mNS0_19identity_decomposerEEE10hipError_tT1_T2_PT3_SF_jT4_jjP12ihipStream_tbEUlT_E0_NS1_11comp_targetILNS1_3genE4ELNS1_11target_archE910ELNS1_3gpuE8ELNS1_3repE0EEENS1_52radix_sort_onesweep_histogram_config_static_selectorELNS0_4arch9wavefront6targetE0EEEvSD_,@function
_ZN7rocprim17ROCPRIM_400000_NS6detail17trampoline_kernelINS0_14default_configENS1_35radix_sort_onesweep_config_selectorIdNS0_10empty_typeEEEZNS1_34radix_sort_onesweep_global_offsetsIS3_Lb1EPKdPS5_mNS0_19identity_decomposerEEE10hipError_tT1_T2_PT3_SF_jT4_jjP12ihipStream_tbEUlT_E0_NS1_11comp_targetILNS1_3genE4ELNS1_11target_archE910ELNS1_3gpuE8ELNS1_3repE0EEENS1_52radix_sort_onesweep_histogram_config_static_selectorELNS0_4arch9wavefront6targetE0EEEvSD_: ; @_ZN7rocprim17ROCPRIM_400000_NS6detail17trampoline_kernelINS0_14default_configENS1_35radix_sort_onesweep_config_selectorIdNS0_10empty_typeEEEZNS1_34radix_sort_onesweep_global_offsetsIS3_Lb1EPKdPS5_mNS0_19identity_decomposerEEE10hipError_tT1_T2_PT3_SF_jT4_jjP12ihipStream_tbEUlT_E0_NS1_11comp_targetILNS1_3genE4ELNS1_11target_archE910ELNS1_3gpuE8ELNS1_3repE0EEENS1_52radix_sort_onesweep_histogram_config_static_selectorELNS0_4arch9wavefront6targetE0EEEvSD_
; %bb.0:
	.section	.rodata,"a",@progbits
	.p2align	6, 0x0
	.amdhsa_kernel _ZN7rocprim17ROCPRIM_400000_NS6detail17trampoline_kernelINS0_14default_configENS1_35radix_sort_onesweep_config_selectorIdNS0_10empty_typeEEEZNS1_34radix_sort_onesweep_global_offsetsIS3_Lb1EPKdPS5_mNS0_19identity_decomposerEEE10hipError_tT1_T2_PT3_SF_jT4_jjP12ihipStream_tbEUlT_E0_NS1_11comp_targetILNS1_3genE4ELNS1_11target_archE910ELNS1_3gpuE8ELNS1_3repE0EEENS1_52radix_sort_onesweep_histogram_config_static_selectorELNS0_4arch9wavefront6targetE0EEEvSD_
		.amdhsa_group_segment_fixed_size 0
		.amdhsa_private_segment_fixed_size 0
		.amdhsa_kernarg_size 8
		.amdhsa_user_sgpr_count 2
		.amdhsa_user_sgpr_dispatch_ptr 0
		.amdhsa_user_sgpr_queue_ptr 0
		.amdhsa_user_sgpr_kernarg_segment_ptr 1
		.amdhsa_user_sgpr_dispatch_id 0
		.amdhsa_user_sgpr_kernarg_preload_length 0
		.amdhsa_user_sgpr_kernarg_preload_offset 0
		.amdhsa_user_sgpr_private_segment_size 0
		.amdhsa_wavefront_size32 1
		.amdhsa_uses_dynamic_stack 0
		.amdhsa_enable_private_segment 0
		.amdhsa_system_sgpr_workgroup_id_x 1
		.amdhsa_system_sgpr_workgroup_id_y 0
		.amdhsa_system_sgpr_workgroup_id_z 0
		.amdhsa_system_sgpr_workgroup_info 0
		.amdhsa_system_vgpr_workitem_id 0
		.amdhsa_next_free_vgpr 1
		.amdhsa_next_free_sgpr 1
		.amdhsa_named_barrier_count 0
		.amdhsa_reserve_vcc 0
		.amdhsa_float_round_mode_32 0
		.amdhsa_float_round_mode_16_64 0
		.amdhsa_float_denorm_mode_32 3
		.amdhsa_float_denorm_mode_16_64 3
		.amdhsa_fp16_overflow 0
		.amdhsa_memory_ordered 1
		.amdhsa_forward_progress 1
		.amdhsa_inst_pref_size 0
		.amdhsa_round_robin_scheduling 0
		.amdhsa_exception_fp_ieee_invalid_op 0
		.amdhsa_exception_fp_denorm_src 0
		.amdhsa_exception_fp_ieee_div_zero 0
		.amdhsa_exception_fp_ieee_overflow 0
		.amdhsa_exception_fp_ieee_underflow 0
		.amdhsa_exception_fp_ieee_inexact 0
		.amdhsa_exception_int_div_zero 0
	.end_amdhsa_kernel
	.section	.text._ZN7rocprim17ROCPRIM_400000_NS6detail17trampoline_kernelINS0_14default_configENS1_35radix_sort_onesweep_config_selectorIdNS0_10empty_typeEEEZNS1_34radix_sort_onesweep_global_offsetsIS3_Lb1EPKdPS5_mNS0_19identity_decomposerEEE10hipError_tT1_T2_PT3_SF_jT4_jjP12ihipStream_tbEUlT_E0_NS1_11comp_targetILNS1_3genE4ELNS1_11target_archE910ELNS1_3gpuE8ELNS1_3repE0EEENS1_52radix_sort_onesweep_histogram_config_static_selectorELNS0_4arch9wavefront6targetE0EEEvSD_,"axG",@progbits,_ZN7rocprim17ROCPRIM_400000_NS6detail17trampoline_kernelINS0_14default_configENS1_35radix_sort_onesweep_config_selectorIdNS0_10empty_typeEEEZNS1_34radix_sort_onesweep_global_offsetsIS3_Lb1EPKdPS5_mNS0_19identity_decomposerEEE10hipError_tT1_T2_PT3_SF_jT4_jjP12ihipStream_tbEUlT_E0_NS1_11comp_targetILNS1_3genE4ELNS1_11target_archE910ELNS1_3gpuE8ELNS1_3repE0EEENS1_52radix_sort_onesweep_histogram_config_static_selectorELNS0_4arch9wavefront6targetE0EEEvSD_,comdat
.Lfunc_end1505:
	.size	_ZN7rocprim17ROCPRIM_400000_NS6detail17trampoline_kernelINS0_14default_configENS1_35radix_sort_onesweep_config_selectorIdNS0_10empty_typeEEEZNS1_34radix_sort_onesweep_global_offsetsIS3_Lb1EPKdPS5_mNS0_19identity_decomposerEEE10hipError_tT1_T2_PT3_SF_jT4_jjP12ihipStream_tbEUlT_E0_NS1_11comp_targetILNS1_3genE4ELNS1_11target_archE910ELNS1_3gpuE8ELNS1_3repE0EEENS1_52radix_sort_onesweep_histogram_config_static_selectorELNS0_4arch9wavefront6targetE0EEEvSD_, .Lfunc_end1505-_ZN7rocprim17ROCPRIM_400000_NS6detail17trampoline_kernelINS0_14default_configENS1_35radix_sort_onesweep_config_selectorIdNS0_10empty_typeEEEZNS1_34radix_sort_onesweep_global_offsetsIS3_Lb1EPKdPS5_mNS0_19identity_decomposerEEE10hipError_tT1_T2_PT3_SF_jT4_jjP12ihipStream_tbEUlT_E0_NS1_11comp_targetILNS1_3genE4ELNS1_11target_archE910ELNS1_3gpuE8ELNS1_3repE0EEENS1_52radix_sort_onesweep_histogram_config_static_selectorELNS0_4arch9wavefront6targetE0EEEvSD_
                                        ; -- End function
	.set _ZN7rocprim17ROCPRIM_400000_NS6detail17trampoline_kernelINS0_14default_configENS1_35radix_sort_onesweep_config_selectorIdNS0_10empty_typeEEEZNS1_34radix_sort_onesweep_global_offsetsIS3_Lb1EPKdPS5_mNS0_19identity_decomposerEEE10hipError_tT1_T2_PT3_SF_jT4_jjP12ihipStream_tbEUlT_E0_NS1_11comp_targetILNS1_3genE4ELNS1_11target_archE910ELNS1_3gpuE8ELNS1_3repE0EEENS1_52radix_sort_onesweep_histogram_config_static_selectorELNS0_4arch9wavefront6targetE0EEEvSD_.num_vgpr, 0
	.set _ZN7rocprim17ROCPRIM_400000_NS6detail17trampoline_kernelINS0_14default_configENS1_35radix_sort_onesweep_config_selectorIdNS0_10empty_typeEEEZNS1_34radix_sort_onesweep_global_offsetsIS3_Lb1EPKdPS5_mNS0_19identity_decomposerEEE10hipError_tT1_T2_PT3_SF_jT4_jjP12ihipStream_tbEUlT_E0_NS1_11comp_targetILNS1_3genE4ELNS1_11target_archE910ELNS1_3gpuE8ELNS1_3repE0EEENS1_52radix_sort_onesweep_histogram_config_static_selectorELNS0_4arch9wavefront6targetE0EEEvSD_.num_agpr, 0
	.set _ZN7rocprim17ROCPRIM_400000_NS6detail17trampoline_kernelINS0_14default_configENS1_35radix_sort_onesweep_config_selectorIdNS0_10empty_typeEEEZNS1_34radix_sort_onesweep_global_offsetsIS3_Lb1EPKdPS5_mNS0_19identity_decomposerEEE10hipError_tT1_T2_PT3_SF_jT4_jjP12ihipStream_tbEUlT_E0_NS1_11comp_targetILNS1_3genE4ELNS1_11target_archE910ELNS1_3gpuE8ELNS1_3repE0EEENS1_52radix_sort_onesweep_histogram_config_static_selectorELNS0_4arch9wavefront6targetE0EEEvSD_.numbered_sgpr, 0
	.set _ZN7rocprim17ROCPRIM_400000_NS6detail17trampoline_kernelINS0_14default_configENS1_35radix_sort_onesweep_config_selectorIdNS0_10empty_typeEEEZNS1_34radix_sort_onesweep_global_offsetsIS3_Lb1EPKdPS5_mNS0_19identity_decomposerEEE10hipError_tT1_T2_PT3_SF_jT4_jjP12ihipStream_tbEUlT_E0_NS1_11comp_targetILNS1_3genE4ELNS1_11target_archE910ELNS1_3gpuE8ELNS1_3repE0EEENS1_52radix_sort_onesweep_histogram_config_static_selectorELNS0_4arch9wavefront6targetE0EEEvSD_.num_named_barrier, 0
	.set _ZN7rocprim17ROCPRIM_400000_NS6detail17trampoline_kernelINS0_14default_configENS1_35radix_sort_onesweep_config_selectorIdNS0_10empty_typeEEEZNS1_34radix_sort_onesweep_global_offsetsIS3_Lb1EPKdPS5_mNS0_19identity_decomposerEEE10hipError_tT1_T2_PT3_SF_jT4_jjP12ihipStream_tbEUlT_E0_NS1_11comp_targetILNS1_3genE4ELNS1_11target_archE910ELNS1_3gpuE8ELNS1_3repE0EEENS1_52radix_sort_onesweep_histogram_config_static_selectorELNS0_4arch9wavefront6targetE0EEEvSD_.private_seg_size, 0
	.set _ZN7rocprim17ROCPRIM_400000_NS6detail17trampoline_kernelINS0_14default_configENS1_35radix_sort_onesweep_config_selectorIdNS0_10empty_typeEEEZNS1_34radix_sort_onesweep_global_offsetsIS3_Lb1EPKdPS5_mNS0_19identity_decomposerEEE10hipError_tT1_T2_PT3_SF_jT4_jjP12ihipStream_tbEUlT_E0_NS1_11comp_targetILNS1_3genE4ELNS1_11target_archE910ELNS1_3gpuE8ELNS1_3repE0EEENS1_52radix_sort_onesweep_histogram_config_static_selectorELNS0_4arch9wavefront6targetE0EEEvSD_.uses_vcc, 0
	.set _ZN7rocprim17ROCPRIM_400000_NS6detail17trampoline_kernelINS0_14default_configENS1_35radix_sort_onesweep_config_selectorIdNS0_10empty_typeEEEZNS1_34radix_sort_onesweep_global_offsetsIS3_Lb1EPKdPS5_mNS0_19identity_decomposerEEE10hipError_tT1_T2_PT3_SF_jT4_jjP12ihipStream_tbEUlT_E0_NS1_11comp_targetILNS1_3genE4ELNS1_11target_archE910ELNS1_3gpuE8ELNS1_3repE0EEENS1_52radix_sort_onesweep_histogram_config_static_selectorELNS0_4arch9wavefront6targetE0EEEvSD_.uses_flat_scratch, 0
	.set _ZN7rocprim17ROCPRIM_400000_NS6detail17trampoline_kernelINS0_14default_configENS1_35radix_sort_onesweep_config_selectorIdNS0_10empty_typeEEEZNS1_34radix_sort_onesweep_global_offsetsIS3_Lb1EPKdPS5_mNS0_19identity_decomposerEEE10hipError_tT1_T2_PT3_SF_jT4_jjP12ihipStream_tbEUlT_E0_NS1_11comp_targetILNS1_3genE4ELNS1_11target_archE910ELNS1_3gpuE8ELNS1_3repE0EEENS1_52radix_sort_onesweep_histogram_config_static_selectorELNS0_4arch9wavefront6targetE0EEEvSD_.has_dyn_sized_stack, 0
	.set _ZN7rocprim17ROCPRIM_400000_NS6detail17trampoline_kernelINS0_14default_configENS1_35radix_sort_onesweep_config_selectorIdNS0_10empty_typeEEEZNS1_34radix_sort_onesweep_global_offsetsIS3_Lb1EPKdPS5_mNS0_19identity_decomposerEEE10hipError_tT1_T2_PT3_SF_jT4_jjP12ihipStream_tbEUlT_E0_NS1_11comp_targetILNS1_3genE4ELNS1_11target_archE910ELNS1_3gpuE8ELNS1_3repE0EEENS1_52radix_sort_onesweep_histogram_config_static_selectorELNS0_4arch9wavefront6targetE0EEEvSD_.has_recursion, 0
	.set _ZN7rocprim17ROCPRIM_400000_NS6detail17trampoline_kernelINS0_14default_configENS1_35radix_sort_onesweep_config_selectorIdNS0_10empty_typeEEEZNS1_34radix_sort_onesweep_global_offsetsIS3_Lb1EPKdPS5_mNS0_19identity_decomposerEEE10hipError_tT1_T2_PT3_SF_jT4_jjP12ihipStream_tbEUlT_E0_NS1_11comp_targetILNS1_3genE4ELNS1_11target_archE910ELNS1_3gpuE8ELNS1_3repE0EEENS1_52radix_sort_onesweep_histogram_config_static_selectorELNS0_4arch9wavefront6targetE0EEEvSD_.has_indirect_call, 0
	.section	.AMDGPU.csdata,"",@progbits
; Kernel info:
; codeLenInByte = 0
; TotalNumSgprs: 0
; NumVgprs: 0
; ScratchSize: 0
; MemoryBound: 0
; FloatMode: 240
; IeeeMode: 1
; LDSByteSize: 0 bytes/workgroup (compile time only)
; SGPRBlocks: 0
; VGPRBlocks: 0
; NumSGPRsForWavesPerEU: 1
; NumVGPRsForWavesPerEU: 1
; NamedBarCnt: 0
; Occupancy: 16
; WaveLimiterHint : 0
; COMPUTE_PGM_RSRC2:SCRATCH_EN: 0
; COMPUTE_PGM_RSRC2:USER_SGPR: 2
; COMPUTE_PGM_RSRC2:TRAP_HANDLER: 0
; COMPUTE_PGM_RSRC2:TGID_X_EN: 1
; COMPUTE_PGM_RSRC2:TGID_Y_EN: 0
; COMPUTE_PGM_RSRC2:TGID_Z_EN: 0
; COMPUTE_PGM_RSRC2:TIDIG_COMP_CNT: 0
	.section	.text._ZN7rocprim17ROCPRIM_400000_NS6detail17trampoline_kernelINS0_14default_configENS1_35radix_sort_onesweep_config_selectorIdNS0_10empty_typeEEEZNS1_34radix_sort_onesweep_global_offsetsIS3_Lb1EPKdPS5_mNS0_19identity_decomposerEEE10hipError_tT1_T2_PT3_SF_jT4_jjP12ihipStream_tbEUlT_E0_NS1_11comp_targetILNS1_3genE3ELNS1_11target_archE908ELNS1_3gpuE7ELNS1_3repE0EEENS1_52radix_sort_onesweep_histogram_config_static_selectorELNS0_4arch9wavefront6targetE0EEEvSD_,"axG",@progbits,_ZN7rocprim17ROCPRIM_400000_NS6detail17trampoline_kernelINS0_14default_configENS1_35radix_sort_onesweep_config_selectorIdNS0_10empty_typeEEEZNS1_34radix_sort_onesweep_global_offsetsIS3_Lb1EPKdPS5_mNS0_19identity_decomposerEEE10hipError_tT1_T2_PT3_SF_jT4_jjP12ihipStream_tbEUlT_E0_NS1_11comp_targetILNS1_3genE3ELNS1_11target_archE908ELNS1_3gpuE7ELNS1_3repE0EEENS1_52radix_sort_onesweep_histogram_config_static_selectorELNS0_4arch9wavefront6targetE0EEEvSD_,comdat
	.protected	_ZN7rocprim17ROCPRIM_400000_NS6detail17trampoline_kernelINS0_14default_configENS1_35radix_sort_onesweep_config_selectorIdNS0_10empty_typeEEEZNS1_34radix_sort_onesweep_global_offsetsIS3_Lb1EPKdPS5_mNS0_19identity_decomposerEEE10hipError_tT1_T2_PT3_SF_jT4_jjP12ihipStream_tbEUlT_E0_NS1_11comp_targetILNS1_3genE3ELNS1_11target_archE908ELNS1_3gpuE7ELNS1_3repE0EEENS1_52radix_sort_onesweep_histogram_config_static_selectorELNS0_4arch9wavefront6targetE0EEEvSD_ ; -- Begin function _ZN7rocprim17ROCPRIM_400000_NS6detail17trampoline_kernelINS0_14default_configENS1_35radix_sort_onesweep_config_selectorIdNS0_10empty_typeEEEZNS1_34radix_sort_onesweep_global_offsetsIS3_Lb1EPKdPS5_mNS0_19identity_decomposerEEE10hipError_tT1_T2_PT3_SF_jT4_jjP12ihipStream_tbEUlT_E0_NS1_11comp_targetILNS1_3genE3ELNS1_11target_archE908ELNS1_3gpuE7ELNS1_3repE0EEENS1_52radix_sort_onesweep_histogram_config_static_selectorELNS0_4arch9wavefront6targetE0EEEvSD_
	.globl	_ZN7rocprim17ROCPRIM_400000_NS6detail17trampoline_kernelINS0_14default_configENS1_35radix_sort_onesweep_config_selectorIdNS0_10empty_typeEEEZNS1_34radix_sort_onesweep_global_offsetsIS3_Lb1EPKdPS5_mNS0_19identity_decomposerEEE10hipError_tT1_T2_PT3_SF_jT4_jjP12ihipStream_tbEUlT_E0_NS1_11comp_targetILNS1_3genE3ELNS1_11target_archE908ELNS1_3gpuE7ELNS1_3repE0EEENS1_52radix_sort_onesweep_histogram_config_static_selectorELNS0_4arch9wavefront6targetE0EEEvSD_
	.p2align	8
	.type	_ZN7rocprim17ROCPRIM_400000_NS6detail17trampoline_kernelINS0_14default_configENS1_35radix_sort_onesweep_config_selectorIdNS0_10empty_typeEEEZNS1_34radix_sort_onesweep_global_offsetsIS3_Lb1EPKdPS5_mNS0_19identity_decomposerEEE10hipError_tT1_T2_PT3_SF_jT4_jjP12ihipStream_tbEUlT_E0_NS1_11comp_targetILNS1_3genE3ELNS1_11target_archE908ELNS1_3gpuE7ELNS1_3repE0EEENS1_52radix_sort_onesweep_histogram_config_static_selectorELNS0_4arch9wavefront6targetE0EEEvSD_,@function
_ZN7rocprim17ROCPRIM_400000_NS6detail17trampoline_kernelINS0_14default_configENS1_35radix_sort_onesweep_config_selectorIdNS0_10empty_typeEEEZNS1_34radix_sort_onesweep_global_offsetsIS3_Lb1EPKdPS5_mNS0_19identity_decomposerEEE10hipError_tT1_T2_PT3_SF_jT4_jjP12ihipStream_tbEUlT_E0_NS1_11comp_targetILNS1_3genE3ELNS1_11target_archE908ELNS1_3gpuE7ELNS1_3repE0EEENS1_52radix_sort_onesweep_histogram_config_static_selectorELNS0_4arch9wavefront6targetE0EEEvSD_: ; @_ZN7rocprim17ROCPRIM_400000_NS6detail17trampoline_kernelINS0_14default_configENS1_35radix_sort_onesweep_config_selectorIdNS0_10empty_typeEEEZNS1_34radix_sort_onesweep_global_offsetsIS3_Lb1EPKdPS5_mNS0_19identity_decomposerEEE10hipError_tT1_T2_PT3_SF_jT4_jjP12ihipStream_tbEUlT_E0_NS1_11comp_targetILNS1_3genE3ELNS1_11target_archE908ELNS1_3gpuE7ELNS1_3repE0EEENS1_52radix_sort_onesweep_histogram_config_static_selectorELNS0_4arch9wavefront6targetE0EEEvSD_
; %bb.0:
	.section	.rodata,"a",@progbits
	.p2align	6, 0x0
	.amdhsa_kernel _ZN7rocprim17ROCPRIM_400000_NS6detail17trampoline_kernelINS0_14default_configENS1_35radix_sort_onesweep_config_selectorIdNS0_10empty_typeEEEZNS1_34radix_sort_onesweep_global_offsetsIS3_Lb1EPKdPS5_mNS0_19identity_decomposerEEE10hipError_tT1_T2_PT3_SF_jT4_jjP12ihipStream_tbEUlT_E0_NS1_11comp_targetILNS1_3genE3ELNS1_11target_archE908ELNS1_3gpuE7ELNS1_3repE0EEENS1_52radix_sort_onesweep_histogram_config_static_selectorELNS0_4arch9wavefront6targetE0EEEvSD_
		.amdhsa_group_segment_fixed_size 0
		.amdhsa_private_segment_fixed_size 0
		.amdhsa_kernarg_size 8
		.amdhsa_user_sgpr_count 2
		.amdhsa_user_sgpr_dispatch_ptr 0
		.amdhsa_user_sgpr_queue_ptr 0
		.amdhsa_user_sgpr_kernarg_segment_ptr 1
		.amdhsa_user_sgpr_dispatch_id 0
		.amdhsa_user_sgpr_kernarg_preload_length 0
		.amdhsa_user_sgpr_kernarg_preload_offset 0
		.amdhsa_user_sgpr_private_segment_size 0
		.amdhsa_wavefront_size32 1
		.amdhsa_uses_dynamic_stack 0
		.amdhsa_enable_private_segment 0
		.amdhsa_system_sgpr_workgroup_id_x 1
		.amdhsa_system_sgpr_workgroup_id_y 0
		.amdhsa_system_sgpr_workgroup_id_z 0
		.amdhsa_system_sgpr_workgroup_info 0
		.amdhsa_system_vgpr_workitem_id 0
		.amdhsa_next_free_vgpr 1
		.amdhsa_next_free_sgpr 1
		.amdhsa_named_barrier_count 0
		.amdhsa_reserve_vcc 0
		.amdhsa_float_round_mode_32 0
		.amdhsa_float_round_mode_16_64 0
		.amdhsa_float_denorm_mode_32 3
		.amdhsa_float_denorm_mode_16_64 3
		.amdhsa_fp16_overflow 0
		.amdhsa_memory_ordered 1
		.amdhsa_forward_progress 1
		.amdhsa_inst_pref_size 0
		.amdhsa_round_robin_scheduling 0
		.amdhsa_exception_fp_ieee_invalid_op 0
		.amdhsa_exception_fp_denorm_src 0
		.amdhsa_exception_fp_ieee_div_zero 0
		.amdhsa_exception_fp_ieee_overflow 0
		.amdhsa_exception_fp_ieee_underflow 0
		.amdhsa_exception_fp_ieee_inexact 0
		.amdhsa_exception_int_div_zero 0
	.end_amdhsa_kernel
	.section	.text._ZN7rocprim17ROCPRIM_400000_NS6detail17trampoline_kernelINS0_14default_configENS1_35radix_sort_onesweep_config_selectorIdNS0_10empty_typeEEEZNS1_34radix_sort_onesweep_global_offsetsIS3_Lb1EPKdPS5_mNS0_19identity_decomposerEEE10hipError_tT1_T2_PT3_SF_jT4_jjP12ihipStream_tbEUlT_E0_NS1_11comp_targetILNS1_3genE3ELNS1_11target_archE908ELNS1_3gpuE7ELNS1_3repE0EEENS1_52radix_sort_onesweep_histogram_config_static_selectorELNS0_4arch9wavefront6targetE0EEEvSD_,"axG",@progbits,_ZN7rocprim17ROCPRIM_400000_NS6detail17trampoline_kernelINS0_14default_configENS1_35radix_sort_onesweep_config_selectorIdNS0_10empty_typeEEEZNS1_34radix_sort_onesweep_global_offsetsIS3_Lb1EPKdPS5_mNS0_19identity_decomposerEEE10hipError_tT1_T2_PT3_SF_jT4_jjP12ihipStream_tbEUlT_E0_NS1_11comp_targetILNS1_3genE3ELNS1_11target_archE908ELNS1_3gpuE7ELNS1_3repE0EEENS1_52radix_sort_onesweep_histogram_config_static_selectorELNS0_4arch9wavefront6targetE0EEEvSD_,comdat
.Lfunc_end1506:
	.size	_ZN7rocprim17ROCPRIM_400000_NS6detail17trampoline_kernelINS0_14default_configENS1_35radix_sort_onesweep_config_selectorIdNS0_10empty_typeEEEZNS1_34radix_sort_onesweep_global_offsetsIS3_Lb1EPKdPS5_mNS0_19identity_decomposerEEE10hipError_tT1_T2_PT3_SF_jT4_jjP12ihipStream_tbEUlT_E0_NS1_11comp_targetILNS1_3genE3ELNS1_11target_archE908ELNS1_3gpuE7ELNS1_3repE0EEENS1_52radix_sort_onesweep_histogram_config_static_selectorELNS0_4arch9wavefront6targetE0EEEvSD_, .Lfunc_end1506-_ZN7rocprim17ROCPRIM_400000_NS6detail17trampoline_kernelINS0_14default_configENS1_35radix_sort_onesweep_config_selectorIdNS0_10empty_typeEEEZNS1_34radix_sort_onesweep_global_offsetsIS3_Lb1EPKdPS5_mNS0_19identity_decomposerEEE10hipError_tT1_T2_PT3_SF_jT4_jjP12ihipStream_tbEUlT_E0_NS1_11comp_targetILNS1_3genE3ELNS1_11target_archE908ELNS1_3gpuE7ELNS1_3repE0EEENS1_52radix_sort_onesweep_histogram_config_static_selectorELNS0_4arch9wavefront6targetE0EEEvSD_
                                        ; -- End function
	.set _ZN7rocprim17ROCPRIM_400000_NS6detail17trampoline_kernelINS0_14default_configENS1_35radix_sort_onesweep_config_selectorIdNS0_10empty_typeEEEZNS1_34radix_sort_onesweep_global_offsetsIS3_Lb1EPKdPS5_mNS0_19identity_decomposerEEE10hipError_tT1_T2_PT3_SF_jT4_jjP12ihipStream_tbEUlT_E0_NS1_11comp_targetILNS1_3genE3ELNS1_11target_archE908ELNS1_3gpuE7ELNS1_3repE0EEENS1_52radix_sort_onesweep_histogram_config_static_selectorELNS0_4arch9wavefront6targetE0EEEvSD_.num_vgpr, 0
	.set _ZN7rocprim17ROCPRIM_400000_NS6detail17trampoline_kernelINS0_14default_configENS1_35radix_sort_onesweep_config_selectorIdNS0_10empty_typeEEEZNS1_34radix_sort_onesweep_global_offsetsIS3_Lb1EPKdPS5_mNS0_19identity_decomposerEEE10hipError_tT1_T2_PT3_SF_jT4_jjP12ihipStream_tbEUlT_E0_NS1_11comp_targetILNS1_3genE3ELNS1_11target_archE908ELNS1_3gpuE7ELNS1_3repE0EEENS1_52radix_sort_onesweep_histogram_config_static_selectorELNS0_4arch9wavefront6targetE0EEEvSD_.num_agpr, 0
	.set _ZN7rocprim17ROCPRIM_400000_NS6detail17trampoline_kernelINS0_14default_configENS1_35radix_sort_onesweep_config_selectorIdNS0_10empty_typeEEEZNS1_34radix_sort_onesweep_global_offsetsIS3_Lb1EPKdPS5_mNS0_19identity_decomposerEEE10hipError_tT1_T2_PT3_SF_jT4_jjP12ihipStream_tbEUlT_E0_NS1_11comp_targetILNS1_3genE3ELNS1_11target_archE908ELNS1_3gpuE7ELNS1_3repE0EEENS1_52radix_sort_onesweep_histogram_config_static_selectorELNS0_4arch9wavefront6targetE0EEEvSD_.numbered_sgpr, 0
	.set _ZN7rocprim17ROCPRIM_400000_NS6detail17trampoline_kernelINS0_14default_configENS1_35radix_sort_onesweep_config_selectorIdNS0_10empty_typeEEEZNS1_34radix_sort_onesweep_global_offsetsIS3_Lb1EPKdPS5_mNS0_19identity_decomposerEEE10hipError_tT1_T2_PT3_SF_jT4_jjP12ihipStream_tbEUlT_E0_NS1_11comp_targetILNS1_3genE3ELNS1_11target_archE908ELNS1_3gpuE7ELNS1_3repE0EEENS1_52radix_sort_onesweep_histogram_config_static_selectorELNS0_4arch9wavefront6targetE0EEEvSD_.num_named_barrier, 0
	.set _ZN7rocprim17ROCPRIM_400000_NS6detail17trampoline_kernelINS0_14default_configENS1_35radix_sort_onesweep_config_selectorIdNS0_10empty_typeEEEZNS1_34radix_sort_onesweep_global_offsetsIS3_Lb1EPKdPS5_mNS0_19identity_decomposerEEE10hipError_tT1_T2_PT3_SF_jT4_jjP12ihipStream_tbEUlT_E0_NS1_11comp_targetILNS1_3genE3ELNS1_11target_archE908ELNS1_3gpuE7ELNS1_3repE0EEENS1_52radix_sort_onesweep_histogram_config_static_selectorELNS0_4arch9wavefront6targetE0EEEvSD_.private_seg_size, 0
	.set _ZN7rocprim17ROCPRIM_400000_NS6detail17trampoline_kernelINS0_14default_configENS1_35radix_sort_onesweep_config_selectorIdNS0_10empty_typeEEEZNS1_34radix_sort_onesweep_global_offsetsIS3_Lb1EPKdPS5_mNS0_19identity_decomposerEEE10hipError_tT1_T2_PT3_SF_jT4_jjP12ihipStream_tbEUlT_E0_NS1_11comp_targetILNS1_3genE3ELNS1_11target_archE908ELNS1_3gpuE7ELNS1_3repE0EEENS1_52radix_sort_onesweep_histogram_config_static_selectorELNS0_4arch9wavefront6targetE0EEEvSD_.uses_vcc, 0
	.set _ZN7rocprim17ROCPRIM_400000_NS6detail17trampoline_kernelINS0_14default_configENS1_35radix_sort_onesweep_config_selectorIdNS0_10empty_typeEEEZNS1_34radix_sort_onesweep_global_offsetsIS3_Lb1EPKdPS5_mNS0_19identity_decomposerEEE10hipError_tT1_T2_PT3_SF_jT4_jjP12ihipStream_tbEUlT_E0_NS1_11comp_targetILNS1_3genE3ELNS1_11target_archE908ELNS1_3gpuE7ELNS1_3repE0EEENS1_52radix_sort_onesweep_histogram_config_static_selectorELNS0_4arch9wavefront6targetE0EEEvSD_.uses_flat_scratch, 0
	.set _ZN7rocprim17ROCPRIM_400000_NS6detail17trampoline_kernelINS0_14default_configENS1_35radix_sort_onesweep_config_selectorIdNS0_10empty_typeEEEZNS1_34radix_sort_onesweep_global_offsetsIS3_Lb1EPKdPS5_mNS0_19identity_decomposerEEE10hipError_tT1_T2_PT3_SF_jT4_jjP12ihipStream_tbEUlT_E0_NS1_11comp_targetILNS1_3genE3ELNS1_11target_archE908ELNS1_3gpuE7ELNS1_3repE0EEENS1_52radix_sort_onesweep_histogram_config_static_selectorELNS0_4arch9wavefront6targetE0EEEvSD_.has_dyn_sized_stack, 0
	.set _ZN7rocprim17ROCPRIM_400000_NS6detail17trampoline_kernelINS0_14default_configENS1_35radix_sort_onesweep_config_selectorIdNS0_10empty_typeEEEZNS1_34radix_sort_onesweep_global_offsetsIS3_Lb1EPKdPS5_mNS0_19identity_decomposerEEE10hipError_tT1_T2_PT3_SF_jT4_jjP12ihipStream_tbEUlT_E0_NS1_11comp_targetILNS1_3genE3ELNS1_11target_archE908ELNS1_3gpuE7ELNS1_3repE0EEENS1_52radix_sort_onesweep_histogram_config_static_selectorELNS0_4arch9wavefront6targetE0EEEvSD_.has_recursion, 0
	.set _ZN7rocprim17ROCPRIM_400000_NS6detail17trampoline_kernelINS0_14default_configENS1_35radix_sort_onesweep_config_selectorIdNS0_10empty_typeEEEZNS1_34radix_sort_onesweep_global_offsetsIS3_Lb1EPKdPS5_mNS0_19identity_decomposerEEE10hipError_tT1_T2_PT3_SF_jT4_jjP12ihipStream_tbEUlT_E0_NS1_11comp_targetILNS1_3genE3ELNS1_11target_archE908ELNS1_3gpuE7ELNS1_3repE0EEENS1_52radix_sort_onesweep_histogram_config_static_selectorELNS0_4arch9wavefront6targetE0EEEvSD_.has_indirect_call, 0
	.section	.AMDGPU.csdata,"",@progbits
; Kernel info:
; codeLenInByte = 0
; TotalNumSgprs: 0
; NumVgprs: 0
; ScratchSize: 0
; MemoryBound: 0
; FloatMode: 240
; IeeeMode: 1
; LDSByteSize: 0 bytes/workgroup (compile time only)
; SGPRBlocks: 0
; VGPRBlocks: 0
; NumSGPRsForWavesPerEU: 1
; NumVGPRsForWavesPerEU: 1
; NamedBarCnt: 0
; Occupancy: 16
; WaveLimiterHint : 0
; COMPUTE_PGM_RSRC2:SCRATCH_EN: 0
; COMPUTE_PGM_RSRC2:USER_SGPR: 2
; COMPUTE_PGM_RSRC2:TRAP_HANDLER: 0
; COMPUTE_PGM_RSRC2:TGID_X_EN: 1
; COMPUTE_PGM_RSRC2:TGID_Y_EN: 0
; COMPUTE_PGM_RSRC2:TGID_Z_EN: 0
; COMPUTE_PGM_RSRC2:TIDIG_COMP_CNT: 0
	.section	.text._ZN7rocprim17ROCPRIM_400000_NS6detail17trampoline_kernelINS0_14default_configENS1_35radix_sort_onesweep_config_selectorIdNS0_10empty_typeEEEZNS1_34radix_sort_onesweep_global_offsetsIS3_Lb1EPKdPS5_mNS0_19identity_decomposerEEE10hipError_tT1_T2_PT3_SF_jT4_jjP12ihipStream_tbEUlT_E0_NS1_11comp_targetILNS1_3genE10ELNS1_11target_archE1201ELNS1_3gpuE5ELNS1_3repE0EEENS1_52radix_sort_onesweep_histogram_config_static_selectorELNS0_4arch9wavefront6targetE0EEEvSD_,"axG",@progbits,_ZN7rocprim17ROCPRIM_400000_NS6detail17trampoline_kernelINS0_14default_configENS1_35radix_sort_onesweep_config_selectorIdNS0_10empty_typeEEEZNS1_34radix_sort_onesweep_global_offsetsIS3_Lb1EPKdPS5_mNS0_19identity_decomposerEEE10hipError_tT1_T2_PT3_SF_jT4_jjP12ihipStream_tbEUlT_E0_NS1_11comp_targetILNS1_3genE10ELNS1_11target_archE1201ELNS1_3gpuE5ELNS1_3repE0EEENS1_52radix_sort_onesweep_histogram_config_static_selectorELNS0_4arch9wavefront6targetE0EEEvSD_,comdat
	.protected	_ZN7rocprim17ROCPRIM_400000_NS6detail17trampoline_kernelINS0_14default_configENS1_35radix_sort_onesweep_config_selectorIdNS0_10empty_typeEEEZNS1_34radix_sort_onesweep_global_offsetsIS3_Lb1EPKdPS5_mNS0_19identity_decomposerEEE10hipError_tT1_T2_PT3_SF_jT4_jjP12ihipStream_tbEUlT_E0_NS1_11comp_targetILNS1_3genE10ELNS1_11target_archE1201ELNS1_3gpuE5ELNS1_3repE0EEENS1_52radix_sort_onesweep_histogram_config_static_selectorELNS0_4arch9wavefront6targetE0EEEvSD_ ; -- Begin function _ZN7rocprim17ROCPRIM_400000_NS6detail17trampoline_kernelINS0_14default_configENS1_35radix_sort_onesweep_config_selectorIdNS0_10empty_typeEEEZNS1_34radix_sort_onesweep_global_offsetsIS3_Lb1EPKdPS5_mNS0_19identity_decomposerEEE10hipError_tT1_T2_PT3_SF_jT4_jjP12ihipStream_tbEUlT_E0_NS1_11comp_targetILNS1_3genE10ELNS1_11target_archE1201ELNS1_3gpuE5ELNS1_3repE0EEENS1_52radix_sort_onesweep_histogram_config_static_selectorELNS0_4arch9wavefront6targetE0EEEvSD_
	.globl	_ZN7rocprim17ROCPRIM_400000_NS6detail17trampoline_kernelINS0_14default_configENS1_35radix_sort_onesweep_config_selectorIdNS0_10empty_typeEEEZNS1_34radix_sort_onesweep_global_offsetsIS3_Lb1EPKdPS5_mNS0_19identity_decomposerEEE10hipError_tT1_T2_PT3_SF_jT4_jjP12ihipStream_tbEUlT_E0_NS1_11comp_targetILNS1_3genE10ELNS1_11target_archE1201ELNS1_3gpuE5ELNS1_3repE0EEENS1_52radix_sort_onesweep_histogram_config_static_selectorELNS0_4arch9wavefront6targetE0EEEvSD_
	.p2align	8
	.type	_ZN7rocprim17ROCPRIM_400000_NS6detail17trampoline_kernelINS0_14default_configENS1_35radix_sort_onesweep_config_selectorIdNS0_10empty_typeEEEZNS1_34radix_sort_onesweep_global_offsetsIS3_Lb1EPKdPS5_mNS0_19identity_decomposerEEE10hipError_tT1_T2_PT3_SF_jT4_jjP12ihipStream_tbEUlT_E0_NS1_11comp_targetILNS1_3genE10ELNS1_11target_archE1201ELNS1_3gpuE5ELNS1_3repE0EEENS1_52radix_sort_onesweep_histogram_config_static_selectorELNS0_4arch9wavefront6targetE0EEEvSD_,@function
_ZN7rocprim17ROCPRIM_400000_NS6detail17trampoline_kernelINS0_14default_configENS1_35radix_sort_onesweep_config_selectorIdNS0_10empty_typeEEEZNS1_34radix_sort_onesweep_global_offsetsIS3_Lb1EPKdPS5_mNS0_19identity_decomposerEEE10hipError_tT1_T2_PT3_SF_jT4_jjP12ihipStream_tbEUlT_E0_NS1_11comp_targetILNS1_3genE10ELNS1_11target_archE1201ELNS1_3gpuE5ELNS1_3repE0EEENS1_52radix_sort_onesweep_histogram_config_static_selectorELNS0_4arch9wavefront6targetE0EEEvSD_: ; @_ZN7rocprim17ROCPRIM_400000_NS6detail17trampoline_kernelINS0_14default_configENS1_35radix_sort_onesweep_config_selectorIdNS0_10empty_typeEEEZNS1_34radix_sort_onesweep_global_offsetsIS3_Lb1EPKdPS5_mNS0_19identity_decomposerEEE10hipError_tT1_T2_PT3_SF_jT4_jjP12ihipStream_tbEUlT_E0_NS1_11comp_targetILNS1_3genE10ELNS1_11target_archE1201ELNS1_3gpuE5ELNS1_3repE0EEENS1_52radix_sort_onesweep_histogram_config_static_selectorELNS0_4arch9wavefront6targetE0EEEvSD_
; %bb.0:
	.section	.rodata,"a",@progbits
	.p2align	6, 0x0
	.amdhsa_kernel _ZN7rocprim17ROCPRIM_400000_NS6detail17trampoline_kernelINS0_14default_configENS1_35radix_sort_onesweep_config_selectorIdNS0_10empty_typeEEEZNS1_34radix_sort_onesweep_global_offsetsIS3_Lb1EPKdPS5_mNS0_19identity_decomposerEEE10hipError_tT1_T2_PT3_SF_jT4_jjP12ihipStream_tbEUlT_E0_NS1_11comp_targetILNS1_3genE10ELNS1_11target_archE1201ELNS1_3gpuE5ELNS1_3repE0EEENS1_52radix_sort_onesweep_histogram_config_static_selectorELNS0_4arch9wavefront6targetE0EEEvSD_
		.amdhsa_group_segment_fixed_size 0
		.amdhsa_private_segment_fixed_size 0
		.amdhsa_kernarg_size 8
		.amdhsa_user_sgpr_count 2
		.amdhsa_user_sgpr_dispatch_ptr 0
		.amdhsa_user_sgpr_queue_ptr 0
		.amdhsa_user_sgpr_kernarg_segment_ptr 1
		.amdhsa_user_sgpr_dispatch_id 0
		.amdhsa_user_sgpr_kernarg_preload_length 0
		.amdhsa_user_sgpr_kernarg_preload_offset 0
		.amdhsa_user_sgpr_private_segment_size 0
		.amdhsa_wavefront_size32 1
		.amdhsa_uses_dynamic_stack 0
		.amdhsa_enable_private_segment 0
		.amdhsa_system_sgpr_workgroup_id_x 1
		.amdhsa_system_sgpr_workgroup_id_y 0
		.amdhsa_system_sgpr_workgroup_id_z 0
		.amdhsa_system_sgpr_workgroup_info 0
		.amdhsa_system_vgpr_workitem_id 0
		.amdhsa_next_free_vgpr 1
		.amdhsa_next_free_sgpr 1
		.amdhsa_named_barrier_count 0
		.amdhsa_reserve_vcc 0
		.amdhsa_float_round_mode_32 0
		.amdhsa_float_round_mode_16_64 0
		.amdhsa_float_denorm_mode_32 3
		.amdhsa_float_denorm_mode_16_64 3
		.amdhsa_fp16_overflow 0
		.amdhsa_memory_ordered 1
		.amdhsa_forward_progress 1
		.amdhsa_inst_pref_size 0
		.amdhsa_round_robin_scheduling 0
		.amdhsa_exception_fp_ieee_invalid_op 0
		.amdhsa_exception_fp_denorm_src 0
		.amdhsa_exception_fp_ieee_div_zero 0
		.amdhsa_exception_fp_ieee_overflow 0
		.amdhsa_exception_fp_ieee_underflow 0
		.amdhsa_exception_fp_ieee_inexact 0
		.amdhsa_exception_int_div_zero 0
	.end_amdhsa_kernel
	.section	.text._ZN7rocprim17ROCPRIM_400000_NS6detail17trampoline_kernelINS0_14default_configENS1_35radix_sort_onesweep_config_selectorIdNS0_10empty_typeEEEZNS1_34radix_sort_onesweep_global_offsetsIS3_Lb1EPKdPS5_mNS0_19identity_decomposerEEE10hipError_tT1_T2_PT3_SF_jT4_jjP12ihipStream_tbEUlT_E0_NS1_11comp_targetILNS1_3genE10ELNS1_11target_archE1201ELNS1_3gpuE5ELNS1_3repE0EEENS1_52radix_sort_onesweep_histogram_config_static_selectorELNS0_4arch9wavefront6targetE0EEEvSD_,"axG",@progbits,_ZN7rocprim17ROCPRIM_400000_NS6detail17trampoline_kernelINS0_14default_configENS1_35radix_sort_onesweep_config_selectorIdNS0_10empty_typeEEEZNS1_34radix_sort_onesweep_global_offsetsIS3_Lb1EPKdPS5_mNS0_19identity_decomposerEEE10hipError_tT1_T2_PT3_SF_jT4_jjP12ihipStream_tbEUlT_E0_NS1_11comp_targetILNS1_3genE10ELNS1_11target_archE1201ELNS1_3gpuE5ELNS1_3repE0EEENS1_52radix_sort_onesweep_histogram_config_static_selectorELNS0_4arch9wavefront6targetE0EEEvSD_,comdat
.Lfunc_end1507:
	.size	_ZN7rocprim17ROCPRIM_400000_NS6detail17trampoline_kernelINS0_14default_configENS1_35radix_sort_onesweep_config_selectorIdNS0_10empty_typeEEEZNS1_34radix_sort_onesweep_global_offsetsIS3_Lb1EPKdPS5_mNS0_19identity_decomposerEEE10hipError_tT1_T2_PT3_SF_jT4_jjP12ihipStream_tbEUlT_E0_NS1_11comp_targetILNS1_3genE10ELNS1_11target_archE1201ELNS1_3gpuE5ELNS1_3repE0EEENS1_52radix_sort_onesweep_histogram_config_static_selectorELNS0_4arch9wavefront6targetE0EEEvSD_, .Lfunc_end1507-_ZN7rocprim17ROCPRIM_400000_NS6detail17trampoline_kernelINS0_14default_configENS1_35radix_sort_onesweep_config_selectorIdNS0_10empty_typeEEEZNS1_34radix_sort_onesweep_global_offsetsIS3_Lb1EPKdPS5_mNS0_19identity_decomposerEEE10hipError_tT1_T2_PT3_SF_jT4_jjP12ihipStream_tbEUlT_E0_NS1_11comp_targetILNS1_3genE10ELNS1_11target_archE1201ELNS1_3gpuE5ELNS1_3repE0EEENS1_52radix_sort_onesweep_histogram_config_static_selectorELNS0_4arch9wavefront6targetE0EEEvSD_
                                        ; -- End function
	.set _ZN7rocprim17ROCPRIM_400000_NS6detail17trampoline_kernelINS0_14default_configENS1_35radix_sort_onesweep_config_selectorIdNS0_10empty_typeEEEZNS1_34radix_sort_onesweep_global_offsetsIS3_Lb1EPKdPS5_mNS0_19identity_decomposerEEE10hipError_tT1_T2_PT3_SF_jT4_jjP12ihipStream_tbEUlT_E0_NS1_11comp_targetILNS1_3genE10ELNS1_11target_archE1201ELNS1_3gpuE5ELNS1_3repE0EEENS1_52radix_sort_onesweep_histogram_config_static_selectorELNS0_4arch9wavefront6targetE0EEEvSD_.num_vgpr, 0
	.set _ZN7rocprim17ROCPRIM_400000_NS6detail17trampoline_kernelINS0_14default_configENS1_35radix_sort_onesweep_config_selectorIdNS0_10empty_typeEEEZNS1_34radix_sort_onesweep_global_offsetsIS3_Lb1EPKdPS5_mNS0_19identity_decomposerEEE10hipError_tT1_T2_PT3_SF_jT4_jjP12ihipStream_tbEUlT_E0_NS1_11comp_targetILNS1_3genE10ELNS1_11target_archE1201ELNS1_3gpuE5ELNS1_3repE0EEENS1_52radix_sort_onesweep_histogram_config_static_selectorELNS0_4arch9wavefront6targetE0EEEvSD_.num_agpr, 0
	.set _ZN7rocprim17ROCPRIM_400000_NS6detail17trampoline_kernelINS0_14default_configENS1_35radix_sort_onesweep_config_selectorIdNS0_10empty_typeEEEZNS1_34radix_sort_onesweep_global_offsetsIS3_Lb1EPKdPS5_mNS0_19identity_decomposerEEE10hipError_tT1_T2_PT3_SF_jT4_jjP12ihipStream_tbEUlT_E0_NS1_11comp_targetILNS1_3genE10ELNS1_11target_archE1201ELNS1_3gpuE5ELNS1_3repE0EEENS1_52radix_sort_onesweep_histogram_config_static_selectorELNS0_4arch9wavefront6targetE0EEEvSD_.numbered_sgpr, 0
	.set _ZN7rocprim17ROCPRIM_400000_NS6detail17trampoline_kernelINS0_14default_configENS1_35radix_sort_onesweep_config_selectorIdNS0_10empty_typeEEEZNS1_34radix_sort_onesweep_global_offsetsIS3_Lb1EPKdPS5_mNS0_19identity_decomposerEEE10hipError_tT1_T2_PT3_SF_jT4_jjP12ihipStream_tbEUlT_E0_NS1_11comp_targetILNS1_3genE10ELNS1_11target_archE1201ELNS1_3gpuE5ELNS1_3repE0EEENS1_52radix_sort_onesweep_histogram_config_static_selectorELNS0_4arch9wavefront6targetE0EEEvSD_.num_named_barrier, 0
	.set _ZN7rocprim17ROCPRIM_400000_NS6detail17trampoline_kernelINS0_14default_configENS1_35radix_sort_onesweep_config_selectorIdNS0_10empty_typeEEEZNS1_34radix_sort_onesweep_global_offsetsIS3_Lb1EPKdPS5_mNS0_19identity_decomposerEEE10hipError_tT1_T2_PT3_SF_jT4_jjP12ihipStream_tbEUlT_E0_NS1_11comp_targetILNS1_3genE10ELNS1_11target_archE1201ELNS1_3gpuE5ELNS1_3repE0EEENS1_52radix_sort_onesweep_histogram_config_static_selectorELNS0_4arch9wavefront6targetE0EEEvSD_.private_seg_size, 0
	.set _ZN7rocprim17ROCPRIM_400000_NS6detail17trampoline_kernelINS0_14default_configENS1_35radix_sort_onesweep_config_selectorIdNS0_10empty_typeEEEZNS1_34radix_sort_onesweep_global_offsetsIS3_Lb1EPKdPS5_mNS0_19identity_decomposerEEE10hipError_tT1_T2_PT3_SF_jT4_jjP12ihipStream_tbEUlT_E0_NS1_11comp_targetILNS1_3genE10ELNS1_11target_archE1201ELNS1_3gpuE5ELNS1_3repE0EEENS1_52radix_sort_onesweep_histogram_config_static_selectorELNS0_4arch9wavefront6targetE0EEEvSD_.uses_vcc, 0
	.set _ZN7rocprim17ROCPRIM_400000_NS6detail17trampoline_kernelINS0_14default_configENS1_35radix_sort_onesweep_config_selectorIdNS0_10empty_typeEEEZNS1_34radix_sort_onesweep_global_offsetsIS3_Lb1EPKdPS5_mNS0_19identity_decomposerEEE10hipError_tT1_T2_PT3_SF_jT4_jjP12ihipStream_tbEUlT_E0_NS1_11comp_targetILNS1_3genE10ELNS1_11target_archE1201ELNS1_3gpuE5ELNS1_3repE0EEENS1_52radix_sort_onesweep_histogram_config_static_selectorELNS0_4arch9wavefront6targetE0EEEvSD_.uses_flat_scratch, 0
	.set _ZN7rocprim17ROCPRIM_400000_NS6detail17trampoline_kernelINS0_14default_configENS1_35radix_sort_onesweep_config_selectorIdNS0_10empty_typeEEEZNS1_34radix_sort_onesweep_global_offsetsIS3_Lb1EPKdPS5_mNS0_19identity_decomposerEEE10hipError_tT1_T2_PT3_SF_jT4_jjP12ihipStream_tbEUlT_E0_NS1_11comp_targetILNS1_3genE10ELNS1_11target_archE1201ELNS1_3gpuE5ELNS1_3repE0EEENS1_52radix_sort_onesweep_histogram_config_static_selectorELNS0_4arch9wavefront6targetE0EEEvSD_.has_dyn_sized_stack, 0
	.set _ZN7rocprim17ROCPRIM_400000_NS6detail17trampoline_kernelINS0_14default_configENS1_35radix_sort_onesweep_config_selectorIdNS0_10empty_typeEEEZNS1_34radix_sort_onesweep_global_offsetsIS3_Lb1EPKdPS5_mNS0_19identity_decomposerEEE10hipError_tT1_T2_PT3_SF_jT4_jjP12ihipStream_tbEUlT_E0_NS1_11comp_targetILNS1_3genE10ELNS1_11target_archE1201ELNS1_3gpuE5ELNS1_3repE0EEENS1_52radix_sort_onesweep_histogram_config_static_selectorELNS0_4arch9wavefront6targetE0EEEvSD_.has_recursion, 0
	.set _ZN7rocprim17ROCPRIM_400000_NS6detail17trampoline_kernelINS0_14default_configENS1_35radix_sort_onesweep_config_selectorIdNS0_10empty_typeEEEZNS1_34radix_sort_onesweep_global_offsetsIS3_Lb1EPKdPS5_mNS0_19identity_decomposerEEE10hipError_tT1_T2_PT3_SF_jT4_jjP12ihipStream_tbEUlT_E0_NS1_11comp_targetILNS1_3genE10ELNS1_11target_archE1201ELNS1_3gpuE5ELNS1_3repE0EEENS1_52radix_sort_onesweep_histogram_config_static_selectorELNS0_4arch9wavefront6targetE0EEEvSD_.has_indirect_call, 0
	.section	.AMDGPU.csdata,"",@progbits
; Kernel info:
; codeLenInByte = 0
; TotalNumSgprs: 0
; NumVgprs: 0
; ScratchSize: 0
; MemoryBound: 0
; FloatMode: 240
; IeeeMode: 1
; LDSByteSize: 0 bytes/workgroup (compile time only)
; SGPRBlocks: 0
; VGPRBlocks: 0
; NumSGPRsForWavesPerEU: 1
; NumVGPRsForWavesPerEU: 1
; NamedBarCnt: 0
; Occupancy: 16
; WaveLimiterHint : 0
; COMPUTE_PGM_RSRC2:SCRATCH_EN: 0
; COMPUTE_PGM_RSRC2:USER_SGPR: 2
; COMPUTE_PGM_RSRC2:TRAP_HANDLER: 0
; COMPUTE_PGM_RSRC2:TGID_X_EN: 1
; COMPUTE_PGM_RSRC2:TGID_Y_EN: 0
; COMPUTE_PGM_RSRC2:TGID_Z_EN: 0
; COMPUTE_PGM_RSRC2:TIDIG_COMP_CNT: 0
	.section	.text._ZN7rocprim17ROCPRIM_400000_NS6detail17trampoline_kernelINS0_14default_configENS1_35radix_sort_onesweep_config_selectorIdNS0_10empty_typeEEEZNS1_34radix_sort_onesweep_global_offsetsIS3_Lb1EPKdPS5_mNS0_19identity_decomposerEEE10hipError_tT1_T2_PT3_SF_jT4_jjP12ihipStream_tbEUlT_E0_NS1_11comp_targetILNS1_3genE9ELNS1_11target_archE1100ELNS1_3gpuE3ELNS1_3repE0EEENS1_52radix_sort_onesweep_histogram_config_static_selectorELNS0_4arch9wavefront6targetE0EEEvSD_,"axG",@progbits,_ZN7rocprim17ROCPRIM_400000_NS6detail17trampoline_kernelINS0_14default_configENS1_35radix_sort_onesweep_config_selectorIdNS0_10empty_typeEEEZNS1_34radix_sort_onesweep_global_offsetsIS3_Lb1EPKdPS5_mNS0_19identity_decomposerEEE10hipError_tT1_T2_PT3_SF_jT4_jjP12ihipStream_tbEUlT_E0_NS1_11comp_targetILNS1_3genE9ELNS1_11target_archE1100ELNS1_3gpuE3ELNS1_3repE0EEENS1_52radix_sort_onesweep_histogram_config_static_selectorELNS0_4arch9wavefront6targetE0EEEvSD_,comdat
	.protected	_ZN7rocprim17ROCPRIM_400000_NS6detail17trampoline_kernelINS0_14default_configENS1_35radix_sort_onesweep_config_selectorIdNS0_10empty_typeEEEZNS1_34radix_sort_onesweep_global_offsetsIS3_Lb1EPKdPS5_mNS0_19identity_decomposerEEE10hipError_tT1_T2_PT3_SF_jT4_jjP12ihipStream_tbEUlT_E0_NS1_11comp_targetILNS1_3genE9ELNS1_11target_archE1100ELNS1_3gpuE3ELNS1_3repE0EEENS1_52radix_sort_onesweep_histogram_config_static_selectorELNS0_4arch9wavefront6targetE0EEEvSD_ ; -- Begin function _ZN7rocprim17ROCPRIM_400000_NS6detail17trampoline_kernelINS0_14default_configENS1_35radix_sort_onesweep_config_selectorIdNS0_10empty_typeEEEZNS1_34radix_sort_onesweep_global_offsetsIS3_Lb1EPKdPS5_mNS0_19identity_decomposerEEE10hipError_tT1_T2_PT3_SF_jT4_jjP12ihipStream_tbEUlT_E0_NS1_11comp_targetILNS1_3genE9ELNS1_11target_archE1100ELNS1_3gpuE3ELNS1_3repE0EEENS1_52radix_sort_onesweep_histogram_config_static_selectorELNS0_4arch9wavefront6targetE0EEEvSD_
	.globl	_ZN7rocprim17ROCPRIM_400000_NS6detail17trampoline_kernelINS0_14default_configENS1_35radix_sort_onesweep_config_selectorIdNS0_10empty_typeEEEZNS1_34radix_sort_onesweep_global_offsetsIS3_Lb1EPKdPS5_mNS0_19identity_decomposerEEE10hipError_tT1_T2_PT3_SF_jT4_jjP12ihipStream_tbEUlT_E0_NS1_11comp_targetILNS1_3genE9ELNS1_11target_archE1100ELNS1_3gpuE3ELNS1_3repE0EEENS1_52radix_sort_onesweep_histogram_config_static_selectorELNS0_4arch9wavefront6targetE0EEEvSD_
	.p2align	8
	.type	_ZN7rocprim17ROCPRIM_400000_NS6detail17trampoline_kernelINS0_14default_configENS1_35radix_sort_onesweep_config_selectorIdNS0_10empty_typeEEEZNS1_34radix_sort_onesweep_global_offsetsIS3_Lb1EPKdPS5_mNS0_19identity_decomposerEEE10hipError_tT1_T2_PT3_SF_jT4_jjP12ihipStream_tbEUlT_E0_NS1_11comp_targetILNS1_3genE9ELNS1_11target_archE1100ELNS1_3gpuE3ELNS1_3repE0EEENS1_52radix_sort_onesweep_histogram_config_static_selectorELNS0_4arch9wavefront6targetE0EEEvSD_,@function
_ZN7rocprim17ROCPRIM_400000_NS6detail17trampoline_kernelINS0_14default_configENS1_35radix_sort_onesweep_config_selectorIdNS0_10empty_typeEEEZNS1_34radix_sort_onesweep_global_offsetsIS3_Lb1EPKdPS5_mNS0_19identity_decomposerEEE10hipError_tT1_T2_PT3_SF_jT4_jjP12ihipStream_tbEUlT_E0_NS1_11comp_targetILNS1_3genE9ELNS1_11target_archE1100ELNS1_3gpuE3ELNS1_3repE0EEENS1_52radix_sort_onesweep_histogram_config_static_selectorELNS0_4arch9wavefront6targetE0EEEvSD_: ; @_ZN7rocprim17ROCPRIM_400000_NS6detail17trampoline_kernelINS0_14default_configENS1_35radix_sort_onesweep_config_selectorIdNS0_10empty_typeEEEZNS1_34radix_sort_onesweep_global_offsetsIS3_Lb1EPKdPS5_mNS0_19identity_decomposerEEE10hipError_tT1_T2_PT3_SF_jT4_jjP12ihipStream_tbEUlT_E0_NS1_11comp_targetILNS1_3genE9ELNS1_11target_archE1100ELNS1_3gpuE3ELNS1_3repE0EEENS1_52radix_sort_onesweep_histogram_config_static_selectorELNS0_4arch9wavefront6targetE0EEEvSD_
; %bb.0:
	.section	.rodata,"a",@progbits
	.p2align	6, 0x0
	.amdhsa_kernel _ZN7rocprim17ROCPRIM_400000_NS6detail17trampoline_kernelINS0_14default_configENS1_35radix_sort_onesweep_config_selectorIdNS0_10empty_typeEEEZNS1_34radix_sort_onesweep_global_offsetsIS3_Lb1EPKdPS5_mNS0_19identity_decomposerEEE10hipError_tT1_T2_PT3_SF_jT4_jjP12ihipStream_tbEUlT_E0_NS1_11comp_targetILNS1_3genE9ELNS1_11target_archE1100ELNS1_3gpuE3ELNS1_3repE0EEENS1_52radix_sort_onesweep_histogram_config_static_selectorELNS0_4arch9wavefront6targetE0EEEvSD_
		.amdhsa_group_segment_fixed_size 0
		.amdhsa_private_segment_fixed_size 0
		.amdhsa_kernarg_size 8
		.amdhsa_user_sgpr_count 2
		.amdhsa_user_sgpr_dispatch_ptr 0
		.amdhsa_user_sgpr_queue_ptr 0
		.amdhsa_user_sgpr_kernarg_segment_ptr 1
		.amdhsa_user_sgpr_dispatch_id 0
		.amdhsa_user_sgpr_kernarg_preload_length 0
		.amdhsa_user_sgpr_kernarg_preload_offset 0
		.amdhsa_user_sgpr_private_segment_size 0
		.amdhsa_wavefront_size32 1
		.amdhsa_uses_dynamic_stack 0
		.amdhsa_enable_private_segment 0
		.amdhsa_system_sgpr_workgroup_id_x 1
		.amdhsa_system_sgpr_workgroup_id_y 0
		.amdhsa_system_sgpr_workgroup_id_z 0
		.amdhsa_system_sgpr_workgroup_info 0
		.amdhsa_system_vgpr_workitem_id 0
		.amdhsa_next_free_vgpr 1
		.amdhsa_next_free_sgpr 1
		.amdhsa_named_barrier_count 0
		.amdhsa_reserve_vcc 0
		.amdhsa_float_round_mode_32 0
		.amdhsa_float_round_mode_16_64 0
		.amdhsa_float_denorm_mode_32 3
		.amdhsa_float_denorm_mode_16_64 3
		.amdhsa_fp16_overflow 0
		.amdhsa_memory_ordered 1
		.amdhsa_forward_progress 1
		.amdhsa_inst_pref_size 0
		.amdhsa_round_robin_scheduling 0
		.amdhsa_exception_fp_ieee_invalid_op 0
		.amdhsa_exception_fp_denorm_src 0
		.amdhsa_exception_fp_ieee_div_zero 0
		.amdhsa_exception_fp_ieee_overflow 0
		.amdhsa_exception_fp_ieee_underflow 0
		.amdhsa_exception_fp_ieee_inexact 0
		.amdhsa_exception_int_div_zero 0
	.end_amdhsa_kernel
	.section	.text._ZN7rocprim17ROCPRIM_400000_NS6detail17trampoline_kernelINS0_14default_configENS1_35radix_sort_onesweep_config_selectorIdNS0_10empty_typeEEEZNS1_34radix_sort_onesweep_global_offsetsIS3_Lb1EPKdPS5_mNS0_19identity_decomposerEEE10hipError_tT1_T2_PT3_SF_jT4_jjP12ihipStream_tbEUlT_E0_NS1_11comp_targetILNS1_3genE9ELNS1_11target_archE1100ELNS1_3gpuE3ELNS1_3repE0EEENS1_52radix_sort_onesweep_histogram_config_static_selectorELNS0_4arch9wavefront6targetE0EEEvSD_,"axG",@progbits,_ZN7rocprim17ROCPRIM_400000_NS6detail17trampoline_kernelINS0_14default_configENS1_35radix_sort_onesweep_config_selectorIdNS0_10empty_typeEEEZNS1_34radix_sort_onesweep_global_offsetsIS3_Lb1EPKdPS5_mNS0_19identity_decomposerEEE10hipError_tT1_T2_PT3_SF_jT4_jjP12ihipStream_tbEUlT_E0_NS1_11comp_targetILNS1_3genE9ELNS1_11target_archE1100ELNS1_3gpuE3ELNS1_3repE0EEENS1_52radix_sort_onesweep_histogram_config_static_selectorELNS0_4arch9wavefront6targetE0EEEvSD_,comdat
.Lfunc_end1508:
	.size	_ZN7rocprim17ROCPRIM_400000_NS6detail17trampoline_kernelINS0_14default_configENS1_35radix_sort_onesweep_config_selectorIdNS0_10empty_typeEEEZNS1_34radix_sort_onesweep_global_offsetsIS3_Lb1EPKdPS5_mNS0_19identity_decomposerEEE10hipError_tT1_T2_PT3_SF_jT4_jjP12ihipStream_tbEUlT_E0_NS1_11comp_targetILNS1_3genE9ELNS1_11target_archE1100ELNS1_3gpuE3ELNS1_3repE0EEENS1_52radix_sort_onesweep_histogram_config_static_selectorELNS0_4arch9wavefront6targetE0EEEvSD_, .Lfunc_end1508-_ZN7rocprim17ROCPRIM_400000_NS6detail17trampoline_kernelINS0_14default_configENS1_35radix_sort_onesweep_config_selectorIdNS0_10empty_typeEEEZNS1_34radix_sort_onesweep_global_offsetsIS3_Lb1EPKdPS5_mNS0_19identity_decomposerEEE10hipError_tT1_T2_PT3_SF_jT4_jjP12ihipStream_tbEUlT_E0_NS1_11comp_targetILNS1_3genE9ELNS1_11target_archE1100ELNS1_3gpuE3ELNS1_3repE0EEENS1_52radix_sort_onesweep_histogram_config_static_selectorELNS0_4arch9wavefront6targetE0EEEvSD_
                                        ; -- End function
	.set _ZN7rocprim17ROCPRIM_400000_NS6detail17trampoline_kernelINS0_14default_configENS1_35radix_sort_onesweep_config_selectorIdNS0_10empty_typeEEEZNS1_34radix_sort_onesweep_global_offsetsIS3_Lb1EPKdPS5_mNS0_19identity_decomposerEEE10hipError_tT1_T2_PT3_SF_jT4_jjP12ihipStream_tbEUlT_E0_NS1_11comp_targetILNS1_3genE9ELNS1_11target_archE1100ELNS1_3gpuE3ELNS1_3repE0EEENS1_52radix_sort_onesweep_histogram_config_static_selectorELNS0_4arch9wavefront6targetE0EEEvSD_.num_vgpr, 0
	.set _ZN7rocprim17ROCPRIM_400000_NS6detail17trampoline_kernelINS0_14default_configENS1_35radix_sort_onesweep_config_selectorIdNS0_10empty_typeEEEZNS1_34radix_sort_onesweep_global_offsetsIS3_Lb1EPKdPS5_mNS0_19identity_decomposerEEE10hipError_tT1_T2_PT3_SF_jT4_jjP12ihipStream_tbEUlT_E0_NS1_11comp_targetILNS1_3genE9ELNS1_11target_archE1100ELNS1_3gpuE3ELNS1_3repE0EEENS1_52radix_sort_onesweep_histogram_config_static_selectorELNS0_4arch9wavefront6targetE0EEEvSD_.num_agpr, 0
	.set _ZN7rocprim17ROCPRIM_400000_NS6detail17trampoline_kernelINS0_14default_configENS1_35radix_sort_onesweep_config_selectorIdNS0_10empty_typeEEEZNS1_34radix_sort_onesweep_global_offsetsIS3_Lb1EPKdPS5_mNS0_19identity_decomposerEEE10hipError_tT1_T2_PT3_SF_jT4_jjP12ihipStream_tbEUlT_E0_NS1_11comp_targetILNS1_3genE9ELNS1_11target_archE1100ELNS1_3gpuE3ELNS1_3repE0EEENS1_52radix_sort_onesweep_histogram_config_static_selectorELNS0_4arch9wavefront6targetE0EEEvSD_.numbered_sgpr, 0
	.set _ZN7rocprim17ROCPRIM_400000_NS6detail17trampoline_kernelINS0_14default_configENS1_35radix_sort_onesweep_config_selectorIdNS0_10empty_typeEEEZNS1_34radix_sort_onesweep_global_offsetsIS3_Lb1EPKdPS5_mNS0_19identity_decomposerEEE10hipError_tT1_T2_PT3_SF_jT4_jjP12ihipStream_tbEUlT_E0_NS1_11comp_targetILNS1_3genE9ELNS1_11target_archE1100ELNS1_3gpuE3ELNS1_3repE0EEENS1_52radix_sort_onesweep_histogram_config_static_selectorELNS0_4arch9wavefront6targetE0EEEvSD_.num_named_barrier, 0
	.set _ZN7rocprim17ROCPRIM_400000_NS6detail17trampoline_kernelINS0_14default_configENS1_35radix_sort_onesweep_config_selectorIdNS0_10empty_typeEEEZNS1_34radix_sort_onesweep_global_offsetsIS3_Lb1EPKdPS5_mNS0_19identity_decomposerEEE10hipError_tT1_T2_PT3_SF_jT4_jjP12ihipStream_tbEUlT_E0_NS1_11comp_targetILNS1_3genE9ELNS1_11target_archE1100ELNS1_3gpuE3ELNS1_3repE0EEENS1_52radix_sort_onesweep_histogram_config_static_selectorELNS0_4arch9wavefront6targetE0EEEvSD_.private_seg_size, 0
	.set _ZN7rocprim17ROCPRIM_400000_NS6detail17trampoline_kernelINS0_14default_configENS1_35radix_sort_onesweep_config_selectorIdNS0_10empty_typeEEEZNS1_34radix_sort_onesweep_global_offsetsIS3_Lb1EPKdPS5_mNS0_19identity_decomposerEEE10hipError_tT1_T2_PT3_SF_jT4_jjP12ihipStream_tbEUlT_E0_NS1_11comp_targetILNS1_3genE9ELNS1_11target_archE1100ELNS1_3gpuE3ELNS1_3repE0EEENS1_52radix_sort_onesweep_histogram_config_static_selectorELNS0_4arch9wavefront6targetE0EEEvSD_.uses_vcc, 0
	.set _ZN7rocprim17ROCPRIM_400000_NS6detail17trampoline_kernelINS0_14default_configENS1_35radix_sort_onesweep_config_selectorIdNS0_10empty_typeEEEZNS1_34radix_sort_onesweep_global_offsetsIS3_Lb1EPKdPS5_mNS0_19identity_decomposerEEE10hipError_tT1_T2_PT3_SF_jT4_jjP12ihipStream_tbEUlT_E0_NS1_11comp_targetILNS1_3genE9ELNS1_11target_archE1100ELNS1_3gpuE3ELNS1_3repE0EEENS1_52radix_sort_onesweep_histogram_config_static_selectorELNS0_4arch9wavefront6targetE0EEEvSD_.uses_flat_scratch, 0
	.set _ZN7rocprim17ROCPRIM_400000_NS6detail17trampoline_kernelINS0_14default_configENS1_35radix_sort_onesweep_config_selectorIdNS0_10empty_typeEEEZNS1_34radix_sort_onesweep_global_offsetsIS3_Lb1EPKdPS5_mNS0_19identity_decomposerEEE10hipError_tT1_T2_PT3_SF_jT4_jjP12ihipStream_tbEUlT_E0_NS1_11comp_targetILNS1_3genE9ELNS1_11target_archE1100ELNS1_3gpuE3ELNS1_3repE0EEENS1_52radix_sort_onesweep_histogram_config_static_selectorELNS0_4arch9wavefront6targetE0EEEvSD_.has_dyn_sized_stack, 0
	.set _ZN7rocprim17ROCPRIM_400000_NS6detail17trampoline_kernelINS0_14default_configENS1_35radix_sort_onesweep_config_selectorIdNS0_10empty_typeEEEZNS1_34radix_sort_onesweep_global_offsetsIS3_Lb1EPKdPS5_mNS0_19identity_decomposerEEE10hipError_tT1_T2_PT3_SF_jT4_jjP12ihipStream_tbEUlT_E0_NS1_11comp_targetILNS1_3genE9ELNS1_11target_archE1100ELNS1_3gpuE3ELNS1_3repE0EEENS1_52radix_sort_onesweep_histogram_config_static_selectorELNS0_4arch9wavefront6targetE0EEEvSD_.has_recursion, 0
	.set _ZN7rocprim17ROCPRIM_400000_NS6detail17trampoline_kernelINS0_14default_configENS1_35radix_sort_onesweep_config_selectorIdNS0_10empty_typeEEEZNS1_34radix_sort_onesweep_global_offsetsIS3_Lb1EPKdPS5_mNS0_19identity_decomposerEEE10hipError_tT1_T2_PT3_SF_jT4_jjP12ihipStream_tbEUlT_E0_NS1_11comp_targetILNS1_3genE9ELNS1_11target_archE1100ELNS1_3gpuE3ELNS1_3repE0EEENS1_52radix_sort_onesweep_histogram_config_static_selectorELNS0_4arch9wavefront6targetE0EEEvSD_.has_indirect_call, 0
	.section	.AMDGPU.csdata,"",@progbits
; Kernel info:
; codeLenInByte = 0
; TotalNumSgprs: 0
; NumVgprs: 0
; ScratchSize: 0
; MemoryBound: 0
; FloatMode: 240
; IeeeMode: 1
; LDSByteSize: 0 bytes/workgroup (compile time only)
; SGPRBlocks: 0
; VGPRBlocks: 0
; NumSGPRsForWavesPerEU: 1
; NumVGPRsForWavesPerEU: 1
; NamedBarCnt: 0
; Occupancy: 16
; WaveLimiterHint : 0
; COMPUTE_PGM_RSRC2:SCRATCH_EN: 0
; COMPUTE_PGM_RSRC2:USER_SGPR: 2
; COMPUTE_PGM_RSRC2:TRAP_HANDLER: 0
; COMPUTE_PGM_RSRC2:TGID_X_EN: 1
; COMPUTE_PGM_RSRC2:TGID_Y_EN: 0
; COMPUTE_PGM_RSRC2:TGID_Z_EN: 0
; COMPUTE_PGM_RSRC2:TIDIG_COMP_CNT: 0
	.section	.text._ZN7rocprim17ROCPRIM_400000_NS6detail17trampoline_kernelINS0_14default_configENS1_35radix_sort_onesweep_config_selectorIdNS0_10empty_typeEEEZNS1_34radix_sort_onesweep_global_offsetsIS3_Lb1EPKdPS5_mNS0_19identity_decomposerEEE10hipError_tT1_T2_PT3_SF_jT4_jjP12ihipStream_tbEUlT_E0_NS1_11comp_targetILNS1_3genE8ELNS1_11target_archE1030ELNS1_3gpuE2ELNS1_3repE0EEENS1_52radix_sort_onesweep_histogram_config_static_selectorELNS0_4arch9wavefront6targetE0EEEvSD_,"axG",@progbits,_ZN7rocprim17ROCPRIM_400000_NS6detail17trampoline_kernelINS0_14default_configENS1_35radix_sort_onesweep_config_selectorIdNS0_10empty_typeEEEZNS1_34radix_sort_onesweep_global_offsetsIS3_Lb1EPKdPS5_mNS0_19identity_decomposerEEE10hipError_tT1_T2_PT3_SF_jT4_jjP12ihipStream_tbEUlT_E0_NS1_11comp_targetILNS1_3genE8ELNS1_11target_archE1030ELNS1_3gpuE2ELNS1_3repE0EEENS1_52radix_sort_onesweep_histogram_config_static_selectorELNS0_4arch9wavefront6targetE0EEEvSD_,comdat
	.protected	_ZN7rocprim17ROCPRIM_400000_NS6detail17trampoline_kernelINS0_14default_configENS1_35radix_sort_onesweep_config_selectorIdNS0_10empty_typeEEEZNS1_34radix_sort_onesweep_global_offsetsIS3_Lb1EPKdPS5_mNS0_19identity_decomposerEEE10hipError_tT1_T2_PT3_SF_jT4_jjP12ihipStream_tbEUlT_E0_NS1_11comp_targetILNS1_3genE8ELNS1_11target_archE1030ELNS1_3gpuE2ELNS1_3repE0EEENS1_52radix_sort_onesweep_histogram_config_static_selectorELNS0_4arch9wavefront6targetE0EEEvSD_ ; -- Begin function _ZN7rocprim17ROCPRIM_400000_NS6detail17trampoline_kernelINS0_14default_configENS1_35radix_sort_onesweep_config_selectorIdNS0_10empty_typeEEEZNS1_34radix_sort_onesweep_global_offsetsIS3_Lb1EPKdPS5_mNS0_19identity_decomposerEEE10hipError_tT1_T2_PT3_SF_jT4_jjP12ihipStream_tbEUlT_E0_NS1_11comp_targetILNS1_3genE8ELNS1_11target_archE1030ELNS1_3gpuE2ELNS1_3repE0EEENS1_52radix_sort_onesweep_histogram_config_static_selectorELNS0_4arch9wavefront6targetE0EEEvSD_
	.globl	_ZN7rocprim17ROCPRIM_400000_NS6detail17trampoline_kernelINS0_14default_configENS1_35radix_sort_onesweep_config_selectorIdNS0_10empty_typeEEEZNS1_34radix_sort_onesweep_global_offsetsIS3_Lb1EPKdPS5_mNS0_19identity_decomposerEEE10hipError_tT1_T2_PT3_SF_jT4_jjP12ihipStream_tbEUlT_E0_NS1_11comp_targetILNS1_3genE8ELNS1_11target_archE1030ELNS1_3gpuE2ELNS1_3repE0EEENS1_52radix_sort_onesweep_histogram_config_static_selectorELNS0_4arch9wavefront6targetE0EEEvSD_
	.p2align	8
	.type	_ZN7rocprim17ROCPRIM_400000_NS6detail17trampoline_kernelINS0_14default_configENS1_35radix_sort_onesweep_config_selectorIdNS0_10empty_typeEEEZNS1_34radix_sort_onesweep_global_offsetsIS3_Lb1EPKdPS5_mNS0_19identity_decomposerEEE10hipError_tT1_T2_PT3_SF_jT4_jjP12ihipStream_tbEUlT_E0_NS1_11comp_targetILNS1_3genE8ELNS1_11target_archE1030ELNS1_3gpuE2ELNS1_3repE0EEENS1_52radix_sort_onesweep_histogram_config_static_selectorELNS0_4arch9wavefront6targetE0EEEvSD_,@function
_ZN7rocprim17ROCPRIM_400000_NS6detail17trampoline_kernelINS0_14default_configENS1_35radix_sort_onesweep_config_selectorIdNS0_10empty_typeEEEZNS1_34radix_sort_onesweep_global_offsetsIS3_Lb1EPKdPS5_mNS0_19identity_decomposerEEE10hipError_tT1_T2_PT3_SF_jT4_jjP12ihipStream_tbEUlT_E0_NS1_11comp_targetILNS1_3genE8ELNS1_11target_archE1030ELNS1_3gpuE2ELNS1_3repE0EEENS1_52radix_sort_onesweep_histogram_config_static_selectorELNS0_4arch9wavefront6targetE0EEEvSD_: ; @_ZN7rocprim17ROCPRIM_400000_NS6detail17trampoline_kernelINS0_14default_configENS1_35radix_sort_onesweep_config_selectorIdNS0_10empty_typeEEEZNS1_34radix_sort_onesweep_global_offsetsIS3_Lb1EPKdPS5_mNS0_19identity_decomposerEEE10hipError_tT1_T2_PT3_SF_jT4_jjP12ihipStream_tbEUlT_E0_NS1_11comp_targetILNS1_3genE8ELNS1_11target_archE1030ELNS1_3gpuE2ELNS1_3repE0EEENS1_52radix_sort_onesweep_histogram_config_static_selectorELNS0_4arch9wavefront6targetE0EEEvSD_
; %bb.0:
	.section	.rodata,"a",@progbits
	.p2align	6, 0x0
	.amdhsa_kernel _ZN7rocprim17ROCPRIM_400000_NS6detail17trampoline_kernelINS0_14default_configENS1_35radix_sort_onesweep_config_selectorIdNS0_10empty_typeEEEZNS1_34radix_sort_onesweep_global_offsetsIS3_Lb1EPKdPS5_mNS0_19identity_decomposerEEE10hipError_tT1_T2_PT3_SF_jT4_jjP12ihipStream_tbEUlT_E0_NS1_11comp_targetILNS1_3genE8ELNS1_11target_archE1030ELNS1_3gpuE2ELNS1_3repE0EEENS1_52radix_sort_onesweep_histogram_config_static_selectorELNS0_4arch9wavefront6targetE0EEEvSD_
		.amdhsa_group_segment_fixed_size 0
		.amdhsa_private_segment_fixed_size 0
		.amdhsa_kernarg_size 8
		.amdhsa_user_sgpr_count 2
		.amdhsa_user_sgpr_dispatch_ptr 0
		.amdhsa_user_sgpr_queue_ptr 0
		.amdhsa_user_sgpr_kernarg_segment_ptr 1
		.amdhsa_user_sgpr_dispatch_id 0
		.amdhsa_user_sgpr_kernarg_preload_length 0
		.amdhsa_user_sgpr_kernarg_preload_offset 0
		.amdhsa_user_sgpr_private_segment_size 0
		.amdhsa_wavefront_size32 1
		.amdhsa_uses_dynamic_stack 0
		.amdhsa_enable_private_segment 0
		.amdhsa_system_sgpr_workgroup_id_x 1
		.amdhsa_system_sgpr_workgroup_id_y 0
		.amdhsa_system_sgpr_workgroup_id_z 0
		.amdhsa_system_sgpr_workgroup_info 0
		.amdhsa_system_vgpr_workitem_id 0
		.amdhsa_next_free_vgpr 1
		.amdhsa_next_free_sgpr 1
		.amdhsa_named_barrier_count 0
		.amdhsa_reserve_vcc 0
		.amdhsa_float_round_mode_32 0
		.amdhsa_float_round_mode_16_64 0
		.amdhsa_float_denorm_mode_32 3
		.amdhsa_float_denorm_mode_16_64 3
		.amdhsa_fp16_overflow 0
		.amdhsa_memory_ordered 1
		.amdhsa_forward_progress 1
		.amdhsa_inst_pref_size 0
		.amdhsa_round_robin_scheduling 0
		.amdhsa_exception_fp_ieee_invalid_op 0
		.amdhsa_exception_fp_denorm_src 0
		.amdhsa_exception_fp_ieee_div_zero 0
		.amdhsa_exception_fp_ieee_overflow 0
		.amdhsa_exception_fp_ieee_underflow 0
		.amdhsa_exception_fp_ieee_inexact 0
		.amdhsa_exception_int_div_zero 0
	.end_amdhsa_kernel
	.section	.text._ZN7rocprim17ROCPRIM_400000_NS6detail17trampoline_kernelINS0_14default_configENS1_35radix_sort_onesweep_config_selectorIdNS0_10empty_typeEEEZNS1_34radix_sort_onesweep_global_offsetsIS3_Lb1EPKdPS5_mNS0_19identity_decomposerEEE10hipError_tT1_T2_PT3_SF_jT4_jjP12ihipStream_tbEUlT_E0_NS1_11comp_targetILNS1_3genE8ELNS1_11target_archE1030ELNS1_3gpuE2ELNS1_3repE0EEENS1_52radix_sort_onesweep_histogram_config_static_selectorELNS0_4arch9wavefront6targetE0EEEvSD_,"axG",@progbits,_ZN7rocprim17ROCPRIM_400000_NS6detail17trampoline_kernelINS0_14default_configENS1_35radix_sort_onesweep_config_selectorIdNS0_10empty_typeEEEZNS1_34radix_sort_onesweep_global_offsetsIS3_Lb1EPKdPS5_mNS0_19identity_decomposerEEE10hipError_tT1_T2_PT3_SF_jT4_jjP12ihipStream_tbEUlT_E0_NS1_11comp_targetILNS1_3genE8ELNS1_11target_archE1030ELNS1_3gpuE2ELNS1_3repE0EEENS1_52radix_sort_onesweep_histogram_config_static_selectorELNS0_4arch9wavefront6targetE0EEEvSD_,comdat
.Lfunc_end1509:
	.size	_ZN7rocprim17ROCPRIM_400000_NS6detail17trampoline_kernelINS0_14default_configENS1_35radix_sort_onesweep_config_selectorIdNS0_10empty_typeEEEZNS1_34radix_sort_onesweep_global_offsetsIS3_Lb1EPKdPS5_mNS0_19identity_decomposerEEE10hipError_tT1_T2_PT3_SF_jT4_jjP12ihipStream_tbEUlT_E0_NS1_11comp_targetILNS1_3genE8ELNS1_11target_archE1030ELNS1_3gpuE2ELNS1_3repE0EEENS1_52radix_sort_onesweep_histogram_config_static_selectorELNS0_4arch9wavefront6targetE0EEEvSD_, .Lfunc_end1509-_ZN7rocprim17ROCPRIM_400000_NS6detail17trampoline_kernelINS0_14default_configENS1_35radix_sort_onesweep_config_selectorIdNS0_10empty_typeEEEZNS1_34radix_sort_onesweep_global_offsetsIS3_Lb1EPKdPS5_mNS0_19identity_decomposerEEE10hipError_tT1_T2_PT3_SF_jT4_jjP12ihipStream_tbEUlT_E0_NS1_11comp_targetILNS1_3genE8ELNS1_11target_archE1030ELNS1_3gpuE2ELNS1_3repE0EEENS1_52radix_sort_onesweep_histogram_config_static_selectorELNS0_4arch9wavefront6targetE0EEEvSD_
                                        ; -- End function
	.set _ZN7rocprim17ROCPRIM_400000_NS6detail17trampoline_kernelINS0_14default_configENS1_35radix_sort_onesweep_config_selectorIdNS0_10empty_typeEEEZNS1_34radix_sort_onesweep_global_offsetsIS3_Lb1EPKdPS5_mNS0_19identity_decomposerEEE10hipError_tT1_T2_PT3_SF_jT4_jjP12ihipStream_tbEUlT_E0_NS1_11comp_targetILNS1_3genE8ELNS1_11target_archE1030ELNS1_3gpuE2ELNS1_3repE0EEENS1_52radix_sort_onesweep_histogram_config_static_selectorELNS0_4arch9wavefront6targetE0EEEvSD_.num_vgpr, 0
	.set _ZN7rocprim17ROCPRIM_400000_NS6detail17trampoline_kernelINS0_14default_configENS1_35radix_sort_onesweep_config_selectorIdNS0_10empty_typeEEEZNS1_34radix_sort_onesweep_global_offsetsIS3_Lb1EPKdPS5_mNS0_19identity_decomposerEEE10hipError_tT1_T2_PT3_SF_jT4_jjP12ihipStream_tbEUlT_E0_NS1_11comp_targetILNS1_3genE8ELNS1_11target_archE1030ELNS1_3gpuE2ELNS1_3repE0EEENS1_52radix_sort_onesweep_histogram_config_static_selectorELNS0_4arch9wavefront6targetE0EEEvSD_.num_agpr, 0
	.set _ZN7rocprim17ROCPRIM_400000_NS6detail17trampoline_kernelINS0_14default_configENS1_35radix_sort_onesweep_config_selectorIdNS0_10empty_typeEEEZNS1_34radix_sort_onesweep_global_offsetsIS3_Lb1EPKdPS5_mNS0_19identity_decomposerEEE10hipError_tT1_T2_PT3_SF_jT4_jjP12ihipStream_tbEUlT_E0_NS1_11comp_targetILNS1_3genE8ELNS1_11target_archE1030ELNS1_3gpuE2ELNS1_3repE0EEENS1_52radix_sort_onesweep_histogram_config_static_selectorELNS0_4arch9wavefront6targetE0EEEvSD_.numbered_sgpr, 0
	.set _ZN7rocprim17ROCPRIM_400000_NS6detail17trampoline_kernelINS0_14default_configENS1_35radix_sort_onesweep_config_selectorIdNS0_10empty_typeEEEZNS1_34radix_sort_onesweep_global_offsetsIS3_Lb1EPKdPS5_mNS0_19identity_decomposerEEE10hipError_tT1_T2_PT3_SF_jT4_jjP12ihipStream_tbEUlT_E0_NS1_11comp_targetILNS1_3genE8ELNS1_11target_archE1030ELNS1_3gpuE2ELNS1_3repE0EEENS1_52radix_sort_onesweep_histogram_config_static_selectorELNS0_4arch9wavefront6targetE0EEEvSD_.num_named_barrier, 0
	.set _ZN7rocprim17ROCPRIM_400000_NS6detail17trampoline_kernelINS0_14default_configENS1_35radix_sort_onesweep_config_selectorIdNS0_10empty_typeEEEZNS1_34radix_sort_onesweep_global_offsetsIS3_Lb1EPKdPS5_mNS0_19identity_decomposerEEE10hipError_tT1_T2_PT3_SF_jT4_jjP12ihipStream_tbEUlT_E0_NS1_11comp_targetILNS1_3genE8ELNS1_11target_archE1030ELNS1_3gpuE2ELNS1_3repE0EEENS1_52radix_sort_onesweep_histogram_config_static_selectorELNS0_4arch9wavefront6targetE0EEEvSD_.private_seg_size, 0
	.set _ZN7rocprim17ROCPRIM_400000_NS6detail17trampoline_kernelINS0_14default_configENS1_35radix_sort_onesweep_config_selectorIdNS0_10empty_typeEEEZNS1_34radix_sort_onesweep_global_offsetsIS3_Lb1EPKdPS5_mNS0_19identity_decomposerEEE10hipError_tT1_T2_PT3_SF_jT4_jjP12ihipStream_tbEUlT_E0_NS1_11comp_targetILNS1_3genE8ELNS1_11target_archE1030ELNS1_3gpuE2ELNS1_3repE0EEENS1_52radix_sort_onesweep_histogram_config_static_selectorELNS0_4arch9wavefront6targetE0EEEvSD_.uses_vcc, 0
	.set _ZN7rocprim17ROCPRIM_400000_NS6detail17trampoline_kernelINS0_14default_configENS1_35radix_sort_onesweep_config_selectorIdNS0_10empty_typeEEEZNS1_34radix_sort_onesweep_global_offsetsIS3_Lb1EPKdPS5_mNS0_19identity_decomposerEEE10hipError_tT1_T2_PT3_SF_jT4_jjP12ihipStream_tbEUlT_E0_NS1_11comp_targetILNS1_3genE8ELNS1_11target_archE1030ELNS1_3gpuE2ELNS1_3repE0EEENS1_52radix_sort_onesweep_histogram_config_static_selectorELNS0_4arch9wavefront6targetE0EEEvSD_.uses_flat_scratch, 0
	.set _ZN7rocprim17ROCPRIM_400000_NS6detail17trampoline_kernelINS0_14default_configENS1_35radix_sort_onesweep_config_selectorIdNS0_10empty_typeEEEZNS1_34radix_sort_onesweep_global_offsetsIS3_Lb1EPKdPS5_mNS0_19identity_decomposerEEE10hipError_tT1_T2_PT3_SF_jT4_jjP12ihipStream_tbEUlT_E0_NS1_11comp_targetILNS1_3genE8ELNS1_11target_archE1030ELNS1_3gpuE2ELNS1_3repE0EEENS1_52radix_sort_onesweep_histogram_config_static_selectorELNS0_4arch9wavefront6targetE0EEEvSD_.has_dyn_sized_stack, 0
	.set _ZN7rocprim17ROCPRIM_400000_NS6detail17trampoline_kernelINS0_14default_configENS1_35radix_sort_onesweep_config_selectorIdNS0_10empty_typeEEEZNS1_34radix_sort_onesweep_global_offsetsIS3_Lb1EPKdPS5_mNS0_19identity_decomposerEEE10hipError_tT1_T2_PT3_SF_jT4_jjP12ihipStream_tbEUlT_E0_NS1_11comp_targetILNS1_3genE8ELNS1_11target_archE1030ELNS1_3gpuE2ELNS1_3repE0EEENS1_52radix_sort_onesweep_histogram_config_static_selectorELNS0_4arch9wavefront6targetE0EEEvSD_.has_recursion, 0
	.set _ZN7rocprim17ROCPRIM_400000_NS6detail17trampoline_kernelINS0_14default_configENS1_35radix_sort_onesweep_config_selectorIdNS0_10empty_typeEEEZNS1_34radix_sort_onesweep_global_offsetsIS3_Lb1EPKdPS5_mNS0_19identity_decomposerEEE10hipError_tT1_T2_PT3_SF_jT4_jjP12ihipStream_tbEUlT_E0_NS1_11comp_targetILNS1_3genE8ELNS1_11target_archE1030ELNS1_3gpuE2ELNS1_3repE0EEENS1_52radix_sort_onesweep_histogram_config_static_selectorELNS0_4arch9wavefront6targetE0EEEvSD_.has_indirect_call, 0
	.section	.AMDGPU.csdata,"",@progbits
; Kernel info:
; codeLenInByte = 0
; TotalNumSgprs: 0
; NumVgprs: 0
; ScratchSize: 0
; MemoryBound: 0
; FloatMode: 240
; IeeeMode: 1
; LDSByteSize: 0 bytes/workgroup (compile time only)
; SGPRBlocks: 0
; VGPRBlocks: 0
; NumSGPRsForWavesPerEU: 1
; NumVGPRsForWavesPerEU: 1
; NamedBarCnt: 0
; Occupancy: 16
; WaveLimiterHint : 0
; COMPUTE_PGM_RSRC2:SCRATCH_EN: 0
; COMPUTE_PGM_RSRC2:USER_SGPR: 2
; COMPUTE_PGM_RSRC2:TRAP_HANDLER: 0
; COMPUTE_PGM_RSRC2:TGID_X_EN: 1
; COMPUTE_PGM_RSRC2:TGID_Y_EN: 0
; COMPUTE_PGM_RSRC2:TGID_Z_EN: 0
; COMPUTE_PGM_RSRC2:TIDIG_COMP_CNT: 0
	.section	.text._ZN7rocprim17ROCPRIM_400000_NS6detail17trampoline_kernelINS0_14default_configENS1_25transform_config_selectorIdLb1EEEZNS1_14transform_implILb1ES3_S5_PKdPdNS0_8identityIdEEEE10hipError_tT2_T3_mT4_P12ihipStream_tbEUlT_E_NS1_11comp_targetILNS1_3genE0ELNS1_11target_archE4294967295ELNS1_3gpuE0ELNS1_3repE0EEENS1_30default_config_static_selectorELNS0_4arch9wavefront6targetE0EEEvT1_,"axG",@progbits,_ZN7rocprim17ROCPRIM_400000_NS6detail17trampoline_kernelINS0_14default_configENS1_25transform_config_selectorIdLb1EEEZNS1_14transform_implILb1ES3_S5_PKdPdNS0_8identityIdEEEE10hipError_tT2_T3_mT4_P12ihipStream_tbEUlT_E_NS1_11comp_targetILNS1_3genE0ELNS1_11target_archE4294967295ELNS1_3gpuE0ELNS1_3repE0EEENS1_30default_config_static_selectorELNS0_4arch9wavefront6targetE0EEEvT1_,comdat
	.protected	_ZN7rocprim17ROCPRIM_400000_NS6detail17trampoline_kernelINS0_14default_configENS1_25transform_config_selectorIdLb1EEEZNS1_14transform_implILb1ES3_S5_PKdPdNS0_8identityIdEEEE10hipError_tT2_T3_mT4_P12ihipStream_tbEUlT_E_NS1_11comp_targetILNS1_3genE0ELNS1_11target_archE4294967295ELNS1_3gpuE0ELNS1_3repE0EEENS1_30default_config_static_selectorELNS0_4arch9wavefront6targetE0EEEvT1_ ; -- Begin function _ZN7rocprim17ROCPRIM_400000_NS6detail17trampoline_kernelINS0_14default_configENS1_25transform_config_selectorIdLb1EEEZNS1_14transform_implILb1ES3_S5_PKdPdNS0_8identityIdEEEE10hipError_tT2_T3_mT4_P12ihipStream_tbEUlT_E_NS1_11comp_targetILNS1_3genE0ELNS1_11target_archE4294967295ELNS1_3gpuE0ELNS1_3repE0EEENS1_30default_config_static_selectorELNS0_4arch9wavefront6targetE0EEEvT1_
	.globl	_ZN7rocprim17ROCPRIM_400000_NS6detail17trampoline_kernelINS0_14default_configENS1_25transform_config_selectorIdLb1EEEZNS1_14transform_implILb1ES3_S5_PKdPdNS0_8identityIdEEEE10hipError_tT2_T3_mT4_P12ihipStream_tbEUlT_E_NS1_11comp_targetILNS1_3genE0ELNS1_11target_archE4294967295ELNS1_3gpuE0ELNS1_3repE0EEENS1_30default_config_static_selectorELNS0_4arch9wavefront6targetE0EEEvT1_
	.p2align	8
	.type	_ZN7rocprim17ROCPRIM_400000_NS6detail17trampoline_kernelINS0_14default_configENS1_25transform_config_selectorIdLb1EEEZNS1_14transform_implILb1ES3_S5_PKdPdNS0_8identityIdEEEE10hipError_tT2_T3_mT4_P12ihipStream_tbEUlT_E_NS1_11comp_targetILNS1_3genE0ELNS1_11target_archE4294967295ELNS1_3gpuE0ELNS1_3repE0EEENS1_30default_config_static_selectorELNS0_4arch9wavefront6targetE0EEEvT1_,@function
_ZN7rocprim17ROCPRIM_400000_NS6detail17trampoline_kernelINS0_14default_configENS1_25transform_config_selectorIdLb1EEEZNS1_14transform_implILb1ES3_S5_PKdPdNS0_8identityIdEEEE10hipError_tT2_T3_mT4_P12ihipStream_tbEUlT_E_NS1_11comp_targetILNS1_3genE0ELNS1_11target_archE4294967295ELNS1_3gpuE0ELNS1_3repE0EEENS1_30default_config_static_selectorELNS0_4arch9wavefront6targetE0EEEvT1_: ; @_ZN7rocprim17ROCPRIM_400000_NS6detail17trampoline_kernelINS0_14default_configENS1_25transform_config_selectorIdLb1EEEZNS1_14transform_implILb1ES3_S5_PKdPdNS0_8identityIdEEEE10hipError_tT2_T3_mT4_P12ihipStream_tbEUlT_E_NS1_11comp_targetILNS1_3genE0ELNS1_11target_archE4294967295ELNS1_3gpuE0ELNS1_3repE0EEENS1_30default_config_static_selectorELNS0_4arch9wavefront6targetE0EEEvT1_
; %bb.0:
	s_clause 0x1
	s_load_b32 s2, s[0:1], 0x28
	s_load_b32 s3, s[0:1], 0x10
	s_bfe_u32 s4, ttmp6, 0x4000c
	s_and_b32 s5, ttmp6, 15
	s_add_co_i32 s4, s4, 1
	s_getreg_b32 s6, hwreg(HW_REG_IB_STS2, 6, 4)
	s_mul_i32 s4, ttmp9, s4
	s_delay_alu instid0(SALU_CYCLE_1)
	s_add_co_i32 s5, s5, s4
	s_cmp_eq_u32 s6, 0
	s_cselect_b32 s4, ttmp9, s5
	s_wait_kmcnt 0x0
	s_add_co_i32 s5, s2, -1
	s_lshl_b32 s2, s4, 7
	s_cmp_lg_u32 s4, s5
	s_cselect_b32 s4, -1, 0
	s_sub_co_i32 s3, s3, s2
	s_delay_alu instid0(SALU_CYCLE_1) | instskip(SKIP_2) | instid1(SALU_CYCLE_1)
	v_cmp_gt_u32_e32 vcc_lo, s3, v0
	s_mov_b32 s3, 0
	s_or_b32 s4, vcc_lo, s4
	s_and_saveexec_b32 s5, s4
	s_cbranch_execz .LBB1510_2
; %bb.1:
	s_clause 0x1
	s_load_b128 s[4:7], s[0:1], 0x0
	s_load_b64 s[8:9], s[0:1], 0x18
	s_lshl_b64 s[2:3], s[2:3], 3
	s_wait_kmcnt 0x0
	s_lshl_b64 s[0:1], s[6:7], 3
	s_delay_alu instid0(SALU_CYCLE_1)
	s_add_nc_u64 s[4:5], s[4:5], s[0:1]
	s_add_nc_u64 s[0:1], s[8:9], s[0:1]
	;; [unrolled: 1-line block ×4, first 2 shown]
	global_load_b64 v[2:3], v0, s[4:5] scale_offset
	s_wait_loadcnt 0x0
	global_store_b64 v0, v[2:3], s[0:1] scale_offset
.LBB1510_2:
	s_endpgm
	.section	.rodata,"a",@progbits
	.p2align	6, 0x0
	.amdhsa_kernel _ZN7rocprim17ROCPRIM_400000_NS6detail17trampoline_kernelINS0_14default_configENS1_25transform_config_selectorIdLb1EEEZNS1_14transform_implILb1ES3_S5_PKdPdNS0_8identityIdEEEE10hipError_tT2_T3_mT4_P12ihipStream_tbEUlT_E_NS1_11comp_targetILNS1_3genE0ELNS1_11target_archE4294967295ELNS1_3gpuE0ELNS1_3repE0EEENS1_30default_config_static_selectorELNS0_4arch9wavefront6targetE0EEEvT1_
		.amdhsa_group_segment_fixed_size 0
		.amdhsa_private_segment_fixed_size 0
		.amdhsa_kernarg_size 296
		.amdhsa_user_sgpr_count 2
		.amdhsa_user_sgpr_dispatch_ptr 0
		.amdhsa_user_sgpr_queue_ptr 0
		.amdhsa_user_sgpr_kernarg_segment_ptr 1
		.amdhsa_user_sgpr_dispatch_id 0
		.amdhsa_user_sgpr_kernarg_preload_length 0
		.amdhsa_user_sgpr_kernarg_preload_offset 0
		.amdhsa_user_sgpr_private_segment_size 0
		.amdhsa_wavefront_size32 1
		.amdhsa_uses_dynamic_stack 0
		.amdhsa_enable_private_segment 0
		.amdhsa_system_sgpr_workgroup_id_x 1
		.amdhsa_system_sgpr_workgroup_id_y 0
		.amdhsa_system_sgpr_workgroup_id_z 0
		.amdhsa_system_sgpr_workgroup_info 0
		.amdhsa_system_vgpr_workitem_id 0
		.amdhsa_next_free_vgpr 4
		.amdhsa_next_free_sgpr 10
		.amdhsa_named_barrier_count 0
		.amdhsa_reserve_vcc 1
		.amdhsa_float_round_mode_32 0
		.amdhsa_float_round_mode_16_64 0
		.amdhsa_float_denorm_mode_32 3
		.amdhsa_float_denorm_mode_16_64 3
		.amdhsa_fp16_overflow 0
		.amdhsa_memory_ordered 1
		.amdhsa_forward_progress 1
		.amdhsa_inst_pref_size 2
		.amdhsa_round_robin_scheduling 0
		.amdhsa_exception_fp_ieee_invalid_op 0
		.amdhsa_exception_fp_denorm_src 0
		.amdhsa_exception_fp_ieee_div_zero 0
		.amdhsa_exception_fp_ieee_overflow 0
		.amdhsa_exception_fp_ieee_underflow 0
		.amdhsa_exception_fp_ieee_inexact 0
		.amdhsa_exception_int_div_zero 0
	.end_amdhsa_kernel
	.section	.text._ZN7rocprim17ROCPRIM_400000_NS6detail17trampoline_kernelINS0_14default_configENS1_25transform_config_selectorIdLb1EEEZNS1_14transform_implILb1ES3_S5_PKdPdNS0_8identityIdEEEE10hipError_tT2_T3_mT4_P12ihipStream_tbEUlT_E_NS1_11comp_targetILNS1_3genE0ELNS1_11target_archE4294967295ELNS1_3gpuE0ELNS1_3repE0EEENS1_30default_config_static_selectorELNS0_4arch9wavefront6targetE0EEEvT1_,"axG",@progbits,_ZN7rocprim17ROCPRIM_400000_NS6detail17trampoline_kernelINS0_14default_configENS1_25transform_config_selectorIdLb1EEEZNS1_14transform_implILb1ES3_S5_PKdPdNS0_8identityIdEEEE10hipError_tT2_T3_mT4_P12ihipStream_tbEUlT_E_NS1_11comp_targetILNS1_3genE0ELNS1_11target_archE4294967295ELNS1_3gpuE0ELNS1_3repE0EEENS1_30default_config_static_selectorELNS0_4arch9wavefront6targetE0EEEvT1_,comdat
.Lfunc_end1510:
	.size	_ZN7rocprim17ROCPRIM_400000_NS6detail17trampoline_kernelINS0_14default_configENS1_25transform_config_selectorIdLb1EEEZNS1_14transform_implILb1ES3_S5_PKdPdNS0_8identityIdEEEE10hipError_tT2_T3_mT4_P12ihipStream_tbEUlT_E_NS1_11comp_targetILNS1_3genE0ELNS1_11target_archE4294967295ELNS1_3gpuE0ELNS1_3repE0EEENS1_30default_config_static_selectorELNS0_4arch9wavefront6targetE0EEEvT1_, .Lfunc_end1510-_ZN7rocprim17ROCPRIM_400000_NS6detail17trampoline_kernelINS0_14default_configENS1_25transform_config_selectorIdLb1EEEZNS1_14transform_implILb1ES3_S5_PKdPdNS0_8identityIdEEEE10hipError_tT2_T3_mT4_P12ihipStream_tbEUlT_E_NS1_11comp_targetILNS1_3genE0ELNS1_11target_archE4294967295ELNS1_3gpuE0ELNS1_3repE0EEENS1_30default_config_static_selectorELNS0_4arch9wavefront6targetE0EEEvT1_
                                        ; -- End function
	.set _ZN7rocprim17ROCPRIM_400000_NS6detail17trampoline_kernelINS0_14default_configENS1_25transform_config_selectorIdLb1EEEZNS1_14transform_implILb1ES3_S5_PKdPdNS0_8identityIdEEEE10hipError_tT2_T3_mT4_P12ihipStream_tbEUlT_E_NS1_11comp_targetILNS1_3genE0ELNS1_11target_archE4294967295ELNS1_3gpuE0ELNS1_3repE0EEENS1_30default_config_static_selectorELNS0_4arch9wavefront6targetE0EEEvT1_.num_vgpr, 4
	.set _ZN7rocprim17ROCPRIM_400000_NS6detail17trampoline_kernelINS0_14default_configENS1_25transform_config_selectorIdLb1EEEZNS1_14transform_implILb1ES3_S5_PKdPdNS0_8identityIdEEEE10hipError_tT2_T3_mT4_P12ihipStream_tbEUlT_E_NS1_11comp_targetILNS1_3genE0ELNS1_11target_archE4294967295ELNS1_3gpuE0ELNS1_3repE0EEENS1_30default_config_static_selectorELNS0_4arch9wavefront6targetE0EEEvT1_.num_agpr, 0
	.set _ZN7rocprim17ROCPRIM_400000_NS6detail17trampoline_kernelINS0_14default_configENS1_25transform_config_selectorIdLb1EEEZNS1_14transform_implILb1ES3_S5_PKdPdNS0_8identityIdEEEE10hipError_tT2_T3_mT4_P12ihipStream_tbEUlT_E_NS1_11comp_targetILNS1_3genE0ELNS1_11target_archE4294967295ELNS1_3gpuE0ELNS1_3repE0EEENS1_30default_config_static_selectorELNS0_4arch9wavefront6targetE0EEEvT1_.numbered_sgpr, 10
	.set _ZN7rocprim17ROCPRIM_400000_NS6detail17trampoline_kernelINS0_14default_configENS1_25transform_config_selectorIdLb1EEEZNS1_14transform_implILb1ES3_S5_PKdPdNS0_8identityIdEEEE10hipError_tT2_T3_mT4_P12ihipStream_tbEUlT_E_NS1_11comp_targetILNS1_3genE0ELNS1_11target_archE4294967295ELNS1_3gpuE0ELNS1_3repE0EEENS1_30default_config_static_selectorELNS0_4arch9wavefront6targetE0EEEvT1_.num_named_barrier, 0
	.set _ZN7rocprim17ROCPRIM_400000_NS6detail17trampoline_kernelINS0_14default_configENS1_25transform_config_selectorIdLb1EEEZNS1_14transform_implILb1ES3_S5_PKdPdNS0_8identityIdEEEE10hipError_tT2_T3_mT4_P12ihipStream_tbEUlT_E_NS1_11comp_targetILNS1_3genE0ELNS1_11target_archE4294967295ELNS1_3gpuE0ELNS1_3repE0EEENS1_30default_config_static_selectorELNS0_4arch9wavefront6targetE0EEEvT1_.private_seg_size, 0
	.set _ZN7rocprim17ROCPRIM_400000_NS6detail17trampoline_kernelINS0_14default_configENS1_25transform_config_selectorIdLb1EEEZNS1_14transform_implILb1ES3_S5_PKdPdNS0_8identityIdEEEE10hipError_tT2_T3_mT4_P12ihipStream_tbEUlT_E_NS1_11comp_targetILNS1_3genE0ELNS1_11target_archE4294967295ELNS1_3gpuE0ELNS1_3repE0EEENS1_30default_config_static_selectorELNS0_4arch9wavefront6targetE0EEEvT1_.uses_vcc, 1
	.set _ZN7rocprim17ROCPRIM_400000_NS6detail17trampoline_kernelINS0_14default_configENS1_25transform_config_selectorIdLb1EEEZNS1_14transform_implILb1ES3_S5_PKdPdNS0_8identityIdEEEE10hipError_tT2_T3_mT4_P12ihipStream_tbEUlT_E_NS1_11comp_targetILNS1_3genE0ELNS1_11target_archE4294967295ELNS1_3gpuE0ELNS1_3repE0EEENS1_30default_config_static_selectorELNS0_4arch9wavefront6targetE0EEEvT1_.uses_flat_scratch, 0
	.set _ZN7rocprim17ROCPRIM_400000_NS6detail17trampoline_kernelINS0_14default_configENS1_25transform_config_selectorIdLb1EEEZNS1_14transform_implILb1ES3_S5_PKdPdNS0_8identityIdEEEE10hipError_tT2_T3_mT4_P12ihipStream_tbEUlT_E_NS1_11comp_targetILNS1_3genE0ELNS1_11target_archE4294967295ELNS1_3gpuE0ELNS1_3repE0EEENS1_30default_config_static_selectorELNS0_4arch9wavefront6targetE0EEEvT1_.has_dyn_sized_stack, 0
	.set _ZN7rocprim17ROCPRIM_400000_NS6detail17trampoline_kernelINS0_14default_configENS1_25transform_config_selectorIdLb1EEEZNS1_14transform_implILb1ES3_S5_PKdPdNS0_8identityIdEEEE10hipError_tT2_T3_mT4_P12ihipStream_tbEUlT_E_NS1_11comp_targetILNS1_3genE0ELNS1_11target_archE4294967295ELNS1_3gpuE0ELNS1_3repE0EEENS1_30default_config_static_selectorELNS0_4arch9wavefront6targetE0EEEvT1_.has_recursion, 0
	.set _ZN7rocprim17ROCPRIM_400000_NS6detail17trampoline_kernelINS0_14default_configENS1_25transform_config_selectorIdLb1EEEZNS1_14transform_implILb1ES3_S5_PKdPdNS0_8identityIdEEEE10hipError_tT2_T3_mT4_P12ihipStream_tbEUlT_E_NS1_11comp_targetILNS1_3genE0ELNS1_11target_archE4294967295ELNS1_3gpuE0ELNS1_3repE0EEENS1_30default_config_static_selectorELNS0_4arch9wavefront6targetE0EEEvT1_.has_indirect_call, 0
	.section	.AMDGPU.csdata,"",@progbits
; Kernel info:
; codeLenInByte = 192
; TotalNumSgprs: 12
; NumVgprs: 4
; ScratchSize: 0
; MemoryBound: 0
; FloatMode: 240
; IeeeMode: 1
; LDSByteSize: 0 bytes/workgroup (compile time only)
; SGPRBlocks: 0
; VGPRBlocks: 0
; NumSGPRsForWavesPerEU: 12
; NumVGPRsForWavesPerEU: 4
; NamedBarCnt: 0
; Occupancy: 16
; WaveLimiterHint : 0
; COMPUTE_PGM_RSRC2:SCRATCH_EN: 0
; COMPUTE_PGM_RSRC2:USER_SGPR: 2
; COMPUTE_PGM_RSRC2:TRAP_HANDLER: 0
; COMPUTE_PGM_RSRC2:TGID_X_EN: 1
; COMPUTE_PGM_RSRC2:TGID_Y_EN: 0
; COMPUTE_PGM_RSRC2:TGID_Z_EN: 0
; COMPUTE_PGM_RSRC2:TIDIG_COMP_CNT: 0
	.section	.text._ZN7rocprim17ROCPRIM_400000_NS6detail17trampoline_kernelINS0_14default_configENS1_25transform_config_selectorIdLb1EEEZNS1_14transform_implILb1ES3_S5_PKdPdNS0_8identityIdEEEE10hipError_tT2_T3_mT4_P12ihipStream_tbEUlT_E_NS1_11comp_targetILNS1_3genE10ELNS1_11target_archE1201ELNS1_3gpuE5ELNS1_3repE0EEENS1_30default_config_static_selectorELNS0_4arch9wavefront6targetE0EEEvT1_,"axG",@progbits,_ZN7rocprim17ROCPRIM_400000_NS6detail17trampoline_kernelINS0_14default_configENS1_25transform_config_selectorIdLb1EEEZNS1_14transform_implILb1ES3_S5_PKdPdNS0_8identityIdEEEE10hipError_tT2_T3_mT4_P12ihipStream_tbEUlT_E_NS1_11comp_targetILNS1_3genE10ELNS1_11target_archE1201ELNS1_3gpuE5ELNS1_3repE0EEENS1_30default_config_static_selectorELNS0_4arch9wavefront6targetE0EEEvT1_,comdat
	.protected	_ZN7rocprim17ROCPRIM_400000_NS6detail17trampoline_kernelINS0_14default_configENS1_25transform_config_selectorIdLb1EEEZNS1_14transform_implILb1ES3_S5_PKdPdNS0_8identityIdEEEE10hipError_tT2_T3_mT4_P12ihipStream_tbEUlT_E_NS1_11comp_targetILNS1_3genE10ELNS1_11target_archE1201ELNS1_3gpuE5ELNS1_3repE0EEENS1_30default_config_static_selectorELNS0_4arch9wavefront6targetE0EEEvT1_ ; -- Begin function _ZN7rocprim17ROCPRIM_400000_NS6detail17trampoline_kernelINS0_14default_configENS1_25transform_config_selectorIdLb1EEEZNS1_14transform_implILb1ES3_S5_PKdPdNS0_8identityIdEEEE10hipError_tT2_T3_mT4_P12ihipStream_tbEUlT_E_NS1_11comp_targetILNS1_3genE10ELNS1_11target_archE1201ELNS1_3gpuE5ELNS1_3repE0EEENS1_30default_config_static_selectorELNS0_4arch9wavefront6targetE0EEEvT1_
	.globl	_ZN7rocprim17ROCPRIM_400000_NS6detail17trampoline_kernelINS0_14default_configENS1_25transform_config_selectorIdLb1EEEZNS1_14transform_implILb1ES3_S5_PKdPdNS0_8identityIdEEEE10hipError_tT2_T3_mT4_P12ihipStream_tbEUlT_E_NS1_11comp_targetILNS1_3genE10ELNS1_11target_archE1201ELNS1_3gpuE5ELNS1_3repE0EEENS1_30default_config_static_selectorELNS0_4arch9wavefront6targetE0EEEvT1_
	.p2align	8
	.type	_ZN7rocprim17ROCPRIM_400000_NS6detail17trampoline_kernelINS0_14default_configENS1_25transform_config_selectorIdLb1EEEZNS1_14transform_implILb1ES3_S5_PKdPdNS0_8identityIdEEEE10hipError_tT2_T3_mT4_P12ihipStream_tbEUlT_E_NS1_11comp_targetILNS1_3genE10ELNS1_11target_archE1201ELNS1_3gpuE5ELNS1_3repE0EEENS1_30default_config_static_selectorELNS0_4arch9wavefront6targetE0EEEvT1_,@function
_ZN7rocprim17ROCPRIM_400000_NS6detail17trampoline_kernelINS0_14default_configENS1_25transform_config_selectorIdLb1EEEZNS1_14transform_implILb1ES3_S5_PKdPdNS0_8identityIdEEEE10hipError_tT2_T3_mT4_P12ihipStream_tbEUlT_E_NS1_11comp_targetILNS1_3genE10ELNS1_11target_archE1201ELNS1_3gpuE5ELNS1_3repE0EEENS1_30default_config_static_selectorELNS0_4arch9wavefront6targetE0EEEvT1_: ; @_ZN7rocprim17ROCPRIM_400000_NS6detail17trampoline_kernelINS0_14default_configENS1_25transform_config_selectorIdLb1EEEZNS1_14transform_implILb1ES3_S5_PKdPdNS0_8identityIdEEEE10hipError_tT2_T3_mT4_P12ihipStream_tbEUlT_E_NS1_11comp_targetILNS1_3genE10ELNS1_11target_archE1201ELNS1_3gpuE5ELNS1_3repE0EEENS1_30default_config_static_selectorELNS0_4arch9wavefront6targetE0EEEvT1_
; %bb.0:
	.section	.rodata,"a",@progbits
	.p2align	6, 0x0
	.amdhsa_kernel _ZN7rocprim17ROCPRIM_400000_NS6detail17trampoline_kernelINS0_14default_configENS1_25transform_config_selectorIdLb1EEEZNS1_14transform_implILb1ES3_S5_PKdPdNS0_8identityIdEEEE10hipError_tT2_T3_mT4_P12ihipStream_tbEUlT_E_NS1_11comp_targetILNS1_3genE10ELNS1_11target_archE1201ELNS1_3gpuE5ELNS1_3repE0EEENS1_30default_config_static_selectorELNS0_4arch9wavefront6targetE0EEEvT1_
		.amdhsa_group_segment_fixed_size 0
		.amdhsa_private_segment_fixed_size 0
		.amdhsa_kernarg_size 40
		.amdhsa_user_sgpr_count 2
		.amdhsa_user_sgpr_dispatch_ptr 0
		.amdhsa_user_sgpr_queue_ptr 0
		.amdhsa_user_sgpr_kernarg_segment_ptr 1
		.amdhsa_user_sgpr_dispatch_id 0
		.amdhsa_user_sgpr_kernarg_preload_length 0
		.amdhsa_user_sgpr_kernarg_preload_offset 0
		.amdhsa_user_sgpr_private_segment_size 0
		.amdhsa_wavefront_size32 1
		.amdhsa_uses_dynamic_stack 0
		.amdhsa_enable_private_segment 0
		.amdhsa_system_sgpr_workgroup_id_x 1
		.amdhsa_system_sgpr_workgroup_id_y 0
		.amdhsa_system_sgpr_workgroup_id_z 0
		.amdhsa_system_sgpr_workgroup_info 0
		.amdhsa_system_vgpr_workitem_id 0
		.amdhsa_next_free_vgpr 1
		.amdhsa_next_free_sgpr 1
		.amdhsa_named_barrier_count 0
		.amdhsa_reserve_vcc 0
		.amdhsa_float_round_mode_32 0
		.amdhsa_float_round_mode_16_64 0
		.amdhsa_float_denorm_mode_32 3
		.amdhsa_float_denorm_mode_16_64 3
		.amdhsa_fp16_overflow 0
		.amdhsa_memory_ordered 1
		.amdhsa_forward_progress 1
		.amdhsa_inst_pref_size 0
		.amdhsa_round_robin_scheduling 0
		.amdhsa_exception_fp_ieee_invalid_op 0
		.amdhsa_exception_fp_denorm_src 0
		.amdhsa_exception_fp_ieee_div_zero 0
		.amdhsa_exception_fp_ieee_overflow 0
		.amdhsa_exception_fp_ieee_underflow 0
		.amdhsa_exception_fp_ieee_inexact 0
		.amdhsa_exception_int_div_zero 0
	.end_amdhsa_kernel
	.section	.text._ZN7rocprim17ROCPRIM_400000_NS6detail17trampoline_kernelINS0_14default_configENS1_25transform_config_selectorIdLb1EEEZNS1_14transform_implILb1ES3_S5_PKdPdNS0_8identityIdEEEE10hipError_tT2_T3_mT4_P12ihipStream_tbEUlT_E_NS1_11comp_targetILNS1_3genE10ELNS1_11target_archE1201ELNS1_3gpuE5ELNS1_3repE0EEENS1_30default_config_static_selectorELNS0_4arch9wavefront6targetE0EEEvT1_,"axG",@progbits,_ZN7rocprim17ROCPRIM_400000_NS6detail17trampoline_kernelINS0_14default_configENS1_25transform_config_selectorIdLb1EEEZNS1_14transform_implILb1ES3_S5_PKdPdNS0_8identityIdEEEE10hipError_tT2_T3_mT4_P12ihipStream_tbEUlT_E_NS1_11comp_targetILNS1_3genE10ELNS1_11target_archE1201ELNS1_3gpuE5ELNS1_3repE0EEENS1_30default_config_static_selectorELNS0_4arch9wavefront6targetE0EEEvT1_,comdat
.Lfunc_end1511:
	.size	_ZN7rocprim17ROCPRIM_400000_NS6detail17trampoline_kernelINS0_14default_configENS1_25transform_config_selectorIdLb1EEEZNS1_14transform_implILb1ES3_S5_PKdPdNS0_8identityIdEEEE10hipError_tT2_T3_mT4_P12ihipStream_tbEUlT_E_NS1_11comp_targetILNS1_3genE10ELNS1_11target_archE1201ELNS1_3gpuE5ELNS1_3repE0EEENS1_30default_config_static_selectorELNS0_4arch9wavefront6targetE0EEEvT1_, .Lfunc_end1511-_ZN7rocprim17ROCPRIM_400000_NS6detail17trampoline_kernelINS0_14default_configENS1_25transform_config_selectorIdLb1EEEZNS1_14transform_implILb1ES3_S5_PKdPdNS0_8identityIdEEEE10hipError_tT2_T3_mT4_P12ihipStream_tbEUlT_E_NS1_11comp_targetILNS1_3genE10ELNS1_11target_archE1201ELNS1_3gpuE5ELNS1_3repE0EEENS1_30default_config_static_selectorELNS0_4arch9wavefront6targetE0EEEvT1_
                                        ; -- End function
	.set _ZN7rocprim17ROCPRIM_400000_NS6detail17trampoline_kernelINS0_14default_configENS1_25transform_config_selectorIdLb1EEEZNS1_14transform_implILb1ES3_S5_PKdPdNS0_8identityIdEEEE10hipError_tT2_T3_mT4_P12ihipStream_tbEUlT_E_NS1_11comp_targetILNS1_3genE10ELNS1_11target_archE1201ELNS1_3gpuE5ELNS1_3repE0EEENS1_30default_config_static_selectorELNS0_4arch9wavefront6targetE0EEEvT1_.num_vgpr, 0
	.set _ZN7rocprim17ROCPRIM_400000_NS6detail17trampoline_kernelINS0_14default_configENS1_25transform_config_selectorIdLb1EEEZNS1_14transform_implILb1ES3_S5_PKdPdNS0_8identityIdEEEE10hipError_tT2_T3_mT4_P12ihipStream_tbEUlT_E_NS1_11comp_targetILNS1_3genE10ELNS1_11target_archE1201ELNS1_3gpuE5ELNS1_3repE0EEENS1_30default_config_static_selectorELNS0_4arch9wavefront6targetE0EEEvT1_.num_agpr, 0
	.set _ZN7rocprim17ROCPRIM_400000_NS6detail17trampoline_kernelINS0_14default_configENS1_25transform_config_selectorIdLb1EEEZNS1_14transform_implILb1ES3_S5_PKdPdNS0_8identityIdEEEE10hipError_tT2_T3_mT4_P12ihipStream_tbEUlT_E_NS1_11comp_targetILNS1_3genE10ELNS1_11target_archE1201ELNS1_3gpuE5ELNS1_3repE0EEENS1_30default_config_static_selectorELNS0_4arch9wavefront6targetE0EEEvT1_.numbered_sgpr, 0
	.set _ZN7rocprim17ROCPRIM_400000_NS6detail17trampoline_kernelINS0_14default_configENS1_25transform_config_selectorIdLb1EEEZNS1_14transform_implILb1ES3_S5_PKdPdNS0_8identityIdEEEE10hipError_tT2_T3_mT4_P12ihipStream_tbEUlT_E_NS1_11comp_targetILNS1_3genE10ELNS1_11target_archE1201ELNS1_3gpuE5ELNS1_3repE0EEENS1_30default_config_static_selectorELNS0_4arch9wavefront6targetE0EEEvT1_.num_named_barrier, 0
	.set _ZN7rocprim17ROCPRIM_400000_NS6detail17trampoline_kernelINS0_14default_configENS1_25transform_config_selectorIdLb1EEEZNS1_14transform_implILb1ES3_S5_PKdPdNS0_8identityIdEEEE10hipError_tT2_T3_mT4_P12ihipStream_tbEUlT_E_NS1_11comp_targetILNS1_3genE10ELNS1_11target_archE1201ELNS1_3gpuE5ELNS1_3repE0EEENS1_30default_config_static_selectorELNS0_4arch9wavefront6targetE0EEEvT1_.private_seg_size, 0
	.set _ZN7rocprim17ROCPRIM_400000_NS6detail17trampoline_kernelINS0_14default_configENS1_25transform_config_selectorIdLb1EEEZNS1_14transform_implILb1ES3_S5_PKdPdNS0_8identityIdEEEE10hipError_tT2_T3_mT4_P12ihipStream_tbEUlT_E_NS1_11comp_targetILNS1_3genE10ELNS1_11target_archE1201ELNS1_3gpuE5ELNS1_3repE0EEENS1_30default_config_static_selectorELNS0_4arch9wavefront6targetE0EEEvT1_.uses_vcc, 0
	.set _ZN7rocprim17ROCPRIM_400000_NS6detail17trampoline_kernelINS0_14default_configENS1_25transform_config_selectorIdLb1EEEZNS1_14transform_implILb1ES3_S5_PKdPdNS0_8identityIdEEEE10hipError_tT2_T3_mT4_P12ihipStream_tbEUlT_E_NS1_11comp_targetILNS1_3genE10ELNS1_11target_archE1201ELNS1_3gpuE5ELNS1_3repE0EEENS1_30default_config_static_selectorELNS0_4arch9wavefront6targetE0EEEvT1_.uses_flat_scratch, 0
	.set _ZN7rocprim17ROCPRIM_400000_NS6detail17trampoline_kernelINS0_14default_configENS1_25transform_config_selectorIdLb1EEEZNS1_14transform_implILb1ES3_S5_PKdPdNS0_8identityIdEEEE10hipError_tT2_T3_mT4_P12ihipStream_tbEUlT_E_NS1_11comp_targetILNS1_3genE10ELNS1_11target_archE1201ELNS1_3gpuE5ELNS1_3repE0EEENS1_30default_config_static_selectorELNS0_4arch9wavefront6targetE0EEEvT1_.has_dyn_sized_stack, 0
	.set _ZN7rocprim17ROCPRIM_400000_NS6detail17trampoline_kernelINS0_14default_configENS1_25transform_config_selectorIdLb1EEEZNS1_14transform_implILb1ES3_S5_PKdPdNS0_8identityIdEEEE10hipError_tT2_T3_mT4_P12ihipStream_tbEUlT_E_NS1_11comp_targetILNS1_3genE10ELNS1_11target_archE1201ELNS1_3gpuE5ELNS1_3repE0EEENS1_30default_config_static_selectorELNS0_4arch9wavefront6targetE0EEEvT1_.has_recursion, 0
	.set _ZN7rocprim17ROCPRIM_400000_NS6detail17trampoline_kernelINS0_14default_configENS1_25transform_config_selectorIdLb1EEEZNS1_14transform_implILb1ES3_S5_PKdPdNS0_8identityIdEEEE10hipError_tT2_T3_mT4_P12ihipStream_tbEUlT_E_NS1_11comp_targetILNS1_3genE10ELNS1_11target_archE1201ELNS1_3gpuE5ELNS1_3repE0EEENS1_30default_config_static_selectorELNS0_4arch9wavefront6targetE0EEEvT1_.has_indirect_call, 0
	.section	.AMDGPU.csdata,"",@progbits
; Kernel info:
; codeLenInByte = 0
; TotalNumSgprs: 0
; NumVgprs: 0
; ScratchSize: 0
; MemoryBound: 0
; FloatMode: 240
; IeeeMode: 1
; LDSByteSize: 0 bytes/workgroup (compile time only)
; SGPRBlocks: 0
; VGPRBlocks: 0
; NumSGPRsForWavesPerEU: 1
; NumVGPRsForWavesPerEU: 1
; NamedBarCnt: 0
; Occupancy: 16
; WaveLimiterHint : 0
; COMPUTE_PGM_RSRC2:SCRATCH_EN: 0
; COMPUTE_PGM_RSRC2:USER_SGPR: 2
; COMPUTE_PGM_RSRC2:TRAP_HANDLER: 0
; COMPUTE_PGM_RSRC2:TGID_X_EN: 1
; COMPUTE_PGM_RSRC2:TGID_Y_EN: 0
; COMPUTE_PGM_RSRC2:TGID_Z_EN: 0
; COMPUTE_PGM_RSRC2:TIDIG_COMP_CNT: 0
	.section	.text._ZN7rocprim17ROCPRIM_400000_NS6detail17trampoline_kernelINS0_14default_configENS1_25transform_config_selectorIdLb1EEEZNS1_14transform_implILb1ES3_S5_PKdPdNS0_8identityIdEEEE10hipError_tT2_T3_mT4_P12ihipStream_tbEUlT_E_NS1_11comp_targetILNS1_3genE5ELNS1_11target_archE942ELNS1_3gpuE9ELNS1_3repE0EEENS1_30default_config_static_selectorELNS0_4arch9wavefront6targetE0EEEvT1_,"axG",@progbits,_ZN7rocprim17ROCPRIM_400000_NS6detail17trampoline_kernelINS0_14default_configENS1_25transform_config_selectorIdLb1EEEZNS1_14transform_implILb1ES3_S5_PKdPdNS0_8identityIdEEEE10hipError_tT2_T3_mT4_P12ihipStream_tbEUlT_E_NS1_11comp_targetILNS1_3genE5ELNS1_11target_archE942ELNS1_3gpuE9ELNS1_3repE0EEENS1_30default_config_static_selectorELNS0_4arch9wavefront6targetE0EEEvT1_,comdat
	.protected	_ZN7rocprim17ROCPRIM_400000_NS6detail17trampoline_kernelINS0_14default_configENS1_25transform_config_selectorIdLb1EEEZNS1_14transform_implILb1ES3_S5_PKdPdNS0_8identityIdEEEE10hipError_tT2_T3_mT4_P12ihipStream_tbEUlT_E_NS1_11comp_targetILNS1_3genE5ELNS1_11target_archE942ELNS1_3gpuE9ELNS1_3repE0EEENS1_30default_config_static_selectorELNS0_4arch9wavefront6targetE0EEEvT1_ ; -- Begin function _ZN7rocprim17ROCPRIM_400000_NS6detail17trampoline_kernelINS0_14default_configENS1_25transform_config_selectorIdLb1EEEZNS1_14transform_implILb1ES3_S5_PKdPdNS0_8identityIdEEEE10hipError_tT2_T3_mT4_P12ihipStream_tbEUlT_E_NS1_11comp_targetILNS1_3genE5ELNS1_11target_archE942ELNS1_3gpuE9ELNS1_3repE0EEENS1_30default_config_static_selectorELNS0_4arch9wavefront6targetE0EEEvT1_
	.globl	_ZN7rocprim17ROCPRIM_400000_NS6detail17trampoline_kernelINS0_14default_configENS1_25transform_config_selectorIdLb1EEEZNS1_14transform_implILb1ES3_S5_PKdPdNS0_8identityIdEEEE10hipError_tT2_T3_mT4_P12ihipStream_tbEUlT_E_NS1_11comp_targetILNS1_3genE5ELNS1_11target_archE942ELNS1_3gpuE9ELNS1_3repE0EEENS1_30default_config_static_selectorELNS0_4arch9wavefront6targetE0EEEvT1_
	.p2align	8
	.type	_ZN7rocprim17ROCPRIM_400000_NS6detail17trampoline_kernelINS0_14default_configENS1_25transform_config_selectorIdLb1EEEZNS1_14transform_implILb1ES3_S5_PKdPdNS0_8identityIdEEEE10hipError_tT2_T3_mT4_P12ihipStream_tbEUlT_E_NS1_11comp_targetILNS1_3genE5ELNS1_11target_archE942ELNS1_3gpuE9ELNS1_3repE0EEENS1_30default_config_static_selectorELNS0_4arch9wavefront6targetE0EEEvT1_,@function
_ZN7rocprim17ROCPRIM_400000_NS6detail17trampoline_kernelINS0_14default_configENS1_25transform_config_selectorIdLb1EEEZNS1_14transform_implILb1ES3_S5_PKdPdNS0_8identityIdEEEE10hipError_tT2_T3_mT4_P12ihipStream_tbEUlT_E_NS1_11comp_targetILNS1_3genE5ELNS1_11target_archE942ELNS1_3gpuE9ELNS1_3repE0EEENS1_30default_config_static_selectorELNS0_4arch9wavefront6targetE0EEEvT1_: ; @_ZN7rocprim17ROCPRIM_400000_NS6detail17trampoline_kernelINS0_14default_configENS1_25transform_config_selectorIdLb1EEEZNS1_14transform_implILb1ES3_S5_PKdPdNS0_8identityIdEEEE10hipError_tT2_T3_mT4_P12ihipStream_tbEUlT_E_NS1_11comp_targetILNS1_3genE5ELNS1_11target_archE942ELNS1_3gpuE9ELNS1_3repE0EEENS1_30default_config_static_selectorELNS0_4arch9wavefront6targetE0EEEvT1_
; %bb.0:
	.section	.rodata,"a",@progbits
	.p2align	6, 0x0
	.amdhsa_kernel _ZN7rocprim17ROCPRIM_400000_NS6detail17trampoline_kernelINS0_14default_configENS1_25transform_config_selectorIdLb1EEEZNS1_14transform_implILb1ES3_S5_PKdPdNS0_8identityIdEEEE10hipError_tT2_T3_mT4_P12ihipStream_tbEUlT_E_NS1_11comp_targetILNS1_3genE5ELNS1_11target_archE942ELNS1_3gpuE9ELNS1_3repE0EEENS1_30default_config_static_selectorELNS0_4arch9wavefront6targetE0EEEvT1_
		.amdhsa_group_segment_fixed_size 0
		.amdhsa_private_segment_fixed_size 0
		.amdhsa_kernarg_size 40
		.amdhsa_user_sgpr_count 2
		.amdhsa_user_sgpr_dispatch_ptr 0
		.amdhsa_user_sgpr_queue_ptr 0
		.amdhsa_user_sgpr_kernarg_segment_ptr 1
		.amdhsa_user_sgpr_dispatch_id 0
		.amdhsa_user_sgpr_kernarg_preload_length 0
		.amdhsa_user_sgpr_kernarg_preload_offset 0
		.amdhsa_user_sgpr_private_segment_size 0
		.amdhsa_wavefront_size32 1
		.amdhsa_uses_dynamic_stack 0
		.amdhsa_enable_private_segment 0
		.amdhsa_system_sgpr_workgroup_id_x 1
		.amdhsa_system_sgpr_workgroup_id_y 0
		.amdhsa_system_sgpr_workgroup_id_z 0
		.amdhsa_system_sgpr_workgroup_info 0
		.amdhsa_system_vgpr_workitem_id 0
		.amdhsa_next_free_vgpr 1
		.amdhsa_next_free_sgpr 1
		.amdhsa_named_barrier_count 0
		.amdhsa_reserve_vcc 0
		.amdhsa_float_round_mode_32 0
		.amdhsa_float_round_mode_16_64 0
		.amdhsa_float_denorm_mode_32 3
		.amdhsa_float_denorm_mode_16_64 3
		.amdhsa_fp16_overflow 0
		.amdhsa_memory_ordered 1
		.amdhsa_forward_progress 1
		.amdhsa_inst_pref_size 0
		.amdhsa_round_robin_scheduling 0
		.amdhsa_exception_fp_ieee_invalid_op 0
		.amdhsa_exception_fp_denorm_src 0
		.amdhsa_exception_fp_ieee_div_zero 0
		.amdhsa_exception_fp_ieee_overflow 0
		.amdhsa_exception_fp_ieee_underflow 0
		.amdhsa_exception_fp_ieee_inexact 0
		.amdhsa_exception_int_div_zero 0
	.end_amdhsa_kernel
	.section	.text._ZN7rocprim17ROCPRIM_400000_NS6detail17trampoline_kernelINS0_14default_configENS1_25transform_config_selectorIdLb1EEEZNS1_14transform_implILb1ES3_S5_PKdPdNS0_8identityIdEEEE10hipError_tT2_T3_mT4_P12ihipStream_tbEUlT_E_NS1_11comp_targetILNS1_3genE5ELNS1_11target_archE942ELNS1_3gpuE9ELNS1_3repE0EEENS1_30default_config_static_selectorELNS0_4arch9wavefront6targetE0EEEvT1_,"axG",@progbits,_ZN7rocprim17ROCPRIM_400000_NS6detail17trampoline_kernelINS0_14default_configENS1_25transform_config_selectorIdLb1EEEZNS1_14transform_implILb1ES3_S5_PKdPdNS0_8identityIdEEEE10hipError_tT2_T3_mT4_P12ihipStream_tbEUlT_E_NS1_11comp_targetILNS1_3genE5ELNS1_11target_archE942ELNS1_3gpuE9ELNS1_3repE0EEENS1_30default_config_static_selectorELNS0_4arch9wavefront6targetE0EEEvT1_,comdat
.Lfunc_end1512:
	.size	_ZN7rocprim17ROCPRIM_400000_NS6detail17trampoline_kernelINS0_14default_configENS1_25transform_config_selectorIdLb1EEEZNS1_14transform_implILb1ES3_S5_PKdPdNS0_8identityIdEEEE10hipError_tT2_T3_mT4_P12ihipStream_tbEUlT_E_NS1_11comp_targetILNS1_3genE5ELNS1_11target_archE942ELNS1_3gpuE9ELNS1_3repE0EEENS1_30default_config_static_selectorELNS0_4arch9wavefront6targetE0EEEvT1_, .Lfunc_end1512-_ZN7rocprim17ROCPRIM_400000_NS6detail17trampoline_kernelINS0_14default_configENS1_25transform_config_selectorIdLb1EEEZNS1_14transform_implILb1ES3_S5_PKdPdNS0_8identityIdEEEE10hipError_tT2_T3_mT4_P12ihipStream_tbEUlT_E_NS1_11comp_targetILNS1_3genE5ELNS1_11target_archE942ELNS1_3gpuE9ELNS1_3repE0EEENS1_30default_config_static_selectorELNS0_4arch9wavefront6targetE0EEEvT1_
                                        ; -- End function
	.set _ZN7rocprim17ROCPRIM_400000_NS6detail17trampoline_kernelINS0_14default_configENS1_25transform_config_selectorIdLb1EEEZNS1_14transform_implILb1ES3_S5_PKdPdNS0_8identityIdEEEE10hipError_tT2_T3_mT4_P12ihipStream_tbEUlT_E_NS1_11comp_targetILNS1_3genE5ELNS1_11target_archE942ELNS1_3gpuE9ELNS1_3repE0EEENS1_30default_config_static_selectorELNS0_4arch9wavefront6targetE0EEEvT1_.num_vgpr, 0
	.set _ZN7rocprim17ROCPRIM_400000_NS6detail17trampoline_kernelINS0_14default_configENS1_25transform_config_selectorIdLb1EEEZNS1_14transform_implILb1ES3_S5_PKdPdNS0_8identityIdEEEE10hipError_tT2_T3_mT4_P12ihipStream_tbEUlT_E_NS1_11comp_targetILNS1_3genE5ELNS1_11target_archE942ELNS1_3gpuE9ELNS1_3repE0EEENS1_30default_config_static_selectorELNS0_4arch9wavefront6targetE0EEEvT1_.num_agpr, 0
	.set _ZN7rocprim17ROCPRIM_400000_NS6detail17trampoline_kernelINS0_14default_configENS1_25transform_config_selectorIdLb1EEEZNS1_14transform_implILb1ES3_S5_PKdPdNS0_8identityIdEEEE10hipError_tT2_T3_mT4_P12ihipStream_tbEUlT_E_NS1_11comp_targetILNS1_3genE5ELNS1_11target_archE942ELNS1_3gpuE9ELNS1_3repE0EEENS1_30default_config_static_selectorELNS0_4arch9wavefront6targetE0EEEvT1_.numbered_sgpr, 0
	.set _ZN7rocprim17ROCPRIM_400000_NS6detail17trampoline_kernelINS0_14default_configENS1_25transform_config_selectorIdLb1EEEZNS1_14transform_implILb1ES3_S5_PKdPdNS0_8identityIdEEEE10hipError_tT2_T3_mT4_P12ihipStream_tbEUlT_E_NS1_11comp_targetILNS1_3genE5ELNS1_11target_archE942ELNS1_3gpuE9ELNS1_3repE0EEENS1_30default_config_static_selectorELNS0_4arch9wavefront6targetE0EEEvT1_.num_named_barrier, 0
	.set _ZN7rocprim17ROCPRIM_400000_NS6detail17trampoline_kernelINS0_14default_configENS1_25transform_config_selectorIdLb1EEEZNS1_14transform_implILb1ES3_S5_PKdPdNS0_8identityIdEEEE10hipError_tT2_T3_mT4_P12ihipStream_tbEUlT_E_NS1_11comp_targetILNS1_3genE5ELNS1_11target_archE942ELNS1_3gpuE9ELNS1_3repE0EEENS1_30default_config_static_selectorELNS0_4arch9wavefront6targetE0EEEvT1_.private_seg_size, 0
	.set _ZN7rocprim17ROCPRIM_400000_NS6detail17trampoline_kernelINS0_14default_configENS1_25transform_config_selectorIdLb1EEEZNS1_14transform_implILb1ES3_S5_PKdPdNS0_8identityIdEEEE10hipError_tT2_T3_mT4_P12ihipStream_tbEUlT_E_NS1_11comp_targetILNS1_3genE5ELNS1_11target_archE942ELNS1_3gpuE9ELNS1_3repE0EEENS1_30default_config_static_selectorELNS0_4arch9wavefront6targetE0EEEvT1_.uses_vcc, 0
	.set _ZN7rocprim17ROCPRIM_400000_NS6detail17trampoline_kernelINS0_14default_configENS1_25transform_config_selectorIdLb1EEEZNS1_14transform_implILb1ES3_S5_PKdPdNS0_8identityIdEEEE10hipError_tT2_T3_mT4_P12ihipStream_tbEUlT_E_NS1_11comp_targetILNS1_3genE5ELNS1_11target_archE942ELNS1_3gpuE9ELNS1_3repE0EEENS1_30default_config_static_selectorELNS0_4arch9wavefront6targetE0EEEvT1_.uses_flat_scratch, 0
	.set _ZN7rocprim17ROCPRIM_400000_NS6detail17trampoline_kernelINS0_14default_configENS1_25transform_config_selectorIdLb1EEEZNS1_14transform_implILb1ES3_S5_PKdPdNS0_8identityIdEEEE10hipError_tT2_T3_mT4_P12ihipStream_tbEUlT_E_NS1_11comp_targetILNS1_3genE5ELNS1_11target_archE942ELNS1_3gpuE9ELNS1_3repE0EEENS1_30default_config_static_selectorELNS0_4arch9wavefront6targetE0EEEvT1_.has_dyn_sized_stack, 0
	.set _ZN7rocprim17ROCPRIM_400000_NS6detail17trampoline_kernelINS0_14default_configENS1_25transform_config_selectorIdLb1EEEZNS1_14transform_implILb1ES3_S5_PKdPdNS0_8identityIdEEEE10hipError_tT2_T3_mT4_P12ihipStream_tbEUlT_E_NS1_11comp_targetILNS1_3genE5ELNS1_11target_archE942ELNS1_3gpuE9ELNS1_3repE0EEENS1_30default_config_static_selectorELNS0_4arch9wavefront6targetE0EEEvT1_.has_recursion, 0
	.set _ZN7rocprim17ROCPRIM_400000_NS6detail17trampoline_kernelINS0_14default_configENS1_25transform_config_selectorIdLb1EEEZNS1_14transform_implILb1ES3_S5_PKdPdNS0_8identityIdEEEE10hipError_tT2_T3_mT4_P12ihipStream_tbEUlT_E_NS1_11comp_targetILNS1_3genE5ELNS1_11target_archE942ELNS1_3gpuE9ELNS1_3repE0EEENS1_30default_config_static_selectorELNS0_4arch9wavefront6targetE0EEEvT1_.has_indirect_call, 0
	.section	.AMDGPU.csdata,"",@progbits
; Kernel info:
; codeLenInByte = 0
; TotalNumSgprs: 0
; NumVgprs: 0
; ScratchSize: 0
; MemoryBound: 0
; FloatMode: 240
; IeeeMode: 1
; LDSByteSize: 0 bytes/workgroup (compile time only)
; SGPRBlocks: 0
; VGPRBlocks: 0
; NumSGPRsForWavesPerEU: 1
; NumVGPRsForWavesPerEU: 1
; NamedBarCnt: 0
; Occupancy: 16
; WaveLimiterHint : 0
; COMPUTE_PGM_RSRC2:SCRATCH_EN: 0
; COMPUTE_PGM_RSRC2:USER_SGPR: 2
; COMPUTE_PGM_RSRC2:TRAP_HANDLER: 0
; COMPUTE_PGM_RSRC2:TGID_X_EN: 1
; COMPUTE_PGM_RSRC2:TGID_Y_EN: 0
; COMPUTE_PGM_RSRC2:TGID_Z_EN: 0
; COMPUTE_PGM_RSRC2:TIDIG_COMP_CNT: 0
	.section	.text._ZN7rocprim17ROCPRIM_400000_NS6detail17trampoline_kernelINS0_14default_configENS1_25transform_config_selectorIdLb1EEEZNS1_14transform_implILb1ES3_S5_PKdPdNS0_8identityIdEEEE10hipError_tT2_T3_mT4_P12ihipStream_tbEUlT_E_NS1_11comp_targetILNS1_3genE4ELNS1_11target_archE910ELNS1_3gpuE8ELNS1_3repE0EEENS1_30default_config_static_selectorELNS0_4arch9wavefront6targetE0EEEvT1_,"axG",@progbits,_ZN7rocprim17ROCPRIM_400000_NS6detail17trampoline_kernelINS0_14default_configENS1_25transform_config_selectorIdLb1EEEZNS1_14transform_implILb1ES3_S5_PKdPdNS0_8identityIdEEEE10hipError_tT2_T3_mT4_P12ihipStream_tbEUlT_E_NS1_11comp_targetILNS1_3genE4ELNS1_11target_archE910ELNS1_3gpuE8ELNS1_3repE0EEENS1_30default_config_static_selectorELNS0_4arch9wavefront6targetE0EEEvT1_,comdat
	.protected	_ZN7rocprim17ROCPRIM_400000_NS6detail17trampoline_kernelINS0_14default_configENS1_25transform_config_selectorIdLb1EEEZNS1_14transform_implILb1ES3_S5_PKdPdNS0_8identityIdEEEE10hipError_tT2_T3_mT4_P12ihipStream_tbEUlT_E_NS1_11comp_targetILNS1_3genE4ELNS1_11target_archE910ELNS1_3gpuE8ELNS1_3repE0EEENS1_30default_config_static_selectorELNS0_4arch9wavefront6targetE0EEEvT1_ ; -- Begin function _ZN7rocprim17ROCPRIM_400000_NS6detail17trampoline_kernelINS0_14default_configENS1_25transform_config_selectorIdLb1EEEZNS1_14transform_implILb1ES3_S5_PKdPdNS0_8identityIdEEEE10hipError_tT2_T3_mT4_P12ihipStream_tbEUlT_E_NS1_11comp_targetILNS1_3genE4ELNS1_11target_archE910ELNS1_3gpuE8ELNS1_3repE0EEENS1_30default_config_static_selectorELNS0_4arch9wavefront6targetE0EEEvT1_
	.globl	_ZN7rocprim17ROCPRIM_400000_NS6detail17trampoline_kernelINS0_14default_configENS1_25transform_config_selectorIdLb1EEEZNS1_14transform_implILb1ES3_S5_PKdPdNS0_8identityIdEEEE10hipError_tT2_T3_mT4_P12ihipStream_tbEUlT_E_NS1_11comp_targetILNS1_3genE4ELNS1_11target_archE910ELNS1_3gpuE8ELNS1_3repE0EEENS1_30default_config_static_selectorELNS0_4arch9wavefront6targetE0EEEvT1_
	.p2align	8
	.type	_ZN7rocprim17ROCPRIM_400000_NS6detail17trampoline_kernelINS0_14default_configENS1_25transform_config_selectorIdLb1EEEZNS1_14transform_implILb1ES3_S5_PKdPdNS0_8identityIdEEEE10hipError_tT2_T3_mT4_P12ihipStream_tbEUlT_E_NS1_11comp_targetILNS1_3genE4ELNS1_11target_archE910ELNS1_3gpuE8ELNS1_3repE0EEENS1_30default_config_static_selectorELNS0_4arch9wavefront6targetE0EEEvT1_,@function
_ZN7rocprim17ROCPRIM_400000_NS6detail17trampoline_kernelINS0_14default_configENS1_25transform_config_selectorIdLb1EEEZNS1_14transform_implILb1ES3_S5_PKdPdNS0_8identityIdEEEE10hipError_tT2_T3_mT4_P12ihipStream_tbEUlT_E_NS1_11comp_targetILNS1_3genE4ELNS1_11target_archE910ELNS1_3gpuE8ELNS1_3repE0EEENS1_30default_config_static_selectorELNS0_4arch9wavefront6targetE0EEEvT1_: ; @_ZN7rocprim17ROCPRIM_400000_NS6detail17trampoline_kernelINS0_14default_configENS1_25transform_config_selectorIdLb1EEEZNS1_14transform_implILb1ES3_S5_PKdPdNS0_8identityIdEEEE10hipError_tT2_T3_mT4_P12ihipStream_tbEUlT_E_NS1_11comp_targetILNS1_3genE4ELNS1_11target_archE910ELNS1_3gpuE8ELNS1_3repE0EEENS1_30default_config_static_selectorELNS0_4arch9wavefront6targetE0EEEvT1_
; %bb.0:
	.section	.rodata,"a",@progbits
	.p2align	6, 0x0
	.amdhsa_kernel _ZN7rocprim17ROCPRIM_400000_NS6detail17trampoline_kernelINS0_14default_configENS1_25transform_config_selectorIdLb1EEEZNS1_14transform_implILb1ES3_S5_PKdPdNS0_8identityIdEEEE10hipError_tT2_T3_mT4_P12ihipStream_tbEUlT_E_NS1_11comp_targetILNS1_3genE4ELNS1_11target_archE910ELNS1_3gpuE8ELNS1_3repE0EEENS1_30default_config_static_selectorELNS0_4arch9wavefront6targetE0EEEvT1_
		.amdhsa_group_segment_fixed_size 0
		.amdhsa_private_segment_fixed_size 0
		.amdhsa_kernarg_size 40
		.amdhsa_user_sgpr_count 2
		.amdhsa_user_sgpr_dispatch_ptr 0
		.amdhsa_user_sgpr_queue_ptr 0
		.amdhsa_user_sgpr_kernarg_segment_ptr 1
		.amdhsa_user_sgpr_dispatch_id 0
		.amdhsa_user_sgpr_kernarg_preload_length 0
		.amdhsa_user_sgpr_kernarg_preload_offset 0
		.amdhsa_user_sgpr_private_segment_size 0
		.amdhsa_wavefront_size32 1
		.amdhsa_uses_dynamic_stack 0
		.amdhsa_enable_private_segment 0
		.amdhsa_system_sgpr_workgroup_id_x 1
		.amdhsa_system_sgpr_workgroup_id_y 0
		.amdhsa_system_sgpr_workgroup_id_z 0
		.amdhsa_system_sgpr_workgroup_info 0
		.amdhsa_system_vgpr_workitem_id 0
		.amdhsa_next_free_vgpr 1
		.amdhsa_next_free_sgpr 1
		.amdhsa_named_barrier_count 0
		.amdhsa_reserve_vcc 0
		.amdhsa_float_round_mode_32 0
		.amdhsa_float_round_mode_16_64 0
		.amdhsa_float_denorm_mode_32 3
		.amdhsa_float_denorm_mode_16_64 3
		.amdhsa_fp16_overflow 0
		.amdhsa_memory_ordered 1
		.amdhsa_forward_progress 1
		.amdhsa_inst_pref_size 0
		.amdhsa_round_robin_scheduling 0
		.amdhsa_exception_fp_ieee_invalid_op 0
		.amdhsa_exception_fp_denorm_src 0
		.amdhsa_exception_fp_ieee_div_zero 0
		.amdhsa_exception_fp_ieee_overflow 0
		.amdhsa_exception_fp_ieee_underflow 0
		.amdhsa_exception_fp_ieee_inexact 0
		.amdhsa_exception_int_div_zero 0
	.end_amdhsa_kernel
	.section	.text._ZN7rocprim17ROCPRIM_400000_NS6detail17trampoline_kernelINS0_14default_configENS1_25transform_config_selectorIdLb1EEEZNS1_14transform_implILb1ES3_S5_PKdPdNS0_8identityIdEEEE10hipError_tT2_T3_mT4_P12ihipStream_tbEUlT_E_NS1_11comp_targetILNS1_3genE4ELNS1_11target_archE910ELNS1_3gpuE8ELNS1_3repE0EEENS1_30default_config_static_selectorELNS0_4arch9wavefront6targetE0EEEvT1_,"axG",@progbits,_ZN7rocprim17ROCPRIM_400000_NS6detail17trampoline_kernelINS0_14default_configENS1_25transform_config_selectorIdLb1EEEZNS1_14transform_implILb1ES3_S5_PKdPdNS0_8identityIdEEEE10hipError_tT2_T3_mT4_P12ihipStream_tbEUlT_E_NS1_11comp_targetILNS1_3genE4ELNS1_11target_archE910ELNS1_3gpuE8ELNS1_3repE0EEENS1_30default_config_static_selectorELNS0_4arch9wavefront6targetE0EEEvT1_,comdat
.Lfunc_end1513:
	.size	_ZN7rocprim17ROCPRIM_400000_NS6detail17trampoline_kernelINS0_14default_configENS1_25transform_config_selectorIdLb1EEEZNS1_14transform_implILb1ES3_S5_PKdPdNS0_8identityIdEEEE10hipError_tT2_T3_mT4_P12ihipStream_tbEUlT_E_NS1_11comp_targetILNS1_3genE4ELNS1_11target_archE910ELNS1_3gpuE8ELNS1_3repE0EEENS1_30default_config_static_selectorELNS0_4arch9wavefront6targetE0EEEvT1_, .Lfunc_end1513-_ZN7rocprim17ROCPRIM_400000_NS6detail17trampoline_kernelINS0_14default_configENS1_25transform_config_selectorIdLb1EEEZNS1_14transform_implILb1ES3_S5_PKdPdNS0_8identityIdEEEE10hipError_tT2_T3_mT4_P12ihipStream_tbEUlT_E_NS1_11comp_targetILNS1_3genE4ELNS1_11target_archE910ELNS1_3gpuE8ELNS1_3repE0EEENS1_30default_config_static_selectorELNS0_4arch9wavefront6targetE0EEEvT1_
                                        ; -- End function
	.set _ZN7rocprim17ROCPRIM_400000_NS6detail17trampoline_kernelINS0_14default_configENS1_25transform_config_selectorIdLb1EEEZNS1_14transform_implILb1ES3_S5_PKdPdNS0_8identityIdEEEE10hipError_tT2_T3_mT4_P12ihipStream_tbEUlT_E_NS1_11comp_targetILNS1_3genE4ELNS1_11target_archE910ELNS1_3gpuE8ELNS1_3repE0EEENS1_30default_config_static_selectorELNS0_4arch9wavefront6targetE0EEEvT1_.num_vgpr, 0
	.set _ZN7rocprim17ROCPRIM_400000_NS6detail17trampoline_kernelINS0_14default_configENS1_25transform_config_selectorIdLb1EEEZNS1_14transform_implILb1ES3_S5_PKdPdNS0_8identityIdEEEE10hipError_tT2_T3_mT4_P12ihipStream_tbEUlT_E_NS1_11comp_targetILNS1_3genE4ELNS1_11target_archE910ELNS1_3gpuE8ELNS1_3repE0EEENS1_30default_config_static_selectorELNS0_4arch9wavefront6targetE0EEEvT1_.num_agpr, 0
	.set _ZN7rocprim17ROCPRIM_400000_NS6detail17trampoline_kernelINS0_14default_configENS1_25transform_config_selectorIdLb1EEEZNS1_14transform_implILb1ES3_S5_PKdPdNS0_8identityIdEEEE10hipError_tT2_T3_mT4_P12ihipStream_tbEUlT_E_NS1_11comp_targetILNS1_3genE4ELNS1_11target_archE910ELNS1_3gpuE8ELNS1_3repE0EEENS1_30default_config_static_selectorELNS0_4arch9wavefront6targetE0EEEvT1_.numbered_sgpr, 0
	.set _ZN7rocprim17ROCPRIM_400000_NS6detail17trampoline_kernelINS0_14default_configENS1_25transform_config_selectorIdLb1EEEZNS1_14transform_implILb1ES3_S5_PKdPdNS0_8identityIdEEEE10hipError_tT2_T3_mT4_P12ihipStream_tbEUlT_E_NS1_11comp_targetILNS1_3genE4ELNS1_11target_archE910ELNS1_3gpuE8ELNS1_3repE0EEENS1_30default_config_static_selectorELNS0_4arch9wavefront6targetE0EEEvT1_.num_named_barrier, 0
	.set _ZN7rocprim17ROCPRIM_400000_NS6detail17trampoline_kernelINS0_14default_configENS1_25transform_config_selectorIdLb1EEEZNS1_14transform_implILb1ES3_S5_PKdPdNS0_8identityIdEEEE10hipError_tT2_T3_mT4_P12ihipStream_tbEUlT_E_NS1_11comp_targetILNS1_3genE4ELNS1_11target_archE910ELNS1_3gpuE8ELNS1_3repE0EEENS1_30default_config_static_selectorELNS0_4arch9wavefront6targetE0EEEvT1_.private_seg_size, 0
	.set _ZN7rocprim17ROCPRIM_400000_NS6detail17trampoline_kernelINS0_14default_configENS1_25transform_config_selectorIdLb1EEEZNS1_14transform_implILb1ES3_S5_PKdPdNS0_8identityIdEEEE10hipError_tT2_T3_mT4_P12ihipStream_tbEUlT_E_NS1_11comp_targetILNS1_3genE4ELNS1_11target_archE910ELNS1_3gpuE8ELNS1_3repE0EEENS1_30default_config_static_selectorELNS0_4arch9wavefront6targetE0EEEvT1_.uses_vcc, 0
	.set _ZN7rocprim17ROCPRIM_400000_NS6detail17trampoline_kernelINS0_14default_configENS1_25transform_config_selectorIdLb1EEEZNS1_14transform_implILb1ES3_S5_PKdPdNS0_8identityIdEEEE10hipError_tT2_T3_mT4_P12ihipStream_tbEUlT_E_NS1_11comp_targetILNS1_3genE4ELNS1_11target_archE910ELNS1_3gpuE8ELNS1_3repE0EEENS1_30default_config_static_selectorELNS0_4arch9wavefront6targetE0EEEvT1_.uses_flat_scratch, 0
	.set _ZN7rocprim17ROCPRIM_400000_NS6detail17trampoline_kernelINS0_14default_configENS1_25transform_config_selectorIdLb1EEEZNS1_14transform_implILb1ES3_S5_PKdPdNS0_8identityIdEEEE10hipError_tT2_T3_mT4_P12ihipStream_tbEUlT_E_NS1_11comp_targetILNS1_3genE4ELNS1_11target_archE910ELNS1_3gpuE8ELNS1_3repE0EEENS1_30default_config_static_selectorELNS0_4arch9wavefront6targetE0EEEvT1_.has_dyn_sized_stack, 0
	.set _ZN7rocprim17ROCPRIM_400000_NS6detail17trampoline_kernelINS0_14default_configENS1_25transform_config_selectorIdLb1EEEZNS1_14transform_implILb1ES3_S5_PKdPdNS0_8identityIdEEEE10hipError_tT2_T3_mT4_P12ihipStream_tbEUlT_E_NS1_11comp_targetILNS1_3genE4ELNS1_11target_archE910ELNS1_3gpuE8ELNS1_3repE0EEENS1_30default_config_static_selectorELNS0_4arch9wavefront6targetE0EEEvT1_.has_recursion, 0
	.set _ZN7rocprim17ROCPRIM_400000_NS6detail17trampoline_kernelINS0_14default_configENS1_25transform_config_selectorIdLb1EEEZNS1_14transform_implILb1ES3_S5_PKdPdNS0_8identityIdEEEE10hipError_tT2_T3_mT4_P12ihipStream_tbEUlT_E_NS1_11comp_targetILNS1_3genE4ELNS1_11target_archE910ELNS1_3gpuE8ELNS1_3repE0EEENS1_30default_config_static_selectorELNS0_4arch9wavefront6targetE0EEEvT1_.has_indirect_call, 0
	.section	.AMDGPU.csdata,"",@progbits
; Kernel info:
; codeLenInByte = 0
; TotalNumSgprs: 0
; NumVgprs: 0
; ScratchSize: 0
; MemoryBound: 0
; FloatMode: 240
; IeeeMode: 1
; LDSByteSize: 0 bytes/workgroup (compile time only)
; SGPRBlocks: 0
; VGPRBlocks: 0
; NumSGPRsForWavesPerEU: 1
; NumVGPRsForWavesPerEU: 1
; NamedBarCnt: 0
; Occupancy: 16
; WaveLimiterHint : 0
; COMPUTE_PGM_RSRC2:SCRATCH_EN: 0
; COMPUTE_PGM_RSRC2:USER_SGPR: 2
; COMPUTE_PGM_RSRC2:TRAP_HANDLER: 0
; COMPUTE_PGM_RSRC2:TGID_X_EN: 1
; COMPUTE_PGM_RSRC2:TGID_Y_EN: 0
; COMPUTE_PGM_RSRC2:TGID_Z_EN: 0
; COMPUTE_PGM_RSRC2:TIDIG_COMP_CNT: 0
	.section	.text._ZN7rocprim17ROCPRIM_400000_NS6detail17trampoline_kernelINS0_14default_configENS1_25transform_config_selectorIdLb1EEEZNS1_14transform_implILb1ES3_S5_PKdPdNS0_8identityIdEEEE10hipError_tT2_T3_mT4_P12ihipStream_tbEUlT_E_NS1_11comp_targetILNS1_3genE3ELNS1_11target_archE908ELNS1_3gpuE7ELNS1_3repE0EEENS1_30default_config_static_selectorELNS0_4arch9wavefront6targetE0EEEvT1_,"axG",@progbits,_ZN7rocprim17ROCPRIM_400000_NS6detail17trampoline_kernelINS0_14default_configENS1_25transform_config_selectorIdLb1EEEZNS1_14transform_implILb1ES3_S5_PKdPdNS0_8identityIdEEEE10hipError_tT2_T3_mT4_P12ihipStream_tbEUlT_E_NS1_11comp_targetILNS1_3genE3ELNS1_11target_archE908ELNS1_3gpuE7ELNS1_3repE0EEENS1_30default_config_static_selectorELNS0_4arch9wavefront6targetE0EEEvT1_,comdat
	.protected	_ZN7rocprim17ROCPRIM_400000_NS6detail17trampoline_kernelINS0_14default_configENS1_25transform_config_selectorIdLb1EEEZNS1_14transform_implILb1ES3_S5_PKdPdNS0_8identityIdEEEE10hipError_tT2_T3_mT4_P12ihipStream_tbEUlT_E_NS1_11comp_targetILNS1_3genE3ELNS1_11target_archE908ELNS1_3gpuE7ELNS1_3repE0EEENS1_30default_config_static_selectorELNS0_4arch9wavefront6targetE0EEEvT1_ ; -- Begin function _ZN7rocprim17ROCPRIM_400000_NS6detail17trampoline_kernelINS0_14default_configENS1_25transform_config_selectorIdLb1EEEZNS1_14transform_implILb1ES3_S5_PKdPdNS0_8identityIdEEEE10hipError_tT2_T3_mT4_P12ihipStream_tbEUlT_E_NS1_11comp_targetILNS1_3genE3ELNS1_11target_archE908ELNS1_3gpuE7ELNS1_3repE0EEENS1_30default_config_static_selectorELNS0_4arch9wavefront6targetE0EEEvT1_
	.globl	_ZN7rocprim17ROCPRIM_400000_NS6detail17trampoline_kernelINS0_14default_configENS1_25transform_config_selectorIdLb1EEEZNS1_14transform_implILb1ES3_S5_PKdPdNS0_8identityIdEEEE10hipError_tT2_T3_mT4_P12ihipStream_tbEUlT_E_NS1_11comp_targetILNS1_3genE3ELNS1_11target_archE908ELNS1_3gpuE7ELNS1_3repE0EEENS1_30default_config_static_selectorELNS0_4arch9wavefront6targetE0EEEvT1_
	.p2align	8
	.type	_ZN7rocprim17ROCPRIM_400000_NS6detail17trampoline_kernelINS0_14default_configENS1_25transform_config_selectorIdLb1EEEZNS1_14transform_implILb1ES3_S5_PKdPdNS0_8identityIdEEEE10hipError_tT2_T3_mT4_P12ihipStream_tbEUlT_E_NS1_11comp_targetILNS1_3genE3ELNS1_11target_archE908ELNS1_3gpuE7ELNS1_3repE0EEENS1_30default_config_static_selectorELNS0_4arch9wavefront6targetE0EEEvT1_,@function
_ZN7rocprim17ROCPRIM_400000_NS6detail17trampoline_kernelINS0_14default_configENS1_25transform_config_selectorIdLb1EEEZNS1_14transform_implILb1ES3_S5_PKdPdNS0_8identityIdEEEE10hipError_tT2_T3_mT4_P12ihipStream_tbEUlT_E_NS1_11comp_targetILNS1_3genE3ELNS1_11target_archE908ELNS1_3gpuE7ELNS1_3repE0EEENS1_30default_config_static_selectorELNS0_4arch9wavefront6targetE0EEEvT1_: ; @_ZN7rocprim17ROCPRIM_400000_NS6detail17trampoline_kernelINS0_14default_configENS1_25transform_config_selectorIdLb1EEEZNS1_14transform_implILb1ES3_S5_PKdPdNS0_8identityIdEEEE10hipError_tT2_T3_mT4_P12ihipStream_tbEUlT_E_NS1_11comp_targetILNS1_3genE3ELNS1_11target_archE908ELNS1_3gpuE7ELNS1_3repE0EEENS1_30default_config_static_selectorELNS0_4arch9wavefront6targetE0EEEvT1_
; %bb.0:
	.section	.rodata,"a",@progbits
	.p2align	6, 0x0
	.amdhsa_kernel _ZN7rocprim17ROCPRIM_400000_NS6detail17trampoline_kernelINS0_14default_configENS1_25transform_config_selectorIdLb1EEEZNS1_14transform_implILb1ES3_S5_PKdPdNS0_8identityIdEEEE10hipError_tT2_T3_mT4_P12ihipStream_tbEUlT_E_NS1_11comp_targetILNS1_3genE3ELNS1_11target_archE908ELNS1_3gpuE7ELNS1_3repE0EEENS1_30default_config_static_selectorELNS0_4arch9wavefront6targetE0EEEvT1_
		.amdhsa_group_segment_fixed_size 0
		.amdhsa_private_segment_fixed_size 0
		.amdhsa_kernarg_size 40
		.amdhsa_user_sgpr_count 2
		.amdhsa_user_sgpr_dispatch_ptr 0
		.amdhsa_user_sgpr_queue_ptr 0
		.amdhsa_user_sgpr_kernarg_segment_ptr 1
		.amdhsa_user_sgpr_dispatch_id 0
		.amdhsa_user_sgpr_kernarg_preload_length 0
		.amdhsa_user_sgpr_kernarg_preload_offset 0
		.amdhsa_user_sgpr_private_segment_size 0
		.amdhsa_wavefront_size32 1
		.amdhsa_uses_dynamic_stack 0
		.amdhsa_enable_private_segment 0
		.amdhsa_system_sgpr_workgroup_id_x 1
		.amdhsa_system_sgpr_workgroup_id_y 0
		.amdhsa_system_sgpr_workgroup_id_z 0
		.amdhsa_system_sgpr_workgroup_info 0
		.amdhsa_system_vgpr_workitem_id 0
		.amdhsa_next_free_vgpr 1
		.amdhsa_next_free_sgpr 1
		.amdhsa_named_barrier_count 0
		.amdhsa_reserve_vcc 0
		.amdhsa_float_round_mode_32 0
		.amdhsa_float_round_mode_16_64 0
		.amdhsa_float_denorm_mode_32 3
		.amdhsa_float_denorm_mode_16_64 3
		.amdhsa_fp16_overflow 0
		.amdhsa_memory_ordered 1
		.amdhsa_forward_progress 1
		.amdhsa_inst_pref_size 0
		.amdhsa_round_robin_scheduling 0
		.amdhsa_exception_fp_ieee_invalid_op 0
		.amdhsa_exception_fp_denorm_src 0
		.amdhsa_exception_fp_ieee_div_zero 0
		.amdhsa_exception_fp_ieee_overflow 0
		.amdhsa_exception_fp_ieee_underflow 0
		.amdhsa_exception_fp_ieee_inexact 0
		.amdhsa_exception_int_div_zero 0
	.end_amdhsa_kernel
	.section	.text._ZN7rocprim17ROCPRIM_400000_NS6detail17trampoline_kernelINS0_14default_configENS1_25transform_config_selectorIdLb1EEEZNS1_14transform_implILb1ES3_S5_PKdPdNS0_8identityIdEEEE10hipError_tT2_T3_mT4_P12ihipStream_tbEUlT_E_NS1_11comp_targetILNS1_3genE3ELNS1_11target_archE908ELNS1_3gpuE7ELNS1_3repE0EEENS1_30default_config_static_selectorELNS0_4arch9wavefront6targetE0EEEvT1_,"axG",@progbits,_ZN7rocprim17ROCPRIM_400000_NS6detail17trampoline_kernelINS0_14default_configENS1_25transform_config_selectorIdLb1EEEZNS1_14transform_implILb1ES3_S5_PKdPdNS0_8identityIdEEEE10hipError_tT2_T3_mT4_P12ihipStream_tbEUlT_E_NS1_11comp_targetILNS1_3genE3ELNS1_11target_archE908ELNS1_3gpuE7ELNS1_3repE0EEENS1_30default_config_static_selectorELNS0_4arch9wavefront6targetE0EEEvT1_,comdat
.Lfunc_end1514:
	.size	_ZN7rocprim17ROCPRIM_400000_NS6detail17trampoline_kernelINS0_14default_configENS1_25transform_config_selectorIdLb1EEEZNS1_14transform_implILb1ES3_S5_PKdPdNS0_8identityIdEEEE10hipError_tT2_T3_mT4_P12ihipStream_tbEUlT_E_NS1_11comp_targetILNS1_3genE3ELNS1_11target_archE908ELNS1_3gpuE7ELNS1_3repE0EEENS1_30default_config_static_selectorELNS0_4arch9wavefront6targetE0EEEvT1_, .Lfunc_end1514-_ZN7rocprim17ROCPRIM_400000_NS6detail17trampoline_kernelINS0_14default_configENS1_25transform_config_selectorIdLb1EEEZNS1_14transform_implILb1ES3_S5_PKdPdNS0_8identityIdEEEE10hipError_tT2_T3_mT4_P12ihipStream_tbEUlT_E_NS1_11comp_targetILNS1_3genE3ELNS1_11target_archE908ELNS1_3gpuE7ELNS1_3repE0EEENS1_30default_config_static_selectorELNS0_4arch9wavefront6targetE0EEEvT1_
                                        ; -- End function
	.set _ZN7rocprim17ROCPRIM_400000_NS6detail17trampoline_kernelINS0_14default_configENS1_25transform_config_selectorIdLb1EEEZNS1_14transform_implILb1ES3_S5_PKdPdNS0_8identityIdEEEE10hipError_tT2_T3_mT4_P12ihipStream_tbEUlT_E_NS1_11comp_targetILNS1_3genE3ELNS1_11target_archE908ELNS1_3gpuE7ELNS1_3repE0EEENS1_30default_config_static_selectorELNS0_4arch9wavefront6targetE0EEEvT1_.num_vgpr, 0
	.set _ZN7rocprim17ROCPRIM_400000_NS6detail17trampoline_kernelINS0_14default_configENS1_25transform_config_selectorIdLb1EEEZNS1_14transform_implILb1ES3_S5_PKdPdNS0_8identityIdEEEE10hipError_tT2_T3_mT4_P12ihipStream_tbEUlT_E_NS1_11comp_targetILNS1_3genE3ELNS1_11target_archE908ELNS1_3gpuE7ELNS1_3repE0EEENS1_30default_config_static_selectorELNS0_4arch9wavefront6targetE0EEEvT1_.num_agpr, 0
	.set _ZN7rocprim17ROCPRIM_400000_NS6detail17trampoline_kernelINS0_14default_configENS1_25transform_config_selectorIdLb1EEEZNS1_14transform_implILb1ES3_S5_PKdPdNS0_8identityIdEEEE10hipError_tT2_T3_mT4_P12ihipStream_tbEUlT_E_NS1_11comp_targetILNS1_3genE3ELNS1_11target_archE908ELNS1_3gpuE7ELNS1_3repE0EEENS1_30default_config_static_selectorELNS0_4arch9wavefront6targetE0EEEvT1_.numbered_sgpr, 0
	.set _ZN7rocprim17ROCPRIM_400000_NS6detail17trampoline_kernelINS0_14default_configENS1_25transform_config_selectorIdLb1EEEZNS1_14transform_implILb1ES3_S5_PKdPdNS0_8identityIdEEEE10hipError_tT2_T3_mT4_P12ihipStream_tbEUlT_E_NS1_11comp_targetILNS1_3genE3ELNS1_11target_archE908ELNS1_3gpuE7ELNS1_3repE0EEENS1_30default_config_static_selectorELNS0_4arch9wavefront6targetE0EEEvT1_.num_named_barrier, 0
	.set _ZN7rocprim17ROCPRIM_400000_NS6detail17trampoline_kernelINS0_14default_configENS1_25transform_config_selectorIdLb1EEEZNS1_14transform_implILb1ES3_S5_PKdPdNS0_8identityIdEEEE10hipError_tT2_T3_mT4_P12ihipStream_tbEUlT_E_NS1_11comp_targetILNS1_3genE3ELNS1_11target_archE908ELNS1_3gpuE7ELNS1_3repE0EEENS1_30default_config_static_selectorELNS0_4arch9wavefront6targetE0EEEvT1_.private_seg_size, 0
	.set _ZN7rocprim17ROCPRIM_400000_NS6detail17trampoline_kernelINS0_14default_configENS1_25transform_config_selectorIdLb1EEEZNS1_14transform_implILb1ES3_S5_PKdPdNS0_8identityIdEEEE10hipError_tT2_T3_mT4_P12ihipStream_tbEUlT_E_NS1_11comp_targetILNS1_3genE3ELNS1_11target_archE908ELNS1_3gpuE7ELNS1_3repE0EEENS1_30default_config_static_selectorELNS0_4arch9wavefront6targetE0EEEvT1_.uses_vcc, 0
	.set _ZN7rocprim17ROCPRIM_400000_NS6detail17trampoline_kernelINS0_14default_configENS1_25transform_config_selectorIdLb1EEEZNS1_14transform_implILb1ES3_S5_PKdPdNS0_8identityIdEEEE10hipError_tT2_T3_mT4_P12ihipStream_tbEUlT_E_NS1_11comp_targetILNS1_3genE3ELNS1_11target_archE908ELNS1_3gpuE7ELNS1_3repE0EEENS1_30default_config_static_selectorELNS0_4arch9wavefront6targetE0EEEvT1_.uses_flat_scratch, 0
	.set _ZN7rocprim17ROCPRIM_400000_NS6detail17trampoline_kernelINS0_14default_configENS1_25transform_config_selectorIdLb1EEEZNS1_14transform_implILb1ES3_S5_PKdPdNS0_8identityIdEEEE10hipError_tT2_T3_mT4_P12ihipStream_tbEUlT_E_NS1_11comp_targetILNS1_3genE3ELNS1_11target_archE908ELNS1_3gpuE7ELNS1_3repE0EEENS1_30default_config_static_selectorELNS0_4arch9wavefront6targetE0EEEvT1_.has_dyn_sized_stack, 0
	.set _ZN7rocprim17ROCPRIM_400000_NS6detail17trampoline_kernelINS0_14default_configENS1_25transform_config_selectorIdLb1EEEZNS1_14transform_implILb1ES3_S5_PKdPdNS0_8identityIdEEEE10hipError_tT2_T3_mT4_P12ihipStream_tbEUlT_E_NS1_11comp_targetILNS1_3genE3ELNS1_11target_archE908ELNS1_3gpuE7ELNS1_3repE0EEENS1_30default_config_static_selectorELNS0_4arch9wavefront6targetE0EEEvT1_.has_recursion, 0
	.set _ZN7rocprim17ROCPRIM_400000_NS6detail17trampoline_kernelINS0_14default_configENS1_25transform_config_selectorIdLb1EEEZNS1_14transform_implILb1ES3_S5_PKdPdNS0_8identityIdEEEE10hipError_tT2_T3_mT4_P12ihipStream_tbEUlT_E_NS1_11comp_targetILNS1_3genE3ELNS1_11target_archE908ELNS1_3gpuE7ELNS1_3repE0EEENS1_30default_config_static_selectorELNS0_4arch9wavefront6targetE0EEEvT1_.has_indirect_call, 0
	.section	.AMDGPU.csdata,"",@progbits
; Kernel info:
; codeLenInByte = 0
; TotalNumSgprs: 0
; NumVgprs: 0
; ScratchSize: 0
; MemoryBound: 0
; FloatMode: 240
; IeeeMode: 1
; LDSByteSize: 0 bytes/workgroup (compile time only)
; SGPRBlocks: 0
; VGPRBlocks: 0
; NumSGPRsForWavesPerEU: 1
; NumVGPRsForWavesPerEU: 1
; NamedBarCnt: 0
; Occupancy: 16
; WaveLimiterHint : 0
; COMPUTE_PGM_RSRC2:SCRATCH_EN: 0
; COMPUTE_PGM_RSRC2:USER_SGPR: 2
; COMPUTE_PGM_RSRC2:TRAP_HANDLER: 0
; COMPUTE_PGM_RSRC2:TGID_X_EN: 1
; COMPUTE_PGM_RSRC2:TGID_Y_EN: 0
; COMPUTE_PGM_RSRC2:TGID_Z_EN: 0
; COMPUTE_PGM_RSRC2:TIDIG_COMP_CNT: 0
	.section	.text._ZN7rocprim17ROCPRIM_400000_NS6detail17trampoline_kernelINS0_14default_configENS1_25transform_config_selectorIdLb1EEEZNS1_14transform_implILb1ES3_S5_PKdPdNS0_8identityIdEEEE10hipError_tT2_T3_mT4_P12ihipStream_tbEUlT_E_NS1_11comp_targetILNS1_3genE2ELNS1_11target_archE906ELNS1_3gpuE6ELNS1_3repE0EEENS1_30default_config_static_selectorELNS0_4arch9wavefront6targetE0EEEvT1_,"axG",@progbits,_ZN7rocprim17ROCPRIM_400000_NS6detail17trampoline_kernelINS0_14default_configENS1_25transform_config_selectorIdLb1EEEZNS1_14transform_implILb1ES3_S5_PKdPdNS0_8identityIdEEEE10hipError_tT2_T3_mT4_P12ihipStream_tbEUlT_E_NS1_11comp_targetILNS1_3genE2ELNS1_11target_archE906ELNS1_3gpuE6ELNS1_3repE0EEENS1_30default_config_static_selectorELNS0_4arch9wavefront6targetE0EEEvT1_,comdat
	.protected	_ZN7rocprim17ROCPRIM_400000_NS6detail17trampoline_kernelINS0_14default_configENS1_25transform_config_selectorIdLb1EEEZNS1_14transform_implILb1ES3_S5_PKdPdNS0_8identityIdEEEE10hipError_tT2_T3_mT4_P12ihipStream_tbEUlT_E_NS1_11comp_targetILNS1_3genE2ELNS1_11target_archE906ELNS1_3gpuE6ELNS1_3repE0EEENS1_30default_config_static_selectorELNS0_4arch9wavefront6targetE0EEEvT1_ ; -- Begin function _ZN7rocprim17ROCPRIM_400000_NS6detail17trampoline_kernelINS0_14default_configENS1_25transform_config_selectorIdLb1EEEZNS1_14transform_implILb1ES3_S5_PKdPdNS0_8identityIdEEEE10hipError_tT2_T3_mT4_P12ihipStream_tbEUlT_E_NS1_11comp_targetILNS1_3genE2ELNS1_11target_archE906ELNS1_3gpuE6ELNS1_3repE0EEENS1_30default_config_static_selectorELNS0_4arch9wavefront6targetE0EEEvT1_
	.globl	_ZN7rocprim17ROCPRIM_400000_NS6detail17trampoline_kernelINS0_14default_configENS1_25transform_config_selectorIdLb1EEEZNS1_14transform_implILb1ES3_S5_PKdPdNS0_8identityIdEEEE10hipError_tT2_T3_mT4_P12ihipStream_tbEUlT_E_NS1_11comp_targetILNS1_3genE2ELNS1_11target_archE906ELNS1_3gpuE6ELNS1_3repE0EEENS1_30default_config_static_selectorELNS0_4arch9wavefront6targetE0EEEvT1_
	.p2align	8
	.type	_ZN7rocprim17ROCPRIM_400000_NS6detail17trampoline_kernelINS0_14default_configENS1_25transform_config_selectorIdLb1EEEZNS1_14transform_implILb1ES3_S5_PKdPdNS0_8identityIdEEEE10hipError_tT2_T3_mT4_P12ihipStream_tbEUlT_E_NS1_11comp_targetILNS1_3genE2ELNS1_11target_archE906ELNS1_3gpuE6ELNS1_3repE0EEENS1_30default_config_static_selectorELNS0_4arch9wavefront6targetE0EEEvT1_,@function
_ZN7rocprim17ROCPRIM_400000_NS6detail17trampoline_kernelINS0_14default_configENS1_25transform_config_selectorIdLb1EEEZNS1_14transform_implILb1ES3_S5_PKdPdNS0_8identityIdEEEE10hipError_tT2_T3_mT4_P12ihipStream_tbEUlT_E_NS1_11comp_targetILNS1_3genE2ELNS1_11target_archE906ELNS1_3gpuE6ELNS1_3repE0EEENS1_30default_config_static_selectorELNS0_4arch9wavefront6targetE0EEEvT1_: ; @_ZN7rocprim17ROCPRIM_400000_NS6detail17trampoline_kernelINS0_14default_configENS1_25transform_config_selectorIdLb1EEEZNS1_14transform_implILb1ES3_S5_PKdPdNS0_8identityIdEEEE10hipError_tT2_T3_mT4_P12ihipStream_tbEUlT_E_NS1_11comp_targetILNS1_3genE2ELNS1_11target_archE906ELNS1_3gpuE6ELNS1_3repE0EEENS1_30default_config_static_selectorELNS0_4arch9wavefront6targetE0EEEvT1_
; %bb.0:
	.section	.rodata,"a",@progbits
	.p2align	6, 0x0
	.amdhsa_kernel _ZN7rocprim17ROCPRIM_400000_NS6detail17trampoline_kernelINS0_14default_configENS1_25transform_config_selectorIdLb1EEEZNS1_14transform_implILb1ES3_S5_PKdPdNS0_8identityIdEEEE10hipError_tT2_T3_mT4_P12ihipStream_tbEUlT_E_NS1_11comp_targetILNS1_3genE2ELNS1_11target_archE906ELNS1_3gpuE6ELNS1_3repE0EEENS1_30default_config_static_selectorELNS0_4arch9wavefront6targetE0EEEvT1_
		.amdhsa_group_segment_fixed_size 0
		.amdhsa_private_segment_fixed_size 0
		.amdhsa_kernarg_size 40
		.amdhsa_user_sgpr_count 2
		.amdhsa_user_sgpr_dispatch_ptr 0
		.amdhsa_user_sgpr_queue_ptr 0
		.amdhsa_user_sgpr_kernarg_segment_ptr 1
		.amdhsa_user_sgpr_dispatch_id 0
		.amdhsa_user_sgpr_kernarg_preload_length 0
		.amdhsa_user_sgpr_kernarg_preload_offset 0
		.amdhsa_user_sgpr_private_segment_size 0
		.amdhsa_wavefront_size32 1
		.amdhsa_uses_dynamic_stack 0
		.amdhsa_enable_private_segment 0
		.amdhsa_system_sgpr_workgroup_id_x 1
		.amdhsa_system_sgpr_workgroup_id_y 0
		.amdhsa_system_sgpr_workgroup_id_z 0
		.amdhsa_system_sgpr_workgroup_info 0
		.amdhsa_system_vgpr_workitem_id 0
		.amdhsa_next_free_vgpr 1
		.amdhsa_next_free_sgpr 1
		.amdhsa_named_barrier_count 0
		.amdhsa_reserve_vcc 0
		.amdhsa_float_round_mode_32 0
		.amdhsa_float_round_mode_16_64 0
		.amdhsa_float_denorm_mode_32 3
		.amdhsa_float_denorm_mode_16_64 3
		.amdhsa_fp16_overflow 0
		.amdhsa_memory_ordered 1
		.amdhsa_forward_progress 1
		.amdhsa_inst_pref_size 0
		.amdhsa_round_robin_scheduling 0
		.amdhsa_exception_fp_ieee_invalid_op 0
		.amdhsa_exception_fp_denorm_src 0
		.amdhsa_exception_fp_ieee_div_zero 0
		.amdhsa_exception_fp_ieee_overflow 0
		.amdhsa_exception_fp_ieee_underflow 0
		.amdhsa_exception_fp_ieee_inexact 0
		.amdhsa_exception_int_div_zero 0
	.end_amdhsa_kernel
	.section	.text._ZN7rocprim17ROCPRIM_400000_NS6detail17trampoline_kernelINS0_14default_configENS1_25transform_config_selectorIdLb1EEEZNS1_14transform_implILb1ES3_S5_PKdPdNS0_8identityIdEEEE10hipError_tT2_T3_mT4_P12ihipStream_tbEUlT_E_NS1_11comp_targetILNS1_3genE2ELNS1_11target_archE906ELNS1_3gpuE6ELNS1_3repE0EEENS1_30default_config_static_selectorELNS0_4arch9wavefront6targetE0EEEvT1_,"axG",@progbits,_ZN7rocprim17ROCPRIM_400000_NS6detail17trampoline_kernelINS0_14default_configENS1_25transform_config_selectorIdLb1EEEZNS1_14transform_implILb1ES3_S5_PKdPdNS0_8identityIdEEEE10hipError_tT2_T3_mT4_P12ihipStream_tbEUlT_E_NS1_11comp_targetILNS1_3genE2ELNS1_11target_archE906ELNS1_3gpuE6ELNS1_3repE0EEENS1_30default_config_static_selectorELNS0_4arch9wavefront6targetE0EEEvT1_,comdat
.Lfunc_end1515:
	.size	_ZN7rocprim17ROCPRIM_400000_NS6detail17trampoline_kernelINS0_14default_configENS1_25transform_config_selectorIdLb1EEEZNS1_14transform_implILb1ES3_S5_PKdPdNS0_8identityIdEEEE10hipError_tT2_T3_mT4_P12ihipStream_tbEUlT_E_NS1_11comp_targetILNS1_3genE2ELNS1_11target_archE906ELNS1_3gpuE6ELNS1_3repE0EEENS1_30default_config_static_selectorELNS0_4arch9wavefront6targetE0EEEvT1_, .Lfunc_end1515-_ZN7rocprim17ROCPRIM_400000_NS6detail17trampoline_kernelINS0_14default_configENS1_25transform_config_selectorIdLb1EEEZNS1_14transform_implILb1ES3_S5_PKdPdNS0_8identityIdEEEE10hipError_tT2_T3_mT4_P12ihipStream_tbEUlT_E_NS1_11comp_targetILNS1_3genE2ELNS1_11target_archE906ELNS1_3gpuE6ELNS1_3repE0EEENS1_30default_config_static_selectorELNS0_4arch9wavefront6targetE0EEEvT1_
                                        ; -- End function
	.set _ZN7rocprim17ROCPRIM_400000_NS6detail17trampoline_kernelINS0_14default_configENS1_25transform_config_selectorIdLb1EEEZNS1_14transform_implILb1ES3_S5_PKdPdNS0_8identityIdEEEE10hipError_tT2_T3_mT4_P12ihipStream_tbEUlT_E_NS1_11comp_targetILNS1_3genE2ELNS1_11target_archE906ELNS1_3gpuE6ELNS1_3repE0EEENS1_30default_config_static_selectorELNS0_4arch9wavefront6targetE0EEEvT1_.num_vgpr, 0
	.set _ZN7rocprim17ROCPRIM_400000_NS6detail17trampoline_kernelINS0_14default_configENS1_25transform_config_selectorIdLb1EEEZNS1_14transform_implILb1ES3_S5_PKdPdNS0_8identityIdEEEE10hipError_tT2_T3_mT4_P12ihipStream_tbEUlT_E_NS1_11comp_targetILNS1_3genE2ELNS1_11target_archE906ELNS1_3gpuE6ELNS1_3repE0EEENS1_30default_config_static_selectorELNS0_4arch9wavefront6targetE0EEEvT1_.num_agpr, 0
	.set _ZN7rocprim17ROCPRIM_400000_NS6detail17trampoline_kernelINS0_14default_configENS1_25transform_config_selectorIdLb1EEEZNS1_14transform_implILb1ES3_S5_PKdPdNS0_8identityIdEEEE10hipError_tT2_T3_mT4_P12ihipStream_tbEUlT_E_NS1_11comp_targetILNS1_3genE2ELNS1_11target_archE906ELNS1_3gpuE6ELNS1_3repE0EEENS1_30default_config_static_selectorELNS0_4arch9wavefront6targetE0EEEvT1_.numbered_sgpr, 0
	.set _ZN7rocprim17ROCPRIM_400000_NS6detail17trampoline_kernelINS0_14default_configENS1_25transform_config_selectorIdLb1EEEZNS1_14transform_implILb1ES3_S5_PKdPdNS0_8identityIdEEEE10hipError_tT2_T3_mT4_P12ihipStream_tbEUlT_E_NS1_11comp_targetILNS1_3genE2ELNS1_11target_archE906ELNS1_3gpuE6ELNS1_3repE0EEENS1_30default_config_static_selectorELNS0_4arch9wavefront6targetE0EEEvT1_.num_named_barrier, 0
	.set _ZN7rocprim17ROCPRIM_400000_NS6detail17trampoline_kernelINS0_14default_configENS1_25transform_config_selectorIdLb1EEEZNS1_14transform_implILb1ES3_S5_PKdPdNS0_8identityIdEEEE10hipError_tT2_T3_mT4_P12ihipStream_tbEUlT_E_NS1_11comp_targetILNS1_3genE2ELNS1_11target_archE906ELNS1_3gpuE6ELNS1_3repE0EEENS1_30default_config_static_selectorELNS0_4arch9wavefront6targetE0EEEvT1_.private_seg_size, 0
	.set _ZN7rocprim17ROCPRIM_400000_NS6detail17trampoline_kernelINS0_14default_configENS1_25transform_config_selectorIdLb1EEEZNS1_14transform_implILb1ES3_S5_PKdPdNS0_8identityIdEEEE10hipError_tT2_T3_mT4_P12ihipStream_tbEUlT_E_NS1_11comp_targetILNS1_3genE2ELNS1_11target_archE906ELNS1_3gpuE6ELNS1_3repE0EEENS1_30default_config_static_selectorELNS0_4arch9wavefront6targetE0EEEvT1_.uses_vcc, 0
	.set _ZN7rocprim17ROCPRIM_400000_NS6detail17trampoline_kernelINS0_14default_configENS1_25transform_config_selectorIdLb1EEEZNS1_14transform_implILb1ES3_S5_PKdPdNS0_8identityIdEEEE10hipError_tT2_T3_mT4_P12ihipStream_tbEUlT_E_NS1_11comp_targetILNS1_3genE2ELNS1_11target_archE906ELNS1_3gpuE6ELNS1_3repE0EEENS1_30default_config_static_selectorELNS0_4arch9wavefront6targetE0EEEvT1_.uses_flat_scratch, 0
	.set _ZN7rocprim17ROCPRIM_400000_NS6detail17trampoline_kernelINS0_14default_configENS1_25transform_config_selectorIdLb1EEEZNS1_14transform_implILb1ES3_S5_PKdPdNS0_8identityIdEEEE10hipError_tT2_T3_mT4_P12ihipStream_tbEUlT_E_NS1_11comp_targetILNS1_3genE2ELNS1_11target_archE906ELNS1_3gpuE6ELNS1_3repE0EEENS1_30default_config_static_selectorELNS0_4arch9wavefront6targetE0EEEvT1_.has_dyn_sized_stack, 0
	.set _ZN7rocprim17ROCPRIM_400000_NS6detail17trampoline_kernelINS0_14default_configENS1_25transform_config_selectorIdLb1EEEZNS1_14transform_implILb1ES3_S5_PKdPdNS0_8identityIdEEEE10hipError_tT2_T3_mT4_P12ihipStream_tbEUlT_E_NS1_11comp_targetILNS1_3genE2ELNS1_11target_archE906ELNS1_3gpuE6ELNS1_3repE0EEENS1_30default_config_static_selectorELNS0_4arch9wavefront6targetE0EEEvT1_.has_recursion, 0
	.set _ZN7rocprim17ROCPRIM_400000_NS6detail17trampoline_kernelINS0_14default_configENS1_25transform_config_selectorIdLb1EEEZNS1_14transform_implILb1ES3_S5_PKdPdNS0_8identityIdEEEE10hipError_tT2_T3_mT4_P12ihipStream_tbEUlT_E_NS1_11comp_targetILNS1_3genE2ELNS1_11target_archE906ELNS1_3gpuE6ELNS1_3repE0EEENS1_30default_config_static_selectorELNS0_4arch9wavefront6targetE0EEEvT1_.has_indirect_call, 0
	.section	.AMDGPU.csdata,"",@progbits
; Kernel info:
; codeLenInByte = 0
; TotalNumSgprs: 0
; NumVgprs: 0
; ScratchSize: 0
; MemoryBound: 0
; FloatMode: 240
; IeeeMode: 1
; LDSByteSize: 0 bytes/workgroup (compile time only)
; SGPRBlocks: 0
; VGPRBlocks: 0
; NumSGPRsForWavesPerEU: 1
; NumVGPRsForWavesPerEU: 1
; NamedBarCnt: 0
; Occupancy: 16
; WaveLimiterHint : 0
; COMPUTE_PGM_RSRC2:SCRATCH_EN: 0
; COMPUTE_PGM_RSRC2:USER_SGPR: 2
; COMPUTE_PGM_RSRC2:TRAP_HANDLER: 0
; COMPUTE_PGM_RSRC2:TGID_X_EN: 1
; COMPUTE_PGM_RSRC2:TGID_Y_EN: 0
; COMPUTE_PGM_RSRC2:TGID_Z_EN: 0
; COMPUTE_PGM_RSRC2:TIDIG_COMP_CNT: 0
	.section	.text._ZN7rocprim17ROCPRIM_400000_NS6detail17trampoline_kernelINS0_14default_configENS1_25transform_config_selectorIdLb1EEEZNS1_14transform_implILb1ES3_S5_PKdPdNS0_8identityIdEEEE10hipError_tT2_T3_mT4_P12ihipStream_tbEUlT_E_NS1_11comp_targetILNS1_3genE9ELNS1_11target_archE1100ELNS1_3gpuE3ELNS1_3repE0EEENS1_30default_config_static_selectorELNS0_4arch9wavefront6targetE0EEEvT1_,"axG",@progbits,_ZN7rocprim17ROCPRIM_400000_NS6detail17trampoline_kernelINS0_14default_configENS1_25transform_config_selectorIdLb1EEEZNS1_14transform_implILb1ES3_S5_PKdPdNS0_8identityIdEEEE10hipError_tT2_T3_mT4_P12ihipStream_tbEUlT_E_NS1_11comp_targetILNS1_3genE9ELNS1_11target_archE1100ELNS1_3gpuE3ELNS1_3repE0EEENS1_30default_config_static_selectorELNS0_4arch9wavefront6targetE0EEEvT1_,comdat
	.protected	_ZN7rocprim17ROCPRIM_400000_NS6detail17trampoline_kernelINS0_14default_configENS1_25transform_config_selectorIdLb1EEEZNS1_14transform_implILb1ES3_S5_PKdPdNS0_8identityIdEEEE10hipError_tT2_T3_mT4_P12ihipStream_tbEUlT_E_NS1_11comp_targetILNS1_3genE9ELNS1_11target_archE1100ELNS1_3gpuE3ELNS1_3repE0EEENS1_30default_config_static_selectorELNS0_4arch9wavefront6targetE0EEEvT1_ ; -- Begin function _ZN7rocprim17ROCPRIM_400000_NS6detail17trampoline_kernelINS0_14default_configENS1_25transform_config_selectorIdLb1EEEZNS1_14transform_implILb1ES3_S5_PKdPdNS0_8identityIdEEEE10hipError_tT2_T3_mT4_P12ihipStream_tbEUlT_E_NS1_11comp_targetILNS1_3genE9ELNS1_11target_archE1100ELNS1_3gpuE3ELNS1_3repE0EEENS1_30default_config_static_selectorELNS0_4arch9wavefront6targetE0EEEvT1_
	.globl	_ZN7rocprim17ROCPRIM_400000_NS6detail17trampoline_kernelINS0_14default_configENS1_25transform_config_selectorIdLb1EEEZNS1_14transform_implILb1ES3_S5_PKdPdNS0_8identityIdEEEE10hipError_tT2_T3_mT4_P12ihipStream_tbEUlT_E_NS1_11comp_targetILNS1_3genE9ELNS1_11target_archE1100ELNS1_3gpuE3ELNS1_3repE0EEENS1_30default_config_static_selectorELNS0_4arch9wavefront6targetE0EEEvT1_
	.p2align	8
	.type	_ZN7rocprim17ROCPRIM_400000_NS6detail17trampoline_kernelINS0_14default_configENS1_25transform_config_selectorIdLb1EEEZNS1_14transform_implILb1ES3_S5_PKdPdNS0_8identityIdEEEE10hipError_tT2_T3_mT4_P12ihipStream_tbEUlT_E_NS1_11comp_targetILNS1_3genE9ELNS1_11target_archE1100ELNS1_3gpuE3ELNS1_3repE0EEENS1_30default_config_static_selectorELNS0_4arch9wavefront6targetE0EEEvT1_,@function
_ZN7rocprim17ROCPRIM_400000_NS6detail17trampoline_kernelINS0_14default_configENS1_25transform_config_selectorIdLb1EEEZNS1_14transform_implILb1ES3_S5_PKdPdNS0_8identityIdEEEE10hipError_tT2_T3_mT4_P12ihipStream_tbEUlT_E_NS1_11comp_targetILNS1_3genE9ELNS1_11target_archE1100ELNS1_3gpuE3ELNS1_3repE0EEENS1_30default_config_static_selectorELNS0_4arch9wavefront6targetE0EEEvT1_: ; @_ZN7rocprim17ROCPRIM_400000_NS6detail17trampoline_kernelINS0_14default_configENS1_25transform_config_selectorIdLb1EEEZNS1_14transform_implILb1ES3_S5_PKdPdNS0_8identityIdEEEE10hipError_tT2_T3_mT4_P12ihipStream_tbEUlT_E_NS1_11comp_targetILNS1_3genE9ELNS1_11target_archE1100ELNS1_3gpuE3ELNS1_3repE0EEENS1_30default_config_static_selectorELNS0_4arch9wavefront6targetE0EEEvT1_
; %bb.0:
	.section	.rodata,"a",@progbits
	.p2align	6, 0x0
	.amdhsa_kernel _ZN7rocprim17ROCPRIM_400000_NS6detail17trampoline_kernelINS0_14default_configENS1_25transform_config_selectorIdLb1EEEZNS1_14transform_implILb1ES3_S5_PKdPdNS0_8identityIdEEEE10hipError_tT2_T3_mT4_P12ihipStream_tbEUlT_E_NS1_11comp_targetILNS1_3genE9ELNS1_11target_archE1100ELNS1_3gpuE3ELNS1_3repE0EEENS1_30default_config_static_selectorELNS0_4arch9wavefront6targetE0EEEvT1_
		.amdhsa_group_segment_fixed_size 0
		.amdhsa_private_segment_fixed_size 0
		.amdhsa_kernarg_size 40
		.amdhsa_user_sgpr_count 2
		.amdhsa_user_sgpr_dispatch_ptr 0
		.amdhsa_user_sgpr_queue_ptr 0
		.amdhsa_user_sgpr_kernarg_segment_ptr 1
		.amdhsa_user_sgpr_dispatch_id 0
		.amdhsa_user_sgpr_kernarg_preload_length 0
		.amdhsa_user_sgpr_kernarg_preload_offset 0
		.amdhsa_user_sgpr_private_segment_size 0
		.amdhsa_wavefront_size32 1
		.amdhsa_uses_dynamic_stack 0
		.amdhsa_enable_private_segment 0
		.amdhsa_system_sgpr_workgroup_id_x 1
		.amdhsa_system_sgpr_workgroup_id_y 0
		.amdhsa_system_sgpr_workgroup_id_z 0
		.amdhsa_system_sgpr_workgroup_info 0
		.amdhsa_system_vgpr_workitem_id 0
		.amdhsa_next_free_vgpr 1
		.amdhsa_next_free_sgpr 1
		.amdhsa_named_barrier_count 0
		.amdhsa_reserve_vcc 0
		.amdhsa_float_round_mode_32 0
		.amdhsa_float_round_mode_16_64 0
		.amdhsa_float_denorm_mode_32 3
		.amdhsa_float_denorm_mode_16_64 3
		.amdhsa_fp16_overflow 0
		.amdhsa_memory_ordered 1
		.amdhsa_forward_progress 1
		.amdhsa_inst_pref_size 0
		.amdhsa_round_robin_scheduling 0
		.amdhsa_exception_fp_ieee_invalid_op 0
		.amdhsa_exception_fp_denorm_src 0
		.amdhsa_exception_fp_ieee_div_zero 0
		.amdhsa_exception_fp_ieee_overflow 0
		.amdhsa_exception_fp_ieee_underflow 0
		.amdhsa_exception_fp_ieee_inexact 0
		.amdhsa_exception_int_div_zero 0
	.end_amdhsa_kernel
	.section	.text._ZN7rocprim17ROCPRIM_400000_NS6detail17trampoline_kernelINS0_14default_configENS1_25transform_config_selectorIdLb1EEEZNS1_14transform_implILb1ES3_S5_PKdPdNS0_8identityIdEEEE10hipError_tT2_T3_mT4_P12ihipStream_tbEUlT_E_NS1_11comp_targetILNS1_3genE9ELNS1_11target_archE1100ELNS1_3gpuE3ELNS1_3repE0EEENS1_30default_config_static_selectorELNS0_4arch9wavefront6targetE0EEEvT1_,"axG",@progbits,_ZN7rocprim17ROCPRIM_400000_NS6detail17trampoline_kernelINS0_14default_configENS1_25transform_config_selectorIdLb1EEEZNS1_14transform_implILb1ES3_S5_PKdPdNS0_8identityIdEEEE10hipError_tT2_T3_mT4_P12ihipStream_tbEUlT_E_NS1_11comp_targetILNS1_3genE9ELNS1_11target_archE1100ELNS1_3gpuE3ELNS1_3repE0EEENS1_30default_config_static_selectorELNS0_4arch9wavefront6targetE0EEEvT1_,comdat
.Lfunc_end1516:
	.size	_ZN7rocprim17ROCPRIM_400000_NS6detail17trampoline_kernelINS0_14default_configENS1_25transform_config_selectorIdLb1EEEZNS1_14transform_implILb1ES3_S5_PKdPdNS0_8identityIdEEEE10hipError_tT2_T3_mT4_P12ihipStream_tbEUlT_E_NS1_11comp_targetILNS1_3genE9ELNS1_11target_archE1100ELNS1_3gpuE3ELNS1_3repE0EEENS1_30default_config_static_selectorELNS0_4arch9wavefront6targetE0EEEvT1_, .Lfunc_end1516-_ZN7rocprim17ROCPRIM_400000_NS6detail17trampoline_kernelINS0_14default_configENS1_25transform_config_selectorIdLb1EEEZNS1_14transform_implILb1ES3_S5_PKdPdNS0_8identityIdEEEE10hipError_tT2_T3_mT4_P12ihipStream_tbEUlT_E_NS1_11comp_targetILNS1_3genE9ELNS1_11target_archE1100ELNS1_3gpuE3ELNS1_3repE0EEENS1_30default_config_static_selectorELNS0_4arch9wavefront6targetE0EEEvT1_
                                        ; -- End function
	.set _ZN7rocprim17ROCPRIM_400000_NS6detail17trampoline_kernelINS0_14default_configENS1_25transform_config_selectorIdLb1EEEZNS1_14transform_implILb1ES3_S5_PKdPdNS0_8identityIdEEEE10hipError_tT2_T3_mT4_P12ihipStream_tbEUlT_E_NS1_11comp_targetILNS1_3genE9ELNS1_11target_archE1100ELNS1_3gpuE3ELNS1_3repE0EEENS1_30default_config_static_selectorELNS0_4arch9wavefront6targetE0EEEvT1_.num_vgpr, 0
	.set _ZN7rocprim17ROCPRIM_400000_NS6detail17trampoline_kernelINS0_14default_configENS1_25transform_config_selectorIdLb1EEEZNS1_14transform_implILb1ES3_S5_PKdPdNS0_8identityIdEEEE10hipError_tT2_T3_mT4_P12ihipStream_tbEUlT_E_NS1_11comp_targetILNS1_3genE9ELNS1_11target_archE1100ELNS1_3gpuE3ELNS1_3repE0EEENS1_30default_config_static_selectorELNS0_4arch9wavefront6targetE0EEEvT1_.num_agpr, 0
	.set _ZN7rocprim17ROCPRIM_400000_NS6detail17trampoline_kernelINS0_14default_configENS1_25transform_config_selectorIdLb1EEEZNS1_14transform_implILb1ES3_S5_PKdPdNS0_8identityIdEEEE10hipError_tT2_T3_mT4_P12ihipStream_tbEUlT_E_NS1_11comp_targetILNS1_3genE9ELNS1_11target_archE1100ELNS1_3gpuE3ELNS1_3repE0EEENS1_30default_config_static_selectorELNS0_4arch9wavefront6targetE0EEEvT1_.numbered_sgpr, 0
	.set _ZN7rocprim17ROCPRIM_400000_NS6detail17trampoline_kernelINS0_14default_configENS1_25transform_config_selectorIdLb1EEEZNS1_14transform_implILb1ES3_S5_PKdPdNS0_8identityIdEEEE10hipError_tT2_T3_mT4_P12ihipStream_tbEUlT_E_NS1_11comp_targetILNS1_3genE9ELNS1_11target_archE1100ELNS1_3gpuE3ELNS1_3repE0EEENS1_30default_config_static_selectorELNS0_4arch9wavefront6targetE0EEEvT1_.num_named_barrier, 0
	.set _ZN7rocprim17ROCPRIM_400000_NS6detail17trampoline_kernelINS0_14default_configENS1_25transform_config_selectorIdLb1EEEZNS1_14transform_implILb1ES3_S5_PKdPdNS0_8identityIdEEEE10hipError_tT2_T3_mT4_P12ihipStream_tbEUlT_E_NS1_11comp_targetILNS1_3genE9ELNS1_11target_archE1100ELNS1_3gpuE3ELNS1_3repE0EEENS1_30default_config_static_selectorELNS0_4arch9wavefront6targetE0EEEvT1_.private_seg_size, 0
	.set _ZN7rocprim17ROCPRIM_400000_NS6detail17trampoline_kernelINS0_14default_configENS1_25transform_config_selectorIdLb1EEEZNS1_14transform_implILb1ES3_S5_PKdPdNS0_8identityIdEEEE10hipError_tT2_T3_mT4_P12ihipStream_tbEUlT_E_NS1_11comp_targetILNS1_3genE9ELNS1_11target_archE1100ELNS1_3gpuE3ELNS1_3repE0EEENS1_30default_config_static_selectorELNS0_4arch9wavefront6targetE0EEEvT1_.uses_vcc, 0
	.set _ZN7rocprim17ROCPRIM_400000_NS6detail17trampoline_kernelINS0_14default_configENS1_25transform_config_selectorIdLb1EEEZNS1_14transform_implILb1ES3_S5_PKdPdNS0_8identityIdEEEE10hipError_tT2_T3_mT4_P12ihipStream_tbEUlT_E_NS1_11comp_targetILNS1_3genE9ELNS1_11target_archE1100ELNS1_3gpuE3ELNS1_3repE0EEENS1_30default_config_static_selectorELNS0_4arch9wavefront6targetE0EEEvT1_.uses_flat_scratch, 0
	.set _ZN7rocprim17ROCPRIM_400000_NS6detail17trampoline_kernelINS0_14default_configENS1_25transform_config_selectorIdLb1EEEZNS1_14transform_implILb1ES3_S5_PKdPdNS0_8identityIdEEEE10hipError_tT2_T3_mT4_P12ihipStream_tbEUlT_E_NS1_11comp_targetILNS1_3genE9ELNS1_11target_archE1100ELNS1_3gpuE3ELNS1_3repE0EEENS1_30default_config_static_selectorELNS0_4arch9wavefront6targetE0EEEvT1_.has_dyn_sized_stack, 0
	.set _ZN7rocprim17ROCPRIM_400000_NS6detail17trampoline_kernelINS0_14default_configENS1_25transform_config_selectorIdLb1EEEZNS1_14transform_implILb1ES3_S5_PKdPdNS0_8identityIdEEEE10hipError_tT2_T3_mT4_P12ihipStream_tbEUlT_E_NS1_11comp_targetILNS1_3genE9ELNS1_11target_archE1100ELNS1_3gpuE3ELNS1_3repE0EEENS1_30default_config_static_selectorELNS0_4arch9wavefront6targetE0EEEvT1_.has_recursion, 0
	.set _ZN7rocprim17ROCPRIM_400000_NS6detail17trampoline_kernelINS0_14default_configENS1_25transform_config_selectorIdLb1EEEZNS1_14transform_implILb1ES3_S5_PKdPdNS0_8identityIdEEEE10hipError_tT2_T3_mT4_P12ihipStream_tbEUlT_E_NS1_11comp_targetILNS1_3genE9ELNS1_11target_archE1100ELNS1_3gpuE3ELNS1_3repE0EEENS1_30default_config_static_selectorELNS0_4arch9wavefront6targetE0EEEvT1_.has_indirect_call, 0
	.section	.AMDGPU.csdata,"",@progbits
; Kernel info:
; codeLenInByte = 0
; TotalNumSgprs: 0
; NumVgprs: 0
; ScratchSize: 0
; MemoryBound: 0
; FloatMode: 240
; IeeeMode: 1
; LDSByteSize: 0 bytes/workgroup (compile time only)
; SGPRBlocks: 0
; VGPRBlocks: 0
; NumSGPRsForWavesPerEU: 1
; NumVGPRsForWavesPerEU: 1
; NamedBarCnt: 0
; Occupancy: 16
; WaveLimiterHint : 0
; COMPUTE_PGM_RSRC2:SCRATCH_EN: 0
; COMPUTE_PGM_RSRC2:USER_SGPR: 2
; COMPUTE_PGM_RSRC2:TRAP_HANDLER: 0
; COMPUTE_PGM_RSRC2:TGID_X_EN: 1
; COMPUTE_PGM_RSRC2:TGID_Y_EN: 0
; COMPUTE_PGM_RSRC2:TGID_Z_EN: 0
; COMPUTE_PGM_RSRC2:TIDIG_COMP_CNT: 0
	.section	.text._ZN7rocprim17ROCPRIM_400000_NS6detail17trampoline_kernelINS0_14default_configENS1_25transform_config_selectorIdLb1EEEZNS1_14transform_implILb1ES3_S5_PKdPdNS0_8identityIdEEEE10hipError_tT2_T3_mT4_P12ihipStream_tbEUlT_E_NS1_11comp_targetILNS1_3genE8ELNS1_11target_archE1030ELNS1_3gpuE2ELNS1_3repE0EEENS1_30default_config_static_selectorELNS0_4arch9wavefront6targetE0EEEvT1_,"axG",@progbits,_ZN7rocprim17ROCPRIM_400000_NS6detail17trampoline_kernelINS0_14default_configENS1_25transform_config_selectorIdLb1EEEZNS1_14transform_implILb1ES3_S5_PKdPdNS0_8identityIdEEEE10hipError_tT2_T3_mT4_P12ihipStream_tbEUlT_E_NS1_11comp_targetILNS1_3genE8ELNS1_11target_archE1030ELNS1_3gpuE2ELNS1_3repE0EEENS1_30default_config_static_selectorELNS0_4arch9wavefront6targetE0EEEvT1_,comdat
	.protected	_ZN7rocprim17ROCPRIM_400000_NS6detail17trampoline_kernelINS0_14default_configENS1_25transform_config_selectorIdLb1EEEZNS1_14transform_implILb1ES3_S5_PKdPdNS0_8identityIdEEEE10hipError_tT2_T3_mT4_P12ihipStream_tbEUlT_E_NS1_11comp_targetILNS1_3genE8ELNS1_11target_archE1030ELNS1_3gpuE2ELNS1_3repE0EEENS1_30default_config_static_selectorELNS0_4arch9wavefront6targetE0EEEvT1_ ; -- Begin function _ZN7rocprim17ROCPRIM_400000_NS6detail17trampoline_kernelINS0_14default_configENS1_25transform_config_selectorIdLb1EEEZNS1_14transform_implILb1ES3_S5_PKdPdNS0_8identityIdEEEE10hipError_tT2_T3_mT4_P12ihipStream_tbEUlT_E_NS1_11comp_targetILNS1_3genE8ELNS1_11target_archE1030ELNS1_3gpuE2ELNS1_3repE0EEENS1_30default_config_static_selectorELNS0_4arch9wavefront6targetE0EEEvT1_
	.globl	_ZN7rocprim17ROCPRIM_400000_NS6detail17trampoline_kernelINS0_14default_configENS1_25transform_config_selectorIdLb1EEEZNS1_14transform_implILb1ES3_S5_PKdPdNS0_8identityIdEEEE10hipError_tT2_T3_mT4_P12ihipStream_tbEUlT_E_NS1_11comp_targetILNS1_3genE8ELNS1_11target_archE1030ELNS1_3gpuE2ELNS1_3repE0EEENS1_30default_config_static_selectorELNS0_4arch9wavefront6targetE0EEEvT1_
	.p2align	8
	.type	_ZN7rocprim17ROCPRIM_400000_NS6detail17trampoline_kernelINS0_14default_configENS1_25transform_config_selectorIdLb1EEEZNS1_14transform_implILb1ES3_S5_PKdPdNS0_8identityIdEEEE10hipError_tT2_T3_mT4_P12ihipStream_tbEUlT_E_NS1_11comp_targetILNS1_3genE8ELNS1_11target_archE1030ELNS1_3gpuE2ELNS1_3repE0EEENS1_30default_config_static_selectorELNS0_4arch9wavefront6targetE0EEEvT1_,@function
_ZN7rocprim17ROCPRIM_400000_NS6detail17trampoline_kernelINS0_14default_configENS1_25transform_config_selectorIdLb1EEEZNS1_14transform_implILb1ES3_S5_PKdPdNS0_8identityIdEEEE10hipError_tT2_T3_mT4_P12ihipStream_tbEUlT_E_NS1_11comp_targetILNS1_3genE8ELNS1_11target_archE1030ELNS1_3gpuE2ELNS1_3repE0EEENS1_30default_config_static_selectorELNS0_4arch9wavefront6targetE0EEEvT1_: ; @_ZN7rocprim17ROCPRIM_400000_NS6detail17trampoline_kernelINS0_14default_configENS1_25transform_config_selectorIdLb1EEEZNS1_14transform_implILb1ES3_S5_PKdPdNS0_8identityIdEEEE10hipError_tT2_T3_mT4_P12ihipStream_tbEUlT_E_NS1_11comp_targetILNS1_3genE8ELNS1_11target_archE1030ELNS1_3gpuE2ELNS1_3repE0EEENS1_30default_config_static_selectorELNS0_4arch9wavefront6targetE0EEEvT1_
; %bb.0:
	.section	.rodata,"a",@progbits
	.p2align	6, 0x0
	.amdhsa_kernel _ZN7rocprim17ROCPRIM_400000_NS6detail17trampoline_kernelINS0_14default_configENS1_25transform_config_selectorIdLb1EEEZNS1_14transform_implILb1ES3_S5_PKdPdNS0_8identityIdEEEE10hipError_tT2_T3_mT4_P12ihipStream_tbEUlT_E_NS1_11comp_targetILNS1_3genE8ELNS1_11target_archE1030ELNS1_3gpuE2ELNS1_3repE0EEENS1_30default_config_static_selectorELNS0_4arch9wavefront6targetE0EEEvT1_
		.amdhsa_group_segment_fixed_size 0
		.amdhsa_private_segment_fixed_size 0
		.amdhsa_kernarg_size 40
		.amdhsa_user_sgpr_count 2
		.amdhsa_user_sgpr_dispatch_ptr 0
		.amdhsa_user_sgpr_queue_ptr 0
		.amdhsa_user_sgpr_kernarg_segment_ptr 1
		.amdhsa_user_sgpr_dispatch_id 0
		.amdhsa_user_sgpr_kernarg_preload_length 0
		.amdhsa_user_sgpr_kernarg_preload_offset 0
		.amdhsa_user_sgpr_private_segment_size 0
		.amdhsa_wavefront_size32 1
		.amdhsa_uses_dynamic_stack 0
		.amdhsa_enable_private_segment 0
		.amdhsa_system_sgpr_workgroup_id_x 1
		.amdhsa_system_sgpr_workgroup_id_y 0
		.amdhsa_system_sgpr_workgroup_id_z 0
		.amdhsa_system_sgpr_workgroup_info 0
		.amdhsa_system_vgpr_workitem_id 0
		.amdhsa_next_free_vgpr 1
		.amdhsa_next_free_sgpr 1
		.amdhsa_named_barrier_count 0
		.amdhsa_reserve_vcc 0
		.amdhsa_float_round_mode_32 0
		.amdhsa_float_round_mode_16_64 0
		.amdhsa_float_denorm_mode_32 3
		.amdhsa_float_denorm_mode_16_64 3
		.amdhsa_fp16_overflow 0
		.amdhsa_memory_ordered 1
		.amdhsa_forward_progress 1
		.amdhsa_inst_pref_size 0
		.amdhsa_round_robin_scheduling 0
		.amdhsa_exception_fp_ieee_invalid_op 0
		.amdhsa_exception_fp_denorm_src 0
		.amdhsa_exception_fp_ieee_div_zero 0
		.amdhsa_exception_fp_ieee_overflow 0
		.amdhsa_exception_fp_ieee_underflow 0
		.amdhsa_exception_fp_ieee_inexact 0
		.amdhsa_exception_int_div_zero 0
	.end_amdhsa_kernel
	.section	.text._ZN7rocprim17ROCPRIM_400000_NS6detail17trampoline_kernelINS0_14default_configENS1_25transform_config_selectorIdLb1EEEZNS1_14transform_implILb1ES3_S5_PKdPdNS0_8identityIdEEEE10hipError_tT2_T3_mT4_P12ihipStream_tbEUlT_E_NS1_11comp_targetILNS1_3genE8ELNS1_11target_archE1030ELNS1_3gpuE2ELNS1_3repE0EEENS1_30default_config_static_selectorELNS0_4arch9wavefront6targetE0EEEvT1_,"axG",@progbits,_ZN7rocprim17ROCPRIM_400000_NS6detail17trampoline_kernelINS0_14default_configENS1_25transform_config_selectorIdLb1EEEZNS1_14transform_implILb1ES3_S5_PKdPdNS0_8identityIdEEEE10hipError_tT2_T3_mT4_P12ihipStream_tbEUlT_E_NS1_11comp_targetILNS1_3genE8ELNS1_11target_archE1030ELNS1_3gpuE2ELNS1_3repE0EEENS1_30default_config_static_selectorELNS0_4arch9wavefront6targetE0EEEvT1_,comdat
.Lfunc_end1517:
	.size	_ZN7rocprim17ROCPRIM_400000_NS6detail17trampoline_kernelINS0_14default_configENS1_25transform_config_selectorIdLb1EEEZNS1_14transform_implILb1ES3_S5_PKdPdNS0_8identityIdEEEE10hipError_tT2_T3_mT4_P12ihipStream_tbEUlT_E_NS1_11comp_targetILNS1_3genE8ELNS1_11target_archE1030ELNS1_3gpuE2ELNS1_3repE0EEENS1_30default_config_static_selectorELNS0_4arch9wavefront6targetE0EEEvT1_, .Lfunc_end1517-_ZN7rocprim17ROCPRIM_400000_NS6detail17trampoline_kernelINS0_14default_configENS1_25transform_config_selectorIdLb1EEEZNS1_14transform_implILb1ES3_S5_PKdPdNS0_8identityIdEEEE10hipError_tT2_T3_mT4_P12ihipStream_tbEUlT_E_NS1_11comp_targetILNS1_3genE8ELNS1_11target_archE1030ELNS1_3gpuE2ELNS1_3repE0EEENS1_30default_config_static_selectorELNS0_4arch9wavefront6targetE0EEEvT1_
                                        ; -- End function
	.set _ZN7rocprim17ROCPRIM_400000_NS6detail17trampoline_kernelINS0_14default_configENS1_25transform_config_selectorIdLb1EEEZNS1_14transform_implILb1ES3_S5_PKdPdNS0_8identityIdEEEE10hipError_tT2_T3_mT4_P12ihipStream_tbEUlT_E_NS1_11comp_targetILNS1_3genE8ELNS1_11target_archE1030ELNS1_3gpuE2ELNS1_3repE0EEENS1_30default_config_static_selectorELNS0_4arch9wavefront6targetE0EEEvT1_.num_vgpr, 0
	.set _ZN7rocprim17ROCPRIM_400000_NS6detail17trampoline_kernelINS0_14default_configENS1_25transform_config_selectorIdLb1EEEZNS1_14transform_implILb1ES3_S5_PKdPdNS0_8identityIdEEEE10hipError_tT2_T3_mT4_P12ihipStream_tbEUlT_E_NS1_11comp_targetILNS1_3genE8ELNS1_11target_archE1030ELNS1_3gpuE2ELNS1_3repE0EEENS1_30default_config_static_selectorELNS0_4arch9wavefront6targetE0EEEvT1_.num_agpr, 0
	.set _ZN7rocprim17ROCPRIM_400000_NS6detail17trampoline_kernelINS0_14default_configENS1_25transform_config_selectorIdLb1EEEZNS1_14transform_implILb1ES3_S5_PKdPdNS0_8identityIdEEEE10hipError_tT2_T3_mT4_P12ihipStream_tbEUlT_E_NS1_11comp_targetILNS1_3genE8ELNS1_11target_archE1030ELNS1_3gpuE2ELNS1_3repE0EEENS1_30default_config_static_selectorELNS0_4arch9wavefront6targetE0EEEvT1_.numbered_sgpr, 0
	.set _ZN7rocprim17ROCPRIM_400000_NS6detail17trampoline_kernelINS0_14default_configENS1_25transform_config_selectorIdLb1EEEZNS1_14transform_implILb1ES3_S5_PKdPdNS0_8identityIdEEEE10hipError_tT2_T3_mT4_P12ihipStream_tbEUlT_E_NS1_11comp_targetILNS1_3genE8ELNS1_11target_archE1030ELNS1_3gpuE2ELNS1_3repE0EEENS1_30default_config_static_selectorELNS0_4arch9wavefront6targetE0EEEvT1_.num_named_barrier, 0
	.set _ZN7rocprim17ROCPRIM_400000_NS6detail17trampoline_kernelINS0_14default_configENS1_25transform_config_selectorIdLb1EEEZNS1_14transform_implILb1ES3_S5_PKdPdNS0_8identityIdEEEE10hipError_tT2_T3_mT4_P12ihipStream_tbEUlT_E_NS1_11comp_targetILNS1_3genE8ELNS1_11target_archE1030ELNS1_3gpuE2ELNS1_3repE0EEENS1_30default_config_static_selectorELNS0_4arch9wavefront6targetE0EEEvT1_.private_seg_size, 0
	.set _ZN7rocprim17ROCPRIM_400000_NS6detail17trampoline_kernelINS0_14default_configENS1_25transform_config_selectorIdLb1EEEZNS1_14transform_implILb1ES3_S5_PKdPdNS0_8identityIdEEEE10hipError_tT2_T3_mT4_P12ihipStream_tbEUlT_E_NS1_11comp_targetILNS1_3genE8ELNS1_11target_archE1030ELNS1_3gpuE2ELNS1_3repE0EEENS1_30default_config_static_selectorELNS0_4arch9wavefront6targetE0EEEvT1_.uses_vcc, 0
	.set _ZN7rocprim17ROCPRIM_400000_NS6detail17trampoline_kernelINS0_14default_configENS1_25transform_config_selectorIdLb1EEEZNS1_14transform_implILb1ES3_S5_PKdPdNS0_8identityIdEEEE10hipError_tT2_T3_mT4_P12ihipStream_tbEUlT_E_NS1_11comp_targetILNS1_3genE8ELNS1_11target_archE1030ELNS1_3gpuE2ELNS1_3repE0EEENS1_30default_config_static_selectorELNS0_4arch9wavefront6targetE0EEEvT1_.uses_flat_scratch, 0
	.set _ZN7rocprim17ROCPRIM_400000_NS6detail17trampoline_kernelINS0_14default_configENS1_25transform_config_selectorIdLb1EEEZNS1_14transform_implILb1ES3_S5_PKdPdNS0_8identityIdEEEE10hipError_tT2_T3_mT4_P12ihipStream_tbEUlT_E_NS1_11comp_targetILNS1_3genE8ELNS1_11target_archE1030ELNS1_3gpuE2ELNS1_3repE0EEENS1_30default_config_static_selectorELNS0_4arch9wavefront6targetE0EEEvT1_.has_dyn_sized_stack, 0
	.set _ZN7rocprim17ROCPRIM_400000_NS6detail17trampoline_kernelINS0_14default_configENS1_25transform_config_selectorIdLb1EEEZNS1_14transform_implILb1ES3_S5_PKdPdNS0_8identityIdEEEE10hipError_tT2_T3_mT4_P12ihipStream_tbEUlT_E_NS1_11comp_targetILNS1_3genE8ELNS1_11target_archE1030ELNS1_3gpuE2ELNS1_3repE0EEENS1_30default_config_static_selectorELNS0_4arch9wavefront6targetE0EEEvT1_.has_recursion, 0
	.set _ZN7rocprim17ROCPRIM_400000_NS6detail17trampoline_kernelINS0_14default_configENS1_25transform_config_selectorIdLb1EEEZNS1_14transform_implILb1ES3_S5_PKdPdNS0_8identityIdEEEE10hipError_tT2_T3_mT4_P12ihipStream_tbEUlT_E_NS1_11comp_targetILNS1_3genE8ELNS1_11target_archE1030ELNS1_3gpuE2ELNS1_3repE0EEENS1_30default_config_static_selectorELNS0_4arch9wavefront6targetE0EEEvT1_.has_indirect_call, 0
	.section	.AMDGPU.csdata,"",@progbits
; Kernel info:
; codeLenInByte = 0
; TotalNumSgprs: 0
; NumVgprs: 0
; ScratchSize: 0
; MemoryBound: 0
; FloatMode: 240
; IeeeMode: 1
; LDSByteSize: 0 bytes/workgroup (compile time only)
; SGPRBlocks: 0
; VGPRBlocks: 0
; NumSGPRsForWavesPerEU: 1
; NumVGPRsForWavesPerEU: 1
; NamedBarCnt: 0
; Occupancy: 16
; WaveLimiterHint : 0
; COMPUTE_PGM_RSRC2:SCRATCH_EN: 0
; COMPUTE_PGM_RSRC2:USER_SGPR: 2
; COMPUTE_PGM_RSRC2:TRAP_HANDLER: 0
; COMPUTE_PGM_RSRC2:TGID_X_EN: 1
; COMPUTE_PGM_RSRC2:TGID_Y_EN: 0
; COMPUTE_PGM_RSRC2:TGID_Z_EN: 0
; COMPUTE_PGM_RSRC2:TIDIG_COMP_CNT: 0
	.section	.text._ZN7rocprim17ROCPRIM_400000_NS6detail17trampoline_kernelINS0_14default_configENS1_35radix_sort_onesweep_config_selectorIdNS0_10empty_typeEEEZZNS1_29radix_sort_onesweep_iterationIS3_Lb1EPKdPdPS5_SB_mNS0_19identity_decomposerENS1_16block_id_wrapperIjLb1EEEEE10hipError_tT1_PNSt15iterator_traitsISG_E10value_typeET2_T3_PNSH_ISM_E10value_typeET4_T5_PSR_SS_PNS1_23onesweep_lookback_stateEbbT6_jjT7_P12ihipStream_tbENKUlT_T0_SG_SL_E_clIS9_SA_SB_SB_EEDaSZ_S10_SG_SL_EUlSZ_E_NS1_11comp_targetILNS1_3genE0ELNS1_11target_archE4294967295ELNS1_3gpuE0ELNS1_3repE0EEENS1_47radix_sort_onesweep_sort_config_static_selectorELNS0_4arch9wavefront6targetE0EEEvSG_,"axG",@progbits,_ZN7rocprim17ROCPRIM_400000_NS6detail17trampoline_kernelINS0_14default_configENS1_35radix_sort_onesweep_config_selectorIdNS0_10empty_typeEEEZZNS1_29radix_sort_onesweep_iterationIS3_Lb1EPKdPdPS5_SB_mNS0_19identity_decomposerENS1_16block_id_wrapperIjLb1EEEEE10hipError_tT1_PNSt15iterator_traitsISG_E10value_typeET2_T3_PNSH_ISM_E10value_typeET4_T5_PSR_SS_PNS1_23onesweep_lookback_stateEbbT6_jjT7_P12ihipStream_tbENKUlT_T0_SG_SL_E_clIS9_SA_SB_SB_EEDaSZ_S10_SG_SL_EUlSZ_E_NS1_11comp_targetILNS1_3genE0ELNS1_11target_archE4294967295ELNS1_3gpuE0ELNS1_3repE0EEENS1_47radix_sort_onesweep_sort_config_static_selectorELNS0_4arch9wavefront6targetE0EEEvSG_,comdat
	.protected	_ZN7rocprim17ROCPRIM_400000_NS6detail17trampoline_kernelINS0_14default_configENS1_35radix_sort_onesweep_config_selectorIdNS0_10empty_typeEEEZZNS1_29radix_sort_onesweep_iterationIS3_Lb1EPKdPdPS5_SB_mNS0_19identity_decomposerENS1_16block_id_wrapperIjLb1EEEEE10hipError_tT1_PNSt15iterator_traitsISG_E10value_typeET2_T3_PNSH_ISM_E10value_typeET4_T5_PSR_SS_PNS1_23onesweep_lookback_stateEbbT6_jjT7_P12ihipStream_tbENKUlT_T0_SG_SL_E_clIS9_SA_SB_SB_EEDaSZ_S10_SG_SL_EUlSZ_E_NS1_11comp_targetILNS1_3genE0ELNS1_11target_archE4294967295ELNS1_3gpuE0ELNS1_3repE0EEENS1_47radix_sort_onesweep_sort_config_static_selectorELNS0_4arch9wavefront6targetE0EEEvSG_ ; -- Begin function _ZN7rocprim17ROCPRIM_400000_NS6detail17trampoline_kernelINS0_14default_configENS1_35radix_sort_onesweep_config_selectorIdNS0_10empty_typeEEEZZNS1_29radix_sort_onesweep_iterationIS3_Lb1EPKdPdPS5_SB_mNS0_19identity_decomposerENS1_16block_id_wrapperIjLb1EEEEE10hipError_tT1_PNSt15iterator_traitsISG_E10value_typeET2_T3_PNSH_ISM_E10value_typeET4_T5_PSR_SS_PNS1_23onesweep_lookback_stateEbbT6_jjT7_P12ihipStream_tbENKUlT_T0_SG_SL_E_clIS9_SA_SB_SB_EEDaSZ_S10_SG_SL_EUlSZ_E_NS1_11comp_targetILNS1_3genE0ELNS1_11target_archE4294967295ELNS1_3gpuE0ELNS1_3repE0EEENS1_47radix_sort_onesweep_sort_config_static_selectorELNS0_4arch9wavefront6targetE0EEEvSG_
	.globl	_ZN7rocprim17ROCPRIM_400000_NS6detail17trampoline_kernelINS0_14default_configENS1_35radix_sort_onesweep_config_selectorIdNS0_10empty_typeEEEZZNS1_29radix_sort_onesweep_iterationIS3_Lb1EPKdPdPS5_SB_mNS0_19identity_decomposerENS1_16block_id_wrapperIjLb1EEEEE10hipError_tT1_PNSt15iterator_traitsISG_E10value_typeET2_T3_PNSH_ISM_E10value_typeET4_T5_PSR_SS_PNS1_23onesweep_lookback_stateEbbT6_jjT7_P12ihipStream_tbENKUlT_T0_SG_SL_E_clIS9_SA_SB_SB_EEDaSZ_S10_SG_SL_EUlSZ_E_NS1_11comp_targetILNS1_3genE0ELNS1_11target_archE4294967295ELNS1_3gpuE0ELNS1_3repE0EEENS1_47radix_sort_onesweep_sort_config_static_selectorELNS0_4arch9wavefront6targetE0EEEvSG_
	.p2align	8
	.type	_ZN7rocprim17ROCPRIM_400000_NS6detail17trampoline_kernelINS0_14default_configENS1_35radix_sort_onesweep_config_selectorIdNS0_10empty_typeEEEZZNS1_29radix_sort_onesweep_iterationIS3_Lb1EPKdPdPS5_SB_mNS0_19identity_decomposerENS1_16block_id_wrapperIjLb1EEEEE10hipError_tT1_PNSt15iterator_traitsISG_E10value_typeET2_T3_PNSH_ISM_E10value_typeET4_T5_PSR_SS_PNS1_23onesweep_lookback_stateEbbT6_jjT7_P12ihipStream_tbENKUlT_T0_SG_SL_E_clIS9_SA_SB_SB_EEDaSZ_S10_SG_SL_EUlSZ_E_NS1_11comp_targetILNS1_3genE0ELNS1_11target_archE4294967295ELNS1_3gpuE0ELNS1_3repE0EEENS1_47radix_sort_onesweep_sort_config_static_selectorELNS0_4arch9wavefront6targetE0EEEvSG_,@function
_ZN7rocprim17ROCPRIM_400000_NS6detail17trampoline_kernelINS0_14default_configENS1_35radix_sort_onesweep_config_selectorIdNS0_10empty_typeEEEZZNS1_29radix_sort_onesweep_iterationIS3_Lb1EPKdPdPS5_SB_mNS0_19identity_decomposerENS1_16block_id_wrapperIjLb1EEEEE10hipError_tT1_PNSt15iterator_traitsISG_E10value_typeET2_T3_PNSH_ISM_E10value_typeET4_T5_PSR_SS_PNS1_23onesweep_lookback_stateEbbT6_jjT7_P12ihipStream_tbENKUlT_T0_SG_SL_E_clIS9_SA_SB_SB_EEDaSZ_S10_SG_SL_EUlSZ_E_NS1_11comp_targetILNS1_3genE0ELNS1_11target_archE4294967295ELNS1_3gpuE0ELNS1_3repE0EEENS1_47radix_sort_onesweep_sort_config_static_selectorELNS0_4arch9wavefront6targetE0EEEvSG_: ; @_ZN7rocprim17ROCPRIM_400000_NS6detail17trampoline_kernelINS0_14default_configENS1_35radix_sort_onesweep_config_selectorIdNS0_10empty_typeEEEZZNS1_29radix_sort_onesweep_iterationIS3_Lb1EPKdPdPS5_SB_mNS0_19identity_decomposerENS1_16block_id_wrapperIjLb1EEEEE10hipError_tT1_PNSt15iterator_traitsISG_E10value_typeET2_T3_PNSH_ISM_E10value_typeET4_T5_PSR_SS_PNS1_23onesweep_lookback_stateEbbT6_jjT7_P12ihipStream_tbENKUlT_T0_SG_SL_E_clIS9_SA_SB_SB_EEDaSZ_S10_SG_SL_EUlSZ_E_NS1_11comp_targetILNS1_3genE0ELNS1_11target_archE4294967295ELNS1_3gpuE0ELNS1_3repE0EEENS1_47radix_sort_onesweep_sort_config_static_selectorELNS0_4arch9wavefront6targetE0EEEvSG_
; %bb.0:
	s_clause 0x1
	s_load_b128 s[12:15], s[0:1], 0x28
	s_load_b64 s[10:11], s[0:1], 0x38
	v_and_b32_e32 v32, 0x3ff, v0
	s_delay_alu instid0(VALU_DEP_1)
	v_cmp_eq_u32_e64 s2, 0, v32
	s_and_saveexec_b32 s3, s2
	s_cbranch_execz .LBB1518_4
; %bb.1:
	s_mov_b32 s5, exec_lo
	s_mov_b32 s4, exec_lo
	v_mbcnt_lo_u32_b32 v1, s5, 0
                                        ; implicit-def: $vgpr2
	s_delay_alu instid0(VALU_DEP_1)
	v_cmpx_eq_u32_e32 0, v1
	s_cbranch_execz .LBB1518_3
; %bb.2:
	s_load_b64 s[6:7], s[0:1], 0x50
	s_bcnt1_i32_b32 s5, s5
	s_delay_alu instid0(SALU_CYCLE_1)
	v_dual_mov_b32 v2, 0 :: v_dual_mov_b32 v3, s5
	s_wait_xcnt 0x0
	s_wait_kmcnt 0x0
	global_atomic_add_u32 v2, v2, v3, s[6:7] th:TH_ATOMIC_RETURN scope:SCOPE_DEV
.LBB1518_3:
	s_wait_xcnt 0x0
	s_or_b32 exec_lo, exec_lo, s4
	s_wait_loadcnt 0x0
	v_readfirstlane_b32 s4, v2
	s_delay_alu instid0(VALU_DEP_1)
	v_dual_mov_b32 v2, 0 :: v_dual_add_nc_u32 v1, s4, v1
	ds_store_b32 v2, v1 offset:18496
.LBB1518_4:
	s_or_b32 exec_lo, exec_lo, s3
	v_dual_mov_b32 v5, 0 :: v_dual_lshlrev_b32 v2, 3, v32
	s_clause 0x2
	s_load_b128 s[16:19], s[0:1], 0x0
	s_load_b32 s3, s[0:1], 0x20
	s_load_b96 s[20:22], s[0:1], 0x44
	s_wait_dscnt 0x0
	s_barrier_signal -1
	s_barrier_wait -1
	ds_load_b32 v1, v5 offset:18496
	v_mbcnt_lo_u32_b32 v33, -1, 0
	s_mov_b32 s4, -1
	s_add_nc_u64 s[24:25], s[0:1], 0x58
	s_getreg_b32 s27, hwreg(HW_REG_IB_STS2, 6, 4)
	s_wait_dscnt 0x0
	s_barrier_signal -1
	s_barrier_wait -1
	s_wait_kmcnt 0x0
	v_cmp_le_u32_e32 vcc_lo, s22, v1
	v_readfirstlane_b32 s26, v1
	s_cbranch_vccz .LBB1518_70
; %bb.5:
	s_lshl_b32 s4, s26, 12
	s_mov_b32 s5, 0
	v_lshlrev_b32_e32 v4, 3, v33
	s_lshl_b64 s[4:5], s[4:5], 3
	v_and_b32_e32 v1, 0x1f00, v2
	s_add_nc_u64 s[4:5], s[16:17], s[4:5]
	v_mov_b64_e32 v[6:7], -1
	v_add_nc_u64_e32 v[8:9], s[4:5], v[4:5]
	s_lshl_b32 s4, s22, 12
	v_dual_lshlrev_b32 v4, 3, v1 :: v_dual_bitop2_b32 v1, v33, v1 bitop3:0x54
	s_sub_co_i32 s28, s3, s4
	s_mov_b32 s3, exec_lo
	s_delay_alu instid0(VALU_DEP_1)
	v_add_nc_u64_e32 v[20:21], v[8:9], v[4:5]
	v_mov_b64_e32 v[4:5], -1
	v_cmpx_gt_u32_e64 s28, v1
	s_cbranch_execz .LBB1518_7
; %bb.6:
	global_load_b64 v[4:5], v[20:21], off
.LBB1518_7:
	s_wait_xcnt 0x0
	s_or_b32 exec_lo, exec_lo, s3
	v_or_b32_e32 v3, 32, v1
	s_mov_b32 s3, exec_lo
	s_delay_alu instid0(VALU_DEP_1)
	v_cmpx_gt_u32_e64 s28, v3
	s_cbranch_execz .LBB1518_9
; %bb.8:
	global_load_b64 v[6:7], v[20:21], off offset:256
.LBB1518_9:
	s_wait_xcnt 0x0
	s_or_b32 exec_lo, exec_lo, s3
	v_mov_b64_e32 v[10:11], -1
	v_mov_b64_e32 v[8:9], -1
	v_or_b32_e32 v3, 64, v1
	s_mov_b32 s3, exec_lo
	s_delay_alu instid0(VALU_DEP_1)
	v_cmpx_gt_u32_e64 s28, v3
	s_cbranch_execz .LBB1518_11
; %bb.10:
	global_load_b64 v[8:9], v[20:21], off offset:512
.LBB1518_11:
	s_wait_xcnt 0x0
	s_or_b32 exec_lo, exec_lo, s3
	v_or_b32_e32 v3, 0x60, v1
	s_mov_b32 s3, exec_lo
	s_delay_alu instid0(VALU_DEP_1)
	v_cmpx_gt_u32_e64 s28, v3
	s_cbranch_execz .LBB1518_13
; %bb.12:
	global_load_b64 v[10:11], v[20:21], off offset:768
.LBB1518_13:
	s_wait_xcnt 0x0
	s_or_b32 exec_lo, exec_lo, s3
	v_mov_b64_e32 v[16:17], -1
	v_mov_b64_e32 v[12:13], -1
	v_or_b32_e32 v3, 0x80, v1
	s_mov_b32 s3, exec_lo
	s_delay_alu instid0(VALU_DEP_1)
	v_cmpx_gt_u32_e64 s28, v3
	s_cbranch_execz .LBB1518_15
; %bb.14:
	global_load_b64 v[12:13], v[20:21], off offset:1024
.LBB1518_15:
	s_wait_xcnt 0x0
	s_or_b32 exec_lo, exec_lo, s3
	v_or_b32_e32 v3, 0xa0, v1
	s_mov_b32 s3, exec_lo
	s_delay_alu instid0(VALU_DEP_1)
	v_cmpx_gt_u32_e64 s28, v3
	s_cbranch_execz .LBB1518_17
; %bb.16:
	global_load_b64 v[16:17], v[20:21], off offset:1280
.LBB1518_17:
	s_wait_xcnt 0x0
	s_or_b32 exec_lo, exec_lo, s3
	v_mov_b64_e32 v[14:15], -1
	v_mov_b64_e32 v[18:19], -1
	v_or_b32_e32 v3, 0xc0, v1
	s_mov_b32 s3, exec_lo
	s_delay_alu instid0(VALU_DEP_1)
	v_cmpx_gt_u32_e64 s28, v3
	s_cbranch_execz .LBB1518_19
; %bb.18:
	global_load_b64 v[18:19], v[20:21], off offset:1536
.LBB1518_19:
	s_wait_xcnt 0x0
	s_or_b32 exec_lo, exec_lo, s3
	v_or_b32_e32 v1, 0xe0, v1
	s_mov_b32 s3, exec_lo
	s_delay_alu instid0(VALU_DEP_1)
	v_cmpx_gt_u32_e64 s28, v1
	s_cbranch_execz .LBB1518_21
; %bb.20:
	global_load_b64 v[14:15], v[20:21], off offset:1792
.LBB1518_21:
	s_wait_xcnt 0x0
	s_or_b32 exec_lo, exec_lo, s3
	s_wait_loadcnt 0x0
	v_cmp_gt_i64_e32 vcc_lo, 0, v[4:5]
	s_clause 0x1
	s_load_b32 s29, s[0:1], 0x58
	s_load_u16 s3, s[0:1], 0x66
	s_mov_b64 s[8:9], 0x8000000000000000
	s_bfe_u32 s4, ttmp6, 0x4000c
	s_and_b32 s5, ttmp6, 15
	s_add_co_i32 s4, s4, 1
	v_cndmask_b32_e64 v3, 0x7fffffff, 0, vcc_lo
	v_ashrrev_i32_e32 v1, 31, v5
	s_mul_i32 s4, ttmp9, s4
	s_delay_alu instid0(SALU_CYCLE_1) | instskip(NEXT) | instid1(VALU_DEP_2)
	s_add_co_i32 s5, s5, s4
	v_xor_b32_e32 v5, v3, v5
	s_delay_alu instid0(VALU_DEP_2)
	v_not_b32_e32 v1, v1
	s_cmp_eq_u32 s27, 0
	v_bfe_u32 v3, v0, 20, 10
	s_cselect_b32 s4, ttmp9, s5
	s_mov_b32 s5, 0
	v_xor_b32_e32 v4, v1, v4
	v_bfe_u32 v1, v0, 10, 10
	s_wait_kmcnt 0x0
	s_cmp_lt_u32 s4, s29
	s_delay_alu instid0(VALU_DEP_2)
	v_cmp_ne_u64_e32 vcc_lo, s[8:9], v[4:5]
	s_cselect_b32 s4, 12, 18
	s_lshl_b32 s7, -1, s21
	s_add_nc_u64 s[4:5], s[24:25], s[4:5]
	v_mad_u32_u24 v1, v3, s3, v1
	s_load_u16 s22, s[4:5], 0x0
	s_not_b32 s30, s7
	v_cndmask_b32_e32 v21, 0x7fffffff, v5, vcc_lo
	v_cndmask_b32_e32 v20, -1, v4, vcc_lo
	s_delay_alu instid0(VALU_DEP_1) | instskip(NEXT) | instid1(VALU_DEP_1)
	v_lshrrev_b64 v[20:21], s20, v[20:21]
	v_bitop3_b32 v3, v20, 1, s7 bitop3:0x40
	v_bitop3_b32 v22, v20, s7, v20 bitop3:0x30
	s_delay_alu instid0(VALU_DEP_2) | instskip(NEXT) | instid1(VALU_DEP_1)
	v_add_co_u32 v3, s3, v3, -1
	v_cndmask_b32_e64 v20, 0, 1, s3
	s_delay_alu instid0(VALU_DEP_3) | instskip(SKIP_2) | instid1(VALU_DEP_4)
	v_dual_lshlrev_b32 v21, 30, v22 :: v_dual_lshlrev_b32 v23, 29, v22
	v_dual_lshlrev_b32 v24, 28, v22 :: v_dual_lshlrev_b32 v25, 27, v22
	v_lshlrev_b32_e32 v26, 26, v22
	v_cmp_ne_u32_e32 vcc_lo, 0, v20
	s_delay_alu instid0(VALU_DEP_4)
	v_not_b32_e32 v20, v21
	v_cmp_gt_i32_e64 s3, 0, v21
	s_wait_xcnt 0x0
	v_cmp_gt_i32_e64 s4, 0, v23
	v_not_b32_e32 v21, v23
	v_not_b32_e32 v23, v24
	v_dual_ashrrev_i32 v20, 31, v20 :: v_dual_bitop2_b32 v3, vcc_lo, v3 bitop3:0x14
	s_wait_kmcnt 0x0
	v_mad_u32 v1, v1, s22, v32
	v_cmp_gt_i32_e64 s5, 0, v24
	v_cmp_gt_i32_e64 s6, 0, v25
	v_dual_ashrrev_i32 v21, 31, v21 :: v_dual_ashrrev_i32 v23, 31, v23
	v_not_b32_e32 v24, v25
	v_not_b32_e32 v25, v26
	v_dual_lshlrev_b32 v27, 25, v22 :: v_dual_bitop2_b32 v20, s3, v20 bitop3:0x14
	s_delay_alu instid0(VALU_DEP_4) | instskip(SKIP_1) | instid1(VALU_DEP_3)
	v_dual_lshlrev_b32 v28, 24, v22 :: v_dual_bitop2_b32 v21, s4, v21 bitop3:0x14
	v_dual_lshrrev_b32 v1, 5, v1 :: v_dual_bitop2_b32 v23, s5, v23 bitop3:0x14
	v_bitop3_b32 v3, v3, v20, exec_lo bitop3:0x80
	v_cmp_gt_i32_e32 vcc_lo, 0, v26
	v_dual_ashrrev_i32 v20, 31, v24 :: v_dual_ashrrev_i32 v24, 31, v25
	v_cmp_gt_i32_e64 s3, 0, v28
	s_delay_alu instid0(VALU_DEP_4)
	v_bitop3_b32 v21, v3, v23, v21 bitop3:0x80
	v_not_b32_e32 v3, v27
	v_not_b32_e32 v23, v28
	v_xor_b32_e32 v20, s6, v20
	v_xor_b32_e32 v24, vcc_lo, v24
	v_cmp_gt_i32_e32 vcc_lo, 0, v27
	v_ashrrev_i32_e32 v25, 31, v3
	v_ashrrev_i32_e32 v23, 31, v23
	v_mul_u32_u24_e32 v3, 36, v32
	v_bitop3_b32 v21, v21, v24, v20 bitop3:0x80
	v_lshlrev_b32_e32 v20, 2, v1
	v_dual_mov_b32 v25, 0 :: v_dual_bitop2_b32 v24, vcc_lo, v25 bitop3:0x14
	v_xor_b32_e32 v23, s3, v23
	ds_store_2addr_b32 v3, v25, v25 offset0:16 offset1:17
	ds_store_2addr_b32 v3, v25, v25 offset0:18 offset1:19
	;; [unrolled: 1-line block ×4, first 2 shown]
	v_bitop3_b32 v21, v21, v23, v24 bitop3:0x80
	v_mad_u32 v28, 0x44, v22, v20
	ds_store_b32 v3, v25 offset:96
	s_wait_dscnt 0x0
	s_barrier_signal -1
	v_mbcnt_lo_u32_b32 v1, v21, 0
	v_cmp_ne_u32_e64 s3, 0, v21
	s_barrier_wait -1
	s_delay_alu instid0(VALU_DEP_2) | instskip(SKIP_1) | instid1(SALU_CYCLE_1)
	v_cmp_eq_u32_e32 vcc_lo, 0, v1
	; wave barrier
	s_and_b32 s4, s3, vcc_lo
	s_and_saveexec_b32 s3, s4
; %bb.22:
	v_bcnt_u32_b32 v21, v21, 0
	ds_store_b32 v28, v21 offset:64
; %bb.23:
	s_or_b32 exec_lo, exec_lo, s3
	v_cmp_gt_i64_e32 vcc_lo, 0, v[6:7]
	; wave barrier
	v_cndmask_b32_e64 v22, 0x7fffffff, 0, vcc_lo
	s_delay_alu instid0(VALU_DEP_1) | instskip(NEXT) | instid1(VALU_DEP_1)
	v_dual_ashrrev_i32 v21, 31, v7 :: v_dual_bitop2_b32 v7, v22, v7 bitop3:0x14
	v_not_b32_e32 v21, v21
	s_delay_alu instid0(VALU_DEP_1) | instskip(NEXT) | instid1(VALU_DEP_1)
	v_xor_b32_e32 v6, v21, v6
	v_cmp_ne_u64_e32 vcc_lo, s[8:9], v[6:7]
	v_cndmask_b32_e32 v23, 0x7fffffff, v7, vcc_lo
	v_cndmask_b32_e32 v22, -1, v6, vcc_lo
	s_delay_alu instid0(VALU_DEP_1) | instskip(NEXT) | instid1(VALU_DEP_1)
	v_lshrrev_b64 v[22:23], s20, v[22:23]
	v_and_b32_e32 v21, s30, v22
	v_bitop3_b32 v22, v22, 1, s30 bitop3:0x80
	s_delay_alu instid0(VALU_DEP_2) | instskip(NEXT) | instid1(VALU_DEP_2)
	v_lshlrev_b32_e32 v24, 30, v21
	v_add_co_u32 v22, s3, v22, -1
	s_delay_alu instid0(VALU_DEP_1) | instskip(NEXT) | instid1(VALU_DEP_3)
	v_cndmask_b32_e64 v23, 0, 1, s3
	v_cmp_gt_i32_e64 s3, 0, v24
	s_delay_alu instid0(VALU_DEP_2) | instskip(SKIP_1) | instid1(VALU_DEP_1)
	v_cmp_ne_u32_e32 vcc_lo, 0, v23
	v_not_b32_e32 v23, v24
	v_dual_ashrrev_i32 v23, 31, v23 :: v_dual_lshlrev_b32 v25, 29, v21
	v_dual_lshlrev_b32 v26, 28, v21 :: v_dual_lshlrev_b32 v27, 27, v21
	v_lshlrev_b32_e32 v30, 26, v21
	v_mad_u32 v29, 0x44, v21, v20
	s_delay_alu instid0(VALU_DEP_4)
	v_cmp_gt_i32_e64 s4, 0, v25
	v_not_b32_e32 v24, v25
	v_not_b32_e32 v25, v26
	v_dual_lshlrev_b32 v31, 25, v21 :: v_dual_lshlrev_b32 v21, 24, v21
	v_cmp_gt_i32_e64 s5, 0, v26
	v_cmp_gt_i32_e64 s6, 0, v27
	v_not_b32_e32 v26, v27
	v_not_b32_e32 v27, v30
	v_dual_ashrrev_i32 v24, 31, v24 :: v_dual_bitop2_b32 v22, vcc_lo, v22 bitop3:0x14
	v_dual_ashrrev_i32 v25, 31, v25 :: v_dual_bitop2_b32 v23, s3, v23 bitop3:0x14
	v_cmp_gt_i32_e64 s7, 0, v30
	v_not_b32_e32 v30, v31
	v_cmp_gt_i32_e64 s9, 0, v21
	v_not_b32_e32 v21, v21
	v_dual_ashrrev_i32 v26, 31, v26 :: v_dual_ashrrev_i32 v27, 31, v27
	v_xor_b32_e32 v24, s4, v24
	v_xor_b32_e32 v25, s5, v25
	v_bitop3_b32 v22, v22, v23, exec_lo bitop3:0x80
	v_cmp_gt_i32_e64 s8, 0, v31
	v_dual_ashrrev_i32 v23, 31, v30 :: v_dual_ashrrev_i32 v21, 31, v21
	v_xor_b32_e32 v26, s6, v26
	v_xor_b32_e32 v27, s7, v27
	v_bitop3_b32 v22, v22, v25, v24 bitop3:0x80
	s_delay_alu instid0(VALU_DEP_4) | instskip(SKIP_3) | instid1(VALU_DEP_1)
	v_xor_b32_e32 v23, s8, v23
	v_xor_b32_e32 v21, s9, v21
	ds_load_b32 v34, v29 offset:64
	v_bitop3_b32 v22, v22, v27, v26 bitop3:0x80
	; wave barrier
	v_bitop3_b32 v21, v22, v21, v23 bitop3:0x80
	s_delay_alu instid0(VALU_DEP_1) | instskip(SKIP_1) | instid1(VALU_DEP_2)
	v_mbcnt_lo_u32_b32 v35, v21, 0
	v_cmp_ne_u32_e64 s3, 0, v21
	v_cmp_eq_u32_e32 vcc_lo, 0, v35
	s_and_b32 s4, s3, vcc_lo
	s_delay_alu instid0(SALU_CYCLE_1)
	s_and_saveexec_b32 s3, s4
	s_cbranch_execz .LBB1518_25
; %bb.24:
	s_wait_dscnt 0x0
	v_bcnt_u32_b32 v21, v21, v34
	ds_store_b32 v29, v21 offset:64
.LBB1518_25:
	s_or_b32 exec_lo, exec_lo, s3
	v_cmp_gt_i64_e32 vcc_lo, 0, v[8:9]
	s_mov_b64 s[22:23], 0x8000000000000000
	; wave barrier
	v_cndmask_b32_e64 v22, 0x7fffffff, 0, vcc_lo
	s_delay_alu instid0(VALU_DEP_1) | instskip(NEXT) | instid1(VALU_DEP_1)
	v_dual_ashrrev_i32 v21, 31, v9 :: v_dual_bitop2_b32 v9, v22, v9 bitop3:0x14
	v_not_b32_e32 v21, v21
	s_delay_alu instid0(VALU_DEP_1) | instskip(NEXT) | instid1(VALU_DEP_1)
	v_xor_b32_e32 v8, v21, v8
	v_cmp_ne_u64_e32 vcc_lo, s[22:23], v[8:9]
	v_cndmask_b32_e32 v23, 0x7fffffff, v9, vcc_lo
	v_cndmask_b32_e32 v22, -1, v8, vcc_lo
	s_delay_alu instid0(VALU_DEP_1) | instskip(NEXT) | instid1(VALU_DEP_1)
	v_lshrrev_b64 v[22:23], s20, v[22:23]
	v_and_b32_e32 v21, s30, v22
	v_bitop3_b32 v22, v22, 1, s30 bitop3:0x80
	s_delay_alu instid0(VALU_DEP_2) | instskip(NEXT) | instid1(VALU_DEP_2)
	v_lshlrev_b32_e32 v24, 30, v21
	v_add_co_u32 v22, s3, v22, -1
	s_delay_alu instid0(VALU_DEP_1) | instskip(NEXT) | instid1(VALU_DEP_3)
	v_cndmask_b32_e64 v23, 0, 1, s3
	v_cmp_gt_i32_e64 s3, 0, v24
	s_delay_alu instid0(VALU_DEP_2) | instskip(SKIP_1) | instid1(VALU_DEP_1)
	v_cmp_ne_u32_e32 vcc_lo, 0, v23
	v_not_b32_e32 v23, v24
	v_dual_ashrrev_i32 v23, 31, v23 :: v_dual_bitop2_b32 v22, vcc_lo, v22 bitop3:0x14
	v_dual_lshlrev_b32 v25, 29, v21 :: v_dual_lshlrev_b32 v26, 28, v21
	v_dual_lshlrev_b32 v27, 27, v21 :: v_dual_lshlrev_b32 v31, 26, v21
	v_lshlrev_b32_e32 v36, 25, v21
	s_delay_alu instid0(VALU_DEP_3)
	v_cmp_gt_i32_e64 s4, 0, v25
	v_not_b32_e32 v24, v25
	v_not_b32_e32 v25, v26
	v_mad_u32 v30, 0x44, v21, v20
	v_lshlrev_b32_e32 v21, 24, v21
	v_cmp_gt_i32_e64 s5, 0, v26
	v_cmp_gt_i32_e64 s6, 0, v27
	v_not_b32_e32 v26, v27
	v_not_b32_e32 v27, v31
	v_dual_ashrrev_i32 v24, 31, v24 :: v_dual_ashrrev_i32 v25, 31, v25
	v_xor_b32_e32 v23, s3, v23
	v_cmp_gt_i32_e64 s7, 0, v31
	v_not_b32_e32 v31, v36
	v_cmp_gt_i32_e64 s9, 0, v21
	v_not_b32_e32 v21, v21
	v_dual_ashrrev_i32 v26, 31, v26 :: v_dual_ashrrev_i32 v27, 31, v27
	v_xor_b32_e32 v24, s4, v24
	v_xor_b32_e32 v25, s5, v25
	v_bitop3_b32 v22, v22, v23, exec_lo bitop3:0x80
	v_cmp_gt_i32_e64 s8, 0, v36
	v_dual_ashrrev_i32 v23, 31, v31 :: v_dual_ashrrev_i32 v21, 31, v21
	v_xor_b32_e32 v26, s6, v26
	v_xor_b32_e32 v27, s7, v27
	v_bitop3_b32 v22, v22, v25, v24 bitop3:0x80
	s_delay_alu instid0(VALU_DEP_4) | instskip(SKIP_3) | instid1(VALU_DEP_1)
	v_xor_b32_e32 v23, s8, v23
	v_xor_b32_e32 v21, s9, v21
	ds_load_b32 v36, v30 offset:64
	v_bitop3_b32 v22, v22, v27, v26 bitop3:0x80
	; wave barrier
	v_bitop3_b32 v21, v22, v21, v23 bitop3:0x80
	s_delay_alu instid0(VALU_DEP_1) | instskip(SKIP_1) | instid1(VALU_DEP_2)
	v_mbcnt_lo_u32_b32 v37, v21, 0
	v_cmp_ne_u32_e64 s3, 0, v21
	v_cmp_eq_u32_e32 vcc_lo, 0, v37
	s_and_b32 s4, s3, vcc_lo
	s_delay_alu instid0(SALU_CYCLE_1)
	s_and_saveexec_b32 s3, s4
	s_cbranch_execz .LBB1518_27
; %bb.26:
	s_wait_dscnt 0x0
	v_bcnt_u32_b32 v21, v21, v36
	ds_store_b32 v30, v21 offset:64
.LBB1518_27:
	s_or_b32 exec_lo, exec_lo, s3
	v_cmp_gt_i64_e32 vcc_lo, 0, v[10:11]
	; wave barrier
	v_cndmask_b32_e64 v22, 0x7fffffff, 0, vcc_lo
	s_delay_alu instid0(VALU_DEP_1) | instskip(NEXT) | instid1(VALU_DEP_1)
	v_dual_ashrrev_i32 v21, 31, v11 :: v_dual_bitop2_b32 v11, v22, v11 bitop3:0x14
	v_not_b32_e32 v21, v21
	s_delay_alu instid0(VALU_DEP_1) | instskip(NEXT) | instid1(VALU_DEP_1)
	v_xor_b32_e32 v10, v21, v10
	v_cmp_ne_u64_e32 vcc_lo, s[22:23], v[10:11]
	v_cndmask_b32_e32 v23, 0x7fffffff, v11, vcc_lo
	v_cndmask_b32_e32 v22, -1, v10, vcc_lo
	s_delay_alu instid0(VALU_DEP_1) | instskip(NEXT) | instid1(VALU_DEP_1)
	v_lshrrev_b64 v[22:23], s20, v[22:23]
	v_and_b32_e32 v21, s30, v22
	v_bitop3_b32 v22, v22, 1, s30 bitop3:0x80
	s_delay_alu instid0(VALU_DEP_2) | instskip(NEXT) | instid1(VALU_DEP_2)
	v_lshlrev_b32_e32 v24, 30, v21
	v_add_co_u32 v22, s3, v22, -1
	s_delay_alu instid0(VALU_DEP_1) | instskip(NEXT) | instid1(VALU_DEP_3)
	v_cndmask_b32_e64 v23, 0, 1, s3
	v_cmp_gt_i32_e64 s3, 0, v24
	s_delay_alu instid0(VALU_DEP_2) | instskip(SKIP_1) | instid1(VALU_DEP_1)
	v_cmp_ne_u32_e32 vcc_lo, 0, v23
	v_not_b32_e32 v23, v24
	v_dual_ashrrev_i32 v23, 31, v23 :: v_dual_lshlrev_b32 v25, 29, v21
	v_dual_lshlrev_b32 v26, 28, v21 :: v_dual_lshlrev_b32 v27, 27, v21
	v_lshlrev_b32_e32 v38, 26, v21
	v_mad_u32 v31, 0x44, v21, v20
	s_delay_alu instid0(VALU_DEP_4)
	v_cmp_gt_i32_e64 s4, 0, v25
	v_not_b32_e32 v24, v25
	v_not_b32_e32 v25, v26
	v_dual_lshlrev_b32 v39, 25, v21 :: v_dual_lshlrev_b32 v21, 24, v21
	v_cmp_gt_i32_e64 s5, 0, v26
	v_cmp_gt_i32_e64 s6, 0, v27
	v_not_b32_e32 v26, v27
	v_not_b32_e32 v27, v38
	v_dual_ashrrev_i32 v24, 31, v24 :: v_dual_bitop2_b32 v22, vcc_lo, v22 bitop3:0x14
	v_dual_ashrrev_i32 v25, 31, v25 :: v_dual_bitop2_b32 v23, s3, v23 bitop3:0x14
	v_cmp_gt_i32_e64 s7, 0, v38
	v_not_b32_e32 v38, v39
	v_cmp_gt_i32_e64 s9, 0, v21
	v_not_b32_e32 v21, v21
	v_dual_ashrrev_i32 v26, 31, v26 :: v_dual_ashrrev_i32 v27, 31, v27
	v_xor_b32_e32 v24, s4, v24
	v_xor_b32_e32 v25, s5, v25
	v_bitop3_b32 v22, v22, v23, exec_lo bitop3:0x80
	v_cmp_gt_i32_e64 s8, 0, v39
	v_dual_ashrrev_i32 v23, 31, v38 :: v_dual_ashrrev_i32 v21, 31, v21
	v_xor_b32_e32 v26, s6, v26
	v_xor_b32_e32 v27, s7, v27
	v_bitop3_b32 v22, v22, v25, v24 bitop3:0x80
	s_delay_alu instid0(VALU_DEP_4) | instskip(SKIP_3) | instid1(VALU_DEP_1)
	v_xor_b32_e32 v23, s8, v23
	v_xor_b32_e32 v21, s9, v21
	ds_load_b32 v38, v31 offset:64
	v_bitop3_b32 v22, v22, v27, v26 bitop3:0x80
	; wave barrier
	v_bitop3_b32 v21, v22, v21, v23 bitop3:0x80
	s_delay_alu instid0(VALU_DEP_1) | instskip(SKIP_1) | instid1(VALU_DEP_2)
	v_mbcnt_lo_u32_b32 v39, v21, 0
	v_cmp_ne_u32_e64 s3, 0, v21
	v_cmp_eq_u32_e32 vcc_lo, 0, v39
	s_and_b32 s4, s3, vcc_lo
	s_delay_alu instid0(SALU_CYCLE_1)
	s_and_saveexec_b32 s3, s4
	s_cbranch_execz .LBB1518_29
; %bb.28:
	s_wait_dscnt 0x0
	v_bcnt_u32_b32 v21, v21, v38
	ds_store_b32 v31, v21 offset:64
.LBB1518_29:
	s_or_b32 exec_lo, exec_lo, s3
	v_cmp_gt_i64_e32 vcc_lo, 0, v[12:13]
	; wave barrier
	v_cndmask_b32_e64 v22, 0x7fffffff, 0, vcc_lo
	s_delay_alu instid0(VALU_DEP_1) | instskip(NEXT) | instid1(VALU_DEP_1)
	v_dual_ashrrev_i32 v21, 31, v13 :: v_dual_bitop2_b32 v13, v22, v13 bitop3:0x14
	v_not_b32_e32 v21, v21
	s_delay_alu instid0(VALU_DEP_1) | instskip(NEXT) | instid1(VALU_DEP_1)
	v_xor_b32_e32 v12, v21, v12
	v_cmp_ne_u64_e32 vcc_lo, s[22:23], v[12:13]
	v_cndmask_b32_e32 v23, 0x7fffffff, v13, vcc_lo
	v_cndmask_b32_e32 v22, -1, v12, vcc_lo
	s_delay_alu instid0(VALU_DEP_1) | instskip(NEXT) | instid1(VALU_DEP_1)
	v_lshrrev_b64 v[22:23], s20, v[22:23]
	v_and_b32_e32 v21, s30, v22
	v_bitop3_b32 v22, v22, 1, s30 bitop3:0x80
	s_delay_alu instid0(VALU_DEP_2) | instskip(NEXT) | instid1(VALU_DEP_2)
	v_lshlrev_b32_e32 v24, 30, v21
	v_add_co_u32 v22, s3, v22, -1
	s_delay_alu instid0(VALU_DEP_1) | instskip(NEXT) | instid1(VALU_DEP_3)
	v_cndmask_b32_e64 v23, 0, 1, s3
	v_cmp_gt_i32_e64 s3, 0, v24
	s_delay_alu instid0(VALU_DEP_2) | instskip(SKIP_1) | instid1(VALU_DEP_1)
	v_cmp_ne_u32_e32 vcc_lo, 0, v23
	v_not_b32_e32 v23, v24
	v_dual_ashrrev_i32 v23, 31, v23 :: v_dual_bitop2_b32 v22, vcc_lo, v22 bitop3:0x14
	v_dual_lshlrev_b32 v25, 29, v21 :: v_dual_lshlrev_b32 v26, 28, v21
	v_dual_lshlrev_b32 v27, 27, v21 :: v_dual_lshlrev_b32 v40, 26, v21
	v_lshlrev_b32_e32 v41, 25, v21
	s_delay_alu instid0(VALU_DEP_3)
	v_cmp_gt_i32_e64 s4, 0, v25
	v_not_b32_e32 v24, v25
	v_not_b32_e32 v25, v26
	v_mad_u32 v42, 0x44, v21, v20
	v_lshlrev_b32_e32 v21, 24, v21
	v_cmp_gt_i32_e64 s5, 0, v26
	v_cmp_gt_i32_e64 s6, 0, v27
	v_not_b32_e32 v26, v27
	v_not_b32_e32 v27, v40
	v_dual_ashrrev_i32 v24, 31, v24 :: v_dual_ashrrev_i32 v25, 31, v25
	v_xor_b32_e32 v23, s3, v23
	v_cmp_gt_i32_e64 s7, 0, v40
	v_not_b32_e32 v40, v41
	v_cmp_gt_i32_e64 s9, 0, v21
	v_not_b32_e32 v21, v21
	v_dual_ashrrev_i32 v26, 31, v26 :: v_dual_ashrrev_i32 v27, 31, v27
	v_xor_b32_e32 v24, s4, v24
	v_xor_b32_e32 v25, s5, v25
	v_bitop3_b32 v22, v22, v23, exec_lo bitop3:0x80
	v_cmp_gt_i32_e64 s8, 0, v41
	v_dual_ashrrev_i32 v23, 31, v40 :: v_dual_ashrrev_i32 v21, 31, v21
	v_xor_b32_e32 v26, s6, v26
	v_xor_b32_e32 v27, s7, v27
	v_bitop3_b32 v22, v22, v25, v24 bitop3:0x80
	s_delay_alu instid0(VALU_DEP_4) | instskip(SKIP_3) | instid1(VALU_DEP_1)
	v_xor_b32_e32 v23, s8, v23
	v_xor_b32_e32 v21, s9, v21
	ds_load_b32 v40, v42 offset:64
	v_bitop3_b32 v22, v22, v27, v26 bitop3:0x80
	; wave barrier
	v_bitop3_b32 v21, v22, v21, v23 bitop3:0x80
	s_delay_alu instid0(VALU_DEP_1) | instskip(SKIP_1) | instid1(VALU_DEP_2)
	v_mbcnt_lo_u32_b32 v41, v21, 0
	v_cmp_ne_u32_e64 s3, 0, v21
	v_cmp_eq_u32_e32 vcc_lo, 0, v41
	s_and_b32 s4, s3, vcc_lo
	s_delay_alu instid0(SALU_CYCLE_1)
	s_and_saveexec_b32 s3, s4
	s_cbranch_execz .LBB1518_31
; %bb.30:
	s_wait_dscnt 0x0
	v_bcnt_u32_b32 v21, v21, v40
	ds_store_b32 v42, v21 offset:64
.LBB1518_31:
	s_or_b32 exec_lo, exec_lo, s3
	v_cmp_gt_i64_e32 vcc_lo, 0, v[16:17]
	; wave barrier
	v_cndmask_b32_e64 v22, 0x7fffffff, 0, vcc_lo
	s_delay_alu instid0(VALU_DEP_1) | instskip(NEXT) | instid1(VALU_DEP_1)
	v_dual_ashrrev_i32 v21, 31, v17 :: v_dual_bitop2_b32 v17, v22, v17 bitop3:0x14
	v_not_b32_e32 v21, v21
	s_delay_alu instid0(VALU_DEP_1) | instskip(NEXT) | instid1(VALU_DEP_1)
	v_xor_b32_e32 v16, v21, v16
	v_cmp_ne_u64_e32 vcc_lo, s[22:23], v[16:17]
	v_cndmask_b32_e32 v23, 0x7fffffff, v17, vcc_lo
	v_cndmask_b32_e32 v22, -1, v16, vcc_lo
	s_delay_alu instid0(VALU_DEP_1) | instskip(NEXT) | instid1(VALU_DEP_1)
	v_lshrrev_b64 v[22:23], s20, v[22:23]
	v_and_b32_e32 v21, s30, v22
	v_bitop3_b32 v22, v22, 1, s30 bitop3:0x80
	s_delay_alu instid0(VALU_DEP_2) | instskip(NEXT) | instid1(VALU_DEP_2)
	v_lshlrev_b32_e32 v24, 30, v21
	v_add_co_u32 v22, s3, v22, -1
	s_delay_alu instid0(VALU_DEP_1) | instskip(NEXT) | instid1(VALU_DEP_3)
	v_cndmask_b32_e64 v23, 0, 1, s3
	v_cmp_gt_i32_e64 s3, 0, v24
	s_delay_alu instid0(VALU_DEP_2) | instskip(SKIP_1) | instid1(VALU_DEP_1)
	v_cmp_ne_u32_e32 vcc_lo, 0, v23
	v_not_b32_e32 v23, v24
	v_dual_ashrrev_i32 v23, 31, v23 :: v_dual_bitop2_b32 v22, vcc_lo, v22 bitop3:0x14
	v_dual_lshlrev_b32 v25, 29, v21 :: v_dual_lshlrev_b32 v26, 28, v21
	v_dual_lshlrev_b32 v27, 27, v21 :: v_dual_lshlrev_b32 v43, 26, v21
	v_lshlrev_b32_e32 v44, 25, v21
	s_delay_alu instid0(VALU_DEP_3)
	v_cmp_gt_i32_e64 s4, 0, v25
	v_not_b32_e32 v24, v25
	v_not_b32_e32 v25, v26
	v_mad_u32 v45, 0x44, v21, v20
	v_lshlrev_b32_e32 v21, 24, v21
	v_cmp_gt_i32_e64 s5, 0, v26
	v_cmp_gt_i32_e64 s6, 0, v27
	v_not_b32_e32 v26, v27
	v_not_b32_e32 v27, v43
	v_dual_ashrrev_i32 v24, 31, v24 :: v_dual_ashrrev_i32 v25, 31, v25
	v_xor_b32_e32 v23, s3, v23
	v_cmp_gt_i32_e64 s7, 0, v43
	v_not_b32_e32 v43, v44
	v_cmp_gt_i32_e64 s9, 0, v21
	v_not_b32_e32 v21, v21
	v_dual_ashrrev_i32 v26, 31, v26 :: v_dual_ashrrev_i32 v27, 31, v27
	v_xor_b32_e32 v24, s4, v24
	v_xor_b32_e32 v25, s5, v25
	v_bitop3_b32 v22, v22, v23, exec_lo bitop3:0x80
	v_cmp_gt_i32_e64 s8, 0, v44
	v_dual_ashrrev_i32 v23, 31, v43 :: v_dual_ashrrev_i32 v21, 31, v21
	v_xor_b32_e32 v26, s6, v26
	v_xor_b32_e32 v27, s7, v27
	v_bitop3_b32 v22, v22, v25, v24 bitop3:0x80
	s_delay_alu instid0(VALU_DEP_4) | instskip(SKIP_3) | instid1(VALU_DEP_1)
	v_xor_b32_e32 v23, s8, v23
	v_xor_b32_e32 v21, s9, v21
	ds_load_b32 v43, v45 offset:64
	v_bitop3_b32 v22, v22, v27, v26 bitop3:0x80
	; wave barrier
	v_bitop3_b32 v21, v22, v21, v23 bitop3:0x80
	s_delay_alu instid0(VALU_DEP_1) | instskip(SKIP_1) | instid1(VALU_DEP_2)
	v_mbcnt_lo_u32_b32 v44, v21, 0
	v_cmp_ne_u32_e64 s3, 0, v21
	v_cmp_eq_u32_e32 vcc_lo, 0, v44
	s_and_b32 s4, s3, vcc_lo
	s_delay_alu instid0(SALU_CYCLE_1)
	s_and_saveexec_b32 s3, s4
	s_cbranch_execz .LBB1518_33
; %bb.32:
	s_wait_dscnt 0x0
	v_bcnt_u32_b32 v21, v21, v43
	ds_store_b32 v45, v21 offset:64
.LBB1518_33:
	s_or_b32 exec_lo, exec_lo, s3
	v_cmp_gt_i64_e32 vcc_lo, 0, v[18:19]
	; wave barrier
	v_cndmask_b32_e64 v22, 0x7fffffff, 0, vcc_lo
	s_delay_alu instid0(VALU_DEP_1) | instskip(NEXT) | instid1(VALU_DEP_1)
	v_dual_ashrrev_i32 v21, 31, v19 :: v_dual_bitop2_b32 v19, v22, v19 bitop3:0x14
	v_not_b32_e32 v21, v21
	s_delay_alu instid0(VALU_DEP_1) | instskip(NEXT) | instid1(VALU_DEP_1)
	v_xor_b32_e32 v18, v21, v18
	v_cmp_ne_u64_e32 vcc_lo, s[22:23], v[18:19]
	v_cndmask_b32_e32 v23, 0x7fffffff, v19, vcc_lo
	v_cndmask_b32_e32 v22, -1, v18, vcc_lo
	s_delay_alu instid0(VALU_DEP_1) | instskip(NEXT) | instid1(VALU_DEP_1)
	v_lshrrev_b64 v[22:23], s20, v[22:23]
	v_and_b32_e32 v21, s30, v22
	v_bitop3_b32 v22, v22, 1, s30 bitop3:0x80
	s_delay_alu instid0(VALU_DEP_2) | instskip(NEXT) | instid1(VALU_DEP_2)
	v_lshlrev_b32_e32 v24, 30, v21
	v_add_co_u32 v22, s3, v22, -1
	s_delay_alu instid0(VALU_DEP_1) | instskip(NEXT) | instid1(VALU_DEP_3)
	v_cndmask_b32_e64 v23, 0, 1, s3
	v_cmp_gt_i32_e64 s3, 0, v24
	s_delay_alu instid0(VALU_DEP_2) | instskip(SKIP_1) | instid1(VALU_DEP_1)
	v_cmp_ne_u32_e32 vcc_lo, 0, v23
	v_not_b32_e32 v23, v24
	v_dual_ashrrev_i32 v23, 31, v23 :: v_dual_lshlrev_b32 v25, 29, v21
	v_dual_lshlrev_b32 v26, 28, v21 :: v_dual_lshlrev_b32 v27, 27, v21
	v_lshlrev_b32_e32 v46, 26, v21
	v_mad_u32 v48, 0x44, v21, v20
	s_delay_alu instid0(VALU_DEP_4)
	v_cmp_gt_i32_e64 s4, 0, v25
	v_not_b32_e32 v24, v25
	v_not_b32_e32 v25, v26
	v_dual_lshlrev_b32 v47, 25, v21 :: v_dual_lshlrev_b32 v21, 24, v21
	v_cmp_gt_i32_e64 s5, 0, v26
	v_cmp_gt_i32_e64 s6, 0, v27
	v_not_b32_e32 v26, v27
	v_not_b32_e32 v27, v46
	v_dual_ashrrev_i32 v24, 31, v24 :: v_dual_bitop2_b32 v22, vcc_lo, v22 bitop3:0x14
	v_dual_ashrrev_i32 v25, 31, v25 :: v_dual_bitop2_b32 v23, s3, v23 bitop3:0x14
	v_cmp_gt_i32_e64 s7, 0, v46
	v_not_b32_e32 v46, v47
	v_cmp_gt_i32_e64 s9, 0, v21
	v_not_b32_e32 v21, v21
	v_dual_ashrrev_i32 v26, 31, v26 :: v_dual_ashrrev_i32 v27, 31, v27
	v_xor_b32_e32 v24, s4, v24
	v_xor_b32_e32 v25, s5, v25
	v_bitop3_b32 v22, v22, v23, exec_lo bitop3:0x80
	v_cmp_gt_i32_e64 s8, 0, v47
	v_dual_ashrrev_i32 v23, 31, v46 :: v_dual_ashrrev_i32 v21, 31, v21
	v_xor_b32_e32 v26, s6, v26
	v_xor_b32_e32 v27, s7, v27
	v_bitop3_b32 v22, v22, v25, v24 bitop3:0x80
	s_delay_alu instid0(VALU_DEP_4) | instskip(SKIP_3) | instid1(VALU_DEP_1)
	v_xor_b32_e32 v23, s8, v23
	v_xor_b32_e32 v21, s9, v21
	ds_load_b32 v46, v48 offset:64
	v_bitop3_b32 v22, v22, v27, v26 bitop3:0x80
	; wave barrier
	v_bitop3_b32 v21, v22, v21, v23 bitop3:0x80
	s_delay_alu instid0(VALU_DEP_1) | instskip(SKIP_1) | instid1(VALU_DEP_2)
	v_mbcnt_lo_u32_b32 v47, v21, 0
	v_cmp_ne_u32_e64 s3, 0, v21
	v_cmp_eq_u32_e32 vcc_lo, 0, v47
	s_and_b32 s4, s3, vcc_lo
	s_delay_alu instid0(SALU_CYCLE_1)
	s_and_saveexec_b32 s3, s4
	s_cbranch_execz .LBB1518_35
; %bb.34:
	s_wait_dscnt 0x0
	v_bcnt_u32_b32 v21, v21, v46
	ds_store_b32 v48, v21 offset:64
.LBB1518_35:
	s_or_b32 exec_lo, exec_lo, s3
	v_cmp_gt_i64_e32 vcc_lo, 0, v[14:15]
	; wave barrier
	v_cndmask_b32_e64 v22, 0x7fffffff, 0, vcc_lo
	s_delay_alu instid0(VALU_DEP_1) | instskip(NEXT) | instid1(VALU_DEP_1)
	v_dual_ashrrev_i32 v21, 31, v15 :: v_dual_bitop2_b32 v15, v22, v15 bitop3:0x14
	v_not_b32_e32 v21, v21
	s_delay_alu instid0(VALU_DEP_1) | instskip(NEXT) | instid1(VALU_DEP_1)
	v_xor_b32_e32 v14, v21, v14
	v_cmp_ne_u64_e32 vcc_lo, s[22:23], v[14:15]
	v_cndmask_b32_e32 v23, 0x7fffffff, v15, vcc_lo
	v_cndmask_b32_e32 v22, -1, v14, vcc_lo
	s_delay_alu instid0(VALU_DEP_1) | instskip(NEXT) | instid1(VALU_DEP_1)
	v_lshrrev_b64 v[22:23], s20, v[22:23]
	v_and_b32_e32 v21, s30, v22
	v_bitop3_b32 v22, v22, 1, s30 bitop3:0x80
	s_delay_alu instid0(VALU_DEP_2) | instskip(NEXT) | instid1(VALU_DEP_2)
	v_mad_u32 v51, 0x44, v21, v20
	v_add_co_u32 v20, s3, v22, -1
	s_delay_alu instid0(VALU_DEP_1) | instskip(SKIP_1) | instid1(VALU_DEP_2)
	v_cndmask_b32_e64 v22, 0, 1, s3
	v_lshlrev_b32_e32 v23, 30, v21
	v_cmp_ne_u32_e32 vcc_lo, 0, v22
	s_delay_alu instid0(VALU_DEP_2) | instskip(SKIP_1) | instid1(VALU_DEP_2)
	v_not_b32_e32 v22, v23
	v_cmp_gt_i32_e64 s3, 0, v23
	v_dual_ashrrev_i32 v22, 31, v22 :: v_dual_lshlrev_b32 v24, 29, v21
	v_dual_lshlrev_b32 v25, 28, v21 :: v_dual_lshlrev_b32 v26, 27, v21
	v_dual_lshlrev_b32 v27, 26, v21 :: v_dual_lshlrev_b32 v49, 25, v21
	v_lshlrev_b32_e32 v21, 24, v21
	s_delay_alu instid0(VALU_DEP_4)
	v_cmp_gt_i32_e64 s4, 0, v24
	v_not_b32_e32 v23, v24
	v_not_b32_e32 v24, v25
	v_cmp_gt_i32_e64 s5, 0, v25
	v_cmp_gt_i32_e64 s6, 0, v26
	v_not_b32_e32 v25, v26
	v_not_b32_e32 v26, v27
	v_dual_ashrrev_i32 v23, 31, v23 :: v_dual_bitop2_b32 v20, vcc_lo, v20 bitop3:0x14
	v_dual_ashrrev_i32 v24, 31, v24 :: v_dual_bitop2_b32 v22, s3, v22 bitop3:0x14
	v_cmp_gt_i32_e64 s7, 0, v27
	v_not_b32_e32 v27, v49
	v_cmp_gt_i32_e64 s9, 0, v21
	v_not_b32_e32 v21, v21
	v_dual_ashrrev_i32 v25, 31, v25 :: v_dual_ashrrev_i32 v26, 31, v26
	v_xor_b32_e32 v23, s4, v23
	v_xor_b32_e32 v24, s5, v24
	v_bitop3_b32 v20, v20, v22, exec_lo bitop3:0x80
	v_cmp_gt_i32_e64 s8, 0, v49
	v_dual_ashrrev_i32 v22, 31, v27 :: v_dual_ashrrev_i32 v21, 31, v21
	v_xor_b32_e32 v25, s6, v25
	v_xor_b32_e32 v26, s7, v26
	v_bitop3_b32 v20, v20, v24, v23 bitop3:0x80
	s_delay_alu instid0(VALU_DEP_4) | instskip(SKIP_3) | instid1(VALU_DEP_1)
	v_xor_b32_e32 v22, s8, v22
	v_xor_b32_e32 v21, s9, v21
	ds_load_b32 v49, v51 offset:64
	v_bitop3_b32 v20, v20, v26, v25 bitop3:0x80
	; wave barrier
	v_bitop3_b32 v20, v20, v21, v22 bitop3:0x80
	s_delay_alu instid0(VALU_DEP_1) | instskip(SKIP_1) | instid1(VALU_DEP_2)
	v_mbcnt_lo_u32_b32 v50, v20, 0
	v_cmp_ne_u32_e64 s3, 0, v20
	v_cmp_eq_u32_e32 vcc_lo, 0, v50
	s_and_b32 s4, s3, vcc_lo
	s_delay_alu instid0(SALU_CYCLE_1)
	s_and_saveexec_b32 s3, s4
	s_cbranch_execz .LBB1518_37
; %bb.36:
	s_wait_dscnt 0x0
	v_bcnt_u32_b32 v20, v20, v49
	ds_store_b32 v51, v20 offset:64
.LBB1518_37:
	s_or_b32 exec_lo, exec_lo, s3
	; wave barrier
	s_wait_dscnt 0x0
	s_barrier_signal -1
	s_barrier_wait -1
	ds_load_2addr_b32 v[26:27], v3 offset0:16 offset1:17
	ds_load_2addr_b32 v[24:25], v3 offset0:18 offset1:19
	;; [unrolled: 1-line block ×4, first 2 shown]
	ds_load_b32 v52, v3 offset:96
	v_bfe_i32 v55, v33, 4, 1
	s_mov_b32 s7, exec_lo
	s_wait_dscnt 0x3
	v_add3_u32 v53, v27, v26, v24
	s_wait_dscnt 0x2
	s_delay_alu instid0(VALU_DEP_1) | instskip(SKIP_1) | instid1(VALU_DEP_1)
	v_add3_u32 v53, v53, v25, v22
	s_wait_dscnt 0x1
	v_add3_u32 v53, v53, v23, v20
	s_wait_dscnt 0x0
	s_delay_alu instid0(VALU_DEP_1) | instskip(SKIP_1) | instid1(VALU_DEP_2)
	v_add3_u32 v52, v53, v21, v52
	v_and_b32_e32 v53, 15, v33
	v_mov_b32_dpp v54, v52 row_shr:1 row_mask:0xf bank_mask:0xf
	s_delay_alu instid0(VALU_DEP_2) | instskip(NEXT) | instid1(VALU_DEP_2)
	v_cmp_eq_u32_e32 vcc_lo, 0, v53
	v_cndmask_b32_e64 v54, v54, 0, vcc_lo
	s_delay_alu instid0(VALU_DEP_1) | instskip(SKIP_3) | instid1(VALU_DEP_4)
	v_add_nc_u32_e32 v52, v54, v52
	v_cmp_lt_u32_e64 s3, 1, v53
	v_cmp_lt_u32_e64 s4, 3, v53
	;; [unrolled: 1-line block ×3, first 2 shown]
	v_mov_b32_dpp v54, v52 row_shr:2 row_mask:0xf bank_mask:0xf
	s_delay_alu instid0(VALU_DEP_1) | instskip(NEXT) | instid1(VALU_DEP_1)
	v_cndmask_b32_e64 v54, 0, v54, s3
	v_add_nc_u32_e32 v52, v52, v54
	s_delay_alu instid0(VALU_DEP_1) | instskip(NEXT) | instid1(VALU_DEP_1)
	v_mov_b32_dpp v54, v52 row_shr:4 row_mask:0xf bank_mask:0xf
	v_cndmask_b32_e64 v54, 0, v54, s4
	s_delay_alu instid0(VALU_DEP_1) | instskip(NEXT) | instid1(VALU_DEP_1)
	v_add_nc_u32_e32 v52, v52, v54
	v_mov_b32_dpp v54, v52 row_shr:8 row_mask:0xf bank_mask:0xf
	s_delay_alu instid0(VALU_DEP_1) | instskip(SKIP_1) | instid1(VALU_DEP_2)
	v_cndmask_b32_e64 v53, 0, v54, s5
	v_and_b32_e32 v54, 0x3e0, v32
	v_add_nc_u32_e32 v52, v52, v53
	s_delay_alu instid0(VALU_DEP_2) | instskip(SKIP_3) | instid1(VALU_DEP_1)
	v_min_u32_e32 v54, 0x1e0, v54
	ds_swizzle_b32 v53, v52 offset:swizzle(BROADCAST,32,15)
	s_wait_dscnt 0x0
	v_dual_lshrrev_b32 v53, 5, v32 :: v_dual_bitop2_b32 v55, v55, v53 bitop3:0x40
	v_dual_add_nc_u32 v52, v52, v55 :: v_dual_bitop2_b32 v54, 31, v54 bitop3:0x54
	s_delay_alu instid0(VALU_DEP_1)
	v_cmpx_eq_u32_e64 v32, v54
; %bb.38:
	s_delay_alu instid0(VALU_DEP_3)
	v_lshlrev_b32_e32 v54, 2, v53
	ds_store_b32 v54, v52
; %bb.39:
	s_or_b32 exec_lo, exec_lo, s7
	s_delay_alu instid0(SALU_CYCLE_1)
	s_mov_b32 s7, exec_lo
	s_wait_dscnt 0x0
	s_barrier_signal -1
	s_barrier_wait -1
	v_cmpx_gt_u32_e32 16, v32
	s_cbranch_execz .LBB1518_41
; %bb.40:
	v_lshlrev_b32_e32 v54, 2, v32
	ds_load_b32 v55, v54
	s_wait_dscnt 0x0
	v_mov_b32_dpp v56, v55 row_shr:1 row_mask:0xf bank_mask:0xf
	s_delay_alu instid0(VALU_DEP_1) | instskip(NEXT) | instid1(VALU_DEP_1)
	v_cndmask_b32_e64 v56, v56, 0, vcc_lo
	v_add_nc_u32_e32 v55, v56, v55
	s_delay_alu instid0(VALU_DEP_1) | instskip(NEXT) | instid1(VALU_DEP_1)
	v_mov_b32_dpp v56, v55 row_shr:2 row_mask:0xf bank_mask:0xf
	v_cndmask_b32_e64 v56, 0, v56, s3
	s_delay_alu instid0(VALU_DEP_1) | instskip(NEXT) | instid1(VALU_DEP_1)
	v_add_nc_u32_e32 v55, v55, v56
	v_mov_b32_dpp v56, v55 row_shr:4 row_mask:0xf bank_mask:0xf
	s_delay_alu instid0(VALU_DEP_1) | instskip(NEXT) | instid1(VALU_DEP_1)
	v_cndmask_b32_e64 v56, 0, v56, s4
	v_add_nc_u32_e32 v55, v55, v56
	s_delay_alu instid0(VALU_DEP_1) | instskip(NEXT) | instid1(VALU_DEP_1)
	v_mov_b32_dpp v56, v55 row_shr:8 row_mask:0xf bank_mask:0xf
	v_cndmask_b32_e64 v56, 0, v56, s5
	s_delay_alu instid0(VALU_DEP_1)
	v_add_nc_u32_e32 v55, v55, v56
	ds_store_b32 v54, v55
.LBB1518_41:
	s_or_b32 exec_lo, exec_lo, s7
	v_mov_b32_e32 v54, 0
	s_mov_b32 s3, exec_lo
	s_wait_dscnt 0x0
	s_barrier_signal -1
	s_barrier_wait -1
	v_cmpx_lt_u32_e32 31, v32
; %bb.42:
	v_lshl_add_u32 v53, v53, 2, -4
	ds_load_b32 v54, v53
; %bb.43:
	s_or_b32 exec_lo, exec_lo, s3
	v_sub_co_u32 v53, vcc_lo, v33, 1
	s_wait_dscnt 0x0
	v_add_nc_u32_e32 v52, v54, v52
	s_delay_alu instid0(VALU_DEP_2) | instskip(NEXT) | instid1(VALU_DEP_1)
	v_cmp_gt_i32_e64 s3, 0, v53
	v_cndmask_b32_e64 v53, v53, v33, s3
	v_cmp_lt_u32_e64 s3, 0xff, v32
	s_delay_alu instid0(VALU_DEP_2) | instskip(SKIP_4) | instid1(VALU_DEP_2)
	v_lshlrev_b32_e32 v53, 2, v53
	ds_bpermute_b32 v52, v53, v52
	s_wait_dscnt 0x0
	v_cndmask_b32_e32 v52, v52, v54, vcc_lo
	v_cmp_gt_u32_e32 vcc_lo, 0x100, v32
	v_cndmask_b32_e64 v52, v52, 0, s2
	s_delay_alu instid0(VALU_DEP_1) | instskip(NEXT) | instid1(VALU_DEP_1)
	v_add_nc_u32_e32 v26, v52, v26
	v_add_nc_u32_e32 v27, v26, v27
	s_delay_alu instid0(VALU_DEP_1) | instskip(NEXT) | instid1(VALU_DEP_1)
	v_add_nc_u32_e32 v24, v27, v24
	v_add_nc_u32_e32 v25, v24, v25
	;; [unrolled: 3-line block ×4, first 2 shown]
	ds_store_2addr_b32 v3, v52, v26 offset0:16 offset1:17
	ds_store_2addr_b32 v3, v27, v24 offset0:18 offset1:19
	;; [unrolled: 1-line block ×4, first 2 shown]
	ds_store_b32 v3, v21 offset:96
	s_wait_dscnt 0x0
	s_barrier_signal -1
	s_barrier_wait -1
	ds_load_b32 v23, v28 offset:64
	ds_load_b32 v52, v29 offset:64
	;; [unrolled: 1-line block ×8, first 2 shown]
	v_mov_b64_e32 v[20:21], 0
                                        ; implicit-def: $vgpr22
	s_and_saveexec_b32 s5, vcc_lo
	s_cbranch_execz .LBB1518_47
; %bb.44:
	v_mul_u32_u24_e32 v3, 0x44, v32
	v_add_nc_u32_e32 v21, 1, v32
	s_mov_b32 s6, exec_lo
	ds_load_b32 v20, v3 offset:64
	v_mov_b32_e32 v3, 0x1000
	v_cmpx_ne_u32_e32 0x100, v21
; %bb.45:
	v_mul_u32_u24_e32 v3, 0x44, v21
	ds_load_b32 v3, v3 offset:64
; %bb.46:
	s_or_b32 exec_lo, exec_lo, s6
	s_wait_dscnt 0x0
	v_dual_mov_b32 v21, 0 :: v_dual_sub_nc_u32 v22, v3, v20
.LBB1518_47:
	s_or_b32 exec_lo, exec_lo, s5
	v_mov_b32_e32 v25, 0
	s_wait_dscnt 0x0
	s_barrier_signal -1
	s_barrier_wait -1
	s_and_saveexec_b32 s4, vcc_lo
	s_cbranch_execz .LBB1518_57
; %bb.48:
	v_lshl_add_u32 v24, s26, 8, v32
	v_dual_mov_b32 v28, 0 :: v_dual_bitop2_b32 v3, 2.0, v22 bitop3:0x54
	s_mov_b32 s5, 0
	s_mov_b32 s6, s26
	s_delay_alu instid0(VALU_DEP_2)
	v_lshl_add_u64 v[26:27], v[24:25], 2, s[10:11]
	global_store_b32 v24, v3, s[10:11] scale_offset scope:SCOPE_DEV
                                        ; implicit-def: $sgpr7
	s_branch .LBB1518_51
.LBB1518_49:                            ;   in Loop: Header=BB1518_51 Depth=1
	s_or_b32 exec_lo, exec_lo, s8
.LBB1518_50:                            ;   in Loop: Header=BB1518_51 Depth=1
	s_delay_alu instid0(SALU_CYCLE_1) | instskip(SKIP_2) | instid1(VALU_DEP_2)
	s_or_b32 exec_lo, exec_lo, s7
	v_and_b32_e32 v24, 0x3fffffff, v3
	v_cmp_gt_i32_e64 s7, -2.0, v3
	v_add_nc_u32_e32 v28, v24, v28
	s_and_b32 s8, exec_lo, s7
	s_delay_alu instid0(SALU_CYCLE_1) | instskip(NEXT) | instid1(SALU_CYCLE_1)
	s_or_b32 s5, s8, s5
	s_and_not1_b32 exec_lo, exec_lo, s5
	s_cbranch_execz .LBB1518_56
.LBB1518_51:                            ; =>This Loop Header: Depth=1
                                        ;     Child Loop BB1518_54 Depth 2
	s_or_b32 s7, s7, exec_lo
	s_cmp_eq_u32 s6, 0
	s_cbranch_scc1 .LBB1518_55
; %bb.52:                               ;   in Loop: Header=BB1518_51 Depth=1
	s_add_co_i32 s6, s6, -1
	s_mov_b32 s7, exec_lo
	s_wait_xcnt 0x0
	v_lshl_or_b32 v24, s6, 8, v32
	global_load_b32 v3, v24, s[10:11] scale_offset scope:SCOPE_DEV
	s_wait_loadcnt 0x0
	v_cmpx_gt_u32_e32 2.0, v3
	s_cbranch_execz .LBB1518_50
; %bb.53:                               ;   in Loop: Header=BB1518_51 Depth=1
	v_lshl_add_u64 v[30:31], v[24:25], 2, s[10:11]
	s_mov_b32 s8, 0
.LBB1518_54:                            ;   Parent Loop BB1518_51 Depth=1
                                        ; =>  This Inner Loop Header: Depth=2
	global_load_b32 v3, v[30:31], off scope:SCOPE_DEV
	s_wait_loadcnt 0x0
	v_cmp_lt_u32_e32 vcc_lo, 0x3fffffff, v3
	s_or_b32 s8, vcc_lo, s8
	s_wait_xcnt 0x0
	s_and_not1_b32 exec_lo, exec_lo, s8
	s_cbranch_execnz .LBB1518_54
	s_branch .LBB1518_49
.LBB1518_55:                            ;   in Loop: Header=BB1518_51 Depth=1
                                        ; implicit-def: $sgpr6
	s_and_b32 s8, exec_lo, s7
	s_delay_alu instid0(SALU_CYCLE_1)
	s_or_b32 s5, s8, s5
	s_wait_xcnt 0x0
	s_and_not1_b32 exec_lo, exec_lo, s5
	s_cbranch_execnz .LBB1518_51
.LBB1518_56:
	s_or_b32 exec_lo, exec_lo, s5
	v_dual_add_nc_u32 v3, v28, v22 :: v_dual_mov_b32 v29, 0
	s_delay_alu instid0(VALU_DEP_1)
	v_or_b32_e32 v3, 0x80000000, v3
	global_store_b32 v[26:27], v3, off scope:SCOPE_DEV
	global_load_b64 v[24:25], v32, s[12:13] scale_offset
	s_wait_xcnt 0x1
	v_sub_nc_u64_e32 v[26:27], v[28:29], v[20:21]
	s_wait_loadcnt 0x0
	s_delay_alu instid0(VALU_DEP_1)
	v_add_nc_u64_e32 v[24:25], v[26:27], v[24:25]
	ds_store_b64 v2, v[24:25]
.LBB1518_57:
	s_wait_xcnt 0x0
	s_or_b32 exec_lo, exec_lo, s4
	v_dual_mov_b32 v3, 0 :: v_dual_add_nc_u32 v1, v23, v1
	v_add3_u32 v23, v47, v48, v46
	v_add3_u32 v26, v44, v45, v43
	;; [unrolled: 1-line block ×3, first 2 shown]
	s_delay_alu instid0(VALU_DEP_4)
	v_add_nc_u64_e32 v[24:25], s[18:19], v[2:3]
	v_add3_u32 v3, v50, v51, v49
	v_add3_u32 v28, v39, v54, v38
	;; [unrolled: 1-line block ×4, first 2 shown]
	v_mov_b32_e32 v31, v32
	s_mov_b64 s[4:5], 0x8000000000000000
	v_add_nc_u64_e32 v[24:25], 0x3000, v[24:25]
	s_mov_b32 s7, -1
	s_mov_b32 s6, 0
	s_branch .LBB1518_59
.LBB1518_58:                            ;   in Loop: Header=BB1518_59 Depth=1
	s_wait_xcnt 0x0
	s_or_b32 exec_lo, exec_lo, s8
	v_add_nc_u64_e32 v[24:25], 0x4000, v[24:25]
	v_add_nc_u32_e32 v31, 0x800, v31
	s_xor_b32 s7, s7, -1
	s_addk_co_i32 s6, 0xf800
	s_and_b32 vcc_lo, exec_lo, s7
	s_mov_b32 s7, 0
	s_wait_storecnt 0x0
	s_barrier_signal -1
	s_barrier_wait -1
	s_cbranch_vccnz .LBB1518_67
.LBB1518_59:                            ; =>This Inner Loop Header: Depth=1
	v_add_min_u32_e64 v34, v1, s6, 0x800
	v_add_min_u32_e64 v35, v30, s6, 0x800
	;; [unrolled: 1-line block ×5, first 2 shown]
	s_delay_alu instid0(VALU_DEP_4) | instskip(NEXT) | instid1(VALU_DEP_3)
	v_dual_lshlrev_b32 v34, 3, v34 :: v_dual_lshlrev_b32 v35, 3, v35
	v_dual_lshlrev_b32 v36, 3, v36 :: v_dual_lshlrev_b32 v37, 3, v37
	s_mov_b32 s8, exec_lo
	ds_store_b64 v34, v[4:5] offset:2048
	ds_store_b64 v35, v[6:7] offset:2048
	;; [unrolled: 1-line block ×3, first 2 shown]
	v_add_min_u32_e64 v34, v26, s6, 0x800
	v_add_min_u32_e64 v35, v23, s6, 0x800
	;; [unrolled: 1-line block ×3, first 2 shown]
	v_lshlrev_b32_e32 v38, 3, v38
	s_delay_alu instid0(VALU_DEP_3) | instskip(NEXT) | instid1(VALU_DEP_3)
	v_dual_lshlrev_b32 v34, 3, v34 :: v_dual_lshlrev_b32 v35, 3, v35
	v_lshlrev_b32_e32 v36, 3, v36
	ds_store_b64 v37, v[10:11] offset:2048
	ds_store_b64 v38, v[12:13] offset:2048
	;; [unrolled: 1-line block ×5, first 2 shown]
	s_wait_storecnt_dscnt 0x0
	s_barrier_signal -1
	s_barrier_wait -1
	v_cmpx_gt_u32_e64 s28, v31
	s_cbranch_execz .LBB1518_61
; %bb.60:                               ;   in Loop: Header=BB1518_59 Depth=1
	ds_load_b64 v[34:35], v2 offset:2048
	s_wait_dscnt 0x0
	v_cmp_ne_u64_e32 vcc_lo, s[4:5], v[34:35]
	v_ashrrev_i32_e32 v38, 31, v35
	s_delay_alu instid0(VALU_DEP_1) | instskip(SKIP_3) | instid1(VALU_DEP_4)
	v_not_b32_e32 v38, v38
	v_cndmask_b32_e32 v37, 0x7fffffff, v35, vcc_lo
	v_cndmask_b32_e32 v36, -1, v34, vcc_lo
	v_cmp_gt_i64_e32 vcc_lo, 0, v[34:35]
	v_xor_b32_e32 v34, v38, v34
	s_delay_alu instid0(VALU_DEP_3) | instskip(SKIP_1) | instid1(VALU_DEP_2)
	v_lshrrev_b64 v[36:37], s20, v[36:37]
	v_cndmask_b32_e64 v39, 0x7fffffff, 0, vcc_lo
	v_and_b32_e32 v36, s30, v36
	s_delay_alu instid0(VALU_DEP_1)
	v_dual_lshlrev_b32 v36, 3, v36 :: v_dual_bitop2_b32 v35, v39, v35 bitop3:0x14
	ds_load_b64 v[36:37], v36
	s_wait_dscnt 0x0
	v_lshl_add_u64 v[36:37], v[36:37], 3, v[24:25]
	global_store_b64 v[36:37], v[34:35], off offset:-12288
.LBB1518_61:                            ;   in Loop: Header=BB1518_59 Depth=1
	s_wait_xcnt 0x0
	s_or_b32 exec_lo, exec_lo, s8
	v_add_nc_u32_e32 v34, 0x200, v31
	s_mov_b32 s8, exec_lo
	s_delay_alu instid0(VALU_DEP_1)
	v_cmpx_gt_u32_e64 s28, v34
	s_cbranch_execz .LBB1518_63
; %bb.62:                               ;   in Loop: Header=BB1518_59 Depth=1
	ds_load_b64 v[34:35], v2 offset:6144
	s_wait_dscnt 0x0
	v_cmp_ne_u64_e32 vcc_lo, s[4:5], v[34:35]
	v_ashrrev_i32_e32 v38, 31, v35
	s_delay_alu instid0(VALU_DEP_1) | instskip(SKIP_3) | instid1(VALU_DEP_4)
	v_not_b32_e32 v38, v38
	v_cndmask_b32_e32 v37, 0x7fffffff, v35, vcc_lo
	v_cndmask_b32_e32 v36, -1, v34, vcc_lo
	v_cmp_gt_i64_e32 vcc_lo, 0, v[34:35]
	v_xor_b32_e32 v34, v38, v34
	s_delay_alu instid0(VALU_DEP_3) | instskip(SKIP_1) | instid1(VALU_DEP_2)
	v_lshrrev_b64 v[36:37], s20, v[36:37]
	v_cndmask_b32_e64 v39, 0x7fffffff, 0, vcc_lo
	v_and_b32_e32 v36, s30, v36
	s_delay_alu instid0(VALU_DEP_1)
	v_dual_lshlrev_b32 v36, 3, v36 :: v_dual_bitop2_b32 v35, v39, v35 bitop3:0x14
	ds_load_b64 v[36:37], v36
	s_wait_dscnt 0x0
	v_lshl_add_u64 v[36:37], v[36:37], 3, v[24:25]
	global_store_b64 v[36:37], v[34:35], off offset:-8192
.LBB1518_63:                            ;   in Loop: Header=BB1518_59 Depth=1
	s_wait_xcnt 0x0
	s_or_b32 exec_lo, exec_lo, s8
	v_add_nc_u32_e32 v34, 0x400, v31
	s_mov_b32 s8, exec_lo
	s_delay_alu instid0(VALU_DEP_1)
	;; [unrolled: 29-line block ×3, first 2 shown]
	v_cmpx_gt_u32_e64 s28, v34
	s_cbranch_execz .LBB1518_58
; %bb.66:                               ;   in Loop: Header=BB1518_59 Depth=1
	ds_load_b64 v[34:35], v2 offset:14336
	s_wait_dscnt 0x0
	v_cmp_ne_u64_e32 vcc_lo, s[4:5], v[34:35]
	v_ashrrev_i32_e32 v38, 31, v35
	s_delay_alu instid0(VALU_DEP_1) | instskip(SKIP_3) | instid1(VALU_DEP_4)
	v_not_b32_e32 v38, v38
	v_cndmask_b32_e32 v37, 0x7fffffff, v35, vcc_lo
	v_cndmask_b32_e32 v36, -1, v34, vcc_lo
	v_cmp_gt_i64_e32 vcc_lo, 0, v[34:35]
	v_xor_b32_e32 v34, v38, v34
	s_delay_alu instid0(VALU_DEP_3) | instskip(SKIP_1) | instid1(VALU_DEP_2)
	v_lshrrev_b64 v[36:37], s20, v[36:37]
	v_cndmask_b32_e64 v39, 0x7fffffff, 0, vcc_lo
	v_and_b32_e32 v36, s30, v36
	s_delay_alu instid0(VALU_DEP_1)
	v_dual_lshlrev_b32 v36, 3, v36 :: v_dual_bitop2_b32 v35, v39, v35 bitop3:0x14
	ds_load_b64 v[36:37], v36
	s_wait_dscnt 0x0
	v_lshl_add_u64 v[36:37], v[36:37], 3, v[24:25]
	global_store_b64 v[36:37], v[34:35], off
	s_branch .LBB1518_58
.LBB1518_67:
	s_add_co_i32 s29, s29, -1
	s_delay_alu instid0(SALU_CYCLE_1) | instskip(SKIP_2) | instid1(SALU_CYCLE_1)
	s_cmp_eq_u32 s26, s29
	s_cselect_b32 s4, -1, 0
	s_xor_b32 s3, s3, -1
	s_and_b32 s4, s3, s4
	s_delay_alu instid0(SALU_CYCLE_1)
	s_and_saveexec_b32 s3, s4
	s_cbranch_execz .LBB1518_69
; %bb.68:
	ds_load_b64 v[4:5], v2
	v_mov_b32_e32 v23, 0
	s_delay_alu instid0(VALU_DEP_1) | instskip(SKIP_1) | instid1(VALU_DEP_1)
	v_add_nc_u64_e32 v[6:7], v[20:21], v[22:23]
	s_wait_dscnt 0x0
	v_add_nc_u64_e32 v[4:5], v[6:7], v[4:5]
	global_store_b64 v32, v[4:5], s[14:15] scale_offset
.LBB1518_69:
	s_wait_xcnt 0x0
	s_or_b32 exec_lo, exec_lo, s3
	s_mov_b32 s4, 0
.LBB1518_70:
	s_delay_alu instid0(SALU_CYCLE_1)
	s_and_b32 vcc_lo, exec_lo, s4
	s_cbranch_vccz .LBB1518_111
; %bb.71:
	s_lshl_b32 s4, s26, 12
	s_mov_b32 s5, 0
	v_dual_mov_b32 v21, 0 :: v_dual_lshlrev_b32 v20, 3, v33
	s_lshl_b64 s[6:7], s[4:5], 3
	v_lshlrev_b32_e32 v1, 6, v32
	s_add_nc_u64 s[6:7], s[16:17], s[6:7]
	s_bfe_u32 s3, ttmp6, 0x4000c
	v_add_nc_u64_e32 v[4:5], s[6:7], v[20:21]
	s_add_co_i32 s3, s3, 1
	v_and_b32_e32 v20, 0xf800, v1
	s_and_b32 s4, ttmp6, 15
	s_mul_i32 s3, ttmp9, s3
	s_mov_b64 s[8:9], 0x8000000000000000
	s_add_co_i32 s4, s4, s3
	v_add_nc_u64_e32 v[4:5], v[4:5], v[20:21]
	s_cmp_eq_u32 s27, 0
	v_bfe_u32 v20, v0, 20, 10
	s_cselect_b32 s3, ttmp9, s4
	s_clause 0x7
	global_load_b64 v[22:23], v[4:5], off
	global_load_b64 v[18:19], v[4:5], off offset:256
	global_load_b64 v[6:7], v[4:5], off offset:512
	;; [unrolled: 1-line block ×7, first 2 shown]
	s_clause 0x1
	s_load_b32 s16, s[0:1], 0x58
	s_load_u16 s6, s[0:1], 0x66
	s_wait_kmcnt 0x0
	s_cmp_lt_u32 s3, s16
	s_cselect_b32 s4, 12, 18
	s_lshl_b32 s17, -1, s21
	s_add_nc_u64 s[0:1], s[24:25], s[4:5]
	s_load_u16 s0, s[0:1], 0x0
	s_wait_loadcnt 0x7
	v_cmp_gt_i64_e32 vcc_lo, 0, v[22:23]
	v_ashrrev_i32_e32 v1, 31, v23
	s_delay_alu instid0(VALU_DEP_1) | instskip(SKIP_1) | instid1(VALU_DEP_2)
	v_not_b32_e32 v1, v1
	v_cndmask_b32_e64 v3, 0x7fffffff, 0, vcc_lo
	v_xor_b32_e32 v4, v1, v22
	s_delay_alu instid0(VALU_DEP_2) | instskip(SKIP_1) | instid1(VALU_DEP_2)
	v_xor_b32_e32 v5, v3, v23
	v_bfe_u32 v3, v0, 10, 10
	v_cmp_ne_u64_e32 vcc_lo, s[8:9], v[4:5]
	v_cndmask_b32_e32 v23, 0x7fffffff, v5, vcc_lo
	v_cndmask_b32_e32 v22, -1, v4, vcc_lo
	s_delay_alu instid0(VALU_DEP_1) | instskip(SKIP_1) | instid1(VALU_DEP_2)
	v_lshrrev_b64 v[0:1], s20, v[22:23]
	v_mad_u32_u24 v1, v20, s6, v3
	v_bitop3_b32 v3, v0, 1, s17 bitop3:0x40
	v_bitop3_b32 v22, v0, s17, v0 bitop3:0x30
	s_wait_kmcnt 0x0
	s_delay_alu instid0(VALU_DEP_3) | instskip(SKIP_2) | instid1(VALU_DEP_1)
	v_mad_u32 v0, v1, s0, v32
	s_not_b32 s17, s17
	v_add_co_u32 v1, s0, v3, -1
	v_cndmask_b32_e64 v3, 0, 1, s0
	v_dual_lshlrev_b32 v20, 30, v22 :: v_dual_lshlrev_b32 v23, 29, v22
	v_dual_lshlrev_b32 v25, 27, v22 :: v_dual_lshlrev_b32 v24, 28, v22
	s_delay_alu instid0(VALU_DEP_3) | instskip(NEXT) | instid1(VALU_DEP_3)
	v_cmp_ne_u32_e32 vcc_lo, 0, v3
	v_not_b32_e32 v3, v20
	v_dual_lshlrev_b32 v26, 26, v22 :: v_dual_lshlrev_b32 v27, 25, v22
	v_lshlrev_b32_e32 v28, 24, v22
	v_cmp_gt_i32_e64 s0, 0, v20
	v_cmp_gt_i32_e64 s1, 0, v23
	v_not_b32_e32 v20, v23
	v_not_b32_e32 v23, v24
	v_ashrrev_i32_e32 v3, 31, v3
	v_cmp_gt_i32_e64 s3, 0, v24
	v_cmp_gt_i32_e64 s4, 0, v25
	v_not_b32_e32 v24, v25
	v_not_b32_e32 v25, v26
	v_dual_ashrrev_i32 v20, 31, v20 :: v_dual_bitop2_b32 v1, vcc_lo, v1 bitop3:0x14
	s_delay_alu instid0(VALU_DEP_3) | instskip(NEXT) | instid1(VALU_DEP_3)
	v_dual_ashrrev_i32 v23, 31, v23 :: v_dual_ashrrev_i32 v24, 31, v24
	v_dual_ashrrev_i32 v25, 31, v25 :: v_dual_bitop2_b32 v3, s0, v3 bitop3:0x14
	v_cmp_gt_i32_e64 s5, 0, v26
	v_cmp_gt_i32_e64 s6, 0, v27
	v_not_b32_e32 v26, v27
	v_not_b32_e32 v27, v28
	v_xor_b32_e32 v20, s1, v20
	v_dual_lshrrev_b32 v0, 5, v0 :: v_dual_bitop2_b32 v23, s3, v23 bitop3:0x14
	v_bitop3_b32 v1, v1, v3, exec_lo bitop3:0x80
	v_cmp_gt_i32_e64 s7, 0, v28
	v_dual_ashrrev_i32 v3, 31, v26 :: v_dual_ashrrev_i32 v26, 31, v27
	v_xor_b32_e32 v24, s4, v24
	v_xor_b32_e32 v25, s5, v25
	v_bitop3_b32 v1, v1, v23, v20 bitop3:0x80
	s_delay_alu instid0(VALU_DEP_4) | instskip(SKIP_2) | instid1(VALU_DEP_4)
	v_xor_b32_e32 v3, s6, v3
	v_dual_lshlrev_b32 v20, 2, v0 :: v_dual_bitop2_b32 v23, s7, v26 bitop3:0x14
	v_mul_u32_u24_e32 v26, 36, v32
	v_bitop3_b32 v1, v1, v25, v24 bitop3:0x80
	ds_store_2addr_b32 v26, v21, v21 offset0:16 offset1:17
	ds_store_2addr_b32 v26, v21, v21 offset0:18 offset1:19
	;; [unrolled: 1-line block ×4, first 2 shown]
	v_bitop3_b32 v0, v1, v23, v3 bitop3:0x80
	v_mad_u32 v27, 0x44, v22, v20
	ds_store_b32 v26, v21 offset:96
	s_wait_storecnt 0x0
	s_wait_loadcnt_dscnt 0x0
	s_barrier_signal -1
	v_mbcnt_lo_u32_b32 v3, v0, 0
	v_cmp_ne_u32_e64 s0, 0, v0
	s_barrier_wait -1
	s_delay_alu instid0(VALU_DEP_2) | instskip(SKIP_1) | instid1(SALU_CYCLE_1)
	v_cmp_eq_u32_e32 vcc_lo, 0, v3
	; wave barrier
	s_and_b32 s1, s0, vcc_lo
	s_and_saveexec_b32 s0, s1
; %bb.72:
	v_bcnt_u32_b32 v0, v0, 0
	ds_store_b32 v27, v0 offset:64
; %bb.73:
	s_or_b32 exec_lo, exec_lo, s0
	v_cmp_gt_i64_e32 vcc_lo, 0, v[18:19]
	; wave barrier
	v_cndmask_b32_e64 v1, 0x7fffffff, 0, vcc_lo
	s_delay_alu instid0(VALU_DEP_1) | instskip(NEXT) | instid1(VALU_DEP_1)
	v_dual_ashrrev_i32 v0, 31, v19 :: v_dual_bitop2_b32 v1, v1, v19 bitop3:0x14
	v_not_b32_e32 v0, v0
	s_delay_alu instid0(VALU_DEP_1) | instskip(NEXT) | instid1(VALU_DEP_1)
	v_xor_b32_e32 v0, v0, v18
	v_cmp_ne_u64_e32 vcc_lo, s[8:9], v[0:1]
	v_cndmask_b32_e32 v19, 0x7fffffff, v1, vcc_lo
	v_cndmask_b32_e32 v18, -1, v0, vcc_lo
	s_delay_alu instid0(VALU_DEP_1) | instskip(NEXT) | instid1(VALU_DEP_1)
	v_lshrrev_b64 v[18:19], s20, v[18:19]
	v_and_b32_e32 v19, s17, v18
	v_bitop3_b32 v18, v18, 1, s17 bitop3:0x80
	s_delay_alu instid0(VALU_DEP_2) | instskip(NEXT) | instid1(VALU_DEP_2)
	v_lshlrev_b32_e32 v22, 30, v19
	v_add_co_u32 v18, s0, v18, -1
	s_delay_alu instid0(VALU_DEP_1) | instskip(NEXT) | instid1(VALU_DEP_3)
	v_cndmask_b32_e64 v21, 0, 1, s0
	v_cmp_gt_i32_e64 s0, 0, v22
	s_delay_alu instid0(VALU_DEP_2) | instskip(SKIP_1) | instid1(VALU_DEP_1)
	v_cmp_ne_u32_e32 vcc_lo, 0, v21
	v_not_b32_e32 v21, v22
	v_dual_ashrrev_i32 v21, 31, v21 :: v_dual_bitop2_b32 v18, vcc_lo, v18 bitop3:0x14
	v_dual_lshlrev_b32 v23, 29, v19 :: v_dual_lshlrev_b32 v24, 28, v19
	v_dual_lshlrev_b32 v25, 27, v19 :: v_dual_lshlrev_b32 v29, 26, v19
	v_lshlrev_b32_e32 v30, 25, v19
	s_delay_alu instid0(VALU_DEP_3)
	v_cmp_gt_i32_e64 s1, 0, v23
	v_not_b32_e32 v22, v23
	v_not_b32_e32 v23, v24
	v_mad_u32 v28, 0x44, v19, v20
	v_lshlrev_b32_e32 v19, 24, v19
	v_cmp_gt_i32_e64 s3, 0, v24
	v_cmp_gt_i32_e64 s4, 0, v25
	v_not_b32_e32 v24, v25
	v_not_b32_e32 v25, v29
	v_dual_ashrrev_i32 v22, 31, v22 :: v_dual_ashrrev_i32 v23, 31, v23
	v_xor_b32_e32 v21, s0, v21
	v_cmp_gt_i32_e64 s5, 0, v29
	v_not_b32_e32 v29, v30
	v_cmp_gt_i32_e64 s7, 0, v19
	v_not_b32_e32 v19, v19
	v_dual_ashrrev_i32 v24, 31, v24 :: v_dual_ashrrev_i32 v25, 31, v25
	v_xor_b32_e32 v22, s1, v22
	v_xor_b32_e32 v23, s3, v23
	v_bitop3_b32 v18, v18, v21, exec_lo bitop3:0x80
	v_cmp_gt_i32_e64 s6, 0, v30
	v_dual_ashrrev_i32 v21, 31, v29 :: v_dual_ashrrev_i32 v19, 31, v19
	v_xor_b32_e32 v24, s4, v24
	v_xor_b32_e32 v25, s5, v25
	v_bitop3_b32 v18, v18, v23, v22 bitop3:0x80
	s_delay_alu instid0(VALU_DEP_4) | instskip(SKIP_3) | instid1(VALU_DEP_1)
	v_xor_b32_e32 v21, s6, v21
	v_xor_b32_e32 v19, s7, v19
	ds_load_b32 v30, v28 offset:64
	v_bitop3_b32 v18, v18, v25, v24 bitop3:0x80
	; wave barrier
	v_bitop3_b32 v18, v18, v19, v21 bitop3:0x80
	s_delay_alu instid0(VALU_DEP_1) | instskip(SKIP_1) | instid1(VALU_DEP_2)
	v_mbcnt_lo_u32_b32 v31, v18, 0
	v_cmp_ne_u32_e64 s0, 0, v18
	v_cmp_eq_u32_e32 vcc_lo, 0, v31
	s_and_b32 s1, s0, vcc_lo
	s_delay_alu instid0(SALU_CYCLE_1)
	s_and_saveexec_b32 s0, s1
	s_cbranch_execz .LBB1518_75
; %bb.74:
	s_wait_dscnt 0x0
	v_bcnt_u32_b32 v18, v18, v30
	ds_store_b32 v28, v18 offset:64
.LBB1518_75:
	s_or_b32 exec_lo, exec_lo, s0
	v_cmp_gt_i64_e32 vcc_lo, 0, v[6:7]
	; wave barrier
	v_cndmask_b32_e64 v19, 0x7fffffff, 0, vcc_lo
	s_delay_alu instid0(VALU_DEP_1) | instskip(NEXT) | instid1(VALU_DEP_1)
	v_dual_ashrrev_i32 v18, 31, v7 :: v_dual_bitop2_b32 v7, v19, v7 bitop3:0x14
	v_not_b32_e32 v18, v18
	s_delay_alu instid0(VALU_DEP_1) | instskip(NEXT) | instid1(VALU_DEP_1)
	v_xor_b32_e32 v6, v18, v6
	v_cmp_ne_u64_e32 vcc_lo, s[8:9], v[6:7]
	v_cndmask_b32_e32 v19, 0x7fffffff, v7, vcc_lo
	v_cndmask_b32_e32 v18, -1, v6, vcc_lo
	s_delay_alu instid0(VALU_DEP_1) | instskip(NEXT) | instid1(VALU_DEP_1)
	v_lshrrev_b64 v[18:19], s20, v[18:19]
	v_and_b32_e32 v19, s17, v18
	v_bitop3_b32 v18, v18, 1, s17 bitop3:0x80
	s_delay_alu instid0(VALU_DEP_2) | instskip(NEXT) | instid1(VALU_DEP_2)
	v_lshlrev_b32_e32 v22, 30, v19
	v_add_co_u32 v18, s0, v18, -1
	s_delay_alu instid0(VALU_DEP_1) | instskip(NEXT) | instid1(VALU_DEP_3)
	v_cndmask_b32_e64 v21, 0, 1, s0
	v_cmp_gt_i32_e64 s0, 0, v22
	s_delay_alu instid0(VALU_DEP_2) | instskip(SKIP_1) | instid1(VALU_DEP_1)
	v_cmp_ne_u32_e32 vcc_lo, 0, v21
	v_not_b32_e32 v21, v22
	v_dual_ashrrev_i32 v21, 31, v21 :: v_dual_bitop2_b32 v18, vcc_lo, v18 bitop3:0x14
	v_dual_lshlrev_b32 v23, 29, v19 :: v_dual_lshlrev_b32 v24, 28, v19
	v_dual_lshlrev_b32 v25, 27, v19 :: v_dual_lshlrev_b32 v34, 26, v19
	v_lshlrev_b32_e32 v35, 25, v19
	s_delay_alu instid0(VALU_DEP_3)
	v_cmp_gt_i32_e64 s1, 0, v23
	v_not_b32_e32 v22, v23
	v_not_b32_e32 v23, v24
	v_mad_u32 v29, 0x44, v19, v20
	v_lshlrev_b32_e32 v19, 24, v19
	v_cmp_gt_i32_e64 s3, 0, v24
	v_cmp_gt_i32_e64 s4, 0, v25
	v_not_b32_e32 v24, v25
	v_not_b32_e32 v25, v34
	v_dual_ashrrev_i32 v22, 31, v22 :: v_dual_ashrrev_i32 v23, 31, v23
	v_xor_b32_e32 v21, s0, v21
	v_cmp_gt_i32_e64 s5, 0, v34
	v_not_b32_e32 v34, v35
	v_cmp_gt_i32_e64 s7, 0, v19
	v_not_b32_e32 v19, v19
	v_dual_ashrrev_i32 v24, 31, v24 :: v_dual_ashrrev_i32 v25, 31, v25
	v_xor_b32_e32 v22, s1, v22
	v_xor_b32_e32 v23, s3, v23
	v_bitop3_b32 v18, v18, v21, exec_lo bitop3:0x80
	v_cmp_gt_i32_e64 s6, 0, v35
	v_dual_ashrrev_i32 v21, 31, v34 :: v_dual_ashrrev_i32 v19, 31, v19
	v_xor_b32_e32 v24, s4, v24
	v_xor_b32_e32 v25, s5, v25
	v_bitop3_b32 v18, v18, v23, v22 bitop3:0x80
	s_delay_alu instid0(VALU_DEP_4) | instskip(SKIP_3) | instid1(VALU_DEP_1)
	v_xor_b32_e32 v21, s6, v21
	v_xor_b32_e32 v19, s7, v19
	ds_load_b32 v34, v29 offset:64
	v_bitop3_b32 v18, v18, v25, v24 bitop3:0x80
	; wave barrier
	v_bitop3_b32 v18, v18, v19, v21 bitop3:0x80
	s_delay_alu instid0(VALU_DEP_1) | instskip(SKIP_1) | instid1(VALU_DEP_2)
	v_mbcnt_lo_u32_b32 v35, v18, 0
	v_cmp_ne_u32_e64 s0, 0, v18
	v_cmp_eq_u32_e32 vcc_lo, 0, v35
	s_and_b32 s1, s0, vcc_lo
	s_delay_alu instid0(SALU_CYCLE_1)
	s_and_saveexec_b32 s0, s1
	s_cbranch_execz .LBB1518_77
; %bb.76:
	s_wait_dscnt 0x0
	v_bcnt_u32_b32 v18, v18, v34
	ds_store_b32 v29, v18 offset:64
.LBB1518_77:
	s_or_b32 exec_lo, exec_lo, s0
	v_cmp_gt_i64_e32 vcc_lo, 0, v[8:9]
	; wave barrier
	v_cndmask_b32_e64 v19, 0x7fffffff, 0, vcc_lo
	s_delay_alu instid0(VALU_DEP_1) | instskip(NEXT) | instid1(VALU_DEP_1)
	v_dual_ashrrev_i32 v18, 31, v9 :: v_dual_bitop2_b32 v9, v19, v9 bitop3:0x14
	v_not_b32_e32 v18, v18
	s_delay_alu instid0(VALU_DEP_1) | instskip(NEXT) | instid1(VALU_DEP_1)
	v_xor_b32_e32 v8, v18, v8
	v_cmp_ne_u64_e32 vcc_lo, s[8:9], v[8:9]
	v_cndmask_b32_e32 v19, 0x7fffffff, v9, vcc_lo
	v_cndmask_b32_e32 v18, -1, v8, vcc_lo
	s_delay_alu instid0(VALU_DEP_1) | instskip(NEXT) | instid1(VALU_DEP_1)
	v_lshrrev_b64 v[18:19], s20, v[18:19]
	v_and_b32_e32 v19, s17, v18
	v_bitop3_b32 v18, v18, 1, s17 bitop3:0x80
	s_delay_alu instid0(VALU_DEP_2) | instskip(NEXT) | instid1(VALU_DEP_2)
	v_lshlrev_b32_e32 v22, 30, v19
	v_add_co_u32 v18, s0, v18, -1
	s_delay_alu instid0(VALU_DEP_1) | instskip(NEXT) | instid1(VALU_DEP_3)
	v_cndmask_b32_e64 v21, 0, 1, s0
	v_cmp_gt_i32_e64 s0, 0, v22
	s_delay_alu instid0(VALU_DEP_2) | instskip(SKIP_1) | instid1(VALU_DEP_1)
	v_cmp_ne_u32_e32 vcc_lo, 0, v21
	v_not_b32_e32 v21, v22
	v_dual_ashrrev_i32 v21, 31, v21 :: v_dual_bitop2_b32 v18, vcc_lo, v18 bitop3:0x14
	v_dual_lshlrev_b32 v23, 29, v19 :: v_dual_lshlrev_b32 v24, 28, v19
	v_dual_lshlrev_b32 v25, 27, v19 :: v_dual_lshlrev_b32 v36, 26, v19
	v_lshlrev_b32_e32 v37, 25, v19
	s_delay_alu instid0(VALU_DEP_3)
	v_cmp_gt_i32_e64 s1, 0, v23
	v_not_b32_e32 v22, v23
	v_not_b32_e32 v23, v24
	v_mad_u32 v38, 0x44, v19, v20
	v_lshlrev_b32_e32 v19, 24, v19
	v_cmp_gt_i32_e64 s3, 0, v24
	v_cmp_gt_i32_e64 s4, 0, v25
	v_not_b32_e32 v24, v25
	v_not_b32_e32 v25, v36
	v_dual_ashrrev_i32 v22, 31, v22 :: v_dual_ashrrev_i32 v23, 31, v23
	v_xor_b32_e32 v21, s0, v21
	v_cmp_gt_i32_e64 s5, 0, v36
	v_not_b32_e32 v36, v37
	v_cmp_gt_i32_e64 s7, 0, v19
	v_not_b32_e32 v19, v19
	v_dual_ashrrev_i32 v24, 31, v24 :: v_dual_ashrrev_i32 v25, 31, v25
	v_xor_b32_e32 v22, s1, v22
	v_xor_b32_e32 v23, s3, v23
	v_bitop3_b32 v18, v18, v21, exec_lo bitop3:0x80
	v_cmp_gt_i32_e64 s6, 0, v37
	v_dual_ashrrev_i32 v21, 31, v36 :: v_dual_ashrrev_i32 v19, 31, v19
	v_xor_b32_e32 v24, s4, v24
	v_xor_b32_e32 v25, s5, v25
	v_bitop3_b32 v18, v18, v23, v22 bitop3:0x80
	s_delay_alu instid0(VALU_DEP_4) | instskip(SKIP_3) | instid1(VALU_DEP_1)
	v_xor_b32_e32 v21, s6, v21
	v_xor_b32_e32 v19, s7, v19
	ds_load_b32 v36, v38 offset:64
	v_bitop3_b32 v18, v18, v25, v24 bitop3:0x80
	; wave barrier
	v_bitop3_b32 v18, v18, v19, v21 bitop3:0x80
	s_delay_alu instid0(VALU_DEP_1) | instskip(SKIP_1) | instid1(VALU_DEP_2)
	v_mbcnt_lo_u32_b32 v37, v18, 0
	v_cmp_ne_u32_e64 s0, 0, v18
	v_cmp_eq_u32_e32 vcc_lo, 0, v37
	s_and_b32 s1, s0, vcc_lo
	s_delay_alu instid0(SALU_CYCLE_1)
	s_and_saveexec_b32 s0, s1
	s_cbranch_execz .LBB1518_79
; %bb.78:
	s_wait_dscnt 0x0
	v_bcnt_u32_b32 v18, v18, v36
	ds_store_b32 v38, v18 offset:64
.LBB1518_79:
	s_or_b32 exec_lo, exec_lo, s0
	v_cmp_gt_i64_e32 vcc_lo, 0, v[10:11]
	; wave barrier
	v_cndmask_b32_e64 v19, 0x7fffffff, 0, vcc_lo
	s_delay_alu instid0(VALU_DEP_1) | instskip(NEXT) | instid1(VALU_DEP_1)
	v_dual_ashrrev_i32 v18, 31, v11 :: v_dual_bitop2_b32 v11, v19, v11 bitop3:0x14
	v_not_b32_e32 v18, v18
	s_delay_alu instid0(VALU_DEP_1) | instskip(NEXT) | instid1(VALU_DEP_1)
	v_xor_b32_e32 v10, v18, v10
	v_cmp_ne_u64_e32 vcc_lo, s[8:9], v[10:11]
	v_cndmask_b32_e32 v19, 0x7fffffff, v11, vcc_lo
	v_cndmask_b32_e32 v18, -1, v10, vcc_lo
	s_delay_alu instid0(VALU_DEP_1) | instskip(NEXT) | instid1(VALU_DEP_1)
	v_lshrrev_b64 v[18:19], s20, v[18:19]
	v_and_b32_e32 v19, s17, v18
	v_bitop3_b32 v18, v18, 1, s17 bitop3:0x80
	s_delay_alu instid0(VALU_DEP_2) | instskip(NEXT) | instid1(VALU_DEP_2)
	v_lshlrev_b32_e32 v22, 30, v19
	v_add_co_u32 v18, s0, v18, -1
	s_delay_alu instid0(VALU_DEP_1) | instskip(NEXT) | instid1(VALU_DEP_3)
	v_cndmask_b32_e64 v21, 0, 1, s0
	v_cmp_gt_i32_e64 s0, 0, v22
	s_delay_alu instid0(VALU_DEP_2) | instskip(SKIP_1) | instid1(VALU_DEP_1)
	v_cmp_ne_u32_e32 vcc_lo, 0, v21
	v_not_b32_e32 v21, v22
	v_dual_ashrrev_i32 v21, 31, v21 :: v_dual_bitop2_b32 v18, vcc_lo, v18 bitop3:0x14
	v_dual_lshlrev_b32 v23, 29, v19 :: v_dual_lshlrev_b32 v24, 28, v19
	v_dual_lshlrev_b32 v25, 27, v19 :: v_dual_lshlrev_b32 v39, 26, v19
	v_lshlrev_b32_e32 v40, 25, v19
	s_delay_alu instid0(VALU_DEP_3)
	v_cmp_gt_i32_e64 s1, 0, v23
	v_not_b32_e32 v22, v23
	v_not_b32_e32 v23, v24
	v_mad_u32 v41, 0x44, v19, v20
	v_lshlrev_b32_e32 v19, 24, v19
	v_cmp_gt_i32_e64 s3, 0, v24
	v_cmp_gt_i32_e64 s4, 0, v25
	v_not_b32_e32 v24, v25
	v_not_b32_e32 v25, v39
	v_dual_ashrrev_i32 v22, 31, v22 :: v_dual_ashrrev_i32 v23, 31, v23
	v_xor_b32_e32 v21, s0, v21
	v_cmp_gt_i32_e64 s5, 0, v39
	v_not_b32_e32 v39, v40
	v_cmp_gt_i32_e64 s7, 0, v19
	v_not_b32_e32 v19, v19
	v_dual_ashrrev_i32 v24, 31, v24 :: v_dual_ashrrev_i32 v25, 31, v25
	v_xor_b32_e32 v22, s1, v22
	v_xor_b32_e32 v23, s3, v23
	v_bitop3_b32 v18, v18, v21, exec_lo bitop3:0x80
	v_cmp_gt_i32_e64 s6, 0, v40
	v_ashrrev_i32_e32 v21, 31, v39
	v_dual_ashrrev_i32 v19, 31, v19 :: v_dual_bitop2_b32 v24, s4, v24 bitop3:0x14
	v_xor_b32_e32 v25, s5, v25
	v_bitop3_b32 v18, v18, v23, v22 bitop3:0x80
	s_delay_alu instid0(VALU_DEP_4) | instskip(NEXT) | instid1(VALU_DEP_4)
	v_xor_b32_e32 v21, s6, v21
	v_xor_b32_e32 v19, s7, v19
	ds_load_b32 v39, v41 offset:64
	v_bitop3_b32 v18, v18, v25, v24 bitop3:0x80
	; wave barrier
	s_delay_alu instid0(VALU_DEP_1) | instskip(NEXT) | instid1(VALU_DEP_1)
	v_bitop3_b32 v18, v18, v19, v21 bitop3:0x80
	v_mbcnt_lo_u32_b32 v40, v18, 0
	v_cmp_ne_u32_e64 s0, 0, v18
	s_delay_alu instid0(VALU_DEP_2) | instskip(SKIP_1) | instid1(SALU_CYCLE_1)
	v_cmp_eq_u32_e32 vcc_lo, 0, v40
	s_and_b32 s1, s0, vcc_lo
	s_and_saveexec_b32 s0, s1
	s_cbranch_execz .LBB1518_81
; %bb.80:
	s_wait_dscnt 0x0
	v_bcnt_u32_b32 v18, v18, v39
	ds_store_b32 v41, v18 offset:64
.LBB1518_81:
	s_or_b32 exec_lo, exec_lo, s0
	v_cmp_gt_i64_e32 vcc_lo, 0, v[14:15]
	; wave barrier
	v_cndmask_b32_e64 v19, 0x7fffffff, 0, vcc_lo
	s_delay_alu instid0(VALU_DEP_1) | instskip(NEXT) | instid1(VALU_DEP_1)
	v_dual_ashrrev_i32 v18, 31, v15 :: v_dual_bitop2_b32 v15, v19, v15 bitop3:0x14
	v_not_b32_e32 v18, v18
	s_delay_alu instid0(VALU_DEP_1) | instskip(NEXT) | instid1(VALU_DEP_1)
	v_xor_b32_e32 v14, v18, v14
	v_cmp_ne_u64_e32 vcc_lo, s[8:9], v[14:15]
	v_cndmask_b32_e32 v19, 0x7fffffff, v15, vcc_lo
	v_cndmask_b32_e32 v18, -1, v14, vcc_lo
	s_delay_alu instid0(VALU_DEP_1) | instskip(NEXT) | instid1(VALU_DEP_1)
	v_lshrrev_b64 v[18:19], s20, v[18:19]
	v_and_b32_e32 v19, s17, v18
	v_bitop3_b32 v18, v18, 1, s17 bitop3:0x80
	s_delay_alu instid0(VALU_DEP_2) | instskip(NEXT) | instid1(VALU_DEP_2)
	v_lshlrev_b32_e32 v22, 30, v19
	v_add_co_u32 v18, s0, v18, -1
	s_delay_alu instid0(VALU_DEP_1) | instskip(NEXT) | instid1(VALU_DEP_3)
	v_cndmask_b32_e64 v21, 0, 1, s0
	v_cmp_gt_i32_e64 s0, 0, v22
	s_delay_alu instid0(VALU_DEP_2) | instskip(SKIP_1) | instid1(VALU_DEP_1)
	v_cmp_ne_u32_e32 vcc_lo, 0, v21
	v_not_b32_e32 v21, v22
	v_dual_ashrrev_i32 v21, 31, v21 :: v_dual_bitop2_b32 v18, vcc_lo, v18 bitop3:0x14
	v_dual_lshlrev_b32 v23, 29, v19 :: v_dual_lshlrev_b32 v24, 28, v19
	v_dual_lshlrev_b32 v25, 27, v19 :: v_dual_lshlrev_b32 v42, 26, v19
	v_lshlrev_b32_e32 v43, 25, v19
	s_delay_alu instid0(VALU_DEP_3)
	v_cmp_gt_i32_e64 s1, 0, v23
	v_not_b32_e32 v22, v23
	v_not_b32_e32 v23, v24
	v_mad_u32 v44, 0x44, v19, v20
	v_lshlrev_b32_e32 v19, 24, v19
	v_cmp_gt_i32_e64 s3, 0, v24
	v_cmp_gt_i32_e64 s4, 0, v25
	v_not_b32_e32 v24, v25
	v_not_b32_e32 v25, v42
	v_dual_ashrrev_i32 v22, 31, v22 :: v_dual_ashrrev_i32 v23, 31, v23
	v_xor_b32_e32 v21, s0, v21
	v_cmp_gt_i32_e64 s5, 0, v42
	v_not_b32_e32 v42, v43
	v_cmp_gt_i32_e64 s7, 0, v19
	v_not_b32_e32 v19, v19
	v_dual_ashrrev_i32 v24, 31, v24 :: v_dual_ashrrev_i32 v25, 31, v25
	v_xor_b32_e32 v22, s1, v22
	v_xor_b32_e32 v23, s3, v23
	v_bitop3_b32 v18, v18, v21, exec_lo bitop3:0x80
	v_cmp_gt_i32_e64 s6, 0, v43
	v_dual_ashrrev_i32 v21, 31, v42 :: v_dual_ashrrev_i32 v19, 31, v19
	v_xor_b32_e32 v24, s4, v24
	v_xor_b32_e32 v25, s5, v25
	v_bitop3_b32 v18, v18, v23, v22 bitop3:0x80
	s_delay_alu instid0(VALU_DEP_4) | instskip(SKIP_3) | instid1(VALU_DEP_1)
	v_xor_b32_e32 v21, s6, v21
	v_xor_b32_e32 v19, s7, v19
	ds_load_b32 v42, v44 offset:64
	v_bitop3_b32 v18, v18, v25, v24 bitop3:0x80
	; wave barrier
	v_bitop3_b32 v18, v18, v19, v21 bitop3:0x80
	s_delay_alu instid0(VALU_DEP_1) | instskip(SKIP_1) | instid1(VALU_DEP_2)
	v_mbcnt_lo_u32_b32 v43, v18, 0
	v_cmp_ne_u32_e64 s0, 0, v18
	v_cmp_eq_u32_e32 vcc_lo, 0, v43
	s_and_b32 s1, s0, vcc_lo
	s_delay_alu instid0(SALU_CYCLE_1)
	s_and_saveexec_b32 s0, s1
	s_cbranch_execz .LBB1518_83
; %bb.82:
	s_wait_dscnt 0x0
	v_bcnt_u32_b32 v18, v18, v42
	ds_store_b32 v44, v18 offset:64
.LBB1518_83:
	s_or_b32 exec_lo, exec_lo, s0
	v_cmp_gt_i64_e32 vcc_lo, 0, v[16:17]
	; wave barrier
	v_cndmask_b32_e64 v19, 0x7fffffff, 0, vcc_lo
	s_delay_alu instid0(VALU_DEP_1) | instskip(NEXT) | instid1(VALU_DEP_1)
	v_dual_ashrrev_i32 v18, 31, v17 :: v_dual_bitop2_b32 v17, v19, v17 bitop3:0x14
	v_not_b32_e32 v18, v18
	s_delay_alu instid0(VALU_DEP_1) | instskip(NEXT) | instid1(VALU_DEP_1)
	v_xor_b32_e32 v16, v18, v16
	v_cmp_ne_u64_e32 vcc_lo, s[8:9], v[16:17]
	v_cndmask_b32_e32 v19, 0x7fffffff, v17, vcc_lo
	v_cndmask_b32_e32 v18, -1, v16, vcc_lo
	s_delay_alu instid0(VALU_DEP_1) | instskip(NEXT) | instid1(VALU_DEP_1)
	v_lshrrev_b64 v[18:19], s20, v[18:19]
	v_and_b32_e32 v19, s17, v18
	v_bitop3_b32 v18, v18, 1, s17 bitop3:0x80
	s_delay_alu instid0(VALU_DEP_2) | instskip(NEXT) | instid1(VALU_DEP_2)
	v_lshlrev_b32_e32 v22, 30, v19
	v_add_co_u32 v18, s0, v18, -1
	s_delay_alu instid0(VALU_DEP_1) | instskip(NEXT) | instid1(VALU_DEP_3)
	v_cndmask_b32_e64 v21, 0, 1, s0
	v_cmp_gt_i32_e64 s0, 0, v22
	s_delay_alu instid0(VALU_DEP_2) | instskip(SKIP_1) | instid1(VALU_DEP_1)
	v_cmp_ne_u32_e32 vcc_lo, 0, v21
	v_not_b32_e32 v21, v22
	v_dual_ashrrev_i32 v21, 31, v21 :: v_dual_bitop2_b32 v18, vcc_lo, v18 bitop3:0x14
	v_dual_lshlrev_b32 v23, 29, v19 :: v_dual_lshlrev_b32 v24, 28, v19
	v_dual_lshlrev_b32 v25, 27, v19 :: v_dual_lshlrev_b32 v45, 26, v19
	v_lshlrev_b32_e32 v46, 25, v19
	s_delay_alu instid0(VALU_DEP_3)
	v_cmp_gt_i32_e64 s1, 0, v23
	v_not_b32_e32 v22, v23
	v_not_b32_e32 v23, v24
	v_mad_u32 v47, 0x44, v19, v20
	v_lshlrev_b32_e32 v19, 24, v19
	v_cmp_gt_i32_e64 s3, 0, v24
	v_cmp_gt_i32_e64 s4, 0, v25
	v_not_b32_e32 v24, v25
	v_not_b32_e32 v25, v45
	v_dual_ashrrev_i32 v22, 31, v22 :: v_dual_ashrrev_i32 v23, 31, v23
	v_xor_b32_e32 v21, s0, v21
	v_cmp_gt_i32_e64 s5, 0, v45
	v_not_b32_e32 v45, v46
	v_cmp_gt_i32_e64 s7, 0, v19
	v_not_b32_e32 v19, v19
	v_dual_ashrrev_i32 v24, 31, v24 :: v_dual_ashrrev_i32 v25, 31, v25
	v_xor_b32_e32 v22, s1, v22
	v_xor_b32_e32 v23, s3, v23
	v_bitop3_b32 v18, v18, v21, exec_lo bitop3:0x80
	v_cmp_gt_i32_e64 s6, 0, v46
	v_dual_ashrrev_i32 v21, 31, v45 :: v_dual_ashrrev_i32 v19, 31, v19
	v_xor_b32_e32 v24, s4, v24
	v_xor_b32_e32 v25, s5, v25
	v_bitop3_b32 v18, v18, v23, v22 bitop3:0x80
	s_delay_alu instid0(VALU_DEP_4) | instskip(SKIP_3) | instid1(VALU_DEP_1)
	v_xor_b32_e32 v21, s6, v21
	v_xor_b32_e32 v19, s7, v19
	ds_load_b32 v45, v47 offset:64
	v_bitop3_b32 v18, v18, v25, v24 bitop3:0x80
	; wave barrier
	v_bitop3_b32 v18, v18, v19, v21 bitop3:0x80
	s_delay_alu instid0(VALU_DEP_1) | instskip(SKIP_1) | instid1(VALU_DEP_2)
	v_mbcnt_lo_u32_b32 v46, v18, 0
	v_cmp_ne_u32_e64 s0, 0, v18
	v_cmp_eq_u32_e32 vcc_lo, 0, v46
	s_and_b32 s1, s0, vcc_lo
	s_delay_alu instid0(SALU_CYCLE_1)
	s_and_saveexec_b32 s0, s1
	s_cbranch_execz .LBB1518_85
; %bb.84:
	s_wait_dscnt 0x0
	v_bcnt_u32_b32 v18, v18, v45
	ds_store_b32 v47, v18 offset:64
.LBB1518_85:
	s_or_b32 exec_lo, exec_lo, s0
	v_cmp_gt_i64_e32 vcc_lo, 0, v[12:13]
	; wave barrier
	v_cndmask_b32_e64 v19, 0x7fffffff, 0, vcc_lo
	s_delay_alu instid0(VALU_DEP_1) | instskip(NEXT) | instid1(VALU_DEP_1)
	v_dual_ashrrev_i32 v18, 31, v13 :: v_dual_bitop2_b32 v13, v19, v13 bitop3:0x14
	v_not_b32_e32 v18, v18
	s_delay_alu instid0(VALU_DEP_1) | instskip(NEXT) | instid1(VALU_DEP_1)
	v_xor_b32_e32 v12, v18, v12
	v_cmp_ne_u64_e32 vcc_lo, s[8:9], v[12:13]
	v_cndmask_b32_e32 v19, 0x7fffffff, v13, vcc_lo
	v_cndmask_b32_e32 v18, -1, v12, vcc_lo
	s_delay_alu instid0(VALU_DEP_1) | instskip(NEXT) | instid1(VALU_DEP_1)
	v_lshrrev_b64 v[18:19], s20, v[18:19]
	v_and_b32_e32 v19, s17, v18
	v_bitop3_b32 v18, v18, 1, s17 bitop3:0x80
	s_delay_alu instid0(VALU_DEP_2) | instskip(NEXT) | instid1(VALU_DEP_2)
	v_mad_u32 v50, 0x44, v19, v20
	v_add_co_u32 v18, s0, v18, -1
	s_delay_alu instid0(VALU_DEP_1) | instskip(SKIP_1) | instid1(VALU_DEP_2)
	v_cndmask_b32_e64 v20, 0, 1, s0
	v_dual_lshlrev_b32 v21, 30, v19 :: v_dual_lshlrev_b32 v22, 29, v19
	v_cmp_ne_u32_e32 vcc_lo, 0, v20
	s_delay_alu instid0(VALU_DEP_2) | instskip(SKIP_1) | instid1(VALU_DEP_4)
	v_cmp_gt_i32_e64 s0, 0, v21
	v_not_b32_e32 v20, v21
	v_not_b32_e32 v21, v22
	v_cmp_gt_i32_e64 s1, 0, v22
	s_delay_alu instid0(VALU_DEP_3) | instskip(NEXT) | instid1(VALU_DEP_3)
	v_dual_ashrrev_i32 v20, 31, v20 :: v_dual_bitop2_b32 v18, vcc_lo, v18 bitop3:0x14
	v_dual_ashrrev_i32 v21, 31, v21 :: v_dual_lshlrev_b32 v23, 28, v19
	v_dual_lshlrev_b32 v24, 27, v19 :: v_dual_lshlrev_b32 v25, 26, v19
	v_dual_lshlrev_b32 v48, 25, v19 :: v_dual_lshlrev_b32 v19, 24, v19
	s_delay_alu instid0(VALU_DEP_3) | instskip(SKIP_1) | instid1(VALU_DEP_4)
	v_not_b32_e32 v22, v23
	v_cmp_gt_i32_e64 s3, 0, v23
	v_cmp_gt_i32_e64 s4, 0, v24
	v_not_b32_e32 v23, v24
	v_not_b32_e32 v24, v25
	v_dual_ashrrev_i32 v22, 31, v22 :: v_dual_bitop2_b32 v20, s0, v20 bitop3:0x14
	v_cmp_gt_i32_e64 s5, 0, v25
	v_not_b32_e32 v25, v48
	v_cmp_gt_i32_e64 s7, 0, v19
	v_not_b32_e32 v19, v19
	v_dual_ashrrev_i32 v23, 31, v23 :: v_dual_ashrrev_i32 v24, 31, v24
	v_xor_b32_e32 v21, s1, v21
	v_xor_b32_e32 v22, s3, v22
	v_bitop3_b32 v18, v18, v20, exec_lo bitop3:0x80
	v_cmp_gt_i32_e64 s6, 0, v48
	v_dual_ashrrev_i32 v20, 31, v25 :: v_dual_ashrrev_i32 v19, 31, v19
	v_xor_b32_e32 v23, s4, v23
	v_xor_b32_e32 v24, s5, v24
	v_bitop3_b32 v18, v18, v22, v21 bitop3:0x80
	s_delay_alu instid0(VALU_DEP_4) | instskip(SKIP_3) | instid1(VALU_DEP_1)
	v_xor_b32_e32 v20, s6, v20
	v_xor_b32_e32 v19, s7, v19
	ds_load_b32 v48, v50 offset:64
	v_bitop3_b32 v18, v18, v24, v23 bitop3:0x80
	; wave barrier
	v_bitop3_b32 v18, v18, v19, v20 bitop3:0x80
	s_delay_alu instid0(VALU_DEP_1) | instskip(SKIP_1) | instid1(VALU_DEP_2)
	v_mbcnt_lo_u32_b32 v49, v18, 0
	v_cmp_ne_u32_e64 s0, 0, v18
	v_cmp_eq_u32_e32 vcc_lo, 0, v49
	s_and_b32 s1, s0, vcc_lo
	s_delay_alu instid0(SALU_CYCLE_1)
	s_and_saveexec_b32 s0, s1
	s_cbranch_execz .LBB1518_87
; %bb.86:
	s_wait_dscnt 0x0
	v_bcnt_u32_b32 v18, v18, v48
	ds_store_b32 v50, v18 offset:64
.LBB1518_87:
	s_or_b32 exec_lo, exec_lo, s0
	; wave barrier
	s_wait_dscnt 0x0
	s_barrier_signal -1
	s_barrier_wait -1
	ds_load_2addr_b32 v[24:25], v26 offset0:16 offset1:17
	ds_load_2addr_b32 v[22:23], v26 offset0:18 offset1:19
	ds_load_2addr_b32 v[20:21], v26 offset0:20 offset1:21
	ds_load_2addr_b32 v[18:19], v26 offset0:22 offset1:23
	ds_load_b32 v51, v26 offset:96
	v_bfe_i32 v54, v33, 4, 1
	s_mov_b32 s5, exec_lo
	s_wait_dscnt 0x3
	v_add3_u32 v52, v25, v24, v22
	s_wait_dscnt 0x2
	s_delay_alu instid0(VALU_DEP_1) | instskip(SKIP_1) | instid1(VALU_DEP_1)
	v_add3_u32 v52, v52, v23, v20
	s_wait_dscnt 0x1
	v_add3_u32 v52, v52, v21, v18
	s_wait_dscnt 0x0
	s_delay_alu instid0(VALU_DEP_1) | instskip(SKIP_1) | instid1(VALU_DEP_2)
	v_add3_u32 v51, v52, v19, v51
	v_and_b32_e32 v52, 15, v33
	v_mov_b32_dpp v53, v51 row_shr:1 row_mask:0xf bank_mask:0xf
	s_delay_alu instid0(VALU_DEP_2) | instskip(NEXT) | instid1(VALU_DEP_2)
	v_cmp_eq_u32_e32 vcc_lo, 0, v52
	v_cndmask_b32_e64 v53, v53, 0, vcc_lo
	s_delay_alu instid0(VALU_DEP_1) | instskip(SKIP_3) | instid1(VALU_DEP_4)
	v_add_nc_u32_e32 v51, v53, v51
	v_cmp_lt_u32_e64 s0, 1, v52
	v_cmp_lt_u32_e64 s1, 3, v52
	;; [unrolled: 1-line block ×3, first 2 shown]
	v_mov_b32_dpp v53, v51 row_shr:2 row_mask:0xf bank_mask:0xf
	s_delay_alu instid0(VALU_DEP_1) | instskip(NEXT) | instid1(VALU_DEP_1)
	v_cndmask_b32_e64 v53, 0, v53, s0
	v_add_nc_u32_e32 v51, v51, v53
	s_delay_alu instid0(VALU_DEP_1) | instskip(NEXT) | instid1(VALU_DEP_1)
	v_mov_b32_dpp v53, v51 row_shr:4 row_mask:0xf bank_mask:0xf
	v_cndmask_b32_e64 v53, 0, v53, s1
	s_delay_alu instid0(VALU_DEP_1) | instskip(NEXT) | instid1(VALU_DEP_1)
	v_add_nc_u32_e32 v51, v51, v53
	v_mov_b32_dpp v53, v51 row_shr:8 row_mask:0xf bank_mask:0xf
	s_delay_alu instid0(VALU_DEP_1) | instskip(SKIP_1) | instid1(VALU_DEP_2)
	v_cndmask_b32_e64 v52, 0, v53, s3
	v_and_b32_e32 v53, 0x3e0, v32
	v_add_nc_u32_e32 v51, v51, v52
	s_delay_alu instid0(VALU_DEP_2) | instskip(SKIP_4) | instid1(VALU_DEP_1)
	v_min_u32_e32 v53, 0x1e0, v53
	ds_swizzle_b32 v52, v51 offset:swizzle(BROADCAST,32,15)
	v_or_b32_e32 v53, 31, v53
	s_wait_dscnt 0x0
	v_and_b32_e32 v54, v54, v52
	v_dual_lshrrev_b32 v52, 5, v32 :: v_dual_add_nc_u32 v51, v51, v54
	s_delay_alu instid0(VALU_DEP_3)
	v_cmpx_eq_u32_e64 v32, v53
; %bb.88:
	s_delay_alu instid0(VALU_DEP_2)
	v_lshlrev_b32_e32 v53, 2, v52
	ds_store_b32 v53, v51
; %bb.89:
	s_or_b32 exec_lo, exec_lo, s5
	s_delay_alu instid0(SALU_CYCLE_1)
	s_mov_b32 s5, exec_lo
	s_wait_dscnt 0x0
	s_barrier_signal -1
	s_barrier_wait -1
	v_cmpx_gt_u32_e32 16, v32
	s_cbranch_execz .LBB1518_91
; %bb.90:
	v_lshlrev_b32_e32 v53, 2, v32
	ds_load_b32 v54, v53
	s_wait_dscnt 0x0
	v_mov_b32_dpp v55, v54 row_shr:1 row_mask:0xf bank_mask:0xf
	s_delay_alu instid0(VALU_DEP_1) | instskip(NEXT) | instid1(VALU_DEP_1)
	v_cndmask_b32_e64 v55, v55, 0, vcc_lo
	v_add_nc_u32_e32 v54, v55, v54
	s_delay_alu instid0(VALU_DEP_1) | instskip(NEXT) | instid1(VALU_DEP_1)
	v_mov_b32_dpp v55, v54 row_shr:2 row_mask:0xf bank_mask:0xf
	v_cndmask_b32_e64 v55, 0, v55, s0
	s_delay_alu instid0(VALU_DEP_1) | instskip(NEXT) | instid1(VALU_DEP_1)
	v_add_nc_u32_e32 v54, v54, v55
	v_mov_b32_dpp v55, v54 row_shr:4 row_mask:0xf bank_mask:0xf
	s_delay_alu instid0(VALU_DEP_1) | instskip(NEXT) | instid1(VALU_DEP_1)
	v_cndmask_b32_e64 v55, 0, v55, s1
	v_add_nc_u32_e32 v54, v54, v55
	s_delay_alu instid0(VALU_DEP_1) | instskip(NEXT) | instid1(VALU_DEP_1)
	v_mov_b32_dpp v55, v54 row_shr:8 row_mask:0xf bank_mask:0xf
	v_cndmask_b32_e64 v55, 0, v55, s3
	s_delay_alu instid0(VALU_DEP_1)
	v_add_nc_u32_e32 v54, v54, v55
	ds_store_b32 v53, v54
.LBB1518_91:
	s_or_b32 exec_lo, exec_lo, s5
	v_mov_b32_e32 v53, 0
	s_mov_b32 s0, exec_lo
	s_wait_dscnt 0x0
	s_barrier_signal -1
	s_barrier_wait -1
	v_cmpx_lt_u32_e32 31, v32
; %bb.92:
	v_lshl_add_u32 v52, v52, 2, -4
	ds_load_b32 v53, v52
; %bb.93:
	s_or_b32 exec_lo, exec_lo, s0
	v_sub_co_u32 v52, vcc_lo, v33, 1
	s_wait_dscnt 0x0
	v_add_nc_u32_e32 v51, v53, v51
	s_delay_alu instid0(VALU_DEP_2) | instskip(NEXT) | instid1(VALU_DEP_1)
	v_cmp_gt_i32_e64 s0, 0, v52
	v_cndmask_b32_e64 v33, v52, v33, s0
	v_cmp_lt_u32_e64 s0, 0xff, v32
	s_delay_alu instid0(VALU_DEP_2) | instskip(SKIP_4) | instid1(VALU_DEP_2)
	v_lshlrev_b32_e32 v33, 2, v33
	ds_bpermute_b32 v33, v33, v51
	s_wait_dscnt 0x0
	v_cndmask_b32_e32 v33, v33, v53, vcc_lo
	v_cmp_gt_u32_e32 vcc_lo, 0x100, v32
	v_cndmask_b32_e64 v33, v33, 0, s2
	s_delay_alu instid0(VALU_DEP_1) | instskip(NEXT) | instid1(VALU_DEP_1)
	v_add_nc_u32_e32 v24, v33, v24
	v_add_nc_u32_e32 v25, v24, v25
	s_delay_alu instid0(VALU_DEP_1) | instskip(NEXT) | instid1(VALU_DEP_1)
	v_add_nc_u32_e32 v22, v25, v22
	v_add_nc_u32_e32 v23, v22, v23
	;; [unrolled: 3-line block ×4, first 2 shown]
	ds_store_2addr_b32 v26, v33, v24 offset0:16 offset1:17
	ds_store_2addr_b32 v26, v25, v22 offset0:18 offset1:19
	;; [unrolled: 1-line block ×4, first 2 shown]
	ds_store_b32 v26, v19 offset:96
	s_wait_dscnt 0x0
	s_barrier_signal -1
	s_barrier_wait -1
	ds_load_b32 v21, v27 offset:64
	ds_load_b32 v33, v28 offset:64
	;; [unrolled: 1-line block ×8, first 2 shown]
	v_mov_b64_e32 v[18:19], 0
                                        ; implicit-def: $vgpr20
	s_and_saveexec_b32 s2, vcc_lo
	s_cbranch_execz .LBB1518_97
; %bb.94:
	v_mul_u32_u24_e32 v18, 0x44, v32
	v_dual_mov_b32 v19, 0x1000 :: v_dual_add_nc_u32 v20, 1, v32
	s_mov_b32 s3, exec_lo
	ds_load_b32 v18, v18 offset:64
	v_cmpx_ne_u32_e32 0x100, v20
; %bb.95:
	v_mul_u32_u24_e32 v19, 0x44, v20
	ds_load_b32 v19, v19 offset:64
; %bb.96:
	s_or_b32 exec_lo, exec_lo, s3
	s_wait_dscnt 0x0
	v_dual_mov_b32 v19, 0 :: v_dual_sub_nc_u32 v20, v19, v18
.LBB1518_97:
	s_or_b32 exec_lo, exec_lo, s2
	v_mov_b32_e32 v23, 0
	s_wait_dscnt 0x0
	s_barrier_signal -1
	s_barrier_wait -1
	s_and_saveexec_b32 s1, vcc_lo
	s_cbranch_execz .LBB1518_107
; %bb.98:
	v_lshl_add_u32 v22, s26, 8, v32
	v_dual_mov_b32 v26, 0 :: v_dual_bitop2_b32 v27, 2.0, v20 bitop3:0x54
	s_mov_b32 s2, 0
	s_mov_b32 s3, s26
	s_delay_alu instid0(VALU_DEP_2)
	v_lshl_add_u64 v[24:25], v[22:23], 2, s[10:11]
	global_store_b32 v22, v27, s[10:11] scale_offset scope:SCOPE_DEV
                                        ; implicit-def: $sgpr4
	s_branch .LBB1518_101
.LBB1518_99:                            ;   in Loop: Header=BB1518_101 Depth=1
	s_or_b32 exec_lo, exec_lo, s5
.LBB1518_100:                           ;   in Loop: Header=BB1518_101 Depth=1
	s_delay_alu instid0(SALU_CYCLE_1) | instskip(SKIP_2) | instid1(VALU_DEP_2)
	s_or_b32 exec_lo, exec_lo, s4
	v_and_b32_e32 v22, 0x3fffffff, v27
	v_cmp_gt_i32_e64 s4, -2.0, v27
	v_add_nc_u32_e32 v26, v22, v26
	s_and_b32 s5, exec_lo, s4
	s_delay_alu instid0(SALU_CYCLE_1) | instskip(NEXT) | instid1(SALU_CYCLE_1)
	s_or_b32 s2, s5, s2
	s_and_not1_b32 exec_lo, exec_lo, s2
	s_cbranch_execz .LBB1518_106
.LBB1518_101:                           ; =>This Loop Header: Depth=1
                                        ;     Child Loop BB1518_104 Depth 2
	s_or_b32 s4, s4, exec_lo
	s_cmp_eq_u32 s3, 0
	s_cbranch_scc1 .LBB1518_105
; %bb.102:                              ;   in Loop: Header=BB1518_101 Depth=1
	s_add_co_i32 s3, s3, -1
	s_mov_b32 s4, exec_lo
	s_wait_xcnt 0x0
	v_lshl_or_b32 v22, s3, 8, v32
	global_load_b32 v27, v22, s[10:11] scale_offset scope:SCOPE_DEV
	s_wait_loadcnt 0x0
	v_cmpx_gt_u32_e32 2.0, v27
	s_cbranch_execz .LBB1518_100
; %bb.103:                              ;   in Loop: Header=BB1518_101 Depth=1
	v_lshl_add_u64 v[28:29], v[22:23], 2, s[10:11]
	s_mov_b32 s5, 0
.LBB1518_104:                           ;   Parent Loop BB1518_101 Depth=1
                                        ; =>  This Inner Loop Header: Depth=2
	global_load_b32 v27, v[28:29], off scope:SCOPE_DEV
	s_wait_loadcnt 0x0
	v_cmp_lt_u32_e32 vcc_lo, 0x3fffffff, v27
	s_or_b32 s5, vcc_lo, s5
	s_wait_xcnt 0x0
	s_and_not1_b32 exec_lo, exec_lo, s5
	s_cbranch_execnz .LBB1518_104
	s_branch .LBB1518_99
.LBB1518_105:                           ;   in Loop: Header=BB1518_101 Depth=1
                                        ; implicit-def: $sgpr3
	s_and_b32 s5, exec_lo, s4
	s_delay_alu instid0(SALU_CYCLE_1)
	s_or_b32 s2, s5, s2
	s_wait_xcnt 0x0
	s_and_not1_b32 exec_lo, exec_lo, s2
	s_cbranch_execnz .LBB1518_101
.LBB1518_106:
	s_or_b32 exec_lo, exec_lo, s2
	v_dual_mov_b32 v27, 0 :: v_dual_add_nc_u32 v22, v26, v20
	s_delay_alu instid0(VALU_DEP_1) | instskip(SKIP_4) | instid1(VALU_DEP_1)
	v_or_b32_e32 v22, 0x80000000, v22
	global_store_b32 v[24:25], v22, off scope:SCOPE_DEV
	global_load_b64 v[22:23], v32, s[12:13] scale_offset
	v_sub_nc_u64_e32 v[24:25], v[26:27], v[18:19]
	s_wait_loadcnt 0x0
	v_add_nc_u64_e32 v[22:23], v[24:25], v[22:23]
	ds_store_b64 v2, v[22:23]
.LBB1518_107:
	s_wait_xcnt 0x0
	s_or_b32 exec_lo, exec_lo, s1
	v_dual_add_nc_u32 v21, v21, v3 :: v_dual_mov_b32 v3, 0
	v_add3_u32 v24, v49, v50, v48
	v_add3_u32 v25, v46, v47, v45
	v_add3_u32 v26, v43, v44, v42
	v_add3_u32 v27, v40, v41, v39
	v_add_nc_u64_e32 v[22:23], s[18:19], v[2:3]
	v_add3_u32 v28, v37, v38, v36
	v_add3_u32 v3, v35, v51, v34
	;; [unrolled: 1-line block ×3, first 2 shown]
	s_mov_b64 s[6:7], 0x8000000000000000
	s_mov_b32 s9, -1
	s_mov_b32 s8, 0
.LBB1518_108:                           ; =>This Inner Loop Header: Depth=1
	s_wait_xcnt 0x3
	v_add_min_u32_e64 v30, v21, s8, 0x800
	v_add_min_u32_e64 v31, v29, s8, 0x800
	v_add_min_u32_e64 v33, v3, s8, 0x800
	v_add_min_u32_e64 v34, v28, s8, 0x800
	v_add_min_u32_e64 v35, v27, s8, 0x800
	s_wait_xcnt 0x2
	v_add_min_u32_e64 v36, v26, s8, 0x800
	v_add_min_u32_e64 v37, v25, s8, 0x800
	s_wait_xcnt 0x1
	v_add_min_u32_e64 v38, v24, s8, 0x800
	v_dual_lshlrev_b32 v30, 3, v30 :: v_dual_lshlrev_b32 v31, 3, v31
	v_dual_lshlrev_b32 v33, 3, v33 :: v_dual_lshlrev_b32 v34, 3, v34
	v_dual_lshlrev_b32 v35, 3, v35 :: v_dual_lshlrev_b32 v36, 3, v36
	s_delay_alu instid0(VALU_DEP_4)
	v_dual_lshlrev_b32 v37, 3, v37 :: v_dual_lshlrev_b32 v38, 3, v38
	ds_store_b64 v30, v[4:5] offset:2048
	ds_store_b64 v31, v[0:1] offset:2048
	;; [unrolled: 1-line block ×8, first 2 shown]
	s_wait_storecnt_dscnt 0x0
	s_barrier_signal -1
	s_barrier_wait -1
	ds_load_2addr_stride64_b64 v[34:37], v2 offset0:4 offset1:12
	s_wait_xcnt 0x0
	ds_load_2addr_stride64_b64 v[38:41], v2 offset0:20 offset1:28
	s_addk_co_i32 s8, 0xf800
	s_and_b32 vcc_lo, exec_lo, s9
	s_mov_b32 s9, 0
	s_wait_dscnt 0x1
	v_cmp_gt_i64_e64 s2, 0, v[34:35]
	v_cmp_gt_i64_e64 s3, 0, v[36:37]
	v_cmp_ne_u64_e64 s1, s[6:7], v[34:35]
	s_wait_dscnt 0x0
	v_cmp_gt_i64_e64 s4, 0, v[38:39]
	v_dual_ashrrev_i32 v33, 31, v35 :: v_dual_ashrrev_i32 v49, 31, v37
	v_cmp_gt_i64_e64 s5, 0, v[40:41]
	v_cndmask_b32_e64 v30, 0x7fffffff, 0, s2
	v_cmp_ne_u64_e64 s2, s[6:7], v[36:37]
	v_cndmask_b32_e64 v48, 0x7fffffff, 0, s3
	v_cmp_ne_u64_e64 s3, s[6:7], v[38:39]
	v_cndmask_b32_e64 v31, 0x7fffffff, v35, s1
	v_cndmask_b32_e64 v50, 0x7fffffff, 0, s4
	v_cmp_ne_u64_e64 s4, s[6:7], v[40:41]
	v_dual_cndmask_b32 v30, -1, v34, s1 :: v_dual_bitop2_b32 v35, v30, v35 bitop3:0x14
	v_cndmask_b32_e64 v43, 0x7fffffff, v37, s2
	v_cndmask_b32_e64 v45, 0x7fffffff, v39, s3
	v_dual_cndmask_b32 v42, -1, v36, s2 :: v_dual_cndmask_b32 v44, -1, v38, s3
	s_delay_alu instid0(VALU_DEP_4) | instskip(SKIP_2) | instid1(VALU_DEP_4)
	v_lshrrev_b64 v[30:31], s20, v[30:31]
	v_cndmask_b32_e64 v47, 0x7fffffff, v41, s4
	v_cndmask_b32_e64 v46, -1, v40, s4
	v_lshrrev_b64 v[42:43], s20, v[42:43]
	v_lshrrev_b64 v[44:45], s20, v[44:45]
	v_dual_ashrrev_i32 v51, 31, v39 :: v_dual_bitop2_b32 v37, v48, v37 bitop3:0x14
	v_dual_ashrrev_i32 v53, 31, v41 :: v_dual_bitop2_b32 v30, s17, v30 bitop3:0x40
	v_lshrrev_b64 v[46:47], s20, v[46:47]
	v_and_b32_e32 v31, s17, v42
	v_and_b32_e32 v42, s17, v44
	v_not_b32_e32 v33, v33
	v_lshlrev_b32_e32 v30, 3, v30
	v_not_b32_e32 v49, v49
	v_not_b32_e32 v48, v51
	v_lshlrev_b32_e32 v45, 3, v42
	v_dual_lshlrev_b32 v44, 3, v31 :: v_dual_bitop2_b32 v43, s17, v46 bitop3:0x40
	v_cndmask_b32_e64 v52, 0x7fffffff, 0, s5
	v_xor_b32_e32 v39, v50, v39
	v_not_b32_e32 v50, v53
	s_delay_alu instid0(VALU_DEP_4)
	v_lshlrev_b32_e32 v46, 3, v43
	ds_load_b64 v[30:31], v30
	ds_load_b64 v[42:43], v44
	;; [unrolled: 1-line block ×4, first 2 shown]
	v_xor_b32_e32 v34, v33, v34
	v_xor_b32_e32 v36, v49, v36
	;; [unrolled: 1-line block ×5, first 2 shown]
	s_wait_dscnt 0x3
	v_lshl_add_u64 v[30:31], v[30:31], 3, v[22:23]
	s_wait_dscnt 0x2
	v_lshl_add_u64 v[42:43], v[42:43], 3, v[22:23]
	;; [unrolled: 2-line block ×4, first 2 shown]
	v_add_nc_u64_e32 v[22:23], 0x4000, v[22:23]
	s_clause 0x3
	global_store_b64 v[30:31], v[34:35], off
	global_store_b64 v[42:43], v[36:37], off offset:4096
	global_store_b64 v[44:45], v[38:39], off offset:8192
	global_store_b64 v[46:47], v[40:41], off offset:12288
	s_wait_storecnt 0x0
	s_barrier_signal -1
	s_barrier_wait -1
	s_cbranch_vccnz .LBB1518_108
; %bb.109:
	s_add_co_i32 s16, s16, -1
	s_delay_alu instid0(SALU_CYCLE_1) | instskip(SKIP_2) | instid1(SALU_CYCLE_1)
	s_cmp_eq_u32 s26, s16
	s_cselect_b32 s1, -1, 0
	s_xor_b32 s0, s0, -1
	s_and_b32 s0, s0, s1
	s_wait_xcnt 0x0
	s_and_saveexec_b32 s1, s0
	s_cbranch_execz .LBB1518_111
; %bb.110:
	ds_load_b64 v[0:1], v2
	v_mov_b32_e32 v21, 0
	s_delay_alu instid0(VALU_DEP_1) | instskip(SKIP_1) | instid1(VALU_DEP_1)
	v_add_nc_u64_e32 v[2:3], v[18:19], v[20:21]
	s_wait_dscnt 0x0
	v_add_nc_u64_e32 v[0:1], v[2:3], v[0:1]
	global_store_b64 v32, v[0:1], s[14:15] scale_offset
.LBB1518_111:
	s_endpgm
	.section	.rodata,"a",@progbits
	.p2align	6, 0x0
	.amdhsa_kernel _ZN7rocprim17ROCPRIM_400000_NS6detail17trampoline_kernelINS0_14default_configENS1_35radix_sort_onesweep_config_selectorIdNS0_10empty_typeEEEZZNS1_29radix_sort_onesweep_iterationIS3_Lb1EPKdPdPS5_SB_mNS0_19identity_decomposerENS1_16block_id_wrapperIjLb1EEEEE10hipError_tT1_PNSt15iterator_traitsISG_E10value_typeET2_T3_PNSH_ISM_E10value_typeET4_T5_PSR_SS_PNS1_23onesweep_lookback_stateEbbT6_jjT7_P12ihipStream_tbENKUlT_T0_SG_SL_E_clIS9_SA_SB_SB_EEDaSZ_S10_SG_SL_EUlSZ_E_NS1_11comp_targetILNS1_3genE0ELNS1_11target_archE4294967295ELNS1_3gpuE0ELNS1_3repE0EEENS1_47radix_sort_onesweep_sort_config_static_selectorELNS0_4arch9wavefront6targetE0EEEvSG_
		.amdhsa_group_segment_fixed_size 18504
		.amdhsa_private_segment_fixed_size 0
		.amdhsa_kernarg_size 344
		.amdhsa_user_sgpr_count 2
		.amdhsa_user_sgpr_dispatch_ptr 0
		.amdhsa_user_sgpr_queue_ptr 0
		.amdhsa_user_sgpr_kernarg_segment_ptr 1
		.amdhsa_user_sgpr_dispatch_id 0
		.amdhsa_user_sgpr_kernarg_preload_length 0
		.amdhsa_user_sgpr_kernarg_preload_offset 0
		.amdhsa_user_sgpr_private_segment_size 0
		.amdhsa_wavefront_size32 1
		.amdhsa_uses_dynamic_stack 0
		.amdhsa_enable_private_segment 0
		.amdhsa_system_sgpr_workgroup_id_x 1
		.amdhsa_system_sgpr_workgroup_id_y 0
		.amdhsa_system_sgpr_workgroup_id_z 0
		.amdhsa_system_sgpr_workgroup_info 0
		.amdhsa_system_vgpr_workitem_id 2
		.amdhsa_next_free_vgpr 57
		.amdhsa_next_free_sgpr 31
		.amdhsa_named_barrier_count 0
		.amdhsa_reserve_vcc 1
		.amdhsa_float_round_mode_32 0
		.amdhsa_float_round_mode_16_64 0
		.amdhsa_float_denorm_mode_32 3
		.amdhsa_float_denorm_mode_16_64 3
		.amdhsa_fp16_overflow 0
		.amdhsa_memory_ordered 1
		.amdhsa_forward_progress 1
		.amdhsa_inst_pref_size 101
		.amdhsa_round_robin_scheduling 0
		.amdhsa_exception_fp_ieee_invalid_op 0
		.amdhsa_exception_fp_denorm_src 0
		.amdhsa_exception_fp_ieee_div_zero 0
		.amdhsa_exception_fp_ieee_overflow 0
		.amdhsa_exception_fp_ieee_underflow 0
		.amdhsa_exception_fp_ieee_inexact 0
		.amdhsa_exception_int_div_zero 0
	.end_amdhsa_kernel
	.section	.text._ZN7rocprim17ROCPRIM_400000_NS6detail17trampoline_kernelINS0_14default_configENS1_35radix_sort_onesweep_config_selectorIdNS0_10empty_typeEEEZZNS1_29radix_sort_onesweep_iterationIS3_Lb1EPKdPdPS5_SB_mNS0_19identity_decomposerENS1_16block_id_wrapperIjLb1EEEEE10hipError_tT1_PNSt15iterator_traitsISG_E10value_typeET2_T3_PNSH_ISM_E10value_typeET4_T5_PSR_SS_PNS1_23onesweep_lookback_stateEbbT6_jjT7_P12ihipStream_tbENKUlT_T0_SG_SL_E_clIS9_SA_SB_SB_EEDaSZ_S10_SG_SL_EUlSZ_E_NS1_11comp_targetILNS1_3genE0ELNS1_11target_archE4294967295ELNS1_3gpuE0ELNS1_3repE0EEENS1_47radix_sort_onesweep_sort_config_static_selectorELNS0_4arch9wavefront6targetE0EEEvSG_,"axG",@progbits,_ZN7rocprim17ROCPRIM_400000_NS6detail17trampoline_kernelINS0_14default_configENS1_35radix_sort_onesweep_config_selectorIdNS0_10empty_typeEEEZZNS1_29radix_sort_onesweep_iterationIS3_Lb1EPKdPdPS5_SB_mNS0_19identity_decomposerENS1_16block_id_wrapperIjLb1EEEEE10hipError_tT1_PNSt15iterator_traitsISG_E10value_typeET2_T3_PNSH_ISM_E10value_typeET4_T5_PSR_SS_PNS1_23onesweep_lookback_stateEbbT6_jjT7_P12ihipStream_tbENKUlT_T0_SG_SL_E_clIS9_SA_SB_SB_EEDaSZ_S10_SG_SL_EUlSZ_E_NS1_11comp_targetILNS1_3genE0ELNS1_11target_archE4294967295ELNS1_3gpuE0ELNS1_3repE0EEENS1_47radix_sort_onesweep_sort_config_static_selectorELNS0_4arch9wavefront6targetE0EEEvSG_,comdat
.Lfunc_end1518:
	.size	_ZN7rocprim17ROCPRIM_400000_NS6detail17trampoline_kernelINS0_14default_configENS1_35radix_sort_onesweep_config_selectorIdNS0_10empty_typeEEEZZNS1_29radix_sort_onesweep_iterationIS3_Lb1EPKdPdPS5_SB_mNS0_19identity_decomposerENS1_16block_id_wrapperIjLb1EEEEE10hipError_tT1_PNSt15iterator_traitsISG_E10value_typeET2_T3_PNSH_ISM_E10value_typeET4_T5_PSR_SS_PNS1_23onesweep_lookback_stateEbbT6_jjT7_P12ihipStream_tbENKUlT_T0_SG_SL_E_clIS9_SA_SB_SB_EEDaSZ_S10_SG_SL_EUlSZ_E_NS1_11comp_targetILNS1_3genE0ELNS1_11target_archE4294967295ELNS1_3gpuE0ELNS1_3repE0EEENS1_47radix_sort_onesweep_sort_config_static_selectorELNS0_4arch9wavefront6targetE0EEEvSG_, .Lfunc_end1518-_ZN7rocprim17ROCPRIM_400000_NS6detail17trampoline_kernelINS0_14default_configENS1_35radix_sort_onesweep_config_selectorIdNS0_10empty_typeEEEZZNS1_29radix_sort_onesweep_iterationIS3_Lb1EPKdPdPS5_SB_mNS0_19identity_decomposerENS1_16block_id_wrapperIjLb1EEEEE10hipError_tT1_PNSt15iterator_traitsISG_E10value_typeET2_T3_PNSH_ISM_E10value_typeET4_T5_PSR_SS_PNS1_23onesweep_lookback_stateEbbT6_jjT7_P12ihipStream_tbENKUlT_T0_SG_SL_E_clIS9_SA_SB_SB_EEDaSZ_S10_SG_SL_EUlSZ_E_NS1_11comp_targetILNS1_3genE0ELNS1_11target_archE4294967295ELNS1_3gpuE0ELNS1_3repE0EEENS1_47radix_sort_onesweep_sort_config_static_selectorELNS0_4arch9wavefront6targetE0EEEvSG_
                                        ; -- End function
	.set _ZN7rocprim17ROCPRIM_400000_NS6detail17trampoline_kernelINS0_14default_configENS1_35radix_sort_onesweep_config_selectorIdNS0_10empty_typeEEEZZNS1_29radix_sort_onesweep_iterationIS3_Lb1EPKdPdPS5_SB_mNS0_19identity_decomposerENS1_16block_id_wrapperIjLb1EEEEE10hipError_tT1_PNSt15iterator_traitsISG_E10value_typeET2_T3_PNSH_ISM_E10value_typeET4_T5_PSR_SS_PNS1_23onesweep_lookback_stateEbbT6_jjT7_P12ihipStream_tbENKUlT_T0_SG_SL_E_clIS9_SA_SB_SB_EEDaSZ_S10_SG_SL_EUlSZ_E_NS1_11comp_targetILNS1_3genE0ELNS1_11target_archE4294967295ELNS1_3gpuE0ELNS1_3repE0EEENS1_47radix_sort_onesweep_sort_config_static_selectorELNS0_4arch9wavefront6targetE0EEEvSG_.num_vgpr, 57
	.set _ZN7rocprim17ROCPRIM_400000_NS6detail17trampoline_kernelINS0_14default_configENS1_35radix_sort_onesweep_config_selectorIdNS0_10empty_typeEEEZZNS1_29radix_sort_onesweep_iterationIS3_Lb1EPKdPdPS5_SB_mNS0_19identity_decomposerENS1_16block_id_wrapperIjLb1EEEEE10hipError_tT1_PNSt15iterator_traitsISG_E10value_typeET2_T3_PNSH_ISM_E10value_typeET4_T5_PSR_SS_PNS1_23onesweep_lookback_stateEbbT6_jjT7_P12ihipStream_tbENKUlT_T0_SG_SL_E_clIS9_SA_SB_SB_EEDaSZ_S10_SG_SL_EUlSZ_E_NS1_11comp_targetILNS1_3genE0ELNS1_11target_archE4294967295ELNS1_3gpuE0ELNS1_3repE0EEENS1_47radix_sort_onesweep_sort_config_static_selectorELNS0_4arch9wavefront6targetE0EEEvSG_.num_agpr, 0
	.set _ZN7rocprim17ROCPRIM_400000_NS6detail17trampoline_kernelINS0_14default_configENS1_35radix_sort_onesweep_config_selectorIdNS0_10empty_typeEEEZZNS1_29radix_sort_onesweep_iterationIS3_Lb1EPKdPdPS5_SB_mNS0_19identity_decomposerENS1_16block_id_wrapperIjLb1EEEEE10hipError_tT1_PNSt15iterator_traitsISG_E10value_typeET2_T3_PNSH_ISM_E10value_typeET4_T5_PSR_SS_PNS1_23onesweep_lookback_stateEbbT6_jjT7_P12ihipStream_tbENKUlT_T0_SG_SL_E_clIS9_SA_SB_SB_EEDaSZ_S10_SG_SL_EUlSZ_E_NS1_11comp_targetILNS1_3genE0ELNS1_11target_archE4294967295ELNS1_3gpuE0ELNS1_3repE0EEENS1_47radix_sort_onesweep_sort_config_static_selectorELNS0_4arch9wavefront6targetE0EEEvSG_.numbered_sgpr, 31
	.set _ZN7rocprim17ROCPRIM_400000_NS6detail17trampoline_kernelINS0_14default_configENS1_35radix_sort_onesweep_config_selectorIdNS0_10empty_typeEEEZZNS1_29radix_sort_onesweep_iterationIS3_Lb1EPKdPdPS5_SB_mNS0_19identity_decomposerENS1_16block_id_wrapperIjLb1EEEEE10hipError_tT1_PNSt15iterator_traitsISG_E10value_typeET2_T3_PNSH_ISM_E10value_typeET4_T5_PSR_SS_PNS1_23onesweep_lookback_stateEbbT6_jjT7_P12ihipStream_tbENKUlT_T0_SG_SL_E_clIS9_SA_SB_SB_EEDaSZ_S10_SG_SL_EUlSZ_E_NS1_11comp_targetILNS1_3genE0ELNS1_11target_archE4294967295ELNS1_3gpuE0ELNS1_3repE0EEENS1_47radix_sort_onesweep_sort_config_static_selectorELNS0_4arch9wavefront6targetE0EEEvSG_.num_named_barrier, 0
	.set _ZN7rocprim17ROCPRIM_400000_NS6detail17trampoline_kernelINS0_14default_configENS1_35radix_sort_onesweep_config_selectorIdNS0_10empty_typeEEEZZNS1_29radix_sort_onesweep_iterationIS3_Lb1EPKdPdPS5_SB_mNS0_19identity_decomposerENS1_16block_id_wrapperIjLb1EEEEE10hipError_tT1_PNSt15iterator_traitsISG_E10value_typeET2_T3_PNSH_ISM_E10value_typeET4_T5_PSR_SS_PNS1_23onesweep_lookback_stateEbbT6_jjT7_P12ihipStream_tbENKUlT_T0_SG_SL_E_clIS9_SA_SB_SB_EEDaSZ_S10_SG_SL_EUlSZ_E_NS1_11comp_targetILNS1_3genE0ELNS1_11target_archE4294967295ELNS1_3gpuE0ELNS1_3repE0EEENS1_47radix_sort_onesweep_sort_config_static_selectorELNS0_4arch9wavefront6targetE0EEEvSG_.private_seg_size, 0
	.set _ZN7rocprim17ROCPRIM_400000_NS6detail17trampoline_kernelINS0_14default_configENS1_35radix_sort_onesweep_config_selectorIdNS0_10empty_typeEEEZZNS1_29radix_sort_onesweep_iterationIS3_Lb1EPKdPdPS5_SB_mNS0_19identity_decomposerENS1_16block_id_wrapperIjLb1EEEEE10hipError_tT1_PNSt15iterator_traitsISG_E10value_typeET2_T3_PNSH_ISM_E10value_typeET4_T5_PSR_SS_PNS1_23onesweep_lookback_stateEbbT6_jjT7_P12ihipStream_tbENKUlT_T0_SG_SL_E_clIS9_SA_SB_SB_EEDaSZ_S10_SG_SL_EUlSZ_E_NS1_11comp_targetILNS1_3genE0ELNS1_11target_archE4294967295ELNS1_3gpuE0ELNS1_3repE0EEENS1_47radix_sort_onesweep_sort_config_static_selectorELNS0_4arch9wavefront6targetE0EEEvSG_.uses_vcc, 1
	.set _ZN7rocprim17ROCPRIM_400000_NS6detail17trampoline_kernelINS0_14default_configENS1_35radix_sort_onesweep_config_selectorIdNS0_10empty_typeEEEZZNS1_29radix_sort_onesweep_iterationIS3_Lb1EPKdPdPS5_SB_mNS0_19identity_decomposerENS1_16block_id_wrapperIjLb1EEEEE10hipError_tT1_PNSt15iterator_traitsISG_E10value_typeET2_T3_PNSH_ISM_E10value_typeET4_T5_PSR_SS_PNS1_23onesweep_lookback_stateEbbT6_jjT7_P12ihipStream_tbENKUlT_T0_SG_SL_E_clIS9_SA_SB_SB_EEDaSZ_S10_SG_SL_EUlSZ_E_NS1_11comp_targetILNS1_3genE0ELNS1_11target_archE4294967295ELNS1_3gpuE0ELNS1_3repE0EEENS1_47radix_sort_onesweep_sort_config_static_selectorELNS0_4arch9wavefront6targetE0EEEvSG_.uses_flat_scratch, 0
	.set _ZN7rocprim17ROCPRIM_400000_NS6detail17trampoline_kernelINS0_14default_configENS1_35radix_sort_onesweep_config_selectorIdNS0_10empty_typeEEEZZNS1_29radix_sort_onesweep_iterationIS3_Lb1EPKdPdPS5_SB_mNS0_19identity_decomposerENS1_16block_id_wrapperIjLb1EEEEE10hipError_tT1_PNSt15iterator_traitsISG_E10value_typeET2_T3_PNSH_ISM_E10value_typeET4_T5_PSR_SS_PNS1_23onesweep_lookback_stateEbbT6_jjT7_P12ihipStream_tbENKUlT_T0_SG_SL_E_clIS9_SA_SB_SB_EEDaSZ_S10_SG_SL_EUlSZ_E_NS1_11comp_targetILNS1_3genE0ELNS1_11target_archE4294967295ELNS1_3gpuE0ELNS1_3repE0EEENS1_47radix_sort_onesweep_sort_config_static_selectorELNS0_4arch9wavefront6targetE0EEEvSG_.has_dyn_sized_stack, 0
	.set _ZN7rocprim17ROCPRIM_400000_NS6detail17trampoline_kernelINS0_14default_configENS1_35radix_sort_onesweep_config_selectorIdNS0_10empty_typeEEEZZNS1_29radix_sort_onesweep_iterationIS3_Lb1EPKdPdPS5_SB_mNS0_19identity_decomposerENS1_16block_id_wrapperIjLb1EEEEE10hipError_tT1_PNSt15iterator_traitsISG_E10value_typeET2_T3_PNSH_ISM_E10value_typeET4_T5_PSR_SS_PNS1_23onesweep_lookback_stateEbbT6_jjT7_P12ihipStream_tbENKUlT_T0_SG_SL_E_clIS9_SA_SB_SB_EEDaSZ_S10_SG_SL_EUlSZ_E_NS1_11comp_targetILNS1_3genE0ELNS1_11target_archE4294967295ELNS1_3gpuE0ELNS1_3repE0EEENS1_47radix_sort_onesweep_sort_config_static_selectorELNS0_4arch9wavefront6targetE0EEEvSG_.has_recursion, 0
	.set _ZN7rocprim17ROCPRIM_400000_NS6detail17trampoline_kernelINS0_14default_configENS1_35radix_sort_onesweep_config_selectorIdNS0_10empty_typeEEEZZNS1_29radix_sort_onesweep_iterationIS3_Lb1EPKdPdPS5_SB_mNS0_19identity_decomposerENS1_16block_id_wrapperIjLb1EEEEE10hipError_tT1_PNSt15iterator_traitsISG_E10value_typeET2_T3_PNSH_ISM_E10value_typeET4_T5_PSR_SS_PNS1_23onesweep_lookback_stateEbbT6_jjT7_P12ihipStream_tbENKUlT_T0_SG_SL_E_clIS9_SA_SB_SB_EEDaSZ_S10_SG_SL_EUlSZ_E_NS1_11comp_targetILNS1_3genE0ELNS1_11target_archE4294967295ELNS1_3gpuE0ELNS1_3repE0EEENS1_47radix_sort_onesweep_sort_config_static_selectorELNS0_4arch9wavefront6targetE0EEEvSG_.has_indirect_call, 0
	.section	.AMDGPU.csdata,"",@progbits
; Kernel info:
; codeLenInByte = 12808
; TotalNumSgprs: 33
; NumVgprs: 57
; ScratchSize: 0
; MemoryBound: 0
; FloatMode: 240
; IeeeMode: 1
; LDSByteSize: 18504 bytes/workgroup (compile time only)
; SGPRBlocks: 0
; VGPRBlocks: 3
; NumSGPRsForWavesPerEU: 33
; NumVGPRsForWavesPerEU: 57
; NamedBarCnt: 0
; Occupancy: 16
; WaveLimiterHint : 1
; COMPUTE_PGM_RSRC2:SCRATCH_EN: 0
; COMPUTE_PGM_RSRC2:USER_SGPR: 2
; COMPUTE_PGM_RSRC2:TRAP_HANDLER: 0
; COMPUTE_PGM_RSRC2:TGID_X_EN: 1
; COMPUTE_PGM_RSRC2:TGID_Y_EN: 0
; COMPUTE_PGM_RSRC2:TGID_Z_EN: 0
; COMPUTE_PGM_RSRC2:TIDIG_COMP_CNT: 2
	.section	.text._ZN7rocprim17ROCPRIM_400000_NS6detail17trampoline_kernelINS0_14default_configENS1_35radix_sort_onesweep_config_selectorIdNS0_10empty_typeEEEZZNS1_29radix_sort_onesweep_iterationIS3_Lb1EPKdPdPS5_SB_mNS0_19identity_decomposerENS1_16block_id_wrapperIjLb1EEEEE10hipError_tT1_PNSt15iterator_traitsISG_E10value_typeET2_T3_PNSH_ISM_E10value_typeET4_T5_PSR_SS_PNS1_23onesweep_lookback_stateEbbT6_jjT7_P12ihipStream_tbENKUlT_T0_SG_SL_E_clIS9_SA_SB_SB_EEDaSZ_S10_SG_SL_EUlSZ_E_NS1_11comp_targetILNS1_3genE6ELNS1_11target_archE950ELNS1_3gpuE13ELNS1_3repE0EEENS1_47radix_sort_onesweep_sort_config_static_selectorELNS0_4arch9wavefront6targetE0EEEvSG_,"axG",@progbits,_ZN7rocprim17ROCPRIM_400000_NS6detail17trampoline_kernelINS0_14default_configENS1_35radix_sort_onesweep_config_selectorIdNS0_10empty_typeEEEZZNS1_29radix_sort_onesweep_iterationIS3_Lb1EPKdPdPS5_SB_mNS0_19identity_decomposerENS1_16block_id_wrapperIjLb1EEEEE10hipError_tT1_PNSt15iterator_traitsISG_E10value_typeET2_T3_PNSH_ISM_E10value_typeET4_T5_PSR_SS_PNS1_23onesweep_lookback_stateEbbT6_jjT7_P12ihipStream_tbENKUlT_T0_SG_SL_E_clIS9_SA_SB_SB_EEDaSZ_S10_SG_SL_EUlSZ_E_NS1_11comp_targetILNS1_3genE6ELNS1_11target_archE950ELNS1_3gpuE13ELNS1_3repE0EEENS1_47radix_sort_onesweep_sort_config_static_selectorELNS0_4arch9wavefront6targetE0EEEvSG_,comdat
	.protected	_ZN7rocprim17ROCPRIM_400000_NS6detail17trampoline_kernelINS0_14default_configENS1_35radix_sort_onesweep_config_selectorIdNS0_10empty_typeEEEZZNS1_29radix_sort_onesweep_iterationIS3_Lb1EPKdPdPS5_SB_mNS0_19identity_decomposerENS1_16block_id_wrapperIjLb1EEEEE10hipError_tT1_PNSt15iterator_traitsISG_E10value_typeET2_T3_PNSH_ISM_E10value_typeET4_T5_PSR_SS_PNS1_23onesweep_lookback_stateEbbT6_jjT7_P12ihipStream_tbENKUlT_T0_SG_SL_E_clIS9_SA_SB_SB_EEDaSZ_S10_SG_SL_EUlSZ_E_NS1_11comp_targetILNS1_3genE6ELNS1_11target_archE950ELNS1_3gpuE13ELNS1_3repE0EEENS1_47radix_sort_onesweep_sort_config_static_selectorELNS0_4arch9wavefront6targetE0EEEvSG_ ; -- Begin function _ZN7rocprim17ROCPRIM_400000_NS6detail17trampoline_kernelINS0_14default_configENS1_35radix_sort_onesweep_config_selectorIdNS0_10empty_typeEEEZZNS1_29radix_sort_onesweep_iterationIS3_Lb1EPKdPdPS5_SB_mNS0_19identity_decomposerENS1_16block_id_wrapperIjLb1EEEEE10hipError_tT1_PNSt15iterator_traitsISG_E10value_typeET2_T3_PNSH_ISM_E10value_typeET4_T5_PSR_SS_PNS1_23onesweep_lookback_stateEbbT6_jjT7_P12ihipStream_tbENKUlT_T0_SG_SL_E_clIS9_SA_SB_SB_EEDaSZ_S10_SG_SL_EUlSZ_E_NS1_11comp_targetILNS1_3genE6ELNS1_11target_archE950ELNS1_3gpuE13ELNS1_3repE0EEENS1_47radix_sort_onesweep_sort_config_static_selectorELNS0_4arch9wavefront6targetE0EEEvSG_
	.globl	_ZN7rocprim17ROCPRIM_400000_NS6detail17trampoline_kernelINS0_14default_configENS1_35radix_sort_onesweep_config_selectorIdNS0_10empty_typeEEEZZNS1_29radix_sort_onesweep_iterationIS3_Lb1EPKdPdPS5_SB_mNS0_19identity_decomposerENS1_16block_id_wrapperIjLb1EEEEE10hipError_tT1_PNSt15iterator_traitsISG_E10value_typeET2_T3_PNSH_ISM_E10value_typeET4_T5_PSR_SS_PNS1_23onesweep_lookback_stateEbbT6_jjT7_P12ihipStream_tbENKUlT_T0_SG_SL_E_clIS9_SA_SB_SB_EEDaSZ_S10_SG_SL_EUlSZ_E_NS1_11comp_targetILNS1_3genE6ELNS1_11target_archE950ELNS1_3gpuE13ELNS1_3repE0EEENS1_47radix_sort_onesweep_sort_config_static_selectorELNS0_4arch9wavefront6targetE0EEEvSG_
	.p2align	8
	.type	_ZN7rocprim17ROCPRIM_400000_NS6detail17trampoline_kernelINS0_14default_configENS1_35radix_sort_onesweep_config_selectorIdNS0_10empty_typeEEEZZNS1_29radix_sort_onesweep_iterationIS3_Lb1EPKdPdPS5_SB_mNS0_19identity_decomposerENS1_16block_id_wrapperIjLb1EEEEE10hipError_tT1_PNSt15iterator_traitsISG_E10value_typeET2_T3_PNSH_ISM_E10value_typeET4_T5_PSR_SS_PNS1_23onesweep_lookback_stateEbbT6_jjT7_P12ihipStream_tbENKUlT_T0_SG_SL_E_clIS9_SA_SB_SB_EEDaSZ_S10_SG_SL_EUlSZ_E_NS1_11comp_targetILNS1_3genE6ELNS1_11target_archE950ELNS1_3gpuE13ELNS1_3repE0EEENS1_47radix_sort_onesweep_sort_config_static_selectorELNS0_4arch9wavefront6targetE0EEEvSG_,@function
_ZN7rocprim17ROCPRIM_400000_NS6detail17trampoline_kernelINS0_14default_configENS1_35radix_sort_onesweep_config_selectorIdNS0_10empty_typeEEEZZNS1_29radix_sort_onesweep_iterationIS3_Lb1EPKdPdPS5_SB_mNS0_19identity_decomposerENS1_16block_id_wrapperIjLb1EEEEE10hipError_tT1_PNSt15iterator_traitsISG_E10value_typeET2_T3_PNSH_ISM_E10value_typeET4_T5_PSR_SS_PNS1_23onesweep_lookback_stateEbbT6_jjT7_P12ihipStream_tbENKUlT_T0_SG_SL_E_clIS9_SA_SB_SB_EEDaSZ_S10_SG_SL_EUlSZ_E_NS1_11comp_targetILNS1_3genE6ELNS1_11target_archE950ELNS1_3gpuE13ELNS1_3repE0EEENS1_47radix_sort_onesweep_sort_config_static_selectorELNS0_4arch9wavefront6targetE0EEEvSG_: ; @_ZN7rocprim17ROCPRIM_400000_NS6detail17trampoline_kernelINS0_14default_configENS1_35radix_sort_onesweep_config_selectorIdNS0_10empty_typeEEEZZNS1_29radix_sort_onesweep_iterationIS3_Lb1EPKdPdPS5_SB_mNS0_19identity_decomposerENS1_16block_id_wrapperIjLb1EEEEE10hipError_tT1_PNSt15iterator_traitsISG_E10value_typeET2_T3_PNSH_ISM_E10value_typeET4_T5_PSR_SS_PNS1_23onesweep_lookback_stateEbbT6_jjT7_P12ihipStream_tbENKUlT_T0_SG_SL_E_clIS9_SA_SB_SB_EEDaSZ_S10_SG_SL_EUlSZ_E_NS1_11comp_targetILNS1_3genE6ELNS1_11target_archE950ELNS1_3gpuE13ELNS1_3repE0EEENS1_47radix_sort_onesweep_sort_config_static_selectorELNS0_4arch9wavefront6targetE0EEEvSG_
; %bb.0:
	.section	.rodata,"a",@progbits
	.p2align	6, 0x0
	.amdhsa_kernel _ZN7rocprim17ROCPRIM_400000_NS6detail17trampoline_kernelINS0_14default_configENS1_35radix_sort_onesweep_config_selectorIdNS0_10empty_typeEEEZZNS1_29radix_sort_onesweep_iterationIS3_Lb1EPKdPdPS5_SB_mNS0_19identity_decomposerENS1_16block_id_wrapperIjLb1EEEEE10hipError_tT1_PNSt15iterator_traitsISG_E10value_typeET2_T3_PNSH_ISM_E10value_typeET4_T5_PSR_SS_PNS1_23onesweep_lookback_stateEbbT6_jjT7_P12ihipStream_tbENKUlT_T0_SG_SL_E_clIS9_SA_SB_SB_EEDaSZ_S10_SG_SL_EUlSZ_E_NS1_11comp_targetILNS1_3genE6ELNS1_11target_archE950ELNS1_3gpuE13ELNS1_3repE0EEENS1_47radix_sort_onesweep_sort_config_static_selectorELNS0_4arch9wavefront6targetE0EEEvSG_
		.amdhsa_group_segment_fixed_size 0
		.amdhsa_private_segment_fixed_size 0
		.amdhsa_kernarg_size 88
		.amdhsa_user_sgpr_count 2
		.amdhsa_user_sgpr_dispatch_ptr 0
		.amdhsa_user_sgpr_queue_ptr 0
		.amdhsa_user_sgpr_kernarg_segment_ptr 1
		.amdhsa_user_sgpr_dispatch_id 0
		.amdhsa_user_sgpr_kernarg_preload_length 0
		.amdhsa_user_sgpr_kernarg_preload_offset 0
		.amdhsa_user_sgpr_private_segment_size 0
		.amdhsa_wavefront_size32 1
		.amdhsa_uses_dynamic_stack 0
		.amdhsa_enable_private_segment 0
		.amdhsa_system_sgpr_workgroup_id_x 1
		.amdhsa_system_sgpr_workgroup_id_y 0
		.amdhsa_system_sgpr_workgroup_id_z 0
		.amdhsa_system_sgpr_workgroup_info 0
		.amdhsa_system_vgpr_workitem_id 0
		.amdhsa_next_free_vgpr 1
		.amdhsa_next_free_sgpr 1
		.amdhsa_named_barrier_count 0
		.amdhsa_reserve_vcc 0
		.amdhsa_float_round_mode_32 0
		.amdhsa_float_round_mode_16_64 0
		.amdhsa_float_denorm_mode_32 3
		.amdhsa_float_denorm_mode_16_64 3
		.amdhsa_fp16_overflow 0
		.amdhsa_memory_ordered 1
		.amdhsa_forward_progress 1
		.amdhsa_inst_pref_size 0
		.amdhsa_round_robin_scheduling 0
		.amdhsa_exception_fp_ieee_invalid_op 0
		.amdhsa_exception_fp_denorm_src 0
		.amdhsa_exception_fp_ieee_div_zero 0
		.amdhsa_exception_fp_ieee_overflow 0
		.amdhsa_exception_fp_ieee_underflow 0
		.amdhsa_exception_fp_ieee_inexact 0
		.amdhsa_exception_int_div_zero 0
	.end_amdhsa_kernel
	.section	.text._ZN7rocprim17ROCPRIM_400000_NS6detail17trampoline_kernelINS0_14default_configENS1_35radix_sort_onesweep_config_selectorIdNS0_10empty_typeEEEZZNS1_29radix_sort_onesweep_iterationIS3_Lb1EPKdPdPS5_SB_mNS0_19identity_decomposerENS1_16block_id_wrapperIjLb1EEEEE10hipError_tT1_PNSt15iterator_traitsISG_E10value_typeET2_T3_PNSH_ISM_E10value_typeET4_T5_PSR_SS_PNS1_23onesweep_lookback_stateEbbT6_jjT7_P12ihipStream_tbENKUlT_T0_SG_SL_E_clIS9_SA_SB_SB_EEDaSZ_S10_SG_SL_EUlSZ_E_NS1_11comp_targetILNS1_3genE6ELNS1_11target_archE950ELNS1_3gpuE13ELNS1_3repE0EEENS1_47radix_sort_onesweep_sort_config_static_selectorELNS0_4arch9wavefront6targetE0EEEvSG_,"axG",@progbits,_ZN7rocprim17ROCPRIM_400000_NS6detail17trampoline_kernelINS0_14default_configENS1_35radix_sort_onesweep_config_selectorIdNS0_10empty_typeEEEZZNS1_29radix_sort_onesweep_iterationIS3_Lb1EPKdPdPS5_SB_mNS0_19identity_decomposerENS1_16block_id_wrapperIjLb1EEEEE10hipError_tT1_PNSt15iterator_traitsISG_E10value_typeET2_T3_PNSH_ISM_E10value_typeET4_T5_PSR_SS_PNS1_23onesweep_lookback_stateEbbT6_jjT7_P12ihipStream_tbENKUlT_T0_SG_SL_E_clIS9_SA_SB_SB_EEDaSZ_S10_SG_SL_EUlSZ_E_NS1_11comp_targetILNS1_3genE6ELNS1_11target_archE950ELNS1_3gpuE13ELNS1_3repE0EEENS1_47radix_sort_onesweep_sort_config_static_selectorELNS0_4arch9wavefront6targetE0EEEvSG_,comdat
.Lfunc_end1519:
	.size	_ZN7rocprim17ROCPRIM_400000_NS6detail17trampoline_kernelINS0_14default_configENS1_35radix_sort_onesweep_config_selectorIdNS0_10empty_typeEEEZZNS1_29radix_sort_onesweep_iterationIS3_Lb1EPKdPdPS5_SB_mNS0_19identity_decomposerENS1_16block_id_wrapperIjLb1EEEEE10hipError_tT1_PNSt15iterator_traitsISG_E10value_typeET2_T3_PNSH_ISM_E10value_typeET4_T5_PSR_SS_PNS1_23onesweep_lookback_stateEbbT6_jjT7_P12ihipStream_tbENKUlT_T0_SG_SL_E_clIS9_SA_SB_SB_EEDaSZ_S10_SG_SL_EUlSZ_E_NS1_11comp_targetILNS1_3genE6ELNS1_11target_archE950ELNS1_3gpuE13ELNS1_3repE0EEENS1_47radix_sort_onesweep_sort_config_static_selectorELNS0_4arch9wavefront6targetE0EEEvSG_, .Lfunc_end1519-_ZN7rocprim17ROCPRIM_400000_NS6detail17trampoline_kernelINS0_14default_configENS1_35radix_sort_onesweep_config_selectorIdNS0_10empty_typeEEEZZNS1_29radix_sort_onesweep_iterationIS3_Lb1EPKdPdPS5_SB_mNS0_19identity_decomposerENS1_16block_id_wrapperIjLb1EEEEE10hipError_tT1_PNSt15iterator_traitsISG_E10value_typeET2_T3_PNSH_ISM_E10value_typeET4_T5_PSR_SS_PNS1_23onesweep_lookback_stateEbbT6_jjT7_P12ihipStream_tbENKUlT_T0_SG_SL_E_clIS9_SA_SB_SB_EEDaSZ_S10_SG_SL_EUlSZ_E_NS1_11comp_targetILNS1_3genE6ELNS1_11target_archE950ELNS1_3gpuE13ELNS1_3repE0EEENS1_47radix_sort_onesweep_sort_config_static_selectorELNS0_4arch9wavefront6targetE0EEEvSG_
                                        ; -- End function
	.set _ZN7rocprim17ROCPRIM_400000_NS6detail17trampoline_kernelINS0_14default_configENS1_35radix_sort_onesweep_config_selectorIdNS0_10empty_typeEEEZZNS1_29radix_sort_onesweep_iterationIS3_Lb1EPKdPdPS5_SB_mNS0_19identity_decomposerENS1_16block_id_wrapperIjLb1EEEEE10hipError_tT1_PNSt15iterator_traitsISG_E10value_typeET2_T3_PNSH_ISM_E10value_typeET4_T5_PSR_SS_PNS1_23onesweep_lookback_stateEbbT6_jjT7_P12ihipStream_tbENKUlT_T0_SG_SL_E_clIS9_SA_SB_SB_EEDaSZ_S10_SG_SL_EUlSZ_E_NS1_11comp_targetILNS1_3genE6ELNS1_11target_archE950ELNS1_3gpuE13ELNS1_3repE0EEENS1_47radix_sort_onesweep_sort_config_static_selectorELNS0_4arch9wavefront6targetE0EEEvSG_.num_vgpr, 0
	.set _ZN7rocprim17ROCPRIM_400000_NS6detail17trampoline_kernelINS0_14default_configENS1_35radix_sort_onesweep_config_selectorIdNS0_10empty_typeEEEZZNS1_29radix_sort_onesweep_iterationIS3_Lb1EPKdPdPS5_SB_mNS0_19identity_decomposerENS1_16block_id_wrapperIjLb1EEEEE10hipError_tT1_PNSt15iterator_traitsISG_E10value_typeET2_T3_PNSH_ISM_E10value_typeET4_T5_PSR_SS_PNS1_23onesweep_lookback_stateEbbT6_jjT7_P12ihipStream_tbENKUlT_T0_SG_SL_E_clIS9_SA_SB_SB_EEDaSZ_S10_SG_SL_EUlSZ_E_NS1_11comp_targetILNS1_3genE6ELNS1_11target_archE950ELNS1_3gpuE13ELNS1_3repE0EEENS1_47radix_sort_onesweep_sort_config_static_selectorELNS0_4arch9wavefront6targetE0EEEvSG_.num_agpr, 0
	.set _ZN7rocprim17ROCPRIM_400000_NS6detail17trampoline_kernelINS0_14default_configENS1_35radix_sort_onesweep_config_selectorIdNS0_10empty_typeEEEZZNS1_29radix_sort_onesweep_iterationIS3_Lb1EPKdPdPS5_SB_mNS0_19identity_decomposerENS1_16block_id_wrapperIjLb1EEEEE10hipError_tT1_PNSt15iterator_traitsISG_E10value_typeET2_T3_PNSH_ISM_E10value_typeET4_T5_PSR_SS_PNS1_23onesweep_lookback_stateEbbT6_jjT7_P12ihipStream_tbENKUlT_T0_SG_SL_E_clIS9_SA_SB_SB_EEDaSZ_S10_SG_SL_EUlSZ_E_NS1_11comp_targetILNS1_3genE6ELNS1_11target_archE950ELNS1_3gpuE13ELNS1_3repE0EEENS1_47radix_sort_onesweep_sort_config_static_selectorELNS0_4arch9wavefront6targetE0EEEvSG_.numbered_sgpr, 0
	.set _ZN7rocprim17ROCPRIM_400000_NS6detail17trampoline_kernelINS0_14default_configENS1_35radix_sort_onesweep_config_selectorIdNS0_10empty_typeEEEZZNS1_29radix_sort_onesweep_iterationIS3_Lb1EPKdPdPS5_SB_mNS0_19identity_decomposerENS1_16block_id_wrapperIjLb1EEEEE10hipError_tT1_PNSt15iterator_traitsISG_E10value_typeET2_T3_PNSH_ISM_E10value_typeET4_T5_PSR_SS_PNS1_23onesweep_lookback_stateEbbT6_jjT7_P12ihipStream_tbENKUlT_T0_SG_SL_E_clIS9_SA_SB_SB_EEDaSZ_S10_SG_SL_EUlSZ_E_NS1_11comp_targetILNS1_3genE6ELNS1_11target_archE950ELNS1_3gpuE13ELNS1_3repE0EEENS1_47radix_sort_onesweep_sort_config_static_selectorELNS0_4arch9wavefront6targetE0EEEvSG_.num_named_barrier, 0
	.set _ZN7rocprim17ROCPRIM_400000_NS6detail17trampoline_kernelINS0_14default_configENS1_35radix_sort_onesweep_config_selectorIdNS0_10empty_typeEEEZZNS1_29radix_sort_onesweep_iterationIS3_Lb1EPKdPdPS5_SB_mNS0_19identity_decomposerENS1_16block_id_wrapperIjLb1EEEEE10hipError_tT1_PNSt15iterator_traitsISG_E10value_typeET2_T3_PNSH_ISM_E10value_typeET4_T5_PSR_SS_PNS1_23onesweep_lookback_stateEbbT6_jjT7_P12ihipStream_tbENKUlT_T0_SG_SL_E_clIS9_SA_SB_SB_EEDaSZ_S10_SG_SL_EUlSZ_E_NS1_11comp_targetILNS1_3genE6ELNS1_11target_archE950ELNS1_3gpuE13ELNS1_3repE0EEENS1_47radix_sort_onesweep_sort_config_static_selectorELNS0_4arch9wavefront6targetE0EEEvSG_.private_seg_size, 0
	.set _ZN7rocprim17ROCPRIM_400000_NS6detail17trampoline_kernelINS0_14default_configENS1_35radix_sort_onesweep_config_selectorIdNS0_10empty_typeEEEZZNS1_29radix_sort_onesweep_iterationIS3_Lb1EPKdPdPS5_SB_mNS0_19identity_decomposerENS1_16block_id_wrapperIjLb1EEEEE10hipError_tT1_PNSt15iterator_traitsISG_E10value_typeET2_T3_PNSH_ISM_E10value_typeET4_T5_PSR_SS_PNS1_23onesweep_lookback_stateEbbT6_jjT7_P12ihipStream_tbENKUlT_T0_SG_SL_E_clIS9_SA_SB_SB_EEDaSZ_S10_SG_SL_EUlSZ_E_NS1_11comp_targetILNS1_3genE6ELNS1_11target_archE950ELNS1_3gpuE13ELNS1_3repE0EEENS1_47radix_sort_onesweep_sort_config_static_selectorELNS0_4arch9wavefront6targetE0EEEvSG_.uses_vcc, 0
	.set _ZN7rocprim17ROCPRIM_400000_NS6detail17trampoline_kernelINS0_14default_configENS1_35radix_sort_onesweep_config_selectorIdNS0_10empty_typeEEEZZNS1_29radix_sort_onesweep_iterationIS3_Lb1EPKdPdPS5_SB_mNS0_19identity_decomposerENS1_16block_id_wrapperIjLb1EEEEE10hipError_tT1_PNSt15iterator_traitsISG_E10value_typeET2_T3_PNSH_ISM_E10value_typeET4_T5_PSR_SS_PNS1_23onesweep_lookback_stateEbbT6_jjT7_P12ihipStream_tbENKUlT_T0_SG_SL_E_clIS9_SA_SB_SB_EEDaSZ_S10_SG_SL_EUlSZ_E_NS1_11comp_targetILNS1_3genE6ELNS1_11target_archE950ELNS1_3gpuE13ELNS1_3repE0EEENS1_47radix_sort_onesweep_sort_config_static_selectorELNS0_4arch9wavefront6targetE0EEEvSG_.uses_flat_scratch, 0
	.set _ZN7rocprim17ROCPRIM_400000_NS6detail17trampoline_kernelINS0_14default_configENS1_35radix_sort_onesweep_config_selectorIdNS0_10empty_typeEEEZZNS1_29radix_sort_onesweep_iterationIS3_Lb1EPKdPdPS5_SB_mNS0_19identity_decomposerENS1_16block_id_wrapperIjLb1EEEEE10hipError_tT1_PNSt15iterator_traitsISG_E10value_typeET2_T3_PNSH_ISM_E10value_typeET4_T5_PSR_SS_PNS1_23onesweep_lookback_stateEbbT6_jjT7_P12ihipStream_tbENKUlT_T0_SG_SL_E_clIS9_SA_SB_SB_EEDaSZ_S10_SG_SL_EUlSZ_E_NS1_11comp_targetILNS1_3genE6ELNS1_11target_archE950ELNS1_3gpuE13ELNS1_3repE0EEENS1_47radix_sort_onesweep_sort_config_static_selectorELNS0_4arch9wavefront6targetE0EEEvSG_.has_dyn_sized_stack, 0
	.set _ZN7rocprim17ROCPRIM_400000_NS6detail17trampoline_kernelINS0_14default_configENS1_35radix_sort_onesweep_config_selectorIdNS0_10empty_typeEEEZZNS1_29radix_sort_onesweep_iterationIS3_Lb1EPKdPdPS5_SB_mNS0_19identity_decomposerENS1_16block_id_wrapperIjLb1EEEEE10hipError_tT1_PNSt15iterator_traitsISG_E10value_typeET2_T3_PNSH_ISM_E10value_typeET4_T5_PSR_SS_PNS1_23onesweep_lookback_stateEbbT6_jjT7_P12ihipStream_tbENKUlT_T0_SG_SL_E_clIS9_SA_SB_SB_EEDaSZ_S10_SG_SL_EUlSZ_E_NS1_11comp_targetILNS1_3genE6ELNS1_11target_archE950ELNS1_3gpuE13ELNS1_3repE0EEENS1_47radix_sort_onesweep_sort_config_static_selectorELNS0_4arch9wavefront6targetE0EEEvSG_.has_recursion, 0
	.set _ZN7rocprim17ROCPRIM_400000_NS6detail17trampoline_kernelINS0_14default_configENS1_35radix_sort_onesweep_config_selectorIdNS0_10empty_typeEEEZZNS1_29radix_sort_onesweep_iterationIS3_Lb1EPKdPdPS5_SB_mNS0_19identity_decomposerENS1_16block_id_wrapperIjLb1EEEEE10hipError_tT1_PNSt15iterator_traitsISG_E10value_typeET2_T3_PNSH_ISM_E10value_typeET4_T5_PSR_SS_PNS1_23onesweep_lookback_stateEbbT6_jjT7_P12ihipStream_tbENKUlT_T0_SG_SL_E_clIS9_SA_SB_SB_EEDaSZ_S10_SG_SL_EUlSZ_E_NS1_11comp_targetILNS1_3genE6ELNS1_11target_archE950ELNS1_3gpuE13ELNS1_3repE0EEENS1_47radix_sort_onesweep_sort_config_static_selectorELNS0_4arch9wavefront6targetE0EEEvSG_.has_indirect_call, 0
	.section	.AMDGPU.csdata,"",@progbits
; Kernel info:
; codeLenInByte = 0
; TotalNumSgprs: 0
; NumVgprs: 0
; ScratchSize: 0
; MemoryBound: 0
; FloatMode: 240
; IeeeMode: 1
; LDSByteSize: 0 bytes/workgroup (compile time only)
; SGPRBlocks: 0
; VGPRBlocks: 0
; NumSGPRsForWavesPerEU: 1
; NumVGPRsForWavesPerEU: 1
; NamedBarCnt: 0
; Occupancy: 16
; WaveLimiterHint : 0
; COMPUTE_PGM_RSRC2:SCRATCH_EN: 0
; COMPUTE_PGM_RSRC2:USER_SGPR: 2
; COMPUTE_PGM_RSRC2:TRAP_HANDLER: 0
; COMPUTE_PGM_RSRC2:TGID_X_EN: 1
; COMPUTE_PGM_RSRC2:TGID_Y_EN: 0
; COMPUTE_PGM_RSRC2:TGID_Z_EN: 0
; COMPUTE_PGM_RSRC2:TIDIG_COMP_CNT: 0
	.section	.text._ZN7rocprim17ROCPRIM_400000_NS6detail17trampoline_kernelINS0_14default_configENS1_35radix_sort_onesweep_config_selectorIdNS0_10empty_typeEEEZZNS1_29radix_sort_onesweep_iterationIS3_Lb1EPKdPdPS5_SB_mNS0_19identity_decomposerENS1_16block_id_wrapperIjLb1EEEEE10hipError_tT1_PNSt15iterator_traitsISG_E10value_typeET2_T3_PNSH_ISM_E10value_typeET4_T5_PSR_SS_PNS1_23onesweep_lookback_stateEbbT6_jjT7_P12ihipStream_tbENKUlT_T0_SG_SL_E_clIS9_SA_SB_SB_EEDaSZ_S10_SG_SL_EUlSZ_E_NS1_11comp_targetILNS1_3genE5ELNS1_11target_archE942ELNS1_3gpuE9ELNS1_3repE0EEENS1_47radix_sort_onesweep_sort_config_static_selectorELNS0_4arch9wavefront6targetE0EEEvSG_,"axG",@progbits,_ZN7rocprim17ROCPRIM_400000_NS6detail17trampoline_kernelINS0_14default_configENS1_35radix_sort_onesweep_config_selectorIdNS0_10empty_typeEEEZZNS1_29radix_sort_onesweep_iterationIS3_Lb1EPKdPdPS5_SB_mNS0_19identity_decomposerENS1_16block_id_wrapperIjLb1EEEEE10hipError_tT1_PNSt15iterator_traitsISG_E10value_typeET2_T3_PNSH_ISM_E10value_typeET4_T5_PSR_SS_PNS1_23onesweep_lookback_stateEbbT6_jjT7_P12ihipStream_tbENKUlT_T0_SG_SL_E_clIS9_SA_SB_SB_EEDaSZ_S10_SG_SL_EUlSZ_E_NS1_11comp_targetILNS1_3genE5ELNS1_11target_archE942ELNS1_3gpuE9ELNS1_3repE0EEENS1_47radix_sort_onesweep_sort_config_static_selectorELNS0_4arch9wavefront6targetE0EEEvSG_,comdat
	.protected	_ZN7rocprim17ROCPRIM_400000_NS6detail17trampoline_kernelINS0_14default_configENS1_35radix_sort_onesweep_config_selectorIdNS0_10empty_typeEEEZZNS1_29radix_sort_onesweep_iterationIS3_Lb1EPKdPdPS5_SB_mNS0_19identity_decomposerENS1_16block_id_wrapperIjLb1EEEEE10hipError_tT1_PNSt15iterator_traitsISG_E10value_typeET2_T3_PNSH_ISM_E10value_typeET4_T5_PSR_SS_PNS1_23onesweep_lookback_stateEbbT6_jjT7_P12ihipStream_tbENKUlT_T0_SG_SL_E_clIS9_SA_SB_SB_EEDaSZ_S10_SG_SL_EUlSZ_E_NS1_11comp_targetILNS1_3genE5ELNS1_11target_archE942ELNS1_3gpuE9ELNS1_3repE0EEENS1_47radix_sort_onesweep_sort_config_static_selectorELNS0_4arch9wavefront6targetE0EEEvSG_ ; -- Begin function _ZN7rocprim17ROCPRIM_400000_NS6detail17trampoline_kernelINS0_14default_configENS1_35radix_sort_onesweep_config_selectorIdNS0_10empty_typeEEEZZNS1_29radix_sort_onesweep_iterationIS3_Lb1EPKdPdPS5_SB_mNS0_19identity_decomposerENS1_16block_id_wrapperIjLb1EEEEE10hipError_tT1_PNSt15iterator_traitsISG_E10value_typeET2_T3_PNSH_ISM_E10value_typeET4_T5_PSR_SS_PNS1_23onesweep_lookback_stateEbbT6_jjT7_P12ihipStream_tbENKUlT_T0_SG_SL_E_clIS9_SA_SB_SB_EEDaSZ_S10_SG_SL_EUlSZ_E_NS1_11comp_targetILNS1_3genE5ELNS1_11target_archE942ELNS1_3gpuE9ELNS1_3repE0EEENS1_47radix_sort_onesweep_sort_config_static_selectorELNS0_4arch9wavefront6targetE0EEEvSG_
	.globl	_ZN7rocprim17ROCPRIM_400000_NS6detail17trampoline_kernelINS0_14default_configENS1_35radix_sort_onesweep_config_selectorIdNS0_10empty_typeEEEZZNS1_29radix_sort_onesweep_iterationIS3_Lb1EPKdPdPS5_SB_mNS0_19identity_decomposerENS1_16block_id_wrapperIjLb1EEEEE10hipError_tT1_PNSt15iterator_traitsISG_E10value_typeET2_T3_PNSH_ISM_E10value_typeET4_T5_PSR_SS_PNS1_23onesweep_lookback_stateEbbT6_jjT7_P12ihipStream_tbENKUlT_T0_SG_SL_E_clIS9_SA_SB_SB_EEDaSZ_S10_SG_SL_EUlSZ_E_NS1_11comp_targetILNS1_3genE5ELNS1_11target_archE942ELNS1_3gpuE9ELNS1_3repE0EEENS1_47radix_sort_onesweep_sort_config_static_selectorELNS0_4arch9wavefront6targetE0EEEvSG_
	.p2align	8
	.type	_ZN7rocprim17ROCPRIM_400000_NS6detail17trampoline_kernelINS0_14default_configENS1_35radix_sort_onesweep_config_selectorIdNS0_10empty_typeEEEZZNS1_29radix_sort_onesweep_iterationIS3_Lb1EPKdPdPS5_SB_mNS0_19identity_decomposerENS1_16block_id_wrapperIjLb1EEEEE10hipError_tT1_PNSt15iterator_traitsISG_E10value_typeET2_T3_PNSH_ISM_E10value_typeET4_T5_PSR_SS_PNS1_23onesweep_lookback_stateEbbT6_jjT7_P12ihipStream_tbENKUlT_T0_SG_SL_E_clIS9_SA_SB_SB_EEDaSZ_S10_SG_SL_EUlSZ_E_NS1_11comp_targetILNS1_3genE5ELNS1_11target_archE942ELNS1_3gpuE9ELNS1_3repE0EEENS1_47radix_sort_onesweep_sort_config_static_selectorELNS0_4arch9wavefront6targetE0EEEvSG_,@function
_ZN7rocprim17ROCPRIM_400000_NS6detail17trampoline_kernelINS0_14default_configENS1_35radix_sort_onesweep_config_selectorIdNS0_10empty_typeEEEZZNS1_29radix_sort_onesweep_iterationIS3_Lb1EPKdPdPS5_SB_mNS0_19identity_decomposerENS1_16block_id_wrapperIjLb1EEEEE10hipError_tT1_PNSt15iterator_traitsISG_E10value_typeET2_T3_PNSH_ISM_E10value_typeET4_T5_PSR_SS_PNS1_23onesweep_lookback_stateEbbT6_jjT7_P12ihipStream_tbENKUlT_T0_SG_SL_E_clIS9_SA_SB_SB_EEDaSZ_S10_SG_SL_EUlSZ_E_NS1_11comp_targetILNS1_3genE5ELNS1_11target_archE942ELNS1_3gpuE9ELNS1_3repE0EEENS1_47radix_sort_onesweep_sort_config_static_selectorELNS0_4arch9wavefront6targetE0EEEvSG_: ; @_ZN7rocprim17ROCPRIM_400000_NS6detail17trampoline_kernelINS0_14default_configENS1_35radix_sort_onesweep_config_selectorIdNS0_10empty_typeEEEZZNS1_29radix_sort_onesweep_iterationIS3_Lb1EPKdPdPS5_SB_mNS0_19identity_decomposerENS1_16block_id_wrapperIjLb1EEEEE10hipError_tT1_PNSt15iterator_traitsISG_E10value_typeET2_T3_PNSH_ISM_E10value_typeET4_T5_PSR_SS_PNS1_23onesweep_lookback_stateEbbT6_jjT7_P12ihipStream_tbENKUlT_T0_SG_SL_E_clIS9_SA_SB_SB_EEDaSZ_S10_SG_SL_EUlSZ_E_NS1_11comp_targetILNS1_3genE5ELNS1_11target_archE942ELNS1_3gpuE9ELNS1_3repE0EEENS1_47radix_sort_onesweep_sort_config_static_selectorELNS0_4arch9wavefront6targetE0EEEvSG_
; %bb.0:
	.section	.rodata,"a",@progbits
	.p2align	6, 0x0
	.amdhsa_kernel _ZN7rocprim17ROCPRIM_400000_NS6detail17trampoline_kernelINS0_14default_configENS1_35radix_sort_onesweep_config_selectorIdNS0_10empty_typeEEEZZNS1_29radix_sort_onesweep_iterationIS3_Lb1EPKdPdPS5_SB_mNS0_19identity_decomposerENS1_16block_id_wrapperIjLb1EEEEE10hipError_tT1_PNSt15iterator_traitsISG_E10value_typeET2_T3_PNSH_ISM_E10value_typeET4_T5_PSR_SS_PNS1_23onesweep_lookback_stateEbbT6_jjT7_P12ihipStream_tbENKUlT_T0_SG_SL_E_clIS9_SA_SB_SB_EEDaSZ_S10_SG_SL_EUlSZ_E_NS1_11comp_targetILNS1_3genE5ELNS1_11target_archE942ELNS1_3gpuE9ELNS1_3repE0EEENS1_47radix_sort_onesweep_sort_config_static_selectorELNS0_4arch9wavefront6targetE0EEEvSG_
		.amdhsa_group_segment_fixed_size 0
		.amdhsa_private_segment_fixed_size 0
		.amdhsa_kernarg_size 88
		.amdhsa_user_sgpr_count 2
		.amdhsa_user_sgpr_dispatch_ptr 0
		.amdhsa_user_sgpr_queue_ptr 0
		.amdhsa_user_sgpr_kernarg_segment_ptr 1
		.amdhsa_user_sgpr_dispatch_id 0
		.amdhsa_user_sgpr_kernarg_preload_length 0
		.amdhsa_user_sgpr_kernarg_preload_offset 0
		.amdhsa_user_sgpr_private_segment_size 0
		.amdhsa_wavefront_size32 1
		.amdhsa_uses_dynamic_stack 0
		.amdhsa_enable_private_segment 0
		.amdhsa_system_sgpr_workgroup_id_x 1
		.amdhsa_system_sgpr_workgroup_id_y 0
		.amdhsa_system_sgpr_workgroup_id_z 0
		.amdhsa_system_sgpr_workgroup_info 0
		.amdhsa_system_vgpr_workitem_id 0
		.amdhsa_next_free_vgpr 1
		.amdhsa_next_free_sgpr 1
		.amdhsa_named_barrier_count 0
		.amdhsa_reserve_vcc 0
		.amdhsa_float_round_mode_32 0
		.amdhsa_float_round_mode_16_64 0
		.amdhsa_float_denorm_mode_32 3
		.amdhsa_float_denorm_mode_16_64 3
		.amdhsa_fp16_overflow 0
		.amdhsa_memory_ordered 1
		.amdhsa_forward_progress 1
		.amdhsa_inst_pref_size 0
		.amdhsa_round_robin_scheduling 0
		.amdhsa_exception_fp_ieee_invalid_op 0
		.amdhsa_exception_fp_denorm_src 0
		.amdhsa_exception_fp_ieee_div_zero 0
		.amdhsa_exception_fp_ieee_overflow 0
		.amdhsa_exception_fp_ieee_underflow 0
		.amdhsa_exception_fp_ieee_inexact 0
		.amdhsa_exception_int_div_zero 0
	.end_amdhsa_kernel
	.section	.text._ZN7rocprim17ROCPRIM_400000_NS6detail17trampoline_kernelINS0_14default_configENS1_35radix_sort_onesweep_config_selectorIdNS0_10empty_typeEEEZZNS1_29radix_sort_onesweep_iterationIS3_Lb1EPKdPdPS5_SB_mNS0_19identity_decomposerENS1_16block_id_wrapperIjLb1EEEEE10hipError_tT1_PNSt15iterator_traitsISG_E10value_typeET2_T3_PNSH_ISM_E10value_typeET4_T5_PSR_SS_PNS1_23onesweep_lookback_stateEbbT6_jjT7_P12ihipStream_tbENKUlT_T0_SG_SL_E_clIS9_SA_SB_SB_EEDaSZ_S10_SG_SL_EUlSZ_E_NS1_11comp_targetILNS1_3genE5ELNS1_11target_archE942ELNS1_3gpuE9ELNS1_3repE0EEENS1_47radix_sort_onesweep_sort_config_static_selectorELNS0_4arch9wavefront6targetE0EEEvSG_,"axG",@progbits,_ZN7rocprim17ROCPRIM_400000_NS6detail17trampoline_kernelINS0_14default_configENS1_35radix_sort_onesweep_config_selectorIdNS0_10empty_typeEEEZZNS1_29radix_sort_onesweep_iterationIS3_Lb1EPKdPdPS5_SB_mNS0_19identity_decomposerENS1_16block_id_wrapperIjLb1EEEEE10hipError_tT1_PNSt15iterator_traitsISG_E10value_typeET2_T3_PNSH_ISM_E10value_typeET4_T5_PSR_SS_PNS1_23onesweep_lookback_stateEbbT6_jjT7_P12ihipStream_tbENKUlT_T0_SG_SL_E_clIS9_SA_SB_SB_EEDaSZ_S10_SG_SL_EUlSZ_E_NS1_11comp_targetILNS1_3genE5ELNS1_11target_archE942ELNS1_3gpuE9ELNS1_3repE0EEENS1_47radix_sort_onesweep_sort_config_static_selectorELNS0_4arch9wavefront6targetE0EEEvSG_,comdat
.Lfunc_end1520:
	.size	_ZN7rocprim17ROCPRIM_400000_NS6detail17trampoline_kernelINS0_14default_configENS1_35radix_sort_onesweep_config_selectorIdNS0_10empty_typeEEEZZNS1_29radix_sort_onesweep_iterationIS3_Lb1EPKdPdPS5_SB_mNS0_19identity_decomposerENS1_16block_id_wrapperIjLb1EEEEE10hipError_tT1_PNSt15iterator_traitsISG_E10value_typeET2_T3_PNSH_ISM_E10value_typeET4_T5_PSR_SS_PNS1_23onesweep_lookback_stateEbbT6_jjT7_P12ihipStream_tbENKUlT_T0_SG_SL_E_clIS9_SA_SB_SB_EEDaSZ_S10_SG_SL_EUlSZ_E_NS1_11comp_targetILNS1_3genE5ELNS1_11target_archE942ELNS1_3gpuE9ELNS1_3repE0EEENS1_47radix_sort_onesweep_sort_config_static_selectorELNS0_4arch9wavefront6targetE0EEEvSG_, .Lfunc_end1520-_ZN7rocprim17ROCPRIM_400000_NS6detail17trampoline_kernelINS0_14default_configENS1_35radix_sort_onesweep_config_selectorIdNS0_10empty_typeEEEZZNS1_29radix_sort_onesweep_iterationIS3_Lb1EPKdPdPS5_SB_mNS0_19identity_decomposerENS1_16block_id_wrapperIjLb1EEEEE10hipError_tT1_PNSt15iterator_traitsISG_E10value_typeET2_T3_PNSH_ISM_E10value_typeET4_T5_PSR_SS_PNS1_23onesweep_lookback_stateEbbT6_jjT7_P12ihipStream_tbENKUlT_T0_SG_SL_E_clIS9_SA_SB_SB_EEDaSZ_S10_SG_SL_EUlSZ_E_NS1_11comp_targetILNS1_3genE5ELNS1_11target_archE942ELNS1_3gpuE9ELNS1_3repE0EEENS1_47radix_sort_onesweep_sort_config_static_selectorELNS0_4arch9wavefront6targetE0EEEvSG_
                                        ; -- End function
	.set _ZN7rocprim17ROCPRIM_400000_NS6detail17trampoline_kernelINS0_14default_configENS1_35radix_sort_onesweep_config_selectorIdNS0_10empty_typeEEEZZNS1_29radix_sort_onesweep_iterationIS3_Lb1EPKdPdPS5_SB_mNS0_19identity_decomposerENS1_16block_id_wrapperIjLb1EEEEE10hipError_tT1_PNSt15iterator_traitsISG_E10value_typeET2_T3_PNSH_ISM_E10value_typeET4_T5_PSR_SS_PNS1_23onesweep_lookback_stateEbbT6_jjT7_P12ihipStream_tbENKUlT_T0_SG_SL_E_clIS9_SA_SB_SB_EEDaSZ_S10_SG_SL_EUlSZ_E_NS1_11comp_targetILNS1_3genE5ELNS1_11target_archE942ELNS1_3gpuE9ELNS1_3repE0EEENS1_47radix_sort_onesweep_sort_config_static_selectorELNS0_4arch9wavefront6targetE0EEEvSG_.num_vgpr, 0
	.set _ZN7rocprim17ROCPRIM_400000_NS6detail17trampoline_kernelINS0_14default_configENS1_35radix_sort_onesweep_config_selectorIdNS0_10empty_typeEEEZZNS1_29radix_sort_onesweep_iterationIS3_Lb1EPKdPdPS5_SB_mNS0_19identity_decomposerENS1_16block_id_wrapperIjLb1EEEEE10hipError_tT1_PNSt15iterator_traitsISG_E10value_typeET2_T3_PNSH_ISM_E10value_typeET4_T5_PSR_SS_PNS1_23onesweep_lookback_stateEbbT6_jjT7_P12ihipStream_tbENKUlT_T0_SG_SL_E_clIS9_SA_SB_SB_EEDaSZ_S10_SG_SL_EUlSZ_E_NS1_11comp_targetILNS1_3genE5ELNS1_11target_archE942ELNS1_3gpuE9ELNS1_3repE0EEENS1_47radix_sort_onesweep_sort_config_static_selectorELNS0_4arch9wavefront6targetE0EEEvSG_.num_agpr, 0
	.set _ZN7rocprim17ROCPRIM_400000_NS6detail17trampoline_kernelINS0_14default_configENS1_35radix_sort_onesweep_config_selectorIdNS0_10empty_typeEEEZZNS1_29radix_sort_onesweep_iterationIS3_Lb1EPKdPdPS5_SB_mNS0_19identity_decomposerENS1_16block_id_wrapperIjLb1EEEEE10hipError_tT1_PNSt15iterator_traitsISG_E10value_typeET2_T3_PNSH_ISM_E10value_typeET4_T5_PSR_SS_PNS1_23onesweep_lookback_stateEbbT6_jjT7_P12ihipStream_tbENKUlT_T0_SG_SL_E_clIS9_SA_SB_SB_EEDaSZ_S10_SG_SL_EUlSZ_E_NS1_11comp_targetILNS1_3genE5ELNS1_11target_archE942ELNS1_3gpuE9ELNS1_3repE0EEENS1_47radix_sort_onesweep_sort_config_static_selectorELNS0_4arch9wavefront6targetE0EEEvSG_.numbered_sgpr, 0
	.set _ZN7rocprim17ROCPRIM_400000_NS6detail17trampoline_kernelINS0_14default_configENS1_35radix_sort_onesweep_config_selectorIdNS0_10empty_typeEEEZZNS1_29radix_sort_onesweep_iterationIS3_Lb1EPKdPdPS5_SB_mNS0_19identity_decomposerENS1_16block_id_wrapperIjLb1EEEEE10hipError_tT1_PNSt15iterator_traitsISG_E10value_typeET2_T3_PNSH_ISM_E10value_typeET4_T5_PSR_SS_PNS1_23onesweep_lookback_stateEbbT6_jjT7_P12ihipStream_tbENKUlT_T0_SG_SL_E_clIS9_SA_SB_SB_EEDaSZ_S10_SG_SL_EUlSZ_E_NS1_11comp_targetILNS1_3genE5ELNS1_11target_archE942ELNS1_3gpuE9ELNS1_3repE0EEENS1_47radix_sort_onesweep_sort_config_static_selectorELNS0_4arch9wavefront6targetE0EEEvSG_.num_named_barrier, 0
	.set _ZN7rocprim17ROCPRIM_400000_NS6detail17trampoline_kernelINS0_14default_configENS1_35radix_sort_onesweep_config_selectorIdNS0_10empty_typeEEEZZNS1_29radix_sort_onesweep_iterationIS3_Lb1EPKdPdPS5_SB_mNS0_19identity_decomposerENS1_16block_id_wrapperIjLb1EEEEE10hipError_tT1_PNSt15iterator_traitsISG_E10value_typeET2_T3_PNSH_ISM_E10value_typeET4_T5_PSR_SS_PNS1_23onesweep_lookback_stateEbbT6_jjT7_P12ihipStream_tbENKUlT_T0_SG_SL_E_clIS9_SA_SB_SB_EEDaSZ_S10_SG_SL_EUlSZ_E_NS1_11comp_targetILNS1_3genE5ELNS1_11target_archE942ELNS1_3gpuE9ELNS1_3repE0EEENS1_47radix_sort_onesweep_sort_config_static_selectorELNS0_4arch9wavefront6targetE0EEEvSG_.private_seg_size, 0
	.set _ZN7rocprim17ROCPRIM_400000_NS6detail17trampoline_kernelINS0_14default_configENS1_35radix_sort_onesweep_config_selectorIdNS0_10empty_typeEEEZZNS1_29radix_sort_onesweep_iterationIS3_Lb1EPKdPdPS5_SB_mNS0_19identity_decomposerENS1_16block_id_wrapperIjLb1EEEEE10hipError_tT1_PNSt15iterator_traitsISG_E10value_typeET2_T3_PNSH_ISM_E10value_typeET4_T5_PSR_SS_PNS1_23onesweep_lookback_stateEbbT6_jjT7_P12ihipStream_tbENKUlT_T0_SG_SL_E_clIS9_SA_SB_SB_EEDaSZ_S10_SG_SL_EUlSZ_E_NS1_11comp_targetILNS1_3genE5ELNS1_11target_archE942ELNS1_3gpuE9ELNS1_3repE0EEENS1_47radix_sort_onesweep_sort_config_static_selectorELNS0_4arch9wavefront6targetE0EEEvSG_.uses_vcc, 0
	.set _ZN7rocprim17ROCPRIM_400000_NS6detail17trampoline_kernelINS0_14default_configENS1_35radix_sort_onesweep_config_selectorIdNS0_10empty_typeEEEZZNS1_29radix_sort_onesweep_iterationIS3_Lb1EPKdPdPS5_SB_mNS0_19identity_decomposerENS1_16block_id_wrapperIjLb1EEEEE10hipError_tT1_PNSt15iterator_traitsISG_E10value_typeET2_T3_PNSH_ISM_E10value_typeET4_T5_PSR_SS_PNS1_23onesweep_lookback_stateEbbT6_jjT7_P12ihipStream_tbENKUlT_T0_SG_SL_E_clIS9_SA_SB_SB_EEDaSZ_S10_SG_SL_EUlSZ_E_NS1_11comp_targetILNS1_3genE5ELNS1_11target_archE942ELNS1_3gpuE9ELNS1_3repE0EEENS1_47radix_sort_onesweep_sort_config_static_selectorELNS0_4arch9wavefront6targetE0EEEvSG_.uses_flat_scratch, 0
	.set _ZN7rocprim17ROCPRIM_400000_NS6detail17trampoline_kernelINS0_14default_configENS1_35radix_sort_onesweep_config_selectorIdNS0_10empty_typeEEEZZNS1_29radix_sort_onesweep_iterationIS3_Lb1EPKdPdPS5_SB_mNS0_19identity_decomposerENS1_16block_id_wrapperIjLb1EEEEE10hipError_tT1_PNSt15iterator_traitsISG_E10value_typeET2_T3_PNSH_ISM_E10value_typeET4_T5_PSR_SS_PNS1_23onesweep_lookback_stateEbbT6_jjT7_P12ihipStream_tbENKUlT_T0_SG_SL_E_clIS9_SA_SB_SB_EEDaSZ_S10_SG_SL_EUlSZ_E_NS1_11comp_targetILNS1_3genE5ELNS1_11target_archE942ELNS1_3gpuE9ELNS1_3repE0EEENS1_47radix_sort_onesweep_sort_config_static_selectorELNS0_4arch9wavefront6targetE0EEEvSG_.has_dyn_sized_stack, 0
	.set _ZN7rocprim17ROCPRIM_400000_NS6detail17trampoline_kernelINS0_14default_configENS1_35radix_sort_onesweep_config_selectorIdNS0_10empty_typeEEEZZNS1_29radix_sort_onesweep_iterationIS3_Lb1EPKdPdPS5_SB_mNS0_19identity_decomposerENS1_16block_id_wrapperIjLb1EEEEE10hipError_tT1_PNSt15iterator_traitsISG_E10value_typeET2_T3_PNSH_ISM_E10value_typeET4_T5_PSR_SS_PNS1_23onesweep_lookback_stateEbbT6_jjT7_P12ihipStream_tbENKUlT_T0_SG_SL_E_clIS9_SA_SB_SB_EEDaSZ_S10_SG_SL_EUlSZ_E_NS1_11comp_targetILNS1_3genE5ELNS1_11target_archE942ELNS1_3gpuE9ELNS1_3repE0EEENS1_47radix_sort_onesweep_sort_config_static_selectorELNS0_4arch9wavefront6targetE0EEEvSG_.has_recursion, 0
	.set _ZN7rocprim17ROCPRIM_400000_NS6detail17trampoline_kernelINS0_14default_configENS1_35radix_sort_onesweep_config_selectorIdNS0_10empty_typeEEEZZNS1_29radix_sort_onesweep_iterationIS3_Lb1EPKdPdPS5_SB_mNS0_19identity_decomposerENS1_16block_id_wrapperIjLb1EEEEE10hipError_tT1_PNSt15iterator_traitsISG_E10value_typeET2_T3_PNSH_ISM_E10value_typeET4_T5_PSR_SS_PNS1_23onesweep_lookback_stateEbbT6_jjT7_P12ihipStream_tbENKUlT_T0_SG_SL_E_clIS9_SA_SB_SB_EEDaSZ_S10_SG_SL_EUlSZ_E_NS1_11comp_targetILNS1_3genE5ELNS1_11target_archE942ELNS1_3gpuE9ELNS1_3repE0EEENS1_47radix_sort_onesweep_sort_config_static_selectorELNS0_4arch9wavefront6targetE0EEEvSG_.has_indirect_call, 0
	.section	.AMDGPU.csdata,"",@progbits
; Kernel info:
; codeLenInByte = 0
; TotalNumSgprs: 0
; NumVgprs: 0
; ScratchSize: 0
; MemoryBound: 0
; FloatMode: 240
; IeeeMode: 1
; LDSByteSize: 0 bytes/workgroup (compile time only)
; SGPRBlocks: 0
; VGPRBlocks: 0
; NumSGPRsForWavesPerEU: 1
; NumVGPRsForWavesPerEU: 1
; NamedBarCnt: 0
; Occupancy: 16
; WaveLimiterHint : 0
; COMPUTE_PGM_RSRC2:SCRATCH_EN: 0
; COMPUTE_PGM_RSRC2:USER_SGPR: 2
; COMPUTE_PGM_RSRC2:TRAP_HANDLER: 0
; COMPUTE_PGM_RSRC2:TGID_X_EN: 1
; COMPUTE_PGM_RSRC2:TGID_Y_EN: 0
; COMPUTE_PGM_RSRC2:TGID_Z_EN: 0
; COMPUTE_PGM_RSRC2:TIDIG_COMP_CNT: 0
	.section	.text._ZN7rocprim17ROCPRIM_400000_NS6detail17trampoline_kernelINS0_14default_configENS1_35radix_sort_onesweep_config_selectorIdNS0_10empty_typeEEEZZNS1_29radix_sort_onesweep_iterationIS3_Lb1EPKdPdPS5_SB_mNS0_19identity_decomposerENS1_16block_id_wrapperIjLb1EEEEE10hipError_tT1_PNSt15iterator_traitsISG_E10value_typeET2_T3_PNSH_ISM_E10value_typeET4_T5_PSR_SS_PNS1_23onesweep_lookback_stateEbbT6_jjT7_P12ihipStream_tbENKUlT_T0_SG_SL_E_clIS9_SA_SB_SB_EEDaSZ_S10_SG_SL_EUlSZ_E_NS1_11comp_targetILNS1_3genE2ELNS1_11target_archE906ELNS1_3gpuE6ELNS1_3repE0EEENS1_47radix_sort_onesweep_sort_config_static_selectorELNS0_4arch9wavefront6targetE0EEEvSG_,"axG",@progbits,_ZN7rocprim17ROCPRIM_400000_NS6detail17trampoline_kernelINS0_14default_configENS1_35radix_sort_onesweep_config_selectorIdNS0_10empty_typeEEEZZNS1_29radix_sort_onesweep_iterationIS3_Lb1EPKdPdPS5_SB_mNS0_19identity_decomposerENS1_16block_id_wrapperIjLb1EEEEE10hipError_tT1_PNSt15iterator_traitsISG_E10value_typeET2_T3_PNSH_ISM_E10value_typeET4_T5_PSR_SS_PNS1_23onesweep_lookback_stateEbbT6_jjT7_P12ihipStream_tbENKUlT_T0_SG_SL_E_clIS9_SA_SB_SB_EEDaSZ_S10_SG_SL_EUlSZ_E_NS1_11comp_targetILNS1_3genE2ELNS1_11target_archE906ELNS1_3gpuE6ELNS1_3repE0EEENS1_47radix_sort_onesweep_sort_config_static_selectorELNS0_4arch9wavefront6targetE0EEEvSG_,comdat
	.protected	_ZN7rocprim17ROCPRIM_400000_NS6detail17trampoline_kernelINS0_14default_configENS1_35radix_sort_onesweep_config_selectorIdNS0_10empty_typeEEEZZNS1_29radix_sort_onesweep_iterationIS3_Lb1EPKdPdPS5_SB_mNS0_19identity_decomposerENS1_16block_id_wrapperIjLb1EEEEE10hipError_tT1_PNSt15iterator_traitsISG_E10value_typeET2_T3_PNSH_ISM_E10value_typeET4_T5_PSR_SS_PNS1_23onesweep_lookback_stateEbbT6_jjT7_P12ihipStream_tbENKUlT_T0_SG_SL_E_clIS9_SA_SB_SB_EEDaSZ_S10_SG_SL_EUlSZ_E_NS1_11comp_targetILNS1_3genE2ELNS1_11target_archE906ELNS1_3gpuE6ELNS1_3repE0EEENS1_47radix_sort_onesweep_sort_config_static_selectorELNS0_4arch9wavefront6targetE0EEEvSG_ ; -- Begin function _ZN7rocprim17ROCPRIM_400000_NS6detail17trampoline_kernelINS0_14default_configENS1_35radix_sort_onesweep_config_selectorIdNS0_10empty_typeEEEZZNS1_29radix_sort_onesweep_iterationIS3_Lb1EPKdPdPS5_SB_mNS0_19identity_decomposerENS1_16block_id_wrapperIjLb1EEEEE10hipError_tT1_PNSt15iterator_traitsISG_E10value_typeET2_T3_PNSH_ISM_E10value_typeET4_T5_PSR_SS_PNS1_23onesweep_lookback_stateEbbT6_jjT7_P12ihipStream_tbENKUlT_T0_SG_SL_E_clIS9_SA_SB_SB_EEDaSZ_S10_SG_SL_EUlSZ_E_NS1_11comp_targetILNS1_3genE2ELNS1_11target_archE906ELNS1_3gpuE6ELNS1_3repE0EEENS1_47radix_sort_onesweep_sort_config_static_selectorELNS0_4arch9wavefront6targetE0EEEvSG_
	.globl	_ZN7rocprim17ROCPRIM_400000_NS6detail17trampoline_kernelINS0_14default_configENS1_35radix_sort_onesweep_config_selectorIdNS0_10empty_typeEEEZZNS1_29radix_sort_onesweep_iterationIS3_Lb1EPKdPdPS5_SB_mNS0_19identity_decomposerENS1_16block_id_wrapperIjLb1EEEEE10hipError_tT1_PNSt15iterator_traitsISG_E10value_typeET2_T3_PNSH_ISM_E10value_typeET4_T5_PSR_SS_PNS1_23onesweep_lookback_stateEbbT6_jjT7_P12ihipStream_tbENKUlT_T0_SG_SL_E_clIS9_SA_SB_SB_EEDaSZ_S10_SG_SL_EUlSZ_E_NS1_11comp_targetILNS1_3genE2ELNS1_11target_archE906ELNS1_3gpuE6ELNS1_3repE0EEENS1_47radix_sort_onesweep_sort_config_static_selectorELNS0_4arch9wavefront6targetE0EEEvSG_
	.p2align	8
	.type	_ZN7rocprim17ROCPRIM_400000_NS6detail17trampoline_kernelINS0_14default_configENS1_35radix_sort_onesweep_config_selectorIdNS0_10empty_typeEEEZZNS1_29radix_sort_onesweep_iterationIS3_Lb1EPKdPdPS5_SB_mNS0_19identity_decomposerENS1_16block_id_wrapperIjLb1EEEEE10hipError_tT1_PNSt15iterator_traitsISG_E10value_typeET2_T3_PNSH_ISM_E10value_typeET4_T5_PSR_SS_PNS1_23onesweep_lookback_stateEbbT6_jjT7_P12ihipStream_tbENKUlT_T0_SG_SL_E_clIS9_SA_SB_SB_EEDaSZ_S10_SG_SL_EUlSZ_E_NS1_11comp_targetILNS1_3genE2ELNS1_11target_archE906ELNS1_3gpuE6ELNS1_3repE0EEENS1_47radix_sort_onesweep_sort_config_static_selectorELNS0_4arch9wavefront6targetE0EEEvSG_,@function
_ZN7rocprim17ROCPRIM_400000_NS6detail17trampoline_kernelINS0_14default_configENS1_35radix_sort_onesweep_config_selectorIdNS0_10empty_typeEEEZZNS1_29radix_sort_onesweep_iterationIS3_Lb1EPKdPdPS5_SB_mNS0_19identity_decomposerENS1_16block_id_wrapperIjLb1EEEEE10hipError_tT1_PNSt15iterator_traitsISG_E10value_typeET2_T3_PNSH_ISM_E10value_typeET4_T5_PSR_SS_PNS1_23onesweep_lookback_stateEbbT6_jjT7_P12ihipStream_tbENKUlT_T0_SG_SL_E_clIS9_SA_SB_SB_EEDaSZ_S10_SG_SL_EUlSZ_E_NS1_11comp_targetILNS1_3genE2ELNS1_11target_archE906ELNS1_3gpuE6ELNS1_3repE0EEENS1_47radix_sort_onesweep_sort_config_static_selectorELNS0_4arch9wavefront6targetE0EEEvSG_: ; @_ZN7rocprim17ROCPRIM_400000_NS6detail17trampoline_kernelINS0_14default_configENS1_35radix_sort_onesweep_config_selectorIdNS0_10empty_typeEEEZZNS1_29radix_sort_onesweep_iterationIS3_Lb1EPKdPdPS5_SB_mNS0_19identity_decomposerENS1_16block_id_wrapperIjLb1EEEEE10hipError_tT1_PNSt15iterator_traitsISG_E10value_typeET2_T3_PNSH_ISM_E10value_typeET4_T5_PSR_SS_PNS1_23onesweep_lookback_stateEbbT6_jjT7_P12ihipStream_tbENKUlT_T0_SG_SL_E_clIS9_SA_SB_SB_EEDaSZ_S10_SG_SL_EUlSZ_E_NS1_11comp_targetILNS1_3genE2ELNS1_11target_archE906ELNS1_3gpuE6ELNS1_3repE0EEENS1_47radix_sort_onesweep_sort_config_static_selectorELNS0_4arch9wavefront6targetE0EEEvSG_
; %bb.0:
	.section	.rodata,"a",@progbits
	.p2align	6, 0x0
	.amdhsa_kernel _ZN7rocprim17ROCPRIM_400000_NS6detail17trampoline_kernelINS0_14default_configENS1_35radix_sort_onesweep_config_selectorIdNS0_10empty_typeEEEZZNS1_29radix_sort_onesweep_iterationIS3_Lb1EPKdPdPS5_SB_mNS0_19identity_decomposerENS1_16block_id_wrapperIjLb1EEEEE10hipError_tT1_PNSt15iterator_traitsISG_E10value_typeET2_T3_PNSH_ISM_E10value_typeET4_T5_PSR_SS_PNS1_23onesweep_lookback_stateEbbT6_jjT7_P12ihipStream_tbENKUlT_T0_SG_SL_E_clIS9_SA_SB_SB_EEDaSZ_S10_SG_SL_EUlSZ_E_NS1_11comp_targetILNS1_3genE2ELNS1_11target_archE906ELNS1_3gpuE6ELNS1_3repE0EEENS1_47radix_sort_onesweep_sort_config_static_selectorELNS0_4arch9wavefront6targetE0EEEvSG_
		.amdhsa_group_segment_fixed_size 0
		.amdhsa_private_segment_fixed_size 0
		.amdhsa_kernarg_size 88
		.amdhsa_user_sgpr_count 2
		.amdhsa_user_sgpr_dispatch_ptr 0
		.amdhsa_user_sgpr_queue_ptr 0
		.amdhsa_user_sgpr_kernarg_segment_ptr 1
		.amdhsa_user_sgpr_dispatch_id 0
		.amdhsa_user_sgpr_kernarg_preload_length 0
		.amdhsa_user_sgpr_kernarg_preload_offset 0
		.amdhsa_user_sgpr_private_segment_size 0
		.amdhsa_wavefront_size32 1
		.amdhsa_uses_dynamic_stack 0
		.amdhsa_enable_private_segment 0
		.amdhsa_system_sgpr_workgroup_id_x 1
		.amdhsa_system_sgpr_workgroup_id_y 0
		.amdhsa_system_sgpr_workgroup_id_z 0
		.amdhsa_system_sgpr_workgroup_info 0
		.amdhsa_system_vgpr_workitem_id 0
		.amdhsa_next_free_vgpr 1
		.amdhsa_next_free_sgpr 1
		.amdhsa_named_barrier_count 0
		.amdhsa_reserve_vcc 0
		.amdhsa_float_round_mode_32 0
		.amdhsa_float_round_mode_16_64 0
		.amdhsa_float_denorm_mode_32 3
		.amdhsa_float_denorm_mode_16_64 3
		.amdhsa_fp16_overflow 0
		.amdhsa_memory_ordered 1
		.amdhsa_forward_progress 1
		.amdhsa_inst_pref_size 0
		.amdhsa_round_robin_scheduling 0
		.amdhsa_exception_fp_ieee_invalid_op 0
		.amdhsa_exception_fp_denorm_src 0
		.amdhsa_exception_fp_ieee_div_zero 0
		.amdhsa_exception_fp_ieee_overflow 0
		.amdhsa_exception_fp_ieee_underflow 0
		.amdhsa_exception_fp_ieee_inexact 0
		.amdhsa_exception_int_div_zero 0
	.end_amdhsa_kernel
	.section	.text._ZN7rocprim17ROCPRIM_400000_NS6detail17trampoline_kernelINS0_14default_configENS1_35radix_sort_onesweep_config_selectorIdNS0_10empty_typeEEEZZNS1_29radix_sort_onesweep_iterationIS3_Lb1EPKdPdPS5_SB_mNS0_19identity_decomposerENS1_16block_id_wrapperIjLb1EEEEE10hipError_tT1_PNSt15iterator_traitsISG_E10value_typeET2_T3_PNSH_ISM_E10value_typeET4_T5_PSR_SS_PNS1_23onesweep_lookback_stateEbbT6_jjT7_P12ihipStream_tbENKUlT_T0_SG_SL_E_clIS9_SA_SB_SB_EEDaSZ_S10_SG_SL_EUlSZ_E_NS1_11comp_targetILNS1_3genE2ELNS1_11target_archE906ELNS1_3gpuE6ELNS1_3repE0EEENS1_47radix_sort_onesweep_sort_config_static_selectorELNS0_4arch9wavefront6targetE0EEEvSG_,"axG",@progbits,_ZN7rocprim17ROCPRIM_400000_NS6detail17trampoline_kernelINS0_14default_configENS1_35radix_sort_onesweep_config_selectorIdNS0_10empty_typeEEEZZNS1_29radix_sort_onesweep_iterationIS3_Lb1EPKdPdPS5_SB_mNS0_19identity_decomposerENS1_16block_id_wrapperIjLb1EEEEE10hipError_tT1_PNSt15iterator_traitsISG_E10value_typeET2_T3_PNSH_ISM_E10value_typeET4_T5_PSR_SS_PNS1_23onesweep_lookback_stateEbbT6_jjT7_P12ihipStream_tbENKUlT_T0_SG_SL_E_clIS9_SA_SB_SB_EEDaSZ_S10_SG_SL_EUlSZ_E_NS1_11comp_targetILNS1_3genE2ELNS1_11target_archE906ELNS1_3gpuE6ELNS1_3repE0EEENS1_47radix_sort_onesweep_sort_config_static_selectorELNS0_4arch9wavefront6targetE0EEEvSG_,comdat
.Lfunc_end1521:
	.size	_ZN7rocprim17ROCPRIM_400000_NS6detail17trampoline_kernelINS0_14default_configENS1_35radix_sort_onesweep_config_selectorIdNS0_10empty_typeEEEZZNS1_29radix_sort_onesweep_iterationIS3_Lb1EPKdPdPS5_SB_mNS0_19identity_decomposerENS1_16block_id_wrapperIjLb1EEEEE10hipError_tT1_PNSt15iterator_traitsISG_E10value_typeET2_T3_PNSH_ISM_E10value_typeET4_T5_PSR_SS_PNS1_23onesweep_lookback_stateEbbT6_jjT7_P12ihipStream_tbENKUlT_T0_SG_SL_E_clIS9_SA_SB_SB_EEDaSZ_S10_SG_SL_EUlSZ_E_NS1_11comp_targetILNS1_3genE2ELNS1_11target_archE906ELNS1_3gpuE6ELNS1_3repE0EEENS1_47radix_sort_onesweep_sort_config_static_selectorELNS0_4arch9wavefront6targetE0EEEvSG_, .Lfunc_end1521-_ZN7rocprim17ROCPRIM_400000_NS6detail17trampoline_kernelINS0_14default_configENS1_35radix_sort_onesweep_config_selectorIdNS0_10empty_typeEEEZZNS1_29radix_sort_onesweep_iterationIS3_Lb1EPKdPdPS5_SB_mNS0_19identity_decomposerENS1_16block_id_wrapperIjLb1EEEEE10hipError_tT1_PNSt15iterator_traitsISG_E10value_typeET2_T3_PNSH_ISM_E10value_typeET4_T5_PSR_SS_PNS1_23onesweep_lookback_stateEbbT6_jjT7_P12ihipStream_tbENKUlT_T0_SG_SL_E_clIS9_SA_SB_SB_EEDaSZ_S10_SG_SL_EUlSZ_E_NS1_11comp_targetILNS1_3genE2ELNS1_11target_archE906ELNS1_3gpuE6ELNS1_3repE0EEENS1_47radix_sort_onesweep_sort_config_static_selectorELNS0_4arch9wavefront6targetE0EEEvSG_
                                        ; -- End function
	.set _ZN7rocprim17ROCPRIM_400000_NS6detail17trampoline_kernelINS0_14default_configENS1_35radix_sort_onesweep_config_selectorIdNS0_10empty_typeEEEZZNS1_29radix_sort_onesweep_iterationIS3_Lb1EPKdPdPS5_SB_mNS0_19identity_decomposerENS1_16block_id_wrapperIjLb1EEEEE10hipError_tT1_PNSt15iterator_traitsISG_E10value_typeET2_T3_PNSH_ISM_E10value_typeET4_T5_PSR_SS_PNS1_23onesweep_lookback_stateEbbT6_jjT7_P12ihipStream_tbENKUlT_T0_SG_SL_E_clIS9_SA_SB_SB_EEDaSZ_S10_SG_SL_EUlSZ_E_NS1_11comp_targetILNS1_3genE2ELNS1_11target_archE906ELNS1_3gpuE6ELNS1_3repE0EEENS1_47radix_sort_onesweep_sort_config_static_selectorELNS0_4arch9wavefront6targetE0EEEvSG_.num_vgpr, 0
	.set _ZN7rocprim17ROCPRIM_400000_NS6detail17trampoline_kernelINS0_14default_configENS1_35radix_sort_onesweep_config_selectorIdNS0_10empty_typeEEEZZNS1_29radix_sort_onesweep_iterationIS3_Lb1EPKdPdPS5_SB_mNS0_19identity_decomposerENS1_16block_id_wrapperIjLb1EEEEE10hipError_tT1_PNSt15iterator_traitsISG_E10value_typeET2_T3_PNSH_ISM_E10value_typeET4_T5_PSR_SS_PNS1_23onesweep_lookback_stateEbbT6_jjT7_P12ihipStream_tbENKUlT_T0_SG_SL_E_clIS9_SA_SB_SB_EEDaSZ_S10_SG_SL_EUlSZ_E_NS1_11comp_targetILNS1_3genE2ELNS1_11target_archE906ELNS1_3gpuE6ELNS1_3repE0EEENS1_47radix_sort_onesweep_sort_config_static_selectorELNS0_4arch9wavefront6targetE0EEEvSG_.num_agpr, 0
	.set _ZN7rocprim17ROCPRIM_400000_NS6detail17trampoline_kernelINS0_14default_configENS1_35radix_sort_onesweep_config_selectorIdNS0_10empty_typeEEEZZNS1_29radix_sort_onesweep_iterationIS3_Lb1EPKdPdPS5_SB_mNS0_19identity_decomposerENS1_16block_id_wrapperIjLb1EEEEE10hipError_tT1_PNSt15iterator_traitsISG_E10value_typeET2_T3_PNSH_ISM_E10value_typeET4_T5_PSR_SS_PNS1_23onesweep_lookback_stateEbbT6_jjT7_P12ihipStream_tbENKUlT_T0_SG_SL_E_clIS9_SA_SB_SB_EEDaSZ_S10_SG_SL_EUlSZ_E_NS1_11comp_targetILNS1_3genE2ELNS1_11target_archE906ELNS1_3gpuE6ELNS1_3repE0EEENS1_47radix_sort_onesweep_sort_config_static_selectorELNS0_4arch9wavefront6targetE0EEEvSG_.numbered_sgpr, 0
	.set _ZN7rocprim17ROCPRIM_400000_NS6detail17trampoline_kernelINS0_14default_configENS1_35radix_sort_onesweep_config_selectorIdNS0_10empty_typeEEEZZNS1_29radix_sort_onesweep_iterationIS3_Lb1EPKdPdPS5_SB_mNS0_19identity_decomposerENS1_16block_id_wrapperIjLb1EEEEE10hipError_tT1_PNSt15iterator_traitsISG_E10value_typeET2_T3_PNSH_ISM_E10value_typeET4_T5_PSR_SS_PNS1_23onesweep_lookback_stateEbbT6_jjT7_P12ihipStream_tbENKUlT_T0_SG_SL_E_clIS9_SA_SB_SB_EEDaSZ_S10_SG_SL_EUlSZ_E_NS1_11comp_targetILNS1_3genE2ELNS1_11target_archE906ELNS1_3gpuE6ELNS1_3repE0EEENS1_47radix_sort_onesweep_sort_config_static_selectorELNS0_4arch9wavefront6targetE0EEEvSG_.num_named_barrier, 0
	.set _ZN7rocprim17ROCPRIM_400000_NS6detail17trampoline_kernelINS0_14default_configENS1_35radix_sort_onesweep_config_selectorIdNS0_10empty_typeEEEZZNS1_29radix_sort_onesweep_iterationIS3_Lb1EPKdPdPS5_SB_mNS0_19identity_decomposerENS1_16block_id_wrapperIjLb1EEEEE10hipError_tT1_PNSt15iterator_traitsISG_E10value_typeET2_T3_PNSH_ISM_E10value_typeET4_T5_PSR_SS_PNS1_23onesweep_lookback_stateEbbT6_jjT7_P12ihipStream_tbENKUlT_T0_SG_SL_E_clIS9_SA_SB_SB_EEDaSZ_S10_SG_SL_EUlSZ_E_NS1_11comp_targetILNS1_3genE2ELNS1_11target_archE906ELNS1_3gpuE6ELNS1_3repE0EEENS1_47radix_sort_onesweep_sort_config_static_selectorELNS0_4arch9wavefront6targetE0EEEvSG_.private_seg_size, 0
	.set _ZN7rocprim17ROCPRIM_400000_NS6detail17trampoline_kernelINS0_14default_configENS1_35radix_sort_onesweep_config_selectorIdNS0_10empty_typeEEEZZNS1_29radix_sort_onesweep_iterationIS3_Lb1EPKdPdPS5_SB_mNS0_19identity_decomposerENS1_16block_id_wrapperIjLb1EEEEE10hipError_tT1_PNSt15iterator_traitsISG_E10value_typeET2_T3_PNSH_ISM_E10value_typeET4_T5_PSR_SS_PNS1_23onesweep_lookback_stateEbbT6_jjT7_P12ihipStream_tbENKUlT_T0_SG_SL_E_clIS9_SA_SB_SB_EEDaSZ_S10_SG_SL_EUlSZ_E_NS1_11comp_targetILNS1_3genE2ELNS1_11target_archE906ELNS1_3gpuE6ELNS1_3repE0EEENS1_47radix_sort_onesweep_sort_config_static_selectorELNS0_4arch9wavefront6targetE0EEEvSG_.uses_vcc, 0
	.set _ZN7rocprim17ROCPRIM_400000_NS6detail17trampoline_kernelINS0_14default_configENS1_35radix_sort_onesweep_config_selectorIdNS0_10empty_typeEEEZZNS1_29radix_sort_onesweep_iterationIS3_Lb1EPKdPdPS5_SB_mNS0_19identity_decomposerENS1_16block_id_wrapperIjLb1EEEEE10hipError_tT1_PNSt15iterator_traitsISG_E10value_typeET2_T3_PNSH_ISM_E10value_typeET4_T5_PSR_SS_PNS1_23onesweep_lookback_stateEbbT6_jjT7_P12ihipStream_tbENKUlT_T0_SG_SL_E_clIS9_SA_SB_SB_EEDaSZ_S10_SG_SL_EUlSZ_E_NS1_11comp_targetILNS1_3genE2ELNS1_11target_archE906ELNS1_3gpuE6ELNS1_3repE0EEENS1_47radix_sort_onesweep_sort_config_static_selectorELNS0_4arch9wavefront6targetE0EEEvSG_.uses_flat_scratch, 0
	.set _ZN7rocprim17ROCPRIM_400000_NS6detail17trampoline_kernelINS0_14default_configENS1_35radix_sort_onesweep_config_selectorIdNS0_10empty_typeEEEZZNS1_29radix_sort_onesweep_iterationIS3_Lb1EPKdPdPS5_SB_mNS0_19identity_decomposerENS1_16block_id_wrapperIjLb1EEEEE10hipError_tT1_PNSt15iterator_traitsISG_E10value_typeET2_T3_PNSH_ISM_E10value_typeET4_T5_PSR_SS_PNS1_23onesweep_lookback_stateEbbT6_jjT7_P12ihipStream_tbENKUlT_T0_SG_SL_E_clIS9_SA_SB_SB_EEDaSZ_S10_SG_SL_EUlSZ_E_NS1_11comp_targetILNS1_3genE2ELNS1_11target_archE906ELNS1_3gpuE6ELNS1_3repE0EEENS1_47radix_sort_onesweep_sort_config_static_selectorELNS0_4arch9wavefront6targetE0EEEvSG_.has_dyn_sized_stack, 0
	.set _ZN7rocprim17ROCPRIM_400000_NS6detail17trampoline_kernelINS0_14default_configENS1_35radix_sort_onesweep_config_selectorIdNS0_10empty_typeEEEZZNS1_29radix_sort_onesweep_iterationIS3_Lb1EPKdPdPS5_SB_mNS0_19identity_decomposerENS1_16block_id_wrapperIjLb1EEEEE10hipError_tT1_PNSt15iterator_traitsISG_E10value_typeET2_T3_PNSH_ISM_E10value_typeET4_T5_PSR_SS_PNS1_23onesweep_lookback_stateEbbT6_jjT7_P12ihipStream_tbENKUlT_T0_SG_SL_E_clIS9_SA_SB_SB_EEDaSZ_S10_SG_SL_EUlSZ_E_NS1_11comp_targetILNS1_3genE2ELNS1_11target_archE906ELNS1_3gpuE6ELNS1_3repE0EEENS1_47radix_sort_onesweep_sort_config_static_selectorELNS0_4arch9wavefront6targetE0EEEvSG_.has_recursion, 0
	.set _ZN7rocprim17ROCPRIM_400000_NS6detail17trampoline_kernelINS0_14default_configENS1_35radix_sort_onesweep_config_selectorIdNS0_10empty_typeEEEZZNS1_29radix_sort_onesweep_iterationIS3_Lb1EPKdPdPS5_SB_mNS0_19identity_decomposerENS1_16block_id_wrapperIjLb1EEEEE10hipError_tT1_PNSt15iterator_traitsISG_E10value_typeET2_T3_PNSH_ISM_E10value_typeET4_T5_PSR_SS_PNS1_23onesweep_lookback_stateEbbT6_jjT7_P12ihipStream_tbENKUlT_T0_SG_SL_E_clIS9_SA_SB_SB_EEDaSZ_S10_SG_SL_EUlSZ_E_NS1_11comp_targetILNS1_3genE2ELNS1_11target_archE906ELNS1_3gpuE6ELNS1_3repE0EEENS1_47radix_sort_onesweep_sort_config_static_selectorELNS0_4arch9wavefront6targetE0EEEvSG_.has_indirect_call, 0
	.section	.AMDGPU.csdata,"",@progbits
; Kernel info:
; codeLenInByte = 0
; TotalNumSgprs: 0
; NumVgprs: 0
; ScratchSize: 0
; MemoryBound: 0
; FloatMode: 240
; IeeeMode: 1
; LDSByteSize: 0 bytes/workgroup (compile time only)
; SGPRBlocks: 0
; VGPRBlocks: 0
; NumSGPRsForWavesPerEU: 1
; NumVGPRsForWavesPerEU: 1
; NamedBarCnt: 0
; Occupancy: 16
; WaveLimiterHint : 0
; COMPUTE_PGM_RSRC2:SCRATCH_EN: 0
; COMPUTE_PGM_RSRC2:USER_SGPR: 2
; COMPUTE_PGM_RSRC2:TRAP_HANDLER: 0
; COMPUTE_PGM_RSRC2:TGID_X_EN: 1
; COMPUTE_PGM_RSRC2:TGID_Y_EN: 0
; COMPUTE_PGM_RSRC2:TGID_Z_EN: 0
; COMPUTE_PGM_RSRC2:TIDIG_COMP_CNT: 0
	.section	.text._ZN7rocprim17ROCPRIM_400000_NS6detail17trampoline_kernelINS0_14default_configENS1_35radix_sort_onesweep_config_selectorIdNS0_10empty_typeEEEZZNS1_29radix_sort_onesweep_iterationIS3_Lb1EPKdPdPS5_SB_mNS0_19identity_decomposerENS1_16block_id_wrapperIjLb1EEEEE10hipError_tT1_PNSt15iterator_traitsISG_E10value_typeET2_T3_PNSH_ISM_E10value_typeET4_T5_PSR_SS_PNS1_23onesweep_lookback_stateEbbT6_jjT7_P12ihipStream_tbENKUlT_T0_SG_SL_E_clIS9_SA_SB_SB_EEDaSZ_S10_SG_SL_EUlSZ_E_NS1_11comp_targetILNS1_3genE4ELNS1_11target_archE910ELNS1_3gpuE8ELNS1_3repE0EEENS1_47radix_sort_onesweep_sort_config_static_selectorELNS0_4arch9wavefront6targetE0EEEvSG_,"axG",@progbits,_ZN7rocprim17ROCPRIM_400000_NS6detail17trampoline_kernelINS0_14default_configENS1_35radix_sort_onesweep_config_selectorIdNS0_10empty_typeEEEZZNS1_29radix_sort_onesweep_iterationIS3_Lb1EPKdPdPS5_SB_mNS0_19identity_decomposerENS1_16block_id_wrapperIjLb1EEEEE10hipError_tT1_PNSt15iterator_traitsISG_E10value_typeET2_T3_PNSH_ISM_E10value_typeET4_T5_PSR_SS_PNS1_23onesweep_lookback_stateEbbT6_jjT7_P12ihipStream_tbENKUlT_T0_SG_SL_E_clIS9_SA_SB_SB_EEDaSZ_S10_SG_SL_EUlSZ_E_NS1_11comp_targetILNS1_3genE4ELNS1_11target_archE910ELNS1_3gpuE8ELNS1_3repE0EEENS1_47radix_sort_onesweep_sort_config_static_selectorELNS0_4arch9wavefront6targetE0EEEvSG_,comdat
	.protected	_ZN7rocprim17ROCPRIM_400000_NS6detail17trampoline_kernelINS0_14default_configENS1_35radix_sort_onesweep_config_selectorIdNS0_10empty_typeEEEZZNS1_29radix_sort_onesweep_iterationIS3_Lb1EPKdPdPS5_SB_mNS0_19identity_decomposerENS1_16block_id_wrapperIjLb1EEEEE10hipError_tT1_PNSt15iterator_traitsISG_E10value_typeET2_T3_PNSH_ISM_E10value_typeET4_T5_PSR_SS_PNS1_23onesweep_lookback_stateEbbT6_jjT7_P12ihipStream_tbENKUlT_T0_SG_SL_E_clIS9_SA_SB_SB_EEDaSZ_S10_SG_SL_EUlSZ_E_NS1_11comp_targetILNS1_3genE4ELNS1_11target_archE910ELNS1_3gpuE8ELNS1_3repE0EEENS1_47radix_sort_onesweep_sort_config_static_selectorELNS0_4arch9wavefront6targetE0EEEvSG_ ; -- Begin function _ZN7rocprim17ROCPRIM_400000_NS6detail17trampoline_kernelINS0_14default_configENS1_35radix_sort_onesweep_config_selectorIdNS0_10empty_typeEEEZZNS1_29radix_sort_onesweep_iterationIS3_Lb1EPKdPdPS5_SB_mNS0_19identity_decomposerENS1_16block_id_wrapperIjLb1EEEEE10hipError_tT1_PNSt15iterator_traitsISG_E10value_typeET2_T3_PNSH_ISM_E10value_typeET4_T5_PSR_SS_PNS1_23onesweep_lookback_stateEbbT6_jjT7_P12ihipStream_tbENKUlT_T0_SG_SL_E_clIS9_SA_SB_SB_EEDaSZ_S10_SG_SL_EUlSZ_E_NS1_11comp_targetILNS1_3genE4ELNS1_11target_archE910ELNS1_3gpuE8ELNS1_3repE0EEENS1_47radix_sort_onesweep_sort_config_static_selectorELNS0_4arch9wavefront6targetE0EEEvSG_
	.globl	_ZN7rocprim17ROCPRIM_400000_NS6detail17trampoline_kernelINS0_14default_configENS1_35radix_sort_onesweep_config_selectorIdNS0_10empty_typeEEEZZNS1_29radix_sort_onesweep_iterationIS3_Lb1EPKdPdPS5_SB_mNS0_19identity_decomposerENS1_16block_id_wrapperIjLb1EEEEE10hipError_tT1_PNSt15iterator_traitsISG_E10value_typeET2_T3_PNSH_ISM_E10value_typeET4_T5_PSR_SS_PNS1_23onesweep_lookback_stateEbbT6_jjT7_P12ihipStream_tbENKUlT_T0_SG_SL_E_clIS9_SA_SB_SB_EEDaSZ_S10_SG_SL_EUlSZ_E_NS1_11comp_targetILNS1_3genE4ELNS1_11target_archE910ELNS1_3gpuE8ELNS1_3repE0EEENS1_47radix_sort_onesweep_sort_config_static_selectorELNS0_4arch9wavefront6targetE0EEEvSG_
	.p2align	8
	.type	_ZN7rocprim17ROCPRIM_400000_NS6detail17trampoline_kernelINS0_14default_configENS1_35radix_sort_onesweep_config_selectorIdNS0_10empty_typeEEEZZNS1_29radix_sort_onesweep_iterationIS3_Lb1EPKdPdPS5_SB_mNS0_19identity_decomposerENS1_16block_id_wrapperIjLb1EEEEE10hipError_tT1_PNSt15iterator_traitsISG_E10value_typeET2_T3_PNSH_ISM_E10value_typeET4_T5_PSR_SS_PNS1_23onesweep_lookback_stateEbbT6_jjT7_P12ihipStream_tbENKUlT_T0_SG_SL_E_clIS9_SA_SB_SB_EEDaSZ_S10_SG_SL_EUlSZ_E_NS1_11comp_targetILNS1_3genE4ELNS1_11target_archE910ELNS1_3gpuE8ELNS1_3repE0EEENS1_47radix_sort_onesweep_sort_config_static_selectorELNS0_4arch9wavefront6targetE0EEEvSG_,@function
_ZN7rocprim17ROCPRIM_400000_NS6detail17trampoline_kernelINS0_14default_configENS1_35radix_sort_onesweep_config_selectorIdNS0_10empty_typeEEEZZNS1_29radix_sort_onesweep_iterationIS3_Lb1EPKdPdPS5_SB_mNS0_19identity_decomposerENS1_16block_id_wrapperIjLb1EEEEE10hipError_tT1_PNSt15iterator_traitsISG_E10value_typeET2_T3_PNSH_ISM_E10value_typeET4_T5_PSR_SS_PNS1_23onesweep_lookback_stateEbbT6_jjT7_P12ihipStream_tbENKUlT_T0_SG_SL_E_clIS9_SA_SB_SB_EEDaSZ_S10_SG_SL_EUlSZ_E_NS1_11comp_targetILNS1_3genE4ELNS1_11target_archE910ELNS1_3gpuE8ELNS1_3repE0EEENS1_47radix_sort_onesweep_sort_config_static_selectorELNS0_4arch9wavefront6targetE0EEEvSG_: ; @_ZN7rocprim17ROCPRIM_400000_NS6detail17trampoline_kernelINS0_14default_configENS1_35radix_sort_onesweep_config_selectorIdNS0_10empty_typeEEEZZNS1_29radix_sort_onesweep_iterationIS3_Lb1EPKdPdPS5_SB_mNS0_19identity_decomposerENS1_16block_id_wrapperIjLb1EEEEE10hipError_tT1_PNSt15iterator_traitsISG_E10value_typeET2_T3_PNSH_ISM_E10value_typeET4_T5_PSR_SS_PNS1_23onesweep_lookback_stateEbbT6_jjT7_P12ihipStream_tbENKUlT_T0_SG_SL_E_clIS9_SA_SB_SB_EEDaSZ_S10_SG_SL_EUlSZ_E_NS1_11comp_targetILNS1_3genE4ELNS1_11target_archE910ELNS1_3gpuE8ELNS1_3repE0EEENS1_47radix_sort_onesweep_sort_config_static_selectorELNS0_4arch9wavefront6targetE0EEEvSG_
; %bb.0:
	.section	.rodata,"a",@progbits
	.p2align	6, 0x0
	.amdhsa_kernel _ZN7rocprim17ROCPRIM_400000_NS6detail17trampoline_kernelINS0_14default_configENS1_35radix_sort_onesweep_config_selectorIdNS0_10empty_typeEEEZZNS1_29radix_sort_onesweep_iterationIS3_Lb1EPKdPdPS5_SB_mNS0_19identity_decomposerENS1_16block_id_wrapperIjLb1EEEEE10hipError_tT1_PNSt15iterator_traitsISG_E10value_typeET2_T3_PNSH_ISM_E10value_typeET4_T5_PSR_SS_PNS1_23onesweep_lookback_stateEbbT6_jjT7_P12ihipStream_tbENKUlT_T0_SG_SL_E_clIS9_SA_SB_SB_EEDaSZ_S10_SG_SL_EUlSZ_E_NS1_11comp_targetILNS1_3genE4ELNS1_11target_archE910ELNS1_3gpuE8ELNS1_3repE0EEENS1_47radix_sort_onesweep_sort_config_static_selectorELNS0_4arch9wavefront6targetE0EEEvSG_
		.amdhsa_group_segment_fixed_size 0
		.amdhsa_private_segment_fixed_size 0
		.amdhsa_kernarg_size 88
		.amdhsa_user_sgpr_count 2
		.amdhsa_user_sgpr_dispatch_ptr 0
		.amdhsa_user_sgpr_queue_ptr 0
		.amdhsa_user_sgpr_kernarg_segment_ptr 1
		.amdhsa_user_sgpr_dispatch_id 0
		.amdhsa_user_sgpr_kernarg_preload_length 0
		.amdhsa_user_sgpr_kernarg_preload_offset 0
		.amdhsa_user_sgpr_private_segment_size 0
		.amdhsa_wavefront_size32 1
		.amdhsa_uses_dynamic_stack 0
		.amdhsa_enable_private_segment 0
		.amdhsa_system_sgpr_workgroup_id_x 1
		.amdhsa_system_sgpr_workgroup_id_y 0
		.amdhsa_system_sgpr_workgroup_id_z 0
		.amdhsa_system_sgpr_workgroup_info 0
		.amdhsa_system_vgpr_workitem_id 0
		.amdhsa_next_free_vgpr 1
		.amdhsa_next_free_sgpr 1
		.amdhsa_named_barrier_count 0
		.amdhsa_reserve_vcc 0
		.amdhsa_float_round_mode_32 0
		.amdhsa_float_round_mode_16_64 0
		.amdhsa_float_denorm_mode_32 3
		.amdhsa_float_denorm_mode_16_64 3
		.amdhsa_fp16_overflow 0
		.amdhsa_memory_ordered 1
		.amdhsa_forward_progress 1
		.amdhsa_inst_pref_size 0
		.amdhsa_round_robin_scheduling 0
		.amdhsa_exception_fp_ieee_invalid_op 0
		.amdhsa_exception_fp_denorm_src 0
		.amdhsa_exception_fp_ieee_div_zero 0
		.amdhsa_exception_fp_ieee_overflow 0
		.amdhsa_exception_fp_ieee_underflow 0
		.amdhsa_exception_fp_ieee_inexact 0
		.amdhsa_exception_int_div_zero 0
	.end_amdhsa_kernel
	.section	.text._ZN7rocprim17ROCPRIM_400000_NS6detail17trampoline_kernelINS0_14default_configENS1_35radix_sort_onesweep_config_selectorIdNS0_10empty_typeEEEZZNS1_29radix_sort_onesweep_iterationIS3_Lb1EPKdPdPS5_SB_mNS0_19identity_decomposerENS1_16block_id_wrapperIjLb1EEEEE10hipError_tT1_PNSt15iterator_traitsISG_E10value_typeET2_T3_PNSH_ISM_E10value_typeET4_T5_PSR_SS_PNS1_23onesweep_lookback_stateEbbT6_jjT7_P12ihipStream_tbENKUlT_T0_SG_SL_E_clIS9_SA_SB_SB_EEDaSZ_S10_SG_SL_EUlSZ_E_NS1_11comp_targetILNS1_3genE4ELNS1_11target_archE910ELNS1_3gpuE8ELNS1_3repE0EEENS1_47radix_sort_onesweep_sort_config_static_selectorELNS0_4arch9wavefront6targetE0EEEvSG_,"axG",@progbits,_ZN7rocprim17ROCPRIM_400000_NS6detail17trampoline_kernelINS0_14default_configENS1_35radix_sort_onesweep_config_selectorIdNS0_10empty_typeEEEZZNS1_29radix_sort_onesweep_iterationIS3_Lb1EPKdPdPS5_SB_mNS0_19identity_decomposerENS1_16block_id_wrapperIjLb1EEEEE10hipError_tT1_PNSt15iterator_traitsISG_E10value_typeET2_T3_PNSH_ISM_E10value_typeET4_T5_PSR_SS_PNS1_23onesweep_lookback_stateEbbT6_jjT7_P12ihipStream_tbENKUlT_T0_SG_SL_E_clIS9_SA_SB_SB_EEDaSZ_S10_SG_SL_EUlSZ_E_NS1_11comp_targetILNS1_3genE4ELNS1_11target_archE910ELNS1_3gpuE8ELNS1_3repE0EEENS1_47radix_sort_onesweep_sort_config_static_selectorELNS0_4arch9wavefront6targetE0EEEvSG_,comdat
.Lfunc_end1522:
	.size	_ZN7rocprim17ROCPRIM_400000_NS6detail17trampoline_kernelINS0_14default_configENS1_35radix_sort_onesweep_config_selectorIdNS0_10empty_typeEEEZZNS1_29radix_sort_onesweep_iterationIS3_Lb1EPKdPdPS5_SB_mNS0_19identity_decomposerENS1_16block_id_wrapperIjLb1EEEEE10hipError_tT1_PNSt15iterator_traitsISG_E10value_typeET2_T3_PNSH_ISM_E10value_typeET4_T5_PSR_SS_PNS1_23onesweep_lookback_stateEbbT6_jjT7_P12ihipStream_tbENKUlT_T0_SG_SL_E_clIS9_SA_SB_SB_EEDaSZ_S10_SG_SL_EUlSZ_E_NS1_11comp_targetILNS1_3genE4ELNS1_11target_archE910ELNS1_3gpuE8ELNS1_3repE0EEENS1_47radix_sort_onesweep_sort_config_static_selectorELNS0_4arch9wavefront6targetE0EEEvSG_, .Lfunc_end1522-_ZN7rocprim17ROCPRIM_400000_NS6detail17trampoline_kernelINS0_14default_configENS1_35radix_sort_onesweep_config_selectorIdNS0_10empty_typeEEEZZNS1_29radix_sort_onesweep_iterationIS3_Lb1EPKdPdPS5_SB_mNS0_19identity_decomposerENS1_16block_id_wrapperIjLb1EEEEE10hipError_tT1_PNSt15iterator_traitsISG_E10value_typeET2_T3_PNSH_ISM_E10value_typeET4_T5_PSR_SS_PNS1_23onesweep_lookback_stateEbbT6_jjT7_P12ihipStream_tbENKUlT_T0_SG_SL_E_clIS9_SA_SB_SB_EEDaSZ_S10_SG_SL_EUlSZ_E_NS1_11comp_targetILNS1_3genE4ELNS1_11target_archE910ELNS1_3gpuE8ELNS1_3repE0EEENS1_47radix_sort_onesweep_sort_config_static_selectorELNS0_4arch9wavefront6targetE0EEEvSG_
                                        ; -- End function
	.set _ZN7rocprim17ROCPRIM_400000_NS6detail17trampoline_kernelINS0_14default_configENS1_35radix_sort_onesweep_config_selectorIdNS0_10empty_typeEEEZZNS1_29radix_sort_onesweep_iterationIS3_Lb1EPKdPdPS5_SB_mNS0_19identity_decomposerENS1_16block_id_wrapperIjLb1EEEEE10hipError_tT1_PNSt15iterator_traitsISG_E10value_typeET2_T3_PNSH_ISM_E10value_typeET4_T5_PSR_SS_PNS1_23onesweep_lookback_stateEbbT6_jjT7_P12ihipStream_tbENKUlT_T0_SG_SL_E_clIS9_SA_SB_SB_EEDaSZ_S10_SG_SL_EUlSZ_E_NS1_11comp_targetILNS1_3genE4ELNS1_11target_archE910ELNS1_3gpuE8ELNS1_3repE0EEENS1_47radix_sort_onesweep_sort_config_static_selectorELNS0_4arch9wavefront6targetE0EEEvSG_.num_vgpr, 0
	.set _ZN7rocprim17ROCPRIM_400000_NS6detail17trampoline_kernelINS0_14default_configENS1_35radix_sort_onesweep_config_selectorIdNS0_10empty_typeEEEZZNS1_29radix_sort_onesweep_iterationIS3_Lb1EPKdPdPS5_SB_mNS0_19identity_decomposerENS1_16block_id_wrapperIjLb1EEEEE10hipError_tT1_PNSt15iterator_traitsISG_E10value_typeET2_T3_PNSH_ISM_E10value_typeET4_T5_PSR_SS_PNS1_23onesweep_lookback_stateEbbT6_jjT7_P12ihipStream_tbENKUlT_T0_SG_SL_E_clIS9_SA_SB_SB_EEDaSZ_S10_SG_SL_EUlSZ_E_NS1_11comp_targetILNS1_3genE4ELNS1_11target_archE910ELNS1_3gpuE8ELNS1_3repE0EEENS1_47radix_sort_onesweep_sort_config_static_selectorELNS0_4arch9wavefront6targetE0EEEvSG_.num_agpr, 0
	.set _ZN7rocprim17ROCPRIM_400000_NS6detail17trampoline_kernelINS0_14default_configENS1_35radix_sort_onesweep_config_selectorIdNS0_10empty_typeEEEZZNS1_29radix_sort_onesweep_iterationIS3_Lb1EPKdPdPS5_SB_mNS0_19identity_decomposerENS1_16block_id_wrapperIjLb1EEEEE10hipError_tT1_PNSt15iterator_traitsISG_E10value_typeET2_T3_PNSH_ISM_E10value_typeET4_T5_PSR_SS_PNS1_23onesweep_lookback_stateEbbT6_jjT7_P12ihipStream_tbENKUlT_T0_SG_SL_E_clIS9_SA_SB_SB_EEDaSZ_S10_SG_SL_EUlSZ_E_NS1_11comp_targetILNS1_3genE4ELNS1_11target_archE910ELNS1_3gpuE8ELNS1_3repE0EEENS1_47radix_sort_onesweep_sort_config_static_selectorELNS0_4arch9wavefront6targetE0EEEvSG_.numbered_sgpr, 0
	.set _ZN7rocprim17ROCPRIM_400000_NS6detail17trampoline_kernelINS0_14default_configENS1_35radix_sort_onesweep_config_selectorIdNS0_10empty_typeEEEZZNS1_29radix_sort_onesweep_iterationIS3_Lb1EPKdPdPS5_SB_mNS0_19identity_decomposerENS1_16block_id_wrapperIjLb1EEEEE10hipError_tT1_PNSt15iterator_traitsISG_E10value_typeET2_T3_PNSH_ISM_E10value_typeET4_T5_PSR_SS_PNS1_23onesweep_lookback_stateEbbT6_jjT7_P12ihipStream_tbENKUlT_T0_SG_SL_E_clIS9_SA_SB_SB_EEDaSZ_S10_SG_SL_EUlSZ_E_NS1_11comp_targetILNS1_3genE4ELNS1_11target_archE910ELNS1_3gpuE8ELNS1_3repE0EEENS1_47radix_sort_onesweep_sort_config_static_selectorELNS0_4arch9wavefront6targetE0EEEvSG_.num_named_barrier, 0
	.set _ZN7rocprim17ROCPRIM_400000_NS6detail17trampoline_kernelINS0_14default_configENS1_35radix_sort_onesweep_config_selectorIdNS0_10empty_typeEEEZZNS1_29radix_sort_onesweep_iterationIS3_Lb1EPKdPdPS5_SB_mNS0_19identity_decomposerENS1_16block_id_wrapperIjLb1EEEEE10hipError_tT1_PNSt15iterator_traitsISG_E10value_typeET2_T3_PNSH_ISM_E10value_typeET4_T5_PSR_SS_PNS1_23onesweep_lookback_stateEbbT6_jjT7_P12ihipStream_tbENKUlT_T0_SG_SL_E_clIS9_SA_SB_SB_EEDaSZ_S10_SG_SL_EUlSZ_E_NS1_11comp_targetILNS1_3genE4ELNS1_11target_archE910ELNS1_3gpuE8ELNS1_3repE0EEENS1_47radix_sort_onesweep_sort_config_static_selectorELNS0_4arch9wavefront6targetE0EEEvSG_.private_seg_size, 0
	.set _ZN7rocprim17ROCPRIM_400000_NS6detail17trampoline_kernelINS0_14default_configENS1_35radix_sort_onesweep_config_selectorIdNS0_10empty_typeEEEZZNS1_29radix_sort_onesweep_iterationIS3_Lb1EPKdPdPS5_SB_mNS0_19identity_decomposerENS1_16block_id_wrapperIjLb1EEEEE10hipError_tT1_PNSt15iterator_traitsISG_E10value_typeET2_T3_PNSH_ISM_E10value_typeET4_T5_PSR_SS_PNS1_23onesweep_lookback_stateEbbT6_jjT7_P12ihipStream_tbENKUlT_T0_SG_SL_E_clIS9_SA_SB_SB_EEDaSZ_S10_SG_SL_EUlSZ_E_NS1_11comp_targetILNS1_3genE4ELNS1_11target_archE910ELNS1_3gpuE8ELNS1_3repE0EEENS1_47radix_sort_onesweep_sort_config_static_selectorELNS0_4arch9wavefront6targetE0EEEvSG_.uses_vcc, 0
	.set _ZN7rocprim17ROCPRIM_400000_NS6detail17trampoline_kernelINS0_14default_configENS1_35radix_sort_onesweep_config_selectorIdNS0_10empty_typeEEEZZNS1_29radix_sort_onesweep_iterationIS3_Lb1EPKdPdPS5_SB_mNS0_19identity_decomposerENS1_16block_id_wrapperIjLb1EEEEE10hipError_tT1_PNSt15iterator_traitsISG_E10value_typeET2_T3_PNSH_ISM_E10value_typeET4_T5_PSR_SS_PNS1_23onesweep_lookback_stateEbbT6_jjT7_P12ihipStream_tbENKUlT_T0_SG_SL_E_clIS9_SA_SB_SB_EEDaSZ_S10_SG_SL_EUlSZ_E_NS1_11comp_targetILNS1_3genE4ELNS1_11target_archE910ELNS1_3gpuE8ELNS1_3repE0EEENS1_47radix_sort_onesweep_sort_config_static_selectorELNS0_4arch9wavefront6targetE0EEEvSG_.uses_flat_scratch, 0
	.set _ZN7rocprim17ROCPRIM_400000_NS6detail17trampoline_kernelINS0_14default_configENS1_35radix_sort_onesweep_config_selectorIdNS0_10empty_typeEEEZZNS1_29radix_sort_onesweep_iterationIS3_Lb1EPKdPdPS5_SB_mNS0_19identity_decomposerENS1_16block_id_wrapperIjLb1EEEEE10hipError_tT1_PNSt15iterator_traitsISG_E10value_typeET2_T3_PNSH_ISM_E10value_typeET4_T5_PSR_SS_PNS1_23onesweep_lookback_stateEbbT6_jjT7_P12ihipStream_tbENKUlT_T0_SG_SL_E_clIS9_SA_SB_SB_EEDaSZ_S10_SG_SL_EUlSZ_E_NS1_11comp_targetILNS1_3genE4ELNS1_11target_archE910ELNS1_3gpuE8ELNS1_3repE0EEENS1_47radix_sort_onesweep_sort_config_static_selectorELNS0_4arch9wavefront6targetE0EEEvSG_.has_dyn_sized_stack, 0
	.set _ZN7rocprim17ROCPRIM_400000_NS6detail17trampoline_kernelINS0_14default_configENS1_35radix_sort_onesweep_config_selectorIdNS0_10empty_typeEEEZZNS1_29radix_sort_onesweep_iterationIS3_Lb1EPKdPdPS5_SB_mNS0_19identity_decomposerENS1_16block_id_wrapperIjLb1EEEEE10hipError_tT1_PNSt15iterator_traitsISG_E10value_typeET2_T3_PNSH_ISM_E10value_typeET4_T5_PSR_SS_PNS1_23onesweep_lookback_stateEbbT6_jjT7_P12ihipStream_tbENKUlT_T0_SG_SL_E_clIS9_SA_SB_SB_EEDaSZ_S10_SG_SL_EUlSZ_E_NS1_11comp_targetILNS1_3genE4ELNS1_11target_archE910ELNS1_3gpuE8ELNS1_3repE0EEENS1_47radix_sort_onesweep_sort_config_static_selectorELNS0_4arch9wavefront6targetE0EEEvSG_.has_recursion, 0
	.set _ZN7rocprim17ROCPRIM_400000_NS6detail17trampoline_kernelINS0_14default_configENS1_35radix_sort_onesweep_config_selectorIdNS0_10empty_typeEEEZZNS1_29radix_sort_onesweep_iterationIS3_Lb1EPKdPdPS5_SB_mNS0_19identity_decomposerENS1_16block_id_wrapperIjLb1EEEEE10hipError_tT1_PNSt15iterator_traitsISG_E10value_typeET2_T3_PNSH_ISM_E10value_typeET4_T5_PSR_SS_PNS1_23onesweep_lookback_stateEbbT6_jjT7_P12ihipStream_tbENKUlT_T0_SG_SL_E_clIS9_SA_SB_SB_EEDaSZ_S10_SG_SL_EUlSZ_E_NS1_11comp_targetILNS1_3genE4ELNS1_11target_archE910ELNS1_3gpuE8ELNS1_3repE0EEENS1_47radix_sort_onesweep_sort_config_static_selectorELNS0_4arch9wavefront6targetE0EEEvSG_.has_indirect_call, 0
	.section	.AMDGPU.csdata,"",@progbits
; Kernel info:
; codeLenInByte = 0
; TotalNumSgprs: 0
; NumVgprs: 0
; ScratchSize: 0
; MemoryBound: 0
; FloatMode: 240
; IeeeMode: 1
; LDSByteSize: 0 bytes/workgroup (compile time only)
; SGPRBlocks: 0
; VGPRBlocks: 0
; NumSGPRsForWavesPerEU: 1
; NumVGPRsForWavesPerEU: 1
; NamedBarCnt: 0
; Occupancy: 16
; WaveLimiterHint : 0
; COMPUTE_PGM_RSRC2:SCRATCH_EN: 0
; COMPUTE_PGM_RSRC2:USER_SGPR: 2
; COMPUTE_PGM_RSRC2:TRAP_HANDLER: 0
; COMPUTE_PGM_RSRC2:TGID_X_EN: 1
; COMPUTE_PGM_RSRC2:TGID_Y_EN: 0
; COMPUTE_PGM_RSRC2:TGID_Z_EN: 0
; COMPUTE_PGM_RSRC2:TIDIG_COMP_CNT: 0
	.section	.text._ZN7rocprim17ROCPRIM_400000_NS6detail17trampoline_kernelINS0_14default_configENS1_35radix_sort_onesweep_config_selectorIdNS0_10empty_typeEEEZZNS1_29radix_sort_onesweep_iterationIS3_Lb1EPKdPdPS5_SB_mNS0_19identity_decomposerENS1_16block_id_wrapperIjLb1EEEEE10hipError_tT1_PNSt15iterator_traitsISG_E10value_typeET2_T3_PNSH_ISM_E10value_typeET4_T5_PSR_SS_PNS1_23onesweep_lookback_stateEbbT6_jjT7_P12ihipStream_tbENKUlT_T0_SG_SL_E_clIS9_SA_SB_SB_EEDaSZ_S10_SG_SL_EUlSZ_E_NS1_11comp_targetILNS1_3genE3ELNS1_11target_archE908ELNS1_3gpuE7ELNS1_3repE0EEENS1_47radix_sort_onesweep_sort_config_static_selectorELNS0_4arch9wavefront6targetE0EEEvSG_,"axG",@progbits,_ZN7rocprim17ROCPRIM_400000_NS6detail17trampoline_kernelINS0_14default_configENS1_35radix_sort_onesweep_config_selectorIdNS0_10empty_typeEEEZZNS1_29radix_sort_onesweep_iterationIS3_Lb1EPKdPdPS5_SB_mNS0_19identity_decomposerENS1_16block_id_wrapperIjLb1EEEEE10hipError_tT1_PNSt15iterator_traitsISG_E10value_typeET2_T3_PNSH_ISM_E10value_typeET4_T5_PSR_SS_PNS1_23onesweep_lookback_stateEbbT6_jjT7_P12ihipStream_tbENKUlT_T0_SG_SL_E_clIS9_SA_SB_SB_EEDaSZ_S10_SG_SL_EUlSZ_E_NS1_11comp_targetILNS1_3genE3ELNS1_11target_archE908ELNS1_3gpuE7ELNS1_3repE0EEENS1_47radix_sort_onesweep_sort_config_static_selectorELNS0_4arch9wavefront6targetE0EEEvSG_,comdat
	.protected	_ZN7rocprim17ROCPRIM_400000_NS6detail17trampoline_kernelINS0_14default_configENS1_35radix_sort_onesweep_config_selectorIdNS0_10empty_typeEEEZZNS1_29radix_sort_onesweep_iterationIS3_Lb1EPKdPdPS5_SB_mNS0_19identity_decomposerENS1_16block_id_wrapperIjLb1EEEEE10hipError_tT1_PNSt15iterator_traitsISG_E10value_typeET2_T3_PNSH_ISM_E10value_typeET4_T5_PSR_SS_PNS1_23onesweep_lookback_stateEbbT6_jjT7_P12ihipStream_tbENKUlT_T0_SG_SL_E_clIS9_SA_SB_SB_EEDaSZ_S10_SG_SL_EUlSZ_E_NS1_11comp_targetILNS1_3genE3ELNS1_11target_archE908ELNS1_3gpuE7ELNS1_3repE0EEENS1_47radix_sort_onesweep_sort_config_static_selectorELNS0_4arch9wavefront6targetE0EEEvSG_ ; -- Begin function _ZN7rocprim17ROCPRIM_400000_NS6detail17trampoline_kernelINS0_14default_configENS1_35radix_sort_onesweep_config_selectorIdNS0_10empty_typeEEEZZNS1_29radix_sort_onesweep_iterationIS3_Lb1EPKdPdPS5_SB_mNS0_19identity_decomposerENS1_16block_id_wrapperIjLb1EEEEE10hipError_tT1_PNSt15iterator_traitsISG_E10value_typeET2_T3_PNSH_ISM_E10value_typeET4_T5_PSR_SS_PNS1_23onesweep_lookback_stateEbbT6_jjT7_P12ihipStream_tbENKUlT_T0_SG_SL_E_clIS9_SA_SB_SB_EEDaSZ_S10_SG_SL_EUlSZ_E_NS1_11comp_targetILNS1_3genE3ELNS1_11target_archE908ELNS1_3gpuE7ELNS1_3repE0EEENS1_47radix_sort_onesweep_sort_config_static_selectorELNS0_4arch9wavefront6targetE0EEEvSG_
	.globl	_ZN7rocprim17ROCPRIM_400000_NS6detail17trampoline_kernelINS0_14default_configENS1_35radix_sort_onesweep_config_selectorIdNS0_10empty_typeEEEZZNS1_29radix_sort_onesweep_iterationIS3_Lb1EPKdPdPS5_SB_mNS0_19identity_decomposerENS1_16block_id_wrapperIjLb1EEEEE10hipError_tT1_PNSt15iterator_traitsISG_E10value_typeET2_T3_PNSH_ISM_E10value_typeET4_T5_PSR_SS_PNS1_23onesweep_lookback_stateEbbT6_jjT7_P12ihipStream_tbENKUlT_T0_SG_SL_E_clIS9_SA_SB_SB_EEDaSZ_S10_SG_SL_EUlSZ_E_NS1_11comp_targetILNS1_3genE3ELNS1_11target_archE908ELNS1_3gpuE7ELNS1_3repE0EEENS1_47radix_sort_onesweep_sort_config_static_selectorELNS0_4arch9wavefront6targetE0EEEvSG_
	.p2align	8
	.type	_ZN7rocprim17ROCPRIM_400000_NS6detail17trampoline_kernelINS0_14default_configENS1_35radix_sort_onesweep_config_selectorIdNS0_10empty_typeEEEZZNS1_29radix_sort_onesweep_iterationIS3_Lb1EPKdPdPS5_SB_mNS0_19identity_decomposerENS1_16block_id_wrapperIjLb1EEEEE10hipError_tT1_PNSt15iterator_traitsISG_E10value_typeET2_T3_PNSH_ISM_E10value_typeET4_T5_PSR_SS_PNS1_23onesweep_lookback_stateEbbT6_jjT7_P12ihipStream_tbENKUlT_T0_SG_SL_E_clIS9_SA_SB_SB_EEDaSZ_S10_SG_SL_EUlSZ_E_NS1_11comp_targetILNS1_3genE3ELNS1_11target_archE908ELNS1_3gpuE7ELNS1_3repE0EEENS1_47radix_sort_onesweep_sort_config_static_selectorELNS0_4arch9wavefront6targetE0EEEvSG_,@function
_ZN7rocprim17ROCPRIM_400000_NS6detail17trampoline_kernelINS0_14default_configENS1_35radix_sort_onesweep_config_selectorIdNS0_10empty_typeEEEZZNS1_29radix_sort_onesweep_iterationIS3_Lb1EPKdPdPS5_SB_mNS0_19identity_decomposerENS1_16block_id_wrapperIjLb1EEEEE10hipError_tT1_PNSt15iterator_traitsISG_E10value_typeET2_T3_PNSH_ISM_E10value_typeET4_T5_PSR_SS_PNS1_23onesweep_lookback_stateEbbT6_jjT7_P12ihipStream_tbENKUlT_T0_SG_SL_E_clIS9_SA_SB_SB_EEDaSZ_S10_SG_SL_EUlSZ_E_NS1_11comp_targetILNS1_3genE3ELNS1_11target_archE908ELNS1_3gpuE7ELNS1_3repE0EEENS1_47radix_sort_onesweep_sort_config_static_selectorELNS0_4arch9wavefront6targetE0EEEvSG_: ; @_ZN7rocprim17ROCPRIM_400000_NS6detail17trampoline_kernelINS0_14default_configENS1_35radix_sort_onesweep_config_selectorIdNS0_10empty_typeEEEZZNS1_29radix_sort_onesweep_iterationIS3_Lb1EPKdPdPS5_SB_mNS0_19identity_decomposerENS1_16block_id_wrapperIjLb1EEEEE10hipError_tT1_PNSt15iterator_traitsISG_E10value_typeET2_T3_PNSH_ISM_E10value_typeET4_T5_PSR_SS_PNS1_23onesweep_lookback_stateEbbT6_jjT7_P12ihipStream_tbENKUlT_T0_SG_SL_E_clIS9_SA_SB_SB_EEDaSZ_S10_SG_SL_EUlSZ_E_NS1_11comp_targetILNS1_3genE3ELNS1_11target_archE908ELNS1_3gpuE7ELNS1_3repE0EEENS1_47radix_sort_onesweep_sort_config_static_selectorELNS0_4arch9wavefront6targetE0EEEvSG_
; %bb.0:
	.section	.rodata,"a",@progbits
	.p2align	6, 0x0
	.amdhsa_kernel _ZN7rocprim17ROCPRIM_400000_NS6detail17trampoline_kernelINS0_14default_configENS1_35radix_sort_onesweep_config_selectorIdNS0_10empty_typeEEEZZNS1_29radix_sort_onesweep_iterationIS3_Lb1EPKdPdPS5_SB_mNS0_19identity_decomposerENS1_16block_id_wrapperIjLb1EEEEE10hipError_tT1_PNSt15iterator_traitsISG_E10value_typeET2_T3_PNSH_ISM_E10value_typeET4_T5_PSR_SS_PNS1_23onesweep_lookback_stateEbbT6_jjT7_P12ihipStream_tbENKUlT_T0_SG_SL_E_clIS9_SA_SB_SB_EEDaSZ_S10_SG_SL_EUlSZ_E_NS1_11comp_targetILNS1_3genE3ELNS1_11target_archE908ELNS1_3gpuE7ELNS1_3repE0EEENS1_47radix_sort_onesweep_sort_config_static_selectorELNS0_4arch9wavefront6targetE0EEEvSG_
		.amdhsa_group_segment_fixed_size 0
		.amdhsa_private_segment_fixed_size 0
		.amdhsa_kernarg_size 88
		.amdhsa_user_sgpr_count 2
		.amdhsa_user_sgpr_dispatch_ptr 0
		.amdhsa_user_sgpr_queue_ptr 0
		.amdhsa_user_sgpr_kernarg_segment_ptr 1
		.amdhsa_user_sgpr_dispatch_id 0
		.amdhsa_user_sgpr_kernarg_preload_length 0
		.amdhsa_user_sgpr_kernarg_preload_offset 0
		.amdhsa_user_sgpr_private_segment_size 0
		.amdhsa_wavefront_size32 1
		.amdhsa_uses_dynamic_stack 0
		.amdhsa_enable_private_segment 0
		.amdhsa_system_sgpr_workgroup_id_x 1
		.amdhsa_system_sgpr_workgroup_id_y 0
		.amdhsa_system_sgpr_workgroup_id_z 0
		.amdhsa_system_sgpr_workgroup_info 0
		.amdhsa_system_vgpr_workitem_id 0
		.amdhsa_next_free_vgpr 1
		.amdhsa_next_free_sgpr 1
		.amdhsa_named_barrier_count 0
		.amdhsa_reserve_vcc 0
		.amdhsa_float_round_mode_32 0
		.amdhsa_float_round_mode_16_64 0
		.amdhsa_float_denorm_mode_32 3
		.amdhsa_float_denorm_mode_16_64 3
		.amdhsa_fp16_overflow 0
		.amdhsa_memory_ordered 1
		.amdhsa_forward_progress 1
		.amdhsa_inst_pref_size 0
		.amdhsa_round_robin_scheduling 0
		.amdhsa_exception_fp_ieee_invalid_op 0
		.amdhsa_exception_fp_denorm_src 0
		.amdhsa_exception_fp_ieee_div_zero 0
		.amdhsa_exception_fp_ieee_overflow 0
		.amdhsa_exception_fp_ieee_underflow 0
		.amdhsa_exception_fp_ieee_inexact 0
		.amdhsa_exception_int_div_zero 0
	.end_amdhsa_kernel
	.section	.text._ZN7rocprim17ROCPRIM_400000_NS6detail17trampoline_kernelINS0_14default_configENS1_35radix_sort_onesweep_config_selectorIdNS0_10empty_typeEEEZZNS1_29radix_sort_onesweep_iterationIS3_Lb1EPKdPdPS5_SB_mNS0_19identity_decomposerENS1_16block_id_wrapperIjLb1EEEEE10hipError_tT1_PNSt15iterator_traitsISG_E10value_typeET2_T3_PNSH_ISM_E10value_typeET4_T5_PSR_SS_PNS1_23onesweep_lookback_stateEbbT6_jjT7_P12ihipStream_tbENKUlT_T0_SG_SL_E_clIS9_SA_SB_SB_EEDaSZ_S10_SG_SL_EUlSZ_E_NS1_11comp_targetILNS1_3genE3ELNS1_11target_archE908ELNS1_3gpuE7ELNS1_3repE0EEENS1_47radix_sort_onesweep_sort_config_static_selectorELNS0_4arch9wavefront6targetE0EEEvSG_,"axG",@progbits,_ZN7rocprim17ROCPRIM_400000_NS6detail17trampoline_kernelINS0_14default_configENS1_35radix_sort_onesweep_config_selectorIdNS0_10empty_typeEEEZZNS1_29radix_sort_onesweep_iterationIS3_Lb1EPKdPdPS5_SB_mNS0_19identity_decomposerENS1_16block_id_wrapperIjLb1EEEEE10hipError_tT1_PNSt15iterator_traitsISG_E10value_typeET2_T3_PNSH_ISM_E10value_typeET4_T5_PSR_SS_PNS1_23onesweep_lookback_stateEbbT6_jjT7_P12ihipStream_tbENKUlT_T0_SG_SL_E_clIS9_SA_SB_SB_EEDaSZ_S10_SG_SL_EUlSZ_E_NS1_11comp_targetILNS1_3genE3ELNS1_11target_archE908ELNS1_3gpuE7ELNS1_3repE0EEENS1_47radix_sort_onesweep_sort_config_static_selectorELNS0_4arch9wavefront6targetE0EEEvSG_,comdat
.Lfunc_end1523:
	.size	_ZN7rocprim17ROCPRIM_400000_NS6detail17trampoline_kernelINS0_14default_configENS1_35radix_sort_onesweep_config_selectorIdNS0_10empty_typeEEEZZNS1_29radix_sort_onesweep_iterationIS3_Lb1EPKdPdPS5_SB_mNS0_19identity_decomposerENS1_16block_id_wrapperIjLb1EEEEE10hipError_tT1_PNSt15iterator_traitsISG_E10value_typeET2_T3_PNSH_ISM_E10value_typeET4_T5_PSR_SS_PNS1_23onesweep_lookback_stateEbbT6_jjT7_P12ihipStream_tbENKUlT_T0_SG_SL_E_clIS9_SA_SB_SB_EEDaSZ_S10_SG_SL_EUlSZ_E_NS1_11comp_targetILNS1_3genE3ELNS1_11target_archE908ELNS1_3gpuE7ELNS1_3repE0EEENS1_47radix_sort_onesweep_sort_config_static_selectorELNS0_4arch9wavefront6targetE0EEEvSG_, .Lfunc_end1523-_ZN7rocprim17ROCPRIM_400000_NS6detail17trampoline_kernelINS0_14default_configENS1_35radix_sort_onesweep_config_selectorIdNS0_10empty_typeEEEZZNS1_29radix_sort_onesweep_iterationIS3_Lb1EPKdPdPS5_SB_mNS0_19identity_decomposerENS1_16block_id_wrapperIjLb1EEEEE10hipError_tT1_PNSt15iterator_traitsISG_E10value_typeET2_T3_PNSH_ISM_E10value_typeET4_T5_PSR_SS_PNS1_23onesweep_lookback_stateEbbT6_jjT7_P12ihipStream_tbENKUlT_T0_SG_SL_E_clIS9_SA_SB_SB_EEDaSZ_S10_SG_SL_EUlSZ_E_NS1_11comp_targetILNS1_3genE3ELNS1_11target_archE908ELNS1_3gpuE7ELNS1_3repE0EEENS1_47radix_sort_onesweep_sort_config_static_selectorELNS0_4arch9wavefront6targetE0EEEvSG_
                                        ; -- End function
	.set _ZN7rocprim17ROCPRIM_400000_NS6detail17trampoline_kernelINS0_14default_configENS1_35radix_sort_onesweep_config_selectorIdNS0_10empty_typeEEEZZNS1_29radix_sort_onesweep_iterationIS3_Lb1EPKdPdPS5_SB_mNS0_19identity_decomposerENS1_16block_id_wrapperIjLb1EEEEE10hipError_tT1_PNSt15iterator_traitsISG_E10value_typeET2_T3_PNSH_ISM_E10value_typeET4_T5_PSR_SS_PNS1_23onesweep_lookback_stateEbbT6_jjT7_P12ihipStream_tbENKUlT_T0_SG_SL_E_clIS9_SA_SB_SB_EEDaSZ_S10_SG_SL_EUlSZ_E_NS1_11comp_targetILNS1_3genE3ELNS1_11target_archE908ELNS1_3gpuE7ELNS1_3repE0EEENS1_47radix_sort_onesweep_sort_config_static_selectorELNS0_4arch9wavefront6targetE0EEEvSG_.num_vgpr, 0
	.set _ZN7rocprim17ROCPRIM_400000_NS6detail17trampoline_kernelINS0_14default_configENS1_35radix_sort_onesweep_config_selectorIdNS0_10empty_typeEEEZZNS1_29radix_sort_onesweep_iterationIS3_Lb1EPKdPdPS5_SB_mNS0_19identity_decomposerENS1_16block_id_wrapperIjLb1EEEEE10hipError_tT1_PNSt15iterator_traitsISG_E10value_typeET2_T3_PNSH_ISM_E10value_typeET4_T5_PSR_SS_PNS1_23onesweep_lookback_stateEbbT6_jjT7_P12ihipStream_tbENKUlT_T0_SG_SL_E_clIS9_SA_SB_SB_EEDaSZ_S10_SG_SL_EUlSZ_E_NS1_11comp_targetILNS1_3genE3ELNS1_11target_archE908ELNS1_3gpuE7ELNS1_3repE0EEENS1_47radix_sort_onesweep_sort_config_static_selectorELNS0_4arch9wavefront6targetE0EEEvSG_.num_agpr, 0
	.set _ZN7rocprim17ROCPRIM_400000_NS6detail17trampoline_kernelINS0_14default_configENS1_35radix_sort_onesweep_config_selectorIdNS0_10empty_typeEEEZZNS1_29radix_sort_onesweep_iterationIS3_Lb1EPKdPdPS5_SB_mNS0_19identity_decomposerENS1_16block_id_wrapperIjLb1EEEEE10hipError_tT1_PNSt15iterator_traitsISG_E10value_typeET2_T3_PNSH_ISM_E10value_typeET4_T5_PSR_SS_PNS1_23onesweep_lookback_stateEbbT6_jjT7_P12ihipStream_tbENKUlT_T0_SG_SL_E_clIS9_SA_SB_SB_EEDaSZ_S10_SG_SL_EUlSZ_E_NS1_11comp_targetILNS1_3genE3ELNS1_11target_archE908ELNS1_3gpuE7ELNS1_3repE0EEENS1_47radix_sort_onesweep_sort_config_static_selectorELNS0_4arch9wavefront6targetE0EEEvSG_.numbered_sgpr, 0
	.set _ZN7rocprim17ROCPRIM_400000_NS6detail17trampoline_kernelINS0_14default_configENS1_35radix_sort_onesweep_config_selectorIdNS0_10empty_typeEEEZZNS1_29radix_sort_onesweep_iterationIS3_Lb1EPKdPdPS5_SB_mNS0_19identity_decomposerENS1_16block_id_wrapperIjLb1EEEEE10hipError_tT1_PNSt15iterator_traitsISG_E10value_typeET2_T3_PNSH_ISM_E10value_typeET4_T5_PSR_SS_PNS1_23onesweep_lookback_stateEbbT6_jjT7_P12ihipStream_tbENKUlT_T0_SG_SL_E_clIS9_SA_SB_SB_EEDaSZ_S10_SG_SL_EUlSZ_E_NS1_11comp_targetILNS1_3genE3ELNS1_11target_archE908ELNS1_3gpuE7ELNS1_3repE0EEENS1_47radix_sort_onesweep_sort_config_static_selectorELNS0_4arch9wavefront6targetE0EEEvSG_.num_named_barrier, 0
	.set _ZN7rocprim17ROCPRIM_400000_NS6detail17trampoline_kernelINS0_14default_configENS1_35radix_sort_onesweep_config_selectorIdNS0_10empty_typeEEEZZNS1_29radix_sort_onesweep_iterationIS3_Lb1EPKdPdPS5_SB_mNS0_19identity_decomposerENS1_16block_id_wrapperIjLb1EEEEE10hipError_tT1_PNSt15iterator_traitsISG_E10value_typeET2_T3_PNSH_ISM_E10value_typeET4_T5_PSR_SS_PNS1_23onesweep_lookback_stateEbbT6_jjT7_P12ihipStream_tbENKUlT_T0_SG_SL_E_clIS9_SA_SB_SB_EEDaSZ_S10_SG_SL_EUlSZ_E_NS1_11comp_targetILNS1_3genE3ELNS1_11target_archE908ELNS1_3gpuE7ELNS1_3repE0EEENS1_47radix_sort_onesweep_sort_config_static_selectorELNS0_4arch9wavefront6targetE0EEEvSG_.private_seg_size, 0
	.set _ZN7rocprim17ROCPRIM_400000_NS6detail17trampoline_kernelINS0_14default_configENS1_35radix_sort_onesweep_config_selectorIdNS0_10empty_typeEEEZZNS1_29radix_sort_onesweep_iterationIS3_Lb1EPKdPdPS5_SB_mNS0_19identity_decomposerENS1_16block_id_wrapperIjLb1EEEEE10hipError_tT1_PNSt15iterator_traitsISG_E10value_typeET2_T3_PNSH_ISM_E10value_typeET4_T5_PSR_SS_PNS1_23onesweep_lookback_stateEbbT6_jjT7_P12ihipStream_tbENKUlT_T0_SG_SL_E_clIS9_SA_SB_SB_EEDaSZ_S10_SG_SL_EUlSZ_E_NS1_11comp_targetILNS1_3genE3ELNS1_11target_archE908ELNS1_3gpuE7ELNS1_3repE0EEENS1_47radix_sort_onesweep_sort_config_static_selectorELNS0_4arch9wavefront6targetE0EEEvSG_.uses_vcc, 0
	.set _ZN7rocprim17ROCPRIM_400000_NS6detail17trampoline_kernelINS0_14default_configENS1_35radix_sort_onesweep_config_selectorIdNS0_10empty_typeEEEZZNS1_29radix_sort_onesweep_iterationIS3_Lb1EPKdPdPS5_SB_mNS0_19identity_decomposerENS1_16block_id_wrapperIjLb1EEEEE10hipError_tT1_PNSt15iterator_traitsISG_E10value_typeET2_T3_PNSH_ISM_E10value_typeET4_T5_PSR_SS_PNS1_23onesweep_lookback_stateEbbT6_jjT7_P12ihipStream_tbENKUlT_T0_SG_SL_E_clIS9_SA_SB_SB_EEDaSZ_S10_SG_SL_EUlSZ_E_NS1_11comp_targetILNS1_3genE3ELNS1_11target_archE908ELNS1_3gpuE7ELNS1_3repE0EEENS1_47radix_sort_onesweep_sort_config_static_selectorELNS0_4arch9wavefront6targetE0EEEvSG_.uses_flat_scratch, 0
	.set _ZN7rocprim17ROCPRIM_400000_NS6detail17trampoline_kernelINS0_14default_configENS1_35radix_sort_onesweep_config_selectorIdNS0_10empty_typeEEEZZNS1_29radix_sort_onesweep_iterationIS3_Lb1EPKdPdPS5_SB_mNS0_19identity_decomposerENS1_16block_id_wrapperIjLb1EEEEE10hipError_tT1_PNSt15iterator_traitsISG_E10value_typeET2_T3_PNSH_ISM_E10value_typeET4_T5_PSR_SS_PNS1_23onesweep_lookback_stateEbbT6_jjT7_P12ihipStream_tbENKUlT_T0_SG_SL_E_clIS9_SA_SB_SB_EEDaSZ_S10_SG_SL_EUlSZ_E_NS1_11comp_targetILNS1_3genE3ELNS1_11target_archE908ELNS1_3gpuE7ELNS1_3repE0EEENS1_47radix_sort_onesweep_sort_config_static_selectorELNS0_4arch9wavefront6targetE0EEEvSG_.has_dyn_sized_stack, 0
	.set _ZN7rocprim17ROCPRIM_400000_NS6detail17trampoline_kernelINS0_14default_configENS1_35radix_sort_onesweep_config_selectorIdNS0_10empty_typeEEEZZNS1_29radix_sort_onesweep_iterationIS3_Lb1EPKdPdPS5_SB_mNS0_19identity_decomposerENS1_16block_id_wrapperIjLb1EEEEE10hipError_tT1_PNSt15iterator_traitsISG_E10value_typeET2_T3_PNSH_ISM_E10value_typeET4_T5_PSR_SS_PNS1_23onesweep_lookback_stateEbbT6_jjT7_P12ihipStream_tbENKUlT_T0_SG_SL_E_clIS9_SA_SB_SB_EEDaSZ_S10_SG_SL_EUlSZ_E_NS1_11comp_targetILNS1_3genE3ELNS1_11target_archE908ELNS1_3gpuE7ELNS1_3repE0EEENS1_47radix_sort_onesweep_sort_config_static_selectorELNS0_4arch9wavefront6targetE0EEEvSG_.has_recursion, 0
	.set _ZN7rocprim17ROCPRIM_400000_NS6detail17trampoline_kernelINS0_14default_configENS1_35radix_sort_onesweep_config_selectorIdNS0_10empty_typeEEEZZNS1_29radix_sort_onesweep_iterationIS3_Lb1EPKdPdPS5_SB_mNS0_19identity_decomposerENS1_16block_id_wrapperIjLb1EEEEE10hipError_tT1_PNSt15iterator_traitsISG_E10value_typeET2_T3_PNSH_ISM_E10value_typeET4_T5_PSR_SS_PNS1_23onesweep_lookback_stateEbbT6_jjT7_P12ihipStream_tbENKUlT_T0_SG_SL_E_clIS9_SA_SB_SB_EEDaSZ_S10_SG_SL_EUlSZ_E_NS1_11comp_targetILNS1_3genE3ELNS1_11target_archE908ELNS1_3gpuE7ELNS1_3repE0EEENS1_47radix_sort_onesweep_sort_config_static_selectorELNS0_4arch9wavefront6targetE0EEEvSG_.has_indirect_call, 0
	.section	.AMDGPU.csdata,"",@progbits
; Kernel info:
; codeLenInByte = 0
; TotalNumSgprs: 0
; NumVgprs: 0
; ScratchSize: 0
; MemoryBound: 0
; FloatMode: 240
; IeeeMode: 1
; LDSByteSize: 0 bytes/workgroup (compile time only)
; SGPRBlocks: 0
; VGPRBlocks: 0
; NumSGPRsForWavesPerEU: 1
; NumVGPRsForWavesPerEU: 1
; NamedBarCnt: 0
; Occupancy: 16
; WaveLimiterHint : 0
; COMPUTE_PGM_RSRC2:SCRATCH_EN: 0
; COMPUTE_PGM_RSRC2:USER_SGPR: 2
; COMPUTE_PGM_RSRC2:TRAP_HANDLER: 0
; COMPUTE_PGM_RSRC2:TGID_X_EN: 1
; COMPUTE_PGM_RSRC2:TGID_Y_EN: 0
; COMPUTE_PGM_RSRC2:TGID_Z_EN: 0
; COMPUTE_PGM_RSRC2:TIDIG_COMP_CNT: 0
	.section	.text._ZN7rocprim17ROCPRIM_400000_NS6detail17trampoline_kernelINS0_14default_configENS1_35radix_sort_onesweep_config_selectorIdNS0_10empty_typeEEEZZNS1_29radix_sort_onesweep_iterationIS3_Lb1EPKdPdPS5_SB_mNS0_19identity_decomposerENS1_16block_id_wrapperIjLb1EEEEE10hipError_tT1_PNSt15iterator_traitsISG_E10value_typeET2_T3_PNSH_ISM_E10value_typeET4_T5_PSR_SS_PNS1_23onesweep_lookback_stateEbbT6_jjT7_P12ihipStream_tbENKUlT_T0_SG_SL_E_clIS9_SA_SB_SB_EEDaSZ_S10_SG_SL_EUlSZ_E_NS1_11comp_targetILNS1_3genE10ELNS1_11target_archE1201ELNS1_3gpuE5ELNS1_3repE0EEENS1_47radix_sort_onesweep_sort_config_static_selectorELNS0_4arch9wavefront6targetE0EEEvSG_,"axG",@progbits,_ZN7rocprim17ROCPRIM_400000_NS6detail17trampoline_kernelINS0_14default_configENS1_35radix_sort_onesweep_config_selectorIdNS0_10empty_typeEEEZZNS1_29radix_sort_onesweep_iterationIS3_Lb1EPKdPdPS5_SB_mNS0_19identity_decomposerENS1_16block_id_wrapperIjLb1EEEEE10hipError_tT1_PNSt15iterator_traitsISG_E10value_typeET2_T3_PNSH_ISM_E10value_typeET4_T5_PSR_SS_PNS1_23onesweep_lookback_stateEbbT6_jjT7_P12ihipStream_tbENKUlT_T0_SG_SL_E_clIS9_SA_SB_SB_EEDaSZ_S10_SG_SL_EUlSZ_E_NS1_11comp_targetILNS1_3genE10ELNS1_11target_archE1201ELNS1_3gpuE5ELNS1_3repE0EEENS1_47radix_sort_onesweep_sort_config_static_selectorELNS0_4arch9wavefront6targetE0EEEvSG_,comdat
	.protected	_ZN7rocprim17ROCPRIM_400000_NS6detail17trampoline_kernelINS0_14default_configENS1_35radix_sort_onesweep_config_selectorIdNS0_10empty_typeEEEZZNS1_29radix_sort_onesweep_iterationIS3_Lb1EPKdPdPS5_SB_mNS0_19identity_decomposerENS1_16block_id_wrapperIjLb1EEEEE10hipError_tT1_PNSt15iterator_traitsISG_E10value_typeET2_T3_PNSH_ISM_E10value_typeET4_T5_PSR_SS_PNS1_23onesweep_lookback_stateEbbT6_jjT7_P12ihipStream_tbENKUlT_T0_SG_SL_E_clIS9_SA_SB_SB_EEDaSZ_S10_SG_SL_EUlSZ_E_NS1_11comp_targetILNS1_3genE10ELNS1_11target_archE1201ELNS1_3gpuE5ELNS1_3repE0EEENS1_47radix_sort_onesweep_sort_config_static_selectorELNS0_4arch9wavefront6targetE0EEEvSG_ ; -- Begin function _ZN7rocprim17ROCPRIM_400000_NS6detail17trampoline_kernelINS0_14default_configENS1_35radix_sort_onesweep_config_selectorIdNS0_10empty_typeEEEZZNS1_29radix_sort_onesweep_iterationIS3_Lb1EPKdPdPS5_SB_mNS0_19identity_decomposerENS1_16block_id_wrapperIjLb1EEEEE10hipError_tT1_PNSt15iterator_traitsISG_E10value_typeET2_T3_PNSH_ISM_E10value_typeET4_T5_PSR_SS_PNS1_23onesweep_lookback_stateEbbT6_jjT7_P12ihipStream_tbENKUlT_T0_SG_SL_E_clIS9_SA_SB_SB_EEDaSZ_S10_SG_SL_EUlSZ_E_NS1_11comp_targetILNS1_3genE10ELNS1_11target_archE1201ELNS1_3gpuE5ELNS1_3repE0EEENS1_47radix_sort_onesweep_sort_config_static_selectorELNS0_4arch9wavefront6targetE0EEEvSG_
	.globl	_ZN7rocprim17ROCPRIM_400000_NS6detail17trampoline_kernelINS0_14default_configENS1_35radix_sort_onesweep_config_selectorIdNS0_10empty_typeEEEZZNS1_29radix_sort_onesweep_iterationIS3_Lb1EPKdPdPS5_SB_mNS0_19identity_decomposerENS1_16block_id_wrapperIjLb1EEEEE10hipError_tT1_PNSt15iterator_traitsISG_E10value_typeET2_T3_PNSH_ISM_E10value_typeET4_T5_PSR_SS_PNS1_23onesweep_lookback_stateEbbT6_jjT7_P12ihipStream_tbENKUlT_T0_SG_SL_E_clIS9_SA_SB_SB_EEDaSZ_S10_SG_SL_EUlSZ_E_NS1_11comp_targetILNS1_3genE10ELNS1_11target_archE1201ELNS1_3gpuE5ELNS1_3repE0EEENS1_47radix_sort_onesweep_sort_config_static_selectorELNS0_4arch9wavefront6targetE0EEEvSG_
	.p2align	8
	.type	_ZN7rocprim17ROCPRIM_400000_NS6detail17trampoline_kernelINS0_14default_configENS1_35radix_sort_onesweep_config_selectorIdNS0_10empty_typeEEEZZNS1_29radix_sort_onesweep_iterationIS3_Lb1EPKdPdPS5_SB_mNS0_19identity_decomposerENS1_16block_id_wrapperIjLb1EEEEE10hipError_tT1_PNSt15iterator_traitsISG_E10value_typeET2_T3_PNSH_ISM_E10value_typeET4_T5_PSR_SS_PNS1_23onesweep_lookback_stateEbbT6_jjT7_P12ihipStream_tbENKUlT_T0_SG_SL_E_clIS9_SA_SB_SB_EEDaSZ_S10_SG_SL_EUlSZ_E_NS1_11comp_targetILNS1_3genE10ELNS1_11target_archE1201ELNS1_3gpuE5ELNS1_3repE0EEENS1_47radix_sort_onesweep_sort_config_static_selectorELNS0_4arch9wavefront6targetE0EEEvSG_,@function
_ZN7rocprim17ROCPRIM_400000_NS6detail17trampoline_kernelINS0_14default_configENS1_35radix_sort_onesweep_config_selectorIdNS0_10empty_typeEEEZZNS1_29radix_sort_onesweep_iterationIS3_Lb1EPKdPdPS5_SB_mNS0_19identity_decomposerENS1_16block_id_wrapperIjLb1EEEEE10hipError_tT1_PNSt15iterator_traitsISG_E10value_typeET2_T3_PNSH_ISM_E10value_typeET4_T5_PSR_SS_PNS1_23onesweep_lookback_stateEbbT6_jjT7_P12ihipStream_tbENKUlT_T0_SG_SL_E_clIS9_SA_SB_SB_EEDaSZ_S10_SG_SL_EUlSZ_E_NS1_11comp_targetILNS1_3genE10ELNS1_11target_archE1201ELNS1_3gpuE5ELNS1_3repE0EEENS1_47radix_sort_onesweep_sort_config_static_selectorELNS0_4arch9wavefront6targetE0EEEvSG_: ; @_ZN7rocprim17ROCPRIM_400000_NS6detail17trampoline_kernelINS0_14default_configENS1_35radix_sort_onesweep_config_selectorIdNS0_10empty_typeEEEZZNS1_29radix_sort_onesweep_iterationIS3_Lb1EPKdPdPS5_SB_mNS0_19identity_decomposerENS1_16block_id_wrapperIjLb1EEEEE10hipError_tT1_PNSt15iterator_traitsISG_E10value_typeET2_T3_PNSH_ISM_E10value_typeET4_T5_PSR_SS_PNS1_23onesweep_lookback_stateEbbT6_jjT7_P12ihipStream_tbENKUlT_T0_SG_SL_E_clIS9_SA_SB_SB_EEDaSZ_S10_SG_SL_EUlSZ_E_NS1_11comp_targetILNS1_3genE10ELNS1_11target_archE1201ELNS1_3gpuE5ELNS1_3repE0EEENS1_47radix_sort_onesweep_sort_config_static_selectorELNS0_4arch9wavefront6targetE0EEEvSG_
; %bb.0:
	.section	.rodata,"a",@progbits
	.p2align	6, 0x0
	.amdhsa_kernel _ZN7rocprim17ROCPRIM_400000_NS6detail17trampoline_kernelINS0_14default_configENS1_35radix_sort_onesweep_config_selectorIdNS0_10empty_typeEEEZZNS1_29radix_sort_onesweep_iterationIS3_Lb1EPKdPdPS5_SB_mNS0_19identity_decomposerENS1_16block_id_wrapperIjLb1EEEEE10hipError_tT1_PNSt15iterator_traitsISG_E10value_typeET2_T3_PNSH_ISM_E10value_typeET4_T5_PSR_SS_PNS1_23onesweep_lookback_stateEbbT6_jjT7_P12ihipStream_tbENKUlT_T0_SG_SL_E_clIS9_SA_SB_SB_EEDaSZ_S10_SG_SL_EUlSZ_E_NS1_11comp_targetILNS1_3genE10ELNS1_11target_archE1201ELNS1_3gpuE5ELNS1_3repE0EEENS1_47radix_sort_onesweep_sort_config_static_selectorELNS0_4arch9wavefront6targetE0EEEvSG_
		.amdhsa_group_segment_fixed_size 0
		.amdhsa_private_segment_fixed_size 0
		.amdhsa_kernarg_size 88
		.amdhsa_user_sgpr_count 2
		.amdhsa_user_sgpr_dispatch_ptr 0
		.amdhsa_user_sgpr_queue_ptr 0
		.amdhsa_user_sgpr_kernarg_segment_ptr 1
		.amdhsa_user_sgpr_dispatch_id 0
		.amdhsa_user_sgpr_kernarg_preload_length 0
		.amdhsa_user_sgpr_kernarg_preload_offset 0
		.amdhsa_user_sgpr_private_segment_size 0
		.amdhsa_wavefront_size32 1
		.amdhsa_uses_dynamic_stack 0
		.amdhsa_enable_private_segment 0
		.amdhsa_system_sgpr_workgroup_id_x 1
		.amdhsa_system_sgpr_workgroup_id_y 0
		.amdhsa_system_sgpr_workgroup_id_z 0
		.amdhsa_system_sgpr_workgroup_info 0
		.amdhsa_system_vgpr_workitem_id 0
		.amdhsa_next_free_vgpr 1
		.amdhsa_next_free_sgpr 1
		.amdhsa_named_barrier_count 0
		.amdhsa_reserve_vcc 0
		.amdhsa_float_round_mode_32 0
		.amdhsa_float_round_mode_16_64 0
		.amdhsa_float_denorm_mode_32 3
		.amdhsa_float_denorm_mode_16_64 3
		.amdhsa_fp16_overflow 0
		.amdhsa_memory_ordered 1
		.amdhsa_forward_progress 1
		.amdhsa_inst_pref_size 0
		.amdhsa_round_robin_scheduling 0
		.amdhsa_exception_fp_ieee_invalid_op 0
		.amdhsa_exception_fp_denorm_src 0
		.amdhsa_exception_fp_ieee_div_zero 0
		.amdhsa_exception_fp_ieee_overflow 0
		.amdhsa_exception_fp_ieee_underflow 0
		.amdhsa_exception_fp_ieee_inexact 0
		.amdhsa_exception_int_div_zero 0
	.end_amdhsa_kernel
	.section	.text._ZN7rocprim17ROCPRIM_400000_NS6detail17trampoline_kernelINS0_14default_configENS1_35radix_sort_onesweep_config_selectorIdNS0_10empty_typeEEEZZNS1_29radix_sort_onesweep_iterationIS3_Lb1EPKdPdPS5_SB_mNS0_19identity_decomposerENS1_16block_id_wrapperIjLb1EEEEE10hipError_tT1_PNSt15iterator_traitsISG_E10value_typeET2_T3_PNSH_ISM_E10value_typeET4_T5_PSR_SS_PNS1_23onesweep_lookback_stateEbbT6_jjT7_P12ihipStream_tbENKUlT_T0_SG_SL_E_clIS9_SA_SB_SB_EEDaSZ_S10_SG_SL_EUlSZ_E_NS1_11comp_targetILNS1_3genE10ELNS1_11target_archE1201ELNS1_3gpuE5ELNS1_3repE0EEENS1_47radix_sort_onesweep_sort_config_static_selectorELNS0_4arch9wavefront6targetE0EEEvSG_,"axG",@progbits,_ZN7rocprim17ROCPRIM_400000_NS6detail17trampoline_kernelINS0_14default_configENS1_35radix_sort_onesweep_config_selectorIdNS0_10empty_typeEEEZZNS1_29radix_sort_onesweep_iterationIS3_Lb1EPKdPdPS5_SB_mNS0_19identity_decomposerENS1_16block_id_wrapperIjLb1EEEEE10hipError_tT1_PNSt15iterator_traitsISG_E10value_typeET2_T3_PNSH_ISM_E10value_typeET4_T5_PSR_SS_PNS1_23onesweep_lookback_stateEbbT6_jjT7_P12ihipStream_tbENKUlT_T0_SG_SL_E_clIS9_SA_SB_SB_EEDaSZ_S10_SG_SL_EUlSZ_E_NS1_11comp_targetILNS1_3genE10ELNS1_11target_archE1201ELNS1_3gpuE5ELNS1_3repE0EEENS1_47radix_sort_onesweep_sort_config_static_selectorELNS0_4arch9wavefront6targetE0EEEvSG_,comdat
.Lfunc_end1524:
	.size	_ZN7rocprim17ROCPRIM_400000_NS6detail17trampoline_kernelINS0_14default_configENS1_35radix_sort_onesweep_config_selectorIdNS0_10empty_typeEEEZZNS1_29radix_sort_onesweep_iterationIS3_Lb1EPKdPdPS5_SB_mNS0_19identity_decomposerENS1_16block_id_wrapperIjLb1EEEEE10hipError_tT1_PNSt15iterator_traitsISG_E10value_typeET2_T3_PNSH_ISM_E10value_typeET4_T5_PSR_SS_PNS1_23onesweep_lookback_stateEbbT6_jjT7_P12ihipStream_tbENKUlT_T0_SG_SL_E_clIS9_SA_SB_SB_EEDaSZ_S10_SG_SL_EUlSZ_E_NS1_11comp_targetILNS1_3genE10ELNS1_11target_archE1201ELNS1_3gpuE5ELNS1_3repE0EEENS1_47radix_sort_onesweep_sort_config_static_selectorELNS0_4arch9wavefront6targetE0EEEvSG_, .Lfunc_end1524-_ZN7rocprim17ROCPRIM_400000_NS6detail17trampoline_kernelINS0_14default_configENS1_35radix_sort_onesweep_config_selectorIdNS0_10empty_typeEEEZZNS1_29radix_sort_onesweep_iterationIS3_Lb1EPKdPdPS5_SB_mNS0_19identity_decomposerENS1_16block_id_wrapperIjLb1EEEEE10hipError_tT1_PNSt15iterator_traitsISG_E10value_typeET2_T3_PNSH_ISM_E10value_typeET4_T5_PSR_SS_PNS1_23onesweep_lookback_stateEbbT6_jjT7_P12ihipStream_tbENKUlT_T0_SG_SL_E_clIS9_SA_SB_SB_EEDaSZ_S10_SG_SL_EUlSZ_E_NS1_11comp_targetILNS1_3genE10ELNS1_11target_archE1201ELNS1_3gpuE5ELNS1_3repE0EEENS1_47radix_sort_onesweep_sort_config_static_selectorELNS0_4arch9wavefront6targetE0EEEvSG_
                                        ; -- End function
	.set _ZN7rocprim17ROCPRIM_400000_NS6detail17trampoline_kernelINS0_14default_configENS1_35radix_sort_onesweep_config_selectorIdNS0_10empty_typeEEEZZNS1_29radix_sort_onesweep_iterationIS3_Lb1EPKdPdPS5_SB_mNS0_19identity_decomposerENS1_16block_id_wrapperIjLb1EEEEE10hipError_tT1_PNSt15iterator_traitsISG_E10value_typeET2_T3_PNSH_ISM_E10value_typeET4_T5_PSR_SS_PNS1_23onesweep_lookback_stateEbbT6_jjT7_P12ihipStream_tbENKUlT_T0_SG_SL_E_clIS9_SA_SB_SB_EEDaSZ_S10_SG_SL_EUlSZ_E_NS1_11comp_targetILNS1_3genE10ELNS1_11target_archE1201ELNS1_3gpuE5ELNS1_3repE0EEENS1_47radix_sort_onesweep_sort_config_static_selectorELNS0_4arch9wavefront6targetE0EEEvSG_.num_vgpr, 0
	.set _ZN7rocprim17ROCPRIM_400000_NS6detail17trampoline_kernelINS0_14default_configENS1_35radix_sort_onesweep_config_selectorIdNS0_10empty_typeEEEZZNS1_29radix_sort_onesweep_iterationIS3_Lb1EPKdPdPS5_SB_mNS0_19identity_decomposerENS1_16block_id_wrapperIjLb1EEEEE10hipError_tT1_PNSt15iterator_traitsISG_E10value_typeET2_T3_PNSH_ISM_E10value_typeET4_T5_PSR_SS_PNS1_23onesweep_lookback_stateEbbT6_jjT7_P12ihipStream_tbENKUlT_T0_SG_SL_E_clIS9_SA_SB_SB_EEDaSZ_S10_SG_SL_EUlSZ_E_NS1_11comp_targetILNS1_3genE10ELNS1_11target_archE1201ELNS1_3gpuE5ELNS1_3repE0EEENS1_47radix_sort_onesweep_sort_config_static_selectorELNS0_4arch9wavefront6targetE0EEEvSG_.num_agpr, 0
	.set _ZN7rocprim17ROCPRIM_400000_NS6detail17trampoline_kernelINS0_14default_configENS1_35radix_sort_onesweep_config_selectorIdNS0_10empty_typeEEEZZNS1_29radix_sort_onesweep_iterationIS3_Lb1EPKdPdPS5_SB_mNS0_19identity_decomposerENS1_16block_id_wrapperIjLb1EEEEE10hipError_tT1_PNSt15iterator_traitsISG_E10value_typeET2_T3_PNSH_ISM_E10value_typeET4_T5_PSR_SS_PNS1_23onesweep_lookback_stateEbbT6_jjT7_P12ihipStream_tbENKUlT_T0_SG_SL_E_clIS9_SA_SB_SB_EEDaSZ_S10_SG_SL_EUlSZ_E_NS1_11comp_targetILNS1_3genE10ELNS1_11target_archE1201ELNS1_3gpuE5ELNS1_3repE0EEENS1_47radix_sort_onesweep_sort_config_static_selectorELNS0_4arch9wavefront6targetE0EEEvSG_.numbered_sgpr, 0
	.set _ZN7rocprim17ROCPRIM_400000_NS6detail17trampoline_kernelINS0_14default_configENS1_35radix_sort_onesweep_config_selectorIdNS0_10empty_typeEEEZZNS1_29radix_sort_onesweep_iterationIS3_Lb1EPKdPdPS5_SB_mNS0_19identity_decomposerENS1_16block_id_wrapperIjLb1EEEEE10hipError_tT1_PNSt15iterator_traitsISG_E10value_typeET2_T3_PNSH_ISM_E10value_typeET4_T5_PSR_SS_PNS1_23onesweep_lookback_stateEbbT6_jjT7_P12ihipStream_tbENKUlT_T0_SG_SL_E_clIS9_SA_SB_SB_EEDaSZ_S10_SG_SL_EUlSZ_E_NS1_11comp_targetILNS1_3genE10ELNS1_11target_archE1201ELNS1_3gpuE5ELNS1_3repE0EEENS1_47radix_sort_onesweep_sort_config_static_selectorELNS0_4arch9wavefront6targetE0EEEvSG_.num_named_barrier, 0
	.set _ZN7rocprim17ROCPRIM_400000_NS6detail17trampoline_kernelINS0_14default_configENS1_35radix_sort_onesweep_config_selectorIdNS0_10empty_typeEEEZZNS1_29radix_sort_onesweep_iterationIS3_Lb1EPKdPdPS5_SB_mNS0_19identity_decomposerENS1_16block_id_wrapperIjLb1EEEEE10hipError_tT1_PNSt15iterator_traitsISG_E10value_typeET2_T3_PNSH_ISM_E10value_typeET4_T5_PSR_SS_PNS1_23onesweep_lookback_stateEbbT6_jjT7_P12ihipStream_tbENKUlT_T0_SG_SL_E_clIS9_SA_SB_SB_EEDaSZ_S10_SG_SL_EUlSZ_E_NS1_11comp_targetILNS1_3genE10ELNS1_11target_archE1201ELNS1_3gpuE5ELNS1_3repE0EEENS1_47radix_sort_onesweep_sort_config_static_selectorELNS0_4arch9wavefront6targetE0EEEvSG_.private_seg_size, 0
	.set _ZN7rocprim17ROCPRIM_400000_NS6detail17trampoline_kernelINS0_14default_configENS1_35radix_sort_onesweep_config_selectorIdNS0_10empty_typeEEEZZNS1_29radix_sort_onesweep_iterationIS3_Lb1EPKdPdPS5_SB_mNS0_19identity_decomposerENS1_16block_id_wrapperIjLb1EEEEE10hipError_tT1_PNSt15iterator_traitsISG_E10value_typeET2_T3_PNSH_ISM_E10value_typeET4_T5_PSR_SS_PNS1_23onesweep_lookback_stateEbbT6_jjT7_P12ihipStream_tbENKUlT_T0_SG_SL_E_clIS9_SA_SB_SB_EEDaSZ_S10_SG_SL_EUlSZ_E_NS1_11comp_targetILNS1_3genE10ELNS1_11target_archE1201ELNS1_3gpuE5ELNS1_3repE0EEENS1_47radix_sort_onesweep_sort_config_static_selectorELNS0_4arch9wavefront6targetE0EEEvSG_.uses_vcc, 0
	.set _ZN7rocprim17ROCPRIM_400000_NS6detail17trampoline_kernelINS0_14default_configENS1_35radix_sort_onesweep_config_selectorIdNS0_10empty_typeEEEZZNS1_29radix_sort_onesweep_iterationIS3_Lb1EPKdPdPS5_SB_mNS0_19identity_decomposerENS1_16block_id_wrapperIjLb1EEEEE10hipError_tT1_PNSt15iterator_traitsISG_E10value_typeET2_T3_PNSH_ISM_E10value_typeET4_T5_PSR_SS_PNS1_23onesweep_lookback_stateEbbT6_jjT7_P12ihipStream_tbENKUlT_T0_SG_SL_E_clIS9_SA_SB_SB_EEDaSZ_S10_SG_SL_EUlSZ_E_NS1_11comp_targetILNS1_3genE10ELNS1_11target_archE1201ELNS1_3gpuE5ELNS1_3repE0EEENS1_47radix_sort_onesweep_sort_config_static_selectorELNS0_4arch9wavefront6targetE0EEEvSG_.uses_flat_scratch, 0
	.set _ZN7rocprim17ROCPRIM_400000_NS6detail17trampoline_kernelINS0_14default_configENS1_35radix_sort_onesweep_config_selectorIdNS0_10empty_typeEEEZZNS1_29radix_sort_onesweep_iterationIS3_Lb1EPKdPdPS5_SB_mNS0_19identity_decomposerENS1_16block_id_wrapperIjLb1EEEEE10hipError_tT1_PNSt15iterator_traitsISG_E10value_typeET2_T3_PNSH_ISM_E10value_typeET4_T5_PSR_SS_PNS1_23onesweep_lookback_stateEbbT6_jjT7_P12ihipStream_tbENKUlT_T0_SG_SL_E_clIS9_SA_SB_SB_EEDaSZ_S10_SG_SL_EUlSZ_E_NS1_11comp_targetILNS1_3genE10ELNS1_11target_archE1201ELNS1_3gpuE5ELNS1_3repE0EEENS1_47radix_sort_onesweep_sort_config_static_selectorELNS0_4arch9wavefront6targetE0EEEvSG_.has_dyn_sized_stack, 0
	.set _ZN7rocprim17ROCPRIM_400000_NS6detail17trampoline_kernelINS0_14default_configENS1_35radix_sort_onesweep_config_selectorIdNS0_10empty_typeEEEZZNS1_29radix_sort_onesweep_iterationIS3_Lb1EPKdPdPS5_SB_mNS0_19identity_decomposerENS1_16block_id_wrapperIjLb1EEEEE10hipError_tT1_PNSt15iterator_traitsISG_E10value_typeET2_T3_PNSH_ISM_E10value_typeET4_T5_PSR_SS_PNS1_23onesweep_lookback_stateEbbT6_jjT7_P12ihipStream_tbENKUlT_T0_SG_SL_E_clIS9_SA_SB_SB_EEDaSZ_S10_SG_SL_EUlSZ_E_NS1_11comp_targetILNS1_3genE10ELNS1_11target_archE1201ELNS1_3gpuE5ELNS1_3repE0EEENS1_47radix_sort_onesweep_sort_config_static_selectorELNS0_4arch9wavefront6targetE0EEEvSG_.has_recursion, 0
	.set _ZN7rocprim17ROCPRIM_400000_NS6detail17trampoline_kernelINS0_14default_configENS1_35radix_sort_onesweep_config_selectorIdNS0_10empty_typeEEEZZNS1_29radix_sort_onesweep_iterationIS3_Lb1EPKdPdPS5_SB_mNS0_19identity_decomposerENS1_16block_id_wrapperIjLb1EEEEE10hipError_tT1_PNSt15iterator_traitsISG_E10value_typeET2_T3_PNSH_ISM_E10value_typeET4_T5_PSR_SS_PNS1_23onesweep_lookback_stateEbbT6_jjT7_P12ihipStream_tbENKUlT_T0_SG_SL_E_clIS9_SA_SB_SB_EEDaSZ_S10_SG_SL_EUlSZ_E_NS1_11comp_targetILNS1_3genE10ELNS1_11target_archE1201ELNS1_3gpuE5ELNS1_3repE0EEENS1_47radix_sort_onesweep_sort_config_static_selectorELNS0_4arch9wavefront6targetE0EEEvSG_.has_indirect_call, 0
	.section	.AMDGPU.csdata,"",@progbits
; Kernel info:
; codeLenInByte = 0
; TotalNumSgprs: 0
; NumVgprs: 0
; ScratchSize: 0
; MemoryBound: 0
; FloatMode: 240
; IeeeMode: 1
; LDSByteSize: 0 bytes/workgroup (compile time only)
; SGPRBlocks: 0
; VGPRBlocks: 0
; NumSGPRsForWavesPerEU: 1
; NumVGPRsForWavesPerEU: 1
; NamedBarCnt: 0
; Occupancy: 16
; WaveLimiterHint : 0
; COMPUTE_PGM_RSRC2:SCRATCH_EN: 0
; COMPUTE_PGM_RSRC2:USER_SGPR: 2
; COMPUTE_PGM_RSRC2:TRAP_HANDLER: 0
; COMPUTE_PGM_RSRC2:TGID_X_EN: 1
; COMPUTE_PGM_RSRC2:TGID_Y_EN: 0
; COMPUTE_PGM_RSRC2:TGID_Z_EN: 0
; COMPUTE_PGM_RSRC2:TIDIG_COMP_CNT: 0
	.section	.text._ZN7rocprim17ROCPRIM_400000_NS6detail17trampoline_kernelINS0_14default_configENS1_35radix_sort_onesweep_config_selectorIdNS0_10empty_typeEEEZZNS1_29radix_sort_onesweep_iterationIS3_Lb1EPKdPdPS5_SB_mNS0_19identity_decomposerENS1_16block_id_wrapperIjLb1EEEEE10hipError_tT1_PNSt15iterator_traitsISG_E10value_typeET2_T3_PNSH_ISM_E10value_typeET4_T5_PSR_SS_PNS1_23onesweep_lookback_stateEbbT6_jjT7_P12ihipStream_tbENKUlT_T0_SG_SL_E_clIS9_SA_SB_SB_EEDaSZ_S10_SG_SL_EUlSZ_E_NS1_11comp_targetILNS1_3genE9ELNS1_11target_archE1100ELNS1_3gpuE3ELNS1_3repE0EEENS1_47radix_sort_onesweep_sort_config_static_selectorELNS0_4arch9wavefront6targetE0EEEvSG_,"axG",@progbits,_ZN7rocprim17ROCPRIM_400000_NS6detail17trampoline_kernelINS0_14default_configENS1_35radix_sort_onesweep_config_selectorIdNS0_10empty_typeEEEZZNS1_29radix_sort_onesweep_iterationIS3_Lb1EPKdPdPS5_SB_mNS0_19identity_decomposerENS1_16block_id_wrapperIjLb1EEEEE10hipError_tT1_PNSt15iterator_traitsISG_E10value_typeET2_T3_PNSH_ISM_E10value_typeET4_T5_PSR_SS_PNS1_23onesweep_lookback_stateEbbT6_jjT7_P12ihipStream_tbENKUlT_T0_SG_SL_E_clIS9_SA_SB_SB_EEDaSZ_S10_SG_SL_EUlSZ_E_NS1_11comp_targetILNS1_3genE9ELNS1_11target_archE1100ELNS1_3gpuE3ELNS1_3repE0EEENS1_47radix_sort_onesweep_sort_config_static_selectorELNS0_4arch9wavefront6targetE0EEEvSG_,comdat
	.protected	_ZN7rocprim17ROCPRIM_400000_NS6detail17trampoline_kernelINS0_14default_configENS1_35radix_sort_onesweep_config_selectorIdNS0_10empty_typeEEEZZNS1_29radix_sort_onesweep_iterationIS3_Lb1EPKdPdPS5_SB_mNS0_19identity_decomposerENS1_16block_id_wrapperIjLb1EEEEE10hipError_tT1_PNSt15iterator_traitsISG_E10value_typeET2_T3_PNSH_ISM_E10value_typeET4_T5_PSR_SS_PNS1_23onesweep_lookback_stateEbbT6_jjT7_P12ihipStream_tbENKUlT_T0_SG_SL_E_clIS9_SA_SB_SB_EEDaSZ_S10_SG_SL_EUlSZ_E_NS1_11comp_targetILNS1_3genE9ELNS1_11target_archE1100ELNS1_3gpuE3ELNS1_3repE0EEENS1_47radix_sort_onesweep_sort_config_static_selectorELNS0_4arch9wavefront6targetE0EEEvSG_ ; -- Begin function _ZN7rocprim17ROCPRIM_400000_NS6detail17trampoline_kernelINS0_14default_configENS1_35radix_sort_onesweep_config_selectorIdNS0_10empty_typeEEEZZNS1_29radix_sort_onesweep_iterationIS3_Lb1EPKdPdPS5_SB_mNS0_19identity_decomposerENS1_16block_id_wrapperIjLb1EEEEE10hipError_tT1_PNSt15iterator_traitsISG_E10value_typeET2_T3_PNSH_ISM_E10value_typeET4_T5_PSR_SS_PNS1_23onesweep_lookback_stateEbbT6_jjT7_P12ihipStream_tbENKUlT_T0_SG_SL_E_clIS9_SA_SB_SB_EEDaSZ_S10_SG_SL_EUlSZ_E_NS1_11comp_targetILNS1_3genE9ELNS1_11target_archE1100ELNS1_3gpuE3ELNS1_3repE0EEENS1_47radix_sort_onesweep_sort_config_static_selectorELNS0_4arch9wavefront6targetE0EEEvSG_
	.globl	_ZN7rocprim17ROCPRIM_400000_NS6detail17trampoline_kernelINS0_14default_configENS1_35radix_sort_onesweep_config_selectorIdNS0_10empty_typeEEEZZNS1_29radix_sort_onesweep_iterationIS3_Lb1EPKdPdPS5_SB_mNS0_19identity_decomposerENS1_16block_id_wrapperIjLb1EEEEE10hipError_tT1_PNSt15iterator_traitsISG_E10value_typeET2_T3_PNSH_ISM_E10value_typeET4_T5_PSR_SS_PNS1_23onesweep_lookback_stateEbbT6_jjT7_P12ihipStream_tbENKUlT_T0_SG_SL_E_clIS9_SA_SB_SB_EEDaSZ_S10_SG_SL_EUlSZ_E_NS1_11comp_targetILNS1_3genE9ELNS1_11target_archE1100ELNS1_3gpuE3ELNS1_3repE0EEENS1_47radix_sort_onesweep_sort_config_static_selectorELNS0_4arch9wavefront6targetE0EEEvSG_
	.p2align	8
	.type	_ZN7rocprim17ROCPRIM_400000_NS6detail17trampoline_kernelINS0_14default_configENS1_35radix_sort_onesweep_config_selectorIdNS0_10empty_typeEEEZZNS1_29radix_sort_onesweep_iterationIS3_Lb1EPKdPdPS5_SB_mNS0_19identity_decomposerENS1_16block_id_wrapperIjLb1EEEEE10hipError_tT1_PNSt15iterator_traitsISG_E10value_typeET2_T3_PNSH_ISM_E10value_typeET4_T5_PSR_SS_PNS1_23onesweep_lookback_stateEbbT6_jjT7_P12ihipStream_tbENKUlT_T0_SG_SL_E_clIS9_SA_SB_SB_EEDaSZ_S10_SG_SL_EUlSZ_E_NS1_11comp_targetILNS1_3genE9ELNS1_11target_archE1100ELNS1_3gpuE3ELNS1_3repE0EEENS1_47radix_sort_onesweep_sort_config_static_selectorELNS0_4arch9wavefront6targetE0EEEvSG_,@function
_ZN7rocprim17ROCPRIM_400000_NS6detail17trampoline_kernelINS0_14default_configENS1_35radix_sort_onesweep_config_selectorIdNS0_10empty_typeEEEZZNS1_29radix_sort_onesweep_iterationIS3_Lb1EPKdPdPS5_SB_mNS0_19identity_decomposerENS1_16block_id_wrapperIjLb1EEEEE10hipError_tT1_PNSt15iterator_traitsISG_E10value_typeET2_T3_PNSH_ISM_E10value_typeET4_T5_PSR_SS_PNS1_23onesweep_lookback_stateEbbT6_jjT7_P12ihipStream_tbENKUlT_T0_SG_SL_E_clIS9_SA_SB_SB_EEDaSZ_S10_SG_SL_EUlSZ_E_NS1_11comp_targetILNS1_3genE9ELNS1_11target_archE1100ELNS1_3gpuE3ELNS1_3repE0EEENS1_47radix_sort_onesweep_sort_config_static_selectorELNS0_4arch9wavefront6targetE0EEEvSG_: ; @_ZN7rocprim17ROCPRIM_400000_NS6detail17trampoline_kernelINS0_14default_configENS1_35radix_sort_onesweep_config_selectorIdNS0_10empty_typeEEEZZNS1_29radix_sort_onesweep_iterationIS3_Lb1EPKdPdPS5_SB_mNS0_19identity_decomposerENS1_16block_id_wrapperIjLb1EEEEE10hipError_tT1_PNSt15iterator_traitsISG_E10value_typeET2_T3_PNSH_ISM_E10value_typeET4_T5_PSR_SS_PNS1_23onesweep_lookback_stateEbbT6_jjT7_P12ihipStream_tbENKUlT_T0_SG_SL_E_clIS9_SA_SB_SB_EEDaSZ_S10_SG_SL_EUlSZ_E_NS1_11comp_targetILNS1_3genE9ELNS1_11target_archE1100ELNS1_3gpuE3ELNS1_3repE0EEENS1_47radix_sort_onesweep_sort_config_static_selectorELNS0_4arch9wavefront6targetE0EEEvSG_
; %bb.0:
	.section	.rodata,"a",@progbits
	.p2align	6, 0x0
	.amdhsa_kernel _ZN7rocprim17ROCPRIM_400000_NS6detail17trampoline_kernelINS0_14default_configENS1_35radix_sort_onesweep_config_selectorIdNS0_10empty_typeEEEZZNS1_29radix_sort_onesweep_iterationIS3_Lb1EPKdPdPS5_SB_mNS0_19identity_decomposerENS1_16block_id_wrapperIjLb1EEEEE10hipError_tT1_PNSt15iterator_traitsISG_E10value_typeET2_T3_PNSH_ISM_E10value_typeET4_T5_PSR_SS_PNS1_23onesweep_lookback_stateEbbT6_jjT7_P12ihipStream_tbENKUlT_T0_SG_SL_E_clIS9_SA_SB_SB_EEDaSZ_S10_SG_SL_EUlSZ_E_NS1_11comp_targetILNS1_3genE9ELNS1_11target_archE1100ELNS1_3gpuE3ELNS1_3repE0EEENS1_47radix_sort_onesweep_sort_config_static_selectorELNS0_4arch9wavefront6targetE0EEEvSG_
		.amdhsa_group_segment_fixed_size 0
		.amdhsa_private_segment_fixed_size 0
		.amdhsa_kernarg_size 88
		.amdhsa_user_sgpr_count 2
		.amdhsa_user_sgpr_dispatch_ptr 0
		.amdhsa_user_sgpr_queue_ptr 0
		.amdhsa_user_sgpr_kernarg_segment_ptr 1
		.amdhsa_user_sgpr_dispatch_id 0
		.amdhsa_user_sgpr_kernarg_preload_length 0
		.amdhsa_user_sgpr_kernarg_preload_offset 0
		.amdhsa_user_sgpr_private_segment_size 0
		.amdhsa_wavefront_size32 1
		.amdhsa_uses_dynamic_stack 0
		.amdhsa_enable_private_segment 0
		.amdhsa_system_sgpr_workgroup_id_x 1
		.amdhsa_system_sgpr_workgroup_id_y 0
		.amdhsa_system_sgpr_workgroup_id_z 0
		.amdhsa_system_sgpr_workgroup_info 0
		.amdhsa_system_vgpr_workitem_id 0
		.amdhsa_next_free_vgpr 1
		.amdhsa_next_free_sgpr 1
		.amdhsa_named_barrier_count 0
		.amdhsa_reserve_vcc 0
		.amdhsa_float_round_mode_32 0
		.amdhsa_float_round_mode_16_64 0
		.amdhsa_float_denorm_mode_32 3
		.amdhsa_float_denorm_mode_16_64 3
		.amdhsa_fp16_overflow 0
		.amdhsa_memory_ordered 1
		.amdhsa_forward_progress 1
		.amdhsa_inst_pref_size 0
		.amdhsa_round_robin_scheduling 0
		.amdhsa_exception_fp_ieee_invalid_op 0
		.amdhsa_exception_fp_denorm_src 0
		.amdhsa_exception_fp_ieee_div_zero 0
		.amdhsa_exception_fp_ieee_overflow 0
		.amdhsa_exception_fp_ieee_underflow 0
		.amdhsa_exception_fp_ieee_inexact 0
		.amdhsa_exception_int_div_zero 0
	.end_amdhsa_kernel
	.section	.text._ZN7rocprim17ROCPRIM_400000_NS6detail17trampoline_kernelINS0_14default_configENS1_35radix_sort_onesweep_config_selectorIdNS0_10empty_typeEEEZZNS1_29radix_sort_onesweep_iterationIS3_Lb1EPKdPdPS5_SB_mNS0_19identity_decomposerENS1_16block_id_wrapperIjLb1EEEEE10hipError_tT1_PNSt15iterator_traitsISG_E10value_typeET2_T3_PNSH_ISM_E10value_typeET4_T5_PSR_SS_PNS1_23onesweep_lookback_stateEbbT6_jjT7_P12ihipStream_tbENKUlT_T0_SG_SL_E_clIS9_SA_SB_SB_EEDaSZ_S10_SG_SL_EUlSZ_E_NS1_11comp_targetILNS1_3genE9ELNS1_11target_archE1100ELNS1_3gpuE3ELNS1_3repE0EEENS1_47radix_sort_onesweep_sort_config_static_selectorELNS0_4arch9wavefront6targetE0EEEvSG_,"axG",@progbits,_ZN7rocprim17ROCPRIM_400000_NS6detail17trampoline_kernelINS0_14default_configENS1_35radix_sort_onesweep_config_selectorIdNS0_10empty_typeEEEZZNS1_29radix_sort_onesweep_iterationIS3_Lb1EPKdPdPS5_SB_mNS0_19identity_decomposerENS1_16block_id_wrapperIjLb1EEEEE10hipError_tT1_PNSt15iterator_traitsISG_E10value_typeET2_T3_PNSH_ISM_E10value_typeET4_T5_PSR_SS_PNS1_23onesweep_lookback_stateEbbT6_jjT7_P12ihipStream_tbENKUlT_T0_SG_SL_E_clIS9_SA_SB_SB_EEDaSZ_S10_SG_SL_EUlSZ_E_NS1_11comp_targetILNS1_3genE9ELNS1_11target_archE1100ELNS1_3gpuE3ELNS1_3repE0EEENS1_47radix_sort_onesweep_sort_config_static_selectorELNS0_4arch9wavefront6targetE0EEEvSG_,comdat
.Lfunc_end1525:
	.size	_ZN7rocprim17ROCPRIM_400000_NS6detail17trampoline_kernelINS0_14default_configENS1_35radix_sort_onesweep_config_selectorIdNS0_10empty_typeEEEZZNS1_29radix_sort_onesweep_iterationIS3_Lb1EPKdPdPS5_SB_mNS0_19identity_decomposerENS1_16block_id_wrapperIjLb1EEEEE10hipError_tT1_PNSt15iterator_traitsISG_E10value_typeET2_T3_PNSH_ISM_E10value_typeET4_T5_PSR_SS_PNS1_23onesweep_lookback_stateEbbT6_jjT7_P12ihipStream_tbENKUlT_T0_SG_SL_E_clIS9_SA_SB_SB_EEDaSZ_S10_SG_SL_EUlSZ_E_NS1_11comp_targetILNS1_3genE9ELNS1_11target_archE1100ELNS1_3gpuE3ELNS1_3repE0EEENS1_47radix_sort_onesweep_sort_config_static_selectorELNS0_4arch9wavefront6targetE0EEEvSG_, .Lfunc_end1525-_ZN7rocprim17ROCPRIM_400000_NS6detail17trampoline_kernelINS0_14default_configENS1_35radix_sort_onesweep_config_selectorIdNS0_10empty_typeEEEZZNS1_29radix_sort_onesweep_iterationIS3_Lb1EPKdPdPS5_SB_mNS0_19identity_decomposerENS1_16block_id_wrapperIjLb1EEEEE10hipError_tT1_PNSt15iterator_traitsISG_E10value_typeET2_T3_PNSH_ISM_E10value_typeET4_T5_PSR_SS_PNS1_23onesweep_lookback_stateEbbT6_jjT7_P12ihipStream_tbENKUlT_T0_SG_SL_E_clIS9_SA_SB_SB_EEDaSZ_S10_SG_SL_EUlSZ_E_NS1_11comp_targetILNS1_3genE9ELNS1_11target_archE1100ELNS1_3gpuE3ELNS1_3repE0EEENS1_47radix_sort_onesweep_sort_config_static_selectorELNS0_4arch9wavefront6targetE0EEEvSG_
                                        ; -- End function
	.set _ZN7rocprim17ROCPRIM_400000_NS6detail17trampoline_kernelINS0_14default_configENS1_35radix_sort_onesweep_config_selectorIdNS0_10empty_typeEEEZZNS1_29radix_sort_onesweep_iterationIS3_Lb1EPKdPdPS5_SB_mNS0_19identity_decomposerENS1_16block_id_wrapperIjLb1EEEEE10hipError_tT1_PNSt15iterator_traitsISG_E10value_typeET2_T3_PNSH_ISM_E10value_typeET4_T5_PSR_SS_PNS1_23onesweep_lookback_stateEbbT6_jjT7_P12ihipStream_tbENKUlT_T0_SG_SL_E_clIS9_SA_SB_SB_EEDaSZ_S10_SG_SL_EUlSZ_E_NS1_11comp_targetILNS1_3genE9ELNS1_11target_archE1100ELNS1_3gpuE3ELNS1_3repE0EEENS1_47radix_sort_onesweep_sort_config_static_selectorELNS0_4arch9wavefront6targetE0EEEvSG_.num_vgpr, 0
	.set _ZN7rocprim17ROCPRIM_400000_NS6detail17trampoline_kernelINS0_14default_configENS1_35radix_sort_onesweep_config_selectorIdNS0_10empty_typeEEEZZNS1_29radix_sort_onesweep_iterationIS3_Lb1EPKdPdPS5_SB_mNS0_19identity_decomposerENS1_16block_id_wrapperIjLb1EEEEE10hipError_tT1_PNSt15iterator_traitsISG_E10value_typeET2_T3_PNSH_ISM_E10value_typeET4_T5_PSR_SS_PNS1_23onesweep_lookback_stateEbbT6_jjT7_P12ihipStream_tbENKUlT_T0_SG_SL_E_clIS9_SA_SB_SB_EEDaSZ_S10_SG_SL_EUlSZ_E_NS1_11comp_targetILNS1_3genE9ELNS1_11target_archE1100ELNS1_3gpuE3ELNS1_3repE0EEENS1_47radix_sort_onesweep_sort_config_static_selectorELNS0_4arch9wavefront6targetE0EEEvSG_.num_agpr, 0
	.set _ZN7rocprim17ROCPRIM_400000_NS6detail17trampoline_kernelINS0_14default_configENS1_35radix_sort_onesweep_config_selectorIdNS0_10empty_typeEEEZZNS1_29radix_sort_onesweep_iterationIS3_Lb1EPKdPdPS5_SB_mNS0_19identity_decomposerENS1_16block_id_wrapperIjLb1EEEEE10hipError_tT1_PNSt15iterator_traitsISG_E10value_typeET2_T3_PNSH_ISM_E10value_typeET4_T5_PSR_SS_PNS1_23onesweep_lookback_stateEbbT6_jjT7_P12ihipStream_tbENKUlT_T0_SG_SL_E_clIS9_SA_SB_SB_EEDaSZ_S10_SG_SL_EUlSZ_E_NS1_11comp_targetILNS1_3genE9ELNS1_11target_archE1100ELNS1_3gpuE3ELNS1_3repE0EEENS1_47radix_sort_onesweep_sort_config_static_selectorELNS0_4arch9wavefront6targetE0EEEvSG_.numbered_sgpr, 0
	.set _ZN7rocprim17ROCPRIM_400000_NS6detail17trampoline_kernelINS0_14default_configENS1_35radix_sort_onesweep_config_selectorIdNS0_10empty_typeEEEZZNS1_29radix_sort_onesweep_iterationIS3_Lb1EPKdPdPS5_SB_mNS0_19identity_decomposerENS1_16block_id_wrapperIjLb1EEEEE10hipError_tT1_PNSt15iterator_traitsISG_E10value_typeET2_T3_PNSH_ISM_E10value_typeET4_T5_PSR_SS_PNS1_23onesweep_lookback_stateEbbT6_jjT7_P12ihipStream_tbENKUlT_T0_SG_SL_E_clIS9_SA_SB_SB_EEDaSZ_S10_SG_SL_EUlSZ_E_NS1_11comp_targetILNS1_3genE9ELNS1_11target_archE1100ELNS1_3gpuE3ELNS1_3repE0EEENS1_47radix_sort_onesweep_sort_config_static_selectorELNS0_4arch9wavefront6targetE0EEEvSG_.num_named_barrier, 0
	.set _ZN7rocprim17ROCPRIM_400000_NS6detail17trampoline_kernelINS0_14default_configENS1_35radix_sort_onesweep_config_selectorIdNS0_10empty_typeEEEZZNS1_29radix_sort_onesweep_iterationIS3_Lb1EPKdPdPS5_SB_mNS0_19identity_decomposerENS1_16block_id_wrapperIjLb1EEEEE10hipError_tT1_PNSt15iterator_traitsISG_E10value_typeET2_T3_PNSH_ISM_E10value_typeET4_T5_PSR_SS_PNS1_23onesweep_lookback_stateEbbT6_jjT7_P12ihipStream_tbENKUlT_T0_SG_SL_E_clIS9_SA_SB_SB_EEDaSZ_S10_SG_SL_EUlSZ_E_NS1_11comp_targetILNS1_3genE9ELNS1_11target_archE1100ELNS1_3gpuE3ELNS1_3repE0EEENS1_47radix_sort_onesweep_sort_config_static_selectorELNS0_4arch9wavefront6targetE0EEEvSG_.private_seg_size, 0
	.set _ZN7rocprim17ROCPRIM_400000_NS6detail17trampoline_kernelINS0_14default_configENS1_35radix_sort_onesweep_config_selectorIdNS0_10empty_typeEEEZZNS1_29radix_sort_onesweep_iterationIS3_Lb1EPKdPdPS5_SB_mNS0_19identity_decomposerENS1_16block_id_wrapperIjLb1EEEEE10hipError_tT1_PNSt15iterator_traitsISG_E10value_typeET2_T3_PNSH_ISM_E10value_typeET4_T5_PSR_SS_PNS1_23onesweep_lookback_stateEbbT6_jjT7_P12ihipStream_tbENKUlT_T0_SG_SL_E_clIS9_SA_SB_SB_EEDaSZ_S10_SG_SL_EUlSZ_E_NS1_11comp_targetILNS1_3genE9ELNS1_11target_archE1100ELNS1_3gpuE3ELNS1_3repE0EEENS1_47radix_sort_onesweep_sort_config_static_selectorELNS0_4arch9wavefront6targetE0EEEvSG_.uses_vcc, 0
	.set _ZN7rocprim17ROCPRIM_400000_NS6detail17trampoline_kernelINS0_14default_configENS1_35radix_sort_onesweep_config_selectorIdNS0_10empty_typeEEEZZNS1_29radix_sort_onesweep_iterationIS3_Lb1EPKdPdPS5_SB_mNS0_19identity_decomposerENS1_16block_id_wrapperIjLb1EEEEE10hipError_tT1_PNSt15iterator_traitsISG_E10value_typeET2_T3_PNSH_ISM_E10value_typeET4_T5_PSR_SS_PNS1_23onesweep_lookback_stateEbbT6_jjT7_P12ihipStream_tbENKUlT_T0_SG_SL_E_clIS9_SA_SB_SB_EEDaSZ_S10_SG_SL_EUlSZ_E_NS1_11comp_targetILNS1_3genE9ELNS1_11target_archE1100ELNS1_3gpuE3ELNS1_3repE0EEENS1_47radix_sort_onesweep_sort_config_static_selectorELNS0_4arch9wavefront6targetE0EEEvSG_.uses_flat_scratch, 0
	.set _ZN7rocprim17ROCPRIM_400000_NS6detail17trampoline_kernelINS0_14default_configENS1_35radix_sort_onesweep_config_selectorIdNS0_10empty_typeEEEZZNS1_29radix_sort_onesweep_iterationIS3_Lb1EPKdPdPS5_SB_mNS0_19identity_decomposerENS1_16block_id_wrapperIjLb1EEEEE10hipError_tT1_PNSt15iterator_traitsISG_E10value_typeET2_T3_PNSH_ISM_E10value_typeET4_T5_PSR_SS_PNS1_23onesweep_lookback_stateEbbT6_jjT7_P12ihipStream_tbENKUlT_T0_SG_SL_E_clIS9_SA_SB_SB_EEDaSZ_S10_SG_SL_EUlSZ_E_NS1_11comp_targetILNS1_3genE9ELNS1_11target_archE1100ELNS1_3gpuE3ELNS1_3repE0EEENS1_47radix_sort_onesweep_sort_config_static_selectorELNS0_4arch9wavefront6targetE0EEEvSG_.has_dyn_sized_stack, 0
	.set _ZN7rocprim17ROCPRIM_400000_NS6detail17trampoline_kernelINS0_14default_configENS1_35radix_sort_onesweep_config_selectorIdNS0_10empty_typeEEEZZNS1_29radix_sort_onesweep_iterationIS3_Lb1EPKdPdPS5_SB_mNS0_19identity_decomposerENS1_16block_id_wrapperIjLb1EEEEE10hipError_tT1_PNSt15iterator_traitsISG_E10value_typeET2_T3_PNSH_ISM_E10value_typeET4_T5_PSR_SS_PNS1_23onesweep_lookback_stateEbbT6_jjT7_P12ihipStream_tbENKUlT_T0_SG_SL_E_clIS9_SA_SB_SB_EEDaSZ_S10_SG_SL_EUlSZ_E_NS1_11comp_targetILNS1_3genE9ELNS1_11target_archE1100ELNS1_3gpuE3ELNS1_3repE0EEENS1_47radix_sort_onesweep_sort_config_static_selectorELNS0_4arch9wavefront6targetE0EEEvSG_.has_recursion, 0
	.set _ZN7rocprim17ROCPRIM_400000_NS6detail17trampoline_kernelINS0_14default_configENS1_35radix_sort_onesweep_config_selectorIdNS0_10empty_typeEEEZZNS1_29radix_sort_onesweep_iterationIS3_Lb1EPKdPdPS5_SB_mNS0_19identity_decomposerENS1_16block_id_wrapperIjLb1EEEEE10hipError_tT1_PNSt15iterator_traitsISG_E10value_typeET2_T3_PNSH_ISM_E10value_typeET4_T5_PSR_SS_PNS1_23onesweep_lookback_stateEbbT6_jjT7_P12ihipStream_tbENKUlT_T0_SG_SL_E_clIS9_SA_SB_SB_EEDaSZ_S10_SG_SL_EUlSZ_E_NS1_11comp_targetILNS1_3genE9ELNS1_11target_archE1100ELNS1_3gpuE3ELNS1_3repE0EEENS1_47radix_sort_onesweep_sort_config_static_selectorELNS0_4arch9wavefront6targetE0EEEvSG_.has_indirect_call, 0
	.section	.AMDGPU.csdata,"",@progbits
; Kernel info:
; codeLenInByte = 0
; TotalNumSgprs: 0
; NumVgprs: 0
; ScratchSize: 0
; MemoryBound: 0
; FloatMode: 240
; IeeeMode: 1
; LDSByteSize: 0 bytes/workgroup (compile time only)
; SGPRBlocks: 0
; VGPRBlocks: 0
; NumSGPRsForWavesPerEU: 1
; NumVGPRsForWavesPerEU: 1
; NamedBarCnt: 0
; Occupancy: 16
; WaveLimiterHint : 0
; COMPUTE_PGM_RSRC2:SCRATCH_EN: 0
; COMPUTE_PGM_RSRC2:USER_SGPR: 2
; COMPUTE_PGM_RSRC2:TRAP_HANDLER: 0
; COMPUTE_PGM_RSRC2:TGID_X_EN: 1
; COMPUTE_PGM_RSRC2:TGID_Y_EN: 0
; COMPUTE_PGM_RSRC2:TGID_Z_EN: 0
; COMPUTE_PGM_RSRC2:TIDIG_COMP_CNT: 0
	.section	.text._ZN7rocprim17ROCPRIM_400000_NS6detail17trampoline_kernelINS0_14default_configENS1_35radix_sort_onesweep_config_selectorIdNS0_10empty_typeEEEZZNS1_29radix_sort_onesweep_iterationIS3_Lb1EPKdPdPS5_SB_mNS0_19identity_decomposerENS1_16block_id_wrapperIjLb1EEEEE10hipError_tT1_PNSt15iterator_traitsISG_E10value_typeET2_T3_PNSH_ISM_E10value_typeET4_T5_PSR_SS_PNS1_23onesweep_lookback_stateEbbT6_jjT7_P12ihipStream_tbENKUlT_T0_SG_SL_E_clIS9_SA_SB_SB_EEDaSZ_S10_SG_SL_EUlSZ_E_NS1_11comp_targetILNS1_3genE8ELNS1_11target_archE1030ELNS1_3gpuE2ELNS1_3repE0EEENS1_47radix_sort_onesweep_sort_config_static_selectorELNS0_4arch9wavefront6targetE0EEEvSG_,"axG",@progbits,_ZN7rocprim17ROCPRIM_400000_NS6detail17trampoline_kernelINS0_14default_configENS1_35radix_sort_onesweep_config_selectorIdNS0_10empty_typeEEEZZNS1_29radix_sort_onesweep_iterationIS3_Lb1EPKdPdPS5_SB_mNS0_19identity_decomposerENS1_16block_id_wrapperIjLb1EEEEE10hipError_tT1_PNSt15iterator_traitsISG_E10value_typeET2_T3_PNSH_ISM_E10value_typeET4_T5_PSR_SS_PNS1_23onesweep_lookback_stateEbbT6_jjT7_P12ihipStream_tbENKUlT_T0_SG_SL_E_clIS9_SA_SB_SB_EEDaSZ_S10_SG_SL_EUlSZ_E_NS1_11comp_targetILNS1_3genE8ELNS1_11target_archE1030ELNS1_3gpuE2ELNS1_3repE0EEENS1_47radix_sort_onesweep_sort_config_static_selectorELNS0_4arch9wavefront6targetE0EEEvSG_,comdat
	.protected	_ZN7rocprim17ROCPRIM_400000_NS6detail17trampoline_kernelINS0_14default_configENS1_35radix_sort_onesweep_config_selectorIdNS0_10empty_typeEEEZZNS1_29radix_sort_onesweep_iterationIS3_Lb1EPKdPdPS5_SB_mNS0_19identity_decomposerENS1_16block_id_wrapperIjLb1EEEEE10hipError_tT1_PNSt15iterator_traitsISG_E10value_typeET2_T3_PNSH_ISM_E10value_typeET4_T5_PSR_SS_PNS1_23onesweep_lookback_stateEbbT6_jjT7_P12ihipStream_tbENKUlT_T0_SG_SL_E_clIS9_SA_SB_SB_EEDaSZ_S10_SG_SL_EUlSZ_E_NS1_11comp_targetILNS1_3genE8ELNS1_11target_archE1030ELNS1_3gpuE2ELNS1_3repE0EEENS1_47radix_sort_onesweep_sort_config_static_selectorELNS0_4arch9wavefront6targetE0EEEvSG_ ; -- Begin function _ZN7rocprim17ROCPRIM_400000_NS6detail17trampoline_kernelINS0_14default_configENS1_35radix_sort_onesweep_config_selectorIdNS0_10empty_typeEEEZZNS1_29radix_sort_onesweep_iterationIS3_Lb1EPKdPdPS5_SB_mNS0_19identity_decomposerENS1_16block_id_wrapperIjLb1EEEEE10hipError_tT1_PNSt15iterator_traitsISG_E10value_typeET2_T3_PNSH_ISM_E10value_typeET4_T5_PSR_SS_PNS1_23onesweep_lookback_stateEbbT6_jjT7_P12ihipStream_tbENKUlT_T0_SG_SL_E_clIS9_SA_SB_SB_EEDaSZ_S10_SG_SL_EUlSZ_E_NS1_11comp_targetILNS1_3genE8ELNS1_11target_archE1030ELNS1_3gpuE2ELNS1_3repE0EEENS1_47radix_sort_onesweep_sort_config_static_selectorELNS0_4arch9wavefront6targetE0EEEvSG_
	.globl	_ZN7rocprim17ROCPRIM_400000_NS6detail17trampoline_kernelINS0_14default_configENS1_35radix_sort_onesweep_config_selectorIdNS0_10empty_typeEEEZZNS1_29radix_sort_onesweep_iterationIS3_Lb1EPKdPdPS5_SB_mNS0_19identity_decomposerENS1_16block_id_wrapperIjLb1EEEEE10hipError_tT1_PNSt15iterator_traitsISG_E10value_typeET2_T3_PNSH_ISM_E10value_typeET4_T5_PSR_SS_PNS1_23onesweep_lookback_stateEbbT6_jjT7_P12ihipStream_tbENKUlT_T0_SG_SL_E_clIS9_SA_SB_SB_EEDaSZ_S10_SG_SL_EUlSZ_E_NS1_11comp_targetILNS1_3genE8ELNS1_11target_archE1030ELNS1_3gpuE2ELNS1_3repE0EEENS1_47radix_sort_onesweep_sort_config_static_selectorELNS0_4arch9wavefront6targetE0EEEvSG_
	.p2align	8
	.type	_ZN7rocprim17ROCPRIM_400000_NS6detail17trampoline_kernelINS0_14default_configENS1_35radix_sort_onesweep_config_selectorIdNS0_10empty_typeEEEZZNS1_29radix_sort_onesweep_iterationIS3_Lb1EPKdPdPS5_SB_mNS0_19identity_decomposerENS1_16block_id_wrapperIjLb1EEEEE10hipError_tT1_PNSt15iterator_traitsISG_E10value_typeET2_T3_PNSH_ISM_E10value_typeET4_T5_PSR_SS_PNS1_23onesweep_lookback_stateEbbT6_jjT7_P12ihipStream_tbENKUlT_T0_SG_SL_E_clIS9_SA_SB_SB_EEDaSZ_S10_SG_SL_EUlSZ_E_NS1_11comp_targetILNS1_3genE8ELNS1_11target_archE1030ELNS1_3gpuE2ELNS1_3repE0EEENS1_47radix_sort_onesweep_sort_config_static_selectorELNS0_4arch9wavefront6targetE0EEEvSG_,@function
_ZN7rocprim17ROCPRIM_400000_NS6detail17trampoline_kernelINS0_14default_configENS1_35radix_sort_onesweep_config_selectorIdNS0_10empty_typeEEEZZNS1_29radix_sort_onesweep_iterationIS3_Lb1EPKdPdPS5_SB_mNS0_19identity_decomposerENS1_16block_id_wrapperIjLb1EEEEE10hipError_tT1_PNSt15iterator_traitsISG_E10value_typeET2_T3_PNSH_ISM_E10value_typeET4_T5_PSR_SS_PNS1_23onesweep_lookback_stateEbbT6_jjT7_P12ihipStream_tbENKUlT_T0_SG_SL_E_clIS9_SA_SB_SB_EEDaSZ_S10_SG_SL_EUlSZ_E_NS1_11comp_targetILNS1_3genE8ELNS1_11target_archE1030ELNS1_3gpuE2ELNS1_3repE0EEENS1_47radix_sort_onesweep_sort_config_static_selectorELNS0_4arch9wavefront6targetE0EEEvSG_: ; @_ZN7rocprim17ROCPRIM_400000_NS6detail17trampoline_kernelINS0_14default_configENS1_35radix_sort_onesweep_config_selectorIdNS0_10empty_typeEEEZZNS1_29radix_sort_onesweep_iterationIS3_Lb1EPKdPdPS5_SB_mNS0_19identity_decomposerENS1_16block_id_wrapperIjLb1EEEEE10hipError_tT1_PNSt15iterator_traitsISG_E10value_typeET2_T3_PNSH_ISM_E10value_typeET4_T5_PSR_SS_PNS1_23onesweep_lookback_stateEbbT6_jjT7_P12ihipStream_tbENKUlT_T0_SG_SL_E_clIS9_SA_SB_SB_EEDaSZ_S10_SG_SL_EUlSZ_E_NS1_11comp_targetILNS1_3genE8ELNS1_11target_archE1030ELNS1_3gpuE2ELNS1_3repE0EEENS1_47radix_sort_onesweep_sort_config_static_selectorELNS0_4arch9wavefront6targetE0EEEvSG_
; %bb.0:
	.section	.rodata,"a",@progbits
	.p2align	6, 0x0
	.amdhsa_kernel _ZN7rocprim17ROCPRIM_400000_NS6detail17trampoline_kernelINS0_14default_configENS1_35radix_sort_onesweep_config_selectorIdNS0_10empty_typeEEEZZNS1_29radix_sort_onesweep_iterationIS3_Lb1EPKdPdPS5_SB_mNS0_19identity_decomposerENS1_16block_id_wrapperIjLb1EEEEE10hipError_tT1_PNSt15iterator_traitsISG_E10value_typeET2_T3_PNSH_ISM_E10value_typeET4_T5_PSR_SS_PNS1_23onesweep_lookback_stateEbbT6_jjT7_P12ihipStream_tbENKUlT_T0_SG_SL_E_clIS9_SA_SB_SB_EEDaSZ_S10_SG_SL_EUlSZ_E_NS1_11comp_targetILNS1_3genE8ELNS1_11target_archE1030ELNS1_3gpuE2ELNS1_3repE0EEENS1_47radix_sort_onesweep_sort_config_static_selectorELNS0_4arch9wavefront6targetE0EEEvSG_
		.amdhsa_group_segment_fixed_size 0
		.amdhsa_private_segment_fixed_size 0
		.amdhsa_kernarg_size 88
		.amdhsa_user_sgpr_count 2
		.amdhsa_user_sgpr_dispatch_ptr 0
		.amdhsa_user_sgpr_queue_ptr 0
		.amdhsa_user_sgpr_kernarg_segment_ptr 1
		.amdhsa_user_sgpr_dispatch_id 0
		.amdhsa_user_sgpr_kernarg_preload_length 0
		.amdhsa_user_sgpr_kernarg_preload_offset 0
		.amdhsa_user_sgpr_private_segment_size 0
		.amdhsa_wavefront_size32 1
		.amdhsa_uses_dynamic_stack 0
		.amdhsa_enable_private_segment 0
		.amdhsa_system_sgpr_workgroup_id_x 1
		.amdhsa_system_sgpr_workgroup_id_y 0
		.amdhsa_system_sgpr_workgroup_id_z 0
		.amdhsa_system_sgpr_workgroup_info 0
		.amdhsa_system_vgpr_workitem_id 0
		.amdhsa_next_free_vgpr 1
		.amdhsa_next_free_sgpr 1
		.amdhsa_named_barrier_count 0
		.amdhsa_reserve_vcc 0
		.amdhsa_float_round_mode_32 0
		.amdhsa_float_round_mode_16_64 0
		.amdhsa_float_denorm_mode_32 3
		.amdhsa_float_denorm_mode_16_64 3
		.amdhsa_fp16_overflow 0
		.amdhsa_memory_ordered 1
		.amdhsa_forward_progress 1
		.amdhsa_inst_pref_size 0
		.amdhsa_round_robin_scheduling 0
		.amdhsa_exception_fp_ieee_invalid_op 0
		.amdhsa_exception_fp_denorm_src 0
		.amdhsa_exception_fp_ieee_div_zero 0
		.amdhsa_exception_fp_ieee_overflow 0
		.amdhsa_exception_fp_ieee_underflow 0
		.amdhsa_exception_fp_ieee_inexact 0
		.amdhsa_exception_int_div_zero 0
	.end_amdhsa_kernel
	.section	.text._ZN7rocprim17ROCPRIM_400000_NS6detail17trampoline_kernelINS0_14default_configENS1_35radix_sort_onesweep_config_selectorIdNS0_10empty_typeEEEZZNS1_29radix_sort_onesweep_iterationIS3_Lb1EPKdPdPS5_SB_mNS0_19identity_decomposerENS1_16block_id_wrapperIjLb1EEEEE10hipError_tT1_PNSt15iterator_traitsISG_E10value_typeET2_T3_PNSH_ISM_E10value_typeET4_T5_PSR_SS_PNS1_23onesweep_lookback_stateEbbT6_jjT7_P12ihipStream_tbENKUlT_T0_SG_SL_E_clIS9_SA_SB_SB_EEDaSZ_S10_SG_SL_EUlSZ_E_NS1_11comp_targetILNS1_3genE8ELNS1_11target_archE1030ELNS1_3gpuE2ELNS1_3repE0EEENS1_47radix_sort_onesweep_sort_config_static_selectorELNS0_4arch9wavefront6targetE0EEEvSG_,"axG",@progbits,_ZN7rocprim17ROCPRIM_400000_NS6detail17trampoline_kernelINS0_14default_configENS1_35radix_sort_onesweep_config_selectorIdNS0_10empty_typeEEEZZNS1_29radix_sort_onesweep_iterationIS3_Lb1EPKdPdPS5_SB_mNS0_19identity_decomposerENS1_16block_id_wrapperIjLb1EEEEE10hipError_tT1_PNSt15iterator_traitsISG_E10value_typeET2_T3_PNSH_ISM_E10value_typeET4_T5_PSR_SS_PNS1_23onesweep_lookback_stateEbbT6_jjT7_P12ihipStream_tbENKUlT_T0_SG_SL_E_clIS9_SA_SB_SB_EEDaSZ_S10_SG_SL_EUlSZ_E_NS1_11comp_targetILNS1_3genE8ELNS1_11target_archE1030ELNS1_3gpuE2ELNS1_3repE0EEENS1_47radix_sort_onesweep_sort_config_static_selectorELNS0_4arch9wavefront6targetE0EEEvSG_,comdat
.Lfunc_end1526:
	.size	_ZN7rocprim17ROCPRIM_400000_NS6detail17trampoline_kernelINS0_14default_configENS1_35radix_sort_onesweep_config_selectorIdNS0_10empty_typeEEEZZNS1_29radix_sort_onesweep_iterationIS3_Lb1EPKdPdPS5_SB_mNS0_19identity_decomposerENS1_16block_id_wrapperIjLb1EEEEE10hipError_tT1_PNSt15iterator_traitsISG_E10value_typeET2_T3_PNSH_ISM_E10value_typeET4_T5_PSR_SS_PNS1_23onesweep_lookback_stateEbbT6_jjT7_P12ihipStream_tbENKUlT_T0_SG_SL_E_clIS9_SA_SB_SB_EEDaSZ_S10_SG_SL_EUlSZ_E_NS1_11comp_targetILNS1_3genE8ELNS1_11target_archE1030ELNS1_3gpuE2ELNS1_3repE0EEENS1_47radix_sort_onesweep_sort_config_static_selectorELNS0_4arch9wavefront6targetE0EEEvSG_, .Lfunc_end1526-_ZN7rocprim17ROCPRIM_400000_NS6detail17trampoline_kernelINS0_14default_configENS1_35radix_sort_onesweep_config_selectorIdNS0_10empty_typeEEEZZNS1_29radix_sort_onesweep_iterationIS3_Lb1EPKdPdPS5_SB_mNS0_19identity_decomposerENS1_16block_id_wrapperIjLb1EEEEE10hipError_tT1_PNSt15iterator_traitsISG_E10value_typeET2_T3_PNSH_ISM_E10value_typeET4_T5_PSR_SS_PNS1_23onesweep_lookback_stateEbbT6_jjT7_P12ihipStream_tbENKUlT_T0_SG_SL_E_clIS9_SA_SB_SB_EEDaSZ_S10_SG_SL_EUlSZ_E_NS1_11comp_targetILNS1_3genE8ELNS1_11target_archE1030ELNS1_3gpuE2ELNS1_3repE0EEENS1_47radix_sort_onesweep_sort_config_static_selectorELNS0_4arch9wavefront6targetE0EEEvSG_
                                        ; -- End function
	.set _ZN7rocprim17ROCPRIM_400000_NS6detail17trampoline_kernelINS0_14default_configENS1_35radix_sort_onesweep_config_selectorIdNS0_10empty_typeEEEZZNS1_29radix_sort_onesweep_iterationIS3_Lb1EPKdPdPS5_SB_mNS0_19identity_decomposerENS1_16block_id_wrapperIjLb1EEEEE10hipError_tT1_PNSt15iterator_traitsISG_E10value_typeET2_T3_PNSH_ISM_E10value_typeET4_T5_PSR_SS_PNS1_23onesweep_lookback_stateEbbT6_jjT7_P12ihipStream_tbENKUlT_T0_SG_SL_E_clIS9_SA_SB_SB_EEDaSZ_S10_SG_SL_EUlSZ_E_NS1_11comp_targetILNS1_3genE8ELNS1_11target_archE1030ELNS1_3gpuE2ELNS1_3repE0EEENS1_47radix_sort_onesweep_sort_config_static_selectorELNS0_4arch9wavefront6targetE0EEEvSG_.num_vgpr, 0
	.set _ZN7rocprim17ROCPRIM_400000_NS6detail17trampoline_kernelINS0_14default_configENS1_35radix_sort_onesweep_config_selectorIdNS0_10empty_typeEEEZZNS1_29radix_sort_onesweep_iterationIS3_Lb1EPKdPdPS5_SB_mNS0_19identity_decomposerENS1_16block_id_wrapperIjLb1EEEEE10hipError_tT1_PNSt15iterator_traitsISG_E10value_typeET2_T3_PNSH_ISM_E10value_typeET4_T5_PSR_SS_PNS1_23onesweep_lookback_stateEbbT6_jjT7_P12ihipStream_tbENKUlT_T0_SG_SL_E_clIS9_SA_SB_SB_EEDaSZ_S10_SG_SL_EUlSZ_E_NS1_11comp_targetILNS1_3genE8ELNS1_11target_archE1030ELNS1_3gpuE2ELNS1_3repE0EEENS1_47radix_sort_onesweep_sort_config_static_selectorELNS0_4arch9wavefront6targetE0EEEvSG_.num_agpr, 0
	.set _ZN7rocprim17ROCPRIM_400000_NS6detail17trampoline_kernelINS0_14default_configENS1_35radix_sort_onesweep_config_selectorIdNS0_10empty_typeEEEZZNS1_29radix_sort_onesweep_iterationIS3_Lb1EPKdPdPS5_SB_mNS0_19identity_decomposerENS1_16block_id_wrapperIjLb1EEEEE10hipError_tT1_PNSt15iterator_traitsISG_E10value_typeET2_T3_PNSH_ISM_E10value_typeET4_T5_PSR_SS_PNS1_23onesweep_lookback_stateEbbT6_jjT7_P12ihipStream_tbENKUlT_T0_SG_SL_E_clIS9_SA_SB_SB_EEDaSZ_S10_SG_SL_EUlSZ_E_NS1_11comp_targetILNS1_3genE8ELNS1_11target_archE1030ELNS1_3gpuE2ELNS1_3repE0EEENS1_47radix_sort_onesweep_sort_config_static_selectorELNS0_4arch9wavefront6targetE0EEEvSG_.numbered_sgpr, 0
	.set _ZN7rocprim17ROCPRIM_400000_NS6detail17trampoline_kernelINS0_14default_configENS1_35radix_sort_onesweep_config_selectorIdNS0_10empty_typeEEEZZNS1_29radix_sort_onesweep_iterationIS3_Lb1EPKdPdPS5_SB_mNS0_19identity_decomposerENS1_16block_id_wrapperIjLb1EEEEE10hipError_tT1_PNSt15iterator_traitsISG_E10value_typeET2_T3_PNSH_ISM_E10value_typeET4_T5_PSR_SS_PNS1_23onesweep_lookback_stateEbbT6_jjT7_P12ihipStream_tbENKUlT_T0_SG_SL_E_clIS9_SA_SB_SB_EEDaSZ_S10_SG_SL_EUlSZ_E_NS1_11comp_targetILNS1_3genE8ELNS1_11target_archE1030ELNS1_3gpuE2ELNS1_3repE0EEENS1_47radix_sort_onesweep_sort_config_static_selectorELNS0_4arch9wavefront6targetE0EEEvSG_.num_named_barrier, 0
	.set _ZN7rocprim17ROCPRIM_400000_NS6detail17trampoline_kernelINS0_14default_configENS1_35radix_sort_onesweep_config_selectorIdNS0_10empty_typeEEEZZNS1_29radix_sort_onesweep_iterationIS3_Lb1EPKdPdPS5_SB_mNS0_19identity_decomposerENS1_16block_id_wrapperIjLb1EEEEE10hipError_tT1_PNSt15iterator_traitsISG_E10value_typeET2_T3_PNSH_ISM_E10value_typeET4_T5_PSR_SS_PNS1_23onesweep_lookback_stateEbbT6_jjT7_P12ihipStream_tbENKUlT_T0_SG_SL_E_clIS9_SA_SB_SB_EEDaSZ_S10_SG_SL_EUlSZ_E_NS1_11comp_targetILNS1_3genE8ELNS1_11target_archE1030ELNS1_3gpuE2ELNS1_3repE0EEENS1_47radix_sort_onesweep_sort_config_static_selectorELNS0_4arch9wavefront6targetE0EEEvSG_.private_seg_size, 0
	.set _ZN7rocprim17ROCPRIM_400000_NS6detail17trampoline_kernelINS0_14default_configENS1_35radix_sort_onesweep_config_selectorIdNS0_10empty_typeEEEZZNS1_29radix_sort_onesweep_iterationIS3_Lb1EPKdPdPS5_SB_mNS0_19identity_decomposerENS1_16block_id_wrapperIjLb1EEEEE10hipError_tT1_PNSt15iterator_traitsISG_E10value_typeET2_T3_PNSH_ISM_E10value_typeET4_T5_PSR_SS_PNS1_23onesweep_lookback_stateEbbT6_jjT7_P12ihipStream_tbENKUlT_T0_SG_SL_E_clIS9_SA_SB_SB_EEDaSZ_S10_SG_SL_EUlSZ_E_NS1_11comp_targetILNS1_3genE8ELNS1_11target_archE1030ELNS1_3gpuE2ELNS1_3repE0EEENS1_47radix_sort_onesweep_sort_config_static_selectorELNS0_4arch9wavefront6targetE0EEEvSG_.uses_vcc, 0
	.set _ZN7rocprim17ROCPRIM_400000_NS6detail17trampoline_kernelINS0_14default_configENS1_35radix_sort_onesweep_config_selectorIdNS0_10empty_typeEEEZZNS1_29radix_sort_onesweep_iterationIS3_Lb1EPKdPdPS5_SB_mNS0_19identity_decomposerENS1_16block_id_wrapperIjLb1EEEEE10hipError_tT1_PNSt15iterator_traitsISG_E10value_typeET2_T3_PNSH_ISM_E10value_typeET4_T5_PSR_SS_PNS1_23onesweep_lookback_stateEbbT6_jjT7_P12ihipStream_tbENKUlT_T0_SG_SL_E_clIS9_SA_SB_SB_EEDaSZ_S10_SG_SL_EUlSZ_E_NS1_11comp_targetILNS1_3genE8ELNS1_11target_archE1030ELNS1_3gpuE2ELNS1_3repE0EEENS1_47radix_sort_onesweep_sort_config_static_selectorELNS0_4arch9wavefront6targetE0EEEvSG_.uses_flat_scratch, 0
	.set _ZN7rocprim17ROCPRIM_400000_NS6detail17trampoline_kernelINS0_14default_configENS1_35radix_sort_onesweep_config_selectorIdNS0_10empty_typeEEEZZNS1_29radix_sort_onesweep_iterationIS3_Lb1EPKdPdPS5_SB_mNS0_19identity_decomposerENS1_16block_id_wrapperIjLb1EEEEE10hipError_tT1_PNSt15iterator_traitsISG_E10value_typeET2_T3_PNSH_ISM_E10value_typeET4_T5_PSR_SS_PNS1_23onesweep_lookback_stateEbbT6_jjT7_P12ihipStream_tbENKUlT_T0_SG_SL_E_clIS9_SA_SB_SB_EEDaSZ_S10_SG_SL_EUlSZ_E_NS1_11comp_targetILNS1_3genE8ELNS1_11target_archE1030ELNS1_3gpuE2ELNS1_3repE0EEENS1_47radix_sort_onesweep_sort_config_static_selectorELNS0_4arch9wavefront6targetE0EEEvSG_.has_dyn_sized_stack, 0
	.set _ZN7rocprim17ROCPRIM_400000_NS6detail17trampoline_kernelINS0_14default_configENS1_35radix_sort_onesweep_config_selectorIdNS0_10empty_typeEEEZZNS1_29radix_sort_onesweep_iterationIS3_Lb1EPKdPdPS5_SB_mNS0_19identity_decomposerENS1_16block_id_wrapperIjLb1EEEEE10hipError_tT1_PNSt15iterator_traitsISG_E10value_typeET2_T3_PNSH_ISM_E10value_typeET4_T5_PSR_SS_PNS1_23onesweep_lookback_stateEbbT6_jjT7_P12ihipStream_tbENKUlT_T0_SG_SL_E_clIS9_SA_SB_SB_EEDaSZ_S10_SG_SL_EUlSZ_E_NS1_11comp_targetILNS1_3genE8ELNS1_11target_archE1030ELNS1_3gpuE2ELNS1_3repE0EEENS1_47radix_sort_onesweep_sort_config_static_selectorELNS0_4arch9wavefront6targetE0EEEvSG_.has_recursion, 0
	.set _ZN7rocprim17ROCPRIM_400000_NS6detail17trampoline_kernelINS0_14default_configENS1_35radix_sort_onesweep_config_selectorIdNS0_10empty_typeEEEZZNS1_29radix_sort_onesweep_iterationIS3_Lb1EPKdPdPS5_SB_mNS0_19identity_decomposerENS1_16block_id_wrapperIjLb1EEEEE10hipError_tT1_PNSt15iterator_traitsISG_E10value_typeET2_T3_PNSH_ISM_E10value_typeET4_T5_PSR_SS_PNS1_23onesweep_lookback_stateEbbT6_jjT7_P12ihipStream_tbENKUlT_T0_SG_SL_E_clIS9_SA_SB_SB_EEDaSZ_S10_SG_SL_EUlSZ_E_NS1_11comp_targetILNS1_3genE8ELNS1_11target_archE1030ELNS1_3gpuE2ELNS1_3repE0EEENS1_47radix_sort_onesweep_sort_config_static_selectorELNS0_4arch9wavefront6targetE0EEEvSG_.has_indirect_call, 0
	.section	.AMDGPU.csdata,"",@progbits
; Kernel info:
; codeLenInByte = 0
; TotalNumSgprs: 0
; NumVgprs: 0
; ScratchSize: 0
; MemoryBound: 0
; FloatMode: 240
; IeeeMode: 1
; LDSByteSize: 0 bytes/workgroup (compile time only)
; SGPRBlocks: 0
; VGPRBlocks: 0
; NumSGPRsForWavesPerEU: 1
; NumVGPRsForWavesPerEU: 1
; NamedBarCnt: 0
; Occupancy: 16
; WaveLimiterHint : 0
; COMPUTE_PGM_RSRC2:SCRATCH_EN: 0
; COMPUTE_PGM_RSRC2:USER_SGPR: 2
; COMPUTE_PGM_RSRC2:TRAP_HANDLER: 0
; COMPUTE_PGM_RSRC2:TGID_X_EN: 1
; COMPUTE_PGM_RSRC2:TGID_Y_EN: 0
; COMPUTE_PGM_RSRC2:TGID_Z_EN: 0
; COMPUTE_PGM_RSRC2:TIDIG_COMP_CNT: 0
	.section	.text._ZN7rocprim17ROCPRIM_400000_NS6detail17trampoline_kernelINS0_14default_configENS1_35radix_sort_onesweep_config_selectorIdNS0_10empty_typeEEEZZNS1_29radix_sort_onesweep_iterationIS3_Lb1EPKdPdPS5_SB_mNS0_19identity_decomposerENS1_16block_id_wrapperIjLb1EEEEE10hipError_tT1_PNSt15iterator_traitsISG_E10value_typeET2_T3_PNSH_ISM_E10value_typeET4_T5_PSR_SS_PNS1_23onesweep_lookback_stateEbbT6_jjT7_P12ihipStream_tbENKUlT_T0_SG_SL_E_clISA_SA_SB_SB_EEDaSZ_S10_SG_SL_EUlSZ_E_NS1_11comp_targetILNS1_3genE0ELNS1_11target_archE4294967295ELNS1_3gpuE0ELNS1_3repE0EEENS1_47radix_sort_onesweep_sort_config_static_selectorELNS0_4arch9wavefront6targetE0EEEvSG_,"axG",@progbits,_ZN7rocprim17ROCPRIM_400000_NS6detail17trampoline_kernelINS0_14default_configENS1_35radix_sort_onesweep_config_selectorIdNS0_10empty_typeEEEZZNS1_29radix_sort_onesweep_iterationIS3_Lb1EPKdPdPS5_SB_mNS0_19identity_decomposerENS1_16block_id_wrapperIjLb1EEEEE10hipError_tT1_PNSt15iterator_traitsISG_E10value_typeET2_T3_PNSH_ISM_E10value_typeET4_T5_PSR_SS_PNS1_23onesweep_lookback_stateEbbT6_jjT7_P12ihipStream_tbENKUlT_T0_SG_SL_E_clISA_SA_SB_SB_EEDaSZ_S10_SG_SL_EUlSZ_E_NS1_11comp_targetILNS1_3genE0ELNS1_11target_archE4294967295ELNS1_3gpuE0ELNS1_3repE0EEENS1_47radix_sort_onesweep_sort_config_static_selectorELNS0_4arch9wavefront6targetE0EEEvSG_,comdat
	.protected	_ZN7rocprim17ROCPRIM_400000_NS6detail17trampoline_kernelINS0_14default_configENS1_35radix_sort_onesweep_config_selectorIdNS0_10empty_typeEEEZZNS1_29radix_sort_onesweep_iterationIS3_Lb1EPKdPdPS5_SB_mNS0_19identity_decomposerENS1_16block_id_wrapperIjLb1EEEEE10hipError_tT1_PNSt15iterator_traitsISG_E10value_typeET2_T3_PNSH_ISM_E10value_typeET4_T5_PSR_SS_PNS1_23onesweep_lookback_stateEbbT6_jjT7_P12ihipStream_tbENKUlT_T0_SG_SL_E_clISA_SA_SB_SB_EEDaSZ_S10_SG_SL_EUlSZ_E_NS1_11comp_targetILNS1_3genE0ELNS1_11target_archE4294967295ELNS1_3gpuE0ELNS1_3repE0EEENS1_47radix_sort_onesweep_sort_config_static_selectorELNS0_4arch9wavefront6targetE0EEEvSG_ ; -- Begin function _ZN7rocprim17ROCPRIM_400000_NS6detail17trampoline_kernelINS0_14default_configENS1_35radix_sort_onesweep_config_selectorIdNS0_10empty_typeEEEZZNS1_29radix_sort_onesweep_iterationIS3_Lb1EPKdPdPS5_SB_mNS0_19identity_decomposerENS1_16block_id_wrapperIjLb1EEEEE10hipError_tT1_PNSt15iterator_traitsISG_E10value_typeET2_T3_PNSH_ISM_E10value_typeET4_T5_PSR_SS_PNS1_23onesweep_lookback_stateEbbT6_jjT7_P12ihipStream_tbENKUlT_T0_SG_SL_E_clISA_SA_SB_SB_EEDaSZ_S10_SG_SL_EUlSZ_E_NS1_11comp_targetILNS1_3genE0ELNS1_11target_archE4294967295ELNS1_3gpuE0ELNS1_3repE0EEENS1_47radix_sort_onesweep_sort_config_static_selectorELNS0_4arch9wavefront6targetE0EEEvSG_
	.globl	_ZN7rocprim17ROCPRIM_400000_NS6detail17trampoline_kernelINS0_14default_configENS1_35radix_sort_onesweep_config_selectorIdNS0_10empty_typeEEEZZNS1_29radix_sort_onesweep_iterationIS3_Lb1EPKdPdPS5_SB_mNS0_19identity_decomposerENS1_16block_id_wrapperIjLb1EEEEE10hipError_tT1_PNSt15iterator_traitsISG_E10value_typeET2_T3_PNSH_ISM_E10value_typeET4_T5_PSR_SS_PNS1_23onesweep_lookback_stateEbbT6_jjT7_P12ihipStream_tbENKUlT_T0_SG_SL_E_clISA_SA_SB_SB_EEDaSZ_S10_SG_SL_EUlSZ_E_NS1_11comp_targetILNS1_3genE0ELNS1_11target_archE4294967295ELNS1_3gpuE0ELNS1_3repE0EEENS1_47radix_sort_onesweep_sort_config_static_selectorELNS0_4arch9wavefront6targetE0EEEvSG_
	.p2align	8
	.type	_ZN7rocprim17ROCPRIM_400000_NS6detail17trampoline_kernelINS0_14default_configENS1_35radix_sort_onesweep_config_selectorIdNS0_10empty_typeEEEZZNS1_29radix_sort_onesweep_iterationIS3_Lb1EPKdPdPS5_SB_mNS0_19identity_decomposerENS1_16block_id_wrapperIjLb1EEEEE10hipError_tT1_PNSt15iterator_traitsISG_E10value_typeET2_T3_PNSH_ISM_E10value_typeET4_T5_PSR_SS_PNS1_23onesweep_lookback_stateEbbT6_jjT7_P12ihipStream_tbENKUlT_T0_SG_SL_E_clISA_SA_SB_SB_EEDaSZ_S10_SG_SL_EUlSZ_E_NS1_11comp_targetILNS1_3genE0ELNS1_11target_archE4294967295ELNS1_3gpuE0ELNS1_3repE0EEENS1_47radix_sort_onesweep_sort_config_static_selectorELNS0_4arch9wavefront6targetE0EEEvSG_,@function
_ZN7rocprim17ROCPRIM_400000_NS6detail17trampoline_kernelINS0_14default_configENS1_35radix_sort_onesweep_config_selectorIdNS0_10empty_typeEEEZZNS1_29radix_sort_onesweep_iterationIS3_Lb1EPKdPdPS5_SB_mNS0_19identity_decomposerENS1_16block_id_wrapperIjLb1EEEEE10hipError_tT1_PNSt15iterator_traitsISG_E10value_typeET2_T3_PNSH_ISM_E10value_typeET4_T5_PSR_SS_PNS1_23onesweep_lookback_stateEbbT6_jjT7_P12ihipStream_tbENKUlT_T0_SG_SL_E_clISA_SA_SB_SB_EEDaSZ_S10_SG_SL_EUlSZ_E_NS1_11comp_targetILNS1_3genE0ELNS1_11target_archE4294967295ELNS1_3gpuE0ELNS1_3repE0EEENS1_47radix_sort_onesweep_sort_config_static_selectorELNS0_4arch9wavefront6targetE0EEEvSG_: ; @_ZN7rocprim17ROCPRIM_400000_NS6detail17trampoline_kernelINS0_14default_configENS1_35radix_sort_onesweep_config_selectorIdNS0_10empty_typeEEEZZNS1_29radix_sort_onesweep_iterationIS3_Lb1EPKdPdPS5_SB_mNS0_19identity_decomposerENS1_16block_id_wrapperIjLb1EEEEE10hipError_tT1_PNSt15iterator_traitsISG_E10value_typeET2_T3_PNSH_ISM_E10value_typeET4_T5_PSR_SS_PNS1_23onesweep_lookback_stateEbbT6_jjT7_P12ihipStream_tbENKUlT_T0_SG_SL_E_clISA_SA_SB_SB_EEDaSZ_S10_SG_SL_EUlSZ_E_NS1_11comp_targetILNS1_3genE0ELNS1_11target_archE4294967295ELNS1_3gpuE0ELNS1_3repE0EEENS1_47radix_sort_onesweep_sort_config_static_selectorELNS0_4arch9wavefront6targetE0EEEvSG_
; %bb.0:
	s_clause 0x1
	s_load_b128 s[12:15], s[0:1], 0x28
	s_load_b64 s[10:11], s[0:1], 0x38
	v_and_b32_e32 v32, 0x3ff, v0
	s_delay_alu instid0(VALU_DEP_1)
	v_cmp_eq_u32_e64 s2, 0, v32
	s_and_saveexec_b32 s3, s2
	s_cbranch_execz .LBB1527_4
; %bb.1:
	s_mov_b32 s5, exec_lo
	s_mov_b32 s4, exec_lo
	v_mbcnt_lo_u32_b32 v1, s5, 0
                                        ; implicit-def: $vgpr2
	s_delay_alu instid0(VALU_DEP_1)
	v_cmpx_eq_u32_e32 0, v1
	s_cbranch_execz .LBB1527_3
; %bb.2:
	s_load_b64 s[6:7], s[0:1], 0x50
	s_bcnt1_i32_b32 s5, s5
	s_delay_alu instid0(SALU_CYCLE_1)
	v_dual_mov_b32 v2, 0 :: v_dual_mov_b32 v3, s5
	s_wait_xcnt 0x0
	s_wait_kmcnt 0x0
	global_atomic_add_u32 v2, v2, v3, s[6:7] th:TH_ATOMIC_RETURN scope:SCOPE_DEV
.LBB1527_3:
	s_wait_xcnt 0x0
	s_or_b32 exec_lo, exec_lo, s4
	s_wait_loadcnt 0x0
	v_readfirstlane_b32 s4, v2
	s_delay_alu instid0(VALU_DEP_1)
	v_dual_mov_b32 v2, 0 :: v_dual_add_nc_u32 v1, s4, v1
	ds_store_b32 v2, v1 offset:18496
.LBB1527_4:
	s_or_b32 exec_lo, exec_lo, s3
	v_dual_mov_b32 v5, 0 :: v_dual_lshlrev_b32 v2, 3, v32
	s_clause 0x2
	s_load_b128 s[16:19], s[0:1], 0x0
	s_load_b32 s3, s[0:1], 0x20
	s_load_b96 s[20:22], s[0:1], 0x44
	s_wait_dscnt 0x0
	s_barrier_signal -1
	s_barrier_wait -1
	ds_load_b32 v1, v5 offset:18496
	v_mbcnt_lo_u32_b32 v33, -1, 0
	s_mov_b32 s4, -1
	s_add_nc_u64 s[24:25], s[0:1], 0x58
	s_getreg_b32 s27, hwreg(HW_REG_IB_STS2, 6, 4)
	s_wait_dscnt 0x0
	s_barrier_signal -1
	s_barrier_wait -1
	s_wait_kmcnt 0x0
	v_cmp_le_u32_e32 vcc_lo, s22, v1
	v_readfirstlane_b32 s26, v1
	s_cbranch_vccz .LBB1527_70
; %bb.5:
	s_lshl_b32 s4, s26, 12
	s_mov_b32 s5, 0
	v_lshlrev_b32_e32 v4, 3, v33
	s_lshl_b64 s[4:5], s[4:5], 3
	v_and_b32_e32 v1, 0x1f00, v2
	s_add_nc_u64 s[4:5], s[16:17], s[4:5]
	v_mov_b64_e32 v[6:7], -1
	v_add_nc_u64_e32 v[8:9], s[4:5], v[4:5]
	s_lshl_b32 s4, s22, 12
	v_dual_lshlrev_b32 v4, 3, v1 :: v_dual_bitop2_b32 v1, v33, v1 bitop3:0x54
	s_sub_co_i32 s28, s3, s4
	s_mov_b32 s3, exec_lo
	s_delay_alu instid0(VALU_DEP_1)
	v_add_nc_u64_e32 v[20:21], v[8:9], v[4:5]
	v_mov_b64_e32 v[4:5], -1
	v_cmpx_gt_u32_e64 s28, v1
	s_cbranch_execz .LBB1527_7
; %bb.6:
	global_load_b64 v[4:5], v[20:21], off
.LBB1527_7:
	s_wait_xcnt 0x0
	s_or_b32 exec_lo, exec_lo, s3
	v_or_b32_e32 v3, 32, v1
	s_mov_b32 s3, exec_lo
	s_delay_alu instid0(VALU_DEP_1)
	v_cmpx_gt_u32_e64 s28, v3
	s_cbranch_execz .LBB1527_9
; %bb.8:
	global_load_b64 v[6:7], v[20:21], off offset:256
.LBB1527_9:
	s_wait_xcnt 0x0
	s_or_b32 exec_lo, exec_lo, s3
	v_mov_b64_e32 v[10:11], -1
	v_mov_b64_e32 v[8:9], -1
	v_or_b32_e32 v3, 64, v1
	s_mov_b32 s3, exec_lo
	s_delay_alu instid0(VALU_DEP_1)
	v_cmpx_gt_u32_e64 s28, v3
	s_cbranch_execz .LBB1527_11
; %bb.10:
	global_load_b64 v[8:9], v[20:21], off offset:512
.LBB1527_11:
	s_wait_xcnt 0x0
	s_or_b32 exec_lo, exec_lo, s3
	v_or_b32_e32 v3, 0x60, v1
	s_mov_b32 s3, exec_lo
	s_delay_alu instid0(VALU_DEP_1)
	v_cmpx_gt_u32_e64 s28, v3
	s_cbranch_execz .LBB1527_13
; %bb.12:
	global_load_b64 v[10:11], v[20:21], off offset:768
.LBB1527_13:
	s_wait_xcnt 0x0
	s_or_b32 exec_lo, exec_lo, s3
	v_mov_b64_e32 v[16:17], -1
	v_mov_b64_e32 v[12:13], -1
	v_or_b32_e32 v3, 0x80, v1
	s_mov_b32 s3, exec_lo
	s_delay_alu instid0(VALU_DEP_1)
	v_cmpx_gt_u32_e64 s28, v3
	s_cbranch_execz .LBB1527_15
; %bb.14:
	global_load_b64 v[12:13], v[20:21], off offset:1024
.LBB1527_15:
	;; [unrolled: 22-line block ×3, first 2 shown]
	s_wait_xcnt 0x0
	s_or_b32 exec_lo, exec_lo, s3
	v_or_b32_e32 v1, 0xe0, v1
	s_mov_b32 s3, exec_lo
	s_delay_alu instid0(VALU_DEP_1)
	v_cmpx_gt_u32_e64 s28, v1
	s_cbranch_execz .LBB1527_21
; %bb.20:
	global_load_b64 v[14:15], v[20:21], off offset:1792
.LBB1527_21:
	s_wait_xcnt 0x0
	s_or_b32 exec_lo, exec_lo, s3
	s_wait_loadcnt 0x0
	v_cmp_gt_i64_e32 vcc_lo, 0, v[4:5]
	s_clause 0x1
	s_load_b32 s29, s[0:1], 0x58
	s_load_u16 s3, s[0:1], 0x66
	s_mov_b64 s[8:9], 0x8000000000000000
	s_bfe_u32 s4, ttmp6, 0x4000c
	s_and_b32 s5, ttmp6, 15
	s_add_co_i32 s4, s4, 1
	v_cndmask_b32_e64 v3, 0x7fffffff, 0, vcc_lo
	v_ashrrev_i32_e32 v1, 31, v5
	s_mul_i32 s4, ttmp9, s4
	s_delay_alu instid0(SALU_CYCLE_1) | instskip(NEXT) | instid1(VALU_DEP_2)
	s_add_co_i32 s5, s5, s4
	v_xor_b32_e32 v5, v3, v5
	s_delay_alu instid0(VALU_DEP_2)
	v_not_b32_e32 v1, v1
	s_cmp_eq_u32 s27, 0
	v_bfe_u32 v3, v0, 20, 10
	s_cselect_b32 s4, ttmp9, s5
	s_mov_b32 s5, 0
	v_xor_b32_e32 v4, v1, v4
	v_bfe_u32 v1, v0, 10, 10
	s_wait_kmcnt 0x0
	s_cmp_lt_u32 s4, s29
	s_delay_alu instid0(VALU_DEP_2)
	v_cmp_ne_u64_e32 vcc_lo, s[8:9], v[4:5]
	s_cselect_b32 s4, 12, 18
	s_lshl_b32 s7, -1, s21
	s_add_nc_u64 s[4:5], s[24:25], s[4:5]
	v_mad_u32_u24 v1, v3, s3, v1
	s_load_u16 s22, s[4:5], 0x0
	s_not_b32 s30, s7
	v_cndmask_b32_e32 v21, 0x7fffffff, v5, vcc_lo
	v_cndmask_b32_e32 v20, -1, v4, vcc_lo
	s_delay_alu instid0(VALU_DEP_1) | instskip(NEXT) | instid1(VALU_DEP_1)
	v_lshrrev_b64 v[20:21], s20, v[20:21]
	v_bitop3_b32 v3, v20, 1, s7 bitop3:0x40
	v_bitop3_b32 v22, v20, s7, v20 bitop3:0x30
	s_delay_alu instid0(VALU_DEP_2) | instskip(NEXT) | instid1(VALU_DEP_1)
	v_add_co_u32 v3, s3, v3, -1
	v_cndmask_b32_e64 v20, 0, 1, s3
	s_delay_alu instid0(VALU_DEP_3) | instskip(SKIP_2) | instid1(VALU_DEP_4)
	v_dual_lshlrev_b32 v21, 30, v22 :: v_dual_lshlrev_b32 v23, 29, v22
	v_dual_lshlrev_b32 v24, 28, v22 :: v_dual_lshlrev_b32 v25, 27, v22
	v_lshlrev_b32_e32 v26, 26, v22
	v_cmp_ne_u32_e32 vcc_lo, 0, v20
	s_delay_alu instid0(VALU_DEP_4)
	v_not_b32_e32 v20, v21
	v_cmp_gt_i32_e64 s3, 0, v21
	s_wait_xcnt 0x0
	v_cmp_gt_i32_e64 s4, 0, v23
	v_not_b32_e32 v21, v23
	v_not_b32_e32 v23, v24
	v_dual_ashrrev_i32 v20, 31, v20 :: v_dual_bitop2_b32 v3, vcc_lo, v3 bitop3:0x14
	s_wait_kmcnt 0x0
	v_mad_u32 v1, v1, s22, v32
	v_cmp_gt_i32_e64 s5, 0, v24
	v_cmp_gt_i32_e64 s6, 0, v25
	v_dual_ashrrev_i32 v21, 31, v21 :: v_dual_ashrrev_i32 v23, 31, v23
	v_not_b32_e32 v24, v25
	v_not_b32_e32 v25, v26
	v_dual_lshlrev_b32 v27, 25, v22 :: v_dual_bitop2_b32 v20, s3, v20 bitop3:0x14
	s_delay_alu instid0(VALU_DEP_4) | instskip(SKIP_1) | instid1(VALU_DEP_3)
	v_dual_lshlrev_b32 v28, 24, v22 :: v_dual_bitop2_b32 v21, s4, v21 bitop3:0x14
	v_dual_lshrrev_b32 v1, 5, v1 :: v_dual_bitop2_b32 v23, s5, v23 bitop3:0x14
	v_bitop3_b32 v3, v3, v20, exec_lo bitop3:0x80
	v_cmp_gt_i32_e32 vcc_lo, 0, v26
	v_dual_ashrrev_i32 v20, 31, v24 :: v_dual_ashrrev_i32 v24, 31, v25
	v_cmp_gt_i32_e64 s3, 0, v28
	s_delay_alu instid0(VALU_DEP_4)
	v_bitop3_b32 v21, v3, v23, v21 bitop3:0x80
	v_not_b32_e32 v3, v27
	v_not_b32_e32 v23, v28
	v_xor_b32_e32 v20, s6, v20
	v_xor_b32_e32 v24, vcc_lo, v24
	v_cmp_gt_i32_e32 vcc_lo, 0, v27
	v_ashrrev_i32_e32 v25, 31, v3
	v_ashrrev_i32_e32 v23, 31, v23
	v_mul_u32_u24_e32 v3, 36, v32
	v_bitop3_b32 v21, v21, v24, v20 bitop3:0x80
	v_lshlrev_b32_e32 v20, 2, v1
	v_dual_mov_b32 v25, 0 :: v_dual_bitop2_b32 v24, vcc_lo, v25 bitop3:0x14
	v_xor_b32_e32 v23, s3, v23
	ds_store_2addr_b32 v3, v25, v25 offset0:16 offset1:17
	ds_store_2addr_b32 v3, v25, v25 offset0:18 offset1:19
	;; [unrolled: 1-line block ×4, first 2 shown]
	v_bitop3_b32 v21, v21, v23, v24 bitop3:0x80
	v_mad_u32 v28, 0x44, v22, v20
	ds_store_b32 v3, v25 offset:96
	s_wait_dscnt 0x0
	s_barrier_signal -1
	v_mbcnt_lo_u32_b32 v1, v21, 0
	v_cmp_ne_u32_e64 s3, 0, v21
	s_barrier_wait -1
	s_delay_alu instid0(VALU_DEP_2) | instskip(SKIP_1) | instid1(SALU_CYCLE_1)
	v_cmp_eq_u32_e32 vcc_lo, 0, v1
	; wave barrier
	s_and_b32 s4, s3, vcc_lo
	s_and_saveexec_b32 s3, s4
; %bb.22:
	v_bcnt_u32_b32 v21, v21, 0
	ds_store_b32 v28, v21 offset:64
; %bb.23:
	s_or_b32 exec_lo, exec_lo, s3
	v_cmp_gt_i64_e32 vcc_lo, 0, v[6:7]
	; wave barrier
	v_cndmask_b32_e64 v22, 0x7fffffff, 0, vcc_lo
	s_delay_alu instid0(VALU_DEP_1) | instskip(NEXT) | instid1(VALU_DEP_1)
	v_dual_ashrrev_i32 v21, 31, v7 :: v_dual_bitop2_b32 v7, v22, v7 bitop3:0x14
	v_not_b32_e32 v21, v21
	s_delay_alu instid0(VALU_DEP_1) | instskip(NEXT) | instid1(VALU_DEP_1)
	v_xor_b32_e32 v6, v21, v6
	v_cmp_ne_u64_e32 vcc_lo, s[8:9], v[6:7]
	v_cndmask_b32_e32 v23, 0x7fffffff, v7, vcc_lo
	v_cndmask_b32_e32 v22, -1, v6, vcc_lo
	s_delay_alu instid0(VALU_DEP_1) | instskip(NEXT) | instid1(VALU_DEP_1)
	v_lshrrev_b64 v[22:23], s20, v[22:23]
	v_and_b32_e32 v21, s30, v22
	v_bitop3_b32 v22, v22, 1, s30 bitop3:0x80
	s_delay_alu instid0(VALU_DEP_2) | instskip(NEXT) | instid1(VALU_DEP_2)
	v_lshlrev_b32_e32 v24, 30, v21
	v_add_co_u32 v22, s3, v22, -1
	s_delay_alu instid0(VALU_DEP_1) | instskip(NEXT) | instid1(VALU_DEP_3)
	v_cndmask_b32_e64 v23, 0, 1, s3
	v_cmp_gt_i32_e64 s3, 0, v24
	s_delay_alu instid0(VALU_DEP_2) | instskip(SKIP_1) | instid1(VALU_DEP_1)
	v_cmp_ne_u32_e32 vcc_lo, 0, v23
	v_not_b32_e32 v23, v24
	v_dual_ashrrev_i32 v23, 31, v23 :: v_dual_lshlrev_b32 v25, 29, v21
	v_dual_lshlrev_b32 v26, 28, v21 :: v_dual_lshlrev_b32 v27, 27, v21
	v_lshlrev_b32_e32 v30, 26, v21
	v_mad_u32 v29, 0x44, v21, v20
	s_delay_alu instid0(VALU_DEP_4)
	v_cmp_gt_i32_e64 s4, 0, v25
	v_not_b32_e32 v24, v25
	v_not_b32_e32 v25, v26
	v_dual_lshlrev_b32 v31, 25, v21 :: v_dual_lshlrev_b32 v21, 24, v21
	v_cmp_gt_i32_e64 s5, 0, v26
	v_cmp_gt_i32_e64 s6, 0, v27
	v_not_b32_e32 v26, v27
	v_not_b32_e32 v27, v30
	v_dual_ashrrev_i32 v24, 31, v24 :: v_dual_bitop2_b32 v22, vcc_lo, v22 bitop3:0x14
	v_dual_ashrrev_i32 v25, 31, v25 :: v_dual_bitop2_b32 v23, s3, v23 bitop3:0x14
	v_cmp_gt_i32_e64 s7, 0, v30
	v_not_b32_e32 v30, v31
	v_cmp_gt_i32_e64 s9, 0, v21
	v_not_b32_e32 v21, v21
	v_dual_ashrrev_i32 v26, 31, v26 :: v_dual_ashrrev_i32 v27, 31, v27
	v_xor_b32_e32 v24, s4, v24
	v_xor_b32_e32 v25, s5, v25
	v_bitop3_b32 v22, v22, v23, exec_lo bitop3:0x80
	v_cmp_gt_i32_e64 s8, 0, v31
	v_dual_ashrrev_i32 v23, 31, v30 :: v_dual_ashrrev_i32 v21, 31, v21
	v_xor_b32_e32 v26, s6, v26
	v_xor_b32_e32 v27, s7, v27
	v_bitop3_b32 v22, v22, v25, v24 bitop3:0x80
	s_delay_alu instid0(VALU_DEP_4) | instskip(SKIP_3) | instid1(VALU_DEP_1)
	v_xor_b32_e32 v23, s8, v23
	v_xor_b32_e32 v21, s9, v21
	ds_load_b32 v34, v29 offset:64
	v_bitop3_b32 v22, v22, v27, v26 bitop3:0x80
	; wave barrier
	v_bitop3_b32 v21, v22, v21, v23 bitop3:0x80
	s_delay_alu instid0(VALU_DEP_1) | instskip(SKIP_1) | instid1(VALU_DEP_2)
	v_mbcnt_lo_u32_b32 v35, v21, 0
	v_cmp_ne_u32_e64 s3, 0, v21
	v_cmp_eq_u32_e32 vcc_lo, 0, v35
	s_and_b32 s4, s3, vcc_lo
	s_delay_alu instid0(SALU_CYCLE_1)
	s_and_saveexec_b32 s3, s4
	s_cbranch_execz .LBB1527_25
; %bb.24:
	s_wait_dscnt 0x0
	v_bcnt_u32_b32 v21, v21, v34
	ds_store_b32 v29, v21 offset:64
.LBB1527_25:
	s_or_b32 exec_lo, exec_lo, s3
	v_cmp_gt_i64_e32 vcc_lo, 0, v[8:9]
	s_mov_b64 s[22:23], 0x8000000000000000
	; wave barrier
	v_cndmask_b32_e64 v22, 0x7fffffff, 0, vcc_lo
	s_delay_alu instid0(VALU_DEP_1) | instskip(NEXT) | instid1(VALU_DEP_1)
	v_dual_ashrrev_i32 v21, 31, v9 :: v_dual_bitop2_b32 v9, v22, v9 bitop3:0x14
	v_not_b32_e32 v21, v21
	s_delay_alu instid0(VALU_DEP_1) | instskip(NEXT) | instid1(VALU_DEP_1)
	v_xor_b32_e32 v8, v21, v8
	v_cmp_ne_u64_e32 vcc_lo, s[22:23], v[8:9]
	v_cndmask_b32_e32 v23, 0x7fffffff, v9, vcc_lo
	v_cndmask_b32_e32 v22, -1, v8, vcc_lo
	s_delay_alu instid0(VALU_DEP_1) | instskip(NEXT) | instid1(VALU_DEP_1)
	v_lshrrev_b64 v[22:23], s20, v[22:23]
	v_and_b32_e32 v21, s30, v22
	v_bitop3_b32 v22, v22, 1, s30 bitop3:0x80
	s_delay_alu instid0(VALU_DEP_2) | instskip(NEXT) | instid1(VALU_DEP_2)
	v_lshlrev_b32_e32 v24, 30, v21
	v_add_co_u32 v22, s3, v22, -1
	s_delay_alu instid0(VALU_DEP_1) | instskip(NEXT) | instid1(VALU_DEP_3)
	v_cndmask_b32_e64 v23, 0, 1, s3
	v_cmp_gt_i32_e64 s3, 0, v24
	s_delay_alu instid0(VALU_DEP_2) | instskip(SKIP_1) | instid1(VALU_DEP_1)
	v_cmp_ne_u32_e32 vcc_lo, 0, v23
	v_not_b32_e32 v23, v24
	v_dual_ashrrev_i32 v23, 31, v23 :: v_dual_bitop2_b32 v22, vcc_lo, v22 bitop3:0x14
	v_dual_lshlrev_b32 v25, 29, v21 :: v_dual_lshlrev_b32 v26, 28, v21
	v_dual_lshlrev_b32 v27, 27, v21 :: v_dual_lshlrev_b32 v31, 26, v21
	v_lshlrev_b32_e32 v36, 25, v21
	s_delay_alu instid0(VALU_DEP_3)
	v_cmp_gt_i32_e64 s4, 0, v25
	v_not_b32_e32 v24, v25
	v_not_b32_e32 v25, v26
	v_mad_u32 v30, 0x44, v21, v20
	v_lshlrev_b32_e32 v21, 24, v21
	v_cmp_gt_i32_e64 s5, 0, v26
	v_cmp_gt_i32_e64 s6, 0, v27
	v_not_b32_e32 v26, v27
	v_not_b32_e32 v27, v31
	v_dual_ashrrev_i32 v24, 31, v24 :: v_dual_ashrrev_i32 v25, 31, v25
	v_xor_b32_e32 v23, s3, v23
	v_cmp_gt_i32_e64 s7, 0, v31
	v_not_b32_e32 v31, v36
	v_cmp_gt_i32_e64 s9, 0, v21
	v_not_b32_e32 v21, v21
	v_dual_ashrrev_i32 v26, 31, v26 :: v_dual_ashrrev_i32 v27, 31, v27
	v_xor_b32_e32 v24, s4, v24
	v_xor_b32_e32 v25, s5, v25
	v_bitop3_b32 v22, v22, v23, exec_lo bitop3:0x80
	v_cmp_gt_i32_e64 s8, 0, v36
	v_dual_ashrrev_i32 v23, 31, v31 :: v_dual_ashrrev_i32 v21, 31, v21
	v_xor_b32_e32 v26, s6, v26
	v_xor_b32_e32 v27, s7, v27
	v_bitop3_b32 v22, v22, v25, v24 bitop3:0x80
	s_delay_alu instid0(VALU_DEP_4) | instskip(SKIP_3) | instid1(VALU_DEP_1)
	v_xor_b32_e32 v23, s8, v23
	v_xor_b32_e32 v21, s9, v21
	ds_load_b32 v36, v30 offset:64
	v_bitop3_b32 v22, v22, v27, v26 bitop3:0x80
	; wave barrier
	v_bitop3_b32 v21, v22, v21, v23 bitop3:0x80
	s_delay_alu instid0(VALU_DEP_1) | instskip(SKIP_1) | instid1(VALU_DEP_2)
	v_mbcnt_lo_u32_b32 v37, v21, 0
	v_cmp_ne_u32_e64 s3, 0, v21
	v_cmp_eq_u32_e32 vcc_lo, 0, v37
	s_and_b32 s4, s3, vcc_lo
	s_delay_alu instid0(SALU_CYCLE_1)
	s_and_saveexec_b32 s3, s4
	s_cbranch_execz .LBB1527_27
; %bb.26:
	s_wait_dscnt 0x0
	v_bcnt_u32_b32 v21, v21, v36
	ds_store_b32 v30, v21 offset:64
.LBB1527_27:
	s_or_b32 exec_lo, exec_lo, s3
	v_cmp_gt_i64_e32 vcc_lo, 0, v[10:11]
	; wave barrier
	v_cndmask_b32_e64 v22, 0x7fffffff, 0, vcc_lo
	s_delay_alu instid0(VALU_DEP_1) | instskip(NEXT) | instid1(VALU_DEP_1)
	v_dual_ashrrev_i32 v21, 31, v11 :: v_dual_bitop2_b32 v11, v22, v11 bitop3:0x14
	v_not_b32_e32 v21, v21
	s_delay_alu instid0(VALU_DEP_1) | instskip(NEXT) | instid1(VALU_DEP_1)
	v_xor_b32_e32 v10, v21, v10
	v_cmp_ne_u64_e32 vcc_lo, s[22:23], v[10:11]
	v_cndmask_b32_e32 v23, 0x7fffffff, v11, vcc_lo
	v_cndmask_b32_e32 v22, -1, v10, vcc_lo
	s_delay_alu instid0(VALU_DEP_1) | instskip(NEXT) | instid1(VALU_DEP_1)
	v_lshrrev_b64 v[22:23], s20, v[22:23]
	v_and_b32_e32 v21, s30, v22
	v_bitop3_b32 v22, v22, 1, s30 bitop3:0x80
	s_delay_alu instid0(VALU_DEP_2) | instskip(NEXT) | instid1(VALU_DEP_2)
	v_lshlrev_b32_e32 v24, 30, v21
	v_add_co_u32 v22, s3, v22, -1
	s_delay_alu instid0(VALU_DEP_1) | instskip(NEXT) | instid1(VALU_DEP_3)
	v_cndmask_b32_e64 v23, 0, 1, s3
	v_cmp_gt_i32_e64 s3, 0, v24
	s_delay_alu instid0(VALU_DEP_2) | instskip(SKIP_1) | instid1(VALU_DEP_1)
	v_cmp_ne_u32_e32 vcc_lo, 0, v23
	v_not_b32_e32 v23, v24
	v_dual_ashrrev_i32 v23, 31, v23 :: v_dual_lshlrev_b32 v25, 29, v21
	v_dual_lshlrev_b32 v26, 28, v21 :: v_dual_lshlrev_b32 v27, 27, v21
	v_lshlrev_b32_e32 v38, 26, v21
	v_mad_u32 v31, 0x44, v21, v20
	s_delay_alu instid0(VALU_DEP_4)
	v_cmp_gt_i32_e64 s4, 0, v25
	v_not_b32_e32 v24, v25
	v_not_b32_e32 v25, v26
	v_dual_lshlrev_b32 v39, 25, v21 :: v_dual_lshlrev_b32 v21, 24, v21
	v_cmp_gt_i32_e64 s5, 0, v26
	v_cmp_gt_i32_e64 s6, 0, v27
	v_not_b32_e32 v26, v27
	v_not_b32_e32 v27, v38
	v_dual_ashrrev_i32 v24, 31, v24 :: v_dual_bitop2_b32 v22, vcc_lo, v22 bitop3:0x14
	v_dual_ashrrev_i32 v25, 31, v25 :: v_dual_bitop2_b32 v23, s3, v23 bitop3:0x14
	v_cmp_gt_i32_e64 s7, 0, v38
	v_not_b32_e32 v38, v39
	v_cmp_gt_i32_e64 s9, 0, v21
	v_not_b32_e32 v21, v21
	v_dual_ashrrev_i32 v26, 31, v26 :: v_dual_ashrrev_i32 v27, 31, v27
	v_xor_b32_e32 v24, s4, v24
	v_xor_b32_e32 v25, s5, v25
	v_bitop3_b32 v22, v22, v23, exec_lo bitop3:0x80
	v_cmp_gt_i32_e64 s8, 0, v39
	v_dual_ashrrev_i32 v23, 31, v38 :: v_dual_ashrrev_i32 v21, 31, v21
	v_xor_b32_e32 v26, s6, v26
	v_xor_b32_e32 v27, s7, v27
	v_bitop3_b32 v22, v22, v25, v24 bitop3:0x80
	s_delay_alu instid0(VALU_DEP_4) | instskip(SKIP_3) | instid1(VALU_DEP_1)
	v_xor_b32_e32 v23, s8, v23
	v_xor_b32_e32 v21, s9, v21
	ds_load_b32 v38, v31 offset:64
	v_bitop3_b32 v22, v22, v27, v26 bitop3:0x80
	; wave barrier
	v_bitop3_b32 v21, v22, v21, v23 bitop3:0x80
	s_delay_alu instid0(VALU_DEP_1) | instskip(SKIP_1) | instid1(VALU_DEP_2)
	v_mbcnt_lo_u32_b32 v39, v21, 0
	v_cmp_ne_u32_e64 s3, 0, v21
	v_cmp_eq_u32_e32 vcc_lo, 0, v39
	s_and_b32 s4, s3, vcc_lo
	s_delay_alu instid0(SALU_CYCLE_1)
	s_and_saveexec_b32 s3, s4
	s_cbranch_execz .LBB1527_29
; %bb.28:
	s_wait_dscnt 0x0
	v_bcnt_u32_b32 v21, v21, v38
	ds_store_b32 v31, v21 offset:64
.LBB1527_29:
	s_or_b32 exec_lo, exec_lo, s3
	v_cmp_gt_i64_e32 vcc_lo, 0, v[12:13]
	; wave barrier
	v_cndmask_b32_e64 v22, 0x7fffffff, 0, vcc_lo
	s_delay_alu instid0(VALU_DEP_1) | instskip(NEXT) | instid1(VALU_DEP_1)
	v_dual_ashrrev_i32 v21, 31, v13 :: v_dual_bitop2_b32 v13, v22, v13 bitop3:0x14
	v_not_b32_e32 v21, v21
	s_delay_alu instid0(VALU_DEP_1) | instskip(NEXT) | instid1(VALU_DEP_1)
	v_xor_b32_e32 v12, v21, v12
	v_cmp_ne_u64_e32 vcc_lo, s[22:23], v[12:13]
	v_cndmask_b32_e32 v23, 0x7fffffff, v13, vcc_lo
	v_cndmask_b32_e32 v22, -1, v12, vcc_lo
	s_delay_alu instid0(VALU_DEP_1) | instskip(NEXT) | instid1(VALU_DEP_1)
	v_lshrrev_b64 v[22:23], s20, v[22:23]
	v_and_b32_e32 v21, s30, v22
	v_bitop3_b32 v22, v22, 1, s30 bitop3:0x80
	s_delay_alu instid0(VALU_DEP_2) | instskip(NEXT) | instid1(VALU_DEP_2)
	v_lshlrev_b32_e32 v24, 30, v21
	v_add_co_u32 v22, s3, v22, -1
	s_delay_alu instid0(VALU_DEP_1) | instskip(NEXT) | instid1(VALU_DEP_3)
	v_cndmask_b32_e64 v23, 0, 1, s3
	v_cmp_gt_i32_e64 s3, 0, v24
	s_delay_alu instid0(VALU_DEP_2) | instskip(SKIP_1) | instid1(VALU_DEP_1)
	v_cmp_ne_u32_e32 vcc_lo, 0, v23
	v_not_b32_e32 v23, v24
	v_dual_ashrrev_i32 v23, 31, v23 :: v_dual_bitop2_b32 v22, vcc_lo, v22 bitop3:0x14
	v_dual_lshlrev_b32 v25, 29, v21 :: v_dual_lshlrev_b32 v26, 28, v21
	v_dual_lshlrev_b32 v27, 27, v21 :: v_dual_lshlrev_b32 v40, 26, v21
	v_lshlrev_b32_e32 v41, 25, v21
	s_delay_alu instid0(VALU_DEP_3)
	v_cmp_gt_i32_e64 s4, 0, v25
	v_not_b32_e32 v24, v25
	v_not_b32_e32 v25, v26
	v_mad_u32 v42, 0x44, v21, v20
	v_lshlrev_b32_e32 v21, 24, v21
	v_cmp_gt_i32_e64 s5, 0, v26
	v_cmp_gt_i32_e64 s6, 0, v27
	v_not_b32_e32 v26, v27
	v_not_b32_e32 v27, v40
	v_dual_ashrrev_i32 v24, 31, v24 :: v_dual_ashrrev_i32 v25, 31, v25
	v_xor_b32_e32 v23, s3, v23
	v_cmp_gt_i32_e64 s7, 0, v40
	v_not_b32_e32 v40, v41
	v_cmp_gt_i32_e64 s9, 0, v21
	v_not_b32_e32 v21, v21
	v_dual_ashrrev_i32 v26, 31, v26 :: v_dual_ashrrev_i32 v27, 31, v27
	v_xor_b32_e32 v24, s4, v24
	v_xor_b32_e32 v25, s5, v25
	v_bitop3_b32 v22, v22, v23, exec_lo bitop3:0x80
	v_cmp_gt_i32_e64 s8, 0, v41
	v_dual_ashrrev_i32 v23, 31, v40 :: v_dual_ashrrev_i32 v21, 31, v21
	v_xor_b32_e32 v26, s6, v26
	v_xor_b32_e32 v27, s7, v27
	v_bitop3_b32 v22, v22, v25, v24 bitop3:0x80
	s_delay_alu instid0(VALU_DEP_4) | instskip(SKIP_3) | instid1(VALU_DEP_1)
	v_xor_b32_e32 v23, s8, v23
	v_xor_b32_e32 v21, s9, v21
	ds_load_b32 v40, v42 offset:64
	v_bitop3_b32 v22, v22, v27, v26 bitop3:0x80
	; wave barrier
	v_bitop3_b32 v21, v22, v21, v23 bitop3:0x80
	s_delay_alu instid0(VALU_DEP_1) | instskip(SKIP_1) | instid1(VALU_DEP_2)
	v_mbcnt_lo_u32_b32 v41, v21, 0
	v_cmp_ne_u32_e64 s3, 0, v21
	v_cmp_eq_u32_e32 vcc_lo, 0, v41
	s_and_b32 s4, s3, vcc_lo
	s_delay_alu instid0(SALU_CYCLE_1)
	s_and_saveexec_b32 s3, s4
	s_cbranch_execz .LBB1527_31
; %bb.30:
	s_wait_dscnt 0x0
	v_bcnt_u32_b32 v21, v21, v40
	ds_store_b32 v42, v21 offset:64
.LBB1527_31:
	s_or_b32 exec_lo, exec_lo, s3
	v_cmp_gt_i64_e32 vcc_lo, 0, v[16:17]
	; wave barrier
	v_cndmask_b32_e64 v22, 0x7fffffff, 0, vcc_lo
	s_delay_alu instid0(VALU_DEP_1) | instskip(NEXT) | instid1(VALU_DEP_1)
	v_dual_ashrrev_i32 v21, 31, v17 :: v_dual_bitop2_b32 v17, v22, v17 bitop3:0x14
	v_not_b32_e32 v21, v21
	s_delay_alu instid0(VALU_DEP_1) | instskip(NEXT) | instid1(VALU_DEP_1)
	v_xor_b32_e32 v16, v21, v16
	v_cmp_ne_u64_e32 vcc_lo, s[22:23], v[16:17]
	v_cndmask_b32_e32 v23, 0x7fffffff, v17, vcc_lo
	v_cndmask_b32_e32 v22, -1, v16, vcc_lo
	s_delay_alu instid0(VALU_DEP_1) | instskip(NEXT) | instid1(VALU_DEP_1)
	v_lshrrev_b64 v[22:23], s20, v[22:23]
	v_and_b32_e32 v21, s30, v22
	v_bitop3_b32 v22, v22, 1, s30 bitop3:0x80
	s_delay_alu instid0(VALU_DEP_2) | instskip(NEXT) | instid1(VALU_DEP_2)
	v_lshlrev_b32_e32 v24, 30, v21
	v_add_co_u32 v22, s3, v22, -1
	s_delay_alu instid0(VALU_DEP_1) | instskip(NEXT) | instid1(VALU_DEP_3)
	v_cndmask_b32_e64 v23, 0, 1, s3
	v_cmp_gt_i32_e64 s3, 0, v24
	s_delay_alu instid0(VALU_DEP_2) | instskip(SKIP_1) | instid1(VALU_DEP_1)
	v_cmp_ne_u32_e32 vcc_lo, 0, v23
	v_not_b32_e32 v23, v24
	v_dual_ashrrev_i32 v23, 31, v23 :: v_dual_bitop2_b32 v22, vcc_lo, v22 bitop3:0x14
	v_dual_lshlrev_b32 v25, 29, v21 :: v_dual_lshlrev_b32 v26, 28, v21
	v_dual_lshlrev_b32 v27, 27, v21 :: v_dual_lshlrev_b32 v43, 26, v21
	v_lshlrev_b32_e32 v44, 25, v21
	s_delay_alu instid0(VALU_DEP_3)
	v_cmp_gt_i32_e64 s4, 0, v25
	v_not_b32_e32 v24, v25
	v_not_b32_e32 v25, v26
	v_mad_u32 v45, 0x44, v21, v20
	v_lshlrev_b32_e32 v21, 24, v21
	v_cmp_gt_i32_e64 s5, 0, v26
	v_cmp_gt_i32_e64 s6, 0, v27
	v_not_b32_e32 v26, v27
	v_not_b32_e32 v27, v43
	v_dual_ashrrev_i32 v24, 31, v24 :: v_dual_ashrrev_i32 v25, 31, v25
	v_xor_b32_e32 v23, s3, v23
	v_cmp_gt_i32_e64 s7, 0, v43
	v_not_b32_e32 v43, v44
	v_cmp_gt_i32_e64 s9, 0, v21
	v_not_b32_e32 v21, v21
	v_dual_ashrrev_i32 v26, 31, v26 :: v_dual_ashrrev_i32 v27, 31, v27
	v_xor_b32_e32 v24, s4, v24
	v_xor_b32_e32 v25, s5, v25
	v_bitop3_b32 v22, v22, v23, exec_lo bitop3:0x80
	v_cmp_gt_i32_e64 s8, 0, v44
	v_dual_ashrrev_i32 v23, 31, v43 :: v_dual_ashrrev_i32 v21, 31, v21
	v_xor_b32_e32 v26, s6, v26
	v_xor_b32_e32 v27, s7, v27
	v_bitop3_b32 v22, v22, v25, v24 bitop3:0x80
	s_delay_alu instid0(VALU_DEP_4) | instskip(SKIP_3) | instid1(VALU_DEP_1)
	v_xor_b32_e32 v23, s8, v23
	v_xor_b32_e32 v21, s9, v21
	ds_load_b32 v43, v45 offset:64
	v_bitop3_b32 v22, v22, v27, v26 bitop3:0x80
	; wave barrier
	v_bitop3_b32 v21, v22, v21, v23 bitop3:0x80
	s_delay_alu instid0(VALU_DEP_1) | instskip(SKIP_1) | instid1(VALU_DEP_2)
	v_mbcnt_lo_u32_b32 v44, v21, 0
	v_cmp_ne_u32_e64 s3, 0, v21
	v_cmp_eq_u32_e32 vcc_lo, 0, v44
	s_and_b32 s4, s3, vcc_lo
	s_delay_alu instid0(SALU_CYCLE_1)
	s_and_saveexec_b32 s3, s4
	s_cbranch_execz .LBB1527_33
; %bb.32:
	s_wait_dscnt 0x0
	v_bcnt_u32_b32 v21, v21, v43
	ds_store_b32 v45, v21 offset:64
.LBB1527_33:
	s_or_b32 exec_lo, exec_lo, s3
	v_cmp_gt_i64_e32 vcc_lo, 0, v[18:19]
	; wave barrier
	v_cndmask_b32_e64 v22, 0x7fffffff, 0, vcc_lo
	s_delay_alu instid0(VALU_DEP_1) | instskip(NEXT) | instid1(VALU_DEP_1)
	v_dual_ashrrev_i32 v21, 31, v19 :: v_dual_bitop2_b32 v19, v22, v19 bitop3:0x14
	v_not_b32_e32 v21, v21
	s_delay_alu instid0(VALU_DEP_1) | instskip(NEXT) | instid1(VALU_DEP_1)
	v_xor_b32_e32 v18, v21, v18
	v_cmp_ne_u64_e32 vcc_lo, s[22:23], v[18:19]
	v_cndmask_b32_e32 v23, 0x7fffffff, v19, vcc_lo
	v_cndmask_b32_e32 v22, -1, v18, vcc_lo
	s_delay_alu instid0(VALU_DEP_1) | instskip(NEXT) | instid1(VALU_DEP_1)
	v_lshrrev_b64 v[22:23], s20, v[22:23]
	v_and_b32_e32 v21, s30, v22
	v_bitop3_b32 v22, v22, 1, s30 bitop3:0x80
	s_delay_alu instid0(VALU_DEP_2) | instskip(NEXT) | instid1(VALU_DEP_2)
	v_lshlrev_b32_e32 v24, 30, v21
	v_add_co_u32 v22, s3, v22, -1
	s_delay_alu instid0(VALU_DEP_1) | instskip(NEXT) | instid1(VALU_DEP_3)
	v_cndmask_b32_e64 v23, 0, 1, s3
	v_cmp_gt_i32_e64 s3, 0, v24
	s_delay_alu instid0(VALU_DEP_2) | instskip(SKIP_1) | instid1(VALU_DEP_1)
	v_cmp_ne_u32_e32 vcc_lo, 0, v23
	v_not_b32_e32 v23, v24
	v_dual_ashrrev_i32 v23, 31, v23 :: v_dual_lshlrev_b32 v25, 29, v21
	v_dual_lshlrev_b32 v26, 28, v21 :: v_dual_lshlrev_b32 v27, 27, v21
	v_lshlrev_b32_e32 v46, 26, v21
	v_mad_u32 v48, 0x44, v21, v20
	s_delay_alu instid0(VALU_DEP_4)
	v_cmp_gt_i32_e64 s4, 0, v25
	v_not_b32_e32 v24, v25
	v_not_b32_e32 v25, v26
	v_dual_lshlrev_b32 v47, 25, v21 :: v_dual_lshlrev_b32 v21, 24, v21
	v_cmp_gt_i32_e64 s5, 0, v26
	v_cmp_gt_i32_e64 s6, 0, v27
	v_not_b32_e32 v26, v27
	v_not_b32_e32 v27, v46
	v_dual_ashrrev_i32 v24, 31, v24 :: v_dual_bitop2_b32 v22, vcc_lo, v22 bitop3:0x14
	v_dual_ashrrev_i32 v25, 31, v25 :: v_dual_bitop2_b32 v23, s3, v23 bitop3:0x14
	v_cmp_gt_i32_e64 s7, 0, v46
	v_not_b32_e32 v46, v47
	v_cmp_gt_i32_e64 s9, 0, v21
	v_not_b32_e32 v21, v21
	v_dual_ashrrev_i32 v26, 31, v26 :: v_dual_ashrrev_i32 v27, 31, v27
	v_xor_b32_e32 v24, s4, v24
	v_xor_b32_e32 v25, s5, v25
	v_bitop3_b32 v22, v22, v23, exec_lo bitop3:0x80
	v_cmp_gt_i32_e64 s8, 0, v47
	v_dual_ashrrev_i32 v23, 31, v46 :: v_dual_ashrrev_i32 v21, 31, v21
	v_xor_b32_e32 v26, s6, v26
	v_xor_b32_e32 v27, s7, v27
	v_bitop3_b32 v22, v22, v25, v24 bitop3:0x80
	s_delay_alu instid0(VALU_DEP_4) | instskip(SKIP_3) | instid1(VALU_DEP_1)
	v_xor_b32_e32 v23, s8, v23
	v_xor_b32_e32 v21, s9, v21
	ds_load_b32 v46, v48 offset:64
	v_bitop3_b32 v22, v22, v27, v26 bitop3:0x80
	; wave barrier
	v_bitop3_b32 v21, v22, v21, v23 bitop3:0x80
	s_delay_alu instid0(VALU_DEP_1) | instskip(SKIP_1) | instid1(VALU_DEP_2)
	v_mbcnt_lo_u32_b32 v47, v21, 0
	v_cmp_ne_u32_e64 s3, 0, v21
	v_cmp_eq_u32_e32 vcc_lo, 0, v47
	s_and_b32 s4, s3, vcc_lo
	s_delay_alu instid0(SALU_CYCLE_1)
	s_and_saveexec_b32 s3, s4
	s_cbranch_execz .LBB1527_35
; %bb.34:
	s_wait_dscnt 0x0
	v_bcnt_u32_b32 v21, v21, v46
	ds_store_b32 v48, v21 offset:64
.LBB1527_35:
	s_or_b32 exec_lo, exec_lo, s3
	v_cmp_gt_i64_e32 vcc_lo, 0, v[14:15]
	; wave barrier
	v_cndmask_b32_e64 v22, 0x7fffffff, 0, vcc_lo
	s_delay_alu instid0(VALU_DEP_1) | instskip(NEXT) | instid1(VALU_DEP_1)
	v_dual_ashrrev_i32 v21, 31, v15 :: v_dual_bitop2_b32 v15, v22, v15 bitop3:0x14
	v_not_b32_e32 v21, v21
	s_delay_alu instid0(VALU_DEP_1) | instskip(NEXT) | instid1(VALU_DEP_1)
	v_xor_b32_e32 v14, v21, v14
	v_cmp_ne_u64_e32 vcc_lo, s[22:23], v[14:15]
	v_cndmask_b32_e32 v23, 0x7fffffff, v15, vcc_lo
	v_cndmask_b32_e32 v22, -1, v14, vcc_lo
	s_delay_alu instid0(VALU_DEP_1) | instskip(NEXT) | instid1(VALU_DEP_1)
	v_lshrrev_b64 v[22:23], s20, v[22:23]
	v_and_b32_e32 v21, s30, v22
	v_bitop3_b32 v22, v22, 1, s30 bitop3:0x80
	s_delay_alu instid0(VALU_DEP_2) | instskip(NEXT) | instid1(VALU_DEP_2)
	v_mad_u32 v51, 0x44, v21, v20
	v_add_co_u32 v20, s3, v22, -1
	s_delay_alu instid0(VALU_DEP_1) | instskip(SKIP_1) | instid1(VALU_DEP_2)
	v_cndmask_b32_e64 v22, 0, 1, s3
	v_lshlrev_b32_e32 v23, 30, v21
	v_cmp_ne_u32_e32 vcc_lo, 0, v22
	s_delay_alu instid0(VALU_DEP_2) | instskip(SKIP_1) | instid1(VALU_DEP_2)
	v_not_b32_e32 v22, v23
	v_cmp_gt_i32_e64 s3, 0, v23
	v_dual_ashrrev_i32 v22, 31, v22 :: v_dual_lshlrev_b32 v24, 29, v21
	v_dual_lshlrev_b32 v25, 28, v21 :: v_dual_lshlrev_b32 v26, 27, v21
	v_dual_lshlrev_b32 v27, 26, v21 :: v_dual_lshlrev_b32 v49, 25, v21
	v_lshlrev_b32_e32 v21, 24, v21
	s_delay_alu instid0(VALU_DEP_4)
	v_cmp_gt_i32_e64 s4, 0, v24
	v_not_b32_e32 v23, v24
	v_not_b32_e32 v24, v25
	v_cmp_gt_i32_e64 s5, 0, v25
	v_cmp_gt_i32_e64 s6, 0, v26
	v_not_b32_e32 v25, v26
	v_not_b32_e32 v26, v27
	v_dual_ashrrev_i32 v23, 31, v23 :: v_dual_bitop2_b32 v20, vcc_lo, v20 bitop3:0x14
	v_dual_ashrrev_i32 v24, 31, v24 :: v_dual_bitop2_b32 v22, s3, v22 bitop3:0x14
	v_cmp_gt_i32_e64 s7, 0, v27
	v_not_b32_e32 v27, v49
	v_cmp_gt_i32_e64 s9, 0, v21
	v_not_b32_e32 v21, v21
	v_dual_ashrrev_i32 v25, 31, v25 :: v_dual_ashrrev_i32 v26, 31, v26
	v_xor_b32_e32 v23, s4, v23
	v_xor_b32_e32 v24, s5, v24
	v_bitop3_b32 v20, v20, v22, exec_lo bitop3:0x80
	v_cmp_gt_i32_e64 s8, 0, v49
	v_dual_ashrrev_i32 v22, 31, v27 :: v_dual_ashrrev_i32 v21, 31, v21
	v_xor_b32_e32 v25, s6, v25
	v_xor_b32_e32 v26, s7, v26
	v_bitop3_b32 v20, v20, v24, v23 bitop3:0x80
	s_delay_alu instid0(VALU_DEP_4) | instskip(SKIP_3) | instid1(VALU_DEP_1)
	v_xor_b32_e32 v22, s8, v22
	v_xor_b32_e32 v21, s9, v21
	ds_load_b32 v49, v51 offset:64
	v_bitop3_b32 v20, v20, v26, v25 bitop3:0x80
	; wave barrier
	v_bitop3_b32 v20, v20, v21, v22 bitop3:0x80
	s_delay_alu instid0(VALU_DEP_1) | instskip(SKIP_1) | instid1(VALU_DEP_2)
	v_mbcnt_lo_u32_b32 v50, v20, 0
	v_cmp_ne_u32_e64 s3, 0, v20
	v_cmp_eq_u32_e32 vcc_lo, 0, v50
	s_and_b32 s4, s3, vcc_lo
	s_delay_alu instid0(SALU_CYCLE_1)
	s_and_saveexec_b32 s3, s4
	s_cbranch_execz .LBB1527_37
; %bb.36:
	s_wait_dscnt 0x0
	v_bcnt_u32_b32 v20, v20, v49
	ds_store_b32 v51, v20 offset:64
.LBB1527_37:
	s_or_b32 exec_lo, exec_lo, s3
	; wave barrier
	s_wait_dscnt 0x0
	s_barrier_signal -1
	s_barrier_wait -1
	ds_load_2addr_b32 v[26:27], v3 offset0:16 offset1:17
	ds_load_2addr_b32 v[24:25], v3 offset0:18 offset1:19
	ds_load_2addr_b32 v[22:23], v3 offset0:20 offset1:21
	ds_load_2addr_b32 v[20:21], v3 offset0:22 offset1:23
	ds_load_b32 v52, v3 offset:96
	v_bfe_i32 v55, v33, 4, 1
	s_mov_b32 s7, exec_lo
	s_wait_dscnt 0x3
	v_add3_u32 v53, v27, v26, v24
	s_wait_dscnt 0x2
	s_delay_alu instid0(VALU_DEP_1) | instskip(SKIP_1) | instid1(VALU_DEP_1)
	v_add3_u32 v53, v53, v25, v22
	s_wait_dscnt 0x1
	v_add3_u32 v53, v53, v23, v20
	s_wait_dscnt 0x0
	s_delay_alu instid0(VALU_DEP_1) | instskip(SKIP_1) | instid1(VALU_DEP_2)
	v_add3_u32 v52, v53, v21, v52
	v_and_b32_e32 v53, 15, v33
	v_mov_b32_dpp v54, v52 row_shr:1 row_mask:0xf bank_mask:0xf
	s_delay_alu instid0(VALU_DEP_2) | instskip(NEXT) | instid1(VALU_DEP_2)
	v_cmp_eq_u32_e32 vcc_lo, 0, v53
	v_cndmask_b32_e64 v54, v54, 0, vcc_lo
	s_delay_alu instid0(VALU_DEP_1) | instskip(SKIP_3) | instid1(VALU_DEP_4)
	v_add_nc_u32_e32 v52, v54, v52
	v_cmp_lt_u32_e64 s3, 1, v53
	v_cmp_lt_u32_e64 s4, 3, v53
	;; [unrolled: 1-line block ×3, first 2 shown]
	v_mov_b32_dpp v54, v52 row_shr:2 row_mask:0xf bank_mask:0xf
	s_delay_alu instid0(VALU_DEP_1) | instskip(NEXT) | instid1(VALU_DEP_1)
	v_cndmask_b32_e64 v54, 0, v54, s3
	v_add_nc_u32_e32 v52, v52, v54
	s_delay_alu instid0(VALU_DEP_1) | instskip(NEXT) | instid1(VALU_DEP_1)
	v_mov_b32_dpp v54, v52 row_shr:4 row_mask:0xf bank_mask:0xf
	v_cndmask_b32_e64 v54, 0, v54, s4
	s_delay_alu instid0(VALU_DEP_1) | instskip(NEXT) | instid1(VALU_DEP_1)
	v_add_nc_u32_e32 v52, v52, v54
	v_mov_b32_dpp v54, v52 row_shr:8 row_mask:0xf bank_mask:0xf
	s_delay_alu instid0(VALU_DEP_1) | instskip(SKIP_1) | instid1(VALU_DEP_2)
	v_cndmask_b32_e64 v53, 0, v54, s5
	v_and_b32_e32 v54, 0x3e0, v32
	v_add_nc_u32_e32 v52, v52, v53
	s_delay_alu instid0(VALU_DEP_2) | instskip(SKIP_3) | instid1(VALU_DEP_1)
	v_min_u32_e32 v54, 0x1e0, v54
	ds_swizzle_b32 v53, v52 offset:swizzle(BROADCAST,32,15)
	s_wait_dscnt 0x0
	v_dual_lshrrev_b32 v53, 5, v32 :: v_dual_bitop2_b32 v55, v55, v53 bitop3:0x40
	v_dual_add_nc_u32 v52, v52, v55 :: v_dual_bitop2_b32 v54, 31, v54 bitop3:0x54
	s_delay_alu instid0(VALU_DEP_1)
	v_cmpx_eq_u32_e64 v32, v54
; %bb.38:
	s_delay_alu instid0(VALU_DEP_3)
	v_lshlrev_b32_e32 v54, 2, v53
	ds_store_b32 v54, v52
; %bb.39:
	s_or_b32 exec_lo, exec_lo, s7
	s_delay_alu instid0(SALU_CYCLE_1)
	s_mov_b32 s7, exec_lo
	s_wait_dscnt 0x0
	s_barrier_signal -1
	s_barrier_wait -1
	v_cmpx_gt_u32_e32 16, v32
	s_cbranch_execz .LBB1527_41
; %bb.40:
	v_lshlrev_b32_e32 v54, 2, v32
	ds_load_b32 v55, v54
	s_wait_dscnt 0x0
	v_mov_b32_dpp v56, v55 row_shr:1 row_mask:0xf bank_mask:0xf
	s_delay_alu instid0(VALU_DEP_1) | instskip(NEXT) | instid1(VALU_DEP_1)
	v_cndmask_b32_e64 v56, v56, 0, vcc_lo
	v_add_nc_u32_e32 v55, v56, v55
	s_delay_alu instid0(VALU_DEP_1) | instskip(NEXT) | instid1(VALU_DEP_1)
	v_mov_b32_dpp v56, v55 row_shr:2 row_mask:0xf bank_mask:0xf
	v_cndmask_b32_e64 v56, 0, v56, s3
	s_delay_alu instid0(VALU_DEP_1) | instskip(NEXT) | instid1(VALU_DEP_1)
	v_add_nc_u32_e32 v55, v55, v56
	v_mov_b32_dpp v56, v55 row_shr:4 row_mask:0xf bank_mask:0xf
	s_delay_alu instid0(VALU_DEP_1) | instskip(NEXT) | instid1(VALU_DEP_1)
	v_cndmask_b32_e64 v56, 0, v56, s4
	v_add_nc_u32_e32 v55, v55, v56
	s_delay_alu instid0(VALU_DEP_1) | instskip(NEXT) | instid1(VALU_DEP_1)
	v_mov_b32_dpp v56, v55 row_shr:8 row_mask:0xf bank_mask:0xf
	v_cndmask_b32_e64 v56, 0, v56, s5
	s_delay_alu instid0(VALU_DEP_1)
	v_add_nc_u32_e32 v55, v55, v56
	ds_store_b32 v54, v55
.LBB1527_41:
	s_or_b32 exec_lo, exec_lo, s7
	v_mov_b32_e32 v54, 0
	s_mov_b32 s3, exec_lo
	s_wait_dscnt 0x0
	s_barrier_signal -1
	s_barrier_wait -1
	v_cmpx_lt_u32_e32 31, v32
; %bb.42:
	v_lshl_add_u32 v53, v53, 2, -4
	ds_load_b32 v54, v53
; %bb.43:
	s_or_b32 exec_lo, exec_lo, s3
	v_sub_co_u32 v53, vcc_lo, v33, 1
	s_wait_dscnt 0x0
	v_add_nc_u32_e32 v52, v54, v52
	s_delay_alu instid0(VALU_DEP_2) | instskip(NEXT) | instid1(VALU_DEP_1)
	v_cmp_gt_i32_e64 s3, 0, v53
	v_cndmask_b32_e64 v53, v53, v33, s3
	v_cmp_lt_u32_e64 s3, 0xff, v32
	s_delay_alu instid0(VALU_DEP_2) | instskip(SKIP_4) | instid1(VALU_DEP_2)
	v_lshlrev_b32_e32 v53, 2, v53
	ds_bpermute_b32 v52, v53, v52
	s_wait_dscnt 0x0
	v_cndmask_b32_e32 v52, v52, v54, vcc_lo
	v_cmp_gt_u32_e32 vcc_lo, 0x100, v32
	v_cndmask_b32_e64 v52, v52, 0, s2
	s_delay_alu instid0(VALU_DEP_1) | instskip(NEXT) | instid1(VALU_DEP_1)
	v_add_nc_u32_e32 v26, v52, v26
	v_add_nc_u32_e32 v27, v26, v27
	s_delay_alu instid0(VALU_DEP_1) | instskip(NEXT) | instid1(VALU_DEP_1)
	v_add_nc_u32_e32 v24, v27, v24
	v_add_nc_u32_e32 v25, v24, v25
	;; [unrolled: 3-line block ×4, first 2 shown]
	ds_store_2addr_b32 v3, v52, v26 offset0:16 offset1:17
	ds_store_2addr_b32 v3, v27, v24 offset0:18 offset1:19
	;; [unrolled: 1-line block ×4, first 2 shown]
	ds_store_b32 v3, v21 offset:96
	s_wait_dscnt 0x0
	s_barrier_signal -1
	s_barrier_wait -1
	ds_load_b32 v23, v28 offset:64
	ds_load_b32 v52, v29 offset:64
	;; [unrolled: 1-line block ×8, first 2 shown]
	v_mov_b64_e32 v[20:21], 0
                                        ; implicit-def: $vgpr22
	s_and_saveexec_b32 s5, vcc_lo
	s_cbranch_execz .LBB1527_47
; %bb.44:
	v_mul_u32_u24_e32 v3, 0x44, v32
	v_add_nc_u32_e32 v21, 1, v32
	s_mov_b32 s6, exec_lo
	ds_load_b32 v20, v3 offset:64
	v_mov_b32_e32 v3, 0x1000
	v_cmpx_ne_u32_e32 0x100, v21
; %bb.45:
	v_mul_u32_u24_e32 v3, 0x44, v21
	ds_load_b32 v3, v3 offset:64
; %bb.46:
	s_or_b32 exec_lo, exec_lo, s6
	s_wait_dscnt 0x0
	v_dual_mov_b32 v21, 0 :: v_dual_sub_nc_u32 v22, v3, v20
.LBB1527_47:
	s_or_b32 exec_lo, exec_lo, s5
	v_mov_b32_e32 v25, 0
	s_wait_dscnt 0x0
	s_barrier_signal -1
	s_barrier_wait -1
	s_and_saveexec_b32 s4, vcc_lo
	s_cbranch_execz .LBB1527_57
; %bb.48:
	v_lshl_add_u32 v24, s26, 8, v32
	v_dual_mov_b32 v28, 0 :: v_dual_bitop2_b32 v3, 2.0, v22 bitop3:0x54
	s_mov_b32 s5, 0
	s_mov_b32 s6, s26
	s_delay_alu instid0(VALU_DEP_2)
	v_lshl_add_u64 v[26:27], v[24:25], 2, s[10:11]
	global_store_b32 v24, v3, s[10:11] scale_offset scope:SCOPE_DEV
                                        ; implicit-def: $sgpr7
	s_branch .LBB1527_51
.LBB1527_49:                            ;   in Loop: Header=BB1527_51 Depth=1
	s_or_b32 exec_lo, exec_lo, s8
.LBB1527_50:                            ;   in Loop: Header=BB1527_51 Depth=1
	s_delay_alu instid0(SALU_CYCLE_1) | instskip(SKIP_2) | instid1(VALU_DEP_2)
	s_or_b32 exec_lo, exec_lo, s7
	v_and_b32_e32 v24, 0x3fffffff, v3
	v_cmp_gt_i32_e64 s7, -2.0, v3
	v_add_nc_u32_e32 v28, v24, v28
	s_and_b32 s8, exec_lo, s7
	s_delay_alu instid0(SALU_CYCLE_1) | instskip(NEXT) | instid1(SALU_CYCLE_1)
	s_or_b32 s5, s8, s5
	s_and_not1_b32 exec_lo, exec_lo, s5
	s_cbranch_execz .LBB1527_56
.LBB1527_51:                            ; =>This Loop Header: Depth=1
                                        ;     Child Loop BB1527_54 Depth 2
	s_or_b32 s7, s7, exec_lo
	s_cmp_eq_u32 s6, 0
	s_cbranch_scc1 .LBB1527_55
; %bb.52:                               ;   in Loop: Header=BB1527_51 Depth=1
	s_add_co_i32 s6, s6, -1
	s_mov_b32 s7, exec_lo
	s_wait_xcnt 0x0
	v_lshl_or_b32 v24, s6, 8, v32
	global_load_b32 v3, v24, s[10:11] scale_offset scope:SCOPE_DEV
	s_wait_loadcnt 0x0
	v_cmpx_gt_u32_e32 2.0, v3
	s_cbranch_execz .LBB1527_50
; %bb.53:                               ;   in Loop: Header=BB1527_51 Depth=1
	v_lshl_add_u64 v[30:31], v[24:25], 2, s[10:11]
	s_mov_b32 s8, 0
.LBB1527_54:                            ;   Parent Loop BB1527_51 Depth=1
                                        ; =>  This Inner Loop Header: Depth=2
	global_load_b32 v3, v[30:31], off scope:SCOPE_DEV
	s_wait_loadcnt 0x0
	v_cmp_lt_u32_e32 vcc_lo, 0x3fffffff, v3
	s_or_b32 s8, vcc_lo, s8
	s_wait_xcnt 0x0
	s_and_not1_b32 exec_lo, exec_lo, s8
	s_cbranch_execnz .LBB1527_54
	s_branch .LBB1527_49
.LBB1527_55:                            ;   in Loop: Header=BB1527_51 Depth=1
                                        ; implicit-def: $sgpr6
	s_and_b32 s8, exec_lo, s7
	s_delay_alu instid0(SALU_CYCLE_1)
	s_or_b32 s5, s8, s5
	s_wait_xcnt 0x0
	s_and_not1_b32 exec_lo, exec_lo, s5
	s_cbranch_execnz .LBB1527_51
.LBB1527_56:
	s_or_b32 exec_lo, exec_lo, s5
	v_dual_add_nc_u32 v3, v28, v22 :: v_dual_mov_b32 v29, 0
	s_delay_alu instid0(VALU_DEP_1)
	v_or_b32_e32 v3, 0x80000000, v3
	global_store_b32 v[26:27], v3, off scope:SCOPE_DEV
	global_load_b64 v[24:25], v32, s[12:13] scale_offset
	s_wait_xcnt 0x1
	v_sub_nc_u64_e32 v[26:27], v[28:29], v[20:21]
	s_wait_loadcnt 0x0
	s_delay_alu instid0(VALU_DEP_1)
	v_add_nc_u64_e32 v[24:25], v[26:27], v[24:25]
	ds_store_b64 v2, v[24:25]
.LBB1527_57:
	s_wait_xcnt 0x0
	s_or_b32 exec_lo, exec_lo, s4
	v_dual_mov_b32 v3, 0 :: v_dual_add_nc_u32 v1, v23, v1
	v_add3_u32 v23, v47, v48, v46
	v_add3_u32 v26, v44, v45, v43
	;; [unrolled: 1-line block ×3, first 2 shown]
	s_delay_alu instid0(VALU_DEP_4)
	v_add_nc_u64_e32 v[24:25], s[18:19], v[2:3]
	v_add3_u32 v3, v50, v51, v49
	v_add3_u32 v28, v39, v54, v38
	v_add3_u32 v29, v37, v53, v36
	v_add3_u32 v30, v35, v52, v34
	v_mov_b32_e32 v31, v32
	s_mov_b64 s[4:5], 0x8000000000000000
	v_add_nc_u64_e32 v[24:25], 0x3000, v[24:25]
	s_mov_b32 s7, -1
	s_mov_b32 s6, 0
	s_branch .LBB1527_59
.LBB1527_58:                            ;   in Loop: Header=BB1527_59 Depth=1
	s_wait_xcnt 0x0
	s_or_b32 exec_lo, exec_lo, s8
	v_add_nc_u64_e32 v[24:25], 0x4000, v[24:25]
	v_add_nc_u32_e32 v31, 0x800, v31
	s_xor_b32 s7, s7, -1
	s_addk_co_i32 s6, 0xf800
	s_and_b32 vcc_lo, exec_lo, s7
	s_mov_b32 s7, 0
	s_wait_storecnt 0x0
	s_barrier_signal -1
	s_barrier_wait -1
	s_cbranch_vccnz .LBB1527_67
.LBB1527_59:                            ; =>This Inner Loop Header: Depth=1
	v_add_min_u32_e64 v34, v1, s6, 0x800
	v_add_min_u32_e64 v35, v30, s6, 0x800
	;; [unrolled: 1-line block ×5, first 2 shown]
	s_delay_alu instid0(VALU_DEP_4) | instskip(NEXT) | instid1(VALU_DEP_3)
	v_dual_lshlrev_b32 v34, 3, v34 :: v_dual_lshlrev_b32 v35, 3, v35
	v_dual_lshlrev_b32 v36, 3, v36 :: v_dual_lshlrev_b32 v37, 3, v37
	s_mov_b32 s8, exec_lo
	ds_store_b64 v34, v[4:5] offset:2048
	ds_store_b64 v35, v[6:7] offset:2048
	;; [unrolled: 1-line block ×3, first 2 shown]
	v_add_min_u32_e64 v34, v26, s6, 0x800
	v_add_min_u32_e64 v35, v23, s6, 0x800
	;; [unrolled: 1-line block ×3, first 2 shown]
	v_lshlrev_b32_e32 v38, 3, v38
	s_delay_alu instid0(VALU_DEP_3) | instskip(NEXT) | instid1(VALU_DEP_3)
	v_dual_lshlrev_b32 v34, 3, v34 :: v_dual_lshlrev_b32 v35, 3, v35
	v_lshlrev_b32_e32 v36, 3, v36
	ds_store_b64 v37, v[10:11] offset:2048
	ds_store_b64 v38, v[12:13] offset:2048
	;; [unrolled: 1-line block ×5, first 2 shown]
	s_wait_storecnt_dscnt 0x0
	s_barrier_signal -1
	s_barrier_wait -1
	v_cmpx_gt_u32_e64 s28, v31
	s_cbranch_execz .LBB1527_61
; %bb.60:                               ;   in Loop: Header=BB1527_59 Depth=1
	ds_load_b64 v[34:35], v2 offset:2048
	s_wait_dscnt 0x0
	v_cmp_ne_u64_e32 vcc_lo, s[4:5], v[34:35]
	v_ashrrev_i32_e32 v38, 31, v35
	s_delay_alu instid0(VALU_DEP_1) | instskip(SKIP_3) | instid1(VALU_DEP_4)
	v_not_b32_e32 v38, v38
	v_cndmask_b32_e32 v37, 0x7fffffff, v35, vcc_lo
	v_cndmask_b32_e32 v36, -1, v34, vcc_lo
	v_cmp_gt_i64_e32 vcc_lo, 0, v[34:35]
	v_xor_b32_e32 v34, v38, v34
	s_delay_alu instid0(VALU_DEP_3) | instskip(SKIP_1) | instid1(VALU_DEP_2)
	v_lshrrev_b64 v[36:37], s20, v[36:37]
	v_cndmask_b32_e64 v39, 0x7fffffff, 0, vcc_lo
	v_and_b32_e32 v36, s30, v36
	s_delay_alu instid0(VALU_DEP_1)
	v_dual_lshlrev_b32 v36, 3, v36 :: v_dual_bitop2_b32 v35, v39, v35 bitop3:0x14
	ds_load_b64 v[36:37], v36
	s_wait_dscnt 0x0
	v_lshl_add_u64 v[36:37], v[36:37], 3, v[24:25]
	global_store_b64 v[36:37], v[34:35], off offset:-12288
.LBB1527_61:                            ;   in Loop: Header=BB1527_59 Depth=1
	s_wait_xcnt 0x0
	s_or_b32 exec_lo, exec_lo, s8
	v_add_nc_u32_e32 v34, 0x200, v31
	s_mov_b32 s8, exec_lo
	s_delay_alu instid0(VALU_DEP_1)
	v_cmpx_gt_u32_e64 s28, v34
	s_cbranch_execz .LBB1527_63
; %bb.62:                               ;   in Loop: Header=BB1527_59 Depth=1
	ds_load_b64 v[34:35], v2 offset:6144
	s_wait_dscnt 0x0
	v_cmp_ne_u64_e32 vcc_lo, s[4:5], v[34:35]
	v_ashrrev_i32_e32 v38, 31, v35
	s_delay_alu instid0(VALU_DEP_1) | instskip(SKIP_3) | instid1(VALU_DEP_4)
	v_not_b32_e32 v38, v38
	v_cndmask_b32_e32 v37, 0x7fffffff, v35, vcc_lo
	v_cndmask_b32_e32 v36, -1, v34, vcc_lo
	v_cmp_gt_i64_e32 vcc_lo, 0, v[34:35]
	v_xor_b32_e32 v34, v38, v34
	s_delay_alu instid0(VALU_DEP_3) | instskip(SKIP_1) | instid1(VALU_DEP_2)
	v_lshrrev_b64 v[36:37], s20, v[36:37]
	v_cndmask_b32_e64 v39, 0x7fffffff, 0, vcc_lo
	v_and_b32_e32 v36, s30, v36
	s_delay_alu instid0(VALU_DEP_1)
	v_dual_lshlrev_b32 v36, 3, v36 :: v_dual_bitop2_b32 v35, v39, v35 bitop3:0x14
	ds_load_b64 v[36:37], v36
	s_wait_dscnt 0x0
	v_lshl_add_u64 v[36:37], v[36:37], 3, v[24:25]
	global_store_b64 v[36:37], v[34:35], off offset:-8192
.LBB1527_63:                            ;   in Loop: Header=BB1527_59 Depth=1
	s_wait_xcnt 0x0
	s_or_b32 exec_lo, exec_lo, s8
	v_add_nc_u32_e32 v34, 0x400, v31
	s_mov_b32 s8, exec_lo
	s_delay_alu instid0(VALU_DEP_1)
	;; [unrolled: 29-line block ×3, first 2 shown]
	v_cmpx_gt_u32_e64 s28, v34
	s_cbranch_execz .LBB1527_58
; %bb.66:                               ;   in Loop: Header=BB1527_59 Depth=1
	ds_load_b64 v[34:35], v2 offset:14336
	s_wait_dscnt 0x0
	v_cmp_ne_u64_e32 vcc_lo, s[4:5], v[34:35]
	v_ashrrev_i32_e32 v38, 31, v35
	s_delay_alu instid0(VALU_DEP_1) | instskip(SKIP_3) | instid1(VALU_DEP_4)
	v_not_b32_e32 v38, v38
	v_cndmask_b32_e32 v37, 0x7fffffff, v35, vcc_lo
	v_cndmask_b32_e32 v36, -1, v34, vcc_lo
	v_cmp_gt_i64_e32 vcc_lo, 0, v[34:35]
	v_xor_b32_e32 v34, v38, v34
	s_delay_alu instid0(VALU_DEP_3) | instskip(SKIP_1) | instid1(VALU_DEP_2)
	v_lshrrev_b64 v[36:37], s20, v[36:37]
	v_cndmask_b32_e64 v39, 0x7fffffff, 0, vcc_lo
	v_and_b32_e32 v36, s30, v36
	s_delay_alu instid0(VALU_DEP_1)
	v_dual_lshlrev_b32 v36, 3, v36 :: v_dual_bitop2_b32 v35, v39, v35 bitop3:0x14
	ds_load_b64 v[36:37], v36
	s_wait_dscnt 0x0
	v_lshl_add_u64 v[36:37], v[36:37], 3, v[24:25]
	global_store_b64 v[36:37], v[34:35], off
	s_branch .LBB1527_58
.LBB1527_67:
	s_add_co_i32 s29, s29, -1
	s_delay_alu instid0(SALU_CYCLE_1) | instskip(SKIP_2) | instid1(SALU_CYCLE_1)
	s_cmp_eq_u32 s26, s29
	s_cselect_b32 s4, -1, 0
	s_xor_b32 s3, s3, -1
	s_and_b32 s4, s3, s4
	s_delay_alu instid0(SALU_CYCLE_1)
	s_and_saveexec_b32 s3, s4
	s_cbranch_execz .LBB1527_69
; %bb.68:
	ds_load_b64 v[4:5], v2
	v_mov_b32_e32 v23, 0
	s_delay_alu instid0(VALU_DEP_1) | instskip(SKIP_1) | instid1(VALU_DEP_1)
	v_add_nc_u64_e32 v[6:7], v[20:21], v[22:23]
	s_wait_dscnt 0x0
	v_add_nc_u64_e32 v[4:5], v[6:7], v[4:5]
	global_store_b64 v32, v[4:5], s[14:15] scale_offset
.LBB1527_69:
	s_wait_xcnt 0x0
	s_or_b32 exec_lo, exec_lo, s3
	s_mov_b32 s4, 0
.LBB1527_70:
	s_delay_alu instid0(SALU_CYCLE_1)
	s_and_b32 vcc_lo, exec_lo, s4
	s_cbranch_vccz .LBB1527_111
; %bb.71:
	s_lshl_b32 s4, s26, 12
	s_mov_b32 s5, 0
	v_dual_mov_b32 v21, 0 :: v_dual_lshlrev_b32 v20, 3, v33
	s_lshl_b64 s[6:7], s[4:5], 3
	v_lshlrev_b32_e32 v1, 6, v32
	s_add_nc_u64 s[6:7], s[16:17], s[6:7]
	s_bfe_u32 s3, ttmp6, 0x4000c
	v_add_nc_u64_e32 v[4:5], s[6:7], v[20:21]
	s_add_co_i32 s3, s3, 1
	v_and_b32_e32 v20, 0xf800, v1
	s_and_b32 s4, ttmp6, 15
	s_mul_i32 s3, ttmp9, s3
	s_mov_b64 s[8:9], 0x8000000000000000
	s_add_co_i32 s4, s4, s3
	v_add_nc_u64_e32 v[4:5], v[4:5], v[20:21]
	s_cmp_eq_u32 s27, 0
	v_bfe_u32 v20, v0, 20, 10
	s_cselect_b32 s3, ttmp9, s4
	s_clause 0x7
	global_load_b64 v[22:23], v[4:5], off
	global_load_b64 v[18:19], v[4:5], off offset:256
	global_load_b64 v[6:7], v[4:5], off offset:512
	;; [unrolled: 1-line block ×7, first 2 shown]
	s_clause 0x1
	s_load_b32 s16, s[0:1], 0x58
	s_load_u16 s6, s[0:1], 0x66
	s_wait_kmcnt 0x0
	s_cmp_lt_u32 s3, s16
	s_cselect_b32 s4, 12, 18
	s_lshl_b32 s17, -1, s21
	s_add_nc_u64 s[0:1], s[24:25], s[4:5]
	s_load_u16 s0, s[0:1], 0x0
	s_wait_loadcnt 0x7
	v_cmp_gt_i64_e32 vcc_lo, 0, v[22:23]
	v_ashrrev_i32_e32 v1, 31, v23
	s_delay_alu instid0(VALU_DEP_1) | instskip(SKIP_1) | instid1(VALU_DEP_2)
	v_not_b32_e32 v1, v1
	v_cndmask_b32_e64 v3, 0x7fffffff, 0, vcc_lo
	v_xor_b32_e32 v4, v1, v22
	s_delay_alu instid0(VALU_DEP_2) | instskip(SKIP_1) | instid1(VALU_DEP_2)
	v_xor_b32_e32 v5, v3, v23
	v_bfe_u32 v3, v0, 10, 10
	v_cmp_ne_u64_e32 vcc_lo, s[8:9], v[4:5]
	v_cndmask_b32_e32 v23, 0x7fffffff, v5, vcc_lo
	v_cndmask_b32_e32 v22, -1, v4, vcc_lo
	s_delay_alu instid0(VALU_DEP_1) | instskip(SKIP_1) | instid1(VALU_DEP_2)
	v_lshrrev_b64 v[0:1], s20, v[22:23]
	v_mad_u32_u24 v1, v20, s6, v3
	v_bitop3_b32 v3, v0, 1, s17 bitop3:0x40
	v_bitop3_b32 v22, v0, s17, v0 bitop3:0x30
	s_wait_kmcnt 0x0
	s_delay_alu instid0(VALU_DEP_3) | instskip(SKIP_2) | instid1(VALU_DEP_1)
	v_mad_u32 v0, v1, s0, v32
	s_not_b32 s17, s17
	v_add_co_u32 v1, s0, v3, -1
	v_cndmask_b32_e64 v3, 0, 1, s0
	v_dual_lshlrev_b32 v20, 30, v22 :: v_dual_lshlrev_b32 v23, 29, v22
	v_dual_lshlrev_b32 v25, 27, v22 :: v_dual_lshlrev_b32 v24, 28, v22
	s_delay_alu instid0(VALU_DEP_3) | instskip(NEXT) | instid1(VALU_DEP_3)
	v_cmp_ne_u32_e32 vcc_lo, 0, v3
	v_not_b32_e32 v3, v20
	v_dual_lshlrev_b32 v26, 26, v22 :: v_dual_lshlrev_b32 v27, 25, v22
	v_lshlrev_b32_e32 v28, 24, v22
	v_cmp_gt_i32_e64 s0, 0, v20
	v_cmp_gt_i32_e64 s1, 0, v23
	v_not_b32_e32 v20, v23
	v_not_b32_e32 v23, v24
	v_ashrrev_i32_e32 v3, 31, v3
	v_cmp_gt_i32_e64 s3, 0, v24
	v_cmp_gt_i32_e64 s4, 0, v25
	v_not_b32_e32 v24, v25
	v_not_b32_e32 v25, v26
	v_dual_ashrrev_i32 v20, 31, v20 :: v_dual_bitop2_b32 v1, vcc_lo, v1 bitop3:0x14
	s_delay_alu instid0(VALU_DEP_3) | instskip(NEXT) | instid1(VALU_DEP_3)
	v_dual_ashrrev_i32 v23, 31, v23 :: v_dual_ashrrev_i32 v24, 31, v24
	v_dual_ashrrev_i32 v25, 31, v25 :: v_dual_bitop2_b32 v3, s0, v3 bitop3:0x14
	v_cmp_gt_i32_e64 s5, 0, v26
	v_cmp_gt_i32_e64 s6, 0, v27
	v_not_b32_e32 v26, v27
	v_not_b32_e32 v27, v28
	v_xor_b32_e32 v20, s1, v20
	v_dual_lshrrev_b32 v0, 5, v0 :: v_dual_bitop2_b32 v23, s3, v23 bitop3:0x14
	v_bitop3_b32 v1, v1, v3, exec_lo bitop3:0x80
	v_cmp_gt_i32_e64 s7, 0, v28
	v_dual_ashrrev_i32 v3, 31, v26 :: v_dual_ashrrev_i32 v26, 31, v27
	v_xor_b32_e32 v24, s4, v24
	v_xor_b32_e32 v25, s5, v25
	v_bitop3_b32 v1, v1, v23, v20 bitop3:0x80
	s_delay_alu instid0(VALU_DEP_4) | instskip(SKIP_2) | instid1(VALU_DEP_4)
	v_xor_b32_e32 v3, s6, v3
	v_dual_lshlrev_b32 v20, 2, v0 :: v_dual_bitop2_b32 v23, s7, v26 bitop3:0x14
	v_mul_u32_u24_e32 v26, 36, v32
	v_bitop3_b32 v1, v1, v25, v24 bitop3:0x80
	ds_store_2addr_b32 v26, v21, v21 offset0:16 offset1:17
	ds_store_2addr_b32 v26, v21, v21 offset0:18 offset1:19
	;; [unrolled: 1-line block ×4, first 2 shown]
	v_bitop3_b32 v0, v1, v23, v3 bitop3:0x80
	v_mad_u32 v27, 0x44, v22, v20
	ds_store_b32 v26, v21 offset:96
	s_wait_storecnt 0x0
	s_wait_loadcnt_dscnt 0x0
	s_barrier_signal -1
	v_mbcnt_lo_u32_b32 v3, v0, 0
	v_cmp_ne_u32_e64 s0, 0, v0
	s_barrier_wait -1
	s_delay_alu instid0(VALU_DEP_2) | instskip(SKIP_1) | instid1(SALU_CYCLE_1)
	v_cmp_eq_u32_e32 vcc_lo, 0, v3
	; wave barrier
	s_and_b32 s1, s0, vcc_lo
	s_and_saveexec_b32 s0, s1
; %bb.72:
	v_bcnt_u32_b32 v0, v0, 0
	ds_store_b32 v27, v0 offset:64
; %bb.73:
	s_or_b32 exec_lo, exec_lo, s0
	v_cmp_gt_i64_e32 vcc_lo, 0, v[18:19]
	; wave barrier
	v_cndmask_b32_e64 v1, 0x7fffffff, 0, vcc_lo
	s_delay_alu instid0(VALU_DEP_1) | instskip(NEXT) | instid1(VALU_DEP_1)
	v_dual_ashrrev_i32 v0, 31, v19 :: v_dual_bitop2_b32 v1, v1, v19 bitop3:0x14
	v_not_b32_e32 v0, v0
	s_delay_alu instid0(VALU_DEP_1) | instskip(NEXT) | instid1(VALU_DEP_1)
	v_xor_b32_e32 v0, v0, v18
	v_cmp_ne_u64_e32 vcc_lo, s[8:9], v[0:1]
	v_cndmask_b32_e32 v19, 0x7fffffff, v1, vcc_lo
	v_cndmask_b32_e32 v18, -1, v0, vcc_lo
	s_delay_alu instid0(VALU_DEP_1) | instskip(NEXT) | instid1(VALU_DEP_1)
	v_lshrrev_b64 v[18:19], s20, v[18:19]
	v_and_b32_e32 v19, s17, v18
	v_bitop3_b32 v18, v18, 1, s17 bitop3:0x80
	s_delay_alu instid0(VALU_DEP_2) | instskip(NEXT) | instid1(VALU_DEP_2)
	v_lshlrev_b32_e32 v22, 30, v19
	v_add_co_u32 v18, s0, v18, -1
	s_delay_alu instid0(VALU_DEP_1) | instskip(NEXT) | instid1(VALU_DEP_3)
	v_cndmask_b32_e64 v21, 0, 1, s0
	v_cmp_gt_i32_e64 s0, 0, v22
	s_delay_alu instid0(VALU_DEP_2) | instskip(SKIP_1) | instid1(VALU_DEP_1)
	v_cmp_ne_u32_e32 vcc_lo, 0, v21
	v_not_b32_e32 v21, v22
	v_dual_ashrrev_i32 v21, 31, v21 :: v_dual_bitop2_b32 v18, vcc_lo, v18 bitop3:0x14
	v_dual_lshlrev_b32 v23, 29, v19 :: v_dual_lshlrev_b32 v24, 28, v19
	v_dual_lshlrev_b32 v25, 27, v19 :: v_dual_lshlrev_b32 v29, 26, v19
	v_lshlrev_b32_e32 v30, 25, v19
	s_delay_alu instid0(VALU_DEP_3)
	v_cmp_gt_i32_e64 s1, 0, v23
	v_not_b32_e32 v22, v23
	v_not_b32_e32 v23, v24
	v_mad_u32 v28, 0x44, v19, v20
	v_lshlrev_b32_e32 v19, 24, v19
	v_cmp_gt_i32_e64 s3, 0, v24
	v_cmp_gt_i32_e64 s4, 0, v25
	v_not_b32_e32 v24, v25
	v_not_b32_e32 v25, v29
	v_dual_ashrrev_i32 v22, 31, v22 :: v_dual_ashrrev_i32 v23, 31, v23
	v_xor_b32_e32 v21, s0, v21
	v_cmp_gt_i32_e64 s5, 0, v29
	v_not_b32_e32 v29, v30
	v_cmp_gt_i32_e64 s7, 0, v19
	v_not_b32_e32 v19, v19
	v_dual_ashrrev_i32 v24, 31, v24 :: v_dual_ashrrev_i32 v25, 31, v25
	v_xor_b32_e32 v22, s1, v22
	v_xor_b32_e32 v23, s3, v23
	v_bitop3_b32 v18, v18, v21, exec_lo bitop3:0x80
	v_cmp_gt_i32_e64 s6, 0, v30
	v_dual_ashrrev_i32 v21, 31, v29 :: v_dual_ashrrev_i32 v19, 31, v19
	v_xor_b32_e32 v24, s4, v24
	v_xor_b32_e32 v25, s5, v25
	v_bitop3_b32 v18, v18, v23, v22 bitop3:0x80
	s_delay_alu instid0(VALU_DEP_4) | instskip(SKIP_3) | instid1(VALU_DEP_1)
	v_xor_b32_e32 v21, s6, v21
	v_xor_b32_e32 v19, s7, v19
	ds_load_b32 v30, v28 offset:64
	v_bitop3_b32 v18, v18, v25, v24 bitop3:0x80
	; wave barrier
	v_bitop3_b32 v18, v18, v19, v21 bitop3:0x80
	s_delay_alu instid0(VALU_DEP_1) | instskip(SKIP_1) | instid1(VALU_DEP_2)
	v_mbcnt_lo_u32_b32 v31, v18, 0
	v_cmp_ne_u32_e64 s0, 0, v18
	v_cmp_eq_u32_e32 vcc_lo, 0, v31
	s_and_b32 s1, s0, vcc_lo
	s_delay_alu instid0(SALU_CYCLE_1)
	s_and_saveexec_b32 s0, s1
	s_cbranch_execz .LBB1527_75
; %bb.74:
	s_wait_dscnt 0x0
	v_bcnt_u32_b32 v18, v18, v30
	ds_store_b32 v28, v18 offset:64
.LBB1527_75:
	s_or_b32 exec_lo, exec_lo, s0
	v_cmp_gt_i64_e32 vcc_lo, 0, v[6:7]
	; wave barrier
	v_cndmask_b32_e64 v19, 0x7fffffff, 0, vcc_lo
	s_delay_alu instid0(VALU_DEP_1) | instskip(NEXT) | instid1(VALU_DEP_1)
	v_dual_ashrrev_i32 v18, 31, v7 :: v_dual_bitop2_b32 v7, v19, v7 bitop3:0x14
	v_not_b32_e32 v18, v18
	s_delay_alu instid0(VALU_DEP_1) | instskip(NEXT) | instid1(VALU_DEP_1)
	v_xor_b32_e32 v6, v18, v6
	v_cmp_ne_u64_e32 vcc_lo, s[8:9], v[6:7]
	v_cndmask_b32_e32 v19, 0x7fffffff, v7, vcc_lo
	v_cndmask_b32_e32 v18, -1, v6, vcc_lo
	s_delay_alu instid0(VALU_DEP_1) | instskip(NEXT) | instid1(VALU_DEP_1)
	v_lshrrev_b64 v[18:19], s20, v[18:19]
	v_and_b32_e32 v19, s17, v18
	v_bitop3_b32 v18, v18, 1, s17 bitop3:0x80
	s_delay_alu instid0(VALU_DEP_2) | instskip(NEXT) | instid1(VALU_DEP_2)
	v_lshlrev_b32_e32 v22, 30, v19
	v_add_co_u32 v18, s0, v18, -1
	s_delay_alu instid0(VALU_DEP_1) | instskip(NEXT) | instid1(VALU_DEP_3)
	v_cndmask_b32_e64 v21, 0, 1, s0
	v_cmp_gt_i32_e64 s0, 0, v22
	s_delay_alu instid0(VALU_DEP_2) | instskip(SKIP_1) | instid1(VALU_DEP_1)
	v_cmp_ne_u32_e32 vcc_lo, 0, v21
	v_not_b32_e32 v21, v22
	v_dual_ashrrev_i32 v21, 31, v21 :: v_dual_bitop2_b32 v18, vcc_lo, v18 bitop3:0x14
	v_dual_lshlrev_b32 v23, 29, v19 :: v_dual_lshlrev_b32 v24, 28, v19
	v_dual_lshlrev_b32 v25, 27, v19 :: v_dual_lshlrev_b32 v34, 26, v19
	v_lshlrev_b32_e32 v35, 25, v19
	s_delay_alu instid0(VALU_DEP_3)
	v_cmp_gt_i32_e64 s1, 0, v23
	v_not_b32_e32 v22, v23
	v_not_b32_e32 v23, v24
	v_mad_u32 v29, 0x44, v19, v20
	v_lshlrev_b32_e32 v19, 24, v19
	v_cmp_gt_i32_e64 s3, 0, v24
	v_cmp_gt_i32_e64 s4, 0, v25
	v_not_b32_e32 v24, v25
	v_not_b32_e32 v25, v34
	v_dual_ashrrev_i32 v22, 31, v22 :: v_dual_ashrrev_i32 v23, 31, v23
	v_xor_b32_e32 v21, s0, v21
	v_cmp_gt_i32_e64 s5, 0, v34
	v_not_b32_e32 v34, v35
	v_cmp_gt_i32_e64 s7, 0, v19
	v_not_b32_e32 v19, v19
	v_dual_ashrrev_i32 v24, 31, v24 :: v_dual_ashrrev_i32 v25, 31, v25
	v_xor_b32_e32 v22, s1, v22
	v_xor_b32_e32 v23, s3, v23
	v_bitop3_b32 v18, v18, v21, exec_lo bitop3:0x80
	v_cmp_gt_i32_e64 s6, 0, v35
	v_dual_ashrrev_i32 v21, 31, v34 :: v_dual_ashrrev_i32 v19, 31, v19
	v_xor_b32_e32 v24, s4, v24
	v_xor_b32_e32 v25, s5, v25
	v_bitop3_b32 v18, v18, v23, v22 bitop3:0x80
	s_delay_alu instid0(VALU_DEP_4) | instskip(SKIP_3) | instid1(VALU_DEP_1)
	v_xor_b32_e32 v21, s6, v21
	v_xor_b32_e32 v19, s7, v19
	ds_load_b32 v34, v29 offset:64
	v_bitop3_b32 v18, v18, v25, v24 bitop3:0x80
	; wave barrier
	v_bitop3_b32 v18, v18, v19, v21 bitop3:0x80
	s_delay_alu instid0(VALU_DEP_1) | instskip(SKIP_1) | instid1(VALU_DEP_2)
	v_mbcnt_lo_u32_b32 v35, v18, 0
	v_cmp_ne_u32_e64 s0, 0, v18
	v_cmp_eq_u32_e32 vcc_lo, 0, v35
	s_and_b32 s1, s0, vcc_lo
	s_delay_alu instid0(SALU_CYCLE_1)
	s_and_saveexec_b32 s0, s1
	s_cbranch_execz .LBB1527_77
; %bb.76:
	s_wait_dscnt 0x0
	v_bcnt_u32_b32 v18, v18, v34
	ds_store_b32 v29, v18 offset:64
.LBB1527_77:
	s_or_b32 exec_lo, exec_lo, s0
	v_cmp_gt_i64_e32 vcc_lo, 0, v[8:9]
	; wave barrier
	v_cndmask_b32_e64 v19, 0x7fffffff, 0, vcc_lo
	s_delay_alu instid0(VALU_DEP_1) | instskip(NEXT) | instid1(VALU_DEP_1)
	v_dual_ashrrev_i32 v18, 31, v9 :: v_dual_bitop2_b32 v9, v19, v9 bitop3:0x14
	v_not_b32_e32 v18, v18
	s_delay_alu instid0(VALU_DEP_1) | instskip(NEXT) | instid1(VALU_DEP_1)
	v_xor_b32_e32 v8, v18, v8
	v_cmp_ne_u64_e32 vcc_lo, s[8:9], v[8:9]
	v_cndmask_b32_e32 v19, 0x7fffffff, v9, vcc_lo
	v_cndmask_b32_e32 v18, -1, v8, vcc_lo
	s_delay_alu instid0(VALU_DEP_1) | instskip(NEXT) | instid1(VALU_DEP_1)
	v_lshrrev_b64 v[18:19], s20, v[18:19]
	v_and_b32_e32 v19, s17, v18
	v_bitop3_b32 v18, v18, 1, s17 bitop3:0x80
	s_delay_alu instid0(VALU_DEP_2) | instskip(NEXT) | instid1(VALU_DEP_2)
	v_lshlrev_b32_e32 v22, 30, v19
	v_add_co_u32 v18, s0, v18, -1
	s_delay_alu instid0(VALU_DEP_1) | instskip(NEXT) | instid1(VALU_DEP_3)
	v_cndmask_b32_e64 v21, 0, 1, s0
	v_cmp_gt_i32_e64 s0, 0, v22
	s_delay_alu instid0(VALU_DEP_2) | instskip(SKIP_1) | instid1(VALU_DEP_1)
	v_cmp_ne_u32_e32 vcc_lo, 0, v21
	v_not_b32_e32 v21, v22
	v_dual_ashrrev_i32 v21, 31, v21 :: v_dual_bitop2_b32 v18, vcc_lo, v18 bitop3:0x14
	v_dual_lshlrev_b32 v23, 29, v19 :: v_dual_lshlrev_b32 v24, 28, v19
	v_dual_lshlrev_b32 v25, 27, v19 :: v_dual_lshlrev_b32 v36, 26, v19
	v_lshlrev_b32_e32 v37, 25, v19
	s_delay_alu instid0(VALU_DEP_3)
	v_cmp_gt_i32_e64 s1, 0, v23
	v_not_b32_e32 v22, v23
	v_not_b32_e32 v23, v24
	v_mad_u32 v38, 0x44, v19, v20
	v_lshlrev_b32_e32 v19, 24, v19
	v_cmp_gt_i32_e64 s3, 0, v24
	v_cmp_gt_i32_e64 s4, 0, v25
	v_not_b32_e32 v24, v25
	v_not_b32_e32 v25, v36
	v_dual_ashrrev_i32 v22, 31, v22 :: v_dual_ashrrev_i32 v23, 31, v23
	v_xor_b32_e32 v21, s0, v21
	v_cmp_gt_i32_e64 s5, 0, v36
	v_not_b32_e32 v36, v37
	v_cmp_gt_i32_e64 s7, 0, v19
	v_not_b32_e32 v19, v19
	v_dual_ashrrev_i32 v24, 31, v24 :: v_dual_ashrrev_i32 v25, 31, v25
	v_xor_b32_e32 v22, s1, v22
	v_xor_b32_e32 v23, s3, v23
	v_bitop3_b32 v18, v18, v21, exec_lo bitop3:0x80
	v_cmp_gt_i32_e64 s6, 0, v37
	v_dual_ashrrev_i32 v21, 31, v36 :: v_dual_ashrrev_i32 v19, 31, v19
	v_xor_b32_e32 v24, s4, v24
	v_xor_b32_e32 v25, s5, v25
	v_bitop3_b32 v18, v18, v23, v22 bitop3:0x80
	s_delay_alu instid0(VALU_DEP_4) | instskip(SKIP_3) | instid1(VALU_DEP_1)
	v_xor_b32_e32 v21, s6, v21
	v_xor_b32_e32 v19, s7, v19
	ds_load_b32 v36, v38 offset:64
	v_bitop3_b32 v18, v18, v25, v24 bitop3:0x80
	; wave barrier
	v_bitop3_b32 v18, v18, v19, v21 bitop3:0x80
	s_delay_alu instid0(VALU_DEP_1) | instskip(SKIP_1) | instid1(VALU_DEP_2)
	v_mbcnt_lo_u32_b32 v37, v18, 0
	v_cmp_ne_u32_e64 s0, 0, v18
	v_cmp_eq_u32_e32 vcc_lo, 0, v37
	s_and_b32 s1, s0, vcc_lo
	s_delay_alu instid0(SALU_CYCLE_1)
	s_and_saveexec_b32 s0, s1
	s_cbranch_execz .LBB1527_79
; %bb.78:
	s_wait_dscnt 0x0
	v_bcnt_u32_b32 v18, v18, v36
	ds_store_b32 v38, v18 offset:64
.LBB1527_79:
	s_or_b32 exec_lo, exec_lo, s0
	v_cmp_gt_i64_e32 vcc_lo, 0, v[10:11]
	; wave barrier
	v_cndmask_b32_e64 v19, 0x7fffffff, 0, vcc_lo
	s_delay_alu instid0(VALU_DEP_1) | instskip(NEXT) | instid1(VALU_DEP_1)
	v_dual_ashrrev_i32 v18, 31, v11 :: v_dual_bitop2_b32 v11, v19, v11 bitop3:0x14
	v_not_b32_e32 v18, v18
	s_delay_alu instid0(VALU_DEP_1) | instskip(NEXT) | instid1(VALU_DEP_1)
	v_xor_b32_e32 v10, v18, v10
	v_cmp_ne_u64_e32 vcc_lo, s[8:9], v[10:11]
	v_cndmask_b32_e32 v19, 0x7fffffff, v11, vcc_lo
	v_cndmask_b32_e32 v18, -1, v10, vcc_lo
	s_delay_alu instid0(VALU_DEP_1) | instskip(NEXT) | instid1(VALU_DEP_1)
	v_lshrrev_b64 v[18:19], s20, v[18:19]
	v_and_b32_e32 v19, s17, v18
	v_bitop3_b32 v18, v18, 1, s17 bitop3:0x80
	s_delay_alu instid0(VALU_DEP_2) | instskip(NEXT) | instid1(VALU_DEP_2)
	v_lshlrev_b32_e32 v22, 30, v19
	v_add_co_u32 v18, s0, v18, -1
	s_delay_alu instid0(VALU_DEP_1) | instskip(NEXT) | instid1(VALU_DEP_3)
	v_cndmask_b32_e64 v21, 0, 1, s0
	v_cmp_gt_i32_e64 s0, 0, v22
	s_delay_alu instid0(VALU_DEP_2) | instskip(SKIP_1) | instid1(VALU_DEP_1)
	v_cmp_ne_u32_e32 vcc_lo, 0, v21
	v_not_b32_e32 v21, v22
	v_dual_ashrrev_i32 v21, 31, v21 :: v_dual_bitop2_b32 v18, vcc_lo, v18 bitop3:0x14
	v_dual_lshlrev_b32 v23, 29, v19 :: v_dual_lshlrev_b32 v24, 28, v19
	v_dual_lshlrev_b32 v25, 27, v19 :: v_dual_lshlrev_b32 v39, 26, v19
	v_lshlrev_b32_e32 v40, 25, v19
	s_delay_alu instid0(VALU_DEP_3)
	v_cmp_gt_i32_e64 s1, 0, v23
	v_not_b32_e32 v22, v23
	v_not_b32_e32 v23, v24
	v_mad_u32 v41, 0x44, v19, v20
	v_lshlrev_b32_e32 v19, 24, v19
	v_cmp_gt_i32_e64 s3, 0, v24
	v_cmp_gt_i32_e64 s4, 0, v25
	v_not_b32_e32 v24, v25
	v_not_b32_e32 v25, v39
	v_dual_ashrrev_i32 v22, 31, v22 :: v_dual_ashrrev_i32 v23, 31, v23
	v_xor_b32_e32 v21, s0, v21
	v_cmp_gt_i32_e64 s5, 0, v39
	v_not_b32_e32 v39, v40
	v_cmp_gt_i32_e64 s7, 0, v19
	v_not_b32_e32 v19, v19
	v_dual_ashrrev_i32 v24, 31, v24 :: v_dual_ashrrev_i32 v25, 31, v25
	v_xor_b32_e32 v22, s1, v22
	v_xor_b32_e32 v23, s3, v23
	v_bitop3_b32 v18, v18, v21, exec_lo bitop3:0x80
	v_cmp_gt_i32_e64 s6, 0, v40
	v_ashrrev_i32_e32 v21, 31, v39
	v_dual_ashrrev_i32 v19, 31, v19 :: v_dual_bitop2_b32 v24, s4, v24 bitop3:0x14
	v_xor_b32_e32 v25, s5, v25
	v_bitop3_b32 v18, v18, v23, v22 bitop3:0x80
	s_delay_alu instid0(VALU_DEP_4) | instskip(NEXT) | instid1(VALU_DEP_4)
	v_xor_b32_e32 v21, s6, v21
	v_xor_b32_e32 v19, s7, v19
	ds_load_b32 v39, v41 offset:64
	v_bitop3_b32 v18, v18, v25, v24 bitop3:0x80
	; wave barrier
	s_delay_alu instid0(VALU_DEP_1) | instskip(NEXT) | instid1(VALU_DEP_1)
	v_bitop3_b32 v18, v18, v19, v21 bitop3:0x80
	v_mbcnt_lo_u32_b32 v40, v18, 0
	v_cmp_ne_u32_e64 s0, 0, v18
	s_delay_alu instid0(VALU_DEP_2) | instskip(SKIP_1) | instid1(SALU_CYCLE_1)
	v_cmp_eq_u32_e32 vcc_lo, 0, v40
	s_and_b32 s1, s0, vcc_lo
	s_and_saveexec_b32 s0, s1
	s_cbranch_execz .LBB1527_81
; %bb.80:
	s_wait_dscnt 0x0
	v_bcnt_u32_b32 v18, v18, v39
	ds_store_b32 v41, v18 offset:64
.LBB1527_81:
	s_or_b32 exec_lo, exec_lo, s0
	v_cmp_gt_i64_e32 vcc_lo, 0, v[14:15]
	; wave barrier
	v_cndmask_b32_e64 v19, 0x7fffffff, 0, vcc_lo
	s_delay_alu instid0(VALU_DEP_1) | instskip(NEXT) | instid1(VALU_DEP_1)
	v_dual_ashrrev_i32 v18, 31, v15 :: v_dual_bitop2_b32 v15, v19, v15 bitop3:0x14
	v_not_b32_e32 v18, v18
	s_delay_alu instid0(VALU_DEP_1) | instskip(NEXT) | instid1(VALU_DEP_1)
	v_xor_b32_e32 v14, v18, v14
	v_cmp_ne_u64_e32 vcc_lo, s[8:9], v[14:15]
	v_cndmask_b32_e32 v19, 0x7fffffff, v15, vcc_lo
	v_cndmask_b32_e32 v18, -1, v14, vcc_lo
	s_delay_alu instid0(VALU_DEP_1) | instskip(NEXT) | instid1(VALU_DEP_1)
	v_lshrrev_b64 v[18:19], s20, v[18:19]
	v_and_b32_e32 v19, s17, v18
	v_bitop3_b32 v18, v18, 1, s17 bitop3:0x80
	s_delay_alu instid0(VALU_DEP_2) | instskip(NEXT) | instid1(VALU_DEP_2)
	v_lshlrev_b32_e32 v22, 30, v19
	v_add_co_u32 v18, s0, v18, -1
	s_delay_alu instid0(VALU_DEP_1) | instskip(NEXT) | instid1(VALU_DEP_3)
	v_cndmask_b32_e64 v21, 0, 1, s0
	v_cmp_gt_i32_e64 s0, 0, v22
	s_delay_alu instid0(VALU_DEP_2) | instskip(SKIP_1) | instid1(VALU_DEP_1)
	v_cmp_ne_u32_e32 vcc_lo, 0, v21
	v_not_b32_e32 v21, v22
	v_dual_ashrrev_i32 v21, 31, v21 :: v_dual_bitop2_b32 v18, vcc_lo, v18 bitop3:0x14
	v_dual_lshlrev_b32 v23, 29, v19 :: v_dual_lshlrev_b32 v24, 28, v19
	v_dual_lshlrev_b32 v25, 27, v19 :: v_dual_lshlrev_b32 v42, 26, v19
	v_lshlrev_b32_e32 v43, 25, v19
	s_delay_alu instid0(VALU_DEP_3)
	v_cmp_gt_i32_e64 s1, 0, v23
	v_not_b32_e32 v22, v23
	v_not_b32_e32 v23, v24
	v_mad_u32 v44, 0x44, v19, v20
	v_lshlrev_b32_e32 v19, 24, v19
	v_cmp_gt_i32_e64 s3, 0, v24
	v_cmp_gt_i32_e64 s4, 0, v25
	v_not_b32_e32 v24, v25
	v_not_b32_e32 v25, v42
	v_dual_ashrrev_i32 v22, 31, v22 :: v_dual_ashrrev_i32 v23, 31, v23
	v_xor_b32_e32 v21, s0, v21
	v_cmp_gt_i32_e64 s5, 0, v42
	v_not_b32_e32 v42, v43
	v_cmp_gt_i32_e64 s7, 0, v19
	v_not_b32_e32 v19, v19
	v_dual_ashrrev_i32 v24, 31, v24 :: v_dual_ashrrev_i32 v25, 31, v25
	v_xor_b32_e32 v22, s1, v22
	v_xor_b32_e32 v23, s3, v23
	v_bitop3_b32 v18, v18, v21, exec_lo bitop3:0x80
	v_cmp_gt_i32_e64 s6, 0, v43
	v_dual_ashrrev_i32 v21, 31, v42 :: v_dual_ashrrev_i32 v19, 31, v19
	v_xor_b32_e32 v24, s4, v24
	v_xor_b32_e32 v25, s5, v25
	v_bitop3_b32 v18, v18, v23, v22 bitop3:0x80
	s_delay_alu instid0(VALU_DEP_4) | instskip(SKIP_3) | instid1(VALU_DEP_1)
	v_xor_b32_e32 v21, s6, v21
	v_xor_b32_e32 v19, s7, v19
	ds_load_b32 v42, v44 offset:64
	v_bitop3_b32 v18, v18, v25, v24 bitop3:0x80
	; wave barrier
	v_bitop3_b32 v18, v18, v19, v21 bitop3:0x80
	s_delay_alu instid0(VALU_DEP_1) | instskip(SKIP_1) | instid1(VALU_DEP_2)
	v_mbcnt_lo_u32_b32 v43, v18, 0
	v_cmp_ne_u32_e64 s0, 0, v18
	v_cmp_eq_u32_e32 vcc_lo, 0, v43
	s_and_b32 s1, s0, vcc_lo
	s_delay_alu instid0(SALU_CYCLE_1)
	s_and_saveexec_b32 s0, s1
	s_cbranch_execz .LBB1527_83
; %bb.82:
	s_wait_dscnt 0x0
	v_bcnt_u32_b32 v18, v18, v42
	ds_store_b32 v44, v18 offset:64
.LBB1527_83:
	s_or_b32 exec_lo, exec_lo, s0
	v_cmp_gt_i64_e32 vcc_lo, 0, v[16:17]
	; wave barrier
	v_cndmask_b32_e64 v19, 0x7fffffff, 0, vcc_lo
	s_delay_alu instid0(VALU_DEP_1) | instskip(NEXT) | instid1(VALU_DEP_1)
	v_dual_ashrrev_i32 v18, 31, v17 :: v_dual_bitop2_b32 v17, v19, v17 bitop3:0x14
	v_not_b32_e32 v18, v18
	s_delay_alu instid0(VALU_DEP_1) | instskip(NEXT) | instid1(VALU_DEP_1)
	v_xor_b32_e32 v16, v18, v16
	v_cmp_ne_u64_e32 vcc_lo, s[8:9], v[16:17]
	v_cndmask_b32_e32 v19, 0x7fffffff, v17, vcc_lo
	v_cndmask_b32_e32 v18, -1, v16, vcc_lo
	s_delay_alu instid0(VALU_DEP_1) | instskip(NEXT) | instid1(VALU_DEP_1)
	v_lshrrev_b64 v[18:19], s20, v[18:19]
	v_and_b32_e32 v19, s17, v18
	v_bitop3_b32 v18, v18, 1, s17 bitop3:0x80
	s_delay_alu instid0(VALU_DEP_2) | instskip(NEXT) | instid1(VALU_DEP_2)
	v_lshlrev_b32_e32 v22, 30, v19
	v_add_co_u32 v18, s0, v18, -1
	s_delay_alu instid0(VALU_DEP_1) | instskip(NEXT) | instid1(VALU_DEP_3)
	v_cndmask_b32_e64 v21, 0, 1, s0
	v_cmp_gt_i32_e64 s0, 0, v22
	s_delay_alu instid0(VALU_DEP_2) | instskip(SKIP_1) | instid1(VALU_DEP_1)
	v_cmp_ne_u32_e32 vcc_lo, 0, v21
	v_not_b32_e32 v21, v22
	v_dual_ashrrev_i32 v21, 31, v21 :: v_dual_bitop2_b32 v18, vcc_lo, v18 bitop3:0x14
	v_dual_lshlrev_b32 v23, 29, v19 :: v_dual_lshlrev_b32 v24, 28, v19
	v_dual_lshlrev_b32 v25, 27, v19 :: v_dual_lshlrev_b32 v45, 26, v19
	v_lshlrev_b32_e32 v46, 25, v19
	s_delay_alu instid0(VALU_DEP_3)
	v_cmp_gt_i32_e64 s1, 0, v23
	v_not_b32_e32 v22, v23
	v_not_b32_e32 v23, v24
	v_mad_u32 v47, 0x44, v19, v20
	v_lshlrev_b32_e32 v19, 24, v19
	v_cmp_gt_i32_e64 s3, 0, v24
	v_cmp_gt_i32_e64 s4, 0, v25
	v_not_b32_e32 v24, v25
	v_not_b32_e32 v25, v45
	v_dual_ashrrev_i32 v22, 31, v22 :: v_dual_ashrrev_i32 v23, 31, v23
	v_xor_b32_e32 v21, s0, v21
	v_cmp_gt_i32_e64 s5, 0, v45
	v_not_b32_e32 v45, v46
	v_cmp_gt_i32_e64 s7, 0, v19
	v_not_b32_e32 v19, v19
	v_dual_ashrrev_i32 v24, 31, v24 :: v_dual_ashrrev_i32 v25, 31, v25
	v_xor_b32_e32 v22, s1, v22
	v_xor_b32_e32 v23, s3, v23
	v_bitop3_b32 v18, v18, v21, exec_lo bitop3:0x80
	v_cmp_gt_i32_e64 s6, 0, v46
	v_dual_ashrrev_i32 v21, 31, v45 :: v_dual_ashrrev_i32 v19, 31, v19
	v_xor_b32_e32 v24, s4, v24
	v_xor_b32_e32 v25, s5, v25
	v_bitop3_b32 v18, v18, v23, v22 bitop3:0x80
	s_delay_alu instid0(VALU_DEP_4) | instskip(SKIP_3) | instid1(VALU_DEP_1)
	v_xor_b32_e32 v21, s6, v21
	v_xor_b32_e32 v19, s7, v19
	ds_load_b32 v45, v47 offset:64
	v_bitop3_b32 v18, v18, v25, v24 bitop3:0x80
	; wave barrier
	v_bitop3_b32 v18, v18, v19, v21 bitop3:0x80
	s_delay_alu instid0(VALU_DEP_1) | instskip(SKIP_1) | instid1(VALU_DEP_2)
	v_mbcnt_lo_u32_b32 v46, v18, 0
	v_cmp_ne_u32_e64 s0, 0, v18
	v_cmp_eq_u32_e32 vcc_lo, 0, v46
	s_and_b32 s1, s0, vcc_lo
	s_delay_alu instid0(SALU_CYCLE_1)
	s_and_saveexec_b32 s0, s1
	s_cbranch_execz .LBB1527_85
; %bb.84:
	s_wait_dscnt 0x0
	v_bcnt_u32_b32 v18, v18, v45
	ds_store_b32 v47, v18 offset:64
.LBB1527_85:
	s_or_b32 exec_lo, exec_lo, s0
	v_cmp_gt_i64_e32 vcc_lo, 0, v[12:13]
	; wave barrier
	v_cndmask_b32_e64 v19, 0x7fffffff, 0, vcc_lo
	s_delay_alu instid0(VALU_DEP_1) | instskip(NEXT) | instid1(VALU_DEP_1)
	v_dual_ashrrev_i32 v18, 31, v13 :: v_dual_bitop2_b32 v13, v19, v13 bitop3:0x14
	v_not_b32_e32 v18, v18
	s_delay_alu instid0(VALU_DEP_1) | instskip(NEXT) | instid1(VALU_DEP_1)
	v_xor_b32_e32 v12, v18, v12
	v_cmp_ne_u64_e32 vcc_lo, s[8:9], v[12:13]
	v_cndmask_b32_e32 v19, 0x7fffffff, v13, vcc_lo
	v_cndmask_b32_e32 v18, -1, v12, vcc_lo
	s_delay_alu instid0(VALU_DEP_1) | instskip(NEXT) | instid1(VALU_DEP_1)
	v_lshrrev_b64 v[18:19], s20, v[18:19]
	v_and_b32_e32 v19, s17, v18
	v_bitop3_b32 v18, v18, 1, s17 bitop3:0x80
	s_delay_alu instid0(VALU_DEP_2) | instskip(NEXT) | instid1(VALU_DEP_2)
	v_mad_u32 v50, 0x44, v19, v20
	v_add_co_u32 v18, s0, v18, -1
	s_delay_alu instid0(VALU_DEP_1) | instskip(SKIP_1) | instid1(VALU_DEP_2)
	v_cndmask_b32_e64 v20, 0, 1, s0
	v_dual_lshlrev_b32 v21, 30, v19 :: v_dual_lshlrev_b32 v22, 29, v19
	v_cmp_ne_u32_e32 vcc_lo, 0, v20
	s_delay_alu instid0(VALU_DEP_2) | instskip(SKIP_1) | instid1(VALU_DEP_4)
	v_cmp_gt_i32_e64 s0, 0, v21
	v_not_b32_e32 v20, v21
	v_not_b32_e32 v21, v22
	v_cmp_gt_i32_e64 s1, 0, v22
	s_delay_alu instid0(VALU_DEP_3) | instskip(NEXT) | instid1(VALU_DEP_3)
	v_dual_ashrrev_i32 v20, 31, v20 :: v_dual_bitop2_b32 v18, vcc_lo, v18 bitop3:0x14
	v_dual_ashrrev_i32 v21, 31, v21 :: v_dual_lshlrev_b32 v23, 28, v19
	v_dual_lshlrev_b32 v24, 27, v19 :: v_dual_lshlrev_b32 v25, 26, v19
	v_dual_lshlrev_b32 v48, 25, v19 :: v_dual_lshlrev_b32 v19, 24, v19
	s_delay_alu instid0(VALU_DEP_3) | instskip(SKIP_1) | instid1(VALU_DEP_4)
	v_not_b32_e32 v22, v23
	v_cmp_gt_i32_e64 s3, 0, v23
	v_cmp_gt_i32_e64 s4, 0, v24
	v_not_b32_e32 v23, v24
	v_not_b32_e32 v24, v25
	v_dual_ashrrev_i32 v22, 31, v22 :: v_dual_bitop2_b32 v20, s0, v20 bitop3:0x14
	v_cmp_gt_i32_e64 s5, 0, v25
	v_not_b32_e32 v25, v48
	v_cmp_gt_i32_e64 s7, 0, v19
	v_not_b32_e32 v19, v19
	v_dual_ashrrev_i32 v23, 31, v23 :: v_dual_ashrrev_i32 v24, 31, v24
	v_xor_b32_e32 v21, s1, v21
	v_xor_b32_e32 v22, s3, v22
	v_bitop3_b32 v18, v18, v20, exec_lo bitop3:0x80
	v_cmp_gt_i32_e64 s6, 0, v48
	v_dual_ashrrev_i32 v20, 31, v25 :: v_dual_ashrrev_i32 v19, 31, v19
	v_xor_b32_e32 v23, s4, v23
	v_xor_b32_e32 v24, s5, v24
	v_bitop3_b32 v18, v18, v22, v21 bitop3:0x80
	s_delay_alu instid0(VALU_DEP_4) | instskip(SKIP_3) | instid1(VALU_DEP_1)
	v_xor_b32_e32 v20, s6, v20
	v_xor_b32_e32 v19, s7, v19
	ds_load_b32 v48, v50 offset:64
	v_bitop3_b32 v18, v18, v24, v23 bitop3:0x80
	; wave barrier
	v_bitop3_b32 v18, v18, v19, v20 bitop3:0x80
	s_delay_alu instid0(VALU_DEP_1) | instskip(SKIP_1) | instid1(VALU_DEP_2)
	v_mbcnt_lo_u32_b32 v49, v18, 0
	v_cmp_ne_u32_e64 s0, 0, v18
	v_cmp_eq_u32_e32 vcc_lo, 0, v49
	s_and_b32 s1, s0, vcc_lo
	s_delay_alu instid0(SALU_CYCLE_1)
	s_and_saveexec_b32 s0, s1
	s_cbranch_execz .LBB1527_87
; %bb.86:
	s_wait_dscnt 0x0
	v_bcnt_u32_b32 v18, v18, v48
	ds_store_b32 v50, v18 offset:64
.LBB1527_87:
	s_or_b32 exec_lo, exec_lo, s0
	; wave barrier
	s_wait_dscnt 0x0
	s_barrier_signal -1
	s_barrier_wait -1
	ds_load_2addr_b32 v[24:25], v26 offset0:16 offset1:17
	ds_load_2addr_b32 v[22:23], v26 offset0:18 offset1:19
	;; [unrolled: 1-line block ×4, first 2 shown]
	ds_load_b32 v51, v26 offset:96
	v_bfe_i32 v54, v33, 4, 1
	s_mov_b32 s5, exec_lo
	s_wait_dscnt 0x3
	v_add3_u32 v52, v25, v24, v22
	s_wait_dscnt 0x2
	s_delay_alu instid0(VALU_DEP_1) | instskip(SKIP_1) | instid1(VALU_DEP_1)
	v_add3_u32 v52, v52, v23, v20
	s_wait_dscnt 0x1
	v_add3_u32 v52, v52, v21, v18
	s_wait_dscnt 0x0
	s_delay_alu instid0(VALU_DEP_1) | instskip(SKIP_1) | instid1(VALU_DEP_2)
	v_add3_u32 v51, v52, v19, v51
	v_and_b32_e32 v52, 15, v33
	v_mov_b32_dpp v53, v51 row_shr:1 row_mask:0xf bank_mask:0xf
	s_delay_alu instid0(VALU_DEP_2) | instskip(NEXT) | instid1(VALU_DEP_2)
	v_cmp_eq_u32_e32 vcc_lo, 0, v52
	v_cndmask_b32_e64 v53, v53, 0, vcc_lo
	s_delay_alu instid0(VALU_DEP_1) | instskip(SKIP_3) | instid1(VALU_DEP_4)
	v_add_nc_u32_e32 v51, v53, v51
	v_cmp_lt_u32_e64 s0, 1, v52
	v_cmp_lt_u32_e64 s1, 3, v52
	;; [unrolled: 1-line block ×3, first 2 shown]
	v_mov_b32_dpp v53, v51 row_shr:2 row_mask:0xf bank_mask:0xf
	s_delay_alu instid0(VALU_DEP_1) | instskip(NEXT) | instid1(VALU_DEP_1)
	v_cndmask_b32_e64 v53, 0, v53, s0
	v_add_nc_u32_e32 v51, v51, v53
	s_delay_alu instid0(VALU_DEP_1) | instskip(NEXT) | instid1(VALU_DEP_1)
	v_mov_b32_dpp v53, v51 row_shr:4 row_mask:0xf bank_mask:0xf
	v_cndmask_b32_e64 v53, 0, v53, s1
	s_delay_alu instid0(VALU_DEP_1) | instskip(NEXT) | instid1(VALU_DEP_1)
	v_add_nc_u32_e32 v51, v51, v53
	v_mov_b32_dpp v53, v51 row_shr:8 row_mask:0xf bank_mask:0xf
	s_delay_alu instid0(VALU_DEP_1) | instskip(SKIP_1) | instid1(VALU_DEP_2)
	v_cndmask_b32_e64 v52, 0, v53, s3
	v_and_b32_e32 v53, 0x3e0, v32
	v_add_nc_u32_e32 v51, v51, v52
	s_delay_alu instid0(VALU_DEP_2) | instskip(SKIP_4) | instid1(VALU_DEP_1)
	v_min_u32_e32 v53, 0x1e0, v53
	ds_swizzle_b32 v52, v51 offset:swizzle(BROADCAST,32,15)
	v_or_b32_e32 v53, 31, v53
	s_wait_dscnt 0x0
	v_and_b32_e32 v54, v54, v52
	v_dual_lshrrev_b32 v52, 5, v32 :: v_dual_add_nc_u32 v51, v51, v54
	s_delay_alu instid0(VALU_DEP_3)
	v_cmpx_eq_u32_e64 v32, v53
; %bb.88:
	s_delay_alu instid0(VALU_DEP_2)
	v_lshlrev_b32_e32 v53, 2, v52
	ds_store_b32 v53, v51
; %bb.89:
	s_or_b32 exec_lo, exec_lo, s5
	s_delay_alu instid0(SALU_CYCLE_1)
	s_mov_b32 s5, exec_lo
	s_wait_dscnt 0x0
	s_barrier_signal -1
	s_barrier_wait -1
	v_cmpx_gt_u32_e32 16, v32
	s_cbranch_execz .LBB1527_91
; %bb.90:
	v_lshlrev_b32_e32 v53, 2, v32
	ds_load_b32 v54, v53
	s_wait_dscnt 0x0
	v_mov_b32_dpp v55, v54 row_shr:1 row_mask:0xf bank_mask:0xf
	s_delay_alu instid0(VALU_DEP_1) | instskip(NEXT) | instid1(VALU_DEP_1)
	v_cndmask_b32_e64 v55, v55, 0, vcc_lo
	v_add_nc_u32_e32 v54, v55, v54
	s_delay_alu instid0(VALU_DEP_1) | instskip(NEXT) | instid1(VALU_DEP_1)
	v_mov_b32_dpp v55, v54 row_shr:2 row_mask:0xf bank_mask:0xf
	v_cndmask_b32_e64 v55, 0, v55, s0
	s_delay_alu instid0(VALU_DEP_1) | instskip(NEXT) | instid1(VALU_DEP_1)
	v_add_nc_u32_e32 v54, v54, v55
	v_mov_b32_dpp v55, v54 row_shr:4 row_mask:0xf bank_mask:0xf
	s_delay_alu instid0(VALU_DEP_1) | instskip(NEXT) | instid1(VALU_DEP_1)
	v_cndmask_b32_e64 v55, 0, v55, s1
	v_add_nc_u32_e32 v54, v54, v55
	s_delay_alu instid0(VALU_DEP_1) | instskip(NEXT) | instid1(VALU_DEP_1)
	v_mov_b32_dpp v55, v54 row_shr:8 row_mask:0xf bank_mask:0xf
	v_cndmask_b32_e64 v55, 0, v55, s3
	s_delay_alu instid0(VALU_DEP_1)
	v_add_nc_u32_e32 v54, v54, v55
	ds_store_b32 v53, v54
.LBB1527_91:
	s_or_b32 exec_lo, exec_lo, s5
	v_mov_b32_e32 v53, 0
	s_mov_b32 s0, exec_lo
	s_wait_dscnt 0x0
	s_barrier_signal -1
	s_barrier_wait -1
	v_cmpx_lt_u32_e32 31, v32
; %bb.92:
	v_lshl_add_u32 v52, v52, 2, -4
	ds_load_b32 v53, v52
; %bb.93:
	s_or_b32 exec_lo, exec_lo, s0
	v_sub_co_u32 v52, vcc_lo, v33, 1
	s_wait_dscnt 0x0
	v_add_nc_u32_e32 v51, v53, v51
	s_delay_alu instid0(VALU_DEP_2) | instskip(NEXT) | instid1(VALU_DEP_1)
	v_cmp_gt_i32_e64 s0, 0, v52
	v_cndmask_b32_e64 v33, v52, v33, s0
	v_cmp_lt_u32_e64 s0, 0xff, v32
	s_delay_alu instid0(VALU_DEP_2) | instskip(SKIP_4) | instid1(VALU_DEP_2)
	v_lshlrev_b32_e32 v33, 2, v33
	ds_bpermute_b32 v33, v33, v51
	s_wait_dscnt 0x0
	v_cndmask_b32_e32 v33, v33, v53, vcc_lo
	v_cmp_gt_u32_e32 vcc_lo, 0x100, v32
	v_cndmask_b32_e64 v33, v33, 0, s2
	s_delay_alu instid0(VALU_DEP_1) | instskip(NEXT) | instid1(VALU_DEP_1)
	v_add_nc_u32_e32 v24, v33, v24
	v_add_nc_u32_e32 v25, v24, v25
	s_delay_alu instid0(VALU_DEP_1) | instskip(NEXT) | instid1(VALU_DEP_1)
	v_add_nc_u32_e32 v22, v25, v22
	v_add_nc_u32_e32 v23, v22, v23
	;; [unrolled: 3-line block ×4, first 2 shown]
	ds_store_2addr_b32 v26, v33, v24 offset0:16 offset1:17
	ds_store_2addr_b32 v26, v25, v22 offset0:18 offset1:19
	;; [unrolled: 1-line block ×4, first 2 shown]
	ds_store_b32 v26, v19 offset:96
	s_wait_dscnt 0x0
	s_barrier_signal -1
	s_barrier_wait -1
	ds_load_b32 v21, v27 offset:64
	ds_load_b32 v33, v28 offset:64
	;; [unrolled: 1-line block ×8, first 2 shown]
	v_mov_b64_e32 v[18:19], 0
                                        ; implicit-def: $vgpr20
	s_and_saveexec_b32 s2, vcc_lo
	s_cbranch_execz .LBB1527_97
; %bb.94:
	v_mul_u32_u24_e32 v18, 0x44, v32
	v_dual_mov_b32 v19, 0x1000 :: v_dual_add_nc_u32 v20, 1, v32
	s_mov_b32 s3, exec_lo
	ds_load_b32 v18, v18 offset:64
	v_cmpx_ne_u32_e32 0x100, v20
; %bb.95:
	v_mul_u32_u24_e32 v19, 0x44, v20
	ds_load_b32 v19, v19 offset:64
; %bb.96:
	s_or_b32 exec_lo, exec_lo, s3
	s_wait_dscnt 0x0
	v_dual_mov_b32 v19, 0 :: v_dual_sub_nc_u32 v20, v19, v18
.LBB1527_97:
	s_or_b32 exec_lo, exec_lo, s2
	v_mov_b32_e32 v23, 0
	s_wait_dscnt 0x0
	s_barrier_signal -1
	s_barrier_wait -1
	s_and_saveexec_b32 s1, vcc_lo
	s_cbranch_execz .LBB1527_107
; %bb.98:
	v_lshl_add_u32 v22, s26, 8, v32
	v_dual_mov_b32 v26, 0 :: v_dual_bitop2_b32 v27, 2.0, v20 bitop3:0x54
	s_mov_b32 s2, 0
	s_mov_b32 s3, s26
	s_delay_alu instid0(VALU_DEP_2)
	v_lshl_add_u64 v[24:25], v[22:23], 2, s[10:11]
	global_store_b32 v22, v27, s[10:11] scale_offset scope:SCOPE_DEV
                                        ; implicit-def: $sgpr4
	s_branch .LBB1527_101
.LBB1527_99:                            ;   in Loop: Header=BB1527_101 Depth=1
	s_or_b32 exec_lo, exec_lo, s5
.LBB1527_100:                           ;   in Loop: Header=BB1527_101 Depth=1
	s_delay_alu instid0(SALU_CYCLE_1) | instskip(SKIP_2) | instid1(VALU_DEP_2)
	s_or_b32 exec_lo, exec_lo, s4
	v_and_b32_e32 v22, 0x3fffffff, v27
	v_cmp_gt_i32_e64 s4, -2.0, v27
	v_add_nc_u32_e32 v26, v22, v26
	s_and_b32 s5, exec_lo, s4
	s_delay_alu instid0(SALU_CYCLE_1) | instskip(NEXT) | instid1(SALU_CYCLE_1)
	s_or_b32 s2, s5, s2
	s_and_not1_b32 exec_lo, exec_lo, s2
	s_cbranch_execz .LBB1527_106
.LBB1527_101:                           ; =>This Loop Header: Depth=1
                                        ;     Child Loop BB1527_104 Depth 2
	s_or_b32 s4, s4, exec_lo
	s_cmp_eq_u32 s3, 0
	s_cbranch_scc1 .LBB1527_105
; %bb.102:                              ;   in Loop: Header=BB1527_101 Depth=1
	s_add_co_i32 s3, s3, -1
	s_mov_b32 s4, exec_lo
	s_wait_xcnt 0x0
	v_lshl_or_b32 v22, s3, 8, v32
	global_load_b32 v27, v22, s[10:11] scale_offset scope:SCOPE_DEV
	s_wait_loadcnt 0x0
	v_cmpx_gt_u32_e32 2.0, v27
	s_cbranch_execz .LBB1527_100
; %bb.103:                              ;   in Loop: Header=BB1527_101 Depth=1
	v_lshl_add_u64 v[28:29], v[22:23], 2, s[10:11]
	s_mov_b32 s5, 0
.LBB1527_104:                           ;   Parent Loop BB1527_101 Depth=1
                                        ; =>  This Inner Loop Header: Depth=2
	global_load_b32 v27, v[28:29], off scope:SCOPE_DEV
	s_wait_loadcnt 0x0
	v_cmp_lt_u32_e32 vcc_lo, 0x3fffffff, v27
	s_or_b32 s5, vcc_lo, s5
	s_wait_xcnt 0x0
	s_and_not1_b32 exec_lo, exec_lo, s5
	s_cbranch_execnz .LBB1527_104
	s_branch .LBB1527_99
.LBB1527_105:                           ;   in Loop: Header=BB1527_101 Depth=1
                                        ; implicit-def: $sgpr3
	s_and_b32 s5, exec_lo, s4
	s_delay_alu instid0(SALU_CYCLE_1)
	s_or_b32 s2, s5, s2
	s_wait_xcnt 0x0
	s_and_not1_b32 exec_lo, exec_lo, s2
	s_cbranch_execnz .LBB1527_101
.LBB1527_106:
	s_or_b32 exec_lo, exec_lo, s2
	v_dual_mov_b32 v27, 0 :: v_dual_add_nc_u32 v22, v26, v20
	s_delay_alu instid0(VALU_DEP_1) | instskip(SKIP_4) | instid1(VALU_DEP_1)
	v_or_b32_e32 v22, 0x80000000, v22
	global_store_b32 v[24:25], v22, off scope:SCOPE_DEV
	global_load_b64 v[22:23], v32, s[12:13] scale_offset
	v_sub_nc_u64_e32 v[24:25], v[26:27], v[18:19]
	s_wait_loadcnt 0x0
	v_add_nc_u64_e32 v[22:23], v[24:25], v[22:23]
	ds_store_b64 v2, v[22:23]
.LBB1527_107:
	s_wait_xcnt 0x0
	s_or_b32 exec_lo, exec_lo, s1
	v_dual_add_nc_u32 v21, v21, v3 :: v_dual_mov_b32 v3, 0
	v_add3_u32 v24, v49, v50, v48
	v_add3_u32 v25, v46, v47, v45
	v_add3_u32 v26, v43, v44, v42
	v_add3_u32 v27, v40, v41, v39
	v_add_nc_u64_e32 v[22:23], s[18:19], v[2:3]
	v_add3_u32 v28, v37, v38, v36
	v_add3_u32 v3, v35, v51, v34
	;; [unrolled: 1-line block ×3, first 2 shown]
	s_mov_b64 s[6:7], 0x8000000000000000
	s_mov_b32 s9, -1
	s_mov_b32 s8, 0
.LBB1527_108:                           ; =>This Inner Loop Header: Depth=1
	s_wait_xcnt 0x3
	v_add_min_u32_e64 v30, v21, s8, 0x800
	v_add_min_u32_e64 v31, v29, s8, 0x800
	;; [unrolled: 1-line block ×5, first 2 shown]
	s_wait_xcnt 0x2
	v_add_min_u32_e64 v36, v26, s8, 0x800
	v_add_min_u32_e64 v37, v25, s8, 0x800
	s_wait_xcnt 0x1
	v_add_min_u32_e64 v38, v24, s8, 0x800
	v_dual_lshlrev_b32 v30, 3, v30 :: v_dual_lshlrev_b32 v31, 3, v31
	v_dual_lshlrev_b32 v33, 3, v33 :: v_dual_lshlrev_b32 v34, 3, v34
	;; [unrolled: 1-line block ×3, first 2 shown]
	s_delay_alu instid0(VALU_DEP_4)
	v_dual_lshlrev_b32 v37, 3, v37 :: v_dual_lshlrev_b32 v38, 3, v38
	ds_store_b64 v30, v[4:5] offset:2048
	ds_store_b64 v31, v[0:1] offset:2048
	;; [unrolled: 1-line block ×8, first 2 shown]
	s_wait_storecnt_dscnt 0x0
	s_barrier_signal -1
	s_barrier_wait -1
	ds_load_2addr_stride64_b64 v[34:37], v2 offset0:4 offset1:12
	s_wait_xcnt 0x0
	ds_load_2addr_stride64_b64 v[38:41], v2 offset0:20 offset1:28
	s_addk_co_i32 s8, 0xf800
	s_and_b32 vcc_lo, exec_lo, s9
	s_mov_b32 s9, 0
	s_wait_dscnt 0x1
	v_cmp_gt_i64_e64 s2, 0, v[34:35]
	v_cmp_gt_i64_e64 s3, 0, v[36:37]
	v_cmp_ne_u64_e64 s1, s[6:7], v[34:35]
	s_wait_dscnt 0x0
	v_cmp_gt_i64_e64 s4, 0, v[38:39]
	v_dual_ashrrev_i32 v33, 31, v35 :: v_dual_ashrrev_i32 v49, 31, v37
	v_cmp_gt_i64_e64 s5, 0, v[40:41]
	v_cndmask_b32_e64 v30, 0x7fffffff, 0, s2
	v_cmp_ne_u64_e64 s2, s[6:7], v[36:37]
	v_cndmask_b32_e64 v48, 0x7fffffff, 0, s3
	v_cmp_ne_u64_e64 s3, s[6:7], v[38:39]
	v_cndmask_b32_e64 v31, 0x7fffffff, v35, s1
	v_cndmask_b32_e64 v50, 0x7fffffff, 0, s4
	v_cmp_ne_u64_e64 s4, s[6:7], v[40:41]
	v_dual_cndmask_b32 v30, -1, v34, s1 :: v_dual_bitop2_b32 v35, v30, v35 bitop3:0x14
	v_cndmask_b32_e64 v43, 0x7fffffff, v37, s2
	v_cndmask_b32_e64 v45, 0x7fffffff, v39, s3
	v_dual_cndmask_b32 v42, -1, v36, s2 :: v_dual_cndmask_b32 v44, -1, v38, s3
	s_delay_alu instid0(VALU_DEP_4) | instskip(SKIP_2) | instid1(VALU_DEP_4)
	v_lshrrev_b64 v[30:31], s20, v[30:31]
	v_cndmask_b32_e64 v47, 0x7fffffff, v41, s4
	v_cndmask_b32_e64 v46, -1, v40, s4
	v_lshrrev_b64 v[42:43], s20, v[42:43]
	v_lshrrev_b64 v[44:45], s20, v[44:45]
	v_dual_ashrrev_i32 v51, 31, v39 :: v_dual_bitop2_b32 v37, v48, v37 bitop3:0x14
	v_dual_ashrrev_i32 v53, 31, v41 :: v_dual_bitop2_b32 v30, s17, v30 bitop3:0x40
	v_lshrrev_b64 v[46:47], s20, v[46:47]
	v_and_b32_e32 v31, s17, v42
	v_and_b32_e32 v42, s17, v44
	v_not_b32_e32 v33, v33
	v_lshlrev_b32_e32 v30, 3, v30
	v_not_b32_e32 v49, v49
	v_not_b32_e32 v48, v51
	v_lshlrev_b32_e32 v45, 3, v42
	v_dual_lshlrev_b32 v44, 3, v31 :: v_dual_bitop2_b32 v43, s17, v46 bitop3:0x40
	v_cndmask_b32_e64 v52, 0x7fffffff, 0, s5
	v_xor_b32_e32 v39, v50, v39
	v_not_b32_e32 v50, v53
	s_delay_alu instid0(VALU_DEP_4)
	v_lshlrev_b32_e32 v46, 3, v43
	ds_load_b64 v[30:31], v30
	ds_load_b64 v[42:43], v44
	;; [unrolled: 1-line block ×4, first 2 shown]
	v_xor_b32_e32 v34, v33, v34
	v_xor_b32_e32 v36, v49, v36
	;; [unrolled: 1-line block ×5, first 2 shown]
	s_wait_dscnt 0x3
	v_lshl_add_u64 v[30:31], v[30:31], 3, v[22:23]
	s_wait_dscnt 0x2
	v_lshl_add_u64 v[42:43], v[42:43], 3, v[22:23]
	;; [unrolled: 2-line block ×4, first 2 shown]
	v_add_nc_u64_e32 v[22:23], 0x4000, v[22:23]
	s_clause 0x3
	global_store_b64 v[30:31], v[34:35], off
	global_store_b64 v[42:43], v[36:37], off offset:4096
	global_store_b64 v[44:45], v[38:39], off offset:8192
	;; [unrolled: 1-line block ×3, first 2 shown]
	s_wait_storecnt 0x0
	s_barrier_signal -1
	s_barrier_wait -1
	s_cbranch_vccnz .LBB1527_108
; %bb.109:
	s_add_co_i32 s16, s16, -1
	s_delay_alu instid0(SALU_CYCLE_1) | instskip(SKIP_2) | instid1(SALU_CYCLE_1)
	s_cmp_eq_u32 s26, s16
	s_cselect_b32 s1, -1, 0
	s_xor_b32 s0, s0, -1
	s_and_b32 s0, s0, s1
	s_wait_xcnt 0x0
	s_and_saveexec_b32 s1, s0
	s_cbranch_execz .LBB1527_111
; %bb.110:
	ds_load_b64 v[0:1], v2
	v_mov_b32_e32 v21, 0
	s_delay_alu instid0(VALU_DEP_1) | instskip(SKIP_1) | instid1(VALU_DEP_1)
	v_add_nc_u64_e32 v[2:3], v[18:19], v[20:21]
	s_wait_dscnt 0x0
	v_add_nc_u64_e32 v[0:1], v[2:3], v[0:1]
	global_store_b64 v32, v[0:1], s[14:15] scale_offset
.LBB1527_111:
	s_endpgm
	.section	.rodata,"a",@progbits
	.p2align	6, 0x0
	.amdhsa_kernel _ZN7rocprim17ROCPRIM_400000_NS6detail17trampoline_kernelINS0_14default_configENS1_35radix_sort_onesweep_config_selectorIdNS0_10empty_typeEEEZZNS1_29radix_sort_onesweep_iterationIS3_Lb1EPKdPdPS5_SB_mNS0_19identity_decomposerENS1_16block_id_wrapperIjLb1EEEEE10hipError_tT1_PNSt15iterator_traitsISG_E10value_typeET2_T3_PNSH_ISM_E10value_typeET4_T5_PSR_SS_PNS1_23onesweep_lookback_stateEbbT6_jjT7_P12ihipStream_tbENKUlT_T0_SG_SL_E_clISA_SA_SB_SB_EEDaSZ_S10_SG_SL_EUlSZ_E_NS1_11comp_targetILNS1_3genE0ELNS1_11target_archE4294967295ELNS1_3gpuE0ELNS1_3repE0EEENS1_47radix_sort_onesweep_sort_config_static_selectorELNS0_4arch9wavefront6targetE0EEEvSG_
		.amdhsa_group_segment_fixed_size 18504
		.amdhsa_private_segment_fixed_size 0
		.amdhsa_kernarg_size 344
		.amdhsa_user_sgpr_count 2
		.amdhsa_user_sgpr_dispatch_ptr 0
		.amdhsa_user_sgpr_queue_ptr 0
		.amdhsa_user_sgpr_kernarg_segment_ptr 1
		.amdhsa_user_sgpr_dispatch_id 0
		.amdhsa_user_sgpr_kernarg_preload_length 0
		.amdhsa_user_sgpr_kernarg_preload_offset 0
		.amdhsa_user_sgpr_private_segment_size 0
		.amdhsa_wavefront_size32 1
		.amdhsa_uses_dynamic_stack 0
		.amdhsa_enable_private_segment 0
		.amdhsa_system_sgpr_workgroup_id_x 1
		.amdhsa_system_sgpr_workgroup_id_y 0
		.amdhsa_system_sgpr_workgroup_id_z 0
		.amdhsa_system_sgpr_workgroup_info 0
		.amdhsa_system_vgpr_workitem_id 2
		.amdhsa_next_free_vgpr 57
		.amdhsa_next_free_sgpr 31
		.amdhsa_named_barrier_count 0
		.amdhsa_reserve_vcc 1
		.amdhsa_float_round_mode_32 0
		.amdhsa_float_round_mode_16_64 0
		.amdhsa_float_denorm_mode_32 3
		.amdhsa_float_denorm_mode_16_64 3
		.amdhsa_fp16_overflow 0
		.amdhsa_memory_ordered 1
		.amdhsa_forward_progress 1
		.amdhsa_inst_pref_size 101
		.amdhsa_round_robin_scheduling 0
		.amdhsa_exception_fp_ieee_invalid_op 0
		.amdhsa_exception_fp_denorm_src 0
		.amdhsa_exception_fp_ieee_div_zero 0
		.amdhsa_exception_fp_ieee_overflow 0
		.amdhsa_exception_fp_ieee_underflow 0
		.amdhsa_exception_fp_ieee_inexact 0
		.amdhsa_exception_int_div_zero 0
	.end_amdhsa_kernel
	.section	.text._ZN7rocprim17ROCPRIM_400000_NS6detail17trampoline_kernelINS0_14default_configENS1_35radix_sort_onesweep_config_selectorIdNS0_10empty_typeEEEZZNS1_29radix_sort_onesweep_iterationIS3_Lb1EPKdPdPS5_SB_mNS0_19identity_decomposerENS1_16block_id_wrapperIjLb1EEEEE10hipError_tT1_PNSt15iterator_traitsISG_E10value_typeET2_T3_PNSH_ISM_E10value_typeET4_T5_PSR_SS_PNS1_23onesweep_lookback_stateEbbT6_jjT7_P12ihipStream_tbENKUlT_T0_SG_SL_E_clISA_SA_SB_SB_EEDaSZ_S10_SG_SL_EUlSZ_E_NS1_11comp_targetILNS1_3genE0ELNS1_11target_archE4294967295ELNS1_3gpuE0ELNS1_3repE0EEENS1_47radix_sort_onesweep_sort_config_static_selectorELNS0_4arch9wavefront6targetE0EEEvSG_,"axG",@progbits,_ZN7rocprim17ROCPRIM_400000_NS6detail17trampoline_kernelINS0_14default_configENS1_35radix_sort_onesweep_config_selectorIdNS0_10empty_typeEEEZZNS1_29radix_sort_onesweep_iterationIS3_Lb1EPKdPdPS5_SB_mNS0_19identity_decomposerENS1_16block_id_wrapperIjLb1EEEEE10hipError_tT1_PNSt15iterator_traitsISG_E10value_typeET2_T3_PNSH_ISM_E10value_typeET4_T5_PSR_SS_PNS1_23onesweep_lookback_stateEbbT6_jjT7_P12ihipStream_tbENKUlT_T0_SG_SL_E_clISA_SA_SB_SB_EEDaSZ_S10_SG_SL_EUlSZ_E_NS1_11comp_targetILNS1_3genE0ELNS1_11target_archE4294967295ELNS1_3gpuE0ELNS1_3repE0EEENS1_47radix_sort_onesweep_sort_config_static_selectorELNS0_4arch9wavefront6targetE0EEEvSG_,comdat
.Lfunc_end1527:
	.size	_ZN7rocprim17ROCPRIM_400000_NS6detail17trampoline_kernelINS0_14default_configENS1_35radix_sort_onesweep_config_selectorIdNS0_10empty_typeEEEZZNS1_29radix_sort_onesweep_iterationIS3_Lb1EPKdPdPS5_SB_mNS0_19identity_decomposerENS1_16block_id_wrapperIjLb1EEEEE10hipError_tT1_PNSt15iterator_traitsISG_E10value_typeET2_T3_PNSH_ISM_E10value_typeET4_T5_PSR_SS_PNS1_23onesweep_lookback_stateEbbT6_jjT7_P12ihipStream_tbENKUlT_T0_SG_SL_E_clISA_SA_SB_SB_EEDaSZ_S10_SG_SL_EUlSZ_E_NS1_11comp_targetILNS1_3genE0ELNS1_11target_archE4294967295ELNS1_3gpuE0ELNS1_3repE0EEENS1_47radix_sort_onesweep_sort_config_static_selectorELNS0_4arch9wavefront6targetE0EEEvSG_, .Lfunc_end1527-_ZN7rocprim17ROCPRIM_400000_NS6detail17trampoline_kernelINS0_14default_configENS1_35radix_sort_onesweep_config_selectorIdNS0_10empty_typeEEEZZNS1_29radix_sort_onesweep_iterationIS3_Lb1EPKdPdPS5_SB_mNS0_19identity_decomposerENS1_16block_id_wrapperIjLb1EEEEE10hipError_tT1_PNSt15iterator_traitsISG_E10value_typeET2_T3_PNSH_ISM_E10value_typeET4_T5_PSR_SS_PNS1_23onesweep_lookback_stateEbbT6_jjT7_P12ihipStream_tbENKUlT_T0_SG_SL_E_clISA_SA_SB_SB_EEDaSZ_S10_SG_SL_EUlSZ_E_NS1_11comp_targetILNS1_3genE0ELNS1_11target_archE4294967295ELNS1_3gpuE0ELNS1_3repE0EEENS1_47radix_sort_onesweep_sort_config_static_selectorELNS0_4arch9wavefront6targetE0EEEvSG_
                                        ; -- End function
	.set _ZN7rocprim17ROCPRIM_400000_NS6detail17trampoline_kernelINS0_14default_configENS1_35radix_sort_onesweep_config_selectorIdNS0_10empty_typeEEEZZNS1_29radix_sort_onesweep_iterationIS3_Lb1EPKdPdPS5_SB_mNS0_19identity_decomposerENS1_16block_id_wrapperIjLb1EEEEE10hipError_tT1_PNSt15iterator_traitsISG_E10value_typeET2_T3_PNSH_ISM_E10value_typeET4_T5_PSR_SS_PNS1_23onesweep_lookback_stateEbbT6_jjT7_P12ihipStream_tbENKUlT_T0_SG_SL_E_clISA_SA_SB_SB_EEDaSZ_S10_SG_SL_EUlSZ_E_NS1_11comp_targetILNS1_3genE0ELNS1_11target_archE4294967295ELNS1_3gpuE0ELNS1_3repE0EEENS1_47radix_sort_onesweep_sort_config_static_selectorELNS0_4arch9wavefront6targetE0EEEvSG_.num_vgpr, 57
	.set _ZN7rocprim17ROCPRIM_400000_NS6detail17trampoline_kernelINS0_14default_configENS1_35radix_sort_onesweep_config_selectorIdNS0_10empty_typeEEEZZNS1_29radix_sort_onesweep_iterationIS3_Lb1EPKdPdPS5_SB_mNS0_19identity_decomposerENS1_16block_id_wrapperIjLb1EEEEE10hipError_tT1_PNSt15iterator_traitsISG_E10value_typeET2_T3_PNSH_ISM_E10value_typeET4_T5_PSR_SS_PNS1_23onesweep_lookback_stateEbbT6_jjT7_P12ihipStream_tbENKUlT_T0_SG_SL_E_clISA_SA_SB_SB_EEDaSZ_S10_SG_SL_EUlSZ_E_NS1_11comp_targetILNS1_3genE0ELNS1_11target_archE4294967295ELNS1_3gpuE0ELNS1_3repE0EEENS1_47radix_sort_onesweep_sort_config_static_selectorELNS0_4arch9wavefront6targetE0EEEvSG_.num_agpr, 0
	.set _ZN7rocprim17ROCPRIM_400000_NS6detail17trampoline_kernelINS0_14default_configENS1_35radix_sort_onesweep_config_selectorIdNS0_10empty_typeEEEZZNS1_29radix_sort_onesweep_iterationIS3_Lb1EPKdPdPS5_SB_mNS0_19identity_decomposerENS1_16block_id_wrapperIjLb1EEEEE10hipError_tT1_PNSt15iterator_traitsISG_E10value_typeET2_T3_PNSH_ISM_E10value_typeET4_T5_PSR_SS_PNS1_23onesweep_lookback_stateEbbT6_jjT7_P12ihipStream_tbENKUlT_T0_SG_SL_E_clISA_SA_SB_SB_EEDaSZ_S10_SG_SL_EUlSZ_E_NS1_11comp_targetILNS1_3genE0ELNS1_11target_archE4294967295ELNS1_3gpuE0ELNS1_3repE0EEENS1_47radix_sort_onesweep_sort_config_static_selectorELNS0_4arch9wavefront6targetE0EEEvSG_.numbered_sgpr, 31
	.set _ZN7rocprim17ROCPRIM_400000_NS6detail17trampoline_kernelINS0_14default_configENS1_35radix_sort_onesweep_config_selectorIdNS0_10empty_typeEEEZZNS1_29radix_sort_onesweep_iterationIS3_Lb1EPKdPdPS5_SB_mNS0_19identity_decomposerENS1_16block_id_wrapperIjLb1EEEEE10hipError_tT1_PNSt15iterator_traitsISG_E10value_typeET2_T3_PNSH_ISM_E10value_typeET4_T5_PSR_SS_PNS1_23onesweep_lookback_stateEbbT6_jjT7_P12ihipStream_tbENKUlT_T0_SG_SL_E_clISA_SA_SB_SB_EEDaSZ_S10_SG_SL_EUlSZ_E_NS1_11comp_targetILNS1_3genE0ELNS1_11target_archE4294967295ELNS1_3gpuE0ELNS1_3repE0EEENS1_47radix_sort_onesweep_sort_config_static_selectorELNS0_4arch9wavefront6targetE0EEEvSG_.num_named_barrier, 0
	.set _ZN7rocprim17ROCPRIM_400000_NS6detail17trampoline_kernelINS0_14default_configENS1_35radix_sort_onesweep_config_selectorIdNS0_10empty_typeEEEZZNS1_29radix_sort_onesweep_iterationIS3_Lb1EPKdPdPS5_SB_mNS0_19identity_decomposerENS1_16block_id_wrapperIjLb1EEEEE10hipError_tT1_PNSt15iterator_traitsISG_E10value_typeET2_T3_PNSH_ISM_E10value_typeET4_T5_PSR_SS_PNS1_23onesweep_lookback_stateEbbT6_jjT7_P12ihipStream_tbENKUlT_T0_SG_SL_E_clISA_SA_SB_SB_EEDaSZ_S10_SG_SL_EUlSZ_E_NS1_11comp_targetILNS1_3genE0ELNS1_11target_archE4294967295ELNS1_3gpuE0ELNS1_3repE0EEENS1_47radix_sort_onesweep_sort_config_static_selectorELNS0_4arch9wavefront6targetE0EEEvSG_.private_seg_size, 0
	.set _ZN7rocprim17ROCPRIM_400000_NS6detail17trampoline_kernelINS0_14default_configENS1_35radix_sort_onesweep_config_selectorIdNS0_10empty_typeEEEZZNS1_29radix_sort_onesweep_iterationIS3_Lb1EPKdPdPS5_SB_mNS0_19identity_decomposerENS1_16block_id_wrapperIjLb1EEEEE10hipError_tT1_PNSt15iterator_traitsISG_E10value_typeET2_T3_PNSH_ISM_E10value_typeET4_T5_PSR_SS_PNS1_23onesweep_lookback_stateEbbT6_jjT7_P12ihipStream_tbENKUlT_T0_SG_SL_E_clISA_SA_SB_SB_EEDaSZ_S10_SG_SL_EUlSZ_E_NS1_11comp_targetILNS1_3genE0ELNS1_11target_archE4294967295ELNS1_3gpuE0ELNS1_3repE0EEENS1_47radix_sort_onesweep_sort_config_static_selectorELNS0_4arch9wavefront6targetE0EEEvSG_.uses_vcc, 1
	.set _ZN7rocprim17ROCPRIM_400000_NS6detail17trampoline_kernelINS0_14default_configENS1_35radix_sort_onesweep_config_selectorIdNS0_10empty_typeEEEZZNS1_29radix_sort_onesweep_iterationIS3_Lb1EPKdPdPS5_SB_mNS0_19identity_decomposerENS1_16block_id_wrapperIjLb1EEEEE10hipError_tT1_PNSt15iterator_traitsISG_E10value_typeET2_T3_PNSH_ISM_E10value_typeET4_T5_PSR_SS_PNS1_23onesweep_lookback_stateEbbT6_jjT7_P12ihipStream_tbENKUlT_T0_SG_SL_E_clISA_SA_SB_SB_EEDaSZ_S10_SG_SL_EUlSZ_E_NS1_11comp_targetILNS1_3genE0ELNS1_11target_archE4294967295ELNS1_3gpuE0ELNS1_3repE0EEENS1_47radix_sort_onesweep_sort_config_static_selectorELNS0_4arch9wavefront6targetE0EEEvSG_.uses_flat_scratch, 0
	.set _ZN7rocprim17ROCPRIM_400000_NS6detail17trampoline_kernelINS0_14default_configENS1_35radix_sort_onesweep_config_selectorIdNS0_10empty_typeEEEZZNS1_29radix_sort_onesweep_iterationIS3_Lb1EPKdPdPS5_SB_mNS0_19identity_decomposerENS1_16block_id_wrapperIjLb1EEEEE10hipError_tT1_PNSt15iterator_traitsISG_E10value_typeET2_T3_PNSH_ISM_E10value_typeET4_T5_PSR_SS_PNS1_23onesweep_lookback_stateEbbT6_jjT7_P12ihipStream_tbENKUlT_T0_SG_SL_E_clISA_SA_SB_SB_EEDaSZ_S10_SG_SL_EUlSZ_E_NS1_11comp_targetILNS1_3genE0ELNS1_11target_archE4294967295ELNS1_3gpuE0ELNS1_3repE0EEENS1_47radix_sort_onesweep_sort_config_static_selectorELNS0_4arch9wavefront6targetE0EEEvSG_.has_dyn_sized_stack, 0
	.set _ZN7rocprim17ROCPRIM_400000_NS6detail17trampoline_kernelINS0_14default_configENS1_35radix_sort_onesweep_config_selectorIdNS0_10empty_typeEEEZZNS1_29radix_sort_onesweep_iterationIS3_Lb1EPKdPdPS5_SB_mNS0_19identity_decomposerENS1_16block_id_wrapperIjLb1EEEEE10hipError_tT1_PNSt15iterator_traitsISG_E10value_typeET2_T3_PNSH_ISM_E10value_typeET4_T5_PSR_SS_PNS1_23onesweep_lookback_stateEbbT6_jjT7_P12ihipStream_tbENKUlT_T0_SG_SL_E_clISA_SA_SB_SB_EEDaSZ_S10_SG_SL_EUlSZ_E_NS1_11comp_targetILNS1_3genE0ELNS1_11target_archE4294967295ELNS1_3gpuE0ELNS1_3repE0EEENS1_47radix_sort_onesweep_sort_config_static_selectorELNS0_4arch9wavefront6targetE0EEEvSG_.has_recursion, 0
	.set _ZN7rocprim17ROCPRIM_400000_NS6detail17trampoline_kernelINS0_14default_configENS1_35radix_sort_onesweep_config_selectorIdNS0_10empty_typeEEEZZNS1_29radix_sort_onesweep_iterationIS3_Lb1EPKdPdPS5_SB_mNS0_19identity_decomposerENS1_16block_id_wrapperIjLb1EEEEE10hipError_tT1_PNSt15iterator_traitsISG_E10value_typeET2_T3_PNSH_ISM_E10value_typeET4_T5_PSR_SS_PNS1_23onesweep_lookback_stateEbbT6_jjT7_P12ihipStream_tbENKUlT_T0_SG_SL_E_clISA_SA_SB_SB_EEDaSZ_S10_SG_SL_EUlSZ_E_NS1_11comp_targetILNS1_3genE0ELNS1_11target_archE4294967295ELNS1_3gpuE0ELNS1_3repE0EEENS1_47radix_sort_onesweep_sort_config_static_selectorELNS0_4arch9wavefront6targetE0EEEvSG_.has_indirect_call, 0
	.section	.AMDGPU.csdata,"",@progbits
; Kernel info:
; codeLenInByte = 12808
; TotalNumSgprs: 33
; NumVgprs: 57
; ScratchSize: 0
; MemoryBound: 0
; FloatMode: 240
; IeeeMode: 1
; LDSByteSize: 18504 bytes/workgroup (compile time only)
; SGPRBlocks: 0
; VGPRBlocks: 3
; NumSGPRsForWavesPerEU: 33
; NumVGPRsForWavesPerEU: 57
; NamedBarCnt: 0
; Occupancy: 16
; WaveLimiterHint : 1
; COMPUTE_PGM_RSRC2:SCRATCH_EN: 0
; COMPUTE_PGM_RSRC2:USER_SGPR: 2
; COMPUTE_PGM_RSRC2:TRAP_HANDLER: 0
; COMPUTE_PGM_RSRC2:TGID_X_EN: 1
; COMPUTE_PGM_RSRC2:TGID_Y_EN: 0
; COMPUTE_PGM_RSRC2:TGID_Z_EN: 0
; COMPUTE_PGM_RSRC2:TIDIG_COMP_CNT: 2
	.section	.text._ZN7rocprim17ROCPRIM_400000_NS6detail17trampoline_kernelINS0_14default_configENS1_35radix_sort_onesweep_config_selectorIdNS0_10empty_typeEEEZZNS1_29radix_sort_onesweep_iterationIS3_Lb1EPKdPdPS5_SB_mNS0_19identity_decomposerENS1_16block_id_wrapperIjLb1EEEEE10hipError_tT1_PNSt15iterator_traitsISG_E10value_typeET2_T3_PNSH_ISM_E10value_typeET4_T5_PSR_SS_PNS1_23onesweep_lookback_stateEbbT6_jjT7_P12ihipStream_tbENKUlT_T0_SG_SL_E_clISA_SA_SB_SB_EEDaSZ_S10_SG_SL_EUlSZ_E_NS1_11comp_targetILNS1_3genE6ELNS1_11target_archE950ELNS1_3gpuE13ELNS1_3repE0EEENS1_47radix_sort_onesweep_sort_config_static_selectorELNS0_4arch9wavefront6targetE0EEEvSG_,"axG",@progbits,_ZN7rocprim17ROCPRIM_400000_NS6detail17trampoline_kernelINS0_14default_configENS1_35radix_sort_onesweep_config_selectorIdNS0_10empty_typeEEEZZNS1_29radix_sort_onesweep_iterationIS3_Lb1EPKdPdPS5_SB_mNS0_19identity_decomposerENS1_16block_id_wrapperIjLb1EEEEE10hipError_tT1_PNSt15iterator_traitsISG_E10value_typeET2_T3_PNSH_ISM_E10value_typeET4_T5_PSR_SS_PNS1_23onesweep_lookback_stateEbbT6_jjT7_P12ihipStream_tbENKUlT_T0_SG_SL_E_clISA_SA_SB_SB_EEDaSZ_S10_SG_SL_EUlSZ_E_NS1_11comp_targetILNS1_3genE6ELNS1_11target_archE950ELNS1_3gpuE13ELNS1_3repE0EEENS1_47radix_sort_onesweep_sort_config_static_selectorELNS0_4arch9wavefront6targetE0EEEvSG_,comdat
	.protected	_ZN7rocprim17ROCPRIM_400000_NS6detail17trampoline_kernelINS0_14default_configENS1_35radix_sort_onesweep_config_selectorIdNS0_10empty_typeEEEZZNS1_29radix_sort_onesweep_iterationIS3_Lb1EPKdPdPS5_SB_mNS0_19identity_decomposerENS1_16block_id_wrapperIjLb1EEEEE10hipError_tT1_PNSt15iterator_traitsISG_E10value_typeET2_T3_PNSH_ISM_E10value_typeET4_T5_PSR_SS_PNS1_23onesweep_lookback_stateEbbT6_jjT7_P12ihipStream_tbENKUlT_T0_SG_SL_E_clISA_SA_SB_SB_EEDaSZ_S10_SG_SL_EUlSZ_E_NS1_11comp_targetILNS1_3genE6ELNS1_11target_archE950ELNS1_3gpuE13ELNS1_3repE0EEENS1_47radix_sort_onesweep_sort_config_static_selectorELNS0_4arch9wavefront6targetE0EEEvSG_ ; -- Begin function _ZN7rocprim17ROCPRIM_400000_NS6detail17trampoline_kernelINS0_14default_configENS1_35radix_sort_onesweep_config_selectorIdNS0_10empty_typeEEEZZNS1_29radix_sort_onesweep_iterationIS3_Lb1EPKdPdPS5_SB_mNS0_19identity_decomposerENS1_16block_id_wrapperIjLb1EEEEE10hipError_tT1_PNSt15iterator_traitsISG_E10value_typeET2_T3_PNSH_ISM_E10value_typeET4_T5_PSR_SS_PNS1_23onesweep_lookback_stateEbbT6_jjT7_P12ihipStream_tbENKUlT_T0_SG_SL_E_clISA_SA_SB_SB_EEDaSZ_S10_SG_SL_EUlSZ_E_NS1_11comp_targetILNS1_3genE6ELNS1_11target_archE950ELNS1_3gpuE13ELNS1_3repE0EEENS1_47radix_sort_onesweep_sort_config_static_selectorELNS0_4arch9wavefront6targetE0EEEvSG_
	.globl	_ZN7rocprim17ROCPRIM_400000_NS6detail17trampoline_kernelINS0_14default_configENS1_35radix_sort_onesweep_config_selectorIdNS0_10empty_typeEEEZZNS1_29radix_sort_onesweep_iterationIS3_Lb1EPKdPdPS5_SB_mNS0_19identity_decomposerENS1_16block_id_wrapperIjLb1EEEEE10hipError_tT1_PNSt15iterator_traitsISG_E10value_typeET2_T3_PNSH_ISM_E10value_typeET4_T5_PSR_SS_PNS1_23onesweep_lookback_stateEbbT6_jjT7_P12ihipStream_tbENKUlT_T0_SG_SL_E_clISA_SA_SB_SB_EEDaSZ_S10_SG_SL_EUlSZ_E_NS1_11comp_targetILNS1_3genE6ELNS1_11target_archE950ELNS1_3gpuE13ELNS1_3repE0EEENS1_47radix_sort_onesweep_sort_config_static_selectorELNS0_4arch9wavefront6targetE0EEEvSG_
	.p2align	8
	.type	_ZN7rocprim17ROCPRIM_400000_NS6detail17trampoline_kernelINS0_14default_configENS1_35radix_sort_onesweep_config_selectorIdNS0_10empty_typeEEEZZNS1_29radix_sort_onesweep_iterationIS3_Lb1EPKdPdPS5_SB_mNS0_19identity_decomposerENS1_16block_id_wrapperIjLb1EEEEE10hipError_tT1_PNSt15iterator_traitsISG_E10value_typeET2_T3_PNSH_ISM_E10value_typeET4_T5_PSR_SS_PNS1_23onesweep_lookback_stateEbbT6_jjT7_P12ihipStream_tbENKUlT_T0_SG_SL_E_clISA_SA_SB_SB_EEDaSZ_S10_SG_SL_EUlSZ_E_NS1_11comp_targetILNS1_3genE6ELNS1_11target_archE950ELNS1_3gpuE13ELNS1_3repE0EEENS1_47radix_sort_onesweep_sort_config_static_selectorELNS0_4arch9wavefront6targetE0EEEvSG_,@function
_ZN7rocprim17ROCPRIM_400000_NS6detail17trampoline_kernelINS0_14default_configENS1_35radix_sort_onesweep_config_selectorIdNS0_10empty_typeEEEZZNS1_29radix_sort_onesweep_iterationIS3_Lb1EPKdPdPS5_SB_mNS0_19identity_decomposerENS1_16block_id_wrapperIjLb1EEEEE10hipError_tT1_PNSt15iterator_traitsISG_E10value_typeET2_T3_PNSH_ISM_E10value_typeET4_T5_PSR_SS_PNS1_23onesweep_lookback_stateEbbT6_jjT7_P12ihipStream_tbENKUlT_T0_SG_SL_E_clISA_SA_SB_SB_EEDaSZ_S10_SG_SL_EUlSZ_E_NS1_11comp_targetILNS1_3genE6ELNS1_11target_archE950ELNS1_3gpuE13ELNS1_3repE0EEENS1_47radix_sort_onesweep_sort_config_static_selectorELNS0_4arch9wavefront6targetE0EEEvSG_: ; @_ZN7rocprim17ROCPRIM_400000_NS6detail17trampoline_kernelINS0_14default_configENS1_35radix_sort_onesweep_config_selectorIdNS0_10empty_typeEEEZZNS1_29radix_sort_onesweep_iterationIS3_Lb1EPKdPdPS5_SB_mNS0_19identity_decomposerENS1_16block_id_wrapperIjLb1EEEEE10hipError_tT1_PNSt15iterator_traitsISG_E10value_typeET2_T3_PNSH_ISM_E10value_typeET4_T5_PSR_SS_PNS1_23onesweep_lookback_stateEbbT6_jjT7_P12ihipStream_tbENKUlT_T0_SG_SL_E_clISA_SA_SB_SB_EEDaSZ_S10_SG_SL_EUlSZ_E_NS1_11comp_targetILNS1_3genE6ELNS1_11target_archE950ELNS1_3gpuE13ELNS1_3repE0EEENS1_47radix_sort_onesweep_sort_config_static_selectorELNS0_4arch9wavefront6targetE0EEEvSG_
; %bb.0:
	.section	.rodata,"a",@progbits
	.p2align	6, 0x0
	.amdhsa_kernel _ZN7rocprim17ROCPRIM_400000_NS6detail17trampoline_kernelINS0_14default_configENS1_35radix_sort_onesweep_config_selectorIdNS0_10empty_typeEEEZZNS1_29radix_sort_onesweep_iterationIS3_Lb1EPKdPdPS5_SB_mNS0_19identity_decomposerENS1_16block_id_wrapperIjLb1EEEEE10hipError_tT1_PNSt15iterator_traitsISG_E10value_typeET2_T3_PNSH_ISM_E10value_typeET4_T5_PSR_SS_PNS1_23onesweep_lookback_stateEbbT6_jjT7_P12ihipStream_tbENKUlT_T0_SG_SL_E_clISA_SA_SB_SB_EEDaSZ_S10_SG_SL_EUlSZ_E_NS1_11comp_targetILNS1_3genE6ELNS1_11target_archE950ELNS1_3gpuE13ELNS1_3repE0EEENS1_47radix_sort_onesweep_sort_config_static_selectorELNS0_4arch9wavefront6targetE0EEEvSG_
		.amdhsa_group_segment_fixed_size 0
		.amdhsa_private_segment_fixed_size 0
		.amdhsa_kernarg_size 88
		.amdhsa_user_sgpr_count 2
		.amdhsa_user_sgpr_dispatch_ptr 0
		.amdhsa_user_sgpr_queue_ptr 0
		.amdhsa_user_sgpr_kernarg_segment_ptr 1
		.amdhsa_user_sgpr_dispatch_id 0
		.amdhsa_user_sgpr_kernarg_preload_length 0
		.amdhsa_user_sgpr_kernarg_preload_offset 0
		.amdhsa_user_sgpr_private_segment_size 0
		.amdhsa_wavefront_size32 1
		.amdhsa_uses_dynamic_stack 0
		.amdhsa_enable_private_segment 0
		.amdhsa_system_sgpr_workgroup_id_x 1
		.amdhsa_system_sgpr_workgroup_id_y 0
		.amdhsa_system_sgpr_workgroup_id_z 0
		.amdhsa_system_sgpr_workgroup_info 0
		.amdhsa_system_vgpr_workitem_id 0
		.amdhsa_next_free_vgpr 1
		.amdhsa_next_free_sgpr 1
		.amdhsa_named_barrier_count 0
		.amdhsa_reserve_vcc 0
		.amdhsa_float_round_mode_32 0
		.amdhsa_float_round_mode_16_64 0
		.amdhsa_float_denorm_mode_32 3
		.amdhsa_float_denorm_mode_16_64 3
		.amdhsa_fp16_overflow 0
		.amdhsa_memory_ordered 1
		.amdhsa_forward_progress 1
		.amdhsa_inst_pref_size 0
		.amdhsa_round_robin_scheduling 0
		.amdhsa_exception_fp_ieee_invalid_op 0
		.amdhsa_exception_fp_denorm_src 0
		.amdhsa_exception_fp_ieee_div_zero 0
		.amdhsa_exception_fp_ieee_overflow 0
		.amdhsa_exception_fp_ieee_underflow 0
		.amdhsa_exception_fp_ieee_inexact 0
		.amdhsa_exception_int_div_zero 0
	.end_amdhsa_kernel
	.section	.text._ZN7rocprim17ROCPRIM_400000_NS6detail17trampoline_kernelINS0_14default_configENS1_35radix_sort_onesweep_config_selectorIdNS0_10empty_typeEEEZZNS1_29radix_sort_onesweep_iterationIS3_Lb1EPKdPdPS5_SB_mNS0_19identity_decomposerENS1_16block_id_wrapperIjLb1EEEEE10hipError_tT1_PNSt15iterator_traitsISG_E10value_typeET2_T3_PNSH_ISM_E10value_typeET4_T5_PSR_SS_PNS1_23onesweep_lookback_stateEbbT6_jjT7_P12ihipStream_tbENKUlT_T0_SG_SL_E_clISA_SA_SB_SB_EEDaSZ_S10_SG_SL_EUlSZ_E_NS1_11comp_targetILNS1_3genE6ELNS1_11target_archE950ELNS1_3gpuE13ELNS1_3repE0EEENS1_47radix_sort_onesweep_sort_config_static_selectorELNS0_4arch9wavefront6targetE0EEEvSG_,"axG",@progbits,_ZN7rocprim17ROCPRIM_400000_NS6detail17trampoline_kernelINS0_14default_configENS1_35radix_sort_onesweep_config_selectorIdNS0_10empty_typeEEEZZNS1_29radix_sort_onesweep_iterationIS3_Lb1EPKdPdPS5_SB_mNS0_19identity_decomposerENS1_16block_id_wrapperIjLb1EEEEE10hipError_tT1_PNSt15iterator_traitsISG_E10value_typeET2_T3_PNSH_ISM_E10value_typeET4_T5_PSR_SS_PNS1_23onesweep_lookback_stateEbbT6_jjT7_P12ihipStream_tbENKUlT_T0_SG_SL_E_clISA_SA_SB_SB_EEDaSZ_S10_SG_SL_EUlSZ_E_NS1_11comp_targetILNS1_3genE6ELNS1_11target_archE950ELNS1_3gpuE13ELNS1_3repE0EEENS1_47radix_sort_onesweep_sort_config_static_selectorELNS0_4arch9wavefront6targetE0EEEvSG_,comdat
.Lfunc_end1528:
	.size	_ZN7rocprim17ROCPRIM_400000_NS6detail17trampoline_kernelINS0_14default_configENS1_35radix_sort_onesweep_config_selectorIdNS0_10empty_typeEEEZZNS1_29radix_sort_onesweep_iterationIS3_Lb1EPKdPdPS5_SB_mNS0_19identity_decomposerENS1_16block_id_wrapperIjLb1EEEEE10hipError_tT1_PNSt15iterator_traitsISG_E10value_typeET2_T3_PNSH_ISM_E10value_typeET4_T5_PSR_SS_PNS1_23onesweep_lookback_stateEbbT6_jjT7_P12ihipStream_tbENKUlT_T0_SG_SL_E_clISA_SA_SB_SB_EEDaSZ_S10_SG_SL_EUlSZ_E_NS1_11comp_targetILNS1_3genE6ELNS1_11target_archE950ELNS1_3gpuE13ELNS1_3repE0EEENS1_47radix_sort_onesweep_sort_config_static_selectorELNS0_4arch9wavefront6targetE0EEEvSG_, .Lfunc_end1528-_ZN7rocprim17ROCPRIM_400000_NS6detail17trampoline_kernelINS0_14default_configENS1_35radix_sort_onesweep_config_selectorIdNS0_10empty_typeEEEZZNS1_29radix_sort_onesweep_iterationIS3_Lb1EPKdPdPS5_SB_mNS0_19identity_decomposerENS1_16block_id_wrapperIjLb1EEEEE10hipError_tT1_PNSt15iterator_traitsISG_E10value_typeET2_T3_PNSH_ISM_E10value_typeET4_T5_PSR_SS_PNS1_23onesweep_lookback_stateEbbT6_jjT7_P12ihipStream_tbENKUlT_T0_SG_SL_E_clISA_SA_SB_SB_EEDaSZ_S10_SG_SL_EUlSZ_E_NS1_11comp_targetILNS1_3genE6ELNS1_11target_archE950ELNS1_3gpuE13ELNS1_3repE0EEENS1_47radix_sort_onesweep_sort_config_static_selectorELNS0_4arch9wavefront6targetE0EEEvSG_
                                        ; -- End function
	.set _ZN7rocprim17ROCPRIM_400000_NS6detail17trampoline_kernelINS0_14default_configENS1_35radix_sort_onesweep_config_selectorIdNS0_10empty_typeEEEZZNS1_29radix_sort_onesweep_iterationIS3_Lb1EPKdPdPS5_SB_mNS0_19identity_decomposerENS1_16block_id_wrapperIjLb1EEEEE10hipError_tT1_PNSt15iterator_traitsISG_E10value_typeET2_T3_PNSH_ISM_E10value_typeET4_T5_PSR_SS_PNS1_23onesweep_lookback_stateEbbT6_jjT7_P12ihipStream_tbENKUlT_T0_SG_SL_E_clISA_SA_SB_SB_EEDaSZ_S10_SG_SL_EUlSZ_E_NS1_11comp_targetILNS1_3genE6ELNS1_11target_archE950ELNS1_3gpuE13ELNS1_3repE0EEENS1_47radix_sort_onesweep_sort_config_static_selectorELNS0_4arch9wavefront6targetE0EEEvSG_.num_vgpr, 0
	.set _ZN7rocprim17ROCPRIM_400000_NS6detail17trampoline_kernelINS0_14default_configENS1_35radix_sort_onesweep_config_selectorIdNS0_10empty_typeEEEZZNS1_29radix_sort_onesweep_iterationIS3_Lb1EPKdPdPS5_SB_mNS0_19identity_decomposerENS1_16block_id_wrapperIjLb1EEEEE10hipError_tT1_PNSt15iterator_traitsISG_E10value_typeET2_T3_PNSH_ISM_E10value_typeET4_T5_PSR_SS_PNS1_23onesweep_lookback_stateEbbT6_jjT7_P12ihipStream_tbENKUlT_T0_SG_SL_E_clISA_SA_SB_SB_EEDaSZ_S10_SG_SL_EUlSZ_E_NS1_11comp_targetILNS1_3genE6ELNS1_11target_archE950ELNS1_3gpuE13ELNS1_3repE0EEENS1_47radix_sort_onesweep_sort_config_static_selectorELNS0_4arch9wavefront6targetE0EEEvSG_.num_agpr, 0
	.set _ZN7rocprim17ROCPRIM_400000_NS6detail17trampoline_kernelINS0_14default_configENS1_35radix_sort_onesweep_config_selectorIdNS0_10empty_typeEEEZZNS1_29radix_sort_onesweep_iterationIS3_Lb1EPKdPdPS5_SB_mNS0_19identity_decomposerENS1_16block_id_wrapperIjLb1EEEEE10hipError_tT1_PNSt15iterator_traitsISG_E10value_typeET2_T3_PNSH_ISM_E10value_typeET4_T5_PSR_SS_PNS1_23onesweep_lookback_stateEbbT6_jjT7_P12ihipStream_tbENKUlT_T0_SG_SL_E_clISA_SA_SB_SB_EEDaSZ_S10_SG_SL_EUlSZ_E_NS1_11comp_targetILNS1_3genE6ELNS1_11target_archE950ELNS1_3gpuE13ELNS1_3repE0EEENS1_47radix_sort_onesweep_sort_config_static_selectorELNS0_4arch9wavefront6targetE0EEEvSG_.numbered_sgpr, 0
	.set _ZN7rocprim17ROCPRIM_400000_NS6detail17trampoline_kernelINS0_14default_configENS1_35radix_sort_onesweep_config_selectorIdNS0_10empty_typeEEEZZNS1_29radix_sort_onesweep_iterationIS3_Lb1EPKdPdPS5_SB_mNS0_19identity_decomposerENS1_16block_id_wrapperIjLb1EEEEE10hipError_tT1_PNSt15iterator_traitsISG_E10value_typeET2_T3_PNSH_ISM_E10value_typeET4_T5_PSR_SS_PNS1_23onesweep_lookback_stateEbbT6_jjT7_P12ihipStream_tbENKUlT_T0_SG_SL_E_clISA_SA_SB_SB_EEDaSZ_S10_SG_SL_EUlSZ_E_NS1_11comp_targetILNS1_3genE6ELNS1_11target_archE950ELNS1_3gpuE13ELNS1_3repE0EEENS1_47radix_sort_onesweep_sort_config_static_selectorELNS0_4arch9wavefront6targetE0EEEvSG_.num_named_barrier, 0
	.set _ZN7rocprim17ROCPRIM_400000_NS6detail17trampoline_kernelINS0_14default_configENS1_35radix_sort_onesweep_config_selectorIdNS0_10empty_typeEEEZZNS1_29radix_sort_onesweep_iterationIS3_Lb1EPKdPdPS5_SB_mNS0_19identity_decomposerENS1_16block_id_wrapperIjLb1EEEEE10hipError_tT1_PNSt15iterator_traitsISG_E10value_typeET2_T3_PNSH_ISM_E10value_typeET4_T5_PSR_SS_PNS1_23onesweep_lookback_stateEbbT6_jjT7_P12ihipStream_tbENKUlT_T0_SG_SL_E_clISA_SA_SB_SB_EEDaSZ_S10_SG_SL_EUlSZ_E_NS1_11comp_targetILNS1_3genE6ELNS1_11target_archE950ELNS1_3gpuE13ELNS1_3repE0EEENS1_47radix_sort_onesweep_sort_config_static_selectorELNS0_4arch9wavefront6targetE0EEEvSG_.private_seg_size, 0
	.set _ZN7rocprim17ROCPRIM_400000_NS6detail17trampoline_kernelINS0_14default_configENS1_35radix_sort_onesweep_config_selectorIdNS0_10empty_typeEEEZZNS1_29radix_sort_onesweep_iterationIS3_Lb1EPKdPdPS5_SB_mNS0_19identity_decomposerENS1_16block_id_wrapperIjLb1EEEEE10hipError_tT1_PNSt15iterator_traitsISG_E10value_typeET2_T3_PNSH_ISM_E10value_typeET4_T5_PSR_SS_PNS1_23onesweep_lookback_stateEbbT6_jjT7_P12ihipStream_tbENKUlT_T0_SG_SL_E_clISA_SA_SB_SB_EEDaSZ_S10_SG_SL_EUlSZ_E_NS1_11comp_targetILNS1_3genE6ELNS1_11target_archE950ELNS1_3gpuE13ELNS1_3repE0EEENS1_47radix_sort_onesweep_sort_config_static_selectorELNS0_4arch9wavefront6targetE0EEEvSG_.uses_vcc, 0
	.set _ZN7rocprim17ROCPRIM_400000_NS6detail17trampoline_kernelINS0_14default_configENS1_35radix_sort_onesweep_config_selectorIdNS0_10empty_typeEEEZZNS1_29radix_sort_onesweep_iterationIS3_Lb1EPKdPdPS5_SB_mNS0_19identity_decomposerENS1_16block_id_wrapperIjLb1EEEEE10hipError_tT1_PNSt15iterator_traitsISG_E10value_typeET2_T3_PNSH_ISM_E10value_typeET4_T5_PSR_SS_PNS1_23onesweep_lookback_stateEbbT6_jjT7_P12ihipStream_tbENKUlT_T0_SG_SL_E_clISA_SA_SB_SB_EEDaSZ_S10_SG_SL_EUlSZ_E_NS1_11comp_targetILNS1_3genE6ELNS1_11target_archE950ELNS1_3gpuE13ELNS1_3repE0EEENS1_47radix_sort_onesweep_sort_config_static_selectorELNS0_4arch9wavefront6targetE0EEEvSG_.uses_flat_scratch, 0
	.set _ZN7rocprim17ROCPRIM_400000_NS6detail17trampoline_kernelINS0_14default_configENS1_35radix_sort_onesweep_config_selectorIdNS0_10empty_typeEEEZZNS1_29radix_sort_onesweep_iterationIS3_Lb1EPKdPdPS5_SB_mNS0_19identity_decomposerENS1_16block_id_wrapperIjLb1EEEEE10hipError_tT1_PNSt15iterator_traitsISG_E10value_typeET2_T3_PNSH_ISM_E10value_typeET4_T5_PSR_SS_PNS1_23onesweep_lookback_stateEbbT6_jjT7_P12ihipStream_tbENKUlT_T0_SG_SL_E_clISA_SA_SB_SB_EEDaSZ_S10_SG_SL_EUlSZ_E_NS1_11comp_targetILNS1_3genE6ELNS1_11target_archE950ELNS1_3gpuE13ELNS1_3repE0EEENS1_47radix_sort_onesweep_sort_config_static_selectorELNS0_4arch9wavefront6targetE0EEEvSG_.has_dyn_sized_stack, 0
	.set _ZN7rocprim17ROCPRIM_400000_NS6detail17trampoline_kernelINS0_14default_configENS1_35radix_sort_onesweep_config_selectorIdNS0_10empty_typeEEEZZNS1_29radix_sort_onesweep_iterationIS3_Lb1EPKdPdPS5_SB_mNS0_19identity_decomposerENS1_16block_id_wrapperIjLb1EEEEE10hipError_tT1_PNSt15iterator_traitsISG_E10value_typeET2_T3_PNSH_ISM_E10value_typeET4_T5_PSR_SS_PNS1_23onesweep_lookback_stateEbbT6_jjT7_P12ihipStream_tbENKUlT_T0_SG_SL_E_clISA_SA_SB_SB_EEDaSZ_S10_SG_SL_EUlSZ_E_NS1_11comp_targetILNS1_3genE6ELNS1_11target_archE950ELNS1_3gpuE13ELNS1_3repE0EEENS1_47radix_sort_onesweep_sort_config_static_selectorELNS0_4arch9wavefront6targetE0EEEvSG_.has_recursion, 0
	.set _ZN7rocprim17ROCPRIM_400000_NS6detail17trampoline_kernelINS0_14default_configENS1_35radix_sort_onesweep_config_selectorIdNS0_10empty_typeEEEZZNS1_29radix_sort_onesweep_iterationIS3_Lb1EPKdPdPS5_SB_mNS0_19identity_decomposerENS1_16block_id_wrapperIjLb1EEEEE10hipError_tT1_PNSt15iterator_traitsISG_E10value_typeET2_T3_PNSH_ISM_E10value_typeET4_T5_PSR_SS_PNS1_23onesweep_lookback_stateEbbT6_jjT7_P12ihipStream_tbENKUlT_T0_SG_SL_E_clISA_SA_SB_SB_EEDaSZ_S10_SG_SL_EUlSZ_E_NS1_11comp_targetILNS1_3genE6ELNS1_11target_archE950ELNS1_3gpuE13ELNS1_3repE0EEENS1_47radix_sort_onesweep_sort_config_static_selectorELNS0_4arch9wavefront6targetE0EEEvSG_.has_indirect_call, 0
	.section	.AMDGPU.csdata,"",@progbits
; Kernel info:
; codeLenInByte = 0
; TotalNumSgprs: 0
; NumVgprs: 0
; ScratchSize: 0
; MemoryBound: 0
; FloatMode: 240
; IeeeMode: 1
; LDSByteSize: 0 bytes/workgroup (compile time only)
; SGPRBlocks: 0
; VGPRBlocks: 0
; NumSGPRsForWavesPerEU: 1
; NumVGPRsForWavesPerEU: 1
; NamedBarCnt: 0
; Occupancy: 16
; WaveLimiterHint : 0
; COMPUTE_PGM_RSRC2:SCRATCH_EN: 0
; COMPUTE_PGM_RSRC2:USER_SGPR: 2
; COMPUTE_PGM_RSRC2:TRAP_HANDLER: 0
; COMPUTE_PGM_RSRC2:TGID_X_EN: 1
; COMPUTE_PGM_RSRC2:TGID_Y_EN: 0
; COMPUTE_PGM_RSRC2:TGID_Z_EN: 0
; COMPUTE_PGM_RSRC2:TIDIG_COMP_CNT: 0
	.section	.text._ZN7rocprim17ROCPRIM_400000_NS6detail17trampoline_kernelINS0_14default_configENS1_35radix_sort_onesweep_config_selectorIdNS0_10empty_typeEEEZZNS1_29radix_sort_onesweep_iterationIS3_Lb1EPKdPdPS5_SB_mNS0_19identity_decomposerENS1_16block_id_wrapperIjLb1EEEEE10hipError_tT1_PNSt15iterator_traitsISG_E10value_typeET2_T3_PNSH_ISM_E10value_typeET4_T5_PSR_SS_PNS1_23onesweep_lookback_stateEbbT6_jjT7_P12ihipStream_tbENKUlT_T0_SG_SL_E_clISA_SA_SB_SB_EEDaSZ_S10_SG_SL_EUlSZ_E_NS1_11comp_targetILNS1_3genE5ELNS1_11target_archE942ELNS1_3gpuE9ELNS1_3repE0EEENS1_47radix_sort_onesweep_sort_config_static_selectorELNS0_4arch9wavefront6targetE0EEEvSG_,"axG",@progbits,_ZN7rocprim17ROCPRIM_400000_NS6detail17trampoline_kernelINS0_14default_configENS1_35radix_sort_onesweep_config_selectorIdNS0_10empty_typeEEEZZNS1_29radix_sort_onesweep_iterationIS3_Lb1EPKdPdPS5_SB_mNS0_19identity_decomposerENS1_16block_id_wrapperIjLb1EEEEE10hipError_tT1_PNSt15iterator_traitsISG_E10value_typeET2_T3_PNSH_ISM_E10value_typeET4_T5_PSR_SS_PNS1_23onesweep_lookback_stateEbbT6_jjT7_P12ihipStream_tbENKUlT_T0_SG_SL_E_clISA_SA_SB_SB_EEDaSZ_S10_SG_SL_EUlSZ_E_NS1_11comp_targetILNS1_3genE5ELNS1_11target_archE942ELNS1_3gpuE9ELNS1_3repE0EEENS1_47radix_sort_onesweep_sort_config_static_selectorELNS0_4arch9wavefront6targetE0EEEvSG_,comdat
	.protected	_ZN7rocprim17ROCPRIM_400000_NS6detail17trampoline_kernelINS0_14default_configENS1_35radix_sort_onesweep_config_selectorIdNS0_10empty_typeEEEZZNS1_29radix_sort_onesweep_iterationIS3_Lb1EPKdPdPS5_SB_mNS0_19identity_decomposerENS1_16block_id_wrapperIjLb1EEEEE10hipError_tT1_PNSt15iterator_traitsISG_E10value_typeET2_T3_PNSH_ISM_E10value_typeET4_T5_PSR_SS_PNS1_23onesweep_lookback_stateEbbT6_jjT7_P12ihipStream_tbENKUlT_T0_SG_SL_E_clISA_SA_SB_SB_EEDaSZ_S10_SG_SL_EUlSZ_E_NS1_11comp_targetILNS1_3genE5ELNS1_11target_archE942ELNS1_3gpuE9ELNS1_3repE0EEENS1_47radix_sort_onesweep_sort_config_static_selectorELNS0_4arch9wavefront6targetE0EEEvSG_ ; -- Begin function _ZN7rocprim17ROCPRIM_400000_NS6detail17trampoline_kernelINS0_14default_configENS1_35radix_sort_onesweep_config_selectorIdNS0_10empty_typeEEEZZNS1_29radix_sort_onesweep_iterationIS3_Lb1EPKdPdPS5_SB_mNS0_19identity_decomposerENS1_16block_id_wrapperIjLb1EEEEE10hipError_tT1_PNSt15iterator_traitsISG_E10value_typeET2_T3_PNSH_ISM_E10value_typeET4_T5_PSR_SS_PNS1_23onesweep_lookback_stateEbbT6_jjT7_P12ihipStream_tbENKUlT_T0_SG_SL_E_clISA_SA_SB_SB_EEDaSZ_S10_SG_SL_EUlSZ_E_NS1_11comp_targetILNS1_3genE5ELNS1_11target_archE942ELNS1_3gpuE9ELNS1_3repE0EEENS1_47radix_sort_onesweep_sort_config_static_selectorELNS0_4arch9wavefront6targetE0EEEvSG_
	.globl	_ZN7rocprim17ROCPRIM_400000_NS6detail17trampoline_kernelINS0_14default_configENS1_35radix_sort_onesweep_config_selectorIdNS0_10empty_typeEEEZZNS1_29radix_sort_onesweep_iterationIS3_Lb1EPKdPdPS5_SB_mNS0_19identity_decomposerENS1_16block_id_wrapperIjLb1EEEEE10hipError_tT1_PNSt15iterator_traitsISG_E10value_typeET2_T3_PNSH_ISM_E10value_typeET4_T5_PSR_SS_PNS1_23onesweep_lookback_stateEbbT6_jjT7_P12ihipStream_tbENKUlT_T0_SG_SL_E_clISA_SA_SB_SB_EEDaSZ_S10_SG_SL_EUlSZ_E_NS1_11comp_targetILNS1_3genE5ELNS1_11target_archE942ELNS1_3gpuE9ELNS1_3repE0EEENS1_47radix_sort_onesweep_sort_config_static_selectorELNS0_4arch9wavefront6targetE0EEEvSG_
	.p2align	8
	.type	_ZN7rocprim17ROCPRIM_400000_NS6detail17trampoline_kernelINS0_14default_configENS1_35radix_sort_onesweep_config_selectorIdNS0_10empty_typeEEEZZNS1_29radix_sort_onesweep_iterationIS3_Lb1EPKdPdPS5_SB_mNS0_19identity_decomposerENS1_16block_id_wrapperIjLb1EEEEE10hipError_tT1_PNSt15iterator_traitsISG_E10value_typeET2_T3_PNSH_ISM_E10value_typeET4_T5_PSR_SS_PNS1_23onesweep_lookback_stateEbbT6_jjT7_P12ihipStream_tbENKUlT_T0_SG_SL_E_clISA_SA_SB_SB_EEDaSZ_S10_SG_SL_EUlSZ_E_NS1_11comp_targetILNS1_3genE5ELNS1_11target_archE942ELNS1_3gpuE9ELNS1_3repE0EEENS1_47radix_sort_onesweep_sort_config_static_selectorELNS0_4arch9wavefront6targetE0EEEvSG_,@function
_ZN7rocprim17ROCPRIM_400000_NS6detail17trampoline_kernelINS0_14default_configENS1_35radix_sort_onesweep_config_selectorIdNS0_10empty_typeEEEZZNS1_29radix_sort_onesweep_iterationIS3_Lb1EPKdPdPS5_SB_mNS0_19identity_decomposerENS1_16block_id_wrapperIjLb1EEEEE10hipError_tT1_PNSt15iterator_traitsISG_E10value_typeET2_T3_PNSH_ISM_E10value_typeET4_T5_PSR_SS_PNS1_23onesweep_lookback_stateEbbT6_jjT7_P12ihipStream_tbENKUlT_T0_SG_SL_E_clISA_SA_SB_SB_EEDaSZ_S10_SG_SL_EUlSZ_E_NS1_11comp_targetILNS1_3genE5ELNS1_11target_archE942ELNS1_3gpuE9ELNS1_3repE0EEENS1_47radix_sort_onesweep_sort_config_static_selectorELNS0_4arch9wavefront6targetE0EEEvSG_: ; @_ZN7rocprim17ROCPRIM_400000_NS6detail17trampoline_kernelINS0_14default_configENS1_35radix_sort_onesweep_config_selectorIdNS0_10empty_typeEEEZZNS1_29radix_sort_onesweep_iterationIS3_Lb1EPKdPdPS5_SB_mNS0_19identity_decomposerENS1_16block_id_wrapperIjLb1EEEEE10hipError_tT1_PNSt15iterator_traitsISG_E10value_typeET2_T3_PNSH_ISM_E10value_typeET4_T5_PSR_SS_PNS1_23onesweep_lookback_stateEbbT6_jjT7_P12ihipStream_tbENKUlT_T0_SG_SL_E_clISA_SA_SB_SB_EEDaSZ_S10_SG_SL_EUlSZ_E_NS1_11comp_targetILNS1_3genE5ELNS1_11target_archE942ELNS1_3gpuE9ELNS1_3repE0EEENS1_47radix_sort_onesweep_sort_config_static_selectorELNS0_4arch9wavefront6targetE0EEEvSG_
; %bb.0:
	.section	.rodata,"a",@progbits
	.p2align	6, 0x0
	.amdhsa_kernel _ZN7rocprim17ROCPRIM_400000_NS6detail17trampoline_kernelINS0_14default_configENS1_35radix_sort_onesweep_config_selectorIdNS0_10empty_typeEEEZZNS1_29radix_sort_onesweep_iterationIS3_Lb1EPKdPdPS5_SB_mNS0_19identity_decomposerENS1_16block_id_wrapperIjLb1EEEEE10hipError_tT1_PNSt15iterator_traitsISG_E10value_typeET2_T3_PNSH_ISM_E10value_typeET4_T5_PSR_SS_PNS1_23onesweep_lookback_stateEbbT6_jjT7_P12ihipStream_tbENKUlT_T0_SG_SL_E_clISA_SA_SB_SB_EEDaSZ_S10_SG_SL_EUlSZ_E_NS1_11comp_targetILNS1_3genE5ELNS1_11target_archE942ELNS1_3gpuE9ELNS1_3repE0EEENS1_47radix_sort_onesweep_sort_config_static_selectorELNS0_4arch9wavefront6targetE0EEEvSG_
		.amdhsa_group_segment_fixed_size 0
		.amdhsa_private_segment_fixed_size 0
		.amdhsa_kernarg_size 88
		.amdhsa_user_sgpr_count 2
		.amdhsa_user_sgpr_dispatch_ptr 0
		.amdhsa_user_sgpr_queue_ptr 0
		.amdhsa_user_sgpr_kernarg_segment_ptr 1
		.amdhsa_user_sgpr_dispatch_id 0
		.amdhsa_user_sgpr_kernarg_preload_length 0
		.amdhsa_user_sgpr_kernarg_preload_offset 0
		.amdhsa_user_sgpr_private_segment_size 0
		.amdhsa_wavefront_size32 1
		.amdhsa_uses_dynamic_stack 0
		.amdhsa_enable_private_segment 0
		.amdhsa_system_sgpr_workgroup_id_x 1
		.amdhsa_system_sgpr_workgroup_id_y 0
		.amdhsa_system_sgpr_workgroup_id_z 0
		.amdhsa_system_sgpr_workgroup_info 0
		.amdhsa_system_vgpr_workitem_id 0
		.amdhsa_next_free_vgpr 1
		.amdhsa_next_free_sgpr 1
		.amdhsa_named_barrier_count 0
		.amdhsa_reserve_vcc 0
		.amdhsa_float_round_mode_32 0
		.amdhsa_float_round_mode_16_64 0
		.amdhsa_float_denorm_mode_32 3
		.amdhsa_float_denorm_mode_16_64 3
		.amdhsa_fp16_overflow 0
		.amdhsa_memory_ordered 1
		.amdhsa_forward_progress 1
		.amdhsa_inst_pref_size 0
		.amdhsa_round_robin_scheduling 0
		.amdhsa_exception_fp_ieee_invalid_op 0
		.amdhsa_exception_fp_denorm_src 0
		.amdhsa_exception_fp_ieee_div_zero 0
		.amdhsa_exception_fp_ieee_overflow 0
		.amdhsa_exception_fp_ieee_underflow 0
		.amdhsa_exception_fp_ieee_inexact 0
		.amdhsa_exception_int_div_zero 0
	.end_amdhsa_kernel
	.section	.text._ZN7rocprim17ROCPRIM_400000_NS6detail17trampoline_kernelINS0_14default_configENS1_35radix_sort_onesweep_config_selectorIdNS0_10empty_typeEEEZZNS1_29radix_sort_onesweep_iterationIS3_Lb1EPKdPdPS5_SB_mNS0_19identity_decomposerENS1_16block_id_wrapperIjLb1EEEEE10hipError_tT1_PNSt15iterator_traitsISG_E10value_typeET2_T3_PNSH_ISM_E10value_typeET4_T5_PSR_SS_PNS1_23onesweep_lookback_stateEbbT6_jjT7_P12ihipStream_tbENKUlT_T0_SG_SL_E_clISA_SA_SB_SB_EEDaSZ_S10_SG_SL_EUlSZ_E_NS1_11comp_targetILNS1_3genE5ELNS1_11target_archE942ELNS1_3gpuE9ELNS1_3repE0EEENS1_47radix_sort_onesweep_sort_config_static_selectorELNS0_4arch9wavefront6targetE0EEEvSG_,"axG",@progbits,_ZN7rocprim17ROCPRIM_400000_NS6detail17trampoline_kernelINS0_14default_configENS1_35radix_sort_onesweep_config_selectorIdNS0_10empty_typeEEEZZNS1_29radix_sort_onesweep_iterationIS3_Lb1EPKdPdPS5_SB_mNS0_19identity_decomposerENS1_16block_id_wrapperIjLb1EEEEE10hipError_tT1_PNSt15iterator_traitsISG_E10value_typeET2_T3_PNSH_ISM_E10value_typeET4_T5_PSR_SS_PNS1_23onesweep_lookback_stateEbbT6_jjT7_P12ihipStream_tbENKUlT_T0_SG_SL_E_clISA_SA_SB_SB_EEDaSZ_S10_SG_SL_EUlSZ_E_NS1_11comp_targetILNS1_3genE5ELNS1_11target_archE942ELNS1_3gpuE9ELNS1_3repE0EEENS1_47radix_sort_onesweep_sort_config_static_selectorELNS0_4arch9wavefront6targetE0EEEvSG_,comdat
.Lfunc_end1529:
	.size	_ZN7rocprim17ROCPRIM_400000_NS6detail17trampoline_kernelINS0_14default_configENS1_35radix_sort_onesweep_config_selectorIdNS0_10empty_typeEEEZZNS1_29radix_sort_onesweep_iterationIS3_Lb1EPKdPdPS5_SB_mNS0_19identity_decomposerENS1_16block_id_wrapperIjLb1EEEEE10hipError_tT1_PNSt15iterator_traitsISG_E10value_typeET2_T3_PNSH_ISM_E10value_typeET4_T5_PSR_SS_PNS1_23onesweep_lookback_stateEbbT6_jjT7_P12ihipStream_tbENKUlT_T0_SG_SL_E_clISA_SA_SB_SB_EEDaSZ_S10_SG_SL_EUlSZ_E_NS1_11comp_targetILNS1_3genE5ELNS1_11target_archE942ELNS1_3gpuE9ELNS1_3repE0EEENS1_47radix_sort_onesweep_sort_config_static_selectorELNS0_4arch9wavefront6targetE0EEEvSG_, .Lfunc_end1529-_ZN7rocprim17ROCPRIM_400000_NS6detail17trampoline_kernelINS0_14default_configENS1_35radix_sort_onesweep_config_selectorIdNS0_10empty_typeEEEZZNS1_29radix_sort_onesweep_iterationIS3_Lb1EPKdPdPS5_SB_mNS0_19identity_decomposerENS1_16block_id_wrapperIjLb1EEEEE10hipError_tT1_PNSt15iterator_traitsISG_E10value_typeET2_T3_PNSH_ISM_E10value_typeET4_T5_PSR_SS_PNS1_23onesweep_lookback_stateEbbT6_jjT7_P12ihipStream_tbENKUlT_T0_SG_SL_E_clISA_SA_SB_SB_EEDaSZ_S10_SG_SL_EUlSZ_E_NS1_11comp_targetILNS1_3genE5ELNS1_11target_archE942ELNS1_3gpuE9ELNS1_3repE0EEENS1_47radix_sort_onesweep_sort_config_static_selectorELNS0_4arch9wavefront6targetE0EEEvSG_
                                        ; -- End function
	.set _ZN7rocprim17ROCPRIM_400000_NS6detail17trampoline_kernelINS0_14default_configENS1_35radix_sort_onesweep_config_selectorIdNS0_10empty_typeEEEZZNS1_29radix_sort_onesweep_iterationIS3_Lb1EPKdPdPS5_SB_mNS0_19identity_decomposerENS1_16block_id_wrapperIjLb1EEEEE10hipError_tT1_PNSt15iterator_traitsISG_E10value_typeET2_T3_PNSH_ISM_E10value_typeET4_T5_PSR_SS_PNS1_23onesweep_lookback_stateEbbT6_jjT7_P12ihipStream_tbENKUlT_T0_SG_SL_E_clISA_SA_SB_SB_EEDaSZ_S10_SG_SL_EUlSZ_E_NS1_11comp_targetILNS1_3genE5ELNS1_11target_archE942ELNS1_3gpuE9ELNS1_3repE0EEENS1_47radix_sort_onesweep_sort_config_static_selectorELNS0_4arch9wavefront6targetE0EEEvSG_.num_vgpr, 0
	.set _ZN7rocprim17ROCPRIM_400000_NS6detail17trampoline_kernelINS0_14default_configENS1_35radix_sort_onesweep_config_selectorIdNS0_10empty_typeEEEZZNS1_29radix_sort_onesweep_iterationIS3_Lb1EPKdPdPS5_SB_mNS0_19identity_decomposerENS1_16block_id_wrapperIjLb1EEEEE10hipError_tT1_PNSt15iterator_traitsISG_E10value_typeET2_T3_PNSH_ISM_E10value_typeET4_T5_PSR_SS_PNS1_23onesweep_lookback_stateEbbT6_jjT7_P12ihipStream_tbENKUlT_T0_SG_SL_E_clISA_SA_SB_SB_EEDaSZ_S10_SG_SL_EUlSZ_E_NS1_11comp_targetILNS1_3genE5ELNS1_11target_archE942ELNS1_3gpuE9ELNS1_3repE0EEENS1_47radix_sort_onesweep_sort_config_static_selectorELNS0_4arch9wavefront6targetE0EEEvSG_.num_agpr, 0
	.set _ZN7rocprim17ROCPRIM_400000_NS6detail17trampoline_kernelINS0_14default_configENS1_35radix_sort_onesweep_config_selectorIdNS0_10empty_typeEEEZZNS1_29radix_sort_onesweep_iterationIS3_Lb1EPKdPdPS5_SB_mNS0_19identity_decomposerENS1_16block_id_wrapperIjLb1EEEEE10hipError_tT1_PNSt15iterator_traitsISG_E10value_typeET2_T3_PNSH_ISM_E10value_typeET4_T5_PSR_SS_PNS1_23onesweep_lookback_stateEbbT6_jjT7_P12ihipStream_tbENKUlT_T0_SG_SL_E_clISA_SA_SB_SB_EEDaSZ_S10_SG_SL_EUlSZ_E_NS1_11comp_targetILNS1_3genE5ELNS1_11target_archE942ELNS1_3gpuE9ELNS1_3repE0EEENS1_47radix_sort_onesweep_sort_config_static_selectorELNS0_4arch9wavefront6targetE0EEEvSG_.numbered_sgpr, 0
	.set _ZN7rocprim17ROCPRIM_400000_NS6detail17trampoline_kernelINS0_14default_configENS1_35radix_sort_onesweep_config_selectorIdNS0_10empty_typeEEEZZNS1_29radix_sort_onesweep_iterationIS3_Lb1EPKdPdPS5_SB_mNS0_19identity_decomposerENS1_16block_id_wrapperIjLb1EEEEE10hipError_tT1_PNSt15iterator_traitsISG_E10value_typeET2_T3_PNSH_ISM_E10value_typeET4_T5_PSR_SS_PNS1_23onesweep_lookback_stateEbbT6_jjT7_P12ihipStream_tbENKUlT_T0_SG_SL_E_clISA_SA_SB_SB_EEDaSZ_S10_SG_SL_EUlSZ_E_NS1_11comp_targetILNS1_3genE5ELNS1_11target_archE942ELNS1_3gpuE9ELNS1_3repE0EEENS1_47radix_sort_onesweep_sort_config_static_selectorELNS0_4arch9wavefront6targetE0EEEvSG_.num_named_barrier, 0
	.set _ZN7rocprim17ROCPRIM_400000_NS6detail17trampoline_kernelINS0_14default_configENS1_35radix_sort_onesweep_config_selectorIdNS0_10empty_typeEEEZZNS1_29radix_sort_onesweep_iterationIS3_Lb1EPKdPdPS5_SB_mNS0_19identity_decomposerENS1_16block_id_wrapperIjLb1EEEEE10hipError_tT1_PNSt15iterator_traitsISG_E10value_typeET2_T3_PNSH_ISM_E10value_typeET4_T5_PSR_SS_PNS1_23onesweep_lookback_stateEbbT6_jjT7_P12ihipStream_tbENKUlT_T0_SG_SL_E_clISA_SA_SB_SB_EEDaSZ_S10_SG_SL_EUlSZ_E_NS1_11comp_targetILNS1_3genE5ELNS1_11target_archE942ELNS1_3gpuE9ELNS1_3repE0EEENS1_47radix_sort_onesweep_sort_config_static_selectorELNS0_4arch9wavefront6targetE0EEEvSG_.private_seg_size, 0
	.set _ZN7rocprim17ROCPRIM_400000_NS6detail17trampoline_kernelINS0_14default_configENS1_35radix_sort_onesweep_config_selectorIdNS0_10empty_typeEEEZZNS1_29radix_sort_onesweep_iterationIS3_Lb1EPKdPdPS5_SB_mNS0_19identity_decomposerENS1_16block_id_wrapperIjLb1EEEEE10hipError_tT1_PNSt15iterator_traitsISG_E10value_typeET2_T3_PNSH_ISM_E10value_typeET4_T5_PSR_SS_PNS1_23onesweep_lookback_stateEbbT6_jjT7_P12ihipStream_tbENKUlT_T0_SG_SL_E_clISA_SA_SB_SB_EEDaSZ_S10_SG_SL_EUlSZ_E_NS1_11comp_targetILNS1_3genE5ELNS1_11target_archE942ELNS1_3gpuE9ELNS1_3repE0EEENS1_47radix_sort_onesweep_sort_config_static_selectorELNS0_4arch9wavefront6targetE0EEEvSG_.uses_vcc, 0
	.set _ZN7rocprim17ROCPRIM_400000_NS6detail17trampoline_kernelINS0_14default_configENS1_35radix_sort_onesweep_config_selectorIdNS0_10empty_typeEEEZZNS1_29radix_sort_onesweep_iterationIS3_Lb1EPKdPdPS5_SB_mNS0_19identity_decomposerENS1_16block_id_wrapperIjLb1EEEEE10hipError_tT1_PNSt15iterator_traitsISG_E10value_typeET2_T3_PNSH_ISM_E10value_typeET4_T5_PSR_SS_PNS1_23onesweep_lookback_stateEbbT6_jjT7_P12ihipStream_tbENKUlT_T0_SG_SL_E_clISA_SA_SB_SB_EEDaSZ_S10_SG_SL_EUlSZ_E_NS1_11comp_targetILNS1_3genE5ELNS1_11target_archE942ELNS1_3gpuE9ELNS1_3repE0EEENS1_47radix_sort_onesweep_sort_config_static_selectorELNS0_4arch9wavefront6targetE0EEEvSG_.uses_flat_scratch, 0
	.set _ZN7rocprim17ROCPRIM_400000_NS6detail17trampoline_kernelINS0_14default_configENS1_35radix_sort_onesweep_config_selectorIdNS0_10empty_typeEEEZZNS1_29radix_sort_onesweep_iterationIS3_Lb1EPKdPdPS5_SB_mNS0_19identity_decomposerENS1_16block_id_wrapperIjLb1EEEEE10hipError_tT1_PNSt15iterator_traitsISG_E10value_typeET2_T3_PNSH_ISM_E10value_typeET4_T5_PSR_SS_PNS1_23onesweep_lookback_stateEbbT6_jjT7_P12ihipStream_tbENKUlT_T0_SG_SL_E_clISA_SA_SB_SB_EEDaSZ_S10_SG_SL_EUlSZ_E_NS1_11comp_targetILNS1_3genE5ELNS1_11target_archE942ELNS1_3gpuE9ELNS1_3repE0EEENS1_47radix_sort_onesweep_sort_config_static_selectorELNS0_4arch9wavefront6targetE0EEEvSG_.has_dyn_sized_stack, 0
	.set _ZN7rocprim17ROCPRIM_400000_NS6detail17trampoline_kernelINS0_14default_configENS1_35radix_sort_onesweep_config_selectorIdNS0_10empty_typeEEEZZNS1_29radix_sort_onesweep_iterationIS3_Lb1EPKdPdPS5_SB_mNS0_19identity_decomposerENS1_16block_id_wrapperIjLb1EEEEE10hipError_tT1_PNSt15iterator_traitsISG_E10value_typeET2_T3_PNSH_ISM_E10value_typeET4_T5_PSR_SS_PNS1_23onesweep_lookback_stateEbbT6_jjT7_P12ihipStream_tbENKUlT_T0_SG_SL_E_clISA_SA_SB_SB_EEDaSZ_S10_SG_SL_EUlSZ_E_NS1_11comp_targetILNS1_3genE5ELNS1_11target_archE942ELNS1_3gpuE9ELNS1_3repE0EEENS1_47radix_sort_onesweep_sort_config_static_selectorELNS0_4arch9wavefront6targetE0EEEvSG_.has_recursion, 0
	.set _ZN7rocprim17ROCPRIM_400000_NS6detail17trampoline_kernelINS0_14default_configENS1_35radix_sort_onesweep_config_selectorIdNS0_10empty_typeEEEZZNS1_29radix_sort_onesweep_iterationIS3_Lb1EPKdPdPS5_SB_mNS0_19identity_decomposerENS1_16block_id_wrapperIjLb1EEEEE10hipError_tT1_PNSt15iterator_traitsISG_E10value_typeET2_T3_PNSH_ISM_E10value_typeET4_T5_PSR_SS_PNS1_23onesweep_lookback_stateEbbT6_jjT7_P12ihipStream_tbENKUlT_T0_SG_SL_E_clISA_SA_SB_SB_EEDaSZ_S10_SG_SL_EUlSZ_E_NS1_11comp_targetILNS1_3genE5ELNS1_11target_archE942ELNS1_3gpuE9ELNS1_3repE0EEENS1_47radix_sort_onesweep_sort_config_static_selectorELNS0_4arch9wavefront6targetE0EEEvSG_.has_indirect_call, 0
	.section	.AMDGPU.csdata,"",@progbits
; Kernel info:
; codeLenInByte = 0
; TotalNumSgprs: 0
; NumVgprs: 0
; ScratchSize: 0
; MemoryBound: 0
; FloatMode: 240
; IeeeMode: 1
; LDSByteSize: 0 bytes/workgroup (compile time only)
; SGPRBlocks: 0
; VGPRBlocks: 0
; NumSGPRsForWavesPerEU: 1
; NumVGPRsForWavesPerEU: 1
; NamedBarCnt: 0
; Occupancy: 16
; WaveLimiterHint : 0
; COMPUTE_PGM_RSRC2:SCRATCH_EN: 0
; COMPUTE_PGM_RSRC2:USER_SGPR: 2
; COMPUTE_PGM_RSRC2:TRAP_HANDLER: 0
; COMPUTE_PGM_RSRC2:TGID_X_EN: 1
; COMPUTE_PGM_RSRC2:TGID_Y_EN: 0
; COMPUTE_PGM_RSRC2:TGID_Z_EN: 0
; COMPUTE_PGM_RSRC2:TIDIG_COMP_CNT: 0
	.section	.text._ZN7rocprim17ROCPRIM_400000_NS6detail17trampoline_kernelINS0_14default_configENS1_35radix_sort_onesweep_config_selectorIdNS0_10empty_typeEEEZZNS1_29radix_sort_onesweep_iterationIS3_Lb1EPKdPdPS5_SB_mNS0_19identity_decomposerENS1_16block_id_wrapperIjLb1EEEEE10hipError_tT1_PNSt15iterator_traitsISG_E10value_typeET2_T3_PNSH_ISM_E10value_typeET4_T5_PSR_SS_PNS1_23onesweep_lookback_stateEbbT6_jjT7_P12ihipStream_tbENKUlT_T0_SG_SL_E_clISA_SA_SB_SB_EEDaSZ_S10_SG_SL_EUlSZ_E_NS1_11comp_targetILNS1_3genE2ELNS1_11target_archE906ELNS1_3gpuE6ELNS1_3repE0EEENS1_47radix_sort_onesweep_sort_config_static_selectorELNS0_4arch9wavefront6targetE0EEEvSG_,"axG",@progbits,_ZN7rocprim17ROCPRIM_400000_NS6detail17trampoline_kernelINS0_14default_configENS1_35radix_sort_onesweep_config_selectorIdNS0_10empty_typeEEEZZNS1_29radix_sort_onesweep_iterationIS3_Lb1EPKdPdPS5_SB_mNS0_19identity_decomposerENS1_16block_id_wrapperIjLb1EEEEE10hipError_tT1_PNSt15iterator_traitsISG_E10value_typeET2_T3_PNSH_ISM_E10value_typeET4_T5_PSR_SS_PNS1_23onesweep_lookback_stateEbbT6_jjT7_P12ihipStream_tbENKUlT_T0_SG_SL_E_clISA_SA_SB_SB_EEDaSZ_S10_SG_SL_EUlSZ_E_NS1_11comp_targetILNS1_3genE2ELNS1_11target_archE906ELNS1_3gpuE6ELNS1_3repE0EEENS1_47radix_sort_onesweep_sort_config_static_selectorELNS0_4arch9wavefront6targetE0EEEvSG_,comdat
	.protected	_ZN7rocprim17ROCPRIM_400000_NS6detail17trampoline_kernelINS0_14default_configENS1_35radix_sort_onesweep_config_selectorIdNS0_10empty_typeEEEZZNS1_29radix_sort_onesweep_iterationIS3_Lb1EPKdPdPS5_SB_mNS0_19identity_decomposerENS1_16block_id_wrapperIjLb1EEEEE10hipError_tT1_PNSt15iterator_traitsISG_E10value_typeET2_T3_PNSH_ISM_E10value_typeET4_T5_PSR_SS_PNS1_23onesweep_lookback_stateEbbT6_jjT7_P12ihipStream_tbENKUlT_T0_SG_SL_E_clISA_SA_SB_SB_EEDaSZ_S10_SG_SL_EUlSZ_E_NS1_11comp_targetILNS1_3genE2ELNS1_11target_archE906ELNS1_3gpuE6ELNS1_3repE0EEENS1_47radix_sort_onesweep_sort_config_static_selectorELNS0_4arch9wavefront6targetE0EEEvSG_ ; -- Begin function _ZN7rocprim17ROCPRIM_400000_NS6detail17trampoline_kernelINS0_14default_configENS1_35radix_sort_onesweep_config_selectorIdNS0_10empty_typeEEEZZNS1_29radix_sort_onesweep_iterationIS3_Lb1EPKdPdPS5_SB_mNS0_19identity_decomposerENS1_16block_id_wrapperIjLb1EEEEE10hipError_tT1_PNSt15iterator_traitsISG_E10value_typeET2_T3_PNSH_ISM_E10value_typeET4_T5_PSR_SS_PNS1_23onesweep_lookback_stateEbbT6_jjT7_P12ihipStream_tbENKUlT_T0_SG_SL_E_clISA_SA_SB_SB_EEDaSZ_S10_SG_SL_EUlSZ_E_NS1_11comp_targetILNS1_3genE2ELNS1_11target_archE906ELNS1_3gpuE6ELNS1_3repE0EEENS1_47radix_sort_onesweep_sort_config_static_selectorELNS0_4arch9wavefront6targetE0EEEvSG_
	.globl	_ZN7rocprim17ROCPRIM_400000_NS6detail17trampoline_kernelINS0_14default_configENS1_35radix_sort_onesweep_config_selectorIdNS0_10empty_typeEEEZZNS1_29radix_sort_onesweep_iterationIS3_Lb1EPKdPdPS5_SB_mNS0_19identity_decomposerENS1_16block_id_wrapperIjLb1EEEEE10hipError_tT1_PNSt15iterator_traitsISG_E10value_typeET2_T3_PNSH_ISM_E10value_typeET4_T5_PSR_SS_PNS1_23onesweep_lookback_stateEbbT6_jjT7_P12ihipStream_tbENKUlT_T0_SG_SL_E_clISA_SA_SB_SB_EEDaSZ_S10_SG_SL_EUlSZ_E_NS1_11comp_targetILNS1_3genE2ELNS1_11target_archE906ELNS1_3gpuE6ELNS1_3repE0EEENS1_47radix_sort_onesweep_sort_config_static_selectorELNS0_4arch9wavefront6targetE0EEEvSG_
	.p2align	8
	.type	_ZN7rocprim17ROCPRIM_400000_NS6detail17trampoline_kernelINS0_14default_configENS1_35radix_sort_onesweep_config_selectorIdNS0_10empty_typeEEEZZNS1_29radix_sort_onesweep_iterationIS3_Lb1EPKdPdPS5_SB_mNS0_19identity_decomposerENS1_16block_id_wrapperIjLb1EEEEE10hipError_tT1_PNSt15iterator_traitsISG_E10value_typeET2_T3_PNSH_ISM_E10value_typeET4_T5_PSR_SS_PNS1_23onesweep_lookback_stateEbbT6_jjT7_P12ihipStream_tbENKUlT_T0_SG_SL_E_clISA_SA_SB_SB_EEDaSZ_S10_SG_SL_EUlSZ_E_NS1_11comp_targetILNS1_3genE2ELNS1_11target_archE906ELNS1_3gpuE6ELNS1_3repE0EEENS1_47radix_sort_onesweep_sort_config_static_selectorELNS0_4arch9wavefront6targetE0EEEvSG_,@function
_ZN7rocprim17ROCPRIM_400000_NS6detail17trampoline_kernelINS0_14default_configENS1_35radix_sort_onesweep_config_selectorIdNS0_10empty_typeEEEZZNS1_29radix_sort_onesweep_iterationIS3_Lb1EPKdPdPS5_SB_mNS0_19identity_decomposerENS1_16block_id_wrapperIjLb1EEEEE10hipError_tT1_PNSt15iterator_traitsISG_E10value_typeET2_T3_PNSH_ISM_E10value_typeET4_T5_PSR_SS_PNS1_23onesweep_lookback_stateEbbT6_jjT7_P12ihipStream_tbENKUlT_T0_SG_SL_E_clISA_SA_SB_SB_EEDaSZ_S10_SG_SL_EUlSZ_E_NS1_11comp_targetILNS1_3genE2ELNS1_11target_archE906ELNS1_3gpuE6ELNS1_3repE0EEENS1_47radix_sort_onesweep_sort_config_static_selectorELNS0_4arch9wavefront6targetE0EEEvSG_: ; @_ZN7rocprim17ROCPRIM_400000_NS6detail17trampoline_kernelINS0_14default_configENS1_35radix_sort_onesweep_config_selectorIdNS0_10empty_typeEEEZZNS1_29radix_sort_onesweep_iterationIS3_Lb1EPKdPdPS5_SB_mNS0_19identity_decomposerENS1_16block_id_wrapperIjLb1EEEEE10hipError_tT1_PNSt15iterator_traitsISG_E10value_typeET2_T3_PNSH_ISM_E10value_typeET4_T5_PSR_SS_PNS1_23onesweep_lookback_stateEbbT6_jjT7_P12ihipStream_tbENKUlT_T0_SG_SL_E_clISA_SA_SB_SB_EEDaSZ_S10_SG_SL_EUlSZ_E_NS1_11comp_targetILNS1_3genE2ELNS1_11target_archE906ELNS1_3gpuE6ELNS1_3repE0EEENS1_47radix_sort_onesweep_sort_config_static_selectorELNS0_4arch9wavefront6targetE0EEEvSG_
; %bb.0:
	.section	.rodata,"a",@progbits
	.p2align	6, 0x0
	.amdhsa_kernel _ZN7rocprim17ROCPRIM_400000_NS6detail17trampoline_kernelINS0_14default_configENS1_35radix_sort_onesweep_config_selectorIdNS0_10empty_typeEEEZZNS1_29radix_sort_onesweep_iterationIS3_Lb1EPKdPdPS5_SB_mNS0_19identity_decomposerENS1_16block_id_wrapperIjLb1EEEEE10hipError_tT1_PNSt15iterator_traitsISG_E10value_typeET2_T3_PNSH_ISM_E10value_typeET4_T5_PSR_SS_PNS1_23onesweep_lookback_stateEbbT6_jjT7_P12ihipStream_tbENKUlT_T0_SG_SL_E_clISA_SA_SB_SB_EEDaSZ_S10_SG_SL_EUlSZ_E_NS1_11comp_targetILNS1_3genE2ELNS1_11target_archE906ELNS1_3gpuE6ELNS1_3repE0EEENS1_47radix_sort_onesweep_sort_config_static_selectorELNS0_4arch9wavefront6targetE0EEEvSG_
		.amdhsa_group_segment_fixed_size 0
		.amdhsa_private_segment_fixed_size 0
		.amdhsa_kernarg_size 88
		.amdhsa_user_sgpr_count 2
		.amdhsa_user_sgpr_dispatch_ptr 0
		.amdhsa_user_sgpr_queue_ptr 0
		.amdhsa_user_sgpr_kernarg_segment_ptr 1
		.amdhsa_user_sgpr_dispatch_id 0
		.amdhsa_user_sgpr_kernarg_preload_length 0
		.amdhsa_user_sgpr_kernarg_preload_offset 0
		.amdhsa_user_sgpr_private_segment_size 0
		.amdhsa_wavefront_size32 1
		.amdhsa_uses_dynamic_stack 0
		.amdhsa_enable_private_segment 0
		.amdhsa_system_sgpr_workgroup_id_x 1
		.amdhsa_system_sgpr_workgroup_id_y 0
		.amdhsa_system_sgpr_workgroup_id_z 0
		.amdhsa_system_sgpr_workgroup_info 0
		.amdhsa_system_vgpr_workitem_id 0
		.amdhsa_next_free_vgpr 1
		.amdhsa_next_free_sgpr 1
		.amdhsa_named_barrier_count 0
		.amdhsa_reserve_vcc 0
		.amdhsa_float_round_mode_32 0
		.amdhsa_float_round_mode_16_64 0
		.amdhsa_float_denorm_mode_32 3
		.amdhsa_float_denorm_mode_16_64 3
		.amdhsa_fp16_overflow 0
		.amdhsa_memory_ordered 1
		.amdhsa_forward_progress 1
		.amdhsa_inst_pref_size 0
		.amdhsa_round_robin_scheduling 0
		.amdhsa_exception_fp_ieee_invalid_op 0
		.amdhsa_exception_fp_denorm_src 0
		.amdhsa_exception_fp_ieee_div_zero 0
		.amdhsa_exception_fp_ieee_overflow 0
		.amdhsa_exception_fp_ieee_underflow 0
		.amdhsa_exception_fp_ieee_inexact 0
		.amdhsa_exception_int_div_zero 0
	.end_amdhsa_kernel
	.section	.text._ZN7rocprim17ROCPRIM_400000_NS6detail17trampoline_kernelINS0_14default_configENS1_35radix_sort_onesweep_config_selectorIdNS0_10empty_typeEEEZZNS1_29radix_sort_onesweep_iterationIS3_Lb1EPKdPdPS5_SB_mNS0_19identity_decomposerENS1_16block_id_wrapperIjLb1EEEEE10hipError_tT1_PNSt15iterator_traitsISG_E10value_typeET2_T3_PNSH_ISM_E10value_typeET4_T5_PSR_SS_PNS1_23onesweep_lookback_stateEbbT6_jjT7_P12ihipStream_tbENKUlT_T0_SG_SL_E_clISA_SA_SB_SB_EEDaSZ_S10_SG_SL_EUlSZ_E_NS1_11comp_targetILNS1_3genE2ELNS1_11target_archE906ELNS1_3gpuE6ELNS1_3repE0EEENS1_47radix_sort_onesweep_sort_config_static_selectorELNS0_4arch9wavefront6targetE0EEEvSG_,"axG",@progbits,_ZN7rocprim17ROCPRIM_400000_NS6detail17trampoline_kernelINS0_14default_configENS1_35radix_sort_onesweep_config_selectorIdNS0_10empty_typeEEEZZNS1_29radix_sort_onesweep_iterationIS3_Lb1EPKdPdPS5_SB_mNS0_19identity_decomposerENS1_16block_id_wrapperIjLb1EEEEE10hipError_tT1_PNSt15iterator_traitsISG_E10value_typeET2_T3_PNSH_ISM_E10value_typeET4_T5_PSR_SS_PNS1_23onesweep_lookback_stateEbbT6_jjT7_P12ihipStream_tbENKUlT_T0_SG_SL_E_clISA_SA_SB_SB_EEDaSZ_S10_SG_SL_EUlSZ_E_NS1_11comp_targetILNS1_3genE2ELNS1_11target_archE906ELNS1_3gpuE6ELNS1_3repE0EEENS1_47radix_sort_onesweep_sort_config_static_selectorELNS0_4arch9wavefront6targetE0EEEvSG_,comdat
.Lfunc_end1530:
	.size	_ZN7rocprim17ROCPRIM_400000_NS6detail17trampoline_kernelINS0_14default_configENS1_35radix_sort_onesweep_config_selectorIdNS0_10empty_typeEEEZZNS1_29radix_sort_onesweep_iterationIS3_Lb1EPKdPdPS5_SB_mNS0_19identity_decomposerENS1_16block_id_wrapperIjLb1EEEEE10hipError_tT1_PNSt15iterator_traitsISG_E10value_typeET2_T3_PNSH_ISM_E10value_typeET4_T5_PSR_SS_PNS1_23onesweep_lookback_stateEbbT6_jjT7_P12ihipStream_tbENKUlT_T0_SG_SL_E_clISA_SA_SB_SB_EEDaSZ_S10_SG_SL_EUlSZ_E_NS1_11comp_targetILNS1_3genE2ELNS1_11target_archE906ELNS1_3gpuE6ELNS1_3repE0EEENS1_47radix_sort_onesweep_sort_config_static_selectorELNS0_4arch9wavefront6targetE0EEEvSG_, .Lfunc_end1530-_ZN7rocprim17ROCPRIM_400000_NS6detail17trampoline_kernelINS0_14default_configENS1_35radix_sort_onesweep_config_selectorIdNS0_10empty_typeEEEZZNS1_29radix_sort_onesweep_iterationIS3_Lb1EPKdPdPS5_SB_mNS0_19identity_decomposerENS1_16block_id_wrapperIjLb1EEEEE10hipError_tT1_PNSt15iterator_traitsISG_E10value_typeET2_T3_PNSH_ISM_E10value_typeET4_T5_PSR_SS_PNS1_23onesweep_lookback_stateEbbT6_jjT7_P12ihipStream_tbENKUlT_T0_SG_SL_E_clISA_SA_SB_SB_EEDaSZ_S10_SG_SL_EUlSZ_E_NS1_11comp_targetILNS1_3genE2ELNS1_11target_archE906ELNS1_3gpuE6ELNS1_3repE0EEENS1_47radix_sort_onesweep_sort_config_static_selectorELNS0_4arch9wavefront6targetE0EEEvSG_
                                        ; -- End function
	.set _ZN7rocprim17ROCPRIM_400000_NS6detail17trampoline_kernelINS0_14default_configENS1_35radix_sort_onesweep_config_selectorIdNS0_10empty_typeEEEZZNS1_29radix_sort_onesweep_iterationIS3_Lb1EPKdPdPS5_SB_mNS0_19identity_decomposerENS1_16block_id_wrapperIjLb1EEEEE10hipError_tT1_PNSt15iterator_traitsISG_E10value_typeET2_T3_PNSH_ISM_E10value_typeET4_T5_PSR_SS_PNS1_23onesweep_lookback_stateEbbT6_jjT7_P12ihipStream_tbENKUlT_T0_SG_SL_E_clISA_SA_SB_SB_EEDaSZ_S10_SG_SL_EUlSZ_E_NS1_11comp_targetILNS1_3genE2ELNS1_11target_archE906ELNS1_3gpuE6ELNS1_3repE0EEENS1_47radix_sort_onesweep_sort_config_static_selectorELNS0_4arch9wavefront6targetE0EEEvSG_.num_vgpr, 0
	.set _ZN7rocprim17ROCPRIM_400000_NS6detail17trampoline_kernelINS0_14default_configENS1_35radix_sort_onesweep_config_selectorIdNS0_10empty_typeEEEZZNS1_29radix_sort_onesweep_iterationIS3_Lb1EPKdPdPS5_SB_mNS0_19identity_decomposerENS1_16block_id_wrapperIjLb1EEEEE10hipError_tT1_PNSt15iterator_traitsISG_E10value_typeET2_T3_PNSH_ISM_E10value_typeET4_T5_PSR_SS_PNS1_23onesweep_lookback_stateEbbT6_jjT7_P12ihipStream_tbENKUlT_T0_SG_SL_E_clISA_SA_SB_SB_EEDaSZ_S10_SG_SL_EUlSZ_E_NS1_11comp_targetILNS1_3genE2ELNS1_11target_archE906ELNS1_3gpuE6ELNS1_3repE0EEENS1_47radix_sort_onesweep_sort_config_static_selectorELNS0_4arch9wavefront6targetE0EEEvSG_.num_agpr, 0
	.set _ZN7rocprim17ROCPRIM_400000_NS6detail17trampoline_kernelINS0_14default_configENS1_35radix_sort_onesweep_config_selectorIdNS0_10empty_typeEEEZZNS1_29radix_sort_onesweep_iterationIS3_Lb1EPKdPdPS5_SB_mNS0_19identity_decomposerENS1_16block_id_wrapperIjLb1EEEEE10hipError_tT1_PNSt15iterator_traitsISG_E10value_typeET2_T3_PNSH_ISM_E10value_typeET4_T5_PSR_SS_PNS1_23onesweep_lookback_stateEbbT6_jjT7_P12ihipStream_tbENKUlT_T0_SG_SL_E_clISA_SA_SB_SB_EEDaSZ_S10_SG_SL_EUlSZ_E_NS1_11comp_targetILNS1_3genE2ELNS1_11target_archE906ELNS1_3gpuE6ELNS1_3repE0EEENS1_47radix_sort_onesweep_sort_config_static_selectorELNS0_4arch9wavefront6targetE0EEEvSG_.numbered_sgpr, 0
	.set _ZN7rocprim17ROCPRIM_400000_NS6detail17trampoline_kernelINS0_14default_configENS1_35radix_sort_onesweep_config_selectorIdNS0_10empty_typeEEEZZNS1_29radix_sort_onesweep_iterationIS3_Lb1EPKdPdPS5_SB_mNS0_19identity_decomposerENS1_16block_id_wrapperIjLb1EEEEE10hipError_tT1_PNSt15iterator_traitsISG_E10value_typeET2_T3_PNSH_ISM_E10value_typeET4_T5_PSR_SS_PNS1_23onesweep_lookback_stateEbbT6_jjT7_P12ihipStream_tbENKUlT_T0_SG_SL_E_clISA_SA_SB_SB_EEDaSZ_S10_SG_SL_EUlSZ_E_NS1_11comp_targetILNS1_3genE2ELNS1_11target_archE906ELNS1_3gpuE6ELNS1_3repE0EEENS1_47radix_sort_onesweep_sort_config_static_selectorELNS0_4arch9wavefront6targetE0EEEvSG_.num_named_barrier, 0
	.set _ZN7rocprim17ROCPRIM_400000_NS6detail17trampoline_kernelINS0_14default_configENS1_35radix_sort_onesweep_config_selectorIdNS0_10empty_typeEEEZZNS1_29radix_sort_onesweep_iterationIS3_Lb1EPKdPdPS5_SB_mNS0_19identity_decomposerENS1_16block_id_wrapperIjLb1EEEEE10hipError_tT1_PNSt15iterator_traitsISG_E10value_typeET2_T3_PNSH_ISM_E10value_typeET4_T5_PSR_SS_PNS1_23onesweep_lookback_stateEbbT6_jjT7_P12ihipStream_tbENKUlT_T0_SG_SL_E_clISA_SA_SB_SB_EEDaSZ_S10_SG_SL_EUlSZ_E_NS1_11comp_targetILNS1_3genE2ELNS1_11target_archE906ELNS1_3gpuE6ELNS1_3repE0EEENS1_47radix_sort_onesweep_sort_config_static_selectorELNS0_4arch9wavefront6targetE0EEEvSG_.private_seg_size, 0
	.set _ZN7rocprim17ROCPRIM_400000_NS6detail17trampoline_kernelINS0_14default_configENS1_35radix_sort_onesweep_config_selectorIdNS0_10empty_typeEEEZZNS1_29radix_sort_onesweep_iterationIS3_Lb1EPKdPdPS5_SB_mNS0_19identity_decomposerENS1_16block_id_wrapperIjLb1EEEEE10hipError_tT1_PNSt15iterator_traitsISG_E10value_typeET2_T3_PNSH_ISM_E10value_typeET4_T5_PSR_SS_PNS1_23onesweep_lookback_stateEbbT6_jjT7_P12ihipStream_tbENKUlT_T0_SG_SL_E_clISA_SA_SB_SB_EEDaSZ_S10_SG_SL_EUlSZ_E_NS1_11comp_targetILNS1_3genE2ELNS1_11target_archE906ELNS1_3gpuE6ELNS1_3repE0EEENS1_47radix_sort_onesweep_sort_config_static_selectorELNS0_4arch9wavefront6targetE0EEEvSG_.uses_vcc, 0
	.set _ZN7rocprim17ROCPRIM_400000_NS6detail17trampoline_kernelINS0_14default_configENS1_35radix_sort_onesweep_config_selectorIdNS0_10empty_typeEEEZZNS1_29radix_sort_onesweep_iterationIS3_Lb1EPKdPdPS5_SB_mNS0_19identity_decomposerENS1_16block_id_wrapperIjLb1EEEEE10hipError_tT1_PNSt15iterator_traitsISG_E10value_typeET2_T3_PNSH_ISM_E10value_typeET4_T5_PSR_SS_PNS1_23onesweep_lookback_stateEbbT6_jjT7_P12ihipStream_tbENKUlT_T0_SG_SL_E_clISA_SA_SB_SB_EEDaSZ_S10_SG_SL_EUlSZ_E_NS1_11comp_targetILNS1_3genE2ELNS1_11target_archE906ELNS1_3gpuE6ELNS1_3repE0EEENS1_47radix_sort_onesweep_sort_config_static_selectorELNS0_4arch9wavefront6targetE0EEEvSG_.uses_flat_scratch, 0
	.set _ZN7rocprim17ROCPRIM_400000_NS6detail17trampoline_kernelINS0_14default_configENS1_35radix_sort_onesweep_config_selectorIdNS0_10empty_typeEEEZZNS1_29radix_sort_onesweep_iterationIS3_Lb1EPKdPdPS5_SB_mNS0_19identity_decomposerENS1_16block_id_wrapperIjLb1EEEEE10hipError_tT1_PNSt15iterator_traitsISG_E10value_typeET2_T3_PNSH_ISM_E10value_typeET4_T5_PSR_SS_PNS1_23onesweep_lookback_stateEbbT6_jjT7_P12ihipStream_tbENKUlT_T0_SG_SL_E_clISA_SA_SB_SB_EEDaSZ_S10_SG_SL_EUlSZ_E_NS1_11comp_targetILNS1_3genE2ELNS1_11target_archE906ELNS1_3gpuE6ELNS1_3repE0EEENS1_47radix_sort_onesweep_sort_config_static_selectorELNS0_4arch9wavefront6targetE0EEEvSG_.has_dyn_sized_stack, 0
	.set _ZN7rocprim17ROCPRIM_400000_NS6detail17trampoline_kernelINS0_14default_configENS1_35radix_sort_onesweep_config_selectorIdNS0_10empty_typeEEEZZNS1_29radix_sort_onesweep_iterationIS3_Lb1EPKdPdPS5_SB_mNS0_19identity_decomposerENS1_16block_id_wrapperIjLb1EEEEE10hipError_tT1_PNSt15iterator_traitsISG_E10value_typeET2_T3_PNSH_ISM_E10value_typeET4_T5_PSR_SS_PNS1_23onesweep_lookback_stateEbbT6_jjT7_P12ihipStream_tbENKUlT_T0_SG_SL_E_clISA_SA_SB_SB_EEDaSZ_S10_SG_SL_EUlSZ_E_NS1_11comp_targetILNS1_3genE2ELNS1_11target_archE906ELNS1_3gpuE6ELNS1_3repE0EEENS1_47radix_sort_onesweep_sort_config_static_selectorELNS0_4arch9wavefront6targetE0EEEvSG_.has_recursion, 0
	.set _ZN7rocprim17ROCPRIM_400000_NS6detail17trampoline_kernelINS0_14default_configENS1_35radix_sort_onesweep_config_selectorIdNS0_10empty_typeEEEZZNS1_29radix_sort_onesweep_iterationIS3_Lb1EPKdPdPS5_SB_mNS0_19identity_decomposerENS1_16block_id_wrapperIjLb1EEEEE10hipError_tT1_PNSt15iterator_traitsISG_E10value_typeET2_T3_PNSH_ISM_E10value_typeET4_T5_PSR_SS_PNS1_23onesweep_lookback_stateEbbT6_jjT7_P12ihipStream_tbENKUlT_T0_SG_SL_E_clISA_SA_SB_SB_EEDaSZ_S10_SG_SL_EUlSZ_E_NS1_11comp_targetILNS1_3genE2ELNS1_11target_archE906ELNS1_3gpuE6ELNS1_3repE0EEENS1_47radix_sort_onesweep_sort_config_static_selectorELNS0_4arch9wavefront6targetE0EEEvSG_.has_indirect_call, 0
	.section	.AMDGPU.csdata,"",@progbits
; Kernel info:
; codeLenInByte = 0
; TotalNumSgprs: 0
; NumVgprs: 0
; ScratchSize: 0
; MemoryBound: 0
; FloatMode: 240
; IeeeMode: 1
; LDSByteSize: 0 bytes/workgroup (compile time only)
; SGPRBlocks: 0
; VGPRBlocks: 0
; NumSGPRsForWavesPerEU: 1
; NumVGPRsForWavesPerEU: 1
; NamedBarCnt: 0
; Occupancy: 16
; WaveLimiterHint : 0
; COMPUTE_PGM_RSRC2:SCRATCH_EN: 0
; COMPUTE_PGM_RSRC2:USER_SGPR: 2
; COMPUTE_PGM_RSRC2:TRAP_HANDLER: 0
; COMPUTE_PGM_RSRC2:TGID_X_EN: 1
; COMPUTE_PGM_RSRC2:TGID_Y_EN: 0
; COMPUTE_PGM_RSRC2:TGID_Z_EN: 0
; COMPUTE_PGM_RSRC2:TIDIG_COMP_CNT: 0
	.section	.text._ZN7rocprim17ROCPRIM_400000_NS6detail17trampoline_kernelINS0_14default_configENS1_35radix_sort_onesweep_config_selectorIdNS0_10empty_typeEEEZZNS1_29radix_sort_onesweep_iterationIS3_Lb1EPKdPdPS5_SB_mNS0_19identity_decomposerENS1_16block_id_wrapperIjLb1EEEEE10hipError_tT1_PNSt15iterator_traitsISG_E10value_typeET2_T3_PNSH_ISM_E10value_typeET4_T5_PSR_SS_PNS1_23onesweep_lookback_stateEbbT6_jjT7_P12ihipStream_tbENKUlT_T0_SG_SL_E_clISA_SA_SB_SB_EEDaSZ_S10_SG_SL_EUlSZ_E_NS1_11comp_targetILNS1_3genE4ELNS1_11target_archE910ELNS1_3gpuE8ELNS1_3repE0EEENS1_47radix_sort_onesweep_sort_config_static_selectorELNS0_4arch9wavefront6targetE0EEEvSG_,"axG",@progbits,_ZN7rocprim17ROCPRIM_400000_NS6detail17trampoline_kernelINS0_14default_configENS1_35radix_sort_onesweep_config_selectorIdNS0_10empty_typeEEEZZNS1_29radix_sort_onesweep_iterationIS3_Lb1EPKdPdPS5_SB_mNS0_19identity_decomposerENS1_16block_id_wrapperIjLb1EEEEE10hipError_tT1_PNSt15iterator_traitsISG_E10value_typeET2_T3_PNSH_ISM_E10value_typeET4_T5_PSR_SS_PNS1_23onesweep_lookback_stateEbbT6_jjT7_P12ihipStream_tbENKUlT_T0_SG_SL_E_clISA_SA_SB_SB_EEDaSZ_S10_SG_SL_EUlSZ_E_NS1_11comp_targetILNS1_3genE4ELNS1_11target_archE910ELNS1_3gpuE8ELNS1_3repE0EEENS1_47radix_sort_onesweep_sort_config_static_selectorELNS0_4arch9wavefront6targetE0EEEvSG_,comdat
	.protected	_ZN7rocprim17ROCPRIM_400000_NS6detail17trampoline_kernelINS0_14default_configENS1_35radix_sort_onesweep_config_selectorIdNS0_10empty_typeEEEZZNS1_29radix_sort_onesweep_iterationIS3_Lb1EPKdPdPS5_SB_mNS0_19identity_decomposerENS1_16block_id_wrapperIjLb1EEEEE10hipError_tT1_PNSt15iterator_traitsISG_E10value_typeET2_T3_PNSH_ISM_E10value_typeET4_T5_PSR_SS_PNS1_23onesweep_lookback_stateEbbT6_jjT7_P12ihipStream_tbENKUlT_T0_SG_SL_E_clISA_SA_SB_SB_EEDaSZ_S10_SG_SL_EUlSZ_E_NS1_11comp_targetILNS1_3genE4ELNS1_11target_archE910ELNS1_3gpuE8ELNS1_3repE0EEENS1_47radix_sort_onesweep_sort_config_static_selectorELNS0_4arch9wavefront6targetE0EEEvSG_ ; -- Begin function _ZN7rocprim17ROCPRIM_400000_NS6detail17trampoline_kernelINS0_14default_configENS1_35radix_sort_onesweep_config_selectorIdNS0_10empty_typeEEEZZNS1_29radix_sort_onesweep_iterationIS3_Lb1EPKdPdPS5_SB_mNS0_19identity_decomposerENS1_16block_id_wrapperIjLb1EEEEE10hipError_tT1_PNSt15iterator_traitsISG_E10value_typeET2_T3_PNSH_ISM_E10value_typeET4_T5_PSR_SS_PNS1_23onesweep_lookback_stateEbbT6_jjT7_P12ihipStream_tbENKUlT_T0_SG_SL_E_clISA_SA_SB_SB_EEDaSZ_S10_SG_SL_EUlSZ_E_NS1_11comp_targetILNS1_3genE4ELNS1_11target_archE910ELNS1_3gpuE8ELNS1_3repE0EEENS1_47radix_sort_onesweep_sort_config_static_selectorELNS0_4arch9wavefront6targetE0EEEvSG_
	.globl	_ZN7rocprim17ROCPRIM_400000_NS6detail17trampoline_kernelINS0_14default_configENS1_35radix_sort_onesweep_config_selectorIdNS0_10empty_typeEEEZZNS1_29radix_sort_onesweep_iterationIS3_Lb1EPKdPdPS5_SB_mNS0_19identity_decomposerENS1_16block_id_wrapperIjLb1EEEEE10hipError_tT1_PNSt15iterator_traitsISG_E10value_typeET2_T3_PNSH_ISM_E10value_typeET4_T5_PSR_SS_PNS1_23onesweep_lookback_stateEbbT6_jjT7_P12ihipStream_tbENKUlT_T0_SG_SL_E_clISA_SA_SB_SB_EEDaSZ_S10_SG_SL_EUlSZ_E_NS1_11comp_targetILNS1_3genE4ELNS1_11target_archE910ELNS1_3gpuE8ELNS1_3repE0EEENS1_47radix_sort_onesweep_sort_config_static_selectorELNS0_4arch9wavefront6targetE0EEEvSG_
	.p2align	8
	.type	_ZN7rocprim17ROCPRIM_400000_NS6detail17trampoline_kernelINS0_14default_configENS1_35radix_sort_onesweep_config_selectorIdNS0_10empty_typeEEEZZNS1_29radix_sort_onesweep_iterationIS3_Lb1EPKdPdPS5_SB_mNS0_19identity_decomposerENS1_16block_id_wrapperIjLb1EEEEE10hipError_tT1_PNSt15iterator_traitsISG_E10value_typeET2_T3_PNSH_ISM_E10value_typeET4_T5_PSR_SS_PNS1_23onesweep_lookback_stateEbbT6_jjT7_P12ihipStream_tbENKUlT_T0_SG_SL_E_clISA_SA_SB_SB_EEDaSZ_S10_SG_SL_EUlSZ_E_NS1_11comp_targetILNS1_3genE4ELNS1_11target_archE910ELNS1_3gpuE8ELNS1_3repE0EEENS1_47radix_sort_onesweep_sort_config_static_selectorELNS0_4arch9wavefront6targetE0EEEvSG_,@function
_ZN7rocprim17ROCPRIM_400000_NS6detail17trampoline_kernelINS0_14default_configENS1_35radix_sort_onesweep_config_selectorIdNS0_10empty_typeEEEZZNS1_29radix_sort_onesweep_iterationIS3_Lb1EPKdPdPS5_SB_mNS0_19identity_decomposerENS1_16block_id_wrapperIjLb1EEEEE10hipError_tT1_PNSt15iterator_traitsISG_E10value_typeET2_T3_PNSH_ISM_E10value_typeET4_T5_PSR_SS_PNS1_23onesweep_lookback_stateEbbT6_jjT7_P12ihipStream_tbENKUlT_T0_SG_SL_E_clISA_SA_SB_SB_EEDaSZ_S10_SG_SL_EUlSZ_E_NS1_11comp_targetILNS1_3genE4ELNS1_11target_archE910ELNS1_3gpuE8ELNS1_3repE0EEENS1_47radix_sort_onesweep_sort_config_static_selectorELNS0_4arch9wavefront6targetE0EEEvSG_: ; @_ZN7rocprim17ROCPRIM_400000_NS6detail17trampoline_kernelINS0_14default_configENS1_35radix_sort_onesweep_config_selectorIdNS0_10empty_typeEEEZZNS1_29radix_sort_onesweep_iterationIS3_Lb1EPKdPdPS5_SB_mNS0_19identity_decomposerENS1_16block_id_wrapperIjLb1EEEEE10hipError_tT1_PNSt15iterator_traitsISG_E10value_typeET2_T3_PNSH_ISM_E10value_typeET4_T5_PSR_SS_PNS1_23onesweep_lookback_stateEbbT6_jjT7_P12ihipStream_tbENKUlT_T0_SG_SL_E_clISA_SA_SB_SB_EEDaSZ_S10_SG_SL_EUlSZ_E_NS1_11comp_targetILNS1_3genE4ELNS1_11target_archE910ELNS1_3gpuE8ELNS1_3repE0EEENS1_47radix_sort_onesweep_sort_config_static_selectorELNS0_4arch9wavefront6targetE0EEEvSG_
; %bb.0:
	.section	.rodata,"a",@progbits
	.p2align	6, 0x0
	.amdhsa_kernel _ZN7rocprim17ROCPRIM_400000_NS6detail17trampoline_kernelINS0_14default_configENS1_35radix_sort_onesweep_config_selectorIdNS0_10empty_typeEEEZZNS1_29radix_sort_onesweep_iterationIS3_Lb1EPKdPdPS5_SB_mNS0_19identity_decomposerENS1_16block_id_wrapperIjLb1EEEEE10hipError_tT1_PNSt15iterator_traitsISG_E10value_typeET2_T3_PNSH_ISM_E10value_typeET4_T5_PSR_SS_PNS1_23onesweep_lookback_stateEbbT6_jjT7_P12ihipStream_tbENKUlT_T0_SG_SL_E_clISA_SA_SB_SB_EEDaSZ_S10_SG_SL_EUlSZ_E_NS1_11comp_targetILNS1_3genE4ELNS1_11target_archE910ELNS1_3gpuE8ELNS1_3repE0EEENS1_47radix_sort_onesweep_sort_config_static_selectorELNS0_4arch9wavefront6targetE0EEEvSG_
		.amdhsa_group_segment_fixed_size 0
		.amdhsa_private_segment_fixed_size 0
		.amdhsa_kernarg_size 88
		.amdhsa_user_sgpr_count 2
		.amdhsa_user_sgpr_dispatch_ptr 0
		.amdhsa_user_sgpr_queue_ptr 0
		.amdhsa_user_sgpr_kernarg_segment_ptr 1
		.amdhsa_user_sgpr_dispatch_id 0
		.amdhsa_user_sgpr_kernarg_preload_length 0
		.amdhsa_user_sgpr_kernarg_preload_offset 0
		.amdhsa_user_sgpr_private_segment_size 0
		.amdhsa_wavefront_size32 1
		.amdhsa_uses_dynamic_stack 0
		.amdhsa_enable_private_segment 0
		.amdhsa_system_sgpr_workgroup_id_x 1
		.amdhsa_system_sgpr_workgroup_id_y 0
		.amdhsa_system_sgpr_workgroup_id_z 0
		.amdhsa_system_sgpr_workgroup_info 0
		.amdhsa_system_vgpr_workitem_id 0
		.amdhsa_next_free_vgpr 1
		.amdhsa_next_free_sgpr 1
		.amdhsa_named_barrier_count 0
		.amdhsa_reserve_vcc 0
		.amdhsa_float_round_mode_32 0
		.amdhsa_float_round_mode_16_64 0
		.amdhsa_float_denorm_mode_32 3
		.amdhsa_float_denorm_mode_16_64 3
		.amdhsa_fp16_overflow 0
		.amdhsa_memory_ordered 1
		.amdhsa_forward_progress 1
		.amdhsa_inst_pref_size 0
		.amdhsa_round_robin_scheduling 0
		.amdhsa_exception_fp_ieee_invalid_op 0
		.amdhsa_exception_fp_denorm_src 0
		.amdhsa_exception_fp_ieee_div_zero 0
		.amdhsa_exception_fp_ieee_overflow 0
		.amdhsa_exception_fp_ieee_underflow 0
		.amdhsa_exception_fp_ieee_inexact 0
		.amdhsa_exception_int_div_zero 0
	.end_amdhsa_kernel
	.section	.text._ZN7rocprim17ROCPRIM_400000_NS6detail17trampoline_kernelINS0_14default_configENS1_35radix_sort_onesweep_config_selectorIdNS0_10empty_typeEEEZZNS1_29radix_sort_onesweep_iterationIS3_Lb1EPKdPdPS5_SB_mNS0_19identity_decomposerENS1_16block_id_wrapperIjLb1EEEEE10hipError_tT1_PNSt15iterator_traitsISG_E10value_typeET2_T3_PNSH_ISM_E10value_typeET4_T5_PSR_SS_PNS1_23onesweep_lookback_stateEbbT6_jjT7_P12ihipStream_tbENKUlT_T0_SG_SL_E_clISA_SA_SB_SB_EEDaSZ_S10_SG_SL_EUlSZ_E_NS1_11comp_targetILNS1_3genE4ELNS1_11target_archE910ELNS1_3gpuE8ELNS1_3repE0EEENS1_47radix_sort_onesweep_sort_config_static_selectorELNS0_4arch9wavefront6targetE0EEEvSG_,"axG",@progbits,_ZN7rocprim17ROCPRIM_400000_NS6detail17trampoline_kernelINS0_14default_configENS1_35radix_sort_onesweep_config_selectorIdNS0_10empty_typeEEEZZNS1_29radix_sort_onesweep_iterationIS3_Lb1EPKdPdPS5_SB_mNS0_19identity_decomposerENS1_16block_id_wrapperIjLb1EEEEE10hipError_tT1_PNSt15iterator_traitsISG_E10value_typeET2_T3_PNSH_ISM_E10value_typeET4_T5_PSR_SS_PNS1_23onesweep_lookback_stateEbbT6_jjT7_P12ihipStream_tbENKUlT_T0_SG_SL_E_clISA_SA_SB_SB_EEDaSZ_S10_SG_SL_EUlSZ_E_NS1_11comp_targetILNS1_3genE4ELNS1_11target_archE910ELNS1_3gpuE8ELNS1_3repE0EEENS1_47radix_sort_onesweep_sort_config_static_selectorELNS0_4arch9wavefront6targetE0EEEvSG_,comdat
.Lfunc_end1531:
	.size	_ZN7rocprim17ROCPRIM_400000_NS6detail17trampoline_kernelINS0_14default_configENS1_35radix_sort_onesweep_config_selectorIdNS0_10empty_typeEEEZZNS1_29radix_sort_onesweep_iterationIS3_Lb1EPKdPdPS5_SB_mNS0_19identity_decomposerENS1_16block_id_wrapperIjLb1EEEEE10hipError_tT1_PNSt15iterator_traitsISG_E10value_typeET2_T3_PNSH_ISM_E10value_typeET4_T5_PSR_SS_PNS1_23onesweep_lookback_stateEbbT6_jjT7_P12ihipStream_tbENKUlT_T0_SG_SL_E_clISA_SA_SB_SB_EEDaSZ_S10_SG_SL_EUlSZ_E_NS1_11comp_targetILNS1_3genE4ELNS1_11target_archE910ELNS1_3gpuE8ELNS1_3repE0EEENS1_47radix_sort_onesweep_sort_config_static_selectorELNS0_4arch9wavefront6targetE0EEEvSG_, .Lfunc_end1531-_ZN7rocprim17ROCPRIM_400000_NS6detail17trampoline_kernelINS0_14default_configENS1_35radix_sort_onesweep_config_selectorIdNS0_10empty_typeEEEZZNS1_29radix_sort_onesweep_iterationIS3_Lb1EPKdPdPS5_SB_mNS0_19identity_decomposerENS1_16block_id_wrapperIjLb1EEEEE10hipError_tT1_PNSt15iterator_traitsISG_E10value_typeET2_T3_PNSH_ISM_E10value_typeET4_T5_PSR_SS_PNS1_23onesweep_lookback_stateEbbT6_jjT7_P12ihipStream_tbENKUlT_T0_SG_SL_E_clISA_SA_SB_SB_EEDaSZ_S10_SG_SL_EUlSZ_E_NS1_11comp_targetILNS1_3genE4ELNS1_11target_archE910ELNS1_3gpuE8ELNS1_3repE0EEENS1_47radix_sort_onesweep_sort_config_static_selectorELNS0_4arch9wavefront6targetE0EEEvSG_
                                        ; -- End function
	.set _ZN7rocprim17ROCPRIM_400000_NS6detail17trampoline_kernelINS0_14default_configENS1_35radix_sort_onesweep_config_selectorIdNS0_10empty_typeEEEZZNS1_29radix_sort_onesweep_iterationIS3_Lb1EPKdPdPS5_SB_mNS0_19identity_decomposerENS1_16block_id_wrapperIjLb1EEEEE10hipError_tT1_PNSt15iterator_traitsISG_E10value_typeET2_T3_PNSH_ISM_E10value_typeET4_T5_PSR_SS_PNS1_23onesweep_lookback_stateEbbT6_jjT7_P12ihipStream_tbENKUlT_T0_SG_SL_E_clISA_SA_SB_SB_EEDaSZ_S10_SG_SL_EUlSZ_E_NS1_11comp_targetILNS1_3genE4ELNS1_11target_archE910ELNS1_3gpuE8ELNS1_3repE0EEENS1_47radix_sort_onesweep_sort_config_static_selectorELNS0_4arch9wavefront6targetE0EEEvSG_.num_vgpr, 0
	.set _ZN7rocprim17ROCPRIM_400000_NS6detail17trampoline_kernelINS0_14default_configENS1_35radix_sort_onesweep_config_selectorIdNS0_10empty_typeEEEZZNS1_29radix_sort_onesweep_iterationIS3_Lb1EPKdPdPS5_SB_mNS0_19identity_decomposerENS1_16block_id_wrapperIjLb1EEEEE10hipError_tT1_PNSt15iterator_traitsISG_E10value_typeET2_T3_PNSH_ISM_E10value_typeET4_T5_PSR_SS_PNS1_23onesweep_lookback_stateEbbT6_jjT7_P12ihipStream_tbENKUlT_T0_SG_SL_E_clISA_SA_SB_SB_EEDaSZ_S10_SG_SL_EUlSZ_E_NS1_11comp_targetILNS1_3genE4ELNS1_11target_archE910ELNS1_3gpuE8ELNS1_3repE0EEENS1_47radix_sort_onesweep_sort_config_static_selectorELNS0_4arch9wavefront6targetE0EEEvSG_.num_agpr, 0
	.set _ZN7rocprim17ROCPRIM_400000_NS6detail17trampoline_kernelINS0_14default_configENS1_35radix_sort_onesweep_config_selectorIdNS0_10empty_typeEEEZZNS1_29radix_sort_onesweep_iterationIS3_Lb1EPKdPdPS5_SB_mNS0_19identity_decomposerENS1_16block_id_wrapperIjLb1EEEEE10hipError_tT1_PNSt15iterator_traitsISG_E10value_typeET2_T3_PNSH_ISM_E10value_typeET4_T5_PSR_SS_PNS1_23onesweep_lookback_stateEbbT6_jjT7_P12ihipStream_tbENKUlT_T0_SG_SL_E_clISA_SA_SB_SB_EEDaSZ_S10_SG_SL_EUlSZ_E_NS1_11comp_targetILNS1_3genE4ELNS1_11target_archE910ELNS1_3gpuE8ELNS1_3repE0EEENS1_47radix_sort_onesweep_sort_config_static_selectorELNS0_4arch9wavefront6targetE0EEEvSG_.numbered_sgpr, 0
	.set _ZN7rocprim17ROCPRIM_400000_NS6detail17trampoline_kernelINS0_14default_configENS1_35radix_sort_onesweep_config_selectorIdNS0_10empty_typeEEEZZNS1_29radix_sort_onesweep_iterationIS3_Lb1EPKdPdPS5_SB_mNS0_19identity_decomposerENS1_16block_id_wrapperIjLb1EEEEE10hipError_tT1_PNSt15iterator_traitsISG_E10value_typeET2_T3_PNSH_ISM_E10value_typeET4_T5_PSR_SS_PNS1_23onesweep_lookback_stateEbbT6_jjT7_P12ihipStream_tbENKUlT_T0_SG_SL_E_clISA_SA_SB_SB_EEDaSZ_S10_SG_SL_EUlSZ_E_NS1_11comp_targetILNS1_3genE4ELNS1_11target_archE910ELNS1_3gpuE8ELNS1_3repE0EEENS1_47radix_sort_onesweep_sort_config_static_selectorELNS0_4arch9wavefront6targetE0EEEvSG_.num_named_barrier, 0
	.set _ZN7rocprim17ROCPRIM_400000_NS6detail17trampoline_kernelINS0_14default_configENS1_35radix_sort_onesweep_config_selectorIdNS0_10empty_typeEEEZZNS1_29radix_sort_onesweep_iterationIS3_Lb1EPKdPdPS5_SB_mNS0_19identity_decomposerENS1_16block_id_wrapperIjLb1EEEEE10hipError_tT1_PNSt15iterator_traitsISG_E10value_typeET2_T3_PNSH_ISM_E10value_typeET4_T5_PSR_SS_PNS1_23onesweep_lookback_stateEbbT6_jjT7_P12ihipStream_tbENKUlT_T0_SG_SL_E_clISA_SA_SB_SB_EEDaSZ_S10_SG_SL_EUlSZ_E_NS1_11comp_targetILNS1_3genE4ELNS1_11target_archE910ELNS1_3gpuE8ELNS1_3repE0EEENS1_47radix_sort_onesweep_sort_config_static_selectorELNS0_4arch9wavefront6targetE0EEEvSG_.private_seg_size, 0
	.set _ZN7rocprim17ROCPRIM_400000_NS6detail17trampoline_kernelINS0_14default_configENS1_35radix_sort_onesweep_config_selectorIdNS0_10empty_typeEEEZZNS1_29radix_sort_onesweep_iterationIS3_Lb1EPKdPdPS5_SB_mNS0_19identity_decomposerENS1_16block_id_wrapperIjLb1EEEEE10hipError_tT1_PNSt15iterator_traitsISG_E10value_typeET2_T3_PNSH_ISM_E10value_typeET4_T5_PSR_SS_PNS1_23onesweep_lookback_stateEbbT6_jjT7_P12ihipStream_tbENKUlT_T0_SG_SL_E_clISA_SA_SB_SB_EEDaSZ_S10_SG_SL_EUlSZ_E_NS1_11comp_targetILNS1_3genE4ELNS1_11target_archE910ELNS1_3gpuE8ELNS1_3repE0EEENS1_47radix_sort_onesweep_sort_config_static_selectorELNS0_4arch9wavefront6targetE0EEEvSG_.uses_vcc, 0
	.set _ZN7rocprim17ROCPRIM_400000_NS6detail17trampoline_kernelINS0_14default_configENS1_35radix_sort_onesweep_config_selectorIdNS0_10empty_typeEEEZZNS1_29radix_sort_onesweep_iterationIS3_Lb1EPKdPdPS5_SB_mNS0_19identity_decomposerENS1_16block_id_wrapperIjLb1EEEEE10hipError_tT1_PNSt15iterator_traitsISG_E10value_typeET2_T3_PNSH_ISM_E10value_typeET4_T5_PSR_SS_PNS1_23onesweep_lookback_stateEbbT6_jjT7_P12ihipStream_tbENKUlT_T0_SG_SL_E_clISA_SA_SB_SB_EEDaSZ_S10_SG_SL_EUlSZ_E_NS1_11comp_targetILNS1_3genE4ELNS1_11target_archE910ELNS1_3gpuE8ELNS1_3repE0EEENS1_47radix_sort_onesweep_sort_config_static_selectorELNS0_4arch9wavefront6targetE0EEEvSG_.uses_flat_scratch, 0
	.set _ZN7rocprim17ROCPRIM_400000_NS6detail17trampoline_kernelINS0_14default_configENS1_35radix_sort_onesweep_config_selectorIdNS0_10empty_typeEEEZZNS1_29radix_sort_onesweep_iterationIS3_Lb1EPKdPdPS5_SB_mNS0_19identity_decomposerENS1_16block_id_wrapperIjLb1EEEEE10hipError_tT1_PNSt15iterator_traitsISG_E10value_typeET2_T3_PNSH_ISM_E10value_typeET4_T5_PSR_SS_PNS1_23onesweep_lookback_stateEbbT6_jjT7_P12ihipStream_tbENKUlT_T0_SG_SL_E_clISA_SA_SB_SB_EEDaSZ_S10_SG_SL_EUlSZ_E_NS1_11comp_targetILNS1_3genE4ELNS1_11target_archE910ELNS1_3gpuE8ELNS1_3repE0EEENS1_47radix_sort_onesweep_sort_config_static_selectorELNS0_4arch9wavefront6targetE0EEEvSG_.has_dyn_sized_stack, 0
	.set _ZN7rocprim17ROCPRIM_400000_NS6detail17trampoline_kernelINS0_14default_configENS1_35radix_sort_onesweep_config_selectorIdNS0_10empty_typeEEEZZNS1_29radix_sort_onesweep_iterationIS3_Lb1EPKdPdPS5_SB_mNS0_19identity_decomposerENS1_16block_id_wrapperIjLb1EEEEE10hipError_tT1_PNSt15iterator_traitsISG_E10value_typeET2_T3_PNSH_ISM_E10value_typeET4_T5_PSR_SS_PNS1_23onesweep_lookback_stateEbbT6_jjT7_P12ihipStream_tbENKUlT_T0_SG_SL_E_clISA_SA_SB_SB_EEDaSZ_S10_SG_SL_EUlSZ_E_NS1_11comp_targetILNS1_3genE4ELNS1_11target_archE910ELNS1_3gpuE8ELNS1_3repE0EEENS1_47radix_sort_onesweep_sort_config_static_selectorELNS0_4arch9wavefront6targetE0EEEvSG_.has_recursion, 0
	.set _ZN7rocprim17ROCPRIM_400000_NS6detail17trampoline_kernelINS0_14default_configENS1_35radix_sort_onesweep_config_selectorIdNS0_10empty_typeEEEZZNS1_29radix_sort_onesweep_iterationIS3_Lb1EPKdPdPS5_SB_mNS0_19identity_decomposerENS1_16block_id_wrapperIjLb1EEEEE10hipError_tT1_PNSt15iterator_traitsISG_E10value_typeET2_T3_PNSH_ISM_E10value_typeET4_T5_PSR_SS_PNS1_23onesweep_lookback_stateEbbT6_jjT7_P12ihipStream_tbENKUlT_T0_SG_SL_E_clISA_SA_SB_SB_EEDaSZ_S10_SG_SL_EUlSZ_E_NS1_11comp_targetILNS1_3genE4ELNS1_11target_archE910ELNS1_3gpuE8ELNS1_3repE0EEENS1_47radix_sort_onesweep_sort_config_static_selectorELNS0_4arch9wavefront6targetE0EEEvSG_.has_indirect_call, 0
	.section	.AMDGPU.csdata,"",@progbits
; Kernel info:
; codeLenInByte = 0
; TotalNumSgprs: 0
; NumVgprs: 0
; ScratchSize: 0
; MemoryBound: 0
; FloatMode: 240
; IeeeMode: 1
; LDSByteSize: 0 bytes/workgroup (compile time only)
; SGPRBlocks: 0
; VGPRBlocks: 0
; NumSGPRsForWavesPerEU: 1
; NumVGPRsForWavesPerEU: 1
; NamedBarCnt: 0
; Occupancy: 16
; WaveLimiterHint : 0
; COMPUTE_PGM_RSRC2:SCRATCH_EN: 0
; COMPUTE_PGM_RSRC2:USER_SGPR: 2
; COMPUTE_PGM_RSRC2:TRAP_HANDLER: 0
; COMPUTE_PGM_RSRC2:TGID_X_EN: 1
; COMPUTE_PGM_RSRC2:TGID_Y_EN: 0
; COMPUTE_PGM_RSRC2:TGID_Z_EN: 0
; COMPUTE_PGM_RSRC2:TIDIG_COMP_CNT: 0
	.section	.text._ZN7rocprim17ROCPRIM_400000_NS6detail17trampoline_kernelINS0_14default_configENS1_35radix_sort_onesweep_config_selectorIdNS0_10empty_typeEEEZZNS1_29radix_sort_onesweep_iterationIS3_Lb1EPKdPdPS5_SB_mNS0_19identity_decomposerENS1_16block_id_wrapperIjLb1EEEEE10hipError_tT1_PNSt15iterator_traitsISG_E10value_typeET2_T3_PNSH_ISM_E10value_typeET4_T5_PSR_SS_PNS1_23onesweep_lookback_stateEbbT6_jjT7_P12ihipStream_tbENKUlT_T0_SG_SL_E_clISA_SA_SB_SB_EEDaSZ_S10_SG_SL_EUlSZ_E_NS1_11comp_targetILNS1_3genE3ELNS1_11target_archE908ELNS1_3gpuE7ELNS1_3repE0EEENS1_47radix_sort_onesweep_sort_config_static_selectorELNS0_4arch9wavefront6targetE0EEEvSG_,"axG",@progbits,_ZN7rocprim17ROCPRIM_400000_NS6detail17trampoline_kernelINS0_14default_configENS1_35radix_sort_onesweep_config_selectorIdNS0_10empty_typeEEEZZNS1_29radix_sort_onesweep_iterationIS3_Lb1EPKdPdPS5_SB_mNS0_19identity_decomposerENS1_16block_id_wrapperIjLb1EEEEE10hipError_tT1_PNSt15iterator_traitsISG_E10value_typeET2_T3_PNSH_ISM_E10value_typeET4_T5_PSR_SS_PNS1_23onesweep_lookback_stateEbbT6_jjT7_P12ihipStream_tbENKUlT_T0_SG_SL_E_clISA_SA_SB_SB_EEDaSZ_S10_SG_SL_EUlSZ_E_NS1_11comp_targetILNS1_3genE3ELNS1_11target_archE908ELNS1_3gpuE7ELNS1_3repE0EEENS1_47radix_sort_onesweep_sort_config_static_selectorELNS0_4arch9wavefront6targetE0EEEvSG_,comdat
	.protected	_ZN7rocprim17ROCPRIM_400000_NS6detail17trampoline_kernelINS0_14default_configENS1_35radix_sort_onesweep_config_selectorIdNS0_10empty_typeEEEZZNS1_29radix_sort_onesweep_iterationIS3_Lb1EPKdPdPS5_SB_mNS0_19identity_decomposerENS1_16block_id_wrapperIjLb1EEEEE10hipError_tT1_PNSt15iterator_traitsISG_E10value_typeET2_T3_PNSH_ISM_E10value_typeET4_T5_PSR_SS_PNS1_23onesweep_lookback_stateEbbT6_jjT7_P12ihipStream_tbENKUlT_T0_SG_SL_E_clISA_SA_SB_SB_EEDaSZ_S10_SG_SL_EUlSZ_E_NS1_11comp_targetILNS1_3genE3ELNS1_11target_archE908ELNS1_3gpuE7ELNS1_3repE0EEENS1_47radix_sort_onesweep_sort_config_static_selectorELNS0_4arch9wavefront6targetE0EEEvSG_ ; -- Begin function _ZN7rocprim17ROCPRIM_400000_NS6detail17trampoline_kernelINS0_14default_configENS1_35radix_sort_onesweep_config_selectorIdNS0_10empty_typeEEEZZNS1_29radix_sort_onesweep_iterationIS3_Lb1EPKdPdPS5_SB_mNS0_19identity_decomposerENS1_16block_id_wrapperIjLb1EEEEE10hipError_tT1_PNSt15iterator_traitsISG_E10value_typeET2_T3_PNSH_ISM_E10value_typeET4_T5_PSR_SS_PNS1_23onesweep_lookback_stateEbbT6_jjT7_P12ihipStream_tbENKUlT_T0_SG_SL_E_clISA_SA_SB_SB_EEDaSZ_S10_SG_SL_EUlSZ_E_NS1_11comp_targetILNS1_3genE3ELNS1_11target_archE908ELNS1_3gpuE7ELNS1_3repE0EEENS1_47radix_sort_onesweep_sort_config_static_selectorELNS0_4arch9wavefront6targetE0EEEvSG_
	.globl	_ZN7rocprim17ROCPRIM_400000_NS6detail17trampoline_kernelINS0_14default_configENS1_35radix_sort_onesweep_config_selectorIdNS0_10empty_typeEEEZZNS1_29radix_sort_onesweep_iterationIS3_Lb1EPKdPdPS5_SB_mNS0_19identity_decomposerENS1_16block_id_wrapperIjLb1EEEEE10hipError_tT1_PNSt15iterator_traitsISG_E10value_typeET2_T3_PNSH_ISM_E10value_typeET4_T5_PSR_SS_PNS1_23onesweep_lookback_stateEbbT6_jjT7_P12ihipStream_tbENKUlT_T0_SG_SL_E_clISA_SA_SB_SB_EEDaSZ_S10_SG_SL_EUlSZ_E_NS1_11comp_targetILNS1_3genE3ELNS1_11target_archE908ELNS1_3gpuE7ELNS1_3repE0EEENS1_47radix_sort_onesweep_sort_config_static_selectorELNS0_4arch9wavefront6targetE0EEEvSG_
	.p2align	8
	.type	_ZN7rocprim17ROCPRIM_400000_NS6detail17trampoline_kernelINS0_14default_configENS1_35radix_sort_onesweep_config_selectorIdNS0_10empty_typeEEEZZNS1_29radix_sort_onesweep_iterationIS3_Lb1EPKdPdPS5_SB_mNS0_19identity_decomposerENS1_16block_id_wrapperIjLb1EEEEE10hipError_tT1_PNSt15iterator_traitsISG_E10value_typeET2_T3_PNSH_ISM_E10value_typeET4_T5_PSR_SS_PNS1_23onesweep_lookback_stateEbbT6_jjT7_P12ihipStream_tbENKUlT_T0_SG_SL_E_clISA_SA_SB_SB_EEDaSZ_S10_SG_SL_EUlSZ_E_NS1_11comp_targetILNS1_3genE3ELNS1_11target_archE908ELNS1_3gpuE7ELNS1_3repE0EEENS1_47radix_sort_onesweep_sort_config_static_selectorELNS0_4arch9wavefront6targetE0EEEvSG_,@function
_ZN7rocprim17ROCPRIM_400000_NS6detail17trampoline_kernelINS0_14default_configENS1_35radix_sort_onesweep_config_selectorIdNS0_10empty_typeEEEZZNS1_29radix_sort_onesweep_iterationIS3_Lb1EPKdPdPS5_SB_mNS0_19identity_decomposerENS1_16block_id_wrapperIjLb1EEEEE10hipError_tT1_PNSt15iterator_traitsISG_E10value_typeET2_T3_PNSH_ISM_E10value_typeET4_T5_PSR_SS_PNS1_23onesweep_lookback_stateEbbT6_jjT7_P12ihipStream_tbENKUlT_T0_SG_SL_E_clISA_SA_SB_SB_EEDaSZ_S10_SG_SL_EUlSZ_E_NS1_11comp_targetILNS1_3genE3ELNS1_11target_archE908ELNS1_3gpuE7ELNS1_3repE0EEENS1_47radix_sort_onesweep_sort_config_static_selectorELNS0_4arch9wavefront6targetE0EEEvSG_: ; @_ZN7rocprim17ROCPRIM_400000_NS6detail17trampoline_kernelINS0_14default_configENS1_35radix_sort_onesweep_config_selectorIdNS0_10empty_typeEEEZZNS1_29radix_sort_onesweep_iterationIS3_Lb1EPKdPdPS5_SB_mNS0_19identity_decomposerENS1_16block_id_wrapperIjLb1EEEEE10hipError_tT1_PNSt15iterator_traitsISG_E10value_typeET2_T3_PNSH_ISM_E10value_typeET4_T5_PSR_SS_PNS1_23onesweep_lookback_stateEbbT6_jjT7_P12ihipStream_tbENKUlT_T0_SG_SL_E_clISA_SA_SB_SB_EEDaSZ_S10_SG_SL_EUlSZ_E_NS1_11comp_targetILNS1_3genE3ELNS1_11target_archE908ELNS1_3gpuE7ELNS1_3repE0EEENS1_47radix_sort_onesweep_sort_config_static_selectorELNS0_4arch9wavefront6targetE0EEEvSG_
; %bb.0:
	.section	.rodata,"a",@progbits
	.p2align	6, 0x0
	.amdhsa_kernel _ZN7rocprim17ROCPRIM_400000_NS6detail17trampoline_kernelINS0_14default_configENS1_35radix_sort_onesweep_config_selectorIdNS0_10empty_typeEEEZZNS1_29radix_sort_onesweep_iterationIS3_Lb1EPKdPdPS5_SB_mNS0_19identity_decomposerENS1_16block_id_wrapperIjLb1EEEEE10hipError_tT1_PNSt15iterator_traitsISG_E10value_typeET2_T3_PNSH_ISM_E10value_typeET4_T5_PSR_SS_PNS1_23onesweep_lookback_stateEbbT6_jjT7_P12ihipStream_tbENKUlT_T0_SG_SL_E_clISA_SA_SB_SB_EEDaSZ_S10_SG_SL_EUlSZ_E_NS1_11comp_targetILNS1_3genE3ELNS1_11target_archE908ELNS1_3gpuE7ELNS1_3repE0EEENS1_47radix_sort_onesweep_sort_config_static_selectorELNS0_4arch9wavefront6targetE0EEEvSG_
		.amdhsa_group_segment_fixed_size 0
		.amdhsa_private_segment_fixed_size 0
		.amdhsa_kernarg_size 88
		.amdhsa_user_sgpr_count 2
		.amdhsa_user_sgpr_dispatch_ptr 0
		.amdhsa_user_sgpr_queue_ptr 0
		.amdhsa_user_sgpr_kernarg_segment_ptr 1
		.amdhsa_user_sgpr_dispatch_id 0
		.amdhsa_user_sgpr_kernarg_preload_length 0
		.amdhsa_user_sgpr_kernarg_preload_offset 0
		.amdhsa_user_sgpr_private_segment_size 0
		.amdhsa_wavefront_size32 1
		.amdhsa_uses_dynamic_stack 0
		.amdhsa_enable_private_segment 0
		.amdhsa_system_sgpr_workgroup_id_x 1
		.amdhsa_system_sgpr_workgroup_id_y 0
		.amdhsa_system_sgpr_workgroup_id_z 0
		.amdhsa_system_sgpr_workgroup_info 0
		.amdhsa_system_vgpr_workitem_id 0
		.amdhsa_next_free_vgpr 1
		.amdhsa_next_free_sgpr 1
		.amdhsa_named_barrier_count 0
		.amdhsa_reserve_vcc 0
		.amdhsa_float_round_mode_32 0
		.amdhsa_float_round_mode_16_64 0
		.amdhsa_float_denorm_mode_32 3
		.amdhsa_float_denorm_mode_16_64 3
		.amdhsa_fp16_overflow 0
		.amdhsa_memory_ordered 1
		.amdhsa_forward_progress 1
		.amdhsa_inst_pref_size 0
		.amdhsa_round_robin_scheduling 0
		.amdhsa_exception_fp_ieee_invalid_op 0
		.amdhsa_exception_fp_denorm_src 0
		.amdhsa_exception_fp_ieee_div_zero 0
		.amdhsa_exception_fp_ieee_overflow 0
		.amdhsa_exception_fp_ieee_underflow 0
		.amdhsa_exception_fp_ieee_inexact 0
		.amdhsa_exception_int_div_zero 0
	.end_amdhsa_kernel
	.section	.text._ZN7rocprim17ROCPRIM_400000_NS6detail17trampoline_kernelINS0_14default_configENS1_35radix_sort_onesweep_config_selectorIdNS0_10empty_typeEEEZZNS1_29radix_sort_onesweep_iterationIS3_Lb1EPKdPdPS5_SB_mNS0_19identity_decomposerENS1_16block_id_wrapperIjLb1EEEEE10hipError_tT1_PNSt15iterator_traitsISG_E10value_typeET2_T3_PNSH_ISM_E10value_typeET4_T5_PSR_SS_PNS1_23onesweep_lookback_stateEbbT6_jjT7_P12ihipStream_tbENKUlT_T0_SG_SL_E_clISA_SA_SB_SB_EEDaSZ_S10_SG_SL_EUlSZ_E_NS1_11comp_targetILNS1_3genE3ELNS1_11target_archE908ELNS1_3gpuE7ELNS1_3repE0EEENS1_47radix_sort_onesweep_sort_config_static_selectorELNS0_4arch9wavefront6targetE0EEEvSG_,"axG",@progbits,_ZN7rocprim17ROCPRIM_400000_NS6detail17trampoline_kernelINS0_14default_configENS1_35radix_sort_onesweep_config_selectorIdNS0_10empty_typeEEEZZNS1_29radix_sort_onesweep_iterationIS3_Lb1EPKdPdPS5_SB_mNS0_19identity_decomposerENS1_16block_id_wrapperIjLb1EEEEE10hipError_tT1_PNSt15iterator_traitsISG_E10value_typeET2_T3_PNSH_ISM_E10value_typeET4_T5_PSR_SS_PNS1_23onesweep_lookback_stateEbbT6_jjT7_P12ihipStream_tbENKUlT_T0_SG_SL_E_clISA_SA_SB_SB_EEDaSZ_S10_SG_SL_EUlSZ_E_NS1_11comp_targetILNS1_3genE3ELNS1_11target_archE908ELNS1_3gpuE7ELNS1_3repE0EEENS1_47radix_sort_onesweep_sort_config_static_selectorELNS0_4arch9wavefront6targetE0EEEvSG_,comdat
.Lfunc_end1532:
	.size	_ZN7rocprim17ROCPRIM_400000_NS6detail17trampoline_kernelINS0_14default_configENS1_35radix_sort_onesweep_config_selectorIdNS0_10empty_typeEEEZZNS1_29radix_sort_onesweep_iterationIS3_Lb1EPKdPdPS5_SB_mNS0_19identity_decomposerENS1_16block_id_wrapperIjLb1EEEEE10hipError_tT1_PNSt15iterator_traitsISG_E10value_typeET2_T3_PNSH_ISM_E10value_typeET4_T5_PSR_SS_PNS1_23onesweep_lookback_stateEbbT6_jjT7_P12ihipStream_tbENKUlT_T0_SG_SL_E_clISA_SA_SB_SB_EEDaSZ_S10_SG_SL_EUlSZ_E_NS1_11comp_targetILNS1_3genE3ELNS1_11target_archE908ELNS1_3gpuE7ELNS1_3repE0EEENS1_47radix_sort_onesweep_sort_config_static_selectorELNS0_4arch9wavefront6targetE0EEEvSG_, .Lfunc_end1532-_ZN7rocprim17ROCPRIM_400000_NS6detail17trampoline_kernelINS0_14default_configENS1_35radix_sort_onesweep_config_selectorIdNS0_10empty_typeEEEZZNS1_29radix_sort_onesweep_iterationIS3_Lb1EPKdPdPS5_SB_mNS0_19identity_decomposerENS1_16block_id_wrapperIjLb1EEEEE10hipError_tT1_PNSt15iterator_traitsISG_E10value_typeET2_T3_PNSH_ISM_E10value_typeET4_T5_PSR_SS_PNS1_23onesweep_lookback_stateEbbT6_jjT7_P12ihipStream_tbENKUlT_T0_SG_SL_E_clISA_SA_SB_SB_EEDaSZ_S10_SG_SL_EUlSZ_E_NS1_11comp_targetILNS1_3genE3ELNS1_11target_archE908ELNS1_3gpuE7ELNS1_3repE0EEENS1_47radix_sort_onesweep_sort_config_static_selectorELNS0_4arch9wavefront6targetE0EEEvSG_
                                        ; -- End function
	.set _ZN7rocprim17ROCPRIM_400000_NS6detail17trampoline_kernelINS0_14default_configENS1_35radix_sort_onesweep_config_selectorIdNS0_10empty_typeEEEZZNS1_29radix_sort_onesweep_iterationIS3_Lb1EPKdPdPS5_SB_mNS0_19identity_decomposerENS1_16block_id_wrapperIjLb1EEEEE10hipError_tT1_PNSt15iterator_traitsISG_E10value_typeET2_T3_PNSH_ISM_E10value_typeET4_T5_PSR_SS_PNS1_23onesweep_lookback_stateEbbT6_jjT7_P12ihipStream_tbENKUlT_T0_SG_SL_E_clISA_SA_SB_SB_EEDaSZ_S10_SG_SL_EUlSZ_E_NS1_11comp_targetILNS1_3genE3ELNS1_11target_archE908ELNS1_3gpuE7ELNS1_3repE0EEENS1_47radix_sort_onesweep_sort_config_static_selectorELNS0_4arch9wavefront6targetE0EEEvSG_.num_vgpr, 0
	.set _ZN7rocprim17ROCPRIM_400000_NS6detail17trampoline_kernelINS0_14default_configENS1_35radix_sort_onesweep_config_selectorIdNS0_10empty_typeEEEZZNS1_29radix_sort_onesweep_iterationIS3_Lb1EPKdPdPS5_SB_mNS0_19identity_decomposerENS1_16block_id_wrapperIjLb1EEEEE10hipError_tT1_PNSt15iterator_traitsISG_E10value_typeET2_T3_PNSH_ISM_E10value_typeET4_T5_PSR_SS_PNS1_23onesweep_lookback_stateEbbT6_jjT7_P12ihipStream_tbENKUlT_T0_SG_SL_E_clISA_SA_SB_SB_EEDaSZ_S10_SG_SL_EUlSZ_E_NS1_11comp_targetILNS1_3genE3ELNS1_11target_archE908ELNS1_3gpuE7ELNS1_3repE0EEENS1_47radix_sort_onesweep_sort_config_static_selectorELNS0_4arch9wavefront6targetE0EEEvSG_.num_agpr, 0
	.set _ZN7rocprim17ROCPRIM_400000_NS6detail17trampoline_kernelINS0_14default_configENS1_35radix_sort_onesweep_config_selectorIdNS0_10empty_typeEEEZZNS1_29radix_sort_onesweep_iterationIS3_Lb1EPKdPdPS5_SB_mNS0_19identity_decomposerENS1_16block_id_wrapperIjLb1EEEEE10hipError_tT1_PNSt15iterator_traitsISG_E10value_typeET2_T3_PNSH_ISM_E10value_typeET4_T5_PSR_SS_PNS1_23onesweep_lookback_stateEbbT6_jjT7_P12ihipStream_tbENKUlT_T0_SG_SL_E_clISA_SA_SB_SB_EEDaSZ_S10_SG_SL_EUlSZ_E_NS1_11comp_targetILNS1_3genE3ELNS1_11target_archE908ELNS1_3gpuE7ELNS1_3repE0EEENS1_47radix_sort_onesweep_sort_config_static_selectorELNS0_4arch9wavefront6targetE0EEEvSG_.numbered_sgpr, 0
	.set _ZN7rocprim17ROCPRIM_400000_NS6detail17trampoline_kernelINS0_14default_configENS1_35radix_sort_onesweep_config_selectorIdNS0_10empty_typeEEEZZNS1_29radix_sort_onesweep_iterationIS3_Lb1EPKdPdPS5_SB_mNS0_19identity_decomposerENS1_16block_id_wrapperIjLb1EEEEE10hipError_tT1_PNSt15iterator_traitsISG_E10value_typeET2_T3_PNSH_ISM_E10value_typeET4_T5_PSR_SS_PNS1_23onesweep_lookback_stateEbbT6_jjT7_P12ihipStream_tbENKUlT_T0_SG_SL_E_clISA_SA_SB_SB_EEDaSZ_S10_SG_SL_EUlSZ_E_NS1_11comp_targetILNS1_3genE3ELNS1_11target_archE908ELNS1_3gpuE7ELNS1_3repE0EEENS1_47radix_sort_onesweep_sort_config_static_selectorELNS0_4arch9wavefront6targetE0EEEvSG_.num_named_barrier, 0
	.set _ZN7rocprim17ROCPRIM_400000_NS6detail17trampoline_kernelINS0_14default_configENS1_35radix_sort_onesweep_config_selectorIdNS0_10empty_typeEEEZZNS1_29radix_sort_onesweep_iterationIS3_Lb1EPKdPdPS5_SB_mNS0_19identity_decomposerENS1_16block_id_wrapperIjLb1EEEEE10hipError_tT1_PNSt15iterator_traitsISG_E10value_typeET2_T3_PNSH_ISM_E10value_typeET4_T5_PSR_SS_PNS1_23onesweep_lookback_stateEbbT6_jjT7_P12ihipStream_tbENKUlT_T0_SG_SL_E_clISA_SA_SB_SB_EEDaSZ_S10_SG_SL_EUlSZ_E_NS1_11comp_targetILNS1_3genE3ELNS1_11target_archE908ELNS1_3gpuE7ELNS1_3repE0EEENS1_47radix_sort_onesweep_sort_config_static_selectorELNS0_4arch9wavefront6targetE0EEEvSG_.private_seg_size, 0
	.set _ZN7rocprim17ROCPRIM_400000_NS6detail17trampoline_kernelINS0_14default_configENS1_35radix_sort_onesweep_config_selectorIdNS0_10empty_typeEEEZZNS1_29radix_sort_onesweep_iterationIS3_Lb1EPKdPdPS5_SB_mNS0_19identity_decomposerENS1_16block_id_wrapperIjLb1EEEEE10hipError_tT1_PNSt15iterator_traitsISG_E10value_typeET2_T3_PNSH_ISM_E10value_typeET4_T5_PSR_SS_PNS1_23onesweep_lookback_stateEbbT6_jjT7_P12ihipStream_tbENKUlT_T0_SG_SL_E_clISA_SA_SB_SB_EEDaSZ_S10_SG_SL_EUlSZ_E_NS1_11comp_targetILNS1_3genE3ELNS1_11target_archE908ELNS1_3gpuE7ELNS1_3repE0EEENS1_47radix_sort_onesweep_sort_config_static_selectorELNS0_4arch9wavefront6targetE0EEEvSG_.uses_vcc, 0
	.set _ZN7rocprim17ROCPRIM_400000_NS6detail17trampoline_kernelINS0_14default_configENS1_35radix_sort_onesweep_config_selectorIdNS0_10empty_typeEEEZZNS1_29radix_sort_onesweep_iterationIS3_Lb1EPKdPdPS5_SB_mNS0_19identity_decomposerENS1_16block_id_wrapperIjLb1EEEEE10hipError_tT1_PNSt15iterator_traitsISG_E10value_typeET2_T3_PNSH_ISM_E10value_typeET4_T5_PSR_SS_PNS1_23onesweep_lookback_stateEbbT6_jjT7_P12ihipStream_tbENKUlT_T0_SG_SL_E_clISA_SA_SB_SB_EEDaSZ_S10_SG_SL_EUlSZ_E_NS1_11comp_targetILNS1_3genE3ELNS1_11target_archE908ELNS1_3gpuE7ELNS1_3repE0EEENS1_47radix_sort_onesweep_sort_config_static_selectorELNS0_4arch9wavefront6targetE0EEEvSG_.uses_flat_scratch, 0
	.set _ZN7rocprim17ROCPRIM_400000_NS6detail17trampoline_kernelINS0_14default_configENS1_35radix_sort_onesweep_config_selectorIdNS0_10empty_typeEEEZZNS1_29radix_sort_onesweep_iterationIS3_Lb1EPKdPdPS5_SB_mNS0_19identity_decomposerENS1_16block_id_wrapperIjLb1EEEEE10hipError_tT1_PNSt15iterator_traitsISG_E10value_typeET2_T3_PNSH_ISM_E10value_typeET4_T5_PSR_SS_PNS1_23onesweep_lookback_stateEbbT6_jjT7_P12ihipStream_tbENKUlT_T0_SG_SL_E_clISA_SA_SB_SB_EEDaSZ_S10_SG_SL_EUlSZ_E_NS1_11comp_targetILNS1_3genE3ELNS1_11target_archE908ELNS1_3gpuE7ELNS1_3repE0EEENS1_47radix_sort_onesweep_sort_config_static_selectorELNS0_4arch9wavefront6targetE0EEEvSG_.has_dyn_sized_stack, 0
	.set _ZN7rocprim17ROCPRIM_400000_NS6detail17trampoline_kernelINS0_14default_configENS1_35radix_sort_onesweep_config_selectorIdNS0_10empty_typeEEEZZNS1_29radix_sort_onesweep_iterationIS3_Lb1EPKdPdPS5_SB_mNS0_19identity_decomposerENS1_16block_id_wrapperIjLb1EEEEE10hipError_tT1_PNSt15iterator_traitsISG_E10value_typeET2_T3_PNSH_ISM_E10value_typeET4_T5_PSR_SS_PNS1_23onesweep_lookback_stateEbbT6_jjT7_P12ihipStream_tbENKUlT_T0_SG_SL_E_clISA_SA_SB_SB_EEDaSZ_S10_SG_SL_EUlSZ_E_NS1_11comp_targetILNS1_3genE3ELNS1_11target_archE908ELNS1_3gpuE7ELNS1_3repE0EEENS1_47radix_sort_onesweep_sort_config_static_selectorELNS0_4arch9wavefront6targetE0EEEvSG_.has_recursion, 0
	.set _ZN7rocprim17ROCPRIM_400000_NS6detail17trampoline_kernelINS0_14default_configENS1_35radix_sort_onesweep_config_selectorIdNS0_10empty_typeEEEZZNS1_29radix_sort_onesweep_iterationIS3_Lb1EPKdPdPS5_SB_mNS0_19identity_decomposerENS1_16block_id_wrapperIjLb1EEEEE10hipError_tT1_PNSt15iterator_traitsISG_E10value_typeET2_T3_PNSH_ISM_E10value_typeET4_T5_PSR_SS_PNS1_23onesweep_lookback_stateEbbT6_jjT7_P12ihipStream_tbENKUlT_T0_SG_SL_E_clISA_SA_SB_SB_EEDaSZ_S10_SG_SL_EUlSZ_E_NS1_11comp_targetILNS1_3genE3ELNS1_11target_archE908ELNS1_3gpuE7ELNS1_3repE0EEENS1_47radix_sort_onesweep_sort_config_static_selectorELNS0_4arch9wavefront6targetE0EEEvSG_.has_indirect_call, 0
	.section	.AMDGPU.csdata,"",@progbits
; Kernel info:
; codeLenInByte = 0
; TotalNumSgprs: 0
; NumVgprs: 0
; ScratchSize: 0
; MemoryBound: 0
; FloatMode: 240
; IeeeMode: 1
; LDSByteSize: 0 bytes/workgroup (compile time only)
; SGPRBlocks: 0
; VGPRBlocks: 0
; NumSGPRsForWavesPerEU: 1
; NumVGPRsForWavesPerEU: 1
; NamedBarCnt: 0
; Occupancy: 16
; WaveLimiterHint : 0
; COMPUTE_PGM_RSRC2:SCRATCH_EN: 0
; COMPUTE_PGM_RSRC2:USER_SGPR: 2
; COMPUTE_PGM_RSRC2:TRAP_HANDLER: 0
; COMPUTE_PGM_RSRC2:TGID_X_EN: 1
; COMPUTE_PGM_RSRC2:TGID_Y_EN: 0
; COMPUTE_PGM_RSRC2:TGID_Z_EN: 0
; COMPUTE_PGM_RSRC2:TIDIG_COMP_CNT: 0
	.section	.text._ZN7rocprim17ROCPRIM_400000_NS6detail17trampoline_kernelINS0_14default_configENS1_35radix_sort_onesweep_config_selectorIdNS0_10empty_typeEEEZZNS1_29radix_sort_onesweep_iterationIS3_Lb1EPKdPdPS5_SB_mNS0_19identity_decomposerENS1_16block_id_wrapperIjLb1EEEEE10hipError_tT1_PNSt15iterator_traitsISG_E10value_typeET2_T3_PNSH_ISM_E10value_typeET4_T5_PSR_SS_PNS1_23onesweep_lookback_stateEbbT6_jjT7_P12ihipStream_tbENKUlT_T0_SG_SL_E_clISA_SA_SB_SB_EEDaSZ_S10_SG_SL_EUlSZ_E_NS1_11comp_targetILNS1_3genE10ELNS1_11target_archE1201ELNS1_3gpuE5ELNS1_3repE0EEENS1_47radix_sort_onesweep_sort_config_static_selectorELNS0_4arch9wavefront6targetE0EEEvSG_,"axG",@progbits,_ZN7rocprim17ROCPRIM_400000_NS6detail17trampoline_kernelINS0_14default_configENS1_35radix_sort_onesweep_config_selectorIdNS0_10empty_typeEEEZZNS1_29radix_sort_onesweep_iterationIS3_Lb1EPKdPdPS5_SB_mNS0_19identity_decomposerENS1_16block_id_wrapperIjLb1EEEEE10hipError_tT1_PNSt15iterator_traitsISG_E10value_typeET2_T3_PNSH_ISM_E10value_typeET4_T5_PSR_SS_PNS1_23onesweep_lookback_stateEbbT6_jjT7_P12ihipStream_tbENKUlT_T0_SG_SL_E_clISA_SA_SB_SB_EEDaSZ_S10_SG_SL_EUlSZ_E_NS1_11comp_targetILNS1_3genE10ELNS1_11target_archE1201ELNS1_3gpuE5ELNS1_3repE0EEENS1_47radix_sort_onesweep_sort_config_static_selectorELNS0_4arch9wavefront6targetE0EEEvSG_,comdat
	.protected	_ZN7rocprim17ROCPRIM_400000_NS6detail17trampoline_kernelINS0_14default_configENS1_35radix_sort_onesweep_config_selectorIdNS0_10empty_typeEEEZZNS1_29radix_sort_onesweep_iterationIS3_Lb1EPKdPdPS5_SB_mNS0_19identity_decomposerENS1_16block_id_wrapperIjLb1EEEEE10hipError_tT1_PNSt15iterator_traitsISG_E10value_typeET2_T3_PNSH_ISM_E10value_typeET4_T5_PSR_SS_PNS1_23onesweep_lookback_stateEbbT6_jjT7_P12ihipStream_tbENKUlT_T0_SG_SL_E_clISA_SA_SB_SB_EEDaSZ_S10_SG_SL_EUlSZ_E_NS1_11comp_targetILNS1_3genE10ELNS1_11target_archE1201ELNS1_3gpuE5ELNS1_3repE0EEENS1_47radix_sort_onesweep_sort_config_static_selectorELNS0_4arch9wavefront6targetE0EEEvSG_ ; -- Begin function _ZN7rocprim17ROCPRIM_400000_NS6detail17trampoline_kernelINS0_14default_configENS1_35radix_sort_onesweep_config_selectorIdNS0_10empty_typeEEEZZNS1_29radix_sort_onesweep_iterationIS3_Lb1EPKdPdPS5_SB_mNS0_19identity_decomposerENS1_16block_id_wrapperIjLb1EEEEE10hipError_tT1_PNSt15iterator_traitsISG_E10value_typeET2_T3_PNSH_ISM_E10value_typeET4_T5_PSR_SS_PNS1_23onesweep_lookback_stateEbbT6_jjT7_P12ihipStream_tbENKUlT_T0_SG_SL_E_clISA_SA_SB_SB_EEDaSZ_S10_SG_SL_EUlSZ_E_NS1_11comp_targetILNS1_3genE10ELNS1_11target_archE1201ELNS1_3gpuE5ELNS1_3repE0EEENS1_47radix_sort_onesweep_sort_config_static_selectorELNS0_4arch9wavefront6targetE0EEEvSG_
	.globl	_ZN7rocprim17ROCPRIM_400000_NS6detail17trampoline_kernelINS0_14default_configENS1_35radix_sort_onesweep_config_selectorIdNS0_10empty_typeEEEZZNS1_29radix_sort_onesweep_iterationIS3_Lb1EPKdPdPS5_SB_mNS0_19identity_decomposerENS1_16block_id_wrapperIjLb1EEEEE10hipError_tT1_PNSt15iterator_traitsISG_E10value_typeET2_T3_PNSH_ISM_E10value_typeET4_T5_PSR_SS_PNS1_23onesweep_lookback_stateEbbT6_jjT7_P12ihipStream_tbENKUlT_T0_SG_SL_E_clISA_SA_SB_SB_EEDaSZ_S10_SG_SL_EUlSZ_E_NS1_11comp_targetILNS1_3genE10ELNS1_11target_archE1201ELNS1_3gpuE5ELNS1_3repE0EEENS1_47radix_sort_onesweep_sort_config_static_selectorELNS0_4arch9wavefront6targetE0EEEvSG_
	.p2align	8
	.type	_ZN7rocprim17ROCPRIM_400000_NS6detail17trampoline_kernelINS0_14default_configENS1_35radix_sort_onesweep_config_selectorIdNS0_10empty_typeEEEZZNS1_29radix_sort_onesweep_iterationIS3_Lb1EPKdPdPS5_SB_mNS0_19identity_decomposerENS1_16block_id_wrapperIjLb1EEEEE10hipError_tT1_PNSt15iterator_traitsISG_E10value_typeET2_T3_PNSH_ISM_E10value_typeET4_T5_PSR_SS_PNS1_23onesweep_lookback_stateEbbT6_jjT7_P12ihipStream_tbENKUlT_T0_SG_SL_E_clISA_SA_SB_SB_EEDaSZ_S10_SG_SL_EUlSZ_E_NS1_11comp_targetILNS1_3genE10ELNS1_11target_archE1201ELNS1_3gpuE5ELNS1_3repE0EEENS1_47radix_sort_onesweep_sort_config_static_selectorELNS0_4arch9wavefront6targetE0EEEvSG_,@function
_ZN7rocprim17ROCPRIM_400000_NS6detail17trampoline_kernelINS0_14default_configENS1_35radix_sort_onesweep_config_selectorIdNS0_10empty_typeEEEZZNS1_29radix_sort_onesweep_iterationIS3_Lb1EPKdPdPS5_SB_mNS0_19identity_decomposerENS1_16block_id_wrapperIjLb1EEEEE10hipError_tT1_PNSt15iterator_traitsISG_E10value_typeET2_T3_PNSH_ISM_E10value_typeET4_T5_PSR_SS_PNS1_23onesweep_lookback_stateEbbT6_jjT7_P12ihipStream_tbENKUlT_T0_SG_SL_E_clISA_SA_SB_SB_EEDaSZ_S10_SG_SL_EUlSZ_E_NS1_11comp_targetILNS1_3genE10ELNS1_11target_archE1201ELNS1_3gpuE5ELNS1_3repE0EEENS1_47radix_sort_onesweep_sort_config_static_selectorELNS0_4arch9wavefront6targetE0EEEvSG_: ; @_ZN7rocprim17ROCPRIM_400000_NS6detail17trampoline_kernelINS0_14default_configENS1_35radix_sort_onesweep_config_selectorIdNS0_10empty_typeEEEZZNS1_29radix_sort_onesweep_iterationIS3_Lb1EPKdPdPS5_SB_mNS0_19identity_decomposerENS1_16block_id_wrapperIjLb1EEEEE10hipError_tT1_PNSt15iterator_traitsISG_E10value_typeET2_T3_PNSH_ISM_E10value_typeET4_T5_PSR_SS_PNS1_23onesweep_lookback_stateEbbT6_jjT7_P12ihipStream_tbENKUlT_T0_SG_SL_E_clISA_SA_SB_SB_EEDaSZ_S10_SG_SL_EUlSZ_E_NS1_11comp_targetILNS1_3genE10ELNS1_11target_archE1201ELNS1_3gpuE5ELNS1_3repE0EEENS1_47radix_sort_onesweep_sort_config_static_selectorELNS0_4arch9wavefront6targetE0EEEvSG_
; %bb.0:
	.section	.rodata,"a",@progbits
	.p2align	6, 0x0
	.amdhsa_kernel _ZN7rocprim17ROCPRIM_400000_NS6detail17trampoline_kernelINS0_14default_configENS1_35radix_sort_onesweep_config_selectorIdNS0_10empty_typeEEEZZNS1_29radix_sort_onesweep_iterationIS3_Lb1EPKdPdPS5_SB_mNS0_19identity_decomposerENS1_16block_id_wrapperIjLb1EEEEE10hipError_tT1_PNSt15iterator_traitsISG_E10value_typeET2_T3_PNSH_ISM_E10value_typeET4_T5_PSR_SS_PNS1_23onesweep_lookback_stateEbbT6_jjT7_P12ihipStream_tbENKUlT_T0_SG_SL_E_clISA_SA_SB_SB_EEDaSZ_S10_SG_SL_EUlSZ_E_NS1_11comp_targetILNS1_3genE10ELNS1_11target_archE1201ELNS1_3gpuE5ELNS1_3repE0EEENS1_47radix_sort_onesweep_sort_config_static_selectorELNS0_4arch9wavefront6targetE0EEEvSG_
		.amdhsa_group_segment_fixed_size 0
		.amdhsa_private_segment_fixed_size 0
		.amdhsa_kernarg_size 88
		.amdhsa_user_sgpr_count 2
		.amdhsa_user_sgpr_dispatch_ptr 0
		.amdhsa_user_sgpr_queue_ptr 0
		.amdhsa_user_sgpr_kernarg_segment_ptr 1
		.amdhsa_user_sgpr_dispatch_id 0
		.amdhsa_user_sgpr_kernarg_preload_length 0
		.amdhsa_user_sgpr_kernarg_preload_offset 0
		.amdhsa_user_sgpr_private_segment_size 0
		.amdhsa_wavefront_size32 1
		.amdhsa_uses_dynamic_stack 0
		.amdhsa_enable_private_segment 0
		.amdhsa_system_sgpr_workgroup_id_x 1
		.amdhsa_system_sgpr_workgroup_id_y 0
		.amdhsa_system_sgpr_workgroup_id_z 0
		.amdhsa_system_sgpr_workgroup_info 0
		.amdhsa_system_vgpr_workitem_id 0
		.amdhsa_next_free_vgpr 1
		.amdhsa_next_free_sgpr 1
		.amdhsa_named_barrier_count 0
		.amdhsa_reserve_vcc 0
		.amdhsa_float_round_mode_32 0
		.amdhsa_float_round_mode_16_64 0
		.amdhsa_float_denorm_mode_32 3
		.amdhsa_float_denorm_mode_16_64 3
		.amdhsa_fp16_overflow 0
		.amdhsa_memory_ordered 1
		.amdhsa_forward_progress 1
		.amdhsa_inst_pref_size 0
		.amdhsa_round_robin_scheduling 0
		.amdhsa_exception_fp_ieee_invalid_op 0
		.amdhsa_exception_fp_denorm_src 0
		.amdhsa_exception_fp_ieee_div_zero 0
		.amdhsa_exception_fp_ieee_overflow 0
		.amdhsa_exception_fp_ieee_underflow 0
		.amdhsa_exception_fp_ieee_inexact 0
		.amdhsa_exception_int_div_zero 0
	.end_amdhsa_kernel
	.section	.text._ZN7rocprim17ROCPRIM_400000_NS6detail17trampoline_kernelINS0_14default_configENS1_35radix_sort_onesweep_config_selectorIdNS0_10empty_typeEEEZZNS1_29radix_sort_onesweep_iterationIS3_Lb1EPKdPdPS5_SB_mNS0_19identity_decomposerENS1_16block_id_wrapperIjLb1EEEEE10hipError_tT1_PNSt15iterator_traitsISG_E10value_typeET2_T3_PNSH_ISM_E10value_typeET4_T5_PSR_SS_PNS1_23onesweep_lookback_stateEbbT6_jjT7_P12ihipStream_tbENKUlT_T0_SG_SL_E_clISA_SA_SB_SB_EEDaSZ_S10_SG_SL_EUlSZ_E_NS1_11comp_targetILNS1_3genE10ELNS1_11target_archE1201ELNS1_3gpuE5ELNS1_3repE0EEENS1_47radix_sort_onesweep_sort_config_static_selectorELNS0_4arch9wavefront6targetE0EEEvSG_,"axG",@progbits,_ZN7rocprim17ROCPRIM_400000_NS6detail17trampoline_kernelINS0_14default_configENS1_35radix_sort_onesweep_config_selectorIdNS0_10empty_typeEEEZZNS1_29radix_sort_onesweep_iterationIS3_Lb1EPKdPdPS5_SB_mNS0_19identity_decomposerENS1_16block_id_wrapperIjLb1EEEEE10hipError_tT1_PNSt15iterator_traitsISG_E10value_typeET2_T3_PNSH_ISM_E10value_typeET4_T5_PSR_SS_PNS1_23onesweep_lookback_stateEbbT6_jjT7_P12ihipStream_tbENKUlT_T0_SG_SL_E_clISA_SA_SB_SB_EEDaSZ_S10_SG_SL_EUlSZ_E_NS1_11comp_targetILNS1_3genE10ELNS1_11target_archE1201ELNS1_3gpuE5ELNS1_3repE0EEENS1_47radix_sort_onesweep_sort_config_static_selectorELNS0_4arch9wavefront6targetE0EEEvSG_,comdat
.Lfunc_end1533:
	.size	_ZN7rocprim17ROCPRIM_400000_NS6detail17trampoline_kernelINS0_14default_configENS1_35radix_sort_onesweep_config_selectorIdNS0_10empty_typeEEEZZNS1_29radix_sort_onesweep_iterationIS3_Lb1EPKdPdPS5_SB_mNS0_19identity_decomposerENS1_16block_id_wrapperIjLb1EEEEE10hipError_tT1_PNSt15iterator_traitsISG_E10value_typeET2_T3_PNSH_ISM_E10value_typeET4_T5_PSR_SS_PNS1_23onesweep_lookback_stateEbbT6_jjT7_P12ihipStream_tbENKUlT_T0_SG_SL_E_clISA_SA_SB_SB_EEDaSZ_S10_SG_SL_EUlSZ_E_NS1_11comp_targetILNS1_3genE10ELNS1_11target_archE1201ELNS1_3gpuE5ELNS1_3repE0EEENS1_47radix_sort_onesweep_sort_config_static_selectorELNS0_4arch9wavefront6targetE0EEEvSG_, .Lfunc_end1533-_ZN7rocprim17ROCPRIM_400000_NS6detail17trampoline_kernelINS0_14default_configENS1_35radix_sort_onesweep_config_selectorIdNS0_10empty_typeEEEZZNS1_29radix_sort_onesweep_iterationIS3_Lb1EPKdPdPS5_SB_mNS0_19identity_decomposerENS1_16block_id_wrapperIjLb1EEEEE10hipError_tT1_PNSt15iterator_traitsISG_E10value_typeET2_T3_PNSH_ISM_E10value_typeET4_T5_PSR_SS_PNS1_23onesweep_lookback_stateEbbT6_jjT7_P12ihipStream_tbENKUlT_T0_SG_SL_E_clISA_SA_SB_SB_EEDaSZ_S10_SG_SL_EUlSZ_E_NS1_11comp_targetILNS1_3genE10ELNS1_11target_archE1201ELNS1_3gpuE5ELNS1_3repE0EEENS1_47radix_sort_onesweep_sort_config_static_selectorELNS0_4arch9wavefront6targetE0EEEvSG_
                                        ; -- End function
	.set _ZN7rocprim17ROCPRIM_400000_NS6detail17trampoline_kernelINS0_14default_configENS1_35radix_sort_onesweep_config_selectorIdNS0_10empty_typeEEEZZNS1_29radix_sort_onesweep_iterationIS3_Lb1EPKdPdPS5_SB_mNS0_19identity_decomposerENS1_16block_id_wrapperIjLb1EEEEE10hipError_tT1_PNSt15iterator_traitsISG_E10value_typeET2_T3_PNSH_ISM_E10value_typeET4_T5_PSR_SS_PNS1_23onesweep_lookback_stateEbbT6_jjT7_P12ihipStream_tbENKUlT_T0_SG_SL_E_clISA_SA_SB_SB_EEDaSZ_S10_SG_SL_EUlSZ_E_NS1_11comp_targetILNS1_3genE10ELNS1_11target_archE1201ELNS1_3gpuE5ELNS1_3repE0EEENS1_47radix_sort_onesweep_sort_config_static_selectorELNS0_4arch9wavefront6targetE0EEEvSG_.num_vgpr, 0
	.set _ZN7rocprim17ROCPRIM_400000_NS6detail17trampoline_kernelINS0_14default_configENS1_35radix_sort_onesweep_config_selectorIdNS0_10empty_typeEEEZZNS1_29radix_sort_onesweep_iterationIS3_Lb1EPKdPdPS5_SB_mNS0_19identity_decomposerENS1_16block_id_wrapperIjLb1EEEEE10hipError_tT1_PNSt15iterator_traitsISG_E10value_typeET2_T3_PNSH_ISM_E10value_typeET4_T5_PSR_SS_PNS1_23onesweep_lookback_stateEbbT6_jjT7_P12ihipStream_tbENKUlT_T0_SG_SL_E_clISA_SA_SB_SB_EEDaSZ_S10_SG_SL_EUlSZ_E_NS1_11comp_targetILNS1_3genE10ELNS1_11target_archE1201ELNS1_3gpuE5ELNS1_3repE0EEENS1_47radix_sort_onesweep_sort_config_static_selectorELNS0_4arch9wavefront6targetE0EEEvSG_.num_agpr, 0
	.set _ZN7rocprim17ROCPRIM_400000_NS6detail17trampoline_kernelINS0_14default_configENS1_35radix_sort_onesweep_config_selectorIdNS0_10empty_typeEEEZZNS1_29radix_sort_onesweep_iterationIS3_Lb1EPKdPdPS5_SB_mNS0_19identity_decomposerENS1_16block_id_wrapperIjLb1EEEEE10hipError_tT1_PNSt15iterator_traitsISG_E10value_typeET2_T3_PNSH_ISM_E10value_typeET4_T5_PSR_SS_PNS1_23onesweep_lookback_stateEbbT6_jjT7_P12ihipStream_tbENKUlT_T0_SG_SL_E_clISA_SA_SB_SB_EEDaSZ_S10_SG_SL_EUlSZ_E_NS1_11comp_targetILNS1_3genE10ELNS1_11target_archE1201ELNS1_3gpuE5ELNS1_3repE0EEENS1_47radix_sort_onesweep_sort_config_static_selectorELNS0_4arch9wavefront6targetE0EEEvSG_.numbered_sgpr, 0
	.set _ZN7rocprim17ROCPRIM_400000_NS6detail17trampoline_kernelINS0_14default_configENS1_35radix_sort_onesweep_config_selectorIdNS0_10empty_typeEEEZZNS1_29radix_sort_onesweep_iterationIS3_Lb1EPKdPdPS5_SB_mNS0_19identity_decomposerENS1_16block_id_wrapperIjLb1EEEEE10hipError_tT1_PNSt15iterator_traitsISG_E10value_typeET2_T3_PNSH_ISM_E10value_typeET4_T5_PSR_SS_PNS1_23onesweep_lookback_stateEbbT6_jjT7_P12ihipStream_tbENKUlT_T0_SG_SL_E_clISA_SA_SB_SB_EEDaSZ_S10_SG_SL_EUlSZ_E_NS1_11comp_targetILNS1_3genE10ELNS1_11target_archE1201ELNS1_3gpuE5ELNS1_3repE0EEENS1_47radix_sort_onesweep_sort_config_static_selectorELNS0_4arch9wavefront6targetE0EEEvSG_.num_named_barrier, 0
	.set _ZN7rocprim17ROCPRIM_400000_NS6detail17trampoline_kernelINS0_14default_configENS1_35radix_sort_onesweep_config_selectorIdNS0_10empty_typeEEEZZNS1_29radix_sort_onesweep_iterationIS3_Lb1EPKdPdPS5_SB_mNS0_19identity_decomposerENS1_16block_id_wrapperIjLb1EEEEE10hipError_tT1_PNSt15iterator_traitsISG_E10value_typeET2_T3_PNSH_ISM_E10value_typeET4_T5_PSR_SS_PNS1_23onesweep_lookback_stateEbbT6_jjT7_P12ihipStream_tbENKUlT_T0_SG_SL_E_clISA_SA_SB_SB_EEDaSZ_S10_SG_SL_EUlSZ_E_NS1_11comp_targetILNS1_3genE10ELNS1_11target_archE1201ELNS1_3gpuE5ELNS1_3repE0EEENS1_47radix_sort_onesweep_sort_config_static_selectorELNS0_4arch9wavefront6targetE0EEEvSG_.private_seg_size, 0
	.set _ZN7rocprim17ROCPRIM_400000_NS6detail17trampoline_kernelINS0_14default_configENS1_35radix_sort_onesweep_config_selectorIdNS0_10empty_typeEEEZZNS1_29radix_sort_onesweep_iterationIS3_Lb1EPKdPdPS5_SB_mNS0_19identity_decomposerENS1_16block_id_wrapperIjLb1EEEEE10hipError_tT1_PNSt15iterator_traitsISG_E10value_typeET2_T3_PNSH_ISM_E10value_typeET4_T5_PSR_SS_PNS1_23onesweep_lookback_stateEbbT6_jjT7_P12ihipStream_tbENKUlT_T0_SG_SL_E_clISA_SA_SB_SB_EEDaSZ_S10_SG_SL_EUlSZ_E_NS1_11comp_targetILNS1_3genE10ELNS1_11target_archE1201ELNS1_3gpuE5ELNS1_3repE0EEENS1_47radix_sort_onesweep_sort_config_static_selectorELNS0_4arch9wavefront6targetE0EEEvSG_.uses_vcc, 0
	.set _ZN7rocprim17ROCPRIM_400000_NS6detail17trampoline_kernelINS0_14default_configENS1_35radix_sort_onesweep_config_selectorIdNS0_10empty_typeEEEZZNS1_29radix_sort_onesweep_iterationIS3_Lb1EPKdPdPS5_SB_mNS0_19identity_decomposerENS1_16block_id_wrapperIjLb1EEEEE10hipError_tT1_PNSt15iterator_traitsISG_E10value_typeET2_T3_PNSH_ISM_E10value_typeET4_T5_PSR_SS_PNS1_23onesweep_lookback_stateEbbT6_jjT7_P12ihipStream_tbENKUlT_T0_SG_SL_E_clISA_SA_SB_SB_EEDaSZ_S10_SG_SL_EUlSZ_E_NS1_11comp_targetILNS1_3genE10ELNS1_11target_archE1201ELNS1_3gpuE5ELNS1_3repE0EEENS1_47radix_sort_onesweep_sort_config_static_selectorELNS0_4arch9wavefront6targetE0EEEvSG_.uses_flat_scratch, 0
	.set _ZN7rocprim17ROCPRIM_400000_NS6detail17trampoline_kernelINS0_14default_configENS1_35radix_sort_onesweep_config_selectorIdNS0_10empty_typeEEEZZNS1_29radix_sort_onesweep_iterationIS3_Lb1EPKdPdPS5_SB_mNS0_19identity_decomposerENS1_16block_id_wrapperIjLb1EEEEE10hipError_tT1_PNSt15iterator_traitsISG_E10value_typeET2_T3_PNSH_ISM_E10value_typeET4_T5_PSR_SS_PNS1_23onesweep_lookback_stateEbbT6_jjT7_P12ihipStream_tbENKUlT_T0_SG_SL_E_clISA_SA_SB_SB_EEDaSZ_S10_SG_SL_EUlSZ_E_NS1_11comp_targetILNS1_3genE10ELNS1_11target_archE1201ELNS1_3gpuE5ELNS1_3repE0EEENS1_47radix_sort_onesweep_sort_config_static_selectorELNS0_4arch9wavefront6targetE0EEEvSG_.has_dyn_sized_stack, 0
	.set _ZN7rocprim17ROCPRIM_400000_NS6detail17trampoline_kernelINS0_14default_configENS1_35radix_sort_onesweep_config_selectorIdNS0_10empty_typeEEEZZNS1_29radix_sort_onesweep_iterationIS3_Lb1EPKdPdPS5_SB_mNS0_19identity_decomposerENS1_16block_id_wrapperIjLb1EEEEE10hipError_tT1_PNSt15iterator_traitsISG_E10value_typeET2_T3_PNSH_ISM_E10value_typeET4_T5_PSR_SS_PNS1_23onesweep_lookback_stateEbbT6_jjT7_P12ihipStream_tbENKUlT_T0_SG_SL_E_clISA_SA_SB_SB_EEDaSZ_S10_SG_SL_EUlSZ_E_NS1_11comp_targetILNS1_3genE10ELNS1_11target_archE1201ELNS1_3gpuE5ELNS1_3repE0EEENS1_47radix_sort_onesweep_sort_config_static_selectorELNS0_4arch9wavefront6targetE0EEEvSG_.has_recursion, 0
	.set _ZN7rocprim17ROCPRIM_400000_NS6detail17trampoline_kernelINS0_14default_configENS1_35radix_sort_onesweep_config_selectorIdNS0_10empty_typeEEEZZNS1_29radix_sort_onesweep_iterationIS3_Lb1EPKdPdPS5_SB_mNS0_19identity_decomposerENS1_16block_id_wrapperIjLb1EEEEE10hipError_tT1_PNSt15iterator_traitsISG_E10value_typeET2_T3_PNSH_ISM_E10value_typeET4_T5_PSR_SS_PNS1_23onesweep_lookback_stateEbbT6_jjT7_P12ihipStream_tbENKUlT_T0_SG_SL_E_clISA_SA_SB_SB_EEDaSZ_S10_SG_SL_EUlSZ_E_NS1_11comp_targetILNS1_3genE10ELNS1_11target_archE1201ELNS1_3gpuE5ELNS1_3repE0EEENS1_47radix_sort_onesweep_sort_config_static_selectorELNS0_4arch9wavefront6targetE0EEEvSG_.has_indirect_call, 0
	.section	.AMDGPU.csdata,"",@progbits
; Kernel info:
; codeLenInByte = 0
; TotalNumSgprs: 0
; NumVgprs: 0
; ScratchSize: 0
; MemoryBound: 0
; FloatMode: 240
; IeeeMode: 1
; LDSByteSize: 0 bytes/workgroup (compile time only)
; SGPRBlocks: 0
; VGPRBlocks: 0
; NumSGPRsForWavesPerEU: 1
; NumVGPRsForWavesPerEU: 1
; NamedBarCnt: 0
; Occupancy: 16
; WaveLimiterHint : 0
; COMPUTE_PGM_RSRC2:SCRATCH_EN: 0
; COMPUTE_PGM_RSRC2:USER_SGPR: 2
; COMPUTE_PGM_RSRC2:TRAP_HANDLER: 0
; COMPUTE_PGM_RSRC2:TGID_X_EN: 1
; COMPUTE_PGM_RSRC2:TGID_Y_EN: 0
; COMPUTE_PGM_RSRC2:TGID_Z_EN: 0
; COMPUTE_PGM_RSRC2:TIDIG_COMP_CNT: 0
	.section	.text._ZN7rocprim17ROCPRIM_400000_NS6detail17trampoline_kernelINS0_14default_configENS1_35radix_sort_onesweep_config_selectorIdNS0_10empty_typeEEEZZNS1_29radix_sort_onesweep_iterationIS3_Lb1EPKdPdPS5_SB_mNS0_19identity_decomposerENS1_16block_id_wrapperIjLb1EEEEE10hipError_tT1_PNSt15iterator_traitsISG_E10value_typeET2_T3_PNSH_ISM_E10value_typeET4_T5_PSR_SS_PNS1_23onesweep_lookback_stateEbbT6_jjT7_P12ihipStream_tbENKUlT_T0_SG_SL_E_clISA_SA_SB_SB_EEDaSZ_S10_SG_SL_EUlSZ_E_NS1_11comp_targetILNS1_3genE9ELNS1_11target_archE1100ELNS1_3gpuE3ELNS1_3repE0EEENS1_47radix_sort_onesweep_sort_config_static_selectorELNS0_4arch9wavefront6targetE0EEEvSG_,"axG",@progbits,_ZN7rocprim17ROCPRIM_400000_NS6detail17trampoline_kernelINS0_14default_configENS1_35radix_sort_onesweep_config_selectorIdNS0_10empty_typeEEEZZNS1_29radix_sort_onesweep_iterationIS3_Lb1EPKdPdPS5_SB_mNS0_19identity_decomposerENS1_16block_id_wrapperIjLb1EEEEE10hipError_tT1_PNSt15iterator_traitsISG_E10value_typeET2_T3_PNSH_ISM_E10value_typeET4_T5_PSR_SS_PNS1_23onesweep_lookback_stateEbbT6_jjT7_P12ihipStream_tbENKUlT_T0_SG_SL_E_clISA_SA_SB_SB_EEDaSZ_S10_SG_SL_EUlSZ_E_NS1_11comp_targetILNS1_3genE9ELNS1_11target_archE1100ELNS1_3gpuE3ELNS1_3repE0EEENS1_47radix_sort_onesweep_sort_config_static_selectorELNS0_4arch9wavefront6targetE0EEEvSG_,comdat
	.protected	_ZN7rocprim17ROCPRIM_400000_NS6detail17trampoline_kernelINS0_14default_configENS1_35radix_sort_onesweep_config_selectorIdNS0_10empty_typeEEEZZNS1_29radix_sort_onesweep_iterationIS3_Lb1EPKdPdPS5_SB_mNS0_19identity_decomposerENS1_16block_id_wrapperIjLb1EEEEE10hipError_tT1_PNSt15iterator_traitsISG_E10value_typeET2_T3_PNSH_ISM_E10value_typeET4_T5_PSR_SS_PNS1_23onesweep_lookback_stateEbbT6_jjT7_P12ihipStream_tbENKUlT_T0_SG_SL_E_clISA_SA_SB_SB_EEDaSZ_S10_SG_SL_EUlSZ_E_NS1_11comp_targetILNS1_3genE9ELNS1_11target_archE1100ELNS1_3gpuE3ELNS1_3repE0EEENS1_47radix_sort_onesweep_sort_config_static_selectorELNS0_4arch9wavefront6targetE0EEEvSG_ ; -- Begin function _ZN7rocprim17ROCPRIM_400000_NS6detail17trampoline_kernelINS0_14default_configENS1_35radix_sort_onesweep_config_selectorIdNS0_10empty_typeEEEZZNS1_29radix_sort_onesweep_iterationIS3_Lb1EPKdPdPS5_SB_mNS0_19identity_decomposerENS1_16block_id_wrapperIjLb1EEEEE10hipError_tT1_PNSt15iterator_traitsISG_E10value_typeET2_T3_PNSH_ISM_E10value_typeET4_T5_PSR_SS_PNS1_23onesweep_lookback_stateEbbT6_jjT7_P12ihipStream_tbENKUlT_T0_SG_SL_E_clISA_SA_SB_SB_EEDaSZ_S10_SG_SL_EUlSZ_E_NS1_11comp_targetILNS1_3genE9ELNS1_11target_archE1100ELNS1_3gpuE3ELNS1_3repE0EEENS1_47radix_sort_onesweep_sort_config_static_selectorELNS0_4arch9wavefront6targetE0EEEvSG_
	.globl	_ZN7rocprim17ROCPRIM_400000_NS6detail17trampoline_kernelINS0_14default_configENS1_35radix_sort_onesweep_config_selectorIdNS0_10empty_typeEEEZZNS1_29radix_sort_onesweep_iterationIS3_Lb1EPKdPdPS5_SB_mNS0_19identity_decomposerENS1_16block_id_wrapperIjLb1EEEEE10hipError_tT1_PNSt15iterator_traitsISG_E10value_typeET2_T3_PNSH_ISM_E10value_typeET4_T5_PSR_SS_PNS1_23onesweep_lookback_stateEbbT6_jjT7_P12ihipStream_tbENKUlT_T0_SG_SL_E_clISA_SA_SB_SB_EEDaSZ_S10_SG_SL_EUlSZ_E_NS1_11comp_targetILNS1_3genE9ELNS1_11target_archE1100ELNS1_3gpuE3ELNS1_3repE0EEENS1_47radix_sort_onesweep_sort_config_static_selectorELNS0_4arch9wavefront6targetE0EEEvSG_
	.p2align	8
	.type	_ZN7rocprim17ROCPRIM_400000_NS6detail17trampoline_kernelINS0_14default_configENS1_35radix_sort_onesweep_config_selectorIdNS0_10empty_typeEEEZZNS1_29radix_sort_onesweep_iterationIS3_Lb1EPKdPdPS5_SB_mNS0_19identity_decomposerENS1_16block_id_wrapperIjLb1EEEEE10hipError_tT1_PNSt15iterator_traitsISG_E10value_typeET2_T3_PNSH_ISM_E10value_typeET4_T5_PSR_SS_PNS1_23onesweep_lookback_stateEbbT6_jjT7_P12ihipStream_tbENKUlT_T0_SG_SL_E_clISA_SA_SB_SB_EEDaSZ_S10_SG_SL_EUlSZ_E_NS1_11comp_targetILNS1_3genE9ELNS1_11target_archE1100ELNS1_3gpuE3ELNS1_3repE0EEENS1_47radix_sort_onesweep_sort_config_static_selectorELNS0_4arch9wavefront6targetE0EEEvSG_,@function
_ZN7rocprim17ROCPRIM_400000_NS6detail17trampoline_kernelINS0_14default_configENS1_35radix_sort_onesweep_config_selectorIdNS0_10empty_typeEEEZZNS1_29radix_sort_onesweep_iterationIS3_Lb1EPKdPdPS5_SB_mNS0_19identity_decomposerENS1_16block_id_wrapperIjLb1EEEEE10hipError_tT1_PNSt15iterator_traitsISG_E10value_typeET2_T3_PNSH_ISM_E10value_typeET4_T5_PSR_SS_PNS1_23onesweep_lookback_stateEbbT6_jjT7_P12ihipStream_tbENKUlT_T0_SG_SL_E_clISA_SA_SB_SB_EEDaSZ_S10_SG_SL_EUlSZ_E_NS1_11comp_targetILNS1_3genE9ELNS1_11target_archE1100ELNS1_3gpuE3ELNS1_3repE0EEENS1_47radix_sort_onesweep_sort_config_static_selectorELNS0_4arch9wavefront6targetE0EEEvSG_: ; @_ZN7rocprim17ROCPRIM_400000_NS6detail17trampoline_kernelINS0_14default_configENS1_35radix_sort_onesweep_config_selectorIdNS0_10empty_typeEEEZZNS1_29radix_sort_onesweep_iterationIS3_Lb1EPKdPdPS5_SB_mNS0_19identity_decomposerENS1_16block_id_wrapperIjLb1EEEEE10hipError_tT1_PNSt15iterator_traitsISG_E10value_typeET2_T3_PNSH_ISM_E10value_typeET4_T5_PSR_SS_PNS1_23onesweep_lookback_stateEbbT6_jjT7_P12ihipStream_tbENKUlT_T0_SG_SL_E_clISA_SA_SB_SB_EEDaSZ_S10_SG_SL_EUlSZ_E_NS1_11comp_targetILNS1_3genE9ELNS1_11target_archE1100ELNS1_3gpuE3ELNS1_3repE0EEENS1_47radix_sort_onesweep_sort_config_static_selectorELNS0_4arch9wavefront6targetE0EEEvSG_
; %bb.0:
	.section	.rodata,"a",@progbits
	.p2align	6, 0x0
	.amdhsa_kernel _ZN7rocprim17ROCPRIM_400000_NS6detail17trampoline_kernelINS0_14default_configENS1_35radix_sort_onesweep_config_selectorIdNS0_10empty_typeEEEZZNS1_29radix_sort_onesweep_iterationIS3_Lb1EPKdPdPS5_SB_mNS0_19identity_decomposerENS1_16block_id_wrapperIjLb1EEEEE10hipError_tT1_PNSt15iterator_traitsISG_E10value_typeET2_T3_PNSH_ISM_E10value_typeET4_T5_PSR_SS_PNS1_23onesweep_lookback_stateEbbT6_jjT7_P12ihipStream_tbENKUlT_T0_SG_SL_E_clISA_SA_SB_SB_EEDaSZ_S10_SG_SL_EUlSZ_E_NS1_11comp_targetILNS1_3genE9ELNS1_11target_archE1100ELNS1_3gpuE3ELNS1_3repE0EEENS1_47radix_sort_onesweep_sort_config_static_selectorELNS0_4arch9wavefront6targetE0EEEvSG_
		.amdhsa_group_segment_fixed_size 0
		.amdhsa_private_segment_fixed_size 0
		.amdhsa_kernarg_size 88
		.amdhsa_user_sgpr_count 2
		.amdhsa_user_sgpr_dispatch_ptr 0
		.amdhsa_user_sgpr_queue_ptr 0
		.amdhsa_user_sgpr_kernarg_segment_ptr 1
		.amdhsa_user_sgpr_dispatch_id 0
		.amdhsa_user_sgpr_kernarg_preload_length 0
		.amdhsa_user_sgpr_kernarg_preload_offset 0
		.amdhsa_user_sgpr_private_segment_size 0
		.amdhsa_wavefront_size32 1
		.amdhsa_uses_dynamic_stack 0
		.amdhsa_enable_private_segment 0
		.amdhsa_system_sgpr_workgroup_id_x 1
		.amdhsa_system_sgpr_workgroup_id_y 0
		.amdhsa_system_sgpr_workgroup_id_z 0
		.amdhsa_system_sgpr_workgroup_info 0
		.amdhsa_system_vgpr_workitem_id 0
		.amdhsa_next_free_vgpr 1
		.amdhsa_next_free_sgpr 1
		.amdhsa_named_barrier_count 0
		.amdhsa_reserve_vcc 0
		.amdhsa_float_round_mode_32 0
		.amdhsa_float_round_mode_16_64 0
		.amdhsa_float_denorm_mode_32 3
		.amdhsa_float_denorm_mode_16_64 3
		.amdhsa_fp16_overflow 0
		.amdhsa_memory_ordered 1
		.amdhsa_forward_progress 1
		.amdhsa_inst_pref_size 0
		.amdhsa_round_robin_scheduling 0
		.amdhsa_exception_fp_ieee_invalid_op 0
		.amdhsa_exception_fp_denorm_src 0
		.amdhsa_exception_fp_ieee_div_zero 0
		.amdhsa_exception_fp_ieee_overflow 0
		.amdhsa_exception_fp_ieee_underflow 0
		.amdhsa_exception_fp_ieee_inexact 0
		.amdhsa_exception_int_div_zero 0
	.end_amdhsa_kernel
	.section	.text._ZN7rocprim17ROCPRIM_400000_NS6detail17trampoline_kernelINS0_14default_configENS1_35radix_sort_onesweep_config_selectorIdNS0_10empty_typeEEEZZNS1_29radix_sort_onesweep_iterationIS3_Lb1EPKdPdPS5_SB_mNS0_19identity_decomposerENS1_16block_id_wrapperIjLb1EEEEE10hipError_tT1_PNSt15iterator_traitsISG_E10value_typeET2_T3_PNSH_ISM_E10value_typeET4_T5_PSR_SS_PNS1_23onesweep_lookback_stateEbbT6_jjT7_P12ihipStream_tbENKUlT_T0_SG_SL_E_clISA_SA_SB_SB_EEDaSZ_S10_SG_SL_EUlSZ_E_NS1_11comp_targetILNS1_3genE9ELNS1_11target_archE1100ELNS1_3gpuE3ELNS1_3repE0EEENS1_47radix_sort_onesweep_sort_config_static_selectorELNS0_4arch9wavefront6targetE0EEEvSG_,"axG",@progbits,_ZN7rocprim17ROCPRIM_400000_NS6detail17trampoline_kernelINS0_14default_configENS1_35radix_sort_onesweep_config_selectorIdNS0_10empty_typeEEEZZNS1_29radix_sort_onesweep_iterationIS3_Lb1EPKdPdPS5_SB_mNS0_19identity_decomposerENS1_16block_id_wrapperIjLb1EEEEE10hipError_tT1_PNSt15iterator_traitsISG_E10value_typeET2_T3_PNSH_ISM_E10value_typeET4_T5_PSR_SS_PNS1_23onesweep_lookback_stateEbbT6_jjT7_P12ihipStream_tbENKUlT_T0_SG_SL_E_clISA_SA_SB_SB_EEDaSZ_S10_SG_SL_EUlSZ_E_NS1_11comp_targetILNS1_3genE9ELNS1_11target_archE1100ELNS1_3gpuE3ELNS1_3repE0EEENS1_47radix_sort_onesweep_sort_config_static_selectorELNS0_4arch9wavefront6targetE0EEEvSG_,comdat
.Lfunc_end1534:
	.size	_ZN7rocprim17ROCPRIM_400000_NS6detail17trampoline_kernelINS0_14default_configENS1_35radix_sort_onesweep_config_selectorIdNS0_10empty_typeEEEZZNS1_29radix_sort_onesweep_iterationIS3_Lb1EPKdPdPS5_SB_mNS0_19identity_decomposerENS1_16block_id_wrapperIjLb1EEEEE10hipError_tT1_PNSt15iterator_traitsISG_E10value_typeET2_T3_PNSH_ISM_E10value_typeET4_T5_PSR_SS_PNS1_23onesweep_lookback_stateEbbT6_jjT7_P12ihipStream_tbENKUlT_T0_SG_SL_E_clISA_SA_SB_SB_EEDaSZ_S10_SG_SL_EUlSZ_E_NS1_11comp_targetILNS1_3genE9ELNS1_11target_archE1100ELNS1_3gpuE3ELNS1_3repE0EEENS1_47radix_sort_onesweep_sort_config_static_selectorELNS0_4arch9wavefront6targetE0EEEvSG_, .Lfunc_end1534-_ZN7rocprim17ROCPRIM_400000_NS6detail17trampoline_kernelINS0_14default_configENS1_35radix_sort_onesweep_config_selectorIdNS0_10empty_typeEEEZZNS1_29radix_sort_onesweep_iterationIS3_Lb1EPKdPdPS5_SB_mNS0_19identity_decomposerENS1_16block_id_wrapperIjLb1EEEEE10hipError_tT1_PNSt15iterator_traitsISG_E10value_typeET2_T3_PNSH_ISM_E10value_typeET4_T5_PSR_SS_PNS1_23onesweep_lookback_stateEbbT6_jjT7_P12ihipStream_tbENKUlT_T0_SG_SL_E_clISA_SA_SB_SB_EEDaSZ_S10_SG_SL_EUlSZ_E_NS1_11comp_targetILNS1_3genE9ELNS1_11target_archE1100ELNS1_3gpuE3ELNS1_3repE0EEENS1_47radix_sort_onesweep_sort_config_static_selectorELNS0_4arch9wavefront6targetE0EEEvSG_
                                        ; -- End function
	.set _ZN7rocprim17ROCPRIM_400000_NS6detail17trampoline_kernelINS0_14default_configENS1_35radix_sort_onesweep_config_selectorIdNS0_10empty_typeEEEZZNS1_29radix_sort_onesweep_iterationIS3_Lb1EPKdPdPS5_SB_mNS0_19identity_decomposerENS1_16block_id_wrapperIjLb1EEEEE10hipError_tT1_PNSt15iterator_traitsISG_E10value_typeET2_T3_PNSH_ISM_E10value_typeET4_T5_PSR_SS_PNS1_23onesweep_lookback_stateEbbT6_jjT7_P12ihipStream_tbENKUlT_T0_SG_SL_E_clISA_SA_SB_SB_EEDaSZ_S10_SG_SL_EUlSZ_E_NS1_11comp_targetILNS1_3genE9ELNS1_11target_archE1100ELNS1_3gpuE3ELNS1_3repE0EEENS1_47radix_sort_onesweep_sort_config_static_selectorELNS0_4arch9wavefront6targetE0EEEvSG_.num_vgpr, 0
	.set _ZN7rocprim17ROCPRIM_400000_NS6detail17trampoline_kernelINS0_14default_configENS1_35radix_sort_onesweep_config_selectorIdNS0_10empty_typeEEEZZNS1_29radix_sort_onesweep_iterationIS3_Lb1EPKdPdPS5_SB_mNS0_19identity_decomposerENS1_16block_id_wrapperIjLb1EEEEE10hipError_tT1_PNSt15iterator_traitsISG_E10value_typeET2_T3_PNSH_ISM_E10value_typeET4_T5_PSR_SS_PNS1_23onesweep_lookback_stateEbbT6_jjT7_P12ihipStream_tbENKUlT_T0_SG_SL_E_clISA_SA_SB_SB_EEDaSZ_S10_SG_SL_EUlSZ_E_NS1_11comp_targetILNS1_3genE9ELNS1_11target_archE1100ELNS1_3gpuE3ELNS1_3repE0EEENS1_47radix_sort_onesweep_sort_config_static_selectorELNS0_4arch9wavefront6targetE0EEEvSG_.num_agpr, 0
	.set _ZN7rocprim17ROCPRIM_400000_NS6detail17trampoline_kernelINS0_14default_configENS1_35radix_sort_onesweep_config_selectorIdNS0_10empty_typeEEEZZNS1_29radix_sort_onesweep_iterationIS3_Lb1EPKdPdPS5_SB_mNS0_19identity_decomposerENS1_16block_id_wrapperIjLb1EEEEE10hipError_tT1_PNSt15iterator_traitsISG_E10value_typeET2_T3_PNSH_ISM_E10value_typeET4_T5_PSR_SS_PNS1_23onesweep_lookback_stateEbbT6_jjT7_P12ihipStream_tbENKUlT_T0_SG_SL_E_clISA_SA_SB_SB_EEDaSZ_S10_SG_SL_EUlSZ_E_NS1_11comp_targetILNS1_3genE9ELNS1_11target_archE1100ELNS1_3gpuE3ELNS1_3repE0EEENS1_47radix_sort_onesweep_sort_config_static_selectorELNS0_4arch9wavefront6targetE0EEEvSG_.numbered_sgpr, 0
	.set _ZN7rocprim17ROCPRIM_400000_NS6detail17trampoline_kernelINS0_14default_configENS1_35radix_sort_onesweep_config_selectorIdNS0_10empty_typeEEEZZNS1_29radix_sort_onesweep_iterationIS3_Lb1EPKdPdPS5_SB_mNS0_19identity_decomposerENS1_16block_id_wrapperIjLb1EEEEE10hipError_tT1_PNSt15iterator_traitsISG_E10value_typeET2_T3_PNSH_ISM_E10value_typeET4_T5_PSR_SS_PNS1_23onesweep_lookback_stateEbbT6_jjT7_P12ihipStream_tbENKUlT_T0_SG_SL_E_clISA_SA_SB_SB_EEDaSZ_S10_SG_SL_EUlSZ_E_NS1_11comp_targetILNS1_3genE9ELNS1_11target_archE1100ELNS1_3gpuE3ELNS1_3repE0EEENS1_47radix_sort_onesweep_sort_config_static_selectorELNS0_4arch9wavefront6targetE0EEEvSG_.num_named_barrier, 0
	.set _ZN7rocprim17ROCPRIM_400000_NS6detail17trampoline_kernelINS0_14default_configENS1_35radix_sort_onesweep_config_selectorIdNS0_10empty_typeEEEZZNS1_29radix_sort_onesweep_iterationIS3_Lb1EPKdPdPS5_SB_mNS0_19identity_decomposerENS1_16block_id_wrapperIjLb1EEEEE10hipError_tT1_PNSt15iterator_traitsISG_E10value_typeET2_T3_PNSH_ISM_E10value_typeET4_T5_PSR_SS_PNS1_23onesweep_lookback_stateEbbT6_jjT7_P12ihipStream_tbENKUlT_T0_SG_SL_E_clISA_SA_SB_SB_EEDaSZ_S10_SG_SL_EUlSZ_E_NS1_11comp_targetILNS1_3genE9ELNS1_11target_archE1100ELNS1_3gpuE3ELNS1_3repE0EEENS1_47radix_sort_onesweep_sort_config_static_selectorELNS0_4arch9wavefront6targetE0EEEvSG_.private_seg_size, 0
	.set _ZN7rocprim17ROCPRIM_400000_NS6detail17trampoline_kernelINS0_14default_configENS1_35radix_sort_onesweep_config_selectorIdNS0_10empty_typeEEEZZNS1_29radix_sort_onesweep_iterationIS3_Lb1EPKdPdPS5_SB_mNS0_19identity_decomposerENS1_16block_id_wrapperIjLb1EEEEE10hipError_tT1_PNSt15iterator_traitsISG_E10value_typeET2_T3_PNSH_ISM_E10value_typeET4_T5_PSR_SS_PNS1_23onesweep_lookback_stateEbbT6_jjT7_P12ihipStream_tbENKUlT_T0_SG_SL_E_clISA_SA_SB_SB_EEDaSZ_S10_SG_SL_EUlSZ_E_NS1_11comp_targetILNS1_3genE9ELNS1_11target_archE1100ELNS1_3gpuE3ELNS1_3repE0EEENS1_47radix_sort_onesweep_sort_config_static_selectorELNS0_4arch9wavefront6targetE0EEEvSG_.uses_vcc, 0
	.set _ZN7rocprim17ROCPRIM_400000_NS6detail17trampoline_kernelINS0_14default_configENS1_35radix_sort_onesweep_config_selectorIdNS0_10empty_typeEEEZZNS1_29radix_sort_onesweep_iterationIS3_Lb1EPKdPdPS5_SB_mNS0_19identity_decomposerENS1_16block_id_wrapperIjLb1EEEEE10hipError_tT1_PNSt15iterator_traitsISG_E10value_typeET2_T3_PNSH_ISM_E10value_typeET4_T5_PSR_SS_PNS1_23onesweep_lookback_stateEbbT6_jjT7_P12ihipStream_tbENKUlT_T0_SG_SL_E_clISA_SA_SB_SB_EEDaSZ_S10_SG_SL_EUlSZ_E_NS1_11comp_targetILNS1_3genE9ELNS1_11target_archE1100ELNS1_3gpuE3ELNS1_3repE0EEENS1_47radix_sort_onesweep_sort_config_static_selectorELNS0_4arch9wavefront6targetE0EEEvSG_.uses_flat_scratch, 0
	.set _ZN7rocprim17ROCPRIM_400000_NS6detail17trampoline_kernelINS0_14default_configENS1_35radix_sort_onesweep_config_selectorIdNS0_10empty_typeEEEZZNS1_29radix_sort_onesweep_iterationIS3_Lb1EPKdPdPS5_SB_mNS0_19identity_decomposerENS1_16block_id_wrapperIjLb1EEEEE10hipError_tT1_PNSt15iterator_traitsISG_E10value_typeET2_T3_PNSH_ISM_E10value_typeET4_T5_PSR_SS_PNS1_23onesweep_lookback_stateEbbT6_jjT7_P12ihipStream_tbENKUlT_T0_SG_SL_E_clISA_SA_SB_SB_EEDaSZ_S10_SG_SL_EUlSZ_E_NS1_11comp_targetILNS1_3genE9ELNS1_11target_archE1100ELNS1_3gpuE3ELNS1_3repE0EEENS1_47radix_sort_onesweep_sort_config_static_selectorELNS0_4arch9wavefront6targetE0EEEvSG_.has_dyn_sized_stack, 0
	.set _ZN7rocprim17ROCPRIM_400000_NS6detail17trampoline_kernelINS0_14default_configENS1_35radix_sort_onesweep_config_selectorIdNS0_10empty_typeEEEZZNS1_29radix_sort_onesweep_iterationIS3_Lb1EPKdPdPS5_SB_mNS0_19identity_decomposerENS1_16block_id_wrapperIjLb1EEEEE10hipError_tT1_PNSt15iterator_traitsISG_E10value_typeET2_T3_PNSH_ISM_E10value_typeET4_T5_PSR_SS_PNS1_23onesweep_lookback_stateEbbT6_jjT7_P12ihipStream_tbENKUlT_T0_SG_SL_E_clISA_SA_SB_SB_EEDaSZ_S10_SG_SL_EUlSZ_E_NS1_11comp_targetILNS1_3genE9ELNS1_11target_archE1100ELNS1_3gpuE3ELNS1_3repE0EEENS1_47radix_sort_onesweep_sort_config_static_selectorELNS0_4arch9wavefront6targetE0EEEvSG_.has_recursion, 0
	.set _ZN7rocprim17ROCPRIM_400000_NS6detail17trampoline_kernelINS0_14default_configENS1_35radix_sort_onesweep_config_selectorIdNS0_10empty_typeEEEZZNS1_29radix_sort_onesweep_iterationIS3_Lb1EPKdPdPS5_SB_mNS0_19identity_decomposerENS1_16block_id_wrapperIjLb1EEEEE10hipError_tT1_PNSt15iterator_traitsISG_E10value_typeET2_T3_PNSH_ISM_E10value_typeET4_T5_PSR_SS_PNS1_23onesweep_lookback_stateEbbT6_jjT7_P12ihipStream_tbENKUlT_T0_SG_SL_E_clISA_SA_SB_SB_EEDaSZ_S10_SG_SL_EUlSZ_E_NS1_11comp_targetILNS1_3genE9ELNS1_11target_archE1100ELNS1_3gpuE3ELNS1_3repE0EEENS1_47radix_sort_onesweep_sort_config_static_selectorELNS0_4arch9wavefront6targetE0EEEvSG_.has_indirect_call, 0
	.section	.AMDGPU.csdata,"",@progbits
; Kernel info:
; codeLenInByte = 0
; TotalNumSgprs: 0
; NumVgprs: 0
; ScratchSize: 0
; MemoryBound: 0
; FloatMode: 240
; IeeeMode: 1
; LDSByteSize: 0 bytes/workgroup (compile time only)
; SGPRBlocks: 0
; VGPRBlocks: 0
; NumSGPRsForWavesPerEU: 1
; NumVGPRsForWavesPerEU: 1
; NamedBarCnt: 0
; Occupancy: 16
; WaveLimiterHint : 0
; COMPUTE_PGM_RSRC2:SCRATCH_EN: 0
; COMPUTE_PGM_RSRC2:USER_SGPR: 2
; COMPUTE_PGM_RSRC2:TRAP_HANDLER: 0
; COMPUTE_PGM_RSRC2:TGID_X_EN: 1
; COMPUTE_PGM_RSRC2:TGID_Y_EN: 0
; COMPUTE_PGM_RSRC2:TGID_Z_EN: 0
; COMPUTE_PGM_RSRC2:TIDIG_COMP_CNT: 0
	.section	.text._ZN7rocprim17ROCPRIM_400000_NS6detail17trampoline_kernelINS0_14default_configENS1_35radix_sort_onesweep_config_selectorIdNS0_10empty_typeEEEZZNS1_29radix_sort_onesweep_iterationIS3_Lb1EPKdPdPS5_SB_mNS0_19identity_decomposerENS1_16block_id_wrapperIjLb1EEEEE10hipError_tT1_PNSt15iterator_traitsISG_E10value_typeET2_T3_PNSH_ISM_E10value_typeET4_T5_PSR_SS_PNS1_23onesweep_lookback_stateEbbT6_jjT7_P12ihipStream_tbENKUlT_T0_SG_SL_E_clISA_SA_SB_SB_EEDaSZ_S10_SG_SL_EUlSZ_E_NS1_11comp_targetILNS1_3genE8ELNS1_11target_archE1030ELNS1_3gpuE2ELNS1_3repE0EEENS1_47radix_sort_onesweep_sort_config_static_selectorELNS0_4arch9wavefront6targetE0EEEvSG_,"axG",@progbits,_ZN7rocprim17ROCPRIM_400000_NS6detail17trampoline_kernelINS0_14default_configENS1_35radix_sort_onesweep_config_selectorIdNS0_10empty_typeEEEZZNS1_29radix_sort_onesweep_iterationIS3_Lb1EPKdPdPS5_SB_mNS0_19identity_decomposerENS1_16block_id_wrapperIjLb1EEEEE10hipError_tT1_PNSt15iterator_traitsISG_E10value_typeET2_T3_PNSH_ISM_E10value_typeET4_T5_PSR_SS_PNS1_23onesweep_lookback_stateEbbT6_jjT7_P12ihipStream_tbENKUlT_T0_SG_SL_E_clISA_SA_SB_SB_EEDaSZ_S10_SG_SL_EUlSZ_E_NS1_11comp_targetILNS1_3genE8ELNS1_11target_archE1030ELNS1_3gpuE2ELNS1_3repE0EEENS1_47radix_sort_onesweep_sort_config_static_selectorELNS0_4arch9wavefront6targetE0EEEvSG_,comdat
	.protected	_ZN7rocprim17ROCPRIM_400000_NS6detail17trampoline_kernelINS0_14default_configENS1_35radix_sort_onesweep_config_selectorIdNS0_10empty_typeEEEZZNS1_29radix_sort_onesweep_iterationIS3_Lb1EPKdPdPS5_SB_mNS0_19identity_decomposerENS1_16block_id_wrapperIjLb1EEEEE10hipError_tT1_PNSt15iterator_traitsISG_E10value_typeET2_T3_PNSH_ISM_E10value_typeET4_T5_PSR_SS_PNS1_23onesweep_lookback_stateEbbT6_jjT7_P12ihipStream_tbENKUlT_T0_SG_SL_E_clISA_SA_SB_SB_EEDaSZ_S10_SG_SL_EUlSZ_E_NS1_11comp_targetILNS1_3genE8ELNS1_11target_archE1030ELNS1_3gpuE2ELNS1_3repE0EEENS1_47radix_sort_onesweep_sort_config_static_selectorELNS0_4arch9wavefront6targetE0EEEvSG_ ; -- Begin function _ZN7rocprim17ROCPRIM_400000_NS6detail17trampoline_kernelINS0_14default_configENS1_35radix_sort_onesweep_config_selectorIdNS0_10empty_typeEEEZZNS1_29radix_sort_onesweep_iterationIS3_Lb1EPKdPdPS5_SB_mNS0_19identity_decomposerENS1_16block_id_wrapperIjLb1EEEEE10hipError_tT1_PNSt15iterator_traitsISG_E10value_typeET2_T3_PNSH_ISM_E10value_typeET4_T5_PSR_SS_PNS1_23onesweep_lookback_stateEbbT6_jjT7_P12ihipStream_tbENKUlT_T0_SG_SL_E_clISA_SA_SB_SB_EEDaSZ_S10_SG_SL_EUlSZ_E_NS1_11comp_targetILNS1_3genE8ELNS1_11target_archE1030ELNS1_3gpuE2ELNS1_3repE0EEENS1_47radix_sort_onesweep_sort_config_static_selectorELNS0_4arch9wavefront6targetE0EEEvSG_
	.globl	_ZN7rocprim17ROCPRIM_400000_NS6detail17trampoline_kernelINS0_14default_configENS1_35radix_sort_onesweep_config_selectorIdNS0_10empty_typeEEEZZNS1_29radix_sort_onesweep_iterationIS3_Lb1EPKdPdPS5_SB_mNS0_19identity_decomposerENS1_16block_id_wrapperIjLb1EEEEE10hipError_tT1_PNSt15iterator_traitsISG_E10value_typeET2_T3_PNSH_ISM_E10value_typeET4_T5_PSR_SS_PNS1_23onesweep_lookback_stateEbbT6_jjT7_P12ihipStream_tbENKUlT_T0_SG_SL_E_clISA_SA_SB_SB_EEDaSZ_S10_SG_SL_EUlSZ_E_NS1_11comp_targetILNS1_3genE8ELNS1_11target_archE1030ELNS1_3gpuE2ELNS1_3repE0EEENS1_47radix_sort_onesweep_sort_config_static_selectorELNS0_4arch9wavefront6targetE0EEEvSG_
	.p2align	8
	.type	_ZN7rocprim17ROCPRIM_400000_NS6detail17trampoline_kernelINS0_14default_configENS1_35radix_sort_onesweep_config_selectorIdNS0_10empty_typeEEEZZNS1_29radix_sort_onesweep_iterationIS3_Lb1EPKdPdPS5_SB_mNS0_19identity_decomposerENS1_16block_id_wrapperIjLb1EEEEE10hipError_tT1_PNSt15iterator_traitsISG_E10value_typeET2_T3_PNSH_ISM_E10value_typeET4_T5_PSR_SS_PNS1_23onesweep_lookback_stateEbbT6_jjT7_P12ihipStream_tbENKUlT_T0_SG_SL_E_clISA_SA_SB_SB_EEDaSZ_S10_SG_SL_EUlSZ_E_NS1_11comp_targetILNS1_3genE8ELNS1_11target_archE1030ELNS1_3gpuE2ELNS1_3repE0EEENS1_47radix_sort_onesweep_sort_config_static_selectorELNS0_4arch9wavefront6targetE0EEEvSG_,@function
_ZN7rocprim17ROCPRIM_400000_NS6detail17trampoline_kernelINS0_14default_configENS1_35radix_sort_onesweep_config_selectorIdNS0_10empty_typeEEEZZNS1_29radix_sort_onesweep_iterationIS3_Lb1EPKdPdPS5_SB_mNS0_19identity_decomposerENS1_16block_id_wrapperIjLb1EEEEE10hipError_tT1_PNSt15iterator_traitsISG_E10value_typeET2_T3_PNSH_ISM_E10value_typeET4_T5_PSR_SS_PNS1_23onesweep_lookback_stateEbbT6_jjT7_P12ihipStream_tbENKUlT_T0_SG_SL_E_clISA_SA_SB_SB_EEDaSZ_S10_SG_SL_EUlSZ_E_NS1_11comp_targetILNS1_3genE8ELNS1_11target_archE1030ELNS1_3gpuE2ELNS1_3repE0EEENS1_47radix_sort_onesweep_sort_config_static_selectorELNS0_4arch9wavefront6targetE0EEEvSG_: ; @_ZN7rocprim17ROCPRIM_400000_NS6detail17trampoline_kernelINS0_14default_configENS1_35radix_sort_onesweep_config_selectorIdNS0_10empty_typeEEEZZNS1_29radix_sort_onesweep_iterationIS3_Lb1EPKdPdPS5_SB_mNS0_19identity_decomposerENS1_16block_id_wrapperIjLb1EEEEE10hipError_tT1_PNSt15iterator_traitsISG_E10value_typeET2_T3_PNSH_ISM_E10value_typeET4_T5_PSR_SS_PNS1_23onesweep_lookback_stateEbbT6_jjT7_P12ihipStream_tbENKUlT_T0_SG_SL_E_clISA_SA_SB_SB_EEDaSZ_S10_SG_SL_EUlSZ_E_NS1_11comp_targetILNS1_3genE8ELNS1_11target_archE1030ELNS1_3gpuE2ELNS1_3repE0EEENS1_47radix_sort_onesweep_sort_config_static_selectorELNS0_4arch9wavefront6targetE0EEEvSG_
; %bb.0:
	.section	.rodata,"a",@progbits
	.p2align	6, 0x0
	.amdhsa_kernel _ZN7rocprim17ROCPRIM_400000_NS6detail17trampoline_kernelINS0_14default_configENS1_35radix_sort_onesweep_config_selectorIdNS0_10empty_typeEEEZZNS1_29radix_sort_onesweep_iterationIS3_Lb1EPKdPdPS5_SB_mNS0_19identity_decomposerENS1_16block_id_wrapperIjLb1EEEEE10hipError_tT1_PNSt15iterator_traitsISG_E10value_typeET2_T3_PNSH_ISM_E10value_typeET4_T5_PSR_SS_PNS1_23onesweep_lookback_stateEbbT6_jjT7_P12ihipStream_tbENKUlT_T0_SG_SL_E_clISA_SA_SB_SB_EEDaSZ_S10_SG_SL_EUlSZ_E_NS1_11comp_targetILNS1_3genE8ELNS1_11target_archE1030ELNS1_3gpuE2ELNS1_3repE0EEENS1_47radix_sort_onesweep_sort_config_static_selectorELNS0_4arch9wavefront6targetE0EEEvSG_
		.amdhsa_group_segment_fixed_size 0
		.amdhsa_private_segment_fixed_size 0
		.amdhsa_kernarg_size 88
		.amdhsa_user_sgpr_count 2
		.amdhsa_user_sgpr_dispatch_ptr 0
		.amdhsa_user_sgpr_queue_ptr 0
		.amdhsa_user_sgpr_kernarg_segment_ptr 1
		.amdhsa_user_sgpr_dispatch_id 0
		.amdhsa_user_sgpr_kernarg_preload_length 0
		.amdhsa_user_sgpr_kernarg_preload_offset 0
		.amdhsa_user_sgpr_private_segment_size 0
		.amdhsa_wavefront_size32 1
		.amdhsa_uses_dynamic_stack 0
		.amdhsa_enable_private_segment 0
		.amdhsa_system_sgpr_workgroup_id_x 1
		.amdhsa_system_sgpr_workgroup_id_y 0
		.amdhsa_system_sgpr_workgroup_id_z 0
		.amdhsa_system_sgpr_workgroup_info 0
		.amdhsa_system_vgpr_workitem_id 0
		.amdhsa_next_free_vgpr 1
		.amdhsa_next_free_sgpr 1
		.amdhsa_named_barrier_count 0
		.amdhsa_reserve_vcc 0
		.amdhsa_float_round_mode_32 0
		.amdhsa_float_round_mode_16_64 0
		.amdhsa_float_denorm_mode_32 3
		.amdhsa_float_denorm_mode_16_64 3
		.amdhsa_fp16_overflow 0
		.amdhsa_memory_ordered 1
		.amdhsa_forward_progress 1
		.amdhsa_inst_pref_size 0
		.amdhsa_round_robin_scheduling 0
		.amdhsa_exception_fp_ieee_invalid_op 0
		.amdhsa_exception_fp_denorm_src 0
		.amdhsa_exception_fp_ieee_div_zero 0
		.amdhsa_exception_fp_ieee_overflow 0
		.amdhsa_exception_fp_ieee_underflow 0
		.amdhsa_exception_fp_ieee_inexact 0
		.amdhsa_exception_int_div_zero 0
	.end_amdhsa_kernel
	.section	.text._ZN7rocprim17ROCPRIM_400000_NS6detail17trampoline_kernelINS0_14default_configENS1_35radix_sort_onesweep_config_selectorIdNS0_10empty_typeEEEZZNS1_29radix_sort_onesweep_iterationIS3_Lb1EPKdPdPS5_SB_mNS0_19identity_decomposerENS1_16block_id_wrapperIjLb1EEEEE10hipError_tT1_PNSt15iterator_traitsISG_E10value_typeET2_T3_PNSH_ISM_E10value_typeET4_T5_PSR_SS_PNS1_23onesweep_lookback_stateEbbT6_jjT7_P12ihipStream_tbENKUlT_T0_SG_SL_E_clISA_SA_SB_SB_EEDaSZ_S10_SG_SL_EUlSZ_E_NS1_11comp_targetILNS1_3genE8ELNS1_11target_archE1030ELNS1_3gpuE2ELNS1_3repE0EEENS1_47radix_sort_onesweep_sort_config_static_selectorELNS0_4arch9wavefront6targetE0EEEvSG_,"axG",@progbits,_ZN7rocprim17ROCPRIM_400000_NS6detail17trampoline_kernelINS0_14default_configENS1_35radix_sort_onesweep_config_selectorIdNS0_10empty_typeEEEZZNS1_29radix_sort_onesweep_iterationIS3_Lb1EPKdPdPS5_SB_mNS0_19identity_decomposerENS1_16block_id_wrapperIjLb1EEEEE10hipError_tT1_PNSt15iterator_traitsISG_E10value_typeET2_T3_PNSH_ISM_E10value_typeET4_T5_PSR_SS_PNS1_23onesweep_lookback_stateEbbT6_jjT7_P12ihipStream_tbENKUlT_T0_SG_SL_E_clISA_SA_SB_SB_EEDaSZ_S10_SG_SL_EUlSZ_E_NS1_11comp_targetILNS1_3genE8ELNS1_11target_archE1030ELNS1_3gpuE2ELNS1_3repE0EEENS1_47radix_sort_onesweep_sort_config_static_selectorELNS0_4arch9wavefront6targetE0EEEvSG_,comdat
.Lfunc_end1535:
	.size	_ZN7rocprim17ROCPRIM_400000_NS6detail17trampoline_kernelINS0_14default_configENS1_35radix_sort_onesweep_config_selectorIdNS0_10empty_typeEEEZZNS1_29radix_sort_onesweep_iterationIS3_Lb1EPKdPdPS5_SB_mNS0_19identity_decomposerENS1_16block_id_wrapperIjLb1EEEEE10hipError_tT1_PNSt15iterator_traitsISG_E10value_typeET2_T3_PNSH_ISM_E10value_typeET4_T5_PSR_SS_PNS1_23onesweep_lookback_stateEbbT6_jjT7_P12ihipStream_tbENKUlT_T0_SG_SL_E_clISA_SA_SB_SB_EEDaSZ_S10_SG_SL_EUlSZ_E_NS1_11comp_targetILNS1_3genE8ELNS1_11target_archE1030ELNS1_3gpuE2ELNS1_3repE0EEENS1_47radix_sort_onesweep_sort_config_static_selectorELNS0_4arch9wavefront6targetE0EEEvSG_, .Lfunc_end1535-_ZN7rocprim17ROCPRIM_400000_NS6detail17trampoline_kernelINS0_14default_configENS1_35radix_sort_onesweep_config_selectorIdNS0_10empty_typeEEEZZNS1_29radix_sort_onesweep_iterationIS3_Lb1EPKdPdPS5_SB_mNS0_19identity_decomposerENS1_16block_id_wrapperIjLb1EEEEE10hipError_tT1_PNSt15iterator_traitsISG_E10value_typeET2_T3_PNSH_ISM_E10value_typeET4_T5_PSR_SS_PNS1_23onesweep_lookback_stateEbbT6_jjT7_P12ihipStream_tbENKUlT_T0_SG_SL_E_clISA_SA_SB_SB_EEDaSZ_S10_SG_SL_EUlSZ_E_NS1_11comp_targetILNS1_3genE8ELNS1_11target_archE1030ELNS1_3gpuE2ELNS1_3repE0EEENS1_47radix_sort_onesweep_sort_config_static_selectorELNS0_4arch9wavefront6targetE0EEEvSG_
                                        ; -- End function
	.set _ZN7rocprim17ROCPRIM_400000_NS6detail17trampoline_kernelINS0_14default_configENS1_35radix_sort_onesweep_config_selectorIdNS0_10empty_typeEEEZZNS1_29radix_sort_onesweep_iterationIS3_Lb1EPKdPdPS5_SB_mNS0_19identity_decomposerENS1_16block_id_wrapperIjLb1EEEEE10hipError_tT1_PNSt15iterator_traitsISG_E10value_typeET2_T3_PNSH_ISM_E10value_typeET4_T5_PSR_SS_PNS1_23onesweep_lookback_stateEbbT6_jjT7_P12ihipStream_tbENKUlT_T0_SG_SL_E_clISA_SA_SB_SB_EEDaSZ_S10_SG_SL_EUlSZ_E_NS1_11comp_targetILNS1_3genE8ELNS1_11target_archE1030ELNS1_3gpuE2ELNS1_3repE0EEENS1_47radix_sort_onesweep_sort_config_static_selectorELNS0_4arch9wavefront6targetE0EEEvSG_.num_vgpr, 0
	.set _ZN7rocprim17ROCPRIM_400000_NS6detail17trampoline_kernelINS0_14default_configENS1_35radix_sort_onesweep_config_selectorIdNS0_10empty_typeEEEZZNS1_29radix_sort_onesweep_iterationIS3_Lb1EPKdPdPS5_SB_mNS0_19identity_decomposerENS1_16block_id_wrapperIjLb1EEEEE10hipError_tT1_PNSt15iterator_traitsISG_E10value_typeET2_T3_PNSH_ISM_E10value_typeET4_T5_PSR_SS_PNS1_23onesweep_lookback_stateEbbT6_jjT7_P12ihipStream_tbENKUlT_T0_SG_SL_E_clISA_SA_SB_SB_EEDaSZ_S10_SG_SL_EUlSZ_E_NS1_11comp_targetILNS1_3genE8ELNS1_11target_archE1030ELNS1_3gpuE2ELNS1_3repE0EEENS1_47radix_sort_onesweep_sort_config_static_selectorELNS0_4arch9wavefront6targetE0EEEvSG_.num_agpr, 0
	.set _ZN7rocprim17ROCPRIM_400000_NS6detail17trampoline_kernelINS0_14default_configENS1_35radix_sort_onesweep_config_selectorIdNS0_10empty_typeEEEZZNS1_29radix_sort_onesweep_iterationIS3_Lb1EPKdPdPS5_SB_mNS0_19identity_decomposerENS1_16block_id_wrapperIjLb1EEEEE10hipError_tT1_PNSt15iterator_traitsISG_E10value_typeET2_T3_PNSH_ISM_E10value_typeET4_T5_PSR_SS_PNS1_23onesweep_lookback_stateEbbT6_jjT7_P12ihipStream_tbENKUlT_T0_SG_SL_E_clISA_SA_SB_SB_EEDaSZ_S10_SG_SL_EUlSZ_E_NS1_11comp_targetILNS1_3genE8ELNS1_11target_archE1030ELNS1_3gpuE2ELNS1_3repE0EEENS1_47radix_sort_onesweep_sort_config_static_selectorELNS0_4arch9wavefront6targetE0EEEvSG_.numbered_sgpr, 0
	.set _ZN7rocprim17ROCPRIM_400000_NS6detail17trampoline_kernelINS0_14default_configENS1_35radix_sort_onesweep_config_selectorIdNS0_10empty_typeEEEZZNS1_29radix_sort_onesweep_iterationIS3_Lb1EPKdPdPS5_SB_mNS0_19identity_decomposerENS1_16block_id_wrapperIjLb1EEEEE10hipError_tT1_PNSt15iterator_traitsISG_E10value_typeET2_T3_PNSH_ISM_E10value_typeET4_T5_PSR_SS_PNS1_23onesweep_lookback_stateEbbT6_jjT7_P12ihipStream_tbENKUlT_T0_SG_SL_E_clISA_SA_SB_SB_EEDaSZ_S10_SG_SL_EUlSZ_E_NS1_11comp_targetILNS1_3genE8ELNS1_11target_archE1030ELNS1_3gpuE2ELNS1_3repE0EEENS1_47radix_sort_onesweep_sort_config_static_selectorELNS0_4arch9wavefront6targetE0EEEvSG_.num_named_barrier, 0
	.set _ZN7rocprim17ROCPRIM_400000_NS6detail17trampoline_kernelINS0_14default_configENS1_35radix_sort_onesweep_config_selectorIdNS0_10empty_typeEEEZZNS1_29radix_sort_onesweep_iterationIS3_Lb1EPKdPdPS5_SB_mNS0_19identity_decomposerENS1_16block_id_wrapperIjLb1EEEEE10hipError_tT1_PNSt15iterator_traitsISG_E10value_typeET2_T3_PNSH_ISM_E10value_typeET4_T5_PSR_SS_PNS1_23onesweep_lookback_stateEbbT6_jjT7_P12ihipStream_tbENKUlT_T0_SG_SL_E_clISA_SA_SB_SB_EEDaSZ_S10_SG_SL_EUlSZ_E_NS1_11comp_targetILNS1_3genE8ELNS1_11target_archE1030ELNS1_3gpuE2ELNS1_3repE0EEENS1_47radix_sort_onesweep_sort_config_static_selectorELNS0_4arch9wavefront6targetE0EEEvSG_.private_seg_size, 0
	.set _ZN7rocprim17ROCPRIM_400000_NS6detail17trampoline_kernelINS0_14default_configENS1_35radix_sort_onesweep_config_selectorIdNS0_10empty_typeEEEZZNS1_29radix_sort_onesweep_iterationIS3_Lb1EPKdPdPS5_SB_mNS0_19identity_decomposerENS1_16block_id_wrapperIjLb1EEEEE10hipError_tT1_PNSt15iterator_traitsISG_E10value_typeET2_T3_PNSH_ISM_E10value_typeET4_T5_PSR_SS_PNS1_23onesweep_lookback_stateEbbT6_jjT7_P12ihipStream_tbENKUlT_T0_SG_SL_E_clISA_SA_SB_SB_EEDaSZ_S10_SG_SL_EUlSZ_E_NS1_11comp_targetILNS1_3genE8ELNS1_11target_archE1030ELNS1_3gpuE2ELNS1_3repE0EEENS1_47radix_sort_onesweep_sort_config_static_selectorELNS0_4arch9wavefront6targetE0EEEvSG_.uses_vcc, 0
	.set _ZN7rocprim17ROCPRIM_400000_NS6detail17trampoline_kernelINS0_14default_configENS1_35radix_sort_onesweep_config_selectorIdNS0_10empty_typeEEEZZNS1_29radix_sort_onesweep_iterationIS3_Lb1EPKdPdPS5_SB_mNS0_19identity_decomposerENS1_16block_id_wrapperIjLb1EEEEE10hipError_tT1_PNSt15iterator_traitsISG_E10value_typeET2_T3_PNSH_ISM_E10value_typeET4_T5_PSR_SS_PNS1_23onesweep_lookback_stateEbbT6_jjT7_P12ihipStream_tbENKUlT_T0_SG_SL_E_clISA_SA_SB_SB_EEDaSZ_S10_SG_SL_EUlSZ_E_NS1_11comp_targetILNS1_3genE8ELNS1_11target_archE1030ELNS1_3gpuE2ELNS1_3repE0EEENS1_47radix_sort_onesweep_sort_config_static_selectorELNS0_4arch9wavefront6targetE0EEEvSG_.uses_flat_scratch, 0
	.set _ZN7rocprim17ROCPRIM_400000_NS6detail17trampoline_kernelINS0_14default_configENS1_35radix_sort_onesweep_config_selectorIdNS0_10empty_typeEEEZZNS1_29radix_sort_onesweep_iterationIS3_Lb1EPKdPdPS5_SB_mNS0_19identity_decomposerENS1_16block_id_wrapperIjLb1EEEEE10hipError_tT1_PNSt15iterator_traitsISG_E10value_typeET2_T3_PNSH_ISM_E10value_typeET4_T5_PSR_SS_PNS1_23onesweep_lookback_stateEbbT6_jjT7_P12ihipStream_tbENKUlT_T0_SG_SL_E_clISA_SA_SB_SB_EEDaSZ_S10_SG_SL_EUlSZ_E_NS1_11comp_targetILNS1_3genE8ELNS1_11target_archE1030ELNS1_3gpuE2ELNS1_3repE0EEENS1_47radix_sort_onesweep_sort_config_static_selectorELNS0_4arch9wavefront6targetE0EEEvSG_.has_dyn_sized_stack, 0
	.set _ZN7rocprim17ROCPRIM_400000_NS6detail17trampoline_kernelINS0_14default_configENS1_35radix_sort_onesweep_config_selectorIdNS0_10empty_typeEEEZZNS1_29radix_sort_onesweep_iterationIS3_Lb1EPKdPdPS5_SB_mNS0_19identity_decomposerENS1_16block_id_wrapperIjLb1EEEEE10hipError_tT1_PNSt15iterator_traitsISG_E10value_typeET2_T3_PNSH_ISM_E10value_typeET4_T5_PSR_SS_PNS1_23onesweep_lookback_stateEbbT6_jjT7_P12ihipStream_tbENKUlT_T0_SG_SL_E_clISA_SA_SB_SB_EEDaSZ_S10_SG_SL_EUlSZ_E_NS1_11comp_targetILNS1_3genE8ELNS1_11target_archE1030ELNS1_3gpuE2ELNS1_3repE0EEENS1_47radix_sort_onesweep_sort_config_static_selectorELNS0_4arch9wavefront6targetE0EEEvSG_.has_recursion, 0
	.set _ZN7rocprim17ROCPRIM_400000_NS6detail17trampoline_kernelINS0_14default_configENS1_35radix_sort_onesweep_config_selectorIdNS0_10empty_typeEEEZZNS1_29radix_sort_onesweep_iterationIS3_Lb1EPKdPdPS5_SB_mNS0_19identity_decomposerENS1_16block_id_wrapperIjLb1EEEEE10hipError_tT1_PNSt15iterator_traitsISG_E10value_typeET2_T3_PNSH_ISM_E10value_typeET4_T5_PSR_SS_PNS1_23onesweep_lookback_stateEbbT6_jjT7_P12ihipStream_tbENKUlT_T0_SG_SL_E_clISA_SA_SB_SB_EEDaSZ_S10_SG_SL_EUlSZ_E_NS1_11comp_targetILNS1_3genE8ELNS1_11target_archE1030ELNS1_3gpuE2ELNS1_3repE0EEENS1_47radix_sort_onesweep_sort_config_static_selectorELNS0_4arch9wavefront6targetE0EEEvSG_.has_indirect_call, 0
	.section	.AMDGPU.csdata,"",@progbits
; Kernel info:
; codeLenInByte = 0
; TotalNumSgprs: 0
; NumVgprs: 0
; ScratchSize: 0
; MemoryBound: 0
; FloatMode: 240
; IeeeMode: 1
; LDSByteSize: 0 bytes/workgroup (compile time only)
; SGPRBlocks: 0
; VGPRBlocks: 0
; NumSGPRsForWavesPerEU: 1
; NumVGPRsForWavesPerEU: 1
; NamedBarCnt: 0
; Occupancy: 16
; WaveLimiterHint : 0
; COMPUTE_PGM_RSRC2:SCRATCH_EN: 0
; COMPUTE_PGM_RSRC2:USER_SGPR: 2
; COMPUTE_PGM_RSRC2:TRAP_HANDLER: 0
; COMPUTE_PGM_RSRC2:TGID_X_EN: 1
; COMPUTE_PGM_RSRC2:TGID_Y_EN: 0
; COMPUTE_PGM_RSRC2:TGID_Z_EN: 0
; COMPUTE_PGM_RSRC2:TIDIG_COMP_CNT: 0
	.section	.text._ZN7rocprim17ROCPRIM_400000_NS6detail17trampoline_kernelINS0_14default_configENS1_35radix_sort_onesweep_config_selectorIdNS0_10empty_typeEEEZZNS1_29radix_sort_onesweep_iterationIS3_Lb1EPKdPdPS5_SB_mNS0_19identity_decomposerENS1_16block_id_wrapperIjLb0EEEEE10hipError_tT1_PNSt15iterator_traitsISG_E10value_typeET2_T3_PNSH_ISM_E10value_typeET4_T5_PSR_SS_PNS1_23onesweep_lookback_stateEbbT6_jjT7_P12ihipStream_tbENKUlT_T0_SG_SL_E_clIS9_SA_SB_SB_EEDaSZ_S10_SG_SL_EUlSZ_E_NS1_11comp_targetILNS1_3genE0ELNS1_11target_archE4294967295ELNS1_3gpuE0ELNS1_3repE0EEENS1_47radix_sort_onesweep_sort_config_static_selectorELNS0_4arch9wavefront6targetE0EEEvSG_,"axG",@progbits,_ZN7rocprim17ROCPRIM_400000_NS6detail17trampoline_kernelINS0_14default_configENS1_35radix_sort_onesweep_config_selectorIdNS0_10empty_typeEEEZZNS1_29radix_sort_onesweep_iterationIS3_Lb1EPKdPdPS5_SB_mNS0_19identity_decomposerENS1_16block_id_wrapperIjLb0EEEEE10hipError_tT1_PNSt15iterator_traitsISG_E10value_typeET2_T3_PNSH_ISM_E10value_typeET4_T5_PSR_SS_PNS1_23onesweep_lookback_stateEbbT6_jjT7_P12ihipStream_tbENKUlT_T0_SG_SL_E_clIS9_SA_SB_SB_EEDaSZ_S10_SG_SL_EUlSZ_E_NS1_11comp_targetILNS1_3genE0ELNS1_11target_archE4294967295ELNS1_3gpuE0ELNS1_3repE0EEENS1_47radix_sort_onesweep_sort_config_static_selectorELNS0_4arch9wavefront6targetE0EEEvSG_,comdat
	.protected	_ZN7rocprim17ROCPRIM_400000_NS6detail17trampoline_kernelINS0_14default_configENS1_35radix_sort_onesweep_config_selectorIdNS0_10empty_typeEEEZZNS1_29radix_sort_onesweep_iterationIS3_Lb1EPKdPdPS5_SB_mNS0_19identity_decomposerENS1_16block_id_wrapperIjLb0EEEEE10hipError_tT1_PNSt15iterator_traitsISG_E10value_typeET2_T3_PNSH_ISM_E10value_typeET4_T5_PSR_SS_PNS1_23onesweep_lookback_stateEbbT6_jjT7_P12ihipStream_tbENKUlT_T0_SG_SL_E_clIS9_SA_SB_SB_EEDaSZ_S10_SG_SL_EUlSZ_E_NS1_11comp_targetILNS1_3genE0ELNS1_11target_archE4294967295ELNS1_3gpuE0ELNS1_3repE0EEENS1_47radix_sort_onesweep_sort_config_static_selectorELNS0_4arch9wavefront6targetE0EEEvSG_ ; -- Begin function _ZN7rocprim17ROCPRIM_400000_NS6detail17trampoline_kernelINS0_14default_configENS1_35radix_sort_onesweep_config_selectorIdNS0_10empty_typeEEEZZNS1_29radix_sort_onesweep_iterationIS3_Lb1EPKdPdPS5_SB_mNS0_19identity_decomposerENS1_16block_id_wrapperIjLb0EEEEE10hipError_tT1_PNSt15iterator_traitsISG_E10value_typeET2_T3_PNSH_ISM_E10value_typeET4_T5_PSR_SS_PNS1_23onesweep_lookback_stateEbbT6_jjT7_P12ihipStream_tbENKUlT_T0_SG_SL_E_clIS9_SA_SB_SB_EEDaSZ_S10_SG_SL_EUlSZ_E_NS1_11comp_targetILNS1_3genE0ELNS1_11target_archE4294967295ELNS1_3gpuE0ELNS1_3repE0EEENS1_47radix_sort_onesweep_sort_config_static_selectorELNS0_4arch9wavefront6targetE0EEEvSG_
	.globl	_ZN7rocprim17ROCPRIM_400000_NS6detail17trampoline_kernelINS0_14default_configENS1_35radix_sort_onesweep_config_selectorIdNS0_10empty_typeEEEZZNS1_29radix_sort_onesweep_iterationIS3_Lb1EPKdPdPS5_SB_mNS0_19identity_decomposerENS1_16block_id_wrapperIjLb0EEEEE10hipError_tT1_PNSt15iterator_traitsISG_E10value_typeET2_T3_PNSH_ISM_E10value_typeET4_T5_PSR_SS_PNS1_23onesweep_lookback_stateEbbT6_jjT7_P12ihipStream_tbENKUlT_T0_SG_SL_E_clIS9_SA_SB_SB_EEDaSZ_S10_SG_SL_EUlSZ_E_NS1_11comp_targetILNS1_3genE0ELNS1_11target_archE4294967295ELNS1_3gpuE0ELNS1_3repE0EEENS1_47radix_sort_onesweep_sort_config_static_selectorELNS0_4arch9wavefront6targetE0EEEvSG_
	.p2align	8
	.type	_ZN7rocprim17ROCPRIM_400000_NS6detail17trampoline_kernelINS0_14default_configENS1_35radix_sort_onesweep_config_selectorIdNS0_10empty_typeEEEZZNS1_29radix_sort_onesweep_iterationIS3_Lb1EPKdPdPS5_SB_mNS0_19identity_decomposerENS1_16block_id_wrapperIjLb0EEEEE10hipError_tT1_PNSt15iterator_traitsISG_E10value_typeET2_T3_PNSH_ISM_E10value_typeET4_T5_PSR_SS_PNS1_23onesweep_lookback_stateEbbT6_jjT7_P12ihipStream_tbENKUlT_T0_SG_SL_E_clIS9_SA_SB_SB_EEDaSZ_S10_SG_SL_EUlSZ_E_NS1_11comp_targetILNS1_3genE0ELNS1_11target_archE4294967295ELNS1_3gpuE0ELNS1_3repE0EEENS1_47radix_sort_onesweep_sort_config_static_selectorELNS0_4arch9wavefront6targetE0EEEvSG_,@function
_ZN7rocprim17ROCPRIM_400000_NS6detail17trampoline_kernelINS0_14default_configENS1_35radix_sort_onesweep_config_selectorIdNS0_10empty_typeEEEZZNS1_29radix_sort_onesweep_iterationIS3_Lb1EPKdPdPS5_SB_mNS0_19identity_decomposerENS1_16block_id_wrapperIjLb0EEEEE10hipError_tT1_PNSt15iterator_traitsISG_E10value_typeET2_T3_PNSH_ISM_E10value_typeET4_T5_PSR_SS_PNS1_23onesweep_lookback_stateEbbT6_jjT7_P12ihipStream_tbENKUlT_T0_SG_SL_E_clIS9_SA_SB_SB_EEDaSZ_S10_SG_SL_EUlSZ_E_NS1_11comp_targetILNS1_3genE0ELNS1_11target_archE4294967295ELNS1_3gpuE0ELNS1_3repE0EEENS1_47radix_sort_onesweep_sort_config_static_selectorELNS0_4arch9wavefront6targetE0EEEvSG_: ; @_ZN7rocprim17ROCPRIM_400000_NS6detail17trampoline_kernelINS0_14default_configENS1_35radix_sort_onesweep_config_selectorIdNS0_10empty_typeEEEZZNS1_29radix_sort_onesweep_iterationIS3_Lb1EPKdPdPS5_SB_mNS0_19identity_decomposerENS1_16block_id_wrapperIjLb0EEEEE10hipError_tT1_PNSt15iterator_traitsISG_E10value_typeET2_T3_PNSH_ISM_E10value_typeET4_T5_PSR_SS_PNS1_23onesweep_lookback_stateEbbT6_jjT7_P12ihipStream_tbENKUlT_T0_SG_SL_E_clIS9_SA_SB_SB_EEDaSZ_S10_SG_SL_EUlSZ_E_NS1_11comp_targetILNS1_3genE0ELNS1_11target_archE4294967295ELNS1_3gpuE0ELNS1_3repE0EEENS1_47radix_sort_onesweep_sort_config_static_selectorELNS0_4arch9wavefront6targetE0EEEvSG_
; %bb.0:
	s_clause 0x3
	s_load_b96 s[20:22], s[0:1], 0x44
	s_load_b64 s[10:11], s[0:1], 0x38
	s_load_b128 s[16:19], s[0:1], 0x0
	s_load_b128 s[12:15], s[0:1], 0x28
	s_bfe_u32 s2, ttmp6, 0x4000c
	s_and_b32 s3, ttmp6, 15
	s_add_co_i32 s2, s2, 1
	s_getreg_b32 s4, hwreg(HW_REG_IB_STS2, 6, 4)
	s_mul_i32 s2, ttmp9, s2
	v_and_b32_e32 v32, 0x3ff, v0
	s_add_co_i32 s2, s3, s2
	s_cmp_eq_u32 s4, 0
	v_mbcnt_lo_u32_b32 v33, -1, 0
	s_cselect_b32 s26, ttmp9, s2
	s_mov_b32 s3, 0
	s_mov_b32 s2, -1
	s_add_nc_u64 s[24:25], s[0:1], 0x58
	s_wait_kmcnt 0x0
	s_cmp_ge_u32 s26, s22
	s_cbranch_scc0 .LBB1536_66
; %bb.1:
	v_dual_lshlrev_b32 v2, 3, v32 :: v_dual_lshlrev_b32 v4, 3, v33
	s_load_b32 s4, s[0:1], 0x20
	s_lshl_b32 s2, s26, 12
	v_mov_b64_e32 v[6:7], -1
	s_delay_alu instid0(VALU_DEP_2) | instskip(SKIP_2) | instid1(SALU_CYCLE_1)
	v_and_b32_e32 v1, 0xf00, v2
	v_mov_b32_e32 v5, 0
	s_lshl_b64 s[2:3], s[2:3], 3
	s_add_nc_u64 s[2:3], s[16:17], s[2:3]
	s_delay_alu instid0(VALU_DEP_1) | instid1(SALU_CYCLE_1)
	v_add_nc_u64_e32 v[8:9], s[2:3], v[4:5]
	v_dual_lshlrev_b32 v4, 3, v1 :: v_dual_bitop2_b32 v1, v33, v1 bitop3:0x54
	s_lshl_b32 s2, s22, 12
	s_delay_alu instid0(VALU_DEP_1)
	v_add_nc_u64_e32 v[20:21], v[8:9], v[4:5]
	v_mov_b64_e32 v[4:5], -1
	s_wait_kmcnt 0x0
	s_sub_co_i32 s9, s4, s2
	s_mov_b32 s2, exec_lo
	v_cmpx_gt_u32_e64 s9, v1
	s_cbranch_execz .LBB1536_3
; %bb.2:
	global_load_b64 v[4:5], v[20:21], off
.LBB1536_3:
	s_wait_xcnt 0x0
	s_or_b32 exec_lo, exec_lo, s2
	v_or_b32_e32 v3, 32, v1
	s_mov_b32 s2, exec_lo
	s_delay_alu instid0(VALU_DEP_1)
	v_cmpx_gt_u32_e64 s9, v3
	s_cbranch_execz .LBB1536_5
; %bb.4:
	global_load_b64 v[6:7], v[20:21], off offset:256
.LBB1536_5:
	s_wait_xcnt 0x0
	s_or_b32 exec_lo, exec_lo, s2
	v_mov_b64_e32 v[10:11], -1
	v_mov_b64_e32 v[8:9], -1
	v_or_b32_e32 v3, 64, v1
	s_mov_b32 s2, exec_lo
	s_delay_alu instid0(VALU_DEP_1)
	v_cmpx_gt_u32_e64 s9, v3
	s_cbranch_execz .LBB1536_7
; %bb.6:
	global_load_b64 v[8:9], v[20:21], off offset:512
.LBB1536_7:
	s_wait_xcnt 0x0
	s_or_b32 exec_lo, exec_lo, s2
	v_or_b32_e32 v3, 0x60, v1
	s_mov_b32 s2, exec_lo
	s_delay_alu instid0(VALU_DEP_1)
	v_cmpx_gt_u32_e64 s9, v3
	s_cbranch_execz .LBB1536_9
; %bb.8:
	global_load_b64 v[10:11], v[20:21], off offset:768
.LBB1536_9:
	s_wait_xcnt 0x0
	s_or_b32 exec_lo, exec_lo, s2
	v_mov_b64_e32 v[16:17], -1
	v_mov_b64_e32 v[12:13], -1
	v_or_b32_e32 v3, 0x80, v1
	s_mov_b32 s2, exec_lo
	s_delay_alu instid0(VALU_DEP_1)
	v_cmpx_gt_u32_e64 s9, v3
	s_cbranch_execz .LBB1536_11
; %bb.10:
	global_load_b64 v[12:13], v[20:21], off offset:1024
.LBB1536_11:
	;; [unrolled: 22-line block ×3, first 2 shown]
	s_wait_xcnt 0x0
	s_or_b32 exec_lo, exec_lo, s2
	v_or_b32_e32 v1, 0xe0, v1
	s_mov_b32 s2, exec_lo
	s_delay_alu instid0(VALU_DEP_1)
	v_cmpx_gt_u32_e64 s9, v1
	s_cbranch_execz .LBB1536_17
; %bb.16:
	global_load_b64 v[14:15], v[20:21], off offset:1792
.LBB1536_17:
	s_wait_xcnt 0x0
	s_or_b32 exec_lo, exec_lo, s2
	s_wait_loadcnt 0x0
	v_cmp_gt_i64_e32 vcc_lo, 0, v[4:5]
	s_clause 0x1
	s_load_b32 s27, s[0:1], 0x58
	s_load_u16 s4, s[0:1], 0x66
	s_mov_b64 s[22:23], 0x8000000000000000
	s_mov_b32 s3, 0
	v_cndmask_b32_e64 v3, 0x7fffffff, 0, vcc_lo
	s_delay_alu instid0(VALU_DEP_1) | instskip(NEXT) | instid1(VALU_DEP_1)
	v_dual_ashrrev_i32 v1, 31, v5 :: v_dual_bitop2_b32 v5, v3, v5 bitop3:0x14
	v_not_b32_e32 v1, v1
	v_bfe_u32 v3, v0, 20, 10
	s_delay_alu instid0(VALU_DEP_2) | instskip(SKIP_3) | instid1(VALU_DEP_2)
	v_xor_b32_e32 v4, v1, v4
	v_bfe_u32 v1, v0, 10, 10
	s_wait_kmcnt 0x0
	s_cmp_lt_u32 s26, s27
	v_cmp_ne_u64_e32 vcc_lo, s[22:23], v[4:5]
	s_cselect_b32 s2, 12, 18
	s_lshl_b32 s28, -1, s21
	v_mad_u32_u24 v1, v3, s4, v1
	s_add_nc_u64 s[2:3], s[24:25], s[2:3]
	s_load_u16 s29, s[2:3], 0x0
	v_cndmask_b32_e32 v21, 0x7fffffff, v5, vcc_lo
	v_cndmask_b32_e32 v20, -1, v4, vcc_lo
	s_delay_alu instid0(VALU_DEP_1) | instskip(NEXT) | instid1(VALU_DEP_1)
	v_lshrrev_b64 v[20:21], s20, v[20:21]
	v_bitop3_b32 v3, v20, 1, s28 bitop3:0x40
	v_bitop3_b32 v22, v20, s28, v20 bitop3:0x30
	s_not_b32 s28, s28
	s_wait_xcnt 0x0
	s_delay_alu instid0(VALU_DEP_2) | instskip(NEXT) | instid1(VALU_DEP_1)
	v_add_co_u32 v3, s2, v3, -1
	v_cndmask_b32_e64 v20, 0, 1, s2
	v_dual_lshlrev_b32 v21, 30, v22 :: v_dual_lshlrev_b32 v23, 29, v22
	v_dual_lshlrev_b32 v24, 28, v22 :: v_dual_lshlrev_b32 v25, 27, v22
	v_lshlrev_b32_e32 v26, 26, v22
	s_delay_alu instid0(VALU_DEP_4) | instskip(NEXT) | instid1(VALU_DEP_4)
	v_cmp_ne_u32_e32 vcc_lo, 0, v20
	v_not_b32_e32 v20, v21
	v_cmp_gt_i32_e64 s2, 0, v21
	v_cmp_gt_i32_e64 s3, 0, v23
	v_not_b32_e32 v21, v23
	v_not_b32_e32 v23, v24
	v_dual_ashrrev_i32 v20, 31, v20 :: v_dual_bitop2_b32 v3, vcc_lo, v3 bitop3:0x14
	v_dual_lshlrev_b32 v27, 25, v22 :: v_dual_lshlrev_b32 v28, 24, v22
	v_cmp_gt_i32_e64 s4, 0, v24
	v_cmp_gt_i32_e64 s5, 0, v25
	v_not_b32_e32 v24, v25
	v_not_b32_e32 v25, v26
	v_dual_ashrrev_i32 v21, 31, v21 :: v_dual_ashrrev_i32 v23, 31, v23
	v_xor_b32_e32 v20, s2, v20
	s_wait_kmcnt 0x0
	v_mad_u32 v1, v1, s29, v32
	v_cmp_gt_i32_e64 s6, 0, v26
	v_not_b32_e32 v26, v27
	v_dual_ashrrev_i32 v24, 31, v24 :: v_dual_bitop2_b32 v21, s3, v21 bitop3:0x14
	v_dual_ashrrev_i32 v25, 31, v25 :: v_dual_bitop2_b32 v23, s4, v23 bitop3:0x14
	s_delay_alu instid0(VALU_DEP_3)
	v_ashrrev_i32_e32 v26, 31, v26
	v_bitop3_b32 v3, v3, v20, exec_lo bitop3:0x80
	v_not_b32_e32 v20, v28
	v_cmp_gt_i32_e64 s7, 0, v27
	v_cmp_gt_i32_e64 s8, 0, v28
	v_xor_b32_e32 v24, s5, v24
	s_delay_alu instid0(VALU_DEP_4) | instskip(SKIP_3) | instid1(VALU_DEP_3)
	v_dual_ashrrev_i32 v20, 31, v20 :: v_dual_bitop2_b32 v25, s6, v25 bitop3:0x14
	v_bitop3_b32 v3, v3, v23, v21 bitop3:0x80
	v_dual_mov_b32 v23, 0 :: v_dual_bitop2_b32 v21, s7, v26 bitop3:0x14
	v_lshrrev_b32_e32 v1, 5, v1
	v_bitop3_b32 v24, v3, v25, v24 bitop3:0x80
	v_xor_b32_e32 v25, s8, v20
	v_mul_u32_u24_e32 v3, 36, v32
	s_delay_alu instid0(VALU_DEP_4)
	v_lshlrev_b32_e32 v20, 2, v1
	ds_store_2addr_b32 v3, v23, v23 offset0:16 offset1:17
	ds_store_2addr_b32 v3, v23, v23 offset0:18 offset1:19
	;; [unrolled: 1-line block ×4, first 2 shown]
	v_bitop3_b32 v21, v24, v25, v21 bitop3:0x80
	v_mad_u32 v28, 0x44, v22, v20
	ds_store_b32 v3, v23 offset:96
	s_wait_dscnt 0x0
	s_barrier_signal -1
	v_mbcnt_lo_u32_b32 v1, v21, 0
	v_cmp_ne_u32_e64 s2, 0, v21
	s_barrier_wait -1
	s_delay_alu instid0(VALU_DEP_2) | instskip(SKIP_1) | instid1(SALU_CYCLE_1)
	v_cmp_eq_u32_e32 vcc_lo, 0, v1
	; wave barrier
	s_and_b32 s3, s2, vcc_lo
	s_and_saveexec_b32 s2, s3
; %bb.18:
	v_bcnt_u32_b32 v21, v21, 0
	ds_store_b32 v28, v21 offset:64
; %bb.19:
	s_or_b32 exec_lo, exec_lo, s2
	v_cmp_gt_i64_e32 vcc_lo, 0, v[6:7]
	; wave barrier
	v_cndmask_b32_e64 v22, 0x7fffffff, 0, vcc_lo
	s_delay_alu instid0(VALU_DEP_1) | instskip(NEXT) | instid1(VALU_DEP_1)
	v_dual_ashrrev_i32 v21, 31, v7 :: v_dual_bitop2_b32 v7, v22, v7 bitop3:0x14
	v_not_b32_e32 v21, v21
	s_delay_alu instid0(VALU_DEP_1) | instskip(NEXT) | instid1(VALU_DEP_1)
	v_xor_b32_e32 v6, v21, v6
	v_cmp_ne_u64_e32 vcc_lo, s[22:23], v[6:7]
	v_cndmask_b32_e32 v23, 0x7fffffff, v7, vcc_lo
	v_cndmask_b32_e32 v22, -1, v6, vcc_lo
	s_delay_alu instid0(VALU_DEP_1) | instskip(NEXT) | instid1(VALU_DEP_1)
	v_lshrrev_b64 v[22:23], s20, v[22:23]
	v_and_b32_e32 v21, s28, v22
	v_bitop3_b32 v22, v22, 1, s28 bitop3:0x80
	s_delay_alu instid0(VALU_DEP_2) | instskip(NEXT) | instid1(VALU_DEP_2)
	v_lshlrev_b32_e32 v24, 30, v21
	v_add_co_u32 v22, s2, v22, -1
	s_delay_alu instid0(VALU_DEP_1) | instskip(NEXT) | instid1(VALU_DEP_3)
	v_cndmask_b32_e64 v23, 0, 1, s2
	v_cmp_gt_i32_e64 s2, 0, v24
	s_delay_alu instid0(VALU_DEP_2) | instskip(SKIP_1) | instid1(VALU_DEP_1)
	v_cmp_ne_u32_e32 vcc_lo, 0, v23
	v_not_b32_e32 v23, v24
	v_dual_ashrrev_i32 v23, 31, v23 :: v_dual_lshlrev_b32 v25, 29, v21
	v_dual_lshlrev_b32 v26, 28, v21 :: v_dual_lshlrev_b32 v27, 27, v21
	v_lshlrev_b32_e32 v30, 26, v21
	v_mad_u32 v29, 0x44, v21, v20
	s_delay_alu instid0(VALU_DEP_4)
	v_cmp_gt_i32_e64 s3, 0, v25
	v_not_b32_e32 v24, v25
	v_not_b32_e32 v25, v26
	v_dual_lshlrev_b32 v31, 25, v21 :: v_dual_lshlrev_b32 v21, 24, v21
	v_cmp_gt_i32_e64 s4, 0, v26
	v_cmp_gt_i32_e64 s5, 0, v27
	v_not_b32_e32 v26, v27
	v_not_b32_e32 v27, v30
	v_dual_ashrrev_i32 v24, 31, v24 :: v_dual_bitop2_b32 v22, vcc_lo, v22 bitop3:0x14
	v_dual_ashrrev_i32 v25, 31, v25 :: v_dual_bitop2_b32 v23, s2, v23 bitop3:0x14
	v_cmp_gt_i32_e64 s6, 0, v30
	v_not_b32_e32 v30, v31
	v_cmp_gt_i32_e64 s8, 0, v21
	v_not_b32_e32 v21, v21
	v_dual_ashrrev_i32 v26, 31, v26 :: v_dual_ashrrev_i32 v27, 31, v27
	v_xor_b32_e32 v24, s3, v24
	v_xor_b32_e32 v25, s4, v25
	v_bitop3_b32 v22, v22, v23, exec_lo bitop3:0x80
	v_cmp_gt_i32_e64 s7, 0, v31
	v_dual_ashrrev_i32 v23, 31, v30 :: v_dual_ashrrev_i32 v21, 31, v21
	v_xor_b32_e32 v26, s5, v26
	v_xor_b32_e32 v27, s6, v27
	v_bitop3_b32 v22, v22, v25, v24 bitop3:0x80
	s_delay_alu instid0(VALU_DEP_4) | instskip(SKIP_3) | instid1(VALU_DEP_1)
	v_xor_b32_e32 v23, s7, v23
	v_xor_b32_e32 v21, s8, v21
	ds_load_b32 v34, v29 offset:64
	v_bitop3_b32 v22, v22, v27, v26 bitop3:0x80
	; wave barrier
	v_bitop3_b32 v21, v22, v21, v23 bitop3:0x80
	s_delay_alu instid0(VALU_DEP_1) | instskip(SKIP_1) | instid1(VALU_DEP_2)
	v_mbcnt_lo_u32_b32 v35, v21, 0
	v_cmp_ne_u32_e64 s2, 0, v21
	v_cmp_eq_u32_e32 vcc_lo, 0, v35
	s_and_b32 s3, s2, vcc_lo
	s_delay_alu instid0(SALU_CYCLE_1)
	s_and_saveexec_b32 s2, s3
	s_cbranch_execz .LBB1536_21
; %bb.20:
	s_wait_dscnt 0x0
	v_bcnt_u32_b32 v21, v21, v34
	ds_store_b32 v29, v21 offset:64
.LBB1536_21:
	s_or_b32 exec_lo, exec_lo, s2
	v_cmp_gt_i64_e32 vcc_lo, 0, v[8:9]
	; wave barrier
	v_cndmask_b32_e64 v22, 0x7fffffff, 0, vcc_lo
	s_delay_alu instid0(VALU_DEP_1) | instskip(NEXT) | instid1(VALU_DEP_1)
	v_dual_ashrrev_i32 v21, 31, v9 :: v_dual_bitop2_b32 v9, v22, v9 bitop3:0x14
	v_not_b32_e32 v21, v21
	s_delay_alu instid0(VALU_DEP_1) | instskip(NEXT) | instid1(VALU_DEP_1)
	v_xor_b32_e32 v8, v21, v8
	v_cmp_ne_u64_e32 vcc_lo, s[22:23], v[8:9]
	v_cndmask_b32_e32 v23, 0x7fffffff, v9, vcc_lo
	v_cndmask_b32_e32 v22, -1, v8, vcc_lo
	s_delay_alu instid0(VALU_DEP_1) | instskip(NEXT) | instid1(VALU_DEP_1)
	v_lshrrev_b64 v[22:23], s20, v[22:23]
	v_and_b32_e32 v21, s28, v22
	v_bitop3_b32 v22, v22, 1, s28 bitop3:0x80
	s_delay_alu instid0(VALU_DEP_2) | instskip(NEXT) | instid1(VALU_DEP_2)
	v_lshlrev_b32_e32 v24, 30, v21
	v_add_co_u32 v22, s2, v22, -1
	s_delay_alu instid0(VALU_DEP_1) | instskip(NEXT) | instid1(VALU_DEP_3)
	v_cndmask_b32_e64 v23, 0, 1, s2
	v_cmp_gt_i32_e64 s2, 0, v24
	s_delay_alu instid0(VALU_DEP_2) | instskip(SKIP_1) | instid1(VALU_DEP_1)
	v_cmp_ne_u32_e32 vcc_lo, 0, v23
	v_not_b32_e32 v23, v24
	v_dual_ashrrev_i32 v23, 31, v23 :: v_dual_bitop2_b32 v22, vcc_lo, v22 bitop3:0x14
	v_dual_lshlrev_b32 v25, 29, v21 :: v_dual_lshlrev_b32 v26, 28, v21
	v_dual_lshlrev_b32 v27, 27, v21 :: v_dual_lshlrev_b32 v31, 26, v21
	v_lshlrev_b32_e32 v36, 25, v21
	s_delay_alu instid0(VALU_DEP_3)
	v_cmp_gt_i32_e64 s3, 0, v25
	v_not_b32_e32 v24, v25
	v_not_b32_e32 v25, v26
	v_mad_u32 v30, 0x44, v21, v20
	v_lshlrev_b32_e32 v21, 24, v21
	v_cmp_gt_i32_e64 s4, 0, v26
	v_cmp_gt_i32_e64 s5, 0, v27
	v_not_b32_e32 v26, v27
	v_not_b32_e32 v27, v31
	v_dual_ashrrev_i32 v24, 31, v24 :: v_dual_ashrrev_i32 v25, 31, v25
	v_xor_b32_e32 v23, s2, v23
	v_cmp_gt_i32_e64 s6, 0, v31
	v_not_b32_e32 v31, v36
	v_cmp_gt_i32_e64 s8, 0, v21
	v_not_b32_e32 v21, v21
	v_dual_ashrrev_i32 v26, 31, v26 :: v_dual_ashrrev_i32 v27, 31, v27
	v_xor_b32_e32 v24, s3, v24
	v_xor_b32_e32 v25, s4, v25
	v_bitop3_b32 v22, v22, v23, exec_lo bitop3:0x80
	v_cmp_gt_i32_e64 s7, 0, v36
	v_dual_ashrrev_i32 v23, 31, v31 :: v_dual_ashrrev_i32 v21, 31, v21
	v_xor_b32_e32 v26, s5, v26
	v_xor_b32_e32 v27, s6, v27
	v_bitop3_b32 v22, v22, v25, v24 bitop3:0x80
	s_delay_alu instid0(VALU_DEP_4) | instskip(SKIP_3) | instid1(VALU_DEP_1)
	v_xor_b32_e32 v23, s7, v23
	v_xor_b32_e32 v21, s8, v21
	ds_load_b32 v36, v30 offset:64
	v_bitop3_b32 v22, v22, v27, v26 bitop3:0x80
	; wave barrier
	v_bitop3_b32 v21, v22, v21, v23 bitop3:0x80
	s_delay_alu instid0(VALU_DEP_1) | instskip(SKIP_1) | instid1(VALU_DEP_2)
	v_mbcnt_lo_u32_b32 v37, v21, 0
	v_cmp_ne_u32_e64 s2, 0, v21
	v_cmp_eq_u32_e32 vcc_lo, 0, v37
	s_and_b32 s3, s2, vcc_lo
	s_delay_alu instid0(SALU_CYCLE_1)
	s_and_saveexec_b32 s2, s3
	s_cbranch_execz .LBB1536_23
; %bb.22:
	s_wait_dscnt 0x0
	v_bcnt_u32_b32 v21, v21, v36
	ds_store_b32 v30, v21 offset:64
.LBB1536_23:
	s_or_b32 exec_lo, exec_lo, s2
	v_cmp_gt_i64_e32 vcc_lo, 0, v[10:11]
	; wave barrier
	v_cndmask_b32_e64 v22, 0x7fffffff, 0, vcc_lo
	s_delay_alu instid0(VALU_DEP_1) | instskip(NEXT) | instid1(VALU_DEP_1)
	v_dual_ashrrev_i32 v21, 31, v11 :: v_dual_bitop2_b32 v11, v22, v11 bitop3:0x14
	v_not_b32_e32 v21, v21
	s_delay_alu instid0(VALU_DEP_1) | instskip(NEXT) | instid1(VALU_DEP_1)
	v_xor_b32_e32 v10, v21, v10
	v_cmp_ne_u64_e32 vcc_lo, s[22:23], v[10:11]
	v_cndmask_b32_e32 v23, 0x7fffffff, v11, vcc_lo
	v_cndmask_b32_e32 v22, -1, v10, vcc_lo
	s_delay_alu instid0(VALU_DEP_1) | instskip(NEXT) | instid1(VALU_DEP_1)
	v_lshrrev_b64 v[22:23], s20, v[22:23]
	v_and_b32_e32 v21, s28, v22
	v_bitop3_b32 v22, v22, 1, s28 bitop3:0x80
	s_delay_alu instid0(VALU_DEP_2) | instskip(NEXT) | instid1(VALU_DEP_2)
	v_lshlrev_b32_e32 v24, 30, v21
	v_add_co_u32 v22, s2, v22, -1
	s_delay_alu instid0(VALU_DEP_1) | instskip(NEXT) | instid1(VALU_DEP_3)
	v_cndmask_b32_e64 v23, 0, 1, s2
	v_cmp_gt_i32_e64 s2, 0, v24
	s_delay_alu instid0(VALU_DEP_2) | instskip(SKIP_1) | instid1(VALU_DEP_1)
	v_cmp_ne_u32_e32 vcc_lo, 0, v23
	v_not_b32_e32 v23, v24
	v_dual_ashrrev_i32 v23, 31, v23 :: v_dual_lshlrev_b32 v25, 29, v21
	v_dual_lshlrev_b32 v26, 28, v21 :: v_dual_lshlrev_b32 v27, 27, v21
	v_lshlrev_b32_e32 v38, 26, v21
	v_mad_u32 v31, 0x44, v21, v20
	s_delay_alu instid0(VALU_DEP_4)
	v_cmp_gt_i32_e64 s3, 0, v25
	v_not_b32_e32 v24, v25
	v_not_b32_e32 v25, v26
	v_dual_lshlrev_b32 v39, 25, v21 :: v_dual_lshlrev_b32 v21, 24, v21
	v_cmp_gt_i32_e64 s4, 0, v26
	v_cmp_gt_i32_e64 s5, 0, v27
	v_not_b32_e32 v26, v27
	v_not_b32_e32 v27, v38
	v_dual_ashrrev_i32 v24, 31, v24 :: v_dual_bitop2_b32 v22, vcc_lo, v22 bitop3:0x14
	v_dual_ashrrev_i32 v25, 31, v25 :: v_dual_bitop2_b32 v23, s2, v23 bitop3:0x14
	v_cmp_gt_i32_e64 s6, 0, v38
	v_not_b32_e32 v38, v39
	v_cmp_gt_i32_e64 s8, 0, v21
	v_not_b32_e32 v21, v21
	v_dual_ashrrev_i32 v26, 31, v26 :: v_dual_ashrrev_i32 v27, 31, v27
	v_xor_b32_e32 v24, s3, v24
	v_xor_b32_e32 v25, s4, v25
	v_bitop3_b32 v22, v22, v23, exec_lo bitop3:0x80
	v_cmp_gt_i32_e64 s7, 0, v39
	v_dual_ashrrev_i32 v23, 31, v38 :: v_dual_ashrrev_i32 v21, 31, v21
	v_xor_b32_e32 v26, s5, v26
	v_xor_b32_e32 v27, s6, v27
	v_bitop3_b32 v22, v22, v25, v24 bitop3:0x80
	s_delay_alu instid0(VALU_DEP_4) | instskip(SKIP_3) | instid1(VALU_DEP_1)
	v_xor_b32_e32 v23, s7, v23
	v_xor_b32_e32 v21, s8, v21
	ds_load_b32 v38, v31 offset:64
	v_bitop3_b32 v22, v22, v27, v26 bitop3:0x80
	; wave barrier
	v_bitop3_b32 v21, v22, v21, v23 bitop3:0x80
	s_delay_alu instid0(VALU_DEP_1) | instskip(SKIP_1) | instid1(VALU_DEP_2)
	v_mbcnt_lo_u32_b32 v39, v21, 0
	v_cmp_ne_u32_e64 s2, 0, v21
	v_cmp_eq_u32_e32 vcc_lo, 0, v39
	s_and_b32 s3, s2, vcc_lo
	s_delay_alu instid0(SALU_CYCLE_1)
	s_and_saveexec_b32 s2, s3
	s_cbranch_execz .LBB1536_25
; %bb.24:
	s_wait_dscnt 0x0
	v_bcnt_u32_b32 v21, v21, v38
	ds_store_b32 v31, v21 offset:64
.LBB1536_25:
	s_or_b32 exec_lo, exec_lo, s2
	v_cmp_gt_i64_e32 vcc_lo, 0, v[12:13]
	; wave barrier
	v_cndmask_b32_e64 v22, 0x7fffffff, 0, vcc_lo
	s_delay_alu instid0(VALU_DEP_1) | instskip(NEXT) | instid1(VALU_DEP_1)
	v_dual_ashrrev_i32 v21, 31, v13 :: v_dual_bitop2_b32 v13, v22, v13 bitop3:0x14
	v_not_b32_e32 v21, v21
	s_delay_alu instid0(VALU_DEP_1) | instskip(NEXT) | instid1(VALU_DEP_1)
	v_xor_b32_e32 v12, v21, v12
	v_cmp_ne_u64_e32 vcc_lo, s[22:23], v[12:13]
	v_cndmask_b32_e32 v23, 0x7fffffff, v13, vcc_lo
	v_cndmask_b32_e32 v22, -1, v12, vcc_lo
	s_delay_alu instid0(VALU_DEP_1) | instskip(NEXT) | instid1(VALU_DEP_1)
	v_lshrrev_b64 v[22:23], s20, v[22:23]
	v_and_b32_e32 v21, s28, v22
	v_bitop3_b32 v22, v22, 1, s28 bitop3:0x80
	s_delay_alu instid0(VALU_DEP_2) | instskip(NEXT) | instid1(VALU_DEP_2)
	v_lshlrev_b32_e32 v24, 30, v21
	v_add_co_u32 v22, s2, v22, -1
	s_delay_alu instid0(VALU_DEP_1) | instskip(NEXT) | instid1(VALU_DEP_3)
	v_cndmask_b32_e64 v23, 0, 1, s2
	v_cmp_gt_i32_e64 s2, 0, v24
	s_delay_alu instid0(VALU_DEP_2) | instskip(SKIP_1) | instid1(VALU_DEP_1)
	v_cmp_ne_u32_e32 vcc_lo, 0, v23
	v_not_b32_e32 v23, v24
	v_dual_ashrrev_i32 v23, 31, v23 :: v_dual_bitop2_b32 v22, vcc_lo, v22 bitop3:0x14
	v_dual_lshlrev_b32 v25, 29, v21 :: v_dual_lshlrev_b32 v26, 28, v21
	v_dual_lshlrev_b32 v27, 27, v21 :: v_dual_lshlrev_b32 v40, 26, v21
	v_lshlrev_b32_e32 v41, 25, v21
	s_delay_alu instid0(VALU_DEP_3)
	v_cmp_gt_i32_e64 s3, 0, v25
	v_not_b32_e32 v24, v25
	v_not_b32_e32 v25, v26
	v_mad_u32 v42, 0x44, v21, v20
	v_lshlrev_b32_e32 v21, 24, v21
	v_cmp_gt_i32_e64 s4, 0, v26
	v_cmp_gt_i32_e64 s5, 0, v27
	v_not_b32_e32 v26, v27
	v_not_b32_e32 v27, v40
	v_dual_ashrrev_i32 v24, 31, v24 :: v_dual_ashrrev_i32 v25, 31, v25
	v_xor_b32_e32 v23, s2, v23
	v_cmp_gt_i32_e64 s6, 0, v40
	v_not_b32_e32 v40, v41
	v_cmp_gt_i32_e64 s8, 0, v21
	v_not_b32_e32 v21, v21
	v_dual_ashrrev_i32 v26, 31, v26 :: v_dual_ashrrev_i32 v27, 31, v27
	v_xor_b32_e32 v24, s3, v24
	v_xor_b32_e32 v25, s4, v25
	v_bitop3_b32 v22, v22, v23, exec_lo bitop3:0x80
	v_cmp_gt_i32_e64 s7, 0, v41
	v_dual_ashrrev_i32 v23, 31, v40 :: v_dual_ashrrev_i32 v21, 31, v21
	v_xor_b32_e32 v26, s5, v26
	v_xor_b32_e32 v27, s6, v27
	v_bitop3_b32 v22, v22, v25, v24 bitop3:0x80
	s_delay_alu instid0(VALU_DEP_4) | instskip(SKIP_3) | instid1(VALU_DEP_1)
	v_xor_b32_e32 v23, s7, v23
	v_xor_b32_e32 v21, s8, v21
	ds_load_b32 v40, v42 offset:64
	v_bitop3_b32 v22, v22, v27, v26 bitop3:0x80
	; wave barrier
	v_bitop3_b32 v21, v22, v21, v23 bitop3:0x80
	s_delay_alu instid0(VALU_DEP_1) | instskip(SKIP_1) | instid1(VALU_DEP_2)
	v_mbcnt_lo_u32_b32 v41, v21, 0
	v_cmp_ne_u32_e64 s2, 0, v21
	v_cmp_eq_u32_e32 vcc_lo, 0, v41
	s_and_b32 s3, s2, vcc_lo
	s_delay_alu instid0(SALU_CYCLE_1)
	s_and_saveexec_b32 s2, s3
	s_cbranch_execz .LBB1536_27
; %bb.26:
	s_wait_dscnt 0x0
	v_bcnt_u32_b32 v21, v21, v40
	ds_store_b32 v42, v21 offset:64
.LBB1536_27:
	s_or_b32 exec_lo, exec_lo, s2
	v_cmp_gt_i64_e32 vcc_lo, 0, v[16:17]
	; wave barrier
	v_cndmask_b32_e64 v22, 0x7fffffff, 0, vcc_lo
	s_delay_alu instid0(VALU_DEP_1) | instskip(NEXT) | instid1(VALU_DEP_1)
	v_dual_ashrrev_i32 v21, 31, v17 :: v_dual_bitop2_b32 v17, v22, v17 bitop3:0x14
	v_not_b32_e32 v21, v21
	s_delay_alu instid0(VALU_DEP_1) | instskip(NEXT) | instid1(VALU_DEP_1)
	v_xor_b32_e32 v16, v21, v16
	v_cmp_ne_u64_e32 vcc_lo, s[22:23], v[16:17]
	v_cndmask_b32_e32 v23, 0x7fffffff, v17, vcc_lo
	v_cndmask_b32_e32 v22, -1, v16, vcc_lo
	s_delay_alu instid0(VALU_DEP_1) | instskip(NEXT) | instid1(VALU_DEP_1)
	v_lshrrev_b64 v[22:23], s20, v[22:23]
	v_and_b32_e32 v21, s28, v22
	v_bitop3_b32 v22, v22, 1, s28 bitop3:0x80
	s_delay_alu instid0(VALU_DEP_2) | instskip(NEXT) | instid1(VALU_DEP_2)
	v_lshlrev_b32_e32 v24, 30, v21
	v_add_co_u32 v22, s2, v22, -1
	s_delay_alu instid0(VALU_DEP_1) | instskip(NEXT) | instid1(VALU_DEP_3)
	v_cndmask_b32_e64 v23, 0, 1, s2
	v_cmp_gt_i32_e64 s2, 0, v24
	s_delay_alu instid0(VALU_DEP_2) | instskip(SKIP_1) | instid1(VALU_DEP_1)
	v_cmp_ne_u32_e32 vcc_lo, 0, v23
	v_not_b32_e32 v23, v24
	v_dual_ashrrev_i32 v23, 31, v23 :: v_dual_bitop2_b32 v22, vcc_lo, v22 bitop3:0x14
	v_dual_lshlrev_b32 v25, 29, v21 :: v_dual_lshlrev_b32 v26, 28, v21
	v_dual_lshlrev_b32 v27, 27, v21 :: v_dual_lshlrev_b32 v43, 26, v21
	v_lshlrev_b32_e32 v44, 25, v21
	s_delay_alu instid0(VALU_DEP_3)
	v_cmp_gt_i32_e64 s3, 0, v25
	v_not_b32_e32 v24, v25
	v_not_b32_e32 v25, v26
	v_mad_u32 v45, 0x44, v21, v20
	v_lshlrev_b32_e32 v21, 24, v21
	v_cmp_gt_i32_e64 s4, 0, v26
	v_cmp_gt_i32_e64 s5, 0, v27
	v_not_b32_e32 v26, v27
	v_not_b32_e32 v27, v43
	v_dual_ashrrev_i32 v24, 31, v24 :: v_dual_ashrrev_i32 v25, 31, v25
	v_xor_b32_e32 v23, s2, v23
	v_cmp_gt_i32_e64 s6, 0, v43
	v_not_b32_e32 v43, v44
	v_cmp_gt_i32_e64 s8, 0, v21
	v_not_b32_e32 v21, v21
	v_dual_ashrrev_i32 v26, 31, v26 :: v_dual_ashrrev_i32 v27, 31, v27
	v_xor_b32_e32 v24, s3, v24
	v_xor_b32_e32 v25, s4, v25
	v_bitop3_b32 v22, v22, v23, exec_lo bitop3:0x80
	v_cmp_gt_i32_e64 s7, 0, v44
	v_dual_ashrrev_i32 v23, 31, v43 :: v_dual_ashrrev_i32 v21, 31, v21
	v_xor_b32_e32 v26, s5, v26
	v_xor_b32_e32 v27, s6, v27
	v_bitop3_b32 v22, v22, v25, v24 bitop3:0x80
	s_delay_alu instid0(VALU_DEP_4) | instskip(SKIP_3) | instid1(VALU_DEP_1)
	v_xor_b32_e32 v23, s7, v23
	v_xor_b32_e32 v21, s8, v21
	ds_load_b32 v43, v45 offset:64
	v_bitop3_b32 v22, v22, v27, v26 bitop3:0x80
	; wave barrier
	v_bitop3_b32 v21, v22, v21, v23 bitop3:0x80
	s_delay_alu instid0(VALU_DEP_1) | instskip(SKIP_1) | instid1(VALU_DEP_2)
	v_mbcnt_lo_u32_b32 v44, v21, 0
	v_cmp_ne_u32_e64 s2, 0, v21
	v_cmp_eq_u32_e32 vcc_lo, 0, v44
	s_and_b32 s3, s2, vcc_lo
	s_delay_alu instid0(SALU_CYCLE_1)
	s_and_saveexec_b32 s2, s3
	s_cbranch_execz .LBB1536_29
; %bb.28:
	s_wait_dscnt 0x0
	v_bcnt_u32_b32 v21, v21, v43
	ds_store_b32 v45, v21 offset:64
.LBB1536_29:
	s_or_b32 exec_lo, exec_lo, s2
	v_cmp_gt_i64_e32 vcc_lo, 0, v[18:19]
	; wave barrier
	v_cndmask_b32_e64 v22, 0x7fffffff, 0, vcc_lo
	s_delay_alu instid0(VALU_DEP_1) | instskip(NEXT) | instid1(VALU_DEP_1)
	v_dual_ashrrev_i32 v21, 31, v19 :: v_dual_bitop2_b32 v19, v22, v19 bitop3:0x14
	v_not_b32_e32 v21, v21
	s_delay_alu instid0(VALU_DEP_1) | instskip(NEXT) | instid1(VALU_DEP_1)
	v_xor_b32_e32 v18, v21, v18
	v_cmp_ne_u64_e32 vcc_lo, s[22:23], v[18:19]
	v_cndmask_b32_e32 v23, 0x7fffffff, v19, vcc_lo
	v_cndmask_b32_e32 v22, -1, v18, vcc_lo
	s_delay_alu instid0(VALU_DEP_1) | instskip(NEXT) | instid1(VALU_DEP_1)
	v_lshrrev_b64 v[22:23], s20, v[22:23]
	v_and_b32_e32 v21, s28, v22
	v_bitop3_b32 v22, v22, 1, s28 bitop3:0x80
	s_delay_alu instid0(VALU_DEP_2) | instskip(NEXT) | instid1(VALU_DEP_2)
	v_lshlrev_b32_e32 v24, 30, v21
	v_add_co_u32 v22, s2, v22, -1
	s_delay_alu instid0(VALU_DEP_1) | instskip(NEXT) | instid1(VALU_DEP_3)
	v_cndmask_b32_e64 v23, 0, 1, s2
	v_cmp_gt_i32_e64 s2, 0, v24
	s_delay_alu instid0(VALU_DEP_2) | instskip(SKIP_1) | instid1(VALU_DEP_1)
	v_cmp_ne_u32_e32 vcc_lo, 0, v23
	v_not_b32_e32 v23, v24
	v_dual_ashrrev_i32 v23, 31, v23 :: v_dual_lshlrev_b32 v25, 29, v21
	v_dual_lshlrev_b32 v26, 28, v21 :: v_dual_lshlrev_b32 v27, 27, v21
	v_lshlrev_b32_e32 v46, 26, v21
	v_mad_u32 v48, 0x44, v21, v20
	s_delay_alu instid0(VALU_DEP_4)
	v_cmp_gt_i32_e64 s3, 0, v25
	v_not_b32_e32 v24, v25
	v_not_b32_e32 v25, v26
	v_dual_lshlrev_b32 v47, 25, v21 :: v_dual_lshlrev_b32 v21, 24, v21
	v_cmp_gt_i32_e64 s4, 0, v26
	v_cmp_gt_i32_e64 s5, 0, v27
	v_not_b32_e32 v26, v27
	v_not_b32_e32 v27, v46
	v_dual_ashrrev_i32 v24, 31, v24 :: v_dual_bitop2_b32 v22, vcc_lo, v22 bitop3:0x14
	v_dual_ashrrev_i32 v25, 31, v25 :: v_dual_bitop2_b32 v23, s2, v23 bitop3:0x14
	v_cmp_gt_i32_e64 s6, 0, v46
	v_not_b32_e32 v46, v47
	v_cmp_gt_i32_e64 s8, 0, v21
	v_not_b32_e32 v21, v21
	v_dual_ashrrev_i32 v26, 31, v26 :: v_dual_ashrrev_i32 v27, 31, v27
	v_xor_b32_e32 v24, s3, v24
	v_xor_b32_e32 v25, s4, v25
	v_bitop3_b32 v22, v22, v23, exec_lo bitop3:0x80
	v_cmp_gt_i32_e64 s7, 0, v47
	v_dual_ashrrev_i32 v23, 31, v46 :: v_dual_ashrrev_i32 v21, 31, v21
	v_xor_b32_e32 v26, s5, v26
	v_xor_b32_e32 v27, s6, v27
	v_bitop3_b32 v22, v22, v25, v24 bitop3:0x80
	s_delay_alu instid0(VALU_DEP_4) | instskip(SKIP_3) | instid1(VALU_DEP_1)
	v_xor_b32_e32 v23, s7, v23
	v_xor_b32_e32 v21, s8, v21
	ds_load_b32 v46, v48 offset:64
	v_bitop3_b32 v22, v22, v27, v26 bitop3:0x80
	; wave barrier
	v_bitop3_b32 v21, v22, v21, v23 bitop3:0x80
	s_delay_alu instid0(VALU_DEP_1) | instskip(SKIP_1) | instid1(VALU_DEP_2)
	v_mbcnt_lo_u32_b32 v47, v21, 0
	v_cmp_ne_u32_e64 s2, 0, v21
	v_cmp_eq_u32_e32 vcc_lo, 0, v47
	s_and_b32 s3, s2, vcc_lo
	s_delay_alu instid0(SALU_CYCLE_1)
	s_and_saveexec_b32 s2, s3
	s_cbranch_execz .LBB1536_31
; %bb.30:
	s_wait_dscnt 0x0
	v_bcnt_u32_b32 v21, v21, v46
	ds_store_b32 v48, v21 offset:64
.LBB1536_31:
	s_or_b32 exec_lo, exec_lo, s2
	v_cmp_gt_i64_e32 vcc_lo, 0, v[14:15]
	; wave barrier
	v_cndmask_b32_e64 v22, 0x7fffffff, 0, vcc_lo
	s_delay_alu instid0(VALU_DEP_1) | instskip(NEXT) | instid1(VALU_DEP_1)
	v_dual_ashrrev_i32 v21, 31, v15 :: v_dual_bitop2_b32 v15, v22, v15 bitop3:0x14
	v_not_b32_e32 v21, v21
	s_delay_alu instid0(VALU_DEP_1) | instskip(NEXT) | instid1(VALU_DEP_1)
	v_xor_b32_e32 v14, v21, v14
	v_cmp_ne_u64_e32 vcc_lo, s[22:23], v[14:15]
	v_cndmask_b32_e32 v23, 0x7fffffff, v15, vcc_lo
	v_cndmask_b32_e32 v22, -1, v14, vcc_lo
	s_delay_alu instid0(VALU_DEP_1) | instskip(NEXT) | instid1(VALU_DEP_1)
	v_lshrrev_b64 v[22:23], s20, v[22:23]
	v_and_b32_e32 v21, s28, v22
	v_bitop3_b32 v22, v22, 1, s28 bitop3:0x80
	s_delay_alu instid0(VALU_DEP_2) | instskip(NEXT) | instid1(VALU_DEP_2)
	v_mad_u32 v51, 0x44, v21, v20
	v_add_co_u32 v20, s2, v22, -1
	s_delay_alu instid0(VALU_DEP_1) | instskip(SKIP_1) | instid1(VALU_DEP_2)
	v_cndmask_b32_e64 v22, 0, 1, s2
	v_lshlrev_b32_e32 v23, 30, v21
	v_cmp_ne_u32_e32 vcc_lo, 0, v22
	s_delay_alu instid0(VALU_DEP_2) | instskip(SKIP_1) | instid1(VALU_DEP_2)
	v_not_b32_e32 v22, v23
	v_cmp_gt_i32_e64 s2, 0, v23
	v_dual_ashrrev_i32 v22, 31, v22 :: v_dual_lshlrev_b32 v24, 29, v21
	v_dual_lshlrev_b32 v25, 28, v21 :: v_dual_lshlrev_b32 v26, 27, v21
	v_dual_lshlrev_b32 v27, 26, v21 :: v_dual_lshlrev_b32 v49, 25, v21
	v_lshlrev_b32_e32 v21, 24, v21
	s_delay_alu instid0(VALU_DEP_4)
	v_cmp_gt_i32_e64 s3, 0, v24
	v_not_b32_e32 v23, v24
	v_not_b32_e32 v24, v25
	v_cmp_gt_i32_e64 s4, 0, v25
	v_cmp_gt_i32_e64 s5, 0, v26
	v_not_b32_e32 v25, v26
	v_not_b32_e32 v26, v27
	v_dual_ashrrev_i32 v23, 31, v23 :: v_dual_bitop2_b32 v20, vcc_lo, v20 bitop3:0x14
	v_dual_ashrrev_i32 v24, 31, v24 :: v_dual_bitop2_b32 v22, s2, v22 bitop3:0x14
	v_cmp_gt_i32_e64 s6, 0, v27
	v_not_b32_e32 v27, v49
	v_cmp_gt_i32_e64 s8, 0, v21
	v_not_b32_e32 v21, v21
	v_dual_ashrrev_i32 v25, 31, v25 :: v_dual_ashrrev_i32 v26, 31, v26
	v_xor_b32_e32 v23, s3, v23
	v_xor_b32_e32 v24, s4, v24
	v_bitop3_b32 v20, v20, v22, exec_lo bitop3:0x80
	v_cmp_gt_i32_e64 s7, 0, v49
	v_dual_ashrrev_i32 v22, 31, v27 :: v_dual_ashrrev_i32 v21, 31, v21
	v_xor_b32_e32 v25, s5, v25
	v_xor_b32_e32 v26, s6, v26
	v_bitop3_b32 v20, v20, v24, v23 bitop3:0x80
	s_delay_alu instid0(VALU_DEP_4) | instskip(SKIP_3) | instid1(VALU_DEP_1)
	v_xor_b32_e32 v22, s7, v22
	v_xor_b32_e32 v21, s8, v21
	ds_load_b32 v49, v51 offset:64
	v_bitop3_b32 v20, v20, v26, v25 bitop3:0x80
	; wave barrier
	v_bitop3_b32 v20, v20, v21, v22 bitop3:0x80
	s_delay_alu instid0(VALU_DEP_1) | instskip(SKIP_1) | instid1(VALU_DEP_2)
	v_mbcnt_lo_u32_b32 v50, v20, 0
	v_cmp_ne_u32_e64 s2, 0, v20
	v_cmp_eq_u32_e32 vcc_lo, 0, v50
	s_and_b32 s3, s2, vcc_lo
	s_delay_alu instid0(SALU_CYCLE_1)
	s_and_saveexec_b32 s2, s3
	s_cbranch_execz .LBB1536_33
; %bb.32:
	s_wait_dscnt 0x0
	v_bcnt_u32_b32 v20, v20, v49
	ds_store_b32 v51, v20 offset:64
.LBB1536_33:
	s_or_b32 exec_lo, exec_lo, s2
	; wave barrier
	s_wait_dscnt 0x0
	s_barrier_signal -1
	s_barrier_wait -1
	ds_load_2addr_b32 v[26:27], v3 offset0:16 offset1:17
	ds_load_2addr_b32 v[24:25], v3 offset0:18 offset1:19
	;; [unrolled: 1-line block ×4, first 2 shown]
	ds_load_b32 v52, v3 offset:96
	v_bfe_i32 v55, v33, 4, 1
	s_mov_b32 s6, exec_lo
	s_wait_dscnt 0x3
	v_add3_u32 v53, v27, v26, v24
	s_wait_dscnt 0x2
	s_delay_alu instid0(VALU_DEP_1) | instskip(SKIP_1) | instid1(VALU_DEP_1)
	v_add3_u32 v53, v53, v25, v22
	s_wait_dscnt 0x1
	v_add3_u32 v53, v53, v23, v20
	s_wait_dscnt 0x0
	s_delay_alu instid0(VALU_DEP_1) | instskip(SKIP_1) | instid1(VALU_DEP_2)
	v_add3_u32 v52, v53, v21, v52
	v_and_b32_e32 v53, 15, v33
	v_mov_b32_dpp v54, v52 row_shr:1 row_mask:0xf bank_mask:0xf
	s_delay_alu instid0(VALU_DEP_2) | instskip(NEXT) | instid1(VALU_DEP_2)
	v_cmp_eq_u32_e32 vcc_lo, 0, v53
	v_cndmask_b32_e64 v54, v54, 0, vcc_lo
	s_delay_alu instid0(VALU_DEP_1) | instskip(SKIP_3) | instid1(VALU_DEP_4)
	v_add_nc_u32_e32 v52, v54, v52
	v_cmp_lt_u32_e64 s2, 1, v53
	v_cmp_lt_u32_e64 s3, 3, v53
	;; [unrolled: 1-line block ×3, first 2 shown]
	v_mov_b32_dpp v54, v52 row_shr:2 row_mask:0xf bank_mask:0xf
	s_delay_alu instid0(VALU_DEP_1) | instskip(NEXT) | instid1(VALU_DEP_1)
	v_cndmask_b32_e64 v54, 0, v54, s2
	v_add_nc_u32_e32 v52, v52, v54
	s_delay_alu instid0(VALU_DEP_1) | instskip(NEXT) | instid1(VALU_DEP_1)
	v_mov_b32_dpp v54, v52 row_shr:4 row_mask:0xf bank_mask:0xf
	v_cndmask_b32_e64 v54, 0, v54, s3
	s_delay_alu instid0(VALU_DEP_1) | instskip(NEXT) | instid1(VALU_DEP_1)
	v_add_nc_u32_e32 v52, v52, v54
	v_mov_b32_dpp v54, v52 row_shr:8 row_mask:0xf bank_mask:0xf
	s_delay_alu instid0(VALU_DEP_1) | instskip(SKIP_1) | instid1(VALU_DEP_2)
	v_cndmask_b32_e64 v53, 0, v54, s4
	v_and_b32_e32 v54, 0x3e0, v32
	v_add_nc_u32_e32 v52, v52, v53
	s_delay_alu instid0(VALU_DEP_2) | instskip(SKIP_3) | instid1(VALU_DEP_1)
	v_min_u32_e32 v54, 0x1e0, v54
	ds_swizzle_b32 v53, v52 offset:swizzle(BROADCAST,32,15)
	s_wait_dscnt 0x0
	v_dual_lshrrev_b32 v53, 5, v32 :: v_dual_bitop2_b32 v55, v55, v53 bitop3:0x40
	v_dual_add_nc_u32 v52, v52, v55 :: v_dual_bitop2_b32 v54, 31, v54 bitop3:0x54
	s_delay_alu instid0(VALU_DEP_1)
	v_cmpx_eq_u32_e64 v32, v54
; %bb.34:
	s_delay_alu instid0(VALU_DEP_3)
	v_lshlrev_b32_e32 v54, 2, v53
	ds_store_b32 v54, v52
; %bb.35:
	s_or_b32 exec_lo, exec_lo, s6
	s_delay_alu instid0(SALU_CYCLE_1)
	s_mov_b32 s6, exec_lo
	s_wait_dscnt 0x0
	s_barrier_signal -1
	s_barrier_wait -1
	v_cmpx_gt_u32_e32 16, v32
	s_cbranch_execz .LBB1536_37
; %bb.36:
	v_lshlrev_b32_e32 v54, 2, v32
	ds_load_b32 v55, v54
	s_wait_dscnt 0x0
	v_mov_b32_dpp v56, v55 row_shr:1 row_mask:0xf bank_mask:0xf
	s_delay_alu instid0(VALU_DEP_1) | instskip(NEXT) | instid1(VALU_DEP_1)
	v_cndmask_b32_e64 v56, v56, 0, vcc_lo
	v_add_nc_u32_e32 v55, v56, v55
	s_delay_alu instid0(VALU_DEP_1) | instskip(NEXT) | instid1(VALU_DEP_1)
	v_mov_b32_dpp v56, v55 row_shr:2 row_mask:0xf bank_mask:0xf
	v_cndmask_b32_e64 v56, 0, v56, s2
	s_delay_alu instid0(VALU_DEP_1) | instskip(NEXT) | instid1(VALU_DEP_1)
	v_add_nc_u32_e32 v55, v55, v56
	v_mov_b32_dpp v56, v55 row_shr:4 row_mask:0xf bank_mask:0xf
	s_delay_alu instid0(VALU_DEP_1) | instskip(NEXT) | instid1(VALU_DEP_1)
	v_cndmask_b32_e64 v56, 0, v56, s3
	v_add_nc_u32_e32 v55, v55, v56
	s_delay_alu instid0(VALU_DEP_1) | instskip(NEXT) | instid1(VALU_DEP_1)
	v_mov_b32_dpp v56, v55 row_shr:8 row_mask:0xf bank_mask:0xf
	v_cndmask_b32_e64 v56, 0, v56, s4
	s_delay_alu instid0(VALU_DEP_1)
	v_add_nc_u32_e32 v55, v55, v56
	ds_store_b32 v54, v55
.LBB1536_37:
	s_or_b32 exec_lo, exec_lo, s6
	v_mov_b32_e32 v54, 0
	s_mov_b32 s2, exec_lo
	s_wait_dscnt 0x0
	s_barrier_signal -1
	s_barrier_wait -1
	v_cmpx_lt_u32_e32 31, v32
; %bb.38:
	v_lshl_add_u32 v53, v53, 2, -4
	ds_load_b32 v54, v53
; %bb.39:
	s_or_b32 exec_lo, exec_lo, s2
	v_sub_co_u32 v53, vcc_lo, v33, 1
	s_wait_dscnt 0x0
	v_add_nc_u32_e32 v52, v54, v52
	s_delay_alu instid0(VALU_DEP_2) | instskip(NEXT) | instid1(VALU_DEP_1)
	v_cmp_gt_i32_e64 s2, 0, v53
	v_cndmask_b32_e64 v53, v53, v33, s2
	v_cmp_lt_u32_e64 s2, 0xff, v32
	s_delay_alu instid0(VALU_DEP_2) | instskip(SKIP_4) | instid1(VALU_DEP_2)
	v_lshlrev_b32_e32 v53, 2, v53
	ds_bpermute_b32 v52, v53, v52
	s_wait_dscnt 0x0
	v_cndmask_b32_e32 v52, v52, v54, vcc_lo
	v_cmp_ne_u32_e32 vcc_lo, 0, v32
	v_cndmask_b32_e32 v52, 0, v52, vcc_lo
	v_cmp_gt_u32_e32 vcc_lo, 0x100, v32
	s_delay_alu instid0(VALU_DEP_2) | instskip(NEXT) | instid1(VALU_DEP_1)
	v_add_nc_u32_e32 v26, v52, v26
	v_add_nc_u32_e32 v27, v26, v27
	s_delay_alu instid0(VALU_DEP_1) | instskip(NEXT) | instid1(VALU_DEP_1)
	v_add_nc_u32_e32 v24, v27, v24
	v_add_nc_u32_e32 v25, v24, v25
	s_delay_alu instid0(VALU_DEP_1) | instskip(NEXT) | instid1(VALU_DEP_1)
	;; [unrolled: 3-line block ×3, first 2 shown]
	v_add_nc_u32_e32 v20, v23, v20
	v_add_nc_u32_e32 v21, v20, v21
	ds_store_2addr_b32 v3, v52, v26 offset0:16 offset1:17
	ds_store_2addr_b32 v3, v27, v24 offset0:18 offset1:19
	;; [unrolled: 1-line block ×4, first 2 shown]
	ds_store_b32 v3, v21 offset:96
	s_wait_dscnt 0x0
	s_barrier_signal -1
	s_barrier_wait -1
	ds_load_b32 v23, v28 offset:64
	ds_load_b32 v52, v29 offset:64
	;; [unrolled: 1-line block ×8, first 2 shown]
	v_mov_b64_e32 v[20:21], 0
                                        ; implicit-def: $vgpr22
	s_and_saveexec_b32 s4, vcc_lo
	s_cbranch_execz .LBB1536_43
; %bb.40:
	v_mul_u32_u24_e32 v3, 0x44, v32
	v_add_nc_u32_e32 v21, 1, v32
	s_mov_b32 s5, exec_lo
	ds_load_b32 v20, v3 offset:64
	v_mov_b32_e32 v3, 0x1000
	v_cmpx_ne_u32_e32 0x100, v21
; %bb.41:
	v_mul_u32_u24_e32 v3, 0x44, v21
	ds_load_b32 v3, v3 offset:64
; %bb.42:
	s_or_b32 exec_lo, exec_lo, s5
	s_wait_dscnt 0x0
	v_dual_mov_b32 v21, 0 :: v_dual_sub_nc_u32 v22, v3, v20
.LBB1536_43:
	s_or_b32 exec_lo, exec_lo, s4
	v_mov_b32_e32 v25, 0
	s_wait_dscnt 0x0
	s_barrier_signal -1
	s_barrier_wait -1
	s_and_saveexec_b32 s3, vcc_lo
	s_cbranch_execz .LBB1536_53
; %bb.44:
	v_lshl_add_u32 v24, s26, 8, v32
	v_dual_mov_b32 v28, 0 :: v_dual_bitop2_b32 v3, 2.0, v22 bitop3:0x54
	s_mov_b32 s4, 0
	s_mov_b32 s5, s26
	s_delay_alu instid0(VALU_DEP_2)
	v_lshl_add_u64 v[26:27], v[24:25], 2, s[10:11]
	global_store_b32 v24, v3, s[10:11] scale_offset scope:SCOPE_DEV
                                        ; implicit-def: $sgpr6
	s_branch .LBB1536_47
.LBB1536_45:                            ;   in Loop: Header=BB1536_47 Depth=1
	s_or_b32 exec_lo, exec_lo, s7
.LBB1536_46:                            ;   in Loop: Header=BB1536_47 Depth=1
	s_delay_alu instid0(SALU_CYCLE_1) | instskip(SKIP_2) | instid1(VALU_DEP_2)
	s_or_b32 exec_lo, exec_lo, s6
	v_and_b32_e32 v24, 0x3fffffff, v3
	v_cmp_gt_i32_e64 s6, -2.0, v3
	v_add_nc_u32_e32 v28, v24, v28
	s_and_b32 s7, exec_lo, s6
	s_delay_alu instid0(SALU_CYCLE_1) | instskip(NEXT) | instid1(SALU_CYCLE_1)
	s_or_b32 s4, s7, s4
	s_and_not1_b32 exec_lo, exec_lo, s4
	s_cbranch_execz .LBB1536_52
.LBB1536_47:                            ; =>This Loop Header: Depth=1
                                        ;     Child Loop BB1536_50 Depth 2
	s_or_b32 s6, s6, exec_lo
	s_cmp_eq_u32 s5, 0
	s_cbranch_scc1 .LBB1536_51
; %bb.48:                               ;   in Loop: Header=BB1536_47 Depth=1
	s_add_co_i32 s5, s5, -1
	s_mov_b32 s6, exec_lo
	s_wait_xcnt 0x0
	v_lshl_or_b32 v24, s5, 8, v32
	global_load_b32 v3, v24, s[10:11] scale_offset scope:SCOPE_DEV
	s_wait_loadcnt 0x0
	v_cmpx_gt_u32_e32 2.0, v3
	s_cbranch_execz .LBB1536_46
; %bb.49:                               ;   in Loop: Header=BB1536_47 Depth=1
	v_lshl_add_u64 v[30:31], v[24:25], 2, s[10:11]
	s_mov_b32 s7, 0
.LBB1536_50:                            ;   Parent Loop BB1536_47 Depth=1
                                        ; =>  This Inner Loop Header: Depth=2
	global_load_b32 v3, v[30:31], off scope:SCOPE_DEV
	s_wait_loadcnt 0x0
	v_cmp_lt_u32_e32 vcc_lo, 0x3fffffff, v3
	s_or_b32 s7, vcc_lo, s7
	s_wait_xcnt 0x0
	s_and_not1_b32 exec_lo, exec_lo, s7
	s_cbranch_execnz .LBB1536_50
	s_branch .LBB1536_45
.LBB1536_51:                            ;   in Loop: Header=BB1536_47 Depth=1
                                        ; implicit-def: $sgpr5
	s_and_b32 s7, exec_lo, s6
	s_delay_alu instid0(SALU_CYCLE_1)
	s_or_b32 s4, s7, s4
	s_wait_xcnt 0x0
	s_and_not1_b32 exec_lo, exec_lo, s4
	s_cbranch_execnz .LBB1536_47
.LBB1536_52:
	s_or_b32 exec_lo, exec_lo, s4
	v_dual_add_nc_u32 v3, v28, v22 :: v_dual_mov_b32 v29, 0
	s_delay_alu instid0(VALU_DEP_1)
	v_or_b32_e32 v3, 0x80000000, v3
	global_store_b32 v[26:27], v3, off scope:SCOPE_DEV
	global_load_b64 v[24:25], v32, s[12:13] scale_offset
	s_wait_xcnt 0x1
	v_sub_nc_u64_e32 v[26:27], v[28:29], v[20:21]
	s_wait_loadcnt 0x0
	s_delay_alu instid0(VALU_DEP_1)
	v_add_nc_u64_e32 v[24:25], v[26:27], v[24:25]
	ds_store_b64 v2, v[24:25]
.LBB1536_53:
	s_wait_xcnt 0x0
	s_or_b32 exec_lo, exec_lo, s3
	v_dual_mov_b32 v3, 0 :: v_dual_add_nc_u32 v1, v23, v1
	v_add3_u32 v23, v47, v48, v46
	v_add3_u32 v26, v44, v45, v43
	;; [unrolled: 1-line block ×3, first 2 shown]
	s_delay_alu instid0(VALU_DEP_4)
	v_add_nc_u64_e32 v[24:25], s[18:19], v[2:3]
	v_add3_u32 v3, v50, v51, v49
	v_add3_u32 v28, v39, v54, v38
	v_add3_u32 v29, v37, v53, v36
	v_add3_u32 v30, v35, v52, v34
	v_mov_b32_e32 v31, v32
	s_mov_b64 s[4:5], 0x8000000000000000
	v_add_nc_u64_e32 v[24:25], 0x3000, v[24:25]
	s_mov_b32 s6, -1
	s_mov_b32 s3, 0
	s_branch .LBB1536_55
.LBB1536_54:                            ;   in Loop: Header=BB1536_55 Depth=1
	s_wait_xcnt 0x0
	s_or_b32 exec_lo, exec_lo, s7
	v_add_nc_u64_e32 v[24:25], 0x4000, v[24:25]
	v_add_nc_u32_e32 v31, 0x800, v31
	s_xor_b32 s6, s6, -1
	s_addk_co_i32 s3, 0xf800
	s_and_b32 vcc_lo, exec_lo, s6
	s_mov_b32 s6, 0
	s_wait_storecnt 0x0
	s_barrier_signal -1
	s_barrier_wait -1
	s_cbranch_vccnz .LBB1536_63
.LBB1536_55:                            ; =>This Inner Loop Header: Depth=1
	v_add_min_u32_e64 v34, v1, s3, 0x800
	v_add_min_u32_e64 v35, v30, s3, 0x800
	;; [unrolled: 1-line block ×5, first 2 shown]
	s_delay_alu instid0(VALU_DEP_4) | instskip(NEXT) | instid1(VALU_DEP_3)
	v_dual_lshlrev_b32 v34, 3, v34 :: v_dual_lshlrev_b32 v35, 3, v35
	v_dual_lshlrev_b32 v36, 3, v36 :: v_dual_lshlrev_b32 v37, 3, v37
	s_mov_b32 s7, exec_lo
	ds_store_b64 v34, v[4:5] offset:2048
	ds_store_b64 v35, v[6:7] offset:2048
	;; [unrolled: 1-line block ×3, first 2 shown]
	v_add_min_u32_e64 v34, v26, s3, 0x800
	v_add_min_u32_e64 v35, v23, s3, 0x800
	v_add_min_u32_e64 v36, v3, s3, 0x800
	v_lshlrev_b32_e32 v38, 3, v38
	s_delay_alu instid0(VALU_DEP_3) | instskip(NEXT) | instid1(VALU_DEP_3)
	v_dual_lshlrev_b32 v34, 3, v34 :: v_dual_lshlrev_b32 v35, 3, v35
	v_lshlrev_b32_e32 v36, 3, v36
	ds_store_b64 v37, v[10:11] offset:2048
	ds_store_b64 v38, v[12:13] offset:2048
	;; [unrolled: 1-line block ×5, first 2 shown]
	s_wait_storecnt_dscnt 0x0
	s_barrier_signal -1
	s_barrier_wait -1
	v_cmpx_gt_u32_e64 s9, v31
	s_cbranch_execz .LBB1536_57
; %bb.56:                               ;   in Loop: Header=BB1536_55 Depth=1
	ds_load_b64 v[34:35], v2 offset:2048
	s_wait_dscnt 0x0
	v_cmp_ne_u64_e32 vcc_lo, s[4:5], v[34:35]
	v_ashrrev_i32_e32 v38, 31, v35
	s_delay_alu instid0(VALU_DEP_1) | instskip(SKIP_3) | instid1(VALU_DEP_4)
	v_not_b32_e32 v38, v38
	v_cndmask_b32_e32 v37, 0x7fffffff, v35, vcc_lo
	v_cndmask_b32_e32 v36, -1, v34, vcc_lo
	v_cmp_gt_i64_e32 vcc_lo, 0, v[34:35]
	v_xor_b32_e32 v34, v38, v34
	s_delay_alu instid0(VALU_DEP_3) | instskip(SKIP_1) | instid1(VALU_DEP_2)
	v_lshrrev_b64 v[36:37], s20, v[36:37]
	v_cndmask_b32_e64 v39, 0x7fffffff, 0, vcc_lo
	v_and_b32_e32 v36, s28, v36
	s_delay_alu instid0(VALU_DEP_1)
	v_dual_lshlrev_b32 v36, 3, v36 :: v_dual_bitop2_b32 v35, v39, v35 bitop3:0x14
	ds_load_b64 v[36:37], v36
	s_wait_dscnt 0x0
	v_lshl_add_u64 v[36:37], v[36:37], 3, v[24:25]
	global_store_b64 v[36:37], v[34:35], off offset:-12288
.LBB1536_57:                            ;   in Loop: Header=BB1536_55 Depth=1
	s_wait_xcnt 0x0
	s_or_b32 exec_lo, exec_lo, s7
	v_add_nc_u32_e32 v34, 0x200, v31
	s_mov_b32 s7, exec_lo
	s_delay_alu instid0(VALU_DEP_1)
	v_cmpx_gt_u32_e64 s9, v34
	s_cbranch_execz .LBB1536_59
; %bb.58:                               ;   in Loop: Header=BB1536_55 Depth=1
	ds_load_b64 v[34:35], v2 offset:6144
	s_wait_dscnt 0x0
	v_cmp_ne_u64_e32 vcc_lo, s[4:5], v[34:35]
	v_ashrrev_i32_e32 v38, 31, v35
	s_delay_alu instid0(VALU_DEP_1) | instskip(SKIP_3) | instid1(VALU_DEP_4)
	v_not_b32_e32 v38, v38
	v_cndmask_b32_e32 v37, 0x7fffffff, v35, vcc_lo
	v_cndmask_b32_e32 v36, -1, v34, vcc_lo
	v_cmp_gt_i64_e32 vcc_lo, 0, v[34:35]
	v_xor_b32_e32 v34, v38, v34
	s_delay_alu instid0(VALU_DEP_3) | instskip(SKIP_1) | instid1(VALU_DEP_2)
	v_lshrrev_b64 v[36:37], s20, v[36:37]
	v_cndmask_b32_e64 v39, 0x7fffffff, 0, vcc_lo
	v_and_b32_e32 v36, s28, v36
	s_delay_alu instid0(VALU_DEP_1)
	v_dual_lshlrev_b32 v36, 3, v36 :: v_dual_bitop2_b32 v35, v39, v35 bitop3:0x14
	ds_load_b64 v[36:37], v36
	s_wait_dscnt 0x0
	v_lshl_add_u64 v[36:37], v[36:37], 3, v[24:25]
	global_store_b64 v[36:37], v[34:35], off offset:-8192
.LBB1536_59:                            ;   in Loop: Header=BB1536_55 Depth=1
	s_wait_xcnt 0x0
	s_or_b32 exec_lo, exec_lo, s7
	v_add_nc_u32_e32 v34, 0x400, v31
	s_mov_b32 s7, exec_lo
	s_delay_alu instid0(VALU_DEP_1)
	;; [unrolled: 29-line block ×3, first 2 shown]
	v_cmpx_gt_u32_e64 s9, v34
	s_cbranch_execz .LBB1536_54
; %bb.62:                               ;   in Loop: Header=BB1536_55 Depth=1
	ds_load_b64 v[34:35], v2 offset:14336
	s_wait_dscnt 0x0
	v_cmp_ne_u64_e32 vcc_lo, s[4:5], v[34:35]
	v_ashrrev_i32_e32 v38, 31, v35
	s_delay_alu instid0(VALU_DEP_1) | instskip(SKIP_3) | instid1(VALU_DEP_4)
	v_not_b32_e32 v38, v38
	v_cndmask_b32_e32 v37, 0x7fffffff, v35, vcc_lo
	v_cndmask_b32_e32 v36, -1, v34, vcc_lo
	v_cmp_gt_i64_e32 vcc_lo, 0, v[34:35]
	v_xor_b32_e32 v34, v38, v34
	s_delay_alu instid0(VALU_DEP_3) | instskip(SKIP_1) | instid1(VALU_DEP_2)
	v_lshrrev_b64 v[36:37], s20, v[36:37]
	v_cndmask_b32_e64 v39, 0x7fffffff, 0, vcc_lo
	v_and_b32_e32 v36, s28, v36
	s_delay_alu instid0(VALU_DEP_1)
	v_dual_lshlrev_b32 v36, 3, v36 :: v_dual_bitop2_b32 v35, v39, v35 bitop3:0x14
	ds_load_b64 v[36:37], v36
	s_wait_dscnt 0x0
	v_lshl_add_u64 v[36:37], v[36:37], 3, v[24:25]
	global_store_b64 v[36:37], v[34:35], off
	s_branch .LBB1536_54
.LBB1536_63:
	s_add_co_i32 s27, s27, -1
	s_delay_alu instid0(SALU_CYCLE_1) | instskip(SKIP_2) | instid1(SALU_CYCLE_1)
	s_cmp_eq_u32 s26, s27
	s_cselect_b32 s3, -1, 0
	s_xor_b32 s2, s2, -1
	s_and_b32 s3, s2, s3
	s_delay_alu instid0(SALU_CYCLE_1)
	s_and_saveexec_b32 s2, s3
	s_cbranch_execz .LBB1536_65
; %bb.64:
	ds_load_b64 v[2:3], v2
	v_mov_b32_e32 v23, 0
	s_delay_alu instid0(VALU_DEP_1) | instskip(SKIP_1) | instid1(VALU_DEP_1)
	v_add_nc_u64_e32 v[4:5], v[20:21], v[22:23]
	s_wait_dscnt 0x0
	v_add_nc_u64_e32 v[2:3], v[4:5], v[2:3]
	global_store_b64 v32, v[2:3], s[14:15] scale_offset
.LBB1536_65:
	s_wait_xcnt 0x0
	s_or_b32 exec_lo, exec_lo, s2
	s_mov_b32 s2, 0
.LBB1536_66:
	s_delay_alu instid0(SALU_CYCLE_1)
	s_and_b32 vcc_lo, exec_lo, s2
	s_cbranch_vccz .LBB1536_107
; %bb.67:
	s_lshl_b32 s2, s26, 12
	s_mov_b32 s3, 0
	v_dual_mov_b32 v19, 0 :: v_dual_lshlrev_b32 v18, 3, v33
	s_lshl_b64 s[4:5], s[2:3], 3
	v_lshlrev_b32_e32 v1, 6, v32
	s_add_nc_u64 s[4:5], s[16:17], s[4:5]
	s_mov_b64 s[8:9], 0x8000000000000000
	v_add_nc_u64_e32 v[2:3], s[4:5], v[18:19]
	v_bfe_u32 v22, v0, 20, 10
	v_and_b32_e32 v18, 0x7800, v1
	s_delay_alu instid0(VALU_DEP_1)
	v_add_nc_u64_e32 v[2:3], v[2:3], v[18:19]
	v_bfe_u32 v18, v0, 10, 10
	s_clause 0x7
	global_load_b64 v[20:21], v[2:3], off
	global_load_b64 v[16:17], v[2:3], off offset:256
	global_load_b64 v[4:5], v[2:3], off offset:512
	;; [unrolled: 1-line block ×7, first 2 shown]
	s_clause 0x1
	s_load_b32 s16, s[0:1], 0x58
	s_load_u16 s4, s[0:1], 0x66
	s_wait_kmcnt 0x0
	s_cmp_lt_u32 s26, s16
	s_cselect_b32 s2, 12, 18
	s_lshl_b32 s7, -1, s21
	s_add_nc_u64 s[0:1], s[24:25], s[2:3]
	s_not_b32 s17, s7
	s_load_u16 s0, s[0:1], 0x0
	s_wait_loadcnt 0x7
	v_cmp_gt_i64_e32 vcc_lo, 0, v[20:21]
	v_ashrrev_i32_e32 v1, 31, v21
	s_delay_alu instid0(VALU_DEP_1) | instskip(SKIP_1) | instid1(VALU_DEP_1)
	v_not_b32_e32 v1, v1
	v_cndmask_b32_e64 v2, 0x7fffffff, 0, vcc_lo
	v_xor_b32_e32 v3, v2, v21
	s_delay_alu instid0(VALU_DEP_3) | instskip(NEXT) | instid1(VALU_DEP_1)
	v_xor_b32_e32 v2, v1, v20
	v_cmp_ne_u64_e32 vcc_lo, s[8:9], v[2:3]
	v_cndmask_b32_e32 v21, 0x7fffffff, v3, vcc_lo
	v_cndmask_b32_e32 v20, -1, v2, vcc_lo
	s_delay_alu instid0(VALU_DEP_1) | instskip(SKIP_1) | instid1(VALU_DEP_2)
	v_lshrrev_b64 v[0:1], s20, v[20:21]
	v_mad_u32_u24 v1, v22, s4, v18
	v_bitop3_b32 v18, v0, 1, s7 bitop3:0x40
	v_bitop3_b32 v20, v0, s7, v0 bitop3:0x30
	s_wait_kmcnt 0x0
	s_delay_alu instid0(VALU_DEP_3) | instskip(NEXT) | instid1(VALU_DEP_3)
	v_mad_u32 v0, v1, s0, v32
	v_add_co_u32 v1, s0, v18, -1
	s_delay_alu instid0(VALU_DEP_1) | instskip(SKIP_2) | instid1(VALU_DEP_3)
	v_cndmask_b32_e64 v18, 0, 1, s0
	v_dual_lshlrev_b32 v21, 30, v20 :: v_dual_lshlrev_b32 v22, 29, v20
	v_dual_lshlrev_b32 v23, 28, v20 :: v_dual_lshlrev_b32 v24, 27, v20
	v_cmp_ne_u32_e32 vcc_lo, 0, v18
	s_delay_alu instid0(VALU_DEP_3)
	v_not_b32_e32 v18, v21
	v_dual_lshlrev_b32 v25, 26, v20 :: v_dual_lshlrev_b32 v26, 25, v20
	v_lshlrev_b32_e32 v27, 24, v20
	v_cmp_gt_i32_e64 s0, 0, v21
	v_cmp_gt_i32_e64 s1, 0, v22
	v_not_b32_e32 v21, v22
	v_not_b32_e32 v22, v23
	v_ashrrev_i32_e32 v18, 31, v18
	v_cmp_gt_i32_e64 s2, 0, v23
	v_cmp_gt_i32_e64 s3, 0, v24
	v_not_b32_e32 v23, v24
	v_not_b32_e32 v24, v25
	v_dual_ashrrev_i32 v22, 31, v22 :: v_dual_bitop2_b32 v1, vcc_lo, v1 bitop3:0x14
	v_dual_ashrrev_i32 v21, 31, v21 :: v_dual_bitop2_b32 v18, s0, v18 bitop3:0x14
	v_cmp_gt_i32_e64 s4, 0, v25
	v_cmp_gt_i32_e64 s5, 0, v26
	v_not_b32_e32 v25, v26
	v_not_b32_e32 v26, v27
	v_dual_ashrrev_i32 v23, 31, v23 :: v_dual_ashrrev_i32 v24, 31, v24
	v_xor_b32_e32 v21, s1, v21
	v_xor_b32_e32 v22, s2, v22
	v_bitop3_b32 v1, v1, v18, exec_lo bitop3:0x80
	v_cmp_gt_i32_e64 s6, 0, v27
	v_dual_ashrrev_i32 v18, 31, v25 :: v_dual_ashrrev_i32 v25, 31, v26
	v_dual_lshrrev_b32 v0, 5, v0 :: v_dual_bitop2_b32 v23, s3, v23 bitop3:0x14
	v_xor_b32_e32 v24, s4, v24
	v_bitop3_b32 v1, v1, v22, v21 bitop3:0x80
	s_delay_alu instid0(VALU_DEP_4) | instskip(NEXT) | instid1(VALU_DEP_4)
	v_xor_b32_e32 v21, s5, v18
	v_dual_lshlrev_b32 v18, 2, v0 :: v_dual_bitop2_b32 v22, s6, v25 bitop3:0x14
	s_delay_alu instid0(VALU_DEP_3)
	v_bitop3_b32 v1, v1, v24, v23 bitop3:0x80
	v_mul_u32_u24_e32 v24, 36, v32
	ds_store_2addr_b32 v24, v19, v19 offset0:16 offset1:17
	ds_store_2addr_b32 v24, v19, v19 offset0:18 offset1:19
	;; [unrolled: 1-line block ×4, first 2 shown]
	v_bitop3_b32 v0, v1, v22, v21 bitop3:0x80
	v_mad_u32 v25, 0x44, v20, v18
	ds_store_b32 v24, v19 offset:96
	s_wait_storecnt 0x0
	s_wait_loadcnt_dscnt 0x0
	s_barrier_signal -1
	v_mbcnt_lo_u32_b32 v30, v0, 0
	v_cmp_ne_u32_e64 s0, 0, v0
	s_barrier_wait -1
	s_delay_alu instid0(VALU_DEP_2) | instskip(SKIP_1) | instid1(SALU_CYCLE_1)
	v_cmp_eq_u32_e32 vcc_lo, 0, v30
	; wave barrier
	s_and_b32 s1, s0, vcc_lo
	s_and_saveexec_b32 s0, s1
; %bb.68:
	v_bcnt_u32_b32 v0, v0, 0
	ds_store_b32 v25, v0 offset:64
; %bb.69:
	s_or_b32 exec_lo, exec_lo, s0
	v_cmp_gt_i64_e32 vcc_lo, 0, v[16:17]
	; wave barrier
	v_cndmask_b32_e64 v1, 0x7fffffff, 0, vcc_lo
	s_delay_alu instid0(VALU_DEP_1) | instskip(NEXT) | instid1(VALU_DEP_1)
	v_dual_ashrrev_i32 v0, 31, v17 :: v_dual_bitop2_b32 v1, v1, v17 bitop3:0x14
	v_not_b32_e32 v0, v0
	s_delay_alu instid0(VALU_DEP_1) | instskip(NEXT) | instid1(VALU_DEP_1)
	v_xor_b32_e32 v0, v0, v16
	v_cmp_ne_u64_e32 vcc_lo, s[8:9], v[0:1]
	v_cndmask_b32_e32 v17, 0x7fffffff, v1, vcc_lo
	v_cndmask_b32_e32 v16, -1, v0, vcc_lo
	s_delay_alu instid0(VALU_DEP_1) | instskip(NEXT) | instid1(VALU_DEP_1)
	v_lshrrev_b64 v[16:17], s20, v[16:17]
	v_and_b32_e32 v17, s17, v16
	v_bitop3_b32 v16, v16, 1, s17 bitop3:0x80
	s_delay_alu instid0(VALU_DEP_2) | instskip(NEXT) | instid1(VALU_DEP_2)
	v_lshlrev_b32_e32 v20, 30, v17
	v_add_co_u32 v16, s0, v16, -1
	s_delay_alu instid0(VALU_DEP_1) | instskip(NEXT) | instid1(VALU_DEP_3)
	v_cndmask_b32_e64 v19, 0, 1, s0
	v_cmp_gt_i32_e64 s0, 0, v20
	s_delay_alu instid0(VALU_DEP_2) | instskip(SKIP_1) | instid1(VALU_DEP_1)
	v_cmp_ne_u32_e32 vcc_lo, 0, v19
	v_not_b32_e32 v19, v20
	v_dual_ashrrev_i32 v19, 31, v19 :: v_dual_bitop2_b32 v16, vcc_lo, v16 bitop3:0x14
	v_dual_lshlrev_b32 v21, 29, v17 :: v_dual_lshlrev_b32 v22, 28, v17
	v_dual_lshlrev_b32 v23, 27, v17 :: v_dual_lshlrev_b32 v27, 26, v17
	v_lshlrev_b32_e32 v28, 25, v17
	s_delay_alu instid0(VALU_DEP_3)
	v_cmp_gt_i32_e64 s1, 0, v21
	v_not_b32_e32 v20, v21
	v_not_b32_e32 v21, v22
	v_mad_u32 v26, 0x44, v17, v18
	v_lshlrev_b32_e32 v17, 24, v17
	v_cmp_gt_i32_e64 s2, 0, v22
	v_cmp_gt_i32_e64 s3, 0, v23
	v_not_b32_e32 v22, v23
	v_not_b32_e32 v23, v27
	v_dual_ashrrev_i32 v20, 31, v20 :: v_dual_ashrrev_i32 v21, 31, v21
	v_xor_b32_e32 v19, s0, v19
	v_cmp_gt_i32_e64 s4, 0, v27
	v_not_b32_e32 v27, v28
	v_cmp_gt_i32_e64 s6, 0, v17
	v_not_b32_e32 v17, v17
	v_dual_ashrrev_i32 v22, 31, v22 :: v_dual_ashrrev_i32 v23, 31, v23
	v_xor_b32_e32 v20, s1, v20
	v_xor_b32_e32 v21, s2, v21
	v_bitop3_b32 v16, v16, v19, exec_lo bitop3:0x80
	v_cmp_gt_i32_e64 s5, 0, v28
	v_dual_ashrrev_i32 v19, 31, v27 :: v_dual_ashrrev_i32 v17, 31, v17
	v_xor_b32_e32 v22, s3, v22
	v_xor_b32_e32 v23, s4, v23
	v_bitop3_b32 v16, v16, v21, v20 bitop3:0x80
	s_delay_alu instid0(VALU_DEP_4) | instskip(SKIP_3) | instid1(VALU_DEP_1)
	v_xor_b32_e32 v19, s5, v19
	v_xor_b32_e32 v17, s6, v17
	ds_load_b32 v31, v26 offset:64
	v_bitop3_b32 v16, v16, v23, v22 bitop3:0x80
	; wave barrier
	v_bitop3_b32 v16, v16, v17, v19 bitop3:0x80
	s_delay_alu instid0(VALU_DEP_1) | instskip(SKIP_1) | instid1(VALU_DEP_2)
	v_mbcnt_lo_u32_b32 v34, v16, 0
	v_cmp_ne_u32_e64 s0, 0, v16
	v_cmp_eq_u32_e32 vcc_lo, 0, v34
	s_and_b32 s1, s0, vcc_lo
	s_delay_alu instid0(SALU_CYCLE_1)
	s_and_saveexec_b32 s0, s1
	s_cbranch_execz .LBB1536_71
; %bb.70:
	s_wait_dscnt 0x0
	v_bcnt_u32_b32 v16, v16, v31
	ds_store_b32 v26, v16 offset:64
.LBB1536_71:
	s_or_b32 exec_lo, exec_lo, s0
	v_cmp_gt_i64_e32 vcc_lo, 0, v[4:5]
	; wave barrier
	v_cndmask_b32_e64 v17, 0x7fffffff, 0, vcc_lo
	s_delay_alu instid0(VALU_DEP_1) | instskip(NEXT) | instid1(VALU_DEP_1)
	v_dual_ashrrev_i32 v16, 31, v5 :: v_dual_bitop2_b32 v5, v17, v5 bitop3:0x14
	v_not_b32_e32 v16, v16
	s_delay_alu instid0(VALU_DEP_1) | instskip(NEXT) | instid1(VALU_DEP_1)
	v_xor_b32_e32 v4, v16, v4
	v_cmp_ne_u64_e32 vcc_lo, s[8:9], v[4:5]
	v_cndmask_b32_e32 v17, 0x7fffffff, v5, vcc_lo
	v_cndmask_b32_e32 v16, -1, v4, vcc_lo
	s_delay_alu instid0(VALU_DEP_1) | instskip(NEXT) | instid1(VALU_DEP_1)
	v_lshrrev_b64 v[16:17], s20, v[16:17]
	v_and_b32_e32 v17, s17, v16
	v_bitop3_b32 v16, v16, 1, s17 bitop3:0x80
	s_delay_alu instid0(VALU_DEP_2) | instskip(NEXT) | instid1(VALU_DEP_2)
	v_lshlrev_b32_e32 v20, 30, v17
	v_add_co_u32 v16, s0, v16, -1
	s_delay_alu instid0(VALU_DEP_1) | instskip(NEXT) | instid1(VALU_DEP_3)
	v_cndmask_b32_e64 v19, 0, 1, s0
	v_cmp_gt_i32_e64 s0, 0, v20
	s_delay_alu instid0(VALU_DEP_2) | instskip(SKIP_1) | instid1(VALU_DEP_1)
	v_cmp_ne_u32_e32 vcc_lo, 0, v19
	v_not_b32_e32 v19, v20
	v_dual_ashrrev_i32 v19, 31, v19 :: v_dual_bitop2_b32 v16, vcc_lo, v16 bitop3:0x14
	v_dual_lshlrev_b32 v21, 29, v17 :: v_dual_lshlrev_b32 v22, 28, v17
	v_dual_lshlrev_b32 v23, 27, v17 :: v_dual_lshlrev_b32 v28, 26, v17
	v_lshlrev_b32_e32 v29, 25, v17
	s_delay_alu instid0(VALU_DEP_3)
	v_cmp_gt_i32_e64 s1, 0, v21
	v_not_b32_e32 v20, v21
	v_not_b32_e32 v21, v22
	v_mad_u32 v27, 0x44, v17, v18
	v_lshlrev_b32_e32 v17, 24, v17
	v_cmp_gt_i32_e64 s2, 0, v22
	v_cmp_gt_i32_e64 s3, 0, v23
	v_not_b32_e32 v22, v23
	v_not_b32_e32 v23, v28
	v_dual_ashrrev_i32 v20, 31, v20 :: v_dual_ashrrev_i32 v21, 31, v21
	v_xor_b32_e32 v19, s0, v19
	v_cmp_gt_i32_e64 s4, 0, v28
	v_not_b32_e32 v28, v29
	v_cmp_gt_i32_e64 s6, 0, v17
	v_not_b32_e32 v17, v17
	v_dual_ashrrev_i32 v22, 31, v22 :: v_dual_ashrrev_i32 v23, 31, v23
	v_xor_b32_e32 v20, s1, v20
	v_xor_b32_e32 v21, s2, v21
	v_bitop3_b32 v16, v16, v19, exec_lo bitop3:0x80
	v_cmp_gt_i32_e64 s5, 0, v29
	v_dual_ashrrev_i32 v19, 31, v28 :: v_dual_ashrrev_i32 v17, 31, v17
	v_xor_b32_e32 v22, s3, v22
	v_xor_b32_e32 v23, s4, v23
	v_bitop3_b32 v16, v16, v21, v20 bitop3:0x80
	s_delay_alu instid0(VALU_DEP_4) | instskip(SKIP_3) | instid1(VALU_DEP_1)
	v_xor_b32_e32 v19, s5, v19
	v_xor_b32_e32 v17, s6, v17
	ds_load_b32 v35, v27 offset:64
	v_bitop3_b32 v16, v16, v23, v22 bitop3:0x80
	; wave barrier
	v_bitop3_b32 v16, v16, v17, v19 bitop3:0x80
	s_delay_alu instid0(VALU_DEP_1) | instskip(SKIP_1) | instid1(VALU_DEP_2)
	v_mbcnt_lo_u32_b32 v36, v16, 0
	v_cmp_ne_u32_e64 s0, 0, v16
	v_cmp_eq_u32_e32 vcc_lo, 0, v36
	s_and_b32 s1, s0, vcc_lo
	s_delay_alu instid0(SALU_CYCLE_1)
	s_and_saveexec_b32 s0, s1
	s_cbranch_execz .LBB1536_73
; %bb.72:
	s_wait_dscnt 0x0
	v_bcnt_u32_b32 v16, v16, v35
	ds_store_b32 v27, v16 offset:64
.LBB1536_73:
	s_or_b32 exec_lo, exec_lo, s0
	v_cmp_gt_i64_e32 vcc_lo, 0, v[6:7]
	; wave barrier
	v_cndmask_b32_e64 v17, 0x7fffffff, 0, vcc_lo
	s_delay_alu instid0(VALU_DEP_1) | instskip(NEXT) | instid1(VALU_DEP_1)
	v_dual_ashrrev_i32 v16, 31, v7 :: v_dual_bitop2_b32 v7, v17, v7 bitop3:0x14
	v_not_b32_e32 v16, v16
	s_delay_alu instid0(VALU_DEP_1) | instskip(NEXT) | instid1(VALU_DEP_1)
	v_xor_b32_e32 v6, v16, v6
	v_cmp_ne_u64_e32 vcc_lo, s[8:9], v[6:7]
	v_cndmask_b32_e32 v17, 0x7fffffff, v7, vcc_lo
	v_cndmask_b32_e32 v16, -1, v6, vcc_lo
	s_delay_alu instid0(VALU_DEP_1) | instskip(NEXT) | instid1(VALU_DEP_1)
	v_lshrrev_b64 v[16:17], s20, v[16:17]
	v_and_b32_e32 v17, s17, v16
	v_bitop3_b32 v16, v16, 1, s17 bitop3:0x80
	s_delay_alu instid0(VALU_DEP_2) | instskip(NEXT) | instid1(VALU_DEP_2)
	v_lshlrev_b32_e32 v20, 30, v17
	v_add_co_u32 v16, s0, v16, -1
	s_delay_alu instid0(VALU_DEP_1) | instskip(NEXT) | instid1(VALU_DEP_3)
	v_cndmask_b32_e64 v19, 0, 1, s0
	v_cmp_gt_i32_e64 s0, 0, v20
	s_delay_alu instid0(VALU_DEP_2) | instskip(SKIP_1) | instid1(VALU_DEP_1)
	v_cmp_ne_u32_e32 vcc_lo, 0, v19
	v_not_b32_e32 v19, v20
	v_dual_ashrrev_i32 v19, 31, v19 :: v_dual_bitop2_b32 v16, vcc_lo, v16 bitop3:0x14
	v_dual_lshlrev_b32 v21, 29, v17 :: v_dual_lshlrev_b32 v22, 28, v17
	v_dual_lshlrev_b32 v23, 27, v17 :: v_dual_lshlrev_b32 v29, 26, v17
	v_lshlrev_b32_e32 v37, 25, v17
	s_delay_alu instid0(VALU_DEP_3)
	v_cmp_gt_i32_e64 s1, 0, v21
	v_not_b32_e32 v20, v21
	v_not_b32_e32 v21, v22
	v_mad_u32 v28, 0x44, v17, v18
	v_lshlrev_b32_e32 v17, 24, v17
	v_cmp_gt_i32_e64 s2, 0, v22
	v_cmp_gt_i32_e64 s3, 0, v23
	v_not_b32_e32 v22, v23
	v_not_b32_e32 v23, v29
	v_dual_ashrrev_i32 v20, 31, v20 :: v_dual_ashrrev_i32 v21, 31, v21
	v_xor_b32_e32 v19, s0, v19
	v_cmp_gt_i32_e64 s4, 0, v29
	v_not_b32_e32 v29, v37
	v_cmp_gt_i32_e64 s6, 0, v17
	v_not_b32_e32 v17, v17
	v_dual_ashrrev_i32 v22, 31, v22 :: v_dual_ashrrev_i32 v23, 31, v23
	v_xor_b32_e32 v20, s1, v20
	v_xor_b32_e32 v21, s2, v21
	v_bitop3_b32 v16, v16, v19, exec_lo bitop3:0x80
	v_cmp_gt_i32_e64 s5, 0, v37
	v_ashrrev_i32_e32 v19, 31, v29
	v_dual_ashrrev_i32 v17, 31, v17 :: v_dual_bitop2_b32 v22, s3, v22 bitop3:0x14
	v_xor_b32_e32 v23, s4, v23
	v_bitop3_b32 v16, v16, v21, v20 bitop3:0x80
	s_delay_alu instid0(VALU_DEP_4) | instskip(NEXT) | instid1(VALU_DEP_4)
	v_xor_b32_e32 v19, s5, v19
	v_xor_b32_e32 v17, s6, v17
	ds_load_b32 v37, v28 offset:64
	v_bitop3_b32 v16, v16, v23, v22 bitop3:0x80
	; wave barrier
	s_delay_alu instid0(VALU_DEP_1) | instskip(NEXT) | instid1(VALU_DEP_1)
	v_bitop3_b32 v16, v16, v17, v19 bitop3:0x80
	v_mbcnt_lo_u32_b32 v38, v16, 0
	v_cmp_ne_u32_e64 s0, 0, v16
	s_delay_alu instid0(VALU_DEP_2) | instskip(SKIP_1) | instid1(SALU_CYCLE_1)
	v_cmp_eq_u32_e32 vcc_lo, 0, v38
	s_and_b32 s1, s0, vcc_lo
	s_and_saveexec_b32 s0, s1
	s_cbranch_execz .LBB1536_75
; %bb.74:
	s_wait_dscnt 0x0
	v_bcnt_u32_b32 v16, v16, v37
	ds_store_b32 v28, v16 offset:64
.LBB1536_75:
	s_or_b32 exec_lo, exec_lo, s0
	v_cmp_gt_i64_e32 vcc_lo, 0, v[8:9]
	; wave barrier
	v_cndmask_b32_e64 v17, 0x7fffffff, 0, vcc_lo
	s_delay_alu instid0(VALU_DEP_1) | instskip(NEXT) | instid1(VALU_DEP_1)
	v_dual_ashrrev_i32 v16, 31, v9 :: v_dual_bitop2_b32 v9, v17, v9 bitop3:0x14
	v_not_b32_e32 v16, v16
	s_delay_alu instid0(VALU_DEP_1) | instskip(NEXT) | instid1(VALU_DEP_1)
	v_xor_b32_e32 v8, v16, v8
	v_cmp_ne_u64_e32 vcc_lo, s[8:9], v[8:9]
	v_cndmask_b32_e32 v17, 0x7fffffff, v9, vcc_lo
	v_cndmask_b32_e32 v16, -1, v8, vcc_lo
	s_delay_alu instid0(VALU_DEP_1) | instskip(NEXT) | instid1(VALU_DEP_1)
	v_lshrrev_b64 v[16:17], s20, v[16:17]
	v_and_b32_e32 v17, s17, v16
	v_bitop3_b32 v16, v16, 1, s17 bitop3:0x80
	s_delay_alu instid0(VALU_DEP_2) | instskip(NEXT) | instid1(VALU_DEP_2)
	v_lshlrev_b32_e32 v20, 30, v17
	v_add_co_u32 v16, s0, v16, -1
	s_delay_alu instid0(VALU_DEP_1) | instskip(NEXT) | instid1(VALU_DEP_3)
	v_cndmask_b32_e64 v19, 0, 1, s0
	v_cmp_gt_i32_e64 s0, 0, v20
	s_delay_alu instid0(VALU_DEP_2) | instskip(SKIP_1) | instid1(VALU_DEP_1)
	v_cmp_ne_u32_e32 vcc_lo, 0, v19
	v_not_b32_e32 v19, v20
	v_dual_ashrrev_i32 v19, 31, v19 :: v_dual_bitop2_b32 v16, vcc_lo, v16 bitop3:0x14
	v_dual_lshlrev_b32 v21, 29, v17 :: v_dual_lshlrev_b32 v22, 28, v17
	v_dual_lshlrev_b32 v23, 27, v17 :: v_dual_lshlrev_b32 v39, 26, v17
	v_lshlrev_b32_e32 v40, 25, v17
	s_delay_alu instid0(VALU_DEP_3)
	v_cmp_gt_i32_e64 s1, 0, v21
	v_not_b32_e32 v20, v21
	v_not_b32_e32 v21, v22
	v_mad_u32 v29, 0x44, v17, v18
	v_lshlrev_b32_e32 v17, 24, v17
	v_cmp_gt_i32_e64 s2, 0, v22
	v_cmp_gt_i32_e64 s3, 0, v23
	v_not_b32_e32 v22, v23
	v_not_b32_e32 v23, v39
	v_dual_ashrrev_i32 v20, 31, v20 :: v_dual_ashrrev_i32 v21, 31, v21
	v_xor_b32_e32 v19, s0, v19
	v_cmp_gt_i32_e64 s4, 0, v39
	v_not_b32_e32 v39, v40
	v_cmp_gt_i32_e64 s6, 0, v17
	v_not_b32_e32 v17, v17
	v_dual_ashrrev_i32 v22, 31, v22 :: v_dual_ashrrev_i32 v23, 31, v23
	v_xor_b32_e32 v20, s1, v20
	v_xor_b32_e32 v21, s2, v21
	v_bitop3_b32 v16, v16, v19, exec_lo bitop3:0x80
	v_cmp_gt_i32_e64 s5, 0, v40
	v_dual_ashrrev_i32 v19, 31, v39 :: v_dual_ashrrev_i32 v17, 31, v17
	v_xor_b32_e32 v22, s3, v22
	v_xor_b32_e32 v23, s4, v23
	v_bitop3_b32 v16, v16, v21, v20 bitop3:0x80
	s_delay_alu instid0(VALU_DEP_4) | instskip(SKIP_3) | instid1(VALU_DEP_1)
	v_xor_b32_e32 v19, s5, v19
	v_xor_b32_e32 v17, s6, v17
	ds_load_b32 v39, v29 offset:64
	v_bitop3_b32 v16, v16, v23, v22 bitop3:0x80
	; wave barrier
	v_bitop3_b32 v16, v16, v17, v19 bitop3:0x80
	s_delay_alu instid0(VALU_DEP_1) | instskip(SKIP_1) | instid1(VALU_DEP_2)
	v_mbcnt_lo_u32_b32 v40, v16, 0
	v_cmp_ne_u32_e64 s0, 0, v16
	v_cmp_eq_u32_e32 vcc_lo, 0, v40
	s_and_b32 s1, s0, vcc_lo
	s_delay_alu instid0(SALU_CYCLE_1)
	s_and_saveexec_b32 s0, s1
	s_cbranch_execz .LBB1536_77
; %bb.76:
	s_wait_dscnt 0x0
	v_bcnt_u32_b32 v16, v16, v39
	ds_store_b32 v29, v16 offset:64
.LBB1536_77:
	s_or_b32 exec_lo, exec_lo, s0
	v_cmp_gt_i64_e32 vcc_lo, 0, v[10:11]
	; wave barrier
	v_cndmask_b32_e64 v17, 0x7fffffff, 0, vcc_lo
	s_delay_alu instid0(VALU_DEP_1) | instskip(NEXT) | instid1(VALU_DEP_1)
	v_dual_ashrrev_i32 v16, 31, v11 :: v_dual_bitop2_b32 v11, v17, v11 bitop3:0x14
	v_not_b32_e32 v16, v16
	s_delay_alu instid0(VALU_DEP_1) | instskip(NEXT) | instid1(VALU_DEP_1)
	v_xor_b32_e32 v10, v16, v10
	v_cmp_ne_u64_e32 vcc_lo, s[8:9], v[10:11]
	v_cndmask_b32_e32 v17, 0x7fffffff, v11, vcc_lo
	v_cndmask_b32_e32 v16, -1, v10, vcc_lo
	s_delay_alu instid0(VALU_DEP_1) | instskip(NEXT) | instid1(VALU_DEP_1)
	v_lshrrev_b64 v[16:17], s20, v[16:17]
	v_and_b32_e32 v17, s17, v16
	v_bitop3_b32 v16, v16, 1, s17 bitop3:0x80
	s_delay_alu instid0(VALU_DEP_2) | instskip(NEXT) | instid1(VALU_DEP_2)
	v_lshlrev_b32_e32 v20, 30, v17
	v_add_co_u32 v16, s0, v16, -1
	s_delay_alu instid0(VALU_DEP_1) | instskip(NEXT) | instid1(VALU_DEP_3)
	v_cndmask_b32_e64 v19, 0, 1, s0
	v_cmp_gt_i32_e64 s0, 0, v20
	s_delay_alu instid0(VALU_DEP_2) | instskip(SKIP_1) | instid1(VALU_DEP_1)
	v_cmp_ne_u32_e32 vcc_lo, 0, v19
	v_not_b32_e32 v19, v20
	v_dual_ashrrev_i32 v19, 31, v19 :: v_dual_bitop2_b32 v16, vcc_lo, v16 bitop3:0x14
	v_dual_lshlrev_b32 v21, 29, v17 :: v_dual_lshlrev_b32 v22, 28, v17
	v_dual_lshlrev_b32 v23, 27, v17 :: v_dual_lshlrev_b32 v41, 26, v17
	v_lshlrev_b32_e32 v42, 25, v17
	s_delay_alu instid0(VALU_DEP_3)
	v_cmp_gt_i32_e64 s1, 0, v21
	v_not_b32_e32 v20, v21
	v_not_b32_e32 v21, v22
	v_mad_u32 v43, 0x44, v17, v18
	v_lshlrev_b32_e32 v17, 24, v17
	v_cmp_gt_i32_e64 s2, 0, v22
	v_cmp_gt_i32_e64 s3, 0, v23
	v_not_b32_e32 v22, v23
	v_not_b32_e32 v23, v41
	v_dual_ashrrev_i32 v20, 31, v20 :: v_dual_ashrrev_i32 v21, 31, v21
	v_xor_b32_e32 v19, s0, v19
	v_cmp_gt_i32_e64 s4, 0, v41
	v_not_b32_e32 v41, v42
	v_cmp_gt_i32_e64 s6, 0, v17
	v_not_b32_e32 v17, v17
	v_dual_ashrrev_i32 v22, 31, v22 :: v_dual_ashrrev_i32 v23, 31, v23
	v_xor_b32_e32 v20, s1, v20
	v_xor_b32_e32 v21, s2, v21
	v_bitop3_b32 v16, v16, v19, exec_lo bitop3:0x80
	v_cmp_gt_i32_e64 s5, 0, v42
	v_ashrrev_i32_e32 v19, 31, v41
	v_dual_ashrrev_i32 v17, 31, v17 :: v_dual_bitop2_b32 v22, s3, v22 bitop3:0x14
	v_xor_b32_e32 v23, s4, v23
	v_bitop3_b32 v16, v16, v21, v20 bitop3:0x80
	s_delay_alu instid0(VALU_DEP_4) | instskip(NEXT) | instid1(VALU_DEP_4)
	v_xor_b32_e32 v19, s5, v19
	v_xor_b32_e32 v17, s6, v17
	ds_load_b32 v41, v43 offset:64
	v_bitop3_b32 v16, v16, v23, v22 bitop3:0x80
	; wave barrier
	s_delay_alu instid0(VALU_DEP_1) | instskip(NEXT) | instid1(VALU_DEP_1)
	v_bitop3_b32 v16, v16, v17, v19 bitop3:0x80
	v_mbcnt_lo_u32_b32 v42, v16, 0
	v_cmp_ne_u32_e64 s0, 0, v16
	s_delay_alu instid0(VALU_DEP_2) | instskip(SKIP_1) | instid1(SALU_CYCLE_1)
	v_cmp_eq_u32_e32 vcc_lo, 0, v42
	s_and_b32 s1, s0, vcc_lo
	s_and_saveexec_b32 s0, s1
	s_cbranch_execz .LBB1536_79
; %bb.78:
	s_wait_dscnt 0x0
	v_bcnt_u32_b32 v16, v16, v41
	ds_store_b32 v43, v16 offset:64
.LBB1536_79:
	s_or_b32 exec_lo, exec_lo, s0
	v_cmp_gt_i64_e32 vcc_lo, 0, v[14:15]
	; wave barrier
	v_cndmask_b32_e64 v17, 0x7fffffff, 0, vcc_lo
	s_delay_alu instid0(VALU_DEP_1) | instskip(NEXT) | instid1(VALU_DEP_1)
	v_dual_ashrrev_i32 v16, 31, v15 :: v_dual_bitop2_b32 v15, v17, v15 bitop3:0x14
	v_not_b32_e32 v16, v16
	s_delay_alu instid0(VALU_DEP_1) | instskip(NEXT) | instid1(VALU_DEP_1)
	v_xor_b32_e32 v14, v16, v14
	v_cmp_ne_u64_e32 vcc_lo, s[8:9], v[14:15]
	v_cndmask_b32_e32 v17, 0x7fffffff, v15, vcc_lo
	v_cndmask_b32_e32 v16, -1, v14, vcc_lo
	s_delay_alu instid0(VALU_DEP_1) | instskip(NEXT) | instid1(VALU_DEP_1)
	v_lshrrev_b64 v[16:17], s20, v[16:17]
	v_and_b32_e32 v17, s17, v16
	v_bitop3_b32 v16, v16, 1, s17 bitop3:0x80
	s_delay_alu instid0(VALU_DEP_2) | instskip(NEXT) | instid1(VALU_DEP_2)
	v_lshlrev_b32_e32 v20, 30, v17
	v_add_co_u32 v16, s0, v16, -1
	s_delay_alu instid0(VALU_DEP_1) | instskip(NEXT) | instid1(VALU_DEP_3)
	v_cndmask_b32_e64 v19, 0, 1, s0
	v_cmp_gt_i32_e64 s0, 0, v20
	s_delay_alu instid0(VALU_DEP_2) | instskip(SKIP_1) | instid1(VALU_DEP_1)
	v_cmp_ne_u32_e32 vcc_lo, 0, v19
	v_not_b32_e32 v19, v20
	v_dual_ashrrev_i32 v19, 31, v19 :: v_dual_bitop2_b32 v16, vcc_lo, v16 bitop3:0x14
	v_dual_lshlrev_b32 v21, 29, v17 :: v_dual_lshlrev_b32 v22, 28, v17
	v_dual_lshlrev_b32 v23, 27, v17 :: v_dual_lshlrev_b32 v44, 26, v17
	v_lshlrev_b32_e32 v45, 25, v17
	s_delay_alu instid0(VALU_DEP_3)
	v_cmp_gt_i32_e64 s1, 0, v21
	v_not_b32_e32 v20, v21
	v_not_b32_e32 v21, v22
	v_mad_u32 v46, 0x44, v17, v18
	v_lshlrev_b32_e32 v17, 24, v17
	v_cmp_gt_i32_e64 s2, 0, v22
	v_cmp_gt_i32_e64 s3, 0, v23
	v_not_b32_e32 v22, v23
	v_not_b32_e32 v23, v44
	v_dual_ashrrev_i32 v20, 31, v20 :: v_dual_ashrrev_i32 v21, 31, v21
	v_xor_b32_e32 v19, s0, v19
	v_cmp_gt_i32_e64 s4, 0, v44
	v_not_b32_e32 v44, v45
	v_cmp_gt_i32_e64 s6, 0, v17
	v_not_b32_e32 v17, v17
	v_dual_ashrrev_i32 v22, 31, v22 :: v_dual_ashrrev_i32 v23, 31, v23
	v_xor_b32_e32 v20, s1, v20
	v_xor_b32_e32 v21, s2, v21
	v_bitop3_b32 v16, v16, v19, exec_lo bitop3:0x80
	v_cmp_gt_i32_e64 s5, 0, v45
	v_dual_ashrrev_i32 v19, 31, v44 :: v_dual_ashrrev_i32 v17, 31, v17
	v_xor_b32_e32 v22, s3, v22
	v_xor_b32_e32 v23, s4, v23
	v_bitop3_b32 v16, v16, v21, v20 bitop3:0x80
	s_delay_alu instid0(VALU_DEP_4) | instskip(SKIP_3) | instid1(VALU_DEP_1)
	v_xor_b32_e32 v19, s5, v19
	v_xor_b32_e32 v17, s6, v17
	ds_load_b32 v44, v46 offset:64
	v_bitop3_b32 v16, v16, v23, v22 bitop3:0x80
	; wave barrier
	v_bitop3_b32 v16, v16, v17, v19 bitop3:0x80
	s_delay_alu instid0(VALU_DEP_1) | instskip(SKIP_1) | instid1(VALU_DEP_2)
	v_mbcnt_lo_u32_b32 v45, v16, 0
	v_cmp_ne_u32_e64 s0, 0, v16
	v_cmp_eq_u32_e32 vcc_lo, 0, v45
	s_and_b32 s1, s0, vcc_lo
	s_delay_alu instid0(SALU_CYCLE_1)
	s_and_saveexec_b32 s0, s1
	s_cbranch_execz .LBB1536_81
; %bb.80:
	s_wait_dscnt 0x0
	v_bcnt_u32_b32 v16, v16, v44
	ds_store_b32 v46, v16 offset:64
.LBB1536_81:
	s_or_b32 exec_lo, exec_lo, s0
	v_cmp_gt_i64_e32 vcc_lo, 0, v[12:13]
	; wave barrier
	v_cndmask_b32_e64 v17, 0x7fffffff, 0, vcc_lo
	s_delay_alu instid0(VALU_DEP_1) | instskip(NEXT) | instid1(VALU_DEP_1)
	v_dual_ashrrev_i32 v16, 31, v13 :: v_dual_bitop2_b32 v13, v17, v13 bitop3:0x14
	v_not_b32_e32 v16, v16
	s_delay_alu instid0(VALU_DEP_1) | instskip(NEXT) | instid1(VALU_DEP_1)
	v_xor_b32_e32 v12, v16, v12
	v_cmp_ne_u64_e32 vcc_lo, s[8:9], v[12:13]
	v_cndmask_b32_e32 v17, 0x7fffffff, v13, vcc_lo
	v_cndmask_b32_e32 v16, -1, v12, vcc_lo
	s_delay_alu instid0(VALU_DEP_1) | instskip(NEXT) | instid1(VALU_DEP_1)
	v_lshrrev_b64 v[16:17], s20, v[16:17]
	v_and_b32_e32 v17, s17, v16
	v_bitop3_b32 v16, v16, 1, s17 bitop3:0x80
	s_delay_alu instid0(VALU_DEP_2) | instskip(NEXT) | instid1(VALU_DEP_2)
	v_mad_u32 v49, 0x44, v17, v18
	v_add_co_u32 v16, s0, v16, -1
	s_delay_alu instid0(VALU_DEP_1) | instskip(SKIP_1) | instid1(VALU_DEP_2)
	v_cndmask_b32_e64 v18, 0, 1, s0
	v_dual_lshlrev_b32 v19, 30, v17 :: v_dual_lshlrev_b32 v20, 29, v17
	v_cmp_ne_u32_e32 vcc_lo, 0, v18
	s_delay_alu instid0(VALU_DEP_2) | instskip(SKIP_1) | instid1(VALU_DEP_4)
	v_cmp_gt_i32_e64 s0, 0, v19
	v_not_b32_e32 v18, v19
	v_not_b32_e32 v19, v20
	v_cmp_gt_i32_e64 s1, 0, v20
	s_delay_alu instid0(VALU_DEP_3) | instskip(NEXT) | instid1(VALU_DEP_3)
	v_dual_ashrrev_i32 v18, 31, v18 :: v_dual_bitop2_b32 v16, vcc_lo, v16 bitop3:0x14
	v_dual_ashrrev_i32 v19, 31, v19 :: v_dual_lshlrev_b32 v21, 28, v17
	v_dual_lshlrev_b32 v22, 27, v17 :: v_dual_lshlrev_b32 v23, 26, v17
	v_dual_lshlrev_b32 v47, 25, v17 :: v_dual_lshlrev_b32 v17, 24, v17
	s_delay_alu instid0(VALU_DEP_3) | instskip(SKIP_1) | instid1(VALU_DEP_4)
	v_not_b32_e32 v20, v21
	v_cmp_gt_i32_e64 s2, 0, v21
	v_cmp_gt_i32_e64 s3, 0, v22
	v_not_b32_e32 v21, v22
	v_not_b32_e32 v22, v23
	v_dual_ashrrev_i32 v20, 31, v20 :: v_dual_bitop2_b32 v18, s0, v18 bitop3:0x14
	v_cmp_gt_i32_e64 s4, 0, v23
	v_not_b32_e32 v23, v47
	v_cmp_gt_i32_e64 s6, 0, v17
	v_not_b32_e32 v17, v17
	v_dual_ashrrev_i32 v21, 31, v21 :: v_dual_ashrrev_i32 v22, 31, v22
	v_xor_b32_e32 v19, s1, v19
	v_xor_b32_e32 v20, s2, v20
	v_bitop3_b32 v16, v16, v18, exec_lo bitop3:0x80
	v_cmp_gt_i32_e64 s5, 0, v47
	v_dual_ashrrev_i32 v18, 31, v23 :: v_dual_ashrrev_i32 v17, 31, v17
	v_xor_b32_e32 v21, s3, v21
	v_xor_b32_e32 v22, s4, v22
	v_bitop3_b32 v16, v16, v20, v19 bitop3:0x80
	s_delay_alu instid0(VALU_DEP_4) | instskip(SKIP_3) | instid1(VALU_DEP_1)
	v_xor_b32_e32 v18, s5, v18
	v_xor_b32_e32 v17, s6, v17
	ds_load_b32 v47, v49 offset:64
	v_bitop3_b32 v16, v16, v22, v21 bitop3:0x80
	; wave barrier
	v_bitop3_b32 v16, v16, v17, v18 bitop3:0x80
	s_delay_alu instid0(VALU_DEP_1) | instskip(SKIP_1) | instid1(VALU_DEP_2)
	v_mbcnt_lo_u32_b32 v48, v16, 0
	v_cmp_ne_u32_e64 s0, 0, v16
	v_cmp_eq_u32_e32 vcc_lo, 0, v48
	s_and_b32 s1, s0, vcc_lo
	s_delay_alu instid0(SALU_CYCLE_1)
	s_and_saveexec_b32 s0, s1
	s_cbranch_execz .LBB1536_83
; %bb.82:
	s_wait_dscnt 0x0
	v_bcnt_u32_b32 v16, v16, v47
	ds_store_b32 v49, v16 offset:64
.LBB1536_83:
	s_or_b32 exec_lo, exec_lo, s0
	; wave barrier
	s_wait_dscnt 0x0
	s_barrier_signal -1
	s_barrier_wait -1
	ds_load_2addr_b32 v[22:23], v24 offset0:16 offset1:17
	ds_load_2addr_b32 v[20:21], v24 offset0:18 offset1:19
	ds_load_2addr_b32 v[18:19], v24 offset0:20 offset1:21
	ds_load_2addr_b32 v[16:17], v24 offset0:22 offset1:23
	ds_load_b32 v50, v24 offset:96
	v_bfe_i32 v53, v33, 4, 1
	s_mov_b32 s4, exec_lo
	s_wait_dscnt 0x3
	v_add3_u32 v51, v23, v22, v20
	s_wait_dscnt 0x2
	s_delay_alu instid0(VALU_DEP_1) | instskip(SKIP_1) | instid1(VALU_DEP_1)
	v_add3_u32 v51, v51, v21, v18
	s_wait_dscnt 0x1
	v_add3_u32 v51, v51, v19, v16
	s_wait_dscnt 0x0
	s_delay_alu instid0(VALU_DEP_1) | instskip(SKIP_1) | instid1(VALU_DEP_2)
	v_add3_u32 v50, v51, v17, v50
	v_and_b32_e32 v51, 15, v33
	v_mov_b32_dpp v52, v50 row_shr:1 row_mask:0xf bank_mask:0xf
	s_delay_alu instid0(VALU_DEP_2) | instskip(NEXT) | instid1(VALU_DEP_2)
	v_cmp_eq_u32_e32 vcc_lo, 0, v51
	v_cndmask_b32_e64 v52, v52, 0, vcc_lo
	s_delay_alu instid0(VALU_DEP_1) | instskip(SKIP_3) | instid1(VALU_DEP_4)
	v_add_nc_u32_e32 v50, v52, v50
	v_cmp_lt_u32_e64 s0, 1, v51
	v_cmp_lt_u32_e64 s1, 3, v51
	v_cmp_lt_u32_e64 s2, 7, v51
	v_mov_b32_dpp v52, v50 row_shr:2 row_mask:0xf bank_mask:0xf
	s_delay_alu instid0(VALU_DEP_1) | instskip(NEXT) | instid1(VALU_DEP_1)
	v_cndmask_b32_e64 v52, 0, v52, s0
	v_add_nc_u32_e32 v50, v50, v52
	s_delay_alu instid0(VALU_DEP_1) | instskip(NEXT) | instid1(VALU_DEP_1)
	v_mov_b32_dpp v52, v50 row_shr:4 row_mask:0xf bank_mask:0xf
	v_cndmask_b32_e64 v52, 0, v52, s1
	s_delay_alu instid0(VALU_DEP_1) | instskip(NEXT) | instid1(VALU_DEP_1)
	v_add_nc_u32_e32 v50, v50, v52
	v_mov_b32_dpp v52, v50 row_shr:8 row_mask:0xf bank_mask:0xf
	s_delay_alu instid0(VALU_DEP_1) | instskip(SKIP_1) | instid1(VALU_DEP_2)
	v_cndmask_b32_e64 v51, 0, v52, s2
	v_and_b32_e32 v52, 0x3e0, v32
	v_add_nc_u32_e32 v50, v50, v51
	s_delay_alu instid0(VALU_DEP_2) | instskip(SKIP_3) | instid1(VALU_DEP_1)
	v_min_u32_e32 v52, 0x1e0, v52
	ds_swizzle_b32 v51, v50 offset:swizzle(BROADCAST,32,15)
	s_wait_dscnt 0x0
	v_dual_lshrrev_b32 v51, 5, v32 :: v_dual_bitop2_b32 v53, v53, v51 bitop3:0x40
	v_dual_add_nc_u32 v50, v50, v53 :: v_dual_bitop2_b32 v52, 31, v52 bitop3:0x54
	s_delay_alu instid0(VALU_DEP_1)
	v_cmpx_eq_u32_e64 v32, v52
; %bb.84:
	s_delay_alu instid0(VALU_DEP_3)
	v_lshlrev_b32_e32 v52, 2, v51
	ds_store_b32 v52, v50
; %bb.85:
	s_or_b32 exec_lo, exec_lo, s4
	s_delay_alu instid0(SALU_CYCLE_1)
	s_mov_b32 s4, exec_lo
	s_wait_dscnt 0x0
	s_barrier_signal -1
	s_barrier_wait -1
	v_cmpx_gt_u32_e32 16, v32
	s_cbranch_execz .LBB1536_87
; %bb.86:
	v_lshlrev_b32_e32 v52, 2, v32
	ds_load_b32 v53, v52
	s_wait_dscnt 0x0
	v_mov_b32_dpp v54, v53 row_shr:1 row_mask:0xf bank_mask:0xf
	s_delay_alu instid0(VALU_DEP_1) | instskip(NEXT) | instid1(VALU_DEP_1)
	v_cndmask_b32_e64 v54, v54, 0, vcc_lo
	v_add_nc_u32_e32 v53, v54, v53
	s_delay_alu instid0(VALU_DEP_1) | instskip(NEXT) | instid1(VALU_DEP_1)
	v_mov_b32_dpp v54, v53 row_shr:2 row_mask:0xf bank_mask:0xf
	v_cndmask_b32_e64 v54, 0, v54, s0
	s_delay_alu instid0(VALU_DEP_1) | instskip(NEXT) | instid1(VALU_DEP_1)
	v_add_nc_u32_e32 v53, v53, v54
	v_mov_b32_dpp v54, v53 row_shr:4 row_mask:0xf bank_mask:0xf
	s_delay_alu instid0(VALU_DEP_1) | instskip(NEXT) | instid1(VALU_DEP_1)
	v_cndmask_b32_e64 v54, 0, v54, s1
	v_add_nc_u32_e32 v53, v53, v54
	s_delay_alu instid0(VALU_DEP_1) | instskip(NEXT) | instid1(VALU_DEP_1)
	v_mov_b32_dpp v54, v53 row_shr:8 row_mask:0xf bank_mask:0xf
	v_cndmask_b32_e64 v54, 0, v54, s2
	s_delay_alu instid0(VALU_DEP_1)
	v_add_nc_u32_e32 v53, v53, v54
	ds_store_b32 v52, v53
.LBB1536_87:
	s_or_b32 exec_lo, exec_lo, s4
	v_mov_b32_e32 v52, 0
	s_mov_b32 s0, exec_lo
	s_wait_dscnt 0x0
	s_barrier_signal -1
	s_barrier_wait -1
	v_cmpx_lt_u32_e32 31, v32
; %bb.88:
	v_lshl_add_u32 v51, v51, 2, -4
	ds_load_b32 v52, v51
; %bb.89:
	s_or_b32 exec_lo, exec_lo, s0
	v_sub_co_u32 v51, vcc_lo, v33, 1
	s_wait_dscnt 0x0
	v_add_nc_u32_e32 v50, v52, v50
	s_delay_alu instid0(VALU_DEP_2) | instskip(NEXT) | instid1(VALU_DEP_1)
	v_cmp_gt_i32_e64 s0, 0, v51
	v_cndmask_b32_e64 v33, v51, v33, s0
	v_cmp_lt_u32_e64 s0, 0xff, v32
	s_delay_alu instid0(VALU_DEP_2) | instskip(SKIP_4) | instid1(VALU_DEP_2)
	v_lshlrev_b32_e32 v33, 2, v33
	ds_bpermute_b32 v33, v33, v50
	s_wait_dscnt 0x0
	v_cndmask_b32_e32 v33, v33, v52, vcc_lo
	v_cmp_ne_u32_e32 vcc_lo, 0, v32
	v_cndmask_b32_e32 v33, 0, v33, vcc_lo
	v_cmp_gt_u32_e32 vcc_lo, 0x100, v32
	s_delay_alu instid0(VALU_DEP_2) | instskip(NEXT) | instid1(VALU_DEP_1)
	v_add_nc_u32_e32 v22, v33, v22
	v_add_nc_u32_e32 v23, v22, v23
	s_delay_alu instid0(VALU_DEP_1) | instskip(NEXT) | instid1(VALU_DEP_1)
	v_add_nc_u32_e32 v20, v23, v20
	v_add_nc_u32_e32 v21, v20, v21
	s_delay_alu instid0(VALU_DEP_1) | instskip(NEXT) | instid1(VALU_DEP_1)
	v_add_nc_u32_e32 v18, v21, v18
	v_add_nc_u32_e32 v19, v18, v19
	s_delay_alu instid0(VALU_DEP_1) | instskip(NEXT) | instid1(VALU_DEP_1)
	v_add_nc_u32_e32 v16, v19, v16
	v_add_nc_u32_e32 v17, v16, v17
	ds_store_2addr_b32 v24, v33, v22 offset0:16 offset1:17
	ds_store_2addr_b32 v24, v23, v20 offset0:18 offset1:19
	;; [unrolled: 1-line block ×4, first 2 shown]
	ds_store_b32 v24, v17 offset:96
	s_wait_dscnt 0x0
	s_barrier_signal -1
	s_barrier_wait -1
	ds_load_b32 v19, v25 offset:64
	ds_load_b32 v33, v26 offset:64
	;; [unrolled: 1-line block ×8, first 2 shown]
	v_mov_b64_e32 v[16:17], 0
                                        ; implicit-def: $vgpr18
	s_and_saveexec_b32 s2, vcc_lo
	s_cbranch_execz .LBB1536_93
; %bb.90:
	v_mul_u32_u24_e32 v16, 0x44, v32
	v_dual_mov_b32 v17, 0x1000 :: v_dual_add_nc_u32 v18, 1, v32
	s_mov_b32 s3, exec_lo
	ds_load_b32 v16, v16 offset:64
	v_cmpx_ne_u32_e32 0x100, v18
; %bb.91:
	v_mul_u32_u24_e32 v17, 0x44, v18
	ds_load_b32 v17, v17 offset:64
; %bb.92:
	s_or_b32 exec_lo, exec_lo, s3
	s_wait_dscnt 0x0
	v_dual_mov_b32 v17, 0 :: v_dual_sub_nc_u32 v18, v17, v16
.LBB1536_93:
	s_or_b32 exec_lo, exec_lo, s2
	v_dual_mov_b32 v23, 0 :: v_dual_lshlrev_b32 v20, 3, v32
	s_wait_dscnt 0x0
	s_barrier_signal -1
	s_barrier_wait -1
	s_and_saveexec_b32 s1, vcc_lo
	s_cbranch_execz .LBB1536_103
; %bb.94:
	v_lshl_add_u32 v22, s26, 8, v32
	v_dual_mov_b32 v26, 0 :: v_dual_bitop2_b32 v27, 2.0, v18 bitop3:0x54
	s_mov_b32 s2, 0
	s_mov_b32 s3, s26
	s_delay_alu instid0(VALU_DEP_2)
	v_lshl_add_u64 v[24:25], v[22:23], 2, s[10:11]
	global_store_b32 v22, v27, s[10:11] scale_offset scope:SCOPE_DEV
                                        ; implicit-def: $sgpr4
	s_branch .LBB1536_97
.LBB1536_95:                            ;   in Loop: Header=BB1536_97 Depth=1
	s_or_b32 exec_lo, exec_lo, s5
.LBB1536_96:                            ;   in Loop: Header=BB1536_97 Depth=1
	s_delay_alu instid0(SALU_CYCLE_1) | instskip(SKIP_2) | instid1(VALU_DEP_2)
	s_or_b32 exec_lo, exec_lo, s4
	v_and_b32_e32 v22, 0x3fffffff, v27
	v_cmp_gt_i32_e64 s4, -2.0, v27
	v_add_nc_u32_e32 v26, v22, v26
	s_and_b32 s5, exec_lo, s4
	s_delay_alu instid0(SALU_CYCLE_1) | instskip(NEXT) | instid1(SALU_CYCLE_1)
	s_or_b32 s2, s5, s2
	s_and_not1_b32 exec_lo, exec_lo, s2
	s_cbranch_execz .LBB1536_102
.LBB1536_97:                            ; =>This Loop Header: Depth=1
                                        ;     Child Loop BB1536_100 Depth 2
	s_or_b32 s4, s4, exec_lo
	s_cmp_eq_u32 s3, 0
	s_cbranch_scc1 .LBB1536_101
; %bb.98:                               ;   in Loop: Header=BB1536_97 Depth=1
	s_add_co_i32 s3, s3, -1
	s_mov_b32 s4, exec_lo
	s_wait_xcnt 0x0
	v_lshl_or_b32 v22, s3, 8, v32
	global_load_b32 v27, v22, s[10:11] scale_offset scope:SCOPE_DEV
	s_wait_loadcnt 0x0
	v_cmpx_gt_u32_e32 2.0, v27
	s_cbranch_execz .LBB1536_96
; %bb.99:                               ;   in Loop: Header=BB1536_97 Depth=1
	v_lshl_add_u64 v[28:29], v[22:23], 2, s[10:11]
	s_mov_b32 s5, 0
.LBB1536_100:                           ;   Parent Loop BB1536_97 Depth=1
                                        ; =>  This Inner Loop Header: Depth=2
	global_load_b32 v27, v[28:29], off scope:SCOPE_DEV
	s_wait_loadcnt 0x0
	v_cmp_lt_u32_e32 vcc_lo, 0x3fffffff, v27
	s_or_b32 s5, vcc_lo, s5
	s_wait_xcnt 0x0
	s_and_not1_b32 exec_lo, exec_lo, s5
	s_cbranch_execnz .LBB1536_100
	s_branch .LBB1536_95
.LBB1536_101:                           ;   in Loop: Header=BB1536_97 Depth=1
                                        ; implicit-def: $sgpr3
	s_and_b32 s5, exec_lo, s4
	s_delay_alu instid0(SALU_CYCLE_1)
	s_or_b32 s2, s5, s2
	s_wait_xcnt 0x0
	s_and_not1_b32 exec_lo, exec_lo, s2
	s_cbranch_execnz .LBB1536_97
.LBB1536_102:
	s_or_b32 exec_lo, exec_lo, s2
	v_dual_mov_b32 v27, 0 :: v_dual_add_nc_u32 v22, v26, v18
	s_delay_alu instid0(VALU_DEP_1) | instskip(SKIP_4) | instid1(VALU_DEP_1)
	v_or_b32_e32 v22, 0x80000000, v22
	global_store_b32 v[24:25], v22, off scope:SCOPE_DEV
	global_load_b64 v[22:23], v32, s[12:13] scale_offset
	v_sub_nc_u64_e32 v[24:25], v[26:27], v[16:17]
	s_wait_loadcnt 0x0
	v_add_nc_u64_e32 v[22:23], v[24:25], v[22:23]
	ds_store_b64 v20, v[22:23]
.LBB1536_103:
	s_wait_xcnt 0x0
	s_or_b32 exec_lo, exec_lo, s1
	v_add_nc_u32_e32 v19, v19, v30
	v_add3_u32 v24, v48, v21, v47
	v_mov_b32_e32 v21, 0
	v_add3_u32 v25, v45, v46, v44
	v_add3_u32 v26, v42, v43, v41
	;; [unrolled: 1-line block ×4, first 2 shown]
	v_add_nc_u64_e32 v[22:23], s[18:19], v[20:21]
	v_add3_u32 v21, v36, v50, v35
	v_add3_u32 v29, v34, v33, v31
	s_mov_b64 s[6:7], 0x8000000000000000
	s_mov_b32 s9, -1
	s_mov_b32 s8, 0
.LBB1536_104:                           ; =>This Inner Loop Header: Depth=1
	s_wait_xcnt 0x3
	v_add_min_u32_e64 v30, v19, s8, 0x800
	v_add_min_u32_e64 v31, v29, s8, 0x800
	;; [unrolled: 1-line block ×5, first 2 shown]
	s_wait_xcnt 0x2
	v_add_min_u32_e64 v36, v26, s8, 0x800
	v_add_min_u32_e64 v37, v25, s8, 0x800
	s_wait_xcnt 0x1
	v_add_min_u32_e64 v38, v24, s8, 0x800
	v_dual_lshlrev_b32 v30, 3, v30 :: v_dual_lshlrev_b32 v31, 3, v31
	v_dual_lshlrev_b32 v33, 3, v33 :: v_dual_lshlrev_b32 v34, 3, v34
	v_dual_lshlrev_b32 v35, 3, v35 :: v_dual_lshlrev_b32 v36, 3, v36
	s_delay_alu instid0(VALU_DEP_4)
	v_dual_lshlrev_b32 v37, 3, v37 :: v_dual_lshlrev_b32 v38, 3, v38
	ds_store_b64 v30, v[2:3] offset:2048
	ds_store_b64 v31, v[0:1] offset:2048
	;; [unrolled: 1-line block ×8, first 2 shown]
	s_wait_storecnt_dscnt 0x0
	s_barrier_signal -1
	s_barrier_wait -1
	ds_load_2addr_stride64_b64 v[34:37], v20 offset0:4 offset1:12
	s_wait_xcnt 0x0
	ds_load_2addr_stride64_b64 v[38:41], v20 offset0:20 offset1:28
	s_addk_co_i32 s8, 0xf800
	s_and_b32 vcc_lo, exec_lo, s9
	s_mov_b32 s9, 0
	s_wait_dscnt 0x1
	v_cmp_gt_i64_e64 s2, 0, v[34:35]
	v_cmp_gt_i64_e64 s3, 0, v[36:37]
	v_cmp_ne_u64_e64 s1, s[6:7], v[34:35]
	s_wait_dscnt 0x0
	v_cmp_gt_i64_e64 s4, 0, v[38:39]
	v_dual_ashrrev_i32 v33, 31, v35 :: v_dual_ashrrev_i32 v49, 31, v37
	v_cmp_gt_i64_e64 s5, 0, v[40:41]
	v_cndmask_b32_e64 v30, 0x7fffffff, 0, s2
	v_cmp_ne_u64_e64 s2, s[6:7], v[36:37]
	v_cndmask_b32_e64 v48, 0x7fffffff, 0, s3
	v_cmp_ne_u64_e64 s3, s[6:7], v[38:39]
	v_cndmask_b32_e64 v31, 0x7fffffff, v35, s1
	v_cndmask_b32_e64 v50, 0x7fffffff, 0, s4
	v_cmp_ne_u64_e64 s4, s[6:7], v[40:41]
	v_dual_cndmask_b32 v30, -1, v34, s1 :: v_dual_bitop2_b32 v35, v30, v35 bitop3:0x14
	v_cndmask_b32_e64 v43, 0x7fffffff, v37, s2
	v_cndmask_b32_e64 v45, 0x7fffffff, v39, s3
	v_dual_cndmask_b32 v42, -1, v36, s2 :: v_dual_cndmask_b32 v44, -1, v38, s3
	s_delay_alu instid0(VALU_DEP_4) | instskip(SKIP_2) | instid1(VALU_DEP_4)
	v_lshrrev_b64 v[30:31], s20, v[30:31]
	v_cndmask_b32_e64 v47, 0x7fffffff, v41, s4
	v_cndmask_b32_e64 v46, -1, v40, s4
	v_lshrrev_b64 v[42:43], s20, v[42:43]
	v_lshrrev_b64 v[44:45], s20, v[44:45]
	v_dual_ashrrev_i32 v51, 31, v39 :: v_dual_bitop2_b32 v37, v48, v37 bitop3:0x14
	v_dual_ashrrev_i32 v53, 31, v41 :: v_dual_bitop2_b32 v30, s17, v30 bitop3:0x40
	v_lshrrev_b64 v[46:47], s20, v[46:47]
	v_and_b32_e32 v31, s17, v42
	v_and_b32_e32 v42, s17, v44
	v_not_b32_e32 v33, v33
	v_lshlrev_b32_e32 v30, 3, v30
	v_not_b32_e32 v49, v49
	v_not_b32_e32 v48, v51
	v_lshlrev_b32_e32 v45, 3, v42
	v_dual_lshlrev_b32 v44, 3, v31 :: v_dual_bitop2_b32 v43, s17, v46 bitop3:0x40
	v_cndmask_b32_e64 v52, 0x7fffffff, 0, s5
	v_xor_b32_e32 v39, v50, v39
	v_not_b32_e32 v50, v53
	s_delay_alu instid0(VALU_DEP_4)
	v_lshlrev_b32_e32 v46, 3, v43
	ds_load_b64 v[30:31], v30
	ds_load_b64 v[42:43], v44
	ds_load_b64 v[44:45], v45
	ds_load_b64 v[46:47], v46
	v_xor_b32_e32 v34, v33, v34
	v_xor_b32_e32 v36, v49, v36
	;; [unrolled: 1-line block ×5, first 2 shown]
	s_wait_dscnt 0x3
	v_lshl_add_u64 v[30:31], v[30:31], 3, v[22:23]
	s_wait_dscnt 0x2
	v_lshl_add_u64 v[42:43], v[42:43], 3, v[22:23]
	;; [unrolled: 2-line block ×4, first 2 shown]
	v_add_nc_u64_e32 v[22:23], 0x4000, v[22:23]
	s_clause 0x3
	global_store_b64 v[30:31], v[34:35], off
	global_store_b64 v[42:43], v[36:37], off offset:4096
	global_store_b64 v[44:45], v[38:39], off offset:8192
	;; [unrolled: 1-line block ×3, first 2 shown]
	s_wait_storecnt 0x0
	s_barrier_signal -1
	s_barrier_wait -1
	s_cbranch_vccnz .LBB1536_104
; %bb.105:
	s_add_co_i32 s16, s16, -1
	s_delay_alu instid0(SALU_CYCLE_1) | instskip(SKIP_2) | instid1(SALU_CYCLE_1)
	s_cmp_eq_u32 s26, s16
	s_cselect_b32 s1, -1, 0
	s_xor_b32 s0, s0, -1
	s_and_b32 s0, s0, s1
	s_wait_xcnt 0x0
	s_and_saveexec_b32 s1, s0
	s_cbranch_execz .LBB1536_107
; %bb.106:
	ds_load_b64 v[0:1], v20
	v_mov_b32_e32 v19, 0
	s_delay_alu instid0(VALU_DEP_1) | instskip(SKIP_1) | instid1(VALU_DEP_1)
	v_add_nc_u64_e32 v[2:3], v[16:17], v[18:19]
	s_wait_dscnt 0x0
	v_add_nc_u64_e32 v[0:1], v[2:3], v[0:1]
	global_store_b64 v32, v[0:1], s[14:15] scale_offset
.LBB1536_107:
	s_endpgm
	.section	.rodata,"a",@progbits
	.p2align	6, 0x0
	.amdhsa_kernel _ZN7rocprim17ROCPRIM_400000_NS6detail17trampoline_kernelINS0_14default_configENS1_35radix_sort_onesweep_config_selectorIdNS0_10empty_typeEEEZZNS1_29radix_sort_onesweep_iterationIS3_Lb1EPKdPdPS5_SB_mNS0_19identity_decomposerENS1_16block_id_wrapperIjLb0EEEEE10hipError_tT1_PNSt15iterator_traitsISG_E10value_typeET2_T3_PNSH_ISM_E10value_typeET4_T5_PSR_SS_PNS1_23onesweep_lookback_stateEbbT6_jjT7_P12ihipStream_tbENKUlT_T0_SG_SL_E_clIS9_SA_SB_SB_EEDaSZ_S10_SG_SL_EUlSZ_E_NS1_11comp_targetILNS1_3genE0ELNS1_11target_archE4294967295ELNS1_3gpuE0ELNS1_3repE0EEENS1_47radix_sort_onesweep_sort_config_static_selectorELNS0_4arch9wavefront6targetE0EEEvSG_
		.amdhsa_group_segment_fixed_size 18504
		.amdhsa_private_segment_fixed_size 0
		.amdhsa_kernarg_size 344
		.amdhsa_user_sgpr_count 2
		.amdhsa_user_sgpr_dispatch_ptr 0
		.amdhsa_user_sgpr_queue_ptr 0
		.amdhsa_user_sgpr_kernarg_segment_ptr 1
		.amdhsa_user_sgpr_dispatch_id 0
		.amdhsa_user_sgpr_kernarg_preload_length 0
		.amdhsa_user_sgpr_kernarg_preload_offset 0
		.amdhsa_user_sgpr_private_segment_size 0
		.amdhsa_wavefront_size32 1
		.amdhsa_uses_dynamic_stack 0
		.amdhsa_enable_private_segment 0
		.amdhsa_system_sgpr_workgroup_id_x 1
		.amdhsa_system_sgpr_workgroup_id_y 0
		.amdhsa_system_sgpr_workgroup_id_z 0
		.amdhsa_system_sgpr_workgroup_info 0
		.amdhsa_system_vgpr_workitem_id 2
		.amdhsa_next_free_vgpr 57
		.amdhsa_next_free_sgpr 30
		.amdhsa_named_barrier_count 0
		.amdhsa_reserve_vcc 1
		.amdhsa_float_round_mode_32 0
		.amdhsa_float_round_mode_16_64 0
		.amdhsa_float_denorm_mode_32 3
		.amdhsa_float_denorm_mode_16_64 3
		.amdhsa_fp16_overflow 0
		.amdhsa_memory_ordered 1
		.amdhsa_forward_progress 1
		.amdhsa_inst_pref_size 99
		.amdhsa_round_robin_scheduling 0
		.amdhsa_exception_fp_ieee_invalid_op 0
		.amdhsa_exception_fp_denorm_src 0
		.amdhsa_exception_fp_ieee_div_zero 0
		.amdhsa_exception_fp_ieee_overflow 0
		.amdhsa_exception_fp_ieee_underflow 0
		.amdhsa_exception_fp_ieee_inexact 0
		.amdhsa_exception_int_div_zero 0
	.end_amdhsa_kernel
	.section	.text._ZN7rocprim17ROCPRIM_400000_NS6detail17trampoline_kernelINS0_14default_configENS1_35radix_sort_onesweep_config_selectorIdNS0_10empty_typeEEEZZNS1_29radix_sort_onesweep_iterationIS3_Lb1EPKdPdPS5_SB_mNS0_19identity_decomposerENS1_16block_id_wrapperIjLb0EEEEE10hipError_tT1_PNSt15iterator_traitsISG_E10value_typeET2_T3_PNSH_ISM_E10value_typeET4_T5_PSR_SS_PNS1_23onesweep_lookback_stateEbbT6_jjT7_P12ihipStream_tbENKUlT_T0_SG_SL_E_clIS9_SA_SB_SB_EEDaSZ_S10_SG_SL_EUlSZ_E_NS1_11comp_targetILNS1_3genE0ELNS1_11target_archE4294967295ELNS1_3gpuE0ELNS1_3repE0EEENS1_47radix_sort_onesweep_sort_config_static_selectorELNS0_4arch9wavefront6targetE0EEEvSG_,"axG",@progbits,_ZN7rocprim17ROCPRIM_400000_NS6detail17trampoline_kernelINS0_14default_configENS1_35radix_sort_onesweep_config_selectorIdNS0_10empty_typeEEEZZNS1_29radix_sort_onesweep_iterationIS3_Lb1EPKdPdPS5_SB_mNS0_19identity_decomposerENS1_16block_id_wrapperIjLb0EEEEE10hipError_tT1_PNSt15iterator_traitsISG_E10value_typeET2_T3_PNSH_ISM_E10value_typeET4_T5_PSR_SS_PNS1_23onesweep_lookback_stateEbbT6_jjT7_P12ihipStream_tbENKUlT_T0_SG_SL_E_clIS9_SA_SB_SB_EEDaSZ_S10_SG_SL_EUlSZ_E_NS1_11comp_targetILNS1_3genE0ELNS1_11target_archE4294967295ELNS1_3gpuE0ELNS1_3repE0EEENS1_47radix_sort_onesweep_sort_config_static_selectorELNS0_4arch9wavefront6targetE0EEEvSG_,comdat
.Lfunc_end1536:
	.size	_ZN7rocprim17ROCPRIM_400000_NS6detail17trampoline_kernelINS0_14default_configENS1_35radix_sort_onesweep_config_selectorIdNS0_10empty_typeEEEZZNS1_29radix_sort_onesweep_iterationIS3_Lb1EPKdPdPS5_SB_mNS0_19identity_decomposerENS1_16block_id_wrapperIjLb0EEEEE10hipError_tT1_PNSt15iterator_traitsISG_E10value_typeET2_T3_PNSH_ISM_E10value_typeET4_T5_PSR_SS_PNS1_23onesweep_lookback_stateEbbT6_jjT7_P12ihipStream_tbENKUlT_T0_SG_SL_E_clIS9_SA_SB_SB_EEDaSZ_S10_SG_SL_EUlSZ_E_NS1_11comp_targetILNS1_3genE0ELNS1_11target_archE4294967295ELNS1_3gpuE0ELNS1_3repE0EEENS1_47radix_sort_onesweep_sort_config_static_selectorELNS0_4arch9wavefront6targetE0EEEvSG_, .Lfunc_end1536-_ZN7rocprim17ROCPRIM_400000_NS6detail17trampoline_kernelINS0_14default_configENS1_35radix_sort_onesweep_config_selectorIdNS0_10empty_typeEEEZZNS1_29radix_sort_onesweep_iterationIS3_Lb1EPKdPdPS5_SB_mNS0_19identity_decomposerENS1_16block_id_wrapperIjLb0EEEEE10hipError_tT1_PNSt15iterator_traitsISG_E10value_typeET2_T3_PNSH_ISM_E10value_typeET4_T5_PSR_SS_PNS1_23onesweep_lookback_stateEbbT6_jjT7_P12ihipStream_tbENKUlT_T0_SG_SL_E_clIS9_SA_SB_SB_EEDaSZ_S10_SG_SL_EUlSZ_E_NS1_11comp_targetILNS1_3genE0ELNS1_11target_archE4294967295ELNS1_3gpuE0ELNS1_3repE0EEENS1_47radix_sort_onesweep_sort_config_static_selectorELNS0_4arch9wavefront6targetE0EEEvSG_
                                        ; -- End function
	.set _ZN7rocprim17ROCPRIM_400000_NS6detail17trampoline_kernelINS0_14default_configENS1_35radix_sort_onesweep_config_selectorIdNS0_10empty_typeEEEZZNS1_29radix_sort_onesweep_iterationIS3_Lb1EPKdPdPS5_SB_mNS0_19identity_decomposerENS1_16block_id_wrapperIjLb0EEEEE10hipError_tT1_PNSt15iterator_traitsISG_E10value_typeET2_T3_PNSH_ISM_E10value_typeET4_T5_PSR_SS_PNS1_23onesweep_lookback_stateEbbT6_jjT7_P12ihipStream_tbENKUlT_T0_SG_SL_E_clIS9_SA_SB_SB_EEDaSZ_S10_SG_SL_EUlSZ_E_NS1_11comp_targetILNS1_3genE0ELNS1_11target_archE4294967295ELNS1_3gpuE0ELNS1_3repE0EEENS1_47radix_sort_onesweep_sort_config_static_selectorELNS0_4arch9wavefront6targetE0EEEvSG_.num_vgpr, 57
	.set _ZN7rocprim17ROCPRIM_400000_NS6detail17trampoline_kernelINS0_14default_configENS1_35radix_sort_onesweep_config_selectorIdNS0_10empty_typeEEEZZNS1_29radix_sort_onesweep_iterationIS3_Lb1EPKdPdPS5_SB_mNS0_19identity_decomposerENS1_16block_id_wrapperIjLb0EEEEE10hipError_tT1_PNSt15iterator_traitsISG_E10value_typeET2_T3_PNSH_ISM_E10value_typeET4_T5_PSR_SS_PNS1_23onesweep_lookback_stateEbbT6_jjT7_P12ihipStream_tbENKUlT_T0_SG_SL_E_clIS9_SA_SB_SB_EEDaSZ_S10_SG_SL_EUlSZ_E_NS1_11comp_targetILNS1_3genE0ELNS1_11target_archE4294967295ELNS1_3gpuE0ELNS1_3repE0EEENS1_47radix_sort_onesweep_sort_config_static_selectorELNS0_4arch9wavefront6targetE0EEEvSG_.num_agpr, 0
	.set _ZN7rocprim17ROCPRIM_400000_NS6detail17trampoline_kernelINS0_14default_configENS1_35radix_sort_onesweep_config_selectorIdNS0_10empty_typeEEEZZNS1_29radix_sort_onesweep_iterationIS3_Lb1EPKdPdPS5_SB_mNS0_19identity_decomposerENS1_16block_id_wrapperIjLb0EEEEE10hipError_tT1_PNSt15iterator_traitsISG_E10value_typeET2_T3_PNSH_ISM_E10value_typeET4_T5_PSR_SS_PNS1_23onesweep_lookback_stateEbbT6_jjT7_P12ihipStream_tbENKUlT_T0_SG_SL_E_clIS9_SA_SB_SB_EEDaSZ_S10_SG_SL_EUlSZ_E_NS1_11comp_targetILNS1_3genE0ELNS1_11target_archE4294967295ELNS1_3gpuE0ELNS1_3repE0EEENS1_47radix_sort_onesweep_sort_config_static_selectorELNS0_4arch9wavefront6targetE0EEEvSG_.numbered_sgpr, 30
	.set _ZN7rocprim17ROCPRIM_400000_NS6detail17trampoline_kernelINS0_14default_configENS1_35radix_sort_onesweep_config_selectorIdNS0_10empty_typeEEEZZNS1_29radix_sort_onesweep_iterationIS3_Lb1EPKdPdPS5_SB_mNS0_19identity_decomposerENS1_16block_id_wrapperIjLb0EEEEE10hipError_tT1_PNSt15iterator_traitsISG_E10value_typeET2_T3_PNSH_ISM_E10value_typeET4_T5_PSR_SS_PNS1_23onesweep_lookback_stateEbbT6_jjT7_P12ihipStream_tbENKUlT_T0_SG_SL_E_clIS9_SA_SB_SB_EEDaSZ_S10_SG_SL_EUlSZ_E_NS1_11comp_targetILNS1_3genE0ELNS1_11target_archE4294967295ELNS1_3gpuE0ELNS1_3repE0EEENS1_47radix_sort_onesweep_sort_config_static_selectorELNS0_4arch9wavefront6targetE0EEEvSG_.num_named_barrier, 0
	.set _ZN7rocprim17ROCPRIM_400000_NS6detail17trampoline_kernelINS0_14default_configENS1_35radix_sort_onesweep_config_selectorIdNS0_10empty_typeEEEZZNS1_29radix_sort_onesweep_iterationIS3_Lb1EPKdPdPS5_SB_mNS0_19identity_decomposerENS1_16block_id_wrapperIjLb0EEEEE10hipError_tT1_PNSt15iterator_traitsISG_E10value_typeET2_T3_PNSH_ISM_E10value_typeET4_T5_PSR_SS_PNS1_23onesweep_lookback_stateEbbT6_jjT7_P12ihipStream_tbENKUlT_T0_SG_SL_E_clIS9_SA_SB_SB_EEDaSZ_S10_SG_SL_EUlSZ_E_NS1_11comp_targetILNS1_3genE0ELNS1_11target_archE4294967295ELNS1_3gpuE0ELNS1_3repE0EEENS1_47radix_sort_onesweep_sort_config_static_selectorELNS0_4arch9wavefront6targetE0EEEvSG_.private_seg_size, 0
	.set _ZN7rocprim17ROCPRIM_400000_NS6detail17trampoline_kernelINS0_14default_configENS1_35radix_sort_onesweep_config_selectorIdNS0_10empty_typeEEEZZNS1_29radix_sort_onesweep_iterationIS3_Lb1EPKdPdPS5_SB_mNS0_19identity_decomposerENS1_16block_id_wrapperIjLb0EEEEE10hipError_tT1_PNSt15iterator_traitsISG_E10value_typeET2_T3_PNSH_ISM_E10value_typeET4_T5_PSR_SS_PNS1_23onesweep_lookback_stateEbbT6_jjT7_P12ihipStream_tbENKUlT_T0_SG_SL_E_clIS9_SA_SB_SB_EEDaSZ_S10_SG_SL_EUlSZ_E_NS1_11comp_targetILNS1_3genE0ELNS1_11target_archE4294967295ELNS1_3gpuE0ELNS1_3repE0EEENS1_47radix_sort_onesweep_sort_config_static_selectorELNS0_4arch9wavefront6targetE0EEEvSG_.uses_vcc, 1
	.set _ZN7rocprim17ROCPRIM_400000_NS6detail17trampoline_kernelINS0_14default_configENS1_35radix_sort_onesweep_config_selectorIdNS0_10empty_typeEEEZZNS1_29radix_sort_onesweep_iterationIS3_Lb1EPKdPdPS5_SB_mNS0_19identity_decomposerENS1_16block_id_wrapperIjLb0EEEEE10hipError_tT1_PNSt15iterator_traitsISG_E10value_typeET2_T3_PNSH_ISM_E10value_typeET4_T5_PSR_SS_PNS1_23onesweep_lookback_stateEbbT6_jjT7_P12ihipStream_tbENKUlT_T0_SG_SL_E_clIS9_SA_SB_SB_EEDaSZ_S10_SG_SL_EUlSZ_E_NS1_11comp_targetILNS1_3genE0ELNS1_11target_archE4294967295ELNS1_3gpuE0ELNS1_3repE0EEENS1_47radix_sort_onesweep_sort_config_static_selectorELNS0_4arch9wavefront6targetE0EEEvSG_.uses_flat_scratch, 0
	.set _ZN7rocprim17ROCPRIM_400000_NS6detail17trampoline_kernelINS0_14default_configENS1_35radix_sort_onesweep_config_selectorIdNS0_10empty_typeEEEZZNS1_29radix_sort_onesweep_iterationIS3_Lb1EPKdPdPS5_SB_mNS0_19identity_decomposerENS1_16block_id_wrapperIjLb0EEEEE10hipError_tT1_PNSt15iterator_traitsISG_E10value_typeET2_T3_PNSH_ISM_E10value_typeET4_T5_PSR_SS_PNS1_23onesweep_lookback_stateEbbT6_jjT7_P12ihipStream_tbENKUlT_T0_SG_SL_E_clIS9_SA_SB_SB_EEDaSZ_S10_SG_SL_EUlSZ_E_NS1_11comp_targetILNS1_3genE0ELNS1_11target_archE4294967295ELNS1_3gpuE0ELNS1_3repE0EEENS1_47radix_sort_onesweep_sort_config_static_selectorELNS0_4arch9wavefront6targetE0EEEvSG_.has_dyn_sized_stack, 0
	.set _ZN7rocprim17ROCPRIM_400000_NS6detail17trampoline_kernelINS0_14default_configENS1_35radix_sort_onesweep_config_selectorIdNS0_10empty_typeEEEZZNS1_29radix_sort_onesweep_iterationIS3_Lb1EPKdPdPS5_SB_mNS0_19identity_decomposerENS1_16block_id_wrapperIjLb0EEEEE10hipError_tT1_PNSt15iterator_traitsISG_E10value_typeET2_T3_PNSH_ISM_E10value_typeET4_T5_PSR_SS_PNS1_23onesweep_lookback_stateEbbT6_jjT7_P12ihipStream_tbENKUlT_T0_SG_SL_E_clIS9_SA_SB_SB_EEDaSZ_S10_SG_SL_EUlSZ_E_NS1_11comp_targetILNS1_3genE0ELNS1_11target_archE4294967295ELNS1_3gpuE0ELNS1_3repE0EEENS1_47radix_sort_onesweep_sort_config_static_selectorELNS0_4arch9wavefront6targetE0EEEvSG_.has_recursion, 0
	.set _ZN7rocprim17ROCPRIM_400000_NS6detail17trampoline_kernelINS0_14default_configENS1_35radix_sort_onesweep_config_selectorIdNS0_10empty_typeEEEZZNS1_29radix_sort_onesweep_iterationIS3_Lb1EPKdPdPS5_SB_mNS0_19identity_decomposerENS1_16block_id_wrapperIjLb0EEEEE10hipError_tT1_PNSt15iterator_traitsISG_E10value_typeET2_T3_PNSH_ISM_E10value_typeET4_T5_PSR_SS_PNS1_23onesweep_lookback_stateEbbT6_jjT7_P12ihipStream_tbENKUlT_T0_SG_SL_E_clIS9_SA_SB_SB_EEDaSZ_S10_SG_SL_EUlSZ_E_NS1_11comp_targetILNS1_3genE0ELNS1_11target_archE4294967295ELNS1_3gpuE0ELNS1_3repE0EEENS1_47radix_sort_onesweep_sort_config_static_selectorELNS0_4arch9wavefront6targetE0EEEvSG_.has_indirect_call, 0
	.section	.AMDGPU.csdata,"",@progbits
; Kernel info:
; codeLenInByte = 12628
; TotalNumSgprs: 32
; NumVgprs: 57
; ScratchSize: 0
; MemoryBound: 0
; FloatMode: 240
; IeeeMode: 1
; LDSByteSize: 18504 bytes/workgroup (compile time only)
; SGPRBlocks: 0
; VGPRBlocks: 3
; NumSGPRsForWavesPerEU: 32
; NumVGPRsForWavesPerEU: 57
; NamedBarCnt: 0
; Occupancy: 16
; WaveLimiterHint : 1
; COMPUTE_PGM_RSRC2:SCRATCH_EN: 0
; COMPUTE_PGM_RSRC2:USER_SGPR: 2
; COMPUTE_PGM_RSRC2:TRAP_HANDLER: 0
; COMPUTE_PGM_RSRC2:TGID_X_EN: 1
; COMPUTE_PGM_RSRC2:TGID_Y_EN: 0
; COMPUTE_PGM_RSRC2:TGID_Z_EN: 0
; COMPUTE_PGM_RSRC2:TIDIG_COMP_CNT: 2
	.section	.text._ZN7rocprim17ROCPRIM_400000_NS6detail17trampoline_kernelINS0_14default_configENS1_35radix_sort_onesweep_config_selectorIdNS0_10empty_typeEEEZZNS1_29radix_sort_onesweep_iterationIS3_Lb1EPKdPdPS5_SB_mNS0_19identity_decomposerENS1_16block_id_wrapperIjLb0EEEEE10hipError_tT1_PNSt15iterator_traitsISG_E10value_typeET2_T3_PNSH_ISM_E10value_typeET4_T5_PSR_SS_PNS1_23onesweep_lookback_stateEbbT6_jjT7_P12ihipStream_tbENKUlT_T0_SG_SL_E_clIS9_SA_SB_SB_EEDaSZ_S10_SG_SL_EUlSZ_E_NS1_11comp_targetILNS1_3genE6ELNS1_11target_archE950ELNS1_3gpuE13ELNS1_3repE0EEENS1_47radix_sort_onesweep_sort_config_static_selectorELNS0_4arch9wavefront6targetE0EEEvSG_,"axG",@progbits,_ZN7rocprim17ROCPRIM_400000_NS6detail17trampoline_kernelINS0_14default_configENS1_35radix_sort_onesweep_config_selectorIdNS0_10empty_typeEEEZZNS1_29radix_sort_onesweep_iterationIS3_Lb1EPKdPdPS5_SB_mNS0_19identity_decomposerENS1_16block_id_wrapperIjLb0EEEEE10hipError_tT1_PNSt15iterator_traitsISG_E10value_typeET2_T3_PNSH_ISM_E10value_typeET4_T5_PSR_SS_PNS1_23onesweep_lookback_stateEbbT6_jjT7_P12ihipStream_tbENKUlT_T0_SG_SL_E_clIS9_SA_SB_SB_EEDaSZ_S10_SG_SL_EUlSZ_E_NS1_11comp_targetILNS1_3genE6ELNS1_11target_archE950ELNS1_3gpuE13ELNS1_3repE0EEENS1_47radix_sort_onesweep_sort_config_static_selectorELNS0_4arch9wavefront6targetE0EEEvSG_,comdat
	.protected	_ZN7rocprim17ROCPRIM_400000_NS6detail17trampoline_kernelINS0_14default_configENS1_35radix_sort_onesweep_config_selectorIdNS0_10empty_typeEEEZZNS1_29radix_sort_onesweep_iterationIS3_Lb1EPKdPdPS5_SB_mNS0_19identity_decomposerENS1_16block_id_wrapperIjLb0EEEEE10hipError_tT1_PNSt15iterator_traitsISG_E10value_typeET2_T3_PNSH_ISM_E10value_typeET4_T5_PSR_SS_PNS1_23onesweep_lookback_stateEbbT6_jjT7_P12ihipStream_tbENKUlT_T0_SG_SL_E_clIS9_SA_SB_SB_EEDaSZ_S10_SG_SL_EUlSZ_E_NS1_11comp_targetILNS1_3genE6ELNS1_11target_archE950ELNS1_3gpuE13ELNS1_3repE0EEENS1_47radix_sort_onesweep_sort_config_static_selectorELNS0_4arch9wavefront6targetE0EEEvSG_ ; -- Begin function _ZN7rocprim17ROCPRIM_400000_NS6detail17trampoline_kernelINS0_14default_configENS1_35radix_sort_onesweep_config_selectorIdNS0_10empty_typeEEEZZNS1_29radix_sort_onesweep_iterationIS3_Lb1EPKdPdPS5_SB_mNS0_19identity_decomposerENS1_16block_id_wrapperIjLb0EEEEE10hipError_tT1_PNSt15iterator_traitsISG_E10value_typeET2_T3_PNSH_ISM_E10value_typeET4_T5_PSR_SS_PNS1_23onesweep_lookback_stateEbbT6_jjT7_P12ihipStream_tbENKUlT_T0_SG_SL_E_clIS9_SA_SB_SB_EEDaSZ_S10_SG_SL_EUlSZ_E_NS1_11comp_targetILNS1_3genE6ELNS1_11target_archE950ELNS1_3gpuE13ELNS1_3repE0EEENS1_47radix_sort_onesweep_sort_config_static_selectorELNS0_4arch9wavefront6targetE0EEEvSG_
	.globl	_ZN7rocprim17ROCPRIM_400000_NS6detail17trampoline_kernelINS0_14default_configENS1_35radix_sort_onesweep_config_selectorIdNS0_10empty_typeEEEZZNS1_29radix_sort_onesweep_iterationIS3_Lb1EPKdPdPS5_SB_mNS0_19identity_decomposerENS1_16block_id_wrapperIjLb0EEEEE10hipError_tT1_PNSt15iterator_traitsISG_E10value_typeET2_T3_PNSH_ISM_E10value_typeET4_T5_PSR_SS_PNS1_23onesweep_lookback_stateEbbT6_jjT7_P12ihipStream_tbENKUlT_T0_SG_SL_E_clIS9_SA_SB_SB_EEDaSZ_S10_SG_SL_EUlSZ_E_NS1_11comp_targetILNS1_3genE6ELNS1_11target_archE950ELNS1_3gpuE13ELNS1_3repE0EEENS1_47radix_sort_onesweep_sort_config_static_selectorELNS0_4arch9wavefront6targetE0EEEvSG_
	.p2align	8
	.type	_ZN7rocprim17ROCPRIM_400000_NS6detail17trampoline_kernelINS0_14default_configENS1_35radix_sort_onesweep_config_selectorIdNS0_10empty_typeEEEZZNS1_29radix_sort_onesweep_iterationIS3_Lb1EPKdPdPS5_SB_mNS0_19identity_decomposerENS1_16block_id_wrapperIjLb0EEEEE10hipError_tT1_PNSt15iterator_traitsISG_E10value_typeET2_T3_PNSH_ISM_E10value_typeET4_T5_PSR_SS_PNS1_23onesweep_lookback_stateEbbT6_jjT7_P12ihipStream_tbENKUlT_T0_SG_SL_E_clIS9_SA_SB_SB_EEDaSZ_S10_SG_SL_EUlSZ_E_NS1_11comp_targetILNS1_3genE6ELNS1_11target_archE950ELNS1_3gpuE13ELNS1_3repE0EEENS1_47radix_sort_onesweep_sort_config_static_selectorELNS0_4arch9wavefront6targetE0EEEvSG_,@function
_ZN7rocprim17ROCPRIM_400000_NS6detail17trampoline_kernelINS0_14default_configENS1_35radix_sort_onesweep_config_selectorIdNS0_10empty_typeEEEZZNS1_29radix_sort_onesweep_iterationIS3_Lb1EPKdPdPS5_SB_mNS0_19identity_decomposerENS1_16block_id_wrapperIjLb0EEEEE10hipError_tT1_PNSt15iterator_traitsISG_E10value_typeET2_T3_PNSH_ISM_E10value_typeET4_T5_PSR_SS_PNS1_23onesweep_lookback_stateEbbT6_jjT7_P12ihipStream_tbENKUlT_T0_SG_SL_E_clIS9_SA_SB_SB_EEDaSZ_S10_SG_SL_EUlSZ_E_NS1_11comp_targetILNS1_3genE6ELNS1_11target_archE950ELNS1_3gpuE13ELNS1_3repE0EEENS1_47radix_sort_onesweep_sort_config_static_selectorELNS0_4arch9wavefront6targetE0EEEvSG_: ; @_ZN7rocprim17ROCPRIM_400000_NS6detail17trampoline_kernelINS0_14default_configENS1_35radix_sort_onesweep_config_selectorIdNS0_10empty_typeEEEZZNS1_29radix_sort_onesweep_iterationIS3_Lb1EPKdPdPS5_SB_mNS0_19identity_decomposerENS1_16block_id_wrapperIjLb0EEEEE10hipError_tT1_PNSt15iterator_traitsISG_E10value_typeET2_T3_PNSH_ISM_E10value_typeET4_T5_PSR_SS_PNS1_23onesweep_lookback_stateEbbT6_jjT7_P12ihipStream_tbENKUlT_T0_SG_SL_E_clIS9_SA_SB_SB_EEDaSZ_S10_SG_SL_EUlSZ_E_NS1_11comp_targetILNS1_3genE6ELNS1_11target_archE950ELNS1_3gpuE13ELNS1_3repE0EEENS1_47radix_sort_onesweep_sort_config_static_selectorELNS0_4arch9wavefront6targetE0EEEvSG_
; %bb.0:
	.section	.rodata,"a",@progbits
	.p2align	6, 0x0
	.amdhsa_kernel _ZN7rocprim17ROCPRIM_400000_NS6detail17trampoline_kernelINS0_14default_configENS1_35radix_sort_onesweep_config_selectorIdNS0_10empty_typeEEEZZNS1_29radix_sort_onesweep_iterationIS3_Lb1EPKdPdPS5_SB_mNS0_19identity_decomposerENS1_16block_id_wrapperIjLb0EEEEE10hipError_tT1_PNSt15iterator_traitsISG_E10value_typeET2_T3_PNSH_ISM_E10value_typeET4_T5_PSR_SS_PNS1_23onesweep_lookback_stateEbbT6_jjT7_P12ihipStream_tbENKUlT_T0_SG_SL_E_clIS9_SA_SB_SB_EEDaSZ_S10_SG_SL_EUlSZ_E_NS1_11comp_targetILNS1_3genE6ELNS1_11target_archE950ELNS1_3gpuE13ELNS1_3repE0EEENS1_47radix_sort_onesweep_sort_config_static_selectorELNS0_4arch9wavefront6targetE0EEEvSG_
		.amdhsa_group_segment_fixed_size 0
		.amdhsa_private_segment_fixed_size 0
		.amdhsa_kernarg_size 88
		.amdhsa_user_sgpr_count 2
		.amdhsa_user_sgpr_dispatch_ptr 0
		.amdhsa_user_sgpr_queue_ptr 0
		.amdhsa_user_sgpr_kernarg_segment_ptr 1
		.amdhsa_user_sgpr_dispatch_id 0
		.amdhsa_user_sgpr_kernarg_preload_length 0
		.amdhsa_user_sgpr_kernarg_preload_offset 0
		.amdhsa_user_sgpr_private_segment_size 0
		.amdhsa_wavefront_size32 1
		.amdhsa_uses_dynamic_stack 0
		.amdhsa_enable_private_segment 0
		.amdhsa_system_sgpr_workgroup_id_x 1
		.amdhsa_system_sgpr_workgroup_id_y 0
		.amdhsa_system_sgpr_workgroup_id_z 0
		.amdhsa_system_sgpr_workgroup_info 0
		.amdhsa_system_vgpr_workitem_id 0
		.amdhsa_next_free_vgpr 1
		.amdhsa_next_free_sgpr 1
		.amdhsa_named_barrier_count 0
		.amdhsa_reserve_vcc 0
		.amdhsa_float_round_mode_32 0
		.amdhsa_float_round_mode_16_64 0
		.amdhsa_float_denorm_mode_32 3
		.amdhsa_float_denorm_mode_16_64 3
		.amdhsa_fp16_overflow 0
		.amdhsa_memory_ordered 1
		.amdhsa_forward_progress 1
		.amdhsa_inst_pref_size 0
		.amdhsa_round_robin_scheduling 0
		.amdhsa_exception_fp_ieee_invalid_op 0
		.amdhsa_exception_fp_denorm_src 0
		.amdhsa_exception_fp_ieee_div_zero 0
		.amdhsa_exception_fp_ieee_overflow 0
		.amdhsa_exception_fp_ieee_underflow 0
		.amdhsa_exception_fp_ieee_inexact 0
		.amdhsa_exception_int_div_zero 0
	.end_amdhsa_kernel
	.section	.text._ZN7rocprim17ROCPRIM_400000_NS6detail17trampoline_kernelINS0_14default_configENS1_35radix_sort_onesweep_config_selectorIdNS0_10empty_typeEEEZZNS1_29radix_sort_onesweep_iterationIS3_Lb1EPKdPdPS5_SB_mNS0_19identity_decomposerENS1_16block_id_wrapperIjLb0EEEEE10hipError_tT1_PNSt15iterator_traitsISG_E10value_typeET2_T3_PNSH_ISM_E10value_typeET4_T5_PSR_SS_PNS1_23onesweep_lookback_stateEbbT6_jjT7_P12ihipStream_tbENKUlT_T0_SG_SL_E_clIS9_SA_SB_SB_EEDaSZ_S10_SG_SL_EUlSZ_E_NS1_11comp_targetILNS1_3genE6ELNS1_11target_archE950ELNS1_3gpuE13ELNS1_3repE0EEENS1_47radix_sort_onesweep_sort_config_static_selectorELNS0_4arch9wavefront6targetE0EEEvSG_,"axG",@progbits,_ZN7rocprim17ROCPRIM_400000_NS6detail17trampoline_kernelINS0_14default_configENS1_35radix_sort_onesweep_config_selectorIdNS0_10empty_typeEEEZZNS1_29radix_sort_onesweep_iterationIS3_Lb1EPKdPdPS5_SB_mNS0_19identity_decomposerENS1_16block_id_wrapperIjLb0EEEEE10hipError_tT1_PNSt15iterator_traitsISG_E10value_typeET2_T3_PNSH_ISM_E10value_typeET4_T5_PSR_SS_PNS1_23onesweep_lookback_stateEbbT6_jjT7_P12ihipStream_tbENKUlT_T0_SG_SL_E_clIS9_SA_SB_SB_EEDaSZ_S10_SG_SL_EUlSZ_E_NS1_11comp_targetILNS1_3genE6ELNS1_11target_archE950ELNS1_3gpuE13ELNS1_3repE0EEENS1_47radix_sort_onesweep_sort_config_static_selectorELNS0_4arch9wavefront6targetE0EEEvSG_,comdat
.Lfunc_end1537:
	.size	_ZN7rocprim17ROCPRIM_400000_NS6detail17trampoline_kernelINS0_14default_configENS1_35radix_sort_onesweep_config_selectorIdNS0_10empty_typeEEEZZNS1_29radix_sort_onesweep_iterationIS3_Lb1EPKdPdPS5_SB_mNS0_19identity_decomposerENS1_16block_id_wrapperIjLb0EEEEE10hipError_tT1_PNSt15iterator_traitsISG_E10value_typeET2_T3_PNSH_ISM_E10value_typeET4_T5_PSR_SS_PNS1_23onesweep_lookback_stateEbbT6_jjT7_P12ihipStream_tbENKUlT_T0_SG_SL_E_clIS9_SA_SB_SB_EEDaSZ_S10_SG_SL_EUlSZ_E_NS1_11comp_targetILNS1_3genE6ELNS1_11target_archE950ELNS1_3gpuE13ELNS1_3repE0EEENS1_47radix_sort_onesweep_sort_config_static_selectorELNS0_4arch9wavefront6targetE0EEEvSG_, .Lfunc_end1537-_ZN7rocprim17ROCPRIM_400000_NS6detail17trampoline_kernelINS0_14default_configENS1_35radix_sort_onesweep_config_selectorIdNS0_10empty_typeEEEZZNS1_29radix_sort_onesweep_iterationIS3_Lb1EPKdPdPS5_SB_mNS0_19identity_decomposerENS1_16block_id_wrapperIjLb0EEEEE10hipError_tT1_PNSt15iterator_traitsISG_E10value_typeET2_T3_PNSH_ISM_E10value_typeET4_T5_PSR_SS_PNS1_23onesweep_lookback_stateEbbT6_jjT7_P12ihipStream_tbENKUlT_T0_SG_SL_E_clIS9_SA_SB_SB_EEDaSZ_S10_SG_SL_EUlSZ_E_NS1_11comp_targetILNS1_3genE6ELNS1_11target_archE950ELNS1_3gpuE13ELNS1_3repE0EEENS1_47radix_sort_onesweep_sort_config_static_selectorELNS0_4arch9wavefront6targetE0EEEvSG_
                                        ; -- End function
	.set _ZN7rocprim17ROCPRIM_400000_NS6detail17trampoline_kernelINS0_14default_configENS1_35radix_sort_onesweep_config_selectorIdNS0_10empty_typeEEEZZNS1_29radix_sort_onesweep_iterationIS3_Lb1EPKdPdPS5_SB_mNS0_19identity_decomposerENS1_16block_id_wrapperIjLb0EEEEE10hipError_tT1_PNSt15iterator_traitsISG_E10value_typeET2_T3_PNSH_ISM_E10value_typeET4_T5_PSR_SS_PNS1_23onesweep_lookback_stateEbbT6_jjT7_P12ihipStream_tbENKUlT_T0_SG_SL_E_clIS9_SA_SB_SB_EEDaSZ_S10_SG_SL_EUlSZ_E_NS1_11comp_targetILNS1_3genE6ELNS1_11target_archE950ELNS1_3gpuE13ELNS1_3repE0EEENS1_47radix_sort_onesweep_sort_config_static_selectorELNS0_4arch9wavefront6targetE0EEEvSG_.num_vgpr, 0
	.set _ZN7rocprim17ROCPRIM_400000_NS6detail17trampoline_kernelINS0_14default_configENS1_35radix_sort_onesweep_config_selectorIdNS0_10empty_typeEEEZZNS1_29radix_sort_onesweep_iterationIS3_Lb1EPKdPdPS5_SB_mNS0_19identity_decomposerENS1_16block_id_wrapperIjLb0EEEEE10hipError_tT1_PNSt15iterator_traitsISG_E10value_typeET2_T3_PNSH_ISM_E10value_typeET4_T5_PSR_SS_PNS1_23onesweep_lookback_stateEbbT6_jjT7_P12ihipStream_tbENKUlT_T0_SG_SL_E_clIS9_SA_SB_SB_EEDaSZ_S10_SG_SL_EUlSZ_E_NS1_11comp_targetILNS1_3genE6ELNS1_11target_archE950ELNS1_3gpuE13ELNS1_3repE0EEENS1_47radix_sort_onesweep_sort_config_static_selectorELNS0_4arch9wavefront6targetE0EEEvSG_.num_agpr, 0
	.set _ZN7rocprim17ROCPRIM_400000_NS6detail17trampoline_kernelINS0_14default_configENS1_35radix_sort_onesweep_config_selectorIdNS0_10empty_typeEEEZZNS1_29radix_sort_onesweep_iterationIS3_Lb1EPKdPdPS5_SB_mNS0_19identity_decomposerENS1_16block_id_wrapperIjLb0EEEEE10hipError_tT1_PNSt15iterator_traitsISG_E10value_typeET2_T3_PNSH_ISM_E10value_typeET4_T5_PSR_SS_PNS1_23onesweep_lookback_stateEbbT6_jjT7_P12ihipStream_tbENKUlT_T0_SG_SL_E_clIS9_SA_SB_SB_EEDaSZ_S10_SG_SL_EUlSZ_E_NS1_11comp_targetILNS1_3genE6ELNS1_11target_archE950ELNS1_3gpuE13ELNS1_3repE0EEENS1_47radix_sort_onesweep_sort_config_static_selectorELNS0_4arch9wavefront6targetE0EEEvSG_.numbered_sgpr, 0
	.set _ZN7rocprim17ROCPRIM_400000_NS6detail17trampoline_kernelINS0_14default_configENS1_35radix_sort_onesweep_config_selectorIdNS0_10empty_typeEEEZZNS1_29radix_sort_onesweep_iterationIS3_Lb1EPKdPdPS5_SB_mNS0_19identity_decomposerENS1_16block_id_wrapperIjLb0EEEEE10hipError_tT1_PNSt15iterator_traitsISG_E10value_typeET2_T3_PNSH_ISM_E10value_typeET4_T5_PSR_SS_PNS1_23onesweep_lookback_stateEbbT6_jjT7_P12ihipStream_tbENKUlT_T0_SG_SL_E_clIS9_SA_SB_SB_EEDaSZ_S10_SG_SL_EUlSZ_E_NS1_11comp_targetILNS1_3genE6ELNS1_11target_archE950ELNS1_3gpuE13ELNS1_3repE0EEENS1_47radix_sort_onesweep_sort_config_static_selectorELNS0_4arch9wavefront6targetE0EEEvSG_.num_named_barrier, 0
	.set _ZN7rocprim17ROCPRIM_400000_NS6detail17trampoline_kernelINS0_14default_configENS1_35radix_sort_onesweep_config_selectorIdNS0_10empty_typeEEEZZNS1_29radix_sort_onesweep_iterationIS3_Lb1EPKdPdPS5_SB_mNS0_19identity_decomposerENS1_16block_id_wrapperIjLb0EEEEE10hipError_tT1_PNSt15iterator_traitsISG_E10value_typeET2_T3_PNSH_ISM_E10value_typeET4_T5_PSR_SS_PNS1_23onesweep_lookback_stateEbbT6_jjT7_P12ihipStream_tbENKUlT_T0_SG_SL_E_clIS9_SA_SB_SB_EEDaSZ_S10_SG_SL_EUlSZ_E_NS1_11comp_targetILNS1_3genE6ELNS1_11target_archE950ELNS1_3gpuE13ELNS1_3repE0EEENS1_47radix_sort_onesweep_sort_config_static_selectorELNS0_4arch9wavefront6targetE0EEEvSG_.private_seg_size, 0
	.set _ZN7rocprim17ROCPRIM_400000_NS6detail17trampoline_kernelINS0_14default_configENS1_35radix_sort_onesweep_config_selectorIdNS0_10empty_typeEEEZZNS1_29radix_sort_onesweep_iterationIS3_Lb1EPKdPdPS5_SB_mNS0_19identity_decomposerENS1_16block_id_wrapperIjLb0EEEEE10hipError_tT1_PNSt15iterator_traitsISG_E10value_typeET2_T3_PNSH_ISM_E10value_typeET4_T5_PSR_SS_PNS1_23onesweep_lookback_stateEbbT6_jjT7_P12ihipStream_tbENKUlT_T0_SG_SL_E_clIS9_SA_SB_SB_EEDaSZ_S10_SG_SL_EUlSZ_E_NS1_11comp_targetILNS1_3genE6ELNS1_11target_archE950ELNS1_3gpuE13ELNS1_3repE0EEENS1_47radix_sort_onesweep_sort_config_static_selectorELNS0_4arch9wavefront6targetE0EEEvSG_.uses_vcc, 0
	.set _ZN7rocprim17ROCPRIM_400000_NS6detail17trampoline_kernelINS0_14default_configENS1_35radix_sort_onesweep_config_selectorIdNS0_10empty_typeEEEZZNS1_29radix_sort_onesweep_iterationIS3_Lb1EPKdPdPS5_SB_mNS0_19identity_decomposerENS1_16block_id_wrapperIjLb0EEEEE10hipError_tT1_PNSt15iterator_traitsISG_E10value_typeET2_T3_PNSH_ISM_E10value_typeET4_T5_PSR_SS_PNS1_23onesweep_lookback_stateEbbT6_jjT7_P12ihipStream_tbENKUlT_T0_SG_SL_E_clIS9_SA_SB_SB_EEDaSZ_S10_SG_SL_EUlSZ_E_NS1_11comp_targetILNS1_3genE6ELNS1_11target_archE950ELNS1_3gpuE13ELNS1_3repE0EEENS1_47radix_sort_onesweep_sort_config_static_selectorELNS0_4arch9wavefront6targetE0EEEvSG_.uses_flat_scratch, 0
	.set _ZN7rocprim17ROCPRIM_400000_NS6detail17trampoline_kernelINS0_14default_configENS1_35radix_sort_onesweep_config_selectorIdNS0_10empty_typeEEEZZNS1_29radix_sort_onesweep_iterationIS3_Lb1EPKdPdPS5_SB_mNS0_19identity_decomposerENS1_16block_id_wrapperIjLb0EEEEE10hipError_tT1_PNSt15iterator_traitsISG_E10value_typeET2_T3_PNSH_ISM_E10value_typeET4_T5_PSR_SS_PNS1_23onesweep_lookback_stateEbbT6_jjT7_P12ihipStream_tbENKUlT_T0_SG_SL_E_clIS9_SA_SB_SB_EEDaSZ_S10_SG_SL_EUlSZ_E_NS1_11comp_targetILNS1_3genE6ELNS1_11target_archE950ELNS1_3gpuE13ELNS1_3repE0EEENS1_47radix_sort_onesweep_sort_config_static_selectorELNS0_4arch9wavefront6targetE0EEEvSG_.has_dyn_sized_stack, 0
	.set _ZN7rocprim17ROCPRIM_400000_NS6detail17trampoline_kernelINS0_14default_configENS1_35radix_sort_onesweep_config_selectorIdNS0_10empty_typeEEEZZNS1_29radix_sort_onesweep_iterationIS3_Lb1EPKdPdPS5_SB_mNS0_19identity_decomposerENS1_16block_id_wrapperIjLb0EEEEE10hipError_tT1_PNSt15iterator_traitsISG_E10value_typeET2_T3_PNSH_ISM_E10value_typeET4_T5_PSR_SS_PNS1_23onesweep_lookback_stateEbbT6_jjT7_P12ihipStream_tbENKUlT_T0_SG_SL_E_clIS9_SA_SB_SB_EEDaSZ_S10_SG_SL_EUlSZ_E_NS1_11comp_targetILNS1_3genE6ELNS1_11target_archE950ELNS1_3gpuE13ELNS1_3repE0EEENS1_47radix_sort_onesweep_sort_config_static_selectorELNS0_4arch9wavefront6targetE0EEEvSG_.has_recursion, 0
	.set _ZN7rocprim17ROCPRIM_400000_NS6detail17trampoline_kernelINS0_14default_configENS1_35radix_sort_onesweep_config_selectorIdNS0_10empty_typeEEEZZNS1_29radix_sort_onesweep_iterationIS3_Lb1EPKdPdPS5_SB_mNS0_19identity_decomposerENS1_16block_id_wrapperIjLb0EEEEE10hipError_tT1_PNSt15iterator_traitsISG_E10value_typeET2_T3_PNSH_ISM_E10value_typeET4_T5_PSR_SS_PNS1_23onesweep_lookback_stateEbbT6_jjT7_P12ihipStream_tbENKUlT_T0_SG_SL_E_clIS9_SA_SB_SB_EEDaSZ_S10_SG_SL_EUlSZ_E_NS1_11comp_targetILNS1_3genE6ELNS1_11target_archE950ELNS1_3gpuE13ELNS1_3repE0EEENS1_47radix_sort_onesweep_sort_config_static_selectorELNS0_4arch9wavefront6targetE0EEEvSG_.has_indirect_call, 0
	.section	.AMDGPU.csdata,"",@progbits
; Kernel info:
; codeLenInByte = 0
; TotalNumSgprs: 0
; NumVgprs: 0
; ScratchSize: 0
; MemoryBound: 0
; FloatMode: 240
; IeeeMode: 1
; LDSByteSize: 0 bytes/workgroup (compile time only)
; SGPRBlocks: 0
; VGPRBlocks: 0
; NumSGPRsForWavesPerEU: 1
; NumVGPRsForWavesPerEU: 1
; NamedBarCnt: 0
; Occupancy: 16
; WaveLimiterHint : 0
; COMPUTE_PGM_RSRC2:SCRATCH_EN: 0
; COMPUTE_PGM_RSRC2:USER_SGPR: 2
; COMPUTE_PGM_RSRC2:TRAP_HANDLER: 0
; COMPUTE_PGM_RSRC2:TGID_X_EN: 1
; COMPUTE_PGM_RSRC2:TGID_Y_EN: 0
; COMPUTE_PGM_RSRC2:TGID_Z_EN: 0
; COMPUTE_PGM_RSRC2:TIDIG_COMP_CNT: 0
	.section	.text._ZN7rocprim17ROCPRIM_400000_NS6detail17trampoline_kernelINS0_14default_configENS1_35radix_sort_onesweep_config_selectorIdNS0_10empty_typeEEEZZNS1_29radix_sort_onesweep_iterationIS3_Lb1EPKdPdPS5_SB_mNS0_19identity_decomposerENS1_16block_id_wrapperIjLb0EEEEE10hipError_tT1_PNSt15iterator_traitsISG_E10value_typeET2_T3_PNSH_ISM_E10value_typeET4_T5_PSR_SS_PNS1_23onesweep_lookback_stateEbbT6_jjT7_P12ihipStream_tbENKUlT_T0_SG_SL_E_clIS9_SA_SB_SB_EEDaSZ_S10_SG_SL_EUlSZ_E_NS1_11comp_targetILNS1_3genE5ELNS1_11target_archE942ELNS1_3gpuE9ELNS1_3repE0EEENS1_47radix_sort_onesweep_sort_config_static_selectorELNS0_4arch9wavefront6targetE0EEEvSG_,"axG",@progbits,_ZN7rocprim17ROCPRIM_400000_NS6detail17trampoline_kernelINS0_14default_configENS1_35radix_sort_onesweep_config_selectorIdNS0_10empty_typeEEEZZNS1_29radix_sort_onesweep_iterationIS3_Lb1EPKdPdPS5_SB_mNS0_19identity_decomposerENS1_16block_id_wrapperIjLb0EEEEE10hipError_tT1_PNSt15iterator_traitsISG_E10value_typeET2_T3_PNSH_ISM_E10value_typeET4_T5_PSR_SS_PNS1_23onesweep_lookback_stateEbbT6_jjT7_P12ihipStream_tbENKUlT_T0_SG_SL_E_clIS9_SA_SB_SB_EEDaSZ_S10_SG_SL_EUlSZ_E_NS1_11comp_targetILNS1_3genE5ELNS1_11target_archE942ELNS1_3gpuE9ELNS1_3repE0EEENS1_47radix_sort_onesweep_sort_config_static_selectorELNS0_4arch9wavefront6targetE0EEEvSG_,comdat
	.protected	_ZN7rocprim17ROCPRIM_400000_NS6detail17trampoline_kernelINS0_14default_configENS1_35radix_sort_onesweep_config_selectorIdNS0_10empty_typeEEEZZNS1_29radix_sort_onesweep_iterationIS3_Lb1EPKdPdPS5_SB_mNS0_19identity_decomposerENS1_16block_id_wrapperIjLb0EEEEE10hipError_tT1_PNSt15iterator_traitsISG_E10value_typeET2_T3_PNSH_ISM_E10value_typeET4_T5_PSR_SS_PNS1_23onesweep_lookback_stateEbbT6_jjT7_P12ihipStream_tbENKUlT_T0_SG_SL_E_clIS9_SA_SB_SB_EEDaSZ_S10_SG_SL_EUlSZ_E_NS1_11comp_targetILNS1_3genE5ELNS1_11target_archE942ELNS1_3gpuE9ELNS1_3repE0EEENS1_47radix_sort_onesweep_sort_config_static_selectorELNS0_4arch9wavefront6targetE0EEEvSG_ ; -- Begin function _ZN7rocprim17ROCPRIM_400000_NS6detail17trampoline_kernelINS0_14default_configENS1_35radix_sort_onesweep_config_selectorIdNS0_10empty_typeEEEZZNS1_29radix_sort_onesweep_iterationIS3_Lb1EPKdPdPS5_SB_mNS0_19identity_decomposerENS1_16block_id_wrapperIjLb0EEEEE10hipError_tT1_PNSt15iterator_traitsISG_E10value_typeET2_T3_PNSH_ISM_E10value_typeET4_T5_PSR_SS_PNS1_23onesweep_lookback_stateEbbT6_jjT7_P12ihipStream_tbENKUlT_T0_SG_SL_E_clIS9_SA_SB_SB_EEDaSZ_S10_SG_SL_EUlSZ_E_NS1_11comp_targetILNS1_3genE5ELNS1_11target_archE942ELNS1_3gpuE9ELNS1_3repE0EEENS1_47radix_sort_onesweep_sort_config_static_selectorELNS0_4arch9wavefront6targetE0EEEvSG_
	.globl	_ZN7rocprim17ROCPRIM_400000_NS6detail17trampoline_kernelINS0_14default_configENS1_35radix_sort_onesweep_config_selectorIdNS0_10empty_typeEEEZZNS1_29radix_sort_onesweep_iterationIS3_Lb1EPKdPdPS5_SB_mNS0_19identity_decomposerENS1_16block_id_wrapperIjLb0EEEEE10hipError_tT1_PNSt15iterator_traitsISG_E10value_typeET2_T3_PNSH_ISM_E10value_typeET4_T5_PSR_SS_PNS1_23onesweep_lookback_stateEbbT6_jjT7_P12ihipStream_tbENKUlT_T0_SG_SL_E_clIS9_SA_SB_SB_EEDaSZ_S10_SG_SL_EUlSZ_E_NS1_11comp_targetILNS1_3genE5ELNS1_11target_archE942ELNS1_3gpuE9ELNS1_3repE0EEENS1_47radix_sort_onesweep_sort_config_static_selectorELNS0_4arch9wavefront6targetE0EEEvSG_
	.p2align	8
	.type	_ZN7rocprim17ROCPRIM_400000_NS6detail17trampoline_kernelINS0_14default_configENS1_35radix_sort_onesweep_config_selectorIdNS0_10empty_typeEEEZZNS1_29radix_sort_onesweep_iterationIS3_Lb1EPKdPdPS5_SB_mNS0_19identity_decomposerENS1_16block_id_wrapperIjLb0EEEEE10hipError_tT1_PNSt15iterator_traitsISG_E10value_typeET2_T3_PNSH_ISM_E10value_typeET4_T5_PSR_SS_PNS1_23onesweep_lookback_stateEbbT6_jjT7_P12ihipStream_tbENKUlT_T0_SG_SL_E_clIS9_SA_SB_SB_EEDaSZ_S10_SG_SL_EUlSZ_E_NS1_11comp_targetILNS1_3genE5ELNS1_11target_archE942ELNS1_3gpuE9ELNS1_3repE0EEENS1_47radix_sort_onesweep_sort_config_static_selectorELNS0_4arch9wavefront6targetE0EEEvSG_,@function
_ZN7rocprim17ROCPRIM_400000_NS6detail17trampoline_kernelINS0_14default_configENS1_35radix_sort_onesweep_config_selectorIdNS0_10empty_typeEEEZZNS1_29radix_sort_onesweep_iterationIS3_Lb1EPKdPdPS5_SB_mNS0_19identity_decomposerENS1_16block_id_wrapperIjLb0EEEEE10hipError_tT1_PNSt15iterator_traitsISG_E10value_typeET2_T3_PNSH_ISM_E10value_typeET4_T5_PSR_SS_PNS1_23onesweep_lookback_stateEbbT6_jjT7_P12ihipStream_tbENKUlT_T0_SG_SL_E_clIS9_SA_SB_SB_EEDaSZ_S10_SG_SL_EUlSZ_E_NS1_11comp_targetILNS1_3genE5ELNS1_11target_archE942ELNS1_3gpuE9ELNS1_3repE0EEENS1_47radix_sort_onesweep_sort_config_static_selectorELNS0_4arch9wavefront6targetE0EEEvSG_: ; @_ZN7rocprim17ROCPRIM_400000_NS6detail17trampoline_kernelINS0_14default_configENS1_35radix_sort_onesweep_config_selectorIdNS0_10empty_typeEEEZZNS1_29radix_sort_onesweep_iterationIS3_Lb1EPKdPdPS5_SB_mNS0_19identity_decomposerENS1_16block_id_wrapperIjLb0EEEEE10hipError_tT1_PNSt15iterator_traitsISG_E10value_typeET2_T3_PNSH_ISM_E10value_typeET4_T5_PSR_SS_PNS1_23onesweep_lookback_stateEbbT6_jjT7_P12ihipStream_tbENKUlT_T0_SG_SL_E_clIS9_SA_SB_SB_EEDaSZ_S10_SG_SL_EUlSZ_E_NS1_11comp_targetILNS1_3genE5ELNS1_11target_archE942ELNS1_3gpuE9ELNS1_3repE0EEENS1_47radix_sort_onesweep_sort_config_static_selectorELNS0_4arch9wavefront6targetE0EEEvSG_
; %bb.0:
	.section	.rodata,"a",@progbits
	.p2align	6, 0x0
	.amdhsa_kernel _ZN7rocprim17ROCPRIM_400000_NS6detail17trampoline_kernelINS0_14default_configENS1_35radix_sort_onesweep_config_selectorIdNS0_10empty_typeEEEZZNS1_29radix_sort_onesweep_iterationIS3_Lb1EPKdPdPS5_SB_mNS0_19identity_decomposerENS1_16block_id_wrapperIjLb0EEEEE10hipError_tT1_PNSt15iterator_traitsISG_E10value_typeET2_T3_PNSH_ISM_E10value_typeET4_T5_PSR_SS_PNS1_23onesweep_lookback_stateEbbT6_jjT7_P12ihipStream_tbENKUlT_T0_SG_SL_E_clIS9_SA_SB_SB_EEDaSZ_S10_SG_SL_EUlSZ_E_NS1_11comp_targetILNS1_3genE5ELNS1_11target_archE942ELNS1_3gpuE9ELNS1_3repE0EEENS1_47radix_sort_onesweep_sort_config_static_selectorELNS0_4arch9wavefront6targetE0EEEvSG_
		.amdhsa_group_segment_fixed_size 0
		.amdhsa_private_segment_fixed_size 0
		.amdhsa_kernarg_size 88
		.amdhsa_user_sgpr_count 2
		.amdhsa_user_sgpr_dispatch_ptr 0
		.amdhsa_user_sgpr_queue_ptr 0
		.amdhsa_user_sgpr_kernarg_segment_ptr 1
		.amdhsa_user_sgpr_dispatch_id 0
		.amdhsa_user_sgpr_kernarg_preload_length 0
		.amdhsa_user_sgpr_kernarg_preload_offset 0
		.amdhsa_user_sgpr_private_segment_size 0
		.amdhsa_wavefront_size32 1
		.amdhsa_uses_dynamic_stack 0
		.amdhsa_enable_private_segment 0
		.amdhsa_system_sgpr_workgroup_id_x 1
		.amdhsa_system_sgpr_workgroup_id_y 0
		.amdhsa_system_sgpr_workgroup_id_z 0
		.amdhsa_system_sgpr_workgroup_info 0
		.amdhsa_system_vgpr_workitem_id 0
		.amdhsa_next_free_vgpr 1
		.amdhsa_next_free_sgpr 1
		.amdhsa_named_barrier_count 0
		.amdhsa_reserve_vcc 0
		.amdhsa_float_round_mode_32 0
		.amdhsa_float_round_mode_16_64 0
		.amdhsa_float_denorm_mode_32 3
		.amdhsa_float_denorm_mode_16_64 3
		.amdhsa_fp16_overflow 0
		.amdhsa_memory_ordered 1
		.amdhsa_forward_progress 1
		.amdhsa_inst_pref_size 0
		.amdhsa_round_robin_scheduling 0
		.amdhsa_exception_fp_ieee_invalid_op 0
		.amdhsa_exception_fp_denorm_src 0
		.amdhsa_exception_fp_ieee_div_zero 0
		.amdhsa_exception_fp_ieee_overflow 0
		.amdhsa_exception_fp_ieee_underflow 0
		.amdhsa_exception_fp_ieee_inexact 0
		.amdhsa_exception_int_div_zero 0
	.end_amdhsa_kernel
	.section	.text._ZN7rocprim17ROCPRIM_400000_NS6detail17trampoline_kernelINS0_14default_configENS1_35radix_sort_onesweep_config_selectorIdNS0_10empty_typeEEEZZNS1_29radix_sort_onesweep_iterationIS3_Lb1EPKdPdPS5_SB_mNS0_19identity_decomposerENS1_16block_id_wrapperIjLb0EEEEE10hipError_tT1_PNSt15iterator_traitsISG_E10value_typeET2_T3_PNSH_ISM_E10value_typeET4_T5_PSR_SS_PNS1_23onesweep_lookback_stateEbbT6_jjT7_P12ihipStream_tbENKUlT_T0_SG_SL_E_clIS9_SA_SB_SB_EEDaSZ_S10_SG_SL_EUlSZ_E_NS1_11comp_targetILNS1_3genE5ELNS1_11target_archE942ELNS1_3gpuE9ELNS1_3repE0EEENS1_47radix_sort_onesweep_sort_config_static_selectorELNS0_4arch9wavefront6targetE0EEEvSG_,"axG",@progbits,_ZN7rocprim17ROCPRIM_400000_NS6detail17trampoline_kernelINS0_14default_configENS1_35radix_sort_onesweep_config_selectorIdNS0_10empty_typeEEEZZNS1_29radix_sort_onesweep_iterationIS3_Lb1EPKdPdPS5_SB_mNS0_19identity_decomposerENS1_16block_id_wrapperIjLb0EEEEE10hipError_tT1_PNSt15iterator_traitsISG_E10value_typeET2_T3_PNSH_ISM_E10value_typeET4_T5_PSR_SS_PNS1_23onesweep_lookback_stateEbbT6_jjT7_P12ihipStream_tbENKUlT_T0_SG_SL_E_clIS9_SA_SB_SB_EEDaSZ_S10_SG_SL_EUlSZ_E_NS1_11comp_targetILNS1_3genE5ELNS1_11target_archE942ELNS1_3gpuE9ELNS1_3repE0EEENS1_47radix_sort_onesweep_sort_config_static_selectorELNS0_4arch9wavefront6targetE0EEEvSG_,comdat
.Lfunc_end1538:
	.size	_ZN7rocprim17ROCPRIM_400000_NS6detail17trampoline_kernelINS0_14default_configENS1_35radix_sort_onesweep_config_selectorIdNS0_10empty_typeEEEZZNS1_29radix_sort_onesweep_iterationIS3_Lb1EPKdPdPS5_SB_mNS0_19identity_decomposerENS1_16block_id_wrapperIjLb0EEEEE10hipError_tT1_PNSt15iterator_traitsISG_E10value_typeET2_T3_PNSH_ISM_E10value_typeET4_T5_PSR_SS_PNS1_23onesweep_lookback_stateEbbT6_jjT7_P12ihipStream_tbENKUlT_T0_SG_SL_E_clIS9_SA_SB_SB_EEDaSZ_S10_SG_SL_EUlSZ_E_NS1_11comp_targetILNS1_3genE5ELNS1_11target_archE942ELNS1_3gpuE9ELNS1_3repE0EEENS1_47radix_sort_onesweep_sort_config_static_selectorELNS0_4arch9wavefront6targetE0EEEvSG_, .Lfunc_end1538-_ZN7rocprim17ROCPRIM_400000_NS6detail17trampoline_kernelINS0_14default_configENS1_35radix_sort_onesweep_config_selectorIdNS0_10empty_typeEEEZZNS1_29radix_sort_onesweep_iterationIS3_Lb1EPKdPdPS5_SB_mNS0_19identity_decomposerENS1_16block_id_wrapperIjLb0EEEEE10hipError_tT1_PNSt15iterator_traitsISG_E10value_typeET2_T3_PNSH_ISM_E10value_typeET4_T5_PSR_SS_PNS1_23onesweep_lookback_stateEbbT6_jjT7_P12ihipStream_tbENKUlT_T0_SG_SL_E_clIS9_SA_SB_SB_EEDaSZ_S10_SG_SL_EUlSZ_E_NS1_11comp_targetILNS1_3genE5ELNS1_11target_archE942ELNS1_3gpuE9ELNS1_3repE0EEENS1_47radix_sort_onesweep_sort_config_static_selectorELNS0_4arch9wavefront6targetE0EEEvSG_
                                        ; -- End function
	.set _ZN7rocprim17ROCPRIM_400000_NS6detail17trampoline_kernelINS0_14default_configENS1_35radix_sort_onesweep_config_selectorIdNS0_10empty_typeEEEZZNS1_29radix_sort_onesweep_iterationIS3_Lb1EPKdPdPS5_SB_mNS0_19identity_decomposerENS1_16block_id_wrapperIjLb0EEEEE10hipError_tT1_PNSt15iterator_traitsISG_E10value_typeET2_T3_PNSH_ISM_E10value_typeET4_T5_PSR_SS_PNS1_23onesweep_lookback_stateEbbT6_jjT7_P12ihipStream_tbENKUlT_T0_SG_SL_E_clIS9_SA_SB_SB_EEDaSZ_S10_SG_SL_EUlSZ_E_NS1_11comp_targetILNS1_3genE5ELNS1_11target_archE942ELNS1_3gpuE9ELNS1_3repE0EEENS1_47radix_sort_onesweep_sort_config_static_selectorELNS0_4arch9wavefront6targetE0EEEvSG_.num_vgpr, 0
	.set _ZN7rocprim17ROCPRIM_400000_NS6detail17trampoline_kernelINS0_14default_configENS1_35radix_sort_onesweep_config_selectorIdNS0_10empty_typeEEEZZNS1_29radix_sort_onesweep_iterationIS3_Lb1EPKdPdPS5_SB_mNS0_19identity_decomposerENS1_16block_id_wrapperIjLb0EEEEE10hipError_tT1_PNSt15iterator_traitsISG_E10value_typeET2_T3_PNSH_ISM_E10value_typeET4_T5_PSR_SS_PNS1_23onesweep_lookback_stateEbbT6_jjT7_P12ihipStream_tbENKUlT_T0_SG_SL_E_clIS9_SA_SB_SB_EEDaSZ_S10_SG_SL_EUlSZ_E_NS1_11comp_targetILNS1_3genE5ELNS1_11target_archE942ELNS1_3gpuE9ELNS1_3repE0EEENS1_47radix_sort_onesweep_sort_config_static_selectorELNS0_4arch9wavefront6targetE0EEEvSG_.num_agpr, 0
	.set _ZN7rocprim17ROCPRIM_400000_NS6detail17trampoline_kernelINS0_14default_configENS1_35radix_sort_onesweep_config_selectorIdNS0_10empty_typeEEEZZNS1_29radix_sort_onesweep_iterationIS3_Lb1EPKdPdPS5_SB_mNS0_19identity_decomposerENS1_16block_id_wrapperIjLb0EEEEE10hipError_tT1_PNSt15iterator_traitsISG_E10value_typeET2_T3_PNSH_ISM_E10value_typeET4_T5_PSR_SS_PNS1_23onesweep_lookback_stateEbbT6_jjT7_P12ihipStream_tbENKUlT_T0_SG_SL_E_clIS9_SA_SB_SB_EEDaSZ_S10_SG_SL_EUlSZ_E_NS1_11comp_targetILNS1_3genE5ELNS1_11target_archE942ELNS1_3gpuE9ELNS1_3repE0EEENS1_47radix_sort_onesweep_sort_config_static_selectorELNS0_4arch9wavefront6targetE0EEEvSG_.numbered_sgpr, 0
	.set _ZN7rocprim17ROCPRIM_400000_NS6detail17trampoline_kernelINS0_14default_configENS1_35radix_sort_onesweep_config_selectorIdNS0_10empty_typeEEEZZNS1_29radix_sort_onesweep_iterationIS3_Lb1EPKdPdPS5_SB_mNS0_19identity_decomposerENS1_16block_id_wrapperIjLb0EEEEE10hipError_tT1_PNSt15iterator_traitsISG_E10value_typeET2_T3_PNSH_ISM_E10value_typeET4_T5_PSR_SS_PNS1_23onesweep_lookback_stateEbbT6_jjT7_P12ihipStream_tbENKUlT_T0_SG_SL_E_clIS9_SA_SB_SB_EEDaSZ_S10_SG_SL_EUlSZ_E_NS1_11comp_targetILNS1_3genE5ELNS1_11target_archE942ELNS1_3gpuE9ELNS1_3repE0EEENS1_47radix_sort_onesweep_sort_config_static_selectorELNS0_4arch9wavefront6targetE0EEEvSG_.num_named_barrier, 0
	.set _ZN7rocprim17ROCPRIM_400000_NS6detail17trampoline_kernelINS0_14default_configENS1_35radix_sort_onesweep_config_selectorIdNS0_10empty_typeEEEZZNS1_29radix_sort_onesweep_iterationIS3_Lb1EPKdPdPS5_SB_mNS0_19identity_decomposerENS1_16block_id_wrapperIjLb0EEEEE10hipError_tT1_PNSt15iterator_traitsISG_E10value_typeET2_T3_PNSH_ISM_E10value_typeET4_T5_PSR_SS_PNS1_23onesweep_lookback_stateEbbT6_jjT7_P12ihipStream_tbENKUlT_T0_SG_SL_E_clIS9_SA_SB_SB_EEDaSZ_S10_SG_SL_EUlSZ_E_NS1_11comp_targetILNS1_3genE5ELNS1_11target_archE942ELNS1_3gpuE9ELNS1_3repE0EEENS1_47radix_sort_onesweep_sort_config_static_selectorELNS0_4arch9wavefront6targetE0EEEvSG_.private_seg_size, 0
	.set _ZN7rocprim17ROCPRIM_400000_NS6detail17trampoline_kernelINS0_14default_configENS1_35radix_sort_onesweep_config_selectorIdNS0_10empty_typeEEEZZNS1_29radix_sort_onesweep_iterationIS3_Lb1EPKdPdPS5_SB_mNS0_19identity_decomposerENS1_16block_id_wrapperIjLb0EEEEE10hipError_tT1_PNSt15iterator_traitsISG_E10value_typeET2_T3_PNSH_ISM_E10value_typeET4_T5_PSR_SS_PNS1_23onesweep_lookback_stateEbbT6_jjT7_P12ihipStream_tbENKUlT_T0_SG_SL_E_clIS9_SA_SB_SB_EEDaSZ_S10_SG_SL_EUlSZ_E_NS1_11comp_targetILNS1_3genE5ELNS1_11target_archE942ELNS1_3gpuE9ELNS1_3repE0EEENS1_47radix_sort_onesweep_sort_config_static_selectorELNS0_4arch9wavefront6targetE0EEEvSG_.uses_vcc, 0
	.set _ZN7rocprim17ROCPRIM_400000_NS6detail17trampoline_kernelINS0_14default_configENS1_35radix_sort_onesweep_config_selectorIdNS0_10empty_typeEEEZZNS1_29radix_sort_onesweep_iterationIS3_Lb1EPKdPdPS5_SB_mNS0_19identity_decomposerENS1_16block_id_wrapperIjLb0EEEEE10hipError_tT1_PNSt15iterator_traitsISG_E10value_typeET2_T3_PNSH_ISM_E10value_typeET4_T5_PSR_SS_PNS1_23onesweep_lookback_stateEbbT6_jjT7_P12ihipStream_tbENKUlT_T0_SG_SL_E_clIS9_SA_SB_SB_EEDaSZ_S10_SG_SL_EUlSZ_E_NS1_11comp_targetILNS1_3genE5ELNS1_11target_archE942ELNS1_3gpuE9ELNS1_3repE0EEENS1_47radix_sort_onesweep_sort_config_static_selectorELNS0_4arch9wavefront6targetE0EEEvSG_.uses_flat_scratch, 0
	.set _ZN7rocprim17ROCPRIM_400000_NS6detail17trampoline_kernelINS0_14default_configENS1_35radix_sort_onesweep_config_selectorIdNS0_10empty_typeEEEZZNS1_29radix_sort_onesweep_iterationIS3_Lb1EPKdPdPS5_SB_mNS0_19identity_decomposerENS1_16block_id_wrapperIjLb0EEEEE10hipError_tT1_PNSt15iterator_traitsISG_E10value_typeET2_T3_PNSH_ISM_E10value_typeET4_T5_PSR_SS_PNS1_23onesweep_lookback_stateEbbT6_jjT7_P12ihipStream_tbENKUlT_T0_SG_SL_E_clIS9_SA_SB_SB_EEDaSZ_S10_SG_SL_EUlSZ_E_NS1_11comp_targetILNS1_3genE5ELNS1_11target_archE942ELNS1_3gpuE9ELNS1_3repE0EEENS1_47radix_sort_onesweep_sort_config_static_selectorELNS0_4arch9wavefront6targetE0EEEvSG_.has_dyn_sized_stack, 0
	.set _ZN7rocprim17ROCPRIM_400000_NS6detail17trampoline_kernelINS0_14default_configENS1_35radix_sort_onesweep_config_selectorIdNS0_10empty_typeEEEZZNS1_29radix_sort_onesweep_iterationIS3_Lb1EPKdPdPS5_SB_mNS0_19identity_decomposerENS1_16block_id_wrapperIjLb0EEEEE10hipError_tT1_PNSt15iterator_traitsISG_E10value_typeET2_T3_PNSH_ISM_E10value_typeET4_T5_PSR_SS_PNS1_23onesweep_lookback_stateEbbT6_jjT7_P12ihipStream_tbENKUlT_T0_SG_SL_E_clIS9_SA_SB_SB_EEDaSZ_S10_SG_SL_EUlSZ_E_NS1_11comp_targetILNS1_3genE5ELNS1_11target_archE942ELNS1_3gpuE9ELNS1_3repE0EEENS1_47radix_sort_onesweep_sort_config_static_selectorELNS0_4arch9wavefront6targetE0EEEvSG_.has_recursion, 0
	.set _ZN7rocprim17ROCPRIM_400000_NS6detail17trampoline_kernelINS0_14default_configENS1_35radix_sort_onesweep_config_selectorIdNS0_10empty_typeEEEZZNS1_29radix_sort_onesweep_iterationIS3_Lb1EPKdPdPS5_SB_mNS0_19identity_decomposerENS1_16block_id_wrapperIjLb0EEEEE10hipError_tT1_PNSt15iterator_traitsISG_E10value_typeET2_T3_PNSH_ISM_E10value_typeET4_T5_PSR_SS_PNS1_23onesweep_lookback_stateEbbT6_jjT7_P12ihipStream_tbENKUlT_T0_SG_SL_E_clIS9_SA_SB_SB_EEDaSZ_S10_SG_SL_EUlSZ_E_NS1_11comp_targetILNS1_3genE5ELNS1_11target_archE942ELNS1_3gpuE9ELNS1_3repE0EEENS1_47radix_sort_onesweep_sort_config_static_selectorELNS0_4arch9wavefront6targetE0EEEvSG_.has_indirect_call, 0
	.section	.AMDGPU.csdata,"",@progbits
; Kernel info:
; codeLenInByte = 0
; TotalNumSgprs: 0
; NumVgprs: 0
; ScratchSize: 0
; MemoryBound: 0
; FloatMode: 240
; IeeeMode: 1
; LDSByteSize: 0 bytes/workgroup (compile time only)
; SGPRBlocks: 0
; VGPRBlocks: 0
; NumSGPRsForWavesPerEU: 1
; NumVGPRsForWavesPerEU: 1
; NamedBarCnt: 0
; Occupancy: 16
; WaveLimiterHint : 0
; COMPUTE_PGM_RSRC2:SCRATCH_EN: 0
; COMPUTE_PGM_RSRC2:USER_SGPR: 2
; COMPUTE_PGM_RSRC2:TRAP_HANDLER: 0
; COMPUTE_PGM_RSRC2:TGID_X_EN: 1
; COMPUTE_PGM_RSRC2:TGID_Y_EN: 0
; COMPUTE_PGM_RSRC2:TGID_Z_EN: 0
; COMPUTE_PGM_RSRC2:TIDIG_COMP_CNT: 0
	.section	.text._ZN7rocprim17ROCPRIM_400000_NS6detail17trampoline_kernelINS0_14default_configENS1_35radix_sort_onesweep_config_selectorIdNS0_10empty_typeEEEZZNS1_29radix_sort_onesweep_iterationIS3_Lb1EPKdPdPS5_SB_mNS0_19identity_decomposerENS1_16block_id_wrapperIjLb0EEEEE10hipError_tT1_PNSt15iterator_traitsISG_E10value_typeET2_T3_PNSH_ISM_E10value_typeET4_T5_PSR_SS_PNS1_23onesweep_lookback_stateEbbT6_jjT7_P12ihipStream_tbENKUlT_T0_SG_SL_E_clIS9_SA_SB_SB_EEDaSZ_S10_SG_SL_EUlSZ_E_NS1_11comp_targetILNS1_3genE2ELNS1_11target_archE906ELNS1_3gpuE6ELNS1_3repE0EEENS1_47radix_sort_onesweep_sort_config_static_selectorELNS0_4arch9wavefront6targetE0EEEvSG_,"axG",@progbits,_ZN7rocprim17ROCPRIM_400000_NS6detail17trampoline_kernelINS0_14default_configENS1_35radix_sort_onesweep_config_selectorIdNS0_10empty_typeEEEZZNS1_29radix_sort_onesweep_iterationIS3_Lb1EPKdPdPS5_SB_mNS0_19identity_decomposerENS1_16block_id_wrapperIjLb0EEEEE10hipError_tT1_PNSt15iterator_traitsISG_E10value_typeET2_T3_PNSH_ISM_E10value_typeET4_T5_PSR_SS_PNS1_23onesweep_lookback_stateEbbT6_jjT7_P12ihipStream_tbENKUlT_T0_SG_SL_E_clIS9_SA_SB_SB_EEDaSZ_S10_SG_SL_EUlSZ_E_NS1_11comp_targetILNS1_3genE2ELNS1_11target_archE906ELNS1_3gpuE6ELNS1_3repE0EEENS1_47radix_sort_onesweep_sort_config_static_selectorELNS0_4arch9wavefront6targetE0EEEvSG_,comdat
	.protected	_ZN7rocprim17ROCPRIM_400000_NS6detail17trampoline_kernelINS0_14default_configENS1_35radix_sort_onesweep_config_selectorIdNS0_10empty_typeEEEZZNS1_29radix_sort_onesweep_iterationIS3_Lb1EPKdPdPS5_SB_mNS0_19identity_decomposerENS1_16block_id_wrapperIjLb0EEEEE10hipError_tT1_PNSt15iterator_traitsISG_E10value_typeET2_T3_PNSH_ISM_E10value_typeET4_T5_PSR_SS_PNS1_23onesweep_lookback_stateEbbT6_jjT7_P12ihipStream_tbENKUlT_T0_SG_SL_E_clIS9_SA_SB_SB_EEDaSZ_S10_SG_SL_EUlSZ_E_NS1_11comp_targetILNS1_3genE2ELNS1_11target_archE906ELNS1_3gpuE6ELNS1_3repE0EEENS1_47radix_sort_onesweep_sort_config_static_selectorELNS0_4arch9wavefront6targetE0EEEvSG_ ; -- Begin function _ZN7rocprim17ROCPRIM_400000_NS6detail17trampoline_kernelINS0_14default_configENS1_35radix_sort_onesweep_config_selectorIdNS0_10empty_typeEEEZZNS1_29radix_sort_onesweep_iterationIS3_Lb1EPKdPdPS5_SB_mNS0_19identity_decomposerENS1_16block_id_wrapperIjLb0EEEEE10hipError_tT1_PNSt15iterator_traitsISG_E10value_typeET2_T3_PNSH_ISM_E10value_typeET4_T5_PSR_SS_PNS1_23onesweep_lookback_stateEbbT6_jjT7_P12ihipStream_tbENKUlT_T0_SG_SL_E_clIS9_SA_SB_SB_EEDaSZ_S10_SG_SL_EUlSZ_E_NS1_11comp_targetILNS1_3genE2ELNS1_11target_archE906ELNS1_3gpuE6ELNS1_3repE0EEENS1_47radix_sort_onesweep_sort_config_static_selectorELNS0_4arch9wavefront6targetE0EEEvSG_
	.globl	_ZN7rocprim17ROCPRIM_400000_NS6detail17trampoline_kernelINS0_14default_configENS1_35radix_sort_onesweep_config_selectorIdNS0_10empty_typeEEEZZNS1_29radix_sort_onesweep_iterationIS3_Lb1EPKdPdPS5_SB_mNS0_19identity_decomposerENS1_16block_id_wrapperIjLb0EEEEE10hipError_tT1_PNSt15iterator_traitsISG_E10value_typeET2_T3_PNSH_ISM_E10value_typeET4_T5_PSR_SS_PNS1_23onesweep_lookback_stateEbbT6_jjT7_P12ihipStream_tbENKUlT_T0_SG_SL_E_clIS9_SA_SB_SB_EEDaSZ_S10_SG_SL_EUlSZ_E_NS1_11comp_targetILNS1_3genE2ELNS1_11target_archE906ELNS1_3gpuE6ELNS1_3repE0EEENS1_47radix_sort_onesweep_sort_config_static_selectorELNS0_4arch9wavefront6targetE0EEEvSG_
	.p2align	8
	.type	_ZN7rocprim17ROCPRIM_400000_NS6detail17trampoline_kernelINS0_14default_configENS1_35radix_sort_onesweep_config_selectorIdNS0_10empty_typeEEEZZNS1_29radix_sort_onesweep_iterationIS3_Lb1EPKdPdPS5_SB_mNS0_19identity_decomposerENS1_16block_id_wrapperIjLb0EEEEE10hipError_tT1_PNSt15iterator_traitsISG_E10value_typeET2_T3_PNSH_ISM_E10value_typeET4_T5_PSR_SS_PNS1_23onesweep_lookback_stateEbbT6_jjT7_P12ihipStream_tbENKUlT_T0_SG_SL_E_clIS9_SA_SB_SB_EEDaSZ_S10_SG_SL_EUlSZ_E_NS1_11comp_targetILNS1_3genE2ELNS1_11target_archE906ELNS1_3gpuE6ELNS1_3repE0EEENS1_47radix_sort_onesweep_sort_config_static_selectorELNS0_4arch9wavefront6targetE0EEEvSG_,@function
_ZN7rocprim17ROCPRIM_400000_NS6detail17trampoline_kernelINS0_14default_configENS1_35radix_sort_onesweep_config_selectorIdNS0_10empty_typeEEEZZNS1_29radix_sort_onesweep_iterationIS3_Lb1EPKdPdPS5_SB_mNS0_19identity_decomposerENS1_16block_id_wrapperIjLb0EEEEE10hipError_tT1_PNSt15iterator_traitsISG_E10value_typeET2_T3_PNSH_ISM_E10value_typeET4_T5_PSR_SS_PNS1_23onesweep_lookback_stateEbbT6_jjT7_P12ihipStream_tbENKUlT_T0_SG_SL_E_clIS9_SA_SB_SB_EEDaSZ_S10_SG_SL_EUlSZ_E_NS1_11comp_targetILNS1_3genE2ELNS1_11target_archE906ELNS1_3gpuE6ELNS1_3repE0EEENS1_47radix_sort_onesweep_sort_config_static_selectorELNS0_4arch9wavefront6targetE0EEEvSG_: ; @_ZN7rocprim17ROCPRIM_400000_NS6detail17trampoline_kernelINS0_14default_configENS1_35radix_sort_onesweep_config_selectorIdNS0_10empty_typeEEEZZNS1_29radix_sort_onesweep_iterationIS3_Lb1EPKdPdPS5_SB_mNS0_19identity_decomposerENS1_16block_id_wrapperIjLb0EEEEE10hipError_tT1_PNSt15iterator_traitsISG_E10value_typeET2_T3_PNSH_ISM_E10value_typeET4_T5_PSR_SS_PNS1_23onesweep_lookback_stateEbbT6_jjT7_P12ihipStream_tbENKUlT_T0_SG_SL_E_clIS9_SA_SB_SB_EEDaSZ_S10_SG_SL_EUlSZ_E_NS1_11comp_targetILNS1_3genE2ELNS1_11target_archE906ELNS1_3gpuE6ELNS1_3repE0EEENS1_47radix_sort_onesweep_sort_config_static_selectorELNS0_4arch9wavefront6targetE0EEEvSG_
; %bb.0:
	.section	.rodata,"a",@progbits
	.p2align	6, 0x0
	.amdhsa_kernel _ZN7rocprim17ROCPRIM_400000_NS6detail17trampoline_kernelINS0_14default_configENS1_35radix_sort_onesweep_config_selectorIdNS0_10empty_typeEEEZZNS1_29radix_sort_onesweep_iterationIS3_Lb1EPKdPdPS5_SB_mNS0_19identity_decomposerENS1_16block_id_wrapperIjLb0EEEEE10hipError_tT1_PNSt15iterator_traitsISG_E10value_typeET2_T3_PNSH_ISM_E10value_typeET4_T5_PSR_SS_PNS1_23onesweep_lookback_stateEbbT6_jjT7_P12ihipStream_tbENKUlT_T0_SG_SL_E_clIS9_SA_SB_SB_EEDaSZ_S10_SG_SL_EUlSZ_E_NS1_11comp_targetILNS1_3genE2ELNS1_11target_archE906ELNS1_3gpuE6ELNS1_3repE0EEENS1_47radix_sort_onesweep_sort_config_static_selectorELNS0_4arch9wavefront6targetE0EEEvSG_
		.amdhsa_group_segment_fixed_size 0
		.amdhsa_private_segment_fixed_size 0
		.amdhsa_kernarg_size 88
		.amdhsa_user_sgpr_count 2
		.amdhsa_user_sgpr_dispatch_ptr 0
		.amdhsa_user_sgpr_queue_ptr 0
		.amdhsa_user_sgpr_kernarg_segment_ptr 1
		.amdhsa_user_sgpr_dispatch_id 0
		.amdhsa_user_sgpr_kernarg_preload_length 0
		.amdhsa_user_sgpr_kernarg_preload_offset 0
		.amdhsa_user_sgpr_private_segment_size 0
		.amdhsa_wavefront_size32 1
		.amdhsa_uses_dynamic_stack 0
		.amdhsa_enable_private_segment 0
		.amdhsa_system_sgpr_workgroup_id_x 1
		.amdhsa_system_sgpr_workgroup_id_y 0
		.amdhsa_system_sgpr_workgroup_id_z 0
		.amdhsa_system_sgpr_workgroup_info 0
		.amdhsa_system_vgpr_workitem_id 0
		.amdhsa_next_free_vgpr 1
		.amdhsa_next_free_sgpr 1
		.amdhsa_named_barrier_count 0
		.amdhsa_reserve_vcc 0
		.amdhsa_float_round_mode_32 0
		.amdhsa_float_round_mode_16_64 0
		.amdhsa_float_denorm_mode_32 3
		.amdhsa_float_denorm_mode_16_64 3
		.amdhsa_fp16_overflow 0
		.amdhsa_memory_ordered 1
		.amdhsa_forward_progress 1
		.amdhsa_inst_pref_size 0
		.amdhsa_round_robin_scheduling 0
		.amdhsa_exception_fp_ieee_invalid_op 0
		.amdhsa_exception_fp_denorm_src 0
		.amdhsa_exception_fp_ieee_div_zero 0
		.amdhsa_exception_fp_ieee_overflow 0
		.amdhsa_exception_fp_ieee_underflow 0
		.amdhsa_exception_fp_ieee_inexact 0
		.amdhsa_exception_int_div_zero 0
	.end_amdhsa_kernel
	.section	.text._ZN7rocprim17ROCPRIM_400000_NS6detail17trampoline_kernelINS0_14default_configENS1_35radix_sort_onesweep_config_selectorIdNS0_10empty_typeEEEZZNS1_29radix_sort_onesweep_iterationIS3_Lb1EPKdPdPS5_SB_mNS0_19identity_decomposerENS1_16block_id_wrapperIjLb0EEEEE10hipError_tT1_PNSt15iterator_traitsISG_E10value_typeET2_T3_PNSH_ISM_E10value_typeET4_T5_PSR_SS_PNS1_23onesweep_lookback_stateEbbT6_jjT7_P12ihipStream_tbENKUlT_T0_SG_SL_E_clIS9_SA_SB_SB_EEDaSZ_S10_SG_SL_EUlSZ_E_NS1_11comp_targetILNS1_3genE2ELNS1_11target_archE906ELNS1_3gpuE6ELNS1_3repE0EEENS1_47radix_sort_onesweep_sort_config_static_selectorELNS0_4arch9wavefront6targetE0EEEvSG_,"axG",@progbits,_ZN7rocprim17ROCPRIM_400000_NS6detail17trampoline_kernelINS0_14default_configENS1_35radix_sort_onesweep_config_selectorIdNS0_10empty_typeEEEZZNS1_29radix_sort_onesweep_iterationIS3_Lb1EPKdPdPS5_SB_mNS0_19identity_decomposerENS1_16block_id_wrapperIjLb0EEEEE10hipError_tT1_PNSt15iterator_traitsISG_E10value_typeET2_T3_PNSH_ISM_E10value_typeET4_T5_PSR_SS_PNS1_23onesweep_lookback_stateEbbT6_jjT7_P12ihipStream_tbENKUlT_T0_SG_SL_E_clIS9_SA_SB_SB_EEDaSZ_S10_SG_SL_EUlSZ_E_NS1_11comp_targetILNS1_3genE2ELNS1_11target_archE906ELNS1_3gpuE6ELNS1_3repE0EEENS1_47radix_sort_onesweep_sort_config_static_selectorELNS0_4arch9wavefront6targetE0EEEvSG_,comdat
.Lfunc_end1539:
	.size	_ZN7rocprim17ROCPRIM_400000_NS6detail17trampoline_kernelINS0_14default_configENS1_35radix_sort_onesweep_config_selectorIdNS0_10empty_typeEEEZZNS1_29radix_sort_onesweep_iterationIS3_Lb1EPKdPdPS5_SB_mNS0_19identity_decomposerENS1_16block_id_wrapperIjLb0EEEEE10hipError_tT1_PNSt15iterator_traitsISG_E10value_typeET2_T3_PNSH_ISM_E10value_typeET4_T5_PSR_SS_PNS1_23onesweep_lookback_stateEbbT6_jjT7_P12ihipStream_tbENKUlT_T0_SG_SL_E_clIS9_SA_SB_SB_EEDaSZ_S10_SG_SL_EUlSZ_E_NS1_11comp_targetILNS1_3genE2ELNS1_11target_archE906ELNS1_3gpuE6ELNS1_3repE0EEENS1_47radix_sort_onesweep_sort_config_static_selectorELNS0_4arch9wavefront6targetE0EEEvSG_, .Lfunc_end1539-_ZN7rocprim17ROCPRIM_400000_NS6detail17trampoline_kernelINS0_14default_configENS1_35radix_sort_onesweep_config_selectorIdNS0_10empty_typeEEEZZNS1_29radix_sort_onesweep_iterationIS3_Lb1EPKdPdPS5_SB_mNS0_19identity_decomposerENS1_16block_id_wrapperIjLb0EEEEE10hipError_tT1_PNSt15iterator_traitsISG_E10value_typeET2_T3_PNSH_ISM_E10value_typeET4_T5_PSR_SS_PNS1_23onesweep_lookback_stateEbbT6_jjT7_P12ihipStream_tbENKUlT_T0_SG_SL_E_clIS9_SA_SB_SB_EEDaSZ_S10_SG_SL_EUlSZ_E_NS1_11comp_targetILNS1_3genE2ELNS1_11target_archE906ELNS1_3gpuE6ELNS1_3repE0EEENS1_47radix_sort_onesweep_sort_config_static_selectorELNS0_4arch9wavefront6targetE0EEEvSG_
                                        ; -- End function
	.set _ZN7rocprim17ROCPRIM_400000_NS6detail17trampoline_kernelINS0_14default_configENS1_35radix_sort_onesweep_config_selectorIdNS0_10empty_typeEEEZZNS1_29radix_sort_onesweep_iterationIS3_Lb1EPKdPdPS5_SB_mNS0_19identity_decomposerENS1_16block_id_wrapperIjLb0EEEEE10hipError_tT1_PNSt15iterator_traitsISG_E10value_typeET2_T3_PNSH_ISM_E10value_typeET4_T5_PSR_SS_PNS1_23onesweep_lookback_stateEbbT6_jjT7_P12ihipStream_tbENKUlT_T0_SG_SL_E_clIS9_SA_SB_SB_EEDaSZ_S10_SG_SL_EUlSZ_E_NS1_11comp_targetILNS1_3genE2ELNS1_11target_archE906ELNS1_3gpuE6ELNS1_3repE0EEENS1_47radix_sort_onesweep_sort_config_static_selectorELNS0_4arch9wavefront6targetE0EEEvSG_.num_vgpr, 0
	.set _ZN7rocprim17ROCPRIM_400000_NS6detail17trampoline_kernelINS0_14default_configENS1_35radix_sort_onesweep_config_selectorIdNS0_10empty_typeEEEZZNS1_29radix_sort_onesweep_iterationIS3_Lb1EPKdPdPS5_SB_mNS0_19identity_decomposerENS1_16block_id_wrapperIjLb0EEEEE10hipError_tT1_PNSt15iterator_traitsISG_E10value_typeET2_T3_PNSH_ISM_E10value_typeET4_T5_PSR_SS_PNS1_23onesweep_lookback_stateEbbT6_jjT7_P12ihipStream_tbENKUlT_T0_SG_SL_E_clIS9_SA_SB_SB_EEDaSZ_S10_SG_SL_EUlSZ_E_NS1_11comp_targetILNS1_3genE2ELNS1_11target_archE906ELNS1_3gpuE6ELNS1_3repE0EEENS1_47radix_sort_onesweep_sort_config_static_selectorELNS0_4arch9wavefront6targetE0EEEvSG_.num_agpr, 0
	.set _ZN7rocprim17ROCPRIM_400000_NS6detail17trampoline_kernelINS0_14default_configENS1_35radix_sort_onesweep_config_selectorIdNS0_10empty_typeEEEZZNS1_29radix_sort_onesweep_iterationIS3_Lb1EPKdPdPS5_SB_mNS0_19identity_decomposerENS1_16block_id_wrapperIjLb0EEEEE10hipError_tT1_PNSt15iterator_traitsISG_E10value_typeET2_T3_PNSH_ISM_E10value_typeET4_T5_PSR_SS_PNS1_23onesweep_lookback_stateEbbT6_jjT7_P12ihipStream_tbENKUlT_T0_SG_SL_E_clIS9_SA_SB_SB_EEDaSZ_S10_SG_SL_EUlSZ_E_NS1_11comp_targetILNS1_3genE2ELNS1_11target_archE906ELNS1_3gpuE6ELNS1_3repE0EEENS1_47radix_sort_onesweep_sort_config_static_selectorELNS0_4arch9wavefront6targetE0EEEvSG_.numbered_sgpr, 0
	.set _ZN7rocprim17ROCPRIM_400000_NS6detail17trampoline_kernelINS0_14default_configENS1_35radix_sort_onesweep_config_selectorIdNS0_10empty_typeEEEZZNS1_29radix_sort_onesweep_iterationIS3_Lb1EPKdPdPS5_SB_mNS0_19identity_decomposerENS1_16block_id_wrapperIjLb0EEEEE10hipError_tT1_PNSt15iterator_traitsISG_E10value_typeET2_T3_PNSH_ISM_E10value_typeET4_T5_PSR_SS_PNS1_23onesweep_lookback_stateEbbT6_jjT7_P12ihipStream_tbENKUlT_T0_SG_SL_E_clIS9_SA_SB_SB_EEDaSZ_S10_SG_SL_EUlSZ_E_NS1_11comp_targetILNS1_3genE2ELNS1_11target_archE906ELNS1_3gpuE6ELNS1_3repE0EEENS1_47radix_sort_onesweep_sort_config_static_selectorELNS0_4arch9wavefront6targetE0EEEvSG_.num_named_barrier, 0
	.set _ZN7rocprim17ROCPRIM_400000_NS6detail17trampoline_kernelINS0_14default_configENS1_35radix_sort_onesweep_config_selectorIdNS0_10empty_typeEEEZZNS1_29radix_sort_onesweep_iterationIS3_Lb1EPKdPdPS5_SB_mNS0_19identity_decomposerENS1_16block_id_wrapperIjLb0EEEEE10hipError_tT1_PNSt15iterator_traitsISG_E10value_typeET2_T3_PNSH_ISM_E10value_typeET4_T5_PSR_SS_PNS1_23onesweep_lookback_stateEbbT6_jjT7_P12ihipStream_tbENKUlT_T0_SG_SL_E_clIS9_SA_SB_SB_EEDaSZ_S10_SG_SL_EUlSZ_E_NS1_11comp_targetILNS1_3genE2ELNS1_11target_archE906ELNS1_3gpuE6ELNS1_3repE0EEENS1_47radix_sort_onesweep_sort_config_static_selectorELNS0_4arch9wavefront6targetE0EEEvSG_.private_seg_size, 0
	.set _ZN7rocprim17ROCPRIM_400000_NS6detail17trampoline_kernelINS0_14default_configENS1_35radix_sort_onesweep_config_selectorIdNS0_10empty_typeEEEZZNS1_29radix_sort_onesweep_iterationIS3_Lb1EPKdPdPS5_SB_mNS0_19identity_decomposerENS1_16block_id_wrapperIjLb0EEEEE10hipError_tT1_PNSt15iterator_traitsISG_E10value_typeET2_T3_PNSH_ISM_E10value_typeET4_T5_PSR_SS_PNS1_23onesweep_lookback_stateEbbT6_jjT7_P12ihipStream_tbENKUlT_T0_SG_SL_E_clIS9_SA_SB_SB_EEDaSZ_S10_SG_SL_EUlSZ_E_NS1_11comp_targetILNS1_3genE2ELNS1_11target_archE906ELNS1_3gpuE6ELNS1_3repE0EEENS1_47radix_sort_onesweep_sort_config_static_selectorELNS0_4arch9wavefront6targetE0EEEvSG_.uses_vcc, 0
	.set _ZN7rocprim17ROCPRIM_400000_NS6detail17trampoline_kernelINS0_14default_configENS1_35radix_sort_onesweep_config_selectorIdNS0_10empty_typeEEEZZNS1_29radix_sort_onesweep_iterationIS3_Lb1EPKdPdPS5_SB_mNS0_19identity_decomposerENS1_16block_id_wrapperIjLb0EEEEE10hipError_tT1_PNSt15iterator_traitsISG_E10value_typeET2_T3_PNSH_ISM_E10value_typeET4_T5_PSR_SS_PNS1_23onesweep_lookback_stateEbbT6_jjT7_P12ihipStream_tbENKUlT_T0_SG_SL_E_clIS9_SA_SB_SB_EEDaSZ_S10_SG_SL_EUlSZ_E_NS1_11comp_targetILNS1_3genE2ELNS1_11target_archE906ELNS1_3gpuE6ELNS1_3repE0EEENS1_47radix_sort_onesweep_sort_config_static_selectorELNS0_4arch9wavefront6targetE0EEEvSG_.uses_flat_scratch, 0
	.set _ZN7rocprim17ROCPRIM_400000_NS6detail17trampoline_kernelINS0_14default_configENS1_35radix_sort_onesweep_config_selectorIdNS0_10empty_typeEEEZZNS1_29radix_sort_onesweep_iterationIS3_Lb1EPKdPdPS5_SB_mNS0_19identity_decomposerENS1_16block_id_wrapperIjLb0EEEEE10hipError_tT1_PNSt15iterator_traitsISG_E10value_typeET2_T3_PNSH_ISM_E10value_typeET4_T5_PSR_SS_PNS1_23onesweep_lookback_stateEbbT6_jjT7_P12ihipStream_tbENKUlT_T0_SG_SL_E_clIS9_SA_SB_SB_EEDaSZ_S10_SG_SL_EUlSZ_E_NS1_11comp_targetILNS1_3genE2ELNS1_11target_archE906ELNS1_3gpuE6ELNS1_3repE0EEENS1_47radix_sort_onesweep_sort_config_static_selectorELNS0_4arch9wavefront6targetE0EEEvSG_.has_dyn_sized_stack, 0
	.set _ZN7rocprim17ROCPRIM_400000_NS6detail17trampoline_kernelINS0_14default_configENS1_35radix_sort_onesweep_config_selectorIdNS0_10empty_typeEEEZZNS1_29radix_sort_onesweep_iterationIS3_Lb1EPKdPdPS5_SB_mNS0_19identity_decomposerENS1_16block_id_wrapperIjLb0EEEEE10hipError_tT1_PNSt15iterator_traitsISG_E10value_typeET2_T3_PNSH_ISM_E10value_typeET4_T5_PSR_SS_PNS1_23onesweep_lookback_stateEbbT6_jjT7_P12ihipStream_tbENKUlT_T0_SG_SL_E_clIS9_SA_SB_SB_EEDaSZ_S10_SG_SL_EUlSZ_E_NS1_11comp_targetILNS1_3genE2ELNS1_11target_archE906ELNS1_3gpuE6ELNS1_3repE0EEENS1_47radix_sort_onesweep_sort_config_static_selectorELNS0_4arch9wavefront6targetE0EEEvSG_.has_recursion, 0
	.set _ZN7rocprim17ROCPRIM_400000_NS6detail17trampoline_kernelINS0_14default_configENS1_35radix_sort_onesweep_config_selectorIdNS0_10empty_typeEEEZZNS1_29radix_sort_onesweep_iterationIS3_Lb1EPKdPdPS5_SB_mNS0_19identity_decomposerENS1_16block_id_wrapperIjLb0EEEEE10hipError_tT1_PNSt15iterator_traitsISG_E10value_typeET2_T3_PNSH_ISM_E10value_typeET4_T5_PSR_SS_PNS1_23onesweep_lookback_stateEbbT6_jjT7_P12ihipStream_tbENKUlT_T0_SG_SL_E_clIS9_SA_SB_SB_EEDaSZ_S10_SG_SL_EUlSZ_E_NS1_11comp_targetILNS1_3genE2ELNS1_11target_archE906ELNS1_3gpuE6ELNS1_3repE0EEENS1_47radix_sort_onesweep_sort_config_static_selectorELNS0_4arch9wavefront6targetE0EEEvSG_.has_indirect_call, 0
	.section	.AMDGPU.csdata,"",@progbits
; Kernel info:
; codeLenInByte = 0
; TotalNumSgprs: 0
; NumVgprs: 0
; ScratchSize: 0
; MemoryBound: 0
; FloatMode: 240
; IeeeMode: 1
; LDSByteSize: 0 bytes/workgroup (compile time only)
; SGPRBlocks: 0
; VGPRBlocks: 0
; NumSGPRsForWavesPerEU: 1
; NumVGPRsForWavesPerEU: 1
; NamedBarCnt: 0
; Occupancy: 16
; WaveLimiterHint : 0
; COMPUTE_PGM_RSRC2:SCRATCH_EN: 0
; COMPUTE_PGM_RSRC2:USER_SGPR: 2
; COMPUTE_PGM_RSRC2:TRAP_HANDLER: 0
; COMPUTE_PGM_RSRC2:TGID_X_EN: 1
; COMPUTE_PGM_RSRC2:TGID_Y_EN: 0
; COMPUTE_PGM_RSRC2:TGID_Z_EN: 0
; COMPUTE_PGM_RSRC2:TIDIG_COMP_CNT: 0
	.section	.text._ZN7rocprim17ROCPRIM_400000_NS6detail17trampoline_kernelINS0_14default_configENS1_35radix_sort_onesweep_config_selectorIdNS0_10empty_typeEEEZZNS1_29radix_sort_onesweep_iterationIS3_Lb1EPKdPdPS5_SB_mNS0_19identity_decomposerENS1_16block_id_wrapperIjLb0EEEEE10hipError_tT1_PNSt15iterator_traitsISG_E10value_typeET2_T3_PNSH_ISM_E10value_typeET4_T5_PSR_SS_PNS1_23onesweep_lookback_stateEbbT6_jjT7_P12ihipStream_tbENKUlT_T0_SG_SL_E_clIS9_SA_SB_SB_EEDaSZ_S10_SG_SL_EUlSZ_E_NS1_11comp_targetILNS1_3genE4ELNS1_11target_archE910ELNS1_3gpuE8ELNS1_3repE0EEENS1_47radix_sort_onesweep_sort_config_static_selectorELNS0_4arch9wavefront6targetE0EEEvSG_,"axG",@progbits,_ZN7rocprim17ROCPRIM_400000_NS6detail17trampoline_kernelINS0_14default_configENS1_35radix_sort_onesweep_config_selectorIdNS0_10empty_typeEEEZZNS1_29radix_sort_onesweep_iterationIS3_Lb1EPKdPdPS5_SB_mNS0_19identity_decomposerENS1_16block_id_wrapperIjLb0EEEEE10hipError_tT1_PNSt15iterator_traitsISG_E10value_typeET2_T3_PNSH_ISM_E10value_typeET4_T5_PSR_SS_PNS1_23onesweep_lookback_stateEbbT6_jjT7_P12ihipStream_tbENKUlT_T0_SG_SL_E_clIS9_SA_SB_SB_EEDaSZ_S10_SG_SL_EUlSZ_E_NS1_11comp_targetILNS1_3genE4ELNS1_11target_archE910ELNS1_3gpuE8ELNS1_3repE0EEENS1_47radix_sort_onesweep_sort_config_static_selectorELNS0_4arch9wavefront6targetE0EEEvSG_,comdat
	.protected	_ZN7rocprim17ROCPRIM_400000_NS6detail17trampoline_kernelINS0_14default_configENS1_35radix_sort_onesweep_config_selectorIdNS0_10empty_typeEEEZZNS1_29radix_sort_onesweep_iterationIS3_Lb1EPKdPdPS5_SB_mNS0_19identity_decomposerENS1_16block_id_wrapperIjLb0EEEEE10hipError_tT1_PNSt15iterator_traitsISG_E10value_typeET2_T3_PNSH_ISM_E10value_typeET4_T5_PSR_SS_PNS1_23onesweep_lookback_stateEbbT6_jjT7_P12ihipStream_tbENKUlT_T0_SG_SL_E_clIS9_SA_SB_SB_EEDaSZ_S10_SG_SL_EUlSZ_E_NS1_11comp_targetILNS1_3genE4ELNS1_11target_archE910ELNS1_3gpuE8ELNS1_3repE0EEENS1_47radix_sort_onesweep_sort_config_static_selectorELNS0_4arch9wavefront6targetE0EEEvSG_ ; -- Begin function _ZN7rocprim17ROCPRIM_400000_NS6detail17trampoline_kernelINS0_14default_configENS1_35radix_sort_onesweep_config_selectorIdNS0_10empty_typeEEEZZNS1_29radix_sort_onesweep_iterationIS3_Lb1EPKdPdPS5_SB_mNS0_19identity_decomposerENS1_16block_id_wrapperIjLb0EEEEE10hipError_tT1_PNSt15iterator_traitsISG_E10value_typeET2_T3_PNSH_ISM_E10value_typeET4_T5_PSR_SS_PNS1_23onesweep_lookback_stateEbbT6_jjT7_P12ihipStream_tbENKUlT_T0_SG_SL_E_clIS9_SA_SB_SB_EEDaSZ_S10_SG_SL_EUlSZ_E_NS1_11comp_targetILNS1_3genE4ELNS1_11target_archE910ELNS1_3gpuE8ELNS1_3repE0EEENS1_47radix_sort_onesweep_sort_config_static_selectorELNS0_4arch9wavefront6targetE0EEEvSG_
	.globl	_ZN7rocprim17ROCPRIM_400000_NS6detail17trampoline_kernelINS0_14default_configENS1_35radix_sort_onesweep_config_selectorIdNS0_10empty_typeEEEZZNS1_29radix_sort_onesweep_iterationIS3_Lb1EPKdPdPS5_SB_mNS0_19identity_decomposerENS1_16block_id_wrapperIjLb0EEEEE10hipError_tT1_PNSt15iterator_traitsISG_E10value_typeET2_T3_PNSH_ISM_E10value_typeET4_T5_PSR_SS_PNS1_23onesweep_lookback_stateEbbT6_jjT7_P12ihipStream_tbENKUlT_T0_SG_SL_E_clIS9_SA_SB_SB_EEDaSZ_S10_SG_SL_EUlSZ_E_NS1_11comp_targetILNS1_3genE4ELNS1_11target_archE910ELNS1_3gpuE8ELNS1_3repE0EEENS1_47radix_sort_onesweep_sort_config_static_selectorELNS0_4arch9wavefront6targetE0EEEvSG_
	.p2align	8
	.type	_ZN7rocprim17ROCPRIM_400000_NS6detail17trampoline_kernelINS0_14default_configENS1_35radix_sort_onesweep_config_selectorIdNS0_10empty_typeEEEZZNS1_29radix_sort_onesweep_iterationIS3_Lb1EPKdPdPS5_SB_mNS0_19identity_decomposerENS1_16block_id_wrapperIjLb0EEEEE10hipError_tT1_PNSt15iterator_traitsISG_E10value_typeET2_T3_PNSH_ISM_E10value_typeET4_T5_PSR_SS_PNS1_23onesweep_lookback_stateEbbT6_jjT7_P12ihipStream_tbENKUlT_T0_SG_SL_E_clIS9_SA_SB_SB_EEDaSZ_S10_SG_SL_EUlSZ_E_NS1_11comp_targetILNS1_3genE4ELNS1_11target_archE910ELNS1_3gpuE8ELNS1_3repE0EEENS1_47radix_sort_onesweep_sort_config_static_selectorELNS0_4arch9wavefront6targetE0EEEvSG_,@function
_ZN7rocprim17ROCPRIM_400000_NS6detail17trampoline_kernelINS0_14default_configENS1_35radix_sort_onesweep_config_selectorIdNS0_10empty_typeEEEZZNS1_29radix_sort_onesweep_iterationIS3_Lb1EPKdPdPS5_SB_mNS0_19identity_decomposerENS1_16block_id_wrapperIjLb0EEEEE10hipError_tT1_PNSt15iterator_traitsISG_E10value_typeET2_T3_PNSH_ISM_E10value_typeET4_T5_PSR_SS_PNS1_23onesweep_lookback_stateEbbT6_jjT7_P12ihipStream_tbENKUlT_T0_SG_SL_E_clIS9_SA_SB_SB_EEDaSZ_S10_SG_SL_EUlSZ_E_NS1_11comp_targetILNS1_3genE4ELNS1_11target_archE910ELNS1_3gpuE8ELNS1_3repE0EEENS1_47radix_sort_onesweep_sort_config_static_selectorELNS0_4arch9wavefront6targetE0EEEvSG_: ; @_ZN7rocprim17ROCPRIM_400000_NS6detail17trampoline_kernelINS0_14default_configENS1_35radix_sort_onesweep_config_selectorIdNS0_10empty_typeEEEZZNS1_29radix_sort_onesweep_iterationIS3_Lb1EPKdPdPS5_SB_mNS0_19identity_decomposerENS1_16block_id_wrapperIjLb0EEEEE10hipError_tT1_PNSt15iterator_traitsISG_E10value_typeET2_T3_PNSH_ISM_E10value_typeET4_T5_PSR_SS_PNS1_23onesweep_lookback_stateEbbT6_jjT7_P12ihipStream_tbENKUlT_T0_SG_SL_E_clIS9_SA_SB_SB_EEDaSZ_S10_SG_SL_EUlSZ_E_NS1_11comp_targetILNS1_3genE4ELNS1_11target_archE910ELNS1_3gpuE8ELNS1_3repE0EEENS1_47radix_sort_onesweep_sort_config_static_selectorELNS0_4arch9wavefront6targetE0EEEvSG_
; %bb.0:
	.section	.rodata,"a",@progbits
	.p2align	6, 0x0
	.amdhsa_kernel _ZN7rocprim17ROCPRIM_400000_NS6detail17trampoline_kernelINS0_14default_configENS1_35radix_sort_onesweep_config_selectorIdNS0_10empty_typeEEEZZNS1_29radix_sort_onesweep_iterationIS3_Lb1EPKdPdPS5_SB_mNS0_19identity_decomposerENS1_16block_id_wrapperIjLb0EEEEE10hipError_tT1_PNSt15iterator_traitsISG_E10value_typeET2_T3_PNSH_ISM_E10value_typeET4_T5_PSR_SS_PNS1_23onesweep_lookback_stateEbbT6_jjT7_P12ihipStream_tbENKUlT_T0_SG_SL_E_clIS9_SA_SB_SB_EEDaSZ_S10_SG_SL_EUlSZ_E_NS1_11comp_targetILNS1_3genE4ELNS1_11target_archE910ELNS1_3gpuE8ELNS1_3repE0EEENS1_47radix_sort_onesweep_sort_config_static_selectorELNS0_4arch9wavefront6targetE0EEEvSG_
		.amdhsa_group_segment_fixed_size 0
		.amdhsa_private_segment_fixed_size 0
		.amdhsa_kernarg_size 88
		.amdhsa_user_sgpr_count 2
		.amdhsa_user_sgpr_dispatch_ptr 0
		.amdhsa_user_sgpr_queue_ptr 0
		.amdhsa_user_sgpr_kernarg_segment_ptr 1
		.amdhsa_user_sgpr_dispatch_id 0
		.amdhsa_user_sgpr_kernarg_preload_length 0
		.amdhsa_user_sgpr_kernarg_preload_offset 0
		.amdhsa_user_sgpr_private_segment_size 0
		.amdhsa_wavefront_size32 1
		.amdhsa_uses_dynamic_stack 0
		.amdhsa_enable_private_segment 0
		.amdhsa_system_sgpr_workgroup_id_x 1
		.amdhsa_system_sgpr_workgroup_id_y 0
		.amdhsa_system_sgpr_workgroup_id_z 0
		.amdhsa_system_sgpr_workgroup_info 0
		.amdhsa_system_vgpr_workitem_id 0
		.amdhsa_next_free_vgpr 1
		.amdhsa_next_free_sgpr 1
		.amdhsa_named_barrier_count 0
		.amdhsa_reserve_vcc 0
		.amdhsa_float_round_mode_32 0
		.amdhsa_float_round_mode_16_64 0
		.amdhsa_float_denorm_mode_32 3
		.amdhsa_float_denorm_mode_16_64 3
		.amdhsa_fp16_overflow 0
		.amdhsa_memory_ordered 1
		.amdhsa_forward_progress 1
		.amdhsa_inst_pref_size 0
		.amdhsa_round_robin_scheduling 0
		.amdhsa_exception_fp_ieee_invalid_op 0
		.amdhsa_exception_fp_denorm_src 0
		.amdhsa_exception_fp_ieee_div_zero 0
		.amdhsa_exception_fp_ieee_overflow 0
		.amdhsa_exception_fp_ieee_underflow 0
		.amdhsa_exception_fp_ieee_inexact 0
		.amdhsa_exception_int_div_zero 0
	.end_amdhsa_kernel
	.section	.text._ZN7rocprim17ROCPRIM_400000_NS6detail17trampoline_kernelINS0_14default_configENS1_35radix_sort_onesweep_config_selectorIdNS0_10empty_typeEEEZZNS1_29radix_sort_onesweep_iterationIS3_Lb1EPKdPdPS5_SB_mNS0_19identity_decomposerENS1_16block_id_wrapperIjLb0EEEEE10hipError_tT1_PNSt15iterator_traitsISG_E10value_typeET2_T3_PNSH_ISM_E10value_typeET4_T5_PSR_SS_PNS1_23onesweep_lookback_stateEbbT6_jjT7_P12ihipStream_tbENKUlT_T0_SG_SL_E_clIS9_SA_SB_SB_EEDaSZ_S10_SG_SL_EUlSZ_E_NS1_11comp_targetILNS1_3genE4ELNS1_11target_archE910ELNS1_3gpuE8ELNS1_3repE0EEENS1_47radix_sort_onesweep_sort_config_static_selectorELNS0_4arch9wavefront6targetE0EEEvSG_,"axG",@progbits,_ZN7rocprim17ROCPRIM_400000_NS6detail17trampoline_kernelINS0_14default_configENS1_35radix_sort_onesweep_config_selectorIdNS0_10empty_typeEEEZZNS1_29radix_sort_onesweep_iterationIS3_Lb1EPKdPdPS5_SB_mNS0_19identity_decomposerENS1_16block_id_wrapperIjLb0EEEEE10hipError_tT1_PNSt15iterator_traitsISG_E10value_typeET2_T3_PNSH_ISM_E10value_typeET4_T5_PSR_SS_PNS1_23onesweep_lookback_stateEbbT6_jjT7_P12ihipStream_tbENKUlT_T0_SG_SL_E_clIS9_SA_SB_SB_EEDaSZ_S10_SG_SL_EUlSZ_E_NS1_11comp_targetILNS1_3genE4ELNS1_11target_archE910ELNS1_3gpuE8ELNS1_3repE0EEENS1_47radix_sort_onesweep_sort_config_static_selectorELNS0_4arch9wavefront6targetE0EEEvSG_,comdat
.Lfunc_end1540:
	.size	_ZN7rocprim17ROCPRIM_400000_NS6detail17trampoline_kernelINS0_14default_configENS1_35radix_sort_onesweep_config_selectorIdNS0_10empty_typeEEEZZNS1_29radix_sort_onesweep_iterationIS3_Lb1EPKdPdPS5_SB_mNS0_19identity_decomposerENS1_16block_id_wrapperIjLb0EEEEE10hipError_tT1_PNSt15iterator_traitsISG_E10value_typeET2_T3_PNSH_ISM_E10value_typeET4_T5_PSR_SS_PNS1_23onesweep_lookback_stateEbbT6_jjT7_P12ihipStream_tbENKUlT_T0_SG_SL_E_clIS9_SA_SB_SB_EEDaSZ_S10_SG_SL_EUlSZ_E_NS1_11comp_targetILNS1_3genE4ELNS1_11target_archE910ELNS1_3gpuE8ELNS1_3repE0EEENS1_47radix_sort_onesweep_sort_config_static_selectorELNS0_4arch9wavefront6targetE0EEEvSG_, .Lfunc_end1540-_ZN7rocprim17ROCPRIM_400000_NS6detail17trampoline_kernelINS0_14default_configENS1_35radix_sort_onesweep_config_selectorIdNS0_10empty_typeEEEZZNS1_29radix_sort_onesweep_iterationIS3_Lb1EPKdPdPS5_SB_mNS0_19identity_decomposerENS1_16block_id_wrapperIjLb0EEEEE10hipError_tT1_PNSt15iterator_traitsISG_E10value_typeET2_T3_PNSH_ISM_E10value_typeET4_T5_PSR_SS_PNS1_23onesweep_lookback_stateEbbT6_jjT7_P12ihipStream_tbENKUlT_T0_SG_SL_E_clIS9_SA_SB_SB_EEDaSZ_S10_SG_SL_EUlSZ_E_NS1_11comp_targetILNS1_3genE4ELNS1_11target_archE910ELNS1_3gpuE8ELNS1_3repE0EEENS1_47radix_sort_onesweep_sort_config_static_selectorELNS0_4arch9wavefront6targetE0EEEvSG_
                                        ; -- End function
	.set _ZN7rocprim17ROCPRIM_400000_NS6detail17trampoline_kernelINS0_14default_configENS1_35radix_sort_onesweep_config_selectorIdNS0_10empty_typeEEEZZNS1_29radix_sort_onesweep_iterationIS3_Lb1EPKdPdPS5_SB_mNS0_19identity_decomposerENS1_16block_id_wrapperIjLb0EEEEE10hipError_tT1_PNSt15iterator_traitsISG_E10value_typeET2_T3_PNSH_ISM_E10value_typeET4_T5_PSR_SS_PNS1_23onesweep_lookback_stateEbbT6_jjT7_P12ihipStream_tbENKUlT_T0_SG_SL_E_clIS9_SA_SB_SB_EEDaSZ_S10_SG_SL_EUlSZ_E_NS1_11comp_targetILNS1_3genE4ELNS1_11target_archE910ELNS1_3gpuE8ELNS1_3repE0EEENS1_47radix_sort_onesweep_sort_config_static_selectorELNS0_4arch9wavefront6targetE0EEEvSG_.num_vgpr, 0
	.set _ZN7rocprim17ROCPRIM_400000_NS6detail17trampoline_kernelINS0_14default_configENS1_35radix_sort_onesweep_config_selectorIdNS0_10empty_typeEEEZZNS1_29radix_sort_onesweep_iterationIS3_Lb1EPKdPdPS5_SB_mNS0_19identity_decomposerENS1_16block_id_wrapperIjLb0EEEEE10hipError_tT1_PNSt15iterator_traitsISG_E10value_typeET2_T3_PNSH_ISM_E10value_typeET4_T5_PSR_SS_PNS1_23onesweep_lookback_stateEbbT6_jjT7_P12ihipStream_tbENKUlT_T0_SG_SL_E_clIS9_SA_SB_SB_EEDaSZ_S10_SG_SL_EUlSZ_E_NS1_11comp_targetILNS1_3genE4ELNS1_11target_archE910ELNS1_3gpuE8ELNS1_3repE0EEENS1_47radix_sort_onesweep_sort_config_static_selectorELNS0_4arch9wavefront6targetE0EEEvSG_.num_agpr, 0
	.set _ZN7rocprim17ROCPRIM_400000_NS6detail17trampoline_kernelINS0_14default_configENS1_35radix_sort_onesweep_config_selectorIdNS0_10empty_typeEEEZZNS1_29radix_sort_onesweep_iterationIS3_Lb1EPKdPdPS5_SB_mNS0_19identity_decomposerENS1_16block_id_wrapperIjLb0EEEEE10hipError_tT1_PNSt15iterator_traitsISG_E10value_typeET2_T3_PNSH_ISM_E10value_typeET4_T5_PSR_SS_PNS1_23onesweep_lookback_stateEbbT6_jjT7_P12ihipStream_tbENKUlT_T0_SG_SL_E_clIS9_SA_SB_SB_EEDaSZ_S10_SG_SL_EUlSZ_E_NS1_11comp_targetILNS1_3genE4ELNS1_11target_archE910ELNS1_3gpuE8ELNS1_3repE0EEENS1_47radix_sort_onesweep_sort_config_static_selectorELNS0_4arch9wavefront6targetE0EEEvSG_.numbered_sgpr, 0
	.set _ZN7rocprim17ROCPRIM_400000_NS6detail17trampoline_kernelINS0_14default_configENS1_35radix_sort_onesweep_config_selectorIdNS0_10empty_typeEEEZZNS1_29radix_sort_onesweep_iterationIS3_Lb1EPKdPdPS5_SB_mNS0_19identity_decomposerENS1_16block_id_wrapperIjLb0EEEEE10hipError_tT1_PNSt15iterator_traitsISG_E10value_typeET2_T3_PNSH_ISM_E10value_typeET4_T5_PSR_SS_PNS1_23onesweep_lookback_stateEbbT6_jjT7_P12ihipStream_tbENKUlT_T0_SG_SL_E_clIS9_SA_SB_SB_EEDaSZ_S10_SG_SL_EUlSZ_E_NS1_11comp_targetILNS1_3genE4ELNS1_11target_archE910ELNS1_3gpuE8ELNS1_3repE0EEENS1_47radix_sort_onesweep_sort_config_static_selectorELNS0_4arch9wavefront6targetE0EEEvSG_.num_named_barrier, 0
	.set _ZN7rocprim17ROCPRIM_400000_NS6detail17trampoline_kernelINS0_14default_configENS1_35radix_sort_onesweep_config_selectorIdNS0_10empty_typeEEEZZNS1_29radix_sort_onesweep_iterationIS3_Lb1EPKdPdPS5_SB_mNS0_19identity_decomposerENS1_16block_id_wrapperIjLb0EEEEE10hipError_tT1_PNSt15iterator_traitsISG_E10value_typeET2_T3_PNSH_ISM_E10value_typeET4_T5_PSR_SS_PNS1_23onesweep_lookback_stateEbbT6_jjT7_P12ihipStream_tbENKUlT_T0_SG_SL_E_clIS9_SA_SB_SB_EEDaSZ_S10_SG_SL_EUlSZ_E_NS1_11comp_targetILNS1_3genE4ELNS1_11target_archE910ELNS1_3gpuE8ELNS1_3repE0EEENS1_47radix_sort_onesweep_sort_config_static_selectorELNS0_4arch9wavefront6targetE0EEEvSG_.private_seg_size, 0
	.set _ZN7rocprim17ROCPRIM_400000_NS6detail17trampoline_kernelINS0_14default_configENS1_35radix_sort_onesweep_config_selectorIdNS0_10empty_typeEEEZZNS1_29radix_sort_onesweep_iterationIS3_Lb1EPKdPdPS5_SB_mNS0_19identity_decomposerENS1_16block_id_wrapperIjLb0EEEEE10hipError_tT1_PNSt15iterator_traitsISG_E10value_typeET2_T3_PNSH_ISM_E10value_typeET4_T5_PSR_SS_PNS1_23onesweep_lookback_stateEbbT6_jjT7_P12ihipStream_tbENKUlT_T0_SG_SL_E_clIS9_SA_SB_SB_EEDaSZ_S10_SG_SL_EUlSZ_E_NS1_11comp_targetILNS1_3genE4ELNS1_11target_archE910ELNS1_3gpuE8ELNS1_3repE0EEENS1_47radix_sort_onesweep_sort_config_static_selectorELNS0_4arch9wavefront6targetE0EEEvSG_.uses_vcc, 0
	.set _ZN7rocprim17ROCPRIM_400000_NS6detail17trampoline_kernelINS0_14default_configENS1_35radix_sort_onesweep_config_selectorIdNS0_10empty_typeEEEZZNS1_29radix_sort_onesweep_iterationIS3_Lb1EPKdPdPS5_SB_mNS0_19identity_decomposerENS1_16block_id_wrapperIjLb0EEEEE10hipError_tT1_PNSt15iterator_traitsISG_E10value_typeET2_T3_PNSH_ISM_E10value_typeET4_T5_PSR_SS_PNS1_23onesweep_lookback_stateEbbT6_jjT7_P12ihipStream_tbENKUlT_T0_SG_SL_E_clIS9_SA_SB_SB_EEDaSZ_S10_SG_SL_EUlSZ_E_NS1_11comp_targetILNS1_3genE4ELNS1_11target_archE910ELNS1_3gpuE8ELNS1_3repE0EEENS1_47radix_sort_onesweep_sort_config_static_selectorELNS0_4arch9wavefront6targetE0EEEvSG_.uses_flat_scratch, 0
	.set _ZN7rocprim17ROCPRIM_400000_NS6detail17trampoline_kernelINS0_14default_configENS1_35radix_sort_onesweep_config_selectorIdNS0_10empty_typeEEEZZNS1_29radix_sort_onesweep_iterationIS3_Lb1EPKdPdPS5_SB_mNS0_19identity_decomposerENS1_16block_id_wrapperIjLb0EEEEE10hipError_tT1_PNSt15iterator_traitsISG_E10value_typeET2_T3_PNSH_ISM_E10value_typeET4_T5_PSR_SS_PNS1_23onesweep_lookback_stateEbbT6_jjT7_P12ihipStream_tbENKUlT_T0_SG_SL_E_clIS9_SA_SB_SB_EEDaSZ_S10_SG_SL_EUlSZ_E_NS1_11comp_targetILNS1_3genE4ELNS1_11target_archE910ELNS1_3gpuE8ELNS1_3repE0EEENS1_47radix_sort_onesweep_sort_config_static_selectorELNS0_4arch9wavefront6targetE0EEEvSG_.has_dyn_sized_stack, 0
	.set _ZN7rocprim17ROCPRIM_400000_NS6detail17trampoline_kernelINS0_14default_configENS1_35radix_sort_onesweep_config_selectorIdNS0_10empty_typeEEEZZNS1_29radix_sort_onesweep_iterationIS3_Lb1EPKdPdPS5_SB_mNS0_19identity_decomposerENS1_16block_id_wrapperIjLb0EEEEE10hipError_tT1_PNSt15iterator_traitsISG_E10value_typeET2_T3_PNSH_ISM_E10value_typeET4_T5_PSR_SS_PNS1_23onesweep_lookback_stateEbbT6_jjT7_P12ihipStream_tbENKUlT_T0_SG_SL_E_clIS9_SA_SB_SB_EEDaSZ_S10_SG_SL_EUlSZ_E_NS1_11comp_targetILNS1_3genE4ELNS1_11target_archE910ELNS1_3gpuE8ELNS1_3repE0EEENS1_47radix_sort_onesweep_sort_config_static_selectorELNS0_4arch9wavefront6targetE0EEEvSG_.has_recursion, 0
	.set _ZN7rocprim17ROCPRIM_400000_NS6detail17trampoline_kernelINS0_14default_configENS1_35radix_sort_onesweep_config_selectorIdNS0_10empty_typeEEEZZNS1_29radix_sort_onesweep_iterationIS3_Lb1EPKdPdPS5_SB_mNS0_19identity_decomposerENS1_16block_id_wrapperIjLb0EEEEE10hipError_tT1_PNSt15iterator_traitsISG_E10value_typeET2_T3_PNSH_ISM_E10value_typeET4_T5_PSR_SS_PNS1_23onesweep_lookback_stateEbbT6_jjT7_P12ihipStream_tbENKUlT_T0_SG_SL_E_clIS9_SA_SB_SB_EEDaSZ_S10_SG_SL_EUlSZ_E_NS1_11comp_targetILNS1_3genE4ELNS1_11target_archE910ELNS1_3gpuE8ELNS1_3repE0EEENS1_47radix_sort_onesweep_sort_config_static_selectorELNS0_4arch9wavefront6targetE0EEEvSG_.has_indirect_call, 0
	.section	.AMDGPU.csdata,"",@progbits
; Kernel info:
; codeLenInByte = 0
; TotalNumSgprs: 0
; NumVgprs: 0
; ScratchSize: 0
; MemoryBound: 0
; FloatMode: 240
; IeeeMode: 1
; LDSByteSize: 0 bytes/workgroup (compile time only)
; SGPRBlocks: 0
; VGPRBlocks: 0
; NumSGPRsForWavesPerEU: 1
; NumVGPRsForWavesPerEU: 1
; NamedBarCnt: 0
; Occupancy: 16
; WaveLimiterHint : 0
; COMPUTE_PGM_RSRC2:SCRATCH_EN: 0
; COMPUTE_PGM_RSRC2:USER_SGPR: 2
; COMPUTE_PGM_RSRC2:TRAP_HANDLER: 0
; COMPUTE_PGM_RSRC2:TGID_X_EN: 1
; COMPUTE_PGM_RSRC2:TGID_Y_EN: 0
; COMPUTE_PGM_RSRC2:TGID_Z_EN: 0
; COMPUTE_PGM_RSRC2:TIDIG_COMP_CNT: 0
	.section	.text._ZN7rocprim17ROCPRIM_400000_NS6detail17trampoline_kernelINS0_14default_configENS1_35radix_sort_onesweep_config_selectorIdNS0_10empty_typeEEEZZNS1_29radix_sort_onesweep_iterationIS3_Lb1EPKdPdPS5_SB_mNS0_19identity_decomposerENS1_16block_id_wrapperIjLb0EEEEE10hipError_tT1_PNSt15iterator_traitsISG_E10value_typeET2_T3_PNSH_ISM_E10value_typeET4_T5_PSR_SS_PNS1_23onesweep_lookback_stateEbbT6_jjT7_P12ihipStream_tbENKUlT_T0_SG_SL_E_clIS9_SA_SB_SB_EEDaSZ_S10_SG_SL_EUlSZ_E_NS1_11comp_targetILNS1_3genE3ELNS1_11target_archE908ELNS1_3gpuE7ELNS1_3repE0EEENS1_47radix_sort_onesweep_sort_config_static_selectorELNS0_4arch9wavefront6targetE0EEEvSG_,"axG",@progbits,_ZN7rocprim17ROCPRIM_400000_NS6detail17trampoline_kernelINS0_14default_configENS1_35radix_sort_onesweep_config_selectorIdNS0_10empty_typeEEEZZNS1_29radix_sort_onesweep_iterationIS3_Lb1EPKdPdPS5_SB_mNS0_19identity_decomposerENS1_16block_id_wrapperIjLb0EEEEE10hipError_tT1_PNSt15iterator_traitsISG_E10value_typeET2_T3_PNSH_ISM_E10value_typeET4_T5_PSR_SS_PNS1_23onesweep_lookback_stateEbbT6_jjT7_P12ihipStream_tbENKUlT_T0_SG_SL_E_clIS9_SA_SB_SB_EEDaSZ_S10_SG_SL_EUlSZ_E_NS1_11comp_targetILNS1_3genE3ELNS1_11target_archE908ELNS1_3gpuE7ELNS1_3repE0EEENS1_47radix_sort_onesweep_sort_config_static_selectorELNS0_4arch9wavefront6targetE0EEEvSG_,comdat
	.protected	_ZN7rocprim17ROCPRIM_400000_NS6detail17trampoline_kernelINS0_14default_configENS1_35radix_sort_onesweep_config_selectorIdNS0_10empty_typeEEEZZNS1_29radix_sort_onesweep_iterationIS3_Lb1EPKdPdPS5_SB_mNS0_19identity_decomposerENS1_16block_id_wrapperIjLb0EEEEE10hipError_tT1_PNSt15iterator_traitsISG_E10value_typeET2_T3_PNSH_ISM_E10value_typeET4_T5_PSR_SS_PNS1_23onesweep_lookback_stateEbbT6_jjT7_P12ihipStream_tbENKUlT_T0_SG_SL_E_clIS9_SA_SB_SB_EEDaSZ_S10_SG_SL_EUlSZ_E_NS1_11comp_targetILNS1_3genE3ELNS1_11target_archE908ELNS1_3gpuE7ELNS1_3repE0EEENS1_47radix_sort_onesweep_sort_config_static_selectorELNS0_4arch9wavefront6targetE0EEEvSG_ ; -- Begin function _ZN7rocprim17ROCPRIM_400000_NS6detail17trampoline_kernelINS0_14default_configENS1_35radix_sort_onesweep_config_selectorIdNS0_10empty_typeEEEZZNS1_29radix_sort_onesweep_iterationIS3_Lb1EPKdPdPS5_SB_mNS0_19identity_decomposerENS1_16block_id_wrapperIjLb0EEEEE10hipError_tT1_PNSt15iterator_traitsISG_E10value_typeET2_T3_PNSH_ISM_E10value_typeET4_T5_PSR_SS_PNS1_23onesweep_lookback_stateEbbT6_jjT7_P12ihipStream_tbENKUlT_T0_SG_SL_E_clIS9_SA_SB_SB_EEDaSZ_S10_SG_SL_EUlSZ_E_NS1_11comp_targetILNS1_3genE3ELNS1_11target_archE908ELNS1_3gpuE7ELNS1_3repE0EEENS1_47radix_sort_onesweep_sort_config_static_selectorELNS0_4arch9wavefront6targetE0EEEvSG_
	.globl	_ZN7rocprim17ROCPRIM_400000_NS6detail17trampoline_kernelINS0_14default_configENS1_35radix_sort_onesweep_config_selectorIdNS0_10empty_typeEEEZZNS1_29radix_sort_onesweep_iterationIS3_Lb1EPKdPdPS5_SB_mNS0_19identity_decomposerENS1_16block_id_wrapperIjLb0EEEEE10hipError_tT1_PNSt15iterator_traitsISG_E10value_typeET2_T3_PNSH_ISM_E10value_typeET4_T5_PSR_SS_PNS1_23onesweep_lookback_stateEbbT6_jjT7_P12ihipStream_tbENKUlT_T0_SG_SL_E_clIS9_SA_SB_SB_EEDaSZ_S10_SG_SL_EUlSZ_E_NS1_11comp_targetILNS1_3genE3ELNS1_11target_archE908ELNS1_3gpuE7ELNS1_3repE0EEENS1_47radix_sort_onesweep_sort_config_static_selectorELNS0_4arch9wavefront6targetE0EEEvSG_
	.p2align	8
	.type	_ZN7rocprim17ROCPRIM_400000_NS6detail17trampoline_kernelINS0_14default_configENS1_35radix_sort_onesweep_config_selectorIdNS0_10empty_typeEEEZZNS1_29radix_sort_onesweep_iterationIS3_Lb1EPKdPdPS5_SB_mNS0_19identity_decomposerENS1_16block_id_wrapperIjLb0EEEEE10hipError_tT1_PNSt15iterator_traitsISG_E10value_typeET2_T3_PNSH_ISM_E10value_typeET4_T5_PSR_SS_PNS1_23onesweep_lookback_stateEbbT6_jjT7_P12ihipStream_tbENKUlT_T0_SG_SL_E_clIS9_SA_SB_SB_EEDaSZ_S10_SG_SL_EUlSZ_E_NS1_11comp_targetILNS1_3genE3ELNS1_11target_archE908ELNS1_3gpuE7ELNS1_3repE0EEENS1_47radix_sort_onesweep_sort_config_static_selectorELNS0_4arch9wavefront6targetE0EEEvSG_,@function
_ZN7rocprim17ROCPRIM_400000_NS6detail17trampoline_kernelINS0_14default_configENS1_35radix_sort_onesweep_config_selectorIdNS0_10empty_typeEEEZZNS1_29radix_sort_onesweep_iterationIS3_Lb1EPKdPdPS5_SB_mNS0_19identity_decomposerENS1_16block_id_wrapperIjLb0EEEEE10hipError_tT1_PNSt15iterator_traitsISG_E10value_typeET2_T3_PNSH_ISM_E10value_typeET4_T5_PSR_SS_PNS1_23onesweep_lookback_stateEbbT6_jjT7_P12ihipStream_tbENKUlT_T0_SG_SL_E_clIS9_SA_SB_SB_EEDaSZ_S10_SG_SL_EUlSZ_E_NS1_11comp_targetILNS1_3genE3ELNS1_11target_archE908ELNS1_3gpuE7ELNS1_3repE0EEENS1_47radix_sort_onesweep_sort_config_static_selectorELNS0_4arch9wavefront6targetE0EEEvSG_: ; @_ZN7rocprim17ROCPRIM_400000_NS6detail17trampoline_kernelINS0_14default_configENS1_35radix_sort_onesweep_config_selectorIdNS0_10empty_typeEEEZZNS1_29radix_sort_onesweep_iterationIS3_Lb1EPKdPdPS5_SB_mNS0_19identity_decomposerENS1_16block_id_wrapperIjLb0EEEEE10hipError_tT1_PNSt15iterator_traitsISG_E10value_typeET2_T3_PNSH_ISM_E10value_typeET4_T5_PSR_SS_PNS1_23onesweep_lookback_stateEbbT6_jjT7_P12ihipStream_tbENKUlT_T0_SG_SL_E_clIS9_SA_SB_SB_EEDaSZ_S10_SG_SL_EUlSZ_E_NS1_11comp_targetILNS1_3genE3ELNS1_11target_archE908ELNS1_3gpuE7ELNS1_3repE0EEENS1_47radix_sort_onesweep_sort_config_static_selectorELNS0_4arch9wavefront6targetE0EEEvSG_
; %bb.0:
	.section	.rodata,"a",@progbits
	.p2align	6, 0x0
	.amdhsa_kernel _ZN7rocprim17ROCPRIM_400000_NS6detail17trampoline_kernelINS0_14default_configENS1_35radix_sort_onesweep_config_selectorIdNS0_10empty_typeEEEZZNS1_29radix_sort_onesweep_iterationIS3_Lb1EPKdPdPS5_SB_mNS0_19identity_decomposerENS1_16block_id_wrapperIjLb0EEEEE10hipError_tT1_PNSt15iterator_traitsISG_E10value_typeET2_T3_PNSH_ISM_E10value_typeET4_T5_PSR_SS_PNS1_23onesweep_lookback_stateEbbT6_jjT7_P12ihipStream_tbENKUlT_T0_SG_SL_E_clIS9_SA_SB_SB_EEDaSZ_S10_SG_SL_EUlSZ_E_NS1_11comp_targetILNS1_3genE3ELNS1_11target_archE908ELNS1_3gpuE7ELNS1_3repE0EEENS1_47radix_sort_onesweep_sort_config_static_selectorELNS0_4arch9wavefront6targetE0EEEvSG_
		.amdhsa_group_segment_fixed_size 0
		.amdhsa_private_segment_fixed_size 0
		.amdhsa_kernarg_size 88
		.amdhsa_user_sgpr_count 2
		.amdhsa_user_sgpr_dispatch_ptr 0
		.amdhsa_user_sgpr_queue_ptr 0
		.amdhsa_user_sgpr_kernarg_segment_ptr 1
		.amdhsa_user_sgpr_dispatch_id 0
		.amdhsa_user_sgpr_kernarg_preload_length 0
		.amdhsa_user_sgpr_kernarg_preload_offset 0
		.amdhsa_user_sgpr_private_segment_size 0
		.amdhsa_wavefront_size32 1
		.amdhsa_uses_dynamic_stack 0
		.amdhsa_enable_private_segment 0
		.amdhsa_system_sgpr_workgroup_id_x 1
		.amdhsa_system_sgpr_workgroup_id_y 0
		.amdhsa_system_sgpr_workgroup_id_z 0
		.amdhsa_system_sgpr_workgroup_info 0
		.amdhsa_system_vgpr_workitem_id 0
		.amdhsa_next_free_vgpr 1
		.amdhsa_next_free_sgpr 1
		.amdhsa_named_barrier_count 0
		.amdhsa_reserve_vcc 0
		.amdhsa_float_round_mode_32 0
		.amdhsa_float_round_mode_16_64 0
		.amdhsa_float_denorm_mode_32 3
		.amdhsa_float_denorm_mode_16_64 3
		.amdhsa_fp16_overflow 0
		.amdhsa_memory_ordered 1
		.amdhsa_forward_progress 1
		.amdhsa_inst_pref_size 0
		.amdhsa_round_robin_scheduling 0
		.amdhsa_exception_fp_ieee_invalid_op 0
		.amdhsa_exception_fp_denorm_src 0
		.amdhsa_exception_fp_ieee_div_zero 0
		.amdhsa_exception_fp_ieee_overflow 0
		.amdhsa_exception_fp_ieee_underflow 0
		.amdhsa_exception_fp_ieee_inexact 0
		.amdhsa_exception_int_div_zero 0
	.end_amdhsa_kernel
	.section	.text._ZN7rocprim17ROCPRIM_400000_NS6detail17trampoline_kernelINS0_14default_configENS1_35radix_sort_onesweep_config_selectorIdNS0_10empty_typeEEEZZNS1_29radix_sort_onesweep_iterationIS3_Lb1EPKdPdPS5_SB_mNS0_19identity_decomposerENS1_16block_id_wrapperIjLb0EEEEE10hipError_tT1_PNSt15iterator_traitsISG_E10value_typeET2_T3_PNSH_ISM_E10value_typeET4_T5_PSR_SS_PNS1_23onesweep_lookback_stateEbbT6_jjT7_P12ihipStream_tbENKUlT_T0_SG_SL_E_clIS9_SA_SB_SB_EEDaSZ_S10_SG_SL_EUlSZ_E_NS1_11comp_targetILNS1_3genE3ELNS1_11target_archE908ELNS1_3gpuE7ELNS1_3repE0EEENS1_47radix_sort_onesweep_sort_config_static_selectorELNS0_4arch9wavefront6targetE0EEEvSG_,"axG",@progbits,_ZN7rocprim17ROCPRIM_400000_NS6detail17trampoline_kernelINS0_14default_configENS1_35radix_sort_onesweep_config_selectorIdNS0_10empty_typeEEEZZNS1_29radix_sort_onesweep_iterationIS3_Lb1EPKdPdPS5_SB_mNS0_19identity_decomposerENS1_16block_id_wrapperIjLb0EEEEE10hipError_tT1_PNSt15iterator_traitsISG_E10value_typeET2_T3_PNSH_ISM_E10value_typeET4_T5_PSR_SS_PNS1_23onesweep_lookback_stateEbbT6_jjT7_P12ihipStream_tbENKUlT_T0_SG_SL_E_clIS9_SA_SB_SB_EEDaSZ_S10_SG_SL_EUlSZ_E_NS1_11comp_targetILNS1_3genE3ELNS1_11target_archE908ELNS1_3gpuE7ELNS1_3repE0EEENS1_47radix_sort_onesweep_sort_config_static_selectorELNS0_4arch9wavefront6targetE0EEEvSG_,comdat
.Lfunc_end1541:
	.size	_ZN7rocprim17ROCPRIM_400000_NS6detail17trampoline_kernelINS0_14default_configENS1_35radix_sort_onesweep_config_selectorIdNS0_10empty_typeEEEZZNS1_29radix_sort_onesweep_iterationIS3_Lb1EPKdPdPS5_SB_mNS0_19identity_decomposerENS1_16block_id_wrapperIjLb0EEEEE10hipError_tT1_PNSt15iterator_traitsISG_E10value_typeET2_T3_PNSH_ISM_E10value_typeET4_T5_PSR_SS_PNS1_23onesweep_lookback_stateEbbT6_jjT7_P12ihipStream_tbENKUlT_T0_SG_SL_E_clIS9_SA_SB_SB_EEDaSZ_S10_SG_SL_EUlSZ_E_NS1_11comp_targetILNS1_3genE3ELNS1_11target_archE908ELNS1_3gpuE7ELNS1_3repE0EEENS1_47radix_sort_onesweep_sort_config_static_selectorELNS0_4arch9wavefront6targetE0EEEvSG_, .Lfunc_end1541-_ZN7rocprim17ROCPRIM_400000_NS6detail17trampoline_kernelINS0_14default_configENS1_35radix_sort_onesweep_config_selectorIdNS0_10empty_typeEEEZZNS1_29radix_sort_onesweep_iterationIS3_Lb1EPKdPdPS5_SB_mNS0_19identity_decomposerENS1_16block_id_wrapperIjLb0EEEEE10hipError_tT1_PNSt15iterator_traitsISG_E10value_typeET2_T3_PNSH_ISM_E10value_typeET4_T5_PSR_SS_PNS1_23onesweep_lookback_stateEbbT6_jjT7_P12ihipStream_tbENKUlT_T0_SG_SL_E_clIS9_SA_SB_SB_EEDaSZ_S10_SG_SL_EUlSZ_E_NS1_11comp_targetILNS1_3genE3ELNS1_11target_archE908ELNS1_3gpuE7ELNS1_3repE0EEENS1_47radix_sort_onesweep_sort_config_static_selectorELNS0_4arch9wavefront6targetE0EEEvSG_
                                        ; -- End function
	.set _ZN7rocprim17ROCPRIM_400000_NS6detail17trampoline_kernelINS0_14default_configENS1_35radix_sort_onesweep_config_selectorIdNS0_10empty_typeEEEZZNS1_29radix_sort_onesweep_iterationIS3_Lb1EPKdPdPS5_SB_mNS0_19identity_decomposerENS1_16block_id_wrapperIjLb0EEEEE10hipError_tT1_PNSt15iterator_traitsISG_E10value_typeET2_T3_PNSH_ISM_E10value_typeET4_T5_PSR_SS_PNS1_23onesweep_lookback_stateEbbT6_jjT7_P12ihipStream_tbENKUlT_T0_SG_SL_E_clIS9_SA_SB_SB_EEDaSZ_S10_SG_SL_EUlSZ_E_NS1_11comp_targetILNS1_3genE3ELNS1_11target_archE908ELNS1_3gpuE7ELNS1_3repE0EEENS1_47radix_sort_onesweep_sort_config_static_selectorELNS0_4arch9wavefront6targetE0EEEvSG_.num_vgpr, 0
	.set _ZN7rocprim17ROCPRIM_400000_NS6detail17trampoline_kernelINS0_14default_configENS1_35radix_sort_onesweep_config_selectorIdNS0_10empty_typeEEEZZNS1_29radix_sort_onesweep_iterationIS3_Lb1EPKdPdPS5_SB_mNS0_19identity_decomposerENS1_16block_id_wrapperIjLb0EEEEE10hipError_tT1_PNSt15iterator_traitsISG_E10value_typeET2_T3_PNSH_ISM_E10value_typeET4_T5_PSR_SS_PNS1_23onesweep_lookback_stateEbbT6_jjT7_P12ihipStream_tbENKUlT_T0_SG_SL_E_clIS9_SA_SB_SB_EEDaSZ_S10_SG_SL_EUlSZ_E_NS1_11comp_targetILNS1_3genE3ELNS1_11target_archE908ELNS1_3gpuE7ELNS1_3repE0EEENS1_47radix_sort_onesweep_sort_config_static_selectorELNS0_4arch9wavefront6targetE0EEEvSG_.num_agpr, 0
	.set _ZN7rocprim17ROCPRIM_400000_NS6detail17trampoline_kernelINS0_14default_configENS1_35radix_sort_onesweep_config_selectorIdNS0_10empty_typeEEEZZNS1_29radix_sort_onesweep_iterationIS3_Lb1EPKdPdPS5_SB_mNS0_19identity_decomposerENS1_16block_id_wrapperIjLb0EEEEE10hipError_tT1_PNSt15iterator_traitsISG_E10value_typeET2_T3_PNSH_ISM_E10value_typeET4_T5_PSR_SS_PNS1_23onesweep_lookback_stateEbbT6_jjT7_P12ihipStream_tbENKUlT_T0_SG_SL_E_clIS9_SA_SB_SB_EEDaSZ_S10_SG_SL_EUlSZ_E_NS1_11comp_targetILNS1_3genE3ELNS1_11target_archE908ELNS1_3gpuE7ELNS1_3repE0EEENS1_47radix_sort_onesweep_sort_config_static_selectorELNS0_4arch9wavefront6targetE0EEEvSG_.numbered_sgpr, 0
	.set _ZN7rocprim17ROCPRIM_400000_NS6detail17trampoline_kernelINS0_14default_configENS1_35radix_sort_onesweep_config_selectorIdNS0_10empty_typeEEEZZNS1_29radix_sort_onesweep_iterationIS3_Lb1EPKdPdPS5_SB_mNS0_19identity_decomposerENS1_16block_id_wrapperIjLb0EEEEE10hipError_tT1_PNSt15iterator_traitsISG_E10value_typeET2_T3_PNSH_ISM_E10value_typeET4_T5_PSR_SS_PNS1_23onesweep_lookback_stateEbbT6_jjT7_P12ihipStream_tbENKUlT_T0_SG_SL_E_clIS9_SA_SB_SB_EEDaSZ_S10_SG_SL_EUlSZ_E_NS1_11comp_targetILNS1_3genE3ELNS1_11target_archE908ELNS1_3gpuE7ELNS1_3repE0EEENS1_47radix_sort_onesweep_sort_config_static_selectorELNS0_4arch9wavefront6targetE0EEEvSG_.num_named_barrier, 0
	.set _ZN7rocprim17ROCPRIM_400000_NS6detail17trampoline_kernelINS0_14default_configENS1_35radix_sort_onesweep_config_selectorIdNS0_10empty_typeEEEZZNS1_29radix_sort_onesweep_iterationIS3_Lb1EPKdPdPS5_SB_mNS0_19identity_decomposerENS1_16block_id_wrapperIjLb0EEEEE10hipError_tT1_PNSt15iterator_traitsISG_E10value_typeET2_T3_PNSH_ISM_E10value_typeET4_T5_PSR_SS_PNS1_23onesweep_lookback_stateEbbT6_jjT7_P12ihipStream_tbENKUlT_T0_SG_SL_E_clIS9_SA_SB_SB_EEDaSZ_S10_SG_SL_EUlSZ_E_NS1_11comp_targetILNS1_3genE3ELNS1_11target_archE908ELNS1_3gpuE7ELNS1_3repE0EEENS1_47radix_sort_onesweep_sort_config_static_selectorELNS0_4arch9wavefront6targetE0EEEvSG_.private_seg_size, 0
	.set _ZN7rocprim17ROCPRIM_400000_NS6detail17trampoline_kernelINS0_14default_configENS1_35radix_sort_onesweep_config_selectorIdNS0_10empty_typeEEEZZNS1_29radix_sort_onesweep_iterationIS3_Lb1EPKdPdPS5_SB_mNS0_19identity_decomposerENS1_16block_id_wrapperIjLb0EEEEE10hipError_tT1_PNSt15iterator_traitsISG_E10value_typeET2_T3_PNSH_ISM_E10value_typeET4_T5_PSR_SS_PNS1_23onesweep_lookback_stateEbbT6_jjT7_P12ihipStream_tbENKUlT_T0_SG_SL_E_clIS9_SA_SB_SB_EEDaSZ_S10_SG_SL_EUlSZ_E_NS1_11comp_targetILNS1_3genE3ELNS1_11target_archE908ELNS1_3gpuE7ELNS1_3repE0EEENS1_47radix_sort_onesweep_sort_config_static_selectorELNS0_4arch9wavefront6targetE0EEEvSG_.uses_vcc, 0
	.set _ZN7rocprim17ROCPRIM_400000_NS6detail17trampoline_kernelINS0_14default_configENS1_35radix_sort_onesweep_config_selectorIdNS0_10empty_typeEEEZZNS1_29radix_sort_onesweep_iterationIS3_Lb1EPKdPdPS5_SB_mNS0_19identity_decomposerENS1_16block_id_wrapperIjLb0EEEEE10hipError_tT1_PNSt15iterator_traitsISG_E10value_typeET2_T3_PNSH_ISM_E10value_typeET4_T5_PSR_SS_PNS1_23onesweep_lookback_stateEbbT6_jjT7_P12ihipStream_tbENKUlT_T0_SG_SL_E_clIS9_SA_SB_SB_EEDaSZ_S10_SG_SL_EUlSZ_E_NS1_11comp_targetILNS1_3genE3ELNS1_11target_archE908ELNS1_3gpuE7ELNS1_3repE0EEENS1_47radix_sort_onesweep_sort_config_static_selectorELNS0_4arch9wavefront6targetE0EEEvSG_.uses_flat_scratch, 0
	.set _ZN7rocprim17ROCPRIM_400000_NS6detail17trampoline_kernelINS0_14default_configENS1_35radix_sort_onesweep_config_selectorIdNS0_10empty_typeEEEZZNS1_29radix_sort_onesweep_iterationIS3_Lb1EPKdPdPS5_SB_mNS0_19identity_decomposerENS1_16block_id_wrapperIjLb0EEEEE10hipError_tT1_PNSt15iterator_traitsISG_E10value_typeET2_T3_PNSH_ISM_E10value_typeET4_T5_PSR_SS_PNS1_23onesweep_lookback_stateEbbT6_jjT7_P12ihipStream_tbENKUlT_T0_SG_SL_E_clIS9_SA_SB_SB_EEDaSZ_S10_SG_SL_EUlSZ_E_NS1_11comp_targetILNS1_3genE3ELNS1_11target_archE908ELNS1_3gpuE7ELNS1_3repE0EEENS1_47radix_sort_onesweep_sort_config_static_selectorELNS0_4arch9wavefront6targetE0EEEvSG_.has_dyn_sized_stack, 0
	.set _ZN7rocprim17ROCPRIM_400000_NS6detail17trampoline_kernelINS0_14default_configENS1_35radix_sort_onesweep_config_selectorIdNS0_10empty_typeEEEZZNS1_29radix_sort_onesweep_iterationIS3_Lb1EPKdPdPS5_SB_mNS0_19identity_decomposerENS1_16block_id_wrapperIjLb0EEEEE10hipError_tT1_PNSt15iterator_traitsISG_E10value_typeET2_T3_PNSH_ISM_E10value_typeET4_T5_PSR_SS_PNS1_23onesweep_lookback_stateEbbT6_jjT7_P12ihipStream_tbENKUlT_T0_SG_SL_E_clIS9_SA_SB_SB_EEDaSZ_S10_SG_SL_EUlSZ_E_NS1_11comp_targetILNS1_3genE3ELNS1_11target_archE908ELNS1_3gpuE7ELNS1_3repE0EEENS1_47radix_sort_onesweep_sort_config_static_selectorELNS0_4arch9wavefront6targetE0EEEvSG_.has_recursion, 0
	.set _ZN7rocprim17ROCPRIM_400000_NS6detail17trampoline_kernelINS0_14default_configENS1_35radix_sort_onesweep_config_selectorIdNS0_10empty_typeEEEZZNS1_29radix_sort_onesweep_iterationIS3_Lb1EPKdPdPS5_SB_mNS0_19identity_decomposerENS1_16block_id_wrapperIjLb0EEEEE10hipError_tT1_PNSt15iterator_traitsISG_E10value_typeET2_T3_PNSH_ISM_E10value_typeET4_T5_PSR_SS_PNS1_23onesweep_lookback_stateEbbT6_jjT7_P12ihipStream_tbENKUlT_T0_SG_SL_E_clIS9_SA_SB_SB_EEDaSZ_S10_SG_SL_EUlSZ_E_NS1_11comp_targetILNS1_3genE3ELNS1_11target_archE908ELNS1_3gpuE7ELNS1_3repE0EEENS1_47radix_sort_onesweep_sort_config_static_selectorELNS0_4arch9wavefront6targetE0EEEvSG_.has_indirect_call, 0
	.section	.AMDGPU.csdata,"",@progbits
; Kernel info:
; codeLenInByte = 0
; TotalNumSgprs: 0
; NumVgprs: 0
; ScratchSize: 0
; MemoryBound: 0
; FloatMode: 240
; IeeeMode: 1
; LDSByteSize: 0 bytes/workgroup (compile time only)
; SGPRBlocks: 0
; VGPRBlocks: 0
; NumSGPRsForWavesPerEU: 1
; NumVGPRsForWavesPerEU: 1
; NamedBarCnt: 0
; Occupancy: 16
; WaveLimiterHint : 0
; COMPUTE_PGM_RSRC2:SCRATCH_EN: 0
; COMPUTE_PGM_RSRC2:USER_SGPR: 2
; COMPUTE_PGM_RSRC2:TRAP_HANDLER: 0
; COMPUTE_PGM_RSRC2:TGID_X_EN: 1
; COMPUTE_PGM_RSRC2:TGID_Y_EN: 0
; COMPUTE_PGM_RSRC2:TGID_Z_EN: 0
; COMPUTE_PGM_RSRC2:TIDIG_COMP_CNT: 0
	.section	.text._ZN7rocprim17ROCPRIM_400000_NS6detail17trampoline_kernelINS0_14default_configENS1_35radix_sort_onesweep_config_selectorIdNS0_10empty_typeEEEZZNS1_29radix_sort_onesweep_iterationIS3_Lb1EPKdPdPS5_SB_mNS0_19identity_decomposerENS1_16block_id_wrapperIjLb0EEEEE10hipError_tT1_PNSt15iterator_traitsISG_E10value_typeET2_T3_PNSH_ISM_E10value_typeET4_T5_PSR_SS_PNS1_23onesweep_lookback_stateEbbT6_jjT7_P12ihipStream_tbENKUlT_T0_SG_SL_E_clIS9_SA_SB_SB_EEDaSZ_S10_SG_SL_EUlSZ_E_NS1_11comp_targetILNS1_3genE10ELNS1_11target_archE1201ELNS1_3gpuE5ELNS1_3repE0EEENS1_47radix_sort_onesweep_sort_config_static_selectorELNS0_4arch9wavefront6targetE0EEEvSG_,"axG",@progbits,_ZN7rocprim17ROCPRIM_400000_NS6detail17trampoline_kernelINS0_14default_configENS1_35radix_sort_onesweep_config_selectorIdNS0_10empty_typeEEEZZNS1_29radix_sort_onesweep_iterationIS3_Lb1EPKdPdPS5_SB_mNS0_19identity_decomposerENS1_16block_id_wrapperIjLb0EEEEE10hipError_tT1_PNSt15iterator_traitsISG_E10value_typeET2_T3_PNSH_ISM_E10value_typeET4_T5_PSR_SS_PNS1_23onesweep_lookback_stateEbbT6_jjT7_P12ihipStream_tbENKUlT_T0_SG_SL_E_clIS9_SA_SB_SB_EEDaSZ_S10_SG_SL_EUlSZ_E_NS1_11comp_targetILNS1_3genE10ELNS1_11target_archE1201ELNS1_3gpuE5ELNS1_3repE0EEENS1_47radix_sort_onesweep_sort_config_static_selectorELNS0_4arch9wavefront6targetE0EEEvSG_,comdat
	.protected	_ZN7rocprim17ROCPRIM_400000_NS6detail17trampoline_kernelINS0_14default_configENS1_35radix_sort_onesweep_config_selectorIdNS0_10empty_typeEEEZZNS1_29radix_sort_onesweep_iterationIS3_Lb1EPKdPdPS5_SB_mNS0_19identity_decomposerENS1_16block_id_wrapperIjLb0EEEEE10hipError_tT1_PNSt15iterator_traitsISG_E10value_typeET2_T3_PNSH_ISM_E10value_typeET4_T5_PSR_SS_PNS1_23onesweep_lookback_stateEbbT6_jjT7_P12ihipStream_tbENKUlT_T0_SG_SL_E_clIS9_SA_SB_SB_EEDaSZ_S10_SG_SL_EUlSZ_E_NS1_11comp_targetILNS1_3genE10ELNS1_11target_archE1201ELNS1_3gpuE5ELNS1_3repE0EEENS1_47radix_sort_onesweep_sort_config_static_selectorELNS0_4arch9wavefront6targetE0EEEvSG_ ; -- Begin function _ZN7rocprim17ROCPRIM_400000_NS6detail17trampoline_kernelINS0_14default_configENS1_35radix_sort_onesweep_config_selectorIdNS0_10empty_typeEEEZZNS1_29radix_sort_onesweep_iterationIS3_Lb1EPKdPdPS5_SB_mNS0_19identity_decomposerENS1_16block_id_wrapperIjLb0EEEEE10hipError_tT1_PNSt15iterator_traitsISG_E10value_typeET2_T3_PNSH_ISM_E10value_typeET4_T5_PSR_SS_PNS1_23onesweep_lookback_stateEbbT6_jjT7_P12ihipStream_tbENKUlT_T0_SG_SL_E_clIS9_SA_SB_SB_EEDaSZ_S10_SG_SL_EUlSZ_E_NS1_11comp_targetILNS1_3genE10ELNS1_11target_archE1201ELNS1_3gpuE5ELNS1_3repE0EEENS1_47radix_sort_onesweep_sort_config_static_selectorELNS0_4arch9wavefront6targetE0EEEvSG_
	.globl	_ZN7rocprim17ROCPRIM_400000_NS6detail17trampoline_kernelINS0_14default_configENS1_35radix_sort_onesweep_config_selectorIdNS0_10empty_typeEEEZZNS1_29radix_sort_onesweep_iterationIS3_Lb1EPKdPdPS5_SB_mNS0_19identity_decomposerENS1_16block_id_wrapperIjLb0EEEEE10hipError_tT1_PNSt15iterator_traitsISG_E10value_typeET2_T3_PNSH_ISM_E10value_typeET4_T5_PSR_SS_PNS1_23onesweep_lookback_stateEbbT6_jjT7_P12ihipStream_tbENKUlT_T0_SG_SL_E_clIS9_SA_SB_SB_EEDaSZ_S10_SG_SL_EUlSZ_E_NS1_11comp_targetILNS1_3genE10ELNS1_11target_archE1201ELNS1_3gpuE5ELNS1_3repE0EEENS1_47radix_sort_onesweep_sort_config_static_selectorELNS0_4arch9wavefront6targetE0EEEvSG_
	.p2align	8
	.type	_ZN7rocprim17ROCPRIM_400000_NS6detail17trampoline_kernelINS0_14default_configENS1_35radix_sort_onesweep_config_selectorIdNS0_10empty_typeEEEZZNS1_29radix_sort_onesweep_iterationIS3_Lb1EPKdPdPS5_SB_mNS0_19identity_decomposerENS1_16block_id_wrapperIjLb0EEEEE10hipError_tT1_PNSt15iterator_traitsISG_E10value_typeET2_T3_PNSH_ISM_E10value_typeET4_T5_PSR_SS_PNS1_23onesweep_lookback_stateEbbT6_jjT7_P12ihipStream_tbENKUlT_T0_SG_SL_E_clIS9_SA_SB_SB_EEDaSZ_S10_SG_SL_EUlSZ_E_NS1_11comp_targetILNS1_3genE10ELNS1_11target_archE1201ELNS1_3gpuE5ELNS1_3repE0EEENS1_47radix_sort_onesweep_sort_config_static_selectorELNS0_4arch9wavefront6targetE0EEEvSG_,@function
_ZN7rocprim17ROCPRIM_400000_NS6detail17trampoline_kernelINS0_14default_configENS1_35radix_sort_onesweep_config_selectorIdNS0_10empty_typeEEEZZNS1_29radix_sort_onesweep_iterationIS3_Lb1EPKdPdPS5_SB_mNS0_19identity_decomposerENS1_16block_id_wrapperIjLb0EEEEE10hipError_tT1_PNSt15iterator_traitsISG_E10value_typeET2_T3_PNSH_ISM_E10value_typeET4_T5_PSR_SS_PNS1_23onesweep_lookback_stateEbbT6_jjT7_P12ihipStream_tbENKUlT_T0_SG_SL_E_clIS9_SA_SB_SB_EEDaSZ_S10_SG_SL_EUlSZ_E_NS1_11comp_targetILNS1_3genE10ELNS1_11target_archE1201ELNS1_3gpuE5ELNS1_3repE0EEENS1_47radix_sort_onesweep_sort_config_static_selectorELNS0_4arch9wavefront6targetE0EEEvSG_: ; @_ZN7rocprim17ROCPRIM_400000_NS6detail17trampoline_kernelINS0_14default_configENS1_35radix_sort_onesweep_config_selectorIdNS0_10empty_typeEEEZZNS1_29radix_sort_onesweep_iterationIS3_Lb1EPKdPdPS5_SB_mNS0_19identity_decomposerENS1_16block_id_wrapperIjLb0EEEEE10hipError_tT1_PNSt15iterator_traitsISG_E10value_typeET2_T3_PNSH_ISM_E10value_typeET4_T5_PSR_SS_PNS1_23onesweep_lookback_stateEbbT6_jjT7_P12ihipStream_tbENKUlT_T0_SG_SL_E_clIS9_SA_SB_SB_EEDaSZ_S10_SG_SL_EUlSZ_E_NS1_11comp_targetILNS1_3genE10ELNS1_11target_archE1201ELNS1_3gpuE5ELNS1_3repE0EEENS1_47radix_sort_onesweep_sort_config_static_selectorELNS0_4arch9wavefront6targetE0EEEvSG_
; %bb.0:
	.section	.rodata,"a",@progbits
	.p2align	6, 0x0
	.amdhsa_kernel _ZN7rocprim17ROCPRIM_400000_NS6detail17trampoline_kernelINS0_14default_configENS1_35radix_sort_onesweep_config_selectorIdNS0_10empty_typeEEEZZNS1_29radix_sort_onesweep_iterationIS3_Lb1EPKdPdPS5_SB_mNS0_19identity_decomposerENS1_16block_id_wrapperIjLb0EEEEE10hipError_tT1_PNSt15iterator_traitsISG_E10value_typeET2_T3_PNSH_ISM_E10value_typeET4_T5_PSR_SS_PNS1_23onesweep_lookback_stateEbbT6_jjT7_P12ihipStream_tbENKUlT_T0_SG_SL_E_clIS9_SA_SB_SB_EEDaSZ_S10_SG_SL_EUlSZ_E_NS1_11comp_targetILNS1_3genE10ELNS1_11target_archE1201ELNS1_3gpuE5ELNS1_3repE0EEENS1_47radix_sort_onesweep_sort_config_static_selectorELNS0_4arch9wavefront6targetE0EEEvSG_
		.amdhsa_group_segment_fixed_size 0
		.amdhsa_private_segment_fixed_size 0
		.amdhsa_kernarg_size 88
		.amdhsa_user_sgpr_count 2
		.amdhsa_user_sgpr_dispatch_ptr 0
		.amdhsa_user_sgpr_queue_ptr 0
		.amdhsa_user_sgpr_kernarg_segment_ptr 1
		.amdhsa_user_sgpr_dispatch_id 0
		.amdhsa_user_sgpr_kernarg_preload_length 0
		.amdhsa_user_sgpr_kernarg_preload_offset 0
		.amdhsa_user_sgpr_private_segment_size 0
		.amdhsa_wavefront_size32 1
		.amdhsa_uses_dynamic_stack 0
		.amdhsa_enable_private_segment 0
		.amdhsa_system_sgpr_workgroup_id_x 1
		.amdhsa_system_sgpr_workgroup_id_y 0
		.amdhsa_system_sgpr_workgroup_id_z 0
		.amdhsa_system_sgpr_workgroup_info 0
		.amdhsa_system_vgpr_workitem_id 0
		.amdhsa_next_free_vgpr 1
		.amdhsa_next_free_sgpr 1
		.amdhsa_named_barrier_count 0
		.amdhsa_reserve_vcc 0
		.amdhsa_float_round_mode_32 0
		.amdhsa_float_round_mode_16_64 0
		.amdhsa_float_denorm_mode_32 3
		.amdhsa_float_denorm_mode_16_64 3
		.amdhsa_fp16_overflow 0
		.amdhsa_memory_ordered 1
		.amdhsa_forward_progress 1
		.amdhsa_inst_pref_size 0
		.amdhsa_round_robin_scheduling 0
		.amdhsa_exception_fp_ieee_invalid_op 0
		.amdhsa_exception_fp_denorm_src 0
		.amdhsa_exception_fp_ieee_div_zero 0
		.amdhsa_exception_fp_ieee_overflow 0
		.amdhsa_exception_fp_ieee_underflow 0
		.amdhsa_exception_fp_ieee_inexact 0
		.amdhsa_exception_int_div_zero 0
	.end_amdhsa_kernel
	.section	.text._ZN7rocprim17ROCPRIM_400000_NS6detail17trampoline_kernelINS0_14default_configENS1_35radix_sort_onesweep_config_selectorIdNS0_10empty_typeEEEZZNS1_29radix_sort_onesweep_iterationIS3_Lb1EPKdPdPS5_SB_mNS0_19identity_decomposerENS1_16block_id_wrapperIjLb0EEEEE10hipError_tT1_PNSt15iterator_traitsISG_E10value_typeET2_T3_PNSH_ISM_E10value_typeET4_T5_PSR_SS_PNS1_23onesweep_lookback_stateEbbT6_jjT7_P12ihipStream_tbENKUlT_T0_SG_SL_E_clIS9_SA_SB_SB_EEDaSZ_S10_SG_SL_EUlSZ_E_NS1_11comp_targetILNS1_3genE10ELNS1_11target_archE1201ELNS1_3gpuE5ELNS1_3repE0EEENS1_47radix_sort_onesweep_sort_config_static_selectorELNS0_4arch9wavefront6targetE0EEEvSG_,"axG",@progbits,_ZN7rocprim17ROCPRIM_400000_NS6detail17trampoline_kernelINS0_14default_configENS1_35radix_sort_onesweep_config_selectorIdNS0_10empty_typeEEEZZNS1_29radix_sort_onesweep_iterationIS3_Lb1EPKdPdPS5_SB_mNS0_19identity_decomposerENS1_16block_id_wrapperIjLb0EEEEE10hipError_tT1_PNSt15iterator_traitsISG_E10value_typeET2_T3_PNSH_ISM_E10value_typeET4_T5_PSR_SS_PNS1_23onesweep_lookback_stateEbbT6_jjT7_P12ihipStream_tbENKUlT_T0_SG_SL_E_clIS9_SA_SB_SB_EEDaSZ_S10_SG_SL_EUlSZ_E_NS1_11comp_targetILNS1_3genE10ELNS1_11target_archE1201ELNS1_3gpuE5ELNS1_3repE0EEENS1_47radix_sort_onesweep_sort_config_static_selectorELNS0_4arch9wavefront6targetE0EEEvSG_,comdat
.Lfunc_end1542:
	.size	_ZN7rocprim17ROCPRIM_400000_NS6detail17trampoline_kernelINS0_14default_configENS1_35radix_sort_onesweep_config_selectorIdNS0_10empty_typeEEEZZNS1_29radix_sort_onesweep_iterationIS3_Lb1EPKdPdPS5_SB_mNS0_19identity_decomposerENS1_16block_id_wrapperIjLb0EEEEE10hipError_tT1_PNSt15iterator_traitsISG_E10value_typeET2_T3_PNSH_ISM_E10value_typeET4_T5_PSR_SS_PNS1_23onesweep_lookback_stateEbbT6_jjT7_P12ihipStream_tbENKUlT_T0_SG_SL_E_clIS9_SA_SB_SB_EEDaSZ_S10_SG_SL_EUlSZ_E_NS1_11comp_targetILNS1_3genE10ELNS1_11target_archE1201ELNS1_3gpuE5ELNS1_3repE0EEENS1_47radix_sort_onesweep_sort_config_static_selectorELNS0_4arch9wavefront6targetE0EEEvSG_, .Lfunc_end1542-_ZN7rocprim17ROCPRIM_400000_NS6detail17trampoline_kernelINS0_14default_configENS1_35radix_sort_onesweep_config_selectorIdNS0_10empty_typeEEEZZNS1_29radix_sort_onesweep_iterationIS3_Lb1EPKdPdPS5_SB_mNS0_19identity_decomposerENS1_16block_id_wrapperIjLb0EEEEE10hipError_tT1_PNSt15iterator_traitsISG_E10value_typeET2_T3_PNSH_ISM_E10value_typeET4_T5_PSR_SS_PNS1_23onesweep_lookback_stateEbbT6_jjT7_P12ihipStream_tbENKUlT_T0_SG_SL_E_clIS9_SA_SB_SB_EEDaSZ_S10_SG_SL_EUlSZ_E_NS1_11comp_targetILNS1_3genE10ELNS1_11target_archE1201ELNS1_3gpuE5ELNS1_3repE0EEENS1_47radix_sort_onesweep_sort_config_static_selectorELNS0_4arch9wavefront6targetE0EEEvSG_
                                        ; -- End function
	.set _ZN7rocprim17ROCPRIM_400000_NS6detail17trampoline_kernelINS0_14default_configENS1_35radix_sort_onesweep_config_selectorIdNS0_10empty_typeEEEZZNS1_29radix_sort_onesweep_iterationIS3_Lb1EPKdPdPS5_SB_mNS0_19identity_decomposerENS1_16block_id_wrapperIjLb0EEEEE10hipError_tT1_PNSt15iterator_traitsISG_E10value_typeET2_T3_PNSH_ISM_E10value_typeET4_T5_PSR_SS_PNS1_23onesweep_lookback_stateEbbT6_jjT7_P12ihipStream_tbENKUlT_T0_SG_SL_E_clIS9_SA_SB_SB_EEDaSZ_S10_SG_SL_EUlSZ_E_NS1_11comp_targetILNS1_3genE10ELNS1_11target_archE1201ELNS1_3gpuE5ELNS1_3repE0EEENS1_47radix_sort_onesweep_sort_config_static_selectorELNS0_4arch9wavefront6targetE0EEEvSG_.num_vgpr, 0
	.set _ZN7rocprim17ROCPRIM_400000_NS6detail17trampoline_kernelINS0_14default_configENS1_35radix_sort_onesweep_config_selectorIdNS0_10empty_typeEEEZZNS1_29radix_sort_onesweep_iterationIS3_Lb1EPKdPdPS5_SB_mNS0_19identity_decomposerENS1_16block_id_wrapperIjLb0EEEEE10hipError_tT1_PNSt15iterator_traitsISG_E10value_typeET2_T3_PNSH_ISM_E10value_typeET4_T5_PSR_SS_PNS1_23onesweep_lookback_stateEbbT6_jjT7_P12ihipStream_tbENKUlT_T0_SG_SL_E_clIS9_SA_SB_SB_EEDaSZ_S10_SG_SL_EUlSZ_E_NS1_11comp_targetILNS1_3genE10ELNS1_11target_archE1201ELNS1_3gpuE5ELNS1_3repE0EEENS1_47radix_sort_onesweep_sort_config_static_selectorELNS0_4arch9wavefront6targetE0EEEvSG_.num_agpr, 0
	.set _ZN7rocprim17ROCPRIM_400000_NS6detail17trampoline_kernelINS0_14default_configENS1_35radix_sort_onesweep_config_selectorIdNS0_10empty_typeEEEZZNS1_29radix_sort_onesweep_iterationIS3_Lb1EPKdPdPS5_SB_mNS0_19identity_decomposerENS1_16block_id_wrapperIjLb0EEEEE10hipError_tT1_PNSt15iterator_traitsISG_E10value_typeET2_T3_PNSH_ISM_E10value_typeET4_T5_PSR_SS_PNS1_23onesweep_lookback_stateEbbT6_jjT7_P12ihipStream_tbENKUlT_T0_SG_SL_E_clIS9_SA_SB_SB_EEDaSZ_S10_SG_SL_EUlSZ_E_NS1_11comp_targetILNS1_3genE10ELNS1_11target_archE1201ELNS1_3gpuE5ELNS1_3repE0EEENS1_47radix_sort_onesweep_sort_config_static_selectorELNS0_4arch9wavefront6targetE0EEEvSG_.numbered_sgpr, 0
	.set _ZN7rocprim17ROCPRIM_400000_NS6detail17trampoline_kernelINS0_14default_configENS1_35radix_sort_onesweep_config_selectorIdNS0_10empty_typeEEEZZNS1_29radix_sort_onesweep_iterationIS3_Lb1EPKdPdPS5_SB_mNS0_19identity_decomposerENS1_16block_id_wrapperIjLb0EEEEE10hipError_tT1_PNSt15iterator_traitsISG_E10value_typeET2_T3_PNSH_ISM_E10value_typeET4_T5_PSR_SS_PNS1_23onesweep_lookback_stateEbbT6_jjT7_P12ihipStream_tbENKUlT_T0_SG_SL_E_clIS9_SA_SB_SB_EEDaSZ_S10_SG_SL_EUlSZ_E_NS1_11comp_targetILNS1_3genE10ELNS1_11target_archE1201ELNS1_3gpuE5ELNS1_3repE0EEENS1_47radix_sort_onesweep_sort_config_static_selectorELNS0_4arch9wavefront6targetE0EEEvSG_.num_named_barrier, 0
	.set _ZN7rocprim17ROCPRIM_400000_NS6detail17trampoline_kernelINS0_14default_configENS1_35radix_sort_onesweep_config_selectorIdNS0_10empty_typeEEEZZNS1_29radix_sort_onesweep_iterationIS3_Lb1EPKdPdPS5_SB_mNS0_19identity_decomposerENS1_16block_id_wrapperIjLb0EEEEE10hipError_tT1_PNSt15iterator_traitsISG_E10value_typeET2_T3_PNSH_ISM_E10value_typeET4_T5_PSR_SS_PNS1_23onesweep_lookback_stateEbbT6_jjT7_P12ihipStream_tbENKUlT_T0_SG_SL_E_clIS9_SA_SB_SB_EEDaSZ_S10_SG_SL_EUlSZ_E_NS1_11comp_targetILNS1_3genE10ELNS1_11target_archE1201ELNS1_3gpuE5ELNS1_3repE0EEENS1_47radix_sort_onesweep_sort_config_static_selectorELNS0_4arch9wavefront6targetE0EEEvSG_.private_seg_size, 0
	.set _ZN7rocprim17ROCPRIM_400000_NS6detail17trampoline_kernelINS0_14default_configENS1_35radix_sort_onesweep_config_selectorIdNS0_10empty_typeEEEZZNS1_29radix_sort_onesweep_iterationIS3_Lb1EPKdPdPS5_SB_mNS0_19identity_decomposerENS1_16block_id_wrapperIjLb0EEEEE10hipError_tT1_PNSt15iterator_traitsISG_E10value_typeET2_T3_PNSH_ISM_E10value_typeET4_T5_PSR_SS_PNS1_23onesweep_lookback_stateEbbT6_jjT7_P12ihipStream_tbENKUlT_T0_SG_SL_E_clIS9_SA_SB_SB_EEDaSZ_S10_SG_SL_EUlSZ_E_NS1_11comp_targetILNS1_3genE10ELNS1_11target_archE1201ELNS1_3gpuE5ELNS1_3repE0EEENS1_47radix_sort_onesweep_sort_config_static_selectorELNS0_4arch9wavefront6targetE0EEEvSG_.uses_vcc, 0
	.set _ZN7rocprim17ROCPRIM_400000_NS6detail17trampoline_kernelINS0_14default_configENS1_35radix_sort_onesweep_config_selectorIdNS0_10empty_typeEEEZZNS1_29radix_sort_onesweep_iterationIS3_Lb1EPKdPdPS5_SB_mNS0_19identity_decomposerENS1_16block_id_wrapperIjLb0EEEEE10hipError_tT1_PNSt15iterator_traitsISG_E10value_typeET2_T3_PNSH_ISM_E10value_typeET4_T5_PSR_SS_PNS1_23onesweep_lookback_stateEbbT6_jjT7_P12ihipStream_tbENKUlT_T0_SG_SL_E_clIS9_SA_SB_SB_EEDaSZ_S10_SG_SL_EUlSZ_E_NS1_11comp_targetILNS1_3genE10ELNS1_11target_archE1201ELNS1_3gpuE5ELNS1_3repE0EEENS1_47radix_sort_onesweep_sort_config_static_selectorELNS0_4arch9wavefront6targetE0EEEvSG_.uses_flat_scratch, 0
	.set _ZN7rocprim17ROCPRIM_400000_NS6detail17trampoline_kernelINS0_14default_configENS1_35radix_sort_onesweep_config_selectorIdNS0_10empty_typeEEEZZNS1_29radix_sort_onesweep_iterationIS3_Lb1EPKdPdPS5_SB_mNS0_19identity_decomposerENS1_16block_id_wrapperIjLb0EEEEE10hipError_tT1_PNSt15iterator_traitsISG_E10value_typeET2_T3_PNSH_ISM_E10value_typeET4_T5_PSR_SS_PNS1_23onesweep_lookback_stateEbbT6_jjT7_P12ihipStream_tbENKUlT_T0_SG_SL_E_clIS9_SA_SB_SB_EEDaSZ_S10_SG_SL_EUlSZ_E_NS1_11comp_targetILNS1_3genE10ELNS1_11target_archE1201ELNS1_3gpuE5ELNS1_3repE0EEENS1_47radix_sort_onesweep_sort_config_static_selectorELNS0_4arch9wavefront6targetE0EEEvSG_.has_dyn_sized_stack, 0
	.set _ZN7rocprim17ROCPRIM_400000_NS6detail17trampoline_kernelINS0_14default_configENS1_35radix_sort_onesweep_config_selectorIdNS0_10empty_typeEEEZZNS1_29radix_sort_onesweep_iterationIS3_Lb1EPKdPdPS5_SB_mNS0_19identity_decomposerENS1_16block_id_wrapperIjLb0EEEEE10hipError_tT1_PNSt15iterator_traitsISG_E10value_typeET2_T3_PNSH_ISM_E10value_typeET4_T5_PSR_SS_PNS1_23onesweep_lookback_stateEbbT6_jjT7_P12ihipStream_tbENKUlT_T0_SG_SL_E_clIS9_SA_SB_SB_EEDaSZ_S10_SG_SL_EUlSZ_E_NS1_11comp_targetILNS1_3genE10ELNS1_11target_archE1201ELNS1_3gpuE5ELNS1_3repE0EEENS1_47radix_sort_onesweep_sort_config_static_selectorELNS0_4arch9wavefront6targetE0EEEvSG_.has_recursion, 0
	.set _ZN7rocprim17ROCPRIM_400000_NS6detail17trampoline_kernelINS0_14default_configENS1_35radix_sort_onesweep_config_selectorIdNS0_10empty_typeEEEZZNS1_29radix_sort_onesweep_iterationIS3_Lb1EPKdPdPS5_SB_mNS0_19identity_decomposerENS1_16block_id_wrapperIjLb0EEEEE10hipError_tT1_PNSt15iterator_traitsISG_E10value_typeET2_T3_PNSH_ISM_E10value_typeET4_T5_PSR_SS_PNS1_23onesweep_lookback_stateEbbT6_jjT7_P12ihipStream_tbENKUlT_T0_SG_SL_E_clIS9_SA_SB_SB_EEDaSZ_S10_SG_SL_EUlSZ_E_NS1_11comp_targetILNS1_3genE10ELNS1_11target_archE1201ELNS1_3gpuE5ELNS1_3repE0EEENS1_47radix_sort_onesweep_sort_config_static_selectorELNS0_4arch9wavefront6targetE0EEEvSG_.has_indirect_call, 0
	.section	.AMDGPU.csdata,"",@progbits
; Kernel info:
; codeLenInByte = 0
; TotalNumSgprs: 0
; NumVgprs: 0
; ScratchSize: 0
; MemoryBound: 0
; FloatMode: 240
; IeeeMode: 1
; LDSByteSize: 0 bytes/workgroup (compile time only)
; SGPRBlocks: 0
; VGPRBlocks: 0
; NumSGPRsForWavesPerEU: 1
; NumVGPRsForWavesPerEU: 1
; NamedBarCnt: 0
; Occupancy: 16
; WaveLimiterHint : 0
; COMPUTE_PGM_RSRC2:SCRATCH_EN: 0
; COMPUTE_PGM_RSRC2:USER_SGPR: 2
; COMPUTE_PGM_RSRC2:TRAP_HANDLER: 0
; COMPUTE_PGM_RSRC2:TGID_X_EN: 1
; COMPUTE_PGM_RSRC2:TGID_Y_EN: 0
; COMPUTE_PGM_RSRC2:TGID_Z_EN: 0
; COMPUTE_PGM_RSRC2:TIDIG_COMP_CNT: 0
	.section	.text._ZN7rocprim17ROCPRIM_400000_NS6detail17trampoline_kernelINS0_14default_configENS1_35radix_sort_onesweep_config_selectorIdNS0_10empty_typeEEEZZNS1_29radix_sort_onesweep_iterationIS3_Lb1EPKdPdPS5_SB_mNS0_19identity_decomposerENS1_16block_id_wrapperIjLb0EEEEE10hipError_tT1_PNSt15iterator_traitsISG_E10value_typeET2_T3_PNSH_ISM_E10value_typeET4_T5_PSR_SS_PNS1_23onesweep_lookback_stateEbbT6_jjT7_P12ihipStream_tbENKUlT_T0_SG_SL_E_clIS9_SA_SB_SB_EEDaSZ_S10_SG_SL_EUlSZ_E_NS1_11comp_targetILNS1_3genE9ELNS1_11target_archE1100ELNS1_3gpuE3ELNS1_3repE0EEENS1_47radix_sort_onesweep_sort_config_static_selectorELNS0_4arch9wavefront6targetE0EEEvSG_,"axG",@progbits,_ZN7rocprim17ROCPRIM_400000_NS6detail17trampoline_kernelINS0_14default_configENS1_35radix_sort_onesweep_config_selectorIdNS0_10empty_typeEEEZZNS1_29radix_sort_onesweep_iterationIS3_Lb1EPKdPdPS5_SB_mNS0_19identity_decomposerENS1_16block_id_wrapperIjLb0EEEEE10hipError_tT1_PNSt15iterator_traitsISG_E10value_typeET2_T3_PNSH_ISM_E10value_typeET4_T5_PSR_SS_PNS1_23onesweep_lookback_stateEbbT6_jjT7_P12ihipStream_tbENKUlT_T0_SG_SL_E_clIS9_SA_SB_SB_EEDaSZ_S10_SG_SL_EUlSZ_E_NS1_11comp_targetILNS1_3genE9ELNS1_11target_archE1100ELNS1_3gpuE3ELNS1_3repE0EEENS1_47radix_sort_onesweep_sort_config_static_selectorELNS0_4arch9wavefront6targetE0EEEvSG_,comdat
	.protected	_ZN7rocprim17ROCPRIM_400000_NS6detail17trampoline_kernelINS0_14default_configENS1_35radix_sort_onesweep_config_selectorIdNS0_10empty_typeEEEZZNS1_29radix_sort_onesweep_iterationIS3_Lb1EPKdPdPS5_SB_mNS0_19identity_decomposerENS1_16block_id_wrapperIjLb0EEEEE10hipError_tT1_PNSt15iterator_traitsISG_E10value_typeET2_T3_PNSH_ISM_E10value_typeET4_T5_PSR_SS_PNS1_23onesweep_lookback_stateEbbT6_jjT7_P12ihipStream_tbENKUlT_T0_SG_SL_E_clIS9_SA_SB_SB_EEDaSZ_S10_SG_SL_EUlSZ_E_NS1_11comp_targetILNS1_3genE9ELNS1_11target_archE1100ELNS1_3gpuE3ELNS1_3repE0EEENS1_47radix_sort_onesweep_sort_config_static_selectorELNS0_4arch9wavefront6targetE0EEEvSG_ ; -- Begin function _ZN7rocprim17ROCPRIM_400000_NS6detail17trampoline_kernelINS0_14default_configENS1_35radix_sort_onesweep_config_selectorIdNS0_10empty_typeEEEZZNS1_29radix_sort_onesweep_iterationIS3_Lb1EPKdPdPS5_SB_mNS0_19identity_decomposerENS1_16block_id_wrapperIjLb0EEEEE10hipError_tT1_PNSt15iterator_traitsISG_E10value_typeET2_T3_PNSH_ISM_E10value_typeET4_T5_PSR_SS_PNS1_23onesweep_lookback_stateEbbT6_jjT7_P12ihipStream_tbENKUlT_T0_SG_SL_E_clIS9_SA_SB_SB_EEDaSZ_S10_SG_SL_EUlSZ_E_NS1_11comp_targetILNS1_3genE9ELNS1_11target_archE1100ELNS1_3gpuE3ELNS1_3repE0EEENS1_47radix_sort_onesweep_sort_config_static_selectorELNS0_4arch9wavefront6targetE0EEEvSG_
	.globl	_ZN7rocprim17ROCPRIM_400000_NS6detail17trampoline_kernelINS0_14default_configENS1_35radix_sort_onesweep_config_selectorIdNS0_10empty_typeEEEZZNS1_29radix_sort_onesweep_iterationIS3_Lb1EPKdPdPS5_SB_mNS0_19identity_decomposerENS1_16block_id_wrapperIjLb0EEEEE10hipError_tT1_PNSt15iterator_traitsISG_E10value_typeET2_T3_PNSH_ISM_E10value_typeET4_T5_PSR_SS_PNS1_23onesweep_lookback_stateEbbT6_jjT7_P12ihipStream_tbENKUlT_T0_SG_SL_E_clIS9_SA_SB_SB_EEDaSZ_S10_SG_SL_EUlSZ_E_NS1_11comp_targetILNS1_3genE9ELNS1_11target_archE1100ELNS1_3gpuE3ELNS1_3repE0EEENS1_47radix_sort_onesweep_sort_config_static_selectorELNS0_4arch9wavefront6targetE0EEEvSG_
	.p2align	8
	.type	_ZN7rocprim17ROCPRIM_400000_NS6detail17trampoline_kernelINS0_14default_configENS1_35radix_sort_onesweep_config_selectorIdNS0_10empty_typeEEEZZNS1_29radix_sort_onesweep_iterationIS3_Lb1EPKdPdPS5_SB_mNS0_19identity_decomposerENS1_16block_id_wrapperIjLb0EEEEE10hipError_tT1_PNSt15iterator_traitsISG_E10value_typeET2_T3_PNSH_ISM_E10value_typeET4_T5_PSR_SS_PNS1_23onesweep_lookback_stateEbbT6_jjT7_P12ihipStream_tbENKUlT_T0_SG_SL_E_clIS9_SA_SB_SB_EEDaSZ_S10_SG_SL_EUlSZ_E_NS1_11comp_targetILNS1_3genE9ELNS1_11target_archE1100ELNS1_3gpuE3ELNS1_3repE0EEENS1_47radix_sort_onesweep_sort_config_static_selectorELNS0_4arch9wavefront6targetE0EEEvSG_,@function
_ZN7rocprim17ROCPRIM_400000_NS6detail17trampoline_kernelINS0_14default_configENS1_35radix_sort_onesweep_config_selectorIdNS0_10empty_typeEEEZZNS1_29radix_sort_onesweep_iterationIS3_Lb1EPKdPdPS5_SB_mNS0_19identity_decomposerENS1_16block_id_wrapperIjLb0EEEEE10hipError_tT1_PNSt15iterator_traitsISG_E10value_typeET2_T3_PNSH_ISM_E10value_typeET4_T5_PSR_SS_PNS1_23onesweep_lookback_stateEbbT6_jjT7_P12ihipStream_tbENKUlT_T0_SG_SL_E_clIS9_SA_SB_SB_EEDaSZ_S10_SG_SL_EUlSZ_E_NS1_11comp_targetILNS1_3genE9ELNS1_11target_archE1100ELNS1_3gpuE3ELNS1_3repE0EEENS1_47radix_sort_onesweep_sort_config_static_selectorELNS0_4arch9wavefront6targetE0EEEvSG_: ; @_ZN7rocprim17ROCPRIM_400000_NS6detail17trampoline_kernelINS0_14default_configENS1_35radix_sort_onesweep_config_selectorIdNS0_10empty_typeEEEZZNS1_29radix_sort_onesweep_iterationIS3_Lb1EPKdPdPS5_SB_mNS0_19identity_decomposerENS1_16block_id_wrapperIjLb0EEEEE10hipError_tT1_PNSt15iterator_traitsISG_E10value_typeET2_T3_PNSH_ISM_E10value_typeET4_T5_PSR_SS_PNS1_23onesweep_lookback_stateEbbT6_jjT7_P12ihipStream_tbENKUlT_T0_SG_SL_E_clIS9_SA_SB_SB_EEDaSZ_S10_SG_SL_EUlSZ_E_NS1_11comp_targetILNS1_3genE9ELNS1_11target_archE1100ELNS1_3gpuE3ELNS1_3repE0EEENS1_47radix_sort_onesweep_sort_config_static_selectorELNS0_4arch9wavefront6targetE0EEEvSG_
; %bb.0:
	.section	.rodata,"a",@progbits
	.p2align	6, 0x0
	.amdhsa_kernel _ZN7rocprim17ROCPRIM_400000_NS6detail17trampoline_kernelINS0_14default_configENS1_35radix_sort_onesweep_config_selectorIdNS0_10empty_typeEEEZZNS1_29radix_sort_onesweep_iterationIS3_Lb1EPKdPdPS5_SB_mNS0_19identity_decomposerENS1_16block_id_wrapperIjLb0EEEEE10hipError_tT1_PNSt15iterator_traitsISG_E10value_typeET2_T3_PNSH_ISM_E10value_typeET4_T5_PSR_SS_PNS1_23onesweep_lookback_stateEbbT6_jjT7_P12ihipStream_tbENKUlT_T0_SG_SL_E_clIS9_SA_SB_SB_EEDaSZ_S10_SG_SL_EUlSZ_E_NS1_11comp_targetILNS1_3genE9ELNS1_11target_archE1100ELNS1_3gpuE3ELNS1_3repE0EEENS1_47radix_sort_onesweep_sort_config_static_selectorELNS0_4arch9wavefront6targetE0EEEvSG_
		.amdhsa_group_segment_fixed_size 0
		.amdhsa_private_segment_fixed_size 0
		.amdhsa_kernarg_size 88
		.amdhsa_user_sgpr_count 2
		.amdhsa_user_sgpr_dispatch_ptr 0
		.amdhsa_user_sgpr_queue_ptr 0
		.amdhsa_user_sgpr_kernarg_segment_ptr 1
		.amdhsa_user_sgpr_dispatch_id 0
		.amdhsa_user_sgpr_kernarg_preload_length 0
		.amdhsa_user_sgpr_kernarg_preload_offset 0
		.amdhsa_user_sgpr_private_segment_size 0
		.amdhsa_wavefront_size32 1
		.amdhsa_uses_dynamic_stack 0
		.amdhsa_enable_private_segment 0
		.amdhsa_system_sgpr_workgroup_id_x 1
		.amdhsa_system_sgpr_workgroup_id_y 0
		.amdhsa_system_sgpr_workgroup_id_z 0
		.amdhsa_system_sgpr_workgroup_info 0
		.amdhsa_system_vgpr_workitem_id 0
		.amdhsa_next_free_vgpr 1
		.amdhsa_next_free_sgpr 1
		.amdhsa_named_barrier_count 0
		.amdhsa_reserve_vcc 0
		.amdhsa_float_round_mode_32 0
		.amdhsa_float_round_mode_16_64 0
		.amdhsa_float_denorm_mode_32 3
		.amdhsa_float_denorm_mode_16_64 3
		.amdhsa_fp16_overflow 0
		.amdhsa_memory_ordered 1
		.amdhsa_forward_progress 1
		.amdhsa_inst_pref_size 0
		.amdhsa_round_robin_scheduling 0
		.amdhsa_exception_fp_ieee_invalid_op 0
		.amdhsa_exception_fp_denorm_src 0
		.amdhsa_exception_fp_ieee_div_zero 0
		.amdhsa_exception_fp_ieee_overflow 0
		.amdhsa_exception_fp_ieee_underflow 0
		.amdhsa_exception_fp_ieee_inexact 0
		.amdhsa_exception_int_div_zero 0
	.end_amdhsa_kernel
	.section	.text._ZN7rocprim17ROCPRIM_400000_NS6detail17trampoline_kernelINS0_14default_configENS1_35radix_sort_onesweep_config_selectorIdNS0_10empty_typeEEEZZNS1_29radix_sort_onesweep_iterationIS3_Lb1EPKdPdPS5_SB_mNS0_19identity_decomposerENS1_16block_id_wrapperIjLb0EEEEE10hipError_tT1_PNSt15iterator_traitsISG_E10value_typeET2_T3_PNSH_ISM_E10value_typeET4_T5_PSR_SS_PNS1_23onesweep_lookback_stateEbbT6_jjT7_P12ihipStream_tbENKUlT_T0_SG_SL_E_clIS9_SA_SB_SB_EEDaSZ_S10_SG_SL_EUlSZ_E_NS1_11comp_targetILNS1_3genE9ELNS1_11target_archE1100ELNS1_3gpuE3ELNS1_3repE0EEENS1_47radix_sort_onesweep_sort_config_static_selectorELNS0_4arch9wavefront6targetE0EEEvSG_,"axG",@progbits,_ZN7rocprim17ROCPRIM_400000_NS6detail17trampoline_kernelINS0_14default_configENS1_35radix_sort_onesweep_config_selectorIdNS0_10empty_typeEEEZZNS1_29radix_sort_onesweep_iterationIS3_Lb1EPKdPdPS5_SB_mNS0_19identity_decomposerENS1_16block_id_wrapperIjLb0EEEEE10hipError_tT1_PNSt15iterator_traitsISG_E10value_typeET2_T3_PNSH_ISM_E10value_typeET4_T5_PSR_SS_PNS1_23onesweep_lookback_stateEbbT6_jjT7_P12ihipStream_tbENKUlT_T0_SG_SL_E_clIS9_SA_SB_SB_EEDaSZ_S10_SG_SL_EUlSZ_E_NS1_11comp_targetILNS1_3genE9ELNS1_11target_archE1100ELNS1_3gpuE3ELNS1_3repE0EEENS1_47radix_sort_onesweep_sort_config_static_selectorELNS0_4arch9wavefront6targetE0EEEvSG_,comdat
.Lfunc_end1543:
	.size	_ZN7rocprim17ROCPRIM_400000_NS6detail17trampoline_kernelINS0_14default_configENS1_35radix_sort_onesweep_config_selectorIdNS0_10empty_typeEEEZZNS1_29radix_sort_onesweep_iterationIS3_Lb1EPKdPdPS5_SB_mNS0_19identity_decomposerENS1_16block_id_wrapperIjLb0EEEEE10hipError_tT1_PNSt15iterator_traitsISG_E10value_typeET2_T3_PNSH_ISM_E10value_typeET4_T5_PSR_SS_PNS1_23onesweep_lookback_stateEbbT6_jjT7_P12ihipStream_tbENKUlT_T0_SG_SL_E_clIS9_SA_SB_SB_EEDaSZ_S10_SG_SL_EUlSZ_E_NS1_11comp_targetILNS1_3genE9ELNS1_11target_archE1100ELNS1_3gpuE3ELNS1_3repE0EEENS1_47radix_sort_onesweep_sort_config_static_selectorELNS0_4arch9wavefront6targetE0EEEvSG_, .Lfunc_end1543-_ZN7rocprim17ROCPRIM_400000_NS6detail17trampoline_kernelINS0_14default_configENS1_35radix_sort_onesweep_config_selectorIdNS0_10empty_typeEEEZZNS1_29radix_sort_onesweep_iterationIS3_Lb1EPKdPdPS5_SB_mNS0_19identity_decomposerENS1_16block_id_wrapperIjLb0EEEEE10hipError_tT1_PNSt15iterator_traitsISG_E10value_typeET2_T3_PNSH_ISM_E10value_typeET4_T5_PSR_SS_PNS1_23onesweep_lookback_stateEbbT6_jjT7_P12ihipStream_tbENKUlT_T0_SG_SL_E_clIS9_SA_SB_SB_EEDaSZ_S10_SG_SL_EUlSZ_E_NS1_11comp_targetILNS1_3genE9ELNS1_11target_archE1100ELNS1_3gpuE3ELNS1_3repE0EEENS1_47radix_sort_onesweep_sort_config_static_selectorELNS0_4arch9wavefront6targetE0EEEvSG_
                                        ; -- End function
	.set _ZN7rocprim17ROCPRIM_400000_NS6detail17trampoline_kernelINS0_14default_configENS1_35radix_sort_onesweep_config_selectorIdNS0_10empty_typeEEEZZNS1_29radix_sort_onesweep_iterationIS3_Lb1EPKdPdPS5_SB_mNS0_19identity_decomposerENS1_16block_id_wrapperIjLb0EEEEE10hipError_tT1_PNSt15iterator_traitsISG_E10value_typeET2_T3_PNSH_ISM_E10value_typeET4_T5_PSR_SS_PNS1_23onesweep_lookback_stateEbbT6_jjT7_P12ihipStream_tbENKUlT_T0_SG_SL_E_clIS9_SA_SB_SB_EEDaSZ_S10_SG_SL_EUlSZ_E_NS1_11comp_targetILNS1_3genE9ELNS1_11target_archE1100ELNS1_3gpuE3ELNS1_3repE0EEENS1_47radix_sort_onesweep_sort_config_static_selectorELNS0_4arch9wavefront6targetE0EEEvSG_.num_vgpr, 0
	.set _ZN7rocprim17ROCPRIM_400000_NS6detail17trampoline_kernelINS0_14default_configENS1_35radix_sort_onesweep_config_selectorIdNS0_10empty_typeEEEZZNS1_29radix_sort_onesweep_iterationIS3_Lb1EPKdPdPS5_SB_mNS0_19identity_decomposerENS1_16block_id_wrapperIjLb0EEEEE10hipError_tT1_PNSt15iterator_traitsISG_E10value_typeET2_T3_PNSH_ISM_E10value_typeET4_T5_PSR_SS_PNS1_23onesweep_lookback_stateEbbT6_jjT7_P12ihipStream_tbENKUlT_T0_SG_SL_E_clIS9_SA_SB_SB_EEDaSZ_S10_SG_SL_EUlSZ_E_NS1_11comp_targetILNS1_3genE9ELNS1_11target_archE1100ELNS1_3gpuE3ELNS1_3repE0EEENS1_47radix_sort_onesweep_sort_config_static_selectorELNS0_4arch9wavefront6targetE0EEEvSG_.num_agpr, 0
	.set _ZN7rocprim17ROCPRIM_400000_NS6detail17trampoline_kernelINS0_14default_configENS1_35radix_sort_onesweep_config_selectorIdNS0_10empty_typeEEEZZNS1_29radix_sort_onesweep_iterationIS3_Lb1EPKdPdPS5_SB_mNS0_19identity_decomposerENS1_16block_id_wrapperIjLb0EEEEE10hipError_tT1_PNSt15iterator_traitsISG_E10value_typeET2_T3_PNSH_ISM_E10value_typeET4_T5_PSR_SS_PNS1_23onesweep_lookback_stateEbbT6_jjT7_P12ihipStream_tbENKUlT_T0_SG_SL_E_clIS9_SA_SB_SB_EEDaSZ_S10_SG_SL_EUlSZ_E_NS1_11comp_targetILNS1_3genE9ELNS1_11target_archE1100ELNS1_3gpuE3ELNS1_3repE0EEENS1_47radix_sort_onesweep_sort_config_static_selectorELNS0_4arch9wavefront6targetE0EEEvSG_.numbered_sgpr, 0
	.set _ZN7rocprim17ROCPRIM_400000_NS6detail17trampoline_kernelINS0_14default_configENS1_35radix_sort_onesweep_config_selectorIdNS0_10empty_typeEEEZZNS1_29radix_sort_onesweep_iterationIS3_Lb1EPKdPdPS5_SB_mNS0_19identity_decomposerENS1_16block_id_wrapperIjLb0EEEEE10hipError_tT1_PNSt15iterator_traitsISG_E10value_typeET2_T3_PNSH_ISM_E10value_typeET4_T5_PSR_SS_PNS1_23onesweep_lookback_stateEbbT6_jjT7_P12ihipStream_tbENKUlT_T0_SG_SL_E_clIS9_SA_SB_SB_EEDaSZ_S10_SG_SL_EUlSZ_E_NS1_11comp_targetILNS1_3genE9ELNS1_11target_archE1100ELNS1_3gpuE3ELNS1_3repE0EEENS1_47radix_sort_onesweep_sort_config_static_selectorELNS0_4arch9wavefront6targetE0EEEvSG_.num_named_barrier, 0
	.set _ZN7rocprim17ROCPRIM_400000_NS6detail17trampoline_kernelINS0_14default_configENS1_35radix_sort_onesweep_config_selectorIdNS0_10empty_typeEEEZZNS1_29radix_sort_onesweep_iterationIS3_Lb1EPKdPdPS5_SB_mNS0_19identity_decomposerENS1_16block_id_wrapperIjLb0EEEEE10hipError_tT1_PNSt15iterator_traitsISG_E10value_typeET2_T3_PNSH_ISM_E10value_typeET4_T5_PSR_SS_PNS1_23onesweep_lookback_stateEbbT6_jjT7_P12ihipStream_tbENKUlT_T0_SG_SL_E_clIS9_SA_SB_SB_EEDaSZ_S10_SG_SL_EUlSZ_E_NS1_11comp_targetILNS1_3genE9ELNS1_11target_archE1100ELNS1_3gpuE3ELNS1_3repE0EEENS1_47radix_sort_onesweep_sort_config_static_selectorELNS0_4arch9wavefront6targetE0EEEvSG_.private_seg_size, 0
	.set _ZN7rocprim17ROCPRIM_400000_NS6detail17trampoline_kernelINS0_14default_configENS1_35radix_sort_onesweep_config_selectorIdNS0_10empty_typeEEEZZNS1_29radix_sort_onesweep_iterationIS3_Lb1EPKdPdPS5_SB_mNS0_19identity_decomposerENS1_16block_id_wrapperIjLb0EEEEE10hipError_tT1_PNSt15iterator_traitsISG_E10value_typeET2_T3_PNSH_ISM_E10value_typeET4_T5_PSR_SS_PNS1_23onesweep_lookback_stateEbbT6_jjT7_P12ihipStream_tbENKUlT_T0_SG_SL_E_clIS9_SA_SB_SB_EEDaSZ_S10_SG_SL_EUlSZ_E_NS1_11comp_targetILNS1_3genE9ELNS1_11target_archE1100ELNS1_3gpuE3ELNS1_3repE0EEENS1_47radix_sort_onesweep_sort_config_static_selectorELNS0_4arch9wavefront6targetE0EEEvSG_.uses_vcc, 0
	.set _ZN7rocprim17ROCPRIM_400000_NS6detail17trampoline_kernelINS0_14default_configENS1_35radix_sort_onesweep_config_selectorIdNS0_10empty_typeEEEZZNS1_29radix_sort_onesweep_iterationIS3_Lb1EPKdPdPS5_SB_mNS0_19identity_decomposerENS1_16block_id_wrapperIjLb0EEEEE10hipError_tT1_PNSt15iterator_traitsISG_E10value_typeET2_T3_PNSH_ISM_E10value_typeET4_T5_PSR_SS_PNS1_23onesweep_lookback_stateEbbT6_jjT7_P12ihipStream_tbENKUlT_T0_SG_SL_E_clIS9_SA_SB_SB_EEDaSZ_S10_SG_SL_EUlSZ_E_NS1_11comp_targetILNS1_3genE9ELNS1_11target_archE1100ELNS1_3gpuE3ELNS1_3repE0EEENS1_47radix_sort_onesweep_sort_config_static_selectorELNS0_4arch9wavefront6targetE0EEEvSG_.uses_flat_scratch, 0
	.set _ZN7rocprim17ROCPRIM_400000_NS6detail17trampoline_kernelINS0_14default_configENS1_35radix_sort_onesweep_config_selectorIdNS0_10empty_typeEEEZZNS1_29radix_sort_onesweep_iterationIS3_Lb1EPKdPdPS5_SB_mNS0_19identity_decomposerENS1_16block_id_wrapperIjLb0EEEEE10hipError_tT1_PNSt15iterator_traitsISG_E10value_typeET2_T3_PNSH_ISM_E10value_typeET4_T5_PSR_SS_PNS1_23onesweep_lookback_stateEbbT6_jjT7_P12ihipStream_tbENKUlT_T0_SG_SL_E_clIS9_SA_SB_SB_EEDaSZ_S10_SG_SL_EUlSZ_E_NS1_11comp_targetILNS1_3genE9ELNS1_11target_archE1100ELNS1_3gpuE3ELNS1_3repE0EEENS1_47radix_sort_onesweep_sort_config_static_selectorELNS0_4arch9wavefront6targetE0EEEvSG_.has_dyn_sized_stack, 0
	.set _ZN7rocprim17ROCPRIM_400000_NS6detail17trampoline_kernelINS0_14default_configENS1_35radix_sort_onesweep_config_selectorIdNS0_10empty_typeEEEZZNS1_29radix_sort_onesweep_iterationIS3_Lb1EPKdPdPS5_SB_mNS0_19identity_decomposerENS1_16block_id_wrapperIjLb0EEEEE10hipError_tT1_PNSt15iterator_traitsISG_E10value_typeET2_T3_PNSH_ISM_E10value_typeET4_T5_PSR_SS_PNS1_23onesweep_lookback_stateEbbT6_jjT7_P12ihipStream_tbENKUlT_T0_SG_SL_E_clIS9_SA_SB_SB_EEDaSZ_S10_SG_SL_EUlSZ_E_NS1_11comp_targetILNS1_3genE9ELNS1_11target_archE1100ELNS1_3gpuE3ELNS1_3repE0EEENS1_47radix_sort_onesweep_sort_config_static_selectorELNS0_4arch9wavefront6targetE0EEEvSG_.has_recursion, 0
	.set _ZN7rocprim17ROCPRIM_400000_NS6detail17trampoline_kernelINS0_14default_configENS1_35radix_sort_onesweep_config_selectorIdNS0_10empty_typeEEEZZNS1_29radix_sort_onesweep_iterationIS3_Lb1EPKdPdPS5_SB_mNS0_19identity_decomposerENS1_16block_id_wrapperIjLb0EEEEE10hipError_tT1_PNSt15iterator_traitsISG_E10value_typeET2_T3_PNSH_ISM_E10value_typeET4_T5_PSR_SS_PNS1_23onesweep_lookback_stateEbbT6_jjT7_P12ihipStream_tbENKUlT_T0_SG_SL_E_clIS9_SA_SB_SB_EEDaSZ_S10_SG_SL_EUlSZ_E_NS1_11comp_targetILNS1_3genE9ELNS1_11target_archE1100ELNS1_3gpuE3ELNS1_3repE0EEENS1_47radix_sort_onesweep_sort_config_static_selectorELNS0_4arch9wavefront6targetE0EEEvSG_.has_indirect_call, 0
	.section	.AMDGPU.csdata,"",@progbits
; Kernel info:
; codeLenInByte = 0
; TotalNumSgprs: 0
; NumVgprs: 0
; ScratchSize: 0
; MemoryBound: 0
; FloatMode: 240
; IeeeMode: 1
; LDSByteSize: 0 bytes/workgroup (compile time only)
; SGPRBlocks: 0
; VGPRBlocks: 0
; NumSGPRsForWavesPerEU: 1
; NumVGPRsForWavesPerEU: 1
; NamedBarCnt: 0
; Occupancy: 16
; WaveLimiterHint : 0
; COMPUTE_PGM_RSRC2:SCRATCH_EN: 0
; COMPUTE_PGM_RSRC2:USER_SGPR: 2
; COMPUTE_PGM_RSRC2:TRAP_HANDLER: 0
; COMPUTE_PGM_RSRC2:TGID_X_EN: 1
; COMPUTE_PGM_RSRC2:TGID_Y_EN: 0
; COMPUTE_PGM_RSRC2:TGID_Z_EN: 0
; COMPUTE_PGM_RSRC2:TIDIG_COMP_CNT: 0
	.section	.text._ZN7rocprim17ROCPRIM_400000_NS6detail17trampoline_kernelINS0_14default_configENS1_35radix_sort_onesweep_config_selectorIdNS0_10empty_typeEEEZZNS1_29radix_sort_onesweep_iterationIS3_Lb1EPKdPdPS5_SB_mNS0_19identity_decomposerENS1_16block_id_wrapperIjLb0EEEEE10hipError_tT1_PNSt15iterator_traitsISG_E10value_typeET2_T3_PNSH_ISM_E10value_typeET4_T5_PSR_SS_PNS1_23onesweep_lookback_stateEbbT6_jjT7_P12ihipStream_tbENKUlT_T0_SG_SL_E_clIS9_SA_SB_SB_EEDaSZ_S10_SG_SL_EUlSZ_E_NS1_11comp_targetILNS1_3genE8ELNS1_11target_archE1030ELNS1_3gpuE2ELNS1_3repE0EEENS1_47radix_sort_onesweep_sort_config_static_selectorELNS0_4arch9wavefront6targetE0EEEvSG_,"axG",@progbits,_ZN7rocprim17ROCPRIM_400000_NS6detail17trampoline_kernelINS0_14default_configENS1_35radix_sort_onesweep_config_selectorIdNS0_10empty_typeEEEZZNS1_29radix_sort_onesweep_iterationIS3_Lb1EPKdPdPS5_SB_mNS0_19identity_decomposerENS1_16block_id_wrapperIjLb0EEEEE10hipError_tT1_PNSt15iterator_traitsISG_E10value_typeET2_T3_PNSH_ISM_E10value_typeET4_T5_PSR_SS_PNS1_23onesweep_lookback_stateEbbT6_jjT7_P12ihipStream_tbENKUlT_T0_SG_SL_E_clIS9_SA_SB_SB_EEDaSZ_S10_SG_SL_EUlSZ_E_NS1_11comp_targetILNS1_3genE8ELNS1_11target_archE1030ELNS1_3gpuE2ELNS1_3repE0EEENS1_47radix_sort_onesweep_sort_config_static_selectorELNS0_4arch9wavefront6targetE0EEEvSG_,comdat
	.protected	_ZN7rocprim17ROCPRIM_400000_NS6detail17trampoline_kernelINS0_14default_configENS1_35radix_sort_onesweep_config_selectorIdNS0_10empty_typeEEEZZNS1_29radix_sort_onesweep_iterationIS3_Lb1EPKdPdPS5_SB_mNS0_19identity_decomposerENS1_16block_id_wrapperIjLb0EEEEE10hipError_tT1_PNSt15iterator_traitsISG_E10value_typeET2_T3_PNSH_ISM_E10value_typeET4_T5_PSR_SS_PNS1_23onesweep_lookback_stateEbbT6_jjT7_P12ihipStream_tbENKUlT_T0_SG_SL_E_clIS9_SA_SB_SB_EEDaSZ_S10_SG_SL_EUlSZ_E_NS1_11comp_targetILNS1_3genE8ELNS1_11target_archE1030ELNS1_3gpuE2ELNS1_3repE0EEENS1_47radix_sort_onesweep_sort_config_static_selectorELNS0_4arch9wavefront6targetE0EEEvSG_ ; -- Begin function _ZN7rocprim17ROCPRIM_400000_NS6detail17trampoline_kernelINS0_14default_configENS1_35radix_sort_onesweep_config_selectorIdNS0_10empty_typeEEEZZNS1_29radix_sort_onesweep_iterationIS3_Lb1EPKdPdPS5_SB_mNS0_19identity_decomposerENS1_16block_id_wrapperIjLb0EEEEE10hipError_tT1_PNSt15iterator_traitsISG_E10value_typeET2_T3_PNSH_ISM_E10value_typeET4_T5_PSR_SS_PNS1_23onesweep_lookback_stateEbbT6_jjT7_P12ihipStream_tbENKUlT_T0_SG_SL_E_clIS9_SA_SB_SB_EEDaSZ_S10_SG_SL_EUlSZ_E_NS1_11comp_targetILNS1_3genE8ELNS1_11target_archE1030ELNS1_3gpuE2ELNS1_3repE0EEENS1_47radix_sort_onesweep_sort_config_static_selectorELNS0_4arch9wavefront6targetE0EEEvSG_
	.globl	_ZN7rocprim17ROCPRIM_400000_NS6detail17trampoline_kernelINS0_14default_configENS1_35radix_sort_onesweep_config_selectorIdNS0_10empty_typeEEEZZNS1_29radix_sort_onesweep_iterationIS3_Lb1EPKdPdPS5_SB_mNS0_19identity_decomposerENS1_16block_id_wrapperIjLb0EEEEE10hipError_tT1_PNSt15iterator_traitsISG_E10value_typeET2_T3_PNSH_ISM_E10value_typeET4_T5_PSR_SS_PNS1_23onesweep_lookback_stateEbbT6_jjT7_P12ihipStream_tbENKUlT_T0_SG_SL_E_clIS9_SA_SB_SB_EEDaSZ_S10_SG_SL_EUlSZ_E_NS1_11comp_targetILNS1_3genE8ELNS1_11target_archE1030ELNS1_3gpuE2ELNS1_3repE0EEENS1_47radix_sort_onesweep_sort_config_static_selectorELNS0_4arch9wavefront6targetE0EEEvSG_
	.p2align	8
	.type	_ZN7rocprim17ROCPRIM_400000_NS6detail17trampoline_kernelINS0_14default_configENS1_35radix_sort_onesweep_config_selectorIdNS0_10empty_typeEEEZZNS1_29radix_sort_onesweep_iterationIS3_Lb1EPKdPdPS5_SB_mNS0_19identity_decomposerENS1_16block_id_wrapperIjLb0EEEEE10hipError_tT1_PNSt15iterator_traitsISG_E10value_typeET2_T3_PNSH_ISM_E10value_typeET4_T5_PSR_SS_PNS1_23onesweep_lookback_stateEbbT6_jjT7_P12ihipStream_tbENKUlT_T0_SG_SL_E_clIS9_SA_SB_SB_EEDaSZ_S10_SG_SL_EUlSZ_E_NS1_11comp_targetILNS1_3genE8ELNS1_11target_archE1030ELNS1_3gpuE2ELNS1_3repE0EEENS1_47radix_sort_onesweep_sort_config_static_selectorELNS0_4arch9wavefront6targetE0EEEvSG_,@function
_ZN7rocprim17ROCPRIM_400000_NS6detail17trampoline_kernelINS0_14default_configENS1_35radix_sort_onesweep_config_selectorIdNS0_10empty_typeEEEZZNS1_29radix_sort_onesweep_iterationIS3_Lb1EPKdPdPS5_SB_mNS0_19identity_decomposerENS1_16block_id_wrapperIjLb0EEEEE10hipError_tT1_PNSt15iterator_traitsISG_E10value_typeET2_T3_PNSH_ISM_E10value_typeET4_T5_PSR_SS_PNS1_23onesweep_lookback_stateEbbT6_jjT7_P12ihipStream_tbENKUlT_T0_SG_SL_E_clIS9_SA_SB_SB_EEDaSZ_S10_SG_SL_EUlSZ_E_NS1_11comp_targetILNS1_3genE8ELNS1_11target_archE1030ELNS1_3gpuE2ELNS1_3repE0EEENS1_47radix_sort_onesweep_sort_config_static_selectorELNS0_4arch9wavefront6targetE0EEEvSG_: ; @_ZN7rocprim17ROCPRIM_400000_NS6detail17trampoline_kernelINS0_14default_configENS1_35radix_sort_onesweep_config_selectorIdNS0_10empty_typeEEEZZNS1_29radix_sort_onesweep_iterationIS3_Lb1EPKdPdPS5_SB_mNS0_19identity_decomposerENS1_16block_id_wrapperIjLb0EEEEE10hipError_tT1_PNSt15iterator_traitsISG_E10value_typeET2_T3_PNSH_ISM_E10value_typeET4_T5_PSR_SS_PNS1_23onesweep_lookback_stateEbbT6_jjT7_P12ihipStream_tbENKUlT_T0_SG_SL_E_clIS9_SA_SB_SB_EEDaSZ_S10_SG_SL_EUlSZ_E_NS1_11comp_targetILNS1_3genE8ELNS1_11target_archE1030ELNS1_3gpuE2ELNS1_3repE0EEENS1_47radix_sort_onesweep_sort_config_static_selectorELNS0_4arch9wavefront6targetE0EEEvSG_
; %bb.0:
	.section	.rodata,"a",@progbits
	.p2align	6, 0x0
	.amdhsa_kernel _ZN7rocprim17ROCPRIM_400000_NS6detail17trampoline_kernelINS0_14default_configENS1_35radix_sort_onesweep_config_selectorIdNS0_10empty_typeEEEZZNS1_29radix_sort_onesweep_iterationIS3_Lb1EPKdPdPS5_SB_mNS0_19identity_decomposerENS1_16block_id_wrapperIjLb0EEEEE10hipError_tT1_PNSt15iterator_traitsISG_E10value_typeET2_T3_PNSH_ISM_E10value_typeET4_T5_PSR_SS_PNS1_23onesweep_lookback_stateEbbT6_jjT7_P12ihipStream_tbENKUlT_T0_SG_SL_E_clIS9_SA_SB_SB_EEDaSZ_S10_SG_SL_EUlSZ_E_NS1_11comp_targetILNS1_3genE8ELNS1_11target_archE1030ELNS1_3gpuE2ELNS1_3repE0EEENS1_47radix_sort_onesweep_sort_config_static_selectorELNS0_4arch9wavefront6targetE0EEEvSG_
		.amdhsa_group_segment_fixed_size 0
		.amdhsa_private_segment_fixed_size 0
		.amdhsa_kernarg_size 88
		.amdhsa_user_sgpr_count 2
		.amdhsa_user_sgpr_dispatch_ptr 0
		.amdhsa_user_sgpr_queue_ptr 0
		.amdhsa_user_sgpr_kernarg_segment_ptr 1
		.amdhsa_user_sgpr_dispatch_id 0
		.amdhsa_user_sgpr_kernarg_preload_length 0
		.amdhsa_user_sgpr_kernarg_preload_offset 0
		.amdhsa_user_sgpr_private_segment_size 0
		.amdhsa_wavefront_size32 1
		.amdhsa_uses_dynamic_stack 0
		.amdhsa_enable_private_segment 0
		.amdhsa_system_sgpr_workgroup_id_x 1
		.amdhsa_system_sgpr_workgroup_id_y 0
		.amdhsa_system_sgpr_workgroup_id_z 0
		.amdhsa_system_sgpr_workgroup_info 0
		.amdhsa_system_vgpr_workitem_id 0
		.amdhsa_next_free_vgpr 1
		.amdhsa_next_free_sgpr 1
		.amdhsa_named_barrier_count 0
		.amdhsa_reserve_vcc 0
		.amdhsa_float_round_mode_32 0
		.amdhsa_float_round_mode_16_64 0
		.amdhsa_float_denorm_mode_32 3
		.amdhsa_float_denorm_mode_16_64 3
		.amdhsa_fp16_overflow 0
		.amdhsa_memory_ordered 1
		.amdhsa_forward_progress 1
		.amdhsa_inst_pref_size 0
		.amdhsa_round_robin_scheduling 0
		.amdhsa_exception_fp_ieee_invalid_op 0
		.amdhsa_exception_fp_denorm_src 0
		.amdhsa_exception_fp_ieee_div_zero 0
		.amdhsa_exception_fp_ieee_overflow 0
		.amdhsa_exception_fp_ieee_underflow 0
		.amdhsa_exception_fp_ieee_inexact 0
		.amdhsa_exception_int_div_zero 0
	.end_amdhsa_kernel
	.section	.text._ZN7rocprim17ROCPRIM_400000_NS6detail17trampoline_kernelINS0_14default_configENS1_35radix_sort_onesweep_config_selectorIdNS0_10empty_typeEEEZZNS1_29radix_sort_onesweep_iterationIS3_Lb1EPKdPdPS5_SB_mNS0_19identity_decomposerENS1_16block_id_wrapperIjLb0EEEEE10hipError_tT1_PNSt15iterator_traitsISG_E10value_typeET2_T3_PNSH_ISM_E10value_typeET4_T5_PSR_SS_PNS1_23onesweep_lookback_stateEbbT6_jjT7_P12ihipStream_tbENKUlT_T0_SG_SL_E_clIS9_SA_SB_SB_EEDaSZ_S10_SG_SL_EUlSZ_E_NS1_11comp_targetILNS1_3genE8ELNS1_11target_archE1030ELNS1_3gpuE2ELNS1_3repE0EEENS1_47radix_sort_onesweep_sort_config_static_selectorELNS0_4arch9wavefront6targetE0EEEvSG_,"axG",@progbits,_ZN7rocprim17ROCPRIM_400000_NS6detail17trampoline_kernelINS0_14default_configENS1_35radix_sort_onesweep_config_selectorIdNS0_10empty_typeEEEZZNS1_29radix_sort_onesweep_iterationIS3_Lb1EPKdPdPS5_SB_mNS0_19identity_decomposerENS1_16block_id_wrapperIjLb0EEEEE10hipError_tT1_PNSt15iterator_traitsISG_E10value_typeET2_T3_PNSH_ISM_E10value_typeET4_T5_PSR_SS_PNS1_23onesweep_lookback_stateEbbT6_jjT7_P12ihipStream_tbENKUlT_T0_SG_SL_E_clIS9_SA_SB_SB_EEDaSZ_S10_SG_SL_EUlSZ_E_NS1_11comp_targetILNS1_3genE8ELNS1_11target_archE1030ELNS1_3gpuE2ELNS1_3repE0EEENS1_47radix_sort_onesweep_sort_config_static_selectorELNS0_4arch9wavefront6targetE0EEEvSG_,comdat
.Lfunc_end1544:
	.size	_ZN7rocprim17ROCPRIM_400000_NS6detail17trampoline_kernelINS0_14default_configENS1_35radix_sort_onesweep_config_selectorIdNS0_10empty_typeEEEZZNS1_29radix_sort_onesweep_iterationIS3_Lb1EPKdPdPS5_SB_mNS0_19identity_decomposerENS1_16block_id_wrapperIjLb0EEEEE10hipError_tT1_PNSt15iterator_traitsISG_E10value_typeET2_T3_PNSH_ISM_E10value_typeET4_T5_PSR_SS_PNS1_23onesweep_lookback_stateEbbT6_jjT7_P12ihipStream_tbENKUlT_T0_SG_SL_E_clIS9_SA_SB_SB_EEDaSZ_S10_SG_SL_EUlSZ_E_NS1_11comp_targetILNS1_3genE8ELNS1_11target_archE1030ELNS1_3gpuE2ELNS1_3repE0EEENS1_47radix_sort_onesweep_sort_config_static_selectorELNS0_4arch9wavefront6targetE0EEEvSG_, .Lfunc_end1544-_ZN7rocprim17ROCPRIM_400000_NS6detail17trampoline_kernelINS0_14default_configENS1_35radix_sort_onesweep_config_selectorIdNS0_10empty_typeEEEZZNS1_29radix_sort_onesweep_iterationIS3_Lb1EPKdPdPS5_SB_mNS0_19identity_decomposerENS1_16block_id_wrapperIjLb0EEEEE10hipError_tT1_PNSt15iterator_traitsISG_E10value_typeET2_T3_PNSH_ISM_E10value_typeET4_T5_PSR_SS_PNS1_23onesweep_lookback_stateEbbT6_jjT7_P12ihipStream_tbENKUlT_T0_SG_SL_E_clIS9_SA_SB_SB_EEDaSZ_S10_SG_SL_EUlSZ_E_NS1_11comp_targetILNS1_3genE8ELNS1_11target_archE1030ELNS1_3gpuE2ELNS1_3repE0EEENS1_47radix_sort_onesweep_sort_config_static_selectorELNS0_4arch9wavefront6targetE0EEEvSG_
                                        ; -- End function
	.set _ZN7rocprim17ROCPRIM_400000_NS6detail17trampoline_kernelINS0_14default_configENS1_35radix_sort_onesweep_config_selectorIdNS0_10empty_typeEEEZZNS1_29radix_sort_onesweep_iterationIS3_Lb1EPKdPdPS5_SB_mNS0_19identity_decomposerENS1_16block_id_wrapperIjLb0EEEEE10hipError_tT1_PNSt15iterator_traitsISG_E10value_typeET2_T3_PNSH_ISM_E10value_typeET4_T5_PSR_SS_PNS1_23onesweep_lookback_stateEbbT6_jjT7_P12ihipStream_tbENKUlT_T0_SG_SL_E_clIS9_SA_SB_SB_EEDaSZ_S10_SG_SL_EUlSZ_E_NS1_11comp_targetILNS1_3genE8ELNS1_11target_archE1030ELNS1_3gpuE2ELNS1_3repE0EEENS1_47radix_sort_onesweep_sort_config_static_selectorELNS0_4arch9wavefront6targetE0EEEvSG_.num_vgpr, 0
	.set _ZN7rocprim17ROCPRIM_400000_NS6detail17trampoline_kernelINS0_14default_configENS1_35radix_sort_onesweep_config_selectorIdNS0_10empty_typeEEEZZNS1_29radix_sort_onesweep_iterationIS3_Lb1EPKdPdPS5_SB_mNS0_19identity_decomposerENS1_16block_id_wrapperIjLb0EEEEE10hipError_tT1_PNSt15iterator_traitsISG_E10value_typeET2_T3_PNSH_ISM_E10value_typeET4_T5_PSR_SS_PNS1_23onesweep_lookback_stateEbbT6_jjT7_P12ihipStream_tbENKUlT_T0_SG_SL_E_clIS9_SA_SB_SB_EEDaSZ_S10_SG_SL_EUlSZ_E_NS1_11comp_targetILNS1_3genE8ELNS1_11target_archE1030ELNS1_3gpuE2ELNS1_3repE0EEENS1_47radix_sort_onesweep_sort_config_static_selectorELNS0_4arch9wavefront6targetE0EEEvSG_.num_agpr, 0
	.set _ZN7rocprim17ROCPRIM_400000_NS6detail17trampoline_kernelINS0_14default_configENS1_35radix_sort_onesweep_config_selectorIdNS0_10empty_typeEEEZZNS1_29radix_sort_onesweep_iterationIS3_Lb1EPKdPdPS5_SB_mNS0_19identity_decomposerENS1_16block_id_wrapperIjLb0EEEEE10hipError_tT1_PNSt15iterator_traitsISG_E10value_typeET2_T3_PNSH_ISM_E10value_typeET4_T5_PSR_SS_PNS1_23onesweep_lookback_stateEbbT6_jjT7_P12ihipStream_tbENKUlT_T0_SG_SL_E_clIS9_SA_SB_SB_EEDaSZ_S10_SG_SL_EUlSZ_E_NS1_11comp_targetILNS1_3genE8ELNS1_11target_archE1030ELNS1_3gpuE2ELNS1_3repE0EEENS1_47radix_sort_onesweep_sort_config_static_selectorELNS0_4arch9wavefront6targetE0EEEvSG_.numbered_sgpr, 0
	.set _ZN7rocprim17ROCPRIM_400000_NS6detail17trampoline_kernelINS0_14default_configENS1_35radix_sort_onesweep_config_selectorIdNS0_10empty_typeEEEZZNS1_29radix_sort_onesweep_iterationIS3_Lb1EPKdPdPS5_SB_mNS0_19identity_decomposerENS1_16block_id_wrapperIjLb0EEEEE10hipError_tT1_PNSt15iterator_traitsISG_E10value_typeET2_T3_PNSH_ISM_E10value_typeET4_T5_PSR_SS_PNS1_23onesweep_lookback_stateEbbT6_jjT7_P12ihipStream_tbENKUlT_T0_SG_SL_E_clIS9_SA_SB_SB_EEDaSZ_S10_SG_SL_EUlSZ_E_NS1_11comp_targetILNS1_3genE8ELNS1_11target_archE1030ELNS1_3gpuE2ELNS1_3repE0EEENS1_47radix_sort_onesweep_sort_config_static_selectorELNS0_4arch9wavefront6targetE0EEEvSG_.num_named_barrier, 0
	.set _ZN7rocprim17ROCPRIM_400000_NS6detail17trampoline_kernelINS0_14default_configENS1_35radix_sort_onesweep_config_selectorIdNS0_10empty_typeEEEZZNS1_29radix_sort_onesweep_iterationIS3_Lb1EPKdPdPS5_SB_mNS0_19identity_decomposerENS1_16block_id_wrapperIjLb0EEEEE10hipError_tT1_PNSt15iterator_traitsISG_E10value_typeET2_T3_PNSH_ISM_E10value_typeET4_T5_PSR_SS_PNS1_23onesweep_lookback_stateEbbT6_jjT7_P12ihipStream_tbENKUlT_T0_SG_SL_E_clIS9_SA_SB_SB_EEDaSZ_S10_SG_SL_EUlSZ_E_NS1_11comp_targetILNS1_3genE8ELNS1_11target_archE1030ELNS1_3gpuE2ELNS1_3repE0EEENS1_47radix_sort_onesweep_sort_config_static_selectorELNS0_4arch9wavefront6targetE0EEEvSG_.private_seg_size, 0
	.set _ZN7rocprim17ROCPRIM_400000_NS6detail17trampoline_kernelINS0_14default_configENS1_35radix_sort_onesweep_config_selectorIdNS0_10empty_typeEEEZZNS1_29radix_sort_onesweep_iterationIS3_Lb1EPKdPdPS5_SB_mNS0_19identity_decomposerENS1_16block_id_wrapperIjLb0EEEEE10hipError_tT1_PNSt15iterator_traitsISG_E10value_typeET2_T3_PNSH_ISM_E10value_typeET4_T5_PSR_SS_PNS1_23onesweep_lookback_stateEbbT6_jjT7_P12ihipStream_tbENKUlT_T0_SG_SL_E_clIS9_SA_SB_SB_EEDaSZ_S10_SG_SL_EUlSZ_E_NS1_11comp_targetILNS1_3genE8ELNS1_11target_archE1030ELNS1_3gpuE2ELNS1_3repE0EEENS1_47radix_sort_onesweep_sort_config_static_selectorELNS0_4arch9wavefront6targetE0EEEvSG_.uses_vcc, 0
	.set _ZN7rocprim17ROCPRIM_400000_NS6detail17trampoline_kernelINS0_14default_configENS1_35radix_sort_onesweep_config_selectorIdNS0_10empty_typeEEEZZNS1_29radix_sort_onesweep_iterationIS3_Lb1EPKdPdPS5_SB_mNS0_19identity_decomposerENS1_16block_id_wrapperIjLb0EEEEE10hipError_tT1_PNSt15iterator_traitsISG_E10value_typeET2_T3_PNSH_ISM_E10value_typeET4_T5_PSR_SS_PNS1_23onesweep_lookback_stateEbbT6_jjT7_P12ihipStream_tbENKUlT_T0_SG_SL_E_clIS9_SA_SB_SB_EEDaSZ_S10_SG_SL_EUlSZ_E_NS1_11comp_targetILNS1_3genE8ELNS1_11target_archE1030ELNS1_3gpuE2ELNS1_3repE0EEENS1_47radix_sort_onesweep_sort_config_static_selectorELNS0_4arch9wavefront6targetE0EEEvSG_.uses_flat_scratch, 0
	.set _ZN7rocprim17ROCPRIM_400000_NS6detail17trampoline_kernelINS0_14default_configENS1_35radix_sort_onesweep_config_selectorIdNS0_10empty_typeEEEZZNS1_29radix_sort_onesweep_iterationIS3_Lb1EPKdPdPS5_SB_mNS0_19identity_decomposerENS1_16block_id_wrapperIjLb0EEEEE10hipError_tT1_PNSt15iterator_traitsISG_E10value_typeET2_T3_PNSH_ISM_E10value_typeET4_T5_PSR_SS_PNS1_23onesweep_lookback_stateEbbT6_jjT7_P12ihipStream_tbENKUlT_T0_SG_SL_E_clIS9_SA_SB_SB_EEDaSZ_S10_SG_SL_EUlSZ_E_NS1_11comp_targetILNS1_3genE8ELNS1_11target_archE1030ELNS1_3gpuE2ELNS1_3repE0EEENS1_47radix_sort_onesweep_sort_config_static_selectorELNS0_4arch9wavefront6targetE0EEEvSG_.has_dyn_sized_stack, 0
	.set _ZN7rocprim17ROCPRIM_400000_NS6detail17trampoline_kernelINS0_14default_configENS1_35radix_sort_onesweep_config_selectorIdNS0_10empty_typeEEEZZNS1_29radix_sort_onesweep_iterationIS3_Lb1EPKdPdPS5_SB_mNS0_19identity_decomposerENS1_16block_id_wrapperIjLb0EEEEE10hipError_tT1_PNSt15iterator_traitsISG_E10value_typeET2_T3_PNSH_ISM_E10value_typeET4_T5_PSR_SS_PNS1_23onesweep_lookback_stateEbbT6_jjT7_P12ihipStream_tbENKUlT_T0_SG_SL_E_clIS9_SA_SB_SB_EEDaSZ_S10_SG_SL_EUlSZ_E_NS1_11comp_targetILNS1_3genE8ELNS1_11target_archE1030ELNS1_3gpuE2ELNS1_3repE0EEENS1_47radix_sort_onesweep_sort_config_static_selectorELNS0_4arch9wavefront6targetE0EEEvSG_.has_recursion, 0
	.set _ZN7rocprim17ROCPRIM_400000_NS6detail17trampoline_kernelINS0_14default_configENS1_35radix_sort_onesweep_config_selectorIdNS0_10empty_typeEEEZZNS1_29radix_sort_onesweep_iterationIS3_Lb1EPKdPdPS5_SB_mNS0_19identity_decomposerENS1_16block_id_wrapperIjLb0EEEEE10hipError_tT1_PNSt15iterator_traitsISG_E10value_typeET2_T3_PNSH_ISM_E10value_typeET4_T5_PSR_SS_PNS1_23onesweep_lookback_stateEbbT6_jjT7_P12ihipStream_tbENKUlT_T0_SG_SL_E_clIS9_SA_SB_SB_EEDaSZ_S10_SG_SL_EUlSZ_E_NS1_11comp_targetILNS1_3genE8ELNS1_11target_archE1030ELNS1_3gpuE2ELNS1_3repE0EEENS1_47radix_sort_onesweep_sort_config_static_selectorELNS0_4arch9wavefront6targetE0EEEvSG_.has_indirect_call, 0
	.section	.AMDGPU.csdata,"",@progbits
; Kernel info:
; codeLenInByte = 0
; TotalNumSgprs: 0
; NumVgprs: 0
; ScratchSize: 0
; MemoryBound: 0
; FloatMode: 240
; IeeeMode: 1
; LDSByteSize: 0 bytes/workgroup (compile time only)
; SGPRBlocks: 0
; VGPRBlocks: 0
; NumSGPRsForWavesPerEU: 1
; NumVGPRsForWavesPerEU: 1
; NamedBarCnt: 0
; Occupancy: 16
; WaveLimiterHint : 0
; COMPUTE_PGM_RSRC2:SCRATCH_EN: 0
; COMPUTE_PGM_RSRC2:USER_SGPR: 2
; COMPUTE_PGM_RSRC2:TRAP_HANDLER: 0
; COMPUTE_PGM_RSRC2:TGID_X_EN: 1
; COMPUTE_PGM_RSRC2:TGID_Y_EN: 0
; COMPUTE_PGM_RSRC2:TGID_Z_EN: 0
; COMPUTE_PGM_RSRC2:TIDIG_COMP_CNT: 0
	.section	.text._ZN7rocprim17ROCPRIM_400000_NS6detail17trampoline_kernelINS0_14default_configENS1_35radix_sort_onesweep_config_selectorIdNS0_10empty_typeEEEZZNS1_29radix_sort_onesweep_iterationIS3_Lb1EPKdPdPS5_SB_mNS0_19identity_decomposerENS1_16block_id_wrapperIjLb0EEEEE10hipError_tT1_PNSt15iterator_traitsISG_E10value_typeET2_T3_PNSH_ISM_E10value_typeET4_T5_PSR_SS_PNS1_23onesweep_lookback_stateEbbT6_jjT7_P12ihipStream_tbENKUlT_T0_SG_SL_E_clISA_SA_SB_SB_EEDaSZ_S10_SG_SL_EUlSZ_E_NS1_11comp_targetILNS1_3genE0ELNS1_11target_archE4294967295ELNS1_3gpuE0ELNS1_3repE0EEENS1_47radix_sort_onesweep_sort_config_static_selectorELNS0_4arch9wavefront6targetE0EEEvSG_,"axG",@progbits,_ZN7rocprim17ROCPRIM_400000_NS6detail17trampoline_kernelINS0_14default_configENS1_35radix_sort_onesweep_config_selectorIdNS0_10empty_typeEEEZZNS1_29radix_sort_onesweep_iterationIS3_Lb1EPKdPdPS5_SB_mNS0_19identity_decomposerENS1_16block_id_wrapperIjLb0EEEEE10hipError_tT1_PNSt15iterator_traitsISG_E10value_typeET2_T3_PNSH_ISM_E10value_typeET4_T5_PSR_SS_PNS1_23onesweep_lookback_stateEbbT6_jjT7_P12ihipStream_tbENKUlT_T0_SG_SL_E_clISA_SA_SB_SB_EEDaSZ_S10_SG_SL_EUlSZ_E_NS1_11comp_targetILNS1_3genE0ELNS1_11target_archE4294967295ELNS1_3gpuE0ELNS1_3repE0EEENS1_47radix_sort_onesweep_sort_config_static_selectorELNS0_4arch9wavefront6targetE0EEEvSG_,comdat
	.protected	_ZN7rocprim17ROCPRIM_400000_NS6detail17trampoline_kernelINS0_14default_configENS1_35radix_sort_onesweep_config_selectorIdNS0_10empty_typeEEEZZNS1_29radix_sort_onesweep_iterationIS3_Lb1EPKdPdPS5_SB_mNS0_19identity_decomposerENS1_16block_id_wrapperIjLb0EEEEE10hipError_tT1_PNSt15iterator_traitsISG_E10value_typeET2_T3_PNSH_ISM_E10value_typeET4_T5_PSR_SS_PNS1_23onesweep_lookback_stateEbbT6_jjT7_P12ihipStream_tbENKUlT_T0_SG_SL_E_clISA_SA_SB_SB_EEDaSZ_S10_SG_SL_EUlSZ_E_NS1_11comp_targetILNS1_3genE0ELNS1_11target_archE4294967295ELNS1_3gpuE0ELNS1_3repE0EEENS1_47radix_sort_onesweep_sort_config_static_selectorELNS0_4arch9wavefront6targetE0EEEvSG_ ; -- Begin function _ZN7rocprim17ROCPRIM_400000_NS6detail17trampoline_kernelINS0_14default_configENS1_35radix_sort_onesweep_config_selectorIdNS0_10empty_typeEEEZZNS1_29radix_sort_onesweep_iterationIS3_Lb1EPKdPdPS5_SB_mNS0_19identity_decomposerENS1_16block_id_wrapperIjLb0EEEEE10hipError_tT1_PNSt15iterator_traitsISG_E10value_typeET2_T3_PNSH_ISM_E10value_typeET4_T5_PSR_SS_PNS1_23onesweep_lookback_stateEbbT6_jjT7_P12ihipStream_tbENKUlT_T0_SG_SL_E_clISA_SA_SB_SB_EEDaSZ_S10_SG_SL_EUlSZ_E_NS1_11comp_targetILNS1_3genE0ELNS1_11target_archE4294967295ELNS1_3gpuE0ELNS1_3repE0EEENS1_47radix_sort_onesweep_sort_config_static_selectorELNS0_4arch9wavefront6targetE0EEEvSG_
	.globl	_ZN7rocprim17ROCPRIM_400000_NS6detail17trampoline_kernelINS0_14default_configENS1_35radix_sort_onesweep_config_selectorIdNS0_10empty_typeEEEZZNS1_29radix_sort_onesweep_iterationIS3_Lb1EPKdPdPS5_SB_mNS0_19identity_decomposerENS1_16block_id_wrapperIjLb0EEEEE10hipError_tT1_PNSt15iterator_traitsISG_E10value_typeET2_T3_PNSH_ISM_E10value_typeET4_T5_PSR_SS_PNS1_23onesweep_lookback_stateEbbT6_jjT7_P12ihipStream_tbENKUlT_T0_SG_SL_E_clISA_SA_SB_SB_EEDaSZ_S10_SG_SL_EUlSZ_E_NS1_11comp_targetILNS1_3genE0ELNS1_11target_archE4294967295ELNS1_3gpuE0ELNS1_3repE0EEENS1_47radix_sort_onesweep_sort_config_static_selectorELNS0_4arch9wavefront6targetE0EEEvSG_
	.p2align	8
	.type	_ZN7rocprim17ROCPRIM_400000_NS6detail17trampoline_kernelINS0_14default_configENS1_35radix_sort_onesweep_config_selectorIdNS0_10empty_typeEEEZZNS1_29radix_sort_onesweep_iterationIS3_Lb1EPKdPdPS5_SB_mNS0_19identity_decomposerENS1_16block_id_wrapperIjLb0EEEEE10hipError_tT1_PNSt15iterator_traitsISG_E10value_typeET2_T3_PNSH_ISM_E10value_typeET4_T5_PSR_SS_PNS1_23onesweep_lookback_stateEbbT6_jjT7_P12ihipStream_tbENKUlT_T0_SG_SL_E_clISA_SA_SB_SB_EEDaSZ_S10_SG_SL_EUlSZ_E_NS1_11comp_targetILNS1_3genE0ELNS1_11target_archE4294967295ELNS1_3gpuE0ELNS1_3repE0EEENS1_47radix_sort_onesweep_sort_config_static_selectorELNS0_4arch9wavefront6targetE0EEEvSG_,@function
_ZN7rocprim17ROCPRIM_400000_NS6detail17trampoline_kernelINS0_14default_configENS1_35radix_sort_onesweep_config_selectorIdNS0_10empty_typeEEEZZNS1_29radix_sort_onesweep_iterationIS3_Lb1EPKdPdPS5_SB_mNS0_19identity_decomposerENS1_16block_id_wrapperIjLb0EEEEE10hipError_tT1_PNSt15iterator_traitsISG_E10value_typeET2_T3_PNSH_ISM_E10value_typeET4_T5_PSR_SS_PNS1_23onesweep_lookback_stateEbbT6_jjT7_P12ihipStream_tbENKUlT_T0_SG_SL_E_clISA_SA_SB_SB_EEDaSZ_S10_SG_SL_EUlSZ_E_NS1_11comp_targetILNS1_3genE0ELNS1_11target_archE4294967295ELNS1_3gpuE0ELNS1_3repE0EEENS1_47radix_sort_onesweep_sort_config_static_selectorELNS0_4arch9wavefront6targetE0EEEvSG_: ; @_ZN7rocprim17ROCPRIM_400000_NS6detail17trampoline_kernelINS0_14default_configENS1_35radix_sort_onesweep_config_selectorIdNS0_10empty_typeEEEZZNS1_29radix_sort_onesweep_iterationIS3_Lb1EPKdPdPS5_SB_mNS0_19identity_decomposerENS1_16block_id_wrapperIjLb0EEEEE10hipError_tT1_PNSt15iterator_traitsISG_E10value_typeET2_T3_PNSH_ISM_E10value_typeET4_T5_PSR_SS_PNS1_23onesweep_lookback_stateEbbT6_jjT7_P12ihipStream_tbENKUlT_T0_SG_SL_E_clISA_SA_SB_SB_EEDaSZ_S10_SG_SL_EUlSZ_E_NS1_11comp_targetILNS1_3genE0ELNS1_11target_archE4294967295ELNS1_3gpuE0ELNS1_3repE0EEENS1_47radix_sort_onesweep_sort_config_static_selectorELNS0_4arch9wavefront6targetE0EEEvSG_
; %bb.0:
	s_clause 0x3
	s_load_b96 s[20:22], s[0:1], 0x44
	s_load_b64 s[10:11], s[0:1], 0x38
	s_load_b128 s[16:19], s[0:1], 0x0
	s_load_b128 s[12:15], s[0:1], 0x28
	s_bfe_u32 s2, ttmp6, 0x4000c
	s_and_b32 s3, ttmp6, 15
	s_add_co_i32 s2, s2, 1
	s_getreg_b32 s4, hwreg(HW_REG_IB_STS2, 6, 4)
	s_mul_i32 s2, ttmp9, s2
	v_and_b32_e32 v32, 0x3ff, v0
	s_add_co_i32 s2, s3, s2
	s_cmp_eq_u32 s4, 0
	v_mbcnt_lo_u32_b32 v33, -1, 0
	s_cselect_b32 s26, ttmp9, s2
	s_mov_b32 s3, 0
	s_mov_b32 s2, -1
	s_add_nc_u64 s[24:25], s[0:1], 0x58
	s_wait_kmcnt 0x0
	s_cmp_ge_u32 s26, s22
	s_cbranch_scc0 .LBB1545_66
; %bb.1:
	v_dual_lshlrev_b32 v2, 3, v32 :: v_dual_lshlrev_b32 v4, 3, v33
	s_load_b32 s4, s[0:1], 0x20
	s_lshl_b32 s2, s26, 12
	v_mov_b64_e32 v[6:7], -1
	s_delay_alu instid0(VALU_DEP_2) | instskip(SKIP_2) | instid1(SALU_CYCLE_1)
	v_and_b32_e32 v1, 0xf00, v2
	v_mov_b32_e32 v5, 0
	s_lshl_b64 s[2:3], s[2:3], 3
	s_add_nc_u64 s[2:3], s[16:17], s[2:3]
	s_delay_alu instid0(VALU_DEP_1) | instid1(SALU_CYCLE_1)
	v_add_nc_u64_e32 v[8:9], s[2:3], v[4:5]
	v_dual_lshlrev_b32 v4, 3, v1 :: v_dual_bitop2_b32 v1, v33, v1 bitop3:0x54
	s_lshl_b32 s2, s22, 12
	s_delay_alu instid0(VALU_DEP_1)
	v_add_nc_u64_e32 v[20:21], v[8:9], v[4:5]
	v_mov_b64_e32 v[4:5], -1
	s_wait_kmcnt 0x0
	s_sub_co_i32 s9, s4, s2
	s_mov_b32 s2, exec_lo
	v_cmpx_gt_u32_e64 s9, v1
	s_cbranch_execz .LBB1545_3
; %bb.2:
	global_load_b64 v[4:5], v[20:21], off
.LBB1545_3:
	s_wait_xcnt 0x0
	s_or_b32 exec_lo, exec_lo, s2
	v_or_b32_e32 v3, 32, v1
	s_mov_b32 s2, exec_lo
	s_delay_alu instid0(VALU_DEP_1)
	v_cmpx_gt_u32_e64 s9, v3
	s_cbranch_execz .LBB1545_5
; %bb.4:
	global_load_b64 v[6:7], v[20:21], off offset:256
.LBB1545_5:
	s_wait_xcnt 0x0
	s_or_b32 exec_lo, exec_lo, s2
	v_mov_b64_e32 v[10:11], -1
	v_mov_b64_e32 v[8:9], -1
	v_or_b32_e32 v3, 64, v1
	s_mov_b32 s2, exec_lo
	s_delay_alu instid0(VALU_DEP_1)
	v_cmpx_gt_u32_e64 s9, v3
	s_cbranch_execz .LBB1545_7
; %bb.6:
	global_load_b64 v[8:9], v[20:21], off offset:512
.LBB1545_7:
	s_wait_xcnt 0x0
	s_or_b32 exec_lo, exec_lo, s2
	v_or_b32_e32 v3, 0x60, v1
	s_mov_b32 s2, exec_lo
	s_delay_alu instid0(VALU_DEP_1)
	v_cmpx_gt_u32_e64 s9, v3
	s_cbranch_execz .LBB1545_9
; %bb.8:
	global_load_b64 v[10:11], v[20:21], off offset:768
.LBB1545_9:
	s_wait_xcnt 0x0
	s_or_b32 exec_lo, exec_lo, s2
	v_mov_b64_e32 v[16:17], -1
	v_mov_b64_e32 v[12:13], -1
	v_or_b32_e32 v3, 0x80, v1
	s_mov_b32 s2, exec_lo
	s_delay_alu instid0(VALU_DEP_1)
	v_cmpx_gt_u32_e64 s9, v3
	s_cbranch_execz .LBB1545_11
; %bb.10:
	global_load_b64 v[12:13], v[20:21], off offset:1024
.LBB1545_11:
	;; [unrolled: 22-line block ×3, first 2 shown]
	s_wait_xcnt 0x0
	s_or_b32 exec_lo, exec_lo, s2
	v_or_b32_e32 v1, 0xe0, v1
	s_mov_b32 s2, exec_lo
	s_delay_alu instid0(VALU_DEP_1)
	v_cmpx_gt_u32_e64 s9, v1
	s_cbranch_execz .LBB1545_17
; %bb.16:
	global_load_b64 v[14:15], v[20:21], off offset:1792
.LBB1545_17:
	s_wait_xcnt 0x0
	s_or_b32 exec_lo, exec_lo, s2
	s_wait_loadcnt 0x0
	v_cmp_gt_i64_e32 vcc_lo, 0, v[4:5]
	s_clause 0x1
	s_load_b32 s27, s[0:1], 0x58
	s_load_u16 s4, s[0:1], 0x66
	s_mov_b64 s[22:23], 0x8000000000000000
	s_mov_b32 s3, 0
	v_cndmask_b32_e64 v3, 0x7fffffff, 0, vcc_lo
	s_delay_alu instid0(VALU_DEP_1) | instskip(NEXT) | instid1(VALU_DEP_1)
	v_dual_ashrrev_i32 v1, 31, v5 :: v_dual_bitop2_b32 v5, v3, v5 bitop3:0x14
	v_not_b32_e32 v1, v1
	v_bfe_u32 v3, v0, 20, 10
	s_delay_alu instid0(VALU_DEP_2) | instskip(SKIP_3) | instid1(VALU_DEP_2)
	v_xor_b32_e32 v4, v1, v4
	v_bfe_u32 v1, v0, 10, 10
	s_wait_kmcnt 0x0
	s_cmp_lt_u32 s26, s27
	v_cmp_ne_u64_e32 vcc_lo, s[22:23], v[4:5]
	s_cselect_b32 s2, 12, 18
	s_lshl_b32 s28, -1, s21
	v_mad_u32_u24 v1, v3, s4, v1
	s_add_nc_u64 s[2:3], s[24:25], s[2:3]
	s_load_u16 s29, s[2:3], 0x0
	v_cndmask_b32_e32 v21, 0x7fffffff, v5, vcc_lo
	v_cndmask_b32_e32 v20, -1, v4, vcc_lo
	s_delay_alu instid0(VALU_DEP_1) | instskip(NEXT) | instid1(VALU_DEP_1)
	v_lshrrev_b64 v[20:21], s20, v[20:21]
	v_bitop3_b32 v3, v20, 1, s28 bitop3:0x40
	v_bitop3_b32 v22, v20, s28, v20 bitop3:0x30
	s_not_b32 s28, s28
	s_wait_xcnt 0x0
	s_delay_alu instid0(VALU_DEP_2) | instskip(NEXT) | instid1(VALU_DEP_1)
	v_add_co_u32 v3, s2, v3, -1
	v_cndmask_b32_e64 v20, 0, 1, s2
	v_dual_lshlrev_b32 v21, 30, v22 :: v_dual_lshlrev_b32 v23, 29, v22
	v_dual_lshlrev_b32 v24, 28, v22 :: v_dual_lshlrev_b32 v25, 27, v22
	v_lshlrev_b32_e32 v26, 26, v22
	s_delay_alu instid0(VALU_DEP_4) | instskip(NEXT) | instid1(VALU_DEP_4)
	v_cmp_ne_u32_e32 vcc_lo, 0, v20
	v_not_b32_e32 v20, v21
	v_cmp_gt_i32_e64 s2, 0, v21
	v_cmp_gt_i32_e64 s3, 0, v23
	v_not_b32_e32 v21, v23
	v_not_b32_e32 v23, v24
	v_dual_ashrrev_i32 v20, 31, v20 :: v_dual_bitop2_b32 v3, vcc_lo, v3 bitop3:0x14
	v_dual_lshlrev_b32 v27, 25, v22 :: v_dual_lshlrev_b32 v28, 24, v22
	v_cmp_gt_i32_e64 s4, 0, v24
	v_cmp_gt_i32_e64 s5, 0, v25
	v_not_b32_e32 v24, v25
	v_not_b32_e32 v25, v26
	v_dual_ashrrev_i32 v21, 31, v21 :: v_dual_ashrrev_i32 v23, 31, v23
	v_xor_b32_e32 v20, s2, v20
	s_wait_kmcnt 0x0
	v_mad_u32 v1, v1, s29, v32
	v_cmp_gt_i32_e64 s6, 0, v26
	v_not_b32_e32 v26, v27
	v_dual_ashrrev_i32 v24, 31, v24 :: v_dual_bitop2_b32 v21, s3, v21 bitop3:0x14
	v_dual_ashrrev_i32 v25, 31, v25 :: v_dual_bitop2_b32 v23, s4, v23 bitop3:0x14
	s_delay_alu instid0(VALU_DEP_3)
	v_ashrrev_i32_e32 v26, 31, v26
	v_bitop3_b32 v3, v3, v20, exec_lo bitop3:0x80
	v_not_b32_e32 v20, v28
	v_cmp_gt_i32_e64 s7, 0, v27
	v_cmp_gt_i32_e64 s8, 0, v28
	v_xor_b32_e32 v24, s5, v24
	s_delay_alu instid0(VALU_DEP_4) | instskip(SKIP_3) | instid1(VALU_DEP_3)
	v_dual_ashrrev_i32 v20, 31, v20 :: v_dual_bitop2_b32 v25, s6, v25 bitop3:0x14
	v_bitop3_b32 v3, v3, v23, v21 bitop3:0x80
	v_dual_mov_b32 v23, 0 :: v_dual_bitop2_b32 v21, s7, v26 bitop3:0x14
	v_lshrrev_b32_e32 v1, 5, v1
	v_bitop3_b32 v24, v3, v25, v24 bitop3:0x80
	v_xor_b32_e32 v25, s8, v20
	v_mul_u32_u24_e32 v3, 36, v32
	s_delay_alu instid0(VALU_DEP_4)
	v_lshlrev_b32_e32 v20, 2, v1
	ds_store_2addr_b32 v3, v23, v23 offset0:16 offset1:17
	ds_store_2addr_b32 v3, v23, v23 offset0:18 offset1:19
	;; [unrolled: 1-line block ×4, first 2 shown]
	v_bitop3_b32 v21, v24, v25, v21 bitop3:0x80
	v_mad_u32 v28, 0x44, v22, v20
	ds_store_b32 v3, v23 offset:96
	s_wait_dscnt 0x0
	s_barrier_signal -1
	v_mbcnt_lo_u32_b32 v1, v21, 0
	v_cmp_ne_u32_e64 s2, 0, v21
	s_barrier_wait -1
	s_delay_alu instid0(VALU_DEP_2) | instskip(SKIP_1) | instid1(SALU_CYCLE_1)
	v_cmp_eq_u32_e32 vcc_lo, 0, v1
	; wave barrier
	s_and_b32 s3, s2, vcc_lo
	s_and_saveexec_b32 s2, s3
; %bb.18:
	v_bcnt_u32_b32 v21, v21, 0
	ds_store_b32 v28, v21 offset:64
; %bb.19:
	s_or_b32 exec_lo, exec_lo, s2
	v_cmp_gt_i64_e32 vcc_lo, 0, v[6:7]
	; wave barrier
	v_cndmask_b32_e64 v22, 0x7fffffff, 0, vcc_lo
	s_delay_alu instid0(VALU_DEP_1) | instskip(NEXT) | instid1(VALU_DEP_1)
	v_dual_ashrrev_i32 v21, 31, v7 :: v_dual_bitop2_b32 v7, v22, v7 bitop3:0x14
	v_not_b32_e32 v21, v21
	s_delay_alu instid0(VALU_DEP_1) | instskip(NEXT) | instid1(VALU_DEP_1)
	v_xor_b32_e32 v6, v21, v6
	v_cmp_ne_u64_e32 vcc_lo, s[22:23], v[6:7]
	v_cndmask_b32_e32 v23, 0x7fffffff, v7, vcc_lo
	v_cndmask_b32_e32 v22, -1, v6, vcc_lo
	s_delay_alu instid0(VALU_DEP_1) | instskip(NEXT) | instid1(VALU_DEP_1)
	v_lshrrev_b64 v[22:23], s20, v[22:23]
	v_and_b32_e32 v21, s28, v22
	v_bitop3_b32 v22, v22, 1, s28 bitop3:0x80
	s_delay_alu instid0(VALU_DEP_2) | instskip(NEXT) | instid1(VALU_DEP_2)
	v_lshlrev_b32_e32 v24, 30, v21
	v_add_co_u32 v22, s2, v22, -1
	s_delay_alu instid0(VALU_DEP_1) | instskip(NEXT) | instid1(VALU_DEP_3)
	v_cndmask_b32_e64 v23, 0, 1, s2
	v_cmp_gt_i32_e64 s2, 0, v24
	s_delay_alu instid0(VALU_DEP_2) | instskip(SKIP_1) | instid1(VALU_DEP_1)
	v_cmp_ne_u32_e32 vcc_lo, 0, v23
	v_not_b32_e32 v23, v24
	v_dual_ashrrev_i32 v23, 31, v23 :: v_dual_lshlrev_b32 v25, 29, v21
	v_dual_lshlrev_b32 v26, 28, v21 :: v_dual_lshlrev_b32 v27, 27, v21
	v_lshlrev_b32_e32 v30, 26, v21
	v_mad_u32 v29, 0x44, v21, v20
	s_delay_alu instid0(VALU_DEP_4)
	v_cmp_gt_i32_e64 s3, 0, v25
	v_not_b32_e32 v24, v25
	v_not_b32_e32 v25, v26
	v_dual_lshlrev_b32 v31, 25, v21 :: v_dual_lshlrev_b32 v21, 24, v21
	v_cmp_gt_i32_e64 s4, 0, v26
	v_cmp_gt_i32_e64 s5, 0, v27
	v_not_b32_e32 v26, v27
	v_not_b32_e32 v27, v30
	v_dual_ashrrev_i32 v24, 31, v24 :: v_dual_bitop2_b32 v22, vcc_lo, v22 bitop3:0x14
	v_dual_ashrrev_i32 v25, 31, v25 :: v_dual_bitop2_b32 v23, s2, v23 bitop3:0x14
	v_cmp_gt_i32_e64 s6, 0, v30
	v_not_b32_e32 v30, v31
	v_cmp_gt_i32_e64 s8, 0, v21
	v_not_b32_e32 v21, v21
	v_dual_ashrrev_i32 v26, 31, v26 :: v_dual_ashrrev_i32 v27, 31, v27
	v_xor_b32_e32 v24, s3, v24
	v_xor_b32_e32 v25, s4, v25
	v_bitop3_b32 v22, v22, v23, exec_lo bitop3:0x80
	v_cmp_gt_i32_e64 s7, 0, v31
	v_dual_ashrrev_i32 v23, 31, v30 :: v_dual_ashrrev_i32 v21, 31, v21
	v_xor_b32_e32 v26, s5, v26
	v_xor_b32_e32 v27, s6, v27
	v_bitop3_b32 v22, v22, v25, v24 bitop3:0x80
	s_delay_alu instid0(VALU_DEP_4) | instskip(SKIP_3) | instid1(VALU_DEP_1)
	v_xor_b32_e32 v23, s7, v23
	v_xor_b32_e32 v21, s8, v21
	ds_load_b32 v34, v29 offset:64
	v_bitop3_b32 v22, v22, v27, v26 bitop3:0x80
	; wave barrier
	v_bitop3_b32 v21, v22, v21, v23 bitop3:0x80
	s_delay_alu instid0(VALU_DEP_1) | instskip(SKIP_1) | instid1(VALU_DEP_2)
	v_mbcnt_lo_u32_b32 v35, v21, 0
	v_cmp_ne_u32_e64 s2, 0, v21
	v_cmp_eq_u32_e32 vcc_lo, 0, v35
	s_and_b32 s3, s2, vcc_lo
	s_delay_alu instid0(SALU_CYCLE_1)
	s_and_saveexec_b32 s2, s3
	s_cbranch_execz .LBB1545_21
; %bb.20:
	s_wait_dscnt 0x0
	v_bcnt_u32_b32 v21, v21, v34
	ds_store_b32 v29, v21 offset:64
.LBB1545_21:
	s_or_b32 exec_lo, exec_lo, s2
	v_cmp_gt_i64_e32 vcc_lo, 0, v[8:9]
	; wave barrier
	v_cndmask_b32_e64 v22, 0x7fffffff, 0, vcc_lo
	s_delay_alu instid0(VALU_DEP_1) | instskip(NEXT) | instid1(VALU_DEP_1)
	v_dual_ashrrev_i32 v21, 31, v9 :: v_dual_bitop2_b32 v9, v22, v9 bitop3:0x14
	v_not_b32_e32 v21, v21
	s_delay_alu instid0(VALU_DEP_1) | instskip(NEXT) | instid1(VALU_DEP_1)
	v_xor_b32_e32 v8, v21, v8
	v_cmp_ne_u64_e32 vcc_lo, s[22:23], v[8:9]
	v_cndmask_b32_e32 v23, 0x7fffffff, v9, vcc_lo
	v_cndmask_b32_e32 v22, -1, v8, vcc_lo
	s_delay_alu instid0(VALU_DEP_1) | instskip(NEXT) | instid1(VALU_DEP_1)
	v_lshrrev_b64 v[22:23], s20, v[22:23]
	v_and_b32_e32 v21, s28, v22
	v_bitop3_b32 v22, v22, 1, s28 bitop3:0x80
	s_delay_alu instid0(VALU_DEP_2) | instskip(NEXT) | instid1(VALU_DEP_2)
	v_lshlrev_b32_e32 v24, 30, v21
	v_add_co_u32 v22, s2, v22, -1
	s_delay_alu instid0(VALU_DEP_1) | instskip(NEXT) | instid1(VALU_DEP_3)
	v_cndmask_b32_e64 v23, 0, 1, s2
	v_cmp_gt_i32_e64 s2, 0, v24
	s_delay_alu instid0(VALU_DEP_2) | instskip(SKIP_1) | instid1(VALU_DEP_1)
	v_cmp_ne_u32_e32 vcc_lo, 0, v23
	v_not_b32_e32 v23, v24
	v_dual_ashrrev_i32 v23, 31, v23 :: v_dual_bitop2_b32 v22, vcc_lo, v22 bitop3:0x14
	v_dual_lshlrev_b32 v25, 29, v21 :: v_dual_lshlrev_b32 v26, 28, v21
	v_dual_lshlrev_b32 v27, 27, v21 :: v_dual_lshlrev_b32 v31, 26, v21
	v_lshlrev_b32_e32 v36, 25, v21
	s_delay_alu instid0(VALU_DEP_3)
	v_cmp_gt_i32_e64 s3, 0, v25
	v_not_b32_e32 v24, v25
	v_not_b32_e32 v25, v26
	v_mad_u32 v30, 0x44, v21, v20
	v_lshlrev_b32_e32 v21, 24, v21
	v_cmp_gt_i32_e64 s4, 0, v26
	v_cmp_gt_i32_e64 s5, 0, v27
	v_not_b32_e32 v26, v27
	v_not_b32_e32 v27, v31
	v_dual_ashrrev_i32 v24, 31, v24 :: v_dual_ashrrev_i32 v25, 31, v25
	v_xor_b32_e32 v23, s2, v23
	v_cmp_gt_i32_e64 s6, 0, v31
	v_not_b32_e32 v31, v36
	v_cmp_gt_i32_e64 s8, 0, v21
	v_not_b32_e32 v21, v21
	v_dual_ashrrev_i32 v26, 31, v26 :: v_dual_ashrrev_i32 v27, 31, v27
	v_xor_b32_e32 v24, s3, v24
	v_xor_b32_e32 v25, s4, v25
	v_bitop3_b32 v22, v22, v23, exec_lo bitop3:0x80
	v_cmp_gt_i32_e64 s7, 0, v36
	v_dual_ashrrev_i32 v23, 31, v31 :: v_dual_ashrrev_i32 v21, 31, v21
	v_xor_b32_e32 v26, s5, v26
	v_xor_b32_e32 v27, s6, v27
	v_bitop3_b32 v22, v22, v25, v24 bitop3:0x80
	s_delay_alu instid0(VALU_DEP_4) | instskip(SKIP_3) | instid1(VALU_DEP_1)
	v_xor_b32_e32 v23, s7, v23
	v_xor_b32_e32 v21, s8, v21
	ds_load_b32 v36, v30 offset:64
	v_bitop3_b32 v22, v22, v27, v26 bitop3:0x80
	; wave barrier
	v_bitop3_b32 v21, v22, v21, v23 bitop3:0x80
	s_delay_alu instid0(VALU_DEP_1) | instskip(SKIP_1) | instid1(VALU_DEP_2)
	v_mbcnt_lo_u32_b32 v37, v21, 0
	v_cmp_ne_u32_e64 s2, 0, v21
	v_cmp_eq_u32_e32 vcc_lo, 0, v37
	s_and_b32 s3, s2, vcc_lo
	s_delay_alu instid0(SALU_CYCLE_1)
	s_and_saveexec_b32 s2, s3
	s_cbranch_execz .LBB1545_23
; %bb.22:
	s_wait_dscnt 0x0
	v_bcnt_u32_b32 v21, v21, v36
	ds_store_b32 v30, v21 offset:64
.LBB1545_23:
	s_or_b32 exec_lo, exec_lo, s2
	v_cmp_gt_i64_e32 vcc_lo, 0, v[10:11]
	; wave barrier
	v_cndmask_b32_e64 v22, 0x7fffffff, 0, vcc_lo
	s_delay_alu instid0(VALU_DEP_1) | instskip(NEXT) | instid1(VALU_DEP_1)
	v_dual_ashrrev_i32 v21, 31, v11 :: v_dual_bitop2_b32 v11, v22, v11 bitop3:0x14
	v_not_b32_e32 v21, v21
	s_delay_alu instid0(VALU_DEP_1) | instskip(NEXT) | instid1(VALU_DEP_1)
	v_xor_b32_e32 v10, v21, v10
	v_cmp_ne_u64_e32 vcc_lo, s[22:23], v[10:11]
	v_cndmask_b32_e32 v23, 0x7fffffff, v11, vcc_lo
	v_cndmask_b32_e32 v22, -1, v10, vcc_lo
	s_delay_alu instid0(VALU_DEP_1) | instskip(NEXT) | instid1(VALU_DEP_1)
	v_lshrrev_b64 v[22:23], s20, v[22:23]
	v_and_b32_e32 v21, s28, v22
	v_bitop3_b32 v22, v22, 1, s28 bitop3:0x80
	s_delay_alu instid0(VALU_DEP_2) | instskip(NEXT) | instid1(VALU_DEP_2)
	v_lshlrev_b32_e32 v24, 30, v21
	v_add_co_u32 v22, s2, v22, -1
	s_delay_alu instid0(VALU_DEP_1) | instskip(NEXT) | instid1(VALU_DEP_3)
	v_cndmask_b32_e64 v23, 0, 1, s2
	v_cmp_gt_i32_e64 s2, 0, v24
	s_delay_alu instid0(VALU_DEP_2) | instskip(SKIP_1) | instid1(VALU_DEP_1)
	v_cmp_ne_u32_e32 vcc_lo, 0, v23
	v_not_b32_e32 v23, v24
	v_dual_ashrrev_i32 v23, 31, v23 :: v_dual_lshlrev_b32 v25, 29, v21
	v_dual_lshlrev_b32 v26, 28, v21 :: v_dual_lshlrev_b32 v27, 27, v21
	v_lshlrev_b32_e32 v38, 26, v21
	v_mad_u32 v31, 0x44, v21, v20
	s_delay_alu instid0(VALU_DEP_4)
	v_cmp_gt_i32_e64 s3, 0, v25
	v_not_b32_e32 v24, v25
	v_not_b32_e32 v25, v26
	v_dual_lshlrev_b32 v39, 25, v21 :: v_dual_lshlrev_b32 v21, 24, v21
	v_cmp_gt_i32_e64 s4, 0, v26
	v_cmp_gt_i32_e64 s5, 0, v27
	v_not_b32_e32 v26, v27
	v_not_b32_e32 v27, v38
	v_dual_ashrrev_i32 v24, 31, v24 :: v_dual_bitop2_b32 v22, vcc_lo, v22 bitop3:0x14
	v_dual_ashrrev_i32 v25, 31, v25 :: v_dual_bitop2_b32 v23, s2, v23 bitop3:0x14
	v_cmp_gt_i32_e64 s6, 0, v38
	v_not_b32_e32 v38, v39
	v_cmp_gt_i32_e64 s8, 0, v21
	v_not_b32_e32 v21, v21
	v_dual_ashrrev_i32 v26, 31, v26 :: v_dual_ashrrev_i32 v27, 31, v27
	v_xor_b32_e32 v24, s3, v24
	v_xor_b32_e32 v25, s4, v25
	v_bitop3_b32 v22, v22, v23, exec_lo bitop3:0x80
	v_cmp_gt_i32_e64 s7, 0, v39
	v_dual_ashrrev_i32 v23, 31, v38 :: v_dual_ashrrev_i32 v21, 31, v21
	v_xor_b32_e32 v26, s5, v26
	v_xor_b32_e32 v27, s6, v27
	v_bitop3_b32 v22, v22, v25, v24 bitop3:0x80
	s_delay_alu instid0(VALU_DEP_4) | instskip(SKIP_3) | instid1(VALU_DEP_1)
	v_xor_b32_e32 v23, s7, v23
	v_xor_b32_e32 v21, s8, v21
	ds_load_b32 v38, v31 offset:64
	v_bitop3_b32 v22, v22, v27, v26 bitop3:0x80
	; wave barrier
	v_bitop3_b32 v21, v22, v21, v23 bitop3:0x80
	s_delay_alu instid0(VALU_DEP_1) | instskip(SKIP_1) | instid1(VALU_DEP_2)
	v_mbcnt_lo_u32_b32 v39, v21, 0
	v_cmp_ne_u32_e64 s2, 0, v21
	v_cmp_eq_u32_e32 vcc_lo, 0, v39
	s_and_b32 s3, s2, vcc_lo
	s_delay_alu instid0(SALU_CYCLE_1)
	s_and_saveexec_b32 s2, s3
	s_cbranch_execz .LBB1545_25
; %bb.24:
	s_wait_dscnt 0x0
	v_bcnt_u32_b32 v21, v21, v38
	ds_store_b32 v31, v21 offset:64
.LBB1545_25:
	s_or_b32 exec_lo, exec_lo, s2
	v_cmp_gt_i64_e32 vcc_lo, 0, v[12:13]
	; wave barrier
	v_cndmask_b32_e64 v22, 0x7fffffff, 0, vcc_lo
	s_delay_alu instid0(VALU_DEP_1) | instskip(NEXT) | instid1(VALU_DEP_1)
	v_dual_ashrrev_i32 v21, 31, v13 :: v_dual_bitop2_b32 v13, v22, v13 bitop3:0x14
	v_not_b32_e32 v21, v21
	s_delay_alu instid0(VALU_DEP_1) | instskip(NEXT) | instid1(VALU_DEP_1)
	v_xor_b32_e32 v12, v21, v12
	v_cmp_ne_u64_e32 vcc_lo, s[22:23], v[12:13]
	v_cndmask_b32_e32 v23, 0x7fffffff, v13, vcc_lo
	v_cndmask_b32_e32 v22, -1, v12, vcc_lo
	s_delay_alu instid0(VALU_DEP_1) | instskip(NEXT) | instid1(VALU_DEP_1)
	v_lshrrev_b64 v[22:23], s20, v[22:23]
	v_and_b32_e32 v21, s28, v22
	v_bitop3_b32 v22, v22, 1, s28 bitop3:0x80
	s_delay_alu instid0(VALU_DEP_2) | instskip(NEXT) | instid1(VALU_DEP_2)
	v_lshlrev_b32_e32 v24, 30, v21
	v_add_co_u32 v22, s2, v22, -1
	s_delay_alu instid0(VALU_DEP_1) | instskip(NEXT) | instid1(VALU_DEP_3)
	v_cndmask_b32_e64 v23, 0, 1, s2
	v_cmp_gt_i32_e64 s2, 0, v24
	s_delay_alu instid0(VALU_DEP_2) | instskip(SKIP_1) | instid1(VALU_DEP_1)
	v_cmp_ne_u32_e32 vcc_lo, 0, v23
	v_not_b32_e32 v23, v24
	v_dual_ashrrev_i32 v23, 31, v23 :: v_dual_bitop2_b32 v22, vcc_lo, v22 bitop3:0x14
	v_dual_lshlrev_b32 v25, 29, v21 :: v_dual_lshlrev_b32 v26, 28, v21
	v_dual_lshlrev_b32 v27, 27, v21 :: v_dual_lshlrev_b32 v40, 26, v21
	v_lshlrev_b32_e32 v41, 25, v21
	s_delay_alu instid0(VALU_DEP_3)
	v_cmp_gt_i32_e64 s3, 0, v25
	v_not_b32_e32 v24, v25
	v_not_b32_e32 v25, v26
	v_mad_u32 v42, 0x44, v21, v20
	v_lshlrev_b32_e32 v21, 24, v21
	v_cmp_gt_i32_e64 s4, 0, v26
	v_cmp_gt_i32_e64 s5, 0, v27
	v_not_b32_e32 v26, v27
	v_not_b32_e32 v27, v40
	v_dual_ashrrev_i32 v24, 31, v24 :: v_dual_ashrrev_i32 v25, 31, v25
	v_xor_b32_e32 v23, s2, v23
	v_cmp_gt_i32_e64 s6, 0, v40
	v_not_b32_e32 v40, v41
	v_cmp_gt_i32_e64 s8, 0, v21
	v_not_b32_e32 v21, v21
	v_dual_ashrrev_i32 v26, 31, v26 :: v_dual_ashrrev_i32 v27, 31, v27
	v_xor_b32_e32 v24, s3, v24
	v_xor_b32_e32 v25, s4, v25
	v_bitop3_b32 v22, v22, v23, exec_lo bitop3:0x80
	v_cmp_gt_i32_e64 s7, 0, v41
	v_dual_ashrrev_i32 v23, 31, v40 :: v_dual_ashrrev_i32 v21, 31, v21
	v_xor_b32_e32 v26, s5, v26
	v_xor_b32_e32 v27, s6, v27
	v_bitop3_b32 v22, v22, v25, v24 bitop3:0x80
	s_delay_alu instid0(VALU_DEP_4) | instskip(SKIP_3) | instid1(VALU_DEP_1)
	v_xor_b32_e32 v23, s7, v23
	v_xor_b32_e32 v21, s8, v21
	ds_load_b32 v40, v42 offset:64
	v_bitop3_b32 v22, v22, v27, v26 bitop3:0x80
	; wave barrier
	v_bitop3_b32 v21, v22, v21, v23 bitop3:0x80
	s_delay_alu instid0(VALU_DEP_1) | instskip(SKIP_1) | instid1(VALU_DEP_2)
	v_mbcnt_lo_u32_b32 v41, v21, 0
	v_cmp_ne_u32_e64 s2, 0, v21
	v_cmp_eq_u32_e32 vcc_lo, 0, v41
	s_and_b32 s3, s2, vcc_lo
	s_delay_alu instid0(SALU_CYCLE_1)
	s_and_saveexec_b32 s2, s3
	s_cbranch_execz .LBB1545_27
; %bb.26:
	s_wait_dscnt 0x0
	v_bcnt_u32_b32 v21, v21, v40
	ds_store_b32 v42, v21 offset:64
.LBB1545_27:
	s_or_b32 exec_lo, exec_lo, s2
	v_cmp_gt_i64_e32 vcc_lo, 0, v[16:17]
	; wave barrier
	v_cndmask_b32_e64 v22, 0x7fffffff, 0, vcc_lo
	s_delay_alu instid0(VALU_DEP_1) | instskip(NEXT) | instid1(VALU_DEP_1)
	v_dual_ashrrev_i32 v21, 31, v17 :: v_dual_bitop2_b32 v17, v22, v17 bitop3:0x14
	v_not_b32_e32 v21, v21
	s_delay_alu instid0(VALU_DEP_1) | instskip(NEXT) | instid1(VALU_DEP_1)
	v_xor_b32_e32 v16, v21, v16
	v_cmp_ne_u64_e32 vcc_lo, s[22:23], v[16:17]
	v_cndmask_b32_e32 v23, 0x7fffffff, v17, vcc_lo
	v_cndmask_b32_e32 v22, -1, v16, vcc_lo
	s_delay_alu instid0(VALU_DEP_1) | instskip(NEXT) | instid1(VALU_DEP_1)
	v_lshrrev_b64 v[22:23], s20, v[22:23]
	v_and_b32_e32 v21, s28, v22
	v_bitop3_b32 v22, v22, 1, s28 bitop3:0x80
	s_delay_alu instid0(VALU_DEP_2) | instskip(NEXT) | instid1(VALU_DEP_2)
	v_lshlrev_b32_e32 v24, 30, v21
	v_add_co_u32 v22, s2, v22, -1
	s_delay_alu instid0(VALU_DEP_1) | instskip(NEXT) | instid1(VALU_DEP_3)
	v_cndmask_b32_e64 v23, 0, 1, s2
	v_cmp_gt_i32_e64 s2, 0, v24
	s_delay_alu instid0(VALU_DEP_2) | instskip(SKIP_1) | instid1(VALU_DEP_1)
	v_cmp_ne_u32_e32 vcc_lo, 0, v23
	v_not_b32_e32 v23, v24
	v_dual_ashrrev_i32 v23, 31, v23 :: v_dual_bitop2_b32 v22, vcc_lo, v22 bitop3:0x14
	v_dual_lshlrev_b32 v25, 29, v21 :: v_dual_lshlrev_b32 v26, 28, v21
	v_dual_lshlrev_b32 v27, 27, v21 :: v_dual_lshlrev_b32 v43, 26, v21
	v_lshlrev_b32_e32 v44, 25, v21
	s_delay_alu instid0(VALU_DEP_3)
	v_cmp_gt_i32_e64 s3, 0, v25
	v_not_b32_e32 v24, v25
	v_not_b32_e32 v25, v26
	v_mad_u32 v45, 0x44, v21, v20
	v_lshlrev_b32_e32 v21, 24, v21
	v_cmp_gt_i32_e64 s4, 0, v26
	v_cmp_gt_i32_e64 s5, 0, v27
	v_not_b32_e32 v26, v27
	v_not_b32_e32 v27, v43
	v_dual_ashrrev_i32 v24, 31, v24 :: v_dual_ashrrev_i32 v25, 31, v25
	v_xor_b32_e32 v23, s2, v23
	v_cmp_gt_i32_e64 s6, 0, v43
	v_not_b32_e32 v43, v44
	v_cmp_gt_i32_e64 s8, 0, v21
	v_not_b32_e32 v21, v21
	v_dual_ashrrev_i32 v26, 31, v26 :: v_dual_ashrrev_i32 v27, 31, v27
	v_xor_b32_e32 v24, s3, v24
	v_xor_b32_e32 v25, s4, v25
	v_bitop3_b32 v22, v22, v23, exec_lo bitop3:0x80
	v_cmp_gt_i32_e64 s7, 0, v44
	v_dual_ashrrev_i32 v23, 31, v43 :: v_dual_ashrrev_i32 v21, 31, v21
	v_xor_b32_e32 v26, s5, v26
	v_xor_b32_e32 v27, s6, v27
	v_bitop3_b32 v22, v22, v25, v24 bitop3:0x80
	s_delay_alu instid0(VALU_DEP_4) | instskip(SKIP_3) | instid1(VALU_DEP_1)
	v_xor_b32_e32 v23, s7, v23
	v_xor_b32_e32 v21, s8, v21
	ds_load_b32 v43, v45 offset:64
	v_bitop3_b32 v22, v22, v27, v26 bitop3:0x80
	; wave barrier
	v_bitop3_b32 v21, v22, v21, v23 bitop3:0x80
	s_delay_alu instid0(VALU_DEP_1) | instskip(SKIP_1) | instid1(VALU_DEP_2)
	v_mbcnt_lo_u32_b32 v44, v21, 0
	v_cmp_ne_u32_e64 s2, 0, v21
	v_cmp_eq_u32_e32 vcc_lo, 0, v44
	s_and_b32 s3, s2, vcc_lo
	s_delay_alu instid0(SALU_CYCLE_1)
	s_and_saveexec_b32 s2, s3
	s_cbranch_execz .LBB1545_29
; %bb.28:
	s_wait_dscnt 0x0
	v_bcnt_u32_b32 v21, v21, v43
	ds_store_b32 v45, v21 offset:64
.LBB1545_29:
	s_or_b32 exec_lo, exec_lo, s2
	v_cmp_gt_i64_e32 vcc_lo, 0, v[18:19]
	; wave barrier
	v_cndmask_b32_e64 v22, 0x7fffffff, 0, vcc_lo
	s_delay_alu instid0(VALU_DEP_1) | instskip(NEXT) | instid1(VALU_DEP_1)
	v_dual_ashrrev_i32 v21, 31, v19 :: v_dual_bitop2_b32 v19, v22, v19 bitop3:0x14
	v_not_b32_e32 v21, v21
	s_delay_alu instid0(VALU_DEP_1) | instskip(NEXT) | instid1(VALU_DEP_1)
	v_xor_b32_e32 v18, v21, v18
	v_cmp_ne_u64_e32 vcc_lo, s[22:23], v[18:19]
	v_cndmask_b32_e32 v23, 0x7fffffff, v19, vcc_lo
	v_cndmask_b32_e32 v22, -1, v18, vcc_lo
	s_delay_alu instid0(VALU_DEP_1) | instskip(NEXT) | instid1(VALU_DEP_1)
	v_lshrrev_b64 v[22:23], s20, v[22:23]
	v_and_b32_e32 v21, s28, v22
	v_bitop3_b32 v22, v22, 1, s28 bitop3:0x80
	s_delay_alu instid0(VALU_DEP_2) | instskip(NEXT) | instid1(VALU_DEP_2)
	v_lshlrev_b32_e32 v24, 30, v21
	v_add_co_u32 v22, s2, v22, -1
	s_delay_alu instid0(VALU_DEP_1) | instskip(NEXT) | instid1(VALU_DEP_3)
	v_cndmask_b32_e64 v23, 0, 1, s2
	v_cmp_gt_i32_e64 s2, 0, v24
	s_delay_alu instid0(VALU_DEP_2) | instskip(SKIP_1) | instid1(VALU_DEP_1)
	v_cmp_ne_u32_e32 vcc_lo, 0, v23
	v_not_b32_e32 v23, v24
	v_dual_ashrrev_i32 v23, 31, v23 :: v_dual_lshlrev_b32 v25, 29, v21
	v_dual_lshlrev_b32 v26, 28, v21 :: v_dual_lshlrev_b32 v27, 27, v21
	v_lshlrev_b32_e32 v46, 26, v21
	v_mad_u32 v48, 0x44, v21, v20
	s_delay_alu instid0(VALU_DEP_4)
	v_cmp_gt_i32_e64 s3, 0, v25
	v_not_b32_e32 v24, v25
	v_not_b32_e32 v25, v26
	v_dual_lshlrev_b32 v47, 25, v21 :: v_dual_lshlrev_b32 v21, 24, v21
	v_cmp_gt_i32_e64 s4, 0, v26
	v_cmp_gt_i32_e64 s5, 0, v27
	v_not_b32_e32 v26, v27
	v_not_b32_e32 v27, v46
	v_dual_ashrrev_i32 v24, 31, v24 :: v_dual_bitop2_b32 v22, vcc_lo, v22 bitop3:0x14
	v_dual_ashrrev_i32 v25, 31, v25 :: v_dual_bitop2_b32 v23, s2, v23 bitop3:0x14
	v_cmp_gt_i32_e64 s6, 0, v46
	v_not_b32_e32 v46, v47
	v_cmp_gt_i32_e64 s8, 0, v21
	v_not_b32_e32 v21, v21
	v_dual_ashrrev_i32 v26, 31, v26 :: v_dual_ashrrev_i32 v27, 31, v27
	v_xor_b32_e32 v24, s3, v24
	v_xor_b32_e32 v25, s4, v25
	v_bitop3_b32 v22, v22, v23, exec_lo bitop3:0x80
	v_cmp_gt_i32_e64 s7, 0, v47
	v_dual_ashrrev_i32 v23, 31, v46 :: v_dual_ashrrev_i32 v21, 31, v21
	v_xor_b32_e32 v26, s5, v26
	v_xor_b32_e32 v27, s6, v27
	v_bitop3_b32 v22, v22, v25, v24 bitop3:0x80
	s_delay_alu instid0(VALU_DEP_4) | instskip(SKIP_3) | instid1(VALU_DEP_1)
	v_xor_b32_e32 v23, s7, v23
	v_xor_b32_e32 v21, s8, v21
	ds_load_b32 v46, v48 offset:64
	v_bitop3_b32 v22, v22, v27, v26 bitop3:0x80
	; wave barrier
	v_bitop3_b32 v21, v22, v21, v23 bitop3:0x80
	s_delay_alu instid0(VALU_DEP_1) | instskip(SKIP_1) | instid1(VALU_DEP_2)
	v_mbcnt_lo_u32_b32 v47, v21, 0
	v_cmp_ne_u32_e64 s2, 0, v21
	v_cmp_eq_u32_e32 vcc_lo, 0, v47
	s_and_b32 s3, s2, vcc_lo
	s_delay_alu instid0(SALU_CYCLE_1)
	s_and_saveexec_b32 s2, s3
	s_cbranch_execz .LBB1545_31
; %bb.30:
	s_wait_dscnt 0x0
	v_bcnt_u32_b32 v21, v21, v46
	ds_store_b32 v48, v21 offset:64
.LBB1545_31:
	s_or_b32 exec_lo, exec_lo, s2
	v_cmp_gt_i64_e32 vcc_lo, 0, v[14:15]
	; wave barrier
	v_cndmask_b32_e64 v22, 0x7fffffff, 0, vcc_lo
	s_delay_alu instid0(VALU_DEP_1) | instskip(NEXT) | instid1(VALU_DEP_1)
	v_dual_ashrrev_i32 v21, 31, v15 :: v_dual_bitop2_b32 v15, v22, v15 bitop3:0x14
	v_not_b32_e32 v21, v21
	s_delay_alu instid0(VALU_DEP_1) | instskip(NEXT) | instid1(VALU_DEP_1)
	v_xor_b32_e32 v14, v21, v14
	v_cmp_ne_u64_e32 vcc_lo, s[22:23], v[14:15]
	v_cndmask_b32_e32 v23, 0x7fffffff, v15, vcc_lo
	v_cndmask_b32_e32 v22, -1, v14, vcc_lo
	s_delay_alu instid0(VALU_DEP_1) | instskip(NEXT) | instid1(VALU_DEP_1)
	v_lshrrev_b64 v[22:23], s20, v[22:23]
	v_and_b32_e32 v21, s28, v22
	v_bitop3_b32 v22, v22, 1, s28 bitop3:0x80
	s_delay_alu instid0(VALU_DEP_2) | instskip(NEXT) | instid1(VALU_DEP_2)
	v_mad_u32 v51, 0x44, v21, v20
	v_add_co_u32 v20, s2, v22, -1
	s_delay_alu instid0(VALU_DEP_1) | instskip(SKIP_1) | instid1(VALU_DEP_2)
	v_cndmask_b32_e64 v22, 0, 1, s2
	v_lshlrev_b32_e32 v23, 30, v21
	v_cmp_ne_u32_e32 vcc_lo, 0, v22
	s_delay_alu instid0(VALU_DEP_2) | instskip(SKIP_1) | instid1(VALU_DEP_2)
	v_not_b32_e32 v22, v23
	v_cmp_gt_i32_e64 s2, 0, v23
	v_dual_ashrrev_i32 v22, 31, v22 :: v_dual_lshlrev_b32 v24, 29, v21
	v_dual_lshlrev_b32 v25, 28, v21 :: v_dual_lshlrev_b32 v26, 27, v21
	v_dual_lshlrev_b32 v27, 26, v21 :: v_dual_lshlrev_b32 v49, 25, v21
	v_lshlrev_b32_e32 v21, 24, v21
	s_delay_alu instid0(VALU_DEP_4)
	v_cmp_gt_i32_e64 s3, 0, v24
	v_not_b32_e32 v23, v24
	v_not_b32_e32 v24, v25
	v_cmp_gt_i32_e64 s4, 0, v25
	v_cmp_gt_i32_e64 s5, 0, v26
	v_not_b32_e32 v25, v26
	v_not_b32_e32 v26, v27
	v_dual_ashrrev_i32 v23, 31, v23 :: v_dual_bitop2_b32 v20, vcc_lo, v20 bitop3:0x14
	v_dual_ashrrev_i32 v24, 31, v24 :: v_dual_bitop2_b32 v22, s2, v22 bitop3:0x14
	v_cmp_gt_i32_e64 s6, 0, v27
	v_not_b32_e32 v27, v49
	v_cmp_gt_i32_e64 s8, 0, v21
	v_not_b32_e32 v21, v21
	v_dual_ashrrev_i32 v25, 31, v25 :: v_dual_ashrrev_i32 v26, 31, v26
	v_xor_b32_e32 v23, s3, v23
	v_xor_b32_e32 v24, s4, v24
	v_bitop3_b32 v20, v20, v22, exec_lo bitop3:0x80
	v_cmp_gt_i32_e64 s7, 0, v49
	v_dual_ashrrev_i32 v22, 31, v27 :: v_dual_ashrrev_i32 v21, 31, v21
	v_xor_b32_e32 v25, s5, v25
	v_xor_b32_e32 v26, s6, v26
	v_bitop3_b32 v20, v20, v24, v23 bitop3:0x80
	s_delay_alu instid0(VALU_DEP_4) | instskip(SKIP_3) | instid1(VALU_DEP_1)
	v_xor_b32_e32 v22, s7, v22
	v_xor_b32_e32 v21, s8, v21
	ds_load_b32 v49, v51 offset:64
	v_bitop3_b32 v20, v20, v26, v25 bitop3:0x80
	; wave barrier
	v_bitop3_b32 v20, v20, v21, v22 bitop3:0x80
	s_delay_alu instid0(VALU_DEP_1) | instskip(SKIP_1) | instid1(VALU_DEP_2)
	v_mbcnt_lo_u32_b32 v50, v20, 0
	v_cmp_ne_u32_e64 s2, 0, v20
	v_cmp_eq_u32_e32 vcc_lo, 0, v50
	s_and_b32 s3, s2, vcc_lo
	s_delay_alu instid0(SALU_CYCLE_1)
	s_and_saveexec_b32 s2, s3
	s_cbranch_execz .LBB1545_33
; %bb.32:
	s_wait_dscnt 0x0
	v_bcnt_u32_b32 v20, v20, v49
	ds_store_b32 v51, v20 offset:64
.LBB1545_33:
	s_or_b32 exec_lo, exec_lo, s2
	; wave barrier
	s_wait_dscnt 0x0
	s_barrier_signal -1
	s_barrier_wait -1
	ds_load_2addr_b32 v[26:27], v3 offset0:16 offset1:17
	ds_load_2addr_b32 v[24:25], v3 offset0:18 offset1:19
	;; [unrolled: 1-line block ×4, first 2 shown]
	ds_load_b32 v52, v3 offset:96
	v_bfe_i32 v55, v33, 4, 1
	s_mov_b32 s6, exec_lo
	s_wait_dscnt 0x3
	v_add3_u32 v53, v27, v26, v24
	s_wait_dscnt 0x2
	s_delay_alu instid0(VALU_DEP_1) | instskip(SKIP_1) | instid1(VALU_DEP_1)
	v_add3_u32 v53, v53, v25, v22
	s_wait_dscnt 0x1
	v_add3_u32 v53, v53, v23, v20
	s_wait_dscnt 0x0
	s_delay_alu instid0(VALU_DEP_1) | instskip(SKIP_1) | instid1(VALU_DEP_2)
	v_add3_u32 v52, v53, v21, v52
	v_and_b32_e32 v53, 15, v33
	v_mov_b32_dpp v54, v52 row_shr:1 row_mask:0xf bank_mask:0xf
	s_delay_alu instid0(VALU_DEP_2) | instskip(NEXT) | instid1(VALU_DEP_2)
	v_cmp_eq_u32_e32 vcc_lo, 0, v53
	v_cndmask_b32_e64 v54, v54, 0, vcc_lo
	s_delay_alu instid0(VALU_DEP_1) | instskip(SKIP_3) | instid1(VALU_DEP_4)
	v_add_nc_u32_e32 v52, v54, v52
	v_cmp_lt_u32_e64 s2, 1, v53
	v_cmp_lt_u32_e64 s3, 3, v53
	;; [unrolled: 1-line block ×3, first 2 shown]
	v_mov_b32_dpp v54, v52 row_shr:2 row_mask:0xf bank_mask:0xf
	s_delay_alu instid0(VALU_DEP_1) | instskip(NEXT) | instid1(VALU_DEP_1)
	v_cndmask_b32_e64 v54, 0, v54, s2
	v_add_nc_u32_e32 v52, v52, v54
	s_delay_alu instid0(VALU_DEP_1) | instskip(NEXT) | instid1(VALU_DEP_1)
	v_mov_b32_dpp v54, v52 row_shr:4 row_mask:0xf bank_mask:0xf
	v_cndmask_b32_e64 v54, 0, v54, s3
	s_delay_alu instid0(VALU_DEP_1) | instskip(NEXT) | instid1(VALU_DEP_1)
	v_add_nc_u32_e32 v52, v52, v54
	v_mov_b32_dpp v54, v52 row_shr:8 row_mask:0xf bank_mask:0xf
	s_delay_alu instid0(VALU_DEP_1) | instskip(SKIP_1) | instid1(VALU_DEP_2)
	v_cndmask_b32_e64 v53, 0, v54, s4
	v_and_b32_e32 v54, 0x3e0, v32
	v_add_nc_u32_e32 v52, v52, v53
	s_delay_alu instid0(VALU_DEP_2) | instskip(SKIP_3) | instid1(VALU_DEP_1)
	v_min_u32_e32 v54, 0x1e0, v54
	ds_swizzle_b32 v53, v52 offset:swizzle(BROADCAST,32,15)
	s_wait_dscnt 0x0
	v_dual_lshrrev_b32 v53, 5, v32 :: v_dual_bitop2_b32 v55, v55, v53 bitop3:0x40
	v_dual_add_nc_u32 v52, v52, v55 :: v_dual_bitop2_b32 v54, 31, v54 bitop3:0x54
	s_delay_alu instid0(VALU_DEP_1)
	v_cmpx_eq_u32_e64 v32, v54
; %bb.34:
	s_delay_alu instid0(VALU_DEP_3)
	v_lshlrev_b32_e32 v54, 2, v53
	ds_store_b32 v54, v52
; %bb.35:
	s_or_b32 exec_lo, exec_lo, s6
	s_delay_alu instid0(SALU_CYCLE_1)
	s_mov_b32 s6, exec_lo
	s_wait_dscnt 0x0
	s_barrier_signal -1
	s_barrier_wait -1
	v_cmpx_gt_u32_e32 16, v32
	s_cbranch_execz .LBB1545_37
; %bb.36:
	v_lshlrev_b32_e32 v54, 2, v32
	ds_load_b32 v55, v54
	s_wait_dscnt 0x0
	v_mov_b32_dpp v56, v55 row_shr:1 row_mask:0xf bank_mask:0xf
	s_delay_alu instid0(VALU_DEP_1) | instskip(NEXT) | instid1(VALU_DEP_1)
	v_cndmask_b32_e64 v56, v56, 0, vcc_lo
	v_add_nc_u32_e32 v55, v56, v55
	s_delay_alu instid0(VALU_DEP_1) | instskip(NEXT) | instid1(VALU_DEP_1)
	v_mov_b32_dpp v56, v55 row_shr:2 row_mask:0xf bank_mask:0xf
	v_cndmask_b32_e64 v56, 0, v56, s2
	s_delay_alu instid0(VALU_DEP_1) | instskip(NEXT) | instid1(VALU_DEP_1)
	v_add_nc_u32_e32 v55, v55, v56
	v_mov_b32_dpp v56, v55 row_shr:4 row_mask:0xf bank_mask:0xf
	s_delay_alu instid0(VALU_DEP_1) | instskip(NEXT) | instid1(VALU_DEP_1)
	v_cndmask_b32_e64 v56, 0, v56, s3
	v_add_nc_u32_e32 v55, v55, v56
	s_delay_alu instid0(VALU_DEP_1) | instskip(NEXT) | instid1(VALU_DEP_1)
	v_mov_b32_dpp v56, v55 row_shr:8 row_mask:0xf bank_mask:0xf
	v_cndmask_b32_e64 v56, 0, v56, s4
	s_delay_alu instid0(VALU_DEP_1)
	v_add_nc_u32_e32 v55, v55, v56
	ds_store_b32 v54, v55
.LBB1545_37:
	s_or_b32 exec_lo, exec_lo, s6
	v_mov_b32_e32 v54, 0
	s_mov_b32 s2, exec_lo
	s_wait_dscnt 0x0
	s_barrier_signal -1
	s_barrier_wait -1
	v_cmpx_lt_u32_e32 31, v32
; %bb.38:
	v_lshl_add_u32 v53, v53, 2, -4
	ds_load_b32 v54, v53
; %bb.39:
	s_or_b32 exec_lo, exec_lo, s2
	v_sub_co_u32 v53, vcc_lo, v33, 1
	s_wait_dscnt 0x0
	v_add_nc_u32_e32 v52, v54, v52
	s_delay_alu instid0(VALU_DEP_2) | instskip(NEXT) | instid1(VALU_DEP_1)
	v_cmp_gt_i32_e64 s2, 0, v53
	v_cndmask_b32_e64 v53, v53, v33, s2
	v_cmp_lt_u32_e64 s2, 0xff, v32
	s_delay_alu instid0(VALU_DEP_2) | instskip(SKIP_4) | instid1(VALU_DEP_2)
	v_lshlrev_b32_e32 v53, 2, v53
	ds_bpermute_b32 v52, v53, v52
	s_wait_dscnt 0x0
	v_cndmask_b32_e32 v52, v52, v54, vcc_lo
	v_cmp_ne_u32_e32 vcc_lo, 0, v32
	v_cndmask_b32_e32 v52, 0, v52, vcc_lo
	v_cmp_gt_u32_e32 vcc_lo, 0x100, v32
	s_delay_alu instid0(VALU_DEP_2) | instskip(NEXT) | instid1(VALU_DEP_1)
	v_add_nc_u32_e32 v26, v52, v26
	v_add_nc_u32_e32 v27, v26, v27
	s_delay_alu instid0(VALU_DEP_1) | instskip(NEXT) | instid1(VALU_DEP_1)
	v_add_nc_u32_e32 v24, v27, v24
	v_add_nc_u32_e32 v25, v24, v25
	s_delay_alu instid0(VALU_DEP_1) | instskip(NEXT) | instid1(VALU_DEP_1)
	;; [unrolled: 3-line block ×3, first 2 shown]
	v_add_nc_u32_e32 v20, v23, v20
	v_add_nc_u32_e32 v21, v20, v21
	ds_store_2addr_b32 v3, v52, v26 offset0:16 offset1:17
	ds_store_2addr_b32 v3, v27, v24 offset0:18 offset1:19
	;; [unrolled: 1-line block ×4, first 2 shown]
	ds_store_b32 v3, v21 offset:96
	s_wait_dscnt 0x0
	s_barrier_signal -1
	s_barrier_wait -1
	ds_load_b32 v23, v28 offset:64
	ds_load_b32 v52, v29 offset:64
	;; [unrolled: 1-line block ×8, first 2 shown]
	v_mov_b64_e32 v[20:21], 0
                                        ; implicit-def: $vgpr22
	s_and_saveexec_b32 s4, vcc_lo
	s_cbranch_execz .LBB1545_43
; %bb.40:
	v_mul_u32_u24_e32 v3, 0x44, v32
	v_add_nc_u32_e32 v21, 1, v32
	s_mov_b32 s5, exec_lo
	ds_load_b32 v20, v3 offset:64
	v_mov_b32_e32 v3, 0x1000
	v_cmpx_ne_u32_e32 0x100, v21
; %bb.41:
	v_mul_u32_u24_e32 v3, 0x44, v21
	ds_load_b32 v3, v3 offset:64
; %bb.42:
	s_or_b32 exec_lo, exec_lo, s5
	s_wait_dscnt 0x0
	v_dual_mov_b32 v21, 0 :: v_dual_sub_nc_u32 v22, v3, v20
.LBB1545_43:
	s_or_b32 exec_lo, exec_lo, s4
	v_mov_b32_e32 v25, 0
	s_wait_dscnt 0x0
	s_barrier_signal -1
	s_barrier_wait -1
	s_and_saveexec_b32 s3, vcc_lo
	s_cbranch_execz .LBB1545_53
; %bb.44:
	v_lshl_add_u32 v24, s26, 8, v32
	v_dual_mov_b32 v28, 0 :: v_dual_bitop2_b32 v3, 2.0, v22 bitop3:0x54
	s_mov_b32 s4, 0
	s_mov_b32 s5, s26
	s_delay_alu instid0(VALU_DEP_2)
	v_lshl_add_u64 v[26:27], v[24:25], 2, s[10:11]
	global_store_b32 v24, v3, s[10:11] scale_offset scope:SCOPE_DEV
                                        ; implicit-def: $sgpr6
	s_branch .LBB1545_47
.LBB1545_45:                            ;   in Loop: Header=BB1545_47 Depth=1
	s_or_b32 exec_lo, exec_lo, s7
.LBB1545_46:                            ;   in Loop: Header=BB1545_47 Depth=1
	s_delay_alu instid0(SALU_CYCLE_1) | instskip(SKIP_2) | instid1(VALU_DEP_2)
	s_or_b32 exec_lo, exec_lo, s6
	v_and_b32_e32 v24, 0x3fffffff, v3
	v_cmp_gt_i32_e64 s6, -2.0, v3
	v_add_nc_u32_e32 v28, v24, v28
	s_and_b32 s7, exec_lo, s6
	s_delay_alu instid0(SALU_CYCLE_1) | instskip(NEXT) | instid1(SALU_CYCLE_1)
	s_or_b32 s4, s7, s4
	s_and_not1_b32 exec_lo, exec_lo, s4
	s_cbranch_execz .LBB1545_52
.LBB1545_47:                            ; =>This Loop Header: Depth=1
                                        ;     Child Loop BB1545_50 Depth 2
	s_or_b32 s6, s6, exec_lo
	s_cmp_eq_u32 s5, 0
	s_cbranch_scc1 .LBB1545_51
; %bb.48:                               ;   in Loop: Header=BB1545_47 Depth=1
	s_add_co_i32 s5, s5, -1
	s_mov_b32 s6, exec_lo
	s_wait_xcnt 0x0
	v_lshl_or_b32 v24, s5, 8, v32
	global_load_b32 v3, v24, s[10:11] scale_offset scope:SCOPE_DEV
	s_wait_loadcnt 0x0
	v_cmpx_gt_u32_e32 2.0, v3
	s_cbranch_execz .LBB1545_46
; %bb.49:                               ;   in Loop: Header=BB1545_47 Depth=1
	v_lshl_add_u64 v[30:31], v[24:25], 2, s[10:11]
	s_mov_b32 s7, 0
.LBB1545_50:                            ;   Parent Loop BB1545_47 Depth=1
                                        ; =>  This Inner Loop Header: Depth=2
	global_load_b32 v3, v[30:31], off scope:SCOPE_DEV
	s_wait_loadcnt 0x0
	v_cmp_lt_u32_e32 vcc_lo, 0x3fffffff, v3
	s_or_b32 s7, vcc_lo, s7
	s_wait_xcnt 0x0
	s_and_not1_b32 exec_lo, exec_lo, s7
	s_cbranch_execnz .LBB1545_50
	s_branch .LBB1545_45
.LBB1545_51:                            ;   in Loop: Header=BB1545_47 Depth=1
                                        ; implicit-def: $sgpr5
	s_and_b32 s7, exec_lo, s6
	s_delay_alu instid0(SALU_CYCLE_1)
	s_or_b32 s4, s7, s4
	s_wait_xcnt 0x0
	s_and_not1_b32 exec_lo, exec_lo, s4
	s_cbranch_execnz .LBB1545_47
.LBB1545_52:
	s_or_b32 exec_lo, exec_lo, s4
	v_dual_add_nc_u32 v3, v28, v22 :: v_dual_mov_b32 v29, 0
	s_delay_alu instid0(VALU_DEP_1)
	v_or_b32_e32 v3, 0x80000000, v3
	global_store_b32 v[26:27], v3, off scope:SCOPE_DEV
	global_load_b64 v[24:25], v32, s[12:13] scale_offset
	s_wait_xcnt 0x1
	v_sub_nc_u64_e32 v[26:27], v[28:29], v[20:21]
	s_wait_loadcnt 0x0
	s_delay_alu instid0(VALU_DEP_1)
	v_add_nc_u64_e32 v[24:25], v[26:27], v[24:25]
	ds_store_b64 v2, v[24:25]
.LBB1545_53:
	s_wait_xcnt 0x0
	s_or_b32 exec_lo, exec_lo, s3
	v_dual_mov_b32 v3, 0 :: v_dual_add_nc_u32 v1, v23, v1
	v_add3_u32 v23, v47, v48, v46
	v_add3_u32 v26, v44, v45, v43
	;; [unrolled: 1-line block ×3, first 2 shown]
	s_delay_alu instid0(VALU_DEP_4)
	v_add_nc_u64_e32 v[24:25], s[18:19], v[2:3]
	v_add3_u32 v3, v50, v51, v49
	v_add3_u32 v28, v39, v54, v38
	v_add3_u32 v29, v37, v53, v36
	v_add3_u32 v30, v35, v52, v34
	v_mov_b32_e32 v31, v32
	s_mov_b64 s[4:5], 0x8000000000000000
	v_add_nc_u64_e32 v[24:25], 0x3000, v[24:25]
	s_mov_b32 s6, -1
	s_mov_b32 s3, 0
	s_branch .LBB1545_55
.LBB1545_54:                            ;   in Loop: Header=BB1545_55 Depth=1
	s_wait_xcnt 0x0
	s_or_b32 exec_lo, exec_lo, s7
	v_add_nc_u64_e32 v[24:25], 0x4000, v[24:25]
	v_add_nc_u32_e32 v31, 0x800, v31
	s_xor_b32 s6, s6, -1
	s_addk_co_i32 s3, 0xf800
	s_and_b32 vcc_lo, exec_lo, s6
	s_mov_b32 s6, 0
	s_wait_storecnt 0x0
	s_barrier_signal -1
	s_barrier_wait -1
	s_cbranch_vccnz .LBB1545_63
.LBB1545_55:                            ; =>This Inner Loop Header: Depth=1
	v_add_min_u32_e64 v34, v1, s3, 0x800
	v_add_min_u32_e64 v35, v30, s3, 0x800
	;; [unrolled: 1-line block ×5, first 2 shown]
	s_delay_alu instid0(VALU_DEP_4) | instskip(NEXT) | instid1(VALU_DEP_3)
	v_dual_lshlrev_b32 v34, 3, v34 :: v_dual_lshlrev_b32 v35, 3, v35
	v_dual_lshlrev_b32 v36, 3, v36 :: v_dual_lshlrev_b32 v37, 3, v37
	s_mov_b32 s7, exec_lo
	ds_store_b64 v34, v[4:5] offset:2048
	ds_store_b64 v35, v[6:7] offset:2048
	;; [unrolled: 1-line block ×3, first 2 shown]
	v_add_min_u32_e64 v34, v26, s3, 0x800
	v_add_min_u32_e64 v35, v23, s3, 0x800
	;; [unrolled: 1-line block ×3, first 2 shown]
	v_lshlrev_b32_e32 v38, 3, v38
	s_delay_alu instid0(VALU_DEP_3) | instskip(NEXT) | instid1(VALU_DEP_3)
	v_dual_lshlrev_b32 v34, 3, v34 :: v_dual_lshlrev_b32 v35, 3, v35
	v_lshlrev_b32_e32 v36, 3, v36
	ds_store_b64 v37, v[10:11] offset:2048
	ds_store_b64 v38, v[12:13] offset:2048
	;; [unrolled: 1-line block ×5, first 2 shown]
	s_wait_storecnt_dscnt 0x0
	s_barrier_signal -1
	s_barrier_wait -1
	v_cmpx_gt_u32_e64 s9, v31
	s_cbranch_execz .LBB1545_57
; %bb.56:                               ;   in Loop: Header=BB1545_55 Depth=1
	ds_load_b64 v[34:35], v2 offset:2048
	s_wait_dscnt 0x0
	v_cmp_ne_u64_e32 vcc_lo, s[4:5], v[34:35]
	v_ashrrev_i32_e32 v38, 31, v35
	s_delay_alu instid0(VALU_DEP_1) | instskip(SKIP_3) | instid1(VALU_DEP_4)
	v_not_b32_e32 v38, v38
	v_cndmask_b32_e32 v37, 0x7fffffff, v35, vcc_lo
	v_cndmask_b32_e32 v36, -1, v34, vcc_lo
	v_cmp_gt_i64_e32 vcc_lo, 0, v[34:35]
	v_xor_b32_e32 v34, v38, v34
	s_delay_alu instid0(VALU_DEP_3) | instskip(SKIP_1) | instid1(VALU_DEP_2)
	v_lshrrev_b64 v[36:37], s20, v[36:37]
	v_cndmask_b32_e64 v39, 0x7fffffff, 0, vcc_lo
	v_and_b32_e32 v36, s28, v36
	s_delay_alu instid0(VALU_DEP_1)
	v_dual_lshlrev_b32 v36, 3, v36 :: v_dual_bitop2_b32 v35, v39, v35 bitop3:0x14
	ds_load_b64 v[36:37], v36
	s_wait_dscnt 0x0
	v_lshl_add_u64 v[36:37], v[36:37], 3, v[24:25]
	global_store_b64 v[36:37], v[34:35], off offset:-12288
.LBB1545_57:                            ;   in Loop: Header=BB1545_55 Depth=1
	s_wait_xcnt 0x0
	s_or_b32 exec_lo, exec_lo, s7
	v_add_nc_u32_e32 v34, 0x200, v31
	s_mov_b32 s7, exec_lo
	s_delay_alu instid0(VALU_DEP_1)
	v_cmpx_gt_u32_e64 s9, v34
	s_cbranch_execz .LBB1545_59
; %bb.58:                               ;   in Loop: Header=BB1545_55 Depth=1
	ds_load_b64 v[34:35], v2 offset:6144
	s_wait_dscnt 0x0
	v_cmp_ne_u64_e32 vcc_lo, s[4:5], v[34:35]
	v_ashrrev_i32_e32 v38, 31, v35
	s_delay_alu instid0(VALU_DEP_1) | instskip(SKIP_3) | instid1(VALU_DEP_4)
	v_not_b32_e32 v38, v38
	v_cndmask_b32_e32 v37, 0x7fffffff, v35, vcc_lo
	v_cndmask_b32_e32 v36, -1, v34, vcc_lo
	v_cmp_gt_i64_e32 vcc_lo, 0, v[34:35]
	v_xor_b32_e32 v34, v38, v34
	s_delay_alu instid0(VALU_DEP_3) | instskip(SKIP_1) | instid1(VALU_DEP_2)
	v_lshrrev_b64 v[36:37], s20, v[36:37]
	v_cndmask_b32_e64 v39, 0x7fffffff, 0, vcc_lo
	v_and_b32_e32 v36, s28, v36
	s_delay_alu instid0(VALU_DEP_1)
	v_dual_lshlrev_b32 v36, 3, v36 :: v_dual_bitop2_b32 v35, v39, v35 bitop3:0x14
	ds_load_b64 v[36:37], v36
	s_wait_dscnt 0x0
	v_lshl_add_u64 v[36:37], v[36:37], 3, v[24:25]
	global_store_b64 v[36:37], v[34:35], off offset:-8192
.LBB1545_59:                            ;   in Loop: Header=BB1545_55 Depth=1
	s_wait_xcnt 0x0
	s_or_b32 exec_lo, exec_lo, s7
	v_add_nc_u32_e32 v34, 0x400, v31
	s_mov_b32 s7, exec_lo
	s_delay_alu instid0(VALU_DEP_1)
	;; [unrolled: 29-line block ×3, first 2 shown]
	v_cmpx_gt_u32_e64 s9, v34
	s_cbranch_execz .LBB1545_54
; %bb.62:                               ;   in Loop: Header=BB1545_55 Depth=1
	ds_load_b64 v[34:35], v2 offset:14336
	s_wait_dscnt 0x0
	v_cmp_ne_u64_e32 vcc_lo, s[4:5], v[34:35]
	v_ashrrev_i32_e32 v38, 31, v35
	s_delay_alu instid0(VALU_DEP_1) | instskip(SKIP_3) | instid1(VALU_DEP_4)
	v_not_b32_e32 v38, v38
	v_cndmask_b32_e32 v37, 0x7fffffff, v35, vcc_lo
	v_cndmask_b32_e32 v36, -1, v34, vcc_lo
	v_cmp_gt_i64_e32 vcc_lo, 0, v[34:35]
	v_xor_b32_e32 v34, v38, v34
	s_delay_alu instid0(VALU_DEP_3) | instskip(SKIP_1) | instid1(VALU_DEP_2)
	v_lshrrev_b64 v[36:37], s20, v[36:37]
	v_cndmask_b32_e64 v39, 0x7fffffff, 0, vcc_lo
	v_and_b32_e32 v36, s28, v36
	s_delay_alu instid0(VALU_DEP_1)
	v_dual_lshlrev_b32 v36, 3, v36 :: v_dual_bitop2_b32 v35, v39, v35 bitop3:0x14
	ds_load_b64 v[36:37], v36
	s_wait_dscnt 0x0
	v_lshl_add_u64 v[36:37], v[36:37], 3, v[24:25]
	global_store_b64 v[36:37], v[34:35], off
	s_branch .LBB1545_54
.LBB1545_63:
	s_add_co_i32 s27, s27, -1
	s_delay_alu instid0(SALU_CYCLE_1) | instskip(SKIP_2) | instid1(SALU_CYCLE_1)
	s_cmp_eq_u32 s26, s27
	s_cselect_b32 s3, -1, 0
	s_xor_b32 s2, s2, -1
	s_and_b32 s3, s2, s3
	s_delay_alu instid0(SALU_CYCLE_1)
	s_and_saveexec_b32 s2, s3
	s_cbranch_execz .LBB1545_65
; %bb.64:
	ds_load_b64 v[2:3], v2
	v_mov_b32_e32 v23, 0
	s_delay_alu instid0(VALU_DEP_1) | instskip(SKIP_1) | instid1(VALU_DEP_1)
	v_add_nc_u64_e32 v[4:5], v[20:21], v[22:23]
	s_wait_dscnt 0x0
	v_add_nc_u64_e32 v[2:3], v[4:5], v[2:3]
	global_store_b64 v32, v[2:3], s[14:15] scale_offset
.LBB1545_65:
	s_wait_xcnt 0x0
	s_or_b32 exec_lo, exec_lo, s2
	s_mov_b32 s2, 0
.LBB1545_66:
	s_delay_alu instid0(SALU_CYCLE_1)
	s_and_b32 vcc_lo, exec_lo, s2
	s_cbranch_vccz .LBB1545_107
; %bb.67:
	s_lshl_b32 s2, s26, 12
	s_mov_b32 s3, 0
	v_dual_mov_b32 v19, 0 :: v_dual_lshlrev_b32 v18, 3, v33
	s_lshl_b64 s[4:5], s[2:3], 3
	v_lshlrev_b32_e32 v1, 6, v32
	s_add_nc_u64 s[4:5], s[16:17], s[4:5]
	s_mov_b64 s[8:9], 0x8000000000000000
	v_add_nc_u64_e32 v[2:3], s[4:5], v[18:19]
	v_bfe_u32 v22, v0, 20, 10
	v_and_b32_e32 v18, 0x7800, v1
	s_delay_alu instid0(VALU_DEP_1)
	v_add_nc_u64_e32 v[2:3], v[2:3], v[18:19]
	v_bfe_u32 v18, v0, 10, 10
	s_clause 0x7
	global_load_b64 v[20:21], v[2:3], off
	global_load_b64 v[16:17], v[2:3], off offset:256
	global_load_b64 v[4:5], v[2:3], off offset:512
	;; [unrolled: 1-line block ×7, first 2 shown]
	s_clause 0x1
	s_load_b32 s16, s[0:1], 0x58
	s_load_u16 s4, s[0:1], 0x66
	s_wait_kmcnt 0x0
	s_cmp_lt_u32 s26, s16
	s_cselect_b32 s2, 12, 18
	s_lshl_b32 s7, -1, s21
	s_add_nc_u64 s[0:1], s[24:25], s[2:3]
	s_not_b32 s17, s7
	s_load_u16 s0, s[0:1], 0x0
	s_wait_loadcnt 0x7
	v_cmp_gt_i64_e32 vcc_lo, 0, v[20:21]
	v_ashrrev_i32_e32 v1, 31, v21
	s_delay_alu instid0(VALU_DEP_1) | instskip(SKIP_1) | instid1(VALU_DEP_1)
	v_not_b32_e32 v1, v1
	v_cndmask_b32_e64 v2, 0x7fffffff, 0, vcc_lo
	v_xor_b32_e32 v3, v2, v21
	s_delay_alu instid0(VALU_DEP_3) | instskip(NEXT) | instid1(VALU_DEP_1)
	v_xor_b32_e32 v2, v1, v20
	v_cmp_ne_u64_e32 vcc_lo, s[8:9], v[2:3]
	v_cndmask_b32_e32 v21, 0x7fffffff, v3, vcc_lo
	v_cndmask_b32_e32 v20, -1, v2, vcc_lo
	s_delay_alu instid0(VALU_DEP_1) | instskip(SKIP_1) | instid1(VALU_DEP_2)
	v_lshrrev_b64 v[0:1], s20, v[20:21]
	v_mad_u32_u24 v1, v22, s4, v18
	v_bitop3_b32 v18, v0, 1, s7 bitop3:0x40
	v_bitop3_b32 v20, v0, s7, v0 bitop3:0x30
	s_wait_kmcnt 0x0
	s_delay_alu instid0(VALU_DEP_3) | instskip(NEXT) | instid1(VALU_DEP_3)
	v_mad_u32 v0, v1, s0, v32
	v_add_co_u32 v1, s0, v18, -1
	s_delay_alu instid0(VALU_DEP_1) | instskip(SKIP_2) | instid1(VALU_DEP_3)
	v_cndmask_b32_e64 v18, 0, 1, s0
	v_dual_lshlrev_b32 v21, 30, v20 :: v_dual_lshlrev_b32 v22, 29, v20
	v_dual_lshlrev_b32 v23, 28, v20 :: v_dual_lshlrev_b32 v24, 27, v20
	v_cmp_ne_u32_e32 vcc_lo, 0, v18
	s_delay_alu instid0(VALU_DEP_3)
	v_not_b32_e32 v18, v21
	v_dual_lshlrev_b32 v25, 26, v20 :: v_dual_lshlrev_b32 v26, 25, v20
	v_lshlrev_b32_e32 v27, 24, v20
	v_cmp_gt_i32_e64 s0, 0, v21
	v_cmp_gt_i32_e64 s1, 0, v22
	v_not_b32_e32 v21, v22
	v_not_b32_e32 v22, v23
	v_ashrrev_i32_e32 v18, 31, v18
	v_cmp_gt_i32_e64 s2, 0, v23
	v_cmp_gt_i32_e64 s3, 0, v24
	v_not_b32_e32 v23, v24
	v_not_b32_e32 v24, v25
	v_dual_ashrrev_i32 v22, 31, v22 :: v_dual_bitop2_b32 v1, vcc_lo, v1 bitop3:0x14
	v_dual_ashrrev_i32 v21, 31, v21 :: v_dual_bitop2_b32 v18, s0, v18 bitop3:0x14
	v_cmp_gt_i32_e64 s4, 0, v25
	v_cmp_gt_i32_e64 s5, 0, v26
	v_not_b32_e32 v25, v26
	v_not_b32_e32 v26, v27
	v_dual_ashrrev_i32 v23, 31, v23 :: v_dual_ashrrev_i32 v24, 31, v24
	v_xor_b32_e32 v21, s1, v21
	v_xor_b32_e32 v22, s2, v22
	v_bitop3_b32 v1, v1, v18, exec_lo bitop3:0x80
	v_cmp_gt_i32_e64 s6, 0, v27
	v_dual_ashrrev_i32 v18, 31, v25 :: v_dual_ashrrev_i32 v25, 31, v26
	v_dual_lshrrev_b32 v0, 5, v0 :: v_dual_bitop2_b32 v23, s3, v23 bitop3:0x14
	v_xor_b32_e32 v24, s4, v24
	v_bitop3_b32 v1, v1, v22, v21 bitop3:0x80
	s_delay_alu instid0(VALU_DEP_4) | instskip(NEXT) | instid1(VALU_DEP_4)
	v_xor_b32_e32 v21, s5, v18
	v_dual_lshlrev_b32 v18, 2, v0 :: v_dual_bitop2_b32 v22, s6, v25 bitop3:0x14
	s_delay_alu instid0(VALU_DEP_3)
	v_bitop3_b32 v1, v1, v24, v23 bitop3:0x80
	v_mul_u32_u24_e32 v24, 36, v32
	ds_store_2addr_b32 v24, v19, v19 offset0:16 offset1:17
	ds_store_2addr_b32 v24, v19, v19 offset0:18 offset1:19
	;; [unrolled: 1-line block ×4, first 2 shown]
	v_bitop3_b32 v0, v1, v22, v21 bitop3:0x80
	v_mad_u32 v25, 0x44, v20, v18
	ds_store_b32 v24, v19 offset:96
	s_wait_storecnt 0x0
	s_wait_loadcnt_dscnt 0x0
	s_barrier_signal -1
	v_mbcnt_lo_u32_b32 v30, v0, 0
	v_cmp_ne_u32_e64 s0, 0, v0
	s_barrier_wait -1
	s_delay_alu instid0(VALU_DEP_2) | instskip(SKIP_1) | instid1(SALU_CYCLE_1)
	v_cmp_eq_u32_e32 vcc_lo, 0, v30
	; wave barrier
	s_and_b32 s1, s0, vcc_lo
	s_and_saveexec_b32 s0, s1
; %bb.68:
	v_bcnt_u32_b32 v0, v0, 0
	ds_store_b32 v25, v0 offset:64
; %bb.69:
	s_or_b32 exec_lo, exec_lo, s0
	v_cmp_gt_i64_e32 vcc_lo, 0, v[16:17]
	; wave barrier
	v_cndmask_b32_e64 v1, 0x7fffffff, 0, vcc_lo
	s_delay_alu instid0(VALU_DEP_1) | instskip(NEXT) | instid1(VALU_DEP_1)
	v_dual_ashrrev_i32 v0, 31, v17 :: v_dual_bitop2_b32 v1, v1, v17 bitop3:0x14
	v_not_b32_e32 v0, v0
	s_delay_alu instid0(VALU_DEP_1) | instskip(NEXT) | instid1(VALU_DEP_1)
	v_xor_b32_e32 v0, v0, v16
	v_cmp_ne_u64_e32 vcc_lo, s[8:9], v[0:1]
	v_cndmask_b32_e32 v17, 0x7fffffff, v1, vcc_lo
	v_cndmask_b32_e32 v16, -1, v0, vcc_lo
	s_delay_alu instid0(VALU_DEP_1) | instskip(NEXT) | instid1(VALU_DEP_1)
	v_lshrrev_b64 v[16:17], s20, v[16:17]
	v_and_b32_e32 v17, s17, v16
	v_bitop3_b32 v16, v16, 1, s17 bitop3:0x80
	s_delay_alu instid0(VALU_DEP_2) | instskip(NEXT) | instid1(VALU_DEP_2)
	v_lshlrev_b32_e32 v20, 30, v17
	v_add_co_u32 v16, s0, v16, -1
	s_delay_alu instid0(VALU_DEP_1) | instskip(NEXT) | instid1(VALU_DEP_3)
	v_cndmask_b32_e64 v19, 0, 1, s0
	v_cmp_gt_i32_e64 s0, 0, v20
	s_delay_alu instid0(VALU_DEP_2) | instskip(SKIP_1) | instid1(VALU_DEP_1)
	v_cmp_ne_u32_e32 vcc_lo, 0, v19
	v_not_b32_e32 v19, v20
	v_dual_ashrrev_i32 v19, 31, v19 :: v_dual_bitop2_b32 v16, vcc_lo, v16 bitop3:0x14
	v_dual_lshlrev_b32 v21, 29, v17 :: v_dual_lshlrev_b32 v22, 28, v17
	v_dual_lshlrev_b32 v23, 27, v17 :: v_dual_lshlrev_b32 v27, 26, v17
	v_lshlrev_b32_e32 v28, 25, v17
	s_delay_alu instid0(VALU_DEP_3)
	v_cmp_gt_i32_e64 s1, 0, v21
	v_not_b32_e32 v20, v21
	v_not_b32_e32 v21, v22
	v_mad_u32 v26, 0x44, v17, v18
	v_lshlrev_b32_e32 v17, 24, v17
	v_cmp_gt_i32_e64 s2, 0, v22
	v_cmp_gt_i32_e64 s3, 0, v23
	v_not_b32_e32 v22, v23
	v_not_b32_e32 v23, v27
	v_dual_ashrrev_i32 v20, 31, v20 :: v_dual_ashrrev_i32 v21, 31, v21
	v_xor_b32_e32 v19, s0, v19
	v_cmp_gt_i32_e64 s4, 0, v27
	v_not_b32_e32 v27, v28
	v_cmp_gt_i32_e64 s6, 0, v17
	v_not_b32_e32 v17, v17
	v_dual_ashrrev_i32 v22, 31, v22 :: v_dual_ashrrev_i32 v23, 31, v23
	v_xor_b32_e32 v20, s1, v20
	v_xor_b32_e32 v21, s2, v21
	v_bitop3_b32 v16, v16, v19, exec_lo bitop3:0x80
	v_cmp_gt_i32_e64 s5, 0, v28
	v_dual_ashrrev_i32 v19, 31, v27 :: v_dual_ashrrev_i32 v17, 31, v17
	v_xor_b32_e32 v22, s3, v22
	v_xor_b32_e32 v23, s4, v23
	v_bitop3_b32 v16, v16, v21, v20 bitop3:0x80
	s_delay_alu instid0(VALU_DEP_4) | instskip(SKIP_3) | instid1(VALU_DEP_1)
	v_xor_b32_e32 v19, s5, v19
	v_xor_b32_e32 v17, s6, v17
	ds_load_b32 v31, v26 offset:64
	v_bitop3_b32 v16, v16, v23, v22 bitop3:0x80
	; wave barrier
	v_bitop3_b32 v16, v16, v17, v19 bitop3:0x80
	s_delay_alu instid0(VALU_DEP_1) | instskip(SKIP_1) | instid1(VALU_DEP_2)
	v_mbcnt_lo_u32_b32 v34, v16, 0
	v_cmp_ne_u32_e64 s0, 0, v16
	v_cmp_eq_u32_e32 vcc_lo, 0, v34
	s_and_b32 s1, s0, vcc_lo
	s_delay_alu instid0(SALU_CYCLE_1)
	s_and_saveexec_b32 s0, s1
	s_cbranch_execz .LBB1545_71
; %bb.70:
	s_wait_dscnt 0x0
	v_bcnt_u32_b32 v16, v16, v31
	ds_store_b32 v26, v16 offset:64
.LBB1545_71:
	s_or_b32 exec_lo, exec_lo, s0
	v_cmp_gt_i64_e32 vcc_lo, 0, v[4:5]
	; wave barrier
	v_cndmask_b32_e64 v17, 0x7fffffff, 0, vcc_lo
	s_delay_alu instid0(VALU_DEP_1) | instskip(NEXT) | instid1(VALU_DEP_1)
	v_dual_ashrrev_i32 v16, 31, v5 :: v_dual_bitop2_b32 v5, v17, v5 bitop3:0x14
	v_not_b32_e32 v16, v16
	s_delay_alu instid0(VALU_DEP_1) | instskip(NEXT) | instid1(VALU_DEP_1)
	v_xor_b32_e32 v4, v16, v4
	v_cmp_ne_u64_e32 vcc_lo, s[8:9], v[4:5]
	v_cndmask_b32_e32 v17, 0x7fffffff, v5, vcc_lo
	v_cndmask_b32_e32 v16, -1, v4, vcc_lo
	s_delay_alu instid0(VALU_DEP_1) | instskip(NEXT) | instid1(VALU_DEP_1)
	v_lshrrev_b64 v[16:17], s20, v[16:17]
	v_and_b32_e32 v17, s17, v16
	v_bitop3_b32 v16, v16, 1, s17 bitop3:0x80
	s_delay_alu instid0(VALU_DEP_2) | instskip(NEXT) | instid1(VALU_DEP_2)
	v_lshlrev_b32_e32 v20, 30, v17
	v_add_co_u32 v16, s0, v16, -1
	s_delay_alu instid0(VALU_DEP_1) | instskip(NEXT) | instid1(VALU_DEP_3)
	v_cndmask_b32_e64 v19, 0, 1, s0
	v_cmp_gt_i32_e64 s0, 0, v20
	s_delay_alu instid0(VALU_DEP_2) | instskip(SKIP_1) | instid1(VALU_DEP_1)
	v_cmp_ne_u32_e32 vcc_lo, 0, v19
	v_not_b32_e32 v19, v20
	v_dual_ashrrev_i32 v19, 31, v19 :: v_dual_bitop2_b32 v16, vcc_lo, v16 bitop3:0x14
	v_dual_lshlrev_b32 v21, 29, v17 :: v_dual_lshlrev_b32 v22, 28, v17
	v_dual_lshlrev_b32 v23, 27, v17 :: v_dual_lshlrev_b32 v28, 26, v17
	v_lshlrev_b32_e32 v29, 25, v17
	s_delay_alu instid0(VALU_DEP_3)
	v_cmp_gt_i32_e64 s1, 0, v21
	v_not_b32_e32 v20, v21
	v_not_b32_e32 v21, v22
	v_mad_u32 v27, 0x44, v17, v18
	v_lshlrev_b32_e32 v17, 24, v17
	v_cmp_gt_i32_e64 s2, 0, v22
	v_cmp_gt_i32_e64 s3, 0, v23
	v_not_b32_e32 v22, v23
	v_not_b32_e32 v23, v28
	v_dual_ashrrev_i32 v20, 31, v20 :: v_dual_ashrrev_i32 v21, 31, v21
	v_xor_b32_e32 v19, s0, v19
	v_cmp_gt_i32_e64 s4, 0, v28
	v_not_b32_e32 v28, v29
	v_cmp_gt_i32_e64 s6, 0, v17
	v_not_b32_e32 v17, v17
	v_dual_ashrrev_i32 v22, 31, v22 :: v_dual_ashrrev_i32 v23, 31, v23
	v_xor_b32_e32 v20, s1, v20
	v_xor_b32_e32 v21, s2, v21
	v_bitop3_b32 v16, v16, v19, exec_lo bitop3:0x80
	v_cmp_gt_i32_e64 s5, 0, v29
	v_dual_ashrrev_i32 v19, 31, v28 :: v_dual_ashrrev_i32 v17, 31, v17
	v_xor_b32_e32 v22, s3, v22
	v_xor_b32_e32 v23, s4, v23
	v_bitop3_b32 v16, v16, v21, v20 bitop3:0x80
	s_delay_alu instid0(VALU_DEP_4) | instskip(SKIP_3) | instid1(VALU_DEP_1)
	v_xor_b32_e32 v19, s5, v19
	v_xor_b32_e32 v17, s6, v17
	ds_load_b32 v35, v27 offset:64
	v_bitop3_b32 v16, v16, v23, v22 bitop3:0x80
	; wave barrier
	v_bitop3_b32 v16, v16, v17, v19 bitop3:0x80
	s_delay_alu instid0(VALU_DEP_1) | instskip(SKIP_1) | instid1(VALU_DEP_2)
	v_mbcnt_lo_u32_b32 v36, v16, 0
	v_cmp_ne_u32_e64 s0, 0, v16
	v_cmp_eq_u32_e32 vcc_lo, 0, v36
	s_and_b32 s1, s0, vcc_lo
	s_delay_alu instid0(SALU_CYCLE_1)
	s_and_saveexec_b32 s0, s1
	s_cbranch_execz .LBB1545_73
; %bb.72:
	s_wait_dscnt 0x0
	v_bcnt_u32_b32 v16, v16, v35
	ds_store_b32 v27, v16 offset:64
.LBB1545_73:
	s_or_b32 exec_lo, exec_lo, s0
	v_cmp_gt_i64_e32 vcc_lo, 0, v[6:7]
	; wave barrier
	v_cndmask_b32_e64 v17, 0x7fffffff, 0, vcc_lo
	s_delay_alu instid0(VALU_DEP_1) | instskip(NEXT) | instid1(VALU_DEP_1)
	v_dual_ashrrev_i32 v16, 31, v7 :: v_dual_bitop2_b32 v7, v17, v7 bitop3:0x14
	v_not_b32_e32 v16, v16
	s_delay_alu instid0(VALU_DEP_1) | instskip(NEXT) | instid1(VALU_DEP_1)
	v_xor_b32_e32 v6, v16, v6
	v_cmp_ne_u64_e32 vcc_lo, s[8:9], v[6:7]
	v_cndmask_b32_e32 v17, 0x7fffffff, v7, vcc_lo
	v_cndmask_b32_e32 v16, -1, v6, vcc_lo
	s_delay_alu instid0(VALU_DEP_1) | instskip(NEXT) | instid1(VALU_DEP_1)
	v_lshrrev_b64 v[16:17], s20, v[16:17]
	v_and_b32_e32 v17, s17, v16
	v_bitop3_b32 v16, v16, 1, s17 bitop3:0x80
	s_delay_alu instid0(VALU_DEP_2) | instskip(NEXT) | instid1(VALU_DEP_2)
	v_lshlrev_b32_e32 v20, 30, v17
	v_add_co_u32 v16, s0, v16, -1
	s_delay_alu instid0(VALU_DEP_1) | instskip(NEXT) | instid1(VALU_DEP_3)
	v_cndmask_b32_e64 v19, 0, 1, s0
	v_cmp_gt_i32_e64 s0, 0, v20
	s_delay_alu instid0(VALU_DEP_2) | instskip(SKIP_1) | instid1(VALU_DEP_1)
	v_cmp_ne_u32_e32 vcc_lo, 0, v19
	v_not_b32_e32 v19, v20
	v_dual_ashrrev_i32 v19, 31, v19 :: v_dual_bitop2_b32 v16, vcc_lo, v16 bitop3:0x14
	v_dual_lshlrev_b32 v21, 29, v17 :: v_dual_lshlrev_b32 v22, 28, v17
	v_dual_lshlrev_b32 v23, 27, v17 :: v_dual_lshlrev_b32 v29, 26, v17
	v_lshlrev_b32_e32 v37, 25, v17
	s_delay_alu instid0(VALU_DEP_3)
	v_cmp_gt_i32_e64 s1, 0, v21
	v_not_b32_e32 v20, v21
	v_not_b32_e32 v21, v22
	v_mad_u32 v28, 0x44, v17, v18
	v_lshlrev_b32_e32 v17, 24, v17
	v_cmp_gt_i32_e64 s2, 0, v22
	v_cmp_gt_i32_e64 s3, 0, v23
	v_not_b32_e32 v22, v23
	v_not_b32_e32 v23, v29
	v_dual_ashrrev_i32 v20, 31, v20 :: v_dual_ashrrev_i32 v21, 31, v21
	v_xor_b32_e32 v19, s0, v19
	v_cmp_gt_i32_e64 s4, 0, v29
	v_not_b32_e32 v29, v37
	v_cmp_gt_i32_e64 s6, 0, v17
	v_not_b32_e32 v17, v17
	v_dual_ashrrev_i32 v22, 31, v22 :: v_dual_ashrrev_i32 v23, 31, v23
	v_xor_b32_e32 v20, s1, v20
	v_xor_b32_e32 v21, s2, v21
	v_bitop3_b32 v16, v16, v19, exec_lo bitop3:0x80
	v_cmp_gt_i32_e64 s5, 0, v37
	v_ashrrev_i32_e32 v19, 31, v29
	v_dual_ashrrev_i32 v17, 31, v17 :: v_dual_bitop2_b32 v22, s3, v22 bitop3:0x14
	v_xor_b32_e32 v23, s4, v23
	v_bitop3_b32 v16, v16, v21, v20 bitop3:0x80
	s_delay_alu instid0(VALU_DEP_4) | instskip(NEXT) | instid1(VALU_DEP_4)
	v_xor_b32_e32 v19, s5, v19
	v_xor_b32_e32 v17, s6, v17
	ds_load_b32 v37, v28 offset:64
	v_bitop3_b32 v16, v16, v23, v22 bitop3:0x80
	; wave barrier
	s_delay_alu instid0(VALU_DEP_1) | instskip(NEXT) | instid1(VALU_DEP_1)
	v_bitop3_b32 v16, v16, v17, v19 bitop3:0x80
	v_mbcnt_lo_u32_b32 v38, v16, 0
	v_cmp_ne_u32_e64 s0, 0, v16
	s_delay_alu instid0(VALU_DEP_2) | instskip(SKIP_1) | instid1(SALU_CYCLE_1)
	v_cmp_eq_u32_e32 vcc_lo, 0, v38
	s_and_b32 s1, s0, vcc_lo
	s_and_saveexec_b32 s0, s1
	s_cbranch_execz .LBB1545_75
; %bb.74:
	s_wait_dscnt 0x0
	v_bcnt_u32_b32 v16, v16, v37
	ds_store_b32 v28, v16 offset:64
.LBB1545_75:
	s_or_b32 exec_lo, exec_lo, s0
	v_cmp_gt_i64_e32 vcc_lo, 0, v[8:9]
	; wave barrier
	v_cndmask_b32_e64 v17, 0x7fffffff, 0, vcc_lo
	s_delay_alu instid0(VALU_DEP_1) | instskip(NEXT) | instid1(VALU_DEP_1)
	v_dual_ashrrev_i32 v16, 31, v9 :: v_dual_bitop2_b32 v9, v17, v9 bitop3:0x14
	v_not_b32_e32 v16, v16
	s_delay_alu instid0(VALU_DEP_1) | instskip(NEXT) | instid1(VALU_DEP_1)
	v_xor_b32_e32 v8, v16, v8
	v_cmp_ne_u64_e32 vcc_lo, s[8:9], v[8:9]
	v_cndmask_b32_e32 v17, 0x7fffffff, v9, vcc_lo
	v_cndmask_b32_e32 v16, -1, v8, vcc_lo
	s_delay_alu instid0(VALU_DEP_1) | instskip(NEXT) | instid1(VALU_DEP_1)
	v_lshrrev_b64 v[16:17], s20, v[16:17]
	v_and_b32_e32 v17, s17, v16
	v_bitop3_b32 v16, v16, 1, s17 bitop3:0x80
	s_delay_alu instid0(VALU_DEP_2) | instskip(NEXT) | instid1(VALU_DEP_2)
	v_lshlrev_b32_e32 v20, 30, v17
	v_add_co_u32 v16, s0, v16, -1
	s_delay_alu instid0(VALU_DEP_1) | instskip(NEXT) | instid1(VALU_DEP_3)
	v_cndmask_b32_e64 v19, 0, 1, s0
	v_cmp_gt_i32_e64 s0, 0, v20
	s_delay_alu instid0(VALU_DEP_2) | instskip(SKIP_1) | instid1(VALU_DEP_1)
	v_cmp_ne_u32_e32 vcc_lo, 0, v19
	v_not_b32_e32 v19, v20
	v_dual_ashrrev_i32 v19, 31, v19 :: v_dual_bitop2_b32 v16, vcc_lo, v16 bitop3:0x14
	v_dual_lshlrev_b32 v21, 29, v17 :: v_dual_lshlrev_b32 v22, 28, v17
	v_dual_lshlrev_b32 v23, 27, v17 :: v_dual_lshlrev_b32 v39, 26, v17
	v_lshlrev_b32_e32 v40, 25, v17
	s_delay_alu instid0(VALU_DEP_3)
	v_cmp_gt_i32_e64 s1, 0, v21
	v_not_b32_e32 v20, v21
	v_not_b32_e32 v21, v22
	v_mad_u32 v29, 0x44, v17, v18
	v_lshlrev_b32_e32 v17, 24, v17
	v_cmp_gt_i32_e64 s2, 0, v22
	v_cmp_gt_i32_e64 s3, 0, v23
	v_not_b32_e32 v22, v23
	v_not_b32_e32 v23, v39
	v_dual_ashrrev_i32 v20, 31, v20 :: v_dual_ashrrev_i32 v21, 31, v21
	v_xor_b32_e32 v19, s0, v19
	v_cmp_gt_i32_e64 s4, 0, v39
	v_not_b32_e32 v39, v40
	v_cmp_gt_i32_e64 s6, 0, v17
	v_not_b32_e32 v17, v17
	v_dual_ashrrev_i32 v22, 31, v22 :: v_dual_ashrrev_i32 v23, 31, v23
	v_xor_b32_e32 v20, s1, v20
	v_xor_b32_e32 v21, s2, v21
	v_bitop3_b32 v16, v16, v19, exec_lo bitop3:0x80
	v_cmp_gt_i32_e64 s5, 0, v40
	v_dual_ashrrev_i32 v19, 31, v39 :: v_dual_ashrrev_i32 v17, 31, v17
	v_xor_b32_e32 v22, s3, v22
	v_xor_b32_e32 v23, s4, v23
	v_bitop3_b32 v16, v16, v21, v20 bitop3:0x80
	s_delay_alu instid0(VALU_DEP_4) | instskip(SKIP_3) | instid1(VALU_DEP_1)
	v_xor_b32_e32 v19, s5, v19
	v_xor_b32_e32 v17, s6, v17
	ds_load_b32 v39, v29 offset:64
	v_bitop3_b32 v16, v16, v23, v22 bitop3:0x80
	; wave barrier
	v_bitop3_b32 v16, v16, v17, v19 bitop3:0x80
	s_delay_alu instid0(VALU_DEP_1) | instskip(SKIP_1) | instid1(VALU_DEP_2)
	v_mbcnt_lo_u32_b32 v40, v16, 0
	v_cmp_ne_u32_e64 s0, 0, v16
	v_cmp_eq_u32_e32 vcc_lo, 0, v40
	s_and_b32 s1, s0, vcc_lo
	s_delay_alu instid0(SALU_CYCLE_1)
	s_and_saveexec_b32 s0, s1
	s_cbranch_execz .LBB1545_77
; %bb.76:
	s_wait_dscnt 0x0
	v_bcnt_u32_b32 v16, v16, v39
	ds_store_b32 v29, v16 offset:64
.LBB1545_77:
	s_or_b32 exec_lo, exec_lo, s0
	v_cmp_gt_i64_e32 vcc_lo, 0, v[10:11]
	; wave barrier
	v_cndmask_b32_e64 v17, 0x7fffffff, 0, vcc_lo
	s_delay_alu instid0(VALU_DEP_1) | instskip(NEXT) | instid1(VALU_DEP_1)
	v_dual_ashrrev_i32 v16, 31, v11 :: v_dual_bitop2_b32 v11, v17, v11 bitop3:0x14
	v_not_b32_e32 v16, v16
	s_delay_alu instid0(VALU_DEP_1) | instskip(NEXT) | instid1(VALU_DEP_1)
	v_xor_b32_e32 v10, v16, v10
	v_cmp_ne_u64_e32 vcc_lo, s[8:9], v[10:11]
	v_cndmask_b32_e32 v17, 0x7fffffff, v11, vcc_lo
	v_cndmask_b32_e32 v16, -1, v10, vcc_lo
	s_delay_alu instid0(VALU_DEP_1) | instskip(NEXT) | instid1(VALU_DEP_1)
	v_lshrrev_b64 v[16:17], s20, v[16:17]
	v_and_b32_e32 v17, s17, v16
	v_bitop3_b32 v16, v16, 1, s17 bitop3:0x80
	s_delay_alu instid0(VALU_DEP_2) | instskip(NEXT) | instid1(VALU_DEP_2)
	v_lshlrev_b32_e32 v20, 30, v17
	v_add_co_u32 v16, s0, v16, -1
	s_delay_alu instid0(VALU_DEP_1) | instskip(NEXT) | instid1(VALU_DEP_3)
	v_cndmask_b32_e64 v19, 0, 1, s0
	v_cmp_gt_i32_e64 s0, 0, v20
	s_delay_alu instid0(VALU_DEP_2) | instskip(SKIP_1) | instid1(VALU_DEP_1)
	v_cmp_ne_u32_e32 vcc_lo, 0, v19
	v_not_b32_e32 v19, v20
	v_dual_ashrrev_i32 v19, 31, v19 :: v_dual_bitop2_b32 v16, vcc_lo, v16 bitop3:0x14
	v_dual_lshlrev_b32 v21, 29, v17 :: v_dual_lshlrev_b32 v22, 28, v17
	v_dual_lshlrev_b32 v23, 27, v17 :: v_dual_lshlrev_b32 v41, 26, v17
	v_lshlrev_b32_e32 v42, 25, v17
	s_delay_alu instid0(VALU_DEP_3)
	v_cmp_gt_i32_e64 s1, 0, v21
	v_not_b32_e32 v20, v21
	v_not_b32_e32 v21, v22
	v_mad_u32 v43, 0x44, v17, v18
	v_lshlrev_b32_e32 v17, 24, v17
	v_cmp_gt_i32_e64 s2, 0, v22
	v_cmp_gt_i32_e64 s3, 0, v23
	v_not_b32_e32 v22, v23
	v_not_b32_e32 v23, v41
	v_dual_ashrrev_i32 v20, 31, v20 :: v_dual_ashrrev_i32 v21, 31, v21
	v_xor_b32_e32 v19, s0, v19
	v_cmp_gt_i32_e64 s4, 0, v41
	v_not_b32_e32 v41, v42
	v_cmp_gt_i32_e64 s6, 0, v17
	v_not_b32_e32 v17, v17
	v_dual_ashrrev_i32 v22, 31, v22 :: v_dual_ashrrev_i32 v23, 31, v23
	v_xor_b32_e32 v20, s1, v20
	v_xor_b32_e32 v21, s2, v21
	v_bitop3_b32 v16, v16, v19, exec_lo bitop3:0x80
	v_cmp_gt_i32_e64 s5, 0, v42
	v_ashrrev_i32_e32 v19, 31, v41
	v_dual_ashrrev_i32 v17, 31, v17 :: v_dual_bitop2_b32 v22, s3, v22 bitop3:0x14
	v_xor_b32_e32 v23, s4, v23
	v_bitop3_b32 v16, v16, v21, v20 bitop3:0x80
	s_delay_alu instid0(VALU_DEP_4) | instskip(NEXT) | instid1(VALU_DEP_4)
	v_xor_b32_e32 v19, s5, v19
	v_xor_b32_e32 v17, s6, v17
	ds_load_b32 v41, v43 offset:64
	v_bitop3_b32 v16, v16, v23, v22 bitop3:0x80
	; wave barrier
	s_delay_alu instid0(VALU_DEP_1) | instskip(NEXT) | instid1(VALU_DEP_1)
	v_bitop3_b32 v16, v16, v17, v19 bitop3:0x80
	v_mbcnt_lo_u32_b32 v42, v16, 0
	v_cmp_ne_u32_e64 s0, 0, v16
	s_delay_alu instid0(VALU_DEP_2) | instskip(SKIP_1) | instid1(SALU_CYCLE_1)
	v_cmp_eq_u32_e32 vcc_lo, 0, v42
	s_and_b32 s1, s0, vcc_lo
	s_and_saveexec_b32 s0, s1
	s_cbranch_execz .LBB1545_79
; %bb.78:
	s_wait_dscnt 0x0
	v_bcnt_u32_b32 v16, v16, v41
	ds_store_b32 v43, v16 offset:64
.LBB1545_79:
	s_or_b32 exec_lo, exec_lo, s0
	v_cmp_gt_i64_e32 vcc_lo, 0, v[14:15]
	; wave barrier
	v_cndmask_b32_e64 v17, 0x7fffffff, 0, vcc_lo
	s_delay_alu instid0(VALU_DEP_1) | instskip(NEXT) | instid1(VALU_DEP_1)
	v_dual_ashrrev_i32 v16, 31, v15 :: v_dual_bitop2_b32 v15, v17, v15 bitop3:0x14
	v_not_b32_e32 v16, v16
	s_delay_alu instid0(VALU_DEP_1) | instskip(NEXT) | instid1(VALU_DEP_1)
	v_xor_b32_e32 v14, v16, v14
	v_cmp_ne_u64_e32 vcc_lo, s[8:9], v[14:15]
	v_cndmask_b32_e32 v17, 0x7fffffff, v15, vcc_lo
	v_cndmask_b32_e32 v16, -1, v14, vcc_lo
	s_delay_alu instid0(VALU_DEP_1) | instskip(NEXT) | instid1(VALU_DEP_1)
	v_lshrrev_b64 v[16:17], s20, v[16:17]
	v_and_b32_e32 v17, s17, v16
	v_bitop3_b32 v16, v16, 1, s17 bitop3:0x80
	s_delay_alu instid0(VALU_DEP_2) | instskip(NEXT) | instid1(VALU_DEP_2)
	v_lshlrev_b32_e32 v20, 30, v17
	v_add_co_u32 v16, s0, v16, -1
	s_delay_alu instid0(VALU_DEP_1) | instskip(NEXT) | instid1(VALU_DEP_3)
	v_cndmask_b32_e64 v19, 0, 1, s0
	v_cmp_gt_i32_e64 s0, 0, v20
	s_delay_alu instid0(VALU_DEP_2) | instskip(SKIP_1) | instid1(VALU_DEP_1)
	v_cmp_ne_u32_e32 vcc_lo, 0, v19
	v_not_b32_e32 v19, v20
	v_dual_ashrrev_i32 v19, 31, v19 :: v_dual_bitop2_b32 v16, vcc_lo, v16 bitop3:0x14
	v_dual_lshlrev_b32 v21, 29, v17 :: v_dual_lshlrev_b32 v22, 28, v17
	v_dual_lshlrev_b32 v23, 27, v17 :: v_dual_lshlrev_b32 v44, 26, v17
	v_lshlrev_b32_e32 v45, 25, v17
	s_delay_alu instid0(VALU_DEP_3)
	v_cmp_gt_i32_e64 s1, 0, v21
	v_not_b32_e32 v20, v21
	v_not_b32_e32 v21, v22
	v_mad_u32 v46, 0x44, v17, v18
	v_lshlrev_b32_e32 v17, 24, v17
	v_cmp_gt_i32_e64 s2, 0, v22
	v_cmp_gt_i32_e64 s3, 0, v23
	v_not_b32_e32 v22, v23
	v_not_b32_e32 v23, v44
	v_dual_ashrrev_i32 v20, 31, v20 :: v_dual_ashrrev_i32 v21, 31, v21
	v_xor_b32_e32 v19, s0, v19
	v_cmp_gt_i32_e64 s4, 0, v44
	v_not_b32_e32 v44, v45
	v_cmp_gt_i32_e64 s6, 0, v17
	v_not_b32_e32 v17, v17
	v_dual_ashrrev_i32 v22, 31, v22 :: v_dual_ashrrev_i32 v23, 31, v23
	v_xor_b32_e32 v20, s1, v20
	v_xor_b32_e32 v21, s2, v21
	v_bitop3_b32 v16, v16, v19, exec_lo bitop3:0x80
	v_cmp_gt_i32_e64 s5, 0, v45
	v_dual_ashrrev_i32 v19, 31, v44 :: v_dual_ashrrev_i32 v17, 31, v17
	v_xor_b32_e32 v22, s3, v22
	v_xor_b32_e32 v23, s4, v23
	v_bitop3_b32 v16, v16, v21, v20 bitop3:0x80
	s_delay_alu instid0(VALU_DEP_4) | instskip(SKIP_3) | instid1(VALU_DEP_1)
	v_xor_b32_e32 v19, s5, v19
	v_xor_b32_e32 v17, s6, v17
	ds_load_b32 v44, v46 offset:64
	v_bitop3_b32 v16, v16, v23, v22 bitop3:0x80
	; wave barrier
	v_bitop3_b32 v16, v16, v17, v19 bitop3:0x80
	s_delay_alu instid0(VALU_DEP_1) | instskip(SKIP_1) | instid1(VALU_DEP_2)
	v_mbcnt_lo_u32_b32 v45, v16, 0
	v_cmp_ne_u32_e64 s0, 0, v16
	v_cmp_eq_u32_e32 vcc_lo, 0, v45
	s_and_b32 s1, s0, vcc_lo
	s_delay_alu instid0(SALU_CYCLE_1)
	s_and_saveexec_b32 s0, s1
	s_cbranch_execz .LBB1545_81
; %bb.80:
	s_wait_dscnt 0x0
	v_bcnt_u32_b32 v16, v16, v44
	ds_store_b32 v46, v16 offset:64
.LBB1545_81:
	s_or_b32 exec_lo, exec_lo, s0
	v_cmp_gt_i64_e32 vcc_lo, 0, v[12:13]
	; wave barrier
	v_cndmask_b32_e64 v17, 0x7fffffff, 0, vcc_lo
	s_delay_alu instid0(VALU_DEP_1) | instskip(NEXT) | instid1(VALU_DEP_1)
	v_dual_ashrrev_i32 v16, 31, v13 :: v_dual_bitop2_b32 v13, v17, v13 bitop3:0x14
	v_not_b32_e32 v16, v16
	s_delay_alu instid0(VALU_DEP_1) | instskip(NEXT) | instid1(VALU_DEP_1)
	v_xor_b32_e32 v12, v16, v12
	v_cmp_ne_u64_e32 vcc_lo, s[8:9], v[12:13]
	v_cndmask_b32_e32 v17, 0x7fffffff, v13, vcc_lo
	v_cndmask_b32_e32 v16, -1, v12, vcc_lo
	s_delay_alu instid0(VALU_DEP_1) | instskip(NEXT) | instid1(VALU_DEP_1)
	v_lshrrev_b64 v[16:17], s20, v[16:17]
	v_and_b32_e32 v17, s17, v16
	v_bitop3_b32 v16, v16, 1, s17 bitop3:0x80
	s_delay_alu instid0(VALU_DEP_2) | instskip(NEXT) | instid1(VALU_DEP_2)
	v_mad_u32 v49, 0x44, v17, v18
	v_add_co_u32 v16, s0, v16, -1
	s_delay_alu instid0(VALU_DEP_1) | instskip(SKIP_1) | instid1(VALU_DEP_2)
	v_cndmask_b32_e64 v18, 0, 1, s0
	v_dual_lshlrev_b32 v19, 30, v17 :: v_dual_lshlrev_b32 v20, 29, v17
	v_cmp_ne_u32_e32 vcc_lo, 0, v18
	s_delay_alu instid0(VALU_DEP_2) | instskip(SKIP_1) | instid1(VALU_DEP_4)
	v_cmp_gt_i32_e64 s0, 0, v19
	v_not_b32_e32 v18, v19
	v_not_b32_e32 v19, v20
	v_cmp_gt_i32_e64 s1, 0, v20
	s_delay_alu instid0(VALU_DEP_3) | instskip(NEXT) | instid1(VALU_DEP_3)
	v_dual_ashrrev_i32 v18, 31, v18 :: v_dual_bitop2_b32 v16, vcc_lo, v16 bitop3:0x14
	v_dual_ashrrev_i32 v19, 31, v19 :: v_dual_lshlrev_b32 v21, 28, v17
	v_dual_lshlrev_b32 v22, 27, v17 :: v_dual_lshlrev_b32 v23, 26, v17
	v_dual_lshlrev_b32 v47, 25, v17 :: v_dual_lshlrev_b32 v17, 24, v17
	s_delay_alu instid0(VALU_DEP_3) | instskip(SKIP_1) | instid1(VALU_DEP_4)
	v_not_b32_e32 v20, v21
	v_cmp_gt_i32_e64 s2, 0, v21
	v_cmp_gt_i32_e64 s3, 0, v22
	v_not_b32_e32 v21, v22
	v_not_b32_e32 v22, v23
	v_dual_ashrrev_i32 v20, 31, v20 :: v_dual_bitop2_b32 v18, s0, v18 bitop3:0x14
	v_cmp_gt_i32_e64 s4, 0, v23
	v_not_b32_e32 v23, v47
	v_cmp_gt_i32_e64 s6, 0, v17
	v_not_b32_e32 v17, v17
	v_dual_ashrrev_i32 v21, 31, v21 :: v_dual_ashrrev_i32 v22, 31, v22
	v_xor_b32_e32 v19, s1, v19
	v_xor_b32_e32 v20, s2, v20
	v_bitop3_b32 v16, v16, v18, exec_lo bitop3:0x80
	v_cmp_gt_i32_e64 s5, 0, v47
	v_dual_ashrrev_i32 v18, 31, v23 :: v_dual_ashrrev_i32 v17, 31, v17
	v_xor_b32_e32 v21, s3, v21
	v_xor_b32_e32 v22, s4, v22
	v_bitop3_b32 v16, v16, v20, v19 bitop3:0x80
	s_delay_alu instid0(VALU_DEP_4) | instskip(SKIP_3) | instid1(VALU_DEP_1)
	v_xor_b32_e32 v18, s5, v18
	v_xor_b32_e32 v17, s6, v17
	ds_load_b32 v47, v49 offset:64
	v_bitop3_b32 v16, v16, v22, v21 bitop3:0x80
	; wave barrier
	v_bitop3_b32 v16, v16, v17, v18 bitop3:0x80
	s_delay_alu instid0(VALU_DEP_1) | instskip(SKIP_1) | instid1(VALU_DEP_2)
	v_mbcnt_lo_u32_b32 v48, v16, 0
	v_cmp_ne_u32_e64 s0, 0, v16
	v_cmp_eq_u32_e32 vcc_lo, 0, v48
	s_and_b32 s1, s0, vcc_lo
	s_delay_alu instid0(SALU_CYCLE_1)
	s_and_saveexec_b32 s0, s1
	s_cbranch_execz .LBB1545_83
; %bb.82:
	s_wait_dscnt 0x0
	v_bcnt_u32_b32 v16, v16, v47
	ds_store_b32 v49, v16 offset:64
.LBB1545_83:
	s_or_b32 exec_lo, exec_lo, s0
	; wave barrier
	s_wait_dscnt 0x0
	s_barrier_signal -1
	s_barrier_wait -1
	ds_load_2addr_b32 v[22:23], v24 offset0:16 offset1:17
	ds_load_2addr_b32 v[20:21], v24 offset0:18 offset1:19
	;; [unrolled: 1-line block ×4, first 2 shown]
	ds_load_b32 v50, v24 offset:96
	v_bfe_i32 v53, v33, 4, 1
	s_mov_b32 s4, exec_lo
	s_wait_dscnt 0x3
	v_add3_u32 v51, v23, v22, v20
	s_wait_dscnt 0x2
	s_delay_alu instid0(VALU_DEP_1) | instskip(SKIP_1) | instid1(VALU_DEP_1)
	v_add3_u32 v51, v51, v21, v18
	s_wait_dscnt 0x1
	v_add3_u32 v51, v51, v19, v16
	s_wait_dscnt 0x0
	s_delay_alu instid0(VALU_DEP_1) | instskip(SKIP_1) | instid1(VALU_DEP_2)
	v_add3_u32 v50, v51, v17, v50
	v_and_b32_e32 v51, 15, v33
	v_mov_b32_dpp v52, v50 row_shr:1 row_mask:0xf bank_mask:0xf
	s_delay_alu instid0(VALU_DEP_2) | instskip(NEXT) | instid1(VALU_DEP_2)
	v_cmp_eq_u32_e32 vcc_lo, 0, v51
	v_cndmask_b32_e64 v52, v52, 0, vcc_lo
	s_delay_alu instid0(VALU_DEP_1) | instskip(SKIP_3) | instid1(VALU_DEP_4)
	v_add_nc_u32_e32 v50, v52, v50
	v_cmp_lt_u32_e64 s0, 1, v51
	v_cmp_lt_u32_e64 s1, 3, v51
	;; [unrolled: 1-line block ×3, first 2 shown]
	v_mov_b32_dpp v52, v50 row_shr:2 row_mask:0xf bank_mask:0xf
	s_delay_alu instid0(VALU_DEP_1) | instskip(NEXT) | instid1(VALU_DEP_1)
	v_cndmask_b32_e64 v52, 0, v52, s0
	v_add_nc_u32_e32 v50, v50, v52
	s_delay_alu instid0(VALU_DEP_1) | instskip(NEXT) | instid1(VALU_DEP_1)
	v_mov_b32_dpp v52, v50 row_shr:4 row_mask:0xf bank_mask:0xf
	v_cndmask_b32_e64 v52, 0, v52, s1
	s_delay_alu instid0(VALU_DEP_1) | instskip(NEXT) | instid1(VALU_DEP_1)
	v_add_nc_u32_e32 v50, v50, v52
	v_mov_b32_dpp v52, v50 row_shr:8 row_mask:0xf bank_mask:0xf
	s_delay_alu instid0(VALU_DEP_1) | instskip(SKIP_1) | instid1(VALU_DEP_2)
	v_cndmask_b32_e64 v51, 0, v52, s2
	v_and_b32_e32 v52, 0x3e0, v32
	v_add_nc_u32_e32 v50, v50, v51
	s_delay_alu instid0(VALU_DEP_2) | instskip(SKIP_3) | instid1(VALU_DEP_1)
	v_min_u32_e32 v52, 0x1e0, v52
	ds_swizzle_b32 v51, v50 offset:swizzle(BROADCAST,32,15)
	s_wait_dscnt 0x0
	v_dual_lshrrev_b32 v51, 5, v32 :: v_dual_bitop2_b32 v53, v53, v51 bitop3:0x40
	v_dual_add_nc_u32 v50, v50, v53 :: v_dual_bitop2_b32 v52, 31, v52 bitop3:0x54
	s_delay_alu instid0(VALU_DEP_1)
	v_cmpx_eq_u32_e64 v32, v52
; %bb.84:
	s_delay_alu instid0(VALU_DEP_3)
	v_lshlrev_b32_e32 v52, 2, v51
	ds_store_b32 v52, v50
; %bb.85:
	s_or_b32 exec_lo, exec_lo, s4
	s_delay_alu instid0(SALU_CYCLE_1)
	s_mov_b32 s4, exec_lo
	s_wait_dscnt 0x0
	s_barrier_signal -1
	s_barrier_wait -1
	v_cmpx_gt_u32_e32 16, v32
	s_cbranch_execz .LBB1545_87
; %bb.86:
	v_lshlrev_b32_e32 v52, 2, v32
	ds_load_b32 v53, v52
	s_wait_dscnt 0x0
	v_mov_b32_dpp v54, v53 row_shr:1 row_mask:0xf bank_mask:0xf
	s_delay_alu instid0(VALU_DEP_1) | instskip(NEXT) | instid1(VALU_DEP_1)
	v_cndmask_b32_e64 v54, v54, 0, vcc_lo
	v_add_nc_u32_e32 v53, v54, v53
	s_delay_alu instid0(VALU_DEP_1) | instskip(NEXT) | instid1(VALU_DEP_1)
	v_mov_b32_dpp v54, v53 row_shr:2 row_mask:0xf bank_mask:0xf
	v_cndmask_b32_e64 v54, 0, v54, s0
	s_delay_alu instid0(VALU_DEP_1) | instskip(NEXT) | instid1(VALU_DEP_1)
	v_add_nc_u32_e32 v53, v53, v54
	v_mov_b32_dpp v54, v53 row_shr:4 row_mask:0xf bank_mask:0xf
	s_delay_alu instid0(VALU_DEP_1) | instskip(NEXT) | instid1(VALU_DEP_1)
	v_cndmask_b32_e64 v54, 0, v54, s1
	v_add_nc_u32_e32 v53, v53, v54
	s_delay_alu instid0(VALU_DEP_1) | instskip(NEXT) | instid1(VALU_DEP_1)
	v_mov_b32_dpp v54, v53 row_shr:8 row_mask:0xf bank_mask:0xf
	v_cndmask_b32_e64 v54, 0, v54, s2
	s_delay_alu instid0(VALU_DEP_1)
	v_add_nc_u32_e32 v53, v53, v54
	ds_store_b32 v52, v53
.LBB1545_87:
	s_or_b32 exec_lo, exec_lo, s4
	v_mov_b32_e32 v52, 0
	s_mov_b32 s0, exec_lo
	s_wait_dscnt 0x0
	s_barrier_signal -1
	s_barrier_wait -1
	v_cmpx_lt_u32_e32 31, v32
; %bb.88:
	v_lshl_add_u32 v51, v51, 2, -4
	ds_load_b32 v52, v51
; %bb.89:
	s_or_b32 exec_lo, exec_lo, s0
	v_sub_co_u32 v51, vcc_lo, v33, 1
	s_wait_dscnt 0x0
	v_add_nc_u32_e32 v50, v52, v50
	s_delay_alu instid0(VALU_DEP_2) | instskip(NEXT) | instid1(VALU_DEP_1)
	v_cmp_gt_i32_e64 s0, 0, v51
	v_cndmask_b32_e64 v33, v51, v33, s0
	v_cmp_lt_u32_e64 s0, 0xff, v32
	s_delay_alu instid0(VALU_DEP_2) | instskip(SKIP_4) | instid1(VALU_DEP_2)
	v_lshlrev_b32_e32 v33, 2, v33
	ds_bpermute_b32 v33, v33, v50
	s_wait_dscnt 0x0
	v_cndmask_b32_e32 v33, v33, v52, vcc_lo
	v_cmp_ne_u32_e32 vcc_lo, 0, v32
	v_cndmask_b32_e32 v33, 0, v33, vcc_lo
	v_cmp_gt_u32_e32 vcc_lo, 0x100, v32
	s_delay_alu instid0(VALU_DEP_2) | instskip(NEXT) | instid1(VALU_DEP_1)
	v_add_nc_u32_e32 v22, v33, v22
	v_add_nc_u32_e32 v23, v22, v23
	s_delay_alu instid0(VALU_DEP_1) | instskip(NEXT) | instid1(VALU_DEP_1)
	v_add_nc_u32_e32 v20, v23, v20
	v_add_nc_u32_e32 v21, v20, v21
	s_delay_alu instid0(VALU_DEP_1) | instskip(NEXT) | instid1(VALU_DEP_1)
	;; [unrolled: 3-line block ×3, first 2 shown]
	v_add_nc_u32_e32 v16, v19, v16
	v_add_nc_u32_e32 v17, v16, v17
	ds_store_2addr_b32 v24, v33, v22 offset0:16 offset1:17
	ds_store_2addr_b32 v24, v23, v20 offset0:18 offset1:19
	;; [unrolled: 1-line block ×4, first 2 shown]
	ds_store_b32 v24, v17 offset:96
	s_wait_dscnt 0x0
	s_barrier_signal -1
	s_barrier_wait -1
	ds_load_b32 v19, v25 offset:64
	ds_load_b32 v33, v26 offset:64
	;; [unrolled: 1-line block ×8, first 2 shown]
	v_mov_b64_e32 v[16:17], 0
                                        ; implicit-def: $vgpr18
	s_and_saveexec_b32 s2, vcc_lo
	s_cbranch_execz .LBB1545_93
; %bb.90:
	v_mul_u32_u24_e32 v16, 0x44, v32
	v_dual_mov_b32 v17, 0x1000 :: v_dual_add_nc_u32 v18, 1, v32
	s_mov_b32 s3, exec_lo
	ds_load_b32 v16, v16 offset:64
	v_cmpx_ne_u32_e32 0x100, v18
; %bb.91:
	v_mul_u32_u24_e32 v17, 0x44, v18
	ds_load_b32 v17, v17 offset:64
; %bb.92:
	s_or_b32 exec_lo, exec_lo, s3
	s_wait_dscnt 0x0
	v_dual_mov_b32 v17, 0 :: v_dual_sub_nc_u32 v18, v17, v16
.LBB1545_93:
	s_or_b32 exec_lo, exec_lo, s2
	v_dual_mov_b32 v23, 0 :: v_dual_lshlrev_b32 v20, 3, v32
	s_wait_dscnt 0x0
	s_barrier_signal -1
	s_barrier_wait -1
	s_and_saveexec_b32 s1, vcc_lo
	s_cbranch_execz .LBB1545_103
; %bb.94:
	v_lshl_add_u32 v22, s26, 8, v32
	v_dual_mov_b32 v26, 0 :: v_dual_bitop2_b32 v27, 2.0, v18 bitop3:0x54
	s_mov_b32 s2, 0
	s_mov_b32 s3, s26
	s_delay_alu instid0(VALU_DEP_2)
	v_lshl_add_u64 v[24:25], v[22:23], 2, s[10:11]
	global_store_b32 v22, v27, s[10:11] scale_offset scope:SCOPE_DEV
                                        ; implicit-def: $sgpr4
	s_branch .LBB1545_97
.LBB1545_95:                            ;   in Loop: Header=BB1545_97 Depth=1
	s_or_b32 exec_lo, exec_lo, s5
.LBB1545_96:                            ;   in Loop: Header=BB1545_97 Depth=1
	s_delay_alu instid0(SALU_CYCLE_1) | instskip(SKIP_2) | instid1(VALU_DEP_2)
	s_or_b32 exec_lo, exec_lo, s4
	v_and_b32_e32 v22, 0x3fffffff, v27
	v_cmp_gt_i32_e64 s4, -2.0, v27
	v_add_nc_u32_e32 v26, v22, v26
	s_and_b32 s5, exec_lo, s4
	s_delay_alu instid0(SALU_CYCLE_1) | instskip(NEXT) | instid1(SALU_CYCLE_1)
	s_or_b32 s2, s5, s2
	s_and_not1_b32 exec_lo, exec_lo, s2
	s_cbranch_execz .LBB1545_102
.LBB1545_97:                            ; =>This Loop Header: Depth=1
                                        ;     Child Loop BB1545_100 Depth 2
	s_or_b32 s4, s4, exec_lo
	s_cmp_eq_u32 s3, 0
	s_cbranch_scc1 .LBB1545_101
; %bb.98:                               ;   in Loop: Header=BB1545_97 Depth=1
	s_add_co_i32 s3, s3, -1
	s_mov_b32 s4, exec_lo
	s_wait_xcnt 0x0
	v_lshl_or_b32 v22, s3, 8, v32
	global_load_b32 v27, v22, s[10:11] scale_offset scope:SCOPE_DEV
	s_wait_loadcnt 0x0
	v_cmpx_gt_u32_e32 2.0, v27
	s_cbranch_execz .LBB1545_96
; %bb.99:                               ;   in Loop: Header=BB1545_97 Depth=1
	v_lshl_add_u64 v[28:29], v[22:23], 2, s[10:11]
	s_mov_b32 s5, 0
.LBB1545_100:                           ;   Parent Loop BB1545_97 Depth=1
                                        ; =>  This Inner Loop Header: Depth=2
	global_load_b32 v27, v[28:29], off scope:SCOPE_DEV
	s_wait_loadcnt 0x0
	v_cmp_lt_u32_e32 vcc_lo, 0x3fffffff, v27
	s_or_b32 s5, vcc_lo, s5
	s_wait_xcnt 0x0
	s_and_not1_b32 exec_lo, exec_lo, s5
	s_cbranch_execnz .LBB1545_100
	s_branch .LBB1545_95
.LBB1545_101:                           ;   in Loop: Header=BB1545_97 Depth=1
                                        ; implicit-def: $sgpr3
	s_and_b32 s5, exec_lo, s4
	s_delay_alu instid0(SALU_CYCLE_1)
	s_or_b32 s2, s5, s2
	s_wait_xcnt 0x0
	s_and_not1_b32 exec_lo, exec_lo, s2
	s_cbranch_execnz .LBB1545_97
.LBB1545_102:
	s_or_b32 exec_lo, exec_lo, s2
	v_dual_mov_b32 v27, 0 :: v_dual_add_nc_u32 v22, v26, v18
	s_delay_alu instid0(VALU_DEP_1) | instskip(SKIP_4) | instid1(VALU_DEP_1)
	v_or_b32_e32 v22, 0x80000000, v22
	global_store_b32 v[24:25], v22, off scope:SCOPE_DEV
	global_load_b64 v[22:23], v32, s[12:13] scale_offset
	v_sub_nc_u64_e32 v[24:25], v[26:27], v[16:17]
	s_wait_loadcnt 0x0
	v_add_nc_u64_e32 v[22:23], v[24:25], v[22:23]
	ds_store_b64 v20, v[22:23]
.LBB1545_103:
	s_wait_xcnt 0x0
	s_or_b32 exec_lo, exec_lo, s1
	v_add_nc_u32_e32 v19, v19, v30
	v_add3_u32 v24, v48, v21, v47
	v_mov_b32_e32 v21, 0
	v_add3_u32 v25, v45, v46, v44
	v_add3_u32 v26, v42, v43, v41
	;; [unrolled: 1-line block ×4, first 2 shown]
	v_add_nc_u64_e32 v[22:23], s[18:19], v[20:21]
	v_add3_u32 v21, v36, v50, v35
	v_add3_u32 v29, v34, v33, v31
	s_mov_b64 s[6:7], 0x8000000000000000
	s_mov_b32 s9, -1
	s_mov_b32 s8, 0
.LBB1545_104:                           ; =>This Inner Loop Header: Depth=1
	s_wait_xcnt 0x3
	v_add_min_u32_e64 v30, v19, s8, 0x800
	v_add_min_u32_e64 v31, v29, s8, 0x800
	;; [unrolled: 1-line block ×5, first 2 shown]
	s_wait_xcnt 0x2
	v_add_min_u32_e64 v36, v26, s8, 0x800
	v_add_min_u32_e64 v37, v25, s8, 0x800
	s_wait_xcnt 0x1
	v_add_min_u32_e64 v38, v24, s8, 0x800
	v_dual_lshlrev_b32 v30, 3, v30 :: v_dual_lshlrev_b32 v31, 3, v31
	v_dual_lshlrev_b32 v33, 3, v33 :: v_dual_lshlrev_b32 v34, 3, v34
	;; [unrolled: 1-line block ×3, first 2 shown]
	s_delay_alu instid0(VALU_DEP_4)
	v_dual_lshlrev_b32 v37, 3, v37 :: v_dual_lshlrev_b32 v38, 3, v38
	ds_store_b64 v30, v[2:3] offset:2048
	ds_store_b64 v31, v[0:1] offset:2048
	;; [unrolled: 1-line block ×8, first 2 shown]
	s_wait_storecnt_dscnt 0x0
	s_barrier_signal -1
	s_barrier_wait -1
	ds_load_2addr_stride64_b64 v[34:37], v20 offset0:4 offset1:12
	s_wait_xcnt 0x0
	ds_load_2addr_stride64_b64 v[38:41], v20 offset0:20 offset1:28
	s_addk_co_i32 s8, 0xf800
	s_and_b32 vcc_lo, exec_lo, s9
	s_mov_b32 s9, 0
	s_wait_dscnt 0x1
	v_cmp_gt_i64_e64 s2, 0, v[34:35]
	v_cmp_gt_i64_e64 s3, 0, v[36:37]
	v_cmp_ne_u64_e64 s1, s[6:7], v[34:35]
	s_wait_dscnt 0x0
	v_cmp_gt_i64_e64 s4, 0, v[38:39]
	v_dual_ashrrev_i32 v33, 31, v35 :: v_dual_ashrrev_i32 v49, 31, v37
	v_cmp_gt_i64_e64 s5, 0, v[40:41]
	v_cndmask_b32_e64 v30, 0x7fffffff, 0, s2
	v_cmp_ne_u64_e64 s2, s[6:7], v[36:37]
	v_cndmask_b32_e64 v48, 0x7fffffff, 0, s3
	v_cmp_ne_u64_e64 s3, s[6:7], v[38:39]
	v_cndmask_b32_e64 v31, 0x7fffffff, v35, s1
	v_cndmask_b32_e64 v50, 0x7fffffff, 0, s4
	v_cmp_ne_u64_e64 s4, s[6:7], v[40:41]
	v_dual_cndmask_b32 v30, -1, v34, s1 :: v_dual_bitop2_b32 v35, v30, v35 bitop3:0x14
	v_cndmask_b32_e64 v43, 0x7fffffff, v37, s2
	v_cndmask_b32_e64 v45, 0x7fffffff, v39, s3
	v_dual_cndmask_b32 v42, -1, v36, s2 :: v_dual_cndmask_b32 v44, -1, v38, s3
	s_delay_alu instid0(VALU_DEP_4) | instskip(SKIP_2) | instid1(VALU_DEP_4)
	v_lshrrev_b64 v[30:31], s20, v[30:31]
	v_cndmask_b32_e64 v47, 0x7fffffff, v41, s4
	v_cndmask_b32_e64 v46, -1, v40, s4
	v_lshrrev_b64 v[42:43], s20, v[42:43]
	v_lshrrev_b64 v[44:45], s20, v[44:45]
	v_dual_ashrrev_i32 v51, 31, v39 :: v_dual_bitop2_b32 v37, v48, v37 bitop3:0x14
	v_dual_ashrrev_i32 v53, 31, v41 :: v_dual_bitop2_b32 v30, s17, v30 bitop3:0x40
	v_lshrrev_b64 v[46:47], s20, v[46:47]
	v_and_b32_e32 v31, s17, v42
	v_and_b32_e32 v42, s17, v44
	v_not_b32_e32 v33, v33
	v_lshlrev_b32_e32 v30, 3, v30
	v_not_b32_e32 v49, v49
	v_not_b32_e32 v48, v51
	v_lshlrev_b32_e32 v45, 3, v42
	v_dual_lshlrev_b32 v44, 3, v31 :: v_dual_bitop2_b32 v43, s17, v46 bitop3:0x40
	v_cndmask_b32_e64 v52, 0x7fffffff, 0, s5
	v_xor_b32_e32 v39, v50, v39
	v_not_b32_e32 v50, v53
	s_delay_alu instid0(VALU_DEP_4)
	v_lshlrev_b32_e32 v46, 3, v43
	ds_load_b64 v[30:31], v30
	ds_load_b64 v[42:43], v44
	ds_load_b64 v[44:45], v45
	ds_load_b64 v[46:47], v46
	v_xor_b32_e32 v34, v33, v34
	v_xor_b32_e32 v36, v49, v36
	;; [unrolled: 1-line block ×5, first 2 shown]
	s_wait_dscnt 0x3
	v_lshl_add_u64 v[30:31], v[30:31], 3, v[22:23]
	s_wait_dscnt 0x2
	v_lshl_add_u64 v[42:43], v[42:43], 3, v[22:23]
	;; [unrolled: 2-line block ×4, first 2 shown]
	v_add_nc_u64_e32 v[22:23], 0x4000, v[22:23]
	s_clause 0x3
	global_store_b64 v[30:31], v[34:35], off
	global_store_b64 v[42:43], v[36:37], off offset:4096
	global_store_b64 v[44:45], v[38:39], off offset:8192
	;; [unrolled: 1-line block ×3, first 2 shown]
	s_wait_storecnt 0x0
	s_barrier_signal -1
	s_barrier_wait -1
	s_cbranch_vccnz .LBB1545_104
; %bb.105:
	s_add_co_i32 s16, s16, -1
	s_delay_alu instid0(SALU_CYCLE_1) | instskip(SKIP_2) | instid1(SALU_CYCLE_1)
	s_cmp_eq_u32 s26, s16
	s_cselect_b32 s1, -1, 0
	s_xor_b32 s0, s0, -1
	s_and_b32 s0, s0, s1
	s_wait_xcnt 0x0
	s_and_saveexec_b32 s1, s0
	s_cbranch_execz .LBB1545_107
; %bb.106:
	ds_load_b64 v[0:1], v20
	v_mov_b32_e32 v19, 0
	s_delay_alu instid0(VALU_DEP_1) | instskip(SKIP_1) | instid1(VALU_DEP_1)
	v_add_nc_u64_e32 v[2:3], v[16:17], v[18:19]
	s_wait_dscnt 0x0
	v_add_nc_u64_e32 v[0:1], v[2:3], v[0:1]
	global_store_b64 v32, v[0:1], s[14:15] scale_offset
.LBB1545_107:
	s_endpgm
	.section	.rodata,"a",@progbits
	.p2align	6, 0x0
	.amdhsa_kernel _ZN7rocprim17ROCPRIM_400000_NS6detail17trampoline_kernelINS0_14default_configENS1_35radix_sort_onesweep_config_selectorIdNS0_10empty_typeEEEZZNS1_29radix_sort_onesweep_iterationIS3_Lb1EPKdPdPS5_SB_mNS0_19identity_decomposerENS1_16block_id_wrapperIjLb0EEEEE10hipError_tT1_PNSt15iterator_traitsISG_E10value_typeET2_T3_PNSH_ISM_E10value_typeET4_T5_PSR_SS_PNS1_23onesweep_lookback_stateEbbT6_jjT7_P12ihipStream_tbENKUlT_T0_SG_SL_E_clISA_SA_SB_SB_EEDaSZ_S10_SG_SL_EUlSZ_E_NS1_11comp_targetILNS1_3genE0ELNS1_11target_archE4294967295ELNS1_3gpuE0ELNS1_3repE0EEENS1_47radix_sort_onesweep_sort_config_static_selectorELNS0_4arch9wavefront6targetE0EEEvSG_
		.amdhsa_group_segment_fixed_size 18504
		.amdhsa_private_segment_fixed_size 0
		.amdhsa_kernarg_size 344
		.amdhsa_user_sgpr_count 2
		.amdhsa_user_sgpr_dispatch_ptr 0
		.amdhsa_user_sgpr_queue_ptr 0
		.amdhsa_user_sgpr_kernarg_segment_ptr 1
		.amdhsa_user_sgpr_dispatch_id 0
		.amdhsa_user_sgpr_kernarg_preload_length 0
		.amdhsa_user_sgpr_kernarg_preload_offset 0
		.amdhsa_user_sgpr_private_segment_size 0
		.amdhsa_wavefront_size32 1
		.amdhsa_uses_dynamic_stack 0
		.amdhsa_enable_private_segment 0
		.amdhsa_system_sgpr_workgroup_id_x 1
		.amdhsa_system_sgpr_workgroup_id_y 0
		.amdhsa_system_sgpr_workgroup_id_z 0
		.amdhsa_system_sgpr_workgroup_info 0
		.amdhsa_system_vgpr_workitem_id 2
		.amdhsa_next_free_vgpr 57
		.amdhsa_next_free_sgpr 30
		.amdhsa_named_barrier_count 0
		.amdhsa_reserve_vcc 1
		.amdhsa_float_round_mode_32 0
		.amdhsa_float_round_mode_16_64 0
		.amdhsa_float_denorm_mode_32 3
		.amdhsa_float_denorm_mode_16_64 3
		.amdhsa_fp16_overflow 0
		.amdhsa_memory_ordered 1
		.amdhsa_forward_progress 1
		.amdhsa_inst_pref_size 99
		.amdhsa_round_robin_scheduling 0
		.amdhsa_exception_fp_ieee_invalid_op 0
		.amdhsa_exception_fp_denorm_src 0
		.amdhsa_exception_fp_ieee_div_zero 0
		.amdhsa_exception_fp_ieee_overflow 0
		.amdhsa_exception_fp_ieee_underflow 0
		.amdhsa_exception_fp_ieee_inexact 0
		.amdhsa_exception_int_div_zero 0
	.end_amdhsa_kernel
	.section	.text._ZN7rocprim17ROCPRIM_400000_NS6detail17trampoline_kernelINS0_14default_configENS1_35radix_sort_onesweep_config_selectorIdNS0_10empty_typeEEEZZNS1_29radix_sort_onesweep_iterationIS3_Lb1EPKdPdPS5_SB_mNS0_19identity_decomposerENS1_16block_id_wrapperIjLb0EEEEE10hipError_tT1_PNSt15iterator_traitsISG_E10value_typeET2_T3_PNSH_ISM_E10value_typeET4_T5_PSR_SS_PNS1_23onesweep_lookback_stateEbbT6_jjT7_P12ihipStream_tbENKUlT_T0_SG_SL_E_clISA_SA_SB_SB_EEDaSZ_S10_SG_SL_EUlSZ_E_NS1_11comp_targetILNS1_3genE0ELNS1_11target_archE4294967295ELNS1_3gpuE0ELNS1_3repE0EEENS1_47radix_sort_onesweep_sort_config_static_selectorELNS0_4arch9wavefront6targetE0EEEvSG_,"axG",@progbits,_ZN7rocprim17ROCPRIM_400000_NS6detail17trampoline_kernelINS0_14default_configENS1_35radix_sort_onesweep_config_selectorIdNS0_10empty_typeEEEZZNS1_29radix_sort_onesweep_iterationIS3_Lb1EPKdPdPS5_SB_mNS0_19identity_decomposerENS1_16block_id_wrapperIjLb0EEEEE10hipError_tT1_PNSt15iterator_traitsISG_E10value_typeET2_T3_PNSH_ISM_E10value_typeET4_T5_PSR_SS_PNS1_23onesweep_lookback_stateEbbT6_jjT7_P12ihipStream_tbENKUlT_T0_SG_SL_E_clISA_SA_SB_SB_EEDaSZ_S10_SG_SL_EUlSZ_E_NS1_11comp_targetILNS1_3genE0ELNS1_11target_archE4294967295ELNS1_3gpuE0ELNS1_3repE0EEENS1_47radix_sort_onesweep_sort_config_static_selectorELNS0_4arch9wavefront6targetE0EEEvSG_,comdat
.Lfunc_end1545:
	.size	_ZN7rocprim17ROCPRIM_400000_NS6detail17trampoline_kernelINS0_14default_configENS1_35radix_sort_onesweep_config_selectorIdNS0_10empty_typeEEEZZNS1_29radix_sort_onesweep_iterationIS3_Lb1EPKdPdPS5_SB_mNS0_19identity_decomposerENS1_16block_id_wrapperIjLb0EEEEE10hipError_tT1_PNSt15iterator_traitsISG_E10value_typeET2_T3_PNSH_ISM_E10value_typeET4_T5_PSR_SS_PNS1_23onesweep_lookback_stateEbbT6_jjT7_P12ihipStream_tbENKUlT_T0_SG_SL_E_clISA_SA_SB_SB_EEDaSZ_S10_SG_SL_EUlSZ_E_NS1_11comp_targetILNS1_3genE0ELNS1_11target_archE4294967295ELNS1_3gpuE0ELNS1_3repE0EEENS1_47radix_sort_onesweep_sort_config_static_selectorELNS0_4arch9wavefront6targetE0EEEvSG_, .Lfunc_end1545-_ZN7rocprim17ROCPRIM_400000_NS6detail17trampoline_kernelINS0_14default_configENS1_35radix_sort_onesweep_config_selectorIdNS0_10empty_typeEEEZZNS1_29radix_sort_onesweep_iterationIS3_Lb1EPKdPdPS5_SB_mNS0_19identity_decomposerENS1_16block_id_wrapperIjLb0EEEEE10hipError_tT1_PNSt15iterator_traitsISG_E10value_typeET2_T3_PNSH_ISM_E10value_typeET4_T5_PSR_SS_PNS1_23onesweep_lookback_stateEbbT6_jjT7_P12ihipStream_tbENKUlT_T0_SG_SL_E_clISA_SA_SB_SB_EEDaSZ_S10_SG_SL_EUlSZ_E_NS1_11comp_targetILNS1_3genE0ELNS1_11target_archE4294967295ELNS1_3gpuE0ELNS1_3repE0EEENS1_47radix_sort_onesweep_sort_config_static_selectorELNS0_4arch9wavefront6targetE0EEEvSG_
                                        ; -- End function
	.set _ZN7rocprim17ROCPRIM_400000_NS6detail17trampoline_kernelINS0_14default_configENS1_35radix_sort_onesweep_config_selectorIdNS0_10empty_typeEEEZZNS1_29radix_sort_onesweep_iterationIS3_Lb1EPKdPdPS5_SB_mNS0_19identity_decomposerENS1_16block_id_wrapperIjLb0EEEEE10hipError_tT1_PNSt15iterator_traitsISG_E10value_typeET2_T3_PNSH_ISM_E10value_typeET4_T5_PSR_SS_PNS1_23onesweep_lookback_stateEbbT6_jjT7_P12ihipStream_tbENKUlT_T0_SG_SL_E_clISA_SA_SB_SB_EEDaSZ_S10_SG_SL_EUlSZ_E_NS1_11comp_targetILNS1_3genE0ELNS1_11target_archE4294967295ELNS1_3gpuE0ELNS1_3repE0EEENS1_47radix_sort_onesweep_sort_config_static_selectorELNS0_4arch9wavefront6targetE0EEEvSG_.num_vgpr, 57
	.set _ZN7rocprim17ROCPRIM_400000_NS6detail17trampoline_kernelINS0_14default_configENS1_35radix_sort_onesweep_config_selectorIdNS0_10empty_typeEEEZZNS1_29radix_sort_onesweep_iterationIS3_Lb1EPKdPdPS5_SB_mNS0_19identity_decomposerENS1_16block_id_wrapperIjLb0EEEEE10hipError_tT1_PNSt15iterator_traitsISG_E10value_typeET2_T3_PNSH_ISM_E10value_typeET4_T5_PSR_SS_PNS1_23onesweep_lookback_stateEbbT6_jjT7_P12ihipStream_tbENKUlT_T0_SG_SL_E_clISA_SA_SB_SB_EEDaSZ_S10_SG_SL_EUlSZ_E_NS1_11comp_targetILNS1_3genE0ELNS1_11target_archE4294967295ELNS1_3gpuE0ELNS1_3repE0EEENS1_47radix_sort_onesweep_sort_config_static_selectorELNS0_4arch9wavefront6targetE0EEEvSG_.num_agpr, 0
	.set _ZN7rocprim17ROCPRIM_400000_NS6detail17trampoline_kernelINS0_14default_configENS1_35radix_sort_onesweep_config_selectorIdNS0_10empty_typeEEEZZNS1_29radix_sort_onesweep_iterationIS3_Lb1EPKdPdPS5_SB_mNS0_19identity_decomposerENS1_16block_id_wrapperIjLb0EEEEE10hipError_tT1_PNSt15iterator_traitsISG_E10value_typeET2_T3_PNSH_ISM_E10value_typeET4_T5_PSR_SS_PNS1_23onesweep_lookback_stateEbbT6_jjT7_P12ihipStream_tbENKUlT_T0_SG_SL_E_clISA_SA_SB_SB_EEDaSZ_S10_SG_SL_EUlSZ_E_NS1_11comp_targetILNS1_3genE0ELNS1_11target_archE4294967295ELNS1_3gpuE0ELNS1_3repE0EEENS1_47radix_sort_onesweep_sort_config_static_selectorELNS0_4arch9wavefront6targetE0EEEvSG_.numbered_sgpr, 30
	.set _ZN7rocprim17ROCPRIM_400000_NS6detail17trampoline_kernelINS0_14default_configENS1_35radix_sort_onesweep_config_selectorIdNS0_10empty_typeEEEZZNS1_29radix_sort_onesweep_iterationIS3_Lb1EPKdPdPS5_SB_mNS0_19identity_decomposerENS1_16block_id_wrapperIjLb0EEEEE10hipError_tT1_PNSt15iterator_traitsISG_E10value_typeET2_T3_PNSH_ISM_E10value_typeET4_T5_PSR_SS_PNS1_23onesweep_lookback_stateEbbT6_jjT7_P12ihipStream_tbENKUlT_T0_SG_SL_E_clISA_SA_SB_SB_EEDaSZ_S10_SG_SL_EUlSZ_E_NS1_11comp_targetILNS1_3genE0ELNS1_11target_archE4294967295ELNS1_3gpuE0ELNS1_3repE0EEENS1_47radix_sort_onesweep_sort_config_static_selectorELNS0_4arch9wavefront6targetE0EEEvSG_.num_named_barrier, 0
	.set _ZN7rocprim17ROCPRIM_400000_NS6detail17trampoline_kernelINS0_14default_configENS1_35radix_sort_onesweep_config_selectorIdNS0_10empty_typeEEEZZNS1_29radix_sort_onesweep_iterationIS3_Lb1EPKdPdPS5_SB_mNS0_19identity_decomposerENS1_16block_id_wrapperIjLb0EEEEE10hipError_tT1_PNSt15iterator_traitsISG_E10value_typeET2_T3_PNSH_ISM_E10value_typeET4_T5_PSR_SS_PNS1_23onesweep_lookback_stateEbbT6_jjT7_P12ihipStream_tbENKUlT_T0_SG_SL_E_clISA_SA_SB_SB_EEDaSZ_S10_SG_SL_EUlSZ_E_NS1_11comp_targetILNS1_3genE0ELNS1_11target_archE4294967295ELNS1_3gpuE0ELNS1_3repE0EEENS1_47radix_sort_onesweep_sort_config_static_selectorELNS0_4arch9wavefront6targetE0EEEvSG_.private_seg_size, 0
	.set _ZN7rocprim17ROCPRIM_400000_NS6detail17trampoline_kernelINS0_14default_configENS1_35radix_sort_onesweep_config_selectorIdNS0_10empty_typeEEEZZNS1_29radix_sort_onesweep_iterationIS3_Lb1EPKdPdPS5_SB_mNS0_19identity_decomposerENS1_16block_id_wrapperIjLb0EEEEE10hipError_tT1_PNSt15iterator_traitsISG_E10value_typeET2_T3_PNSH_ISM_E10value_typeET4_T5_PSR_SS_PNS1_23onesweep_lookback_stateEbbT6_jjT7_P12ihipStream_tbENKUlT_T0_SG_SL_E_clISA_SA_SB_SB_EEDaSZ_S10_SG_SL_EUlSZ_E_NS1_11comp_targetILNS1_3genE0ELNS1_11target_archE4294967295ELNS1_3gpuE0ELNS1_3repE0EEENS1_47radix_sort_onesweep_sort_config_static_selectorELNS0_4arch9wavefront6targetE0EEEvSG_.uses_vcc, 1
	.set _ZN7rocprim17ROCPRIM_400000_NS6detail17trampoline_kernelINS0_14default_configENS1_35radix_sort_onesweep_config_selectorIdNS0_10empty_typeEEEZZNS1_29radix_sort_onesweep_iterationIS3_Lb1EPKdPdPS5_SB_mNS0_19identity_decomposerENS1_16block_id_wrapperIjLb0EEEEE10hipError_tT1_PNSt15iterator_traitsISG_E10value_typeET2_T3_PNSH_ISM_E10value_typeET4_T5_PSR_SS_PNS1_23onesweep_lookback_stateEbbT6_jjT7_P12ihipStream_tbENKUlT_T0_SG_SL_E_clISA_SA_SB_SB_EEDaSZ_S10_SG_SL_EUlSZ_E_NS1_11comp_targetILNS1_3genE0ELNS1_11target_archE4294967295ELNS1_3gpuE0ELNS1_3repE0EEENS1_47radix_sort_onesweep_sort_config_static_selectorELNS0_4arch9wavefront6targetE0EEEvSG_.uses_flat_scratch, 0
	.set _ZN7rocprim17ROCPRIM_400000_NS6detail17trampoline_kernelINS0_14default_configENS1_35radix_sort_onesweep_config_selectorIdNS0_10empty_typeEEEZZNS1_29radix_sort_onesweep_iterationIS3_Lb1EPKdPdPS5_SB_mNS0_19identity_decomposerENS1_16block_id_wrapperIjLb0EEEEE10hipError_tT1_PNSt15iterator_traitsISG_E10value_typeET2_T3_PNSH_ISM_E10value_typeET4_T5_PSR_SS_PNS1_23onesweep_lookback_stateEbbT6_jjT7_P12ihipStream_tbENKUlT_T0_SG_SL_E_clISA_SA_SB_SB_EEDaSZ_S10_SG_SL_EUlSZ_E_NS1_11comp_targetILNS1_3genE0ELNS1_11target_archE4294967295ELNS1_3gpuE0ELNS1_3repE0EEENS1_47radix_sort_onesweep_sort_config_static_selectorELNS0_4arch9wavefront6targetE0EEEvSG_.has_dyn_sized_stack, 0
	.set _ZN7rocprim17ROCPRIM_400000_NS6detail17trampoline_kernelINS0_14default_configENS1_35radix_sort_onesweep_config_selectorIdNS0_10empty_typeEEEZZNS1_29radix_sort_onesweep_iterationIS3_Lb1EPKdPdPS5_SB_mNS0_19identity_decomposerENS1_16block_id_wrapperIjLb0EEEEE10hipError_tT1_PNSt15iterator_traitsISG_E10value_typeET2_T3_PNSH_ISM_E10value_typeET4_T5_PSR_SS_PNS1_23onesweep_lookback_stateEbbT6_jjT7_P12ihipStream_tbENKUlT_T0_SG_SL_E_clISA_SA_SB_SB_EEDaSZ_S10_SG_SL_EUlSZ_E_NS1_11comp_targetILNS1_3genE0ELNS1_11target_archE4294967295ELNS1_3gpuE0ELNS1_3repE0EEENS1_47radix_sort_onesweep_sort_config_static_selectorELNS0_4arch9wavefront6targetE0EEEvSG_.has_recursion, 0
	.set _ZN7rocprim17ROCPRIM_400000_NS6detail17trampoline_kernelINS0_14default_configENS1_35radix_sort_onesweep_config_selectorIdNS0_10empty_typeEEEZZNS1_29radix_sort_onesweep_iterationIS3_Lb1EPKdPdPS5_SB_mNS0_19identity_decomposerENS1_16block_id_wrapperIjLb0EEEEE10hipError_tT1_PNSt15iterator_traitsISG_E10value_typeET2_T3_PNSH_ISM_E10value_typeET4_T5_PSR_SS_PNS1_23onesweep_lookback_stateEbbT6_jjT7_P12ihipStream_tbENKUlT_T0_SG_SL_E_clISA_SA_SB_SB_EEDaSZ_S10_SG_SL_EUlSZ_E_NS1_11comp_targetILNS1_3genE0ELNS1_11target_archE4294967295ELNS1_3gpuE0ELNS1_3repE0EEENS1_47radix_sort_onesweep_sort_config_static_selectorELNS0_4arch9wavefront6targetE0EEEvSG_.has_indirect_call, 0
	.section	.AMDGPU.csdata,"",@progbits
; Kernel info:
; codeLenInByte = 12628
; TotalNumSgprs: 32
; NumVgprs: 57
; ScratchSize: 0
; MemoryBound: 0
; FloatMode: 240
; IeeeMode: 1
; LDSByteSize: 18504 bytes/workgroup (compile time only)
; SGPRBlocks: 0
; VGPRBlocks: 3
; NumSGPRsForWavesPerEU: 32
; NumVGPRsForWavesPerEU: 57
; NamedBarCnt: 0
; Occupancy: 16
; WaveLimiterHint : 1
; COMPUTE_PGM_RSRC2:SCRATCH_EN: 0
; COMPUTE_PGM_RSRC2:USER_SGPR: 2
; COMPUTE_PGM_RSRC2:TRAP_HANDLER: 0
; COMPUTE_PGM_RSRC2:TGID_X_EN: 1
; COMPUTE_PGM_RSRC2:TGID_Y_EN: 0
; COMPUTE_PGM_RSRC2:TGID_Z_EN: 0
; COMPUTE_PGM_RSRC2:TIDIG_COMP_CNT: 2
	.section	.text._ZN7rocprim17ROCPRIM_400000_NS6detail17trampoline_kernelINS0_14default_configENS1_35radix_sort_onesweep_config_selectorIdNS0_10empty_typeEEEZZNS1_29radix_sort_onesweep_iterationIS3_Lb1EPKdPdPS5_SB_mNS0_19identity_decomposerENS1_16block_id_wrapperIjLb0EEEEE10hipError_tT1_PNSt15iterator_traitsISG_E10value_typeET2_T3_PNSH_ISM_E10value_typeET4_T5_PSR_SS_PNS1_23onesweep_lookback_stateEbbT6_jjT7_P12ihipStream_tbENKUlT_T0_SG_SL_E_clISA_SA_SB_SB_EEDaSZ_S10_SG_SL_EUlSZ_E_NS1_11comp_targetILNS1_3genE6ELNS1_11target_archE950ELNS1_3gpuE13ELNS1_3repE0EEENS1_47radix_sort_onesweep_sort_config_static_selectorELNS0_4arch9wavefront6targetE0EEEvSG_,"axG",@progbits,_ZN7rocprim17ROCPRIM_400000_NS6detail17trampoline_kernelINS0_14default_configENS1_35radix_sort_onesweep_config_selectorIdNS0_10empty_typeEEEZZNS1_29radix_sort_onesweep_iterationIS3_Lb1EPKdPdPS5_SB_mNS0_19identity_decomposerENS1_16block_id_wrapperIjLb0EEEEE10hipError_tT1_PNSt15iterator_traitsISG_E10value_typeET2_T3_PNSH_ISM_E10value_typeET4_T5_PSR_SS_PNS1_23onesweep_lookback_stateEbbT6_jjT7_P12ihipStream_tbENKUlT_T0_SG_SL_E_clISA_SA_SB_SB_EEDaSZ_S10_SG_SL_EUlSZ_E_NS1_11comp_targetILNS1_3genE6ELNS1_11target_archE950ELNS1_3gpuE13ELNS1_3repE0EEENS1_47radix_sort_onesweep_sort_config_static_selectorELNS0_4arch9wavefront6targetE0EEEvSG_,comdat
	.protected	_ZN7rocprim17ROCPRIM_400000_NS6detail17trampoline_kernelINS0_14default_configENS1_35radix_sort_onesweep_config_selectorIdNS0_10empty_typeEEEZZNS1_29radix_sort_onesweep_iterationIS3_Lb1EPKdPdPS5_SB_mNS0_19identity_decomposerENS1_16block_id_wrapperIjLb0EEEEE10hipError_tT1_PNSt15iterator_traitsISG_E10value_typeET2_T3_PNSH_ISM_E10value_typeET4_T5_PSR_SS_PNS1_23onesweep_lookback_stateEbbT6_jjT7_P12ihipStream_tbENKUlT_T0_SG_SL_E_clISA_SA_SB_SB_EEDaSZ_S10_SG_SL_EUlSZ_E_NS1_11comp_targetILNS1_3genE6ELNS1_11target_archE950ELNS1_3gpuE13ELNS1_3repE0EEENS1_47radix_sort_onesweep_sort_config_static_selectorELNS0_4arch9wavefront6targetE0EEEvSG_ ; -- Begin function _ZN7rocprim17ROCPRIM_400000_NS6detail17trampoline_kernelINS0_14default_configENS1_35radix_sort_onesweep_config_selectorIdNS0_10empty_typeEEEZZNS1_29radix_sort_onesweep_iterationIS3_Lb1EPKdPdPS5_SB_mNS0_19identity_decomposerENS1_16block_id_wrapperIjLb0EEEEE10hipError_tT1_PNSt15iterator_traitsISG_E10value_typeET2_T3_PNSH_ISM_E10value_typeET4_T5_PSR_SS_PNS1_23onesweep_lookback_stateEbbT6_jjT7_P12ihipStream_tbENKUlT_T0_SG_SL_E_clISA_SA_SB_SB_EEDaSZ_S10_SG_SL_EUlSZ_E_NS1_11comp_targetILNS1_3genE6ELNS1_11target_archE950ELNS1_3gpuE13ELNS1_3repE0EEENS1_47radix_sort_onesweep_sort_config_static_selectorELNS0_4arch9wavefront6targetE0EEEvSG_
	.globl	_ZN7rocprim17ROCPRIM_400000_NS6detail17trampoline_kernelINS0_14default_configENS1_35radix_sort_onesweep_config_selectorIdNS0_10empty_typeEEEZZNS1_29radix_sort_onesweep_iterationIS3_Lb1EPKdPdPS5_SB_mNS0_19identity_decomposerENS1_16block_id_wrapperIjLb0EEEEE10hipError_tT1_PNSt15iterator_traitsISG_E10value_typeET2_T3_PNSH_ISM_E10value_typeET4_T5_PSR_SS_PNS1_23onesweep_lookback_stateEbbT6_jjT7_P12ihipStream_tbENKUlT_T0_SG_SL_E_clISA_SA_SB_SB_EEDaSZ_S10_SG_SL_EUlSZ_E_NS1_11comp_targetILNS1_3genE6ELNS1_11target_archE950ELNS1_3gpuE13ELNS1_3repE0EEENS1_47radix_sort_onesweep_sort_config_static_selectorELNS0_4arch9wavefront6targetE0EEEvSG_
	.p2align	8
	.type	_ZN7rocprim17ROCPRIM_400000_NS6detail17trampoline_kernelINS0_14default_configENS1_35radix_sort_onesweep_config_selectorIdNS0_10empty_typeEEEZZNS1_29radix_sort_onesweep_iterationIS3_Lb1EPKdPdPS5_SB_mNS0_19identity_decomposerENS1_16block_id_wrapperIjLb0EEEEE10hipError_tT1_PNSt15iterator_traitsISG_E10value_typeET2_T3_PNSH_ISM_E10value_typeET4_T5_PSR_SS_PNS1_23onesweep_lookback_stateEbbT6_jjT7_P12ihipStream_tbENKUlT_T0_SG_SL_E_clISA_SA_SB_SB_EEDaSZ_S10_SG_SL_EUlSZ_E_NS1_11comp_targetILNS1_3genE6ELNS1_11target_archE950ELNS1_3gpuE13ELNS1_3repE0EEENS1_47radix_sort_onesweep_sort_config_static_selectorELNS0_4arch9wavefront6targetE0EEEvSG_,@function
_ZN7rocprim17ROCPRIM_400000_NS6detail17trampoline_kernelINS0_14default_configENS1_35radix_sort_onesweep_config_selectorIdNS0_10empty_typeEEEZZNS1_29radix_sort_onesweep_iterationIS3_Lb1EPKdPdPS5_SB_mNS0_19identity_decomposerENS1_16block_id_wrapperIjLb0EEEEE10hipError_tT1_PNSt15iterator_traitsISG_E10value_typeET2_T3_PNSH_ISM_E10value_typeET4_T5_PSR_SS_PNS1_23onesweep_lookback_stateEbbT6_jjT7_P12ihipStream_tbENKUlT_T0_SG_SL_E_clISA_SA_SB_SB_EEDaSZ_S10_SG_SL_EUlSZ_E_NS1_11comp_targetILNS1_3genE6ELNS1_11target_archE950ELNS1_3gpuE13ELNS1_3repE0EEENS1_47radix_sort_onesweep_sort_config_static_selectorELNS0_4arch9wavefront6targetE0EEEvSG_: ; @_ZN7rocprim17ROCPRIM_400000_NS6detail17trampoline_kernelINS0_14default_configENS1_35radix_sort_onesweep_config_selectorIdNS0_10empty_typeEEEZZNS1_29radix_sort_onesweep_iterationIS3_Lb1EPKdPdPS5_SB_mNS0_19identity_decomposerENS1_16block_id_wrapperIjLb0EEEEE10hipError_tT1_PNSt15iterator_traitsISG_E10value_typeET2_T3_PNSH_ISM_E10value_typeET4_T5_PSR_SS_PNS1_23onesweep_lookback_stateEbbT6_jjT7_P12ihipStream_tbENKUlT_T0_SG_SL_E_clISA_SA_SB_SB_EEDaSZ_S10_SG_SL_EUlSZ_E_NS1_11comp_targetILNS1_3genE6ELNS1_11target_archE950ELNS1_3gpuE13ELNS1_3repE0EEENS1_47radix_sort_onesweep_sort_config_static_selectorELNS0_4arch9wavefront6targetE0EEEvSG_
; %bb.0:
	.section	.rodata,"a",@progbits
	.p2align	6, 0x0
	.amdhsa_kernel _ZN7rocprim17ROCPRIM_400000_NS6detail17trampoline_kernelINS0_14default_configENS1_35radix_sort_onesweep_config_selectorIdNS0_10empty_typeEEEZZNS1_29radix_sort_onesweep_iterationIS3_Lb1EPKdPdPS5_SB_mNS0_19identity_decomposerENS1_16block_id_wrapperIjLb0EEEEE10hipError_tT1_PNSt15iterator_traitsISG_E10value_typeET2_T3_PNSH_ISM_E10value_typeET4_T5_PSR_SS_PNS1_23onesweep_lookback_stateEbbT6_jjT7_P12ihipStream_tbENKUlT_T0_SG_SL_E_clISA_SA_SB_SB_EEDaSZ_S10_SG_SL_EUlSZ_E_NS1_11comp_targetILNS1_3genE6ELNS1_11target_archE950ELNS1_3gpuE13ELNS1_3repE0EEENS1_47radix_sort_onesweep_sort_config_static_selectorELNS0_4arch9wavefront6targetE0EEEvSG_
		.amdhsa_group_segment_fixed_size 0
		.amdhsa_private_segment_fixed_size 0
		.amdhsa_kernarg_size 88
		.amdhsa_user_sgpr_count 2
		.amdhsa_user_sgpr_dispatch_ptr 0
		.amdhsa_user_sgpr_queue_ptr 0
		.amdhsa_user_sgpr_kernarg_segment_ptr 1
		.amdhsa_user_sgpr_dispatch_id 0
		.amdhsa_user_sgpr_kernarg_preload_length 0
		.amdhsa_user_sgpr_kernarg_preload_offset 0
		.amdhsa_user_sgpr_private_segment_size 0
		.amdhsa_wavefront_size32 1
		.amdhsa_uses_dynamic_stack 0
		.amdhsa_enable_private_segment 0
		.amdhsa_system_sgpr_workgroup_id_x 1
		.amdhsa_system_sgpr_workgroup_id_y 0
		.amdhsa_system_sgpr_workgroup_id_z 0
		.amdhsa_system_sgpr_workgroup_info 0
		.amdhsa_system_vgpr_workitem_id 0
		.amdhsa_next_free_vgpr 1
		.amdhsa_next_free_sgpr 1
		.amdhsa_named_barrier_count 0
		.amdhsa_reserve_vcc 0
		.amdhsa_float_round_mode_32 0
		.amdhsa_float_round_mode_16_64 0
		.amdhsa_float_denorm_mode_32 3
		.amdhsa_float_denorm_mode_16_64 3
		.amdhsa_fp16_overflow 0
		.amdhsa_memory_ordered 1
		.amdhsa_forward_progress 1
		.amdhsa_inst_pref_size 0
		.amdhsa_round_robin_scheduling 0
		.amdhsa_exception_fp_ieee_invalid_op 0
		.amdhsa_exception_fp_denorm_src 0
		.amdhsa_exception_fp_ieee_div_zero 0
		.amdhsa_exception_fp_ieee_overflow 0
		.amdhsa_exception_fp_ieee_underflow 0
		.amdhsa_exception_fp_ieee_inexact 0
		.amdhsa_exception_int_div_zero 0
	.end_amdhsa_kernel
	.section	.text._ZN7rocprim17ROCPRIM_400000_NS6detail17trampoline_kernelINS0_14default_configENS1_35radix_sort_onesweep_config_selectorIdNS0_10empty_typeEEEZZNS1_29radix_sort_onesweep_iterationIS3_Lb1EPKdPdPS5_SB_mNS0_19identity_decomposerENS1_16block_id_wrapperIjLb0EEEEE10hipError_tT1_PNSt15iterator_traitsISG_E10value_typeET2_T3_PNSH_ISM_E10value_typeET4_T5_PSR_SS_PNS1_23onesweep_lookback_stateEbbT6_jjT7_P12ihipStream_tbENKUlT_T0_SG_SL_E_clISA_SA_SB_SB_EEDaSZ_S10_SG_SL_EUlSZ_E_NS1_11comp_targetILNS1_3genE6ELNS1_11target_archE950ELNS1_3gpuE13ELNS1_3repE0EEENS1_47radix_sort_onesweep_sort_config_static_selectorELNS0_4arch9wavefront6targetE0EEEvSG_,"axG",@progbits,_ZN7rocprim17ROCPRIM_400000_NS6detail17trampoline_kernelINS0_14default_configENS1_35radix_sort_onesweep_config_selectorIdNS0_10empty_typeEEEZZNS1_29radix_sort_onesweep_iterationIS3_Lb1EPKdPdPS5_SB_mNS0_19identity_decomposerENS1_16block_id_wrapperIjLb0EEEEE10hipError_tT1_PNSt15iterator_traitsISG_E10value_typeET2_T3_PNSH_ISM_E10value_typeET4_T5_PSR_SS_PNS1_23onesweep_lookback_stateEbbT6_jjT7_P12ihipStream_tbENKUlT_T0_SG_SL_E_clISA_SA_SB_SB_EEDaSZ_S10_SG_SL_EUlSZ_E_NS1_11comp_targetILNS1_3genE6ELNS1_11target_archE950ELNS1_3gpuE13ELNS1_3repE0EEENS1_47radix_sort_onesweep_sort_config_static_selectorELNS0_4arch9wavefront6targetE0EEEvSG_,comdat
.Lfunc_end1546:
	.size	_ZN7rocprim17ROCPRIM_400000_NS6detail17trampoline_kernelINS0_14default_configENS1_35radix_sort_onesweep_config_selectorIdNS0_10empty_typeEEEZZNS1_29radix_sort_onesweep_iterationIS3_Lb1EPKdPdPS5_SB_mNS0_19identity_decomposerENS1_16block_id_wrapperIjLb0EEEEE10hipError_tT1_PNSt15iterator_traitsISG_E10value_typeET2_T3_PNSH_ISM_E10value_typeET4_T5_PSR_SS_PNS1_23onesweep_lookback_stateEbbT6_jjT7_P12ihipStream_tbENKUlT_T0_SG_SL_E_clISA_SA_SB_SB_EEDaSZ_S10_SG_SL_EUlSZ_E_NS1_11comp_targetILNS1_3genE6ELNS1_11target_archE950ELNS1_3gpuE13ELNS1_3repE0EEENS1_47radix_sort_onesweep_sort_config_static_selectorELNS0_4arch9wavefront6targetE0EEEvSG_, .Lfunc_end1546-_ZN7rocprim17ROCPRIM_400000_NS6detail17trampoline_kernelINS0_14default_configENS1_35radix_sort_onesweep_config_selectorIdNS0_10empty_typeEEEZZNS1_29radix_sort_onesweep_iterationIS3_Lb1EPKdPdPS5_SB_mNS0_19identity_decomposerENS1_16block_id_wrapperIjLb0EEEEE10hipError_tT1_PNSt15iterator_traitsISG_E10value_typeET2_T3_PNSH_ISM_E10value_typeET4_T5_PSR_SS_PNS1_23onesweep_lookback_stateEbbT6_jjT7_P12ihipStream_tbENKUlT_T0_SG_SL_E_clISA_SA_SB_SB_EEDaSZ_S10_SG_SL_EUlSZ_E_NS1_11comp_targetILNS1_3genE6ELNS1_11target_archE950ELNS1_3gpuE13ELNS1_3repE0EEENS1_47radix_sort_onesweep_sort_config_static_selectorELNS0_4arch9wavefront6targetE0EEEvSG_
                                        ; -- End function
	.set _ZN7rocprim17ROCPRIM_400000_NS6detail17trampoline_kernelINS0_14default_configENS1_35radix_sort_onesweep_config_selectorIdNS0_10empty_typeEEEZZNS1_29radix_sort_onesweep_iterationIS3_Lb1EPKdPdPS5_SB_mNS0_19identity_decomposerENS1_16block_id_wrapperIjLb0EEEEE10hipError_tT1_PNSt15iterator_traitsISG_E10value_typeET2_T3_PNSH_ISM_E10value_typeET4_T5_PSR_SS_PNS1_23onesweep_lookback_stateEbbT6_jjT7_P12ihipStream_tbENKUlT_T0_SG_SL_E_clISA_SA_SB_SB_EEDaSZ_S10_SG_SL_EUlSZ_E_NS1_11comp_targetILNS1_3genE6ELNS1_11target_archE950ELNS1_3gpuE13ELNS1_3repE0EEENS1_47radix_sort_onesweep_sort_config_static_selectorELNS0_4arch9wavefront6targetE0EEEvSG_.num_vgpr, 0
	.set _ZN7rocprim17ROCPRIM_400000_NS6detail17trampoline_kernelINS0_14default_configENS1_35radix_sort_onesweep_config_selectorIdNS0_10empty_typeEEEZZNS1_29radix_sort_onesweep_iterationIS3_Lb1EPKdPdPS5_SB_mNS0_19identity_decomposerENS1_16block_id_wrapperIjLb0EEEEE10hipError_tT1_PNSt15iterator_traitsISG_E10value_typeET2_T3_PNSH_ISM_E10value_typeET4_T5_PSR_SS_PNS1_23onesweep_lookback_stateEbbT6_jjT7_P12ihipStream_tbENKUlT_T0_SG_SL_E_clISA_SA_SB_SB_EEDaSZ_S10_SG_SL_EUlSZ_E_NS1_11comp_targetILNS1_3genE6ELNS1_11target_archE950ELNS1_3gpuE13ELNS1_3repE0EEENS1_47radix_sort_onesweep_sort_config_static_selectorELNS0_4arch9wavefront6targetE0EEEvSG_.num_agpr, 0
	.set _ZN7rocprim17ROCPRIM_400000_NS6detail17trampoline_kernelINS0_14default_configENS1_35radix_sort_onesweep_config_selectorIdNS0_10empty_typeEEEZZNS1_29radix_sort_onesweep_iterationIS3_Lb1EPKdPdPS5_SB_mNS0_19identity_decomposerENS1_16block_id_wrapperIjLb0EEEEE10hipError_tT1_PNSt15iterator_traitsISG_E10value_typeET2_T3_PNSH_ISM_E10value_typeET4_T5_PSR_SS_PNS1_23onesweep_lookback_stateEbbT6_jjT7_P12ihipStream_tbENKUlT_T0_SG_SL_E_clISA_SA_SB_SB_EEDaSZ_S10_SG_SL_EUlSZ_E_NS1_11comp_targetILNS1_3genE6ELNS1_11target_archE950ELNS1_3gpuE13ELNS1_3repE0EEENS1_47radix_sort_onesweep_sort_config_static_selectorELNS0_4arch9wavefront6targetE0EEEvSG_.numbered_sgpr, 0
	.set _ZN7rocprim17ROCPRIM_400000_NS6detail17trampoline_kernelINS0_14default_configENS1_35radix_sort_onesweep_config_selectorIdNS0_10empty_typeEEEZZNS1_29radix_sort_onesweep_iterationIS3_Lb1EPKdPdPS5_SB_mNS0_19identity_decomposerENS1_16block_id_wrapperIjLb0EEEEE10hipError_tT1_PNSt15iterator_traitsISG_E10value_typeET2_T3_PNSH_ISM_E10value_typeET4_T5_PSR_SS_PNS1_23onesweep_lookback_stateEbbT6_jjT7_P12ihipStream_tbENKUlT_T0_SG_SL_E_clISA_SA_SB_SB_EEDaSZ_S10_SG_SL_EUlSZ_E_NS1_11comp_targetILNS1_3genE6ELNS1_11target_archE950ELNS1_3gpuE13ELNS1_3repE0EEENS1_47radix_sort_onesweep_sort_config_static_selectorELNS0_4arch9wavefront6targetE0EEEvSG_.num_named_barrier, 0
	.set _ZN7rocprim17ROCPRIM_400000_NS6detail17trampoline_kernelINS0_14default_configENS1_35radix_sort_onesweep_config_selectorIdNS0_10empty_typeEEEZZNS1_29radix_sort_onesweep_iterationIS3_Lb1EPKdPdPS5_SB_mNS0_19identity_decomposerENS1_16block_id_wrapperIjLb0EEEEE10hipError_tT1_PNSt15iterator_traitsISG_E10value_typeET2_T3_PNSH_ISM_E10value_typeET4_T5_PSR_SS_PNS1_23onesweep_lookback_stateEbbT6_jjT7_P12ihipStream_tbENKUlT_T0_SG_SL_E_clISA_SA_SB_SB_EEDaSZ_S10_SG_SL_EUlSZ_E_NS1_11comp_targetILNS1_3genE6ELNS1_11target_archE950ELNS1_3gpuE13ELNS1_3repE0EEENS1_47radix_sort_onesweep_sort_config_static_selectorELNS0_4arch9wavefront6targetE0EEEvSG_.private_seg_size, 0
	.set _ZN7rocprim17ROCPRIM_400000_NS6detail17trampoline_kernelINS0_14default_configENS1_35radix_sort_onesweep_config_selectorIdNS0_10empty_typeEEEZZNS1_29radix_sort_onesweep_iterationIS3_Lb1EPKdPdPS5_SB_mNS0_19identity_decomposerENS1_16block_id_wrapperIjLb0EEEEE10hipError_tT1_PNSt15iterator_traitsISG_E10value_typeET2_T3_PNSH_ISM_E10value_typeET4_T5_PSR_SS_PNS1_23onesweep_lookback_stateEbbT6_jjT7_P12ihipStream_tbENKUlT_T0_SG_SL_E_clISA_SA_SB_SB_EEDaSZ_S10_SG_SL_EUlSZ_E_NS1_11comp_targetILNS1_3genE6ELNS1_11target_archE950ELNS1_3gpuE13ELNS1_3repE0EEENS1_47radix_sort_onesweep_sort_config_static_selectorELNS0_4arch9wavefront6targetE0EEEvSG_.uses_vcc, 0
	.set _ZN7rocprim17ROCPRIM_400000_NS6detail17trampoline_kernelINS0_14default_configENS1_35radix_sort_onesweep_config_selectorIdNS0_10empty_typeEEEZZNS1_29radix_sort_onesweep_iterationIS3_Lb1EPKdPdPS5_SB_mNS0_19identity_decomposerENS1_16block_id_wrapperIjLb0EEEEE10hipError_tT1_PNSt15iterator_traitsISG_E10value_typeET2_T3_PNSH_ISM_E10value_typeET4_T5_PSR_SS_PNS1_23onesweep_lookback_stateEbbT6_jjT7_P12ihipStream_tbENKUlT_T0_SG_SL_E_clISA_SA_SB_SB_EEDaSZ_S10_SG_SL_EUlSZ_E_NS1_11comp_targetILNS1_3genE6ELNS1_11target_archE950ELNS1_3gpuE13ELNS1_3repE0EEENS1_47radix_sort_onesweep_sort_config_static_selectorELNS0_4arch9wavefront6targetE0EEEvSG_.uses_flat_scratch, 0
	.set _ZN7rocprim17ROCPRIM_400000_NS6detail17trampoline_kernelINS0_14default_configENS1_35radix_sort_onesweep_config_selectorIdNS0_10empty_typeEEEZZNS1_29radix_sort_onesweep_iterationIS3_Lb1EPKdPdPS5_SB_mNS0_19identity_decomposerENS1_16block_id_wrapperIjLb0EEEEE10hipError_tT1_PNSt15iterator_traitsISG_E10value_typeET2_T3_PNSH_ISM_E10value_typeET4_T5_PSR_SS_PNS1_23onesweep_lookback_stateEbbT6_jjT7_P12ihipStream_tbENKUlT_T0_SG_SL_E_clISA_SA_SB_SB_EEDaSZ_S10_SG_SL_EUlSZ_E_NS1_11comp_targetILNS1_3genE6ELNS1_11target_archE950ELNS1_3gpuE13ELNS1_3repE0EEENS1_47radix_sort_onesweep_sort_config_static_selectorELNS0_4arch9wavefront6targetE0EEEvSG_.has_dyn_sized_stack, 0
	.set _ZN7rocprim17ROCPRIM_400000_NS6detail17trampoline_kernelINS0_14default_configENS1_35radix_sort_onesweep_config_selectorIdNS0_10empty_typeEEEZZNS1_29radix_sort_onesweep_iterationIS3_Lb1EPKdPdPS5_SB_mNS0_19identity_decomposerENS1_16block_id_wrapperIjLb0EEEEE10hipError_tT1_PNSt15iterator_traitsISG_E10value_typeET2_T3_PNSH_ISM_E10value_typeET4_T5_PSR_SS_PNS1_23onesweep_lookback_stateEbbT6_jjT7_P12ihipStream_tbENKUlT_T0_SG_SL_E_clISA_SA_SB_SB_EEDaSZ_S10_SG_SL_EUlSZ_E_NS1_11comp_targetILNS1_3genE6ELNS1_11target_archE950ELNS1_3gpuE13ELNS1_3repE0EEENS1_47radix_sort_onesweep_sort_config_static_selectorELNS0_4arch9wavefront6targetE0EEEvSG_.has_recursion, 0
	.set _ZN7rocprim17ROCPRIM_400000_NS6detail17trampoline_kernelINS0_14default_configENS1_35radix_sort_onesweep_config_selectorIdNS0_10empty_typeEEEZZNS1_29radix_sort_onesweep_iterationIS3_Lb1EPKdPdPS5_SB_mNS0_19identity_decomposerENS1_16block_id_wrapperIjLb0EEEEE10hipError_tT1_PNSt15iterator_traitsISG_E10value_typeET2_T3_PNSH_ISM_E10value_typeET4_T5_PSR_SS_PNS1_23onesweep_lookback_stateEbbT6_jjT7_P12ihipStream_tbENKUlT_T0_SG_SL_E_clISA_SA_SB_SB_EEDaSZ_S10_SG_SL_EUlSZ_E_NS1_11comp_targetILNS1_3genE6ELNS1_11target_archE950ELNS1_3gpuE13ELNS1_3repE0EEENS1_47radix_sort_onesweep_sort_config_static_selectorELNS0_4arch9wavefront6targetE0EEEvSG_.has_indirect_call, 0
	.section	.AMDGPU.csdata,"",@progbits
; Kernel info:
; codeLenInByte = 0
; TotalNumSgprs: 0
; NumVgprs: 0
; ScratchSize: 0
; MemoryBound: 0
; FloatMode: 240
; IeeeMode: 1
; LDSByteSize: 0 bytes/workgroup (compile time only)
; SGPRBlocks: 0
; VGPRBlocks: 0
; NumSGPRsForWavesPerEU: 1
; NumVGPRsForWavesPerEU: 1
; NamedBarCnt: 0
; Occupancy: 16
; WaveLimiterHint : 0
; COMPUTE_PGM_RSRC2:SCRATCH_EN: 0
; COMPUTE_PGM_RSRC2:USER_SGPR: 2
; COMPUTE_PGM_RSRC2:TRAP_HANDLER: 0
; COMPUTE_PGM_RSRC2:TGID_X_EN: 1
; COMPUTE_PGM_RSRC2:TGID_Y_EN: 0
; COMPUTE_PGM_RSRC2:TGID_Z_EN: 0
; COMPUTE_PGM_RSRC2:TIDIG_COMP_CNT: 0
	.section	.text._ZN7rocprim17ROCPRIM_400000_NS6detail17trampoline_kernelINS0_14default_configENS1_35radix_sort_onesweep_config_selectorIdNS0_10empty_typeEEEZZNS1_29radix_sort_onesweep_iterationIS3_Lb1EPKdPdPS5_SB_mNS0_19identity_decomposerENS1_16block_id_wrapperIjLb0EEEEE10hipError_tT1_PNSt15iterator_traitsISG_E10value_typeET2_T3_PNSH_ISM_E10value_typeET4_T5_PSR_SS_PNS1_23onesweep_lookback_stateEbbT6_jjT7_P12ihipStream_tbENKUlT_T0_SG_SL_E_clISA_SA_SB_SB_EEDaSZ_S10_SG_SL_EUlSZ_E_NS1_11comp_targetILNS1_3genE5ELNS1_11target_archE942ELNS1_3gpuE9ELNS1_3repE0EEENS1_47radix_sort_onesweep_sort_config_static_selectorELNS0_4arch9wavefront6targetE0EEEvSG_,"axG",@progbits,_ZN7rocprim17ROCPRIM_400000_NS6detail17trampoline_kernelINS0_14default_configENS1_35radix_sort_onesweep_config_selectorIdNS0_10empty_typeEEEZZNS1_29radix_sort_onesweep_iterationIS3_Lb1EPKdPdPS5_SB_mNS0_19identity_decomposerENS1_16block_id_wrapperIjLb0EEEEE10hipError_tT1_PNSt15iterator_traitsISG_E10value_typeET2_T3_PNSH_ISM_E10value_typeET4_T5_PSR_SS_PNS1_23onesweep_lookback_stateEbbT6_jjT7_P12ihipStream_tbENKUlT_T0_SG_SL_E_clISA_SA_SB_SB_EEDaSZ_S10_SG_SL_EUlSZ_E_NS1_11comp_targetILNS1_3genE5ELNS1_11target_archE942ELNS1_3gpuE9ELNS1_3repE0EEENS1_47radix_sort_onesweep_sort_config_static_selectorELNS0_4arch9wavefront6targetE0EEEvSG_,comdat
	.protected	_ZN7rocprim17ROCPRIM_400000_NS6detail17trampoline_kernelINS0_14default_configENS1_35radix_sort_onesweep_config_selectorIdNS0_10empty_typeEEEZZNS1_29radix_sort_onesweep_iterationIS3_Lb1EPKdPdPS5_SB_mNS0_19identity_decomposerENS1_16block_id_wrapperIjLb0EEEEE10hipError_tT1_PNSt15iterator_traitsISG_E10value_typeET2_T3_PNSH_ISM_E10value_typeET4_T5_PSR_SS_PNS1_23onesweep_lookback_stateEbbT6_jjT7_P12ihipStream_tbENKUlT_T0_SG_SL_E_clISA_SA_SB_SB_EEDaSZ_S10_SG_SL_EUlSZ_E_NS1_11comp_targetILNS1_3genE5ELNS1_11target_archE942ELNS1_3gpuE9ELNS1_3repE0EEENS1_47radix_sort_onesweep_sort_config_static_selectorELNS0_4arch9wavefront6targetE0EEEvSG_ ; -- Begin function _ZN7rocprim17ROCPRIM_400000_NS6detail17trampoline_kernelINS0_14default_configENS1_35radix_sort_onesweep_config_selectorIdNS0_10empty_typeEEEZZNS1_29radix_sort_onesweep_iterationIS3_Lb1EPKdPdPS5_SB_mNS0_19identity_decomposerENS1_16block_id_wrapperIjLb0EEEEE10hipError_tT1_PNSt15iterator_traitsISG_E10value_typeET2_T3_PNSH_ISM_E10value_typeET4_T5_PSR_SS_PNS1_23onesweep_lookback_stateEbbT6_jjT7_P12ihipStream_tbENKUlT_T0_SG_SL_E_clISA_SA_SB_SB_EEDaSZ_S10_SG_SL_EUlSZ_E_NS1_11comp_targetILNS1_3genE5ELNS1_11target_archE942ELNS1_3gpuE9ELNS1_3repE0EEENS1_47radix_sort_onesweep_sort_config_static_selectorELNS0_4arch9wavefront6targetE0EEEvSG_
	.globl	_ZN7rocprim17ROCPRIM_400000_NS6detail17trampoline_kernelINS0_14default_configENS1_35radix_sort_onesweep_config_selectorIdNS0_10empty_typeEEEZZNS1_29radix_sort_onesweep_iterationIS3_Lb1EPKdPdPS5_SB_mNS0_19identity_decomposerENS1_16block_id_wrapperIjLb0EEEEE10hipError_tT1_PNSt15iterator_traitsISG_E10value_typeET2_T3_PNSH_ISM_E10value_typeET4_T5_PSR_SS_PNS1_23onesweep_lookback_stateEbbT6_jjT7_P12ihipStream_tbENKUlT_T0_SG_SL_E_clISA_SA_SB_SB_EEDaSZ_S10_SG_SL_EUlSZ_E_NS1_11comp_targetILNS1_3genE5ELNS1_11target_archE942ELNS1_3gpuE9ELNS1_3repE0EEENS1_47radix_sort_onesweep_sort_config_static_selectorELNS0_4arch9wavefront6targetE0EEEvSG_
	.p2align	8
	.type	_ZN7rocprim17ROCPRIM_400000_NS6detail17trampoline_kernelINS0_14default_configENS1_35radix_sort_onesweep_config_selectorIdNS0_10empty_typeEEEZZNS1_29radix_sort_onesweep_iterationIS3_Lb1EPKdPdPS5_SB_mNS0_19identity_decomposerENS1_16block_id_wrapperIjLb0EEEEE10hipError_tT1_PNSt15iterator_traitsISG_E10value_typeET2_T3_PNSH_ISM_E10value_typeET4_T5_PSR_SS_PNS1_23onesweep_lookback_stateEbbT6_jjT7_P12ihipStream_tbENKUlT_T0_SG_SL_E_clISA_SA_SB_SB_EEDaSZ_S10_SG_SL_EUlSZ_E_NS1_11comp_targetILNS1_3genE5ELNS1_11target_archE942ELNS1_3gpuE9ELNS1_3repE0EEENS1_47radix_sort_onesweep_sort_config_static_selectorELNS0_4arch9wavefront6targetE0EEEvSG_,@function
_ZN7rocprim17ROCPRIM_400000_NS6detail17trampoline_kernelINS0_14default_configENS1_35radix_sort_onesweep_config_selectorIdNS0_10empty_typeEEEZZNS1_29radix_sort_onesweep_iterationIS3_Lb1EPKdPdPS5_SB_mNS0_19identity_decomposerENS1_16block_id_wrapperIjLb0EEEEE10hipError_tT1_PNSt15iterator_traitsISG_E10value_typeET2_T3_PNSH_ISM_E10value_typeET4_T5_PSR_SS_PNS1_23onesweep_lookback_stateEbbT6_jjT7_P12ihipStream_tbENKUlT_T0_SG_SL_E_clISA_SA_SB_SB_EEDaSZ_S10_SG_SL_EUlSZ_E_NS1_11comp_targetILNS1_3genE5ELNS1_11target_archE942ELNS1_3gpuE9ELNS1_3repE0EEENS1_47radix_sort_onesweep_sort_config_static_selectorELNS0_4arch9wavefront6targetE0EEEvSG_: ; @_ZN7rocprim17ROCPRIM_400000_NS6detail17trampoline_kernelINS0_14default_configENS1_35radix_sort_onesweep_config_selectorIdNS0_10empty_typeEEEZZNS1_29radix_sort_onesweep_iterationIS3_Lb1EPKdPdPS5_SB_mNS0_19identity_decomposerENS1_16block_id_wrapperIjLb0EEEEE10hipError_tT1_PNSt15iterator_traitsISG_E10value_typeET2_T3_PNSH_ISM_E10value_typeET4_T5_PSR_SS_PNS1_23onesweep_lookback_stateEbbT6_jjT7_P12ihipStream_tbENKUlT_T0_SG_SL_E_clISA_SA_SB_SB_EEDaSZ_S10_SG_SL_EUlSZ_E_NS1_11comp_targetILNS1_3genE5ELNS1_11target_archE942ELNS1_3gpuE9ELNS1_3repE0EEENS1_47radix_sort_onesweep_sort_config_static_selectorELNS0_4arch9wavefront6targetE0EEEvSG_
; %bb.0:
	.section	.rodata,"a",@progbits
	.p2align	6, 0x0
	.amdhsa_kernel _ZN7rocprim17ROCPRIM_400000_NS6detail17trampoline_kernelINS0_14default_configENS1_35radix_sort_onesweep_config_selectorIdNS0_10empty_typeEEEZZNS1_29radix_sort_onesweep_iterationIS3_Lb1EPKdPdPS5_SB_mNS0_19identity_decomposerENS1_16block_id_wrapperIjLb0EEEEE10hipError_tT1_PNSt15iterator_traitsISG_E10value_typeET2_T3_PNSH_ISM_E10value_typeET4_T5_PSR_SS_PNS1_23onesweep_lookback_stateEbbT6_jjT7_P12ihipStream_tbENKUlT_T0_SG_SL_E_clISA_SA_SB_SB_EEDaSZ_S10_SG_SL_EUlSZ_E_NS1_11comp_targetILNS1_3genE5ELNS1_11target_archE942ELNS1_3gpuE9ELNS1_3repE0EEENS1_47radix_sort_onesweep_sort_config_static_selectorELNS0_4arch9wavefront6targetE0EEEvSG_
		.amdhsa_group_segment_fixed_size 0
		.amdhsa_private_segment_fixed_size 0
		.amdhsa_kernarg_size 88
		.amdhsa_user_sgpr_count 2
		.amdhsa_user_sgpr_dispatch_ptr 0
		.amdhsa_user_sgpr_queue_ptr 0
		.amdhsa_user_sgpr_kernarg_segment_ptr 1
		.amdhsa_user_sgpr_dispatch_id 0
		.amdhsa_user_sgpr_kernarg_preload_length 0
		.amdhsa_user_sgpr_kernarg_preload_offset 0
		.amdhsa_user_sgpr_private_segment_size 0
		.amdhsa_wavefront_size32 1
		.amdhsa_uses_dynamic_stack 0
		.amdhsa_enable_private_segment 0
		.amdhsa_system_sgpr_workgroup_id_x 1
		.amdhsa_system_sgpr_workgroup_id_y 0
		.amdhsa_system_sgpr_workgroup_id_z 0
		.amdhsa_system_sgpr_workgroup_info 0
		.amdhsa_system_vgpr_workitem_id 0
		.amdhsa_next_free_vgpr 1
		.amdhsa_next_free_sgpr 1
		.amdhsa_named_barrier_count 0
		.amdhsa_reserve_vcc 0
		.amdhsa_float_round_mode_32 0
		.amdhsa_float_round_mode_16_64 0
		.amdhsa_float_denorm_mode_32 3
		.amdhsa_float_denorm_mode_16_64 3
		.amdhsa_fp16_overflow 0
		.amdhsa_memory_ordered 1
		.amdhsa_forward_progress 1
		.amdhsa_inst_pref_size 0
		.amdhsa_round_robin_scheduling 0
		.amdhsa_exception_fp_ieee_invalid_op 0
		.amdhsa_exception_fp_denorm_src 0
		.amdhsa_exception_fp_ieee_div_zero 0
		.amdhsa_exception_fp_ieee_overflow 0
		.amdhsa_exception_fp_ieee_underflow 0
		.amdhsa_exception_fp_ieee_inexact 0
		.amdhsa_exception_int_div_zero 0
	.end_amdhsa_kernel
	.section	.text._ZN7rocprim17ROCPRIM_400000_NS6detail17trampoline_kernelINS0_14default_configENS1_35radix_sort_onesweep_config_selectorIdNS0_10empty_typeEEEZZNS1_29radix_sort_onesweep_iterationIS3_Lb1EPKdPdPS5_SB_mNS0_19identity_decomposerENS1_16block_id_wrapperIjLb0EEEEE10hipError_tT1_PNSt15iterator_traitsISG_E10value_typeET2_T3_PNSH_ISM_E10value_typeET4_T5_PSR_SS_PNS1_23onesweep_lookback_stateEbbT6_jjT7_P12ihipStream_tbENKUlT_T0_SG_SL_E_clISA_SA_SB_SB_EEDaSZ_S10_SG_SL_EUlSZ_E_NS1_11comp_targetILNS1_3genE5ELNS1_11target_archE942ELNS1_3gpuE9ELNS1_3repE0EEENS1_47radix_sort_onesweep_sort_config_static_selectorELNS0_4arch9wavefront6targetE0EEEvSG_,"axG",@progbits,_ZN7rocprim17ROCPRIM_400000_NS6detail17trampoline_kernelINS0_14default_configENS1_35radix_sort_onesweep_config_selectorIdNS0_10empty_typeEEEZZNS1_29radix_sort_onesweep_iterationIS3_Lb1EPKdPdPS5_SB_mNS0_19identity_decomposerENS1_16block_id_wrapperIjLb0EEEEE10hipError_tT1_PNSt15iterator_traitsISG_E10value_typeET2_T3_PNSH_ISM_E10value_typeET4_T5_PSR_SS_PNS1_23onesweep_lookback_stateEbbT6_jjT7_P12ihipStream_tbENKUlT_T0_SG_SL_E_clISA_SA_SB_SB_EEDaSZ_S10_SG_SL_EUlSZ_E_NS1_11comp_targetILNS1_3genE5ELNS1_11target_archE942ELNS1_3gpuE9ELNS1_3repE0EEENS1_47radix_sort_onesweep_sort_config_static_selectorELNS0_4arch9wavefront6targetE0EEEvSG_,comdat
.Lfunc_end1547:
	.size	_ZN7rocprim17ROCPRIM_400000_NS6detail17trampoline_kernelINS0_14default_configENS1_35radix_sort_onesweep_config_selectorIdNS0_10empty_typeEEEZZNS1_29radix_sort_onesweep_iterationIS3_Lb1EPKdPdPS5_SB_mNS0_19identity_decomposerENS1_16block_id_wrapperIjLb0EEEEE10hipError_tT1_PNSt15iterator_traitsISG_E10value_typeET2_T3_PNSH_ISM_E10value_typeET4_T5_PSR_SS_PNS1_23onesweep_lookback_stateEbbT6_jjT7_P12ihipStream_tbENKUlT_T0_SG_SL_E_clISA_SA_SB_SB_EEDaSZ_S10_SG_SL_EUlSZ_E_NS1_11comp_targetILNS1_3genE5ELNS1_11target_archE942ELNS1_3gpuE9ELNS1_3repE0EEENS1_47radix_sort_onesweep_sort_config_static_selectorELNS0_4arch9wavefront6targetE0EEEvSG_, .Lfunc_end1547-_ZN7rocprim17ROCPRIM_400000_NS6detail17trampoline_kernelINS0_14default_configENS1_35radix_sort_onesweep_config_selectorIdNS0_10empty_typeEEEZZNS1_29radix_sort_onesweep_iterationIS3_Lb1EPKdPdPS5_SB_mNS0_19identity_decomposerENS1_16block_id_wrapperIjLb0EEEEE10hipError_tT1_PNSt15iterator_traitsISG_E10value_typeET2_T3_PNSH_ISM_E10value_typeET4_T5_PSR_SS_PNS1_23onesweep_lookback_stateEbbT6_jjT7_P12ihipStream_tbENKUlT_T0_SG_SL_E_clISA_SA_SB_SB_EEDaSZ_S10_SG_SL_EUlSZ_E_NS1_11comp_targetILNS1_3genE5ELNS1_11target_archE942ELNS1_3gpuE9ELNS1_3repE0EEENS1_47radix_sort_onesweep_sort_config_static_selectorELNS0_4arch9wavefront6targetE0EEEvSG_
                                        ; -- End function
	.set _ZN7rocprim17ROCPRIM_400000_NS6detail17trampoline_kernelINS0_14default_configENS1_35radix_sort_onesweep_config_selectorIdNS0_10empty_typeEEEZZNS1_29radix_sort_onesweep_iterationIS3_Lb1EPKdPdPS5_SB_mNS0_19identity_decomposerENS1_16block_id_wrapperIjLb0EEEEE10hipError_tT1_PNSt15iterator_traitsISG_E10value_typeET2_T3_PNSH_ISM_E10value_typeET4_T5_PSR_SS_PNS1_23onesweep_lookback_stateEbbT6_jjT7_P12ihipStream_tbENKUlT_T0_SG_SL_E_clISA_SA_SB_SB_EEDaSZ_S10_SG_SL_EUlSZ_E_NS1_11comp_targetILNS1_3genE5ELNS1_11target_archE942ELNS1_3gpuE9ELNS1_3repE0EEENS1_47radix_sort_onesweep_sort_config_static_selectorELNS0_4arch9wavefront6targetE0EEEvSG_.num_vgpr, 0
	.set _ZN7rocprim17ROCPRIM_400000_NS6detail17trampoline_kernelINS0_14default_configENS1_35radix_sort_onesweep_config_selectorIdNS0_10empty_typeEEEZZNS1_29radix_sort_onesweep_iterationIS3_Lb1EPKdPdPS5_SB_mNS0_19identity_decomposerENS1_16block_id_wrapperIjLb0EEEEE10hipError_tT1_PNSt15iterator_traitsISG_E10value_typeET2_T3_PNSH_ISM_E10value_typeET4_T5_PSR_SS_PNS1_23onesweep_lookback_stateEbbT6_jjT7_P12ihipStream_tbENKUlT_T0_SG_SL_E_clISA_SA_SB_SB_EEDaSZ_S10_SG_SL_EUlSZ_E_NS1_11comp_targetILNS1_3genE5ELNS1_11target_archE942ELNS1_3gpuE9ELNS1_3repE0EEENS1_47radix_sort_onesweep_sort_config_static_selectorELNS0_4arch9wavefront6targetE0EEEvSG_.num_agpr, 0
	.set _ZN7rocprim17ROCPRIM_400000_NS6detail17trampoline_kernelINS0_14default_configENS1_35radix_sort_onesweep_config_selectorIdNS0_10empty_typeEEEZZNS1_29radix_sort_onesweep_iterationIS3_Lb1EPKdPdPS5_SB_mNS0_19identity_decomposerENS1_16block_id_wrapperIjLb0EEEEE10hipError_tT1_PNSt15iterator_traitsISG_E10value_typeET2_T3_PNSH_ISM_E10value_typeET4_T5_PSR_SS_PNS1_23onesweep_lookback_stateEbbT6_jjT7_P12ihipStream_tbENKUlT_T0_SG_SL_E_clISA_SA_SB_SB_EEDaSZ_S10_SG_SL_EUlSZ_E_NS1_11comp_targetILNS1_3genE5ELNS1_11target_archE942ELNS1_3gpuE9ELNS1_3repE0EEENS1_47radix_sort_onesweep_sort_config_static_selectorELNS0_4arch9wavefront6targetE0EEEvSG_.numbered_sgpr, 0
	.set _ZN7rocprim17ROCPRIM_400000_NS6detail17trampoline_kernelINS0_14default_configENS1_35radix_sort_onesweep_config_selectorIdNS0_10empty_typeEEEZZNS1_29radix_sort_onesweep_iterationIS3_Lb1EPKdPdPS5_SB_mNS0_19identity_decomposerENS1_16block_id_wrapperIjLb0EEEEE10hipError_tT1_PNSt15iterator_traitsISG_E10value_typeET2_T3_PNSH_ISM_E10value_typeET4_T5_PSR_SS_PNS1_23onesweep_lookback_stateEbbT6_jjT7_P12ihipStream_tbENKUlT_T0_SG_SL_E_clISA_SA_SB_SB_EEDaSZ_S10_SG_SL_EUlSZ_E_NS1_11comp_targetILNS1_3genE5ELNS1_11target_archE942ELNS1_3gpuE9ELNS1_3repE0EEENS1_47radix_sort_onesweep_sort_config_static_selectorELNS0_4arch9wavefront6targetE0EEEvSG_.num_named_barrier, 0
	.set _ZN7rocprim17ROCPRIM_400000_NS6detail17trampoline_kernelINS0_14default_configENS1_35radix_sort_onesweep_config_selectorIdNS0_10empty_typeEEEZZNS1_29radix_sort_onesweep_iterationIS3_Lb1EPKdPdPS5_SB_mNS0_19identity_decomposerENS1_16block_id_wrapperIjLb0EEEEE10hipError_tT1_PNSt15iterator_traitsISG_E10value_typeET2_T3_PNSH_ISM_E10value_typeET4_T5_PSR_SS_PNS1_23onesweep_lookback_stateEbbT6_jjT7_P12ihipStream_tbENKUlT_T0_SG_SL_E_clISA_SA_SB_SB_EEDaSZ_S10_SG_SL_EUlSZ_E_NS1_11comp_targetILNS1_3genE5ELNS1_11target_archE942ELNS1_3gpuE9ELNS1_3repE0EEENS1_47radix_sort_onesweep_sort_config_static_selectorELNS0_4arch9wavefront6targetE0EEEvSG_.private_seg_size, 0
	.set _ZN7rocprim17ROCPRIM_400000_NS6detail17trampoline_kernelINS0_14default_configENS1_35radix_sort_onesweep_config_selectorIdNS0_10empty_typeEEEZZNS1_29radix_sort_onesweep_iterationIS3_Lb1EPKdPdPS5_SB_mNS0_19identity_decomposerENS1_16block_id_wrapperIjLb0EEEEE10hipError_tT1_PNSt15iterator_traitsISG_E10value_typeET2_T3_PNSH_ISM_E10value_typeET4_T5_PSR_SS_PNS1_23onesweep_lookback_stateEbbT6_jjT7_P12ihipStream_tbENKUlT_T0_SG_SL_E_clISA_SA_SB_SB_EEDaSZ_S10_SG_SL_EUlSZ_E_NS1_11comp_targetILNS1_3genE5ELNS1_11target_archE942ELNS1_3gpuE9ELNS1_3repE0EEENS1_47radix_sort_onesweep_sort_config_static_selectorELNS0_4arch9wavefront6targetE0EEEvSG_.uses_vcc, 0
	.set _ZN7rocprim17ROCPRIM_400000_NS6detail17trampoline_kernelINS0_14default_configENS1_35radix_sort_onesweep_config_selectorIdNS0_10empty_typeEEEZZNS1_29radix_sort_onesweep_iterationIS3_Lb1EPKdPdPS5_SB_mNS0_19identity_decomposerENS1_16block_id_wrapperIjLb0EEEEE10hipError_tT1_PNSt15iterator_traitsISG_E10value_typeET2_T3_PNSH_ISM_E10value_typeET4_T5_PSR_SS_PNS1_23onesweep_lookback_stateEbbT6_jjT7_P12ihipStream_tbENKUlT_T0_SG_SL_E_clISA_SA_SB_SB_EEDaSZ_S10_SG_SL_EUlSZ_E_NS1_11comp_targetILNS1_3genE5ELNS1_11target_archE942ELNS1_3gpuE9ELNS1_3repE0EEENS1_47radix_sort_onesweep_sort_config_static_selectorELNS0_4arch9wavefront6targetE0EEEvSG_.uses_flat_scratch, 0
	.set _ZN7rocprim17ROCPRIM_400000_NS6detail17trampoline_kernelINS0_14default_configENS1_35radix_sort_onesweep_config_selectorIdNS0_10empty_typeEEEZZNS1_29radix_sort_onesweep_iterationIS3_Lb1EPKdPdPS5_SB_mNS0_19identity_decomposerENS1_16block_id_wrapperIjLb0EEEEE10hipError_tT1_PNSt15iterator_traitsISG_E10value_typeET2_T3_PNSH_ISM_E10value_typeET4_T5_PSR_SS_PNS1_23onesweep_lookback_stateEbbT6_jjT7_P12ihipStream_tbENKUlT_T0_SG_SL_E_clISA_SA_SB_SB_EEDaSZ_S10_SG_SL_EUlSZ_E_NS1_11comp_targetILNS1_3genE5ELNS1_11target_archE942ELNS1_3gpuE9ELNS1_3repE0EEENS1_47radix_sort_onesweep_sort_config_static_selectorELNS0_4arch9wavefront6targetE0EEEvSG_.has_dyn_sized_stack, 0
	.set _ZN7rocprim17ROCPRIM_400000_NS6detail17trampoline_kernelINS0_14default_configENS1_35radix_sort_onesweep_config_selectorIdNS0_10empty_typeEEEZZNS1_29radix_sort_onesweep_iterationIS3_Lb1EPKdPdPS5_SB_mNS0_19identity_decomposerENS1_16block_id_wrapperIjLb0EEEEE10hipError_tT1_PNSt15iterator_traitsISG_E10value_typeET2_T3_PNSH_ISM_E10value_typeET4_T5_PSR_SS_PNS1_23onesweep_lookback_stateEbbT6_jjT7_P12ihipStream_tbENKUlT_T0_SG_SL_E_clISA_SA_SB_SB_EEDaSZ_S10_SG_SL_EUlSZ_E_NS1_11comp_targetILNS1_3genE5ELNS1_11target_archE942ELNS1_3gpuE9ELNS1_3repE0EEENS1_47radix_sort_onesweep_sort_config_static_selectorELNS0_4arch9wavefront6targetE0EEEvSG_.has_recursion, 0
	.set _ZN7rocprim17ROCPRIM_400000_NS6detail17trampoline_kernelINS0_14default_configENS1_35radix_sort_onesweep_config_selectorIdNS0_10empty_typeEEEZZNS1_29radix_sort_onesweep_iterationIS3_Lb1EPKdPdPS5_SB_mNS0_19identity_decomposerENS1_16block_id_wrapperIjLb0EEEEE10hipError_tT1_PNSt15iterator_traitsISG_E10value_typeET2_T3_PNSH_ISM_E10value_typeET4_T5_PSR_SS_PNS1_23onesweep_lookback_stateEbbT6_jjT7_P12ihipStream_tbENKUlT_T0_SG_SL_E_clISA_SA_SB_SB_EEDaSZ_S10_SG_SL_EUlSZ_E_NS1_11comp_targetILNS1_3genE5ELNS1_11target_archE942ELNS1_3gpuE9ELNS1_3repE0EEENS1_47radix_sort_onesweep_sort_config_static_selectorELNS0_4arch9wavefront6targetE0EEEvSG_.has_indirect_call, 0
	.section	.AMDGPU.csdata,"",@progbits
; Kernel info:
; codeLenInByte = 0
; TotalNumSgprs: 0
; NumVgprs: 0
; ScratchSize: 0
; MemoryBound: 0
; FloatMode: 240
; IeeeMode: 1
; LDSByteSize: 0 bytes/workgroup (compile time only)
; SGPRBlocks: 0
; VGPRBlocks: 0
; NumSGPRsForWavesPerEU: 1
; NumVGPRsForWavesPerEU: 1
; NamedBarCnt: 0
; Occupancy: 16
; WaveLimiterHint : 0
; COMPUTE_PGM_RSRC2:SCRATCH_EN: 0
; COMPUTE_PGM_RSRC2:USER_SGPR: 2
; COMPUTE_PGM_RSRC2:TRAP_HANDLER: 0
; COMPUTE_PGM_RSRC2:TGID_X_EN: 1
; COMPUTE_PGM_RSRC2:TGID_Y_EN: 0
; COMPUTE_PGM_RSRC2:TGID_Z_EN: 0
; COMPUTE_PGM_RSRC2:TIDIG_COMP_CNT: 0
	.section	.text._ZN7rocprim17ROCPRIM_400000_NS6detail17trampoline_kernelINS0_14default_configENS1_35radix_sort_onesweep_config_selectorIdNS0_10empty_typeEEEZZNS1_29radix_sort_onesweep_iterationIS3_Lb1EPKdPdPS5_SB_mNS0_19identity_decomposerENS1_16block_id_wrapperIjLb0EEEEE10hipError_tT1_PNSt15iterator_traitsISG_E10value_typeET2_T3_PNSH_ISM_E10value_typeET4_T5_PSR_SS_PNS1_23onesweep_lookback_stateEbbT6_jjT7_P12ihipStream_tbENKUlT_T0_SG_SL_E_clISA_SA_SB_SB_EEDaSZ_S10_SG_SL_EUlSZ_E_NS1_11comp_targetILNS1_3genE2ELNS1_11target_archE906ELNS1_3gpuE6ELNS1_3repE0EEENS1_47radix_sort_onesweep_sort_config_static_selectorELNS0_4arch9wavefront6targetE0EEEvSG_,"axG",@progbits,_ZN7rocprim17ROCPRIM_400000_NS6detail17trampoline_kernelINS0_14default_configENS1_35radix_sort_onesweep_config_selectorIdNS0_10empty_typeEEEZZNS1_29radix_sort_onesweep_iterationIS3_Lb1EPKdPdPS5_SB_mNS0_19identity_decomposerENS1_16block_id_wrapperIjLb0EEEEE10hipError_tT1_PNSt15iterator_traitsISG_E10value_typeET2_T3_PNSH_ISM_E10value_typeET4_T5_PSR_SS_PNS1_23onesweep_lookback_stateEbbT6_jjT7_P12ihipStream_tbENKUlT_T0_SG_SL_E_clISA_SA_SB_SB_EEDaSZ_S10_SG_SL_EUlSZ_E_NS1_11comp_targetILNS1_3genE2ELNS1_11target_archE906ELNS1_3gpuE6ELNS1_3repE0EEENS1_47radix_sort_onesweep_sort_config_static_selectorELNS0_4arch9wavefront6targetE0EEEvSG_,comdat
	.protected	_ZN7rocprim17ROCPRIM_400000_NS6detail17trampoline_kernelINS0_14default_configENS1_35radix_sort_onesweep_config_selectorIdNS0_10empty_typeEEEZZNS1_29radix_sort_onesweep_iterationIS3_Lb1EPKdPdPS5_SB_mNS0_19identity_decomposerENS1_16block_id_wrapperIjLb0EEEEE10hipError_tT1_PNSt15iterator_traitsISG_E10value_typeET2_T3_PNSH_ISM_E10value_typeET4_T5_PSR_SS_PNS1_23onesweep_lookback_stateEbbT6_jjT7_P12ihipStream_tbENKUlT_T0_SG_SL_E_clISA_SA_SB_SB_EEDaSZ_S10_SG_SL_EUlSZ_E_NS1_11comp_targetILNS1_3genE2ELNS1_11target_archE906ELNS1_3gpuE6ELNS1_3repE0EEENS1_47radix_sort_onesweep_sort_config_static_selectorELNS0_4arch9wavefront6targetE0EEEvSG_ ; -- Begin function _ZN7rocprim17ROCPRIM_400000_NS6detail17trampoline_kernelINS0_14default_configENS1_35radix_sort_onesweep_config_selectorIdNS0_10empty_typeEEEZZNS1_29radix_sort_onesweep_iterationIS3_Lb1EPKdPdPS5_SB_mNS0_19identity_decomposerENS1_16block_id_wrapperIjLb0EEEEE10hipError_tT1_PNSt15iterator_traitsISG_E10value_typeET2_T3_PNSH_ISM_E10value_typeET4_T5_PSR_SS_PNS1_23onesweep_lookback_stateEbbT6_jjT7_P12ihipStream_tbENKUlT_T0_SG_SL_E_clISA_SA_SB_SB_EEDaSZ_S10_SG_SL_EUlSZ_E_NS1_11comp_targetILNS1_3genE2ELNS1_11target_archE906ELNS1_3gpuE6ELNS1_3repE0EEENS1_47radix_sort_onesweep_sort_config_static_selectorELNS0_4arch9wavefront6targetE0EEEvSG_
	.globl	_ZN7rocprim17ROCPRIM_400000_NS6detail17trampoline_kernelINS0_14default_configENS1_35radix_sort_onesweep_config_selectorIdNS0_10empty_typeEEEZZNS1_29radix_sort_onesweep_iterationIS3_Lb1EPKdPdPS5_SB_mNS0_19identity_decomposerENS1_16block_id_wrapperIjLb0EEEEE10hipError_tT1_PNSt15iterator_traitsISG_E10value_typeET2_T3_PNSH_ISM_E10value_typeET4_T5_PSR_SS_PNS1_23onesweep_lookback_stateEbbT6_jjT7_P12ihipStream_tbENKUlT_T0_SG_SL_E_clISA_SA_SB_SB_EEDaSZ_S10_SG_SL_EUlSZ_E_NS1_11comp_targetILNS1_3genE2ELNS1_11target_archE906ELNS1_3gpuE6ELNS1_3repE0EEENS1_47radix_sort_onesweep_sort_config_static_selectorELNS0_4arch9wavefront6targetE0EEEvSG_
	.p2align	8
	.type	_ZN7rocprim17ROCPRIM_400000_NS6detail17trampoline_kernelINS0_14default_configENS1_35radix_sort_onesweep_config_selectorIdNS0_10empty_typeEEEZZNS1_29radix_sort_onesweep_iterationIS3_Lb1EPKdPdPS5_SB_mNS0_19identity_decomposerENS1_16block_id_wrapperIjLb0EEEEE10hipError_tT1_PNSt15iterator_traitsISG_E10value_typeET2_T3_PNSH_ISM_E10value_typeET4_T5_PSR_SS_PNS1_23onesweep_lookback_stateEbbT6_jjT7_P12ihipStream_tbENKUlT_T0_SG_SL_E_clISA_SA_SB_SB_EEDaSZ_S10_SG_SL_EUlSZ_E_NS1_11comp_targetILNS1_3genE2ELNS1_11target_archE906ELNS1_3gpuE6ELNS1_3repE0EEENS1_47radix_sort_onesweep_sort_config_static_selectorELNS0_4arch9wavefront6targetE0EEEvSG_,@function
_ZN7rocprim17ROCPRIM_400000_NS6detail17trampoline_kernelINS0_14default_configENS1_35radix_sort_onesweep_config_selectorIdNS0_10empty_typeEEEZZNS1_29radix_sort_onesweep_iterationIS3_Lb1EPKdPdPS5_SB_mNS0_19identity_decomposerENS1_16block_id_wrapperIjLb0EEEEE10hipError_tT1_PNSt15iterator_traitsISG_E10value_typeET2_T3_PNSH_ISM_E10value_typeET4_T5_PSR_SS_PNS1_23onesweep_lookback_stateEbbT6_jjT7_P12ihipStream_tbENKUlT_T0_SG_SL_E_clISA_SA_SB_SB_EEDaSZ_S10_SG_SL_EUlSZ_E_NS1_11comp_targetILNS1_3genE2ELNS1_11target_archE906ELNS1_3gpuE6ELNS1_3repE0EEENS1_47radix_sort_onesweep_sort_config_static_selectorELNS0_4arch9wavefront6targetE0EEEvSG_: ; @_ZN7rocprim17ROCPRIM_400000_NS6detail17trampoline_kernelINS0_14default_configENS1_35radix_sort_onesweep_config_selectorIdNS0_10empty_typeEEEZZNS1_29radix_sort_onesweep_iterationIS3_Lb1EPKdPdPS5_SB_mNS0_19identity_decomposerENS1_16block_id_wrapperIjLb0EEEEE10hipError_tT1_PNSt15iterator_traitsISG_E10value_typeET2_T3_PNSH_ISM_E10value_typeET4_T5_PSR_SS_PNS1_23onesweep_lookback_stateEbbT6_jjT7_P12ihipStream_tbENKUlT_T0_SG_SL_E_clISA_SA_SB_SB_EEDaSZ_S10_SG_SL_EUlSZ_E_NS1_11comp_targetILNS1_3genE2ELNS1_11target_archE906ELNS1_3gpuE6ELNS1_3repE0EEENS1_47radix_sort_onesweep_sort_config_static_selectorELNS0_4arch9wavefront6targetE0EEEvSG_
; %bb.0:
	.section	.rodata,"a",@progbits
	.p2align	6, 0x0
	.amdhsa_kernel _ZN7rocprim17ROCPRIM_400000_NS6detail17trampoline_kernelINS0_14default_configENS1_35radix_sort_onesweep_config_selectorIdNS0_10empty_typeEEEZZNS1_29radix_sort_onesweep_iterationIS3_Lb1EPKdPdPS5_SB_mNS0_19identity_decomposerENS1_16block_id_wrapperIjLb0EEEEE10hipError_tT1_PNSt15iterator_traitsISG_E10value_typeET2_T3_PNSH_ISM_E10value_typeET4_T5_PSR_SS_PNS1_23onesweep_lookback_stateEbbT6_jjT7_P12ihipStream_tbENKUlT_T0_SG_SL_E_clISA_SA_SB_SB_EEDaSZ_S10_SG_SL_EUlSZ_E_NS1_11comp_targetILNS1_3genE2ELNS1_11target_archE906ELNS1_3gpuE6ELNS1_3repE0EEENS1_47radix_sort_onesweep_sort_config_static_selectorELNS0_4arch9wavefront6targetE0EEEvSG_
		.amdhsa_group_segment_fixed_size 0
		.amdhsa_private_segment_fixed_size 0
		.amdhsa_kernarg_size 88
		.amdhsa_user_sgpr_count 2
		.amdhsa_user_sgpr_dispatch_ptr 0
		.amdhsa_user_sgpr_queue_ptr 0
		.amdhsa_user_sgpr_kernarg_segment_ptr 1
		.amdhsa_user_sgpr_dispatch_id 0
		.amdhsa_user_sgpr_kernarg_preload_length 0
		.amdhsa_user_sgpr_kernarg_preload_offset 0
		.amdhsa_user_sgpr_private_segment_size 0
		.amdhsa_wavefront_size32 1
		.amdhsa_uses_dynamic_stack 0
		.amdhsa_enable_private_segment 0
		.amdhsa_system_sgpr_workgroup_id_x 1
		.amdhsa_system_sgpr_workgroup_id_y 0
		.amdhsa_system_sgpr_workgroup_id_z 0
		.amdhsa_system_sgpr_workgroup_info 0
		.amdhsa_system_vgpr_workitem_id 0
		.amdhsa_next_free_vgpr 1
		.amdhsa_next_free_sgpr 1
		.amdhsa_named_barrier_count 0
		.amdhsa_reserve_vcc 0
		.amdhsa_float_round_mode_32 0
		.amdhsa_float_round_mode_16_64 0
		.amdhsa_float_denorm_mode_32 3
		.amdhsa_float_denorm_mode_16_64 3
		.amdhsa_fp16_overflow 0
		.amdhsa_memory_ordered 1
		.amdhsa_forward_progress 1
		.amdhsa_inst_pref_size 0
		.amdhsa_round_robin_scheduling 0
		.amdhsa_exception_fp_ieee_invalid_op 0
		.amdhsa_exception_fp_denorm_src 0
		.amdhsa_exception_fp_ieee_div_zero 0
		.amdhsa_exception_fp_ieee_overflow 0
		.amdhsa_exception_fp_ieee_underflow 0
		.amdhsa_exception_fp_ieee_inexact 0
		.amdhsa_exception_int_div_zero 0
	.end_amdhsa_kernel
	.section	.text._ZN7rocprim17ROCPRIM_400000_NS6detail17trampoline_kernelINS0_14default_configENS1_35radix_sort_onesweep_config_selectorIdNS0_10empty_typeEEEZZNS1_29radix_sort_onesweep_iterationIS3_Lb1EPKdPdPS5_SB_mNS0_19identity_decomposerENS1_16block_id_wrapperIjLb0EEEEE10hipError_tT1_PNSt15iterator_traitsISG_E10value_typeET2_T3_PNSH_ISM_E10value_typeET4_T5_PSR_SS_PNS1_23onesweep_lookback_stateEbbT6_jjT7_P12ihipStream_tbENKUlT_T0_SG_SL_E_clISA_SA_SB_SB_EEDaSZ_S10_SG_SL_EUlSZ_E_NS1_11comp_targetILNS1_3genE2ELNS1_11target_archE906ELNS1_3gpuE6ELNS1_3repE0EEENS1_47radix_sort_onesweep_sort_config_static_selectorELNS0_4arch9wavefront6targetE0EEEvSG_,"axG",@progbits,_ZN7rocprim17ROCPRIM_400000_NS6detail17trampoline_kernelINS0_14default_configENS1_35radix_sort_onesweep_config_selectorIdNS0_10empty_typeEEEZZNS1_29radix_sort_onesweep_iterationIS3_Lb1EPKdPdPS5_SB_mNS0_19identity_decomposerENS1_16block_id_wrapperIjLb0EEEEE10hipError_tT1_PNSt15iterator_traitsISG_E10value_typeET2_T3_PNSH_ISM_E10value_typeET4_T5_PSR_SS_PNS1_23onesweep_lookback_stateEbbT6_jjT7_P12ihipStream_tbENKUlT_T0_SG_SL_E_clISA_SA_SB_SB_EEDaSZ_S10_SG_SL_EUlSZ_E_NS1_11comp_targetILNS1_3genE2ELNS1_11target_archE906ELNS1_3gpuE6ELNS1_3repE0EEENS1_47radix_sort_onesweep_sort_config_static_selectorELNS0_4arch9wavefront6targetE0EEEvSG_,comdat
.Lfunc_end1548:
	.size	_ZN7rocprim17ROCPRIM_400000_NS6detail17trampoline_kernelINS0_14default_configENS1_35radix_sort_onesweep_config_selectorIdNS0_10empty_typeEEEZZNS1_29radix_sort_onesweep_iterationIS3_Lb1EPKdPdPS5_SB_mNS0_19identity_decomposerENS1_16block_id_wrapperIjLb0EEEEE10hipError_tT1_PNSt15iterator_traitsISG_E10value_typeET2_T3_PNSH_ISM_E10value_typeET4_T5_PSR_SS_PNS1_23onesweep_lookback_stateEbbT6_jjT7_P12ihipStream_tbENKUlT_T0_SG_SL_E_clISA_SA_SB_SB_EEDaSZ_S10_SG_SL_EUlSZ_E_NS1_11comp_targetILNS1_3genE2ELNS1_11target_archE906ELNS1_3gpuE6ELNS1_3repE0EEENS1_47radix_sort_onesweep_sort_config_static_selectorELNS0_4arch9wavefront6targetE0EEEvSG_, .Lfunc_end1548-_ZN7rocprim17ROCPRIM_400000_NS6detail17trampoline_kernelINS0_14default_configENS1_35radix_sort_onesweep_config_selectorIdNS0_10empty_typeEEEZZNS1_29radix_sort_onesweep_iterationIS3_Lb1EPKdPdPS5_SB_mNS0_19identity_decomposerENS1_16block_id_wrapperIjLb0EEEEE10hipError_tT1_PNSt15iterator_traitsISG_E10value_typeET2_T3_PNSH_ISM_E10value_typeET4_T5_PSR_SS_PNS1_23onesweep_lookback_stateEbbT6_jjT7_P12ihipStream_tbENKUlT_T0_SG_SL_E_clISA_SA_SB_SB_EEDaSZ_S10_SG_SL_EUlSZ_E_NS1_11comp_targetILNS1_3genE2ELNS1_11target_archE906ELNS1_3gpuE6ELNS1_3repE0EEENS1_47radix_sort_onesweep_sort_config_static_selectorELNS0_4arch9wavefront6targetE0EEEvSG_
                                        ; -- End function
	.set _ZN7rocprim17ROCPRIM_400000_NS6detail17trampoline_kernelINS0_14default_configENS1_35radix_sort_onesweep_config_selectorIdNS0_10empty_typeEEEZZNS1_29radix_sort_onesweep_iterationIS3_Lb1EPKdPdPS5_SB_mNS0_19identity_decomposerENS1_16block_id_wrapperIjLb0EEEEE10hipError_tT1_PNSt15iterator_traitsISG_E10value_typeET2_T3_PNSH_ISM_E10value_typeET4_T5_PSR_SS_PNS1_23onesweep_lookback_stateEbbT6_jjT7_P12ihipStream_tbENKUlT_T0_SG_SL_E_clISA_SA_SB_SB_EEDaSZ_S10_SG_SL_EUlSZ_E_NS1_11comp_targetILNS1_3genE2ELNS1_11target_archE906ELNS1_3gpuE6ELNS1_3repE0EEENS1_47radix_sort_onesweep_sort_config_static_selectorELNS0_4arch9wavefront6targetE0EEEvSG_.num_vgpr, 0
	.set _ZN7rocprim17ROCPRIM_400000_NS6detail17trampoline_kernelINS0_14default_configENS1_35radix_sort_onesweep_config_selectorIdNS0_10empty_typeEEEZZNS1_29radix_sort_onesweep_iterationIS3_Lb1EPKdPdPS5_SB_mNS0_19identity_decomposerENS1_16block_id_wrapperIjLb0EEEEE10hipError_tT1_PNSt15iterator_traitsISG_E10value_typeET2_T3_PNSH_ISM_E10value_typeET4_T5_PSR_SS_PNS1_23onesweep_lookback_stateEbbT6_jjT7_P12ihipStream_tbENKUlT_T0_SG_SL_E_clISA_SA_SB_SB_EEDaSZ_S10_SG_SL_EUlSZ_E_NS1_11comp_targetILNS1_3genE2ELNS1_11target_archE906ELNS1_3gpuE6ELNS1_3repE0EEENS1_47radix_sort_onesweep_sort_config_static_selectorELNS0_4arch9wavefront6targetE0EEEvSG_.num_agpr, 0
	.set _ZN7rocprim17ROCPRIM_400000_NS6detail17trampoline_kernelINS0_14default_configENS1_35radix_sort_onesweep_config_selectorIdNS0_10empty_typeEEEZZNS1_29radix_sort_onesweep_iterationIS3_Lb1EPKdPdPS5_SB_mNS0_19identity_decomposerENS1_16block_id_wrapperIjLb0EEEEE10hipError_tT1_PNSt15iterator_traitsISG_E10value_typeET2_T3_PNSH_ISM_E10value_typeET4_T5_PSR_SS_PNS1_23onesweep_lookback_stateEbbT6_jjT7_P12ihipStream_tbENKUlT_T0_SG_SL_E_clISA_SA_SB_SB_EEDaSZ_S10_SG_SL_EUlSZ_E_NS1_11comp_targetILNS1_3genE2ELNS1_11target_archE906ELNS1_3gpuE6ELNS1_3repE0EEENS1_47radix_sort_onesweep_sort_config_static_selectorELNS0_4arch9wavefront6targetE0EEEvSG_.numbered_sgpr, 0
	.set _ZN7rocprim17ROCPRIM_400000_NS6detail17trampoline_kernelINS0_14default_configENS1_35radix_sort_onesweep_config_selectorIdNS0_10empty_typeEEEZZNS1_29radix_sort_onesweep_iterationIS3_Lb1EPKdPdPS5_SB_mNS0_19identity_decomposerENS1_16block_id_wrapperIjLb0EEEEE10hipError_tT1_PNSt15iterator_traitsISG_E10value_typeET2_T3_PNSH_ISM_E10value_typeET4_T5_PSR_SS_PNS1_23onesweep_lookback_stateEbbT6_jjT7_P12ihipStream_tbENKUlT_T0_SG_SL_E_clISA_SA_SB_SB_EEDaSZ_S10_SG_SL_EUlSZ_E_NS1_11comp_targetILNS1_3genE2ELNS1_11target_archE906ELNS1_3gpuE6ELNS1_3repE0EEENS1_47radix_sort_onesweep_sort_config_static_selectorELNS0_4arch9wavefront6targetE0EEEvSG_.num_named_barrier, 0
	.set _ZN7rocprim17ROCPRIM_400000_NS6detail17trampoline_kernelINS0_14default_configENS1_35radix_sort_onesweep_config_selectorIdNS0_10empty_typeEEEZZNS1_29radix_sort_onesweep_iterationIS3_Lb1EPKdPdPS5_SB_mNS0_19identity_decomposerENS1_16block_id_wrapperIjLb0EEEEE10hipError_tT1_PNSt15iterator_traitsISG_E10value_typeET2_T3_PNSH_ISM_E10value_typeET4_T5_PSR_SS_PNS1_23onesweep_lookback_stateEbbT6_jjT7_P12ihipStream_tbENKUlT_T0_SG_SL_E_clISA_SA_SB_SB_EEDaSZ_S10_SG_SL_EUlSZ_E_NS1_11comp_targetILNS1_3genE2ELNS1_11target_archE906ELNS1_3gpuE6ELNS1_3repE0EEENS1_47radix_sort_onesweep_sort_config_static_selectorELNS0_4arch9wavefront6targetE0EEEvSG_.private_seg_size, 0
	.set _ZN7rocprim17ROCPRIM_400000_NS6detail17trampoline_kernelINS0_14default_configENS1_35radix_sort_onesweep_config_selectorIdNS0_10empty_typeEEEZZNS1_29radix_sort_onesweep_iterationIS3_Lb1EPKdPdPS5_SB_mNS0_19identity_decomposerENS1_16block_id_wrapperIjLb0EEEEE10hipError_tT1_PNSt15iterator_traitsISG_E10value_typeET2_T3_PNSH_ISM_E10value_typeET4_T5_PSR_SS_PNS1_23onesweep_lookback_stateEbbT6_jjT7_P12ihipStream_tbENKUlT_T0_SG_SL_E_clISA_SA_SB_SB_EEDaSZ_S10_SG_SL_EUlSZ_E_NS1_11comp_targetILNS1_3genE2ELNS1_11target_archE906ELNS1_3gpuE6ELNS1_3repE0EEENS1_47radix_sort_onesweep_sort_config_static_selectorELNS0_4arch9wavefront6targetE0EEEvSG_.uses_vcc, 0
	.set _ZN7rocprim17ROCPRIM_400000_NS6detail17trampoline_kernelINS0_14default_configENS1_35radix_sort_onesweep_config_selectorIdNS0_10empty_typeEEEZZNS1_29radix_sort_onesweep_iterationIS3_Lb1EPKdPdPS5_SB_mNS0_19identity_decomposerENS1_16block_id_wrapperIjLb0EEEEE10hipError_tT1_PNSt15iterator_traitsISG_E10value_typeET2_T3_PNSH_ISM_E10value_typeET4_T5_PSR_SS_PNS1_23onesweep_lookback_stateEbbT6_jjT7_P12ihipStream_tbENKUlT_T0_SG_SL_E_clISA_SA_SB_SB_EEDaSZ_S10_SG_SL_EUlSZ_E_NS1_11comp_targetILNS1_3genE2ELNS1_11target_archE906ELNS1_3gpuE6ELNS1_3repE0EEENS1_47radix_sort_onesweep_sort_config_static_selectorELNS0_4arch9wavefront6targetE0EEEvSG_.uses_flat_scratch, 0
	.set _ZN7rocprim17ROCPRIM_400000_NS6detail17trampoline_kernelINS0_14default_configENS1_35radix_sort_onesweep_config_selectorIdNS0_10empty_typeEEEZZNS1_29radix_sort_onesweep_iterationIS3_Lb1EPKdPdPS5_SB_mNS0_19identity_decomposerENS1_16block_id_wrapperIjLb0EEEEE10hipError_tT1_PNSt15iterator_traitsISG_E10value_typeET2_T3_PNSH_ISM_E10value_typeET4_T5_PSR_SS_PNS1_23onesweep_lookback_stateEbbT6_jjT7_P12ihipStream_tbENKUlT_T0_SG_SL_E_clISA_SA_SB_SB_EEDaSZ_S10_SG_SL_EUlSZ_E_NS1_11comp_targetILNS1_3genE2ELNS1_11target_archE906ELNS1_3gpuE6ELNS1_3repE0EEENS1_47radix_sort_onesweep_sort_config_static_selectorELNS0_4arch9wavefront6targetE0EEEvSG_.has_dyn_sized_stack, 0
	.set _ZN7rocprim17ROCPRIM_400000_NS6detail17trampoline_kernelINS0_14default_configENS1_35radix_sort_onesweep_config_selectorIdNS0_10empty_typeEEEZZNS1_29radix_sort_onesweep_iterationIS3_Lb1EPKdPdPS5_SB_mNS0_19identity_decomposerENS1_16block_id_wrapperIjLb0EEEEE10hipError_tT1_PNSt15iterator_traitsISG_E10value_typeET2_T3_PNSH_ISM_E10value_typeET4_T5_PSR_SS_PNS1_23onesweep_lookback_stateEbbT6_jjT7_P12ihipStream_tbENKUlT_T0_SG_SL_E_clISA_SA_SB_SB_EEDaSZ_S10_SG_SL_EUlSZ_E_NS1_11comp_targetILNS1_3genE2ELNS1_11target_archE906ELNS1_3gpuE6ELNS1_3repE0EEENS1_47radix_sort_onesweep_sort_config_static_selectorELNS0_4arch9wavefront6targetE0EEEvSG_.has_recursion, 0
	.set _ZN7rocprim17ROCPRIM_400000_NS6detail17trampoline_kernelINS0_14default_configENS1_35radix_sort_onesweep_config_selectorIdNS0_10empty_typeEEEZZNS1_29radix_sort_onesweep_iterationIS3_Lb1EPKdPdPS5_SB_mNS0_19identity_decomposerENS1_16block_id_wrapperIjLb0EEEEE10hipError_tT1_PNSt15iterator_traitsISG_E10value_typeET2_T3_PNSH_ISM_E10value_typeET4_T5_PSR_SS_PNS1_23onesweep_lookback_stateEbbT6_jjT7_P12ihipStream_tbENKUlT_T0_SG_SL_E_clISA_SA_SB_SB_EEDaSZ_S10_SG_SL_EUlSZ_E_NS1_11comp_targetILNS1_3genE2ELNS1_11target_archE906ELNS1_3gpuE6ELNS1_3repE0EEENS1_47radix_sort_onesweep_sort_config_static_selectorELNS0_4arch9wavefront6targetE0EEEvSG_.has_indirect_call, 0
	.section	.AMDGPU.csdata,"",@progbits
; Kernel info:
; codeLenInByte = 0
; TotalNumSgprs: 0
; NumVgprs: 0
; ScratchSize: 0
; MemoryBound: 0
; FloatMode: 240
; IeeeMode: 1
; LDSByteSize: 0 bytes/workgroup (compile time only)
; SGPRBlocks: 0
; VGPRBlocks: 0
; NumSGPRsForWavesPerEU: 1
; NumVGPRsForWavesPerEU: 1
; NamedBarCnt: 0
; Occupancy: 16
; WaveLimiterHint : 0
; COMPUTE_PGM_RSRC2:SCRATCH_EN: 0
; COMPUTE_PGM_RSRC2:USER_SGPR: 2
; COMPUTE_PGM_RSRC2:TRAP_HANDLER: 0
; COMPUTE_PGM_RSRC2:TGID_X_EN: 1
; COMPUTE_PGM_RSRC2:TGID_Y_EN: 0
; COMPUTE_PGM_RSRC2:TGID_Z_EN: 0
; COMPUTE_PGM_RSRC2:TIDIG_COMP_CNT: 0
	.section	.text._ZN7rocprim17ROCPRIM_400000_NS6detail17trampoline_kernelINS0_14default_configENS1_35radix_sort_onesweep_config_selectorIdNS0_10empty_typeEEEZZNS1_29radix_sort_onesweep_iterationIS3_Lb1EPKdPdPS5_SB_mNS0_19identity_decomposerENS1_16block_id_wrapperIjLb0EEEEE10hipError_tT1_PNSt15iterator_traitsISG_E10value_typeET2_T3_PNSH_ISM_E10value_typeET4_T5_PSR_SS_PNS1_23onesweep_lookback_stateEbbT6_jjT7_P12ihipStream_tbENKUlT_T0_SG_SL_E_clISA_SA_SB_SB_EEDaSZ_S10_SG_SL_EUlSZ_E_NS1_11comp_targetILNS1_3genE4ELNS1_11target_archE910ELNS1_3gpuE8ELNS1_3repE0EEENS1_47radix_sort_onesweep_sort_config_static_selectorELNS0_4arch9wavefront6targetE0EEEvSG_,"axG",@progbits,_ZN7rocprim17ROCPRIM_400000_NS6detail17trampoline_kernelINS0_14default_configENS1_35radix_sort_onesweep_config_selectorIdNS0_10empty_typeEEEZZNS1_29radix_sort_onesweep_iterationIS3_Lb1EPKdPdPS5_SB_mNS0_19identity_decomposerENS1_16block_id_wrapperIjLb0EEEEE10hipError_tT1_PNSt15iterator_traitsISG_E10value_typeET2_T3_PNSH_ISM_E10value_typeET4_T5_PSR_SS_PNS1_23onesweep_lookback_stateEbbT6_jjT7_P12ihipStream_tbENKUlT_T0_SG_SL_E_clISA_SA_SB_SB_EEDaSZ_S10_SG_SL_EUlSZ_E_NS1_11comp_targetILNS1_3genE4ELNS1_11target_archE910ELNS1_3gpuE8ELNS1_3repE0EEENS1_47radix_sort_onesweep_sort_config_static_selectorELNS0_4arch9wavefront6targetE0EEEvSG_,comdat
	.protected	_ZN7rocprim17ROCPRIM_400000_NS6detail17trampoline_kernelINS0_14default_configENS1_35radix_sort_onesweep_config_selectorIdNS0_10empty_typeEEEZZNS1_29radix_sort_onesweep_iterationIS3_Lb1EPKdPdPS5_SB_mNS0_19identity_decomposerENS1_16block_id_wrapperIjLb0EEEEE10hipError_tT1_PNSt15iterator_traitsISG_E10value_typeET2_T3_PNSH_ISM_E10value_typeET4_T5_PSR_SS_PNS1_23onesweep_lookback_stateEbbT6_jjT7_P12ihipStream_tbENKUlT_T0_SG_SL_E_clISA_SA_SB_SB_EEDaSZ_S10_SG_SL_EUlSZ_E_NS1_11comp_targetILNS1_3genE4ELNS1_11target_archE910ELNS1_3gpuE8ELNS1_3repE0EEENS1_47radix_sort_onesweep_sort_config_static_selectorELNS0_4arch9wavefront6targetE0EEEvSG_ ; -- Begin function _ZN7rocprim17ROCPRIM_400000_NS6detail17trampoline_kernelINS0_14default_configENS1_35radix_sort_onesweep_config_selectorIdNS0_10empty_typeEEEZZNS1_29radix_sort_onesweep_iterationIS3_Lb1EPKdPdPS5_SB_mNS0_19identity_decomposerENS1_16block_id_wrapperIjLb0EEEEE10hipError_tT1_PNSt15iterator_traitsISG_E10value_typeET2_T3_PNSH_ISM_E10value_typeET4_T5_PSR_SS_PNS1_23onesweep_lookback_stateEbbT6_jjT7_P12ihipStream_tbENKUlT_T0_SG_SL_E_clISA_SA_SB_SB_EEDaSZ_S10_SG_SL_EUlSZ_E_NS1_11comp_targetILNS1_3genE4ELNS1_11target_archE910ELNS1_3gpuE8ELNS1_3repE0EEENS1_47radix_sort_onesweep_sort_config_static_selectorELNS0_4arch9wavefront6targetE0EEEvSG_
	.globl	_ZN7rocprim17ROCPRIM_400000_NS6detail17trampoline_kernelINS0_14default_configENS1_35radix_sort_onesweep_config_selectorIdNS0_10empty_typeEEEZZNS1_29radix_sort_onesweep_iterationIS3_Lb1EPKdPdPS5_SB_mNS0_19identity_decomposerENS1_16block_id_wrapperIjLb0EEEEE10hipError_tT1_PNSt15iterator_traitsISG_E10value_typeET2_T3_PNSH_ISM_E10value_typeET4_T5_PSR_SS_PNS1_23onesweep_lookback_stateEbbT6_jjT7_P12ihipStream_tbENKUlT_T0_SG_SL_E_clISA_SA_SB_SB_EEDaSZ_S10_SG_SL_EUlSZ_E_NS1_11comp_targetILNS1_3genE4ELNS1_11target_archE910ELNS1_3gpuE8ELNS1_3repE0EEENS1_47radix_sort_onesweep_sort_config_static_selectorELNS0_4arch9wavefront6targetE0EEEvSG_
	.p2align	8
	.type	_ZN7rocprim17ROCPRIM_400000_NS6detail17trampoline_kernelINS0_14default_configENS1_35radix_sort_onesweep_config_selectorIdNS0_10empty_typeEEEZZNS1_29radix_sort_onesweep_iterationIS3_Lb1EPKdPdPS5_SB_mNS0_19identity_decomposerENS1_16block_id_wrapperIjLb0EEEEE10hipError_tT1_PNSt15iterator_traitsISG_E10value_typeET2_T3_PNSH_ISM_E10value_typeET4_T5_PSR_SS_PNS1_23onesweep_lookback_stateEbbT6_jjT7_P12ihipStream_tbENKUlT_T0_SG_SL_E_clISA_SA_SB_SB_EEDaSZ_S10_SG_SL_EUlSZ_E_NS1_11comp_targetILNS1_3genE4ELNS1_11target_archE910ELNS1_3gpuE8ELNS1_3repE0EEENS1_47radix_sort_onesweep_sort_config_static_selectorELNS0_4arch9wavefront6targetE0EEEvSG_,@function
_ZN7rocprim17ROCPRIM_400000_NS6detail17trampoline_kernelINS0_14default_configENS1_35radix_sort_onesweep_config_selectorIdNS0_10empty_typeEEEZZNS1_29radix_sort_onesweep_iterationIS3_Lb1EPKdPdPS5_SB_mNS0_19identity_decomposerENS1_16block_id_wrapperIjLb0EEEEE10hipError_tT1_PNSt15iterator_traitsISG_E10value_typeET2_T3_PNSH_ISM_E10value_typeET4_T5_PSR_SS_PNS1_23onesweep_lookback_stateEbbT6_jjT7_P12ihipStream_tbENKUlT_T0_SG_SL_E_clISA_SA_SB_SB_EEDaSZ_S10_SG_SL_EUlSZ_E_NS1_11comp_targetILNS1_3genE4ELNS1_11target_archE910ELNS1_3gpuE8ELNS1_3repE0EEENS1_47radix_sort_onesweep_sort_config_static_selectorELNS0_4arch9wavefront6targetE0EEEvSG_: ; @_ZN7rocprim17ROCPRIM_400000_NS6detail17trampoline_kernelINS0_14default_configENS1_35radix_sort_onesweep_config_selectorIdNS0_10empty_typeEEEZZNS1_29radix_sort_onesweep_iterationIS3_Lb1EPKdPdPS5_SB_mNS0_19identity_decomposerENS1_16block_id_wrapperIjLb0EEEEE10hipError_tT1_PNSt15iterator_traitsISG_E10value_typeET2_T3_PNSH_ISM_E10value_typeET4_T5_PSR_SS_PNS1_23onesweep_lookback_stateEbbT6_jjT7_P12ihipStream_tbENKUlT_T0_SG_SL_E_clISA_SA_SB_SB_EEDaSZ_S10_SG_SL_EUlSZ_E_NS1_11comp_targetILNS1_3genE4ELNS1_11target_archE910ELNS1_3gpuE8ELNS1_3repE0EEENS1_47radix_sort_onesweep_sort_config_static_selectorELNS0_4arch9wavefront6targetE0EEEvSG_
; %bb.0:
	.section	.rodata,"a",@progbits
	.p2align	6, 0x0
	.amdhsa_kernel _ZN7rocprim17ROCPRIM_400000_NS6detail17trampoline_kernelINS0_14default_configENS1_35radix_sort_onesweep_config_selectorIdNS0_10empty_typeEEEZZNS1_29radix_sort_onesweep_iterationIS3_Lb1EPKdPdPS5_SB_mNS0_19identity_decomposerENS1_16block_id_wrapperIjLb0EEEEE10hipError_tT1_PNSt15iterator_traitsISG_E10value_typeET2_T3_PNSH_ISM_E10value_typeET4_T5_PSR_SS_PNS1_23onesweep_lookback_stateEbbT6_jjT7_P12ihipStream_tbENKUlT_T0_SG_SL_E_clISA_SA_SB_SB_EEDaSZ_S10_SG_SL_EUlSZ_E_NS1_11comp_targetILNS1_3genE4ELNS1_11target_archE910ELNS1_3gpuE8ELNS1_3repE0EEENS1_47radix_sort_onesweep_sort_config_static_selectorELNS0_4arch9wavefront6targetE0EEEvSG_
		.amdhsa_group_segment_fixed_size 0
		.amdhsa_private_segment_fixed_size 0
		.amdhsa_kernarg_size 88
		.amdhsa_user_sgpr_count 2
		.amdhsa_user_sgpr_dispatch_ptr 0
		.amdhsa_user_sgpr_queue_ptr 0
		.amdhsa_user_sgpr_kernarg_segment_ptr 1
		.amdhsa_user_sgpr_dispatch_id 0
		.amdhsa_user_sgpr_kernarg_preload_length 0
		.amdhsa_user_sgpr_kernarg_preload_offset 0
		.amdhsa_user_sgpr_private_segment_size 0
		.amdhsa_wavefront_size32 1
		.amdhsa_uses_dynamic_stack 0
		.amdhsa_enable_private_segment 0
		.amdhsa_system_sgpr_workgroup_id_x 1
		.amdhsa_system_sgpr_workgroup_id_y 0
		.amdhsa_system_sgpr_workgroup_id_z 0
		.amdhsa_system_sgpr_workgroup_info 0
		.amdhsa_system_vgpr_workitem_id 0
		.amdhsa_next_free_vgpr 1
		.amdhsa_next_free_sgpr 1
		.amdhsa_named_barrier_count 0
		.amdhsa_reserve_vcc 0
		.amdhsa_float_round_mode_32 0
		.amdhsa_float_round_mode_16_64 0
		.amdhsa_float_denorm_mode_32 3
		.amdhsa_float_denorm_mode_16_64 3
		.amdhsa_fp16_overflow 0
		.amdhsa_memory_ordered 1
		.amdhsa_forward_progress 1
		.amdhsa_inst_pref_size 0
		.amdhsa_round_robin_scheduling 0
		.amdhsa_exception_fp_ieee_invalid_op 0
		.amdhsa_exception_fp_denorm_src 0
		.amdhsa_exception_fp_ieee_div_zero 0
		.amdhsa_exception_fp_ieee_overflow 0
		.amdhsa_exception_fp_ieee_underflow 0
		.amdhsa_exception_fp_ieee_inexact 0
		.amdhsa_exception_int_div_zero 0
	.end_amdhsa_kernel
	.section	.text._ZN7rocprim17ROCPRIM_400000_NS6detail17trampoline_kernelINS0_14default_configENS1_35radix_sort_onesweep_config_selectorIdNS0_10empty_typeEEEZZNS1_29radix_sort_onesweep_iterationIS3_Lb1EPKdPdPS5_SB_mNS0_19identity_decomposerENS1_16block_id_wrapperIjLb0EEEEE10hipError_tT1_PNSt15iterator_traitsISG_E10value_typeET2_T3_PNSH_ISM_E10value_typeET4_T5_PSR_SS_PNS1_23onesweep_lookback_stateEbbT6_jjT7_P12ihipStream_tbENKUlT_T0_SG_SL_E_clISA_SA_SB_SB_EEDaSZ_S10_SG_SL_EUlSZ_E_NS1_11comp_targetILNS1_3genE4ELNS1_11target_archE910ELNS1_3gpuE8ELNS1_3repE0EEENS1_47radix_sort_onesweep_sort_config_static_selectorELNS0_4arch9wavefront6targetE0EEEvSG_,"axG",@progbits,_ZN7rocprim17ROCPRIM_400000_NS6detail17trampoline_kernelINS0_14default_configENS1_35radix_sort_onesweep_config_selectorIdNS0_10empty_typeEEEZZNS1_29radix_sort_onesweep_iterationIS3_Lb1EPKdPdPS5_SB_mNS0_19identity_decomposerENS1_16block_id_wrapperIjLb0EEEEE10hipError_tT1_PNSt15iterator_traitsISG_E10value_typeET2_T3_PNSH_ISM_E10value_typeET4_T5_PSR_SS_PNS1_23onesweep_lookback_stateEbbT6_jjT7_P12ihipStream_tbENKUlT_T0_SG_SL_E_clISA_SA_SB_SB_EEDaSZ_S10_SG_SL_EUlSZ_E_NS1_11comp_targetILNS1_3genE4ELNS1_11target_archE910ELNS1_3gpuE8ELNS1_3repE0EEENS1_47radix_sort_onesweep_sort_config_static_selectorELNS0_4arch9wavefront6targetE0EEEvSG_,comdat
.Lfunc_end1549:
	.size	_ZN7rocprim17ROCPRIM_400000_NS6detail17trampoline_kernelINS0_14default_configENS1_35radix_sort_onesweep_config_selectorIdNS0_10empty_typeEEEZZNS1_29radix_sort_onesweep_iterationIS3_Lb1EPKdPdPS5_SB_mNS0_19identity_decomposerENS1_16block_id_wrapperIjLb0EEEEE10hipError_tT1_PNSt15iterator_traitsISG_E10value_typeET2_T3_PNSH_ISM_E10value_typeET4_T5_PSR_SS_PNS1_23onesweep_lookback_stateEbbT6_jjT7_P12ihipStream_tbENKUlT_T0_SG_SL_E_clISA_SA_SB_SB_EEDaSZ_S10_SG_SL_EUlSZ_E_NS1_11comp_targetILNS1_3genE4ELNS1_11target_archE910ELNS1_3gpuE8ELNS1_3repE0EEENS1_47radix_sort_onesweep_sort_config_static_selectorELNS0_4arch9wavefront6targetE0EEEvSG_, .Lfunc_end1549-_ZN7rocprim17ROCPRIM_400000_NS6detail17trampoline_kernelINS0_14default_configENS1_35radix_sort_onesweep_config_selectorIdNS0_10empty_typeEEEZZNS1_29radix_sort_onesweep_iterationIS3_Lb1EPKdPdPS5_SB_mNS0_19identity_decomposerENS1_16block_id_wrapperIjLb0EEEEE10hipError_tT1_PNSt15iterator_traitsISG_E10value_typeET2_T3_PNSH_ISM_E10value_typeET4_T5_PSR_SS_PNS1_23onesweep_lookback_stateEbbT6_jjT7_P12ihipStream_tbENKUlT_T0_SG_SL_E_clISA_SA_SB_SB_EEDaSZ_S10_SG_SL_EUlSZ_E_NS1_11comp_targetILNS1_3genE4ELNS1_11target_archE910ELNS1_3gpuE8ELNS1_3repE0EEENS1_47radix_sort_onesweep_sort_config_static_selectorELNS0_4arch9wavefront6targetE0EEEvSG_
                                        ; -- End function
	.set _ZN7rocprim17ROCPRIM_400000_NS6detail17trampoline_kernelINS0_14default_configENS1_35radix_sort_onesweep_config_selectorIdNS0_10empty_typeEEEZZNS1_29radix_sort_onesweep_iterationIS3_Lb1EPKdPdPS5_SB_mNS0_19identity_decomposerENS1_16block_id_wrapperIjLb0EEEEE10hipError_tT1_PNSt15iterator_traitsISG_E10value_typeET2_T3_PNSH_ISM_E10value_typeET4_T5_PSR_SS_PNS1_23onesweep_lookback_stateEbbT6_jjT7_P12ihipStream_tbENKUlT_T0_SG_SL_E_clISA_SA_SB_SB_EEDaSZ_S10_SG_SL_EUlSZ_E_NS1_11comp_targetILNS1_3genE4ELNS1_11target_archE910ELNS1_3gpuE8ELNS1_3repE0EEENS1_47radix_sort_onesweep_sort_config_static_selectorELNS0_4arch9wavefront6targetE0EEEvSG_.num_vgpr, 0
	.set _ZN7rocprim17ROCPRIM_400000_NS6detail17trampoline_kernelINS0_14default_configENS1_35radix_sort_onesweep_config_selectorIdNS0_10empty_typeEEEZZNS1_29radix_sort_onesweep_iterationIS3_Lb1EPKdPdPS5_SB_mNS0_19identity_decomposerENS1_16block_id_wrapperIjLb0EEEEE10hipError_tT1_PNSt15iterator_traitsISG_E10value_typeET2_T3_PNSH_ISM_E10value_typeET4_T5_PSR_SS_PNS1_23onesweep_lookback_stateEbbT6_jjT7_P12ihipStream_tbENKUlT_T0_SG_SL_E_clISA_SA_SB_SB_EEDaSZ_S10_SG_SL_EUlSZ_E_NS1_11comp_targetILNS1_3genE4ELNS1_11target_archE910ELNS1_3gpuE8ELNS1_3repE0EEENS1_47radix_sort_onesweep_sort_config_static_selectorELNS0_4arch9wavefront6targetE0EEEvSG_.num_agpr, 0
	.set _ZN7rocprim17ROCPRIM_400000_NS6detail17trampoline_kernelINS0_14default_configENS1_35radix_sort_onesweep_config_selectorIdNS0_10empty_typeEEEZZNS1_29radix_sort_onesweep_iterationIS3_Lb1EPKdPdPS5_SB_mNS0_19identity_decomposerENS1_16block_id_wrapperIjLb0EEEEE10hipError_tT1_PNSt15iterator_traitsISG_E10value_typeET2_T3_PNSH_ISM_E10value_typeET4_T5_PSR_SS_PNS1_23onesweep_lookback_stateEbbT6_jjT7_P12ihipStream_tbENKUlT_T0_SG_SL_E_clISA_SA_SB_SB_EEDaSZ_S10_SG_SL_EUlSZ_E_NS1_11comp_targetILNS1_3genE4ELNS1_11target_archE910ELNS1_3gpuE8ELNS1_3repE0EEENS1_47radix_sort_onesweep_sort_config_static_selectorELNS0_4arch9wavefront6targetE0EEEvSG_.numbered_sgpr, 0
	.set _ZN7rocprim17ROCPRIM_400000_NS6detail17trampoline_kernelINS0_14default_configENS1_35radix_sort_onesweep_config_selectorIdNS0_10empty_typeEEEZZNS1_29radix_sort_onesweep_iterationIS3_Lb1EPKdPdPS5_SB_mNS0_19identity_decomposerENS1_16block_id_wrapperIjLb0EEEEE10hipError_tT1_PNSt15iterator_traitsISG_E10value_typeET2_T3_PNSH_ISM_E10value_typeET4_T5_PSR_SS_PNS1_23onesweep_lookback_stateEbbT6_jjT7_P12ihipStream_tbENKUlT_T0_SG_SL_E_clISA_SA_SB_SB_EEDaSZ_S10_SG_SL_EUlSZ_E_NS1_11comp_targetILNS1_3genE4ELNS1_11target_archE910ELNS1_3gpuE8ELNS1_3repE0EEENS1_47radix_sort_onesweep_sort_config_static_selectorELNS0_4arch9wavefront6targetE0EEEvSG_.num_named_barrier, 0
	.set _ZN7rocprim17ROCPRIM_400000_NS6detail17trampoline_kernelINS0_14default_configENS1_35radix_sort_onesweep_config_selectorIdNS0_10empty_typeEEEZZNS1_29radix_sort_onesweep_iterationIS3_Lb1EPKdPdPS5_SB_mNS0_19identity_decomposerENS1_16block_id_wrapperIjLb0EEEEE10hipError_tT1_PNSt15iterator_traitsISG_E10value_typeET2_T3_PNSH_ISM_E10value_typeET4_T5_PSR_SS_PNS1_23onesweep_lookback_stateEbbT6_jjT7_P12ihipStream_tbENKUlT_T0_SG_SL_E_clISA_SA_SB_SB_EEDaSZ_S10_SG_SL_EUlSZ_E_NS1_11comp_targetILNS1_3genE4ELNS1_11target_archE910ELNS1_3gpuE8ELNS1_3repE0EEENS1_47radix_sort_onesweep_sort_config_static_selectorELNS0_4arch9wavefront6targetE0EEEvSG_.private_seg_size, 0
	.set _ZN7rocprim17ROCPRIM_400000_NS6detail17trampoline_kernelINS0_14default_configENS1_35radix_sort_onesweep_config_selectorIdNS0_10empty_typeEEEZZNS1_29radix_sort_onesweep_iterationIS3_Lb1EPKdPdPS5_SB_mNS0_19identity_decomposerENS1_16block_id_wrapperIjLb0EEEEE10hipError_tT1_PNSt15iterator_traitsISG_E10value_typeET2_T3_PNSH_ISM_E10value_typeET4_T5_PSR_SS_PNS1_23onesweep_lookback_stateEbbT6_jjT7_P12ihipStream_tbENKUlT_T0_SG_SL_E_clISA_SA_SB_SB_EEDaSZ_S10_SG_SL_EUlSZ_E_NS1_11comp_targetILNS1_3genE4ELNS1_11target_archE910ELNS1_3gpuE8ELNS1_3repE0EEENS1_47radix_sort_onesweep_sort_config_static_selectorELNS0_4arch9wavefront6targetE0EEEvSG_.uses_vcc, 0
	.set _ZN7rocprim17ROCPRIM_400000_NS6detail17trampoline_kernelINS0_14default_configENS1_35radix_sort_onesweep_config_selectorIdNS0_10empty_typeEEEZZNS1_29radix_sort_onesweep_iterationIS3_Lb1EPKdPdPS5_SB_mNS0_19identity_decomposerENS1_16block_id_wrapperIjLb0EEEEE10hipError_tT1_PNSt15iterator_traitsISG_E10value_typeET2_T3_PNSH_ISM_E10value_typeET4_T5_PSR_SS_PNS1_23onesweep_lookback_stateEbbT6_jjT7_P12ihipStream_tbENKUlT_T0_SG_SL_E_clISA_SA_SB_SB_EEDaSZ_S10_SG_SL_EUlSZ_E_NS1_11comp_targetILNS1_3genE4ELNS1_11target_archE910ELNS1_3gpuE8ELNS1_3repE0EEENS1_47radix_sort_onesweep_sort_config_static_selectorELNS0_4arch9wavefront6targetE0EEEvSG_.uses_flat_scratch, 0
	.set _ZN7rocprim17ROCPRIM_400000_NS6detail17trampoline_kernelINS0_14default_configENS1_35radix_sort_onesweep_config_selectorIdNS0_10empty_typeEEEZZNS1_29radix_sort_onesweep_iterationIS3_Lb1EPKdPdPS5_SB_mNS0_19identity_decomposerENS1_16block_id_wrapperIjLb0EEEEE10hipError_tT1_PNSt15iterator_traitsISG_E10value_typeET2_T3_PNSH_ISM_E10value_typeET4_T5_PSR_SS_PNS1_23onesweep_lookback_stateEbbT6_jjT7_P12ihipStream_tbENKUlT_T0_SG_SL_E_clISA_SA_SB_SB_EEDaSZ_S10_SG_SL_EUlSZ_E_NS1_11comp_targetILNS1_3genE4ELNS1_11target_archE910ELNS1_3gpuE8ELNS1_3repE0EEENS1_47radix_sort_onesweep_sort_config_static_selectorELNS0_4arch9wavefront6targetE0EEEvSG_.has_dyn_sized_stack, 0
	.set _ZN7rocprim17ROCPRIM_400000_NS6detail17trampoline_kernelINS0_14default_configENS1_35radix_sort_onesweep_config_selectorIdNS0_10empty_typeEEEZZNS1_29radix_sort_onesweep_iterationIS3_Lb1EPKdPdPS5_SB_mNS0_19identity_decomposerENS1_16block_id_wrapperIjLb0EEEEE10hipError_tT1_PNSt15iterator_traitsISG_E10value_typeET2_T3_PNSH_ISM_E10value_typeET4_T5_PSR_SS_PNS1_23onesweep_lookback_stateEbbT6_jjT7_P12ihipStream_tbENKUlT_T0_SG_SL_E_clISA_SA_SB_SB_EEDaSZ_S10_SG_SL_EUlSZ_E_NS1_11comp_targetILNS1_3genE4ELNS1_11target_archE910ELNS1_3gpuE8ELNS1_3repE0EEENS1_47radix_sort_onesweep_sort_config_static_selectorELNS0_4arch9wavefront6targetE0EEEvSG_.has_recursion, 0
	.set _ZN7rocprim17ROCPRIM_400000_NS6detail17trampoline_kernelINS0_14default_configENS1_35radix_sort_onesweep_config_selectorIdNS0_10empty_typeEEEZZNS1_29radix_sort_onesweep_iterationIS3_Lb1EPKdPdPS5_SB_mNS0_19identity_decomposerENS1_16block_id_wrapperIjLb0EEEEE10hipError_tT1_PNSt15iterator_traitsISG_E10value_typeET2_T3_PNSH_ISM_E10value_typeET4_T5_PSR_SS_PNS1_23onesweep_lookback_stateEbbT6_jjT7_P12ihipStream_tbENKUlT_T0_SG_SL_E_clISA_SA_SB_SB_EEDaSZ_S10_SG_SL_EUlSZ_E_NS1_11comp_targetILNS1_3genE4ELNS1_11target_archE910ELNS1_3gpuE8ELNS1_3repE0EEENS1_47radix_sort_onesweep_sort_config_static_selectorELNS0_4arch9wavefront6targetE0EEEvSG_.has_indirect_call, 0
	.section	.AMDGPU.csdata,"",@progbits
; Kernel info:
; codeLenInByte = 0
; TotalNumSgprs: 0
; NumVgprs: 0
; ScratchSize: 0
; MemoryBound: 0
; FloatMode: 240
; IeeeMode: 1
; LDSByteSize: 0 bytes/workgroup (compile time only)
; SGPRBlocks: 0
; VGPRBlocks: 0
; NumSGPRsForWavesPerEU: 1
; NumVGPRsForWavesPerEU: 1
; NamedBarCnt: 0
; Occupancy: 16
; WaveLimiterHint : 0
; COMPUTE_PGM_RSRC2:SCRATCH_EN: 0
; COMPUTE_PGM_RSRC2:USER_SGPR: 2
; COMPUTE_PGM_RSRC2:TRAP_HANDLER: 0
; COMPUTE_PGM_RSRC2:TGID_X_EN: 1
; COMPUTE_PGM_RSRC2:TGID_Y_EN: 0
; COMPUTE_PGM_RSRC2:TGID_Z_EN: 0
; COMPUTE_PGM_RSRC2:TIDIG_COMP_CNT: 0
	.section	.text._ZN7rocprim17ROCPRIM_400000_NS6detail17trampoline_kernelINS0_14default_configENS1_35radix_sort_onesweep_config_selectorIdNS0_10empty_typeEEEZZNS1_29radix_sort_onesweep_iterationIS3_Lb1EPKdPdPS5_SB_mNS0_19identity_decomposerENS1_16block_id_wrapperIjLb0EEEEE10hipError_tT1_PNSt15iterator_traitsISG_E10value_typeET2_T3_PNSH_ISM_E10value_typeET4_T5_PSR_SS_PNS1_23onesweep_lookback_stateEbbT6_jjT7_P12ihipStream_tbENKUlT_T0_SG_SL_E_clISA_SA_SB_SB_EEDaSZ_S10_SG_SL_EUlSZ_E_NS1_11comp_targetILNS1_3genE3ELNS1_11target_archE908ELNS1_3gpuE7ELNS1_3repE0EEENS1_47radix_sort_onesweep_sort_config_static_selectorELNS0_4arch9wavefront6targetE0EEEvSG_,"axG",@progbits,_ZN7rocprim17ROCPRIM_400000_NS6detail17trampoline_kernelINS0_14default_configENS1_35radix_sort_onesweep_config_selectorIdNS0_10empty_typeEEEZZNS1_29radix_sort_onesweep_iterationIS3_Lb1EPKdPdPS5_SB_mNS0_19identity_decomposerENS1_16block_id_wrapperIjLb0EEEEE10hipError_tT1_PNSt15iterator_traitsISG_E10value_typeET2_T3_PNSH_ISM_E10value_typeET4_T5_PSR_SS_PNS1_23onesweep_lookback_stateEbbT6_jjT7_P12ihipStream_tbENKUlT_T0_SG_SL_E_clISA_SA_SB_SB_EEDaSZ_S10_SG_SL_EUlSZ_E_NS1_11comp_targetILNS1_3genE3ELNS1_11target_archE908ELNS1_3gpuE7ELNS1_3repE0EEENS1_47radix_sort_onesweep_sort_config_static_selectorELNS0_4arch9wavefront6targetE0EEEvSG_,comdat
	.protected	_ZN7rocprim17ROCPRIM_400000_NS6detail17trampoline_kernelINS0_14default_configENS1_35radix_sort_onesweep_config_selectorIdNS0_10empty_typeEEEZZNS1_29radix_sort_onesweep_iterationIS3_Lb1EPKdPdPS5_SB_mNS0_19identity_decomposerENS1_16block_id_wrapperIjLb0EEEEE10hipError_tT1_PNSt15iterator_traitsISG_E10value_typeET2_T3_PNSH_ISM_E10value_typeET4_T5_PSR_SS_PNS1_23onesweep_lookback_stateEbbT6_jjT7_P12ihipStream_tbENKUlT_T0_SG_SL_E_clISA_SA_SB_SB_EEDaSZ_S10_SG_SL_EUlSZ_E_NS1_11comp_targetILNS1_3genE3ELNS1_11target_archE908ELNS1_3gpuE7ELNS1_3repE0EEENS1_47radix_sort_onesweep_sort_config_static_selectorELNS0_4arch9wavefront6targetE0EEEvSG_ ; -- Begin function _ZN7rocprim17ROCPRIM_400000_NS6detail17trampoline_kernelINS0_14default_configENS1_35radix_sort_onesweep_config_selectorIdNS0_10empty_typeEEEZZNS1_29radix_sort_onesweep_iterationIS3_Lb1EPKdPdPS5_SB_mNS0_19identity_decomposerENS1_16block_id_wrapperIjLb0EEEEE10hipError_tT1_PNSt15iterator_traitsISG_E10value_typeET2_T3_PNSH_ISM_E10value_typeET4_T5_PSR_SS_PNS1_23onesweep_lookback_stateEbbT6_jjT7_P12ihipStream_tbENKUlT_T0_SG_SL_E_clISA_SA_SB_SB_EEDaSZ_S10_SG_SL_EUlSZ_E_NS1_11comp_targetILNS1_3genE3ELNS1_11target_archE908ELNS1_3gpuE7ELNS1_3repE0EEENS1_47radix_sort_onesweep_sort_config_static_selectorELNS0_4arch9wavefront6targetE0EEEvSG_
	.globl	_ZN7rocprim17ROCPRIM_400000_NS6detail17trampoline_kernelINS0_14default_configENS1_35radix_sort_onesweep_config_selectorIdNS0_10empty_typeEEEZZNS1_29radix_sort_onesweep_iterationIS3_Lb1EPKdPdPS5_SB_mNS0_19identity_decomposerENS1_16block_id_wrapperIjLb0EEEEE10hipError_tT1_PNSt15iterator_traitsISG_E10value_typeET2_T3_PNSH_ISM_E10value_typeET4_T5_PSR_SS_PNS1_23onesweep_lookback_stateEbbT6_jjT7_P12ihipStream_tbENKUlT_T0_SG_SL_E_clISA_SA_SB_SB_EEDaSZ_S10_SG_SL_EUlSZ_E_NS1_11comp_targetILNS1_3genE3ELNS1_11target_archE908ELNS1_3gpuE7ELNS1_3repE0EEENS1_47radix_sort_onesweep_sort_config_static_selectorELNS0_4arch9wavefront6targetE0EEEvSG_
	.p2align	8
	.type	_ZN7rocprim17ROCPRIM_400000_NS6detail17trampoline_kernelINS0_14default_configENS1_35radix_sort_onesweep_config_selectorIdNS0_10empty_typeEEEZZNS1_29radix_sort_onesweep_iterationIS3_Lb1EPKdPdPS5_SB_mNS0_19identity_decomposerENS1_16block_id_wrapperIjLb0EEEEE10hipError_tT1_PNSt15iterator_traitsISG_E10value_typeET2_T3_PNSH_ISM_E10value_typeET4_T5_PSR_SS_PNS1_23onesweep_lookback_stateEbbT6_jjT7_P12ihipStream_tbENKUlT_T0_SG_SL_E_clISA_SA_SB_SB_EEDaSZ_S10_SG_SL_EUlSZ_E_NS1_11comp_targetILNS1_3genE3ELNS1_11target_archE908ELNS1_3gpuE7ELNS1_3repE0EEENS1_47radix_sort_onesweep_sort_config_static_selectorELNS0_4arch9wavefront6targetE0EEEvSG_,@function
_ZN7rocprim17ROCPRIM_400000_NS6detail17trampoline_kernelINS0_14default_configENS1_35radix_sort_onesweep_config_selectorIdNS0_10empty_typeEEEZZNS1_29radix_sort_onesweep_iterationIS3_Lb1EPKdPdPS5_SB_mNS0_19identity_decomposerENS1_16block_id_wrapperIjLb0EEEEE10hipError_tT1_PNSt15iterator_traitsISG_E10value_typeET2_T3_PNSH_ISM_E10value_typeET4_T5_PSR_SS_PNS1_23onesweep_lookback_stateEbbT6_jjT7_P12ihipStream_tbENKUlT_T0_SG_SL_E_clISA_SA_SB_SB_EEDaSZ_S10_SG_SL_EUlSZ_E_NS1_11comp_targetILNS1_3genE3ELNS1_11target_archE908ELNS1_3gpuE7ELNS1_3repE0EEENS1_47radix_sort_onesweep_sort_config_static_selectorELNS0_4arch9wavefront6targetE0EEEvSG_: ; @_ZN7rocprim17ROCPRIM_400000_NS6detail17trampoline_kernelINS0_14default_configENS1_35radix_sort_onesweep_config_selectorIdNS0_10empty_typeEEEZZNS1_29radix_sort_onesweep_iterationIS3_Lb1EPKdPdPS5_SB_mNS0_19identity_decomposerENS1_16block_id_wrapperIjLb0EEEEE10hipError_tT1_PNSt15iterator_traitsISG_E10value_typeET2_T3_PNSH_ISM_E10value_typeET4_T5_PSR_SS_PNS1_23onesweep_lookback_stateEbbT6_jjT7_P12ihipStream_tbENKUlT_T0_SG_SL_E_clISA_SA_SB_SB_EEDaSZ_S10_SG_SL_EUlSZ_E_NS1_11comp_targetILNS1_3genE3ELNS1_11target_archE908ELNS1_3gpuE7ELNS1_3repE0EEENS1_47radix_sort_onesweep_sort_config_static_selectorELNS0_4arch9wavefront6targetE0EEEvSG_
; %bb.0:
	.section	.rodata,"a",@progbits
	.p2align	6, 0x0
	.amdhsa_kernel _ZN7rocprim17ROCPRIM_400000_NS6detail17trampoline_kernelINS0_14default_configENS1_35radix_sort_onesweep_config_selectorIdNS0_10empty_typeEEEZZNS1_29radix_sort_onesweep_iterationIS3_Lb1EPKdPdPS5_SB_mNS0_19identity_decomposerENS1_16block_id_wrapperIjLb0EEEEE10hipError_tT1_PNSt15iterator_traitsISG_E10value_typeET2_T3_PNSH_ISM_E10value_typeET4_T5_PSR_SS_PNS1_23onesweep_lookback_stateEbbT6_jjT7_P12ihipStream_tbENKUlT_T0_SG_SL_E_clISA_SA_SB_SB_EEDaSZ_S10_SG_SL_EUlSZ_E_NS1_11comp_targetILNS1_3genE3ELNS1_11target_archE908ELNS1_3gpuE7ELNS1_3repE0EEENS1_47radix_sort_onesweep_sort_config_static_selectorELNS0_4arch9wavefront6targetE0EEEvSG_
		.amdhsa_group_segment_fixed_size 0
		.amdhsa_private_segment_fixed_size 0
		.amdhsa_kernarg_size 88
		.amdhsa_user_sgpr_count 2
		.amdhsa_user_sgpr_dispatch_ptr 0
		.amdhsa_user_sgpr_queue_ptr 0
		.amdhsa_user_sgpr_kernarg_segment_ptr 1
		.amdhsa_user_sgpr_dispatch_id 0
		.amdhsa_user_sgpr_kernarg_preload_length 0
		.amdhsa_user_sgpr_kernarg_preload_offset 0
		.amdhsa_user_sgpr_private_segment_size 0
		.amdhsa_wavefront_size32 1
		.amdhsa_uses_dynamic_stack 0
		.amdhsa_enable_private_segment 0
		.amdhsa_system_sgpr_workgroup_id_x 1
		.amdhsa_system_sgpr_workgroup_id_y 0
		.amdhsa_system_sgpr_workgroup_id_z 0
		.amdhsa_system_sgpr_workgroup_info 0
		.amdhsa_system_vgpr_workitem_id 0
		.amdhsa_next_free_vgpr 1
		.amdhsa_next_free_sgpr 1
		.amdhsa_named_barrier_count 0
		.amdhsa_reserve_vcc 0
		.amdhsa_float_round_mode_32 0
		.amdhsa_float_round_mode_16_64 0
		.amdhsa_float_denorm_mode_32 3
		.amdhsa_float_denorm_mode_16_64 3
		.amdhsa_fp16_overflow 0
		.amdhsa_memory_ordered 1
		.amdhsa_forward_progress 1
		.amdhsa_inst_pref_size 0
		.amdhsa_round_robin_scheduling 0
		.amdhsa_exception_fp_ieee_invalid_op 0
		.amdhsa_exception_fp_denorm_src 0
		.amdhsa_exception_fp_ieee_div_zero 0
		.amdhsa_exception_fp_ieee_overflow 0
		.amdhsa_exception_fp_ieee_underflow 0
		.amdhsa_exception_fp_ieee_inexact 0
		.amdhsa_exception_int_div_zero 0
	.end_amdhsa_kernel
	.section	.text._ZN7rocprim17ROCPRIM_400000_NS6detail17trampoline_kernelINS0_14default_configENS1_35radix_sort_onesweep_config_selectorIdNS0_10empty_typeEEEZZNS1_29radix_sort_onesweep_iterationIS3_Lb1EPKdPdPS5_SB_mNS0_19identity_decomposerENS1_16block_id_wrapperIjLb0EEEEE10hipError_tT1_PNSt15iterator_traitsISG_E10value_typeET2_T3_PNSH_ISM_E10value_typeET4_T5_PSR_SS_PNS1_23onesweep_lookback_stateEbbT6_jjT7_P12ihipStream_tbENKUlT_T0_SG_SL_E_clISA_SA_SB_SB_EEDaSZ_S10_SG_SL_EUlSZ_E_NS1_11comp_targetILNS1_3genE3ELNS1_11target_archE908ELNS1_3gpuE7ELNS1_3repE0EEENS1_47radix_sort_onesweep_sort_config_static_selectorELNS0_4arch9wavefront6targetE0EEEvSG_,"axG",@progbits,_ZN7rocprim17ROCPRIM_400000_NS6detail17trampoline_kernelINS0_14default_configENS1_35radix_sort_onesweep_config_selectorIdNS0_10empty_typeEEEZZNS1_29radix_sort_onesweep_iterationIS3_Lb1EPKdPdPS5_SB_mNS0_19identity_decomposerENS1_16block_id_wrapperIjLb0EEEEE10hipError_tT1_PNSt15iterator_traitsISG_E10value_typeET2_T3_PNSH_ISM_E10value_typeET4_T5_PSR_SS_PNS1_23onesweep_lookback_stateEbbT6_jjT7_P12ihipStream_tbENKUlT_T0_SG_SL_E_clISA_SA_SB_SB_EEDaSZ_S10_SG_SL_EUlSZ_E_NS1_11comp_targetILNS1_3genE3ELNS1_11target_archE908ELNS1_3gpuE7ELNS1_3repE0EEENS1_47radix_sort_onesweep_sort_config_static_selectorELNS0_4arch9wavefront6targetE0EEEvSG_,comdat
.Lfunc_end1550:
	.size	_ZN7rocprim17ROCPRIM_400000_NS6detail17trampoline_kernelINS0_14default_configENS1_35radix_sort_onesweep_config_selectorIdNS0_10empty_typeEEEZZNS1_29radix_sort_onesweep_iterationIS3_Lb1EPKdPdPS5_SB_mNS0_19identity_decomposerENS1_16block_id_wrapperIjLb0EEEEE10hipError_tT1_PNSt15iterator_traitsISG_E10value_typeET2_T3_PNSH_ISM_E10value_typeET4_T5_PSR_SS_PNS1_23onesweep_lookback_stateEbbT6_jjT7_P12ihipStream_tbENKUlT_T0_SG_SL_E_clISA_SA_SB_SB_EEDaSZ_S10_SG_SL_EUlSZ_E_NS1_11comp_targetILNS1_3genE3ELNS1_11target_archE908ELNS1_3gpuE7ELNS1_3repE0EEENS1_47radix_sort_onesweep_sort_config_static_selectorELNS0_4arch9wavefront6targetE0EEEvSG_, .Lfunc_end1550-_ZN7rocprim17ROCPRIM_400000_NS6detail17trampoline_kernelINS0_14default_configENS1_35radix_sort_onesweep_config_selectorIdNS0_10empty_typeEEEZZNS1_29radix_sort_onesweep_iterationIS3_Lb1EPKdPdPS5_SB_mNS0_19identity_decomposerENS1_16block_id_wrapperIjLb0EEEEE10hipError_tT1_PNSt15iterator_traitsISG_E10value_typeET2_T3_PNSH_ISM_E10value_typeET4_T5_PSR_SS_PNS1_23onesweep_lookback_stateEbbT6_jjT7_P12ihipStream_tbENKUlT_T0_SG_SL_E_clISA_SA_SB_SB_EEDaSZ_S10_SG_SL_EUlSZ_E_NS1_11comp_targetILNS1_3genE3ELNS1_11target_archE908ELNS1_3gpuE7ELNS1_3repE0EEENS1_47radix_sort_onesweep_sort_config_static_selectorELNS0_4arch9wavefront6targetE0EEEvSG_
                                        ; -- End function
	.set _ZN7rocprim17ROCPRIM_400000_NS6detail17trampoline_kernelINS0_14default_configENS1_35radix_sort_onesweep_config_selectorIdNS0_10empty_typeEEEZZNS1_29radix_sort_onesweep_iterationIS3_Lb1EPKdPdPS5_SB_mNS0_19identity_decomposerENS1_16block_id_wrapperIjLb0EEEEE10hipError_tT1_PNSt15iterator_traitsISG_E10value_typeET2_T3_PNSH_ISM_E10value_typeET4_T5_PSR_SS_PNS1_23onesweep_lookback_stateEbbT6_jjT7_P12ihipStream_tbENKUlT_T0_SG_SL_E_clISA_SA_SB_SB_EEDaSZ_S10_SG_SL_EUlSZ_E_NS1_11comp_targetILNS1_3genE3ELNS1_11target_archE908ELNS1_3gpuE7ELNS1_3repE0EEENS1_47radix_sort_onesweep_sort_config_static_selectorELNS0_4arch9wavefront6targetE0EEEvSG_.num_vgpr, 0
	.set _ZN7rocprim17ROCPRIM_400000_NS6detail17trampoline_kernelINS0_14default_configENS1_35radix_sort_onesweep_config_selectorIdNS0_10empty_typeEEEZZNS1_29radix_sort_onesweep_iterationIS3_Lb1EPKdPdPS5_SB_mNS0_19identity_decomposerENS1_16block_id_wrapperIjLb0EEEEE10hipError_tT1_PNSt15iterator_traitsISG_E10value_typeET2_T3_PNSH_ISM_E10value_typeET4_T5_PSR_SS_PNS1_23onesweep_lookback_stateEbbT6_jjT7_P12ihipStream_tbENKUlT_T0_SG_SL_E_clISA_SA_SB_SB_EEDaSZ_S10_SG_SL_EUlSZ_E_NS1_11comp_targetILNS1_3genE3ELNS1_11target_archE908ELNS1_3gpuE7ELNS1_3repE0EEENS1_47radix_sort_onesweep_sort_config_static_selectorELNS0_4arch9wavefront6targetE0EEEvSG_.num_agpr, 0
	.set _ZN7rocprim17ROCPRIM_400000_NS6detail17trampoline_kernelINS0_14default_configENS1_35radix_sort_onesweep_config_selectorIdNS0_10empty_typeEEEZZNS1_29radix_sort_onesweep_iterationIS3_Lb1EPKdPdPS5_SB_mNS0_19identity_decomposerENS1_16block_id_wrapperIjLb0EEEEE10hipError_tT1_PNSt15iterator_traitsISG_E10value_typeET2_T3_PNSH_ISM_E10value_typeET4_T5_PSR_SS_PNS1_23onesweep_lookback_stateEbbT6_jjT7_P12ihipStream_tbENKUlT_T0_SG_SL_E_clISA_SA_SB_SB_EEDaSZ_S10_SG_SL_EUlSZ_E_NS1_11comp_targetILNS1_3genE3ELNS1_11target_archE908ELNS1_3gpuE7ELNS1_3repE0EEENS1_47radix_sort_onesweep_sort_config_static_selectorELNS0_4arch9wavefront6targetE0EEEvSG_.numbered_sgpr, 0
	.set _ZN7rocprim17ROCPRIM_400000_NS6detail17trampoline_kernelINS0_14default_configENS1_35radix_sort_onesweep_config_selectorIdNS0_10empty_typeEEEZZNS1_29radix_sort_onesweep_iterationIS3_Lb1EPKdPdPS5_SB_mNS0_19identity_decomposerENS1_16block_id_wrapperIjLb0EEEEE10hipError_tT1_PNSt15iterator_traitsISG_E10value_typeET2_T3_PNSH_ISM_E10value_typeET4_T5_PSR_SS_PNS1_23onesweep_lookback_stateEbbT6_jjT7_P12ihipStream_tbENKUlT_T0_SG_SL_E_clISA_SA_SB_SB_EEDaSZ_S10_SG_SL_EUlSZ_E_NS1_11comp_targetILNS1_3genE3ELNS1_11target_archE908ELNS1_3gpuE7ELNS1_3repE0EEENS1_47radix_sort_onesweep_sort_config_static_selectorELNS0_4arch9wavefront6targetE0EEEvSG_.num_named_barrier, 0
	.set _ZN7rocprim17ROCPRIM_400000_NS6detail17trampoline_kernelINS0_14default_configENS1_35radix_sort_onesweep_config_selectorIdNS0_10empty_typeEEEZZNS1_29radix_sort_onesweep_iterationIS3_Lb1EPKdPdPS5_SB_mNS0_19identity_decomposerENS1_16block_id_wrapperIjLb0EEEEE10hipError_tT1_PNSt15iterator_traitsISG_E10value_typeET2_T3_PNSH_ISM_E10value_typeET4_T5_PSR_SS_PNS1_23onesweep_lookback_stateEbbT6_jjT7_P12ihipStream_tbENKUlT_T0_SG_SL_E_clISA_SA_SB_SB_EEDaSZ_S10_SG_SL_EUlSZ_E_NS1_11comp_targetILNS1_3genE3ELNS1_11target_archE908ELNS1_3gpuE7ELNS1_3repE0EEENS1_47radix_sort_onesweep_sort_config_static_selectorELNS0_4arch9wavefront6targetE0EEEvSG_.private_seg_size, 0
	.set _ZN7rocprim17ROCPRIM_400000_NS6detail17trampoline_kernelINS0_14default_configENS1_35radix_sort_onesweep_config_selectorIdNS0_10empty_typeEEEZZNS1_29radix_sort_onesweep_iterationIS3_Lb1EPKdPdPS5_SB_mNS0_19identity_decomposerENS1_16block_id_wrapperIjLb0EEEEE10hipError_tT1_PNSt15iterator_traitsISG_E10value_typeET2_T3_PNSH_ISM_E10value_typeET4_T5_PSR_SS_PNS1_23onesweep_lookback_stateEbbT6_jjT7_P12ihipStream_tbENKUlT_T0_SG_SL_E_clISA_SA_SB_SB_EEDaSZ_S10_SG_SL_EUlSZ_E_NS1_11comp_targetILNS1_3genE3ELNS1_11target_archE908ELNS1_3gpuE7ELNS1_3repE0EEENS1_47radix_sort_onesweep_sort_config_static_selectorELNS0_4arch9wavefront6targetE0EEEvSG_.uses_vcc, 0
	.set _ZN7rocprim17ROCPRIM_400000_NS6detail17trampoline_kernelINS0_14default_configENS1_35radix_sort_onesweep_config_selectorIdNS0_10empty_typeEEEZZNS1_29radix_sort_onesweep_iterationIS3_Lb1EPKdPdPS5_SB_mNS0_19identity_decomposerENS1_16block_id_wrapperIjLb0EEEEE10hipError_tT1_PNSt15iterator_traitsISG_E10value_typeET2_T3_PNSH_ISM_E10value_typeET4_T5_PSR_SS_PNS1_23onesweep_lookback_stateEbbT6_jjT7_P12ihipStream_tbENKUlT_T0_SG_SL_E_clISA_SA_SB_SB_EEDaSZ_S10_SG_SL_EUlSZ_E_NS1_11comp_targetILNS1_3genE3ELNS1_11target_archE908ELNS1_3gpuE7ELNS1_3repE0EEENS1_47radix_sort_onesweep_sort_config_static_selectorELNS0_4arch9wavefront6targetE0EEEvSG_.uses_flat_scratch, 0
	.set _ZN7rocprim17ROCPRIM_400000_NS6detail17trampoline_kernelINS0_14default_configENS1_35radix_sort_onesweep_config_selectorIdNS0_10empty_typeEEEZZNS1_29radix_sort_onesweep_iterationIS3_Lb1EPKdPdPS5_SB_mNS0_19identity_decomposerENS1_16block_id_wrapperIjLb0EEEEE10hipError_tT1_PNSt15iterator_traitsISG_E10value_typeET2_T3_PNSH_ISM_E10value_typeET4_T5_PSR_SS_PNS1_23onesweep_lookback_stateEbbT6_jjT7_P12ihipStream_tbENKUlT_T0_SG_SL_E_clISA_SA_SB_SB_EEDaSZ_S10_SG_SL_EUlSZ_E_NS1_11comp_targetILNS1_3genE3ELNS1_11target_archE908ELNS1_3gpuE7ELNS1_3repE0EEENS1_47radix_sort_onesweep_sort_config_static_selectorELNS0_4arch9wavefront6targetE0EEEvSG_.has_dyn_sized_stack, 0
	.set _ZN7rocprim17ROCPRIM_400000_NS6detail17trampoline_kernelINS0_14default_configENS1_35radix_sort_onesweep_config_selectorIdNS0_10empty_typeEEEZZNS1_29radix_sort_onesweep_iterationIS3_Lb1EPKdPdPS5_SB_mNS0_19identity_decomposerENS1_16block_id_wrapperIjLb0EEEEE10hipError_tT1_PNSt15iterator_traitsISG_E10value_typeET2_T3_PNSH_ISM_E10value_typeET4_T5_PSR_SS_PNS1_23onesweep_lookback_stateEbbT6_jjT7_P12ihipStream_tbENKUlT_T0_SG_SL_E_clISA_SA_SB_SB_EEDaSZ_S10_SG_SL_EUlSZ_E_NS1_11comp_targetILNS1_3genE3ELNS1_11target_archE908ELNS1_3gpuE7ELNS1_3repE0EEENS1_47radix_sort_onesweep_sort_config_static_selectorELNS0_4arch9wavefront6targetE0EEEvSG_.has_recursion, 0
	.set _ZN7rocprim17ROCPRIM_400000_NS6detail17trampoline_kernelINS0_14default_configENS1_35radix_sort_onesweep_config_selectorIdNS0_10empty_typeEEEZZNS1_29radix_sort_onesweep_iterationIS3_Lb1EPKdPdPS5_SB_mNS0_19identity_decomposerENS1_16block_id_wrapperIjLb0EEEEE10hipError_tT1_PNSt15iterator_traitsISG_E10value_typeET2_T3_PNSH_ISM_E10value_typeET4_T5_PSR_SS_PNS1_23onesweep_lookback_stateEbbT6_jjT7_P12ihipStream_tbENKUlT_T0_SG_SL_E_clISA_SA_SB_SB_EEDaSZ_S10_SG_SL_EUlSZ_E_NS1_11comp_targetILNS1_3genE3ELNS1_11target_archE908ELNS1_3gpuE7ELNS1_3repE0EEENS1_47radix_sort_onesweep_sort_config_static_selectorELNS0_4arch9wavefront6targetE0EEEvSG_.has_indirect_call, 0
	.section	.AMDGPU.csdata,"",@progbits
; Kernel info:
; codeLenInByte = 0
; TotalNumSgprs: 0
; NumVgprs: 0
; ScratchSize: 0
; MemoryBound: 0
; FloatMode: 240
; IeeeMode: 1
; LDSByteSize: 0 bytes/workgroup (compile time only)
; SGPRBlocks: 0
; VGPRBlocks: 0
; NumSGPRsForWavesPerEU: 1
; NumVGPRsForWavesPerEU: 1
; NamedBarCnt: 0
; Occupancy: 16
; WaveLimiterHint : 0
; COMPUTE_PGM_RSRC2:SCRATCH_EN: 0
; COMPUTE_PGM_RSRC2:USER_SGPR: 2
; COMPUTE_PGM_RSRC2:TRAP_HANDLER: 0
; COMPUTE_PGM_RSRC2:TGID_X_EN: 1
; COMPUTE_PGM_RSRC2:TGID_Y_EN: 0
; COMPUTE_PGM_RSRC2:TGID_Z_EN: 0
; COMPUTE_PGM_RSRC2:TIDIG_COMP_CNT: 0
	.section	.text._ZN7rocprim17ROCPRIM_400000_NS6detail17trampoline_kernelINS0_14default_configENS1_35radix_sort_onesweep_config_selectorIdNS0_10empty_typeEEEZZNS1_29radix_sort_onesweep_iterationIS3_Lb1EPKdPdPS5_SB_mNS0_19identity_decomposerENS1_16block_id_wrapperIjLb0EEEEE10hipError_tT1_PNSt15iterator_traitsISG_E10value_typeET2_T3_PNSH_ISM_E10value_typeET4_T5_PSR_SS_PNS1_23onesweep_lookback_stateEbbT6_jjT7_P12ihipStream_tbENKUlT_T0_SG_SL_E_clISA_SA_SB_SB_EEDaSZ_S10_SG_SL_EUlSZ_E_NS1_11comp_targetILNS1_3genE10ELNS1_11target_archE1201ELNS1_3gpuE5ELNS1_3repE0EEENS1_47radix_sort_onesweep_sort_config_static_selectorELNS0_4arch9wavefront6targetE0EEEvSG_,"axG",@progbits,_ZN7rocprim17ROCPRIM_400000_NS6detail17trampoline_kernelINS0_14default_configENS1_35radix_sort_onesweep_config_selectorIdNS0_10empty_typeEEEZZNS1_29radix_sort_onesweep_iterationIS3_Lb1EPKdPdPS5_SB_mNS0_19identity_decomposerENS1_16block_id_wrapperIjLb0EEEEE10hipError_tT1_PNSt15iterator_traitsISG_E10value_typeET2_T3_PNSH_ISM_E10value_typeET4_T5_PSR_SS_PNS1_23onesweep_lookback_stateEbbT6_jjT7_P12ihipStream_tbENKUlT_T0_SG_SL_E_clISA_SA_SB_SB_EEDaSZ_S10_SG_SL_EUlSZ_E_NS1_11comp_targetILNS1_3genE10ELNS1_11target_archE1201ELNS1_3gpuE5ELNS1_3repE0EEENS1_47radix_sort_onesweep_sort_config_static_selectorELNS0_4arch9wavefront6targetE0EEEvSG_,comdat
	.protected	_ZN7rocprim17ROCPRIM_400000_NS6detail17trampoline_kernelINS0_14default_configENS1_35radix_sort_onesweep_config_selectorIdNS0_10empty_typeEEEZZNS1_29radix_sort_onesweep_iterationIS3_Lb1EPKdPdPS5_SB_mNS0_19identity_decomposerENS1_16block_id_wrapperIjLb0EEEEE10hipError_tT1_PNSt15iterator_traitsISG_E10value_typeET2_T3_PNSH_ISM_E10value_typeET4_T5_PSR_SS_PNS1_23onesweep_lookback_stateEbbT6_jjT7_P12ihipStream_tbENKUlT_T0_SG_SL_E_clISA_SA_SB_SB_EEDaSZ_S10_SG_SL_EUlSZ_E_NS1_11comp_targetILNS1_3genE10ELNS1_11target_archE1201ELNS1_3gpuE5ELNS1_3repE0EEENS1_47radix_sort_onesweep_sort_config_static_selectorELNS0_4arch9wavefront6targetE0EEEvSG_ ; -- Begin function _ZN7rocprim17ROCPRIM_400000_NS6detail17trampoline_kernelINS0_14default_configENS1_35radix_sort_onesweep_config_selectorIdNS0_10empty_typeEEEZZNS1_29radix_sort_onesweep_iterationIS3_Lb1EPKdPdPS5_SB_mNS0_19identity_decomposerENS1_16block_id_wrapperIjLb0EEEEE10hipError_tT1_PNSt15iterator_traitsISG_E10value_typeET2_T3_PNSH_ISM_E10value_typeET4_T5_PSR_SS_PNS1_23onesweep_lookback_stateEbbT6_jjT7_P12ihipStream_tbENKUlT_T0_SG_SL_E_clISA_SA_SB_SB_EEDaSZ_S10_SG_SL_EUlSZ_E_NS1_11comp_targetILNS1_3genE10ELNS1_11target_archE1201ELNS1_3gpuE5ELNS1_3repE0EEENS1_47radix_sort_onesweep_sort_config_static_selectorELNS0_4arch9wavefront6targetE0EEEvSG_
	.globl	_ZN7rocprim17ROCPRIM_400000_NS6detail17trampoline_kernelINS0_14default_configENS1_35radix_sort_onesweep_config_selectorIdNS0_10empty_typeEEEZZNS1_29radix_sort_onesweep_iterationIS3_Lb1EPKdPdPS5_SB_mNS0_19identity_decomposerENS1_16block_id_wrapperIjLb0EEEEE10hipError_tT1_PNSt15iterator_traitsISG_E10value_typeET2_T3_PNSH_ISM_E10value_typeET4_T5_PSR_SS_PNS1_23onesweep_lookback_stateEbbT6_jjT7_P12ihipStream_tbENKUlT_T0_SG_SL_E_clISA_SA_SB_SB_EEDaSZ_S10_SG_SL_EUlSZ_E_NS1_11comp_targetILNS1_3genE10ELNS1_11target_archE1201ELNS1_3gpuE5ELNS1_3repE0EEENS1_47radix_sort_onesweep_sort_config_static_selectorELNS0_4arch9wavefront6targetE0EEEvSG_
	.p2align	8
	.type	_ZN7rocprim17ROCPRIM_400000_NS6detail17trampoline_kernelINS0_14default_configENS1_35radix_sort_onesweep_config_selectorIdNS0_10empty_typeEEEZZNS1_29radix_sort_onesweep_iterationIS3_Lb1EPKdPdPS5_SB_mNS0_19identity_decomposerENS1_16block_id_wrapperIjLb0EEEEE10hipError_tT1_PNSt15iterator_traitsISG_E10value_typeET2_T3_PNSH_ISM_E10value_typeET4_T5_PSR_SS_PNS1_23onesweep_lookback_stateEbbT6_jjT7_P12ihipStream_tbENKUlT_T0_SG_SL_E_clISA_SA_SB_SB_EEDaSZ_S10_SG_SL_EUlSZ_E_NS1_11comp_targetILNS1_3genE10ELNS1_11target_archE1201ELNS1_3gpuE5ELNS1_3repE0EEENS1_47radix_sort_onesweep_sort_config_static_selectorELNS0_4arch9wavefront6targetE0EEEvSG_,@function
_ZN7rocprim17ROCPRIM_400000_NS6detail17trampoline_kernelINS0_14default_configENS1_35radix_sort_onesweep_config_selectorIdNS0_10empty_typeEEEZZNS1_29radix_sort_onesweep_iterationIS3_Lb1EPKdPdPS5_SB_mNS0_19identity_decomposerENS1_16block_id_wrapperIjLb0EEEEE10hipError_tT1_PNSt15iterator_traitsISG_E10value_typeET2_T3_PNSH_ISM_E10value_typeET4_T5_PSR_SS_PNS1_23onesweep_lookback_stateEbbT6_jjT7_P12ihipStream_tbENKUlT_T0_SG_SL_E_clISA_SA_SB_SB_EEDaSZ_S10_SG_SL_EUlSZ_E_NS1_11comp_targetILNS1_3genE10ELNS1_11target_archE1201ELNS1_3gpuE5ELNS1_3repE0EEENS1_47radix_sort_onesweep_sort_config_static_selectorELNS0_4arch9wavefront6targetE0EEEvSG_: ; @_ZN7rocprim17ROCPRIM_400000_NS6detail17trampoline_kernelINS0_14default_configENS1_35radix_sort_onesweep_config_selectorIdNS0_10empty_typeEEEZZNS1_29radix_sort_onesweep_iterationIS3_Lb1EPKdPdPS5_SB_mNS0_19identity_decomposerENS1_16block_id_wrapperIjLb0EEEEE10hipError_tT1_PNSt15iterator_traitsISG_E10value_typeET2_T3_PNSH_ISM_E10value_typeET4_T5_PSR_SS_PNS1_23onesweep_lookback_stateEbbT6_jjT7_P12ihipStream_tbENKUlT_T0_SG_SL_E_clISA_SA_SB_SB_EEDaSZ_S10_SG_SL_EUlSZ_E_NS1_11comp_targetILNS1_3genE10ELNS1_11target_archE1201ELNS1_3gpuE5ELNS1_3repE0EEENS1_47radix_sort_onesweep_sort_config_static_selectorELNS0_4arch9wavefront6targetE0EEEvSG_
; %bb.0:
	.section	.rodata,"a",@progbits
	.p2align	6, 0x0
	.amdhsa_kernel _ZN7rocprim17ROCPRIM_400000_NS6detail17trampoline_kernelINS0_14default_configENS1_35radix_sort_onesweep_config_selectorIdNS0_10empty_typeEEEZZNS1_29radix_sort_onesweep_iterationIS3_Lb1EPKdPdPS5_SB_mNS0_19identity_decomposerENS1_16block_id_wrapperIjLb0EEEEE10hipError_tT1_PNSt15iterator_traitsISG_E10value_typeET2_T3_PNSH_ISM_E10value_typeET4_T5_PSR_SS_PNS1_23onesweep_lookback_stateEbbT6_jjT7_P12ihipStream_tbENKUlT_T0_SG_SL_E_clISA_SA_SB_SB_EEDaSZ_S10_SG_SL_EUlSZ_E_NS1_11comp_targetILNS1_3genE10ELNS1_11target_archE1201ELNS1_3gpuE5ELNS1_3repE0EEENS1_47radix_sort_onesweep_sort_config_static_selectorELNS0_4arch9wavefront6targetE0EEEvSG_
		.amdhsa_group_segment_fixed_size 0
		.amdhsa_private_segment_fixed_size 0
		.amdhsa_kernarg_size 88
		.amdhsa_user_sgpr_count 2
		.amdhsa_user_sgpr_dispatch_ptr 0
		.amdhsa_user_sgpr_queue_ptr 0
		.amdhsa_user_sgpr_kernarg_segment_ptr 1
		.amdhsa_user_sgpr_dispatch_id 0
		.amdhsa_user_sgpr_kernarg_preload_length 0
		.amdhsa_user_sgpr_kernarg_preload_offset 0
		.amdhsa_user_sgpr_private_segment_size 0
		.amdhsa_wavefront_size32 1
		.amdhsa_uses_dynamic_stack 0
		.amdhsa_enable_private_segment 0
		.amdhsa_system_sgpr_workgroup_id_x 1
		.amdhsa_system_sgpr_workgroup_id_y 0
		.amdhsa_system_sgpr_workgroup_id_z 0
		.amdhsa_system_sgpr_workgroup_info 0
		.amdhsa_system_vgpr_workitem_id 0
		.amdhsa_next_free_vgpr 1
		.amdhsa_next_free_sgpr 1
		.amdhsa_named_barrier_count 0
		.amdhsa_reserve_vcc 0
		.amdhsa_float_round_mode_32 0
		.amdhsa_float_round_mode_16_64 0
		.amdhsa_float_denorm_mode_32 3
		.amdhsa_float_denorm_mode_16_64 3
		.amdhsa_fp16_overflow 0
		.amdhsa_memory_ordered 1
		.amdhsa_forward_progress 1
		.amdhsa_inst_pref_size 0
		.amdhsa_round_robin_scheduling 0
		.amdhsa_exception_fp_ieee_invalid_op 0
		.amdhsa_exception_fp_denorm_src 0
		.amdhsa_exception_fp_ieee_div_zero 0
		.amdhsa_exception_fp_ieee_overflow 0
		.amdhsa_exception_fp_ieee_underflow 0
		.amdhsa_exception_fp_ieee_inexact 0
		.amdhsa_exception_int_div_zero 0
	.end_amdhsa_kernel
	.section	.text._ZN7rocprim17ROCPRIM_400000_NS6detail17trampoline_kernelINS0_14default_configENS1_35radix_sort_onesweep_config_selectorIdNS0_10empty_typeEEEZZNS1_29radix_sort_onesweep_iterationIS3_Lb1EPKdPdPS5_SB_mNS0_19identity_decomposerENS1_16block_id_wrapperIjLb0EEEEE10hipError_tT1_PNSt15iterator_traitsISG_E10value_typeET2_T3_PNSH_ISM_E10value_typeET4_T5_PSR_SS_PNS1_23onesweep_lookback_stateEbbT6_jjT7_P12ihipStream_tbENKUlT_T0_SG_SL_E_clISA_SA_SB_SB_EEDaSZ_S10_SG_SL_EUlSZ_E_NS1_11comp_targetILNS1_3genE10ELNS1_11target_archE1201ELNS1_3gpuE5ELNS1_3repE0EEENS1_47radix_sort_onesweep_sort_config_static_selectorELNS0_4arch9wavefront6targetE0EEEvSG_,"axG",@progbits,_ZN7rocprim17ROCPRIM_400000_NS6detail17trampoline_kernelINS0_14default_configENS1_35radix_sort_onesweep_config_selectorIdNS0_10empty_typeEEEZZNS1_29radix_sort_onesweep_iterationIS3_Lb1EPKdPdPS5_SB_mNS0_19identity_decomposerENS1_16block_id_wrapperIjLb0EEEEE10hipError_tT1_PNSt15iterator_traitsISG_E10value_typeET2_T3_PNSH_ISM_E10value_typeET4_T5_PSR_SS_PNS1_23onesweep_lookback_stateEbbT6_jjT7_P12ihipStream_tbENKUlT_T0_SG_SL_E_clISA_SA_SB_SB_EEDaSZ_S10_SG_SL_EUlSZ_E_NS1_11comp_targetILNS1_3genE10ELNS1_11target_archE1201ELNS1_3gpuE5ELNS1_3repE0EEENS1_47radix_sort_onesweep_sort_config_static_selectorELNS0_4arch9wavefront6targetE0EEEvSG_,comdat
.Lfunc_end1551:
	.size	_ZN7rocprim17ROCPRIM_400000_NS6detail17trampoline_kernelINS0_14default_configENS1_35radix_sort_onesweep_config_selectorIdNS0_10empty_typeEEEZZNS1_29radix_sort_onesweep_iterationIS3_Lb1EPKdPdPS5_SB_mNS0_19identity_decomposerENS1_16block_id_wrapperIjLb0EEEEE10hipError_tT1_PNSt15iterator_traitsISG_E10value_typeET2_T3_PNSH_ISM_E10value_typeET4_T5_PSR_SS_PNS1_23onesweep_lookback_stateEbbT6_jjT7_P12ihipStream_tbENKUlT_T0_SG_SL_E_clISA_SA_SB_SB_EEDaSZ_S10_SG_SL_EUlSZ_E_NS1_11comp_targetILNS1_3genE10ELNS1_11target_archE1201ELNS1_3gpuE5ELNS1_3repE0EEENS1_47radix_sort_onesweep_sort_config_static_selectorELNS0_4arch9wavefront6targetE0EEEvSG_, .Lfunc_end1551-_ZN7rocprim17ROCPRIM_400000_NS6detail17trampoline_kernelINS0_14default_configENS1_35radix_sort_onesweep_config_selectorIdNS0_10empty_typeEEEZZNS1_29radix_sort_onesweep_iterationIS3_Lb1EPKdPdPS5_SB_mNS0_19identity_decomposerENS1_16block_id_wrapperIjLb0EEEEE10hipError_tT1_PNSt15iterator_traitsISG_E10value_typeET2_T3_PNSH_ISM_E10value_typeET4_T5_PSR_SS_PNS1_23onesweep_lookback_stateEbbT6_jjT7_P12ihipStream_tbENKUlT_T0_SG_SL_E_clISA_SA_SB_SB_EEDaSZ_S10_SG_SL_EUlSZ_E_NS1_11comp_targetILNS1_3genE10ELNS1_11target_archE1201ELNS1_3gpuE5ELNS1_3repE0EEENS1_47radix_sort_onesweep_sort_config_static_selectorELNS0_4arch9wavefront6targetE0EEEvSG_
                                        ; -- End function
	.set _ZN7rocprim17ROCPRIM_400000_NS6detail17trampoline_kernelINS0_14default_configENS1_35radix_sort_onesweep_config_selectorIdNS0_10empty_typeEEEZZNS1_29radix_sort_onesweep_iterationIS3_Lb1EPKdPdPS5_SB_mNS0_19identity_decomposerENS1_16block_id_wrapperIjLb0EEEEE10hipError_tT1_PNSt15iterator_traitsISG_E10value_typeET2_T3_PNSH_ISM_E10value_typeET4_T5_PSR_SS_PNS1_23onesweep_lookback_stateEbbT6_jjT7_P12ihipStream_tbENKUlT_T0_SG_SL_E_clISA_SA_SB_SB_EEDaSZ_S10_SG_SL_EUlSZ_E_NS1_11comp_targetILNS1_3genE10ELNS1_11target_archE1201ELNS1_3gpuE5ELNS1_3repE0EEENS1_47radix_sort_onesweep_sort_config_static_selectorELNS0_4arch9wavefront6targetE0EEEvSG_.num_vgpr, 0
	.set _ZN7rocprim17ROCPRIM_400000_NS6detail17trampoline_kernelINS0_14default_configENS1_35radix_sort_onesweep_config_selectorIdNS0_10empty_typeEEEZZNS1_29radix_sort_onesweep_iterationIS3_Lb1EPKdPdPS5_SB_mNS0_19identity_decomposerENS1_16block_id_wrapperIjLb0EEEEE10hipError_tT1_PNSt15iterator_traitsISG_E10value_typeET2_T3_PNSH_ISM_E10value_typeET4_T5_PSR_SS_PNS1_23onesweep_lookback_stateEbbT6_jjT7_P12ihipStream_tbENKUlT_T0_SG_SL_E_clISA_SA_SB_SB_EEDaSZ_S10_SG_SL_EUlSZ_E_NS1_11comp_targetILNS1_3genE10ELNS1_11target_archE1201ELNS1_3gpuE5ELNS1_3repE0EEENS1_47radix_sort_onesweep_sort_config_static_selectorELNS0_4arch9wavefront6targetE0EEEvSG_.num_agpr, 0
	.set _ZN7rocprim17ROCPRIM_400000_NS6detail17trampoline_kernelINS0_14default_configENS1_35radix_sort_onesweep_config_selectorIdNS0_10empty_typeEEEZZNS1_29radix_sort_onesweep_iterationIS3_Lb1EPKdPdPS5_SB_mNS0_19identity_decomposerENS1_16block_id_wrapperIjLb0EEEEE10hipError_tT1_PNSt15iterator_traitsISG_E10value_typeET2_T3_PNSH_ISM_E10value_typeET4_T5_PSR_SS_PNS1_23onesweep_lookback_stateEbbT6_jjT7_P12ihipStream_tbENKUlT_T0_SG_SL_E_clISA_SA_SB_SB_EEDaSZ_S10_SG_SL_EUlSZ_E_NS1_11comp_targetILNS1_3genE10ELNS1_11target_archE1201ELNS1_3gpuE5ELNS1_3repE0EEENS1_47radix_sort_onesweep_sort_config_static_selectorELNS0_4arch9wavefront6targetE0EEEvSG_.numbered_sgpr, 0
	.set _ZN7rocprim17ROCPRIM_400000_NS6detail17trampoline_kernelINS0_14default_configENS1_35radix_sort_onesweep_config_selectorIdNS0_10empty_typeEEEZZNS1_29radix_sort_onesweep_iterationIS3_Lb1EPKdPdPS5_SB_mNS0_19identity_decomposerENS1_16block_id_wrapperIjLb0EEEEE10hipError_tT1_PNSt15iterator_traitsISG_E10value_typeET2_T3_PNSH_ISM_E10value_typeET4_T5_PSR_SS_PNS1_23onesweep_lookback_stateEbbT6_jjT7_P12ihipStream_tbENKUlT_T0_SG_SL_E_clISA_SA_SB_SB_EEDaSZ_S10_SG_SL_EUlSZ_E_NS1_11comp_targetILNS1_3genE10ELNS1_11target_archE1201ELNS1_3gpuE5ELNS1_3repE0EEENS1_47radix_sort_onesweep_sort_config_static_selectorELNS0_4arch9wavefront6targetE0EEEvSG_.num_named_barrier, 0
	.set _ZN7rocprim17ROCPRIM_400000_NS6detail17trampoline_kernelINS0_14default_configENS1_35radix_sort_onesweep_config_selectorIdNS0_10empty_typeEEEZZNS1_29radix_sort_onesweep_iterationIS3_Lb1EPKdPdPS5_SB_mNS0_19identity_decomposerENS1_16block_id_wrapperIjLb0EEEEE10hipError_tT1_PNSt15iterator_traitsISG_E10value_typeET2_T3_PNSH_ISM_E10value_typeET4_T5_PSR_SS_PNS1_23onesweep_lookback_stateEbbT6_jjT7_P12ihipStream_tbENKUlT_T0_SG_SL_E_clISA_SA_SB_SB_EEDaSZ_S10_SG_SL_EUlSZ_E_NS1_11comp_targetILNS1_3genE10ELNS1_11target_archE1201ELNS1_3gpuE5ELNS1_3repE0EEENS1_47radix_sort_onesweep_sort_config_static_selectorELNS0_4arch9wavefront6targetE0EEEvSG_.private_seg_size, 0
	.set _ZN7rocprim17ROCPRIM_400000_NS6detail17trampoline_kernelINS0_14default_configENS1_35radix_sort_onesweep_config_selectorIdNS0_10empty_typeEEEZZNS1_29radix_sort_onesweep_iterationIS3_Lb1EPKdPdPS5_SB_mNS0_19identity_decomposerENS1_16block_id_wrapperIjLb0EEEEE10hipError_tT1_PNSt15iterator_traitsISG_E10value_typeET2_T3_PNSH_ISM_E10value_typeET4_T5_PSR_SS_PNS1_23onesweep_lookback_stateEbbT6_jjT7_P12ihipStream_tbENKUlT_T0_SG_SL_E_clISA_SA_SB_SB_EEDaSZ_S10_SG_SL_EUlSZ_E_NS1_11comp_targetILNS1_3genE10ELNS1_11target_archE1201ELNS1_3gpuE5ELNS1_3repE0EEENS1_47radix_sort_onesweep_sort_config_static_selectorELNS0_4arch9wavefront6targetE0EEEvSG_.uses_vcc, 0
	.set _ZN7rocprim17ROCPRIM_400000_NS6detail17trampoline_kernelINS0_14default_configENS1_35radix_sort_onesweep_config_selectorIdNS0_10empty_typeEEEZZNS1_29radix_sort_onesweep_iterationIS3_Lb1EPKdPdPS5_SB_mNS0_19identity_decomposerENS1_16block_id_wrapperIjLb0EEEEE10hipError_tT1_PNSt15iterator_traitsISG_E10value_typeET2_T3_PNSH_ISM_E10value_typeET4_T5_PSR_SS_PNS1_23onesweep_lookback_stateEbbT6_jjT7_P12ihipStream_tbENKUlT_T0_SG_SL_E_clISA_SA_SB_SB_EEDaSZ_S10_SG_SL_EUlSZ_E_NS1_11comp_targetILNS1_3genE10ELNS1_11target_archE1201ELNS1_3gpuE5ELNS1_3repE0EEENS1_47radix_sort_onesweep_sort_config_static_selectorELNS0_4arch9wavefront6targetE0EEEvSG_.uses_flat_scratch, 0
	.set _ZN7rocprim17ROCPRIM_400000_NS6detail17trampoline_kernelINS0_14default_configENS1_35radix_sort_onesweep_config_selectorIdNS0_10empty_typeEEEZZNS1_29radix_sort_onesweep_iterationIS3_Lb1EPKdPdPS5_SB_mNS0_19identity_decomposerENS1_16block_id_wrapperIjLb0EEEEE10hipError_tT1_PNSt15iterator_traitsISG_E10value_typeET2_T3_PNSH_ISM_E10value_typeET4_T5_PSR_SS_PNS1_23onesweep_lookback_stateEbbT6_jjT7_P12ihipStream_tbENKUlT_T0_SG_SL_E_clISA_SA_SB_SB_EEDaSZ_S10_SG_SL_EUlSZ_E_NS1_11comp_targetILNS1_3genE10ELNS1_11target_archE1201ELNS1_3gpuE5ELNS1_3repE0EEENS1_47radix_sort_onesweep_sort_config_static_selectorELNS0_4arch9wavefront6targetE0EEEvSG_.has_dyn_sized_stack, 0
	.set _ZN7rocprim17ROCPRIM_400000_NS6detail17trampoline_kernelINS0_14default_configENS1_35radix_sort_onesweep_config_selectorIdNS0_10empty_typeEEEZZNS1_29radix_sort_onesweep_iterationIS3_Lb1EPKdPdPS5_SB_mNS0_19identity_decomposerENS1_16block_id_wrapperIjLb0EEEEE10hipError_tT1_PNSt15iterator_traitsISG_E10value_typeET2_T3_PNSH_ISM_E10value_typeET4_T5_PSR_SS_PNS1_23onesweep_lookback_stateEbbT6_jjT7_P12ihipStream_tbENKUlT_T0_SG_SL_E_clISA_SA_SB_SB_EEDaSZ_S10_SG_SL_EUlSZ_E_NS1_11comp_targetILNS1_3genE10ELNS1_11target_archE1201ELNS1_3gpuE5ELNS1_3repE0EEENS1_47radix_sort_onesweep_sort_config_static_selectorELNS0_4arch9wavefront6targetE0EEEvSG_.has_recursion, 0
	.set _ZN7rocprim17ROCPRIM_400000_NS6detail17trampoline_kernelINS0_14default_configENS1_35radix_sort_onesweep_config_selectorIdNS0_10empty_typeEEEZZNS1_29radix_sort_onesweep_iterationIS3_Lb1EPKdPdPS5_SB_mNS0_19identity_decomposerENS1_16block_id_wrapperIjLb0EEEEE10hipError_tT1_PNSt15iterator_traitsISG_E10value_typeET2_T3_PNSH_ISM_E10value_typeET4_T5_PSR_SS_PNS1_23onesweep_lookback_stateEbbT6_jjT7_P12ihipStream_tbENKUlT_T0_SG_SL_E_clISA_SA_SB_SB_EEDaSZ_S10_SG_SL_EUlSZ_E_NS1_11comp_targetILNS1_3genE10ELNS1_11target_archE1201ELNS1_3gpuE5ELNS1_3repE0EEENS1_47radix_sort_onesweep_sort_config_static_selectorELNS0_4arch9wavefront6targetE0EEEvSG_.has_indirect_call, 0
	.section	.AMDGPU.csdata,"",@progbits
; Kernel info:
; codeLenInByte = 0
; TotalNumSgprs: 0
; NumVgprs: 0
; ScratchSize: 0
; MemoryBound: 0
; FloatMode: 240
; IeeeMode: 1
; LDSByteSize: 0 bytes/workgroup (compile time only)
; SGPRBlocks: 0
; VGPRBlocks: 0
; NumSGPRsForWavesPerEU: 1
; NumVGPRsForWavesPerEU: 1
; NamedBarCnt: 0
; Occupancy: 16
; WaveLimiterHint : 0
; COMPUTE_PGM_RSRC2:SCRATCH_EN: 0
; COMPUTE_PGM_RSRC2:USER_SGPR: 2
; COMPUTE_PGM_RSRC2:TRAP_HANDLER: 0
; COMPUTE_PGM_RSRC2:TGID_X_EN: 1
; COMPUTE_PGM_RSRC2:TGID_Y_EN: 0
; COMPUTE_PGM_RSRC2:TGID_Z_EN: 0
; COMPUTE_PGM_RSRC2:TIDIG_COMP_CNT: 0
	.section	.text._ZN7rocprim17ROCPRIM_400000_NS6detail17trampoline_kernelINS0_14default_configENS1_35radix_sort_onesweep_config_selectorIdNS0_10empty_typeEEEZZNS1_29radix_sort_onesweep_iterationIS3_Lb1EPKdPdPS5_SB_mNS0_19identity_decomposerENS1_16block_id_wrapperIjLb0EEEEE10hipError_tT1_PNSt15iterator_traitsISG_E10value_typeET2_T3_PNSH_ISM_E10value_typeET4_T5_PSR_SS_PNS1_23onesweep_lookback_stateEbbT6_jjT7_P12ihipStream_tbENKUlT_T0_SG_SL_E_clISA_SA_SB_SB_EEDaSZ_S10_SG_SL_EUlSZ_E_NS1_11comp_targetILNS1_3genE9ELNS1_11target_archE1100ELNS1_3gpuE3ELNS1_3repE0EEENS1_47radix_sort_onesweep_sort_config_static_selectorELNS0_4arch9wavefront6targetE0EEEvSG_,"axG",@progbits,_ZN7rocprim17ROCPRIM_400000_NS6detail17trampoline_kernelINS0_14default_configENS1_35radix_sort_onesweep_config_selectorIdNS0_10empty_typeEEEZZNS1_29radix_sort_onesweep_iterationIS3_Lb1EPKdPdPS5_SB_mNS0_19identity_decomposerENS1_16block_id_wrapperIjLb0EEEEE10hipError_tT1_PNSt15iterator_traitsISG_E10value_typeET2_T3_PNSH_ISM_E10value_typeET4_T5_PSR_SS_PNS1_23onesweep_lookback_stateEbbT6_jjT7_P12ihipStream_tbENKUlT_T0_SG_SL_E_clISA_SA_SB_SB_EEDaSZ_S10_SG_SL_EUlSZ_E_NS1_11comp_targetILNS1_3genE9ELNS1_11target_archE1100ELNS1_3gpuE3ELNS1_3repE0EEENS1_47radix_sort_onesweep_sort_config_static_selectorELNS0_4arch9wavefront6targetE0EEEvSG_,comdat
	.protected	_ZN7rocprim17ROCPRIM_400000_NS6detail17trampoline_kernelINS0_14default_configENS1_35radix_sort_onesweep_config_selectorIdNS0_10empty_typeEEEZZNS1_29radix_sort_onesweep_iterationIS3_Lb1EPKdPdPS5_SB_mNS0_19identity_decomposerENS1_16block_id_wrapperIjLb0EEEEE10hipError_tT1_PNSt15iterator_traitsISG_E10value_typeET2_T3_PNSH_ISM_E10value_typeET4_T5_PSR_SS_PNS1_23onesweep_lookback_stateEbbT6_jjT7_P12ihipStream_tbENKUlT_T0_SG_SL_E_clISA_SA_SB_SB_EEDaSZ_S10_SG_SL_EUlSZ_E_NS1_11comp_targetILNS1_3genE9ELNS1_11target_archE1100ELNS1_3gpuE3ELNS1_3repE0EEENS1_47radix_sort_onesweep_sort_config_static_selectorELNS0_4arch9wavefront6targetE0EEEvSG_ ; -- Begin function _ZN7rocprim17ROCPRIM_400000_NS6detail17trampoline_kernelINS0_14default_configENS1_35radix_sort_onesweep_config_selectorIdNS0_10empty_typeEEEZZNS1_29radix_sort_onesweep_iterationIS3_Lb1EPKdPdPS5_SB_mNS0_19identity_decomposerENS1_16block_id_wrapperIjLb0EEEEE10hipError_tT1_PNSt15iterator_traitsISG_E10value_typeET2_T3_PNSH_ISM_E10value_typeET4_T5_PSR_SS_PNS1_23onesweep_lookback_stateEbbT6_jjT7_P12ihipStream_tbENKUlT_T0_SG_SL_E_clISA_SA_SB_SB_EEDaSZ_S10_SG_SL_EUlSZ_E_NS1_11comp_targetILNS1_3genE9ELNS1_11target_archE1100ELNS1_3gpuE3ELNS1_3repE0EEENS1_47radix_sort_onesweep_sort_config_static_selectorELNS0_4arch9wavefront6targetE0EEEvSG_
	.globl	_ZN7rocprim17ROCPRIM_400000_NS6detail17trampoline_kernelINS0_14default_configENS1_35radix_sort_onesweep_config_selectorIdNS0_10empty_typeEEEZZNS1_29radix_sort_onesweep_iterationIS3_Lb1EPKdPdPS5_SB_mNS0_19identity_decomposerENS1_16block_id_wrapperIjLb0EEEEE10hipError_tT1_PNSt15iterator_traitsISG_E10value_typeET2_T3_PNSH_ISM_E10value_typeET4_T5_PSR_SS_PNS1_23onesweep_lookback_stateEbbT6_jjT7_P12ihipStream_tbENKUlT_T0_SG_SL_E_clISA_SA_SB_SB_EEDaSZ_S10_SG_SL_EUlSZ_E_NS1_11comp_targetILNS1_3genE9ELNS1_11target_archE1100ELNS1_3gpuE3ELNS1_3repE0EEENS1_47radix_sort_onesweep_sort_config_static_selectorELNS0_4arch9wavefront6targetE0EEEvSG_
	.p2align	8
	.type	_ZN7rocprim17ROCPRIM_400000_NS6detail17trampoline_kernelINS0_14default_configENS1_35radix_sort_onesweep_config_selectorIdNS0_10empty_typeEEEZZNS1_29radix_sort_onesweep_iterationIS3_Lb1EPKdPdPS5_SB_mNS0_19identity_decomposerENS1_16block_id_wrapperIjLb0EEEEE10hipError_tT1_PNSt15iterator_traitsISG_E10value_typeET2_T3_PNSH_ISM_E10value_typeET4_T5_PSR_SS_PNS1_23onesweep_lookback_stateEbbT6_jjT7_P12ihipStream_tbENKUlT_T0_SG_SL_E_clISA_SA_SB_SB_EEDaSZ_S10_SG_SL_EUlSZ_E_NS1_11comp_targetILNS1_3genE9ELNS1_11target_archE1100ELNS1_3gpuE3ELNS1_3repE0EEENS1_47radix_sort_onesweep_sort_config_static_selectorELNS0_4arch9wavefront6targetE0EEEvSG_,@function
_ZN7rocprim17ROCPRIM_400000_NS6detail17trampoline_kernelINS0_14default_configENS1_35radix_sort_onesweep_config_selectorIdNS0_10empty_typeEEEZZNS1_29radix_sort_onesweep_iterationIS3_Lb1EPKdPdPS5_SB_mNS0_19identity_decomposerENS1_16block_id_wrapperIjLb0EEEEE10hipError_tT1_PNSt15iterator_traitsISG_E10value_typeET2_T3_PNSH_ISM_E10value_typeET4_T5_PSR_SS_PNS1_23onesweep_lookback_stateEbbT6_jjT7_P12ihipStream_tbENKUlT_T0_SG_SL_E_clISA_SA_SB_SB_EEDaSZ_S10_SG_SL_EUlSZ_E_NS1_11comp_targetILNS1_3genE9ELNS1_11target_archE1100ELNS1_3gpuE3ELNS1_3repE0EEENS1_47radix_sort_onesweep_sort_config_static_selectorELNS0_4arch9wavefront6targetE0EEEvSG_: ; @_ZN7rocprim17ROCPRIM_400000_NS6detail17trampoline_kernelINS0_14default_configENS1_35radix_sort_onesweep_config_selectorIdNS0_10empty_typeEEEZZNS1_29radix_sort_onesweep_iterationIS3_Lb1EPKdPdPS5_SB_mNS0_19identity_decomposerENS1_16block_id_wrapperIjLb0EEEEE10hipError_tT1_PNSt15iterator_traitsISG_E10value_typeET2_T3_PNSH_ISM_E10value_typeET4_T5_PSR_SS_PNS1_23onesweep_lookback_stateEbbT6_jjT7_P12ihipStream_tbENKUlT_T0_SG_SL_E_clISA_SA_SB_SB_EEDaSZ_S10_SG_SL_EUlSZ_E_NS1_11comp_targetILNS1_3genE9ELNS1_11target_archE1100ELNS1_3gpuE3ELNS1_3repE0EEENS1_47radix_sort_onesweep_sort_config_static_selectorELNS0_4arch9wavefront6targetE0EEEvSG_
; %bb.0:
	.section	.rodata,"a",@progbits
	.p2align	6, 0x0
	.amdhsa_kernel _ZN7rocprim17ROCPRIM_400000_NS6detail17trampoline_kernelINS0_14default_configENS1_35radix_sort_onesweep_config_selectorIdNS0_10empty_typeEEEZZNS1_29radix_sort_onesweep_iterationIS3_Lb1EPKdPdPS5_SB_mNS0_19identity_decomposerENS1_16block_id_wrapperIjLb0EEEEE10hipError_tT1_PNSt15iterator_traitsISG_E10value_typeET2_T3_PNSH_ISM_E10value_typeET4_T5_PSR_SS_PNS1_23onesweep_lookback_stateEbbT6_jjT7_P12ihipStream_tbENKUlT_T0_SG_SL_E_clISA_SA_SB_SB_EEDaSZ_S10_SG_SL_EUlSZ_E_NS1_11comp_targetILNS1_3genE9ELNS1_11target_archE1100ELNS1_3gpuE3ELNS1_3repE0EEENS1_47radix_sort_onesweep_sort_config_static_selectorELNS0_4arch9wavefront6targetE0EEEvSG_
		.amdhsa_group_segment_fixed_size 0
		.amdhsa_private_segment_fixed_size 0
		.amdhsa_kernarg_size 88
		.amdhsa_user_sgpr_count 2
		.amdhsa_user_sgpr_dispatch_ptr 0
		.amdhsa_user_sgpr_queue_ptr 0
		.amdhsa_user_sgpr_kernarg_segment_ptr 1
		.amdhsa_user_sgpr_dispatch_id 0
		.amdhsa_user_sgpr_kernarg_preload_length 0
		.amdhsa_user_sgpr_kernarg_preload_offset 0
		.amdhsa_user_sgpr_private_segment_size 0
		.amdhsa_wavefront_size32 1
		.amdhsa_uses_dynamic_stack 0
		.amdhsa_enable_private_segment 0
		.amdhsa_system_sgpr_workgroup_id_x 1
		.amdhsa_system_sgpr_workgroup_id_y 0
		.amdhsa_system_sgpr_workgroup_id_z 0
		.amdhsa_system_sgpr_workgroup_info 0
		.amdhsa_system_vgpr_workitem_id 0
		.amdhsa_next_free_vgpr 1
		.amdhsa_next_free_sgpr 1
		.amdhsa_named_barrier_count 0
		.amdhsa_reserve_vcc 0
		.amdhsa_float_round_mode_32 0
		.amdhsa_float_round_mode_16_64 0
		.amdhsa_float_denorm_mode_32 3
		.amdhsa_float_denorm_mode_16_64 3
		.amdhsa_fp16_overflow 0
		.amdhsa_memory_ordered 1
		.amdhsa_forward_progress 1
		.amdhsa_inst_pref_size 0
		.amdhsa_round_robin_scheduling 0
		.amdhsa_exception_fp_ieee_invalid_op 0
		.amdhsa_exception_fp_denorm_src 0
		.amdhsa_exception_fp_ieee_div_zero 0
		.amdhsa_exception_fp_ieee_overflow 0
		.amdhsa_exception_fp_ieee_underflow 0
		.amdhsa_exception_fp_ieee_inexact 0
		.amdhsa_exception_int_div_zero 0
	.end_amdhsa_kernel
	.section	.text._ZN7rocprim17ROCPRIM_400000_NS6detail17trampoline_kernelINS0_14default_configENS1_35radix_sort_onesweep_config_selectorIdNS0_10empty_typeEEEZZNS1_29radix_sort_onesweep_iterationIS3_Lb1EPKdPdPS5_SB_mNS0_19identity_decomposerENS1_16block_id_wrapperIjLb0EEEEE10hipError_tT1_PNSt15iterator_traitsISG_E10value_typeET2_T3_PNSH_ISM_E10value_typeET4_T5_PSR_SS_PNS1_23onesweep_lookback_stateEbbT6_jjT7_P12ihipStream_tbENKUlT_T0_SG_SL_E_clISA_SA_SB_SB_EEDaSZ_S10_SG_SL_EUlSZ_E_NS1_11comp_targetILNS1_3genE9ELNS1_11target_archE1100ELNS1_3gpuE3ELNS1_3repE0EEENS1_47radix_sort_onesweep_sort_config_static_selectorELNS0_4arch9wavefront6targetE0EEEvSG_,"axG",@progbits,_ZN7rocprim17ROCPRIM_400000_NS6detail17trampoline_kernelINS0_14default_configENS1_35radix_sort_onesweep_config_selectorIdNS0_10empty_typeEEEZZNS1_29radix_sort_onesweep_iterationIS3_Lb1EPKdPdPS5_SB_mNS0_19identity_decomposerENS1_16block_id_wrapperIjLb0EEEEE10hipError_tT1_PNSt15iterator_traitsISG_E10value_typeET2_T3_PNSH_ISM_E10value_typeET4_T5_PSR_SS_PNS1_23onesweep_lookback_stateEbbT6_jjT7_P12ihipStream_tbENKUlT_T0_SG_SL_E_clISA_SA_SB_SB_EEDaSZ_S10_SG_SL_EUlSZ_E_NS1_11comp_targetILNS1_3genE9ELNS1_11target_archE1100ELNS1_3gpuE3ELNS1_3repE0EEENS1_47radix_sort_onesweep_sort_config_static_selectorELNS0_4arch9wavefront6targetE0EEEvSG_,comdat
.Lfunc_end1552:
	.size	_ZN7rocprim17ROCPRIM_400000_NS6detail17trampoline_kernelINS0_14default_configENS1_35radix_sort_onesweep_config_selectorIdNS0_10empty_typeEEEZZNS1_29radix_sort_onesweep_iterationIS3_Lb1EPKdPdPS5_SB_mNS0_19identity_decomposerENS1_16block_id_wrapperIjLb0EEEEE10hipError_tT1_PNSt15iterator_traitsISG_E10value_typeET2_T3_PNSH_ISM_E10value_typeET4_T5_PSR_SS_PNS1_23onesweep_lookback_stateEbbT6_jjT7_P12ihipStream_tbENKUlT_T0_SG_SL_E_clISA_SA_SB_SB_EEDaSZ_S10_SG_SL_EUlSZ_E_NS1_11comp_targetILNS1_3genE9ELNS1_11target_archE1100ELNS1_3gpuE3ELNS1_3repE0EEENS1_47radix_sort_onesweep_sort_config_static_selectorELNS0_4arch9wavefront6targetE0EEEvSG_, .Lfunc_end1552-_ZN7rocprim17ROCPRIM_400000_NS6detail17trampoline_kernelINS0_14default_configENS1_35radix_sort_onesweep_config_selectorIdNS0_10empty_typeEEEZZNS1_29radix_sort_onesweep_iterationIS3_Lb1EPKdPdPS5_SB_mNS0_19identity_decomposerENS1_16block_id_wrapperIjLb0EEEEE10hipError_tT1_PNSt15iterator_traitsISG_E10value_typeET2_T3_PNSH_ISM_E10value_typeET4_T5_PSR_SS_PNS1_23onesweep_lookback_stateEbbT6_jjT7_P12ihipStream_tbENKUlT_T0_SG_SL_E_clISA_SA_SB_SB_EEDaSZ_S10_SG_SL_EUlSZ_E_NS1_11comp_targetILNS1_3genE9ELNS1_11target_archE1100ELNS1_3gpuE3ELNS1_3repE0EEENS1_47radix_sort_onesweep_sort_config_static_selectorELNS0_4arch9wavefront6targetE0EEEvSG_
                                        ; -- End function
	.set _ZN7rocprim17ROCPRIM_400000_NS6detail17trampoline_kernelINS0_14default_configENS1_35radix_sort_onesweep_config_selectorIdNS0_10empty_typeEEEZZNS1_29radix_sort_onesweep_iterationIS3_Lb1EPKdPdPS5_SB_mNS0_19identity_decomposerENS1_16block_id_wrapperIjLb0EEEEE10hipError_tT1_PNSt15iterator_traitsISG_E10value_typeET2_T3_PNSH_ISM_E10value_typeET4_T5_PSR_SS_PNS1_23onesweep_lookback_stateEbbT6_jjT7_P12ihipStream_tbENKUlT_T0_SG_SL_E_clISA_SA_SB_SB_EEDaSZ_S10_SG_SL_EUlSZ_E_NS1_11comp_targetILNS1_3genE9ELNS1_11target_archE1100ELNS1_3gpuE3ELNS1_3repE0EEENS1_47radix_sort_onesweep_sort_config_static_selectorELNS0_4arch9wavefront6targetE0EEEvSG_.num_vgpr, 0
	.set _ZN7rocprim17ROCPRIM_400000_NS6detail17trampoline_kernelINS0_14default_configENS1_35radix_sort_onesweep_config_selectorIdNS0_10empty_typeEEEZZNS1_29radix_sort_onesweep_iterationIS3_Lb1EPKdPdPS5_SB_mNS0_19identity_decomposerENS1_16block_id_wrapperIjLb0EEEEE10hipError_tT1_PNSt15iterator_traitsISG_E10value_typeET2_T3_PNSH_ISM_E10value_typeET4_T5_PSR_SS_PNS1_23onesweep_lookback_stateEbbT6_jjT7_P12ihipStream_tbENKUlT_T0_SG_SL_E_clISA_SA_SB_SB_EEDaSZ_S10_SG_SL_EUlSZ_E_NS1_11comp_targetILNS1_3genE9ELNS1_11target_archE1100ELNS1_3gpuE3ELNS1_3repE0EEENS1_47radix_sort_onesweep_sort_config_static_selectorELNS0_4arch9wavefront6targetE0EEEvSG_.num_agpr, 0
	.set _ZN7rocprim17ROCPRIM_400000_NS6detail17trampoline_kernelINS0_14default_configENS1_35radix_sort_onesweep_config_selectorIdNS0_10empty_typeEEEZZNS1_29radix_sort_onesweep_iterationIS3_Lb1EPKdPdPS5_SB_mNS0_19identity_decomposerENS1_16block_id_wrapperIjLb0EEEEE10hipError_tT1_PNSt15iterator_traitsISG_E10value_typeET2_T3_PNSH_ISM_E10value_typeET4_T5_PSR_SS_PNS1_23onesweep_lookback_stateEbbT6_jjT7_P12ihipStream_tbENKUlT_T0_SG_SL_E_clISA_SA_SB_SB_EEDaSZ_S10_SG_SL_EUlSZ_E_NS1_11comp_targetILNS1_3genE9ELNS1_11target_archE1100ELNS1_3gpuE3ELNS1_3repE0EEENS1_47radix_sort_onesweep_sort_config_static_selectorELNS0_4arch9wavefront6targetE0EEEvSG_.numbered_sgpr, 0
	.set _ZN7rocprim17ROCPRIM_400000_NS6detail17trampoline_kernelINS0_14default_configENS1_35radix_sort_onesweep_config_selectorIdNS0_10empty_typeEEEZZNS1_29radix_sort_onesweep_iterationIS3_Lb1EPKdPdPS5_SB_mNS0_19identity_decomposerENS1_16block_id_wrapperIjLb0EEEEE10hipError_tT1_PNSt15iterator_traitsISG_E10value_typeET2_T3_PNSH_ISM_E10value_typeET4_T5_PSR_SS_PNS1_23onesweep_lookback_stateEbbT6_jjT7_P12ihipStream_tbENKUlT_T0_SG_SL_E_clISA_SA_SB_SB_EEDaSZ_S10_SG_SL_EUlSZ_E_NS1_11comp_targetILNS1_3genE9ELNS1_11target_archE1100ELNS1_3gpuE3ELNS1_3repE0EEENS1_47radix_sort_onesweep_sort_config_static_selectorELNS0_4arch9wavefront6targetE0EEEvSG_.num_named_barrier, 0
	.set _ZN7rocprim17ROCPRIM_400000_NS6detail17trampoline_kernelINS0_14default_configENS1_35radix_sort_onesweep_config_selectorIdNS0_10empty_typeEEEZZNS1_29radix_sort_onesweep_iterationIS3_Lb1EPKdPdPS5_SB_mNS0_19identity_decomposerENS1_16block_id_wrapperIjLb0EEEEE10hipError_tT1_PNSt15iterator_traitsISG_E10value_typeET2_T3_PNSH_ISM_E10value_typeET4_T5_PSR_SS_PNS1_23onesweep_lookback_stateEbbT6_jjT7_P12ihipStream_tbENKUlT_T0_SG_SL_E_clISA_SA_SB_SB_EEDaSZ_S10_SG_SL_EUlSZ_E_NS1_11comp_targetILNS1_3genE9ELNS1_11target_archE1100ELNS1_3gpuE3ELNS1_3repE0EEENS1_47radix_sort_onesweep_sort_config_static_selectorELNS0_4arch9wavefront6targetE0EEEvSG_.private_seg_size, 0
	.set _ZN7rocprim17ROCPRIM_400000_NS6detail17trampoline_kernelINS0_14default_configENS1_35radix_sort_onesweep_config_selectorIdNS0_10empty_typeEEEZZNS1_29radix_sort_onesweep_iterationIS3_Lb1EPKdPdPS5_SB_mNS0_19identity_decomposerENS1_16block_id_wrapperIjLb0EEEEE10hipError_tT1_PNSt15iterator_traitsISG_E10value_typeET2_T3_PNSH_ISM_E10value_typeET4_T5_PSR_SS_PNS1_23onesweep_lookback_stateEbbT6_jjT7_P12ihipStream_tbENKUlT_T0_SG_SL_E_clISA_SA_SB_SB_EEDaSZ_S10_SG_SL_EUlSZ_E_NS1_11comp_targetILNS1_3genE9ELNS1_11target_archE1100ELNS1_3gpuE3ELNS1_3repE0EEENS1_47radix_sort_onesweep_sort_config_static_selectorELNS0_4arch9wavefront6targetE0EEEvSG_.uses_vcc, 0
	.set _ZN7rocprim17ROCPRIM_400000_NS6detail17trampoline_kernelINS0_14default_configENS1_35radix_sort_onesweep_config_selectorIdNS0_10empty_typeEEEZZNS1_29radix_sort_onesweep_iterationIS3_Lb1EPKdPdPS5_SB_mNS0_19identity_decomposerENS1_16block_id_wrapperIjLb0EEEEE10hipError_tT1_PNSt15iterator_traitsISG_E10value_typeET2_T3_PNSH_ISM_E10value_typeET4_T5_PSR_SS_PNS1_23onesweep_lookback_stateEbbT6_jjT7_P12ihipStream_tbENKUlT_T0_SG_SL_E_clISA_SA_SB_SB_EEDaSZ_S10_SG_SL_EUlSZ_E_NS1_11comp_targetILNS1_3genE9ELNS1_11target_archE1100ELNS1_3gpuE3ELNS1_3repE0EEENS1_47radix_sort_onesweep_sort_config_static_selectorELNS0_4arch9wavefront6targetE0EEEvSG_.uses_flat_scratch, 0
	.set _ZN7rocprim17ROCPRIM_400000_NS6detail17trampoline_kernelINS0_14default_configENS1_35radix_sort_onesweep_config_selectorIdNS0_10empty_typeEEEZZNS1_29radix_sort_onesweep_iterationIS3_Lb1EPKdPdPS5_SB_mNS0_19identity_decomposerENS1_16block_id_wrapperIjLb0EEEEE10hipError_tT1_PNSt15iterator_traitsISG_E10value_typeET2_T3_PNSH_ISM_E10value_typeET4_T5_PSR_SS_PNS1_23onesweep_lookback_stateEbbT6_jjT7_P12ihipStream_tbENKUlT_T0_SG_SL_E_clISA_SA_SB_SB_EEDaSZ_S10_SG_SL_EUlSZ_E_NS1_11comp_targetILNS1_3genE9ELNS1_11target_archE1100ELNS1_3gpuE3ELNS1_3repE0EEENS1_47radix_sort_onesweep_sort_config_static_selectorELNS0_4arch9wavefront6targetE0EEEvSG_.has_dyn_sized_stack, 0
	.set _ZN7rocprim17ROCPRIM_400000_NS6detail17trampoline_kernelINS0_14default_configENS1_35radix_sort_onesweep_config_selectorIdNS0_10empty_typeEEEZZNS1_29radix_sort_onesweep_iterationIS3_Lb1EPKdPdPS5_SB_mNS0_19identity_decomposerENS1_16block_id_wrapperIjLb0EEEEE10hipError_tT1_PNSt15iterator_traitsISG_E10value_typeET2_T3_PNSH_ISM_E10value_typeET4_T5_PSR_SS_PNS1_23onesweep_lookback_stateEbbT6_jjT7_P12ihipStream_tbENKUlT_T0_SG_SL_E_clISA_SA_SB_SB_EEDaSZ_S10_SG_SL_EUlSZ_E_NS1_11comp_targetILNS1_3genE9ELNS1_11target_archE1100ELNS1_3gpuE3ELNS1_3repE0EEENS1_47radix_sort_onesweep_sort_config_static_selectorELNS0_4arch9wavefront6targetE0EEEvSG_.has_recursion, 0
	.set _ZN7rocprim17ROCPRIM_400000_NS6detail17trampoline_kernelINS0_14default_configENS1_35radix_sort_onesweep_config_selectorIdNS0_10empty_typeEEEZZNS1_29radix_sort_onesweep_iterationIS3_Lb1EPKdPdPS5_SB_mNS0_19identity_decomposerENS1_16block_id_wrapperIjLb0EEEEE10hipError_tT1_PNSt15iterator_traitsISG_E10value_typeET2_T3_PNSH_ISM_E10value_typeET4_T5_PSR_SS_PNS1_23onesweep_lookback_stateEbbT6_jjT7_P12ihipStream_tbENKUlT_T0_SG_SL_E_clISA_SA_SB_SB_EEDaSZ_S10_SG_SL_EUlSZ_E_NS1_11comp_targetILNS1_3genE9ELNS1_11target_archE1100ELNS1_3gpuE3ELNS1_3repE0EEENS1_47radix_sort_onesweep_sort_config_static_selectorELNS0_4arch9wavefront6targetE0EEEvSG_.has_indirect_call, 0
	.section	.AMDGPU.csdata,"",@progbits
; Kernel info:
; codeLenInByte = 0
; TotalNumSgprs: 0
; NumVgprs: 0
; ScratchSize: 0
; MemoryBound: 0
; FloatMode: 240
; IeeeMode: 1
; LDSByteSize: 0 bytes/workgroup (compile time only)
; SGPRBlocks: 0
; VGPRBlocks: 0
; NumSGPRsForWavesPerEU: 1
; NumVGPRsForWavesPerEU: 1
; NamedBarCnt: 0
; Occupancy: 16
; WaveLimiterHint : 0
; COMPUTE_PGM_RSRC2:SCRATCH_EN: 0
; COMPUTE_PGM_RSRC2:USER_SGPR: 2
; COMPUTE_PGM_RSRC2:TRAP_HANDLER: 0
; COMPUTE_PGM_RSRC2:TGID_X_EN: 1
; COMPUTE_PGM_RSRC2:TGID_Y_EN: 0
; COMPUTE_PGM_RSRC2:TGID_Z_EN: 0
; COMPUTE_PGM_RSRC2:TIDIG_COMP_CNT: 0
	.section	.text._ZN7rocprim17ROCPRIM_400000_NS6detail17trampoline_kernelINS0_14default_configENS1_35radix_sort_onesweep_config_selectorIdNS0_10empty_typeEEEZZNS1_29radix_sort_onesweep_iterationIS3_Lb1EPKdPdPS5_SB_mNS0_19identity_decomposerENS1_16block_id_wrapperIjLb0EEEEE10hipError_tT1_PNSt15iterator_traitsISG_E10value_typeET2_T3_PNSH_ISM_E10value_typeET4_T5_PSR_SS_PNS1_23onesweep_lookback_stateEbbT6_jjT7_P12ihipStream_tbENKUlT_T0_SG_SL_E_clISA_SA_SB_SB_EEDaSZ_S10_SG_SL_EUlSZ_E_NS1_11comp_targetILNS1_3genE8ELNS1_11target_archE1030ELNS1_3gpuE2ELNS1_3repE0EEENS1_47radix_sort_onesweep_sort_config_static_selectorELNS0_4arch9wavefront6targetE0EEEvSG_,"axG",@progbits,_ZN7rocprim17ROCPRIM_400000_NS6detail17trampoline_kernelINS0_14default_configENS1_35radix_sort_onesweep_config_selectorIdNS0_10empty_typeEEEZZNS1_29radix_sort_onesweep_iterationIS3_Lb1EPKdPdPS5_SB_mNS0_19identity_decomposerENS1_16block_id_wrapperIjLb0EEEEE10hipError_tT1_PNSt15iterator_traitsISG_E10value_typeET2_T3_PNSH_ISM_E10value_typeET4_T5_PSR_SS_PNS1_23onesweep_lookback_stateEbbT6_jjT7_P12ihipStream_tbENKUlT_T0_SG_SL_E_clISA_SA_SB_SB_EEDaSZ_S10_SG_SL_EUlSZ_E_NS1_11comp_targetILNS1_3genE8ELNS1_11target_archE1030ELNS1_3gpuE2ELNS1_3repE0EEENS1_47radix_sort_onesweep_sort_config_static_selectorELNS0_4arch9wavefront6targetE0EEEvSG_,comdat
	.protected	_ZN7rocprim17ROCPRIM_400000_NS6detail17trampoline_kernelINS0_14default_configENS1_35radix_sort_onesweep_config_selectorIdNS0_10empty_typeEEEZZNS1_29radix_sort_onesweep_iterationIS3_Lb1EPKdPdPS5_SB_mNS0_19identity_decomposerENS1_16block_id_wrapperIjLb0EEEEE10hipError_tT1_PNSt15iterator_traitsISG_E10value_typeET2_T3_PNSH_ISM_E10value_typeET4_T5_PSR_SS_PNS1_23onesweep_lookback_stateEbbT6_jjT7_P12ihipStream_tbENKUlT_T0_SG_SL_E_clISA_SA_SB_SB_EEDaSZ_S10_SG_SL_EUlSZ_E_NS1_11comp_targetILNS1_3genE8ELNS1_11target_archE1030ELNS1_3gpuE2ELNS1_3repE0EEENS1_47radix_sort_onesweep_sort_config_static_selectorELNS0_4arch9wavefront6targetE0EEEvSG_ ; -- Begin function _ZN7rocprim17ROCPRIM_400000_NS6detail17trampoline_kernelINS0_14default_configENS1_35radix_sort_onesweep_config_selectorIdNS0_10empty_typeEEEZZNS1_29radix_sort_onesweep_iterationIS3_Lb1EPKdPdPS5_SB_mNS0_19identity_decomposerENS1_16block_id_wrapperIjLb0EEEEE10hipError_tT1_PNSt15iterator_traitsISG_E10value_typeET2_T3_PNSH_ISM_E10value_typeET4_T5_PSR_SS_PNS1_23onesweep_lookback_stateEbbT6_jjT7_P12ihipStream_tbENKUlT_T0_SG_SL_E_clISA_SA_SB_SB_EEDaSZ_S10_SG_SL_EUlSZ_E_NS1_11comp_targetILNS1_3genE8ELNS1_11target_archE1030ELNS1_3gpuE2ELNS1_3repE0EEENS1_47radix_sort_onesweep_sort_config_static_selectorELNS0_4arch9wavefront6targetE0EEEvSG_
	.globl	_ZN7rocprim17ROCPRIM_400000_NS6detail17trampoline_kernelINS0_14default_configENS1_35radix_sort_onesweep_config_selectorIdNS0_10empty_typeEEEZZNS1_29radix_sort_onesweep_iterationIS3_Lb1EPKdPdPS5_SB_mNS0_19identity_decomposerENS1_16block_id_wrapperIjLb0EEEEE10hipError_tT1_PNSt15iterator_traitsISG_E10value_typeET2_T3_PNSH_ISM_E10value_typeET4_T5_PSR_SS_PNS1_23onesweep_lookback_stateEbbT6_jjT7_P12ihipStream_tbENKUlT_T0_SG_SL_E_clISA_SA_SB_SB_EEDaSZ_S10_SG_SL_EUlSZ_E_NS1_11comp_targetILNS1_3genE8ELNS1_11target_archE1030ELNS1_3gpuE2ELNS1_3repE0EEENS1_47radix_sort_onesweep_sort_config_static_selectorELNS0_4arch9wavefront6targetE0EEEvSG_
	.p2align	8
	.type	_ZN7rocprim17ROCPRIM_400000_NS6detail17trampoline_kernelINS0_14default_configENS1_35radix_sort_onesweep_config_selectorIdNS0_10empty_typeEEEZZNS1_29radix_sort_onesweep_iterationIS3_Lb1EPKdPdPS5_SB_mNS0_19identity_decomposerENS1_16block_id_wrapperIjLb0EEEEE10hipError_tT1_PNSt15iterator_traitsISG_E10value_typeET2_T3_PNSH_ISM_E10value_typeET4_T5_PSR_SS_PNS1_23onesweep_lookback_stateEbbT6_jjT7_P12ihipStream_tbENKUlT_T0_SG_SL_E_clISA_SA_SB_SB_EEDaSZ_S10_SG_SL_EUlSZ_E_NS1_11comp_targetILNS1_3genE8ELNS1_11target_archE1030ELNS1_3gpuE2ELNS1_3repE0EEENS1_47radix_sort_onesweep_sort_config_static_selectorELNS0_4arch9wavefront6targetE0EEEvSG_,@function
_ZN7rocprim17ROCPRIM_400000_NS6detail17trampoline_kernelINS0_14default_configENS1_35radix_sort_onesweep_config_selectorIdNS0_10empty_typeEEEZZNS1_29radix_sort_onesweep_iterationIS3_Lb1EPKdPdPS5_SB_mNS0_19identity_decomposerENS1_16block_id_wrapperIjLb0EEEEE10hipError_tT1_PNSt15iterator_traitsISG_E10value_typeET2_T3_PNSH_ISM_E10value_typeET4_T5_PSR_SS_PNS1_23onesweep_lookback_stateEbbT6_jjT7_P12ihipStream_tbENKUlT_T0_SG_SL_E_clISA_SA_SB_SB_EEDaSZ_S10_SG_SL_EUlSZ_E_NS1_11comp_targetILNS1_3genE8ELNS1_11target_archE1030ELNS1_3gpuE2ELNS1_3repE0EEENS1_47radix_sort_onesweep_sort_config_static_selectorELNS0_4arch9wavefront6targetE0EEEvSG_: ; @_ZN7rocprim17ROCPRIM_400000_NS6detail17trampoline_kernelINS0_14default_configENS1_35radix_sort_onesweep_config_selectorIdNS0_10empty_typeEEEZZNS1_29radix_sort_onesweep_iterationIS3_Lb1EPKdPdPS5_SB_mNS0_19identity_decomposerENS1_16block_id_wrapperIjLb0EEEEE10hipError_tT1_PNSt15iterator_traitsISG_E10value_typeET2_T3_PNSH_ISM_E10value_typeET4_T5_PSR_SS_PNS1_23onesweep_lookback_stateEbbT6_jjT7_P12ihipStream_tbENKUlT_T0_SG_SL_E_clISA_SA_SB_SB_EEDaSZ_S10_SG_SL_EUlSZ_E_NS1_11comp_targetILNS1_3genE8ELNS1_11target_archE1030ELNS1_3gpuE2ELNS1_3repE0EEENS1_47radix_sort_onesweep_sort_config_static_selectorELNS0_4arch9wavefront6targetE0EEEvSG_
; %bb.0:
	.section	.rodata,"a",@progbits
	.p2align	6, 0x0
	.amdhsa_kernel _ZN7rocprim17ROCPRIM_400000_NS6detail17trampoline_kernelINS0_14default_configENS1_35radix_sort_onesweep_config_selectorIdNS0_10empty_typeEEEZZNS1_29radix_sort_onesweep_iterationIS3_Lb1EPKdPdPS5_SB_mNS0_19identity_decomposerENS1_16block_id_wrapperIjLb0EEEEE10hipError_tT1_PNSt15iterator_traitsISG_E10value_typeET2_T3_PNSH_ISM_E10value_typeET4_T5_PSR_SS_PNS1_23onesweep_lookback_stateEbbT6_jjT7_P12ihipStream_tbENKUlT_T0_SG_SL_E_clISA_SA_SB_SB_EEDaSZ_S10_SG_SL_EUlSZ_E_NS1_11comp_targetILNS1_3genE8ELNS1_11target_archE1030ELNS1_3gpuE2ELNS1_3repE0EEENS1_47radix_sort_onesweep_sort_config_static_selectorELNS0_4arch9wavefront6targetE0EEEvSG_
		.amdhsa_group_segment_fixed_size 0
		.amdhsa_private_segment_fixed_size 0
		.amdhsa_kernarg_size 88
		.amdhsa_user_sgpr_count 2
		.amdhsa_user_sgpr_dispatch_ptr 0
		.amdhsa_user_sgpr_queue_ptr 0
		.amdhsa_user_sgpr_kernarg_segment_ptr 1
		.amdhsa_user_sgpr_dispatch_id 0
		.amdhsa_user_sgpr_kernarg_preload_length 0
		.amdhsa_user_sgpr_kernarg_preload_offset 0
		.amdhsa_user_sgpr_private_segment_size 0
		.amdhsa_wavefront_size32 1
		.amdhsa_uses_dynamic_stack 0
		.amdhsa_enable_private_segment 0
		.amdhsa_system_sgpr_workgroup_id_x 1
		.amdhsa_system_sgpr_workgroup_id_y 0
		.amdhsa_system_sgpr_workgroup_id_z 0
		.amdhsa_system_sgpr_workgroup_info 0
		.amdhsa_system_vgpr_workitem_id 0
		.amdhsa_next_free_vgpr 1
		.amdhsa_next_free_sgpr 1
		.amdhsa_named_barrier_count 0
		.amdhsa_reserve_vcc 0
		.amdhsa_float_round_mode_32 0
		.amdhsa_float_round_mode_16_64 0
		.amdhsa_float_denorm_mode_32 3
		.amdhsa_float_denorm_mode_16_64 3
		.amdhsa_fp16_overflow 0
		.amdhsa_memory_ordered 1
		.amdhsa_forward_progress 1
		.amdhsa_inst_pref_size 0
		.amdhsa_round_robin_scheduling 0
		.amdhsa_exception_fp_ieee_invalid_op 0
		.amdhsa_exception_fp_denorm_src 0
		.amdhsa_exception_fp_ieee_div_zero 0
		.amdhsa_exception_fp_ieee_overflow 0
		.amdhsa_exception_fp_ieee_underflow 0
		.amdhsa_exception_fp_ieee_inexact 0
		.amdhsa_exception_int_div_zero 0
	.end_amdhsa_kernel
	.section	.text._ZN7rocprim17ROCPRIM_400000_NS6detail17trampoline_kernelINS0_14default_configENS1_35radix_sort_onesweep_config_selectorIdNS0_10empty_typeEEEZZNS1_29radix_sort_onesweep_iterationIS3_Lb1EPKdPdPS5_SB_mNS0_19identity_decomposerENS1_16block_id_wrapperIjLb0EEEEE10hipError_tT1_PNSt15iterator_traitsISG_E10value_typeET2_T3_PNSH_ISM_E10value_typeET4_T5_PSR_SS_PNS1_23onesweep_lookback_stateEbbT6_jjT7_P12ihipStream_tbENKUlT_T0_SG_SL_E_clISA_SA_SB_SB_EEDaSZ_S10_SG_SL_EUlSZ_E_NS1_11comp_targetILNS1_3genE8ELNS1_11target_archE1030ELNS1_3gpuE2ELNS1_3repE0EEENS1_47radix_sort_onesweep_sort_config_static_selectorELNS0_4arch9wavefront6targetE0EEEvSG_,"axG",@progbits,_ZN7rocprim17ROCPRIM_400000_NS6detail17trampoline_kernelINS0_14default_configENS1_35radix_sort_onesweep_config_selectorIdNS0_10empty_typeEEEZZNS1_29radix_sort_onesweep_iterationIS3_Lb1EPKdPdPS5_SB_mNS0_19identity_decomposerENS1_16block_id_wrapperIjLb0EEEEE10hipError_tT1_PNSt15iterator_traitsISG_E10value_typeET2_T3_PNSH_ISM_E10value_typeET4_T5_PSR_SS_PNS1_23onesweep_lookback_stateEbbT6_jjT7_P12ihipStream_tbENKUlT_T0_SG_SL_E_clISA_SA_SB_SB_EEDaSZ_S10_SG_SL_EUlSZ_E_NS1_11comp_targetILNS1_3genE8ELNS1_11target_archE1030ELNS1_3gpuE2ELNS1_3repE0EEENS1_47radix_sort_onesweep_sort_config_static_selectorELNS0_4arch9wavefront6targetE0EEEvSG_,comdat
.Lfunc_end1553:
	.size	_ZN7rocprim17ROCPRIM_400000_NS6detail17trampoline_kernelINS0_14default_configENS1_35radix_sort_onesweep_config_selectorIdNS0_10empty_typeEEEZZNS1_29radix_sort_onesweep_iterationIS3_Lb1EPKdPdPS5_SB_mNS0_19identity_decomposerENS1_16block_id_wrapperIjLb0EEEEE10hipError_tT1_PNSt15iterator_traitsISG_E10value_typeET2_T3_PNSH_ISM_E10value_typeET4_T5_PSR_SS_PNS1_23onesweep_lookback_stateEbbT6_jjT7_P12ihipStream_tbENKUlT_T0_SG_SL_E_clISA_SA_SB_SB_EEDaSZ_S10_SG_SL_EUlSZ_E_NS1_11comp_targetILNS1_3genE8ELNS1_11target_archE1030ELNS1_3gpuE2ELNS1_3repE0EEENS1_47radix_sort_onesweep_sort_config_static_selectorELNS0_4arch9wavefront6targetE0EEEvSG_, .Lfunc_end1553-_ZN7rocprim17ROCPRIM_400000_NS6detail17trampoline_kernelINS0_14default_configENS1_35radix_sort_onesweep_config_selectorIdNS0_10empty_typeEEEZZNS1_29radix_sort_onesweep_iterationIS3_Lb1EPKdPdPS5_SB_mNS0_19identity_decomposerENS1_16block_id_wrapperIjLb0EEEEE10hipError_tT1_PNSt15iterator_traitsISG_E10value_typeET2_T3_PNSH_ISM_E10value_typeET4_T5_PSR_SS_PNS1_23onesweep_lookback_stateEbbT6_jjT7_P12ihipStream_tbENKUlT_T0_SG_SL_E_clISA_SA_SB_SB_EEDaSZ_S10_SG_SL_EUlSZ_E_NS1_11comp_targetILNS1_3genE8ELNS1_11target_archE1030ELNS1_3gpuE2ELNS1_3repE0EEENS1_47radix_sort_onesweep_sort_config_static_selectorELNS0_4arch9wavefront6targetE0EEEvSG_
                                        ; -- End function
	.set _ZN7rocprim17ROCPRIM_400000_NS6detail17trampoline_kernelINS0_14default_configENS1_35radix_sort_onesweep_config_selectorIdNS0_10empty_typeEEEZZNS1_29radix_sort_onesweep_iterationIS3_Lb1EPKdPdPS5_SB_mNS0_19identity_decomposerENS1_16block_id_wrapperIjLb0EEEEE10hipError_tT1_PNSt15iterator_traitsISG_E10value_typeET2_T3_PNSH_ISM_E10value_typeET4_T5_PSR_SS_PNS1_23onesweep_lookback_stateEbbT6_jjT7_P12ihipStream_tbENKUlT_T0_SG_SL_E_clISA_SA_SB_SB_EEDaSZ_S10_SG_SL_EUlSZ_E_NS1_11comp_targetILNS1_3genE8ELNS1_11target_archE1030ELNS1_3gpuE2ELNS1_3repE0EEENS1_47radix_sort_onesweep_sort_config_static_selectorELNS0_4arch9wavefront6targetE0EEEvSG_.num_vgpr, 0
	.set _ZN7rocprim17ROCPRIM_400000_NS6detail17trampoline_kernelINS0_14default_configENS1_35radix_sort_onesweep_config_selectorIdNS0_10empty_typeEEEZZNS1_29radix_sort_onesweep_iterationIS3_Lb1EPKdPdPS5_SB_mNS0_19identity_decomposerENS1_16block_id_wrapperIjLb0EEEEE10hipError_tT1_PNSt15iterator_traitsISG_E10value_typeET2_T3_PNSH_ISM_E10value_typeET4_T5_PSR_SS_PNS1_23onesweep_lookback_stateEbbT6_jjT7_P12ihipStream_tbENKUlT_T0_SG_SL_E_clISA_SA_SB_SB_EEDaSZ_S10_SG_SL_EUlSZ_E_NS1_11comp_targetILNS1_3genE8ELNS1_11target_archE1030ELNS1_3gpuE2ELNS1_3repE0EEENS1_47radix_sort_onesweep_sort_config_static_selectorELNS0_4arch9wavefront6targetE0EEEvSG_.num_agpr, 0
	.set _ZN7rocprim17ROCPRIM_400000_NS6detail17trampoline_kernelINS0_14default_configENS1_35radix_sort_onesweep_config_selectorIdNS0_10empty_typeEEEZZNS1_29radix_sort_onesweep_iterationIS3_Lb1EPKdPdPS5_SB_mNS0_19identity_decomposerENS1_16block_id_wrapperIjLb0EEEEE10hipError_tT1_PNSt15iterator_traitsISG_E10value_typeET2_T3_PNSH_ISM_E10value_typeET4_T5_PSR_SS_PNS1_23onesweep_lookback_stateEbbT6_jjT7_P12ihipStream_tbENKUlT_T0_SG_SL_E_clISA_SA_SB_SB_EEDaSZ_S10_SG_SL_EUlSZ_E_NS1_11comp_targetILNS1_3genE8ELNS1_11target_archE1030ELNS1_3gpuE2ELNS1_3repE0EEENS1_47radix_sort_onesweep_sort_config_static_selectorELNS0_4arch9wavefront6targetE0EEEvSG_.numbered_sgpr, 0
	.set _ZN7rocprim17ROCPRIM_400000_NS6detail17trampoline_kernelINS0_14default_configENS1_35radix_sort_onesweep_config_selectorIdNS0_10empty_typeEEEZZNS1_29radix_sort_onesweep_iterationIS3_Lb1EPKdPdPS5_SB_mNS0_19identity_decomposerENS1_16block_id_wrapperIjLb0EEEEE10hipError_tT1_PNSt15iterator_traitsISG_E10value_typeET2_T3_PNSH_ISM_E10value_typeET4_T5_PSR_SS_PNS1_23onesweep_lookback_stateEbbT6_jjT7_P12ihipStream_tbENKUlT_T0_SG_SL_E_clISA_SA_SB_SB_EEDaSZ_S10_SG_SL_EUlSZ_E_NS1_11comp_targetILNS1_3genE8ELNS1_11target_archE1030ELNS1_3gpuE2ELNS1_3repE0EEENS1_47radix_sort_onesweep_sort_config_static_selectorELNS0_4arch9wavefront6targetE0EEEvSG_.num_named_barrier, 0
	.set _ZN7rocprim17ROCPRIM_400000_NS6detail17trampoline_kernelINS0_14default_configENS1_35radix_sort_onesweep_config_selectorIdNS0_10empty_typeEEEZZNS1_29radix_sort_onesweep_iterationIS3_Lb1EPKdPdPS5_SB_mNS0_19identity_decomposerENS1_16block_id_wrapperIjLb0EEEEE10hipError_tT1_PNSt15iterator_traitsISG_E10value_typeET2_T3_PNSH_ISM_E10value_typeET4_T5_PSR_SS_PNS1_23onesweep_lookback_stateEbbT6_jjT7_P12ihipStream_tbENKUlT_T0_SG_SL_E_clISA_SA_SB_SB_EEDaSZ_S10_SG_SL_EUlSZ_E_NS1_11comp_targetILNS1_3genE8ELNS1_11target_archE1030ELNS1_3gpuE2ELNS1_3repE0EEENS1_47radix_sort_onesweep_sort_config_static_selectorELNS0_4arch9wavefront6targetE0EEEvSG_.private_seg_size, 0
	.set _ZN7rocprim17ROCPRIM_400000_NS6detail17trampoline_kernelINS0_14default_configENS1_35radix_sort_onesweep_config_selectorIdNS0_10empty_typeEEEZZNS1_29radix_sort_onesweep_iterationIS3_Lb1EPKdPdPS5_SB_mNS0_19identity_decomposerENS1_16block_id_wrapperIjLb0EEEEE10hipError_tT1_PNSt15iterator_traitsISG_E10value_typeET2_T3_PNSH_ISM_E10value_typeET4_T5_PSR_SS_PNS1_23onesweep_lookback_stateEbbT6_jjT7_P12ihipStream_tbENKUlT_T0_SG_SL_E_clISA_SA_SB_SB_EEDaSZ_S10_SG_SL_EUlSZ_E_NS1_11comp_targetILNS1_3genE8ELNS1_11target_archE1030ELNS1_3gpuE2ELNS1_3repE0EEENS1_47radix_sort_onesweep_sort_config_static_selectorELNS0_4arch9wavefront6targetE0EEEvSG_.uses_vcc, 0
	.set _ZN7rocprim17ROCPRIM_400000_NS6detail17trampoline_kernelINS0_14default_configENS1_35radix_sort_onesweep_config_selectorIdNS0_10empty_typeEEEZZNS1_29radix_sort_onesweep_iterationIS3_Lb1EPKdPdPS5_SB_mNS0_19identity_decomposerENS1_16block_id_wrapperIjLb0EEEEE10hipError_tT1_PNSt15iterator_traitsISG_E10value_typeET2_T3_PNSH_ISM_E10value_typeET4_T5_PSR_SS_PNS1_23onesweep_lookback_stateEbbT6_jjT7_P12ihipStream_tbENKUlT_T0_SG_SL_E_clISA_SA_SB_SB_EEDaSZ_S10_SG_SL_EUlSZ_E_NS1_11comp_targetILNS1_3genE8ELNS1_11target_archE1030ELNS1_3gpuE2ELNS1_3repE0EEENS1_47radix_sort_onesweep_sort_config_static_selectorELNS0_4arch9wavefront6targetE0EEEvSG_.uses_flat_scratch, 0
	.set _ZN7rocprim17ROCPRIM_400000_NS6detail17trampoline_kernelINS0_14default_configENS1_35radix_sort_onesweep_config_selectorIdNS0_10empty_typeEEEZZNS1_29radix_sort_onesweep_iterationIS3_Lb1EPKdPdPS5_SB_mNS0_19identity_decomposerENS1_16block_id_wrapperIjLb0EEEEE10hipError_tT1_PNSt15iterator_traitsISG_E10value_typeET2_T3_PNSH_ISM_E10value_typeET4_T5_PSR_SS_PNS1_23onesweep_lookback_stateEbbT6_jjT7_P12ihipStream_tbENKUlT_T0_SG_SL_E_clISA_SA_SB_SB_EEDaSZ_S10_SG_SL_EUlSZ_E_NS1_11comp_targetILNS1_3genE8ELNS1_11target_archE1030ELNS1_3gpuE2ELNS1_3repE0EEENS1_47radix_sort_onesweep_sort_config_static_selectorELNS0_4arch9wavefront6targetE0EEEvSG_.has_dyn_sized_stack, 0
	.set _ZN7rocprim17ROCPRIM_400000_NS6detail17trampoline_kernelINS0_14default_configENS1_35radix_sort_onesweep_config_selectorIdNS0_10empty_typeEEEZZNS1_29radix_sort_onesweep_iterationIS3_Lb1EPKdPdPS5_SB_mNS0_19identity_decomposerENS1_16block_id_wrapperIjLb0EEEEE10hipError_tT1_PNSt15iterator_traitsISG_E10value_typeET2_T3_PNSH_ISM_E10value_typeET4_T5_PSR_SS_PNS1_23onesweep_lookback_stateEbbT6_jjT7_P12ihipStream_tbENKUlT_T0_SG_SL_E_clISA_SA_SB_SB_EEDaSZ_S10_SG_SL_EUlSZ_E_NS1_11comp_targetILNS1_3genE8ELNS1_11target_archE1030ELNS1_3gpuE2ELNS1_3repE0EEENS1_47radix_sort_onesweep_sort_config_static_selectorELNS0_4arch9wavefront6targetE0EEEvSG_.has_recursion, 0
	.set _ZN7rocprim17ROCPRIM_400000_NS6detail17trampoline_kernelINS0_14default_configENS1_35radix_sort_onesweep_config_selectorIdNS0_10empty_typeEEEZZNS1_29radix_sort_onesweep_iterationIS3_Lb1EPKdPdPS5_SB_mNS0_19identity_decomposerENS1_16block_id_wrapperIjLb0EEEEE10hipError_tT1_PNSt15iterator_traitsISG_E10value_typeET2_T3_PNSH_ISM_E10value_typeET4_T5_PSR_SS_PNS1_23onesweep_lookback_stateEbbT6_jjT7_P12ihipStream_tbENKUlT_T0_SG_SL_E_clISA_SA_SB_SB_EEDaSZ_S10_SG_SL_EUlSZ_E_NS1_11comp_targetILNS1_3genE8ELNS1_11target_archE1030ELNS1_3gpuE2ELNS1_3repE0EEENS1_47radix_sort_onesweep_sort_config_static_selectorELNS0_4arch9wavefront6targetE0EEEvSG_.has_indirect_call, 0
	.section	.AMDGPU.csdata,"",@progbits
; Kernel info:
; codeLenInByte = 0
; TotalNumSgprs: 0
; NumVgprs: 0
; ScratchSize: 0
; MemoryBound: 0
; FloatMode: 240
; IeeeMode: 1
; LDSByteSize: 0 bytes/workgroup (compile time only)
; SGPRBlocks: 0
; VGPRBlocks: 0
; NumSGPRsForWavesPerEU: 1
; NumVGPRsForWavesPerEU: 1
; NamedBarCnt: 0
; Occupancy: 16
; WaveLimiterHint : 0
; COMPUTE_PGM_RSRC2:SCRATCH_EN: 0
; COMPUTE_PGM_RSRC2:USER_SGPR: 2
; COMPUTE_PGM_RSRC2:TRAP_HANDLER: 0
; COMPUTE_PGM_RSRC2:TGID_X_EN: 1
; COMPUTE_PGM_RSRC2:TGID_Y_EN: 0
; COMPUTE_PGM_RSRC2:TGID_Z_EN: 0
; COMPUTE_PGM_RSRC2:TIDIG_COMP_CNT: 0
	.section	.text._ZN7rocprim17ROCPRIM_400000_NS6detail17trampoline_kernelINS0_13kernel_configILj256ELj4ELj4294967295EEENS1_37radix_sort_block_sort_config_selectorIdNS0_10empty_typeEEEZNS1_21radix_sort_block_sortIS4_Lb0EPKdPdPS6_SC_NS0_19identity_decomposerEEE10hipError_tT1_T2_T3_T4_jRjT5_jjP12ihipStream_tbEUlT_E_NS1_11comp_targetILNS1_3genE0ELNS1_11target_archE4294967295ELNS1_3gpuE0ELNS1_3repE0EEENS1_44radix_sort_block_sort_config_static_selectorELNS0_4arch9wavefront6targetE0EEEvSF_,"axG",@progbits,_ZN7rocprim17ROCPRIM_400000_NS6detail17trampoline_kernelINS0_13kernel_configILj256ELj4ELj4294967295EEENS1_37radix_sort_block_sort_config_selectorIdNS0_10empty_typeEEEZNS1_21radix_sort_block_sortIS4_Lb0EPKdPdPS6_SC_NS0_19identity_decomposerEEE10hipError_tT1_T2_T3_T4_jRjT5_jjP12ihipStream_tbEUlT_E_NS1_11comp_targetILNS1_3genE0ELNS1_11target_archE4294967295ELNS1_3gpuE0ELNS1_3repE0EEENS1_44radix_sort_block_sort_config_static_selectorELNS0_4arch9wavefront6targetE0EEEvSF_,comdat
	.protected	_ZN7rocprim17ROCPRIM_400000_NS6detail17trampoline_kernelINS0_13kernel_configILj256ELj4ELj4294967295EEENS1_37radix_sort_block_sort_config_selectorIdNS0_10empty_typeEEEZNS1_21radix_sort_block_sortIS4_Lb0EPKdPdPS6_SC_NS0_19identity_decomposerEEE10hipError_tT1_T2_T3_T4_jRjT5_jjP12ihipStream_tbEUlT_E_NS1_11comp_targetILNS1_3genE0ELNS1_11target_archE4294967295ELNS1_3gpuE0ELNS1_3repE0EEENS1_44radix_sort_block_sort_config_static_selectorELNS0_4arch9wavefront6targetE0EEEvSF_ ; -- Begin function _ZN7rocprim17ROCPRIM_400000_NS6detail17trampoline_kernelINS0_13kernel_configILj256ELj4ELj4294967295EEENS1_37radix_sort_block_sort_config_selectorIdNS0_10empty_typeEEEZNS1_21radix_sort_block_sortIS4_Lb0EPKdPdPS6_SC_NS0_19identity_decomposerEEE10hipError_tT1_T2_T3_T4_jRjT5_jjP12ihipStream_tbEUlT_E_NS1_11comp_targetILNS1_3genE0ELNS1_11target_archE4294967295ELNS1_3gpuE0ELNS1_3repE0EEENS1_44radix_sort_block_sort_config_static_selectorELNS0_4arch9wavefront6targetE0EEEvSF_
	.globl	_ZN7rocprim17ROCPRIM_400000_NS6detail17trampoline_kernelINS0_13kernel_configILj256ELj4ELj4294967295EEENS1_37radix_sort_block_sort_config_selectorIdNS0_10empty_typeEEEZNS1_21radix_sort_block_sortIS4_Lb0EPKdPdPS6_SC_NS0_19identity_decomposerEEE10hipError_tT1_T2_T3_T4_jRjT5_jjP12ihipStream_tbEUlT_E_NS1_11comp_targetILNS1_3genE0ELNS1_11target_archE4294967295ELNS1_3gpuE0ELNS1_3repE0EEENS1_44radix_sort_block_sort_config_static_selectorELNS0_4arch9wavefront6targetE0EEEvSF_
	.p2align	8
	.type	_ZN7rocprim17ROCPRIM_400000_NS6detail17trampoline_kernelINS0_13kernel_configILj256ELj4ELj4294967295EEENS1_37radix_sort_block_sort_config_selectorIdNS0_10empty_typeEEEZNS1_21radix_sort_block_sortIS4_Lb0EPKdPdPS6_SC_NS0_19identity_decomposerEEE10hipError_tT1_T2_T3_T4_jRjT5_jjP12ihipStream_tbEUlT_E_NS1_11comp_targetILNS1_3genE0ELNS1_11target_archE4294967295ELNS1_3gpuE0ELNS1_3repE0EEENS1_44radix_sort_block_sort_config_static_selectorELNS0_4arch9wavefront6targetE0EEEvSF_,@function
_ZN7rocprim17ROCPRIM_400000_NS6detail17trampoline_kernelINS0_13kernel_configILj256ELj4ELj4294967295EEENS1_37radix_sort_block_sort_config_selectorIdNS0_10empty_typeEEEZNS1_21radix_sort_block_sortIS4_Lb0EPKdPdPS6_SC_NS0_19identity_decomposerEEE10hipError_tT1_T2_T3_T4_jRjT5_jjP12ihipStream_tbEUlT_E_NS1_11comp_targetILNS1_3genE0ELNS1_11target_archE4294967295ELNS1_3gpuE0ELNS1_3repE0EEENS1_44radix_sort_block_sort_config_static_selectorELNS0_4arch9wavefront6targetE0EEEvSF_: ; @_ZN7rocprim17ROCPRIM_400000_NS6detail17trampoline_kernelINS0_13kernel_configILj256ELj4ELj4294967295EEENS1_37radix_sort_block_sort_config_selectorIdNS0_10empty_typeEEEZNS1_21radix_sort_block_sortIS4_Lb0EPKdPdPS6_SC_NS0_19identity_decomposerEEE10hipError_tT1_T2_T3_T4_jRjT5_jjP12ihipStream_tbEUlT_E_NS1_11comp_targetILNS1_3genE0ELNS1_11target_archE4294967295ELNS1_3gpuE0ELNS1_3repE0EEENS1_44radix_sort_block_sort_config_static_selectorELNS0_4arch9wavefront6targetE0EEEvSF_
; %bb.0:
	s_clause 0x1
	s_load_b32 s4, s[0:1], 0x20
	s_load_b128 s[20:23], s[0:1], 0x0
	s_bfe_u32 s5, ttmp6, 0x4000c
	s_and_b32 s2, ttmp6, 15
	s_add_co_i32 s5, s5, 1
	s_getreg_b32 s6, hwreg(HW_REG_IB_STS2, 6, 4)
	s_mul_i32 s5, ttmp9, s5
	v_and_b32_e32 v20, 0x3ff, v0
	s_add_co_i32 s2, s2, s5
	s_cmp_eq_u32 s6, 0
	v_mbcnt_lo_u32_b32 v14, -1, 0
	s_cselect_b32 s5, ttmp9, s2
	v_dual_mov_b32 v11, 0 :: v_dual_lshlrev_b32 v1, 2, v20
	s_lshl_b32 s2, s5, 10
	s_mov_b32 s3, 0
	v_lshlrev_b32_e32 v10, 3, v14
	s_delay_alu instid0(VALU_DEP_2) | instskip(SKIP_2) | instid1(SALU_CYCLE_1)
	v_and_b32_e32 v1, 0x380, v1
	s_wait_kmcnt 0x0
	s_lshr_b32 s8, s4, 10
	s_cmp_lg_u32 s5, s8
	s_cselect_b32 s29, -1, 0
	s_lshl_b64 s[24:25], s[2:3], 3
	s_cmp_eq_u32 s5, s8
	s_add_nc_u64 s[6:7], s[20:21], s[24:25]
	s_mov_b32 s5, -1
	v_add_nc_u64_e32 v[2:3], s[6:7], v[10:11]
	v_lshlrev_b32_e32 v10, 3, v1
	s_delay_alu instid0(VALU_DEP_1)
	v_add_nc_u64_e32 v[12:13], v[2:3], v[10:11]
                                        ; implicit-def: $vgpr2_vgpr3_vgpr4_vgpr5_vgpr6_vgpr7_vgpr8_vgpr9
	s_cbranch_scc0 .LBB1554_26
; %bb.1:
	s_load_b64 s[20:21], s[0:1], 0x28
	s_and_not1_b32 vcc_lo, exec_lo, s5
	s_sub_co_i32 s28, s4, s2
	s_cbranch_vccz .LBB1554_27
.LBB1554_2:
	s_and_saveexec_b32 s2, s3
	s_cbranch_execz .LBB1554_4
.LBB1554_3:
	global_load_b64 v[8:9], v[12:13], off offset:768
.LBB1554_4:
	s_wait_xcnt 0x0
	s_or_b32 exec_lo, exec_lo, s2
	s_load_b32 s1, s[0:1], 0x3c
	s_wait_loadcnt 0x2
	v_cmp_lt_i64_e32 vcc_lo, -1, v[2:3]
	v_bfe_u32 v19, v0, 10, 10
	v_bfe_u32 v0, v0, 20, 10
	s_wait_loadcnt 0x0
	v_dual_ashrrev_i32 v11, 31, v3 :: v_dual_ashrrev_i32 v13, 31, v5
	v_dual_ashrrev_i32 v16, 31, v7 :: v_dual_ashrrev_i32 v18, 31, v9
	v_cndmask_b32_e64 v1, -1, 0x80000000, vcc_lo
	v_cmp_lt_i64_e32 vcc_lo, -1, v[4:5]
	v_and_b32_e32 v24, 0x3e0, v20
	v_dual_lshlrev_b32 v21, 5, v20 :: v_dual_bitop2_b32 v22, 15, v14 bitop3:0x40
	s_get_pc_i64 s[2:3]
	s_add_nc_u64 s[2:3], s[2:3], _ZN7rocprim17ROCPRIM_400000_NS16block_radix_sortIdLj256ELj4ENS0_10empty_typeELj1ELj1ELj0ELNS0_26block_radix_rank_algorithmE1ELNS0_18block_padding_hintE2ELNS0_4arch9wavefront6targetE0EE19radix_bits_per_passE@rel64+4
	s_mov_b32 s14, 0
	s_load_b32 s30, s[2:3], 0x0
	v_cndmask_b32_e64 v12, -1, 0x80000000, vcc_lo
	v_cmp_lt_i64_e32 vcc_lo, -1, v[6:7]
	s_wait_xcnt 0x0
	v_cmp_lt_u32_e64 s2, 1, v22
	v_cmp_lt_u32_e64 s3, 3, v22
	s_wait_kmcnt 0x0
	s_lshr_b32 s0, s1, 16
	s_and_b32 s1, s1, 0xffff
	v_mad_u32_u24 v0, v0, s0, v19
	v_sub_co_u32 v19, s0, v14, 1
	v_cndmask_b32_e64 v15, -1, 0x80000000, vcc_lo
	v_cmp_lt_i64_e32 vcc_lo, -1, v[8:9]
	s_delay_alu instid0(VALU_DEP_4)
	v_mad_u32 v25, v0, s1, v20
	v_xor_b32_e32 v0, v11, v2
	v_xor_b32_e32 v2, v13, v4
	;; [unrolled: 1-line block ×4, first 2 shown]
	v_min_u32_e32 v8, 0xe0, v24
	v_cndmask_b32_e64 v17, -1, 0x80000000, vcc_lo
	v_cmp_gt_i32_e32 vcc_lo, 0, v19
	v_and_b32_e32 v23, 16, v14
	v_xor_b32_e32 v1, v1, v3
	v_or_b32_e32 v8, 31, v8
	v_cmp_eq_u32_e64 s1, 0, v22
	v_cmp_lt_u32_e64 s4, 7, v22
	v_and_b32_e32 v11, 7, v14
	s_mov_b32 s15, s14
	v_cmp_eq_u32_e64 s6, v20, v8
	v_dual_cndmask_b32 v8, v19, v14, vcc_lo :: v_dual_bitop2_b32 v3, v12, v5 bitop3:0x14
	v_xor_b32_e32 v5, v15, v7
	v_xor_b32_e32 v7, v17, v9
	v_lshrrev_b32_e32 v9, 3, v25
	v_mul_i32_i24_e32 v12, 0xffffffe4, v20
	s_mov_b32 s16, s14
	s_mov_b32 s17, s14
	v_cmp_eq_u32_e64 s5, 0, v23
	v_and_b32_e32 v22, 0x1ffffffc, v9
	v_lshrrev_b32_e32 v9, 3, v20
	v_lshlrev_b32_e32 v23, 2, v8
	v_cmp_eq_u32_e64 s10, 0, v11
	v_cmp_lt_u32_e64 s11, 1, v11
	v_cmp_lt_u32_e64 s12, 3, v11
	v_and_b32_e32 v24, 0x7c, v9
	v_lshl_add_u32 v26, v14, 3, v10
	v_mov_b64_e32 v[8:9], s[14:15]
	v_mov_b64_e32 v[10:11], s[16:17]
	v_cmp_gt_u32_e64 s7, 8, v20
	v_cmp_lt_u32_e64 s8, 31, v20
	v_cmp_eq_u32_e64 s9, 0, v20
	v_add_nc_u32_e32 v25, -4, v24
	v_add_nc_u32_e32 v27, v21, v12
	s_mov_b64 s[26:27], 0x7fffffffffffffff
	s_add_co_i32 s31, s21, s20
	s_branch .LBB1554_6
.LBB1554_5:                             ;   in Loop: Header=BB1554_6 Depth=1
	s_and_not1_b32 vcc_lo, exec_lo, s13
	s_cbranch_vccz .LBB1554_22
.LBB1554_6:                             ; =>This Inner Loop Header: Depth=1
	v_mov_b64_e32 v[12:13], v[0:1]
	s_min_u32 s13, s30, s21
	ds_store_2addr_b64 v21, v[8:9], v[10:11] offset0:4 offset1:5
	ds_store_2addr_b64 v21, v[8:9], v[10:11] offset0:6 offset1:7
	s_lshl_b32 s33, -1, s13
	s_wait_dscnt 0x0
	s_barrier_signal -1
	s_barrier_wait -1
	v_cmp_ne_u64_e32 vcc_lo, s[26:27], v[12:13]
	; wave barrier
	v_cndmask_b32_e32 v1, 0x80000000, v13, vcc_lo
	v_cndmask_b32_e32 v0, 0, v12, vcc_lo
	s_delay_alu instid0(VALU_DEP_1) | instskip(NEXT) | instid1(VALU_DEP_1)
	v_lshrrev_b64 v[0:1], s20, v[0:1]
	v_bitop3_b32 v1, v0, 1, s33 bitop3:0x40
	v_bitop3_b32 v29, v0, s33, v0 bitop3:0x30
	s_delay_alu instid0(VALU_DEP_2) | instskip(NEXT) | instid1(VALU_DEP_1)
	v_add_co_u32 v0, s13, v1, -1
	v_cndmask_b32_e64 v1, 0, 1, s13
	s_delay_alu instid0(VALU_DEP_3) | instskip(SKIP_2) | instid1(VALU_DEP_4)
	v_dual_lshlrev_b32 v14, 30, v29 :: v_dual_lshlrev_b32 v15, 29, v29
	v_dual_lshlrev_b32 v16, 28, v29 :: v_dual_lshlrev_b32 v17, 27, v29
	v_lshlrev_b32_e32 v18, 26, v29
	v_cmp_ne_u32_e32 vcc_lo, 0, v1
	s_delay_alu instid0(VALU_DEP_4)
	v_not_b32_e32 v1, v14
	v_cmp_gt_i32_e64 s13, 0, v14
	v_cmp_gt_i32_e64 s14, 0, v15
	v_not_b32_e32 v14, v15
	v_not_b32_e32 v15, v16
	v_dual_ashrrev_i32 v1, 31, v1 :: v_dual_bitop2_b32 v0, vcc_lo, v0 bitop3:0x14
	v_dual_lshlrev_b32 v19, 25, v29 :: v_dual_lshlrev_b32 v28, 24, v29
	v_cmp_gt_i32_e64 s15, 0, v16
	v_cmp_gt_i32_e64 s16, 0, v17
	v_not_b32_e32 v16, v17
	v_not_b32_e32 v17, v18
	v_dual_ashrrev_i32 v14, 31, v14 :: v_dual_ashrrev_i32 v15, 31, v15
	v_xor_b32_e32 v1, s13, v1
	v_cmp_gt_i32_e64 s17, 0, v18
	v_cmp_gt_i32_e64 s18, 0, v19
	v_not_b32_e32 v18, v19
	v_not_b32_e32 v19, v28
	v_dual_ashrrev_i32 v16, 31, v16 :: v_dual_ashrrev_i32 v17, 31, v17
	v_xor_b32_e32 v14, s14, v14
	v_xor_b32_e32 v15, s15, v15
	v_bitop3_b32 v0, v0, v1, exec_lo bitop3:0x80
	v_cmp_gt_i32_e64 s19, 0, v28
	v_dual_ashrrev_i32 v1, 31, v18 :: v_dual_ashrrev_i32 v18, 31, v19
	v_xor_b32_e32 v16, s16, v16
	v_xor_b32_e32 v17, s17, v17
	v_bitop3_b32 v0, v0, v15, v14 bitop3:0x80
	s_delay_alu instid0(VALU_DEP_4) | instskip(SKIP_2) | instid1(VALU_DEP_4)
	v_xor_b32_e32 v1, s18, v1
	v_xor_b32_e32 v14, s19, v18
	v_mov_b64_e32 v[18:19], v[2:3]
	v_bitop3_b32 v0, v0, v17, v16 bitop3:0x80
	v_mov_b64_e32 v[16:17], v[4:5]
	s_delay_alu instid0(VALU_DEP_2) | instskip(SKIP_2) | instid1(VALU_DEP_3)
	v_bitop3_b32 v0, v0, v14, v1 bitop3:0x80
	v_lshlrev_b32_e32 v1, 5, v29
	v_mov_b64_e32 v[14:15], v[6:7]
	v_mbcnt_lo_u32_b32 v28, v0, 0
	v_cmp_ne_u32_e64 s13, 0, v0
	s_delay_alu instid0(VALU_DEP_4) | instskip(NEXT) | instid1(VALU_DEP_3)
	v_add_nc_u32_e32 v29, v22, v1
	v_cmp_eq_u32_e32 vcc_lo, 0, v28
	s_and_b32 s14, s13, vcc_lo
	s_delay_alu instid0(SALU_CYCLE_1)
	s_and_saveexec_b32 s13, s14
; %bb.7:                                ;   in Loop: Header=BB1554_6 Depth=1
	v_bcnt_u32_b32 v0, v0, 0
	ds_store_b32 v29, v0 offset:32
; %bb.8:                                ;   in Loop: Header=BB1554_6 Depth=1
	s_or_b32 exec_lo, exec_lo, s13
	v_cmp_ne_u64_e32 vcc_lo, s[26:27], v[18:19]
	s_not_b32 s33, s33
	; wave barrier
	v_cndmask_b32_e32 v1, 0x80000000, v19, vcc_lo
	v_cndmask_b32_e32 v0, 0, v18, vcc_lo
	s_delay_alu instid0(VALU_DEP_1) | instskip(NEXT) | instid1(VALU_DEP_1)
	v_lshrrev_b64 v[0:1], s20, v[0:1]
	v_and_b32_e32 v1, s33, v0
	v_bitop3_b32 v0, v0, 1, s33 bitop3:0x80
	s_delay_alu instid0(VALU_DEP_2) | instskip(NEXT) | instid1(VALU_DEP_2)
	v_lshlrev_b32_e32 v4, 30, v1
	v_add_co_u32 v0, s13, v0, -1
	s_delay_alu instid0(VALU_DEP_1) | instskip(NEXT) | instid1(VALU_DEP_1)
	v_cndmask_b32_e64 v3, 0, 1, s13
	v_cmp_ne_u32_e32 vcc_lo, 0, v3
	s_delay_alu instid0(VALU_DEP_4) | instskip(NEXT) | instid1(VALU_DEP_1)
	v_not_b32_e32 v3, v4
	v_dual_ashrrev_i32 v3, 31, v3 :: v_dual_bitop2_b32 v0, vcc_lo, v0 bitop3:0x14
	v_dual_lshlrev_b32 v5, 29, v1 :: v_dual_lshlrev_b32 v6, 28, v1
	v_dual_lshlrev_b32 v7, 27, v1 :: v_dual_lshlrev_b32 v30, 26, v1
	v_lshlrev_b32_e32 v31, 25, v1
	v_cmp_gt_i32_e64 s13, 0, v4
	s_delay_alu instid0(VALU_DEP_4)
	v_cmp_gt_i32_e64 s14, 0, v5
	v_not_b32_e32 v4, v5
	v_not_b32_e32 v5, v6
	v_dual_lshlrev_b32 v2, 5, v1 :: v_dual_lshlrev_b32 v1, 24, v1
	v_cmp_gt_i32_e64 s15, 0, v6
	v_cmp_gt_i32_e64 s16, 0, v7
	v_not_b32_e32 v6, v7
	v_not_b32_e32 v7, v30
	v_dual_ashrrev_i32 v4, 31, v4 :: v_dual_ashrrev_i32 v5, 31, v5
	v_xor_b32_e32 v3, s13, v3
	v_cmp_gt_i32_e64 s17, 0, v30
	v_not_b32_e32 v30, v31
	v_cmp_gt_i32_e64 s19, 0, v1
	v_not_b32_e32 v1, v1
	v_dual_ashrrev_i32 v6, 31, v6 :: v_dual_ashrrev_i32 v7, 31, v7
	v_xor_b32_e32 v4, s14, v4
	v_xor_b32_e32 v5, s15, v5
	v_bitop3_b32 v0, v0, v3, exec_lo bitop3:0x80
	v_cmp_gt_i32_e64 s18, 0, v31
	v_dual_ashrrev_i32 v3, 31, v30 :: v_dual_ashrrev_i32 v1, 31, v1
	v_xor_b32_e32 v6, s16, v6
	v_dual_add_nc_u32 v31, v22, v2 :: v_dual_bitop2_b32 v7, s17, v7 bitop3:0x14
	v_bitop3_b32 v0, v0, v5, v4 bitop3:0x80
	s_delay_alu instid0(VALU_DEP_4) | instskip(SKIP_3) | instid1(VALU_DEP_1)
	v_xor_b32_e32 v2, s18, v3
	v_xor_b32_e32 v1, s19, v1
	ds_load_b32 v30, v31 offset:32
	v_bitop3_b32 v0, v0, v7, v6 bitop3:0x80
	; wave barrier
	v_bitop3_b32 v0, v0, v1, v2 bitop3:0x80
	s_delay_alu instid0(VALU_DEP_1) | instskip(SKIP_1) | instid1(VALU_DEP_2)
	v_mbcnt_lo_u32_b32 v32, v0, 0
	v_cmp_ne_u32_e64 s13, 0, v0
	v_cmp_eq_u32_e32 vcc_lo, 0, v32
	s_and_b32 s14, s13, vcc_lo
	s_delay_alu instid0(SALU_CYCLE_1)
	s_and_saveexec_b32 s13, s14
	s_cbranch_execz .LBB1554_10
; %bb.9:                                ;   in Loop: Header=BB1554_6 Depth=1
	s_wait_dscnt 0x0
	v_bcnt_u32_b32 v0, v0, v30
	ds_store_b32 v31, v0 offset:32
.LBB1554_10:                            ;   in Loop: Header=BB1554_6 Depth=1
	s_or_b32 exec_lo, exec_lo, s13
	v_cmp_ne_u64_e32 vcc_lo, s[26:27], v[16:17]
	; wave barrier
	v_cndmask_b32_e32 v1, 0x80000000, v17, vcc_lo
	v_cndmask_b32_e32 v0, 0, v16, vcc_lo
	s_delay_alu instid0(VALU_DEP_1) | instskip(NEXT) | instid1(VALU_DEP_1)
	v_lshrrev_b64 v[0:1], s20, v[0:1]
	v_and_b32_e32 v1, s33, v0
	v_bitop3_b32 v0, v0, 1, s33 bitop3:0x80
	s_delay_alu instid0(VALU_DEP_2) | instskip(NEXT) | instid1(VALU_DEP_2)
	v_lshlrev_b32_e32 v4, 30, v1
	v_add_co_u32 v0, s13, v0, -1
	s_delay_alu instid0(VALU_DEP_1) | instskip(NEXT) | instid1(VALU_DEP_1)
	v_cndmask_b32_e64 v3, 0, 1, s13
	v_cmp_ne_u32_e32 vcc_lo, 0, v3
	s_delay_alu instid0(VALU_DEP_4) | instskip(NEXT) | instid1(VALU_DEP_1)
	v_not_b32_e32 v3, v4
	v_dual_ashrrev_i32 v3, 31, v3 :: v_dual_bitop2_b32 v0, vcc_lo, v0 bitop3:0x14
	v_dual_lshlrev_b32 v5, 29, v1 :: v_dual_lshlrev_b32 v6, 28, v1
	v_dual_lshlrev_b32 v7, 27, v1 :: v_dual_lshlrev_b32 v33, 26, v1
	v_lshlrev_b32_e32 v34, 25, v1
	v_cmp_gt_i32_e64 s13, 0, v4
	s_delay_alu instid0(VALU_DEP_4)
	v_cmp_gt_i32_e64 s14, 0, v5
	v_not_b32_e32 v4, v5
	v_not_b32_e32 v5, v6
	v_dual_lshlrev_b32 v2, 5, v1 :: v_dual_lshlrev_b32 v1, 24, v1
	v_cmp_gt_i32_e64 s15, 0, v6
	v_cmp_gt_i32_e64 s16, 0, v7
	v_not_b32_e32 v6, v7
	v_not_b32_e32 v7, v33
	v_dual_ashrrev_i32 v4, 31, v4 :: v_dual_ashrrev_i32 v5, 31, v5
	v_xor_b32_e32 v3, s13, v3
	v_cmp_gt_i32_e64 s17, 0, v33
	v_not_b32_e32 v33, v34
	v_cmp_gt_i32_e64 s19, 0, v1
	v_not_b32_e32 v1, v1
	v_dual_ashrrev_i32 v6, 31, v6 :: v_dual_ashrrev_i32 v7, 31, v7
	v_xor_b32_e32 v4, s14, v4
	v_dual_add_nc_u32 v35, v22, v2 :: v_dual_bitop2_b32 v5, s15, v5 bitop3:0x14
	v_bitop3_b32 v0, v0, v3, exec_lo bitop3:0x80
	v_cmp_gt_i32_e64 s18, 0, v34
	v_ashrrev_i32_e32 v3, 31, v33
	v_dual_ashrrev_i32 v1, 31, v1 :: v_dual_bitop2_b32 v6, s16, v6 bitop3:0x14
	v_xor_b32_e32 v7, s17, v7
	v_bitop3_b32 v0, v0, v5, v4 bitop3:0x80
	s_delay_alu instid0(VALU_DEP_4) | instskip(NEXT) | instid1(VALU_DEP_4)
	v_xor_b32_e32 v2, s18, v3
	v_xor_b32_e32 v1, s19, v1
	ds_load_b32 v33, v35 offset:32
	v_bitop3_b32 v0, v0, v7, v6 bitop3:0x80
	; wave barrier
	s_delay_alu instid0(VALU_DEP_1) | instskip(NEXT) | instid1(VALU_DEP_1)
	v_bitop3_b32 v0, v0, v1, v2 bitop3:0x80
	v_mbcnt_lo_u32_b32 v34, v0, 0
	v_cmp_ne_u32_e64 s13, 0, v0
	s_delay_alu instid0(VALU_DEP_2) | instskip(SKIP_1) | instid1(SALU_CYCLE_1)
	v_cmp_eq_u32_e32 vcc_lo, 0, v34
	s_and_b32 s14, s13, vcc_lo
	s_and_saveexec_b32 s13, s14
	s_cbranch_execz .LBB1554_12
; %bb.11:                               ;   in Loop: Header=BB1554_6 Depth=1
	s_wait_dscnt 0x0
	v_bcnt_u32_b32 v0, v0, v33
	ds_store_b32 v35, v0 offset:32
.LBB1554_12:                            ;   in Loop: Header=BB1554_6 Depth=1
	s_or_b32 exec_lo, exec_lo, s13
	v_cmp_ne_u64_e32 vcc_lo, s[26:27], v[14:15]
	; wave barrier
	v_cndmask_b32_e32 v1, 0x80000000, v15, vcc_lo
	v_cndmask_b32_e32 v0, 0, v14, vcc_lo
	s_delay_alu instid0(VALU_DEP_1) | instskip(NEXT) | instid1(VALU_DEP_1)
	v_lshrrev_b64 v[0:1], s20, v[0:1]
	v_and_b32_e32 v1, s33, v0
	v_bitop3_b32 v0, v0, 1, s33 bitop3:0x80
	s_delay_alu instid0(VALU_DEP_2) | instskip(NEXT) | instid1(VALU_DEP_2)
	v_lshlrev_b32_e32 v4, 30, v1
	v_add_co_u32 v0, s13, v0, -1
	s_delay_alu instid0(VALU_DEP_1) | instskip(NEXT) | instid1(VALU_DEP_1)
	v_cndmask_b32_e64 v3, 0, 1, s13
	v_cmp_ne_u32_e32 vcc_lo, 0, v3
	s_delay_alu instid0(VALU_DEP_4) | instskip(NEXT) | instid1(VALU_DEP_1)
	v_not_b32_e32 v3, v4
	v_dual_ashrrev_i32 v3, 31, v3 :: v_dual_bitop2_b32 v0, vcc_lo, v0 bitop3:0x14
	v_dual_lshlrev_b32 v5, 29, v1 :: v_dual_lshlrev_b32 v6, 28, v1
	v_dual_lshlrev_b32 v7, 27, v1 :: v_dual_lshlrev_b32 v36, 26, v1
	v_lshlrev_b32_e32 v37, 25, v1
	v_cmp_gt_i32_e64 s13, 0, v4
	s_delay_alu instid0(VALU_DEP_4)
	v_cmp_gt_i32_e64 s14, 0, v5
	v_not_b32_e32 v4, v5
	v_not_b32_e32 v5, v6
	v_dual_lshlrev_b32 v2, 5, v1 :: v_dual_lshlrev_b32 v1, 24, v1
	v_cmp_gt_i32_e64 s15, 0, v6
	v_cmp_gt_i32_e64 s16, 0, v7
	v_not_b32_e32 v6, v7
	v_not_b32_e32 v7, v36
	v_dual_ashrrev_i32 v4, 31, v4 :: v_dual_ashrrev_i32 v5, 31, v5
	v_xor_b32_e32 v3, s13, v3
	v_cmp_gt_i32_e64 s17, 0, v36
	v_not_b32_e32 v36, v37
	v_cmp_gt_i32_e64 s19, 0, v1
	v_not_b32_e32 v1, v1
	v_dual_ashrrev_i32 v6, 31, v6 :: v_dual_ashrrev_i32 v7, 31, v7
	v_xor_b32_e32 v4, s14, v4
	v_xor_b32_e32 v5, s15, v5
	v_bitop3_b32 v0, v0, v3, exec_lo bitop3:0x80
	v_cmp_gt_i32_e64 s18, 0, v37
	v_dual_ashrrev_i32 v3, 31, v36 :: v_dual_ashrrev_i32 v1, 31, v1
	v_xor_b32_e32 v6, s16, v6
	v_dual_add_nc_u32 v38, v22, v2 :: v_dual_bitop2_b32 v7, s17, v7 bitop3:0x14
	v_bitop3_b32 v0, v0, v5, v4 bitop3:0x80
	s_delay_alu instid0(VALU_DEP_4) | instskip(SKIP_3) | instid1(VALU_DEP_1)
	v_xor_b32_e32 v2, s18, v3
	v_xor_b32_e32 v1, s19, v1
	ds_load_b32 v36, v38 offset:32
	v_bitop3_b32 v0, v0, v7, v6 bitop3:0x80
	; wave barrier
	v_bitop3_b32 v0, v0, v1, v2 bitop3:0x80
	s_delay_alu instid0(VALU_DEP_1) | instskip(SKIP_1) | instid1(VALU_DEP_2)
	v_mbcnt_lo_u32_b32 v37, v0, 0
	v_cmp_ne_u32_e64 s13, 0, v0
	v_cmp_eq_u32_e32 vcc_lo, 0, v37
	s_and_b32 s14, s13, vcc_lo
	s_delay_alu instid0(SALU_CYCLE_1)
	s_and_saveexec_b32 s13, s14
	s_cbranch_execz .LBB1554_14
; %bb.13:                               ;   in Loop: Header=BB1554_6 Depth=1
	s_wait_dscnt 0x0
	v_bcnt_u32_b32 v0, v0, v36
	ds_store_b32 v38, v0 offset:32
.LBB1554_14:                            ;   in Loop: Header=BB1554_6 Depth=1
	s_or_b32 exec_lo, exec_lo, s13
	; wave barrier
	s_wait_dscnt 0x0
	s_barrier_signal -1
	s_barrier_wait -1
	ds_load_2addr_b64 v[4:7], v21 offset0:4 offset1:5
	ds_load_2addr_b64 v[0:3], v21 offset0:6 offset1:7
	s_wait_dscnt 0x1
	v_add_nc_u32_e32 v39, v5, v4
	s_delay_alu instid0(VALU_DEP_1) | instskip(SKIP_1) | instid1(VALU_DEP_1)
	v_add3_u32 v39, v39, v6, v7
	s_wait_dscnt 0x0
	v_add3_u32 v39, v39, v0, v1
	s_delay_alu instid0(VALU_DEP_1) | instskip(NEXT) | instid1(VALU_DEP_1)
	v_add3_u32 v3, v39, v2, v3
	v_mov_b32_dpp v39, v3 row_shr:1 row_mask:0xf bank_mask:0xf
	s_delay_alu instid0(VALU_DEP_1) | instskip(NEXT) | instid1(VALU_DEP_1)
	v_cndmask_b32_e64 v39, v39, 0, s1
	v_add_nc_u32_e32 v3, v39, v3
	s_delay_alu instid0(VALU_DEP_1) | instskip(NEXT) | instid1(VALU_DEP_1)
	v_mov_b32_dpp v39, v3 row_shr:2 row_mask:0xf bank_mask:0xf
	v_cndmask_b32_e64 v39, 0, v39, s2
	s_delay_alu instid0(VALU_DEP_1) | instskip(NEXT) | instid1(VALU_DEP_1)
	v_add_nc_u32_e32 v3, v3, v39
	v_mov_b32_dpp v39, v3 row_shr:4 row_mask:0xf bank_mask:0xf
	s_delay_alu instid0(VALU_DEP_1) | instskip(NEXT) | instid1(VALU_DEP_1)
	v_cndmask_b32_e64 v39, 0, v39, s3
	v_add_nc_u32_e32 v3, v3, v39
	s_delay_alu instid0(VALU_DEP_1) | instskip(NEXT) | instid1(VALU_DEP_1)
	v_mov_b32_dpp v39, v3 row_shr:8 row_mask:0xf bank_mask:0xf
	v_cndmask_b32_e64 v39, 0, v39, s4
	s_delay_alu instid0(VALU_DEP_1) | instskip(SKIP_3) | instid1(VALU_DEP_1)
	v_add_nc_u32_e32 v3, v3, v39
	ds_swizzle_b32 v39, v3 offset:swizzle(BROADCAST,32,15)
	s_wait_dscnt 0x0
	v_cndmask_b32_e64 v39, v39, 0, s5
	v_add_nc_u32_e32 v3, v3, v39
	s_and_saveexec_b32 s13, s6
; %bb.15:                               ;   in Loop: Header=BB1554_6 Depth=1
	ds_store_b32 v24, v3
; %bb.16:                               ;   in Loop: Header=BB1554_6 Depth=1
	s_or_b32 exec_lo, exec_lo, s13
	s_wait_dscnt 0x0
	s_barrier_signal -1
	s_barrier_wait -1
	s_and_saveexec_b32 s13, s7
	s_cbranch_execz .LBB1554_18
; %bb.17:                               ;   in Loop: Header=BB1554_6 Depth=1
	ds_load_b32 v39, v27
	s_wait_dscnt 0x0
	v_mov_b32_dpp v40, v39 row_shr:1 row_mask:0xf bank_mask:0xf
	s_delay_alu instid0(VALU_DEP_1) | instskip(NEXT) | instid1(VALU_DEP_1)
	v_cndmask_b32_e64 v40, v40, 0, s10
	v_add_nc_u32_e32 v39, v40, v39
	s_delay_alu instid0(VALU_DEP_1) | instskip(NEXT) | instid1(VALU_DEP_1)
	v_mov_b32_dpp v40, v39 row_shr:2 row_mask:0xf bank_mask:0xf
	v_cndmask_b32_e64 v40, 0, v40, s11
	s_delay_alu instid0(VALU_DEP_1) | instskip(NEXT) | instid1(VALU_DEP_1)
	v_add_nc_u32_e32 v39, v39, v40
	v_mov_b32_dpp v40, v39 row_shr:4 row_mask:0xf bank_mask:0xf
	s_delay_alu instid0(VALU_DEP_1) | instskip(NEXT) | instid1(VALU_DEP_1)
	v_cndmask_b32_e64 v40, 0, v40, s12
	v_add_nc_u32_e32 v39, v39, v40
	ds_store_b32 v27, v39
.LBB1554_18:                            ;   in Loop: Header=BB1554_6 Depth=1
	s_or_b32 exec_lo, exec_lo, s13
	v_mov_b32_e32 v39, 0
	s_wait_dscnt 0x0
	s_barrier_signal -1
	s_barrier_wait -1
	s_and_saveexec_b32 s13, s8
; %bb.19:                               ;   in Loop: Header=BB1554_6 Depth=1
	ds_load_b32 v39, v25
; %bb.20:                               ;   in Loop: Header=BB1554_6 Depth=1
	s_or_b32 exec_lo, exec_lo, s13
	s_wait_dscnt 0x0
	v_add_nc_u32_e32 v3, v39, v3
	s_add_co_i32 s20, s20, 8
	s_mov_b32 s13, -1
	s_cmp_ge_u32 s20, s31
	ds_bpermute_b32 v3, v23, v3
	s_wait_dscnt 0x0
	v_cndmask_b32_e64 v3, v3, v39, s0
	s_delay_alu instid0(VALU_DEP_1) | instskip(NEXT) | instid1(VALU_DEP_1)
	v_cndmask_b32_e64 v40, v3, 0, s9
	v_add_nc_u32_e32 v41, v40, v4
	s_delay_alu instid0(VALU_DEP_1) | instskip(NEXT) | instid1(VALU_DEP_1)
	v_add_nc_u32_e32 v4, v41, v5
	v_add_nc_u32_e32 v5, v4, v6
	s_delay_alu instid0(VALU_DEP_1) | instskip(NEXT) | instid1(VALU_DEP_1)
	v_add_nc_u32_e32 v6, v5, v7
	;; [unrolled: 3-line block ×3, first 2 shown]
	v_add_nc_u32_e32 v1, v0, v2
	ds_store_2addr_b64 v21, v[40:41], v[4:5] offset0:4 offset1:5
	ds_store_2addr_b64 v21, v[6:7], v[0:1] offset0:6 offset1:7
	s_wait_dscnt 0x0
	s_barrier_signal -1
	s_barrier_wait -1
	ds_load_b32 v0, v31 offset:32
	ds_load_b32 v1, v35 offset:32
	;; [unrolled: 1-line block ×4, first 2 shown]
	v_lshlrev_b32_e32 v4, 3, v28
	v_dual_lshlrev_b32 v5, 3, v32 :: v_dual_lshlrev_b32 v6, 3, v30
	v_dual_lshlrev_b32 v7, 3, v34 :: v_dual_lshlrev_b32 v30, 3, v33
	;; [unrolled: 1-line block ×3, first 2 shown]
	s_wait_dscnt 0x0
	v_dual_lshlrev_b32 v0, 3, v0 :: v_dual_lshlrev_b32 v1, 3, v1
	v_lshlrev_b32_e32 v2, 3, v2
	v_lshl_add_u32 v28, v3, 3, v4
	s_delay_alu instid0(VALU_DEP_3) | instskip(NEXT) | instid1(VALU_DEP_4)
	v_add3_u32 v29, v5, v6, v0
	v_add3_u32 v30, v7, v30, v1
	s_delay_alu instid0(VALU_DEP_4)
	v_add3_u32 v31, v31, v32, v2
                                        ; implicit-def: $vgpr6_vgpr7
                                        ; implicit-def: $vgpr2_vgpr3
	s_cbranch_scc1 .LBB1554_5
; %bb.21:                               ;   in Loop: Header=BB1554_6 Depth=1
	s_barrier_signal -1
	s_barrier_wait -1
	ds_store_b64 v28, v[12:13]
	ds_store_b64 v29, v[18:19]
	;; [unrolled: 1-line block ×4, first 2 shown]
	s_wait_dscnt 0x0
	s_barrier_signal -1
	s_barrier_wait -1
	ds_load_2addr_b64 v[0:3], v26 offset1:32
	ds_load_2addr_b64 v[4:7], v26 offset0:64 offset1:96
	s_add_co_i32 s21, s21, -8
	s_mov_b32 s13, 0
	s_wait_dscnt 0x0
	s_barrier_signal -1
	s_barrier_wait -1
	s_branch .LBB1554_5
.LBB1554_22:
	v_dual_mov_b32 v5, 0 :: v_dual_lshlrev_b32 v4, 3, v20
	s_barrier_signal -1
	s_barrier_wait -1
	ds_store_b64 v28, v[12:13]
	ds_store_b64 v29, v[18:19]
	;; [unrolled: 1-line block ×4, first 2 shown]
	s_wait_dscnt 0x0
	s_barrier_signal -1
	s_barrier_wait -1
	ds_load_2addr_stride64_b64 v[8:11], v4 offset1:4
	ds_load_2addr_stride64_b64 v[0:3], v4 offset0:8 offset1:12
	s_add_nc_u64 s[0:1], s[22:23], s[24:25]
	s_delay_alu instid0(SALU_CYCLE_1)
	v_add_nc_u64_e32 v[4:5], s[0:1], v[4:5]
	s_mov_b32 s1, -1
	s_mov_b32 s0, 0
	s_wait_dscnt 0x1
	v_cmp_lt_i64_e32 vcc_lo, -1, v[8:9]
	v_dual_ashrrev_i32 v7, 31, v9 :: v_dual_ashrrev_i32 v13, 31, v11
	s_delay_alu instid0(VALU_DEP_1) | instskip(SKIP_2) | instid1(VALU_DEP_3)
	v_not_b32_e32 v16, v7
	v_cndmask_b32_e64 v6, 0x80000000, -1, vcc_lo
	v_cmp_lt_i64_e32 vcc_lo, -1, v[10:11]
	v_xor_b32_e32 v8, v16, v8
	s_delay_alu instid0(VALU_DEP_3) | instskip(SKIP_4) | instid1(VALU_DEP_3)
	v_xor_b32_e32 v9, v6, v9
	v_not_b32_e32 v6, v13
	v_cndmask_b32_e64 v12, 0x80000000, -1, vcc_lo
	s_wait_dscnt 0x0
	v_cmp_lt_i64_e32 vcc_lo, -1, v[0:1]
	v_dual_ashrrev_i32 v14, 31, v1 :: v_dual_bitop2_b32 v6, v6, v10 bitop3:0x14
	s_delay_alu instid0(VALU_DEP_3) | instskip(NEXT) | instid1(VALU_DEP_2)
	v_xor_b32_e32 v7, v12, v11
	v_not_b32_e32 v13, v14
	v_cndmask_b32_e64 v15, 0x80000000, -1, vcc_lo
	s_and_not1_b32 vcc_lo, exec_lo, s29
	s_delay_alu instid0(VALU_DEP_2) | instskip(NEXT) | instid1(VALU_DEP_2)
	v_xor_b32_e32 v0, v13, v0
	v_xor_b32_e32 v1, v15, v1
	s_cbranch_vccz .LBB1554_34
; %bb.23:
	s_and_not1_b32 vcc_lo, exec_lo, s1
	s_cbranch_vccz .LBB1554_35
.LBB1554_24:
	s_wait_xcnt 0x0
	s_and_saveexec_b32 s1, s0
	s_cbranch_execnz .LBB1554_42
.LBB1554_25:
	s_endpgm
.LBB1554_26:
	s_clause 0x2
	global_load_b64 v[2:3], v[12:13], off
	global_load_b64 v[4:5], v[12:13], off offset:256
	global_load_b64 v[6:7], v[12:13], off offset:512
	s_mov_b32 s3, -1
	s_load_b64 s[20:21], s[0:1], 0x28
	s_sub_co_i32 s28, s4, s2
	s_cbranch_execnz .LBB1554_2
.LBB1554_27:
	s_wait_loadcnt 0x2
	v_dual_mov_b32 v2, -1 :: v_dual_bitop2_b32 v1, v14, v1 bitop3:0x54
	v_bfrev_b32_e32 v3, -2
	s_mov_b32 s2, exec_lo
	s_wait_loadcnt 0x1
	s_delay_alu instid0(VALU_DEP_1)
	v_dual_mov_b32 v4, v2 :: v_dual_mov_b32 v5, v3
	s_wait_loadcnt 0x0
	v_dual_mov_b32 v6, v2 :: v_dual_mov_b32 v7, v3
	v_dual_mov_b32 v8, v2 :: v_dual_mov_b32 v9, v3
	v_cmpx_gt_u32_e64 s28, v1
	s_cbranch_execz .LBB1554_29
; %bb.28:
	global_load_b64 v[22:23], v[12:13], off
	v_dual_mov_b32 v24, v2 :: v_dual_mov_b32 v25, v3
	v_dual_mov_b32 v26, v2 :: v_dual_mov_b32 v27, v3
	;; [unrolled: 1-line block ×3, first 2 shown]
	s_wait_loadcnt 0x0
	v_mov_b64_e32 v[2:3], v[22:23]
	v_mov_b64_e32 v[4:5], v[24:25]
	;; [unrolled: 1-line block ×4, first 2 shown]
.LBB1554_29:
	s_or_b32 exec_lo, exec_lo, s2
	v_or_b32_e32 v11, 32, v1
	s_mov_b32 s2, exec_lo
	s_delay_alu instid0(VALU_DEP_1)
	v_cmpx_gt_u32_e64 s28, v11
	s_cbranch_execz .LBB1554_31
; %bb.30:
	global_load_b64 v[4:5], v[12:13], off offset:256
.LBB1554_31:
	s_wait_xcnt 0x0
	s_or_b32 exec_lo, exec_lo, s2
	v_or_b32_e32 v11, 64, v1
	s_mov_b32 s2, exec_lo
	s_delay_alu instid0(VALU_DEP_1)
	v_cmpx_gt_u32_e64 s28, v11
	s_cbranch_execz .LBB1554_33
; %bb.32:
	global_load_b64 v[6:7], v[12:13], off offset:512
.LBB1554_33:
	s_wait_xcnt 0x0
	s_or_b32 exec_lo, exec_lo, s2
	v_or_b32_e32 v1, 0x60, v1
	s_delay_alu instid0(VALU_DEP_1)
	v_cmp_gt_u32_e64 s3, s28, v1
	s_and_saveexec_b32 s2, s3
	s_cbranch_execnz .LBB1554_3
	s_branch .LBB1554_4
.LBB1554_34:
	s_mov_b32 s0, -1
	s_clause 0x2
	global_store_b64 v[4:5], v[8:9], off
	global_store_b64 v[4:5], v[6:7], off offset:2048
	global_store_b64 v[4:5], v[0:1], off offset:4096
	s_cbranch_execnz .LBB1554_24
.LBB1554_35:
	s_mov_b32 s0, exec_lo
	s_wait_xcnt 0x0
	v_cmpx_gt_u32_e64 s28, v20
	s_cbranch_execz .LBB1554_37
; %bb.36:
	global_store_b64 v[4:5], v[8:9], off
.LBB1554_37:
	s_wait_xcnt 0x0
	s_or_b32 exec_lo, exec_lo, s0
	v_add_nc_u32_e32 v8, 0x100, v20
	s_mov_b32 s0, exec_lo
	s_delay_alu instid0(VALU_DEP_1)
	v_cmpx_gt_u32_e64 s28, v8
	s_cbranch_execz .LBB1554_39
; %bb.38:
	global_store_b64 v[4:5], v[6:7], off offset:2048
.LBB1554_39:
	s_wait_xcnt 0x0
	s_or_b32 exec_lo, exec_lo, s0
	v_add_nc_u32_e32 v6, 0x200, v20
	s_mov_b32 s0, exec_lo
	s_delay_alu instid0(VALU_DEP_1)
	v_cmpx_gt_u32_e64 s28, v6
	s_cbranch_execz .LBB1554_41
; %bb.40:
	global_store_b64 v[4:5], v[0:1], off offset:4096
.LBB1554_41:
	s_wait_xcnt 0x0
	s_or_b32 exec_lo, exec_lo, s0
	v_add_nc_u32_e32 v0, 0x300, v20
	s_delay_alu instid0(VALU_DEP_1)
	v_cmp_gt_u32_e64 s0, s28, v0
	s_and_saveexec_b32 s1, s0
	s_cbranch_execz .LBB1554_25
.LBB1554_42:
	v_cmp_lt_i64_e32 vcc_lo, -1, v[2:3]
	v_cndmask_b32_e64 v1, 0x80000000, -1, vcc_lo
	s_delay_alu instid0(VALU_DEP_1) | instskip(NEXT) | instid1(VALU_DEP_1)
	v_dual_ashrrev_i32 v0, 31, v3 :: v_dual_bitop2_b32 v1, v1, v3 bitop3:0x14
	v_not_b32_e32 v0, v0
	s_delay_alu instid0(VALU_DEP_1)
	v_xor_b32_e32 v0, v0, v2
	global_store_b64 v[4:5], v[0:1], off offset:6144
	s_endpgm
	.section	.rodata,"a",@progbits
	.p2align	6, 0x0
	.amdhsa_kernel _ZN7rocprim17ROCPRIM_400000_NS6detail17trampoline_kernelINS0_13kernel_configILj256ELj4ELj4294967295EEENS1_37radix_sort_block_sort_config_selectorIdNS0_10empty_typeEEEZNS1_21radix_sort_block_sortIS4_Lb0EPKdPdPS6_SC_NS0_19identity_decomposerEEE10hipError_tT1_T2_T3_T4_jRjT5_jjP12ihipStream_tbEUlT_E_NS1_11comp_targetILNS1_3genE0ELNS1_11target_archE4294967295ELNS1_3gpuE0ELNS1_3repE0EEENS1_44radix_sort_block_sort_config_static_selectorELNS0_4arch9wavefront6targetE0EEEvSF_
		.amdhsa_group_segment_fixed_size 8224
		.amdhsa_private_segment_fixed_size 0
		.amdhsa_kernarg_size 304
		.amdhsa_user_sgpr_count 2
		.amdhsa_user_sgpr_dispatch_ptr 0
		.amdhsa_user_sgpr_queue_ptr 0
		.amdhsa_user_sgpr_kernarg_segment_ptr 1
		.amdhsa_user_sgpr_dispatch_id 0
		.amdhsa_user_sgpr_kernarg_preload_length 0
		.amdhsa_user_sgpr_kernarg_preload_offset 0
		.amdhsa_user_sgpr_private_segment_size 0
		.amdhsa_wavefront_size32 1
		.amdhsa_uses_dynamic_stack 0
		.amdhsa_enable_private_segment 0
		.amdhsa_system_sgpr_workgroup_id_x 1
		.amdhsa_system_sgpr_workgroup_id_y 0
		.amdhsa_system_sgpr_workgroup_id_z 0
		.amdhsa_system_sgpr_workgroup_info 0
		.amdhsa_system_vgpr_workitem_id 2
		.amdhsa_next_free_vgpr 42
		.amdhsa_next_free_sgpr 34
		.amdhsa_named_barrier_count 0
		.amdhsa_reserve_vcc 1
		.amdhsa_float_round_mode_32 0
		.amdhsa_float_round_mode_16_64 0
		.amdhsa_float_denorm_mode_32 3
		.amdhsa_float_denorm_mode_16_64 3
		.amdhsa_fp16_overflow 0
		.amdhsa_memory_ordered 1
		.amdhsa_forward_progress 1
		.amdhsa_inst_pref_size 31
		.amdhsa_round_robin_scheduling 0
		.amdhsa_exception_fp_ieee_invalid_op 0
		.amdhsa_exception_fp_denorm_src 0
		.amdhsa_exception_fp_ieee_div_zero 0
		.amdhsa_exception_fp_ieee_overflow 0
		.amdhsa_exception_fp_ieee_underflow 0
		.amdhsa_exception_fp_ieee_inexact 0
		.amdhsa_exception_int_div_zero 0
	.end_amdhsa_kernel
	.section	.text._ZN7rocprim17ROCPRIM_400000_NS6detail17trampoline_kernelINS0_13kernel_configILj256ELj4ELj4294967295EEENS1_37radix_sort_block_sort_config_selectorIdNS0_10empty_typeEEEZNS1_21radix_sort_block_sortIS4_Lb0EPKdPdPS6_SC_NS0_19identity_decomposerEEE10hipError_tT1_T2_T3_T4_jRjT5_jjP12ihipStream_tbEUlT_E_NS1_11comp_targetILNS1_3genE0ELNS1_11target_archE4294967295ELNS1_3gpuE0ELNS1_3repE0EEENS1_44radix_sort_block_sort_config_static_selectorELNS0_4arch9wavefront6targetE0EEEvSF_,"axG",@progbits,_ZN7rocprim17ROCPRIM_400000_NS6detail17trampoline_kernelINS0_13kernel_configILj256ELj4ELj4294967295EEENS1_37radix_sort_block_sort_config_selectorIdNS0_10empty_typeEEEZNS1_21radix_sort_block_sortIS4_Lb0EPKdPdPS6_SC_NS0_19identity_decomposerEEE10hipError_tT1_T2_T3_T4_jRjT5_jjP12ihipStream_tbEUlT_E_NS1_11comp_targetILNS1_3genE0ELNS1_11target_archE4294967295ELNS1_3gpuE0ELNS1_3repE0EEENS1_44radix_sort_block_sort_config_static_selectorELNS0_4arch9wavefront6targetE0EEEvSF_,comdat
.Lfunc_end1554:
	.size	_ZN7rocprim17ROCPRIM_400000_NS6detail17trampoline_kernelINS0_13kernel_configILj256ELj4ELj4294967295EEENS1_37radix_sort_block_sort_config_selectorIdNS0_10empty_typeEEEZNS1_21radix_sort_block_sortIS4_Lb0EPKdPdPS6_SC_NS0_19identity_decomposerEEE10hipError_tT1_T2_T3_T4_jRjT5_jjP12ihipStream_tbEUlT_E_NS1_11comp_targetILNS1_3genE0ELNS1_11target_archE4294967295ELNS1_3gpuE0ELNS1_3repE0EEENS1_44radix_sort_block_sort_config_static_selectorELNS0_4arch9wavefront6targetE0EEEvSF_, .Lfunc_end1554-_ZN7rocprim17ROCPRIM_400000_NS6detail17trampoline_kernelINS0_13kernel_configILj256ELj4ELj4294967295EEENS1_37radix_sort_block_sort_config_selectorIdNS0_10empty_typeEEEZNS1_21radix_sort_block_sortIS4_Lb0EPKdPdPS6_SC_NS0_19identity_decomposerEEE10hipError_tT1_T2_T3_T4_jRjT5_jjP12ihipStream_tbEUlT_E_NS1_11comp_targetILNS1_3genE0ELNS1_11target_archE4294967295ELNS1_3gpuE0ELNS1_3repE0EEENS1_44radix_sort_block_sort_config_static_selectorELNS0_4arch9wavefront6targetE0EEEvSF_
                                        ; -- End function
	.set _ZN7rocprim17ROCPRIM_400000_NS6detail17trampoline_kernelINS0_13kernel_configILj256ELj4ELj4294967295EEENS1_37radix_sort_block_sort_config_selectorIdNS0_10empty_typeEEEZNS1_21radix_sort_block_sortIS4_Lb0EPKdPdPS6_SC_NS0_19identity_decomposerEEE10hipError_tT1_T2_T3_T4_jRjT5_jjP12ihipStream_tbEUlT_E_NS1_11comp_targetILNS1_3genE0ELNS1_11target_archE4294967295ELNS1_3gpuE0ELNS1_3repE0EEENS1_44radix_sort_block_sort_config_static_selectorELNS0_4arch9wavefront6targetE0EEEvSF_.num_vgpr, 42
	.set _ZN7rocprim17ROCPRIM_400000_NS6detail17trampoline_kernelINS0_13kernel_configILj256ELj4ELj4294967295EEENS1_37radix_sort_block_sort_config_selectorIdNS0_10empty_typeEEEZNS1_21radix_sort_block_sortIS4_Lb0EPKdPdPS6_SC_NS0_19identity_decomposerEEE10hipError_tT1_T2_T3_T4_jRjT5_jjP12ihipStream_tbEUlT_E_NS1_11comp_targetILNS1_3genE0ELNS1_11target_archE4294967295ELNS1_3gpuE0ELNS1_3repE0EEENS1_44radix_sort_block_sort_config_static_selectorELNS0_4arch9wavefront6targetE0EEEvSF_.num_agpr, 0
	.set _ZN7rocprim17ROCPRIM_400000_NS6detail17trampoline_kernelINS0_13kernel_configILj256ELj4ELj4294967295EEENS1_37radix_sort_block_sort_config_selectorIdNS0_10empty_typeEEEZNS1_21radix_sort_block_sortIS4_Lb0EPKdPdPS6_SC_NS0_19identity_decomposerEEE10hipError_tT1_T2_T3_T4_jRjT5_jjP12ihipStream_tbEUlT_E_NS1_11comp_targetILNS1_3genE0ELNS1_11target_archE4294967295ELNS1_3gpuE0ELNS1_3repE0EEENS1_44radix_sort_block_sort_config_static_selectorELNS0_4arch9wavefront6targetE0EEEvSF_.numbered_sgpr, 34
	.set _ZN7rocprim17ROCPRIM_400000_NS6detail17trampoline_kernelINS0_13kernel_configILj256ELj4ELj4294967295EEENS1_37radix_sort_block_sort_config_selectorIdNS0_10empty_typeEEEZNS1_21radix_sort_block_sortIS4_Lb0EPKdPdPS6_SC_NS0_19identity_decomposerEEE10hipError_tT1_T2_T3_T4_jRjT5_jjP12ihipStream_tbEUlT_E_NS1_11comp_targetILNS1_3genE0ELNS1_11target_archE4294967295ELNS1_3gpuE0ELNS1_3repE0EEENS1_44radix_sort_block_sort_config_static_selectorELNS0_4arch9wavefront6targetE0EEEvSF_.num_named_barrier, 0
	.set _ZN7rocprim17ROCPRIM_400000_NS6detail17trampoline_kernelINS0_13kernel_configILj256ELj4ELj4294967295EEENS1_37radix_sort_block_sort_config_selectorIdNS0_10empty_typeEEEZNS1_21radix_sort_block_sortIS4_Lb0EPKdPdPS6_SC_NS0_19identity_decomposerEEE10hipError_tT1_T2_T3_T4_jRjT5_jjP12ihipStream_tbEUlT_E_NS1_11comp_targetILNS1_3genE0ELNS1_11target_archE4294967295ELNS1_3gpuE0ELNS1_3repE0EEENS1_44radix_sort_block_sort_config_static_selectorELNS0_4arch9wavefront6targetE0EEEvSF_.private_seg_size, 0
	.set _ZN7rocprim17ROCPRIM_400000_NS6detail17trampoline_kernelINS0_13kernel_configILj256ELj4ELj4294967295EEENS1_37radix_sort_block_sort_config_selectorIdNS0_10empty_typeEEEZNS1_21radix_sort_block_sortIS4_Lb0EPKdPdPS6_SC_NS0_19identity_decomposerEEE10hipError_tT1_T2_T3_T4_jRjT5_jjP12ihipStream_tbEUlT_E_NS1_11comp_targetILNS1_3genE0ELNS1_11target_archE4294967295ELNS1_3gpuE0ELNS1_3repE0EEENS1_44radix_sort_block_sort_config_static_selectorELNS0_4arch9wavefront6targetE0EEEvSF_.uses_vcc, 1
	.set _ZN7rocprim17ROCPRIM_400000_NS6detail17trampoline_kernelINS0_13kernel_configILj256ELj4ELj4294967295EEENS1_37radix_sort_block_sort_config_selectorIdNS0_10empty_typeEEEZNS1_21radix_sort_block_sortIS4_Lb0EPKdPdPS6_SC_NS0_19identity_decomposerEEE10hipError_tT1_T2_T3_T4_jRjT5_jjP12ihipStream_tbEUlT_E_NS1_11comp_targetILNS1_3genE0ELNS1_11target_archE4294967295ELNS1_3gpuE0ELNS1_3repE0EEENS1_44radix_sort_block_sort_config_static_selectorELNS0_4arch9wavefront6targetE0EEEvSF_.uses_flat_scratch, 0
	.set _ZN7rocprim17ROCPRIM_400000_NS6detail17trampoline_kernelINS0_13kernel_configILj256ELj4ELj4294967295EEENS1_37radix_sort_block_sort_config_selectorIdNS0_10empty_typeEEEZNS1_21radix_sort_block_sortIS4_Lb0EPKdPdPS6_SC_NS0_19identity_decomposerEEE10hipError_tT1_T2_T3_T4_jRjT5_jjP12ihipStream_tbEUlT_E_NS1_11comp_targetILNS1_3genE0ELNS1_11target_archE4294967295ELNS1_3gpuE0ELNS1_3repE0EEENS1_44radix_sort_block_sort_config_static_selectorELNS0_4arch9wavefront6targetE0EEEvSF_.has_dyn_sized_stack, 0
	.set _ZN7rocprim17ROCPRIM_400000_NS6detail17trampoline_kernelINS0_13kernel_configILj256ELj4ELj4294967295EEENS1_37radix_sort_block_sort_config_selectorIdNS0_10empty_typeEEEZNS1_21radix_sort_block_sortIS4_Lb0EPKdPdPS6_SC_NS0_19identity_decomposerEEE10hipError_tT1_T2_T3_T4_jRjT5_jjP12ihipStream_tbEUlT_E_NS1_11comp_targetILNS1_3genE0ELNS1_11target_archE4294967295ELNS1_3gpuE0ELNS1_3repE0EEENS1_44radix_sort_block_sort_config_static_selectorELNS0_4arch9wavefront6targetE0EEEvSF_.has_recursion, 0
	.set _ZN7rocprim17ROCPRIM_400000_NS6detail17trampoline_kernelINS0_13kernel_configILj256ELj4ELj4294967295EEENS1_37radix_sort_block_sort_config_selectorIdNS0_10empty_typeEEEZNS1_21radix_sort_block_sortIS4_Lb0EPKdPdPS6_SC_NS0_19identity_decomposerEEE10hipError_tT1_T2_T3_T4_jRjT5_jjP12ihipStream_tbEUlT_E_NS1_11comp_targetILNS1_3genE0ELNS1_11target_archE4294967295ELNS1_3gpuE0ELNS1_3repE0EEENS1_44radix_sort_block_sort_config_static_selectorELNS0_4arch9wavefront6targetE0EEEvSF_.has_indirect_call, 0
	.section	.AMDGPU.csdata,"",@progbits
; Kernel info:
; codeLenInByte = 3864
; TotalNumSgprs: 36
; NumVgprs: 42
; ScratchSize: 0
; MemoryBound: 1
; FloatMode: 240
; IeeeMode: 1
; LDSByteSize: 8224 bytes/workgroup (compile time only)
; SGPRBlocks: 0
; VGPRBlocks: 2
; NumSGPRsForWavesPerEU: 36
; NumVGPRsForWavesPerEU: 42
; NamedBarCnt: 0
; Occupancy: 16
; WaveLimiterHint : 1
; COMPUTE_PGM_RSRC2:SCRATCH_EN: 0
; COMPUTE_PGM_RSRC2:USER_SGPR: 2
; COMPUTE_PGM_RSRC2:TRAP_HANDLER: 0
; COMPUTE_PGM_RSRC2:TGID_X_EN: 1
; COMPUTE_PGM_RSRC2:TGID_Y_EN: 0
; COMPUTE_PGM_RSRC2:TGID_Z_EN: 0
; COMPUTE_PGM_RSRC2:TIDIG_COMP_CNT: 2
	.section	.text._ZN7rocprim17ROCPRIM_400000_NS6detail17trampoline_kernelINS0_13kernel_configILj256ELj4ELj4294967295EEENS1_37radix_sort_block_sort_config_selectorIdNS0_10empty_typeEEEZNS1_21radix_sort_block_sortIS4_Lb0EPKdPdPS6_SC_NS0_19identity_decomposerEEE10hipError_tT1_T2_T3_T4_jRjT5_jjP12ihipStream_tbEUlT_E_NS1_11comp_targetILNS1_3genE5ELNS1_11target_archE942ELNS1_3gpuE9ELNS1_3repE0EEENS1_44radix_sort_block_sort_config_static_selectorELNS0_4arch9wavefront6targetE0EEEvSF_,"axG",@progbits,_ZN7rocprim17ROCPRIM_400000_NS6detail17trampoline_kernelINS0_13kernel_configILj256ELj4ELj4294967295EEENS1_37radix_sort_block_sort_config_selectorIdNS0_10empty_typeEEEZNS1_21radix_sort_block_sortIS4_Lb0EPKdPdPS6_SC_NS0_19identity_decomposerEEE10hipError_tT1_T2_T3_T4_jRjT5_jjP12ihipStream_tbEUlT_E_NS1_11comp_targetILNS1_3genE5ELNS1_11target_archE942ELNS1_3gpuE9ELNS1_3repE0EEENS1_44radix_sort_block_sort_config_static_selectorELNS0_4arch9wavefront6targetE0EEEvSF_,comdat
	.protected	_ZN7rocprim17ROCPRIM_400000_NS6detail17trampoline_kernelINS0_13kernel_configILj256ELj4ELj4294967295EEENS1_37radix_sort_block_sort_config_selectorIdNS0_10empty_typeEEEZNS1_21radix_sort_block_sortIS4_Lb0EPKdPdPS6_SC_NS0_19identity_decomposerEEE10hipError_tT1_T2_T3_T4_jRjT5_jjP12ihipStream_tbEUlT_E_NS1_11comp_targetILNS1_3genE5ELNS1_11target_archE942ELNS1_3gpuE9ELNS1_3repE0EEENS1_44radix_sort_block_sort_config_static_selectorELNS0_4arch9wavefront6targetE0EEEvSF_ ; -- Begin function _ZN7rocprim17ROCPRIM_400000_NS6detail17trampoline_kernelINS0_13kernel_configILj256ELj4ELj4294967295EEENS1_37radix_sort_block_sort_config_selectorIdNS0_10empty_typeEEEZNS1_21radix_sort_block_sortIS4_Lb0EPKdPdPS6_SC_NS0_19identity_decomposerEEE10hipError_tT1_T2_T3_T4_jRjT5_jjP12ihipStream_tbEUlT_E_NS1_11comp_targetILNS1_3genE5ELNS1_11target_archE942ELNS1_3gpuE9ELNS1_3repE0EEENS1_44radix_sort_block_sort_config_static_selectorELNS0_4arch9wavefront6targetE0EEEvSF_
	.globl	_ZN7rocprim17ROCPRIM_400000_NS6detail17trampoline_kernelINS0_13kernel_configILj256ELj4ELj4294967295EEENS1_37radix_sort_block_sort_config_selectorIdNS0_10empty_typeEEEZNS1_21radix_sort_block_sortIS4_Lb0EPKdPdPS6_SC_NS0_19identity_decomposerEEE10hipError_tT1_T2_T3_T4_jRjT5_jjP12ihipStream_tbEUlT_E_NS1_11comp_targetILNS1_3genE5ELNS1_11target_archE942ELNS1_3gpuE9ELNS1_3repE0EEENS1_44radix_sort_block_sort_config_static_selectorELNS0_4arch9wavefront6targetE0EEEvSF_
	.p2align	8
	.type	_ZN7rocprim17ROCPRIM_400000_NS6detail17trampoline_kernelINS0_13kernel_configILj256ELj4ELj4294967295EEENS1_37radix_sort_block_sort_config_selectorIdNS0_10empty_typeEEEZNS1_21radix_sort_block_sortIS4_Lb0EPKdPdPS6_SC_NS0_19identity_decomposerEEE10hipError_tT1_T2_T3_T4_jRjT5_jjP12ihipStream_tbEUlT_E_NS1_11comp_targetILNS1_3genE5ELNS1_11target_archE942ELNS1_3gpuE9ELNS1_3repE0EEENS1_44radix_sort_block_sort_config_static_selectorELNS0_4arch9wavefront6targetE0EEEvSF_,@function
_ZN7rocprim17ROCPRIM_400000_NS6detail17trampoline_kernelINS0_13kernel_configILj256ELj4ELj4294967295EEENS1_37radix_sort_block_sort_config_selectorIdNS0_10empty_typeEEEZNS1_21radix_sort_block_sortIS4_Lb0EPKdPdPS6_SC_NS0_19identity_decomposerEEE10hipError_tT1_T2_T3_T4_jRjT5_jjP12ihipStream_tbEUlT_E_NS1_11comp_targetILNS1_3genE5ELNS1_11target_archE942ELNS1_3gpuE9ELNS1_3repE0EEENS1_44radix_sort_block_sort_config_static_selectorELNS0_4arch9wavefront6targetE0EEEvSF_: ; @_ZN7rocprim17ROCPRIM_400000_NS6detail17trampoline_kernelINS0_13kernel_configILj256ELj4ELj4294967295EEENS1_37radix_sort_block_sort_config_selectorIdNS0_10empty_typeEEEZNS1_21radix_sort_block_sortIS4_Lb0EPKdPdPS6_SC_NS0_19identity_decomposerEEE10hipError_tT1_T2_T3_T4_jRjT5_jjP12ihipStream_tbEUlT_E_NS1_11comp_targetILNS1_3genE5ELNS1_11target_archE942ELNS1_3gpuE9ELNS1_3repE0EEENS1_44radix_sort_block_sort_config_static_selectorELNS0_4arch9wavefront6targetE0EEEvSF_
; %bb.0:
	.section	.rodata,"a",@progbits
	.p2align	6, 0x0
	.amdhsa_kernel _ZN7rocprim17ROCPRIM_400000_NS6detail17trampoline_kernelINS0_13kernel_configILj256ELj4ELj4294967295EEENS1_37radix_sort_block_sort_config_selectorIdNS0_10empty_typeEEEZNS1_21radix_sort_block_sortIS4_Lb0EPKdPdPS6_SC_NS0_19identity_decomposerEEE10hipError_tT1_T2_T3_T4_jRjT5_jjP12ihipStream_tbEUlT_E_NS1_11comp_targetILNS1_3genE5ELNS1_11target_archE942ELNS1_3gpuE9ELNS1_3repE0EEENS1_44radix_sort_block_sort_config_static_selectorELNS0_4arch9wavefront6targetE0EEEvSF_
		.amdhsa_group_segment_fixed_size 0
		.amdhsa_private_segment_fixed_size 0
		.amdhsa_kernarg_size 48
		.amdhsa_user_sgpr_count 2
		.amdhsa_user_sgpr_dispatch_ptr 0
		.amdhsa_user_sgpr_queue_ptr 0
		.amdhsa_user_sgpr_kernarg_segment_ptr 1
		.amdhsa_user_sgpr_dispatch_id 0
		.amdhsa_user_sgpr_kernarg_preload_length 0
		.amdhsa_user_sgpr_kernarg_preload_offset 0
		.amdhsa_user_sgpr_private_segment_size 0
		.amdhsa_wavefront_size32 1
		.amdhsa_uses_dynamic_stack 0
		.amdhsa_enable_private_segment 0
		.amdhsa_system_sgpr_workgroup_id_x 1
		.amdhsa_system_sgpr_workgroup_id_y 0
		.amdhsa_system_sgpr_workgroup_id_z 0
		.amdhsa_system_sgpr_workgroup_info 0
		.amdhsa_system_vgpr_workitem_id 0
		.amdhsa_next_free_vgpr 1
		.amdhsa_next_free_sgpr 1
		.amdhsa_named_barrier_count 0
		.amdhsa_reserve_vcc 0
		.amdhsa_float_round_mode_32 0
		.amdhsa_float_round_mode_16_64 0
		.amdhsa_float_denorm_mode_32 3
		.amdhsa_float_denorm_mode_16_64 3
		.amdhsa_fp16_overflow 0
		.amdhsa_memory_ordered 1
		.amdhsa_forward_progress 1
		.amdhsa_inst_pref_size 0
		.amdhsa_round_robin_scheduling 0
		.amdhsa_exception_fp_ieee_invalid_op 0
		.amdhsa_exception_fp_denorm_src 0
		.amdhsa_exception_fp_ieee_div_zero 0
		.amdhsa_exception_fp_ieee_overflow 0
		.amdhsa_exception_fp_ieee_underflow 0
		.amdhsa_exception_fp_ieee_inexact 0
		.amdhsa_exception_int_div_zero 0
	.end_amdhsa_kernel
	.section	.text._ZN7rocprim17ROCPRIM_400000_NS6detail17trampoline_kernelINS0_13kernel_configILj256ELj4ELj4294967295EEENS1_37radix_sort_block_sort_config_selectorIdNS0_10empty_typeEEEZNS1_21radix_sort_block_sortIS4_Lb0EPKdPdPS6_SC_NS0_19identity_decomposerEEE10hipError_tT1_T2_T3_T4_jRjT5_jjP12ihipStream_tbEUlT_E_NS1_11comp_targetILNS1_3genE5ELNS1_11target_archE942ELNS1_3gpuE9ELNS1_3repE0EEENS1_44radix_sort_block_sort_config_static_selectorELNS0_4arch9wavefront6targetE0EEEvSF_,"axG",@progbits,_ZN7rocprim17ROCPRIM_400000_NS6detail17trampoline_kernelINS0_13kernel_configILj256ELj4ELj4294967295EEENS1_37radix_sort_block_sort_config_selectorIdNS0_10empty_typeEEEZNS1_21radix_sort_block_sortIS4_Lb0EPKdPdPS6_SC_NS0_19identity_decomposerEEE10hipError_tT1_T2_T3_T4_jRjT5_jjP12ihipStream_tbEUlT_E_NS1_11comp_targetILNS1_3genE5ELNS1_11target_archE942ELNS1_3gpuE9ELNS1_3repE0EEENS1_44radix_sort_block_sort_config_static_selectorELNS0_4arch9wavefront6targetE0EEEvSF_,comdat
.Lfunc_end1555:
	.size	_ZN7rocprim17ROCPRIM_400000_NS6detail17trampoline_kernelINS0_13kernel_configILj256ELj4ELj4294967295EEENS1_37radix_sort_block_sort_config_selectorIdNS0_10empty_typeEEEZNS1_21radix_sort_block_sortIS4_Lb0EPKdPdPS6_SC_NS0_19identity_decomposerEEE10hipError_tT1_T2_T3_T4_jRjT5_jjP12ihipStream_tbEUlT_E_NS1_11comp_targetILNS1_3genE5ELNS1_11target_archE942ELNS1_3gpuE9ELNS1_3repE0EEENS1_44radix_sort_block_sort_config_static_selectorELNS0_4arch9wavefront6targetE0EEEvSF_, .Lfunc_end1555-_ZN7rocprim17ROCPRIM_400000_NS6detail17trampoline_kernelINS0_13kernel_configILj256ELj4ELj4294967295EEENS1_37radix_sort_block_sort_config_selectorIdNS0_10empty_typeEEEZNS1_21radix_sort_block_sortIS4_Lb0EPKdPdPS6_SC_NS0_19identity_decomposerEEE10hipError_tT1_T2_T3_T4_jRjT5_jjP12ihipStream_tbEUlT_E_NS1_11comp_targetILNS1_3genE5ELNS1_11target_archE942ELNS1_3gpuE9ELNS1_3repE0EEENS1_44radix_sort_block_sort_config_static_selectorELNS0_4arch9wavefront6targetE0EEEvSF_
                                        ; -- End function
	.set _ZN7rocprim17ROCPRIM_400000_NS6detail17trampoline_kernelINS0_13kernel_configILj256ELj4ELj4294967295EEENS1_37radix_sort_block_sort_config_selectorIdNS0_10empty_typeEEEZNS1_21radix_sort_block_sortIS4_Lb0EPKdPdPS6_SC_NS0_19identity_decomposerEEE10hipError_tT1_T2_T3_T4_jRjT5_jjP12ihipStream_tbEUlT_E_NS1_11comp_targetILNS1_3genE5ELNS1_11target_archE942ELNS1_3gpuE9ELNS1_3repE0EEENS1_44radix_sort_block_sort_config_static_selectorELNS0_4arch9wavefront6targetE0EEEvSF_.num_vgpr, 0
	.set _ZN7rocprim17ROCPRIM_400000_NS6detail17trampoline_kernelINS0_13kernel_configILj256ELj4ELj4294967295EEENS1_37radix_sort_block_sort_config_selectorIdNS0_10empty_typeEEEZNS1_21radix_sort_block_sortIS4_Lb0EPKdPdPS6_SC_NS0_19identity_decomposerEEE10hipError_tT1_T2_T3_T4_jRjT5_jjP12ihipStream_tbEUlT_E_NS1_11comp_targetILNS1_3genE5ELNS1_11target_archE942ELNS1_3gpuE9ELNS1_3repE0EEENS1_44radix_sort_block_sort_config_static_selectorELNS0_4arch9wavefront6targetE0EEEvSF_.num_agpr, 0
	.set _ZN7rocprim17ROCPRIM_400000_NS6detail17trampoline_kernelINS0_13kernel_configILj256ELj4ELj4294967295EEENS1_37radix_sort_block_sort_config_selectorIdNS0_10empty_typeEEEZNS1_21radix_sort_block_sortIS4_Lb0EPKdPdPS6_SC_NS0_19identity_decomposerEEE10hipError_tT1_T2_T3_T4_jRjT5_jjP12ihipStream_tbEUlT_E_NS1_11comp_targetILNS1_3genE5ELNS1_11target_archE942ELNS1_3gpuE9ELNS1_3repE0EEENS1_44radix_sort_block_sort_config_static_selectorELNS0_4arch9wavefront6targetE0EEEvSF_.numbered_sgpr, 0
	.set _ZN7rocprim17ROCPRIM_400000_NS6detail17trampoline_kernelINS0_13kernel_configILj256ELj4ELj4294967295EEENS1_37radix_sort_block_sort_config_selectorIdNS0_10empty_typeEEEZNS1_21radix_sort_block_sortIS4_Lb0EPKdPdPS6_SC_NS0_19identity_decomposerEEE10hipError_tT1_T2_T3_T4_jRjT5_jjP12ihipStream_tbEUlT_E_NS1_11comp_targetILNS1_3genE5ELNS1_11target_archE942ELNS1_3gpuE9ELNS1_3repE0EEENS1_44radix_sort_block_sort_config_static_selectorELNS0_4arch9wavefront6targetE0EEEvSF_.num_named_barrier, 0
	.set _ZN7rocprim17ROCPRIM_400000_NS6detail17trampoline_kernelINS0_13kernel_configILj256ELj4ELj4294967295EEENS1_37radix_sort_block_sort_config_selectorIdNS0_10empty_typeEEEZNS1_21radix_sort_block_sortIS4_Lb0EPKdPdPS6_SC_NS0_19identity_decomposerEEE10hipError_tT1_T2_T3_T4_jRjT5_jjP12ihipStream_tbEUlT_E_NS1_11comp_targetILNS1_3genE5ELNS1_11target_archE942ELNS1_3gpuE9ELNS1_3repE0EEENS1_44radix_sort_block_sort_config_static_selectorELNS0_4arch9wavefront6targetE0EEEvSF_.private_seg_size, 0
	.set _ZN7rocprim17ROCPRIM_400000_NS6detail17trampoline_kernelINS0_13kernel_configILj256ELj4ELj4294967295EEENS1_37radix_sort_block_sort_config_selectorIdNS0_10empty_typeEEEZNS1_21radix_sort_block_sortIS4_Lb0EPKdPdPS6_SC_NS0_19identity_decomposerEEE10hipError_tT1_T2_T3_T4_jRjT5_jjP12ihipStream_tbEUlT_E_NS1_11comp_targetILNS1_3genE5ELNS1_11target_archE942ELNS1_3gpuE9ELNS1_3repE0EEENS1_44radix_sort_block_sort_config_static_selectorELNS0_4arch9wavefront6targetE0EEEvSF_.uses_vcc, 0
	.set _ZN7rocprim17ROCPRIM_400000_NS6detail17trampoline_kernelINS0_13kernel_configILj256ELj4ELj4294967295EEENS1_37radix_sort_block_sort_config_selectorIdNS0_10empty_typeEEEZNS1_21radix_sort_block_sortIS4_Lb0EPKdPdPS6_SC_NS0_19identity_decomposerEEE10hipError_tT1_T2_T3_T4_jRjT5_jjP12ihipStream_tbEUlT_E_NS1_11comp_targetILNS1_3genE5ELNS1_11target_archE942ELNS1_3gpuE9ELNS1_3repE0EEENS1_44radix_sort_block_sort_config_static_selectorELNS0_4arch9wavefront6targetE0EEEvSF_.uses_flat_scratch, 0
	.set _ZN7rocprim17ROCPRIM_400000_NS6detail17trampoline_kernelINS0_13kernel_configILj256ELj4ELj4294967295EEENS1_37radix_sort_block_sort_config_selectorIdNS0_10empty_typeEEEZNS1_21radix_sort_block_sortIS4_Lb0EPKdPdPS6_SC_NS0_19identity_decomposerEEE10hipError_tT1_T2_T3_T4_jRjT5_jjP12ihipStream_tbEUlT_E_NS1_11comp_targetILNS1_3genE5ELNS1_11target_archE942ELNS1_3gpuE9ELNS1_3repE0EEENS1_44radix_sort_block_sort_config_static_selectorELNS0_4arch9wavefront6targetE0EEEvSF_.has_dyn_sized_stack, 0
	.set _ZN7rocprim17ROCPRIM_400000_NS6detail17trampoline_kernelINS0_13kernel_configILj256ELj4ELj4294967295EEENS1_37radix_sort_block_sort_config_selectorIdNS0_10empty_typeEEEZNS1_21radix_sort_block_sortIS4_Lb0EPKdPdPS6_SC_NS0_19identity_decomposerEEE10hipError_tT1_T2_T3_T4_jRjT5_jjP12ihipStream_tbEUlT_E_NS1_11comp_targetILNS1_3genE5ELNS1_11target_archE942ELNS1_3gpuE9ELNS1_3repE0EEENS1_44radix_sort_block_sort_config_static_selectorELNS0_4arch9wavefront6targetE0EEEvSF_.has_recursion, 0
	.set _ZN7rocprim17ROCPRIM_400000_NS6detail17trampoline_kernelINS0_13kernel_configILj256ELj4ELj4294967295EEENS1_37radix_sort_block_sort_config_selectorIdNS0_10empty_typeEEEZNS1_21radix_sort_block_sortIS4_Lb0EPKdPdPS6_SC_NS0_19identity_decomposerEEE10hipError_tT1_T2_T3_T4_jRjT5_jjP12ihipStream_tbEUlT_E_NS1_11comp_targetILNS1_3genE5ELNS1_11target_archE942ELNS1_3gpuE9ELNS1_3repE0EEENS1_44radix_sort_block_sort_config_static_selectorELNS0_4arch9wavefront6targetE0EEEvSF_.has_indirect_call, 0
	.section	.AMDGPU.csdata,"",@progbits
; Kernel info:
; codeLenInByte = 0
; TotalNumSgprs: 0
; NumVgprs: 0
; ScratchSize: 0
; MemoryBound: 0
; FloatMode: 240
; IeeeMode: 1
; LDSByteSize: 0 bytes/workgroup (compile time only)
; SGPRBlocks: 0
; VGPRBlocks: 0
; NumSGPRsForWavesPerEU: 1
; NumVGPRsForWavesPerEU: 1
; NamedBarCnt: 0
; Occupancy: 16
; WaveLimiterHint : 0
; COMPUTE_PGM_RSRC2:SCRATCH_EN: 0
; COMPUTE_PGM_RSRC2:USER_SGPR: 2
; COMPUTE_PGM_RSRC2:TRAP_HANDLER: 0
; COMPUTE_PGM_RSRC2:TGID_X_EN: 1
; COMPUTE_PGM_RSRC2:TGID_Y_EN: 0
; COMPUTE_PGM_RSRC2:TGID_Z_EN: 0
; COMPUTE_PGM_RSRC2:TIDIG_COMP_CNT: 0
	.section	.text._ZN7rocprim17ROCPRIM_400000_NS6detail17trampoline_kernelINS0_13kernel_configILj256ELj4ELj4294967295EEENS1_37radix_sort_block_sort_config_selectorIdNS0_10empty_typeEEEZNS1_21radix_sort_block_sortIS4_Lb0EPKdPdPS6_SC_NS0_19identity_decomposerEEE10hipError_tT1_T2_T3_T4_jRjT5_jjP12ihipStream_tbEUlT_E_NS1_11comp_targetILNS1_3genE4ELNS1_11target_archE910ELNS1_3gpuE8ELNS1_3repE0EEENS1_44radix_sort_block_sort_config_static_selectorELNS0_4arch9wavefront6targetE0EEEvSF_,"axG",@progbits,_ZN7rocprim17ROCPRIM_400000_NS6detail17trampoline_kernelINS0_13kernel_configILj256ELj4ELj4294967295EEENS1_37radix_sort_block_sort_config_selectorIdNS0_10empty_typeEEEZNS1_21radix_sort_block_sortIS4_Lb0EPKdPdPS6_SC_NS0_19identity_decomposerEEE10hipError_tT1_T2_T3_T4_jRjT5_jjP12ihipStream_tbEUlT_E_NS1_11comp_targetILNS1_3genE4ELNS1_11target_archE910ELNS1_3gpuE8ELNS1_3repE0EEENS1_44radix_sort_block_sort_config_static_selectorELNS0_4arch9wavefront6targetE0EEEvSF_,comdat
	.protected	_ZN7rocprim17ROCPRIM_400000_NS6detail17trampoline_kernelINS0_13kernel_configILj256ELj4ELj4294967295EEENS1_37radix_sort_block_sort_config_selectorIdNS0_10empty_typeEEEZNS1_21radix_sort_block_sortIS4_Lb0EPKdPdPS6_SC_NS0_19identity_decomposerEEE10hipError_tT1_T2_T3_T4_jRjT5_jjP12ihipStream_tbEUlT_E_NS1_11comp_targetILNS1_3genE4ELNS1_11target_archE910ELNS1_3gpuE8ELNS1_3repE0EEENS1_44radix_sort_block_sort_config_static_selectorELNS0_4arch9wavefront6targetE0EEEvSF_ ; -- Begin function _ZN7rocprim17ROCPRIM_400000_NS6detail17trampoline_kernelINS0_13kernel_configILj256ELj4ELj4294967295EEENS1_37radix_sort_block_sort_config_selectorIdNS0_10empty_typeEEEZNS1_21radix_sort_block_sortIS4_Lb0EPKdPdPS6_SC_NS0_19identity_decomposerEEE10hipError_tT1_T2_T3_T4_jRjT5_jjP12ihipStream_tbEUlT_E_NS1_11comp_targetILNS1_3genE4ELNS1_11target_archE910ELNS1_3gpuE8ELNS1_3repE0EEENS1_44radix_sort_block_sort_config_static_selectorELNS0_4arch9wavefront6targetE0EEEvSF_
	.globl	_ZN7rocprim17ROCPRIM_400000_NS6detail17trampoline_kernelINS0_13kernel_configILj256ELj4ELj4294967295EEENS1_37radix_sort_block_sort_config_selectorIdNS0_10empty_typeEEEZNS1_21radix_sort_block_sortIS4_Lb0EPKdPdPS6_SC_NS0_19identity_decomposerEEE10hipError_tT1_T2_T3_T4_jRjT5_jjP12ihipStream_tbEUlT_E_NS1_11comp_targetILNS1_3genE4ELNS1_11target_archE910ELNS1_3gpuE8ELNS1_3repE0EEENS1_44radix_sort_block_sort_config_static_selectorELNS0_4arch9wavefront6targetE0EEEvSF_
	.p2align	8
	.type	_ZN7rocprim17ROCPRIM_400000_NS6detail17trampoline_kernelINS0_13kernel_configILj256ELj4ELj4294967295EEENS1_37radix_sort_block_sort_config_selectorIdNS0_10empty_typeEEEZNS1_21radix_sort_block_sortIS4_Lb0EPKdPdPS6_SC_NS0_19identity_decomposerEEE10hipError_tT1_T2_T3_T4_jRjT5_jjP12ihipStream_tbEUlT_E_NS1_11comp_targetILNS1_3genE4ELNS1_11target_archE910ELNS1_3gpuE8ELNS1_3repE0EEENS1_44radix_sort_block_sort_config_static_selectorELNS0_4arch9wavefront6targetE0EEEvSF_,@function
_ZN7rocprim17ROCPRIM_400000_NS6detail17trampoline_kernelINS0_13kernel_configILj256ELj4ELj4294967295EEENS1_37radix_sort_block_sort_config_selectorIdNS0_10empty_typeEEEZNS1_21radix_sort_block_sortIS4_Lb0EPKdPdPS6_SC_NS0_19identity_decomposerEEE10hipError_tT1_T2_T3_T4_jRjT5_jjP12ihipStream_tbEUlT_E_NS1_11comp_targetILNS1_3genE4ELNS1_11target_archE910ELNS1_3gpuE8ELNS1_3repE0EEENS1_44radix_sort_block_sort_config_static_selectorELNS0_4arch9wavefront6targetE0EEEvSF_: ; @_ZN7rocprim17ROCPRIM_400000_NS6detail17trampoline_kernelINS0_13kernel_configILj256ELj4ELj4294967295EEENS1_37radix_sort_block_sort_config_selectorIdNS0_10empty_typeEEEZNS1_21radix_sort_block_sortIS4_Lb0EPKdPdPS6_SC_NS0_19identity_decomposerEEE10hipError_tT1_T2_T3_T4_jRjT5_jjP12ihipStream_tbEUlT_E_NS1_11comp_targetILNS1_3genE4ELNS1_11target_archE910ELNS1_3gpuE8ELNS1_3repE0EEENS1_44radix_sort_block_sort_config_static_selectorELNS0_4arch9wavefront6targetE0EEEvSF_
; %bb.0:
	.section	.rodata,"a",@progbits
	.p2align	6, 0x0
	.amdhsa_kernel _ZN7rocprim17ROCPRIM_400000_NS6detail17trampoline_kernelINS0_13kernel_configILj256ELj4ELj4294967295EEENS1_37radix_sort_block_sort_config_selectorIdNS0_10empty_typeEEEZNS1_21radix_sort_block_sortIS4_Lb0EPKdPdPS6_SC_NS0_19identity_decomposerEEE10hipError_tT1_T2_T3_T4_jRjT5_jjP12ihipStream_tbEUlT_E_NS1_11comp_targetILNS1_3genE4ELNS1_11target_archE910ELNS1_3gpuE8ELNS1_3repE0EEENS1_44radix_sort_block_sort_config_static_selectorELNS0_4arch9wavefront6targetE0EEEvSF_
		.amdhsa_group_segment_fixed_size 0
		.amdhsa_private_segment_fixed_size 0
		.amdhsa_kernarg_size 48
		.amdhsa_user_sgpr_count 2
		.amdhsa_user_sgpr_dispatch_ptr 0
		.amdhsa_user_sgpr_queue_ptr 0
		.amdhsa_user_sgpr_kernarg_segment_ptr 1
		.amdhsa_user_sgpr_dispatch_id 0
		.amdhsa_user_sgpr_kernarg_preload_length 0
		.amdhsa_user_sgpr_kernarg_preload_offset 0
		.amdhsa_user_sgpr_private_segment_size 0
		.amdhsa_wavefront_size32 1
		.amdhsa_uses_dynamic_stack 0
		.amdhsa_enable_private_segment 0
		.amdhsa_system_sgpr_workgroup_id_x 1
		.amdhsa_system_sgpr_workgroup_id_y 0
		.amdhsa_system_sgpr_workgroup_id_z 0
		.amdhsa_system_sgpr_workgroup_info 0
		.amdhsa_system_vgpr_workitem_id 0
		.amdhsa_next_free_vgpr 1
		.amdhsa_next_free_sgpr 1
		.amdhsa_named_barrier_count 0
		.amdhsa_reserve_vcc 0
		.amdhsa_float_round_mode_32 0
		.amdhsa_float_round_mode_16_64 0
		.amdhsa_float_denorm_mode_32 3
		.amdhsa_float_denorm_mode_16_64 3
		.amdhsa_fp16_overflow 0
		.amdhsa_memory_ordered 1
		.amdhsa_forward_progress 1
		.amdhsa_inst_pref_size 0
		.amdhsa_round_robin_scheduling 0
		.amdhsa_exception_fp_ieee_invalid_op 0
		.amdhsa_exception_fp_denorm_src 0
		.amdhsa_exception_fp_ieee_div_zero 0
		.amdhsa_exception_fp_ieee_overflow 0
		.amdhsa_exception_fp_ieee_underflow 0
		.amdhsa_exception_fp_ieee_inexact 0
		.amdhsa_exception_int_div_zero 0
	.end_amdhsa_kernel
	.section	.text._ZN7rocprim17ROCPRIM_400000_NS6detail17trampoline_kernelINS0_13kernel_configILj256ELj4ELj4294967295EEENS1_37radix_sort_block_sort_config_selectorIdNS0_10empty_typeEEEZNS1_21radix_sort_block_sortIS4_Lb0EPKdPdPS6_SC_NS0_19identity_decomposerEEE10hipError_tT1_T2_T3_T4_jRjT5_jjP12ihipStream_tbEUlT_E_NS1_11comp_targetILNS1_3genE4ELNS1_11target_archE910ELNS1_3gpuE8ELNS1_3repE0EEENS1_44radix_sort_block_sort_config_static_selectorELNS0_4arch9wavefront6targetE0EEEvSF_,"axG",@progbits,_ZN7rocprim17ROCPRIM_400000_NS6detail17trampoline_kernelINS0_13kernel_configILj256ELj4ELj4294967295EEENS1_37radix_sort_block_sort_config_selectorIdNS0_10empty_typeEEEZNS1_21radix_sort_block_sortIS4_Lb0EPKdPdPS6_SC_NS0_19identity_decomposerEEE10hipError_tT1_T2_T3_T4_jRjT5_jjP12ihipStream_tbEUlT_E_NS1_11comp_targetILNS1_3genE4ELNS1_11target_archE910ELNS1_3gpuE8ELNS1_3repE0EEENS1_44radix_sort_block_sort_config_static_selectorELNS0_4arch9wavefront6targetE0EEEvSF_,comdat
.Lfunc_end1556:
	.size	_ZN7rocprim17ROCPRIM_400000_NS6detail17trampoline_kernelINS0_13kernel_configILj256ELj4ELj4294967295EEENS1_37radix_sort_block_sort_config_selectorIdNS0_10empty_typeEEEZNS1_21radix_sort_block_sortIS4_Lb0EPKdPdPS6_SC_NS0_19identity_decomposerEEE10hipError_tT1_T2_T3_T4_jRjT5_jjP12ihipStream_tbEUlT_E_NS1_11comp_targetILNS1_3genE4ELNS1_11target_archE910ELNS1_3gpuE8ELNS1_3repE0EEENS1_44radix_sort_block_sort_config_static_selectorELNS0_4arch9wavefront6targetE0EEEvSF_, .Lfunc_end1556-_ZN7rocprim17ROCPRIM_400000_NS6detail17trampoline_kernelINS0_13kernel_configILj256ELj4ELj4294967295EEENS1_37radix_sort_block_sort_config_selectorIdNS0_10empty_typeEEEZNS1_21radix_sort_block_sortIS4_Lb0EPKdPdPS6_SC_NS0_19identity_decomposerEEE10hipError_tT1_T2_T3_T4_jRjT5_jjP12ihipStream_tbEUlT_E_NS1_11comp_targetILNS1_3genE4ELNS1_11target_archE910ELNS1_3gpuE8ELNS1_3repE0EEENS1_44radix_sort_block_sort_config_static_selectorELNS0_4arch9wavefront6targetE0EEEvSF_
                                        ; -- End function
	.set _ZN7rocprim17ROCPRIM_400000_NS6detail17trampoline_kernelINS0_13kernel_configILj256ELj4ELj4294967295EEENS1_37radix_sort_block_sort_config_selectorIdNS0_10empty_typeEEEZNS1_21radix_sort_block_sortIS4_Lb0EPKdPdPS6_SC_NS0_19identity_decomposerEEE10hipError_tT1_T2_T3_T4_jRjT5_jjP12ihipStream_tbEUlT_E_NS1_11comp_targetILNS1_3genE4ELNS1_11target_archE910ELNS1_3gpuE8ELNS1_3repE0EEENS1_44radix_sort_block_sort_config_static_selectorELNS0_4arch9wavefront6targetE0EEEvSF_.num_vgpr, 0
	.set _ZN7rocprim17ROCPRIM_400000_NS6detail17trampoline_kernelINS0_13kernel_configILj256ELj4ELj4294967295EEENS1_37radix_sort_block_sort_config_selectorIdNS0_10empty_typeEEEZNS1_21radix_sort_block_sortIS4_Lb0EPKdPdPS6_SC_NS0_19identity_decomposerEEE10hipError_tT1_T2_T3_T4_jRjT5_jjP12ihipStream_tbEUlT_E_NS1_11comp_targetILNS1_3genE4ELNS1_11target_archE910ELNS1_3gpuE8ELNS1_3repE0EEENS1_44radix_sort_block_sort_config_static_selectorELNS0_4arch9wavefront6targetE0EEEvSF_.num_agpr, 0
	.set _ZN7rocprim17ROCPRIM_400000_NS6detail17trampoline_kernelINS0_13kernel_configILj256ELj4ELj4294967295EEENS1_37radix_sort_block_sort_config_selectorIdNS0_10empty_typeEEEZNS1_21radix_sort_block_sortIS4_Lb0EPKdPdPS6_SC_NS0_19identity_decomposerEEE10hipError_tT1_T2_T3_T4_jRjT5_jjP12ihipStream_tbEUlT_E_NS1_11comp_targetILNS1_3genE4ELNS1_11target_archE910ELNS1_3gpuE8ELNS1_3repE0EEENS1_44radix_sort_block_sort_config_static_selectorELNS0_4arch9wavefront6targetE0EEEvSF_.numbered_sgpr, 0
	.set _ZN7rocprim17ROCPRIM_400000_NS6detail17trampoline_kernelINS0_13kernel_configILj256ELj4ELj4294967295EEENS1_37radix_sort_block_sort_config_selectorIdNS0_10empty_typeEEEZNS1_21radix_sort_block_sortIS4_Lb0EPKdPdPS6_SC_NS0_19identity_decomposerEEE10hipError_tT1_T2_T3_T4_jRjT5_jjP12ihipStream_tbEUlT_E_NS1_11comp_targetILNS1_3genE4ELNS1_11target_archE910ELNS1_3gpuE8ELNS1_3repE0EEENS1_44radix_sort_block_sort_config_static_selectorELNS0_4arch9wavefront6targetE0EEEvSF_.num_named_barrier, 0
	.set _ZN7rocprim17ROCPRIM_400000_NS6detail17trampoline_kernelINS0_13kernel_configILj256ELj4ELj4294967295EEENS1_37radix_sort_block_sort_config_selectorIdNS0_10empty_typeEEEZNS1_21radix_sort_block_sortIS4_Lb0EPKdPdPS6_SC_NS0_19identity_decomposerEEE10hipError_tT1_T2_T3_T4_jRjT5_jjP12ihipStream_tbEUlT_E_NS1_11comp_targetILNS1_3genE4ELNS1_11target_archE910ELNS1_3gpuE8ELNS1_3repE0EEENS1_44radix_sort_block_sort_config_static_selectorELNS0_4arch9wavefront6targetE0EEEvSF_.private_seg_size, 0
	.set _ZN7rocprim17ROCPRIM_400000_NS6detail17trampoline_kernelINS0_13kernel_configILj256ELj4ELj4294967295EEENS1_37radix_sort_block_sort_config_selectorIdNS0_10empty_typeEEEZNS1_21radix_sort_block_sortIS4_Lb0EPKdPdPS6_SC_NS0_19identity_decomposerEEE10hipError_tT1_T2_T3_T4_jRjT5_jjP12ihipStream_tbEUlT_E_NS1_11comp_targetILNS1_3genE4ELNS1_11target_archE910ELNS1_3gpuE8ELNS1_3repE0EEENS1_44radix_sort_block_sort_config_static_selectorELNS0_4arch9wavefront6targetE0EEEvSF_.uses_vcc, 0
	.set _ZN7rocprim17ROCPRIM_400000_NS6detail17trampoline_kernelINS0_13kernel_configILj256ELj4ELj4294967295EEENS1_37radix_sort_block_sort_config_selectorIdNS0_10empty_typeEEEZNS1_21radix_sort_block_sortIS4_Lb0EPKdPdPS6_SC_NS0_19identity_decomposerEEE10hipError_tT1_T2_T3_T4_jRjT5_jjP12ihipStream_tbEUlT_E_NS1_11comp_targetILNS1_3genE4ELNS1_11target_archE910ELNS1_3gpuE8ELNS1_3repE0EEENS1_44radix_sort_block_sort_config_static_selectorELNS0_4arch9wavefront6targetE0EEEvSF_.uses_flat_scratch, 0
	.set _ZN7rocprim17ROCPRIM_400000_NS6detail17trampoline_kernelINS0_13kernel_configILj256ELj4ELj4294967295EEENS1_37radix_sort_block_sort_config_selectorIdNS0_10empty_typeEEEZNS1_21radix_sort_block_sortIS4_Lb0EPKdPdPS6_SC_NS0_19identity_decomposerEEE10hipError_tT1_T2_T3_T4_jRjT5_jjP12ihipStream_tbEUlT_E_NS1_11comp_targetILNS1_3genE4ELNS1_11target_archE910ELNS1_3gpuE8ELNS1_3repE0EEENS1_44radix_sort_block_sort_config_static_selectorELNS0_4arch9wavefront6targetE0EEEvSF_.has_dyn_sized_stack, 0
	.set _ZN7rocprim17ROCPRIM_400000_NS6detail17trampoline_kernelINS0_13kernel_configILj256ELj4ELj4294967295EEENS1_37radix_sort_block_sort_config_selectorIdNS0_10empty_typeEEEZNS1_21radix_sort_block_sortIS4_Lb0EPKdPdPS6_SC_NS0_19identity_decomposerEEE10hipError_tT1_T2_T3_T4_jRjT5_jjP12ihipStream_tbEUlT_E_NS1_11comp_targetILNS1_3genE4ELNS1_11target_archE910ELNS1_3gpuE8ELNS1_3repE0EEENS1_44radix_sort_block_sort_config_static_selectorELNS0_4arch9wavefront6targetE0EEEvSF_.has_recursion, 0
	.set _ZN7rocprim17ROCPRIM_400000_NS6detail17trampoline_kernelINS0_13kernel_configILj256ELj4ELj4294967295EEENS1_37radix_sort_block_sort_config_selectorIdNS0_10empty_typeEEEZNS1_21radix_sort_block_sortIS4_Lb0EPKdPdPS6_SC_NS0_19identity_decomposerEEE10hipError_tT1_T2_T3_T4_jRjT5_jjP12ihipStream_tbEUlT_E_NS1_11comp_targetILNS1_3genE4ELNS1_11target_archE910ELNS1_3gpuE8ELNS1_3repE0EEENS1_44radix_sort_block_sort_config_static_selectorELNS0_4arch9wavefront6targetE0EEEvSF_.has_indirect_call, 0
	.section	.AMDGPU.csdata,"",@progbits
; Kernel info:
; codeLenInByte = 0
; TotalNumSgprs: 0
; NumVgprs: 0
; ScratchSize: 0
; MemoryBound: 0
; FloatMode: 240
; IeeeMode: 1
; LDSByteSize: 0 bytes/workgroup (compile time only)
; SGPRBlocks: 0
; VGPRBlocks: 0
; NumSGPRsForWavesPerEU: 1
; NumVGPRsForWavesPerEU: 1
; NamedBarCnt: 0
; Occupancy: 16
; WaveLimiterHint : 0
; COMPUTE_PGM_RSRC2:SCRATCH_EN: 0
; COMPUTE_PGM_RSRC2:USER_SGPR: 2
; COMPUTE_PGM_RSRC2:TRAP_HANDLER: 0
; COMPUTE_PGM_RSRC2:TGID_X_EN: 1
; COMPUTE_PGM_RSRC2:TGID_Y_EN: 0
; COMPUTE_PGM_RSRC2:TGID_Z_EN: 0
; COMPUTE_PGM_RSRC2:TIDIG_COMP_CNT: 0
	.section	.text._ZN7rocprim17ROCPRIM_400000_NS6detail17trampoline_kernelINS0_13kernel_configILj256ELj4ELj4294967295EEENS1_37radix_sort_block_sort_config_selectorIdNS0_10empty_typeEEEZNS1_21radix_sort_block_sortIS4_Lb0EPKdPdPS6_SC_NS0_19identity_decomposerEEE10hipError_tT1_T2_T3_T4_jRjT5_jjP12ihipStream_tbEUlT_E_NS1_11comp_targetILNS1_3genE3ELNS1_11target_archE908ELNS1_3gpuE7ELNS1_3repE0EEENS1_44radix_sort_block_sort_config_static_selectorELNS0_4arch9wavefront6targetE0EEEvSF_,"axG",@progbits,_ZN7rocprim17ROCPRIM_400000_NS6detail17trampoline_kernelINS0_13kernel_configILj256ELj4ELj4294967295EEENS1_37radix_sort_block_sort_config_selectorIdNS0_10empty_typeEEEZNS1_21radix_sort_block_sortIS4_Lb0EPKdPdPS6_SC_NS0_19identity_decomposerEEE10hipError_tT1_T2_T3_T4_jRjT5_jjP12ihipStream_tbEUlT_E_NS1_11comp_targetILNS1_3genE3ELNS1_11target_archE908ELNS1_3gpuE7ELNS1_3repE0EEENS1_44radix_sort_block_sort_config_static_selectorELNS0_4arch9wavefront6targetE0EEEvSF_,comdat
	.protected	_ZN7rocprim17ROCPRIM_400000_NS6detail17trampoline_kernelINS0_13kernel_configILj256ELj4ELj4294967295EEENS1_37radix_sort_block_sort_config_selectorIdNS0_10empty_typeEEEZNS1_21radix_sort_block_sortIS4_Lb0EPKdPdPS6_SC_NS0_19identity_decomposerEEE10hipError_tT1_T2_T3_T4_jRjT5_jjP12ihipStream_tbEUlT_E_NS1_11comp_targetILNS1_3genE3ELNS1_11target_archE908ELNS1_3gpuE7ELNS1_3repE0EEENS1_44radix_sort_block_sort_config_static_selectorELNS0_4arch9wavefront6targetE0EEEvSF_ ; -- Begin function _ZN7rocprim17ROCPRIM_400000_NS6detail17trampoline_kernelINS0_13kernel_configILj256ELj4ELj4294967295EEENS1_37radix_sort_block_sort_config_selectorIdNS0_10empty_typeEEEZNS1_21radix_sort_block_sortIS4_Lb0EPKdPdPS6_SC_NS0_19identity_decomposerEEE10hipError_tT1_T2_T3_T4_jRjT5_jjP12ihipStream_tbEUlT_E_NS1_11comp_targetILNS1_3genE3ELNS1_11target_archE908ELNS1_3gpuE7ELNS1_3repE0EEENS1_44radix_sort_block_sort_config_static_selectorELNS0_4arch9wavefront6targetE0EEEvSF_
	.globl	_ZN7rocprim17ROCPRIM_400000_NS6detail17trampoline_kernelINS0_13kernel_configILj256ELj4ELj4294967295EEENS1_37radix_sort_block_sort_config_selectorIdNS0_10empty_typeEEEZNS1_21radix_sort_block_sortIS4_Lb0EPKdPdPS6_SC_NS0_19identity_decomposerEEE10hipError_tT1_T2_T3_T4_jRjT5_jjP12ihipStream_tbEUlT_E_NS1_11comp_targetILNS1_3genE3ELNS1_11target_archE908ELNS1_3gpuE7ELNS1_3repE0EEENS1_44radix_sort_block_sort_config_static_selectorELNS0_4arch9wavefront6targetE0EEEvSF_
	.p2align	8
	.type	_ZN7rocprim17ROCPRIM_400000_NS6detail17trampoline_kernelINS0_13kernel_configILj256ELj4ELj4294967295EEENS1_37radix_sort_block_sort_config_selectorIdNS0_10empty_typeEEEZNS1_21radix_sort_block_sortIS4_Lb0EPKdPdPS6_SC_NS0_19identity_decomposerEEE10hipError_tT1_T2_T3_T4_jRjT5_jjP12ihipStream_tbEUlT_E_NS1_11comp_targetILNS1_3genE3ELNS1_11target_archE908ELNS1_3gpuE7ELNS1_3repE0EEENS1_44radix_sort_block_sort_config_static_selectorELNS0_4arch9wavefront6targetE0EEEvSF_,@function
_ZN7rocprim17ROCPRIM_400000_NS6detail17trampoline_kernelINS0_13kernel_configILj256ELj4ELj4294967295EEENS1_37radix_sort_block_sort_config_selectorIdNS0_10empty_typeEEEZNS1_21radix_sort_block_sortIS4_Lb0EPKdPdPS6_SC_NS0_19identity_decomposerEEE10hipError_tT1_T2_T3_T4_jRjT5_jjP12ihipStream_tbEUlT_E_NS1_11comp_targetILNS1_3genE3ELNS1_11target_archE908ELNS1_3gpuE7ELNS1_3repE0EEENS1_44radix_sort_block_sort_config_static_selectorELNS0_4arch9wavefront6targetE0EEEvSF_: ; @_ZN7rocprim17ROCPRIM_400000_NS6detail17trampoline_kernelINS0_13kernel_configILj256ELj4ELj4294967295EEENS1_37radix_sort_block_sort_config_selectorIdNS0_10empty_typeEEEZNS1_21radix_sort_block_sortIS4_Lb0EPKdPdPS6_SC_NS0_19identity_decomposerEEE10hipError_tT1_T2_T3_T4_jRjT5_jjP12ihipStream_tbEUlT_E_NS1_11comp_targetILNS1_3genE3ELNS1_11target_archE908ELNS1_3gpuE7ELNS1_3repE0EEENS1_44radix_sort_block_sort_config_static_selectorELNS0_4arch9wavefront6targetE0EEEvSF_
; %bb.0:
	.section	.rodata,"a",@progbits
	.p2align	6, 0x0
	.amdhsa_kernel _ZN7rocprim17ROCPRIM_400000_NS6detail17trampoline_kernelINS0_13kernel_configILj256ELj4ELj4294967295EEENS1_37radix_sort_block_sort_config_selectorIdNS0_10empty_typeEEEZNS1_21radix_sort_block_sortIS4_Lb0EPKdPdPS6_SC_NS0_19identity_decomposerEEE10hipError_tT1_T2_T3_T4_jRjT5_jjP12ihipStream_tbEUlT_E_NS1_11comp_targetILNS1_3genE3ELNS1_11target_archE908ELNS1_3gpuE7ELNS1_3repE0EEENS1_44radix_sort_block_sort_config_static_selectorELNS0_4arch9wavefront6targetE0EEEvSF_
		.amdhsa_group_segment_fixed_size 0
		.amdhsa_private_segment_fixed_size 0
		.amdhsa_kernarg_size 48
		.amdhsa_user_sgpr_count 2
		.amdhsa_user_sgpr_dispatch_ptr 0
		.amdhsa_user_sgpr_queue_ptr 0
		.amdhsa_user_sgpr_kernarg_segment_ptr 1
		.amdhsa_user_sgpr_dispatch_id 0
		.amdhsa_user_sgpr_kernarg_preload_length 0
		.amdhsa_user_sgpr_kernarg_preload_offset 0
		.amdhsa_user_sgpr_private_segment_size 0
		.amdhsa_wavefront_size32 1
		.amdhsa_uses_dynamic_stack 0
		.amdhsa_enable_private_segment 0
		.amdhsa_system_sgpr_workgroup_id_x 1
		.amdhsa_system_sgpr_workgroup_id_y 0
		.amdhsa_system_sgpr_workgroup_id_z 0
		.amdhsa_system_sgpr_workgroup_info 0
		.amdhsa_system_vgpr_workitem_id 0
		.amdhsa_next_free_vgpr 1
		.amdhsa_next_free_sgpr 1
		.amdhsa_named_barrier_count 0
		.amdhsa_reserve_vcc 0
		.amdhsa_float_round_mode_32 0
		.amdhsa_float_round_mode_16_64 0
		.amdhsa_float_denorm_mode_32 3
		.amdhsa_float_denorm_mode_16_64 3
		.amdhsa_fp16_overflow 0
		.amdhsa_memory_ordered 1
		.amdhsa_forward_progress 1
		.amdhsa_inst_pref_size 0
		.amdhsa_round_robin_scheduling 0
		.amdhsa_exception_fp_ieee_invalid_op 0
		.amdhsa_exception_fp_denorm_src 0
		.amdhsa_exception_fp_ieee_div_zero 0
		.amdhsa_exception_fp_ieee_overflow 0
		.amdhsa_exception_fp_ieee_underflow 0
		.amdhsa_exception_fp_ieee_inexact 0
		.amdhsa_exception_int_div_zero 0
	.end_amdhsa_kernel
	.section	.text._ZN7rocprim17ROCPRIM_400000_NS6detail17trampoline_kernelINS0_13kernel_configILj256ELj4ELj4294967295EEENS1_37radix_sort_block_sort_config_selectorIdNS0_10empty_typeEEEZNS1_21radix_sort_block_sortIS4_Lb0EPKdPdPS6_SC_NS0_19identity_decomposerEEE10hipError_tT1_T2_T3_T4_jRjT5_jjP12ihipStream_tbEUlT_E_NS1_11comp_targetILNS1_3genE3ELNS1_11target_archE908ELNS1_3gpuE7ELNS1_3repE0EEENS1_44radix_sort_block_sort_config_static_selectorELNS0_4arch9wavefront6targetE0EEEvSF_,"axG",@progbits,_ZN7rocprim17ROCPRIM_400000_NS6detail17trampoline_kernelINS0_13kernel_configILj256ELj4ELj4294967295EEENS1_37radix_sort_block_sort_config_selectorIdNS0_10empty_typeEEEZNS1_21radix_sort_block_sortIS4_Lb0EPKdPdPS6_SC_NS0_19identity_decomposerEEE10hipError_tT1_T2_T3_T4_jRjT5_jjP12ihipStream_tbEUlT_E_NS1_11comp_targetILNS1_3genE3ELNS1_11target_archE908ELNS1_3gpuE7ELNS1_3repE0EEENS1_44radix_sort_block_sort_config_static_selectorELNS0_4arch9wavefront6targetE0EEEvSF_,comdat
.Lfunc_end1557:
	.size	_ZN7rocprim17ROCPRIM_400000_NS6detail17trampoline_kernelINS0_13kernel_configILj256ELj4ELj4294967295EEENS1_37radix_sort_block_sort_config_selectorIdNS0_10empty_typeEEEZNS1_21radix_sort_block_sortIS4_Lb0EPKdPdPS6_SC_NS0_19identity_decomposerEEE10hipError_tT1_T2_T3_T4_jRjT5_jjP12ihipStream_tbEUlT_E_NS1_11comp_targetILNS1_3genE3ELNS1_11target_archE908ELNS1_3gpuE7ELNS1_3repE0EEENS1_44radix_sort_block_sort_config_static_selectorELNS0_4arch9wavefront6targetE0EEEvSF_, .Lfunc_end1557-_ZN7rocprim17ROCPRIM_400000_NS6detail17trampoline_kernelINS0_13kernel_configILj256ELj4ELj4294967295EEENS1_37radix_sort_block_sort_config_selectorIdNS0_10empty_typeEEEZNS1_21radix_sort_block_sortIS4_Lb0EPKdPdPS6_SC_NS0_19identity_decomposerEEE10hipError_tT1_T2_T3_T4_jRjT5_jjP12ihipStream_tbEUlT_E_NS1_11comp_targetILNS1_3genE3ELNS1_11target_archE908ELNS1_3gpuE7ELNS1_3repE0EEENS1_44radix_sort_block_sort_config_static_selectorELNS0_4arch9wavefront6targetE0EEEvSF_
                                        ; -- End function
	.set _ZN7rocprim17ROCPRIM_400000_NS6detail17trampoline_kernelINS0_13kernel_configILj256ELj4ELj4294967295EEENS1_37radix_sort_block_sort_config_selectorIdNS0_10empty_typeEEEZNS1_21radix_sort_block_sortIS4_Lb0EPKdPdPS6_SC_NS0_19identity_decomposerEEE10hipError_tT1_T2_T3_T4_jRjT5_jjP12ihipStream_tbEUlT_E_NS1_11comp_targetILNS1_3genE3ELNS1_11target_archE908ELNS1_3gpuE7ELNS1_3repE0EEENS1_44radix_sort_block_sort_config_static_selectorELNS0_4arch9wavefront6targetE0EEEvSF_.num_vgpr, 0
	.set _ZN7rocprim17ROCPRIM_400000_NS6detail17trampoline_kernelINS0_13kernel_configILj256ELj4ELj4294967295EEENS1_37radix_sort_block_sort_config_selectorIdNS0_10empty_typeEEEZNS1_21radix_sort_block_sortIS4_Lb0EPKdPdPS6_SC_NS0_19identity_decomposerEEE10hipError_tT1_T2_T3_T4_jRjT5_jjP12ihipStream_tbEUlT_E_NS1_11comp_targetILNS1_3genE3ELNS1_11target_archE908ELNS1_3gpuE7ELNS1_3repE0EEENS1_44radix_sort_block_sort_config_static_selectorELNS0_4arch9wavefront6targetE0EEEvSF_.num_agpr, 0
	.set _ZN7rocprim17ROCPRIM_400000_NS6detail17trampoline_kernelINS0_13kernel_configILj256ELj4ELj4294967295EEENS1_37radix_sort_block_sort_config_selectorIdNS0_10empty_typeEEEZNS1_21radix_sort_block_sortIS4_Lb0EPKdPdPS6_SC_NS0_19identity_decomposerEEE10hipError_tT1_T2_T3_T4_jRjT5_jjP12ihipStream_tbEUlT_E_NS1_11comp_targetILNS1_3genE3ELNS1_11target_archE908ELNS1_3gpuE7ELNS1_3repE0EEENS1_44radix_sort_block_sort_config_static_selectorELNS0_4arch9wavefront6targetE0EEEvSF_.numbered_sgpr, 0
	.set _ZN7rocprim17ROCPRIM_400000_NS6detail17trampoline_kernelINS0_13kernel_configILj256ELj4ELj4294967295EEENS1_37radix_sort_block_sort_config_selectorIdNS0_10empty_typeEEEZNS1_21radix_sort_block_sortIS4_Lb0EPKdPdPS6_SC_NS0_19identity_decomposerEEE10hipError_tT1_T2_T3_T4_jRjT5_jjP12ihipStream_tbEUlT_E_NS1_11comp_targetILNS1_3genE3ELNS1_11target_archE908ELNS1_3gpuE7ELNS1_3repE0EEENS1_44radix_sort_block_sort_config_static_selectorELNS0_4arch9wavefront6targetE0EEEvSF_.num_named_barrier, 0
	.set _ZN7rocprim17ROCPRIM_400000_NS6detail17trampoline_kernelINS0_13kernel_configILj256ELj4ELj4294967295EEENS1_37radix_sort_block_sort_config_selectorIdNS0_10empty_typeEEEZNS1_21radix_sort_block_sortIS4_Lb0EPKdPdPS6_SC_NS0_19identity_decomposerEEE10hipError_tT1_T2_T3_T4_jRjT5_jjP12ihipStream_tbEUlT_E_NS1_11comp_targetILNS1_3genE3ELNS1_11target_archE908ELNS1_3gpuE7ELNS1_3repE0EEENS1_44radix_sort_block_sort_config_static_selectorELNS0_4arch9wavefront6targetE0EEEvSF_.private_seg_size, 0
	.set _ZN7rocprim17ROCPRIM_400000_NS6detail17trampoline_kernelINS0_13kernel_configILj256ELj4ELj4294967295EEENS1_37radix_sort_block_sort_config_selectorIdNS0_10empty_typeEEEZNS1_21radix_sort_block_sortIS4_Lb0EPKdPdPS6_SC_NS0_19identity_decomposerEEE10hipError_tT1_T2_T3_T4_jRjT5_jjP12ihipStream_tbEUlT_E_NS1_11comp_targetILNS1_3genE3ELNS1_11target_archE908ELNS1_3gpuE7ELNS1_3repE0EEENS1_44radix_sort_block_sort_config_static_selectorELNS0_4arch9wavefront6targetE0EEEvSF_.uses_vcc, 0
	.set _ZN7rocprim17ROCPRIM_400000_NS6detail17trampoline_kernelINS0_13kernel_configILj256ELj4ELj4294967295EEENS1_37radix_sort_block_sort_config_selectorIdNS0_10empty_typeEEEZNS1_21radix_sort_block_sortIS4_Lb0EPKdPdPS6_SC_NS0_19identity_decomposerEEE10hipError_tT1_T2_T3_T4_jRjT5_jjP12ihipStream_tbEUlT_E_NS1_11comp_targetILNS1_3genE3ELNS1_11target_archE908ELNS1_3gpuE7ELNS1_3repE0EEENS1_44radix_sort_block_sort_config_static_selectorELNS0_4arch9wavefront6targetE0EEEvSF_.uses_flat_scratch, 0
	.set _ZN7rocprim17ROCPRIM_400000_NS6detail17trampoline_kernelINS0_13kernel_configILj256ELj4ELj4294967295EEENS1_37radix_sort_block_sort_config_selectorIdNS0_10empty_typeEEEZNS1_21radix_sort_block_sortIS4_Lb0EPKdPdPS6_SC_NS0_19identity_decomposerEEE10hipError_tT1_T2_T3_T4_jRjT5_jjP12ihipStream_tbEUlT_E_NS1_11comp_targetILNS1_3genE3ELNS1_11target_archE908ELNS1_3gpuE7ELNS1_3repE0EEENS1_44radix_sort_block_sort_config_static_selectorELNS0_4arch9wavefront6targetE0EEEvSF_.has_dyn_sized_stack, 0
	.set _ZN7rocprim17ROCPRIM_400000_NS6detail17trampoline_kernelINS0_13kernel_configILj256ELj4ELj4294967295EEENS1_37radix_sort_block_sort_config_selectorIdNS0_10empty_typeEEEZNS1_21radix_sort_block_sortIS4_Lb0EPKdPdPS6_SC_NS0_19identity_decomposerEEE10hipError_tT1_T2_T3_T4_jRjT5_jjP12ihipStream_tbEUlT_E_NS1_11comp_targetILNS1_3genE3ELNS1_11target_archE908ELNS1_3gpuE7ELNS1_3repE0EEENS1_44radix_sort_block_sort_config_static_selectorELNS0_4arch9wavefront6targetE0EEEvSF_.has_recursion, 0
	.set _ZN7rocprim17ROCPRIM_400000_NS6detail17trampoline_kernelINS0_13kernel_configILj256ELj4ELj4294967295EEENS1_37radix_sort_block_sort_config_selectorIdNS0_10empty_typeEEEZNS1_21radix_sort_block_sortIS4_Lb0EPKdPdPS6_SC_NS0_19identity_decomposerEEE10hipError_tT1_T2_T3_T4_jRjT5_jjP12ihipStream_tbEUlT_E_NS1_11comp_targetILNS1_3genE3ELNS1_11target_archE908ELNS1_3gpuE7ELNS1_3repE0EEENS1_44radix_sort_block_sort_config_static_selectorELNS0_4arch9wavefront6targetE0EEEvSF_.has_indirect_call, 0
	.section	.AMDGPU.csdata,"",@progbits
; Kernel info:
; codeLenInByte = 0
; TotalNumSgprs: 0
; NumVgprs: 0
; ScratchSize: 0
; MemoryBound: 0
; FloatMode: 240
; IeeeMode: 1
; LDSByteSize: 0 bytes/workgroup (compile time only)
; SGPRBlocks: 0
; VGPRBlocks: 0
; NumSGPRsForWavesPerEU: 1
; NumVGPRsForWavesPerEU: 1
; NamedBarCnt: 0
; Occupancy: 16
; WaveLimiterHint : 0
; COMPUTE_PGM_RSRC2:SCRATCH_EN: 0
; COMPUTE_PGM_RSRC2:USER_SGPR: 2
; COMPUTE_PGM_RSRC2:TRAP_HANDLER: 0
; COMPUTE_PGM_RSRC2:TGID_X_EN: 1
; COMPUTE_PGM_RSRC2:TGID_Y_EN: 0
; COMPUTE_PGM_RSRC2:TGID_Z_EN: 0
; COMPUTE_PGM_RSRC2:TIDIG_COMP_CNT: 0
	.section	.text._ZN7rocprim17ROCPRIM_400000_NS6detail17trampoline_kernelINS0_13kernel_configILj256ELj4ELj4294967295EEENS1_37radix_sort_block_sort_config_selectorIdNS0_10empty_typeEEEZNS1_21radix_sort_block_sortIS4_Lb0EPKdPdPS6_SC_NS0_19identity_decomposerEEE10hipError_tT1_T2_T3_T4_jRjT5_jjP12ihipStream_tbEUlT_E_NS1_11comp_targetILNS1_3genE2ELNS1_11target_archE906ELNS1_3gpuE6ELNS1_3repE0EEENS1_44radix_sort_block_sort_config_static_selectorELNS0_4arch9wavefront6targetE0EEEvSF_,"axG",@progbits,_ZN7rocprim17ROCPRIM_400000_NS6detail17trampoline_kernelINS0_13kernel_configILj256ELj4ELj4294967295EEENS1_37radix_sort_block_sort_config_selectorIdNS0_10empty_typeEEEZNS1_21radix_sort_block_sortIS4_Lb0EPKdPdPS6_SC_NS0_19identity_decomposerEEE10hipError_tT1_T2_T3_T4_jRjT5_jjP12ihipStream_tbEUlT_E_NS1_11comp_targetILNS1_3genE2ELNS1_11target_archE906ELNS1_3gpuE6ELNS1_3repE0EEENS1_44radix_sort_block_sort_config_static_selectorELNS0_4arch9wavefront6targetE0EEEvSF_,comdat
	.protected	_ZN7rocprim17ROCPRIM_400000_NS6detail17trampoline_kernelINS0_13kernel_configILj256ELj4ELj4294967295EEENS1_37radix_sort_block_sort_config_selectorIdNS0_10empty_typeEEEZNS1_21radix_sort_block_sortIS4_Lb0EPKdPdPS6_SC_NS0_19identity_decomposerEEE10hipError_tT1_T2_T3_T4_jRjT5_jjP12ihipStream_tbEUlT_E_NS1_11comp_targetILNS1_3genE2ELNS1_11target_archE906ELNS1_3gpuE6ELNS1_3repE0EEENS1_44radix_sort_block_sort_config_static_selectorELNS0_4arch9wavefront6targetE0EEEvSF_ ; -- Begin function _ZN7rocprim17ROCPRIM_400000_NS6detail17trampoline_kernelINS0_13kernel_configILj256ELj4ELj4294967295EEENS1_37radix_sort_block_sort_config_selectorIdNS0_10empty_typeEEEZNS1_21radix_sort_block_sortIS4_Lb0EPKdPdPS6_SC_NS0_19identity_decomposerEEE10hipError_tT1_T2_T3_T4_jRjT5_jjP12ihipStream_tbEUlT_E_NS1_11comp_targetILNS1_3genE2ELNS1_11target_archE906ELNS1_3gpuE6ELNS1_3repE0EEENS1_44radix_sort_block_sort_config_static_selectorELNS0_4arch9wavefront6targetE0EEEvSF_
	.globl	_ZN7rocprim17ROCPRIM_400000_NS6detail17trampoline_kernelINS0_13kernel_configILj256ELj4ELj4294967295EEENS1_37radix_sort_block_sort_config_selectorIdNS0_10empty_typeEEEZNS1_21radix_sort_block_sortIS4_Lb0EPKdPdPS6_SC_NS0_19identity_decomposerEEE10hipError_tT1_T2_T3_T4_jRjT5_jjP12ihipStream_tbEUlT_E_NS1_11comp_targetILNS1_3genE2ELNS1_11target_archE906ELNS1_3gpuE6ELNS1_3repE0EEENS1_44radix_sort_block_sort_config_static_selectorELNS0_4arch9wavefront6targetE0EEEvSF_
	.p2align	8
	.type	_ZN7rocprim17ROCPRIM_400000_NS6detail17trampoline_kernelINS0_13kernel_configILj256ELj4ELj4294967295EEENS1_37radix_sort_block_sort_config_selectorIdNS0_10empty_typeEEEZNS1_21radix_sort_block_sortIS4_Lb0EPKdPdPS6_SC_NS0_19identity_decomposerEEE10hipError_tT1_T2_T3_T4_jRjT5_jjP12ihipStream_tbEUlT_E_NS1_11comp_targetILNS1_3genE2ELNS1_11target_archE906ELNS1_3gpuE6ELNS1_3repE0EEENS1_44radix_sort_block_sort_config_static_selectorELNS0_4arch9wavefront6targetE0EEEvSF_,@function
_ZN7rocprim17ROCPRIM_400000_NS6detail17trampoline_kernelINS0_13kernel_configILj256ELj4ELj4294967295EEENS1_37radix_sort_block_sort_config_selectorIdNS0_10empty_typeEEEZNS1_21radix_sort_block_sortIS4_Lb0EPKdPdPS6_SC_NS0_19identity_decomposerEEE10hipError_tT1_T2_T3_T4_jRjT5_jjP12ihipStream_tbEUlT_E_NS1_11comp_targetILNS1_3genE2ELNS1_11target_archE906ELNS1_3gpuE6ELNS1_3repE0EEENS1_44radix_sort_block_sort_config_static_selectorELNS0_4arch9wavefront6targetE0EEEvSF_: ; @_ZN7rocprim17ROCPRIM_400000_NS6detail17trampoline_kernelINS0_13kernel_configILj256ELj4ELj4294967295EEENS1_37radix_sort_block_sort_config_selectorIdNS0_10empty_typeEEEZNS1_21radix_sort_block_sortIS4_Lb0EPKdPdPS6_SC_NS0_19identity_decomposerEEE10hipError_tT1_T2_T3_T4_jRjT5_jjP12ihipStream_tbEUlT_E_NS1_11comp_targetILNS1_3genE2ELNS1_11target_archE906ELNS1_3gpuE6ELNS1_3repE0EEENS1_44radix_sort_block_sort_config_static_selectorELNS0_4arch9wavefront6targetE0EEEvSF_
; %bb.0:
	.section	.rodata,"a",@progbits
	.p2align	6, 0x0
	.amdhsa_kernel _ZN7rocprim17ROCPRIM_400000_NS6detail17trampoline_kernelINS0_13kernel_configILj256ELj4ELj4294967295EEENS1_37radix_sort_block_sort_config_selectorIdNS0_10empty_typeEEEZNS1_21radix_sort_block_sortIS4_Lb0EPKdPdPS6_SC_NS0_19identity_decomposerEEE10hipError_tT1_T2_T3_T4_jRjT5_jjP12ihipStream_tbEUlT_E_NS1_11comp_targetILNS1_3genE2ELNS1_11target_archE906ELNS1_3gpuE6ELNS1_3repE0EEENS1_44radix_sort_block_sort_config_static_selectorELNS0_4arch9wavefront6targetE0EEEvSF_
		.amdhsa_group_segment_fixed_size 0
		.amdhsa_private_segment_fixed_size 0
		.amdhsa_kernarg_size 48
		.amdhsa_user_sgpr_count 2
		.amdhsa_user_sgpr_dispatch_ptr 0
		.amdhsa_user_sgpr_queue_ptr 0
		.amdhsa_user_sgpr_kernarg_segment_ptr 1
		.amdhsa_user_sgpr_dispatch_id 0
		.amdhsa_user_sgpr_kernarg_preload_length 0
		.amdhsa_user_sgpr_kernarg_preload_offset 0
		.amdhsa_user_sgpr_private_segment_size 0
		.amdhsa_wavefront_size32 1
		.amdhsa_uses_dynamic_stack 0
		.amdhsa_enable_private_segment 0
		.amdhsa_system_sgpr_workgroup_id_x 1
		.amdhsa_system_sgpr_workgroup_id_y 0
		.amdhsa_system_sgpr_workgroup_id_z 0
		.amdhsa_system_sgpr_workgroup_info 0
		.amdhsa_system_vgpr_workitem_id 0
		.amdhsa_next_free_vgpr 1
		.amdhsa_next_free_sgpr 1
		.amdhsa_named_barrier_count 0
		.amdhsa_reserve_vcc 0
		.amdhsa_float_round_mode_32 0
		.amdhsa_float_round_mode_16_64 0
		.amdhsa_float_denorm_mode_32 3
		.amdhsa_float_denorm_mode_16_64 3
		.amdhsa_fp16_overflow 0
		.amdhsa_memory_ordered 1
		.amdhsa_forward_progress 1
		.amdhsa_inst_pref_size 0
		.amdhsa_round_robin_scheduling 0
		.amdhsa_exception_fp_ieee_invalid_op 0
		.amdhsa_exception_fp_denorm_src 0
		.amdhsa_exception_fp_ieee_div_zero 0
		.amdhsa_exception_fp_ieee_overflow 0
		.amdhsa_exception_fp_ieee_underflow 0
		.amdhsa_exception_fp_ieee_inexact 0
		.amdhsa_exception_int_div_zero 0
	.end_amdhsa_kernel
	.section	.text._ZN7rocprim17ROCPRIM_400000_NS6detail17trampoline_kernelINS0_13kernel_configILj256ELj4ELj4294967295EEENS1_37radix_sort_block_sort_config_selectorIdNS0_10empty_typeEEEZNS1_21radix_sort_block_sortIS4_Lb0EPKdPdPS6_SC_NS0_19identity_decomposerEEE10hipError_tT1_T2_T3_T4_jRjT5_jjP12ihipStream_tbEUlT_E_NS1_11comp_targetILNS1_3genE2ELNS1_11target_archE906ELNS1_3gpuE6ELNS1_3repE0EEENS1_44radix_sort_block_sort_config_static_selectorELNS0_4arch9wavefront6targetE0EEEvSF_,"axG",@progbits,_ZN7rocprim17ROCPRIM_400000_NS6detail17trampoline_kernelINS0_13kernel_configILj256ELj4ELj4294967295EEENS1_37radix_sort_block_sort_config_selectorIdNS0_10empty_typeEEEZNS1_21radix_sort_block_sortIS4_Lb0EPKdPdPS6_SC_NS0_19identity_decomposerEEE10hipError_tT1_T2_T3_T4_jRjT5_jjP12ihipStream_tbEUlT_E_NS1_11comp_targetILNS1_3genE2ELNS1_11target_archE906ELNS1_3gpuE6ELNS1_3repE0EEENS1_44radix_sort_block_sort_config_static_selectorELNS0_4arch9wavefront6targetE0EEEvSF_,comdat
.Lfunc_end1558:
	.size	_ZN7rocprim17ROCPRIM_400000_NS6detail17trampoline_kernelINS0_13kernel_configILj256ELj4ELj4294967295EEENS1_37radix_sort_block_sort_config_selectorIdNS0_10empty_typeEEEZNS1_21radix_sort_block_sortIS4_Lb0EPKdPdPS6_SC_NS0_19identity_decomposerEEE10hipError_tT1_T2_T3_T4_jRjT5_jjP12ihipStream_tbEUlT_E_NS1_11comp_targetILNS1_3genE2ELNS1_11target_archE906ELNS1_3gpuE6ELNS1_3repE0EEENS1_44radix_sort_block_sort_config_static_selectorELNS0_4arch9wavefront6targetE0EEEvSF_, .Lfunc_end1558-_ZN7rocprim17ROCPRIM_400000_NS6detail17trampoline_kernelINS0_13kernel_configILj256ELj4ELj4294967295EEENS1_37radix_sort_block_sort_config_selectorIdNS0_10empty_typeEEEZNS1_21radix_sort_block_sortIS4_Lb0EPKdPdPS6_SC_NS0_19identity_decomposerEEE10hipError_tT1_T2_T3_T4_jRjT5_jjP12ihipStream_tbEUlT_E_NS1_11comp_targetILNS1_3genE2ELNS1_11target_archE906ELNS1_3gpuE6ELNS1_3repE0EEENS1_44radix_sort_block_sort_config_static_selectorELNS0_4arch9wavefront6targetE0EEEvSF_
                                        ; -- End function
	.set _ZN7rocprim17ROCPRIM_400000_NS6detail17trampoline_kernelINS0_13kernel_configILj256ELj4ELj4294967295EEENS1_37radix_sort_block_sort_config_selectorIdNS0_10empty_typeEEEZNS1_21radix_sort_block_sortIS4_Lb0EPKdPdPS6_SC_NS0_19identity_decomposerEEE10hipError_tT1_T2_T3_T4_jRjT5_jjP12ihipStream_tbEUlT_E_NS1_11comp_targetILNS1_3genE2ELNS1_11target_archE906ELNS1_3gpuE6ELNS1_3repE0EEENS1_44radix_sort_block_sort_config_static_selectorELNS0_4arch9wavefront6targetE0EEEvSF_.num_vgpr, 0
	.set _ZN7rocprim17ROCPRIM_400000_NS6detail17trampoline_kernelINS0_13kernel_configILj256ELj4ELj4294967295EEENS1_37radix_sort_block_sort_config_selectorIdNS0_10empty_typeEEEZNS1_21radix_sort_block_sortIS4_Lb0EPKdPdPS6_SC_NS0_19identity_decomposerEEE10hipError_tT1_T2_T3_T4_jRjT5_jjP12ihipStream_tbEUlT_E_NS1_11comp_targetILNS1_3genE2ELNS1_11target_archE906ELNS1_3gpuE6ELNS1_3repE0EEENS1_44radix_sort_block_sort_config_static_selectorELNS0_4arch9wavefront6targetE0EEEvSF_.num_agpr, 0
	.set _ZN7rocprim17ROCPRIM_400000_NS6detail17trampoline_kernelINS0_13kernel_configILj256ELj4ELj4294967295EEENS1_37radix_sort_block_sort_config_selectorIdNS0_10empty_typeEEEZNS1_21radix_sort_block_sortIS4_Lb0EPKdPdPS6_SC_NS0_19identity_decomposerEEE10hipError_tT1_T2_T3_T4_jRjT5_jjP12ihipStream_tbEUlT_E_NS1_11comp_targetILNS1_3genE2ELNS1_11target_archE906ELNS1_3gpuE6ELNS1_3repE0EEENS1_44radix_sort_block_sort_config_static_selectorELNS0_4arch9wavefront6targetE0EEEvSF_.numbered_sgpr, 0
	.set _ZN7rocprim17ROCPRIM_400000_NS6detail17trampoline_kernelINS0_13kernel_configILj256ELj4ELj4294967295EEENS1_37radix_sort_block_sort_config_selectorIdNS0_10empty_typeEEEZNS1_21radix_sort_block_sortIS4_Lb0EPKdPdPS6_SC_NS0_19identity_decomposerEEE10hipError_tT1_T2_T3_T4_jRjT5_jjP12ihipStream_tbEUlT_E_NS1_11comp_targetILNS1_3genE2ELNS1_11target_archE906ELNS1_3gpuE6ELNS1_3repE0EEENS1_44radix_sort_block_sort_config_static_selectorELNS0_4arch9wavefront6targetE0EEEvSF_.num_named_barrier, 0
	.set _ZN7rocprim17ROCPRIM_400000_NS6detail17trampoline_kernelINS0_13kernel_configILj256ELj4ELj4294967295EEENS1_37radix_sort_block_sort_config_selectorIdNS0_10empty_typeEEEZNS1_21radix_sort_block_sortIS4_Lb0EPKdPdPS6_SC_NS0_19identity_decomposerEEE10hipError_tT1_T2_T3_T4_jRjT5_jjP12ihipStream_tbEUlT_E_NS1_11comp_targetILNS1_3genE2ELNS1_11target_archE906ELNS1_3gpuE6ELNS1_3repE0EEENS1_44radix_sort_block_sort_config_static_selectorELNS0_4arch9wavefront6targetE0EEEvSF_.private_seg_size, 0
	.set _ZN7rocprim17ROCPRIM_400000_NS6detail17trampoline_kernelINS0_13kernel_configILj256ELj4ELj4294967295EEENS1_37radix_sort_block_sort_config_selectorIdNS0_10empty_typeEEEZNS1_21radix_sort_block_sortIS4_Lb0EPKdPdPS6_SC_NS0_19identity_decomposerEEE10hipError_tT1_T2_T3_T4_jRjT5_jjP12ihipStream_tbEUlT_E_NS1_11comp_targetILNS1_3genE2ELNS1_11target_archE906ELNS1_3gpuE6ELNS1_3repE0EEENS1_44radix_sort_block_sort_config_static_selectorELNS0_4arch9wavefront6targetE0EEEvSF_.uses_vcc, 0
	.set _ZN7rocprim17ROCPRIM_400000_NS6detail17trampoline_kernelINS0_13kernel_configILj256ELj4ELj4294967295EEENS1_37radix_sort_block_sort_config_selectorIdNS0_10empty_typeEEEZNS1_21radix_sort_block_sortIS4_Lb0EPKdPdPS6_SC_NS0_19identity_decomposerEEE10hipError_tT1_T2_T3_T4_jRjT5_jjP12ihipStream_tbEUlT_E_NS1_11comp_targetILNS1_3genE2ELNS1_11target_archE906ELNS1_3gpuE6ELNS1_3repE0EEENS1_44radix_sort_block_sort_config_static_selectorELNS0_4arch9wavefront6targetE0EEEvSF_.uses_flat_scratch, 0
	.set _ZN7rocprim17ROCPRIM_400000_NS6detail17trampoline_kernelINS0_13kernel_configILj256ELj4ELj4294967295EEENS1_37radix_sort_block_sort_config_selectorIdNS0_10empty_typeEEEZNS1_21radix_sort_block_sortIS4_Lb0EPKdPdPS6_SC_NS0_19identity_decomposerEEE10hipError_tT1_T2_T3_T4_jRjT5_jjP12ihipStream_tbEUlT_E_NS1_11comp_targetILNS1_3genE2ELNS1_11target_archE906ELNS1_3gpuE6ELNS1_3repE0EEENS1_44radix_sort_block_sort_config_static_selectorELNS0_4arch9wavefront6targetE0EEEvSF_.has_dyn_sized_stack, 0
	.set _ZN7rocprim17ROCPRIM_400000_NS6detail17trampoline_kernelINS0_13kernel_configILj256ELj4ELj4294967295EEENS1_37radix_sort_block_sort_config_selectorIdNS0_10empty_typeEEEZNS1_21radix_sort_block_sortIS4_Lb0EPKdPdPS6_SC_NS0_19identity_decomposerEEE10hipError_tT1_T2_T3_T4_jRjT5_jjP12ihipStream_tbEUlT_E_NS1_11comp_targetILNS1_3genE2ELNS1_11target_archE906ELNS1_3gpuE6ELNS1_3repE0EEENS1_44radix_sort_block_sort_config_static_selectorELNS0_4arch9wavefront6targetE0EEEvSF_.has_recursion, 0
	.set _ZN7rocprim17ROCPRIM_400000_NS6detail17trampoline_kernelINS0_13kernel_configILj256ELj4ELj4294967295EEENS1_37radix_sort_block_sort_config_selectorIdNS0_10empty_typeEEEZNS1_21radix_sort_block_sortIS4_Lb0EPKdPdPS6_SC_NS0_19identity_decomposerEEE10hipError_tT1_T2_T3_T4_jRjT5_jjP12ihipStream_tbEUlT_E_NS1_11comp_targetILNS1_3genE2ELNS1_11target_archE906ELNS1_3gpuE6ELNS1_3repE0EEENS1_44radix_sort_block_sort_config_static_selectorELNS0_4arch9wavefront6targetE0EEEvSF_.has_indirect_call, 0
	.section	.AMDGPU.csdata,"",@progbits
; Kernel info:
; codeLenInByte = 0
; TotalNumSgprs: 0
; NumVgprs: 0
; ScratchSize: 0
; MemoryBound: 0
; FloatMode: 240
; IeeeMode: 1
; LDSByteSize: 0 bytes/workgroup (compile time only)
; SGPRBlocks: 0
; VGPRBlocks: 0
; NumSGPRsForWavesPerEU: 1
; NumVGPRsForWavesPerEU: 1
; NamedBarCnt: 0
; Occupancy: 16
; WaveLimiterHint : 0
; COMPUTE_PGM_RSRC2:SCRATCH_EN: 0
; COMPUTE_PGM_RSRC2:USER_SGPR: 2
; COMPUTE_PGM_RSRC2:TRAP_HANDLER: 0
; COMPUTE_PGM_RSRC2:TGID_X_EN: 1
; COMPUTE_PGM_RSRC2:TGID_Y_EN: 0
; COMPUTE_PGM_RSRC2:TGID_Z_EN: 0
; COMPUTE_PGM_RSRC2:TIDIG_COMP_CNT: 0
	.section	.text._ZN7rocprim17ROCPRIM_400000_NS6detail17trampoline_kernelINS0_13kernel_configILj256ELj4ELj4294967295EEENS1_37radix_sort_block_sort_config_selectorIdNS0_10empty_typeEEEZNS1_21radix_sort_block_sortIS4_Lb0EPKdPdPS6_SC_NS0_19identity_decomposerEEE10hipError_tT1_T2_T3_T4_jRjT5_jjP12ihipStream_tbEUlT_E_NS1_11comp_targetILNS1_3genE10ELNS1_11target_archE1201ELNS1_3gpuE5ELNS1_3repE0EEENS1_44radix_sort_block_sort_config_static_selectorELNS0_4arch9wavefront6targetE0EEEvSF_,"axG",@progbits,_ZN7rocprim17ROCPRIM_400000_NS6detail17trampoline_kernelINS0_13kernel_configILj256ELj4ELj4294967295EEENS1_37radix_sort_block_sort_config_selectorIdNS0_10empty_typeEEEZNS1_21radix_sort_block_sortIS4_Lb0EPKdPdPS6_SC_NS0_19identity_decomposerEEE10hipError_tT1_T2_T3_T4_jRjT5_jjP12ihipStream_tbEUlT_E_NS1_11comp_targetILNS1_3genE10ELNS1_11target_archE1201ELNS1_3gpuE5ELNS1_3repE0EEENS1_44radix_sort_block_sort_config_static_selectorELNS0_4arch9wavefront6targetE0EEEvSF_,comdat
	.protected	_ZN7rocprim17ROCPRIM_400000_NS6detail17trampoline_kernelINS0_13kernel_configILj256ELj4ELj4294967295EEENS1_37radix_sort_block_sort_config_selectorIdNS0_10empty_typeEEEZNS1_21radix_sort_block_sortIS4_Lb0EPKdPdPS6_SC_NS0_19identity_decomposerEEE10hipError_tT1_T2_T3_T4_jRjT5_jjP12ihipStream_tbEUlT_E_NS1_11comp_targetILNS1_3genE10ELNS1_11target_archE1201ELNS1_3gpuE5ELNS1_3repE0EEENS1_44radix_sort_block_sort_config_static_selectorELNS0_4arch9wavefront6targetE0EEEvSF_ ; -- Begin function _ZN7rocprim17ROCPRIM_400000_NS6detail17trampoline_kernelINS0_13kernel_configILj256ELj4ELj4294967295EEENS1_37radix_sort_block_sort_config_selectorIdNS0_10empty_typeEEEZNS1_21radix_sort_block_sortIS4_Lb0EPKdPdPS6_SC_NS0_19identity_decomposerEEE10hipError_tT1_T2_T3_T4_jRjT5_jjP12ihipStream_tbEUlT_E_NS1_11comp_targetILNS1_3genE10ELNS1_11target_archE1201ELNS1_3gpuE5ELNS1_3repE0EEENS1_44radix_sort_block_sort_config_static_selectorELNS0_4arch9wavefront6targetE0EEEvSF_
	.globl	_ZN7rocprim17ROCPRIM_400000_NS6detail17trampoline_kernelINS0_13kernel_configILj256ELj4ELj4294967295EEENS1_37radix_sort_block_sort_config_selectorIdNS0_10empty_typeEEEZNS1_21radix_sort_block_sortIS4_Lb0EPKdPdPS6_SC_NS0_19identity_decomposerEEE10hipError_tT1_T2_T3_T4_jRjT5_jjP12ihipStream_tbEUlT_E_NS1_11comp_targetILNS1_3genE10ELNS1_11target_archE1201ELNS1_3gpuE5ELNS1_3repE0EEENS1_44radix_sort_block_sort_config_static_selectorELNS0_4arch9wavefront6targetE0EEEvSF_
	.p2align	8
	.type	_ZN7rocprim17ROCPRIM_400000_NS6detail17trampoline_kernelINS0_13kernel_configILj256ELj4ELj4294967295EEENS1_37radix_sort_block_sort_config_selectorIdNS0_10empty_typeEEEZNS1_21radix_sort_block_sortIS4_Lb0EPKdPdPS6_SC_NS0_19identity_decomposerEEE10hipError_tT1_T2_T3_T4_jRjT5_jjP12ihipStream_tbEUlT_E_NS1_11comp_targetILNS1_3genE10ELNS1_11target_archE1201ELNS1_3gpuE5ELNS1_3repE0EEENS1_44radix_sort_block_sort_config_static_selectorELNS0_4arch9wavefront6targetE0EEEvSF_,@function
_ZN7rocprim17ROCPRIM_400000_NS6detail17trampoline_kernelINS0_13kernel_configILj256ELj4ELj4294967295EEENS1_37radix_sort_block_sort_config_selectorIdNS0_10empty_typeEEEZNS1_21radix_sort_block_sortIS4_Lb0EPKdPdPS6_SC_NS0_19identity_decomposerEEE10hipError_tT1_T2_T3_T4_jRjT5_jjP12ihipStream_tbEUlT_E_NS1_11comp_targetILNS1_3genE10ELNS1_11target_archE1201ELNS1_3gpuE5ELNS1_3repE0EEENS1_44radix_sort_block_sort_config_static_selectorELNS0_4arch9wavefront6targetE0EEEvSF_: ; @_ZN7rocprim17ROCPRIM_400000_NS6detail17trampoline_kernelINS0_13kernel_configILj256ELj4ELj4294967295EEENS1_37radix_sort_block_sort_config_selectorIdNS0_10empty_typeEEEZNS1_21radix_sort_block_sortIS4_Lb0EPKdPdPS6_SC_NS0_19identity_decomposerEEE10hipError_tT1_T2_T3_T4_jRjT5_jjP12ihipStream_tbEUlT_E_NS1_11comp_targetILNS1_3genE10ELNS1_11target_archE1201ELNS1_3gpuE5ELNS1_3repE0EEENS1_44radix_sort_block_sort_config_static_selectorELNS0_4arch9wavefront6targetE0EEEvSF_
; %bb.0:
	.section	.rodata,"a",@progbits
	.p2align	6, 0x0
	.amdhsa_kernel _ZN7rocprim17ROCPRIM_400000_NS6detail17trampoline_kernelINS0_13kernel_configILj256ELj4ELj4294967295EEENS1_37radix_sort_block_sort_config_selectorIdNS0_10empty_typeEEEZNS1_21radix_sort_block_sortIS4_Lb0EPKdPdPS6_SC_NS0_19identity_decomposerEEE10hipError_tT1_T2_T3_T4_jRjT5_jjP12ihipStream_tbEUlT_E_NS1_11comp_targetILNS1_3genE10ELNS1_11target_archE1201ELNS1_3gpuE5ELNS1_3repE0EEENS1_44radix_sort_block_sort_config_static_selectorELNS0_4arch9wavefront6targetE0EEEvSF_
		.amdhsa_group_segment_fixed_size 0
		.amdhsa_private_segment_fixed_size 0
		.amdhsa_kernarg_size 48
		.amdhsa_user_sgpr_count 2
		.amdhsa_user_sgpr_dispatch_ptr 0
		.amdhsa_user_sgpr_queue_ptr 0
		.amdhsa_user_sgpr_kernarg_segment_ptr 1
		.amdhsa_user_sgpr_dispatch_id 0
		.amdhsa_user_sgpr_kernarg_preload_length 0
		.amdhsa_user_sgpr_kernarg_preload_offset 0
		.amdhsa_user_sgpr_private_segment_size 0
		.amdhsa_wavefront_size32 1
		.amdhsa_uses_dynamic_stack 0
		.amdhsa_enable_private_segment 0
		.amdhsa_system_sgpr_workgroup_id_x 1
		.amdhsa_system_sgpr_workgroup_id_y 0
		.amdhsa_system_sgpr_workgroup_id_z 0
		.amdhsa_system_sgpr_workgroup_info 0
		.amdhsa_system_vgpr_workitem_id 0
		.amdhsa_next_free_vgpr 1
		.amdhsa_next_free_sgpr 1
		.amdhsa_named_barrier_count 0
		.amdhsa_reserve_vcc 0
		.amdhsa_float_round_mode_32 0
		.amdhsa_float_round_mode_16_64 0
		.amdhsa_float_denorm_mode_32 3
		.amdhsa_float_denorm_mode_16_64 3
		.amdhsa_fp16_overflow 0
		.amdhsa_memory_ordered 1
		.amdhsa_forward_progress 1
		.amdhsa_inst_pref_size 0
		.amdhsa_round_robin_scheduling 0
		.amdhsa_exception_fp_ieee_invalid_op 0
		.amdhsa_exception_fp_denorm_src 0
		.amdhsa_exception_fp_ieee_div_zero 0
		.amdhsa_exception_fp_ieee_overflow 0
		.amdhsa_exception_fp_ieee_underflow 0
		.amdhsa_exception_fp_ieee_inexact 0
		.amdhsa_exception_int_div_zero 0
	.end_amdhsa_kernel
	.section	.text._ZN7rocprim17ROCPRIM_400000_NS6detail17trampoline_kernelINS0_13kernel_configILj256ELj4ELj4294967295EEENS1_37radix_sort_block_sort_config_selectorIdNS0_10empty_typeEEEZNS1_21radix_sort_block_sortIS4_Lb0EPKdPdPS6_SC_NS0_19identity_decomposerEEE10hipError_tT1_T2_T3_T4_jRjT5_jjP12ihipStream_tbEUlT_E_NS1_11comp_targetILNS1_3genE10ELNS1_11target_archE1201ELNS1_3gpuE5ELNS1_3repE0EEENS1_44radix_sort_block_sort_config_static_selectorELNS0_4arch9wavefront6targetE0EEEvSF_,"axG",@progbits,_ZN7rocprim17ROCPRIM_400000_NS6detail17trampoline_kernelINS0_13kernel_configILj256ELj4ELj4294967295EEENS1_37radix_sort_block_sort_config_selectorIdNS0_10empty_typeEEEZNS1_21radix_sort_block_sortIS4_Lb0EPKdPdPS6_SC_NS0_19identity_decomposerEEE10hipError_tT1_T2_T3_T4_jRjT5_jjP12ihipStream_tbEUlT_E_NS1_11comp_targetILNS1_3genE10ELNS1_11target_archE1201ELNS1_3gpuE5ELNS1_3repE0EEENS1_44radix_sort_block_sort_config_static_selectorELNS0_4arch9wavefront6targetE0EEEvSF_,comdat
.Lfunc_end1559:
	.size	_ZN7rocprim17ROCPRIM_400000_NS6detail17trampoline_kernelINS0_13kernel_configILj256ELj4ELj4294967295EEENS1_37radix_sort_block_sort_config_selectorIdNS0_10empty_typeEEEZNS1_21radix_sort_block_sortIS4_Lb0EPKdPdPS6_SC_NS0_19identity_decomposerEEE10hipError_tT1_T2_T3_T4_jRjT5_jjP12ihipStream_tbEUlT_E_NS1_11comp_targetILNS1_3genE10ELNS1_11target_archE1201ELNS1_3gpuE5ELNS1_3repE0EEENS1_44radix_sort_block_sort_config_static_selectorELNS0_4arch9wavefront6targetE0EEEvSF_, .Lfunc_end1559-_ZN7rocprim17ROCPRIM_400000_NS6detail17trampoline_kernelINS0_13kernel_configILj256ELj4ELj4294967295EEENS1_37radix_sort_block_sort_config_selectorIdNS0_10empty_typeEEEZNS1_21radix_sort_block_sortIS4_Lb0EPKdPdPS6_SC_NS0_19identity_decomposerEEE10hipError_tT1_T2_T3_T4_jRjT5_jjP12ihipStream_tbEUlT_E_NS1_11comp_targetILNS1_3genE10ELNS1_11target_archE1201ELNS1_3gpuE5ELNS1_3repE0EEENS1_44radix_sort_block_sort_config_static_selectorELNS0_4arch9wavefront6targetE0EEEvSF_
                                        ; -- End function
	.set _ZN7rocprim17ROCPRIM_400000_NS6detail17trampoline_kernelINS0_13kernel_configILj256ELj4ELj4294967295EEENS1_37radix_sort_block_sort_config_selectorIdNS0_10empty_typeEEEZNS1_21radix_sort_block_sortIS4_Lb0EPKdPdPS6_SC_NS0_19identity_decomposerEEE10hipError_tT1_T2_T3_T4_jRjT5_jjP12ihipStream_tbEUlT_E_NS1_11comp_targetILNS1_3genE10ELNS1_11target_archE1201ELNS1_3gpuE5ELNS1_3repE0EEENS1_44radix_sort_block_sort_config_static_selectorELNS0_4arch9wavefront6targetE0EEEvSF_.num_vgpr, 0
	.set _ZN7rocprim17ROCPRIM_400000_NS6detail17trampoline_kernelINS0_13kernel_configILj256ELj4ELj4294967295EEENS1_37radix_sort_block_sort_config_selectorIdNS0_10empty_typeEEEZNS1_21radix_sort_block_sortIS4_Lb0EPKdPdPS6_SC_NS0_19identity_decomposerEEE10hipError_tT1_T2_T3_T4_jRjT5_jjP12ihipStream_tbEUlT_E_NS1_11comp_targetILNS1_3genE10ELNS1_11target_archE1201ELNS1_3gpuE5ELNS1_3repE0EEENS1_44radix_sort_block_sort_config_static_selectorELNS0_4arch9wavefront6targetE0EEEvSF_.num_agpr, 0
	.set _ZN7rocprim17ROCPRIM_400000_NS6detail17trampoline_kernelINS0_13kernel_configILj256ELj4ELj4294967295EEENS1_37radix_sort_block_sort_config_selectorIdNS0_10empty_typeEEEZNS1_21radix_sort_block_sortIS4_Lb0EPKdPdPS6_SC_NS0_19identity_decomposerEEE10hipError_tT1_T2_T3_T4_jRjT5_jjP12ihipStream_tbEUlT_E_NS1_11comp_targetILNS1_3genE10ELNS1_11target_archE1201ELNS1_3gpuE5ELNS1_3repE0EEENS1_44radix_sort_block_sort_config_static_selectorELNS0_4arch9wavefront6targetE0EEEvSF_.numbered_sgpr, 0
	.set _ZN7rocprim17ROCPRIM_400000_NS6detail17trampoline_kernelINS0_13kernel_configILj256ELj4ELj4294967295EEENS1_37radix_sort_block_sort_config_selectorIdNS0_10empty_typeEEEZNS1_21radix_sort_block_sortIS4_Lb0EPKdPdPS6_SC_NS0_19identity_decomposerEEE10hipError_tT1_T2_T3_T4_jRjT5_jjP12ihipStream_tbEUlT_E_NS1_11comp_targetILNS1_3genE10ELNS1_11target_archE1201ELNS1_3gpuE5ELNS1_3repE0EEENS1_44radix_sort_block_sort_config_static_selectorELNS0_4arch9wavefront6targetE0EEEvSF_.num_named_barrier, 0
	.set _ZN7rocprim17ROCPRIM_400000_NS6detail17trampoline_kernelINS0_13kernel_configILj256ELj4ELj4294967295EEENS1_37radix_sort_block_sort_config_selectorIdNS0_10empty_typeEEEZNS1_21radix_sort_block_sortIS4_Lb0EPKdPdPS6_SC_NS0_19identity_decomposerEEE10hipError_tT1_T2_T3_T4_jRjT5_jjP12ihipStream_tbEUlT_E_NS1_11comp_targetILNS1_3genE10ELNS1_11target_archE1201ELNS1_3gpuE5ELNS1_3repE0EEENS1_44radix_sort_block_sort_config_static_selectorELNS0_4arch9wavefront6targetE0EEEvSF_.private_seg_size, 0
	.set _ZN7rocprim17ROCPRIM_400000_NS6detail17trampoline_kernelINS0_13kernel_configILj256ELj4ELj4294967295EEENS1_37radix_sort_block_sort_config_selectorIdNS0_10empty_typeEEEZNS1_21radix_sort_block_sortIS4_Lb0EPKdPdPS6_SC_NS0_19identity_decomposerEEE10hipError_tT1_T2_T3_T4_jRjT5_jjP12ihipStream_tbEUlT_E_NS1_11comp_targetILNS1_3genE10ELNS1_11target_archE1201ELNS1_3gpuE5ELNS1_3repE0EEENS1_44radix_sort_block_sort_config_static_selectorELNS0_4arch9wavefront6targetE0EEEvSF_.uses_vcc, 0
	.set _ZN7rocprim17ROCPRIM_400000_NS6detail17trampoline_kernelINS0_13kernel_configILj256ELj4ELj4294967295EEENS1_37radix_sort_block_sort_config_selectorIdNS0_10empty_typeEEEZNS1_21radix_sort_block_sortIS4_Lb0EPKdPdPS6_SC_NS0_19identity_decomposerEEE10hipError_tT1_T2_T3_T4_jRjT5_jjP12ihipStream_tbEUlT_E_NS1_11comp_targetILNS1_3genE10ELNS1_11target_archE1201ELNS1_3gpuE5ELNS1_3repE0EEENS1_44radix_sort_block_sort_config_static_selectorELNS0_4arch9wavefront6targetE0EEEvSF_.uses_flat_scratch, 0
	.set _ZN7rocprim17ROCPRIM_400000_NS6detail17trampoline_kernelINS0_13kernel_configILj256ELj4ELj4294967295EEENS1_37radix_sort_block_sort_config_selectorIdNS0_10empty_typeEEEZNS1_21radix_sort_block_sortIS4_Lb0EPKdPdPS6_SC_NS0_19identity_decomposerEEE10hipError_tT1_T2_T3_T4_jRjT5_jjP12ihipStream_tbEUlT_E_NS1_11comp_targetILNS1_3genE10ELNS1_11target_archE1201ELNS1_3gpuE5ELNS1_3repE0EEENS1_44radix_sort_block_sort_config_static_selectorELNS0_4arch9wavefront6targetE0EEEvSF_.has_dyn_sized_stack, 0
	.set _ZN7rocprim17ROCPRIM_400000_NS6detail17trampoline_kernelINS0_13kernel_configILj256ELj4ELj4294967295EEENS1_37radix_sort_block_sort_config_selectorIdNS0_10empty_typeEEEZNS1_21radix_sort_block_sortIS4_Lb0EPKdPdPS6_SC_NS0_19identity_decomposerEEE10hipError_tT1_T2_T3_T4_jRjT5_jjP12ihipStream_tbEUlT_E_NS1_11comp_targetILNS1_3genE10ELNS1_11target_archE1201ELNS1_3gpuE5ELNS1_3repE0EEENS1_44radix_sort_block_sort_config_static_selectorELNS0_4arch9wavefront6targetE0EEEvSF_.has_recursion, 0
	.set _ZN7rocprim17ROCPRIM_400000_NS6detail17trampoline_kernelINS0_13kernel_configILj256ELj4ELj4294967295EEENS1_37radix_sort_block_sort_config_selectorIdNS0_10empty_typeEEEZNS1_21radix_sort_block_sortIS4_Lb0EPKdPdPS6_SC_NS0_19identity_decomposerEEE10hipError_tT1_T2_T3_T4_jRjT5_jjP12ihipStream_tbEUlT_E_NS1_11comp_targetILNS1_3genE10ELNS1_11target_archE1201ELNS1_3gpuE5ELNS1_3repE0EEENS1_44radix_sort_block_sort_config_static_selectorELNS0_4arch9wavefront6targetE0EEEvSF_.has_indirect_call, 0
	.section	.AMDGPU.csdata,"",@progbits
; Kernel info:
; codeLenInByte = 0
; TotalNumSgprs: 0
; NumVgprs: 0
; ScratchSize: 0
; MemoryBound: 0
; FloatMode: 240
; IeeeMode: 1
; LDSByteSize: 0 bytes/workgroup (compile time only)
; SGPRBlocks: 0
; VGPRBlocks: 0
; NumSGPRsForWavesPerEU: 1
; NumVGPRsForWavesPerEU: 1
; NamedBarCnt: 0
; Occupancy: 16
; WaveLimiterHint : 0
; COMPUTE_PGM_RSRC2:SCRATCH_EN: 0
; COMPUTE_PGM_RSRC2:USER_SGPR: 2
; COMPUTE_PGM_RSRC2:TRAP_HANDLER: 0
; COMPUTE_PGM_RSRC2:TGID_X_EN: 1
; COMPUTE_PGM_RSRC2:TGID_Y_EN: 0
; COMPUTE_PGM_RSRC2:TGID_Z_EN: 0
; COMPUTE_PGM_RSRC2:TIDIG_COMP_CNT: 0
	.section	.text._ZN7rocprim17ROCPRIM_400000_NS6detail17trampoline_kernelINS0_13kernel_configILj256ELj4ELj4294967295EEENS1_37radix_sort_block_sort_config_selectorIdNS0_10empty_typeEEEZNS1_21radix_sort_block_sortIS4_Lb0EPKdPdPS6_SC_NS0_19identity_decomposerEEE10hipError_tT1_T2_T3_T4_jRjT5_jjP12ihipStream_tbEUlT_E_NS1_11comp_targetILNS1_3genE10ELNS1_11target_archE1200ELNS1_3gpuE4ELNS1_3repE0EEENS1_44radix_sort_block_sort_config_static_selectorELNS0_4arch9wavefront6targetE0EEEvSF_,"axG",@progbits,_ZN7rocprim17ROCPRIM_400000_NS6detail17trampoline_kernelINS0_13kernel_configILj256ELj4ELj4294967295EEENS1_37radix_sort_block_sort_config_selectorIdNS0_10empty_typeEEEZNS1_21radix_sort_block_sortIS4_Lb0EPKdPdPS6_SC_NS0_19identity_decomposerEEE10hipError_tT1_T2_T3_T4_jRjT5_jjP12ihipStream_tbEUlT_E_NS1_11comp_targetILNS1_3genE10ELNS1_11target_archE1200ELNS1_3gpuE4ELNS1_3repE0EEENS1_44radix_sort_block_sort_config_static_selectorELNS0_4arch9wavefront6targetE0EEEvSF_,comdat
	.protected	_ZN7rocprim17ROCPRIM_400000_NS6detail17trampoline_kernelINS0_13kernel_configILj256ELj4ELj4294967295EEENS1_37radix_sort_block_sort_config_selectorIdNS0_10empty_typeEEEZNS1_21radix_sort_block_sortIS4_Lb0EPKdPdPS6_SC_NS0_19identity_decomposerEEE10hipError_tT1_T2_T3_T4_jRjT5_jjP12ihipStream_tbEUlT_E_NS1_11comp_targetILNS1_3genE10ELNS1_11target_archE1200ELNS1_3gpuE4ELNS1_3repE0EEENS1_44radix_sort_block_sort_config_static_selectorELNS0_4arch9wavefront6targetE0EEEvSF_ ; -- Begin function _ZN7rocprim17ROCPRIM_400000_NS6detail17trampoline_kernelINS0_13kernel_configILj256ELj4ELj4294967295EEENS1_37radix_sort_block_sort_config_selectorIdNS0_10empty_typeEEEZNS1_21radix_sort_block_sortIS4_Lb0EPKdPdPS6_SC_NS0_19identity_decomposerEEE10hipError_tT1_T2_T3_T4_jRjT5_jjP12ihipStream_tbEUlT_E_NS1_11comp_targetILNS1_3genE10ELNS1_11target_archE1200ELNS1_3gpuE4ELNS1_3repE0EEENS1_44radix_sort_block_sort_config_static_selectorELNS0_4arch9wavefront6targetE0EEEvSF_
	.globl	_ZN7rocprim17ROCPRIM_400000_NS6detail17trampoline_kernelINS0_13kernel_configILj256ELj4ELj4294967295EEENS1_37radix_sort_block_sort_config_selectorIdNS0_10empty_typeEEEZNS1_21radix_sort_block_sortIS4_Lb0EPKdPdPS6_SC_NS0_19identity_decomposerEEE10hipError_tT1_T2_T3_T4_jRjT5_jjP12ihipStream_tbEUlT_E_NS1_11comp_targetILNS1_3genE10ELNS1_11target_archE1200ELNS1_3gpuE4ELNS1_3repE0EEENS1_44radix_sort_block_sort_config_static_selectorELNS0_4arch9wavefront6targetE0EEEvSF_
	.p2align	8
	.type	_ZN7rocprim17ROCPRIM_400000_NS6detail17trampoline_kernelINS0_13kernel_configILj256ELj4ELj4294967295EEENS1_37radix_sort_block_sort_config_selectorIdNS0_10empty_typeEEEZNS1_21radix_sort_block_sortIS4_Lb0EPKdPdPS6_SC_NS0_19identity_decomposerEEE10hipError_tT1_T2_T3_T4_jRjT5_jjP12ihipStream_tbEUlT_E_NS1_11comp_targetILNS1_3genE10ELNS1_11target_archE1200ELNS1_3gpuE4ELNS1_3repE0EEENS1_44radix_sort_block_sort_config_static_selectorELNS0_4arch9wavefront6targetE0EEEvSF_,@function
_ZN7rocprim17ROCPRIM_400000_NS6detail17trampoline_kernelINS0_13kernel_configILj256ELj4ELj4294967295EEENS1_37radix_sort_block_sort_config_selectorIdNS0_10empty_typeEEEZNS1_21radix_sort_block_sortIS4_Lb0EPKdPdPS6_SC_NS0_19identity_decomposerEEE10hipError_tT1_T2_T3_T4_jRjT5_jjP12ihipStream_tbEUlT_E_NS1_11comp_targetILNS1_3genE10ELNS1_11target_archE1200ELNS1_3gpuE4ELNS1_3repE0EEENS1_44radix_sort_block_sort_config_static_selectorELNS0_4arch9wavefront6targetE0EEEvSF_: ; @_ZN7rocprim17ROCPRIM_400000_NS6detail17trampoline_kernelINS0_13kernel_configILj256ELj4ELj4294967295EEENS1_37radix_sort_block_sort_config_selectorIdNS0_10empty_typeEEEZNS1_21radix_sort_block_sortIS4_Lb0EPKdPdPS6_SC_NS0_19identity_decomposerEEE10hipError_tT1_T2_T3_T4_jRjT5_jjP12ihipStream_tbEUlT_E_NS1_11comp_targetILNS1_3genE10ELNS1_11target_archE1200ELNS1_3gpuE4ELNS1_3repE0EEENS1_44radix_sort_block_sort_config_static_selectorELNS0_4arch9wavefront6targetE0EEEvSF_
; %bb.0:
	.section	.rodata,"a",@progbits
	.p2align	6, 0x0
	.amdhsa_kernel _ZN7rocprim17ROCPRIM_400000_NS6detail17trampoline_kernelINS0_13kernel_configILj256ELj4ELj4294967295EEENS1_37radix_sort_block_sort_config_selectorIdNS0_10empty_typeEEEZNS1_21radix_sort_block_sortIS4_Lb0EPKdPdPS6_SC_NS0_19identity_decomposerEEE10hipError_tT1_T2_T3_T4_jRjT5_jjP12ihipStream_tbEUlT_E_NS1_11comp_targetILNS1_3genE10ELNS1_11target_archE1200ELNS1_3gpuE4ELNS1_3repE0EEENS1_44radix_sort_block_sort_config_static_selectorELNS0_4arch9wavefront6targetE0EEEvSF_
		.amdhsa_group_segment_fixed_size 0
		.amdhsa_private_segment_fixed_size 0
		.amdhsa_kernarg_size 48
		.amdhsa_user_sgpr_count 2
		.amdhsa_user_sgpr_dispatch_ptr 0
		.amdhsa_user_sgpr_queue_ptr 0
		.amdhsa_user_sgpr_kernarg_segment_ptr 1
		.amdhsa_user_sgpr_dispatch_id 0
		.amdhsa_user_sgpr_kernarg_preload_length 0
		.amdhsa_user_sgpr_kernarg_preload_offset 0
		.amdhsa_user_sgpr_private_segment_size 0
		.amdhsa_wavefront_size32 1
		.amdhsa_uses_dynamic_stack 0
		.amdhsa_enable_private_segment 0
		.amdhsa_system_sgpr_workgroup_id_x 1
		.amdhsa_system_sgpr_workgroup_id_y 0
		.amdhsa_system_sgpr_workgroup_id_z 0
		.amdhsa_system_sgpr_workgroup_info 0
		.amdhsa_system_vgpr_workitem_id 0
		.amdhsa_next_free_vgpr 1
		.amdhsa_next_free_sgpr 1
		.amdhsa_named_barrier_count 0
		.amdhsa_reserve_vcc 0
		.amdhsa_float_round_mode_32 0
		.amdhsa_float_round_mode_16_64 0
		.amdhsa_float_denorm_mode_32 3
		.amdhsa_float_denorm_mode_16_64 3
		.amdhsa_fp16_overflow 0
		.amdhsa_memory_ordered 1
		.amdhsa_forward_progress 1
		.amdhsa_inst_pref_size 0
		.amdhsa_round_robin_scheduling 0
		.amdhsa_exception_fp_ieee_invalid_op 0
		.amdhsa_exception_fp_denorm_src 0
		.amdhsa_exception_fp_ieee_div_zero 0
		.amdhsa_exception_fp_ieee_overflow 0
		.amdhsa_exception_fp_ieee_underflow 0
		.amdhsa_exception_fp_ieee_inexact 0
		.amdhsa_exception_int_div_zero 0
	.end_amdhsa_kernel
	.section	.text._ZN7rocprim17ROCPRIM_400000_NS6detail17trampoline_kernelINS0_13kernel_configILj256ELj4ELj4294967295EEENS1_37radix_sort_block_sort_config_selectorIdNS0_10empty_typeEEEZNS1_21radix_sort_block_sortIS4_Lb0EPKdPdPS6_SC_NS0_19identity_decomposerEEE10hipError_tT1_T2_T3_T4_jRjT5_jjP12ihipStream_tbEUlT_E_NS1_11comp_targetILNS1_3genE10ELNS1_11target_archE1200ELNS1_3gpuE4ELNS1_3repE0EEENS1_44radix_sort_block_sort_config_static_selectorELNS0_4arch9wavefront6targetE0EEEvSF_,"axG",@progbits,_ZN7rocprim17ROCPRIM_400000_NS6detail17trampoline_kernelINS0_13kernel_configILj256ELj4ELj4294967295EEENS1_37radix_sort_block_sort_config_selectorIdNS0_10empty_typeEEEZNS1_21radix_sort_block_sortIS4_Lb0EPKdPdPS6_SC_NS0_19identity_decomposerEEE10hipError_tT1_T2_T3_T4_jRjT5_jjP12ihipStream_tbEUlT_E_NS1_11comp_targetILNS1_3genE10ELNS1_11target_archE1200ELNS1_3gpuE4ELNS1_3repE0EEENS1_44radix_sort_block_sort_config_static_selectorELNS0_4arch9wavefront6targetE0EEEvSF_,comdat
.Lfunc_end1560:
	.size	_ZN7rocprim17ROCPRIM_400000_NS6detail17trampoline_kernelINS0_13kernel_configILj256ELj4ELj4294967295EEENS1_37radix_sort_block_sort_config_selectorIdNS0_10empty_typeEEEZNS1_21radix_sort_block_sortIS4_Lb0EPKdPdPS6_SC_NS0_19identity_decomposerEEE10hipError_tT1_T2_T3_T4_jRjT5_jjP12ihipStream_tbEUlT_E_NS1_11comp_targetILNS1_3genE10ELNS1_11target_archE1200ELNS1_3gpuE4ELNS1_3repE0EEENS1_44radix_sort_block_sort_config_static_selectorELNS0_4arch9wavefront6targetE0EEEvSF_, .Lfunc_end1560-_ZN7rocprim17ROCPRIM_400000_NS6detail17trampoline_kernelINS0_13kernel_configILj256ELj4ELj4294967295EEENS1_37radix_sort_block_sort_config_selectorIdNS0_10empty_typeEEEZNS1_21radix_sort_block_sortIS4_Lb0EPKdPdPS6_SC_NS0_19identity_decomposerEEE10hipError_tT1_T2_T3_T4_jRjT5_jjP12ihipStream_tbEUlT_E_NS1_11comp_targetILNS1_3genE10ELNS1_11target_archE1200ELNS1_3gpuE4ELNS1_3repE0EEENS1_44radix_sort_block_sort_config_static_selectorELNS0_4arch9wavefront6targetE0EEEvSF_
                                        ; -- End function
	.set _ZN7rocprim17ROCPRIM_400000_NS6detail17trampoline_kernelINS0_13kernel_configILj256ELj4ELj4294967295EEENS1_37radix_sort_block_sort_config_selectorIdNS0_10empty_typeEEEZNS1_21radix_sort_block_sortIS4_Lb0EPKdPdPS6_SC_NS0_19identity_decomposerEEE10hipError_tT1_T2_T3_T4_jRjT5_jjP12ihipStream_tbEUlT_E_NS1_11comp_targetILNS1_3genE10ELNS1_11target_archE1200ELNS1_3gpuE4ELNS1_3repE0EEENS1_44radix_sort_block_sort_config_static_selectorELNS0_4arch9wavefront6targetE0EEEvSF_.num_vgpr, 0
	.set _ZN7rocprim17ROCPRIM_400000_NS6detail17trampoline_kernelINS0_13kernel_configILj256ELj4ELj4294967295EEENS1_37radix_sort_block_sort_config_selectorIdNS0_10empty_typeEEEZNS1_21radix_sort_block_sortIS4_Lb0EPKdPdPS6_SC_NS0_19identity_decomposerEEE10hipError_tT1_T2_T3_T4_jRjT5_jjP12ihipStream_tbEUlT_E_NS1_11comp_targetILNS1_3genE10ELNS1_11target_archE1200ELNS1_3gpuE4ELNS1_3repE0EEENS1_44radix_sort_block_sort_config_static_selectorELNS0_4arch9wavefront6targetE0EEEvSF_.num_agpr, 0
	.set _ZN7rocprim17ROCPRIM_400000_NS6detail17trampoline_kernelINS0_13kernel_configILj256ELj4ELj4294967295EEENS1_37radix_sort_block_sort_config_selectorIdNS0_10empty_typeEEEZNS1_21radix_sort_block_sortIS4_Lb0EPKdPdPS6_SC_NS0_19identity_decomposerEEE10hipError_tT1_T2_T3_T4_jRjT5_jjP12ihipStream_tbEUlT_E_NS1_11comp_targetILNS1_3genE10ELNS1_11target_archE1200ELNS1_3gpuE4ELNS1_3repE0EEENS1_44radix_sort_block_sort_config_static_selectorELNS0_4arch9wavefront6targetE0EEEvSF_.numbered_sgpr, 0
	.set _ZN7rocprim17ROCPRIM_400000_NS6detail17trampoline_kernelINS0_13kernel_configILj256ELj4ELj4294967295EEENS1_37radix_sort_block_sort_config_selectorIdNS0_10empty_typeEEEZNS1_21radix_sort_block_sortIS4_Lb0EPKdPdPS6_SC_NS0_19identity_decomposerEEE10hipError_tT1_T2_T3_T4_jRjT5_jjP12ihipStream_tbEUlT_E_NS1_11comp_targetILNS1_3genE10ELNS1_11target_archE1200ELNS1_3gpuE4ELNS1_3repE0EEENS1_44radix_sort_block_sort_config_static_selectorELNS0_4arch9wavefront6targetE0EEEvSF_.num_named_barrier, 0
	.set _ZN7rocprim17ROCPRIM_400000_NS6detail17trampoline_kernelINS0_13kernel_configILj256ELj4ELj4294967295EEENS1_37radix_sort_block_sort_config_selectorIdNS0_10empty_typeEEEZNS1_21radix_sort_block_sortIS4_Lb0EPKdPdPS6_SC_NS0_19identity_decomposerEEE10hipError_tT1_T2_T3_T4_jRjT5_jjP12ihipStream_tbEUlT_E_NS1_11comp_targetILNS1_3genE10ELNS1_11target_archE1200ELNS1_3gpuE4ELNS1_3repE0EEENS1_44radix_sort_block_sort_config_static_selectorELNS0_4arch9wavefront6targetE0EEEvSF_.private_seg_size, 0
	.set _ZN7rocprim17ROCPRIM_400000_NS6detail17trampoline_kernelINS0_13kernel_configILj256ELj4ELj4294967295EEENS1_37radix_sort_block_sort_config_selectorIdNS0_10empty_typeEEEZNS1_21radix_sort_block_sortIS4_Lb0EPKdPdPS6_SC_NS0_19identity_decomposerEEE10hipError_tT1_T2_T3_T4_jRjT5_jjP12ihipStream_tbEUlT_E_NS1_11comp_targetILNS1_3genE10ELNS1_11target_archE1200ELNS1_3gpuE4ELNS1_3repE0EEENS1_44radix_sort_block_sort_config_static_selectorELNS0_4arch9wavefront6targetE0EEEvSF_.uses_vcc, 0
	.set _ZN7rocprim17ROCPRIM_400000_NS6detail17trampoline_kernelINS0_13kernel_configILj256ELj4ELj4294967295EEENS1_37radix_sort_block_sort_config_selectorIdNS0_10empty_typeEEEZNS1_21radix_sort_block_sortIS4_Lb0EPKdPdPS6_SC_NS0_19identity_decomposerEEE10hipError_tT1_T2_T3_T4_jRjT5_jjP12ihipStream_tbEUlT_E_NS1_11comp_targetILNS1_3genE10ELNS1_11target_archE1200ELNS1_3gpuE4ELNS1_3repE0EEENS1_44radix_sort_block_sort_config_static_selectorELNS0_4arch9wavefront6targetE0EEEvSF_.uses_flat_scratch, 0
	.set _ZN7rocprim17ROCPRIM_400000_NS6detail17trampoline_kernelINS0_13kernel_configILj256ELj4ELj4294967295EEENS1_37radix_sort_block_sort_config_selectorIdNS0_10empty_typeEEEZNS1_21radix_sort_block_sortIS4_Lb0EPKdPdPS6_SC_NS0_19identity_decomposerEEE10hipError_tT1_T2_T3_T4_jRjT5_jjP12ihipStream_tbEUlT_E_NS1_11comp_targetILNS1_3genE10ELNS1_11target_archE1200ELNS1_3gpuE4ELNS1_3repE0EEENS1_44radix_sort_block_sort_config_static_selectorELNS0_4arch9wavefront6targetE0EEEvSF_.has_dyn_sized_stack, 0
	.set _ZN7rocprim17ROCPRIM_400000_NS6detail17trampoline_kernelINS0_13kernel_configILj256ELj4ELj4294967295EEENS1_37radix_sort_block_sort_config_selectorIdNS0_10empty_typeEEEZNS1_21radix_sort_block_sortIS4_Lb0EPKdPdPS6_SC_NS0_19identity_decomposerEEE10hipError_tT1_T2_T3_T4_jRjT5_jjP12ihipStream_tbEUlT_E_NS1_11comp_targetILNS1_3genE10ELNS1_11target_archE1200ELNS1_3gpuE4ELNS1_3repE0EEENS1_44radix_sort_block_sort_config_static_selectorELNS0_4arch9wavefront6targetE0EEEvSF_.has_recursion, 0
	.set _ZN7rocprim17ROCPRIM_400000_NS6detail17trampoline_kernelINS0_13kernel_configILj256ELj4ELj4294967295EEENS1_37radix_sort_block_sort_config_selectorIdNS0_10empty_typeEEEZNS1_21radix_sort_block_sortIS4_Lb0EPKdPdPS6_SC_NS0_19identity_decomposerEEE10hipError_tT1_T2_T3_T4_jRjT5_jjP12ihipStream_tbEUlT_E_NS1_11comp_targetILNS1_3genE10ELNS1_11target_archE1200ELNS1_3gpuE4ELNS1_3repE0EEENS1_44radix_sort_block_sort_config_static_selectorELNS0_4arch9wavefront6targetE0EEEvSF_.has_indirect_call, 0
	.section	.AMDGPU.csdata,"",@progbits
; Kernel info:
; codeLenInByte = 0
; TotalNumSgprs: 0
; NumVgprs: 0
; ScratchSize: 0
; MemoryBound: 0
; FloatMode: 240
; IeeeMode: 1
; LDSByteSize: 0 bytes/workgroup (compile time only)
; SGPRBlocks: 0
; VGPRBlocks: 0
; NumSGPRsForWavesPerEU: 1
; NumVGPRsForWavesPerEU: 1
; NamedBarCnt: 0
; Occupancy: 16
; WaveLimiterHint : 0
; COMPUTE_PGM_RSRC2:SCRATCH_EN: 0
; COMPUTE_PGM_RSRC2:USER_SGPR: 2
; COMPUTE_PGM_RSRC2:TRAP_HANDLER: 0
; COMPUTE_PGM_RSRC2:TGID_X_EN: 1
; COMPUTE_PGM_RSRC2:TGID_Y_EN: 0
; COMPUTE_PGM_RSRC2:TGID_Z_EN: 0
; COMPUTE_PGM_RSRC2:TIDIG_COMP_CNT: 0
	.section	.text._ZN7rocprim17ROCPRIM_400000_NS6detail17trampoline_kernelINS0_13kernel_configILj256ELj4ELj4294967295EEENS1_37radix_sort_block_sort_config_selectorIdNS0_10empty_typeEEEZNS1_21radix_sort_block_sortIS4_Lb0EPKdPdPS6_SC_NS0_19identity_decomposerEEE10hipError_tT1_T2_T3_T4_jRjT5_jjP12ihipStream_tbEUlT_E_NS1_11comp_targetILNS1_3genE9ELNS1_11target_archE1100ELNS1_3gpuE3ELNS1_3repE0EEENS1_44radix_sort_block_sort_config_static_selectorELNS0_4arch9wavefront6targetE0EEEvSF_,"axG",@progbits,_ZN7rocprim17ROCPRIM_400000_NS6detail17trampoline_kernelINS0_13kernel_configILj256ELj4ELj4294967295EEENS1_37radix_sort_block_sort_config_selectorIdNS0_10empty_typeEEEZNS1_21radix_sort_block_sortIS4_Lb0EPKdPdPS6_SC_NS0_19identity_decomposerEEE10hipError_tT1_T2_T3_T4_jRjT5_jjP12ihipStream_tbEUlT_E_NS1_11comp_targetILNS1_3genE9ELNS1_11target_archE1100ELNS1_3gpuE3ELNS1_3repE0EEENS1_44radix_sort_block_sort_config_static_selectorELNS0_4arch9wavefront6targetE0EEEvSF_,comdat
	.protected	_ZN7rocprim17ROCPRIM_400000_NS6detail17trampoline_kernelINS0_13kernel_configILj256ELj4ELj4294967295EEENS1_37radix_sort_block_sort_config_selectorIdNS0_10empty_typeEEEZNS1_21radix_sort_block_sortIS4_Lb0EPKdPdPS6_SC_NS0_19identity_decomposerEEE10hipError_tT1_T2_T3_T4_jRjT5_jjP12ihipStream_tbEUlT_E_NS1_11comp_targetILNS1_3genE9ELNS1_11target_archE1100ELNS1_3gpuE3ELNS1_3repE0EEENS1_44radix_sort_block_sort_config_static_selectorELNS0_4arch9wavefront6targetE0EEEvSF_ ; -- Begin function _ZN7rocprim17ROCPRIM_400000_NS6detail17trampoline_kernelINS0_13kernel_configILj256ELj4ELj4294967295EEENS1_37radix_sort_block_sort_config_selectorIdNS0_10empty_typeEEEZNS1_21radix_sort_block_sortIS4_Lb0EPKdPdPS6_SC_NS0_19identity_decomposerEEE10hipError_tT1_T2_T3_T4_jRjT5_jjP12ihipStream_tbEUlT_E_NS1_11comp_targetILNS1_3genE9ELNS1_11target_archE1100ELNS1_3gpuE3ELNS1_3repE0EEENS1_44radix_sort_block_sort_config_static_selectorELNS0_4arch9wavefront6targetE0EEEvSF_
	.globl	_ZN7rocprim17ROCPRIM_400000_NS6detail17trampoline_kernelINS0_13kernel_configILj256ELj4ELj4294967295EEENS1_37radix_sort_block_sort_config_selectorIdNS0_10empty_typeEEEZNS1_21radix_sort_block_sortIS4_Lb0EPKdPdPS6_SC_NS0_19identity_decomposerEEE10hipError_tT1_T2_T3_T4_jRjT5_jjP12ihipStream_tbEUlT_E_NS1_11comp_targetILNS1_3genE9ELNS1_11target_archE1100ELNS1_3gpuE3ELNS1_3repE0EEENS1_44radix_sort_block_sort_config_static_selectorELNS0_4arch9wavefront6targetE0EEEvSF_
	.p2align	8
	.type	_ZN7rocprim17ROCPRIM_400000_NS6detail17trampoline_kernelINS0_13kernel_configILj256ELj4ELj4294967295EEENS1_37radix_sort_block_sort_config_selectorIdNS0_10empty_typeEEEZNS1_21radix_sort_block_sortIS4_Lb0EPKdPdPS6_SC_NS0_19identity_decomposerEEE10hipError_tT1_T2_T3_T4_jRjT5_jjP12ihipStream_tbEUlT_E_NS1_11comp_targetILNS1_3genE9ELNS1_11target_archE1100ELNS1_3gpuE3ELNS1_3repE0EEENS1_44radix_sort_block_sort_config_static_selectorELNS0_4arch9wavefront6targetE0EEEvSF_,@function
_ZN7rocprim17ROCPRIM_400000_NS6detail17trampoline_kernelINS0_13kernel_configILj256ELj4ELj4294967295EEENS1_37radix_sort_block_sort_config_selectorIdNS0_10empty_typeEEEZNS1_21radix_sort_block_sortIS4_Lb0EPKdPdPS6_SC_NS0_19identity_decomposerEEE10hipError_tT1_T2_T3_T4_jRjT5_jjP12ihipStream_tbEUlT_E_NS1_11comp_targetILNS1_3genE9ELNS1_11target_archE1100ELNS1_3gpuE3ELNS1_3repE0EEENS1_44radix_sort_block_sort_config_static_selectorELNS0_4arch9wavefront6targetE0EEEvSF_: ; @_ZN7rocprim17ROCPRIM_400000_NS6detail17trampoline_kernelINS0_13kernel_configILj256ELj4ELj4294967295EEENS1_37radix_sort_block_sort_config_selectorIdNS0_10empty_typeEEEZNS1_21radix_sort_block_sortIS4_Lb0EPKdPdPS6_SC_NS0_19identity_decomposerEEE10hipError_tT1_T2_T3_T4_jRjT5_jjP12ihipStream_tbEUlT_E_NS1_11comp_targetILNS1_3genE9ELNS1_11target_archE1100ELNS1_3gpuE3ELNS1_3repE0EEENS1_44radix_sort_block_sort_config_static_selectorELNS0_4arch9wavefront6targetE0EEEvSF_
; %bb.0:
	.section	.rodata,"a",@progbits
	.p2align	6, 0x0
	.amdhsa_kernel _ZN7rocprim17ROCPRIM_400000_NS6detail17trampoline_kernelINS0_13kernel_configILj256ELj4ELj4294967295EEENS1_37radix_sort_block_sort_config_selectorIdNS0_10empty_typeEEEZNS1_21radix_sort_block_sortIS4_Lb0EPKdPdPS6_SC_NS0_19identity_decomposerEEE10hipError_tT1_T2_T3_T4_jRjT5_jjP12ihipStream_tbEUlT_E_NS1_11comp_targetILNS1_3genE9ELNS1_11target_archE1100ELNS1_3gpuE3ELNS1_3repE0EEENS1_44radix_sort_block_sort_config_static_selectorELNS0_4arch9wavefront6targetE0EEEvSF_
		.amdhsa_group_segment_fixed_size 0
		.amdhsa_private_segment_fixed_size 0
		.amdhsa_kernarg_size 48
		.amdhsa_user_sgpr_count 2
		.amdhsa_user_sgpr_dispatch_ptr 0
		.amdhsa_user_sgpr_queue_ptr 0
		.amdhsa_user_sgpr_kernarg_segment_ptr 1
		.amdhsa_user_sgpr_dispatch_id 0
		.amdhsa_user_sgpr_kernarg_preload_length 0
		.amdhsa_user_sgpr_kernarg_preload_offset 0
		.amdhsa_user_sgpr_private_segment_size 0
		.amdhsa_wavefront_size32 1
		.amdhsa_uses_dynamic_stack 0
		.amdhsa_enable_private_segment 0
		.amdhsa_system_sgpr_workgroup_id_x 1
		.amdhsa_system_sgpr_workgroup_id_y 0
		.amdhsa_system_sgpr_workgroup_id_z 0
		.amdhsa_system_sgpr_workgroup_info 0
		.amdhsa_system_vgpr_workitem_id 0
		.amdhsa_next_free_vgpr 1
		.amdhsa_next_free_sgpr 1
		.amdhsa_named_barrier_count 0
		.amdhsa_reserve_vcc 0
		.amdhsa_float_round_mode_32 0
		.amdhsa_float_round_mode_16_64 0
		.amdhsa_float_denorm_mode_32 3
		.amdhsa_float_denorm_mode_16_64 3
		.amdhsa_fp16_overflow 0
		.amdhsa_memory_ordered 1
		.amdhsa_forward_progress 1
		.amdhsa_inst_pref_size 0
		.amdhsa_round_robin_scheduling 0
		.amdhsa_exception_fp_ieee_invalid_op 0
		.amdhsa_exception_fp_denorm_src 0
		.amdhsa_exception_fp_ieee_div_zero 0
		.amdhsa_exception_fp_ieee_overflow 0
		.amdhsa_exception_fp_ieee_underflow 0
		.amdhsa_exception_fp_ieee_inexact 0
		.amdhsa_exception_int_div_zero 0
	.end_amdhsa_kernel
	.section	.text._ZN7rocprim17ROCPRIM_400000_NS6detail17trampoline_kernelINS0_13kernel_configILj256ELj4ELj4294967295EEENS1_37radix_sort_block_sort_config_selectorIdNS0_10empty_typeEEEZNS1_21radix_sort_block_sortIS4_Lb0EPKdPdPS6_SC_NS0_19identity_decomposerEEE10hipError_tT1_T2_T3_T4_jRjT5_jjP12ihipStream_tbEUlT_E_NS1_11comp_targetILNS1_3genE9ELNS1_11target_archE1100ELNS1_3gpuE3ELNS1_3repE0EEENS1_44radix_sort_block_sort_config_static_selectorELNS0_4arch9wavefront6targetE0EEEvSF_,"axG",@progbits,_ZN7rocprim17ROCPRIM_400000_NS6detail17trampoline_kernelINS0_13kernel_configILj256ELj4ELj4294967295EEENS1_37radix_sort_block_sort_config_selectorIdNS0_10empty_typeEEEZNS1_21radix_sort_block_sortIS4_Lb0EPKdPdPS6_SC_NS0_19identity_decomposerEEE10hipError_tT1_T2_T3_T4_jRjT5_jjP12ihipStream_tbEUlT_E_NS1_11comp_targetILNS1_3genE9ELNS1_11target_archE1100ELNS1_3gpuE3ELNS1_3repE0EEENS1_44radix_sort_block_sort_config_static_selectorELNS0_4arch9wavefront6targetE0EEEvSF_,comdat
.Lfunc_end1561:
	.size	_ZN7rocprim17ROCPRIM_400000_NS6detail17trampoline_kernelINS0_13kernel_configILj256ELj4ELj4294967295EEENS1_37radix_sort_block_sort_config_selectorIdNS0_10empty_typeEEEZNS1_21radix_sort_block_sortIS4_Lb0EPKdPdPS6_SC_NS0_19identity_decomposerEEE10hipError_tT1_T2_T3_T4_jRjT5_jjP12ihipStream_tbEUlT_E_NS1_11comp_targetILNS1_3genE9ELNS1_11target_archE1100ELNS1_3gpuE3ELNS1_3repE0EEENS1_44radix_sort_block_sort_config_static_selectorELNS0_4arch9wavefront6targetE0EEEvSF_, .Lfunc_end1561-_ZN7rocprim17ROCPRIM_400000_NS6detail17trampoline_kernelINS0_13kernel_configILj256ELj4ELj4294967295EEENS1_37radix_sort_block_sort_config_selectorIdNS0_10empty_typeEEEZNS1_21radix_sort_block_sortIS4_Lb0EPKdPdPS6_SC_NS0_19identity_decomposerEEE10hipError_tT1_T2_T3_T4_jRjT5_jjP12ihipStream_tbEUlT_E_NS1_11comp_targetILNS1_3genE9ELNS1_11target_archE1100ELNS1_3gpuE3ELNS1_3repE0EEENS1_44radix_sort_block_sort_config_static_selectorELNS0_4arch9wavefront6targetE0EEEvSF_
                                        ; -- End function
	.set _ZN7rocprim17ROCPRIM_400000_NS6detail17trampoline_kernelINS0_13kernel_configILj256ELj4ELj4294967295EEENS1_37radix_sort_block_sort_config_selectorIdNS0_10empty_typeEEEZNS1_21radix_sort_block_sortIS4_Lb0EPKdPdPS6_SC_NS0_19identity_decomposerEEE10hipError_tT1_T2_T3_T4_jRjT5_jjP12ihipStream_tbEUlT_E_NS1_11comp_targetILNS1_3genE9ELNS1_11target_archE1100ELNS1_3gpuE3ELNS1_3repE0EEENS1_44radix_sort_block_sort_config_static_selectorELNS0_4arch9wavefront6targetE0EEEvSF_.num_vgpr, 0
	.set _ZN7rocprim17ROCPRIM_400000_NS6detail17trampoline_kernelINS0_13kernel_configILj256ELj4ELj4294967295EEENS1_37radix_sort_block_sort_config_selectorIdNS0_10empty_typeEEEZNS1_21radix_sort_block_sortIS4_Lb0EPKdPdPS6_SC_NS0_19identity_decomposerEEE10hipError_tT1_T2_T3_T4_jRjT5_jjP12ihipStream_tbEUlT_E_NS1_11comp_targetILNS1_3genE9ELNS1_11target_archE1100ELNS1_3gpuE3ELNS1_3repE0EEENS1_44radix_sort_block_sort_config_static_selectorELNS0_4arch9wavefront6targetE0EEEvSF_.num_agpr, 0
	.set _ZN7rocprim17ROCPRIM_400000_NS6detail17trampoline_kernelINS0_13kernel_configILj256ELj4ELj4294967295EEENS1_37radix_sort_block_sort_config_selectorIdNS0_10empty_typeEEEZNS1_21radix_sort_block_sortIS4_Lb0EPKdPdPS6_SC_NS0_19identity_decomposerEEE10hipError_tT1_T2_T3_T4_jRjT5_jjP12ihipStream_tbEUlT_E_NS1_11comp_targetILNS1_3genE9ELNS1_11target_archE1100ELNS1_3gpuE3ELNS1_3repE0EEENS1_44radix_sort_block_sort_config_static_selectorELNS0_4arch9wavefront6targetE0EEEvSF_.numbered_sgpr, 0
	.set _ZN7rocprim17ROCPRIM_400000_NS6detail17trampoline_kernelINS0_13kernel_configILj256ELj4ELj4294967295EEENS1_37radix_sort_block_sort_config_selectorIdNS0_10empty_typeEEEZNS1_21radix_sort_block_sortIS4_Lb0EPKdPdPS6_SC_NS0_19identity_decomposerEEE10hipError_tT1_T2_T3_T4_jRjT5_jjP12ihipStream_tbEUlT_E_NS1_11comp_targetILNS1_3genE9ELNS1_11target_archE1100ELNS1_3gpuE3ELNS1_3repE0EEENS1_44radix_sort_block_sort_config_static_selectorELNS0_4arch9wavefront6targetE0EEEvSF_.num_named_barrier, 0
	.set _ZN7rocprim17ROCPRIM_400000_NS6detail17trampoline_kernelINS0_13kernel_configILj256ELj4ELj4294967295EEENS1_37radix_sort_block_sort_config_selectorIdNS0_10empty_typeEEEZNS1_21radix_sort_block_sortIS4_Lb0EPKdPdPS6_SC_NS0_19identity_decomposerEEE10hipError_tT1_T2_T3_T4_jRjT5_jjP12ihipStream_tbEUlT_E_NS1_11comp_targetILNS1_3genE9ELNS1_11target_archE1100ELNS1_3gpuE3ELNS1_3repE0EEENS1_44radix_sort_block_sort_config_static_selectorELNS0_4arch9wavefront6targetE0EEEvSF_.private_seg_size, 0
	.set _ZN7rocprim17ROCPRIM_400000_NS6detail17trampoline_kernelINS0_13kernel_configILj256ELj4ELj4294967295EEENS1_37radix_sort_block_sort_config_selectorIdNS0_10empty_typeEEEZNS1_21radix_sort_block_sortIS4_Lb0EPKdPdPS6_SC_NS0_19identity_decomposerEEE10hipError_tT1_T2_T3_T4_jRjT5_jjP12ihipStream_tbEUlT_E_NS1_11comp_targetILNS1_3genE9ELNS1_11target_archE1100ELNS1_3gpuE3ELNS1_3repE0EEENS1_44radix_sort_block_sort_config_static_selectorELNS0_4arch9wavefront6targetE0EEEvSF_.uses_vcc, 0
	.set _ZN7rocprim17ROCPRIM_400000_NS6detail17trampoline_kernelINS0_13kernel_configILj256ELj4ELj4294967295EEENS1_37radix_sort_block_sort_config_selectorIdNS0_10empty_typeEEEZNS1_21radix_sort_block_sortIS4_Lb0EPKdPdPS6_SC_NS0_19identity_decomposerEEE10hipError_tT1_T2_T3_T4_jRjT5_jjP12ihipStream_tbEUlT_E_NS1_11comp_targetILNS1_3genE9ELNS1_11target_archE1100ELNS1_3gpuE3ELNS1_3repE0EEENS1_44radix_sort_block_sort_config_static_selectorELNS0_4arch9wavefront6targetE0EEEvSF_.uses_flat_scratch, 0
	.set _ZN7rocprim17ROCPRIM_400000_NS6detail17trampoline_kernelINS0_13kernel_configILj256ELj4ELj4294967295EEENS1_37radix_sort_block_sort_config_selectorIdNS0_10empty_typeEEEZNS1_21radix_sort_block_sortIS4_Lb0EPKdPdPS6_SC_NS0_19identity_decomposerEEE10hipError_tT1_T2_T3_T4_jRjT5_jjP12ihipStream_tbEUlT_E_NS1_11comp_targetILNS1_3genE9ELNS1_11target_archE1100ELNS1_3gpuE3ELNS1_3repE0EEENS1_44radix_sort_block_sort_config_static_selectorELNS0_4arch9wavefront6targetE0EEEvSF_.has_dyn_sized_stack, 0
	.set _ZN7rocprim17ROCPRIM_400000_NS6detail17trampoline_kernelINS0_13kernel_configILj256ELj4ELj4294967295EEENS1_37radix_sort_block_sort_config_selectorIdNS0_10empty_typeEEEZNS1_21radix_sort_block_sortIS4_Lb0EPKdPdPS6_SC_NS0_19identity_decomposerEEE10hipError_tT1_T2_T3_T4_jRjT5_jjP12ihipStream_tbEUlT_E_NS1_11comp_targetILNS1_3genE9ELNS1_11target_archE1100ELNS1_3gpuE3ELNS1_3repE0EEENS1_44radix_sort_block_sort_config_static_selectorELNS0_4arch9wavefront6targetE0EEEvSF_.has_recursion, 0
	.set _ZN7rocprim17ROCPRIM_400000_NS6detail17trampoline_kernelINS0_13kernel_configILj256ELj4ELj4294967295EEENS1_37radix_sort_block_sort_config_selectorIdNS0_10empty_typeEEEZNS1_21radix_sort_block_sortIS4_Lb0EPKdPdPS6_SC_NS0_19identity_decomposerEEE10hipError_tT1_T2_T3_T4_jRjT5_jjP12ihipStream_tbEUlT_E_NS1_11comp_targetILNS1_3genE9ELNS1_11target_archE1100ELNS1_3gpuE3ELNS1_3repE0EEENS1_44radix_sort_block_sort_config_static_selectorELNS0_4arch9wavefront6targetE0EEEvSF_.has_indirect_call, 0
	.section	.AMDGPU.csdata,"",@progbits
; Kernel info:
; codeLenInByte = 0
; TotalNumSgprs: 0
; NumVgprs: 0
; ScratchSize: 0
; MemoryBound: 0
; FloatMode: 240
; IeeeMode: 1
; LDSByteSize: 0 bytes/workgroup (compile time only)
; SGPRBlocks: 0
; VGPRBlocks: 0
; NumSGPRsForWavesPerEU: 1
; NumVGPRsForWavesPerEU: 1
; NamedBarCnt: 0
; Occupancy: 16
; WaveLimiterHint : 0
; COMPUTE_PGM_RSRC2:SCRATCH_EN: 0
; COMPUTE_PGM_RSRC2:USER_SGPR: 2
; COMPUTE_PGM_RSRC2:TRAP_HANDLER: 0
; COMPUTE_PGM_RSRC2:TGID_X_EN: 1
; COMPUTE_PGM_RSRC2:TGID_Y_EN: 0
; COMPUTE_PGM_RSRC2:TGID_Z_EN: 0
; COMPUTE_PGM_RSRC2:TIDIG_COMP_CNT: 0
	.section	.text._ZN7rocprim17ROCPRIM_400000_NS6detail17trampoline_kernelINS0_13kernel_configILj256ELj4ELj4294967295EEENS1_37radix_sort_block_sort_config_selectorIdNS0_10empty_typeEEEZNS1_21radix_sort_block_sortIS4_Lb0EPKdPdPS6_SC_NS0_19identity_decomposerEEE10hipError_tT1_T2_T3_T4_jRjT5_jjP12ihipStream_tbEUlT_E_NS1_11comp_targetILNS1_3genE8ELNS1_11target_archE1030ELNS1_3gpuE2ELNS1_3repE0EEENS1_44radix_sort_block_sort_config_static_selectorELNS0_4arch9wavefront6targetE0EEEvSF_,"axG",@progbits,_ZN7rocprim17ROCPRIM_400000_NS6detail17trampoline_kernelINS0_13kernel_configILj256ELj4ELj4294967295EEENS1_37radix_sort_block_sort_config_selectorIdNS0_10empty_typeEEEZNS1_21radix_sort_block_sortIS4_Lb0EPKdPdPS6_SC_NS0_19identity_decomposerEEE10hipError_tT1_T2_T3_T4_jRjT5_jjP12ihipStream_tbEUlT_E_NS1_11comp_targetILNS1_3genE8ELNS1_11target_archE1030ELNS1_3gpuE2ELNS1_3repE0EEENS1_44radix_sort_block_sort_config_static_selectorELNS0_4arch9wavefront6targetE0EEEvSF_,comdat
	.protected	_ZN7rocprim17ROCPRIM_400000_NS6detail17trampoline_kernelINS0_13kernel_configILj256ELj4ELj4294967295EEENS1_37radix_sort_block_sort_config_selectorIdNS0_10empty_typeEEEZNS1_21radix_sort_block_sortIS4_Lb0EPKdPdPS6_SC_NS0_19identity_decomposerEEE10hipError_tT1_T2_T3_T4_jRjT5_jjP12ihipStream_tbEUlT_E_NS1_11comp_targetILNS1_3genE8ELNS1_11target_archE1030ELNS1_3gpuE2ELNS1_3repE0EEENS1_44radix_sort_block_sort_config_static_selectorELNS0_4arch9wavefront6targetE0EEEvSF_ ; -- Begin function _ZN7rocprim17ROCPRIM_400000_NS6detail17trampoline_kernelINS0_13kernel_configILj256ELj4ELj4294967295EEENS1_37radix_sort_block_sort_config_selectorIdNS0_10empty_typeEEEZNS1_21radix_sort_block_sortIS4_Lb0EPKdPdPS6_SC_NS0_19identity_decomposerEEE10hipError_tT1_T2_T3_T4_jRjT5_jjP12ihipStream_tbEUlT_E_NS1_11comp_targetILNS1_3genE8ELNS1_11target_archE1030ELNS1_3gpuE2ELNS1_3repE0EEENS1_44radix_sort_block_sort_config_static_selectorELNS0_4arch9wavefront6targetE0EEEvSF_
	.globl	_ZN7rocprim17ROCPRIM_400000_NS6detail17trampoline_kernelINS0_13kernel_configILj256ELj4ELj4294967295EEENS1_37radix_sort_block_sort_config_selectorIdNS0_10empty_typeEEEZNS1_21radix_sort_block_sortIS4_Lb0EPKdPdPS6_SC_NS0_19identity_decomposerEEE10hipError_tT1_T2_T3_T4_jRjT5_jjP12ihipStream_tbEUlT_E_NS1_11comp_targetILNS1_3genE8ELNS1_11target_archE1030ELNS1_3gpuE2ELNS1_3repE0EEENS1_44radix_sort_block_sort_config_static_selectorELNS0_4arch9wavefront6targetE0EEEvSF_
	.p2align	8
	.type	_ZN7rocprim17ROCPRIM_400000_NS6detail17trampoline_kernelINS0_13kernel_configILj256ELj4ELj4294967295EEENS1_37radix_sort_block_sort_config_selectorIdNS0_10empty_typeEEEZNS1_21radix_sort_block_sortIS4_Lb0EPKdPdPS6_SC_NS0_19identity_decomposerEEE10hipError_tT1_T2_T3_T4_jRjT5_jjP12ihipStream_tbEUlT_E_NS1_11comp_targetILNS1_3genE8ELNS1_11target_archE1030ELNS1_3gpuE2ELNS1_3repE0EEENS1_44radix_sort_block_sort_config_static_selectorELNS0_4arch9wavefront6targetE0EEEvSF_,@function
_ZN7rocprim17ROCPRIM_400000_NS6detail17trampoline_kernelINS0_13kernel_configILj256ELj4ELj4294967295EEENS1_37radix_sort_block_sort_config_selectorIdNS0_10empty_typeEEEZNS1_21radix_sort_block_sortIS4_Lb0EPKdPdPS6_SC_NS0_19identity_decomposerEEE10hipError_tT1_T2_T3_T4_jRjT5_jjP12ihipStream_tbEUlT_E_NS1_11comp_targetILNS1_3genE8ELNS1_11target_archE1030ELNS1_3gpuE2ELNS1_3repE0EEENS1_44radix_sort_block_sort_config_static_selectorELNS0_4arch9wavefront6targetE0EEEvSF_: ; @_ZN7rocprim17ROCPRIM_400000_NS6detail17trampoline_kernelINS0_13kernel_configILj256ELj4ELj4294967295EEENS1_37radix_sort_block_sort_config_selectorIdNS0_10empty_typeEEEZNS1_21radix_sort_block_sortIS4_Lb0EPKdPdPS6_SC_NS0_19identity_decomposerEEE10hipError_tT1_T2_T3_T4_jRjT5_jjP12ihipStream_tbEUlT_E_NS1_11comp_targetILNS1_3genE8ELNS1_11target_archE1030ELNS1_3gpuE2ELNS1_3repE0EEENS1_44radix_sort_block_sort_config_static_selectorELNS0_4arch9wavefront6targetE0EEEvSF_
; %bb.0:
	.section	.rodata,"a",@progbits
	.p2align	6, 0x0
	.amdhsa_kernel _ZN7rocprim17ROCPRIM_400000_NS6detail17trampoline_kernelINS0_13kernel_configILj256ELj4ELj4294967295EEENS1_37radix_sort_block_sort_config_selectorIdNS0_10empty_typeEEEZNS1_21radix_sort_block_sortIS4_Lb0EPKdPdPS6_SC_NS0_19identity_decomposerEEE10hipError_tT1_T2_T3_T4_jRjT5_jjP12ihipStream_tbEUlT_E_NS1_11comp_targetILNS1_3genE8ELNS1_11target_archE1030ELNS1_3gpuE2ELNS1_3repE0EEENS1_44radix_sort_block_sort_config_static_selectorELNS0_4arch9wavefront6targetE0EEEvSF_
		.amdhsa_group_segment_fixed_size 0
		.amdhsa_private_segment_fixed_size 0
		.amdhsa_kernarg_size 48
		.amdhsa_user_sgpr_count 2
		.amdhsa_user_sgpr_dispatch_ptr 0
		.amdhsa_user_sgpr_queue_ptr 0
		.amdhsa_user_sgpr_kernarg_segment_ptr 1
		.amdhsa_user_sgpr_dispatch_id 0
		.amdhsa_user_sgpr_kernarg_preload_length 0
		.amdhsa_user_sgpr_kernarg_preload_offset 0
		.amdhsa_user_sgpr_private_segment_size 0
		.amdhsa_wavefront_size32 1
		.amdhsa_uses_dynamic_stack 0
		.amdhsa_enable_private_segment 0
		.amdhsa_system_sgpr_workgroup_id_x 1
		.amdhsa_system_sgpr_workgroup_id_y 0
		.amdhsa_system_sgpr_workgroup_id_z 0
		.amdhsa_system_sgpr_workgroup_info 0
		.amdhsa_system_vgpr_workitem_id 0
		.amdhsa_next_free_vgpr 1
		.amdhsa_next_free_sgpr 1
		.amdhsa_named_barrier_count 0
		.amdhsa_reserve_vcc 0
		.amdhsa_float_round_mode_32 0
		.amdhsa_float_round_mode_16_64 0
		.amdhsa_float_denorm_mode_32 3
		.amdhsa_float_denorm_mode_16_64 3
		.amdhsa_fp16_overflow 0
		.amdhsa_memory_ordered 1
		.amdhsa_forward_progress 1
		.amdhsa_inst_pref_size 0
		.amdhsa_round_robin_scheduling 0
		.amdhsa_exception_fp_ieee_invalid_op 0
		.amdhsa_exception_fp_denorm_src 0
		.amdhsa_exception_fp_ieee_div_zero 0
		.amdhsa_exception_fp_ieee_overflow 0
		.amdhsa_exception_fp_ieee_underflow 0
		.amdhsa_exception_fp_ieee_inexact 0
		.amdhsa_exception_int_div_zero 0
	.end_amdhsa_kernel
	.section	.text._ZN7rocprim17ROCPRIM_400000_NS6detail17trampoline_kernelINS0_13kernel_configILj256ELj4ELj4294967295EEENS1_37radix_sort_block_sort_config_selectorIdNS0_10empty_typeEEEZNS1_21radix_sort_block_sortIS4_Lb0EPKdPdPS6_SC_NS0_19identity_decomposerEEE10hipError_tT1_T2_T3_T4_jRjT5_jjP12ihipStream_tbEUlT_E_NS1_11comp_targetILNS1_3genE8ELNS1_11target_archE1030ELNS1_3gpuE2ELNS1_3repE0EEENS1_44radix_sort_block_sort_config_static_selectorELNS0_4arch9wavefront6targetE0EEEvSF_,"axG",@progbits,_ZN7rocprim17ROCPRIM_400000_NS6detail17trampoline_kernelINS0_13kernel_configILj256ELj4ELj4294967295EEENS1_37radix_sort_block_sort_config_selectorIdNS0_10empty_typeEEEZNS1_21radix_sort_block_sortIS4_Lb0EPKdPdPS6_SC_NS0_19identity_decomposerEEE10hipError_tT1_T2_T3_T4_jRjT5_jjP12ihipStream_tbEUlT_E_NS1_11comp_targetILNS1_3genE8ELNS1_11target_archE1030ELNS1_3gpuE2ELNS1_3repE0EEENS1_44radix_sort_block_sort_config_static_selectorELNS0_4arch9wavefront6targetE0EEEvSF_,comdat
.Lfunc_end1562:
	.size	_ZN7rocprim17ROCPRIM_400000_NS6detail17trampoline_kernelINS0_13kernel_configILj256ELj4ELj4294967295EEENS1_37radix_sort_block_sort_config_selectorIdNS0_10empty_typeEEEZNS1_21radix_sort_block_sortIS4_Lb0EPKdPdPS6_SC_NS0_19identity_decomposerEEE10hipError_tT1_T2_T3_T4_jRjT5_jjP12ihipStream_tbEUlT_E_NS1_11comp_targetILNS1_3genE8ELNS1_11target_archE1030ELNS1_3gpuE2ELNS1_3repE0EEENS1_44radix_sort_block_sort_config_static_selectorELNS0_4arch9wavefront6targetE0EEEvSF_, .Lfunc_end1562-_ZN7rocprim17ROCPRIM_400000_NS6detail17trampoline_kernelINS0_13kernel_configILj256ELj4ELj4294967295EEENS1_37radix_sort_block_sort_config_selectorIdNS0_10empty_typeEEEZNS1_21radix_sort_block_sortIS4_Lb0EPKdPdPS6_SC_NS0_19identity_decomposerEEE10hipError_tT1_T2_T3_T4_jRjT5_jjP12ihipStream_tbEUlT_E_NS1_11comp_targetILNS1_3genE8ELNS1_11target_archE1030ELNS1_3gpuE2ELNS1_3repE0EEENS1_44radix_sort_block_sort_config_static_selectorELNS0_4arch9wavefront6targetE0EEEvSF_
                                        ; -- End function
	.set _ZN7rocprim17ROCPRIM_400000_NS6detail17trampoline_kernelINS0_13kernel_configILj256ELj4ELj4294967295EEENS1_37radix_sort_block_sort_config_selectorIdNS0_10empty_typeEEEZNS1_21radix_sort_block_sortIS4_Lb0EPKdPdPS6_SC_NS0_19identity_decomposerEEE10hipError_tT1_T2_T3_T4_jRjT5_jjP12ihipStream_tbEUlT_E_NS1_11comp_targetILNS1_3genE8ELNS1_11target_archE1030ELNS1_3gpuE2ELNS1_3repE0EEENS1_44radix_sort_block_sort_config_static_selectorELNS0_4arch9wavefront6targetE0EEEvSF_.num_vgpr, 0
	.set _ZN7rocprim17ROCPRIM_400000_NS6detail17trampoline_kernelINS0_13kernel_configILj256ELj4ELj4294967295EEENS1_37radix_sort_block_sort_config_selectorIdNS0_10empty_typeEEEZNS1_21radix_sort_block_sortIS4_Lb0EPKdPdPS6_SC_NS0_19identity_decomposerEEE10hipError_tT1_T2_T3_T4_jRjT5_jjP12ihipStream_tbEUlT_E_NS1_11comp_targetILNS1_3genE8ELNS1_11target_archE1030ELNS1_3gpuE2ELNS1_3repE0EEENS1_44radix_sort_block_sort_config_static_selectorELNS0_4arch9wavefront6targetE0EEEvSF_.num_agpr, 0
	.set _ZN7rocprim17ROCPRIM_400000_NS6detail17trampoline_kernelINS0_13kernel_configILj256ELj4ELj4294967295EEENS1_37radix_sort_block_sort_config_selectorIdNS0_10empty_typeEEEZNS1_21radix_sort_block_sortIS4_Lb0EPKdPdPS6_SC_NS0_19identity_decomposerEEE10hipError_tT1_T2_T3_T4_jRjT5_jjP12ihipStream_tbEUlT_E_NS1_11comp_targetILNS1_3genE8ELNS1_11target_archE1030ELNS1_3gpuE2ELNS1_3repE0EEENS1_44radix_sort_block_sort_config_static_selectorELNS0_4arch9wavefront6targetE0EEEvSF_.numbered_sgpr, 0
	.set _ZN7rocprim17ROCPRIM_400000_NS6detail17trampoline_kernelINS0_13kernel_configILj256ELj4ELj4294967295EEENS1_37radix_sort_block_sort_config_selectorIdNS0_10empty_typeEEEZNS1_21radix_sort_block_sortIS4_Lb0EPKdPdPS6_SC_NS0_19identity_decomposerEEE10hipError_tT1_T2_T3_T4_jRjT5_jjP12ihipStream_tbEUlT_E_NS1_11comp_targetILNS1_3genE8ELNS1_11target_archE1030ELNS1_3gpuE2ELNS1_3repE0EEENS1_44radix_sort_block_sort_config_static_selectorELNS0_4arch9wavefront6targetE0EEEvSF_.num_named_barrier, 0
	.set _ZN7rocprim17ROCPRIM_400000_NS6detail17trampoline_kernelINS0_13kernel_configILj256ELj4ELj4294967295EEENS1_37radix_sort_block_sort_config_selectorIdNS0_10empty_typeEEEZNS1_21radix_sort_block_sortIS4_Lb0EPKdPdPS6_SC_NS0_19identity_decomposerEEE10hipError_tT1_T2_T3_T4_jRjT5_jjP12ihipStream_tbEUlT_E_NS1_11comp_targetILNS1_3genE8ELNS1_11target_archE1030ELNS1_3gpuE2ELNS1_3repE0EEENS1_44radix_sort_block_sort_config_static_selectorELNS0_4arch9wavefront6targetE0EEEvSF_.private_seg_size, 0
	.set _ZN7rocprim17ROCPRIM_400000_NS6detail17trampoline_kernelINS0_13kernel_configILj256ELj4ELj4294967295EEENS1_37radix_sort_block_sort_config_selectorIdNS0_10empty_typeEEEZNS1_21radix_sort_block_sortIS4_Lb0EPKdPdPS6_SC_NS0_19identity_decomposerEEE10hipError_tT1_T2_T3_T4_jRjT5_jjP12ihipStream_tbEUlT_E_NS1_11comp_targetILNS1_3genE8ELNS1_11target_archE1030ELNS1_3gpuE2ELNS1_3repE0EEENS1_44radix_sort_block_sort_config_static_selectorELNS0_4arch9wavefront6targetE0EEEvSF_.uses_vcc, 0
	.set _ZN7rocprim17ROCPRIM_400000_NS6detail17trampoline_kernelINS0_13kernel_configILj256ELj4ELj4294967295EEENS1_37radix_sort_block_sort_config_selectorIdNS0_10empty_typeEEEZNS1_21radix_sort_block_sortIS4_Lb0EPKdPdPS6_SC_NS0_19identity_decomposerEEE10hipError_tT1_T2_T3_T4_jRjT5_jjP12ihipStream_tbEUlT_E_NS1_11comp_targetILNS1_3genE8ELNS1_11target_archE1030ELNS1_3gpuE2ELNS1_3repE0EEENS1_44radix_sort_block_sort_config_static_selectorELNS0_4arch9wavefront6targetE0EEEvSF_.uses_flat_scratch, 0
	.set _ZN7rocprim17ROCPRIM_400000_NS6detail17trampoline_kernelINS0_13kernel_configILj256ELj4ELj4294967295EEENS1_37radix_sort_block_sort_config_selectorIdNS0_10empty_typeEEEZNS1_21radix_sort_block_sortIS4_Lb0EPKdPdPS6_SC_NS0_19identity_decomposerEEE10hipError_tT1_T2_T3_T4_jRjT5_jjP12ihipStream_tbEUlT_E_NS1_11comp_targetILNS1_3genE8ELNS1_11target_archE1030ELNS1_3gpuE2ELNS1_3repE0EEENS1_44radix_sort_block_sort_config_static_selectorELNS0_4arch9wavefront6targetE0EEEvSF_.has_dyn_sized_stack, 0
	.set _ZN7rocprim17ROCPRIM_400000_NS6detail17trampoline_kernelINS0_13kernel_configILj256ELj4ELj4294967295EEENS1_37radix_sort_block_sort_config_selectorIdNS0_10empty_typeEEEZNS1_21radix_sort_block_sortIS4_Lb0EPKdPdPS6_SC_NS0_19identity_decomposerEEE10hipError_tT1_T2_T3_T4_jRjT5_jjP12ihipStream_tbEUlT_E_NS1_11comp_targetILNS1_3genE8ELNS1_11target_archE1030ELNS1_3gpuE2ELNS1_3repE0EEENS1_44radix_sort_block_sort_config_static_selectorELNS0_4arch9wavefront6targetE0EEEvSF_.has_recursion, 0
	.set _ZN7rocprim17ROCPRIM_400000_NS6detail17trampoline_kernelINS0_13kernel_configILj256ELj4ELj4294967295EEENS1_37radix_sort_block_sort_config_selectorIdNS0_10empty_typeEEEZNS1_21radix_sort_block_sortIS4_Lb0EPKdPdPS6_SC_NS0_19identity_decomposerEEE10hipError_tT1_T2_T3_T4_jRjT5_jjP12ihipStream_tbEUlT_E_NS1_11comp_targetILNS1_3genE8ELNS1_11target_archE1030ELNS1_3gpuE2ELNS1_3repE0EEENS1_44radix_sort_block_sort_config_static_selectorELNS0_4arch9wavefront6targetE0EEEvSF_.has_indirect_call, 0
	.section	.AMDGPU.csdata,"",@progbits
; Kernel info:
; codeLenInByte = 0
; TotalNumSgprs: 0
; NumVgprs: 0
; ScratchSize: 0
; MemoryBound: 0
; FloatMode: 240
; IeeeMode: 1
; LDSByteSize: 0 bytes/workgroup (compile time only)
; SGPRBlocks: 0
; VGPRBlocks: 0
; NumSGPRsForWavesPerEU: 1
; NumVGPRsForWavesPerEU: 1
; NamedBarCnt: 0
; Occupancy: 16
; WaveLimiterHint : 0
; COMPUTE_PGM_RSRC2:SCRATCH_EN: 0
; COMPUTE_PGM_RSRC2:USER_SGPR: 2
; COMPUTE_PGM_RSRC2:TRAP_HANDLER: 0
; COMPUTE_PGM_RSRC2:TGID_X_EN: 1
; COMPUTE_PGM_RSRC2:TGID_Y_EN: 0
; COMPUTE_PGM_RSRC2:TGID_Z_EN: 0
; COMPUTE_PGM_RSRC2:TIDIG_COMP_CNT: 0
	.section	.text._ZN7rocprim17ROCPRIM_400000_NS6detail17trampoline_kernelINS0_14default_configENS1_38merge_sort_block_merge_config_selectorIdNS0_10empty_typeEEEZZNS1_27merge_sort_block_merge_implIS3_PdPS5_jNS1_19radix_merge_compareILb0ELb0EdNS0_19identity_decomposerEEEEE10hipError_tT0_T1_T2_jT3_P12ihipStream_tbPNSt15iterator_traitsISE_E10value_typeEPNSK_ISF_E10value_typeEPSG_NS1_7vsmem_tEENKUlT_SE_SF_SG_E_clIS8_S8_S9_S9_EESD_ST_SE_SF_SG_EUlST_E_NS1_11comp_targetILNS1_3genE0ELNS1_11target_archE4294967295ELNS1_3gpuE0ELNS1_3repE0EEENS1_48merge_mergepath_partition_config_static_selectorELNS0_4arch9wavefront6targetE0EEEvSF_,"axG",@progbits,_ZN7rocprim17ROCPRIM_400000_NS6detail17trampoline_kernelINS0_14default_configENS1_38merge_sort_block_merge_config_selectorIdNS0_10empty_typeEEEZZNS1_27merge_sort_block_merge_implIS3_PdPS5_jNS1_19radix_merge_compareILb0ELb0EdNS0_19identity_decomposerEEEEE10hipError_tT0_T1_T2_jT3_P12ihipStream_tbPNSt15iterator_traitsISE_E10value_typeEPNSK_ISF_E10value_typeEPSG_NS1_7vsmem_tEENKUlT_SE_SF_SG_E_clIS8_S8_S9_S9_EESD_ST_SE_SF_SG_EUlST_E_NS1_11comp_targetILNS1_3genE0ELNS1_11target_archE4294967295ELNS1_3gpuE0ELNS1_3repE0EEENS1_48merge_mergepath_partition_config_static_selectorELNS0_4arch9wavefront6targetE0EEEvSF_,comdat
	.protected	_ZN7rocprim17ROCPRIM_400000_NS6detail17trampoline_kernelINS0_14default_configENS1_38merge_sort_block_merge_config_selectorIdNS0_10empty_typeEEEZZNS1_27merge_sort_block_merge_implIS3_PdPS5_jNS1_19radix_merge_compareILb0ELb0EdNS0_19identity_decomposerEEEEE10hipError_tT0_T1_T2_jT3_P12ihipStream_tbPNSt15iterator_traitsISE_E10value_typeEPNSK_ISF_E10value_typeEPSG_NS1_7vsmem_tEENKUlT_SE_SF_SG_E_clIS8_S8_S9_S9_EESD_ST_SE_SF_SG_EUlST_E_NS1_11comp_targetILNS1_3genE0ELNS1_11target_archE4294967295ELNS1_3gpuE0ELNS1_3repE0EEENS1_48merge_mergepath_partition_config_static_selectorELNS0_4arch9wavefront6targetE0EEEvSF_ ; -- Begin function _ZN7rocprim17ROCPRIM_400000_NS6detail17trampoline_kernelINS0_14default_configENS1_38merge_sort_block_merge_config_selectorIdNS0_10empty_typeEEEZZNS1_27merge_sort_block_merge_implIS3_PdPS5_jNS1_19radix_merge_compareILb0ELb0EdNS0_19identity_decomposerEEEEE10hipError_tT0_T1_T2_jT3_P12ihipStream_tbPNSt15iterator_traitsISE_E10value_typeEPNSK_ISF_E10value_typeEPSG_NS1_7vsmem_tEENKUlT_SE_SF_SG_E_clIS8_S8_S9_S9_EESD_ST_SE_SF_SG_EUlST_E_NS1_11comp_targetILNS1_3genE0ELNS1_11target_archE4294967295ELNS1_3gpuE0ELNS1_3repE0EEENS1_48merge_mergepath_partition_config_static_selectorELNS0_4arch9wavefront6targetE0EEEvSF_
	.globl	_ZN7rocprim17ROCPRIM_400000_NS6detail17trampoline_kernelINS0_14default_configENS1_38merge_sort_block_merge_config_selectorIdNS0_10empty_typeEEEZZNS1_27merge_sort_block_merge_implIS3_PdPS5_jNS1_19radix_merge_compareILb0ELb0EdNS0_19identity_decomposerEEEEE10hipError_tT0_T1_T2_jT3_P12ihipStream_tbPNSt15iterator_traitsISE_E10value_typeEPNSK_ISF_E10value_typeEPSG_NS1_7vsmem_tEENKUlT_SE_SF_SG_E_clIS8_S8_S9_S9_EESD_ST_SE_SF_SG_EUlST_E_NS1_11comp_targetILNS1_3genE0ELNS1_11target_archE4294967295ELNS1_3gpuE0ELNS1_3repE0EEENS1_48merge_mergepath_partition_config_static_selectorELNS0_4arch9wavefront6targetE0EEEvSF_
	.p2align	8
	.type	_ZN7rocprim17ROCPRIM_400000_NS6detail17trampoline_kernelINS0_14default_configENS1_38merge_sort_block_merge_config_selectorIdNS0_10empty_typeEEEZZNS1_27merge_sort_block_merge_implIS3_PdPS5_jNS1_19radix_merge_compareILb0ELb0EdNS0_19identity_decomposerEEEEE10hipError_tT0_T1_T2_jT3_P12ihipStream_tbPNSt15iterator_traitsISE_E10value_typeEPNSK_ISF_E10value_typeEPSG_NS1_7vsmem_tEENKUlT_SE_SF_SG_E_clIS8_S8_S9_S9_EESD_ST_SE_SF_SG_EUlST_E_NS1_11comp_targetILNS1_3genE0ELNS1_11target_archE4294967295ELNS1_3gpuE0ELNS1_3repE0EEENS1_48merge_mergepath_partition_config_static_selectorELNS0_4arch9wavefront6targetE0EEEvSF_,@function
_ZN7rocprim17ROCPRIM_400000_NS6detail17trampoline_kernelINS0_14default_configENS1_38merge_sort_block_merge_config_selectorIdNS0_10empty_typeEEEZZNS1_27merge_sort_block_merge_implIS3_PdPS5_jNS1_19radix_merge_compareILb0ELb0EdNS0_19identity_decomposerEEEEE10hipError_tT0_T1_T2_jT3_P12ihipStream_tbPNSt15iterator_traitsISE_E10value_typeEPNSK_ISF_E10value_typeEPSG_NS1_7vsmem_tEENKUlT_SE_SF_SG_E_clIS8_S8_S9_S9_EESD_ST_SE_SF_SG_EUlST_E_NS1_11comp_targetILNS1_3genE0ELNS1_11target_archE4294967295ELNS1_3gpuE0ELNS1_3repE0EEENS1_48merge_mergepath_partition_config_static_selectorELNS0_4arch9wavefront6targetE0EEEvSF_: ; @_ZN7rocprim17ROCPRIM_400000_NS6detail17trampoline_kernelINS0_14default_configENS1_38merge_sort_block_merge_config_selectorIdNS0_10empty_typeEEEZZNS1_27merge_sort_block_merge_implIS3_PdPS5_jNS1_19radix_merge_compareILb0ELb0EdNS0_19identity_decomposerEEEEE10hipError_tT0_T1_T2_jT3_P12ihipStream_tbPNSt15iterator_traitsISE_E10value_typeEPNSK_ISF_E10value_typeEPSG_NS1_7vsmem_tEENKUlT_SE_SF_SG_E_clIS8_S8_S9_S9_EESD_ST_SE_SF_SG_EUlST_E_NS1_11comp_targetILNS1_3genE0ELNS1_11target_archE4294967295ELNS1_3gpuE0ELNS1_3repE0EEENS1_48merge_mergepath_partition_config_static_selectorELNS0_4arch9wavefront6targetE0EEEvSF_
; %bb.0:
	s_load_b32 s2, s[0:1], 0x0
	s_bfe_u32 s3, ttmp6, 0x4000c
	s_and_b32 s4, ttmp6, 15
	s_add_co_i32 s3, s3, 1
	s_getreg_b32 s5, hwreg(HW_REG_IB_STS2, 6, 4)
	s_mul_i32 s3, ttmp9, s3
	s_delay_alu instid0(SALU_CYCLE_1) | instskip(SKIP_2) | instid1(SALU_CYCLE_1)
	s_add_co_i32 s4, s4, s3
	s_cmp_eq_u32 s5, 0
	s_cselect_b32 s3, ttmp9, s4
	v_lshl_or_b32 v8, s3, 7, v0
	s_wait_kmcnt 0x0
	s_delay_alu instid0(VALU_DEP_1)
	v_cmp_gt_u32_e32 vcc_lo, s2, v8
	s_and_saveexec_b32 s2, vcc_lo
	s_cbranch_execz .LBB1563_6
; %bb.1:
	s_load_b64 s[2:3], s[0:1], 0x4
	s_wait_kmcnt 0x0
	s_lshr_b32 s4, s2, 9
	s_delay_alu instid0(SALU_CYCLE_1) | instskip(NEXT) | instid1(SALU_CYCLE_1)
	s_and_b32 s4, s4, 0x7ffffe
	s_sub_co_i32 s5, 0, s4
	s_add_co_i32 s4, s4, -1
	s_delay_alu instid0(SALU_CYCLE_1) | instskip(SKIP_2) | instid1(VALU_DEP_1)
	v_and_b32_e32 v1, s4, v8
	v_and_b32_e32 v0, s5, v8
	s_mov_b32 s4, exec_lo
	v_dual_lshlrev_b32 v1, 10, v1 :: v_dual_lshlrev_b32 v0, 10, v0
	s_delay_alu instid0(VALU_DEP_1) | instskip(SKIP_1) | instid1(VALU_DEP_2)
	v_add_min_u32_e64 v2, v0, s2, s3
	v_min_u32_e32 v0, s3, v0
	v_add_min_u32_e64 v3, v2, s2, s3
	s_load_b64 s[2:3], s[0:1], 0x20
	s_delay_alu instid0(VALU_DEP_1) | instskip(NEXT) | instid1(VALU_DEP_1)
	v_dual_sub_nc_u32 v4, v3, v0 :: v_dual_sub_nc_u32 v3, v3, v2
	v_min_u32_e32 v10, v4, v1
	v_sub_nc_u32_e32 v1, v2, v0
	s_delay_alu instid0(VALU_DEP_2) | instskip(NEXT) | instid1(VALU_DEP_2)
	v_sub_nc_u32_e64 v9, v10, v3 clamp
	v_min_u32_e32 v11, v10, v1
	s_delay_alu instid0(VALU_DEP_1)
	v_cmpx_lt_u32_e64 v9, v11
	s_cbranch_execz .LBB1563_5
; %bb.2:
	s_wait_xcnt 0x0
	s_load_b64 s[0:1], s[0:1], 0x10
	v_mov_b32_e32 v3, 0
	s_delay_alu instid0(VALU_DEP_1) | instskip(SKIP_1) | instid1(VALU_DEP_1)
	v_mov_b32_e32 v1, v3
	s_wait_kmcnt 0x0
	v_lshl_add_u64 v[4:5], v[0:1], 3, s[0:1]
	v_lshl_add_u64 v[6:7], v[2:3], 3, s[0:1]
	s_mov_b32 s0, 0
.LBB1563_3:                             ; =>This Inner Loop Header: Depth=1
	v_add_nc_u32_e32 v1, v11, v9
	s_delay_alu instid0(VALU_DEP_1) | instskip(NEXT) | instid1(VALU_DEP_1)
	v_dual_mov_b32 v13, v3 :: v_dual_lshrrev_b32 v2, 1, v1
	v_xad_u32 v12, v2, -1, v10
	v_lshl_add_u64 v[14:15], v[2:3], 3, v[4:5]
	s_delay_alu instid0(VALU_DEP_2)
	v_lshl_add_u64 v[12:13], v[12:13], 3, v[6:7]
	s_clause 0x1
	global_load_b64 v[16:17], v[14:15], off
	global_load_b64 v[18:19], v[12:13], off
	s_wait_loadcnt 0x0
	v_add_f64_e32 v[14:15], 0, v[18:19]
	s_delay_alu instid0(VALU_DEP_1) | instskip(NEXT) | instid1(VALU_DEP_1)
	v_dual_add_f64 v[12:13], 0, v[16:17] :: v_dual_ashrrev_i32 v16, 31, v15
	v_ashrrev_i32_e32 v1, 31, v13
	s_delay_alu instid0(VALU_DEP_2) | instskip(NEXT) | instid1(VALU_DEP_2)
	v_or_b32_e32 v18, 0x80000000, v16
	v_or_b32_e32 v17, 0x80000000, v1
	s_delay_alu instid0(VALU_DEP_2) | instskip(NEXT) | instid1(VALU_DEP_2)
	v_xor_b32_e32 v15, v18, v15
	v_xor_b32_e32 v13, v17, v13
	v_dual_add_nc_u32 v1, 1, v2 :: v_dual_bitop2_b32 v12, v1, v12 bitop3:0x14
	v_xor_b32_e32 v14, v16, v14
	s_delay_alu instid0(VALU_DEP_1) | instskip(NEXT) | instid1(VALU_DEP_3)
	v_cmp_gt_u64_e32 vcc_lo, v[12:13], v[14:15]
	v_dual_cndmask_b32 v11, v11, v2, vcc_lo :: v_dual_cndmask_b32 v9, v1, v9, vcc_lo
	s_delay_alu instid0(VALU_DEP_1) | instskip(SKIP_1) | instid1(SALU_CYCLE_1)
	v_cmp_ge_u32_e32 vcc_lo, v9, v11
	s_or_b32 s0, vcc_lo, s0
	s_and_not1_b32 exec_lo, exec_lo, s0
	s_cbranch_execnz .LBB1563_3
; %bb.4:
	s_or_b32 exec_lo, exec_lo, s0
.LBB1563_5:
	s_delay_alu instid0(SALU_CYCLE_1)
	s_or_b32 exec_lo, exec_lo, s4
	v_add_nc_u32_e32 v0, v9, v0
	s_wait_kmcnt 0x0
	global_store_b32 v8, v0, s[2:3] scale_offset
.LBB1563_6:
	s_endpgm
	.section	.rodata,"a",@progbits
	.p2align	6, 0x0
	.amdhsa_kernel _ZN7rocprim17ROCPRIM_400000_NS6detail17trampoline_kernelINS0_14default_configENS1_38merge_sort_block_merge_config_selectorIdNS0_10empty_typeEEEZZNS1_27merge_sort_block_merge_implIS3_PdPS5_jNS1_19radix_merge_compareILb0ELb0EdNS0_19identity_decomposerEEEEE10hipError_tT0_T1_T2_jT3_P12ihipStream_tbPNSt15iterator_traitsISE_E10value_typeEPNSK_ISF_E10value_typeEPSG_NS1_7vsmem_tEENKUlT_SE_SF_SG_E_clIS8_S8_S9_S9_EESD_ST_SE_SF_SG_EUlST_E_NS1_11comp_targetILNS1_3genE0ELNS1_11target_archE4294967295ELNS1_3gpuE0ELNS1_3repE0EEENS1_48merge_mergepath_partition_config_static_selectorELNS0_4arch9wavefront6targetE0EEEvSF_
		.amdhsa_group_segment_fixed_size 0
		.amdhsa_private_segment_fixed_size 0
		.amdhsa_kernarg_size 40
		.amdhsa_user_sgpr_count 2
		.amdhsa_user_sgpr_dispatch_ptr 0
		.amdhsa_user_sgpr_queue_ptr 0
		.amdhsa_user_sgpr_kernarg_segment_ptr 1
		.amdhsa_user_sgpr_dispatch_id 0
		.amdhsa_user_sgpr_kernarg_preload_length 0
		.amdhsa_user_sgpr_kernarg_preload_offset 0
		.amdhsa_user_sgpr_private_segment_size 0
		.amdhsa_wavefront_size32 1
		.amdhsa_uses_dynamic_stack 0
		.amdhsa_enable_private_segment 0
		.amdhsa_system_sgpr_workgroup_id_x 1
		.amdhsa_system_sgpr_workgroup_id_y 0
		.amdhsa_system_sgpr_workgroup_id_z 0
		.amdhsa_system_sgpr_workgroup_info 0
		.amdhsa_system_vgpr_workitem_id 0
		.amdhsa_next_free_vgpr 20
		.amdhsa_next_free_sgpr 6
		.amdhsa_named_barrier_count 0
		.amdhsa_reserve_vcc 1
		.amdhsa_float_round_mode_32 0
		.amdhsa_float_round_mode_16_64 0
		.amdhsa_float_denorm_mode_32 3
		.amdhsa_float_denorm_mode_16_64 3
		.amdhsa_fp16_overflow 0
		.amdhsa_memory_ordered 1
		.amdhsa_forward_progress 1
		.amdhsa_inst_pref_size 4
		.amdhsa_round_robin_scheduling 0
		.amdhsa_exception_fp_ieee_invalid_op 0
		.amdhsa_exception_fp_denorm_src 0
		.amdhsa_exception_fp_ieee_div_zero 0
		.amdhsa_exception_fp_ieee_overflow 0
		.amdhsa_exception_fp_ieee_underflow 0
		.amdhsa_exception_fp_ieee_inexact 0
		.amdhsa_exception_int_div_zero 0
	.end_amdhsa_kernel
	.section	.text._ZN7rocprim17ROCPRIM_400000_NS6detail17trampoline_kernelINS0_14default_configENS1_38merge_sort_block_merge_config_selectorIdNS0_10empty_typeEEEZZNS1_27merge_sort_block_merge_implIS3_PdPS5_jNS1_19radix_merge_compareILb0ELb0EdNS0_19identity_decomposerEEEEE10hipError_tT0_T1_T2_jT3_P12ihipStream_tbPNSt15iterator_traitsISE_E10value_typeEPNSK_ISF_E10value_typeEPSG_NS1_7vsmem_tEENKUlT_SE_SF_SG_E_clIS8_S8_S9_S9_EESD_ST_SE_SF_SG_EUlST_E_NS1_11comp_targetILNS1_3genE0ELNS1_11target_archE4294967295ELNS1_3gpuE0ELNS1_3repE0EEENS1_48merge_mergepath_partition_config_static_selectorELNS0_4arch9wavefront6targetE0EEEvSF_,"axG",@progbits,_ZN7rocprim17ROCPRIM_400000_NS6detail17trampoline_kernelINS0_14default_configENS1_38merge_sort_block_merge_config_selectorIdNS0_10empty_typeEEEZZNS1_27merge_sort_block_merge_implIS3_PdPS5_jNS1_19radix_merge_compareILb0ELb0EdNS0_19identity_decomposerEEEEE10hipError_tT0_T1_T2_jT3_P12ihipStream_tbPNSt15iterator_traitsISE_E10value_typeEPNSK_ISF_E10value_typeEPSG_NS1_7vsmem_tEENKUlT_SE_SF_SG_E_clIS8_S8_S9_S9_EESD_ST_SE_SF_SG_EUlST_E_NS1_11comp_targetILNS1_3genE0ELNS1_11target_archE4294967295ELNS1_3gpuE0ELNS1_3repE0EEENS1_48merge_mergepath_partition_config_static_selectorELNS0_4arch9wavefront6targetE0EEEvSF_,comdat
.Lfunc_end1563:
	.size	_ZN7rocprim17ROCPRIM_400000_NS6detail17trampoline_kernelINS0_14default_configENS1_38merge_sort_block_merge_config_selectorIdNS0_10empty_typeEEEZZNS1_27merge_sort_block_merge_implIS3_PdPS5_jNS1_19radix_merge_compareILb0ELb0EdNS0_19identity_decomposerEEEEE10hipError_tT0_T1_T2_jT3_P12ihipStream_tbPNSt15iterator_traitsISE_E10value_typeEPNSK_ISF_E10value_typeEPSG_NS1_7vsmem_tEENKUlT_SE_SF_SG_E_clIS8_S8_S9_S9_EESD_ST_SE_SF_SG_EUlST_E_NS1_11comp_targetILNS1_3genE0ELNS1_11target_archE4294967295ELNS1_3gpuE0ELNS1_3repE0EEENS1_48merge_mergepath_partition_config_static_selectorELNS0_4arch9wavefront6targetE0EEEvSF_, .Lfunc_end1563-_ZN7rocprim17ROCPRIM_400000_NS6detail17trampoline_kernelINS0_14default_configENS1_38merge_sort_block_merge_config_selectorIdNS0_10empty_typeEEEZZNS1_27merge_sort_block_merge_implIS3_PdPS5_jNS1_19radix_merge_compareILb0ELb0EdNS0_19identity_decomposerEEEEE10hipError_tT0_T1_T2_jT3_P12ihipStream_tbPNSt15iterator_traitsISE_E10value_typeEPNSK_ISF_E10value_typeEPSG_NS1_7vsmem_tEENKUlT_SE_SF_SG_E_clIS8_S8_S9_S9_EESD_ST_SE_SF_SG_EUlST_E_NS1_11comp_targetILNS1_3genE0ELNS1_11target_archE4294967295ELNS1_3gpuE0ELNS1_3repE0EEENS1_48merge_mergepath_partition_config_static_selectorELNS0_4arch9wavefront6targetE0EEEvSF_
                                        ; -- End function
	.set _ZN7rocprim17ROCPRIM_400000_NS6detail17trampoline_kernelINS0_14default_configENS1_38merge_sort_block_merge_config_selectorIdNS0_10empty_typeEEEZZNS1_27merge_sort_block_merge_implIS3_PdPS5_jNS1_19radix_merge_compareILb0ELb0EdNS0_19identity_decomposerEEEEE10hipError_tT0_T1_T2_jT3_P12ihipStream_tbPNSt15iterator_traitsISE_E10value_typeEPNSK_ISF_E10value_typeEPSG_NS1_7vsmem_tEENKUlT_SE_SF_SG_E_clIS8_S8_S9_S9_EESD_ST_SE_SF_SG_EUlST_E_NS1_11comp_targetILNS1_3genE0ELNS1_11target_archE4294967295ELNS1_3gpuE0ELNS1_3repE0EEENS1_48merge_mergepath_partition_config_static_selectorELNS0_4arch9wavefront6targetE0EEEvSF_.num_vgpr, 20
	.set _ZN7rocprim17ROCPRIM_400000_NS6detail17trampoline_kernelINS0_14default_configENS1_38merge_sort_block_merge_config_selectorIdNS0_10empty_typeEEEZZNS1_27merge_sort_block_merge_implIS3_PdPS5_jNS1_19radix_merge_compareILb0ELb0EdNS0_19identity_decomposerEEEEE10hipError_tT0_T1_T2_jT3_P12ihipStream_tbPNSt15iterator_traitsISE_E10value_typeEPNSK_ISF_E10value_typeEPSG_NS1_7vsmem_tEENKUlT_SE_SF_SG_E_clIS8_S8_S9_S9_EESD_ST_SE_SF_SG_EUlST_E_NS1_11comp_targetILNS1_3genE0ELNS1_11target_archE4294967295ELNS1_3gpuE0ELNS1_3repE0EEENS1_48merge_mergepath_partition_config_static_selectorELNS0_4arch9wavefront6targetE0EEEvSF_.num_agpr, 0
	.set _ZN7rocprim17ROCPRIM_400000_NS6detail17trampoline_kernelINS0_14default_configENS1_38merge_sort_block_merge_config_selectorIdNS0_10empty_typeEEEZZNS1_27merge_sort_block_merge_implIS3_PdPS5_jNS1_19radix_merge_compareILb0ELb0EdNS0_19identity_decomposerEEEEE10hipError_tT0_T1_T2_jT3_P12ihipStream_tbPNSt15iterator_traitsISE_E10value_typeEPNSK_ISF_E10value_typeEPSG_NS1_7vsmem_tEENKUlT_SE_SF_SG_E_clIS8_S8_S9_S9_EESD_ST_SE_SF_SG_EUlST_E_NS1_11comp_targetILNS1_3genE0ELNS1_11target_archE4294967295ELNS1_3gpuE0ELNS1_3repE0EEENS1_48merge_mergepath_partition_config_static_selectorELNS0_4arch9wavefront6targetE0EEEvSF_.numbered_sgpr, 6
	.set _ZN7rocprim17ROCPRIM_400000_NS6detail17trampoline_kernelINS0_14default_configENS1_38merge_sort_block_merge_config_selectorIdNS0_10empty_typeEEEZZNS1_27merge_sort_block_merge_implIS3_PdPS5_jNS1_19radix_merge_compareILb0ELb0EdNS0_19identity_decomposerEEEEE10hipError_tT0_T1_T2_jT3_P12ihipStream_tbPNSt15iterator_traitsISE_E10value_typeEPNSK_ISF_E10value_typeEPSG_NS1_7vsmem_tEENKUlT_SE_SF_SG_E_clIS8_S8_S9_S9_EESD_ST_SE_SF_SG_EUlST_E_NS1_11comp_targetILNS1_3genE0ELNS1_11target_archE4294967295ELNS1_3gpuE0ELNS1_3repE0EEENS1_48merge_mergepath_partition_config_static_selectorELNS0_4arch9wavefront6targetE0EEEvSF_.num_named_barrier, 0
	.set _ZN7rocprim17ROCPRIM_400000_NS6detail17trampoline_kernelINS0_14default_configENS1_38merge_sort_block_merge_config_selectorIdNS0_10empty_typeEEEZZNS1_27merge_sort_block_merge_implIS3_PdPS5_jNS1_19radix_merge_compareILb0ELb0EdNS0_19identity_decomposerEEEEE10hipError_tT0_T1_T2_jT3_P12ihipStream_tbPNSt15iterator_traitsISE_E10value_typeEPNSK_ISF_E10value_typeEPSG_NS1_7vsmem_tEENKUlT_SE_SF_SG_E_clIS8_S8_S9_S9_EESD_ST_SE_SF_SG_EUlST_E_NS1_11comp_targetILNS1_3genE0ELNS1_11target_archE4294967295ELNS1_3gpuE0ELNS1_3repE0EEENS1_48merge_mergepath_partition_config_static_selectorELNS0_4arch9wavefront6targetE0EEEvSF_.private_seg_size, 0
	.set _ZN7rocprim17ROCPRIM_400000_NS6detail17trampoline_kernelINS0_14default_configENS1_38merge_sort_block_merge_config_selectorIdNS0_10empty_typeEEEZZNS1_27merge_sort_block_merge_implIS3_PdPS5_jNS1_19radix_merge_compareILb0ELb0EdNS0_19identity_decomposerEEEEE10hipError_tT0_T1_T2_jT3_P12ihipStream_tbPNSt15iterator_traitsISE_E10value_typeEPNSK_ISF_E10value_typeEPSG_NS1_7vsmem_tEENKUlT_SE_SF_SG_E_clIS8_S8_S9_S9_EESD_ST_SE_SF_SG_EUlST_E_NS1_11comp_targetILNS1_3genE0ELNS1_11target_archE4294967295ELNS1_3gpuE0ELNS1_3repE0EEENS1_48merge_mergepath_partition_config_static_selectorELNS0_4arch9wavefront6targetE0EEEvSF_.uses_vcc, 1
	.set _ZN7rocprim17ROCPRIM_400000_NS6detail17trampoline_kernelINS0_14default_configENS1_38merge_sort_block_merge_config_selectorIdNS0_10empty_typeEEEZZNS1_27merge_sort_block_merge_implIS3_PdPS5_jNS1_19radix_merge_compareILb0ELb0EdNS0_19identity_decomposerEEEEE10hipError_tT0_T1_T2_jT3_P12ihipStream_tbPNSt15iterator_traitsISE_E10value_typeEPNSK_ISF_E10value_typeEPSG_NS1_7vsmem_tEENKUlT_SE_SF_SG_E_clIS8_S8_S9_S9_EESD_ST_SE_SF_SG_EUlST_E_NS1_11comp_targetILNS1_3genE0ELNS1_11target_archE4294967295ELNS1_3gpuE0ELNS1_3repE0EEENS1_48merge_mergepath_partition_config_static_selectorELNS0_4arch9wavefront6targetE0EEEvSF_.uses_flat_scratch, 0
	.set _ZN7rocprim17ROCPRIM_400000_NS6detail17trampoline_kernelINS0_14default_configENS1_38merge_sort_block_merge_config_selectorIdNS0_10empty_typeEEEZZNS1_27merge_sort_block_merge_implIS3_PdPS5_jNS1_19radix_merge_compareILb0ELb0EdNS0_19identity_decomposerEEEEE10hipError_tT0_T1_T2_jT3_P12ihipStream_tbPNSt15iterator_traitsISE_E10value_typeEPNSK_ISF_E10value_typeEPSG_NS1_7vsmem_tEENKUlT_SE_SF_SG_E_clIS8_S8_S9_S9_EESD_ST_SE_SF_SG_EUlST_E_NS1_11comp_targetILNS1_3genE0ELNS1_11target_archE4294967295ELNS1_3gpuE0ELNS1_3repE0EEENS1_48merge_mergepath_partition_config_static_selectorELNS0_4arch9wavefront6targetE0EEEvSF_.has_dyn_sized_stack, 0
	.set _ZN7rocprim17ROCPRIM_400000_NS6detail17trampoline_kernelINS0_14default_configENS1_38merge_sort_block_merge_config_selectorIdNS0_10empty_typeEEEZZNS1_27merge_sort_block_merge_implIS3_PdPS5_jNS1_19radix_merge_compareILb0ELb0EdNS0_19identity_decomposerEEEEE10hipError_tT0_T1_T2_jT3_P12ihipStream_tbPNSt15iterator_traitsISE_E10value_typeEPNSK_ISF_E10value_typeEPSG_NS1_7vsmem_tEENKUlT_SE_SF_SG_E_clIS8_S8_S9_S9_EESD_ST_SE_SF_SG_EUlST_E_NS1_11comp_targetILNS1_3genE0ELNS1_11target_archE4294967295ELNS1_3gpuE0ELNS1_3repE0EEENS1_48merge_mergepath_partition_config_static_selectorELNS0_4arch9wavefront6targetE0EEEvSF_.has_recursion, 0
	.set _ZN7rocprim17ROCPRIM_400000_NS6detail17trampoline_kernelINS0_14default_configENS1_38merge_sort_block_merge_config_selectorIdNS0_10empty_typeEEEZZNS1_27merge_sort_block_merge_implIS3_PdPS5_jNS1_19radix_merge_compareILb0ELb0EdNS0_19identity_decomposerEEEEE10hipError_tT0_T1_T2_jT3_P12ihipStream_tbPNSt15iterator_traitsISE_E10value_typeEPNSK_ISF_E10value_typeEPSG_NS1_7vsmem_tEENKUlT_SE_SF_SG_E_clIS8_S8_S9_S9_EESD_ST_SE_SF_SG_EUlST_E_NS1_11comp_targetILNS1_3genE0ELNS1_11target_archE4294967295ELNS1_3gpuE0ELNS1_3repE0EEENS1_48merge_mergepath_partition_config_static_selectorELNS0_4arch9wavefront6targetE0EEEvSF_.has_indirect_call, 0
	.section	.AMDGPU.csdata,"",@progbits
; Kernel info:
; codeLenInByte = 500
; TotalNumSgprs: 8
; NumVgprs: 20
; ScratchSize: 0
; MemoryBound: 0
; FloatMode: 240
; IeeeMode: 1
; LDSByteSize: 0 bytes/workgroup (compile time only)
; SGPRBlocks: 0
; VGPRBlocks: 1
; NumSGPRsForWavesPerEU: 8
; NumVGPRsForWavesPerEU: 20
; NamedBarCnt: 0
; Occupancy: 16
; WaveLimiterHint : 0
; COMPUTE_PGM_RSRC2:SCRATCH_EN: 0
; COMPUTE_PGM_RSRC2:USER_SGPR: 2
; COMPUTE_PGM_RSRC2:TRAP_HANDLER: 0
; COMPUTE_PGM_RSRC2:TGID_X_EN: 1
; COMPUTE_PGM_RSRC2:TGID_Y_EN: 0
; COMPUTE_PGM_RSRC2:TGID_Z_EN: 0
; COMPUTE_PGM_RSRC2:TIDIG_COMP_CNT: 0
	.section	.text._ZN7rocprim17ROCPRIM_400000_NS6detail17trampoline_kernelINS0_14default_configENS1_38merge_sort_block_merge_config_selectorIdNS0_10empty_typeEEEZZNS1_27merge_sort_block_merge_implIS3_PdPS5_jNS1_19radix_merge_compareILb0ELb0EdNS0_19identity_decomposerEEEEE10hipError_tT0_T1_T2_jT3_P12ihipStream_tbPNSt15iterator_traitsISE_E10value_typeEPNSK_ISF_E10value_typeEPSG_NS1_7vsmem_tEENKUlT_SE_SF_SG_E_clIS8_S8_S9_S9_EESD_ST_SE_SF_SG_EUlST_E_NS1_11comp_targetILNS1_3genE10ELNS1_11target_archE1201ELNS1_3gpuE5ELNS1_3repE0EEENS1_48merge_mergepath_partition_config_static_selectorELNS0_4arch9wavefront6targetE0EEEvSF_,"axG",@progbits,_ZN7rocprim17ROCPRIM_400000_NS6detail17trampoline_kernelINS0_14default_configENS1_38merge_sort_block_merge_config_selectorIdNS0_10empty_typeEEEZZNS1_27merge_sort_block_merge_implIS3_PdPS5_jNS1_19radix_merge_compareILb0ELb0EdNS0_19identity_decomposerEEEEE10hipError_tT0_T1_T2_jT3_P12ihipStream_tbPNSt15iterator_traitsISE_E10value_typeEPNSK_ISF_E10value_typeEPSG_NS1_7vsmem_tEENKUlT_SE_SF_SG_E_clIS8_S8_S9_S9_EESD_ST_SE_SF_SG_EUlST_E_NS1_11comp_targetILNS1_3genE10ELNS1_11target_archE1201ELNS1_3gpuE5ELNS1_3repE0EEENS1_48merge_mergepath_partition_config_static_selectorELNS0_4arch9wavefront6targetE0EEEvSF_,comdat
	.protected	_ZN7rocprim17ROCPRIM_400000_NS6detail17trampoline_kernelINS0_14default_configENS1_38merge_sort_block_merge_config_selectorIdNS0_10empty_typeEEEZZNS1_27merge_sort_block_merge_implIS3_PdPS5_jNS1_19radix_merge_compareILb0ELb0EdNS0_19identity_decomposerEEEEE10hipError_tT0_T1_T2_jT3_P12ihipStream_tbPNSt15iterator_traitsISE_E10value_typeEPNSK_ISF_E10value_typeEPSG_NS1_7vsmem_tEENKUlT_SE_SF_SG_E_clIS8_S8_S9_S9_EESD_ST_SE_SF_SG_EUlST_E_NS1_11comp_targetILNS1_3genE10ELNS1_11target_archE1201ELNS1_3gpuE5ELNS1_3repE0EEENS1_48merge_mergepath_partition_config_static_selectorELNS0_4arch9wavefront6targetE0EEEvSF_ ; -- Begin function _ZN7rocprim17ROCPRIM_400000_NS6detail17trampoline_kernelINS0_14default_configENS1_38merge_sort_block_merge_config_selectorIdNS0_10empty_typeEEEZZNS1_27merge_sort_block_merge_implIS3_PdPS5_jNS1_19radix_merge_compareILb0ELb0EdNS0_19identity_decomposerEEEEE10hipError_tT0_T1_T2_jT3_P12ihipStream_tbPNSt15iterator_traitsISE_E10value_typeEPNSK_ISF_E10value_typeEPSG_NS1_7vsmem_tEENKUlT_SE_SF_SG_E_clIS8_S8_S9_S9_EESD_ST_SE_SF_SG_EUlST_E_NS1_11comp_targetILNS1_3genE10ELNS1_11target_archE1201ELNS1_3gpuE5ELNS1_3repE0EEENS1_48merge_mergepath_partition_config_static_selectorELNS0_4arch9wavefront6targetE0EEEvSF_
	.globl	_ZN7rocprim17ROCPRIM_400000_NS6detail17trampoline_kernelINS0_14default_configENS1_38merge_sort_block_merge_config_selectorIdNS0_10empty_typeEEEZZNS1_27merge_sort_block_merge_implIS3_PdPS5_jNS1_19radix_merge_compareILb0ELb0EdNS0_19identity_decomposerEEEEE10hipError_tT0_T1_T2_jT3_P12ihipStream_tbPNSt15iterator_traitsISE_E10value_typeEPNSK_ISF_E10value_typeEPSG_NS1_7vsmem_tEENKUlT_SE_SF_SG_E_clIS8_S8_S9_S9_EESD_ST_SE_SF_SG_EUlST_E_NS1_11comp_targetILNS1_3genE10ELNS1_11target_archE1201ELNS1_3gpuE5ELNS1_3repE0EEENS1_48merge_mergepath_partition_config_static_selectorELNS0_4arch9wavefront6targetE0EEEvSF_
	.p2align	8
	.type	_ZN7rocprim17ROCPRIM_400000_NS6detail17trampoline_kernelINS0_14default_configENS1_38merge_sort_block_merge_config_selectorIdNS0_10empty_typeEEEZZNS1_27merge_sort_block_merge_implIS3_PdPS5_jNS1_19radix_merge_compareILb0ELb0EdNS0_19identity_decomposerEEEEE10hipError_tT0_T1_T2_jT3_P12ihipStream_tbPNSt15iterator_traitsISE_E10value_typeEPNSK_ISF_E10value_typeEPSG_NS1_7vsmem_tEENKUlT_SE_SF_SG_E_clIS8_S8_S9_S9_EESD_ST_SE_SF_SG_EUlST_E_NS1_11comp_targetILNS1_3genE10ELNS1_11target_archE1201ELNS1_3gpuE5ELNS1_3repE0EEENS1_48merge_mergepath_partition_config_static_selectorELNS0_4arch9wavefront6targetE0EEEvSF_,@function
_ZN7rocprim17ROCPRIM_400000_NS6detail17trampoline_kernelINS0_14default_configENS1_38merge_sort_block_merge_config_selectorIdNS0_10empty_typeEEEZZNS1_27merge_sort_block_merge_implIS3_PdPS5_jNS1_19radix_merge_compareILb0ELb0EdNS0_19identity_decomposerEEEEE10hipError_tT0_T1_T2_jT3_P12ihipStream_tbPNSt15iterator_traitsISE_E10value_typeEPNSK_ISF_E10value_typeEPSG_NS1_7vsmem_tEENKUlT_SE_SF_SG_E_clIS8_S8_S9_S9_EESD_ST_SE_SF_SG_EUlST_E_NS1_11comp_targetILNS1_3genE10ELNS1_11target_archE1201ELNS1_3gpuE5ELNS1_3repE0EEENS1_48merge_mergepath_partition_config_static_selectorELNS0_4arch9wavefront6targetE0EEEvSF_: ; @_ZN7rocprim17ROCPRIM_400000_NS6detail17trampoline_kernelINS0_14default_configENS1_38merge_sort_block_merge_config_selectorIdNS0_10empty_typeEEEZZNS1_27merge_sort_block_merge_implIS3_PdPS5_jNS1_19radix_merge_compareILb0ELb0EdNS0_19identity_decomposerEEEEE10hipError_tT0_T1_T2_jT3_P12ihipStream_tbPNSt15iterator_traitsISE_E10value_typeEPNSK_ISF_E10value_typeEPSG_NS1_7vsmem_tEENKUlT_SE_SF_SG_E_clIS8_S8_S9_S9_EESD_ST_SE_SF_SG_EUlST_E_NS1_11comp_targetILNS1_3genE10ELNS1_11target_archE1201ELNS1_3gpuE5ELNS1_3repE0EEENS1_48merge_mergepath_partition_config_static_selectorELNS0_4arch9wavefront6targetE0EEEvSF_
; %bb.0:
	.section	.rodata,"a",@progbits
	.p2align	6, 0x0
	.amdhsa_kernel _ZN7rocprim17ROCPRIM_400000_NS6detail17trampoline_kernelINS0_14default_configENS1_38merge_sort_block_merge_config_selectorIdNS0_10empty_typeEEEZZNS1_27merge_sort_block_merge_implIS3_PdPS5_jNS1_19radix_merge_compareILb0ELb0EdNS0_19identity_decomposerEEEEE10hipError_tT0_T1_T2_jT3_P12ihipStream_tbPNSt15iterator_traitsISE_E10value_typeEPNSK_ISF_E10value_typeEPSG_NS1_7vsmem_tEENKUlT_SE_SF_SG_E_clIS8_S8_S9_S9_EESD_ST_SE_SF_SG_EUlST_E_NS1_11comp_targetILNS1_3genE10ELNS1_11target_archE1201ELNS1_3gpuE5ELNS1_3repE0EEENS1_48merge_mergepath_partition_config_static_selectorELNS0_4arch9wavefront6targetE0EEEvSF_
		.amdhsa_group_segment_fixed_size 0
		.amdhsa_private_segment_fixed_size 0
		.amdhsa_kernarg_size 40
		.amdhsa_user_sgpr_count 2
		.amdhsa_user_sgpr_dispatch_ptr 0
		.amdhsa_user_sgpr_queue_ptr 0
		.amdhsa_user_sgpr_kernarg_segment_ptr 1
		.amdhsa_user_sgpr_dispatch_id 0
		.amdhsa_user_sgpr_kernarg_preload_length 0
		.amdhsa_user_sgpr_kernarg_preload_offset 0
		.amdhsa_user_sgpr_private_segment_size 0
		.amdhsa_wavefront_size32 1
		.amdhsa_uses_dynamic_stack 0
		.amdhsa_enable_private_segment 0
		.amdhsa_system_sgpr_workgroup_id_x 1
		.amdhsa_system_sgpr_workgroup_id_y 0
		.amdhsa_system_sgpr_workgroup_id_z 0
		.amdhsa_system_sgpr_workgroup_info 0
		.amdhsa_system_vgpr_workitem_id 0
		.amdhsa_next_free_vgpr 1
		.amdhsa_next_free_sgpr 1
		.amdhsa_named_barrier_count 0
		.amdhsa_reserve_vcc 0
		.amdhsa_float_round_mode_32 0
		.amdhsa_float_round_mode_16_64 0
		.amdhsa_float_denorm_mode_32 3
		.amdhsa_float_denorm_mode_16_64 3
		.amdhsa_fp16_overflow 0
		.amdhsa_memory_ordered 1
		.amdhsa_forward_progress 1
		.amdhsa_inst_pref_size 0
		.amdhsa_round_robin_scheduling 0
		.amdhsa_exception_fp_ieee_invalid_op 0
		.amdhsa_exception_fp_denorm_src 0
		.amdhsa_exception_fp_ieee_div_zero 0
		.amdhsa_exception_fp_ieee_overflow 0
		.amdhsa_exception_fp_ieee_underflow 0
		.amdhsa_exception_fp_ieee_inexact 0
		.amdhsa_exception_int_div_zero 0
	.end_amdhsa_kernel
	.section	.text._ZN7rocprim17ROCPRIM_400000_NS6detail17trampoline_kernelINS0_14default_configENS1_38merge_sort_block_merge_config_selectorIdNS0_10empty_typeEEEZZNS1_27merge_sort_block_merge_implIS3_PdPS5_jNS1_19radix_merge_compareILb0ELb0EdNS0_19identity_decomposerEEEEE10hipError_tT0_T1_T2_jT3_P12ihipStream_tbPNSt15iterator_traitsISE_E10value_typeEPNSK_ISF_E10value_typeEPSG_NS1_7vsmem_tEENKUlT_SE_SF_SG_E_clIS8_S8_S9_S9_EESD_ST_SE_SF_SG_EUlST_E_NS1_11comp_targetILNS1_3genE10ELNS1_11target_archE1201ELNS1_3gpuE5ELNS1_3repE0EEENS1_48merge_mergepath_partition_config_static_selectorELNS0_4arch9wavefront6targetE0EEEvSF_,"axG",@progbits,_ZN7rocprim17ROCPRIM_400000_NS6detail17trampoline_kernelINS0_14default_configENS1_38merge_sort_block_merge_config_selectorIdNS0_10empty_typeEEEZZNS1_27merge_sort_block_merge_implIS3_PdPS5_jNS1_19radix_merge_compareILb0ELb0EdNS0_19identity_decomposerEEEEE10hipError_tT0_T1_T2_jT3_P12ihipStream_tbPNSt15iterator_traitsISE_E10value_typeEPNSK_ISF_E10value_typeEPSG_NS1_7vsmem_tEENKUlT_SE_SF_SG_E_clIS8_S8_S9_S9_EESD_ST_SE_SF_SG_EUlST_E_NS1_11comp_targetILNS1_3genE10ELNS1_11target_archE1201ELNS1_3gpuE5ELNS1_3repE0EEENS1_48merge_mergepath_partition_config_static_selectorELNS0_4arch9wavefront6targetE0EEEvSF_,comdat
.Lfunc_end1564:
	.size	_ZN7rocprim17ROCPRIM_400000_NS6detail17trampoline_kernelINS0_14default_configENS1_38merge_sort_block_merge_config_selectorIdNS0_10empty_typeEEEZZNS1_27merge_sort_block_merge_implIS3_PdPS5_jNS1_19radix_merge_compareILb0ELb0EdNS0_19identity_decomposerEEEEE10hipError_tT0_T1_T2_jT3_P12ihipStream_tbPNSt15iterator_traitsISE_E10value_typeEPNSK_ISF_E10value_typeEPSG_NS1_7vsmem_tEENKUlT_SE_SF_SG_E_clIS8_S8_S9_S9_EESD_ST_SE_SF_SG_EUlST_E_NS1_11comp_targetILNS1_3genE10ELNS1_11target_archE1201ELNS1_3gpuE5ELNS1_3repE0EEENS1_48merge_mergepath_partition_config_static_selectorELNS0_4arch9wavefront6targetE0EEEvSF_, .Lfunc_end1564-_ZN7rocprim17ROCPRIM_400000_NS6detail17trampoline_kernelINS0_14default_configENS1_38merge_sort_block_merge_config_selectorIdNS0_10empty_typeEEEZZNS1_27merge_sort_block_merge_implIS3_PdPS5_jNS1_19radix_merge_compareILb0ELb0EdNS0_19identity_decomposerEEEEE10hipError_tT0_T1_T2_jT3_P12ihipStream_tbPNSt15iterator_traitsISE_E10value_typeEPNSK_ISF_E10value_typeEPSG_NS1_7vsmem_tEENKUlT_SE_SF_SG_E_clIS8_S8_S9_S9_EESD_ST_SE_SF_SG_EUlST_E_NS1_11comp_targetILNS1_3genE10ELNS1_11target_archE1201ELNS1_3gpuE5ELNS1_3repE0EEENS1_48merge_mergepath_partition_config_static_selectorELNS0_4arch9wavefront6targetE0EEEvSF_
                                        ; -- End function
	.set _ZN7rocprim17ROCPRIM_400000_NS6detail17trampoline_kernelINS0_14default_configENS1_38merge_sort_block_merge_config_selectorIdNS0_10empty_typeEEEZZNS1_27merge_sort_block_merge_implIS3_PdPS5_jNS1_19radix_merge_compareILb0ELb0EdNS0_19identity_decomposerEEEEE10hipError_tT0_T1_T2_jT3_P12ihipStream_tbPNSt15iterator_traitsISE_E10value_typeEPNSK_ISF_E10value_typeEPSG_NS1_7vsmem_tEENKUlT_SE_SF_SG_E_clIS8_S8_S9_S9_EESD_ST_SE_SF_SG_EUlST_E_NS1_11comp_targetILNS1_3genE10ELNS1_11target_archE1201ELNS1_3gpuE5ELNS1_3repE0EEENS1_48merge_mergepath_partition_config_static_selectorELNS0_4arch9wavefront6targetE0EEEvSF_.num_vgpr, 0
	.set _ZN7rocprim17ROCPRIM_400000_NS6detail17trampoline_kernelINS0_14default_configENS1_38merge_sort_block_merge_config_selectorIdNS0_10empty_typeEEEZZNS1_27merge_sort_block_merge_implIS3_PdPS5_jNS1_19radix_merge_compareILb0ELb0EdNS0_19identity_decomposerEEEEE10hipError_tT0_T1_T2_jT3_P12ihipStream_tbPNSt15iterator_traitsISE_E10value_typeEPNSK_ISF_E10value_typeEPSG_NS1_7vsmem_tEENKUlT_SE_SF_SG_E_clIS8_S8_S9_S9_EESD_ST_SE_SF_SG_EUlST_E_NS1_11comp_targetILNS1_3genE10ELNS1_11target_archE1201ELNS1_3gpuE5ELNS1_3repE0EEENS1_48merge_mergepath_partition_config_static_selectorELNS0_4arch9wavefront6targetE0EEEvSF_.num_agpr, 0
	.set _ZN7rocprim17ROCPRIM_400000_NS6detail17trampoline_kernelINS0_14default_configENS1_38merge_sort_block_merge_config_selectorIdNS0_10empty_typeEEEZZNS1_27merge_sort_block_merge_implIS3_PdPS5_jNS1_19radix_merge_compareILb0ELb0EdNS0_19identity_decomposerEEEEE10hipError_tT0_T1_T2_jT3_P12ihipStream_tbPNSt15iterator_traitsISE_E10value_typeEPNSK_ISF_E10value_typeEPSG_NS1_7vsmem_tEENKUlT_SE_SF_SG_E_clIS8_S8_S9_S9_EESD_ST_SE_SF_SG_EUlST_E_NS1_11comp_targetILNS1_3genE10ELNS1_11target_archE1201ELNS1_3gpuE5ELNS1_3repE0EEENS1_48merge_mergepath_partition_config_static_selectorELNS0_4arch9wavefront6targetE0EEEvSF_.numbered_sgpr, 0
	.set _ZN7rocprim17ROCPRIM_400000_NS6detail17trampoline_kernelINS0_14default_configENS1_38merge_sort_block_merge_config_selectorIdNS0_10empty_typeEEEZZNS1_27merge_sort_block_merge_implIS3_PdPS5_jNS1_19radix_merge_compareILb0ELb0EdNS0_19identity_decomposerEEEEE10hipError_tT0_T1_T2_jT3_P12ihipStream_tbPNSt15iterator_traitsISE_E10value_typeEPNSK_ISF_E10value_typeEPSG_NS1_7vsmem_tEENKUlT_SE_SF_SG_E_clIS8_S8_S9_S9_EESD_ST_SE_SF_SG_EUlST_E_NS1_11comp_targetILNS1_3genE10ELNS1_11target_archE1201ELNS1_3gpuE5ELNS1_3repE0EEENS1_48merge_mergepath_partition_config_static_selectorELNS0_4arch9wavefront6targetE0EEEvSF_.num_named_barrier, 0
	.set _ZN7rocprim17ROCPRIM_400000_NS6detail17trampoline_kernelINS0_14default_configENS1_38merge_sort_block_merge_config_selectorIdNS0_10empty_typeEEEZZNS1_27merge_sort_block_merge_implIS3_PdPS5_jNS1_19radix_merge_compareILb0ELb0EdNS0_19identity_decomposerEEEEE10hipError_tT0_T1_T2_jT3_P12ihipStream_tbPNSt15iterator_traitsISE_E10value_typeEPNSK_ISF_E10value_typeEPSG_NS1_7vsmem_tEENKUlT_SE_SF_SG_E_clIS8_S8_S9_S9_EESD_ST_SE_SF_SG_EUlST_E_NS1_11comp_targetILNS1_3genE10ELNS1_11target_archE1201ELNS1_3gpuE5ELNS1_3repE0EEENS1_48merge_mergepath_partition_config_static_selectorELNS0_4arch9wavefront6targetE0EEEvSF_.private_seg_size, 0
	.set _ZN7rocprim17ROCPRIM_400000_NS6detail17trampoline_kernelINS0_14default_configENS1_38merge_sort_block_merge_config_selectorIdNS0_10empty_typeEEEZZNS1_27merge_sort_block_merge_implIS3_PdPS5_jNS1_19radix_merge_compareILb0ELb0EdNS0_19identity_decomposerEEEEE10hipError_tT0_T1_T2_jT3_P12ihipStream_tbPNSt15iterator_traitsISE_E10value_typeEPNSK_ISF_E10value_typeEPSG_NS1_7vsmem_tEENKUlT_SE_SF_SG_E_clIS8_S8_S9_S9_EESD_ST_SE_SF_SG_EUlST_E_NS1_11comp_targetILNS1_3genE10ELNS1_11target_archE1201ELNS1_3gpuE5ELNS1_3repE0EEENS1_48merge_mergepath_partition_config_static_selectorELNS0_4arch9wavefront6targetE0EEEvSF_.uses_vcc, 0
	.set _ZN7rocprim17ROCPRIM_400000_NS6detail17trampoline_kernelINS0_14default_configENS1_38merge_sort_block_merge_config_selectorIdNS0_10empty_typeEEEZZNS1_27merge_sort_block_merge_implIS3_PdPS5_jNS1_19radix_merge_compareILb0ELb0EdNS0_19identity_decomposerEEEEE10hipError_tT0_T1_T2_jT3_P12ihipStream_tbPNSt15iterator_traitsISE_E10value_typeEPNSK_ISF_E10value_typeEPSG_NS1_7vsmem_tEENKUlT_SE_SF_SG_E_clIS8_S8_S9_S9_EESD_ST_SE_SF_SG_EUlST_E_NS1_11comp_targetILNS1_3genE10ELNS1_11target_archE1201ELNS1_3gpuE5ELNS1_3repE0EEENS1_48merge_mergepath_partition_config_static_selectorELNS0_4arch9wavefront6targetE0EEEvSF_.uses_flat_scratch, 0
	.set _ZN7rocprim17ROCPRIM_400000_NS6detail17trampoline_kernelINS0_14default_configENS1_38merge_sort_block_merge_config_selectorIdNS0_10empty_typeEEEZZNS1_27merge_sort_block_merge_implIS3_PdPS5_jNS1_19radix_merge_compareILb0ELb0EdNS0_19identity_decomposerEEEEE10hipError_tT0_T1_T2_jT3_P12ihipStream_tbPNSt15iterator_traitsISE_E10value_typeEPNSK_ISF_E10value_typeEPSG_NS1_7vsmem_tEENKUlT_SE_SF_SG_E_clIS8_S8_S9_S9_EESD_ST_SE_SF_SG_EUlST_E_NS1_11comp_targetILNS1_3genE10ELNS1_11target_archE1201ELNS1_3gpuE5ELNS1_3repE0EEENS1_48merge_mergepath_partition_config_static_selectorELNS0_4arch9wavefront6targetE0EEEvSF_.has_dyn_sized_stack, 0
	.set _ZN7rocprim17ROCPRIM_400000_NS6detail17trampoline_kernelINS0_14default_configENS1_38merge_sort_block_merge_config_selectorIdNS0_10empty_typeEEEZZNS1_27merge_sort_block_merge_implIS3_PdPS5_jNS1_19radix_merge_compareILb0ELb0EdNS0_19identity_decomposerEEEEE10hipError_tT0_T1_T2_jT3_P12ihipStream_tbPNSt15iterator_traitsISE_E10value_typeEPNSK_ISF_E10value_typeEPSG_NS1_7vsmem_tEENKUlT_SE_SF_SG_E_clIS8_S8_S9_S9_EESD_ST_SE_SF_SG_EUlST_E_NS1_11comp_targetILNS1_3genE10ELNS1_11target_archE1201ELNS1_3gpuE5ELNS1_3repE0EEENS1_48merge_mergepath_partition_config_static_selectorELNS0_4arch9wavefront6targetE0EEEvSF_.has_recursion, 0
	.set _ZN7rocprim17ROCPRIM_400000_NS6detail17trampoline_kernelINS0_14default_configENS1_38merge_sort_block_merge_config_selectorIdNS0_10empty_typeEEEZZNS1_27merge_sort_block_merge_implIS3_PdPS5_jNS1_19radix_merge_compareILb0ELb0EdNS0_19identity_decomposerEEEEE10hipError_tT0_T1_T2_jT3_P12ihipStream_tbPNSt15iterator_traitsISE_E10value_typeEPNSK_ISF_E10value_typeEPSG_NS1_7vsmem_tEENKUlT_SE_SF_SG_E_clIS8_S8_S9_S9_EESD_ST_SE_SF_SG_EUlST_E_NS1_11comp_targetILNS1_3genE10ELNS1_11target_archE1201ELNS1_3gpuE5ELNS1_3repE0EEENS1_48merge_mergepath_partition_config_static_selectorELNS0_4arch9wavefront6targetE0EEEvSF_.has_indirect_call, 0
	.section	.AMDGPU.csdata,"",@progbits
; Kernel info:
; codeLenInByte = 0
; TotalNumSgprs: 0
; NumVgprs: 0
; ScratchSize: 0
; MemoryBound: 0
; FloatMode: 240
; IeeeMode: 1
; LDSByteSize: 0 bytes/workgroup (compile time only)
; SGPRBlocks: 0
; VGPRBlocks: 0
; NumSGPRsForWavesPerEU: 1
; NumVGPRsForWavesPerEU: 1
; NamedBarCnt: 0
; Occupancy: 16
; WaveLimiterHint : 0
; COMPUTE_PGM_RSRC2:SCRATCH_EN: 0
; COMPUTE_PGM_RSRC2:USER_SGPR: 2
; COMPUTE_PGM_RSRC2:TRAP_HANDLER: 0
; COMPUTE_PGM_RSRC2:TGID_X_EN: 1
; COMPUTE_PGM_RSRC2:TGID_Y_EN: 0
; COMPUTE_PGM_RSRC2:TGID_Z_EN: 0
; COMPUTE_PGM_RSRC2:TIDIG_COMP_CNT: 0
	.section	.text._ZN7rocprim17ROCPRIM_400000_NS6detail17trampoline_kernelINS0_14default_configENS1_38merge_sort_block_merge_config_selectorIdNS0_10empty_typeEEEZZNS1_27merge_sort_block_merge_implIS3_PdPS5_jNS1_19radix_merge_compareILb0ELb0EdNS0_19identity_decomposerEEEEE10hipError_tT0_T1_T2_jT3_P12ihipStream_tbPNSt15iterator_traitsISE_E10value_typeEPNSK_ISF_E10value_typeEPSG_NS1_7vsmem_tEENKUlT_SE_SF_SG_E_clIS8_S8_S9_S9_EESD_ST_SE_SF_SG_EUlST_E_NS1_11comp_targetILNS1_3genE5ELNS1_11target_archE942ELNS1_3gpuE9ELNS1_3repE0EEENS1_48merge_mergepath_partition_config_static_selectorELNS0_4arch9wavefront6targetE0EEEvSF_,"axG",@progbits,_ZN7rocprim17ROCPRIM_400000_NS6detail17trampoline_kernelINS0_14default_configENS1_38merge_sort_block_merge_config_selectorIdNS0_10empty_typeEEEZZNS1_27merge_sort_block_merge_implIS3_PdPS5_jNS1_19radix_merge_compareILb0ELb0EdNS0_19identity_decomposerEEEEE10hipError_tT0_T1_T2_jT3_P12ihipStream_tbPNSt15iterator_traitsISE_E10value_typeEPNSK_ISF_E10value_typeEPSG_NS1_7vsmem_tEENKUlT_SE_SF_SG_E_clIS8_S8_S9_S9_EESD_ST_SE_SF_SG_EUlST_E_NS1_11comp_targetILNS1_3genE5ELNS1_11target_archE942ELNS1_3gpuE9ELNS1_3repE0EEENS1_48merge_mergepath_partition_config_static_selectorELNS0_4arch9wavefront6targetE0EEEvSF_,comdat
	.protected	_ZN7rocprim17ROCPRIM_400000_NS6detail17trampoline_kernelINS0_14default_configENS1_38merge_sort_block_merge_config_selectorIdNS0_10empty_typeEEEZZNS1_27merge_sort_block_merge_implIS3_PdPS5_jNS1_19radix_merge_compareILb0ELb0EdNS0_19identity_decomposerEEEEE10hipError_tT0_T1_T2_jT3_P12ihipStream_tbPNSt15iterator_traitsISE_E10value_typeEPNSK_ISF_E10value_typeEPSG_NS1_7vsmem_tEENKUlT_SE_SF_SG_E_clIS8_S8_S9_S9_EESD_ST_SE_SF_SG_EUlST_E_NS1_11comp_targetILNS1_3genE5ELNS1_11target_archE942ELNS1_3gpuE9ELNS1_3repE0EEENS1_48merge_mergepath_partition_config_static_selectorELNS0_4arch9wavefront6targetE0EEEvSF_ ; -- Begin function _ZN7rocprim17ROCPRIM_400000_NS6detail17trampoline_kernelINS0_14default_configENS1_38merge_sort_block_merge_config_selectorIdNS0_10empty_typeEEEZZNS1_27merge_sort_block_merge_implIS3_PdPS5_jNS1_19radix_merge_compareILb0ELb0EdNS0_19identity_decomposerEEEEE10hipError_tT0_T1_T2_jT3_P12ihipStream_tbPNSt15iterator_traitsISE_E10value_typeEPNSK_ISF_E10value_typeEPSG_NS1_7vsmem_tEENKUlT_SE_SF_SG_E_clIS8_S8_S9_S9_EESD_ST_SE_SF_SG_EUlST_E_NS1_11comp_targetILNS1_3genE5ELNS1_11target_archE942ELNS1_3gpuE9ELNS1_3repE0EEENS1_48merge_mergepath_partition_config_static_selectorELNS0_4arch9wavefront6targetE0EEEvSF_
	.globl	_ZN7rocprim17ROCPRIM_400000_NS6detail17trampoline_kernelINS0_14default_configENS1_38merge_sort_block_merge_config_selectorIdNS0_10empty_typeEEEZZNS1_27merge_sort_block_merge_implIS3_PdPS5_jNS1_19radix_merge_compareILb0ELb0EdNS0_19identity_decomposerEEEEE10hipError_tT0_T1_T2_jT3_P12ihipStream_tbPNSt15iterator_traitsISE_E10value_typeEPNSK_ISF_E10value_typeEPSG_NS1_7vsmem_tEENKUlT_SE_SF_SG_E_clIS8_S8_S9_S9_EESD_ST_SE_SF_SG_EUlST_E_NS1_11comp_targetILNS1_3genE5ELNS1_11target_archE942ELNS1_3gpuE9ELNS1_3repE0EEENS1_48merge_mergepath_partition_config_static_selectorELNS0_4arch9wavefront6targetE0EEEvSF_
	.p2align	8
	.type	_ZN7rocprim17ROCPRIM_400000_NS6detail17trampoline_kernelINS0_14default_configENS1_38merge_sort_block_merge_config_selectorIdNS0_10empty_typeEEEZZNS1_27merge_sort_block_merge_implIS3_PdPS5_jNS1_19radix_merge_compareILb0ELb0EdNS0_19identity_decomposerEEEEE10hipError_tT0_T1_T2_jT3_P12ihipStream_tbPNSt15iterator_traitsISE_E10value_typeEPNSK_ISF_E10value_typeEPSG_NS1_7vsmem_tEENKUlT_SE_SF_SG_E_clIS8_S8_S9_S9_EESD_ST_SE_SF_SG_EUlST_E_NS1_11comp_targetILNS1_3genE5ELNS1_11target_archE942ELNS1_3gpuE9ELNS1_3repE0EEENS1_48merge_mergepath_partition_config_static_selectorELNS0_4arch9wavefront6targetE0EEEvSF_,@function
_ZN7rocprim17ROCPRIM_400000_NS6detail17trampoline_kernelINS0_14default_configENS1_38merge_sort_block_merge_config_selectorIdNS0_10empty_typeEEEZZNS1_27merge_sort_block_merge_implIS3_PdPS5_jNS1_19radix_merge_compareILb0ELb0EdNS0_19identity_decomposerEEEEE10hipError_tT0_T1_T2_jT3_P12ihipStream_tbPNSt15iterator_traitsISE_E10value_typeEPNSK_ISF_E10value_typeEPSG_NS1_7vsmem_tEENKUlT_SE_SF_SG_E_clIS8_S8_S9_S9_EESD_ST_SE_SF_SG_EUlST_E_NS1_11comp_targetILNS1_3genE5ELNS1_11target_archE942ELNS1_3gpuE9ELNS1_3repE0EEENS1_48merge_mergepath_partition_config_static_selectorELNS0_4arch9wavefront6targetE0EEEvSF_: ; @_ZN7rocprim17ROCPRIM_400000_NS6detail17trampoline_kernelINS0_14default_configENS1_38merge_sort_block_merge_config_selectorIdNS0_10empty_typeEEEZZNS1_27merge_sort_block_merge_implIS3_PdPS5_jNS1_19radix_merge_compareILb0ELb0EdNS0_19identity_decomposerEEEEE10hipError_tT0_T1_T2_jT3_P12ihipStream_tbPNSt15iterator_traitsISE_E10value_typeEPNSK_ISF_E10value_typeEPSG_NS1_7vsmem_tEENKUlT_SE_SF_SG_E_clIS8_S8_S9_S9_EESD_ST_SE_SF_SG_EUlST_E_NS1_11comp_targetILNS1_3genE5ELNS1_11target_archE942ELNS1_3gpuE9ELNS1_3repE0EEENS1_48merge_mergepath_partition_config_static_selectorELNS0_4arch9wavefront6targetE0EEEvSF_
; %bb.0:
	.section	.rodata,"a",@progbits
	.p2align	6, 0x0
	.amdhsa_kernel _ZN7rocprim17ROCPRIM_400000_NS6detail17trampoline_kernelINS0_14default_configENS1_38merge_sort_block_merge_config_selectorIdNS0_10empty_typeEEEZZNS1_27merge_sort_block_merge_implIS3_PdPS5_jNS1_19radix_merge_compareILb0ELb0EdNS0_19identity_decomposerEEEEE10hipError_tT0_T1_T2_jT3_P12ihipStream_tbPNSt15iterator_traitsISE_E10value_typeEPNSK_ISF_E10value_typeEPSG_NS1_7vsmem_tEENKUlT_SE_SF_SG_E_clIS8_S8_S9_S9_EESD_ST_SE_SF_SG_EUlST_E_NS1_11comp_targetILNS1_3genE5ELNS1_11target_archE942ELNS1_3gpuE9ELNS1_3repE0EEENS1_48merge_mergepath_partition_config_static_selectorELNS0_4arch9wavefront6targetE0EEEvSF_
		.amdhsa_group_segment_fixed_size 0
		.amdhsa_private_segment_fixed_size 0
		.amdhsa_kernarg_size 40
		.amdhsa_user_sgpr_count 2
		.amdhsa_user_sgpr_dispatch_ptr 0
		.amdhsa_user_sgpr_queue_ptr 0
		.amdhsa_user_sgpr_kernarg_segment_ptr 1
		.amdhsa_user_sgpr_dispatch_id 0
		.amdhsa_user_sgpr_kernarg_preload_length 0
		.amdhsa_user_sgpr_kernarg_preload_offset 0
		.amdhsa_user_sgpr_private_segment_size 0
		.amdhsa_wavefront_size32 1
		.amdhsa_uses_dynamic_stack 0
		.amdhsa_enable_private_segment 0
		.amdhsa_system_sgpr_workgroup_id_x 1
		.amdhsa_system_sgpr_workgroup_id_y 0
		.amdhsa_system_sgpr_workgroup_id_z 0
		.amdhsa_system_sgpr_workgroup_info 0
		.amdhsa_system_vgpr_workitem_id 0
		.amdhsa_next_free_vgpr 1
		.amdhsa_next_free_sgpr 1
		.amdhsa_named_barrier_count 0
		.amdhsa_reserve_vcc 0
		.amdhsa_float_round_mode_32 0
		.amdhsa_float_round_mode_16_64 0
		.amdhsa_float_denorm_mode_32 3
		.amdhsa_float_denorm_mode_16_64 3
		.amdhsa_fp16_overflow 0
		.amdhsa_memory_ordered 1
		.amdhsa_forward_progress 1
		.amdhsa_inst_pref_size 0
		.amdhsa_round_robin_scheduling 0
		.amdhsa_exception_fp_ieee_invalid_op 0
		.amdhsa_exception_fp_denorm_src 0
		.amdhsa_exception_fp_ieee_div_zero 0
		.amdhsa_exception_fp_ieee_overflow 0
		.amdhsa_exception_fp_ieee_underflow 0
		.amdhsa_exception_fp_ieee_inexact 0
		.amdhsa_exception_int_div_zero 0
	.end_amdhsa_kernel
	.section	.text._ZN7rocprim17ROCPRIM_400000_NS6detail17trampoline_kernelINS0_14default_configENS1_38merge_sort_block_merge_config_selectorIdNS0_10empty_typeEEEZZNS1_27merge_sort_block_merge_implIS3_PdPS5_jNS1_19radix_merge_compareILb0ELb0EdNS0_19identity_decomposerEEEEE10hipError_tT0_T1_T2_jT3_P12ihipStream_tbPNSt15iterator_traitsISE_E10value_typeEPNSK_ISF_E10value_typeEPSG_NS1_7vsmem_tEENKUlT_SE_SF_SG_E_clIS8_S8_S9_S9_EESD_ST_SE_SF_SG_EUlST_E_NS1_11comp_targetILNS1_3genE5ELNS1_11target_archE942ELNS1_3gpuE9ELNS1_3repE0EEENS1_48merge_mergepath_partition_config_static_selectorELNS0_4arch9wavefront6targetE0EEEvSF_,"axG",@progbits,_ZN7rocprim17ROCPRIM_400000_NS6detail17trampoline_kernelINS0_14default_configENS1_38merge_sort_block_merge_config_selectorIdNS0_10empty_typeEEEZZNS1_27merge_sort_block_merge_implIS3_PdPS5_jNS1_19radix_merge_compareILb0ELb0EdNS0_19identity_decomposerEEEEE10hipError_tT0_T1_T2_jT3_P12ihipStream_tbPNSt15iterator_traitsISE_E10value_typeEPNSK_ISF_E10value_typeEPSG_NS1_7vsmem_tEENKUlT_SE_SF_SG_E_clIS8_S8_S9_S9_EESD_ST_SE_SF_SG_EUlST_E_NS1_11comp_targetILNS1_3genE5ELNS1_11target_archE942ELNS1_3gpuE9ELNS1_3repE0EEENS1_48merge_mergepath_partition_config_static_selectorELNS0_4arch9wavefront6targetE0EEEvSF_,comdat
.Lfunc_end1565:
	.size	_ZN7rocprim17ROCPRIM_400000_NS6detail17trampoline_kernelINS0_14default_configENS1_38merge_sort_block_merge_config_selectorIdNS0_10empty_typeEEEZZNS1_27merge_sort_block_merge_implIS3_PdPS5_jNS1_19radix_merge_compareILb0ELb0EdNS0_19identity_decomposerEEEEE10hipError_tT0_T1_T2_jT3_P12ihipStream_tbPNSt15iterator_traitsISE_E10value_typeEPNSK_ISF_E10value_typeEPSG_NS1_7vsmem_tEENKUlT_SE_SF_SG_E_clIS8_S8_S9_S9_EESD_ST_SE_SF_SG_EUlST_E_NS1_11comp_targetILNS1_3genE5ELNS1_11target_archE942ELNS1_3gpuE9ELNS1_3repE0EEENS1_48merge_mergepath_partition_config_static_selectorELNS0_4arch9wavefront6targetE0EEEvSF_, .Lfunc_end1565-_ZN7rocprim17ROCPRIM_400000_NS6detail17trampoline_kernelINS0_14default_configENS1_38merge_sort_block_merge_config_selectorIdNS0_10empty_typeEEEZZNS1_27merge_sort_block_merge_implIS3_PdPS5_jNS1_19radix_merge_compareILb0ELb0EdNS0_19identity_decomposerEEEEE10hipError_tT0_T1_T2_jT3_P12ihipStream_tbPNSt15iterator_traitsISE_E10value_typeEPNSK_ISF_E10value_typeEPSG_NS1_7vsmem_tEENKUlT_SE_SF_SG_E_clIS8_S8_S9_S9_EESD_ST_SE_SF_SG_EUlST_E_NS1_11comp_targetILNS1_3genE5ELNS1_11target_archE942ELNS1_3gpuE9ELNS1_3repE0EEENS1_48merge_mergepath_partition_config_static_selectorELNS0_4arch9wavefront6targetE0EEEvSF_
                                        ; -- End function
	.set _ZN7rocprim17ROCPRIM_400000_NS6detail17trampoline_kernelINS0_14default_configENS1_38merge_sort_block_merge_config_selectorIdNS0_10empty_typeEEEZZNS1_27merge_sort_block_merge_implIS3_PdPS5_jNS1_19radix_merge_compareILb0ELb0EdNS0_19identity_decomposerEEEEE10hipError_tT0_T1_T2_jT3_P12ihipStream_tbPNSt15iterator_traitsISE_E10value_typeEPNSK_ISF_E10value_typeEPSG_NS1_7vsmem_tEENKUlT_SE_SF_SG_E_clIS8_S8_S9_S9_EESD_ST_SE_SF_SG_EUlST_E_NS1_11comp_targetILNS1_3genE5ELNS1_11target_archE942ELNS1_3gpuE9ELNS1_3repE0EEENS1_48merge_mergepath_partition_config_static_selectorELNS0_4arch9wavefront6targetE0EEEvSF_.num_vgpr, 0
	.set _ZN7rocprim17ROCPRIM_400000_NS6detail17trampoline_kernelINS0_14default_configENS1_38merge_sort_block_merge_config_selectorIdNS0_10empty_typeEEEZZNS1_27merge_sort_block_merge_implIS3_PdPS5_jNS1_19radix_merge_compareILb0ELb0EdNS0_19identity_decomposerEEEEE10hipError_tT0_T1_T2_jT3_P12ihipStream_tbPNSt15iterator_traitsISE_E10value_typeEPNSK_ISF_E10value_typeEPSG_NS1_7vsmem_tEENKUlT_SE_SF_SG_E_clIS8_S8_S9_S9_EESD_ST_SE_SF_SG_EUlST_E_NS1_11comp_targetILNS1_3genE5ELNS1_11target_archE942ELNS1_3gpuE9ELNS1_3repE0EEENS1_48merge_mergepath_partition_config_static_selectorELNS0_4arch9wavefront6targetE0EEEvSF_.num_agpr, 0
	.set _ZN7rocprim17ROCPRIM_400000_NS6detail17trampoline_kernelINS0_14default_configENS1_38merge_sort_block_merge_config_selectorIdNS0_10empty_typeEEEZZNS1_27merge_sort_block_merge_implIS3_PdPS5_jNS1_19radix_merge_compareILb0ELb0EdNS0_19identity_decomposerEEEEE10hipError_tT0_T1_T2_jT3_P12ihipStream_tbPNSt15iterator_traitsISE_E10value_typeEPNSK_ISF_E10value_typeEPSG_NS1_7vsmem_tEENKUlT_SE_SF_SG_E_clIS8_S8_S9_S9_EESD_ST_SE_SF_SG_EUlST_E_NS1_11comp_targetILNS1_3genE5ELNS1_11target_archE942ELNS1_3gpuE9ELNS1_3repE0EEENS1_48merge_mergepath_partition_config_static_selectorELNS0_4arch9wavefront6targetE0EEEvSF_.numbered_sgpr, 0
	.set _ZN7rocprim17ROCPRIM_400000_NS6detail17trampoline_kernelINS0_14default_configENS1_38merge_sort_block_merge_config_selectorIdNS0_10empty_typeEEEZZNS1_27merge_sort_block_merge_implIS3_PdPS5_jNS1_19radix_merge_compareILb0ELb0EdNS0_19identity_decomposerEEEEE10hipError_tT0_T1_T2_jT3_P12ihipStream_tbPNSt15iterator_traitsISE_E10value_typeEPNSK_ISF_E10value_typeEPSG_NS1_7vsmem_tEENKUlT_SE_SF_SG_E_clIS8_S8_S9_S9_EESD_ST_SE_SF_SG_EUlST_E_NS1_11comp_targetILNS1_3genE5ELNS1_11target_archE942ELNS1_3gpuE9ELNS1_3repE0EEENS1_48merge_mergepath_partition_config_static_selectorELNS0_4arch9wavefront6targetE0EEEvSF_.num_named_barrier, 0
	.set _ZN7rocprim17ROCPRIM_400000_NS6detail17trampoline_kernelINS0_14default_configENS1_38merge_sort_block_merge_config_selectorIdNS0_10empty_typeEEEZZNS1_27merge_sort_block_merge_implIS3_PdPS5_jNS1_19radix_merge_compareILb0ELb0EdNS0_19identity_decomposerEEEEE10hipError_tT0_T1_T2_jT3_P12ihipStream_tbPNSt15iterator_traitsISE_E10value_typeEPNSK_ISF_E10value_typeEPSG_NS1_7vsmem_tEENKUlT_SE_SF_SG_E_clIS8_S8_S9_S9_EESD_ST_SE_SF_SG_EUlST_E_NS1_11comp_targetILNS1_3genE5ELNS1_11target_archE942ELNS1_3gpuE9ELNS1_3repE0EEENS1_48merge_mergepath_partition_config_static_selectorELNS0_4arch9wavefront6targetE0EEEvSF_.private_seg_size, 0
	.set _ZN7rocprim17ROCPRIM_400000_NS6detail17trampoline_kernelINS0_14default_configENS1_38merge_sort_block_merge_config_selectorIdNS0_10empty_typeEEEZZNS1_27merge_sort_block_merge_implIS3_PdPS5_jNS1_19radix_merge_compareILb0ELb0EdNS0_19identity_decomposerEEEEE10hipError_tT0_T1_T2_jT3_P12ihipStream_tbPNSt15iterator_traitsISE_E10value_typeEPNSK_ISF_E10value_typeEPSG_NS1_7vsmem_tEENKUlT_SE_SF_SG_E_clIS8_S8_S9_S9_EESD_ST_SE_SF_SG_EUlST_E_NS1_11comp_targetILNS1_3genE5ELNS1_11target_archE942ELNS1_3gpuE9ELNS1_3repE0EEENS1_48merge_mergepath_partition_config_static_selectorELNS0_4arch9wavefront6targetE0EEEvSF_.uses_vcc, 0
	.set _ZN7rocprim17ROCPRIM_400000_NS6detail17trampoline_kernelINS0_14default_configENS1_38merge_sort_block_merge_config_selectorIdNS0_10empty_typeEEEZZNS1_27merge_sort_block_merge_implIS3_PdPS5_jNS1_19radix_merge_compareILb0ELb0EdNS0_19identity_decomposerEEEEE10hipError_tT0_T1_T2_jT3_P12ihipStream_tbPNSt15iterator_traitsISE_E10value_typeEPNSK_ISF_E10value_typeEPSG_NS1_7vsmem_tEENKUlT_SE_SF_SG_E_clIS8_S8_S9_S9_EESD_ST_SE_SF_SG_EUlST_E_NS1_11comp_targetILNS1_3genE5ELNS1_11target_archE942ELNS1_3gpuE9ELNS1_3repE0EEENS1_48merge_mergepath_partition_config_static_selectorELNS0_4arch9wavefront6targetE0EEEvSF_.uses_flat_scratch, 0
	.set _ZN7rocprim17ROCPRIM_400000_NS6detail17trampoline_kernelINS0_14default_configENS1_38merge_sort_block_merge_config_selectorIdNS0_10empty_typeEEEZZNS1_27merge_sort_block_merge_implIS3_PdPS5_jNS1_19radix_merge_compareILb0ELb0EdNS0_19identity_decomposerEEEEE10hipError_tT0_T1_T2_jT3_P12ihipStream_tbPNSt15iterator_traitsISE_E10value_typeEPNSK_ISF_E10value_typeEPSG_NS1_7vsmem_tEENKUlT_SE_SF_SG_E_clIS8_S8_S9_S9_EESD_ST_SE_SF_SG_EUlST_E_NS1_11comp_targetILNS1_3genE5ELNS1_11target_archE942ELNS1_3gpuE9ELNS1_3repE0EEENS1_48merge_mergepath_partition_config_static_selectorELNS0_4arch9wavefront6targetE0EEEvSF_.has_dyn_sized_stack, 0
	.set _ZN7rocprim17ROCPRIM_400000_NS6detail17trampoline_kernelINS0_14default_configENS1_38merge_sort_block_merge_config_selectorIdNS0_10empty_typeEEEZZNS1_27merge_sort_block_merge_implIS3_PdPS5_jNS1_19radix_merge_compareILb0ELb0EdNS0_19identity_decomposerEEEEE10hipError_tT0_T1_T2_jT3_P12ihipStream_tbPNSt15iterator_traitsISE_E10value_typeEPNSK_ISF_E10value_typeEPSG_NS1_7vsmem_tEENKUlT_SE_SF_SG_E_clIS8_S8_S9_S9_EESD_ST_SE_SF_SG_EUlST_E_NS1_11comp_targetILNS1_3genE5ELNS1_11target_archE942ELNS1_3gpuE9ELNS1_3repE0EEENS1_48merge_mergepath_partition_config_static_selectorELNS0_4arch9wavefront6targetE0EEEvSF_.has_recursion, 0
	.set _ZN7rocprim17ROCPRIM_400000_NS6detail17trampoline_kernelINS0_14default_configENS1_38merge_sort_block_merge_config_selectorIdNS0_10empty_typeEEEZZNS1_27merge_sort_block_merge_implIS3_PdPS5_jNS1_19radix_merge_compareILb0ELb0EdNS0_19identity_decomposerEEEEE10hipError_tT0_T1_T2_jT3_P12ihipStream_tbPNSt15iterator_traitsISE_E10value_typeEPNSK_ISF_E10value_typeEPSG_NS1_7vsmem_tEENKUlT_SE_SF_SG_E_clIS8_S8_S9_S9_EESD_ST_SE_SF_SG_EUlST_E_NS1_11comp_targetILNS1_3genE5ELNS1_11target_archE942ELNS1_3gpuE9ELNS1_3repE0EEENS1_48merge_mergepath_partition_config_static_selectorELNS0_4arch9wavefront6targetE0EEEvSF_.has_indirect_call, 0
	.section	.AMDGPU.csdata,"",@progbits
; Kernel info:
; codeLenInByte = 0
; TotalNumSgprs: 0
; NumVgprs: 0
; ScratchSize: 0
; MemoryBound: 0
; FloatMode: 240
; IeeeMode: 1
; LDSByteSize: 0 bytes/workgroup (compile time only)
; SGPRBlocks: 0
; VGPRBlocks: 0
; NumSGPRsForWavesPerEU: 1
; NumVGPRsForWavesPerEU: 1
; NamedBarCnt: 0
; Occupancy: 16
; WaveLimiterHint : 0
; COMPUTE_PGM_RSRC2:SCRATCH_EN: 0
; COMPUTE_PGM_RSRC2:USER_SGPR: 2
; COMPUTE_PGM_RSRC2:TRAP_HANDLER: 0
; COMPUTE_PGM_RSRC2:TGID_X_EN: 1
; COMPUTE_PGM_RSRC2:TGID_Y_EN: 0
; COMPUTE_PGM_RSRC2:TGID_Z_EN: 0
; COMPUTE_PGM_RSRC2:TIDIG_COMP_CNT: 0
	.section	.text._ZN7rocprim17ROCPRIM_400000_NS6detail17trampoline_kernelINS0_14default_configENS1_38merge_sort_block_merge_config_selectorIdNS0_10empty_typeEEEZZNS1_27merge_sort_block_merge_implIS3_PdPS5_jNS1_19radix_merge_compareILb0ELb0EdNS0_19identity_decomposerEEEEE10hipError_tT0_T1_T2_jT3_P12ihipStream_tbPNSt15iterator_traitsISE_E10value_typeEPNSK_ISF_E10value_typeEPSG_NS1_7vsmem_tEENKUlT_SE_SF_SG_E_clIS8_S8_S9_S9_EESD_ST_SE_SF_SG_EUlST_E_NS1_11comp_targetILNS1_3genE4ELNS1_11target_archE910ELNS1_3gpuE8ELNS1_3repE0EEENS1_48merge_mergepath_partition_config_static_selectorELNS0_4arch9wavefront6targetE0EEEvSF_,"axG",@progbits,_ZN7rocprim17ROCPRIM_400000_NS6detail17trampoline_kernelINS0_14default_configENS1_38merge_sort_block_merge_config_selectorIdNS0_10empty_typeEEEZZNS1_27merge_sort_block_merge_implIS3_PdPS5_jNS1_19radix_merge_compareILb0ELb0EdNS0_19identity_decomposerEEEEE10hipError_tT0_T1_T2_jT3_P12ihipStream_tbPNSt15iterator_traitsISE_E10value_typeEPNSK_ISF_E10value_typeEPSG_NS1_7vsmem_tEENKUlT_SE_SF_SG_E_clIS8_S8_S9_S9_EESD_ST_SE_SF_SG_EUlST_E_NS1_11comp_targetILNS1_3genE4ELNS1_11target_archE910ELNS1_3gpuE8ELNS1_3repE0EEENS1_48merge_mergepath_partition_config_static_selectorELNS0_4arch9wavefront6targetE0EEEvSF_,comdat
	.protected	_ZN7rocprim17ROCPRIM_400000_NS6detail17trampoline_kernelINS0_14default_configENS1_38merge_sort_block_merge_config_selectorIdNS0_10empty_typeEEEZZNS1_27merge_sort_block_merge_implIS3_PdPS5_jNS1_19radix_merge_compareILb0ELb0EdNS0_19identity_decomposerEEEEE10hipError_tT0_T1_T2_jT3_P12ihipStream_tbPNSt15iterator_traitsISE_E10value_typeEPNSK_ISF_E10value_typeEPSG_NS1_7vsmem_tEENKUlT_SE_SF_SG_E_clIS8_S8_S9_S9_EESD_ST_SE_SF_SG_EUlST_E_NS1_11comp_targetILNS1_3genE4ELNS1_11target_archE910ELNS1_3gpuE8ELNS1_3repE0EEENS1_48merge_mergepath_partition_config_static_selectorELNS0_4arch9wavefront6targetE0EEEvSF_ ; -- Begin function _ZN7rocprim17ROCPRIM_400000_NS6detail17trampoline_kernelINS0_14default_configENS1_38merge_sort_block_merge_config_selectorIdNS0_10empty_typeEEEZZNS1_27merge_sort_block_merge_implIS3_PdPS5_jNS1_19radix_merge_compareILb0ELb0EdNS0_19identity_decomposerEEEEE10hipError_tT0_T1_T2_jT3_P12ihipStream_tbPNSt15iterator_traitsISE_E10value_typeEPNSK_ISF_E10value_typeEPSG_NS1_7vsmem_tEENKUlT_SE_SF_SG_E_clIS8_S8_S9_S9_EESD_ST_SE_SF_SG_EUlST_E_NS1_11comp_targetILNS1_3genE4ELNS1_11target_archE910ELNS1_3gpuE8ELNS1_3repE0EEENS1_48merge_mergepath_partition_config_static_selectorELNS0_4arch9wavefront6targetE0EEEvSF_
	.globl	_ZN7rocprim17ROCPRIM_400000_NS6detail17trampoline_kernelINS0_14default_configENS1_38merge_sort_block_merge_config_selectorIdNS0_10empty_typeEEEZZNS1_27merge_sort_block_merge_implIS3_PdPS5_jNS1_19radix_merge_compareILb0ELb0EdNS0_19identity_decomposerEEEEE10hipError_tT0_T1_T2_jT3_P12ihipStream_tbPNSt15iterator_traitsISE_E10value_typeEPNSK_ISF_E10value_typeEPSG_NS1_7vsmem_tEENKUlT_SE_SF_SG_E_clIS8_S8_S9_S9_EESD_ST_SE_SF_SG_EUlST_E_NS1_11comp_targetILNS1_3genE4ELNS1_11target_archE910ELNS1_3gpuE8ELNS1_3repE0EEENS1_48merge_mergepath_partition_config_static_selectorELNS0_4arch9wavefront6targetE0EEEvSF_
	.p2align	8
	.type	_ZN7rocprim17ROCPRIM_400000_NS6detail17trampoline_kernelINS0_14default_configENS1_38merge_sort_block_merge_config_selectorIdNS0_10empty_typeEEEZZNS1_27merge_sort_block_merge_implIS3_PdPS5_jNS1_19radix_merge_compareILb0ELb0EdNS0_19identity_decomposerEEEEE10hipError_tT0_T1_T2_jT3_P12ihipStream_tbPNSt15iterator_traitsISE_E10value_typeEPNSK_ISF_E10value_typeEPSG_NS1_7vsmem_tEENKUlT_SE_SF_SG_E_clIS8_S8_S9_S9_EESD_ST_SE_SF_SG_EUlST_E_NS1_11comp_targetILNS1_3genE4ELNS1_11target_archE910ELNS1_3gpuE8ELNS1_3repE0EEENS1_48merge_mergepath_partition_config_static_selectorELNS0_4arch9wavefront6targetE0EEEvSF_,@function
_ZN7rocprim17ROCPRIM_400000_NS6detail17trampoline_kernelINS0_14default_configENS1_38merge_sort_block_merge_config_selectorIdNS0_10empty_typeEEEZZNS1_27merge_sort_block_merge_implIS3_PdPS5_jNS1_19radix_merge_compareILb0ELb0EdNS0_19identity_decomposerEEEEE10hipError_tT0_T1_T2_jT3_P12ihipStream_tbPNSt15iterator_traitsISE_E10value_typeEPNSK_ISF_E10value_typeEPSG_NS1_7vsmem_tEENKUlT_SE_SF_SG_E_clIS8_S8_S9_S9_EESD_ST_SE_SF_SG_EUlST_E_NS1_11comp_targetILNS1_3genE4ELNS1_11target_archE910ELNS1_3gpuE8ELNS1_3repE0EEENS1_48merge_mergepath_partition_config_static_selectorELNS0_4arch9wavefront6targetE0EEEvSF_: ; @_ZN7rocprim17ROCPRIM_400000_NS6detail17trampoline_kernelINS0_14default_configENS1_38merge_sort_block_merge_config_selectorIdNS0_10empty_typeEEEZZNS1_27merge_sort_block_merge_implIS3_PdPS5_jNS1_19radix_merge_compareILb0ELb0EdNS0_19identity_decomposerEEEEE10hipError_tT0_T1_T2_jT3_P12ihipStream_tbPNSt15iterator_traitsISE_E10value_typeEPNSK_ISF_E10value_typeEPSG_NS1_7vsmem_tEENKUlT_SE_SF_SG_E_clIS8_S8_S9_S9_EESD_ST_SE_SF_SG_EUlST_E_NS1_11comp_targetILNS1_3genE4ELNS1_11target_archE910ELNS1_3gpuE8ELNS1_3repE0EEENS1_48merge_mergepath_partition_config_static_selectorELNS0_4arch9wavefront6targetE0EEEvSF_
; %bb.0:
	.section	.rodata,"a",@progbits
	.p2align	6, 0x0
	.amdhsa_kernel _ZN7rocprim17ROCPRIM_400000_NS6detail17trampoline_kernelINS0_14default_configENS1_38merge_sort_block_merge_config_selectorIdNS0_10empty_typeEEEZZNS1_27merge_sort_block_merge_implIS3_PdPS5_jNS1_19radix_merge_compareILb0ELb0EdNS0_19identity_decomposerEEEEE10hipError_tT0_T1_T2_jT3_P12ihipStream_tbPNSt15iterator_traitsISE_E10value_typeEPNSK_ISF_E10value_typeEPSG_NS1_7vsmem_tEENKUlT_SE_SF_SG_E_clIS8_S8_S9_S9_EESD_ST_SE_SF_SG_EUlST_E_NS1_11comp_targetILNS1_3genE4ELNS1_11target_archE910ELNS1_3gpuE8ELNS1_3repE0EEENS1_48merge_mergepath_partition_config_static_selectorELNS0_4arch9wavefront6targetE0EEEvSF_
		.amdhsa_group_segment_fixed_size 0
		.amdhsa_private_segment_fixed_size 0
		.amdhsa_kernarg_size 40
		.amdhsa_user_sgpr_count 2
		.amdhsa_user_sgpr_dispatch_ptr 0
		.amdhsa_user_sgpr_queue_ptr 0
		.amdhsa_user_sgpr_kernarg_segment_ptr 1
		.amdhsa_user_sgpr_dispatch_id 0
		.amdhsa_user_sgpr_kernarg_preload_length 0
		.amdhsa_user_sgpr_kernarg_preload_offset 0
		.amdhsa_user_sgpr_private_segment_size 0
		.amdhsa_wavefront_size32 1
		.amdhsa_uses_dynamic_stack 0
		.amdhsa_enable_private_segment 0
		.amdhsa_system_sgpr_workgroup_id_x 1
		.amdhsa_system_sgpr_workgroup_id_y 0
		.amdhsa_system_sgpr_workgroup_id_z 0
		.amdhsa_system_sgpr_workgroup_info 0
		.amdhsa_system_vgpr_workitem_id 0
		.amdhsa_next_free_vgpr 1
		.amdhsa_next_free_sgpr 1
		.amdhsa_named_barrier_count 0
		.amdhsa_reserve_vcc 0
		.amdhsa_float_round_mode_32 0
		.amdhsa_float_round_mode_16_64 0
		.amdhsa_float_denorm_mode_32 3
		.amdhsa_float_denorm_mode_16_64 3
		.amdhsa_fp16_overflow 0
		.amdhsa_memory_ordered 1
		.amdhsa_forward_progress 1
		.amdhsa_inst_pref_size 0
		.amdhsa_round_robin_scheduling 0
		.amdhsa_exception_fp_ieee_invalid_op 0
		.amdhsa_exception_fp_denorm_src 0
		.amdhsa_exception_fp_ieee_div_zero 0
		.amdhsa_exception_fp_ieee_overflow 0
		.amdhsa_exception_fp_ieee_underflow 0
		.amdhsa_exception_fp_ieee_inexact 0
		.amdhsa_exception_int_div_zero 0
	.end_amdhsa_kernel
	.section	.text._ZN7rocprim17ROCPRIM_400000_NS6detail17trampoline_kernelINS0_14default_configENS1_38merge_sort_block_merge_config_selectorIdNS0_10empty_typeEEEZZNS1_27merge_sort_block_merge_implIS3_PdPS5_jNS1_19radix_merge_compareILb0ELb0EdNS0_19identity_decomposerEEEEE10hipError_tT0_T1_T2_jT3_P12ihipStream_tbPNSt15iterator_traitsISE_E10value_typeEPNSK_ISF_E10value_typeEPSG_NS1_7vsmem_tEENKUlT_SE_SF_SG_E_clIS8_S8_S9_S9_EESD_ST_SE_SF_SG_EUlST_E_NS1_11comp_targetILNS1_3genE4ELNS1_11target_archE910ELNS1_3gpuE8ELNS1_3repE0EEENS1_48merge_mergepath_partition_config_static_selectorELNS0_4arch9wavefront6targetE0EEEvSF_,"axG",@progbits,_ZN7rocprim17ROCPRIM_400000_NS6detail17trampoline_kernelINS0_14default_configENS1_38merge_sort_block_merge_config_selectorIdNS0_10empty_typeEEEZZNS1_27merge_sort_block_merge_implIS3_PdPS5_jNS1_19radix_merge_compareILb0ELb0EdNS0_19identity_decomposerEEEEE10hipError_tT0_T1_T2_jT3_P12ihipStream_tbPNSt15iterator_traitsISE_E10value_typeEPNSK_ISF_E10value_typeEPSG_NS1_7vsmem_tEENKUlT_SE_SF_SG_E_clIS8_S8_S9_S9_EESD_ST_SE_SF_SG_EUlST_E_NS1_11comp_targetILNS1_3genE4ELNS1_11target_archE910ELNS1_3gpuE8ELNS1_3repE0EEENS1_48merge_mergepath_partition_config_static_selectorELNS0_4arch9wavefront6targetE0EEEvSF_,comdat
.Lfunc_end1566:
	.size	_ZN7rocprim17ROCPRIM_400000_NS6detail17trampoline_kernelINS0_14default_configENS1_38merge_sort_block_merge_config_selectorIdNS0_10empty_typeEEEZZNS1_27merge_sort_block_merge_implIS3_PdPS5_jNS1_19radix_merge_compareILb0ELb0EdNS0_19identity_decomposerEEEEE10hipError_tT0_T1_T2_jT3_P12ihipStream_tbPNSt15iterator_traitsISE_E10value_typeEPNSK_ISF_E10value_typeEPSG_NS1_7vsmem_tEENKUlT_SE_SF_SG_E_clIS8_S8_S9_S9_EESD_ST_SE_SF_SG_EUlST_E_NS1_11comp_targetILNS1_3genE4ELNS1_11target_archE910ELNS1_3gpuE8ELNS1_3repE0EEENS1_48merge_mergepath_partition_config_static_selectorELNS0_4arch9wavefront6targetE0EEEvSF_, .Lfunc_end1566-_ZN7rocprim17ROCPRIM_400000_NS6detail17trampoline_kernelINS0_14default_configENS1_38merge_sort_block_merge_config_selectorIdNS0_10empty_typeEEEZZNS1_27merge_sort_block_merge_implIS3_PdPS5_jNS1_19radix_merge_compareILb0ELb0EdNS0_19identity_decomposerEEEEE10hipError_tT0_T1_T2_jT3_P12ihipStream_tbPNSt15iterator_traitsISE_E10value_typeEPNSK_ISF_E10value_typeEPSG_NS1_7vsmem_tEENKUlT_SE_SF_SG_E_clIS8_S8_S9_S9_EESD_ST_SE_SF_SG_EUlST_E_NS1_11comp_targetILNS1_3genE4ELNS1_11target_archE910ELNS1_3gpuE8ELNS1_3repE0EEENS1_48merge_mergepath_partition_config_static_selectorELNS0_4arch9wavefront6targetE0EEEvSF_
                                        ; -- End function
	.set _ZN7rocprim17ROCPRIM_400000_NS6detail17trampoline_kernelINS0_14default_configENS1_38merge_sort_block_merge_config_selectorIdNS0_10empty_typeEEEZZNS1_27merge_sort_block_merge_implIS3_PdPS5_jNS1_19radix_merge_compareILb0ELb0EdNS0_19identity_decomposerEEEEE10hipError_tT0_T1_T2_jT3_P12ihipStream_tbPNSt15iterator_traitsISE_E10value_typeEPNSK_ISF_E10value_typeEPSG_NS1_7vsmem_tEENKUlT_SE_SF_SG_E_clIS8_S8_S9_S9_EESD_ST_SE_SF_SG_EUlST_E_NS1_11comp_targetILNS1_3genE4ELNS1_11target_archE910ELNS1_3gpuE8ELNS1_3repE0EEENS1_48merge_mergepath_partition_config_static_selectorELNS0_4arch9wavefront6targetE0EEEvSF_.num_vgpr, 0
	.set _ZN7rocprim17ROCPRIM_400000_NS6detail17trampoline_kernelINS0_14default_configENS1_38merge_sort_block_merge_config_selectorIdNS0_10empty_typeEEEZZNS1_27merge_sort_block_merge_implIS3_PdPS5_jNS1_19radix_merge_compareILb0ELb0EdNS0_19identity_decomposerEEEEE10hipError_tT0_T1_T2_jT3_P12ihipStream_tbPNSt15iterator_traitsISE_E10value_typeEPNSK_ISF_E10value_typeEPSG_NS1_7vsmem_tEENKUlT_SE_SF_SG_E_clIS8_S8_S9_S9_EESD_ST_SE_SF_SG_EUlST_E_NS1_11comp_targetILNS1_3genE4ELNS1_11target_archE910ELNS1_3gpuE8ELNS1_3repE0EEENS1_48merge_mergepath_partition_config_static_selectorELNS0_4arch9wavefront6targetE0EEEvSF_.num_agpr, 0
	.set _ZN7rocprim17ROCPRIM_400000_NS6detail17trampoline_kernelINS0_14default_configENS1_38merge_sort_block_merge_config_selectorIdNS0_10empty_typeEEEZZNS1_27merge_sort_block_merge_implIS3_PdPS5_jNS1_19radix_merge_compareILb0ELb0EdNS0_19identity_decomposerEEEEE10hipError_tT0_T1_T2_jT3_P12ihipStream_tbPNSt15iterator_traitsISE_E10value_typeEPNSK_ISF_E10value_typeEPSG_NS1_7vsmem_tEENKUlT_SE_SF_SG_E_clIS8_S8_S9_S9_EESD_ST_SE_SF_SG_EUlST_E_NS1_11comp_targetILNS1_3genE4ELNS1_11target_archE910ELNS1_3gpuE8ELNS1_3repE0EEENS1_48merge_mergepath_partition_config_static_selectorELNS0_4arch9wavefront6targetE0EEEvSF_.numbered_sgpr, 0
	.set _ZN7rocprim17ROCPRIM_400000_NS6detail17trampoline_kernelINS0_14default_configENS1_38merge_sort_block_merge_config_selectorIdNS0_10empty_typeEEEZZNS1_27merge_sort_block_merge_implIS3_PdPS5_jNS1_19radix_merge_compareILb0ELb0EdNS0_19identity_decomposerEEEEE10hipError_tT0_T1_T2_jT3_P12ihipStream_tbPNSt15iterator_traitsISE_E10value_typeEPNSK_ISF_E10value_typeEPSG_NS1_7vsmem_tEENKUlT_SE_SF_SG_E_clIS8_S8_S9_S9_EESD_ST_SE_SF_SG_EUlST_E_NS1_11comp_targetILNS1_3genE4ELNS1_11target_archE910ELNS1_3gpuE8ELNS1_3repE0EEENS1_48merge_mergepath_partition_config_static_selectorELNS0_4arch9wavefront6targetE0EEEvSF_.num_named_barrier, 0
	.set _ZN7rocprim17ROCPRIM_400000_NS6detail17trampoline_kernelINS0_14default_configENS1_38merge_sort_block_merge_config_selectorIdNS0_10empty_typeEEEZZNS1_27merge_sort_block_merge_implIS3_PdPS5_jNS1_19radix_merge_compareILb0ELb0EdNS0_19identity_decomposerEEEEE10hipError_tT0_T1_T2_jT3_P12ihipStream_tbPNSt15iterator_traitsISE_E10value_typeEPNSK_ISF_E10value_typeEPSG_NS1_7vsmem_tEENKUlT_SE_SF_SG_E_clIS8_S8_S9_S9_EESD_ST_SE_SF_SG_EUlST_E_NS1_11comp_targetILNS1_3genE4ELNS1_11target_archE910ELNS1_3gpuE8ELNS1_3repE0EEENS1_48merge_mergepath_partition_config_static_selectorELNS0_4arch9wavefront6targetE0EEEvSF_.private_seg_size, 0
	.set _ZN7rocprim17ROCPRIM_400000_NS6detail17trampoline_kernelINS0_14default_configENS1_38merge_sort_block_merge_config_selectorIdNS0_10empty_typeEEEZZNS1_27merge_sort_block_merge_implIS3_PdPS5_jNS1_19radix_merge_compareILb0ELb0EdNS0_19identity_decomposerEEEEE10hipError_tT0_T1_T2_jT3_P12ihipStream_tbPNSt15iterator_traitsISE_E10value_typeEPNSK_ISF_E10value_typeEPSG_NS1_7vsmem_tEENKUlT_SE_SF_SG_E_clIS8_S8_S9_S9_EESD_ST_SE_SF_SG_EUlST_E_NS1_11comp_targetILNS1_3genE4ELNS1_11target_archE910ELNS1_3gpuE8ELNS1_3repE0EEENS1_48merge_mergepath_partition_config_static_selectorELNS0_4arch9wavefront6targetE0EEEvSF_.uses_vcc, 0
	.set _ZN7rocprim17ROCPRIM_400000_NS6detail17trampoline_kernelINS0_14default_configENS1_38merge_sort_block_merge_config_selectorIdNS0_10empty_typeEEEZZNS1_27merge_sort_block_merge_implIS3_PdPS5_jNS1_19radix_merge_compareILb0ELb0EdNS0_19identity_decomposerEEEEE10hipError_tT0_T1_T2_jT3_P12ihipStream_tbPNSt15iterator_traitsISE_E10value_typeEPNSK_ISF_E10value_typeEPSG_NS1_7vsmem_tEENKUlT_SE_SF_SG_E_clIS8_S8_S9_S9_EESD_ST_SE_SF_SG_EUlST_E_NS1_11comp_targetILNS1_3genE4ELNS1_11target_archE910ELNS1_3gpuE8ELNS1_3repE0EEENS1_48merge_mergepath_partition_config_static_selectorELNS0_4arch9wavefront6targetE0EEEvSF_.uses_flat_scratch, 0
	.set _ZN7rocprim17ROCPRIM_400000_NS6detail17trampoline_kernelINS0_14default_configENS1_38merge_sort_block_merge_config_selectorIdNS0_10empty_typeEEEZZNS1_27merge_sort_block_merge_implIS3_PdPS5_jNS1_19radix_merge_compareILb0ELb0EdNS0_19identity_decomposerEEEEE10hipError_tT0_T1_T2_jT3_P12ihipStream_tbPNSt15iterator_traitsISE_E10value_typeEPNSK_ISF_E10value_typeEPSG_NS1_7vsmem_tEENKUlT_SE_SF_SG_E_clIS8_S8_S9_S9_EESD_ST_SE_SF_SG_EUlST_E_NS1_11comp_targetILNS1_3genE4ELNS1_11target_archE910ELNS1_3gpuE8ELNS1_3repE0EEENS1_48merge_mergepath_partition_config_static_selectorELNS0_4arch9wavefront6targetE0EEEvSF_.has_dyn_sized_stack, 0
	.set _ZN7rocprim17ROCPRIM_400000_NS6detail17trampoline_kernelINS0_14default_configENS1_38merge_sort_block_merge_config_selectorIdNS0_10empty_typeEEEZZNS1_27merge_sort_block_merge_implIS3_PdPS5_jNS1_19radix_merge_compareILb0ELb0EdNS0_19identity_decomposerEEEEE10hipError_tT0_T1_T2_jT3_P12ihipStream_tbPNSt15iterator_traitsISE_E10value_typeEPNSK_ISF_E10value_typeEPSG_NS1_7vsmem_tEENKUlT_SE_SF_SG_E_clIS8_S8_S9_S9_EESD_ST_SE_SF_SG_EUlST_E_NS1_11comp_targetILNS1_3genE4ELNS1_11target_archE910ELNS1_3gpuE8ELNS1_3repE0EEENS1_48merge_mergepath_partition_config_static_selectorELNS0_4arch9wavefront6targetE0EEEvSF_.has_recursion, 0
	.set _ZN7rocprim17ROCPRIM_400000_NS6detail17trampoline_kernelINS0_14default_configENS1_38merge_sort_block_merge_config_selectorIdNS0_10empty_typeEEEZZNS1_27merge_sort_block_merge_implIS3_PdPS5_jNS1_19radix_merge_compareILb0ELb0EdNS0_19identity_decomposerEEEEE10hipError_tT0_T1_T2_jT3_P12ihipStream_tbPNSt15iterator_traitsISE_E10value_typeEPNSK_ISF_E10value_typeEPSG_NS1_7vsmem_tEENKUlT_SE_SF_SG_E_clIS8_S8_S9_S9_EESD_ST_SE_SF_SG_EUlST_E_NS1_11comp_targetILNS1_3genE4ELNS1_11target_archE910ELNS1_3gpuE8ELNS1_3repE0EEENS1_48merge_mergepath_partition_config_static_selectorELNS0_4arch9wavefront6targetE0EEEvSF_.has_indirect_call, 0
	.section	.AMDGPU.csdata,"",@progbits
; Kernel info:
; codeLenInByte = 0
; TotalNumSgprs: 0
; NumVgprs: 0
; ScratchSize: 0
; MemoryBound: 0
; FloatMode: 240
; IeeeMode: 1
; LDSByteSize: 0 bytes/workgroup (compile time only)
; SGPRBlocks: 0
; VGPRBlocks: 0
; NumSGPRsForWavesPerEU: 1
; NumVGPRsForWavesPerEU: 1
; NamedBarCnt: 0
; Occupancy: 16
; WaveLimiterHint : 0
; COMPUTE_PGM_RSRC2:SCRATCH_EN: 0
; COMPUTE_PGM_RSRC2:USER_SGPR: 2
; COMPUTE_PGM_RSRC2:TRAP_HANDLER: 0
; COMPUTE_PGM_RSRC2:TGID_X_EN: 1
; COMPUTE_PGM_RSRC2:TGID_Y_EN: 0
; COMPUTE_PGM_RSRC2:TGID_Z_EN: 0
; COMPUTE_PGM_RSRC2:TIDIG_COMP_CNT: 0
	.section	.text._ZN7rocprim17ROCPRIM_400000_NS6detail17trampoline_kernelINS0_14default_configENS1_38merge_sort_block_merge_config_selectorIdNS0_10empty_typeEEEZZNS1_27merge_sort_block_merge_implIS3_PdPS5_jNS1_19radix_merge_compareILb0ELb0EdNS0_19identity_decomposerEEEEE10hipError_tT0_T1_T2_jT3_P12ihipStream_tbPNSt15iterator_traitsISE_E10value_typeEPNSK_ISF_E10value_typeEPSG_NS1_7vsmem_tEENKUlT_SE_SF_SG_E_clIS8_S8_S9_S9_EESD_ST_SE_SF_SG_EUlST_E_NS1_11comp_targetILNS1_3genE3ELNS1_11target_archE908ELNS1_3gpuE7ELNS1_3repE0EEENS1_48merge_mergepath_partition_config_static_selectorELNS0_4arch9wavefront6targetE0EEEvSF_,"axG",@progbits,_ZN7rocprim17ROCPRIM_400000_NS6detail17trampoline_kernelINS0_14default_configENS1_38merge_sort_block_merge_config_selectorIdNS0_10empty_typeEEEZZNS1_27merge_sort_block_merge_implIS3_PdPS5_jNS1_19radix_merge_compareILb0ELb0EdNS0_19identity_decomposerEEEEE10hipError_tT0_T1_T2_jT3_P12ihipStream_tbPNSt15iterator_traitsISE_E10value_typeEPNSK_ISF_E10value_typeEPSG_NS1_7vsmem_tEENKUlT_SE_SF_SG_E_clIS8_S8_S9_S9_EESD_ST_SE_SF_SG_EUlST_E_NS1_11comp_targetILNS1_3genE3ELNS1_11target_archE908ELNS1_3gpuE7ELNS1_3repE0EEENS1_48merge_mergepath_partition_config_static_selectorELNS0_4arch9wavefront6targetE0EEEvSF_,comdat
	.protected	_ZN7rocprim17ROCPRIM_400000_NS6detail17trampoline_kernelINS0_14default_configENS1_38merge_sort_block_merge_config_selectorIdNS0_10empty_typeEEEZZNS1_27merge_sort_block_merge_implIS3_PdPS5_jNS1_19radix_merge_compareILb0ELb0EdNS0_19identity_decomposerEEEEE10hipError_tT0_T1_T2_jT3_P12ihipStream_tbPNSt15iterator_traitsISE_E10value_typeEPNSK_ISF_E10value_typeEPSG_NS1_7vsmem_tEENKUlT_SE_SF_SG_E_clIS8_S8_S9_S9_EESD_ST_SE_SF_SG_EUlST_E_NS1_11comp_targetILNS1_3genE3ELNS1_11target_archE908ELNS1_3gpuE7ELNS1_3repE0EEENS1_48merge_mergepath_partition_config_static_selectorELNS0_4arch9wavefront6targetE0EEEvSF_ ; -- Begin function _ZN7rocprim17ROCPRIM_400000_NS6detail17trampoline_kernelINS0_14default_configENS1_38merge_sort_block_merge_config_selectorIdNS0_10empty_typeEEEZZNS1_27merge_sort_block_merge_implIS3_PdPS5_jNS1_19radix_merge_compareILb0ELb0EdNS0_19identity_decomposerEEEEE10hipError_tT0_T1_T2_jT3_P12ihipStream_tbPNSt15iterator_traitsISE_E10value_typeEPNSK_ISF_E10value_typeEPSG_NS1_7vsmem_tEENKUlT_SE_SF_SG_E_clIS8_S8_S9_S9_EESD_ST_SE_SF_SG_EUlST_E_NS1_11comp_targetILNS1_3genE3ELNS1_11target_archE908ELNS1_3gpuE7ELNS1_3repE0EEENS1_48merge_mergepath_partition_config_static_selectorELNS0_4arch9wavefront6targetE0EEEvSF_
	.globl	_ZN7rocprim17ROCPRIM_400000_NS6detail17trampoline_kernelINS0_14default_configENS1_38merge_sort_block_merge_config_selectorIdNS0_10empty_typeEEEZZNS1_27merge_sort_block_merge_implIS3_PdPS5_jNS1_19radix_merge_compareILb0ELb0EdNS0_19identity_decomposerEEEEE10hipError_tT0_T1_T2_jT3_P12ihipStream_tbPNSt15iterator_traitsISE_E10value_typeEPNSK_ISF_E10value_typeEPSG_NS1_7vsmem_tEENKUlT_SE_SF_SG_E_clIS8_S8_S9_S9_EESD_ST_SE_SF_SG_EUlST_E_NS1_11comp_targetILNS1_3genE3ELNS1_11target_archE908ELNS1_3gpuE7ELNS1_3repE0EEENS1_48merge_mergepath_partition_config_static_selectorELNS0_4arch9wavefront6targetE0EEEvSF_
	.p2align	8
	.type	_ZN7rocprim17ROCPRIM_400000_NS6detail17trampoline_kernelINS0_14default_configENS1_38merge_sort_block_merge_config_selectorIdNS0_10empty_typeEEEZZNS1_27merge_sort_block_merge_implIS3_PdPS5_jNS1_19radix_merge_compareILb0ELb0EdNS0_19identity_decomposerEEEEE10hipError_tT0_T1_T2_jT3_P12ihipStream_tbPNSt15iterator_traitsISE_E10value_typeEPNSK_ISF_E10value_typeEPSG_NS1_7vsmem_tEENKUlT_SE_SF_SG_E_clIS8_S8_S9_S9_EESD_ST_SE_SF_SG_EUlST_E_NS1_11comp_targetILNS1_3genE3ELNS1_11target_archE908ELNS1_3gpuE7ELNS1_3repE0EEENS1_48merge_mergepath_partition_config_static_selectorELNS0_4arch9wavefront6targetE0EEEvSF_,@function
_ZN7rocprim17ROCPRIM_400000_NS6detail17trampoline_kernelINS0_14default_configENS1_38merge_sort_block_merge_config_selectorIdNS0_10empty_typeEEEZZNS1_27merge_sort_block_merge_implIS3_PdPS5_jNS1_19radix_merge_compareILb0ELb0EdNS0_19identity_decomposerEEEEE10hipError_tT0_T1_T2_jT3_P12ihipStream_tbPNSt15iterator_traitsISE_E10value_typeEPNSK_ISF_E10value_typeEPSG_NS1_7vsmem_tEENKUlT_SE_SF_SG_E_clIS8_S8_S9_S9_EESD_ST_SE_SF_SG_EUlST_E_NS1_11comp_targetILNS1_3genE3ELNS1_11target_archE908ELNS1_3gpuE7ELNS1_3repE0EEENS1_48merge_mergepath_partition_config_static_selectorELNS0_4arch9wavefront6targetE0EEEvSF_: ; @_ZN7rocprim17ROCPRIM_400000_NS6detail17trampoline_kernelINS0_14default_configENS1_38merge_sort_block_merge_config_selectorIdNS0_10empty_typeEEEZZNS1_27merge_sort_block_merge_implIS3_PdPS5_jNS1_19radix_merge_compareILb0ELb0EdNS0_19identity_decomposerEEEEE10hipError_tT0_T1_T2_jT3_P12ihipStream_tbPNSt15iterator_traitsISE_E10value_typeEPNSK_ISF_E10value_typeEPSG_NS1_7vsmem_tEENKUlT_SE_SF_SG_E_clIS8_S8_S9_S9_EESD_ST_SE_SF_SG_EUlST_E_NS1_11comp_targetILNS1_3genE3ELNS1_11target_archE908ELNS1_3gpuE7ELNS1_3repE0EEENS1_48merge_mergepath_partition_config_static_selectorELNS0_4arch9wavefront6targetE0EEEvSF_
; %bb.0:
	.section	.rodata,"a",@progbits
	.p2align	6, 0x0
	.amdhsa_kernel _ZN7rocprim17ROCPRIM_400000_NS6detail17trampoline_kernelINS0_14default_configENS1_38merge_sort_block_merge_config_selectorIdNS0_10empty_typeEEEZZNS1_27merge_sort_block_merge_implIS3_PdPS5_jNS1_19radix_merge_compareILb0ELb0EdNS0_19identity_decomposerEEEEE10hipError_tT0_T1_T2_jT3_P12ihipStream_tbPNSt15iterator_traitsISE_E10value_typeEPNSK_ISF_E10value_typeEPSG_NS1_7vsmem_tEENKUlT_SE_SF_SG_E_clIS8_S8_S9_S9_EESD_ST_SE_SF_SG_EUlST_E_NS1_11comp_targetILNS1_3genE3ELNS1_11target_archE908ELNS1_3gpuE7ELNS1_3repE0EEENS1_48merge_mergepath_partition_config_static_selectorELNS0_4arch9wavefront6targetE0EEEvSF_
		.amdhsa_group_segment_fixed_size 0
		.amdhsa_private_segment_fixed_size 0
		.amdhsa_kernarg_size 40
		.amdhsa_user_sgpr_count 2
		.amdhsa_user_sgpr_dispatch_ptr 0
		.amdhsa_user_sgpr_queue_ptr 0
		.amdhsa_user_sgpr_kernarg_segment_ptr 1
		.amdhsa_user_sgpr_dispatch_id 0
		.amdhsa_user_sgpr_kernarg_preload_length 0
		.amdhsa_user_sgpr_kernarg_preload_offset 0
		.amdhsa_user_sgpr_private_segment_size 0
		.amdhsa_wavefront_size32 1
		.amdhsa_uses_dynamic_stack 0
		.amdhsa_enable_private_segment 0
		.amdhsa_system_sgpr_workgroup_id_x 1
		.amdhsa_system_sgpr_workgroup_id_y 0
		.amdhsa_system_sgpr_workgroup_id_z 0
		.amdhsa_system_sgpr_workgroup_info 0
		.amdhsa_system_vgpr_workitem_id 0
		.amdhsa_next_free_vgpr 1
		.amdhsa_next_free_sgpr 1
		.amdhsa_named_barrier_count 0
		.amdhsa_reserve_vcc 0
		.amdhsa_float_round_mode_32 0
		.amdhsa_float_round_mode_16_64 0
		.amdhsa_float_denorm_mode_32 3
		.amdhsa_float_denorm_mode_16_64 3
		.amdhsa_fp16_overflow 0
		.amdhsa_memory_ordered 1
		.amdhsa_forward_progress 1
		.amdhsa_inst_pref_size 0
		.amdhsa_round_robin_scheduling 0
		.amdhsa_exception_fp_ieee_invalid_op 0
		.amdhsa_exception_fp_denorm_src 0
		.amdhsa_exception_fp_ieee_div_zero 0
		.amdhsa_exception_fp_ieee_overflow 0
		.amdhsa_exception_fp_ieee_underflow 0
		.amdhsa_exception_fp_ieee_inexact 0
		.amdhsa_exception_int_div_zero 0
	.end_amdhsa_kernel
	.section	.text._ZN7rocprim17ROCPRIM_400000_NS6detail17trampoline_kernelINS0_14default_configENS1_38merge_sort_block_merge_config_selectorIdNS0_10empty_typeEEEZZNS1_27merge_sort_block_merge_implIS3_PdPS5_jNS1_19radix_merge_compareILb0ELb0EdNS0_19identity_decomposerEEEEE10hipError_tT0_T1_T2_jT3_P12ihipStream_tbPNSt15iterator_traitsISE_E10value_typeEPNSK_ISF_E10value_typeEPSG_NS1_7vsmem_tEENKUlT_SE_SF_SG_E_clIS8_S8_S9_S9_EESD_ST_SE_SF_SG_EUlST_E_NS1_11comp_targetILNS1_3genE3ELNS1_11target_archE908ELNS1_3gpuE7ELNS1_3repE0EEENS1_48merge_mergepath_partition_config_static_selectorELNS0_4arch9wavefront6targetE0EEEvSF_,"axG",@progbits,_ZN7rocprim17ROCPRIM_400000_NS6detail17trampoline_kernelINS0_14default_configENS1_38merge_sort_block_merge_config_selectorIdNS0_10empty_typeEEEZZNS1_27merge_sort_block_merge_implIS3_PdPS5_jNS1_19radix_merge_compareILb0ELb0EdNS0_19identity_decomposerEEEEE10hipError_tT0_T1_T2_jT3_P12ihipStream_tbPNSt15iterator_traitsISE_E10value_typeEPNSK_ISF_E10value_typeEPSG_NS1_7vsmem_tEENKUlT_SE_SF_SG_E_clIS8_S8_S9_S9_EESD_ST_SE_SF_SG_EUlST_E_NS1_11comp_targetILNS1_3genE3ELNS1_11target_archE908ELNS1_3gpuE7ELNS1_3repE0EEENS1_48merge_mergepath_partition_config_static_selectorELNS0_4arch9wavefront6targetE0EEEvSF_,comdat
.Lfunc_end1567:
	.size	_ZN7rocprim17ROCPRIM_400000_NS6detail17trampoline_kernelINS0_14default_configENS1_38merge_sort_block_merge_config_selectorIdNS0_10empty_typeEEEZZNS1_27merge_sort_block_merge_implIS3_PdPS5_jNS1_19radix_merge_compareILb0ELb0EdNS0_19identity_decomposerEEEEE10hipError_tT0_T1_T2_jT3_P12ihipStream_tbPNSt15iterator_traitsISE_E10value_typeEPNSK_ISF_E10value_typeEPSG_NS1_7vsmem_tEENKUlT_SE_SF_SG_E_clIS8_S8_S9_S9_EESD_ST_SE_SF_SG_EUlST_E_NS1_11comp_targetILNS1_3genE3ELNS1_11target_archE908ELNS1_3gpuE7ELNS1_3repE0EEENS1_48merge_mergepath_partition_config_static_selectorELNS0_4arch9wavefront6targetE0EEEvSF_, .Lfunc_end1567-_ZN7rocprim17ROCPRIM_400000_NS6detail17trampoline_kernelINS0_14default_configENS1_38merge_sort_block_merge_config_selectorIdNS0_10empty_typeEEEZZNS1_27merge_sort_block_merge_implIS3_PdPS5_jNS1_19radix_merge_compareILb0ELb0EdNS0_19identity_decomposerEEEEE10hipError_tT0_T1_T2_jT3_P12ihipStream_tbPNSt15iterator_traitsISE_E10value_typeEPNSK_ISF_E10value_typeEPSG_NS1_7vsmem_tEENKUlT_SE_SF_SG_E_clIS8_S8_S9_S9_EESD_ST_SE_SF_SG_EUlST_E_NS1_11comp_targetILNS1_3genE3ELNS1_11target_archE908ELNS1_3gpuE7ELNS1_3repE0EEENS1_48merge_mergepath_partition_config_static_selectorELNS0_4arch9wavefront6targetE0EEEvSF_
                                        ; -- End function
	.set _ZN7rocprim17ROCPRIM_400000_NS6detail17trampoline_kernelINS0_14default_configENS1_38merge_sort_block_merge_config_selectorIdNS0_10empty_typeEEEZZNS1_27merge_sort_block_merge_implIS3_PdPS5_jNS1_19radix_merge_compareILb0ELb0EdNS0_19identity_decomposerEEEEE10hipError_tT0_T1_T2_jT3_P12ihipStream_tbPNSt15iterator_traitsISE_E10value_typeEPNSK_ISF_E10value_typeEPSG_NS1_7vsmem_tEENKUlT_SE_SF_SG_E_clIS8_S8_S9_S9_EESD_ST_SE_SF_SG_EUlST_E_NS1_11comp_targetILNS1_3genE3ELNS1_11target_archE908ELNS1_3gpuE7ELNS1_3repE0EEENS1_48merge_mergepath_partition_config_static_selectorELNS0_4arch9wavefront6targetE0EEEvSF_.num_vgpr, 0
	.set _ZN7rocprim17ROCPRIM_400000_NS6detail17trampoline_kernelINS0_14default_configENS1_38merge_sort_block_merge_config_selectorIdNS0_10empty_typeEEEZZNS1_27merge_sort_block_merge_implIS3_PdPS5_jNS1_19radix_merge_compareILb0ELb0EdNS0_19identity_decomposerEEEEE10hipError_tT0_T1_T2_jT3_P12ihipStream_tbPNSt15iterator_traitsISE_E10value_typeEPNSK_ISF_E10value_typeEPSG_NS1_7vsmem_tEENKUlT_SE_SF_SG_E_clIS8_S8_S9_S9_EESD_ST_SE_SF_SG_EUlST_E_NS1_11comp_targetILNS1_3genE3ELNS1_11target_archE908ELNS1_3gpuE7ELNS1_3repE0EEENS1_48merge_mergepath_partition_config_static_selectorELNS0_4arch9wavefront6targetE0EEEvSF_.num_agpr, 0
	.set _ZN7rocprim17ROCPRIM_400000_NS6detail17trampoline_kernelINS0_14default_configENS1_38merge_sort_block_merge_config_selectorIdNS0_10empty_typeEEEZZNS1_27merge_sort_block_merge_implIS3_PdPS5_jNS1_19radix_merge_compareILb0ELb0EdNS0_19identity_decomposerEEEEE10hipError_tT0_T1_T2_jT3_P12ihipStream_tbPNSt15iterator_traitsISE_E10value_typeEPNSK_ISF_E10value_typeEPSG_NS1_7vsmem_tEENKUlT_SE_SF_SG_E_clIS8_S8_S9_S9_EESD_ST_SE_SF_SG_EUlST_E_NS1_11comp_targetILNS1_3genE3ELNS1_11target_archE908ELNS1_3gpuE7ELNS1_3repE0EEENS1_48merge_mergepath_partition_config_static_selectorELNS0_4arch9wavefront6targetE0EEEvSF_.numbered_sgpr, 0
	.set _ZN7rocprim17ROCPRIM_400000_NS6detail17trampoline_kernelINS0_14default_configENS1_38merge_sort_block_merge_config_selectorIdNS0_10empty_typeEEEZZNS1_27merge_sort_block_merge_implIS3_PdPS5_jNS1_19radix_merge_compareILb0ELb0EdNS0_19identity_decomposerEEEEE10hipError_tT0_T1_T2_jT3_P12ihipStream_tbPNSt15iterator_traitsISE_E10value_typeEPNSK_ISF_E10value_typeEPSG_NS1_7vsmem_tEENKUlT_SE_SF_SG_E_clIS8_S8_S9_S9_EESD_ST_SE_SF_SG_EUlST_E_NS1_11comp_targetILNS1_3genE3ELNS1_11target_archE908ELNS1_3gpuE7ELNS1_3repE0EEENS1_48merge_mergepath_partition_config_static_selectorELNS0_4arch9wavefront6targetE0EEEvSF_.num_named_barrier, 0
	.set _ZN7rocprim17ROCPRIM_400000_NS6detail17trampoline_kernelINS0_14default_configENS1_38merge_sort_block_merge_config_selectorIdNS0_10empty_typeEEEZZNS1_27merge_sort_block_merge_implIS3_PdPS5_jNS1_19radix_merge_compareILb0ELb0EdNS0_19identity_decomposerEEEEE10hipError_tT0_T1_T2_jT3_P12ihipStream_tbPNSt15iterator_traitsISE_E10value_typeEPNSK_ISF_E10value_typeEPSG_NS1_7vsmem_tEENKUlT_SE_SF_SG_E_clIS8_S8_S9_S9_EESD_ST_SE_SF_SG_EUlST_E_NS1_11comp_targetILNS1_3genE3ELNS1_11target_archE908ELNS1_3gpuE7ELNS1_3repE0EEENS1_48merge_mergepath_partition_config_static_selectorELNS0_4arch9wavefront6targetE0EEEvSF_.private_seg_size, 0
	.set _ZN7rocprim17ROCPRIM_400000_NS6detail17trampoline_kernelINS0_14default_configENS1_38merge_sort_block_merge_config_selectorIdNS0_10empty_typeEEEZZNS1_27merge_sort_block_merge_implIS3_PdPS5_jNS1_19radix_merge_compareILb0ELb0EdNS0_19identity_decomposerEEEEE10hipError_tT0_T1_T2_jT3_P12ihipStream_tbPNSt15iterator_traitsISE_E10value_typeEPNSK_ISF_E10value_typeEPSG_NS1_7vsmem_tEENKUlT_SE_SF_SG_E_clIS8_S8_S9_S9_EESD_ST_SE_SF_SG_EUlST_E_NS1_11comp_targetILNS1_3genE3ELNS1_11target_archE908ELNS1_3gpuE7ELNS1_3repE0EEENS1_48merge_mergepath_partition_config_static_selectorELNS0_4arch9wavefront6targetE0EEEvSF_.uses_vcc, 0
	.set _ZN7rocprim17ROCPRIM_400000_NS6detail17trampoline_kernelINS0_14default_configENS1_38merge_sort_block_merge_config_selectorIdNS0_10empty_typeEEEZZNS1_27merge_sort_block_merge_implIS3_PdPS5_jNS1_19radix_merge_compareILb0ELb0EdNS0_19identity_decomposerEEEEE10hipError_tT0_T1_T2_jT3_P12ihipStream_tbPNSt15iterator_traitsISE_E10value_typeEPNSK_ISF_E10value_typeEPSG_NS1_7vsmem_tEENKUlT_SE_SF_SG_E_clIS8_S8_S9_S9_EESD_ST_SE_SF_SG_EUlST_E_NS1_11comp_targetILNS1_3genE3ELNS1_11target_archE908ELNS1_3gpuE7ELNS1_3repE0EEENS1_48merge_mergepath_partition_config_static_selectorELNS0_4arch9wavefront6targetE0EEEvSF_.uses_flat_scratch, 0
	.set _ZN7rocprim17ROCPRIM_400000_NS6detail17trampoline_kernelINS0_14default_configENS1_38merge_sort_block_merge_config_selectorIdNS0_10empty_typeEEEZZNS1_27merge_sort_block_merge_implIS3_PdPS5_jNS1_19radix_merge_compareILb0ELb0EdNS0_19identity_decomposerEEEEE10hipError_tT0_T1_T2_jT3_P12ihipStream_tbPNSt15iterator_traitsISE_E10value_typeEPNSK_ISF_E10value_typeEPSG_NS1_7vsmem_tEENKUlT_SE_SF_SG_E_clIS8_S8_S9_S9_EESD_ST_SE_SF_SG_EUlST_E_NS1_11comp_targetILNS1_3genE3ELNS1_11target_archE908ELNS1_3gpuE7ELNS1_3repE0EEENS1_48merge_mergepath_partition_config_static_selectorELNS0_4arch9wavefront6targetE0EEEvSF_.has_dyn_sized_stack, 0
	.set _ZN7rocprim17ROCPRIM_400000_NS6detail17trampoline_kernelINS0_14default_configENS1_38merge_sort_block_merge_config_selectorIdNS0_10empty_typeEEEZZNS1_27merge_sort_block_merge_implIS3_PdPS5_jNS1_19radix_merge_compareILb0ELb0EdNS0_19identity_decomposerEEEEE10hipError_tT0_T1_T2_jT3_P12ihipStream_tbPNSt15iterator_traitsISE_E10value_typeEPNSK_ISF_E10value_typeEPSG_NS1_7vsmem_tEENKUlT_SE_SF_SG_E_clIS8_S8_S9_S9_EESD_ST_SE_SF_SG_EUlST_E_NS1_11comp_targetILNS1_3genE3ELNS1_11target_archE908ELNS1_3gpuE7ELNS1_3repE0EEENS1_48merge_mergepath_partition_config_static_selectorELNS0_4arch9wavefront6targetE0EEEvSF_.has_recursion, 0
	.set _ZN7rocprim17ROCPRIM_400000_NS6detail17trampoline_kernelINS0_14default_configENS1_38merge_sort_block_merge_config_selectorIdNS0_10empty_typeEEEZZNS1_27merge_sort_block_merge_implIS3_PdPS5_jNS1_19radix_merge_compareILb0ELb0EdNS0_19identity_decomposerEEEEE10hipError_tT0_T1_T2_jT3_P12ihipStream_tbPNSt15iterator_traitsISE_E10value_typeEPNSK_ISF_E10value_typeEPSG_NS1_7vsmem_tEENKUlT_SE_SF_SG_E_clIS8_S8_S9_S9_EESD_ST_SE_SF_SG_EUlST_E_NS1_11comp_targetILNS1_3genE3ELNS1_11target_archE908ELNS1_3gpuE7ELNS1_3repE0EEENS1_48merge_mergepath_partition_config_static_selectorELNS0_4arch9wavefront6targetE0EEEvSF_.has_indirect_call, 0
	.section	.AMDGPU.csdata,"",@progbits
; Kernel info:
; codeLenInByte = 0
; TotalNumSgprs: 0
; NumVgprs: 0
; ScratchSize: 0
; MemoryBound: 0
; FloatMode: 240
; IeeeMode: 1
; LDSByteSize: 0 bytes/workgroup (compile time only)
; SGPRBlocks: 0
; VGPRBlocks: 0
; NumSGPRsForWavesPerEU: 1
; NumVGPRsForWavesPerEU: 1
; NamedBarCnt: 0
; Occupancy: 16
; WaveLimiterHint : 0
; COMPUTE_PGM_RSRC2:SCRATCH_EN: 0
; COMPUTE_PGM_RSRC2:USER_SGPR: 2
; COMPUTE_PGM_RSRC2:TRAP_HANDLER: 0
; COMPUTE_PGM_RSRC2:TGID_X_EN: 1
; COMPUTE_PGM_RSRC2:TGID_Y_EN: 0
; COMPUTE_PGM_RSRC2:TGID_Z_EN: 0
; COMPUTE_PGM_RSRC2:TIDIG_COMP_CNT: 0
	.section	.text._ZN7rocprim17ROCPRIM_400000_NS6detail17trampoline_kernelINS0_14default_configENS1_38merge_sort_block_merge_config_selectorIdNS0_10empty_typeEEEZZNS1_27merge_sort_block_merge_implIS3_PdPS5_jNS1_19radix_merge_compareILb0ELb0EdNS0_19identity_decomposerEEEEE10hipError_tT0_T1_T2_jT3_P12ihipStream_tbPNSt15iterator_traitsISE_E10value_typeEPNSK_ISF_E10value_typeEPSG_NS1_7vsmem_tEENKUlT_SE_SF_SG_E_clIS8_S8_S9_S9_EESD_ST_SE_SF_SG_EUlST_E_NS1_11comp_targetILNS1_3genE2ELNS1_11target_archE906ELNS1_3gpuE6ELNS1_3repE0EEENS1_48merge_mergepath_partition_config_static_selectorELNS0_4arch9wavefront6targetE0EEEvSF_,"axG",@progbits,_ZN7rocprim17ROCPRIM_400000_NS6detail17trampoline_kernelINS0_14default_configENS1_38merge_sort_block_merge_config_selectorIdNS0_10empty_typeEEEZZNS1_27merge_sort_block_merge_implIS3_PdPS5_jNS1_19radix_merge_compareILb0ELb0EdNS0_19identity_decomposerEEEEE10hipError_tT0_T1_T2_jT3_P12ihipStream_tbPNSt15iterator_traitsISE_E10value_typeEPNSK_ISF_E10value_typeEPSG_NS1_7vsmem_tEENKUlT_SE_SF_SG_E_clIS8_S8_S9_S9_EESD_ST_SE_SF_SG_EUlST_E_NS1_11comp_targetILNS1_3genE2ELNS1_11target_archE906ELNS1_3gpuE6ELNS1_3repE0EEENS1_48merge_mergepath_partition_config_static_selectorELNS0_4arch9wavefront6targetE0EEEvSF_,comdat
	.protected	_ZN7rocprim17ROCPRIM_400000_NS6detail17trampoline_kernelINS0_14default_configENS1_38merge_sort_block_merge_config_selectorIdNS0_10empty_typeEEEZZNS1_27merge_sort_block_merge_implIS3_PdPS5_jNS1_19radix_merge_compareILb0ELb0EdNS0_19identity_decomposerEEEEE10hipError_tT0_T1_T2_jT3_P12ihipStream_tbPNSt15iterator_traitsISE_E10value_typeEPNSK_ISF_E10value_typeEPSG_NS1_7vsmem_tEENKUlT_SE_SF_SG_E_clIS8_S8_S9_S9_EESD_ST_SE_SF_SG_EUlST_E_NS1_11comp_targetILNS1_3genE2ELNS1_11target_archE906ELNS1_3gpuE6ELNS1_3repE0EEENS1_48merge_mergepath_partition_config_static_selectorELNS0_4arch9wavefront6targetE0EEEvSF_ ; -- Begin function _ZN7rocprim17ROCPRIM_400000_NS6detail17trampoline_kernelINS0_14default_configENS1_38merge_sort_block_merge_config_selectorIdNS0_10empty_typeEEEZZNS1_27merge_sort_block_merge_implIS3_PdPS5_jNS1_19radix_merge_compareILb0ELb0EdNS0_19identity_decomposerEEEEE10hipError_tT0_T1_T2_jT3_P12ihipStream_tbPNSt15iterator_traitsISE_E10value_typeEPNSK_ISF_E10value_typeEPSG_NS1_7vsmem_tEENKUlT_SE_SF_SG_E_clIS8_S8_S9_S9_EESD_ST_SE_SF_SG_EUlST_E_NS1_11comp_targetILNS1_3genE2ELNS1_11target_archE906ELNS1_3gpuE6ELNS1_3repE0EEENS1_48merge_mergepath_partition_config_static_selectorELNS0_4arch9wavefront6targetE0EEEvSF_
	.globl	_ZN7rocprim17ROCPRIM_400000_NS6detail17trampoline_kernelINS0_14default_configENS1_38merge_sort_block_merge_config_selectorIdNS0_10empty_typeEEEZZNS1_27merge_sort_block_merge_implIS3_PdPS5_jNS1_19radix_merge_compareILb0ELb0EdNS0_19identity_decomposerEEEEE10hipError_tT0_T1_T2_jT3_P12ihipStream_tbPNSt15iterator_traitsISE_E10value_typeEPNSK_ISF_E10value_typeEPSG_NS1_7vsmem_tEENKUlT_SE_SF_SG_E_clIS8_S8_S9_S9_EESD_ST_SE_SF_SG_EUlST_E_NS1_11comp_targetILNS1_3genE2ELNS1_11target_archE906ELNS1_3gpuE6ELNS1_3repE0EEENS1_48merge_mergepath_partition_config_static_selectorELNS0_4arch9wavefront6targetE0EEEvSF_
	.p2align	8
	.type	_ZN7rocprim17ROCPRIM_400000_NS6detail17trampoline_kernelINS0_14default_configENS1_38merge_sort_block_merge_config_selectorIdNS0_10empty_typeEEEZZNS1_27merge_sort_block_merge_implIS3_PdPS5_jNS1_19radix_merge_compareILb0ELb0EdNS0_19identity_decomposerEEEEE10hipError_tT0_T1_T2_jT3_P12ihipStream_tbPNSt15iterator_traitsISE_E10value_typeEPNSK_ISF_E10value_typeEPSG_NS1_7vsmem_tEENKUlT_SE_SF_SG_E_clIS8_S8_S9_S9_EESD_ST_SE_SF_SG_EUlST_E_NS1_11comp_targetILNS1_3genE2ELNS1_11target_archE906ELNS1_3gpuE6ELNS1_3repE0EEENS1_48merge_mergepath_partition_config_static_selectorELNS0_4arch9wavefront6targetE0EEEvSF_,@function
_ZN7rocprim17ROCPRIM_400000_NS6detail17trampoline_kernelINS0_14default_configENS1_38merge_sort_block_merge_config_selectorIdNS0_10empty_typeEEEZZNS1_27merge_sort_block_merge_implIS3_PdPS5_jNS1_19radix_merge_compareILb0ELb0EdNS0_19identity_decomposerEEEEE10hipError_tT0_T1_T2_jT3_P12ihipStream_tbPNSt15iterator_traitsISE_E10value_typeEPNSK_ISF_E10value_typeEPSG_NS1_7vsmem_tEENKUlT_SE_SF_SG_E_clIS8_S8_S9_S9_EESD_ST_SE_SF_SG_EUlST_E_NS1_11comp_targetILNS1_3genE2ELNS1_11target_archE906ELNS1_3gpuE6ELNS1_3repE0EEENS1_48merge_mergepath_partition_config_static_selectorELNS0_4arch9wavefront6targetE0EEEvSF_: ; @_ZN7rocprim17ROCPRIM_400000_NS6detail17trampoline_kernelINS0_14default_configENS1_38merge_sort_block_merge_config_selectorIdNS0_10empty_typeEEEZZNS1_27merge_sort_block_merge_implIS3_PdPS5_jNS1_19radix_merge_compareILb0ELb0EdNS0_19identity_decomposerEEEEE10hipError_tT0_T1_T2_jT3_P12ihipStream_tbPNSt15iterator_traitsISE_E10value_typeEPNSK_ISF_E10value_typeEPSG_NS1_7vsmem_tEENKUlT_SE_SF_SG_E_clIS8_S8_S9_S9_EESD_ST_SE_SF_SG_EUlST_E_NS1_11comp_targetILNS1_3genE2ELNS1_11target_archE906ELNS1_3gpuE6ELNS1_3repE0EEENS1_48merge_mergepath_partition_config_static_selectorELNS0_4arch9wavefront6targetE0EEEvSF_
; %bb.0:
	.section	.rodata,"a",@progbits
	.p2align	6, 0x0
	.amdhsa_kernel _ZN7rocprim17ROCPRIM_400000_NS6detail17trampoline_kernelINS0_14default_configENS1_38merge_sort_block_merge_config_selectorIdNS0_10empty_typeEEEZZNS1_27merge_sort_block_merge_implIS3_PdPS5_jNS1_19radix_merge_compareILb0ELb0EdNS0_19identity_decomposerEEEEE10hipError_tT0_T1_T2_jT3_P12ihipStream_tbPNSt15iterator_traitsISE_E10value_typeEPNSK_ISF_E10value_typeEPSG_NS1_7vsmem_tEENKUlT_SE_SF_SG_E_clIS8_S8_S9_S9_EESD_ST_SE_SF_SG_EUlST_E_NS1_11comp_targetILNS1_3genE2ELNS1_11target_archE906ELNS1_3gpuE6ELNS1_3repE0EEENS1_48merge_mergepath_partition_config_static_selectorELNS0_4arch9wavefront6targetE0EEEvSF_
		.amdhsa_group_segment_fixed_size 0
		.amdhsa_private_segment_fixed_size 0
		.amdhsa_kernarg_size 40
		.amdhsa_user_sgpr_count 2
		.amdhsa_user_sgpr_dispatch_ptr 0
		.amdhsa_user_sgpr_queue_ptr 0
		.amdhsa_user_sgpr_kernarg_segment_ptr 1
		.amdhsa_user_sgpr_dispatch_id 0
		.amdhsa_user_sgpr_kernarg_preload_length 0
		.amdhsa_user_sgpr_kernarg_preload_offset 0
		.amdhsa_user_sgpr_private_segment_size 0
		.amdhsa_wavefront_size32 1
		.amdhsa_uses_dynamic_stack 0
		.amdhsa_enable_private_segment 0
		.amdhsa_system_sgpr_workgroup_id_x 1
		.amdhsa_system_sgpr_workgroup_id_y 0
		.amdhsa_system_sgpr_workgroup_id_z 0
		.amdhsa_system_sgpr_workgroup_info 0
		.amdhsa_system_vgpr_workitem_id 0
		.amdhsa_next_free_vgpr 1
		.amdhsa_next_free_sgpr 1
		.amdhsa_named_barrier_count 0
		.amdhsa_reserve_vcc 0
		.amdhsa_float_round_mode_32 0
		.amdhsa_float_round_mode_16_64 0
		.amdhsa_float_denorm_mode_32 3
		.amdhsa_float_denorm_mode_16_64 3
		.amdhsa_fp16_overflow 0
		.amdhsa_memory_ordered 1
		.amdhsa_forward_progress 1
		.amdhsa_inst_pref_size 0
		.amdhsa_round_robin_scheduling 0
		.amdhsa_exception_fp_ieee_invalid_op 0
		.amdhsa_exception_fp_denorm_src 0
		.amdhsa_exception_fp_ieee_div_zero 0
		.amdhsa_exception_fp_ieee_overflow 0
		.amdhsa_exception_fp_ieee_underflow 0
		.amdhsa_exception_fp_ieee_inexact 0
		.amdhsa_exception_int_div_zero 0
	.end_amdhsa_kernel
	.section	.text._ZN7rocprim17ROCPRIM_400000_NS6detail17trampoline_kernelINS0_14default_configENS1_38merge_sort_block_merge_config_selectorIdNS0_10empty_typeEEEZZNS1_27merge_sort_block_merge_implIS3_PdPS5_jNS1_19radix_merge_compareILb0ELb0EdNS0_19identity_decomposerEEEEE10hipError_tT0_T1_T2_jT3_P12ihipStream_tbPNSt15iterator_traitsISE_E10value_typeEPNSK_ISF_E10value_typeEPSG_NS1_7vsmem_tEENKUlT_SE_SF_SG_E_clIS8_S8_S9_S9_EESD_ST_SE_SF_SG_EUlST_E_NS1_11comp_targetILNS1_3genE2ELNS1_11target_archE906ELNS1_3gpuE6ELNS1_3repE0EEENS1_48merge_mergepath_partition_config_static_selectorELNS0_4arch9wavefront6targetE0EEEvSF_,"axG",@progbits,_ZN7rocprim17ROCPRIM_400000_NS6detail17trampoline_kernelINS0_14default_configENS1_38merge_sort_block_merge_config_selectorIdNS0_10empty_typeEEEZZNS1_27merge_sort_block_merge_implIS3_PdPS5_jNS1_19radix_merge_compareILb0ELb0EdNS0_19identity_decomposerEEEEE10hipError_tT0_T1_T2_jT3_P12ihipStream_tbPNSt15iterator_traitsISE_E10value_typeEPNSK_ISF_E10value_typeEPSG_NS1_7vsmem_tEENKUlT_SE_SF_SG_E_clIS8_S8_S9_S9_EESD_ST_SE_SF_SG_EUlST_E_NS1_11comp_targetILNS1_3genE2ELNS1_11target_archE906ELNS1_3gpuE6ELNS1_3repE0EEENS1_48merge_mergepath_partition_config_static_selectorELNS0_4arch9wavefront6targetE0EEEvSF_,comdat
.Lfunc_end1568:
	.size	_ZN7rocprim17ROCPRIM_400000_NS6detail17trampoline_kernelINS0_14default_configENS1_38merge_sort_block_merge_config_selectorIdNS0_10empty_typeEEEZZNS1_27merge_sort_block_merge_implIS3_PdPS5_jNS1_19radix_merge_compareILb0ELb0EdNS0_19identity_decomposerEEEEE10hipError_tT0_T1_T2_jT3_P12ihipStream_tbPNSt15iterator_traitsISE_E10value_typeEPNSK_ISF_E10value_typeEPSG_NS1_7vsmem_tEENKUlT_SE_SF_SG_E_clIS8_S8_S9_S9_EESD_ST_SE_SF_SG_EUlST_E_NS1_11comp_targetILNS1_3genE2ELNS1_11target_archE906ELNS1_3gpuE6ELNS1_3repE0EEENS1_48merge_mergepath_partition_config_static_selectorELNS0_4arch9wavefront6targetE0EEEvSF_, .Lfunc_end1568-_ZN7rocprim17ROCPRIM_400000_NS6detail17trampoline_kernelINS0_14default_configENS1_38merge_sort_block_merge_config_selectorIdNS0_10empty_typeEEEZZNS1_27merge_sort_block_merge_implIS3_PdPS5_jNS1_19radix_merge_compareILb0ELb0EdNS0_19identity_decomposerEEEEE10hipError_tT0_T1_T2_jT3_P12ihipStream_tbPNSt15iterator_traitsISE_E10value_typeEPNSK_ISF_E10value_typeEPSG_NS1_7vsmem_tEENKUlT_SE_SF_SG_E_clIS8_S8_S9_S9_EESD_ST_SE_SF_SG_EUlST_E_NS1_11comp_targetILNS1_3genE2ELNS1_11target_archE906ELNS1_3gpuE6ELNS1_3repE0EEENS1_48merge_mergepath_partition_config_static_selectorELNS0_4arch9wavefront6targetE0EEEvSF_
                                        ; -- End function
	.set _ZN7rocprim17ROCPRIM_400000_NS6detail17trampoline_kernelINS0_14default_configENS1_38merge_sort_block_merge_config_selectorIdNS0_10empty_typeEEEZZNS1_27merge_sort_block_merge_implIS3_PdPS5_jNS1_19radix_merge_compareILb0ELb0EdNS0_19identity_decomposerEEEEE10hipError_tT0_T1_T2_jT3_P12ihipStream_tbPNSt15iterator_traitsISE_E10value_typeEPNSK_ISF_E10value_typeEPSG_NS1_7vsmem_tEENKUlT_SE_SF_SG_E_clIS8_S8_S9_S9_EESD_ST_SE_SF_SG_EUlST_E_NS1_11comp_targetILNS1_3genE2ELNS1_11target_archE906ELNS1_3gpuE6ELNS1_3repE0EEENS1_48merge_mergepath_partition_config_static_selectorELNS0_4arch9wavefront6targetE0EEEvSF_.num_vgpr, 0
	.set _ZN7rocprim17ROCPRIM_400000_NS6detail17trampoline_kernelINS0_14default_configENS1_38merge_sort_block_merge_config_selectorIdNS0_10empty_typeEEEZZNS1_27merge_sort_block_merge_implIS3_PdPS5_jNS1_19radix_merge_compareILb0ELb0EdNS0_19identity_decomposerEEEEE10hipError_tT0_T1_T2_jT3_P12ihipStream_tbPNSt15iterator_traitsISE_E10value_typeEPNSK_ISF_E10value_typeEPSG_NS1_7vsmem_tEENKUlT_SE_SF_SG_E_clIS8_S8_S9_S9_EESD_ST_SE_SF_SG_EUlST_E_NS1_11comp_targetILNS1_3genE2ELNS1_11target_archE906ELNS1_3gpuE6ELNS1_3repE0EEENS1_48merge_mergepath_partition_config_static_selectorELNS0_4arch9wavefront6targetE0EEEvSF_.num_agpr, 0
	.set _ZN7rocprim17ROCPRIM_400000_NS6detail17trampoline_kernelINS0_14default_configENS1_38merge_sort_block_merge_config_selectorIdNS0_10empty_typeEEEZZNS1_27merge_sort_block_merge_implIS3_PdPS5_jNS1_19radix_merge_compareILb0ELb0EdNS0_19identity_decomposerEEEEE10hipError_tT0_T1_T2_jT3_P12ihipStream_tbPNSt15iterator_traitsISE_E10value_typeEPNSK_ISF_E10value_typeEPSG_NS1_7vsmem_tEENKUlT_SE_SF_SG_E_clIS8_S8_S9_S9_EESD_ST_SE_SF_SG_EUlST_E_NS1_11comp_targetILNS1_3genE2ELNS1_11target_archE906ELNS1_3gpuE6ELNS1_3repE0EEENS1_48merge_mergepath_partition_config_static_selectorELNS0_4arch9wavefront6targetE0EEEvSF_.numbered_sgpr, 0
	.set _ZN7rocprim17ROCPRIM_400000_NS6detail17trampoline_kernelINS0_14default_configENS1_38merge_sort_block_merge_config_selectorIdNS0_10empty_typeEEEZZNS1_27merge_sort_block_merge_implIS3_PdPS5_jNS1_19radix_merge_compareILb0ELb0EdNS0_19identity_decomposerEEEEE10hipError_tT0_T1_T2_jT3_P12ihipStream_tbPNSt15iterator_traitsISE_E10value_typeEPNSK_ISF_E10value_typeEPSG_NS1_7vsmem_tEENKUlT_SE_SF_SG_E_clIS8_S8_S9_S9_EESD_ST_SE_SF_SG_EUlST_E_NS1_11comp_targetILNS1_3genE2ELNS1_11target_archE906ELNS1_3gpuE6ELNS1_3repE0EEENS1_48merge_mergepath_partition_config_static_selectorELNS0_4arch9wavefront6targetE0EEEvSF_.num_named_barrier, 0
	.set _ZN7rocprim17ROCPRIM_400000_NS6detail17trampoline_kernelINS0_14default_configENS1_38merge_sort_block_merge_config_selectorIdNS0_10empty_typeEEEZZNS1_27merge_sort_block_merge_implIS3_PdPS5_jNS1_19radix_merge_compareILb0ELb0EdNS0_19identity_decomposerEEEEE10hipError_tT0_T1_T2_jT3_P12ihipStream_tbPNSt15iterator_traitsISE_E10value_typeEPNSK_ISF_E10value_typeEPSG_NS1_7vsmem_tEENKUlT_SE_SF_SG_E_clIS8_S8_S9_S9_EESD_ST_SE_SF_SG_EUlST_E_NS1_11comp_targetILNS1_3genE2ELNS1_11target_archE906ELNS1_3gpuE6ELNS1_3repE0EEENS1_48merge_mergepath_partition_config_static_selectorELNS0_4arch9wavefront6targetE0EEEvSF_.private_seg_size, 0
	.set _ZN7rocprim17ROCPRIM_400000_NS6detail17trampoline_kernelINS0_14default_configENS1_38merge_sort_block_merge_config_selectorIdNS0_10empty_typeEEEZZNS1_27merge_sort_block_merge_implIS3_PdPS5_jNS1_19radix_merge_compareILb0ELb0EdNS0_19identity_decomposerEEEEE10hipError_tT0_T1_T2_jT3_P12ihipStream_tbPNSt15iterator_traitsISE_E10value_typeEPNSK_ISF_E10value_typeEPSG_NS1_7vsmem_tEENKUlT_SE_SF_SG_E_clIS8_S8_S9_S9_EESD_ST_SE_SF_SG_EUlST_E_NS1_11comp_targetILNS1_3genE2ELNS1_11target_archE906ELNS1_3gpuE6ELNS1_3repE0EEENS1_48merge_mergepath_partition_config_static_selectorELNS0_4arch9wavefront6targetE0EEEvSF_.uses_vcc, 0
	.set _ZN7rocprim17ROCPRIM_400000_NS6detail17trampoline_kernelINS0_14default_configENS1_38merge_sort_block_merge_config_selectorIdNS0_10empty_typeEEEZZNS1_27merge_sort_block_merge_implIS3_PdPS5_jNS1_19radix_merge_compareILb0ELb0EdNS0_19identity_decomposerEEEEE10hipError_tT0_T1_T2_jT3_P12ihipStream_tbPNSt15iterator_traitsISE_E10value_typeEPNSK_ISF_E10value_typeEPSG_NS1_7vsmem_tEENKUlT_SE_SF_SG_E_clIS8_S8_S9_S9_EESD_ST_SE_SF_SG_EUlST_E_NS1_11comp_targetILNS1_3genE2ELNS1_11target_archE906ELNS1_3gpuE6ELNS1_3repE0EEENS1_48merge_mergepath_partition_config_static_selectorELNS0_4arch9wavefront6targetE0EEEvSF_.uses_flat_scratch, 0
	.set _ZN7rocprim17ROCPRIM_400000_NS6detail17trampoline_kernelINS0_14default_configENS1_38merge_sort_block_merge_config_selectorIdNS0_10empty_typeEEEZZNS1_27merge_sort_block_merge_implIS3_PdPS5_jNS1_19radix_merge_compareILb0ELb0EdNS0_19identity_decomposerEEEEE10hipError_tT0_T1_T2_jT3_P12ihipStream_tbPNSt15iterator_traitsISE_E10value_typeEPNSK_ISF_E10value_typeEPSG_NS1_7vsmem_tEENKUlT_SE_SF_SG_E_clIS8_S8_S9_S9_EESD_ST_SE_SF_SG_EUlST_E_NS1_11comp_targetILNS1_3genE2ELNS1_11target_archE906ELNS1_3gpuE6ELNS1_3repE0EEENS1_48merge_mergepath_partition_config_static_selectorELNS0_4arch9wavefront6targetE0EEEvSF_.has_dyn_sized_stack, 0
	.set _ZN7rocprim17ROCPRIM_400000_NS6detail17trampoline_kernelINS0_14default_configENS1_38merge_sort_block_merge_config_selectorIdNS0_10empty_typeEEEZZNS1_27merge_sort_block_merge_implIS3_PdPS5_jNS1_19radix_merge_compareILb0ELb0EdNS0_19identity_decomposerEEEEE10hipError_tT0_T1_T2_jT3_P12ihipStream_tbPNSt15iterator_traitsISE_E10value_typeEPNSK_ISF_E10value_typeEPSG_NS1_7vsmem_tEENKUlT_SE_SF_SG_E_clIS8_S8_S9_S9_EESD_ST_SE_SF_SG_EUlST_E_NS1_11comp_targetILNS1_3genE2ELNS1_11target_archE906ELNS1_3gpuE6ELNS1_3repE0EEENS1_48merge_mergepath_partition_config_static_selectorELNS0_4arch9wavefront6targetE0EEEvSF_.has_recursion, 0
	.set _ZN7rocprim17ROCPRIM_400000_NS6detail17trampoline_kernelINS0_14default_configENS1_38merge_sort_block_merge_config_selectorIdNS0_10empty_typeEEEZZNS1_27merge_sort_block_merge_implIS3_PdPS5_jNS1_19radix_merge_compareILb0ELb0EdNS0_19identity_decomposerEEEEE10hipError_tT0_T1_T2_jT3_P12ihipStream_tbPNSt15iterator_traitsISE_E10value_typeEPNSK_ISF_E10value_typeEPSG_NS1_7vsmem_tEENKUlT_SE_SF_SG_E_clIS8_S8_S9_S9_EESD_ST_SE_SF_SG_EUlST_E_NS1_11comp_targetILNS1_3genE2ELNS1_11target_archE906ELNS1_3gpuE6ELNS1_3repE0EEENS1_48merge_mergepath_partition_config_static_selectorELNS0_4arch9wavefront6targetE0EEEvSF_.has_indirect_call, 0
	.section	.AMDGPU.csdata,"",@progbits
; Kernel info:
; codeLenInByte = 0
; TotalNumSgprs: 0
; NumVgprs: 0
; ScratchSize: 0
; MemoryBound: 0
; FloatMode: 240
; IeeeMode: 1
; LDSByteSize: 0 bytes/workgroup (compile time only)
; SGPRBlocks: 0
; VGPRBlocks: 0
; NumSGPRsForWavesPerEU: 1
; NumVGPRsForWavesPerEU: 1
; NamedBarCnt: 0
; Occupancy: 16
; WaveLimiterHint : 0
; COMPUTE_PGM_RSRC2:SCRATCH_EN: 0
; COMPUTE_PGM_RSRC2:USER_SGPR: 2
; COMPUTE_PGM_RSRC2:TRAP_HANDLER: 0
; COMPUTE_PGM_RSRC2:TGID_X_EN: 1
; COMPUTE_PGM_RSRC2:TGID_Y_EN: 0
; COMPUTE_PGM_RSRC2:TGID_Z_EN: 0
; COMPUTE_PGM_RSRC2:TIDIG_COMP_CNT: 0
	.section	.text._ZN7rocprim17ROCPRIM_400000_NS6detail17trampoline_kernelINS0_14default_configENS1_38merge_sort_block_merge_config_selectorIdNS0_10empty_typeEEEZZNS1_27merge_sort_block_merge_implIS3_PdPS5_jNS1_19radix_merge_compareILb0ELb0EdNS0_19identity_decomposerEEEEE10hipError_tT0_T1_T2_jT3_P12ihipStream_tbPNSt15iterator_traitsISE_E10value_typeEPNSK_ISF_E10value_typeEPSG_NS1_7vsmem_tEENKUlT_SE_SF_SG_E_clIS8_S8_S9_S9_EESD_ST_SE_SF_SG_EUlST_E_NS1_11comp_targetILNS1_3genE9ELNS1_11target_archE1100ELNS1_3gpuE3ELNS1_3repE0EEENS1_48merge_mergepath_partition_config_static_selectorELNS0_4arch9wavefront6targetE0EEEvSF_,"axG",@progbits,_ZN7rocprim17ROCPRIM_400000_NS6detail17trampoline_kernelINS0_14default_configENS1_38merge_sort_block_merge_config_selectorIdNS0_10empty_typeEEEZZNS1_27merge_sort_block_merge_implIS3_PdPS5_jNS1_19radix_merge_compareILb0ELb0EdNS0_19identity_decomposerEEEEE10hipError_tT0_T1_T2_jT3_P12ihipStream_tbPNSt15iterator_traitsISE_E10value_typeEPNSK_ISF_E10value_typeEPSG_NS1_7vsmem_tEENKUlT_SE_SF_SG_E_clIS8_S8_S9_S9_EESD_ST_SE_SF_SG_EUlST_E_NS1_11comp_targetILNS1_3genE9ELNS1_11target_archE1100ELNS1_3gpuE3ELNS1_3repE0EEENS1_48merge_mergepath_partition_config_static_selectorELNS0_4arch9wavefront6targetE0EEEvSF_,comdat
	.protected	_ZN7rocprim17ROCPRIM_400000_NS6detail17trampoline_kernelINS0_14default_configENS1_38merge_sort_block_merge_config_selectorIdNS0_10empty_typeEEEZZNS1_27merge_sort_block_merge_implIS3_PdPS5_jNS1_19radix_merge_compareILb0ELb0EdNS0_19identity_decomposerEEEEE10hipError_tT0_T1_T2_jT3_P12ihipStream_tbPNSt15iterator_traitsISE_E10value_typeEPNSK_ISF_E10value_typeEPSG_NS1_7vsmem_tEENKUlT_SE_SF_SG_E_clIS8_S8_S9_S9_EESD_ST_SE_SF_SG_EUlST_E_NS1_11comp_targetILNS1_3genE9ELNS1_11target_archE1100ELNS1_3gpuE3ELNS1_3repE0EEENS1_48merge_mergepath_partition_config_static_selectorELNS0_4arch9wavefront6targetE0EEEvSF_ ; -- Begin function _ZN7rocprim17ROCPRIM_400000_NS6detail17trampoline_kernelINS0_14default_configENS1_38merge_sort_block_merge_config_selectorIdNS0_10empty_typeEEEZZNS1_27merge_sort_block_merge_implIS3_PdPS5_jNS1_19radix_merge_compareILb0ELb0EdNS0_19identity_decomposerEEEEE10hipError_tT0_T1_T2_jT3_P12ihipStream_tbPNSt15iterator_traitsISE_E10value_typeEPNSK_ISF_E10value_typeEPSG_NS1_7vsmem_tEENKUlT_SE_SF_SG_E_clIS8_S8_S9_S9_EESD_ST_SE_SF_SG_EUlST_E_NS1_11comp_targetILNS1_3genE9ELNS1_11target_archE1100ELNS1_3gpuE3ELNS1_3repE0EEENS1_48merge_mergepath_partition_config_static_selectorELNS0_4arch9wavefront6targetE0EEEvSF_
	.globl	_ZN7rocprim17ROCPRIM_400000_NS6detail17trampoline_kernelINS0_14default_configENS1_38merge_sort_block_merge_config_selectorIdNS0_10empty_typeEEEZZNS1_27merge_sort_block_merge_implIS3_PdPS5_jNS1_19radix_merge_compareILb0ELb0EdNS0_19identity_decomposerEEEEE10hipError_tT0_T1_T2_jT3_P12ihipStream_tbPNSt15iterator_traitsISE_E10value_typeEPNSK_ISF_E10value_typeEPSG_NS1_7vsmem_tEENKUlT_SE_SF_SG_E_clIS8_S8_S9_S9_EESD_ST_SE_SF_SG_EUlST_E_NS1_11comp_targetILNS1_3genE9ELNS1_11target_archE1100ELNS1_3gpuE3ELNS1_3repE0EEENS1_48merge_mergepath_partition_config_static_selectorELNS0_4arch9wavefront6targetE0EEEvSF_
	.p2align	8
	.type	_ZN7rocprim17ROCPRIM_400000_NS6detail17trampoline_kernelINS0_14default_configENS1_38merge_sort_block_merge_config_selectorIdNS0_10empty_typeEEEZZNS1_27merge_sort_block_merge_implIS3_PdPS5_jNS1_19radix_merge_compareILb0ELb0EdNS0_19identity_decomposerEEEEE10hipError_tT0_T1_T2_jT3_P12ihipStream_tbPNSt15iterator_traitsISE_E10value_typeEPNSK_ISF_E10value_typeEPSG_NS1_7vsmem_tEENKUlT_SE_SF_SG_E_clIS8_S8_S9_S9_EESD_ST_SE_SF_SG_EUlST_E_NS1_11comp_targetILNS1_3genE9ELNS1_11target_archE1100ELNS1_3gpuE3ELNS1_3repE0EEENS1_48merge_mergepath_partition_config_static_selectorELNS0_4arch9wavefront6targetE0EEEvSF_,@function
_ZN7rocprim17ROCPRIM_400000_NS6detail17trampoline_kernelINS0_14default_configENS1_38merge_sort_block_merge_config_selectorIdNS0_10empty_typeEEEZZNS1_27merge_sort_block_merge_implIS3_PdPS5_jNS1_19radix_merge_compareILb0ELb0EdNS0_19identity_decomposerEEEEE10hipError_tT0_T1_T2_jT3_P12ihipStream_tbPNSt15iterator_traitsISE_E10value_typeEPNSK_ISF_E10value_typeEPSG_NS1_7vsmem_tEENKUlT_SE_SF_SG_E_clIS8_S8_S9_S9_EESD_ST_SE_SF_SG_EUlST_E_NS1_11comp_targetILNS1_3genE9ELNS1_11target_archE1100ELNS1_3gpuE3ELNS1_3repE0EEENS1_48merge_mergepath_partition_config_static_selectorELNS0_4arch9wavefront6targetE0EEEvSF_: ; @_ZN7rocprim17ROCPRIM_400000_NS6detail17trampoline_kernelINS0_14default_configENS1_38merge_sort_block_merge_config_selectorIdNS0_10empty_typeEEEZZNS1_27merge_sort_block_merge_implIS3_PdPS5_jNS1_19radix_merge_compareILb0ELb0EdNS0_19identity_decomposerEEEEE10hipError_tT0_T1_T2_jT3_P12ihipStream_tbPNSt15iterator_traitsISE_E10value_typeEPNSK_ISF_E10value_typeEPSG_NS1_7vsmem_tEENKUlT_SE_SF_SG_E_clIS8_S8_S9_S9_EESD_ST_SE_SF_SG_EUlST_E_NS1_11comp_targetILNS1_3genE9ELNS1_11target_archE1100ELNS1_3gpuE3ELNS1_3repE0EEENS1_48merge_mergepath_partition_config_static_selectorELNS0_4arch9wavefront6targetE0EEEvSF_
; %bb.0:
	.section	.rodata,"a",@progbits
	.p2align	6, 0x0
	.amdhsa_kernel _ZN7rocprim17ROCPRIM_400000_NS6detail17trampoline_kernelINS0_14default_configENS1_38merge_sort_block_merge_config_selectorIdNS0_10empty_typeEEEZZNS1_27merge_sort_block_merge_implIS3_PdPS5_jNS1_19radix_merge_compareILb0ELb0EdNS0_19identity_decomposerEEEEE10hipError_tT0_T1_T2_jT3_P12ihipStream_tbPNSt15iterator_traitsISE_E10value_typeEPNSK_ISF_E10value_typeEPSG_NS1_7vsmem_tEENKUlT_SE_SF_SG_E_clIS8_S8_S9_S9_EESD_ST_SE_SF_SG_EUlST_E_NS1_11comp_targetILNS1_3genE9ELNS1_11target_archE1100ELNS1_3gpuE3ELNS1_3repE0EEENS1_48merge_mergepath_partition_config_static_selectorELNS0_4arch9wavefront6targetE0EEEvSF_
		.amdhsa_group_segment_fixed_size 0
		.amdhsa_private_segment_fixed_size 0
		.amdhsa_kernarg_size 40
		.amdhsa_user_sgpr_count 2
		.amdhsa_user_sgpr_dispatch_ptr 0
		.amdhsa_user_sgpr_queue_ptr 0
		.amdhsa_user_sgpr_kernarg_segment_ptr 1
		.amdhsa_user_sgpr_dispatch_id 0
		.amdhsa_user_sgpr_kernarg_preload_length 0
		.amdhsa_user_sgpr_kernarg_preload_offset 0
		.amdhsa_user_sgpr_private_segment_size 0
		.amdhsa_wavefront_size32 1
		.amdhsa_uses_dynamic_stack 0
		.amdhsa_enable_private_segment 0
		.amdhsa_system_sgpr_workgroup_id_x 1
		.amdhsa_system_sgpr_workgroup_id_y 0
		.amdhsa_system_sgpr_workgroup_id_z 0
		.amdhsa_system_sgpr_workgroup_info 0
		.amdhsa_system_vgpr_workitem_id 0
		.amdhsa_next_free_vgpr 1
		.amdhsa_next_free_sgpr 1
		.amdhsa_named_barrier_count 0
		.amdhsa_reserve_vcc 0
		.amdhsa_float_round_mode_32 0
		.amdhsa_float_round_mode_16_64 0
		.amdhsa_float_denorm_mode_32 3
		.amdhsa_float_denorm_mode_16_64 3
		.amdhsa_fp16_overflow 0
		.amdhsa_memory_ordered 1
		.amdhsa_forward_progress 1
		.amdhsa_inst_pref_size 0
		.amdhsa_round_robin_scheduling 0
		.amdhsa_exception_fp_ieee_invalid_op 0
		.amdhsa_exception_fp_denorm_src 0
		.amdhsa_exception_fp_ieee_div_zero 0
		.amdhsa_exception_fp_ieee_overflow 0
		.amdhsa_exception_fp_ieee_underflow 0
		.amdhsa_exception_fp_ieee_inexact 0
		.amdhsa_exception_int_div_zero 0
	.end_amdhsa_kernel
	.section	.text._ZN7rocprim17ROCPRIM_400000_NS6detail17trampoline_kernelINS0_14default_configENS1_38merge_sort_block_merge_config_selectorIdNS0_10empty_typeEEEZZNS1_27merge_sort_block_merge_implIS3_PdPS5_jNS1_19radix_merge_compareILb0ELb0EdNS0_19identity_decomposerEEEEE10hipError_tT0_T1_T2_jT3_P12ihipStream_tbPNSt15iterator_traitsISE_E10value_typeEPNSK_ISF_E10value_typeEPSG_NS1_7vsmem_tEENKUlT_SE_SF_SG_E_clIS8_S8_S9_S9_EESD_ST_SE_SF_SG_EUlST_E_NS1_11comp_targetILNS1_3genE9ELNS1_11target_archE1100ELNS1_3gpuE3ELNS1_3repE0EEENS1_48merge_mergepath_partition_config_static_selectorELNS0_4arch9wavefront6targetE0EEEvSF_,"axG",@progbits,_ZN7rocprim17ROCPRIM_400000_NS6detail17trampoline_kernelINS0_14default_configENS1_38merge_sort_block_merge_config_selectorIdNS0_10empty_typeEEEZZNS1_27merge_sort_block_merge_implIS3_PdPS5_jNS1_19radix_merge_compareILb0ELb0EdNS0_19identity_decomposerEEEEE10hipError_tT0_T1_T2_jT3_P12ihipStream_tbPNSt15iterator_traitsISE_E10value_typeEPNSK_ISF_E10value_typeEPSG_NS1_7vsmem_tEENKUlT_SE_SF_SG_E_clIS8_S8_S9_S9_EESD_ST_SE_SF_SG_EUlST_E_NS1_11comp_targetILNS1_3genE9ELNS1_11target_archE1100ELNS1_3gpuE3ELNS1_3repE0EEENS1_48merge_mergepath_partition_config_static_selectorELNS0_4arch9wavefront6targetE0EEEvSF_,comdat
.Lfunc_end1569:
	.size	_ZN7rocprim17ROCPRIM_400000_NS6detail17trampoline_kernelINS0_14default_configENS1_38merge_sort_block_merge_config_selectorIdNS0_10empty_typeEEEZZNS1_27merge_sort_block_merge_implIS3_PdPS5_jNS1_19radix_merge_compareILb0ELb0EdNS0_19identity_decomposerEEEEE10hipError_tT0_T1_T2_jT3_P12ihipStream_tbPNSt15iterator_traitsISE_E10value_typeEPNSK_ISF_E10value_typeEPSG_NS1_7vsmem_tEENKUlT_SE_SF_SG_E_clIS8_S8_S9_S9_EESD_ST_SE_SF_SG_EUlST_E_NS1_11comp_targetILNS1_3genE9ELNS1_11target_archE1100ELNS1_3gpuE3ELNS1_3repE0EEENS1_48merge_mergepath_partition_config_static_selectorELNS0_4arch9wavefront6targetE0EEEvSF_, .Lfunc_end1569-_ZN7rocprim17ROCPRIM_400000_NS6detail17trampoline_kernelINS0_14default_configENS1_38merge_sort_block_merge_config_selectorIdNS0_10empty_typeEEEZZNS1_27merge_sort_block_merge_implIS3_PdPS5_jNS1_19radix_merge_compareILb0ELb0EdNS0_19identity_decomposerEEEEE10hipError_tT0_T1_T2_jT3_P12ihipStream_tbPNSt15iterator_traitsISE_E10value_typeEPNSK_ISF_E10value_typeEPSG_NS1_7vsmem_tEENKUlT_SE_SF_SG_E_clIS8_S8_S9_S9_EESD_ST_SE_SF_SG_EUlST_E_NS1_11comp_targetILNS1_3genE9ELNS1_11target_archE1100ELNS1_3gpuE3ELNS1_3repE0EEENS1_48merge_mergepath_partition_config_static_selectorELNS0_4arch9wavefront6targetE0EEEvSF_
                                        ; -- End function
	.set _ZN7rocprim17ROCPRIM_400000_NS6detail17trampoline_kernelINS0_14default_configENS1_38merge_sort_block_merge_config_selectorIdNS0_10empty_typeEEEZZNS1_27merge_sort_block_merge_implIS3_PdPS5_jNS1_19radix_merge_compareILb0ELb0EdNS0_19identity_decomposerEEEEE10hipError_tT0_T1_T2_jT3_P12ihipStream_tbPNSt15iterator_traitsISE_E10value_typeEPNSK_ISF_E10value_typeEPSG_NS1_7vsmem_tEENKUlT_SE_SF_SG_E_clIS8_S8_S9_S9_EESD_ST_SE_SF_SG_EUlST_E_NS1_11comp_targetILNS1_3genE9ELNS1_11target_archE1100ELNS1_3gpuE3ELNS1_3repE0EEENS1_48merge_mergepath_partition_config_static_selectorELNS0_4arch9wavefront6targetE0EEEvSF_.num_vgpr, 0
	.set _ZN7rocprim17ROCPRIM_400000_NS6detail17trampoline_kernelINS0_14default_configENS1_38merge_sort_block_merge_config_selectorIdNS0_10empty_typeEEEZZNS1_27merge_sort_block_merge_implIS3_PdPS5_jNS1_19radix_merge_compareILb0ELb0EdNS0_19identity_decomposerEEEEE10hipError_tT0_T1_T2_jT3_P12ihipStream_tbPNSt15iterator_traitsISE_E10value_typeEPNSK_ISF_E10value_typeEPSG_NS1_7vsmem_tEENKUlT_SE_SF_SG_E_clIS8_S8_S9_S9_EESD_ST_SE_SF_SG_EUlST_E_NS1_11comp_targetILNS1_3genE9ELNS1_11target_archE1100ELNS1_3gpuE3ELNS1_3repE0EEENS1_48merge_mergepath_partition_config_static_selectorELNS0_4arch9wavefront6targetE0EEEvSF_.num_agpr, 0
	.set _ZN7rocprim17ROCPRIM_400000_NS6detail17trampoline_kernelINS0_14default_configENS1_38merge_sort_block_merge_config_selectorIdNS0_10empty_typeEEEZZNS1_27merge_sort_block_merge_implIS3_PdPS5_jNS1_19radix_merge_compareILb0ELb0EdNS0_19identity_decomposerEEEEE10hipError_tT0_T1_T2_jT3_P12ihipStream_tbPNSt15iterator_traitsISE_E10value_typeEPNSK_ISF_E10value_typeEPSG_NS1_7vsmem_tEENKUlT_SE_SF_SG_E_clIS8_S8_S9_S9_EESD_ST_SE_SF_SG_EUlST_E_NS1_11comp_targetILNS1_3genE9ELNS1_11target_archE1100ELNS1_3gpuE3ELNS1_3repE0EEENS1_48merge_mergepath_partition_config_static_selectorELNS0_4arch9wavefront6targetE0EEEvSF_.numbered_sgpr, 0
	.set _ZN7rocprim17ROCPRIM_400000_NS6detail17trampoline_kernelINS0_14default_configENS1_38merge_sort_block_merge_config_selectorIdNS0_10empty_typeEEEZZNS1_27merge_sort_block_merge_implIS3_PdPS5_jNS1_19radix_merge_compareILb0ELb0EdNS0_19identity_decomposerEEEEE10hipError_tT0_T1_T2_jT3_P12ihipStream_tbPNSt15iterator_traitsISE_E10value_typeEPNSK_ISF_E10value_typeEPSG_NS1_7vsmem_tEENKUlT_SE_SF_SG_E_clIS8_S8_S9_S9_EESD_ST_SE_SF_SG_EUlST_E_NS1_11comp_targetILNS1_3genE9ELNS1_11target_archE1100ELNS1_3gpuE3ELNS1_3repE0EEENS1_48merge_mergepath_partition_config_static_selectorELNS0_4arch9wavefront6targetE0EEEvSF_.num_named_barrier, 0
	.set _ZN7rocprim17ROCPRIM_400000_NS6detail17trampoline_kernelINS0_14default_configENS1_38merge_sort_block_merge_config_selectorIdNS0_10empty_typeEEEZZNS1_27merge_sort_block_merge_implIS3_PdPS5_jNS1_19radix_merge_compareILb0ELb0EdNS0_19identity_decomposerEEEEE10hipError_tT0_T1_T2_jT3_P12ihipStream_tbPNSt15iterator_traitsISE_E10value_typeEPNSK_ISF_E10value_typeEPSG_NS1_7vsmem_tEENKUlT_SE_SF_SG_E_clIS8_S8_S9_S9_EESD_ST_SE_SF_SG_EUlST_E_NS1_11comp_targetILNS1_3genE9ELNS1_11target_archE1100ELNS1_3gpuE3ELNS1_3repE0EEENS1_48merge_mergepath_partition_config_static_selectorELNS0_4arch9wavefront6targetE0EEEvSF_.private_seg_size, 0
	.set _ZN7rocprim17ROCPRIM_400000_NS6detail17trampoline_kernelINS0_14default_configENS1_38merge_sort_block_merge_config_selectorIdNS0_10empty_typeEEEZZNS1_27merge_sort_block_merge_implIS3_PdPS5_jNS1_19radix_merge_compareILb0ELb0EdNS0_19identity_decomposerEEEEE10hipError_tT0_T1_T2_jT3_P12ihipStream_tbPNSt15iterator_traitsISE_E10value_typeEPNSK_ISF_E10value_typeEPSG_NS1_7vsmem_tEENKUlT_SE_SF_SG_E_clIS8_S8_S9_S9_EESD_ST_SE_SF_SG_EUlST_E_NS1_11comp_targetILNS1_3genE9ELNS1_11target_archE1100ELNS1_3gpuE3ELNS1_3repE0EEENS1_48merge_mergepath_partition_config_static_selectorELNS0_4arch9wavefront6targetE0EEEvSF_.uses_vcc, 0
	.set _ZN7rocprim17ROCPRIM_400000_NS6detail17trampoline_kernelINS0_14default_configENS1_38merge_sort_block_merge_config_selectorIdNS0_10empty_typeEEEZZNS1_27merge_sort_block_merge_implIS3_PdPS5_jNS1_19radix_merge_compareILb0ELb0EdNS0_19identity_decomposerEEEEE10hipError_tT0_T1_T2_jT3_P12ihipStream_tbPNSt15iterator_traitsISE_E10value_typeEPNSK_ISF_E10value_typeEPSG_NS1_7vsmem_tEENKUlT_SE_SF_SG_E_clIS8_S8_S9_S9_EESD_ST_SE_SF_SG_EUlST_E_NS1_11comp_targetILNS1_3genE9ELNS1_11target_archE1100ELNS1_3gpuE3ELNS1_3repE0EEENS1_48merge_mergepath_partition_config_static_selectorELNS0_4arch9wavefront6targetE0EEEvSF_.uses_flat_scratch, 0
	.set _ZN7rocprim17ROCPRIM_400000_NS6detail17trampoline_kernelINS0_14default_configENS1_38merge_sort_block_merge_config_selectorIdNS0_10empty_typeEEEZZNS1_27merge_sort_block_merge_implIS3_PdPS5_jNS1_19radix_merge_compareILb0ELb0EdNS0_19identity_decomposerEEEEE10hipError_tT0_T1_T2_jT3_P12ihipStream_tbPNSt15iterator_traitsISE_E10value_typeEPNSK_ISF_E10value_typeEPSG_NS1_7vsmem_tEENKUlT_SE_SF_SG_E_clIS8_S8_S9_S9_EESD_ST_SE_SF_SG_EUlST_E_NS1_11comp_targetILNS1_3genE9ELNS1_11target_archE1100ELNS1_3gpuE3ELNS1_3repE0EEENS1_48merge_mergepath_partition_config_static_selectorELNS0_4arch9wavefront6targetE0EEEvSF_.has_dyn_sized_stack, 0
	.set _ZN7rocprim17ROCPRIM_400000_NS6detail17trampoline_kernelINS0_14default_configENS1_38merge_sort_block_merge_config_selectorIdNS0_10empty_typeEEEZZNS1_27merge_sort_block_merge_implIS3_PdPS5_jNS1_19radix_merge_compareILb0ELb0EdNS0_19identity_decomposerEEEEE10hipError_tT0_T1_T2_jT3_P12ihipStream_tbPNSt15iterator_traitsISE_E10value_typeEPNSK_ISF_E10value_typeEPSG_NS1_7vsmem_tEENKUlT_SE_SF_SG_E_clIS8_S8_S9_S9_EESD_ST_SE_SF_SG_EUlST_E_NS1_11comp_targetILNS1_3genE9ELNS1_11target_archE1100ELNS1_3gpuE3ELNS1_3repE0EEENS1_48merge_mergepath_partition_config_static_selectorELNS0_4arch9wavefront6targetE0EEEvSF_.has_recursion, 0
	.set _ZN7rocprim17ROCPRIM_400000_NS6detail17trampoline_kernelINS0_14default_configENS1_38merge_sort_block_merge_config_selectorIdNS0_10empty_typeEEEZZNS1_27merge_sort_block_merge_implIS3_PdPS5_jNS1_19radix_merge_compareILb0ELb0EdNS0_19identity_decomposerEEEEE10hipError_tT0_T1_T2_jT3_P12ihipStream_tbPNSt15iterator_traitsISE_E10value_typeEPNSK_ISF_E10value_typeEPSG_NS1_7vsmem_tEENKUlT_SE_SF_SG_E_clIS8_S8_S9_S9_EESD_ST_SE_SF_SG_EUlST_E_NS1_11comp_targetILNS1_3genE9ELNS1_11target_archE1100ELNS1_3gpuE3ELNS1_3repE0EEENS1_48merge_mergepath_partition_config_static_selectorELNS0_4arch9wavefront6targetE0EEEvSF_.has_indirect_call, 0
	.section	.AMDGPU.csdata,"",@progbits
; Kernel info:
; codeLenInByte = 0
; TotalNumSgprs: 0
; NumVgprs: 0
; ScratchSize: 0
; MemoryBound: 0
; FloatMode: 240
; IeeeMode: 1
; LDSByteSize: 0 bytes/workgroup (compile time only)
; SGPRBlocks: 0
; VGPRBlocks: 0
; NumSGPRsForWavesPerEU: 1
; NumVGPRsForWavesPerEU: 1
; NamedBarCnt: 0
; Occupancy: 16
; WaveLimiterHint : 0
; COMPUTE_PGM_RSRC2:SCRATCH_EN: 0
; COMPUTE_PGM_RSRC2:USER_SGPR: 2
; COMPUTE_PGM_RSRC2:TRAP_HANDLER: 0
; COMPUTE_PGM_RSRC2:TGID_X_EN: 1
; COMPUTE_PGM_RSRC2:TGID_Y_EN: 0
; COMPUTE_PGM_RSRC2:TGID_Z_EN: 0
; COMPUTE_PGM_RSRC2:TIDIG_COMP_CNT: 0
	.section	.text._ZN7rocprim17ROCPRIM_400000_NS6detail17trampoline_kernelINS0_14default_configENS1_38merge_sort_block_merge_config_selectorIdNS0_10empty_typeEEEZZNS1_27merge_sort_block_merge_implIS3_PdPS5_jNS1_19radix_merge_compareILb0ELb0EdNS0_19identity_decomposerEEEEE10hipError_tT0_T1_T2_jT3_P12ihipStream_tbPNSt15iterator_traitsISE_E10value_typeEPNSK_ISF_E10value_typeEPSG_NS1_7vsmem_tEENKUlT_SE_SF_SG_E_clIS8_S8_S9_S9_EESD_ST_SE_SF_SG_EUlST_E_NS1_11comp_targetILNS1_3genE8ELNS1_11target_archE1030ELNS1_3gpuE2ELNS1_3repE0EEENS1_48merge_mergepath_partition_config_static_selectorELNS0_4arch9wavefront6targetE0EEEvSF_,"axG",@progbits,_ZN7rocprim17ROCPRIM_400000_NS6detail17trampoline_kernelINS0_14default_configENS1_38merge_sort_block_merge_config_selectorIdNS0_10empty_typeEEEZZNS1_27merge_sort_block_merge_implIS3_PdPS5_jNS1_19radix_merge_compareILb0ELb0EdNS0_19identity_decomposerEEEEE10hipError_tT0_T1_T2_jT3_P12ihipStream_tbPNSt15iterator_traitsISE_E10value_typeEPNSK_ISF_E10value_typeEPSG_NS1_7vsmem_tEENKUlT_SE_SF_SG_E_clIS8_S8_S9_S9_EESD_ST_SE_SF_SG_EUlST_E_NS1_11comp_targetILNS1_3genE8ELNS1_11target_archE1030ELNS1_3gpuE2ELNS1_3repE0EEENS1_48merge_mergepath_partition_config_static_selectorELNS0_4arch9wavefront6targetE0EEEvSF_,comdat
	.protected	_ZN7rocprim17ROCPRIM_400000_NS6detail17trampoline_kernelINS0_14default_configENS1_38merge_sort_block_merge_config_selectorIdNS0_10empty_typeEEEZZNS1_27merge_sort_block_merge_implIS3_PdPS5_jNS1_19radix_merge_compareILb0ELb0EdNS0_19identity_decomposerEEEEE10hipError_tT0_T1_T2_jT3_P12ihipStream_tbPNSt15iterator_traitsISE_E10value_typeEPNSK_ISF_E10value_typeEPSG_NS1_7vsmem_tEENKUlT_SE_SF_SG_E_clIS8_S8_S9_S9_EESD_ST_SE_SF_SG_EUlST_E_NS1_11comp_targetILNS1_3genE8ELNS1_11target_archE1030ELNS1_3gpuE2ELNS1_3repE0EEENS1_48merge_mergepath_partition_config_static_selectorELNS0_4arch9wavefront6targetE0EEEvSF_ ; -- Begin function _ZN7rocprim17ROCPRIM_400000_NS6detail17trampoline_kernelINS0_14default_configENS1_38merge_sort_block_merge_config_selectorIdNS0_10empty_typeEEEZZNS1_27merge_sort_block_merge_implIS3_PdPS5_jNS1_19radix_merge_compareILb0ELb0EdNS0_19identity_decomposerEEEEE10hipError_tT0_T1_T2_jT3_P12ihipStream_tbPNSt15iterator_traitsISE_E10value_typeEPNSK_ISF_E10value_typeEPSG_NS1_7vsmem_tEENKUlT_SE_SF_SG_E_clIS8_S8_S9_S9_EESD_ST_SE_SF_SG_EUlST_E_NS1_11comp_targetILNS1_3genE8ELNS1_11target_archE1030ELNS1_3gpuE2ELNS1_3repE0EEENS1_48merge_mergepath_partition_config_static_selectorELNS0_4arch9wavefront6targetE0EEEvSF_
	.globl	_ZN7rocprim17ROCPRIM_400000_NS6detail17trampoline_kernelINS0_14default_configENS1_38merge_sort_block_merge_config_selectorIdNS0_10empty_typeEEEZZNS1_27merge_sort_block_merge_implIS3_PdPS5_jNS1_19radix_merge_compareILb0ELb0EdNS0_19identity_decomposerEEEEE10hipError_tT0_T1_T2_jT3_P12ihipStream_tbPNSt15iterator_traitsISE_E10value_typeEPNSK_ISF_E10value_typeEPSG_NS1_7vsmem_tEENKUlT_SE_SF_SG_E_clIS8_S8_S9_S9_EESD_ST_SE_SF_SG_EUlST_E_NS1_11comp_targetILNS1_3genE8ELNS1_11target_archE1030ELNS1_3gpuE2ELNS1_3repE0EEENS1_48merge_mergepath_partition_config_static_selectorELNS0_4arch9wavefront6targetE0EEEvSF_
	.p2align	8
	.type	_ZN7rocprim17ROCPRIM_400000_NS6detail17trampoline_kernelINS0_14default_configENS1_38merge_sort_block_merge_config_selectorIdNS0_10empty_typeEEEZZNS1_27merge_sort_block_merge_implIS3_PdPS5_jNS1_19radix_merge_compareILb0ELb0EdNS0_19identity_decomposerEEEEE10hipError_tT0_T1_T2_jT3_P12ihipStream_tbPNSt15iterator_traitsISE_E10value_typeEPNSK_ISF_E10value_typeEPSG_NS1_7vsmem_tEENKUlT_SE_SF_SG_E_clIS8_S8_S9_S9_EESD_ST_SE_SF_SG_EUlST_E_NS1_11comp_targetILNS1_3genE8ELNS1_11target_archE1030ELNS1_3gpuE2ELNS1_3repE0EEENS1_48merge_mergepath_partition_config_static_selectorELNS0_4arch9wavefront6targetE0EEEvSF_,@function
_ZN7rocprim17ROCPRIM_400000_NS6detail17trampoline_kernelINS0_14default_configENS1_38merge_sort_block_merge_config_selectorIdNS0_10empty_typeEEEZZNS1_27merge_sort_block_merge_implIS3_PdPS5_jNS1_19radix_merge_compareILb0ELb0EdNS0_19identity_decomposerEEEEE10hipError_tT0_T1_T2_jT3_P12ihipStream_tbPNSt15iterator_traitsISE_E10value_typeEPNSK_ISF_E10value_typeEPSG_NS1_7vsmem_tEENKUlT_SE_SF_SG_E_clIS8_S8_S9_S9_EESD_ST_SE_SF_SG_EUlST_E_NS1_11comp_targetILNS1_3genE8ELNS1_11target_archE1030ELNS1_3gpuE2ELNS1_3repE0EEENS1_48merge_mergepath_partition_config_static_selectorELNS0_4arch9wavefront6targetE0EEEvSF_: ; @_ZN7rocprim17ROCPRIM_400000_NS6detail17trampoline_kernelINS0_14default_configENS1_38merge_sort_block_merge_config_selectorIdNS0_10empty_typeEEEZZNS1_27merge_sort_block_merge_implIS3_PdPS5_jNS1_19radix_merge_compareILb0ELb0EdNS0_19identity_decomposerEEEEE10hipError_tT0_T1_T2_jT3_P12ihipStream_tbPNSt15iterator_traitsISE_E10value_typeEPNSK_ISF_E10value_typeEPSG_NS1_7vsmem_tEENKUlT_SE_SF_SG_E_clIS8_S8_S9_S9_EESD_ST_SE_SF_SG_EUlST_E_NS1_11comp_targetILNS1_3genE8ELNS1_11target_archE1030ELNS1_3gpuE2ELNS1_3repE0EEENS1_48merge_mergepath_partition_config_static_selectorELNS0_4arch9wavefront6targetE0EEEvSF_
; %bb.0:
	.section	.rodata,"a",@progbits
	.p2align	6, 0x0
	.amdhsa_kernel _ZN7rocprim17ROCPRIM_400000_NS6detail17trampoline_kernelINS0_14default_configENS1_38merge_sort_block_merge_config_selectorIdNS0_10empty_typeEEEZZNS1_27merge_sort_block_merge_implIS3_PdPS5_jNS1_19radix_merge_compareILb0ELb0EdNS0_19identity_decomposerEEEEE10hipError_tT0_T1_T2_jT3_P12ihipStream_tbPNSt15iterator_traitsISE_E10value_typeEPNSK_ISF_E10value_typeEPSG_NS1_7vsmem_tEENKUlT_SE_SF_SG_E_clIS8_S8_S9_S9_EESD_ST_SE_SF_SG_EUlST_E_NS1_11comp_targetILNS1_3genE8ELNS1_11target_archE1030ELNS1_3gpuE2ELNS1_3repE0EEENS1_48merge_mergepath_partition_config_static_selectorELNS0_4arch9wavefront6targetE0EEEvSF_
		.amdhsa_group_segment_fixed_size 0
		.amdhsa_private_segment_fixed_size 0
		.amdhsa_kernarg_size 40
		.amdhsa_user_sgpr_count 2
		.amdhsa_user_sgpr_dispatch_ptr 0
		.amdhsa_user_sgpr_queue_ptr 0
		.amdhsa_user_sgpr_kernarg_segment_ptr 1
		.amdhsa_user_sgpr_dispatch_id 0
		.amdhsa_user_sgpr_kernarg_preload_length 0
		.amdhsa_user_sgpr_kernarg_preload_offset 0
		.amdhsa_user_sgpr_private_segment_size 0
		.amdhsa_wavefront_size32 1
		.amdhsa_uses_dynamic_stack 0
		.amdhsa_enable_private_segment 0
		.amdhsa_system_sgpr_workgroup_id_x 1
		.amdhsa_system_sgpr_workgroup_id_y 0
		.amdhsa_system_sgpr_workgroup_id_z 0
		.amdhsa_system_sgpr_workgroup_info 0
		.amdhsa_system_vgpr_workitem_id 0
		.amdhsa_next_free_vgpr 1
		.amdhsa_next_free_sgpr 1
		.amdhsa_named_barrier_count 0
		.amdhsa_reserve_vcc 0
		.amdhsa_float_round_mode_32 0
		.amdhsa_float_round_mode_16_64 0
		.amdhsa_float_denorm_mode_32 3
		.amdhsa_float_denorm_mode_16_64 3
		.amdhsa_fp16_overflow 0
		.amdhsa_memory_ordered 1
		.amdhsa_forward_progress 1
		.amdhsa_inst_pref_size 0
		.amdhsa_round_robin_scheduling 0
		.amdhsa_exception_fp_ieee_invalid_op 0
		.amdhsa_exception_fp_denorm_src 0
		.amdhsa_exception_fp_ieee_div_zero 0
		.amdhsa_exception_fp_ieee_overflow 0
		.amdhsa_exception_fp_ieee_underflow 0
		.amdhsa_exception_fp_ieee_inexact 0
		.amdhsa_exception_int_div_zero 0
	.end_amdhsa_kernel
	.section	.text._ZN7rocprim17ROCPRIM_400000_NS6detail17trampoline_kernelINS0_14default_configENS1_38merge_sort_block_merge_config_selectorIdNS0_10empty_typeEEEZZNS1_27merge_sort_block_merge_implIS3_PdPS5_jNS1_19radix_merge_compareILb0ELb0EdNS0_19identity_decomposerEEEEE10hipError_tT0_T1_T2_jT3_P12ihipStream_tbPNSt15iterator_traitsISE_E10value_typeEPNSK_ISF_E10value_typeEPSG_NS1_7vsmem_tEENKUlT_SE_SF_SG_E_clIS8_S8_S9_S9_EESD_ST_SE_SF_SG_EUlST_E_NS1_11comp_targetILNS1_3genE8ELNS1_11target_archE1030ELNS1_3gpuE2ELNS1_3repE0EEENS1_48merge_mergepath_partition_config_static_selectorELNS0_4arch9wavefront6targetE0EEEvSF_,"axG",@progbits,_ZN7rocprim17ROCPRIM_400000_NS6detail17trampoline_kernelINS0_14default_configENS1_38merge_sort_block_merge_config_selectorIdNS0_10empty_typeEEEZZNS1_27merge_sort_block_merge_implIS3_PdPS5_jNS1_19radix_merge_compareILb0ELb0EdNS0_19identity_decomposerEEEEE10hipError_tT0_T1_T2_jT3_P12ihipStream_tbPNSt15iterator_traitsISE_E10value_typeEPNSK_ISF_E10value_typeEPSG_NS1_7vsmem_tEENKUlT_SE_SF_SG_E_clIS8_S8_S9_S9_EESD_ST_SE_SF_SG_EUlST_E_NS1_11comp_targetILNS1_3genE8ELNS1_11target_archE1030ELNS1_3gpuE2ELNS1_3repE0EEENS1_48merge_mergepath_partition_config_static_selectorELNS0_4arch9wavefront6targetE0EEEvSF_,comdat
.Lfunc_end1570:
	.size	_ZN7rocprim17ROCPRIM_400000_NS6detail17trampoline_kernelINS0_14default_configENS1_38merge_sort_block_merge_config_selectorIdNS0_10empty_typeEEEZZNS1_27merge_sort_block_merge_implIS3_PdPS5_jNS1_19radix_merge_compareILb0ELb0EdNS0_19identity_decomposerEEEEE10hipError_tT0_T1_T2_jT3_P12ihipStream_tbPNSt15iterator_traitsISE_E10value_typeEPNSK_ISF_E10value_typeEPSG_NS1_7vsmem_tEENKUlT_SE_SF_SG_E_clIS8_S8_S9_S9_EESD_ST_SE_SF_SG_EUlST_E_NS1_11comp_targetILNS1_3genE8ELNS1_11target_archE1030ELNS1_3gpuE2ELNS1_3repE0EEENS1_48merge_mergepath_partition_config_static_selectorELNS0_4arch9wavefront6targetE0EEEvSF_, .Lfunc_end1570-_ZN7rocprim17ROCPRIM_400000_NS6detail17trampoline_kernelINS0_14default_configENS1_38merge_sort_block_merge_config_selectorIdNS0_10empty_typeEEEZZNS1_27merge_sort_block_merge_implIS3_PdPS5_jNS1_19radix_merge_compareILb0ELb0EdNS0_19identity_decomposerEEEEE10hipError_tT0_T1_T2_jT3_P12ihipStream_tbPNSt15iterator_traitsISE_E10value_typeEPNSK_ISF_E10value_typeEPSG_NS1_7vsmem_tEENKUlT_SE_SF_SG_E_clIS8_S8_S9_S9_EESD_ST_SE_SF_SG_EUlST_E_NS1_11comp_targetILNS1_3genE8ELNS1_11target_archE1030ELNS1_3gpuE2ELNS1_3repE0EEENS1_48merge_mergepath_partition_config_static_selectorELNS0_4arch9wavefront6targetE0EEEvSF_
                                        ; -- End function
	.set _ZN7rocprim17ROCPRIM_400000_NS6detail17trampoline_kernelINS0_14default_configENS1_38merge_sort_block_merge_config_selectorIdNS0_10empty_typeEEEZZNS1_27merge_sort_block_merge_implIS3_PdPS5_jNS1_19radix_merge_compareILb0ELb0EdNS0_19identity_decomposerEEEEE10hipError_tT0_T1_T2_jT3_P12ihipStream_tbPNSt15iterator_traitsISE_E10value_typeEPNSK_ISF_E10value_typeEPSG_NS1_7vsmem_tEENKUlT_SE_SF_SG_E_clIS8_S8_S9_S9_EESD_ST_SE_SF_SG_EUlST_E_NS1_11comp_targetILNS1_3genE8ELNS1_11target_archE1030ELNS1_3gpuE2ELNS1_3repE0EEENS1_48merge_mergepath_partition_config_static_selectorELNS0_4arch9wavefront6targetE0EEEvSF_.num_vgpr, 0
	.set _ZN7rocprim17ROCPRIM_400000_NS6detail17trampoline_kernelINS0_14default_configENS1_38merge_sort_block_merge_config_selectorIdNS0_10empty_typeEEEZZNS1_27merge_sort_block_merge_implIS3_PdPS5_jNS1_19radix_merge_compareILb0ELb0EdNS0_19identity_decomposerEEEEE10hipError_tT0_T1_T2_jT3_P12ihipStream_tbPNSt15iterator_traitsISE_E10value_typeEPNSK_ISF_E10value_typeEPSG_NS1_7vsmem_tEENKUlT_SE_SF_SG_E_clIS8_S8_S9_S9_EESD_ST_SE_SF_SG_EUlST_E_NS1_11comp_targetILNS1_3genE8ELNS1_11target_archE1030ELNS1_3gpuE2ELNS1_3repE0EEENS1_48merge_mergepath_partition_config_static_selectorELNS0_4arch9wavefront6targetE0EEEvSF_.num_agpr, 0
	.set _ZN7rocprim17ROCPRIM_400000_NS6detail17trampoline_kernelINS0_14default_configENS1_38merge_sort_block_merge_config_selectorIdNS0_10empty_typeEEEZZNS1_27merge_sort_block_merge_implIS3_PdPS5_jNS1_19radix_merge_compareILb0ELb0EdNS0_19identity_decomposerEEEEE10hipError_tT0_T1_T2_jT3_P12ihipStream_tbPNSt15iterator_traitsISE_E10value_typeEPNSK_ISF_E10value_typeEPSG_NS1_7vsmem_tEENKUlT_SE_SF_SG_E_clIS8_S8_S9_S9_EESD_ST_SE_SF_SG_EUlST_E_NS1_11comp_targetILNS1_3genE8ELNS1_11target_archE1030ELNS1_3gpuE2ELNS1_3repE0EEENS1_48merge_mergepath_partition_config_static_selectorELNS0_4arch9wavefront6targetE0EEEvSF_.numbered_sgpr, 0
	.set _ZN7rocprim17ROCPRIM_400000_NS6detail17trampoline_kernelINS0_14default_configENS1_38merge_sort_block_merge_config_selectorIdNS0_10empty_typeEEEZZNS1_27merge_sort_block_merge_implIS3_PdPS5_jNS1_19radix_merge_compareILb0ELb0EdNS0_19identity_decomposerEEEEE10hipError_tT0_T1_T2_jT3_P12ihipStream_tbPNSt15iterator_traitsISE_E10value_typeEPNSK_ISF_E10value_typeEPSG_NS1_7vsmem_tEENKUlT_SE_SF_SG_E_clIS8_S8_S9_S9_EESD_ST_SE_SF_SG_EUlST_E_NS1_11comp_targetILNS1_3genE8ELNS1_11target_archE1030ELNS1_3gpuE2ELNS1_3repE0EEENS1_48merge_mergepath_partition_config_static_selectorELNS0_4arch9wavefront6targetE0EEEvSF_.num_named_barrier, 0
	.set _ZN7rocprim17ROCPRIM_400000_NS6detail17trampoline_kernelINS0_14default_configENS1_38merge_sort_block_merge_config_selectorIdNS0_10empty_typeEEEZZNS1_27merge_sort_block_merge_implIS3_PdPS5_jNS1_19radix_merge_compareILb0ELb0EdNS0_19identity_decomposerEEEEE10hipError_tT0_T1_T2_jT3_P12ihipStream_tbPNSt15iterator_traitsISE_E10value_typeEPNSK_ISF_E10value_typeEPSG_NS1_7vsmem_tEENKUlT_SE_SF_SG_E_clIS8_S8_S9_S9_EESD_ST_SE_SF_SG_EUlST_E_NS1_11comp_targetILNS1_3genE8ELNS1_11target_archE1030ELNS1_3gpuE2ELNS1_3repE0EEENS1_48merge_mergepath_partition_config_static_selectorELNS0_4arch9wavefront6targetE0EEEvSF_.private_seg_size, 0
	.set _ZN7rocprim17ROCPRIM_400000_NS6detail17trampoline_kernelINS0_14default_configENS1_38merge_sort_block_merge_config_selectorIdNS0_10empty_typeEEEZZNS1_27merge_sort_block_merge_implIS3_PdPS5_jNS1_19radix_merge_compareILb0ELb0EdNS0_19identity_decomposerEEEEE10hipError_tT0_T1_T2_jT3_P12ihipStream_tbPNSt15iterator_traitsISE_E10value_typeEPNSK_ISF_E10value_typeEPSG_NS1_7vsmem_tEENKUlT_SE_SF_SG_E_clIS8_S8_S9_S9_EESD_ST_SE_SF_SG_EUlST_E_NS1_11comp_targetILNS1_3genE8ELNS1_11target_archE1030ELNS1_3gpuE2ELNS1_3repE0EEENS1_48merge_mergepath_partition_config_static_selectorELNS0_4arch9wavefront6targetE0EEEvSF_.uses_vcc, 0
	.set _ZN7rocprim17ROCPRIM_400000_NS6detail17trampoline_kernelINS0_14default_configENS1_38merge_sort_block_merge_config_selectorIdNS0_10empty_typeEEEZZNS1_27merge_sort_block_merge_implIS3_PdPS5_jNS1_19radix_merge_compareILb0ELb0EdNS0_19identity_decomposerEEEEE10hipError_tT0_T1_T2_jT3_P12ihipStream_tbPNSt15iterator_traitsISE_E10value_typeEPNSK_ISF_E10value_typeEPSG_NS1_7vsmem_tEENKUlT_SE_SF_SG_E_clIS8_S8_S9_S9_EESD_ST_SE_SF_SG_EUlST_E_NS1_11comp_targetILNS1_3genE8ELNS1_11target_archE1030ELNS1_3gpuE2ELNS1_3repE0EEENS1_48merge_mergepath_partition_config_static_selectorELNS0_4arch9wavefront6targetE0EEEvSF_.uses_flat_scratch, 0
	.set _ZN7rocprim17ROCPRIM_400000_NS6detail17trampoline_kernelINS0_14default_configENS1_38merge_sort_block_merge_config_selectorIdNS0_10empty_typeEEEZZNS1_27merge_sort_block_merge_implIS3_PdPS5_jNS1_19radix_merge_compareILb0ELb0EdNS0_19identity_decomposerEEEEE10hipError_tT0_T1_T2_jT3_P12ihipStream_tbPNSt15iterator_traitsISE_E10value_typeEPNSK_ISF_E10value_typeEPSG_NS1_7vsmem_tEENKUlT_SE_SF_SG_E_clIS8_S8_S9_S9_EESD_ST_SE_SF_SG_EUlST_E_NS1_11comp_targetILNS1_3genE8ELNS1_11target_archE1030ELNS1_3gpuE2ELNS1_3repE0EEENS1_48merge_mergepath_partition_config_static_selectorELNS0_4arch9wavefront6targetE0EEEvSF_.has_dyn_sized_stack, 0
	.set _ZN7rocprim17ROCPRIM_400000_NS6detail17trampoline_kernelINS0_14default_configENS1_38merge_sort_block_merge_config_selectorIdNS0_10empty_typeEEEZZNS1_27merge_sort_block_merge_implIS3_PdPS5_jNS1_19radix_merge_compareILb0ELb0EdNS0_19identity_decomposerEEEEE10hipError_tT0_T1_T2_jT3_P12ihipStream_tbPNSt15iterator_traitsISE_E10value_typeEPNSK_ISF_E10value_typeEPSG_NS1_7vsmem_tEENKUlT_SE_SF_SG_E_clIS8_S8_S9_S9_EESD_ST_SE_SF_SG_EUlST_E_NS1_11comp_targetILNS1_3genE8ELNS1_11target_archE1030ELNS1_3gpuE2ELNS1_3repE0EEENS1_48merge_mergepath_partition_config_static_selectorELNS0_4arch9wavefront6targetE0EEEvSF_.has_recursion, 0
	.set _ZN7rocprim17ROCPRIM_400000_NS6detail17trampoline_kernelINS0_14default_configENS1_38merge_sort_block_merge_config_selectorIdNS0_10empty_typeEEEZZNS1_27merge_sort_block_merge_implIS3_PdPS5_jNS1_19radix_merge_compareILb0ELb0EdNS0_19identity_decomposerEEEEE10hipError_tT0_T1_T2_jT3_P12ihipStream_tbPNSt15iterator_traitsISE_E10value_typeEPNSK_ISF_E10value_typeEPSG_NS1_7vsmem_tEENKUlT_SE_SF_SG_E_clIS8_S8_S9_S9_EESD_ST_SE_SF_SG_EUlST_E_NS1_11comp_targetILNS1_3genE8ELNS1_11target_archE1030ELNS1_3gpuE2ELNS1_3repE0EEENS1_48merge_mergepath_partition_config_static_selectorELNS0_4arch9wavefront6targetE0EEEvSF_.has_indirect_call, 0
	.section	.AMDGPU.csdata,"",@progbits
; Kernel info:
; codeLenInByte = 0
; TotalNumSgprs: 0
; NumVgprs: 0
; ScratchSize: 0
; MemoryBound: 0
; FloatMode: 240
; IeeeMode: 1
; LDSByteSize: 0 bytes/workgroup (compile time only)
; SGPRBlocks: 0
; VGPRBlocks: 0
; NumSGPRsForWavesPerEU: 1
; NumVGPRsForWavesPerEU: 1
; NamedBarCnt: 0
; Occupancy: 16
; WaveLimiterHint : 0
; COMPUTE_PGM_RSRC2:SCRATCH_EN: 0
; COMPUTE_PGM_RSRC2:USER_SGPR: 2
; COMPUTE_PGM_RSRC2:TRAP_HANDLER: 0
; COMPUTE_PGM_RSRC2:TGID_X_EN: 1
; COMPUTE_PGM_RSRC2:TGID_Y_EN: 0
; COMPUTE_PGM_RSRC2:TGID_Z_EN: 0
; COMPUTE_PGM_RSRC2:TIDIG_COMP_CNT: 0
	.section	.text._ZN7rocprim17ROCPRIM_400000_NS6detail17trampoline_kernelINS0_14default_configENS1_38merge_sort_block_merge_config_selectorIdNS0_10empty_typeEEEZZNS1_27merge_sort_block_merge_implIS3_PdPS5_jNS1_19radix_merge_compareILb0ELb0EdNS0_19identity_decomposerEEEEE10hipError_tT0_T1_T2_jT3_P12ihipStream_tbPNSt15iterator_traitsISE_E10value_typeEPNSK_ISF_E10value_typeEPSG_NS1_7vsmem_tEENKUlT_SE_SF_SG_E_clIS8_S8_S9_S9_EESD_ST_SE_SF_SG_EUlST_E0_NS1_11comp_targetILNS1_3genE0ELNS1_11target_archE4294967295ELNS1_3gpuE0ELNS1_3repE0EEENS1_38merge_mergepath_config_static_selectorELNS0_4arch9wavefront6targetE0EEEvSF_,"axG",@progbits,_ZN7rocprim17ROCPRIM_400000_NS6detail17trampoline_kernelINS0_14default_configENS1_38merge_sort_block_merge_config_selectorIdNS0_10empty_typeEEEZZNS1_27merge_sort_block_merge_implIS3_PdPS5_jNS1_19radix_merge_compareILb0ELb0EdNS0_19identity_decomposerEEEEE10hipError_tT0_T1_T2_jT3_P12ihipStream_tbPNSt15iterator_traitsISE_E10value_typeEPNSK_ISF_E10value_typeEPSG_NS1_7vsmem_tEENKUlT_SE_SF_SG_E_clIS8_S8_S9_S9_EESD_ST_SE_SF_SG_EUlST_E0_NS1_11comp_targetILNS1_3genE0ELNS1_11target_archE4294967295ELNS1_3gpuE0ELNS1_3repE0EEENS1_38merge_mergepath_config_static_selectorELNS0_4arch9wavefront6targetE0EEEvSF_,comdat
	.protected	_ZN7rocprim17ROCPRIM_400000_NS6detail17trampoline_kernelINS0_14default_configENS1_38merge_sort_block_merge_config_selectorIdNS0_10empty_typeEEEZZNS1_27merge_sort_block_merge_implIS3_PdPS5_jNS1_19radix_merge_compareILb0ELb0EdNS0_19identity_decomposerEEEEE10hipError_tT0_T1_T2_jT3_P12ihipStream_tbPNSt15iterator_traitsISE_E10value_typeEPNSK_ISF_E10value_typeEPSG_NS1_7vsmem_tEENKUlT_SE_SF_SG_E_clIS8_S8_S9_S9_EESD_ST_SE_SF_SG_EUlST_E0_NS1_11comp_targetILNS1_3genE0ELNS1_11target_archE4294967295ELNS1_3gpuE0ELNS1_3repE0EEENS1_38merge_mergepath_config_static_selectorELNS0_4arch9wavefront6targetE0EEEvSF_ ; -- Begin function _ZN7rocprim17ROCPRIM_400000_NS6detail17trampoline_kernelINS0_14default_configENS1_38merge_sort_block_merge_config_selectorIdNS0_10empty_typeEEEZZNS1_27merge_sort_block_merge_implIS3_PdPS5_jNS1_19radix_merge_compareILb0ELb0EdNS0_19identity_decomposerEEEEE10hipError_tT0_T1_T2_jT3_P12ihipStream_tbPNSt15iterator_traitsISE_E10value_typeEPNSK_ISF_E10value_typeEPSG_NS1_7vsmem_tEENKUlT_SE_SF_SG_E_clIS8_S8_S9_S9_EESD_ST_SE_SF_SG_EUlST_E0_NS1_11comp_targetILNS1_3genE0ELNS1_11target_archE4294967295ELNS1_3gpuE0ELNS1_3repE0EEENS1_38merge_mergepath_config_static_selectorELNS0_4arch9wavefront6targetE0EEEvSF_
	.globl	_ZN7rocprim17ROCPRIM_400000_NS6detail17trampoline_kernelINS0_14default_configENS1_38merge_sort_block_merge_config_selectorIdNS0_10empty_typeEEEZZNS1_27merge_sort_block_merge_implIS3_PdPS5_jNS1_19radix_merge_compareILb0ELb0EdNS0_19identity_decomposerEEEEE10hipError_tT0_T1_T2_jT3_P12ihipStream_tbPNSt15iterator_traitsISE_E10value_typeEPNSK_ISF_E10value_typeEPSG_NS1_7vsmem_tEENKUlT_SE_SF_SG_E_clIS8_S8_S9_S9_EESD_ST_SE_SF_SG_EUlST_E0_NS1_11comp_targetILNS1_3genE0ELNS1_11target_archE4294967295ELNS1_3gpuE0ELNS1_3repE0EEENS1_38merge_mergepath_config_static_selectorELNS0_4arch9wavefront6targetE0EEEvSF_
	.p2align	8
	.type	_ZN7rocprim17ROCPRIM_400000_NS6detail17trampoline_kernelINS0_14default_configENS1_38merge_sort_block_merge_config_selectorIdNS0_10empty_typeEEEZZNS1_27merge_sort_block_merge_implIS3_PdPS5_jNS1_19radix_merge_compareILb0ELb0EdNS0_19identity_decomposerEEEEE10hipError_tT0_T1_T2_jT3_P12ihipStream_tbPNSt15iterator_traitsISE_E10value_typeEPNSK_ISF_E10value_typeEPSG_NS1_7vsmem_tEENKUlT_SE_SF_SG_E_clIS8_S8_S9_S9_EESD_ST_SE_SF_SG_EUlST_E0_NS1_11comp_targetILNS1_3genE0ELNS1_11target_archE4294967295ELNS1_3gpuE0ELNS1_3repE0EEENS1_38merge_mergepath_config_static_selectorELNS0_4arch9wavefront6targetE0EEEvSF_,@function
_ZN7rocprim17ROCPRIM_400000_NS6detail17trampoline_kernelINS0_14default_configENS1_38merge_sort_block_merge_config_selectorIdNS0_10empty_typeEEEZZNS1_27merge_sort_block_merge_implIS3_PdPS5_jNS1_19radix_merge_compareILb0ELb0EdNS0_19identity_decomposerEEEEE10hipError_tT0_T1_T2_jT3_P12ihipStream_tbPNSt15iterator_traitsISE_E10value_typeEPNSK_ISF_E10value_typeEPSG_NS1_7vsmem_tEENKUlT_SE_SF_SG_E_clIS8_S8_S9_S9_EESD_ST_SE_SF_SG_EUlST_E0_NS1_11comp_targetILNS1_3genE0ELNS1_11target_archE4294967295ELNS1_3gpuE0ELNS1_3repE0EEENS1_38merge_mergepath_config_static_selectorELNS0_4arch9wavefront6targetE0EEEvSF_: ; @_ZN7rocprim17ROCPRIM_400000_NS6detail17trampoline_kernelINS0_14default_configENS1_38merge_sort_block_merge_config_selectorIdNS0_10empty_typeEEEZZNS1_27merge_sort_block_merge_implIS3_PdPS5_jNS1_19radix_merge_compareILb0ELb0EdNS0_19identity_decomposerEEEEE10hipError_tT0_T1_T2_jT3_P12ihipStream_tbPNSt15iterator_traitsISE_E10value_typeEPNSK_ISF_E10value_typeEPSG_NS1_7vsmem_tEENKUlT_SE_SF_SG_E_clIS8_S8_S9_S9_EESD_ST_SE_SF_SG_EUlST_E0_NS1_11comp_targetILNS1_3genE0ELNS1_11target_archE4294967295ELNS1_3gpuE0ELNS1_3repE0EEENS1_38merge_mergepath_config_static_selectorELNS0_4arch9wavefront6targetE0EEEvSF_
; %bb.0:
	s_bfe_u32 s2, ttmp6, 0x40010
	s_and_b32 s4, ttmp7, 0xffff
	s_add_co_i32 s5, s2, 1
	s_clause 0x1
	s_load_b32 s6, s[0:1], 0x30
	s_load_b64 s[2:3], s[0:1], 0x40
	s_bfe_u32 s8, ttmp6, 0x4000c
	s_mul_i32 s5, s4, s5
	s_bfe_u32 s7, ttmp6, 0x40004
	s_add_co_i32 s8, s8, 1
	s_bfe_u32 s9, ttmp6, 0x40014
	s_add_co_i32 s7, s7, s5
	s_and_b32 s5, ttmp6, 15
	s_mul_i32 s8, ttmp9, s8
	s_lshr_b32 s10, ttmp7, 16
	s_add_co_i32 s9, s9, 1
	s_add_co_i32 s5, s5, s8
	s_mul_i32 s8, s10, s9
	s_bfe_u32 s9, ttmp6, 0x40008
	s_getreg_b32 s11, hwreg(HW_REG_IB_STS2, 6, 4)
	s_add_co_i32 s9, s9, s8
	s_cmp_eq_u32 s11, 0
	s_cselect_b32 s8, s10, s9
	s_cselect_b32 s4, s4, s7
	s_wait_kmcnt 0x0
	s_mul_i32 s8, s3, s8
	s_cselect_b32 s3, ttmp9, s5
	s_add_co_i32 s4, s8, s4
	s_mov_b32 s5, 0
	s_mul_i32 s4, s4, s2
	s_delay_alu instid0(SALU_CYCLE_1) | instskip(NEXT) | instid1(SALU_CYCLE_1)
	s_add_co_i32 s4, s4, s3
	s_cmp_ge_u32 s4, s6
	s_cbranch_scc1 .LBB1571_45
; %bb.1:
	v_mov_b32_e32 v11, 0
	s_add_nc_u64 s[10:11], s[0:1], 64
	v_lshlrev_b32_e32 v10, 3, v0
	global_load_b32 v1, v11, s[10:11] offset:14
	s_clause 0x2
	s_load_b64 s[6:7], s[0:1], 0x28
	s_load_b64 s[8:9], s[0:1], 0x38
	;; [unrolled: 1-line block ×3, first 2 shown]
	s_wait_kmcnt 0x0
	s_lshr_b32 s15, s6, 10
	s_delay_alu instid0(SALU_CYCLE_1) | instskip(SKIP_2) | instid1(SALU_CYCLE_1)
	s_cmp_lg_u32 s4, s15
	s_cselect_b32 s14, -1, 0
	s_lshl_b64 s[12:13], s[4:5], 2
	s_add_nc_u64 s[8:9], s[8:9], s[12:13]
	s_load_b64 s[12:13], s[8:9], 0x0
	s_wait_xcnt 0x0
	s_lshr_b32 s8, s7, 9
	s_delay_alu instid0(SALU_CYCLE_1) | instskip(NEXT) | instid1(SALU_CYCLE_1)
	s_and_b32 s8, s8, 0x7ffffe
	s_sub_co_i32 s9, 0, s8
	s_lshl_b32 s8, s4, 10
	s_and_b32 s18, s4, s9
	s_or_b32 s9, s4, s9
	s_lshl_b32 s19, s18, 11
	s_lshl_b32 s18, s18, 10
	s_add_co_i32 s19, s19, s7
	s_sub_co_i32 s20, s8, s18
	s_sub_co_i32 s18, s19, s18
	s_add_co_i32 s19, s19, s20
	s_min_u32 s20, s6, s18
	s_add_co_i32 s7, s18, s7
	s_wait_kmcnt 0x0
	s_sub_co_i32 s18, s19, s12
	s_sub_co_i32 s19, s19, s13
	s_min_u32 s18, s6, s18
	s_add_co_i32 s21, s19, 0x400
	s_cmp_eq_u32 s9, -1
	s_mov_b32 s19, s5
	s_cselect_b32 s7, s7, s21
	s_cselect_b32 s9, s20, s13
	s_mov_b32 s13, s5
	s_lshl_b64 s[20:21], s[18:19], 3
	s_min_u32 s19, s7, s6
	s_sub_co_i32 s7, s9, s12
	s_lshl_b64 s[12:13], s[12:13], 3
	s_sub_co_i32 s9, s19, s18
	s_cmp_lt_u32 s3, s2
	s_mov_b32 s3, s5
	s_cselect_b32 s2, 12, 18
	s_add_nc_u64 s[12:13], s[16:17], s[12:13]
	s_add_nc_u64 s[2:3], s[10:11], s[2:3]
	s_cmp_eq_u32 s4, s15
	s_load_u16 s2, s[2:3], 0x0
	s_add_nc_u64 s[10:11], s[16:17], s[20:21]
	s_wait_loadcnt 0x0
	v_lshrrev_b32_e32 v2, 16, v1
	v_and_b32_e32 v1, 0xffff, v1
	s_delay_alu instid0(VALU_DEP_1) | instskip(SKIP_1) | instid1(VALU_DEP_1)
	v_mul_lo_u32 v1, v1, v2
	s_wait_kmcnt 0x0
	v_mul_lo_u32 v1, v1, s2
	s_mov_b32 s2, -1
	s_delay_alu instid0(VALU_DEP_1) | instskip(NEXT) | instid1(VALU_DEP_1)
	v_add_nc_u32_e32 v14, v1, v0
	v_add_nc_u32_e32 v12, v14, v1
	s_cbranch_scc1 .LBB1571_3
; %bb.2:
	v_sub_co_u32 v4, vcc_lo, v0, s7
	v_dual_mov_b32 v5, v11 :: v_dual_mov_b32 v15, v11
	s_delay_alu instid0(VALU_DEP_3)
	v_dual_mov_b32 v17, v11 :: v_dual_add_nc_u32 v16, v12, v1
	v_add_nc_u64_e32 v[2:3], s[12:13], v[10:11]
	v_dual_mov_b32 v13, v11 :: v_dual_mov_b32 v9, v11
	v_sub_co_u32 v8, s2, v14, s7
	v_lshl_add_u64 v[4:5], v[4:5], 3, s[10:11]
	v_sub_co_u32 v20, s3, v12, s7
	v_mov_b32_e32 v21, v11
	v_lshl_add_u64 v[22:23], v[16:17], 3, s[12:13]
	v_sub_co_u32 v16, s4, v16, s7
	v_lshl_add_u64 v[6:7], v[14:15], 3, s[12:13]
	v_lshl_add_u64 v[8:9], v[8:9], 3, s[10:11]
	;; [unrolled: 1-line block ×3, first 2 shown]
	v_cndmask_b32_e32 v25, v5, v3, vcc_lo
	v_lshl_add_u64 v[20:21], v[20:21], 3, s[10:11]
	v_cndmask_b32_e32 v24, v4, v2, vcc_lo
	v_lshl_add_u64 v[2:3], v[16:17], 3, s[10:11]
	v_dual_cndmask_b32 v17, v9, v7, s2 :: v_dual_cndmask_b32 v16, v8, v6, s2
	s_delay_alu instid0(VALU_DEP_4) | instskip(NEXT) | instid1(VALU_DEP_3)
	v_dual_cndmask_b32 v19, v21, v19, s3 :: v_dual_cndmask_b32 v18, v20, v18, s3
	v_dual_cndmask_b32 v21, v3, v23, s4 :: v_dual_cndmask_b32 v20, v2, v22, s4
	global_load_b64 v[2:3], v[24:25], off
	global_load_b64 v[4:5], v[16:17], off
	;; [unrolled: 1-line block ×4, first 2 shown]
	s_add_co_i32 s4, s9, s7
	s_cbranch_execz .LBB1571_4
	s_branch .LBB1571_11
.LBB1571_3:
                                        ; implicit-def: $vgpr2_vgpr3_vgpr4_vgpr5_vgpr6_vgpr7_vgpr8_vgpr9
                                        ; implicit-def: $sgpr4
	s_and_not1_b32 vcc_lo, exec_lo, s2
	s_cbranch_vccnz .LBB1571_11
.LBB1571_4:
	s_wait_loadcnt 0x3
	v_mov_b32_e32 v2, 0
	s_add_co_i32 s4, s9, s7
	s_mov_b32 s2, exec_lo
	s_wait_loadcnt 0x2
	s_delay_alu instid0(VALU_DEP_1)
	v_dual_mov_b32 v3, v2 :: v_dual_mov_b32 v4, v2
	s_wait_loadcnt 0x1
	v_dual_mov_b32 v5, v2 :: v_dual_mov_b32 v6, v2
	s_wait_loadcnt 0x0
	v_dual_mov_b32 v7, v2 :: v_dual_mov_b32 v8, v2
	v_mov_b32_e32 v9, v2
	v_cmpx_gt_u32_e64 s4, v0
	s_cbranch_execnz .LBB1571_46
; %bb.5:
	s_or_b32 exec_lo, exec_lo, s2
	s_delay_alu instid0(SALU_CYCLE_1)
	s_mov_b32 s2, exec_lo
	v_cmpx_gt_u32_e64 s4, v14
	s_cbranch_execnz .LBB1571_47
.LBB1571_6:
	s_or_b32 exec_lo, exec_lo, s2
	s_delay_alu instid0(SALU_CYCLE_1)
	s_mov_b32 s2, exec_lo
	v_cmpx_gt_u32_e64 s4, v12
	s_cbranch_execz .LBB1571_8
.LBB1571_7:
	v_sub_co_u32 v14, vcc_lo, v12, s7
	v_mov_b32_e32 v13, 0
	s_delay_alu instid0(VALU_DEP_1) | instskip(SKIP_1) | instid1(VALU_DEP_1)
	v_lshl_add_u64 v[6:7], v[12:13], 3, s[12:13]
	v_mov_b32_e32 v15, v13
	v_lshl_add_u64 v[14:15], v[14:15], 3, s[10:11]
	s_delay_alu instid0(VALU_DEP_1)
	v_dual_cndmask_b32 v7, v15, v7 :: v_dual_cndmask_b32 v6, v14, v6
	global_load_b64 v[6:7], v[6:7], off
.LBB1571_8:
	s_wait_xcnt 0x0
	s_or_b32 exec_lo, exec_lo, s2
	v_add_nc_u32_e32 v12, v12, v1
	s_mov_b32 s2, exec_lo
	s_delay_alu instid0(VALU_DEP_1)
	v_cmpx_gt_u32_e64 s4, v12
	s_cbranch_execz .LBB1571_10
; %bb.9:
	v_mov_b32_e32 v13, 0
	s_delay_alu instid0(VALU_DEP_1) | instskip(SKIP_1) | instid1(VALU_DEP_1)
	v_lshl_add_u64 v[8:9], v[12:13], 3, s[12:13]
	v_sub_co_u32 v12, vcc_lo, v12, s7
	v_lshl_add_u64 v[12:13], v[12:13], 3, s[10:11]
	s_delay_alu instid0(VALU_DEP_1)
	v_dual_cndmask_b32 v9, v13, v9 :: v_dual_cndmask_b32 v8, v12, v8
	global_load_b64 v[8:9], v[8:9], off
.LBB1571_10:
	s_wait_xcnt 0x0
	s_or_b32 exec_lo, exec_lo, s2
.LBB1571_11:
	s_load_b64 s[2:3], s[0:1], 0x10
	v_lshlrev_b32_e32 v1, 2, v0
	s_wait_xcnt 0x0
	s_mov_b32 s0, exec_lo
	s_wait_loadcnt 0x0
	ds_store_2addr_stride64_b64 v10, v[2:3], v[4:5] offset1:4
	ds_store_2addr_stride64_b64 v10, v[6:7], v[8:9] offset0:8 offset1:12
	s_wait_dscnt 0x0
	s_barrier_signal -1
	v_min_u32_e32 v12, s4, v1
	s_barrier_wait -1
	s_delay_alu instid0(VALU_DEP_1) | instskip(SKIP_1) | instid1(VALU_DEP_1)
	v_sub_nc_u32_e64 v11, v12, s9 clamp
	v_min_u32_e32 v13, s7, v12
	v_cmpx_lt_u32_e64 v11, v13
	s_cbranch_execz .LBB1571_15
; %bb.12:
	v_lshlrev_b32_e32 v14, 3, v12
	s_mov_b32 s1, 0
	s_delay_alu instid0(VALU_DEP_1)
	v_lshl_add_u32 v14, s7, 3, v14
.LBB1571_13:                            ; =>This Inner Loop Header: Depth=1
	v_add_nc_u32_e32 v15, v13, v11
	s_delay_alu instid0(VALU_DEP_1) | instskip(NEXT) | instid1(VALU_DEP_1)
	v_lshrrev_b32_e32 v15, 1, v15
	v_not_b32_e32 v16, v15
	v_lshlrev_b32_e32 v17, 3, v15
	s_delay_alu instid0(VALU_DEP_2) | instskip(SKIP_4) | instid1(VALU_DEP_1)
	v_lshl_add_u32 v18, v16, 3, v14
	ds_load_b64 v[16:17], v17
	ds_load_b64 v[18:19], v18
	s_wait_dscnt 0x1
	v_add_f64_e32 v[16:17], 0, v[16:17]
	v_ashrrev_i32_e32 v20, 31, v17
	s_delay_alu instid0(VALU_DEP_1) | instskip(SKIP_1) | instid1(VALU_DEP_3)
	v_or_b32_e32 v22, 0x80000000, v20
	s_wait_dscnt 0x0
	v_dual_add_f64 v[18:19], 0, v[18:19] :: v_dual_bitop2_b32 v16, v20, v16 bitop3:0x14
	s_delay_alu instid0(VALU_DEP_1) | instskip(NEXT) | instid1(VALU_DEP_1)
	v_dual_ashrrev_i32 v21, 31, v19 :: v_dual_bitop2_b32 v17, v22, v17 bitop3:0x14
	v_or_b32_e32 v23, 0x80000000, v21
	s_delay_alu instid0(VALU_DEP_1) | instskip(NEXT) | instid1(VALU_DEP_4)
	v_xor_b32_e32 v19, v23, v19
	v_xor_b32_e32 v18, v21, v18
	s_delay_alu instid0(VALU_DEP_1) | instskip(SKIP_1) | instid1(VALU_DEP_1)
	v_cmp_gt_u64_e32 vcc_lo, v[16:17], v[18:19]
	v_dual_cndmask_b32 v13, v13, v15 :: v_dual_add_nc_u32 v16, 1, v15
	v_cndmask_b32_e32 v11, v16, v11, vcc_lo
	s_delay_alu instid0(VALU_DEP_1) | instskip(SKIP_1) | instid1(SALU_CYCLE_1)
	v_cmp_ge_u32_e32 vcc_lo, v11, v13
	s_or_b32 s1, vcc_lo, s1
	s_and_not1_b32 exec_lo, exec_lo, s1
	s_cbranch_execnz .LBB1571_13
; %bb.14:
	s_or_b32 exec_lo, exec_lo, s1
.LBB1571_15:
	s_delay_alu instid0(SALU_CYCLE_1) | instskip(SKIP_2) | instid1(VALU_DEP_2)
	s_or_b32 exec_lo, exec_lo, s0
	v_sub_nc_u32_e32 v12, v12, v11
	v_cmp_ge_u32_e32 vcc_lo, s7, v11
	v_add_nc_u32_e32 v12, s7, v12
	s_delay_alu instid0(VALU_DEP_1) | instskip(SKIP_1) | instid1(SALU_CYCLE_1)
	v_cmp_ge_u32_e64 s0, s4, v12
	s_or_b32 s0, vcc_lo, s0
	s_and_saveexec_b32 s1, s0
	s_cbranch_execz .LBB1571_35
; %bb.16:
	s_mov_b32 s5, exec_lo
	v_cmp_le_u32_e32 vcc_lo, s7, v11
                                        ; implicit-def: $vgpr2_vgpr3
	v_cmpx_gt_u32_e64 s7, v11
; %bb.17:
	v_lshlrev_b32_e32 v2, 3, v11
	ds_load_b64 v[2:3], v2
; %bb.18:
	s_or_b32 exec_lo, exec_lo, s5
	v_cmp_le_u32_e64 s5, s4, v12
	s_mov_b32 s9, exec_lo
                                        ; implicit-def: $vgpr6_vgpr7
	v_cmpx_gt_u32_e64 s4, v12
; %bb.19:
	v_lshlrev_b32_e32 v4, 3, v12
	ds_load_b64 v[6:7], v4
; %bb.20:
	s_or_b32 exec_lo, exec_lo, s9
	s_nor_b32 s9, vcc_lo, s5
	s_delay_alu instid0(SALU_CYCLE_1)
	s_and_saveexec_b32 s0, s9
	s_cbranch_execz .LBB1571_22
; %bb.21:
	s_wait_dscnt 0x0
	v_add_f64_e32 v[8:9], 0, v[6:7]
	v_add_f64_e32 v[4:5], 0, v[2:3]
	s_and_not1_b32 s5, s5, exec_lo
	s_delay_alu instid0(VALU_DEP_2) | instskip(NEXT) | instid1(VALU_DEP_2)
	v_ashrrev_i32_e32 v14, 31, v9
	v_ashrrev_i32_e32 v13, 31, v5
	s_delay_alu instid0(VALU_DEP_2) | instskip(NEXT) | instid1(VALU_DEP_2)
	v_or_b32_e32 v16, 0x80000000, v14
	v_or_b32_e32 v15, 0x80000000, v13
	v_xor_b32_e32 v4, v13, v4
	v_xor_b32_e32 v8, v14, v8
	s_delay_alu instid0(VALU_DEP_4) | instskip(NEXT) | instid1(VALU_DEP_4)
	v_xor_b32_e32 v9, v16, v9
	v_xor_b32_e32 v5, v15, v5
	s_delay_alu instid0(VALU_DEP_1) | instskip(SKIP_1) | instid1(SALU_CYCLE_1)
	v_cmp_le_u64_e32 vcc_lo, v[4:5], v[8:9]
	s_and_b32 s9, vcc_lo, exec_lo
	s_or_b32 s5, s5, s9
.LBB1571_22:
	s_or_b32 exec_lo, exec_lo, s0
	v_dual_mov_b32 v4, s7 :: v_dual_cndmask_b32 v5, v12, v11, s5
	s_mov_b32 s0, -1
	s_mov_b32 s9, -1
	s_mov_b32 s10, exec_lo
	s_delay_alu instid0(VALU_DEP_1) | instskip(NEXT) | instid1(VALU_DEP_1)
	v_dual_cndmask_b32 v4, s4, v4, s5 :: v_dual_add_nc_u32 v5, 1, v5
	v_add_min_u32_e64 v4, v4, -1, v5
	s_delay_alu instid0(VALU_DEP_1)
	v_dual_cndmask_b32 v11, v11, v5, s5 :: v_dual_lshlrev_b32 v4, 3, v4
	ds_load_b64 v[8:9], v4
	s_wait_dscnt 0x0
	v_dual_cndmask_b32 v12, v5, v12, s5 :: v_dual_cndmask_b32 v4, v8, v6, s5
	v_dual_cndmask_b32 v5, v9, v7, s5 :: v_dual_cndmask_b32 v9, v3, v9, s5
	v_cndmask_b32_e64 v8, v2, v8, s5
	s_delay_alu instid0(VALU_DEP_3)
	v_cmpx_gt_u32_e64 s4, v12
	s_cbranch_execz .LBB1571_26
; %bb.23:
	s_mov_b32 s11, 0
	s_mov_b32 s9, exec_lo
	v_cmpx_gt_u32_e64 s7, v11
	s_cbranch_execz .LBB1571_25
; %bb.24:
	v_add_f64_e32 v[14:15], 0, v[8:9]
	s_delay_alu instid0(VALU_DEP_1) | instskip(NEXT) | instid1(VALU_DEP_1)
	v_dual_add_f64 v[16:17], 0, v[4:5] :: v_dual_ashrrev_i32 v13, 31, v15
	v_dual_ashrrev_i32 v18, 31, v17 :: v_dual_bitop2_b32 v14, v13, v14 bitop3:0x14
	v_or_b32_e32 v19, 0x80000000, v13
	s_delay_alu instid0(VALU_DEP_2) | instskip(NEXT) | instid1(VALU_DEP_4)
	v_or_b32_e32 v20, 0x80000000, v18
	v_xor_b32_e32 v16, v18, v16
	s_delay_alu instid0(VALU_DEP_3) | instskip(NEXT) | instid1(VALU_DEP_3)
	v_xor_b32_e32 v15, v19, v15
	v_xor_b32_e32 v17, v20, v17
	s_delay_alu instid0(VALU_DEP_1)
	v_cmp_le_u64_e32 vcc_lo, v[14:15], v[16:17]
	s_and_b32 s11, vcc_lo, exec_lo
.LBB1571_25:
	s_or_b32 exec_lo, exec_lo, s9
	s_delay_alu instid0(SALU_CYCLE_1)
	s_or_not1_b32 s9, s11, exec_lo
.LBB1571_26:
	s_or_b32 exec_lo, exec_lo, s10
	v_dual_mov_b32 v13, s7 :: v_dual_cndmask_b32 v14, v12, v11, s9
	s_mov_b32 s10, exec_lo
	s_delay_alu instid0(VALU_DEP_1) | instskip(NEXT) | instid1(VALU_DEP_1)
	v_dual_cndmask_b32 v13, s4, v13, s9 :: v_dual_add_nc_u32 v16, 1, v14
	v_add_min_u32_e64 v13, v13, -1, v16
	s_delay_alu instid0(VALU_DEP_1)
	v_dual_cndmask_b32 v18, v16, v12, s9 :: v_dual_lshlrev_b32 v13, 3, v13
	ds_load_b64 v[14:15], v13
	v_cndmask_b32_e64 v11, v11, v16, s9
	s_wait_dscnt 0x0
	v_dual_cndmask_b32 v13, v15, v5, s9 :: v_dual_cndmask_b32 v12, v14, v4, s9
	v_dual_cndmask_b32 v15, v9, v15, s9 :: v_dual_cndmask_b32 v14, v8, v14, s9
	v_cmpx_gt_u32_e64 s4, v18
	s_cbranch_execz .LBB1571_30
; %bb.27:
	s_mov_b32 s11, 0
	s_mov_b32 s0, exec_lo
	v_cmpx_gt_u32_e64 s7, v11
	s_cbranch_execz .LBB1571_29
; %bb.28:
	v_add_f64_e32 v[20:21], 0, v[12:13]
	s_delay_alu instid0(VALU_DEP_1) | instskip(NEXT) | instid1(VALU_DEP_1)
	v_dual_add_f64 v[16:17], 0, v[14:15] :: v_dual_ashrrev_i32 v22, 31, v21
	v_ashrrev_i32_e32 v19, 31, v17
	s_delay_alu instid0(VALU_DEP_2) | instskip(NEXT) | instid1(VALU_DEP_2)
	v_or_b32_e32 v24, 0x80000000, v22
	v_or_b32_e32 v23, 0x80000000, v19
	v_xor_b32_e32 v20, v22, v20
	s_delay_alu instid0(VALU_DEP_3) | instskip(NEXT) | instid1(VALU_DEP_3)
	v_xor_b32_e32 v21, v24, v21
	v_xor_b32_e32 v17, v23, v17
	;; [unrolled: 1-line block ×3, first 2 shown]
	s_delay_alu instid0(VALU_DEP_1)
	v_cmp_le_u64_e32 vcc_lo, v[16:17], v[20:21]
	s_and_b32 s11, vcc_lo, exec_lo
.LBB1571_29:
	s_or_b32 exec_lo, exec_lo, s0
	s_delay_alu instid0(SALU_CYCLE_1)
	s_or_not1_b32 s0, s11, exec_lo
.LBB1571_30:
	s_or_b32 exec_lo, exec_lo, s10
	v_dual_mov_b32 v16, s7 :: v_dual_cndmask_b32 v17, v18, v11, s0
	v_dual_cndmask_b32 v4, v4, v8, s9 :: v_dual_cndmask_b32 v3, v7, v3, s5
	v_dual_cndmask_b32 v2, v6, v2, s5 :: v_dual_cndmask_b32 v7, v13, v15, s0
	s_delay_alu instid0(VALU_DEP_3) | instskip(SKIP_1) | instid1(VALU_DEP_2)
	v_dual_cndmask_b32 v16, s4, v16, s0 :: v_dual_add_nc_u32 v19, 1, v17
	v_cndmask_b32_e64 v5, v5, v9, s9
	v_add_min_u32_e64 v16, v16, -1, v19
	s_delay_alu instid0(VALU_DEP_1)
	v_lshlrev_b32_e32 v16, 3, v16
	ds_load_b64 v[16:17], v16
	v_cndmask_b32_e64 v18, v19, v18, s0
	s_wait_dscnt 0x0
	v_dual_cndmask_b32 v6, v12, v14, s0 :: v_dual_cndmask_b32 v9, v15, v17, s0
	v_cndmask_b32_e64 v8, v14, v16, s0
	s_delay_alu instid0(VALU_DEP_3)
	v_cmp_gt_u32_e32 vcc_lo, s4, v18
	s_and_saveexec_b32 s4, vcc_lo
	s_cbranch_execz .LBB1571_34
; %bb.31:
	v_dual_cndmask_b32 v11, v11, v19, s0 :: v_dual_cndmask_b32 v13, v17, v13, s0
	v_cndmask_b32_e64 v12, v16, v12, s0
	s_mov_b32 s0, exec_lo
	s_delay_alu instid0(VALU_DEP_2)
	v_cmpx_gt_u32_e64 s7, v11
	s_cbranch_execz .LBB1571_33
; %bb.32:
	v_add_f64_e32 v[14:15], 0, v[8:9]
	s_delay_alu instid0(VALU_DEP_1) | instskip(NEXT) | instid1(VALU_DEP_1)
	v_dual_add_f64 v[16:17], 0, v[12:13] :: v_dual_ashrrev_i32 v11, 31, v15
	v_dual_ashrrev_i32 v18, 31, v17 :: v_dual_bitop2_b32 v14, v11, v14 bitop3:0x14
	v_or_b32_e32 v19, 0x80000000, v11
	s_delay_alu instid0(VALU_DEP_2) | instskip(NEXT) | instid1(VALU_DEP_4)
	v_or_b32_e32 v20, 0x80000000, v18
	v_xor_b32_e32 v16, v18, v16
	s_delay_alu instid0(VALU_DEP_3) | instskip(NEXT) | instid1(VALU_DEP_3)
	v_xor_b32_e32 v15, v19, v15
	v_xor_b32_e32 v17, v20, v17
	s_delay_alu instid0(VALU_DEP_1)
	v_cmp_gt_u64_e32 vcc_lo, v[14:15], v[16:17]
	v_dual_cndmask_b32 v13, v9, v13 :: v_dual_cndmask_b32 v12, v8, v12
.LBB1571_33:
	s_or_b32 exec_lo, exec_lo, s0
	s_delay_alu instid0(VALU_DEP_1)
	v_mov_b64_e32 v[8:9], v[12:13]
.LBB1571_34:
	s_or_b32 exec_lo, exec_lo, s4
.LBB1571_35:
	s_delay_alu instid0(SALU_CYCLE_1) | instskip(SKIP_4) | instid1(VALU_DEP_4)
	s_or_b32 exec_lo, exec_lo, s1
	v_and_b32_e32 v11, 0xf8, v0
	v_or_b32_e32 v13, 0x100, v0
	v_or_b32_e32 v12, 0x200, v0
	v_lshrrev_b32_e32 v14, 2, v0
	v_lshl_add_u32 v11, v1, 3, v11
	v_or_b32_e32 v1, 0x300, v0
	s_barrier_signal -1
	s_barrier_wait -1
	s_barrier_signal -1
	s_barrier_wait -1
	v_dual_lshrrev_b32 v15, 2, v13 :: v_dual_lshrrev_b32 v16, 2, v12
	ds_store_2addr_b64 v11, v[2:3], v[4:5] offset1:1
	ds_store_2addr_b64 v11, v[6:7], v[8:9] offset0:2 offset1:3
	v_lshrrev_b32_e32 v2, 2, v1
	s_mov_b32 s9, 0
	v_dual_mov_b32 v11, 0 :: v_dual_bitop2_b32 v3, 56, v14 bitop3:0x40
	s_lshl_b64 s[0:1], s[8:9], 3
	v_and_b32_e32 v4, 0x78, v15
	v_and_b32_e32 v5, 0xb8, v16
	;; [unrolled: 1-line block ×3, first 2 shown]
	s_wait_kmcnt 0x0
	s_add_nc_u64 s[0:1], s[2:3], s[0:1]
	v_dual_add_nc_u32 v14, v3, v10 :: v_dual_add_nc_u32 v6, v4, v10
	v_add_nc_u64_e32 v[2:3], s[0:1], v[10:11]
	v_dual_add_nc_u32 v7, v5, v10 :: v_dual_add_nc_u32 v10, v8, v10
	s_and_b32 vcc_lo, exec_lo, s14
	s_wait_dscnt 0x0
	s_cbranch_vccz .LBB1571_37
; %bb.36:
	s_barrier_signal -1
	s_barrier_wait -1
	ds_load_b64 v[8:9], v14
	ds_load_b64 v[16:17], v6 offset:2048
	ds_load_b64 v[18:19], v7 offset:4096
	ds_load_b64 v[4:5], v10 offset:6144
	s_mov_b32 s9, -1
	s_wait_dscnt 0x3
	global_store_b64 v[2:3], v[8:9], off
	s_wait_dscnt 0x2
	global_store_b64 v[2:3], v[16:17], off offset:2048
	s_wait_dscnt 0x1
	global_store_b64 v[2:3], v[18:19], off offset:4096
	s_cbranch_execz .LBB1571_38
	s_branch .LBB1571_43
.LBB1571_37:
                                        ; implicit-def: $vgpr4_vgpr5
.LBB1571_38:
	s_barrier_signal -1
	s_barrier_wait -1
	s_wait_storecnt_dscnt 0x0
	s_wait_xcnt 0x2
	ds_load_b64 v[8:9], v6 offset:2048
	ds_load_b64 v[6:7], v7 offset:4096
	ds_load_b64 v[4:5], v10 offset:6144
	s_sub_co_i32 s0, s6, s8
	s_mov_b32 s1, exec_lo
	s_wait_xcnt 0x0
	v_cmpx_gt_u32_e64 s0, v0
	s_cbranch_execnz .LBB1571_48
; %bb.39:
	s_or_b32 exec_lo, exec_lo, s1
	s_delay_alu instid0(SALU_CYCLE_1)
	s_mov_b32 s1, exec_lo
	v_cmpx_gt_u32_e64 s0, v13
	s_cbranch_execnz .LBB1571_49
.LBB1571_40:
	s_or_b32 exec_lo, exec_lo, s1
	s_delay_alu instid0(SALU_CYCLE_1)
	s_mov_b32 s1, exec_lo
	v_cmpx_gt_u32_e64 s0, v12
	s_cbranch_execz .LBB1571_42
.LBB1571_41:
	s_wait_dscnt 0x1
	global_store_b64 v[2:3], v[6:7], off offset:4096
.LBB1571_42:
	s_wait_xcnt 0x0
	s_or_b32 exec_lo, exec_lo, s1
	v_cmp_gt_u32_e64 s9, s0, v1
.LBB1571_43:
	s_wait_xcnt 0x0
	s_delay_alu instid0(VALU_DEP_1)
	s_and_saveexec_b32 s0, s9
	s_cbranch_execz .LBB1571_45
; %bb.44:
	s_wait_dscnt 0x0
	global_store_b64 v[2:3], v[4:5], off offset:6144
.LBB1571_45:
	s_endpgm
.LBB1571_46:
	v_dual_mov_b32 v11, v2 :: v_dual_mov_b32 v5, v2
	v_sub_co_u32 v4, vcc_lo, v0, s7
	v_dual_mov_b32 v18, v2 :: v_dual_mov_b32 v19, v2
	s_delay_alu instid0(VALU_DEP_3) | instskip(NEXT) | instid1(VALU_DEP_3)
	v_add_nc_u64_e32 v[6:7], s[12:13], v[10:11]
	v_lshl_add_u64 v[4:5], v[4:5], 3, s[10:11]
	v_dual_mov_b32 v20, v2 :: v_dual_mov_b32 v21, v2
	v_dual_mov_b32 v22, v2 :: v_dual_mov_b32 v23, v2
	s_delay_alu instid0(VALU_DEP_3)
	v_dual_cndmask_b32 v5, v5, v7 :: v_dual_cndmask_b32 v4, v4, v6
	global_load_b64 v[16:17], v[4:5], off
	s_wait_loadcnt 0x0
	v_mov_b64_e32 v[2:3], v[16:17]
	v_mov_b64_e32 v[4:5], v[18:19]
	v_mov_b64_e32 v[6:7], v[20:21]
	v_mov_b64_e32 v[8:9], v[22:23]
	s_or_b32 exec_lo, exec_lo, s2
	s_delay_alu instid0(SALU_CYCLE_1)
	s_mov_b32 s2, exec_lo
	v_cmpx_gt_u32_e64 s4, v14
	s_cbranch_execz .LBB1571_6
.LBB1571_47:
	v_mov_b32_e32 v15, 0
	s_delay_alu instid0(VALU_DEP_1) | instskip(SKIP_1) | instid1(VALU_DEP_1)
	v_lshl_add_u64 v[4:5], v[14:15], 3, s[12:13]
	v_sub_co_u32 v14, vcc_lo, v14, s7
	v_lshl_add_u64 v[14:15], v[14:15], 3, s[10:11]
	s_delay_alu instid0(VALU_DEP_1) | instskip(SKIP_3) | instid1(SALU_CYCLE_1)
	v_dual_cndmask_b32 v5, v15, v5 :: v_dual_cndmask_b32 v4, v14, v4
	global_load_b64 v[4:5], v[4:5], off
	s_wait_xcnt 0x0
	s_or_b32 exec_lo, exec_lo, s2
	s_mov_b32 s2, exec_lo
	v_cmpx_gt_u32_e64 s4, v12
	s_cbranch_execnz .LBB1571_7
	s_branch .LBB1571_8
.LBB1571_48:
	ds_load_b64 v[10:11], v14
	s_wait_dscnt 0x0
	global_store_b64 v[2:3], v[10:11], off
	s_wait_xcnt 0x0
	s_or_b32 exec_lo, exec_lo, s1
	s_delay_alu instid0(SALU_CYCLE_1)
	s_mov_b32 s1, exec_lo
	v_cmpx_gt_u32_e64 s0, v13
	s_cbranch_execz .LBB1571_40
.LBB1571_49:
	s_wait_dscnt 0x2
	global_store_b64 v[2:3], v[8:9], off offset:2048
	s_wait_xcnt 0x0
	s_or_b32 exec_lo, exec_lo, s1
	s_delay_alu instid0(SALU_CYCLE_1)
	s_mov_b32 s1, exec_lo
	v_cmpx_gt_u32_e64 s0, v12
	s_cbranch_execnz .LBB1571_41
	s_branch .LBB1571_42
	.section	.rodata,"a",@progbits
	.p2align	6, 0x0
	.amdhsa_kernel _ZN7rocprim17ROCPRIM_400000_NS6detail17trampoline_kernelINS0_14default_configENS1_38merge_sort_block_merge_config_selectorIdNS0_10empty_typeEEEZZNS1_27merge_sort_block_merge_implIS3_PdPS5_jNS1_19radix_merge_compareILb0ELb0EdNS0_19identity_decomposerEEEEE10hipError_tT0_T1_T2_jT3_P12ihipStream_tbPNSt15iterator_traitsISE_E10value_typeEPNSK_ISF_E10value_typeEPSG_NS1_7vsmem_tEENKUlT_SE_SF_SG_E_clIS8_S8_S9_S9_EESD_ST_SE_SF_SG_EUlST_E0_NS1_11comp_targetILNS1_3genE0ELNS1_11target_archE4294967295ELNS1_3gpuE0ELNS1_3repE0EEENS1_38merge_mergepath_config_static_selectorELNS0_4arch9wavefront6targetE0EEEvSF_
		.amdhsa_group_segment_fixed_size 8448
		.amdhsa_private_segment_fixed_size 0
		.amdhsa_kernarg_size 320
		.amdhsa_user_sgpr_count 2
		.amdhsa_user_sgpr_dispatch_ptr 0
		.amdhsa_user_sgpr_queue_ptr 0
		.amdhsa_user_sgpr_kernarg_segment_ptr 1
		.amdhsa_user_sgpr_dispatch_id 0
		.amdhsa_user_sgpr_kernarg_preload_length 0
		.amdhsa_user_sgpr_kernarg_preload_offset 0
		.amdhsa_user_sgpr_private_segment_size 0
		.amdhsa_wavefront_size32 1
		.amdhsa_uses_dynamic_stack 0
		.amdhsa_enable_private_segment 0
		.amdhsa_system_sgpr_workgroup_id_x 1
		.amdhsa_system_sgpr_workgroup_id_y 1
		.amdhsa_system_sgpr_workgroup_id_z 1
		.amdhsa_system_sgpr_workgroup_info 0
		.amdhsa_system_vgpr_workitem_id 0
		.amdhsa_next_free_vgpr 26
		.amdhsa_next_free_sgpr 22
		.amdhsa_named_barrier_count 0
		.amdhsa_reserve_vcc 1
		.amdhsa_float_round_mode_32 0
		.amdhsa_float_round_mode_16_64 0
		.amdhsa_float_denorm_mode_32 3
		.amdhsa_float_denorm_mode_16_64 3
		.amdhsa_fp16_overflow 0
		.amdhsa_memory_ordered 1
		.amdhsa_forward_progress 1
		.amdhsa_inst_pref_size 24
		.amdhsa_round_robin_scheduling 0
		.amdhsa_exception_fp_ieee_invalid_op 0
		.amdhsa_exception_fp_denorm_src 0
		.amdhsa_exception_fp_ieee_div_zero 0
		.amdhsa_exception_fp_ieee_overflow 0
		.amdhsa_exception_fp_ieee_underflow 0
		.amdhsa_exception_fp_ieee_inexact 0
		.amdhsa_exception_int_div_zero 0
	.end_amdhsa_kernel
	.section	.text._ZN7rocprim17ROCPRIM_400000_NS6detail17trampoline_kernelINS0_14default_configENS1_38merge_sort_block_merge_config_selectorIdNS0_10empty_typeEEEZZNS1_27merge_sort_block_merge_implIS3_PdPS5_jNS1_19radix_merge_compareILb0ELb0EdNS0_19identity_decomposerEEEEE10hipError_tT0_T1_T2_jT3_P12ihipStream_tbPNSt15iterator_traitsISE_E10value_typeEPNSK_ISF_E10value_typeEPSG_NS1_7vsmem_tEENKUlT_SE_SF_SG_E_clIS8_S8_S9_S9_EESD_ST_SE_SF_SG_EUlST_E0_NS1_11comp_targetILNS1_3genE0ELNS1_11target_archE4294967295ELNS1_3gpuE0ELNS1_3repE0EEENS1_38merge_mergepath_config_static_selectorELNS0_4arch9wavefront6targetE0EEEvSF_,"axG",@progbits,_ZN7rocprim17ROCPRIM_400000_NS6detail17trampoline_kernelINS0_14default_configENS1_38merge_sort_block_merge_config_selectorIdNS0_10empty_typeEEEZZNS1_27merge_sort_block_merge_implIS3_PdPS5_jNS1_19radix_merge_compareILb0ELb0EdNS0_19identity_decomposerEEEEE10hipError_tT0_T1_T2_jT3_P12ihipStream_tbPNSt15iterator_traitsISE_E10value_typeEPNSK_ISF_E10value_typeEPSG_NS1_7vsmem_tEENKUlT_SE_SF_SG_E_clIS8_S8_S9_S9_EESD_ST_SE_SF_SG_EUlST_E0_NS1_11comp_targetILNS1_3genE0ELNS1_11target_archE4294967295ELNS1_3gpuE0ELNS1_3repE0EEENS1_38merge_mergepath_config_static_selectorELNS0_4arch9wavefront6targetE0EEEvSF_,comdat
.Lfunc_end1571:
	.size	_ZN7rocprim17ROCPRIM_400000_NS6detail17trampoline_kernelINS0_14default_configENS1_38merge_sort_block_merge_config_selectorIdNS0_10empty_typeEEEZZNS1_27merge_sort_block_merge_implIS3_PdPS5_jNS1_19radix_merge_compareILb0ELb0EdNS0_19identity_decomposerEEEEE10hipError_tT0_T1_T2_jT3_P12ihipStream_tbPNSt15iterator_traitsISE_E10value_typeEPNSK_ISF_E10value_typeEPSG_NS1_7vsmem_tEENKUlT_SE_SF_SG_E_clIS8_S8_S9_S9_EESD_ST_SE_SF_SG_EUlST_E0_NS1_11comp_targetILNS1_3genE0ELNS1_11target_archE4294967295ELNS1_3gpuE0ELNS1_3repE0EEENS1_38merge_mergepath_config_static_selectorELNS0_4arch9wavefront6targetE0EEEvSF_, .Lfunc_end1571-_ZN7rocprim17ROCPRIM_400000_NS6detail17trampoline_kernelINS0_14default_configENS1_38merge_sort_block_merge_config_selectorIdNS0_10empty_typeEEEZZNS1_27merge_sort_block_merge_implIS3_PdPS5_jNS1_19radix_merge_compareILb0ELb0EdNS0_19identity_decomposerEEEEE10hipError_tT0_T1_T2_jT3_P12ihipStream_tbPNSt15iterator_traitsISE_E10value_typeEPNSK_ISF_E10value_typeEPSG_NS1_7vsmem_tEENKUlT_SE_SF_SG_E_clIS8_S8_S9_S9_EESD_ST_SE_SF_SG_EUlST_E0_NS1_11comp_targetILNS1_3genE0ELNS1_11target_archE4294967295ELNS1_3gpuE0ELNS1_3repE0EEENS1_38merge_mergepath_config_static_selectorELNS0_4arch9wavefront6targetE0EEEvSF_
                                        ; -- End function
	.set _ZN7rocprim17ROCPRIM_400000_NS6detail17trampoline_kernelINS0_14default_configENS1_38merge_sort_block_merge_config_selectorIdNS0_10empty_typeEEEZZNS1_27merge_sort_block_merge_implIS3_PdPS5_jNS1_19radix_merge_compareILb0ELb0EdNS0_19identity_decomposerEEEEE10hipError_tT0_T1_T2_jT3_P12ihipStream_tbPNSt15iterator_traitsISE_E10value_typeEPNSK_ISF_E10value_typeEPSG_NS1_7vsmem_tEENKUlT_SE_SF_SG_E_clIS8_S8_S9_S9_EESD_ST_SE_SF_SG_EUlST_E0_NS1_11comp_targetILNS1_3genE0ELNS1_11target_archE4294967295ELNS1_3gpuE0ELNS1_3repE0EEENS1_38merge_mergepath_config_static_selectorELNS0_4arch9wavefront6targetE0EEEvSF_.num_vgpr, 26
	.set _ZN7rocprim17ROCPRIM_400000_NS6detail17trampoline_kernelINS0_14default_configENS1_38merge_sort_block_merge_config_selectorIdNS0_10empty_typeEEEZZNS1_27merge_sort_block_merge_implIS3_PdPS5_jNS1_19radix_merge_compareILb0ELb0EdNS0_19identity_decomposerEEEEE10hipError_tT0_T1_T2_jT3_P12ihipStream_tbPNSt15iterator_traitsISE_E10value_typeEPNSK_ISF_E10value_typeEPSG_NS1_7vsmem_tEENKUlT_SE_SF_SG_E_clIS8_S8_S9_S9_EESD_ST_SE_SF_SG_EUlST_E0_NS1_11comp_targetILNS1_3genE0ELNS1_11target_archE4294967295ELNS1_3gpuE0ELNS1_3repE0EEENS1_38merge_mergepath_config_static_selectorELNS0_4arch9wavefront6targetE0EEEvSF_.num_agpr, 0
	.set _ZN7rocprim17ROCPRIM_400000_NS6detail17trampoline_kernelINS0_14default_configENS1_38merge_sort_block_merge_config_selectorIdNS0_10empty_typeEEEZZNS1_27merge_sort_block_merge_implIS3_PdPS5_jNS1_19radix_merge_compareILb0ELb0EdNS0_19identity_decomposerEEEEE10hipError_tT0_T1_T2_jT3_P12ihipStream_tbPNSt15iterator_traitsISE_E10value_typeEPNSK_ISF_E10value_typeEPSG_NS1_7vsmem_tEENKUlT_SE_SF_SG_E_clIS8_S8_S9_S9_EESD_ST_SE_SF_SG_EUlST_E0_NS1_11comp_targetILNS1_3genE0ELNS1_11target_archE4294967295ELNS1_3gpuE0ELNS1_3repE0EEENS1_38merge_mergepath_config_static_selectorELNS0_4arch9wavefront6targetE0EEEvSF_.numbered_sgpr, 22
	.set _ZN7rocprim17ROCPRIM_400000_NS6detail17trampoline_kernelINS0_14default_configENS1_38merge_sort_block_merge_config_selectorIdNS0_10empty_typeEEEZZNS1_27merge_sort_block_merge_implIS3_PdPS5_jNS1_19radix_merge_compareILb0ELb0EdNS0_19identity_decomposerEEEEE10hipError_tT0_T1_T2_jT3_P12ihipStream_tbPNSt15iterator_traitsISE_E10value_typeEPNSK_ISF_E10value_typeEPSG_NS1_7vsmem_tEENKUlT_SE_SF_SG_E_clIS8_S8_S9_S9_EESD_ST_SE_SF_SG_EUlST_E0_NS1_11comp_targetILNS1_3genE0ELNS1_11target_archE4294967295ELNS1_3gpuE0ELNS1_3repE0EEENS1_38merge_mergepath_config_static_selectorELNS0_4arch9wavefront6targetE0EEEvSF_.num_named_barrier, 0
	.set _ZN7rocprim17ROCPRIM_400000_NS6detail17trampoline_kernelINS0_14default_configENS1_38merge_sort_block_merge_config_selectorIdNS0_10empty_typeEEEZZNS1_27merge_sort_block_merge_implIS3_PdPS5_jNS1_19radix_merge_compareILb0ELb0EdNS0_19identity_decomposerEEEEE10hipError_tT0_T1_T2_jT3_P12ihipStream_tbPNSt15iterator_traitsISE_E10value_typeEPNSK_ISF_E10value_typeEPSG_NS1_7vsmem_tEENKUlT_SE_SF_SG_E_clIS8_S8_S9_S9_EESD_ST_SE_SF_SG_EUlST_E0_NS1_11comp_targetILNS1_3genE0ELNS1_11target_archE4294967295ELNS1_3gpuE0ELNS1_3repE0EEENS1_38merge_mergepath_config_static_selectorELNS0_4arch9wavefront6targetE0EEEvSF_.private_seg_size, 0
	.set _ZN7rocprim17ROCPRIM_400000_NS6detail17trampoline_kernelINS0_14default_configENS1_38merge_sort_block_merge_config_selectorIdNS0_10empty_typeEEEZZNS1_27merge_sort_block_merge_implIS3_PdPS5_jNS1_19radix_merge_compareILb0ELb0EdNS0_19identity_decomposerEEEEE10hipError_tT0_T1_T2_jT3_P12ihipStream_tbPNSt15iterator_traitsISE_E10value_typeEPNSK_ISF_E10value_typeEPSG_NS1_7vsmem_tEENKUlT_SE_SF_SG_E_clIS8_S8_S9_S9_EESD_ST_SE_SF_SG_EUlST_E0_NS1_11comp_targetILNS1_3genE0ELNS1_11target_archE4294967295ELNS1_3gpuE0ELNS1_3repE0EEENS1_38merge_mergepath_config_static_selectorELNS0_4arch9wavefront6targetE0EEEvSF_.uses_vcc, 1
	.set _ZN7rocprim17ROCPRIM_400000_NS6detail17trampoline_kernelINS0_14default_configENS1_38merge_sort_block_merge_config_selectorIdNS0_10empty_typeEEEZZNS1_27merge_sort_block_merge_implIS3_PdPS5_jNS1_19radix_merge_compareILb0ELb0EdNS0_19identity_decomposerEEEEE10hipError_tT0_T1_T2_jT3_P12ihipStream_tbPNSt15iterator_traitsISE_E10value_typeEPNSK_ISF_E10value_typeEPSG_NS1_7vsmem_tEENKUlT_SE_SF_SG_E_clIS8_S8_S9_S9_EESD_ST_SE_SF_SG_EUlST_E0_NS1_11comp_targetILNS1_3genE0ELNS1_11target_archE4294967295ELNS1_3gpuE0ELNS1_3repE0EEENS1_38merge_mergepath_config_static_selectorELNS0_4arch9wavefront6targetE0EEEvSF_.uses_flat_scratch, 0
	.set _ZN7rocprim17ROCPRIM_400000_NS6detail17trampoline_kernelINS0_14default_configENS1_38merge_sort_block_merge_config_selectorIdNS0_10empty_typeEEEZZNS1_27merge_sort_block_merge_implIS3_PdPS5_jNS1_19radix_merge_compareILb0ELb0EdNS0_19identity_decomposerEEEEE10hipError_tT0_T1_T2_jT3_P12ihipStream_tbPNSt15iterator_traitsISE_E10value_typeEPNSK_ISF_E10value_typeEPSG_NS1_7vsmem_tEENKUlT_SE_SF_SG_E_clIS8_S8_S9_S9_EESD_ST_SE_SF_SG_EUlST_E0_NS1_11comp_targetILNS1_3genE0ELNS1_11target_archE4294967295ELNS1_3gpuE0ELNS1_3repE0EEENS1_38merge_mergepath_config_static_selectorELNS0_4arch9wavefront6targetE0EEEvSF_.has_dyn_sized_stack, 0
	.set _ZN7rocprim17ROCPRIM_400000_NS6detail17trampoline_kernelINS0_14default_configENS1_38merge_sort_block_merge_config_selectorIdNS0_10empty_typeEEEZZNS1_27merge_sort_block_merge_implIS3_PdPS5_jNS1_19radix_merge_compareILb0ELb0EdNS0_19identity_decomposerEEEEE10hipError_tT0_T1_T2_jT3_P12ihipStream_tbPNSt15iterator_traitsISE_E10value_typeEPNSK_ISF_E10value_typeEPSG_NS1_7vsmem_tEENKUlT_SE_SF_SG_E_clIS8_S8_S9_S9_EESD_ST_SE_SF_SG_EUlST_E0_NS1_11comp_targetILNS1_3genE0ELNS1_11target_archE4294967295ELNS1_3gpuE0ELNS1_3repE0EEENS1_38merge_mergepath_config_static_selectorELNS0_4arch9wavefront6targetE0EEEvSF_.has_recursion, 0
	.set _ZN7rocprim17ROCPRIM_400000_NS6detail17trampoline_kernelINS0_14default_configENS1_38merge_sort_block_merge_config_selectorIdNS0_10empty_typeEEEZZNS1_27merge_sort_block_merge_implIS3_PdPS5_jNS1_19radix_merge_compareILb0ELb0EdNS0_19identity_decomposerEEEEE10hipError_tT0_T1_T2_jT3_P12ihipStream_tbPNSt15iterator_traitsISE_E10value_typeEPNSK_ISF_E10value_typeEPSG_NS1_7vsmem_tEENKUlT_SE_SF_SG_E_clIS8_S8_S9_S9_EESD_ST_SE_SF_SG_EUlST_E0_NS1_11comp_targetILNS1_3genE0ELNS1_11target_archE4294967295ELNS1_3gpuE0ELNS1_3repE0EEENS1_38merge_mergepath_config_static_selectorELNS0_4arch9wavefront6targetE0EEEvSF_.has_indirect_call, 0
	.section	.AMDGPU.csdata,"",@progbits
; Kernel info:
; codeLenInByte = 3016
; TotalNumSgprs: 24
; NumVgprs: 26
; ScratchSize: 0
; MemoryBound: 0
; FloatMode: 240
; IeeeMode: 1
; LDSByteSize: 8448 bytes/workgroup (compile time only)
; SGPRBlocks: 0
; VGPRBlocks: 1
; NumSGPRsForWavesPerEU: 24
; NumVGPRsForWavesPerEU: 26
; NamedBarCnt: 0
; Occupancy: 16
; WaveLimiterHint : 1
; COMPUTE_PGM_RSRC2:SCRATCH_EN: 0
; COMPUTE_PGM_RSRC2:USER_SGPR: 2
; COMPUTE_PGM_RSRC2:TRAP_HANDLER: 0
; COMPUTE_PGM_RSRC2:TGID_X_EN: 1
; COMPUTE_PGM_RSRC2:TGID_Y_EN: 1
; COMPUTE_PGM_RSRC2:TGID_Z_EN: 1
; COMPUTE_PGM_RSRC2:TIDIG_COMP_CNT: 0
	.section	.text._ZN7rocprim17ROCPRIM_400000_NS6detail17trampoline_kernelINS0_14default_configENS1_38merge_sort_block_merge_config_selectorIdNS0_10empty_typeEEEZZNS1_27merge_sort_block_merge_implIS3_PdPS5_jNS1_19radix_merge_compareILb0ELb0EdNS0_19identity_decomposerEEEEE10hipError_tT0_T1_T2_jT3_P12ihipStream_tbPNSt15iterator_traitsISE_E10value_typeEPNSK_ISF_E10value_typeEPSG_NS1_7vsmem_tEENKUlT_SE_SF_SG_E_clIS8_S8_S9_S9_EESD_ST_SE_SF_SG_EUlST_E0_NS1_11comp_targetILNS1_3genE10ELNS1_11target_archE1201ELNS1_3gpuE5ELNS1_3repE0EEENS1_38merge_mergepath_config_static_selectorELNS0_4arch9wavefront6targetE0EEEvSF_,"axG",@progbits,_ZN7rocprim17ROCPRIM_400000_NS6detail17trampoline_kernelINS0_14default_configENS1_38merge_sort_block_merge_config_selectorIdNS0_10empty_typeEEEZZNS1_27merge_sort_block_merge_implIS3_PdPS5_jNS1_19radix_merge_compareILb0ELb0EdNS0_19identity_decomposerEEEEE10hipError_tT0_T1_T2_jT3_P12ihipStream_tbPNSt15iterator_traitsISE_E10value_typeEPNSK_ISF_E10value_typeEPSG_NS1_7vsmem_tEENKUlT_SE_SF_SG_E_clIS8_S8_S9_S9_EESD_ST_SE_SF_SG_EUlST_E0_NS1_11comp_targetILNS1_3genE10ELNS1_11target_archE1201ELNS1_3gpuE5ELNS1_3repE0EEENS1_38merge_mergepath_config_static_selectorELNS0_4arch9wavefront6targetE0EEEvSF_,comdat
	.protected	_ZN7rocprim17ROCPRIM_400000_NS6detail17trampoline_kernelINS0_14default_configENS1_38merge_sort_block_merge_config_selectorIdNS0_10empty_typeEEEZZNS1_27merge_sort_block_merge_implIS3_PdPS5_jNS1_19radix_merge_compareILb0ELb0EdNS0_19identity_decomposerEEEEE10hipError_tT0_T1_T2_jT3_P12ihipStream_tbPNSt15iterator_traitsISE_E10value_typeEPNSK_ISF_E10value_typeEPSG_NS1_7vsmem_tEENKUlT_SE_SF_SG_E_clIS8_S8_S9_S9_EESD_ST_SE_SF_SG_EUlST_E0_NS1_11comp_targetILNS1_3genE10ELNS1_11target_archE1201ELNS1_3gpuE5ELNS1_3repE0EEENS1_38merge_mergepath_config_static_selectorELNS0_4arch9wavefront6targetE0EEEvSF_ ; -- Begin function _ZN7rocprim17ROCPRIM_400000_NS6detail17trampoline_kernelINS0_14default_configENS1_38merge_sort_block_merge_config_selectorIdNS0_10empty_typeEEEZZNS1_27merge_sort_block_merge_implIS3_PdPS5_jNS1_19radix_merge_compareILb0ELb0EdNS0_19identity_decomposerEEEEE10hipError_tT0_T1_T2_jT3_P12ihipStream_tbPNSt15iterator_traitsISE_E10value_typeEPNSK_ISF_E10value_typeEPSG_NS1_7vsmem_tEENKUlT_SE_SF_SG_E_clIS8_S8_S9_S9_EESD_ST_SE_SF_SG_EUlST_E0_NS1_11comp_targetILNS1_3genE10ELNS1_11target_archE1201ELNS1_3gpuE5ELNS1_3repE0EEENS1_38merge_mergepath_config_static_selectorELNS0_4arch9wavefront6targetE0EEEvSF_
	.globl	_ZN7rocprim17ROCPRIM_400000_NS6detail17trampoline_kernelINS0_14default_configENS1_38merge_sort_block_merge_config_selectorIdNS0_10empty_typeEEEZZNS1_27merge_sort_block_merge_implIS3_PdPS5_jNS1_19radix_merge_compareILb0ELb0EdNS0_19identity_decomposerEEEEE10hipError_tT0_T1_T2_jT3_P12ihipStream_tbPNSt15iterator_traitsISE_E10value_typeEPNSK_ISF_E10value_typeEPSG_NS1_7vsmem_tEENKUlT_SE_SF_SG_E_clIS8_S8_S9_S9_EESD_ST_SE_SF_SG_EUlST_E0_NS1_11comp_targetILNS1_3genE10ELNS1_11target_archE1201ELNS1_3gpuE5ELNS1_3repE0EEENS1_38merge_mergepath_config_static_selectorELNS0_4arch9wavefront6targetE0EEEvSF_
	.p2align	8
	.type	_ZN7rocprim17ROCPRIM_400000_NS6detail17trampoline_kernelINS0_14default_configENS1_38merge_sort_block_merge_config_selectorIdNS0_10empty_typeEEEZZNS1_27merge_sort_block_merge_implIS3_PdPS5_jNS1_19radix_merge_compareILb0ELb0EdNS0_19identity_decomposerEEEEE10hipError_tT0_T1_T2_jT3_P12ihipStream_tbPNSt15iterator_traitsISE_E10value_typeEPNSK_ISF_E10value_typeEPSG_NS1_7vsmem_tEENKUlT_SE_SF_SG_E_clIS8_S8_S9_S9_EESD_ST_SE_SF_SG_EUlST_E0_NS1_11comp_targetILNS1_3genE10ELNS1_11target_archE1201ELNS1_3gpuE5ELNS1_3repE0EEENS1_38merge_mergepath_config_static_selectorELNS0_4arch9wavefront6targetE0EEEvSF_,@function
_ZN7rocprim17ROCPRIM_400000_NS6detail17trampoline_kernelINS0_14default_configENS1_38merge_sort_block_merge_config_selectorIdNS0_10empty_typeEEEZZNS1_27merge_sort_block_merge_implIS3_PdPS5_jNS1_19radix_merge_compareILb0ELb0EdNS0_19identity_decomposerEEEEE10hipError_tT0_T1_T2_jT3_P12ihipStream_tbPNSt15iterator_traitsISE_E10value_typeEPNSK_ISF_E10value_typeEPSG_NS1_7vsmem_tEENKUlT_SE_SF_SG_E_clIS8_S8_S9_S9_EESD_ST_SE_SF_SG_EUlST_E0_NS1_11comp_targetILNS1_3genE10ELNS1_11target_archE1201ELNS1_3gpuE5ELNS1_3repE0EEENS1_38merge_mergepath_config_static_selectorELNS0_4arch9wavefront6targetE0EEEvSF_: ; @_ZN7rocprim17ROCPRIM_400000_NS6detail17trampoline_kernelINS0_14default_configENS1_38merge_sort_block_merge_config_selectorIdNS0_10empty_typeEEEZZNS1_27merge_sort_block_merge_implIS3_PdPS5_jNS1_19radix_merge_compareILb0ELb0EdNS0_19identity_decomposerEEEEE10hipError_tT0_T1_T2_jT3_P12ihipStream_tbPNSt15iterator_traitsISE_E10value_typeEPNSK_ISF_E10value_typeEPSG_NS1_7vsmem_tEENKUlT_SE_SF_SG_E_clIS8_S8_S9_S9_EESD_ST_SE_SF_SG_EUlST_E0_NS1_11comp_targetILNS1_3genE10ELNS1_11target_archE1201ELNS1_3gpuE5ELNS1_3repE0EEENS1_38merge_mergepath_config_static_selectorELNS0_4arch9wavefront6targetE0EEEvSF_
; %bb.0:
	.section	.rodata,"a",@progbits
	.p2align	6, 0x0
	.amdhsa_kernel _ZN7rocprim17ROCPRIM_400000_NS6detail17trampoline_kernelINS0_14default_configENS1_38merge_sort_block_merge_config_selectorIdNS0_10empty_typeEEEZZNS1_27merge_sort_block_merge_implIS3_PdPS5_jNS1_19radix_merge_compareILb0ELb0EdNS0_19identity_decomposerEEEEE10hipError_tT0_T1_T2_jT3_P12ihipStream_tbPNSt15iterator_traitsISE_E10value_typeEPNSK_ISF_E10value_typeEPSG_NS1_7vsmem_tEENKUlT_SE_SF_SG_E_clIS8_S8_S9_S9_EESD_ST_SE_SF_SG_EUlST_E0_NS1_11comp_targetILNS1_3genE10ELNS1_11target_archE1201ELNS1_3gpuE5ELNS1_3repE0EEENS1_38merge_mergepath_config_static_selectorELNS0_4arch9wavefront6targetE0EEEvSF_
		.amdhsa_group_segment_fixed_size 0
		.amdhsa_private_segment_fixed_size 0
		.amdhsa_kernarg_size 64
		.amdhsa_user_sgpr_count 2
		.amdhsa_user_sgpr_dispatch_ptr 0
		.amdhsa_user_sgpr_queue_ptr 0
		.amdhsa_user_sgpr_kernarg_segment_ptr 1
		.amdhsa_user_sgpr_dispatch_id 0
		.amdhsa_user_sgpr_kernarg_preload_length 0
		.amdhsa_user_sgpr_kernarg_preload_offset 0
		.amdhsa_user_sgpr_private_segment_size 0
		.amdhsa_wavefront_size32 1
		.amdhsa_uses_dynamic_stack 0
		.amdhsa_enable_private_segment 0
		.amdhsa_system_sgpr_workgroup_id_x 1
		.amdhsa_system_sgpr_workgroup_id_y 0
		.amdhsa_system_sgpr_workgroup_id_z 0
		.amdhsa_system_sgpr_workgroup_info 0
		.amdhsa_system_vgpr_workitem_id 0
		.amdhsa_next_free_vgpr 1
		.amdhsa_next_free_sgpr 1
		.amdhsa_named_barrier_count 0
		.amdhsa_reserve_vcc 0
		.amdhsa_float_round_mode_32 0
		.amdhsa_float_round_mode_16_64 0
		.amdhsa_float_denorm_mode_32 3
		.amdhsa_float_denorm_mode_16_64 3
		.amdhsa_fp16_overflow 0
		.amdhsa_memory_ordered 1
		.amdhsa_forward_progress 1
		.amdhsa_inst_pref_size 0
		.amdhsa_round_robin_scheduling 0
		.amdhsa_exception_fp_ieee_invalid_op 0
		.amdhsa_exception_fp_denorm_src 0
		.amdhsa_exception_fp_ieee_div_zero 0
		.amdhsa_exception_fp_ieee_overflow 0
		.amdhsa_exception_fp_ieee_underflow 0
		.amdhsa_exception_fp_ieee_inexact 0
		.amdhsa_exception_int_div_zero 0
	.end_amdhsa_kernel
	.section	.text._ZN7rocprim17ROCPRIM_400000_NS6detail17trampoline_kernelINS0_14default_configENS1_38merge_sort_block_merge_config_selectorIdNS0_10empty_typeEEEZZNS1_27merge_sort_block_merge_implIS3_PdPS5_jNS1_19radix_merge_compareILb0ELb0EdNS0_19identity_decomposerEEEEE10hipError_tT0_T1_T2_jT3_P12ihipStream_tbPNSt15iterator_traitsISE_E10value_typeEPNSK_ISF_E10value_typeEPSG_NS1_7vsmem_tEENKUlT_SE_SF_SG_E_clIS8_S8_S9_S9_EESD_ST_SE_SF_SG_EUlST_E0_NS1_11comp_targetILNS1_3genE10ELNS1_11target_archE1201ELNS1_3gpuE5ELNS1_3repE0EEENS1_38merge_mergepath_config_static_selectorELNS0_4arch9wavefront6targetE0EEEvSF_,"axG",@progbits,_ZN7rocprim17ROCPRIM_400000_NS6detail17trampoline_kernelINS0_14default_configENS1_38merge_sort_block_merge_config_selectorIdNS0_10empty_typeEEEZZNS1_27merge_sort_block_merge_implIS3_PdPS5_jNS1_19radix_merge_compareILb0ELb0EdNS0_19identity_decomposerEEEEE10hipError_tT0_T1_T2_jT3_P12ihipStream_tbPNSt15iterator_traitsISE_E10value_typeEPNSK_ISF_E10value_typeEPSG_NS1_7vsmem_tEENKUlT_SE_SF_SG_E_clIS8_S8_S9_S9_EESD_ST_SE_SF_SG_EUlST_E0_NS1_11comp_targetILNS1_3genE10ELNS1_11target_archE1201ELNS1_3gpuE5ELNS1_3repE0EEENS1_38merge_mergepath_config_static_selectorELNS0_4arch9wavefront6targetE0EEEvSF_,comdat
.Lfunc_end1572:
	.size	_ZN7rocprim17ROCPRIM_400000_NS6detail17trampoline_kernelINS0_14default_configENS1_38merge_sort_block_merge_config_selectorIdNS0_10empty_typeEEEZZNS1_27merge_sort_block_merge_implIS3_PdPS5_jNS1_19radix_merge_compareILb0ELb0EdNS0_19identity_decomposerEEEEE10hipError_tT0_T1_T2_jT3_P12ihipStream_tbPNSt15iterator_traitsISE_E10value_typeEPNSK_ISF_E10value_typeEPSG_NS1_7vsmem_tEENKUlT_SE_SF_SG_E_clIS8_S8_S9_S9_EESD_ST_SE_SF_SG_EUlST_E0_NS1_11comp_targetILNS1_3genE10ELNS1_11target_archE1201ELNS1_3gpuE5ELNS1_3repE0EEENS1_38merge_mergepath_config_static_selectorELNS0_4arch9wavefront6targetE0EEEvSF_, .Lfunc_end1572-_ZN7rocprim17ROCPRIM_400000_NS6detail17trampoline_kernelINS0_14default_configENS1_38merge_sort_block_merge_config_selectorIdNS0_10empty_typeEEEZZNS1_27merge_sort_block_merge_implIS3_PdPS5_jNS1_19radix_merge_compareILb0ELb0EdNS0_19identity_decomposerEEEEE10hipError_tT0_T1_T2_jT3_P12ihipStream_tbPNSt15iterator_traitsISE_E10value_typeEPNSK_ISF_E10value_typeEPSG_NS1_7vsmem_tEENKUlT_SE_SF_SG_E_clIS8_S8_S9_S9_EESD_ST_SE_SF_SG_EUlST_E0_NS1_11comp_targetILNS1_3genE10ELNS1_11target_archE1201ELNS1_3gpuE5ELNS1_3repE0EEENS1_38merge_mergepath_config_static_selectorELNS0_4arch9wavefront6targetE0EEEvSF_
                                        ; -- End function
	.set _ZN7rocprim17ROCPRIM_400000_NS6detail17trampoline_kernelINS0_14default_configENS1_38merge_sort_block_merge_config_selectorIdNS0_10empty_typeEEEZZNS1_27merge_sort_block_merge_implIS3_PdPS5_jNS1_19radix_merge_compareILb0ELb0EdNS0_19identity_decomposerEEEEE10hipError_tT0_T1_T2_jT3_P12ihipStream_tbPNSt15iterator_traitsISE_E10value_typeEPNSK_ISF_E10value_typeEPSG_NS1_7vsmem_tEENKUlT_SE_SF_SG_E_clIS8_S8_S9_S9_EESD_ST_SE_SF_SG_EUlST_E0_NS1_11comp_targetILNS1_3genE10ELNS1_11target_archE1201ELNS1_3gpuE5ELNS1_3repE0EEENS1_38merge_mergepath_config_static_selectorELNS0_4arch9wavefront6targetE0EEEvSF_.num_vgpr, 0
	.set _ZN7rocprim17ROCPRIM_400000_NS6detail17trampoline_kernelINS0_14default_configENS1_38merge_sort_block_merge_config_selectorIdNS0_10empty_typeEEEZZNS1_27merge_sort_block_merge_implIS3_PdPS5_jNS1_19radix_merge_compareILb0ELb0EdNS0_19identity_decomposerEEEEE10hipError_tT0_T1_T2_jT3_P12ihipStream_tbPNSt15iterator_traitsISE_E10value_typeEPNSK_ISF_E10value_typeEPSG_NS1_7vsmem_tEENKUlT_SE_SF_SG_E_clIS8_S8_S9_S9_EESD_ST_SE_SF_SG_EUlST_E0_NS1_11comp_targetILNS1_3genE10ELNS1_11target_archE1201ELNS1_3gpuE5ELNS1_3repE0EEENS1_38merge_mergepath_config_static_selectorELNS0_4arch9wavefront6targetE0EEEvSF_.num_agpr, 0
	.set _ZN7rocprim17ROCPRIM_400000_NS6detail17trampoline_kernelINS0_14default_configENS1_38merge_sort_block_merge_config_selectorIdNS0_10empty_typeEEEZZNS1_27merge_sort_block_merge_implIS3_PdPS5_jNS1_19radix_merge_compareILb0ELb0EdNS0_19identity_decomposerEEEEE10hipError_tT0_T1_T2_jT3_P12ihipStream_tbPNSt15iterator_traitsISE_E10value_typeEPNSK_ISF_E10value_typeEPSG_NS1_7vsmem_tEENKUlT_SE_SF_SG_E_clIS8_S8_S9_S9_EESD_ST_SE_SF_SG_EUlST_E0_NS1_11comp_targetILNS1_3genE10ELNS1_11target_archE1201ELNS1_3gpuE5ELNS1_3repE0EEENS1_38merge_mergepath_config_static_selectorELNS0_4arch9wavefront6targetE0EEEvSF_.numbered_sgpr, 0
	.set _ZN7rocprim17ROCPRIM_400000_NS6detail17trampoline_kernelINS0_14default_configENS1_38merge_sort_block_merge_config_selectorIdNS0_10empty_typeEEEZZNS1_27merge_sort_block_merge_implIS3_PdPS5_jNS1_19radix_merge_compareILb0ELb0EdNS0_19identity_decomposerEEEEE10hipError_tT0_T1_T2_jT3_P12ihipStream_tbPNSt15iterator_traitsISE_E10value_typeEPNSK_ISF_E10value_typeEPSG_NS1_7vsmem_tEENKUlT_SE_SF_SG_E_clIS8_S8_S9_S9_EESD_ST_SE_SF_SG_EUlST_E0_NS1_11comp_targetILNS1_3genE10ELNS1_11target_archE1201ELNS1_3gpuE5ELNS1_3repE0EEENS1_38merge_mergepath_config_static_selectorELNS0_4arch9wavefront6targetE0EEEvSF_.num_named_barrier, 0
	.set _ZN7rocprim17ROCPRIM_400000_NS6detail17trampoline_kernelINS0_14default_configENS1_38merge_sort_block_merge_config_selectorIdNS0_10empty_typeEEEZZNS1_27merge_sort_block_merge_implIS3_PdPS5_jNS1_19radix_merge_compareILb0ELb0EdNS0_19identity_decomposerEEEEE10hipError_tT0_T1_T2_jT3_P12ihipStream_tbPNSt15iterator_traitsISE_E10value_typeEPNSK_ISF_E10value_typeEPSG_NS1_7vsmem_tEENKUlT_SE_SF_SG_E_clIS8_S8_S9_S9_EESD_ST_SE_SF_SG_EUlST_E0_NS1_11comp_targetILNS1_3genE10ELNS1_11target_archE1201ELNS1_3gpuE5ELNS1_3repE0EEENS1_38merge_mergepath_config_static_selectorELNS0_4arch9wavefront6targetE0EEEvSF_.private_seg_size, 0
	.set _ZN7rocprim17ROCPRIM_400000_NS6detail17trampoline_kernelINS0_14default_configENS1_38merge_sort_block_merge_config_selectorIdNS0_10empty_typeEEEZZNS1_27merge_sort_block_merge_implIS3_PdPS5_jNS1_19radix_merge_compareILb0ELb0EdNS0_19identity_decomposerEEEEE10hipError_tT0_T1_T2_jT3_P12ihipStream_tbPNSt15iterator_traitsISE_E10value_typeEPNSK_ISF_E10value_typeEPSG_NS1_7vsmem_tEENKUlT_SE_SF_SG_E_clIS8_S8_S9_S9_EESD_ST_SE_SF_SG_EUlST_E0_NS1_11comp_targetILNS1_3genE10ELNS1_11target_archE1201ELNS1_3gpuE5ELNS1_3repE0EEENS1_38merge_mergepath_config_static_selectorELNS0_4arch9wavefront6targetE0EEEvSF_.uses_vcc, 0
	.set _ZN7rocprim17ROCPRIM_400000_NS6detail17trampoline_kernelINS0_14default_configENS1_38merge_sort_block_merge_config_selectorIdNS0_10empty_typeEEEZZNS1_27merge_sort_block_merge_implIS3_PdPS5_jNS1_19radix_merge_compareILb0ELb0EdNS0_19identity_decomposerEEEEE10hipError_tT0_T1_T2_jT3_P12ihipStream_tbPNSt15iterator_traitsISE_E10value_typeEPNSK_ISF_E10value_typeEPSG_NS1_7vsmem_tEENKUlT_SE_SF_SG_E_clIS8_S8_S9_S9_EESD_ST_SE_SF_SG_EUlST_E0_NS1_11comp_targetILNS1_3genE10ELNS1_11target_archE1201ELNS1_3gpuE5ELNS1_3repE0EEENS1_38merge_mergepath_config_static_selectorELNS0_4arch9wavefront6targetE0EEEvSF_.uses_flat_scratch, 0
	.set _ZN7rocprim17ROCPRIM_400000_NS6detail17trampoline_kernelINS0_14default_configENS1_38merge_sort_block_merge_config_selectorIdNS0_10empty_typeEEEZZNS1_27merge_sort_block_merge_implIS3_PdPS5_jNS1_19radix_merge_compareILb0ELb0EdNS0_19identity_decomposerEEEEE10hipError_tT0_T1_T2_jT3_P12ihipStream_tbPNSt15iterator_traitsISE_E10value_typeEPNSK_ISF_E10value_typeEPSG_NS1_7vsmem_tEENKUlT_SE_SF_SG_E_clIS8_S8_S9_S9_EESD_ST_SE_SF_SG_EUlST_E0_NS1_11comp_targetILNS1_3genE10ELNS1_11target_archE1201ELNS1_3gpuE5ELNS1_3repE0EEENS1_38merge_mergepath_config_static_selectorELNS0_4arch9wavefront6targetE0EEEvSF_.has_dyn_sized_stack, 0
	.set _ZN7rocprim17ROCPRIM_400000_NS6detail17trampoline_kernelINS0_14default_configENS1_38merge_sort_block_merge_config_selectorIdNS0_10empty_typeEEEZZNS1_27merge_sort_block_merge_implIS3_PdPS5_jNS1_19radix_merge_compareILb0ELb0EdNS0_19identity_decomposerEEEEE10hipError_tT0_T1_T2_jT3_P12ihipStream_tbPNSt15iterator_traitsISE_E10value_typeEPNSK_ISF_E10value_typeEPSG_NS1_7vsmem_tEENKUlT_SE_SF_SG_E_clIS8_S8_S9_S9_EESD_ST_SE_SF_SG_EUlST_E0_NS1_11comp_targetILNS1_3genE10ELNS1_11target_archE1201ELNS1_3gpuE5ELNS1_3repE0EEENS1_38merge_mergepath_config_static_selectorELNS0_4arch9wavefront6targetE0EEEvSF_.has_recursion, 0
	.set _ZN7rocprim17ROCPRIM_400000_NS6detail17trampoline_kernelINS0_14default_configENS1_38merge_sort_block_merge_config_selectorIdNS0_10empty_typeEEEZZNS1_27merge_sort_block_merge_implIS3_PdPS5_jNS1_19radix_merge_compareILb0ELb0EdNS0_19identity_decomposerEEEEE10hipError_tT0_T1_T2_jT3_P12ihipStream_tbPNSt15iterator_traitsISE_E10value_typeEPNSK_ISF_E10value_typeEPSG_NS1_7vsmem_tEENKUlT_SE_SF_SG_E_clIS8_S8_S9_S9_EESD_ST_SE_SF_SG_EUlST_E0_NS1_11comp_targetILNS1_3genE10ELNS1_11target_archE1201ELNS1_3gpuE5ELNS1_3repE0EEENS1_38merge_mergepath_config_static_selectorELNS0_4arch9wavefront6targetE0EEEvSF_.has_indirect_call, 0
	.section	.AMDGPU.csdata,"",@progbits
; Kernel info:
; codeLenInByte = 0
; TotalNumSgprs: 0
; NumVgprs: 0
; ScratchSize: 0
; MemoryBound: 0
; FloatMode: 240
; IeeeMode: 1
; LDSByteSize: 0 bytes/workgroup (compile time only)
; SGPRBlocks: 0
; VGPRBlocks: 0
; NumSGPRsForWavesPerEU: 1
; NumVGPRsForWavesPerEU: 1
; NamedBarCnt: 0
; Occupancy: 16
; WaveLimiterHint : 0
; COMPUTE_PGM_RSRC2:SCRATCH_EN: 0
; COMPUTE_PGM_RSRC2:USER_SGPR: 2
; COMPUTE_PGM_RSRC2:TRAP_HANDLER: 0
; COMPUTE_PGM_RSRC2:TGID_X_EN: 1
; COMPUTE_PGM_RSRC2:TGID_Y_EN: 0
; COMPUTE_PGM_RSRC2:TGID_Z_EN: 0
; COMPUTE_PGM_RSRC2:TIDIG_COMP_CNT: 0
	.section	.text._ZN7rocprim17ROCPRIM_400000_NS6detail17trampoline_kernelINS0_14default_configENS1_38merge_sort_block_merge_config_selectorIdNS0_10empty_typeEEEZZNS1_27merge_sort_block_merge_implIS3_PdPS5_jNS1_19radix_merge_compareILb0ELb0EdNS0_19identity_decomposerEEEEE10hipError_tT0_T1_T2_jT3_P12ihipStream_tbPNSt15iterator_traitsISE_E10value_typeEPNSK_ISF_E10value_typeEPSG_NS1_7vsmem_tEENKUlT_SE_SF_SG_E_clIS8_S8_S9_S9_EESD_ST_SE_SF_SG_EUlST_E0_NS1_11comp_targetILNS1_3genE5ELNS1_11target_archE942ELNS1_3gpuE9ELNS1_3repE0EEENS1_38merge_mergepath_config_static_selectorELNS0_4arch9wavefront6targetE0EEEvSF_,"axG",@progbits,_ZN7rocprim17ROCPRIM_400000_NS6detail17trampoline_kernelINS0_14default_configENS1_38merge_sort_block_merge_config_selectorIdNS0_10empty_typeEEEZZNS1_27merge_sort_block_merge_implIS3_PdPS5_jNS1_19radix_merge_compareILb0ELb0EdNS0_19identity_decomposerEEEEE10hipError_tT0_T1_T2_jT3_P12ihipStream_tbPNSt15iterator_traitsISE_E10value_typeEPNSK_ISF_E10value_typeEPSG_NS1_7vsmem_tEENKUlT_SE_SF_SG_E_clIS8_S8_S9_S9_EESD_ST_SE_SF_SG_EUlST_E0_NS1_11comp_targetILNS1_3genE5ELNS1_11target_archE942ELNS1_3gpuE9ELNS1_3repE0EEENS1_38merge_mergepath_config_static_selectorELNS0_4arch9wavefront6targetE0EEEvSF_,comdat
	.protected	_ZN7rocprim17ROCPRIM_400000_NS6detail17trampoline_kernelINS0_14default_configENS1_38merge_sort_block_merge_config_selectorIdNS0_10empty_typeEEEZZNS1_27merge_sort_block_merge_implIS3_PdPS5_jNS1_19radix_merge_compareILb0ELb0EdNS0_19identity_decomposerEEEEE10hipError_tT0_T1_T2_jT3_P12ihipStream_tbPNSt15iterator_traitsISE_E10value_typeEPNSK_ISF_E10value_typeEPSG_NS1_7vsmem_tEENKUlT_SE_SF_SG_E_clIS8_S8_S9_S9_EESD_ST_SE_SF_SG_EUlST_E0_NS1_11comp_targetILNS1_3genE5ELNS1_11target_archE942ELNS1_3gpuE9ELNS1_3repE0EEENS1_38merge_mergepath_config_static_selectorELNS0_4arch9wavefront6targetE0EEEvSF_ ; -- Begin function _ZN7rocprim17ROCPRIM_400000_NS6detail17trampoline_kernelINS0_14default_configENS1_38merge_sort_block_merge_config_selectorIdNS0_10empty_typeEEEZZNS1_27merge_sort_block_merge_implIS3_PdPS5_jNS1_19radix_merge_compareILb0ELb0EdNS0_19identity_decomposerEEEEE10hipError_tT0_T1_T2_jT3_P12ihipStream_tbPNSt15iterator_traitsISE_E10value_typeEPNSK_ISF_E10value_typeEPSG_NS1_7vsmem_tEENKUlT_SE_SF_SG_E_clIS8_S8_S9_S9_EESD_ST_SE_SF_SG_EUlST_E0_NS1_11comp_targetILNS1_3genE5ELNS1_11target_archE942ELNS1_3gpuE9ELNS1_3repE0EEENS1_38merge_mergepath_config_static_selectorELNS0_4arch9wavefront6targetE0EEEvSF_
	.globl	_ZN7rocprim17ROCPRIM_400000_NS6detail17trampoline_kernelINS0_14default_configENS1_38merge_sort_block_merge_config_selectorIdNS0_10empty_typeEEEZZNS1_27merge_sort_block_merge_implIS3_PdPS5_jNS1_19radix_merge_compareILb0ELb0EdNS0_19identity_decomposerEEEEE10hipError_tT0_T1_T2_jT3_P12ihipStream_tbPNSt15iterator_traitsISE_E10value_typeEPNSK_ISF_E10value_typeEPSG_NS1_7vsmem_tEENKUlT_SE_SF_SG_E_clIS8_S8_S9_S9_EESD_ST_SE_SF_SG_EUlST_E0_NS1_11comp_targetILNS1_3genE5ELNS1_11target_archE942ELNS1_3gpuE9ELNS1_3repE0EEENS1_38merge_mergepath_config_static_selectorELNS0_4arch9wavefront6targetE0EEEvSF_
	.p2align	8
	.type	_ZN7rocprim17ROCPRIM_400000_NS6detail17trampoline_kernelINS0_14default_configENS1_38merge_sort_block_merge_config_selectorIdNS0_10empty_typeEEEZZNS1_27merge_sort_block_merge_implIS3_PdPS5_jNS1_19radix_merge_compareILb0ELb0EdNS0_19identity_decomposerEEEEE10hipError_tT0_T1_T2_jT3_P12ihipStream_tbPNSt15iterator_traitsISE_E10value_typeEPNSK_ISF_E10value_typeEPSG_NS1_7vsmem_tEENKUlT_SE_SF_SG_E_clIS8_S8_S9_S9_EESD_ST_SE_SF_SG_EUlST_E0_NS1_11comp_targetILNS1_3genE5ELNS1_11target_archE942ELNS1_3gpuE9ELNS1_3repE0EEENS1_38merge_mergepath_config_static_selectorELNS0_4arch9wavefront6targetE0EEEvSF_,@function
_ZN7rocprim17ROCPRIM_400000_NS6detail17trampoline_kernelINS0_14default_configENS1_38merge_sort_block_merge_config_selectorIdNS0_10empty_typeEEEZZNS1_27merge_sort_block_merge_implIS3_PdPS5_jNS1_19radix_merge_compareILb0ELb0EdNS0_19identity_decomposerEEEEE10hipError_tT0_T1_T2_jT3_P12ihipStream_tbPNSt15iterator_traitsISE_E10value_typeEPNSK_ISF_E10value_typeEPSG_NS1_7vsmem_tEENKUlT_SE_SF_SG_E_clIS8_S8_S9_S9_EESD_ST_SE_SF_SG_EUlST_E0_NS1_11comp_targetILNS1_3genE5ELNS1_11target_archE942ELNS1_3gpuE9ELNS1_3repE0EEENS1_38merge_mergepath_config_static_selectorELNS0_4arch9wavefront6targetE0EEEvSF_: ; @_ZN7rocprim17ROCPRIM_400000_NS6detail17trampoline_kernelINS0_14default_configENS1_38merge_sort_block_merge_config_selectorIdNS0_10empty_typeEEEZZNS1_27merge_sort_block_merge_implIS3_PdPS5_jNS1_19radix_merge_compareILb0ELb0EdNS0_19identity_decomposerEEEEE10hipError_tT0_T1_T2_jT3_P12ihipStream_tbPNSt15iterator_traitsISE_E10value_typeEPNSK_ISF_E10value_typeEPSG_NS1_7vsmem_tEENKUlT_SE_SF_SG_E_clIS8_S8_S9_S9_EESD_ST_SE_SF_SG_EUlST_E0_NS1_11comp_targetILNS1_3genE5ELNS1_11target_archE942ELNS1_3gpuE9ELNS1_3repE0EEENS1_38merge_mergepath_config_static_selectorELNS0_4arch9wavefront6targetE0EEEvSF_
; %bb.0:
	.section	.rodata,"a",@progbits
	.p2align	6, 0x0
	.amdhsa_kernel _ZN7rocprim17ROCPRIM_400000_NS6detail17trampoline_kernelINS0_14default_configENS1_38merge_sort_block_merge_config_selectorIdNS0_10empty_typeEEEZZNS1_27merge_sort_block_merge_implIS3_PdPS5_jNS1_19radix_merge_compareILb0ELb0EdNS0_19identity_decomposerEEEEE10hipError_tT0_T1_T2_jT3_P12ihipStream_tbPNSt15iterator_traitsISE_E10value_typeEPNSK_ISF_E10value_typeEPSG_NS1_7vsmem_tEENKUlT_SE_SF_SG_E_clIS8_S8_S9_S9_EESD_ST_SE_SF_SG_EUlST_E0_NS1_11comp_targetILNS1_3genE5ELNS1_11target_archE942ELNS1_3gpuE9ELNS1_3repE0EEENS1_38merge_mergepath_config_static_selectorELNS0_4arch9wavefront6targetE0EEEvSF_
		.amdhsa_group_segment_fixed_size 0
		.amdhsa_private_segment_fixed_size 0
		.amdhsa_kernarg_size 64
		.amdhsa_user_sgpr_count 2
		.amdhsa_user_sgpr_dispatch_ptr 0
		.amdhsa_user_sgpr_queue_ptr 0
		.amdhsa_user_sgpr_kernarg_segment_ptr 1
		.amdhsa_user_sgpr_dispatch_id 0
		.amdhsa_user_sgpr_kernarg_preload_length 0
		.amdhsa_user_sgpr_kernarg_preload_offset 0
		.amdhsa_user_sgpr_private_segment_size 0
		.amdhsa_wavefront_size32 1
		.amdhsa_uses_dynamic_stack 0
		.amdhsa_enable_private_segment 0
		.amdhsa_system_sgpr_workgroup_id_x 1
		.amdhsa_system_sgpr_workgroup_id_y 0
		.amdhsa_system_sgpr_workgroup_id_z 0
		.amdhsa_system_sgpr_workgroup_info 0
		.amdhsa_system_vgpr_workitem_id 0
		.amdhsa_next_free_vgpr 1
		.amdhsa_next_free_sgpr 1
		.amdhsa_named_barrier_count 0
		.amdhsa_reserve_vcc 0
		.amdhsa_float_round_mode_32 0
		.amdhsa_float_round_mode_16_64 0
		.amdhsa_float_denorm_mode_32 3
		.amdhsa_float_denorm_mode_16_64 3
		.amdhsa_fp16_overflow 0
		.amdhsa_memory_ordered 1
		.amdhsa_forward_progress 1
		.amdhsa_inst_pref_size 0
		.amdhsa_round_robin_scheduling 0
		.amdhsa_exception_fp_ieee_invalid_op 0
		.amdhsa_exception_fp_denorm_src 0
		.amdhsa_exception_fp_ieee_div_zero 0
		.amdhsa_exception_fp_ieee_overflow 0
		.amdhsa_exception_fp_ieee_underflow 0
		.amdhsa_exception_fp_ieee_inexact 0
		.amdhsa_exception_int_div_zero 0
	.end_amdhsa_kernel
	.section	.text._ZN7rocprim17ROCPRIM_400000_NS6detail17trampoline_kernelINS0_14default_configENS1_38merge_sort_block_merge_config_selectorIdNS0_10empty_typeEEEZZNS1_27merge_sort_block_merge_implIS3_PdPS5_jNS1_19radix_merge_compareILb0ELb0EdNS0_19identity_decomposerEEEEE10hipError_tT0_T1_T2_jT3_P12ihipStream_tbPNSt15iterator_traitsISE_E10value_typeEPNSK_ISF_E10value_typeEPSG_NS1_7vsmem_tEENKUlT_SE_SF_SG_E_clIS8_S8_S9_S9_EESD_ST_SE_SF_SG_EUlST_E0_NS1_11comp_targetILNS1_3genE5ELNS1_11target_archE942ELNS1_3gpuE9ELNS1_3repE0EEENS1_38merge_mergepath_config_static_selectorELNS0_4arch9wavefront6targetE0EEEvSF_,"axG",@progbits,_ZN7rocprim17ROCPRIM_400000_NS6detail17trampoline_kernelINS0_14default_configENS1_38merge_sort_block_merge_config_selectorIdNS0_10empty_typeEEEZZNS1_27merge_sort_block_merge_implIS3_PdPS5_jNS1_19radix_merge_compareILb0ELb0EdNS0_19identity_decomposerEEEEE10hipError_tT0_T1_T2_jT3_P12ihipStream_tbPNSt15iterator_traitsISE_E10value_typeEPNSK_ISF_E10value_typeEPSG_NS1_7vsmem_tEENKUlT_SE_SF_SG_E_clIS8_S8_S9_S9_EESD_ST_SE_SF_SG_EUlST_E0_NS1_11comp_targetILNS1_3genE5ELNS1_11target_archE942ELNS1_3gpuE9ELNS1_3repE0EEENS1_38merge_mergepath_config_static_selectorELNS0_4arch9wavefront6targetE0EEEvSF_,comdat
.Lfunc_end1573:
	.size	_ZN7rocprim17ROCPRIM_400000_NS6detail17trampoline_kernelINS0_14default_configENS1_38merge_sort_block_merge_config_selectorIdNS0_10empty_typeEEEZZNS1_27merge_sort_block_merge_implIS3_PdPS5_jNS1_19radix_merge_compareILb0ELb0EdNS0_19identity_decomposerEEEEE10hipError_tT0_T1_T2_jT3_P12ihipStream_tbPNSt15iterator_traitsISE_E10value_typeEPNSK_ISF_E10value_typeEPSG_NS1_7vsmem_tEENKUlT_SE_SF_SG_E_clIS8_S8_S9_S9_EESD_ST_SE_SF_SG_EUlST_E0_NS1_11comp_targetILNS1_3genE5ELNS1_11target_archE942ELNS1_3gpuE9ELNS1_3repE0EEENS1_38merge_mergepath_config_static_selectorELNS0_4arch9wavefront6targetE0EEEvSF_, .Lfunc_end1573-_ZN7rocprim17ROCPRIM_400000_NS6detail17trampoline_kernelINS0_14default_configENS1_38merge_sort_block_merge_config_selectorIdNS0_10empty_typeEEEZZNS1_27merge_sort_block_merge_implIS3_PdPS5_jNS1_19radix_merge_compareILb0ELb0EdNS0_19identity_decomposerEEEEE10hipError_tT0_T1_T2_jT3_P12ihipStream_tbPNSt15iterator_traitsISE_E10value_typeEPNSK_ISF_E10value_typeEPSG_NS1_7vsmem_tEENKUlT_SE_SF_SG_E_clIS8_S8_S9_S9_EESD_ST_SE_SF_SG_EUlST_E0_NS1_11comp_targetILNS1_3genE5ELNS1_11target_archE942ELNS1_3gpuE9ELNS1_3repE0EEENS1_38merge_mergepath_config_static_selectorELNS0_4arch9wavefront6targetE0EEEvSF_
                                        ; -- End function
	.set _ZN7rocprim17ROCPRIM_400000_NS6detail17trampoline_kernelINS0_14default_configENS1_38merge_sort_block_merge_config_selectorIdNS0_10empty_typeEEEZZNS1_27merge_sort_block_merge_implIS3_PdPS5_jNS1_19radix_merge_compareILb0ELb0EdNS0_19identity_decomposerEEEEE10hipError_tT0_T1_T2_jT3_P12ihipStream_tbPNSt15iterator_traitsISE_E10value_typeEPNSK_ISF_E10value_typeEPSG_NS1_7vsmem_tEENKUlT_SE_SF_SG_E_clIS8_S8_S9_S9_EESD_ST_SE_SF_SG_EUlST_E0_NS1_11comp_targetILNS1_3genE5ELNS1_11target_archE942ELNS1_3gpuE9ELNS1_3repE0EEENS1_38merge_mergepath_config_static_selectorELNS0_4arch9wavefront6targetE0EEEvSF_.num_vgpr, 0
	.set _ZN7rocprim17ROCPRIM_400000_NS6detail17trampoline_kernelINS0_14default_configENS1_38merge_sort_block_merge_config_selectorIdNS0_10empty_typeEEEZZNS1_27merge_sort_block_merge_implIS3_PdPS5_jNS1_19radix_merge_compareILb0ELb0EdNS0_19identity_decomposerEEEEE10hipError_tT0_T1_T2_jT3_P12ihipStream_tbPNSt15iterator_traitsISE_E10value_typeEPNSK_ISF_E10value_typeEPSG_NS1_7vsmem_tEENKUlT_SE_SF_SG_E_clIS8_S8_S9_S9_EESD_ST_SE_SF_SG_EUlST_E0_NS1_11comp_targetILNS1_3genE5ELNS1_11target_archE942ELNS1_3gpuE9ELNS1_3repE0EEENS1_38merge_mergepath_config_static_selectorELNS0_4arch9wavefront6targetE0EEEvSF_.num_agpr, 0
	.set _ZN7rocprim17ROCPRIM_400000_NS6detail17trampoline_kernelINS0_14default_configENS1_38merge_sort_block_merge_config_selectorIdNS0_10empty_typeEEEZZNS1_27merge_sort_block_merge_implIS3_PdPS5_jNS1_19radix_merge_compareILb0ELb0EdNS0_19identity_decomposerEEEEE10hipError_tT0_T1_T2_jT3_P12ihipStream_tbPNSt15iterator_traitsISE_E10value_typeEPNSK_ISF_E10value_typeEPSG_NS1_7vsmem_tEENKUlT_SE_SF_SG_E_clIS8_S8_S9_S9_EESD_ST_SE_SF_SG_EUlST_E0_NS1_11comp_targetILNS1_3genE5ELNS1_11target_archE942ELNS1_3gpuE9ELNS1_3repE0EEENS1_38merge_mergepath_config_static_selectorELNS0_4arch9wavefront6targetE0EEEvSF_.numbered_sgpr, 0
	.set _ZN7rocprim17ROCPRIM_400000_NS6detail17trampoline_kernelINS0_14default_configENS1_38merge_sort_block_merge_config_selectorIdNS0_10empty_typeEEEZZNS1_27merge_sort_block_merge_implIS3_PdPS5_jNS1_19radix_merge_compareILb0ELb0EdNS0_19identity_decomposerEEEEE10hipError_tT0_T1_T2_jT3_P12ihipStream_tbPNSt15iterator_traitsISE_E10value_typeEPNSK_ISF_E10value_typeEPSG_NS1_7vsmem_tEENKUlT_SE_SF_SG_E_clIS8_S8_S9_S9_EESD_ST_SE_SF_SG_EUlST_E0_NS1_11comp_targetILNS1_3genE5ELNS1_11target_archE942ELNS1_3gpuE9ELNS1_3repE0EEENS1_38merge_mergepath_config_static_selectorELNS0_4arch9wavefront6targetE0EEEvSF_.num_named_barrier, 0
	.set _ZN7rocprim17ROCPRIM_400000_NS6detail17trampoline_kernelINS0_14default_configENS1_38merge_sort_block_merge_config_selectorIdNS0_10empty_typeEEEZZNS1_27merge_sort_block_merge_implIS3_PdPS5_jNS1_19radix_merge_compareILb0ELb0EdNS0_19identity_decomposerEEEEE10hipError_tT0_T1_T2_jT3_P12ihipStream_tbPNSt15iterator_traitsISE_E10value_typeEPNSK_ISF_E10value_typeEPSG_NS1_7vsmem_tEENKUlT_SE_SF_SG_E_clIS8_S8_S9_S9_EESD_ST_SE_SF_SG_EUlST_E0_NS1_11comp_targetILNS1_3genE5ELNS1_11target_archE942ELNS1_3gpuE9ELNS1_3repE0EEENS1_38merge_mergepath_config_static_selectorELNS0_4arch9wavefront6targetE0EEEvSF_.private_seg_size, 0
	.set _ZN7rocprim17ROCPRIM_400000_NS6detail17trampoline_kernelINS0_14default_configENS1_38merge_sort_block_merge_config_selectorIdNS0_10empty_typeEEEZZNS1_27merge_sort_block_merge_implIS3_PdPS5_jNS1_19radix_merge_compareILb0ELb0EdNS0_19identity_decomposerEEEEE10hipError_tT0_T1_T2_jT3_P12ihipStream_tbPNSt15iterator_traitsISE_E10value_typeEPNSK_ISF_E10value_typeEPSG_NS1_7vsmem_tEENKUlT_SE_SF_SG_E_clIS8_S8_S9_S9_EESD_ST_SE_SF_SG_EUlST_E0_NS1_11comp_targetILNS1_3genE5ELNS1_11target_archE942ELNS1_3gpuE9ELNS1_3repE0EEENS1_38merge_mergepath_config_static_selectorELNS0_4arch9wavefront6targetE0EEEvSF_.uses_vcc, 0
	.set _ZN7rocprim17ROCPRIM_400000_NS6detail17trampoline_kernelINS0_14default_configENS1_38merge_sort_block_merge_config_selectorIdNS0_10empty_typeEEEZZNS1_27merge_sort_block_merge_implIS3_PdPS5_jNS1_19radix_merge_compareILb0ELb0EdNS0_19identity_decomposerEEEEE10hipError_tT0_T1_T2_jT3_P12ihipStream_tbPNSt15iterator_traitsISE_E10value_typeEPNSK_ISF_E10value_typeEPSG_NS1_7vsmem_tEENKUlT_SE_SF_SG_E_clIS8_S8_S9_S9_EESD_ST_SE_SF_SG_EUlST_E0_NS1_11comp_targetILNS1_3genE5ELNS1_11target_archE942ELNS1_3gpuE9ELNS1_3repE0EEENS1_38merge_mergepath_config_static_selectorELNS0_4arch9wavefront6targetE0EEEvSF_.uses_flat_scratch, 0
	.set _ZN7rocprim17ROCPRIM_400000_NS6detail17trampoline_kernelINS0_14default_configENS1_38merge_sort_block_merge_config_selectorIdNS0_10empty_typeEEEZZNS1_27merge_sort_block_merge_implIS3_PdPS5_jNS1_19radix_merge_compareILb0ELb0EdNS0_19identity_decomposerEEEEE10hipError_tT0_T1_T2_jT3_P12ihipStream_tbPNSt15iterator_traitsISE_E10value_typeEPNSK_ISF_E10value_typeEPSG_NS1_7vsmem_tEENKUlT_SE_SF_SG_E_clIS8_S8_S9_S9_EESD_ST_SE_SF_SG_EUlST_E0_NS1_11comp_targetILNS1_3genE5ELNS1_11target_archE942ELNS1_3gpuE9ELNS1_3repE0EEENS1_38merge_mergepath_config_static_selectorELNS0_4arch9wavefront6targetE0EEEvSF_.has_dyn_sized_stack, 0
	.set _ZN7rocprim17ROCPRIM_400000_NS6detail17trampoline_kernelINS0_14default_configENS1_38merge_sort_block_merge_config_selectorIdNS0_10empty_typeEEEZZNS1_27merge_sort_block_merge_implIS3_PdPS5_jNS1_19radix_merge_compareILb0ELb0EdNS0_19identity_decomposerEEEEE10hipError_tT0_T1_T2_jT3_P12ihipStream_tbPNSt15iterator_traitsISE_E10value_typeEPNSK_ISF_E10value_typeEPSG_NS1_7vsmem_tEENKUlT_SE_SF_SG_E_clIS8_S8_S9_S9_EESD_ST_SE_SF_SG_EUlST_E0_NS1_11comp_targetILNS1_3genE5ELNS1_11target_archE942ELNS1_3gpuE9ELNS1_3repE0EEENS1_38merge_mergepath_config_static_selectorELNS0_4arch9wavefront6targetE0EEEvSF_.has_recursion, 0
	.set _ZN7rocprim17ROCPRIM_400000_NS6detail17trampoline_kernelINS0_14default_configENS1_38merge_sort_block_merge_config_selectorIdNS0_10empty_typeEEEZZNS1_27merge_sort_block_merge_implIS3_PdPS5_jNS1_19radix_merge_compareILb0ELb0EdNS0_19identity_decomposerEEEEE10hipError_tT0_T1_T2_jT3_P12ihipStream_tbPNSt15iterator_traitsISE_E10value_typeEPNSK_ISF_E10value_typeEPSG_NS1_7vsmem_tEENKUlT_SE_SF_SG_E_clIS8_S8_S9_S9_EESD_ST_SE_SF_SG_EUlST_E0_NS1_11comp_targetILNS1_3genE5ELNS1_11target_archE942ELNS1_3gpuE9ELNS1_3repE0EEENS1_38merge_mergepath_config_static_selectorELNS0_4arch9wavefront6targetE0EEEvSF_.has_indirect_call, 0
	.section	.AMDGPU.csdata,"",@progbits
; Kernel info:
; codeLenInByte = 0
; TotalNumSgprs: 0
; NumVgprs: 0
; ScratchSize: 0
; MemoryBound: 0
; FloatMode: 240
; IeeeMode: 1
; LDSByteSize: 0 bytes/workgroup (compile time only)
; SGPRBlocks: 0
; VGPRBlocks: 0
; NumSGPRsForWavesPerEU: 1
; NumVGPRsForWavesPerEU: 1
; NamedBarCnt: 0
; Occupancy: 16
; WaveLimiterHint : 0
; COMPUTE_PGM_RSRC2:SCRATCH_EN: 0
; COMPUTE_PGM_RSRC2:USER_SGPR: 2
; COMPUTE_PGM_RSRC2:TRAP_HANDLER: 0
; COMPUTE_PGM_RSRC2:TGID_X_EN: 1
; COMPUTE_PGM_RSRC2:TGID_Y_EN: 0
; COMPUTE_PGM_RSRC2:TGID_Z_EN: 0
; COMPUTE_PGM_RSRC2:TIDIG_COMP_CNT: 0
	.section	.text._ZN7rocprim17ROCPRIM_400000_NS6detail17trampoline_kernelINS0_14default_configENS1_38merge_sort_block_merge_config_selectorIdNS0_10empty_typeEEEZZNS1_27merge_sort_block_merge_implIS3_PdPS5_jNS1_19radix_merge_compareILb0ELb0EdNS0_19identity_decomposerEEEEE10hipError_tT0_T1_T2_jT3_P12ihipStream_tbPNSt15iterator_traitsISE_E10value_typeEPNSK_ISF_E10value_typeEPSG_NS1_7vsmem_tEENKUlT_SE_SF_SG_E_clIS8_S8_S9_S9_EESD_ST_SE_SF_SG_EUlST_E0_NS1_11comp_targetILNS1_3genE4ELNS1_11target_archE910ELNS1_3gpuE8ELNS1_3repE0EEENS1_38merge_mergepath_config_static_selectorELNS0_4arch9wavefront6targetE0EEEvSF_,"axG",@progbits,_ZN7rocprim17ROCPRIM_400000_NS6detail17trampoline_kernelINS0_14default_configENS1_38merge_sort_block_merge_config_selectorIdNS0_10empty_typeEEEZZNS1_27merge_sort_block_merge_implIS3_PdPS5_jNS1_19radix_merge_compareILb0ELb0EdNS0_19identity_decomposerEEEEE10hipError_tT0_T1_T2_jT3_P12ihipStream_tbPNSt15iterator_traitsISE_E10value_typeEPNSK_ISF_E10value_typeEPSG_NS1_7vsmem_tEENKUlT_SE_SF_SG_E_clIS8_S8_S9_S9_EESD_ST_SE_SF_SG_EUlST_E0_NS1_11comp_targetILNS1_3genE4ELNS1_11target_archE910ELNS1_3gpuE8ELNS1_3repE0EEENS1_38merge_mergepath_config_static_selectorELNS0_4arch9wavefront6targetE0EEEvSF_,comdat
	.protected	_ZN7rocprim17ROCPRIM_400000_NS6detail17trampoline_kernelINS0_14default_configENS1_38merge_sort_block_merge_config_selectorIdNS0_10empty_typeEEEZZNS1_27merge_sort_block_merge_implIS3_PdPS5_jNS1_19radix_merge_compareILb0ELb0EdNS0_19identity_decomposerEEEEE10hipError_tT0_T1_T2_jT3_P12ihipStream_tbPNSt15iterator_traitsISE_E10value_typeEPNSK_ISF_E10value_typeEPSG_NS1_7vsmem_tEENKUlT_SE_SF_SG_E_clIS8_S8_S9_S9_EESD_ST_SE_SF_SG_EUlST_E0_NS1_11comp_targetILNS1_3genE4ELNS1_11target_archE910ELNS1_3gpuE8ELNS1_3repE0EEENS1_38merge_mergepath_config_static_selectorELNS0_4arch9wavefront6targetE0EEEvSF_ ; -- Begin function _ZN7rocprim17ROCPRIM_400000_NS6detail17trampoline_kernelINS0_14default_configENS1_38merge_sort_block_merge_config_selectorIdNS0_10empty_typeEEEZZNS1_27merge_sort_block_merge_implIS3_PdPS5_jNS1_19radix_merge_compareILb0ELb0EdNS0_19identity_decomposerEEEEE10hipError_tT0_T1_T2_jT3_P12ihipStream_tbPNSt15iterator_traitsISE_E10value_typeEPNSK_ISF_E10value_typeEPSG_NS1_7vsmem_tEENKUlT_SE_SF_SG_E_clIS8_S8_S9_S9_EESD_ST_SE_SF_SG_EUlST_E0_NS1_11comp_targetILNS1_3genE4ELNS1_11target_archE910ELNS1_3gpuE8ELNS1_3repE0EEENS1_38merge_mergepath_config_static_selectorELNS0_4arch9wavefront6targetE0EEEvSF_
	.globl	_ZN7rocprim17ROCPRIM_400000_NS6detail17trampoline_kernelINS0_14default_configENS1_38merge_sort_block_merge_config_selectorIdNS0_10empty_typeEEEZZNS1_27merge_sort_block_merge_implIS3_PdPS5_jNS1_19radix_merge_compareILb0ELb0EdNS0_19identity_decomposerEEEEE10hipError_tT0_T1_T2_jT3_P12ihipStream_tbPNSt15iterator_traitsISE_E10value_typeEPNSK_ISF_E10value_typeEPSG_NS1_7vsmem_tEENKUlT_SE_SF_SG_E_clIS8_S8_S9_S9_EESD_ST_SE_SF_SG_EUlST_E0_NS1_11comp_targetILNS1_3genE4ELNS1_11target_archE910ELNS1_3gpuE8ELNS1_3repE0EEENS1_38merge_mergepath_config_static_selectorELNS0_4arch9wavefront6targetE0EEEvSF_
	.p2align	8
	.type	_ZN7rocprim17ROCPRIM_400000_NS6detail17trampoline_kernelINS0_14default_configENS1_38merge_sort_block_merge_config_selectorIdNS0_10empty_typeEEEZZNS1_27merge_sort_block_merge_implIS3_PdPS5_jNS1_19radix_merge_compareILb0ELb0EdNS0_19identity_decomposerEEEEE10hipError_tT0_T1_T2_jT3_P12ihipStream_tbPNSt15iterator_traitsISE_E10value_typeEPNSK_ISF_E10value_typeEPSG_NS1_7vsmem_tEENKUlT_SE_SF_SG_E_clIS8_S8_S9_S9_EESD_ST_SE_SF_SG_EUlST_E0_NS1_11comp_targetILNS1_3genE4ELNS1_11target_archE910ELNS1_3gpuE8ELNS1_3repE0EEENS1_38merge_mergepath_config_static_selectorELNS0_4arch9wavefront6targetE0EEEvSF_,@function
_ZN7rocprim17ROCPRIM_400000_NS6detail17trampoline_kernelINS0_14default_configENS1_38merge_sort_block_merge_config_selectorIdNS0_10empty_typeEEEZZNS1_27merge_sort_block_merge_implIS3_PdPS5_jNS1_19radix_merge_compareILb0ELb0EdNS0_19identity_decomposerEEEEE10hipError_tT0_T1_T2_jT3_P12ihipStream_tbPNSt15iterator_traitsISE_E10value_typeEPNSK_ISF_E10value_typeEPSG_NS1_7vsmem_tEENKUlT_SE_SF_SG_E_clIS8_S8_S9_S9_EESD_ST_SE_SF_SG_EUlST_E0_NS1_11comp_targetILNS1_3genE4ELNS1_11target_archE910ELNS1_3gpuE8ELNS1_3repE0EEENS1_38merge_mergepath_config_static_selectorELNS0_4arch9wavefront6targetE0EEEvSF_: ; @_ZN7rocprim17ROCPRIM_400000_NS6detail17trampoline_kernelINS0_14default_configENS1_38merge_sort_block_merge_config_selectorIdNS0_10empty_typeEEEZZNS1_27merge_sort_block_merge_implIS3_PdPS5_jNS1_19radix_merge_compareILb0ELb0EdNS0_19identity_decomposerEEEEE10hipError_tT0_T1_T2_jT3_P12ihipStream_tbPNSt15iterator_traitsISE_E10value_typeEPNSK_ISF_E10value_typeEPSG_NS1_7vsmem_tEENKUlT_SE_SF_SG_E_clIS8_S8_S9_S9_EESD_ST_SE_SF_SG_EUlST_E0_NS1_11comp_targetILNS1_3genE4ELNS1_11target_archE910ELNS1_3gpuE8ELNS1_3repE0EEENS1_38merge_mergepath_config_static_selectorELNS0_4arch9wavefront6targetE0EEEvSF_
; %bb.0:
	.section	.rodata,"a",@progbits
	.p2align	6, 0x0
	.amdhsa_kernel _ZN7rocprim17ROCPRIM_400000_NS6detail17trampoline_kernelINS0_14default_configENS1_38merge_sort_block_merge_config_selectorIdNS0_10empty_typeEEEZZNS1_27merge_sort_block_merge_implIS3_PdPS5_jNS1_19radix_merge_compareILb0ELb0EdNS0_19identity_decomposerEEEEE10hipError_tT0_T1_T2_jT3_P12ihipStream_tbPNSt15iterator_traitsISE_E10value_typeEPNSK_ISF_E10value_typeEPSG_NS1_7vsmem_tEENKUlT_SE_SF_SG_E_clIS8_S8_S9_S9_EESD_ST_SE_SF_SG_EUlST_E0_NS1_11comp_targetILNS1_3genE4ELNS1_11target_archE910ELNS1_3gpuE8ELNS1_3repE0EEENS1_38merge_mergepath_config_static_selectorELNS0_4arch9wavefront6targetE0EEEvSF_
		.amdhsa_group_segment_fixed_size 0
		.amdhsa_private_segment_fixed_size 0
		.amdhsa_kernarg_size 64
		.amdhsa_user_sgpr_count 2
		.amdhsa_user_sgpr_dispatch_ptr 0
		.amdhsa_user_sgpr_queue_ptr 0
		.amdhsa_user_sgpr_kernarg_segment_ptr 1
		.amdhsa_user_sgpr_dispatch_id 0
		.amdhsa_user_sgpr_kernarg_preload_length 0
		.amdhsa_user_sgpr_kernarg_preload_offset 0
		.amdhsa_user_sgpr_private_segment_size 0
		.amdhsa_wavefront_size32 1
		.amdhsa_uses_dynamic_stack 0
		.amdhsa_enable_private_segment 0
		.amdhsa_system_sgpr_workgroup_id_x 1
		.amdhsa_system_sgpr_workgroup_id_y 0
		.amdhsa_system_sgpr_workgroup_id_z 0
		.amdhsa_system_sgpr_workgroup_info 0
		.amdhsa_system_vgpr_workitem_id 0
		.amdhsa_next_free_vgpr 1
		.amdhsa_next_free_sgpr 1
		.amdhsa_named_barrier_count 0
		.amdhsa_reserve_vcc 0
		.amdhsa_float_round_mode_32 0
		.amdhsa_float_round_mode_16_64 0
		.amdhsa_float_denorm_mode_32 3
		.amdhsa_float_denorm_mode_16_64 3
		.amdhsa_fp16_overflow 0
		.amdhsa_memory_ordered 1
		.amdhsa_forward_progress 1
		.amdhsa_inst_pref_size 0
		.amdhsa_round_robin_scheduling 0
		.amdhsa_exception_fp_ieee_invalid_op 0
		.amdhsa_exception_fp_denorm_src 0
		.amdhsa_exception_fp_ieee_div_zero 0
		.amdhsa_exception_fp_ieee_overflow 0
		.amdhsa_exception_fp_ieee_underflow 0
		.amdhsa_exception_fp_ieee_inexact 0
		.amdhsa_exception_int_div_zero 0
	.end_amdhsa_kernel
	.section	.text._ZN7rocprim17ROCPRIM_400000_NS6detail17trampoline_kernelINS0_14default_configENS1_38merge_sort_block_merge_config_selectorIdNS0_10empty_typeEEEZZNS1_27merge_sort_block_merge_implIS3_PdPS5_jNS1_19radix_merge_compareILb0ELb0EdNS0_19identity_decomposerEEEEE10hipError_tT0_T1_T2_jT3_P12ihipStream_tbPNSt15iterator_traitsISE_E10value_typeEPNSK_ISF_E10value_typeEPSG_NS1_7vsmem_tEENKUlT_SE_SF_SG_E_clIS8_S8_S9_S9_EESD_ST_SE_SF_SG_EUlST_E0_NS1_11comp_targetILNS1_3genE4ELNS1_11target_archE910ELNS1_3gpuE8ELNS1_3repE0EEENS1_38merge_mergepath_config_static_selectorELNS0_4arch9wavefront6targetE0EEEvSF_,"axG",@progbits,_ZN7rocprim17ROCPRIM_400000_NS6detail17trampoline_kernelINS0_14default_configENS1_38merge_sort_block_merge_config_selectorIdNS0_10empty_typeEEEZZNS1_27merge_sort_block_merge_implIS3_PdPS5_jNS1_19radix_merge_compareILb0ELb0EdNS0_19identity_decomposerEEEEE10hipError_tT0_T1_T2_jT3_P12ihipStream_tbPNSt15iterator_traitsISE_E10value_typeEPNSK_ISF_E10value_typeEPSG_NS1_7vsmem_tEENKUlT_SE_SF_SG_E_clIS8_S8_S9_S9_EESD_ST_SE_SF_SG_EUlST_E0_NS1_11comp_targetILNS1_3genE4ELNS1_11target_archE910ELNS1_3gpuE8ELNS1_3repE0EEENS1_38merge_mergepath_config_static_selectorELNS0_4arch9wavefront6targetE0EEEvSF_,comdat
.Lfunc_end1574:
	.size	_ZN7rocprim17ROCPRIM_400000_NS6detail17trampoline_kernelINS0_14default_configENS1_38merge_sort_block_merge_config_selectorIdNS0_10empty_typeEEEZZNS1_27merge_sort_block_merge_implIS3_PdPS5_jNS1_19radix_merge_compareILb0ELb0EdNS0_19identity_decomposerEEEEE10hipError_tT0_T1_T2_jT3_P12ihipStream_tbPNSt15iterator_traitsISE_E10value_typeEPNSK_ISF_E10value_typeEPSG_NS1_7vsmem_tEENKUlT_SE_SF_SG_E_clIS8_S8_S9_S9_EESD_ST_SE_SF_SG_EUlST_E0_NS1_11comp_targetILNS1_3genE4ELNS1_11target_archE910ELNS1_3gpuE8ELNS1_3repE0EEENS1_38merge_mergepath_config_static_selectorELNS0_4arch9wavefront6targetE0EEEvSF_, .Lfunc_end1574-_ZN7rocprim17ROCPRIM_400000_NS6detail17trampoline_kernelINS0_14default_configENS1_38merge_sort_block_merge_config_selectorIdNS0_10empty_typeEEEZZNS1_27merge_sort_block_merge_implIS3_PdPS5_jNS1_19radix_merge_compareILb0ELb0EdNS0_19identity_decomposerEEEEE10hipError_tT0_T1_T2_jT3_P12ihipStream_tbPNSt15iterator_traitsISE_E10value_typeEPNSK_ISF_E10value_typeEPSG_NS1_7vsmem_tEENKUlT_SE_SF_SG_E_clIS8_S8_S9_S9_EESD_ST_SE_SF_SG_EUlST_E0_NS1_11comp_targetILNS1_3genE4ELNS1_11target_archE910ELNS1_3gpuE8ELNS1_3repE0EEENS1_38merge_mergepath_config_static_selectorELNS0_4arch9wavefront6targetE0EEEvSF_
                                        ; -- End function
	.set _ZN7rocprim17ROCPRIM_400000_NS6detail17trampoline_kernelINS0_14default_configENS1_38merge_sort_block_merge_config_selectorIdNS0_10empty_typeEEEZZNS1_27merge_sort_block_merge_implIS3_PdPS5_jNS1_19radix_merge_compareILb0ELb0EdNS0_19identity_decomposerEEEEE10hipError_tT0_T1_T2_jT3_P12ihipStream_tbPNSt15iterator_traitsISE_E10value_typeEPNSK_ISF_E10value_typeEPSG_NS1_7vsmem_tEENKUlT_SE_SF_SG_E_clIS8_S8_S9_S9_EESD_ST_SE_SF_SG_EUlST_E0_NS1_11comp_targetILNS1_3genE4ELNS1_11target_archE910ELNS1_3gpuE8ELNS1_3repE0EEENS1_38merge_mergepath_config_static_selectorELNS0_4arch9wavefront6targetE0EEEvSF_.num_vgpr, 0
	.set _ZN7rocprim17ROCPRIM_400000_NS6detail17trampoline_kernelINS0_14default_configENS1_38merge_sort_block_merge_config_selectorIdNS0_10empty_typeEEEZZNS1_27merge_sort_block_merge_implIS3_PdPS5_jNS1_19radix_merge_compareILb0ELb0EdNS0_19identity_decomposerEEEEE10hipError_tT0_T1_T2_jT3_P12ihipStream_tbPNSt15iterator_traitsISE_E10value_typeEPNSK_ISF_E10value_typeEPSG_NS1_7vsmem_tEENKUlT_SE_SF_SG_E_clIS8_S8_S9_S9_EESD_ST_SE_SF_SG_EUlST_E0_NS1_11comp_targetILNS1_3genE4ELNS1_11target_archE910ELNS1_3gpuE8ELNS1_3repE0EEENS1_38merge_mergepath_config_static_selectorELNS0_4arch9wavefront6targetE0EEEvSF_.num_agpr, 0
	.set _ZN7rocprim17ROCPRIM_400000_NS6detail17trampoline_kernelINS0_14default_configENS1_38merge_sort_block_merge_config_selectorIdNS0_10empty_typeEEEZZNS1_27merge_sort_block_merge_implIS3_PdPS5_jNS1_19radix_merge_compareILb0ELb0EdNS0_19identity_decomposerEEEEE10hipError_tT0_T1_T2_jT3_P12ihipStream_tbPNSt15iterator_traitsISE_E10value_typeEPNSK_ISF_E10value_typeEPSG_NS1_7vsmem_tEENKUlT_SE_SF_SG_E_clIS8_S8_S9_S9_EESD_ST_SE_SF_SG_EUlST_E0_NS1_11comp_targetILNS1_3genE4ELNS1_11target_archE910ELNS1_3gpuE8ELNS1_3repE0EEENS1_38merge_mergepath_config_static_selectorELNS0_4arch9wavefront6targetE0EEEvSF_.numbered_sgpr, 0
	.set _ZN7rocprim17ROCPRIM_400000_NS6detail17trampoline_kernelINS0_14default_configENS1_38merge_sort_block_merge_config_selectorIdNS0_10empty_typeEEEZZNS1_27merge_sort_block_merge_implIS3_PdPS5_jNS1_19radix_merge_compareILb0ELb0EdNS0_19identity_decomposerEEEEE10hipError_tT0_T1_T2_jT3_P12ihipStream_tbPNSt15iterator_traitsISE_E10value_typeEPNSK_ISF_E10value_typeEPSG_NS1_7vsmem_tEENKUlT_SE_SF_SG_E_clIS8_S8_S9_S9_EESD_ST_SE_SF_SG_EUlST_E0_NS1_11comp_targetILNS1_3genE4ELNS1_11target_archE910ELNS1_3gpuE8ELNS1_3repE0EEENS1_38merge_mergepath_config_static_selectorELNS0_4arch9wavefront6targetE0EEEvSF_.num_named_barrier, 0
	.set _ZN7rocprim17ROCPRIM_400000_NS6detail17trampoline_kernelINS0_14default_configENS1_38merge_sort_block_merge_config_selectorIdNS0_10empty_typeEEEZZNS1_27merge_sort_block_merge_implIS3_PdPS5_jNS1_19radix_merge_compareILb0ELb0EdNS0_19identity_decomposerEEEEE10hipError_tT0_T1_T2_jT3_P12ihipStream_tbPNSt15iterator_traitsISE_E10value_typeEPNSK_ISF_E10value_typeEPSG_NS1_7vsmem_tEENKUlT_SE_SF_SG_E_clIS8_S8_S9_S9_EESD_ST_SE_SF_SG_EUlST_E0_NS1_11comp_targetILNS1_3genE4ELNS1_11target_archE910ELNS1_3gpuE8ELNS1_3repE0EEENS1_38merge_mergepath_config_static_selectorELNS0_4arch9wavefront6targetE0EEEvSF_.private_seg_size, 0
	.set _ZN7rocprim17ROCPRIM_400000_NS6detail17trampoline_kernelINS0_14default_configENS1_38merge_sort_block_merge_config_selectorIdNS0_10empty_typeEEEZZNS1_27merge_sort_block_merge_implIS3_PdPS5_jNS1_19radix_merge_compareILb0ELb0EdNS0_19identity_decomposerEEEEE10hipError_tT0_T1_T2_jT3_P12ihipStream_tbPNSt15iterator_traitsISE_E10value_typeEPNSK_ISF_E10value_typeEPSG_NS1_7vsmem_tEENKUlT_SE_SF_SG_E_clIS8_S8_S9_S9_EESD_ST_SE_SF_SG_EUlST_E0_NS1_11comp_targetILNS1_3genE4ELNS1_11target_archE910ELNS1_3gpuE8ELNS1_3repE0EEENS1_38merge_mergepath_config_static_selectorELNS0_4arch9wavefront6targetE0EEEvSF_.uses_vcc, 0
	.set _ZN7rocprim17ROCPRIM_400000_NS6detail17trampoline_kernelINS0_14default_configENS1_38merge_sort_block_merge_config_selectorIdNS0_10empty_typeEEEZZNS1_27merge_sort_block_merge_implIS3_PdPS5_jNS1_19radix_merge_compareILb0ELb0EdNS0_19identity_decomposerEEEEE10hipError_tT0_T1_T2_jT3_P12ihipStream_tbPNSt15iterator_traitsISE_E10value_typeEPNSK_ISF_E10value_typeEPSG_NS1_7vsmem_tEENKUlT_SE_SF_SG_E_clIS8_S8_S9_S9_EESD_ST_SE_SF_SG_EUlST_E0_NS1_11comp_targetILNS1_3genE4ELNS1_11target_archE910ELNS1_3gpuE8ELNS1_3repE0EEENS1_38merge_mergepath_config_static_selectorELNS0_4arch9wavefront6targetE0EEEvSF_.uses_flat_scratch, 0
	.set _ZN7rocprim17ROCPRIM_400000_NS6detail17trampoline_kernelINS0_14default_configENS1_38merge_sort_block_merge_config_selectorIdNS0_10empty_typeEEEZZNS1_27merge_sort_block_merge_implIS3_PdPS5_jNS1_19radix_merge_compareILb0ELb0EdNS0_19identity_decomposerEEEEE10hipError_tT0_T1_T2_jT3_P12ihipStream_tbPNSt15iterator_traitsISE_E10value_typeEPNSK_ISF_E10value_typeEPSG_NS1_7vsmem_tEENKUlT_SE_SF_SG_E_clIS8_S8_S9_S9_EESD_ST_SE_SF_SG_EUlST_E0_NS1_11comp_targetILNS1_3genE4ELNS1_11target_archE910ELNS1_3gpuE8ELNS1_3repE0EEENS1_38merge_mergepath_config_static_selectorELNS0_4arch9wavefront6targetE0EEEvSF_.has_dyn_sized_stack, 0
	.set _ZN7rocprim17ROCPRIM_400000_NS6detail17trampoline_kernelINS0_14default_configENS1_38merge_sort_block_merge_config_selectorIdNS0_10empty_typeEEEZZNS1_27merge_sort_block_merge_implIS3_PdPS5_jNS1_19radix_merge_compareILb0ELb0EdNS0_19identity_decomposerEEEEE10hipError_tT0_T1_T2_jT3_P12ihipStream_tbPNSt15iterator_traitsISE_E10value_typeEPNSK_ISF_E10value_typeEPSG_NS1_7vsmem_tEENKUlT_SE_SF_SG_E_clIS8_S8_S9_S9_EESD_ST_SE_SF_SG_EUlST_E0_NS1_11comp_targetILNS1_3genE4ELNS1_11target_archE910ELNS1_3gpuE8ELNS1_3repE0EEENS1_38merge_mergepath_config_static_selectorELNS0_4arch9wavefront6targetE0EEEvSF_.has_recursion, 0
	.set _ZN7rocprim17ROCPRIM_400000_NS6detail17trampoline_kernelINS0_14default_configENS1_38merge_sort_block_merge_config_selectorIdNS0_10empty_typeEEEZZNS1_27merge_sort_block_merge_implIS3_PdPS5_jNS1_19radix_merge_compareILb0ELb0EdNS0_19identity_decomposerEEEEE10hipError_tT0_T1_T2_jT3_P12ihipStream_tbPNSt15iterator_traitsISE_E10value_typeEPNSK_ISF_E10value_typeEPSG_NS1_7vsmem_tEENKUlT_SE_SF_SG_E_clIS8_S8_S9_S9_EESD_ST_SE_SF_SG_EUlST_E0_NS1_11comp_targetILNS1_3genE4ELNS1_11target_archE910ELNS1_3gpuE8ELNS1_3repE0EEENS1_38merge_mergepath_config_static_selectorELNS0_4arch9wavefront6targetE0EEEvSF_.has_indirect_call, 0
	.section	.AMDGPU.csdata,"",@progbits
; Kernel info:
; codeLenInByte = 0
; TotalNumSgprs: 0
; NumVgprs: 0
; ScratchSize: 0
; MemoryBound: 0
; FloatMode: 240
; IeeeMode: 1
; LDSByteSize: 0 bytes/workgroup (compile time only)
; SGPRBlocks: 0
; VGPRBlocks: 0
; NumSGPRsForWavesPerEU: 1
; NumVGPRsForWavesPerEU: 1
; NamedBarCnt: 0
; Occupancy: 16
; WaveLimiterHint : 0
; COMPUTE_PGM_RSRC2:SCRATCH_EN: 0
; COMPUTE_PGM_RSRC2:USER_SGPR: 2
; COMPUTE_PGM_RSRC2:TRAP_HANDLER: 0
; COMPUTE_PGM_RSRC2:TGID_X_EN: 1
; COMPUTE_PGM_RSRC2:TGID_Y_EN: 0
; COMPUTE_PGM_RSRC2:TGID_Z_EN: 0
; COMPUTE_PGM_RSRC2:TIDIG_COMP_CNT: 0
	.section	.text._ZN7rocprim17ROCPRIM_400000_NS6detail17trampoline_kernelINS0_14default_configENS1_38merge_sort_block_merge_config_selectorIdNS0_10empty_typeEEEZZNS1_27merge_sort_block_merge_implIS3_PdPS5_jNS1_19radix_merge_compareILb0ELb0EdNS0_19identity_decomposerEEEEE10hipError_tT0_T1_T2_jT3_P12ihipStream_tbPNSt15iterator_traitsISE_E10value_typeEPNSK_ISF_E10value_typeEPSG_NS1_7vsmem_tEENKUlT_SE_SF_SG_E_clIS8_S8_S9_S9_EESD_ST_SE_SF_SG_EUlST_E0_NS1_11comp_targetILNS1_3genE3ELNS1_11target_archE908ELNS1_3gpuE7ELNS1_3repE0EEENS1_38merge_mergepath_config_static_selectorELNS0_4arch9wavefront6targetE0EEEvSF_,"axG",@progbits,_ZN7rocprim17ROCPRIM_400000_NS6detail17trampoline_kernelINS0_14default_configENS1_38merge_sort_block_merge_config_selectorIdNS0_10empty_typeEEEZZNS1_27merge_sort_block_merge_implIS3_PdPS5_jNS1_19radix_merge_compareILb0ELb0EdNS0_19identity_decomposerEEEEE10hipError_tT0_T1_T2_jT3_P12ihipStream_tbPNSt15iterator_traitsISE_E10value_typeEPNSK_ISF_E10value_typeEPSG_NS1_7vsmem_tEENKUlT_SE_SF_SG_E_clIS8_S8_S9_S9_EESD_ST_SE_SF_SG_EUlST_E0_NS1_11comp_targetILNS1_3genE3ELNS1_11target_archE908ELNS1_3gpuE7ELNS1_3repE0EEENS1_38merge_mergepath_config_static_selectorELNS0_4arch9wavefront6targetE0EEEvSF_,comdat
	.protected	_ZN7rocprim17ROCPRIM_400000_NS6detail17trampoline_kernelINS0_14default_configENS1_38merge_sort_block_merge_config_selectorIdNS0_10empty_typeEEEZZNS1_27merge_sort_block_merge_implIS3_PdPS5_jNS1_19radix_merge_compareILb0ELb0EdNS0_19identity_decomposerEEEEE10hipError_tT0_T1_T2_jT3_P12ihipStream_tbPNSt15iterator_traitsISE_E10value_typeEPNSK_ISF_E10value_typeEPSG_NS1_7vsmem_tEENKUlT_SE_SF_SG_E_clIS8_S8_S9_S9_EESD_ST_SE_SF_SG_EUlST_E0_NS1_11comp_targetILNS1_3genE3ELNS1_11target_archE908ELNS1_3gpuE7ELNS1_3repE0EEENS1_38merge_mergepath_config_static_selectorELNS0_4arch9wavefront6targetE0EEEvSF_ ; -- Begin function _ZN7rocprim17ROCPRIM_400000_NS6detail17trampoline_kernelINS0_14default_configENS1_38merge_sort_block_merge_config_selectorIdNS0_10empty_typeEEEZZNS1_27merge_sort_block_merge_implIS3_PdPS5_jNS1_19radix_merge_compareILb0ELb0EdNS0_19identity_decomposerEEEEE10hipError_tT0_T1_T2_jT3_P12ihipStream_tbPNSt15iterator_traitsISE_E10value_typeEPNSK_ISF_E10value_typeEPSG_NS1_7vsmem_tEENKUlT_SE_SF_SG_E_clIS8_S8_S9_S9_EESD_ST_SE_SF_SG_EUlST_E0_NS1_11comp_targetILNS1_3genE3ELNS1_11target_archE908ELNS1_3gpuE7ELNS1_3repE0EEENS1_38merge_mergepath_config_static_selectorELNS0_4arch9wavefront6targetE0EEEvSF_
	.globl	_ZN7rocprim17ROCPRIM_400000_NS6detail17trampoline_kernelINS0_14default_configENS1_38merge_sort_block_merge_config_selectorIdNS0_10empty_typeEEEZZNS1_27merge_sort_block_merge_implIS3_PdPS5_jNS1_19radix_merge_compareILb0ELb0EdNS0_19identity_decomposerEEEEE10hipError_tT0_T1_T2_jT3_P12ihipStream_tbPNSt15iterator_traitsISE_E10value_typeEPNSK_ISF_E10value_typeEPSG_NS1_7vsmem_tEENKUlT_SE_SF_SG_E_clIS8_S8_S9_S9_EESD_ST_SE_SF_SG_EUlST_E0_NS1_11comp_targetILNS1_3genE3ELNS1_11target_archE908ELNS1_3gpuE7ELNS1_3repE0EEENS1_38merge_mergepath_config_static_selectorELNS0_4arch9wavefront6targetE0EEEvSF_
	.p2align	8
	.type	_ZN7rocprim17ROCPRIM_400000_NS6detail17trampoline_kernelINS0_14default_configENS1_38merge_sort_block_merge_config_selectorIdNS0_10empty_typeEEEZZNS1_27merge_sort_block_merge_implIS3_PdPS5_jNS1_19radix_merge_compareILb0ELb0EdNS0_19identity_decomposerEEEEE10hipError_tT0_T1_T2_jT3_P12ihipStream_tbPNSt15iterator_traitsISE_E10value_typeEPNSK_ISF_E10value_typeEPSG_NS1_7vsmem_tEENKUlT_SE_SF_SG_E_clIS8_S8_S9_S9_EESD_ST_SE_SF_SG_EUlST_E0_NS1_11comp_targetILNS1_3genE3ELNS1_11target_archE908ELNS1_3gpuE7ELNS1_3repE0EEENS1_38merge_mergepath_config_static_selectorELNS0_4arch9wavefront6targetE0EEEvSF_,@function
_ZN7rocprim17ROCPRIM_400000_NS6detail17trampoline_kernelINS0_14default_configENS1_38merge_sort_block_merge_config_selectorIdNS0_10empty_typeEEEZZNS1_27merge_sort_block_merge_implIS3_PdPS5_jNS1_19radix_merge_compareILb0ELb0EdNS0_19identity_decomposerEEEEE10hipError_tT0_T1_T2_jT3_P12ihipStream_tbPNSt15iterator_traitsISE_E10value_typeEPNSK_ISF_E10value_typeEPSG_NS1_7vsmem_tEENKUlT_SE_SF_SG_E_clIS8_S8_S9_S9_EESD_ST_SE_SF_SG_EUlST_E0_NS1_11comp_targetILNS1_3genE3ELNS1_11target_archE908ELNS1_3gpuE7ELNS1_3repE0EEENS1_38merge_mergepath_config_static_selectorELNS0_4arch9wavefront6targetE0EEEvSF_: ; @_ZN7rocprim17ROCPRIM_400000_NS6detail17trampoline_kernelINS0_14default_configENS1_38merge_sort_block_merge_config_selectorIdNS0_10empty_typeEEEZZNS1_27merge_sort_block_merge_implIS3_PdPS5_jNS1_19radix_merge_compareILb0ELb0EdNS0_19identity_decomposerEEEEE10hipError_tT0_T1_T2_jT3_P12ihipStream_tbPNSt15iterator_traitsISE_E10value_typeEPNSK_ISF_E10value_typeEPSG_NS1_7vsmem_tEENKUlT_SE_SF_SG_E_clIS8_S8_S9_S9_EESD_ST_SE_SF_SG_EUlST_E0_NS1_11comp_targetILNS1_3genE3ELNS1_11target_archE908ELNS1_3gpuE7ELNS1_3repE0EEENS1_38merge_mergepath_config_static_selectorELNS0_4arch9wavefront6targetE0EEEvSF_
; %bb.0:
	.section	.rodata,"a",@progbits
	.p2align	6, 0x0
	.amdhsa_kernel _ZN7rocprim17ROCPRIM_400000_NS6detail17trampoline_kernelINS0_14default_configENS1_38merge_sort_block_merge_config_selectorIdNS0_10empty_typeEEEZZNS1_27merge_sort_block_merge_implIS3_PdPS5_jNS1_19radix_merge_compareILb0ELb0EdNS0_19identity_decomposerEEEEE10hipError_tT0_T1_T2_jT3_P12ihipStream_tbPNSt15iterator_traitsISE_E10value_typeEPNSK_ISF_E10value_typeEPSG_NS1_7vsmem_tEENKUlT_SE_SF_SG_E_clIS8_S8_S9_S9_EESD_ST_SE_SF_SG_EUlST_E0_NS1_11comp_targetILNS1_3genE3ELNS1_11target_archE908ELNS1_3gpuE7ELNS1_3repE0EEENS1_38merge_mergepath_config_static_selectorELNS0_4arch9wavefront6targetE0EEEvSF_
		.amdhsa_group_segment_fixed_size 0
		.amdhsa_private_segment_fixed_size 0
		.amdhsa_kernarg_size 64
		.amdhsa_user_sgpr_count 2
		.amdhsa_user_sgpr_dispatch_ptr 0
		.amdhsa_user_sgpr_queue_ptr 0
		.amdhsa_user_sgpr_kernarg_segment_ptr 1
		.amdhsa_user_sgpr_dispatch_id 0
		.amdhsa_user_sgpr_kernarg_preload_length 0
		.amdhsa_user_sgpr_kernarg_preload_offset 0
		.amdhsa_user_sgpr_private_segment_size 0
		.amdhsa_wavefront_size32 1
		.amdhsa_uses_dynamic_stack 0
		.amdhsa_enable_private_segment 0
		.amdhsa_system_sgpr_workgroup_id_x 1
		.amdhsa_system_sgpr_workgroup_id_y 0
		.amdhsa_system_sgpr_workgroup_id_z 0
		.amdhsa_system_sgpr_workgroup_info 0
		.amdhsa_system_vgpr_workitem_id 0
		.amdhsa_next_free_vgpr 1
		.amdhsa_next_free_sgpr 1
		.amdhsa_named_barrier_count 0
		.amdhsa_reserve_vcc 0
		.amdhsa_float_round_mode_32 0
		.amdhsa_float_round_mode_16_64 0
		.amdhsa_float_denorm_mode_32 3
		.amdhsa_float_denorm_mode_16_64 3
		.amdhsa_fp16_overflow 0
		.amdhsa_memory_ordered 1
		.amdhsa_forward_progress 1
		.amdhsa_inst_pref_size 0
		.amdhsa_round_robin_scheduling 0
		.amdhsa_exception_fp_ieee_invalid_op 0
		.amdhsa_exception_fp_denorm_src 0
		.amdhsa_exception_fp_ieee_div_zero 0
		.amdhsa_exception_fp_ieee_overflow 0
		.amdhsa_exception_fp_ieee_underflow 0
		.amdhsa_exception_fp_ieee_inexact 0
		.amdhsa_exception_int_div_zero 0
	.end_amdhsa_kernel
	.section	.text._ZN7rocprim17ROCPRIM_400000_NS6detail17trampoline_kernelINS0_14default_configENS1_38merge_sort_block_merge_config_selectorIdNS0_10empty_typeEEEZZNS1_27merge_sort_block_merge_implIS3_PdPS5_jNS1_19radix_merge_compareILb0ELb0EdNS0_19identity_decomposerEEEEE10hipError_tT0_T1_T2_jT3_P12ihipStream_tbPNSt15iterator_traitsISE_E10value_typeEPNSK_ISF_E10value_typeEPSG_NS1_7vsmem_tEENKUlT_SE_SF_SG_E_clIS8_S8_S9_S9_EESD_ST_SE_SF_SG_EUlST_E0_NS1_11comp_targetILNS1_3genE3ELNS1_11target_archE908ELNS1_3gpuE7ELNS1_3repE0EEENS1_38merge_mergepath_config_static_selectorELNS0_4arch9wavefront6targetE0EEEvSF_,"axG",@progbits,_ZN7rocprim17ROCPRIM_400000_NS6detail17trampoline_kernelINS0_14default_configENS1_38merge_sort_block_merge_config_selectorIdNS0_10empty_typeEEEZZNS1_27merge_sort_block_merge_implIS3_PdPS5_jNS1_19radix_merge_compareILb0ELb0EdNS0_19identity_decomposerEEEEE10hipError_tT0_T1_T2_jT3_P12ihipStream_tbPNSt15iterator_traitsISE_E10value_typeEPNSK_ISF_E10value_typeEPSG_NS1_7vsmem_tEENKUlT_SE_SF_SG_E_clIS8_S8_S9_S9_EESD_ST_SE_SF_SG_EUlST_E0_NS1_11comp_targetILNS1_3genE3ELNS1_11target_archE908ELNS1_3gpuE7ELNS1_3repE0EEENS1_38merge_mergepath_config_static_selectorELNS0_4arch9wavefront6targetE0EEEvSF_,comdat
.Lfunc_end1575:
	.size	_ZN7rocprim17ROCPRIM_400000_NS6detail17trampoline_kernelINS0_14default_configENS1_38merge_sort_block_merge_config_selectorIdNS0_10empty_typeEEEZZNS1_27merge_sort_block_merge_implIS3_PdPS5_jNS1_19radix_merge_compareILb0ELb0EdNS0_19identity_decomposerEEEEE10hipError_tT0_T1_T2_jT3_P12ihipStream_tbPNSt15iterator_traitsISE_E10value_typeEPNSK_ISF_E10value_typeEPSG_NS1_7vsmem_tEENKUlT_SE_SF_SG_E_clIS8_S8_S9_S9_EESD_ST_SE_SF_SG_EUlST_E0_NS1_11comp_targetILNS1_3genE3ELNS1_11target_archE908ELNS1_3gpuE7ELNS1_3repE0EEENS1_38merge_mergepath_config_static_selectorELNS0_4arch9wavefront6targetE0EEEvSF_, .Lfunc_end1575-_ZN7rocprim17ROCPRIM_400000_NS6detail17trampoline_kernelINS0_14default_configENS1_38merge_sort_block_merge_config_selectorIdNS0_10empty_typeEEEZZNS1_27merge_sort_block_merge_implIS3_PdPS5_jNS1_19radix_merge_compareILb0ELb0EdNS0_19identity_decomposerEEEEE10hipError_tT0_T1_T2_jT3_P12ihipStream_tbPNSt15iterator_traitsISE_E10value_typeEPNSK_ISF_E10value_typeEPSG_NS1_7vsmem_tEENKUlT_SE_SF_SG_E_clIS8_S8_S9_S9_EESD_ST_SE_SF_SG_EUlST_E0_NS1_11comp_targetILNS1_3genE3ELNS1_11target_archE908ELNS1_3gpuE7ELNS1_3repE0EEENS1_38merge_mergepath_config_static_selectorELNS0_4arch9wavefront6targetE0EEEvSF_
                                        ; -- End function
	.set _ZN7rocprim17ROCPRIM_400000_NS6detail17trampoline_kernelINS0_14default_configENS1_38merge_sort_block_merge_config_selectorIdNS0_10empty_typeEEEZZNS1_27merge_sort_block_merge_implIS3_PdPS5_jNS1_19radix_merge_compareILb0ELb0EdNS0_19identity_decomposerEEEEE10hipError_tT0_T1_T2_jT3_P12ihipStream_tbPNSt15iterator_traitsISE_E10value_typeEPNSK_ISF_E10value_typeEPSG_NS1_7vsmem_tEENKUlT_SE_SF_SG_E_clIS8_S8_S9_S9_EESD_ST_SE_SF_SG_EUlST_E0_NS1_11comp_targetILNS1_3genE3ELNS1_11target_archE908ELNS1_3gpuE7ELNS1_3repE0EEENS1_38merge_mergepath_config_static_selectorELNS0_4arch9wavefront6targetE0EEEvSF_.num_vgpr, 0
	.set _ZN7rocprim17ROCPRIM_400000_NS6detail17trampoline_kernelINS0_14default_configENS1_38merge_sort_block_merge_config_selectorIdNS0_10empty_typeEEEZZNS1_27merge_sort_block_merge_implIS3_PdPS5_jNS1_19radix_merge_compareILb0ELb0EdNS0_19identity_decomposerEEEEE10hipError_tT0_T1_T2_jT3_P12ihipStream_tbPNSt15iterator_traitsISE_E10value_typeEPNSK_ISF_E10value_typeEPSG_NS1_7vsmem_tEENKUlT_SE_SF_SG_E_clIS8_S8_S9_S9_EESD_ST_SE_SF_SG_EUlST_E0_NS1_11comp_targetILNS1_3genE3ELNS1_11target_archE908ELNS1_3gpuE7ELNS1_3repE0EEENS1_38merge_mergepath_config_static_selectorELNS0_4arch9wavefront6targetE0EEEvSF_.num_agpr, 0
	.set _ZN7rocprim17ROCPRIM_400000_NS6detail17trampoline_kernelINS0_14default_configENS1_38merge_sort_block_merge_config_selectorIdNS0_10empty_typeEEEZZNS1_27merge_sort_block_merge_implIS3_PdPS5_jNS1_19radix_merge_compareILb0ELb0EdNS0_19identity_decomposerEEEEE10hipError_tT0_T1_T2_jT3_P12ihipStream_tbPNSt15iterator_traitsISE_E10value_typeEPNSK_ISF_E10value_typeEPSG_NS1_7vsmem_tEENKUlT_SE_SF_SG_E_clIS8_S8_S9_S9_EESD_ST_SE_SF_SG_EUlST_E0_NS1_11comp_targetILNS1_3genE3ELNS1_11target_archE908ELNS1_3gpuE7ELNS1_3repE0EEENS1_38merge_mergepath_config_static_selectorELNS0_4arch9wavefront6targetE0EEEvSF_.numbered_sgpr, 0
	.set _ZN7rocprim17ROCPRIM_400000_NS6detail17trampoline_kernelINS0_14default_configENS1_38merge_sort_block_merge_config_selectorIdNS0_10empty_typeEEEZZNS1_27merge_sort_block_merge_implIS3_PdPS5_jNS1_19radix_merge_compareILb0ELb0EdNS0_19identity_decomposerEEEEE10hipError_tT0_T1_T2_jT3_P12ihipStream_tbPNSt15iterator_traitsISE_E10value_typeEPNSK_ISF_E10value_typeEPSG_NS1_7vsmem_tEENKUlT_SE_SF_SG_E_clIS8_S8_S9_S9_EESD_ST_SE_SF_SG_EUlST_E0_NS1_11comp_targetILNS1_3genE3ELNS1_11target_archE908ELNS1_3gpuE7ELNS1_3repE0EEENS1_38merge_mergepath_config_static_selectorELNS0_4arch9wavefront6targetE0EEEvSF_.num_named_barrier, 0
	.set _ZN7rocprim17ROCPRIM_400000_NS6detail17trampoline_kernelINS0_14default_configENS1_38merge_sort_block_merge_config_selectorIdNS0_10empty_typeEEEZZNS1_27merge_sort_block_merge_implIS3_PdPS5_jNS1_19radix_merge_compareILb0ELb0EdNS0_19identity_decomposerEEEEE10hipError_tT0_T1_T2_jT3_P12ihipStream_tbPNSt15iterator_traitsISE_E10value_typeEPNSK_ISF_E10value_typeEPSG_NS1_7vsmem_tEENKUlT_SE_SF_SG_E_clIS8_S8_S9_S9_EESD_ST_SE_SF_SG_EUlST_E0_NS1_11comp_targetILNS1_3genE3ELNS1_11target_archE908ELNS1_3gpuE7ELNS1_3repE0EEENS1_38merge_mergepath_config_static_selectorELNS0_4arch9wavefront6targetE0EEEvSF_.private_seg_size, 0
	.set _ZN7rocprim17ROCPRIM_400000_NS6detail17trampoline_kernelINS0_14default_configENS1_38merge_sort_block_merge_config_selectorIdNS0_10empty_typeEEEZZNS1_27merge_sort_block_merge_implIS3_PdPS5_jNS1_19radix_merge_compareILb0ELb0EdNS0_19identity_decomposerEEEEE10hipError_tT0_T1_T2_jT3_P12ihipStream_tbPNSt15iterator_traitsISE_E10value_typeEPNSK_ISF_E10value_typeEPSG_NS1_7vsmem_tEENKUlT_SE_SF_SG_E_clIS8_S8_S9_S9_EESD_ST_SE_SF_SG_EUlST_E0_NS1_11comp_targetILNS1_3genE3ELNS1_11target_archE908ELNS1_3gpuE7ELNS1_3repE0EEENS1_38merge_mergepath_config_static_selectorELNS0_4arch9wavefront6targetE0EEEvSF_.uses_vcc, 0
	.set _ZN7rocprim17ROCPRIM_400000_NS6detail17trampoline_kernelINS0_14default_configENS1_38merge_sort_block_merge_config_selectorIdNS0_10empty_typeEEEZZNS1_27merge_sort_block_merge_implIS3_PdPS5_jNS1_19radix_merge_compareILb0ELb0EdNS0_19identity_decomposerEEEEE10hipError_tT0_T1_T2_jT3_P12ihipStream_tbPNSt15iterator_traitsISE_E10value_typeEPNSK_ISF_E10value_typeEPSG_NS1_7vsmem_tEENKUlT_SE_SF_SG_E_clIS8_S8_S9_S9_EESD_ST_SE_SF_SG_EUlST_E0_NS1_11comp_targetILNS1_3genE3ELNS1_11target_archE908ELNS1_3gpuE7ELNS1_3repE0EEENS1_38merge_mergepath_config_static_selectorELNS0_4arch9wavefront6targetE0EEEvSF_.uses_flat_scratch, 0
	.set _ZN7rocprim17ROCPRIM_400000_NS6detail17trampoline_kernelINS0_14default_configENS1_38merge_sort_block_merge_config_selectorIdNS0_10empty_typeEEEZZNS1_27merge_sort_block_merge_implIS3_PdPS5_jNS1_19radix_merge_compareILb0ELb0EdNS0_19identity_decomposerEEEEE10hipError_tT0_T1_T2_jT3_P12ihipStream_tbPNSt15iterator_traitsISE_E10value_typeEPNSK_ISF_E10value_typeEPSG_NS1_7vsmem_tEENKUlT_SE_SF_SG_E_clIS8_S8_S9_S9_EESD_ST_SE_SF_SG_EUlST_E0_NS1_11comp_targetILNS1_3genE3ELNS1_11target_archE908ELNS1_3gpuE7ELNS1_3repE0EEENS1_38merge_mergepath_config_static_selectorELNS0_4arch9wavefront6targetE0EEEvSF_.has_dyn_sized_stack, 0
	.set _ZN7rocprim17ROCPRIM_400000_NS6detail17trampoline_kernelINS0_14default_configENS1_38merge_sort_block_merge_config_selectorIdNS0_10empty_typeEEEZZNS1_27merge_sort_block_merge_implIS3_PdPS5_jNS1_19radix_merge_compareILb0ELb0EdNS0_19identity_decomposerEEEEE10hipError_tT0_T1_T2_jT3_P12ihipStream_tbPNSt15iterator_traitsISE_E10value_typeEPNSK_ISF_E10value_typeEPSG_NS1_7vsmem_tEENKUlT_SE_SF_SG_E_clIS8_S8_S9_S9_EESD_ST_SE_SF_SG_EUlST_E0_NS1_11comp_targetILNS1_3genE3ELNS1_11target_archE908ELNS1_3gpuE7ELNS1_3repE0EEENS1_38merge_mergepath_config_static_selectorELNS0_4arch9wavefront6targetE0EEEvSF_.has_recursion, 0
	.set _ZN7rocprim17ROCPRIM_400000_NS6detail17trampoline_kernelINS0_14default_configENS1_38merge_sort_block_merge_config_selectorIdNS0_10empty_typeEEEZZNS1_27merge_sort_block_merge_implIS3_PdPS5_jNS1_19radix_merge_compareILb0ELb0EdNS0_19identity_decomposerEEEEE10hipError_tT0_T1_T2_jT3_P12ihipStream_tbPNSt15iterator_traitsISE_E10value_typeEPNSK_ISF_E10value_typeEPSG_NS1_7vsmem_tEENKUlT_SE_SF_SG_E_clIS8_S8_S9_S9_EESD_ST_SE_SF_SG_EUlST_E0_NS1_11comp_targetILNS1_3genE3ELNS1_11target_archE908ELNS1_3gpuE7ELNS1_3repE0EEENS1_38merge_mergepath_config_static_selectorELNS0_4arch9wavefront6targetE0EEEvSF_.has_indirect_call, 0
	.section	.AMDGPU.csdata,"",@progbits
; Kernel info:
; codeLenInByte = 0
; TotalNumSgprs: 0
; NumVgprs: 0
; ScratchSize: 0
; MemoryBound: 0
; FloatMode: 240
; IeeeMode: 1
; LDSByteSize: 0 bytes/workgroup (compile time only)
; SGPRBlocks: 0
; VGPRBlocks: 0
; NumSGPRsForWavesPerEU: 1
; NumVGPRsForWavesPerEU: 1
; NamedBarCnt: 0
; Occupancy: 16
; WaveLimiterHint : 0
; COMPUTE_PGM_RSRC2:SCRATCH_EN: 0
; COMPUTE_PGM_RSRC2:USER_SGPR: 2
; COMPUTE_PGM_RSRC2:TRAP_HANDLER: 0
; COMPUTE_PGM_RSRC2:TGID_X_EN: 1
; COMPUTE_PGM_RSRC2:TGID_Y_EN: 0
; COMPUTE_PGM_RSRC2:TGID_Z_EN: 0
; COMPUTE_PGM_RSRC2:TIDIG_COMP_CNT: 0
	.section	.text._ZN7rocprim17ROCPRIM_400000_NS6detail17trampoline_kernelINS0_14default_configENS1_38merge_sort_block_merge_config_selectorIdNS0_10empty_typeEEEZZNS1_27merge_sort_block_merge_implIS3_PdPS5_jNS1_19radix_merge_compareILb0ELb0EdNS0_19identity_decomposerEEEEE10hipError_tT0_T1_T2_jT3_P12ihipStream_tbPNSt15iterator_traitsISE_E10value_typeEPNSK_ISF_E10value_typeEPSG_NS1_7vsmem_tEENKUlT_SE_SF_SG_E_clIS8_S8_S9_S9_EESD_ST_SE_SF_SG_EUlST_E0_NS1_11comp_targetILNS1_3genE2ELNS1_11target_archE906ELNS1_3gpuE6ELNS1_3repE0EEENS1_38merge_mergepath_config_static_selectorELNS0_4arch9wavefront6targetE0EEEvSF_,"axG",@progbits,_ZN7rocprim17ROCPRIM_400000_NS6detail17trampoline_kernelINS0_14default_configENS1_38merge_sort_block_merge_config_selectorIdNS0_10empty_typeEEEZZNS1_27merge_sort_block_merge_implIS3_PdPS5_jNS1_19radix_merge_compareILb0ELb0EdNS0_19identity_decomposerEEEEE10hipError_tT0_T1_T2_jT3_P12ihipStream_tbPNSt15iterator_traitsISE_E10value_typeEPNSK_ISF_E10value_typeEPSG_NS1_7vsmem_tEENKUlT_SE_SF_SG_E_clIS8_S8_S9_S9_EESD_ST_SE_SF_SG_EUlST_E0_NS1_11comp_targetILNS1_3genE2ELNS1_11target_archE906ELNS1_3gpuE6ELNS1_3repE0EEENS1_38merge_mergepath_config_static_selectorELNS0_4arch9wavefront6targetE0EEEvSF_,comdat
	.protected	_ZN7rocprim17ROCPRIM_400000_NS6detail17trampoline_kernelINS0_14default_configENS1_38merge_sort_block_merge_config_selectorIdNS0_10empty_typeEEEZZNS1_27merge_sort_block_merge_implIS3_PdPS5_jNS1_19radix_merge_compareILb0ELb0EdNS0_19identity_decomposerEEEEE10hipError_tT0_T1_T2_jT3_P12ihipStream_tbPNSt15iterator_traitsISE_E10value_typeEPNSK_ISF_E10value_typeEPSG_NS1_7vsmem_tEENKUlT_SE_SF_SG_E_clIS8_S8_S9_S9_EESD_ST_SE_SF_SG_EUlST_E0_NS1_11comp_targetILNS1_3genE2ELNS1_11target_archE906ELNS1_3gpuE6ELNS1_3repE0EEENS1_38merge_mergepath_config_static_selectorELNS0_4arch9wavefront6targetE0EEEvSF_ ; -- Begin function _ZN7rocprim17ROCPRIM_400000_NS6detail17trampoline_kernelINS0_14default_configENS1_38merge_sort_block_merge_config_selectorIdNS0_10empty_typeEEEZZNS1_27merge_sort_block_merge_implIS3_PdPS5_jNS1_19radix_merge_compareILb0ELb0EdNS0_19identity_decomposerEEEEE10hipError_tT0_T1_T2_jT3_P12ihipStream_tbPNSt15iterator_traitsISE_E10value_typeEPNSK_ISF_E10value_typeEPSG_NS1_7vsmem_tEENKUlT_SE_SF_SG_E_clIS8_S8_S9_S9_EESD_ST_SE_SF_SG_EUlST_E0_NS1_11comp_targetILNS1_3genE2ELNS1_11target_archE906ELNS1_3gpuE6ELNS1_3repE0EEENS1_38merge_mergepath_config_static_selectorELNS0_4arch9wavefront6targetE0EEEvSF_
	.globl	_ZN7rocprim17ROCPRIM_400000_NS6detail17trampoline_kernelINS0_14default_configENS1_38merge_sort_block_merge_config_selectorIdNS0_10empty_typeEEEZZNS1_27merge_sort_block_merge_implIS3_PdPS5_jNS1_19radix_merge_compareILb0ELb0EdNS0_19identity_decomposerEEEEE10hipError_tT0_T1_T2_jT3_P12ihipStream_tbPNSt15iterator_traitsISE_E10value_typeEPNSK_ISF_E10value_typeEPSG_NS1_7vsmem_tEENKUlT_SE_SF_SG_E_clIS8_S8_S9_S9_EESD_ST_SE_SF_SG_EUlST_E0_NS1_11comp_targetILNS1_3genE2ELNS1_11target_archE906ELNS1_3gpuE6ELNS1_3repE0EEENS1_38merge_mergepath_config_static_selectorELNS0_4arch9wavefront6targetE0EEEvSF_
	.p2align	8
	.type	_ZN7rocprim17ROCPRIM_400000_NS6detail17trampoline_kernelINS0_14default_configENS1_38merge_sort_block_merge_config_selectorIdNS0_10empty_typeEEEZZNS1_27merge_sort_block_merge_implIS3_PdPS5_jNS1_19radix_merge_compareILb0ELb0EdNS0_19identity_decomposerEEEEE10hipError_tT0_T1_T2_jT3_P12ihipStream_tbPNSt15iterator_traitsISE_E10value_typeEPNSK_ISF_E10value_typeEPSG_NS1_7vsmem_tEENKUlT_SE_SF_SG_E_clIS8_S8_S9_S9_EESD_ST_SE_SF_SG_EUlST_E0_NS1_11comp_targetILNS1_3genE2ELNS1_11target_archE906ELNS1_3gpuE6ELNS1_3repE0EEENS1_38merge_mergepath_config_static_selectorELNS0_4arch9wavefront6targetE0EEEvSF_,@function
_ZN7rocprim17ROCPRIM_400000_NS6detail17trampoline_kernelINS0_14default_configENS1_38merge_sort_block_merge_config_selectorIdNS0_10empty_typeEEEZZNS1_27merge_sort_block_merge_implIS3_PdPS5_jNS1_19radix_merge_compareILb0ELb0EdNS0_19identity_decomposerEEEEE10hipError_tT0_T1_T2_jT3_P12ihipStream_tbPNSt15iterator_traitsISE_E10value_typeEPNSK_ISF_E10value_typeEPSG_NS1_7vsmem_tEENKUlT_SE_SF_SG_E_clIS8_S8_S9_S9_EESD_ST_SE_SF_SG_EUlST_E0_NS1_11comp_targetILNS1_3genE2ELNS1_11target_archE906ELNS1_3gpuE6ELNS1_3repE0EEENS1_38merge_mergepath_config_static_selectorELNS0_4arch9wavefront6targetE0EEEvSF_: ; @_ZN7rocprim17ROCPRIM_400000_NS6detail17trampoline_kernelINS0_14default_configENS1_38merge_sort_block_merge_config_selectorIdNS0_10empty_typeEEEZZNS1_27merge_sort_block_merge_implIS3_PdPS5_jNS1_19radix_merge_compareILb0ELb0EdNS0_19identity_decomposerEEEEE10hipError_tT0_T1_T2_jT3_P12ihipStream_tbPNSt15iterator_traitsISE_E10value_typeEPNSK_ISF_E10value_typeEPSG_NS1_7vsmem_tEENKUlT_SE_SF_SG_E_clIS8_S8_S9_S9_EESD_ST_SE_SF_SG_EUlST_E0_NS1_11comp_targetILNS1_3genE2ELNS1_11target_archE906ELNS1_3gpuE6ELNS1_3repE0EEENS1_38merge_mergepath_config_static_selectorELNS0_4arch9wavefront6targetE0EEEvSF_
; %bb.0:
	.section	.rodata,"a",@progbits
	.p2align	6, 0x0
	.amdhsa_kernel _ZN7rocprim17ROCPRIM_400000_NS6detail17trampoline_kernelINS0_14default_configENS1_38merge_sort_block_merge_config_selectorIdNS0_10empty_typeEEEZZNS1_27merge_sort_block_merge_implIS3_PdPS5_jNS1_19radix_merge_compareILb0ELb0EdNS0_19identity_decomposerEEEEE10hipError_tT0_T1_T2_jT3_P12ihipStream_tbPNSt15iterator_traitsISE_E10value_typeEPNSK_ISF_E10value_typeEPSG_NS1_7vsmem_tEENKUlT_SE_SF_SG_E_clIS8_S8_S9_S9_EESD_ST_SE_SF_SG_EUlST_E0_NS1_11comp_targetILNS1_3genE2ELNS1_11target_archE906ELNS1_3gpuE6ELNS1_3repE0EEENS1_38merge_mergepath_config_static_selectorELNS0_4arch9wavefront6targetE0EEEvSF_
		.amdhsa_group_segment_fixed_size 0
		.amdhsa_private_segment_fixed_size 0
		.amdhsa_kernarg_size 64
		.amdhsa_user_sgpr_count 2
		.amdhsa_user_sgpr_dispatch_ptr 0
		.amdhsa_user_sgpr_queue_ptr 0
		.amdhsa_user_sgpr_kernarg_segment_ptr 1
		.amdhsa_user_sgpr_dispatch_id 0
		.amdhsa_user_sgpr_kernarg_preload_length 0
		.amdhsa_user_sgpr_kernarg_preload_offset 0
		.amdhsa_user_sgpr_private_segment_size 0
		.amdhsa_wavefront_size32 1
		.amdhsa_uses_dynamic_stack 0
		.amdhsa_enable_private_segment 0
		.amdhsa_system_sgpr_workgroup_id_x 1
		.amdhsa_system_sgpr_workgroup_id_y 0
		.amdhsa_system_sgpr_workgroup_id_z 0
		.amdhsa_system_sgpr_workgroup_info 0
		.amdhsa_system_vgpr_workitem_id 0
		.amdhsa_next_free_vgpr 1
		.amdhsa_next_free_sgpr 1
		.amdhsa_named_barrier_count 0
		.amdhsa_reserve_vcc 0
		.amdhsa_float_round_mode_32 0
		.amdhsa_float_round_mode_16_64 0
		.amdhsa_float_denorm_mode_32 3
		.amdhsa_float_denorm_mode_16_64 3
		.amdhsa_fp16_overflow 0
		.amdhsa_memory_ordered 1
		.amdhsa_forward_progress 1
		.amdhsa_inst_pref_size 0
		.amdhsa_round_robin_scheduling 0
		.amdhsa_exception_fp_ieee_invalid_op 0
		.amdhsa_exception_fp_denorm_src 0
		.amdhsa_exception_fp_ieee_div_zero 0
		.amdhsa_exception_fp_ieee_overflow 0
		.amdhsa_exception_fp_ieee_underflow 0
		.amdhsa_exception_fp_ieee_inexact 0
		.amdhsa_exception_int_div_zero 0
	.end_amdhsa_kernel
	.section	.text._ZN7rocprim17ROCPRIM_400000_NS6detail17trampoline_kernelINS0_14default_configENS1_38merge_sort_block_merge_config_selectorIdNS0_10empty_typeEEEZZNS1_27merge_sort_block_merge_implIS3_PdPS5_jNS1_19radix_merge_compareILb0ELb0EdNS0_19identity_decomposerEEEEE10hipError_tT0_T1_T2_jT3_P12ihipStream_tbPNSt15iterator_traitsISE_E10value_typeEPNSK_ISF_E10value_typeEPSG_NS1_7vsmem_tEENKUlT_SE_SF_SG_E_clIS8_S8_S9_S9_EESD_ST_SE_SF_SG_EUlST_E0_NS1_11comp_targetILNS1_3genE2ELNS1_11target_archE906ELNS1_3gpuE6ELNS1_3repE0EEENS1_38merge_mergepath_config_static_selectorELNS0_4arch9wavefront6targetE0EEEvSF_,"axG",@progbits,_ZN7rocprim17ROCPRIM_400000_NS6detail17trampoline_kernelINS0_14default_configENS1_38merge_sort_block_merge_config_selectorIdNS0_10empty_typeEEEZZNS1_27merge_sort_block_merge_implIS3_PdPS5_jNS1_19radix_merge_compareILb0ELb0EdNS0_19identity_decomposerEEEEE10hipError_tT0_T1_T2_jT3_P12ihipStream_tbPNSt15iterator_traitsISE_E10value_typeEPNSK_ISF_E10value_typeEPSG_NS1_7vsmem_tEENKUlT_SE_SF_SG_E_clIS8_S8_S9_S9_EESD_ST_SE_SF_SG_EUlST_E0_NS1_11comp_targetILNS1_3genE2ELNS1_11target_archE906ELNS1_3gpuE6ELNS1_3repE0EEENS1_38merge_mergepath_config_static_selectorELNS0_4arch9wavefront6targetE0EEEvSF_,comdat
.Lfunc_end1576:
	.size	_ZN7rocprim17ROCPRIM_400000_NS6detail17trampoline_kernelINS0_14default_configENS1_38merge_sort_block_merge_config_selectorIdNS0_10empty_typeEEEZZNS1_27merge_sort_block_merge_implIS3_PdPS5_jNS1_19radix_merge_compareILb0ELb0EdNS0_19identity_decomposerEEEEE10hipError_tT0_T1_T2_jT3_P12ihipStream_tbPNSt15iterator_traitsISE_E10value_typeEPNSK_ISF_E10value_typeEPSG_NS1_7vsmem_tEENKUlT_SE_SF_SG_E_clIS8_S8_S9_S9_EESD_ST_SE_SF_SG_EUlST_E0_NS1_11comp_targetILNS1_3genE2ELNS1_11target_archE906ELNS1_3gpuE6ELNS1_3repE0EEENS1_38merge_mergepath_config_static_selectorELNS0_4arch9wavefront6targetE0EEEvSF_, .Lfunc_end1576-_ZN7rocprim17ROCPRIM_400000_NS6detail17trampoline_kernelINS0_14default_configENS1_38merge_sort_block_merge_config_selectorIdNS0_10empty_typeEEEZZNS1_27merge_sort_block_merge_implIS3_PdPS5_jNS1_19radix_merge_compareILb0ELb0EdNS0_19identity_decomposerEEEEE10hipError_tT0_T1_T2_jT3_P12ihipStream_tbPNSt15iterator_traitsISE_E10value_typeEPNSK_ISF_E10value_typeEPSG_NS1_7vsmem_tEENKUlT_SE_SF_SG_E_clIS8_S8_S9_S9_EESD_ST_SE_SF_SG_EUlST_E0_NS1_11comp_targetILNS1_3genE2ELNS1_11target_archE906ELNS1_3gpuE6ELNS1_3repE0EEENS1_38merge_mergepath_config_static_selectorELNS0_4arch9wavefront6targetE0EEEvSF_
                                        ; -- End function
	.set _ZN7rocprim17ROCPRIM_400000_NS6detail17trampoline_kernelINS0_14default_configENS1_38merge_sort_block_merge_config_selectorIdNS0_10empty_typeEEEZZNS1_27merge_sort_block_merge_implIS3_PdPS5_jNS1_19radix_merge_compareILb0ELb0EdNS0_19identity_decomposerEEEEE10hipError_tT0_T1_T2_jT3_P12ihipStream_tbPNSt15iterator_traitsISE_E10value_typeEPNSK_ISF_E10value_typeEPSG_NS1_7vsmem_tEENKUlT_SE_SF_SG_E_clIS8_S8_S9_S9_EESD_ST_SE_SF_SG_EUlST_E0_NS1_11comp_targetILNS1_3genE2ELNS1_11target_archE906ELNS1_3gpuE6ELNS1_3repE0EEENS1_38merge_mergepath_config_static_selectorELNS0_4arch9wavefront6targetE0EEEvSF_.num_vgpr, 0
	.set _ZN7rocprim17ROCPRIM_400000_NS6detail17trampoline_kernelINS0_14default_configENS1_38merge_sort_block_merge_config_selectorIdNS0_10empty_typeEEEZZNS1_27merge_sort_block_merge_implIS3_PdPS5_jNS1_19radix_merge_compareILb0ELb0EdNS0_19identity_decomposerEEEEE10hipError_tT0_T1_T2_jT3_P12ihipStream_tbPNSt15iterator_traitsISE_E10value_typeEPNSK_ISF_E10value_typeEPSG_NS1_7vsmem_tEENKUlT_SE_SF_SG_E_clIS8_S8_S9_S9_EESD_ST_SE_SF_SG_EUlST_E0_NS1_11comp_targetILNS1_3genE2ELNS1_11target_archE906ELNS1_3gpuE6ELNS1_3repE0EEENS1_38merge_mergepath_config_static_selectorELNS0_4arch9wavefront6targetE0EEEvSF_.num_agpr, 0
	.set _ZN7rocprim17ROCPRIM_400000_NS6detail17trampoline_kernelINS0_14default_configENS1_38merge_sort_block_merge_config_selectorIdNS0_10empty_typeEEEZZNS1_27merge_sort_block_merge_implIS3_PdPS5_jNS1_19radix_merge_compareILb0ELb0EdNS0_19identity_decomposerEEEEE10hipError_tT0_T1_T2_jT3_P12ihipStream_tbPNSt15iterator_traitsISE_E10value_typeEPNSK_ISF_E10value_typeEPSG_NS1_7vsmem_tEENKUlT_SE_SF_SG_E_clIS8_S8_S9_S9_EESD_ST_SE_SF_SG_EUlST_E0_NS1_11comp_targetILNS1_3genE2ELNS1_11target_archE906ELNS1_3gpuE6ELNS1_3repE0EEENS1_38merge_mergepath_config_static_selectorELNS0_4arch9wavefront6targetE0EEEvSF_.numbered_sgpr, 0
	.set _ZN7rocprim17ROCPRIM_400000_NS6detail17trampoline_kernelINS0_14default_configENS1_38merge_sort_block_merge_config_selectorIdNS0_10empty_typeEEEZZNS1_27merge_sort_block_merge_implIS3_PdPS5_jNS1_19radix_merge_compareILb0ELb0EdNS0_19identity_decomposerEEEEE10hipError_tT0_T1_T2_jT3_P12ihipStream_tbPNSt15iterator_traitsISE_E10value_typeEPNSK_ISF_E10value_typeEPSG_NS1_7vsmem_tEENKUlT_SE_SF_SG_E_clIS8_S8_S9_S9_EESD_ST_SE_SF_SG_EUlST_E0_NS1_11comp_targetILNS1_3genE2ELNS1_11target_archE906ELNS1_3gpuE6ELNS1_3repE0EEENS1_38merge_mergepath_config_static_selectorELNS0_4arch9wavefront6targetE0EEEvSF_.num_named_barrier, 0
	.set _ZN7rocprim17ROCPRIM_400000_NS6detail17trampoline_kernelINS0_14default_configENS1_38merge_sort_block_merge_config_selectorIdNS0_10empty_typeEEEZZNS1_27merge_sort_block_merge_implIS3_PdPS5_jNS1_19radix_merge_compareILb0ELb0EdNS0_19identity_decomposerEEEEE10hipError_tT0_T1_T2_jT3_P12ihipStream_tbPNSt15iterator_traitsISE_E10value_typeEPNSK_ISF_E10value_typeEPSG_NS1_7vsmem_tEENKUlT_SE_SF_SG_E_clIS8_S8_S9_S9_EESD_ST_SE_SF_SG_EUlST_E0_NS1_11comp_targetILNS1_3genE2ELNS1_11target_archE906ELNS1_3gpuE6ELNS1_3repE0EEENS1_38merge_mergepath_config_static_selectorELNS0_4arch9wavefront6targetE0EEEvSF_.private_seg_size, 0
	.set _ZN7rocprim17ROCPRIM_400000_NS6detail17trampoline_kernelINS0_14default_configENS1_38merge_sort_block_merge_config_selectorIdNS0_10empty_typeEEEZZNS1_27merge_sort_block_merge_implIS3_PdPS5_jNS1_19radix_merge_compareILb0ELb0EdNS0_19identity_decomposerEEEEE10hipError_tT0_T1_T2_jT3_P12ihipStream_tbPNSt15iterator_traitsISE_E10value_typeEPNSK_ISF_E10value_typeEPSG_NS1_7vsmem_tEENKUlT_SE_SF_SG_E_clIS8_S8_S9_S9_EESD_ST_SE_SF_SG_EUlST_E0_NS1_11comp_targetILNS1_3genE2ELNS1_11target_archE906ELNS1_3gpuE6ELNS1_3repE0EEENS1_38merge_mergepath_config_static_selectorELNS0_4arch9wavefront6targetE0EEEvSF_.uses_vcc, 0
	.set _ZN7rocprim17ROCPRIM_400000_NS6detail17trampoline_kernelINS0_14default_configENS1_38merge_sort_block_merge_config_selectorIdNS0_10empty_typeEEEZZNS1_27merge_sort_block_merge_implIS3_PdPS5_jNS1_19radix_merge_compareILb0ELb0EdNS0_19identity_decomposerEEEEE10hipError_tT0_T1_T2_jT3_P12ihipStream_tbPNSt15iterator_traitsISE_E10value_typeEPNSK_ISF_E10value_typeEPSG_NS1_7vsmem_tEENKUlT_SE_SF_SG_E_clIS8_S8_S9_S9_EESD_ST_SE_SF_SG_EUlST_E0_NS1_11comp_targetILNS1_3genE2ELNS1_11target_archE906ELNS1_3gpuE6ELNS1_3repE0EEENS1_38merge_mergepath_config_static_selectorELNS0_4arch9wavefront6targetE0EEEvSF_.uses_flat_scratch, 0
	.set _ZN7rocprim17ROCPRIM_400000_NS6detail17trampoline_kernelINS0_14default_configENS1_38merge_sort_block_merge_config_selectorIdNS0_10empty_typeEEEZZNS1_27merge_sort_block_merge_implIS3_PdPS5_jNS1_19radix_merge_compareILb0ELb0EdNS0_19identity_decomposerEEEEE10hipError_tT0_T1_T2_jT3_P12ihipStream_tbPNSt15iterator_traitsISE_E10value_typeEPNSK_ISF_E10value_typeEPSG_NS1_7vsmem_tEENKUlT_SE_SF_SG_E_clIS8_S8_S9_S9_EESD_ST_SE_SF_SG_EUlST_E0_NS1_11comp_targetILNS1_3genE2ELNS1_11target_archE906ELNS1_3gpuE6ELNS1_3repE0EEENS1_38merge_mergepath_config_static_selectorELNS0_4arch9wavefront6targetE0EEEvSF_.has_dyn_sized_stack, 0
	.set _ZN7rocprim17ROCPRIM_400000_NS6detail17trampoline_kernelINS0_14default_configENS1_38merge_sort_block_merge_config_selectorIdNS0_10empty_typeEEEZZNS1_27merge_sort_block_merge_implIS3_PdPS5_jNS1_19radix_merge_compareILb0ELb0EdNS0_19identity_decomposerEEEEE10hipError_tT0_T1_T2_jT3_P12ihipStream_tbPNSt15iterator_traitsISE_E10value_typeEPNSK_ISF_E10value_typeEPSG_NS1_7vsmem_tEENKUlT_SE_SF_SG_E_clIS8_S8_S9_S9_EESD_ST_SE_SF_SG_EUlST_E0_NS1_11comp_targetILNS1_3genE2ELNS1_11target_archE906ELNS1_3gpuE6ELNS1_3repE0EEENS1_38merge_mergepath_config_static_selectorELNS0_4arch9wavefront6targetE0EEEvSF_.has_recursion, 0
	.set _ZN7rocprim17ROCPRIM_400000_NS6detail17trampoline_kernelINS0_14default_configENS1_38merge_sort_block_merge_config_selectorIdNS0_10empty_typeEEEZZNS1_27merge_sort_block_merge_implIS3_PdPS5_jNS1_19radix_merge_compareILb0ELb0EdNS0_19identity_decomposerEEEEE10hipError_tT0_T1_T2_jT3_P12ihipStream_tbPNSt15iterator_traitsISE_E10value_typeEPNSK_ISF_E10value_typeEPSG_NS1_7vsmem_tEENKUlT_SE_SF_SG_E_clIS8_S8_S9_S9_EESD_ST_SE_SF_SG_EUlST_E0_NS1_11comp_targetILNS1_3genE2ELNS1_11target_archE906ELNS1_3gpuE6ELNS1_3repE0EEENS1_38merge_mergepath_config_static_selectorELNS0_4arch9wavefront6targetE0EEEvSF_.has_indirect_call, 0
	.section	.AMDGPU.csdata,"",@progbits
; Kernel info:
; codeLenInByte = 0
; TotalNumSgprs: 0
; NumVgprs: 0
; ScratchSize: 0
; MemoryBound: 0
; FloatMode: 240
; IeeeMode: 1
; LDSByteSize: 0 bytes/workgroup (compile time only)
; SGPRBlocks: 0
; VGPRBlocks: 0
; NumSGPRsForWavesPerEU: 1
; NumVGPRsForWavesPerEU: 1
; NamedBarCnt: 0
; Occupancy: 16
; WaveLimiterHint : 0
; COMPUTE_PGM_RSRC2:SCRATCH_EN: 0
; COMPUTE_PGM_RSRC2:USER_SGPR: 2
; COMPUTE_PGM_RSRC2:TRAP_HANDLER: 0
; COMPUTE_PGM_RSRC2:TGID_X_EN: 1
; COMPUTE_PGM_RSRC2:TGID_Y_EN: 0
; COMPUTE_PGM_RSRC2:TGID_Z_EN: 0
; COMPUTE_PGM_RSRC2:TIDIG_COMP_CNT: 0
	.section	.text._ZN7rocprim17ROCPRIM_400000_NS6detail17trampoline_kernelINS0_14default_configENS1_38merge_sort_block_merge_config_selectorIdNS0_10empty_typeEEEZZNS1_27merge_sort_block_merge_implIS3_PdPS5_jNS1_19radix_merge_compareILb0ELb0EdNS0_19identity_decomposerEEEEE10hipError_tT0_T1_T2_jT3_P12ihipStream_tbPNSt15iterator_traitsISE_E10value_typeEPNSK_ISF_E10value_typeEPSG_NS1_7vsmem_tEENKUlT_SE_SF_SG_E_clIS8_S8_S9_S9_EESD_ST_SE_SF_SG_EUlST_E0_NS1_11comp_targetILNS1_3genE9ELNS1_11target_archE1100ELNS1_3gpuE3ELNS1_3repE0EEENS1_38merge_mergepath_config_static_selectorELNS0_4arch9wavefront6targetE0EEEvSF_,"axG",@progbits,_ZN7rocprim17ROCPRIM_400000_NS6detail17trampoline_kernelINS0_14default_configENS1_38merge_sort_block_merge_config_selectorIdNS0_10empty_typeEEEZZNS1_27merge_sort_block_merge_implIS3_PdPS5_jNS1_19radix_merge_compareILb0ELb0EdNS0_19identity_decomposerEEEEE10hipError_tT0_T1_T2_jT3_P12ihipStream_tbPNSt15iterator_traitsISE_E10value_typeEPNSK_ISF_E10value_typeEPSG_NS1_7vsmem_tEENKUlT_SE_SF_SG_E_clIS8_S8_S9_S9_EESD_ST_SE_SF_SG_EUlST_E0_NS1_11comp_targetILNS1_3genE9ELNS1_11target_archE1100ELNS1_3gpuE3ELNS1_3repE0EEENS1_38merge_mergepath_config_static_selectorELNS0_4arch9wavefront6targetE0EEEvSF_,comdat
	.protected	_ZN7rocprim17ROCPRIM_400000_NS6detail17trampoline_kernelINS0_14default_configENS1_38merge_sort_block_merge_config_selectorIdNS0_10empty_typeEEEZZNS1_27merge_sort_block_merge_implIS3_PdPS5_jNS1_19radix_merge_compareILb0ELb0EdNS0_19identity_decomposerEEEEE10hipError_tT0_T1_T2_jT3_P12ihipStream_tbPNSt15iterator_traitsISE_E10value_typeEPNSK_ISF_E10value_typeEPSG_NS1_7vsmem_tEENKUlT_SE_SF_SG_E_clIS8_S8_S9_S9_EESD_ST_SE_SF_SG_EUlST_E0_NS1_11comp_targetILNS1_3genE9ELNS1_11target_archE1100ELNS1_3gpuE3ELNS1_3repE0EEENS1_38merge_mergepath_config_static_selectorELNS0_4arch9wavefront6targetE0EEEvSF_ ; -- Begin function _ZN7rocprim17ROCPRIM_400000_NS6detail17trampoline_kernelINS0_14default_configENS1_38merge_sort_block_merge_config_selectorIdNS0_10empty_typeEEEZZNS1_27merge_sort_block_merge_implIS3_PdPS5_jNS1_19radix_merge_compareILb0ELb0EdNS0_19identity_decomposerEEEEE10hipError_tT0_T1_T2_jT3_P12ihipStream_tbPNSt15iterator_traitsISE_E10value_typeEPNSK_ISF_E10value_typeEPSG_NS1_7vsmem_tEENKUlT_SE_SF_SG_E_clIS8_S8_S9_S9_EESD_ST_SE_SF_SG_EUlST_E0_NS1_11comp_targetILNS1_3genE9ELNS1_11target_archE1100ELNS1_3gpuE3ELNS1_3repE0EEENS1_38merge_mergepath_config_static_selectorELNS0_4arch9wavefront6targetE0EEEvSF_
	.globl	_ZN7rocprim17ROCPRIM_400000_NS6detail17trampoline_kernelINS0_14default_configENS1_38merge_sort_block_merge_config_selectorIdNS0_10empty_typeEEEZZNS1_27merge_sort_block_merge_implIS3_PdPS5_jNS1_19radix_merge_compareILb0ELb0EdNS0_19identity_decomposerEEEEE10hipError_tT0_T1_T2_jT3_P12ihipStream_tbPNSt15iterator_traitsISE_E10value_typeEPNSK_ISF_E10value_typeEPSG_NS1_7vsmem_tEENKUlT_SE_SF_SG_E_clIS8_S8_S9_S9_EESD_ST_SE_SF_SG_EUlST_E0_NS1_11comp_targetILNS1_3genE9ELNS1_11target_archE1100ELNS1_3gpuE3ELNS1_3repE0EEENS1_38merge_mergepath_config_static_selectorELNS0_4arch9wavefront6targetE0EEEvSF_
	.p2align	8
	.type	_ZN7rocprim17ROCPRIM_400000_NS6detail17trampoline_kernelINS0_14default_configENS1_38merge_sort_block_merge_config_selectorIdNS0_10empty_typeEEEZZNS1_27merge_sort_block_merge_implIS3_PdPS5_jNS1_19radix_merge_compareILb0ELb0EdNS0_19identity_decomposerEEEEE10hipError_tT0_T1_T2_jT3_P12ihipStream_tbPNSt15iterator_traitsISE_E10value_typeEPNSK_ISF_E10value_typeEPSG_NS1_7vsmem_tEENKUlT_SE_SF_SG_E_clIS8_S8_S9_S9_EESD_ST_SE_SF_SG_EUlST_E0_NS1_11comp_targetILNS1_3genE9ELNS1_11target_archE1100ELNS1_3gpuE3ELNS1_3repE0EEENS1_38merge_mergepath_config_static_selectorELNS0_4arch9wavefront6targetE0EEEvSF_,@function
_ZN7rocprim17ROCPRIM_400000_NS6detail17trampoline_kernelINS0_14default_configENS1_38merge_sort_block_merge_config_selectorIdNS0_10empty_typeEEEZZNS1_27merge_sort_block_merge_implIS3_PdPS5_jNS1_19radix_merge_compareILb0ELb0EdNS0_19identity_decomposerEEEEE10hipError_tT0_T1_T2_jT3_P12ihipStream_tbPNSt15iterator_traitsISE_E10value_typeEPNSK_ISF_E10value_typeEPSG_NS1_7vsmem_tEENKUlT_SE_SF_SG_E_clIS8_S8_S9_S9_EESD_ST_SE_SF_SG_EUlST_E0_NS1_11comp_targetILNS1_3genE9ELNS1_11target_archE1100ELNS1_3gpuE3ELNS1_3repE0EEENS1_38merge_mergepath_config_static_selectorELNS0_4arch9wavefront6targetE0EEEvSF_: ; @_ZN7rocprim17ROCPRIM_400000_NS6detail17trampoline_kernelINS0_14default_configENS1_38merge_sort_block_merge_config_selectorIdNS0_10empty_typeEEEZZNS1_27merge_sort_block_merge_implIS3_PdPS5_jNS1_19radix_merge_compareILb0ELb0EdNS0_19identity_decomposerEEEEE10hipError_tT0_T1_T2_jT3_P12ihipStream_tbPNSt15iterator_traitsISE_E10value_typeEPNSK_ISF_E10value_typeEPSG_NS1_7vsmem_tEENKUlT_SE_SF_SG_E_clIS8_S8_S9_S9_EESD_ST_SE_SF_SG_EUlST_E0_NS1_11comp_targetILNS1_3genE9ELNS1_11target_archE1100ELNS1_3gpuE3ELNS1_3repE0EEENS1_38merge_mergepath_config_static_selectorELNS0_4arch9wavefront6targetE0EEEvSF_
; %bb.0:
	.section	.rodata,"a",@progbits
	.p2align	6, 0x0
	.amdhsa_kernel _ZN7rocprim17ROCPRIM_400000_NS6detail17trampoline_kernelINS0_14default_configENS1_38merge_sort_block_merge_config_selectorIdNS0_10empty_typeEEEZZNS1_27merge_sort_block_merge_implIS3_PdPS5_jNS1_19radix_merge_compareILb0ELb0EdNS0_19identity_decomposerEEEEE10hipError_tT0_T1_T2_jT3_P12ihipStream_tbPNSt15iterator_traitsISE_E10value_typeEPNSK_ISF_E10value_typeEPSG_NS1_7vsmem_tEENKUlT_SE_SF_SG_E_clIS8_S8_S9_S9_EESD_ST_SE_SF_SG_EUlST_E0_NS1_11comp_targetILNS1_3genE9ELNS1_11target_archE1100ELNS1_3gpuE3ELNS1_3repE0EEENS1_38merge_mergepath_config_static_selectorELNS0_4arch9wavefront6targetE0EEEvSF_
		.amdhsa_group_segment_fixed_size 0
		.amdhsa_private_segment_fixed_size 0
		.amdhsa_kernarg_size 64
		.amdhsa_user_sgpr_count 2
		.amdhsa_user_sgpr_dispatch_ptr 0
		.amdhsa_user_sgpr_queue_ptr 0
		.amdhsa_user_sgpr_kernarg_segment_ptr 1
		.amdhsa_user_sgpr_dispatch_id 0
		.amdhsa_user_sgpr_kernarg_preload_length 0
		.amdhsa_user_sgpr_kernarg_preload_offset 0
		.amdhsa_user_sgpr_private_segment_size 0
		.amdhsa_wavefront_size32 1
		.amdhsa_uses_dynamic_stack 0
		.amdhsa_enable_private_segment 0
		.amdhsa_system_sgpr_workgroup_id_x 1
		.amdhsa_system_sgpr_workgroup_id_y 0
		.amdhsa_system_sgpr_workgroup_id_z 0
		.amdhsa_system_sgpr_workgroup_info 0
		.amdhsa_system_vgpr_workitem_id 0
		.amdhsa_next_free_vgpr 1
		.amdhsa_next_free_sgpr 1
		.amdhsa_named_barrier_count 0
		.amdhsa_reserve_vcc 0
		.amdhsa_float_round_mode_32 0
		.amdhsa_float_round_mode_16_64 0
		.amdhsa_float_denorm_mode_32 3
		.amdhsa_float_denorm_mode_16_64 3
		.amdhsa_fp16_overflow 0
		.amdhsa_memory_ordered 1
		.amdhsa_forward_progress 1
		.amdhsa_inst_pref_size 0
		.amdhsa_round_robin_scheduling 0
		.amdhsa_exception_fp_ieee_invalid_op 0
		.amdhsa_exception_fp_denorm_src 0
		.amdhsa_exception_fp_ieee_div_zero 0
		.amdhsa_exception_fp_ieee_overflow 0
		.amdhsa_exception_fp_ieee_underflow 0
		.amdhsa_exception_fp_ieee_inexact 0
		.amdhsa_exception_int_div_zero 0
	.end_amdhsa_kernel
	.section	.text._ZN7rocprim17ROCPRIM_400000_NS6detail17trampoline_kernelINS0_14default_configENS1_38merge_sort_block_merge_config_selectorIdNS0_10empty_typeEEEZZNS1_27merge_sort_block_merge_implIS3_PdPS5_jNS1_19radix_merge_compareILb0ELb0EdNS0_19identity_decomposerEEEEE10hipError_tT0_T1_T2_jT3_P12ihipStream_tbPNSt15iterator_traitsISE_E10value_typeEPNSK_ISF_E10value_typeEPSG_NS1_7vsmem_tEENKUlT_SE_SF_SG_E_clIS8_S8_S9_S9_EESD_ST_SE_SF_SG_EUlST_E0_NS1_11comp_targetILNS1_3genE9ELNS1_11target_archE1100ELNS1_3gpuE3ELNS1_3repE0EEENS1_38merge_mergepath_config_static_selectorELNS0_4arch9wavefront6targetE0EEEvSF_,"axG",@progbits,_ZN7rocprim17ROCPRIM_400000_NS6detail17trampoline_kernelINS0_14default_configENS1_38merge_sort_block_merge_config_selectorIdNS0_10empty_typeEEEZZNS1_27merge_sort_block_merge_implIS3_PdPS5_jNS1_19radix_merge_compareILb0ELb0EdNS0_19identity_decomposerEEEEE10hipError_tT0_T1_T2_jT3_P12ihipStream_tbPNSt15iterator_traitsISE_E10value_typeEPNSK_ISF_E10value_typeEPSG_NS1_7vsmem_tEENKUlT_SE_SF_SG_E_clIS8_S8_S9_S9_EESD_ST_SE_SF_SG_EUlST_E0_NS1_11comp_targetILNS1_3genE9ELNS1_11target_archE1100ELNS1_3gpuE3ELNS1_3repE0EEENS1_38merge_mergepath_config_static_selectorELNS0_4arch9wavefront6targetE0EEEvSF_,comdat
.Lfunc_end1577:
	.size	_ZN7rocprim17ROCPRIM_400000_NS6detail17trampoline_kernelINS0_14default_configENS1_38merge_sort_block_merge_config_selectorIdNS0_10empty_typeEEEZZNS1_27merge_sort_block_merge_implIS3_PdPS5_jNS1_19radix_merge_compareILb0ELb0EdNS0_19identity_decomposerEEEEE10hipError_tT0_T1_T2_jT3_P12ihipStream_tbPNSt15iterator_traitsISE_E10value_typeEPNSK_ISF_E10value_typeEPSG_NS1_7vsmem_tEENKUlT_SE_SF_SG_E_clIS8_S8_S9_S9_EESD_ST_SE_SF_SG_EUlST_E0_NS1_11comp_targetILNS1_3genE9ELNS1_11target_archE1100ELNS1_3gpuE3ELNS1_3repE0EEENS1_38merge_mergepath_config_static_selectorELNS0_4arch9wavefront6targetE0EEEvSF_, .Lfunc_end1577-_ZN7rocprim17ROCPRIM_400000_NS6detail17trampoline_kernelINS0_14default_configENS1_38merge_sort_block_merge_config_selectorIdNS0_10empty_typeEEEZZNS1_27merge_sort_block_merge_implIS3_PdPS5_jNS1_19radix_merge_compareILb0ELb0EdNS0_19identity_decomposerEEEEE10hipError_tT0_T1_T2_jT3_P12ihipStream_tbPNSt15iterator_traitsISE_E10value_typeEPNSK_ISF_E10value_typeEPSG_NS1_7vsmem_tEENKUlT_SE_SF_SG_E_clIS8_S8_S9_S9_EESD_ST_SE_SF_SG_EUlST_E0_NS1_11comp_targetILNS1_3genE9ELNS1_11target_archE1100ELNS1_3gpuE3ELNS1_3repE0EEENS1_38merge_mergepath_config_static_selectorELNS0_4arch9wavefront6targetE0EEEvSF_
                                        ; -- End function
	.set _ZN7rocprim17ROCPRIM_400000_NS6detail17trampoline_kernelINS0_14default_configENS1_38merge_sort_block_merge_config_selectorIdNS0_10empty_typeEEEZZNS1_27merge_sort_block_merge_implIS3_PdPS5_jNS1_19radix_merge_compareILb0ELb0EdNS0_19identity_decomposerEEEEE10hipError_tT0_T1_T2_jT3_P12ihipStream_tbPNSt15iterator_traitsISE_E10value_typeEPNSK_ISF_E10value_typeEPSG_NS1_7vsmem_tEENKUlT_SE_SF_SG_E_clIS8_S8_S9_S9_EESD_ST_SE_SF_SG_EUlST_E0_NS1_11comp_targetILNS1_3genE9ELNS1_11target_archE1100ELNS1_3gpuE3ELNS1_3repE0EEENS1_38merge_mergepath_config_static_selectorELNS0_4arch9wavefront6targetE0EEEvSF_.num_vgpr, 0
	.set _ZN7rocprim17ROCPRIM_400000_NS6detail17trampoline_kernelINS0_14default_configENS1_38merge_sort_block_merge_config_selectorIdNS0_10empty_typeEEEZZNS1_27merge_sort_block_merge_implIS3_PdPS5_jNS1_19radix_merge_compareILb0ELb0EdNS0_19identity_decomposerEEEEE10hipError_tT0_T1_T2_jT3_P12ihipStream_tbPNSt15iterator_traitsISE_E10value_typeEPNSK_ISF_E10value_typeEPSG_NS1_7vsmem_tEENKUlT_SE_SF_SG_E_clIS8_S8_S9_S9_EESD_ST_SE_SF_SG_EUlST_E0_NS1_11comp_targetILNS1_3genE9ELNS1_11target_archE1100ELNS1_3gpuE3ELNS1_3repE0EEENS1_38merge_mergepath_config_static_selectorELNS0_4arch9wavefront6targetE0EEEvSF_.num_agpr, 0
	.set _ZN7rocprim17ROCPRIM_400000_NS6detail17trampoline_kernelINS0_14default_configENS1_38merge_sort_block_merge_config_selectorIdNS0_10empty_typeEEEZZNS1_27merge_sort_block_merge_implIS3_PdPS5_jNS1_19radix_merge_compareILb0ELb0EdNS0_19identity_decomposerEEEEE10hipError_tT0_T1_T2_jT3_P12ihipStream_tbPNSt15iterator_traitsISE_E10value_typeEPNSK_ISF_E10value_typeEPSG_NS1_7vsmem_tEENKUlT_SE_SF_SG_E_clIS8_S8_S9_S9_EESD_ST_SE_SF_SG_EUlST_E0_NS1_11comp_targetILNS1_3genE9ELNS1_11target_archE1100ELNS1_3gpuE3ELNS1_3repE0EEENS1_38merge_mergepath_config_static_selectorELNS0_4arch9wavefront6targetE0EEEvSF_.numbered_sgpr, 0
	.set _ZN7rocprim17ROCPRIM_400000_NS6detail17trampoline_kernelINS0_14default_configENS1_38merge_sort_block_merge_config_selectorIdNS0_10empty_typeEEEZZNS1_27merge_sort_block_merge_implIS3_PdPS5_jNS1_19radix_merge_compareILb0ELb0EdNS0_19identity_decomposerEEEEE10hipError_tT0_T1_T2_jT3_P12ihipStream_tbPNSt15iterator_traitsISE_E10value_typeEPNSK_ISF_E10value_typeEPSG_NS1_7vsmem_tEENKUlT_SE_SF_SG_E_clIS8_S8_S9_S9_EESD_ST_SE_SF_SG_EUlST_E0_NS1_11comp_targetILNS1_3genE9ELNS1_11target_archE1100ELNS1_3gpuE3ELNS1_3repE0EEENS1_38merge_mergepath_config_static_selectorELNS0_4arch9wavefront6targetE0EEEvSF_.num_named_barrier, 0
	.set _ZN7rocprim17ROCPRIM_400000_NS6detail17trampoline_kernelINS0_14default_configENS1_38merge_sort_block_merge_config_selectorIdNS0_10empty_typeEEEZZNS1_27merge_sort_block_merge_implIS3_PdPS5_jNS1_19radix_merge_compareILb0ELb0EdNS0_19identity_decomposerEEEEE10hipError_tT0_T1_T2_jT3_P12ihipStream_tbPNSt15iterator_traitsISE_E10value_typeEPNSK_ISF_E10value_typeEPSG_NS1_7vsmem_tEENKUlT_SE_SF_SG_E_clIS8_S8_S9_S9_EESD_ST_SE_SF_SG_EUlST_E0_NS1_11comp_targetILNS1_3genE9ELNS1_11target_archE1100ELNS1_3gpuE3ELNS1_3repE0EEENS1_38merge_mergepath_config_static_selectorELNS0_4arch9wavefront6targetE0EEEvSF_.private_seg_size, 0
	.set _ZN7rocprim17ROCPRIM_400000_NS6detail17trampoline_kernelINS0_14default_configENS1_38merge_sort_block_merge_config_selectorIdNS0_10empty_typeEEEZZNS1_27merge_sort_block_merge_implIS3_PdPS5_jNS1_19radix_merge_compareILb0ELb0EdNS0_19identity_decomposerEEEEE10hipError_tT0_T1_T2_jT3_P12ihipStream_tbPNSt15iterator_traitsISE_E10value_typeEPNSK_ISF_E10value_typeEPSG_NS1_7vsmem_tEENKUlT_SE_SF_SG_E_clIS8_S8_S9_S9_EESD_ST_SE_SF_SG_EUlST_E0_NS1_11comp_targetILNS1_3genE9ELNS1_11target_archE1100ELNS1_3gpuE3ELNS1_3repE0EEENS1_38merge_mergepath_config_static_selectorELNS0_4arch9wavefront6targetE0EEEvSF_.uses_vcc, 0
	.set _ZN7rocprim17ROCPRIM_400000_NS6detail17trampoline_kernelINS0_14default_configENS1_38merge_sort_block_merge_config_selectorIdNS0_10empty_typeEEEZZNS1_27merge_sort_block_merge_implIS3_PdPS5_jNS1_19radix_merge_compareILb0ELb0EdNS0_19identity_decomposerEEEEE10hipError_tT0_T1_T2_jT3_P12ihipStream_tbPNSt15iterator_traitsISE_E10value_typeEPNSK_ISF_E10value_typeEPSG_NS1_7vsmem_tEENKUlT_SE_SF_SG_E_clIS8_S8_S9_S9_EESD_ST_SE_SF_SG_EUlST_E0_NS1_11comp_targetILNS1_3genE9ELNS1_11target_archE1100ELNS1_3gpuE3ELNS1_3repE0EEENS1_38merge_mergepath_config_static_selectorELNS0_4arch9wavefront6targetE0EEEvSF_.uses_flat_scratch, 0
	.set _ZN7rocprim17ROCPRIM_400000_NS6detail17trampoline_kernelINS0_14default_configENS1_38merge_sort_block_merge_config_selectorIdNS0_10empty_typeEEEZZNS1_27merge_sort_block_merge_implIS3_PdPS5_jNS1_19radix_merge_compareILb0ELb0EdNS0_19identity_decomposerEEEEE10hipError_tT0_T1_T2_jT3_P12ihipStream_tbPNSt15iterator_traitsISE_E10value_typeEPNSK_ISF_E10value_typeEPSG_NS1_7vsmem_tEENKUlT_SE_SF_SG_E_clIS8_S8_S9_S9_EESD_ST_SE_SF_SG_EUlST_E0_NS1_11comp_targetILNS1_3genE9ELNS1_11target_archE1100ELNS1_3gpuE3ELNS1_3repE0EEENS1_38merge_mergepath_config_static_selectorELNS0_4arch9wavefront6targetE0EEEvSF_.has_dyn_sized_stack, 0
	.set _ZN7rocprim17ROCPRIM_400000_NS6detail17trampoline_kernelINS0_14default_configENS1_38merge_sort_block_merge_config_selectorIdNS0_10empty_typeEEEZZNS1_27merge_sort_block_merge_implIS3_PdPS5_jNS1_19radix_merge_compareILb0ELb0EdNS0_19identity_decomposerEEEEE10hipError_tT0_T1_T2_jT3_P12ihipStream_tbPNSt15iterator_traitsISE_E10value_typeEPNSK_ISF_E10value_typeEPSG_NS1_7vsmem_tEENKUlT_SE_SF_SG_E_clIS8_S8_S9_S9_EESD_ST_SE_SF_SG_EUlST_E0_NS1_11comp_targetILNS1_3genE9ELNS1_11target_archE1100ELNS1_3gpuE3ELNS1_3repE0EEENS1_38merge_mergepath_config_static_selectorELNS0_4arch9wavefront6targetE0EEEvSF_.has_recursion, 0
	.set _ZN7rocprim17ROCPRIM_400000_NS6detail17trampoline_kernelINS0_14default_configENS1_38merge_sort_block_merge_config_selectorIdNS0_10empty_typeEEEZZNS1_27merge_sort_block_merge_implIS3_PdPS5_jNS1_19radix_merge_compareILb0ELb0EdNS0_19identity_decomposerEEEEE10hipError_tT0_T1_T2_jT3_P12ihipStream_tbPNSt15iterator_traitsISE_E10value_typeEPNSK_ISF_E10value_typeEPSG_NS1_7vsmem_tEENKUlT_SE_SF_SG_E_clIS8_S8_S9_S9_EESD_ST_SE_SF_SG_EUlST_E0_NS1_11comp_targetILNS1_3genE9ELNS1_11target_archE1100ELNS1_3gpuE3ELNS1_3repE0EEENS1_38merge_mergepath_config_static_selectorELNS0_4arch9wavefront6targetE0EEEvSF_.has_indirect_call, 0
	.section	.AMDGPU.csdata,"",@progbits
; Kernel info:
; codeLenInByte = 0
; TotalNumSgprs: 0
; NumVgprs: 0
; ScratchSize: 0
; MemoryBound: 0
; FloatMode: 240
; IeeeMode: 1
; LDSByteSize: 0 bytes/workgroup (compile time only)
; SGPRBlocks: 0
; VGPRBlocks: 0
; NumSGPRsForWavesPerEU: 1
; NumVGPRsForWavesPerEU: 1
; NamedBarCnt: 0
; Occupancy: 16
; WaveLimiterHint : 0
; COMPUTE_PGM_RSRC2:SCRATCH_EN: 0
; COMPUTE_PGM_RSRC2:USER_SGPR: 2
; COMPUTE_PGM_RSRC2:TRAP_HANDLER: 0
; COMPUTE_PGM_RSRC2:TGID_X_EN: 1
; COMPUTE_PGM_RSRC2:TGID_Y_EN: 0
; COMPUTE_PGM_RSRC2:TGID_Z_EN: 0
; COMPUTE_PGM_RSRC2:TIDIG_COMP_CNT: 0
	.section	.text._ZN7rocprim17ROCPRIM_400000_NS6detail17trampoline_kernelINS0_14default_configENS1_38merge_sort_block_merge_config_selectorIdNS0_10empty_typeEEEZZNS1_27merge_sort_block_merge_implIS3_PdPS5_jNS1_19radix_merge_compareILb0ELb0EdNS0_19identity_decomposerEEEEE10hipError_tT0_T1_T2_jT3_P12ihipStream_tbPNSt15iterator_traitsISE_E10value_typeEPNSK_ISF_E10value_typeEPSG_NS1_7vsmem_tEENKUlT_SE_SF_SG_E_clIS8_S8_S9_S9_EESD_ST_SE_SF_SG_EUlST_E0_NS1_11comp_targetILNS1_3genE8ELNS1_11target_archE1030ELNS1_3gpuE2ELNS1_3repE0EEENS1_38merge_mergepath_config_static_selectorELNS0_4arch9wavefront6targetE0EEEvSF_,"axG",@progbits,_ZN7rocprim17ROCPRIM_400000_NS6detail17trampoline_kernelINS0_14default_configENS1_38merge_sort_block_merge_config_selectorIdNS0_10empty_typeEEEZZNS1_27merge_sort_block_merge_implIS3_PdPS5_jNS1_19radix_merge_compareILb0ELb0EdNS0_19identity_decomposerEEEEE10hipError_tT0_T1_T2_jT3_P12ihipStream_tbPNSt15iterator_traitsISE_E10value_typeEPNSK_ISF_E10value_typeEPSG_NS1_7vsmem_tEENKUlT_SE_SF_SG_E_clIS8_S8_S9_S9_EESD_ST_SE_SF_SG_EUlST_E0_NS1_11comp_targetILNS1_3genE8ELNS1_11target_archE1030ELNS1_3gpuE2ELNS1_3repE0EEENS1_38merge_mergepath_config_static_selectorELNS0_4arch9wavefront6targetE0EEEvSF_,comdat
	.protected	_ZN7rocprim17ROCPRIM_400000_NS6detail17trampoline_kernelINS0_14default_configENS1_38merge_sort_block_merge_config_selectorIdNS0_10empty_typeEEEZZNS1_27merge_sort_block_merge_implIS3_PdPS5_jNS1_19radix_merge_compareILb0ELb0EdNS0_19identity_decomposerEEEEE10hipError_tT0_T1_T2_jT3_P12ihipStream_tbPNSt15iterator_traitsISE_E10value_typeEPNSK_ISF_E10value_typeEPSG_NS1_7vsmem_tEENKUlT_SE_SF_SG_E_clIS8_S8_S9_S9_EESD_ST_SE_SF_SG_EUlST_E0_NS1_11comp_targetILNS1_3genE8ELNS1_11target_archE1030ELNS1_3gpuE2ELNS1_3repE0EEENS1_38merge_mergepath_config_static_selectorELNS0_4arch9wavefront6targetE0EEEvSF_ ; -- Begin function _ZN7rocprim17ROCPRIM_400000_NS6detail17trampoline_kernelINS0_14default_configENS1_38merge_sort_block_merge_config_selectorIdNS0_10empty_typeEEEZZNS1_27merge_sort_block_merge_implIS3_PdPS5_jNS1_19radix_merge_compareILb0ELb0EdNS0_19identity_decomposerEEEEE10hipError_tT0_T1_T2_jT3_P12ihipStream_tbPNSt15iterator_traitsISE_E10value_typeEPNSK_ISF_E10value_typeEPSG_NS1_7vsmem_tEENKUlT_SE_SF_SG_E_clIS8_S8_S9_S9_EESD_ST_SE_SF_SG_EUlST_E0_NS1_11comp_targetILNS1_3genE8ELNS1_11target_archE1030ELNS1_3gpuE2ELNS1_3repE0EEENS1_38merge_mergepath_config_static_selectorELNS0_4arch9wavefront6targetE0EEEvSF_
	.globl	_ZN7rocprim17ROCPRIM_400000_NS6detail17trampoline_kernelINS0_14default_configENS1_38merge_sort_block_merge_config_selectorIdNS0_10empty_typeEEEZZNS1_27merge_sort_block_merge_implIS3_PdPS5_jNS1_19radix_merge_compareILb0ELb0EdNS0_19identity_decomposerEEEEE10hipError_tT0_T1_T2_jT3_P12ihipStream_tbPNSt15iterator_traitsISE_E10value_typeEPNSK_ISF_E10value_typeEPSG_NS1_7vsmem_tEENKUlT_SE_SF_SG_E_clIS8_S8_S9_S9_EESD_ST_SE_SF_SG_EUlST_E0_NS1_11comp_targetILNS1_3genE8ELNS1_11target_archE1030ELNS1_3gpuE2ELNS1_3repE0EEENS1_38merge_mergepath_config_static_selectorELNS0_4arch9wavefront6targetE0EEEvSF_
	.p2align	8
	.type	_ZN7rocprim17ROCPRIM_400000_NS6detail17trampoline_kernelINS0_14default_configENS1_38merge_sort_block_merge_config_selectorIdNS0_10empty_typeEEEZZNS1_27merge_sort_block_merge_implIS3_PdPS5_jNS1_19radix_merge_compareILb0ELb0EdNS0_19identity_decomposerEEEEE10hipError_tT0_T1_T2_jT3_P12ihipStream_tbPNSt15iterator_traitsISE_E10value_typeEPNSK_ISF_E10value_typeEPSG_NS1_7vsmem_tEENKUlT_SE_SF_SG_E_clIS8_S8_S9_S9_EESD_ST_SE_SF_SG_EUlST_E0_NS1_11comp_targetILNS1_3genE8ELNS1_11target_archE1030ELNS1_3gpuE2ELNS1_3repE0EEENS1_38merge_mergepath_config_static_selectorELNS0_4arch9wavefront6targetE0EEEvSF_,@function
_ZN7rocprim17ROCPRIM_400000_NS6detail17trampoline_kernelINS0_14default_configENS1_38merge_sort_block_merge_config_selectorIdNS0_10empty_typeEEEZZNS1_27merge_sort_block_merge_implIS3_PdPS5_jNS1_19radix_merge_compareILb0ELb0EdNS0_19identity_decomposerEEEEE10hipError_tT0_T1_T2_jT3_P12ihipStream_tbPNSt15iterator_traitsISE_E10value_typeEPNSK_ISF_E10value_typeEPSG_NS1_7vsmem_tEENKUlT_SE_SF_SG_E_clIS8_S8_S9_S9_EESD_ST_SE_SF_SG_EUlST_E0_NS1_11comp_targetILNS1_3genE8ELNS1_11target_archE1030ELNS1_3gpuE2ELNS1_3repE0EEENS1_38merge_mergepath_config_static_selectorELNS0_4arch9wavefront6targetE0EEEvSF_: ; @_ZN7rocprim17ROCPRIM_400000_NS6detail17trampoline_kernelINS0_14default_configENS1_38merge_sort_block_merge_config_selectorIdNS0_10empty_typeEEEZZNS1_27merge_sort_block_merge_implIS3_PdPS5_jNS1_19radix_merge_compareILb0ELb0EdNS0_19identity_decomposerEEEEE10hipError_tT0_T1_T2_jT3_P12ihipStream_tbPNSt15iterator_traitsISE_E10value_typeEPNSK_ISF_E10value_typeEPSG_NS1_7vsmem_tEENKUlT_SE_SF_SG_E_clIS8_S8_S9_S9_EESD_ST_SE_SF_SG_EUlST_E0_NS1_11comp_targetILNS1_3genE8ELNS1_11target_archE1030ELNS1_3gpuE2ELNS1_3repE0EEENS1_38merge_mergepath_config_static_selectorELNS0_4arch9wavefront6targetE0EEEvSF_
; %bb.0:
	.section	.rodata,"a",@progbits
	.p2align	6, 0x0
	.amdhsa_kernel _ZN7rocprim17ROCPRIM_400000_NS6detail17trampoline_kernelINS0_14default_configENS1_38merge_sort_block_merge_config_selectorIdNS0_10empty_typeEEEZZNS1_27merge_sort_block_merge_implIS3_PdPS5_jNS1_19radix_merge_compareILb0ELb0EdNS0_19identity_decomposerEEEEE10hipError_tT0_T1_T2_jT3_P12ihipStream_tbPNSt15iterator_traitsISE_E10value_typeEPNSK_ISF_E10value_typeEPSG_NS1_7vsmem_tEENKUlT_SE_SF_SG_E_clIS8_S8_S9_S9_EESD_ST_SE_SF_SG_EUlST_E0_NS1_11comp_targetILNS1_3genE8ELNS1_11target_archE1030ELNS1_3gpuE2ELNS1_3repE0EEENS1_38merge_mergepath_config_static_selectorELNS0_4arch9wavefront6targetE0EEEvSF_
		.amdhsa_group_segment_fixed_size 0
		.amdhsa_private_segment_fixed_size 0
		.amdhsa_kernarg_size 64
		.amdhsa_user_sgpr_count 2
		.amdhsa_user_sgpr_dispatch_ptr 0
		.amdhsa_user_sgpr_queue_ptr 0
		.amdhsa_user_sgpr_kernarg_segment_ptr 1
		.amdhsa_user_sgpr_dispatch_id 0
		.amdhsa_user_sgpr_kernarg_preload_length 0
		.amdhsa_user_sgpr_kernarg_preload_offset 0
		.amdhsa_user_sgpr_private_segment_size 0
		.amdhsa_wavefront_size32 1
		.amdhsa_uses_dynamic_stack 0
		.amdhsa_enable_private_segment 0
		.amdhsa_system_sgpr_workgroup_id_x 1
		.amdhsa_system_sgpr_workgroup_id_y 0
		.amdhsa_system_sgpr_workgroup_id_z 0
		.amdhsa_system_sgpr_workgroup_info 0
		.amdhsa_system_vgpr_workitem_id 0
		.amdhsa_next_free_vgpr 1
		.amdhsa_next_free_sgpr 1
		.amdhsa_named_barrier_count 0
		.amdhsa_reserve_vcc 0
		.amdhsa_float_round_mode_32 0
		.amdhsa_float_round_mode_16_64 0
		.amdhsa_float_denorm_mode_32 3
		.amdhsa_float_denorm_mode_16_64 3
		.amdhsa_fp16_overflow 0
		.amdhsa_memory_ordered 1
		.amdhsa_forward_progress 1
		.amdhsa_inst_pref_size 0
		.amdhsa_round_robin_scheduling 0
		.amdhsa_exception_fp_ieee_invalid_op 0
		.amdhsa_exception_fp_denorm_src 0
		.amdhsa_exception_fp_ieee_div_zero 0
		.amdhsa_exception_fp_ieee_overflow 0
		.amdhsa_exception_fp_ieee_underflow 0
		.amdhsa_exception_fp_ieee_inexact 0
		.amdhsa_exception_int_div_zero 0
	.end_amdhsa_kernel
	.section	.text._ZN7rocprim17ROCPRIM_400000_NS6detail17trampoline_kernelINS0_14default_configENS1_38merge_sort_block_merge_config_selectorIdNS0_10empty_typeEEEZZNS1_27merge_sort_block_merge_implIS3_PdPS5_jNS1_19radix_merge_compareILb0ELb0EdNS0_19identity_decomposerEEEEE10hipError_tT0_T1_T2_jT3_P12ihipStream_tbPNSt15iterator_traitsISE_E10value_typeEPNSK_ISF_E10value_typeEPSG_NS1_7vsmem_tEENKUlT_SE_SF_SG_E_clIS8_S8_S9_S9_EESD_ST_SE_SF_SG_EUlST_E0_NS1_11comp_targetILNS1_3genE8ELNS1_11target_archE1030ELNS1_3gpuE2ELNS1_3repE0EEENS1_38merge_mergepath_config_static_selectorELNS0_4arch9wavefront6targetE0EEEvSF_,"axG",@progbits,_ZN7rocprim17ROCPRIM_400000_NS6detail17trampoline_kernelINS0_14default_configENS1_38merge_sort_block_merge_config_selectorIdNS0_10empty_typeEEEZZNS1_27merge_sort_block_merge_implIS3_PdPS5_jNS1_19radix_merge_compareILb0ELb0EdNS0_19identity_decomposerEEEEE10hipError_tT0_T1_T2_jT3_P12ihipStream_tbPNSt15iterator_traitsISE_E10value_typeEPNSK_ISF_E10value_typeEPSG_NS1_7vsmem_tEENKUlT_SE_SF_SG_E_clIS8_S8_S9_S9_EESD_ST_SE_SF_SG_EUlST_E0_NS1_11comp_targetILNS1_3genE8ELNS1_11target_archE1030ELNS1_3gpuE2ELNS1_3repE0EEENS1_38merge_mergepath_config_static_selectorELNS0_4arch9wavefront6targetE0EEEvSF_,comdat
.Lfunc_end1578:
	.size	_ZN7rocprim17ROCPRIM_400000_NS6detail17trampoline_kernelINS0_14default_configENS1_38merge_sort_block_merge_config_selectorIdNS0_10empty_typeEEEZZNS1_27merge_sort_block_merge_implIS3_PdPS5_jNS1_19radix_merge_compareILb0ELb0EdNS0_19identity_decomposerEEEEE10hipError_tT0_T1_T2_jT3_P12ihipStream_tbPNSt15iterator_traitsISE_E10value_typeEPNSK_ISF_E10value_typeEPSG_NS1_7vsmem_tEENKUlT_SE_SF_SG_E_clIS8_S8_S9_S9_EESD_ST_SE_SF_SG_EUlST_E0_NS1_11comp_targetILNS1_3genE8ELNS1_11target_archE1030ELNS1_3gpuE2ELNS1_3repE0EEENS1_38merge_mergepath_config_static_selectorELNS0_4arch9wavefront6targetE0EEEvSF_, .Lfunc_end1578-_ZN7rocprim17ROCPRIM_400000_NS6detail17trampoline_kernelINS0_14default_configENS1_38merge_sort_block_merge_config_selectorIdNS0_10empty_typeEEEZZNS1_27merge_sort_block_merge_implIS3_PdPS5_jNS1_19radix_merge_compareILb0ELb0EdNS0_19identity_decomposerEEEEE10hipError_tT0_T1_T2_jT3_P12ihipStream_tbPNSt15iterator_traitsISE_E10value_typeEPNSK_ISF_E10value_typeEPSG_NS1_7vsmem_tEENKUlT_SE_SF_SG_E_clIS8_S8_S9_S9_EESD_ST_SE_SF_SG_EUlST_E0_NS1_11comp_targetILNS1_3genE8ELNS1_11target_archE1030ELNS1_3gpuE2ELNS1_3repE0EEENS1_38merge_mergepath_config_static_selectorELNS0_4arch9wavefront6targetE0EEEvSF_
                                        ; -- End function
	.set _ZN7rocprim17ROCPRIM_400000_NS6detail17trampoline_kernelINS0_14default_configENS1_38merge_sort_block_merge_config_selectorIdNS0_10empty_typeEEEZZNS1_27merge_sort_block_merge_implIS3_PdPS5_jNS1_19radix_merge_compareILb0ELb0EdNS0_19identity_decomposerEEEEE10hipError_tT0_T1_T2_jT3_P12ihipStream_tbPNSt15iterator_traitsISE_E10value_typeEPNSK_ISF_E10value_typeEPSG_NS1_7vsmem_tEENKUlT_SE_SF_SG_E_clIS8_S8_S9_S9_EESD_ST_SE_SF_SG_EUlST_E0_NS1_11comp_targetILNS1_3genE8ELNS1_11target_archE1030ELNS1_3gpuE2ELNS1_3repE0EEENS1_38merge_mergepath_config_static_selectorELNS0_4arch9wavefront6targetE0EEEvSF_.num_vgpr, 0
	.set _ZN7rocprim17ROCPRIM_400000_NS6detail17trampoline_kernelINS0_14default_configENS1_38merge_sort_block_merge_config_selectorIdNS0_10empty_typeEEEZZNS1_27merge_sort_block_merge_implIS3_PdPS5_jNS1_19radix_merge_compareILb0ELb0EdNS0_19identity_decomposerEEEEE10hipError_tT0_T1_T2_jT3_P12ihipStream_tbPNSt15iterator_traitsISE_E10value_typeEPNSK_ISF_E10value_typeEPSG_NS1_7vsmem_tEENKUlT_SE_SF_SG_E_clIS8_S8_S9_S9_EESD_ST_SE_SF_SG_EUlST_E0_NS1_11comp_targetILNS1_3genE8ELNS1_11target_archE1030ELNS1_3gpuE2ELNS1_3repE0EEENS1_38merge_mergepath_config_static_selectorELNS0_4arch9wavefront6targetE0EEEvSF_.num_agpr, 0
	.set _ZN7rocprim17ROCPRIM_400000_NS6detail17trampoline_kernelINS0_14default_configENS1_38merge_sort_block_merge_config_selectorIdNS0_10empty_typeEEEZZNS1_27merge_sort_block_merge_implIS3_PdPS5_jNS1_19radix_merge_compareILb0ELb0EdNS0_19identity_decomposerEEEEE10hipError_tT0_T1_T2_jT3_P12ihipStream_tbPNSt15iterator_traitsISE_E10value_typeEPNSK_ISF_E10value_typeEPSG_NS1_7vsmem_tEENKUlT_SE_SF_SG_E_clIS8_S8_S9_S9_EESD_ST_SE_SF_SG_EUlST_E0_NS1_11comp_targetILNS1_3genE8ELNS1_11target_archE1030ELNS1_3gpuE2ELNS1_3repE0EEENS1_38merge_mergepath_config_static_selectorELNS0_4arch9wavefront6targetE0EEEvSF_.numbered_sgpr, 0
	.set _ZN7rocprim17ROCPRIM_400000_NS6detail17trampoline_kernelINS0_14default_configENS1_38merge_sort_block_merge_config_selectorIdNS0_10empty_typeEEEZZNS1_27merge_sort_block_merge_implIS3_PdPS5_jNS1_19radix_merge_compareILb0ELb0EdNS0_19identity_decomposerEEEEE10hipError_tT0_T1_T2_jT3_P12ihipStream_tbPNSt15iterator_traitsISE_E10value_typeEPNSK_ISF_E10value_typeEPSG_NS1_7vsmem_tEENKUlT_SE_SF_SG_E_clIS8_S8_S9_S9_EESD_ST_SE_SF_SG_EUlST_E0_NS1_11comp_targetILNS1_3genE8ELNS1_11target_archE1030ELNS1_3gpuE2ELNS1_3repE0EEENS1_38merge_mergepath_config_static_selectorELNS0_4arch9wavefront6targetE0EEEvSF_.num_named_barrier, 0
	.set _ZN7rocprim17ROCPRIM_400000_NS6detail17trampoline_kernelINS0_14default_configENS1_38merge_sort_block_merge_config_selectorIdNS0_10empty_typeEEEZZNS1_27merge_sort_block_merge_implIS3_PdPS5_jNS1_19radix_merge_compareILb0ELb0EdNS0_19identity_decomposerEEEEE10hipError_tT0_T1_T2_jT3_P12ihipStream_tbPNSt15iterator_traitsISE_E10value_typeEPNSK_ISF_E10value_typeEPSG_NS1_7vsmem_tEENKUlT_SE_SF_SG_E_clIS8_S8_S9_S9_EESD_ST_SE_SF_SG_EUlST_E0_NS1_11comp_targetILNS1_3genE8ELNS1_11target_archE1030ELNS1_3gpuE2ELNS1_3repE0EEENS1_38merge_mergepath_config_static_selectorELNS0_4arch9wavefront6targetE0EEEvSF_.private_seg_size, 0
	.set _ZN7rocprim17ROCPRIM_400000_NS6detail17trampoline_kernelINS0_14default_configENS1_38merge_sort_block_merge_config_selectorIdNS0_10empty_typeEEEZZNS1_27merge_sort_block_merge_implIS3_PdPS5_jNS1_19radix_merge_compareILb0ELb0EdNS0_19identity_decomposerEEEEE10hipError_tT0_T1_T2_jT3_P12ihipStream_tbPNSt15iterator_traitsISE_E10value_typeEPNSK_ISF_E10value_typeEPSG_NS1_7vsmem_tEENKUlT_SE_SF_SG_E_clIS8_S8_S9_S9_EESD_ST_SE_SF_SG_EUlST_E0_NS1_11comp_targetILNS1_3genE8ELNS1_11target_archE1030ELNS1_3gpuE2ELNS1_3repE0EEENS1_38merge_mergepath_config_static_selectorELNS0_4arch9wavefront6targetE0EEEvSF_.uses_vcc, 0
	.set _ZN7rocprim17ROCPRIM_400000_NS6detail17trampoline_kernelINS0_14default_configENS1_38merge_sort_block_merge_config_selectorIdNS0_10empty_typeEEEZZNS1_27merge_sort_block_merge_implIS3_PdPS5_jNS1_19radix_merge_compareILb0ELb0EdNS0_19identity_decomposerEEEEE10hipError_tT0_T1_T2_jT3_P12ihipStream_tbPNSt15iterator_traitsISE_E10value_typeEPNSK_ISF_E10value_typeEPSG_NS1_7vsmem_tEENKUlT_SE_SF_SG_E_clIS8_S8_S9_S9_EESD_ST_SE_SF_SG_EUlST_E0_NS1_11comp_targetILNS1_3genE8ELNS1_11target_archE1030ELNS1_3gpuE2ELNS1_3repE0EEENS1_38merge_mergepath_config_static_selectorELNS0_4arch9wavefront6targetE0EEEvSF_.uses_flat_scratch, 0
	.set _ZN7rocprim17ROCPRIM_400000_NS6detail17trampoline_kernelINS0_14default_configENS1_38merge_sort_block_merge_config_selectorIdNS0_10empty_typeEEEZZNS1_27merge_sort_block_merge_implIS3_PdPS5_jNS1_19radix_merge_compareILb0ELb0EdNS0_19identity_decomposerEEEEE10hipError_tT0_T1_T2_jT3_P12ihipStream_tbPNSt15iterator_traitsISE_E10value_typeEPNSK_ISF_E10value_typeEPSG_NS1_7vsmem_tEENKUlT_SE_SF_SG_E_clIS8_S8_S9_S9_EESD_ST_SE_SF_SG_EUlST_E0_NS1_11comp_targetILNS1_3genE8ELNS1_11target_archE1030ELNS1_3gpuE2ELNS1_3repE0EEENS1_38merge_mergepath_config_static_selectorELNS0_4arch9wavefront6targetE0EEEvSF_.has_dyn_sized_stack, 0
	.set _ZN7rocprim17ROCPRIM_400000_NS6detail17trampoline_kernelINS0_14default_configENS1_38merge_sort_block_merge_config_selectorIdNS0_10empty_typeEEEZZNS1_27merge_sort_block_merge_implIS3_PdPS5_jNS1_19radix_merge_compareILb0ELb0EdNS0_19identity_decomposerEEEEE10hipError_tT0_T1_T2_jT3_P12ihipStream_tbPNSt15iterator_traitsISE_E10value_typeEPNSK_ISF_E10value_typeEPSG_NS1_7vsmem_tEENKUlT_SE_SF_SG_E_clIS8_S8_S9_S9_EESD_ST_SE_SF_SG_EUlST_E0_NS1_11comp_targetILNS1_3genE8ELNS1_11target_archE1030ELNS1_3gpuE2ELNS1_3repE0EEENS1_38merge_mergepath_config_static_selectorELNS0_4arch9wavefront6targetE0EEEvSF_.has_recursion, 0
	.set _ZN7rocprim17ROCPRIM_400000_NS6detail17trampoline_kernelINS0_14default_configENS1_38merge_sort_block_merge_config_selectorIdNS0_10empty_typeEEEZZNS1_27merge_sort_block_merge_implIS3_PdPS5_jNS1_19radix_merge_compareILb0ELb0EdNS0_19identity_decomposerEEEEE10hipError_tT0_T1_T2_jT3_P12ihipStream_tbPNSt15iterator_traitsISE_E10value_typeEPNSK_ISF_E10value_typeEPSG_NS1_7vsmem_tEENKUlT_SE_SF_SG_E_clIS8_S8_S9_S9_EESD_ST_SE_SF_SG_EUlST_E0_NS1_11comp_targetILNS1_3genE8ELNS1_11target_archE1030ELNS1_3gpuE2ELNS1_3repE0EEENS1_38merge_mergepath_config_static_selectorELNS0_4arch9wavefront6targetE0EEEvSF_.has_indirect_call, 0
	.section	.AMDGPU.csdata,"",@progbits
; Kernel info:
; codeLenInByte = 0
; TotalNumSgprs: 0
; NumVgprs: 0
; ScratchSize: 0
; MemoryBound: 0
; FloatMode: 240
; IeeeMode: 1
; LDSByteSize: 0 bytes/workgroup (compile time only)
; SGPRBlocks: 0
; VGPRBlocks: 0
; NumSGPRsForWavesPerEU: 1
; NumVGPRsForWavesPerEU: 1
; NamedBarCnt: 0
; Occupancy: 16
; WaveLimiterHint : 0
; COMPUTE_PGM_RSRC2:SCRATCH_EN: 0
; COMPUTE_PGM_RSRC2:USER_SGPR: 2
; COMPUTE_PGM_RSRC2:TRAP_HANDLER: 0
; COMPUTE_PGM_RSRC2:TGID_X_EN: 1
; COMPUTE_PGM_RSRC2:TGID_Y_EN: 0
; COMPUTE_PGM_RSRC2:TGID_Z_EN: 0
; COMPUTE_PGM_RSRC2:TIDIG_COMP_CNT: 0
	.section	.text._ZN7rocprim17ROCPRIM_400000_NS6detail17trampoline_kernelINS0_14default_configENS1_38merge_sort_block_merge_config_selectorIdNS0_10empty_typeEEEZZNS1_27merge_sort_block_merge_implIS3_PdPS5_jNS1_19radix_merge_compareILb0ELb0EdNS0_19identity_decomposerEEEEE10hipError_tT0_T1_T2_jT3_P12ihipStream_tbPNSt15iterator_traitsISE_E10value_typeEPNSK_ISF_E10value_typeEPSG_NS1_7vsmem_tEENKUlT_SE_SF_SG_E_clIS8_S8_S9_S9_EESD_ST_SE_SF_SG_EUlST_E1_NS1_11comp_targetILNS1_3genE0ELNS1_11target_archE4294967295ELNS1_3gpuE0ELNS1_3repE0EEENS1_36merge_oddeven_config_static_selectorELNS0_4arch9wavefront6targetE0EEEvSF_,"axG",@progbits,_ZN7rocprim17ROCPRIM_400000_NS6detail17trampoline_kernelINS0_14default_configENS1_38merge_sort_block_merge_config_selectorIdNS0_10empty_typeEEEZZNS1_27merge_sort_block_merge_implIS3_PdPS5_jNS1_19radix_merge_compareILb0ELb0EdNS0_19identity_decomposerEEEEE10hipError_tT0_T1_T2_jT3_P12ihipStream_tbPNSt15iterator_traitsISE_E10value_typeEPNSK_ISF_E10value_typeEPSG_NS1_7vsmem_tEENKUlT_SE_SF_SG_E_clIS8_S8_S9_S9_EESD_ST_SE_SF_SG_EUlST_E1_NS1_11comp_targetILNS1_3genE0ELNS1_11target_archE4294967295ELNS1_3gpuE0ELNS1_3repE0EEENS1_36merge_oddeven_config_static_selectorELNS0_4arch9wavefront6targetE0EEEvSF_,comdat
	.protected	_ZN7rocprim17ROCPRIM_400000_NS6detail17trampoline_kernelINS0_14default_configENS1_38merge_sort_block_merge_config_selectorIdNS0_10empty_typeEEEZZNS1_27merge_sort_block_merge_implIS3_PdPS5_jNS1_19radix_merge_compareILb0ELb0EdNS0_19identity_decomposerEEEEE10hipError_tT0_T1_T2_jT3_P12ihipStream_tbPNSt15iterator_traitsISE_E10value_typeEPNSK_ISF_E10value_typeEPSG_NS1_7vsmem_tEENKUlT_SE_SF_SG_E_clIS8_S8_S9_S9_EESD_ST_SE_SF_SG_EUlST_E1_NS1_11comp_targetILNS1_3genE0ELNS1_11target_archE4294967295ELNS1_3gpuE0ELNS1_3repE0EEENS1_36merge_oddeven_config_static_selectorELNS0_4arch9wavefront6targetE0EEEvSF_ ; -- Begin function _ZN7rocprim17ROCPRIM_400000_NS6detail17trampoline_kernelINS0_14default_configENS1_38merge_sort_block_merge_config_selectorIdNS0_10empty_typeEEEZZNS1_27merge_sort_block_merge_implIS3_PdPS5_jNS1_19radix_merge_compareILb0ELb0EdNS0_19identity_decomposerEEEEE10hipError_tT0_T1_T2_jT3_P12ihipStream_tbPNSt15iterator_traitsISE_E10value_typeEPNSK_ISF_E10value_typeEPSG_NS1_7vsmem_tEENKUlT_SE_SF_SG_E_clIS8_S8_S9_S9_EESD_ST_SE_SF_SG_EUlST_E1_NS1_11comp_targetILNS1_3genE0ELNS1_11target_archE4294967295ELNS1_3gpuE0ELNS1_3repE0EEENS1_36merge_oddeven_config_static_selectorELNS0_4arch9wavefront6targetE0EEEvSF_
	.globl	_ZN7rocprim17ROCPRIM_400000_NS6detail17trampoline_kernelINS0_14default_configENS1_38merge_sort_block_merge_config_selectorIdNS0_10empty_typeEEEZZNS1_27merge_sort_block_merge_implIS3_PdPS5_jNS1_19radix_merge_compareILb0ELb0EdNS0_19identity_decomposerEEEEE10hipError_tT0_T1_T2_jT3_P12ihipStream_tbPNSt15iterator_traitsISE_E10value_typeEPNSK_ISF_E10value_typeEPSG_NS1_7vsmem_tEENKUlT_SE_SF_SG_E_clIS8_S8_S9_S9_EESD_ST_SE_SF_SG_EUlST_E1_NS1_11comp_targetILNS1_3genE0ELNS1_11target_archE4294967295ELNS1_3gpuE0ELNS1_3repE0EEENS1_36merge_oddeven_config_static_selectorELNS0_4arch9wavefront6targetE0EEEvSF_
	.p2align	8
	.type	_ZN7rocprim17ROCPRIM_400000_NS6detail17trampoline_kernelINS0_14default_configENS1_38merge_sort_block_merge_config_selectorIdNS0_10empty_typeEEEZZNS1_27merge_sort_block_merge_implIS3_PdPS5_jNS1_19radix_merge_compareILb0ELb0EdNS0_19identity_decomposerEEEEE10hipError_tT0_T1_T2_jT3_P12ihipStream_tbPNSt15iterator_traitsISE_E10value_typeEPNSK_ISF_E10value_typeEPSG_NS1_7vsmem_tEENKUlT_SE_SF_SG_E_clIS8_S8_S9_S9_EESD_ST_SE_SF_SG_EUlST_E1_NS1_11comp_targetILNS1_3genE0ELNS1_11target_archE4294967295ELNS1_3gpuE0ELNS1_3repE0EEENS1_36merge_oddeven_config_static_selectorELNS0_4arch9wavefront6targetE0EEEvSF_,@function
_ZN7rocprim17ROCPRIM_400000_NS6detail17trampoline_kernelINS0_14default_configENS1_38merge_sort_block_merge_config_selectorIdNS0_10empty_typeEEEZZNS1_27merge_sort_block_merge_implIS3_PdPS5_jNS1_19radix_merge_compareILb0ELb0EdNS0_19identity_decomposerEEEEE10hipError_tT0_T1_T2_jT3_P12ihipStream_tbPNSt15iterator_traitsISE_E10value_typeEPNSK_ISF_E10value_typeEPSG_NS1_7vsmem_tEENKUlT_SE_SF_SG_E_clIS8_S8_S9_S9_EESD_ST_SE_SF_SG_EUlST_E1_NS1_11comp_targetILNS1_3genE0ELNS1_11target_archE4294967295ELNS1_3gpuE0ELNS1_3repE0EEENS1_36merge_oddeven_config_static_selectorELNS0_4arch9wavefront6targetE0EEEvSF_: ; @_ZN7rocprim17ROCPRIM_400000_NS6detail17trampoline_kernelINS0_14default_configENS1_38merge_sort_block_merge_config_selectorIdNS0_10empty_typeEEEZZNS1_27merge_sort_block_merge_implIS3_PdPS5_jNS1_19radix_merge_compareILb0ELb0EdNS0_19identity_decomposerEEEEE10hipError_tT0_T1_T2_jT3_P12ihipStream_tbPNSt15iterator_traitsISE_E10value_typeEPNSK_ISF_E10value_typeEPSG_NS1_7vsmem_tEENKUlT_SE_SF_SG_E_clIS8_S8_S9_S9_EESD_ST_SE_SF_SG_EUlST_E1_NS1_11comp_targetILNS1_3genE0ELNS1_11target_archE4294967295ELNS1_3gpuE0ELNS1_3repE0EEENS1_36merge_oddeven_config_static_selectorELNS0_4arch9wavefront6targetE0EEEvSF_
; %bb.0:
	s_load_b32 s10, s[0:1], 0x20
	s_bfe_u32 s2, ttmp6, 0x4000c
	s_and_b32 s3, ttmp6, 15
	s_add_co_i32 s2, s2, 1
	s_getreg_b32 s4, hwreg(HW_REG_IB_STS2, 6, 4)
	s_mul_i32 s2, ttmp9, s2
	s_mov_b32 s9, 0
	s_add_co_i32 s3, s3, s2
	s_cmp_eq_u32 s4, 0
	s_cselect_b32 s13, ttmp9, s3
	s_wait_kmcnt 0x0
	s_lshr_b32 s2, s10, 8
	s_delay_alu instid0(SALU_CYCLE_1) | instskip(SKIP_4) | instid1(SALU_CYCLE_1)
	s_cmp_lg_u32 s13, s2
	s_cselect_b32 s3, -1, 0
	s_cmp_eq_u32 s13, s2
	s_cselect_b32 s11, -1, 0
	s_lshl_b32 s8, s13, 8
	s_sub_co_i32 s2, s10, s8
	s_delay_alu instid0(SALU_CYCLE_1) | instskip(SKIP_1) | instid1(SALU_CYCLE_1)
	v_cmp_gt_u32_e64 s2, s2, v0
	s_or_b32 s4, s3, s2
	s_and_saveexec_b32 s5, s4
	s_cbranch_execz .LBB1579_20
; %bb.1:
	s_clause 0x1
	s_load_b128 s[4:7], s[0:1], 0x0
	s_load_b32 s12, s[0:1], 0x24
	s_lshl_b64 s[14:15], s[8:9], 3
	v_add_nc_u32_e32 v5, s8, v0
	s_wait_kmcnt 0x0
	s_add_nc_u64 s[0:1], s[4:5], s[14:15]
	global_load_b64 v[2:3], v0, s[0:1] scale_offset
	s_wait_xcnt 0x0
	s_lshr_b32 s0, s12, 8
	s_delay_alu instid0(SALU_CYCLE_1) | instskip(NEXT) | instid1(SALU_CYCLE_1)
	s_sub_co_i32 s1, 0, s0
	s_and_b32 s1, s13, s1
	s_delay_alu instid0(SALU_CYCLE_1) | instskip(SKIP_4) | instid1(SALU_CYCLE_1)
	s_and_b32 s0, s1, s0
	s_lshl_b32 s13, s1, 8
	s_sub_co_i32 s1, 0, s12
	s_cmp_eq_u32 s0, 0
	s_cselect_b32 s0, -1, 0
	s_and_b32 s14, s0, exec_lo
	s_cselect_b32 s1, s12, s1
	s_delay_alu instid0(SALU_CYCLE_1) | instskip(NEXT) | instid1(SALU_CYCLE_1)
	s_add_co_i32 s1, s1, s13
	s_cmp_gt_u32 s10, s1
	s_cbranch_scc1 .LBB1579_3
; %bb.2:
	v_cmp_gt_u32_e32 vcc_lo, s10, v5
	s_or_b32 s8, vcc_lo, s3
	s_delay_alu instid0(SALU_CYCLE_1)
	s_and_b32 s9, s8, exec_lo
	s_cbranch_execz .LBB1579_4
	s_branch .LBB1579_18
.LBB1579_3:
.LBB1579_4:
	s_min_u32 s3, s1, s10
	s_and_b32 vcc_lo, exec_lo, s11
	s_add_co_i32 s8, s13, s3
	s_add_co_i32 s12, s3, s12
	v_subrev_nc_u32_e32 v4, s8, v5
	s_min_u32 s8, s13, s3
	s_wait_loadcnt 0x0
	s_delay_alu instid0(VALU_DEP_1) | instskip(SKIP_1) | instid1(VALU_DEP_1)
	v_dual_add_f64 v[0:1], 0, v[2:3] :: v_dual_add_nc_u32 v4, s8, v4
	s_min_u32 s8, s12, s10
	v_ashrrev_i32_e32 v6, 31, v1
	s_delay_alu instid0(VALU_DEP_1) | instskip(NEXT) | instid1(VALU_DEP_1)
	v_or_b32_e32 v5, 0x80000000, v6
	v_xor_b32_e32 v1, v5, v1
	s_delay_alu instid0(VALU_DEP_4)
	v_xor_b32_e32 v0, v6, v0
	s_cbranch_vccz .LBB1579_12
; %bb.5:
                                        ; implicit-def: $vgpr5
	s_and_saveexec_b32 s10, s2
	s_cbranch_execz .LBB1579_11
; %bb.6:
	v_mov_b32_e32 v5, s3
	s_cmp_ge_u32 s1, s8
	s_cbranch_scc1 .LBB1579_10
; %bb.7:
	v_dual_mov_b32 v6, s8 :: v_dual_mov_b32 v5, s3
	s_mov_b32 s2, 0
.LBB1579_8:                             ; =>This Inner Loop Header: Depth=1
	s_delay_alu instid0(VALU_DEP_1) | instskip(NEXT) | instid1(VALU_DEP_1)
	v_add_nc_u32_e32 v7, v5, v6
	v_lshrrev_b32_e32 v7, 1, v7
	global_load_b64 v[8:9], v7, s[4:5] scale_offset
	s_wait_loadcnt 0x0
	v_add_f64_e32 v[8:9], 0, v[8:9]
	s_delay_alu instid0(VALU_DEP_1) | instskip(NEXT) | instid1(VALU_DEP_1)
	v_ashrrev_i32_e32 v10, 31, v9
	v_or_b32_e32 v11, 0x80000000, v10
	s_delay_alu instid0(VALU_DEP_3) | instskip(NEXT) | instid1(VALU_DEP_2)
	v_xor_b32_e32 v8, v10, v8
	v_xor_b32_e32 v9, v11, v9
	s_delay_alu instid0(VALU_DEP_1) | instskip(SKIP_4) | instid1(VALU_DEP_1)
	v_cmp_gt_u64_e32 vcc_lo, v[0:1], v[8:9]
	v_cndmask_b32_e64 v10, 0, 1, vcc_lo
	v_cmp_le_u64_e32 vcc_lo, v[8:9], v[0:1]
	v_add_nc_u32_e32 v9, 1, v7
	v_cndmask_b32_e64 v8, 0, 1, vcc_lo
	v_cndmask_b32_e64 v8, v8, v10, s0
	s_delay_alu instid0(VALU_DEP_1) | instskip(NEXT) | instid1(VALU_DEP_1)
	v_and_b32_e32 v8, 1, v8
	v_cmp_eq_u32_e32 vcc_lo, 1, v8
	v_dual_cndmask_b32 v6, v7, v6 :: v_dual_cndmask_b32 v5, v5, v9
	s_delay_alu instid0(VALU_DEP_1) | instskip(SKIP_1) | instid1(SALU_CYCLE_1)
	v_cmp_ge_u32_e32 vcc_lo, v5, v6
	s_or_b32 s2, vcc_lo, s2
	s_and_not1_b32 exec_lo, exec_lo, s2
	s_cbranch_execnz .LBB1579_8
; %bb.9:
	s_or_b32 exec_lo, exec_lo, s2
.LBB1579_10:
	s_delay_alu instid0(VALU_DEP_1)
	v_add_nc_u32_e32 v5, v5, v4
	s_or_b32 s9, s9, exec_lo
.LBB1579_11:
	s_or_b32 exec_lo, exec_lo, s10
	s_branch .LBB1579_18
.LBB1579_12:
                                        ; implicit-def: $vgpr5
	s_cbranch_execz .LBB1579_18
; %bb.13:
	v_mov_b32_e32 v5, s3
	s_cmp_ge_u32 s1, s8
	s_cbranch_scc1 .LBB1579_17
; %bb.14:
	v_dual_mov_b32 v6, s8 :: v_dual_mov_b32 v5, s3
	s_mov_b32 s1, 0
.LBB1579_15:                            ; =>This Inner Loop Header: Depth=1
	s_delay_alu instid0(VALU_DEP_1) | instskip(NEXT) | instid1(VALU_DEP_1)
	v_add_nc_u32_e32 v7, v5, v6
	v_lshrrev_b32_e32 v7, 1, v7
	global_load_b64 v[8:9], v7, s[4:5] scale_offset
	s_wait_loadcnt 0x0
	v_add_f64_e32 v[8:9], 0, v[8:9]
	s_delay_alu instid0(VALU_DEP_1) | instskip(NEXT) | instid1(VALU_DEP_1)
	v_ashrrev_i32_e32 v10, 31, v9
	v_or_b32_e32 v11, 0x80000000, v10
	s_delay_alu instid0(VALU_DEP_3) | instskip(NEXT) | instid1(VALU_DEP_2)
	v_xor_b32_e32 v8, v10, v8
	v_xor_b32_e32 v9, v11, v9
	s_delay_alu instid0(VALU_DEP_1) | instskip(SKIP_4) | instid1(VALU_DEP_1)
	v_cmp_gt_u64_e32 vcc_lo, v[0:1], v[8:9]
	v_cndmask_b32_e64 v10, 0, 1, vcc_lo
	v_cmp_le_u64_e32 vcc_lo, v[8:9], v[0:1]
	v_add_nc_u32_e32 v9, 1, v7
	v_cndmask_b32_e64 v8, 0, 1, vcc_lo
	v_cndmask_b32_e64 v8, v8, v10, s0
	s_delay_alu instid0(VALU_DEP_1) | instskip(NEXT) | instid1(VALU_DEP_1)
	v_and_b32_e32 v8, 1, v8
	v_cmp_eq_u32_e32 vcc_lo, 1, v8
	v_dual_cndmask_b32 v6, v7, v6 :: v_dual_cndmask_b32 v5, v5, v9
	s_delay_alu instid0(VALU_DEP_1) | instskip(SKIP_1) | instid1(SALU_CYCLE_1)
	v_cmp_ge_u32_e32 vcc_lo, v5, v6
	s_or_b32 s1, vcc_lo, s1
	s_and_not1_b32 exec_lo, exec_lo, s1
	s_cbranch_execnz .LBB1579_15
; %bb.16:
	s_or_b32 exec_lo, exec_lo, s1
.LBB1579_17:
	s_delay_alu instid0(VALU_DEP_1)
	v_add_nc_u32_e32 v5, v5, v4
	s_mov_b32 s9, -1
.LBB1579_18:
	s_delay_alu instid0(SALU_CYCLE_1)
	s_and_b32 exec_lo, exec_lo, s9
	s_cbranch_execz .LBB1579_20
; %bb.19:
	s_wait_loadcnt 0x0
	global_store_b64 v5, v[2:3], s[6:7] scale_offset
.LBB1579_20:
	s_endpgm
	.section	.rodata,"a",@progbits
	.p2align	6, 0x0
	.amdhsa_kernel _ZN7rocprim17ROCPRIM_400000_NS6detail17trampoline_kernelINS0_14default_configENS1_38merge_sort_block_merge_config_selectorIdNS0_10empty_typeEEEZZNS1_27merge_sort_block_merge_implIS3_PdPS5_jNS1_19radix_merge_compareILb0ELb0EdNS0_19identity_decomposerEEEEE10hipError_tT0_T1_T2_jT3_P12ihipStream_tbPNSt15iterator_traitsISE_E10value_typeEPNSK_ISF_E10value_typeEPSG_NS1_7vsmem_tEENKUlT_SE_SF_SG_E_clIS8_S8_S9_S9_EESD_ST_SE_SF_SG_EUlST_E1_NS1_11comp_targetILNS1_3genE0ELNS1_11target_archE4294967295ELNS1_3gpuE0ELNS1_3repE0EEENS1_36merge_oddeven_config_static_selectorELNS0_4arch9wavefront6targetE0EEEvSF_
		.amdhsa_group_segment_fixed_size 0
		.amdhsa_private_segment_fixed_size 0
		.amdhsa_kernarg_size 48
		.amdhsa_user_sgpr_count 2
		.amdhsa_user_sgpr_dispatch_ptr 0
		.amdhsa_user_sgpr_queue_ptr 0
		.amdhsa_user_sgpr_kernarg_segment_ptr 1
		.amdhsa_user_sgpr_dispatch_id 0
		.amdhsa_user_sgpr_kernarg_preload_length 0
		.amdhsa_user_sgpr_kernarg_preload_offset 0
		.amdhsa_user_sgpr_private_segment_size 0
		.amdhsa_wavefront_size32 1
		.amdhsa_uses_dynamic_stack 0
		.amdhsa_enable_private_segment 0
		.amdhsa_system_sgpr_workgroup_id_x 1
		.amdhsa_system_sgpr_workgroup_id_y 0
		.amdhsa_system_sgpr_workgroup_id_z 0
		.amdhsa_system_sgpr_workgroup_info 0
		.amdhsa_system_vgpr_workitem_id 0
		.amdhsa_next_free_vgpr 12
		.amdhsa_next_free_sgpr 16
		.amdhsa_named_barrier_count 0
		.amdhsa_reserve_vcc 1
		.amdhsa_float_round_mode_32 0
		.amdhsa_float_round_mode_16_64 0
		.amdhsa_float_denorm_mode_32 3
		.amdhsa_float_denorm_mode_16_64 3
		.amdhsa_fp16_overflow 0
		.amdhsa_memory_ordered 1
		.amdhsa_forward_progress 1
		.amdhsa_inst_pref_size 6
		.amdhsa_round_robin_scheduling 0
		.amdhsa_exception_fp_ieee_invalid_op 0
		.amdhsa_exception_fp_denorm_src 0
		.amdhsa_exception_fp_ieee_div_zero 0
		.amdhsa_exception_fp_ieee_overflow 0
		.amdhsa_exception_fp_ieee_underflow 0
		.amdhsa_exception_fp_ieee_inexact 0
		.amdhsa_exception_int_div_zero 0
	.end_amdhsa_kernel
	.section	.text._ZN7rocprim17ROCPRIM_400000_NS6detail17trampoline_kernelINS0_14default_configENS1_38merge_sort_block_merge_config_selectorIdNS0_10empty_typeEEEZZNS1_27merge_sort_block_merge_implIS3_PdPS5_jNS1_19radix_merge_compareILb0ELb0EdNS0_19identity_decomposerEEEEE10hipError_tT0_T1_T2_jT3_P12ihipStream_tbPNSt15iterator_traitsISE_E10value_typeEPNSK_ISF_E10value_typeEPSG_NS1_7vsmem_tEENKUlT_SE_SF_SG_E_clIS8_S8_S9_S9_EESD_ST_SE_SF_SG_EUlST_E1_NS1_11comp_targetILNS1_3genE0ELNS1_11target_archE4294967295ELNS1_3gpuE0ELNS1_3repE0EEENS1_36merge_oddeven_config_static_selectorELNS0_4arch9wavefront6targetE0EEEvSF_,"axG",@progbits,_ZN7rocprim17ROCPRIM_400000_NS6detail17trampoline_kernelINS0_14default_configENS1_38merge_sort_block_merge_config_selectorIdNS0_10empty_typeEEEZZNS1_27merge_sort_block_merge_implIS3_PdPS5_jNS1_19radix_merge_compareILb0ELb0EdNS0_19identity_decomposerEEEEE10hipError_tT0_T1_T2_jT3_P12ihipStream_tbPNSt15iterator_traitsISE_E10value_typeEPNSK_ISF_E10value_typeEPSG_NS1_7vsmem_tEENKUlT_SE_SF_SG_E_clIS8_S8_S9_S9_EESD_ST_SE_SF_SG_EUlST_E1_NS1_11comp_targetILNS1_3genE0ELNS1_11target_archE4294967295ELNS1_3gpuE0ELNS1_3repE0EEENS1_36merge_oddeven_config_static_selectorELNS0_4arch9wavefront6targetE0EEEvSF_,comdat
.Lfunc_end1579:
	.size	_ZN7rocprim17ROCPRIM_400000_NS6detail17trampoline_kernelINS0_14default_configENS1_38merge_sort_block_merge_config_selectorIdNS0_10empty_typeEEEZZNS1_27merge_sort_block_merge_implIS3_PdPS5_jNS1_19radix_merge_compareILb0ELb0EdNS0_19identity_decomposerEEEEE10hipError_tT0_T1_T2_jT3_P12ihipStream_tbPNSt15iterator_traitsISE_E10value_typeEPNSK_ISF_E10value_typeEPSG_NS1_7vsmem_tEENKUlT_SE_SF_SG_E_clIS8_S8_S9_S9_EESD_ST_SE_SF_SG_EUlST_E1_NS1_11comp_targetILNS1_3genE0ELNS1_11target_archE4294967295ELNS1_3gpuE0ELNS1_3repE0EEENS1_36merge_oddeven_config_static_selectorELNS0_4arch9wavefront6targetE0EEEvSF_, .Lfunc_end1579-_ZN7rocprim17ROCPRIM_400000_NS6detail17trampoline_kernelINS0_14default_configENS1_38merge_sort_block_merge_config_selectorIdNS0_10empty_typeEEEZZNS1_27merge_sort_block_merge_implIS3_PdPS5_jNS1_19radix_merge_compareILb0ELb0EdNS0_19identity_decomposerEEEEE10hipError_tT0_T1_T2_jT3_P12ihipStream_tbPNSt15iterator_traitsISE_E10value_typeEPNSK_ISF_E10value_typeEPSG_NS1_7vsmem_tEENKUlT_SE_SF_SG_E_clIS8_S8_S9_S9_EESD_ST_SE_SF_SG_EUlST_E1_NS1_11comp_targetILNS1_3genE0ELNS1_11target_archE4294967295ELNS1_3gpuE0ELNS1_3repE0EEENS1_36merge_oddeven_config_static_selectorELNS0_4arch9wavefront6targetE0EEEvSF_
                                        ; -- End function
	.set _ZN7rocprim17ROCPRIM_400000_NS6detail17trampoline_kernelINS0_14default_configENS1_38merge_sort_block_merge_config_selectorIdNS0_10empty_typeEEEZZNS1_27merge_sort_block_merge_implIS3_PdPS5_jNS1_19radix_merge_compareILb0ELb0EdNS0_19identity_decomposerEEEEE10hipError_tT0_T1_T2_jT3_P12ihipStream_tbPNSt15iterator_traitsISE_E10value_typeEPNSK_ISF_E10value_typeEPSG_NS1_7vsmem_tEENKUlT_SE_SF_SG_E_clIS8_S8_S9_S9_EESD_ST_SE_SF_SG_EUlST_E1_NS1_11comp_targetILNS1_3genE0ELNS1_11target_archE4294967295ELNS1_3gpuE0ELNS1_3repE0EEENS1_36merge_oddeven_config_static_selectorELNS0_4arch9wavefront6targetE0EEEvSF_.num_vgpr, 12
	.set _ZN7rocprim17ROCPRIM_400000_NS6detail17trampoline_kernelINS0_14default_configENS1_38merge_sort_block_merge_config_selectorIdNS0_10empty_typeEEEZZNS1_27merge_sort_block_merge_implIS3_PdPS5_jNS1_19radix_merge_compareILb0ELb0EdNS0_19identity_decomposerEEEEE10hipError_tT0_T1_T2_jT3_P12ihipStream_tbPNSt15iterator_traitsISE_E10value_typeEPNSK_ISF_E10value_typeEPSG_NS1_7vsmem_tEENKUlT_SE_SF_SG_E_clIS8_S8_S9_S9_EESD_ST_SE_SF_SG_EUlST_E1_NS1_11comp_targetILNS1_3genE0ELNS1_11target_archE4294967295ELNS1_3gpuE0ELNS1_3repE0EEENS1_36merge_oddeven_config_static_selectorELNS0_4arch9wavefront6targetE0EEEvSF_.num_agpr, 0
	.set _ZN7rocprim17ROCPRIM_400000_NS6detail17trampoline_kernelINS0_14default_configENS1_38merge_sort_block_merge_config_selectorIdNS0_10empty_typeEEEZZNS1_27merge_sort_block_merge_implIS3_PdPS5_jNS1_19radix_merge_compareILb0ELb0EdNS0_19identity_decomposerEEEEE10hipError_tT0_T1_T2_jT3_P12ihipStream_tbPNSt15iterator_traitsISE_E10value_typeEPNSK_ISF_E10value_typeEPSG_NS1_7vsmem_tEENKUlT_SE_SF_SG_E_clIS8_S8_S9_S9_EESD_ST_SE_SF_SG_EUlST_E1_NS1_11comp_targetILNS1_3genE0ELNS1_11target_archE4294967295ELNS1_3gpuE0ELNS1_3repE0EEENS1_36merge_oddeven_config_static_selectorELNS0_4arch9wavefront6targetE0EEEvSF_.numbered_sgpr, 16
	.set _ZN7rocprim17ROCPRIM_400000_NS6detail17trampoline_kernelINS0_14default_configENS1_38merge_sort_block_merge_config_selectorIdNS0_10empty_typeEEEZZNS1_27merge_sort_block_merge_implIS3_PdPS5_jNS1_19radix_merge_compareILb0ELb0EdNS0_19identity_decomposerEEEEE10hipError_tT0_T1_T2_jT3_P12ihipStream_tbPNSt15iterator_traitsISE_E10value_typeEPNSK_ISF_E10value_typeEPSG_NS1_7vsmem_tEENKUlT_SE_SF_SG_E_clIS8_S8_S9_S9_EESD_ST_SE_SF_SG_EUlST_E1_NS1_11comp_targetILNS1_3genE0ELNS1_11target_archE4294967295ELNS1_3gpuE0ELNS1_3repE0EEENS1_36merge_oddeven_config_static_selectorELNS0_4arch9wavefront6targetE0EEEvSF_.num_named_barrier, 0
	.set _ZN7rocprim17ROCPRIM_400000_NS6detail17trampoline_kernelINS0_14default_configENS1_38merge_sort_block_merge_config_selectorIdNS0_10empty_typeEEEZZNS1_27merge_sort_block_merge_implIS3_PdPS5_jNS1_19radix_merge_compareILb0ELb0EdNS0_19identity_decomposerEEEEE10hipError_tT0_T1_T2_jT3_P12ihipStream_tbPNSt15iterator_traitsISE_E10value_typeEPNSK_ISF_E10value_typeEPSG_NS1_7vsmem_tEENKUlT_SE_SF_SG_E_clIS8_S8_S9_S9_EESD_ST_SE_SF_SG_EUlST_E1_NS1_11comp_targetILNS1_3genE0ELNS1_11target_archE4294967295ELNS1_3gpuE0ELNS1_3repE0EEENS1_36merge_oddeven_config_static_selectorELNS0_4arch9wavefront6targetE0EEEvSF_.private_seg_size, 0
	.set _ZN7rocprim17ROCPRIM_400000_NS6detail17trampoline_kernelINS0_14default_configENS1_38merge_sort_block_merge_config_selectorIdNS0_10empty_typeEEEZZNS1_27merge_sort_block_merge_implIS3_PdPS5_jNS1_19radix_merge_compareILb0ELb0EdNS0_19identity_decomposerEEEEE10hipError_tT0_T1_T2_jT3_P12ihipStream_tbPNSt15iterator_traitsISE_E10value_typeEPNSK_ISF_E10value_typeEPSG_NS1_7vsmem_tEENKUlT_SE_SF_SG_E_clIS8_S8_S9_S9_EESD_ST_SE_SF_SG_EUlST_E1_NS1_11comp_targetILNS1_3genE0ELNS1_11target_archE4294967295ELNS1_3gpuE0ELNS1_3repE0EEENS1_36merge_oddeven_config_static_selectorELNS0_4arch9wavefront6targetE0EEEvSF_.uses_vcc, 1
	.set _ZN7rocprim17ROCPRIM_400000_NS6detail17trampoline_kernelINS0_14default_configENS1_38merge_sort_block_merge_config_selectorIdNS0_10empty_typeEEEZZNS1_27merge_sort_block_merge_implIS3_PdPS5_jNS1_19radix_merge_compareILb0ELb0EdNS0_19identity_decomposerEEEEE10hipError_tT0_T1_T2_jT3_P12ihipStream_tbPNSt15iterator_traitsISE_E10value_typeEPNSK_ISF_E10value_typeEPSG_NS1_7vsmem_tEENKUlT_SE_SF_SG_E_clIS8_S8_S9_S9_EESD_ST_SE_SF_SG_EUlST_E1_NS1_11comp_targetILNS1_3genE0ELNS1_11target_archE4294967295ELNS1_3gpuE0ELNS1_3repE0EEENS1_36merge_oddeven_config_static_selectorELNS0_4arch9wavefront6targetE0EEEvSF_.uses_flat_scratch, 0
	.set _ZN7rocprim17ROCPRIM_400000_NS6detail17trampoline_kernelINS0_14default_configENS1_38merge_sort_block_merge_config_selectorIdNS0_10empty_typeEEEZZNS1_27merge_sort_block_merge_implIS3_PdPS5_jNS1_19radix_merge_compareILb0ELb0EdNS0_19identity_decomposerEEEEE10hipError_tT0_T1_T2_jT3_P12ihipStream_tbPNSt15iterator_traitsISE_E10value_typeEPNSK_ISF_E10value_typeEPSG_NS1_7vsmem_tEENKUlT_SE_SF_SG_E_clIS8_S8_S9_S9_EESD_ST_SE_SF_SG_EUlST_E1_NS1_11comp_targetILNS1_3genE0ELNS1_11target_archE4294967295ELNS1_3gpuE0ELNS1_3repE0EEENS1_36merge_oddeven_config_static_selectorELNS0_4arch9wavefront6targetE0EEEvSF_.has_dyn_sized_stack, 0
	.set _ZN7rocprim17ROCPRIM_400000_NS6detail17trampoline_kernelINS0_14default_configENS1_38merge_sort_block_merge_config_selectorIdNS0_10empty_typeEEEZZNS1_27merge_sort_block_merge_implIS3_PdPS5_jNS1_19radix_merge_compareILb0ELb0EdNS0_19identity_decomposerEEEEE10hipError_tT0_T1_T2_jT3_P12ihipStream_tbPNSt15iterator_traitsISE_E10value_typeEPNSK_ISF_E10value_typeEPSG_NS1_7vsmem_tEENKUlT_SE_SF_SG_E_clIS8_S8_S9_S9_EESD_ST_SE_SF_SG_EUlST_E1_NS1_11comp_targetILNS1_3genE0ELNS1_11target_archE4294967295ELNS1_3gpuE0ELNS1_3repE0EEENS1_36merge_oddeven_config_static_selectorELNS0_4arch9wavefront6targetE0EEEvSF_.has_recursion, 0
	.set _ZN7rocprim17ROCPRIM_400000_NS6detail17trampoline_kernelINS0_14default_configENS1_38merge_sort_block_merge_config_selectorIdNS0_10empty_typeEEEZZNS1_27merge_sort_block_merge_implIS3_PdPS5_jNS1_19radix_merge_compareILb0ELb0EdNS0_19identity_decomposerEEEEE10hipError_tT0_T1_T2_jT3_P12ihipStream_tbPNSt15iterator_traitsISE_E10value_typeEPNSK_ISF_E10value_typeEPSG_NS1_7vsmem_tEENKUlT_SE_SF_SG_E_clIS8_S8_S9_S9_EESD_ST_SE_SF_SG_EUlST_E1_NS1_11comp_targetILNS1_3genE0ELNS1_11target_archE4294967295ELNS1_3gpuE0ELNS1_3repE0EEENS1_36merge_oddeven_config_static_selectorELNS0_4arch9wavefront6targetE0EEEvSF_.has_indirect_call, 0
	.section	.AMDGPU.csdata,"",@progbits
; Kernel info:
; codeLenInByte = 740
; TotalNumSgprs: 18
; NumVgprs: 12
; ScratchSize: 0
; MemoryBound: 0
; FloatMode: 240
; IeeeMode: 1
; LDSByteSize: 0 bytes/workgroup (compile time only)
; SGPRBlocks: 0
; VGPRBlocks: 0
; NumSGPRsForWavesPerEU: 18
; NumVGPRsForWavesPerEU: 12
; NamedBarCnt: 0
; Occupancy: 16
; WaveLimiterHint : 0
; COMPUTE_PGM_RSRC2:SCRATCH_EN: 0
; COMPUTE_PGM_RSRC2:USER_SGPR: 2
; COMPUTE_PGM_RSRC2:TRAP_HANDLER: 0
; COMPUTE_PGM_RSRC2:TGID_X_EN: 1
; COMPUTE_PGM_RSRC2:TGID_Y_EN: 0
; COMPUTE_PGM_RSRC2:TGID_Z_EN: 0
; COMPUTE_PGM_RSRC2:TIDIG_COMP_CNT: 0
	.section	.text._ZN7rocprim17ROCPRIM_400000_NS6detail17trampoline_kernelINS0_14default_configENS1_38merge_sort_block_merge_config_selectorIdNS0_10empty_typeEEEZZNS1_27merge_sort_block_merge_implIS3_PdPS5_jNS1_19radix_merge_compareILb0ELb0EdNS0_19identity_decomposerEEEEE10hipError_tT0_T1_T2_jT3_P12ihipStream_tbPNSt15iterator_traitsISE_E10value_typeEPNSK_ISF_E10value_typeEPSG_NS1_7vsmem_tEENKUlT_SE_SF_SG_E_clIS8_S8_S9_S9_EESD_ST_SE_SF_SG_EUlST_E1_NS1_11comp_targetILNS1_3genE10ELNS1_11target_archE1201ELNS1_3gpuE5ELNS1_3repE0EEENS1_36merge_oddeven_config_static_selectorELNS0_4arch9wavefront6targetE0EEEvSF_,"axG",@progbits,_ZN7rocprim17ROCPRIM_400000_NS6detail17trampoline_kernelINS0_14default_configENS1_38merge_sort_block_merge_config_selectorIdNS0_10empty_typeEEEZZNS1_27merge_sort_block_merge_implIS3_PdPS5_jNS1_19radix_merge_compareILb0ELb0EdNS0_19identity_decomposerEEEEE10hipError_tT0_T1_T2_jT3_P12ihipStream_tbPNSt15iterator_traitsISE_E10value_typeEPNSK_ISF_E10value_typeEPSG_NS1_7vsmem_tEENKUlT_SE_SF_SG_E_clIS8_S8_S9_S9_EESD_ST_SE_SF_SG_EUlST_E1_NS1_11comp_targetILNS1_3genE10ELNS1_11target_archE1201ELNS1_3gpuE5ELNS1_3repE0EEENS1_36merge_oddeven_config_static_selectorELNS0_4arch9wavefront6targetE0EEEvSF_,comdat
	.protected	_ZN7rocprim17ROCPRIM_400000_NS6detail17trampoline_kernelINS0_14default_configENS1_38merge_sort_block_merge_config_selectorIdNS0_10empty_typeEEEZZNS1_27merge_sort_block_merge_implIS3_PdPS5_jNS1_19radix_merge_compareILb0ELb0EdNS0_19identity_decomposerEEEEE10hipError_tT0_T1_T2_jT3_P12ihipStream_tbPNSt15iterator_traitsISE_E10value_typeEPNSK_ISF_E10value_typeEPSG_NS1_7vsmem_tEENKUlT_SE_SF_SG_E_clIS8_S8_S9_S9_EESD_ST_SE_SF_SG_EUlST_E1_NS1_11comp_targetILNS1_3genE10ELNS1_11target_archE1201ELNS1_3gpuE5ELNS1_3repE0EEENS1_36merge_oddeven_config_static_selectorELNS0_4arch9wavefront6targetE0EEEvSF_ ; -- Begin function _ZN7rocprim17ROCPRIM_400000_NS6detail17trampoline_kernelINS0_14default_configENS1_38merge_sort_block_merge_config_selectorIdNS0_10empty_typeEEEZZNS1_27merge_sort_block_merge_implIS3_PdPS5_jNS1_19radix_merge_compareILb0ELb0EdNS0_19identity_decomposerEEEEE10hipError_tT0_T1_T2_jT3_P12ihipStream_tbPNSt15iterator_traitsISE_E10value_typeEPNSK_ISF_E10value_typeEPSG_NS1_7vsmem_tEENKUlT_SE_SF_SG_E_clIS8_S8_S9_S9_EESD_ST_SE_SF_SG_EUlST_E1_NS1_11comp_targetILNS1_3genE10ELNS1_11target_archE1201ELNS1_3gpuE5ELNS1_3repE0EEENS1_36merge_oddeven_config_static_selectorELNS0_4arch9wavefront6targetE0EEEvSF_
	.globl	_ZN7rocprim17ROCPRIM_400000_NS6detail17trampoline_kernelINS0_14default_configENS1_38merge_sort_block_merge_config_selectorIdNS0_10empty_typeEEEZZNS1_27merge_sort_block_merge_implIS3_PdPS5_jNS1_19radix_merge_compareILb0ELb0EdNS0_19identity_decomposerEEEEE10hipError_tT0_T1_T2_jT3_P12ihipStream_tbPNSt15iterator_traitsISE_E10value_typeEPNSK_ISF_E10value_typeEPSG_NS1_7vsmem_tEENKUlT_SE_SF_SG_E_clIS8_S8_S9_S9_EESD_ST_SE_SF_SG_EUlST_E1_NS1_11comp_targetILNS1_3genE10ELNS1_11target_archE1201ELNS1_3gpuE5ELNS1_3repE0EEENS1_36merge_oddeven_config_static_selectorELNS0_4arch9wavefront6targetE0EEEvSF_
	.p2align	8
	.type	_ZN7rocprim17ROCPRIM_400000_NS6detail17trampoline_kernelINS0_14default_configENS1_38merge_sort_block_merge_config_selectorIdNS0_10empty_typeEEEZZNS1_27merge_sort_block_merge_implIS3_PdPS5_jNS1_19radix_merge_compareILb0ELb0EdNS0_19identity_decomposerEEEEE10hipError_tT0_T1_T2_jT3_P12ihipStream_tbPNSt15iterator_traitsISE_E10value_typeEPNSK_ISF_E10value_typeEPSG_NS1_7vsmem_tEENKUlT_SE_SF_SG_E_clIS8_S8_S9_S9_EESD_ST_SE_SF_SG_EUlST_E1_NS1_11comp_targetILNS1_3genE10ELNS1_11target_archE1201ELNS1_3gpuE5ELNS1_3repE0EEENS1_36merge_oddeven_config_static_selectorELNS0_4arch9wavefront6targetE0EEEvSF_,@function
_ZN7rocprim17ROCPRIM_400000_NS6detail17trampoline_kernelINS0_14default_configENS1_38merge_sort_block_merge_config_selectorIdNS0_10empty_typeEEEZZNS1_27merge_sort_block_merge_implIS3_PdPS5_jNS1_19radix_merge_compareILb0ELb0EdNS0_19identity_decomposerEEEEE10hipError_tT0_T1_T2_jT3_P12ihipStream_tbPNSt15iterator_traitsISE_E10value_typeEPNSK_ISF_E10value_typeEPSG_NS1_7vsmem_tEENKUlT_SE_SF_SG_E_clIS8_S8_S9_S9_EESD_ST_SE_SF_SG_EUlST_E1_NS1_11comp_targetILNS1_3genE10ELNS1_11target_archE1201ELNS1_3gpuE5ELNS1_3repE0EEENS1_36merge_oddeven_config_static_selectorELNS0_4arch9wavefront6targetE0EEEvSF_: ; @_ZN7rocprim17ROCPRIM_400000_NS6detail17trampoline_kernelINS0_14default_configENS1_38merge_sort_block_merge_config_selectorIdNS0_10empty_typeEEEZZNS1_27merge_sort_block_merge_implIS3_PdPS5_jNS1_19radix_merge_compareILb0ELb0EdNS0_19identity_decomposerEEEEE10hipError_tT0_T1_T2_jT3_P12ihipStream_tbPNSt15iterator_traitsISE_E10value_typeEPNSK_ISF_E10value_typeEPSG_NS1_7vsmem_tEENKUlT_SE_SF_SG_E_clIS8_S8_S9_S9_EESD_ST_SE_SF_SG_EUlST_E1_NS1_11comp_targetILNS1_3genE10ELNS1_11target_archE1201ELNS1_3gpuE5ELNS1_3repE0EEENS1_36merge_oddeven_config_static_selectorELNS0_4arch9wavefront6targetE0EEEvSF_
; %bb.0:
	.section	.rodata,"a",@progbits
	.p2align	6, 0x0
	.amdhsa_kernel _ZN7rocprim17ROCPRIM_400000_NS6detail17trampoline_kernelINS0_14default_configENS1_38merge_sort_block_merge_config_selectorIdNS0_10empty_typeEEEZZNS1_27merge_sort_block_merge_implIS3_PdPS5_jNS1_19radix_merge_compareILb0ELb0EdNS0_19identity_decomposerEEEEE10hipError_tT0_T1_T2_jT3_P12ihipStream_tbPNSt15iterator_traitsISE_E10value_typeEPNSK_ISF_E10value_typeEPSG_NS1_7vsmem_tEENKUlT_SE_SF_SG_E_clIS8_S8_S9_S9_EESD_ST_SE_SF_SG_EUlST_E1_NS1_11comp_targetILNS1_3genE10ELNS1_11target_archE1201ELNS1_3gpuE5ELNS1_3repE0EEENS1_36merge_oddeven_config_static_selectorELNS0_4arch9wavefront6targetE0EEEvSF_
		.amdhsa_group_segment_fixed_size 0
		.amdhsa_private_segment_fixed_size 0
		.amdhsa_kernarg_size 48
		.amdhsa_user_sgpr_count 2
		.amdhsa_user_sgpr_dispatch_ptr 0
		.amdhsa_user_sgpr_queue_ptr 0
		.amdhsa_user_sgpr_kernarg_segment_ptr 1
		.amdhsa_user_sgpr_dispatch_id 0
		.amdhsa_user_sgpr_kernarg_preload_length 0
		.amdhsa_user_sgpr_kernarg_preload_offset 0
		.amdhsa_user_sgpr_private_segment_size 0
		.amdhsa_wavefront_size32 1
		.amdhsa_uses_dynamic_stack 0
		.amdhsa_enable_private_segment 0
		.amdhsa_system_sgpr_workgroup_id_x 1
		.amdhsa_system_sgpr_workgroup_id_y 0
		.amdhsa_system_sgpr_workgroup_id_z 0
		.amdhsa_system_sgpr_workgroup_info 0
		.amdhsa_system_vgpr_workitem_id 0
		.amdhsa_next_free_vgpr 1
		.amdhsa_next_free_sgpr 1
		.amdhsa_named_barrier_count 0
		.amdhsa_reserve_vcc 0
		.amdhsa_float_round_mode_32 0
		.amdhsa_float_round_mode_16_64 0
		.amdhsa_float_denorm_mode_32 3
		.amdhsa_float_denorm_mode_16_64 3
		.amdhsa_fp16_overflow 0
		.amdhsa_memory_ordered 1
		.amdhsa_forward_progress 1
		.amdhsa_inst_pref_size 0
		.amdhsa_round_robin_scheduling 0
		.amdhsa_exception_fp_ieee_invalid_op 0
		.amdhsa_exception_fp_denorm_src 0
		.amdhsa_exception_fp_ieee_div_zero 0
		.amdhsa_exception_fp_ieee_overflow 0
		.amdhsa_exception_fp_ieee_underflow 0
		.amdhsa_exception_fp_ieee_inexact 0
		.amdhsa_exception_int_div_zero 0
	.end_amdhsa_kernel
	.section	.text._ZN7rocprim17ROCPRIM_400000_NS6detail17trampoline_kernelINS0_14default_configENS1_38merge_sort_block_merge_config_selectorIdNS0_10empty_typeEEEZZNS1_27merge_sort_block_merge_implIS3_PdPS5_jNS1_19radix_merge_compareILb0ELb0EdNS0_19identity_decomposerEEEEE10hipError_tT0_T1_T2_jT3_P12ihipStream_tbPNSt15iterator_traitsISE_E10value_typeEPNSK_ISF_E10value_typeEPSG_NS1_7vsmem_tEENKUlT_SE_SF_SG_E_clIS8_S8_S9_S9_EESD_ST_SE_SF_SG_EUlST_E1_NS1_11comp_targetILNS1_3genE10ELNS1_11target_archE1201ELNS1_3gpuE5ELNS1_3repE0EEENS1_36merge_oddeven_config_static_selectorELNS0_4arch9wavefront6targetE0EEEvSF_,"axG",@progbits,_ZN7rocprim17ROCPRIM_400000_NS6detail17trampoline_kernelINS0_14default_configENS1_38merge_sort_block_merge_config_selectorIdNS0_10empty_typeEEEZZNS1_27merge_sort_block_merge_implIS3_PdPS5_jNS1_19radix_merge_compareILb0ELb0EdNS0_19identity_decomposerEEEEE10hipError_tT0_T1_T2_jT3_P12ihipStream_tbPNSt15iterator_traitsISE_E10value_typeEPNSK_ISF_E10value_typeEPSG_NS1_7vsmem_tEENKUlT_SE_SF_SG_E_clIS8_S8_S9_S9_EESD_ST_SE_SF_SG_EUlST_E1_NS1_11comp_targetILNS1_3genE10ELNS1_11target_archE1201ELNS1_3gpuE5ELNS1_3repE0EEENS1_36merge_oddeven_config_static_selectorELNS0_4arch9wavefront6targetE0EEEvSF_,comdat
.Lfunc_end1580:
	.size	_ZN7rocprim17ROCPRIM_400000_NS6detail17trampoline_kernelINS0_14default_configENS1_38merge_sort_block_merge_config_selectorIdNS0_10empty_typeEEEZZNS1_27merge_sort_block_merge_implIS3_PdPS5_jNS1_19radix_merge_compareILb0ELb0EdNS0_19identity_decomposerEEEEE10hipError_tT0_T1_T2_jT3_P12ihipStream_tbPNSt15iterator_traitsISE_E10value_typeEPNSK_ISF_E10value_typeEPSG_NS1_7vsmem_tEENKUlT_SE_SF_SG_E_clIS8_S8_S9_S9_EESD_ST_SE_SF_SG_EUlST_E1_NS1_11comp_targetILNS1_3genE10ELNS1_11target_archE1201ELNS1_3gpuE5ELNS1_3repE0EEENS1_36merge_oddeven_config_static_selectorELNS0_4arch9wavefront6targetE0EEEvSF_, .Lfunc_end1580-_ZN7rocprim17ROCPRIM_400000_NS6detail17trampoline_kernelINS0_14default_configENS1_38merge_sort_block_merge_config_selectorIdNS0_10empty_typeEEEZZNS1_27merge_sort_block_merge_implIS3_PdPS5_jNS1_19radix_merge_compareILb0ELb0EdNS0_19identity_decomposerEEEEE10hipError_tT0_T1_T2_jT3_P12ihipStream_tbPNSt15iterator_traitsISE_E10value_typeEPNSK_ISF_E10value_typeEPSG_NS1_7vsmem_tEENKUlT_SE_SF_SG_E_clIS8_S8_S9_S9_EESD_ST_SE_SF_SG_EUlST_E1_NS1_11comp_targetILNS1_3genE10ELNS1_11target_archE1201ELNS1_3gpuE5ELNS1_3repE0EEENS1_36merge_oddeven_config_static_selectorELNS0_4arch9wavefront6targetE0EEEvSF_
                                        ; -- End function
	.set _ZN7rocprim17ROCPRIM_400000_NS6detail17trampoline_kernelINS0_14default_configENS1_38merge_sort_block_merge_config_selectorIdNS0_10empty_typeEEEZZNS1_27merge_sort_block_merge_implIS3_PdPS5_jNS1_19radix_merge_compareILb0ELb0EdNS0_19identity_decomposerEEEEE10hipError_tT0_T1_T2_jT3_P12ihipStream_tbPNSt15iterator_traitsISE_E10value_typeEPNSK_ISF_E10value_typeEPSG_NS1_7vsmem_tEENKUlT_SE_SF_SG_E_clIS8_S8_S9_S9_EESD_ST_SE_SF_SG_EUlST_E1_NS1_11comp_targetILNS1_3genE10ELNS1_11target_archE1201ELNS1_3gpuE5ELNS1_3repE0EEENS1_36merge_oddeven_config_static_selectorELNS0_4arch9wavefront6targetE0EEEvSF_.num_vgpr, 0
	.set _ZN7rocprim17ROCPRIM_400000_NS6detail17trampoline_kernelINS0_14default_configENS1_38merge_sort_block_merge_config_selectorIdNS0_10empty_typeEEEZZNS1_27merge_sort_block_merge_implIS3_PdPS5_jNS1_19radix_merge_compareILb0ELb0EdNS0_19identity_decomposerEEEEE10hipError_tT0_T1_T2_jT3_P12ihipStream_tbPNSt15iterator_traitsISE_E10value_typeEPNSK_ISF_E10value_typeEPSG_NS1_7vsmem_tEENKUlT_SE_SF_SG_E_clIS8_S8_S9_S9_EESD_ST_SE_SF_SG_EUlST_E1_NS1_11comp_targetILNS1_3genE10ELNS1_11target_archE1201ELNS1_3gpuE5ELNS1_3repE0EEENS1_36merge_oddeven_config_static_selectorELNS0_4arch9wavefront6targetE0EEEvSF_.num_agpr, 0
	.set _ZN7rocprim17ROCPRIM_400000_NS6detail17trampoline_kernelINS0_14default_configENS1_38merge_sort_block_merge_config_selectorIdNS0_10empty_typeEEEZZNS1_27merge_sort_block_merge_implIS3_PdPS5_jNS1_19radix_merge_compareILb0ELb0EdNS0_19identity_decomposerEEEEE10hipError_tT0_T1_T2_jT3_P12ihipStream_tbPNSt15iterator_traitsISE_E10value_typeEPNSK_ISF_E10value_typeEPSG_NS1_7vsmem_tEENKUlT_SE_SF_SG_E_clIS8_S8_S9_S9_EESD_ST_SE_SF_SG_EUlST_E1_NS1_11comp_targetILNS1_3genE10ELNS1_11target_archE1201ELNS1_3gpuE5ELNS1_3repE0EEENS1_36merge_oddeven_config_static_selectorELNS0_4arch9wavefront6targetE0EEEvSF_.numbered_sgpr, 0
	.set _ZN7rocprim17ROCPRIM_400000_NS6detail17trampoline_kernelINS0_14default_configENS1_38merge_sort_block_merge_config_selectorIdNS0_10empty_typeEEEZZNS1_27merge_sort_block_merge_implIS3_PdPS5_jNS1_19radix_merge_compareILb0ELb0EdNS0_19identity_decomposerEEEEE10hipError_tT0_T1_T2_jT3_P12ihipStream_tbPNSt15iterator_traitsISE_E10value_typeEPNSK_ISF_E10value_typeEPSG_NS1_7vsmem_tEENKUlT_SE_SF_SG_E_clIS8_S8_S9_S9_EESD_ST_SE_SF_SG_EUlST_E1_NS1_11comp_targetILNS1_3genE10ELNS1_11target_archE1201ELNS1_3gpuE5ELNS1_3repE0EEENS1_36merge_oddeven_config_static_selectorELNS0_4arch9wavefront6targetE0EEEvSF_.num_named_barrier, 0
	.set _ZN7rocprim17ROCPRIM_400000_NS6detail17trampoline_kernelINS0_14default_configENS1_38merge_sort_block_merge_config_selectorIdNS0_10empty_typeEEEZZNS1_27merge_sort_block_merge_implIS3_PdPS5_jNS1_19radix_merge_compareILb0ELb0EdNS0_19identity_decomposerEEEEE10hipError_tT0_T1_T2_jT3_P12ihipStream_tbPNSt15iterator_traitsISE_E10value_typeEPNSK_ISF_E10value_typeEPSG_NS1_7vsmem_tEENKUlT_SE_SF_SG_E_clIS8_S8_S9_S9_EESD_ST_SE_SF_SG_EUlST_E1_NS1_11comp_targetILNS1_3genE10ELNS1_11target_archE1201ELNS1_3gpuE5ELNS1_3repE0EEENS1_36merge_oddeven_config_static_selectorELNS0_4arch9wavefront6targetE0EEEvSF_.private_seg_size, 0
	.set _ZN7rocprim17ROCPRIM_400000_NS6detail17trampoline_kernelINS0_14default_configENS1_38merge_sort_block_merge_config_selectorIdNS0_10empty_typeEEEZZNS1_27merge_sort_block_merge_implIS3_PdPS5_jNS1_19radix_merge_compareILb0ELb0EdNS0_19identity_decomposerEEEEE10hipError_tT0_T1_T2_jT3_P12ihipStream_tbPNSt15iterator_traitsISE_E10value_typeEPNSK_ISF_E10value_typeEPSG_NS1_7vsmem_tEENKUlT_SE_SF_SG_E_clIS8_S8_S9_S9_EESD_ST_SE_SF_SG_EUlST_E1_NS1_11comp_targetILNS1_3genE10ELNS1_11target_archE1201ELNS1_3gpuE5ELNS1_3repE0EEENS1_36merge_oddeven_config_static_selectorELNS0_4arch9wavefront6targetE0EEEvSF_.uses_vcc, 0
	.set _ZN7rocprim17ROCPRIM_400000_NS6detail17trampoline_kernelINS0_14default_configENS1_38merge_sort_block_merge_config_selectorIdNS0_10empty_typeEEEZZNS1_27merge_sort_block_merge_implIS3_PdPS5_jNS1_19radix_merge_compareILb0ELb0EdNS0_19identity_decomposerEEEEE10hipError_tT0_T1_T2_jT3_P12ihipStream_tbPNSt15iterator_traitsISE_E10value_typeEPNSK_ISF_E10value_typeEPSG_NS1_7vsmem_tEENKUlT_SE_SF_SG_E_clIS8_S8_S9_S9_EESD_ST_SE_SF_SG_EUlST_E1_NS1_11comp_targetILNS1_3genE10ELNS1_11target_archE1201ELNS1_3gpuE5ELNS1_3repE0EEENS1_36merge_oddeven_config_static_selectorELNS0_4arch9wavefront6targetE0EEEvSF_.uses_flat_scratch, 0
	.set _ZN7rocprim17ROCPRIM_400000_NS6detail17trampoline_kernelINS0_14default_configENS1_38merge_sort_block_merge_config_selectorIdNS0_10empty_typeEEEZZNS1_27merge_sort_block_merge_implIS3_PdPS5_jNS1_19radix_merge_compareILb0ELb0EdNS0_19identity_decomposerEEEEE10hipError_tT0_T1_T2_jT3_P12ihipStream_tbPNSt15iterator_traitsISE_E10value_typeEPNSK_ISF_E10value_typeEPSG_NS1_7vsmem_tEENKUlT_SE_SF_SG_E_clIS8_S8_S9_S9_EESD_ST_SE_SF_SG_EUlST_E1_NS1_11comp_targetILNS1_3genE10ELNS1_11target_archE1201ELNS1_3gpuE5ELNS1_3repE0EEENS1_36merge_oddeven_config_static_selectorELNS0_4arch9wavefront6targetE0EEEvSF_.has_dyn_sized_stack, 0
	.set _ZN7rocprim17ROCPRIM_400000_NS6detail17trampoline_kernelINS0_14default_configENS1_38merge_sort_block_merge_config_selectorIdNS0_10empty_typeEEEZZNS1_27merge_sort_block_merge_implIS3_PdPS5_jNS1_19radix_merge_compareILb0ELb0EdNS0_19identity_decomposerEEEEE10hipError_tT0_T1_T2_jT3_P12ihipStream_tbPNSt15iterator_traitsISE_E10value_typeEPNSK_ISF_E10value_typeEPSG_NS1_7vsmem_tEENKUlT_SE_SF_SG_E_clIS8_S8_S9_S9_EESD_ST_SE_SF_SG_EUlST_E1_NS1_11comp_targetILNS1_3genE10ELNS1_11target_archE1201ELNS1_3gpuE5ELNS1_3repE0EEENS1_36merge_oddeven_config_static_selectorELNS0_4arch9wavefront6targetE0EEEvSF_.has_recursion, 0
	.set _ZN7rocprim17ROCPRIM_400000_NS6detail17trampoline_kernelINS0_14default_configENS1_38merge_sort_block_merge_config_selectorIdNS0_10empty_typeEEEZZNS1_27merge_sort_block_merge_implIS3_PdPS5_jNS1_19radix_merge_compareILb0ELb0EdNS0_19identity_decomposerEEEEE10hipError_tT0_T1_T2_jT3_P12ihipStream_tbPNSt15iterator_traitsISE_E10value_typeEPNSK_ISF_E10value_typeEPSG_NS1_7vsmem_tEENKUlT_SE_SF_SG_E_clIS8_S8_S9_S9_EESD_ST_SE_SF_SG_EUlST_E1_NS1_11comp_targetILNS1_3genE10ELNS1_11target_archE1201ELNS1_3gpuE5ELNS1_3repE0EEENS1_36merge_oddeven_config_static_selectorELNS0_4arch9wavefront6targetE0EEEvSF_.has_indirect_call, 0
	.section	.AMDGPU.csdata,"",@progbits
; Kernel info:
; codeLenInByte = 0
; TotalNumSgprs: 0
; NumVgprs: 0
; ScratchSize: 0
; MemoryBound: 0
; FloatMode: 240
; IeeeMode: 1
; LDSByteSize: 0 bytes/workgroup (compile time only)
; SGPRBlocks: 0
; VGPRBlocks: 0
; NumSGPRsForWavesPerEU: 1
; NumVGPRsForWavesPerEU: 1
; NamedBarCnt: 0
; Occupancy: 16
; WaveLimiterHint : 0
; COMPUTE_PGM_RSRC2:SCRATCH_EN: 0
; COMPUTE_PGM_RSRC2:USER_SGPR: 2
; COMPUTE_PGM_RSRC2:TRAP_HANDLER: 0
; COMPUTE_PGM_RSRC2:TGID_X_EN: 1
; COMPUTE_PGM_RSRC2:TGID_Y_EN: 0
; COMPUTE_PGM_RSRC2:TGID_Z_EN: 0
; COMPUTE_PGM_RSRC2:TIDIG_COMP_CNT: 0
	.section	.text._ZN7rocprim17ROCPRIM_400000_NS6detail17trampoline_kernelINS0_14default_configENS1_38merge_sort_block_merge_config_selectorIdNS0_10empty_typeEEEZZNS1_27merge_sort_block_merge_implIS3_PdPS5_jNS1_19radix_merge_compareILb0ELb0EdNS0_19identity_decomposerEEEEE10hipError_tT0_T1_T2_jT3_P12ihipStream_tbPNSt15iterator_traitsISE_E10value_typeEPNSK_ISF_E10value_typeEPSG_NS1_7vsmem_tEENKUlT_SE_SF_SG_E_clIS8_S8_S9_S9_EESD_ST_SE_SF_SG_EUlST_E1_NS1_11comp_targetILNS1_3genE5ELNS1_11target_archE942ELNS1_3gpuE9ELNS1_3repE0EEENS1_36merge_oddeven_config_static_selectorELNS0_4arch9wavefront6targetE0EEEvSF_,"axG",@progbits,_ZN7rocprim17ROCPRIM_400000_NS6detail17trampoline_kernelINS0_14default_configENS1_38merge_sort_block_merge_config_selectorIdNS0_10empty_typeEEEZZNS1_27merge_sort_block_merge_implIS3_PdPS5_jNS1_19radix_merge_compareILb0ELb0EdNS0_19identity_decomposerEEEEE10hipError_tT0_T1_T2_jT3_P12ihipStream_tbPNSt15iterator_traitsISE_E10value_typeEPNSK_ISF_E10value_typeEPSG_NS1_7vsmem_tEENKUlT_SE_SF_SG_E_clIS8_S8_S9_S9_EESD_ST_SE_SF_SG_EUlST_E1_NS1_11comp_targetILNS1_3genE5ELNS1_11target_archE942ELNS1_3gpuE9ELNS1_3repE0EEENS1_36merge_oddeven_config_static_selectorELNS0_4arch9wavefront6targetE0EEEvSF_,comdat
	.protected	_ZN7rocprim17ROCPRIM_400000_NS6detail17trampoline_kernelINS0_14default_configENS1_38merge_sort_block_merge_config_selectorIdNS0_10empty_typeEEEZZNS1_27merge_sort_block_merge_implIS3_PdPS5_jNS1_19radix_merge_compareILb0ELb0EdNS0_19identity_decomposerEEEEE10hipError_tT0_T1_T2_jT3_P12ihipStream_tbPNSt15iterator_traitsISE_E10value_typeEPNSK_ISF_E10value_typeEPSG_NS1_7vsmem_tEENKUlT_SE_SF_SG_E_clIS8_S8_S9_S9_EESD_ST_SE_SF_SG_EUlST_E1_NS1_11comp_targetILNS1_3genE5ELNS1_11target_archE942ELNS1_3gpuE9ELNS1_3repE0EEENS1_36merge_oddeven_config_static_selectorELNS0_4arch9wavefront6targetE0EEEvSF_ ; -- Begin function _ZN7rocprim17ROCPRIM_400000_NS6detail17trampoline_kernelINS0_14default_configENS1_38merge_sort_block_merge_config_selectorIdNS0_10empty_typeEEEZZNS1_27merge_sort_block_merge_implIS3_PdPS5_jNS1_19radix_merge_compareILb0ELb0EdNS0_19identity_decomposerEEEEE10hipError_tT0_T1_T2_jT3_P12ihipStream_tbPNSt15iterator_traitsISE_E10value_typeEPNSK_ISF_E10value_typeEPSG_NS1_7vsmem_tEENKUlT_SE_SF_SG_E_clIS8_S8_S9_S9_EESD_ST_SE_SF_SG_EUlST_E1_NS1_11comp_targetILNS1_3genE5ELNS1_11target_archE942ELNS1_3gpuE9ELNS1_3repE0EEENS1_36merge_oddeven_config_static_selectorELNS0_4arch9wavefront6targetE0EEEvSF_
	.globl	_ZN7rocprim17ROCPRIM_400000_NS6detail17trampoline_kernelINS0_14default_configENS1_38merge_sort_block_merge_config_selectorIdNS0_10empty_typeEEEZZNS1_27merge_sort_block_merge_implIS3_PdPS5_jNS1_19radix_merge_compareILb0ELb0EdNS0_19identity_decomposerEEEEE10hipError_tT0_T1_T2_jT3_P12ihipStream_tbPNSt15iterator_traitsISE_E10value_typeEPNSK_ISF_E10value_typeEPSG_NS1_7vsmem_tEENKUlT_SE_SF_SG_E_clIS8_S8_S9_S9_EESD_ST_SE_SF_SG_EUlST_E1_NS1_11comp_targetILNS1_3genE5ELNS1_11target_archE942ELNS1_3gpuE9ELNS1_3repE0EEENS1_36merge_oddeven_config_static_selectorELNS0_4arch9wavefront6targetE0EEEvSF_
	.p2align	8
	.type	_ZN7rocprim17ROCPRIM_400000_NS6detail17trampoline_kernelINS0_14default_configENS1_38merge_sort_block_merge_config_selectorIdNS0_10empty_typeEEEZZNS1_27merge_sort_block_merge_implIS3_PdPS5_jNS1_19radix_merge_compareILb0ELb0EdNS0_19identity_decomposerEEEEE10hipError_tT0_T1_T2_jT3_P12ihipStream_tbPNSt15iterator_traitsISE_E10value_typeEPNSK_ISF_E10value_typeEPSG_NS1_7vsmem_tEENKUlT_SE_SF_SG_E_clIS8_S8_S9_S9_EESD_ST_SE_SF_SG_EUlST_E1_NS1_11comp_targetILNS1_3genE5ELNS1_11target_archE942ELNS1_3gpuE9ELNS1_3repE0EEENS1_36merge_oddeven_config_static_selectorELNS0_4arch9wavefront6targetE0EEEvSF_,@function
_ZN7rocprim17ROCPRIM_400000_NS6detail17trampoline_kernelINS0_14default_configENS1_38merge_sort_block_merge_config_selectorIdNS0_10empty_typeEEEZZNS1_27merge_sort_block_merge_implIS3_PdPS5_jNS1_19radix_merge_compareILb0ELb0EdNS0_19identity_decomposerEEEEE10hipError_tT0_T1_T2_jT3_P12ihipStream_tbPNSt15iterator_traitsISE_E10value_typeEPNSK_ISF_E10value_typeEPSG_NS1_7vsmem_tEENKUlT_SE_SF_SG_E_clIS8_S8_S9_S9_EESD_ST_SE_SF_SG_EUlST_E1_NS1_11comp_targetILNS1_3genE5ELNS1_11target_archE942ELNS1_3gpuE9ELNS1_3repE0EEENS1_36merge_oddeven_config_static_selectorELNS0_4arch9wavefront6targetE0EEEvSF_: ; @_ZN7rocprim17ROCPRIM_400000_NS6detail17trampoline_kernelINS0_14default_configENS1_38merge_sort_block_merge_config_selectorIdNS0_10empty_typeEEEZZNS1_27merge_sort_block_merge_implIS3_PdPS5_jNS1_19radix_merge_compareILb0ELb0EdNS0_19identity_decomposerEEEEE10hipError_tT0_T1_T2_jT3_P12ihipStream_tbPNSt15iterator_traitsISE_E10value_typeEPNSK_ISF_E10value_typeEPSG_NS1_7vsmem_tEENKUlT_SE_SF_SG_E_clIS8_S8_S9_S9_EESD_ST_SE_SF_SG_EUlST_E1_NS1_11comp_targetILNS1_3genE5ELNS1_11target_archE942ELNS1_3gpuE9ELNS1_3repE0EEENS1_36merge_oddeven_config_static_selectorELNS0_4arch9wavefront6targetE0EEEvSF_
; %bb.0:
	.section	.rodata,"a",@progbits
	.p2align	6, 0x0
	.amdhsa_kernel _ZN7rocprim17ROCPRIM_400000_NS6detail17trampoline_kernelINS0_14default_configENS1_38merge_sort_block_merge_config_selectorIdNS0_10empty_typeEEEZZNS1_27merge_sort_block_merge_implIS3_PdPS5_jNS1_19radix_merge_compareILb0ELb0EdNS0_19identity_decomposerEEEEE10hipError_tT0_T1_T2_jT3_P12ihipStream_tbPNSt15iterator_traitsISE_E10value_typeEPNSK_ISF_E10value_typeEPSG_NS1_7vsmem_tEENKUlT_SE_SF_SG_E_clIS8_S8_S9_S9_EESD_ST_SE_SF_SG_EUlST_E1_NS1_11comp_targetILNS1_3genE5ELNS1_11target_archE942ELNS1_3gpuE9ELNS1_3repE0EEENS1_36merge_oddeven_config_static_selectorELNS0_4arch9wavefront6targetE0EEEvSF_
		.amdhsa_group_segment_fixed_size 0
		.amdhsa_private_segment_fixed_size 0
		.amdhsa_kernarg_size 48
		.amdhsa_user_sgpr_count 2
		.amdhsa_user_sgpr_dispatch_ptr 0
		.amdhsa_user_sgpr_queue_ptr 0
		.amdhsa_user_sgpr_kernarg_segment_ptr 1
		.amdhsa_user_sgpr_dispatch_id 0
		.amdhsa_user_sgpr_kernarg_preload_length 0
		.amdhsa_user_sgpr_kernarg_preload_offset 0
		.amdhsa_user_sgpr_private_segment_size 0
		.amdhsa_wavefront_size32 1
		.amdhsa_uses_dynamic_stack 0
		.amdhsa_enable_private_segment 0
		.amdhsa_system_sgpr_workgroup_id_x 1
		.amdhsa_system_sgpr_workgroup_id_y 0
		.amdhsa_system_sgpr_workgroup_id_z 0
		.amdhsa_system_sgpr_workgroup_info 0
		.amdhsa_system_vgpr_workitem_id 0
		.amdhsa_next_free_vgpr 1
		.amdhsa_next_free_sgpr 1
		.amdhsa_named_barrier_count 0
		.amdhsa_reserve_vcc 0
		.amdhsa_float_round_mode_32 0
		.amdhsa_float_round_mode_16_64 0
		.amdhsa_float_denorm_mode_32 3
		.amdhsa_float_denorm_mode_16_64 3
		.amdhsa_fp16_overflow 0
		.amdhsa_memory_ordered 1
		.amdhsa_forward_progress 1
		.amdhsa_inst_pref_size 0
		.amdhsa_round_robin_scheduling 0
		.amdhsa_exception_fp_ieee_invalid_op 0
		.amdhsa_exception_fp_denorm_src 0
		.amdhsa_exception_fp_ieee_div_zero 0
		.amdhsa_exception_fp_ieee_overflow 0
		.amdhsa_exception_fp_ieee_underflow 0
		.amdhsa_exception_fp_ieee_inexact 0
		.amdhsa_exception_int_div_zero 0
	.end_amdhsa_kernel
	.section	.text._ZN7rocprim17ROCPRIM_400000_NS6detail17trampoline_kernelINS0_14default_configENS1_38merge_sort_block_merge_config_selectorIdNS0_10empty_typeEEEZZNS1_27merge_sort_block_merge_implIS3_PdPS5_jNS1_19radix_merge_compareILb0ELb0EdNS0_19identity_decomposerEEEEE10hipError_tT0_T1_T2_jT3_P12ihipStream_tbPNSt15iterator_traitsISE_E10value_typeEPNSK_ISF_E10value_typeEPSG_NS1_7vsmem_tEENKUlT_SE_SF_SG_E_clIS8_S8_S9_S9_EESD_ST_SE_SF_SG_EUlST_E1_NS1_11comp_targetILNS1_3genE5ELNS1_11target_archE942ELNS1_3gpuE9ELNS1_3repE0EEENS1_36merge_oddeven_config_static_selectorELNS0_4arch9wavefront6targetE0EEEvSF_,"axG",@progbits,_ZN7rocprim17ROCPRIM_400000_NS6detail17trampoline_kernelINS0_14default_configENS1_38merge_sort_block_merge_config_selectorIdNS0_10empty_typeEEEZZNS1_27merge_sort_block_merge_implIS3_PdPS5_jNS1_19radix_merge_compareILb0ELb0EdNS0_19identity_decomposerEEEEE10hipError_tT0_T1_T2_jT3_P12ihipStream_tbPNSt15iterator_traitsISE_E10value_typeEPNSK_ISF_E10value_typeEPSG_NS1_7vsmem_tEENKUlT_SE_SF_SG_E_clIS8_S8_S9_S9_EESD_ST_SE_SF_SG_EUlST_E1_NS1_11comp_targetILNS1_3genE5ELNS1_11target_archE942ELNS1_3gpuE9ELNS1_3repE0EEENS1_36merge_oddeven_config_static_selectorELNS0_4arch9wavefront6targetE0EEEvSF_,comdat
.Lfunc_end1581:
	.size	_ZN7rocprim17ROCPRIM_400000_NS6detail17trampoline_kernelINS0_14default_configENS1_38merge_sort_block_merge_config_selectorIdNS0_10empty_typeEEEZZNS1_27merge_sort_block_merge_implIS3_PdPS5_jNS1_19radix_merge_compareILb0ELb0EdNS0_19identity_decomposerEEEEE10hipError_tT0_T1_T2_jT3_P12ihipStream_tbPNSt15iterator_traitsISE_E10value_typeEPNSK_ISF_E10value_typeEPSG_NS1_7vsmem_tEENKUlT_SE_SF_SG_E_clIS8_S8_S9_S9_EESD_ST_SE_SF_SG_EUlST_E1_NS1_11comp_targetILNS1_3genE5ELNS1_11target_archE942ELNS1_3gpuE9ELNS1_3repE0EEENS1_36merge_oddeven_config_static_selectorELNS0_4arch9wavefront6targetE0EEEvSF_, .Lfunc_end1581-_ZN7rocprim17ROCPRIM_400000_NS6detail17trampoline_kernelINS0_14default_configENS1_38merge_sort_block_merge_config_selectorIdNS0_10empty_typeEEEZZNS1_27merge_sort_block_merge_implIS3_PdPS5_jNS1_19radix_merge_compareILb0ELb0EdNS0_19identity_decomposerEEEEE10hipError_tT0_T1_T2_jT3_P12ihipStream_tbPNSt15iterator_traitsISE_E10value_typeEPNSK_ISF_E10value_typeEPSG_NS1_7vsmem_tEENKUlT_SE_SF_SG_E_clIS8_S8_S9_S9_EESD_ST_SE_SF_SG_EUlST_E1_NS1_11comp_targetILNS1_3genE5ELNS1_11target_archE942ELNS1_3gpuE9ELNS1_3repE0EEENS1_36merge_oddeven_config_static_selectorELNS0_4arch9wavefront6targetE0EEEvSF_
                                        ; -- End function
	.set _ZN7rocprim17ROCPRIM_400000_NS6detail17trampoline_kernelINS0_14default_configENS1_38merge_sort_block_merge_config_selectorIdNS0_10empty_typeEEEZZNS1_27merge_sort_block_merge_implIS3_PdPS5_jNS1_19radix_merge_compareILb0ELb0EdNS0_19identity_decomposerEEEEE10hipError_tT0_T1_T2_jT3_P12ihipStream_tbPNSt15iterator_traitsISE_E10value_typeEPNSK_ISF_E10value_typeEPSG_NS1_7vsmem_tEENKUlT_SE_SF_SG_E_clIS8_S8_S9_S9_EESD_ST_SE_SF_SG_EUlST_E1_NS1_11comp_targetILNS1_3genE5ELNS1_11target_archE942ELNS1_3gpuE9ELNS1_3repE0EEENS1_36merge_oddeven_config_static_selectorELNS0_4arch9wavefront6targetE0EEEvSF_.num_vgpr, 0
	.set _ZN7rocprim17ROCPRIM_400000_NS6detail17trampoline_kernelINS0_14default_configENS1_38merge_sort_block_merge_config_selectorIdNS0_10empty_typeEEEZZNS1_27merge_sort_block_merge_implIS3_PdPS5_jNS1_19radix_merge_compareILb0ELb0EdNS0_19identity_decomposerEEEEE10hipError_tT0_T1_T2_jT3_P12ihipStream_tbPNSt15iterator_traitsISE_E10value_typeEPNSK_ISF_E10value_typeEPSG_NS1_7vsmem_tEENKUlT_SE_SF_SG_E_clIS8_S8_S9_S9_EESD_ST_SE_SF_SG_EUlST_E1_NS1_11comp_targetILNS1_3genE5ELNS1_11target_archE942ELNS1_3gpuE9ELNS1_3repE0EEENS1_36merge_oddeven_config_static_selectorELNS0_4arch9wavefront6targetE0EEEvSF_.num_agpr, 0
	.set _ZN7rocprim17ROCPRIM_400000_NS6detail17trampoline_kernelINS0_14default_configENS1_38merge_sort_block_merge_config_selectorIdNS0_10empty_typeEEEZZNS1_27merge_sort_block_merge_implIS3_PdPS5_jNS1_19radix_merge_compareILb0ELb0EdNS0_19identity_decomposerEEEEE10hipError_tT0_T1_T2_jT3_P12ihipStream_tbPNSt15iterator_traitsISE_E10value_typeEPNSK_ISF_E10value_typeEPSG_NS1_7vsmem_tEENKUlT_SE_SF_SG_E_clIS8_S8_S9_S9_EESD_ST_SE_SF_SG_EUlST_E1_NS1_11comp_targetILNS1_3genE5ELNS1_11target_archE942ELNS1_3gpuE9ELNS1_3repE0EEENS1_36merge_oddeven_config_static_selectorELNS0_4arch9wavefront6targetE0EEEvSF_.numbered_sgpr, 0
	.set _ZN7rocprim17ROCPRIM_400000_NS6detail17trampoline_kernelINS0_14default_configENS1_38merge_sort_block_merge_config_selectorIdNS0_10empty_typeEEEZZNS1_27merge_sort_block_merge_implIS3_PdPS5_jNS1_19radix_merge_compareILb0ELb0EdNS0_19identity_decomposerEEEEE10hipError_tT0_T1_T2_jT3_P12ihipStream_tbPNSt15iterator_traitsISE_E10value_typeEPNSK_ISF_E10value_typeEPSG_NS1_7vsmem_tEENKUlT_SE_SF_SG_E_clIS8_S8_S9_S9_EESD_ST_SE_SF_SG_EUlST_E1_NS1_11comp_targetILNS1_3genE5ELNS1_11target_archE942ELNS1_3gpuE9ELNS1_3repE0EEENS1_36merge_oddeven_config_static_selectorELNS0_4arch9wavefront6targetE0EEEvSF_.num_named_barrier, 0
	.set _ZN7rocprim17ROCPRIM_400000_NS6detail17trampoline_kernelINS0_14default_configENS1_38merge_sort_block_merge_config_selectorIdNS0_10empty_typeEEEZZNS1_27merge_sort_block_merge_implIS3_PdPS5_jNS1_19radix_merge_compareILb0ELb0EdNS0_19identity_decomposerEEEEE10hipError_tT0_T1_T2_jT3_P12ihipStream_tbPNSt15iterator_traitsISE_E10value_typeEPNSK_ISF_E10value_typeEPSG_NS1_7vsmem_tEENKUlT_SE_SF_SG_E_clIS8_S8_S9_S9_EESD_ST_SE_SF_SG_EUlST_E1_NS1_11comp_targetILNS1_3genE5ELNS1_11target_archE942ELNS1_3gpuE9ELNS1_3repE0EEENS1_36merge_oddeven_config_static_selectorELNS0_4arch9wavefront6targetE0EEEvSF_.private_seg_size, 0
	.set _ZN7rocprim17ROCPRIM_400000_NS6detail17trampoline_kernelINS0_14default_configENS1_38merge_sort_block_merge_config_selectorIdNS0_10empty_typeEEEZZNS1_27merge_sort_block_merge_implIS3_PdPS5_jNS1_19radix_merge_compareILb0ELb0EdNS0_19identity_decomposerEEEEE10hipError_tT0_T1_T2_jT3_P12ihipStream_tbPNSt15iterator_traitsISE_E10value_typeEPNSK_ISF_E10value_typeEPSG_NS1_7vsmem_tEENKUlT_SE_SF_SG_E_clIS8_S8_S9_S9_EESD_ST_SE_SF_SG_EUlST_E1_NS1_11comp_targetILNS1_3genE5ELNS1_11target_archE942ELNS1_3gpuE9ELNS1_3repE0EEENS1_36merge_oddeven_config_static_selectorELNS0_4arch9wavefront6targetE0EEEvSF_.uses_vcc, 0
	.set _ZN7rocprim17ROCPRIM_400000_NS6detail17trampoline_kernelINS0_14default_configENS1_38merge_sort_block_merge_config_selectorIdNS0_10empty_typeEEEZZNS1_27merge_sort_block_merge_implIS3_PdPS5_jNS1_19radix_merge_compareILb0ELb0EdNS0_19identity_decomposerEEEEE10hipError_tT0_T1_T2_jT3_P12ihipStream_tbPNSt15iterator_traitsISE_E10value_typeEPNSK_ISF_E10value_typeEPSG_NS1_7vsmem_tEENKUlT_SE_SF_SG_E_clIS8_S8_S9_S9_EESD_ST_SE_SF_SG_EUlST_E1_NS1_11comp_targetILNS1_3genE5ELNS1_11target_archE942ELNS1_3gpuE9ELNS1_3repE0EEENS1_36merge_oddeven_config_static_selectorELNS0_4arch9wavefront6targetE0EEEvSF_.uses_flat_scratch, 0
	.set _ZN7rocprim17ROCPRIM_400000_NS6detail17trampoline_kernelINS0_14default_configENS1_38merge_sort_block_merge_config_selectorIdNS0_10empty_typeEEEZZNS1_27merge_sort_block_merge_implIS3_PdPS5_jNS1_19radix_merge_compareILb0ELb0EdNS0_19identity_decomposerEEEEE10hipError_tT0_T1_T2_jT3_P12ihipStream_tbPNSt15iterator_traitsISE_E10value_typeEPNSK_ISF_E10value_typeEPSG_NS1_7vsmem_tEENKUlT_SE_SF_SG_E_clIS8_S8_S9_S9_EESD_ST_SE_SF_SG_EUlST_E1_NS1_11comp_targetILNS1_3genE5ELNS1_11target_archE942ELNS1_3gpuE9ELNS1_3repE0EEENS1_36merge_oddeven_config_static_selectorELNS0_4arch9wavefront6targetE0EEEvSF_.has_dyn_sized_stack, 0
	.set _ZN7rocprim17ROCPRIM_400000_NS6detail17trampoline_kernelINS0_14default_configENS1_38merge_sort_block_merge_config_selectorIdNS0_10empty_typeEEEZZNS1_27merge_sort_block_merge_implIS3_PdPS5_jNS1_19radix_merge_compareILb0ELb0EdNS0_19identity_decomposerEEEEE10hipError_tT0_T1_T2_jT3_P12ihipStream_tbPNSt15iterator_traitsISE_E10value_typeEPNSK_ISF_E10value_typeEPSG_NS1_7vsmem_tEENKUlT_SE_SF_SG_E_clIS8_S8_S9_S9_EESD_ST_SE_SF_SG_EUlST_E1_NS1_11comp_targetILNS1_3genE5ELNS1_11target_archE942ELNS1_3gpuE9ELNS1_3repE0EEENS1_36merge_oddeven_config_static_selectorELNS0_4arch9wavefront6targetE0EEEvSF_.has_recursion, 0
	.set _ZN7rocprim17ROCPRIM_400000_NS6detail17trampoline_kernelINS0_14default_configENS1_38merge_sort_block_merge_config_selectorIdNS0_10empty_typeEEEZZNS1_27merge_sort_block_merge_implIS3_PdPS5_jNS1_19radix_merge_compareILb0ELb0EdNS0_19identity_decomposerEEEEE10hipError_tT0_T1_T2_jT3_P12ihipStream_tbPNSt15iterator_traitsISE_E10value_typeEPNSK_ISF_E10value_typeEPSG_NS1_7vsmem_tEENKUlT_SE_SF_SG_E_clIS8_S8_S9_S9_EESD_ST_SE_SF_SG_EUlST_E1_NS1_11comp_targetILNS1_3genE5ELNS1_11target_archE942ELNS1_3gpuE9ELNS1_3repE0EEENS1_36merge_oddeven_config_static_selectorELNS0_4arch9wavefront6targetE0EEEvSF_.has_indirect_call, 0
	.section	.AMDGPU.csdata,"",@progbits
; Kernel info:
; codeLenInByte = 0
; TotalNumSgprs: 0
; NumVgprs: 0
; ScratchSize: 0
; MemoryBound: 0
; FloatMode: 240
; IeeeMode: 1
; LDSByteSize: 0 bytes/workgroup (compile time only)
; SGPRBlocks: 0
; VGPRBlocks: 0
; NumSGPRsForWavesPerEU: 1
; NumVGPRsForWavesPerEU: 1
; NamedBarCnt: 0
; Occupancy: 16
; WaveLimiterHint : 0
; COMPUTE_PGM_RSRC2:SCRATCH_EN: 0
; COMPUTE_PGM_RSRC2:USER_SGPR: 2
; COMPUTE_PGM_RSRC2:TRAP_HANDLER: 0
; COMPUTE_PGM_RSRC2:TGID_X_EN: 1
; COMPUTE_PGM_RSRC2:TGID_Y_EN: 0
; COMPUTE_PGM_RSRC2:TGID_Z_EN: 0
; COMPUTE_PGM_RSRC2:TIDIG_COMP_CNT: 0
	.section	.text._ZN7rocprim17ROCPRIM_400000_NS6detail17trampoline_kernelINS0_14default_configENS1_38merge_sort_block_merge_config_selectorIdNS0_10empty_typeEEEZZNS1_27merge_sort_block_merge_implIS3_PdPS5_jNS1_19radix_merge_compareILb0ELb0EdNS0_19identity_decomposerEEEEE10hipError_tT0_T1_T2_jT3_P12ihipStream_tbPNSt15iterator_traitsISE_E10value_typeEPNSK_ISF_E10value_typeEPSG_NS1_7vsmem_tEENKUlT_SE_SF_SG_E_clIS8_S8_S9_S9_EESD_ST_SE_SF_SG_EUlST_E1_NS1_11comp_targetILNS1_3genE4ELNS1_11target_archE910ELNS1_3gpuE8ELNS1_3repE0EEENS1_36merge_oddeven_config_static_selectorELNS0_4arch9wavefront6targetE0EEEvSF_,"axG",@progbits,_ZN7rocprim17ROCPRIM_400000_NS6detail17trampoline_kernelINS0_14default_configENS1_38merge_sort_block_merge_config_selectorIdNS0_10empty_typeEEEZZNS1_27merge_sort_block_merge_implIS3_PdPS5_jNS1_19radix_merge_compareILb0ELb0EdNS0_19identity_decomposerEEEEE10hipError_tT0_T1_T2_jT3_P12ihipStream_tbPNSt15iterator_traitsISE_E10value_typeEPNSK_ISF_E10value_typeEPSG_NS1_7vsmem_tEENKUlT_SE_SF_SG_E_clIS8_S8_S9_S9_EESD_ST_SE_SF_SG_EUlST_E1_NS1_11comp_targetILNS1_3genE4ELNS1_11target_archE910ELNS1_3gpuE8ELNS1_3repE0EEENS1_36merge_oddeven_config_static_selectorELNS0_4arch9wavefront6targetE0EEEvSF_,comdat
	.protected	_ZN7rocprim17ROCPRIM_400000_NS6detail17trampoline_kernelINS0_14default_configENS1_38merge_sort_block_merge_config_selectorIdNS0_10empty_typeEEEZZNS1_27merge_sort_block_merge_implIS3_PdPS5_jNS1_19radix_merge_compareILb0ELb0EdNS0_19identity_decomposerEEEEE10hipError_tT0_T1_T2_jT3_P12ihipStream_tbPNSt15iterator_traitsISE_E10value_typeEPNSK_ISF_E10value_typeEPSG_NS1_7vsmem_tEENKUlT_SE_SF_SG_E_clIS8_S8_S9_S9_EESD_ST_SE_SF_SG_EUlST_E1_NS1_11comp_targetILNS1_3genE4ELNS1_11target_archE910ELNS1_3gpuE8ELNS1_3repE0EEENS1_36merge_oddeven_config_static_selectorELNS0_4arch9wavefront6targetE0EEEvSF_ ; -- Begin function _ZN7rocprim17ROCPRIM_400000_NS6detail17trampoline_kernelINS0_14default_configENS1_38merge_sort_block_merge_config_selectorIdNS0_10empty_typeEEEZZNS1_27merge_sort_block_merge_implIS3_PdPS5_jNS1_19radix_merge_compareILb0ELb0EdNS0_19identity_decomposerEEEEE10hipError_tT0_T1_T2_jT3_P12ihipStream_tbPNSt15iterator_traitsISE_E10value_typeEPNSK_ISF_E10value_typeEPSG_NS1_7vsmem_tEENKUlT_SE_SF_SG_E_clIS8_S8_S9_S9_EESD_ST_SE_SF_SG_EUlST_E1_NS1_11comp_targetILNS1_3genE4ELNS1_11target_archE910ELNS1_3gpuE8ELNS1_3repE0EEENS1_36merge_oddeven_config_static_selectorELNS0_4arch9wavefront6targetE0EEEvSF_
	.globl	_ZN7rocprim17ROCPRIM_400000_NS6detail17trampoline_kernelINS0_14default_configENS1_38merge_sort_block_merge_config_selectorIdNS0_10empty_typeEEEZZNS1_27merge_sort_block_merge_implIS3_PdPS5_jNS1_19radix_merge_compareILb0ELb0EdNS0_19identity_decomposerEEEEE10hipError_tT0_T1_T2_jT3_P12ihipStream_tbPNSt15iterator_traitsISE_E10value_typeEPNSK_ISF_E10value_typeEPSG_NS1_7vsmem_tEENKUlT_SE_SF_SG_E_clIS8_S8_S9_S9_EESD_ST_SE_SF_SG_EUlST_E1_NS1_11comp_targetILNS1_3genE4ELNS1_11target_archE910ELNS1_3gpuE8ELNS1_3repE0EEENS1_36merge_oddeven_config_static_selectorELNS0_4arch9wavefront6targetE0EEEvSF_
	.p2align	8
	.type	_ZN7rocprim17ROCPRIM_400000_NS6detail17trampoline_kernelINS0_14default_configENS1_38merge_sort_block_merge_config_selectorIdNS0_10empty_typeEEEZZNS1_27merge_sort_block_merge_implIS3_PdPS5_jNS1_19radix_merge_compareILb0ELb0EdNS0_19identity_decomposerEEEEE10hipError_tT0_T1_T2_jT3_P12ihipStream_tbPNSt15iterator_traitsISE_E10value_typeEPNSK_ISF_E10value_typeEPSG_NS1_7vsmem_tEENKUlT_SE_SF_SG_E_clIS8_S8_S9_S9_EESD_ST_SE_SF_SG_EUlST_E1_NS1_11comp_targetILNS1_3genE4ELNS1_11target_archE910ELNS1_3gpuE8ELNS1_3repE0EEENS1_36merge_oddeven_config_static_selectorELNS0_4arch9wavefront6targetE0EEEvSF_,@function
_ZN7rocprim17ROCPRIM_400000_NS6detail17trampoline_kernelINS0_14default_configENS1_38merge_sort_block_merge_config_selectorIdNS0_10empty_typeEEEZZNS1_27merge_sort_block_merge_implIS3_PdPS5_jNS1_19radix_merge_compareILb0ELb0EdNS0_19identity_decomposerEEEEE10hipError_tT0_T1_T2_jT3_P12ihipStream_tbPNSt15iterator_traitsISE_E10value_typeEPNSK_ISF_E10value_typeEPSG_NS1_7vsmem_tEENKUlT_SE_SF_SG_E_clIS8_S8_S9_S9_EESD_ST_SE_SF_SG_EUlST_E1_NS1_11comp_targetILNS1_3genE4ELNS1_11target_archE910ELNS1_3gpuE8ELNS1_3repE0EEENS1_36merge_oddeven_config_static_selectorELNS0_4arch9wavefront6targetE0EEEvSF_: ; @_ZN7rocprim17ROCPRIM_400000_NS6detail17trampoline_kernelINS0_14default_configENS1_38merge_sort_block_merge_config_selectorIdNS0_10empty_typeEEEZZNS1_27merge_sort_block_merge_implIS3_PdPS5_jNS1_19radix_merge_compareILb0ELb0EdNS0_19identity_decomposerEEEEE10hipError_tT0_T1_T2_jT3_P12ihipStream_tbPNSt15iterator_traitsISE_E10value_typeEPNSK_ISF_E10value_typeEPSG_NS1_7vsmem_tEENKUlT_SE_SF_SG_E_clIS8_S8_S9_S9_EESD_ST_SE_SF_SG_EUlST_E1_NS1_11comp_targetILNS1_3genE4ELNS1_11target_archE910ELNS1_3gpuE8ELNS1_3repE0EEENS1_36merge_oddeven_config_static_selectorELNS0_4arch9wavefront6targetE0EEEvSF_
; %bb.0:
	.section	.rodata,"a",@progbits
	.p2align	6, 0x0
	.amdhsa_kernel _ZN7rocprim17ROCPRIM_400000_NS6detail17trampoline_kernelINS0_14default_configENS1_38merge_sort_block_merge_config_selectorIdNS0_10empty_typeEEEZZNS1_27merge_sort_block_merge_implIS3_PdPS5_jNS1_19radix_merge_compareILb0ELb0EdNS0_19identity_decomposerEEEEE10hipError_tT0_T1_T2_jT3_P12ihipStream_tbPNSt15iterator_traitsISE_E10value_typeEPNSK_ISF_E10value_typeEPSG_NS1_7vsmem_tEENKUlT_SE_SF_SG_E_clIS8_S8_S9_S9_EESD_ST_SE_SF_SG_EUlST_E1_NS1_11comp_targetILNS1_3genE4ELNS1_11target_archE910ELNS1_3gpuE8ELNS1_3repE0EEENS1_36merge_oddeven_config_static_selectorELNS0_4arch9wavefront6targetE0EEEvSF_
		.amdhsa_group_segment_fixed_size 0
		.amdhsa_private_segment_fixed_size 0
		.amdhsa_kernarg_size 48
		.amdhsa_user_sgpr_count 2
		.amdhsa_user_sgpr_dispatch_ptr 0
		.amdhsa_user_sgpr_queue_ptr 0
		.amdhsa_user_sgpr_kernarg_segment_ptr 1
		.amdhsa_user_sgpr_dispatch_id 0
		.amdhsa_user_sgpr_kernarg_preload_length 0
		.amdhsa_user_sgpr_kernarg_preload_offset 0
		.amdhsa_user_sgpr_private_segment_size 0
		.amdhsa_wavefront_size32 1
		.amdhsa_uses_dynamic_stack 0
		.amdhsa_enable_private_segment 0
		.amdhsa_system_sgpr_workgroup_id_x 1
		.amdhsa_system_sgpr_workgroup_id_y 0
		.amdhsa_system_sgpr_workgroup_id_z 0
		.amdhsa_system_sgpr_workgroup_info 0
		.amdhsa_system_vgpr_workitem_id 0
		.amdhsa_next_free_vgpr 1
		.amdhsa_next_free_sgpr 1
		.amdhsa_named_barrier_count 0
		.amdhsa_reserve_vcc 0
		.amdhsa_float_round_mode_32 0
		.amdhsa_float_round_mode_16_64 0
		.amdhsa_float_denorm_mode_32 3
		.amdhsa_float_denorm_mode_16_64 3
		.amdhsa_fp16_overflow 0
		.amdhsa_memory_ordered 1
		.amdhsa_forward_progress 1
		.amdhsa_inst_pref_size 0
		.amdhsa_round_robin_scheduling 0
		.amdhsa_exception_fp_ieee_invalid_op 0
		.amdhsa_exception_fp_denorm_src 0
		.amdhsa_exception_fp_ieee_div_zero 0
		.amdhsa_exception_fp_ieee_overflow 0
		.amdhsa_exception_fp_ieee_underflow 0
		.amdhsa_exception_fp_ieee_inexact 0
		.amdhsa_exception_int_div_zero 0
	.end_amdhsa_kernel
	.section	.text._ZN7rocprim17ROCPRIM_400000_NS6detail17trampoline_kernelINS0_14default_configENS1_38merge_sort_block_merge_config_selectorIdNS0_10empty_typeEEEZZNS1_27merge_sort_block_merge_implIS3_PdPS5_jNS1_19radix_merge_compareILb0ELb0EdNS0_19identity_decomposerEEEEE10hipError_tT0_T1_T2_jT3_P12ihipStream_tbPNSt15iterator_traitsISE_E10value_typeEPNSK_ISF_E10value_typeEPSG_NS1_7vsmem_tEENKUlT_SE_SF_SG_E_clIS8_S8_S9_S9_EESD_ST_SE_SF_SG_EUlST_E1_NS1_11comp_targetILNS1_3genE4ELNS1_11target_archE910ELNS1_3gpuE8ELNS1_3repE0EEENS1_36merge_oddeven_config_static_selectorELNS0_4arch9wavefront6targetE0EEEvSF_,"axG",@progbits,_ZN7rocprim17ROCPRIM_400000_NS6detail17trampoline_kernelINS0_14default_configENS1_38merge_sort_block_merge_config_selectorIdNS0_10empty_typeEEEZZNS1_27merge_sort_block_merge_implIS3_PdPS5_jNS1_19radix_merge_compareILb0ELb0EdNS0_19identity_decomposerEEEEE10hipError_tT0_T1_T2_jT3_P12ihipStream_tbPNSt15iterator_traitsISE_E10value_typeEPNSK_ISF_E10value_typeEPSG_NS1_7vsmem_tEENKUlT_SE_SF_SG_E_clIS8_S8_S9_S9_EESD_ST_SE_SF_SG_EUlST_E1_NS1_11comp_targetILNS1_3genE4ELNS1_11target_archE910ELNS1_3gpuE8ELNS1_3repE0EEENS1_36merge_oddeven_config_static_selectorELNS0_4arch9wavefront6targetE0EEEvSF_,comdat
.Lfunc_end1582:
	.size	_ZN7rocprim17ROCPRIM_400000_NS6detail17trampoline_kernelINS0_14default_configENS1_38merge_sort_block_merge_config_selectorIdNS0_10empty_typeEEEZZNS1_27merge_sort_block_merge_implIS3_PdPS5_jNS1_19radix_merge_compareILb0ELb0EdNS0_19identity_decomposerEEEEE10hipError_tT0_T1_T2_jT3_P12ihipStream_tbPNSt15iterator_traitsISE_E10value_typeEPNSK_ISF_E10value_typeEPSG_NS1_7vsmem_tEENKUlT_SE_SF_SG_E_clIS8_S8_S9_S9_EESD_ST_SE_SF_SG_EUlST_E1_NS1_11comp_targetILNS1_3genE4ELNS1_11target_archE910ELNS1_3gpuE8ELNS1_3repE0EEENS1_36merge_oddeven_config_static_selectorELNS0_4arch9wavefront6targetE0EEEvSF_, .Lfunc_end1582-_ZN7rocprim17ROCPRIM_400000_NS6detail17trampoline_kernelINS0_14default_configENS1_38merge_sort_block_merge_config_selectorIdNS0_10empty_typeEEEZZNS1_27merge_sort_block_merge_implIS3_PdPS5_jNS1_19radix_merge_compareILb0ELb0EdNS0_19identity_decomposerEEEEE10hipError_tT0_T1_T2_jT3_P12ihipStream_tbPNSt15iterator_traitsISE_E10value_typeEPNSK_ISF_E10value_typeEPSG_NS1_7vsmem_tEENKUlT_SE_SF_SG_E_clIS8_S8_S9_S9_EESD_ST_SE_SF_SG_EUlST_E1_NS1_11comp_targetILNS1_3genE4ELNS1_11target_archE910ELNS1_3gpuE8ELNS1_3repE0EEENS1_36merge_oddeven_config_static_selectorELNS0_4arch9wavefront6targetE0EEEvSF_
                                        ; -- End function
	.set _ZN7rocprim17ROCPRIM_400000_NS6detail17trampoline_kernelINS0_14default_configENS1_38merge_sort_block_merge_config_selectorIdNS0_10empty_typeEEEZZNS1_27merge_sort_block_merge_implIS3_PdPS5_jNS1_19radix_merge_compareILb0ELb0EdNS0_19identity_decomposerEEEEE10hipError_tT0_T1_T2_jT3_P12ihipStream_tbPNSt15iterator_traitsISE_E10value_typeEPNSK_ISF_E10value_typeEPSG_NS1_7vsmem_tEENKUlT_SE_SF_SG_E_clIS8_S8_S9_S9_EESD_ST_SE_SF_SG_EUlST_E1_NS1_11comp_targetILNS1_3genE4ELNS1_11target_archE910ELNS1_3gpuE8ELNS1_3repE0EEENS1_36merge_oddeven_config_static_selectorELNS0_4arch9wavefront6targetE0EEEvSF_.num_vgpr, 0
	.set _ZN7rocprim17ROCPRIM_400000_NS6detail17trampoline_kernelINS0_14default_configENS1_38merge_sort_block_merge_config_selectorIdNS0_10empty_typeEEEZZNS1_27merge_sort_block_merge_implIS3_PdPS5_jNS1_19radix_merge_compareILb0ELb0EdNS0_19identity_decomposerEEEEE10hipError_tT0_T1_T2_jT3_P12ihipStream_tbPNSt15iterator_traitsISE_E10value_typeEPNSK_ISF_E10value_typeEPSG_NS1_7vsmem_tEENKUlT_SE_SF_SG_E_clIS8_S8_S9_S9_EESD_ST_SE_SF_SG_EUlST_E1_NS1_11comp_targetILNS1_3genE4ELNS1_11target_archE910ELNS1_3gpuE8ELNS1_3repE0EEENS1_36merge_oddeven_config_static_selectorELNS0_4arch9wavefront6targetE0EEEvSF_.num_agpr, 0
	.set _ZN7rocprim17ROCPRIM_400000_NS6detail17trampoline_kernelINS0_14default_configENS1_38merge_sort_block_merge_config_selectorIdNS0_10empty_typeEEEZZNS1_27merge_sort_block_merge_implIS3_PdPS5_jNS1_19radix_merge_compareILb0ELb0EdNS0_19identity_decomposerEEEEE10hipError_tT0_T1_T2_jT3_P12ihipStream_tbPNSt15iterator_traitsISE_E10value_typeEPNSK_ISF_E10value_typeEPSG_NS1_7vsmem_tEENKUlT_SE_SF_SG_E_clIS8_S8_S9_S9_EESD_ST_SE_SF_SG_EUlST_E1_NS1_11comp_targetILNS1_3genE4ELNS1_11target_archE910ELNS1_3gpuE8ELNS1_3repE0EEENS1_36merge_oddeven_config_static_selectorELNS0_4arch9wavefront6targetE0EEEvSF_.numbered_sgpr, 0
	.set _ZN7rocprim17ROCPRIM_400000_NS6detail17trampoline_kernelINS0_14default_configENS1_38merge_sort_block_merge_config_selectorIdNS0_10empty_typeEEEZZNS1_27merge_sort_block_merge_implIS3_PdPS5_jNS1_19radix_merge_compareILb0ELb0EdNS0_19identity_decomposerEEEEE10hipError_tT0_T1_T2_jT3_P12ihipStream_tbPNSt15iterator_traitsISE_E10value_typeEPNSK_ISF_E10value_typeEPSG_NS1_7vsmem_tEENKUlT_SE_SF_SG_E_clIS8_S8_S9_S9_EESD_ST_SE_SF_SG_EUlST_E1_NS1_11comp_targetILNS1_3genE4ELNS1_11target_archE910ELNS1_3gpuE8ELNS1_3repE0EEENS1_36merge_oddeven_config_static_selectorELNS0_4arch9wavefront6targetE0EEEvSF_.num_named_barrier, 0
	.set _ZN7rocprim17ROCPRIM_400000_NS6detail17trampoline_kernelINS0_14default_configENS1_38merge_sort_block_merge_config_selectorIdNS0_10empty_typeEEEZZNS1_27merge_sort_block_merge_implIS3_PdPS5_jNS1_19radix_merge_compareILb0ELb0EdNS0_19identity_decomposerEEEEE10hipError_tT0_T1_T2_jT3_P12ihipStream_tbPNSt15iterator_traitsISE_E10value_typeEPNSK_ISF_E10value_typeEPSG_NS1_7vsmem_tEENKUlT_SE_SF_SG_E_clIS8_S8_S9_S9_EESD_ST_SE_SF_SG_EUlST_E1_NS1_11comp_targetILNS1_3genE4ELNS1_11target_archE910ELNS1_3gpuE8ELNS1_3repE0EEENS1_36merge_oddeven_config_static_selectorELNS0_4arch9wavefront6targetE0EEEvSF_.private_seg_size, 0
	.set _ZN7rocprim17ROCPRIM_400000_NS6detail17trampoline_kernelINS0_14default_configENS1_38merge_sort_block_merge_config_selectorIdNS0_10empty_typeEEEZZNS1_27merge_sort_block_merge_implIS3_PdPS5_jNS1_19radix_merge_compareILb0ELb0EdNS0_19identity_decomposerEEEEE10hipError_tT0_T1_T2_jT3_P12ihipStream_tbPNSt15iterator_traitsISE_E10value_typeEPNSK_ISF_E10value_typeEPSG_NS1_7vsmem_tEENKUlT_SE_SF_SG_E_clIS8_S8_S9_S9_EESD_ST_SE_SF_SG_EUlST_E1_NS1_11comp_targetILNS1_3genE4ELNS1_11target_archE910ELNS1_3gpuE8ELNS1_3repE0EEENS1_36merge_oddeven_config_static_selectorELNS0_4arch9wavefront6targetE0EEEvSF_.uses_vcc, 0
	.set _ZN7rocprim17ROCPRIM_400000_NS6detail17trampoline_kernelINS0_14default_configENS1_38merge_sort_block_merge_config_selectorIdNS0_10empty_typeEEEZZNS1_27merge_sort_block_merge_implIS3_PdPS5_jNS1_19radix_merge_compareILb0ELb0EdNS0_19identity_decomposerEEEEE10hipError_tT0_T1_T2_jT3_P12ihipStream_tbPNSt15iterator_traitsISE_E10value_typeEPNSK_ISF_E10value_typeEPSG_NS1_7vsmem_tEENKUlT_SE_SF_SG_E_clIS8_S8_S9_S9_EESD_ST_SE_SF_SG_EUlST_E1_NS1_11comp_targetILNS1_3genE4ELNS1_11target_archE910ELNS1_3gpuE8ELNS1_3repE0EEENS1_36merge_oddeven_config_static_selectorELNS0_4arch9wavefront6targetE0EEEvSF_.uses_flat_scratch, 0
	.set _ZN7rocprim17ROCPRIM_400000_NS6detail17trampoline_kernelINS0_14default_configENS1_38merge_sort_block_merge_config_selectorIdNS0_10empty_typeEEEZZNS1_27merge_sort_block_merge_implIS3_PdPS5_jNS1_19radix_merge_compareILb0ELb0EdNS0_19identity_decomposerEEEEE10hipError_tT0_T1_T2_jT3_P12ihipStream_tbPNSt15iterator_traitsISE_E10value_typeEPNSK_ISF_E10value_typeEPSG_NS1_7vsmem_tEENKUlT_SE_SF_SG_E_clIS8_S8_S9_S9_EESD_ST_SE_SF_SG_EUlST_E1_NS1_11comp_targetILNS1_3genE4ELNS1_11target_archE910ELNS1_3gpuE8ELNS1_3repE0EEENS1_36merge_oddeven_config_static_selectorELNS0_4arch9wavefront6targetE0EEEvSF_.has_dyn_sized_stack, 0
	.set _ZN7rocprim17ROCPRIM_400000_NS6detail17trampoline_kernelINS0_14default_configENS1_38merge_sort_block_merge_config_selectorIdNS0_10empty_typeEEEZZNS1_27merge_sort_block_merge_implIS3_PdPS5_jNS1_19radix_merge_compareILb0ELb0EdNS0_19identity_decomposerEEEEE10hipError_tT0_T1_T2_jT3_P12ihipStream_tbPNSt15iterator_traitsISE_E10value_typeEPNSK_ISF_E10value_typeEPSG_NS1_7vsmem_tEENKUlT_SE_SF_SG_E_clIS8_S8_S9_S9_EESD_ST_SE_SF_SG_EUlST_E1_NS1_11comp_targetILNS1_3genE4ELNS1_11target_archE910ELNS1_3gpuE8ELNS1_3repE0EEENS1_36merge_oddeven_config_static_selectorELNS0_4arch9wavefront6targetE0EEEvSF_.has_recursion, 0
	.set _ZN7rocprim17ROCPRIM_400000_NS6detail17trampoline_kernelINS0_14default_configENS1_38merge_sort_block_merge_config_selectorIdNS0_10empty_typeEEEZZNS1_27merge_sort_block_merge_implIS3_PdPS5_jNS1_19radix_merge_compareILb0ELb0EdNS0_19identity_decomposerEEEEE10hipError_tT0_T1_T2_jT3_P12ihipStream_tbPNSt15iterator_traitsISE_E10value_typeEPNSK_ISF_E10value_typeEPSG_NS1_7vsmem_tEENKUlT_SE_SF_SG_E_clIS8_S8_S9_S9_EESD_ST_SE_SF_SG_EUlST_E1_NS1_11comp_targetILNS1_3genE4ELNS1_11target_archE910ELNS1_3gpuE8ELNS1_3repE0EEENS1_36merge_oddeven_config_static_selectorELNS0_4arch9wavefront6targetE0EEEvSF_.has_indirect_call, 0
	.section	.AMDGPU.csdata,"",@progbits
; Kernel info:
; codeLenInByte = 0
; TotalNumSgprs: 0
; NumVgprs: 0
; ScratchSize: 0
; MemoryBound: 0
; FloatMode: 240
; IeeeMode: 1
; LDSByteSize: 0 bytes/workgroup (compile time only)
; SGPRBlocks: 0
; VGPRBlocks: 0
; NumSGPRsForWavesPerEU: 1
; NumVGPRsForWavesPerEU: 1
; NamedBarCnt: 0
; Occupancy: 16
; WaveLimiterHint : 0
; COMPUTE_PGM_RSRC2:SCRATCH_EN: 0
; COMPUTE_PGM_RSRC2:USER_SGPR: 2
; COMPUTE_PGM_RSRC2:TRAP_HANDLER: 0
; COMPUTE_PGM_RSRC2:TGID_X_EN: 1
; COMPUTE_PGM_RSRC2:TGID_Y_EN: 0
; COMPUTE_PGM_RSRC2:TGID_Z_EN: 0
; COMPUTE_PGM_RSRC2:TIDIG_COMP_CNT: 0
	.section	.text._ZN7rocprim17ROCPRIM_400000_NS6detail17trampoline_kernelINS0_14default_configENS1_38merge_sort_block_merge_config_selectorIdNS0_10empty_typeEEEZZNS1_27merge_sort_block_merge_implIS3_PdPS5_jNS1_19radix_merge_compareILb0ELb0EdNS0_19identity_decomposerEEEEE10hipError_tT0_T1_T2_jT3_P12ihipStream_tbPNSt15iterator_traitsISE_E10value_typeEPNSK_ISF_E10value_typeEPSG_NS1_7vsmem_tEENKUlT_SE_SF_SG_E_clIS8_S8_S9_S9_EESD_ST_SE_SF_SG_EUlST_E1_NS1_11comp_targetILNS1_3genE3ELNS1_11target_archE908ELNS1_3gpuE7ELNS1_3repE0EEENS1_36merge_oddeven_config_static_selectorELNS0_4arch9wavefront6targetE0EEEvSF_,"axG",@progbits,_ZN7rocprim17ROCPRIM_400000_NS6detail17trampoline_kernelINS0_14default_configENS1_38merge_sort_block_merge_config_selectorIdNS0_10empty_typeEEEZZNS1_27merge_sort_block_merge_implIS3_PdPS5_jNS1_19radix_merge_compareILb0ELb0EdNS0_19identity_decomposerEEEEE10hipError_tT0_T1_T2_jT3_P12ihipStream_tbPNSt15iterator_traitsISE_E10value_typeEPNSK_ISF_E10value_typeEPSG_NS1_7vsmem_tEENKUlT_SE_SF_SG_E_clIS8_S8_S9_S9_EESD_ST_SE_SF_SG_EUlST_E1_NS1_11comp_targetILNS1_3genE3ELNS1_11target_archE908ELNS1_3gpuE7ELNS1_3repE0EEENS1_36merge_oddeven_config_static_selectorELNS0_4arch9wavefront6targetE0EEEvSF_,comdat
	.protected	_ZN7rocprim17ROCPRIM_400000_NS6detail17trampoline_kernelINS0_14default_configENS1_38merge_sort_block_merge_config_selectorIdNS0_10empty_typeEEEZZNS1_27merge_sort_block_merge_implIS3_PdPS5_jNS1_19radix_merge_compareILb0ELb0EdNS0_19identity_decomposerEEEEE10hipError_tT0_T1_T2_jT3_P12ihipStream_tbPNSt15iterator_traitsISE_E10value_typeEPNSK_ISF_E10value_typeEPSG_NS1_7vsmem_tEENKUlT_SE_SF_SG_E_clIS8_S8_S9_S9_EESD_ST_SE_SF_SG_EUlST_E1_NS1_11comp_targetILNS1_3genE3ELNS1_11target_archE908ELNS1_3gpuE7ELNS1_3repE0EEENS1_36merge_oddeven_config_static_selectorELNS0_4arch9wavefront6targetE0EEEvSF_ ; -- Begin function _ZN7rocprim17ROCPRIM_400000_NS6detail17trampoline_kernelINS0_14default_configENS1_38merge_sort_block_merge_config_selectorIdNS0_10empty_typeEEEZZNS1_27merge_sort_block_merge_implIS3_PdPS5_jNS1_19radix_merge_compareILb0ELb0EdNS0_19identity_decomposerEEEEE10hipError_tT0_T1_T2_jT3_P12ihipStream_tbPNSt15iterator_traitsISE_E10value_typeEPNSK_ISF_E10value_typeEPSG_NS1_7vsmem_tEENKUlT_SE_SF_SG_E_clIS8_S8_S9_S9_EESD_ST_SE_SF_SG_EUlST_E1_NS1_11comp_targetILNS1_3genE3ELNS1_11target_archE908ELNS1_3gpuE7ELNS1_3repE0EEENS1_36merge_oddeven_config_static_selectorELNS0_4arch9wavefront6targetE0EEEvSF_
	.globl	_ZN7rocprim17ROCPRIM_400000_NS6detail17trampoline_kernelINS0_14default_configENS1_38merge_sort_block_merge_config_selectorIdNS0_10empty_typeEEEZZNS1_27merge_sort_block_merge_implIS3_PdPS5_jNS1_19radix_merge_compareILb0ELb0EdNS0_19identity_decomposerEEEEE10hipError_tT0_T1_T2_jT3_P12ihipStream_tbPNSt15iterator_traitsISE_E10value_typeEPNSK_ISF_E10value_typeEPSG_NS1_7vsmem_tEENKUlT_SE_SF_SG_E_clIS8_S8_S9_S9_EESD_ST_SE_SF_SG_EUlST_E1_NS1_11comp_targetILNS1_3genE3ELNS1_11target_archE908ELNS1_3gpuE7ELNS1_3repE0EEENS1_36merge_oddeven_config_static_selectorELNS0_4arch9wavefront6targetE0EEEvSF_
	.p2align	8
	.type	_ZN7rocprim17ROCPRIM_400000_NS6detail17trampoline_kernelINS0_14default_configENS1_38merge_sort_block_merge_config_selectorIdNS0_10empty_typeEEEZZNS1_27merge_sort_block_merge_implIS3_PdPS5_jNS1_19radix_merge_compareILb0ELb0EdNS0_19identity_decomposerEEEEE10hipError_tT0_T1_T2_jT3_P12ihipStream_tbPNSt15iterator_traitsISE_E10value_typeEPNSK_ISF_E10value_typeEPSG_NS1_7vsmem_tEENKUlT_SE_SF_SG_E_clIS8_S8_S9_S9_EESD_ST_SE_SF_SG_EUlST_E1_NS1_11comp_targetILNS1_3genE3ELNS1_11target_archE908ELNS1_3gpuE7ELNS1_3repE0EEENS1_36merge_oddeven_config_static_selectorELNS0_4arch9wavefront6targetE0EEEvSF_,@function
_ZN7rocprim17ROCPRIM_400000_NS6detail17trampoline_kernelINS0_14default_configENS1_38merge_sort_block_merge_config_selectorIdNS0_10empty_typeEEEZZNS1_27merge_sort_block_merge_implIS3_PdPS5_jNS1_19radix_merge_compareILb0ELb0EdNS0_19identity_decomposerEEEEE10hipError_tT0_T1_T2_jT3_P12ihipStream_tbPNSt15iterator_traitsISE_E10value_typeEPNSK_ISF_E10value_typeEPSG_NS1_7vsmem_tEENKUlT_SE_SF_SG_E_clIS8_S8_S9_S9_EESD_ST_SE_SF_SG_EUlST_E1_NS1_11comp_targetILNS1_3genE3ELNS1_11target_archE908ELNS1_3gpuE7ELNS1_3repE0EEENS1_36merge_oddeven_config_static_selectorELNS0_4arch9wavefront6targetE0EEEvSF_: ; @_ZN7rocprim17ROCPRIM_400000_NS6detail17trampoline_kernelINS0_14default_configENS1_38merge_sort_block_merge_config_selectorIdNS0_10empty_typeEEEZZNS1_27merge_sort_block_merge_implIS3_PdPS5_jNS1_19radix_merge_compareILb0ELb0EdNS0_19identity_decomposerEEEEE10hipError_tT0_T1_T2_jT3_P12ihipStream_tbPNSt15iterator_traitsISE_E10value_typeEPNSK_ISF_E10value_typeEPSG_NS1_7vsmem_tEENKUlT_SE_SF_SG_E_clIS8_S8_S9_S9_EESD_ST_SE_SF_SG_EUlST_E1_NS1_11comp_targetILNS1_3genE3ELNS1_11target_archE908ELNS1_3gpuE7ELNS1_3repE0EEENS1_36merge_oddeven_config_static_selectorELNS0_4arch9wavefront6targetE0EEEvSF_
; %bb.0:
	.section	.rodata,"a",@progbits
	.p2align	6, 0x0
	.amdhsa_kernel _ZN7rocprim17ROCPRIM_400000_NS6detail17trampoline_kernelINS0_14default_configENS1_38merge_sort_block_merge_config_selectorIdNS0_10empty_typeEEEZZNS1_27merge_sort_block_merge_implIS3_PdPS5_jNS1_19radix_merge_compareILb0ELb0EdNS0_19identity_decomposerEEEEE10hipError_tT0_T1_T2_jT3_P12ihipStream_tbPNSt15iterator_traitsISE_E10value_typeEPNSK_ISF_E10value_typeEPSG_NS1_7vsmem_tEENKUlT_SE_SF_SG_E_clIS8_S8_S9_S9_EESD_ST_SE_SF_SG_EUlST_E1_NS1_11comp_targetILNS1_3genE3ELNS1_11target_archE908ELNS1_3gpuE7ELNS1_3repE0EEENS1_36merge_oddeven_config_static_selectorELNS0_4arch9wavefront6targetE0EEEvSF_
		.amdhsa_group_segment_fixed_size 0
		.amdhsa_private_segment_fixed_size 0
		.amdhsa_kernarg_size 48
		.amdhsa_user_sgpr_count 2
		.amdhsa_user_sgpr_dispatch_ptr 0
		.amdhsa_user_sgpr_queue_ptr 0
		.amdhsa_user_sgpr_kernarg_segment_ptr 1
		.amdhsa_user_sgpr_dispatch_id 0
		.amdhsa_user_sgpr_kernarg_preload_length 0
		.amdhsa_user_sgpr_kernarg_preload_offset 0
		.amdhsa_user_sgpr_private_segment_size 0
		.amdhsa_wavefront_size32 1
		.amdhsa_uses_dynamic_stack 0
		.amdhsa_enable_private_segment 0
		.amdhsa_system_sgpr_workgroup_id_x 1
		.amdhsa_system_sgpr_workgroup_id_y 0
		.amdhsa_system_sgpr_workgroup_id_z 0
		.amdhsa_system_sgpr_workgroup_info 0
		.amdhsa_system_vgpr_workitem_id 0
		.amdhsa_next_free_vgpr 1
		.amdhsa_next_free_sgpr 1
		.amdhsa_named_barrier_count 0
		.amdhsa_reserve_vcc 0
		.amdhsa_float_round_mode_32 0
		.amdhsa_float_round_mode_16_64 0
		.amdhsa_float_denorm_mode_32 3
		.amdhsa_float_denorm_mode_16_64 3
		.amdhsa_fp16_overflow 0
		.amdhsa_memory_ordered 1
		.amdhsa_forward_progress 1
		.amdhsa_inst_pref_size 0
		.amdhsa_round_robin_scheduling 0
		.amdhsa_exception_fp_ieee_invalid_op 0
		.amdhsa_exception_fp_denorm_src 0
		.amdhsa_exception_fp_ieee_div_zero 0
		.amdhsa_exception_fp_ieee_overflow 0
		.amdhsa_exception_fp_ieee_underflow 0
		.amdhsa_exception_fp_ieee_inexact 0
		.amdhsa_exception_int_div_zero 0
	.end_amdhsa_kernel
	.section	.text._ZN7rocprim17ROCPRIM_400000_NS6detail17trampoline_kernelINS0_14default_configENS1_38merge_sort_block_merge_config_selectorIdNS0_10empty_typeEEEZZNS1_27merge_sort_block_merge_implIS3_PdPS5_jNS1_19radix_merge_compareILb0ELb0EdNS0_19identity_decomposerEEEEE10hipError_tT0_T1_T2_jT3_P12ihipStream_tbPNSt15iterator_traitsISE_E10value_typeEPNSK_ISF_E10value_typeEPSG_NS1_7vsmem_tEENKUlT_SE_SF_SG_E_clIS8_S8_S9_S9_EESD_ST_SE_SF_SG_EUlST_E1_NS1_11comp_targetILNS1_3genE3ELNS1_11target_archE908ELNS1_3gpuE7ELNS1_3repE0EEENS1_36merge_oddeven_config_static_selectorELNS0_4arch9wavefront6targetE0EEEvSF_,"axG",@progbits,_ZN7rocprim17ROCPRIM_400000_NS6detail17trampoline_kernelINS0_14default_configENS1_38merge_sort_block_merge_config_selectorIdNS0_10empty_typeEEEZZNS1_27merge_sort_block_merge_implIS3_PdPS5_jNS1_19radix_merge_compareILb0ELb0EdNS0_19identity_decomposerEEEEE10hipError_tT0_T1_T2_jT3_P12ihipStream_tbPNSt15iterator_traitsISE_E10value_typeEPNSK_ISF_E10value_typeEPSG_NS1_7vsmem_tEENKUlT_SE_SF_SG_E_clIS8_S8_S9_S9_EESD_ST_SE_SF_SG_EUlST_E1_NS1_11comp_targetILNS1_3genE3ELNS1_11target_archE908ELNS1_3gpuE7ELNS1_3repE0EEENS1_36merge_oddeven_config_static_selectorELNS0_4arch9wavefront6targetE0EEEvSF_,comdat
.Lfunc_end1583:
	.size	_ZN7rocprim17ROCPRIM_400000_NS6detail17trampoline_kernelINS0_14default_configENS1_38merge_sort_block_merge_config_selectorIdNS0_10empty_typeEEEZZNS1_27merge_sort_block_merge_implIS3_PdPS5_jNS1_19radix_merge_compareILb0ELb0EdNS0_19identity_decomposerEEEEE10hipError_tT0_T1_T2_jT3_P12ihipStream_tbPNSt15iterator_traitsISE_E10value_typeEPNSK_ISF_E10value_typeEPSG_NS1_7vsmem_tEENKUlT_SE_SF_SG_E_clIS8_S8_S9_S9_EESD_ST_SE_SF_SG_EUlST_E1_NS1_11comp_targetILNS1_3genE3ELNS1_11target_archE908ELNS1_3gpuE7ELNS1_3repE0EEENS1_36merge_oddeven_config_static_selectorELNS0_4arch9wavefront6targetE0EEEvSF_, .Lfunc_end1583-_ZN7rocprim17ROCPRIM_400000_NS6detail17trampoline_kernelINS0_14default_configENS1_38merge_sort_block_merge_config_selectorIdNS0_10empty_typeEEEZZNS1_27merge_sort_block_merge_implIS3_PdPS5_jNS1_19radix_merge_compareILb0ELb0EdNS0_19identity_decomposerEEEEE10hipError_tT0_T1_T2_jT3_P12ihipStream_tbPNSt15iterator_traitsISE_E10value_typeEPNSK_ISF_E10value_typeEPSG_NS1_7vsmem_tEENKUlT_SE_SF_SG_E_clIS8_S8_S9_S9_EESD_ST_SE_SF_SG_EUlST_E1_NS1_11comp_targetILNS1_3genE3ELNS1_11target_archE908ELNS1_3gpuE7ELNS1_3repE0EEENS1_36merge_oddeven_config_static_selectorELNS0_4arch9wavefront6targetE0EEEvSF_
                                        ; -- End function
	.set _ZN7rocprim17ROCPRIM_400000_NS6detail17trampoline_kernelINS0_14default_configENS1_38merge_sort_block_merge_config_selectorIdNS0_10empty_typeEEEZZNS1_27merge_sort_block_merge_implIS3_PdPS5_jNS1_19radix_merge_compareILb0ELb0EdNS0_19identity_decomposerEEEEE10hipError_tT0_T1_T2_jT3_P12ihipStream_tbPNSt15iterator_traitsISE_E10value_typeEPNSK_ISF_E10value_typeEPSG_NS1_7vsmem_tEENKUlT_SE_SF_SG_E_clIS8_S8_S9_S9_EESD_ST_SE_SF_SG_EUlST_E1_NS1_11comp_targetILNS1_3genE3ELNS1_11target_archE908ELNS1_3gpuE7ELNS1_3repE0EEENS1_36merge_oddeven_config_static_selectorELNS0_4arch9wavefront6targetE0EEEvSF_.num_vgpr, 0
	.set _ZN7rocprim17ROCPRIM_400000_NS6detail17trampoline_kernelINS0_14default_configENS1_38merge_sort_block_merge_config_selectorIdNS0_10empty_typeEEEZZNS1_27merge_sort_block_merge_implIS3_PdPS5_jNS1_19radix_merge_compareILb0ELb0EdNS0_19identity_decomposerEEEEE10hipError_tT0_T1_T2_jT3_P12ihipStream_tbPNSt15iterator_traitsISE_E10value_typeEPNSK_ISF_E10value_typeEPSG_NS1_7vsmem_tEENKUlT_SE_SF_SG_E_clIS8_S8_S9_S9_EESD_ST_SE_SF_SG_EUlST_E1_NS1_11comp_targetILNS1_3genE3ELNS1_11target_archE908ELNS1_3gpuE7ELNS1_3repE0EEENS1_36merge_oddeven_config_static_selectorELNS0_4arch9wavefront6targetE0EEEvSF_.num_agpr, 0
	.set _ZN7rocprim17ROCPRIM_400000_NS6detail17trampoline_kernelINS0_14default_configENS1_38merge_sort_block_merge_config_selectorIdNS0_10empty_typeEEEZZNS1_27merge_sort_block_merge_implIS3_PdPS5_jNS1_19radix_merge_compareILb0ELb0EdNS0_19identity_decomposerEEEEE10hipError_tT0_T1_T2_jT3_P12ihipStream_tbPNSt15iterator_traitsISE_E10value_typeEPNSK_ISF_E10value_typeEPSG_NS1_7vsmem_tEENKUlT_SE_SF_SG_E_clIS8_S8_S9_S9_EESD_ST_SE_SF_SG_EUlST_E1_NS1_11comp_targetILNS1_3genE3ELNS1_11target_archE908ELNS1_3gpuE7ELNS1_3repE0EEENS1_36merge_oddeven_config_static_selectorELNS0_4arch9wavefront6targetE0EEEvSF_.numbered_sgpr, 0
	.set _ZN7rocprim17ROCPRIM_400000_NS6detail17trampoline_kernelINS0_14default_configENS1_38merge_sort_block_merge_config_selectorIdNS0_10empty_typeEEEZZNS1_27merge_sort_block_merge_implIS3_PdPS5_jNS1_19radix_merge_compareILb0ELb0EdNS0_19identity_decomposerEEEEE10hipError_tT0_T1_T2_jT3_P12ihipStream_tbPNSt15iterator_traitsISE_E10value_typeEPNSK_ISF_E10value_typeEPSG_NS1_7vsmem_tEENKUlT_SE_SF_SG_E_clIS8_S8_S9_S9_EESD_ST_SE_SF_SG_EUlST_E1_NS1_11comp_targetILNS1_3genE3ELNS1_11target_archE908ELNS1_3gpuE7ELNS1_3repE0EEENS1_36merge_oddeven_config_static_selectorELNS0_4arch9wavefront6targetE0EEEvSF_.num_named_barrier, 0
	.set _ZN7rocprim17ROCPRIM_400000_NS6detail17trampoline_kernelINS0_14default_configENS1_38merge_sort_block_merge_config_selectorIdNS0_10empty_typeEEEZZNS1_27merge_sort_block_merge_implIS3_PdPS5_jNS1_19radix_merge_compareILb0ELb0EdNS0_19identity_decomposerEEEEE10hipError_tT0_T1_T2_jT3_P12ihipStream_tbPNSt15iterator_traitsISE_E10value_typeEPNSK_ISF_E10value_typeEPSG_NS1_7vsmem_tEENKUlT_SE_SF_SG_E_clIS8_S8_S9_S9_EESD_ST_SE_SF_SG_EUlST_E1_NS1_11comp_targetILNS1_3genE3ELNS1_11target_archE908ELNS1_3gpuE7ELNS1_3repE0EEENS1_36merge_oddeven_config_static_selectorELNS0_4arch9wavefront6targetE0EEEvSF_.private_seg_size, 0
	.set _ZN7rocprim17ROCPRIM_400000_NS6detail17trampoline_kernelINS0_14default_configENS1_38merge_sort_block_merge_config_selectorIdNS0_10empty_typeEEEZZNS1_27merge_sort_block_merge_implIS3_PdPS5_jNS1_19radix_merge_compareILb0ELb0EdNS0_19identity_decomposerEEEEE10hipError_tT0_T1_T2_jT3_P12ihipStream_tbPNSt15iterator_traitsISE_E10value_typeEPNSK_ISF_E10value_typeEPSG_NS1_7vsmem_tEENKUlT_SE_SF_SG_E_clIS8_S8_S9_S9_EESD_ST_SE_SF_SG_EUlST_E1_NS1_11comp_targetILNS1_3genE3ELNS1_11target_archE908ELNS1_3gpuE7ELNS1_3repE0EEENS1_36merge_oddeven_config_static_selectorELNS0_4arch9wavefront6targetE0EEEvSF_.uses_vcc, 0
	.set _ZN7rocprim17ROCPRIM_400000_NS6detail17trampoline_kernelINS0_14default_configENS1_38merge_sort_block_merge_config_selectorIdNS0_10empty_typeEEEZZNS1_27merge_sort_block_merge_implIS3_PdPS5_jNS1_19radix_merge_compareILb0ELb0EdNS0_19identity_decomposerEEEEE10hipError_tT0_T1_T2_jT3_P12ihipStream_tbPNSt15iterator_traitsISE_E10value_typeEPNSK_ISF_E10value_typeEPSG_NS1_7vsmem_tEENKUlT_SE_SF_SG_E_clIS8_S8_S9_S9_EESD_ST_SE_SF_SG_EUlST_E1_NS1_11comp_targetILNS1_3genE3ELNS1_11target_archE908ELNS1_3gpuE7ELNS1_3repE0EEENS1_36merge_oddeven_config_static_selectorELNS0_4arch9wavefront6targetE0EEEvSF_.uses_flat_scratch, 0
	.set _ZN7rocprim17ROCPRIM_400000_NS6detail17trampoline_kernelINS0_14default_configENS1_38merge_sort_block_merge_config_selectorIdNS0_10empty_typeEEEZZNS1_27merge_sort_block_merge_implIS3_PdPS5_jNS1_19radix_merge_compareILb0ELb0EdNS0_19identity_decomposerEEEEE10hipError_tT0_T1_T2_jT3_P12ihipStream_tbPNSt15iterator_traitsISE_E10value_typeEPNSK_ISF_E10value_typeEPSG_NS1_7vsmem_tEENKUlT_SE_SF_SG_E_clIS8_S8_S9_S9_EESD_ST_SE_SF_SG_EUlST_E1_NS1_11comp_targetILNS1_3genE3ELNS1_11target_archE908ELNS1_3gpuE7ELNS1_3repE0EEENS1_36merge_oddeven_config_static_selectorELNS0_4arch9wavefront6targetE0EEEvSF_.has_dyn_sized_stack, 0
	.set _ZN7rocprim17ROCPRIM_400000_NS6detail17trampoline_kernelINS0_14default_configENS1_38merge_sort_block_merge_config_selectorIdNS0_10empty_typeEEEZZNS1_27merge_sort_block_merge_implIS3_PdPS5_jNS1_19radix_merge_compareILb0ELb0EdNS0_19identity_decomposerEEEEE10hipError_tT0_T1_T2_jT3_P12ihipStream_tbPNSt15iterator_traitsISE_E10value_typeEPNSK_ISF_E10value_typeEPSG_NS1_7vsmem_tEENKUlT_SE_SF_SG_E_clIS8_S8_S9_S9_EESD_ST_SE_SF_SG_EUlST_E1_NS1_11comp_targetILNS1_3genE3ELNS1_11target_archE908ELNS1_3gpuE7ELNS1_3repE0EEENS1_36merge_oddeven_config_static_selectorELNS0_4arch9wavefront6targetE0EEEvSF_.has_recursion, 0
	.set _ZN7rocprim17ROCPRIM_400000_NS6detail17trampoline_kernelINS0_14default_configENS1_38merge_sort_block_merge_config_selectorIdNS0_10empty_typeEEEZZNS1_27merge_sort_block_merge_implIS3_PdPS5_jNS1_19radix_merge_compareILb0ELb0EdNS0_19identity_decomposerEEEEE10hipError_tT0_T1_T2_jT3_P12ihipStream_tbPNSt15iterator_traitsISE_E10value_typeEPNSK_ISF_E10value_typeEPSG_NS1_7vsmem_tEENKUlT_SE_SF_SG_E_clIS8_S8_S9_S9_EESD_ST_SE_SF_SG_EUlST_E1_NS1_11comp_targetILNS1_3genE3ELNS1_11target_archE908ELNS1_3gpuE7ELNS1_3repE0EEENS1_36merge_oddeven_config_static_selectorELNS0_4arch9wavefront6targetE0EEEvSF_.has_indirect_call, 0
	.section	.AMDGPU.csdata,"",@progbits
; Kernel info:
; codeLenInByte = 0
; TotalNumSgprs: 0
; NumVgprs: 0
; ScratchSize: 0
; MemoryBound: 0
; FloatMode: 240
; IeeeMode: 1
; LDSByteSize: 0 bytes/workgroup (compile time only)
; SGPRBlocks: 0
; VGPRBlocks: 0
; NumSGPRsForWavesPerEU: 1
; NumVGPRsForWavesPerEU: 1
; NamedBarCnt: 0
; Occupancy: 16
; WaveLimiterHint : 0
; COMPUTE_PGM_RSRC2:SCRATCH_EN: 0
; COMPUTE_PGM_RSRC2:USER_SGPR: 2
; COMPUTE_PGM_RSRC2:TRAP_HANDLER: 0
; COMPUTE_PGM_RSRC2:TGID_X_EN: 1
; COMPUTE_PGM_RSRC2:TGID_Y_EN: 0
; COMPUTE_PGM_RSRC2:TGID_Z_EN: 0
; COMPUTE_PGM_RSRC2:TIDIG_COMP_CNT: 0
	.section	.text._ZN7rocprim17ROCPRIM_400000_NS6detail17trampoline_kernelINS0_14default_configENS1_38merge_sort_block_merge_config_selectorIdNS0_10empty_typeEEEZZNS1_27merge_sort_block_merge_implIS3_PdPS5_jNS1_19radix_merge_compareILb0ELb0EdNS0_19identity_decomposerEEEEE10hipError_tT0_T1_T2_jT3_P12ihipStream_tbPNSt15iterator_traitsISE_E10value_typeEPNSK_ISF_E10value_typeEPSG_NS1_7vsmem_tEENKUlT_SE_SF_SG_E_clIS8_S8_S9_S9_EESD_ST_SE_SF_SG_EUlST_E1_NS1_11comp_targetILNS1_3genE2ELNS1_11target_archE906ELNS1_3gpuE6ELNS1_3repE0EEENS1_36merge_oddeven_config_static_selectorELNS0_4arch9wavefront6targetE0EEEvSF_,"axG",@progbits,_ZN7rocprim17ROCPRIM_400000_NS6detail17trampoline_kernelINS0_14default_configENS1_38merge_sort_block_merge_config_selectorIdNS0_10empty_typeEEEZZNS1_27merge_sort_block_merge_implIS3_PdPS5_jNS1_19radix_merge_compareILb0ELb0EdNS0_19identity_decomposerEEEEE10hipError_tT0_T1_T2_jT3_P12ihipStream_tbPNSt15iterator_traitsISE_E10value_typeEPNSK_ISF_E10value_typeEPSG_NS1_7vsmem_tEENKUlT_SE_SF_SG_E_clIS8_S8_S9_S9_EESD_ST_SE_SF_SG_EUlST_E1_NS1_11comp_targetILNS1_3genE2ELNS1_11target_archE906ELNS1_3gpuE6ELNS1_3repE0EEENS1_36merge_oddeven_config_static_selectorELNS0_4arch9wavefront6targetE0EEEvSF_,comdat
	.protected	_ZN7rocprim17ROCPRIM_400000_NS6detail17trampoline_kernelINS0_14default_configENS1_38merge_sort_block_merge_config_selectorIdNS0_10empty_typeEEEZZNS1_27merge_sort_block_merge_implIS3_PdPS5_jNS1_19radix_merge_compareILb0ELb0EdNS0_19identity_decomposerEEEEE10hipError_tT0_T1_T2_jT3_P12ihipStream_tbPNSt15iterator_traitsISE_E10value_typeEPNSK_ISF_E10value_typeEPSG_NS1_7vsmem_tEENKUlT_SE_SF_SG_E_clIS8_S8_S9_S9_EESD_ST_SE_SF_SG_EUlST_E1_NS1_11comp_targetILNS1_3genE2ELNS1_11target_archE906ELNS1_3gpuE6ELNS1_3repE0EEENS1_36merge_oddeven_config_static_selectorELNS0_4arch9wavefront6targetE0EEEvSF_ ; -- Begin function _ZN7rocprim17ROCPRIM_400000_NS6detail17trampoline_kernelINS0_14default_configENS1_38merge_sort_block_merge_config_selectorIdNS0_10empty_typeEEEZZNS1_27merge_sort_block_merge_implIS3_PdPS5_jNS1_19radix_merge_compareILb0ELb0EdNS0_19identity_decomposerEEEEE10hipError_tT0_T1_T2_jT3_P12ihipStream_tbPNSt15iterator_traitsISE_E10value_typeEPNSK_ISF_E10value_typeEPSG_NS1_7vsmem_tEENKUlT_SE_SF_SG_E_clIS8_S8_S9_S9_EESD_ST_SE_SF_SG_EUlST_E1_NS1_11comp_targetILNS1_3genE2ELNS1_11target_archE906ELNS1_3gpuE6ELNS1_3repE0EEENS1_36merge_oddeven_config_static_selectorELNS0_4arch9wavefront6targetE0EEEvSF_
	.globl	_ZN7rocprim17ROCPRIM_400000_NS6detail17trampoline_kernelINS0_14default_configENS1_38merge_sort_block_merge_config_selectorIdNS0_10empty_typeEEEZZNS1_27merge_sort_block_merge_implIS3_PdPS5_jNS1_19radix_merge_compareILb0ELb0EdNS0_19identity_decomposerEEEEE10hipError_tT0_T1_T2_jT3_P12ihipStream_tbPNSt15iterator_traitsISE_E10value_typeEPNSK_ISF_E10value_typeEPSG_NS1_7vsmem_tEENKUlT_SE_SF_SG_E_clIS8_S8_S9_S9_EESD_ST_SE_SF_SG_EUlST_E1_NS1_11comp_targetILNS1_3genE2ELNS1_11target_archE906ELNS1_3gpuE6ELNS1_3repE0EEENS1_36merge_oddeven_config_static_selectorELNS0_4arch9wavefront6targetE0EEEvSF_
	.p2align	8
	.type	_ZN7rocprim17ROCPRIM_400000_NS6detail17trampoline_kernelINS0_14default_configENS1_38merge_sort_block_merge_config_selectorIdNS0_10empty_typeEEEZZNS1_27merge_sort_block_merge_implIS3_PdPS5_jNS1_19radix_merge_compareILb0ELb0EdNS0_19identity_decomposerEEEEE10hipError_tT0_T1_T2_jT3_P12ihipStream_tbPNSt15iterator_traitsISE_E10value_typeEPNSK_ISF_E10value_typeEPSG_NS1_7vsmem_tEENKUlT_SE_SF_SG_E_clIS8_S8_S9_S9_EESD_ST_SE_SF_SG_EUlST_E1_NS1_11comp_targetILNS1_3genE2ELNS1_11target_archE906ELNS1_3gpuE6ELNS1_3repE0EEENS1_36merge_oddeven_config_static_selectorELNS0_4arch9wavefront6targetE0EEEvSF_,@function
_ZN7rocprim17ROCPRIM_400000_NS6detail17trampoline_kernelINS0_14default_configENS1_38merge_sort_block_merge_config_selectorIdNS0_10empty_typeEEEZZNS1_27merge_sort_block_merge_implIS3_PdPS5_jNS1_19radix_merge_compareILb0ELb0EdNS0_19identity_decomposerEEEEE10hipError_tT0_T1_T2_jT3_P12ihipStream_tbPNSt15iterator_traitsISE_E10value_typeEPNSK_ISF_E10value_typeEPSG_NS1_7vsmem_tEENKUlT_SE_SF_SG_E_clIS8_S8_S9_S9_EESD_ST_SE_SF_SG_EUlST_E1_NS1_11comp_targetILNS1_3genE2ELNS1_11target_archE906ELNS1_3gpuE6ELNS1_3repE0EEENS1_36merge_oddeven_config_static_selectorELNS0_4arch9wavefront6targetE0EEEvSF_: ; @_ZN7rocprim17ROCPRIM_400000_NS6detail17trampoline_kernelINS0_14default_configENS1_38merge_sort_block_merge_config_selectorIdNS0_10empty_typeEEEZZNS1_27merge_sort_block_merge_implIS3_PdPS5_jNS1_19radix_merge_compareILb0ELb0EdNS0_19identity_decomposerEEEEE10hipError_tT0_T1_T2_jT3_P12ihipStream_tbPNSt15iterator_traitsISE_E10value_typeEPNSK_ISF_E10value_typeEPSG_NS1_7vsmem_tEENKUlT_SE_SF_SG_E_clIS8_S8_S9_S9_EESD_ST_SE_SF_SG_EUlST_E1_NS1_11comp_targetILNS1_3genE2ELNS1_11target_archE906ELNS1_3gpuE6ELNS1_3repE0EEENS1_36merge_oddeven_config_static_selectorELNS0_4arch9wavefront6targetE0EEEvSF_
; %bb.0:
	.section	.rodata,"a",@progbits
	.p2align	6, 0x0
	.amdhsa_kernel _ZN7rocprim17ROCPRIM_400000_NS6detail17trampoline_kernelINS0_14default_configENS1_38merge_sort_block_merge_config_selectorIdNS0_10empty_typeEEEZZNS1_27merge_sort_block_merge_implIS3_PdPS5_jNS1_19radix_merge_compareILb0ELb0EdNS0_19identity_decomposerEEEEE10hipError_tT0_T1_T2_jT3_P12ihipStream_tbPNSt15iterator_traitsISE_E10value_typeEPNSK_ISF_E10value_typeEPSG_NS1_7vsmem_tEENKUlT_SE_SF_SG_E_clIS8_S8_S9_S9_EESD_ST_SE_SF_SG_EUlST_E1_NS1_11comp_targetILNS1_3genE2ELNS1_11target_archE906ELNS1_3gpuE6ELNS1_3repE0EEENS1_36merge_oddeven_config_static_selectorELNS0_4arch9wavefront6targetE0EEEvSF_
		.amdhsa_group_segment_fixed_size 0
		.amdhsa_private_segment_fixed_size 0
		.amdhsa_kernarg_size 48
		.amdhsa_user_sgpr_count 2
		.amdhsa_user_sgpr_dispatch_ptr 0
		.amdhsa_user_sgpr_queue_ptr 0
		.amdhsa_user_sgpr_kernarg_segment_ptr 1
		.amdhsa_user_sgpr_dispatch_id 0
		.amdhsa_user_sgpr_kernarg_preload_length 0
		.amdhsa_user_sgpr_kernarg_preload_offset 0
		.amdhsa_user_sgpr_private_segment_size 0
		.amdhsa_wavefront_size32 1
		.amdhsa_uses_dynamic_stack 0
		.amdhsa_enable_private_segment 0
		.amdhsa_system_sgpr_workgroup_id_x 1
		.amdhsa_system_sgpr_workgroup_id_y 0
		.amdhsa_system_sgpr_workgroup_id_z 0
		.amdhsa_system_sgpr_workgroup_info 0
		.amdhsa_system_vgpr_workitem_id 0
		.amdhsa_next_free_vgpr 1
		.amdhsa_next_free_sgpr 1
		.amdhsa_named_barrier_count 0
		.amdhsa_reserve_vcc 0
		.amdhsa_float_round_mode_32 0
		.amdhsa_float_round_mode_16_64 0
		.amdhsa_float_denorm_mode_32 3
		.amdhsa_float_denorm_mode_16_64 3
		.amdhsa_fp16_overflow 0
		.amdhsa_memory_ordered 1
		.amdhsa_forward_progress 1
		.amdhsa_inst_pref_size 0
		.amdhsa_round_robin_scheduling 0
		.amdhsa_exception_fp_ieee_invalid_op 0
		.amdhsa_exception_fp_denorm_src 0
		.amdhsa_exception_fp_ieee_div_zero 0
		.amdhsa_exception_fp_ieee_overflow 0
		.amdhsa_exception_fp_ieee_underflow 0
		.amdhsa_exception_fp_ieee_inexact 0
		.amdhsa_exception_int_div_zero 0
	.end_amdhsa_kernel
	.section	.text._ZN7rocprim17ROCPRIM_400000_NS6detail17trampoline_kernelINS0_14default_configENS1_38merge_sort_block_merge_config_selectorIdNS0_10empty_typeEEEZZNS1_27merge_sort_block_merge_implIS3_PdPS5_jNS1_19radix_merge_compareILb0ELb0EdNS0_19identity_decomposerEEEEE10hipError_tT0_T1_T2_jT3_P12ihipStream_tbPNSt15iterator_traitsISE_E10value_typeEPNSK_ISF_E10value_typeEPSG_NS1_7vsmem_tEENKUlT_SE_SF_SG_E_clIS8_S8_S9_S9_EESD_ST_SE_SF_SG_EUlST_E1_NS1_11comp_targetILNS1_3genE2ELNS1_11target_archE906ELNS1_3gpuE6ELNS1_3repE0EEENS1_36merge_oddeven_config_static_selectorELNS0_4arch9wavefront6targetE0EEEvSF_,"axG",@progbits,_ZN7rocprim17ROCPRIM_400000_NS6detail17trampoline_kernelINS0_14default_configENS1_38merge_sort_block_merge_config_selectorIdNS0_10empty_typeEEEZZNS1_27merge_sort_block_merge_implIS3_PdPS5_jNS1_19radix_merge_compareILb0ELb0EdNS0_19identity_decomposerEEEEE10hipError_tT0_T1_T2_jT3_P12ihipStream_tbPNSt15iterator_traitsISE_E10value_typeEPNSK_ISF_E10value_typeEPSG_NS1_7vsmem_tEENKUlT_SE_SF_SG_E_clIS8_S8_S9_S9_EESD_ST_SE_SF_SG_EUlST_E1_NS1_11comp_targetILNS1_3genE2ELNS1_11target_archE906ELNS1_3gpuE6ELNS1_3repE0EEENS1_36merge_oddeven_config_static_selectorELNS0_4arch9wavefront6targetE0EEEvSF_,comdat
.Lfunc_end1584:
	.size	_ZN7rocprim17ROCPRIM_400000_NS6detail17trampoline_kernelINS0_14default_configENS1_38merge_sort_block_merge_config_selectorIdNS0_10empty_typeEEEZZNS1_27merge_sort_block_merge_implIS3_PdPS5_jNS1_19radix_merge_compareILb0ELb0EdNS0_19identity_decomposerEEEEE10hipError_tT0_T1_T2_jT3_P12ihipStream_tbPNSt15iterator_traitsISE_E10value_typeEPNSK_ISF_E10value_typeEPSG_NS1_7vsmem_tEENKUlT_SE_SF_SG_E_clIS8_S8_S9_S9_EESD_ST_SE_SF_SG_EUlST_E1_NS1_11comp_targetILNS1_3genE2ELNS1_11target_archE906ELNS1_3gpuE6ELNS1_3repE0EEENS1_36merge_oddeven_config_static_selectorELNS0_4arch9wavefront6targetE0EEEvSF_, .Lfunc_end1584-_ZN7rocprim17ROCPRIM_400000_NS6detail17trampoline_kernelINS0_14default_configENS1_38merge_sort_block_merge_config_selectorIdNS0_10empty_typeEEEZZNS1_27merge_sort_block_merge_implIS3_PdPS5_jNS1_19radix_merge_compareILb0ELb0EdNS0_19identity_decomposerEEEEE10hipError_tT0_T1_T2_jT3_P12ihipStream_tbPNSt15iterator_traitsISE_E10value_typeEPNSK_ISF_E10value_typeEPSG_NS1_7vsmem_tEENKUlT_SE_SF_SG_E_clIS8_S8_S9_S9_EESD_ST_SE_SF_SG_EUlST_E1_NS1_11comp_targetILNS1_3genE2ELNS1_11target_archE906ELNS1_3gpuE6ELNS1_3repE0EEENS1_36merge_oddeven_config_static_selectorELNS0_4arch9wavefront6targetE0EEEvSF_
                                        ; -- End function
	.set _ZN7rocprim17ROCPRIM_400000_NS6detail17trampoline_kernelINS0_14default_configENS1_38merge_sort_block_merge_config_selectorIdNS0_10empty_typeEEEZZNS1_27merge_sort_block_merge_implIS3_PdPS5_jNS1_19radix_merge_compareILb0ELb0EdNS0_19identity_decomposerEEEEE10hipError_tT0_T1_T2_jT3_P12ihipStream_tbPNSt15iterator_traitsISE_E10value_typeEPNSK_ISF_E10value_typeEPSG_NS1_7vsmem_tEENKUlT_SE_SF_SG_E_clIS8_S8_S9_S9_EESD_ST_SE_SF_SG_EUlST_E1_NS1_11comp_targetILNS1_3genE2ELNS1_11target_archE906ELNS1_3gpuE6ELNS1_3repE0EEENS1_36merge_oddeven_config_static_selectorELNS0_4arch9wavefront6targetE0EEEvSF_.num_vgpr, 0
	.set _ZN7rocprim17ROCPRIM_400000_NS6detail17trampoline_kernelINS0_14default_configENS1_38merge_sort_block_merge_config_selectorIdNS0_10empty_typeEEEZZNS1_27merge_sort_block_merge_implIS3_PdPS5_jNS1_19radix_merge_compareILb0ELb0EdNS0_19identity_decomposerEEEEE10hipError_tT0_T1_T2_jT3_P12ihipStream_tbPNSt15iterator_traitsISE_E10value_typeEPNSK_ISF_E10value_typeEPSG_NS1_7vsmem_tEENKUlT_SE_SF_SG_E_clIS8_S8_S9_S9_EESD_ST_SE_SF_SG_EUlST_E1_NS1_11comp_targetILNS1_3genE2ELNS1_11target_archE906ELNS1_3gpuE6ELNS1_3repE0EEENS1_36merge_oddeven_config_static_selectorELNS0_4arch9wavefront6targetE0EEEvSF_.num_agpr, 0
	.set _ZN7rocprim17ROCPRIM_400000_NS6detail17trampoline_kernelINS0_14default_configENS1_38merge_sort_block_merge_config_selectorIdNS0_10empty_typeEEEZZNS1_27merge_sort_block_merge_implIS3_PdPS5_jNS1_19radix_merge_compareILb0ELb0EdNS0_19identity_decomposerEEEEE10hipError_tT0_T1_T2_jT3_P12ihipStream_tbPNSt15iterator_traitsISE_E10value_typeEPNSK_ISF_E10value_typeEPSG_NS1_7vsmem_tEENKUlT_SE_SF_SG_E_clIS8_S8_S9_S9_EESD_ST_SE_SF_SG_EUlST_E1_NS1_11comp_targetILNS1_3genE2ELNS1_11target_archE906ELNS1_3gpuE6ELNS1_3repE0EEENS1_36merge_oddeven_config_static_selectorELNS0_4arch9wavefront6targetE0EEEvSF_.numbered_sgpr, 0
	.set _ZN7rocprim17ROCPRIM_400000_NS6detail17trampoline_kernelINS0_14default_configENS1_38merge_sort_block_merge_config_selectorIdNS0_10empty_typeEEEZZNS1_27merge_sort_block_merge_implIS3_PdPS5_jNS1_19radix_merge_compareILb0ELb0EdNS0_19identity_decomposerEEEEE10hipError_tT0_T1_T2_jT3_P12ihipStream_tbPNSt15iterator_traitsISE_E10value_typeEPNSK_ISF_E10value_typeEPSG_NS1_7vsmem_tEENKUlT_SE_SF_SG_E_clIS8_S8_S9_S9_EESD_ST_SE_SF_SG_EUlST_E1_NS1_11comp_targetILNS1_3genE2ELNS1_11target_archE906ELNS1_3gpuE6ELNS1_3repE0EEENS1_36merge_oddeven_config_static_selectorELNS0_4arch9wavefront6targetE0EEEvSF_.num_named_barrier, 0
	.set _ZN7rocprim17ROCPRIM_400000_NS6detail17trampoline_kernelINS0_14default_configENS1_38merge_sort_block_merge_config_selectorIdNS0_10empty_typeEEEZZNS1_27merge_sort_block_merge_implIS3_PdPS5_jNS1_19radix_merge_compareILb0ELb0EdNS0_19identity_decomposerEEEEE10hipError_tT0_T1_T2_jT3_P12ihipStream_tbPNSt15iterator_traitsISE_E10value_typeEPNSK_ISF_E10value_typeEPSG_NS1_7vsmem_tEENKUlT_SE_SF_SG_E_clIS8_S8_S9_S9_EESD_ST_SE_SF_SG_EUlST_E1_NS1_11comp_targetILNS1_3genE2ELNS1_11target_archE906ELNS1_3gpuE6ELNS1_3repE0EEENS1_36merge_oddeven_config_static_selectorELNS0_4arch9wavefront6targetE0EEEvSF_.private_seg_size, 0
	.set _ZN7rocprim17ROCPRIM_400000_NS6detail17trampoline_kernelINS0_14default_configENS1_38merge_sort_block_merge_config_selectorIdNS0_10empty_typeEEEZZNS1_27merge_sort_block_merge_implIS3_PdPS5_jNS1_19radix_merge_compareILb0ELb0EdNS0_19identity_decomposerEEEEE10hipError_tT0_T1_T2_jT3_P12ihipStream_tbPNSt15iterator_traitsISE_E10value_typeEPNSK_ISF_E10value_typeEPSG_NS1_7vsmem_tEENKUlT_SE_SF_SG_E_clIS8_S8_S9_S9_EESD_ST_SE_SF_SG_EUlST_E1_NS1_11comp_targetILNS1_3genE2ELNS1_11target_archE906ELNS1_3gpuE6ELNS1_3repE0EEENS1_36merge_oddeven_config_static_selectorELNS0_4arch9wavefront6targetE0EEEvSF_.uses_vcc, 0
	.set _ZN7rocprim17ROCPRIM_400000_NS6detail17trampoline_kernelINS0_14default_configENS1_38merge_sort_block_merge_config_selectorIdNS0_10empty_typeEEEZZNS1_27merge_sort_block_merge_implIS3_PdPS5_jNS1_19radix_merge_compareILb0ELb0EdNS0_19identity_decomposerEEEEE10hipError_tT0_T1_T2_jT3_P12ihipStream_tbPNSt15iterator_traitsISE_E10value_typeEPNSK_ISF_E10value_typeEPSG_NS1_7vsmem_tEENKUlT_SE_SF_SG_E_clIS8_S8_S9_S9_EESD_ST_SE_SF_SG_EUlST_E1_NS1_11comp_targetILNS1_3genE2ELNS1_11target_archE906ELNS1_3gpuE6ELNS1_3repE0EEENS1_36merge_oddeven_config_static_selectorELNS0_4arch9wavefront6targetE0EEEvSF_.uses_flat_scratch, 0
	.set _ZN7rocprim17ROCPRIM_400000_NS6detail17trampoline_kernelINS0_14default_configENS1_38merge_sort_block_merge_config_selectorIdNS0_10empty_typeEEEZZNS1_27merge_sort_block_merge_implIS3_PdPS5_jNS1_19radix_merge_compareILb0ELb0EdNS0_19identity_decomposerEEEEE10hipError_tT0_T1_T2_jT3_P12ihipStream_tbPNSt15iterator_traitsISE_E10value_typeEPNSK_ISF_E10value_typeEPSG_NS1_7vsmem_tEENKUlT_SE_SF_SG_E_clIS8_S8_S9_S9_EESD_ST_SE_SF_SG_EUlST_E1_NS1_11comp_targetILNS1_3genE2ELNS1_11target_archE906ELNS1_3gpuE6ELNS1_3repE0EEENS1_36merge_oddeven_config_static_selectorELNS0_4arch9wavefront6targetE0EEEvSF_.has_dyn_sized_stack, 0
	.set _ZN7rocprim17ROCPRIM_400000_NS6detail17trampoline_kernelINS0_14default_configENS1_38merge_sort_block_merge_config_selectorIdNS0_10empty_typeEEEZZNS1_27merge_sort_block_merge_implIS3_PdPS5_jNS1_19radix_merge_compareILb0ELb0EdNS0_19identity_decomposerEEEEE10hipError_tT0_T1_T2_jT3_P12ihipStream_tbPNSt15iterator_traitsISE_E10value_typeEPNSK_ISF_E10value_typeEPSG_NS1_7vsmem_tEENKUlT_SE_SF_SG_E_clIS8_S8_S9_S9_EESD_ST_SE_SF_SG_EUlST_E1_NS1_11comp_targetILNS1_3genE2ELNS1_11target_archE906ELNS1_3gpuE6ELNS1_3repE0EEENS1_36merge_oddeven_config_static_selectorELNS0_4arch9wavefront6targetE0EEEvSF_.has_recursion, 0
	.set _ZN7rocprim17ROCPRIM_400000_NS6detail17trampoline_kernelINS0_14default_configENS1_38merge_sort_block_merge_config_selectorIdNS0_10empty_typeEEEZZNS1_27merge_sort_block_merge_implIS3_PdPS5_jNS1_19radix_merge_compareILb0ELb0EdNS0_19identity_decomposerEEEEE10hipError_tT0_T1_T2_jT3_P12ihipStream_tbPNSt15iterator_traitsISE_E10value_typeEPNSK_ISF_E10value_typeEPSG_NS1_7vsmem_tEENKUlT_SE_SF_SG_E_clIS8_S8_S9_S9_EESD_ST_SE_SF_SG_EUlST_E1_NS1_11comp_targetILNS1_3genE2ELNS1_11target_archE906ELNS1_3gpuE6ELNS1_3repE0EEENS1_36merge_oddeven_config_static_selectorELNS0_4arch9wavefront6targetE0EEEvSF_.has_indirect_call, 0
	.section	.AMDGPU.csdata,"",@progbits
; Kernel info:
; codeLenInByte = 0
; TotalNumSgprs: 0
; NumVgprs: 0
; ScratchSize: 0
; MemoryBound: 0
; FloatMode: 240
; IeeeMode: 1
; LDSByteSize: 0 bytes/workgroup (compile time only)
; SGPRBlocks: 0
; VGPRBlocks: 0
; NumSGPRsForWavesPerEU: 1
; NumVGPRsForWavesPerEU: 1
; NamedBarCnt: 0
; Occupancy: 16
; WaveLimiterHint : 0
; COMPUTE_PGM_RSRC2:SCRATCH_EN: 0
; COMPUTE_PGM_RSRC2:USER_SGPR: 2
; COMPUTE_PGM_RSRC2:TRAP_HANDLER: 0
; COMPUTE_PGM_RSRC2:TGID_X_EN: 1
; COMPUTE_PGM_RSRC2:TGID_Y_EN: 0
; COMPUTE_PGM_RSRC2:TGID_Z_EN: 0
; COMPUTE_PGM_RSRC2:TIDIG_COMP_CNT: 0
	.section	.text._ZN7rocprim17ROCPRIM_400000_NS6detail17trampoline_kernelINS0_14default_configENS1_38merge_sort_block_merge_config_selectorIdNS0_10empty_typeEEEZZNS1_27merge_sort_block_merge_implIS3_PdPS5_jNS1_19radix_merge_compareILb0ELb0EdNS0_19identity_decomposerEEEEE10hipError_tT0_T1_T2_jT3_P12ihipStream_tbPNSt15iterator_traitsISE_E10value_typeEPNSK_ISF_E10value_typeEPSG_NS1_7vsmem_tEENKUlT_SE_SF_SG_E_clIS8_S8_S9_S9_EESD_ST_SE_SF_SG_EUlST_E1_NS1_11comp_targetILNS1_3genE9ELNS1_11target_archE1100ELNS1_3gpuE3ELNS1_3repE0EEENS1_36merge_oddeven_config_static_selectorELNS0_4arch9wavefront6targetE0EEEvSF_,"axG",@progbits,_ZN7rocprim17ROCPRIM_400000_NS6detail17trampoline_kernelINS0_14default_configENS1_38merge_sort_block_merge_config_selectorIdNS0_10empty_typeEEEZZNS1_27merge_sort_block_merge_implIS3_PdPS5_jNS1_19radix_merge_compareILb0ELb0EdNS0_19identity_decomposerEEEEE10hipError_tT0_T1_T2_jT3_P12ihipStream_tbPNSt15iterator_traitsISE_E10value_typeEPNSK_ISF_E10value_typeEPSG_NS1_7vsmem_tEENKUlT_SE_SF_SG_E_clIS8_S8_S9_S9_EESD_ST_SE_SF_SG_EUlST_E1_NS1_11comp_targetILNS1_3genE9ELNS1_11target_archE1100ELNS1_3gpuE3ELNS1_3repE0EEENS1_36merge_oddeven_config_static_selectorELNS0_4arch9wavefront6targetE0EEEvSF_,comdat
	.protected	_ZN7rocprim17ROCPRIM_400000_NS6detail17trampoline_kernelINS0_14default_configENS1_38merge_sort_block_merge_config_selectorIdNS0_10empty_typeEEEZZNS1_27merge_sort_block_merge_implIS3_PdPS5_jNS1_19radix_merge_compareILb0ELb0EdNS0_19identity_decomposerEEEEE10hipError_tT0_T1_T2_jT3_P12ihipStream_tbPNSt15iterator_traitsISE_E10value_typeEPNSK_ISF_E10value_typeEPSG_NS1_7vsmem_tEENKUlT_SE_SF_SG_E_clIS8_S8_S9_S9_EESD_ST_SE_SF_SG_EUlST_E1_NS1_11comp_targetILNS1_3genE9ELNS1_11target_archE1100ELNS1_3gpuE3ELNS1_3repE0EEENS1_36merge_oddeven_config_static_selectorELNS0_4arch9wavefront6targetE0EEEvSF_ ; -- Begin function _ZN7rocprim17ROCPRIM_400000_NS6detail17trampoline_kernelINS0_14default_configENS1_38merge_sort_block_merge_config_selectorIdNS0_10empty_typeEEEZZNS1_27merge_sort_block_merge_implIS3_PdPS5_jNS1_19radix_merge_compareILb0ELb0EdNS0_19identity_decomposerEEEEE10hipError_tT0_T1_T2_jT3_P12ihipStream_tbPNSt15iterator_traitsISE_E10value_typeEPNSK_ISF_E10value_typeEPSG_NS1_7vsmem_tEENKUlT_SE_SF_SG_E_clIS8_S8_S9_S9_EESD_ST_SE_SF_SG_EUlST_E1_NS1_11comp_targetILNS1_3genE9ELNS1_11target_archE1100ELNS1_3gpuE3ELNS1_3repE0EEENS1_36merge_oddeven_config_static_selectorELNS0_4arch9wavefront6targetE0EEEvSF_
	.globl	_ZN7rocprim17ROCPRIM_400000_NS6detail17trampoline_kernelINS0_14default_configENS1_38merge_sort_block_merge_config_selectorIdNS0_10empty_typeEEEZZNS1_27merge_sort_block_merge_implIS3_PdPS5_jNS1_19radix_merge_compareILb0ELb0EdNS0_19identity_decomposerEEEEE10hipError_tT0_T1_T2_jT3_P12ihipStream_tbPNSt15iterator_traitsISE_E10value_typeEPNSK_ISF_E10value_typeEPSG_NS1_7vsmem_tEENKUlT_SE_SF_SG_E_clIS8_S8_S9_S9_EESD_ST_SE_SF_SG_EUlST_E1_NS1_11comp_targetILNS1_3genE9ELNS1_11target_archE1100ELNS1_3gpuE3ELNS1_3repE0EEENS1_36merge_oddeven_config_static_selectorELNS0_4arch9wavefront6targetE0EEEvSF_
	.p2align	8
	.type	_ZN7rocprim17ROCPRIM_400000_NS6detail17trampoline_kernelINS0_14default_configENS1_38merge_sort_block_merge_config_selectorIdNS0_10empty_typeEEEZZNS1_27merge_sort_block_merge_implIS3_PdPS5_jNS1_19radix_merge_compareILb0ELb0EdNS0_19identity_decomposerEEEEE10hipError_tT0_T1_T2_jT3_P12ihipStream_tbPNSt15iterator_traitsISE_E10value_typeEPNSK_ISF_E10value_typeEPSG_NS1_7vsmem_tEENKUlT_SE_SF_SG_E_clIS8_S8_S9_S9_EESD_ST_SE_SF_SG_EUlST_E1_NS1_11comp_targetILNS1_3genE9ELNS1_11target_archE1100ELNS1_3gpuE3ELNS1_3repE0EEENS1_36merge_oddeven_config_static_selectorELNS0_4arch9wavefront6targetE0EEEvSF_,@function
_ZN7rocprim17ROCPRIM_400000_NS6detail17trampoline_kernelINS0_14default_configENS1_38merge_sort_block_merge_config_selectorIdNS0_10empty_typeEEEZZNS1_27merge_sort_block_merge_implIS3_PdPS5_jNS1_19radix_merge_compareILb0ELb0EdNS0_19identity_decomposerEEEEE10hipError_tT0_T1_T2_jT3_P12ihipStream_tbPNSt15iterator_traitsISE_E10value_typeEPNSK_ISF_E10value_typeEPSG_NS1_7vsmem_tEENKUlT_SE_SF_SG_E_clIS8_S8_S9_S9_EESD_ST_SE_SF_SG_EUlST_E1_NS1_11comp_targetILNS1_3genE9ELNS1_11target_archE1100ELNS1_3gpuE3ELNS1_3repE0EEENS1_36merge_oddeven_config_static_selectorELNS0_4arch9wavefront6targetE0EEEvSF_: ; @_ZN7rocprim17ROCPRIM_400000_NS6detail17trampoline_kernelINS0_14default_configENS1_38merge_sort_block_merge_config_selectorIdNS0_10empty_typeEEEZZNS1_27merge_sort_block_merge_implIS3_PdPS5_jNS1_19radix_merge_compareILb0ELb0EdNS0_19identity_decomposerEEEEE10hipError_tT0_T1_T2_jT3_P12ihipStream_tbPNSt15iterator_traitsISE_E10value_typeEPNSK_ISF_E10value_typeEPSG_NS1_7vsmem_tEENKUlT_SE_SF_SG_E_clIS8_S8_S9_S9_EESD_ST_SE_SF_SG_EUlST_E1_NS1_11comp_targetILNS1_3genE9ELNS1_11target_archE1100ELNS1_3gpuE3ELNS1_3repE0EEENS1_36merge_oddeven_config_static_selectorELNS0_4arch9wavefront6targetE0EEEvSF_
; %bb.0:
	.section	.rodata,"a",@progbits
	.p2align	6, 0x0
	.amdhsa_kernel _ZN7rocprim17ROCPRIM_400000_NS6detail17trampoline_kernelINS0_14default_configENS1_38merge_sort_block_merge_config_selectorIdNS0_10empty_typeEEEZZNS1_27merge_sort_block_merge_implIS3_PdPS5_jNS1_19radix_merge_compareILb0ELb0EdNS0_19identity_decomposerEEEEE10hipError_tT0_T1_T2_jT3_P12ihipStream_tbPNSt15iterator_traitsISE_E10value_typeEPNSK_ISF_E10value_typeEPSG_NS1_7vsmem_tEENKUlT_SE_SF_SG_E_clIS8_S8_S9_S9_EESD_ST_SE_SF_SG_EUlST_E1_NS1_11comp_targetILNS1_3genE9ELNS1_11target_archE1100ELNS1_3gpuE3ELNS1_3repE0EEENS1_36merge_oddeven_config_static_selectorELNS0_4arch9wavefront6targetE0EEEvSF_
		.amdhsa_group_segment_fixed_size 0
		.amdhsa_private_segment_fixed_size 0
		.amdhsa_kernarg_size 48
		.amdhsa_user_sgpr_count 2
		.amdhsa_user_sgpr_dispatch_ptr 0
		.amdhsa_user_sgpr_queue_ptr 0
		.amdhsa_user_sgpr_kernarg_segment_ptr 1
		.amdhsa_user_sgpr_dispatch_id 0
		.amdhsa_user_sgpr_kernarg_preload_length 0
		.amdhsa_user_sgpr_kernarg_preload_offset 0
		.amdhsa_user_sgpr_private_segment_size 0
		.amdhsa_wavefront_size32 1
		.amdhsa_uses_dynamic_stack 0
		.amdhsa_enable_private_segment 0
		.amdhsa_system_sgpr_workgroup_id_x 1
		.amdhsa_system_sgpr_workgroup_id_y 0
		.amdhsa_system_sgpr_workgroup_id_z 0
		.amdhsa_system_sgpr_workgroup_info 0
		.amdhsa_system_vgpr_workitem_id 0
		.amdhsa_next_free_vgpr 1
		.amdhsa_next_free_sgpr 1
		.amdhsa_named_barrier_count 0
		.amdhsa_reserve_vcc 0
		.amdhsa_float_round_mode_32 0
		.amdhsa_float_round_mode_16_64 0
		.amdhsa_float_denorm_mode_32 3
		.amdhsa_float_denorm_mode_16_64 3
		.amdhsa_fp16_overflow 0
		.amdhsa_memory_ordered 1
		.amdhsa_forward_progress 1
		.amdhsa_inst_pref_size 0
		.amdhsa_round_robin_scheduling 0
		.amdhsa_exception_fp_ieee_invalid_op 0
		.amdhsa_exception_fp_denorm_src 0
		.amdhsa_exception_fp_ieee_div_zero 0
		.amdhsa_exception_fp_ieee_overflow 0
		.amdhsa_exception_fp_ieee_underflow 0
		.amdhsa_exception_fp_ieee_inexact 0
		.amdhsa_exception_int_div_zero 0
	.end_amdhsa_kernel
	.section	.text._ZN7rocprim17ROCPRIM_400000_NS6detail17trampoline_kernelINS0_14default_configENS1_38merge_sort_block_merge_config_selectorIdNS0_10empty_typeEEEZZNS1_27merge_sort_block_merge_implIS3_PdPS5_jNS1_19radix_merge_compareILb0ELb0EdNS0_19identity_decomposerEEEEE10hipError_tT0_T1_T2_jT3_P12ihipStream_tbPNSt15iterator_traitsISE_E10value_typeEPNSK_ISF_E10value_typeEPSG_NS1_7vsmem_tEENKUlT_SE_SF_SG_E_clIS8_S8_S9_S9_EESD_ST_SE_SF_SG_EUlST_E1_NS1_11comp_targetILNS1_3genE9ELNS1_11target_archE1100ELNS1_3gpuE3ELNS1_3repE0EEENS1_36merge_oddeven_config_static_selectorELNS0_4arch9wavefront6targetE0EEEvSF_,"axG",@progbits,_ZN7rocprim17ROCPRIM_400000_NS6detail17trampoline_kernelINS0_14default_configENS1_38merge_sort_block_merge_config_selectorIdNS0_10empty_typeEEEZZNS1_27merge_sort_block_merge_implIS3_PdPS5_jNS1_19radix_merge_compareILb0ELb0EdNS0_19identity_decomposerEEEEE10hipError_tT0_T1_T2_jT3_P12ihipStream_tbPNSt15iterator_traitsISE_E10value_typeEPNSK_ISF_E10value_typeEPSG_NS1_7vsmem_tEENKUlT_SE_SF_SG_E_clIS8_S8_S9_S9_EESD_ST_SE_SF_SG_EUlST_E1_NS1_11comp_targetILNS1_3genE9ELNS1_11target_archE1100ELNS1_3gpuE3ELNS1_3repE0EEENS1_36merge_oddeven_config_static_selectorELNS0_4arch9wavefront6targetE0EEEvSF_,comdat
.Lfunc_end1585:
	.size	_ZN7rocprim17ROCPRIM_400000_NS6detail17trampoline_kernelINS0_14default_configENS1_38merge_sort_block_merge_config_selectorIdNS0_10empty_typeEEEZZNS1_27merge_sort_block_merge_implIS3_PdPS5_jNS1_19radix_merge_compareILb0ELb0EdNS0_19identity_decomposerEEEEE10hipError_tT0_T1_T2_jT3_P12ihipStream_tbPNSt15iterator_traitsISE_E10value_typeEPNSK_ISF_E10value_typeEPSG_NS1_7vsmem_tEENKUlT_SE_SF_SG_E_clIS8_S8_S9_S9_EESD_ST_SE_SF_SG_EUlST_E1_NS1_11comp_targetILNS1_3genE9ELNS1_11target_archE1100ELNS1_3gpuE3ELNS1_3repE0EEENS1_36merge_oddeven_config_static_selectorELNS0_4arch9wavefront6targetE0EEEvSF_, .Lfunc_end1585-_ZN7rocprim17ROCPRIM_400000_NS6detail17trampoline_kernelINS0_14default_configENS1_38merge_sort_block_merge_config_selectorIdNS0_10empty_typeEEEZZNS1_27merge_sort_block_merge_implIS3_PdPS5_jNS1_19radix_merge_compareILb0ELb0EdNS0_19identity_decomposerEEEEE10hipError_tT0_T1_T2_jT3_P12ihipStream_tbPNSt15iterator_traitsISE_E10value_typeEPNSK_ISF_E10value_typeEPSG_NS1_7vsmem_tEENKUlT_SE_SF_SG_E_clIS8_S8_S9_S9_EESD_ST_SE_SF_SG_EUlST_E1_NS1_11comp_targetILNS1_3genE9ELNS1_11target_archE1100ELNS1_3gpuE3ELNS1_3repE0EEENS1_36merge_oddeven_config_static_selectorELNS0_4arch9wavefront6targetE0EEEvSF_
                                        ; -- End function
	.set _ZN7rocprim17ROCPRIM_400000_NS6detail17trampoline_kernelINS0_14default_configENS1_38merge_sort_block_merge_config_selectorIdNS0_10empty_typeEEEZZNS1_27merge_sort_block_merge_implIS3_PdPS5_jNS1_19radix_merge_compareILb0ELb0EdNS0_19identity_decomposerEEEEE10hipError_tT0_T1_T2_jT3_P12ihipStream_tbPNSt15iterator_traitsISE_E10value_typeEPNSK_ISF_E10value_typeEPSG_NS1_7vsmem_tEENKUlT_SE_SF_SG_E_clIS8_S8_S9_S9_EESD_ST_SE_SF_SG_EUlST_E1_NS1_11comp_targetILNS1_3genE9ELNS1_11target_archE1100ELNS1_3gpuE3ELNS1_3repE0EEENS1_36merge_oddeven_config_static_selectorELNS0_4arch9wavefront6targetE0EEEvSF_.num_vgpr, 0
	.set _ZN7rocprim17ROCPRIM_400000_NS6detail17trampoline_kernelINS0_14default_configENS1_38merge_sort_block_merge_config_selectorIdNS0_10empty_typeEEEZZNS1_27merge_sort_block_merge_implIS3_PdPS5_jNS1_19radix_merge_compareILb0ELb0EdNS0_19identity_decomposerEEEEE10hipError_tT0_T1_T2_jT3_P12ihipStream_tbPNSt15iterator_traitsISE_E10value_typeEPNSK_ISF_E10value_typeEPSG_NS1_7vsmem_tEENKUlT_SE_SF_SG_E_clIS8_S8_S9_S9_EESD_ST_SE_SF_SG_EUlST_E1_NS1_11comp_targetILNS1_3genE9ELNS1_11target_archE1100ELNS1_3gpuE3ELNS1_3repE0EEENS1_36merge_oddeven_config_static_selectorELNS0_4arch9wavefront6targetE0EEEvSF_.num_agpr, 0
	.set _ZN7rocprim17ROCPRIM_400000_NS6detail17trampoline_kernelINS0_14default_configENS1_38merge_sort_block_merge_config_selectorIdNS0_10empty_typeEEEZZNS1_27merge_sort_block_merge_implIS3_PdPS5_jNS1_19radix_merge_compareILb0ELb0EdNS0_19identity_decomposerEEEEE10hipError_tT0_T1_T2_jT3_P12ihipStream_tbPNSt15iterator_traitsISE_E10value_typeEPNSK_ISF_E10value_typeEPSG_NS1_7vsmem_tEENKUlT_SE_SF_SG_E_clIS8_S8_S9_S9_EESD_ST_SE_SF_SG_EUlST_E1_NS1_11comp_targetILNS1_3genE9ELNS1_11target_archE1100ELNS1_3gpuE3ELNS1_3repE0EEENS1_36merge_oddeven_config_static_selectorELNS0_4arch9wavefront6targetE0EEEvSF_.numbered_sgpr, 0
	.set _ZN7rocprim17ROCPRIM_400000_NS6detail17trampoline_kernelINS0_14default_configENS1_38merge_sort_block_merge_config_selectorIdNS0_10empty_typeEEEZZNS1_27merge_sort_block_merge_implIS3_PdPS5_jNS1_19radix_merge_compareILb0ELb0EdNS0_19identity_decomposerEEEEE10hipError_tT0_T1_T2_jT3_P12ihipStream_tbPNSt15iterator_traitsISE_E10value_typeEPNSK_ISF_E10value_typeEPSG_NS1_7vsmem_tEENKUlT_SE_SF_SG_E_clIS8_S8_S9_S9_EESD_ST_SE_SF_SG_EUlST_E1_NS1_11comp_targetILNS1_3genE9ELNS1_11target_archE1100ELNS1_3gpuE3ELNS1_3repE0EEENS1_36merge_oddeven_config_static_selectorELNS0_4arch9wavefront6targetE0EEEvSF_.num_named_barrier, 0
	.set _ZN7rocprim17ROCPRIM_400000_NS6detail17trampoline_kernelINS0_14default_configENS1_38merge_sort_block_merge_config_selectorIdNS0_10empty_typeEEEZZNS1_27merge_sort_block_merge_implIS3_PdPS5_jNS1_19radix_merge_compareILb0ELb0EdNS0_19identity_decomposerEEEEE10hipError_tT0_T1_T2_jT3_P12ihipStream_tbPNSt15iterator_traitsISE_E10value_typeEPNSK_ISF_E10value_typeEPSG_NS1_7vsmem_tEENKUlT_SE_SF_SG_E_clIS8_S8_S9_S9_EESD_ST_SE_SF_SG_EUlST_E1_NS1_11comp_targetILNS1_3genE9ELNS1_11target_archE1100ELNS1_3gpuE3ELNS1_3repE0EEENS1_36merge_oddeven_config_static_selectorELNS0_4arch9wavefront6targetE0EEEvSF_.private_seg_size, 0
	.set _ZN7rocprim17ROCPRIM_400000_NS6detail17trampoline_kernelINS0_14default_configENS1_38merge_sort_block_merge_config_selectorIdNS0_10empty_typeEEEZZNS1_27merge_sort_block_merge_implIS3_PdPS5_jNS1_19radix_merge_compareILb0ELb0EdNS0_19identity_decomposerEEEEE10hipError_tT0_T1_T2_jT3_P12ihipStream_tbPNSt15iterator_traitsISE_E10value_typeEPNSK_ISF_E10value_typeEPSG_NS1_7vsmem_tEENKUlT_SE_SF_SG_E_clIS8_S8_S9_S9_EESD_ST_SE_SF_SG_EUlST_E1_NS1_11comp_targetILNS1_3genE9ELNS1_11target_archE1100ELNS1_3gpuE3ELNS1_3repE0EEENS1_36merge_oddeven_config_static_selectorELNS0_4arch9wavefront6targetE0EEEvSF_.uses_vcc, 0
	.set _ZN7rocprim17ROCPRIM_400000_NS6detail17trampoline_kernelINS0_14default_configENS1_38merge_sort_block_merge_config_selectorIdNS0_10empty_typeEEEZZNS1_27merge_sort_block_merge_implIS3_PdPS5_jNS1_19radix_merge_compareILb0ELb0EdNS0_19identity_decomposerEEEEE10hipError_tT0_T1_T2_jT3_P12ihipStream_tbPNSt15iterator_traitsISE_E10value_typeEPNSK_ISF_E10value_typeEPSG_NS1_7vsmem_tEENKUlT_SE_SF_SG_E_clIS8_S8_S9_S9_EESD_ST_SE_SF_SG_EUlST_E1_NS1_11comp_targetILNS1_3genE9ELNS1_11target_archE1100ELNS1_3gpuE3ELNS1_3repE0EEENS1_36merge_oddeven_config_static_selectorELNS0_4arch9wavefront6targetE0EEEvSF_.uses_flat_scratch, 0
	.set _ZN7rocprim17ROCPRIM_400000_NS6detail17trampoline_kernelINS0_14default_configENS1_38merge_sort_block_merge_config_selectorIdNS0_10empty_typeEEEZZNS1_27merge_sort_block_merge_implIS3_PdPS5_jNS1_19radix_merge_compareILb0ELb0EdNS0_19identity_decomposerEEEEE10hipError_tT0_T1_T2_jT3_P12ihipStream_tbPNSt15iterator_traitsISE_E10value_typeEPNSK_ISF_E10value_typeEPSG_NS1_7vsmem_tEENKUlT_SE_SF_SG_E_clIS8_S8_S9_S9_EESD_ST_SE_SF_SG_EUlST_E1_NS1_11comp_targetILNS1_3genE9ELNS1_11target_archE1100ELNS1_3gpuE3ELNS1_3repE0EEENS1_36merge_oddeven_config_static_selectorELNS0_4arch9wavefront6targetE0EEEvSF_.has_dyn_sized_stack, 0
	.set _ZN7rocprim17ROCPRIM_400000_NS6detail17trampoline_kernelINS0_14default_configENS1_38merge_sort_block_merge_config_selectorIdNS0_10empty_typeEEEZZNS1_27merge_sort_block_merge_implIS3_PdPS5_jNS1_19radix_merge_compareILb0ELb0EdNS0_19identity_decomposerEEEEE10hipError_tT0_T1_T2_jT3_P12ihipStream_tbPNSt15iterator_traitsISE_E10value_typeEPNSK_ISF_E10value_typeEPSG_NS1_7vsmem_tEENKUlT_SE_SF_SG_E_clIS8_S8_S9_S9_EESD_ST_SE_SF_SG_EUlST_E1_NS1_11comp_targetILNS1_3genE9ELNS1_11target_archE1100ELNS1_3gpuE3ELNS1_3repE0EEENS1_36merge_oddeven_config_static_selectorELNS0_4arch9wavefront6targetE0EEEvSF_.has_recursion, 0
	.set _ZN7rocprim17ROCPRIM_400000_NS6detail17trampoline_kernelINS0_14default_configENS1_38merge_sort_block_merge_config_selectorIdNS0_10empty_typeEEEZZNS1_27merge_sort_block_merge_implIS3_PdPS5_jNS1_19radix_merge_compareILb0ELb0EdNS0_19identity_decomposerEEEEE10hipError_tT0_T1_T2_jT3_P12ihipStream_tbPNSt15iterator_traitsISE_E10value_typeEPNSK_ISF_E10value_typeEPSG_NS1_7vsmem_tEENKUlT_SE_SF_SG_E_clIS8_S8_S9_S9_EESD_ST_SE_SF_SG_EUlST_E1_NS1_11comp_targetILNS1_3genE9ELNS1_11target_archE1100ELNS1_3gpuE3ELNS1_3repE0EEENS1_36merge_oddeven_config_static_selectorELNS0_4arch9wavefront6targetE0EEEvSF_.has_indirect_call, 0
	.section	.AMDGPU.csdata,"",@progbits
; Kernel info:
; codeLenInByte = 0
; TotalNumSgprs: 0
; NumVgprs: 0
; ScratchSize: 0
; MemoryBound: 0
; FloatMode: 240
; IeeeMode: 1
; LDSByteSize: 0 bytes/workgroup (compile time only)
; SGPRBlocks: 0
; VGPRBlocks: 0
; NumSGPRsForWavesPerEU: 1
; NumVGPRsForWavesPerEU: 1
; NamedBarCnt: 0
; Occupancy: 16
; WaveLimiterHint : 0
; COMPUTE_PGM_RSRC2:SCRATCH_EN: 0
; COMPUTE_PGM_RSRC2:USER_SGPR: 2
; COMPUTE_PGM_RSRC2:TRAP_HANDLER: 0
; COMPUTE_PGM_RSRC2:TGID_X_EN: 1
; COMPUTE_PGM_RSRC2:TGID_Y_EN: 0
; COMPUTE_PGM_RSRC2:TGID_Z_EN: 0
; COMPUTE_PGM_RSRC2:TIDIG_COMP_CNT: 0
	.section	.text._ZN7rocprim17ROCPRIM_400000_NS6detail17trampoline_kernelINS0_14default_configENS1_38merge_sort_block_merge_config_selectorIdNS0_10empty_typeEEEZZNS1_27merge_sort_block_merge_implIS3_PdPS5_jNS1_19radix_merge_compareILb0ELb0EdNS0_19identity_decomposerEEEEE10hipError_tT0_T1_T2_jT3_P12ihipStream_tbPNSt15iterator_traitsISE_E10value_typeEPNSK_ISF_E10value_typeEPSG_NS1_7vsmem_tEENKUlT_SE_SF_SG_E_clIS8_S8_S9_S9_EESD_ST_SE_SF_SG_EUlST_E1_NS1_11comp_targetILNS1_3genE8ELNS1_11target_archE1030ELNS1_3gpuE2ELNS1_3repE0EEENS1_36merge_oddeven_config_static_selectorELNS0_4arch9wavefront6targetE0EEEvSF_,"axG",@progbits,_ZN7rocprim17ROCPRIM_400000_NS6detail17trampoline_kernelINS0_14default_configENS1_38merge_sort_block_merge_config_selectorIdNS0_10empty_typeEEEZZNS1_27merge_sort_block_merge_implIS3_PdPS5_jNS1_19radix_merge_compareILb0ELb0EdNS0_19identity_decomposerEEEEE10hipError_tT0_T1_T2_jT3_P12ihipStream_tbPNSt15iterator_traitsISE_E10value_typeEPNSK_ISF_E10value_typeEPSG_NS1_7vsmem_tEENKUlT_SE_SF_SG_E_clIS8_S8_S9_S9_EESD_ST_SE_SF_SG_EUlST_E1_NS1_11comp_targetILNS1_3genE8ELNS1_11target_archE1030ELNS1_3gpuE2ELNS1_3repE0EEENS1_36merge_oddeven_config_static_selectorELNS0_4arch9wavefront6targetE0EEEvSF_,comdat
	.protected	_ZN7rocprim17ROCPRIM_400000_NS6detail17trampoline_kernelINS0_14default_configENS1_38merge_sort_block_merge_config_selectorIdNS0_10empty_typeEEEZZNS1_27merge_sort_block_merge_implIS3_PdPS5_jNS1_19radix_merge_compareILb0ELb0EdNS0_19identity_decomposerEEEEE10hipError_tT0_T1_T2_jT3_P12ihipStream_tbPNSt15iterator_traitsISE_E10value_typeEPNSK_ISF_E10value_typeEPSG_NS1_7vsmem_tEENKUlT_SE_SF_SG_E_clIS8_S8_S9_S9_EESD_ST_SE_SF_SG_EUlST_E1_NS1_11comp_targetILNS1_3genE8ELNS1_11target_archE1030ELNS1_3gpuE2ELNS1_3repE0EEENS1_36merge_oddeven_config_static_selectorELNS0_4arch9wavefront6targetE0EEEvSF_ ; -- Begin function _ZN7rocprim17ROCPRIM_400000_NS6detail17trampoline_kernelINS0_14default_configENS1_38merge_sort_block_merge_config_selectorIdNS0_10empty_typeEEEZZNS1_27merge_sort_block_merge_implIS3_PdPS5_jNS1_19radix_merge_compareILb0ELb0EdNS0_19identity_decomposerEEEEE10hipError_tT0_T1_T2_jT3_P12ihipStream_tbPNSt15iterator_traitsISE_E10value_typeEPNSK_ISF_E10value_typeEPSG_NS1_7vsmem_tEENKUlT_SE_SF_SG_E_clIS8_S8_S9_S9_EESD_ST_SE_SF_SG_EUlST_E1_NS1_11comp_targetILNS1_3genE8ELNS1_11target_archE1030ELNS1_3gpuE2ELNS1_3repE0EEENS1_36merge_oddeven_config_static_selectorELNS0_4arch9wavefront6targetE0EEEvSF_
	.globl	_ZN7rocprim17ROCPRIM_400000_NS6detail17trampoline_kernelINS0_14default_configENS1_38merge_sort_block_merge_config_selectorIdNS0_10empty_typeEEEZZNS1_27merge_sort_block_merge_implIS3_PdPS5_jNS1_19radix_merge_compareILb0ELb0EdNS0_19identity_decomposerEEEEE10hipError_tT0_T1_T2_jT3_P12ihipStream_tbPNSt15iterator_traitsISE_E10value_typeEPNSK_ISF_E10value_typeEPSG_NS1_7vsmem_tEENKUlT_SE_SF_SG_E_clIS8_S8_S9_S9_EESD_ST_SE_SF_SG_EUlST_E1_NS1_11comp_targetILNS1_3genE8ELNS1_11target_archE1030ELNS1_3gpuE2ELNS1_3repE0EEENS1_36merge_oddeven_config_static_selectorELNS0_4arch9wavefront6targetE0EEEvSF_
	.p2align	8
	.type	_ZN7rocprim17ROCPRIM_400000_NS6detail17trampoline_kernelINS0_14default_configENS1_38merge_sort_block_merge_config_selectorIdNS0_10empty_typeEEEZZNS1_27merge_sort_block_merge_implIS3_PdPS5_jNS1_19radix_merge_compareILb0ELb0EdNS0_19identity_decomposerEEEEE10hipError_tT0_T1_T2_jT3_P12ihipStream_tbPNSt15iterator_traitsISE_E10value_typeEPNSK_ISF_E10value_typeEPSG_NS1_7vsmem_tEENKUlT_SE_SF_SG_E_clIS8_S8_S9_S9_EESD_ST_SE_SF_SG_EUlST_E1_NS1_11comp_targetILNS1_3genE8ELNS1_11target_archE1030ELNS1_3gpuE2ELNS1_3repE0EEENS1_36merge_oddeven_config_static_selectorELNS0_4arch9wavefront6targetE0EEEvSF_,@function
_ZN7rocprim17ROCPRIM_400000_NS6detail17trampoline_kernelINS0_14default_configENS1_38merge_sort_block_merge_config_selectorIdNS0_10empty_typeEEEZZNS1_27merge_sort_block_merge_implIS3_PdPS5_jNS1_19radix_merge_compareILb0ELb0EdNS0_19identity_decomposerEEEEE10hipError_tT0_T1_T2_jT3_P12ihipStream_tbPNSt15iterator_traitsISE_E10value_typeEPNSK_ISF_E10value_typeEPSG_NS1_7vsmem_tEENKUlT_SE_SF_SG_E_clIS8_S8_S9_S9_EESD_ST_SE_SF_SG_EUlST_E1_NS1_11comp_targetILNS1_3genE8ELNS1_11target_archE1030ELNS1_3gpuE2ELNS1_3repE0EEENS1_36merge_oddeven_config_static_selectorELNS0_4arch9wavefront6targetE0EEEvSF_: ; @_ZN7rocprim17ROCPRIM_400000_NS6detail17trampoline_kernelINS0_14default_configENS1_38merge_sort_block_merge_config_selectorIdNS0_10empty_typeEEEZZNS1_27merge_sort_block_merge_implIS3_PdPS5_jNS1_19radix_merge_compareILb0ELb0EdNS0_19identity_decomposerEEEEE10hipError_tT0_T1_T2_jT3_P12ihipStream_tbPNSt15iterator_traitsISE_E10value_typeEPNSK_ISF_E10value_typeEPSG_NS1_7vsmem_tEENKUlT_SE_SF_SG_E_clIS8_S8_S9_S9_EESD_ST_SE_SF_SG_EUlST_E1_NS1_11comp_targetILNS1_3genE8ELNS1_11target_archE1030ELNS1_3gpuE2ELNS1_3repE0EEENS1_36merge_oddeven_config_static_selectorELNS0_4arch9wavefront6targetE0EEEvSF_
; %bb.0:
	.section	.rodata,"a",@progbits
	.p2align	6, 0x0
	.amdhsa_kernel _ZN7rocprim17ROCPRIM_400000_NS6detail17trampoline_kernelINS0_14default_configENS1_38merge_sort_block_merge_config_selectorIdNS0_10empty_typeEEEZZNS1_27merge_sort_block_merge_implIS3_PdPS5_jNS1_19radix_merge_compareILb0ELb0EdNS0_19identity_decomposerEEEEE10hipError_tT0_T1_T2_jT3_P12ihipStream_tbPNSt15iterator_traitsISE_E10value_typeEPNSK_ISF_E10value_typeEPSG_NS1_7vsmem_tEENKUlT_SE_SF_SG_E_clIS8_S8_S9_S9_EESD_ST_SE_SF_SG_EUlST_E1_NS1_11comp_targetILNS1_3genE8ELNS1_11target_archE1030ELNS1_3gpuE2ELNS1_3repE0EEENS1_36merge_oddeven_config_static_selectorELNS0_4arch9wavefront6targetE0EEEvSF_
		.amdhsa_group_segment_fixed_size 0
		.amdhsa_private_segment_fixed_size 0
		.amdhsa_kernarg_size 48
		.amdhsa_user_sgpr_count 2
		.amdhsa_user_sgpr_dispatch_ptr 0
		.amdhsa_user_sgpr_queue_ptr 0
		.amdhsa_user_sgpr_kernarg_segment_ptr 1
		.amdhsa_user_sgpr_dispatch_id 0
		.amdhsa_user_sgpr_kernarg_preload_length 0
		.amdhsa_user_sgpr_kernarg_preload_offset 0
		.amdhsa_user_sgpr_private_segment_size 0
		.amdhsa_wavefront_size32 1
		.amdhsa_uses_dynamic_stack 0
		.amdhsa_enable_private_segment 0
		.amdhsa_system_sgpr_workgroup_id_x 1
		.amdhsa_system_sgpr_workgroup_id_y 0
		.amdhsa_system_sgpr_workgroup_id_z 0
		.amdhsa_system_sgpr_workgroup_info 0
		.amdhsa_system_vgpr_workitem_id 0
		.amdhsa_next_free_vgpr 1
		.amdhsa_next_free_sgpr 1
		.amdhsa_named_barrier_count 0
		.amdhsa_reserve_vcc 0
		.amdhsa_float_round_mode_32 0
		.amdhsa_float_round_mode_16_64 0
		.amdhsa_float_denorm_mode_32 3
		.amdhsa_float_denorm_mode_16_64 3
		.amdhsa_fp16_overflow 0
		.amdhsa_memory_ordered 1
		.amdhsa_forward_progress 1
		.amdhsa_inst_pref_size 0
		.amdhsa_round_robin_scheduling 0
		.amdhsa_exception_fp_ieee_invalid_op 0
		.amdhsa_exception_fp_denorm_src 0
		.amdhsa_exception_fp_ieee_div_zero 0
		.amdhsa_exception_fp_ieee_overflow 0
		.amdhsa_exception_fp_ieee_underflow 0
		.amdhsa_exception_fp_ieee_inexact 0
		.amdhsa_exception_int_div_zero 0
	.end_amdhsa_kernel
	.section	.text._ZN7rocprim17ROCPRIM_400000_NS6detail17trampoline_kernelINS0_14default_configENS1_38merge_sort_block_merge_config_selectorIdNS0_10empty_typeEEEZZNS1_27merge_sort_block_merge_implIS3_PdPS5_jNS1_19radix_merge_compareILb0ELb0EdNS0_19identity_decomposerEEEEE10hipError_tT0_T1_T2_jT3_P12ihipStream_tbPNSt15iterator_traitsISE_E10value_typeEPNSK_ISF_E10value_typeEPSG_NS1_7vsmem_tEENKUlT_SE_SF_SG_E_clIS8_S8_S9_S9_EESD_ST_SE_SF_SG_EUlST_E1_NS1_11comp_targetILNS1_3genE8ELNS1_11target_archE1030ELNS1_3gpuE2ELNS1_3repE0EEENS1_36merge_oddeven_config_static_selectorELNS0_4arch9wavefront6targetE0EEEvSF_,"axG",@progbits,_ZN7rocprim17ROCPRIM_400000_NS6detail17trampoline_kernelINS0_14default_configENS1_38merge_sort_block_merge_config_selectorIdNS0_10empty_typeEEEZZNS1_27merge_sort_block_merge_implIS3_PdPS5_jNS1_19radix_merge_compareILb0ELb0EdNS0_19identity_decomposerEEEEE10hipError_tT0_T1_T2_jT3_P12ihipStream_tbPNSt15iterator_traitsISE_E10value_typeEPNSK_ISF_E10value_typeEPSG_NS1_7vsmem_tEENKUlT_SE_SF_SG_E_clIS8_S8_S9_S9_EESD_ST_SE_SF_SG_EUlST_E1_NS1_11comp_targetILNS1_3genE8ELNS1_11target_archE1030ELNS1_3gpuE2ELNS1_3repE0EEENS1_36merge_oddeven_config_static_selectorELNS0_4arch9wavefront6targetE0EEEvSF_,comdat
.Lfunc_end1586:
	.size	_ZN7rocprim17ROCPRIM_400000_NS6detail17trampoline_kernelINS0_14default_configENS1_38merge_sort_block_merge_config_selectorIdNS0_10empty_typeEEEZZNS1_27merge_sort_block_merge_implIS3_PdPS5_jNS1_19radix_merge_compareILb0ELb0EdNS0_19identity_decomposerEEEEE10hipError_tT0_T1_T2_jT3_P12ihipStream_tbPNSt15iterator_traitsISE_E10value_typeEPNSK_ISF_E10value_typeEPSG_NS1_7vsmem_tEENKUlT_SE_SF_SG_E_clIS8_S8_S9_S9_EESD_ST_SE_SF_SG_EUlST_E1_NS1_11comp_targetILNS1_3genE8ELNS1_11target_archE1030ELNS1_3gpuE2ELNS1_3repE0EEENS1_36merge_oddeven_config_static_selectorELNS0_4arch9wavefront6targetE0EEEvSF_, .Lfunc_end1586-_ZN7rocprim17ROCPRIM_400000_NS6detail17trampoline_kernelINS0_14default_configENS1_38merge_sort_block_merge_config_selectorIdNS0_10empty_typeEEEZZNS1_27merge_sort_block_merge_implIS3_PdPS5_jNS1_19radix_merge_compareILb0ELb0EdNS0_19identity_decomposerEEEEE10hipError_tT0_T1_T2_jT3_P12ihipStream_tbPNSt15iterator_traitsISE_E10value_typeEPNSK_ISF_E10value_typeEPSG_NS1_7vsmem_tEENKUlT_SE_SF_SG_E_clIS8_S8_S9_S9_EESD_ST_SE_SF_SG_EUlST_E1_NS1_11comp_targetILNS1_3genE8ELNS1_11target_archE1030ELNS1_3gpuE2ELNS1_3repE0EEENS1_36merge_oddeven_config_static_selectorELNS0_4arch9wavefront6targetE0EEEvSF_
                                        ; -- End function
	.set _ZN7rocprim17ROCPRIM_400000_NS6detail17trampoline_kernelINS0_14default_configENS1_38merge_sort_block_merge_config_selectorIdNS0_10empty_typeEEEZZNS1_27merge_sort_block_merge_implIS3_PdPS5_jNS1_19radix_merge_compareILb0ELb0EdNS0_19identity_decomposerEEEEE10hipError_tT0_T1_T2_jT3_P12ihipStream_tbPNSt15iterator_traitsISE_E10value_typeEPNSK_ISF_E10value_typeEPSG_NS1_7vsmem_tEENKUlT_SE_SF_SG_E_clIS8_S8_S9_S9_EESD_ST_SE_SF_SG_EUlST_E1_NS1_11comp_targetILNS1_3genE8ELNS1_11target_archE1030ELNS1_3gpuE2ELNS1_3repE0EEENS1_36merge_oddeven_config_static_selectorELNS0_4arch9wavefront6targetE0EEEvSF_.num_vgpr, 0
	.set _ZN7rocprim17ROCPRIM_400000_NS6detail17trampoline_kernelINS0_14default_configENS1_38merge_sort_block_merge_config_selectorIdNS0_10empty_typeEEEZZNS1_27merge_sort_block_merge_implIS3_PdPS5_jNS1_19radix_merge_compareILb0ELb0EdNS0_19identity_decomposerEEEEE10hipError_tT0_T1_T2_jT3_P12ihipStream_tbPNSt15iterator_traitsISE_E10value_typeEPNSK_ISF_E10value_typeEPSG_NS1_7vsmem_tEENKUlT_SE_SF_SG_E_clIS8_S8_S9_S9_EESD_ST_SE_SF_SG_EUlST_E1_NS1_11comp_targetILNS1_3genE8ELNS1_11target_archE1030ELNS1_3gpuE2ELNS1_3repE0EEENS1_36merge_oddeven_config_static_selectorELNS0_4arch9wavefront6targetE0EEEvSF_.num_agpr, 0
	.set _ZN7rocprim17ROCPRIM_400000_NS6detail17trampoline_kernelINS0_14default_configENS1_38merge_sort_block_merge_config_selectorIdNS0_10empty_typeEEEZZNS1_27merge_sort_block_merge_implIS3_PdPS5_jNS1_19radix_merge_compareILb0ELb0EdNS0_19identity_decomposerEEEEE10hipError_tT0_T1_T2_jT3_P12ihipStream_tbPNSt15iterator_traitsISE_E10value_typeEPNSK_ISF_E10value_typeEPSG_NS1_7vsmem_tEENKUlT_SE_SF_SG_E_clIS8_S8_S9_S9_EESD_ST_SE_SF_SG_EUlST_E1_NS1_11comp_targetILNS1_3genE8ELNS1_11target_archE1030ELNS1_3gpuE2ELNS1_3repE0EEENS1_36merge_oddeven_config_static_selectorELNS0_4arch9wavefront6targetE0EEEvSF_.numbered_sgpr, 0
	.set _ZN7rocprim17ROCPRIM_400000_NS6detail17trampoline_kernelINS0_14default_configENS1_38merge_sort_block_merge_config_selectorIdNS0_10empty_typeEEEZZNS1_27merge_sort_block_merge_implIS3_PdPS5_jNS1_19radix_merge_compareILb0ELb0EdNS0_19identity_decomposerEEEEE10hipError_tT0_T1_T2_jT3_P12ihipStream_tbPNSt15iterator_traitsISE_E10value_typeEPNSK_ISF_E10value_typeEPSG_NS1_7vsmem_tEENKUlT_SE_SF_SG_E_clIS8_S8_S9_S9_EESD_ST_SE_SF_SG_EUlST_E1_NS1_11comp_targetILNS1_3genE8ELNS1_11target_archE1030ELNS1_3gpuE2ELNS1_3repE0EEENS1_36merge_oddeven_config_static_selectorELNS0_4arch9wavefront6targetE0EEEvSF_.num_named_barrier, 0
	.set _ZN7rocprim17ROCPRIM_400000_NS6detail17trampoline_kernelINS0_14default_configENS1_38merge_sort_block_merge_config_selectorIdNS0_10empty_typeEEEZZNS1_27merge_sort_block_merge_implIS3_PdPS5_jNS1_19radix_merge_compareILb0ELb0EdNS0_19identity_decomposerEEEEE10hipError_tT0_T1_T2_jT3_P12ihipStream_tbPNSt15iterator_traitsISE_E10value_typeEPNSK_ISF_E10value_typeEPSG_NS1_7vsmem_tEENKUlT_SE_SF_SG_E_clIS8_S8_S9_S9_EESD_ST_SE_SF_SG_EUlST_E1_NS1_11comp_targetILNS1_3genE8ELNS1_11target_archE1030ELNS1_3gpuE2ELNS1_3repE0EEENS1_36merge_oddeven_config_static_selectorELNS0_4arch9wavefront6targetE0EEEvSF_.private_seg_size, 0
	.set _ZN7rocprim17ROCPRIM_400000_NS6detail17trampoline_kernelINS0_14default_configENS1_38merge_sort_block_merge_config_selectorIdNS0_10empty_typeEEEZZNS1_27merge_sort_block_merge_implIS3_PdPS5_jNS1_19radix_merge_compareILb0ELb0EdNS0_19identity_decomposerEEEEE10hipError_tT0_T1_T2_jT3_P12ihipStream_tbPNSt15iterator_traitsISE_E10value_typeEPNSK_ISF_E10value_typeEPSG_NS1_7vsmem_tEENKUlT_SE_SF_SG_E_clIS8_S8_S9_S9_EESD_ST_SE_SF_SG_EUlST_E1_NS1_11comp_targetILNS1_3genE8ELNS1_11target_archE1030ELNS1_3gpuE2ELNS1_3repE0EEENS1_36merge_oddeven_config_static_selectorELNS0_4arch9wavefront6targetE0EEEvSF_.uses_vcc, 0
	.set _ZN7rocprim17ROCPRIM_400000_NS6detail17trampoline_kernelINS0_14default_configENS1_38merge_sort_block_merge_config_selectorIdNS0_10empty_typeEEEZZNS1_27merge_sort_block_merge_implIS3_PdPS5_jNS1_19radix_merge_compareILb0ELb0EdNS0_19identity_decomposerEEEEE10hipError_tT0_T1_T2_jT3_P12ihipStream_tbPNSt15iterator_traitsISE_E10value_typeEPNSK_ISF_E10value_typeEPSG_NS1_7vsmem_tEENKUlT_SE_SF_SG_E_clIS8_S8_S9_S9_EESD_ST_SE_SF_SG_EUlST_E1_NS1_11comp_targetILNS1_3genE8ELNS1_11target_archE1030ELNS1_3gpuE2ELNS1_3repE0EEENS1_36merge_oddeven_config_static_selectorELNS0_4arch9wavefront6targetE0EEEvSF_.uses_flat_scratch, 0
	.set _ZN7rocprim17ROCPRIM_400000_NS6detail17trampoline_kernelINS0_14default_configENS1_38merge_sort_block_merge_config_selectorIdNS0_10empty_typeEEEZZNS1_27merge_sort_block_merge_implIS3_PdPS5_jNS1_19radix_merge_compareILb0ELb0EdNS0_19identity_decomposerEEEEE10hipError_tT0_T1_T2_jT3_P12ihipStream_tbPNSt15iterator_traitsISE_E10value_typeEPNSK_ISF_E10value_typeEPSG_NS1_7vsmem_tEENKUlT_SE_SF_SG_E_clIS8_S8_S9_S9_EESD_ST_SE_SF_SG_EUlST_E1_NS1_11comp_targetILNS1_3genE8ELNS1_11target_archE1030ELNS1_3gpuE2ELNS1_3repE0EEENS1_36merge_oddeven_config_static_selectorELNS0_4arch9wavefront6targetE0EEEvSF_.has_dyn_sized_stack, 0
	.set _ZN7rocprim17ROCPRIM_400000_NS6detail17trampoline_kernelINS0_14default_configENS1_38merge_sort_block_merge_config_selectorIdNS0_10empty_typeEEEZZNS1_27merge_sort_block_merge_implIS3_PdPS5_jNS1_19radix_merge_compareILb0ELb0EdNS0_19identity_decomposerEEEEE10hipError_tT0_T1_T2_jT3_P12ihipStream_tbPNSt15iterator_traitsISE_E10value_typeEPNSK_ISF_E10value_typeEPSG_NS1_7vsmem_tEENKUlT_SE_SF_SG_E_clIS8_S8_S9_S9_EESD_ST_SE_SF_SG_EUlST_E1_NS1_11comp_targetILNS1_3genE8ELNS1_11target_archE1030ELNS1_3gpuE2ELNS1_3repE0EEENS1_36merge_oddeven_config_static_selectorELNS0_4arch9wavefront6targetE0EEEvSF_.has_recursion, 0
	.set _ZN7rocprim17ROCPRIM_400000_NS6detail17trampoline_kernelINS0_14default_configENS1_38merge_sort_block_merge_config_selectorIdNS0_10empty_typeEEEZZNS1_27merge_sort_block_merge_implIS3_PdPS5_jNS1_19radix_merge_compareILb0ELb0EdNS0_19identity_decomposerEEEEE10hipError_tT0_T1_T2_jT3_P12ihipStream_tbPNSt15iterator_traitsISE_E10value_typeEPNSK_ISF_E10value_typeEPSG_NS1_7vsmem_tEENKUlT_SE_SF_SG_E_clIS8_S8_S9_S9_EESD_ST_SE_SF_SG_EUlST_E1_NS1_11comp_targetILNS1_3genE8ELNS1_11target_archE1030ELNS1_3gpuE2ELNS1_3repE0EEENS1_36merge_oddeven_config_static_selectorELNS0_4arch9wavefront6targetE0EEEvSF_.has_indirect_call, 0
	.section	.AMDGPU.csdata,"",@progbits
; Kernel info:
; codeLenInByte = 0
; TotalNumSgprs: 0
; NumVgprs: 0
; ScratchSize: 0
; MemoryBound: 0
; FloatMode: 240
; IeeeMode: 1
; LDSByteSize: 0 bytes/workgroup (compile time only)
; SGPRBlocks: 0
; VGPRBlocks: 0
; NumSGPRsForWavesPerEU: 1
; NumVGPRsForWavesPerEU: 1
; NamedBarCnt: 0
; Occupancy: 16
; WaveLimiterHint : 0
; COMPUTE_PGM_RSRC2:SCRATCH_EN: 0
; COMPUTE_PGM_RSRC2:USER_SGPR: 2
; COMPUTE_PGM_RSRC2:TRAP_HANDLER: 0
; COMPUTE_PGM_RSRC2:TGID_X_EN: 1
; COMPUTE_PGM_RSRC2:TGID_Y_EN: 0
; COMPUTE_PGM_RSRC2:TGID_Z_EN: 0
; COMPUTE_PGM_RSRC2:TIDIG_COMP_CNT: 0
	.section	.text._ZN7rocprim17ROCPRIM_400000_NS6detail17trampoline_kernelINS0_14default_configENS1_35radix_sort_onesweep_config_selectorIdNS0_10empty_typeEEEZNS1_34radix_sort_onesweep_global_offsetsIS3_Lb0EPKdPS5_mNS0_19identity_decomposerEEE10hipError_tT1_T2_PT3_SF_jT4_jjP12ihipStream_tbEUlT_E_NS1_11comp_targetILNS1_3genE0ELNS1_11target_archE4294967295ELNS1_3gpuE0ELNS1_3repE0EEENS1_52radix_sort_onesweep_histogram_config_static_selectorELNS0_4arch9wavefront6targetE0EEEvSD_,"axG",@progbits,_ZN7rocprim17ROCPRIM_400000_NS6detail17trampoline_kernelINS0_14default_configENS1_35radix_sort_onesweep_config_selectorIdNS0_10empty_typeEEEZNS1_34radix_sort_onesweep_global_offsetsIS3_Lb0EPKdPS5_mNS0_19identity_decomposerEEE10hipError_tT1_T2_PT3_SF_jT4_jjP12ihipStream_tbEUlT_E_NS1_11comp_targetILNS1_3genE0ELNS1_11target_archE4294967295ELNS1_3gpuE0ELNS1_3repE0EEENS1_52radix_sort_onesweep_histogram_config_static_selectorELNS0_4arch9wavefront6targetE0EEEvSD_,comdat
	.protected	_ZN7rocprim17ROCPRIM_400000_NS6detail17trampoline_kernelINS0_14default_configENS1_35radix_sort_onesweep_config_selectorIdNS0_10empty_typeEEEZNS1_34radix_sort_onesweep_global_offsetsIS3_Lb0EPKdPS5_mNS0_19identity_decomposerEEE10hipError_tT1_T2_PT3_SF_jT4_jjP12ihipStream_tbEUlT_E_NS1_11comp_targetILNS1_3genE0ELNS1_11target_archE4294967295ELNS1_3gpuE0ELNS1_3repE0EEENS1_52radix_sort_onesweep_histogram_config_static_selectorELNS0_4arch9wavefront6targetE0EEEvSD_ ; -- Begin function _ZN7rocprim17ROCPRIM_400000_NS6detail17trampoline_kernelINS0_14default_configENS1_35radix_sort_onesweep_config_selectorIdNS0_10empty_typeEEEZNS1_34radix_sort_onesweep_global_offsetsIS3_Lb0EPKdPS5_mNS0_19identity_decomposerEEE10hipError_tT1_T2_PT3_SF_jT4_jjP12ihipStream_tbEUlT_E_NS1_11comp_targetILNS1_3genE0ELNS1_11target_archE4294967295ELNS1_3gpuE0ELNS1_3repE0EEENS1_52radix_sort_onesweep_histogram_config_static_selectorELNS0_4arch9wavefront6targetE0EEEvSD_
	.globl	_ZN7rocprim17ROCPRIM_400000_NS6detail17trampoline_kernelINS0_14default_configENS1_35radix_sort_onesweep_config_selectorIdNS0_10empty_typeEEEZNS1_34radix_sort_onesweep_global_offsetsIS3_Lb0EPKdPS5_mNS0_19identity_decomposerEEE10hipError_tT1_T2_PT3_SF_jT4_jjP12ihipStream_tbEUlT_E_NS1_11comp_targetILNS1_3genE0ELNS1_11target_archE4294967295ELNS1_3gpuE0ELNS1_3repE0EEENS1_52radix_sort_onesweep_histogram_config_static_selectorELNS0_4arch9wavefront6targetE0EEEvSD_
	.p2align	8
	.type	_ZN7rocprim17ROCPRIM_400000_NS6detail17trampoline_kernelINS0_14default_configENS1_35radix_sort_onesweep_config_selectorIdNS0_10empty_typeEEEZNS1_34radix_sort_onesweep_global_offsetsIS3_Lb0EPKdPS5_mNS0_19identity_decomposerEEE10hipError_tT1_T2_PT3_SF_jT4_jjP12ihipStream_tbEUlT_E_NS1_11comp_targetILNS1_3genE0ELNS1_11target_archE4294967295ELNS1_3gpuE0ELNS1_3repE0EEENS1_52radix_sort_onesweep_histogram_config_static_selectorELNS0_4arch9wavefront6targetE0EEEvSD_,@function
_ZN7rocprim17ROCPRIM_400000_NS6detail17trampoline_kernelINS0_14default_configENS1_35radix_sort_onesweep_config_selectorIdNS0_10empty_typeEEEZNS1_34radix_sort_onesweep_global_offsetsIS3_Lb0EPKdPS5_mNS0_19identity_decomposerEEE10hipError_tT1_T2_PT3_SF_jT4_jjP12ihipStream_tbEUlT_E_NS1_11comp_targetILNS1_3genE0ELNS1_11target_archE4294967295ELNS1_3gpuE0ELNS1_3repE0EEENS1_52radix_sort_onesweep_histogram_config_static_selectorELNS0_4arch9wavefront6targetE0EEEvSD_: ; @_ZN7rocprim17ROCPRIM_400000_NS6detail17trampoline_kernelINS0_14default_configENS1_35radix_sort_onesweep_config_selectorIdNS0_10empty_typeEEEZNS1_34radix_sort_onesweep_global_offsetsIS3_Lb0EPKdPS5_mNS0_19identity_decomposerEEE10hipError_tT1_T2_PT3_SF_jT4_jjP12ihipStream_tbEUlT_E_NS1_11comp_targetILNS1_3genE0ELNS1_11target_archE4294967295ELNS1_3gpuE0ELNS1_3repE0EEENS1_52radix_sort_onesweep_histogram_config_static_selectorELNS0_4arch9wavefront6targetE0EEEvSD_
; %bb.0:
	s_clause 0x1
	s_load_b64 s[8:9], s[0:1], 0x18
	s_load_b128 s[4:7], s[0:1], 0x0
	s_bfe_u32 s10, ttmp6, 0x4000c
	s_load_b64 s[2:3], s[0:1], 0x24
	s_add_co_i32 s10, s10, 1
	s_and_b32 s11, ttmp6, 15
	s_mul_i32 s10, ttmp9, s10
	s_getreg_b32 s12, hwreg(HW_REG_IB_STS2, 6, 4)
	s_add_co_i32 s10, s11, s10
	s_cmp_eq_u32 s12, 0
	s_mov_b32 s11, 0
	s_cselect_b32 s10, ttmp9, s10
	s_wait_kmcnt 0x0
	v_cmp_le_u64_e64 s9, s[8:9], s[10:11]
	s_lshl_b64 s[10:11], s[10:11], 15
	s_delay_alu instid0(SALU_CYCLE_1)
	s_add_nc_u64 s[4:5], s[4:5], s[10:11]
	s_and_b32 vcc_lo, exec_lo, s9
	s_mov_b32 s9, -1
	s_cbranch_vccz .LBB1587_321
; %bb.1:
	s_load_b32 s0, s[0:1], 0x10
	s_wait_xcnt 0x0
	s_lshl_b32 s1, s8, 12
                                        ; implicit-def: $vgpr16_vgpr17
	s_wait_kmcnt 0x0
	s_sub_co_i32 s1, s0, s1
	s_mov_b32 s0, exec_lo
	v_cmpx_gt_u32_e64 s1, v0
	s_cbranch_execz .LBB1587_3
; %bb.2:
	global_load_b64 v[16:17], v0, s[4:5] scale_offset
.LBB1587_3:
	s_wait_xcnt 0x0
	s_or_b32 exec_lo, exec_lo, s0
	v_or_b32_e32 v24, 0x200, v0
	s_mov_b32 s0, exec_lo
                                        ; implicit-def: $vgpr14_vgpr15
	s_delay_alu instid0(VALU_DEP_1)
	v_cmpx_gt_u32_e64 s1, v24
	s_cbranch_execz .LBB1587_5
; %bb.4:
	global_load_b64 v[14:15], v0, s[4:5] offset:4096 scale_offset
.LBB1587_5:
	s_wait_xcnt 0x0
	s_or_b32 exec_lo, exec_lo, s0
	v_or_b32_e32 v23, 0x400, v0
	s_mov_b32 s0, exec_lo
                                        ; implicit-def: $vgpr12_vgpr13
	s_delay_alu instid0(VALU_DEP_1)
	v_cmpx_gt_u32_e64 s1, v23
	s_cbranch_execz .LBB1587_7
; %bb.6:
	global_load_b64 v[12:13], v0, s[4:5] offset:8192 scale_offset
.LBB1587_7:
	s_wait_xcnt 0x0
	s_or_b32 exec_lo, exec_lo, s0
	v_or_b32_e32 v22, 0x600, v0
	s_mov_b32 s0, exec_lo
                                        ; implicit-def: $vgpr10_vgpr11
	s_delay_alu instid0(VALU_DEP_1)
	v_cmpx_gt_u32_e64 s1, v22
	s_cbranch_execz .LBB1587_9
; %bb.8:
	global_load_b64 v[10:11], v0, s[4:5] offset:12288 scale_offset
.LBB1587_9:
	s_wait_xcnt 0x0
	s_or_b32 exec_lo, exec_lo, s0
	v_or_b32_e32 v21, 0x800, v0
	s_mov_b32 s0, exec_lo
                                        ; implicit-def: $vgpr8_vgpr9
	s_delay_alu instid0(VALU_DEP_1)
	v_cmpx_gt_u32_e64 s1, v21
	s_cbranch_execz .LBB1587_11
; %bb.10:
	global_load_b64 v[8:9], v0, s[4:5] offset:16384 scale_offset
.LBB1587_11:
	s_wait_xcnt 0x0
	s_or_b32 exec_lo, exec_lo, s0
	v_or_b32_e32 v20, 0xa00, v0
	s_mov_b32 s0, exec_lo
                                        ; implicit-def: $vgpr6_vgpr7
	s_delay_alu instid0(VALU_DEP_1)
	v_cmpx_gt_u32_e64 s1, v20
	s_cbranch_execz .LBB1587_13
; %bb.12:
	global_load_b64 v[6:7], v0, s[4:5] offset:20480 scale_offset
.LBB1587_13:
	s_wait_xcnt 0x0
	s_or_b32 exec_lo, exec_lo, s0
	v_or_b32_e32 v19, 0xc00, v0
	s_mov_b32 s0, exec_lo
                                        ; implicit-def: $vgpr4_vgpr5
	s_delay_alu instid0(VALU_DEP_1)
	v_cmpx_gt_u32_e64 s1, v19
	s_cbranch_execz .LBB1587_15
; %bb.14:
	global_load_b64 v[4:5], v0, s[4:5] offset:24576 scale_offset
.LBB1587_15:
	s_wait_xcnt 0x0
	s_or_b32 exec_lo, exec_lo, s0
	v_or_b32_e32 v18, 0xe00, v0
	s_mov_b32 s0, exec_lo
                                        ; implicit-def: $vgpr2_vgpr3
	s_delay_alu instid0(VALU_DEP_1)
	v_cmpx_gt_u32_e64 s1, v18
	s_cbranch_execz .LBB1587_17
; %bb.16:
	global_load_b64 v[2:3], v0, s[4:5] offset:28672 scale_offset
.LBB1587_17:
	s_wait_xcnt 0x0
	s_or_b32 exec_lo, exec_lo, s0
	v_or_b32_e32 v1, 0xfffffe00, v0
	v_dual_mov_b32 v26, 0 :: v_dual_lshlrev_b32 v25, 2, v0
	s_mov_b32 s0, 0
.LBB1587_18:                            ; =>This Inner Loop Header: Depth=1
	s_delay_alu instid0(VALU_DEP_2) | instskip(SKIP_4) | instid1(SALU_CYCLE_1)
	v_add_nc_u32_e32 v1, 0x200, v1
	ds_store_b32 v25, v26
	v_add_nc_u32_e32 v25, 0x800, v25
	v_cmp_lt_u32_e32 vcc_lo, 0x1dff, v1
	s_or_b32 s0, vcc_lo, s0
	s_and_not1_b32 exec_lo, exec_lo, s0
	s_cbranch_execnz .LBB1587_18
; %bb.19:
	s_or_b32 exec_lo, exec_lo, s0
	s_wait_loadcnt 0x0
	v_cmp_lt_i64_e32 vcc_lo, -1, v[16:17]
	s_cmp_le_u32 s3, s2
	v_dual_ashrrev_i32 v26, 31, v17 :: v_dual_bitop2_b32 v1, 3, v0 bitop3:0x40
	s_cselect_b32 s8, -1, 0
	s_wait_dscnt 0x0
	s_and_b32 s0, s8, exec_lo
	v_cndmask_b32_e64 v25, -1, 0x80000000, vcc_lo
	v_cmp_le_u32_e32 vcc_lo, s1, v0
	s_cselect_b32 s9, 8, 10
	v_xor_b32_e32 v16, v26, v16
	s_barrier_signal -1
	v_dual_mov_b32 v25, s9 :: v_dual_bitop2_b32 v17, v25, v17 bitop3:0x14
	s_nor_b32 s0, s8, vcc_lo
	s_barrier_wait -1
	s_and_saveexec_b32 s10, s0
	s_cbranch_execz .LBB1587_21
; %bb.20:
	s_mov_b64 s[12:13], 0x7fffffffffffffff
	v_lshlrev_b32_e32 v25, 2, v1
	v_cmp_ne_u64_e64 s0, s[12:13], v[16:17]
	s_delay_alu instid0(VALU_DEP_1) | instskip(SKIP_2) | instid1(SALU_CYCLE_1)
	v_cndmask_b32_e64 v27, 0x80000000, v17, s0
	v_cndmask_b32_e64 v26, 0, v16, s0
	s_sub_co_i32 s0, s3, s2
	s_min_u32 s0, s0, 8
	s_delay_alu instid0(VALU_DEP_1) | instskip(NEXT) | instid1(VALU_DEP_1)
	v_lshrrev_b64 v[26:27], s2, v[26:27]
	v_bfe_u32 v26, v26, 0, s0
	s_delay_alu instid0(VALU_DEP_1)
	v_lshl_or_b32 v25, v26, 4, v25
	v_mov_b32_e32 v26, 1
	ds_add_u32 v25, v26
	v_mov_b32_e32 v25, 0
.LBB1587_21:
	s_or_b32 exec_lo, exec_lo, s10
	s_mov_b32 s11, -1
	s_mov_b32 s10, exec_lo
	s_delay_alu instid0(VALU_DEP_1)
	v_cmpx_gt_i32_e32 10, v25
; %bb.22:
	v_cmp_eq_u32_e64 s0, 0, v25
	s_or_not1_b32 s11, s0, exec_lo
; %bb.23:
	s_or_b32 exec_lo, exec_lo, s10
	s_and_saveexec_b32 s10, s11
	s_cbranch_execz .LBB1587_56
; %bb.24:
	s_add_co_i32 s12, s2, 8
	s_delay_alu instid0(SALU_CYCLE_1) | instskip(SKIP_1) | instid1(SALU_CYCLE_1)
	s_cmp_le_u32 s3, s12
	s_cselect_b32 s0, -1, 0
	s_and_b32 s11, s0, exec_lo
	s_cselect_b32 s11, 8, 10
	s_nor_b32 s0, s0, vcc_lo
	v_mov_b32_e32 v25, s11
	s_and_saveexec_b32 s11, s0
	s_cbranch_execz .LBB1587_26
; %bb.25:
	s_mov_b64 s[14:15], 0x7fffffffffffffff
	v_lshlrev_b32_e32 v25, 2, v1
	v_cmp_ne_u64_e64 s0, s[14:15], v[16:17]
	s_delay_alu instid0(VALU_DEP_1) | instskip(SKIP_2) | instid1(SALU_CYCLE_1)
	v_cndmask_b32_e64 v27, 0x80000000, v17, s0
	v_cndmask_b32_e64 v26, 0, v16, s0
	s_sub_co_i32 s0, s3, s12
	s_min_u32 s0, s0, 8
	s_delay_alu instid0(VALU_DEP_1) | instskip(NEXT) | instid1(VALU_DEP_1)
	v_lshrrev_b64 v[26:27], s12, v[26:27]
	v_bfe_u32 v26, v26, 0, s0
	s_delay_alu instid0(VALU_DEP_1)
	v_lshl_or_b32 v25, v26, 4, v25
	v_mov_b32_e32 v26, 1
	ds_add_u32 v25, v26 offset:4096
	v_mov_b32_e32 v25, 0
.LBB1587_26:
	s_or_b32 exec_lo, exec_lo, s11
	s_mov_b32 s11, -1
	s_mov_b32 s12, exec_lo
	s_delay_alu instid0(VALU_DEP_1)
	v_cmpx_gt_i32_e32 10, v25
; %bb.27:
	v_cmp_eq_u32_e64 s0, 0, v25
	s_or_not1_b32 s11, s0, exec_lo
; %bb.28:
	s_or_b32 exec_lo, exec_lo, s12
	s_delay_alu instid0(SALU_CYCLE_1)
	s_and_b32 exec_lo, exec_lo, s11
	s_cbranch_execz .LBB1587_56
; %bb.29:
	s_add_co_i32 s12, s2, 16
	s_delay_alu instid0(SALU_CYCLE_1) | instskip(SKIP_1) | instid1(SALU_CYCLE_1)
	s_cmp_le_u32 s3, s12
	s_cselect_b32 s0, -1, 0
	s_and_b32 s11, s0, exec_lo
	s_cselect_b32 s11, 8, 10
	s_nor_b32 s0, s0, vcc_lo
	v_mov_b32_e32 v25, s11
	s_and_saveexec_b32 s11, s0
	s_cbranch_execz .LBB1587_31
; %bb.30:
	s_mov_b64 s[14:15], 0x7fffffffffffffff
	v_lshlrev_b32_e32 v25, 2, v1
	v_cmp_ne_u64_e64 s0, s[14:15], v[16:17]
	s_delay_alu instid0(VALU_DEP_1) | instskip(SKIP_2) | instid1(SALU_CYCLE_1)
	v_cndmask_b32_e64 v27, 0x80000000, v17, s0
	v_cndmask_b32_e64 v26, 0, v16, s0
	s_sub_co_i32 s0, s3, s12
	s_min_u32 s0, s0, 8
	s_delay_alu instid0(VALU_DEP_1) | instskip(NEXT) | instid1(VALU_DEP_1)
	v_lshrrev_b64 v[26:27], s12, v[26:27]
	v_bfe_u32 v26, v26, 0, s0
	s_delay_alu instid0(VALU_DEP_1)
	v_lshl_or_b32 v25, v26, 4, v25
	v_mov_b32_e32 v26, 1
	ds_add_u32 v25, v26 offset:8192
	v_mov_b32_e32 v25, 0
.LBB1587_31:
	s_or_b32 exec_lo, exec_lo, s11
	s_mov_b32 s11, -1
	s_mov_b32 s12, exec_lo
	s_delay_alu instid0(VALU_DEP_1)
	v_cmpx_gt_i32_e32 10, v25
; %bb.32:
	v_cmp_eq_u32_e64 s0, 0, v25
	s_or_not1_b32 s11, s0, exec_lo
; %bb.33:
	s_or_b32 exec_lo, exec_lo, s12
	s_delay_alu instid0(SALU_CYCLE_1)
	s_and_b32 exec_lo, exec_lo, s11
	;; [unrolled: 42-line block ×6, first 2 shown]
	s_cbranch_execz .LBB1587_56
; %bb.54:
	s_add_co_i32 s0, s2, 56
	s_delay_alu instid0(SALU_CYCLE_1) | instskip(SKIP_2) | instid1(SALU_CYCLE_1)
	s_cmp_gt_u32 s3, s0
	s_cselect_b32 s11, -1, 0
	s_xor_b32 s12, vcc_lo, -1
	s_and_b32 s11, s11, s12
	s_delay_alu instid0(SALU_CYCLE_1)
	s_and_b32 exec_lo, exec_lo, s11
	s_cbranch_execz .LBB1587_56
; %bb.55:
	s_mov_b64 s[12:13], 0x7fffffffffffffff
	s_delay_alu instid0(SALU_CYCLE_1) | instskip(SKIP_2) | instid1(VALU_DEP_1)
	v_cmp_ne_u64_e32 vcc_lo, s[12:13], v[16:17]
	v_cndmask_b32_e32 v17, 0x80000000, v17, vcc_lo
	v_cndmask_b32_e32 v16, 0, v16, vcc_lo
	v_lshrrev_b64 v[16:17], s0, v[16:17]
	s_sub_co_i32 s0, s3, s0
	v_lshlrev_b32_e32 v17, 2, v1
	s_min_u32 s0, s0, 8
	s_delay_alu instid0(VALU_DEP_2) | instid1(SALU_CYCLE_1)
	v_bfe_u32 v16, v16, 0, s0
	s_delay_alu instid0(VALU_DEP_1)
	v_lshl_or_b32 v16, v16, 4, v17
	v_mov_b32_e32 v17, 1
	ds_add_u32 v16, v17 offset:28672
.LBB1587_56:
	s_or_b32 exec_lo, exec_lo, s10
	v_cmp_lt_i64_e32 vcc_lo, -1, v[14:15]
	v_cndmask_b32_e64 v16, -1, 0x80000000, vcc_lo
	v_ashrrev_i32_e32 v17, 31, v15
	v_cmp_le_u32_e32 vcc_lo, s1, v24
	s_delay_alu instid0(VALU_DEP_3) | instskip(NEXT) | instid1(VALU_DEP_3)
	v_xor_b32_e32 v15, v16, v15
	v_dual_mov_b32 v16, s9 :: v_dual_bitop2_b32 v14, v17, v14 bitop3:0x14
	s_nor_b32 s0, s8, vcc_lo
	s_delay_alu instid0(SALU_CYCLE_1)
	s_and_saveexec_b32 s10, s0
	s_cbranch_execz .LBB1587_58
; %bb.57:
	s_mov_b64 s[12:13], 0x7fffffffffffffff
	s_delay_alu instid0(SALU_CYCLE_1) | instskip(NEXT) | instid1(VALU_DEP_1)
	v_cmp_ne_u64_e64 s0, s[12:13], v[14:15]
	v_cndmask_b32_e64 v17, 0x80000000, v15, s0
	v_cndmask_b32_e64 v16, 0, v14, s0
	s_sub_co_i32 s0, s3, s2
	s_delay_alu instid0(SALU_CYCLE_1) | instskip(NEXT) | instid1(VALU_DEP_1)
	s_min_u32 s0, s0, 8
	v_lshrrev_b64 v[16:17], s2, v[16:17]
	v_lshlrev_b32_e32 v17, 2, v1
	s_delay_alu instid0(VALU_DEP_2) | instskip(NEXT) | instid1(VALU_DEP_1)
	v_bfe_u32 v16, v16, 0, s0
	v_lshl_or_b32 v16, v16, 4, v17
	v_mov_b32_e32 v17, 1
	ds_add_u32 v16, v17
	v_mov_b32_e32 v16, 0
.LBB1587_58:
	s_or_b32 exec_lo, exec_lo, s10
	s_mov_b32 s11, -1
	s_mov_b32 s10, exec_lo
	s_delay_alu instid0(VALU_DEP_1)
	v_cmpx_gt_i32_e32 10, v16
; %bb.59:
	v_cmp_eq_u32_e64 s0, 0, v16
	s_or_not1_b32 s11, s0, exec_lo
; %bb.60:
	s_or_b32 exec_lo, exec_lo, s10
	s_and_saveexec_b32 s10, s11
	s_cbranch_execz .LBB1587_93
; %bb.61:
	s_add_co_i32 s12, s2, 8
	s_delay_alu instid0(SALU_CYCLE_1) | instskip(SKIP_1) | instid1(SALU_CYCLE_1)
	s_cmp_le_u32 s3, s12
	s_cselect_b32 s0, -1, 0
	s_and_b32 s11, s0, exec_lo
	s_cselect_b32 s11, 8, 10
	s_nor_b32 s0, s0, vcc_lo
	v_mov_b32_e32 v16, s11
	s_and_saveexec_b32 s11, s0
	s_cbranch_execz .LBB1587_63
; %bb.62:
	s_mov_b64 s[14:15], 0x7fffffffffffffff
	s_delay_alu instid0(SALU_CYCLE_1) | instskip(NEXT) | instid1(VALU_DEP_1)
	v_cmp_ne_u64_e64 s0, s[14:15], v[14:15]
	v_cndmask_b32_e64 v17, 0x80000000, v15, s0
	v_cndmask_b32_e64 v16, 0, v14, s0
	s_sub_co_i32 s0, s3, s12
	s_delay_alu instid0(SALU_CYCLE_1) | instskip(NEXT) | instid1(VALU_DEP_1)
	s_min_u32 s0, s0, 8
	v_lshrrev_b64 v[16:17], s12, v[16:17]
	v_lshlrev_b32_e32 v17, 2, v1
	s_delay_alu instid0(VALU_DEP_2) | instskip(NEXT) | instid1(VALU_DEP_1)
	v_bfe_u32 v16, v16, 0, s0
	v_lshl_or_b32 v16, v16, 4, v17
	v_mov_b32_e32 v17, 1
	ds_add_u32 v16, v17 offset:4096
	v_mov_b32_e32 v16, 0
.LBB1587_63:
	s_or_b32 exec_lo, exec_lo, s11
	s_mov_b32 s11, -1
	s_mov_b32 s12, exec_lo
	s_delay_alu instid0(VALU_DEP_1)
	v_cmpx_gt_i32_e32 10, v16
; %bb.64:
	v_cmp_eq_u32_e64 s0, 0, v16
	s_or_not1_b32 s11, s0, exec_lo
; %bb.65:
	s_or_b32 exec_lo, exec_lo, s12
	s_delay_alu instid0(SALU_CYCLE_1)
	s_and_b32 exec_lo, exec_lo, s11
	s_cbranch_execz .LBB1587_93
; %bb.66:
	s_add_co_i32 s12, s2, 16
	s_delay_alu instid0(SALU_CYCLE_1) | instskip(SKIP_1) | instid1(SALU_CYCLE_1)
	s_cmp_le_u32 s3, s12
	s_cselect_b32 s0, -1, 0
	s_and_b32 s11, s0, exec_lo
	s_cselect_b32 s11, 8, 10
	s_nor_b32 s0, s0, vcc_lo
	v_mov_b32_e32 v16, s11
	s_and_saveexec_b32 s11, s0
	s_cbranch_execz .LBB1587_68
; %bb.67:
	s_mov_b64 s[14:15], 0x7fffffffffffffff
	s_delay_alu instid0(SALU_CYCLE_1) | instskip(NEXT) | instid1(VALU_DEP_1)
	v_cmp_ne_u64_e64 s0, s[14:15], v[14:15]
	v_cndmask_b32_e64 v17, 0x80000000, v15, s0
	v_cndmask_b32_e64 v16, 0, v14, s0
	s_sub_co_i32 s0, s3, s12
	s_delay_alu instid0(SALU_CYCLE_1) | instskip(NEXT) | instid1(VALU_DEP_1)
	s_min_u32 s0, s0, 8
	v_lshrrev_b64 v[16:17], s12, v[16:17]
	v_lshlrev_b32_e32 v17, 2, v1
	s_delay_alu instid0(VALU_DEP_2) | instskip(NEXT) | instid1(VALU_DEP_1)
	v_bfe_u32 v16, v16, 0, s0
	v_lshl_or_b32 v16, v16, 4, v17
	v_mov_b32_e32 v17, 1
	ds_add_u32 v16, v17 offset:8192
	v_mov_b32_e32 v16, 0
.LBB1587_68:
	s_or_b32 exec_lo, exec_lo, s11
	s_mov_b32 s11, -1
	s_mov_b32 s12, exec_lo
	s_delay_alu instid0(VALU_DEP_1)
	v_cmpx_gt_i32_e32 10, v16
; %bb.69:
	v_cmp_eq_u32_e64 s0, 0, v16
	s_or_not1_b32 s11, s0, exec_lo
; %bb.70:
	s_or_b32 exec_lo, exec_lo, s12
	s_delay_alu instid0(SALU_CYCLE_1)
	s_and_b32 exec_lo, exec_lo, s11
	;; [unrolled: 42-line block ×6, first 2 shown]
	s_cbranch_execz .LBB1587_93
; %bb.91:
	s_add_co_i32 s0, s2, 56
	s_delay_alu instid0(SALU_CYCLE_1) | instskip(SKIP_2) | instid1(SALU_CYCLE_1)
	s_cmp_gt_u32 s3, s0
	s_cselect_b32 s11, -1, 0
	s_xor_b32 s12, vcc_lo, -1
	s_and_b32 s11, s11, s12
	s_delay_alu instid0(SALU_CYCLE_1)
	s_and_b32 exec_lo, exec_lo, s11
	s_cbranch_execz .LBB1587_93
; %bb.92:
	s_mov_b64 s[12:13], 0x7fffffffffffffff
	s_delay_alu instid0(SALU_CYCLE_1) | instskip(SKIP_2) | instid1(VALU_DEP_1)
	v_cmp_ne_u64_e32 vcc_lo, s[12:13], v[14:15]
	v_cndmask_b32_e32 v15, 0x80000000, v15, vcc_lo
	v_cndmask_b32_e32 v14, 0, v14, vcc_lo
	v_lshrrev_b64 v[14:15], s0, v[14:15]
	s_sub_co_i32 s0, s3, s0
	v_lshlrev_b32_e32 v15, 2, v1
	s_min_u32 s0, s0, 8
	s_delay_alu instid0(VALU_DEP_2) | instid1(SALU_CYCLE_1)
	v_bfe_u32 v14, v14, 0, s0
	s_delay_alu instid0(VALU_DEP_1)
	v_lshl_or_b32 v14, v14, 4, v15
	v_mov_b32_e32 v15, 1
	ds_add_u32 v14, v15 offset:28672
.LBB1587_93:
	s_or_b32 exec_lo, exec_lo, s10
	v_cmp_lt_i64_e32 vcc_lo, -1, v[12:13]
	v_cndmask_b32_e64 v14, -1, 0x80000000, vcc_lo
	v_ashrrev_i32_e32 v15, 31, v13
	v_cmp_le_u32_e32 vcc_lo, s1, v23
	s_delay_alu instid0(VALU_DEP_3) | instskip(NEXT) | instid1(VALU_DEP_3)
	v_xor_b32_e32 v13, v14, v13
	v_dual_mov_b32 v14, s9 :: v_dual_bitop2_b32 v12, v15, v12 bitop3:0x14
	s_nor_b32 s0, s8, vcc_lo
	s_delay_alu instid0(SALU_CYCLE_1)
	s_and_saveexec_b32 s10, s0
	s_cbranch_execz .LBB1587_95
; %bb.94:
	s_mov_b64 s[12:13], 0x7fffffffffffffff
	s_delay_alu instid0(SALU_CYCLE_1) | instskip(NEXT) | instid1(VALU_DEP_1)
	v_cmp_ne_u64_e64 s0, s[12:13], v[12:13]
	v_cndmask_b32_e64 v15, 0x80000000, v13, s0
	v_cndmask_b32_e64 v14, 0, v12, s0
	s_sub_co_i32 s0, s3, s2
	s_delay_alu instid0(SALU_CYCLE_1) | instskip(NEXT) | instid1(VALU_DEP_1)
	s_min_u32 s0, s0, 8
	v_lshrrev_b64 v[14:15], s2, v[14:15]
	v_lshlrev_b32_e32 v15, 2, v1
	s_delay_alu instid0(VALU_DEP_2) | instskip(NEXT) | instid1(VALU_DEP_1)
	v_bfe_u32 v14, v14, 0, s0
	v_lshl_or_b32 v14, v14, 4, v15
	v_mov_b32_e32 v15, 1
	ds_add_u32 v14, v15
	v_mov_b32_e32 v14, 0
.LBB1587_95:
	s_or_b32 exec_lo, exec_lo, s10
	s_mov_b32 s11, -1
	s_mov_b32 s10, exec_lo
	s_delay_alu instid0(VALU_DEP_1)
	v_cmpx_gt_i32_e32 10, v14
; %bb.96:
	v_cmp_eq_u32_e64 s0, 0, v14
	s_or_not1_b32 s11, s0, exec_lo
; %bb.97:
	s_or_b32 exec_lo, exec_lo, s10
	s_and_saveexec_b32 s10, s11
	s_cbranch_execz .LBB1587_130
; %bb.98:
	s_add_co_i32 s12, s2, 8
	s_delay_alu instid0(SALU_CYCLE_1) | instskip(SKIP_1) | instid1(SALU_CYCLE_1)
	s_cmp_le_u32 s3, s12
	s_cselect_b32 s0, -1, 0
	s_and_b32 s11, s0, exec_lo
	s_cselect_b32 s11, 8, 10
	s_nor_b32 s0, s0, vcc_lo
	v_mov_b32_e32 v14, s11
	s_and_saveexec_b32 s11, s0
	s_cbranch_execz .LBB1587_100
; %bb.99:
	s_mov_b64 s[14:15], 0x7fffffffffffffff
	s_delay_alu instid0(SALU_CYCLE_1) | instskip(NEXT) | instid1(VALU_DEP_1)
	v_cmp_ne_u64_e64 s0, s[14:15], v[12:13]
	v_cndmask_b32_e64 v15, 0x80000000, v13, s0
	v_cndmask_b32_e64 v14, 0, v12, s0
	s_sub_co_i32 s0, s3, s12
	s_delay_alu instid0(SALU_CYCLE_1) | instskip(NEXT) | instid1(VALU_DEP_1)
	s_min_u32 s0, s0, 8
	v_lshrrev_b64 v[14:15], s12, v[14:15]
	v_lshlrev_b32_e32 v15, 2, v1
	s_delay_alu instid0(VALU_DEP_2) | instskip(NEXT) | instid1(VALU_DEP_1)
	v_bfe_u32 v14, v14, 0, s0
	v_lshl_or_b32 v14, v14, 4, v15
	v_mov_b32_e32 v15, 1
	ds_add_u32 v14, v15 offset:4096
	v_mov_b32_e32 v14, 0
.LBB1587_100:
	s_or_b32 exec_lo, exec_lo, s11
	s_mov_b32 s11, -1
	s_mov_b32 s12, exec_lo
	s_delay_alu instid0(VALU_DEP_1)
	v_cmpx_gt_i32_e32 10, v14
; %bb.101:
	v_cmp_eq_u32_e64 s0, 0, v14
	s_or_not1_b32 s11, s0, exec_lo
; %bb.102:
	s_or_b32 exec_lo, exec_lo, s12
	s_delay_alu instid0(SALU_CYCLE_1)
	s_and_b32 exec_lo, exec_lo, s11
	s_cbranch_execz .LBB1587_130
; %bb.103:
	s_add_co_i32 s12, s2, 16
	s_delay_alu instid0(SALU_CYCLE_1) | instskip(SKIP_1) | instid1(SALU_CYCLE_1)
	s_cmp_le_u32 s3, s12
	s_cselect_b32 s0, -1, 0
	s_and_b32 s11, s0, exec_lo
	s_cselect_b32 s11, 8, 10
	s_nor_b32 s0, s0, vcc_lo
	v_mov_b32_e32 v14, s11
	s_and_saveexec_b32 s11, s0
	s_cbranch_execz .LBB1587_105
; %bb.104:
	s_mov_b64 s[14:15], 0x7fffffffffffffff
	s_delay_alu instid0(SALU_CYCLE_1) | instskip(NEXT) | instid1(VALU_DEP_1)
	v_cmp_ne_u64_e64 s0, s[14:15], v[12:13]
	v_cndmask_b32_e64 v15, 0x80000000, v13, s0
	v_cndmask_b32_e64 v14, 0, v12, s0
	s_sub_co_i32 s0, s3, s12
	s_delay_alu instid0(SALU_CYCLE_1) | instskip(NEXT) | instid1(VALU_DEP_1)
	s_min_u32 s0, s0, 8
	v_lshrrev_b64 v[14:15], s12, v[14:15]
	v_lshlrev_b32_e32 v15, 2, v1
	s_delay_alu instid0(VALU_DEP_2) | instskip(NEXT) | instid1(VALU_DEP_1)
	v_bfe_u32 v14, v14, 0, s0
	v_lshl_or_b32 v14, v14, 4, v15
	v_mov_b32_e32 v15, 1
	ds_add_u32 v14, v15 offset:8192
	v_mov_b32_e32 v14, 0
.LBB1587_105:
	s_or_b32 exec_lo, exec_lo, s11
	s_mov_b32 s11, -1
	s_mov_b32 s12, exec_lo
	s_delay_alu instid0(VALU_DEP_1)
	v_cmpx_gt_i32_e32 10, v14
; %bb.106:
	v_cmp_eq_u32_e64 s0, 0, v14
	s_or_not1_b32 s11, s0, exec_lo
; %bb.107:
	s_or_b32 exec_lo, exec_lo, s12
	s_delay_alu instid0(SALU_CYCLE_1)
	s_and_b32 exec_lo, exec_lo, s11
	;; [unrolled: 42-line block ×6, first 2 shown]
	s_cbranch_execz .LBB1587_130
; %bb.128:
	s_add_co_i32 s0, s2, 56
	s_delay_alu instid0(SALU_CYCLE_1) | instskip(SKIP_2) | instid1(SALU_CYCLE_1)
	s_cmp_gt_u32 s3, s0
	s_cselect_b32 s11, -1, 0
	s_xor_b32 s12, vcc_lo, -1
	s_and_b32 s11, s11, s12
	s_delay_alu instid0(SALU_CYCLE_1)
	s_and_b32 exec_lo, exec_lo, s11
	s_cbranch_execz .LBB1587_130
; %bb.129:
	s_mov_b64 s[12:13], 0x7fffffffffffffff
	s_delay_alu instid0(SALU_CYCLE_1) | instskip(SKIP_2) | instid1(VALU_DEP_1)
	v_cmp_ne_u64_e32 vcc_lo, s[12:13], v[12:13]
	v_cndmask_b32_e32 v13, 0x80000000, v13, vcc_lo
	v_cndmask_b32_e32 v12, 0, v12, vcc_lo
	v_lshrrev_b64 v[12:13], s0, v[12:13]
	s_sub_co_i32 s0, s3, s0
	v_lshlrev_b32_e32 v13, 2, v1
	s_min_u32 s0, s0, 8
	s_delay_alu instid0(VALU_DEP_2) | instid1(SALU_CYCLE_1)
	v_bfe_u32 v12, v12, 0, s0
	s_delay_alu instid0(VALU_DEP_1)
	v_lshl_or_b32 v12, v12, 4, v13
	v_mov_b32_e32 v13, 1
	ds_add_u32 v12, v13 offset:28672
.LBB1587_130:
	s_or_b32 exec_lo, exec_lo, s10
	v_cmp_lt_i64_e32 vcc_lo, -1, v[10:11]
	v_cndmask_b32_e64 v12, -1, 0x80000000, vcc_lo
	v_ashrrev_i32_e32 v13, 31, v11
	v_cmp_le_u32_e32 vcc_lo, s1, v22
	s_delay_alu instid0(VALU_DEP_3) | instskip(NEXT) | instid1(VALU_DEP_3)
	v_xor_b32_e32 v11, v12, v11
	v_dual_mov_b32 v12, s9 :: v_dual_bitop2_b32 v10, v13, v10 bitop3:0x14
	s_nor_b32 s0, s8, vcc_lo
	s_delay_alu instid0(SALU_CYCLE_1)
	s_and_saveexec_b32 s10, s0
	s_cbranch_execz .LBB1587_132
; %bb.131:
	s_mov_b64 s[12:13], 0x7fffffffffffffff
	s_delay_alu instid0(SALU_CYCLE_1) | instskip(NEXT) | instid1(VALU_DEP_1)
	v_cmp_ne_u64_e64 s0, s[12:13], v[10:11]
	v_cndmask_b32_e64 v13, 0x80000000, v11, s0
	v_cndmask_b32_e64 v12, 0, v10, s0
	s_sub_co_i32 s0, s3, s2
	s_delay_alu instid0(SALU_CYCLE_1) | instskip(NEXT) | instid1(VALU_DEP_1)
	s_min_u32 s0, s0, 8
	v_lshrrev_b64 v[12:13], s2, v[12:13]
	v_lshlrev_b32_e32 v13, 2, v1
	s_delay_alu instid0(VALU_DEP_2) | instskip(NEXT) | instid1(VALU_DEP_1)
	v_bfe_u32 v12, v12, 0, s0
	v_lshl_or_b32 v12, v12, 4, v13
	v_mov_b32_e32 v13, 1
	ds_add_u32 v12, v13
	v_mov_b32_e32 v12, 0
.LBB1587_132:
	s_or_b32 exec_lo, exec_lo, s10
	s_mov_b32 s11, -1
	s_mov_b32 s10, exec_lo
	s_delay_alu instid0(VALU_DEP_1)
	v_cmpx_gt_i32_e32 10, v12
; %bb.133:
	v_cmp_eq_u32_e64 s0, 0, v12
	s_or_not1_b32 s11, s0, exec_lo
; %bb.134:
	s_or_b32 exec_lo, exec_lo, s10
	s_and_saveexec_b32 s10, s11
	s_cbranch_execz .LBB1587_167
; %bb.135:
	s_add_co_i32 s12, s2, 8
	s_delay_alu instid0(SALU_CYCLE_1) | instskip(SKIP_1) | instid1(SALU_CYCLE_1)
	s_cmp_le_u32 s3, s12
	s_cselect_b32 s0, -1, 0
	s_and_b32 s11, s0, exec_lo
	s_cselect_b32 s11, 8, 10
	s_nor_b32 s0, s0, vcc_lo
	v_mov_b32_e32 v12, s11
	s_and_saveexec_b32 s11, s0
	s_cbranch_execz .LBB1587_137
; %bb.136:
	s_mov_b64 s[14:15], 0x7fffffffffffffff
	s_delay_alu instid0(SALU_CYCLE_1) | instskip(NEXT) | instid1(VALU_DEP_1)
	v_cmp_ne_u64_e64 s0, s[14:15], v[10:11]
	v_cndmask_b32_e64 v13, 0x80000000, v11, s0
	v_cndmask_b32_e64 v12, 0, v10, s0
	s_sub_co_i32 s0, s3, s12
	s_delay_alu instid0(SALU_CYCLE_1) | instskip(NEXT) | instid1(VALU_DEP_1)
	s_min_u32 s0, s0, 8
	v_lshrrev_b64 v[12:13], s12, v[12:13]
	v_lshlrev_b32_e32 v13, 2, v1
	s_delay_alu instid0(VALU_DEP_2) | instskip(NEXT) | instid1(VALU_DEP_1)
	v_bfe_u32 v12, v12, 0, s0
	v_lshl_or_b32 v12, v12, 4, v13
	v_mov_b32_e32 v13, 1
	ds_add_u32 v12, v13 offset:4096
	v_mov_b32_e32 v12, 0
.LBB1587_137:
	s_or_b32 exec_lo, exec_lo, s11
	s_mov_b32 s11, -1
	s_mov_b32 s12, exec_lo
	s_delay_alu instid0(VALU_DEP_1)
	v_cmpx_gt_i32_e32 10, v12
; %bb.138:
	v_cmp_eq_u32_e64 s0, 0, v12
	s_or_not1_b32 s11, s0, exec_lo
; %bb.139:
	s_or_b32 exec_lo, exec_lo, s12
	s_delay_alu instid0(SALU_CYCLE_1)
	s_and_b32 exec_lo, exec_lo, s11
	s_cbranch_execz .LBB1587_167
; %bb.140:
	s_add_co_i32 s12, s2, 16
	s_delay_alu instid0(SALU_CYCLE_1) | instskip(SKIP_1) | instid1(SALU_CYCLE_1)
	s_cmp_le_u32 s3, s12
	s_cselect_b32 s0, -1, 0
	s_and_b32 s11, s0, exec_lo
	s_cselect_b32 s11, 8, 10
	s_nor_b32 s0, s0, vcc_lo
	v_mov_b32_e32 v12, s11
	s_and_saveexec_b32 s11, s0
	s_cbranch_execz .LBB1587_142
; %bb.141:
	s_mov_b64 s[14:15], 0x7fffffffffffffff
	s_delay_alu instid0(SALU_CYCLE_1) | instskip(NEXT) | instid1(VALU_DEP_1)
	v_cmp_ne_u64_e64 s0, s[14:15], v[10:11]
	v_cndmask_b32_e64 v13, 0x80000000, v11, s0
	v_cndmask_b32_e64 v12, 0, v10, s0
	s_sub_co_i32 s0, s3, s12
	s_delay_alu instid0(SALU_CYCLE_1) | instskip(NEXT) | instid1(VALU_DEP_1)
	s_min_u32 s0, s0, 8
	v_lshrrev_b64 v[12:13], s12, v[12:13]
	v_lshlrev_b32_e32 v13, 2, v1
	s_delay_alu instid0(VALU_DEP_2) | instskip(NEXT) | instid1(VALU_DEP_1)
	v_bfe_u32 v12, v12, 0, s0
	v_lshl_or_b32 v12, v12, 4, v13
	v_mov_b32_e32 v13, 1
	ds_add_u32 v12, v13 offset:8192
	v_mov_b32_e32 v12, 0
.LBB1587_142:
	s_or_b32 exec_lo, exec_lo, s11
	s_mov_b32 s11, -1
	s_mov_b32 s12, exec_lo
	s_delay_alu instid0(VALU_DEP_1)
	v_cmpx_gt_i32_e32 10, v12
; %bb.143:
	v_cmp_eq_u32_e64 s0, 0, v12
	s_or_not1_b32 s11, s0, exec_lo
; %bb.144:
	s_or_b32 exec_lo, exec_lo, s12
	s_delay_alu instid0(SALU_CYCLE_1)
	s_and_b32 exec_lo, exec_lo, s11
	;; [unrolled: 42-line block ×6, first 2 shown]
	s_cbranch_execz .LBB1587_167
; %bb.165:
	s_add_co_i32 s0, s2, 56
	s_delay_alu instid0(SALU_CYCLE_1) | instskip(SKIP_2) | instid1(SALU_CYCLE_1)
	s_cmp_gt_u32 s3, s0
	s_cselect_b32 s11, -1, 0
	s_xor_b32 s12, vcc_lo, -1
	s_and_b32 s11, s11, s12
	s_delay_alu instid0(SALU_CYCLE_1)
	s_and_b32 exec_lo, exec_lo, s11
	s_cbranch_execz .LBB1587_167
; %bb.166:
	s_mov_b64 s[12:13], 0x7fffffffffffffff
	s_delay_alu instid0(SALU_CYCLE_1) | instskip(SKIP_2) | instid1(VALU_DEP_1)
	v_cmp_ne_u64_e32 vcc_lo, s[12:13], v[10:11]
	v_cndmask_b32_e32 v11, 0x80000000, v11, vcc_lo
	v_cndmask_b32_e32 v10, 0, v10, vcc_lo
	v_lshrrev_b64 v[10:11], s0, v[10:11]
	s_sub_co_i32 s0, s3, s0
	v_lshlrev_b32_e32 v11, 2, v1
	s_min_u32 s0, s0, 8
	s_delay_alu instid0(VALU_DEP_2) | instid1(SALU_CYCLE_1)
	v_bfe_u32 v10, v10, 0, s0
	s_delay_alu instid0(VALU_DEP_1)
	v_lshl_or_b32 v10, v10, 4, v11
	v_mov_b32_e32 v11, 1
	ds_add_u32 v10, v11 offset:28672
.LBB1587_167:
	s_or_b32 exec_lo, exec_lo, s10
	v_cmp_lt_i64_e32 vcc_lo, -1, v[8:9]
	v_cndmask_b32_e64 v10, -1, 0x80000000, vcc_lo
	v_ashrrev_i32_e32 v11, 31, v9
	v_cmp_le_u32_e32 vcc_lo, s1, v21
	s_delay_alu instid0(VALU_DEP_3) | instskip(NEXT) | instid1(VALU_DEP_3)
	v_xor_b32_e32 v9, v10, v9
	v_dual_mov_b32 v10, s9 :: v_dual_bitop2_b32 v8, v11, v8 bitop3:0x14
	s_nor_b32 s0, s8, vcc_lo
	s_delay_alu instid0(SALU_CYCLE_1)
	s_and_saveexec_b32 s10, s0
	s_cbranch_execz .LBB1587_169
; %bb.168:
	s_mov_b64 s[12:13], 0x7fffffffffffffff
	s_delay_alu instid0(SALU_CYCLE_1) | instskip(NEXT) | instid1(VALU_DEP_1)
	v_cmp_ne_u64_e64 s0, s[12:13], v[8:9]
	v_cndmask_b32_e64 v11, 0x80000000, v9, s0
	v_cndmask_b32_e64 v10, 0, v8, s0
	s_sub_co_i32 s0, s3, s2
	s_delay_alu instid0(SALU_CYCLE_1) | instskip(NEXT) | instid1(VALU_DEP_1)
	s_min_u32 s0, s0, 8
	v_lshrrev_b64 v[10:11], s2, v[10:11]
	v_lshlrev_b32_e32 v11, 2, v1
	s_delay_alu instid0(VALU_DEP_2) | instskip(NEXT) | instid1(VALU_DEP_1)
	v_bfe_u32 v10, v10, 0, s0
	v_lshl_or_b32 v10, v10, 4, v11
	v_mov_b32_e32 v11, 1
	ds_add_u32 v10, v11
	v_mov_b32_e32 v10, 0
.LBB1587_169:
	s_or_b32 exec_lo, exec_lo, s10
	s_mov_b32 s11, -1
	s_mov_b32 s10, exec_lo
	s_delay_alu instid0(VALU_DEP_1)
	v_cmpx_gt_i32_e32 10, v10
; %bb.170:
	v_cmp_eq_u32_e64 s0, 0, v10
	s_or_not1_b32 s11, s0, exec_lo
; %bb.171:
	s_or_b32 exec_lo, exec_lo, s10
	s_and_saveexec_b32 s10, s11
	s_cbranch_execz .LBB1587_204
; %bb.172:
	s_add_co_i32 s12, s2, 8
	s_delay_alu instid0(SALU_CYCLE_1) | instskip(SKIP_1) | instid1(SALU_CYCLE_1)
	s_cmp_le_u32 s3, s12
	s_cselect_b32 s0, -1, 0
	s_and_b32 s11, s0, exec_lo
	s_cselect_b32 s11, 8, 10
	s_nor_b32 s0, s0, vcc_lo
	v_mov_b32_e32 v10, s11
	s_and_saveexec_b32 s11, s0
	s_cbranch_execz .LBB1587_174
; %bb.173:
	s_mov_b64 s[14:15], 0x7fffffffffffffff
	s_delay_alu instid0(SALU_CYCLE_1) | instskip(NEXT) | instid1(VALU_DEP_1)
	v_cmp_ne_u64_e64 s0, s[14:15], v[8:9]
	v_cndmask_b32_e64 v11, 0x80000000, v9, s0
	v_cndmask_b32_e64 v10, 0, v8, s0
	s_sub_co_i32 s0, s3, s12
	s_delay_alu instid0(SALU_CYCLE_1) | instskip(NEXT) | instid1(VALU_DEP_1)
	s_min_u32 s0, s0, 8
	v_lshrrev_b64 v[10:11], s12, v[10:11]
	v_lshlrev_b32_e32 v11, 2, v1
	s_delay_alu instid0(VALU_DEP_2) | instskip(NEXT) | instid1(VALU_DEP_1)
	v_bfe_u32 v10, v10, 0, s0
	v_lshl_or_b32 v10, v10, 4, v11
	v_mov_b32_e32 v11, 1
	ds_add_u32 v10, v11 offset:4096
	v_mov_b32_e32 v10, 0
.LBB1587_174:
	s_or_b32 exec_lo, exec_lo, s11
	s_mov_b32 s11, -1
	s_mov_b32 s12, exec_lo
	s_delay_alu instid0(VALU_DEP_1)
	v_cmpx_gt_i32_e32 10, v10
; %bb.175:
	v_cmp_eq_u32_e64 s0, 0, v10
	s_or_not1_b32 s11, s0, exec_lo
; %bb.176:
	s_or_b32 exec_lo, exec_lo, s12
	s_delay_alu instid0(SALU_CYCLE_1)
	s_and_b32 exec_lo, exec_lo, s11
	s_cbranch_execz .LBB1587_204
; %bb.177:
	s_add_co_i32 s12, s2, 16
	s_delay_alu instid0(SALU_CYCLE_1) | instskip(SKIP_1) | instid1(SALU_CYCLE_1)
	s_cmp_le_u32 s3, s12
	s_cselect_b32 s0, -1, 0
	s_and_b32 s11, s0, exec_lo
	s_cselect_b32 s11, 8, 10
	s_nor_b32 s0, s0, vcc_lo
	v_mov_b32_e32 v10, s11
	s_and_saveexec_b32 s11, s0
	s_cbranch_execz .LBB1587_179
; %bb.178:
	s_mov_b64 s[14:15], 0x7fffffffffffffff
	s_delay_alu instid0(SALU_CYCLE_1) | instskip(NEXT) | instid1(VALU_DEP_1)
	v_cmp_ne_u64_e64 s0, s[14:15], v[8:9]
	v_cndmask_b32_e64 v11, 0x80000000, v9, s0
	v_cndmask_b32_e64 v10, 0, v8, s0
	s_sub_co_i32 s0, s3, s12
	s_delay_alu instid0(SALU_CYCLE_1) | instskip(NEXT) | instid1(VALU_DEP_1)
	s_min_u32 s0, s0, 8
	v_lshrrev_b64 v[10:11], s12, v[10:11]
	v_lshlrev_b32_e32 v11, 2, v1
	s_delay_alu instid0(VALU_DEP_2) | instskip(NEXT) | instid1(VALU_DEP_1)
	v_bfe_u32 v10, v10, 0, s0
	v_lshl_or_b32 v10, v10, 4, v11
	v_mov_b32_e32 v11, 1
	ds_add_u32 v10, v11 offset:8192
	v_mov_b32_e32 v10, 0
.LBB1587_179:
	s_or_b32 exec_lo, exec_lo, s11
	s_mov_b32 s11, -1
	s_mov_b32 s12, exec_lo
	s_delay_alu instid0(VALU_DEP_1)
	v_cmpx_gt_i32_e32 10, v10
; %bb.180:
	v_cmp_eq_u32_e64 s0, 0, v10
	s_or_not1_b32 s11, s0, exec_lo
; %bb.181:
	s_or_b32 exec_lo, exec_lo, s12
	s_delay_alu instid0(SALU_CYCLE_1)
	s_and_b32 exec_lo, exec_lo, s11
	;; [unrolled: 42-line block ×6, first 2 shown]
	s_cbranch_execz .LBB1587_204
; %bb.202:
	s_add_co_i32 s0, s2, 56
	s_delay_alu instid0(SALU_CYCLE_1) | instskip(SKIP_2) | instid1(SALU_CYCLE_1)
	s_cmp_gt_u32 s3, s0
	s_cselect_b32 s11, -1, 0
	s_xor_b32 s12, vcc_lo, -1
	s_and_b32 s11, s11, s12
	s_delay_alu instid0(SALU_CYCLE_1)
	s_and_b32 exec_lo, exec_lo, s11
	s_cbranch_execz .LBB1587_204
; %bb.203:
	s_mov_b64 s[12:13], 0x7fffffffffffffff
	s_delay_alu instid0(SALU_CYCLE_1) | instskip(SKIP_2) | instid1(VALU_DEP_1)
	v_cmp_ne_u64_e32 vcc_lo, s[12:13], v[8:9]
	v_cndmask_b32_e32 v9, 0x80000000, v9, vcc_lo
	v_cndmask_b32_e32 v8, 0, v8, vcc_lo
	v_lshrrev_b64 v[8:9], s0, v[8:9]
	s_sub_co_i32 s0, s3, s0
	v_lshlrev_b32_e32 v9, 2, v1
	s_min_u32 s0, s0, 8
	s_delay_alu instid0(VALU_DEP_2) | instid1(SALU_CYCLE_1)
	v_bfe_u32 v8, v8, 0, s0
	s_delay_alu instid0(VALU_DEP_1)
	v_lshl_or_b32 v8, v8, 4, v9
	v_mov_b32_e32 v9, 1
	ds_add_u32 v8, v9 offset:28672
.LBB1587_204:
	s_or_b32 exec_lo, exec_lo, s10
	v_cmp_lt_i64_e32 vcc_lo, -1, v[6:7]
	v_cndmask_b32_e64 v8, -1, 0x80000000, vcc_lo
	v_ashrrev_i32_e32 v9, 31, v7
	v_cmp_le_u32_e32 vcc_lo, s1, v20
	s_delay_alu instid0(VALU_DEP_3) | instskip(NEXT) | instid1(VALU_DEP_3)
	v_xor_b32_e32 v7, v8, v7
	v_dual_mov_b32 v8, s9 :: v_dual_bitop2_b32 v6, v9, v6 bitop3:0x14
	s_nor_b32 s0, s8, vcc_lo
	s_delay_alu instid0(SALU_CYCLE_1)
	s_and_saveexec_b32 s10, s0
	s_cbranch_execz .LBB1587_206
; %bb.205:
	s_mov_b64 s[12:13], 0x7fffffffffffffff
	s_delay_alu instid0(SALU_CYCLE_1) | instskip(NEXT) | instid1(VALU_DEP_1)
	v_cmp_ne_u64_e64 s0, s[12:13], v[6:7]
	v_cndmask_b32_e64 v9, 0x80000000, v7, s0
	v_cndmask_b32_e64 v8, 0, v6, s0
	s_sub_co_i32 s0, s3, s2
	s_delay_alu instid0(SALU_CYCLE_1) | instskip(NEXT) | instid1(VALU_DEP_1)
	s_min_u32 s0, s0, 8
	v_lshrrev_b64 v[8:9], s2, v[8:9]
	v_lshlrev_b32_e32 v9, 2, v1
	s_delay_alu instid0(VALU_DEP_2) | instskip(NEXT) | instid1(VALU_DEP_1)
	v_bfe_u32 v8, v8, 0, s0
	v_lshl_or_b32 v8, v8, 4, v9
	v_mov_b32_e32 v9, 1
	ds_add_u32 v8, v9
	v_mov_b32_e32 v8, 0
.LBB1587_206:
	s_or_b32 exec_lo, exec_lo, s10
	s_mov_b32 s11, -1
	s_mov_b32 s10, exec_lo
	s_delay_alu instid0(VALU_DEP_1)
	v_cmpx_gt_i32_e32 10, v8
; %bb.207:
	v_cmp_eq_u32_e64 s0, 0, v8
	s_or_not1_b32 s11, s0, exec_lo
; %bb.208:
	s_or_b32 exec_lo, exec_lo, s10
	s_and_saveexec_b32 s10, s11
	s_cbranch_execz .LBB1587_241
; %bb.209:
	s_add_co_i32 s12, s2, 8
	s_delay_alu instid0(SALU_CYCLE_1) | instskip(SKIP_1) | instid1(SALU_CYCLE_1)
	s_cmp_le_u32 s3, s12
	s_cselect_b32 s0, -1, 0
	s_and_b32 s11, s0, exec_lo
	s_cselect_b32 s11, 8, 10
	s_nor_b32 s0, s0, vcc_lo
	v_mov_b32_e32 v8, s11
	s_and_saveexec_b32 s11, s0
	s_cbranch_execz .LBB1587_211
; %bb.210:
	s_mov_b64 s[14:15], 0x7fffffffffffffff
	s_delay_alu instid0(SALU_CYCLE_1) | instskip(NEXT) | instid1(VALU_DEP_1)
	v_cmp_ne_u64_e64 s0, s[14:15], v[6:7]
	v_cndmask_b32_e64 v9, 0x80000000, v7, s0
	v_cndmask_b32_e64 v8, 0, v6, s0
	s_sub_co_i32 s0, s3, s12
	s_delay_alu instid0(SALU_CYCLE_1) | instskip(NEXT) | instid1(VALU_DEP_1)
	s_min_u32 s0, s0, 8
	v_lshrrev_b64 v[8:9], s12, v[8:9]
	v_lshlrev_b32_e32 v9, 2, v1
	s_delay_alu instid0(VALU_DEP_2) | instskip(NEXT) | instid1(VALU_DEP_1)
	v_bfe_u32 v8, v8, 0, s0
	v_lshl_or_b32 v8, v8, 4, v9
	v_mov_b32_e32 v9, 1
	ds_add_u32 v8, v9 offset:4096
	v_mov_b32_e32 v8, 0
.LBB1587_211:
	s_or_b32 exec_lo, exec_lo, s11
	s_mov_b32 s11, -1
	s_mov_b32 s12, exec_lo
	s_delay_alu instid0(VALU_DEP_1)
	v_cmpx_gt_i32_e32 10, v8
; %bb.212:
	v_cmp_eq_u32_e64 s0, 0, v8
	s_or_not1_b32 s11, s0, exec_lo
; %bb.213:
	s_or_b32 exec_lo, exec_lo, s12
	s_delay_alu instid0(SALU_CYCLE_1)
	s_and_b32 exec_lo, exec_lo, s11
	s_cbranch_execz .LBB1587_241
; %bb.214:
	s_add_co_i32 s12, s2, 16
	s_delay_alu instid0(SALU_CYCLE_1) | instskip(SKIP_1) | instid1(SALU_CYCLE_1)
	s_cmp_le_u32 s3, s12
	s_cselect_b32 s0, -1, 0
	s_and_b32 s11, s0, exec_lo
	s_cselect_b32 s11, 8, 10
	s_nor_b32 s0, s0, vcc_lo
	v_mov_b32_e32 v8, s11
	s_and_saveexec_b32 s11, s0
	s_cbranch_execz .LBB1587_216
; %bb.215:
	s_mov_b64 s[14:15], 0x7fffffffffffffff
	s_delay_alu instid0(SALU_CYCLE_1) | instskip(NEXT) | instid1(VALU_DEP_1)
	v_cmp_ne_u64_e64 s0, s[14:15], v[6:7]
	v_cndmask_b32_e64 v9, 0x80000000, v7, s0
	v_cndmask_b32_e64 v8, 0, v6, s0
	s_sub_co_i32 s0, s3, s12
	s_delay_alu instid0(SALU_CYCLE_1) | instskip(NEXT) | instid1(VALU_DEP_1)
	s_min_u32 s0, s0, 8
	v_lshrrev_b64 v[8:9], s12, v[8:9]
	v_lshlrev_b32_e32 v9, 2, v1
	s_delay_alu instid0(VALU_DEP_2) | instskip(NEXT) | instid1(VALU_DEP_1)
	v_bfe_u32 v8, v8, 0, s0
	v_lshl_or_b32 v8, v8, 4, v9
	v_mov_b32_e32 v9, 1
	ds_add_u32 v8, v9 offset:8192
	v_mov_b32_e32 v8, 0
.LBB1587_216:
	s_or_b32 exec_lo, exec_lo, s11
	s_mov_b32 s11, -1
	s_mov_b32 s12, exec_lo
	s_delay_alu instid0(VALU_DEP_1)
	v_cmpx_gt_i32_e32 10, v8
; %bb.217:
	v_cmp_eq_u32_e64 s0, 0, v8
	s_or_not1_b32 s11, s0, exec_lo
; %bb.218:
	s_or_b32 exec_lo, exec_lo, s12
	s_delay_alu instid0(SALU_CYCLE_1)
	s_and_b32 exec_lo, exec_lo, s11
	s_cbranch_execz .LBB1587_241
; %bb.219:
	s_add_co_i32 s12, s2, 24
	s_delay_alu instid0(SALU_CYCLE_1) | instskip(SKIP_1) | instid1(SALU_CYCLE_1)
	s_cmp_le_u32 s3, s12
	s_cselect_b32 s0, -1, 0
	s_and_b32 s11, s0, exec_lo
	s_cselect_b32 s11, 8, 10
	s_nor_b32 s0, s0, vcc_lo
	v_mov_b32_e32 v8, s11
	s_and_saveexec_b32 s11, s0
	s_cbranch_execz .LBB1587_221
; %bb.220:
	s_mov_b64 s[14:15], 0x7fffffffffffffff
	s_delay_alu instid0(SALU_CYCLE_1) | instskip(NEXT) | instid1(VALU_DEP_1)
	v_cmp_ne_u64_e64 s0, s[14:15], v[6:7]
	v_cndmask_b32_e64 v9, 0x80000000, v7, s0
	v_cndmask_b32_e64 v8, 0, v6, s0
	s_sub_co_i32 s0, s3, s12
	s_delay_alu instid0(SALU_CYCLE_1) | instskip(NEXT) | instid1(VALU_DEP_1)
	s_min_u32 s0, s0, 8
	v_lshrrev_b64 v[8:9], s12, v[8:9]
	v_lshlrev_b32_e32 v9, 2, v1
	s_delay_alu instid0(VALU_DEP_2) | instskip(NEXT) | instid1(VALU_DEP_1)
	v_bfe_u32 v8, v8, 0, s0
	v_lshl_or_b32 v8, v8, 4, v9
	v_mov_b32_e32 v9, 1
	ds_add_u32 v8, v9 offset:12288
	v_mov_b32_e32 v8, 0
.LBB1587_221:
	s_or_b32 exec_lo, exec_lo, s11
	s_mov_b32 s11, -1
	s_mov_b32 s12, exec_lo
	s_delay_alu instid0(VALU_DEP_1)
	v_cmpx_gt_i32_e32 10, v8
; %bb.222:
	v_cmp_eq_u32_e64 s0, 0, v8
	s_or_not1_b32 s11, s0, exec_lo
; %bb.223:
	s_or_b32 exec_lo, exec_lo, s12
	s_delay_alu instid0(SALU_CYCLE_1)
	s_and_b32 exec_lo, exec_lo, s11
	s_cbranch_execz .LBB1587_241
; %bb.224:
	s_add_co_i32 s12, s2, 32
	s_delay_alu instid0(SALU_CYCLE_1) | instskip(SKIP_1) | instid1(SALU_CYCLE_1)
	s_cmp_le_u32 s3, s12
	s_cselect_b32 s0, -1, 0
	s_and_b32 s11, s0, exec_lo
	s_cselect_b32 s11, 8, 10
	s_nor_b32 s0, s0, vcc_lo
	v_mov_b32_e32 v8, s11
	s_and_saveexec_b32 s11, s0
	s_cbranch_execz .LBB1587_226
; %bb.225:
	s_mov_b64 s[14:15], 0x7fffffffffffffff
	s_delay_alu instid0(SALU_CYCLE_1) | instskip(NEXT) | instid1(VALU_DEP_1)
	v_cmp_ne_u64_e64 s0, s[14:15], v[6:7]
	v_cndmask_b32_e64 v9, 0x80000000, v7, s0
	v_cndmask_b32_e64 v8, 0, v6, s0
	s_sub_co_i32 s0, s3, s12
	s_delay_alu instid0(SALU_CYCLE_1) | instskip(NEXT) | instid1(VALU_DEP_1)
	s_min_u32 s0, s0, 8
	v_lshrrev_b64 v[8:9], s12, v[8:9]
	v_lshlrev_b32_e32 v9, 2, v1
	s_delay_alu instid0(VALU_DEP_2) | instskip(NEXT) | instid1(VALU_DEP_1)
	v_bfe_u32 v8, v8, 0, s0
	v_lshl_or_b32 v8, v8, 4, v9
	v_mov_b32_e32 v9, 1
	ds_add_u32 v8, v9 offset:16384
	v_mov_b32_e32 v8, 0
.LBB1587_226:
	s_or_b32 exec_lo, exec_lo, s11
	s_mov_b32 s11, -1
	s_mov_b32 s12, exec_lo
	s_delay_alu instid0(VALU_DEP_1)
	v_cmpx_gt_i32_e32 10, v8
; %bb.227:
	v_cmp_eq_u32_e64 s0, 0, v8
	s_or_not1_b32 s11, s0, exec_lo
; %bb.228:
	s_or_b32 exec_lo, exec_lo, s12
	s_delay_alu instid0(SALU_CYCLE_1)
	s_and_b32 exec_lo, exec_lo, s11
	s_cbranch_execz .LBB1587_241
; %bb.229:
	s_add_co_i32 s12, s2, 40
	s_delay_alu instid0(SALU_CYCLE_1) | instskip(SKIP_1) | instid1(SALU_CYCLE_1)
	s_cmp_le_u32 s3, s12
	s_cselect_b32 s0, -1, 0
	s_and_b32 s11, s0, exec_lo
	s_cselect_b32 s11, 8, 10
	s_nor_b32 s0, s0, vcc_lo
	v_mov_b32_e32 v8, s11
	s_and_saveexec_b32 s11, s0
	s_cbranch_execz .LBB1587_231
; %bb.230:
	s_mov_b64 s[14:15], 0x7fffffffffffffff
	s_delay_alu instid0(SALU_CYCLE_1) | instskip(NEXT) | instid1(VALU_DEP_1)
	v_cmp_ne_u64_e64 s0, s[14:15], v[6:7]
	v_cndmask_b32_e64 v9, 0x80000000, v7, s0
	v_cndmask_b32_e64 v8, 0, v6, s0
	s_sub_co_i32 s0, s3, s12
	s_delay_alu instid0(SALU_CYCLE_1) | instskip(NEXT) | instid1(VALU_DEP_1)
	s_min_u32 s0, s0, 8
	v_lshrrev_b64 v[8:9], s12, v[8:9]
	v_lshlrev_b32_e32 v9, 2, v1
	s_delay_alu instid0(VALU_DEP_2) | instskip(NEXT) | instid1(VALU_DEP_1)
	v_bfe_u32 v8, v8, 0, s0
	v_lshl_or_b32 v8, v8, 4, v9
	v_mov_b32_e32 v9, 1
	ds_add_u32 v8, v9 offset:20480
	v_mov_b32_e32 v8, 0
.LBB1587_231:
	s_or_b32 exec_lo, exec_lo, s11
	s_mov_b32 s11, -1
	s_mov_b32 s12, exec_lo
	s_delay_alu instid0(VALU_DEP_1)
	v_cmpx_gt_i32_e32 10, v8
; %bb.232:
	v_cmp_eq_u32_e64 s0, 0, v8
	s_or_not1_b32 s11, s0, exec_lo
; %bb.233:
	s_or_b32 exec_lo, exec_lo, s12
	s_delay_alu instid0(SALU_CYCLE_1)
	s_and_b32 exec_lo, exec_lo, s11
	s_cbranch_execz .LBB1587_241
; %bb.234:
	s_add_co_i32 s12, s2, 48
	s_delay_alu instid0(SALU_CYCLE_1) | instskip(SKIP_1) | instid1(SALU_CYCLE_1)
	s_cmp_le_u32 s3, s12
	s_cselect_b32 s0, -1, 0
	s_and_b32 s11, s0, exec_lo
	s_cselect_b32 s11, 8, 10
	s_nor_b32 s0, s0, vcc_lo
	v_mov_b32_e32 v8, s11
	s_and_saveexec_b32 s11, s0
	s_cbranch_execz .LBB1587_236
; %bb.235:
	s_mov_b64 s[14:15], 0x7fffffffffffffff
	s_delay_alu instid0(SALU_CYCLE_1) | instskip(NEXT) | instid1(VALU_DEP_1)
	v_cmp_ne_u64_e64 s0, s[14:15], v[6:7]
	v_cndmask_b32_e64 v9, 0x80000000, v7, s0
	v_cndmask_b32_e64 v8, 0, v6, s0
	s_sub_co_i32 s0, s3, s12
	s_delay_alu instid0(SALU_CYCLE_1) | instskip(NEXT) | instid1(VALU_DEP_1)
	s_min_u32 s0, s0, 8
	v_lshrrev_b64 v[8:9], s12, v[8:9]
	v_lshlrev_b32_e32 v9, 2, v1
	s_delay_alu instid0(VALU_DEP_2) | instskip(NEXT) | instid1(VALU_DEP_1)
	v_bfe_u32 v8, v8, 0, s0
	v_lshl_or_b32 v8, v8, 4, v9
	v_mov_b32_e32 v9, 1
	ds_add_u32 v8, v9 offset:24576
	v_mov_b32_e32 v8, 0
.LBB1587_236:
	s_or_b32 exec_lo, exec_lo, s11
	s_mov_b32 s11, -1
	s_mov_b32 s12, exec_lo
	s_delay_alu instid0(VALU_DEP_1)
	v_cmpx_gt_i32_e32 10, v8
; %bb.237:
	v_cmp_eq_u32_e64 s0, 0, v8
	s_or_not1_b32 s11, s0, exec_lo
; %bb.238:
	s_or_b32 exec_lo, exec_lo, s12
	s_delay_alu instid0(SALU_CYCLE_1)
	s_and_b32 exec_lo, exec_lo, s11
	s_cbranch_execz .LBB1587_241
; %bb.239:
	s_add_co_i32 s0, s2, 56
	s_delay_alu instid0(SALU_CYCLE_1) | instskip(SKIP_2) | instid1(SALU_CYCLE_1)
	s_cmp_gt_u32 s3, s0
	s_cselect_b32 s11, -1, 0
	s_xor_b32 s12, vcc_lo, -1
	s_and_b32 s11, s11, s12
	s_delay_alu instid0(SALU_CYCLE_1)
	s_and_b32 exec_lo, exec_lo, s11
	s_cbranch_execz .LBB1587_241
; %bb.240:
	s_mov_b64 s[12:13], 0x7fffffffffffffff
	s_delay_alu instid0(SALU_CYCLE_1) | instskip(SKIP_2) | instid1(VALU_DEP_1)
	v_cmp_ne_u64_e32 vcc_lo, s[12:13], v[6:7]
	v_cndmask_b32_e32 v7, 0x80000000, v7, vcc_lo
	v_cndmask_b32_e32 v6, 0, v6, vcc_lo
	v_lshrrev_b64 v[6:7], s0, v[6:7]
	s_sub_co_i32 s0, s3, s0
	v_lshlrev_b32_e32 v7, 2, v1
	s_min_u32 s0, s0, 8
	s_delay_alu instid0(VALU_DEP_2) | instid1(SALU_CYCLE_1)
	v_bfe_u32 v6, v6, 0, s0
	s_delay_alu instid0(VALU_DEP_1)
	v_lshl_or_b32 v6, v6, 4, v7
	v_mov_b32_e32 v7, 1
	ds_add_u32 v6, v7 offset:28672
.LBB1587_241:
	s_or_b32 exec_lo, exec_lo, s10
	v_cmp_lt_i64_e32 vcc_lo, -1, v[4:5]
	v_cndmask_b32_e64 v6, -1, 0x80000000, vcc_lo
	v_ashrrev_i32_e32 v7, 31, v5
	v_cmp_le_u32_e32 vcc_lo, s1, v19
	s_delay_alu instid0(VALU_DEP_3) | instskip(NEXT) | instid1(VALU_DEP_3)
	v_xor_b32_e32 v5, v6, v5
	v_dual_mov_b32 v6, s9 :: v_dual_bitop2_b32 v4, v7, v4 bitop3:0x14
	s_nor_b32 s0, s8, vcc_lo
	s_delay_alu instid0(SALU_CYCLE_1)
	s_and_saveexec_b32 s10, s0
	s_cbranch_execz .LBB1587_243
; %bb.242:
	s_mov_b64 s[12:13], 0x7fffffffffffffff
	s_delay_alu instid0(SALU_CYCLE_1) | instskip(NEXT) | instid1(VALU_DEP_1)
	v_cmp_ne_u64_e64 s0, s[12:13], v[4:5]
	v_cndmask_b32_e64 v7, 0x80000000, v5, s0
	v_cndmask_b32_e64 v6, 0, v4, s0
	s_sub_co_i32 s0, s3, s2
	s_delay_alu instid0(SALU_CYCLE_1) | instskip(NEXT) | instid1(VALU_DEP_1)
	s_min_u32 s0, s0, 8
	v_lshrrev_b64 v[6:7], s2, v[6:7]
	v_lshlrev_b32_e32 v7, 2, v1
	s_delay_alu instid0(VALU_DEP_2) | instskip(NEXT) | instid1(VALU_DEP_1)
	v_bfe_u32 v6, v6, 0, s0
	v_lshl_or_b32 v6, v6, 4, v7
	v_mov_b32_e32 v7, 1
	ds_add_u32 v6, v7
	v_mov_b32_e32 v6, 0
.LBB1587_243:
	s_or_b32 exec_lo, exec_lo, s10
	s_mov_b32 s11, -1
	s_mov_b32 s10, exec_lo
	s_delay_alu instid0(VALU_DEP_1)
	v_cmpx_gt_i32_e32 10, v6
; %bb.244:
	v_cmp_eq_u32_e64 s0, 0, v6
	s_or_not1_b32 s11, s0, exec_lo
; %bb.245:
	s_or_b32 exec_lo, exec_lo, s10
	s_and_saveexec_b32 s10, s11
	s_cbranch_execz .LBB1587_278
; %bb.246:
	s_add_co_i32 s12, s2, 8
	s_delay_alu instid0(SALU_CYCLE_1) | instskip(SKIP_1) | instid1(SALU_CYCLE_1)
	s_cmp_le_u32 s3, s12
	s_cselect_b32 s0, -1, 0
	s_and_b32 s11, s0, exec_lo
	s_cselect_b32 s11, 8, 10
	s_nor_b32 s0, s0, vcc_lo
	v_mov_b32_e32 v6, s11
	s_and_saveexec_b32 s11, s0
	s_cbranch_execz .LBB1587_248
; %bb.247:
	s_mov_b64 s[14:15], 0x7fffffffffffffff
	s_delay_alu instid0(SALU_CYCLE_1) | instskip(NEXT) | instid1(VALU_DEP_1)
	v_cmp_ne_u64_e64 s0, s[14:15], v[4:5]
	v_cndmask_b32_e64 v7, 0x80000000, v5, s0
	v_cndmask_b32_e64 v6, 0, v4, s0
	s_sub_co_i32 s0, s3, s12
	s_delay_alu instid0(SALU_CYCLE_1) | instskip(NEXT) | instid1(VALU_DEP_1)
	s_min_u32 s0, s0, 8
	v_lshrrev_b64 v[6:7], s12, v[6:7]
	v_lshlrev_b32_e32 v7, 2, v1
	s_delay_alu instid0(VALU_DEP_2) | instskip(NEXT) | instid1(VALU_DEP_1)
	v_bfe_u32 v6, v6, 0, s0
	v_lshl_or_b32 v6, v6, 4, v7
	v_mov_b32_e32 v7, 1
	ds_add_u32 v6, v7 offset:4096
	v_mov_b32_e32 v6, 0
.LBB1587_248:
	s_or_b32 exec_lo, exec_lo, s11
	s_mov_b32 s11, -1
	s_mov_b32 s12, exec_lo
	s_delay_alu instid0(VALU_DEP_1)
	v_cmpx_gt_i32_e32 10, v6
; %bb.249:
	v_cmp_eq_u32_e64 s0, 0, v6
	s_or_not1_b32 s11, s0, exec_lo
; %bb.250:
	s_or_b32 exec_lo, exec_lo, s12
	s_delay_alu instid0(SALU_CYCLE_1)
	s_and_b32 exec_lo, exec_lo, s11
	s_cbranch_execz .LBB1587_278
; %bb.251:
	s_add_co_i32 s12, s2, 16
	s_delay_alu instid0(SALU_CYCLE_1) | instskip(SKIP_1) | instid1(SALU_CYCLE_1)
	s_cmp_le_u32 s3, s12
	s_cselect_b32 s0, -1, 0
	s_and_b32 s11, s0, exec_lo
	s_cselect_b32 s11, 8, 10
	s_nor_b32 s0, s0, vcc_lo
	v_mov_b32_e32 v6, s11
	s_and_saveexec_b32 s11, s0
	s_cbranch_execz .LBB1587_253
; %bb.252:
	s_mov_b64 s[14:15], 0x7fffffffffffffff
	s_delay_alu instid0(SALU_CYCLE_1) | instskip(NEXT) | instid1(VALU_DEP_1)
	v_cmp_ne_u64_e64 s0, s[14:15], v[4:5]
	v_cndmask_b32_e64 v7, 0x80000000, v5, s0
	v_cndmask_b32_e64 v6, 0, v4, s0
	s_sub_co_i32 s0, s3, s12
	s_delay_alu instid0(SALU_CYCLE_1) | instskip(NEXT) | instid1(VALU_DEP_1)
	s_min_u32 s0, s0, 8
	v_lshrrev_b64 v[6:7], s12, v[6:7]
	v_lshlrev_b32_e32 v7, 2, v1
	s_delay_alu instid0(VALU_DEP_2) | instskip(NEXT) | instid1(VALU_DEP_1)
	v_bfe_u32 v6, v6, 0, s0
	v_lshl_or_b32 v6, v6, 4, v7
	v_mov_b32_e32 v7, 1
	ds_add_u32 v6, v7 offset:8192
	v_mov_b32_e32 v6, 0
.LBB1587_253:
	s_or_b32 exec_lo, exec_lo, s11
	s_mov_b32 s11, -1
	s_mov_b32 s12, exec_lo
	s_delay_alu instid0(VALU_DEP_1)
	v_cmpx_gt_i32_e32 10, v6
; %bb.254:
	v_cmp_eq_u32_e64 s0, 0, v6
	s_or_not1_b32 s11, s0, exec_lo
; %bb.255:
	s_or_b32 exec_lo, exec_lo, s12
	s_delay_alu instid0(SALU_CYCLE_1)
	s_and_b32 exec_lo, exec_lo, s11
	;; [unrolled: 42-line block ×6, first 2 shown]
	s_cbranch_execz .LBB1587_278
; %bb.276:
	s_add_co_i32 s0, s2, 56
	s_delay_alu instid0(SALU_CYCLE_1) | instskip(SKIP_2) | instid1(SALU_CYCLE_1)
	s_cmp_gt_u32 s3, s0
	s_cselect_b32 s11, -1, 0
	s_xor_b32 s12, vcc_lo, -1
	s_and_b32 s11, s11, s12
	s_delay_alu instid0(SALU_CYCLE_1)
	s_and_b32 exec_lo, exec_lo, s11
	s_cbranch_execz .LBB1587_278
; %bb.277:
	s_mov_b64 s[12:13], 0x7fffffffffffffff
	s_delay_alu instid0(SALU_CYCLE_1) | instskip(SKIP_2) | instid1(VALU_DEP_1)
	v_cmp_ne_u64_e32 vcc_lo, s[12:13], v[4:5]
	v_cndmask_b32_e32 v5, 0x80000000, v5, vcc_lo
	v_cndmask_b32_e32 v4, 0, v4, vcc_lo
	v_lshrrev_b64 v[4:5], s0, v[4:5]
	s_sub_co_i32 s0, s3, s0
	v_lshlrev_b32_e32 v5, 2, v1
	s_min_u32 s0, s0, 8
	s_delay_alu instid0(VALU_DEP_2) | instid1(SALU_CYCLE_1)
	v_bfe_u32 v4, v4, 0, s0
	s_delay_alu instid0(VALU_DEP_1)
	v_lshl_or_b32 v4, v4, 4, v5
	v_mov_b32_e32 v5, 1
	ds_add_u32 v4, v5 offset:28672
.LBB1587_278:
	s_or_b32 exec_lo, exec_lo, s10
	v_cmp_lt_i64_e32 vcc_lo, -1, v[2:3]
	v_cndmask_b32_e64 v4, -1, 0x80000000, vcc_lo
	v_ashrrev_i32_e32 v5, 31, v3
	v_cmp_le_u32_e32 vcc_lo, s1, v18
	s_delay_alu instid0(VALU_DEP_3) | instskip(NEXT) | instid1(VALU_DEP_3)
	v_xor_b32_e32 v3, v4, v3
	v_dual_mov_b32 v4, s9 :: v_dual_bitop2_b32 v2, v5, v2 bitop3:0x14
	s_nor_b32 s0, s8, vcc_lo
	s_delay_alu instid0(SALU_CYCLE_1)
	s_and_saveexec_b32 s1, s0
	s_cbranch_execz .LBB1587_280
; %bb.279:
	s_mov_b64 s[8:9], 0x7fffffffffffffff
	s_delay_alu instid0(SALU_CYCLE_1) | instskip(NEXT) | instid1(VALU_DEP_1)
	v_cmp_ne_u64_e64 s0, s[8:9], v[2:3]
	v_cndmask_b32_e64 v5, 0x80000000, v3, s0
	v_cndmask_b32_e64 v4, 0, v2, s0
	s_sub_co_i32 s0, s3, s2
	s_delay_alu instid0(SALU_CYCLE_1) | instskip(NEXT) | instid1(VALU_DEP_1)
	s_min_u32 s0, s0, 8
	v_lshrrev_b64 v[4:5], s2, v[4:5]
	v_lshlrev_b32_e32 v5, 2, v1
	s_delay_alu instid0(VALU_DEP_2) | instskip(NEXT) | instid1(VALU_DEP_1)
	v_bfe_u32 v4, v4, 0, s0
	v_lshl_or_b32 v4, v4, 4, v5
	v_mov_b32_e32 v5, 1
	ds_add_u32 v4, v5
	v_mov_b32_e32 v4, 0
.LBB1587_280:
	s_or_b32 exec_lo, exec_lo, s1
	s_mov_b32 s8, -1
	s_mov_b32 s1, exec_lo
	s_delay_alu instid0(VALU_DEP_1)
	v_cmpx_gt_i32_e32 10, v4
; %bb.281:
	v_cmp_eq_u32_e64 s0, 0, v4
	s_or_not1_b32 s8, s0, exec_lo
; %bb.282:
	s_or_b32 exec_lo, exec_lo, s1
	s_and_saveexec_b32 s1, s8
	s_cbranch_execz .LBB1587_315
; %bb.283:
	s_add_co_i32 s9, s2, 8
	s_delay_alu instid0(SALU_CYCLE_1) | instskip(SKIP_1) | instid1(SALU_CYCLE_1)
	s_cmp_le_u32 s3, s9
	s_cselect_b32 s0, -1, 0
	s_and_b32 s8, s0, exec_lo
	s_cselect_b32 s8, 8, 10
	s_nor_b32 s0, s0, vcc_lo
	v_mov_b32_e32 v4, s8
	s_and_saveexec_b32 s8, s0
	s_cbranch_execz .LBB1587_285
; %bb.284:
	s_mov_b64 s[10:11], 0x7fffffffffffffff
	s_delay_alu instid0(SALU_CYCLE_1) | instskip(NEXT) | instid1(VALU_DEP_1)
	v_cmp_ne_u64_e64 s0, s[10:11], v[2:3]
	v_cndmask_b32_e64 v5, 0x80000000, v3, s0
	v_cndmask_b32_e64 v4, 0, v2, s0
	s_sub_co_i32 s0, s3, s9
	s_delay_alu instid0(SALU_CYCLE_1) | instskip(NEXT) | instid1(VALU_DEP_1)
	s_min_u32 s0, s0, 8
	v_lshrrev_b64 v[4:5], s9, v[4:5]
	v_lshlrev_b32_e32 v5, 2, v1
	s_delay_alu instid0(VALU_DEP_2) | instskip(NEXT) | instid1(VALU_DEP_1)
	v_bfe_u32 v4, v4, 0, s0
	v_lshl_or_b32 v4, v4, 4, v5
	v_mov_b32_e32 v5, 1
	ds_add_u32 v4, v5 offset:4096
	v_mov_b32_e32 v4, 0
.LBB1587_285:
	s_or_b32 exec_lo, exec_lo, s8
	s_mov_b32 s8, -1
	s_mov_b32 s9, exec_lo
	s_delay_alu instid0(VALU_DEP_1)
	v_cmpx_gt_i32_e32 10, v4
; %bb.286:
	v_cmp_eq_u32_e64 s0, 0, v4
	s_or_not1_b32 s8, s0, exec_lo
; %bb.287:
	s_or_b32 exec_lo, exec_lo, s9
	s_delay_alu instid0(SALU_CYCLE_1)
	s_and_b32 exec_lo, exec_lo, s8
	s_cbranch_execz .LBB1587_315
; %bb.288:
	s_add_co_i32 s9, s2, 16
	s_delay_alu instid0(SALU_CYCLE_1) | instskip(SKIP_1) | instid1(SALU_CYCLE_1)
	s_cmp_le_u32 s3, s9
	s_cselect_b32 s0, -1, 0
	s_and_b32 s8, s0, exec_lo
	s_cselect_b32 s8, 8, 10
	s_nor_b32 s0, s0, vcc_lo
	v_mov_b32_e32 v4, s8
	s_and_saveexec_b32 s8, s0
	s_cbranch_execz .LBB1587_290
; %bb.289:
	s_mov_b64 s[10:11], 0x7fffffffffffffff
	s_delay_alu instid0(SALU_CYCLE_1) | instskip(NEXT) | instid1(VALU_DEP_1)
	v_cmp_ne_u64_e64 s0, s[10:11], v[2:3]
	v_cndmask_b32_e64 v5, 0x80000000, v3, s0
	v_cndmask_b32_e64 v4, 0, v2, s0
	s_sub_co_i32 s0, s3, s9
	s_delay_alu instid0(SALU_CYCLE_1) | instskip(NEXT) | instid1(VALU_DEP_1)
	s_min_u32 s0, s0, 8
	v_lshrrev_b64 v[4:5], s9, v[4:5]
	v_lshlrev_b32_e32 v5, 2, v1
	s_delay_alu instid0(VALU_DEP_2) | instskip(NEXT) | instid1(VALU_DEP_1)
	v_bfe_u32 v4, v4, 0, s0
	v_lshl_or_b32 v4, v4, 4, v5
	v_mov_b32_e32 v5, 1
	ds_add_u32 v4, v5 offset:8192
	v_mov_b32_e32 v4, 0
.LBB1587_290:
	s_or_b32 exec_lo, exec_lo, s8
	s_mov_b32 s8, -1
	s_mov_b32 s9, exec_lo
	s_delay_alu instid0(VALU_DEP_1)
	v_cmpx_gt_i32_e32 10, v4
; %bb.291:
	v_cmp_eq_u32_e64 s0, 0, v4
	s_or_not1_b32 s8, s0, exec_lo
; %bb.292:
	s_or_b32 exec_lo, exec_lo, s9
	s_delay_alu instid0(SALU_CYCLE_1)
	s_and_b32 exec_lo, exec_lo, s8
	s_cbranch_execz .LBB1587_315
; %bb.293:
	s_add_co_i32 s9, s2, 24
	s_delay_alu instid0(SALU_CYCLE_1) | instskip(SKIP_1) | instid1(SALU_CYCLE_1)
	s_cmp_le_u32 s3, s9
	s_cselect_b32 s0, -1, 0
	s_and_b32 s8, s0, exec_lo
	s_cselect_b32 s8, 8, 10
	s_nor_b32 s0, s0, vcc_lo
	v_mov_b32_e32 v4, s8
	s_and_saveexec_b32 s8, s0
	s_cbranch_execz .LBB1587_295
; %bb.294:
	s_mov_b64 s[10:11], 0x7fffffffffffffff
	s_delay_alu instid0(SALU_CYCLE_1) | instskip(NEXT) | instid1(VALU_DEP_1)
	v_cmp_ne_u64_e64 s0, s[10:11], v[2:3]
	v_cndmask_b32_e64 v5, 0x80000000, v3, s0
	v_cndmask_b32_e64 v4, 0, v2, s0
	s_sub_co_i32 s0, s3, s9
	s_delay_alu instid0(SALU_CYCLE_1) | instskip(NEXT) | instid1(VALU_DEP_1)
	s_min_u32 s0, s0, 8
	v_lshrrev_b64 v[4:5], s9, v[4:5]
	v_lshlrev_b32_e32 v5, 2, v1
	s_delay_alu instid0(VALU_DEP_2) | instskip(NEXT) | instid1(VALU_DEP_1)
	v_bfe_u32 v4, v4, 0, s0
	v_lshl_or_b32 v4, v4, 4, v5
	v_mov_b32_e32 v5, 1
	ds_add_u32 v4, v5 offset:12288
	v_mov_b32_e32 v4, 0
.LBB1587_295:
	s_or_b32 exec_lo, exec_lo, s8
	s_mov_b32 s8, -1
	s_mov_b32 s9, exec_lo
	s_delay_alu instid0(VALU_DEP_1)
	v_cmpx_gt_i32_e32 10, v4
; %bb.296:
	v_cmp_eq_u32_e64 s0, 0, v4
	s_or_not1_b32 s8, s0, exec_lo
; %bb.297:
	s_or_b32 exec_lo, exec_lo, s9
	s_delay_alu instid0(SALU_CYCLE_1)
	s_and_b32 exec_lo, exec_lo, s8
	s_cbranch_execz .LBB1587_315
; %bb.298:
	s_add_co_i32 s9, s2, 32
	s_delay_alu instid0(SALU_CYCLE_1) | instskip(SKIP_1) | instid1(SALU_CYCLE_1)
	s_cmp_le_u32 s3, s9
	s_cselect_b32 s0, -1, 0
	s_and_b32 s8, s0, exec_lo
	s_cselect_b32 s8, 8, 10
	s_nor_b32 s0, s0, vcc_lo
	v_mov_b32_e32 v4, s8
	s_and_saveexec_b32 s8, s0
	s_cbranch_execz .LBB1587_300
; %bb.299:
	s_mov_b64 s[10:11], 0x7fffffffffffffff
	s_delay_alu instid0(SALU_CYCLE_1) | instskip(NEXT) | instid1(VALU_DEP_1)
	v_cmp_ne_u64_e64 s0, s[10:11], v[2:3]
	v_cndmask_b32_e64 v5, 0x80000000, v3, s0
	v_cndmask_b32_e64 v4, 0, v2, s0
	s_sub_co_i32 s0, s3, s9
	s_delay_alu instid0(SALU_CYCLE_1) | instskip(NEXT) | instid1(VALU_DEP_1)
	s_min_u32 s0, s0, 8
	v_lshrrev_b64 v[4:5], s9, v[4:5]
	v_lshlrev_b32_e32 v5, 2, v1
	s_delay_alu instid0(VALU_DEP_2) | instskip(NEXT) | instid1(VALU_DEP_1)
	v_bfe_u32 v4, v4, 0, s0
	v_lshl_or_b32 v4, v4, 4, v5
	v_mov_b32_e32 v5, 1
	ds_add_u32 v4, v5 offset:16384
	v_mov_b32_e32 v4, 0
.LBB1587_300:
	s_or_b32 exec_lo, exec_lo, s8
	s_mov_b32 s8, -1
	s_mov_b32 s9, exec_lo
	s_delay_alu instid0(VALU_DEP_1)
	v_cmpx_gt_i32_e32 10, v4
; %bb.301:
	v_cmp_eq_u32_e64 s0, 0, v4
	s_or_not1_b32 s8, s0, exec_lo
; %bb.302:
	s_or_b32 exec_lo, exec_lo, s9
	s_delay_alu instid0(SALU_CYCLE_1)
	s_and_b32 exec_lo, exec_lo, s8
	s_cbranch_execz .LBB1587_315
; %bb.303:
	s_add_co_i32 s9, s2, 40
	s_delay_alu instid0(SALU_CYCLE_1) | instskip(SKIP_1) | instid1(SALU_CYCLE_1)
	s_cmp_le_u32 s3, s9
	s_cselect_b32 s0, -1, 0
	s_and_b32 s8, s0, exec_lo
	s_cselect_b32 s8, 8, 10
	s_nor_b32 s0, s0, vcc_lo
	v_mov_b32_e32 v4, s8
	s_and_saveexec_b32 s8, s0
	s_cbranch_execz .LBB1587_305
; %bb.304:
	s_mov_b64 s[10:11], 0x7fffffffffffffff
	s_delay_alu instid0(SALU_CYCLE_1) | instskip(NEXT) | instid1(VALU_DEP_1)
	v_cmp_ne_u64_e64 s0, s[10:11], v[2:3]
	v_cndmask_b32_e64 v5, 0x80000000, v3, s0
	v_cndmask_b32_e64 v4, 0, v2, s0
	s_sub_co_i32 s0, s3, s9
	s_delay_alu instid0(SALU_CYCLE_1) | instskip(NEXT) | instid1(VALU_DEP_1)
	s_min_u32 s0, s0, 8
	v_lshrrev_b64 v[4:5], s9, v[4:5]
	v_lshlrev_b32_e32 v5, 2, v1
	s_delay_alu instid0(VALU_DEP_2) | instskip(NEXT) | instid1(VALU_DEP_1)
	v_bfe_u32 v4, v4, 0, s0
	v_lshl_or_b32 v4, v4, 4, v5
	v_mov_b32_e32 v5, 1
	ds_add_u32 v4, v5 offset:20480
	v_mov_b32_e32 v4, 0
.LBB1587_305:
	s_or_b32 exec_lo, exec_lo, s8
	s_mov_b32 s8, -1
	s_mov_b32 s9, exec_lo
	s_delay_alu instid0(VALU_DEP_1)
	v_cmpx_gt_i32_e32 10, v4
; %bb.306:
	v_cmp_eq_u32_e64 s0, 0, v4
	s_or_not1_b32 s8, s0, exec_lo
; %bb.307:
	s_or_b32 exec_lo, exec_lo, s9
	s_delay_alu instid0(SALU_CYCLE_1)
	s_and_b32 exec_lo, exec_lo, s8
	s_cbranch_execz .LBB1587_315
; %bb.308:
	s_add_co_i32 s9, s2, 48
	s_delay_alu instid0(SALU_CYCLE_1) | instskip(SKIP_1) | instid1(SALU_CYCLE_1)
	s_cmp_le_u32 s3, s9
	s_cselect_b32 s0, -1, 0
	s_and_b32 s8, s0, exec_lo
	s_cselect_b32 s8, 8, 10
	s_nor_b32 s0, s0, vcc_lo
	v_mov_b32_e32 v4, s8
	s_and_saveexec_b32 s8, s0
	s_cbranch_execz .LBB1587_310
; %bb.309:
	s_mov_b64 s[10:11], 0x7fffffffffffffff
	s_delay_alu instid0(SALU_CYCLE_1) | instskip(NEXT) | instid1(VALU_DEP_1)
	v_cmp_ne_u64_e64 s0, s[10:11], v[2:3]
	v_cndmask_b32_e64 v5, 0x80000000, v3, s0
	v_cndmask_b32_e64 v4, 0, v2, s0
	s_sub_co_i32 s0, s3, s9
	s_delay_alu instid0(SALU_CYCLE_1) | instskip(NEXT) | instid1(VALU_DEP_1)
	s_min_u32 s0, s0, 8
	v_lshrrev_b64 v[4:5], s9, v[4:5]
	v_lshlrev_b32_e32 v5, 2, v1
	s_delay_alu instid0(VALU_DEP_2) | instskip(NEXT) | instid1(VALU_DEP_1)
	v_bfe_u32 v4, v4, 0, s0
	v_lshl_or_b32 v4, v4, 4, v5
	v_mov_b32_e32 v5, 1
	ds_add_u32 v4, v5 offset:24576
	v_mov_b32_e32 v4, 0
.LBB1587_310:
	s_or_b32 exec_lo, exec_lo, s8
	s_mov_b32 s8, -1
	s_mov_b32 s9, exec_lo
	s_delay_alu instid0(VALU_DEP_1)
	v_cmpx_gt_i32_e32 10, v4
; %bb.311:
	v_cmp_eq_u32_e64 s0, 0, v4
	s_or_not1_b32 s8, s0, exec_lo
; %bb.312:
	s_or_b32 exec_lo, exec_lo, s9
	s_delay_alu instid0(SALU_CYCLE_1)
	s_and_b32 exec_lo, exec_lo, s8
	s_cbranch_execz .LBB1587_315
; %bb.313:
	s_add_co_i32 s0, s2, 56
	s_delay_alu instid0(SALU_CYCLE_1) | instskip(SKIP_2) | instid1(SALU_CYCLE_1)
	s_cmp_gt_u32 s3, s0
	s_cselect_b32 s8, -1, 0
	s_xor_b32 s9, vcc_lo, -1
	s_and_b32 s8, s8, s9
	s_delay_alu instid0(SALU_CYCLE_1)
	s_and_b32 exec_lo, exec_lo, s8
	s_cbranch_execz .LBB1587_315
; %bb.314:
	s_mov_b64 s[8:9], 0x7fffffffffffffff
	v_lshlrev_b32_e32 v1, 2, v1
	v_cmp_ne_u64_e32 vcc_lo, s[8:9], v[2:3]
	v_cndmask_b32_e32 v3, 0x80000000, v3, vcc_lo
	v_cndmask_b32_e32 v2, 0, v2, vcc_lo
	s_delay_alu instid0(VALU_DEP_1) | instskip(SKIP_1) | instid1(SALU_CYCLE_1)
	v_lshrrev_b64 v[2:3], s0, v[2:3]
	s_sub_co_i32 s0, s3, s0
	s_min_u32 s0, s0, 8
	s_delay_alu instid0(VALU_DEP_1) | instid1(SALU_CYCLE_1)
	v_bfe_u32 v2, v2, 0, s0
	s_delay_alu instid0(VALU_DEP_1)
	v_lshl_or_b32 v1, v2, 4, v1
	v_mov_b32_e32 v2, 1
	ds_add_u32 v1, v2 offset:28672
.LBB1587_315:
	s_or_b32 exec_lo, exec_lo, s1
	s_cmp_gt_u32 s3, s2
	s_wait_dscnt 0x0
	s_barrier_signal -1
	s_barrier_wait -1
	s_cbranch_scc0 .LBB1587_320
; %bb.316:
	v_dual_lshlrev_b32 v1, 4, v0 :: v_dual_mov_b32 v3, 0
	v_mov_b32_e32 v4, v0
	s_mov_b32 s0, s2
	v_cmp_gt_u32_e32 vcc_lo, 0x100, v0
	s_branch .LBB1587_318
.LBB1587_317:                           ;   in Loop: Header=BB1587_318 Depth=1
	s_wait_xcnt 0x0
	s_or_b32 exec_lo, exec_lo, s1
	v_add_nc_u32_e32 v4, 0x100, v4
	v_add_nc_u32_e32 v1, 0x1000, v1
	s_add_co_i32 s0, s0, 8
	s_delay_alu instid0(SALU_CYCLE_1)
	s_cmp_lt_u32 s0, s3
	s_cbranch_scc0 .LBB1587_320
.LBB1587_318:                           ; =>This Inner Loop Header: Depth=1
	s_and_saveexec_b32 s1, vcc_lo
	s_cbranch_execz .LBB1587_317
; %bb.319:                              ;   in Loop: Header=BB1587_318 Depth=1
	ds_load_2addr_b32 v[6:7], v1 offset1:1
	ds_load_2addr_b32 v[8:9], v1 offset0:2 offset1:3
	s_wait_dscnt 0x1
	v_add_nc_u32_e32 v2, v7, v6
	s_wait_dscnt 0x0
	s_delay_alu instid0(VALU_DEP_1)
	v_add3_u32 v2, v2, v8, v9
	global_atomic_add_u64 v4, v[2:3], s[6:7] scale_offset scope:SCOPE_DEV
	s_branch .LBB1587_317
.LBB1587_320:
	s_mov_b32 s9, 0
.LBB1587_321:
	s_delay_alu instid0(SALU_CYCLE_1)
	s_and_b32 vcc_lo, exec_lo, s9
	s_cbranch_vccz .LBB1587_417
; %bb.322:
	s_clause 0x7
	global_load_b64 v[16:17], v0, s[4:5] scale_offset
	global_load_b64 v[14:15], v0, s[4:5] offset:4096 scale_offset
	global_load_b64 v[12:13], v0, s[4:5] offset:8192 scale_offset
	;; [unrolled: 1-line block ×7, first 2 shown]
	s_cmp_eq_u32 s2, 0
	v_dual_mov_b32 v18, 0 :: v_dual_lshlrev_b32 v22, 2, v0
	s_cselect_b32 s1, -1, 0
	s_cmp_eq_u32 s3, 64
	v_or_b32_e32 v1, 0xfffffe00, v0
	s_wait_xcnt 0x0
	s_cselect_b32 s4, -1, 0
	s_mov_b32 s0, 0
	s_and_b32 s1, s1, s4
	s_delay_alu instid0(SALU_CYCLE_1)
	s_and_b32 vcc_lo, exec_lo, s1
	s_mov_b32 s1, -1
	s_cbranch_vccnz .LBB1587_412
; %bb.323:
	v_or_b32_e32 v19, 0xfffffe00, v0
	v_lshlrev_b32_e32 v20, 2, v0
.LBB1587_324:                           ; =>This Inner Loop Header: Depth=1
	s_delay_alu instid0(VALU_DEP_2) | instskip(SKIP_4) | instid1(SALU_CYCLE_1)
	v_add_nc_u32_e32 v19, 0x200, v19
	ds_store_b32 v20, v18
	v_add_nc_u32_e32 v20, 0x800, v20
	v_cmp_lt_u32_e32 vcc_lo, 0x1dff, v19
	s_or_b32 s0, vcc_lo, s0
	s_and_not1_b32 exec_lo, exec_lo, s0
	s_cbranch_execnz .LBB1587_324
; %bb.325:
	s_or_b32 exec_lo, exec_lo, s0
	s_cmp_gt_u32 s3, s2
	s_wait_storecnt 0x0
	s_wait_loadcnt_dscnt 0x0
	s_cselect_b32 s4, -1, 0
	s_barrier_signal -1
	s_and_b32 vcc_lo, exec_lo, s4
	s_barrier_wait -1
	s_cbranch_vccz .LBB1587_406
; %bb.326:
	v_cmp_lt_i64_e32 vcc_lo, -1, v[16:17]
	v_dual_ashrrev_i32 v25, 31, v15 :: v_dual_bitop2_b32 v23, 3, v0 bitop3:0x40
	s_mov_b64 s[0:1], 0x7fffffffffffffff
	s_sub_co_i32 s5, s3, s2
	s_add_co_i32 s8, s2, 8
	s_min_u32 s5, s5, 8
	v_cndmask_b32_e64 v18, -1, 0x80000000, vcc_lo
	v_ashrrev_i32_e32 v20, 31, v17
	s_lshl_b32 s5, -1, s5
	s_mov_b32 s11, -1
	s_mov_b32 s10, 0
	v_xor_b32_e32 v19, v18, v17
	v_dual_lshlrev_b32 v24, 2, v23 :: v_dual_bitop2_b32 v18, v20, v16 bitop3:0x14
	s_delay_alu instid0(VALU_DEP_1) | instskip(SKIP_3) | instid1(VALU_DEP_2)
	v_cmp_ne_u64_e32 vcc_lo, s[0:1], v[18:19]
	v_cndmask_b32_e32 v19, 0x80000000, v19, vcc_lo
	v_cndmask_b32_e32 v18, 0, v18, vcc_lo
	v_cmp_lt_i64_e32 vcc_lo, -1, v[14:15]
	v_lshrrev_b64 v[20:21], s2, v[18:19]
	v_mov_b32_e32 v21, 1
	s_delay_alu instid0(VALU_DEP_2) | instskip(SKIP_3) | instid1(VALU_DEP_1)
	v_bitop3_b32 v20, v20, s5, v20 bitop3:0x30
	s_not_b32 s5, s5
	s_cmp_le_u32 s3, s8
	s_cselect_b32 s9, -1, 0
	v_lshl_or_b32 v20, v20, 4, v24
	ds_add_u32 v20, v21
	v_cndmask_b32_e64 v20, -1, 0x80000000, vcc_lo
	s_and_b32 vcc_lo, exec_lo, s9
	s_delay_alu instid0(VALU_DEP_1)
	v_xor_b32_e32 v21, v20, v15
	v_xor_b32_e32 v20, v25, v14
                                        ; implicit-def: $vgpr25
	s_cbranch_vccz .LBB1587_328
; %bb.327:
	s_delay_alu instid0(VALU_DEP_1) | instskip(SKIP_4) | instid1(VALU_DEP_1)
	v_cmp_ne_u64_e32 vcc_lo, s[0:1], v[20:21]
	s_mov_b32 s11, 0
	s_mov_b32 s10, -1
	v_cndmask_b32_e32 v27, 0x80000000, v21, vcc_lo
	v_cndmask_b32_e32 v26, 0, v20, vcc_lo
	v_lshrrev_b64 v[26:27], s2, v[26:27]
	s_delay_alu instid0(VALU_DEP_1) | instskip(NEXT) | instid1(VALU_DEP_1)
	v_and_b32_e32 v25, s5, v26
	v_lshlrev_b32_e32 v25, 4, v25
.LBB1587_328:
	s_and_not1_b32 vcc_lo, exec_lo, s11
	s_cbranch_vccnz .LBB1587_344
; %bb.329:
	v_lshrrev_b64 v[26:27], s8, v[18:19]
	s_sub_co_i32 s0, s3, s8
	s_delay_alu instid0(SALU_CYCLE_1) | instskip(NEXT) | instid1(SALU_CYCLE_1)
	s_min_u32 s0, s0, 8
	s_lshl_b32 s1, -1, s0
	s_add_co_i32 s0, s2, 16
	s_delay_alu instid0(VALU_DEP_1) | instskip(SKIP_3) | instid1(VALU_DEP_1)
	v_bitop3_b32 v25, v26, s1, v26 bitop3:0x30
	s_not_b32 s11, s1
	s_cmp_gt_u32 s3, s0
	s_cselect_b32 s1, -1, 0
	v_lshl_or_b32 v26, v25, 4, v24
	v_mov_b32_e32 v25, 1
	s_cmp_le_u32 s3, s0
	ds_add_u32 v26, v25 offset:4096
	s_cbranch_scc1 .LBB1587_336
; %bb.330:
	v_lshrrev_b64 v[26:27], s0, v[18:19]
	s_sub_co_i32 s12, s3, s0
	s_delay_alu instid0(SALU_CYCLE_1)
	s_min_u32 s12, s12, 8
	s_delay_alu instid0(VALU_DEP_1) | instid1(SALU_CYCLE_1)
	v_bfe_u32 v26, v26, 0, s12
	s_add_co_i32 s12, s2, 24
	s_delay_alu instid0(SALU_CYCLE_1) | instskip(NEXT) | instid1(VALU_DEP_1)
	s_cmp_le_u32 s3, s12
	v_lshl_or_b32 v26, v26, 4, v24
	ds_add_u32 v26, v25 offset:8192
	s_cbranch_scc1 .LBB1587_336
; %bb.331:
	v_lshrrev_b64 v[26:27], s12, v[18:19]
	s_sub_co_i32 s12, s3, s12
	s_delay_alu instid0(SALU_CYCLE_1)
	s_min_u32 s12, s12, 8
	s_delay_alu instid0(VALU_DEP_1) | instid1(SALU_CYCLE_1)
	v_bfe_u32 v26, v26, 0, s12
	s_add_co_i32 s12, s2, 32
	s_delay_alu instid0(SALU_CYCLE_1) | instskip(NEXT) | instid1(VALU_DEP_1)
	s_cmp_le_u32 s3, s12
	v_lshl_or_b32 v27, v26, 4, v24
	v_mov_b32_e32 v26, 1
	ds_add_u32 v27, v26 offset:12288
	s_cbranch_scc1 .LBB1587_336
; %bb.332:
	v_lshrrev_b64 v[28:29], s12, v[18:19]
	s_sub_co_i32 s12, s3, s12
	s_delay_alu instid0(SALU_CYCLE_1)
	s_min_u32 s12, s12, 8
	s_delay_alu instid0(VALU_DEP_1) | instid1(SALU_CYCLE_1)
	v_bfe_u32 v27, v28, 0, s12
	s_add_co_i32 s12, s2, 40
	s_delay_alu instid0(SALU_CYCLE_1) | instskip(NEXT) | instid1(VALU_DEP_1)
	s_cmp_le_u32 s3, s12
	v_lshl_or_b32 v27, v27, 4, v24
	ds_add_u32 v27, v26 offset:16384
	s_cbranch_scc1 .LBB1587_336
; %bb.333:
	v_lshrrev_b64 v[26:27], s12, v[18:19]
	s_sub_co_i32 s12, s3, s12
	s_delay_alu instid0(SALU_CYCLE_1)
	s_min_u32 s12, s12, 8
	s_delay_alu instid0(VALU_DEP_1) | instid1(SALU_CYCLE_1)
	v_bfe_u32 v26, v26, 0, s12
	s_add_co_i32 s12, s2, 48
	s_delay_alu instid0(SALU_CYCLE_1) | instskip(NEXT) | instid1(VALU_DEP_1)
	s_cmp_le_u32 s3, s12
	v_lshl_or_b32 v27, v26, 4, v24
	v_mov_b32_e32 v26, 1
	ds_add_u32 v27, v26 offset:20480
	s_cbranch_scc1 .LBB1587_336
; %bb.334:
	v_lshrrev_b64 v[28:29], s12, v[18:19]
	s_sub_co_i32 s12, s3, s12
	s_delay_alu instid0(SALU_CYCLE_1)
	s_min_u32 s12, s12, 8
	s_delay_alu instid0(VALU_DEP_1) | instid1(SALU_CYCLE_1)
	v_bfe_u32 v27, v28, 0, s12
	s_add_co_i32 s12, s2, 56
	s_delay_alu instid0(SALU_CYCLE_1) | instskip(NEXT) | instid1(VALU_DEP_1)
	s_cmp_le_u32 s3, s12
	v_lshl_or_b32 v27, v27, 4, v24
	ds_add_u32 v27, v26 offset:24576
	s_cbranch_scc1 .LBB1587_336
; %bb.335:
	v_lshrrev_b64 v[18:19], s12, v[18:19]
	s_sub_co_i32 s12, s3, s12
	v_mov_b32_e32 v19, 1
	s_min_u32 s12, s12, 8
	s_delay_alu instid0(VALU_DEP_2) | instid1(SALU_CYCLE_1)
	v_bfe_u32 v18, v18, 0, s12
	s_delay_alu instid0(VALU_DEP_1)
	v_lshl_or_b32 v18, v18, 4, v24
	ds_add_u32 v18, v19 offset:28672
.LBB1587_336:
	s_mov_b64 s[12:13], 0x7fffffffffffffff
	s_delay_alu instid0(SALU_CYCLE_1) | instskip(SKIP_3) | instid1(VALU_DEP_1)
	v_cmp_ne_u64_e32 vcc_lo, s[12:13], v[20:21]
	v_cndmask_b32_e32 v19, 0x80000000, v21, vcc_lo
	v_cndmask_b32_e32 v18, 0, v20, vcc_lo
	s_and_not1_b32 vcc_lo, exec_lo, s1
	v_lshrrev_b64 v[20:21], s2, v[18:19]
	s_delay_alu instid0(VALU_DEP_1) | instskip(SKIP_1) | instid1(VALU_DEP_2)
	v_and_b32_e32 v20, s5, v20
	v_lshrrev_b64 v[26:27], s8, v[18:19]
	v_lshl_or_b32 v20, v20, 4, v24
	s_delay_alu instid0(VALU_DEP_2) | instskip(NEXT) | instid1(VALU_DEP_1)
	v_and_b32_e32 v21, s11, v26
	v_lshl_or_b32 v21, v21, 4, v24
	ds_add_u32 v20, v25
	ds_add_u32 v21, v25 offset:4096
	s_cbranch_vccnz .LBB1587_343
; %bb.337:
	v_lshrrev_b64 v[20:21], s0, v[18:19]
	s_sub_co_i32 s0, s3, s0
	s_delay_alu instid0(SALU_CYCLE_1)
	s_min_u32 s0, s0, 8
	s_delay_alu instid0(VALU_DEP_1) | instid1(SALU_CYCLE_1)
	v_bfe_u32 v20, v20, 0, s0
	s_add_co_i32 s0, s2, 24
	s_delay_alu instid0(SALU_CYCLE_1) | instskip(NEXT) | instid1(VALU_DEP_1)
	s_cmp_gt_u32 s3, s0
	v_lshl_or_b32 v21, v20, 4, v24
	v_mov_b32_e32 v20, 1
	ds_add_u32 v21, v20 offset:8192
	s_cbranch_scc0 .LBB1587_343
; %bb.338:
	v_lshrrev_b64 v[26:27], s0, v[18:19]
	s_sub_co_i32 s0, s3, s0
	s_delay_alu instid0(SALU_CYCLE_1)
	s_min_u32 s0, s0, 8
	s_delay_alu instid0(VALU_DEP_1) | instid1(SALU_CYCLE_1)
	v_bfe_u32 v21, v26, 0, s0
	s_add_co_i32 s0, s2, 32
	s_delay_alu instid0(SALU_CYCLE_1) | instskip(NEXT) | instid1(VALU_DEP_1)
	s_cmp_gt_u32 s3, s0
	v_lshl_or_b32 v21, v21, 4, v24
	ds_add_u32 v21, v20 offset:12288
	s_cbranch_scc0 .LBB1587_343
; %bb.339:
	v_lshrrev_b64 v[20:21], s0, v[18:19]
	s_sub_co_i32 s0, s3, s0
	s_delay_alu instid0(SALU_CYCLE_1)
	s_min_u32 s0, s0, 8
	s_delay_alu instid0(VALU_DEP_1) | instid1(SALU_CYCLE_1)
	v_bfe_u32 v20, v20, 0, s0
	s_add_co_i32 s0, s2, 40
	s_delay_alu instid0(SALU_CYCLE_1) | instskip(NEXT) | instid1(VALU_DEP_1)
	s_cmp_gt_u32 s3, s0
	v_lshl_or_b32 v21, v20, 4, v24
	v_mov_b32_e32 v20, 1
	ds_add_u32 v21, v20 offset:16384
	s_cbranch_scc0 .LBB1587_343
; %bb.340:
	v_lshrrev_b64 v[26:27], s0, v[18:19]
	s_sub_co_i32 s0, s3, s0
	s_delay_alu instid0(SALU_CYCLE_1)
	s_min_u32 s0, s0, 8
	s_delay_alu instid0(VALU_DEP_1) | instid1(SALU_CYCLE_1)
	v_bfe_u32 v21, v26, 0, s0
	s_add_co_i32 s0, s2, 48
	s_delay_alu instid0(SALU_CYCLE_1) | instskip(NEXT) | instid1(VALU_DEP_1)
	s_cmp_gt_u32 s3, s0
	v_lshl_or_b32 v21, v21, 4, v24
	ds_add_u32 v21, v20 offset:20480
	s_cbranch_scc0 .LBB1587_343
; %bb.341:
	v_lshrrev_b64 v[20:21], s0, v[18:19]
	s_sub_co_i32 s0, s3, s0
	v_mov_b32_e32 v21, 1
	s_min_u32 s0, s0, 8
                                        ; implicit-def: $vgpr25
	s_delay_alu instid0(VALU_DEP_2) | instid1(SALU_CYCLE_1)
	v_bfe_u32 v20, v20, 0, s0
	s_add_co_i32 s0, s2, 56
	s_delay_alu instid0(SALU_CYCLE_1) | instskip(NEXT) | instid1(VALU_DEP_1)
	s_cmp_gt_u32 s3, s0
	v_lshl_or_b32 v20, v20, 4, v24
	ds_add_u32 v20, v21 offset:24576
	s_cbranch_scc0 .LBB1587_344
; %bb.342:
	v_lshrrev_b64 v[18:19], s0, v[18:19]
	s_sub_co_i32 s0, s3, s0
	s_mov_b32 s10, -1
	s_min_u32 s0, s0, 8
	s_delay_alu instid0(VALU_DEP_1) | instid1(SALU_CYCLE_1)
	v_bfe_u32 v18, v18, 0, s0
	s_delay_alu instid0(VALU_DEP_1)
	v_lshl_add_u32 v25, v18, 4, 0x7000
	s_branch .LBB1587_344
.LBB1587_343:
                                        ; implicit-def: $vgpr25
.LBB1587_344:
	s_and_b32 vcc_lo, exec_lo, s10
	s_cbranch_vccz .LBB1587_346
; %bb.345:
	s_delay_alu instid0(VALU_DEP_1)
	v_lshl_add_u32 v18, v23, 2, v25
	v_mov_b32_e32 v19, 1
	ds_add_u32 v18, v19
.LBB1587_346:
	v_cmp_lt_i64_e32 vcc_lo, -1, v[12:13]
	s_mov_b64 s[0:1], 0x7fffffffffffffff
	s_mov_b32 s11, -1
	s_mov_b32 s10, 0
	v_cndmask_b32_e64 v18, -1, 0x80000000, vcc_lo
	s_delay_alu instid0(VALU_DEP_1) | instskip(NEXT) | instid1(VALU_DEP_1)
	v_dual_ashrrev_i32 v20, 31, v13 :: v_dual_bitop2_b32 v19, v18, v13 bitop3:0x14
	v_xor_b32_e32 v18, v20, v12
	s_delay_alu instid0(VALU_DEP_1) | instskip(SKIP_3) | instid1(VALU_DEP_2)
	v_cmp_ne_u64_e32 vcc_lo, s[0:1], v[18:19]
	v_cndmask_b32_e32 v19, 0x80000000, v19, vcc_lo
	v_cndmask_b32_e32 v18, 0, v18, vcc_lo
	v_cmp_lt_i64_e32 vcc_lo, -1, v[10:11]
	v_lshrrev_b64 v[20:21], s2, v[18:19]
	s_delay_alu instid0(VALU_DEP_1) | instskip(NEXT) | instid1(VALU_DEP_1)
	v_dual_mov_b32 v21, 1 :: v_dual_bitop2_b32 v20, s5, v20 bitop3:0x40
	v_lshl_or_b32 v20, v20, 4, v24
	ds_add_u32 v20, v21
	v_cndmask_b32_e64 v20, -1, 0x80000000, vcc_lo
	v_ashrrev_i32_e32 v25, 31, v11
	s_and_b32 vcc_lo, exec_lo, s9
	s_delay_alu instid0(VALU_DEP_2) | instskip(NEXT) | instid1(VALU_DEP_2)
	v_xor_b32_e32 v21, v20, v11
	v_xor_b32_e32 v20, v25, v10
                                        ; implicit-def: $vgpr25
	s_cbranch_vccz .LBB1587_348
; %bb.347:
	s_delay_alu instid0(VALU_DEP_1) | instskip(SKIP_4) | instid1(VALU_DEP_1)
	v_cmp_ne_u64_e32 vcc_lo, s[0:1], v[20:21]
	s_mov_b32 s11, 0
	s_mov_b32 s10, -1
	v_cndmask_b32_e32 v27, 0x80000000, v21, vcc_lo
	v_cndmask_b32_e32 v26, 0, v20, vcc_lo
	v_lshrrev_b64 v[26:27], s2, v[26:27]
	s_delay_alu instid0(VALU_DEP_1) | instskip(NEXT) | instid1(VALU_DEP_1)
	v_and_b32_e32 v25, s5, v26
	v_lshlrev_b32_e32 v25, 4, v25
.LBB1587_348:
	s_and_not1_b32 vcc_lo, exec_lo, s11
	s_cbranch_vccnz .LBB1587_364
; %bb.349:
	v_lshrrev_b64 v[26:27], s8, v[18:19]
	s_sub_co_i32 s0, s3, s8
	s_delay_alu instid0(SALU_CYCLE_1) | instskip(NEXT) | instid1(SALU_CYCLE_1)
	s_min_u32 s0, s0, 8
	s_lshl_b32 s1, -1, s0
	s_add_co_i32 s0, s2, 16
	s_delay_alu instid0(VALU_DEP_1) | instskip(SKIP_3) | instid1(VALU_DEP_1)
	v_bitop3_b32 v25, v26, s1, v26 bitop3:0x30
	s_not_b32 s11, s1
	s_cmp_gt_u32 s3, s0
	s_cselect_b32 s1, -1, 0
	v_lshl_or_b32 v26, v25, 4, v24
	v_mov_b32_e32 v25, 1
	s_cmp_le_u32 s3, s0
	ds_add_u32 v26, v25 offset:4096
	s_cbranch_scc1 .LBB1587_356
; %bb.350:
	v_lshrrev_b64 v[26:27], s0, v[18:19]
	s_sub_co_i32 s12, s3, s0
	s_delay_alu instid0(SALU_CYCLE_1)
	s_min_u32 s12, s12, 8
	s_delay_alu instid0(VALU_DEP_1) | instid1(SALU_CYCLE_1)
	v_bfe_u32 v26, v26, 0, s12
	s_add_co_i32 s12, s2, 24
	s_delay_alu instid0(SALU_CYCLE_1) | instskip(NEXT) | instid1(VALU_DEP_1)
	s_cmp_le_u32 s3, s12
	v_lshl_or_b32 v26, v26, 4, v24
	ds_add_u32 v26, v25 offset:8192
	s_cbranch_scc1 .LBB1587_356
; %bb.351:
	v_lshrrev_b64 v[26:27], s12, v[18:19]
	s_sub_co_i32 s12, s3, s12
	s_delay_alu instid0(SALU_CYCLE_1)
	s_min_u32 s12, s12, 8
	s_delay_alu instid0(VALU_DEP_1) | instid1(SALU_CYCLE_1)
	v_bfe_u32 v26, v26, 0, s12
	s_add_co_i32 s12, s2, 32
	s_delay_alu instid0(SALU_CYCLE_1) | instskip(NEXT) | instid1(VALU_DEP_1)
	s_cmp_le_u32 s3, s12
	v_lshl_or_b32 v27, v26, 4, v24
	v_mov_b32_e32 v26, 1
	ds_add_u32 v27, v26 offset:12288
	s_cbranch_scc1 .LBB1587_356
; %bb.352:
	v_lshrrev_b64 v[28:29], s12, v[18:19]
	s_sub_co_i32 s12, s3, s12
	s_delay_alu instid0(SALU_CYCLE_1)
	s_min_u32 s12, s12, 8
	s_delay_alu instid0(VALU_DEP_1) | instid1(SALU_CYCLE_1)
	v_bfe_u32 v27, v28, 0, s12
	s_add_co_i32 s12, s2, 40
	s_delay_alu instid0(SALU_CYCLE_1) | instskip(NEXT) | instid1(VALU_DEP_1)
	s_cmp_le_u32 s3, s12
	v_lshl_or_b32 v27, v27, 4, v24
	ds_add_u32 v27, v26 offset:16384
	s_cbranch_scc1 .LBB1587_356
; %bb.353:
	v_lshrrev_b64 v[26:27], s12, v[18:19]
	s_sub_co_i32 s12, s3, s12
	s_delay_alu instid0(SALU_CYCLE_1)
	s_min_u32 s12, s12, 8
	s_delay_alu instid0(VALU_DEP_1) | instid1(SALU_CYCLE_1)
	v_bfe_u32 v26, v26, 0, s12
	s_add_co_i32 s12, s2, 48
	s_delay_alu instid0(SALU_CYCLE_1) | instskip(NEXT) | instid1(VALU_DEP_1)
	s_cmp_le_u32 s3, s12
	v_lshl_or_b32 v27, v26, 4, v24
	v_mov_b32_e32 v26, 1
	ds_add_u32 v27, v26 offset:20480
	s_cbranch_scc1 .LBB1587_356
; %bb.354:
	v_lshrrev_b64 v[28:29], s12, v[18:19]
	s_sub_co_i32 s12, s3, s12
	s_delay_alu instid0(SALU_CYCLE_1)
	s_min_u32 s12, s12, 8
	s_delay_alu instid0(VALU_DEP_1) | instid1(SALU_CYCLE_1)
	v_bfe_u32 v27, v28, 0, s12
	s_add_co_i32 s12, s2, 56
	s_delay_alu instid0(SALU_CYCLE_1) | instskip(NEXT) | instid1(VALU_DEP_1)
	s_cmp_le_u32 s3, s12
	v_lshl_or_b32 v27, v27, 4, v24
	ds_add_u32 v27, v26 offset:24576
	s_cbranch_scc1 .LBB1587_356
; %bb.355:
	v_lshrrev_b64 v[18:19], s12, v[18:19]
	s_sub_co_i32 s12, s3, s12
	v_mov_b32_e32 v19, 1
	s_min_u32 s12, s12, 8
	s_delay_alu instid0(VALU_DEP_2) | instid1(SALU_CYCLE_1)
	v_bfe_u32 v18, v18, 0, s12
	s_delay_alu instid0(VALU_DEP_1)
	v_lshl_or_b32 v18, v18, 4, v24
	ds_add_u32 v18, v19 offset:28672
.LBB1587_356:
	s_mov_b64 s[12:13], 0x7fffffffffffffff
	s_delay_alu instid0(SALU_CYCLE_1) | instskip(SKIP_3) | instid1(VALU_DEP_1)
	v_cmp_ne_u64_e32 vcc_lo, s[12:13], v[20:21]
	v_cndmask_b32_e32 v19, 0x80000000, v21, vcc_lo
	v_cndmask_b32_e32 v18, 0, v20, vcc_lo
	s_and_not1_b32 vcc_lo, exec_lo, s1
	v_lshrrev_b64 v[20:21], s2, v[18:19]
	s_delay_alu instid0(VALU_DEP_1) | instskip(SKIP_1) | instid1(VALU_DEP_2)
	v_and_b32_e32 v20, s5, v20
	v_lshrrev_b64 v[26:27], s8, v[18:19]
	v_lshl_or_b32 v20, v20, 4, v24
	s_delay_alu instid0(VALU_DEP_2) | instskip(NEXT) | instid1(VALU_DEP_1)
	v_and_b32_e32 v21, s11, v26
	v_lshl_or_b32 v21, v21, 4, v24
	ds_add_u32 v20, v25
	ds_add_u32 v21, v25 offset:4096
	s_cbranch_vccnz .LBB1587_363
; %bb.357:
	v_lshrrev_b64 v[20:21], s0, v[18:19]
	s_sub_co_i32 s0, s3, s0
	s_delay_alu instid0(SALU_CYCLE_1)
	s_min_u32 s0, s0, 8
	s_delay_alu instid0(VALU_DEP_1) | instid1(SALU_CYCLE_1)
	v_bfe_u32 v20, v20, 0, s0
	s_add_co_i32 s0, s2, 24
	s_delay_alu instid0(SALU_CYCLE_1) | instskip(NEXT) | instid1(VALU_DEP_1)
	s_cmp_gt_u32 s3, s0
	v_lshl_or_b32 v21, v20, 4, v24
	v_mov_b32_e32 v20, 1
	ds_add_u32 v21, v20 offset:8192
	s_cbranch_scc0 .LBB1587_363
; %bb.358:
	v_lshrrev_b64 v[26:27], s0, v[18:19]
	s_sub_co_i32 s0, s3, s0
	s_delay_alu instid0(SALU_CYCLE_1)
	s_min_u32 s0, s0, 8
	s_delay_alu instid0(VALU_DEP_1) | instid1(SALU_CYCLE_1)
	v_bfe_u32 v21, v26, 0, s0
	s_add_co_i32 s0, s2, 32
	s_delay_alu instid0(SALU_CYCLE_1) | instskip(NEXT) | instid1(VALU_DEP_1)
	s_cmp_gt_u32 s3, s0
	v_lshl_or_b32 v21, v21, 4, v24
	ds_add_u32 v21, v20 offset:12288
	s_cbranch_scc0 .LBB1587_363
; %bb.359:
	v_lshrrev_b64 v[20:21], s0, v[18:19]
	s_sub_co_i32 s0, s3, s0
	s_delay_alu instid0(SALU_CYCLE_1)
	s_min_u32 s0, s0, 8
	s_delay_alu instid0(VALU_DEP_1) | instid1(SALU_CYCLE_1)
	v_bfe_u32 v20, v20, 0, s0
	s_add_co_i32 s0, s2, 40
	s_delay_alu instid0(SALU_CYCLE_1) | instskip(NEXT) | instid1(VALU_DEP_1)
	s_cmp_gt_u32 s3, s0
	v_lshl_or_b32 v21, v20, 4, v24
	v_mov_b32_e32 v20, 1
	ds_add_u32 v21, v20 offset:16384
	s_cbranch_scc0 .LBB1587_363
; %bb.360:
	v_lshrrev_b64 v[26:27], s0, v[18:19]
	s_sub_co_i32 s0, s3, s0
	s_delay_alu instid0(SALU_CYCLE_1)
	s_min_u32 s0, s0, 8
	s_delay_alu instid0(VALU_DEP_1) | instid1(SALU_CYCLE_1)
	v_bfe_u32 v21, v26, 0, s0
	s_add_co_i32 s0, s2, 48
	s_delay_alu instid0(SALU_CYCLE_1) | instskip(NEXT) | instid1(VALU_DEP_1)
	s_cmp_gt_u32 s3, s0
	v_lshl_or_b32 v21, v21, 4, v24
	ds_add_u32 v21, v20 offset:20480
	s_cbranch_scc0 .LBB1587_363
; %bb.361:
	v_lshrrev_b64 v[20:21], s0, v[18:19]
	s_sub_co_i32 s0, s3, s0
	v_mov_b32_e32 v21, 1
	s_min_u32 s0, s0, 8
                                        ; implicit-def: $vgpr25
	s_delay_alu instid0(VALU_DEP_2) | instid1(SALU_CYCLE_1)
	v_bfe_u32 v20, v20, 0, s0
	s_add_co_i32 s0, s2, 56
	s_delay_alu instid0(SALU_CYCLE_1) | instskip(NEXT) | instid1(VALU_DEP_1)
	s_cmp_gt_u32 s3, s0
	v_lshl_or_b32 v20, v20, 4, v24
	ds_add_u32 v20, v21 offset:24576
	s_cbranch_scc0 .LBB1587_364
; %bb.362:
	v_lshrrev_b64 v[18:19], s0, v[18:19]
	s_sub_co_i32 s0, s3, s0
	s_mov_b32 s10, -1
	s_min_u32 s0, s0, 8
	s_delay_alu instid0(VALU_DEP_1) | instid1(SALU_CYCLE_1)
	v_bfe_u32 v18, v18, 0, s0
	s_delay_alu instid0(VALU_DEP_1)
	v_lshl_add_u32 v25, v18, 4, 0x7000
	s_branch .LBB1587_364
.LBB1587_363:
                                        ; implicit-def: $vgpr25
.LBB1587_364:
	s_and_b32 vcc_lo, exec_lo, s10
	s_cbranch_vccz .LBB1587_366
; %bb.365:
	s_delay_alu instid0(VALU_DEP_1)
	v_lshl_add_u32 v18, v23, 2, v25
	v_mov_b32_e32 v19, 1
	ds_add_u32 v18, v19
.LBB1587_366:
	v_cmp_lt_i64_e32 vcc_lo, -1, v[8:9]
	s_mov_b64 s[0:1], 0x7fffffffffffffff
	s_mov_b32 s11, -1
	s_mov_b32 s10, 0
	v_cndmask_b32_e64 v18, -1, 0x80000000, vcc_lo
	s_delay_alu instid0(VALU_DEP_1) | instskip(NEXT) | instid1(VALU_DEP_1)
	v_dual_ashrrev_i32 v20, 31, v9 :: v_dual_bitop2_b32 v19, v18, v9 bitop3:0x14
	v_xor_b32_e32 v18, v20, v8
	s_delay_alu instid0(VALU_DEP_1) | instskip(SKIP_3) | instid1(VALU_DEP_2)
	v_cmp_ne_u64_e32 vcc_lo, s[0:1], v[18:19]
	v_cndmask_b32_e32 v19, 0x80000000, v19, vcc_lo
	v_cndmask_b32_e32 v18, 0, v18, vcc_lo
	v_cmp_lt_i64_e32 vcc_lo, -1, v[6:7]
	v_lshrrev_b64 v[20:21], s2, v[18:19]
	s_delay_alu instid0(VALU_DEP_1) | instskip(NEXT) | instid1(VALU_DEP_1)
	v_dual_mov_b32 v21, 1 :: v_dual_bitop2_b32 v20, s5, v20 bitop3:0x40
	v_lshl_or_b32 v20, v20, 4, v24
	ds_add_u32 v20, v21
	v_cndmask_b32_e64 v20, -1, 0x80000000, vcc_lo
	v_ashrrev_i32_e32 v25, 31, v7
	s_and_b32 vcc_lo, exec_lo, s9
	s_delay_alu instid0(VALU_DEP_2) | instskip(NEXT) | instid1(VALU_DEP_2)
	v_xor_b32_e32 v21, v20, v7
	v_xor_b32_e32 v20, v25, v6
                                        ; implicit-def: $vgpr25
	s_cbranch_vccz .LBB1587_368
; %bb.367:
	s_delay_alu instid0(VALU_DEP_1) | instskip(SKIP_4) | instid1(VALU_DEP_1)
	v_cmp_ne_u64_e32 vcc_lo, s[0:1], v[20:21]
	s_mov_b32 s11, 0
	s_mov_b32 s10, -1
	v_cndmask_b32_e32 v27, 0x80000000, v21, vcc_lo
	v_cndmask_b32_e32 v26, 0, v20, vcc_lo
	v_lshrrev_b64 v[26:27], s2, v[26:27]
	s_delay_alu instid0(VALU_DEP_1) | instskip(NEXT) | instid1(VALU_DEP_1)
	v_and_b32_e32 v25, s5, v26
	v_lshlrev_b32_e32 v25, 4, v25
.LBB1587_368:
	s_and_not1_b32 vcc_lo, exec_lo, s11
	s_cbranch_vccnz .LBB1587_384
; %bb.369:
	v_lshrrev_b64 v[26:27], s8, v[18:19]
	s_sub_co_i32 s0, s3, s8
	s_delay_alu instid0(SALU_CYCLE_1) | instskip(NEXT) | instid1(SALU_CYCLE_1)
	s_min_u32 s0, s0, 8
	s_lshl_b32 s1, -1, s0
	s_add_co_i32 s0, s2, 16
	s_delay_alu instid0(VALU_DEP_1) | instskip(SKIP_3) | instid1(VALU_DEP_1)
	v_bitop3_b32 v25, v26, s1, v26 bitop3:0x30
	s_not_b32 s11, s1
	s_cmp_gt_u32 s3, s0
	s_cselect_b32 s1, -1, 0
	v_lshl_or_b32 v26, v25, 4, v24
	v_mov_b32_e32 v25, 1
	s_cmp_le_u32 s3, s0
	ds_add_u32 v26, v25 offset:4096
	s_cbranch_scc1 .LBB1587_376
; %bb.370:
	v_lshrrev_b64 v[26:27], s0, v[18:19]
	s_sub_co_i32 s12, s3, s0
	s_delay_alu instid0(SALU_CYCLE_1)
	s_min_u32 s12, s12, 8
	s_delay_alu instid0(VALU_DEP_1) | instid1(SALU_CYCLE_1)
	v_bfe_u32 v26, v26, 0, s12
	s_add_co_i32 s12, s2, 24
	s_delay_alu instid0(SALU_CYCLE_1) | instskip(NEXT) | instid1(VALU_DEP_1)
	s_cmp_le_u32 s3, s12
	v_lshl_or_b32 v26, v26, 4, v24
	ds_add_u32 v26, v25 offset:8192
	s_cbranch_scc1 .LBB1587_376
; %bb.371:
	v_lshrrev_b64 v[26:27], s12, v[18:19]
	s_sub_co_i32 s12, s3, s12
	s_delay_alu instid0(SALU_CYCLE_1)
	s_min_u32 s12, s12, 8
	s_delay_alu instid0(VALU_DEP_1) | instid1(SALU_CYCLE_1)
	v_bfe_u32 v26, v26, 0, s12
	s_add_co_i32 s12, s2, 32
	s_delay_alu instid0(SALU_CYCLE_1) | instskip(NEXT) | instid1(VALU_DEP_1)
	s_cmp_le_u32 s3, s12
	v_lshl_or_b32 v27, v26, 4, v24
	v_mov_b32_e32 v26, 1
	ds_add_u32 v27, v26 offset:12288
	s_cbranch_scc1 .LBB1587_376
; %bb.372:
	v_lshrrev_b64 v[28:29], s12, v[18:19]
	s_sub_co_i32 s12, s3, s12
	s_delay_alu instid0(SALU_CYCLE_1)
	s_min_u32 s12, s12, 8
	s_delay_alu instid0(VALU_DEP_1) | instid1(SALU_CYCLE_1)
	v_bfe_u32 v27, v28, 0, s12
	s_add_co_i32 s12, s2, 40
	s_delay_alu instid0(SALU_CYCLE_1) | instskip(NEXT) | instid1(VALU_DEP_1)
	s_cmp_le_u32 s3, s12
	v_lshl_or_b32 v27, v27, 4, v24
	ds_add_u32 v27, v26 offset:16384
	s_cbranch_scc1 .LBB1587_376
; %bb.373:
	v_lshrrev_b64 v[26:27], s12, v[18:19]
	s_sub_co_i32 s12, s3, s12
	s_delay_alu instid0(SALU_CYCLE_1)
	s_min_u32 s12, s12, 8
	s_delay_alu instid0(VALU_DEP_1) | instid1(SALU_CYCLE_1)
	v_bfe_u32 v26, v26, 0, s12
	s_add_co_i32 s12, s2, 48
	s_delay_alu instid0(SALU_CYCLE_1) | instskip(NEXT) | instid1(VALU_DEP_1)
	s_cmp_le_u32 s3, s12
	v_lshl_or_b32 v27, v26, 4, v24
	v_mov_b32_e32 v26, 1
	ds_add_u32 v27, v26 offset:20480
	s_cbranch_scc1 .LBB1587_376
; %bb.374:
	v_lshrrev_b64 v[28:29], s12, v[18:19]
	s_sub_co_i32 s12, s3, s12
	s_delay_alu instid0(SALU_CYCLE_1)
	s_min_u32 s12, s12, 8
	s_delay_alu instid0(VALU_DEP_1) | instid1(SALU_CYCLE_1)
	v_bfe_u32 v27, v28, 0, s12
	s_add_co_i32 s12, s2, 56
	s_delay_alu instid0(SALU_CYCLE_1) | instskip(NEXT) | instid1(VALU_DEP_1)
	s_cmp_le_u32 s3, s12
	v_lshl_or_b32 v27, v27, 4, v24
	ds_add_u32 v27, v26 offset:24576
	s_cbranch_scc1 .LBB1587_376
; %bb.375:
	v_lshrrev_b64 v[18:19], s12, v[18:19]
	s_sub_co_i32 s12, s3, s12
	v_mov_b32_e32 v19, 1
	s_min_u32 s12, s12, 8
	s_delay_alu instid0(VALU_DEP_2) | instid1(SALU_CYCLE_1)
	v_bfe_u32 v18, v18, 0, s12
	s_delay_alu instid0(VALU_DEP_1)
	v_lshl_or_b32 v18, v18, 4, v24
	ds_add_u32 v18, v19 offset:28672
.LBB1587_376:
	s_mov_b64 s[12:13], 0x7fffffffffffffff
	s_delay_alu instid0(SALU_CYCLE_1) | instskip(SKIP_3) | instid1(VALU_DEP_1)
	v_cmp_ne_u64_e32 vcc_lo, s[12:13], v[20:21]
	v_cndmask_b32_e32 v19, 0x80000000, v21, vcc_lo
	v_cndmask_b32_e32 v18, 0, v20, vcc_lo
	s_and_not1_b32 vcc_lo, exec_lo, s1
	v_lshrrev_b64 v[20:21], s2, v[18:19]
	s_delay_alu instid0(VALU_DEP_1) | instskip(SKIP_1) | instid1(VALU_DEP_2)
	v_and_b32_e32 v20, s5, v20
	v_lshrrev_b64 v[26:27], s8, v[18:19]
	v_lshl_or_b32 v20, v20, 4, v24
	s_delay_alu instid0(VALU_DEP_2) | instskip(NEXT) | instid1(VALU_DEP_1)
	v_and_b32_e32 v21, s11, v26
	v_lshl_or_b32 v21, v21, 4, v24
	ds_add_u32 v20, v25
	ds_add_u32 v21, v25 offset:4096
	s_cbranch_vccnz .LBB1587_383
; %bb.377:
	v_lshrrev_b64 v[20:21], s0, v[18:19]
	s_sub_co_i32 s0, s3, s0
	s_delay_alu instid0(SALU_CYCLE_1)
	s_min_u32 s0, s0, 8
	s_delay_alu instid0(VALU_DEP_1) | instid1(SALU_CYCLE_1)
	v_bfe_u32 v20, v20, 0, s0
	s_add_co_i32 s0, s2, 24
	s_delay_alu instid0(SALU_CYCLE_1) | instskip(NEXT) | instid1(VALU_DEP_1)
	s_cmp_gt_u32 s3, s0
	v_lshl_or_b32 v21, v20, 4, v24
	v_mov_b32_e32 v20, 1
	ds_add_u32 v21, v20 offset:8192
	s_cbranch_scc0 .LBB1587_383
; %bb.378:
	v_lshrrev_b64 v[26:27], s0, v[18:19]
	s_sub_co_i32 s0, s3, s0
	s_delay_alu instid0(SALU_CYCLE_1)
	s_min_u32 s0, s0, 8
	s_delay_alu instid0(VALU_DEP_1) | instid1(SALU_CYCLE_1)
	v_bfe_u32 v21, v26, 0, s0
	s_add_co_i32 s0, s2, 32
	s_delay_alu instid0(SALU_CYCLE_1) | instskip(NEXT) | instid1(VALU_DEP_1)
	s_cmp_gt_u32 s3, s0
	v_lshl_or_b32 v21, v21, 4, v24
	ds_add_u32 v21, v20 offset:12288
	s_cbranch_scc0 .LBB1587_383
; %bb.379:
	v_lshrrev_b64 v[20:21], s0, v[18:19]
	s_sub_co_i32 s0, s3, s0
	s_delay_alu instid0(SALU_CYCLE_1)
	s_min_u32 s0, s0, 8
	s_delay_alu instid0(VALU_DEP_1) | instid1(SALU_CYCLE_1)
	v_bfe_u32 v20, v20, 0, s0
	s_add_co_i32 s0, s2, 40
	s_delay_alu instid0(SALU_CYCLE_1) | instskip(NEXT) | instid1(VALU_DEP_1)
	s_cmp_gt_u32 s3, s0
	v_lshl_or_b32 v21, v20, 4, v24
	v_mov_b32_e32 v20, 1
	ds_add_u32 v21, v20 offset:16384
	s_cbranch_scc0 .LBB1587_383
; %bb.380:
	v_lshrrev_b64 v[26:27], s0, v[18:19]
	s_sub_co_i32 s0, s3, s0
	s_delay_alu instid0(SALU_CYCLE_1)
	s_min_u32 s0, s0, 8
	s_delay_alu instid0(VALU_DEP_1) | instid1(SALU_CYCLE_1)
	v_bfe_u32 v21, v26, 0, s0
	s_add_co_i32 s0, s2, 48
	s_delay_alu instid0(SALU_CYCLE_1) | instskip(NEXT) | instid1(VALU_DEP_1)
	s_cmp_gt_u32 s3, s0
	v_lshl_or_b32 v21, v21, 4, v24
	ds_add_u32 v21, v20 offset:20480
	s_cbranch_scc0 .LBB1587_383
; %bb.381:
	v_lshrrev_b64 v[20:21], s0, v[18:19]
	s_sub_co_i32 s0, s3, s0
	v_mov_b32_e32 v21, 1
	s_min_u32 s0, s0, 8
                                        ; implicit-def: $vgpr25
	s_delay_alu instid0(VALU_DEP_2) | instid1(SALU_CYCLE_1)
	v_bfe_u32 v20, v20, 0, s0
	s_add_co_i32 s0, s2, 56
	s_delay_alu instid0(SALU_CYCLE_1) | instskip(NEXT) | instid1(VALU_DEP_1)
	s_cmp_gt_u32 s3, s0
	v_lshl_or_b32 v20, v20, 4, v24
	ds_add_u32 v20, v21 offset:24576
	s_cbranch_scc0 .LBB1587_384
; %bb.382:
	v_lshrrev_b64 v[18:19], s0, v[18:19]
	s_sub_co_i32 s0, s3, s0
	s_mov_b32 s10, -1
	s_min_u32 s0, s0, 8
	s_delay_alu instid0(VALU_DEP_1) | instid1(SALU_CYCLE_1)
	v_bfe_u32 v18, v18, 0, s0
	s_delay_alu instid0(VALU_DEP_1)
	v_lshl_add_u32 v25, v18, 4, 0x7000
	s_branch .LBB1587_384
.LBB1587_383:
                                        ; implicit-def: $vgpr25
.LBB1587_384:
	s_and_b32 vcc_lo, exec_lo, s10
	s_cbranch_vccz .LBB1587_386
; %bb.385:
	s_delay_alu instid0(VALU_DEP_1)
	v_lshl_add_u32 v18, v23, 2, v25
	v_mov_b32_e32 v19, 1
	ds_add_u32 v18, v19
.LBB1587_386:
	v_cmp_lt_i64_e32 vcc_lo, -1, v[4:5]
	s_mov_b64 s[0:1], 0x7fffffffffffffff
	s_mov_b32 s10, -1
	v_cndmask_b32_e64 v18, -1, 0x80000000, vcc_lo
	s_delay_alu instid0(VALU_DEP_1) | instskip(NEXT) | instid1(VALU_DEP_1)
	v_dual_ashrrev_i32 v20, 31, v5 :: v_dual_bitop2_b32 v19, v18, v5 bitop3:0x14
	v_xor_b32_e32 v18, v20, v4
	s_delay_alu instid0(VALU_DEP_1) | instskip(SKIP_3) | instid1(VALU_DEP_2)
	v_cmp_ne_u64_e32 vcc_lo, s[0:1], v[18:19]
	v_cndmask_b32_e32 v19, 0x80000000, v19, vcc_lo
	v_cndmask_b32_e32 v18, 0, v18, vcc_lo
	v_cmp_lt_i64_e32 vcc_lo, -1, v[2:3]
	v_lshrrev_b64 v[20:21], s2, v[18:19]
	s_delay_alu instid0(VALU_DEP_1) | instskip(NEXT) | instid1(VALU_DEP_1)
	v_dual_mov_b32 v21, 1 :: v_dual_bitop2_b32 v20, s5, v20 bitop3:0x40
	v_lshl_or_b32 v20, v20, 4, v24
	ds_add_u32 v20, v21
	v_cndmask_b32_e64 v20, -1, 0x80000000, vcc_lo
	v_ashrrev_i32_e32 v25, 31, v3
	s_and_b32 vcc_lo, exec_lo, s9
	s_mov_b32 s9, 0
	s_delay_alu instid0(VALU_DEP_2) | instskip(NEXT) | instid1(VALU_DEP_2)
	v_xor_b32_e32 v21, v20, v3
	v_xor_b32_e32 v20, v25, v2
                                        ; implicit-def: $vgpr25
	s_cbranch_vccz .LBB1587_388
; %bb.387:
	s_delay_alu instid0(VALU_DEP_1) | instskip(SKIP_4) | instid1(VALU_DEP_1)
	v_cmp_ne_u64_e32 vcc_lo, s[0:1], v[20:21]
	s_mov_b32 s10, 0
	s_mov_b32 s9, -1
	v_cndmask_b32_e32 v27, 0x80000000, v21, vcc_lo
	v_cndmask_b32_e32 v26, 0, v20, vcc_lo
	v_lshrrev_b64 v[26:27], s2, v[26:27]
	s_delay_alu instid0(VALU_DEP_1) | instskip(NEXT) | instid1(VALU_DEP_1)
	v_and_b32_e32 v25, s5, v26
	v_lshlrev_b32_e32 v25, 4, v25
.LBB1587_388:
	s_and_not1_b32 vcc_lo, exec_lo, s10
	s_cbranch_vccnz .LBB1587_404
; %bb.389:
	v_lshrrev_b64 v[26:27], s8, v[18:19]
	s_sub_co_i32 s0, s3, s8
	s_delay_alu instid0(SALU_CYCLE_1) | instskip(NEXT) | instid1(SALU_CYCLE_1)
	s_min_u32 s0, s0, 8
	s_lshl_b32 s1, -1, s0
	s_add_co_i32 s0, s2, 16
	s_delay_alu instid0(VALU_DEP_1) | instskip(SKIP_3) | instid1(VALU_DEP_1)
	v_bitop3_b32 v25, v26, s1, v26 bitop3:0x30
	s_not_b32 s10, s1
	s_cmp_gt_u32 s3, s0
	s_cselect_b32 s1, -1, 0
	v_lshl_or_b32 v26, v25, 4, v24
	v_mov_b32_e32 v25, 1
	s_cmp_le_u32 s3, s0
	ds_add_u32 v26, v25 offset:4096
	s_cbranch_scc1 .LBB1587_396
; %bb.390:
	v_lshrrev_b64 v[26:27], s0, v[18:19]
	s_sub_co_i32 s11, s3, s0
	s_delay_alu instid0(SALU_CYCLE_1)
	s_min_u32 s11, s11, 8
	s_delay_alu instid0(VALU_DEP_1) | instid1(SALU_CYCLE_1)
	v_bfe_u32 v26, v26, 0, s11
	s_add_co_i32 s11, s2, 24
	s_delay_alu instid0(SALU_CYCLE_1) | instskip(NEXT) | instid1(VALU_DEP_1)
	s_cmp_le_u32 s3, s11
	v_lshl_or_b32 v26, v26, 4, v24
	ds_add_u32 v26, v25 offset:8192
	s_cbranch_scc1 .LBB1587_396
; %bb.391:
	v_lshrrev_b64 v[26:27], s11, v[18:19]
	s_sub_co_i32 s11, s3, s11
	s_delay_alu instid0(SALU_CYCLE_1)
	s_min_u32 s11, s11, 8
	s_delay_alu instid0(VALU_DEP_1) | instid1(SALU_CYCLE_1)
	v_bfe_u32 v26, v26, 0, s11
	s_add_co_i32 s11, s2, 32
	s_delay_alu instid0(SALU_CYCLE_1) | instskip(NEXT) | instid1(VALU_DEP_1)
	s_cmp_le_u32 s3, s11
	v_lshl_or_b32 v27, v26, 4, v24
	v_mov_b32_e32 v26, 1
	ds_add_u32 v27, v26 offset:12288
	s_cbranch_scc1 .LBB1587_396
; %bb.392:
	v_lshrrev_b64 v[28:29], s11, v[18:19]
	s_sub_co_i32 s11, s3, s11
	s_delay_alu instid0(SALU_CYCLE_1)
	s_min_u32 s11, s11, 8
	s_delay_alu instid0(VALU_DEP_1) | instid1(SALU_CYCLE_1)
	v_bfe_u32 v27, v28, 0, s11
	s_add_co_i32 s11, s2, 40
	s_delay_alu instid0(SALU_CYCLE_1) | instskip(NEXT) | instid1(VALU_DEP_1)
	s_cmp_le_u32 s3, s11
	v_lshl_or_b32 v27, v27, 4, v24
	ds_add_u32 v27, v26 offset:16384
	s_cbranch_scc1 .LBB1587_396
; %bb.393:
	v_lshrrev_b64 v[26:27], s11, v[18:19]
	s_sub_co_i32 s11, s3, s11
	s_delay_alu instid0(SALU_CYCLE_1)
	s_min_u32 s11, s11, 8
	s_delay_alu instid0(VALU_DEP_1) | instid1(SALU_CYCLE_1)
	v_bfe_u32 v26, v26, 0, s11
	s_add_co_i32 s11, s2, 48
	s_delay_alu instid0(SALU_CYCLE_1) | instskip(NEXT) | instid1(VALU_DEP_1)
	s_cmp_le_u32 s3, s11
	v_lshl_or_b32 v27, v26, 4, v24
	v_mov_b32_e32 v26, 1
	ds_add_u32 v27, v26 offset:20480
	s_cbranch_scc1 .LBB1587_396
; %bb.394:
	v_lshrrev_b64 v[28:29], s11, v[18:19]
	s_sub_co_i32 s11, s3, s11
	s_delay_alu instid0(SALU_CYCLE_1)
	s_min_u32 s11, s11, 8
	s_delay_alu instid0(VALU_DEP_1) | instid1(SALU_CYCLE_1)
	v_bfe_u32 v27, v28, 0, s11
	s_add_co_i32 s11, s2, 56
	s_delay_alu instid0(SALU_CYCLE_1) | instskip(NEXT) | instid1(VALU_DEP_1)
	s_cmp_le_u32 s3, s11
	v_lshl_or_b32 v27, v27, 4, v24
	ds_add_u32 v27, v26 offset:24576
	s_cbranch_scc1 .LBB1587_396
; %bb.395:
	v_lshrrev_b64 v[18:19], s11, v[18:19]
	s_sub_co_i32 s11, s3, s11
	v_mov_b32_e32 v19, 1
	s_min_u32 s11, s11, 8
	s_delay_alu instid0(VALU_DEP_2) | instid1(SALU_CYCLE_1)
	v_bfe_u32 v18, v18, 0, s11
	s_delay_alu instid0(VALU_DEP_1)
	v_lshl_or_b32 v18, v18, 4, v24
	ds_add_u32 v18, v19 offset:28672
.LBB1587_396:
	s_mov_b64 s[12:13], 0x7fffffffffffffff
	s_delay_alu instid0(SALU_CYCLE_1) | instskip(SKIP_3) | instid1(VALU_DEP_1)
	v_cmp_ne_u64_e32 vcc_lo, s[12:13], v[20:21]
	v_cndmask_b32_e32 v19, 0x80000000, v21, vcc_lo
	v_cndmask_b32_e32 v18, 0, v20, vcc_lo
	s_and_not1_b32 vcc_lo, exec_lo, s1
	v_lshrrev_b64 v[20:21], s2, v[18:19]
	s_delay_alu instid0(VALU_DEP_1) | instskip(SKIP_1) | instid1(VALU_DEP_2)
	v_and_b32_e32 v20, s5, v20
	v_lshrrev_b64 v[26:27], s8, v[18:19]
	v_lshl_or_b32 v20, v20, 4, v24
	s_delay_alu instid0(VALU_DEP_2) | instskip(NEXT) | instid1(VALU_DEP_1)
	v_and_b32_e32 v21, s10, v26
	v_lshl_or_b32 v21, v21, 4, v24
	ds_add_u32 v20, v25
	ds_add_u32 v21, v25 offset:4096
	s_cbranch_vccnz .LBB1587_403
; %bb.397:
	v_lshrrev_b64 v[20:21], s0, v[18:19]
	s_sub_co_i32 s0, s3, s0
	s_delay_alu instid0(SALU_CYCLE_1)
	s_min_u32 s0, s0, 8
	s_delay_alu instid0(VALU_DEP_1) | instid1(SALU_CYCLE_1)
	v_bfe_u32 v20, v20, 0, s0
	s_add_co_i32 s0, s2, 24
	s_delay_alu instid0(SALU_CYCLE_1) | instskip(NEXT) | instid1(VALU_DEP_1)
	s_cmp_gt_u32 s3, s0
	v_lshl_or_b32 v21, v20, 4, v24
	v_mov_b32_e32 v20, 1
	ds_add_u32 v21, v20 offset:8192
	s_cbranch_scc0 .LBB1587_403
; %bb.398:
	v_lshrrev_b64 v[26:27], s0, v[18:19]
	s_sub_co_i32 s0, s3, s0
	s_delay_alu instid0(SALU_CYCLE_1)
	s_min_u32 s0, s0, 8
	s_delay_alu instid0(VALU_DEP_1) | instid1(SALU_CYCLE_1)
	v_bfe_u32 v21, v26, 0, s0
	s_add_co_i32 s0, s2, 32
	s_delay_alu instid0(SALU_CYCLE_1) | instskip(NEXT) | instid1(VALU_DEP_1)
	s_cmp_gt_u32 s3, s0
	v_lshl_or_b32 v21, v21, 4, v24
	ds_add_u32 v21, v20 offset:12288
	s_cbranch_scc0 .LBB1587_403
; %bb.399:
	v_lshrrev_b64 v[20:21], s0, v[18:19]
	s_sub_co_i32 s0, s3, s0
	s_delay_alu instid0(SALU_CYCLE_1)
	s_min_u32 s0, s0, 8
	s_delay_alu instid0(VALU_DEP_1) | instid1(SALU_CYCLE_1)
	v_bfe_u32 v20, v20, 0, s0
	s_add_co_i32 s0, s2, 40
	s_delay_alu instid0(SALU_CYCLE_1) | instskip(NEXT) | instid1(VALU_DEP_1)
	s_cmp_gt_u32 s3, s0
	v_lshl_or_b32 v21, v20, 4, v24
	v_mov_b32_e32 v20, 1
	ds_add_u32 v21, v20 offset:16384
	s_cbranch_scc0 .LBB1587_403
; %bb.400:
	v_lshrrev_b64 v[26:27], s0, v[18:19]
	s_sub_co_i32 s0, s3, s0
	s_delay_alu instid0(SALU_CYCLE_1)
	s_min_u32 s0, s0, 8
	s_delay_alu instid0(VALU_DEP_1) | instid1(SALU_CYCLE_1)
	v_bfe_u32 v21, v26, 0, s0
	s_add_co_i32 s0, s2, 48
	s_delay_alu instid0(SALU_CYCLE_1) | instskip(NEXT) | instid1(VALU_DEP_1)
	s_cmp_gt_u32 s3, s0
	v_lshl_or_b32 v21, v21, 4, v24
	ds_add_u32 v21, v20 offset:20480
	s_cbranch_scc0 .LBB1587_403
; %bb.401:
	v_lshrrev_b64 v[20:21], s0, v[18:19]
	s_sub_co_i32 s0, s3, s0
	v_mov_b32_e32 v21, 1
	s_min_u32 s0, s0, 8
                                        ; implicit-def: $vgpr25
	s_delay_alu instid0(VALU_DEP_2) | instid1(SALU_CYCLE_1)
	v_bfe_u32 v20, v20, 0, s0
	s_add_co_i32 s0, s2, 56
	s_delay_alu instid0(SALU_CYCLE_1) | instskip(NEXT) | instid1(VALU_DEP_1)
	s_cmp_gt_u32 s3, s0
	v_lshl_or_b32 v20, v20, 4, v24
	ds_add_u32 v20, v21 offset:24576
	s_cbranch_scc0 .LBB1587_404
; %bb.402:
	v_lshrrev_b64 v[18:19], s0, v[18:19]
	s_sub_co_i32 s0, s3, s0
	s_mov_b32 s9, -1
	s_min_u32 s0, s0, 8
	s_delay_alu instid0(VALU_DEP_1) | instid1(SALU_CYCLE_1)
	v_bfe_u32 v18, v18, 0, s0
	s_delay_alu instid0(VALU_DEP_1)
	v_lshl_add_u32 v25, v18, 4, 0x7000
	s_branch .LBB1587_404
.LBB1587_403:
                                        ; implicit-def: $vgpr25
.LBB1587_404:
	s_and_b32 vcc_lo, exec_lo, s9
	s_cbranch_vccz .LBB1587_406
; %bb.405:
	s_delay_alu instid0(VALU_DEP_1)
	v_lshl_add_u32 v18, v23, 2, v25
	v_mov_b32_e32 v19, 1
	ds_add_u32 v18, v19
.LBB1587_406:
	s_and_b32 vcc_lo, exec_lo, s4
	s_wait_dscnt 0x0
	s_barrier_signal -1
	s_barrier_wait -1
	s_cbranch_vccz .LBB1587_411
; %bb.407:
	v_dual_mov_b32 v19, 0 :: v_dual_lshlrev_b32 v20, 4, v0
	v_mov_b32_e32 v21, v0
	v_cmp_gt_u32_e32 vcc_lo, 0x100, v0
	s_branch .LBB1587_409
.LBB1587_408:                           ;   in Loop: Header=BB1587_409 Depth=1
	s_wait_xcnt 0x0
	s_or_b32 exec_lo, exec_lo, s0
	v_add_nc_u32_e32 v21, 0x100, v21
	v_add_nc_u32_e32 v20, 0x1000, v20
	s_add_co_i32 s2, s2, 8
	s_delay_alu instid0(SALU_CYCLE_1)
	s_cmp_ge_u32 s2, s3
	s_cbranch_scc1 .LBB1587_411
.LBB1587_409:                           ; =>This Inner Loop Header: Depth=1
	s_and_saveexec_b32 s0, vcc_lo
	s_cbranch_execz .LBB1587_408
; %bb.410:                              ;   in Loop: Header=BB1587_409 Depth=1
	ds_load_2addr_b32 v[24:25], v20 offset1:1
	ds_load_2addr_b32 v[26:27], v20 offset0:2 offset1:3
	s_wait_dscnt 0x1
	v_add_nc_u32_e32 v18, v25, v24
	s_wait_dscnt 0x0
	s_delay_alu instid0(VALU_DEP_1)
	v_add3_u32 v18, v18, v26, v27
	global_atomic_add_u64 v21, v[18:19], s[6:7] scale_offset scope:SCOPE_DEV
	s_branch .LBB1587_408
.LBB1587_411:
	s_mov_b32 s1, 0
.LBB1587_412:
	s_delay_alu instid0(SALU_CYCLE_1)
	s_and_b32 vcc_lo, exec_lo, s1
	s_cbranch_vccz .LBB1587_417
; %bb.413:
	v_mov_b32_e32 v18, 0
	s_mov_b32 s0, 0
.LBB1587_414:                           ; =>This Inner Loop Header: Depth=1
	v_add_nc_u32_e32 v1, 0x200, v1
	ds_store_b32 v22, v18
	v_add_nc_u32_e32 v22, 0x800, v22
	v_cmp_lt_u32_e32 vcc_lo, 0x1dff, v1
	s_or_b32 s0, vcc_lo, s0
	s_delay_alu instid0(SALU_CYCLE_1)
	s_and_not1_b32 exec_lo, exec_lo, s0
	s_cbranch_execnz .LBB1587_414
; %bb.415:
	s_or_b32 exec_lo, exec_lo, s0
	s_wait_loadcnt 0x7
	v_cmp_lt_i64_e32 vcc_lo, -1, v[16:17]
	s_mov_b64 s[2:3], 0x7fffffffffffffff
	s_wait_loadcnt 0x1
	v_cmp_lt_i64_e64 s0, -1, v[4:5]
	s_wait_storecnt 0x0
	s_wait_loadcnt_dscnt 0x0
	s_barrier_signal -1
	s_barrier_wait -1
	v_cndmask_b32_e64 v1, -1, 0x80000000, vcc_lo
	v_cmp_lt_i64_e32 vcc_lo, -1, v[14:15]
	s_delay_alu instid0(VALU_DEP_2) | instskip(NEXT) | instid1(VALU_DEP_1)
	v_dual_ashrrev_i32 v18, 31, v17 :: v_dual_bitop2_b32 v17, v1, v17 bitop3:0x14
	v_dual_ashrrev_i32 v19, 31, v15 :: v_dual_bitop2_b32 v16, v18, v16 bitop3:0x14
	v_cndmask_b32_e64 v1, -1, 0x80000000, vcc_lo
	v_cmp_lt_i64_e32 vcc_lo, -1, v[12:13]
	s_delay_alu instid0(VALU_DEP_3) | instskip(NEXT) | instid1(VALU_DEP_3)
	v_dual_ashrrev_i32 v19, 31, v11 :: v_dual_bitop2_b32 v14, v19, v14 bitop3:0x14
	v_dual_ashrrev_i32 v1, 31, v13 :: v_dual_bitop2_b32 v15, v1, v15 bitop3:0x14
	v_cndmask_b32_e64 v20, -1, 0x80000000, vcc_lo
	v_cmp_lt_i64_e32 vcc_lo, -1, v[10:11]
	s_delay_alu instid0(VALU_DEP_3) | instskip(NEXT) | instid1(VALU_DEP_3)
	v_dual_ashrrev_i32 v1, 31, v9 :: v_dual_bitop2_b32 v12, v1, v12 bitop3:0x14
	v_xor_b32_e32 v13, v20, v13
	v_cndmask_b32_e64 v18, -1, 0x80000000, vcc_lo
	v_cmp_lt_i64_e32 vcc_lo, -1, v[8:9]
	s_delay_alu instid0(VALU_DEP_2)
	v_xor_b32_e32 v11, v18, v11
	v_cndmask_b32_e64 v20, -1, 0x80000000, vcc_lo
	v_cmp_lt_i64_e32 vcc_lo, -1, v[6:7]
	v_cndmask_b32_e64 v18, -1, 0x80000000, vcc_lo
	v_cmp_ne_u64_e32 vcc_lo, s[2:3], v[16:17]
	v_dual_ashrrev_i32 v19, 31, v7 :: v_dual_bitop2_b32 v10, v19, v10 bitop3:0x14
	v_cndmask_b32_e32 v17, 0x80000000, v17, vcc_lo
	v_cndmask_b32_e32 v16, 0, v16, vcc_lo
	v_cmp_lt_i64_e32 vcc_lo, -1, v[2:3]
	s_delay_alu instid0(VALU_DEP_4)
	v_xor_b32_e32 v6, v19, v6
	v_and_b32_e32 v19, 3, v0
	v_xor_b32_e32 v8, v1, v8
	v_cndmask_b32_e64 v1, -1, 0x80000000, s0
	v_dual_lshlrev_b32 v20, 4, v16 :: v_dual_bitop2_b32 v9, v20, v9 bitop3:0x14
	v_dual_lshrrev_b32 v21, 4, v16 :: v_dual_bitop2_b32 v7, v18, v7 bitop3:0x14
	s_delay_alu instid0(VALU_DEP_3) | instskip(SKIP_2) | instid1(VALU_DEP_3)
	v_dual_ashrrev_i32 v18, 31, v5 :: v_dual_bitop2_b32 v5, v1, v5 bitop3:0x14
	v_lshrrev_b32_e32 v22, 12, v16
	v_cndmask_b32_e64 v1, -1, 0x80000000, vcc_lo
	v_dual_lshlrev_b32 v19, 2, v19 :: v_dual_bitop2_b32 v4, v18, v4 bitop3:0x14
	v_dual_ashrrev_i32 v18, 31, v3 :: v_dual_lshrrev_b32 v23, 20, v16
	s_delay_alu instid0(VALU_DEP_3) | instskip(NEXT) | instid1(VALU_DEP_3)
	v_xor_b32_e32 v3, v1, v3
	v_and_or_b32 v1, 0xff0, v20, v19
	v_mov_b32_e32 v20, 1
	v_and_or_b32 v21, 0xff0, v21, v19
	v_xor_b32_e32 v2, v18, v2
	v_and_or_b32 v18, 0xff0, v23, v19
	v_alignbit_b32 v16, v17, v16, 30
	ds_add_u32 v1, v20
	v_and_or_b32 v1, 0xff0, v22, v19
	v_cmp_ne_u64_e32 vcc_lo, s[2:3], v[14:15]
	ds_add_u32 v21, v20 offset:4096
	v_lshrrev_b32_e32 v21, 6, v17
	s_mov_b32 s0, exec_lo
	ds_add_u32 v1, v20 offset:8192
	ds_add_u32 v18, v20 offset:12288
	v_and_b32_e32 v1, 0x3fc, v16
	v_lshrrev_b32_e32 v18, 14, v17
	v_and_b32_e32 v16, 0x3fc, v21
	v_dual_cndmask_b32 v14, 0, v14 :: v_dual_lshrrev_b32 v17, 22, v17
	s_delay_alu instid0(VALU_DEP_4) | instskip(NEXT) | instid1(VALU_DEP_4)
	v_lshl_or_b32 v1, v1, 2, v19
	v_and_b32_e32 v18, 0x3fc, v18
	s_delay_alu instid0(VALU_DEP_4) | instskip(NEXT) | instid1(VALU_DEP_4)
	v_lshl_or_b32 v16, v16, 2, v19
	v_and_b32_e32 v17, 0x3fc, v17
	v_lshlrev_b32_e32 v21, 4, v14
	v_cndmask_b32_e32 v15, 0x80000000, v15, vcc_lo
	ds_add_u32 v1, v20 offset:16384
	ds_add_u32 v16, v20 offset:20480
	v_lshl_or_b32 v1, v18, 2, v19
	v_lshrrev_b32_e32 v18, 4, v14
	v_lshl_or_b32 v16, v17, 2, v19
	v_and_or_b32 v17, 0xff0, v21, v19
	ds_add_u32 v1, v20 offset:24576
	ds_add_u32 v16, v20 offset:28672
	ds_add_u32 v17, v20
	v_and_or_b32 v1, 0xff0, v18, v19
	v_dual_lshrrev_b32 v18, 6, v15 :: v_dual_lshrrev_b32 v21, 12, v14
	v_lshrrev_b32_e32 v17, 20, v14
	v_alignbit_b32 v14, v15, v14, 30
	v_cmp_ne_u64_e32 vcc_lo, s[2:3], v[12:13]
	s_delay_alu instid0(VALU_DEP_4)
	v_and_or_b32 v16, 0xff0, v21, v19
	ds_add_u32 v1, v20 offset:4096
	ds_add_u32 v16, v20 offset:8192
	v_and_or_b32 v1, 0xff0, v17, v19
	v_and_b32_e32 v14, 0x3fc, v14
	v_and_b32_e32 v16, 0x3fc, v18
	v_dual_lshrrev_b32 v17, 14, v15 :: v_dual_lshrrev_b32 v15, 22, v15
	v_cndmask_b32_e32 v12, 0, v12, vcc_lo
	ds_add_u32 v1, v20 offset:12288
	v_lshl_or_b32 v1, v14, 2, v19
	v_lshl_or_b32 v14, v16, 2, v19
	v_and_b32_e32 v16, 0x3fc, v17
	v_and_b32_e32 v15, 0x3fc, v15
	v_cndmask_b32_e32 v13, 0x80000000, v13, vcc_lo
	ds_add_u32 v1, v20 offset:16384
	ds_add_u32 v14, v20 offset:20480
	v_lshrrev_b32_e32 v17, 12, v12
	v_lshl_or_b32 v1, v16, 2, v19
	v_lshl_or_b32 v14, v15, 2, v19
	v_dual_lshlrev_b32 v15, 4, v12 :: v_dual_lshrrev_b32 v16, 4, v12
	ds_add_u32 v1, v20 offset:24576
	ds_add_u32 v14, v20 offset:28672
	v_cmp_ne_u64_e32 vcc_lo, s[2:3], v[10:11]
	v_and_or_b32 v1, 0xff0, v15, v19
	v_and_or_b32 v14, 0xff0, v16, v19
	v_lshrrev_b32_e32 v16, 20, v12
	v_alignbit_b32 v12, v13, v12, 30
	v_and_or_b32 v15, 0xff0, v17, v19
	ds_add_u32 v1, v20
	ds_add_u32 v14, v20 offset:4096
	ds_add_u32 v15, v20 offset:8192
	v_and_b32_e32 v12, 0x3fc, v12
	v_lshrrev_b32_e32 v14, 6, v13
	v_and_or_b32 v1, 0xff0, v16, v19
	v_dual_lshrrev_b32 v15, 14, v13 :: v_dual_lshrrev_b32 v13, 22, v13
	v_cndmask_b32_e32 v10, 0, v10, vcc_lo
	v_cndmask_b32_e32 v11, 0x80000000, v11, vcc_lo
	ds_add_u32 v1, v20 offset:12288
	v_lshl_or_b32 v1, v12, 2, v19
	v_and_b32_e32 v12, 0x3fc, v14
	v_and_b32_e32 v14, 0x3fc, v15
	;; [unrolled: 1-line block ×3, first 2 shown]
	v_cmp_ne_u64_e32 vcc_lo, s[2:3], v[8:9]
	ds_add_u32 v1, v20 offset:16384
	v_lshl_or_b32 v12, v12, 2, v19
	v_lshl_or_b32 v1, v14, 2, v19
	v_lshlrev_b32_e32 v14, 4, v10
	v_lshl_or_b32 v13, v13, 2, v19
	ds_add_u32 v12, v20 offset:20480
	ds_add_u32 v1, v20 offset:24576
	;; [unrolled: 1-line block ×3, first 2 shown]
	v_and_or_b32 v1, 0xff0, v14, v19
	v_dual_cndmask_b32 v8, 0, v8 :: v_dual_lshrrev_b32 v13, 12, v10
	v_cndmask_b32_e32 v9, 0x80000000, v9, vcc_lo
	v_cmp_ne_u64_e32 vcc_lo, s[2:3], v[6:7]
	ds_add_u32 v1, v20
	v_and_or_b32 v1, 0xff0, v13, v19
	v_dual_lshrrev_b32 v13, 6, v11 :: v_dual_lshrrev_b32 v12, 4, v10
	v_lshrrev_b32_e32 v14, 20, v10
	v_alignbit_b32 v10, v11, v10, 30
	v_cndmask_b32_e32 v6, 0, v6, vcc_lo
	v_cndmask_b32_e32 v7, 0x80000000, v7, vcc_lo
	v_and_or_b32 v12, 0xff0, v12, v19
	v_cmp_ne_u64_e32 vcc_lo, s[2:3], v[4:5]
	v_and_b32_e32 v10, 0x3fc, v10
	ds_add_u32 v12, v20 offset:4096
	v_and_or_b32 v12, 0xff0, v14, v19
	ds_add_u32 v1, v20 offset:8192
	v_lshl_or_b32 v1, v10, 2, v19
	v_and_b32_e32 v10, 0x3fc, v13
	v_lshrrev_b32_e32 v13, 12, v8
	ds_add_u32 v12, v20 offset:12288
	v_dual_lshrrev_b32 v12, 14, v11 :: v_dual_lshrrev_b32 v11, 22, v11
	v_lshl_or_b32 v10, v10, 2, v19
	ds_add_u32 v1, v20 offset:16384
	v_lshlrev_b32_e32 v1, 4, v8
	v_and_b32_e32 v12, 0x3fc, v12
	v_and_b32_e32 v11, 0x3fc, v11
	ds_add_u32 v10, v20 offset:20480
	v_cndmask_b32_e32 v4, 0, v4, vcc_lo
	v_and_or_b32 v1, 0xff0, v1, v19
	v_lshl_or_b32 v10, v12, 2, v19
	v_lshrrev_b32_e32 v12, 4, v8
	v_lshl_or_b32 v11, v11, 2, v19
	ds_add_u32 v10, v20 offset:24576
	ds_add_u32 v11, v20 offset:28672
	v_and_or_b32 v10, 0xff0, v12, v19
	ds_add_u32 v1, v20
	v_and_or_b32 v1, 0xff0, v13, v19
	v_lshrrev_b32_e32 v11, 20, v8
	v_alignbit_b32 v8, v9, v8, 30
	ds_add_u32 v10, v20 offset:4096
	v_lshrrev_b32_e32 v10, 6, v9
	ds_add_u32 v1, v20 offset:8192
	v_and_or_b32 v1, 0xff0, v11, v19
	v_and_b32_e32 v8, 0x3fc, v8
	v_dual_lshrrev_b32 v11, 14, v9 :: v_dual_lshrrev_b32 v9, 22, v9
	v_and_b32_e32 v10, 0x3fc, v10
	ds_add_u32 v1, v20 offset:12288
	v_lshl_or_b32 v1, v8, 2, v19
	v_and_b32_e32 v8, 0x3fc, v11
	v_and_b32_e32 v9, 0x3fc, v9
	v_lshl_or_b32 v10, v10, 2, v19
	ds_add_u32 v1, v20 offset:16384
	ds_add_u32 v10, v20 offset:20480
	v_lshl_or_b32 v8, v8, 2, v19
	v_dual_lshlrev_b32 v1, 4, v6 :: v_dual_lshrrev_b32 v10, 12, v6
	v_cndmask_b32_e32 v5, 0x80000000, v5, vcc_lo
	v_cmp_ne_u64_e32 vcc_lo, s[2:3], v[2:3]
	ds_add_u32 v8, v20 offset:24576
	v_lshl_or_b32 v8, v9, 2, v19
	v_lshrrev_b32_e32 v9, 4, v6
	v_and_or_b32 v1, 0xff0, v1, v19
	ds_add_u32 v8, v20 offset:28672
	v_and_or_b32 v8, 0xff0, v9, v19
	v_and_or_b32 v9, 0xff0, v10, v19
	ds_add_u32 v1, v20
	ds_add_u32 v8, v20 offset:4096
	ds_add_u32 v9, v20 offset:8192
	v_dual_lshrrev_b32 v8, 14, v7 :: v_dual_lshrrev_b32 v11, 20, v6
	v_alignbit_b32 v6, v7, v6, 30
	v_dual_cndmask_b32 v2, 0, v2 :: v_dual_lshlrev_b32 v9, 4, v4
	s_delay_alu instid0(VALU_DEP_3) | instskip(NEXT) | instid1(VALU_DEP_4)
	v_and_b32_e32 v8, 0x3fc, v8
	v_and_or_b32 v1, 0xff0, v11, v19
	v_cndmask_b32_e32 v3, 0x80000000, v3, vcc_lo
	ds_add_u32 v1, v20 offset:12288
	v_and_b32_e32 v1, 0x3fc, v6
	v_dual_lshrrev_b32 v6, 6, v7 :: v_dual_lshrrev_b32 v7, 22, v7
	s_delay_alu instid0(VALU_DEP_2) | instskip(NEXT) | instid1(VALU_DEP_2)
	v_lshl_or_b32 v1, v1, 2, v19
	v_and_b32_e32 v6, 0x3fc, v6
	s_delay_alu instid0(VALU_DEP_3)
	v_and_b32_e32 v7, 0x3fc, v7
	ds_add_u32 v1, v20 offset:16384
	v_lshl_or_b32 v6, v6, 2, v19
	v_lshl_or_b32 v1, v8, 2, v19
	;; [unrolled: 1-line block ×3, first 2 shown]
	v_and_or_b32 v8, 0xff0, v9, v19
	ds_add_u32 v6, v20 offset:20480
	v_lshrrev_b32_e32 v6, 4, v4
	ds_add_u32 v1, v20 offset:24576
	ds_add_u32 v7, v20 offset:28672
	ds_add_u32 v8, v20
	v_dual_lshrrev_b32 v1, 12, v4 :: v_dual_lshrrev_b32 v7, 20, v4
	v_lshrrev_b32_e32 v8, 6, v5
	v_and_or_b32 v6, 0xff0, v6, v19
	v_alignbit_b32 v4, v5, v4, 30
	s_delay_alu instid0(VALU_DEP_4)
	v_and_or_b32 v1, 0xff0, v1, v19
	ds_add_u32 v6, v20 offset:4096
	v_and_or_b32 v6, 0xff0, v7, v19
	v_and_b32_e32 v4, 0x3fc, v4
	v_and_b32_e32 v7, 0x3fc, v8
	ds_add_u32 v1, v20 offset:8192
	ds_add_u32 v6, v20 offset:12288
	v_lshl_or_b32 v1, v4, 2, v19
	v_dual_lshrrev_b32 v6, 14, v5 :: v_dual_lshrrev_b32 v5, 22, v5
	v_lshl_or_b32 v4, v7, 2, v19
	ds_add_u32 v1, v20 offset:16384
	ds_add_u32 v4, v20 offset:20480
	v_and_b32_e32 v1, 0x3fc, v6
	v_and_b32_e32 v4, 0x3fc, v5
	v_dual_lshlrev_b32 v5, 4, v2 :: v_dual_lshrrev_b32 v7, 12, v2
	v_lshrrev_b32_e32 v6, 4, v2
	s_delay_alu instid0(VALU_DEP_4) | instskip(NEXT) | instid1(VALU_DEP_4)
	v_lshl_or_b32 v1, v1, 2, v19
	v_lshl_or_b32 v4, v4, 2, v19
	s_delay_alu instid0(VALU_DEP_4)
	v_and_or_b32 v5, 0xff0, v5, v19
	v_and_or_b32 v7, 0xff0, v7, v19
	;; [unrolled: 1-line block ×3, first 2 shown]
	ds_add_u32 v1, v20 offset:24576
	ds_add_u32 v4, v20 offset:28672
	ds_add_u32 v5, v20
	ds_add_u32 v6, v20 offset:4096
	ds_add_u32 v7, v20 offset:8192
	v_lshrrev_b32_e32 v4, 6, v3
	v_alignbit_b32 v1, v3, v2, 30
	v_dual_lshrrev_b32 v5, 14, v3 :: v_dual_lshrrev_b32 v3, 22, v3
	v_lshrrev_b32_e32 v2, 20, v2
	s_delay_alu instid0(VALU_DEP_4) | instskip(NEXT) | instid1(VALU_DEP_4)
	v_and_b32_e32 v4, 0x3fc, v4
	v_and_b32_e32 v1, 0x3fc, v1
	s_delay_alu instid0(VALU_DEP_4)
	v_and_b32_e32 v5, 0x3fc, v5
	v_and_b32_e32 v3, 0x3fc, v3
	v_and_or_b32 v2, 0xff0, v2, v19
	v_lshl_or_b32 v4, v4, 2, v19
	v_lshl_or_b32 v1, v1, 2, v19
	;; [unrolled: 1-line block ×4, first 2 shown]
	ds_add_u32 v2, v20 offset:12288
	ds_add_u32 v1, v20 offset:16384
	;; [unrolled: 1-line block ×5, first 2 shown]
	s_wait_dscnt 0x0
	s_barrier_signal -1
	s_barrier_wait -1
	v_cmpx_gt_u32_e32 0x100, v0
	s_cbranch_execz .LBB1587_417
; %bb.416:
	v_lshlrev_b32_e32 v1, 4, v0
	ds_load_2addr_b32 v[2:3], v1 offset1:1
	ds_load_2addr_b32 v[4:5], v1 offset0:2 offset1:3
	s_wait_dscnt 0x1
	v_dual_mov_b32 v3, 0 :: v_dual_add_nc_u32 v2, v3, v2
	v_add_nc_u32_e32 v6, 0x1008, v1
	s_wait_dscnt 0x0
	s_delay_alu instid0(VALU_DEP_2)
	v_add3_u32 v2, v2, v4, v5
	v_add_nc_u32_e32 v4, 0x1000, v1
	global_atomic_add_u64 v0, v[2:3], s[6:7] scale_offset scope:SCOPE_DEV
	ds_load_2addr_b32 v[4:5], v4 offset1:1
	ds_load_2addr_b32 v[6:7], v6 offset1:1
	s_wait_dscnt 0x1
	s_wait_xcnt 0x0
	v_add_nc_u32_e32 v2, v5, v4
	v_or_b32_e32 v4, 0x2000, v1
	s_wait_dscnt 0x0
	s_delay_alu instid0(VALU_DEP_2)
	v_add3_u32 v2, v2, v6, v7
	v_or_b32_e32 v6, 0x2008, v1
	global_atomic_add_u64 v0, v[2:3], s[6:7] offset:2048 scale_offset scope:SCOPE_DEV
	ds_load_2addr_b32 v[4:5], v4 offset1:1
	ds_load_2addr_b32 v[6:7], v6 offset1:1
	s_wait_dscnt 0x1
	s_wait_xcnt 0x0
	v_add_nc_u32_e32 v2, v5, v4
	v_add_nc_u32_e32 v4, 0x3000, v1
	s_wait_dscnt 0x0
	s_delay_alu instid0(VALU_DEP_2)
	v_add3_u32 v2, v2, v6, v7
	v_add_nc_u32_e32 v6, 0x3008, v1
	global_atomic_add_u64 v0, v[2:3], s[6:7] offset:4096 scale_offset scope:SCOPE_DEV
	ds_load_2addr_b32 v[4:5], v4 offset1:1
	ds_load_2addr_b32 v[6:7], v6 offset1:1
	s_wait_dscnt 0x1
	s_wait_xcnt 0x0
	v_add_nc_u32_e32 v2, v5, v4
	v_or_b32_e32 v4, 0x4000, v1
	s_wait_dscnt 0x0
	s_delay_alu instid0(VALU_DEP_2)
	v_add3_u32 v2, v2, v6, v7
	v_or_b32_e32 v6, 0x4008, v1
	global_atomic_add_u64 v0, v[2:3], s[6:7] offset:6144 scale_offset scope:SCOPE_DEV
	ds_load_2addr_b32 v[4:5], v4 offset1:1
	ds_load_2addr_b32 v[6:7], v6 offset1:1
	s_wait_dscnt 0x1
	s_wait_xcnt 0x0
	v_add_nc_u32_e32 v2, v5, v4
	v_add_nc_u32_e32 v4, 0x5000, v1
	s_wait_dscnt 0x0
	s_delay_alu instid0(VALU_DEP_2)
	v_add3_u32 v2, v2, v6, v7
	v_add_nc_u32_e32 v6, 0x5008, v1
	global_atomic_add_u64 v0, v[2:3], s[6:7] offset:8192 scale_offset scope:SCOPE_DEV
	ds_load_2addr_b32 v[4:5], v4 offset1:1
	ds_load_2addr_b32 v[6:7], v6 offset1:1
	s_wait_dscnt 0x1
	s_wait_xcnt 0x0
	v_add_nc_u32_e32 v2, v5, v4
	v_or_b32_e32 v4, 0x6000, v1
	s_wait_dscnt 0x0
	s_delay_alu instid0(VALU_DEP_2)
	v_add3_u32 v2, v2, v6, v7
	v_or_b32_e32 v6, 0x6008, v1
	global_atomic_add_u64 v0, v[2:3], s[6:7] offset:10240 scale_offset scope:SCOPE_DEV
	ds_load_2addr_b32 v[4:5], v4 offset1:1
	ds_load_2addr_b32 v[6:7], v6 offset1:1
	s_wait_dscnt 0x1
	s_wait_xcnt 0x0
	v_add_nc_u32_e32 v2, v5, v4
	v_add_nc_u32_e32 v4, 0x7000, v1
	;; [unrolled: 1-line block ×3, first 2 shown]
	s_wait_dscnt 0x0
	s_delay_alu instid0(VALU_DEP_3)
	v_add3_u32 v2, v2, v6, v7
	global_atomic_add_u64 v0, v[2:3], s[6:7] offset:12288 scale_offset scope:SCOPE_DEV
	ds_load_2addr_b32 v[4:5], v4 offset1:1
	ds_load_2addr_b32 v[6:7], v1 offset1:1
	s_wait_dscnt 0x1
	v_add_nc_u32_e32 v1, v5, v4
	s_wait_dscnt 0x0
	s_wait_xcnt 0x0
	s_delay_alu instid0(VALU_DEP_1)
	v_add3_u32 v2, v1, v6, v7
	global_atomic_add_u64 v0, v[2:3], s[6:7] offset:14336 scale_offset scope:SCOPE_DEV
.LBB1587_417:
	s_endpgm
	.section	.rodata,"a",@progbits
	.p2align	6, 0x0
	.amdhsa_kernel _ZN7rocprim17ROCPRIM_400000_NS6detail17trampoline_kernelINS0_14default_configENS1_35radix_sort_onesweep_config_selectorIdNS0_10empty_typeEEEZNS1_34radix_sort_onesweep_global_offsetsIS3_Lb0EPKdPS5_mNS0_19identity_decomposerEEE10hipError_tT1_T2_PT3_SF_jT4_jjP12ihipStream_tbEUlT_E_NS1_11comp_targetILNS1_3genE0ELNS1_11target_archE4294967295ELNS1_3gpuE0ELNS1_3repE0EEENS1_52radix_sort_onesweep_histogram_config_static_selectorELNS0_4arch9wavefront6targetE0EEEvSD_
		.amdhsa_group_segment_fixed_size 32768
		.amdhsa_private_segment_fixed_size 0
		.amdhsa_kernarg_size 48
		.amdhsa_user_sgpr_count 2
		.amdhsa_user_sgpr_dispatch_ptr 0
		.amdhsa_user_sgpr_queue_ptr 0
		.amdhsa_user_sgpr_kernarg_segment_ptr 1
		.amdhsa_user_sgpr_dispatch_id 0
		.amdhsa_user_sgpr_kernarg_preload_length 0
		.amdhsa_user_sgpr_kernarg_preload_offset 0
		.amdhsa_user_sgpr_private_segment_size 0
		.amdhsa_wavefront_size32 1
		.amdhsa_uses_dynamic_stack 0
		.amdhsa_enable_private_segment 0
		.amdhsa_system_sgpr_workgroup_id_x 1
		.amdhsa_system_sgpr_workgroup_id_y 0
		.amdhsa_system_sgpr_workgroup_id_z 0
		.amdhsa_system_sgpr_workgroup_info 0
		.amdhsa_system_vgpr_workitem_id 0
		.amdhsa_next_free_vgpr 30
		.amdhsa_next_free_sgpr 16
		.amdhsa_named_barrier_count 0
		.amdhsa_reserve_vcc 1
		.amdhsa_float_round_mode_32 0
		.amdhsa_float_round_mode_16_64 0
		.amdhsa_float_denorm_mode_32 3
		.amdhsa_float_denorm_mode_16_64 3
		.amdhsa_fp16_overflow 0
		.amdhsa_memory_ordered 1
		.amdhsa_forward_progress 1
		.amdhsa_inst_pref_size 163
		.amdhsa_round_robin_scheduling 0
		.amdhsa_exception_fp_ieee_invalid_op 0
		.amdhsa_exception_fp_denorm_src 0
		.amdhsa_exception_fp_ieee_div_zero 0
		.amdhsa_exception_fp_ieee_overflow 0
		.amdhsa_exception_fp_ieee_underflow 0
		.amdhsa_exception_fp_ieee_inexact 0
		.amdhsa_exception_int_div_zero 0
	.end_amdhsa_kernel
	.section	.text._ZN7rocprim17ROCPRIM_400000_NS6detail17trampoline_kernelINS0_14default_configENS1_35radix_sort_onesweep_config_selectorIdNS0_10empty_typeEEEZNS1_34radix_sort_onesweep_global_offsetsIS3_Lb0EPKdPS5_mNS0_19identity_decomposerEEE10hipError_tT1_T2_PT3_SF_jT4_jjP12ihipStream_tbEUlT_E_NS1_11comp_targetILNS1_3genE0ELNS1_11target_archE4294967295ELNS1_3gpuE0ELNS1_3repE0EEENS1_52radix_sort_onesweep_histogram_config_static_selectorELNS0_4arch9wavefront6targetE0EEEvSD_,"axG",@progbits,_ZN7rocprim17ROCPRIM_400000_NS6detail17trampoline_kernelINS0_14default_configENS1_35radix_sort_onesweep_config_selectorIdNS0_10empty_typeEEEZNS1_34radix_sort_onesweep_global_offsetsIS3_Lb0EPKdPS5_mNS0_19identity_decomposerEEE10hipError_tT1_T2_PT3_SF_jT4_jjP12ihipStream_tbEUlT_E_NS1_11comp_targetILNS1_3genE0ELNS1_11target_archE4294967295ELNS1_3gpuE0ELNS1_3repE0EEENS1_52radix_sort_onesweep_histogram_config_static_selectorELNS0_4arch9wavefront6targetE0EEEvSD_,comdat
.Lfunc_end1587:
	.size	_ZN7rocprim17ROCPRIM_400000_NS6detail17trampoline_kernelINS0_14default_configENS1_35radix_sort_onesweep_config_selectorIdNS0_10empty_typeEEEZNS1_34radix_sort_onesweep_global_offsetsIS3_Lb0EPKdPS5_mNS0_19identity_decomposerEEE10hipError_tT1_T2_PT3_SF_jT4_jjP12ihipStream_tbEUlT_E_NS1_11comp_targetILNS1_3genE0ELNS1_11target_archE4294967295ELNS1_3gpuE0ELNS1_3repE0EEENS1_52radix_sort_onesweep_histogram_config_static_selectorELNS0_4arch9wavefront6targetE0EEEvSD_, .Lfunc_end1587-_ZN7rocprim17ROCPRIM_400000_NS6detail17trampoline_kernelINS0_14default_configENS1_35radix_sort_onesweep_config_selectorIdNS0_10empty_typeEEEZNS1_34radix_sort_onesweep_global_offsetsIS3_Lb0EPKdPS5_mNS0_19identity_decomposerEEE10hipError_tT1_T2_PT3_SF_jT4_jjP12ihipStream_tbEUlT_E_NS1_11comp_targetILNS1_3genE0ELNS1_11target_archE4294967295ELNS1_3gpuE0ELNS1_3repE0EEENS1_52radix_sort_onesweep_histogram_config_static_selectorELNS0_4arch9wavefront6targetE0EEEvSD_
                                        ; -- End function
	.set _ZN7rocprim17ROCPRIM_400000_NS6detail17trampoline_kernelINS0_14default_configENS1_35radix_sort_onesweep_config_selectorIdNS0_10empty_typeEEEZNS1_34radix_sort_onesweep_global_offsetsIS3_Lb0EPKdPS5_mNS0_19identity_decomposerEEE10hipError_tT1_T2_PT3_SF_jT4_jjP12ihipStream_tbEUlT_E_NS1_11comp_targetILNS1_3genE0ELNS1_11target_archE4294967295ELNS1_3gpuE0ELNS1_3repE0EEENS1_52radix_sort_onesweep_histogram_config_static_selectorELNS0_4arch9wavefront6targetE0EEEvSD_.num_vgpr, 30
	.set _ZN7rocprim17ROCPRIM_400000_NS6detail17trampoline_kernelINS0_14default_configENS1_35radix_sort_onesweep_config_selectorIdNS0_10empty_typeEEEZNS1_34radix_sort_onesweep_global_offsetsIS3_Lb0EPKdPS5_mNS0_19identity_decomposerEEE10hipError_tT1_T2_PT3_SF_jT4_jjP12ihipStream_tbEUlT_E_NS1_11comp_targetILNS1_3genE0ELNS1_11target_archE4294967295ELNS1_3gpuE0ELNS1_3repE0EEENS1_52radix_sort_onesweep_histogram_config_static_selectorELNS0_4arch9wavefront6targetE0EEEvSD_.num_agpr, 0
	.set _ZN7rocprim17ROCPRIM_400000_NS6detail17trampoline_kernelINS0_14default_configENS1_35radix_sort_onesweep_config_selectorIdNS0_10empty_typeEEEZNS1_34radix_sort_onesweep_global_offsetsIS3_Lb0EPKdPS5_mNS0_19identity_decomposerEEE10hipError_tT1_T2_PT3_SF_jT4_jjP12ihipStream_tbEUlT_E_NS1_11comp_targetILNS1_3genE0ELNS1_11target_archE4294967295ELNS1_3gpuE0ELNS1_3repE0EEENS1_52radix_sort_onesweep_histogram_config_static_selectorELNS0_4arch9wavefront6targetE0EEEvSD_.numbered_sgpr, 16
	.set _ZN7rocprim17ROCPRIM_400000_NS6detail17trampoline_kernelINS0_14default_configENS1_35radix_sort_onesweep_config_selectorIdNS0_10empty_typeEEEZNS1_34radix_sort_onesweep_global_offsetsIS3_Lb0EPKdPS5_mNS0_19identity_decomposerEEE10hipError_tT1_T2_PT3_SF_jT4_jjP12ihipStream_tbEUlT_E_NS1_11comp_targetILNS1_3genE0ELNS1_11target_archE4294967295ELNS1_3gpuE0ELNS1_3repE0EEENS1_52radix_sort_onesweep_histogram_config_static_selectorELNS0_4arch9wavefront6targetE0EEEvSD_.num_named_barrier, 0
	.set _ZN7rocprim17ROCPRIM_400000_NS6detail17trampoline_kernelINS0_14default_configENS1_35radix_sort_onesweep_config_selectorIdNS0_10empty_typeEEEZNS1_34radix_sort_onesweep_global_offsetsIS3_Lb0EPKdPS5_mNS0_19identity_decomposerEEE10hipError_tT1_T2_PT3_SF_jT4_jjP12ihipStream_tbEUlT_E_NS1_11comp_targetILNS1_3genE0ELNS1_11target_archE4294967295ELNS1_3gpuE0ELNS1_3repE0EEENS1_52radix_sort_onesweep_histogram_config_static_selectorELNS0_4arch9wavefront6targetE0EEEvSD_.private_seg_size, 0
	.set _ZN7rocprim17ROCPRIM_400000_NS6detail17trampoline_kernelINS0_14default_configENS1_35radix_sort_onesweep_config_selectorIdNS0_10empty_typeEEEZNS1_34radix_sort_onesweep_global_offsetsIS3_Lb0EPKdPS5_mNS0_19identity_decomposerEEE10hipError_tT1_T2_PT3_SF_jT4_jjP12ihipStream_tbEUlT_E_NS1_11comp_targetILNS1_3genE0ELNS1_11target_archE4294967295ELNS1_3gpuE0ELNS1_3repE0EEENS1_52radix_sort_onesweep_histogram_config_static_selectorELNS0_4arch9wavefront6targetE0EEEvSD_.uses_vcc, 1
	.set _ZN7rocprim17ROCPRIM_400000_NS6detail17trampoline_kernelINS0_14default_configENS1_35radix_sort_onesweep_config_selectorIdNS0_10empty_typeEEEZNS1_34radix_sort_onesweep_global_offsetsIS3_Lb0EPKdPS5_mNS0_19identity_decomposerEEE10hipError_tT1_T2_PT3_SF_jT4_jjP12ihipStream_tbEUlT_E_NS1_11comp_targetILNS1_3genE0ELNS1_11target_archE4294967295ELNS1_3gpuE0ELNS1_3repE0EEENS1_52radix_sort_onesweep_histogram_config_static_selectorELNS0_4arch9wavefront6targetE0EEEvSD_.uses_flat_scratch, 0
	.set _ZN7rocprim17ROCPRIM_400000_NS6detail17trampoline_kernelINS0_14default_configENS1_35radix_sort_onesweep_config_selectorIdNS0_10empty_typeEEEZNS1_34radix_sort_onesweep_global_offsetsIS3_Lb0EPKdPS5_mNS0_19identity_decomposerEEE10hipError_tT1_T2_PT3_SF_jT4_jjP12ihipStream_tbEUlT_E_NS1_11comp_targetILNS1_3genE0ELNS1_11target_archE4294967295ELNS1_3gpuE0ELNS1_3repE0EEENS1_52radix_sort_onesweep_histogram_config_static_selectorELNS0_4arch9wavefront6targetE0EEEvSD_.has_dyn_sized_stack, 0
	.set _ZN7rocprim17ROCPRIM_400000_NS6detail17trampoline_kernelINS0_14default_configENS1_35radix_sort_onesweep_config_selectorIdNS0_10empty_typeEEEZNS1_34radix_sort_onesweep_global_offsetsIS3_Lb0EPKdPS5_mNS0_19identity_decomposerEEE10hipError_tT1_T2_PT3_SF_jT4_jjP12ihipStream_tbEUlT_E_NS1_11comp_targetILNS1_3genE0ELNS1_11target_archE4294967295ELNS1_3gpuE0ELNS1_3repE0EEENS1_52radix_sort_onesweep_histogram_config_static_selectorELNS0_4arch9wavefront6targetE0EEEvSD_.has_recursion, 0
	.set _ZN7rocprim17ROCPRIM_400000_NS6detail17trampoline_kernelINS0_14default_configENS1_35radix_sort_onesweep_config_selectorIdNS0_10empty_typeEEEZNS1_34radix_sort_onesweep_global_offsetsIS3_Lb0EPKdPS5_mNS0_19identity_decomposerEEE10hipError_tT1_T2_PT3_SF_jT4_jjP12ihipStream_tbEUlT_E_NS1_11comp_targetILNS1_3genE0ELNS1_11target_archE4294967295ELNS1_3gpuE0ELNS1_3repE0EEENS1_52radix_sort_onesweep_histogram_config_static_selectorELNS0_4arch9wavefront6targetE0EEEvSD_.has_indirect_call, 0
	.section	.AMDGPU.csdata,"",@progbits
; Kernel info:
; codeLenInByte = 20820
; TotalNumSgprs: 18
; NumVgprs: 30
; ScratchSize: 0
; MemoryBound: 0
; FloatMode: 240
; IeeeMode: 1
; LDSByteSize: 32768 bytes/workgroup (compile time only)
; SGPRBlocks: 0
; VGPRBlocks: 1
; NumSGPRsForWavesPerEU: 18
; NumVGPRsForWavesPerEU: 30
; NamedBarCnt: 0
; Occupancy: 16
; WaveLimiterHint : 1
; COMPUTE_PGM_RSRC2:SCRATCH_EN: 0
; COMPUTE_PGM_RSRC2:USER_SGPR: 2
; COMPUTE_PGM_RSRC2:TRAP_HANDLER: 0
; COMPUTE_PGM_RSRC2:TGID_X_EN: 1
; COMPUTE_PGM_RSRC2:TGID_Y_EN: 0
; COMPUTE_PGM_RSRC2:TGID_Z_EN: 0
; COMPUTE_PGM_RSRC2:TIDIG_COMP_CNT: 0
	.section	.text._ZN7rocprim17ROCPRIM_400000_NS6detail17trampoline_kernelINS0_14default_configENS1_35radix_sort_onesweep_config_selectorIdNS0_10empty_typeEEEZNS1_34radix_sort_onesweep_global_offsetsIS3_Lb0EPKdPS5_mNS0_19identity_decomposerEEE10hipError_tT1_T2_PT3_SF_jT4_jjP12ihipStream_tbEUlT_E_NS1_11comp_targetILNS1_3genE6ELNS1_11target_archE950ELNS1_3gpuE13ELNS1_3repE0EEENS1_52radix_sort_onesweep_histogram_config_static_selectorELNS0_4arch9wavefront6targetE0EEEvSD_,"axG",@progbits,_ZN7rocprim17ROCPRIM_400000_NS6detail17trampoline_kernelINS0_14default_configENS1_35radix_sort_onesweep_config_selectorIdNS0_10empty_typeEEEZNS1_34radix_sort_onesweep_global_offsetsIS3_Lb0EPKdPS5_mNS0_19identity_decomposerEEE10hipError_tT1_T2_PT3_SF_jT4_jjP12ihipStream_tbEUlT_E_NS1_11comp_targetILNS1_3genE6ELNS1_11target_archE950ELNS1_3gpuE13ELNS1_3repE0EEENS1_52radix_sort_onesweep_histogram_config_static_selectorELNS0_4arch9wavefront6targetE0EEEvSD_,comdat
	.protected	_ZN7rocprim17ROCPRIM_400000_NS6detail17trampoline_kernelINS0_14default_configENS1_35radix_sort_onesweep_config_selectorIdNS0_10empty_typeEEEZNS1_34radix_sort_onesweep_global_offsetsIS3_Lb0EPKdPS5_mNS0_19identity_decomposerEEE10hipError_tT1_T2_PT3_SF_jT4_jjP12ihipStream_tbEUlT_E_NS1_11comp_targetILNS1_3genE6ELNS1_11target_archE950ELNS1_3gpuE13ELNS1_3repE0EEENS1_52radix_sort_onesweep_histogram_config_static_selectorELNS0_4arch9wavefront6targetE0EEEvSD_ ; -- Begin function _ZN7rocprim17ROCPRIM_400000_NS6detail17trampoline_kernelINS0_14default_configENS1_35radix_sort_onesweep_config_selectorIdNS0_10empty_typeEEEZNS1_34radix_sort_onesweep_global_offsetsIS3_Lb0EPKdPS5_mNS0_19identity_decomposerEEE10hipError_tT1_T2_PT3_SF_jT4_jjP12ihipStream_tbEUlT_E_NS1_11comp_targetILNS1_3genE6ELNS1_11target_archE950ELNS1_3gpuE13ELNS1_3repE0EEENS1_52radix_sort_onesweep_histogram_config_static_selectorELNS0_4arch9wavefront6targetE0EEEvSD_
	.globl	_ZN7rocprim17ROCPRIM_400000_NS6detail17trampoline_kernelINS0_14default_configENS1_35radix_sort_onesweep_config_selectorIdNS0_10empty_typeEEEZNS1_34radix_sort_onesweep_global_offsetsIS3_Lb0EPKdPS5_mNS0_19identity_decomposerEEE10hipError_tT1_T2_PT3_SF_jT4_jjP12ihipStream_tbEUlT_E_NS1_11comp_targetILNS1_3genE6ELNS1_11target_archE950ELNS1_3gpuE13ELNS1_3repE0EEENS1_52radix_sort_onesweep_histogram_config_static_selectorELNS0_4arch9wavefront6targetE0EEEvSD_
	.p2align	8
	.type	_ZN7rocprim17ROCPRIM_400000_NS6detail17trampoline_kernelINS0_14default_configENS1_35radix_sort_onesweep_config_selectorIdNS0_10empty_typeEEEZNS1_34radix_sort_onesweep_global_offsetsIS3_Lb0EPKdPS5_mNS0_19identity_decomposerEEE10hipError_tT1_T2_PT3_SF_jT4_jjP12ihipStream_tbEUlT_E_NS1_11comp_targetILNS1_3genE6ELNS1_11target_archE950ELNS1_3gpuE13ELNS1_3repE0EEENS1_52radix_sort_onesweep_histogram_config_static_selectorELNS0_4arch9wavefront6targetE0EEEvSD_,@function
_ZN7rocprim17ROCPRIM_400000_NS6detail17trampoline_kernelINS0_14default_configENS1_35radix_sort_onesweep_config_selectorIdNS0_10empty_typeEEEZNS1_34radix_sort_onesweep_global_offsetsIS3_Lb0EPKdPS5_mNS0_19identity_decomposerEEE10hipError_tT1_T2_PT3_SF_jT4_jjP12ihipStream_tbEUlT_E_NS1_11comp_targetILNS1_3genE6ELNS1_11target_archE950ELNS1_3gpuE13ELNS1_3repE0EEENS1_52radix_sort_onesweep_histogram_config_static_selectorELNS0_4arch9wavefront6targetE0EEEvSD_: ; @_ZN7rocprim17ROCPRIM_400000_NS6detail17trampoline_kernelINS0_14default_configENS1_35radix_sort_onesweep_config_selectorIdNS0_10empty_typeEEEZNS1_34radix_sort_onesweep_global_offsetsIS3_Lb0EPKdPS5_mNS0_19identity_decomposerEEE10hipError_tT1_T2_PT3_SF_jT4_jjP12ihipStream_tbEUlT_E_NS1_11comp_targetILNS1_3genE6ELNS1_11target_archE950ELNS1_3gpuE13ELNS1_3repE0EEENS1_52radix_sort_onesweep_histogram_config_static_selectorELNS0_4arch9wavefront6targetE0EEEvSD_
; %bb.0:
	.section	.rodata,"a",@progbits
	.p2align	6, 0x0
	.amdhsa_kernel _ZN7rocprim17ROCPRIM_400000_NS6detail17trampoline_kernelINS0_14default_configENS1_35radix_sort_onesweep_config_selectorIdNS0_10empty_typeEEEZNS1_34radix_sort_onesweep_global_offsetsIS3_Lb0EPKdPS5_mNS0_19identity_decomposerEEE10hipError_tT1_T2_PT3_SF_jT4_jjP12ihipStream_tbEUlT_E_NS1_11comp_targetILNS1_3genE6ELNS1_11target_archE950ELNS1_3gpuE13ELNS1_3repE0EEENS1_52radix_sort_onesweep_histogram_config_static_selectorELNS0_4arch9wavefront6targetE0EEEvSD_
		.amdhsa_group_segment_fixed_size 0
		.amdhsa_private_segment_fixed_size 0
		.amdhsa_kernarg_size 48
		.amdhsa_user_sgpr_count 2
		.amdhsa_user_sgpr_dispatch_ptr 0
		.amdhsa_user_sgpr_queue_ptr 0
		.amdhsa_user_sgpr_kernarg_segment_ptr 1
		.amdhsa_user_sgpr_dispatch_id 0
		.amdhsa_user_sgpr_kernarg_preload_length 0
		.amdhsa_user_sgpr_kernarg_preload_offset 0
		.amdhsa_user_sgpr_private_segment_size 0
		.amdhsa_wavefront_size32 1
		.amdhsa_uses_dynamic_stack 0
		.amdhsa_enable_private_segment 0
		.amdhsa_system_sgpr_workgroup_id_x 1
		.amdhsa_system_sgpr_workgroup_id_y 0
		.amdhsa_system_sgpr_workgroup_id_z 0
		.amdhsa_system_sgpr_workgroup_info 0
		.amdhsa_system_vgpr_workitem_id 0
		.amdhsa_next_free_vgpr 1
		.amdhsa_next_free_sgpr 1
		.amdhsa_named_barrier_count 0
		.amdhsa_reserve_vcc 0
		.amdhsa_float_round_mode_32 0
		.amdhsa_float_round_mode_16_64 0
		.amdhsa_float_denorm_mode_32 3
		.amdhsa_float_denorm_mode_16_64 3
		.amdhsa_fp16_overflow 0
		.amdhsa_memory_ordered 1
		.amdhsa_forward_progress 1
		.amdhsa_inst_pref_size 0
		.amdhsa_round_robin_scheduling 0
		.amdhsa_exception_fp_ieee_invalid_op 0
		.amdhsa_exception_fp_denorm_src 0
		.amdhsa_exception_fp_ieee_div_zero 0
		.amdhsa_exception_fp_ieee_overflow 0
		.amdhsa_exception_fp_ieee_underflow 0
		.amdhsa_exception_fp_ieee_inexact 0
		.amdhsa_exception_int_div_zero 0
	.end_amdhsa_kernel
	.section	.text._ZN7rocprim17ROCPRIM_400000_NS6detail17trampoline_kernelINS0_14default_configENS1_35radix_sort_onesweep_config_selectorIdNS0_10empty_typeEEEZNS1_34radix_sort_onesweep_global_offsetsIS3_Lb0EPKdPS5_mNS0_19identity_decomposerEEE10hipError_tT1_T2_PT3_SF_jT4_jjP12ihipStream_tbEUlT_E_NS1_11comp_targetILNS1_3genE6ELNS1_11target_archE950ELNS1_3gpuE13ELNS1_3repE0EEENS1_52radix_sort_onesweep_histogram_config_static_selectorELNS0_4arch9wavefront6targetE0EEEvSD_,"axG",@progbits,_ZN7rocprim17ROCPRIM_400000_NS6detail17trampoline_kernelINS0_14default_configENS1_35radix_sort_onesweep_config_selectorIdNS0_10empty_typeEEEZNS1_34radix_sort_onesweep_global_offsetsIS3_Lb0EPKdPS5_mNS0_19identity_decomposerEEE10hipError_tT1_T2_PT3_SF_jT4_jjP12ihipStream_tbEUlT_E_NS1_11comp_targetILNS1_3genE6ELNS1_11target_archE950ELNS1_3gpuE13ELNS1_3repE0EEENS1_52radix_sort_onesweep_histogram_config_static_selectorELNS0_4arch9wavefront6targetE0EEEvSD_,comdat
.Lfunc_end1588:
	.size	_ZN7rocprim17ROCPRIM_400000_NS6detail17trampoline_kernelINS0_14default_configENS1_35radix_sort_onesweep_config_selectorIdNS0_10empty_typeEEEZNS1_34radix_sort_onesweep_global_offsetsIS3_Lb0EPKdPS5_mNS0_19identity_decomposerEEE10hipError_tT1_T2_PT3_SF_jT4_jjP12ihipStream_tbEUlT_E_NS1_11comp_targetILNS1_3genE6ELNS1_11target_archE950ELNS1_3gpuE13ELNS1_3repE0EEENS1_52radix_sort_onesweep_histogram_config_static_selectorELNS0_4arch9wavefront6targetE0EEEvSD_, .Lfunc_end1588-_ZN7rocprim17ROCPRIM_400000_NS6detail17trampoline_kernelINS0_14default_configENS1_35radix_sort_onesweep_config_selectorIdNS0_10empty_typeEEEZNS1_34radix_sort_onesweep_global_offsetsIS3_Lb0EPKdPS5_mNS0_19identity_decomposerEEE10hipError_tT1_T2_PT3_SF_jT4_jjP12ihipStream_tbEUlT_E_NS1_11comp_targetILNS1_3genE6ELNS1_11target_archE950ELNS1_3gpuE13ELNS1_3repE0EEENS1_52radix_sort_onesweep_histogram_config_static_selectorELNS0_4arch9wavefront6targetE0EEEvSD_
                                        ; -- End function
	.set _ZN7rocprim17ROCPRIM_400000_NS6detail17trampoline_kernelINS0_14default_configENS1_35radix_sort_onesweep_config_selectorIdNS0_10empty_typeEEEZNS1_34radix_sort_onesweep_global_offsetsIS3_Lb0EPKdPS5_mNS0_19identity_decomposerEEE10hipError_tT1_T2_PT3_SF_jT4_jjP12ihipStream_tbEUlT_E_NS1_11comp_targetILNS1_3genE6ELNS1_11target_archE950ELNS1_3gpuE13ELNS1_3repE0EEENS1_52radix_sort_onesweep_histogram_config_static_selectorELNS0_4arch9wavefront6targetE0EEEvSD_.num_vgpr, 0
	.set _ZN7rocprim17ROCPRIM_400000_NS6detail17trampoline_kernelINS0_14default_configENS1_35radix_sort_onesweep_config_selectorIdNS0_10empty_typeEEEZNS1_34radix_sort_onesweep_global_offsetsIS3_Lb0EPKdPS5_mNS0_19identity_decomposerEEE10hipError_tT1_T2_PT3_SF_jT4_jjP12ihipStream_tbEUlT_E_NS1_11comp_targetILNS1_3genE6ELNS1_11target_archE950ELNS1_3gpuE13ELNS1_3repE0EEENS1_52radix_sort_onesweep_histogram_config_static_selectorELNS0_4arch9wavefront6targetE0EEEvSD_.num_agpr, 0
	.set _ZN7rocprim17ROCPRIM_400000_NS6detail17trampoline_kernelINS0_14default_configENS1_35radix_sort_onesweep_config_selectorIdNS0_10empty_typeEEEZNS1_34radix_sort_onesweep_global_offsetsIS3_Lb0EPKdPS5_mNS0_19identity_decomposerEEE10hipError_tT1_T2_PT3_SF_jT4_jjP12ihipStream_tbEUlT_E_NS1_11comp_targetILNS1_3genE6ELNS1_11target_archE950ELNS1_3gpuE13ELNS1_3repE0EEENS1_52radix_sort_onesweep_histogram_config_static_selectorELNS0_4arch9wavefront6targetE0EEEvSD_.numbered_sgpr, 0
	.set _ZN7rocprim17ROCPRIM_400000_NS6detail17trampoline_kernelINS0_14default_configENS1_35radix_sort_onesweep_config_selectorIdNS0_10empty_typeEEEZNS1_34radix_sort_onesweep_global_offsetsIS3_Lb0EPKdPS5_mNS0_19identity_decomposerEEE10hipError_tT1_T2_PT3_SF_jT4_jjP12ihipStream_tbEUlT_E_NS1_11comp_targetILNS1_3genE6ELNS1_11target_archE950ELNS1_3gpuE13ELNS1_3repE0EEENS1_52radix_sort_onesweep_histogram_config_static_selectorELNS0_4arch9wavefront6targetE0EEEvSD_.num_named_barrier, 0
	.set _ZN7rocprim17ROCPRIM_400000_NS6detail17trampoline_kernelINS0_14default_configENS1_35radix_sort_onesweep_config_selectorIdNS0_10empty_typeEEEZNS1_34radix_sort_onesweep_global_offsetsIS3_Lb0EPKdPS5_mNS0_19identity_decomposerEEE10hipError_tT1_T2_PT3_SF_jT4_jjP12ihipStream_tbEUlT_E_NS1_11comp_targetILNS1_3genE6ELNS1_11target_archE950ELNS1_3gpuE13ELNS1_3repE0EEENS1_52radix_sort_onesweep_histogram_config_static_selectorELNS0_4arch9wavefront6targetE0EEEvSD_.private_seg_size, 0
	.set _ZN7rocprim17ROCPRIM_400000_NS6detail17trampoline_kernelINS0_14default_configENS1_35radix_sort_onesweep_config_selectorIdNS0_10empty_typeEEEZNS1_34radix_sort_onesweep_global_offsetsIS3_Lb0EPKdPS5_mNS0_19identity_decomposerEEE10hipError_tT1_T2_PT3_SF_jT4_jjP12ihipStream_tbEUlT_E_NS1_11comp_targetILNS1_3genE6ELNS1_11target_archE950ELNS1_3gpuE13ELNS1_3repE0EEENS1_52radix_sort_onesweep_histogram_config_static_selectorELNS0_4arch9wavefront6targetE0EEEvSD_.uses_vcc, 0
	.set _ZN7rocprim17ROCPRIM_400000_NS6detail17trampoline_kernelINS0_14default_configENS1_35radix_sort_onesweep_config_selectorIdNS0_10empty_typeEEEZNS1_34radix_sort_onesweep_global_offsetsIS3_Lb0EPKdPS5_mNS0_19identity_decomposerEEE10hipError_tT1_T2_PT3_SF_jT4_jjP12ihipStream_tbEUlT_E_NS1_11comp_targetILNS1_3genE6ELNS1_11target_archE950ELNS1_3gpuE13ELNS1_3repE0EEENS1_52radix_sort_onesweep_histogram_config_static_selectorELNS0_4arch9wavefront6targetE0EEEvSD_.uses_flat_scratch, 0
	.set _ZN7rocprim17ROCPRIM_400000_NS6detail17trampoline_kernelINS0_14default_configENS1_35radix_sort_onesweep_config_selectorIdNS0_10empty_typeEEEZNS1_34radix_sort_onesweep_global_offsetsIS3_Lb0EPKdPS5_mNS0_19identity_decomposerEEE10hipError_tT1_T2_PT3_SF_jT4_jjP12ihipStream_tbEUlT_E_NS1_11comp_targetILNS1_3genE6ELNS1_11target_archE950ELNS1_3gpuE13ELNS1_3repE0EEENS1_52radix_sort_onesweep_histogram_config_static_selectorELNS0_4arch9wavefront6targetE0EEEvSD_.has_dyn_sized_stack, 0
	.set _ZN7rocprim17ROCPRIM_400000_NS6detail17trampoline_kernelINS0_14default_configENS1_35radix_sort_onesweep_config_selectorIdNS0_10empty_typeEEEZNS1_34radix_sort_onesweep_global_offsetsIS3_Lb0EPKdPS5_mNS0_19identity_decomposerEEE10hipError_tT1_T2_PT3_SF_jT4_jjP12ihipStream_tbEUlT_E_NS1_11comp_targetILNS1_3genE6ELNS1_11target_archE950ELNS1_3gpuE13ELNS1_3repE0EEENS1_52radix_sort_onesweep_histogram_config_static_selectorELNS0_4arch9wavefront6targetE0EEEvSD_.has_recursion, 0
	.set _ZN7rocprim17ROCPRIM_400000_NS6detail17trampoline_kernelINS0_14default_configENS1_35radix_sort_onesweep_config_selectorIdNS0_10empty_typeEEEZNS1_34radix_sort_onesweep_global_offsetsIS3_Lb0EPKdPS5_mNS0_19identity_decomposerEEE10hipError_tT1_T2_PT3_SF_jT4_jjP12ihipStream_tbEUlT_E_NS1_11comp_targetILNS1_3genE6ELNS1_11target_archE950ELNS1_3gpuE13ELNS1_3repE0EEENS1_52radix_sort_onesweep_histogram_config_static_selectorELNS0_4arch9wavefront6targetE0EEEvSD_.has_indirect_call, 0
	.section	.AMDGPU.csdata,"",@progbits
; Kernel info:
; codeLenInByte = 0
; TotalNumSgprs: 0
; NumVgprs: 0
; ScratchSize: 0
; MemoryBound: 0
; FloatMode: 240
; IeeeMode: 1
; LDSByteSize: 0 bytes/workgroup (compile time only)
; SGPRBlocks: 0
; VGPRBlocks: 0
; NumSGPRsForWavesPerEU: 1
; NumVGPRsForWavesPerEU: 1
; NamedBarCnt: 0
; Occupancy: 16
; WaveLimiterHint : 0
; COMPUTE_PGM_RSRC2:SCRATCH_EN: 0
; COMPUTE_PGM_RSRC2:USER_SGPR: 2
; COMPUTE_PGM_RSRC2:TRAP_HANDLER: 0
; COMPUTE_PGM_RSRC2:TGID_X_EN: 1
; COMPUTE_PGM_RSRC2:TGID_Y_EN: 0
; COMPUTE_PGM_RSRC2:TGID_Z_EN: 0
; COMPUTE_PGM_RSRC2:TIDIG_COMP_CNT: 0
	.section	.text._ZN7rocprim17ROCPRIM_400000_NS6detail17trampoline_kernelINS0_14default_configENS1_35radix_sort_onesweep_config_selectorIdNS0_10empty_typeEEEZNS1_34radix_sort_onesweep_global_offsetsIS3_Lb0EPKdPS5_mNS0_19identity_decomposerEEE10hipError_tT1_T2_PT3_SF_jT4_jjP12ihipStream_tbEUlT_E_NS1_11comp_targetILNS1_3genE5ELNS1_11target_archE942ELNS1_3gpuE9ELNS1_3repE0EEENS1_52radix_sort_onesweep_histogram_config_static_selectorELNS0_4arch9wavefront6targetE0EEEvSD_,"axG",@progbits,_ZN7rocprim17ROCPRIM_400000_NS6detail17trampoline_kernelINS0_14default_configENS1_35radix_sort_onesweep_config_selectorIdNS0_10empty_typeEEEZNS1_34radix_sort_onesweep_global_offsetsIS3_Lb0EPKdPS5_mNS0_19identity_decomposerEEE10hipError_tT1_T2_PT3_SF_jT4_jjP12ihipStream_tbEUlT_E_NS1_11comp_targetILNS1_3genE5ELNS1_11target_archE942ELNS1_3gpuE9ELNS1_3repE0EEENS1_52radix_sort_onesweep_histogram_config_static_selectorELNS0_4arch9wavefront6targetE0EEEvSD_,comdat
	.protected	_ZN7rocprim17ROCPRIM_400000_NS6detail17trampoline_kernelINS0_14default_configENS1_35radix_sort_onesweep_config_selectorIdNS0_10empty_typeEEEZNS1_34radix_sort_onesweep_global_offsetsIS3_Lb0EPKdPS5_mNS0_19identity_decomposerEEE10hipError_tT1_T2_PT3_SF_jT4_jjP12ihipStream_tbEUlT_E_NS1_11comp_targetILNS1_3genE5ELNS1_11target_archE942ELNS1_3gpuE9ELNS1_3repE0EEENS1_52radix_sort_onesweep_histogram_config_static_selectorELNS0_4arch9wavefront6targetE0EEEvSD_ ; -- Begin function _ZN7rocprim17ROCPRIM_400000_NS6detail17trampoline_kernelINS0_14default_configENS1_35radix_sort_onesweep_config_selectorIdNS0_10empty_typeEEEZNS1_34radix_sort_onesweep_global_offsetsIS3_Lb0EPKdPS5_mNS0_19identity_decomposerEEE10hipError_tT1_T2_PT3_SF_jT4_jjP12ihipStream_tbEUlT_E_NS1_11comp_targetILNS1_3genE5ELNS1_11target_archE942ELNS1_3gpuE9ELNS1_3repE0EEENS1_52radix_sort_onesweep_histogram_config_static_selectorELNS0_4arch9wavefront6targetE0EEEvSD_
	.globl	_ZN7rocprim17ROCPRIM_400000_NS6detail17trampoline_kernelINS0_14default_configENS1_35radix_sort_onesweep_config_selectorIdNS0_10empty_typeEEEZNS1_34radix_sort_onesweep_global_offsetsIS3_Lb0EPKdPS5_mNS0_19identity_decomposerEEE10hipError_tT1_T2_PT3_SF_jT4_jjP12ihipStream_tbEUlT_E_NS1_11comp_targetILNS1_3genE5ELNS1_11target_archE942ELNS1_3gpuE9ELNS1_3repE0EEENS1_52radix_sort_onesweep_histogram_config_static_selectorELNS0_4arch9wavefront6targetE0EEEvSD_
	.p2align	8
	.type	_ZN7rocprim17ROCPRIM_400000_NS6detail17trampoline_kernelINS0_14default_configENS1_35radix_sort_onesweep_config_selectorIdNS0_10empty_typeEEEZNS1_34radix_sort_onesweep_global_offsetsIS3_Lb0EPKdPS5_mNS0_19identity_decomposerEEE10hipError_tT1_T2_PT3_SF_jT4_jjP12ihipStream_tbEUlT_E_NS1_11comp_targetILNS1_3genE5ELNS1_11target_archE942ELNS1_3gpuE9ELNS1_3repE0EEENS1_52radix_sort_onesweep_histogram_config_static_selectorELNS0_4arch9wavefront6targetE0EEEvSD_,@function
_ZN7rocprim17ROCPRIM_400000_NS6detail17trampoline_kernelINS0_14default_configENS1_35radix_sort_onesweep_config_selectorIdNS0_10empty_typeEEEZNS1_34radix_sort_onesweep_global_offsetsIS3_Lb0EPKdPS5_mNS0_19identity_decomposerEEE10hipError_tT1_T2_PT3_SF_jT4_jjP12ihipStream_tbEUlT_E_NS1_11comp_targetILNS1_3genE5ELNS1_11target_archE942ELNS1_3gpuE9ELNS1_3repE0EEENS1_52radix_sort_onesweep_histogram_config_static_selectorELNS0_4arch9wavefront6targetE0EEEvSD_: ; @_ZN7rocprim17ROCPRIM_400000_NS6detail17trampoline_kernelINS0_14default_configENS1_35radix_sort_onesweep_config_selectorIdNS0_10empty_typeEEEZNS1_34radix_sort_onesweep_global_offsetsIS3_Lb0EPKdPS5_mNS0_19identity_decomposerEEE10hipError_tT1_T2_PT3_SF_jT4_jjP12ihipStream_tbEUlT_E_NS1_11comp_targetILNS1_3genE5ELNS1_11target_archE942ELNS1_3gpuE9ELNS1_3repE0EEENS1_52radix_sort_onesweep_histogram_config_static_selectorELNS0_4arch9wavefront6targetE0EEEvSD_
; %bb.0:
	.section	.rodata,"a",@progbits
	.p2align	6, 0x0
	.amdhsa_kernel _ZN7rocprim17ROCPRIM_400000_NS6detail17trampoline_kernelINS0_14default_configENS1_35radix_sort_onesweep_config_selectorIdNS0_10empty_typeEEEZNS1_34radix_sort_onesweep_global_offsetsIS3_Lb0EPKdPS5_mNS0_19identity_decomposerEEE10hipError_tT1_T2_PT3_SF_jT4_jjP12ihipStream_tbEUlT_E_NS1_11comp_targetILNS1_3genE5ELNS1_11target_archE942ELNS1_3gpuE9ELNS1_3repE0EEENS1_52radix_sort_onesweep_histogram_config_static_selectorELNS0_4arch9wavefront6targetE0EEEvSD_
		.amdhsa_group_segment_fixed_size 0
		.amdhsa_private_segment_fixed_size 0
		.amdhsa_kernarg_size 48
		.amdhsa_user_sgpr_count 2
		.amdhsa_user_sgpr_dispatch_ptr 0
		.amdhsa_user_sgpr_queue_ptr 0
		.amdhsa_user_sgpr_kernarg_segment_ptr 1
		.amdhsa_user_sgpr_dispatch_id 0
		.amdhsa_user_sgpr_kernarg_preload_length 0
		.amdhsa_user_sgpr_kernarg_preload_offset 0
		.amdhsa_user_sgpr_private_segment_size 0
		.amdhsa_wavefront_size32 1
		.amdhsa_uses_dynamic_stack 0
		.amdhsa_enable_private_segment 0
		.amdhsa_system_sgpr_workgroup_id_x 1
		.amdhsa_system_sgpr_workgroup_id_y 0
		.amdhsa_system_sgpr_workgroup_id_z 0
		.amdhsa_system_sgpr_workgroup_info 0
		.amdhsa_system_vgpr_workitem_id 0
		.amdhsa_next_free_vgpr 1
		.amdhsa_next_free_sgpr 1
		.amdhsa_named_barrier_count 0
		.amdhsa_reserve_vcc 0
		.amdhsa_float_round_mode_32 0
		.amdhsa_float_round_mode_16_64 0
		.amdhsa_float_denorm_mode_32 3
		.amdhsa_float_denorm_mode_16_64 3
		.amdhsa_fp16_overflow 0
		.amdhsa_memory_ordered 1
		.amdhsa_forward_progress 1
		.amdhsa_inst_pref_size 0
		.amdhsa_round_robin_scheduling 0
		.amdhsa_exception_fp_ieee_invalid_op 0
		.amdhsa_exception_fp_denorm_src 0
		.amdhsa_exception_fp_ieee_div_zero 0
		.amdhsa_exception_fp_ieee_overflow 0
		.amdhsa_exception_fp_ieee_underflow 0
		.amdhsa_exception_fp_ieee_inexact 0
		.amdhsa_exception_int_div_zero 0
	.end_amdhsa_kernel
	.section	.text._ZN7rocprim17ROCPRIM_400000_NS6detail17trampoline_kernelINS0_14default_configENS1_35radix_sort_onesweep_config_selectorIdNS0_10empty_typeEEEZNS1_34radix_sort_onesweep_global_offsetsIS3_Lb0EPKdPS5_mNS0_19identity_decomposerEEE10hipError_tT1_T2_PT3_SF_jT4_jjP12ihipStream_tbEUlT_E_NS1_11comp_targetILNS1_3genE5ELNS1_11target_archE942ELNS1_3gpuE9ELNS1_3repE0EEENS1_52radix_sort_onesweep_histogram_config_static_selectorELNS0_4arch9wavefront6targetE0EEEvSD_,"axG",@progbits,_ZN7rocprim17ROCPRIM_400000_NS6detail17trampoline_kernelINS0_14default_configENS1_35radix_sort_onesweep_config_selectorIdNS0_10empty_typeEEEZNS1_34radix_sort_onesweep_global_offsetsIS3_Lb0EPKdPS5_mNS0_19identity_decomposerEEE10hipError_tT1_T2_PT3_SF_jT4_jjP12ihipStream_tbEUlT_E_NS1_11comp_targetILNS1_3genE5ELNS1_11target_archE942ELNS1_3gpuE9ELNS1_3repE0EEENS1_52radix_sort_onesweep_histogram_config_static_selectorELNS0_4arch9wavefront6targetE0EEEvSD_,comdat
.Lfunc_end1589:
	.size	_ZN7rocprim17ROCPRIM_400000_NS6detail17trampoline_kernelINS0_14default_configENS1_35radix_sort_onesweep_config_selectorIdNS0_10empty_typeEEEZNS1_34radix_sort_onesweep_global_offsetsIS3_Lb0EPKdPS5_mNS0_19identity_decomposerEEE10hipError_tT1_T2_PT3_SF_jT4_jjP12ihipStream_tbEUlT_E_NS1_11comp_targetILNS1_3genE5ELNS1_11target_archE942ELNS1_3gpuE9ELNS1_3repE0EEENS1_52radix_sort_onesweep_histogram_config_static_selectorELNS0_4arch9wavefront6targetE0EEEvSD_, .Lfunc_end1589-_ZN7rocprim17ROCPRIM_400000_NS6detail17trampoline_kernelINS0_14default_configENS1_35radix_sort_onesweep_config_selectorIdNS0_10empty_typeEEEZNS1_34radix_sort_onesweep_global_offsetsIS3_Lb0EPKdPS5_mNS0_19identity_decomposerEEE10hipError_tT1_T2_PT3_SF_jT4_jjP12ihipStream_tbEUlT_E_NS1_11comp_targetILNS1_3genE5ELNS1_11target_archE942ELNS1_3gpuE9ELNS1_3repE0EEENS1_52radix_sort_onesweep_histogram_config_static_selectorELNS0_4arch9wavefront6targetE0EEEvSD_
                                        ; -- End function
	.set _ZN7rocprim17ROCPRIM_400000_NS6detail17trampoline_kernelINS0_14default_configENS1_35radix_sort_onesweep_config_selectorIdNS0_10empty_typeEEEZNS1_34radix_sort_onesweep_global_offsetsIS3_Lb0EPKdPS5_mNS0_19identity_decomposerEEE10hipError_tT1_T2_PT3_SF_jT4_jjP12ihipStream_tbEUlT_E_NS1_11comp_targetILNS1_3genE5ELNS1_11target_archE942ELNS1_3gpuE9ELNS1_3repE0EEENS1_52radix_sort_onesweep_histogram_config_static_selectorELNS0_4arch9wavefront6targetE0EEEvSD_.num_vgpr, 0
	.set _ZN7rocprim17ROCPRIM_400000_NS6detail17trampoline_kernelINS0_14default_configENS1_35radix_sort_onesweep_config_selectorIdNS0_10empty_typeEEEZNS1_34radix_sort_onesweep_global_offsetsIS3_Lb0EPKdPS5_mNS0_19identity_decomposerEEE10hipError_tT1_T2_PT3_SF_jT4_jjP12ihipStream_tbEUlT_E_NS1_11comp_targetILNS1_3genE5ELNS1_11target_archE942ELNS1_3gpuE9ELNS1_3repE0EEENS1_52radix_sort_onesweep_histogram_config_static_selectorELNS0_4arch9wavefront6targetE0EEEvSD_.num_agpr, 0
	.set _ZN7rocprim17ROCPRIM_400000_NS6detail17trampoline_kernelINS0_14default_configENS1_35radix_sort_onesweep_config_selectorIdNS0_10empty_typeEEEZNS1_34radix_sort_onesweep_global_offsetsIS3_Lb0EPKdPS5_mNS0_19identity_decomposerEEE10hipError_tT1_T2_PT3_SF_jT4_jjP12ihipStream_tbEUlT_E_NS1_11comp_targetILNS1_3genE5ELNS1_11target_archE942ELNS1_3gpuE9ELNS1_3repE0EEENS1_52radix_sort_onesweep_histogram_config_static_selectorELNS0_4arch9wavefront6targetE0EEEvSD_.numbered_sgpr, 0
	.set _ZN7rocprim17ROCPRIM_400000_NS6detail17trampoline_kernelINS0_14default_configENS1_35radix_sort_onesweep_config_selectorIdNS0_10empty_typeEEEZNS1_34radix_sort_onesweep_global_offsetsIS3_Lb0EPKdPS5_mNS0_19identity_decomposerEEE10hipError_tT1_T2_PT3_SF_jT4_jjP12ihipStream_tbEUlT_E_NS1_11comp_targetILNS1_3genE5ELNS1_11target_archE942ELNS1_3gpuE9ELNS1_3repE0EEENS1_52radix_sort_onesweep_histogram_config_static_selectorELNS0_4arch9wavefront6targetE0EEEvSD_.num_named_barrier, 0
	.set _ZN7rocprim17ROCPRIM_400000_NS6detail17trampoline_kernelINS0_14default_configENS1_35radix_sort_onesweep_config_selectorIdNS0_10empty_typeEEEZNS1_34radix_sort_onesweep_global_offsetsIS3_Lb0EPKdPS5_mNS0_19identity_decomposerEEE10hipError_tT1_T2_PT3_SF_jT4_jjP12ihipStream_tbEUlT_E_NS1_11comp_targetILNS1_3genE5ELNS1_11target_archE942ELNS1_3gpuE9ELNS1_3repE0EEENS1_52radix_sort_onesweep_histogram_config_static_selectorELNS0_4arch9wavefront6targetE0EEEvSD_.private_seg_size, 0
	.set _ZN7rocprim17ROCPRIM_400000_NS6detail17trampoline_kernelINS0_14default_configENS1_35radix_sort_onesweep_config_selectorIdNS0_10empty_typeEEEZNS1_34radix_sort_onesweep_global_offsetsIS3_Lb0EPKdPS5_mNS0_19identity_decomposerEEE10hipError_tT1_T2_PT3_SF_jT4_jjP12ihipStream_tbEUlT_E_NS1_11comp_targetILNS1_3genE5ELNS1_11target_archE942ELNS1_3gpuE9ELNS1_3repE0EEENS1_52radix_sort_onesweep_histogram_config_static_selectorELNS0_4arch9wavefront6targetE0EEEvSD_.uses_vcc, 0
	.set _ZN7rocprim17ROCPRIM_400000_NS6detail17trampoline_kernelINS0_14default_configENS1_35radix_sort_onesweep_config_selectorIdNS0_10empty_typeEEEZNS1_34radix_sort_onesweep_global_offsetsIS3_Lb0EPKdPS5_mNS0_19identity_decomposerEEE10hipError_tT1_T2_PT3_SF_jT4_jjP12ihipStream_tbEUlT_E_NS1_11comp_targetILNS1_3genE5ELNS1_11target_archE942ELNS1_3gpuE9ELNS1_3repE0EEENS1_52radix_sort_onesweep_histogram_config_static_selectorELNS0_4arch9wavefront6targetE0EEEvSD_.uses_flat_scratch, 0
	.set _ZN7rocprim17ROCPRIM_400000_NS6detail17trampoline_kernelINS0_14default_configENS1_35radix_sort_onesweep_config_selectorIdNS0_10empty_typeEEEZNS1_34radix_sort_onesweep_global_offsetsIS3_Lb0EPKdPS5_mNS0_19identity_decomposerEEE10hipError_tT1_T2_PT3_SF_jT4_jjP12ihipStream_tbEUlT_E_NS1_11comp_targetILNS1_3genE5ELNS1_11target_archE942ELNS1_3gpuE9ELNS1_3repE0EEENS1_52radix_sort_onesweep_histogram_config_static_selectorELNS0_4arch9wavefront6targetE0EEEvSD_.has_dyn_sized_stack, 0
	.set _ZN7rocprim17ROCPRIM_400000_NS6detail17trampoline_kernelINS0_14default_configENS1_35radix_sort_onesweep_config_selectorIdNS0_10empty_typeEEEZNS1_34radix_sort_onesweep_global_offsetsIS3_Lb0EPKdPS5_mNS0_19identity_decomposerEEE10hipError_tT1_T2_PT3_SF_jT4_jjP12ihipStream_tbEUlT_E_NS1_11comp_targetILNS1_3genE5ELNS1_11target_archE942ELNS1_3gpuE9ELNS1_3repE0EEENS1_52radix_sort_onesweep_histogram_config_static_selectorELNS0_4arch9wavefront6targetE0EEEvSD_.has_recursion, 0
	.set _ZN7rocprim17ROCPRIM_400000_NS6detail17trampoline_kernelINS0_14default_configENS1_35radix_sort_onesweep_config_selectorIdNS0_10empty_typeEEEZNS1_34radix_sort_onesweep_global_offsetsIS3_Lb0EPKdPS5_mNS0_19identity_decomposerEEE10hipError_tT1_T2_PT3_SF_jT4_jjP12ihipStream_tbEUlT_E_NS1_11comp_targetILNS1_3genE5ELNS1_11target_archE942ELNS1_3gpuE9ELNS1_3repE0EEENS1_52radix_sort_onesweep_histogram_config_static_selectorELNS0_4arch9wavefront6targetE0EEEvSD_.has_indirect_call, 0
	.section	.AMDGPU.csdata,"",@progbits
; Kernel info:
; codeLenInByte = 0
; TotalNumSgprs: 0
; NumVgprs: 0
; ScratchSize: 0
; MemoryBound: 0
; FloatMode: 240
; IeeeMode: 1
; LDSByteSize: 0 bytes/workgroup (compile time only)
; SGPRBlocks: 0
; VGPRBlocks: 0
; NumSGPRsForWavesPerEU: 1
; NumVGPRsForWavesPerEU: 1
; NamedBarCnt: 0
; Occupancy: 16
; WaveLimiterHint : 0
; COMPUTE_PGM_RSRC2:SCRATCH_EN: 0
; COMPUTE_PGM_RSRC2:USER_SGPR: 2
; COMPUTE_PGM_RSRC2:TRAP_HANDLER: 0
; COMPUTE_PGM_RSRC2:TGID_X_EN: 1
; COMPUTE_PGM_RSRC2:TGID_Y_EN: 0
; COMPUTE_PGM_RSRC2:TGID_Z_EN: 0
; COMPUTE_PGM_RSRC2:TIDIG_COMP_CNT: 0
	.section	.text._ZN7rocprim17ROCPRIM_400000_NS6detail17trampoline_kernelINS0_14default_configENS1_35radix_sort_onesweep_config_selectorIdNS0_10empty_typeEEEZNS1_34radix_sort_onesweep_global_offsetsIS3_Lb0EPKdPS5_mNS0_19identity_decomposerEEE10hipError_tT1_T2_PT3_SF_jT4_jjP12ihipStream_tbEUlT_E_NS1_11comp_targetILNS1_3genE2ELNS1_11target_archE906ELNS1_3gpuE6ELNS1_3repE0EEENS1_52radix_sort_onesweep_histogram_config_static_selectorELNS0_4arch9wavefront6targetE0EEEvSD_,"axG",@progbits,_ZN7rocprim17ROCPRIM_400000_NS6detail17trampoline_kernelINS0_14default_configENS1_35radix_sort_onesweep_config_selectorIdNS0_10empty_typeEEEZNS1_34radix_sort_onesweep_global_offsetsIS3_Lb0EPKdPS5_mNS0_19identity_decomposerEEE10hipError_tT1_T2_PT3_SF_jT4_jjP12ihipStream_tbEUlT_E_NS1_11comp_targetILNS1_3genE2ELNS1_11target_archE906ELNS1_3gpuE6ELNS1_3repE0EEENS1_52radix_sort_onesweep_histogram_config_static_selectorELNS0_4arch9wavefront6targetE0EEEvSD_,comdat
	.protected	_ZN7rocprim17ROCPRIM_400000_NS6detail17trampoline_kernelINS0_14default_configENS1_35radix_sort_onesweep_config_selectorIdNS0_10empty_typeEEEZNS1_34radix_sort_onesweep_global_offsetsIS3_Lb0EPKdPS5_mNS0_19identity_decomposerEEE10hipError_tT1_T2_PT3_SF_jT4_jjP12ihipStream_tbEUlT_E_NS1_11comp_targetILNS1_3genE2ELNS1_11target_archE906ELNS1_3gpuE6ELNS1_3repE0EEENS1_52radix_sort_onesweep_histogram_config_static_selectorELNS0_4arch9wavefront6targetE0EEEvSD_ ; -- Begin function _ZN7rocprim17ROCPRIM_400000_NS6detail17trampoline_kernelINS0_14default_configENS1_35radix_sort_onesweep_config_selectorIdNS0_10empty_typeEEEZNS1_34radix_sort_onesweep_global_offsetsIS3_Lb0EPKdPS5_mNS0_19identity_decomposerEEE10hipError_tT1_T2_PT3_SF_jT4_jjP12ihipStream_tbEUlT_E_NS1_11comp_targetILNS1_3genE2ELNS1_11target_archE906ELNS1_3gpuE6ELNS1_3repE0EEENS1_52radix_sort_onesweep_histogram_config_static_selectorELNS0_4arch9wavefront6targetE0EEEvSD_
	.globl	_ZN7rocprim17ROCPRIM_400000_NS6detail17trampoline_kernelINS0_14default_configENS1_35radix_sort_onesweep_config_selectorIdNS0_10empty_typeEEEZNS1_34radix_sort_onesweep_global_offsetsIS3_Lb0EPKdPS5_mNS0_19identity_decomposerEEE10hipError_tT1_T2_PT3_SF_jT4_jjP12ihipStream_tbEUlT_E_NS1_11comp_targetILNS1_3genE2ELNS1_11target_archE906ELNS1_3gpuE6ELNS1_3repE0EEENS1_52radix_sort_onesweep_histogram_config_static_selectorELNS0_4arch9wavefront6targetE0EEEvSD_
	.p2align	8
	.type	_ZN7rocprim17ROCPRIM_400000_NS6detail17trampoline_kernelINS0_14default_configENS1_35radix_sort_onesweep_config_selectorIdNS0_10empty_typeEEEZNS1_34radix_sort_onesweep_global_offsetsIS3_Lb0EPKdPS5_mNS0_19identity_decomposerEEE10hipError_tT1_T2_PT3_SF_jT4_jjP12ihipStream_tbEUlT_E_NS1_11comp_targetILNS1_3genE2ELNS1_11target_archE906ELNS1_3gpuE6ELNS1_3repE0EEENS1_52radix_sort_onesweep_histogram_config_static_selectorELNS0_4arch9wavefront6targetE0EEEvSD_,@function
_ZN7rocprim17ROCPRIM_400000_NS6detail17trampoline_kernelINS0_14default_configENS1_35radix_sort_onesweep_config_selectorIdNS0_10empty_typeEEEZNS1_34radix_sort_onesweep_global_offsetsIS3_Lb0EPKdPS5_mNS0_19identity_decomposerEEE10hipError_tT1_T2_PT3_SF_jT4_jjP12ihipStream_tbEUlT_E_NS1_11comp_targetILNS1_3genE2ELNS1_11target_archE906ELNS1_3gpuE6ELNS1_3repE0EEENS1_52radix_sort_onesweep_histogram_config_static_selectorELNS0_4arch9wavefront6targetE0EEEvSD_: ; @_ZN7rocprim17ROCPRIM_400000_NS6detail17trampoline_kernelINS0_14default_configENS1_35radix_sort_onesweep_config_selectorIdNS0_10empty_typeEEEZNS1_34radix_sort_onesweep_global_offsetsIS3_Lb0EPKdPS5_mNS0_19identity_decomposerEEE10hipError_tT1_T2_PT3_SF_jT4_jjP12ihipStream_tbEUlT_E_NS1_11comp_targetILNS1_3genE2ELNS1_11target_archE906ELNS1_3gpuE6ELNS1_3repE0EEENS1_52radix_sort_onesweep_histogram_config_static_selectorELNS0_4arch9wavefront6targetE0EEEvSD_
; %bb.0:
	.section	.rodata,"a",@progbits
	.p2align	6, 0x0
	.amdhsa_kernel _ZN7rocprim17ROCPRIM_400000_NS6detail17trampoline_kernelINS0_14default_configENS1_35radix_sort_onesweep_config_selectorIdNS0_10empty_typeEEEZNS1_34radix_sort_onesweep_global_offsetsIS3_Lb0EPKdPS5_mNS0_19identity_decomposerEEE10hipError_tT1_T2_PT3_SF_jT4_jjP12ihipStream_tbEUlT_E_NS1_11comp_targetILNS1_3genE2ELNS1_11target_archE906ELNS1_3gpuE6ELNS1_3repE0EEENS1_52radix_sort_onesweep_histogram_config_static_selectorELNS0_4arch9wavefront6targetE0EEEvSD_
		.amdhsa_group_segment_fixed_size 0
		.amdhsa_private_segment_fixed_size 0
		.amdhsa_kernarg_size 48
		.amdhsa_user_sgpr_count 2
		.amdhsa_user_sgpr_dispatch_ptr 0
		.amdhsa_user_sgpr_queue_ptr 0
		.amdhsa_user_sgpr_kernarg_segment_ptr 1
		.amdhsa_user_sgpr_dispatch_id 0
		.amdhsa_user_sgpr_kernarg_preload_length 0
		.amdhsa_user_sgpr_kernarg_preload_offset 0
		.amdhsa_user_sgpr_private_segment_size 0
		.amdhsa_wavefront_size32 1
		.amdhsa_uses_dynamic_stack 0
		.amdhsa_enable_private_segment 0
		.amdhsa_system_sgpr_workgroup_id_x 1
		.amdhsa_system_sgpr_workgroup_id_y 0
		.amdhsa_system_sgpr_workgroup_id_z 0
		.amdhsa_system_sgpr_workgroup_info 0
		.amdhsa_system_vgpr_workitem_id 0
		.amdhsa_next_free_vgpr 1
		.amdhsa_next_free_sgpr 1
		.amdhsa_named_barrier_count 0
		.amdhsa_reserve_vcc 0
		.amdhsa_float_round_mode_32 0
		.amdhsa_float_round_mode_16_64 0
		.amdhsa_float_denorm_mode_32 3
		.amdhsa_float_denorm_mode_16_64 3
		.amdhsa_fp16_overflow 0
		.amdhsa_memory_ordered 1
		.amdhsa_forward_progress 1
		.amdhsa_inst_pref_size 0
		.amdhsa_round_robin_scheduling 0
		.amdhsa_exception_fp_ieee_invalid_op 0
		.amdhsa_exception_fp_denorm_src 0
		.amdhsa_exception_fp_ieee_div_zero 0
		.amdhsa_exception_fp_ieee_overflow 0
		.amdhsa_exception_fp_ieee_underflow 0
		.amdhsa_exception_fp_ieee_inexact 0
		.amdhsa_exception_int_div_zero 0
	.end_amdhsa_kernel
	.section	.text._ZN7rocprim17ROCPRIM_400000_NS6detail17trampoline_kernelINS0_14default_configENS1_35radix_sort_onesweep_config_selectorIdNS0_10empty_typeEEEZNS1_34radix_sort_onesweep_global_offsetsIS3_Lb0EPKdPS5_mNS0_19identity_decomposerEEE10hipError_tT1_T2_PT3_SF_jT4_jjP12ihipStream_tbEUlT_E_NS1_11comp_targetILNS1_3genE2ELNS1_11target_archE906ELNS1_3gpuE6ELNS1_3repE0EEENS1_52radix_sort_onesweep_histogram_config_static_selectorELNS0_4arch9wavefront6targetE0EEEvSD_,"axG",@progbits,_ZN7rocprim17ROCPRIM_400000_NS6detail17trampoline_kernelINS0_14default_configENS1_35radix_sort_onesweep_config_selectorIdNS0_10empty_typeEEEZNS1_34radix_sort_onesweep_global_offsetsIS3_Lb0EPKdPS5_mNS0_19identity_decomposerEEE10hipError_tT1_T2_PT3_SF_jT4_jjP12ihipStream_tbEUlT_E_NS1_11comp_targetILNS1_3genE2ELNS1_11target_archE906ELNS1_3gpuE6ELNS1_3repE0EEENS1_52radix_sort_onesweep_histogram_config_static_selectorELNS0_4arch9wavefront6targetE0EEEvSD_,comdat
.Lfunc_end1590:
	.size	_ZN7rocprim17ROCPRIM_400000_NS6detail17trampoline_kernelINS0_14default_configENS1_35radix_sort_onesweep_config_selectorIdNS0_10empty_typeEEEZNS1_34radix_sort_onesweep_global_offsetsIS3_Lb0EPKdPS5_mNS0_19identity_decomposerEEE10hipError_tT1_T2_PT3_SF_jT4_jjP12ihipStream_tbEUlT_E_NS1_11comp_targetILNS1_3genE2ELNS1_11target_archE906ELNS1_3gpuE6ELNS1_3repE0EEENS1_52radix_sort_onesweep_histogram_config_static_selectorELNS0_4arch9wavefront6targetE0EEEvSD_, .Lfunc_end1590-_ZN7rocprim17ROCPRIM_400000_NS6detail17trampoline_kernelINS0_14default_configENS1_35radix_sort_onesweep_config_selectorIdNS0_10empty_typeEEEZNS1_34radix_sort_onesweep_global_offsetsIS3_Lb0EPKdPS5_mNS0_19identity_decomposerEEE10hipError_tT1_T2_PT3_SF_jT4_jjP12ihipStream_tbEUlT_E_NS1_11comp_targetILNS1_3genE2ELNS1_11target_archE906ELNS1_3gpuE6ELNS1_3repE0EEENS1_52radix_sort_onesweep_histogram_config_static_selectorELNS0_4arch9wavefront6targetE0EEEvSD_
                                        ; -- End function
	.set _ZN7rocprim17ROCPRIM_400000_NS6detail17trampoline_kernelINS0_14default_configENS1_35radix_sort_onesweep_config_selectorIdNS0_10empty_typeEEEZNS1_34radix_sort_onesweep_global_offsetsIS3_Lb0EPKdPS5_mNS0_19identity_decomposerEEE10hipError_tT1_T2_PT3_SF_jT4_jjP12ihipStream_tbEUlT_E_NS1_11comp_targetILNS1_3genE2ELNS1_11target_archE906ELNS1_3gpuE6ELNS1_3repE0EEENS1_52radix_sort_onesweep_histogram_config_static_selectorELNS0_4arch9wavefront6targetE0EEEvSD_.num_vgpr, 0
	.set _ZN7rocprim17ROCPRIM_400000_NS6detail17trampoline_kernelINS0_14default_configENS1_35radix_sort_onesweep_config_selectorIdNS0_10empty_typeEEEZNS1_34radix_sort_onesweep_global_offsetsIS3_Lb0EPKdPS5_mNS0_19identity_decomposerEEE10hipError_tT1_T2_PT3_SF_jT4_jjP12ihipStream_tbEUlT_E_NS1_11comp_targetILNS1_3genE2ELNS1_11target_archE906ELNS1_3gpuE6ELNS1_3repE0EEENS1_52radix_sort_onesweep_histogram_config_static_selectorELNS0_4arch9wavefront6targetE0EEEvSD_.num_agpr, 0
	.set _ZN7rocprim17ROCPRIM_400000_NS6detail17trampoline_kernelINS0_14default_configENS1_35radix_sort_onesweep_config_selectorIdNS0_10empty_typeEEEZNS1_34radix_sort_onesweep_global_offsetsIS3_Lb0EPKdPS5_mNS0_19identity_decomposerEEE10hipError_tT1_T2_PT3_SF_jT4_jjP12ihipStream_tbEUlT_E_NS1_11comp_targetILNS1_3genE2ELNS1_11target_archE906ELNS1_3gpuE6ELNS1_3repE0EEENS1_52radix_sort_onesweep_histogram_config_static_selectorELNS0_4arch9wavefront6targetE0EEEvSD_.numbered_sgpr, 0
	.set _ZN7rocprim17ROCPRIM_400000_NS6detail17trampoline_kernelINS0_14default_configENS1_35radix_sort_onesweep_config_selectorIdNS0_10empty_typeEEEZNS1_34radix_sort_onesweep_global_offsetsIS3_Lb0EPKdPS5_mNS0_19identity_decomposerEEE10hipError_tT1_T2_PT3_SF_jT4_jjP12ihipStream_tbEUlT_E_NS1_11comp_targetILNS1_3genE2ELNS1_11target_archE906ELNS1_3gpuE6ELNS1_3repE0EEENS1_52radix_sort_onesweep_histogram_config_static_selectorELNS0_4arch9wavefront6targetE0EEEvSD_.num_named_barrier, 0
	.set _ZN7rocprim17ROCPRIM_400000_NS6detail17trampoline_kernelINS0_14default_configENS1_35radix_sort_onesweep_config_selectorIdNS0_10empty_typeEEEZNS1_34radix_sort_onesweep_global_offsetsIS3_Lb0EPKdPS5_mNS0_19identity_decomposerEEE10hipError_tT1_T2_PT3_SF_jT4_jjP12ihipStream_tbEUlT_E_NS1_11comp_targetILNS1_3genE2ELNS1_11target_archE906ELNS1_3gpuE6ELNS1_3repE0EEENS1_52radix_sort_onesweep_histogram_config_static_selectorELNS0_4arch9wavefront6targetE0EEEvSD_.private_seg_size, 0
	.set _ZN7rocprim17ROCPRIM_400000_NS6detail17trampoline_kernelINS0_14default_configENS1_35radix_sort_onesweep_config_selectorIdNS0_10empty_typeEEEZNS1_34radix_sort_onesweep_global_offsetsIS3_Lb0EPKdPS5_mNS0_19identity_decomposerEEE10hipError_tT1_T2_PT3_SF_jT4_jjP12ihipStream_tbEUlT_E_NS1_11comp_targetILNS1_3genE2ELNS1_11target_archE906ELNS1_3gpuE6ELNS1_3repE0EEENS1_52radix_sort_onesweep_histogram_config_static_selectorELNS0_4arch9wavefront6targetE0EEEvSD_.uses_vcc, 0
	.set _ZN7rocprim17ROCPRIM_400000_NS6detail17trampoline_kernelINS0_14default_configENS1_35radix_sort_onesweep_config_selectorIdNS0_10empty_typeEEEZNS1_34radix_sort_onesweep_global_offsetsIS3_Lb0EPKdPS5_mNS0_19identity_decomposerEEE10hipError_tT1_T2_PT3_SF_jT4_jjP12ihipStream_tbEUlT_E_NS1_11comp_targetILNS1_3genE2ELNS1_11target_archE906ELNS1_3gpuE6ELNS1_3repE0EEENS1_52radix_sort_onesweep_histogram_config_static_selectorELNS0_4arch9wavefront6targetE0EEEvSD_.uses_flat_scratch, 0
	.set _ZN7rocprim17ROCPRIM_400000_NS6detail17trampoline_kernelINS0_14default_configENS1_35radix_sort_onesweep_config_selectorIdNS0_10empty_typeEEEZNS1_34radix_sort_onesweep_global_offsetsIS3_Lb0EPKdPS5_mNS0_19identity_decomposerEEE10hipError_tT1_T2_PT3_SF_jT4_jjP12ihipStream_tbEUlT_E_NS1_11comp_targetILNS1_3genE2ELNS1_11target_archE906ELNS1_3gpuE6ELNS1_3repE0EEENS1_52radix_sort_onesweep_histogram_config_static_selectorELNS0_4arch9wavefront6targetE0EEEvSD_.has_dyn_sized_stack, 0
	.set _ZN7rocprim17ROCPRIM_400000_NS6detail17trampoline_kernelINS0_14default_configENS1_35radix_sort_onesweep_config_selectorIdNS0_10empty_typeEEEZNS1_34radix_sort_onesweep_global_offsetsIS3_Lb0EPKdPS5_mNS0_19identity_decomposerEEE10hipError_tT1_T2_PT3_SF_jT4_jjP12ihipStream_tbEUlT_E_NS1_11comp_targetILNS1_3genE2ELNS1_11target_archE906ELNS1_3gpuE6ELNS1_3repE0EEENS1_52radix_sort_onesweep_histogram_config_static_selectorELNS0_4arch9wavefront6targetE0EEEvSD_.has_recursion, 0
	.set _ZN7rocprim17ROCPRIM_400000_NS6detail17trampoline_kernelINS0_14default_configENS1_35radix_sort_onesweep_config_selectorIdNS0_10empty_typeEEEZNS1_34radix_sort_onesweep_global_offsetsIS3_Lb0EPKdPS5_mNS0_19identity_decomposerEEE10hipError_tT1_T2_PT3_SF_jT4_jjP12ihipStream_tbEUlT_E_NS1_11comp_targetILNS1_3genE2ELNS1_11target_archE906ELNS1_3gpuE6ELNS1_3repE0EEENS1_52radix_sort_onesweep_histogram_config_static_selectorELNS0_4arch9wavefront6targetE0EEEvSD_.has_indirect_call, 0
	.section	.AMDGPU.csdata,"",@progbits
; Kernel info:
; codeLenInByte = 0
; TotalNumSgprs: 0
; NumVgprs: 0
; ScratchSize: 0
; MemoryBound: 0
; FloatMode: 240
; IeeeMode: 1
; LDSByteSize: 0 bytes/workgroup (compile time only)
; SGPRBlocks: 0
; VGPRBlocks: 0
; NumSGPRsForWavesPerEU: 1
; NumVGPRsForWavesPerEU: 1
; NamedBarCnt: 0
; Occupancy: 16
; WaveLimiterHint : 0
; COMPUTE_PGM_RSRC2:SCRATCH_EN: 0
; COMPUTE_PGM_RSRC2:USER_SGPR: 2
; COMPUTE_PGM_RSRC2:TRAP_HANDLER: 0
; COMPUTE_PGM_RSRC2:TGID_X_EN: 1
; COMPUTE_PGM_RSRC2:TGID_Y_EN: 0
; COMPUTE_PGM_RSRC2:TGID_Z_EN: 0
; COMPUTE_PGM_RSRC2:TIDIG_COMP_CNT: 0
	.section	.text._ZN7rocprim17ROCPRIM_400000_NS6detail17trampoline_kernelINS0_14default_configENS1_35radix_sort_onesweep_config_selectorIdNS0_10empty_typeEEEZNS1_34radix_sort_onesweep_global_offsetsIS3_Lb0EPKdPS5_mNS0_19identity_decomposerEEE10hipError_tT1_T2_PT3_SF_jT4_jjP12ihipStream_tbEUlT_E_NS1_11comp_targetILNS1_3genE4ELNS1_11target_archE910ELNS1_3gpuE8ELNS1_3repE0EEENS1_52radix_sort_onesweep_histogram_config_static_selectorELNS0_4arch9wavefront6targetE0EEEvSD_,"axG",@progbits,_ZN7rocprim17ROCPRIM_400000_NS6detail17trampoline_kernelINS0_14default_configENS1_35radix_sort_onesweep_config_selectorIdNS0_10empty_typeEEEZNS1_34radix_sort_onesweep_global_offsetsIS3_Lb0EPKdPS5_mNS0_19identity_decomposerEEE10hipError_tT1_T2_PT3_SF_jT4_jjP12ihipStream_tbEUlT_E_NS1_11comp_targetILNS1_3genE4ELNS1_11target_archE910ELNS1_3gpuE8ELNS1_3repE0EEENS1_52radix_sort_onesweep_histogram_config_static_selectorELNS0_4arch9wavefront6targetE0EEEvSD_,comdat
	.protected	_ZN7rocprim17ROCPRIM_400000_NS6detail17trampoline_kernelINS0_14default_configENS1_35radix_sort_onesweep_config_selectorIdNS0_10empty_typeEEEZNS1_34radix_sort_onesweep_global_offsetsIS3_Lb0EPKdPS5_mNS0_19identity_decomposerEEE10hipError_tT1_T2_PT3_SF_jT4_jjP12ihipStream_tbEUlT_E_NS1_11comp_targetILNS1_3genE4ELNS1_11target_archE910ELNS1_3gpuE8ELNS1_3repE0EEENS1_52radix_sort_onesweep_histogram_config_static_selectorELNS0_4arch9wavefront6targetE0EEEvSD_ ; -- Begin function _ZN7rocprim17ROCPRIM_400000_NS6detail17trampoline_kernelINS0_14default_configENS1_35radix_sort_onesweep_config_selectorIdNS0_10empty_typeEEEZNS1_34radix_sort_onesweep_global_offsetsIS3_Lb0EPKdPS5_mNS0_19identity_decomposerEEE10hipError_tT1_T2_PT3_SF_jT4_jjP12ihipStream_tbEUlT_E_NS1_11comp_targetILNS1_3genE4ELNS1_11target_archE910ELNS1_3gpuE8ELNS1_3repE0EEENS1_52radix_sort_onesweep_histogram_config_static_selectorELNS0_4arch9wavefront6targetE0EEEvSD_
	.globl	_ZN7rocprim17ROCPRIM_400000_NS6detail17trampoline_kernelINS0_14default_configENS1_35radix_sort_onesweep_config_selectorIdNS0_10empty_typeEEEZNS1_34radix_sort_onesweep_global_offsetsIS3_Lb0EPKdPS5_mNS0_19identity_decomposerEEE10hipError_tT1_T2_PT3_SF_jT4_jjP12ihipStream_tbEUlT_E_NS1_11comp_targetILNS1_3genE4ELNS1_11target_archE910ELNS1_3gpuE8ELNS1_3repE0EEENS1_52radix_sort_onesweep_histogram_config_static_selectorELNS0_4arch9wavefront6targetE0EEEvSD_
	.p2align	8
	.type	_ZN7rocprim17ROCPRIM_400000_NS6detail17trampoline_kernelINS0_14default_configENS1_35radix_sort_onesweep_config_selectorIdNS0_10empty_typeEEEZNS1_34radix_sort_onesweep_global_offsetsIS3_Lb0EPKdPS5_mNS0_19identity_decomposerEEE10hipError_tT1_T2_PT3_SF_jT4_jjP12ihipStream_tbEUlT_E_NS1_11comp_targetILNS1_3genE4ELNS1_11target_archE910ELNS1_3gpuE8ELNS1_3repE0EEENS1_52radix_sort_onesweep_histogram_config_static_selectorELNS0_4arch9wavefront6targetE0EEEvSD_,@function
_ZN7rocprim17ROCPRIM_400000_NS6detail17trampoline_kernelINS0_14default_configENS1_35radix_sort_onesweep_config_selectorIdNS0_10empty_typeEEEZNS1_34radix_sort_onesweep_global_offsetsIS3_Lb0EPKdPS5_mNS0_19identity_decomposerEEE10hipError_tT1_T2_PT3_SF_jT4_jjP12ihipStream_tbEUlT_E_NS1_11comp_targetILNS1_3genE4ELNS1_11target_archE910ELNS1_3gpuE8ELNS1_3repE0EEENS1_52radix_sort_onesweep_histogram_config_static_selectorELNS0_4arch9wavefront6targetE0EEEvSD_: ; @_ZN7rocprim17ROCPRIM_400000_NS6detail17trampoline_kernelINS0_14default_configENS1_35radix_sort_onesweep_config_selectorIdNS0_10empty_typeEEEZNS1_34radix_sort_onesweep_global_offsetsIS3_Lb0EPKdPS5_mNS0_19identity_decomposerEEE10hipError_tT1_T2_PT3_SF_jT4_jjP12ihipStream_tbEUlT_E_NS1_11comp_targetILNS1_3genE4ELNS1_11target_archE910ELNS1_3gpuE8ELNS1_3repE0EEENS1_52radix_sort_onesweep_histogram_config_static_selectorELNS0_4arch9wavefront6targetE0EEEvSD_
; %bb.0:
	.section	.rodata,"a",@progbits
	.p2align	6, 0x0
	.amdhsa_kernel _ZN7rocprim17ROCPRIM_400000_NS6detail17trampoline_kernelINS0_14default_configENS1_35radix_sort_onesweep_config_selectorIdNS0_10empty_typeEEEZNS1_34radix_sort_onesweep_global_offsetsIS3_Lb0EPKdPS5_mNS0_19identity_decomposerEEE10hipError_tT1_T2_PT3_SF_jT4_jjP12ihipStream_tbEUlT_E_NS1_11comp_targetILNS1_3genE4ELNS1_11target_archE910ELNS1_3gpuE8ELNS1_3repE0EEENS1_52radix_sort_onesweep_histogram_config_static_selectorELNS0_4arch9wavefront6targetE0EEEvSD_
		.amdhsa_group_segment_fixed_size 0
		.amdhsa_private_segment_fixed_size 0
		.amdhsa_kernarg_size 48
		.amdhsa_user_sgpr_count 2
		.amdhsa_user_sgpr_dispatch_ptr 0
		.amdhsa_user_sgpr_queue_ptr 0
		.amdhsa_user_sgpr_kernarg_segment_ptr 1
		.amdhsa_user_sgpr_dispatch_id 0
		.amdhsa_user_sgpr_kernarg_preload_length 0
		.amdhsa_user_sgpr_kernarg_preload_offset 0
		.amdhsa_user_sgpr_private_segment_size 0
		.amdhsa_wavefront_size32 1
		.amdhsa_uses_dynamic_stack 0
		.amdhsa_enable_private_segment 0
		.amdhsa_system_sgpr_workgroup_id_x 1
		.amdhsa_system_sgpr_workgroup_id_y 0
		.amdhsa_system_sgpr_workgroup_id_z 0
		.amdhsa_system_sgpr_workgroup_info 0
		.amdhsa_system_vgpr_workitem_id 0
		.amdhsa_next_free_vgpr 1
		.amdhsa_next_free_sgpr 1
		.amdhsa_named_barrier_count 0
		.amdhsa_reserve_vcc 0
		.amdhsa_float_round_mode_32 0
		.amdhsa_float_round_mode_16_64 0
		.amdhsa_float_denorm_mode_32 3
		.amdhsa_float_denorm_mode_16_64 3
		.amdhsa_fp16_overflow 0
		.amdhsa_memory_ordered 1
		.amdhsa_forward_progress 1
		.amdhsa_inst_pref_size 0
		.amdhsa_round_robin_scheduling 0
		.amdhsa_exception_fp_ieee_invalid_op 0
		.amdhsa_exception_fp_denorm_src 0
		.amdhsa_exception_fp_ieee_div_zero 0
		.amdhsa_exception_fp_ieee_overflow 0
		.amdhsa_exception_fp_ieee_underflow 0
		.amdhsa_exception_fp_ieee_inexact 0
		.amdhsa_exception_int_div_zero 0
	.end_amdhsa_kernel
	.section	.text._ZN7rocprim17ROCPRIM_400000_NS6detail17trampoline_kernelINS0_14default_configENS1_35radix_sort_onesweep_config_selectorIdNS0_10empty_typeEEEZNS1_34radix_sort_onesweep_global_offsetsIS3_Lb0EPKdPS5_mNS0_19identity_decomposerEEE10hipError_tT1_T2_PT3_SF_jT4_jjP12ihipStream_tbEUlT_E_NS1_11comp_targetILNS1_3genE4ELNS1_11target_archE910ELNS1_3gpuE8ELNS1_3repE0EEENS1_52radix_sort_onesweep_histogram_config_static_selectorELNS0_4arch9wavefront6targetE0EEEvSD_,"axG",@progbits,_ZN7rocprim17ROCPRIM_400000_NS6detail17trampoline_kernelINS0_14default_configENS1_35radix_sort_onesweep_config_selectorIdNS0_10empty_typeEEEZNS1_34radix_sort_onesweep_global_offsetsIS3_Lb0EPKdPS5_mNS0_19identity_decomposerEEE10hipError_tT1_T2_PT3_SF_jT4_jjP12ihipStream_tbEUlT_E_NS1_11comp_targetILNS1_3genE4ELNS1_11target_archE910ELNS1_3gpuE8ELNS1_3repE0EEENS1_52radix_sort_onesweep_histogram_config_static_selectorELNS0_4arch9wavefront6targetE0EEEvSD_,comdat
.Lfunc_end1591:
	.size	_ZN7rocprim17ROCPRIM_400000_NS6detail17trampoline_kernelINS0_14default_configENS1_35radix_sort_onesweep_config_selectorIdNS0_10empty_typeEEEZNS1_34radix_sort_onesweep_global_offsetsIS3_Lb0EPKdPS5_mNS0_19identity_decomposerEEE10hipError_tT1_T2_PT3_SF_jT4_jjP12ihipStream_tbEUlT_E_NS1_11comp_targetILNS1_3genE4ELNS1_11target_archE910ELNS1_3gpuE8ELNS1_3repE0EEENS1_52radix_sort_onesweep_histogram_config_static_selectorELNS0_4arch9wavefront6targetE0EEEvSD_, .Lfunc_end1591-_ZN7rocprim17ROCPRIM_400000_NS6detail17trampoline_kernelINS0_14default_configENS1_35radix_sort_onesweep_config_selectorIdNS0_10empty_typeEEEZNS1_34radix_sort_onesweep_global_offsetsIS3_Lb0EPKdPS5_mNS0_19identity_decomposerEEE10hipError_tT1_T2_PT3_SF_jT4_jjP12ihipStream_tbEUlT_E_NS1_11comp_targetILNS1_3genE4ELNS1_11target_archE910ELNS1_3gpuE8ELNS1_3repE0EEENS1_52radix_sort_onesweep_histogram_config_static_selectorELNS0_4arch9wavefront6targetE0EEEvSD_
                                        ; -- End function
	.set _ZN7rocprim17ROCPRIM_400000_NS6detail17trampoline_kernelINS0_14default_configENS1_35radix_sort_onesweep_config_selectorIdNS0_10empty_typeEEEZNS1_34radix_sort_onesweep_global_offsetsIS3_Lb0EPKdPS5_mNS0_19identity_decomposerEEE10hipError_tT1_T2_PT3_SF_jT4_jjP12ihipStream_tbEUlT_E_NS1_11comp_targetILNS1_3genE4ELNS1_11target_archE910ELNS1_3gpuE8ELNS1_3repE0EEENS1_52radix_sort_onesweep_histogram_config_static_selectorELNS0_4arch9wavefront6targetE0EEEvSD_.num_vgpr, 0
	.set _ZN7rocprim17ROCPRIM_400000_NS6detail17trampoline_kernelINS0_14default_configENS1_35radix_sort_onesweep_config_selectorIdNS0_10empty_typeEEEZNS1_34radix_sort_onesweep_global_offsetsIS3_Lb0EPKdPS5_mNS0_19identity_decomposerEEE10hipError_tT1_T2_PT3_SF_jT4_jjP12ihipStream_tbEUlT_E_NS1_11comp_targetILNS1_3genE4ELNS1_11target_archE910ELNS1_3gpuE8ELNS1_3repE0EEENS1_52radix_sort_onesweep_histogram_config_static_selectorELNS0_4arch9wavefront6targetE0EEEvSD_.num_agpr, 0
	.set _ZN7rocprim17ROCPRIM_400000_NS6detail17trampoline_kernelINS0_14default_configENS1_35radix_sort_onesweep_config_selectorIdNS0_10empty_typeEEEZNS1_34radix_sort_onesweep_global_offsetsIS3_Lb0EPKdPS5_mNS0_19identity_decomposerEEE10hipError_tT1_T2_PT3_SF_jT4_jjP12ihipStream_tbEUlT_E_NS1_11comp_targetILNS1_3genE4ELNS1_11target_archE910ELNS1_3gpuE8ELNS1_3repE0EEENS1_52radix_sort_onesweep_histogram_config_static_selectorELNS0_4arch9wavefront6targetE0EEEvSD_.numbered_sgpr, 0
	.set _ZN7rocprim17ROCPRIM_400000_NS6detail17trampoline_kernelINS0_14default_configENS1_35radix_sort_onesweep_config_selectorIdNS0_10empty_typeEEEZNS1_34radix_sort_onesweep_global_offsetsIS3_Lb0EPKdPS5_mNS0_19identity_decomposerEEE10hipError_tT1_T2_PT3_SF_jT4_jjP12ihipStream_tbEUlT_E_NS1_11comp_targetILNS1_3genE4ELNS1_11target_archE910ELNS1_3gpuE8ELNS1_3repE0EEENS1_52radix_sort_onesweep_histogram_config_static_selectorELNS0_4arch9wavefront6targetE0EEEvSD_.num_named_barrier, 0
	.set _ZN7rocprim17ROCPRIM_400000_NS6detail17trampoline_kernelINS0_14default_configENS1_35radix_sort_onesweep_config_selectorIdNS0_10empty_typeEEEZNS1_34radix_sort_onesweep_global_offsetsIS3_Lb0EPKdPS5_mNS0_19identity_decomposerEEE10hipError_tT1_T2_PT3_SF_jT4_jjP12ihipStream_tbEUlT_E_NS1_11comp_targetILNS1_3genE4ELNS1_11target_archE910ELNS1_3gpuE8ELNS1_3repE0EEENS1_52radix_sort_onesweep_histogram_config_static_selectorELNS0_4arch9wavefront6targetE0EEEvSD_.private_seg_size, 0
	.set _ZN7rocprim17ROCPRIM_400000_NS6detail17trampoline_kernelINS0_14default_configENS1_35radix_sort_onesweep_config_selectorIdNS0_10empty_typeEEEZNS1_34radix_sort_onesweep_global_offsetsIS3_Lb0EPKdPS5_mNS0_19identity_decomposerEEE10hipError_tT1_T2_PT3_SF_jT4_jjP12ihipStream_tbEUlT_E_NS1_11comp_targetILNS1_3genE4ELNS1_11target_archE910ELNS1_3gpuE8ELNS1_3repE0EEENS1_52radix_sort_onesweep_histogram_config_static_selectorELNS0_4arch9wavefront6targetE0EEEvSD_.uses_vcc, 0
	.set _ZN7rocprim17ROCPRIM_400000_NS6detail17trampoline_kernelINS0_14default_configENS1_35radix_sort_onesweep_config_selectorIdNS0_10empty_typeEEEZNS1_34radix_sort_onesweep_global_offsetsIS3_Lb0EPKdPS5_mNS0_19identity_decomposerEEE10hipError_tT1_T2_PT3_SF_jT4_jjP12ihipStream_tbEUlT_E_NS1_11comp_targetILNS1_3genE4ELNS1_11target_archE910ELNS1_3gpuE8ELNS1_3repE0EEENS1_52radix_sort_onesweep_histogram_config_static_selectorELNS0_4arch9wavefront6targetE0EEEvSD_.uses_flat_scratch, 0
	.set _ZN7rocprim17ROCPRIM_400000_NS6detail17trampoline_kernelINS0_14default_configENS1_35radix_sort_onesweep_config_selectorIdNS0_10empty_typeEEEZNS1_34radix_sort_onesweep_global_offsetsIS3_Lb0EPKdPS5_mNS0_19identity_decomposerEEE10hipError_tT1_T2_PT3_SF_jT4_jjP12ihipStream_tbEUlT_E_NS1_11comp_targetILNS1_3genE4ELNS1_11target_archE910ELNS1_3gpuE8ELNS1_3repE0EEENS1_52radix_sort_onesweep_histogram_config_static_selectorELNS0_4arch9wavefront6targetE0EEEvSD_.has_dyn_sized_stack, 0
	.set _ZN7rocprim17ROCPRIM_400000_NS6detail17trampoline_kernelINS0_14default_configENS1_35radix_sort_onesweep_config_selectorIdNS0_10empty_typeEEEZNS1_34radix_sort_onesweep_global_offsetsIS3_Lb0EPKdPS5_mNS0_19identity_decomposerEEE10hipError_tT1_T2_PT3_SF_jT4_jjP12ihipStream_tbEUlT_E_NS1_11comp_targetILNS1_3genE4ELNS1_11target_archE910ELNS1_3gpuE8ELNS1_3repE0EEENS1_52radix_sort_onesweep_histogram_config_static_selectorELNS0_4arch9wavefront6targetE0EEEvSD_.has_recursion, 0
	.set _ZN7rocprim17ROCPRIM_400000_NS6detail17trampoline_kernelINS0_14default_configENS1_35radix_sort_onesweep_config_selectorIdNS0_10empty_typeEEEZNS1_34radix_sort_onesweep_global_offsetsIS3_Lb0EPKdPS5_mNS0_19identity_decomposerEEE10hipError_tT1_T2_PT3_SF_jT4_jjP12ihipStream_tbEUlT_E_NS1_11comp_targetILNS1_3genE4ELNS1_11target_archE910ELNS1_3gpuE8ELNS1_3repE0EEENS1_52radix_sort_onesweep_histogram_config_static_selectorELNS0_4arch9wavefront6targetE0EEEvSD_.has_indirect_call, 0
	.section	.AMDGPU.csdata,"",@progbits
; Kernel info:
; codeLenInByte = 0
; TotalNumSgprs: 0
; NumVgprs: 0
; ScratchSize: 0
; MemoryBound: 0
; FloatMode: 240
; IeeeMode: 1
; LDSByteSize: 0 bytes/workgroup (compile time only)
; SGPRBlocks: 0
; VGPRBlocks: 0
; NumSGPRsForWavesPerEU: 1
; NumVGPRsForWavesPerEU: 1
; NamedBarCnt: 0
; Occupancy: 16
; WaveLimiterHint : 0
; COMPUTE_PGM_RSRC2:SCRATCH_EN: 0
; COMPUTE_PGM_RSRC2:USER_SGPR: 2
; COMPUTE_PGM_RSRC2:TRAP_HANDLER: 0
; COMPUTE_PGM_RSRC2:TGID_X_EN: 1
; COMPUTE_PGM_RSRC2:TGID_Y_EN: 0
; COMPUTE_PGM_RSRC2:TGID_Z_EN: 0
; COMPUTE_PGM_RSRC2:TIDIG_COMP_CNT: 0
	.section	.text._ZN7rocprim17ROCPRIM_400000_NS6detail17trampoline_kernelINS0_14default_configENS1_35radix_sort_onesweep_config_selectorIdNS0_10empty_typeEEEZNS1_34radix_sort_onesweep_global_offsetsIS3_Lb0EPKdPS5_mNS0_19identity_decomposerEEE10hipError_tT1_T2_PT3_SF_jT4_jjP12ihipStream_tbEUlT_E_NS1_11comp_targetILNS1_3genE3ELNS1_11target_archE908ELNS1_3gpuE7ELNS1_3repE0EEENS1_52radix_sort_onesweep_histogram_config_static_selectorELNS0_4arch9wavefront6targetE0EEEvSD_,"axG",@progbits,_ZN7rocprim17ROCPRIM_400000_NS6detail17trampoline_kernelINS0_14default_configENS1_35radix_sort_onesweep_config_selectorIdNS0_10empty_typeEEEZNS1_34radix_sort_onesweep_global_offsetsIS3_Lb0EPKdPS5_mNS0_19identity_decomposerEEE10hipError_tT1_T2_PT3_SF_jT4_jjP12ihipStream_tbEUlT_E_NS1_11comp_targetILNS1_3genE3ELNS1_11target_archE908ELNS1_3gpuE7ELNS1_3repE0EEENS1_52radix_sort_onesweep_histogram_config_static_selectorELNS0_4arch9wavefront6targetE0EEEvSD_,comdat
	.protected	_ZN7rocprim17ROCPRIM_400000_NS6detail17trampoline_kernelINS0_14default_configENS1_35radix_sort_onesweep_config_selectorIdNS0_10empty_typeEEEZNS1_34radix_sort_onesweep_global_offsetsIS3_Lb0EPKdPS5_mNS0_19identity_decomposerEEE10hipError_tT1_T2_PT3_SF_jT4_jjP12ihipStream_tbEUlT_E_NS1_11comp_targetILNS1_3genE3ELNS1_11target_archE908ELNS1_3gpuE7ELNS1_3repE0EEENS1_52radix_sort_onesweep_histogram_config_static_selectorELNS0_4arch9wavefront6targetE0EEEvSD_ ; -- Begin function _ZN7rocprim17ROCPRIM_400000_NS6detail17trampoline_kernelINS0_14default_configENS1_35radix_sort_onesweep_config_selectorIdNS0_10empty_typeEEEZNS1_34radix_sort_onesweep_global_offsetsIS3_Lb0EPKdPS5_mNS0_19identity_decomposerEEE10hipError_tT1_T2_PT3_SF_jT4_jjP12ihipStream_tbEUlT_E_NS1_11comp_targetILNS1_3genE3ELNS1_11target_archE908ELNS1_3gpuE7ELNS1_3repE0EEENS1_52radix_sort_onesweep_histogram_config_static_selectorELNS0_4arch9wavefront6targetE0EEEvSD_
	.globl	_ZN7rocprim17ROCPRIM_400000_NS6detail17trampoline_kernelINS0_14default_configENS1_35radix_sort_onesweep_config_selectorIdNS0_10empty_typeEEEZNS1_34radix_sort_onesweep_global_offsetsIS3_Lb0EPKdPS5_mNS0_19identity_decomposerEEE10hipError_tT1_T2_PT3_SF_jT4_jjP12ihipStream_tbEUlT_E_NS1_11comp_targetILNS1_3genE3ELNS1_11target_archE908ELNS1_3gpuE7ELNS1_3repE0EEENS1_52radix_sort_onesweep_histogram_config_static_selectorELNS0_4arch9wavefront6targetE0EEEvSD_
	.p2align	8
	.type	_ZN7rocprim17ROCPRIM_400000_NS6detail17trampoline_kernelINS0_14default_configENS1_35radix_sort_onesweep_config_selectorIdNS0_10empty_typeEEEZNS1_34radix_sort_onesweep_global_offsetsIS3_Lb0EPKdPS5_mNS0_19identity_decomposerEEE10hipError_tT1_T2_PT3_SF_jT4_jjP12ihipStream_tbEUlT_E_NS1_11comp_targetILNS1_3genE3ELNS1_11target_archE908ELNS1_3gpuE7ELNS1_3repE0EEENS1_52radix_sort_onesweep_histogram_config_static_selectorELNS0_4arch9wavefront6targetE0EEEvSD_,@function
_ZN7rocprim17ROCPRIM_400000_NS6detail17trampoline_kernelINS0_14default_configENS1_35radix_sort_onesweep_config_selectorIdNS0_10empty_typeEEEZNS1_34radix_sort_onesweep_global_offsetsIS3_Lb0EPKdPS5_mNS0_19identity_decomposerEEE10hipError_tT1_T2_PT3_SF_jT4_jjP12ihipStream_tbEUlT_E_NS1_11comp_targetILNS1_3genE3ELNS1_11target_archE908ELNS1_3gpuE7ELNS1_3repE0EEENS1_52radix_sort_onesweep_histogram_config_static_selectorELNS0_4arch9wavefront6targetE0EEEvSD_: ; @_ZN7rocprim17ROCPRIM_400000_NS6detail17trampoline_kernelINS0_14default_configENS1_35radix_sort_onesweep_config_selectorIdNS0_10empty_typeEEEZNS1_34radix_sort_onesweep_global_offsetsIS3_Lb0EPKdPS5_mNS0_19identity_decomposerEEE10hipError_tT1_T2_PT3_SF_jT4_jjP12ihipStream_tbEUlT_E_NS1_11comp_targetILNS1_3genE3ELNS1_11target_archE908ELNS1_3gpuE7ELNS1_3repE0EEENS1_52radix_sort_onesweep_histogram_config_static_selectorELNS0_4arch9wavefront6targetE0EEEvSD_
; %bb.0:
	.section	.rodata,"a",@progbits
	.p2align	6, 0x0
	.amdhsa_kernel _ZN7rocprim17ROCPRIM_400000_NS6detail17trampoline_kernelINS0_14default_configENS1_35radix_sort_onesweep_config_selectorIdNS0_10empty_typeEEEZNS1_34radix_sort_onesweep_global_offsetsIS3_Lb0EPKdPS5_mNS0_19identity_decomposerEEE10hipError_tT1_T2_PT3_SF_jT4_jjP12ihipStream_tbEUlT_E_NS1_11comp_targetILNS1_3genE3ELNS1_11target_archE908ELNS1_3gpuE7ELNS1_3repE0EEENS1_52radix_sort_onesweep_histogram_config_static_selectorELNS0_4arch9wavefront6targetE0EEEvSD_
		.amdhsa_group_segment_fixed_size 0
		.amdhsa_private_segment_fixed_size 0
		.amdhsa_kernarg_size 48
		.amdhsa_user_sgpr_count 2
		.amdhsa_user_sgpr_dispatch_ptr 0
		.amdhsa_user_sgpr_queue_ptr 0
		.amdhsa_user_sgpr_kernarg_segment_ptr 1
		.amdhsa_user_sgpr_dispatch_id 0
		.amdhsa_user_sgpr_kernarg_preload_length 0
		.amdhsa_user_sgpr_kernarg_preload_offset 0
		.amdhsa_user_sgpr_private_segment_size 0
		.amdhsa_wavefront_size32 1
		.amdhsa_uses_dynamic_stack 0
		.amdhsa_enable_private_segment 0
		.amdhsa_system_sgpr_workgroup_id_x 1
		.amdhsa_system_sgpr_workgroup_id_y 0
		.amdhsa_system_sgpr_workgroup_id_z 0
		.amdhsa_system_sgpr_workgroup_info 0
		.amdhsa_system_vgpr_workitem_id 0
		.amdhsa_next_free_vgpr 1
		.amdhsa_next_free_sgpr 1
		.amdhsa_named_barrier_count 0
		.amdhsa_reserve_vcc 0
		.amdhsa_float_round_mode_32 0
		.amdhsa_float_round_mode_16_64 0
		.amdhsa_float_denorm_mode_32 3
		.amdhsa_float_denorm_mode_16_64 3
		.amdhsa_fp16_overflow 0
		.amdhsa_memory_ordered 1
		.amdhsa_forward_progress 1
		.amdhsa_inst_pref_size 0
		.amdhsa_round_robin_scheduling 0
		.amdhsa_exception_fp_ieee_invalid_op 0
		.amdhsa_exception_fp_denorm_src 0
		.amdhsa_exception_fp_ieee_div_zero 0
		.amdhsa_exception_fp_ieee_overflow 0
		.amdhsa_exception_fp_ieee_underflow 0
		.amdhsa_exception_fp_ieee_inexact 0
		.amdhsa_exception_int_div_zero 0
	.end_amdhsa_kernel
	.section	.text._ZN7rocprim17ROCPRIM_400000_NS6detail17trampoline_kernelINS0_14default_configENS1_35radix_sort_onesweep_config_selectorIdNS0_10empty_typeEEEZNS1_34radix_sort_onesweep_global_offsetsIS3_Lb0EPKdPS5_mNS0_19identity_decomposerEEE10hipError_tT1_T2_PT3_SF_jT4_jjP12ihipStream_tbEUlT_E_NS1_11comp_targetILNS1_3genE3ELNS1_11target_archE908ELNS1_3gpuE7ELNS1_3repE0EEENS1_52radix_sort_onesweep_histogram_config_static_selectorELNS0_4arch9wavefront6targetE0EEEvSD_,"axG",@progbits,_ZN7rocprim17ROCPRIM_400000_NS6detail17trampoline_kernelINS0_14default_configENS1_35radix_sort_onesweep_config_selectorIdNS0_10empty_typeEEEZNS1_34radix_sort_onesweep_global_offsetsIS3_Lb0EPKdPS5_mNS0_19identity_decomposerEEE10hipError_tT1_T2_PT3_SF_jT4_jjP12ihipStream_tbEUlT_E_NS1_11comp_targetILNS1_3genE3ELNS1_11target_archE908ELNS1_3gpuE7ELNS1_3repE0EEENS1_52radix_sort_onesweep_histogram_config_static_selectorELNS0_4arch9wavefront6targetE0EEEvSD_,comdat
.Lfunc_end1592:
	.size	_ZN7rocprim17ROCPRIM_400000_NS6detail17trampoline_kernelINS0_14default_configENS1_35radix_sort_onesweep_config_selectorIdNS0_10empty_typeEEEZNS1_34radix_sort_onesweep_global_offsetsIS3_Lb0EPKdPS5_mNS0_19identity_decomposerEEE10hipError_tT1_T2_PT3_SF_jT4_jjP12ihipStream_tbEUlT_E_NS1_11comp_targetILNS1_3genE3ELNS1_11target_archE908ELNS1_3gpuE7ELNS1_3repE0EEENS1_52radix_sort_onesweep_histogram_config_static_selectorELNS0_4arch9wavefront6targetE0EEEvSD_, .Lfunc_end1592-_ZN7rocprim17ROCPRIM_400000_NS6detail17trampoline_kernelINS0_14default_configENS1_35radix_sort_onesweep_config_selectorIdNS0_10empty_typeEEEZNS1_34radix_sort_onesweep_global_offsetsIS3_Lb0EPKdPS5_mNS0_19identity_decomposerEEE10hipError_tT1_T2_PT3_SF_jT4_jjP12ihipStream_tbEUlT_E_NS1_11comp_targetILNS1_3genE3ELNS1_11target_archE908ELNS1_3gpuE7ELNS1_3repE0EEENS1_52radix_sort_onesweep_histogram_config_static_selectorELNS0_4arch9wavefront6targetE0EEEvSD_
                                        ; -- End function
	.set _ZN7rocprim17ROCPRIM_400000_NS6detail17trampoline_kernelINS0_14default_configENS1_35radix_sort_onesweep_config_selectorIdNS0_10empty_typeEEEZNS1_34radix_sort_onesweep_global_offsetsIS3_Lb0EPKdPS5_mNS0_19identity_decomposerEEE10hipError_tT1_T2_PT3_SF_jT4_jjP12ihipStream_tbEUlT_E_NS1_11comp_targetILNS1_3genE3ELNS1_11target_archE908ELNS1_3gpuE7ELNS1_3repE0EEENS1_52radix_sort_onesweep_histogram_config_static_selectorELNS0_4arch9wavefront6targetE0EEEvSD_.num_vgpr, 0
	.set _ZN7rocprim17ROCPRIM_400000_NS6detail17trampoline_kernelINS0_14default_configENS1_35radix_sort_onesweep_config_selectorIdNS0_10empty_typeEEEZNS1_34radix_sort_onesweep_global_offsetsIS3_Lb0EPKdPS5_mNS0_19identity_decomposerEEE10hipError_tT1_T2_PT3_SF_jT4_jjP12ihipStream_tbEUlT_E_NS1_11comp_targetILNS1_3genE3ELNS1_11target_archE908ELNS1_3gpuE7ELNS1_3repE0EEENS1_52radix_sort_onesweep_histogram_config_static_selectorELNS0_4arch9wavefront6targetE0EEEvSD_.num_agpr, 0
	.set _ZN7rocprim17ROCPRIM_400000_NS6detail17trampoline_kernelINS0_14default_configENS1_35radix_sort_onesweep_config_selectorIdNS0_10empty_typeEEEZNS1_34radix_sort_onesweep_global_offsetsIS3_Lb0EPKdPS5_mNS0_19identity_decomposerEEE10hipError_tT1_T2_PT3_SF_jT4_jjP12ihipStream_tbEUlT_E_NS1_11comp_targetILNS1_3genE3ELNS1_11target_archE908ELNS1_3gpuE7ELNS1_3repE0EEENS1_52radix_sort_onesweep_histogram_config_static_selectorELNS0_4arch9wavefront6targetE0EEEvSD_.numbered_sgpr, 0
	.set _ZN7rocprim17ROCPRIM_400000_NS6detail17trampoline_kernelINS0_14default_configENS1_35radix_sort_onesweep_config_selectorIdNS0_10empty_typeEEEZNS1_34radix_sort_onesweep_global_offsetsIS3_Lb0EPKdPS5_mNS0_19identity_decomposerEEE10hipError_tT1_T2_PT3_SF_jT4_jjP12ihipStream_tbEUlT_E_NS1_11comp_targetILNS1_3genE3ELNS1_11target_archE908ELNS1_3gpuE7ELNS1_3repE0EEENS1_52radix_sort_onesweep_histogram_config_static_selectorELNS0_4arch9wavefront6targetE0EEEvSD_.num_named_barrier, 0
	.set _ZN7rocprim17ROCPRIM_400000_NS6detail17trampoline_kernelINS0_14default_configENS1_35radix_sort_onesweep_config_selectorIdNS0_10empty_typeEEEZNS1_34radix_sort_onesweep_global_offsetsIS3_Lb0EPKdPS5_mNS0_19identity_decomposerEEE10hipError_tT1_T2_PT3_SF_jT4_jjP12ihipStream_tbEUlT_E_NS1_11comp_targetILNS1_3genE3ELNS1_11target_archE908ELNS1_3gpuE7ELNS1_3repE0EEENS1_52radix_sort_onesweep_histogram_config_static_selectorELNS0_4arch9wavefront6targetE0EEEvSD_.private_seg_size, 0
	.set _ZN7rocprim17ROCPRIM_400000_NS6detail17trampoline_kernelINS0_14default_configENS1_35radix_sort_onesweep_config_selectorIdNS0_10empty_typeEEEZNS1_34radix_sort_onesweep_global_offsetsIS3_Lb0EPKdPS5_mNS0_19identity_decomposerEEE10hipError_tT1_T2_PT3_SF_jT4_jjP12ihipStream_tbEUlT_E_NS1_11comp_targetILNS1_3genE3ELNS1_11target_archE908ELNS1_3gpuE7ELNS1_3repE0EEENS1_52radix_sort_onesweep_histogram_config_static_selectorELNS0_4arch9wavefront6targetE0EEEvSD_.uses_vcc, 0
	.set _ZN7rocprim17ROCPRIM_400000_NS6detail17trampoline_kernelINS0_14default_configENS1_35radix_sort_onesweep_config_selectorIdNS0_10empty_typeEEEZNS1_34radix_sort_onesweep_global_offsetsIS3_Lb0EPKdPS5_mNS0_19identity_decomposerEEE10hipError_tT1_T2_PT3_SF_jT4_jjP12ihipStream_tbEUlT_E_NS1_11comp_targetILNS1_3genE3ELNS1_11target_archE908ELNS1_3gpuE7ELNS1_3repE0EEENS1_52radix_sort_onesweep_histogram_config_static_selectorELNS0_4arch9wavefront6targetE0EEEvSD_.uses_flat_scratch, 0
	.set _ZN7rocprim17ROCPRIM_400000_NS6detail17trampoline_kernelINS0_14default_configENS1_35radix_sort_onesweep_config_selectorIdNS0_10empty_typeEEEZNS1_34radix_sort_onesweep_global_offsetsIS3_Lb0EPKdPS5_mNS0_19identity_decomposerEEE10hipError_tT1_T2_PT3_SF_jT4_jjP12ihipStream_tbEUlT_E_NS1_11comp_targetILNS1_3genE3ELNS1_11target_archE908ELNS1_3gpuE7ELNS1_3repE0EEENS1_52radix_sort_onesweep_histogram_config_static_selectorELNS0_4arch9wavefront6targetE0EEEvSD_.has_dyn_sized_stack, 0
	.set _ZN7rocprim17ROCPRIM_400000_NS6detail17trampoline_kernelINS0_14default_configENS1_35radix_sort_onesweep_config_selectorIdNS0_10empty_typeEEEZNS1_34radix_sort_onesweep_global_offsetsIS3_Lb0EPKdPS5_mNS0_19identity_decomposerEEE10hipError_tT1_T2_PT3_SF_jT4_jjP12ihipStream_tbEUlT_E_NS1_11comp_targetILNS1_3genE3ELNS1_11target_archE908ELNS1_3gpuE7ELNS1_3repE0EEENS1_52radix_sort_onesweep_histogram_config_static_selectorELNS0_4arch9wavefront6targetE0EEEvSD_.has_recursion, 0
	.set _ZN7rocprim17ROCPRIM_400000_NS6detail17trampoline_kernelINS0_14default_configENS1_35radix_sort_onesweep_config_selectorIdNS0_10empty_typeEEEZNS1_34radix_sort_onesweep_global_offsetsIS3_Lb0EPKdPS5_mNS0_19identity_decomposerEEE10hipError_tT1_T2_PT3_SF_jT4_jjP12ihipStream_tbEUlT_E_NS1_11comp_targetILNS1_3genE3ELNS1_11target_archE908ELNS1_3gpuE7ELNS1_3repE0EEENS1_52radix_sort_onesweep_histogram_config_static_selectorELNS0_4arch9wavefront6targetE0EEEvSD_.has_indirect_call, 0
	.section	.AMDGPU.csdata,"",@progbits
; Kernel info:
; codeLenInByte = 0
; TotalNumSgprs: 0
; NumVgprs: 0
; ScratchSize: 0
; MemoryBound: 0
; FloatMode: 240
; IeeeMode: 1
; LDSByteSize: 0 bytes/workgroup (compile time only)
; SGPRBlocks: 0
; VGPRBlocks: 0
; NumSGPRsForWavesPerEU: 1
; NumVGPRsForWavesPerEU: 1
; NamedBarCnt: 0
; Occupancy: 16
; WaveLimiterHint : 0
; COMPUTE_PGM_RSRC2:SCRATCH_EN: 0
; COMPUTE_PGM_RSRC2:USER_SGPR: 2
; COMPUTE_PGM_RSRC2:TRAP_HANDLER: 0
; COMPUTE_PGM_RSRC2:TGID_X_EN: 1
; COMPUTE_PGM_RSRC2:TGID_Y_EN: 0
; COMPUTE_PGM_RSRC2:TGID_Z_EN: 0
; COMPUTE_PGM_RSRC2:TIDIG_COMP_CNT: 0
	.section	.text._ZN7rocprim17ROCPRIM_400000_NS6detail17trampoline_kernelINS0_14default_configENS1_35radix_sort_onesweep_config_selectorIdNS0_10empty_typeEEEZNS1_34radix_sort_onesweep_global_offsetsIS3_Lb0EPKdPS5_mNS0_19identity_decomposerEEE10hipError_tT1_T2_PT3_SF_jT4_jjP12ihipStream_tbEUlT_E_NS1_11comp_targetILNS1_3genE10ELNS1_11target_archE1201ELNS1_3gpuE5ELNS1_3repE0EEENS1_52radix_sort_onesweep_histogram_config_static_selectorELNS0_4arch9wavefront6targetE0EEEvSD_,"axG",@progbits,_ZN7rocprim17ROCPRIM_400000_NS6detail17trampoline_kernelINS0_14default_configENS1_35radix_sort_onesweep_config_selectorIdNS0_10empty_typeEEEZNS1_34radix_sort_onesweep_global_offsetsIS3_Lb0EPKdPS5_mNS0_19identity_decomposerEEE10hipError_tT1_T2_PT3_SF_jT4_jjP12ihipStream_tbEUlT_E_NS1_11comp_targetILNS1_3genE10ELNS1_11target_archE1201ELNS1_3gpuE5ELNS1_3repE0EEENS1_52radix_sort_onesweep_histogram_config_static_selectorELNS0_4arch9wavefront6targetE0EEEvSD_,comdat
	.protected	_ZN7rocprim17ROCPRIM_400000_NS6detail17trampoline_kernelINS0_14default_configENS1_35radix_sort_onesweep_config_selectorIdNS0_10empty_typeEEEZNS1_34radix_sort_onesweep_global_offsetsIS3_Lb0EPKdPS5_mNS0_19identity_decomposerEEE10hipError_tT1_T2_PT3_SF_jT4_jjP12ihipStream_tbEUlT_E_NS1_11comp_targetILNS1_3genE10ELNS1_11target_archE1201ELNS1_3gpuE5ELNS1_3repE0EEENS1_52radix_sort_onesweep_histogram_config_static_selectorELNS0_4arch9wavefront6targetE0EEEvSD_ ; -- Begin function _ZN7rocprim17ROCPRIM_400000_NS6detail17trampoline_kernelINS0_14default_configENS1_35radix_sort_onesweep_config_selectorIdNS0_10empty_typeEEEZNS1_34radix_sort_onesweep_global_offsetsIS3_Lb0EPKdPS5_mNS0_19identity_decomposerEEE10hipError_tT1_T2_PT3_SF_jT4_jjP12ihipStream_tbEUlT_E_NS1_11comp_targetILNS1_3genE10ELNS1_11target_archE1201ELNS1_3gpuE5ELNS1_3repE0EEENS1_52radix_sort_onesweep_histogram_config_static_selectorELNS0_4arch9wavefront6targetE0EEEvSD_
	.globl	_ZN7rocprim17ROCPRIM_400000_NS6detail17trampoline_kernelINS0_14default_configENS1_35radix_sort_onesweep_config_selectorIdNS0_10empty_typeEEEZNS1_34radix_sort_onesweep_global_offsetsIS3_Lb0EPKdPS5_mNS0_19identity_decomposerEEE10hipError_tT1_T2_PT3_SF_jT4_jjP12ihipStream_tbEUlT_E_NS1_11comp_targetILNS1_3genE10ELNS1_11target_archE1201ELNS1_3gpuE5ELNS1_3repE0EEENS1_52radix_sort_onesweep_histogram_config_static_selectorELNS0_4arch9wavefront6targetE0EEEvSD_
	.p2align	8
	.type	_ZN7rocprim17ROCPRIM_400000_NS6detail17trampoline_kernelINS0_14default_configENS1_35radix_sort_onesweep_config_selectorIdNS0_10empty_typeEEEZNS1_34radix_sort_onesweep_global_offsetsIS3_Lb0EPKdPS5_mNS0_19identity_decomposerEEE10hipError_tT1_T2_PT3_SF_jT4_jjP12ihipStream_tbEUlT_E_NS1_11comp_targetILNS1_3genE10ELNS1_11target_archE1201ELNS1_3gpuE5ELNS1_3repE0EEENS1_52radix_sort_onesweep_histogram_config_static_selectorELNS0_4arch9wavefront6targetE0EEEvSD_,@function
_ZN7rocprim17ROCPRIM_400000_NS6detail17trampoline_kernelINS0_14default_configENS1_35radix_sort_onesweep_config_selectorIdNS0_10empty_typeEEEZNS1_34radix_sort_onesweep_global_offsetsIS3_Lb0EPKdPS5_mNS0_19identity_decomposerEEE10hipError_tT1_T2_PT3_SF_jT4_jjP12ihipStream_tbEUlT_E_NS1_11comp_targetILNS1_3genE10ELNS1_11target_archE1201ELNS1_3gpuE5ELNS1_3repE0EEENS1_52radix_sort_onesweep_histogram_config_static_selectorELNS0_4arch9wavefront6targetE0EEEvSD_: ; @_ZN7rocprim17ROCPRIM_400000_NS6detail17trampoline_kernelINS0_14default_configENS1_35radix_sort_onesweep_config_selectorIdNS0_10empty_typeEEEZNS1_34radix_sort_onesweep_global_offsetsIS3_Lb0EPKdPS5_mNS0_19identity_decomposerEEE10hipError_tT1_T2_PT3_SF_jT4_jjP12ihipStream_tbEUlT_E_NS1_11comp_targetILNS1_3genE10ELNS1_11target_archE1201ELNS1_3gpuE5ELNS1_3repE0EEENS1_52radix_sort_onesweep_histogram_config_static_selectorELNS0_4arch9wavefront6targetE0EEEvSD_
; %bb.0:
	.section	.rodata,"a",@progbits
	.p2align	6, 0x0
	.amdhsa_kernel _ZN7rocprim17ROCPRIM_400000_NS6detail17trampoline_kernelINS0_14default_configENS1_35radix_sort_onesweep_config_selectorIdNS0_10empty_typeEEEZNS1_34radix_sort_onesweep_global_offsetsIS3_Lb0EPKdPS5_mNS0_19identity_decomposerEEE10hipError_tT1_T2_PT3_SF_jT4_jjP12ihipStream_tbEUlT_E_NS1_11comp_targetILNS1_3genE10ELNS1_11target_archE1201ELNS1_3gpuE5ELNS1_3repE0EEENS1_52radix_sort_onesweep_histogram_config_static_selectorELNS0_4arch9wavefront6targetE0EEEvSD_
		.amdhsa_group_segment_fixed_size 0
		.amdhsa_private_segment_fixed_size 0
		.amdhsa_kernarg_size 48
		.amdhsa_user_sgpr_count 2
		.amdhsa_user_sgpr_dispatch_ptr 0
		.amdhsa_user_sgpr_queue_ptr 0
		.amdhsa_user_sgpr_kernarg_segment_ptr 1
		.amdhsa_user_sgpr_dispatch_id 0
		.amdhsa_user_sgpr_kernarg_preload_length 0
		.amdhsa_user_sgpr_kernarg_preload_offset 0
		.amdhsa_user_sgpr_private_segment_size 0
		.amdhsa_wavefront_size32 1
		.amdhsa_uses_dynamic_stack 0
		.amdhsa_enable_private_segment 0
		.amdhsa_system_sgpr_workgroup_id_x 1
		.amdhsa_system_sgpr_workgroup_id_y 0
		.amdhsa_system_sgpr_workgroup_id_z 0
		.amdhsa_system_sgpr_workgroup_info 0
		.amdhsa_system_vgpr_workitem_id 0
		.amdhsa_next_free_vgpr 1
		.amdhsa_next_free_sgpr 1
		.amdhsa_named_barrier_count 0
		.amdhsa_reserve_vcc 0
		.amdhsa_float_round_mode_32 0
		.amdhsa_float_round_mode_16_64 0
		.amdhsa_float_denorm_mode_32 3
		.amdhsa_float_denorm_mode_16_64 3
		.amdhsa_fp16_overflow 0
		.amdhsa_memory_ordered 1
		.amdhsa_forward_progress 1
		.amdhsa_inst_pref_size 0
		.amdhsa_round_robin_scheduling 0
		.amdhsa_exception_fp_ieee_invalid_op 0
		.amdhsa_exception_fp_denorm_src 0
		.amdhsa_exception_fp_ieee_div_zero 0
		.amdhsa_exception_fp_ieee_overflow 0
		.amdhsa_exception_fp_ieee_underflow 0
		.amdhsa_exception_fp_ieee_inexact 0
		.amdhsa_exception_int_div_zero 0
	.end_amdhsa_kernel
	.section	.text._ZN7rocprim17ROCPRIM_400000_NS6detail17trampoline_kernelINS0_14default_configENS1_35radix_sort_onesweep_config_selectorIdNS0_10empty_typeEEEZNS1_34radix_sort_onesweep_global_offsetsIS3_Lb0EPKdPS5_mNS0_19identity_decomposerEEE10hipError_tT1_T2_PT3_SF_jT4_jjP12ihipStream_tbEUlT_E_NS1_11comp_targetILNS1_3genE10ELNS1_11target_archE1201ELNS1_3gpuE5ELNS1_3repE0EEENS1_52radix_sort_onesweep_histogram_config_static_selectorELNS0_4arch9wavefront6targetE0EEEvSD_,"axG",@progbits,_ZN7rocprim17ROCPRIM_400000_NS6detail17trampoline_kernelINS0_14default_configENS1_35radix_sort_onesweep_config_selectorIdNS0_10empty_typeEEEZNS1_34radix_sort_onesweep_global_offsetsIS3_Lb0EPKdPS5_mNS0_19identity_decomposerEEE10hipError_tT1_T2_PT3_SF_jT4_jjP12ihipStream_tbEUlT_E_NS1_11comp_targetILNS1_3genE10ELNS1_11target_archE1201ELNS1_3gpuE5ELNS1_3repE0EEENS1_52radix_sort_onesweep_histogram_config_static_selectorELNS0_4arch9wavefront6targetE0EEEvSD_,comdat
.Lfunc_end1593:
	.size	_ZN7rocprim17ROCPRIM_400000_NS6detail17trampoline_kernelINS0_14default_configENS1_35radix_sort_onesweep_config_selectorIdNS0_10empty_typeEEEZNS1_34radix_sort_onesweep_global_offsetsIS3_Lb0EPKdPS5_mNS0_19identity_decomposerEEE10hipError_tT1_T2_PT3_SF_jT4_jjP12ihipStream_tbEUlT_E_NS1_11comp_targetILNS1_3genE10ELNS1_11target_archE1201ELNS1_3gpuE5ELNS1_3repE0EEENS1_52radix_sort_onesweep_histogram_config_static_selectorELNS0_4arch9wavefront6targetE0EEEvSD_, .Lfunc_end1593-_ZN7rocprim17ROCPRIM_400000_NS6detail17trampoline_kernelINS0_14default_configENS1_35radix_sort_onesweep_config_selectorIdNS0_10empty_typeEEEZNS1_34radix_sort_onesweep_global_offsetsIS3_Lb0EPKdPS5_mNS0_19identity_decomposerEEE10hipError_tT1_T2_PT3_SF_jT4_jjP12ihipStream_tbEUlT_E_NS1_11comp_targetILNS1_3genE10ELNS1_11target_archE1201ELNS1_3gpuE5ELNS1_3repE0EEENS1_52radix_sort_onesweep_histogram_config_static_selectorELNS0_4arch9wavefront6targetE0EEEvSD_
                                        ; -- End function
	.set _ZN7rocprim17ROCPRIM_400000_NS6detail17trampoline_kernelINS0_14default_configENS1_35radix_sort_onesweep_config_selectorIdNS0_10empty_typeEEEZNS1_34radix_sort_onesweep_global_offsetsIS3_Lb0EPKdPS5_mNS0_19identity_decomposerEEE10hipError_tT1_T2_PT3_SF_jT4_jjP12ihipStream_tbEUlT_E_NS1_11comp_targetILNS1_3genE10ELNS1_11target_archE1201ELNS1_3gpuE5ELNS1_3repE0EEENS1_52radix_sort_onesweep_histogram_config_static_selectorELNS0_4arch9wavefront6targetE0EEEvSD_.num_vgpr, 0
	.set _ZN7rocprim17ROCPRIM_400000_NS6detail17trampoline_kernelINS0_14default_configENS1_35radix_sort_onesweep_config_selectorIdNS0_10empty_typeEEEZNS1_34radix_sort_onesweep_global_offsetsIS3_Lb0EPKdPS5_mNS0_19identity_decomposerEEE10hipError_tT1_T2_PT3_SF_jT4_jjP12ihipStream_tbEUlT_E_NS1_11comp_targetILNS1_3genE10ELNS1_11target_archE1201ELNS1_3gpuE5ELNS1_3repE0EEENS1_52radix_sort_onesweep_histogram_config_static_selectorELNS0_4arch9wavefront6targetE0EEEvSD_.num_agpr, 0
	.set _ZN7rocprim17ROCPRIM_400000_NS6detail17trampoline_kernelINS0_14default_configENS1_35radix_sort_onesweep_config_selectorIdNS0_10empty_typeEEEZNS1_34radix_sort_onesweep_global_offsetsIS3_Lb0EPKdPS5_mNS0_19identity_decomposerEEE10hipError_tT1_T2_PT3_SF_jT4_jjP12ihipStream_tbEUlT_E_NS1_11comp_targetILNS1_3genE10ELNS1_11target_archE1201ELNS1_3gpuE5ELNS1_3repE0EEENS1_52radix_sort_onesweep_histogram_config_static_selectorELNS0_4arch9wavefront6targetE0EEEvSD_.numbered_sgpr, 0
	.set _ZN7rocprim17ROCPRIM_400000_NS6detail17trampoline_kernelINS0_14default_configENS1_35radix_sort_onesweep_config_selectorIdNS0_10empty_typeEEEZNS1_34radix_sort_onesweep_global_offsetsIS3_Lb0EPKdPS5_mNS0_19identity_decomposerEEE10hipError_tT1_T2_PT3_SF_jT4_jjP12ihipStream_tbEUlT_E_NS1_11comp_targetILNS1_3genE10ELNS1_11target_archE1201ELNS1_3gpuE5ELNS1_3repE0EEENS1_52radix_sort_onesweep_histogram_config_static_selectorELNS0_4arch9wavefront6targetE0EEEvSD_.num_named_barrier, 0
	.set _ZN7rocprim17ROCPRIM_400000_NS6detail17trampoline_kernelINS0_14default_configENS1_35radix_sort_onesweep_config_selectorIdNS0_10empty_typeEEEZNS1_34radix_sort_onesweep_global_offsetsIS3_Lb0EPKdPS5_mNS0_19identity_decomposerEEE10hipError_tT1_T2_PT3_SF_jT4_jjP12ihipStream_tbEUlT_E_NS1_11comp_targetILNS1_3genE10ELNS1_11target_archE1201ELNS1_3gpuE5ELNS1_3repE0EEENS1_52radix_sort_onesweep_histogram_config_static_selectorELNS0_4arch9wavefront6targetE0EEEvSD_.private_seg_size, 0
	.set _ZN7rocprim17ROCPRIM_400000_NS6detail17trampoline_kernelINS0_14default_configENS1_35radix_sort_onesweep_config_selectorIdNS0_10empty_typeEEEZNS1_34radix_sort_onesweep_global_offsetsIS3_Lb0EPKdPS5_mNS0_19identity_decomposerEEE10hipError_tT1_T2_PT3_SF_jT4_jjP12ihipStream_tbEUlT_E_NS1_11comp_targetILNS1_3genE10ELNS1_11target_archE1201ELNS1_3gpuE5ELNS1_3repE0EEENS1_52radix_sort_onesweep_histogram_config_static_selectorELNS0_4arch9wavefront6targetE0EEEvSD_.uses_vcc, 0
	.set _ZN7rocprim17ROCPRIM_400000_NS6detail17trampoline_kernelINS0_14default_configENS1_35radix_sort_onesweep_config_selectorIdNS0_10empty_typeEEEZNS1_34radix_sort_onesweep_global_offsetsIS3_Lb0EPKdPS5_mNS0_19identity_decomposerEEE10hipError_tT1_T2_PT3_SF_jT4_jjP12ihipStream_tbEUlT_E_NS1_11comp_targetILNS1_3genE10ELNS1_11target_archE1201ELNS1_3gpuE5ELNS1_3repE0EEENS1_52radix_sort_onesweep_histogram_config_static_selectorELNS0_4arch9wavefront6targetE0EEEvSD_.uses_flat_scratch, 0
	.set _ZN7rocprim17ROCPRIM_400000_NS6detail17trampoline_kernelINS0_14default_configENS1_35radix_sort_onesweep_config_selectorIdNS0_10empty_typeEEEZNS1_34radix_sort_onesweep_global_offsetsIS3_Lb0EPKdPS5_mNS0_19identity_decomposerEEE10hipError_tT1_T2_PT3_SF_jT4_jjP12ihipStream_tbEUlT_E_NS1_11comp_targetILNS1_3genE10ELNS1_11target_archE1201ELNS1_3gpuE5ELNS1_3repE0EEENS1_52radix_sort_onesweep_histogram_config_static_selectorELNS0_4arch9wavefront6targetE0EEEvSD_.has_dyn_sized_stack, 0
	.set _ZN7rocprim17ROCPRIM_400000_NS6detail17trampoline_kernelINS0_14default_configENS1_35radix_sort_onesweep_config_selectorIdNS0_10empty_typeEEEZNS1_34radix_sort_onesweep_global_offsetsIS3_Lb0EPKdPS5_mNS0_19identity_decomposerEEE10hipError_tT1_T2_PT3_SF_jT4_jjP12ihipStream_tbEUlT_E_NS1_11comp_targetILNS1_3genE10ELNS1_11target_archE1201ELNS1_3gpuE5ELNS1_3repE0EEENS1_52radix_sort_onesweep_histogram_config_static_selectorELNS0_4arch9wavefront6targetE0EEEvSD_.has_recursion, 0
	.set _ZN7rocprim17ROCPRIM_400000_NS6detail17trampoline_kernelINS0_14default_configENS1_35radix_sort_onesweep_config_selectorIdNS0_10empty_typeEEEZNS1_34radix_sort_onesweep_global_offsetsIS3_Lb0EPKdPS5_mNS0_19identity_decomposerEEE10hipError_tT1_T2_PT3_SF_jT4_jjP12ihipStream_tbEUlT_E_NS1_11comp_targetILNS1_3genE10ELNS1_11target_archE1201ELNS1_3gpuE5ELNS1_3repE0EEENS1_52radix_sort_onesweep_histogram_config_static_selectorELNS0_4arch9wavefront6targetE0EEEvSD_.has_indirect_call, 0
	.section	.AMDGPU.csdata,"",@progbits
; Kernel info:
; codeLenInByte = 0
; TotalNumSgprs: 0
; NumVgprs: 0
; ScratchSize: 0
; MemoryBound: 0
; FloatMode: 240
; IeeeMode: 1
; LDSByteSize: 0 bytes/workgroup (compile time only)
; SGPRBlocks: 0
; VGPRBlocks: 0
; NumSGPRsForWavesPerEU: 1
; NumVGPRsForWavesPerEU: 1
; NamedBarCnt: 0
; Occupancy: 16
; WaveLimiterHint : 0
; COMPUTE_PGM_RSRC2:SCRATCH_EN: 0
; COMPUTE_PGM_RSRC2:USER_SGPR: 2
; COMPUTE_PGM_RSRC2:TRAP_HANDLER: 0
; COMPUTE_PGM_RSRC2:TGID_X_EN: 1
; COMPUTE_PGM_RSRC2:TGID_Y_EN: 0
; COMPUTE_PGM_RSRC2:TGID_Z_EN: 0
; COMPUTE_PGM_RSRC2:TIDIG_COMP_CNT: 0
	.section	.text._ZN7rocprim17ROCPRIM_400000_NS6detail17trampoline_kernelINS0_14default_configENS1_35radix_sort_onesweep_config_selectorIdNS0_10empty_typeEEEZNS1_34radix_sort_onesweep_global_offsetsIS3_Lb0EPKdPS5_mNS0_19identity_decomposerEEE10hipError_tT1_T2_PT3_SF_jT4_jjP12ihipStream_tbEUlT_E_NS1_11comp_targetILNS1_3genE9ELNS1_11target_archE1100ELNS1_3gpuE3ELNS1_3repE0EEENS1_52radix_sort_onesweep_histogram_config_static_selectorELNS0_4arch9wavefront6targetE0EEEvSD_,"axG",@progbits,_ZN7rocprim17ROCPRIM_400000_NS6detail17trampoline_kernelINS0_14default_configENS1_35radix_sort_onesweep_config_selectorIdNS0_10empty_typeEEEZNS1_34radix_sort_onesweep_global_offsetsIS3_Lb0EPKdPS5_mNS0_19identity_decomposerEEE10hipError_tT1_T2_PT3_SF_jT4_jjP12ihipStream_tbEUlT_E_NS1_11comp_targetILNS1_3genE9ELNS1_11target_archE1100ELNS1_3gpuE3ELNS1_3repE0EEENS1_52radix_sort_onesweep_histogram_config_static_selectorELNS0_4arch9wavefront6targetE0EEEvSD_,comdat
	.protected	_ZN7rocprim17ROCPRIM_400000_NS6detail17trampoline_kernelINS0_14default_configENS1_35radix_sort_onesweep_config_selectorIdNS0_10empty_typeEEEZNS1_34radix_sort_onesweep_global_offsetsIS3_Lb0EPKdPS5_mNS0_19identity_decomposerEEE10hipError_tT1_T2_PT3_SF_jT4_jjP12ihipStream_tbEUlT_E_NS1_11comp_targetILNS1_3genE9ELNS1_11target_archE1100ELNS1_3gpuE3ELNS1_3repE0EEENS1_52radix_sort_onesweep_histogram_config_static_selectorELNS0_4arch9wavefront6targetE0EEEvSD_ ; -- Begin function _ZN7rocprim17ROCPRIM_400000_NS6detail17trampoline_kernelINS0_14default_configENS1_35radix_sort_onesweep_config_selectorIdNS0_10empty_typeEEEZNS1_34radix_sort_onesweep_global_offsetsIS3_Lb0EPKdPS5_mNS0_19identity_decomposerEEE10hipError_tT1_T2_PT3_SF_jT4_jjP12ihipStream_tbEUlT_E_NS1_11comp_targetILNS1_3genE9ELNS1_11target_archE1100ELNS1_3gpuE3ELNS1_3repE0EEENS1_52radix_sort_onesweep_histogram_config_static_selectorELNS0_4arch9wavefront6targetE0EEEvSD_
	.globl	_ZN7rocprim17ROCPRIM_400000_NS6detail17trampoline_kernelINS0_14default_configENS1_35radix_sort_onesweep_config_selectorIdNS0_10empty_typeEEEZNS1_34radix_sort_onesweep_global_offsetsIS3_Lb0EPKdPS5_mNS0_19identity_decomposerEEE10hipError_tT1_T2_PT3_SF_jT4_jjP12ihipStream_tbEUlT_E_NS1_11comp_targetILNS1_3genE9ELNS1_11target_archE1100ELNS1_3gpuE3ELNS1_3repE0EEENS1_52radix_sort_onesweep_histogram_config_static_selectorELNS0_4arch9wavefront6targetE0EEEvSD_
	.p2align	8
	.type	_ZN7rocprim17ROCPRIM_400000_NS6detail17trampoline_kernelINS0_14default_configENS1_35radix_sort_onesweep_config_selectorIdNS0_10empty_typeEEEZNS1_34radix_sort_onesweep_global_offsetsIS3_Lb0EPKdPS5_mNS0_19identity_decomposerEEE10hipError_tT1_T2_PT3_SF_jT4_jjP12ihipStream_tbEUlT_E_NS1_11comp_targetILNS1_3genE9ELNS1_11target_archE1100ELNS1_3gpuE3ELNS1_3repE0EEENS1_52radix_sort_onesweep_histogram_config_static_selectorELNS0_4arch9wavefront6targetE0EEEvSD_,@function
_ZN7rocprim17ROCPRIM_400000_NS6detail17trampoline_kernelINS0_14default_configENS1_35radix_sort_onesweep_config_selectorIdNS0_10empty_typeEEEZNS1_34radix_sort_onesweep_global_offsetsIS3_Lb0EPKdPS5_mNS0_19identity_decomposerEEE10hipError_tT1_T2_PT3_SF_jT4_jjP12ihipStream_tbEUlT_E_NS1_11comp_targetILNS1_3genE9ELNS1_11target_archE1100ELNS1_3gpuE3ELNS1_3repE0EEENS1_52radix_sort_onesweep_histogram_config_static_selectorELNS0_4arch9wavefront6targetE0EEEvSD_: ; @_ZN7rocprim17ROCPRIM_400000_NS6detail17trampoline_kernelINS0_14default_configENS1_35radix_sort_onesweep_config_selectorIdNS0_10empty_typeEEEZNS1_34radix_sort_onesweep_global_offsetsIS3_Lb0EPKdPS5_mNS0_19identity_decomposerEEE10hipError_tT1_T2_PT3_SF_jT4_jjP12ihipStream_tbEUlT_E_NS1_11comp_targetILNS1_3genE9ELNS1_11target_archE1100ELNS1_3gpuE3ELNS1_3repE0EEENS1_52radix_sort_onesweep_histogram_config_static_selectorELNS0_4arch9wavefront6targetE0EEEvSD_
; %bb.0:
	.section	.rodata,"a",@progbits
	.p2align	6, 0x0
	.amdhsa_kernel _ZN7rocprim17ROCPRIM_400000_NS6detail17trampoline_kernelINS0_14default_configENS1_35radix_sort_onesweep_config_selectorIdNS0_10empty_typeEEEZNS1_34radix_sort_onesweep_global_offsetsIS3_Lb0EPKdPS5_mNS0_19identity_decomposerEEE10hipError_tT1_T2_PT3_SF_jT4_jjP12ihipStream_tbEUlT_E_NS1_11comp_targetILNS1_3genE9ELNS1_11target_archE1100ELNS1_3gpuE3ELNS1_3repE0EEENS1_52radix_sort_onesweep_histogram_config_static_selectorELNS0_4arch9wavefront6targetE0EEEvSD_
		.amdhsa_group_segment_fixed_size 0
		.amdhsa_private_segment_fixed_size 0
		.amdhsa_kernarg_size 48
		.amdhsa_user_sgpr_count 2
		.amdhsa_user_sgpr_dispatch_ptr 0
		.amdhsa_user_sgpr_queue_ptr 0
		.amdhsa_user_sgpr_kernarg_segment_ptr 1
		.amdhsa_user_sgpr_dispatch_id 0
		.amdhsa_user_sgpr_kernarg_preload_length 0
		.amdhsa_user_sgpr_kernarg_preload_offset 0
		.amdhsa_user_sgpr_private_segment_size 0
		.amdhsa_wavefront_size32 1
		.amdhsa_uses_dynamic_stack 0
		.amdhsa_enable_private_segment 0
		.amdhsa_system_sgpr_workgroup_id_x 1
		.amdhsa_system_sgpr_workgroup_id_y 0
		.amdhsa_system_sgpr_workgroup_id_z 0
		.amdhsa_system_sgpr_workgroup_info 0
		.amdhsa_system_vgpr_workitem_id 0
		.amdhsa_next_free_vgpr 1
		.amdhsa_next_free_sgpr 1
		.amdhsa_named_barrier_count 0
		.amdhsa_reserve_vcc 0
		.amdhsa_float_round_mode_32 0
		.amdhsa_float_round_mode_16_64 0
		.amdhsa_float_denorm_mode_32 3
		.amdhsa_float_denorm_mode_16_64 3
		.amdhsa_fp16_overflow 0
		.amdhsa_memory_ordered 1
		.amdhsa_forward_progress 1
		.amdhsa_inst_pref_size 0
		.amdhsa_round_robin_scheduling 0
		.amdhsa_exception_fp_ieee_invalid_op 0
		.amdhsa_exception_fp_denorm_src 0
		.amdhsa_exception_fp_ieee_div_zero 0
		.amdhsa_exception_fp_ieee_overflow 0
		.amdhsa_exception_fp_ieee_underflow 0
		.amdhsa_exception_fp_ieee_inexact 0
		.amdhsa_exception_int_div_zero 0
	.end_amdhsa_kernel
	.section	.text._ZN7rocprim17ROCPRIM_400000_NS6detail17trampoline_kernelINS0_14default_configENS1_35radix_sort_onesweep_config_selectorIdNS0_10empty_typeEEEZNS1_34radix_sort_onesweep_global_offsetsIS3_Lb0EPKdPS5_mNS0_19identity_decomposerEEE10hipError_tT1_T2_PT3_SF_jT4_jjP12ihipStream_tbEUlT_E_NS1_11comp_targetILNS1_3genE9ELNS1_11target_archE1100ELNS1_3gpuE3ELNS1_3repE0EEENS1_52radix_sort_onesweep_histogram_config_static_selectorELNS0_4arch9wavefront6targetE0EEEvSD_,"axG",@progbits,_ZN7rocprim17ROCPRIM_400000_NS6detail17trampoline_kernelINS0_14default_configENS1_35radix_sort_onesweep_config_selectorIdNS0_10empty_typeEEEZNS1_34radix_sort_onesweep_global_offsetsIS3_Lb0EPKdPS5_mNS0_19identity_decomposerEEE10hipError_tT1_T2_PT3_SF_jT4_jjP12ihipStream_tbEUlT_E_NS1_11comp_targetILNS1_3genE9ELNS1_11target_archE1100ELNS1_3gpuE3ELNS1_3repE0EEENS1_52radix_sort_onesweep_histogram_config_static_selectorELNS0_4arch9wavefront6targetE0EEEvSD_,comdat
.Lfunc_end1594:
	.size	_ZN7rocprim17ROCPRIM_400000_NS6detail17trampoline_kernelINS0_14default_configENS1_35radix_sort_onesweep_config_selectorIdNS0_10empty_typeEEEZNS1_34radix_sort_onesweep_global_offsetsIS3_Lb0EPKdPS5_mNS0_19identity_decomposerEEE10hipError_tT1_T2_PT3_SF_jT4_jjP12ihipStream_tbEUlT_E_NS1_11comp_targetILNS1_3genE9ELNS1_11target_archE1100ELNS1_3gpuE3ELNS1_3repE0EEENS1_52radix_sort_onesweep_histogram_config_static_selectorELNS0_4arch9wavefront6targetE0EEEvSD_, .Lfunc_end1594-_ZN7rocprim17ROCPRIM_400000_NS6detail17trampoline_kernelINS0_14default_configENS1_35radix_sort_onesweep_config_selectorIdNS0_10empty_typeEEEZNS1_34radix_sort_onesweep_global_offsetsIS3_Lb0EPKdPS5_mNS0_19identity_decomposerEEE10hipError_tT1_T2_PT3_SF_jT4_jjP12ihipStream_tbEUlT_E_NS1_11comp_targetILNS1_3genE9ELNS1_11target_archE1100ELNS1_3gpuE3ELNS1_3repE0EEENS1_52radix_sort_onesweep_histogram_config_static_selectorELNS0_4arch9wavefront6targetE0EEEvSD_
                                        ; -- End function
	.set _ZN7rocprim17ROCPRIM_400000_NS6detail17trampoline_kernelINS0_14default_configENS1_35radix_sort_onesweep_config_selectorIdNS0_10empty_typeEEEZNS1_34radix_sort_onesweep_global_offsetsIS3_Lb0EPKdPS5_mNS0_19identity_decomposerEEE10hipError_tT1_T2_PT3_SF_jT4_jjP12ihipStream_tbEUlT_E_NS1_11comp_targetILNS1_3genE9ELNS1_11target_archE1100ELNS1_3gpuE3ELNS1_3repE0EEENS1_52radix_sort_onesweep_histogram_config_static_selectorELNS0_4arch9wavefront6targetE0EEEvSD_.num_vgpr, 0
	.set _ZN7rocprim17ROCPRIM_400000_NS6detail17trampoline_kernelINS0_14default_configENS1_35radix_sort_onesweep_config_selectorIdNS0_10empty_typeEEEZNS1_34radix_sort_onesweep_global_offsetsIS3_Lb0EPKdPS5_mNS0_19identity_decomposerEEE10hipError_tT1_T2_PT3_SF_jT4_jjP12ihipStream_tbEUlT_E_NS1_11comp_targetILNS1_3genE9ELNS1_11target_archE1100ELNS1_3gpuE3ELNS1_3repE0EEENS1_52radix_sort_onesweep_histogram_config_static_selectorELNS0_4arch9wavefront6targetE0EEEvSD_.num_agpr, 0
	.set _ZN7rocprim17ROCPRIM_400000_NS6detail17trampoline_kernelINS0_14default_configENS1_35radix_sort_onesweep_config_selectorIdNS0_10empty_typeEEEZNS1_34radix_sort_onesweep_global_offsetsIS3_Lb0EPKdPS5_mNS0_19identity_decomposerEEE10hipError_tT1_T2_PT3_SF_jT4_jjP12ihipStream_tbEUlT_E_NS1_11comp_targetILNS1_3genE9ELNS1_11target_archE1100ELNS1_3gpuE3ELNS1_3repE0EEENS1_52radix_sort_onesweep_histogram_config_static_selectorELNS0_4arch9wavefront6targetE0EEEvSD_.numbered_sgpr, 0
	.set _ZN7rocprim17ROCPRIM_400000_NS6detail17trampoline_kernelINS0_14default_configENS1_35radix_sort_onesweep_config_selectorIdNS0_10empty_typeEEEZNS1_34radix_sort_onesweep_global_offsetsIS3_Lb0EPKdPS5_mNS0_19identity_decomposerEEE10hipError_tT1_T2_PT3_SF_jT4_jjP12ihipStream_tbEUlT_E_NS1_11comp_targetILNS1_3genE9ELNS1_11target_archE1100ELNS1_3gpuE3ELNS1_3repE0EEENS1_52radix_sort_onesweep_histogram_config_static_selectorELNS0_4arch9wavefront6targetE0EEEvSD_.num_named_barrier, 0
	.set _ZN7rocprim17ROCPRIM_400000_NS6detail17trampoline_kernelINS0_14default_configENS1_35radix_sort_onesweep_config_selectorIdNS0_10empty_typeEEEZNS1_34radix_sort_onesweep_global_offsetsIS3_Lb0EPKdPS5_mNS0_19identity_decomposerEEE10hipError_tT1_T2_PT3_SF_jT4_jjP12ihipStream_tbEUlT_E_NS1_11comp_targetILNS1_3genE9ELNS1_11target_archE1100ELNS1_3gpuE3ELNS1_3repE0EEENS1_52radix_sort_onesweep_histogram_config_static_selectorELNS0_4arch9wavefront6targetE0EEEvSD_.private_seg_size, 0
	.set _ZN7rocprim17ROCPRIM_400000_NS6detail17trampoline_kernelINS0_14default_configENS1_35radix_sort_onesweep_config_selectorIdNS0_10empty_typeEEEZNS1_34radix_sort_onesweep_global_offsetsIS3_Lb0EPKdPS5_mNS0_19identity_decomposerEEE10hipError_tT1_T2_PT3_SF_jT4_jjP12ihipStream_tbEUlT_E_NS1_11comp_targetILNS1_3genE9ELNS1_11target_archE1100ELNS1_3gpuE3ELNS1_3repE0EEENS1_52radix_sort_onesweep_histogram_config_static_selectorELNS0_4arch9wavefront6targetE0EEEvSD_.uses_vcc, 0
	.set _ZN7rocprim17ROCPRIM_400000_NS6detail17trampoline_kernelINS0_14default_configENS1_35radix_sort_onesweep_config_selectorIdNS0_10empty_typeEEEZNS1_34radix_sort_onesweep_global_offsetsIS3_Lb0EPKdPS5_mNS0_19identity_decomposerEEE10hipError_tT1_T2_PT3_SF_jT4_jjP12ihipStream_tbEUlT_E_NS1_11comp_targetILNS1_3genE9ELNS1_11target_archE1100ELNS1_3gpuE3ELNS1_3repE0EEENS1_52radix_sort_onesweep_histogram_config_static_selectorELNS0_4arch9wavefront6targetE0EEEvSD_.uses_flat_scratch, 0
	.set _ZN7rocprim17ROCPRIM_400000_NS6detail17trampoline_kernelINS0_14default_configENS1_35radix_sort_onesweep_config_selectorIdNS0_10empty_typeEEEZNS1_34radix_sort_onesweep_global_offsetsIS3_Lb0EPKdPS5_mNS0_19identity_decomposerEEE10hipError_tT1_T2_PT3_SF_jT4_jjP12ihipStream_tbEUlT_E_NS1_11comp_targetILNS1_3genE9ELNS1_11target_archE1100ELNS1_3gpuE3ELNS1_3repE0EEENS1_52radix_sort_onesweep_histogram_config_static_selectorELNS0_4arch9wavefront6targetE0EEEvSD_.has_dyn_sized_stack, 0
	.set _ZN7rocprim17ROCPRIM_400000_NS6detail17trampoline_kernelINS0_14default_configENS1_35radix_sort_onesweep_config_selectorIdNS0_10empty_typeEEEZNS1_34radix_sort_onesweep_global_offsetsIS3_Lb0EPKdPS5_mNS0_19identity_decomposerEEE10hipError_tT1_T2_PT3_SF_jT4_jjP12ihipStream_tbEUlT_E_NS1_11comp_targetILNS1_3genE9ELNS1_11target_archE1100ELNS1_3gpuE3ELNS1_3repE0EEENS1_52radix_sort_onesweep_histogram_config_static_selectorELNS0_4arch9wavefront6targetE0EEEvSD_.has_recursion, 0
	.set _ZN7rocprim17ROCPRIM_400000_NS6detail17trampoline_kernelINS0_14default_configENS1_35radix_sort_onesweep_config_selectorIdNS0_10empty_typeEEEZNS1_34radix_sort_onesweep_global_offsetsIS3_Lb0EPKdPS5_mNS0_19identity_decomposerEEE10hipError_tT1_T2_PT3_SF_jT4_jjP12ihipStream_tbEUlT_E_NS1_11comp_targetILNS1_3genE9ELNS1_11target_archE1100ELNS1_3gpuE3ELNS1_3repE0EEENS1_52radix_sort_onesweep_histogram_config_static_selectorELNS0_4arch9wavefront6targetE0EEEvSD_.has_indirect_call, 0
	.section	.AMDGPU.csdata,"",@progbits
; Kernel info:
; codeLenInByte = 0
; TotalNumSgprs: 0
; NumVgprs: 0
; ScratchSize: 0
; MemoryBound: 0
; FloatMode: 240
; IeeeMode: 1
; LDSByteSize: 0 bytes/workgroup (compile time only)
; SGPRBlocks: 0
; VGPRBlocks: 0
; NumSGPRsForWavesPerEU: 1
; NumVGPRsForWavesPerEU: 1
; NamedBarCnt: 0
; Occupancy: 16
; WaveLimiterHint : 0
; COMPUTE_PGM_RSRC2:SCRATCH_EN: 0
; COMPUTE_PGM_RSRC2:USER_SGPR: 2
; COMPUTE_PGM_RSRC2:TRAP_HANDLER: 0
; COMPUTE_PGM_RSRC2:TGID_X_EN: 1
; COMPUTE_PGM_RSRC2:TGID_Y_EN: 0
; COMPUTE_PGM_RSRC2:TGID_Z_EN: 0
; COMPUTE_PGM_RSRC2:TIDIG_COMP_CNT: 0
	.section	.text._ZN7rocprim17ROCPRIM_400000_NS6detail17trampoline_kernelINS0_14default_configENS1_35radix_sort_onesweep_config_selectorIdNS0_10empty_typeEEEZNS1_34radix_sort_onesweep_global_offsetsIS3_Lb0EPKdPS5_mNS0_19identity_decomposerEEE10hipError_tT1_T2_PT3_SF_jT4_jjP12ihipStream_tbEUlT_E_NS1_11comp_targetILNS1_3genE8ELNS1_11target_archE1030ELNS1_3gpuE2ELNS1_3repE0EEENS1_52radix_sort_onesweep_histogram_config_static_selectorELNS0_4arch9wavefront6targetE0EEEvSD_,"axG",@progbits,_ZN7rocprim17ROCPRIM_400000_NS6detail17trampoline_kernelINS0_14default_configENS1_35radix_sort_onesweep_config_selectorIdNS0_10empty_typeEEEZNS1_34radix_sort_onesweep_global_offsetsIS3_Lb0EPKdPS5_mNS0_19identity_decomposerEEE10hipError_tT1_T2_PT3_SF_jT4_jjP12ihipStream_tbEUlT_E_NS1_11comp_targetILNS1_3genE8ELNS1_11target_archE1030ELNS1_3gpuE2ELNS1_3repE0EEENS1_52radix_sort_onesweep_histogram_config_static_selectorELNS0_4arch9wavefront6targetE0EEEvSD_,comdat
	.protected	_ZN7rocprim17ROCPRIM_400000_NS6detail17trampoline_kernelINS0_14default_configENS1_35radix_sort_onesweep_config_selectorIdNS0_10empty_typeEEEZNS1_34radix_sort_onesweep_global_offsetsIS3_Lb0EPKdPS5_mNS0_19identity_decomposerEEE10hipError_tT1_T2_PT3_SF_jT4_jjP12ihipStream_tbEUlT_E_NS1_11comp_targetILNS1_3genE8ELNS1_11target_archE1030ELNS1_3gpuE2ELNS1_3repE0EEENS1_52radix_sort_onesweep_histogram_config_static_selectorELNS0_4arch9wavefront6targetE0EEEvSD_ ; -- Begin function _ZN7rocprim17ROCPRIM_400000_NS6detail17trampoline_kernelINS0_14default_configENS1_35radix_sort_onesweep_config_selectorIdNS0_10empty_typeEEEZNS1_34radix_sort_onesweep_global_offsetsIS3_Lb0EPKdPS5_mNS0_19identity_decomposerEEE10hipError_tT1_T2_PT3_SF_jT4_jjP12ihipStream_tbEUlT_E_NS1_11comp_targetILNS1_3genE8ELNS1_11target_archE1030ELNS1_3gpuE2ELNS1_3repE0EEENS1_52radix_sort_onesweep_histogram_config_static_selectorELNS0_4arch9wavefront6targetE0EEEvSD_
	.globl	_ZN7rocprim17ROCPRIM_400000_NS6detail17trampoline_kernelINS0_14default_configENS1_35radix_sort_onesweep_config_selectorIdNS0_10empty_typeEEEZNS1_34radix_sort_onesweep_global_offsetsIS3_Lb0EPKdPS5_mNS0_19identity_decomposerEEE10hipError_tT1_T2_PT3_SF_jT4_jjP12ihipStream_tbEUlT_E_NS1_11comp_targetILNS1_3genE8ELNS1_11target_archE1030ELNS1_3gpuE2ELNS1_3repE0EEENS1_52radix_sort_onesweep_histogram_config_static_selectorELNS0_4arch9wavefront6targetE0EEEvSD_
	.p2align	8
	.type	_ZN7rocprim17ROCPRIM_400000_NS6detail17trampoline_kernelINS0_14default_configENS1_35radix_sort_onesweep_config_selectorIdNS0_10empty_typeEEEZNS1_34radix_sort_onesweep_global_offsetsIS3_Lb0EPKdPS5_mNS0_19identity_decomposerEEE10hipError_tT1_T2_PT3_SF_jT4_jjP12ihipStream_tbEUlT_E_NS1_11comp_targetILNS1_3genE8ELNS1_11target_archE1030ELNS1_3gpuE2ELNS1_3repE0EEENS1_52radix_sort_onesweep_histogram_config_static_selectorELNS0_4arch9wavefront6targetE0EEEvSD_,@function
_ZN7rocprim17ROCPRIM_400000_NS6detail17trampoline_kernelINS0_14default_configENS1_35radix_sort_onesweep_config_selectorIdNS0_10empty_typeEEEZNS1_34radix_sort_onesweep_global_offsetsIS3_Lb0EPKdPS5_mNS0_19identity_decomposerEEE10hipError_tT1_T2_PT3_SF_jT4_jjP12ihipStream_tbEUlT_E_NS1_11comp_targetILNS1_3genE8ELNS1_11target_archE1030ELNS1_3gpuE2ELNS1_3repE0EEENS1_52radix_sort_onesweep_histogram_config_static_selectorELNS0_4arch9wavefront6targetE0EEEvSD_: ; @_ZN7rocprim17ROCPRIM_400000_NS6detail17trampoline_kernelINS0_14default_configENS1_35radix_sort_onesweep_config_selectorIdNS0_10empty_typeEEEZNS1_34radix_sort_onesweep_global_offsetsIS3_Lb0EPKdPS5_mNS0_19identity_decomposerEEE10hipError_tT1_T2_PT3_SF_jT4_jjP12ihipStream_tbEUlT_E_NS1_11comp_targetILNS1_3genE8ELNS1_11target_archE1030ELNS1_3gpuE2ELNS1_3repE0EEENS1_52radix_sort_onesweep_histogram_config_static_selectorELNS0_4arch9wavefront6targetE0EEEvSD_
; %bb.0:
	.section	.rodata,"a",@progbits
	.p2align	6, 0x0
	.amdhsa_kernel _ZN7rocprim17ROCPRIM_400000_NS6detail17trampoline_kernelINS0_14default_configENS1_35radix_sort_onesweep_config_selectorIdNS0_10empty_typeEEEZNS1_34radix_sort_onesweep_global_offsetsIS3_Lb0EPKdPS5_mNS0_19identity_decomposerEEE10hipError_tT1_T2_PT3_SF_jT4_jjP12ihipStream_tbEUlT_E_NS1_11comp_targetILNS1_3genE8ELNS1_11target_archE1030ELNS1_3gpuE2ELNS1_3repE0EEENS1_52radix_sort_onesweep_histogram_config_static_selectorELNS0_4arch9wavefront6targetE0EEEvSD_
		.amdhsa_group_segment_fixed_size 0
		.amdhsa_private_segment_fixed_size 0
		.amdhsa_kernarg_size 48
		.amdhsa_user_sgpr_count 2
		.amdhsa_user_sgpr_dispatch_ptr 0
		.amdhsa_user_sgpr_queue_ptr 0
		.amdhsa_user_sgpr_kernarg_segment_ptr 1
		.amdhsa_user_sgpr_dispatch_id 0
		.amdhsa_user_sgpr_kernarg_preload_length 0
		.amdhsa_user_sgpr_kernarg_preload_offset 0
		.amdhsa_user_sgpr_private_segment_size 0
		.amdhsa_wavefront_size32 1
		.amdhsa_uses_dynamic_stack 0
		.amdhsa_enable_private_segment 0
		.amdhsa_system_sgpr_workgroup_id_x 1
		.amdhsa_system_sgpr_workgroup_id_y 0
		.amdhsa_system_sgpr_workgroup_id_z 0
		.amdhsa_system_sgpr_workgroup_info 0
		.amdhsa_system_vgpr_workitem_id 0
		.amdhsa_next_free_vgpr 1
		.amdhsa_next_free_sgpr 1
		.amdhsa_named_barrier_count 0
		.amdhsa_reserve_vcc 0
		.amdhsa_float_round_mode_32 0
		.amdhsa_float_round_mode_16_64 0
		.amdhsa_float_denorm_mode_32 3
		.amdhsa_float_denorm_mode_16_64 3
		.amdhsa_fp16_overflow 0
		.amdhsa_memory_ordered 1
		.amdhsa_forward_progress 1
		.amdhsa_inst_pref_size 0
		.amdhsa_round_robin_scheduling 0
		.amdhsa_exception_fp_ieee_invalid_op 0
		.amdhsa_exception_fp_denorm_src 0
		.amdhsa_exception_fp_ieee_div_zero 0
		.amdhsa_exception_fp_ieee_overflow 0
		.amdhsa_exception_fp_ieee_underflow 0
		.amdhsa_exception_fp_ieee_inexact 0
		.amdhsa_exception_int_div_zero 0
	.end_amdhsa_kernel
	.section	.text._ZN7rocprim17ROCPRIM_400000_NS6detail17trampoline_kernelINS0_14default_configENS1_35radix_sort_onesweep_config_selectorIdNS0_10empty_typeEEEZNS1_34radix_sort_onesweep_global_offsetsIS3_Lb0EPKdPS5_mNS0_19identity_decomposerEEE10hipError_tT1_T2_PT3_SF_jT4_jjP12ihipStream_tbEUlT_E_NS1_11comp_targetILNS1_3genE8ELNS1_11target_archE1030ELNS1_3gpuE2ELNS1_3repE0EEENS1_52radix_sort_onesweep_histogram_config_static_selectorELNS0_4arch9wavefront6targetE0EEEvSD_,"axG",@progbits,_ZN7rocprim17ROCPRIM_400000_NS6detail17trampoline_kernelINS0_14default_configENS1_35radix_sort_onesweep_config_selectorIdNS0_10empty_typeEEEZNS1_34radix_sort_onesweep_global_offsetsIS3_Lb0EPKdPS5_mNS0_19identity_decomposerEEE10hipError_tT1_T2_PT3_SF_jT4_jjP12ihipStream_tbEUlT_E_NS1_11comp_targetILNS1_3genE8ELNS1_11target_archE1030ELNS1_3gpuE2ELNS1_3repE0EEENS1_52radix_sort_onesweep_histogram_config_static_selectorELNS0_4arch9wavefront6targetE0EEEvSD_,comdat
.Lfunc_end1595:
	.size	_ZN7rocprim17ROCPRIM_400000_NS6detail17trampoline_kernelINS0_14default_configENS1_35radix_sort_onesweep_config_selectorIdNS0_10empty_typeEEEZNS1_34radix_sort_onesweep_global_offsetsIS3_Lb0EPKdPS5_mNS0_19identity_decomposerEEE10hipError_tT1_T2_PT3_SF_jT4_jjP12ihipStream_tbEUlT_E_NS1_11comp_targetILNS1_3genE8ELNS1_11target_archE1030ELNS1_3gpuE2ELNS1_3repE0EEENS1_52radix_sort_onesweep_histogram_config_static_selectorELNS0_4arch9wavefront6targetE0EEEvSD_, .Lfunc_end1595-_ZN7rocprim17ROCPRIM_400000_NS6detail17trampoline_kernelINS0_14default_configENS1_35radix_sort_onesweep_config_selectorIdNS0_10empty_typeEEEZNS1_34radix_sort_onesweep_global_offsetsIS3_Lb0EPKdPS5_mNS0_19identity_decomposerEEE10hipError_tT1_T2_PT3_SF_jT4_jjP12ihipStream_tbEUlT_E_NS1_11comp_targetILNS1_3genE8ELNS1_11target_archE1030ELNS1_3gpuE2ELNS1_3repE0EEENS1_52radix_sort_onesweep_histogram_config_static_selectorELNS0_4arch9wavefront6targetE0EEEvSD_
                                        ; -- End function
	.set _ZN7rocprim17ROCPRIM_400000_NS6detail17trampoline_kernelINS0_14default_configENS1_35radix_sort_onesweep_config_selectorIdNS0_10empty_typeEEEZNS1_34radix_sort_onesweep_global_offsetsIS3_Lb0EPKdPS5_mNS0_19identity_decomposerEEE10hipError_tT1_T2_PT3_SF_jT4_jjP12ihipStream_tbEUlT_E_NS1_11comp_targetILNS1_3genE8ELNS1_11target_archE1030ELNS1_3gpuE2ELNS1_3repE0EEENS1_52radix_sort_onesweep_histogram_config_static_selectorELNS0_4arch9wavefront6targetE0EEEvSD_.num_vgpr, 0
	.set _ZN7rocprim17ROCPRIM_400000_NS6detail17trampoline_kernelINS0_14default_configENS1_35radix_sort_onesweep_config_selectorIdNS0_10empty_typeEEEZNS1_34radix_sort_onesweep_global_offsetsIS3_Lb0EPKdPS5_mNS0_19identity_decomposerEEE10hipError_tT1_T2_PT3_SF_jT4_jjP12ihipStream_tbEUlT_E_NS1_11comp_targetILNS1_3genE8ELNS1_11target_archE1030ELNS1_3gpuE2ELNS1_3repE0EEENS1_52radix_sort_onesweep_histogram_config_static_selectorELNS0_4arch9wavefront6targetE0EEEvSD_.num_agpr, 0
	.set _ZN7rocprim17ROCPRIM_400000_NS6detail17trampoline_kernelINS0_14default_configENS1_35radix_sort_onesweep_config_selectorIdNS0_10empty_typeEEEZNS1_34radix_sort_onesweep_global_offsetsIS3_Lb0EPKdPS5_mNS0_19identity_decomposerEEE10hipError_tT1_T2_PT3_SF_jT4_jjP12ihipStream_tbEUlT_E_NS1_11comp_targetILNS1_3genE8ELNS1_11target_archE1030ELNS1_3gpuE2ELNS1_3repE0EEENS1_52radix_sort_onesweep_histogram_config_static_selectorELNS0_4arch9wavefront6targetE0EEEvSD_.numbered_sgpr, 0
	.set _ZN7rocprim17ROCPRIM_400000_NS6detail17trampoline_kernelINS0_14default_configENS1_35radix_sort_onesweep_config_selectorIdNS0_10empty_typeEEEZNS1_34radix_sort_onesweep_global_offsetsIS3_Lb0EPKdPS5_mNS0_19identity_decomposerEEE10hipError_tT1_T2_PT3_SF_jT4_jjP12ihipStream_tbEUlT_E_NS1_11comp_targetILNS1_3genE8ELNS1_11target_archE1030ELNS1_3gpuE2ELNS1_3repE0EEENS1_52radix_sort_onesweep_histogram_config_static_selectorELNS0_4arch9wavefront6targetE0EEEvSD_.num_named_barrier, 0
	.set _ZN7rocprim17ROCPRIM_400000_NS6detail17trampoline_kernelINS0_14default_configENS1_35radix_sort_onesweep_config_selectorIdNS0_10empty_typeEEEZNS1_34radix_sort_onesweep_global_offsetsIS3_Lb0EPKdPS5_mNS0_19identity_decomposerEEE10hipError_tT1_T2_PT3_SF_jT4_jjP12ihipStream_tbEUlT_E_NS1_11comp_targetILNS1_3genE8ELNS1_11target_archE1030ELNS1_3gpuE2ELNS1_3repE0EEENS1_52radix_sort_onesweep_histogram_config_static_selectorELNS0_4arch9wavefront6targetE0EEEvSD_.private_seg_size, 0
	.set _ZN7rocprim17ROCPRIM_400000_NS6detail17trampoline_kernelINS0_14default_configENS1_35radix_sort_onesweep_config_selectorIdNS0_10empty_typeEEEZNS1_34radix_sort_onesweep_global_offsetsIS3_Lb0EPKdPS5_mNS0_19identity_decomposerEEE10hipError_tT1_T2_PT3_SF_jT4_jjP12ihipStream_tbEUlT_E_NS1_11comp_targetILNS1_3genE8ELNS1_11target_archE1030ELNS1_3gpuE2ELNS1_3repE0EEENS1_52radix_sort_onesweep_histogram_config_static_selectorELNS0_4arch9wavefront6targetE0EEEvSD_.uses_vcc, 0
	.set _ZN7rocprim17ROCPRIM_400000_NS6detail17trampoline_kernelINS0_14default_configENS1_35radix_sort_onesweep_config_selectorIdNS0_10empty_typeEEEZNS1_34radix_sort_onesweep_global_offsetsIS3_Lb0EPKdPS5_mNS0_19identity_decomposerEEE10hipError_tT1_T2_PT3_SF_jT4_jjP12ihipStream_tbEUlT_E_NS1_11comp_targetILNS1_3genE8ELNS1_11target_archE1030ELNS1_3gpuE2ELNS1_3repE0EEENS1_52radix_sort_onesweep_histogram_config_static_selectorELNS0_4arch9wavefront6targetE0EEEvSD_.uses_flat_scratch, 0
	.set _ZN7rocprim17ROCPRIM_400000_NS6detail17trampoline_kernelINS0_14default_configENS1_35radix_sort_onesweep_config_selectorIdNS0_10empty_typeEEEZNS1_34radix_sort_onesweep_global_offsetsIS3_Lb0EPKdPS5_mNS0_19identity_decomposerEEE10hipError_tT1_T2_PT3_SF_jT4_jjP12ihipStream_tbEUlT_E_NS1_11comp_targetILNS1_3genE8ELNS1_11target_archE1030ELNS1_3gpuE2ELNS1_3repE0EEENS1_52radix_sort_onesweep_histogram_config_static_selectorELNS0_4arch9wavefront6targetE0EEEvSD_.has_dyn_sized_stack, 0
	.set _ZN7rocprim17ROCPRIM_400000_NS6detail17trampoline_kernelINS0_14default_configENS1_35radix_sort_onesweep_config_selectorIdNS0_10empty_typeEEEZNS1_34radix_sort_onesweep_global_offsetsIS3_Lb0EPKdPS5_mNS0_19identity_decomposerEEE10hipError_tT1_T2_PT3_SF_jT4_jjP12ihipStream_tbEUlT_E_NS1_11comp_targetILNS1_3genE8ELNS1_11target_archE1030ELNS1_3gpuE2ELNS1_3repE0EEENS1_52radix_sort_onesweep_histogram_config_static_selectorELNS0_4arch9wavefront6targetE0EEEvSD_.has_recursion, 0
	.set _ZN7rocprim17ROCPRIM_400000_NS6detail17trampoline_kernelINS0_14default_configENS1_35radix_sort_onesweep_config_selectorIdNS0_10empty_typeEEEZNS1_34radix_sort_onesweep_global_offsetsIS3_Lb0EPKdPS5_mNS0_19identity_decomposerEEE10hipError_tT1_T2_PT3_SF_jT4_jjP12ihipStream_tbEUlT_E_NS1_11comp_targetILNS1_3genE8ELNS1_11target_archE1030ELNS1_3gpuE2ELNS1_3repE0EEENS1_52radix_sort_onesweep_histogram_config_static_selectorELNS0_4arch9wavefront6targetE0EEEvSD_.has_indirect_call, 0
	.section	.AMDGPU.csdata,"",@progbits
; Kernel info:
; codeLenInByte = 0
; TotalNumSgprs: 0
; NumVgprs: 0
; ScratchSize: 0
; MemoryBound: 0
; FloatMode: 240
; IeeeMode: 1
; LDSByteSize: 0 bytes/workgroup (compile time only)
; SGPRBlocks: 0
; VGPRBlocks: 0
; NumSGPRsForWavesPerEU: 1
; NumVGPRsForWavesPerEU: 1
; NamedBarCnt: 0
; Occupancy: 16
; WaveLimiterHint : 0
; COMPUTE_PGM_RSRC2:SCRATCH_EN: 0
; COMPUTE_PGM_RSRC2:USER_SGPR: 2
; COMPUTE_PGM_RSRC2:TRAP_HANDLER: 0
; COMPUTE_PGM_RSRC2:TGID_X_EN: 1
; COMPUTE_PGM_RSRC2:TGID_Y_EN: 0
; COMPUTE_PGM_RSRC2:TGID_Z_EN: 0
; COMPUTE_PGM_RSRC2:TIDIG_COMP_CNT: 0
	.section	.text._ZN7rocprim17ROCPRIM_400000_NS6detail17trampoline_kernelINS0_14default_configENS1_35radix_sort_onesweep_config_selectorIdNS0_10empty_typeEEEZNS1_34radix_sort_onesweep_global_offsetsIS3_Lb0EPKdPS5_mNS0_19identity_decomposerEEE10hipError_tT1_T2_PT3_SF_jT4_jjP12ihipStream_tbEUlT_E0_NS1_11comp_targetILNS1_3genE0ELNS1_11target_archE4294967295ELNS1_3gpuE0ELNS1_3repE0EEENS1_52radix_sort_onesweep_histogram_config_static_selectorELNS0_4arch9wavefront6targetE0EEEvSD_,"axG",@progbits,_ZN7rocprim17ROCPRIM_400000_NS6detail17trampoline_kernelINS0_14default_configENS1_35radix_sort_onesweep_config_selectorIdNS0_10empty_typeEEEZNS1_34radix_sort_onesweep_global_offsetsIS3_Lb0EPKdPS5_mNS0_19identity_decomposerEEE10hipError_tT1_T2_PT3_SF_jT4_jjP12ihipStream_tbEUlT_E0_NS1_11comp_targetILNS1_3genE0ELNS1_11target_archE4294967295ELNS1_3gpuE0ELNS1_3repE0EEENS1_52radix_sort_onesweep_histogram_config_static_selectorELNS0_4arch9wavefront6targetE0EEEvSD_,comdat
	.protected	_ZN7rocprim17ROCPRIM_400000_NS6detail17trampoline_kernelINS0_14default_configENS1_35radix_sort_onesweep_config_selectorIdNS0_10empty_typeEEEZNS1_34radix_sort_onesweep_global_offsetsIS3_Lb0EPKdPS5_mNS0_19identity_decomposerEEE10hipError_tT1_T2_PT3_SF_jT4_jjP12ihipStream_tbEUlT_E0_NS1_11comp_targetILNS1_3genE0ELNS1_11target_archE4294967295ELNS1_3gpuE0ELNS1_3repE0EEENS1_52radix_sort_onesweep_histogram_config_static_selectorELNS0_4arch9wavefront6targetE0EEEvSD_ ; -- Begin function _ZN7rocprim17ROCPRIM_400000_NS6detail17trampoline_kernelINS0_14default_configENS1_35radix_sort_onesweep_config_selectorIdNS0_10empty_typeEEEZNS1_34radix_sort_onesweep_global_offsetsIS3_Lb0EPKdPS5_mNS0_19identity_decomposerEEE10hipError_tT1_T2_PT3_SF_jT4_jjP12ihipStream_tbEUlT_E0_NS1_11comp_targetILNS1_3genE0ELNS1_11target_archE4294967295ELNS1_3gpuE0ELNS1_3repE0EEENS1_52radix_sort_onesweep_histogram_config_static_selectorELNS0_4arch9wavefront6targetE0EEEvSD_
	.globl	_ZN7rocprim17ROCPRIM_400000_NS6detail17trampoline_kernelINS0_14default_configENS1_35radix_sort_onesweep_config_selectorIdNS0_10empty_typeEEEZNS1_34radix_sort_onesweep_global_offsetsIS3_Lb0EPKdPS5_mNS0_19identity_decomposerEEE10hipError_tT1_T2_PT3_SF_jT4_jjP12ihipStream_tbEUlT_E0_NS1_11comp_targetILNS1_3genE0ELNS1_11target_archE4294967295ELNS1_3gpuE0ELNS1_3repE0EEENS1_52radix_sort_onesweep_histogram_config_static_selectorELNS0_4arch9wavefront6targetE0EEEvSD_
	.p2align	8
	.type	_ZN7rocprim17ROCPRIM_400000_NS6detail17trampoline_kernelINS0_14default_configENS1_35radix_sort_onesweep_config_selectorIdNS0_10empty_typeEEEZNS1_34radix_sort_onesweep_global_offsetsIS3_Lb0EPKdPS5_mNS0_19identity_decomposerEEE10hipError_tT1_T2_PT3_SF_jT4_jjP12ihipStream_tbEUlT_E0_NS1_11comp_targetILNS1_3genE0ELNS1_11target_archE4294967295ELNS1_3gpuE0ELNS1_3repE0EEENS1_52radix_sort_onesweep_histogram_config_static_selectorELNS0_4arch9wavefront6targetE0EEEvSD_,@function
_ZN7rocprim17ROCPRIM_400000_NS6detail17trampoline_kernelINS0_14default_configENS1_35radix_sort_onesweep_config_selectorIdNS0_10empty_typeEEEZNS1_34radix_sort_onesweep_global_offsetsIS3_Lb0EPKdPS5_mNS0_19identity_decomposerEEE10hipError_tT1_T2_PT3_SF_jT4_jjP12ihipStream_tbEUlT_E0_NS1_11comp_targetILNS1_3genE0ELNS1_11target_archE4294967295ELNS1_3gpuE0ELNS1_3repE0EEENS1_52radix_sort_onesweep_histogram_config_static_selectorELNS0_4arch9wavefront6targetE0EEEvSD_: ; @_ZN7rocprim17ROCPRIM_400000_NS6detail17trampoline_kernelINS0_14default_configENS1_35radix_sort_onesweep_config_selectorIdNS0_10empty_typeEEEZNS1_34radix_sort_onesweep_global_offsetsIS3_Lb0EPKdPS5_mNS0_19identity_decomposerEEE10hipError_tT1_T2_PT3_SF_jT4_jjP12ihipStream_tbEUlT_E0_NS1_11comp_targetILNS1_3genE0ELNS1_11target_archE4294967295ELNS1_3gpuE0ELNS1_3repE0EEENS1_52radix_sort_onesweep_histogram_config_static_selectorELNS0_4arch9wavefront6targetE0EEEvSD_
; %bb.0:
	s_load_b64 s[0:1], s[0:1], 0x0
	s_bfe_u32 s2, ttmp6, 0x4000c
	s_and_b32 s3, ttmp6, 15
	s_add_co_i32 s2, s2, 1
	s_getreg_b32 s4, hwreg(HW_REG_IB_STS2, 6, 4)
	s_mul_i32 s2, ttmp9, s2
	v_cmp_gt_u32_e32 vcc_lo, 0x100, v0
	s_add_co_i32 s3, s3, s2
	s_cmp_eq_u32 s4, 0
                                        ; implicit-def: $vgpr2_vgpr3
	s_cselect_b32 s2, ttmp9, s3
	s_mov_b32 s3, 0
	s_lshl_b32 s2, s2, 8
	s_delay_alu instid0(SALU_CYCLE_1)
	s_lshl_b64 s[2:3], s[2:3], 3
	s_wait_kmcnt 0x0
	s_add_nc_u64 s[6:7], s[0:1], s[2:3]
	s_and_saveexec_b32 s0, vcc_lo
	s_cbranch_execz .LBB1596_2
; %bb.1:
	global_load_b64 v[2:3], v0, s[6:7] scale_offset
.LBB1596_2:
	s_wait_xcnt 0x0
	s_or_b32 exec_lo, exec_lo, s0
	v_mbcnt_lo_u32_b32 v1, -1, 0
	s_wait_loadcnt 0x0
	v_mov_b32_dpp v6, v2 row_shr:1 row_mask:0xf bank_mask:0xf
	v_mov_b32_dpp v9, v3 row_shr:1 row_mask:0xf bank_mask:0xf
	s_delay_alu instid0(VALU_DEP_3) | instskip(NEXT) | instid1(VALU_DEP_1)
	v_dual_mov_b32 v4, v2 :: v_dual_bitop2_b32 v10, 15, v1 bitop3:0x40
	v_cmp_ne_u32_e64 s0, 0, v10
	s_and_saveexec_b32 s1, s0
; %bb.3:
	v_mov_b32_e32 v8, 0
	s_delay_alu instid0(VALU_DEP_1) | instskip(NEXT) | instid1(VALU_DEP_1)
	v_mov_b32_e32 v7, v8
	v_add_nc_u64_e32 v[4:5], v[2:3], v[6:7]
	s_delay_alu instid0(VALU_DEP_1)
	v_add_nc_u64_e32 v[2:3], v[8:9], v[4:5]
; %bb.4:
	s_or_b32 exec_lo, exec_lo, s1
	v_mov_b32_dpp v6, v4 row_shr:2 row_mask:0xf bank_mask:0xf
	s_delay_alu instid0(VALU_DEP_2)
	v_mov_b32_dpp v9, v3 row_shr:2 row_mask:0xf bank_mask:0xf
	v_cmp_lt_u32_e64 s1, 1, v10
	s_and_saveexec_b32 s2, s1
; %bb.5:
	v_mov_b32_e32 v8, 0
	s_delay_alu instid0(VALU_DEP_1) | instskip(NEXT) | instid1(VALU_DEP_1)
	v_mov_b32_e32 v7, v8
	v_add_nc_u64_e32 v[4:5], v[2:3], v[6:7]
	s_delay_alu instid0(VALU_DEP_1)
	v_add_nc_u64_e32 v[2:3], v[8:9], v[4:5]
; %bb.6:
	s_or_b32 exec_lo, exec_lo, s2
	v_mov_b32_dpp v6, v4 row_shr:4 row_mask:0xf bank_mask:0xf
	s_delay_alu instid0(VALU_DEP_2)
	v_mov_b32_dpp v9, v3 row_shr:4 row_mask:0xf bank_mask:0xf
	v_cmp_lt_u32_e64 s2, 3, v10
	s_and_saveexec_b32 s3, s2
; %bb.7:
	v_mov_b32_e32 v8, 0
	s_delay_alu instid0(VALU_DEP_1) | instskip(NEXT) | instid1(VALU_DEP_1)
	v_mov_b32_e32 v7, v8
	v_add_nc_u64_e32 v[4:5], v[2:3], v[6:7]
	s_delay_alu instid0(VALU_DEP_1)
	v_add_nc_u64_e32 v[2:3], v[8:9], v[4:5]
; %bb.8:
	s_or_b32 exec_lo, exec_lo, s3
	v_mov_b32_dpp v6, v4 row_shr:8 row_mask:0xf bank_mask:0xf
	s_delay_alu instid0(VALU_DEP_2)
	v_mov_b32_dpp v9, v3 row_shr:8 row_mask:0xf bank_mask:0xf
	v_cmp_lt_u32_e64 s3, 7, v10
	s_and_saveexec_b32 s4, s3
; %bb.9:
	v_mov_b32_e32 v8, 0
	s_delay_alu instid0(VALU_DEP_1) | instskip(NEXT) | instid1(VALU_DEP_1)
	v_mov_b32_e32 v7, v8
	v_add_nc_u64_e32 v[4:5], v[2:3], v[6:7]
	s_delay_alu instid0(VALU_DEP_1)
	v_add_nc_u64_e32 v[2:3], v[8:9], v[4:5]
; %bb.10:
	s_or_b32 exec_lo, exec_lo, s4
	ds_swizzle_b32 v4, v4 offset:swizzle(BROADCAST,32,15)
	ds_swizzle_b32 v7, v3 offset:swizzle(BROADCAST,32,15)
	v_and_b32_e32 v5, 16, v1
	s_mov_b32 s5, exec_lo
	s_delay_alu instid0(VALU_DEP_1)
	v_cmpx_ne_u32_e32 0, v5
	s_cbranch_execz .LBB1596_12
; %bb.11:
	v_mov_b32_e32 v6, 0
	s_delay_alu instid0(VALU_DEP_1) | instskip(SKIP_1) | instid1(VALU_DEP_1)
	v_mov_b32_e32 v5, v6
	s_wait_dscnt 0x1
	v_add_nc_u64_e32 v[2:3], v[2:3], v[4:5]
	s_wait_dscnt 0x0
	s_delay_alu instid0(VALU_DEP_1)
	v_add_nc_u64_e32 v[2:3], v[2:3], v[6:7]
.LBB1596_12:
	s_or_b32 exec_lo, exec_lo, s5
	s_wait_dscnt 0x1
	v_dual_lshrrev_b32 v12, 5, v0 :: v_dual_bitop2_b32 v4, 31, v0 bitop3:0x54
	s_mov_b32 s5, exec_lo
	s_delay_alu instid0(VALU_DEP_1)
	v_cmpx_eq_u32_e64 v0, v4
; %bb.13:
	s_delay_alu instid0(VALU_DEP_2)
	v_lshlrev_b32_e32 v4, 3, v12
	ds_store_b64 v4, v[2:3]
; %bb.14:
	s_or_b32 exec_lo, exec_lo, s5
	s_delay_alu instid0(SALU_CYCLE_1)
	s_mov_b32 s5, exec_lo
	s_wait_dscnt 0x0
	s_barrier_signal -1
	s_barrier_wait -1
	v_cmpx_gt_u32_e32 16, v0
	s_cbranch_execz .LBB1596_24
; %bb.15:
	v_lshlrev_b32_e32 v13, 3, v0
	ds_load_b64 v[4:5], v13
	s_wait_dscnt 0x0
	v_mov_b32_dpp v8, v4 row_shr:1 row_mask:0xf bank_mask:0xf
	v_mov_b32_dpp v11, v5 row_shr:1 row_mask:0xf bank_mask:0xf
	v_mov_b32_e32 v6, v4
	s_and_saveexec_b32 s4, s0
; %bb.16:
	v_mov_b32_e32 v10, 0
	s_delay_alu instid0(VALU_DEP_1) | instskip(NEXT) | instid1(VALU_DEP_1)
	v_mov_b32_e32 v9, v10
	v_add_nc_u64_e32 v[6:7], v[4:5], v[8:9]
	s_delay_alu instid0(VALU_DEP_1)
	v_add_nc_u64_e32 v[4:5], v[10:11], v[6:7]
; %bb.17:
	s_or_b32 exec_lo, exec_lo, s4
	v_mov_b32_dpp v8, v6 row_shr:2 row_mask:0xf bank_mask:0xf
	s_delay_alu instid0(VALU_DEP_2)
	v_mov_b32_dpp v11, v5 row_shr:2 row_mask:0xf bank_mask:0xf
	s_and_saveexec_b32 s0, s1
; %bb.18:
	v_mov_b32_e32 v10, 0
	s_delay_alu instid0(VALU_DEP_1) | instskip(NEXT) | instid1(VALU_DEP_1)
	v_mov_b32_e32 v9, v10
	v_add_nc_u64_e32 v[6:7], v[4:5], v[8:9]
	s_delay_alu instid0(VALU_DEP_1)
	v_add_nc_u64_e32 v[4:5], v[10:11], v[6:7]
; %bb.19:
	s_or_b32 exec_lo, exec_lo, s0
	v_mov_b32_dpp v8, v6 row_shr:4 row_mask:0xf bank_mask:0xf
	s_delay_alu instid0(VALU_DEP_2)
	v_mov_b32_dpp v11, v5 row_shr:4 row_mask:0xf bank_mask:0xf
	s_and_saveexec_b32 s0, s2
; %bb.20:
	v_mov_b32_e32 v10, 0
	s_delay_alu instid0(VALU_DEP_1) | instskip(NEXT) | instid1(VALU_DEP_1)
	v_mov_b32_e32 v9, v10
	v_add_nc_u64_e32 v[6:7], v[4:5], v[8:9]
	s_delay_alu instid0(VALU_DEP_1)
	v_add_nc_u64_e32 v[4:5], v[10:11], v[6:7]
; %bb.21:
	s_or_b32 exec_lo, exec_lo, s0
	v_mov_b32_dpp v6, v6 row_shr:8 row_mask:0xf bank_mask:0xf
	s_delay_alu instid0(VALU_DEP_2)
	v_mov_b32_dpp v9, v5 row_shr:8 row_mask:0xf bank_mask:0xf
	s_and_saveexec_b32 s0, s3
; %bb.22:
	v_mov_b32_e32 v8, 0
	s_delay_alu instid0(VALU_DEP_1) | instskip(NEXT) | instid1(VALU_DEP_1)
	v_mov_b32_e32 v7, v8
	v_add_nc_u64_e32 v[4:5], v[4:5], v[6:7]
	s_delay_alu instid0(VALU_DEP_1)
	v_add_nc_u64_e32 v[4:5], v[4:5], v[8:9]
; %bb.23:
	s_or_b32 exec_lo, exec_lo, s0
	ds_store_b64 v13, v[4:5]
.LBB1596_24:
	s_or_b32 exec_lo, exec_lo, s5
	v_mov_b64_e32 v[4:5], 0
	s_mov_b32 s1, exec_lo
	s_wait_dscnt 0x0
	s_barrier_signal -1
	s_barrier_wait -1
	v_cmpx_lt_u32_e32 31, v0
; %bb.25:
	v_lshl_add_u32 v4, v12, 3, -8
	ds_load_b64 v[4:5], v4
; %bb.26:
	s_or_b32 exec_lo, exec_lo, s1
	v_add_nc_u32_e32 v6, -1, v1
	s_wait_dscnt 0x0
	v_add_nc_u64_e32 v[2:3], v[4:5], v[2:3]
	s_delay_alu instid0(VALU_DEP_2) | instskip(NEXT) | instid1(VALU_DEP_1)
	v_cmp_gt_i32_e64 s0, 0, v6
	v_cndmask_b32_e64 v6, v6, v1, s0
	s_delay_alu instid0(VALU_DEP_1)
	v_lshlrev_b32_e32 v6, 2, v6
	ds_bpermute_b32 v2, v6, v2
	ds_bpermute_b32 v3, v6, v3
	s_and_saveexec_b32 s0, vcc_lo
	s_cbranch_execz .LBB1596_28
; %bb.27:
	v_cmp_eq_u32_e32 vcc_lo, 0, v1
	s_wait_dscnt 0x0
	v_dual_cndmask_b32 v3, v3, v5 :: v_dual_cndmask_b32 v2, v2, v4
	global_store_b64 v0, v[2:3], s[6:7] scale_offset
.LBB1596_28:
	s_endpgm
	.section	.rodata,"a",@progbits
	.p2align	6, 0x0
	.amdhsa_kernel _ZN7rocprim17ROCPRIM_400000_NS6detail17trampoline_kernelINS0_14default_configENS1_35radix_sort_onesweep_config_selectorIdNS0_10empty_typeEEEZNS1_34radix_sort_onesweep_global_offsetsIS3_Lb0EPKdPS5_mNS0_19identity_decomposerEEE10hipError_tT1_T2_PT3_SF_jT4_jjP12ihipStream_tbEUlT_E0_NS1_11comp_targetILNS1_3genE0ELNS1_11target_archE4294967295ELNS1_3gpuE0ELNS1_3repE0EEENS1_52radix_sort_onesweep_histogram_config_static_selectorELNS0_4arch9wavefront6targetE0EEEvSD_
		.amdhsa_group_segment_fixed_size 128
		.amdhsa_private_segment_fixed_size 0
		.amdhsa_kernarg_size 8
		.amdhsa_user_sgpr_count 2
		.amdhsa_user_sgpr_dispatch_ptr 0
		.amdhsa_user_sgpr_queue_ptr 0
		.amdhsa_user_sgpr_kernarg_segment_ptr 1
		.amdhsa_user_sgpr_dispatch_id 0
		.amdhsa_user_sgpr_kernarg_preload_length 0
		.amdhsa_user_sgpr_kernarg_preload_offset 0
		.amdhsa_user_sgpr_private_segment_size 0
		.amdhsa_wavefront_size32 1
		.amdhsa_uses_dynamic_stack 0
		.amdhsa_enable_private_segment 0
		.amdhsa_system_sgpr_workgroup_id_x 1
		.amdhsa_system_sgpr_workgroup_id_y 0
		.amdhsa_system_sgpr_workgroup_id_z 0
		.amdhsa_system_sgpr_workgroup_info 0
		.amdhsa_system_vgpr_workitem_id 0
		.amdhsa_next_free_vgpr 14
		.amdhsa_next_free_sgpr 8
		.amdhsa_named_barrier_count 0
		.amdhsa_reserve_vcc 1
		.amdhsa_float_round_mode_32 0
		.amdhsa_float_round_mode_16_64 0
		.amdhsa_float_denorm_mode_32 3
		.amdhsa_float_denorm_mode_16_64 3
		.amdhsa_fp16_overflow 0
		.amdhsa_memory_ordered 1
		.amdhsa_forward_progress 1
		.amdhsa_inst_pref_size 7
		.amdhsa_round_robin_scheduling 0
		.amdhsa_exception_fp_ieee_invalid_op 0
		.amdhsa_exception_fp_denorm_src 0
		.amdhsa_exception_fp_ieee_div_zero 0
		.amdhsa_exception_fp_ieee_overflow 0
		.amdhsa_exception_fp_ieee_underflow 0
		.amdhsa_exception_fp_ieee_inexact 0
		.amdhsa_exception_int_div_zero 0
	.end_amdhsa_kernel
	.section	.text._ZN7rocprim17ROCPRIM_400000_NS6detail17trampoline_kernelINS0_14default_configENS1_35radix_sort_onesweep_config_selectorIdNS0_10empty_typeEEEZNS1_34radix_sort_onesweep_global_offsetsIS3_Lb0EPKdPS5_mNS0_19identity_decomposerEEE10hipError_tT1_T2_PT3_SF_jT4_jjP12ihipStream_tbEUlT_E0_NS1_11comp_targetILNS1_3genE0ELNS1_11target_archE4294967295ELNS1_3gpuE0ELNS1_3repE0EEENS1_52radix_sort_onesweep_histogram_config_static_selectorELNS0_4arch9wavefront6targetE0EEEvSD_,"axG",@progbits,_ZN7rocprim17ROCPRIM_400000_NS6detail17trampoline_kernelINS0_14default_configENS1_35radix_sort_onesweep_config_selectorIdNS0_10empty_typeEEEZNS1_34radix_sort_onesweep_global_offsetsIS3_Lb0EPKdPS5_mNS0_19identity_decomposerEEE10hipError_tT1_T2_PT3_SF_jT4_jjP12ihipStream_tbEUlT_E0_NS1_11comp_targetILNS1_3genE0ELNS1_11target_archE4294967295ELNS1_3gpuE0ELNS1_3repE0EEENS1_52radix_sort_onesweep_histogram_config_static_selectorELNS0_4arch9wavefront6targetE0EEEvSD_,comdat
.Lfunc_end1596:
	.size	_ZN7rocprim17ROCPRIM_400000_NS6detail17trampoline_kernelINS0_14default_configENS1_35radix_sort_onesweep_config_selectorIdNS0_10empty_typeEEEZNS1_34radix_sort_onesweep_global_offsetsIS3_Lb0EPKdPS5_mNS0_19identity_decomposerEEE10hipError_tT1_T2_PT3_SF_jT4_jjP12ihipStream_tbEUlT_E0_NS1_11comp_targetILNS1_3genE0ELNS1_11target_archE4294967295ELNS1_3gpuE0ELNS1_3repE0EEENS1_52radix_sort_onesweep_histogram_config_static_selectorELNS0_4arch9wavefront6targetE0EEEvSD_, .Lfunc_end1596-_ZN7rocprim17ROCPRIM_400000_NS6detail17trampoline_kernelINS0_14default_configENS1_35radix_sort_onesweep_config_selectorIdNS0_10empty_typeEEEZNS1_34radix_sort_onesweep_global_offsetsIS3_Lb0EPKdPS5_mNS0_19identity_decomposerEEE10hipError_tT1_T2_PT3_SF_jT4_jjP12ihipStream_tbEUlT_E0_NS1_11comp_targetILNS1_3genE0ELNS1_11target_archE4294967295ELNS1_3gpuE0ELNS1_3repE0EEENS1_52radix_sort_onesweep_histogram_config_static_selectorELNS0_4arch9wavefront6targetE0EEEvSD_
                                        ; -- End function
	.set _ZN7rocprim17ROCPRIM_400000_NS6detail17trampoline_kernelINS0_14default_configENS1_35radix_sort_onesweep_config_selectorIdNS0_10empty_typeEEEZNS1_34radix_sort_onesweep_global_offsetsIS3_Lb0EPKdPS5_mNS0_19identity_decomposerEEE10hipError_tT1_T2_PT3_SF_jT4_jjP12ihipStream_tbEUlT_E0_NS1_11comp_targetILNS1_3genE0ELNS1_11target_archE4294967295ELNS1_3gpuE0ELNS1_3repE0EEENS1_52radix_sort_onesweep_histogram_config_static_selectorELNS0_4arch9wavefront6targetE0EEEvSD_.num_vgpr, 14
	.set _ZN7rocprim17ROCPRIM_400000_NS6detail17trampoline_kernelINS0_14default_configENS1_35radix_sort_onesweep_config_selectorIdNS0_10empty_typeEEEZNS1_34radix_sort_onesweep_global_offsetsIS3_Lb0EPKdPS5_mNS0_19identity_decomposerEEE10hipError_tT1_T2_PT3_SF_jT4_jjP12ihipStream_tbEUlT_E0_NS1_11comp_targetILNS1_3genE0ELNS1_11target_archE4294967295ELNS1_3gpuE0ELNS1_3repE0EEENS1_52radix_sort_onesweep_histogram_config_static_selectorELNS0_4arch9wavefront6targetE0EEEvSD_.num_agpr, 0
	.set _ZN7rocprim17ROCPRIM_400000_NS6detail17trampoline_kernelINS0_14default_configENS1_35radix_sort_onesweep_config_selectorIdNS0_10empty_typeEEEZNS1_34radix_sort_onesweep_global_offsetsIS3_Lb0EPKdPS5_mNS0_19identity_decomposerEEE10hipError_tT1_T2_PT3_SF_jT4_jjP12ihipStream_tbEUlT_E0_NS1_11comp_targetILNS1_3genE0ELNS1_11target_archE4294967295ELNS1_3gpuE0ELNS1_3repE0EEENS1_52radix_sort_onesweep_histogram_config_static_selectorELNS0_4arch9wavefront6targetE0EEEvSD_.numbered_sgpr, 8
	.set _ZN7rocprim17ROCPRIM_400000_NS6detail17trampoline_kernelINS0_14default_configENS1_35radix_sort_onesweep_config_selectorIdNS0_10empty_typeEEEZNS1_34radix_sort_onesweep_global_offsetsIS3_Lb0EPKdPS5_mNS0_19identity_decomposerEEE10hipError_tT1_T2_PT3_SF_jT4_jjP12ihipStream_tbEUlT_E0_NS1_11comp_targetILNS1_3genE0ELNS1_11target_archE4294967295ELNS1_3gpuE0ELNS1_3repE0EEENS1_52radix_sort_onesweep_histogram_config_static_selectorELNS0_4arch9wavefront6targetE0EEEvSD_.num_named_barrier, 0
	.set _ZN7rocprim17ROCPRIM_400000_NS6detail17trampoline_kernelINS0_14default_configENS1_35radix_sort_onesweep_config_selectorIdNS0_10empty_typeEEEZNS1_34radix_sort_onesweep_global_offsetsIS3_Lb0EPKdPS5_mNS0_19identity_decomposerEEE10hipError_tT1_T2_PT3_SF_jT4_jjP12ihipStream_tbEUlT_E0_NS1_11comp_targetILNS1_3genE0ELNS1_11target_archE4294967295ELNS1_3gpuE0ELNS1_3repE0EEENS1_52radix_sort_onesweep_histogram_config_static_selectorELNS0_4arch9wavefront6targetE0EEEvSD_.private_seg_size, 0
	.set _ZN7rocprim17ROCPRIM_400000_NS6detail17trampoline_kernelINS0_14default_configENS1_35radix_sort_onesweep_config_selectorIdNS0_10empty_typeEEEZNS1_34radix_sort_onesweep_global_offsetsIS3_Lb0EPKdPS5_mNS0_19identity_decomposerEEE10hipError_tT1_T2_PT3_SF_jT4_jjP12ihipStream_tbEUlT_E0_NS1_11comp_targetILNS1_3genE0ELNS1_11target_archE4294967295ELNS1_3gpuE0ELNS1_3repE0EEENS1_52radix_sort_onesweep_histogram_config_static_selectorELNS0_4arch9wavefront6targetE0EEEvSD_.uses_vcc, 1
	.set _ZN7rocprim17ROCPRIM_400000_NS6detail17trampoline_kernelINS0_14default_configENS1_35radix_sort_onesweep_config_selectorIdNS0_10empty_typeEEEZNS1_34radix_sort_onesweep_global_offsetsIS3_Lb0EPKdPS5_mNS0_19identity_decomposerEEE10hipError_tT1_T2_PT3_SF_jT4_jjP12ihipStream_tbEUlT_E0_NS1_11comp_targetILNS1_3genE0ELNS1_11target_archE4294967295ELNS1_3gpuE0ELNS1_3repE0EEENS1_52radix_sort_onesweep_histogram_config_static_selectorELNS0_4arch9wavefront6targetE0EEEvSD_.uses_flat_scratch, 0
	.set _ZN7rocprim17ROCPRIM_400000_NS6detail17trampoline_kernelINS0_14default_configENS1_35radix_sort_onesweep_config_selectorIdNS0_10empty_typeEEEZNS1_34radix_sort_onesweep_global_offsetsIS3_Lb0EPKdPS5_mNS0_19identity_decomposerEEE10hipError_tT1_T2_PT3_SF_jT4_jjP12ihipStream_tbEUlT_E0_NS1_11comp_targetILNS1_3genE0ELNS1_11target_archE4294967295ELNS1_3gpuE0ELNS1_3repE0EEENS1_52radix_sort_onesweep_histogram_config_static_selectorELNS0_4arch9wavefront6targetE0EEEvSD_.has_dyn_sized_stack, 0
	.set _ZN7rocprim17ROCPRIM_400000_NS6detail17trampoline_kernelINS0_14default_configENS1_35radix_sort_onesweep_config_selectorIdNS0_10empty_typeEEEZNS1_34radix_sort_onesweep_global_offsetsIS3_Lb0EPKdPS5_mNS0_19identity_decomposerEEE10hipError_tT1_T2_PT3_SF_jT4_jjP12ihipStream_tbEUlT_E0_NS1_11comp_targetILNS1_3genE0ELNS1_11target_archE4294967295ELNS1_3gpuE0ELNS1_3repE0EEENS1_52radix_sort_onesweep_histogram_config_static_selectorELNS0_4arch9wavefront6targetE0EEEvSD_.has_recursion, 0
	.set _ZN7rocprim17ROCPRIM_400000_NS6detail17trampoline_kernelINS0_14default_configENS1_35radix_sort_onesweep_config_selectorIdNS0_10empty_typeEEEZNS1_34radix_sort_onesweep_global_offsetsIS3_Lb0EPKdPS5_mNS0_19identity_decomposerEEE10hipError_tT1_T2_PT3_SF_jT4_jjP12ihipStream_tbEUlT_E0_NS1_11comp_targetILNS1_3genE0ELNS1_11target_archE4294967295ELNS1_3gpuE0ELNS1_3repE0EEENS1_52radix_sort_onesweep_histogram_config_static_selectorELNS0_4arch9wavefront6targetE0EEEvSD_.has_indirect_call, 0
	.section	.AMDGPU.csdata,"",@progbits
; Kernel info:
; codeLenInByte = 896
; TotalNumSgprs: 10
; NumVgprs: 14
; ScratchSize: 0
; MemoryBound: 0
; FloatMode: 240
; IeeeMode: 1
; LDSByteSize: 128 bytes/workgroup (compile time only)
; SGPRBlocks: 0
; VGPRBlocks: 0
; NumSGPRsForWavesPerEU: 10
; NumVGPRsForWavesPerEU: 14
; NamedBarCnt: 0
; Occupancy: 16
; WaveLimiterHint : 0
; COMPUTE_PGM_RSRC2:SCRATCH_EN: 0
; COMPUTE_PGM_RSRC2:USER_SGPR: 2
; COMPUTE_PGM_RSRC2:TRAP_HANDLER: 0
; COMPUTE_PGM_RSRC2:TGID_X_EN: 1
; COMPUTE_PGM_RSRC2:TGID_Y_EN: 0
; COMPUTE_PGM_RSRC2:TGID_Z_EN: 0
; COMPUTE_PGM_RSRC2:TIDIG_COMP_CNT: 0
	.section	.text._ZN7rocprim17ROCPRIM_400000_NS6detail17trampoline_kernelINS0_14default_configENS1_35radix_sort_onesweep_config_selectorIdNS0_10empty_typeEEEZNS1_34radix_sort_onesweep_global_offsetsIS3_Lb0EPKdPS5_mNS0_19identity_decomposerEEE10hipError_tT1_T2_PT3_SF_jT4_jjP12ihipStream_tbEUlT_E0_NS1_11comp_targetILNS1_3genE6ELNS1_11target_archE950ELNS1_3gpuE13ELNS1_3repE0EEENS1_52radix_sort_onesweep_histogram_config_static_selectorELNS0_4arch9wavefront6targetE0EEEvSD_,"axG",@progbits,_ZN7rocprim17ROCPRIM_400000_NS6detail17trampoline_kernelINS0_14default_configENS1_35radix_sort_onesweep_config_selectorIdNS0_10empty_typeEEEZNS1_34radix_sort_onesweep_global_offsetsIS3_Lb0EPKdPS5_mNS0_19identity_decomposerEEE10hipError_tT1_T2_PT3_SF_jT4_jjP12ihipStream_tbEUlT_E0_NS1_11comp_targetILNS1_3genE6ELNS1_11target_archE950ELNS1_3gpuE13ELNS1_3repE0EEENS1_52radix_sort_onesweep_histogram_config_static_selectorELNS0_4arch9wavefront6targetE0EEEvSD_,comdat
	.protected	_ZN7rocprim17ROCPRIM_400000_NS6detail17trampoline_kernelINS0_14default_configENS1_35radix_sort_onesweep_config_selectorIdNS0_10empty_typeEEEZNS1_34radix_sort_onesweep_global_offsetsIS3_Lb0EPKdPS5_mNS0_19identity_decomposerEEE10hipError_tT1_T2_PT3_SF_jT4_jjP12ihipStream_tbEUlT_E0_NS1_11comp_targetILNS1_3genE6ELNS1_11target_archE950ELNS1_3gpuE13ELNS1_3repE0EEENS1_52radix_sort_onesweep_histogram_config_static_selectorELNS0_4arch9wavefront6targetE0EEEvSD_ ; -- Begin function _ZN7rocprim17ROCPRIM_400000_NS6detail17trampoline_kernelINS0_14default_configENS1_35radix_sort_onesweep_config_selectorIdNS0_10empty_typeEEEZNS1_34radix_sort_onesweep_global_offsetsIS3_Lb0EPKdPS5_mNS0_19identity_decomposerEEE10hipError_tT1_T2_PT3_SF_jT4_jjP12ihipStream_tbEUlT_E0_NS1_11comp_targetILNS1_3genE6ELNS1_11target_archE950ELNS1_3gpuE13ELNS1_3repE0EEENS1_52radix_sort_onesweep_histogram_config_static_selectorELNS0_4arch9wavefront6targetE0EEEvSD_
	.globl	_ZN7rocprim17ROCPRIM_400000_NS6detail17trampoline_kernelINS0_14default_configENS1_35radix_sort_onesweep_config_selectorIdNS0_10empty_typeEEEZNS1_34radix_sort_onesweep_global_offsetsIS3_Lb0EPKdPS5_mNS0_19identity_decomposerEEE10hipError_tT1_T2_PT3_SF_jT4_jjP12ihipStream_tbEUlT_E0_NS1_11comp_targetILNS1_3genE6ELNS1_11target_archE950ELNS1_3gpuE13ELNS1_3repE0EEENS1_52radix_sort_onesweep_histogram_config_static_selectorELNS0_4arch9wavefront6targetE0EEEvSD_
	.p2align	8
	.type	_ZN7rocprim17ROCPRIM_400000_NS6detail17trampoline_kernelINS0_14default_configENS1_35radix_sort_onesweep_config_selectorIdNS0_10empty_typeEEEZNS1_34radix_sort_onesweep_global_offsetsIS3_Lb0EPKdPS5_mNS0_19identity_decomposerEEE10hipError_tT1_T2_PT3_SF_jT4_jjP12ihipStream_tbEUlT_E0_NS1_11comp_targetILNS1_3genE6ELNS1_11target_archE950ELNS1_3gpuE13ELNS1_3repE0EEENS1_52radix_sort_onesweep_histogram_config_static_selectorELNS0_4arch9wavefront6targetE0EEEvSD_,@function
_ZN7rocprim17ROCPRIM_400000_NS6detail17trampoline_kernelINS0_14default_configENS1_35radix_sort_onesweep_config_selectorIdNS0_10empty_typeEEEZNS1_34radix_sort_onesweep_global_offsetsIS3_Lb0EPKdPS5_mNS0_19identity_decomposerEEE10hipError_tT1_T2_PT3_SF_jT4_jjP12ihipStream_tbEUlT_E0_NS1_11comp_targetILNS1_3genE6ELNS1_11target_archE950ELNS1_3gpuE13ELNS1_3repE0EEENS1_52radix_sort_onesweep_histogram_config_static_selectorELNS0_4arch9wavefront6targetE0EEEvSD_: ; @_ZN7rocprim17ROCPRIM_400000_NS6detail17trampoline_kernelINS0_14default_configENS1_35radix_sort_onesweep_config_selectorIdNS0_10empty_typeEEEZNS1_34radix_sort_onesweep_global_offsetsIS3_Lb0EPKdPS5_mNS0_19identity_decomposerEEE10hipError_tT1_T2_PT3_SF_jT4_jjP12ihipStream_tbEUlT_E0_NS1_11comp_targetILNS1_3genE6ELNS1_11target_archE950ELNS1_3gpuE13ELNS1_3repE0EEENS1_52radix_sort_onesweep_histogram_config_static_selectorELNS0_4arch9wavefront6targetE0EEEvSD_
; %bb.0:
	.section	.rodata,"a",@progbits
	.p2align	6, 0x0
	.amdhsa_kernel _ZN7rocprim17ROCPRIM_400000_NS6detail17trampoline_kernelINS0_14default_configENS1_35radix_sort_onesweep_config_selectorIdNS0_10empty_typeEEEZNS1_34radix_sort_onesweep_global_offsetsIS3_Lb0EPKdPS5_mNS0_19identity_decomposerEEE10hipError_tT1_T2_PT3_SF_jT4_jjP12ihipStream_tbEUlT_E0_NS1_11comp_targetILNS1_3genE6ELNS1_11target_archE950ELNS1_3gpuE13ELNS1_3repE0EEENS1_52radix_sort_onesweep_histogram_config_static_selectorELNS0_4arch9wavefront6targetE0EEEvSD_
		.amdhsa_group_segment_fixed_size 0
		.amdhsa_private_segment_fixed_size 0
		.amdhsa_kernarg_size 8
		.amdhsa_user_sgpr_count 2
		.amdhsa_user_sgpr_dispatch_ptr 0
		.amdhsa_user_sgpr_queue_ptr 0
		.amdhsa_user_sgpr_kernarg_segment_ptr 1
		.amdhsa_user_sgpr_dispatch_id 0
		.amdhsa_user_sgpr_kernarg_preload_length 0
		.amdhsa_user_sgpr_kernarg_preload_offset 0
		.amdhsa_user_sgpr_private_segment_size 0
		.amdhsa_wavefront_size32 1
		.amdhsa_uses_dynamic_stack 0
		.amdhsa_enable_private_segment 0
		.amdhsa_system_sgpr_workgroup_id_x 1
		.amdhsa_system_sgpr_workgroup_id_y 0
		.amdhsa_system_sgpr_workgroup_id_z 0
		.amdhsa_system_sgpr_workgroup_info 0
		.amdhsa_system_vgpr_workitem_id 0
		.amdhsa_next_free_vgpr 1
		.amdhsa_next_free_sgpr 1
		.amdhsa_named_barrier_count 0
		.amdhsa_reserve_vcc 0
		.amdhsa_float_round_mode_32 0
		.amdhsa_float_round_mode_16_64 0
		.amdhsa_float_denorm_mode_32 3
		.amdhsa_float_denorm_mode_16_64 3
		.amdhsa_fp16_overflow 0
		.amdhsa_memory_ordered 1
		.amdhsa_forward_progress 1
		.amdhsa_inst_pref_size 0
		.amdhsa_round_robin_scheduling 0
		.amdhsa_exception_fp_ieee_invalid_op 0
		.amdhsa_exception_fp_denorm_src 0
		.amdhsa_exception_fp_ieee_div_zero 0
		.amdhsa_exception_fp_ieee_overflow 0
		.amdhsa_exception_fp_ieee_underflow 0
		.amdhsa_exception_fp_ieee_inexact 0
		.amdhsa_exception_int_div_zero 0
	.end_amdhsa_kernel
	.section	.text._ZN7rocprim17ROCPRIM_400000_NS6detail17trampoline_kernelINS0_14default_configENS1_35radix_sort_onesweep_config_selectorIdNS0_10empty_typeEEEZNS1_34radix_sort_onesweep_global_offsetsIS3_Lb0EPKdPS5_mNS0_19identity_decomposerEEE10hipError_tT1_T2_PT3_SF_jT4_jjP12ihipStream_tbEUlT_E0_NS1_11comp_targetILNS1_3genE6ELNS1_11target_archE950ELNS1_3gpuE13ELNS1_3repE0EEENS1_52radix_sort_onesweep_histogram_config_static_selectorELNS0_4arch9wavefront6targetE0EEEvSD_,"axG",@progbits,_ZN7rocprim17ROCPRIM_400000_NS6detail17trampoline_kernelINS0_14default_configENS1_35radix_sort_onesweep_config_selectorIdNS0_10empty_typeEEEZNS1_34radix_sort_onesweep_global_offsetsIS3_Lb0EPKdPS5_mNS0_19identity_decomposerEEE10hipError_tT1_T2_PT3_SF_jT4_jjP12ihipStream_tbEUlT_E0_NS1_11comp_targetILNS1_3genE6ELNS1_11target_archE950ELNS1_3gpuE13ELNS1_3repE0EEENS1_52radix_sort_onesweep_histogram_config_static_selectorELNS0_4arch9wavefront6targetE0EEEvSD_,comdat
.Lfunc_end1597:
	.size	_ZN7rocprim17ROCPRIM_400000_NS6detail17trampoline_kernelINS0_14default_configENS1_35radix_sort_onesweep_config_selectorIdNS0_10empty_typeEEEZNS1_34radix_sort_onesweep_global_offsetsIS3_Lb0EPKdPS5_mNS0_19identity_decomposerEEE10hipError_tT1_T2_PT3_SF_jT4_jjP12ihipStream_tbEUlT_E0_NS1_11comp_targetILNS1_3genE6ELNS1_11target_archE950ELNS1_3gpuE13ELNS1_3repE0EEENS1_52radix_sort_onesweep_histogram_config_static_selectorELNS0_4arch9wavefront6targetE0EEEvSD_, .Lfunc_end1597-_ZN7rocprim17ROCPRIM_400000_NS6detail17trampoline_kernelINS0_14default_configENS1_35radix_sort_onesweep_config_selectorIdNS0_10empty_typeEEEZNS1_34radix_sort_onesweep_global_offsetsIS3_Lb0EPKdPS5_mNS0_19identity_decomposerEEE10hipError_tT1_T2_PT3_SF_jT4_jjP12ihipStream_tbEUlT_E0_NS1_11comp_targetILNS1_3genE6ELNS1_11target_archE950ELNS1_3gpuE13ELNS1_3repE0EEENS1_52radix_sort_onesweep_histogram_config_static_selectorELNS0_4arch9wavefront6targetE0EEEvSD_
                                        ; -- End function
	.set _ZN7rocprim17ROCPRIM_400000_NS6detail17trampoline_kernelINS0_14default_configENS1_35radix_sort_onesweep_config_selectorIdNS0_10empty_typeEEEZNS1_34radix_sort_onesweep_global_offsetsIS3_Lb0EPKdPS5_mNS0_19identity_decomposerEEE10hipError_tT1_T2_PT3_SF_jT4_jjP12ihipStream_tbEUlT_E0_NS1_11comp_targetILNS1_3genE6ELNS1_11target_archE950ELNS1_3gpuE13ELNS1_3repE0EEENS1_52radix_sort_onesweep_histogram_config_static_selectorELNS0_4arch9wavefront6targetE0EEEvSD_.num_vgpr, 0
	.set _ZN7rocprim17ROCPRIM_400000_NS6detail17trampoline_kernelINS0_14default_configENS1_35radix_sort_onesweep_config_selectorIdNS0_10empty_typeEEEZNS1_34radix_sort_onesweep_global_offsetsIS3_Lb0EPKdPS5_mNS0_19identity_decomposerEEE10hipError_tT1_T2_PT3_SF_jT4_jjP12ihipStream_tbEUlT_E0_NS1_11comp_targetILNS1_3genE6ELNS1_11target_archE950ELNS1_3gpuE13ELNS1_3repE0EEENS1_52radix_sort_onesweep_histogram_config_static_selectorELNS0_4arch9wavefront6targetE0EEEvSD_.num_agpr, 0
	.set _ZN7rocprim17ROCPRIM_400000_NS6detail17trampoline_kernelINS0_14default_configENS1_35radix_sort_onesweep_config_selectorIdNS0_10empty_typeEEEZNS1_34radix_sort_onesweep_global_offsetsIS3_Lb0EPKdPS5_mNS0_19identity_decomposerEEE10hipError_tT1_T2_PT3_SF_jT4_jjP12ihipStream_tbEUlT_E0_NS1_11comp_targetILNS1_3genE6ELNS1_11target_archE950ELNS1_3gpuE13ELNS1_3repE0EEENS1_52radix_sort_onesweep_histogram_config_static_selectorELNS0_4arch9wavefront6targetE0EEEvSD_.numbered_sgpr, 0
	.set _ZN7rocprim17ROCPRIM_400000_NS6detail17trampoline_kernelINS0_14default_configENS1_35radix_sort_onesweep_config_selectorIdNS0_10empty_typeEEEZNS1_34radix_sort_onesweep_global_offsetsIS3_Lb0EPKdPS5_mNS0_19identity_decomposerEEE10hipError_tT1_T2_PT3_SF_jT4_jjP12ihipStream_tbEUlT_E0_NS1_11comp_targetILNS1_3genE6ELNS1_11target_archE950ELNS1_3gpuE13ELNS1_3repE0EEENS1_52radix_sort_onesweep_histogram_config_static_selectorELNS0_4arch9wavefront6targetE0EEEvSD_.num_named_barrier, 0
	.set _ZN7rocprim17ROCPRIM_400000_NS6detail17trampoline_kernelINS0_14default_configENS1_35radix_sort_onesweep_config_selectorIdNS0_10empty_typeEEEZNS1_34radix_sort_onesweep_global_offsetsIS3_Lb0EPKdPS5_mNS0_19identity_decomposerEEE10hipError_tT1_T2_PT3_SF_jT4_jjP12ihipStream_tbEUlT_E0_NS1_11comp_targetILNS1_3genE6ELNS1_11target_archE950ELNS1_3gpuE13ELNS1_3repE0EEENS1_52radix_sort_onesweep_histogram_config_static_selectorELNS0_4arch9wavefront6targetE0EEEvSD_.private_seg_size, 0
	.set _ZN7rocprim17ROCPRIM_400000_NS6detail17trampoline_kernelINS0_14default_configENS1_35radix_sort_onesweep_config_selectorIdNS0_10empty_typeEEEZNS1_34radix_sort_onesweep_global_offsetsIS3_Lb0EPKdPS5_mNS0_19identity_decomposerEEE10hipError_tT1_T2_PT3_SF_jT4_jjP12ihipStream_tbEUlT_E0_NS1_11comp_targetILNS1_3genE6ELNS1_11target_archE950ELNS1_3gpuE13ELNS1_3repE0EEENS1_52radix_sort_onesweep_histogram_config_static_selectorELNS0_4arch9wavefront6targetE0EEEvSD_.uses_vcc, 0
	.set _ZN7rocprim17ROCPRIM_400000_NS6detail17trampoline_kernelINS0_14default_configENS1_35radix_sort_onesweep_config_selectorIdNS0_10empty_typeEEEZNS1_34radix_sort_onesweep_global_offsetsIS3_Lb0EPKdPS5_mNS0_19identity_decomposerEEE10hipError_tT1_T2_PT3_SF_jT4_jjP12ihipStream_tbEUlT_E0_NS1_11comp_targetILNS1_3genE6ELNS1_11target_archE950ELNS1_3gpuE13ELNS1_3repE0EEENS1_52radix_sort_onesweep_histogram_config_static_selectorELNS0_4arch9wavefront6targetE0EEEvSD_.uses_flat_scratch, 0
	.set _ZN7rocprim17ROCPRIM_400000_NS6detail17trampoline_kernelINS0_14default_configENS1_35radix_sort_onesweep_config_selectorIdNS0_10empty_typeEEEZNS1_34radix_sort_onesweep_global_offsetsIS3_Lb0EPKdPS5_mNS0_19identity_decomposerEEE10hipError_tT1_T2_PT3_SF_jT4_jjP12ihipStream_tbEUlT_E0_NS1_11comp_targetILNS1_3genE6ELNS1_11target_archE950ELNS1_3gpuE13ELNS1_3repE0EEENS1_52radix_sort_onesweep_histogram_config_static_selectorELNS0_4arch9wavefront6targetE0EEEvSD_.has_dyn_sized_stack, 0
	.set _ZN7rocprim17ROCPRIM_400000_NS6detail17trampoline_kernelINS0_14default_configENS1_35radix_sort_onesweep_config_selectorIdNS0_10empty_typeEEEZNS1_34radix_sort_onesweep_global_offsetsIS3_Lb0EPKdPS5_mNS0_19identity_decomposerEEE10hipError_tT1_T2_PT3_SF_jT4_jjP12ihipStream_tbEUlT_E0_NS1_11comp_targetILNS1_3genE6ELNS1_11target_archE950ELNS1_3gpuE13ELNS1_3repE0EEENS1_52radix_sort_onesweep_histogram_config_static_selectorELNS0_4arch9wavefront6targetE0EEEvSD_.has_recursion, 0
	.set _ZN7rocprim17ROCPRIM_400000_NS6detail17trampoline_kernelINS0_14default_configENS1_35radix_sort_onesweep_config_selectorIdNS0_10empty_typeEEEZNS1_34radix_sort_onesweep_global_offsetsIS3_Lb0EPKdPS5_mNS0_19identity_decomposerEEE10hipError_tT1_T2_PT3_SF_jT4_jjP12ihipStream_tbEUlT_E0_NS1_11comp_targetILNS1_3genE6ELNS1_11target_archE950ELNS1_3gpuE13ELNS1_3repE0EEENS1_52radix_sort_onesweep_histogram_config_static_selectorELNS0_4arch9wavefront6targetE0EEEvSD_.has_indirect_call, 0
	.section	.AMDGPU.csdata,"",@progbits
; Kernel info:
; codeLenInByte = 0
; TotalNumSgprs: 0
; NumVgprs: 0
; ScratchSize: 0
; MemoryBound: 0
; FloatMode: 240
; IeeeMode: 1
; LDSByteSize: 0 bytes/workgroup (compile time only)
; SGPRBlocks: 0
; VGPRBlocks: 0
; NumSGPRsForWavesPerEU: 1
; NumVGPRsForWavesPerEU: 1
; NamedBarCnt: 0
; Occupancy: 16
; WaveLimiterHint : 0
; COMPUTE_PGM_RSRC2:SCRATCH_EN: 0
; COMPUTE_PGM_RSRC2:USER_SGPR: 2
; COMPUTE_PGM_RSRC2:TRAP_HANDLER: 0
; COMPUTE_PGM_RSRC2:TGID_X_EN: 1
; COMPUTE_PGM_RSRC2:TGID_Y_EN: 0
; COMPUTE_PGM_RSRC2:TGID_Z_EN: 0
; COMPUTE_PGM_RSRC2:TIDIG_COMP_CNT: 0
	.section	.text._ZN7rocprim17ROCPRIM_400000_NS6detail17trampoline_kernelINS0_14default_configENS1_35radix_sort_onesweep_config_selectorIdNS0_10empty_typeEEEZNS1_34radix_sort_onesweep_global_offsetsIS3_Lb0EPKdPS5_mNS0_19identity_decomposerEEE10hipError_tT1_T2_PT3_SF_jT4_jjP12ihipStream_tbEUlT_E0_NS1_11comp_targetILNS1_3genE5ELNS1_11target_archE942ELNS1_3gpuE9ELNS1_3repE0EEENS1_52radix_sort_onesweep_histogram_config_static_selectorELNS0_4arch9wavefront6targetE0EEEvSD_,"axG",@progbits,_ZN7rocprim17ROCPRIM_400000_NS6detail17trampoline_kernelINS0_14default_configENS1_35radix_sort_onesweep_config_selectorIdNS0_10empty_typeEEEZNS1_34radix_sort_onesweep_global_offsetsIS3_Lb0EPKdPS5_mNS0_19identity_decomposerEEE10hipError_tT1_T2_PT3_SF_jT4_jjP12ihipStream_tbEUlT_E0_NS1_11comp_targetILNS1_3genE5ELNS1_11target_archE942ELNS1_3gpuE9ELNS1_3repE0EEENS1_52radix_sort_onesweep_histogram_config_static_selectorELNS0_4arch9wavefront6targetE0EEEvSD_,comdat
	.protected	_ZN7rocprim17ROCPRIM_400000_NS6detail17trampoline_kernelINS0_14default_configENS1_35radix_sort_onesweep_config_selectorIdNS0_10empty_typeEEEZNS1_34radix_sort_onesweep_global_offsetsIS3_Lb0EPKdPS5_mNS0_19identity_decomposerEEE10hipError_tT1_T2_PT3_SF_jT4_jjP12ihipStream_tbEUlT_E0_NS1_11comp_targetILNS1_3genE5ELNS1_11target_archE942ELNS1_3gpuE9ELNS1_3repE0EEENS1_52radix_sort_onesweep_histogram_config_static_selectorELNS0_4arch9wavefront6targetE0EEEvSD_ ; -- Begin function _ZN7rocprim17ROCPRIM_400000_NS6detail17trampoline_kernelINS0_14default_configENS1_35radix_sort_onesweep_config_selectorIdNS0_10empty_typeEEEZNS1_34radix_sort_onesweep_global_offsetsIS3_Lb0EPKdPS5_mNS0_19identity_decomposerEEE10hipError_tT1_T2_PT3_SF_jT4_jjP12ihipStream_tbEUlT_E0_NS1_11comp_targetILNS1_3genE5ELNS1_11target_archE942ELNS1_3gpuE9ELNS1_3repE0EEENS1_52radix_sort_onesweep_histogram_config_static_selectorELNS0_4arch9wavefront6targetE0EEEvSD_
	.globl	_ZN7rocprim17ROCPRIM_400000_NS6detail17trampoline_kernelINS0_14default_configENS1_35radix_sort_onesweep_config_selectorIdNS0_10empty_typeEEEZNS1_34radix_sort_onesweep_global_offsetsIS3_Lb0EPKdPS5_mNS0_19identity_decomposerEEE10hipError_tT1_T2_PT3_SF_jT4_jjP12ihipStream_tbEUlT_E0_NS1_11comp_targetILNS1_3genE5ELNS1_11target_archE942ELNS1_3gpuE9ELNS1_3repE0EEENS1_52radix_sort_onesweep_histogram_config_static_selectorELNS0_4arch9wavefront6targetE0EEEvSD_
	.p2align	8
	.type	_ZN7rocprim17ROCPRIM_400000_NS6detail17trampoline_kernelINS0_14default_configENS1_35radix_sort_onesweep_config_selectorIdNS0_10empty_typeEEEZNS1_34radix_sort_onesweep_global_offsetsIS3_Lb0EPKdPS5_mNS0_19identity_decomposerEEE10hipError_tT1_T2_PT3_SF_jT4_jjP12ihipStream_tbEUlT_E0_NS1_11comp_targetILNS1_3genE5ELNS1_11target_archE942ELNS1_3gpuE9ELNS1_3repE0EEENS1_52radix_sort_onesweep_histogram_config_static_selectorELNS0_4arch9wavefront6targetE0EEEvSD_,@function
_ZN7rocprim17ROCPRIM_400000_NS6detail17trampoline_kernelINS0_14default_configENS1_35radix_sort_onesweep_config_selectorIdNS0_10empty_typeEEEZNS1_34radix_sort_onesweep_global_offsetsIS3_Lb0EPKdPS5_mNS0_19identity_decomposerEEE10hipError_tT1_T2_PT3_SF_jT4_jjP12ihipStream_tbEUlT_E0_NS1_11comp_targetILNS1_3genE5ELNS1_11target_archE942ELNS1_3gpuE9ELNS1_3repE0EEENS1_52radix_sort_onesweep_histogram_config_static_selectorELNS0_4arch9wavefront6targetE0EEEvSD_: ; @_ZN7rocprim17ROCPRIM_400000_NS6detail17trampoline_kernelINS0_14default_configENS1_35radix_sort_onesweep_config_selectorIdNS0_10empty_typeEEEZNS1_34radix_sort_onesweep_global_offsetsIS3_Lb0EPKdPS5_mNS0_19identity_decomposerEEE10hipError_tT1_T2_PT3_SF_jT4_jjP12ihipStream_tbEUlT_E0_NS1_11comp_targetILNS1_3genE5ELNS1_11target_archE942ELNS1_3gpuE9ELNS1_3repE0EEENS1_52radix_sort_onesweep_histogram_config_static_selectorELNS0_4arch9wavefront6targetE0EEEvSD_
; %bb.0:
	.section	.rodata,"a",@progbits
	.p2align	6, 0x0
	.amdhsa_kernel _ZN7rocprim17ROCPRIM_400000_NS6detail17trampoline_kernelINS0_14default_configENS1_35radix_sort_onesweep_config_selectorIdNS0_10empty_typeEEEZNS1_34radix_sort_onesweep_global_offsetsIS3_Lb0EPKdPS5_mNS0_19identity_decomposerEEE10hipError_tT1_T2_PT3_SF_jT4_jjP12ihipStream_tbEUlT_E0_NS1_11comp_targetILNS1_3genE5ELNS1_11target_archE942ELNS1_3gpuE9ELNS1_3repE0EEENS1_52radix_sort_onesweep_histogram_config_static_selectorELNS0_4arch9wavefront6targetE0EEEvSD_
		.amdhsa_group_segment_fixed_size 0
		.amdhsa_private_segment_fixed_size 0
		.amdhsa_kernarg_size 8
		.amdhsa_user_sgpr_count 2
		.amdhsa_user_sgpr_dispatch_ptr 0
		.amdhsa_user_sgpr_queue_ptr 0
		.amdhsa_user_sgpr_kernarg_segment_ptr 1
		.amdhsa_user_sgpr_dispatch_id 0
		.amdhsa_user_sgpr_kernarg_preload_length 0
		.amdhsa_user_sgpr_kernarg_preload_offset 0
		.amdhsa_user_sgpr_private_segment_size 0
		.amdhsa_wavefront_size32 1
		.amdhsa_uses_dynamic_stack 0
		.amdhsa_enable_private_segment 0
		.amdhsa_system_sgpr_workgroup_id_x 1
		.amdhsa_system_sgpr_workgroup_id_y 0
		.amdhsa_system_sgpr_workgroup_id_z 0
		.amdhsa_system_sgpr_workgroup_info 0
		.amdhsa_system_vgpr_workitem_id 0
		.amdhsa_next_free_vgpr 1
		.amdhsa_next_free_sgpr 1
		.amdhsa_named_barrier_count 0
		.amdhsa_reserve_vcc 0
		.amdhsa_float_round_mode_32 0
		.amdhsa_float_round_mode_16_64 0
		.amdhsa_float_denorm_mode_32 3
		.amdhsa_float_denorm_mode_16_64 3
		.amdhsa_fp16_overflow 0
		.amdhsa_memory_ordered 1
		.amdhsa_forward_progress 1
		.amdhsa_inst_pref_size 0
		.amdhsa_round_robin_scheduling 0
		.amdhsa_exception_fp_ieee_invalid_op 0
		.amdhsa_exception_fp_denorm_src 0
		.amdhsa_exception_fp_ieee_div_zero 0
		.amdhsa_exception_fp_ieee_overflow 0
		.amdhsa_exception_fp_ieee_underflow 0
		.amdhsa_exception_fp_ieee_inexact 0
		.amdhsa_exception_int_div_zero 0
	.end_amdhsa_kernel
	.section	.text._ZN7rocprim17ROCPRIM_400000_NS6detail17trampoline_kernelINS0_14default_configENS1_35radix_sort_onesweep_config_selectorIdNS0_10empty_typeEEEZNS1_34radix_sort_onesweep_global_offsetsIS3_Lb0EPKdPS5_mNS0_19identity_decomposerEEE10hipError_tT1_T2_PT3_SF_jT4_jjP12ihipStream_tbEUlT_E0_NS1_11comp_targetILNS1_3genE5ELNS1_11target_archE942ELNS1_3gpuE9ELNS1_3repE0EEENS1_52radix_sort_onesweep_histogram_config_static_selectorELNS0_4arch9wavefront6targetE0EEEvSD_,"axG",@progbits,_ZN7rocprim17ROCPRIM_400000_NS6detail17trampoline_kernelINS0_14default_configENS1_35radix_sort_onesweep_config_selectorIdNS0_10empty_typeEEEZNS1_34radix_sort_onesweep_global_offsetsIS3_Lb0EPKdPS5_mNS0_19identity_decomposerEEE10hipError_tT1_T2_PT3_SF_jT4_jjP12ihipStream_tbEUlT_E0_NS1_11comp_targetILNS1_3genE5ELNS1_11target_archE942ELNS1_3gpuE9ELNS1_3repE0EEENS1_52radix_sort_onesweep_histogram_config_static_selectorELNS0_4arch9wavefront6targetE0EEEvSD_,comdat
.Lfunc_end1598:
	.size	_ZN7rocprim17ROCPRIM_400000_NS6detail17trampoline_kernelINS0_14default_configENS1_35radix_sort_onesweep_config_selectorIdNS0_10empty_typeEEEZNS1_34radix_sort_onesweep_global_offsetsIS3_Lb0EPKdPS5_mNS0_19identity_decomposerEEE10hipError_tT1_T2_PT3_SF_jT4_jjP12ihipStream_tbEUlT_E0_NS1_11comp_targetILNS1_3genE5ELNS1_11target_archE942ELNS1_3gpuE9ELNS1_3repE0EEENS1_52radix_sort_onesweep_histogram_config_static_selectorELNS0_4arch9wavefront6targetE0EEEvSD_, .Lfunc_end1598-_ZN7rocprim17ROCPRIM_400000_NS6detail17trampoline_kernelINS0_14default_configENS1_35radix_sort_onesweep_config_selectorIdNS0_10empty_typeEEEZNS1_34radix_sort_onesweep_global_offsetsIS3_Lb0EPKdPS5_mNS0_19identity_decomposerEEE10hipError_tT1_T2_PT3_SF_jT4_jjP12ihipStream_tbEUlT_E0_NS1_11comp_targetILNS1_3genE5ELNS1_11target_archE942ELNS1_3gpuE9ELNS1_3repE0EEENS1_52radix_sort_onesweep_histogram_config_static_selectorELNS0_4arch9wavefront6targetE0EEEvSD_
                                        ; -- End function
	.set _ZN7rocprim17ROCPRIM_400000_NS6detail17trampoline_kernelINS0_14default_configENS1_35radix_sort_onesweep_config_selectorIdNS0_10empty_typeEEEZNS1_34radix_sort_onesweep_global_offsetsIS3_Lb0EPKdPS5_mNS0_19identity_decomposerEEE10hipError_tT1_T2_PT3_SF_jT4_jjP12ihipStream_tbEUlT_E0_NS1_11comp_targetILNS1_3genE5ELNS1_11target_archE942ELNS1_3gpuE9ELNS1_3repE0EEENS1_52radix_sort_onesweep_histogram_config_static_selectorELNS0_4arch9wavefront6targetE0EEEvSD_.num_vgpr, 0
	.set _ZN7rocprim17ROCPRIM_400000_NS6detail17trampoline_kernelINS0_14default_configENS1_35radix_sort_onesweep_config_selectorIdNS0_10empty_typeEEEZNS1_34radix_sort_onesweep_global_offsetsIS3_Lb0EPKdPS5_mNS0_19identity_decomposerEEE10hipError_tT1_T2_PT3_SF_jT4_jjP12ihipStream_tbEUlT_E0_NS1_11comp_targetILNS1_3genE5ELNS1_11target_archE942ELNS1_3gpuE9ELNS1_3repE0EEENS1_52radix_sort_onesweep_histogram_config_static_selectorELNS0_4arch9wavefront6targetE0EEEvSD_.num_agpr, 0
	.set _ZN7rocprim17ROCPRIM_400000_NS6detail17trampoline_kernelINS0_14default_configENS1_35radix_sort_onesweep_config_selectorIdNS0_10empty_typeEEEZNS1_34radix_sort_onesweep_global_offsetsIS3_Lb0EPKdPS5_mNS0_19identity_decomposerEEE10hipError_tT1_T2_PT3_SF_jT4_jjP12ihipStream_tbEUlT_E0_NS1_11comp_targetILNS1_3genE5ELNS1_11target_archE942ELNS1_3gpuE9ELNS1_3repE0EEENS1_52radix_sort_onesweep_histogram_config_static_selectorELNS0_4arch9wavefront6targetE0EEEvSD_.numbered_sgpr, 0
	.set _ZN7rocprim17ROCPRIM_400000_NS6detail17trampoline_kernelINS0_14default_configENS1_35radix_sort_onesweep_config_selectorIdNS0_10empty_typeEEEZNS1_34radix_sort_onesweep_global_offsetsIS3_Lb0EPKdPS5_mNS0_19identity_decomposerEEE10hipError_tT1_T2_PT3_SF_jT4_jjP12ihipStream_tbEUlT_E0_NS1_11comp_targetILNS1_3genE5ELNS1_11target_archE942ELNS1_3gpuE9ELNS1_3repE0EEENS1_52radix_sort_onesweep_histogram_config_static_selectorELNS0_4arch9wavefront6targetE0EEEvSD_.num_named_barrier, 0
	.set _ZN7rocprim17ROCPRIM_400000_NS6detail17trampoline_kernelINS0_14default_configENS1_35radix_sort_onesweep_config_selectorIdNS0_10empty_typeEEEZNS1_34radix_sort_onesweep_global_offsetsIS3_Lb0EPKdPS5_mNS0_19identity_decomposerEEE10hipError_tT1_T2_PT3_SF_jT4_jjP12ihipStream_tbEUlT_E0_NS1_11comp_targetILNS1_3genE5ELNS1_11target_archE942ELNS1_3gpuE9ELNS1_3repE0EEENS1_52radix_sort_onesweep_histogram_config_static_selectorELNS0_4arch9wavefront6targetE0EEEvSD_.private_seg_size, 0
	.set _ZN7rocprim17ROCPRIM_400000_NS6detail17trampoline_kernelINS0_14default_configENS1_35radix_sort_onesweep_config_selectorIdNS0_10empty_typeEEEZNS1_34radix_sort_onesweep_global_offsetsIS3_Lb0EPKdPS5_mNS0_19identity_decomposerEEE10hipError_tT1_T2_PT3_SF_jT4_jjP12ihipStream_tbEUlT_E0_NS1_11comp_targetILNS1_3genE5ELNS1_11target_archE942ELNS1_3gpuE9ELNS1_3repE0EEENS1_52radix_sort_onesweep_histogram_config_static_selectorELNS0_4arch9wavefront6targetE0EEEvSD_.uses_vcc, 0
	.set _ZN7rocprim17ROCPRIM_400000_NS6detail17trampoline_kernelINS0_14default_configENS1_35radix_sort_onesweep_config_selectorIdNS0_10empty_typeEEEZNS1_34radix_sort_onesweep_global_offsetsIS3_Lb0EPKdPS5_mNS0_19identity_decomposerEEE10hipError_tT1_T2_PT3_SF_jT4_jjP12ihipStream_tbEUlT_E0_NS1_11comp_targetILNS1_3genE5ELNS1_11target_archE942ELNS1_3gpuE9ELNS1_3repE0EEENS1_52radix_sort_onesweep_histogram_config_static_selectorELNS0_4arch9wavefront6targetE0EEEvSD_.uses_flat_scratch, 0
	.set _ZN7rocprim17ROCPRIM_400000_NS6detail17trampoline_kernelINS0_14default_configENS1_35radix_sort_onesweep_config_selectorIdNS0_10empty_typeEEEZNS1_34radix_sort_onesweep_global_offsetsIS3_Lb0EPKdPS5_mNS0_19identity_decomposerEEE10hipError_tT1_T2_PT3_SF_jT4_jjP12ihipStream_tbEUlT_E0_NS1_11comp_targetILNS1_3genE5ELNS1_11target_archE942ELNS1_3gpuE9ELNS1_3repE0EEENS1_52radix_sort_onesweep_histogram_config_static_selectorELNS0_4arch9wavefront6targetE0EEEvSD_.has_dyn_sized_stack, 0
	.set _ZN7rocprim17ROCPRIM_400000_NS6detail17trampoline_kernelINS0_14default_configENS1_35radix_sort_onesweep_config_selectorIdNS0_10empty_typeEEEZNS1_34radix_sort_onesweep_global_offsetsIS3_Lb0EPKdPS5_mNS0_19identity_decomposerEEE10hipError_tT1_T2_PT3_SF_jT4_jjP12ihipStream_tbEUlT_E0_NS1_11comp_targetILNS1_3genE5ELNS1_11target_archE942ELNS1_3gpuE9ELNS1_3repE0EEENS1_52radix_sort_onesweep_histogram_config_static_selectorELNS0_4arch9wavefront6targetE0EEEvSD_.has_recursion, 0
	.set _ZN7rocprim17ROCPRIM_400000_NS6detail17trampoline_kernelINS0_14default_configENS1_35radix_sort_onesweep_config_selectorIdNS0_10empty_typeEEEZNS1_34radix_sort_onesweep_global_offsetsIS3_Lb0EPKdPS5_mNS0_19identity_decomposerEEE10hipError_tT1_T2_PT3_SF_jT4_jjP12ihipStream_tbEUlT_E0_NS1_11comp_targetILNS1_3genE5ELNS1_11target_archE942ELNS1_3gpuE9ELNS1_3repE0EEENS1_52radix_sort_onesweep_histogram_config_static_selectorELNS0_4arch9wavefront6targetE0EEEvSD_.has_indirect_call, 0
	.section	.AMDGPU.csdata,"",@progbits
; Kernel info:
; codeLenInByte = 0
; TotalNumSgprs: 0
; NumVgprs: 0
; ScratchSize: 0
; MemoryBound: 0
; FloatMode: 240
; IeeeMode: 1
; LDSByteSize: 0 bytes/workgroup (compile time only)
; SGPRBlocks: 0
; VGPRBlocks: 0
; NumSGPRsForWavesPerEU: 1
; NumVGPRsForWavesPerEU: 1
; NamedBarCnt: 0
; Occupancy: 16
; WaveLimiterHint : 0
; COMPUTE_PGM_RSRC2:SCRATCH_EN: 0
; COMPUTE_PGM_RSRC2:USER_SGPR: 2
; COMPUTE_PGM_RSRC2:TRAP_HANDLER: 0
; COMPUTE_PGM_RSRC2:TGID_X_EN: 1
; COMPUTE_PGM_RSRC2:TGID_Y_EN: 0
; COMPUTE_PGM_RSRC2:TGID_Z_EN: 0
; COMPUTE_PGM_RSRC2:TIDIG_COMP_CNT: 0
	.section	.text._ZN7rocprim17ROCPRIM_400000_NS6detail17trampoline_kernelINS0_14default_configENS1_35radix_sort_onesweep_config_selectorIdNS0_10empty_typeEEEZNS1_34radix_sort_onesweep_global_offsetsIS3_Lb0EPKdPS5_mNS0_19identity_decomposerEEE10hipError_tT1_T2_PT3_SF_jT4_jjP12ihipStream_tbEUlT_E0_NS1_11comp_targetILNS1_3genE2ELNS1_11target_archE906ELNS1_3gpuE6ELNS1_3repE0EEENS1_52radix_sort_onesweep_histogram_config_static_selectorELNS0_4arch9wavefront6targetE0EEEvSD_,"axG",@progbits,_ZN7rocprim17ROCPRIM_400000_NS6detail17trampoline_kernelINS0_14default_configENS1_35radix_sort_onesweep_config_selectorIdNS0_10empty_typeEEEZNS1_34radix_sort_onesweep_global_offsetsIS3_Lb0EPKdPS5_mNS0_19identity_decomposerEEE10hipError_tT1_T2_PT3_SF_jT4_jjP12ihipStream_tbEUlT_E0_NS1_11comp_targetILNS1_3genE2ELNS1_11target_archE906ELNS1_3gpuE6ELNS1_3repE0EEENS1_52radix_sort_onesweep_histogram_config_static_selectorELNS0_4arch9wavefront6targetE0EEEvSD_,comdat
	.protected	_ZN7rocprim17ROCPRIM_400000_NS6detail17trampoline_kernelINS0_14default_configENS1_35radix_sort_onesweep_config_selectorIdNS0_10empty_typeEEEZNS1_34radix_sort_onesweep_global_offsetsIS3_Lb0EPKdPS5_mNS0_19identity_decomposerEEE10hipError_tT1_T2_PT3_SF_jT4_jjP12ihipStream_tbEUlT_E0_NS1_11comp_targetILNS1_3genE2ELNS1_11target_archE906ELNS1_3gpuE6ELNS1_3repE0EEENS1_52radix_sort_onesweep_histogram_config_static_selectorELNS0_4arch9wavefront6targetE0EEEvSD_ ; -- Begin function _ZN7rocprim17ROCPRIM_400000_NS6detail17trampoline_kernelINS0_14default_configENS1_35radix_sort_onesweep_config_selectorIdNS0_10empty_typeEEEZNS1_34radix_sort_onesweep_global_offsetsIS3_Lb0EPKdPS5_mNS0_19identity_decomposerEEE10hipError_tT1_T2_PT3_SF_jT4_jjP12ihipStream_tbEUlT_E0_NS1_11comp_targetILNS1_3genE2ELNS1_11target_archE906ELNS1_3gpuE6ELNS1_3repE0EEENS1_52radix_sort_onesweep_histogram_config_static_selectorELNS0_4arch9wavefront6targetE0EEEvSD_
	.globl	_ZN7rocprim17ROCPRIM_400000_NS6detail17trampoline_kernelINS0_14default_configENS1_35radix_sort_onesweep_config_selectorIdNS0_10empty_typeEEEZNS1_34radix_sort_onesweep_global_offsetsIS3_Lb0EPKdPS5_mNS0_19identity_decomposerEEE10hipError_tT1_T2_PT3_SF_jT4_jjP12ihipStream_tbEUlT_E0_NS1_11comp_targetILNS1_3genE2ELNS1_11target_archE906ELNS1_3gpuE6ELNS1_3repE0EEENS1_52radix_sort_onesweep_histogram_config_static_selectorELNS0_4arch9wavefront6targetE0EEEvSD_
	.p2align	8
	.type	_ZN7rocprim17ROCPRIM_400000_NS6detail17trampoline_kernelINS0_14default_configENS1_35radix_sort_onesweep_config_selectorIdNS0_10empty_typeEEEZNS1_34radix_sort_onesweep_global_offsetsIS3_Lb0EPKdPS5_mNS0_19identity_decomposerEEE10hipError_tT1_T2_PT3_SF_jT4_jjP12ihipStream_tbEUlT_E0_NS1_11comp_targetILNS1_3genE2ELNS1_11target_archE906ELNS1_3gpuE6ELNS1_3repE0EEENS1_52radix_sort_onesweep_histogram_config_static_selectorELNS0_4arch9wavefront6targetE0EEEvSD_,@function
_ZN7rocprim17ROCPRIM_400000_NS6detail17trampoline_kernelINS0_14default_configENS1_35radix_sort_onesweep_config_selectorIdNS0_10empty_typeEEEZNS1_34radix_sort_onesweep_global_offsetsIS3_Lb0EPKdPS5_mNS0_19identity_decomposerEEE10hipError_tT1_T2_PT3_SF_jT4_jjP12ihipStream_tbEUlT_E0_NS1_11comp_targetILNS1_3genE2ELNS1_11target_archE906ELNS1_3gpuE6ELNS1_3repE0EEENS1_52radix_sort_onesweep_histogram_config_static_selectorELNS0_4arch9wavefront6targetE0EEEvSD_: ; @_ZN7rocprim17ROCPRIM_400000_NS6detail17trampoline_kernelINS0_14default_configENS1_35radix_sort_onesweep_config_selectorIdNS0_10empty_typeEEEZNS1_34radix_sort_onesweep_global_offsetsIS3_Lb0EPKdPS5_mNS0_19identity_decomposerEEE10hipError_tT1_T2_PT3_SF_jT4_jjP12ihipStream_tbEUlT_E0_NS1_11comp_targetILNS1_3genE2ELNS1_11target_archE906ELNS1_3gpuE6ELNS1_3repE0EEENS1_52radix_sort_onesweep_histogram_config_static_selectorELNS0_4arch9wavefront6targetE0EEEvSD_
; %bb.0:
	.section	.rodata,"a",@progbits
	.p2align	6, 0x0
	.amdhsa_kernel _ZN7rocprim17ROCPRIM_400000_NS6detail17trampoline_kernelINS0_14default_configENS1_35radix_sort_onesweep_config_selectorIdNS0_10empty_typeEEEZNS1_34radix_sort_onesweep_global_offsetsIS3_Lb0EPKdPS5_mNS0_19identity_decomposerEEE10hipError_tT1_T2_PT3_SF_jT4_jjP12ihipStream_tbEUlT_E0_NS1_11comp_targetILNS1_3genE2ELNS1_11target_archE906ELNS1_3gpuE6ELNS1_3repE0EEENS1_52radix_sort_onesweep_histogram_config_static_selectorELNS0_4arch9wavefront6targetE0EEEvSD_
		.amdhsa_group_segment_fixed_size 0
		.amdhsa_private_segment_fixed_size 0
		.amdhsa_kernarg_size 8
		.amdhsa_user_sgpr_count 2
		.amdhsa_user_sgpr_dispatch_ptr 0
		.amdhsa_user_sgpr_queue_ptr 0
		.amdhsa_user_sgpr_kernarg_segment_ptr 1
		.amdhsa_user_sgpr_dispatch_id 0
		.amdhsa_user_sgpr_kernarg_preload_length 0
		.amdhsa_user_sgpr_kernarg_preload_offset 0
		.amdhsa_user_sgpr_private_segment_size 0
		.amdhsa_wavefront_size32 1
		.amdhsa_uses_dynamic_stack 0
		.amdhsa_enable_private_segment 0
		.amdhsa_system_sgpr_workgroup_id_x 1
		.amdhsa_system_sgpr_workgroup_id_y 0
		.amdhsa_system_sgpr_workgroup_id_z 0
		.amdhsa_system_sgpr_workgroup_info 0
		.amdhsa_system_vgpr_workitem_id 0
		.amdhsa_next_free_vgpr 1
		.amdhsa_next_free_sgpr 1
		.amdhsa_named_barrier_count 0
		.amdhsa_reserve_vcc 0
		.amdhsa_float_round_mode_32 0
		.amdhsa_float_round_mode_16_64 0
		.amdhsa_float_denorm_mode_32 3
		.amdhsa_float_denorm_mode_16_64 3
		.amdhsa_fp16_overflow 0
		.amdhsa_memory_ordered 1
		.amdhsa_forward_progress 1
		.amdhsa_inst_pref_size 0
		.amdhsa_round_robin_scheduling 0
		.amdhsa_exception_fp_ieee_invalid_op 0
		.amdhsa_exception_fp_denorm_src 0
		.amdhsa_exception_fp_ieee_div_zero 0
		.amdhsa_exception_fp_ieee_overflow 0
		.amdhsa_exception_fp_ieee_underflow 0
		.amdhsa_exception_fp_ieee_inexact 0
		.amdhsa_exception_int_div_zero 0
	.end_amdhsa_kernel
	.section	.text._ZN7rocprim17ROCPRIM_400000_NS6detail17trampoline_kernelINS0_14default_configENS1_35radix_sort_onesweep_config_selectorIdNS0_10empty_typeEEEZNS1_34radix_sort_onesweep_global_offsetsIS3_Lb0EPKdPS5_mNS0_19identity_decomposerEEE10hipError_tT1_T2_PT3_SF_jT4_jjP12ihipStream_tbEUlT_E0_NS1_11comp_targetILNS1_3genE2ELNS1_11target_archE906ELNS1_3gpuE6ELNS1_3repE0EEENS1_52radix_sort_onesweep_histogram_config_static_selectorELNS0_4arch9wavefront6targetE0EEEvSD_,"axG",@progbits,_ZN7rocprim17ROCPRIM_400000_NS6detail17trampoline_kernelINS0_14default_configENS1_35radix_sort_onesweep_config_selectorIdNS0_10empty_typeEEEZNS1_34radix_sort_onesweep_global_offsetsIS3_Lb0EPKdPS5_mNS0_19identity_decomposerEEE10hipError_tT1_T2_PT3_SF_jT4_jjP12ihipStream_tbEUlT_E0_NS1_11comp_targetILNS1_3genE2ELNS1_11target_archE906ELNS1_3gpuE6ELNS1_3repE0EEENS1_52radix_sort_onesweep_histogram_config_static_selectorELNS0_4arch9wavefront6targetE0EEEvSD_,comdat
.Lfunc_end1599:
	.size	_ZN7rocprim17ROCPRIM_400000_NS6detail17trampoline_kernelINS0_14default_configENS1_35radix_sort_onesweep_config_selectorIdNS0_10empty_typeEEEZNS1_34radix_sort_onesweep_global_offsetsIS3_Lb0EPKdPS5_mNS0_19identity_decomposerEEE10hipError_tT1_T2_PT3_SF_jT4_jjP12ihipStream_tbEUlT_E0_NS1_11comp_targetILNS1_3genE2ELNS1_11target_archE906ELNS1_3gpuE6ELNS1_3repE0EEENS1_52radix_sort_onesweep_histogram_config_static_selectorELNS0_4arch9wavefront6targetE0EEEvSD_, .Lfunc_end1599-_ZN7rocprim17ROCPRIM_400000_NS6detail17trampoline_kernelINS0_14default_configENS1_35radix_sort_onesweep_config_selectorIdNS0_10empty_typeEEEZNS1_34radix_sort_onesweep_global_offsetsIS3_Lb0EPKdPS5_mNS0_19identity_decomposerEEE10hipError_tT1_T2_PT3_SF_jT4_jjP12ihipStream_tbEUlT_E0_NS1_11comp_targetILNS1_3genE2ELNS1_11target_archE906ELNS1_3gpuE6ELNS1_3repE0EEENS1_52radix_sort_onesweep_histogram_config_static_selectorELNS0_4arch9wavefront6targetE0EEEvSD_
                                        ; -- End function
	.set _ZN7rocprim17ROCPRIM_400000_NS6detail17trampoline_kernelINS0_14default_configENS1_35radix_sort_onesweep_config_selectorIdNS0_10empty_typeEEEZNS1_34radix_sort_onesweep_global_offsetsIS3_Lb0EPKdPS5_mNS0_19identity_decomposerEEE10hipError_tT1_T2_PT3_SF_jT4_jjP12ihipStream_tbEUlT_E0_NS1_11comp_targetILNS1_3genE2ELNS1_11target_archE906ELNS1_3gpuE6ELNS1_3repE0EEENS1_52radix_sort_onesweep_histogram_config_static_selectorELNS0_4arch9wavefront6targetE0EEEvSD_.num_vgpr, 0
	.set _ZN7rocprim17ROCPRIM_400000_NS6detail17trampoline_kernelINS0_14default_configENS1_35radix_sort_onesweep_config_selectorIdNS0_10empty_typeEEEZNS1_34radix_sort_onesweep_global_offsetsIS3_Lb0EPKdPS5_mNS0_19identity_decomposerEEE10hipError_tT1_T2_PT3_SF_jT4_jjP12ihipStream_tbEUlT_E0_NS1_11comp_targetILNS1_3genE2ELNS1_11target_archE906ELNS1_3gpuE6ELNS1_3repE0EEENS1_52radix_sort_onesweep_histogram_config_static_selectorELNS0_4arch9wavefront6targetE0EEEvSD_.num_agpr, 0
	.set _ZN7rocprim17ROCPRIM_400000_NS6detail17trampoline_kernelINS0_14default_configENS1_35radix_sort_onesweep_config_selectorIdNS0_10empty_typeEEEZNS1_34radix_sort_onesweep_global_offsetsIS3_Lb0EPKdPS5_mNS0_19identity_decomposerEEE10hipError_tT1_T2_PT3_SF_jT4_jjP12ihipStream_tbEUlT_E0_NS1_11comp_targetILNS1_3genE2ELNS1_11target_archE906ELNS1_3gpuE6ELNS1_3repE0EEENS1_52radix_sort_onesweep_histogram_config_static_selectorELNS0_4arch9wavefront6targetE0EEEvSD_.numbered_sgpr, 0
	.set _ZN7rocprim17ROCPRIM_400000_NS6detail17trampoline_kernelINS0_14default_configENS1_35radix_sort_onesweep_config_selectorIdNS0_10empty_typeEEEZNS1_34radix_sort_onesweep_global_offsetsIS3_Lb0EPKdPS5_mNS0_19identity_decomposerEEE10hipError_tT1_T2_PT3_SF_jT4_jjP12ihipStream_tbEUlT_E0_NS1_11comp_targetILNS1_3genE2ELNS1_11target_archE906ELNS1_3gpuE6ELNS1_3repE0EEENS1_52radix_sort_onesweep_histogram_config_static_selectorELNS0_4arch9wavefront6targetE0EEEvSD_.num_named_barrier, 0
	.set _ZN7rocprim17ROCPRIM_400000_NS6detail17trampoline_kernelINS0_14default_configENS1_35radix_sort_onesweep_config_selectorIdNS0_10empty_typeEEEZNS1_34radix_sort_onesweep_global_offsetsIS3_Lb0EPKdPS5_mNS0_19identity_decomposerEEE10hipError_tT1_T2_PT3_SF_jT4_jjP12ihipStream_tbEUlT_E0_NS1_11comp_targetILNS1_3genE2ELNS1_11target_archE906ELNS1_3gpuE6ELNS1_3repE0EEENS1_52radix_sort_onesweep_histogram_config_static_selectorELNS0_4arch9wavefront6targetE0EEEvSD_.private_seg_size, 0
	.set _ZN7rocprim17ROCPRIM_400000_NS6detail17trampoline_kernelINS0_14default_configENS1_35radix_sort_onesweep_config_selectorIdNS0_10empty_typeEEEZNS1_34radix_sort_onesweep_global_offsetsIS3_Lb0EPKdPS5_mNS0_19identity_decomposerEEE10hipError_tT1_T2_PT3_SF_jT4_jjP12ihipStream_tbEUlT_E0_NS1_11comp_targetILNS1_3genE2ELNS1_11target_archE906ELNS1_3gpuE6ELNS1_3repE0EEENS1_52radix_sort_onesweep_histogram_config_static_selectorELNS0_4arch9wavefront6targetE0EEEvSD_.uses_vcc, 0
	.set _ZN7rocprim17ROCPRIM_400000_NS6detail17trampoline_kernelINS0_14default_configENS1_35radix_sort_onesweep_config_selectorIdNS0_10empty_typeEEEZNS1_34radix_sort_onesweep_global_offsetsIS3_Lb0EPKdPS5_mNS0_19identity_decomposerEEE10hipError_tT1_T2_PT3_SF_jT4_jjP12ihipStream_tbEUlT_E0_NS1_11comp_targetILNS1_3genE2ELNS1_11target_archE906ELNS1_3gpuE6ELNS1_3repE0EEENS1_52radix_sort_onesweep_histogram_config_static_selectorELNS0_4arch9wavefront6targetE0EEEvSD_.uses_flat_scratch, 0
	.set _ZN7rocprim17ROCPRIM_400000_NS6detail17trampoline_kernelINS0_14default_configENS1_35radix_sort_onesweep_config_selectorIdNS0_10empty_typeEEEZNS1_34radix_sort_onesweep_global_offsetsIS3_Lb0EPKdPS5_mNS0_19identity_decomposerEEE10hipError_tT1_T2_PT3_SF_jT4_jjP12ihipStream_tbEUlT_E0_NS1_11comp_targetILNS1_3genE2ELNS1_11target_archE906ELNS1_3gpuE6ELNS1_3repE0EEENS1_52radix_sort_onesweep_histogram_config_static_selectorELNS0_4arch9wavefront6targetE0EEEvSD_.has_dyn_sized_stack, 0
	.set _ZN7rocprim17ROCPRIM_400000_NS6detail17trampoline_kernelINS0_14default_configENS1_35radix_sort_onesweep_config_selectorIdNS0_10empty_typeEEEZNS1_34radix_sort_onesweep_global_offsetsIS3_Lb0EPKdPS5_mNS0_19identity_decomposerEEE10hipError_tT1_T2_PT3_SF_jT4_jjP12ihipStream_tbEUlT_E0_NS1_11comp_targetILNS1_3genE2ELNS1_11target_archE906ELNS1_3gpuE6ELNS1_3repE0EEENS1_52radix_sort_onesweep_histogram_config_static_selectorELNS0_4arch9wavefront6targetE0EEEvSD_.has_recursion, 0
	.set _ZN7rocprim17ROCPRIM_400000_NS6detail17trampoline_kernelINS0_14default_configENS1_35radix_sort_onesweep_config_selectorIdNS0_10empty_typeEEEZNS1_34radix_sort_onesweep_global_offsetsIS3_Lb0EPKdPS5_mNS0_19identity_decomposerEEE10hipError_tT1_T2_PT3_SF_jT4_jjP12ihipStream_tbEUlT_E0_NS1_11comp_targetILNS1_3genE2ELNS1_11target_archE906ELNS1_3gpuE6ELNS1_3repE0EEENS1_52radix_sort_onesweep_histogram_config_static_selectorELNS0_4arch9wavefront6targetE0EEEvSD_.has_indirect_call, 0
	.section	.AMDGPU.csdata,"",@progbits
; Kernel info:
; codeLenInByte = 0
; TotalNumSgprs: 0
; NumVgprs: 0
; ScratchSize: 0
; MemoryBound: 0
; FloatMode: 240
; IeeeMode: 1
; LDSByteSize: 0 bytes/workgroup (compile time only)
; SGPRBlocks: 0
; VGPRBlocks: 0
; NumSGPRsForWavesPerEU: 1
; NumVGPRsForWavesPerEU: 1
; NamedBarCnt: 0
; Occupancy: 16
; WaveLimiterHint : 0
; COMPUTE_PGM_RSRC2:SCRATCH_EN: 0
; COMPUTE_PGM_RSRC2:USER_SGPR: 2
; COMPUTE_PGM_RSRC2:TRAP_HANDLER: 0
; COMPUTE_PGM_RSRC2:TGID_X_EN: 1
; COMPUTE_PGM_RSRC2:TGID_Y_EN: 0
; COMPUTE_PGM_RSRC2:TGID_Z_EN: 0
; COMPUTE_PGM_RSRC2:TIDIG_COMP_CNT: 0
	.section	.text._ZN7rocprim17ROCPRIM_400000_NS6detail17trampoline_kernelINS0_14default_configENS1_35radix_sort_onesweep_config_selectorIdNS0_10empty_typeEEEZNS1_34radix_sort_onesweep_global_offsetsIS3_Lb0EPKdPS5_mNS0_19identity_decomposerEEE10hipError_tT1_T2_PT3_SF_jT4_jjP12ihipStream_tbEUlT_E0_NS1_11comp_targetILNS1_3genE4ELNS1_11target_archE910ELNS1_3gpuE8ELNS1_3repE0EEENS1_52radix_sort_onesweep_histogram_config_static_selectorELNS0_4arch9wavefront6targetE0EEEvSD_,"axG",@progbits,_ZN7rocprim17ROCPRIM_400000_NS6detail17trampoline_kernelINS0_14default_configENS1_35radix_sort_onesweep_config_selectorIdNS0_10empty_typeEEEZNS1_34radix_sort_onesweep_global_offsetsIS3_Lb0EPKdPS5_mNS0_19identity_decomposerEEE10hipError_tT1_T2_PT3_SF_jT4_jjP12ihipStream_tbEUlT_E0_NS1_11comp_targetILNS1_3genE4ELNS1_11target_archE910ELNS1_3gpuE8ELNS1_3repE0EEENS1_52radix_sort_onesweep_histogram_config_static_selectorELNS0_4arch9wavefront6targetE0EEEvSD_,comdat
	.protected	_ZN7rocprim17ROCPRIM_400000_NS6detail17trampoline_kernelINS0_14default_configENS1_35radix_sort_onesweep_config_selectorIdNS0_10empty_typeEEEZNS1_34radix_sort_onesweep_global_offsetsIS3_Lb0EPKdPS5_mNS0_19identity_decomposerEEE10hipError_tT1_T2_PT3_SF_jT4_jjP12ihipStream_tbEUlT_E0_NS1_11comp_targetILNS1_3genE4ELNS1_11target_archE910ELNS1_3gpuE8ELNS1_3repE0EEENS1_52radix_sort_onesweep_histogram_config_static_selectorELNS0_4arch9wavefront6targetE0EEEvSD_ ; -- Begin function _ZN7rocprim17ROCPRIM_400000_NS6detail17trampoline_kernelINS0_14default_configENS1_35radix_sort_onesweep_config_selectorIdNS0_10empty_typeEEEZNS1_34radix_sort_onesweep_global_offsetsIS3_Lb0EPKdPS5_mNS0_19identity_decomposerEEE10hipError_tT1_T2_PT3_SF_jT4_jjP12ihipStream_tbEUlT_E0_NS1_11comp_targetILNS1_3genE4ELNS1_11target_archE910ELNS1_3gpuE8ELNS1_3repE0EEENS1_52radix_sort_onesweep_histogram_config_static_selectorELNS0_4arch9wavefront6targetE0EEEvSD_
	.globl	_ZN7rocprim17ROCPRIM_400000_NS6detail17trampoline_kernelINS0_14default_configENS1_35radix_sort_onesweep_config_selectorIdNS0_10empty_typeEEEZNS1_34radix_sort_onesweep_global_offsetsIS3_Lb0EPKdPS5_mNS0_19identity_decomposerEEE10hipError_tT1_T2_PT3_SF_jT4_jjP12ihipStream_tbEUlT_E0_NS1_11comp_targetILNS1_3genE4ELNS1_11target_archE910ELNS1_3gpuE8ELNS1_3repE0EEENS1_52radix_sort_onesweep_histogram_config_static_selectorELNS0_4arch9wavefront6targetE0EEEvSD_
	.p2align	8
	.type	_ZN7rocprim17ROCPRIM_400000_NS6detail17trampoline_kernelINS0_14default_configENS1_35radix_sort_onesweep_config_selectorIdNS0_10empty_typeEEEZNS1_34radix_sort_onesweep_global_offsetsIS3_Lb0EPKdPS5_mNS0_19identity_decomposerEEE10hipError_tT1_T2_PT3_SF_jT4_jjP12ihipStream_tbEUlT_E0_NS1_11comp_targetILNS1_3genE4ELNS1_11target_archE910ELNS1_3gpuE8ELNS1_3repE0EEENS1_52radix_sort_onesweep_histogram_config_static_selectorELNS0_4arch9wavefront6targetE0EEEvSD_,@function
_ZN7rocprim17ROCPRIM_400000_NS6detail17trampoline_kernelINS0_14default_configENS1_35radix_sort_onesweep_config_selectorIdNS0_10empty_typeEEEZNS1_34radix_sort_onesweep_global_offsetsIS3_Lb0EPKdPS5_mNS0_19identity_decomposerEEE10hipError_tT1_T2_PT3_SF_jT4_jjP12ihipStream_tbEUlT_E0_NS1_11comp_targetILNS1_3genE4ELNS1_11target_archE910ELNS1_3gpuE8ELNS1_3repE0EEENS1_52radix_sort_onesweep_histogram_config_static_selectorELNS0_4arch9wavefront6targetE0EEEvSD_: ; @_ZN7rocprim17ROCPRIM_400000_NS6detail17trampoline_kernelINS0_14default_configENS1_35radix_sort_onesweep_config_selectorIdNS0_10empty_typeEEEZNS1_34radix_sort_onesweep_global_offsetsIS3_Lb0EPKdPS5_mNS0_19identity_decomposerEEE10hipError_tT1_T2_PT3_SF_jT4_jjP12ihipStream_tbEUlT_E0_NS1_11comp_targetILNS1_3genE4ELNS1_11target_archE910ELNS1_3gpuE8ELNS1_3repE0EEENS1_52radix_sort_onesweep_histogram_config_static_selectorELNS0_4arch9wavefront6targetE0EEEvSD_
; %bb.0:
	.section	.rodata,"a",@progbits
	.p2align	6, 0x0
	.amdhsa_kernel _ZN7rocprim17ROCPRIM_400000_NS6detail17trampoline_kernelINS0_14default_configENS1_35radix_sort_onesweep_config_selectorIdNS0_10empty_typeEEEZNS1_34radix_sort_onesweep_global_offsetsIS3_Lb0EPKdPS5_mNS0_19identity_decomposerEEE10hipError_tT1_T2_PT3_SF_jT4_jjP12ihipStream_tbEUlT_E0_NS1_11comp_targetILNS1_3genE4ELNS1_11target_archE910ELNS1_3gpuE8ELNS1_3repE0EEENS1_52radix_sort_onesweep_histogram_config_static_selectorELNS0_4arch9wavefront6targetE0EEEvSD_
		.amdhsa_group_segment_fixed_size 0
		.amdhsa_private_segment_fixed_size 0
		.amdhsa_kernarg_size 8
		.amdhsa_user_sgpr_count 2
		.amdhsa_user_sgpr_dispatch_ptr 0
		.amdhsa_user_sgpr_queue_ptr 0
		.amdhsa_user_sgpr_kernarg_segment_ptr 1
		.amdhsa_user_sgpr_dispatch_id 0
		.amdhsa_user_sgpr_kernarg_preload_length 0
		.amdhsa_user_sgpr_kernarg_preload_offset 0
		.amdhsa_user_sgpr_private_segment_size 0
		.amdhsa_wavefront_size32 1
		.amdhsa_uses_dynamic_stack 0
		.amdhsa_enable_private_segment 0
		.amdhsa_system_sgpr_workgroup_id_x 1
		.amdhsa_system_sgpr_workgroup_id_y 0
		.amdhsa_system_sgpr_workgroup_id_z 0
		.amdhsa_system_sgpr_workgroup_info 0
		.amdhsa_system_vgpr_workitem_id 0
		.amdhsa_next_free_vgpr 1
		.amdhsa_next_free_sgpr 1
		.amdhsa_named_barrier_count 0
		.amdhsa_reserve_vcc 0
		.amdhsa_float_round_mode_32 0
		.amdhsa_float_round_mode_16_64 0
		.amdhsa_float_denorm_mode_32 3
		.amdhsa_float_denorm_mode_16_64 3
		.amdhsa_fp16_overflow 0
		.amdhsa_memory_ordered 1
		.amdhsa_forward_progress 1
		.amdhsa_inst_pref_size 0
		.amdhsa_round_robin_scheduling 0
		.amdhsa_exception_fp_ieee_invalid_op 0
		.amdhsa_exception_fp_denorm_src 0
		.amdhsa_exception_fp_ieee_div_zero 0
		.amdhsa_exception_fp_ieee_overflow 0
		.amdhsa_exception_fp_ieee_underflow 0
		.amdhsa_exception_fp_ieee_inexact 0
		.amdhsa_exception_int_div_zero 0
	.end_amdhsa_kernel
	.section	.text._ZN7rocprim17ROCPRIM_400000_NS6detail17trampoline_kernelINS0_14default_configENS1_35radix_sort_onesweep_config_selectorIdNS0_10empty_typeEEEZNS1_34radix_sort_onesweep_global_offsetsIS3_Lb0EPKdPS5_mNS0_19identity_decomposerEEE10hipError_tT1_T2_PT3_SF_jT4_jjP12ihipStream_tbEUlT_E0_NS1_11comp_targetILNS1_3genE4ELNS1_11target_archE910ELNS1_3gpuE8ELNS1_3repE0EEENS1_52radix_sort_onesweep_histogram_config_static_selectorELNS0_4arch9wavefront6targetE0EEEvSD_,"axG",@progbits,_ZN7rocprim17ROCPRIM_400000_NS6detail17trampoline_kernelINS0_14default_configENS1_35radix_sort_onesweep_config_selectorIdNS0_10empty_typeEEEZNS1_34radix_sort_onesweep_global_offsetsIS3_Lb0EPKdPS5_mNS0_19identity_decomposerEEE10hipError_tT1_T2_PT3_SF_jT4_jjP12ihipStream_tbEUlT_E0_NS1_11comp_targetILNS1_3genE4ELNS1_11target_archE910ELNS1_3gpuE8ELNS1_3repE0EEENS1_52radix_sort_onesweep_histogram_config_static_selectorELNS0_4arch9wavefront6targetE0EEEvSD_,comdat
.Lfunc_end1600:
	.size	_ZN7rocprim17ROCPRIM_400000_NS6detail17trampoline_kernelINS0_14default_configENS1_35radix_sort_onesweep_config_selectorIdNS0_10empty_typeEEEZNS1_34radix_sort_onesweep_global_offsetsIS3_Lb0EPKdPS5_mNS0_19identity_decomposerEEE10hipError_tT1_T2_PT3_SF_jT4_jjP12ihipStream_tbEUlT_E0_NS1_11comp_targetILNS1_3genE4ELNS1_11target_archE910ELNS1_3gpuE8ELNS1_3repE0EEENS1_52radix_sort_onesweep_histogram_config_static_selectorELNS0_4arch9wavefront6targetE0EEEvSD_, .Lfunc_end1600-_ZN7rocprim17ROCPRIM_400000_NS6detail17trampoline_kernelINS0_14default_configENS1_35radix_sort_onesweep_config_selectorIdNS0_10empty_typeEEEZNS1_34radix_sort_onesweep_global_offsetsIS3_Lb0EPKdPS5_mNS0_19identity_decomposerEEE10hipError_tT1_T2_PT3_SF_jT4_jjP12ihipStream_tbEUlT_E0_NS1_11comp_targetILNS1_3genE4ELNS1_11target_archE910ELNS1_3gpuE8ELNS1_3repE0EEENS1_52radix_sort_onesweep_histogram_config_static_selectorELNS0_4arch9wavefront6targetE0EEEvSD_
                                        ; -- End function
	.set _ZN7rocprim17ROCPRIM_400000_NS6detail17trampoline_kernelINS0_14default_configENS1_35radix_sort_onesweep_config_selectorIdNS0_10empty_typeEEEZNS1_34radix_sort_onesweep_global_offsetsIS3_Lb0EPKdPS5_mNS0_19identity_decomposerEEE10hipError_tT1_T2_PT3_SF_jT4_jjP12ihipStream_tbEUlT_E0_NS1_11comp_targetILNS1_3genE4ELNS1_11target_archE910ELNS1_3gpuE8ELNS1_3repE0EEENS1_52radix_sort_onesweep_histogram_config_static_selectorELNS0_4arch9wavefront6targetE0EEEvSD_.num_vgpr, 0
	.set _ZN7rocprim17ROCPRIM_400000_NS6detail17trampoline_kernelINS0_14default_configENS1_35radix_sort_onesweep_config_selectorIdNS0_10empty_typeEEEZNS1_34radix_sort_onesweep_global_offsetsIS3_Lb0EPKdPS5_mNS0_19identity_decomposerEEE10hipError_tT1_T2_PT3_SF_jT4_jjP12ihipStream_tbEUlT_E0_NS1_11comp_targetILNS1_3genE4ELNS1_11target_archE910ELNS1_3gpuE8ELNS1_3repE0EEENS1_52radix_sort_onesweep_histogram_config_static_selectorELNS0_4arch9wavefront6targetE0EEEvSD_.num_agpr, 0
	.set _ZN7rocprim17ROCPRIM_400000_NS6detail17trampoline_kernelINS0_14default_configENS1_35radix_sort_onesweep_config_selectorIdNS0_10empty_typeEEEZNS1_34radix_sort_onesweep_global_offsetsIS3_Lb0EPKdPS5_mNS0_19identity_decomposerEEE10hipError_tT1_T2_PT3_SF_jT4_jjP12ihipStream_tbEUlT_E0_NS1_11comp_targetILNS1_3genE4ELNS1_11target_archE910ELNS1_3gpuE8ELNS1_3repE0EEENS1_52radix_sort_onesweep_histogram_config_static_selectorELNS0_4arch9wavefront6targetE0EEEvSD_.numbered_sgpr, 0
	.set _ZN7rocprim17ROCPRIM_400000_NS6detail17trampoline_kernelINS0_14default_configENS1_35radix_sort_onesweep_config_selectorIdNS0_10empty_typeEEEZNS1_34radix_sort_onesweep_global_offsetsIS3_Lb0EPKdPS5_mNS0_19identity_decomposerEEE10hipError_tT1_T2_PT3_SF_jT4_jjP12ihipStream_tbEUlT_E0_NS1_11comp_targetILNS1_3genE4ELNS1_11target_archE910ELNS1_3gpuE8ELNS1_3repE0EEENS1_52radix_sort_onesweep_histogram_config_static_selectorELNS0_4arch9wavefront6targetE0EEEvSD_.num_named_barrier, 0
	.set _ZN7rocprim17ROCPRIM_400000_NS6detail17trampoline_kernelINS0_14default_configENS1_35radix_sort_onesweep_config_selectorIdNS0_10empty_typeEEEZNS1_34radix_sort_onesweep_global_offsetsIS3_Lb0EPKdPS5_mNS0_19identity_decomposerEEE10hipError_tT1_T2_PT3_SF_jT4_jjP12ihipStream_tbEUlT_E0_NS1_11comp_targetILNS1_3genE4ELNS1_11target_archE910ELNS1_3gpuE8ELNS1_3repE0EEENS1_52radix_sort_onesweep_histogram_config_static_selectorELNS0_4arch9wavefront6targetE0EEEvSD_.private_seg_size, 0
	.set _ZN7rocprim17ROCPRIM_400000_NS6detail17trampoline_kernelINS0_14default_configENS1_35radix_sort_onesweep_config_selectorIdNS0_10empty_typeEEEZNS1_34radix_sort_onesweep_global_offsetsIS3_Lb0EPKdPS5_mNS0_19identity_decomposerEEE10hipError_tT1_T2_PT3_SF_jT4_jjP12ihipStream_tbEUlT_E0_NS1_11comp_targetILNS1_3genE4ELNS1_11target_archE910ELNS1_3gpuE8ELNS1_3repE0EEENS1_52radix_sort_onesweep_histogram_config_static_selectorELNS0_4arch9wavefront6targetE0EEEvSD_.uses_vcc, 0
	.set _ZN7rocprim17ROCPRIM_400000_NS6detail17trampoline_kernelINS0_14default_configENS1_35radix_sort_onesweep_config_selectorIdNS0_10empty_typeEEEZNS1_34radix_sort_onesweep_global_offsetsIS3_Lb0EPKdPS5_mNS0_19identity_decomposerEEE10hipError_tT1_T2_PT3_SF_jT4_jjP12ihipStream_tbEUlT_E0_NS1_11comp_targetILNS1_3genE4ELNS1_11target_archE910ELNS1_3gpuE8ELNS1_3repE0EEENS1_52radix_sort_onesweep_histogram_config_static_selectorELNS0_4arch9wavefront6targetE0EEEvSD_.uses_flat_scratch, 0
	.set _ZN7rocprim17ROCPRIM_400000_NS6detail17trampoline_kernelINS0_14default_configENS1_35radix_sort_onesweep_config_selectorIdNS0_10empty_typeEEEZNS1_34radix_sort_onesweep_global_offsetsIS3_Lb0EPKdPS5_mNS0_19identity_decomposerEEE10hipError_tT1_T2_PT3_SF_jT4_jjP12ihipStream_tbEUlT_E0_NS1_11comp_targetILNS1_3genE4ELNS1_11target_archE910ELNS1_3gpuE8ELNS1_3repE0EEENS1_52radix_sort_onesweep_histogram_config_static_selectorELNS0_4arch9wavefront6targetE0EEEvSD_.has_dyn_sized_stack, 0
	.set _ZN7rocprim17ROCPRIM_400000_NS6detail17trampoline_kernelINS0_14default_configENS1_35radix_sort_onesweep_config_selectorIdNS0_10empty_typeEEEZNS1_34radix_sort_onesweep_global_offsetsIS3_Lb0EPKdPS5_mNS0_19identity_decomposerEEE10hipError_tT1_T2_PT3_SF_jT4_jjP12ihipStream_tbEUlT_E0_NS1_11comp_targetILNS1_3genE4ELNS1_11target_archE910ELNS1_3gpuE8ELNS1_3repE0EEENS1_52radix_sort_onesweep_histogram_config_static_selectorELNS0_4arch9wavefront6targetE0EEEvSD_.has_recursion, 0
	.set _ZN7rocprim17ROCPRIM_400000_NS6detail17trampoline_kernelINS0_14default_configENS1_35radix_sort_onesweep_config_selectorIdNS0_10empty_typeEEEZNS1_34radix_sort_onesweep_global_offsetsIS3_Lb0EPKdPS5_mNS0_19identity_decomposerEEE10hipError_tT1_T2_PT3_SF_jT4_jjP12ihipStream_tbEUlT_E0_NS1_11comp_targetILNS1_3genE4ELNS1_11target_archE910ELNS1_3gpuE8ELNS1_3repE0EEENS1_52radix_sort_onesweep_histogram_config_static_selectorELNS0_4arch9wavefront6targetE0EEEvSD_.has_indirect_call, 0
	.section	.AMDGPU.csdata,"",@progbits
; Kernel info:
; codeLenInByte = 0
; TotalNumSgprs: 0
; NumVgprs: 0
; ScratchSize: 0
; MemoryBound: 0
; FloatMode: 240
; IeeeMode: 1
; LDSByteSize: 0 bytes/workgroup (compile time only)
; SGPRBlocks: 0
; VGPRBlocks: 0
; NumSGPRsForWavesPerEU: 1
; NumVGPRsForWavesPerEU: 1
; NamedBarCnt: 0
; Occupancy: 16
; WaveLimiterHint : 0
; COMPUTE_PGM_RSRC2:SCRATCH_EN: 0
; COMPUTE_PGM_RSRC2:USER_SGPR: 2
; COMPUTE_PGM_RSRC2:TRAP_HANDLER: 0
; COMPUTE_PGM_RSRC2:TGID_X_EN: 1
; COMPUTE_PGM_RSRC2:TGID_Y_EN: 0
; COMPUTE_PGM_RSRC2:TGID_Z_EN: 0
; COMPUTE_PGM_RSRC2:TIDIG_COMP_CNT: 0
	.section	.text._ZN7rocprim17ROCPRIM_400000_NS6detail17trampoline_kernelINS0_14default_configENS1_35radix_sort_onesweep_config_selectorIdNS0_10empty_typeEEEZNS1_34radix_sort_onesweep_global_offsetsIS3_Lb0EPKdPS5_mNS0_19identity_decomposerEEE10hipError_tT1_T2_PT3_SF_jT4_jjP12ihipStream_tbEUlT_E0_NS1_11comp_targetILNS1_3genE3ELNS1_11target_archE908ELNS1_3gpuE7ELNS1_3repE0EEENS1_52radix_sort_onesweep_histogram_config_static_selectorELNS0_4arch9wavefront6targetE0EEEvSD_,"axG",@progbits,_ZN7rocprim17ROCPRIM_400000_NS6detail17trampoline_kernelINS0_14default_configENS1_35radix_sort_onesweep_config_selectorIdNS0_10empty_typeEEEZNS1_34radix_sort_onesweep_global_offsetsIS3_Lb0EPKdPS5_mNS0_19identity_decomposerEEE10hipError_tT1_T2_PT3_SF_jT4_jjP12ihipStream_tbEUlT_E0_NS1_11comp_targetILNS1_3genE3ELNS1_11target_archE908ELNS1_3gpuE7ELNS1_3repE0EEENS1_52radix_sort_onesweep_histogram_config_static_selectorELNS0_4arch9wavefront6targetE0EEEvSD_,comdat
	.protected	_ZN7rocprim17ROCPRIM_400000_NS6detail17trampoline_kernelINS0_14default_configENS1_35radix_sort_onesweep_config_selectorIdNS0_10empty_typeEEEZNS1_34radix_sort_onesweep_global_offsetsIS3_Lb0EPKdPS5_mNS0_19identity_decomposerEEE10hipError_tT1_T2_PT3_SF_jT4_jjP12ihipStream_tbEUlT_E0_NS1_11comp_targetILNS1_3genE3ELNS1_11target_archE908ELNS1_3gpuE7ELNS1_3repE0EEENS1_52radix_sort_onesweep_histogram_config_static_selectorELNS0_4arch9wavefront6targetE0EEEvSD_ ; -- Begin function _ZN7rocprim17ROCPRIM_400000_NS6detail17trampoline_kernelINS0_14default_configENS1_35radix_sort_onesweep_config_selectorIdNS0_10empty_typeEEEZNS1_34radix_sort_onesweep_global_offsetsIS3_Lb0EPKdPS5_mNS0_19identity_decomposerEEE10hipError_tT1_T2_PT3_SF_jT4_jjP12ihipStream_tbEUlT_E0_NS1_11comp_targetILNS1_3genE3ELNS1_11target_archE908ELNS1_3gpuE7ELNS1_3repE0EEENS1_52radix_sort_onesweep_histogram_config_static_selectorELNS0_4arch9wavefront6targetE0EEEvSD_
	.globl	_ZN7rocprim17ROCPRIM_400000_NS6detail17trampoline_kernelINS0_14default_configENS1_35radix_sort_onesweep_config_selectorIdNS0_10empty_typeEEEZNS1_34radix_sort_onesweep_global_offsetsIS3_Lb0EPKdPS5_mNS0_19identity_decomposerEEE10hipError_tT1_T2_PT3_SF_jT4_jjP12ihipStream_tbEUlT_E0_NS1_11comp_targetILNS1_3genE3ELNS1_11target_archE908ELNS1_3gpuE7ELNS1_3repE0EEENS1_52radix_sort_onesweep_histogram_config_static_selectorELNS0_4arch9wavefront6targetE0EEEvSD_
	.p2align	8
	.type	_ZN7rocprim17ROCPRIM_400000_NS6detail17trampoline_kernelINS0_14default_configENS1_35radix_sort_onesweep_config_selectorIdNS0_10empty_typeEEEZNS1_34radix_sort_onesweep_global_offsetsIS3_Lb0EPKdPS5_mNS0_19identity_decomposerEEE10hipError_tT1_T2_PT3_SF_jT4_jjP12ihipStream_tbEUlT_E0_NS1_11comp_targetILNS1_3genE3ELNS1_11target_archE908ELNS1_3gpuE7ELNS1_3repE0EEENS1_52radix_sort_onesweep_histogram_config_static_selectorELNS0_4arch9wavefront6targetE0EEEvSD_,@function
_ZN7rocprim17ROCPRIM_400000_NS6detail17trampoline_kernelINS0_14default_configENS1_35radix_sort_onesweep_config_selectorIdNS0_10empty_typeEEEZNS1_34radix_sort_onesweep_global_offsetsIS3_Lb0EPKdPS5_mNS0_19identity_decomposerEEE10hipError_tT1_T2_PT3_SF_jT4_jjP12ihipStream_tbEUlT_E0_NS1_11comp_targetILNS1_3genE3ELNS1_11target_archE908ELNS1_3gpuE7ELNS1_3repE0EEENS1_52radix_sort_onesweep_histogram_config_static_selectorELNS0_4arch9wavefront6targetE0EEEvSD_: ; @_ZN7rocprim17ROCPRIM_400000_NS6detail17trampoline_kernelINS0_14default_configENS1_35radix_sort_onesweep_config_selectorIdNS0_10empty_typeEEEZNS1_34radix_sort_onesweep_global_offsetsIS3_Lb0EPKdPS5_mNS0_19identity_decomposerEEE10hipError_tT1_T2_PT3_SF_jT4_jjP12ihipStream_tbEUlT_E0_NS1_11comp_targetILNS1_3genE3ELNS1_11target_archE908ELNS1_3gpuE7ELNS1_3repE0EEENS1_52radix_sort_onesweep_histogram_config_static_selectorELNS0_4arch9wavefront6targetE0EEEvSD_
; %bb.0:
	.section	.rodata,"a",@progbits
	.p2align	6, 0x0
	.amdhsa_kernel _ZN7rocprim17ROCPRIM_400000_NS6detail17trampoline_kernelINS0_14default_configENS1_35radix_sort_onesweep_config_selectorIdNS0_10empty_typeEEEZNS1_34radix_sort_onesweep_global_offsetsIS3_Lb0EPKdPS5_mNS0_19identity_decomposerEEE10hipError_tT1_T2_PT3_SF_jT4_jjP12ihipStream_tbEUlT_E0_NS1_11comp_targetILNS1_3genE3ELNS1_11target_archE908ELNS1_3gpuE7ELNS1_3repE0EEENS1_52radix_sort_onesweep_histogram_config_static_selectorELNS0_4arch9wavefront6targetE0EEEvSD_
		.amdhsa_group_segment_fixed_size 0
		.amdhsa_private_segment_fixed_size 0
		.amdhsa_kernarg_size 8
		.amdhsa_user_sgpr_count 2
		.amdhsa_user_sgpr_dispatch_ptr 0
		.amdhsa_user_sgpr_queue_ptr 0
		.amdhsa_user_sgpr_kernarg_segment_ptr 1
		.amdhsa_user_sgpr_dispatch_id 0
		.amdhsa_user_sgpr_kernarg_preload_length 0
		.amdhsa_user_sgpr_kernarg_preload_offset 0
		.amdhsa_user_sgpr_private_segment_size 0
		.amdhsa_wavefront_size32 1
		.amdhsa_uses_dynamic_stack 0
		.amdhsa_enable_private_segment 0
		.amdhsa_system_sgpr_workgroup_id_x 1
		.amdhsa_system_sgpr_workgroup_id_y 0
		.amdhsa_system_sgpr_workgroup_id_z 0
		.amdhsa_system_sgpr_workgroup_info 0
		.amdhsa_system_vgpr_workitem_id 0
		.amdhsa_next_free_vgpr 1
		.amdhsa_next_free_sgpr 1
		.amdhsa_named_barrier_count 0
		.amdhsa_reserve_vcc 0
		.amdhsa_float_round_mode_32 0
		.amdhsa_float_round_mode_16_64 0
		.amdhsa_float_denorm_mode_32 3
		.amdhsa_float_denorm_mode_16_64 3
		.amdhsa_fp16_overflow 0
		.amdhsa_memory_ordered 1
		.amdhsa_forward_progress 1
		.amdhsa_inst_pref_size 0
		.amdhsa_round_robin_scheduling 0
		.amdhsa_exception_fp_ieee_invalid_op 0
		.amdhsa_exception_fp_denorm_src 0
		.amdhsa_exception_fp_ieee_div_zero 0
		.amdhsa_exception_fp_ieee_overflow 0
		.amdhsa_exception_fp_ieee_underflow 0
		.amdhsa_exception_fp_ieee_inexact 0
		.amdhsa_exception_int_div_zero 0
	.end_amdhsa_kernel
	.section	.text._ZN7rocprim17ROCPRIM_400000_NS6detail17trampoline_kernelINS0_14default_configENS1_35radix_sort_onesweep_config_selectorIdNS0_10empty_typeEEEZNS1_34radix_sort_onesweep_global_offsetsIS3_Lb0EPKdPS5_mNS0_19identity_decomposerEEE10hipError_tT1_T2_PT3_SF_jT4_jjP12ihipStream_tbEUlT_E0_NS1_11comp_targetILNS1_3genE3ELNS1_11target_archE908ELNS1_3gpuE7ELNS1_3repE0EEENS1_52radix_sort_onesweep_histogram_config_static_selectorELNS0_4arch9wavefront6targetE0EEEvSD_,"axG",@progbits,_ZN7rocprim17ROCPRIM_400000_NS6detail17trampoline_kernelINS0_14default_configENS1_35radix_sort_onesweep_config_selectorIdNS0_10empty_typeEEEZNS1_34radix_sort_onesweep_global_offsetsIS3_Lb0EPKdPS5_mNS0_19identity_decomposerEEE10hipError_tT1_T2_PT3_SF_jT4_jjP12ihipStream_tbEUlT_E0_NS1_11comp_targetILNS1_3genE3ELNS1_11target_archE908ELNS1_3gpuE7ELNS1_3repE0EEENS1_52radix_sort_onesweep_histogram_config_static_selectorELNS0_4arch9wavefront6targetE0EEEvSD_,comdat
.Lfunc_end1601:
	.size	_ZN7rocprim17ROCPRIM_400000_NS6detail17trampoline_kernelINS0_14default_configENS1_35radix_sort_onesweep_config_selectorIdNS0_10empty_typeEEEZNS1_34radix_sort_onesweep_global_offsetsIS3_Lb0EPKdPS5_mNS0_19identity_decomposerEEE10hipError_tT1_T2_PT3_SF_jT4_jjP12ihipStream_tbEUlT_E0_NS1_11comp_targetILNS1_3genE3ELNS1_11target_archE908ELNS1_3gpuE7ELNS1_3repE0EEENS1_52radix_sort_onesweep_histogram_config_static_selectorELNS0_4arch9wavefront6targetE0EEEvSD_, .Lfunc_end1601-_ZN7rocprim17ROCPRIM_400000_NS6detail17trampoline_kernelINS0_14default_configENS1_35radix_sort_onesweep_config_selectorIdNS0_10empty_typeEEEZNS1_34radix_sort_onesweep_global_offsetsIS3_Lb0EPKdPS5_mNS0_19identity_decomposerEEE10hipError_tT1_T2_PT3_SF_jT4_jjP12ihipStream_tbEUlT_E0_NS1_11comp_targetILNS1_3genE3ELNS1_11target_archE908ELNS1_3gpuE7ELNS1_3repE0EEENS1_52radix_sort_onesweep_histogram_config_static_selectorELNS0_4arch9wavefront6targetE0EEEvSD_
                                        ; -- End function
	.set _ZN7rocprim17ROCPRIM_400000_NS6detail17trampoline_kernelINS0_14default_configENS1_35radix_sort_onesweep_config_selectorIdNS0_10empty_typeEEEZNS1_34radix_sort_onesweep_global_offsetsIS3_Lb0EPKdPS5_mNS0_19identity_decomposerEEE10hipError_tT1_T2_PT3_SF_jT4_jjP12ihipStream_tbEUlT_E0_NS1_11comp_targetILNS1_3genE3ELNS1_11target_archE908ELNS1_3gpuE7ELNS1_3repE0EEENS1_52radix_sort_onesweep_histogram_config_static_selectorELNS0_4arch9wavefront6targetE0EEEvSD_.num_vgpr, 0
	.set _ZN7rocprim17ROCPRIM_400000_NS6detail17trampoline_kernelINS0_14default_configENS1_35radix_sort_onesweep_config_selectorIdNS0_10empty_typeEEEZNS1_34radix_sort_onesweep_global_offsetsIS3_Lb0EPKdPS5_mNS0_19identity_decomposerEEE10hipError_tT1_T2_PT3_SF_jT4_jjP12ihipStream_tbEUlT_E0_NS1_11comp_targetILNS1_3genE3ELNS1_11target_archE908ELNS1_3gpuE7ELNS1_3repE0EEENS1_52radix_sort_onesweep_histogram_config_static_selectorELNS0_4arch9wavefront6targetE0EEEvSD_.num_agpr, 0
	.set _ZN7rocprim17ROCPRIM_400000_NS6detail17trampoline_kernelINS0_14default_configENS1_35radix_sort_onesweep_config_selectorIdNS0_10empty_typeEEEZNS1_34radix_sort_onesweep_global_offsetsIS3_Lb0EPKdPS5_mNS0_19identity_decomposerEEE10hipError_tT1_T2_PT3_SF_jT4_jjP12ihipStream_tbEUlT_E0_NS1_11comp_targetILNS1_3genE3ELNS1_11target_archE908ELNS1_3gpuE7ELNS1_3repE0EEENS1_52radix_sort_onesweep_histogram_config_static_selectorELNS0_4arch9wavefront6targetE0EEEvSD_.numbered_sgpr, 0
	.set _ZN7rocprim17ROCPRIM_400000_NS6detail17trampoline_kernelINS0_14default_configENS1_35radix_sort_onesweep_config_selectorIdNS0_10empty_typeEEEZNS1_34radix_sort_onesweep_global_offsetsIS3_Lb0EPKdPS5_mNS0_19identity_decomposerEEE10hipError_tT1_T2_PT3_SF_jT4_jjP12ihipStream_tbEUlT_E0_NS1_11comp_targetILNS1_3genE3ELNS1_11target_archE908ELNS1_3gpuE7ELNS1_3repE0EEENS1_52radix_sort_onesweep_histogram_config_static_selectorELNS0_4arch9wavefront6targetE0EEEvSD_.num_named_barrier, 0
	.set _ZN7rocprim17ROCPRIM_400000_NS6detail17trampoline_kernelINS0_14default_configENS1_35radix_sort_onesweep_config_selectorIdNS0_10empty_typeEEEZNS1_34radix_sort_onesweep_global_offsetsIS3_Lb0EPKdPS5_mNS0_19identity_decomposerEEE10hipError_tT1_T2_PT3_SF_jT4_jjP12ihipStream_tbEUlT_E0_NS1_11comp_targetILNS1_3genE3ELNS1_11target_archE908ELNS1_3gpuE7ELNS1_3repE0EEENS1_52radix_sort_onesweep_histogram_config_static_selectorELNS0_4arch9wavefront6targetE0EEEvSD_.private_seg_size, 0
	.set _ZN7rocprim17ROCPRIM_400000_NS6detail17trampoline_kernelINS0_14default_configENS1_35radix_sort_onesweep_config_selectorIdNS0_10empty_typeEEEZNS1_34radix_sort_onesweep_global_offsetsIS3_Lb0EPKdPS5_mNS0_19identity_decomposerEEE10hipError_tT1_T2_PT3_SF_jT4_jjP12ihipStream_tbEUlT_E0_NS1_11comp_targetILNS1_3genE3ELNS1_11target_archE908ELNS1_3gpuE7ELNS1_3repE0EEENS1_52radix_sort_onesweep_histogram_config_static_selectorELNS0_4arch9wavefront6targetE0EEEvSD_.uses_vcc, 0
	.set _ZN7rocprim17ROCPRIM_400000_NS6detail17trampoline_kernelINS0_14default_configENS1_35radix_sort_onesweep_config_selectorIdNS0_10empty_typeEEEZNS1_34radix_sort_onesweep_global_offsetsIS3_Lb0EPKdPS5_mNS0_19identity_decomposerEEE10hipError_tT1_T2_PT3_SF_jT4_jjP12ihipStream_tbEUlT_E0_NS1_11comp_targetILNS1_3genE3ELNS1_11target_archE908ELNS1_3gpuE7ELNS1_3repE0EEENS1_52radix_sort_onesweep_histogram_config_static_selectorELNS0_4arch9wavefront6targetE0EEEvSD_.uses_flat_scratch, 0
	.set _ZN7rocprim17ROCPRIM_400000_NS6detail17trampoline_kernelINS0_14default_configENS1_35radix_sort_onesweep_config_selectorIdNS0_10empty_typeEEEZNS1_34radix_sort_onesweep_global_offsetsIS3_Lb0EPKdPS5_mNS0_19identity_decomposerEEE10hipError_tT1_T2_PT3_SF_jT4_jjP12ihipStream_tbEUlT_E0_NS1_11comp_targetILNS1_3genE3ELNS1_11target_archE908ELNS1_3gpuE7ELNS1_3repE0EEENS1_52radix_sort_onesweep_histogram_config_static_selectorELNS0_4arch9wavefront6targetE0EEEvSD_.has_dyn_sized_stack, 0
	.set _ZN7rocprim17ROCPRIM_400000_NS6detail17trampoline_kernelINS0_14default_configENS1_35radix_sort_onesweep_config_selectorIdNS0_10empty_typeEEEZNS1_34radix_sort_onesweep_global_offsetsIS3_Lb0EPKdPS5_mNS0_19identity_decomposerEEE10hipError_tT1_T2_PT3_SF_jT4_jjP12ihipStream_tbEUlT_E0_NS1_11comp_targetILNS1_3genE3ELNS1_11target_archE908ELNS1_3gpuE7ELNS1_3repE0EEENS1_52radix_sort_onesweep_histogram_config_static_selectorELNS0_4arch9wavefront6targetE0EEEvSD_.has_recursion, 0
	.set _ZN7rocprim17ROCPRIM_400000_NS6detail17trampoline_kernelINS0_14default_configENS1_35radix_sort_onesweep_config_selectorIdNS0_10empty_typeEEEZNS1_34radix_sort_onesweep_global_offsetsIS3_Lb0EPKdPS5_mNS0_19identity_decomposerEEE10hipError_tT1_T2_PT3_SF_jT4_jjP12ihipStream_tbEUlT_E0_NS1_11comp_targetILNS1_3genE3ELNS1_11target_archE908ELNS1_3gpuE7ELNS1_3repE0EEENS1_52radix_sort_onesweep_histogram_config_static_selectorELNS0_4arch9wavefront6targetE0EEEvSD_.has_indirect_call, 0
	.section	.AMDGPU.csdata,"",@progbits
; Kernel info:
; codeLenInByte = 0
; TotalNumSgprs: 0
; NumVgprs: 0
; ScratchSize: 0
; MemoryBound: 0
; FloatMode: 240
; IeeeMode: 1
; LDSByteSize: 0 bytes/workgroup (compile time only)
; SGPRBlocks: 0
; VGPRBlocks: 0
; NumSGPRsForWavesPerEU: 1
; NumVGPRsForWavesPerEU: 1
; NamedBarCnt: 0
; Occupancy: 16
; WaveLimiterHint : 0
; COMPUTE_PGM_RSRC2:SCRATCH_EN: 0
; COMPUTE_PGM_RSRC2:USER_SGPR: 2
; COMPUTE_PGM_RSRC2:TRAP_HANDLER: 0
; COMPUTE_PGM_RSRC2:TGID_X_EN: 1
; COMPUTE_PGM_RSRC2:TGID_Y_EN: 0
; COMPUTE_PGM_RSRC2:TGID_Z_EN: 0
; COMPUTE_PGM_RSRC2:TIDIG_COMP_CNT: 0
	.section	.text._ZN7rocprim17ROCPRIM_400000_NS6detail17trampoline_kernelINS0_14default_configENS1_35radix_sort_onesweep_config_selectorIdNS0_10empty_typeEEEZNS1_34radix_sort_onesweep_global_offsetsIS3_Lb0EPKdPS5_mNS0_19identity_decomposerEEE10hipError_tT1_T2_PT3_SF_jT4_jjP12ihipStream_tbEUlT_E0_NS1_11comp_targetILNS1_3genE10ELNS1_11target_archE1201ELNS1_3gpuE5ELNS1_3repE0EEENS1_52radix_sort_onesweep_histogram_config_static_selectorELNS0_4arch9wavefront6targetE0EEEvSD_,"axG",@progbits,_ZN7rocprim17ROCPRIM_400000_NS6detail17trampoline_kernelINS0_14default_configENS1_35radix_sort_onesweep_config_selectorIdNS0_10empty_typeEEEZNS1_34radix_sort_onesweep_global_offsetsIS3_Lb0EPKdPS5_mNS0_19identity_decomposerEEE10hipError_tT1_T2_PT3_SF_jT4_jjP12ihipStream_tbEUlT_E0_NS1_11comp_targetILNS1_3genE10ELNS1_11target_archE1201ELNS1_3gpuE5ELNS1_3repE0EEENS1_52radix_sort_onesweep_histogram_config_static_selectorELNS0_4arch9wavefront6targetE0EEEvSD_,comdat
	.protected	_ZN7rocprim17ROCPRIM_400000_NS6detail17trampoline_kernelINS0_14default_configENS1_35radix_sort_onesweep_config_selectorIdNS0_10empty_typeEEEZNS1_34radix_sort_onesweep_global_offsetsIS3_Lb0EPKdPS5_mNS0_19identity_decomposerEEE10hipError_tT1_T2_PT3_SF_jT4_jjP12ihipStream_tbEUlT_E0_NS1_11comp_targetILNS1_3genE10ELNS1_11target_archE1201ELNS1_3gpuE5ELNS1_3repE0EEENS1_52radix_sort_onesweep_histogram_config_static_selectorELNS0_4arch9wavefront6targetE0EEEvSD_ ; -- Begin function _ZN7rocprim17ROCPRIM_400000_NS6detail17trampoline_kernelINS0_14default_configENS1_35radix_sort_onesweep_config_selectorIdNS0_10empty_typeEEEZNS1_34radix_sort_onesweep_global_offsetsIS3_Lb0EPKdPS5_mNS0_19identity_decomposerEEE10hipError_tT1_T2_PT3_SF_jT4_jjP12ihipStream_tbEUlT_E0_NS1_11comp_targetILNS1_3genE10ELNS1_11target_archE1201ELNS1_3gpuE5ELNS1_3repE0EEENS1_52radix_sort_onesweep_histogram_config_static_selectorELNS0_4arch9wavefront6targetE0EEEvSD_
	.globl	_ZN7rocprim17ROCPRIM_400000_NS6detail17trampoline_kernelINS0_14default_configENS1_35radix_sort_onesweep_config_selectorIdNS0_10empty_typeEEEZNS1_34radix_sort_onesweep_global_offsetsIS3_Lb0EPKdPS5_mNS0_19identity_decomposerEEE10hipError_tT1_T2_PT3_SF_jT4_jjP12ihipStream_tbEUlT_E0_NS1_11comp_targetILNS1_3genE10ELNS1_11target_archE1201ELNS1_3gpuE5ELNS1_3repE0EEENS1_52radix_sort_onesweep_histogram_config_static_selectorELNS0_4arch9wavefront6targetE0EEEvSD_
	.p2align	8
	.type	_ZN7rocprim17ROCPRIM_400000_NS6detail17trampoline_kernelINS0_14default_configENS1_35radix_sort_onesweep_config_selectorIdNS0_10empty_typeEEEZNS1_34radix_sort_onesweep_global_offsetsIS3_Lb0EPKdPS5_mNS0_19identity_decomposerEEE10hipError_tT1_T2_PT3_SF_jT4_jjP12ihipStream_tbEUlT_E0_NS1_11comp_targetILNS1_3genE10ELNS1_11target_archE1201ELNS1_3gpuE5ELNS1_3repE0EEENS1_52radix_sort_onesweep_histogram_config_static_selectorELNS0_4arch9wavefront6targetE0EEEvSD_,@function
_ZN7rocprim17ROCPRIM_400000_NS6detail17trampoline_kernelINS0_14default_configENS1_35radix_sort_onesweep_config_selectorIdNS0_10empty_typeEEEZNS1_34radix_sort_onesweep_global_offsetsIS3_Lb0EPKdPS5_mNS0_19identity_decomposerEEE10hipError_tT1_T2_PT3_SF_jT4_jjP12ihipStream_tbEUlT_E0_NS1_11comp_targetILNS1_3genE10ELNS1_11target_archE1201ELNS1_3gpuE5ELNS1_3repE0EEENS1_52radix_sort_onesweep_histogram_config_static_selectorELNS0_4arch9wavefront6targetE0EEEvSD_: ; @_ZN7rocprim17ROCPRIM_400000_NS6detail17trampoline_kernelINS0_14default_configENS1_35radix_sort_onesweep_config_selectorIdNS0_10empty_typeEEEZNS1_34radix_sort_onesweep_global_offsetsIS3_Lb0EPKdPS5_mNS0_19identity_decomposerEEE10hipError_tT1_T2_PT3_SF_jT4_jjP12ihipStream_tbEUlT_E0_NS1_11comp_targetILNS1_3genE10ELNS1_11target_archE1201ELNS1_3gpuE5ELNS1_3repE0EEENS1_52radix_sort_onesweep_histogram_config_static_selectorELNS0_4arch9wavefront6targetE0EEEvSD_
; %bb.0:
	.section	.rodata,"a",@progbits
	.p2align	6, 0x0
	.amdhsa_kernel _ZN7rocprim17ROCPRIM_400000_NS6detail17trampoline_kernelINS0_14default_configENS1_35radix_sort_onesweep_config_selectorIdNS0_10empty_typeEEEZNS1_34radix_sort_onesweep_global_offsetsIS3_Lb0EPKdPS5_mNS0_19identity_decomposerEEE10hipError_tT1_T2_PT3_SF_jT4_jjP12ihipStream_tbEUlT_E0_NS1_11comp_targetILNS1_3genE10ELNS1_11target_archE1201ELNS1_3gpuE5ELNS1_3repE0EEENS1_52radix_sort_onesweep_histogram_config_static_selectorELNS0_4arch9wavefront6targetE0EEEvSD_
		.amdhsa_group_segment_fixed_size 0
		.amdhsa_private_segment_fixed_size 0
		.amdhsa_kernarg_size 8
		.amdhsa_user_sgpr_count 2
		.amdhsa_user_sgpr_dispatch_ptr 0
		.amdhsa_user_sgpr_queue_ptr 0
		.amdhsa_user_sgpr_kernarg_segment_ptr 1
		.amdhsa_user_sgpr_dispatch_id 0
		.amdhsa_user_sgpr_kernarg_preload_length 0
		.amdhsa_user_sgpr_kernarg_preload_offset 0
		.amdhsa_user_sgpr_private_segment_size 0
		.amdhsa_wavefront_size32 1
		.amdhsa_uses_dynamic_stack 0
		.amdhsa_enable_private_segment 0
		.amdhsa_system_sgpr_workgroup_id_x 1
		.amdhsa_system_sgpr_workgroup_id_y 0
		.amdhsa_system_sgpr_workgroup_id_z 0
		.amdhsa_system_sgpr_workgroup_info 0
		.amdhsa_system_vgpr_workitem_id 0
		.amdhsa_next_free_vgpr 1
		.amdhsa_next_free_sgpr 1
		.amdhsa_named_barrier_count 0
		.amdhsa_reserve_vcc 0
		.amdhsa_float_round_mode_32 0
		.amdhsa_float_round_mode_16_64 0
		.amdhsa_float_denorm_mode_32 3
		.amdhsa_float_denorm_mode_16_64 3
		.amdhsa_fp16_overflow 0
		.amdhsa_memory_ordered 1
		.amdhsa_forward_progress 1
		.amdhsa_inst_pref_size 0
		.amdhsa_round_robin_scheduling 0
		.amdhsa_exception_fp_ieee_invalid_op 0
		.amdhsa_exception_fp_denorm_src 0
		.amdhsa_exception_fp_ieee_div_zero 0
		.amdhsa_exception_fp_ieee_overflow 0
		.amdhsa_exception_fp_ieee_underflow 0
		.amdhsa_exception_fp_ieee_inexact 0
		.amdhsa_exception_int_div_zero 0
	.end_amdhsa_kernel
	.section	.text._ZN7rocprim17ROCPRIM_400000_NS6detail17trampoline_kernelINS0_14default_configENS1_35radix_sort_onesweep_config_selectorIdNS0_10empty_typeEEEZNS1_34radix_sort_onesweep_global_offsetsIS3_Lb0EPKdPS5_mNS0_19identity_decomposerEEE10hipError_tT1_T2_PT3_SF_jT4_jjP12ihipStream_tbEUlT_E0_NS1_11comp_targetILNS1_3genE10ELNS1_11target_archE1201ELNS1_3gpuE5ELNS1_3repE0EEENS1_52radix_sort_onesweep_histogram_config_static_selectorELNS0_4arch9wavefront6targetE0EEEvSD_,"axG",@progbits,_ZN7rocprim17ROCPRIM_400000_NS6detail17trampoline_kernelINS0_14default_configENS1_35radix_sort_onesweep_config_selectorIdNS0_10empty_typeEEEZNS1_34radix_sort_onesweep_global_offsetsIS3_Lb0EPKdPS5_mNS0_19identity_decomposerEEE10hipError_tT1_T2_PT3_SF_jT4_jjP12ihipStream_tbEUlT_E0_NS1_11comp_targetILNS1_3genE10ELNS1_11target_archE1201ELNS1_3gpuE5ELNS1_3repE0EEENS1_52radix_sort_onesweep_histogram_config_static_selectorELNS0_4arch9wavefront6targetE0EEEvSD_,comdat
.Lfunc_end1602:
	.size	_ZN7rocprim17ROCPRIM_400000_NS6detail17trampoline_kernelINS0_14default_configENS1_35radix_sort_onesweep_config_selectorIdNS0_10empty_typeEEEZNS1_34radix_sort_onesweep_global_offsetsIS3_Lb0EPKdPS5_mNS0_19identity_decomposerEEE10hipError_tT1_T2_PT3_SF_jT4_jjP12ihipStream_tbEUlT_E0_NS1_11comp_targetILNS1_3genE10ELNS1_11target_archE1201ELNS1_3gpuE5ELNS1_3repE0EEENS1_52radix_sort_onesweep_histogram_config_static_selectorELNS0_4arch9wavefront6targetE0EEEvSD_, .Lfunc_end1602-_ZN7rocprim17ROCPRIM_400000_NS6detail17trampoline_kernelINS0_14default_configENS1_35radix_sort_onesweep_config_selectorIdNS0_10empty_typeEEEZNS1_34radix_sort_onesweep_global_offsetsIS3_Lb0EPKdPS5_mNS0_19identity_decomposerEEE10hipError_tT1_T2_PT3_SF_jT4_jjP12ihipStream_tbEUlT_E0_NS1_11comp_targetILNS1_3genE10ELNS1_11target_archE1201ELNS1_3gpuE5ELNS1_3repE0EEENS1_52radix_sort_onesweep_histogram_config_static_selectorELNS0_4arch9wavefront6targetE0EEEvSD_
                                        ; -- End function
	.set _ZN7rocprim17ROCPRIM_400000_NS6detail17trampoline_kernelINS0_14default_configENS1_35radix_sort_onesweep_config_selectorIdNS0_10empty_typeEEEZNS1_34radix_sort_onesweep_global_offsetsIS3_Lb0EPKdPS5_mNS0_19identity_decomposerEEE10hipError_tT1_T2_PT3_SF_jT4_jjP12ihipStream_tbEUlT_E0_NS1_11comp_targetILNS1_3genE10ELNS1_11target_archE1201ELNS1_3gpuE5ELNS1_3repE0EEENS1_52radix_sort_onesweep_histogram_config_static_selectorELNS0_4arch9wavefront6targetE0EEEvSD_.num_vgpr, 0
	.set _ZN7rocprim17ROCPRIM_400000_NS6detail17trampoline_kernelINS0_14default_configENS1_35radix_sort_onesweep_config_selectorIdNS0_10empty_typeEEEZNS1_34radix_sort_onesweep_global_offsetsIS3_Lb0EPKdPS5_mNS0_19identity_decomposerEEE10hipError_tT1_T2_PT3_SF_jT4_jjP12ihipStream_tbEUlT_E0_NS1_11comp_targetILNS1_3genE10ELNS1_11target_archE1201ELNS1_3gpuE5ELNS1_3repE0EEENS1_52radix_sort_onesweep_histogram_config_static_selectorELNS0_4arch9wavefront6targetE0EEEvSD_.num_agpr, 0
	.set _ZN7rocprim17ROCPRIM_400000_NS6detail17trampoline_kernelINS0_14default_configENS1_35radix_sort_onesweep_config_selectorIdNS0_10empty_typeEEEZNS1_34radix_sort_onesweep_global_offsetsIS3_Lb0EPKdPS5_mNS0_19identity_decomposerEEE10hipError_tT1_T2_PT3_SF_jT4_jjP12ihipStream_tbEUlT_E0_NS1_11comp_targetILNS1_3genE10ELNS1_11target_archE1201ELNS1_3gpuE5ELNS1_3repE0EEENS1_52radix_sort_onesweep_histogram_config_static_selectorELNS0_4arch9wavefront6targetE0EEEvSD_.numbered_sgpr, 0
	.set _ZN7rocprim17ROCPRIM_400000_NS6detail17trampoline_kernelINS0_14default_configENS1_35radix_sort_onesweep_config_selectorIdNS0_10empty_typeEEEZNS1_34radix_sort_onesweep_global_offsetsIS3_Lb0EPKdPS5_mNS0_19identity_decomposerEEE10hipError_tT1_T2_PT3_SF_jT4_jjP12ihipStream_tbEUlT_E0_NS1_11comp_targetILNS1_3genE10ELNS1_11target_archE1201ELNS1_3gpuE5ELNS1_3repE0EEENS1_52radix_sort_onesweep_histogram_config_static_selectorELNS0_4arch9wavefront6targetE0EEEvSD_.num_named_barrier, 0
	.set _ZN7rocprim17ROCPRIM_400000_NS6detail17trampoline_kernelINS0_14default_configENS1_35radix_sort_onesweep_config_selectorIdNS0_10empty_typeEEEZNS1_34radix_sort_onesweep_global_offsetsIS3_Lb0EPKdPS5_mNS0_19identity_decomposerEEE10hipError_tT1_T2_PT3_SF_jT4_jjP12ihipStream_tbEUlT_E0_NS1_11comp_targetILNS1_3genE10ELNS1_11target_archE1201ELNS1_3gpuE5ELNS1_3repE0EEENS1_52radix_sort_onesweep_histogram_config_static_selectorELNS0_4arch9wavefront6targetE0EEEvSD_.private_seg_size, 0
	.set _ZN7rocprim17ROCPRIM_400000_NS6detail17trampoline_kernelINS0_14default_configENS1_35radix_sort_onesweep_config_selectorIdNS0_10empty_typeEEEZNS1_34radix_sort_onesweep_global_offsetsIS3_Lb0EPKdPS5_mNS0_19identity_decomposerEEE10hipError_tT1_T2_PT3_SF_jT4_jjP12ihipStream_tbEUlT_E0_NS1_11comp_targetILNS1_3genE10ELNS1_11target_archE1201ELNS1_3gpuE5ELNS1_3repE0EEENS1_52radix_sort_onesweep_histogram_config_static_selectorELNS0_4arch9wavefront6targetE0EEEvSD_.uses_vcc, 0
	.set _ZN7rocprim17ROCPRIM_400000_NS6detail17trampoline_kernelINS0_14default_configENS1_35radix_sort_onesweep_config_selectorIdNS0_10empty_typeEEEZNS1_34radix_sort_onesweep_global_offsetsIS3_Lb0EPKdPS5_mNS0_19identity_decomposerEEE10hipError_tT1_T2_PT3_SF_jT4_jjP12ihipStream_tbEUlT_E0_NS1_11comp_targetILNS1_3genE10ELNS1_11target_archE1201ELNS1_3gpuE5ELNS1_3repE0EEENS1_52radix_sort_onesweep_histogram_config_static_selectorELNS0_4arch9wavefront6targetE0EEEvSD_.uses_flat_scratch, 0
	.set _ZN7rocprim17ROCPRIM_400000_NS6detail17trampoline_kernelINS0_14default_configENS1_35radix_sort_onesweep_config_selectorIdNS0_10empty_typeEEEZNS1_34radix_sort_onesweep_global_offsetsIS3_Lb0EPKdPS5_mNS0_19identity_decomposerEEE10hipError_tT1_T2_PT3_SF_jT4_jjP12ihipStream_tbEUlT_E0_NS1_11comp_targetILNS1_3genE10ELNS1_11target_archE1201ELNS1_3gpuE5ELNS1_3repE0EEENS1_52radix_sort_onesweep_histogram_config_static_selectorELNS0_4arch9wavefront6targetE0EEEvSD_.has_dyn_sized_stack, 0
	.set _ZN7rocprim17ROCPRIM_400000_NS6detail17trampoline_kernelINS0_14default_configENS1_35radix_sort_onesweep_config_selectorIdNS0_10empty_typeEEEZNS1_34radix_sort_onesweep_global_offsetsIS3_Lb0EPKdPS5_mNS0_19identity_decomposerEEE10hipError_tT1_T2_PT3_SF_jT4_jjP12ihipStream_tbEUlT_E0_NS1_11comp_targetILNS1_3genE10ELNS1_11target_archE1201ELNS1_3gpuE5ELNS1_3repE0EEENS1_52radix_sort_onesweep_histogram_config_static_selectorELNS0_4arch9wavefront6targetE0EEEvSD_.has_recursion, 0
	.set _ZN7rocprim17ROCPRIM_400000_NS6detail17trampoline_kernelINS0_14default_configENS1_35radix_sort_onesweep_config_selectorIdNS0_10empty_typeEEEZNS1_34radix_sort_onesweep_global_offsetsIS3_Lb0EPKdPS5_mNS0_19identity_decomposerEEE10hipError_tT1_T2_PT3_SF_jT4_jjP12ihipStream_tbEUlT_E0_NS1_11comp_targetILNS1_3genE10ELNS1_11target_archE1201ELNS1_3gpuE5ELNS1_3repE0EEENS1_52radix_sort_onesweep_histogram_config_static_selectorELNS0_4arch9wavefront6targetE0EEEvSD_.has_indirect_call, 0
	.section	.AMDGPU.csdata,"",@progbits
; Kernel info:
; codeLenInByte = 0
; TotalNumSgprs: 0
; NumVgprs: 0
; ScratchSize: 0
; MemoryBound: 0
; FloatMode: 240
; IeeeMode: 1
; LDSByteSize: 0 bytes/workgroup (compile time only)
; SGPRBlocks: 0
; VGPRBlocks: 0
; NumSGPRsForWavesPerEU: 1
; NumVGPRsForWavesPerEU: 1
; NamedBarCnt: 0
; Occupancy: 16
; WaveLimiterHint : 0
; COMPUTE_PGM_RSRC2:SCRATCH_EN: 0
; COMPUTE_PGM_RSRC2:USER_SGPR: 2
; COMPUTE_PGM_RSRC2:TRAP_HANDLER: 0
; COMPUTE_PGM_RSRC2:TGID_X_EN: 1
; COMPUTE_PGM_RSRC2:TGID_Y_EN: 0
; COMPUTE_PGM_RSRC2:TGID_Z_EN: 0
; COMPUTE_PGM_RSRC2:TIDIG_COMP_CNT: 0
	.section	.text._ZN7rocprim17ROCPRIM_400000_NS6detail17trampoline_kernelINS0_14default_configENS1_35radix_sort_onesweep_config_selectorIdNS0_10empty_typeEEEZNS1_34radix_sort_onesweep_global_offsetsIS3_Lb0EPKdPS5_mNS0_19identity_decomposerEEE10hipError_tT1_T2_PT3_SF_jT4_jjP12ihipStream_tbEUlT_E0_NS1_11comp_targetILNS1_3genE9ELNS1_11target_archE1100ELNS1_3gpuE3ELNS1_3repE0EEENS1_52radix_sort_onesweep_histogram_config_static_selectorELNS0_4arch9wavefront6targetE0EEEvSD_,"axG",@progbits,_ZN7rocprim17ROCPRIM_400000_NS6detail17trampoline_kernelINS0_14default_configENS1_35radix_sort_onesweep_config_selectorIdNS0_10empty_typeEEEZNS1_34radix_sort_onesweep_global_offsetsIS3_Lb0EPKdPS5_mNS0_19identity_decomposerEEE10hipError_tT1_T2_PT3_SF_jT4_jjP12ihipStream_tbEUlT_E0_NS1_11comp_targetILNS1_3genE9ELNS1_11target_archE1100ELNS1_3gpuE3ELNS1_3repE0EEENS1_52radix_sort_onesweep_histogram_config_static_selectorELNS0_4arch9wavefront6targetE0EEEvSD_,comdat
	.protected	_ZN7rocprim17ROCPRIM_400000_NS6detail17trampoline_kernelINS0_14default_configENS1_35radix_sort_onesweep_config_selectorIdNS0_10empty_typeEEEZNS1_34radix_sort_onesweep_global_offsetsIS3_Lb0EPKdPS5_mNS0_19identity_decomposerEEE10hipError_tT1_T2_PT3_SF_jT4_jjP12ihipStream_tbEUlT_E0_NS1_11comp_targetILNS1_3genE9ELNS1_11target_archE1100ELNS1_3gpuE3ELNS1_3repE0EEENS1_52radix_sort_onesweep_histogram_config_static_selectorELNS0_4arch9wavefront6targetE0EEEvSD_ ; -- Begin function _ZN7rocprim17ROCPRIM_400000_NS6detail17trampoline_kernelINS0_14default_configENS1_35radix_sort_onesweep_config_selectorIdNS0_10empty_typeEEEZNS1_34radix_sort_onesweep_global_offsetsIS3_Lb0EPKdPS5_mNS0_19identity_decomposerEEE10hipError_tT1_T2_PT3_SF_jT4_jjP12ihipStream_tbEUlT_E0_NS1_11comp_targetILNS1_3genE9ELNS1_11target_archE1100ELNS1_3gpuE3ELNS1_3repE0EEENS1_52radix_sort_onesweep_histogram_config_static_selectorELNS0_4arch9wavefront6targetE0EEEvSD_
	.globl	_ZN7rocprim17ROCPRIM_400000_NS6detail17trampoline_kernelINS0_14default_configENS1_35radix_sort_onesweep_config_selectorIdNS0_10empty_typeEEEZNS1_34radix_sort_onesweep_global_offsetsIS3_Lb0EPKdPS5_mNS0_19identity_decomposerEEE10hipError_tT1_T2_PT3_SF_jT4_jjP12ihipStream_tbEUlT_E0_NS1_11comp_targetILNS1_3genE9ELNS1_11target_archE1100ELNS1_3gpuE3ELNS1_3repE0EEENS1_52radix_sort_onesweep_histogram_config_static_selectorELNS0_4arch9wavefront6targetE0EEEvSD_
	.p2align	8
	.type	_ZN7rocprim17ROCPRIM_400000_NS6detail17trampoline_kernelINS0_14default_configENS1_35radix_sort_onesweep_config_selectorIdNS0_10empty_typeEEEZNS1_34radix_sort_onesweep_global_offsetsIS3_Lb0EPKdPS5_mNS0_19identity_decomposerEEE10hipError_tT1_T2_PT3_SF_jT4_jjP12ihipStream_tbEUlT_E0_NS1_11comp_targetILNS1_3genE9ELNS1_11target_archE1100ELNS1_3gpuE3ELNS1_3repE0EEENS1_52radix_sort_onesweep_histogram_config_static_selectorELNS0_4arch9wavefront6targetE0EEEvSD_,@function
_ZN7rocprim17ROCPRIM_400000_NS6detail17trampoline_kernelINS0_14default_configENS1_35radix_sort_onesweep_config_selectorIdNS0_10empty_typeEEEZNS1_34radix_sort_onesweep_global_offsetsIS3_Lb0EPKdPS5_mNS0_19identity_decomposerEEE10hipError_tT1_T2_PT3_SF_jT4_jjP12ihipStream_tbEUlT_E0_NS1_11comp_targetILNS1_3genE9ELNS1_11target_archE1100ELNS1_3gpuE3ELNS1_3repE0EEENS1_52radix_sort_onesweep_histogram_config_static_selectorELNS0_4arch9wavefront6targetE0EEEvSD_: ; @_ZN7rocprim17ROCPRIM_400000_NS6detail17trampoline_kernelINS0_14default_configENS1_35radix_sort_onesweep_config_selectorIdNS0_10empty_typeEEEZNS1_34radix_sort_onesweep_global_offsetsIS3_Lb0EPKdPS5_mNS0_19identity_decomposerEEE10hipError_tT1_T2_PT3_SF_jT4_jjP12ihipStream_tbEUlT_E0_NS1_11comp_targetILNS1_3genE9ELNS1_11target_archE1100ELNS1_3gpuE3ELNS1_3repE0EEENS1_52radix_sort_onesweep_histogram_config_static_selectorELNS0_4arch9wavefront6targetE0EEEvSD_
; %bb.0:
	.section	.rodata,"a",@progbits
	.p2align	6, 0x0
	.amdhsa_kernel _ZN7rocprim17ROCPRIM_400000_NS6detail17trampoline_kernelINS0_14default_configENS1_35radix_sort_onesweep_config_selectorIdNS0_10empty_typeEEEZNS1_34radix_sort_onesweep_global_offsetsIS3_Lb0EPKdPS5_mNS0_19identity_decomposerEEE10hipError_tT1_T2_PT3_SF_jT4_jjP12ihipStream_tbEUlT_E0_NS1_11comp_targetILNS1_3genE9ELNS1_11target_archE1100ELNS1_3gpuE3ELNS1_3repE0EEENS1_52radix_sort_onesweep_histogram_config_static_selectorELNS0_4arch9wavefront6targetE0EEEvSD_
		.amdhsa_group_segment_fixed_size 0
		.amdhsa_private_segment_fixed_size 0
		.amdhsa_kernarg_size 8
		.amdhsa_user_sgpr_count 2
		.amdhsa_user_sgpr_dispatch_ptr 0
		.amdhsa_user_sgpr_queue_ptr 0
		.amdhsa_user_sgpr_kernarg_segment_ptr 1
		.amdhsa_user_sgpr_dispatch_id 0
		.amdhsa_user_sgpr_kernarg_preload_length 0
		.amdhsa_user_sgpr_kernarg_preload_offset 0
		.amdhsa_user_sgpr_private_segment_size 0
		.amdhsa_wavefront_size32 1
		.amdhsa_uses_dynamic_stack 0
		.amdhsa_enable_private_segment 0
		.amdhsa_system_sgpr_workgroup_id_x 1
		.amdhsa_system_sgpr_workgroup_id_y 0
		.amdhsa_system_sgpr_workgroup_id_z 0
		.amdhsa_system_sgpr_workgroup_info 0
		.amdhsa_system_vgpr_workitem_id 0
		.amdhsa_next_free_vgpr 1
		.amdhsa_next_free_sgpr 1
		.amdhsa_named_barrier_count 0
		.amdhsa_reserve_vcc 0
		.amdhsa_float_round_mode_32 0
		.amdhsa_float_round_mode_16_64 0
		.amdhsa_float_denorm_mode_32 3
		.amdhsa_float_denorm_mode_16_64 3
		.amdhsa_fp16_overflow 0
		.amdhsa_memory_ordered 1
		.amdhsa_forward_progress 1
		.amdhsa_inst_pref_size 0
		.amdhsa_round_robin_scheduling 0
		.amdhsa_exception_fp_ieee_invalid_op 0
		.amdhsa_exception_fp_denorm_src 0
		.amdhsa_exception_fp_ieee_div_zero 0
		.amdhsa_exception_fp_ieee_overflow 0
		.amdhsa_exception_fp_ieee_underflow 0
		.amdhsa_exception_fp_ieee_inexact 0
		.amdhsa_exception_int_div_zero 0
	.end_amdhsa_kernel
	.section	.text._ZN7rocprim17ROCPRIM_400000_NS6detail17trampoline_kernelINS0_14default_configENS1_35radix_sort_onesweep_config_selectorIdNS0_10empty_typeEEEZNS1_34radix_sort_onesweep_global_offsetsIS3_Lb0EPKdPS5_mNS0_19identity_decomposerEEE10hipError_tT1_T2_PT3_SF_jT4_jjP12ihipStream_tbEUlT_E0_NS1_11comp_targetILNS1_3genE9ELNS1_11target_archE1100ELNS1_3gpuE3ELNS1_3repE0EEENS1_52radix_sort_onesweep_histogram_config_static_selectorELNS0_4arch9wavefront6targetE0EEEvSD_,"axG",@progbits,_ZN7rocprim17ROCPRIM_400000_NS6detail17trampoline_kernelINS0_14default_configENS1_35radix_sort_onesweep_config_selectorIdNS0_10empty_typeEEEZNS1_34radix_sort_onesweep_global_offsetsIS3_Lb0EPKdPS5_mNS0_19identity_decomposerEEE10hipError_tT1_T2_PT3_SF_jT4_jjP12ihipStream_tbEUlT_E0_NS1_11comp_targetILNS1_3genE9ELNS1_11target_archE1100ELNS1_3gpuE3ELNS1_3repE0EEENS1_52radix_sort_onesweep_histogram_config_static_selectorELNS0_4arch9wavefront6targetE0EEEvSD_,comdat
.Lfunc_end1603:
	.size	_ZN7rocprim17ROCPRIM_400000_NS6detail17trampoline_kernelINS0_14default_configENS1_35radix_sort_onesweep_config_selectorIdNS0_10empty_typeEEEZNS1_34radix_sort_onesweep_global_offsetsIS3_Lb0EPKdPS5_mNS0_19identity_decomposerEEE10hipError_tT1_T2_PT3_SF_jT4_jjP12ihipStream_tbEUlT_E0_NS1_11comp_targetILNS1_3genE9ELNS1_11target_archE1100ELNS1_3gpuE3ELNS1_3repE0EEENS1_52radix_sort_onesweep_histogram_config_static_selectorELNS0_4arch9wavefront6targetE0EEEvSD_, .Lfunc_end1603-_ZN7rocprim17ROCPRIM_400000_NS6detail17trampoline_kernelINS0_14default_configENS1_35radix_sort_onesweep_config_selectorIdNS0_10empty_typeEEEZNS1_34radix_sort_onesweep_global_offsetsIS3_Lb0EPKdPS5_mNS0_19identity_decomposerEEE10hipError_tT1_T2_PT3_SF_jT4_jjP12ihipStream_tbEUlT_E0_NS1_11comp_targetILNS1_3genE9ELNS1_11target_archE1100ELNS1_3gpuE3ELNS1_3repE0EEENS1_52radix_sort_onesweep_histogram_config_static_selectorELNS0_4arch9wavefront6targetE0EEEvSD_
                                        ; -- End function
	.set _ZN7rocprim17ROCPRIM_400000_NS6detail17trampoline_kernelINS0_14default_configENS1_35radix_sort_onesweep_config_selectorIdNS0_10empty_typeEEEZNS1_34radix_sort_onesweep_global_offsetsIS3_Lb0EPKdPS5_mNS0_19identity_decomposerEEE10hipError_tT1_T2_PT3_SF_jT4_jjP12ihipStream_tbEUlT_E0_NS1_11comp_targetILNS1_3genE9ELNS1_11target_archE1100ELNS1_3gpuE3ELNS1_3repE0EEENS1_52radix_sort_onesweep_histogram_config_static_selectorELNS0_4arch9wavefront6targetE0EEEvSD_.num_vgpr, 0
	.set _ZN7rocprim17ROCPRIM_400000_NS6detail17trampoline_kernelINS0_14default_configENS1_35radix_sort_onesweep_config_selectorIdNS0_10empty_typeEEEZNS1_34radix_sort_onesweep_global_offsetsIS3_Lb0EPKdPS5_mNS0_19identity_decomposerEEE10hipError_tT1_T2_PT3_SF_jT4_jjP12ihipStream_tbEUlT_E0_NS1_11comp_targetILNS1_3genE9ELNS1_11target_archE1100ELNS1_3gpuE3ELNS1_3repE0EEENS1_52radix_sort_onesweep_histogram_config_static_selectorELNS0_4arch9wavefront6targetE0EEEvSD_.num_agpr, 0
	.set _ZN7rocprim17ROCPRIM_400000_NS6detail17trampoline_kernelINS0_14default_configENS1_35radix_sort_onesweep_config_selectorIdNS0_10empty_typeEEEZNS1_34radix_sort_onesweep_global_offsetsIS3_Lb0EPKdPS5_mNS0_19identity_decomposerEEE10hipError_tT1_T2_PT3_SF_jT4_jjP12ihipStream_tbEUlT_E0_NS1_11comp_targetILNS1_3genE9ELNS1_11target_archE1100ELNS1_3gpuE3ELNS1_3repE0EEENS1_52radix_sort_onesweep_histogram_config_static_selectorELNS0_4arch9wavefront6targetE0EEEvSD_.numbered_sgpr, 0
	.set _ZN7rocprim17ROCPRIM_400000_NS6detail17trampoline_kernelINS0_14default_configENS1_35radix_sort_onesweep_config_selectorIdNS0_10empty_typeEEEZNS1_34radix_sort_onesweep_global_offsetsIS3_Lb0EPKdPS5_mNS0_19identity_decomposerEEE10hipError_tT1_T2_PT3_SF_jT4_jjP12ihipStream_tbEUlT_E0_NS1_11comp_targetILNS1_3genE9ELNS1_11target_archE1100ELNS1_3gpuE3ELNS1_3repE0EEENS1_52radix_sort_onesweep_histogram_config_static_selectorELNS0_4arch9wavefront6targetE0EEEvSD_.num_named_barrier, 0
	.set _ZN7rocprim17ROCPRIM_400000_NS6detail17trampoline_kernelINS0_14default_configENS1_35radix_sort_onesweep_config_selectorIdNS0_10empty_typeEEEZNS1_34radix_sort_onesweep_global_offsetsIS3_Lb0EPKdPS5_mNS0_19identity_decomposerEEE10hipError_tT1_T2_PT3_SF_jT4_jjP12ihipStream_tbEUlT_E0_NS1_11comp_targetILNS1_3genE9ELNS1_11target_archE1100ELNS1_3gpuE3ELNS1_3repE0EEENS1_52radix_sort_onesweep_histogram_config_static_selectorELNS0_4arch9wavefront6targetE0EEEvSD_.private_seg_size, 0
	.set _ZN7rocprim17ROCPRIM_400000_NS6detail17trampoline_kernelINS0_14default_configENS1_35radix_sort_onesweep_config_selectorIdNS0_10empty_typeEEEZNS1_34radix_sort_onesweep_global_offsetsIS3_Lb0EPKdPS5_mNS0_19identity_decomposerEEE10hipError_tT1_T2_PT3_SF_jT4_jjP12ihipStream_tbEUlT_E0_NS1_11comp_targetILNS1_3genE9ELNS1_11target_archE1100ELNS1_3gpuE3ELNS1_3repE0EEENS1_52radix_sort_onesweep_histogram_config_static_selectorELNS0_4arch9wavefront6targetE0EEEvSD_.uses_vcc, 0
	.set _ZN7rocprim17ROCPRIM_400000_NS6detail17trampoline_kernelINS0_14default_configENS1_35radix_sort_onesweep_config_selectorIdNS0_10empty_typeEEEZNS1_34radix_sort_onesweep_global_offsetsIS3_Lb0EPKdPS5_mNS0_19identity_decomposerEEE10hipError_tT1_T2_PT3_SF_jT4_jjP12ihipStream_tbEUlT_E0_NS1_11comp_targetILNS1_3genE9ELNS1_11target_archE1100ELNS1_3gpuE3ELNS1_3repE0EEENS1_52radix_sort_onesweep_histogram_config_static_selectorELNS0_4arch9wavefront6targetE0EEEvSD_.uses_flat_scratch, 0
	.set _ZN7rocprim17ROCPRIM_400000_NS6detail17trampoline_kernelINS0_14default_configENS1_35radix_sort_onesweep_config_selectorIdNS0_10empty_typeEEEZNS1_34radix_sort_onesweep_global_offsetsIS3_Lb0EPKdPS5_mNS0_19identity_decomposerEEE10hipError_tT1_T2_PT3_SF_jT4_jjP12ihipStream_tbEUlT_E0_NS1_11comp_targetILNS1_3genE9ELNS1_11target_archE1100ELNS1_3gpuE3ELNS1_3repE0EEENS1_52radix_sort_onesweep_histogram_config_static_selectorELNS0_4arch9wavefront6targetE0EEEvSD_.has_dyn_sized_stack, 0
	.set _ZN7rocprim17ROCPRIM_400000_NS6detail17trampoline_kernelINS0_14default_configENS1_35radix_sort_onesweep_config_selectorIdNS0_10empty_typeEEEZNS1_34radix_sort_onesweep_global_offsetsIS3_Lb0EPKdPS5_mNS0_19identity_decomposerEEE10hipError_tT1_T2_PT3_SF_jT4_jjP12ihipStream_tbEUlT_E0_NS1_11comp_targetILNS1_3genE9ELNS1_11target_archE1100ELNS1_3gpuE3ELNS1_3repE0EEENS1_52radix_sort_onesweep_histogram_config_static_selectorELNS0_4arch9wavefront6targetE0EEEvSD_.has_recursion, 0
	.set _ZN7rocprim17ROCPRIM_400000_NS6detail17trampoline_kernelINS0_14default_configENS1_35radix_sort_onesweep_config_selectorIdNS0_10empty_typeEEEZNS1_34radix_sort_onesweep_global_offsetsIS3_Lb0EPKdPS5_mNS0_19identity_decomposerEEE10hipError_tT1_T2_PT3_SF_jT4_jjP12ihipStream_tbEUlT_E0_NS1_11comp_targetILNS1_3genE9ELNS1_11target_archE1100ELNS1_3gpuE3ELNS1_3repE0EEENS1_52radix_sort_onesweep_histogram_config_static_selectorELNS0_4arch9wavefront6targetE0EEEvSD_.has_indirect_call, 0
	.section	.AMDGPU.csdata,"",@progbits
; Kernel info:
; codeLenInByte = 0
; TotalNumSgprs: 0
; NumVgprs: 0
; ScratchSize: 0
; MemoryBound: 0
; FloatMode: 240
; IeeeMode: 1
; LDSByteSize: 0 bytes/workgroup (compile time only)
; SGPRBlocks: 0
; VGPRBlocks: 0
; NumSGPRsForWavesPerEU: 1
; NumVGPRsForWavesPerEU: 1
; NamedBarCnt: 0
; Occupancy: 16
; WaveLimiterHint : 0
; COMPUTE_PGM_RSRC2:SCRATCH_EN: 0
; COMPUTE_PGM_RSRC2:USER_SGPR: 2
; COMPUTE_PGM_RSRC2:TRAP_HANDLER: 0
; COMPUTE_PGM_RSRC2:TGID_X_EN: 1
; COMPUTE_PGM_RSRC2:TGID_Y_EN: 0
; COMPUTE_PGM_RSRC2:TGID_Z_EN: 0
; COMPUTE_PGM_RSRC2:TIDIG_COMP_CNT: 0
	.section	.text._ZN7rocprim17ROCPRIM_400000_NS6detail17trampoline_kernelINS0_14default_configENS1_35radix_sort_onesweep_config_selectorIdNS0_10empty_typeEEEZNS1_34radix_sort_onesweep_global_offsetsIS3_Lb0EPKdPS5_mNS0_19identity_decomposerEEE10hipError_tT1_T2_PT3_SF_jT4_jjP12ihipStream_tbEUlT_E0_NS1_11comp_targetILNS1_3genE8ELNS1_11target_archE1030ELNS1_3gpuE2ELNS1_3repE0EEENS1_52radix_sort_onesweep_histogram_config_static_selectorELNS0_4arch9wavefront6targetE0EEEvSD_,"axG",@progbits,_ZN7rocprim17ROCPRIM_400000_NS6detail17trampoline_kernelINS0_14default_configENS1_35radix_sort_onesweep_config_selectorIdNS0_10empty_typeEEEZNS1_34radix_sort_onesweep_global_offsetsIS3_Lb0EPKdPS5_mNS0_19identity_decomposerEEE10hipError_tT1_T2_PT3_SF_jT4_jjP12ihipStream_tbEUlT_E0_NS1_11comp_targetILNS1_3genE8ELNS1_11target_archE1030ELNS1_3gpuE2ELNS1_3repE0EEENS1_52radix_sort_onesweep_histogram_config_static_selectorELNS0_4arch9wavefront6targetE0EEEvSD_,comdat
	.protected	_ZN7rocprim17ROCPRIM_400000_NS6detail17trampoline_kernelINS0_14default_configENS1_35radix_sort_onesweep_config_selectorIdNS0_10empty_typeEEEZNS1_34radix_sort_onesweep_global_offsetsIS3_Lb0EPKdPS5_mNS0_19identity_decomposerEEE10hipError_tT1_T2_PT3_SF_jT4_jjP12ihipStream_tbEUlT_E0_NS1_11comp_targetILNS1_3genE8ELNS1_11target_archE1030ELNS1_3gpuE2ELNS1_3repE0EEENS1_52radix_sort_onesweep_histogram_config_static_selectorELNS0_4arch9wavefront6targetE0EEEvSD_ ; -- Begin function _ZN7rocprim17ROCPRIM_400000_NS6detail17trampoline_kernelINS0_14default_configENS1_35radix_sort_onesweep_config_selectorIdNS0_10empty_typeEEEZNS1_34radix_sort_onesweep_global_offsetsIS3_Lb0EPKdPS5_mNS0_19identity_decomposerEEE10hipError_tT1_T2_PT3_SF_jT4_jjP12ihipStream_tbEUlT_E0_NS1_11comp_targetILNS1_3genE8ELNS1_11target_archE1030ELNS1_3gpuE2ELNS1_3repE0EEENS1_52radix_sort_onesweep_histogram_config_static_selectorELNS0_4arch9wavefront6targetE0EEEvSD_
	.globl	_ZN7rocprim17ROCPRIM_400000_NS6detail17trampoline_kernelINS0_14default_configENS1_35radix_sort_onesweep_config_selectorIdNS0_10empty_typeEEEZNS1_34radix_sort_onesweep_global_offsetsIS3_Lb0EPKdPS5_mNS0_19identity_decomposerEEE10hipError_tT1_T2_PT3_SF_jT4_jjP12ihipStream_tbEUlT_E0_NS1_11comp_targetILNS1_3genE8ELNS1_11target_archE1030ELNS1_3gpuE2ELNS1_3repE0EEENS1_52radix_sort_onesweep_histogram_config_static_selectorELNS0_4arch9wavefront6targetE0EEEvSD_
	.p2align	8
	.type	_ZN7rocprim17ROCPRIM_400000_NS6detail17trampoline_kernelINS0_14default_configENS1_35radix_sort_onesweep_config_selectorIdNS0_10empty_typeEEEZNS1_34radix_sort_onesweep_global_offsetsIS3_Lb0EPKdPS5_mNS0_19identity_decomposerEEE10hipError_tT1_T2_PT3_SF_jT4_jjP12ihipStream_tbEUlT_E0_NS1_11comp_targetILNS1_3genE8ELNS1_11target_archE1030ELNS1_3gpuE2ELNS1_3repE0EEENS1_52radix_sort_onesweep_histogram_config_static_selectorELNS0_4arch9wavefront6targetE0EEEvSD_,@function
_ZN7rocprim17ROCPRIM_400000_NS6detail17trampoline_kernelINS0_14default_configENS1_35radix_sort_onesweep_config_selectorIdNS0_10empty_typeEEEZNS1_34radix_sort_onesweep_global_offsetsIS3_Lb0EPKdPS5_mNS0_19identity_decomposerEEE10hipError_tT1_T2_PT3_SF_jT4_jjP12ihipStream_tbEUlT_E0_NS1_11comp_targetILNS1_3genE8ELNS1_11target_archE1030ELNS1_3gpuE2ELNS1_3repE0EEENS1_52radix_sort_onesweep_histogram_config_static_selectorELNS0_4arch9wavefront6targetE0EEEvSD_: ; @_ZN7rocprim17ROCPRIM_400000_NS6detail17trampoline_kernelINS0_14default_configENS1_35radix_sort_onesweep_config_selectorIdNS0_10empty_typeEEEZNS1_34radix_sort_onesweep_global_offsetsIS3_Lb0EPKdPS5_mNS0_19identity_decomposerEEE10hipError_tT1_T2_PT3_SF_jT4_jjP12ihipStream_tbEUlT_E0_NS1_11comp_targetILNS1_3genE8ELNS1_11target_archE1030ELNS1_3gpuE2ELNS1_3repE0EEENS1_52radix_sort_onesweep_histogram_config_static_selectorELNS0_4arch9wavefront6targetE0EEEvSD_
; %bb.0:
	.section	.rodata,"a",@progbits
	.p2align	6, 0x0
	.amdhsa_kernel _ZN7rocprim17ROCPRIM_400000_NS6detail17trampoline_kernelINS0_14default_configENS1_35radix_sort_onesweep_config_selectorIdNS0_10empty_typeEEEZNS1_34radix_sort_onesweep_global_offsetsIS3_Lb0EPKdPS5_mNS0_19identity_decomposerEEE10hipError_tT1_T2_PT3_SF_jT4_jjP12ihipStream_tbEUlT_E0_NS1_11comp_targetILNS1_3genE8ELNS1_11target_archE1030ELNS1_3gpuE2ELNS1_3repE0EEENS1_52radix_sort_onesweep_histogram_config_static_selectorELNS0_4arch9wavefront6targetE0EEEvSD_
		.amdhsa_group_segment_fixed_size 0
		.amdhsa_private_segment_fixed_size 0
		.amdhsa_kernarg_size 8
		.amdhsa_user_sgpr_count 2
		.amdhsa_user_sgpr_dispatch_ptr 0
		.amdhsa_user_sgpr_queue_ptr 0
		.amdhsa_user_sgpr_kernarg_segment_ptr 1
		.amdhsa_user_sgpr_dispatch_id 0
		.amdhsa_user_sgpr_kernarg_preload_length 0
		.amdhsa_user_sgpr_kernarg_preload_offset 0
		.amdhsa_user_sgpr_private_segment_size 0
		.amdhsa_wavefront_size32 1
		.amdhsa_uses_dynamic_stack 0
		.amdhsa_enable_private_segment 0
		.amdhsa_system_sgpr_workgroup_id_x 1
		.amdhsa_system_sgpr_workgroup_id_y 0
		.amdhsa_system_sgpr_workgroup_id_z 0
		.amdhsa_system_sgpr_workgroup_info 0
		.amdhsa_system_vgpr_workitem_id 0
		.amdhsa_next_free_vgpr 1
		.amdhsa_next_free_sgpr 1
		.amdhsa_named_barrier_count 0
		.amdhsa_reserve_vcc 0
		.amdhsa_float_round_mode_32 0
		.amdhsa_float_round_mode_16_64 0
		.amdhsa_float_denorm_mode_32 3
		.amdhsa_float_denorm_mode_16_64 3
		.amdhsa_fp16_overflow 0
		.amdhsa_memory_ordered 1
		.amdhsa_forward_progress 1
		.amdhsa_inst_pref_size 0
		.amdhsa_round_robin_scheduling 0
		.amdhsa_exception_fp_ieee_invalid_op 0
		.amdhsa_exception_fp_denorm_src 0
		.amdhsa_exception_fp_ieee_div_zero 0
		.amdhsa_exception_fp_ieee_overflow 0
		.amdhsa_exception_fp_ieee_underflow 0
		.amdhsa_exception_fp_ieee_inexact 0
		.amdhsa_exception_int_div_zero 0
	.end_amdhsa_kernel
	.section	.text._ZN7rocprim17ROCPRIM_400000_NS6detail17trampoline_kernelINS0_14default_configENS1_35radix_sort_onesweep_config_selectorIdNS0_10empty_typeEEEZNS1_34radix_sort_onesweep_global_offsetsIS3_Lb0EPKdPS5_mNS0_19identity_decomposerEEE10hipError_tT1_T2_PT3_SF_jT4_jjP12ihipStream_tbEUlT_E0_NS1_11comp_targetILNS1_3genE8ELNS1_11target_archE1030ELNS1_3gpuE2ELNS1_3repE0EEENS1_52radix_sort_onesweep_histogram_config_static_selectorELNS0_4arch9wavefront6targetE0EEEvSD_,"axG",@progbits,_ZN7rocprim17ROCPRIM_400000_NS6detail17trampoline_kernelINS0_14default_configENS1_35radix_sort_onesweep_config_selectorIdNS0_10empty_typeEEEZNS1_34radix_sort_onesweep_global_offsetsIS3_Lb0EPKdPS5_mNS0_19identity_decomposerEEE10hipError_tT1_T2_PT3_SF_jT4_jjP12ihipStream_tbEUlT_E0_NS1_11comp_targetILNS1_3genE8ELNS1_11target_archE1030ELNS1_3gpuE2ELNS1_3repE0EEENS1_52radix_sort_onesweep_histogram_config_static_selectorELNS0_4arch9wavefront6targetE0EEEvSD_,comdat
.Lfunc_end1604:
	.size	_ZN7rocprim17ROCPRIM_400000_NS6detail17trampoline_kernelINS0_14default_configENS1_35radix_sort_onesweep_config_selectorIdNS0_10empty_typeEEEZNS1_34radix_sort_onesweep_global_offsetsIS3_Lb0EPKdPS5_mNS0_19identity_decomposerEEE10hipError_tT1_T2_PT3_SF_jT4_jjP12ihipStream_tbEUlT_E0_NS1_11comp_targetILNS1_3genE8ELNS1_11target_archE1030ELNS1_3gpuE2ELNS1_3repE0EEENS1_52radix_sort_onesweep_histogram_config_static_selectorELNS0_4arch9wavefront6targetE0EEEvSD_, .Lfunc_end1604-_ZN7rocprim17ROCPRIM_400000_NS6detail17trampoline_kernelINS0_14default_configENS1_35radix_sort_onesweep_config_selectorIdNS0_10empty_typeEEEZNS1_34radix_sort_onesweep_global_offsetsIS3_Lb0EPKdPS5_mNS0_19identity_decomposerEEE10hipError_tT1_T2_PT3_SF_jT4_jjP12ihipStream_tbEUlT_E0_NS1_11comp_targetILNS1_3genE8ELNS1_11target_archE1030ELNS1_3gpuE2ELNS1_3repE0EEENS1_52radix_sort_onesweep_histogram_config_static_selectorELNS0_4arch9wavefront6targetE0EEEvSD_
                                        ; -- End function
	.set _ZN7rocprim17ROCPRIM_400000_NS6detail17trampoline_kernelINS0_14default_configENS1_35radix_sort_onesweep_config_selectorIdNS0_10empty_typeEEEZNS1_34radix_sort_onesweep_global_offsetsIS3_Lb0EPKdPS5_mNS0_19identity_decomposerEEE10hipError_tT1_T2_PT3_SF_jT4_jjP12ihipStream_tbEUlT_E0_NS1_11comp_targetILNS1_3genE8ELNS1_11target_archE1030ELNS1_3gpuE2ELNS1_3repE0EEENS1_52radix_sort_onesweep_histogram_config_static_selectorELNS0_4arch9wavefront6targetE0EEEvSD_.num_vgpr, 0
	.set _ZN7rocprim17ROCPRIM_400000_NS6detail17trampoline_kernelINS0_14default_configENS1_35radix_sort_onesweep_config_selectorIdNS0_10empty_typeEEEZNS1_34radix_sort_onesweep_global_offsetsIS3_Lb0EPKdPS5_mNS0_19identity_decomposerEEE10hipError_tT1_T2_PT3_SF_jT4_jjP12ihipStream_tbEUlT_E0_NS1_11comp_targetILNS1_3genE8ELNS1_11target_archE1030ELNS1_3gpuE2ELNS1_3repE0EEENS1_52radix_sort_onesweep_histogram_config_static_selectorELNS0_4arch9wavefront6targetE0EEEvSD_.num_agpr, 0
	.set _ZN7rocprim17ROCPRIM_400000_NS6detail17trampoline_kernelINS0_14default_configENS1_35radix_sort_onesweep_config_selectorIdNS0_10empty_typeEEEZNS1_34radix_sort_onesweep_global_offsetsIS3_Lb0EPKdPS5_mNS0_19identity_decomposerEEE10hipError_tT1_T2_PT3_SF_jT4_jjP12ihipStream_tbEUlT_E0_NS1_11comp_targetILNS1_3genE8ELNS1_11target_archE1030ELNS1_3gpuE2ELNS1_3repE0EEENS1_52radix_sort_onesweep_histogram_config_static_selectorELNS0_4arch9wavefront6targetE0EEEvSD_.numbered_sgpr, 0
	.set _ZN7rocprim17ROCPRIM_400000_NS6detail17trampoline_kernelINS0_14default_configENS1_35radix_sort_onesweep_config_selectorIdNS0_10empty_typeEEEZNS1_34radix_sort_onesweep_global_offsetsIS3_Lb0EPKdPS5_mNS0_19identity_decomposerEEE10hipError_tT1_T2_PT3_SF_jT4_jjP12ihipStream_tbEUlT_E0_NS1_11comp_targetILNS1_3genE8ELNS1_11target_archE1030ELNS1_3gpuE2ELNS1_3repE0EEENS1_52radix_sort_onesweep_histogram_config_static_selectorELNS0_4arch9wavefront6targetE0EEEvSD_.num_named_barrier, 0
	.set _ZN7rocprim17ROCPRIM_400000_NS6detail17trampoline_kernelINS0_14default_configENS1_35radix_sort_onesweep_config_selectorIdNS0_10empty_typeEEEZNS1_34radix_sort_onesweep_global_offsetsIS3_Lb0EPKdPS5_mNS0_19identity_decomposerEEE10hipError_tT1_T2_PT3_SF_jT4_jjP12ihipStream_tbEUlT_E0_NS1_11comp_targetILNS1_3genE8ELNS1_11target_archE1030ELNS1_3gpuE2ELNS1_3repE0EEENS1_52radix_sort_onesweep_histogram_config_static_selectorELNS0_4arch9wavefront6targetE0EEEvSD_.private_seg_size, 0
	.set _ZN7rocprim17ROCPRIM_400000_NS6detail17trampoline_kernelINS0_14default_configENS1_35radix_sort_onesweep_config_selectorIdNS0_10empty_typeEEEZNS1_34radix_sort_onesweep_global_offsetsIS3_Lb0EPKdPS5_mNS0_19identity_decomposerEEE10hipError_tT1_T2_PT3_SF_jT4_jjP12ihipStream_tbEUlT_E0_NS1_11comp_targetILNS1_3genE8ELNS1_11target_archE1030ELNS1_3gpuE2ELNS1_3repE0EEENS1_52radix_sort_onesweep_histogram_config_static_selectorELNS0_4arch9wavefront6targetE0EEEvSD_.uses_vcc, 0
	.set _ZN7rocprim17ROCPRIM_400000_NS6detail17trampoline_kernelINS0_14default_configENS1_35radix_sort_onesweep_config_selectorIdNS0_10empty_typeEEEZNS1_34radix_sort_onesweep_global_offsetsIS3_Lb0EPKdPS5_mNS0_19identity_decomposerEEE10hipError_tT1_T2_PT3_SF_jT4_jjP12ihipStream_tbEUlT_E0_NS1_11comp_targetILNS1_3genE8ELNS1_11target_archE1030ELNS1_3gpuE2ELNS1_3repE0EEENS1_52radix_sort_onesweep_histogram_config_static_selectorELNS0_4arch9wavefront6targetE0EEEvSD_.uses_flat_scratch, 0
	.set _ZN7rocprim17ROCPRIM_400000_NS6detail17trampoline_kernelINS0_14default_configENS1_35radix_sort_onesweep_config_selectorIdNS0_10empty_typeEEEZNS1_34radix_sort_onesweep_global_offsetsIS3_Lb0EPKdPS5_mNS0_19identity_decomposerEEE10hipError_tT1_T2_PT3_SF_jT4_jjP12ihipStream_tbEUlT_E0_NS1_11comp_targetILNS1_3genE8ELNS1_11target_archE1030ELNS1_3gpuE2ELNS1_3repE0EEENS1_52radix_sort_onesweep_histogram_config_static_selectorELNS0_4arch9wavefront6targetE0EEEvSD_.has_dyn_sized_stack, 0
	.set _ZN7rocprim17ROCPRIM_400000_NS6detail17trampoline_kernelINS0_14default_configENS1_35radix_sort_onesweep_config_selectorIdNS0_10empty_typeEEEZNS1_34radix_sort_onesweep_global_offsetsIS3_Lb0EPKdPS5_mNS0_19identity_decomposerEEE10hipError_tT1_T2_PT3_SF_jT4_jjP12ihipStream_tbEUlT_E0_NS1_11comp_targetILNS1_3genE8ELNS1_11target_archE1030ELNS1_3gpuE2ELNS1_3repE0EEENS1_52radix_sort_onesweep_histogram_config_static_selectorELNS0_4arch9wavefront6targetE0EEEvSD_.has_recursion, 0
	.set _ZN7rocprim17ROCPRIM_400000_NS6detail17trampoline_kernelINS0_14default_configENS1_35radix_sort_onesweep_config_selectorIdNS0_10empty_typeEEEZNS1_34radix_sort_onesweep_global_offsetsIS3_Lb0EPKdPS5_mNS0_19identity_decomposerEEE10hipError_tT1_T2_PT3_SF_jT4_jjP12ihipStream_tbEUlT_E0_NS1_11comp_targetILNS1_3genE8ELNS1_11target_archE1030ELNS1_3gpuE2ELNS1_3repE0EEENS1_52radix_sort_onesweep_histogram_config_static_selectorELNS0_4arch9wavefront6targetE0EEEvSD_.has_indirect_call, 0
	.section	.AMDGPU.csdata,"",@progbits
; Kernel info:
; codeLenInByte = 0
; TotalNumSgprs: 0
; NumVgprs: 0
; ScratchSize: 0
; MemoryBound: 0
; FloatMode: 240
; IeeeMode: 1
; LDSByteSize: 0 bytes/workgroup (compile time only)
; SGPRBlocks: 0
; VGPRBlocks: 0
; NumSGPRsForWavesPerEU: 1
; NumVGPRsForWavesPerEU: 1
; NamedBarCnt: 0
; Occupancy: 16
; WaveLimiterHint : 0
; COMPUTE_PGM_RSRC2:SCRATCH_EN: 0
; COMPUTE_PGM_RSRC2:USER_SGPR: 2
; COMPUTE_PGM_RSRC2:TRAP_HANDLER: 0
; COMPUTE_PGM_RSRC2:TGID_X_EN: 1
; COMPUTE_PGM_RSRC2:TGID_Y_EN: 0
; COMPUTE_PGM_RSRC2:TGID_Z_EN: 0
; COMPUTE_PGM_RSRC2:TIDIG_COMP_CNT: 0
	.section	.text._ZN7rocprim17ROCPRIM_400000_NS6detail17trampoline_kernelINS0_14default_configENS1_35radix_sort_onesweep_config_selectorIdNS0_10empty_typeEEEZZNS1_29radix_sort_onesweep_iterationIS3_Lb0EPKdPdPS5_SB_mNS0_19identity_decomposerENS1_16block_id_wrapperIjLb1EEEEE10hipError_tT1_PNSt15iterator_traitsISG_E10value_typeET2_T3_PNSH_ISM_E10value_typeET4_T5_PSR_SS_PNS1_23onesweep_lookback_stateEbbT6_jjT7_P12ihipStream_tbENKUlT_T0_SG_SL_E_clIS9_SA_SB_SB_EEDaSZ_S10_SG_SL_EUlSZ_E_NS1_11comp_targetILNS1_3genE0ELNS1_11target_archE4294967295ELNS1_3gpuE0ELNS1_3repE0EEENS1_47radix_sort_onesweep_sort_config_static_selectorELNS0_4arch9wavefront6targetE0EEEvSG_,"axG",@progbits,_ZN7rocprim17ROCPRIM_400000_NS6detail17trampoline_kernelINS0_14default_configENS1_35radix_sort_onesweep_config_selectorIdNS0_10empty_typeEEEZZNS1_29radix_sort_onesweep_iterationIS3_Lb0EPKdPdPS5_SB_mNS0_19identity_decomposerENS1_16block_id_wrapperIjLb1EEEEE10hipError_tT1_PNSt15iterator_traitsISG_E10value_typeET2_T3_PNSH_ISM_E10value_typeET4_T5_PSR_SS_PNS1_23onesweep_lookback_stateEbbT6_jjT7_P12ihipStream_tbENKUlT_T0_SG_SL_E_clIS9_SA_SB_SB_EEDaSZ_S10_SG_SL_EUlSZ_E_NS1_11comp_targetILNS1_3genE0ELNS1_11target_archE4294967295ELNS1_3gpuE0ELNS1_3repE0EEENS1_47radix_sort_onesweep_sort_config_static_selectorELNS0_4arch9wavefront6targetE0EEEvSG_,comdat
	.protected	_ZN7rocprim17ROCPRIM_400000_NS6detail17trampoline_kernelINS0_14default_configENS1_35radix_sort_onesweep_config_selectorIdNS0_10empty_typeEEEZZNS1_29radix_sort_onesweep_iterationIS3_Lb0EPKdPdPS5_SB_mNS0_19identity_decomposerENS1_16block_id_wrapperIjLb1EEEEE10hipError_tT1_PNSt15iterator_traitsISG_E10value_typeET2_T3_PNSH_ISM_E10value_typeET4_T5_PSR_SS_PNS1_23onesweep_lookback_stateEbbT6_jjT7_P12ihipStream_tbENKUlT_T0_SG_SL_E_clIS9_SA_SB_SB_EEDaSZ_S10_SG_SL_EUlSZ_E_NS1_11comp_targetILNS1_3genE0ELNS1_11target_archE4294967295ELNS1_3gpuE0ELNS1_3repE0EEENS1_47radix_sort_onesweep_sort_config_static_selectorELNS0_4arch9wavefront6targetE0EEEvSG_ ; -- Begin function _ZN7rocprim17ROCPRIM_400000_NS6detail17trampoline_kernelINS0_14default_configENS1_35radix_sort_onesweep_config_selectorIdNS0_10empty_typeEEEZZNS1_29radix_sort_onesweep_iterationIS3_Lb0EPKdPdPS5_SB_mNS0_19identity_decomposerENS1_16block_id_wrapperIjLb1EEEEE10hipError_tT1_PNSt15iterator_traitsISG_E10value_typeET2_T3_PNSH_ISM_E10value_typeET4_T5_PSR_SS_PNS1_23onesweep_lookback_stateEbbT6_jjT7_P12ihipStream_tbENKUlT_T0_SG_SL_E_clIS9_SA_SB_SB_EEDaSZ_S10_SG_SL_EUlSZ_E_NS1_11comp_targetILNS1_3genE0ELNS1_11target_archE4294967295ELNS1_3gpuE0ELNS1_3repE0EEENS1_47radix_sort_onesweep_sort_config_static_selectorELNS0_4arch9wavefront6targetE0EEEvSG_
	.globl	_ZN7rocprim17ROCPRIM_400000_NS6detail17trampoline_kernelINS0_14default_configENS1_35radix_sort_onesweep_config_selectorIdNS0_10empty_typeEEEZZNS1_29radix_sort_onesweep_iterationIS3_Lb0EPKdPdPS5_SB_mNS0_19identity_decomposerENS1_16block_id_wrapperIjLb1EEEEE10hipError_tT1_PNSt15iterator_traitsISG_E10value_typeET2_T3_PNSH_ISM_E10value_typeET4_T5_PSR_SS_PNS1_23onesweep_lookback_stateEbbT6_jjT7_P12ihipStream_tbENKUlT_T0_SG_SL_E_clIS9_SA_SB_SB_EEDaSZ_S10_SG_SL_EUlSZ_E_NS1_11comp_targetILNS1_3genE0ELNS1_11target_archE4294967295ELNS1_3gpuE0ELNS1_3repE0EEENS1_47radix_sort_onesweep_sort_config_static_selectorELNS0_4arch9wavefront6targetE0EEEvSG_
	.p2align	8
	.type	_ZN7rocprim17ROCPRIM_400000_NS6detail17trampoline_kernelINS0_14default_configENS1_35radix_sort_onesweep_config_selectorIdNS0_10empty_typeEEEZZNS1_29radix_sort_onesweep_iterationIS3_Lb0EPKdPdPS5_SB_mNS0_19identity_decomposerENS1_16block_id_wrapperIjLb1EEEEE10hipError_tT1_PNSt15iterator_traitsISG_E10value_typeET2_T3_PNSH_ISM_E10value_typeET4_T5_PSR_SS_PNS1_23onesweep_lookback_stateEbbT6_jjT7_P12ihipStream_tbENKUlT_T0_SG_SL_E_clIS9_SA_SB_SB_EEDaSZ_S10_SG_SL_EUlSZ_E_NS1_11comp_targetILNS1_3genE0ELNS1_11target_archE4294967295ELNS1_3gpuE0ELNS1_3repE0EEENS1_47radix_sort_onesweep_sort_config_static_selectorELNS0_4arch9wavefront6targetE0EEEvSG_,@function
_ZN7rocprim17ROCPRIM_400000_NS6detail17trampoline_kernelINS0_14default_configENS1_35radix_sort_onesweep_config_selectorIdNS0_10empty_typeEEEZZNS1_29radix_sort_onesweep_iterationIS3_Lb0EPKdPdPS5_SB_mNS0_19identity_decomposerENS1_16block_id_wrapperIjLb1EEEEE10hipError_tT1_PNSt15iterator_traitsISG_E10value_typeET2_T3_PNSH_ISM_E10value_typeET4_T5_PSR_SS_PNS1_23onesweep_lookback_stateEbbT6_jjT7_P12ihipStream_tbENKUlT_T0_SG_SL_E_clIS9_SA_SB_SB_EEDaSZ_S10_SG_SL_EUlSZ_E_NS1_11comp_targetILNS1_3genE0ELNS1_11target_archE4294967295ELNS1_3gpuE0ELNS1_3repE0EEENS1_47radix_sort_onesweep_sort_config_static_selectorELNS0_4arch9wavefront6targetE0EEEvSG_: ; @_ZN7rocprim17ROCPRIM_400000_NS6detail17trampoline_kernelINS0_14default_configENS1_35radix_sort_onesweep_config_selectorIdNS0_10empty_typeEEEZZNS1_29radix_sort_onesweep_iterationIS3_Lb0EPKdPdPS5_SB_mNS0_19identity_decomposerENS1_16block_id_wrapperIjLb1EEEEE10hipError_tT1_PNSt15iterator_traitsISG_E10value_typeET2_T3_PNSH_ISM_E10value_typeET4_T5_PSR_SS_PNS1_23onesweep_lookback_stateEbbT6_jjT7_P12ihipStream_tbENKUlT_T0_SG_SL_E_clIS9_SA_SB_SB_EEDaSZ_S10_SG_SL_EUlSZ_E_NS1_11comp_targetILNS1_3genE0ELNS1_11target_archE4294967295ELNS1_3gpuE0ELNS1_3repE0EEENS1_47radix_sort_onesweep_sort_config_static_selectorELNS0_4arch9wavefront6targetE0EEEvSG_
; %bb.0:
	s_clause 0x1
	s_load_b128 s[12:15], s[0:1], 0x28
	s_load_b64 s[10:11], s[0:1], 0x38
	v_and_b32_e32 v32, 0x3ff, v0
	s_delay_alu instid0(VALU_DEP_1)
	v_cmp_eq_u32_e64 s2, 0, v32
	s_and_saveexec_b32 s3, s2
	s_cbranch_execz .LBB1605_4
; %bb.1:
	s_mov_b32 s5, exec_lo
	s_mov_b32 s4, exec_lo
	v_mbcnt_lo_u32_b32 v1, s5, 0
                                        ; implicit-def: $vgpr2
	s_delay_alu instid0(VALU_DEP_1)
	v_cmpx_eq_u32_e32 0, v1
	s_cbranch_execz .LBB1605_3
; %bb.2:
	s_load_b64 s[6:7], s[0:1], 0x50
	s_bcnt1_i32_b32 s5, s5
	s_delay_alu instid0(SALU_CYCLE_1)
	v_dual_mov_b32 v2, 0 :: v_dual_mov_b32 v3, s5
	s_wait_xcnt 0x0
	s_wait_kmcnt 0x0
	global_atomic_add_u32 v2, v2, v3, s[6:7] th:TH_ATOMIC_RETURN scope:SCOPE_DEV
.LBB1605_3:
	s_wait_xcnt 0x0
	s_or_b32 exec_lo, exec_lo, s4
	s_wait_loadcnt 0x0
	v_readfirstlane_b32 s4, v2
	s_delay_alu instid0(VALU_DEP_1)
	v_dual_mov_b32 v2, 0 :: v_dual_add_nc_u32 v1, s4, v1
	ds_store_b32 v2, v1 offset:18496
.LBB1605_4:
	s_or_b32 exec_lo, exec_lo, s3
	v_dual_mov_b32 v5, 0 :: v_dual_lshlrev_b32 v2, 3, v32
	s_clause 0x2
	s_load_b128 s[16:19], s[0:1], 0x0
	s_load_b32 s3, s[0:1], 0x20
	s_load_b96 s[20:22], s[0:1], 0x44
	s_wait_dscnt 0x0
	s_barrier_signal -1
	s_barrier_wait -1
	ds_load_b32 v1, v5 offset:18496
	v_mbcnt_lo_u32_b32 v33, -1, 0
	s_mov_b32 s4, -1
	s_add_nc_u64 s[24:25], s[0:1], 0x58
	s_getreg_b32 s27, hwreg(HW_REG_IB_STS2, 6, 4)
	s_wait_dscnt 0x0
	s_barrier_signal -1
	s_barrier_wait -1
	s_wait_kmcnt 0x0
	v_cmp_le_u32_e32 vcc_lo, s22, v1
	v_readfirstlane_b32 s26, v1
	s_cbranch_vccz .LBB1605_70
; %bb.5:
	s_lshl_b32 s4, s26, 12
	s_mov_b32 s5, 0
	v_lshlrev_b32_e32 v4, 3, v33
	s_lshl_b64 s[4:5], s[4:5], 3
	v_and_b32_e32 v1, 0x1f00, v2
	s_add_nc_u64 s[4:5], s[16:17], s[4:5]
	v_mov_b64_e32 v[6:7], 0x7fffffffffffffff
	v_add_nc_u64_e32 v[8:9], s[4:5], v[4:5]
	s_lshl_b32 s4, s22, 12
	v_dual_lshlrev_b32 v4, 3, v1 :: v_dual_bitop2_b32 v1, v33, v1 bitop3:0x54
	s_sub_co_i32 s28, s3, s4
	s_mov_b32 s3, exec_lo
	s_delay_alu instid0(VALU_DEP_1)
	v_add_nc_u64_e32 v[20:21], v[8:9], v[4:5]
	v_mov_b64_e32 v[4:5], 0x7fffffffffffffff
	v_cmpx_gt_u32_e64 s28, v1
	s_cbranch_execz .LBB1605_7
; %bb.6:
	global_load_b64 v[4:5], v[20:21], off
.LBB1605_7:
	s_wait_xcnt 0x0
	s_or_b32 exec_lo, exec_lo, s3
	v_or_b32_e32 v3, 32, v1
	s_mov_b32 s3, exec_lo
	s_delay_alu instid0(VALU_DEP_1)
	v_cmpx_gt_u32_e64 s28, v3
	s_cbranch_execz .LBB1605_9
; %bb.8:
	global_load_b64 v[6:7], v[20:21], off offset:256
.LBB1605_9:
	s_wait_xcnt 0x0
	s_or_b32 exec_lo, exec_lo, s3
	v_mov_b64_e32 v[10:11], 0x7fffffffffffffff
	v_mov_b64_e32 v[8:9], 0x7fffffffffffffff
	v_or_b32_e32 v3, 64, v1
	s_mov_b32 s3, exec_lo
	s_delay_alu instid0(VALU_DEP_1)
	v_cmpx_gt_u32_e64 s28, v3
	s_cbranch_execz .LBB1605_11
; %bb.10:
	global_load_b64 v[8:9], v[20:21], off offset:512
.LBB1605_11:
	s_wait_xcnt 0x0
	s_or_b32 exec_lo, exec_lo, s3
	v_or_b32_e32 v3, 0x60, v1
	s_mov_b32 s3, exec_lo
	s_delay_alu instid0(VALU_DEP_1)
	v_cmpx_gt_u32_e64 s28, v3
	s_cbranch_execz .LBB1605_13
; %bb.12:
	global_load_b64 v[10:11], v[20:21], off offset:768
.LBB1605_13:
	s_wait_xcnt 0x0
	s_or_b32 exec_lo, exec_lo, s3
	v_mov_b64_e32 v[16:17], 0x7fffffffffffffff
	v_mov_b64_e32 v[12:13], 0x7fffffffffffffff
	v_or_b32_e32 v3, 0x80, v1
	s_mov_b32 s3, exec_lo
	s_delay_alu instid0(VALU_DEP_1)
	v_cmpx_gt_u32_e64 s28, v3
	s_cbranch_execz .LBB1605_15
; %bb.14:
	global_load_b64 v[12:13], v[20:21], off offset:1024
.LBB1605_15:
	;; [unrolled: 22-line block ×3, first 2 shown]
	s_wait_xcnt 0x0
	s_or_b32 exec_lo, exec_lo, s3
	v_or_b32_e32 v1, 0xe0, v1
	s_mov_b32 s3, exec_lo
	s_delay_alu instid0(VALU_DEP_1)
	v_cmpx_gt_u32_e64 s28, v1
	s_cbranch_execz .LBB1605_21
; %bb.20:
	global_load_b64 v[14:15], v[20:21], off offset:1792
.LBB1605_21:
	s_wait_xcnt 0x0
	s_or_b32 exec_lo, exec_lo, s3
	s_wait_loadcnt 0x0
	v_cmp_lt_i64_e32 vcc_lo, -1, v[4:5]
	s_clause 0x1
	s_load_b32 s29, s[0:1], 0x58
	s_load_u16 s3, s[0:1], 0x66
	s_mov_b64 s[6:7], 0x7fffffffffffffff
	s_bfe_u32 s4, ttmp6, 0x4000c
	s_and_b32 s5, ttmp6, 15
	s_add_co_i32 s4, s4, 1
	v_cndmask_b32_e64 v1, -1, 0x80000000, vcc_lo
	v_ashrrev_i32_e32 v3, 31, v5
	s_mul_i32 s4, ttmp9, s4
	s_delay_alu instid0(SALU_CYCLE_1) | instskip(NEXT) | instid1(VALU_DEP_2)
	s_add_co_i32 s5, s5, s4
	v_xor_b32_e32 v5, v1, v5
	s_delay_alu instid0(VALU_DEP_2)
	v_xor_b32_e32 v4, v3, v4
	s_cmp_eq_u32 s27, 0
	v_bfe_u32 v1, v0, 10, 10
	s_cselect_b32 s4, ttmp9, s5
	v_bfe_u32 v3, v0, 20, 10
	v_cmp_ne_u64_e32 vcc_lo, s[6:7], v[4:5]
	s_mov_b32 s5, 0
	s_wait_kmcnt 0x0
	s_cmp_lt_u32 s4, s29
	v_mad_u32_u24 v1, v3, s3, v1
	s_cselect_b32 s4, 12, 18
	s_lshl_b32 s8, -1, s21
	v_cndmask_b32_e32 v21, 0x80000000, v5, vcc_lo
	v_cndmask_b32_e32 v20, 0, v4, vcc_lo
	s_add_nc_u64 s[4:5], s[24:25], s[4:5]
	s_not_b32 s30, s8
	s_load_u16 s9, s[4:5], 0x0
	s_delay_alu instid0(VALU_DEP_1) | instskip(NEXT) | instid1(VALU_DEP_1)
	v_lshrrev_b64 v[20:21], s20, v[20:21]
	v_bitop3_b32 v22, v20, s8, v20 bitop3:0x30
	v_bitop3_b32 v3, v20, 1, s8 bitop3:0x40
	s_delay_alu instid0(VALU_DEP_2) | instskip(NEXT) | instid1(VALU_DEP_2)
	v_lshlrev_b32_e32 v21, 30, v22
	v_add_co_u32 v3, s3, v3, -1
	s_delay_alu instid0(VALU_DEP_1) | instskip(SKIP_1) | instid1(VALU_DEP_4)
	v_cndmask_b32_e64 v20, 0, 1, s3
	v_dual_lshlrev_b32 v23, 29, v22 :: v_dual_lshlrev_b32 v24, 28, v22
	v_not_b32_e32 v27, v21
	v_dual_lshlrev_b32 v25, 27, v22 :: v_dual_lshlrev_b32 v26, 26, v22
	s_delay_alu instid0(VALU_DEP_4)
	v_cmp_ne_u32_e32 vcc_lo, 0, v20
	v_cmp_gt_i32_e64 s3, 0, v21
	s_wait_xcnt 0x0
	v_cmp_gt_i32_e64 s4, 0, v23
	v_not_b32_e32 v20, v23
	v_ashrrev_i32_e32 v21, 31, v27
	v_not_b32_e32 v23, v24
	v_cmp_gt_i32_e64 s5, 0, v24
	v_not_b32_e32 v24, v25
	v_dual_ashrrev_i32 v20, 31, v20 :: v_dual_bitop2_b32 v3, vcc_lo, v3 bitop3:0x14
	s_delay_alu instid0(VALU_DEP_4) | instskip(SKIP_1) | instid1(VALU_DEP_4)
	v_dual_ashrrev_i32 v23, 31, v23 :: v_dual_bitop2_b32 v21, s3, v21 bitop3:0x14
	v_cmp_gt_i32_e32 vcc_lo, 0, v25
	v_ashrrev_i32_e32 v24, 31, v24
	s_delay_alu instid0(VALU_DEP_4) | instskip(NEXT) | instid1(VALU_DEP_4)
	v_dual_lshlrev_b32 v25, 25, v22 :: v_dual_bitop2_b32 v20, s4, v20 bitop3:0x14
	v_bitop3_b32 v3, v3, v21, exec_lo bitop3:0x80
	v_xor_b32_e32 v21, s5, v23
	v_not_b32_e32 v23, v26
	v_cmp_gt_i32_e64 s3, 0, v26
	v_lshlrev_b32_e32 v26, 24, v22
	s_wait_kmcnt 0x0
	v_mad_u32 v1, v1, s9, v32
	v_bitop3_b32 v20, v3, v21, v20 bitop3:0x80
	v_dual_ashrrev_i32 v23, 31, v23 :: v_dual_bitop2_b32 v21, vcc_lo, v24 bitop3:0x14
	v_not_b32_e32 v3, v25
	v_not_b32_e32 v24, v26
	v_cmp_gt_i32_e32 vcc_lo, 0, v25
	s_delay_alu instid0(VALU_DEP_4) | instskip(SKIP_1) | instid1(VALU_DEP_4)
	v_xor_b32_e32 v23, s3, v23
	v_cmp_gt_i32_e64 s3, 0, v26
	v_dual_ashrrev_i32 v25, 31, v3 :: v_dual_ashrrev_i32 v24, 31, v24
	v_lshrrev_b32_e32 v1, 5, v1
	s_delay_alu instid0(VALU_DEP_4) | instskip(SKIP_1) | instid1(VALU_DEP_4)
	v_bitop3_b32 v21, v20, v23, v21 bitop3:0x80
	v_mul_u32_u24_e32 v3, 36, v32
	v_dual_mov_b32 v25, 0 :: v_dual_bitop2_b32 v23, vcc_lo, v25 bitop3:0x14
	s_delay_alu instid0(VALU_DEP_4)
	v_dual_lshlrev_b32 v20, 2, v1 :: v_dual_bitop2_b32 v24, s3, v24 bitop3:0x14
	ds_store_2addr_b32 v3, v25, v25 offset0:16 offset1:17
	ds_store_2addr_b32 v3, v25, v25 offset0:18 offset1:19
	;; [unrolled: 1-line block ×4, first 2 shown]
	v_bitop3_b32 v21, v21, v24, v23 bitop3:0x80
	v_mad_u32 v28, 0x44, v22, v20
	ds_store_b32 v3, v25 offset:96
	s_wait_dscnt 0x0
	s_barrier_signal -1
	v_mbcnt_lo_u32_b32 v1, v21, 0
	v_cmp_ne_u32_e64 s3, 0, v21
	s_barrier_wait -1
	s_delay_alu instid0(VALU_DEP_2) | instskip(SKIP_1) | instid1(SALU_CYCLE_1)
	v_cmp_eq_u32_e32 vcc_lo, 0, v1
	; wave barrier
	s_and_b32 s4, s3, vcc_lo
	s_and_saveexec_b32 s3, s4
; %bb.22:
	v_bcnt_u32_b32 v21, v21, 0
	ds_store_b32 v28, v21 offset:64
; %bb.23:
	s_or_b32 exec_lo, exec_lo, s3
	v_cmp_lt_i64_e32 vcc_lo, -1, v[6:7]
	; wave barrier
	v_cndmask_b32_e64 v21, -1, 0x80000000, vcc_lo
	s_delay_alu instid0(VALU_DEP_1) | instskip(NEXT) | instid1(VALU_DEP_1)
	v_dual_ashrrev_i32 v22, 31, v7 :: v_dual_bitop2_b32 v7, v21, v7 bitop3:0x14
	v_xor_b32_e32 v6, v22, v6
	s_delay_alu instid0(VALU_DEP_1) | instskip(SKIP_2) | instid1(VALU_DEP_1)
	v_cmp_ne_u64_e32 vcc_lo, s[6:7], v[6:7]
	v_cndmask_b32_e32 v23, 0x80000000, v7, vcc_lo
	v_cndmask_b32_e32 v22, 0, v6, vcc_lo
	v_lshrrev_b64 v[22:23], s20, v[22:23]
	s_delay_alu instid0(VALU_DEP_1) | instskip(SKIP_1) | instid1(VALU_DEP_2)
	v_and_b32_e32 v21, s30, v22
	v_bitop3_b32 v22, v22, 1, s30 bitop3:0x80
	v_lshlrev_b32_e32 v24, 30, v21
	s_delay_alu instid0(VALU_DEP_2) | instskip(NEXT) | instid1(VALU_DEP_1)
	v_add_co_u32 v22, s3, v22, -1
	v_cndmask_b32_e64 v23, 0, 1, s3
	s_delay_alu instid0(VALU_DEP_3) | instskip(NEXT) | instid1(VALU_DEP_2)
	v_cmp_gt_i32_e64 s3, 0, v24
	v_cmp_ne_u32_e32 vcc_lo, 0, v23
	v_not_b32_e32 v23, v24
	s_delay_alu instid0(VALU_DEP_1) | instskip(SKIP_3) | instid1(VALU_DEP_4)
	v_dual_ashrrev_i32 v23, 31, v23 :: v_dual_lshlrev_b32 v25, 29, v21
	v_dual_lshlrev_b32 v26, 28, v21 :: v_dual_lshlrev_b32 v27, 27, v21
	v_lshlrev_b32_e32 v30, 26, v21
	v_mad_u32 v29, 0x44, v21, v20
	v_cmp_gt_i32_e64 s4, 0, v25
	v_not_b32_e32 v24, v25
	v_not_b32_e32 v25, v26
	v_dual_lshlrev_b32 v31, 25, v21 :: v_dual_lshlrev_b32 v21, 24, v21
	v_cmp_gt_i32_e64 s5, 0, v26
	v_cmp_gt_i32_e64 s6, 0, v27
	v_not_b32_e32 v26, v27
	v_not_b32_e32 v27, v30
	v_dual_ashrrev_i32 v24, 31, v24 :: v_dual_bitop2_b32 v22, vcc_lo, v22 bitop3:0x14
	v_dual_ashrrev_i32 v25, 31, v25 :: v_dual_bitop2_b32 v23, s3, v23 bitop3:0x14
	v_cmp_gt_i32_e64 s7, 0, v30
	v_not_b32_e32 v30, v31
	v_cmp_gt_i32_e64 s9, 0, v21
	v_not_b32_e32 v21, v21
	v_dual_ashrrev_i32 v26, 31, v26 :: v_dual_ashrrev_i32 v27, 31, v27
	v_xor_b32_e32 v24, s4, v24
	v_xor_b32_e32 v25, s5, v25
	v_bitop3_b32 v22, v22, v23, exec_lo bitop3:0x80
	v_cmp_gt_i32_e64 s8, 0, v31
	v_dual_ashrrev_i32 v23, 31, v30 :: v_dual_ashrrev_i32 v21, 31, v21
	v_xor_b32_e32 v26, s6, v26
	v_xor_b32_e32 v27, s7, v27
	v_bitop3_b32 v22, v22, v25, v24 bitop3:0x80
	s_delay_alu instid0(VALU_DEP_4) | instskip(SKIP_3) | instid1(VALU_DEP_1)
	v_xor_b32_e32 v23, s8, v23
	v_xor_b32_e32 v21, s9, v21
	ds_load_b32 v34, v29 offset:64
	v_bitop3_b32 v22, v22, v27, v26 bitop3:0x80
	; wave barrier
	v_bitop3_b32 v21, v22, v21, v23 bitop3:0x80
	s_delay_alu instid0(VALU_DEP_1) | instskip(SKIP_1) | instid1(VALU_DEP_2)
	v_mbcnt_lo_u32_b32 v35, v21, 0
	v_cmp_ne_u32_e64 s3, 0, v21
	v_cmp_eq_u32_e32 vcc_lo, 0, v35
	s_and_b32 s4, s3, vcc_lo
	s_delay_alu instid0(SALU_CYCLE_1)
	s_and_saveexec_b32 s3, s4
	s_cbranch_execz .LBB1605_25
; %bb.24:
	s_wait_dscnt 0x0
	v_bcnt_u32_b32 v21, v21, v34
	ds_store_b32 v29, v21 offset:64
.LBB1605_25:
	s_or_b32 exec_lo, exec_lo, s3
	v_cmp_lt_i64_e32 vcc_lo, -1, v[8:9]
	s_mov_b64 s[22:23], 0x7fffffffffffffff
	; wave barrier
	v_cndmask_b32_e64 v21, -1, 0x80000000, vcc_lo
	s_delay_alu instid0(VALU_DEP_1) | instskip(NEXT) | instid1(VALU_DEP_1)
	v_dual_ashrrev_i32 v22, 31, v9 :: v_dual_bitop2_b32 v9, v21, v9 bitop3:0x14
	v_xor_b32_e32 v8, v22, v8
	s_delay_alu instid0(VALU_DEP_1) | instskip(SKIP_2) | instid1(VALU_DEP_1)
	v_cmp_ne_u64_e32 vcc_lo, s[22:23], v[8:9]
	v_cndmask_b32_e32 v23, 0x80000000, v9, vcc_lo
	v_cndmask_b32_e32 v22, 0, v8, vcc_lo
	v_lshrrev_b64 v[22:23], s20, v[22:23]
	s_delay_alu instid0(VALU_DEP_1) | instskip(SKIP_1) | instid1(VALU_DEP_2)
	v_and_b32_e32 v21, s30, v22
	v_bitop3_b32 v22, v22, 1, s30 bitop3:0x80
	v_lshlrev_b32_e32 v24, 30, v21
	s_delay_alu instid0(VALU_DEP_2) | instskip(NEXT) | instid1(VALU_DEP_1)
	v_add_co_u32 v22, s3, v22, -1
	v_cndmask_b32_e64 v23, 0, 1, s3
	s_delay_alu instid0(VALU_DEP_3) | instskip(NEXT) | instid1(VALU_DEP_2)
	v_cmp_gt_i32_e64 s3, 0, v24
	v_cmp_ne_u32_e32 vcc_lo, 0, v23
	v_not_b32_e32 v23, v24
	s_delay_alu instid0(VALU_DEP_1) | instskip(SKIP_3) | instid1(VALU_DEP_3)
	v_dual_ashrrev_i32 v23, 31, v23 :: v_dual_bitop2_b32 v22, vcc_lo, v22 bitop3:0x14
	v_dual_lshlrev_b32 v25, 29, v21 :: v_dual_lshlrev_b32 v26, 28, v21
	v_dual_lshlrev_b32 v27, 27, v21 :: v_dual_lshlrev_b32 v31, 26, v21
	v_lshlrev_b32_e32 v36, 25, v21
	v_cmp_gt_i32_e64 s4, 0, v25
	v_not_b32_e32 v24, v25
	v_not_b32_e32 v25, v26
	v_mad_u32 v30, 0x44, v21, v20
	v_lshlrev_b32_e32 v21, 24, v21
	v_cmp_gt_i32_e64 s5, 0, v26
	v_cmp_gt_i32_e64 s6, 0, v27
	v_not_b32_e32 v26, v27
	v_not_b32_e32 v27, v31
	v_dual_ashrrev_i32 v24, 31, v24 :: v_dual_ashrrev_i32 v25, 31, v25
	v_xor_b32_e32 v23, s3, v23
	v_cmp_gt_i32_e64 s7, 0, v31
	v_not_b32_e32 v31, v36
	v_cmp_gt_i32_e64 s9, 0, v21
	v_not_b32_e32 v21, v21
	v_dual_ashrrev_i32 v26, 31, v26 :: v_dual_ashrrev_i32 v27, 31, v27
	v_xor_b32_e32 v24, s4, v24
	v_xor_b32_e32 v25, s5, v25
	v_bitop3_b32 v22, v22, v23, exec_lo bitop3:0x80
	v_cmp_gt_i32_e64 s8, 0, v36
	v_dual_ashrrev_i32 v23, 31, v31 :: v_dual_ashrrev_i32 v21, 31, v21
	v_xor_b32_e32 v26, s6, v26
	v_xor_b32_e32 v27, s7, v27
	v_bitop3_b32 v22, v22, v25, v24 bitop3:0x80
	s_delay_alu instid0(VALU_DEP_4) | instskip(SKIP_3) | instid1(VALU_DEP_1)
	v_xor_b32_e32 v23, s8, v23
	v_xor_b32_e32 v21, s9, v21
	ds_load_b32 v36, v30 offset:64
	v_bitop3_b32 v22, v22, v27, v26 bitop3:0x80
	; wave barrier
	v_bitop3_b32 v21, v22, v21, v23 bitop3:0x80
	s_delay_alu instid0(VALU_DEP_1) | instskip(SKIP_1) | instid1(VALU_DEP_2)
	v_mbcnt_lo_u32_b32 v37, v21, 0
	v_cmp_ne_u32_e64 s3, 0, v21
	v_cmp_eq_u32_e32 vcc_lo, 0, v37
	s_and_b32 s4, s3, vcc_lo
	s_delay_alu instid0(SALU_CYCLE_1)
	s_and_saveexec_b32 s3, s4
	s_cbranch_execz .LBB1605_27
; %bb.26:
	s_wait_dscnt 0x0
	v_bcnt_u32_b32 v21, v21, v36
	ds_store_b32 v30, v21 offset:64
.LBB1605_27:
	s_or_b32 exec_lo, exec_lo, s3
	v_cmp_lt_i64_e32 vcc_lo, -1, v[10:11]
	; wave barrier
	v_cndmask_b32_e64 v21, -1, 0x80000000, vcc_lo
	s_delay_alu instid0(VALU_DEP_1) | instskip(NEXT) | instid1(VALU_DEP_1)
	v_dual_ashrrev_i32 v22, 31, v11 :: v_dual_bitop2_b32 v11, v21, v11 bitop3:0x14
	v_xor_b32_e32 v10, v22, v10
	s_delay_alu instid0(VALU_DEP_1) | instskip(SKIP_2) | instid1(VALU_DEP_1)
	v_cmp_ne_u64_e32 vcc_lo, s[22:23], v[10:11]
	v_cndmask_b32_e32 v23, 0x80000000, v11, vcc_lo
	v_cndmask_b32_e32 v22, 0, v10, vcc_lo
	v_lshrrev_b64 v[22:23], s20, v[22:23]
	s_delay_alu instid0(VALU_DEP_1) | instskip(SKIP_1) | instid1(VALU_DEP_2)
	v_and_b32_e32 v21, s30, v22
	v_bitop3_b32 v22, v22, 1, s30 bitop3:0x80
	v_lshlrev_b32_e32 v24, 30, v21
	s_delay_alu instid0(VALU_DEP_2) | instskip(NEXT) | instid1(VALU_DEP_1)
	v_add_co_u32 v22, s3, v22, -1
	v_cndmask_b32_e64 v23, 0, 1, s3
	s_delay_alu instid0(VALU_DEP_3) | instskip(NEXT) | instid1(VALU_DEP_2)
	v_cmp_gt_i32_e64 s3, 0, v24
	v_cmp_ne_u32_e32 vcc_lo, 0, v23
	v_not_b32_e32 v23, v24
	s_delay_alu instid0(VALU_DEP_1) | instskip(SKIP_3) | instid1(VALU_DEP_4)
	v_dual_ashrrev_i32 v23, 31, v23 :: v_dual_lshlrev_b32 v25, 29, v21
	v_dual_lshlrev_b32 v26, 28, v21 :: v_dual_lshlrev_b32 v27, 27, v21
	v_lshlrev_b32_e32 v38, 26, v21
	v_mad_u32 v31, 0x44, v21, v20
	v_cmp_gt_i32_e64 s4, 0, v25
	v_not_b32_e32 v24, v25
	v_not_b32_e32 v25, v26
	v_dual_lshlrev_b32 v39, 25, v21 :: v_dual_lshlrev_b32 v21, 24, v21
	v_cmp_gt_i32_e64 s5, 0, v26
	v_cmp_gt_i32_e64 s6, 0, v27
	v_not_b32_e32 v26, v27
	v_not_b32_e32 v27, v38
	v_dual_ashrrev_i32 v24, 31, v24 :: v_dual_bitop2_b32 v22, vcc_lo, v22 bitop3:0x14
	v_dual_ashrrev_i32 v25, 31, v25 :: v_dual_bitop2_b32 v23, s3, v23 bitop3:0x14
	v_cmp_gt_i32_e64 s7, 0, v38
	v_not_b32_e32 v38, v39
	v_cmp_gt_i32_e64 s9, 0, v21
	v_not_b32_e32 v21, v21
	v_dual_ashrrev_i32 v26, 31, v26 :: v_dual_ashrrev_i32 v27, 31, v27
	v_xor_b32_e32 v24, s4, v24
	v_xor_b32_e32 v25, s5, v25
	v_bitop3_b32 v22, v22, v23, exec_lo bitop3:0x80
	v_cmp_gt_i32_e64 s8, 0, v39
	v_dual_ashrrev_i32 v23, 31, v38 :: v_dual_ashrrev_i32 v21, 31, v21
	v_xor_b32_e32 v26, s6, v26
	v_xor_b32_e32 v27, s7, v27
	v_bitop3_b32 v22, v22, v25, v24 bitop3:0x80
	s_delay_alu instid0(VALU_DEP_4) | instskip(SKIP_3) | instid1(VALU_DEP_1)
	v_xor_b32_e32 v23, s8, v23
	v_xor_b32_e32 v21, s9, v21
	ds_load_b32 v38, v31 offset:64
	v_bitop3_b32 v22, v22, v27, v26 bitop3:0x80
	; wave barrier
	v_bitop3_b32 v21, v22, v21, v23 bitop3:0x80
	s_delay_alu instid0(VALU_DEP_1) | instskip(SKIP_1) | instid1(VALU_DEP_2)
	v_mbcnt_lo_u32_b32 v39, v21, 0
	v_cmp_ne_u32_e64 s3, 0, v21
	v_cmp_eq_u32_e32 vcc_lo, 0, v39
	s_and_b32 s4, s3, vcc_lo
	s_delay_alu instid0(SALU_CYCLE_1)
	s_and_saveexec_b32 s3, s4
	s_cbranch_execz .LBB1605_29
; %bb.28:
	s_wait_dscnt 0x0
	v_bcnt_u32_b32 v21, v21, v38
	ds_store_b32 v31, v21 offset:64
.LBB1605_29:
	s_or_b32 exec_lo, exec_lo, s3
	v_cmp_lt_i64_e32 vcc_lo, -1, v[12:13]
	; wave barrier
	v_cndmask_b32_e64 v21, -1, 0x80000000, vcc_lo
	s_delay_alu instid0(VALU_DEP_1) | instskip(NEXT) | instid1(VALU_DEP_1)
	v_dual_ashrrev_i32 v22, 31, v13 :: v_dual_bitop2_b32 v13, v21, v13 bitop3:0x14
	v_xor_b32_e32 v12, v22, v12
	s_delay_alu instid0(VALU_DEP_1) | instskip(SKIP_2) | instid1(VALU_DEP_1)
	v_cmp_ne_u64_e32 vcc_lo, s[22:23], v[12:13]
	v_cndmask_b32_e32 v23, 0x80000000, v13, vcc_lo
	v_cndmask_b32_e32 v22, 0, v12, vcc_lo
	v_lshrrev_b64 v[22:23], s20, v[22:23]
	s_delay_alu instid0(VALU_DEP_1) | instskip(SKIP_1) | instid1(VALU_DEP_2)
	v_and_b32_e32 v21, s30, v22
	v_bitop3_b32 v22, v22, 1, s30 bitop3:0x80
	v_lshlrev_b32_e32 v24, 30, v21
	s_delay_alu instid0(VALU_DEP_2) | instskip(NEXT) | instid1(VALU_DEP_1)
	v_add_co_u32 v22, s3, v22, -1
	v_cndmask_b32_e64 v23, 0, 1, s3
	s_delay_alu instid0(VALU_DEP_3) | instskip(NEXT) | instid1(VALU_DEP_2)
	v_cmp_gt_i32_e64 s3, 0, v24
	v_cmp_ne_u32_e32 vcc_lo, 0, v23
	v_not_b32_e32 v23, v24
	s_delay_alu instid0(VALU_DEP_1) | instskip(SKIP_3) | instid1(VALU_DEP_3)
	v_dual_ashrrev_i32 v23, 31, v23 :: v_dual_bitop2_b32 v22, vcc_lo, v22 bitop3:0x14
	v_dual_lshlrev_b32 v25, 29, v21 :: v_dual_lshlrev_b32 v26, 28, v21
	v_dual_lshlrev_b32 v27, 27, v21 :: v_dual_lshlrev_b32 v40, 26, v21
	v_lshlrev_b32_e32 v41, 25, v21
	v_cmp_gt_i32_e64 s4, 0, v25
	v_not_b32_e32 v24, v25
	v_not_b32_e32 v25, v26
	v_mad_u32 v42, 0x44, v21, v20
	v_lshlrev_b32_e32 v21, 24, v21
	v_cmp_gt_i32_e64 s5, 0, v26
	v_cmp_gt_i32_e64 s6, 0, v27
	v_not_b32_e32 v26, v27
	v_not_b32_e32 v27, v40
	v_dual_ashrrev_i32 v24, 31, v24 :: v_dual_ashrrev_i32 v25, 31, v25
	v_xor_b32_e32 v23, s3, v23
	v_cmp_gt_i32_e64 s7, 0, v40
	v_not_b32_e32 v40, v41
	v_cmp_gt_i32_e64 s9, 0, v21
	v_not_b32_e32 v21, v21
	v_dual_ashrrev_i32 v26, 31, v26 :: v_dual_ashrrev_i32 v27, 31, v27
	v_xor_b32_e32 v24, s4, v24
	v_xor_b32_e32 v25, s5, v25
	v_bitop3_b32 v22, v22, v23, exec_lo bitop3:0x80
	v_cmp_gt_i32_e64 s8, 0, v41
	v_dual_ashrrev_i32 v23, 31, v40 :: v_dual_ashrrev_i32 v21, 31, v21
	v_xor_b32_e32 v26, s6, v26
	v_xor_b32_e32 v27, s7, v27
	v_bitop3_b32 v22, v22, v25, v24 bitop3:0x80
	s_delay_alu instid0(VALU_DEP_4) | instskip(SKIP_3) | instid1(VALU_DEP_1)
	v_xor_b32_e32 v23, s8, v23
	v_xor_b32_e32 v21, s9, v21
	ds_load_b32 v40, v42 offset:64
	v_bitop3_b32 v22, v22, v27, v26 bitop3:0x80
	; wave barrier
	v_bitop3_b32 v21, v22, v21, v23 bitop3:0x80
	s_delay_alu instid0(VALU_DEP_1) | instskip(SKIP_1) | instid1(VALU_DEP_2)
	v_mbcnt_lo_u32_b32 v41, v21, 0
	v_cmp_ne_u32_e64 s3, 0, v21
	v_cmp_eq_u32_e32 vcc_lo, 0, v41
	s_and_b32 s4, s3, vcc_lo
	s_delay_alu instid0(SALU_CYCLE_1)
	s_and_saveexec_b32 s3, s4
	s_cbranch_execz .LBB1605_31
; %bb.30:
	s_wait_dscnt 0x0
	v_bcnt_u32_b32 v21, v21, v40
	ds_store_b32 v42, v21 offset:64
.LBB1605_31:
	s_or_b32 exec_lo, exec_lo, s3
	v_cmp_lt_i64_e32 vcc_lo, -1, v[16:17]
	; wave barrier
	v_cndmask_b32_e64 v21, -1, 0x80000000, vcc_lo
	s_delay_alu instid0(VALU_DEP_1) | instskip(NEXT) | instid1(VALU_DEP_1)
	v_dual_ashrrev_i32 v22, 31, v17 :: v_dual_bitop2_b32 v17, v21, v17 bitop3:0x14
	v_xor_b32_e32 v16, v22, v16
	s_delay_alu instid0(VALU_DEP_1) | instskip(SKIP_2) | instid1(VALU_DEP_1)
	v_cmp_ne_u64_e32 vcc_lo, s[22:23], v[16:17]
	v_cndmask_b32_e32 v23, 0x80000000, v17, vcc_lo
	v_cndmask_b32_e32 v22, 0, v16, vcc_lo
	v_lshrrev_b64 v[22:23], s20, v[22:23]
	s_delay_alu instid0(VALU_DEP_1) | instskip(SKIP_1) | instid1(VALU_DEP_2)
	v_and_b32_e32 v21, s30, v22
	v_bitop3_b32 v22, v22, 1, s30 bitop3:0x80
	v_lshlrev_b32_e32 v24, 30, v21
	s_delay_alu instid0(VALU_DEP_2) | instskip(NEXT) | instid1(VALU_DEP_1)
	v_add_co_u32 v22, s3, v22, -1
	v_cndmask_b32_e64 v23, 0, 1, s3
	s_delay_alu instid0(VALU_DEP_3) | instskip(NEXT) | instid1(VALU_DEP_2)
	v_cmp_gt_i32_e64 s3, 0, v24
	v_cmp_ne_u32_e32 vcc_lo, 0, v23
	v_not_b32_e32 v23, v24
	s_delay_alu instid0(VALU_DEP_1) | instskip(SKIP_3) | instid1(VALU_DEP_3)
	v_dual_ashrrev_i32 v23, 31, v23 :: v_dual_bitop2_b32 v22, vcc_lo, v22 bitop3:0x14
	v_dual_lshlrev_b32 v25, 29, v21 :: v_dual_lshlrev_b32 v26, 28, v21
	v_dual_lshlrev_b32 v27, 27, v21 :: v_dual_lshlrev_b32 v43, 26, v21
	v_lshlrev_b32_e32 v44, 25, v21
	v_cmp_gt_i32_e64 s4, 0, v25
	v_not_b32_e32 v24, v25
	v_not_b32_e32 v25, v26
	v_mad_u32 v45, 0x44, v21, v20
	v_lshlrev_b32_e32 v21, 24, v21
	v_cmp_gt_i32_e64 s5, 0, v26
	v_cmp_gt_i32_e64 s6, 0, v27
	v_not_b32_e32 v26, v27
	v_not_b32_e32 v27, v43
	v_dual_ashrrev_i32 v24, 31, v24 :: v_dual_ashrrev_i32 v25, 31, v25
	v_xor_b32_e32 v23, s3, v23
	v_cmp_gt_i32_e64 s7, 0, v43
	v_not_b32_e32 v43, v44
	v_cmp_gt_i32_e64 s9, 0, v21
	v_not_b32_e32 v21, v21
	v_dual_ashrrev_i32 v26, 31, v26 :: v_dual_ashrrev_i32 v27, 31, v27
	v_xor_b32_e32 v24, s4, v24
	v_xor_b32_e32 v25, s5, v25
	v_bitop3_b32 v22, v22, v23, exec_lo bitop3:0x80
	v_cmp_gt_i32_e64 s8, 0, v44
	v_dual_ashrrev_i32 v23, 31, v43 :: v_dual_ashrrev_i32 v21, 31, v21
	v_xor_b32_e32 v26, s6, v26
	v_xor_b32_e32 v27, s7, v27
	v_bitop3_b32 v22, v22, v25, v24 bitop3:0x80
	s_delay_alu instid0(VALU_DEP_4) | instskip(SKIP_3) | instid1(VALU_DEP_1)
	v_xor_b32_e32 v23, s8, v23
	v_xor_b32_e32 v21, s9, v21
	ds_load_b32 v43, v45 offset:64
	v_bitop3_b32 v22, v22, v27, v26 bitop3:0x80
	; wave barrier
	v_bitop3_b32 v21, v22, v21, v23 bitop3:0x80
	s_delay_alu instid0(VALU_DEP_1) | instskip(SKIP_1) | instid1(VALU_DEP_2)
	v_mbcnt_lo_u32_b32 v44, v21, 0
	v_cmp_ne_u32_e64 s3, 0, v21
	v_cmp_eq_u32_e32 vcc_lo, 0, v44
	s_and_b32 s4, s3, vcc_lo
	s_delay_alu instid0(SALU_CYCLE_1)
	s_and_saveexec_b32 s3, s4
	s_cbranch_execz .LBB1605_33
; %bb.32:
	s_wait_dscnt 0x0
	v_bcnt_u32_b32 v21, v21, v43
	ds_store_b32 v45, v21 offset:64
.LBB1605_33:
	s_or_b32 exec_lo, exec_lo, s3
	v_cmp_lt_i64_e32 vcc_lo, -1, v[18:19]
	; wave barrier
	v_cndmask_b32_e64 v21, -1, 0x80000000, vcc_lo
	s_delay_alu instid0(VALU_DEP_1) | instskip(NEXT) | instid1(VALU_DEP_1)
	v_dual_ashrrev_i32 v22, 31, v19 :: v_dual_bitop2_b32 v19, v21, v19 bitop3:0x14
	v_xor_b32_e32 v18, v22, v18
	s_delay_alu instid0(VALU_DEP_1) | instskip(SKIP_2) | instid1(VALU_DEP_1)
	v_cmp_ne_u64_e32 vcc_lo, s[22:23], v[18:19]
	v_cndmask_b32_e32 v23, 0x80000000, v19, vcc_lo
	v_cndmask_b32_e32 v22, 0, v18, vcc_lo
	v_lshrrev_b64 v[22:23], s20, v[22:23]
	s_delay_alu instid0(VALU_DEP_1) | instskip(SKIP_1) | instid1(VALU_DEP_2)
	v_and_b32_e32 v21, s30, v22
	v_bitop3_b32 v22, v22, 1, s30 bitop3:0x80
	v_lshlrev_b32_e32 v24, 30, v21
	s_delay_alu instid0(VALU_DEP_2) | instskip(NEXT) | instid1(VALU_DEP_1)
	v_add_co_u32 v22, s3, v22, -1
	v_cndmask_b32_e64 v23, 0, 1, s3
	s_delay_alu instid0(VALU_DEP_3) | instskip(NEXT) | instid1(VALU_DEP_2)
	v_cmp_gt_i32_e64 s3, 0, v24
	v_cmp_ne_u32_e32 vcc_lo, 0, v23
	v_not_b32_e32 v23, v24
	s_delay_alu instid0(VALU_DEP_1) | instskip(SKIP_3) | instid1(VALU_DEP_4)
	v_dual_ashrrev_i32 v23, 31, v23 :: v_dual_lshlrev_b32 v25, 29, v21
	v_dual_lshlrev_b32 v26, 28, v21 :: v_dual_lshlrev_b32 v27, 27, v21
	v_lshlrev_b32_e32 v46, 26, v21
	v_mad_u32 v48, 0x44, v21, v20
	v_cmp_gt_i32_e64 s4, 0, v25
	v_not_b32_e32 v24, v25
	v_not_b32_e32 v25, v26
	v_dual_lshlrev_b32 v47, 25, v21 :: v_dual_lshlrev_b32 v21, 24, v21
	v_cmp_gt_i32_e64 s5, 0, v26
	v_cmp_gt_i32_e64 s6, 0, v27
	v_not_b32_e32 v26, v27
	v_not_b32_e32 v27, v46
	v_dual_ashrrev_i32 v24, 31, v24 :: v_dual_bitop2_b32 v22, vcc_lo, v22 bitop3:0x14
	v_dual_ashrrev_i32 v25, 31, v25 :: v_dual_bitop2_b32 v23, s3, v23 bitop3:0x14
	v_cmp_gt_i32_e64 s7, 0, v46
	v_not_b32_e32 v46, v47
	v_cmp_gt_i32_e64 s9, 0, v21
	v_not_b32_e32 v21, v21
	v_dual_ashrrev_i32 v26, 31, v26 :: v_dual_ashrrev_i32 v27, 31, v27
	v_xor_b32_e32 v24, s4, v24
	v_xor_b32_e32 v25, s5, v25
	v_bitop3_b32 v22, v22, v23, exec_lo bitop3:0x80
	v_cmp_gt_i32_e64 s8, 0, v47
	v_dual_ashrrev_i32 v23, 31, v46 :: v_dual_ashrrev_i32 v21, 31, v21
	v_xor_b32_e32 v26, s6, v26
	v_xor_b32_e32 v27, s7, v27
	v_bitop3_b32 v22, v22, v25, v24 bitop3:0x80
	s_delay_alu instid0(VALU_DEP_4) | instskip(SKIP_3) | instid1(VALU_DEP_1)
	v_xor_b32_e32 v23, s8, v23
	v_xor_b32_e32 v21, s9, v21
	ds_load_b32 v46, v48 offset:64
	v_bitop3_b32 v22, v22, v27, v26 bitop3:0x80
	; wave barrier
	v_bitop3_b32 v21, v22, v21, v23 bitop3:0x80
	s_delay_alu instid0(VALU_DEP_1) | instskip(SKIP_1) | instid1(VALU_DEP_2)
	v_mbcnt_lo_u32_b32 v47, v21, 0
	v_cmp_ne_u32_e64 s3, 0, v21
	v_cmp_eq_u32_e32 vcc_lo, 0, v47
	s_and_b32 s4, s3, vcc_lo
	s_delay_alu instid0(SALU_CYCLE_1)
	s_and_saveexec_b32 s3, s4
	s_cbranch_execz .LBB1605_35
; %bb.34:
	s_wait_dscnt 0x0
	v_bcnt_u32_b32 v21, v21, v46
	ds_store_b32 v48, v21 offset:64
.LBB1605_35:
	s_or_b32 exec_lo, exec_lo, s3
	v_cmp_lt_i64_e32 vcc_lo, -1, v[14:15]
	; wave barrier
	v_cndmask_b32_e64 v21, -1, 0x80000000, vcc_lo
	s_delay_alu instid0(VALU_DEP_1) | instskip(NEXT) | instid1(VALU_DEP_1)
	v_dual_ashrrev_i32 v22, 31, v15 :: v_dual_bitop2_b32 v15, v21, v15 bitop3:0x14
	v_xor_b32_e32 v14, v22, v14
	s_delay_alu instid0(VALU_DEP_1) | instskip(SKIP_2) | instid1(VALU_DEP_1)
	v_cmp_ne_u64_e32 vcc_lo, s[22:23], v[14:15]
	v_cndmask_b32_e32 v23, 0x80000000, v15, vcc_lo
	v_cndmask_b32_e32 v22, 0, v14, vcc_lo
	v_lshrrev_b64 v[22:23], s20, v[22:23]
	s_delay_alu instid0(VALU_DEP_1) | instskip(SKIP_1) | instid1(VALU_DEP_2)
	v_and_b32_e32 v21, s30, v22
	v_bitop3_b32 v22, v22, 1, s30 bitop3:0x80
	v_mad_u32 v51, 0x44, v21, v20
	s_delay_alu instid0(VALU_DEP_2) | instskip(NEXT) | instid1(VALU_DEP_1)
	v_add_co_u32 v20, s3, v22, -1
	v_cndmask_b32_e64 v22, 0, 1, s3
	v_lshlrev_b32_e32 v23, 30, v21
	s_delay_alu instid0(VALU_DEP_2) | instskip(NEXT) | instid1(VALU_DEP_2)
	v_cmp_ne_u32_e32 vcc_lo, 0, v22
	v_not_b32_e32 v22, v23
	v_cmp_gt_i32_e64 s3, 0, v23
	s_delay_alu instid0(VALU_DEP_2) | instskip(SKIP_3) | instid1(VALU_DEP_4)
	v_dual_ashrrev_i32 v22, 31, v22 :: v_dual_lshlrev_b32 v24, 29, v21
	v_dual_lshlrev_b32 v25, 28, v21 :: v_dual_lshlrev_b32 v26, 27, v21
	v_dual_lshlrev_b32 v27, 26, v21 :: v_dual_lshlrev_b32 v49, 25, v21
	v_lshlrev_b32_e32 v21, 24, v21
	v_cmp_gt_i32_e64 s4, 0, v24
	v_not_b32_e32 v23, v24
	v_not_b32_e32 v24, v25
	v_cmp_gt_i32_e64 s5, 0, v25
	v_cmp_gt_i32_e64 s6, 0, v26
	v_not_b32_e32 v25, v26
	v_not_b32_e32 v26, v27
	v_dual_ashrrev_i32 v23, 31, v23 :: v_dual_bitop2_b32 v20, vcc_lo, v20 bitop3:0x14
	v_dual_ashrrev_i32 v24, 31, v24 :: v_dual_bitop2_b32 v22, s3, v22 bitop3:0x14
	v_cmp_gt_i32_e64 s7, 0, v27
	v_not_b32_e32 v27, v49
	v_cmp_gt_i32_e64 s9, 0, v21
	v_not_b32_e32 v21, v21
	v_dual_ashrrev_i32 v25, 31, v25 :: v_dual_ashrrev_i32 v26, 31, v26
	v_xor_b32_e32 v23, s4, v23
	v_xor_b32_e32 v24, s5, v24
	v_bitop3_b32 v20, v20, v22, exec_lo bitop3:0x80
	v_cmp_gt_i32_e64 s8, 0, v49
	v_dual_ashrrev_i32 v22, 31, v27 :: v_dual_ashrrev_i32 v21, 31, v21
	v_xor_b32_e32 v25, s6, v25
	v_xor_b32_e32 v26, s7, v26
	v_bitop3_b32 v20, v20, v24, v23 bitop3:0x80
	s_delay_alu instid0(VALU_DEP_4) | instskip(SKIP_3) | instid1(VALU_DEP_1)
	v_xor_b32_e32 v22, s8, v22
	v_xor_b32_e32 v21, s9, v21
	ds_load_b32 v49, v51 offset:64
	v_bitop3_b32 v20, v20, v26, v25 bitop3:0x80
	; wave barrier
	v_bitop3_b32 v20, v20, v21, v22 bitop3:0x80
	s_delay_alu instid0(VALU_DEP_1) | instskip(SKIP_1) | instid1(VALU_DEP_2)
	v_mbcnt_lo_u32_b32 v50, v20, 0
	v_cmp_ne_u32_e64 s3, 0, v20
	v_cmp_eq_u32_e32 vcc_lo, 0, v50
	s_and_b32 s4, s3, vcc_lo
	s_delay_alu instid0(SALU_CYCLE_1)
	s_and_saveexec_b32 s3, s4
	s_cbranch_execz .LBB1605_37
; %bb.36:
	s_wait_dscnt 0x0
	v_bcnt_u32_b32 v20, v20, v49
	ds_store_b32 v51, v20 offset:64
.LBB1605_37:
	s_or_b32 exec_lo, exec_lo, s3
	; wave barrier
	s_wait_dscnt 0x0
	s_barrier_signal -1
	s_barrier_wait -1
	ds_load_2addr_b32 v[26:27], v3 offset0:16 offset1:17
	ds_load_2addr_b32 v[24:25], v3 offset0:18 offset1:19
	;; [unrolled: 1-line block ×4, first 2 shown]
	ds_load_b32 v52, v3 offset:96
	v_bfe_i32 v55, v33, 4, 1
	s_mov_b32 s7, exec_lo
	s_wait_dscnt 0x3
	v_add3_u32 v53, v27, v26, v24
	s_wait_dscnt 0x2
	s_delay_alu instid0(VALU_DEP_1) | instskip(SKIP_1) | instid1(VALU_DEP_1)
	v_add3_u32 v53, v53, v25, v22
	s_wait_dscnt 0x1
	v_add3_u32 v53, v53, v23, v20
	s_wait_dscnt 0x0
	s_delay_alu instid0(VALU_DEP_1) | instskip(SKIP_1) | instid1(VALU_DEP_2)
	v_add3_u32 v52, v53, v21, v52
	v_and_b32_e32 v53, 15, v33
	v_mov_b32_dpp v54, v52 row_shr:1 row_mask:0xf bank_mask:0xf
	s_delay_alu instid0(VALU_DEP_2) | instskip(NEXT) | instid1(VALU_DEP_2)
	v_cmp_eq_u32_e32 vcc_lo, 0, v53
	v_cndmask_b32_e64 v54, v54, 0, vcc_lo
	s_delay_alu instid0(VALU_DEP_1) | instskip(SKIP_3) | instid1(VALU_DEP_4)
	v_add_nc_u32_e32 v52, v54, v52
	v_cmp_lt_u32_e64 s3, 1, v53
	v_cmp_lt_u32_e64 s4, 3, v53
	v_cmp_lt_u32_e64 s5, 7, v53
	v_mov_b32_dpp v54, v52 row_shr:2 row_mask:0xf bank_mask:0xf
	s_delay_alu instid0(VALU_DEP_1) | instskip(NEXT) | instid1(VALU_DEP_1)
	v_cndmask_b32_e64 v54, 0, v54, s3
	v_add_nc_u32_e32 v52, v52, v54
	s_delay_alu instid0(VALU_DEP_1) | instskip(NEXT) | instid1(VALU_DEP_1)
	v_mov_b32_dpp v54, v52 row_shr:4 row_mask:0xf bank_mask:0xf
	v_cndmask_b32_e64 v54, 0, v54, s4
	s_delay_alu instid0(VALU_DEP_1) | instskip(NEXT) | instid1(VALU_DEP_1)
	v_add_nc_u32_e32 v52, v52, v54
	v_mov_b32_dpp v54, v52 row_shr:8 row_mask:0xf bank_mask:0xf
	s_delay_alu instid0(VALU_DEP_1) | instskip(SKIP_1) | instid1(VALU_DEP_2)
	v_cndmask_b32_e64 v53, 0, v54, s5
	v_and_b32_e32 v54, 0x3e0, v32
	v_add_nc_u32_e32 v52, v52, v53
	s_delay_alu instid0(VALU_DEP_2) | instskip(SKIP_3) | instid1(VALU_DEP_1)
	v_min_u32_e32 v54, 0x1e0, v54
	ds_swizzle_b32 v53, v52 offset:swizzle(BROADCAST,32,15)
	s_wait_dscnt 0x0
	v_dual_lshrrev_b32 v53, 5, v32 :: v_dual_bitop2_b32 v55, v55, v53 bitop3:0x40
	v_dual_add_nc_u32 v52, v52, v55 :: v_dual_bitop2_b32 v54, 31, v54 bitop3:0x54
	s_delay_alu instid0(VALU_DEP_1)
	v_cmpx_eq_u32_e64 v32, v54
; %bb.38:
	s_delay_alu instid0(VALU_DEP_3)
	v_lshlrev_b32_e32 v54, 2, v53
	ds_store_b32 v54, v52
; %bb.39:
	s_or_b32 exec_lo, exec_lo, s7
	s_delay_alu instid0(SALU_CYCLE_1)
	s_mov_b32 s7, exec_lo
	s_wait_dscnt 0x0
	s_barrier_signal -1
	s_barrier_wait -1
	v_cmpx_gt_u32_e32 16, v32
	s_cbranch_execz .LBB1605_41
; %bb.40:
	v_lshlrev_b32_e32 v54, 2, v32
	ds_load_b32 v55, v54
	s_wait_dscnt 0x0
	v_mov_b32_dpp v56, v55 row_shr:1 row_mask:0xf bank_mask:0xf
	s_delay_alu instid0(VALU_DEP_1) | instskip(NEXT) | instid1(VALU_DEP_1)
	v_cndmask_b32_e64 v56, v56, 0, vcc_lo
	v_add_nc_u32_e32 v55, v56, v55
	s_delay_alu instid0(VALU_DEP_1) | instskip(NEXT) | instid1(VALU_DEP_1)
	v_mov_b32_dpp v56, v55 row_shr:2 row_mask:0xf bank_mask:0xf
	v_cndmask_b32_e64 v56, 0, v56, s3
	s_delay_alu instid0(VALU_DEP_1) | instskip(NEXT) | instid1(VALU_DEP_1)
	v_add_nc_u32_e32 v55, v55, v56
	v_mov_b32_dpp v56, v55 row_shr:4 row_mask:0xf bank_mask:0xf
	s_delay_alu instid0(VALU_DEP_1) | instskip(NEXT) | instid1(VALU_DEP_1)
	v_cndmask_b32_e64 v56, 0, v56, s4
	v_add_nc_u32_e32 v55, v55, v56
	s_delay_alu instid0(VALU_DEP_1) | instskip(NEXT) | instid1(VALU_DEP_1)
	v_mov_b32_dpp v56, v55 row_shr:8 row_mask:0xf bank_mask:0xf
	v_cndmask_b32_e64 v56, 0, v56, s5
	s_delay_alu instid0(VALU_DEP_1)
	v_add_nc_u32_e32 v55, v55, v56
	ds_store_b32 v54, v55
.LBB1605_41:
	s_or_b32 exec_lo, exec_lo, s7
	v_mov_b32_e32 v54, 0
	s_mov_b32 s3, exec_lo
	s_wait_dscnt 0x0
	s_barrier_signal -1
	s_barrier_wait -1
	v_cmpx_lt_u32_e32 31, v32
; %bb.42:
	v_lshl_add_u32 v53, v53, 2, -4
	ds_load_b32 v54, v53
; %bb.43:
	s_or_b32 exec_lo, exec_lo, s3
	v_sub_co_u32 v53, vcc_lo, v33, 1
	s_wait_dscnt 0x0
	v_add_nc_u32_e32 v52, v54, v52
	s_delay_alu instid0(VALU_DEP_2) | instskip(NEXT) | instid1(VALU_DEP_1)
	v_cmp_gt_i32_e64 s3, 0, v53
	v_cndmask_b32_e64 v53, v53, v33, s3
	v_cmp_lt_u32_e64 s3, 0xff, v32
	s_delay_alu instid0(VALU_DEP_2) | instskip(SKIP_4) | instid1(VALU_DEP_2)
	v_lshlrev_b32_e32 v53, 2, v53
	ds_bpermute_b32 v52, v53, v52
	s_wait_dscnt 0x0
	v_cndmask_b32_e32 v52, v52, v54, vcc_lo
	v_cmp_gt_u32_e32 vcc_lo, 0x100, v32
	v_cndmask_b32_e64 v52, v52, 0, s2
	s_delay_alu instid0(VALU_DEP_1) | instskip(NEXT) | instid1(VALU_DEP_1)
	v_add_nc_u32_e32 v26, v52, v26
	v_add_nc_u32_e32 v27, v26, v27
	s_delay_alu instid0(VALU_DEP_1) | instskip(NEXT) | instid1(VALU_DEP_1)
	v_add_nc_u32_e32 v24, v27, v24
	v_add_nc_u32_e32 v25, v24, v25
	s_delay_alu instid0(VALU_DEP_1) | instskip(NEXT) | instid1(VALU_DEP_1)
	v_add_nc_u32_e32 v22, v25, v22
	v_add_nc_u32_e32 v23, v22, v23
	s_delay_alu instid0(VALU_DEP_1) | instskip(NEXT) | instid1(VALU_DEP_1)
	v_add_nc_u32_e32 v20, v23, v20
	v_add_nc_u32_e32 v21, v20, v21
	ds_store_2addr_b32 v3, v52, v26 offset0:16 offset1:17
	ds_store_2addr_b32 v3, v27, v24 offset0:18 offset1:19
	;; [unrolled: 1-line block ×4, first 2 shown]
	ds_store_b32 v3, v21 offset:96
	s_wait_dscnt 0x0
	s_barrier_signal -1
	s_barrier_wait -1
	ds_load_b32 v23, v28 offset:64
	ds_load_b32 v52, v29 offset:64
	;; [unrolled: 1-line block ×8, first 2 shown]
	v_mov_b64_e32 v[20:21], 0
                                        ; implicit-def: $vgpr22
	s_and_saveexec_b32 s5, vcc_lo
	s_cbranch_execz .LBB1605_47
; %bb.44:
	v_mul_u32_u24_e32 v3, 0x44, v32
	v_add_nc_u32_e32 v21, 1, v32
	s_mov_b32 s6, exec_lo
	ds_load_b32 v20, v3 offset:64
	v_mov_b32_e32 v3, 0x1000
	v_cmpx_ne_u32_e32 0x100, v21
; %bb.45:
	v_mul_u32_u24_e32 v3, 0x44, v21
	ds_load_b32 v3, v3 offset:64
; %bb.46:
	s_or_b32 exec_lo, exec_lo, s6
	s_wait_dscnt 0x0
	v_dual_mov_b32 v21, 0 :: v_dual_sub_nc_u32 v22, v3, v20
.LBB1605_47:
	s_or_b32 exec_lo, exec_lo, s5
	v_mov_b32_e32 v25, 0
	s_wait_dscnt 0x0
	s_barrier_signal -1
	s_barrier_wait -1
	s_and_saveexec_b32 s4, vcc_lo
	s_cbranch_execz .LBB1605_57
; %bb.48:
	v_lshl_add_u32 v24, s26, 8, v32
	v_dual_mov_b32 v28, 0 :: v_dual_bitop2_b32 v3, 2.0, v22 bitop3:0x54
	s_mov_b32 s5, 0
	s_mov_b32 s6, s26
	s_delay_alu instid0(VALU_DEP_2)
	v_lshl_add_u64 v[26:27], v[24:25], 2, s[10:11]
	global_store_b32 v24, v3, s[10:11] scale_offset scope:SCOPE_DEV
                                        ; implicit-def: $sgpr7
	s_branch .LBB1605_51
.LBB1605_49:                            ;   in Loop: Header=BB1605_51 Depth=1
	s_or_b32 exec_lo, exec_lo, s8
.LBB1605_50:                            ;   in Loop: Header=BB1605_51 Depth=1
	s_delay_alu instid0(SALU_CYCLE_1) | instskip(SKIP_2) | instid1(VALU_DEP_2)
	s_or_b32 exec_lo, exec_lo, s7
	v_and_b32_e32 v24, 0x3fffffff, v3
	v_cmp_gt_i32_e64 s7, -2.0, v3
	v_add_nc_u32_e32 v28, v24, v28
	s_and_b32 s8, exec_lo, s7
	s_delay_alu instid0(SALU_CYCLE_1) | instskip(NEXT) | instid1(SALU_CYCLE_1)
	s_or_b32 s5, s8, s5
	s_and_not1_b32 exec_lo, exec_lo, s5
	s_cbranch_execz .LBB1605_56
.LBB1605_51:                            ; =>This Loop Header: Depth=1
                                        ;     Child Loop BB1605_54 Depth 2
	s_or_b32 s7, s7, exec_lo
	s_cmp_eq_u32 s6, 0
	s_cbranch_scc1 .LBB1605_55
; %bb.52:                               ;   in Loop: Header=BB1605_51 Depth=1
	s_add_co_i32 s6, s6, -1
	s_mov_b32 s7, exec_lo
	s_wait_xcnt 0x0
	v_lshl_or_b32 v24, s6, 8, v32
	global_load_b32 v3, v24, s[10:11] scale_offset scope:SCOPE_DEV
	s_wait_loadcnt 0x0
	v_cmpx_gt_u32_e32 2.0, v3
	s_cbranch_execz .LBB1605_50
; %bb.53:                               ;   in Loop: Header=BB1605_51 Depth=1
	v_lshl_add_u64 v[30:31], v[24:25], 2, s[10:11]
	s_mov_b32 s8, 0
.LBB1605_54:                            ;   Parent Loop BB1605_51 Depth=1
                                        ; =>  This Inner Loop Header: Depth=2
	global_load_b32 v3, v[30:31], off scope:SCOPE_DEV
	s_wait_loadcnt 0x0
	v_cmp_lt_u32_e32 vcc_lo, 0x3fffffff, v3
	s_or_b32 s8, vcc_lo, s8
	s_wait_xcnt 0x0
	s_and_not1_b32 exec_lo, exec_lo, s8
	s_cbranch_execnz .LBB1605_54
	s_branch .LBB1605_49
.LBB1605_55:                            ;   in Loop: Header=BB1605_51 Depth=1
                                        ; implicit-def: $sgpr6
	s_and_b32 s8, exec_lo, s7
	s_delay_alu instid0(SALU_CYCLE_1)
	s_or_b32 s5, s8, s5
	s_wait_xcnt 0x0
	s_and_not1_b32 exec_lo, exec_lo, s5
	s_cbranch_execnz .LBB1605_51
.LBB1605_56:
	s_or_b32 exec_lo, exec_lo, s5
	v_dual_add_nc_u32 v3, v28, v22 :: v_dual_mov_b32 v29, 0
	s_delay_alu instid0(VALU_DEP_1)
	v_or_b32_e32 v3, 0x80000000, v3
	global_store_b32 v[26:27], v3, off scope:SCOPE_DEV
	global_load_b64 v[24:25], v32, s[12:13] scale_offset
	s_wait_xcnt 0x1
	v_sub_nc_u64_e32 v[26:27], v[28:29], v[20:21]
	s_wait_loadcnt 0x0
	s_delay_alu instid0(VALU_DEP_1)
	v_add_nc_u64_e32 v[24:25], v[26:27], v[24:25]
	ds_store_b64 v2, v[24:25]
.LBB1605_57:
	s_wait_xcnt 0x0
	s_or_b32 exec_lo, exec_lo, s4
	v_dual_mov_b32 v3, 0 :: v_dual_add_nc_u32 v1, v23, v1
	v_add3_u32 v23, v47, v48, v46
	v_add3_u32 v26, v44, v45, v43
	;; [unrolled: 1-line block ×3, first 2 shown]
	s_delay_alu instid0(VALU_DEP_4)
	v_add_nc_u64_e32 v[24:25], s[18:19], v[2:3]
	v_add3_u32 v3, v50, v51, v49
	v_add3_u32 v28, v39, v54, v38
	;; [unrolled: 1-line block ×4, first 2 shown]
	v_mov_b32_e32 v31, v32
	s_mov_b64 s[4:5], 0x7fffffffffffffff
	v_add_nc_u64_e32 v[24:25], 0x3000, v[24:25]
	s_mov_b32 s7, -1
	s_mov_b32 s6, 0
	s_branch .LBB1605_59
.LBB1605_58:                            ;   in Loop: Header=BB1605_59 Depth=1
	s_wait_xcnt 0x0
	s_or_b32 exec_lo, exec_lo, s8
	v_add_nc_u64_e32 v[24:25], 0x4000, v[24:25]
	v_add_nc_u32_e32 v31, 0x800, v31
	s_xor_b32 s7, s7, -1
	s_addk_co_i32 s6, 0xf800
	s_and_b32 vcc_lo, exec_lo, s7
	s_mov_b32 s7, 0
	s_wait_storecnt 0x0
	s_barrier_signal -1
	s_barrier_wait -1
	s_cbranch_vccnz .LBB1605_67
.LBB1605_59:                            ; =>This Inner Loop Header: Depth=1
	v_add_min_u32_e64 v34, v1, s6, 0x800
	v_add_min_u32_e64 v35, v30, s6, 0x800
	;; [unrolled: 1-line block ×5, first 2 shown]
	s_delay_alu instid0(VALU_DEP_4) | instskip(NEXT) | instid1(VALU_DEP_3)
	v_dual_lshlrev_b32 v34, 3, v34 :: v_dual_lshlrev_b32 v35, 3, v35
	v_dual_lshlrev_b32 v36, 3, v36 :: v_dual_lshlrev_b32 v37, 3, v37
	s_mov_b32 s8, exec_lo
	ds_store_b64 v34, v[4:5] offset:2048
	ds_store_b64 v35, v[6:7] offset:2048
	;; [unrolled: 1-line block ×3, first 2 shown]
	v_add_min_u32_e64 v34, v26, s6, 0x800
	v_add_min_u32_e64 v35, v23, s6, 0x800
	;; [unrolled: 1-line block ×3, first 2 shown]
	v_lshlrev_b32_e32 v38, 3, v38
	s_delay_alu instid0(VALU_DEP_3) | instskip(NEXT) | instid1(VALU_DEP_3)
	v_dual_lshlrev_b32 v34, 3, v34 :: v_dual_lshlrev_b32 v35, 3, v35
	v_lshlrev_b32_e32 v36, 3, v36
	ds_store_b64 v37, v[10:11] offset:2048
	ds_store_b64 v38, v[12:13] offset:2048
	;; [unrolled: 1-line block ×5, first 2 shown]
	s_wait_storecnt_dscnt 0x0
	s_barrier_signal -1
	s_barrier_wait -1
	v_cmpx_gt_u32_e64 s28, v31
	s_cbranch_execz .LBB1605_61
; %bb.60:                               ;   in Loop: Header=BB1605_59 Depth=1
	ds_load_b64 v[34:35], v2 offset:2048
	s_wait_dscnt 0x0
	v_cmp_ne_u64_e32 vcc_lo, s[4:5], v[34:35]
	v_ashrrev_i32_e32 v38, 31, v35
	s_delay_alu instid0(VALU_DEP_1) | instskip(SKIP_3) | instid1(VALU_DEP_4)
	v_not_b32_e32 v38, v38
	v_cndmask_b32_e32 v37, 0x80000000, v35, vcc_lo
	v_cndmask_b32_e32 v36, 0, v34, vcc_lo
	v_cmp_lt_i64_e32 vcc_lo, -1, v[34:35]
	v_xor_b32_e32 v34, v38, v34
	s_delay_alu instid0(VALU_DEP_3) | instskip(SKIP_1) | instid1(VALU_DEP_2)
	v_lshrrev_b64 v[36:37], s20, v[36:37]
	v_cndmask_b32_e64 v39, 0x80000000, -1, vcc_lo
	v_and_b32_e32 v36, s30, v36
	s_delay_alu instid0(VALU_DEP_1)
	v_dual_lshlrev_b32 v36, 3, v36 :: v_dual_bitop2_b32 v35, v39, v35 bitop3:0x14
	ds_load_b64 v[36:37], v36
	s_wait_dscnt 0x0
	v_lshl_add_u64 v[36:37], v[36:37], 3, v[24:25]
	global_store_b64 v[36:37], v[34:35], off offset:-12288
.LBB1605_61:                            ;   in Loop: Header=BB1605_59 Depth=1
	s_wait_xcnt 0x0
	s_or_b32 exec_lo, exec_lo, s8
	v_add_nc_u32_e32 v34, 0x200, v31
	s_mov_b32 s8, exec_lo
	s_delay_alu instid0(VALU_DEP_1)
	v_cmpx_gt_u32_e64 s28, v34
	s_cbranch_execz .LBB1605_63
; %bb.62:                               ;   in Loop: Header=BB1605_59 Depth=1
	ds_load_b64 v[34:35], v2 offset:6144
	s_wait_dscnt 0x0
	v_cmp_ne_u64_e32 vcc_lo, s[4:5], v[34:35]
	v_ashrrev_i32_e32 v38, 31, v35
	s_delay_alu instid0(VALU_DEP_1) | instskip(SKIP_3) | instid1(VALU_DEP_4)
	v_not_b32_e32 v38, v38
	v_cndmask_b32_e32 v37, 0x80000000, v35, vcc_lo
	v_cndmask_b32_e32 v36, 0, v34, vcc_lo
	v_cmp_lt_i64_e32 vcc_lo, -1, v[34:35]
	v_xor_b32_e32 v34, v38, v34
	s_delay_alu instid0(VALU_DEP_3) | instskip(SKIP_1) | instid1(VALU_DEP_2)
	v_lshrrev_b64 v[36:37], s20, v[36:37]
	v_cndmask_b32_e64 v39, 0x80000000, -1, vcc_lo
	v_and_b32_e32 v36, s30, v36
	s_delay_alu instid0(VALU_DEP_1)
	v_dual_lshlrev_b32 v36, 3, v36 :: v_dual_bitop2_b32 v35, v39, v35 bitop3:0x14
	ds_load_b64 v[36:37], v36
	s_wait_dscnt 0x0
	v_lshl_add_u64 v[36:37], v[36:37], 3, v[24:25]
	global_store_b64 v[36:37], v[34:35], off offset:-8192
.LBB1605_63:                            ;   in Loop: Header=BB1605_59 Depth=1
	s_wait_xcnt 0x0
	s_or_b32 exec_lo, exec_lo, s8
	v_add_nc_u32_e32 v34, 0x400, v31
	s_mov_b32 s8, exec_lo
	s_delay_alu instid0(VALU_DEP_1)
	;; [unrolled: 29-line block ×3, first 2 shown]
	v_cmpx_gt_u32_e64 s28, v34
	s_cbranch_execz .LBB1605_58
; %bb.66:                               ;   in Loop: Header=BB1605_59 Depth=1
	ds_load_b64 v[34:35], v2 offset:14336
	s_wait_dscnt 0x0
	v_cmp_ne_u64_e32 vcc_lo, s[4:5], v[34:35]
	v_ashrrev_i32_e32 v38, 31, v35
	s_delay_alu instid0(VALU_DEP_1) | instskip(SKIP_3) | instid1(VALU_DEP_4)
	v_not_b32_e32 v38, v38
	v_cndmask_b32_e32 v37, 0x80000000, v35, vcc_lo
	v_cndmask_b32_e32 v36, 0, v34, vcc_lo
	v_cmp_lt_i64_e32 vcc_lo, -1, v[34:35]
	v_xor_b32_e32 v34, v38, v34
	s_delay_alu instid0(VALU_DEP_3) | instskip(SKIP_1) | instid1(VALU_DEP_2)
	v_lshrrev_b64 v[36:37], s20, v[36:37]
	v_cndmask_b32_e64 v39, 0x80000000, -1, vcc_lo
	v_and_b32_e32 v36, s30, v36
	s_delay_alu instid0(VALU_DEP_1)
	v_dual_lshlrev_b32 v36, 3, v36 :: v_dual_bitop2_b32 v35, v39, v35 bitop3:0x14
	ds_load_b64 v[36:37], v36
	s_wait_dscnt 0x0
	v_lshl_add_u64 v[36:37], v[36:37], 3, v[24:25]
	global_store_b64 v[36:37], v[34:35], off
	s_branch .LBB1605_58
.LBB1605_67:
	s_add_co_i32 s29, s29, -1
	s_delay_alu instid0(SALU_CYCLE_1) | instskip(SKIP_2) | instid1(SALU_CYCLE_1)
	s_cmp_eq_u32 s26, s29
	s_cselect_b32 s4, -1, 0
	s_xor_b32 s3, s3, -1
	s_and_b32 s4, s3, s4
	s_delay_alu instid0(SALU_CYCLE_1)
	s_and_saveexec_b32 s3, s4
	s_cbranch_execz .LBB1605_69
; %bb.68:
	ds_load_b64 v[4:5], v2
	v_mov_b32_e32 v23, 0
	s_delay_alu instid0(VALU_DEP_1) | instskip(SKIP_1) | instid1(VALU_DEP_1)
	v_add_nc_u64_e32 v[6:7], v[20:21], v[22:23]
	s_wait_dscnt 0x0
	v_add_nc_u64_e32 v[4:5], v[6:7], v[4:5]
	global_store_b64 v32, v[4:5], s[14:15] scale_offset
.LBB1605_69:
	s_wait_xcnt 0x0
	s_or_b32 exec_lo, exec_lo, s3
	s_mov_b32 s4, 0
.LBB1605_70:
	s_delay_alu instid0(SALU_CYCLE_1)
	s_and_b32 vcc_lo, exec_lo, s4
	s_cbranch_vccz .LBB1605_111
; %bb.71:
	s_lshl_b32 s4, s26, 12
	s_mov_b32 s5, 0
	v_dual_mov_b32 v21, 0 :: v_dual_lshlrev_b32 v20, 3, v33
	s_lshl_b64 s[6:7], s[4:5], 3
	v_lshlrev_b32_e32 v1, 6, v32
	s_add_nc_u64 s[6:7], s[16:17], s[6:7]
	s_bfe_u32 s3, ttmp6, 0x4000c
	v_add_nc_u64_e32 v[4:5], s[6:7], v[20:21]
	s_add_co_i32 s3, s3, 1
	v_and_b32_e32 v20, 0xf800, v1
	s_and_b32 s4, ttmp6, 15
	s_mul_i32 s3, ttmp9, s3
	s_mov_b64 s[8:9], 0x7fffffffffffffff
	s_add_co_i32 s4, s4, s3
	v_add_nc_u64_e32 v[4:5], v[4:5], v[20:21]
	s_cmp_eq_u32 s27, 0
	v_bfe_u32 v20, v0, 20, 10
	s_cselect_b32 s3, ttmp9, s4
	s_clause 0x7
	global_load_b64 v[22:23], v[4:5], off
	global_load_b64 v[18:19], v[4:5], off offset:256
	global_load_b64 v[6:7], v[4:5], off offset:512
	;; [unrolled: 1-line block ×7, first 2 shown]
	s_clause 0x1
	s_load_b32 s16, s[0:1], 0x58
	s_load_u16 s6, s[0:1], 0x66
	s_wait_kmcnt 0x0
	s_cmp_lt_u32 s3, s16
	s_cselect_b32 s4, 12, 18
	s_lshl_b32 s17, -1, s21
	s_add_nc_u64 s[0:1], s[24:25], s[4:5]
	s_load_u16 s0, s[0:1], 0x0
	s_wait_loadcnt 0x7
	v_cmp_lt_i64_e32 vcc_lo, -1, v[22:23]
	v_ashrrev_i32_e32 v3, 31, v23
	s_delay_alu instid0(VALU_DEP_1) | instskip(SKIP_2) | instid1(VALU_DEP_2)
	v_xor_b32_e32 v4, v3, v22
	v_cndmask_b32_e64 v1, -1, 0x80000000, vcc_lo
	v_bfe_u32 v3, v0, 10, 10
	v_xor_b32_e32 v5, v1, v23
	s_delay_alu instid0(VALU_DEP_1) | instskip(SKIP_2) | instid1(VALU_DEP_1)
	v_cmp_ne_u64_e32 vcc_lo, s[8:9], v[4:5]
	v_cndmask_b32_e32 v22, 0, v4, vcc_lo
	v_cndmask_b32_e32 v23, 0x80000000, v5, vcc_lo
	v_lshrrev_b64 v[0:1], s20, v[22:23]
	v_mad_u32_u24 v1, v20, s6, v3
	s_delay_alu instid0(VALU_DEP_2) | instskip(SKIP_2) | instid1(VALU_DEP_3)
	v_bitop3_b32 v3, v0, 1, s17 bitop3:0x40
	v_bitop3_b32 v22, v0, s17, v0 bitop3:0x30
	s_wait_kmcnt 0x0
	v_mad_u32 v0, v1, s0, v32
	s_not_b32 s17, s17
	v_add_co_u32 v1, s0, v3, -1
	s_delay_alu instid0(VALU_DEP_1) | instskip(SKIP_2) | instid1(VALU_DEP_3)
	v_cndmask_b32_e64 v3, 0, 1, s0
	v_dual_lshlrev_b32 v20, 30, v22 :: v_dual_lshlrev_b32 v23, 29, v22
	v_dual_lshlrev_b32 v25, 27, v22 :: v_dual_lshlrev_b32 v24, 28, v22
	v_cmp_ne_u32_e32 vcc_lo, 0, v3
	s_delay_alu instid0(VALU_DEP_3)
	v_not_b32_e32 v3, v20
	v_dual_lshlrev_b32 v26, 26, v22 :: v_dual_lshlrev_b32 v27, 25, v22
	v_lshlrev_b32_e32 v28, 24, v22
	v_cmp_gt_i32_e64 s0, 0, v20
	v_cmp_gt_i32_e64 s1, 0, v23
	v_not_b32_e32 v20, v23
	v_not_b32_e32 v23, v24
	v_ashrrev_i32_e32 v3, 31, v3
	v_cmp_gt_i32_e64 s3, 0, v24
	v_cmp_gt_i32_e64 s4, 0, v25
	v_not_b32_e32 v24, v25
	v_not_b32_e32 v25, v26
	v_dual_ashrrev_i32 v20, 31, v20 :: v_dual_bitop2_b32 v1, vcc_lo, v1 bitop3:0x14
	s_delay_alu instid0(VALU_DEP_3) | instskip(NEXT) | instid1(VALU_DEP_3)
	v_dual_ashrrev_i32 v23, 31, v23 :: v_dual_ashrrev_i32 v24, 31, v24
	v_dual_ashrrev_i32 v25, 31, v25 :: v_dual_bitop2_b32 v3, s0, v3 bitop3:0x14
	v_cmp_gt_i32_e64 s5, 0, v26
	v_cmp_gt_i32_e64 s6, 0, v27
	v_not_b32_e32 v26, v27
	v_not_b32_e32 v27, v28
	v_xor_b32_e32 v20, s1, v20
	v_dual_lshrrev_b32 v0, 5, v0 :: v_dual_bitop2_b32 v23, s3, v23 bitop3:0x14
	v_bitop3_b32 v1, v1, v3, exec_lo bitop3:0x80
	v_cmp_gt_i32_e64 s7, 0, v28
	v_dual_ashrrev_i32 v3, 31, v26 :: v_dual_ashrrev_i32 v26, 31, v27
	v_xor_b32_e32 v24, s4, v24
	v_xor_b32_e32 v25, s5, v25
	v_bitop3_b32 v1, v1, v23, v20 bitop3:0x80
	s_delay_alu instid0(VALU_DEP_4) | instskip(SKIP_2) | instid1(VALU_DEP_4)
	v_xor_b32_e32 v3, s6, v3
	v_dual_lshlrev_b32 v20, 2, v0 :: v_dual_bitop2_b32 v23, s7, v26 bitop3:0x14
	v_mul_u32_u24_e32 v26, 36, v32
	v_bitop3_b32 v1, v1, v25, v24 bitop3:0x80
	ds_store_2addr_b32 v26, v21, v21 offset0:16 offset1:17
	ds_store_2addr_b32 v26, v21, v21 offset0:18 offset1:19
	;; [unrolled: 1-line block ×4, first 2 shown]
	v_bitop3_b32 v0, v1, v23, v3 bitop3:0x80
	v_mad_u32 v27, 0x44, v22, v20
	ds_store_b32 v26, v21 offset:96
	s_wait_storecnt 0x0
	s_wait_loadcnt_dscnt 0x0
	s_barrier_signal -1
	v_mbcnt_lo_u32_b32 v3, v0, 0
	v_cmp_ne_u32_e64 s0, 0, v0
	s_barrier_wait -1
	s_delay_alu instid0(VALU_DEP_2) | instskip(SKIP_1) | instid1(SALU_CYCLE_1)
	v_cmp_eq_u32_e32 vcc_lo, 0, v3
	; wave barrier
	s_and_b32 s1, s0, vcc_lo
	s_and_saveexec_b32 s0, s1
; %bb.72:
	v_bcnt_u32_b32 v0, v0, 0
	ds_store_b32 v27, v0 offset:64
; %bb.73:
	s_or_b32 exec_lo, exec_lo, s0
	v_cmp_lt_i64_e32 vcc_lo, -1, v[18:19]
	; wave barrier
	v_cndmask_b32_e64 v0, -1, 0x80000000, vcc_lo
	s_delay_alu instid0(VALU_DEP_1) | instskip(NEXT) | instid1(VALU_DEP_1)
	v_dual_ashrrev_i32 v21, 31, v19 :: v_dual_bitop2_b32 v1, v0, v19 bitop3:0x14
	v_xor_b32_e32 v0, v21, v18
	s_delay_alu instid0(VALU_DEP_1) | instskip(SKIP_2) | instid1(VALU_DEP_1)
	v_cmp_ne_u64_e32 vcc_lo, s[8:9], v[0:1]
	v_cndmask_b32_e32 v19, 0x80000000, v1, vcc_lo
	v_cndmask_b32_e32 v18, 0, v0, vcc_lo
	v_lshrrev_b64 v[18:19], s20, v[18:19]
	s_delay_alu instid0(VALU_DEP_1) | instskip(SKIP_1) | instid1(VALU_DEP_2)
	v_and_b32_e32 v19, s17, v18
	v_bitop3_b32 v18, v18, 1, s17 bitop3:0x80
	v_lshlrev_b32_e32 v22, 30, v19
	s_delay_alu instid0(VALU_DEP_2) | instskip(NEXT) | instid1(VALU_DEP_1)
	v_add_co_u32 v18, s0, v18, -1
	v_cndmask_b32_e64 v21, 0, 1, s0
	s_delay_alu instid0(VALU_DEP_3) | instskip(NEXT) | instid1(VALU_DEP_2)
	v_cmp_gt_i32_e64 s0, 0, v22
	v_cmp_ne_u32_e32 vcc_lo, 0, v21
	v_not_b32_e32 v21, v22
	s_delay_alu instid0(VALU_DEP_1) | instskip(SKIP_3) | instid1(VALU_DEP_3)
	v_dual_ashrrev_i32 v21, 31, v21 :: v_dual_bitop2_b32 v18, vcc_lo, v18 bitop3:0x14
	v_dual_lshlrev_b32 v23, 29, v19 :: v_dual_lshlrev_b32 v24, 28, v19
	v_dual_lshlrev_b32 v25, 27, v19 :: v_dual_lshlrev_b32 v29, 26, v19
	v_lshlrev_b32_e32 v30, 25, v19
	v_cmp_gt_i32_e64 s1, 0, v23
	v_not_b32_e32 v22, v23
	v_not_b32_e32 v23, v24
	v_mad_u32 v28, 0x44, v19, v20
	v_lshlrev_b32_e32 v19, 24, v19
	v_cmp_gt_i32_e64 s3, 0, v24
	v_cmp_gt_i32_e64 s4, 0, v25
	v_not_b32_e32 v24, v25
	v_not_b32_e32 v25, v29
	v_dual_ashrrev_i32 v22, 31, v22 :: v_dual_ashrrev_i32 v23, 31, v23
	v_xor_b32_e32 v21, s0, v21
	v_cmp_gt_i32_e64 s5, 0, v29
	v_not_b32_e32 v29, v30
	v_cmp_gt_i32_e64 s7, 0, v19
	v_not_b32_e32 v19, v19
	v_dual_ashrrev_i32 v24, 31, v24 :: v_dual_ashrrev_i32 v25, 31, v25
	v_xor_b32_e32 v22, s1, v22
	v_xor_b32_e32 v23, s3, v23
	v_bitop3_b32 v18, v18, v21, exec_lo bitop3:0x80
	v_cmp_gt_i32_e64 s6, 0, v30
	v_dual_ashrrev_i32 v21, 31, v29 :: v_dual_ashrrev_i32 v19, 31, v19
	v_xor_b32_e32 v24, s4, v24
	v_xor_b32_e32 v25, s5, v25
	v_bitop3_b32 v18, v18, v23, v22 bitop3:0x80
	s_delay_alu instid0(VALU_DEP_4) | instskip(SKIP_3) | instid1(VALU_DEP_1)
	v_xor_b32_e32 v21, s6, v21
	v_xor_b32_e32 v19, s7, v19
	ds_load_b32 v30, v28 offset:64
	v_bitop3_b32 v18, v18, v25, v24 bitop3:0x80
	; wave barrier
	v_bitop3_b32 v18, v18, v19, v21 bitop3:0x80
	s_delay_alu instid0(VALU_DEP_1) | instskip(SKIP_1) | instid1(VALU_DEP_2)
	v_mbcnt_lo_u32_b32 v31, v18, 0
	v_cmp_ne_u32_e64 s0, 0, v18
	v_cmp_eq_u32_e32 vcc_lo, 0, v31
	s_and_b32 s1, s0, vcc_lo
	s_delay_alu instid0(SALU_CYCLE_1)
	s_and_saveexec_b32 s0, s1
	s_cbranch_execz .LBB1605_75
; %bb.74:
	s_wait_dscnt 0x0
	v_bcnt_u32_b32 v18, v18, v30
	ds_store_b32 v28, v18 offset:64
.LBB1605_75:
	s_or_b32 exec_lo, exec_lo, s0
	v_cmp_lt_i64_e32 vcc_lo, -1, v[6:7]
	; wave barrier
	v_cndmask_b32_e64 v18, -1, 0x80000000, vcc_lo
	s_delay_alu instid0(VALU_DEP_1) | instskip(NEXT) | instid1(VALU_DEP_1)
	v_dual_ashrrev_i32 v19, 31, v7 :: v_dual_bitop2_b32 v7, v18, v7 bitop3:0x14
	v_xor_b32_e32 v6, v19, v6
	s_delay_alu instid0(VALU_DEP_1) | instskip(SKIP_2) | instid1(VALU_DEP_1)
	v_cmp_ne_u64_e32 vcc_lo, s[8:9], v[6:7]
	v_cndmask_b32_e32 v19, 0x80000000, v7, vcc_lo
	v_cndmask_b32_e32 v18, 0, v6, vcc_lo
	v_lshrrev_b64 v[18:19], s20, v[18:19]
	s_delay_alu instid0(VALU_DEP_1) | instskip(SKIP_1) | instid1(VALU_DEP_2)
	v_and_b32_e32 v19, s17, v18
	v_bitop3_b32 v18, v18, 1, s17 bitop3:0x80
	v_lshlrev_b32_e32 v22, 30, v19
	s_delay_alu instid0(VALU_DEP_2) | instskip(NEXT) | instid1(VALU_DEP_1)
	v_add_co_u32 v18, s0, v18, -1
	v_cndmask_b32_e64 v21, 0, 1, s0
	s_delay_alu instid0(VALU_DEP_3) | instskip(NEXT) | instid1(VALU_DEP_2)
	v_cmp_gt_i32_e64 s0, 0, v22
	v_cmp_ne_u32_e32 vcc_lo, 0, v21
	v_not_b32_e32 v21, v22
	s_delay_alu instid0(VALU_DEP_1) | instskip(SKIP_3) | instid1(VALU_DEP_3)
	v_dual_ashrrev_i32 v21, 31, v21 :: v_dual_bitop2_b32 v18, vcc_lo, v18 bitop3:0x14
	v_dual_lshlrev_b32 v23, 29, v19 :: v_dual_lshlrev_b32 v24, 28, v19
	v_dual_lshlrev_b32 v25, 27, v19 :: v_dual_lshlrev_b32 v34, 26, v19
	v_lshlrev_b32_e32 v35, 25, v19
	v_cmp_gt_i32_e64 s1, 0, v23
	v_not_b32_e32 v22, v23
	v_not_b32_e32 v23, v24
	v_mad_u32 v29, 0x44, v19, v20
	v_lshlrev_b32_e32 v19, 24, v19
	v_cmp_gt_i32_e64 s3, 0, v24
	v_cmp_gt_i32_e64 s4, 0, v25
	v_not_b32_e32 v24, v25
	v_not_b32_e32 v25, v34
	v_dual_ashrrev_i32 v22, 31, v22 :: v_dual_ashrrev_i32 v23, 31, v23
	v_xor_b32_e32 v21, s0, v21
	v_cmp_gt_i32_e64 s5, 0, v34
	v_not_b32_e32 v34, v35
	v_cmp_gt_i32_e64 s7, 0, v19
	v_not_b32_e32 v19, v19
	v_dual_ashrrev_i32 v24, 31, v24 :: v_dual_ashrrev_i32 v25, 31, v25
	v_xor_b32_e32 v22, s1, v22
	v_xor_b32_e32 v23, s3, v23
	v_bitop3_b32 v18, v18, v21, exec_lo bitop3:0x80
	v_cmp_gt_i32_e64 s6, 0, v35
	v_dual_ashrrev_i32 v21, 31, v34 :: v_dual_ashrrev_i32 v19, 31, v19
	v_xor_b32_e32 v24, s4, v24
	v_xor_b32_e32 v25, s5, v25
	v_bitop3_b32 v18, v18, v23, v22 bitop3:0x80
	s_delay_alu instid0(VALU_DEP_4) | instskip(SKIP_3) | instid1(VALU_DEP_1)
	v_xor_b32_e32 v21, s6, v21
	v_xor_b32_e32 v19, s7, v19
	ds_load_b32 v34, v29 offset:64
	v_bitop3_b32 v18, v18, v25, v24 bitop3:0x80
	; wave barrier
	v_bitop3_b32 v18, v18, v19, v21 bitop3:0x80
	s_delay_alu instid0(VALU_DEP_1) | instskip(SKIP_1) | instid1(VALU_DEP_2)
	v_mbcnt_lo_u32_b32 v35, v18, 0
	v_cmp_ne_u32_e64 s0, 0, v18
	v_cmp_eq_u32_e32 vcc_lo, 0, v35
	s_and_b32 s1, s0, vcc_lo
	s_delay_alu instid0(SALU_CYCLE_1)
	s_and_saveexec_b32 s0, s1
	s_cbranch_execz .LBB1605_77
; %bb.76:
	s_wait_dscnt 0x0
	v_bcnt_u32_b32 v18, v18, v34
	ds_store_b32 v29, v18 offset:64
.LBB1605_77:
	s_or_b32 exec_lo, exec_lo, s0
	v_cmp_lt_i64_e32 vcc_lo, -1, v[8:9]
	; wave barrier
	v_cndmask_b32_e64 v18, -1, 0x80000000, vcc_lo
	s_delay_alu instid0(VALU_DEP_1) | instskip(NEXT) | instid1(VALU_DEP_1)
	v_dual_ashrrev_i32 v19, 31, v9 :: v_dual_bitop2_b32 v9, v18, v9 bitop3:0x14
	v_xor_b32_e32 v8, v19, v8
	s_delay_alu instid0(VALU_DEP_1) | instskip(SKIP_2) | instid1(VALU_DEP_1)
	v_cmp_ne_u64_e32 vcc_lo, s[8:9], v[8:9]
	v_cndmask_b32_e32 v19, 0x80000000, v9, vcc_lo
	v_cndmask_b32_e32 v18, 0, v8, vcc_lo
	v_lshrrev_b64 v[18:19], s20, v[18:19]
	s_delay_alu instid0(VALU_DEP_1) | instskip(SKIP_1) | instid1(VALU_DEP_2)
	v_and_b32_e32 v19, s17, v18
	v_bitop3_b32 v18, v18, 1, s17 bitop3:0x80
	v_lshlrev_b32_e32 v22, 30, v19
	s_delay_alu instid0(VALU_DEP_2) | instskip(NEXT) | instid1(VALU_DEP_1)
	v_add_co_u32 v18, s0, v18, -1
	v_cndmask_b32_e64 v21, 0, 1, s0
	s_delay_alu instid0(VALU_DEP_3) | instskip(NEXT) | instid1(VALU_DEP_2)
	v_cmp_gt_i32_e64 s0, 0, v22
	v_cmp_ne_u32_e32 vcc_lo, 0, v21
	v_not_b32_e32 v21, v22
	s_delay_alu instid0(VALU_DEP_1) | instskip(SKIP_3) | instid1(VALU_DEP_3)
	v_dual_ashrrev_i32 v21, 31, v21 :: v_dual_bitop2_b32 v18, vcc_lo, v18 bitop3:0x14
	v_dual_lshlrev_b32 v23, 29, v19 :: v_dual_lshlrev_b32 v24, 28, v19
	v_dual_lshlrev_b32 v25, 27, v19 :: v_dual_lshlrev_b32 v36, 26, v19
	v_lshlrev_b32_e32 v37, 25, v19
	v_cmp_gt_i32_e64 s1, 0, v23
	v_not_b32_e32 v22, v23
	v_not_b32_e32 v23, v24
	v_mad_u32 v38, 0x44, v19, v20
	v_lshlrev_b32_e32 v19, 24, v19
	v_cmp_gt_i32_e64 s3, 0, v24
	v_cmp_gt_i32_e64 s4, 0, v25
	v_not_b32_e32 v24, v25
	v_not_b32_e32 v25, v36
	v_dual_ashrrev_i32 v22, 31, v22 :: v_dual_ashrrev_i32 v23, 31, v23
	v_xor_b32_e32 v21, s0, v21
	v_cmp_gt_i32_e64 s5, 0, v36
	v_not_b32_e32 v36, v37
	v_cmp_gt_i32_e64 s7, 0, v19
	v_not_b32_e32 v19, v19
	v_dual_ashrrev_i32 v24, 31, v24 :: v_dual_ashrrev_i32 v25, 31, v25
	v_xor_b32_e32 v22, s1, v22
	v_xor_b32_e32 v23, s3, v23
	v_bitop3_b32 v18, v18, v21, exec_lo bitop3:0x80
	v_cmp_gt_i32_e64 s6, 0, v37
	v_dual_ashrrev_i32 v21, 31, v36 :: v_dual_ashrrev_i32 v19, 31, v19
	v_xor_b32_e32 v24, s4, v24
	v_xor_b32_e32 v25, s5, v25
	v_bitop3_b32 v18, v18, v23, v22 bitop3:0x80
	s_delay_alu instid0(VALU_DEP_4) | instskip(SKIP_3) | instid1(VALU_DEP_1)
	v_xor_b32_e32 v21, s6, v21
	v_xor_b32_e32 v19, s7, v19
	ds_load_b32 v36, v38 offset:64
	v_bitop3_b32 v18, v18, v25, v24 bitop3:0x80
	; wave barrier
	v_bitop3_b32 v18, v18, v19, v21 bitop3:0x80
	s_delay_alu instid0(VALU_DEP_1) | instskip(SKIP_1) | instid1(VALU_DEP_2)
	v_mbcnt_lo_u32_b32 v37, v18, 0
	v_cmp_ne_u32_e64 s0, 0, v18
	v_cmp_eq_u32_e32 vcc_lo, 0, v37
	s_and_b32 s1, s0, vcc_lo
	s_delay_alu instid0(SALU_CYCLE_1)
	s_and_saveexec_b32 s0, s1
	s_cbranch_execz .LBB1605_79
; %bb.78:
	s_wait_dscnt 0x0
	v_bcnt_u32_b32 v18, v18, v36
	ds_store_b32 v38, v18 offset:64
.LBB1605_79:
	s_or_b32 exec_lo, exec_lo, s0
	v_cmp_lt_i64_e32 vcc_lo, -1, v[10:11]
	; wave barrier
	v_cndmask_b32_e64 v18, -1, 0x80000000, vcc_lo
	s_delay_alu instid0(VALU_DEP_1) | instskip(NEXT) | instid1(VALU_DEP_1)
	v_dual_ashrrev_i32 v19, 31, v11 :: v_dual_bitop2_b32 v11, v18, v11 bitop3:0x14
	v_xor_b32_e32 v10, v19, v10
	s_delay_alu instid0(VALU_DEP_1) | instskip(SKIP_2) | instid1(VALU_DEP_1)
	v_cmp_ne_u64_e32 vcc_lo, s[8:9], v[10:11]
	v_cndmask_b32_e32 v19, 0x80000000, v11, vcc_lo
	v_cndmask_b32_e32 v18, 0, v10, vcc_lo
	v_lshrrev_b64 v[18:19], s20, v[18:19]
	s_delay_alu instid0(VALU_DEP_1) | instskip(SKIP_1) | instid1(VALU_DEP_2)
	v_and_b32_e32 v19, s17, v18
	v_bitop3_b32 v18, v18, 1, s17 bitop3:0x80
	v_lshlrev_b32_e32 v22, 30, v19
	s_delay_alu instid0(VALU_DEP_2) | instskip(NEXT) | instid1(VALU_DEP_1)
	v_add_co_u32 v18, s0, v18, -1
	v_cndmask_b32_e64 v21, 0, 1, s0
	s_delay_alu instid0(VALU_DEP_3) | instskip(NEXT) | instid1(VALU_DEP_2)
	v_cmp_gt_i32_e64 s0, 0, v22
	v_cmp_ne_u32_e32 vcc_lo, 0, v21
	v_not_b32_e32 v21, v22
	s_delay_alu instid0(VALU_DEP_1) | instskip(SKIP_3) | instid1(VALU_DEP_3)
	v_dual_ashrrev_i32 v21, 31, v21 :: v_dual_bitop2_b32 v18, vcc_lo, v18 bitop3:0x14
	v_dual_lshlrev_b32 v23, 29, v19 :: v_dual_lshlrev_b32 v24, 28, v19
	v_dual_lshlrev_b32 v25, 27, v19 :: v_dual_lshlrev_b32 v39, 26, v19
	v_lshlrev_b32_e32 v40, 25, v19
	v_cmp_gt_i32_e64 s1, 0, v23
	v_not_b32_e32 v22, v23
	v_not_b32_e32 v23, v24
	v_mad_u32 v41, 0x44, v19, v20
	v_lshlrev_b32_e32 v19, 24, v19
	v_cmp_gt_i32_e64 s3, 0, v24
	v_cmp_gt_i32_e64 s4, 0, v25
	v_not_b32_e32 v24, v25
	v_not_b32_e32 v25, v39
	v_dual_ashrrev_i32 v22, 31, v22 :: v_dual_ashrrev_i32 v23, 31, v23
	v_xor_b32_e32 v21, s0, v21
	v_cmp_gt_i32_e64 s5, 0, v39
	v_not_b32_e32 v39, v40
	v_cmp_gt_i32_e64 s7, 0, v19
	v_not_b32_e32 v19, v19
	v_dual_ashrrev_i32 v24, 31, v24 :: v_dual_ashrrev_i32 v25, 31, v25
	v_xor_b32_e32 v22, s1, v22
	v_xor_b32_e32 v23, s3, v23
	v_bitop3_b32 v18, v18, v21, exec_lo bitop3:0x80
	v_cmp_gt_i32_e64 s6, 0, v40
	v_ashrrev_i32_e32 v21, 31, v39
	v_dual_ashrrev_i32 v19, 31, v19 :: v_dual_bitop2_b32 v24, s4, v24 bitop3:0x14
	v_xor_b32_e32 v25, s5, v25
	v_bitop3_b32 v18, v18, v23, v22 bitop3:0x80
	s_delay_alu instid0(VALU_DEP_4) | instskip(NEXT) | instid1(VALU_DEP_4)
	v_xor_b32_e32 v21, s6, v21
	v_xor_b32_e32 v19, s7, v19
	ds_load_b32 v39, v41 offset:64
	v_bitop3_b32 v18, v18, v25, v24 bitop3:0x80
	; wave barrier
	s_delay_alu instid0(VALU_DEP_1) | instskip(NEXT) | instid1(VALU_DEP_1)
	v_bitop3_b32 v18, v18, v19, v21 bitop3:0x80
	v_mbcnt_lo_u32_b32 v40, v18, 0
	v_cmp_ne_u32_e64 s0, 0, v18
	s_delay_alu instid0(VALU_DEP_2) | instskip(SKIP_1) | instid1(SALU_CYCLE_1)
	v_cmp_eq_u32_e32 vcc_lo, 0, v40
	s_and_b32 s1, s0, vcc_lo
	s_and_saveexec_b32 s0, s1
	s_cbranch_execz .LBB1605_81
; %bb.80:
	s_wait_dscnt 0x0
	v_bcnt_u32_b32 v18, v18, v39
	ds_store_b32 v41, v18 offset:64
.LBB1605_81:
	s_or_b32 exec_lo, exec_lo, s0
	v_cmp_lt_i64_e32 vcc_lo, -1, v[12:13]
	; wave barrier
	v_cndmask_b32_e64 v18, -1, 0x80000000, vcc_lo
	s_delay_alu instid0(VALU_DEP_1) | instskip(NEXT) | instid1(VALU_DEP_1)
	v_dual_ashrrev_i32 v19, 31, v13 :: v_dual_bitop2_b32 v13, v18, v13 bitop3:0x14
	v_xor_b32_e32 v12, v19, v12
	s_delay_alu instid0(VALU_DEP_1) | instskip(SKIP_2) | instid1(VALU_DEP_1)
	v_cmp_ne_u64_e32 vcc_lo, s[8:9], v[12:13]
	v_cndmask_b32_e32 v19, 0x80000000, v13, vcc_lo
	v_cndmask_b32_e32 v18, 0, v12, vcc_lo
	v_lshrrev_b64 v[18:19], s20, v[18:19]
	s_delay_alu instid0(VALU_DEP_1) | instskip(SKIP_1) | instid1(VALU_DEP_2)
	v_and_b32_e32 v19, s17, v18
	v_bitop3_b32 v18, v18, 1, s17 bitop3:0x80
	v_lshlrev_b32_e32 v22, 30, v19
	s_delay_alu instid0(VALU_DEP_2) | instskip(NEXT) | instid1(VALU_DEP_1)
	v_add_co_u32 v18, s0, v18, -1
	v_cndmask_b32_e64 v21, 0, 1, s0
	s_delay_alu instid0(VALU_DEP_3) | instskip(NEXT) | instid1(VALU_DEP_2)
	v_cmp_gt_i32_e64 s0, 0, v22
	v_cmp_ne_u32_e32 vcc_lo, 0, v21
	v_not_b32_e32 v21, v22
	s_delay_alu instid0(VALU_DEP_1) | instskip(SKIP_3) | instid1(VALU_DEP_3)
	v_dual_ashrrev_i32 v21, 31, v21 :: v_dual_bitop2_b32 v18, vcc_lo, v18 bitop3:0x14
	v_dual_lshlrev_b32 v23, 29, v19 :: v_dual_lshlrev_b32 v24, 28, v19
	v_dual_lshlrev_b32 v25, 27, v19 :: v_dual_lshlrev_b32 v42, 26, v19
	v_lshlrev_b32_e32 v43, 25, v19
	v_cmp_gt_i32_e64 s1, 0, v23
	v_not_b32_e32 v22, v23
	v_not_b32_e32 v23, v24
	v_mad_u32 v44, 0x44, v19, v20
	v_lshlrev_b32_e32 v19, 24, v19
	v_cmp_gt_i32_e64 s3, 0, v24
	v_cmp_gt_i32_e64 s4, 0, v25
	v_not_b32_e32 v24, v25
	v_not_b32_e32 v25, v42
	v_dual_ashrrev_i32 v22, 31, v22 :: v_dual_ashrrev_i32 v23, 31, v23
	v_xor_b32_e32 v21, s0, v21
	v_cmp_gt_i32_e64 s5, 0, v42
	v_not_b32_e32 v42, v43
	v_cmp_gt_i32_e64 s7, 0, v19
	v_not_b32_e32 v19, v19
	v_dual_ashrrev_i32 v24, 31, v24 :: v_dual_ashrrev_i32 v25, 31, v25
	v_xor_b32_e32 v22, s1, v22
	v_xor_b32_e32 v23, s3, v23
	v_bitop3_b32 v18, v18, v21, exec_lo bitop3:0x80
	v_cmp_gt_i32_e64 s6, 0, v43
	v_dual_ashrrev_i32 v21, 31, v42 :: v_dual_ashrrev_i32 v19, 31, v19
	v_xor_b32_e32 v24, s4, v24
	v_xor_b32_e32 v25, s5, v25
	v_bitop3_b32 v18, v18, v23, v22 bitop3:0x80
	s_delay_alu instid0(VALU_DEP_4) | instskip(SKIP_3) | instid1(VALU_DEP_1)
	v_xor_b32_e32 v21, s6, v21
	v_xor_b32_e32 v19, s7, v19
	ds_load_b32 v42, v44 offset:64
	v_bitop3_b32 v18, v18, v25, v24 bitop3:0x80
	; wave barrier
	v_bitop3_b32 v18, v18, v19, v21 bitop3:0x80
	s_delay_alu instid0(VALU_DEP_1) | instskip(SKIP_1) | instid1(VALU_DEP_2)
	v_mbcnt_lo_u32_b32 v43, v18, 0
	v_cmp_ne_u32_e64 s0, 0, v18
	v_cmp_eq_u32_e32 vcc_lo, 0, v43
	s_and_b32 s1, s0, vcc_lo
	s_delay_alu instid0(SALU_CYCLE_1)
	s_and_saveexec_b32 s0, s1
	s_cbranch_execz .LBB1605_83
; %bb.82:
	s_wait_dscnt 0x0
	v_bcnt_u32_b32 v18, v18, v42
	ds_store_b32 v44, v18 offset:64
.LBB1605_83:
	s_or_b32 exec_lo, exec_lo, s0
	v_cmp_lt_i64_e32 vcc_lo, -1, v[16:17]
	; wave barrier
	v_cndmask_b32_e64 v18, -1, 0x80000000, vcc_lo
	s_delay_alu instid0(VALU_DEP_1) | instskip(NEXT) | instid1(VALU_DEP_1)
	v_dual_ashrrev_i32 v19, 31, v17 :: v_dual_bitop2_b32 v17, v18, v17 bitop3:0x14
	v_xor_b32_e32 v16, v19, v16
	s_delay_alu instid0(VALU_DEP_1) | instskip(SKIP_2) | instid1(VALU_DEP_1)
	v_cmp_ne_u64_e32 vcc_lo, s[8:9], v[16:17]
	v_cndmask_b32_e32 v19, 0x80000000, v17, vcc_lo
	v_cndmask_b32_e32 v18, 0, v16, vcc_lo
	v_lshrrev_b64 v[18:19], s20, v[18:19]
	s_delay_alu instid0(VALU_DEP_1) | instskip(SKIP_1) | instid1(VALU_DEP_2)
	v_and_b32_e32 v19, s17, v18
	v_bitop3_b32 v18, v18, 1, s17 bitop3:0x80
	v_lshlrev_b32_e32 v22, 30, v19
	s_delay_alu instid0(VALU_DEP_2) | instskip(NEXT) | instid1(VALU_DEP_1)
	v_add_co_u32 v18, s0, v18, -1
	v_cndmask_b32_e64 v21, 0, 1, s0
	s_delay_alu instid0(VALU_DEP_3) | instskip(NEXT) | instid1(VALU_DEP_2)
	v_cmp_gt_i32_e64 s0, 0, v22
	v_cmp_ne_u32_e32 vcc_lo, 0, v21
	v_not_b32_e32 v21, v22
	s_delay_alu instid0(VALU_DEP_1) | instskip(SKIP_3) | instid1(VALU_DEP_3)
	v_dual_ashrrev_i32 v21, 31, v21 :: v_dual_bitop2_b32 v18, vcc_lo, v18 bitop3:0x14
	v_dual_lshlrev_b32 v23, 29, v19 :: v_dual_lshlrev_b32 v24, 28, v19
	v_dual_lshlrev_b32 v25, 27, v19 :: v_dual_lshlrev_b32 v45, 26, v19
	v_lshlrev_b32_e32 v46, 25, v19
	v_cmp_gt_i32_e64 s1, 0, v23
	v_not_b32_e32 v22, v23
	v_not_b32_e32 v23, v24
	v_mad_u32 v47, 0x44, v19, v20
	v_lshlrev_b32_e32 v19, 24, v19
	v_cmp_gt_i32_e64 s3, 0, v24
	v_cmp_gt_i32_e64 s4, 0, v25
	v_not_b32_e32 v24, v25
	v_not_b32_e32 v25, v45
	v_dual_ashrrev_i32 v22, 31, v22 :: v_dual_ashrrev_i32 v23, 31, v23
	v_xor_b32_e32 v21, s0, v21
	v_cmp_gt_i32_e64 s5, 0, v45
	v_not_b32_e32 v45, v46
	v_cmp_gt_i32_e64 s7, 0, v19
	v_not_b32_e32 v19, v19
	v_dual_ashrrev_i32 v24, 31, v24 :: v_dual_ashrrev_i32 v25, 31, v25
	v_xor_b32_e32 v22, s1, v22
	v_xor_b32_e32 v23, s3, v23
	v_bitop3_b32 v18, v18, v21, exec_lo bitop3:0x80
	v_cmp_gt_i32_e64 s6, 0, v46
	v_dual_ashrrev_i32 v21, 31, v45 :: v_dual_ashrrev_i32 v19, 31, v19
	v_xor_b32_e32 v24, s4, v24
	v_xor_b32_e32 v25, s5, v25
	v_bitop3_b32 v18, v18, v23, v22 bitop3:0x80
	s_delay_alu instid0(VALU_DEP_4) | instskip(SKIP_3) | instid1(VALU_DEP_1)
	v_xor_b32_e32 v21, s6, v21
	v_xor_b32_e32 v19, s7, v19
	ds_load_b32 v45, v47 offset:64
	v_bitop3_b32 v18, v18, v25, v24 bitop3:0x80
	; wave barrier
	v_bitop3_b32 v18, v18, v19, v21 bitop3:0x80
	s_delay_alu instid0(VALU_DEP_1) | instskip(SKIP_1) | instid1(VALU_DEP_2)
	v_mbcnt_lo_u32_b32 v46, v18, 0
	v_cmp_ne_u32_e64 s0, 0, v18
	v_cmp_eq_u32_e32 vcc_lo, 0, v46
	s_and_b32 s1, s0, vcc_lo
	s_delay_alu instid0(SALU_CYCLE_1)
	s_and_saveexec_b32 s0, s1
	s_cbranch_execz .LBB1605_85
; %bb.84:
	s_wait_dscnt 0x0
	v_bcnt_u32_b32 v18, v18, v45
	ds_store_b32 v47, v18 offset:64
.LBB1605_85:
	s_or_b32 exec_lo, exec_lo, s0
	v_cmp_lt_i64_e32 vcc_lo, -1, v[14:15]
	; wave barrier
	v_cndmask_b32_e64 v18, -1, 0x80000000, vcc_lo
	s_delay_alu instid0(VALU_DEP_1) | instskip(NEXT) | instid1(VALU_DEP_1)
	v_dual_ashrrev_i32 v19, 31, v15 :: v_dual_bitop2_b32 v15, v18, v15 bitop3:0x14
	v_xor_b32_e32 v14, v19, v14
	s_delay_alu instid0(VALU_DEP_1) | instskip(SKIP_2) | instid1(VALU_DEP_1)
	v_cmp_ne_u64_e32 vcc_lo, s[8:9], v[14:15]
	v_cndmask_b32_e32 v19, 0x80000000, v15, vcc_lo
	v_cndmask_b32_e32 v18, 0, v14, vcc_lo
	v_lshrrev_b64 v[18:19], s20, v[18:19]
	s_delay_alu instid0(VALU_DEP_1) | instskip(SKIP_1) | instid1(VALU_DEP_2)
	v_and_b32_e32 v19, s17, v18
	v_bitop3_b32 v18, v18, 1, s17 bitop3:0x80
	v_mad_u32 v50, 0x44, v19, v20
	s_delay_alu instid0(VALU_DEP_2) | instskip(NEXT) | instid1(VALU_DEP_1)
	v_add_co_u32 v18, s0, v18, -1
	v_cndmask_b32_e64 v20, 0, 1, s0
	v_dual_lshlrev_b32 v21, 30, v19 :: v_dual_lshlrev_b32 v22, 29, v19
	s_delay_alu instid0(VALU_DEP_2) | instskip(NEXT) | instid1(VALU_DEP_2)
	v_cmp_ne_u32_e32 vcc_lo, 0, v20
	v_cmp_gt_i32_e64 s0, 0, v21
	v_not_b32_e32 v20, v21
	s_delay_alu instid0(VALU_DEP_4) | instskip(SKIP_1) | instid1(VALU_DEP_3)
	v_not_b32_e32 v21, v22
	v_cmp_gt_i32_e64 s1, 0, v22
	v_dual_ashrrev_i32 v20, 31, v20 :: v_dual_bitop2_b32 v18, vcc_lo, v18 bitop3:0x14
	s_delay_alu instid0(VALU_DEP_3) | instskip(SKIP_2) | instid1(VALU_DEP_3)
	v_dual_ashrrev_i32 v21, 31, v21 :: v_dual_lshlrev_b32 v23, 28, v19
	v_dual_lshlrev_b32 v24, 27, v19 :: v_dual_lshlrev_b32 v25, 26, v19
	v_dual_lshlrev_b32 v48, 25, v19 :: v_dual_lshlrev_b32 v19, 24, v19
	v_not_b32_e32 v22, v23
	v_cmp_gt_i32_e64 s3, 0, v23
	s_delay_alu instid0(VALU_DEP_4)
	v_cmp_gt_i32_e64 s4, 0, v24
	v_not_b32_e32 v23, v24
	v_not_b32_e32 v24, v25
	v_dual_ashrrev_i32 v22, 31, v22 :: v_dual_bitop2_b32 v20, s0, v20 bitop3:0x14
	v_cmp_gt_i32_e64 s5, 0, v25
	v_not_b32_e32 v25, v48
	v_cmp_gt_i32_e64 s7, 0, v19
	v_not_b32_e32 v19, v19
	v_dual_ashrrev_i32 v23, 31, v23 :: v_dual_ashrrev_i32 v24, 31, v24
	v_xor_b32_e32 v21, s1, v21
	v_xor_b32_e32 v22, s3, v22
	v_bitop3_b32 v18, v18, v20, exec_lo bitop3:0x80
	v_cmp_gt_i32_e64 s6, 0, v48
	v_dual_ashrrev_i32 v20, 31, v25 :: v_dual_ashrrev_i32 v19, 31, v19
	v_xor_b32_e32 v23, s4, v23
	v_xor_b32_e32 v24, s5, v24
	v_bitop3_b32 v18, v18, v22, v21 bitop3:0x80
	s_delay_alu instid0(VALU_DEP_4) | instskip(SKIP_3) | instid1(VALU_DEP_1)
	v_xor_b32_e32 v20, s6, v20
	v_xor_b32_e32 v19, s7, v19
	ds_load_b32 v48, v50 offset:64
	v_bitop3_b32 v18, v18, v24, v23 bitop3:0x80
	; wave barrier
	v_bitop3_b32 v18, v18, v19, v20 bitop3:0x80
	s_delay_alu instid0(VALU_DEP_1) | instskip(SKIP_1) | instid1(VALU_DEP_2)
	v_mbcnt_lo_u32_b32 v49, v18, 0
	v_cmp_ne_u32_e64 s0, 0, v18
	v_cmp_eq_u32_e32 vcc_lo, 0, v49
	s_and_b32 s1, s0, vcc_lo
	s_delay_alu instid0(SALU_CYCLE_1)
	s_and_saveexec_b32 s0, s1
	s_cbranch_execz .LBB1605_87
; %bb.86:
	s_wait_dscnt 0x0
	v_bcnt_u32_b32 v18, v18, v48
	ds_store_b32 v50, v18 offset:64
.LBB1605_87:
	s_or_b32 exec_lo, exec_lo, s0
	; wave barrier
	s_wait_dscnt 0x0
	s_barrier_signal -1
	s_barrier_wait -1
	ds_load_2addr_b32 v[24:25], v26 offset0:16 offset1:17
	ds_load_2addr_b32 v[22:23], v26 offset0:18 offset1:19
	;; [unrolled: 1-line block ×4, first 2 shown]
	ds_load_b32 v51, v26 offset:96
	v_bfe_i32 v54, v33, 4, 1
	s_mov_b32 s5, exec_lo
	s_wait_dscnt 0x3
	v_add3_u32 v52, v25, v24, v22
	s_wait_dscnt 0x2
	s_delay_alu instid0(VALU_DEP_1) | instskip(SKIP_1) | instid1(VALU_DEP_1)
	v_add3_u32 v52, v52, v23, v20
	s_wait_dscnt 0x1
	v_add3_u32 v52, v52, v21, v18
	s_wait_dscnt 0x0
	s_delay_alu instid0(VALU_DEP_1) | instskip(SKIP_1) | instid1(VALU_DEP_2)
	v_add3_u32 v51, v52, v19, v51
	v_and_b32_e32 v52, 15, v33
	v_mov_b32_dpp v53, v51 row_shr:1 row_mask:0xf bank_mask:0xf
	s_delay_alu instid0(VALU_DEP_2) | instskip(NEXT) | instid1(VALU_DEP_2)
	v_cmp_eq_u32_e32 vcc_lo, 0, v52
	v_cndmask_b32_e64 v53, v53, 0, vcc_lo
	s_delay_alu instid0(VALU_DEP_1) | instskip(SKIP_3) | instid1(VALU_DEP_4)
	v_add_nc_u32_e32 v51, v53, v51
	v_cmp_lt_u32_e64 s0, 1, v52
	v_cmp_lt_u32_e64 s1, 3, v52
	;; [unrolled: 1-line block ×3, first 2 shown]
	v_mov_b32_dpp v53, v51 row_shr:2 row_mask:0xf bank_mask:0xf
	s_delay_alu instid0(VALU_DEP_1) | instskip(NEXT) | instid1(VALU_DEP_1)
	v_cndmask_b32_e64 v53, 0, v53, s0
	v_add_nc_u32_e32 v51, v51, v53
	s_delay_alu instid0(VALU_DEP_1) | instskip(NEXT) | instid1(VALU_DEP_1)
	v_mov_b32_dpp v53, v51 row_shr:4 row_mask:0xf bank_mask:0xf
	v_cndmask_b32_e64 v53, 0, v53, s1
	s_delay_alu instid0(VALU_DEP_1) | instskip(NEXT) | instid1(VALU_DEP_1)
	v_add_nc_u32_e32 v51, v51, v53
	v_mov_b32_dpp v53, v51 row_shr:8 row_mask:0xf bank_mask:0xf
	s_delay_alu instid0(VALU_DEP_1) | instskip(SKIP_1) | instid1(VALU_DEP_2)
	v_cndmask_b32_e64 v52, 0, v53, s3
	v_and_b32_e32 v53, 0x3e0, v32
	v_add_nc_u32_e32 v51, v51, v52
	s_delay_alu instid0(VALU_DEP_2) | instskip(SKIP_4) | instid1(VALU_DEP_1)
	v_min_u32_e32 v53, 0x1e0, v53
	ds_swizzle_b32 v52, v51 offset:swizzle(BROADCAST,32,15)
	v_or_b32_e32 v53, 31, v53
	s_wait_dscnt 0x0
	v_and_b32_e32 v54, v54, v52
	v_dual_lshrrev_b32 v52, 5, v32 :: v_dual_add_nc_u32 v51, v51, v54
	s_delay_alu instid0(VALU_DEP_3)
	v_cmpx_eq_u32_e64 v32, v53
; %bb.88:
	s_delay_alu instid0(VALU_DEP_2)
	v_lshlrev_b32_e32 v53, 2, v52
	ds_store_b32 v53, v51
; %bb.89:
	s_or_b32 exec_lo, exec_lo, s5
	s_delay_alu instid0(SALU_CYCLE_1)
	s_mov_b32 s5, exec_lo
	s_wait_dscnt 0x0
	s_barrier_signal -1
	s_barrier_wait -1
	v_cmpx_gt_u32_e32 16, v32
	s_cbranch_execz .LBB1605_91
; %bb.90:
	v_lshlrev_b32_e32 v53, 2, v32
	ds_load_b32 v54, v53
	s_wait_dscnt 0x0
	v_mov_b32_dpp v55, v54 row_shr:1 row_mask:0xf bank_mask:0xf
	s_delay_alu instid0(VALU_DEP_1) | instskip(NEXT) | instid1(VALU_DEP_1)
	v_cndmask_b32_e64 v55, v55, 0, vcc_lo
	v_add_nc_u32_e32 v54, v55, v54
	s_delay_alu instid0(VALU_DEP_1) | instskip(NEXT) | instid1(VALU_DEP_1)
	v_mov_b32_dpp v55, v54 row_shr:2 row_mask:0xf bank_mask:0xf
	v_cndmask_b32_e64 v55, 0, v55, s0
	s_delay_alu instid0(VALU_DEP_1) | instskip(NEXT) | instid1(VALU_DEP_1)
	v_add_nc_u32_e32 v54, v54, v55
	v_mov_b32_dpp v55, v54 row_shr:4 row_mask:0xf bank_mask:0xf
	s_delay_alu instid0(VALU_DEP_1) | instskip(NEXT) | instid1(VALU_DEP_1)
	v_cndmask_b32_e64 v55, 0, v55, s1
	v_add_nc_u32_e32 v54, v54, v55
	s_delay_alu instid0(VALU_DEP_1) | instskip(NEXT) | instid1(VALU_DEP_1)
	v_mov_b32_dpp v55, v54 row_shr:8 row_mask:0xf bank_mask:0xf
	v_cndmask_b32_e64 v55, 0, v55, s3
	s_delay_alu instid0(VALU_DEP_1)
	v_add_nc_u32_e32 v54, v54, v55
	ds_store_b32 v53, v54
.LBB1605_91:
	s_or_b32 exec_lo, exec_lo, s5
	v_mov_b32_e32 v53, 0
	s_mov_b32 s0, exec_lo
	s_wait_dscnt 0x0
	s_barrier_signal -1
	s_barrier_wait -1
	v_cmpx_lt_u32_e32 31, v32
; %bb.92:
	v_lshl_add_u32 v52, v52, 2, -4
	ds_load_b32 v53, v52
; %bb.93:
	s_or_b32 exec_lo, exec_lo, s0
	v_sub_co_u32 v52, vcc_lo, v33, 1
	s_wait_dscnt 0x0
	v_add_nc_u32_e32 v51, v53, v51
	s_delay_alu instid0(VALU_DEP_2) | instskip(NEXT) | instid1(VALU_DEP_1)
	v_cmp_gt_i32_e64 s0, 0, v52
	v_cndmask_b32_e64 v33, v52, v33, s0
	v_cmp_lt_u32_e64 s0, 0xff, v32
	s_delay_alu instid0(VALU_DEP_2) | instskip(SKIP_4) | instid1(VALU_DEP_2)
	v_lshlrev_b32_e32 v33, 2, v33
	ds_bpermute_b32 v33, v33, v51
	s_wait_dscnt 0x0
	v_cndmask_b32_e32 v33, v33, v53, vcc_lo
	v_cmp_gt_u32_e32 vcc_lo, 0x100, v32
	v_cndmask_b32_e64 v33, v33, 0, s2
	s_delay_alu instid0(VALU_DEP_1) | instskip(NEXT) | instid1(VALU_DEP_1)
	v_add_nc_u32_e32 v24, v33, v24
	v_add_nc_u32_e32 v25, v24, v25
	s_delay_alu instid0(VALU_DEP_1) | instskip(NEXT) | instid1(VALU_DEP_1)
	v_add_nc_u32_e32 v22, v25, v22
	v_add_nc_u32_e32 v23, v22, v23
	;; [unrolled: 3-line block ×4, first 2 shown]
	ds_store_2addr_b32 v26, v33, v24 offset0:16 offset1:17
	ds_store_2addr_b32 v26, v25, v22 offset0:18 offset1:19
	ds_store_2addr_b32 v26, v23, v20 offset0:20 offset1:21
	ds_store_2addr_b32 v26, v21, v18 offset0:22 offset1:23
	ds_store_b32 v26, v19 offset:96
	s_wait_dscnt 0x0
	s_barrier_signal -1
	s_barrier_wait -1
	ds_load_b32 v21, v27 offset:64
	ds_load_b32 v33, v28 offset:64
	ds_load_b32 v51, v29 offset:64
	ds_load_b32 v38, v38 offset:64
	ds_load_b32 v41, v41 offset:64
	ds_load_b32 v44, v44 offset:64
	ds_load_b32 v47, v47 offset:64
	ds_load_b32 v50, v50 offset:64
	v_mov_b64_e32 v[18:19], 0
                                        ; implicit-def: $vgpr20
	s_and_saveexec_b32 s2, vcc_lo
	s_cbranch_execz .LBB1605_97
; %bb.94:
	v_mul_u32_u24_e32 v18, 0x44, v32
	v_dual_mov_b32 v19, 0x1000 :: v_dual_add_nc_u32 v20, 1, v32
	s_mov_b32 s3, exec_lo
	ds_load_b32 v18, v18 offset:64
	v_cmpx_ne_u32_e32 0x100, v20
; %bb.95:
	v_mul_u32_u24_e32 v19, 0x44, v20
	ds_load_b32 v19, v19 offset:64
; %bb.96:
	s_or_b32 exec_lo, exec_lo, s3
	s_wait_dscnt 0x0
	v_dual_mov_b32 v19, 0 :: v_dual_sub_nc_u32 v20, v19, v18
.LBB1605_97:
	s_or_b32 exec_lo, exec_lo, s2
	v_mov_b32_e32 v23, 0
	s_wait_dscnt 0x0
	s_barrier_signal -1
	s_barrier_wait -1
	s_and_saveexec_b32 s1, vcc_lo
	s_cbranch_execz .LBB1605_107
; %bb.98:
	v_lshl_add_u32 v22, s26, 8, v32
	v_dual_mov_b32 v26, 0 :: v_dual_bitop2_b32 v27, 2.0, v20 bitop3:0x54
	s_mov_b32 s2, 0
	s_mov_b32 s3, s26
	s_delay_alu instid0(VALU_DEP_2)
	v_lshl_add_u64 v[24:25], v[22:23], 2, s[10:11]
	global_store_b32 v22, v27, s[10:11] scale_offset scope:SCOPE_DEV
                                        ; implicit-def: $sgpr4
	s_branch .LBB1605_101
.LBB1605_99:                            ;   in Loop: Header=BB1605_101 Depth=1
	s_or_b32 exec_lo, exec_lo, s5
.LBB1605_100:                           ;   in Loop: Header=BB1605_101 Depth=1
	s_delay_alu instid0(SALU_CYCLE_1) | instskip(SKIP_2) | instid1(VALU_DEP_2)
	s_or_b32 exec_lo, exec_lo, s4
	v_and_b32_e32 v22, 0x3fffffff, v27
	v_cmp_gt_i32_e64 s4, -2.0, v27
	v_add_nc_u32_e32 v26, v22, v26
	s_and_b32 s5, exec_lo, s4
	s_delay_alu instid0(SALU_CYCLE_1) | instskip(NEXT) | instid1(SALU_CYCLE_1)
	s_or_b32 s2, s5, s2
	s_and_not1_b32 exec_lo, exec_lo, s2
	s_cbranch_execz .LBB1605_106
.LBB1605_101:                           ; =>This Loop Header: Depth=1
                                        ;     Child Loop BB1605_104 Depth 2
	s_or_b32 s4, s4, exec_lo
	s_cmp_eq_u32 s3, 0
	s_cbranch_scc1 .LBB1605_105
; %bb.102:                              ;   in Loop: Header=BB1605_101 Depth=1
	s_add_co_i32 s3, s3, -1
	s_mov_b32 s4, exec_lo
	s_wait_xcnt 0x0
	v_lshl_or_b32 v22, s3, 8, v32
	global_load_b32 v27, v22, s[10:11] scale_offset scope:SCOPE_DEV
	s_wait_loadcnt 0x0
	v_cmpx_gt_u32_e32 2.0, v27
	s_cbranch_execz .LBB1605_100
; %bb.103:                              ;   in Loop: Header=BB1605_101 Depth=1
	v_lshl_add_u64 v[28:29], v[22:23], 2, s[10:11]
	s_mov_b32 s5, 0
.LBB1605_104:                           ;   Parent Loop BB1605_101 Depth=1
                                        ; =>  This Inner Loop Header: Depth=2
	global_load_b32 v27, v[28:29], off scope:SCOPE_DEV
	s_wait_loadcnt 0x0
	v_cmp_lt_u32_e32 vcc_lo, 0x3fffffff, v27
	s_or_b32 s5, vcc_lo, s5
	s_wait_xcnt 0x0
	s_and_not1_b32 exec_lo, exec_lo, s5
	s_cbranch_execnz .LBB1605_104
	s_branch .LBB1605_99
.LBB1605_105:                           ;   in Loop: Header=BB1605_101 Depth=1
                                        ; implicit-def: $sgpr3
	s_and_b32 s5, exec_lo, s4
	s_delay_alu instid0(SALU_CYCLE_1)
	s_or_b32 s2, s5, s2
	s_wait_xcnt 0x0
	s_and_not1_b32 exec_lo, exec_lo, s2
	s_cbranch_execnz .LBB1605_101
.LBB1605_106:
	s_or_b32 exec_lo, exec_lo, s2
	v_dual_mov_b32 v27, 0 :: v_dual_add_nc_u32 v22, v26, v20
	s_delay_alu instid0(VALU_DEP_1) | instskip(SKIP_4) | instid1(VALU_DEP_1)
	v_or_b32_e32 v22, 0x80000000, v22
	global_store_b32 v[24:25], v22, off scope:SCOPE_DEV
	global_load_b64 v[22:23], v32, s[12:13] scale_offset
	v_sub_nc_u64_e32 v[24:25], v[26:27], v[18:19]
	s_wait_loadcnt 0x0
	v_add_nc_u64_e32 v[22:23], v[24:25], v[22:23]
	ds_store_b64 v2, v[22:23]
.LBB1605_107:
	s_wait_xcnt 0x0
	s_or_b32 exec_lo, exec_lo, s1
	v_dual_add_nc_u32 v21, v21, v3 :: v_dual_mov_b32 v3, 0
	v_add3_u32 v24, v49, v50, v48
	v_add3_u32 v25, v46, v47, v45
	;; [unrolled: 1-line block ×4, first 2 shown]
	v_add_nc_u64_e32 v[22:23], s[18:19], v[2:3]
	v_add3_u32 v28, v37, v38, v36
	v_add3_u32 v3, v35, v51, v34
	;; [unrolled: 1-line block ×3, first 2 shown]
	s_mov_b64 s[6:7], 0x7fffffffffffffff
	s_mov_b32 s9, -1
	s_mov_b32 s8, 0
.LBB1605_108:                           ; =>This Inner Loop Header: Depth=1
	s_wait_xcnt 0x3
	v_add_min_u32_e64 v30, v21, s8, 0x800
	v_add_min_u32_e64 v31, v29, s8, 0x800
	v_add_min_u32_e64 v33, v3, s8, 0x800
	v_add_min_u32_e64 v34, v28, s8, 0x800
	v_add_min_u32_e64 v35, v27, s8, 0x800
	s_wait_xcnt 0x2
	v_add_min_u32_e64 v36, v26, s8, 0x800
	v_add_min_u32_e64 v37, v25, s8, 0x800
	s_wait_xcnt 0x1
	v_add_min_u32_e64 v38, v24, s8, 0x800
	v_dual_lshlrev_b32 v30, 3, v30 :: v_dual_lshlrev_b32 v31, 3, v31
	v_dual_lshlrev_b32 v33, 3, v33 :: v_dual_lshlrev_b32 v34, 3, v34
	;; [unrolled: 1-line block ×3, first 2 shown]
	s_delay_alu instid0(VALU_DEP_4)
	v_dual_lshlrev_b32 v37, 3, v37 :: v_dual_lshlrev_b32 v38, 3, v38
	ds_store_b64 v30, v[4:5] offset:2048
	ds_store_b64 v31, v[0:1] offset:2048
	;; [unrolled: 1-line block ×8, first 2 shown]
	s_wait_storecnt_dscnt 0x0
	s_barrier_signal -1
	s_barrier_wait -1
	ds_load_2addr_stride64_b64 v[34:37], v2 offset0:4 offset1:12
	s_wait_xcnt 0x0
	ds_load_2addr_stride64_b64 v[38:41], v2 offset0:20 offset1:28
	s_addk_co_i32 s8, 0xf800
	s_and_b32 vcc_lo, exec_lo, s9
	s_mov_b32 s9, 0
	s_wait_dscnt 0x1
	v_cmp_lt_i64_e64 s2, -1, v[34:35]
	v_cmp_lt_i64_e64 s3, -1, v[36:37]
	v_cmp_ne_u64_e64 s1, s[6:7], v[34:35]
	s_wait_dscnt 0x0
	v_cmp_lt_i64_e64 s4, -1, v[38:39]
	v_dual_ashrrev_i32 v33, 31, v35 :: v_dual_ashrrev_i32 v49, 31, v37
	v_cmp_lt_i64_e64 s5, -1, v[40:41]
	v_cndmask_b32_e64 v30, 0x80000000, -1, s2
	v_cmp_ne_u64_e64 s2, s[6:7], v[36:37]
	v_cndmask_b32_e64 v48, 0x80000000, -1, s3
	v_cmp_ne_u64_e64 s3, s[6:7], v[38:39]
	v_cndmask_b32_e64 v31, 0x80000000, v35, s1
	v_cndmask_b32_e64 v50, 0x80000000, -1, s4
	v_cmp_ne_u64_e64 s4, s[6:7], v[40:41]
	v_dual_cndmask_b32 v30, 0, v34, s1 :: v_dual_bitop2_b32 v35, v30, v35 bitop3:0x14
	v_cndmask_b32_e64 v43, 0x80000000, v37, s2
	v_cndmask_b32_e64 v45, 0x80000000, v39, s3
	v_dual_cndmask_b32 v42, 0, v36, s2 :: v_dual_cndmask_b32 v44, 0, v38, s3
	s_delay_alu instid0(VALU_DEP_4) | instskip(SKIP_2) | instid1(VALU_DEP_4)
	v_lshrrev_b64 v[30:31], s20, v[30:31]
	v_cndmask_b32_e64 v47, 0x80000000, v41, s4
	v_cndmask_b32_e64 v46, 0, v40, s4
	v_lshrrev_b64 v[42:43], s20, v[42:43]
	v_lshrrev_b64 v[44:45], s20, v[44:45]
	v_dual_ashrrev_i32 v51, 31, v39 :: v_dual_bitop2_b32 v37, v48, v37 bitop3:0x14
	v_dual_ashrrev_i32 v53, 31, v41 :: v_dual_bitop2_b32 v30, s17, v30 bitop3:0x40
	v_lshrrev_b64 v[46:47], s20, v[46:47]
	v_and_b32_e32 v31, s17, v42
	v_and_b32_e32 v42, s17, v44
	v_not_b32_e32 v33, v33
	v_lshlrev_b32_e32 v30, 3, v30
	v_not_b32_e32 v49, v49
	v_not_b32_e32 v48, v51
	v_lshlrev_b32_e32 v45, 3, v42
	v_dual_lshlrev_b32 v44, 3, v31 :: v_dual_bitop2_b32 v43, s17, v46 bitop3:0x40
	v_cndmask_b32_e64 v52, 0x80000000, -1, s5
	v_xor_b32_e32 v39, v50, v39
	v_not_b32_e32 v50, v53
	s_delay_alu instid0(VALU_DEP_4)
	v_lshlrev_b32_e32 v46, 3, v43
	ds_load_b64 v[30:31], v30
	ds_load_b64 v[42:43], v44
	;; [unrolled: 1-line block ×4, first 2 shown]
	v_xor_b32_e32 v34, v33, v34
	v_xor_b32_e32 v36, v49, v36
	;; [unrolled: 1-line block ×5, first 2 shown]
	s_wait_dscnt 0x3
	v_lshl_add_u64 v[30:31], v[30:31], 3, v[22:23]
	s_wait_dscnt 0x2
	v_lshl_add_u64 v[42:43], v[42:43], 3, v[22:23]
	;; [unrolled: 2-line block ×4, first 2 shown]
	v_add_nc_u64_e32 v[22:23], 0x4000, v[22:23]
	s_clause 0x3
	global_store_b64 v[30:31], v[34:35], off
	global_store_b64 v[42:43], v[36:37], off offset:4096
	global_store_b64 v[44:45], v[38:39], off offset:8192
	;; [unrolled: 1-line block ×3, first 2 shown]
	s_wait_storecnt 0x0
	s_barrier_signal -1
	s_barrier_wait -1
	s_cbranch_vccnz .LBB1605_108
; %bb.109:
	s_add_co_i32 s16, s16, -1
	s_delay_alu instid0(SALU_CYCLE_1) | instskip(SKIP_2) | instid1(SALU_CYCLE_1)
	s_cmp_eq_u32 s26, s16
	s_cselect_b32 s1, -1, 0
	s_xor_b32 s0, s0, -1
	s_and_b32 s0, s0, s1
	s_wait_xcnt 0x0
	s_and_saveexec_b32 s1, s0
	s_cbranch_execz .LBB1605_111
; %bb.110:
	ds_load_b64 v[0:1], v2
	v_mov_b32_e32 v21, 0
	s_delay_alu instid0(VALU_DEP_1) | instskip(SKIP_1) | instid1(VALU_DEP_1)
	v_add_nc_u64_e32 v[2:3], v[18:19], v[20:21]
	s_wait_dscnt 0x0
	v_add_nc_u64_e32 v[0:1], v[2:3], v[0:1]
	global_store_b64 v32, v[0:1], s[14:15] scale_offset
.LBB1605_111:
	s_endpgm
	.section	.rodata,"a",@progbits
	.p2align	6, 0x0
	.amdhsa_kernel _ZN7rocprim17ROCPRIM_400000_NS6detail17trampoline_kernelINS0_14default_configENS1_35radix_sort_onesweep_config_selectorIdNS0_10empty_typeEEEZZNS1_29radix_sort_onesweep_iterationIS3_Lb0EPKdPdPS5_SB_mNS0_19identity_decomposerENS1_16block_id_wrapperIjLb1EEEEE10hipError_tT1_PNSt15iterator_traitsISG_E10value_typeET2_T3_PNSH_ISM_E10value_typeET4_T5_PSR_SS_PNS1_23onesweep_lookback_stateEbbT6_jjT7_P12ihipStream_tbENKUlT_T0_SG_SL_E_clIS9_SA_SB_SB_EEDaSZ_S10_SG_SL_EUlSZ_E_NS1_11comp_targetILNS1_3genE0ELNS1_11target_archE4294967295ELNS1_3gpuE0ELNS1_3repE0EEENS1_47radix_sort_onesweep_sort_config_static_selectorELNS0_4arch9wavefront6targetE0EEEvSG_
		.amdhsa_group_segment_fixed_size 18504
		.amdhsa_private_segment_fixed_size 0
		.amdhsa_kernarg_size 344
		.amdhsa_user_sgpr_count 2
		.amdhsa_user_sgpr_dispatch_ptr 0
		.amdhsa_user_sgpr_queue_ptr 0
		.amdhsa_user_sgpr_kernarg_segment_ptr 1
		.amdhsa_user_sgpr_dispatch_id 0
		.amdhsa_user_sgpr_kernarg_preload_length 0
		.amdhsa_user_sgpr_kernarg_preload_offset 0
		.amdhsa_user_sgpr_private_segment_size 0
		.amdhsa_wavefront_size32 1
		.amdhsa_uses_dynamic_stack 0
		.amdhsa_enable_private_segment 0
		.amdhsa_system_sgpr_workgroup_id_x 1
		.amdhsa_system_sgpr_workgroup_id_y 0
		.amdhsa_system_sgpr_workgroup_id_z 0
		.amdhsa_system_sgpr_workgroup_info 0
		.amdhsa_system_vgpr_workitem_id 2
		.amdhsa_next_free_vgpr 57
		.amdhsa_next_free_sgpr 31
		.amdhsa_named_barrier_count 0
		.amdhsa_reserve_vcc 1
		.amdhsa_float_round_mode_32 0
		.amdhsa_float_round_mode_16_64 0
		.amdhsa_float_denorm_mode_32 3
		.amdhsa_float_denorm_mode_16_64 3
		.amdhsa_fp16_overflow 0
		.amdhsa_memory_ordered 1
		.amdhsa_forward_progress 1
		.amdhsa_inst_pref_size 100
		.amdhsa_round_robin_scheduling 0
		.amdhsa_exception_fp_ieee_invalid_op 0
		.amdhsa_exception_fp_denorm_src 0
		.amdhsa_exception_fp_ieee_div_zero 0
		.amdhsa_exception_fp_ieee_overflow 0
		.amdhsa_exception_fp_ieee_underflow 0
		.amdhsa_exception_fp_ieee_inexact 0
		.amdhsa_exception_int_div_zero 0
	.end_amdhsa_kernel
	.section	.text._ZN7rocprim17ROCPRIM_400000_NS6detail17trampoline_kernelINS0_14default_configENS1_35radix_sort_onesweep_config_selectorIdNS0_10empty_typeEEEZZNS1_29radix_sort_onesweep_iterationIS3_Lb0EPKdPdPS5_SB_mNS0_19identity_decomposerENS1_16block_id_wrapperIjLb1EEEEE10hipError_tT1_PNSt15iterator_traitsISG_E10value_typeET2_T3_PNSH_ISM_E10value_typeET4_T5_PSR_SS_PNS1_23onesweep_lookback_stateEbbT6_jjT7_P12ihipStream_tbENKUlT_T0_SG_SL_E_clIS9_SA_SB_SB_EEDaSZ_S10_SG_SL_EUlSZ_E_NS1_11comp_targetILNS1_3genE0ELNS1_11target_archE4294967295ELNS1_3gpuE0ELNS1_3repE0EEENS1_47radix_sort_onesweep_sort_config_static_selectorELNS0_4arch9wavefront6targetE0EEEvSG_,"axG",@progbits,_ZN7rocprim17ROCPRIM_400000_NS6detail17trampoline_kernelINS0_14default_configENS1_35radix_sort_onesweep_config_selectorIdNS0_10empty_typeEEEZZNS1_29radix_sort_onesweep_iterationIS3_Lb0EPKdPdPS5_SB_mNS0_19identity_decomposerENS1_16block_id_wrapperIjLb1EEEEE10hipError_tT1_PNSt15iterator_traitsISG_E10value_typeET2_T3_PNSH_ISM_E10value_typeET4_T5_PSR_SS_PNS1_23onesweep_lookback_stateEbbT6_jjT7_P12ihipStream_tbENKUlT_T0_SG_SL_E_clIS9_SA_SB_SB_EEDaSZ_S10_SG_SL_EUlSZ_E_NS1_11comp_targetILNS1_3genE0ELNS1_11target_archE4294967295ELNS1_3gpuE0ELNS1_3repE0EEENS1_47radix_sort_onesweep_sort_config_static_selectorELNS0_4arch9wavefront6targetE0EEEvSG_,comdat
.Lfunc_end1605:
	.size	_ZN7rocprim17ROCPRIM_400000_NS6detail17trampoline_kernelINS0_14default_configENS1_35radix_sort_onesweep_config_selectorIdNS0_10empty_typeEEEZZNS1_29radix_sort_onesweep_iterationIS3_Lb0EPKdPdPS5_SB_mNS0_19identity_decomposerENS1_16block_id_wrapperIjLb1EEEEE10hipError_tT1_PNSt15iterator_traitsISG_E10value_typeET2_T3_PNSH_ISM_E10value_typeET4_T5_PSR_SS_PNS1_23onesweep_lookback_stateEbbT6_jjT7_P12ihipStream_tbENKUlT_T0_SG_SL_E_clIS9_SA_SB_SB_EEDaSZ_S10_SG_SL_EUlSZ_E_NS1_11comp_targetILNS1_3genE0ELNS1_11target_archE4294967295ELNS1_3gpuE0ELNS1_3repE0EEENS1_47radix_sort_onesweep_sort_config_static_selectorELNS0_4arch9wavefront6targetE0EEEvSG_, .Lfunc_end1605-_ZN7rocprim17ROCPRIM_400000_NS6detail17trampoline_kernelINS0_14default_configENS1_35radix_sort_onesweep_config_selectorIdNS0_10empty_typeEEEZZNS1_29radix_sort_onesweep_iterationIS3_Lb0EPKdPdPS5_SB_mNS0_19identity_decomposerENS1_16block_id_wrapperIjLb1EEEEE10hipError_tT1_PNSt15iterator_traitsISG_E10value_typeET2_T3_PNSH_ISM_E10value_typeET4_T5_PSR_SS_PNS1_23onesweep_lookback_stateEbbT6_jjT7_P12ihipStream_tbENKUlT_T0_SG_SL_E_clIS9_SA_SB_SB_EEDaSZ_S10_SG_SL_EUlSZ_E_NS1_11comp_targetILNS1_3genE0ELNS1_11target_archE4294967295ELNS1_3gpuE0ELNS1_3repE0EEENS1_47radix_sort_onesweep_sort_config_static_selectorELNS0_4arch9wavefront6targetE0EEEvSG_
                                        ; -- End function
	.set _ZN7rocprim17ROCPRIM_400000_NS6detail17trampoline_kernelINS0_14default_configENS1_35radix_sort_onesweep_config_selectorIdNS0_10empty_typeEEEZZNS1_29radix_sort_onesweep_iterationIS3_Lb0EPKdPdPS5_SB_mNS0_19identity_decomposerENS1_16block_id_wrapperIjLb1EEEEE10hipError_tT1_PNSt15iterator_traitsISG_E10value_typeET2_T3_PNSH_ISM_E10value_typeET4_T5_PSR_SS_PNS1_23onesweep_lookback_stateEbbT6_jjT7_P12ihipStream_tbENKUlT_T0_SG_SL_E_clIS9_SA_SB_SB_EEDaSZ_S10_SG_SL_EUlSZ_E_NS1_11comp_targetILNS1_3genE0ELNS1_11target_archE4294967295ELNS1_3gpuE0ELNS1_3repE0EEENS1_47radix_sort_onesweep_sort_config_static_selectorELNS0_4arch9wavefront6targetE0EEEvSG_.num_vgpr, 57
	.set _ZN7rocprim17ROCPRIM_400000_NS6detail17trampoline_kernelINS0_14default_configENS1_35radix_sort_onesweep_config_selectorIdNS0_10empty_typeEEEZZNS1_29radix_sort_onesweep_iterationIS3_Lb0EPKdPdPS5_SB_mNS0_19identity_decomposerENS1_16block_id_wrapperIjLb1EEEEE10hipError_tT1_PNSt15iterator_traitsISG_E10value_typeET2_T3_PNSH_ISM_E10value_typeET4_T5_PSR_SS_PNS1_23onesweep_lookback_stateEbbT6_jjT7_P12ihipStream_tbENKUlT_T0_SG_SL_E_clIS9_SA_SB_SB_EEDaSZ_S10_SG_SL_EUlSZ_E_NS1_11comp_targetILNS1_3genE0ELNS1_11target_archE4294967295ELNS1_3gpuE0ELNS1_3repE0EEENS1_47radix_sort_onesweep_sort_config_static_selectorELNS0_4arch9wavefront6targetE0EEEvSG_.num_agpr, 0
	.set _ZN7rocprim17ROCPRIM_400000_NS6detail17trampoline_kernelINS0_14default_configENS1_35radix_sort_onesweep_config_selectorIdNS0_10empty_typeEEEZZNS1_29radix_sort_onesweep_iterationIS3_Lb0EPKdPdPS5_SB_mNS0_19identity_decomposerENS1_16block_id_wrapperIjLb1EEEEE10hipError_tT1_PNSt15iterator_traitsISG_E10value_typeET2_T3_PNSH_ISM_E10value_typeET4_T5_PSR_SS_PNS1_23onesweep_lookback_stateEbbT6_jjT7_P12ihipStream_tbENKUlT_T0_SG_SL_E_clIS9_SA_SB_SB_EEDaSZ_S10_SG_SL_EUlSZ_E_NS1_11comp_targetILNS1_3genE0ELNS1_11target_archE4294967295ELNS1_3gpuE0ELNS1_3repE0EEENS1_47radix_sort_onesweep_sort_config_static_selectorELNS0_4arch9wavefront6targetE0EEEvSG_.numbered_sgpr, 31
	.set _ZN7rocprim17ROCPRIM_400000_NS6detail17trampoline_kernelINS0_14default_configENS1_35radix_sort_onesweep_config_selectorIdNS0_10empty_typeEEEZZNS1_29radix_sort_onesweep_iterationIS3_Lb0EPKdPdPS5_SB_mNS0_19identity_decomposerENS1_16block_id_wrapperIjLb1EEEEE10hipError_tT1_PNSt15iterator_traitsISG_E10value_typeET2_T3_PNSH_ISM_E10value_typeET4_T5_PSR_SS_PNS1_23onesweep_lookback_stateEbbT6_jjT7_P12ihipStream_tbENKUlT_T0_SG_SL_E_clIS9_SA_SB_SB_EEDaSZ_S10_SG_SL_EUlSZ_E_NS1_11comp_targetILNS1_3genE0ELNS1_11target_archE4294967295ELNS1_3gpuE0ELNS1_3repE0EEENS1_47radix_sort_onesweep_sort_config_static_selectorELNS0_4arch9wavefront6targetE0EEEvSG_.num_named_barrier, 0
	.set _ZN7rocprim17ROCPRIM_400000_NS6detail17trampoline_kernelINS0_14default_configENS1_35radix_sort_onesweep_config_selectorIdNS0_10empty_typeEEEZZNS1_29radix_sort_onesweep_iterationIS3_Lb0EPKdPdPS5_SB_mNS0_19identity_decomposerENS1_16block_id_wrapperIjLb1EEEEE10hipError_tT1_PNSt15iterator_traitsISG_E10value_typeET2_T3_PNSH_ISM_E10value_typeET4_T5_PSR_SS_PNS1_23onesweep_lookback_stateEbbT6_jjT7_P12ihipStream_tbENKUlT_T0_SG_SL_E_clIS9_SA_SB_SB_EEDaSZ_S10_SG_SL_EUlSZ_E_NS1_11comp_targetILNS1_3genE0ELNS1_11target_archE4294967295ELNS1_3gpuE0ELNS1_3repE0EEENS1_47radix_sort_onesweep_sort_config_static_selectorELNS0_4arch9wavefront6targetE0EEEvSG_.private_seg_size, 0
	.set _ZN7rocprim17ROCPRIM_400000_NS6detail17trampoline_kernelINS0_14default_configENS1_35radix_sort_onesweep_config_selectorIdNS0_10empty_typeEEEZZNS1_29radix_sort_onesweep_iterationIS3_Lb0EPKdPdPS5_SB_mNS0_19identity_decomposerENS1_16block_id_wrapperIjLb1EEEEE10hipError_tT1_PNSt15iterator_traitsISG_E10value_typeET2_T3_PNSH_ISM_E10value_typeET4_T5_PSR_SS_PNS1_23onesweep_lookback_stateEbbT6_jjT7_P12ihipStream_tbENKUlT_T0_SG_SL_E_clIS9_SA_SB_SB_EEDaSZ_S10_SG_SL_EUlSZ_E_NS1_11comp_targetILNS1_3genE0ELNS1_11target_archE4294967295ELNS1_3gpuE0ELNS1_3repE0EEENS1_47radix_sort_onesweep_sort_config_static_selectorELNS0_4arch9wavefront6targetE0EEEvSG_.uses_vcc, 1
	.set _ZN7rocprim17ROCPRIM_400000_NS6detail17trampoline_kernelINS0_14default_configENS1_35radix_sort_onesweep_config_selectorIdNS0_10empty_typeEEEZZNS1_29radix_sort_onesweep_iterationIS3_Lb0EPKdPdPS5_SB_mNS0_19identity_decomposerENS1_16block_id_wrapperIjLb1EEEEE10hipError_tT1_PNSt15iterator_traitsISG_E10value_typeET2_T3_PNSH_ISM_E10value_typeET4_T5_PSR_SS_PNS1_23onesweep_lookback_stateEbbT6_jjT7_P12ihipStream_tbENKUlT_T0_SG_SL_E_clIS9_SA_SB_SB_EEDaSZ_S10_SG_SL_EUlSZ_E_NS1_11comp_targetILNS1_3genE0ELNS1_11target_archE4294967295ELNS1_3gpuE0ELNS1_3repE0EEENS1_47radix_sort_onesweep_sort_config_static_selectorELNS0_4arch9wavefront6targetE0EEEvSG_.uses_flat_scratch, 0
	.set _ZN7rocprim17ROCPRIM_400000_NS6detail17trampoline_kernelINS0_14default_configENS1_35radix_sort_onesweep_config_selectorIdNS0_10empty_typeEEEZZNS1_29radix_sort_onesweep_iterationIS3_Lb0EPKdPdPS5_SB_mNS0_19identity_decomposerENS1_16block_id_wrapperIjLb1EEEEE10hipError_tT1_PNSt15iterator_traitsISG_E10value_typeET2_T3_PNSH_ISM_E10value_typeET4_T5_PSR_SS_PNS1_23onesweep_lookback_stateEbbT6_jjT7_P12ihipStream_tbENKUlT_T0_SG_SL_E_clIS9_SA_SB_SB_EEDaSZ_S10_SG_SL_EUlSZ_E_NS1_11comp_targetILNS1_3genE0ELNS1_11target_archE4294967295ELNS1_3gpuE0ELNS1_3repE0EEENS1_47radix_sort_onesweep_sort_config_static_selectorELNS0_4arch9wavefront6targetE0EEEvSG_.has_dyn_sized_stack, 0
	.set _ZN7rocprim17ROCPRIM_400000_NS6detail17trampoline_kernelINS0_14default_configENS1_35radix_sort_onesweep_config_selectorIdNS0_10empty_typeEEEZZNS1_29radix_sort_onesweep_iterationIS3_Lb0EPKdPdPS5_SB_mNS0_19identity_decomposerENS1_16block_id_wrapperIjLb1EEEEE10hipError_tT1_PNSt15iterator_traitsISG_E10value_typeET2_T3_PNSH_ISM_E10value_typeET4_T5_PSR_SS_PNS1_23onesweep_lookback_stateEbbT6_jjT7_P12ihipStream_tbENKUlT_T0_SG_SL_E_clIS9_SA_SB_SB_EEDaSZ_S10_SG_SL_EUlSZ_E_NS1_11comp_targetILNS1_3genE0ELNS1_11target_archE4294967295ELNS1_3gpuE0ELNS1_3repE0EEENS1_47radix_sort_onesweep_sort_config_static_selectorELNS0_4arch9wavefront6targetE0EEEvSG_.has_recursion, 0
	.set _ZN7rocprim17ROCPRIM_400000_NS6detail17trampoline_kernelINS0_14default_configENS1_35radix_sort_onesweep_config_selectorIdNS0_10empty_typeEEEZZNS1_29radix_sort_onesweep_iterationIS3_Lb0EPKdPdPS5_SB_mNS0_19identity_decomposerENS1_16block_id_wrapperIjLb1EEEEE10hipError_tT1_PNSt15iterator_traitsISG_E10value_typeET2_T3_PNSH_ISM_E10value_typeET4_T5_PSR_SS_PNS1_23onesweep_lookback_stateEbbT6_jjT7_P12ihipStream_tbENKUlT_T0_SG_SL_E_clIS9_SA_SB_SB_EEDaSZ_S10_SG_SL_EUlSZ_E_NS1_11comp_targetILNS1_3genE0ELNS1_11target_archE4294967295ELNS1_3gpuE0ELNS1_3repE0EEENS1_47radix_sort_onesweep_sort_config_static_selectorELNS0_4arch9wavefront6targetE0EEEvSG_.has_indirect_call, 0
	.section	.AMDGPU.csdata,"",@progbits
; Kernel info:
; codeLenInByte = 12764
; TotalNumSgprs: 33
; NumVgprs: 57
; ScratchSize: 0
; MemoryBound: 0
; FloatMode: 240
; IeeeMode: 1
; LDSByteSize: 18504 bytes/workgroup (compile time only)
; SGPRBlocks: 0
; VGPRBlocks: 3
; NumSGPRsForWavesPerEU: 33
; NumVGPRsForWavesPerEU: 57
; NamedBarCnt: 0
; Occupancy: 16
; WaveLimiterHint : 1
; COMPUTE_PGM_RSRC2:SCRATCH_EN: 0
; COMPUTE_PGM_RSRC2:USER_SGPR: 2
; COMPUTE_PGM_RSRC2:TRAP_HANDLER: 0
; COMPUTE_PGM_RSRC2:TGID_X_EN: 1
; COMPUTE_PGM_RSRC2:TGID_Y_EN: 0
; COMPUTE_PGM_RSRC2:TGID_Z_EN: 0
; COMPUTE_PGM_RSRC2:TIDIG_COMP_CNT: 2
	.section	.text._ZN7rocprim17ROCPRIM_400000_NS6detail17trampoline_kernelINS0_14default_configENS1_35radix_sort_onesweep_config_selectorIdNS0_10empty_typeEEEZZNS1_29radix_sort_onesweep_iterationIS3_Lb0EPKdPdPS5_SB_mNS0_19identity_decomposerENS1_16block_id_wrapperIjLb1EEEEE10hipError_tT1_PNSt15iterator_traitsISG_E10value_typeET2_T3_PNSH_ISM_E10value_typeET4_T5_PSR_SS_PNS1_23onesweep_lookback_stateEbbT6_jjT7_P12ihipStream_tbENKUlT_T0_SG_SL_E_clIS9_SA_SB_SB_EEDaSZ_S10_SG_SL_EUlSZ_E_NS1_11comp_targetILNS1_3genE6ELNS1_11target_archE950ELNS1_3gpuE13ELNS1_3repE0EEENS1_47radix_sort_onesweep_sort_config_static_selectorELNS0_4arch9wavefront6targetE0EEEvSG_,"axG",@progbits,_ZN7rocprim17ROCPRIM_400000_NS6detail17trampoline_kernelINS0_14default_configENS1_35radix_sort_onesweep_config_selectorIdNS0_10empty_typeEEEZZNS1_29radix_sort_onesweep_iterationIS3_Lb0EPKdPdPS5_SB_mNS0_19identity_decomposerENS1_16block_id_wrapperIjLb1EEEEE10hipError_tT1_PNSt15iterator_traitsISG_E10value_typeET2_T3_PNSH_ISM_E10value_typeET4_T5_PSR_SS_PNS1_23onesweep_lookback_stateEbbT6_jjT7_P12ihipStream_tbENKUlT_T0_SG_SL_E_clIS9_SA_SB_SB_EEDaSZ_S10_SG_SL_EUlSZ_E_NS1_11comp_targetILNS1_3genE6ELNS1_11target_archE950ELNS1_3gpuE13ELNS1_3repE0EEENS1_47radix_sort_onesweep_sort_config_static_selectorELNS0_4arch9wavefront6targetE0EEEvSG_,comdat
	.protected	_ZN7rocprim17ROCPRIM_400000_NS6detail17trampoline_kernelINS0_14default_configENS1_35radix_sort_onesweep_config_selectorIdNS0_10empty_typeEEEZZNS1_29radix_sort_onesweep_iterationIS3_Lb0EPKdPdPS5_SB_mNS0_19identity_decomposerENS1_16block_id_wrapperIjLb1EEEEE10hipError_tT1_PNSt15iterator_traitsISG_E10value_typeET2_T3_PNSH_ISM_E10value_typeET4_T5_PSR_SS_PNS1_23onesweep_lookback_stateEbbT6_jjT7_P12ihipStream_tbENKUlT_T0_SG_SL_E_clIS9_SA_SB_SB_EEDaSZ_S10_SG_SL_EUlSZ_E_NS1_11comp_targetILNS1_3genE6ELNS1_11target_archE950ELNS1_3gpuE13ELNS1_3repE0EEENS1_47radix_sort_onesweep_sort_config_static_selectorELNS0_4arch9wavefront6targetE0EEEvSG_ ; -- Begin function _ZN7rocprim17ROCPRIM_400000_NS6detail17trampoline_kernelINS0_14default_configENS1_35radix_sort_onesweep_config_selectorIdNS0_10empty_typeEEEZZNS1_29radix_sort_onesweep_iterationIS3_Lb0EPKdPdPS5_SB_mNS0_19identity_decomposerENS1_16block_id_wrapperIjLb1EEEEE10hipError_tT1_PNSt15iterator_traitsISG_E10value_typeET2_T3_PNSH_ISM_E10value_typeET4_T5_PSR_SS_PNS1_23onesweep_lookback_stateEbbT6_jjT7_P12ihipStream_tbENKUlT_T0_SG_SL_E_clIS9_SA_SB_SB_EEDaSZ_S10_SG_SL_EUlSZ_E_NS1_11comp_targetILNS1_3genE6ELNS1_11target_archE950ELNS1_3gpuE13ELNS1_3repE0EEENS1_47radix_sort_onesweep_sort_config_static_selectorELNS0_4arch9wavefront6targetE0EEEvSG_
	.globl	_ZN7rocprim17ROCPRIM_400000_NS6detail17trampoline_kernelINS0_14default_configENS1_35radix_sort_onesweep_config_selectorIdNS0_10empty_typeEEEZZNS1_29radix_sort_onesweep_iterationIS3_Lb0EPKdPdPS5_SB_mNS0_19identity_decomposerENS1_16block_id_wrapperIjLb1EEEEE10hipError_tT1_PNSt15iterator_traitsISG_E10value_typeET2_T3_PNSH_ISM_E10value_typeET4_T5_PSR_SS_PNS1_23onesweep_lookback_stateEbbT6_jjT7_P12ihipStream_tbENKUlT_T0_SG_SL_E_clIS9_SA_SB_SB_EEDaSZ_S10_SG_SL_EUlSZ_E_NS1_11comp_targetILNS1_3genE6ELNS1_11target_archE950ELNS1_3gpuE13ELNS1_3repE0EEENS1_47radix_sort_onesweep_sort_config_static_selectorELNS0_4arch9wavefront6targetE0EEEvSG_
	.p2align	8
	.type	_ZN7rocprim17ROCPRIM_400000_NS6detail17trampoline_kernelINS0_14default_configENS1_35radix_sort_onesweep_config_selectorIdNS0_10empty_typeEEEZZNS1_29radix_sort_onesweep_iterationIS3_Lb0EPKdPdPS5_SB_mNS0_19identity_decomposerENS1_16block_id_wrapperIjLb1EEEEE10hipError_tT1_PNSt15iterator_traitsISG_E10value_typeET2_T3_PNSH_ISM_E10value_typeET4_T5_PSR_SS_PNS1_23onesweep_lookback_stateEbbT6_jjT7_P12ihipStream_tbENKUlT_T0_SG_SL_E_clIS9_SA_SB_SB_EEDaSZ_S10_SG_SL_EUlSZ_E_NS1_11comp_targetILNS1_3genE6ELNS1_11target_archE950ELNS1_3gpuE13ELNS1_3repE0EEENS1_47radix_sort_onesweep_sort_config_static_selectorELNS0_4arch9wavefront6targetE0EEEvSG_,@function
_ZN7rocprim17ROCPRIM_400000_NS6detail17trampoline_kernelINS0_14default_configENS1_35radix_sort_onesweep_config_selectorIdNS0_10empty_typeEEEZZNS1_29radix_sort_onesweep_iterationIS3_Lb0EPKdPdPS5_SB_mNS0_19identity_decomposerENS1_16block_id_wrapperIjLb1EEEEE10hipError_tT1_PNSt15iterator_traitsISG_E10value_typeET2_T3_PNSH_ISM_E10value_typeET4_T5_PSR_SS_PNS1_23onesweep_lookback_stateEbbT6_jjT7_P12ihipStream_tbENKUlT_T0_SG_SL_E_clIS9_SA_SB_SB_EEDaSZ_S10_SG_SL_EUlSZ_E_NS1_11comp_targetILNS1_3genE6ELNS1_11target_archE950ELNS1_3gpuE13ELNS1_3repE0EEENS1_47radix_sort_onesweep_sort_config_static_selectorELNS0_4arch9wavefront6targetE0EEEvSG_: ; @_ZN7rocprim17ROCPRIM_400000_NS6detail17trampoline_kernelINS0_14default_configENS1_35radix_sort_onesweep_config_selectorIdNS0_10empty_typeEEEZZNS1_29radix_sort_onesweep_iterationIS3_Lb0EPKdPdPS5_SB_mNS0_19identity_decomposerENS1_16block_id_wrapperIjLb1EEEEE10hipError_tT1_PNSt15iterator_traitsISG_E10value_typeET2_T3_PNSH_ISM_E10value_typeET4_T5_PSR_SS_PNS1_23onesweep_lookback_stateEbbT6_jjT7_P12ihipStream_tbENKUlT_T0_SG_SL_E_clIS9_SA_SB_SB_EEDaSZ_S10_SG_SL_EUlSZ_E_NS1_11comp_targetILNS1_3genE6ELNS1_11target_archE950ELNS1_3gpuE13ELNS1_3repE0EEENS1_47radix_sort_onesweep_sort_config_static_selectorELNS0_4arch9wavefront6targetE0EEEvSG_
; %bb.0:
	.section	.rodata,"a",@progbits
	.p2align	6, 0x0
	.amdhsa_kernel _ZN7rocprim17ROCPRIM_400000_NS6detail17trampoline_kernelINS0_14default_configENS1_35radix_sort_onesweep_config_selectorIdNS0_10empty_typeEEEZZNS1_29radix_sort_onesweep_iterationIS3_Lb0EPKdPdPS5_SB_mNS0_19identity_decomposerENS1_16block_id_wrapperIjLb1EEEEE10hipError_tT1_PNSt15iterator_traitsISG_E10value_typeET2_T3_PNSH_ISM_E10value_typeET4_T5_PSR_SS_PNS1_23onesweep_lookback_stateEbbT6_jjT7_P12ihipStream_tbENKUlT_T0_SG_SL_E_clIS9_SA_SB_SB_EEDaSZ_S10_SG_SL_EUlSZ_E_NS1_11comp_targetILNS1_3genE6ELNS1_11target_archE950ELNS1_3gpuE13ELNS1_3repE0EEENS1_47radix_sort_onesweep_sort_config_static_selectorELNS0_4arch9wavefront6targetE0EEEvSG_
		.amdhsa_group_segment_fixed_size 0
		.amdhsa_private_segment_fixed_size 0
		.amdhsa_kernarg_size 88
		.amdhsa_user_sgpr_count 2
		.amdhsa_user_sgpr_dispatch_ptr 0
		.amdhsa_user_sgpr_queue_ptr 0
		.amdhsa_user_sgpr_kernarg_segment_ptr 1
		.amdhsa_user_sgpr_dispatch_id 0
		.amdhsa_user_sgpr_kernarg_preload_length 0
		.amdhsa_user_sgpr_kernarg_preload_offset 0
		.amdhsa_user_sgpr_private_segment_size 0
		.amdhsa_wavefront_size32 1
		.amdhsa_uses_dynamic_stack 0
		.amdhsa_enable_private_segment 0
		.amdhsa_system_sgpr_workgroup_id_x 1
		.amdhsa_system_sgpr_workgroup_id_y 0
		.amdhsa_system_sgpr_workgroup_id_z 0
		.amdhsa_system_sgpr_workgroup_info 0
		.amdhsa_system_vgpr_workitem_id 0
		.amdhsa_next_free_vgpr 1
		.amdhsa_next_free_sgpr 1
		.amdhsa_named_barrier_count 0
		.amdhsa_reserve_vcc 0
		.amdhsa_float_round_mode_32 0
		.amdhsa_float_round_mode_16_64 0
		.amdhsa_float_denorm_mode_32 3
		.amdhsa_float_denorm_mode_16_64 3
		.amdhsa_fp16_overflow 0
		.amdhsa_memory_ordered 1
		.amdhsa_forward_progress 1
		.amdhsa_inst_pref_size 0
		.amdhsa_round_robin_scheduling 0
		.amdhsa_exception_fp_ieee_invalid_op 0
		.amdhsa_exception_fp_denorm_src 0
		.amdhsa_exception_fp_ieee_div_zero 0
		.amdhsa_exception_fp_ieee_overflow 0
		.amdhsa_exception_fp_ieee_underflow 0
		.amdhsa_exception_fp_ieee_inexact 0
		.amdhsa_exception_int_div_zero 0
	.end_amdhsa_kernel
	.section	.text._ZN7rocprim17ROCPRIM_400000_NS6detail17trampoline_kernelINS0_14default_configENS1_35radix_sort_onesweep_config_selectorIdNS0_10empty_typeEEEZZNS1_29radix_sort_onesweep_iterationIS3_Lb0EPKdPdPS5_SB_mNS0_19identity_decomposerENS1_16block_id_wrapperIjLb1EEEEE10hipError_tT1_PNSt15iterator_traitsISG_E10value_typeET2_T3_PNSH_ISM_E10value_typeET4_T5_PSR_SS_PNS1_23onesweep_lookback_stateEbbT6_jjT7_P12ihipStream_tbENKUlT_T0_SG_SL_E_clIS9_SA_SB_SB_EEDaSZ_S10_SG_SL_EUlSZ_E_NS1_11comp_targetILNS1_3genE6ELNS1_11target_archE950ELNS1_3gpuE13ELNS1_3repE0EEENS1_47radix_sort_onesweep_sort_config_static_selectorELNS0_4arch9wavefront6targetE0EEEvSG_,"axG",@progbits,_ZN7rocprim17ROCPRIM_400000_NS6detail17trampoline_kernelINS0_14default_configENS1_35radix_sort_onesweep_config_selectorIdNS0_10empty_typeEEEZZNS1_29radix_sort_onesweep_iterationIS3_Lb0EPKdPdPS5_SB_mNS0_19identity_decomposerENS1_16block_id_wrapperIjLb1EEEEE10hipError_tT1_PNSt15iterator_traitsISG_E10value_typeET2_T3_PNSH_ISM_E10value_typeET4_T5_PSR_SS_PNS1_23onesweep_lookback_stateEbbT6_jjT7_P12ihipStream_tbENKUlT_T0_SG_SL_E_clIS9_SA_SB_SB_EEDaSZ_S10_SG_SL_EUlSZ_E_NS1_11comp_targetILNS1_3genE6ELNS1_11target_archE950ELNS1_3gpuE13ELNS1_3repE0EEENS1_47radix_sort_onesweep_sort_config_static_selectorELNS0_4arch9wavefront6targetE0EEEvSG_,comdat
.Lfunc_end1606:
	.size	_ZN7rocprim17ROCPRIM_400000_NS6detail17trampoline_kernelINS0_14default_configENS1_35radix_sort_onesweep_config_selectorIdNS0_10empty_typeEEEZZNS1_29radix_sort_onesweep_iterationIS3_Lb0EPKdPdPS5_SB_mNS0_19identity_decomposerENS1_16block_id_wrapperIjLb1EEEEE10hipError_tT1_PNSt15iterator_traitsISG_E10value_typeET2_T3_PNSH_ISM_E10value_typeET4_T5_PSR_SS_PNS1_23onesweep_lookback_stateEbbT6_jjT7_P12ihipStream_tbENKUlT_T0_SG_SL_E_clIS9_SA_SB_SB_EEDaSZ_S10_SG_SL_EUlSZ_E_NS1_11comp_targetILNS1_3genE6ELNS1_11target_archE950ELNS1_3gpuE13ELNS1_3repE0EEENS1_47radix_sort_onesweep_sort_config_static_selectorELNS0_4arch9wavefront6targetE0EEEvSG_, .Lfunc_end1606-_ZN7rocprim17ROCPRIM_400000_NS6detail17trampoline_kernelINS0_14default_configENS1_35radix_sort_onesweep_config_selectorIdNS0_10empty_typeEEEZZNS1_29radix_sort_onesweep_iterationIS3_Lb0EPKdPdPS5_SB_mNS0_19identity_decomposerENS1_16block_id_wrapperIjLb1EEEEE10hipError_tT1_PNSt15iterator_traitsISG_E10value_typeET2_T3_PNSH_ISM_E10value_typeET4_T5_PSR_SS_PNS1_23onesweep_lookback_stateEbbT6_jjT7_P12ihipStream_tbENKUlT_T0_SG_SL_E_clIS9_SA_SB_SB_EEDaSZ_S10_SG_SL_EUlSZ_E_NS1_11comp_targetILNS1_3genE6ELNS1_11target_archE950ELNS1_3gpuE13ELNS1_3repE0EEENS1_47radix_sort_onesweep_sort_config_static_selectorELNS0_4arch9wavefront6targetE0EEEvSG_
                                        ; -- End function
	.set _ZN7rocprim17ROCPRIM_400000_NS6detail17trampoline_kernelINS0_14default_configENS1_35radix_sort_onesweep_config_selectorIdNS0_10empty_typeEEEZZNS1_29radix_sort_onesweep_iterationIS3_Lb0EPKdPdPS5_SB_mNS0_19identity_decomposerENS1_16block_id_wrapperIjLb1EEEEE10hipError_tT1_PNSt15iterator_traitsISG_E10value_typeET2_T3_PNSH_ISM_E10value_typeET4_T5_PSR_SS_PNS1_23onesweep_lookback_stateEbbT6_jjT7_P12ihipStream_tbENKUlT_T0_SG_SL_E_clIS9_SA_SB_SB_EEDaSZ_S10_SG_SL_EUlSZ_E_NS1_11comp_targetILNS1_3genE6ELNS1_11target_archE950ELNS1_3gpuE13ELNS1_3repE0EEENS1_47radix_sort_onesweep_sort_config_static_selectorELNS0_4arch9wavefront6targetE0EEEvSG_.num_vgpr, 0
	.set _ZN7rocprim17ROCPRIM_400000_NS6detail17trampoline_kernelINS0_14default_configENS1_35radix_sort_onesweep_config_selectorIdNS0_10empty_typeEEEZZNS1_29radix_sort_onesweep_iterationIS3_Lb0EPKdPdPS5_SB_mNS0_19identity_decomposerENS1_16block_id_wrapperIjLb1EEEEE10hipError_tT1_PNSt15iterator_traitsISG_E10value_typeET2_T3_PNSH_ISM_E10value_typeET4_T5_PSR_SS_PNS1_23onesweep_lookback_stateEbbT6_jjT7_P12ihipStream_tbENKUlT_T0_SG_SL_E_clIS9_SA_SB_SB_EEDaSZ_S10_SG_SL_EUlSZ_E_NS1_11comp_targetILNS1_3genE6ELNS1_11target_archE950ELNS1_3gpuE13ELNS1_3repE0EEENS1_47radix_sort_onesweep_sort_config_static_selectorELNS0_4arch9wavefront6targetE0EEEvSG_.num_agpr, 0
	.set _ZN7rocprim17ROCPRIM_400000_NS6detail17trampoline_kernelINS0_14default_configENS1_35radix_sort_onesweep_config_selectorIdNS0_10empty_typeEEEZZNS1_29radix_sort_onesweep_iterationIS3_Lb0EPKdPdPS5_SB_mNS0_19identity_decomposerENS1_16block_id_wrapperIjLb1EEEEE10hipError_tT1_PNSt15iterator_traitsISG_E10value_typeET2_T3_PNSH_ISM_E10value_typeET4_T5_PSR_SS_PNS1_23onesweep_lookback_stateEbbT6_jjT7_P12ihipStream_tbENKUlT_T0_SG_SL_E_clIS9_SA_SB_SB_EEDaSZ_S10_SG_SL_EUlSZ_E_NS1_11comp_targetILNS1_3genE6ELNS1_11target_archE950ELNS1_3gpuE13ELNS1_3repE0EEENS1_47radix_sort_onesweep_sort_config_static_selectorELNS0_4arch9wavefront6targetE0EEEvSG_.numbered_sgpr, 0
	.set _ZN7rocprim17ROCPRIM_400000_NS6detail17trampoline_kernelINS0_14default_configENS1_35radix_sort_onesweep_config_selectorIdNS0_10empty_typeEEEZZNS1_29radix_sort_onesweep_iterationIS3_Lb0EPKdPdPS5_SB_mNS0_19identity_decomposerENS1_16block_id_wrapperIjLb1EEEEE10hipError_tT1_PNSt15iterator_traitsISG_E10value_typeET2_T3_PNSH_ISM_E10value_typeET4_T5_PSR_SS_PNS1_23onesweep_lookback_stateEbbT6_jjT7_P12ihipStream_tbENKUlT_T0_SG_SL_E_clIS9_SA_SB_SB_EEDaSZ_S10_SG_SL_EUlSZ_E_NS1_11comp_targetILNS1_3genE6ELNS1_11target_archE950ELNS1_3gpuE13ELNS1_3repE0EEENS1_47radix_sort_onesweep_sort_config_static_selectorELNS0_4arch9wavefront6targetE0EEEvSG_.num_named_barrier, 0
	.set _ZN7rocprim17ROCPRIM_400000_NS6detail17trampoline_kernelINS0_14default_configENS1_35radix_sort_onesweep_config_selectorIdNS0_10empty_typeEEEZZNS1_29radix_sort_onesweep_iterationIS3_Lb0EPKdPdPS5_SB_mNS0_19identity_decomposerENS1_16block_id_wrapperIjLb1EEEEE10hipError_tT1_PNSt15iterator_traitsISG_E10value_typeET2_T3_PNSH_ISM_E10value_typeET4_T5_PSR_SS_PNS1_23onesweep_lookback_stateEbbT6_jjT7_P12ihipStream_tbENKUlT_T0_SG_SL_E_clIS9_SA_SB_SB_EEDaSZ_S10_SG_SL_EUlSZ_E_NS1_11comp_targetILNS1_3genE6ELNS1_11target_archE950ELNS1_3gpuE13ELNS1_3repE0EEENS1_47radix_sort_onesweep_sort_config_static_selectorELNS0_4arch9wavefront6targetE0EEEvSG_.private_seg_size, 0
	.set _ZN7rocprim17ROCPRIM_400000_NS6detail17trampoline_kernelINS0_14default_configENS1_35radix_sort_onesweep_config_selectorIdNS0_10empty_typeEEEZZNS1_29radix_sort_onesweep_iterationIS3_Lb0EPKdPdPS5_SB_mNS0_19identity_decomposerENS1_16block_id_wrapperIjLb1EEEEE10hipError_tT1_PNSt15iterator_traitsISG_E10value_typeET2_T3_PNSH_ISM_E10value_typeET4_T5_PSR_SS_PNS1_23onesweep_lookback_stateEbbT6_jjT7_P12ihipStream_tbENKUlT_T0_SG_SL_E_clIS9_SA_SB_SB_EEDaSZ_S10_SG_SL_EUlSZ_E_NS1_11comp_targetILNS1_3genE6ELNS1_11target_archE950ELNS1_3gpuE13ELNS1_3repE0EEENS1_47radix_sort_onesweep_sort_config_static_selectorELNS0_4arch9wavefront6targetE0EEEvSG_.uses_vcc, 0
	.set _ZN7rocprim17ROCPRIM_400000_NS6detail17trampoline_kernelINS0_14default_configENS1_35radix_sort_onesweep_config_selectorIdNS0_10empty_typeEEEZZNS1_29radix_sort_onesweep_iterationIS3_Lb0EPKdPdPS5_SB_mNS0_19identity_decomposerENS1_16block_id_wrapperIjLb1EEEEE10hipError_tT1_PNSt15iterator_traitsISG_E10value_typeET2_T3_PNSH_ISM_E10value_typeET4_T5_PSR_SS_PNS1_23onesweep_lookback_stateEbbT6_jjT7_P12ihipStream_tbENKUlT_T0_SG_SL_E_clIS9_SA_SB_SB_EEDaSZ_S10_SG_SL_EUlSZ_E_NS1_11comp_targetILNS1_3genE6ELNS1_11target_archE950ELNS1_3gpuE13ELNS1_3repE0EEENS1_47radix_sort_onesweep_sort_config_static_selectorELNS0_4arch9wavefront6targetE0EEEvSG_.uses_flat_scratch, 0
	.set _ZN7rocprim17ROCPRIM_400000_NS6detail17trampoline_kernelINS0_14default_configENS1_35radix_sort_onesweep_config_selectorIdNS0_10empty_typeEEEZZNS1_29radix_sort_onesweep_iterationIS3_Lb0EPKdPdPS5_SB_mNS0_19identity_decomposerENS1_16block_id_wrapperIjLb1EEEEE10hipError_tT1_PNSt15iterator_traitsISG_E10value_typeET2_T3_PNSH_ISM_E10value_typeET4_T5_PSR_SS_PNS1_23onesweep_lookback_stateEbbT6_jjT7_P12ihipStream_tbENKUlT_T0_SG_SL_E_clIS9_SA_SB_SB_EEDaSZ_S10_SG_SL_EUlSZ_E_NS1_11comp_targetILNS1_3genE6ELNS1_11target_archE950ELNS1_3gpuE13ELNS1_3repE0EEENS1_47radix_sort_onesweep_sort_config_static_selectorELNS0_4arch9wavefront6targetE0EEEvSG_.has_dyn_sized_stack, 0
	.set _ZN7rocprim17ROCPRIM_400000_NS6detail17trampoline_kernelINS0_14default_configENS1_35radix_sort_onesweep_config_selectorIdNS0_10empty_typeEEEZZNS1_29radix_sort_onesweep_iterationIS3_Lb0EPKdPdPS5_SB_mNS0_19identity_decomposerENS1_16block_id_wrapperIjLb1EEEEE10hipError_tT1_PNSt15iterator_traitsISG_E10value_typeET2_T3_PNSH_ISM_E10value_typeET4_T5_PSR_SS_PNS1_23onesweep_lookback_stateEbbT6_jjT7_P12ihipStream_tbENKUlT_T0_SG_SL_E_clIS9_SA_SB_SB_EEDaSZ_S10_SG_SL_EUlSZ_E_NS1_11comp_targetILNS1_3genE6ELNS1_11target_archE950ELNS1_3gpuE13ELNS1_3repE0EEENS1_47radix_sort_onesweep_sort_config_static_selectorELNS0_4arch9wavefront6targetE0EEEvSG_.has_recursion, 0
	.set _ZN7rocprim17ROCPRIM_400000_NS6detail17trampoline_kernelINS0_14default_configENS1_35radix_sort_onesweep_config_selectorIdNS0_10empty_typeEEEZZNS1_29radix_sort_onesweep_iterationIS3_Lb0EPKdPdPS5_SB_mNS0_19identity_decomposerENS1_16block_id_wrapperIjLb1EEEEE10hipError_tT1_PNSt15iterator_traitsISG_E10value_typeET2_T3_PNSH_ISM_E10value_typeET4_T5_PSR_SS_PNS1_23onesweep_lookback_stateEbbT6_jjT7_P12ihipStream_tbENKUlT_T0_SG_SL_E_clIS9_SA_SB_SB_EEDaSZ_S10_SG_SL_EUlSZ_E_NS1_11comp_targetILNS1_3genE6ELNS1_11target_archE950ELNS1_3gpuE13ELNS1_3repE0EEENS1_47radix_sort_onesweep_sort_config_static_selectorELNS0_4arch9wavefront6targetE0EEEvSG_.has_indirect_call, 0
	.section	.AMDGPU.csdata,"",@progbits
; Kernel info:
; codeLenInByte = 0
; TotalNumSgprs: 0
; NumVgprs: 0
; ScratchSize: 0
; MemoryBound: 0
; FloatMode: 240
; IeeeMode: 1
; LDSByteSize: 0 bytes/workgroup (compile time only)
; SGPRBlocks: 0
; VGPRBlocks: 0
; NumSGPRsForWavesPerEU: 1
; NumVGPRsForWavesPerEU: 1
; NamedBarCnt: 0
; Occupancy: 16
; WaveLimiterHint : 0
; COMPUTE_PGM_RSRC2:SCRATCH_EN: 0
; COMPUTE_PGM_RSRC2:USER_SGPR: 2
; COMPUTE_PGM_RSRC2:TRAP_HANDLER: 0
; COMPUTE_PGM_RSRC2:TGID_X_EN: 1
; COMPUTE_PGM_RSRC2:TGID_Y_EN: 0
; COMPUTE_PGM_RSRC2:TGID_Z_EN: 0
; COMPUTE_PGM_RSRC2:TIDIG_COMP_CNT: 0
	.section	.text._ZN7rocprim17ROCPRIM_400000_NS6detail17trampoline_kernelINS0_14default_configENS1_35radix_sort_onesweep_config_selectorIdNS0_10empty_typeEEEZZNS1_29radix_sort_onesweep_iterationIS3_Lb0EPKdPdPS5_SB_mNS0_19identity_decomposerENS1_16block_id_wrapperIjLb1EEEEE10hipError_tT1_PNSt15iterator_traitsISG_E10value_typeET2_T3_PNSH_ISM_E10value_typeET4_T5_PSR_SS_PNS1_23onesweep_lookback_stateEbbT6_jjT7_P12ihipStream_tbENKUlT_T0_SG_SL_E_clIS9_SA_SB_SB_EEDaSZ_S10_SG_SL_EUlSZ_E_NS1_11comp_targetILNS1_3genE5ELNS1_11target_archE942ELNS1_3gpuE9ELNS1_3repE0EEENS1_47radix_sort_onesweep_sort_config_static_selectorELNS0_4arch9wavefront6targetE0EEEvSG_,"axG",@progbits,_ZN7rocprim17ROCPRIM_400000_NS6detail17trampoline_kernelINS0_14default_configENS1_35radix_sort_onesweep_config_selectorIdNS0_10empty_typeEEEZZNS1_29radix_sort_onesweep_iterationIS3_Lb0EPKdPdPS5_SB_mNS0_19identity_decomposerENS1_16block_id_wrapperIjLb1EEEEE10hipError_tT1_PNSt15iterator_traitsISG_E10value_typeET2_T3_PNSH_ISM_E10value_typeET4_T5_PSR_SS_PNS1_23onesweep_lookback_stateEbbT6_jjT7_P12ihipStream_tbENKUlT_T0_SG_SL_E_clIS9_SA_SB_SB_EEDaSZ_S10_SG_SL_EUlSZ_E_NS1_11comp_targetILNS1_3genE5ELNS1_11target_archE942ELNS1_3gpuE9ELNS1_3repE0EEENS1_47radix_sort_onesweep_sort_config_static_selectorELNS0_4arch9wavefront6targetE0EEEvSG_,comdat
	.protected	_ZN7rocprim17ROCPRIM_400000_NS6detail17trampoline_kernelINS0_14default_configENS1_35radix_sort_onesweep_config_selectorIdNS0_10empty_typeEEEZZNS1_29radix_sort_onesweep_iterationIS3_Lb0EPKdPdPS5_SB_mNS0_19identity_decomposerENS1_16block_id_wrapperIjLb1EEEEE10hipError_tT1_PNSt15iterator_traitsISG_E10value_typeET2_T3_PNSH_ISM_E10value_typeET4_T5_PSR_SS_PNS1_23onesweep_lookback_stateEbbT6_jjT7_P12ihipStream_tbENKUlT_T0_SG_SL_E_clIS9_SA_SB_SB_EEDaSZ_S10_SG_SL_EUlSZ_E_NS1_11comp_targetILNS1_3genE5ELNS1_11target_archE942ELNS1_3gpuE9ELNS1_3repE0EEENS1_47radix_sort_onesweep_sort_config_static_selectorELNS0_4arch9wavefront6targetE0EEEvSG_ ; -- Begin function _ZN7rocprim17ROCPRIM_400000_NS6detail17trampoline_kernelINS0_14default_configENS1_35radix_sort_onesweep_config_selectorIdNS0_10empty_typeEEEZZNS1_29radix_sort_onesweep_iterationIS3_Lb0EPKdPdPS5_SB_mNS0_19identity_decomposerENS1_16block_id_wrapperIjLb1EEEEE10hipError_tT1_PNSt15iterator_traitsISG_E10value_typeET2_T3_PNSH_ISM_E10value_typeET4_T5_PSR_SS_PNS1_23onesweep_lookback_stateEbbT6_jjT7_P12ihipStream_tbENKUlT_T0_SG_SL_E_clIS9_SA_SB_SB_EEDaSZ_S10_SG_SL_EUlSZ_E_NS1_11comp_targetILNS1_3genE5ELNS1_11target_archE942ELNS1_3gpuE9ELNS1_3repE0EEENS1_47radix_sort_onesweep_sort_config_static_selectorELNS0_4arch9wavefront6targetE0EEEvSG_
	.globl	_ZN7rocprim17ROCPRIM_400000_NS6detail17trampoline_kernelINS0_14default_configENS1_35radix_sort_onesweep_config_selectorIdNS0_10empty_typeEEEZZNS1_29radix_sort_onesweep_iterationIS3_Lb0EPKdPdPS5_SB_mNS0_19identity_decomposerENS1_16block_id_wrapperIjLb1EEEEE10hipError_tT1_PNSt15iterator_traitsISG_E10value_typeET2_T3_PNSH_ISM_E10value_typeET4_T5_PSR_SS_PNS1_23onesweep_lookback_stateEbbT6_jjT7_P12ihipStream_tbENKUlT_T0_SG_SL_E_clIS9_SA_SB_SB_EEDaSZ_S10_SG_SL_EUlSZ_E_NS1_11comp_targetILNS1_3genE5ELNS1_11target_archE942ELNS1_3gpuE9ELNS1_3repE0EEENS1_47radix_sort_onesweep_sort_config_static_selectorELNS0_4arch9wavefront6targetE0EEEvSG_
	.p2align	8
	.type	_ZN7rocprim17ROCPRIM_400000_NS6detail17trampoline_kernelINS0_14default_configENS1_35radix_sort_onesweep_config_selectorIdNS0_10empty_typeEEEZZNS1_29radix_sort_onesweep_iterationIS3_Lb0EPKdPdPS5_SB_mNS0_19identity_decomposerENS1_16block_id_wrapperIjLb1EEEEE10hipError_tT1_PNSt15iterator_traitsISG_E10value_typeET2_T3_PNSH_ISM_E10value_typeET4_T5_PSR_SS_PNS1_23onesweep_lookback_stateEbbT6_jjT7_P12ihipStream_tbENKUlT_T0_SG_SL_E_clIS9_SA_SB_SB_EEDaSZ_S10_SG_SL_EUlSZ_E_NS1_11comp_targetILNS1_3genE5ELNS1_11target_archE942ELNS1_3gpuE9ELNS1_3repE0EEENS1_47radix_sort_onesweep_sort_config_static_selectorELNS0_4arch9wavefront6targetE0EEEvSG_,@function
_ZN7rocprim17ROCPRIM_400000_NS6detail17trampoline_kernelINS0_14default_configENS1_35radix_sort_onesweep_config_selectorIdNS0_10empty_typeEEEZZNS1_29radix_sort_onesweep_iterationIS3_Lb0EPKdPdPS5_SB_mNS0_19identity_decomposerENS1_16block_id_wrapperIjLb1EEEEE10hipError_tT1_PNSt15iterator_traitsISG_E10value_typeET2_T3_PNSH_ISM_E10value_typeET4_T5_PSR_SS_PNS1_23onesweep_lookback_stateEbbT6_jjT7_P12ihipStream_tbENKUlT_T0_SG_SL_E_clIS9_SA_SB_SB_EEDaSZ_S10_SG_SL_EUlSZ_E_NS1_11comp_targetILNS1_3genE5ELNS1_11target_archE942ELNS1_3gpuE9ELNS1_3repE0EEENS1_47radix_sort_onesweep_sort_config_static_selectorELNS0_4arch9wavefront6targetE0EEEvSG_: ; @_ZN7rocprim17ROCPRIM_400000_NS6detail17trampoline_kernelINS0_14default_configENS1_35radix_sort_onesweep_config_selectorIdNS0_10empty_typeEEEZZNS1_29radix_sort_onesweep_iterationIS3_Lb0EPKdPdPS5_SB_mNS0_19identity_decomposerENS1_16block_id_wrapperIjLb1EEEEE10hipError_tT1_PNSt15iterator_traitsISG_E10value_typeET2_T3_PNSH_ISM_E10value_typeET4_T5_PSR_SS_PNS1_23onesweep_lookback_stateEbbT6_jjT7_P12ihipStream_tbENKUlT_T0_SG_SL_E_clIS9_SA_SB_SB_EEDaSZ_S10_SG_SL_EUlSZ_E_NS1_11comp_targetILNS1_3genE5ELNS1_11target_archE942ELNS1_3gpuE9ELNS1_3repE0EEENS1_47radix_sort_onesweep_sort_config_static_selectorELNS0_4arch9wavefront6targetE0EEEvSG_
; %bb.0:
	.section	.rodata,"a",@progbits
	.p2align	6, 0x0
	.amdhsa_kernel _ZN7rocprim17ROCPRIM_400000_NS6detail17trampoline_kernelINS0_14default_configENS1_35radix_sort_onesweep_config_selectorIdNS0_10empty_typeEEEZZNS1_29radix_sort_onesweep_iterationIS3_Lb0EPKdPdPS5_SB_mNS0_19identity_decomposerENS1_16block_id_wrapperIjLb1EEEEE10hipError_tT1_PNSt15iterator_traitsISG_E10value_typeET2_T3_PNSH_ISM_E10value_typeET4_T5_PSR_SS_PNS1_23onesweep_lookback_stateEbbT6_jjT7_P12ihipStream_tbENKUlT_T0_SG_SL_E_clIS9_SA_SB_SB_EEDaSZ_S10_SG_SL_EUlSZ_E_NS1_11comp_targetILNS1_3genE5ELNS1_11target_archE942ELNS1_3gpuE9ELNS1_3repE0EEENS1_47radix_sort_onesweep_sort_config_static_selectorELNS0_4arch9wavefront6targetE0EEEvSG_
		.amdhsa_group_segment_fixed_size 0
		.amdhsa_private_segment_fixed_size 0
		.amdhsa_kernarg_size 88
		.amdhsa_user_sgpr_count 2
		.amdhsa_user_sgpr_dispatch_ptr 0
		.amdhsa_user_sgpr_queue_ptr 0
		.amdhsa_user_sgpr_kernarg_segment_ptr 1
		.amdhsa_user_sgpr_dispatch_id 0
		.amdhsa_user_sgpr_kernarg_preload_length 0
		.amdhsa_user_sgpr_kernarg_preload_offset 0
		.amdhsa_user_sgpr_private_segment_size 0
		.amdhsa_wavefront_size32 1
		.amdhsa_uses_dynamic_stack 0
		.amdhsa_enable_private_segment 0
		.amdhsa_system_sgpr_workgroup_id_x 1
		.amdhsa_system_sgpr_workgroup_id_y 0
		.amdhsa_system_sgpr_workgroup_id_z 0
		.amdhsa_system_sgpr_workgroup_info 0
		.amdhsa_system_vgpr_workitem_id 0
		.amdhsa_next_free_vgpr 1
		.amdhsa_next_free_sgpr 1
		.amdhsa_named_barrier_count 0
		.amdhsa_reserve_vcc 0
		.amdhsa_float_round_mode_32 0
		.amdhsa_float_round_mode_16_64 0
		.amdhsa_float_denorm_mode_32 3
		.amdhsa_float_denorm_mode_16_64 3
		.amdhsa_fp16_overflow 0
		.amdhsa_memory_ordered 1
		.amdhsa_forward_progress 1
		.amdhsa_inst_pref_size 0
		.amdhsa_round_robin_scheduling 0
		.amdhsa_exception_fp_ieee_invalid_op 0
		.amdhsa_exception_fp_denorm_src 0
		.amdhsa_exception_fp_ieee_div_zero 0
		.amdhsa_exception_fp_ieee_overflow 0
		.amdhsa_exception_fp_ieee_underflow 0
		.amdhsa_exception_fp_ieee_inexact 0
		.amdhsa_exception_int_div_zero 0
	.end_amdhsa_kernel
	.section	.text._ZN7rocprim17ROCPRIM_400000_NS6detail17trampoline_kernelINS0_14default_configENS1_35radix_sort_onesweep_config_selectorIdNS0_10empty_typeEEEZZNS1_29radix_sort_onesweep_iterationIS3_Lb0EPKdPdPS5_SB_mNS0_19identity_decomposerENS1_16block_id_wrapperIjLb1EEEEE10hipError_tT1_PNSt15iterator_traitsISG_E10value_typeET2_T3_PNSH_ISM_E10value_typeET4_T5_PSR_SS_PNS1_23onesweep_lookback_stateEbbT6_jjT7_P12ihipStream_tbENKUlT_T0_SG_SL_E_clIS9_SA_SB_SB_EEDaSZ_S10_SG_SL_EUlSZ_E_NS1_11comp_targetILNS1_3genE5ELNS1_11target_archE942ELNS1_3gpuE9ELNS1_3repE0EEENS1_47radix_sort_onesweep_sort_config_static_selectorELNS0_4arch9wavefront6targetE0EEEvSG_,"axG",@progbits,_ZN7rocprim17ROCPRIM_400000_NS6detail17trampoline_kernelINS0_14default_configENS1_35radix_sort_onesweep_config_selectorIdNS0_10empty_typeEEEZZNS1_29radix_sort_onesweep_iterationIS3_Lb0EPKdPdPS5_SB_mNS0_19identity_decomposerENS1_16block_id_wrapperIjLb1EEEEE10hipError_tT1_PNSt15iterator_traitsISG_E10value_typeET2_T3_PNSH_ISM_E10value_typeET4_T5_PSR_SS_PNS1_23onesweep_lookback_stateEbbT6_jjT7_P12ihipStream_tbENKUlT_T0_SG_SL_E_clIS9_SA_SB_SB_EEDaSZ_S10_SG_SL_EUlSZ_E_NS1_11comp_targetILNS1_3genE5ELNS1_11target_archE942ELNS1_3gpuE9ELNS1_3repE0EEENS1_47radix_sort_onesweep_sort_config_static_selectorELNS0_4arch9wavefront6targetE0EEEvSG_,comdat
.Lfunc_end1607:
	.size	_ZN7rocprim17ROCPRIM_400000_NS6detail17trampoline_kernelINS0_14default_configENS1_35radix_sort_onesweep_config_selectorIdNS0_10empty_typeEEEZZNS1_29radix_sort_onesweep_iterationIS3_Lb0EPKdPdPS5_SB_mNS0_19identity_decomposerENS1_16block_id_wrapperIjLb1EEEEE10hipError_tT1_PNSt15iterator_traitsISG_E10value_typeET2_T3_PNSH_ISM_E10value_typeET4_T5_PSR_SS_PNS1_23onesweep_lookback_stateEbbT6_jjT7_P12ihipStream_tbENKUlT_T0_SG_SL_E_clIS9_SA_SB_SB_EEDaSZ_S10_SG_SL_EUlSZ_E_NS1_11comp_targetILNS1_3genE5ELNS1_11target_archE942ELNS1_3gpuE9ELNS1_3repE0EEENS1_47radix_sort_onesweep_sort_config_static_selectorELNS0_4arch9wavefront6targetE0EEEvSG_, .Lfunc_end1607-_ZN7rocprim17ROCPRIM_400000_NS6detail17trampoline_kernelINS0_14default_configENS1_35radix_sort_onesweep_config_selectorIdNS0_10empty_typeEEEZZNS1_29radix_sort_onesweep_iterationIS3_Lb0EPKdPdPS5_SB_mNS0_19identity_decomposerENS1_16block_id_wrapperIjLb1EEEEE10hipError_tT1_PNSt15iterator_traitsISG_E10value_typeET2_T3_PNSH_ISM_E10value_typeET4_T5_PSR_SS_PNS1_23onesweep_lookback_stateEbbT6_jjT7_P12ihipStream_tbENKUlT_T0_SG_SL_E_clIS9_SA_SB_SB_EEDaSZ_S10_SG_SL_EUlSZ_E_NS1_11comp_targetILNS1_3genE5ELNS1_11target_archE942ELNS1_3gpuE9ELNS1_3repE0EEENS1_47radix_sort_onesweep_sort_config_static_selectorELNS0_4arch9wavefront6targetE0EEEvSG_
                                        ; -- End function
	.set _ZN7rocprim17ROCPRIM_400000_NS6detail17trampoline_kernelINS0_14default_configENS1_35radix_sort_onesweep_config_selectorIdNS0_10empty_typeEEEZZNS1_29radix_sort_onesweep_iterationIS3_Lb0EPKdPdPS5_SB_mNS0_19identity_decomposerENS1_16block_id_wrapperIjLb1EEEEE10hipError_tT1_PNSt15iterator_traitsISG_E10value_typeET2_T3_PNSH_ISM_E10value_typeET4_T5_PSR_SS_PNS1_23onesweep_lookback_stateEbbT6_jjT7_P12ihipStream_tbENKUlT_T0_SG_SL_E_clIS9_SA_SB_SB_EEDaSZ_S10_SG_SL_EUlSZ_E_NS1_11comp_targetILNS1_3genE5ELNS1_11target_archE942ELNS1_3gpuE9ELNS1_3repE0EEENS1_47radix_sort_onesweep_sort_config_static_selectorELNS0_4arch9wavefront6targetE0EEEvSG_.num_vgpr, 0
	.set _ZN7rocprim17ROCPRIM_400000_NS6detail17trampoline_kernelINS0_14default_configENS1_35radix_sort_onesweep_config_selectorIdNS0_10empty_typeEEEZZNS1_29radix_sort_onesweep_iterationIS3_Lb0EPKdPdPS5_SB_mNS0_19identity_decomposerENS1_16block_id_wrapperIjLb1EEEEE10hipError_tT1_PNSt15iterator_traitsISG_E10value_typeET2_T3_PNSH_ISM_E10value_typeET4_T5_PSR_SS_PNS1_23onesweep_lookback_stateEbbT6_jjT7_P12ihipStream_tbENKUlT_T0_SG_SL_E_clIS9_SA_SB_SB_EEDaSZ_S10_SG_SL_EUlSZ_E_NS1_11comp_targetILNS1_3genE5ELNS1_11target_archE942ELNS1_3gpuE9ELNS1_3repE0EEENS1_47radix_sort_onesweep_sort_config_static_selectorELNS0_4arch9wavefront6targetE0EEEvSG_.num_agpr, 0
	.set _ZN7rocprim17ROCPRIM_400000_NS6detail17trampoline_kernelINS0_14default_configENS1_35radix_sort_onesweep_config_selectorIdNS0_10empty_typeEEEZZNS1_29radix_sort_onesweep_iterationIS3_Lb0EPKdPdPS5_SB_mNS0_19identity_decomposerENS1_16block_id_wrapperIjLb1EEEEE10hipError_tT1_PNSt15iterator_traitsISG_E10value_typeET2_T3_PNSH_ISM_E10value_typeET4_T5_PSR_SS_PNS1_23onesweep_lookback_stateEbbT6_jjT7_P12ihipStream_tbENKUlT_T0_SG_SL_E_clIS9_SA_SB_SB_EEDaSZ_S10_SG_SL_EUlSZ_E_NS1_11comp_targetILNS1_3genE5ELNS1_11target_archE942ELNS1_3gpuE9ELNS1_3repE0EEENS1_47radix_sort_onesweep_sort_config_static_selectorELNS0_4arch9wavefront6targetE0EEEvSG_.numbered_sgpr, 0
	.set _ZN7rocprim17ROCPRIM_400000_NS6detail17trampoline_kernelINS0_14default_configENS1_35radix_sort_onesweep_config_selectorIdNS0_10empty_typeEEEZZNS1_29radix_sort_onesweep_iterationIS3_Lb0EPKdPdPS5_SB_mNS0_19identity_decomposerENS1_16block_id_wrapperIjLb1EEEEE10hipError_tT1_PNSt15iterator_traitsISG_E10value_typeET2_T3_PNSH_ISM_E10value_typeET4_T5_PSR_SS_PNS1_23onesweep_lookback_stateEbbT6_jjT7_P12ihipStream_tbENKUlT_T0_SG_SL_E_clIS9_SA_SB_SB_EEDaSZ_S10_SG_SL_EUlSZ_E_NS1_11comp_targetILNS1_3genE5ELNS1_11target_archE942ELNS1_3gpuE9ELNS1_3repE0EEENS1_47radix_sort_onesweep_sort_config_static_selectorELNS0_4arch9wavefront6targetE0EEEvSG_.num_named_barrier, 0
	.set _ZN7rocprim17ROCPRIM_400000_NS6detail17trampoline_kernelINS0_14default_configENS1_35radix_sort_onesweep_config_selectorIdNS0_10empty_typeEEEZZNS1_29radix_sort_onesweep_iterationIS3_Lb0EPKdPdPS5_SB_mNS0_19identity_decomposerENS1_16block_id_wrapperIjLb1EEEEE10hipError_tT1_PNSt15iterator_traitsISG_E10value_typeET2_T3_PNSH_ISM_E10value_typeET4_T5_PSR_SS_PNS1_23onesweep_lookback_stateEbbT6_jjT7_P12ihipStream_tbENKUlT_T0_SG_SL_E_clIS9_SA_SB_SB_EEDaSZ_S10_SG_SL_EUlSZ_E_NS1_11comp_targetILNS1_3genE5ELNS1_11target_archE942ELNS1_3gpuE9ELNS1_3repE0EEENS1_47radix_sort_onesweep_sort_config_static_selectorELNS0_4arch9wavefront6targetE0EEEvSG_.private_seg_size, 0
	.set _ZN7rocprim17ROCPRIM_400000_NS6detail17trampoline_kernelINS0_14default_configENS1_35radix_sort_onesweep_config_selectorIdNS0_10empty_typeEEEZZNS1_29radix_sort_onesweep_iterationIS3_Lb0EPKdPdPS5_SB_mNS0_19identity_decomposerENS1_16block_id_wrapperIjLb1EEEEE10hipError_tT1_PNSt15iterator_traitsISG_E10value_typeET2_T3_PNSH_ISM_E10value_typeET4_T5_PSR_SS_PNS1_23onesweep_lookback_stateEbbT6_jjT7_P12ihipStream_tbENKUlT_T0_SG_SL_E_clIS9_SA_SB_SB_EEDaSZ_S10_SG_SL_EUlSZ_E_NS1_11comp_targetILNS1_3genE5ELNS1_11target_archE942ELNS1_3gpuE9ELNS1_3repE0EEENS1_47radix_sort_onesweep_sort_config_static_selectorELNS0_4arch9wavefront6targetE0EEEvSG_.uses_vcc, 0
	.set _ZN7rocprim17ROCPRIM_400000_NS6detail17trampoline_kernelINS0_14default_configENS1_35radix_sort_onesweep_config_selectorIdNS0_10empty_typeEEEZZNS1_29radix_sort_onesweep_iterationIS3_Lb0EPKdPdPS5_SB_mNS0_19identity_decomposerENS1_16block_id_wrapperIjLb1EEEEE10hipError_tT1_PNSt15iterator_traitsISG_E10value_typeET2_T3_PNSH_ISM_E10value_typeET4_T5_PSR_SS_PNS1_23onesweep_lookback_stateEbbT6_jjT7_P12ihipStream_tbENKUlT_T0_SG_SL_E_clIS9_SA_SB_SB_EEDaSZ_S10_SG_SL_EUlSZ_E_NS1_11comp_targetILNS1_3genE5ELNS1_11target_archE942ELNS1_3gpuE9ELNS1_3repE0EEENS1_47radix_sort_onesweep_sort_config_static_selectorELNS0_4arch9wavefront6targetE0EEEvSG_.uses_flat_scratch, 0
	.set _ZN7rocprim17ROCPRIM_400000_NS6detail17trampoline_kernelINS0_14default_configENS1_35radix_sort_onesweep_config_selectorIdNS0_10empty_typeEEEZZNS1_29radix_sort_onesweep_iterationIS3_Lb0EPKdPdPS5_SB_mNS0_19identity_decomposerENS1_16block_id_wrapperIjLb1EEEEE10hipError_tT1_PNSt15iterator_traitsISG_E10value_typeET2_T3_PNSH_ISM_E10value_typeET4_T5_PSR_SS_PNS1_23onesweep_lookback_stateEbbT6_jjT7_P12ihipStream_tbENKUlT_T0_SG_SL_E_clIS9_SA_SB_SB_EEDaSZ_S10_SG_SL_EUlSZ_E_NS1_11comp_targetILNS1_3genE5ELNS1_11target_archE942ELNS1_3gpuE9ELNS1_3repE0EEENS1_47radix_sort_onesweep_sort_config_static_selectorELNS0_4arch9wavefront6targetE0EEEvSG_.has_dyn_sized_stack, 0
	.set _ZN7rocprim17ROCPRIM_400000_NS6detail17trampoline_kernelINS0_14default_configENS1_35radix_sort_onesweep_config_selectorIdNS0_10empty_typeEEEZZNS1_29radix_sort_onesweep_iterationIS3_Lb0EPKdPdPS5_SB_mNS0_19identity_decomposerENS1_16block_id_wrapperIjLb1EEEEE10hipError_tT1_PNSt15iterator_traitsISG_E10value_typeET2_T3_PNSH_ISM_E10value_typeET4_T5_PSR_SS_PNS1_23onesweep_lookback_stateEbbT6_jjT7_P12ihipStream_tbENKUlT_T0_SG_SL_E_clIS9_SA_SB_SB_EEDaSZ_S10_SG_SL_EUlSZ_E_NS1_11comp_targetILNS1_3genE5ELNS1_11target_archE942ELNS1_3gpuE9ELNS1_3repE0EEENS1_47radix_sort_onesweep_sort_config_static_selectorELNS0_4arch9wavefront6targetE0EEEvSG_.has_recursion, 0
	.set _ZN7rocprim17ROCPRIM_400000_NS6detail17trampoline_kernelINS0_14default_configENS1_35radix_sort_onesweep_config_selectorIdNS0_10empty_typeEEEZZNS1_29radix_sort_onesweep_iterationIS3_Lb0EPKdPdPS5_SB_mNS0_19identity_decomposerENS1_16block_id_wrapperIjLb1EEEEE10hipError_tT1_PNSt15iterator_traitsISG_E10value_typeET2_T3_PNSH_ISM_E10value_typeET4_T5_PSR_SS_PNS1_23onesweep_lookback_stateEbbT6_jjT7_P12ihipStream_tbENKUlT_T0_SG_SL_E_clIS9_SA_SB_SB_EEDaSZ_S10_SG_SL_EUlSZ_E_NS1_11comp_targetILNS1_3genE5ELNS1_11target_archE942ELNS1_3gpuE9ELNS1_3repE0EEENS1_47radix_sort_onesweep_sort_config_static_selectorELNS0_4arch9wavefront6targetE0EEEvSG_.has_indirect_call, 0
	.section	.AMDGPU.csdata,"",@progbits
; Kernel info:
; codeLenInByte = 0
; TotalNumSgprs: 0
; NumVgprs: 0
; ScratchSize: 0
; MemoryBound: 0
; FloatMode: 240
; IeeeMode: 1
; LDSByteSize: 0 bytes/workgroup (compile time only)
; SGPRBlocks: 0
; VGPRBlocks: 0
; NumSGPRsForWavesPerEU: 1
; NumVGPRsForWavesPerEU: 1
; NamedBarCnt: 0
; Occupancy: 16
; WaveLimiterHint : 0
; COMPUTE_PGM_RSRC2:SCRATCH_EN: 0
; COMPUTE_PGM_RSRC2:USER_SGPR: 2
; COMPUTE_PGM_RSRC2:TRAP_HANDLER: 0
; COMPUTE_PGM_RSRC2:TGID_X_EN: 1
; COMPUTE_PGM_RSRC2:TGID_Y_EN: 0
; COMPUTE_PGM_RSRC2:TGID_Z_EN: 0
; COMPUTE_PGM_RSRC2:TIDIG_COMP_CNT: 0
	.section	.text._ZN7rocprim17ROCPRIM_400000_NS6detail17trampoline_kernelINS0_14default_configENS1_35radix_sort_onesweep_config_selectorIdNS0_10empty_typeEEEZZNS1_29radix_sort_onesweep_iterationIS3_Lb0EPKdPdPS5_SB_mNS0_19identity_decomposerENS1_16block_id_wrapperIjLb1EEEEE10hipError_tT1_PNSt15iterator_traitsISG_E10value_typeET2_T3_PNSH_ISM_E10value_typeET4_T5_PSR_SS_PNS1_23onesweep_lookback_stateEbbT6_jjT7_P12ihipStream_tbENKUlT_T0_SG_SL_E_clIS9_SA_SB_SB_EEDaSZ_S10_SG_SL_EUlSZ_E_NS1_11comp_targetILNS1_3genE2ELNS1_11target_archE906ELNS1_3gpuE6ELNS1_3repE0EEENS1_47radix_sort_onesweep_sort_config_static_selectorELNS0_4arch9wavefront6targetE0EEEvSG_,"axG",@progbits,_ZN7rocprim17ROCPRIM_400000_NS6detail17trampoline_kernelINS0_14default_configENS1_35radix_sort_onesweep_config_selectorIdNS0_10empty_typeEEEZZNS1_29radix_sort_onesweep_iterationIS3_Lb0EPKdPdPS5_SB_mNS0_19identity_decomposerENS1_16block_id_wrapperIjLb1EEEEE10hipError_tT1_PNSt15iterator_traitsISG_E10value_typeET2_T3_PNSH_ISM_E10value_typeET4_T5_PSR_SS_PNS1_23onesweep_lookback_stateEbbT6_jjT7_P12ihipStream_tbENKUlT_T0_SG_SL_E_clIS9_SA_SB_SB_EEDaSZ_S10_SG_SL_EUlSZ_E_NS1_11comp_targetILNS1_3genE2ELNS1_11target_archE906ELNS1_3gpuE6ELNS1_3repE0EEENS1_47radix_sort_onesweep_sort_config_static_selectorELNS0_4arch9wavefront6targetE0EEEvSG_,comdat
	.protected	_ZN7rocprim17ROCPRIM_400000_NS6detail17trampoline_kernelINS0_14default_configENS1_35radix_sort_onesweep_config_selectorIdNS0_10empty_typeEEEZZNS1_29radix_sort_onesweep_iterationIS3_Lb0EPKdPdPS5_SB_mNS0_19identity_decomposerENS1_16block_id_wrapperIjLb1EEEEE10hipError_tT1_PNSt15iterator_traitsISG_E10value_typeET2_T3_PNSH_ISM_E10value_typeET4_T5_PSR_SS_PNS1_23onesweep_lookback_stateEbbT6_jjT7_P12ihipStream_tbENKUlT_T0_SG_SL_E_clIS9_SA_SB_SB_EEDaSZ_S10_SG_SL_EUlSZ_E_NS1_11comp_targetILNS1_3genE2ELNS1_11target_archE906ELNS1_3gpuE6ELNS1_3repE0EEENS1_47radix_sort_onesweep_sort_config_static_selectorELNS0_4arch9wavefront6targetE0EEEvSG_ ; -- Begin function _ZN7rocprim17ROCPRIM_400000_NS6detail17trampoline_kernelINS0_14default_configENS1_35radix_sort_onesweep_config_selectorIdNS0_10empty_typeEEEZZNS1_29radix_sort_onesweep_iterationIS3_Lb0EPKdPdPS5_SB_mNS0_19identity_decomposerENS1_16block_id_wrapperIjLb1EEEEE10hipError_tT1_PNSt15iterator_traitsISG_E10value_typeET2_T3_PNSH_ISM_E10value_typeET4_T5_PSR_SS_PNS1_23onesweep_lookback_stateEbbT6_jjT7_P12ihipStream_tbENKUlT_T0_SG_SL_E_clIS9_SA_SB_SB_EEDaSZ_S10_SG_SL_EUlSZ_E_NS1_11comp_targetILNS1_3genE2ELNS1_11target_archE906ELNS1_3gpuE6ELNS1_3repE0EEENS1_47radix_sort_onesweep_sort_config_static_selectorELNS0_4arch9wavefront6targetE0EEEvSG_
	.globl	_ZN7rocprim17ROCPRIM_400000_NS6detail17trampoline_kernelINS0_14default_configENS1_35radix_sort_onesweep_config_selectorIdNS0_10empty_typeEEEZZNS1_29radix_sort_onesweep_iterationIS3_Lb0EPKdPdPS5_SB_mNS0_19identity_decomposerENS1_16block_id_wrapperIjLb1EEEEE10hipError_tT1_PNSt15iterator_traitsISG_E10value_typeET2_T3_PNSH_ISM_E10value_typeET4_T5_PSR_SS_PNS1_23onesweep_lookback_stateEbbT6_jjT7_P12ihipStream_tbENKUlT_T0_SG_SL_E_clIS9_SA_SB_SB_EEDaSZ_S10_SG_SL_EUlSZ_E_NS1_11comp_targetILNS1_3genE2ELNS1_11target_archE906ELNS1_3gpuE6ELNS1_3repE0EEENS1_47radix_sort_onesweep_sort_config_static_selectorELNS0_4arch9wavefront6targetE0EEEvSG_
	.p2align	8
	.type	_ZN7rocprim17ROCPRIM_400000_NS6detail17trampoline_kernelINS0_14default_configENS1_35radix_sort_onesweep_config_selectorIdNS0_10empty_typeEEEZZNS1_29radix_sort_onesweep_iterationIS3_Lb0EPKdPdPS5_SB_mNS0_19identity_decomposerENS1_16block_id_wrapperIjLb1EEEEE10hipError_tT1_PNSt15iterator_traitsISG_E10value_typeET2_T3_PNSH_ISM_E10value_typeET4_T5_PSR_SS_PNS1_23onesweep_lookback_stateEbbT6_jjT7_P12ihipStream_tbENKUlT_T0_SG_SL_E_clIS9_SA_SB_SB_EEDaSZ_S10_SG_SL_EUlSZ_E_NS1_11comp_targetILNS1_3genE2ELNS1_11target_archE906ELNS1_3gpuE6ELNS1_3repE0EEENS1_47radix_sort_onesweep_sort_config_static_selectorELNS0_4arch9wavefront6targetE0EEEvSG_,@function
_ZN7rocprim17ROCPRIM_400000_NS6detail17trampoline_kernelINS0_14default_configENS1_35radix_sort_onesweep_config_selectorIdNS0_10empty_typeEEEZZNS1_29radix_sort_onesweep_iterationIS3_Lb0EPKdPdPS5_SB_mNS0_19identity_decomposerENS1_16block_id_wrapperIjLb1EEEEE10hipError_tT1_PNSt15iterator_traitsISG_E10value_typeET2_T3_PNSH_ISM_E10value_typeET4_T5_PSR_SS_PNS1_23onesweep_lookback_stateEbbT6_jjT7_P12ihipStream_tbENKUlT_T0_SG_SL_E_clIS9_SA_SB_SB_EEDaSZ_S10_SG_SL_EUlSZ_E_NS1_11comp_targetILNS1_3genE2ELNS1_11target_archE906ELNS1_3gpuE6ELNS1_3repE0EEENS1_47radix_sort_onesweep_sort_config_static_selectorELNS0_4arch9wavefront6targetE0EEEvSG_: ; @_ZN7rocprim17ROCPRIM_400000_NS6detail17trampoline_kernelINS0_14default_configENS1_35radix_sort_onesweep_config_selectorIdNS0_10empty_typeEEEZZNS1_29radix_sort_onesweep_iterationIS3_Lb0EPKdPdPS5_SB_mNS0_19identity_decomposerENS1_16block_id_wrapperIjLb1EEEEE10hipError_tT1_PNSt15iterator_traitsISG_E10value_typeET2_T3_PNSH_ISM_E10value_typeET4_T5_PSR_SS_PNS1_23onesweep_lookback_stateEbbT6_jjT7_P12ihipStream_tbENKUlT_T0_SG_SL_E_clIS9_SA_SB_SB_EEDaSZ_S10_SG_SL_EUlSZ_E_NS1_11comp_targetILNS1_3genE2ELNS1_11target_archE906ELNS1_3gpuE6ELNS1_3repE0EEENS1_47radix_sort_onesweep_sort_config_static_selectorELNS0_4arch9wavefront6targetE0EEEvSG_
; %bb.0:
	.section	.rodata,"a",@progbits
	.p2align	6, 0x0
	.amdhsa_kernel _ZN7rocprim17ROCPRIM_400000_NS6detail17trampoline_kernelINS0_14default_configENS1_35radix_sort_onesweep_config_selectorIdNS0_10empty_typeEEEZZNS1_29radix_sort_onesweep_iterationIS3_Lb0EPKdPdPS5_SB_mNS0_19identity_decomposerENS1_16block_id_wrapperIjLb1EEEEE10hipError_tT1_PNSt15iterator_traitsISG_E10value_typeET2_T3_PNSH_ISM_E10value_typeET4_T5_PSR_SS_PNS1_23onesweep_lookback_stateEbbT6_jjT7_P12ihipStream_tbENKUlT_T0_SG_SL_E_clIS9_SA_SB_SB_EEDaSZ_S10_SG_SL_EUlSZ_E_NS1_11comp_targetILNS1_3genE2ELNS1_11target_archE906ELNS1_3gpuE6ELNS1_3repE0EEENS1_47radix_sort_onesweep_sort_config_static_selectorELNS0_4arch9wavefront6targetE0EEEvSG_
		.amdhsa_group_segment_fixed_size 0
		.amdhsa_private_segment_fixed_size 0
		.amdhsa_kernarg_size 88
		.amdhsa_user_sgpr_count 2
		.amdhsa_user_sgpr_dispatch_ptr 0
		.amdhsa_user_sgpr_queue_ptr 0
		.amdhsa_user_sgpr_kernarg_segment_ptr 1
		.amdhsa_user_sgpr_dispatch_id 0
		.amdhsa_user_sgpr_kernarg_preload_length 0
		.amdhsa_user_sgpr_kernarg_preload_offset 0
		.amdhsa_user_sgpr_private_segment_size 0
		.amdhsa_wavefront_size32 1
		.amdhsa_uses_dynamic_stack 0
		.amdhsa_enable_private_segment 0
		.amdhsa_system_sgpr_workgroup_id_x 1
		.amdhsa_system_sgpr_workgroup_id_y 0
		.amdhsa_system_sgpr_workgroup_id_z 0
		.amdhsa_system_sgpr_workgroup_info 0
		.amdhsa_system_vgpr_workitem_id 0
		.amdhsa_next_free_vgpr 1
		.amdhsa_next_free_sgpr 1
		.amdhsa_named_barrier_count 0
		.amdhsa_reserve_vcc 0
		.amdhsa_float_round_mode_32 0
		.amdhsa_float_round_mode_16_64 0
		.amdhsa_float_denorm_mode_32 3
		.amdhsa_float_denorm_mode_16_64 3
		.amdhsa_fp16_overflow 0
		.amdhsa_memory_ordered 1
		.amdhsa_forward_progress 1
		.amdhsa_inst_pref_size 0
		.amdhsa_round_robin_scheduling 0
		.amdhsa_exception_fp_ieee_invalid_op 0
		.amdhsa_exception_fp_denorm_src 0
		.amdhsa_exception_fp_ieee_div_zero 0
		.amdhsa_exception_fp_ieee_overflow 0
		.amdhsa_exception_fp_ieee_underflow 0
		.amdhsa_exception_fp_ieee_inexact 0
		.amdhsa_exception_int_div_zero 0
	.end_amdhsa_kernel
	.section	.text._ZN7rocprim17ROCPRIM_400000_NS6detail17trampoline_kernelINS0_14default_configENS1_35radix_sort_onesweep_config_selectorIdNS0_10empty_typeEEEZZNS1_29radix_sort_onesweep_iterationIS3_Lb0EPKdPdPS5_SB_mNS0_19identity_decomposerENS1_16block_id_wrapperIjLb1EEEEE10hipError_tT1_PNSt15iterator_traitsISG_E10value_typeET2_T3_PNSH_ISM_E10value_typeET4_T5_PSR_SS_PNS1_23onesweep_lookback_stateEbbT6_jjT7_P12ihipStream_tbENKUlT_T0_SG_SL_E_clIS9_SA_SB_SB_EEDaSZ_S10_SG_SL_EUlSZ_E_NS1_11comp_targetILNS1_3genE2ELNS1_11target_archE906ELNS1_3gpuE6ELNS1_3repE0EEENS1_47radix_sort_onesweep_sort_config_static_selectorELNS0_4arch9wavefront6targetE0EEEvSG_,"axG",@progbits,_ZN7rocprim17ROCPRIM_400000_NS6detail17trampoline_kernelINS0_14default_configENS1_35radix_sort_onesweep_config_selectorIdNS0_10empty_typeEEEZZNS1_29radix_sort_onesweep_iterationIS3_Lb0EPKdPdPS5_SB_mNS0_19identity_decomposerENS1_16block_id_wrapperIjLb1EEEEE10hipError_tT1_PNSt15iterator_traitsISG_E10value_typeET2_T3_PNSH_ISM_E10value_typeET4_T5_PSR_SS_PNS1_23onesweep_lookback_stateEbbT6_jjT7_P12ihipStream_tbENKUlT_T0_SG_SL_E_clIS9_SA_SB_SB_EEDaSZ_S10_SG_SL_EUlSZ_E_NS1_11comp_targetILNS1_3genE2ELNS1_11target_archE906ELNS1_3gpuE6ELNS1_3repE0EEENS1_47radix_sort_onesweep_sort_config_static_selectorELNS0_4arch9wavefront6targetE0EEEvSG_,comdat
.Lfunc_end1608:
	.size	_ZN7rocprim17ROCPRIM_400000_NS6detail17trampoline_kernelINS0_14default_configENS1_35radix_sort_onesweep_config_selectorIdNS0_10empty_typeEEEZZNS1_29radix_sort_onesweep_iterationIS3_Lb0EPKdPdPS5_SB_mNS0_19identity_decomposerENS1_16block_id_wrapperIjLb1EEEEE10hipError_tT1_PNSt15iterator_traitsISG_E10value_typeET2_T3_PNSH_ISM_E10value_typeET4_T5_PSR_SS_PNS1_23onesweep_lookback_stateEbbT6_jjT7_P12ihipStream_tbENKUlT_T0_SG_SL_E_clIS9_SA_SB_SB_EEDaSZ_S10_SG_SL_EUlSZ_E_NS1_11comp_targetILNS1_3genE2ELNS1_11target_archE906ELNS1_3gpuE6ELNS1_3repE0EEENS1_47radix_sort_onesweep_sort_config_static_selectorELNS0_4arch9wavefront6targetE0EEEvSG_, .Lfunc_end1608-_ZN7rocprim17ROCPRIM_400000_NS6detail17trampoline_kernelINS0_14default_configENS1_35radix_sort_onesweep_config_selectorIdNS0_10empty_typeEEEZZNS1_29radix_sort_onesweep_iterationIS3_Lb0EPKdPdPS5_SB_mNS0_19identity_decomposerENS1_16block_id_wrapperIjLb1EEEEE10hipError_tT1_PNSt15iterator_traitsISG_E10value_typeET2_T3_PNSH_ISM_E10value_typeET4_T5_PSR_SS_PNS1_23onesweep_lookback_stateEbbT6_jjT7_P12ihipStream_tbENKUlT_T0_SG_SL_E_clIS9_SA_SB_SB_EEDaSZ_S10_SG_SL_EUlSZ_E_NS1_11comp_targetILNS1_3genE2ELNS1_11target_archE906ELNS1_3gpuE6ELNS1_3repE0EEENS1_47radix_sort_onesweep_sort_config_static_selectorELNS0_4arch9wavefront6targetE0EEEvSG_
                                        ; -- End function
	.set _ZN7rocprim17ROCPRIM_400000_NS6detail17trampoline_kernelINS0_14default_configENS1_35radix_sort_onesweep_config_selectorIdNS0_10empty_typeEEEZZNS1_29radix_sort_onesweep_iterationIS3_Lb0EPKdPdPS5_SB_mNS0_19identity_decomposerENS1_16block_id_wrapperIjLb1EEEEE10hipError_tT1_PNSt15iterator_traitsISG_E10value_typeET2_T3_PNSH_ISM_E10value_typeET4_T5_PSR_SS_PNS1_23onesweep_lookback_stateEbbT6_jjT7_P12ihipStream_tbENKUlT_T0_SG_SL_E_clIS9_SA_SB_SB_EEDaSZ_S10_SG_SL_EUlSZ_E_NS1_11comp_targetILNS1_3genE2ELNS1_11target_archE906ELNS1_3gpuE6ELNS1_3repE0EEENS1_47radix_sort_onesweep_sort_config_static_selectorELNS0_4arch9wavefront6targetE0EEEvSG_.num_vgpr, 0
	.set _ZN7rocprim17ROCPRIM_400000_NS6detail17trampoline_kernelINS0_14default_configENS1_35radix_sort_onesweep_config_selectorIdNS0_10empty_typeEEEZZNS1_29radix_sort_onesweep_iterationIS3_Lb0EPKdPdPS5_SB_mNS0_19identity_decomposerENS1_16block_id_wrapperIjLb1EEEEE10hipError_tT1_PNSt15iterator_traitsISG_E10value_typeET2_T3_PNSH_ISM_E10value_typeET4_T5_PSR_SS_PNS1_23onesweep_lookback_stateEbbT6_jjT7_P12ihipStream_tbENKUlT_T0_SG_SL_E_clIS9_SA_SB_SB_EEDaSZ_S10_SG_SL_EUlSZ_E_NS1_11comp_targetILNS1_3genE2ELNS1_11target_archE906ELNS1_3gpuE6ELNS1_3repE0EEENS1_47radix_sort_onesweep_sort_config_static_selectorELNS0_4arch9wavefront6targetE0EEEvSG_.num_agpr, 0
	.set _ZN7rocprim17ROCPRIM_400000_NS6detail17trampoline_kernelINS0_14default_configENS1_35radix_sort_onesweep_config_selectorIdNS0_10empty_typeEEEZZNS1_29radix_sort_onesweep_iterationIS3_Lb0EPKdPdPS5_SB_mNS0_19identity_decomposerENS1_16block_id_wrapperIjLb1EEEEE10hipError_tT1_PNSt15iterator_traitsISG_E10value_typeET2_T3_PNSH_ISM_E10value_typeET4_T5_PSR_SS_PNS1_23onesweep_lookback_stateEbbT6_jjT7_P12ihipStream_tbENKUlT_T0_SG_SL_E_clIS9_SA_SB_SB_EEDaSZ_S10_SG_SL_EUlSZ_E_NS1_11comp_targetILNS1_3genE2ELNS1_11target_archE906ELNS1_3gpuE6ELNS1_3repE0EEENS1_47radix_sort_onesweep_sort_config_static_selectorELNS0_4arch9wavefront6targetE0EEEvSG_.numbered_sgpr, 0
	.set _ZN7rocprim17ROCPRIM_400000_NS6detail17trampoline_kernelINS0_14default_configENS1_35radix_sort_onesweep_config_selectorIdNS0_10empty_typeEEEZZNS1_29radix_sort_onesweep_iterationIS3_Lb0EPKdPdPS5_SB_mNS0_19identity_decomposerENS1_16block_id_wrapperIjLb1EEEEE10hipError_tT1_PNSt15iterator_traitsISG_E10value_typeET2_T3_PNSH_ISM_E10value_typeET4_T5_PSR_SS_PNS1_23onesweep_lookback_stateEbbT6_jjT7_P12ihipStream_tbENKUlT_T0_SG_SL_E_clIS9_SA_SB_SB_EEDaSZ_S10_SG_SL_EUlSZ_E_NS1_11comp_targetILNS1_3genE2ELNS1_11target_archE906ELNS1_3gpuE6ELNS1_3repE0EEENS1_47radix_sort_onesweep_sort_config_static_selectorELNS0_4arch9wavefront6targetE0EEEvSG_.num_named_barrier, 0
	.set _ZN7rocprim17ROCPRIM_400000_NS6detail17trampoline_kernelINS0_14default_configENS1_35radix_sort_onesweep_config_selectorIdNS0_10empty_typeEEEZZNS1_29radix_sort_onesweep_iterationIS3_Lb0EPKdPdPS5_SB_mNS0_19identity_decomposerENS1_16block_id_wrapperIjLb1EEEEE10hipError_tT1_PNSt15iterator_traitsISG_E10value_typeET2_T3_PNSH_ISM_E10value_typeET4_T5_PSR_SS_PNS1_23onesweep_lookback_stateEbbT6_jjT7_P12ihipStream_tbENKUlT_T0_SG_SL_E_clIS9_SA_SB_SB_EEDaSZ_S10_SG_SL_EUlSZ_E_NS1_11comp_targetILNS1_3genE2ELNS1_11target_archE906ELNS1_3gpuE6ELNS1_3repE0EEENS1_47radix_sort_onesweep_sort_config_static_selectorELNS0_4arch9wavefront6targetE0EEEvSG_.private_seg_size, 0
	.set _ZN7rocprim17ROCPRIM_400000_NS6detail17trampoline_kernelINS0_14default_configENS1_35radix_sort_onesweep_config_selectorIdNS0_10empty_typeEEEZZNS1_29radix_sort_onesweep_iterationIS3_Lb0EPKdPdPS5_SB_mNS0_19identity_decomposerENS1_16block_id_wrapperIjLb1EEEEE10hipError_tT1_PNSt15iterator_traitsISG_E10value_typeET2_T3_PNSH_ISM_E10value_typeET4_T5_PSR_SS_PNS1_23onesweep_lookback_stateEbbT6_jjT7_P12ihipStream_tbENKUlT_T0_SG_SL_E_clIS9_SA_SB_SB_EEDaSZ_S10_SG_SL_EUlSZ_E_NS1_11comp_targetILNS1_3genE2ELNS1_11target_archE906ELNS1_3gpuE6ELNS1_3repE0EEENS1_47radix_sort_onesweep_sort_config_static_selectorELNS0_4arch9wavefront6targetE0EEEvSG_.uses_vcc, 0
	.set _ZN7rocprim17ROCPRIM_400000_NS6detail17trampoline_kernelINS0_14default_configENS1_35radix_sort_onesweep_config_selectorIdNS0_10empty_typeEEEZZNS1_29radix_sort_onesweep_iterationIS3_Lb0EPKdPdPS5_SB_mNS0_19identity_decomposerENS1_16block_id_wrapperIjLb1EEEEE10hipError_tT1_PNSt15iterator_traitsISG_E10value_typeET2_T3_PNSH_ISM_E10value_typeET4_T5_PSR_SS_PNS1_23onesweep_lookback_stateEbbT6_jjT7_P12ihipStream_tbENKUlT_T0_SG_SL_E_clIS9_SA_SB_SB_EEDaSZ_S10_SG_SL_EUlSZ_E_NS1_11comp_targetILNS1_3genE2ELNS1_11target_archE906ELNS1_3gpuE6ELNS1_3repE0EEENS1_47radix_sort_onesweep_sort_config_static_selectorELNS0_4arch9wavefront6targetE0EEEvSG_.uses_flat_scratch, 0
	.set _ZN7rocprim17ROCPRIM_400000_NS6detail17trampoline_kernelINS0_14default_configENS1_35radix_sort_onesweep_config_selectorIdNS0_10empty_typeEEEZZNS1_29radix_sort_onesweep_iterationIS3_Lb0EPKdPdPS5_SB_mNS0_19identity_decomposerENS1_16block_id_wrapperIjLb1EEEEE10hipError_tT1_PNSt15iterator_traitsISG_E10value_typeET2_T3_PNSH_ISM_E10value_typeET4_T5_PSR_SS_PNS1_23onesweep_lookback_stateEbbT6_jjT7_P12ihipStream_tbENKUlT_T0_SG_SL_E_clIS9_SA_SB_SB_EEDaSZ_S10_SG_SL_EUlSZ_E_NS1_11comp_targetILNS1_3genE2ELNS1_11target_archE906ELNS1_3gpuE6ELNS1_3repE0EEENS1_47radix_sort_onesweep_sort_config_static_selectorELNS0_4arch9wavefront6targetE0EEEvSG_.has_dyn_sized_stack, 0
	.set _ZN7rocprim17ROCPRIM_400000_NS6detail17trampoline_kernelINS0_14default_configENS1_35radix_sort_onesweep_config_selectorIdNS0_10empty_typeEEEZZNS1_29radix_sort_onesweep_iterationIS3_Lb0EPKdPdPS5_SB_mNS0_19identity_decomposerENS1_16block_id_wrapperIjLb1EEEEE10hipError_tT1_PNSt15iterator_traitsISG_E10value_typeET2_T3_PNSH_ISM_E10value_typeET4_T5_PSR_SS_PNS1_23onesweep_lookback_stateEbbT6_jjT7_P12ihipStream_tbENKUlT_T0_SG_SL_E_clIS9_SA_SB_SB_EEDaSZ_S10_SG_SL_EUlSZ_E_NS1_11comp_targetILNS1_3genE2ELNS1_11target_archE906ELNS1_3gpuE6ELNS1_3repE0EEENS1_47radix_sort_onesweep_sort_config_static_selectorELNS0_4arch9wavefront6targetE0EEEvSG_.has_recursion, 0
	.set _ZN7rocprim17ROCPRIM_400000_NS6detail17trampoline_kernelINS0_14default_configENS1_35radix_sort_onesweep_config_selectorIdNS0_10empty_typeEEEZZNS1_29radix_sort_onesweep_iterationIS3_Lb0EPKdPdPS5_SB_mNS0_19identity_decomposerENS1_16block_id_wrapperIjLb1EEEEE10hipError_tT1_PNSt15iterator_traitsISG_E10value_typeET2_T3_PNSH_ISM_E10value_typeET4_T5_PSR_SS_PNS1_23onesweep_lookback_stateEbbT6_jjT7_P12ihipStream_tbENKUlT_T0_SG_SL_E_clIS9_SA_SB_SB_EEDaSZ_S10_SG_SL_EUlSZ_E_NS1_11comp_targetILNS1_3genE2ELNS1_11target_archE906ELNS1_3gpuE6ELNS1_3repE0EEENS1_47radix_sort_onesweep_sort_config_static_selectorELNS0_4arch9wavefront6targetE0EEEvSG_.has_indirect_call, 0
	.section	.AMDGPU.csdata,"",@progbits
; Kernel info:
; codeLenInByte = 0
; TotalNumSgprs: 0
; NumVgprs: 0
; ScratchSize: 0
; MemoryBound: 0
; FloatMode: 240
; IeeeMode: 1
; LDSByteSize: 0 bytes/workgroup (compile time only)
; SGPRBlocks: 0
; VGPRBlocks: 0
; NumSGPRsForWavesPerEU: 1
; NumVGPRsForWavesPerEU: 1
; NamedBarCnt: 0
; Occupancy: 16
; WaveLimiterHint : 0
; COMPUTE_PGM_RSRC2:SCRATCH_EN: 0
; COMPUTE_PGM_RSRC2:USER_SGPR: 2
; COMPUTE_PGM_RSRC2:TRAP_HANDLER: 0
; COMPUTE_PGM_RSRC2:TGID_X_EN: 1
; COMPUTE_PGM_RSRC2:TGID_Y_EN: 0
; COMPUTE_PGM_RSRC2:TGID_Z_EN: 0
; COMPUTE_PGM_RSRC2:TIDIG_COMP_CNT: 0
	.section	.text._ZN7rocprim17ROCPRIM_400000_NS6detail17trampoline_kernelINS0_14default_configENS1_35radix_sort_onesweep_config_selectorIdNS0_10empty_typeEEEZZNS1_29radix_sort_onesweep_iterationIS3_Lb0EPKdPdPS5_SB_mNS0_19identity_decomposerENS1_16block_id_wrapperIjLb1EEEEE10hipError_tT1_PNSt15iterator_traitsISG_E10value_typeET2_T3_PNSH_ISM_E10value_typeET4_T5_PSR_SS_PNS1_23onesweep_lookback_stateEbbT6_jjT7_P12ihipStream_tbENKUlT_T0_SG_SL_E_clIS9_SA_SB_SB_EEDaSZ_S10_SG_SL_EUlSZ_E_NS1_11comp_targetILNS1_3genE4ELNS1_11target_archE910ELNS1_3gpuE8ELNS1_3repE0EEENS1_47radix_sort_onesweep_sort_config_static_selectorELNS0_4arch9wavefront6targetE0EEEvSG_,"axG",@progbits,_ZN7rocprim17ROCPRIM_400000_NS6detail17trampoline_kernelINS0_14default_configENS1_35radix_sort_onesweep_config_selectorIdNS0_10empty_typeEEEZZNS1_29radix_sort_onesweep_iterationIS3_Lb0EPKdPdPS5_SB_mNS0_19identity_decomposerENS1_16block_id_wrapperIjLb1EEEEE10hipError_tT1_PNSt15iterator_traitsISG_E10value_typeET2_T3_PNSH_ISM_E10value_typeET4_T5_PSR_SS_PNS1_23onesweep_lookback_stateEbbT6_jjT7_P12ihipStream_tbENKUlT_T0_SG_SL_E_clIS9_SA_SB_SB_EEDaSZ_S10_SG_SL_EUlSZ_E_NS1_11comp_targetILNS1_3genE4ELNS1_11target_archE910ELNS1_3gpuE8ELNS1_3repE0EEENS1_47radix_sort_onesweep_sort_config_static_selectorELNS0_4arch9wavefront6targetE0EEEvSG_,comdat
	.protected	_ZN7rocprim17ROCPRIM_400000_NS6detail17trampoline_kernelINS0_14default_configENS1_35radix_sort_onesweep_config_selectorIdNS0_10empty_typeEEEZZNS1_29radix_sort_onesweep_iterationIS3_Lb0EPKdPdPS5_SB_mNS0_19identity_decomposerENS1_16block_id_wrapperIjLb1EEEEE10hipError_tT1_PNSt15iterator_traitsISG_E10value_typeET2_T3_PNSH_ISM_E10value_typeET4_T5_PSR_SS_PNS1_23onesweep_lookback_stateEbbT6_jjT7_P12ihipStream_tbENKUlT_T0_SG_SL_E_clIS9_SA_SB_SB_EEDaSZ_S10_SG_SL_EUlSZ_E_NS1_11comp_targetILNS1_3genE4ELNS1_11target_archE910ELNS1_3gpuE8ELNS1_3repE0EEENS1_47radix_sort_onesweep_sort_config_static_selectorELNS0_4arch9wavefront6targetE0EEEvSG_ ; -- Begin function _ZN7rocprim17ROCPRIM_400000_NS6detail17trampoline_kernelINS0_14default_configENS1_35radix_sort_onesweep_config_selectorIdNS0_10empty_typeEEEZZNS1_29radix_sort_onesweep_iterationIS3_Lb0EPKdPdPS5_SB_mNS0_19identity_decomposerENS1_16block_id_wrapperIjLb1EEEEE10hipError_tT1_PNSt15iterator_traitsISG_E10value_typeET2_T3_PNSH_ISM_E10value_typeET4_T5_PSR_SS_PNS1_23onesweep_lookback_stateEbbT6_jjT7_P12ihipStream_tbENKUlT_T0_SG_SL_E_clIS9_SA_SB_SB_EEDaSZ_S10_SG_SL_EUlSZ_E_NS1_11comp_targetILNS1_3genE4ELNS1_11target_archE910ELNS1_3gpuE8ELNS1_3repE0EEENS1_47radix_sort_onesweep_sort_config_static_selectorELNS0_4arch9wavefront6targetE0EEEvSG_
	.globl	_ZN7rocprim17ROCPRIM_400000_NS6detail17trampoline_kernelINS0_14default_configENS1_35radix_sort_onesweep_config_selectorIdNS0_10empty_typeEEEZZNS1_29radix_sort_onesweep_iterationIS3_Lb0EPKdPdPS5_SB_mNS0_19identity_decomposerENS1_16block_id_wrapperIjLb1EEEEE10hipError_tT1_PNSt15iterator_traitsISG_E10value_typeET2_T3_PNSH_ISM_E10value_typeET4_T5_PSR_SS_PNS1_23onesweep_lookback_stateEbbT6_jjT7_P12ihipStream_tbENKUlT_T0_SG_SL_E_clIS9_SA_SB_SB_EEDaSZ_S10_SG_SL_EUlSZ_E_NS1_11comp_targetILNS1_3genE4ELNS1_11target_archE910ELNS1_3gpuE8ELNS1_3repE0EEENS1_47radix_sort_onesweep_sort_config_static_selectorELNS0_4arch9wavefront6targetE0EEEvSG_
	.p2align	8
	.type	_ZN7rocprim17ROCPRIM_400000_NS6detail17trampoline_kernelINS0_14default_configENS1_35radix_sort_onesweep_config_selectorIdNS0_10empty_typeEEEZZNS1_29radix_sort_onesweep_iterationIS3_Lb0EPKdPdPS5_SB_mNS0_19identity_decomposerENS1_16block_id_wrapperIjLb1EEEEE10hipError_tT1_PNSt15iterator_traitsISG_E10value_typeET2_T3_PNSH_ISM_E10value_typeET4_T5_PSR_SS_PNS1_23onesweep_lookback_stateEbbT6_jjT7_P12ihipStream_tbENKUlT_T0_SG_SL_E_clIS9_SA_SB_SB_EEDaSZ_S10_SG_SL_EUlSZ_E_NS1_11comp_targetILNS1_3genE4ELNS1_11target_archE910ELNS1_3gpuE8ELNS1_3repE0EEENS1_47radix_sort_onesweep_sort_config_static_selectorELNS0_4arch9wavefront6targetE0EEEvSG_,@function
_ZN7rocprim17ROCPRIM_400000_NS6detail17trampoline_kernelINS0_14default_configENS1_35radix_sort_onesweep_config_selectorIdNS0_10empty_typeEEEZZNS1_29radix_sort_onesweep_iterationIS3_Lb0EPKdPdPS5_SB_mNS0_19identity_decomposerENS1_16block_id_wrapperIjLb1EEEEE10hipError_tT1_PNSt15iterator_traitsISG_E10value_typeET2_T3_PNSH_ISM_E10value_typeET4_T5_PSR_SS_PNS1_23onesweep_lookback_stateEbbT6_jjT7_P12ihipStream_tbENKUlT_T0_SG_SL_E_clIS9_SA_SB_SB_EEDaSZ_S10_SG_SL_EUlSZ_E_NS1_11comp_targetILNS1_3genE4ELNS1_11target_archE910ELNS1_3gpuE8ELNS1_3repE0EEENS1_47radix_sort_onesweep_sort_config_static_selectorELNS0_4arch9wavefront6targetE0EEEvSG_: ; @_ZN7rocprim17ROCPRIM_400000_NS6detail17trampoline_kernelINS0_14default_configENS1_35radix_sort_onesweep_config_selectorIdNS0_10empty_typeEEEZZNS1_29radix_sort_onesweep_iterationIS3_Lb0EPKdPdPS5_SB_mNS0_19identity_decomposerENS1_16block_id_wrapperIjLb1EEEEE10hipError_tT1_PNSt15iterator_traitsISG_E10value_typeET2_T3_PNSH_ISM_E10value_typeET4_T5_PSR_SS_PNS1_23onesweep_lookback_stateEbbT6_jjT7_P12ihipStream_tbENKUlT_T0_SG_SL_E_clIS9_SA_SB_SB_EEDaSZ_S10_SG_SL_EUlSZ_E_NS1_11comp_targetILNS1_3genE4ELNS1_11target_archE910ELNS1_3gpuE8ELNS1_3repE0EEENS1_47radix_sort_onesweep_sort_config_static_selectorELNS0_4arch9wavefront6targetE0EEEvSG_
; %bb.0:
	.section	.rodata,"a",@progbits
	.p2align	6, 0x0
	.amdhsa_kernel _ZN7rocprim17ROCPRIM_400000_NS6detail17trampoline_kernelINS0_14default_configENS1_35radix_sort_onesweep_config_selectorIdNS0_10empty_typeEEEZZNS1_29radix_sort_onesweep_iterationIS3_Lb0EPKdPdPS5_SB_mNS0_19identity_decomposerENS1_16block_id_wrapperIjLb1EEEEE10hipError_tT1_PNSt15iterator_traitsISG_E10value_typeET2_T3_PNSH_ISM_E10value_typeET4_T5_PSR_SS_PNS1_23onesweep_lookback_stateEbbT6_jjT7_P12ihipStream_tbENKUlT_T0_SG_SL_E_clIS9_SA_SB_SB_EEDaSZ_S10_SG_SL_EUlSZ_E_NS1_11comp_targetILNS1_3genE4ELNS1_11target_archE910ELNS1_3gpuE8ELNS1_3repE0EEENS1_47radix_sort_onesweep_sort_config_static_selectorELNS0_4arch9wavefront6targetE0EEEvSG_
		.amdhsa_group_segment_fixed_size 0
		.amdhsa_private_segment_fixed_size 0
		.amdhsa_kernarg_size 88
		.amdhsa_user_sgpr_count 2
		.amdhsa_user_sgpr_dispatch_ptr 0
		.amdhsa_user_sgpr_queue_ptr 0
		.amdhsa_user_sgpr_kernarg_segment_ptr 1
		.amdhsa_user_sgpr_dispatch_id 0
		.amdhsa_user_sgpr_kernarg_preload_length 0
		.amdhsa_user_sgpr_kernarg_preload_offset 0
		.amdhsa_user_sgpr_private_segment_size 0
		.amdhsa_wavefront_size32 1
		.amdhsa_uses_dynamic_stack 0
		.amdhsa_enable_private_segment 0
		.amdhsa_system_sgpr_workgroup_id_x 1
		.amdhsa_system_sgpr_workgroup_id_y 0
		.amdhsa_system_sgpr_workgroup_id_z 0
		.amdhsa_system_sgpr_workgroup_info 0
		.amdhsa_system_vgpr_workitem_id 0
		.amdhsa_next_free_vgpr 1
		.amdhsa_next_free_sgpr 1
		.amdhsa_named_barrier_count 0
		.amdhsa_reserve_vcc 0
		.amdhsa_float_round_mode_32 0
		.amdhsa_float_round_mode_16_64 0
		.amdhsa_float_denorm_mode_32 3
		.amdhsa_float_denorm_mode_16_64 3
		.amdhsa_fp16_overflow 0
		.amdhsa_memory_ordered 1
		.amdhsa_forward_progress 1
		.amdhsa_inst_pref_size 0
		.amdhsa_round_robin_scheduling 0
		.amdhsa_exception_fp_ieee_invalid_op 0
		.amdhsa_exception_fp_denorm_src 0
		.amdhsa_exception_fp_ieee_div_zero 0
		.amdhsa_exception_fp_ieee_overflow 0
		.amdhsa_exception_fp_ieee_underflow 0
		.amdhsa_exception_fp_ieee_inexact 0
		.amdhsa_exception_int_div_zero 0
	.end_amdhsa_kernel
	.section	.text._ZN7rocprim17ROCPRIM_400000_NS6detail17trampoline_kernelINS0_14default_configENS1_35radix_sort_onesweep_config_selectorIdNS0_10empty_typeEEEZZNS1_29radix_sort_onesweep_iterationIS3_Lb0EPKdPdPS5_SB_mNS0_19identity_decomposerENS1_16block_id_wrapperIjLb1EEEEE10hipError_tT1_PNSt15iterator_traitsISG_E10value_typeET2_T3_PNSH_ISM_E10value_typeET4_T5_PSR_SS_PNS1_23onesweep_lookback_stateEbbT6_jjT7_P12ihipStream_tbENKUlT_T0_SG_SL_E_clIS9_SA_SB_SB_EEDaSZ_S10_SG_SL_EUlSZ_E_NS1_11comp_targetILNS1_3genE4ELNS1_11target_archE910ELNS1_3gpuE8ELNS1_3repE0EEENS1_47radix_sort_onesweep_sort_config_static_selectorELNS0_4arch9wavefront6targetE0EEEvSG_,"axG",@progbits,_ZN7rocprim17ROCPRIM_400000_NS6detail17trampoline_kernelINS0_14default_configENS1_35radix_sort_onesweep_config_selectorIdNS0_10empty_typeEEEZZNS1_29radix_sort_onesweep_iterationIS3_Lb0EPKdPdPS5_SB_mNS0_19identity_decomposerENS1_16block_id_wrapperIjLb1EEEEE10hipError_tT1_PNSt15iterator_traitsISG_E10value_typeET2_T3_PNSH_ISM_E10value_typeET4_T5_PSR_SS_PNS1_23onesweep_lookback_stateEbbT6_jjT7_P12ihipStream_tbENKUlT_T0_SG_SL_E_clIS9_SA_SB_SB_EEDaSZ_S10_SG_SL_EUlSZ_E_NS1_11comp_targetILNS1_3genE4ELNS1_11target_archE910ELNS1_3gpuE8ELNS1_3repE0EEENS1_47radix_sort_onesweep_sort_config_static_selectorELNS0_4arch9wavefront6targetE0EEEvSG_,comdat
.Lfunc_end1609:
	.size	_ZN7rocprim17ROCPRIM_400000_NS6detail17trampoline_kernelINS0_14default_configENS1_35radix_sort_onesweep_config_selectorIdNS0_10empty_typeEEEZZNS1_29radix_sort_onesweep_iterationIS3_Lb0EPKdPdPS5_SB_mNS0_19identity_decomposerENS1_16block_id_wrapperIjLb1EEEEE10hipError_tT1_PNSt15iterator_traitsISG_E10value_typeET2_T3_PNSH_ISM_E10value_typeET4_T5_PSR_SS_PNS1_23onesweep_lookback_stateEbbT6_jjT7_P12ihipStream_tbENKUlT_T0_SG_SL_E_clIS9_SA_SB_SB_EEDaSZ_S10_SG_SL_EUlSZ_E_NS1_11comp_targetILNS1_3genE4ELNS1_11target_archE910ELNS1_3gpuE8ELNS1_3repE0EEENS1_47radix_sort_onesweep_sort_config_static_selectorELNS0_4arch9wavefront6targetE0EEEvSG_, .Lfunc_end1609-_ZN7rocprim17ROCPRIM_400000_NS6detail17trampoline_kernelINS0_14default_configENS1_35radix_sort_onesweep_config_selectorIdNS0_10empty_typeEEEZZNS1_29radix_sort_onesweep_iterationIS3_Lb0EPKdPdPS5_SB_mNS0_19identity_decomposerENS1_16block_id_wrapperIjLb1EEEEE10hipError_tT1_PNSt15iterator_traitsISG_E10value_typeET2_T3_PNSH_ISM_E10value_typeET4_T5_PSR_SS_PNS1_23onesweep_lookback_stateEbbT6_jjT7_P12ihipStream_tbENKUlT_T0_SG_SL_E_clIS9_SA_SB_SB_EEDaSZ_S10_SG_SL_EUlSZ_E_NS1_11comp_targetILNS1_3genE4ELNS1_11target_archE910ELNS1_3gpuE8ELNS1_3repE0EEENS1_47radix_sort_onesweep_sort_config_static_selectorELNS0_4arch9wavefront6targetE0EEEvSG_
                                        ; -- End function
	.set _ZN7rocprim17ROCPRIM_400000_NS6detail17trampoline_kernelINS0_14default_configENS1_35radix_sort_onesweep_config_selectorIdNS0_10empty_typeEEEZZNS1_29radix_sort_onesweep_iterationIS3_Lb0EPKdPdPS5_SB_mNS0_19identity_decomposerENS1_16block_id_wrapperIjLb1EEEEE10hipError_tT1_PNSt15iterator_traitsISG_E10value_typeET2_T3_PNSH_ISM_E10value_typeET4_T5_PSR_SS_PNS1_23onesweep_lookback_stateEbbT6_jjT7_P12ihipStream_tbENKUlT_T0_SG_SL_E_clIS9_SA_SB_SB_EEDaSZ_S10_SG_SL_EUlSZ_E_NS1_11comp_targetILNS1_3genE4ELNS1_11target_archE910ELNS1_3gpuE8ELNS1_3repE0EEENS1_47radix_sort_onesweep_sort_config_static_selectorELNS0_4arch9wavefront6targetE0EEEvSG_.num_vgpr, 0
	.set _ZN7rocprim17ROCPRIM_400000_NS6detail17trampoline_kernelINS0_14default_configENS1_35radix_sort_onesweep_config_selectorIdNS0_10empty_typeEEEZZNS1_29radix_sort_onesweep_iterationIS3_Lb0EPKdPdPS5_SB_mNS0_19identity_decomposerENS1_16block_id_wrapperIjLb1EEEEE10hipError_tT1_PNSt15iterator_traitsISG_E10value_typeET2_T3_PNSH_ISM_E10value_typeET4_T5_PSR_SS_PNS1_23onesweep_lookback_stateEbbT6_jjT7_P12ihipStream_tbENKUlT_T0_SG_SL_E_clIS9_SA_SB_SB_EEDaSZ_S10_SG_SL_EUlSZ_E_NS1_11comp_targetILNS1_3genE4ELNS1_11target_archE910ELNS1_3gpuE8ELNS1_3repE0EEENS1_47radix_sort_onesweep_sort_config_static_selectorELNS0_4arch9wavefront6targetE0EEEvSG_.num_agpr, 0
	.set _ZN7rocprim17ROCPRIM_400000_NS6detail17trampoline_kernelINS0_14default_configENS1_35radix_sort_onesweep_config_selectorIdNS0_10empty_typeEEEZZNS1_29radix_sort_onesweep_iterationIS3_Lb0EPKdPdPS5_SB_mNS0_19identity_decomposerENS1_16block_id_wrapperIjLb1EEEEE10hipError_tT1_PNSt15iterator_traitsISG_E10value_typeET2_T3_PNSH_ISM_E10value_typeET4_T5_PSR_SS_PNS1_23onesweep_lookback_stateEbbT6_jjT7_P12ihipStream_tbENKUlT_T0_SG_SL_E_clIS9_SA_SB_SB_EEDaSZ_S10_SG_SL_EUlSZ_E_NS1_11comp_targetILNS1_3genE4ELNS1_11target_archE910ELNS1_3gpuE8ELNS1_3repE0EEENS1_47radix_sort_onesweep_sort_config_static_selectorELNS0_4arch9wavefront6targetE0EEEvSG_.numbered_sgpr, 0
	.set _ZN7rocprim17ROCPRIM_400000_NS6detail17trampoline_kernelINS0_14default_configENS1_35radix_sort_onesweep_config_selectorIdNS0_10empty_typeEEEZZNS1_29radix_sort_onesweep_iterationIS3_Lb0EPKdPdPS5_SB_mNS0_19identity_decomposerENS1_16block_id_wrapperIjLb1EEEEE10hipError_tT1_PNSt15iterator_traitsISG_E10value_typeET2_T3_PNSH_ISM_E10value_typeET4_T5_PSR_SS_PNS1_23onesweep_lookback_stateEbbT6_jjT7_P12ihipStream_tbENKUlT_T0_SG_SL_E_clIS9_SA_SB_SB_EEDaSZ_S10_SG_SL_EUlSZ_E_NS1_11comp_targetILNS1_3genE4ELNS1_11target_archE910ELNS1_3gpuE8ELNS1_3repE0EEENS1_47radix_sort_onesweep_sort_config_static_selectorELNS0_4arch9wavefront6targetE0EEEvSG_.num_named_barrier, 0
	.set _ZN7rocprim17ROCPRIM_400000_NS6detail17trampoline_kernelINS0_14default_configENS1_35radix_sort_onesweep_config_selectorIdNS0_10empty_typeEEEZZNS1_29radix_sort_onesweep_iterationIS3_Lb0EPKdPdPS5_SB_mNS0_19identity_decomposerENS1_16block_id_wrapperIjLb1EEEEE10hipError_tT1_PNSt15iterator_traitsISG_E10value_typeET2_T3_PNSH_ISM_E10value_typeET4_T5_PSR_SS_PNS1_23onesweep_lookback_stateEbbT6_jjT7_P12ihipStream_tbENKUlT_T0_SG_SL_E_clIS9_SA_SB_SB_EEDaSZ_S10_SG_SL_EUlSZ_E_NS1_11comp_targetILNS1_3genE4ELNS1_11target_archE910ELNS1_3gpuE8ELNS1_3repE0EEENS1_47radix_sort_onesweep_sort_config_static_selectorELNS0_4arch9wavefront6targetE0EEEvSG_.private_seg_size, 0
	.set _ZN7rocprim17ROCPRIM_400000_NS6detail17trampoline_kernelINS0_14default_configENS1_35radix_sort_onesweep_config_selectorIdNS0_10empty_typeEEEZZNS1_29radix_sort_onesweep_iterationIS3_Lb0EPKdPdPS5_SB_mNS0_19identity_decomposerENS1_16block_id_wrapperIjLb1EEEEE10hipError_tT1_PNSt15iterator_traitsISG_E10value_typeET2_T3_PNSH_ISM_E10value_typeET4_T5_PSR_SS_PNS1_23onesweep_lookback_stateEbbT6_jjT7_P12ihipStream_tbENKUlT_T0_SG_SL_E_clIS9_SA_SB_SB_EEDaSZ_S10_SG_SL_EUlSZ_E_NS1_11comp_targetILNS1_3genE4ELNS1_11target_archE910ELNS1_3gpuE8ELNS1_3repE0EEENS1_47radix_sort_onesweep_sort_config_static_selectorELNS0_4arch9wavefront6targetE0EEEvSG_.uses_vcc, 0
	.set _ZN7rocprim17ROCPRIM_400000_NS6detail17trampoline_kernelINS0_14default_configENS1_35radix_sort_onesweep_config_selectorIdNS0_10empty_typeEEEZZNS1_29radix_sort_onesweep_iterationIS3_Lb0EPKdPdPS5_SB_mNS0_19identity_decomposerENS1_16block_id_wrapperIjLb1EEEEE10hipError_tT1_PNSt15iterator_traitsISG_E10value_typeET2_T3_PNSH_ISM_E10value_typeET4_T5_PSR_SS_PNS1_23onesweep_lookback_stateEbbT6_jjT7_P12ihipStream_tbENKUlT_T0_SG_SL_E_clIS9_SA_SB_SB_EEDaSZ_S10_SG_SL_EUlSZ_E_NS1_11comp_targetILNS1_3genE4ELNS1_11target_archE910ELNS1_3gpuE8ELNS1_3repE0EEENS1_47radix_sort_onesweep_sort_config_static_selectorELNS0_4arch9wavefront6targetE0EEEvSG_.uses_flat_scratch, 0
	.set _ZN7rocprim17ROCPRIM_400000_NS6detail17trampoline_kernelINS0_14default_configENS1_35radix_sort_onesweep_config_selectorIdNS0_10empty_typeEEEZZNS1_29radix_sort_onesweep_iterationIS3_Lb0EPKdPdPS5_SB_mNS0_19identity_decomposerENS1_16block_id_wrapperIjLb1EEEEE10hipError_tT1_PNSt15iterator_traitsISG_E10value_typeET2_T3_PNSH_ISM_E10value_typeET4_T5_PSR_SS_PNS1_23onesweep_lookback_stateEbbT6_jjT7_P12ihipStream_tbENKUlT_T0_SG_SL_E_clIS9_SA_SB_SB_EEDaSZ_S10_SG_SL_EUlSZ_E_NS1_11comp_targetILNS1_3genE4ELNS1_11target_archE910ELNS1_3gpuE8ELNS1_3repE0EEENS1_47radix_sort_onesweep_sort_config_static_selectorELNS0_4arch9wavefront6targetE0EEEvSG_.has_dyn_sized_stack, 0
	.set _ZN7rocprim17ROCPRIM_400000_NS6detail17trampoline_kernelINS0_14default_configENS1_35radix_sort_onesweep_config_selectorIdNS0_10empty_typeEEEZZNS1_29radix_sort_onesweep_iterationIS3_Lb0EPKdPdPS5_SB_mNS0_19identity_decomposerENS1_16block_id_wrapperIjLb1EEEEE10hipError_tT1_PNSt15iterator_traitsISG_E10value_typeET2_T3_PNSH_ISM_E10value_typeET4_T5_PSR_SS_PNS1_23onesweep_lookback_stateEbbT6_jjT7_P12ihipStream_tbENKUlT_T0_SG_SL_E_clIS9_SA_SB_SB_EEDaSZ_S10_SG_SL_EUlSZ_E_NS1_11comp_targetILNS1_3genE4ELNS1_11target_archE910ELNS1_3gpuE8ELNS1_3repE0EEENS1_47radix_sort_onesweep_sort_config_static_selectorELNS0_4arch9wavefront6targetE0EEEvSG_.has_recursion, 0
	.set _ZN7rocprim17ROCPRIM_400000_NS6detail17trampoline_kernelINS0_14default_configENS1_35radix_sort_onesweep_config_selectorIdNS0_10empty_typeEEEZZNS1_29radix_sort_onesweep_iterationIS3_Lb0EPKdPdPS5_SB_mNS0_19identity_decomposerENS1_16block_id_wrapperIjLb1EEEEE10hipError_tT1_PNSt15iterator_traitsISG_E10value_typeET2_T3_PNSH_ISM_E10value_typeET4_T5_PSR_SS_PNS1_23onesweep_lookback_stateEbbT6_jjT7_P12ihipStream_tbENKUlT_T0_SG_SL_E_clIS9_SA_SB_SB_EEDaSZ_S10_SG_SL_EUlSZ_E_NS1_11comp_targetILNS1_3genE4ELNS1_11target_archE910ELNS1_3gpuE8ELNS1_3repE0EEENS1_47radix_sort_onesweep_sort_config_static_selectorELNS0_4arch9wavefront6targetE0EEEvSG_.has_indirect_call, 0
	.section	.AMDGPU.csdata,"",@progbits
; Kernel info:
; codeLenInByte = 0
; TotalNumSgprs: 0
; NumVgprs: 0
; ScratchSize: 0
; MemoryBound: 0
; FloatMode: 240
; IeeeMode: 1
; LDSByteSize: 0 bytes/workgroup (compile time only)
; SGPRBlocks: 0
; VGPRBlocks: 0
; NumSGPRsForWavesPerEU: 1
; NumVGPRsForWavesPerEU: 1
; NamedBarCnt: 0
; Occupancy: 16
; WaveLimiterHint : 0
; COMPUTE_PGM_RSRC2:SCRATCH_EN: 0
; COMPUTE_PGM_RSRC2:USER_SGPR: 2
; COMPUTE_PGM_RSRC2:TRAP_HANDLER: 0
; COMPUTE_PGM_RSRC2:TGID_X_EN: 1
; COMPUTE_PGM_RSRC2:TGID_Y_EN: 0
; COMPUTE_PGM_RSRC2:TGID_Z_EN: 0
; COMPUTE_PGM_RSRC2:TIDIG_COMP_CNT: 0
	.section	.text._ZN7rocprim17ROCPRIM_400000_NS6detail17trampoline_kernelINS0_14default_configENS1_35radix_sort_onesweep_config_selectorIdNS0_10empty_typeEEEZZNS1_29radix_sort_onesweep_iterationIS3_Lb0EPKdPdPS5_SB_mNS0_19identity_decomposerENS1_16block_id_wrapperIjLb1EEEEE10hipError_tT1_PNSt15iterator_traitsISG_E10value_typeET2_T3_PNSH_ISM_E10value_typeET4_T5_PSR_SS_PNS1_23onesweep_lookback_stateEbbT6_jjT7_P12ihipStream_tbENKUlT_T0_SG_SL_E_clIS9_SA_SB_SB_EEDaSZ_S10_SG_SL_EUlSZ_E_NS1_11comp_targetILNS1_3genE3ELNS1_11target_archE908ELNS1_3gpuE7ELNS1_3repE0EEENS1_47radix_sort_onesweep_sort_config_static_selectorELNS0_4arch9wavefront6targetE0EEEvSG_,"axG",@progbits,_ZN7rocprim17ROCPRIM_400000_NS6detail17trampoline_kernelINS0_14default_configENS1_35radix_sort_onesweep_config_selectorIdNS0_10empty_typeEEEZZNS1_29radix_sort_onesweep_iterationIS3_Lb0EPKdPdPS5_SB_mNS0_19identity_decomposerENS1_16block_id_wrapperIjLb1EEEEE10hipError_tT1_PNSt15iterator_traitsISG_E10value_typeET2_T3_PNSH_ISM_E10value_typeET4_T5_PSR_SS_PNS1_23onesweep_lookback_stateEbbT6_jjT7_P12ihipStream_tbENKUlT_T0_SG_SL_E_clIS9_SA_SB_SB_EEDaSZ_S10_SG_SL_EUlSZ_E_NS1_11comp_targetILNS1_3genE3ELNS1_11target_archE908ELNS1_3gpuE7ELNS1_3repE0EEENS1_47radix_sort_onesweep_sort_config_static_selectorELNS0_4arch9wavefront6targetE0EEEvSG_,comdat
	.protected	_ZN7rocprim17ROCPRIM_400000_NS6detail17trampoline_kernelINS0_14default_configENS1_35radix_sort_onesweep_config_selectorIdNS0_10empty_typeEEEZZNS1_29radix_sort_onesweep_iterationIS3_Lb0EPKdPdPS5_SB_mNS0_19identity_decomposerENS1_16block_id_wrapperIjLb1EEEEE10hipError_tT1_PNSt15iterator_traitsISG_E10value_typeET2_T3_PNSH_ISM_E10value_typeET4_T5_PSR_SS_PNS1_23onesweep_lookback_stateEbbT6_jjT7_P12ihipStream_tbENKUlT_T0_SG_SL_E_clIS9_SA_SB_SB_EEDaSZ_S10_SG_SL_EUlSZ_E_NS1_11comp_targetILNS1_3genE3ELNS1_11target_archE908ELNS1_3gpuE7ELNS1_3repE0EEENS1_47radix_sort_onesweep_sort_config_static_selectorELNS0_4arch9wavefront6targetE0EEEvSG_ ; -- Begin function _ZN7rocprim17ROCPRIM_400000_NS6detail17trampoline_kernelINS0_14default_configENS1_35radix_sort_onesweep_config_selectorIdNS0_10empty_typeEEEZZNS1_29radix_sort_onesweep_iterationIS3_Lb0EPKdPdPS5_SB_mNS0_19identity_decomposerENS1_16block_id_wrapperIjLb1EEEEE10hipError_tT1_PNSt15iterator_traitsISG_E10value_typeET2_T3_PNSH_ISM_E10value_typeET4_T5_PSR_SS_PNS1_23onesweep_lookback_stateEbbT6_jjT7_P12ihipStream_tbENKUlT_T0_SG_SL_E_clIS9_SA_SB_SB_EEDaSZ_S10_SG_SL_EUlSZ_E_NS1_11comp_targetILNS1_3genE3ELNS1_11target_archE908ELNS1_3gpuE7ELNS1_3repE0EEENS1_47radix_sort_onesweep_sort_config_static_selectorELNS0_4arch9wavefront6targetE0EEEvSG_
	.globl	_ZN7rocprim17ROCPRIM_400000_NS6detail17trampoline_kernelINS0_14default_configENS1_35radix_sort_onesweep_config_selectorIdNS0_10empty_typeEEEZZNS1_29radix_sort_onesweep_iterationIS3_Lb0EPKdPdPS5_SB_mNS0_19identity_decomposerENS1_16block_id_wrapperIjLb1EEEEE10hipError_tT1_PNSt15iterator_traitsISG_E10value_typeET2_T3_PNSH_ISM_E10value_typeET4_T5_PSR_SS_PNS1_23onesweep_lookback_stateEbbT6_jjT7_P12ihipStream_tbENKUlT_T0_SG_SL_E_clIS9_SA_SB_SB_EEDaSZ_S10_SG_SL_EUlSZ_E_NS1_11comp_targetILNS1_3genE3ELNS1_11target_archE908ELNS1_3gpuE7ELNS1_3repE0EEENS1_47radix_sort_onesweep_sort_config_static_selectorELNS0_4arch9wavefront6targetE0EEEvSG_
	.p2align	8
	.type	_ZN7rocprim17ROCPRIM_400000_NS6detail17trampoline_kernelINS0_14default_configENS1_35radix_sort_onesweep_config_selectorIdNS0_10empty_typeEEEZZNS1_29radix_sort_onesweep_iterationIS3_Lb0EPKdPdPS5_SB_mNS0_19identity_decomposerENS1_16block_id_wrapperIjLb1EEEEE10hipError_tT1_PNSt15iterator_traitsISG_E10value_typeET2_T3_PNSH_ISM_E10value_typeET4_T5_PSR_SS_PNS1_23onesweep_lookback_stateEbbT6_jjT7_P12ihipStream_tbENKUlT_T0_SG_SL_E_clIS9_SA_SB_SB_EEDaSZ_S10_SG_SL_EUlSZ_E_NS1_11comp_targetILNS1_3genE3ELNS1_11target_archE908ELNS1_3gpuE7ELNS1_3repE0EEENS1_47radix_sort_onesweep_sort_config_static_selectorELNS0_4arch9wavefront6targetE0EEEvSG_,@function
_ZN7rocprim17ROCPRIM_400000_NS6detail17trampoline_kernelINS0_14default_configENS1_35radix_sort_onesweep_config_selectorIdNS0_10empty_typeEEEZZNS1_29radix_sort_onesweep_iterationIS3_Lb0EPKdPdPS5_SB_mNS0_19identity_decomposerENS1_16block_id_wrapperIjLb1EEEEE10hipError_tT1_PNSt15iterator_traitsISG_E10value_typeET2_T3_PNSH_ISM_E10value_typeET4_T5_PSR_SS_PNS1_23onesweep_lookback_stateEbbT6_jjT7_P12ihipStream_tbENKUlT_T0_SG_SL_E_clIS9_SA_SB_SB_EEDaSZ_S10_SG_SL_EUlSZ_E_NS1_11comp_targetILNS1_3genE3ELNS1_11target_archE908ELNS1_3gpuE7ELNS1_3repE0EEENS1_47radix_sort_onesweep_sort_config_static_selectorELNS0_4arch9wavefront6targetE0EEEvSG_: ; @_ZN7rocprim17ROCPRIM_400000_NS6detail17trampoline_kernelINS0_14default_configENS1_35radix_sort_onesweep_config_selectorIdNS0_10empty_typeEEEZZNS1_29radix_sort_onesweep_iterationIS3_Lb0EPKdPdPS5_SB_mNS0_19identity_decomposerENS1_16block_id_wrapperIjLb1EEEEE10hipError_tT1_PNSt15iterator_traitsISG_E10value_typeET2_T3_PNSH_ISM_E10value_typeET4_T5_PSR_SS_PNS1_23onesweep_lookback_stateEbbT6_jjT7_P12ihipStream_tbENKUlT_T0_SG_SL_E_clIS9_SA_SB_SB_EEDaSZ_S10_SG_SL_EUlSZ_E_NS1_11comp_targetILNS1_3genE3ELNS1_11target_archE908ELNS1_3gpuE7ELNS1_3repE0EEENS1_47radix_sort_onesweep_sort_config_static_selectorELNS0_4arch9wavefront6targetE0EEEvSG_
; %bb.0:
	.section	.rodata,"a",@progbits
	.p2align	6, 0x0
	.amdhsa_kernel _ZN7rocprim17ROCPRIM_400000_NS6detail17trampoline_kernelINS0_14default_configENS1_35radix_sort_onesweep_config_selectorIdNS0_10empty_typeEEEZZNS1_29radix_sort_onesweep_iterationIS3_Lb0EPKdPdPS5_SB_mNS0_19identity_decomposerENS1_16block_id_wrapperIjLb1EEEEE10hipError_tT1_PNSt15iterator_traitsISG_E10value_typeET2_T3_PNSH_ISM_E10value_typeET4_T5_PSR_SS_PNS1_23onesweep_lookback_stateEbbT6_jjT7_P12ihipStream_tbENKUlT_T0_SG_SL_E_clIS9_SA_SB_SB_EEDaSZ_S10_SG_SL_EUlSZ_E_NS1_11comp_targetILNS1_3genE3ELNS1_11target_archE908ELNS1_3gpuE7ELNS1_3repE0EEENS1_47radix_sort_onesweep_sort_config_static_selectorELNS0_4arch9wavefront6targetE0EEEvSG_
		.amdhsa_group_segment_fixed_size 0
		.amdhsa_private_segment_fixed_size 0
		.amdhsa_kernarg_size 88
		.amdhsa_user_sgpr_count 2
		.amdhsa_user_sgpr_dispatch_ptr 0
		.amdhsa_user_sgpr_queue_ptr 0
		.amdhsa_user_sgpr_kernarg_segment_ptr 1
		.amdhsa_user_sgpr_dispatch_id 0
		.amdhsa_user_sgpr_kernarg_preload_length 0
		.amdhsa_user_sgpr_kernarg_preload_offset 0
		.amdhsa_user_sgpr_private_segment_size 0
		.amdhsa_wavefront_size32 1
		.amdhsa_uses_dynamic_stack 0
		.amdhsa_enable_private_segment 0
		.amdhsa_system_sgpr_workgroup_id_x 1
		.amdhsa_system_sgpr_workgroup_id_y 0
		.amdhsa_system_sgpr_workgroup_id_z 0
		.amdhsa_system_sgpr_workgroup_info 0
		.amdhsa_system_vgpr_workitem_id 0
		.amdhsa_next_free_vgpr 1
		.amdhsa_next_free_sgpr 1
		.amdhsa_named_barrier_count 0
		.amdhsa_reserve_vcc 0
		.amdhsa_float_round_mode_32 0
		.amdhsa_float_round_mode_16_64 0
		.amdhsa_float_denorm_mode_32 3
		.amdhsa_float_denorm_mode_16_64 3
		.amdhsa_fp16_overflow 0
		.amdhsa_memory_ordered 1
		.amdhsa_forward_progress 1
		.amdhsa_inst_pref_size 0
		.amdhsa_round_robin_scheduling 0
		.amdhsa_exception_fp_ieee_invalid_op 0
		.amdhsa_exception_fp_denorm_src 0
		.amdhsa_exception_fp_ieee_div_zero 0
		.amdhsa_exception_fp_ieee_overflow 0
		.amdhsa_exception_fp_ieee_underflow 0
		.amdhsa_exception_fp_ieee_inexact 0
		.amdhsa_exception_int_div_zero 0
	.end_amdhsa_kernel
	.section	.text._ZN7rocprim17ROCPRIM_400000_NS6detail17trampoline_kernelINS0_14default_configENS1_35radix_sort_onesweep_config_selectorIdNS0_10empty_typeEEEZZNS1_29radix_sort_onesweep_iterationIS3_Lb0EPKdPdPS5_SB_mNS0_19identity_decomposerENS1_16block_id_wrapperIjLb1EEEEE10hipError_tT1_PNSt15iterator_traitsISG_E10value_typeET2_T3_PNSH_ISM_E10value_typeET4_T5_PSR_SS_PNS1_23onesweep_lookback_stateEbbT6_jjT7_P12ihipStream_tbENKUlT_T0_SG_SL_E_clIS9_SA_SB_SB_EEDaSZ_S10_SG_SL_EUlSZ_E_NS1_11comp_targetILNS1_3genE3ELNS1_11target_archE908ELNS1_3gpuE7ELNS1_3repE0EEENS1_47radix_sort_onesweep_sort_config_static_selectorELNS0_4arch9wavefront6targetE0EEEvSG_,"axG",@progbits,_ZN7rocprim17ROCPRIM_400000_NS6detail17trampoline_kernelINS0_14default_configENS1_35radix_sort_onesweep_config_selectorIdNS0_10empty_typeEEEZZNS1_29radix_sort_onesweep_iterationIS3_Lb0EPKdPdPS5_SB_mNS0_19identity_decomposerENS1_16block_id_wrapperIjLb1EEEEE10hipError_tT1_PNSt15iterator_traitsISG_E10value_typeET2_T3_PNSH_ISM_E10value_typeET4_T5_PSR_SS_PNS1_23onesweep_lookback_stateEbbT6_jjT7_P12ihipStream_tbENKUlT_T0_SG_SL_E_clIS9_SA_SB_SB_EEDaSZ_S10_SG_SL_EUlSZ_E_NS1_11comp_targetILNS1_3genE3ELNS1_11target_archE908ELNS1_3gpuE7ELNS1_3repE0EEENS1_47radix_sort_onesweep_sort_config_static_selectorELNS0_4arch9wavefront6targetE0EEEvSG_,comdat
.Lfunc_end1610:
	.size	_ZN7rocprim17ROCPRIM_400000_NS6detail17trampoline_kernelINS0_14default_configENS1_35radix_sort_onesweep_config_selectorIdNS0_10empty_typeEEEZZNS1_29radix_sort_onesweep_iterationIS3_Lb0EPKdPdPS5_SB_mNS0_19identity_decomposerENS1_16block_id_wrapperIjLb1EEEEE10hipError_tT1_PNSt15iterator_traitsISG_E10value_typeET2_T3_PNSH_ISM_E10value_typeET4_T5_PSR_SS_PNS1_23onesweep_lookback_stateEbbT6_jjT7_P12ihipStream_tbENKUlT_T0_SG_SL_E_clIS9_SA_SB_SB_EEDaSZ_S10_SG_SL_EUlSZ_E_NS1_11comp_targetILNS1_3genE3ELNS1_11target_archE908ELNS1_3gpuE7ELNS1_3repE0EEENS1_47radix_sort_onesweep_sort_config_static_selectorELNS0_4arch9wavefront6targetE0EEEvSG_, .Lfunc_end1610-_ZN7rocprim17ROCPRIM_400000_NS6detail17trampoline_kernelINS0_14default_configENS1_35radix_sort_onesweep_config_selectorIdNS0_10empty_typeEEEZZNS1_29radix_sort_onesweep_iterationIS3_Lb0EPKdPdPS5_SB_mNS0_19identity_decomposerENS1_16block_id_wrapperIjLb1EEEEE10hipError_tT1_PNSt15iterator_traitsISG_E10value_typeET2_T3_PNSH_ISM_E10value_typeET4_T5_PSR_SS_PNS1_23onesweep_lookback_stateEbbT6_jjT7_P12ihipStream_tbENKUlT_T0_SG_SL_E_clIS9_SA_SB_SB_EEDaSZ_S10_SG_SL_EUlSZ_E_NS1_11comp_targetILNS1_3genE3ELNS1_11target_archE908ELNS1_3gpuE7ELNS1_3repE0EEENS1_47radix_sort_onesweep_sort_config_static_selectorELNS0_4arch9wavefront6targetE0EEEvSG_
                                        ; -- End function
	.set _ZN7rocprim17ROCPRIM_400000_NS6detail17trampoline_kernelINS0_14default_configENS1_35radix_sort_onesweep_config_selectorIdNS0_10empty_typeEEEZZNS1_29radix_sort_onesweep_iterationIS3_Lb0EPKdPdPS5_SB_mNS0_19identity_decomposerENS1_16block_id_wrapperIjLb1EEEEE10hipError_tT1_PNSt15iterator_traitsISG_E10value_typeET2_T3_PNSH_ISM_E10value_typeET4_T5_PSR_SS_PNS1_23onesweep_lookback_stateEbbT6_jjT7_P12ihipStream_tbENKUlT_T0_SG_SL_E_clIS9_SA_SB_SB_EEDaSZ_S10_SG_SL_EUlSZ_E_NS1_11comp_targetILNS1_3genE3ELNS1_11target_archE908ELNS1_3gpuE7ELNS1_3repE0EEENS1_47radix_sort_onesweep_sort_config_static_selectorELNS0_4arch9wavefront6targetE0EEEvSG_.num_vgpr, 0
	.set _ZN7rocprim17ROCPRIM_400000_NS6detail17trampoline_kernelINS0_14default_configENS1_35radix_sort_onesweep_config_selectorIdNS0_10empty_typeEEEZZNS1_29radix_sort_onesweep_iterationIS3_Lb0EPKdPdPS5_SB_mNS0_19identity_decomposerENS1_16block_id_wrapperIjLb1EEEEE10hipError_tT1_PNSt15iterator_traitsISG_E10value_typeET2_T3_PNSH_ISM_E10value_typeET4_T5_PSR_SS_PNS1_23onesweep_lookback_stateEbbT6_jjT7_P12ihipStream_tbENKUlT_T0_SG_SL_E_clIS9_SA_SB_SB_EEDaSZ_S10_SG_SL_EUlSZ_E_NS1_11comp_targetILNS1_3genE3ELNS1_11target_archE908ELNS1_3gpuE7ELNS1_3repE0EEENS1_47radix_sort_onesweep_sort_config_static_selectorELNS0_4arch9wavefront6targetE0EEEvSG_.num_agpr, 0
	.set _ZN7rocprim17ROCPRIM_400000_NS6detail17trampoline_kernelINS0_14default_configENS1_35radix_sort_onesweep_config_selectorIdNS0_10empty_typeEEEZZNS1_29radix_sort_onesweep_iterationIS3_Lb0EPKdPdPS5_SB_mNS0_19identity_decomposerENS1_16block_id_wrapperIjLb1EEEEE10hipError_tT1_PNSt15iterator_traitsISG_E10value_typeET2_T3_PNSH_ISM_E10value_typeET4_T5_PSR_SS_PNS1_23onesweep_lookback_stateEbbT6_jjT7_P12ihipStream_tbENKUlT_T0_SG_SL_E_clIS9_SA_SB_SB_EEDaSZ_S10_SG_SL_EUlSZ_E_NS1_11comp_targetILNS1_3genE3ELNS1_11target_archE908ELNS1_3gpuE7ELNS1_3repE0EEENS1_47radix_sort_onesweep_sort_config_static_selectorELNS0_4arch9wavefront6targetE0EEEvSG_.numbered_sgpr, 0
	.set _ZN7rocprim17ROCPRIM_400000_NS6detail17trampoline_kernelINS0_14default_configENS1_35radix_sort_onesweep_config_selectorIdNS0_10empty_typeEEEZZNS1_29radix_sort_onesweep_iterationIS3_Lb0EPKdPdPS5_SB_mNS0_19identity_decomposerENS1_16block_id_wrapperIjLb1EEEEE10hipError_tT1_PNSt15iterator_traitsISG_E10value_typeET2_T3_PNSH_ISM_E10value_typeET4_T5_PSR_SS_PNS1_23onesweep_lookback_stateEbbT6_jjT7_P12ihipStream_tbENKUlT_T0_SG_SL_E_clIS9_SA_SB_SB_EEDaSZ_S10_SG_SL_EUlSZ_E_NS1_11comp_targetILNS1_3genE3ELNS1_11target_archE908ELNS1_3gpuE7ELNS1_3repE0EEENS1_47radix_sort_onesweep_sort_config_static_selectorELNS0_4arch9wavefront6targetE0EEEvSG_.num_named_barrier, 0
	.set _ZN7rocprim17ROCPRIM_400000_NS6detail17trampoline_kernelINS0_14default_configENS1_35radix_sort_onesweep_config_selectorIdNS0_10empty_typeEEEZZNS1_29radix_sort_onesweep_iterationIS3_Lb0EPKdPdPS5_SB_mNS0_19identity_decomposerENS1_16block_id_wrapperIjLb1EEEEE10hipError_tT1_PNSt15iterator_traitsISG_E10value_typeET2_T3_PNSH_ISM_E10value_typeET4_T5_PSR_SS_PNS1_23onesweep_lookback_stateEbbT6_jjT7_P12ihipStream_tbENKUlT_T0_SG_SL_E_clIS9_SA_SB_SB_EEDaSZ_S10_SG_SL_EUlSZ_E_NS1_11comp_targetILNS1_3genE3ELNS1_11target_archE908ELNS1_3gpuE7ELNS1_3repE0EEENS1_47radix_sort_onesweep_sort_config_static_selectorELNS0_4arch9wavefront6targetE0EEEvSG_.private_seg_size, 0
	.set _ZN7rocprim17ROCPRIM_400000_NS6detail17trampoline_kernelINS0_14default_configENS1_35radix_sort_onesweep_config_selectorIdNS0_10empty_typeEEEZZNS1_29radix_sort_onesweep_iterationIS3_Lb0EPKdPdPS5_SB_mNS0_19identity_decomposerENS1_16block_id_wrapperIjLb1EEEEE10hipError_tT1_PNSt15iterator_traitsISG_E10value_typeET2_T3_PNSH_ISM_E10value_typeET4_T5_PSR_SS_PNS1_23onesweep_lookback_stateEbbT6_jjT7_P12ihipStream_tbENKUlT_T0_SG_SL_E_clIS9_SA_SB_SB_EEDaSZ_S10_SG_SL_EUlSZ_E_NS1_11comp_targetILNS1_3genE3ELNS1_11target_archE908ELNS1_3gpuE7ELNS1_3repE0EEENS1_47radix_sort_onesweep_sort_config_static_selectorELNS0_4arch9wavefront6targetE0EEEvSG_.uses_vcc, 0
	.set _ZN7rocprim17ROCPRIM_400000_NS6detail17trampoline_kernelINS0_14default_configENS1_35radix_sort_onesweep_config_selectorIdNS0_10empty_typeEEEZZNS1_29radix_sort_onesweep_iterationIS3_Lb0EPKdPdPS5_SB_mNS0_19identity_decomposerENS1_16block_id_wrapperIjLb1EEEEE10hipError_tT1_PNSt15iterator_traitsISG_E10value_typeET2_T3_PNSH_ISM_E10value_typeET4_T5_PSR_SS_PNS1_23onesweep_lookback_stateEbbT6_jjT7_P12ihipStream_tbENKUlT_T0_SG_SL_E_clIS9_SA_SB_SB_EEDaSZ_S10_SG_SL_EUlSZ_E_NS1_11comp_targetILNS1_3genE3ELNS1_11target_archE908ELNS1_3gpuE7ELNS1_3repE0EEENS1_47radix_sort_onesweep_sort_config_static_selectorELNS0_4arch9wavefront6targetE0EEEvSG_.uses_flat_scratch, 0
	.set _ZN7rocprim17ROCPRIM_400000_NS6detail17trampoline_kernelINS0_14default_configENS1_35radix_sort_onesweep_config_selectorIdNS0_10empty_typeEEEZZNS1_29radix_sort_onesweep_iterationIS3_Lb0EPKdPdPS5_SB_mNS0_19identity_decomposerENS1_16block_id_wrapperIjLb1EEEEE10hipError_tT1_PNSt15iterator_traitsISG_E10value_typeET2_T3_PNSH_ISM_E10value_typeET4_T5_PSR_SS_PNS1_23onesweep_lookback_stateEbbT6_jjT7_P12ihipStream_tbENKUlT_T0_SG_SL_E_clIS9_SA_SB_SB_EEDaSZ_S10_SG_SL_EUlSZ_E_NS1_11comp_targetILNS1_3genE3ELNS1_11target_archE908ELNS1_3gpuE7ELNS1_3repE0EEENS1_47radix_sort_onesweep_sort_config_static_selectorELNS0_4arch9wavefront6targetE0EEEvSG_.has_dyn_sized_stack, 0
	.set _ZN7rocprim17ROCPRIM_400000_NS6detail17trampoline_kernelINS0_14default_configENS1_35radix_sort_onesweep_config_selectorIdNS0_10empty_typeEEEZZNS1_29radix_sort_onesweep_iterationIS3_Lb0EPKdPdPS5_SB_mNS0_19identity_decomposerENS1_16block_id_wrapperIjLb1EEEEE10hipError_tT1_PNSt15iterator_traitsISG_E10value_typeET2_T3_PNSH_ISM_E10value_typeET4_T5_PSR_SS_PNS1_23onesweep_lookback_stateEbbT6_jjT7_P12ihipStream_tbENKUlT_T0_SG_SL_E_clIS9_SA_SB_SB_EEDaSZ_S10_SG_SL_EUlSZ_E_NS1_11comp_targetILNS1_3genE3ELNS1_11target_archE908ELNS1_3gpuE7ELNS1_3repE0EEENS1_47radix_sort_onesweep_sort_config_static_selectorELNS0_4arch9wavefront6targetE0EEEvSG_.has_recursion, 0
	.set _ZN7rocprim17ROCPRIM_400000_NS6detail17trampoline_kernelINS0_14default_configENS1_35radix_sort_onesweep_config_selectorIdNS0_10empty_typeEEEZZNS1_29radix_sort_onesweep_iterationIS3_Lb0EPKdPdPS5_SB_mNS0_19identity_decomposerENS1_16block_id_wrapperIjLb1EEEEE10hipError_tT1_PNSt15iterator_traitsISG_E10value_typeET2_T3_PNSH_ISM_E10value_typeET4_T5_PSR_SS_PNS1_23onesweep_lookback_stateEbbT6_jjT7_P12ihipStream_tbENKUlT_T0_SG_SL_E_clIS9_SA_SB_SB_EEDaSZ_S10_SG_SL_EUlSZ_E_NS1_11comp_targetILNS1_3genE3ELNS1_11target_archE908ELNS1_3gpuE7ELNS1_3repE0EEENS1_47radix_sort_onesweep_sort_config_static_selectorELNS0_4arch9wavefront6targetE0EEEvSG_.has_indirect_call, 0
	.section	.AMDGPU.csdata,"",@progbits
; Kernel info:
; codeLenInByte = 0
; TotalNumSgprs: 0
; NumVgprs: 0
; ScratchSize: 0
; MemoryBound: 0
; FloatMode: 240
; IeeeMode: 1
; LDSByteSize: 0 bytes/workgroup (compile time only)
; SGPRBlocks: 0
; VGPRBlocks: 0
; NumSGPRsForWavesPerEU: 1
; NumVGPRsForWavesPerEU: 1
; NamedBarCnt: 0
; Occupancy: 16
; WaveLimiterHint : 0
; COMPUTE_PGM_RSRC2:SCRATCH_EN: 0
; COMPUTE_PGM_RSRC2:USER_SGPR: 2
; COMPUTE_PGM_RSRC2:TRAP_HANDLER: 0
; COMPUTE_PGM_RSRC2:TGID_X_EN: 1
; COMPUTE_PGM_RSRC2:TGID_Y_EN: 0
; COMPUTE_PGM_RSRC2:TGID_Z_EN: 0
; COMPUTE_PGM_RSRC2:TIDIG_COMP_CNT: 0
	.section	.text._ZN7rocprim17ROCPRIM_400000_NS6detail17trampoline_kernelINS0_14default_configENS1_35radix_sort_onesweep_config_selectorIdNS0_10empty_typeEEEZZNS1_29radix_sort_onesweep_iterationIS3_Lb0EPKdPdPS5_SB_mNS0_19identity_decomposerENS1_16block_id_wrapperIjLb1EEEEE10hipError_tT1_PNSt15iterator_traitsISG_E10value_typeET2_T3_PNSH_ISM_E10value_typeET4_T5_PSR_SS_PNS1_23onesweep_lookback_stateEbbT6_jjT7_P12ihipStream_tbENKUlT_T0_SG_SL_E_clIS9_SA_SB_SB_EEDaSZ_S10_SG_SL_EUlSZ_E_NS1_11comp_targetILNS1_3genE10ELNS1_11target_archE1201ELNS1_3gpuE5ELNS1_3repE0EEENS1_47radix_sort_onesweep_sort_config_static_selectorELNS0_4arch9wavefront6targetE0EEEvSG_,"axG",@progbits,_ZN7rocprim17ROCPRIM_400000_NS6detail17trampoline_kernelINS0_14default_configENS1_35radix_sort_onesweep_config_selectorIdNS0_10empty_typeEEEZZNS1_29radix_sort_onesweep_iterationIS3_Lb0EPKdPdPS5_SB_mNS0_19identity_decomposerENS1_16block_id_wrapperIjLb1EEEEE10hipError_tT1_PNSt15iterator_traitsISG_E10value_typeET2_T3_PNSH_ISM_E10value_typeET4_T5_PSR_SS_PNS1_23onesweep_lookback_stateEbbT6_jjT7_P12ihipStream_tbENKUlT_T0_SG_SL_E_clIS9_SA_SB_SB_EEDaSZ_S10_SG_SL_EUlSZ_E_NS1_11comp_targetILNS1_3genE10ELNS1_11target_archE1201ELNS1_3gpuE5ELNS1_3repE0EEENS1_47radix_sort_onesweep_sort_config_static_selectorELNS0_4arch9wavefront6targetE0EEEvSG_,comdat
	.protected	_ZN7rocprim17ROCPRIM_400000_NS6detail17trampoline_kernelINS0_14default_configENS1_35radix_sort_onesweep_config_selectorIdNS0_10empty_typeEEEZZNS1_29radix_sort_onesweep_iterationIS3_Lb0EPKdPdPS5_SB_mNS0_19identity_decomposerENS1_16block_id_wrapperIjLb1EEEEE10hipError_tT1_PNSt15iterator_traitsISG_E10value_typeET2_T3_PNSH_ISM_E10value_typeET4_T5_PSR_SS_PNS1_23onesweep_lookback_stateEbbT6_jjT7_P12ihipStream_tbENKUlT_T0_SG_SL_E_clIS9_SA_SB_SB_EEDaSZ_S10_SG_SL_EUlSZ_E_NS1_11comp_targetILNS1_3genE10ELNS1_11target_archE1201ELNS1_3gpuE5ELNS1_3repE0EEENS1_47radix_sort_onesweep_sort_config_static_selectorELNS0_4arch9wavefront6targetE0EEEvSG_ ; -- Begin function _ZN7rocprim17ROCPRIM_400000_NS6detail17trampoline_kernelINS0_14default_configENS1_35radix_sort_onesweep_config_selectorIdNS0_10empty_typeEEEZZNS1_29radix_sort_onesweep_iterationIS3_Lb0EPKdPdPS5_SB_mNS0_19identity_decomposerENS1_16block_id_wrapperIjLb1EEEEE10hipError_tT1_PNSt15iterator_traitsISG_E10value_typeET2_T3_PNSH_ISM_E10value_typeET4_T5_PSR_SS_PNS1_23onesweep_lookback_stateEbbT6_jjT7_P12ihipStream_tbENKUlT_T0_SG_SL_E_clIS9_SA_SB_SB_EEDaSZ_S10_SG_SL_EUlSZ_E_NS1_11comp_targetILNS1_3genE10ELNS1_11target_archE1201ELNS1_3gpuE5ELNS1_3repE0EEENS1_47radix_sort_onesweep_sort_config_static_selectorELNS0_4arch9wavefront6targetE0EEEvSG_
	.globl	_ZN7rocprim17ROCPRIM_400000_NS6detail17trampoline_kernelINS0_14default_configENS1_35radix_sort_onesweep_config_selectorIdNS0_10empty_typeEEEZZNS1_29radix_sort_onesweep_iterationIS3_Lb0EPKdPdPS5_SB_mNS0_19identity_decomposerENS1_16block_id_wrapperIjLb1EEEEE10hipError_tT1_PNSt15iterator_traitsISG_E10value_typeET2_T3_PNSH_ISM_E10value_typeET4_T5_PSR_SS_PNS1_23onesweep_lookback_stateEbbT6_jjT7_P12ihipStream_tbENKUlT_T0_SG_SL_E_clIS9_SA_SB_SB_EEDaSZ_S10_SG_SL_EUlSZ_E_NS1_11comp_targetILNS1_3genE10ELNS1_11target_archE1201ELNS1_3gpuE5ELNS1_3repE0EEENS1_47radix_sort_onesweep_sort_config_static_selectorELNS0_4arch9wavefront6targetE0EEEvSG_
	.p2align	8
	.type	_ZN7rocprim17ROCPRIM_400000_NS6detail17trampoline_kernelINS0_14default_configENS1_35radix_sort_onesweep_config_selectorIdNS0_10empty_typeEEEZZNS1_29radix_sort_onesweep_iterationIS3_Lb0EPKdPdPS5_SB_mNS0_19identity_decomposerENS1_16block_id_wrapperIjLb1EEEEE10hipError_tT1_PNSt15iterator_traitsISG_E10value_typeET2_T3_PNSH_ISM_E10value_typeET4_T5_PSR_SS_PNS1_23onesweep_lookback_stateEbbT6_jjT7_P12ihipStream_tbENKUlT_T0_SG_SL_E_clIS9_SA_SB_SB_EEDaSZ_S10_SG_SL_EUlSZ_E_NS1_11comp_targetILNS1_3genE10ELNS1_11target_archE1201ELNS1_3gpuE5ELNS1_3repE0EEENS1_47radix_sort_onesweep_sort_config_static_selectorELNS0_4arch9wavefront6targetE0EEEvSG_,@function
_ZN7rocprim17ROCPRIM_400000_NS6detail17trampoline_kernelINS0_14default_configENS1_35radix_sort_onesweep_config_selectorIdNS0_10empty_typeEEEZZNS1_29radix_sort_onesweep_iterationIS3_Lb0EPKdPdPS5_SB_mNS0_19identity_decomposerENS1_16block_id_wrapperIjLb1EEEEE10hipError_tT1_PNSt15iterator_traitsISG_E10value_typeET2_T3_PNSH_ISM_E10value_typeET4_T5_PSR_SS_PNS1_23onesweep_lookback_stateEbbT6_jjT7_P12ihipStream_tbENKUlT_T0_SG_SL_E_clIS9_SA_SB_SB_EEDaSZ_S10_SG_SL_EUlSZ_E_NS1_11comp_targetILNS1_3genE10ELNS1_11target_archE1201ELNS1_3gpuE5ELNS1_3repE0EEENS1_47radix_sort_onesweep_sort_config_static_selectorELNS0_4arch9wavefront6targetE0EEEvSG_: ; @_ZN7rocprim17ROCPRIM_400000_NS6detail17trampoline_kernelINS0_14default_configENS1_35radix_sort_onesweep_config_selectorIdNS0_10empty_typeEEEZZNS1_29radix_sort_onesweep_iterationIS3_Lb0EPKdPdPS5_SB_mNS0_19identity_decomposerENS1_16block_id_wrapperIjLb1EEEEE10hipError_tT1_PNSt15iterator_traitsISG_E10value_typeET2_T3_PNSH_ISM_E10value_typeET4_T5_PSR_SS_PNS1_23onesweep_lookback_stateEbbT6_jjT7_P12ihipStream_tbENKUlT_T0_SG_SL_E_clIS9_SA_SB_SB_EEDaSZ_S10_SG_SL_EUlSZ_E_NS1_11comp_targetILNS1_3genE10ELNS1_11target_archE1201ELNS1_3gpuE5ELNS1_3repE0EEENS1_47radix_sort_onesweep_sort_config_static_selectorELNS0_4arch9wavefront6targetE0EEEvSG_
; %bb.0:
	.section	.rodata,"a",@progbits
	.p2align	6, 0x0
	.amdhsa_kernel _ZN7rocprim17ROCPRIM_400000_NS6detail17trampoline_kernelINS0_14default_configENS1_35radix_sort_onesweep_config_selectorIdNS0_10empty_typeEEEZZNS1_29radix_sort_onesweep_iterationIS3_Lb0EPKdPdPS5_SB_mNS0_19identity_decomposerENS1_16block_id_wrapperIjLb1EEEEE10hipError_tT1_PNSt15iterator_traitsISG_E10value_typeET2_T3_PNSH_ISM_E10value_typeET4_T5_PSR_SS_PNS1_23onesweep_lookback_stateEbbT6_jjT7_P12ihipStream_tbENKUlT_T0_SG_SL_E_clIS9_SA_SB_SB_EEDaSZ_S10_SG_SL_EUlSZ_E_NS1_11comp_targetILNS1_3genE10ELNS1_11target_archE1201ELNS1_3gpuE5ELNS1_3repE0EEENS1_47radix_sort_onesweep_sort_config_static_selectorELNS0_4arch9wavefront6targetE0EEEvSG_
		.amdhsa_group_segment_fixed_size 0
		.amdhsa_private_segment_fixed_size 0
		.amdhsa_kernarg_size 88
		.amdhsa_user_sgpr_count 2
		.amdhsa_user_sgpr_dispatch_ptr 0
		.amdhsa_user_sgpr_queue_ptr 0
		.amdhsa_user_sgpr_kernarg_segment_ptr 1
		.amdhsa_user_sgpr_dispatch_id 0
		.amdhsa_user_sgpr_kernarg_preload_length 0
		.amdhsa_user_sgpr_kernarg_preload_offset 0
		.amdhsa_user_sgpr_private_segment_size 0
		.amdhsa_wavefront_size32 1
		.amdhsa_uses_dynamic_stack 0
		.amdhsa_enable_private_segment 0
		.amdhsa_system_sgpr_workgroup_id_x 1
		.amdhsa_system_sgpr_workgroup_id_y 0
		.amdhsa_system_sgpr_workgroup_id_z 0
		.amdhsa_system_sgpr_workgroup_info 0
		.amdhsa_system_vgpr_workitem_id 0
		.amdhsa_next_free_vgpr 1
		.amdhsa_next_free_sgpr 1
		.amdhsa_named_barrier_count 0
		.amdhsa_reserve_vcc 0
		.amdhsa_float_round_mode_32 0
		.amdhsa_float_round_mode_16_64 0
		.amdhsa_float_denorm_mode_32 3
		.amdhsa_float_denorm_mode_16_64 3
		.amdhsa_fp16_overflow 0
		.amdhsa_memory_ordered 1
		.amdhsa_forward_progress 1
		.amdhsa_inst_pref_size 0
		.amdhsa_round_robin_scheduling 0
		.amdhsa_exception_fp_ieee_invalid_op 0
		.amdhsa_exception_fp_denorm_src 0
		.amdhsa_exception_fp_ieee_div_zero 0
		.amdhsa_exception_fp_ieee_overflow 0
		.amdhsa_exception_fp_ieee_underflow 0
		.amdhsa_exception_fp_ieee_inexact 0
		.amdhsa_exception_int_div_zero 0
	.end_amdhsa_kernel
	.section	.text._ZN7rocprim17ROCPRIM_400000_NS6detail17trampoline_kernelINS0_14default_configENS1_35radix_sort_onesweep_config_selectorIdNS0_10empty_typeEEEZZNS1_29radix_sort_onesweep_iterationIS3_Lb0EPKdPdPS5_SB_mNS0_19identity_decomposerENS1_16block_id_wrapperIjLb1EEEEE10hipError_tT1_PNSt15iterator_traitsISG_E10value_typeET2_T3_PNSH_ISM_E10value_typeET4_T5_PSR_SS_PNS1_23onesweep_lookback_stateEbbT6_jjT7_P12ihipStream_tbENKUlT_T0_SG_SL_E_clIS9_SA_SB_SB_EEDaSZ_S10_SG_SL_EUlSZ_E_NS1_11comp_targetILNS1_3genE10ELNS1_11target_archE1201ELNS1_3gpuE5ELNS1_3repE0EEENS1_47radix_sort_onesweep_sort_config_static_selectorELNS0_4arch9wavefront6targetE0EEEvSG_,"axG",@progbits,_ZN7rocprim17ROCPRIM_400000_NS6detail17trampoline_kernelINS0_14default_configENS1_35radix_sort_onesweep_config_selectorIdNS0_10empty_typeEEEZZNS1_29radix_sort_onesweep_iterationIS3_Lb0EPKdPdPS5_SB_mNS0_19identity_decomposerENS1_16block_id_wrapperIjLb1EEEEE10hipError_tT1_PNSt15iterator_traitsISG_E10value_typeET2_T3_PNSH_ISM_E10value_typeET4_T5_PSR_SS_PNS1_23onesweep_lookback_stateEbbT6_jjT7_P12ihipStream_tbENKUlT_T0_SG_SL_E_clIS9_SA_SB_SB_EEDaSZ_S10_SG_SL_EUlSZ_E_NS1_11comp_targetILNS1_3genE10ELNS1_11target_archE1201ELNS1_3gpuE5ELNS1_3repE0EEENS1_47radix_sort_onesweep_sort_config_static_selectorELNS0_4arch9wavefront6targetE0EEEvSG_,comdat
.Lfunc_end1611:
	.size	_ZN7rocprim17ROCPRIM_400000_NS6detail17trampoline_kernelINS0_14default_configENS1_35radix_sort_onesweep_config_selectorIdNS0_10empty_typeEEEZZNS1_29radix_sort_onesweep_iterationIS3_Lb0EPKdPdPS5_SB_mNS0_19identity_decomposerENS1_16block_id_wrapperIjLb1EEEEE10hipError_tT1_PNSt15iterator_traitsISG_E10value_typeET2_T3_PNSH_ISM_E10value_typeET4_T5_PSR_SS_PNS1_23onesweep_lookback_stateEbbT6_jjT7_P12ihipStream_tbENKUlT_T0_SG_SL_E_clIS9_SA_SB_SB_EEDaSZ_S10_SG_SL_EUlSZ_E_NS1_11comp_targetILNS1_3genE10ELNS1_11target_archE1201ELNS1_3gpuE5ELNS1_3repE0EEENS1_47radix_sort_onesweep_sort_config_static_selectorELNS0_4arch9wavefront6targetE0EEEvSG_, .Lfunc_end1611-_ZN7rocprim17ROCPRIM_400000_NS6detail17trampoline_kernelINS0_14default_configENS1_35radix_sort_onesweep_config_selectorIdNS0_10empty_typeEEEZZNS1_29radix_sort_onesweep_iterationIS3_Lb0EPKdPdPS5_SB_mNS0_19identity_decomposerENS1_16block_id_wrapperIjLb1EEEEE10hipError_tT1_PNSt15iterator_traitsISG_E10value_typeET2_T3_PNSH_ISM_E10value_typeET4_T5_PSR_SS_PNS1_23onesweep_lookback_stateEbbT6_jjT7_P12ihipStream_tbENKUlT_T0_SG_SL_E_clIS9_SA_SB_SB_EEDaSZ_S10_SG_SL_EUlSZ_E_NS1_11comp_targetILNS1_3genE10ELNS1_11target_archE1201ELNS1_3gpuE5ELNS1_3repE0EEENS1_47radix_sort_onesweep_sort_config_static_selectorELNS0_4arch9wavefront6targetE0EEEvSG_
                                        ; -- End function
	.set _ZN7rocprim17ROCPRIM_400000_NS6detail17trampoline_kernelINS0_14default_configENS1_35radix_sort_onesweep_config_selectorIdNS0_10empty_typeEEEZZNS1_29radix_sort_onesweep_iterationIS3_Lb0EPKdPdPS5_SB_mNS0_19identity_decomposerENS1_16block_id_wrapperIjLb1EEEEE10hipError_tT1_PNSt15iterator_traitsISG_E10value_typeET2_T3_PNSH_ISM_E10value_typeET4_T5_PSR_SS_PNS1_23onesweep_lookback_stateEbbT6_jjT7_P12ihipStream_tbENKUlT_T0_SG_SL_E_clIS9_SA_SB_SB_EEDaSZ_S10_SG_SL_EUlSZ_E_NS1_11comp_targetILNS1_3genE10ELNS1_11target_archE1201ELNS1_3gpuE5ELNS1_3repE0EEENS1_47radix_sort_onesweep_sort_config_static_selectorELNS0_4arch9wavefront6targetE0EEEvSG_.num_vgpr, 0
	.set _ZN7rocprim17ROCPRIM_400000_NS6detail17trampoline_kernelINS0_14default_configENS1_35radix_sort_onesweep_config_selectorIdNS0_10empty_typeEEEZZNS1_29radix_sort_onesweep_iterationIS3_Lb0EPKdPdPS5_SB_mNS0_19identity_decomposerENS1_16block_id_wrapperIjLb1EEEEE10hipError_tT1_PNSt15iterator_traitsISG_E10value_typeET2_T3_PNSH_ISM_E10value_typeET4_T5_PSR_SS_PNS1_23onesweep_lookback_stateEbbT6_jjT7_P12ihipStream_tbENKUlT_T0_SG_SL_E_clIS9_SA_SB_SB_EEDaSZ_S10_SG_SL_EUlSZ_E_NS1_11comp_targetILNS1_3genE10ELNS1_11target_archE1201ELNS1_3gpuE5ELNS1_3repE0EEENS1_47radix_sort_onesweep_sort_config_static_selectorELNS0_4arch9wavefront6targetE0EEEvSG_.num_agpr, 0
	.set _ZN7rocprim17ROCPRIM_400000_NS6detail17trampoline_kernelINS0_14default_configENS1_35radix_sort_onesweep_config_selectorIdNS0_10empty_typeEEEZZNS1_29radix_sort_onesweep_iterationIS3_Lb0EPKdPdPS5_SB_mNS0_19identity_decomposerENS1_16block_id_wrapperIjLb1EEEEE10hipError_tT1_PNSt15iterator_traitsISG_E10value_typeET2_T3_PNSH_ISM_E10value_typeET4_T5_PSR_SS_PNS1_23onesweep_lookback_stateEbbT6_jjT7_P12ihipStream_tbENKUlT_T0_SG_SL_E_clIS9_SA_SB_SB_EEDaSZ_S10_SG_SL_EUlSZ_E_NS1_11comp_targetILNS1_3genE10ELNS1_11target_archE1201ELNS1_3gpuE5ELNS1_3repE0EEENS1_47radix_sort_onesweep_sort_config_static_selectorELNS0_4arch9wavefront6targetE0EEEvSG_.numbered_sgpr, 0
	.set _ZN7rocprim17ROCPRIM_400000_NS6detail17trampoline_kernelINS0_14default_configENS1_35radix_sort_onesweep_config_selectorIdNS0_10empty_typeEEEZZNS1_29radix_sort_onesweep_iterationIS3_Lb0EPKdPdPS5_SB_mNS0_19identity_decomposerENS1_16block_id_wrapperIjLb1EEEEE10hipError_tT1_PNSt15iterator_traitsISG_E10value_typeET2_T3_PNSH_ISM_E10value_typeET4_T5_PSR_SS_PNS1_23onesweep_lookback_stateEbbT6_jjT7_P12ihipStream_tbENKUlT_T0_SG_SL_E_clIS9_SA_SB_SB_EEDaSZ_S10_SG_SL_EUlSZ_E_NS1_11comp_targetILNS1_3genE10ELNS1_11target_archE1201ELNS1_3gpuE5ELNS1_3repE0EEENS1_47radix_sort_onesweep_sort_config_static_selectorELNS0_4arch9wavefront6targetE0EEEvSG_.num_named_barrier, 0
	.set _ZN7rocprim17ROCPRIM_400000_NS6detail17trampoline_kernelINS0_14default_configENS1_35radix_sort_onesweep_config_selectorIdNS0_10empty_typeEEEZZNS1_29radix_sort_onesweep_iterationIS3_Lb0EPKdPdPS5_SB_mNS0_19identity_decomposerENS1_16block_id_wrapperIjLb1EEEEE10hipError_tT1_PNSt15iterator_traitsISG_E10value_typeET2_T3_PNSH_ISM_E10value_typeET4_T5_PSR_SS_PNS1_23onesweep_lookback_stateEbbT6_jjT7_P12ihipStream_tbENKUlT_T0_SG_SL_E_clIS9_SA_SB_SB_EEDaSZ_S10_SG_SL_EUlSZ_E_NS1_11comp_targetILNS1_3genE10ELNS1_11target_archE1201ELNS1_3gpuE5ELNS1_3repE0EEENS1_47radix_sort_onesweep_sort_config_static_selectorELNS0_4arch9wavefront6targetE0EEEvSG_.private_seg_size, 0
	.set _ZN7rocprim17ROCPRIM_400000_NS6detail17trampoline_kernelINS0_14default_configENS1_35radix_sort_onesweep_config_selectorIdNS0_10empty_typeEEEZZNS1_29radix_sort_onesweep_iterationIS3_Lb0EPKdPdPS5_SB_mNS0_19identity_decomposerENS1_16block_id_wrapperIjLb1EEEEE10hipError_tT1_PNSt15iterator_traitsISG_E10value_typeET2_T3_PNSH_ISM_E10value_typeET4_T5_PSR_SS_PNS1_23onesweep_lookback_stateEbbT6_jjT7_P12ihipStream_tbENKUlT_T0_SG_SL_E_clIS9_SA_SB_SB_EEDaSZ_S10_SG_SL_EUlSZ_E_NS1_11comp_targetILNS1_3genE10ELNS1_11target_archE1201ELNS1_3gpuE5ELNS1_3repE0EEENS1_47radix_sort_onesweep_sort_config_static_selectorELNS0_4arch9wavefront6targetE0EEEvSG_.uses_vcc, 0
	.set _ZN7rocprim17ROCPRIM_400000_NS6detail17trampoline_kernelINS0_14default_configENS1_35radix_sort_onesweep_config_selectorIdNS0_10empty_typeEEEZZNS1_29radix_sort_onesweep_iterationIS3_Lb0EPKdPdPS5_SB_mNS0_19identity_decomposerENS1_16block_id_wrapperIjLb1EEEEE10hipError_tT1_PNSt15iterator_traitsISG_E10value_typeET2_T3_PNSH_ISM_E10value_typeET4_T5_PSR_SS_PNS1_23onesweep_lookback_stateEbbT6_jjT7_P12ihipStream_tbENKUlT_T0_SG_SL_E_clIS9_SA_SB_SB_EEDaSZ_S10_SG_SL_EUlSZ_E_NS1_11comp_targetILNS1_3genE10ELNS1_11target_archE1201ELNS1_3gpuE5ELNS1_3repE0EEENS1_47radix_sort_onesweep_sort_config_static_selectorELNS0_4arch9wavefront6targetE0EEEvSG_.uses_flat_scratch, 0
	.set _ZN7rocprim17ROCPRIM_400000_NS6detail17trampoline_kernelINS0_14default_configENS1_35radix_sort_onesweep_config_selectorIdNS0_10empty_typeEEEZZNS1_29radix_sort_onesweep_iterationIS3_Lb0EPKdPdPS5_SB_mNS0_19identity_decomposerENS1_16block_id_wrapperIjLb1EEEEE10hipError_tT1_PNSt15iterator_traitsISG_E10value_typeET2_T3_PNSH_ISM_E10value_typeET4_T5_PSR_SS_PNS1_23onesweep_lookback_stateEbbT6_jjT7_P12ihipStream_tbENKUlT_T0_SG_SL_E_clIS9_SA_SB_SB_EEDaSZ_S10_SG_SL_EUlSZ_E_NS1_11comp_targetILNS1_3genE10ELNS1_11target_archE1201ELNS1_3gpuE5ELNS1_3repE0EEENS1_47radix_sort_onesweep_sort_config_static_selectorELNS0_4arch9wavefront6targetE0EEEvSG_.has_dyn_sized_stack, 0
	.set _ZN7rocprim17ROCPRIM_400000_NS6detail17trampoline_kernelINS0_14default_configENS1_35radix_sort_onesweep_config_selectorIdNS0_10empty_typeEEEZZNS1_29radix_sort_onesweep_iterationIS3_Lb0EPKdPdPS5_SB_mNS0_19identity_decomposerENS1_16block_id_wrapperIjLb1EEEEE10hipError_tT1_PNSt15iterator_traitsISG_E10value_typeET2_T3_PNSH_ISM_E10value_typeET4_T5_PSR_SS_PNS1_23onesweep_lookback_stateEbbT6_jjT7_P12ihipStream_tbENKUlT_T0_SG_SL_E_clIS9_SA_SB_SB_EEDaSZ_S10_SG_SL_EUlSZ_E_NS1_11comp_targetILNS1_3genE10ELNS1_11target_archE1201ELNS1_3gpuE5ELNS1_3repE0EEENS1_47radix_sort_onesweep_sort_config_static_selectorELNS0_4arch9wavefront6targetE0EEEvSG_.has_recursion, 0
	.set _ZN7rocprim17ROCPRIM_400000_NS6detail17trampoline_kernelINS0_14default_configENS1_35radix_sort_onesweep_config_selectorIdNS0_10empty_typeEEEZZNS1_29radix_sort_onesweep_iterationIS3_Lb0EPKdPdPS5_SB_mNS0_19identity_decomposerENS1_16block_id_wrapperIjLb1EEEEE10hipError_tT1_PNSt15iterator_traitsISG_E10value_typeET2_T3_PNSH_ISM_E10value_typeET4_T5_PSR_SS_PNS1_23onesweep_lookback_stateEbbT6_jjT7_P12ihipStream_tbENKUlT_T0_SG_SL_E_clIS9_SA_SB_SB_EEDaSZ_S10_SG_SL_EUlSZ_E_NS1_11comp_targetILNS1_3genE10ELNS1_11target_archE1201ELNS1_3gpuE5ELNS1_3repE0EEENS1_47radix_sort_onesweep_sort_config_static_selectorELNS0_4arch9wavefront6targetE0EEEvSG_.has_indirect_call, 0
	.section	.AMDGPU.csdata,"",@progbits
; Kernel info:
; codeLenInByte = 0
; TotalNumSgprs: 0
; NumVgprs: 0
; ScratchSize: 0
; MemoryBound: 0
; FloatMode: 240
; IeeeMode: 1
; LDSByteSize: 0 bytes/workgroup (compile time only)
; SGPRBlocks: 0
; VGPRBlocks: 0
; NumSGPRsForWavesPerEU: 1
; NumVGPRsForWavesPerEU: 1
; NamedBarCnt: 0
; Occupancy: 16
; WaveLimiterHint : 0
; COMPUTE_PGM_RSRC2:SCRATCH_EN: 0
; COMPUTE_PGM_RSRC2:USER_SGPR: 2
; COMPUTE_PGM_RSRC2:TRAP_HANDLER: 0
; COMPUTE_PGM_RSRC2:TGID_X_EN: 1
; COMPUTE_PGM_RSRC2:TGID_Y_EN: 0
; COMPUTE_PGM_RSRC2:TGID_Z_EN: 0
; COMPUTE_PGM_RSRC2:TIDIG_COMP_CNT: 0
	.section	.text._ZN7rocprim17ROCPRIM_400000_NS6detail17trampoline_kernelINS0_14default_configENS1_35radix_sort_onesweep_config_selectorIdNS0_10empty_typeEEEZZNS1_29radix_sort_onesweep_iterationIS3_Lb0EPKdPdPS5_SB_mNS0_19identity_decomposerENS1_16block_id_wrapperIjLb1EEEEE10hipError_tT1_PNSt15iterator_traitsISG_E10value_typeET2_T3_PNSH_ISM_E10value_typeET4_T5_PSR_SS_PNS1_23onesweep_lookback_stateEbbT6_jjT7_P12ihipStream_tbENKUlT_T0_SG_SL_E_clIS9_SA_SB_SB_EEDaSZ_S10_SG_SL_EUlSZ_E_NS1_11comp_targetILNS1_3genE9ELNS1_11target_archE1100ELNS1_3gpuE3ELNS1_3repE0EEENS1_47radix_sort_onesweep_sort_config_static_selectorELNS0_4arch9wavefront6targetE0EEEvSG_,"axG",@progbits,_ZN7rocprim17ROCPRIM_400000_NS6detail17trampoline_kernelINS0_14default_configENS1_35radix_sort_onesweep_config_selectorIdNS0_10empty_typeEEEZZNS1_29radix_sort_onesweep_iterationIS3_Lb0EPKdPdPS5_SB_mNS0_19identity_decomposerENS1_16block_id_wrapperIjLb1EEEEE10hipError_tT1_PNSt15iterator_traitsISG_E10value_typeET2_T3_PNSH_ISM_E10value_typeET4_T5_PSR_SS_PNS1_23onesweep_lookback_stateEbbT6_jjT7_P12ihipStream_tbENKUlT_T0_SG_SL_E_clIS9_SA_SB_SB_EEDaSZ_S10_SG_SL_EUlSZ_E_NS1_11comp_targetILNS1_3genE9ELNS1_11target_archE1100ELNS1_3gpuE3ELNS1_3repE0EEENS1_47radix_sort_onesweep_sort_config_static_selectorELNS0_4arch9wavefront6targetE0EEEvSG_,comdat
	.protected	_ZN7rocprim17ROCPRIM_400000_NS6detail17trampoline_kernelINS0_14default_configENS1_35radix_sort_onesweep_config_selectorIdNS0_10empty_typeEEEZZNS1_29radix_sort_onesweep_iterationIS3_Lb0EPKdPdPS5_SB_mNS0_19identity_decomposerENS1_16block_id_wrapperIjLb1EEEEE10hipError_tT1_PNSt15iterator_traitsISG_E10value_typeET2_T3_PNSH_ISM_E10value_typeET4_T5_PSR_SS_PNS1_23onesweep_lookback_stateEbbT6_jjT7_P12ihipStream_tbENKUlT_T0_SG_SL_E_clIS9_SA_SB_SB_EEDaSZ_S10_SG_SL_EUlSZ_E_NS1_11comp_targetILNS1_3genE9ELNS1_11target_archE1100ELNS1_3gpuE3ELNS1_3repE0EEENS1_47radix_sort_onesweep_sort_config_static_selectorELNS0_4arch9wavefront6targetE0EEEvSG_ ; -- Begin function _ZN7rocprim17ROCPRIM_400000_NS6detail17trampoline_kernelINS0_14default_configENS1_35radix_sort_onesweep_config_selectorIdNS0_10empty_typeEEEZZNS1_29radix_sort_onesweep_iterationIS3_Lb0EPKdPdPS5_SB_mNS0_19identity_decomposerENS1_16block_id_wrapperIjLb1EEEEE10hipError_tT1_PNSt15iterator_traitsISG_E10value_typeET2_T3_PNSH_ISM_E10value_typeET4_T5_PSR_SS_PNS1_23onesweep_lookback_stateEbbT6_jjT7_P12ihipStream_tbENKUlT_T0_SG_SL_E_clIS9_SA_SB_SB_EEDaSZ_S10_SG_SL_EUlSZ_E_NS1_11comp_targetILNS1_3genE9ELNS1_11target_archE1100ELNS1_3gpuE3ELNS1_3repE0EEENS1_47radix_sort_onesweep_sort_config_static_selectorELNS0_4arch9wavefront6targetE0EEEvSG_
	.globl	_ZN7rocprim17ROCPRIM_400000_NS6detail17trampoline_kernelINS0_14default_configENS1_35radix_sort_onesweep_config_selectorIdNS0_10empty_typeEEEZZNS1_29radix_sort_onesweep_iterationIS3_Lb0EPKdPdPS5_SB_mNS0_19identity_decomposerENS1_16block_id_wrapperIjLb1EEEEE10hipError_tT1_PNSt15iterator_traitsISG_E10value_typeET2_T3_PNSH_ISM_E10value_typeET4_T5_PSR_SS_PNS1_23onesweep_lookback_stateEbbT6_jjT7_P12ihipStream_tbENKUlT_T0_SG_SL_E_clIS9_SA_SB_SB_EEDaSZ_S10_SG_SL_EUlSZ_E_NS1_11comp_targetILNS1_3genE9ELNS1_11target_archE1100ELNS1_3gpuE3ELNS1_3repE0EEENS1_47radix_sort_onesweep_sort_config_static_selectorELNS0_4arch9wavefront6targetE0EEEvSG_
	.p2align	8
	.type	_ZN7rocprim17ROCPRIM_400000_NS6detail17trampoline_kernelINS0_14default_configENS1_35radix_sort_onesweep_config_selectorIdNS0_10empty_typeEEEZZNS1_29radix_sort_onesweep_iterationIS3_Lb0EPKdPdPS5_SB_mNS0_19identity_decomposerENS1_16block_id_wrapperIjLb1EEEEE10hipError_tT1_PNSt15iterator_traitsISG_E10value_typeET2_T3_PNSH_ISM_E10value_typeET4_T5_PSR_SS_PNS1_23onesweep_lookback_stateEbbT6_jjT7_P12ihipStream_tbENKUlT_T0_SG_SL_E_clIS9_SA_SB_SB_EEDaSZ_S10_SG_SL_EUlSZ_E_NS1_11comp_targetILNS1_3genE9ELNS1_11target_archE1100ELNS1_3gpuE3ELNS1_3repE0EEENS1_47radix_sort_onesweep_sort_config_static_selectorELNS0_4arch9wavefront6targetE0EEEvSG_,@function
_ZN7rocprim17ROCPRIM_400000_NS6detail17trampoline_kernelINS0_14default_configENS1_35radix_sort_onesweep_config_selectorIdNS0_10empty_typeEEEZZNS1_29radix_sort_onesweep_iterationIS3_Lb0EPKdPdPS5_SB_mNS0_19identity_decomposerENS1_16block_id_wrapperIjLb1EEEEE10hipError_tT1_PNSt15iterator_traitsISG_E10value_typeET2_T3_PNSH_ISM_E10value_typeET4_T5_PSR_SS_PNS1_23onesweep_lookback_stateEbbT6_jjT7_P12ihipStream_tbENKUlT_T0_SG_SL_E_clIS9_SA_SB_SB_EEDaSZ_S10_SG_SL_EUlSZ_E_NS1_11comp_targetILNS1_3genE9ELNS1_11target_archE1100ELNS1_3gpuE3ELNS1_3repE0EEENS1_47radix_sort_onesweep_sort_config_static_selectorELNS0_4arch9wavefront6targetE0EEEvSG_: ; @_ZN7rocprim17ROCPRIM_400000_NS6detail17trampoline_kernelINS0_14default_configENS1_35radix_sort_onesweep_config_selectorIdNS0_10empty_typeEEEZZNS1_29radix_sort_onesweep_iterationIS3_Lb0EPKdPdPS5_SB_mNS0_19identity_decomposerENS1_16block_id_wrapperIjLb1EEEEE10hipError_tT1_PNSt15iterator_traitsISG_E10value_typeET2_T3_PNSH_ISM_E10value_typeET4_T5_PSR_SS_PNS1_23onesweep_lookback_stateEbbT6_jjT7_P12ihipStream_tbENKUlT_T0_SG_SL_E_clIS9_SA_SB_SB_EEDaSZ_S10_SG_SL_EUlSZ_E_NS1_11comp_targetILNS1_3genE9ELNS1_11target_archE1100ELNS1_3gpuE3ELNS1_3repE0EEENS1_47radix_sort_onesweep_sort_config_static_selectorELNS0_4arch9wavefront6targetE0EEEvSG_
; %bb.0:
	.section	.rodata,"a",@progbits
	.p2align	6, 0x0
	.amdhsa_kernel _ZN7rocprim17ROCPRIM_400000_NS6detail17trampoline_kernelINS0_14default_configENS1_35radix_sort_onesweep_config_selectorIdNS0_10empty_typeEEEZZNS1_29radix_sort_onesweep_iterationIS3_Lb0EPKdPdPS5_SB_mNS0_19identity_decomposerENS1_16block_id_wrapperIjLb1EEEEE10hipError_tT1_PNSt15iterator_traitsISG_E10value_typeET2_T3_PNSH_ISM_E10value_typeET4_T5_PSR_SS_PNS1_23onesweep_lookback_stateEbbT6_jjT7_P12ihipStream_tbENKUlT_T0_SG_SL_E_clIS9_SA_SB_SB_EEDaSZ_S10_SG_SL_EUlSZ_E_NS1_11comp_targetILNS1_3genE9ELNS1_11target_archE1100ELNS1_3gpuE3ELNS1_3repE0EEENS1_47radix_sort_onesweep_sort_config_static_selectorELNS0_4arch9wavefront6targetE0EEEvSG_
		.amdhsa_group_segment_fixed_size 0
		.amdhsa_private_segment_fixed_size 0
		.amdhsa_kernarg_size 88
		.amdhsa_user_sgpr_count 2
		.amdhsa_user_sgpr_dispatch_ptr 0
		.amdhsa_user_sgpr_queue_ptr 0
		.amdhsa_user_sgpr_kernarg_segment_ptr 1
		.amdhsa_user_sgpr_dispatch_id 0
		.amdhsa_user_sgpr_kernarg_preload_length 0
		.amdhsa_user_sgpr_kernarg_preload_offset 0
		.amdhsa_user_sgpr_private_segment_size 0
		.amdhsa_wavefront_size32 1
		.amdhsa_uses_dynamic_stack 0
		.amdhsa_enable_private_segment 0
		.amdhsa_system_sgpr_workgroup_id_x 1
		.amdhsa_system_sgpr_workgroup_id_y 0
		.amdhsa_system_sgpr_workgroup_id_z 0
		.amdhsa_system_sgpr_workgroup_info 0
		.amdhsa_system_vgpr_workitem_id 0
		.amdhsa_next_free_vgpr 1
		.amdhsa_next_free_sgpr 1
		.amdhsa_named_barrier_count 0
		.amdhsa_reserve_vcc 0
		.amdhsa_float_round_mode_32 0
		.amdhsa_float_round_mode_16_64 0
		.amdhsa_float_denorm_mode_32 3
		.amdhsa_float_denorm_mode_16_64 3
		.amdhsa_fp16_overflow 0
		.amdhsa_memory_ordered 1
		.amdhsa_forward_progress 1
		.amdhsa_inst_pref_size 0
		.amdhsa_round_robin_scheduling 0
		.amdhsa_exception_fp_ieee_invalid_op 0
		.amdhsa_exception_fp_denorm_src 0
		.amdhsa_exception_fp_ieee_div_zero 0
		.amdhsa_exception_fp_ieee_overflow 0
		.amdhsa_exception_fp_ieee_underflow 0
		.amdhsa_exception_fp_ieee_inexact 0
		.amdhsa_exception_int_div_zero 0
	.end_amdhsa_kernel
	.section	.text._ZN7rocprim17ROCPRIM_400000_NS6detail17trampoline_kernelINS0_14default_configENS1_35radix_sort_onesweep_config_selectorIdNS0_10empty_typeEEEZZNS1_29radix_sort_onesweep_iterationIS3_Lb0EPKdPdPS5_SB_mNS0_19identity_decomposerENS1_16block_id_wrapperIjLb1EEEEE10hipError_tT1_PNSt15iterator_traitsISG_E10value_typeET2_T3_PNSH_ISM_E10value_typeET4_T5_PSR_SS_PNS1_23onesweep_lookback_stateEbbT6_jjT7_P12ihipStream_tbENKUlT_T0_SG_SL_E_clIS9_SA_SB_SB_EEDaSZ_S10_SG_SL_EUlSZ_E_NS1_11comp_targetILNS1_3genE9ELNS1_11target_archE1100ELNS1_3gpuE3ELNS1_3repE0EEENS1_47radix_sort_onesweep_sort_config_static_selectorELNS0_4arch9wavefront6targetE0EEEvSG_,"axG",@progbits,_ZN7rocprim17ROCPRIM_400000_NS6detail17trampoline_kernelINS0_14default_configENS1_35radix_sort_onesweep_config_selectorIdNS0_10empty_typeEEEZZNS1_29radix_sort_onesweep_iterationIS3_Lb0EPKdPdPS5_SB_mNS0_19identity_decomposerENS1_16block_id_wrapperIjLb1EEEEE10hipError_tT1_PNSt15iterator_traitsISG_E10value_typeET2_T3_PNSH_ISM_E10value_typeET4_T5_PSR_SS_PNS1_23onesweep_lookback_stateEbbT6_jjT7_P12ihipStream_tbENKUlT_T0_SG_SL_E_clIS9_SA_SB_SB_EEDaSZ_S10_SG_SL_EUlSZ_E_NS1_11comp_targetILNS1_3genE9ELNS1_11target_archE1100ELNS1_3gpuE3ELNS1_3repE0EEENS1_47radix_sort_onesweep_sort_config_static_selectorELNS0_4arch9wavefront6targetE0EEEvSG_,comdat
.Lfunc_end1612:
	.size	_ZN7rocprim17ROCPRIM_400000_NS6detail17trampoline_kernelINS0_14default_configENS1_35radix_sort_onesweep_config_selectorIdNS0_10empty_typeEEEZZNS1_29radix_sort_onesweep_iterationIS3_Lb0EPKdPdPS5_SB_mNS0_19identity_decomposerENS1_16block_id_wrapperIjLb1EEEEE10hipError_tT1_PNSt15iterator_traitsISG_E10value_typeET2_T3_PNSH_ISM_E10value_typeET4_T5_PSR_SS_PNS1_23onesweep_lookback_stateEbbT6_jjT7_P12ihipStream_tbENKUlT_T0_SG_SL_E_clIS9_SA_SB_SB_EEDaSZ_S10_SG_SL_EUlSZ_E_NS1_11comp_targetILNS1_3genE9ELNS1_11target_archE1100ELNS1_3gpuE3ELNS1_3repE0EEENS1_47radix_sort_onesweep_sort_config_static_selectorELNS0_4arch9wavefront6targetE0EEEvSG_, .Lfunc_end1612-_ZN7rocprim17ROCPRIM_400000_NS6detail17trampoline_kernelINS0_14default_configENS1_35radix_sort_onesweep_config_selectorIdNS0_10empty_typeEEEZZNS1_29radix_sort_onesweep_iterationIS3_Lb0EPKdPdPS5_SB_mNS0_19identity_decomposerENS1_16block_id_wrapperIjLb1EEEEE10hipError_tT1_PNSt15iterator_traitsISG_E10value_typeET2_T3_PNSH_ISM_E10value_typeET4_T5_PSR_SS_PNS1_23onesweep_lookback_stateEbbT6_jjT7_P12ihipStream_tbENKUlT_T0_SG_SL_E_clIS9_SA_SB_SB_EEDaSZ_S10_SG_SL_EUlSZ_E_NS1_11comp_targetILNS1_3genE9ELNS1_11target_archE1100ELNS1_3gpuE3ELNS1_3repE0EEENS1_47radix_sort_onesweep_sort_config_static_selectorELNS0_4arch9wavefront6targetE0EEEvSG_
                                        ; -- End function
	.set _ZN7rocprim17ROCPRIM_400000_NS6detail17trampoline_kernelINS0_14default_configENS1_35radix_sort_onesweep_config_selectorIdNS0_10empty_typeEEEZZNS1_29radix_sort_onesweep_iterationIS3_Lb0EPKdPdPS5_SB_mNS0_19identity_decomposerENS1_16block_id_wrapperIjLb1EEEEE10hipError_tT1_PNSt15iterator_traitsISG_E10value_typeET2_T3_PNSH_ISM_E10value_typeET4_T5_PSR_SS_PNS1_23onesweep_lookback_stateEbbT6_jjT7_P12ihipStream_tbENKUlT_T0_SG_SL_E_clIS9_SA_SB_SB_EEDaSZ_S10_SG_SL_EUlSZ_E_NS1_11comp_targetILNS1_3genE9ELNS1_11target_archE1100ELNS1_3gpuE3ELNS1_3repE0EEENS1_47radix_sort_onesweep_sort_config_static_selectorELNS0_4arch9wavefront6targetE0EEEvSG_.num_vgpr, 0
	.set _ZN7rocprim17ROCPRIM_400000_NS6detail17trampoline_kernelINS0_14default_configENS1_35radix_sort_onesweep_config_selectorIdNS0_10empty_typeEEEZZNS1_29radix_sort_onesweep_iterationIS3_Lb0EPKdPdPS5_SB_mNS0_19identity_decomposerENS1_16block_id_wrapperIjLb1EEEEE10hipError_tT1_PNSt15iterator_traitsISG_E10value_typeET2_T3_PNSH_ISM_E10value_typeET4_T5_PSR_SS_PNS1_23onesweep_lookback_stateEbbT6_jjT7_P12ihipStream_tbENKUlT_T0_SG_SL_E_clIS9_SA_SB_SB_EEDaSZ_S10_SG_SL_EUlSZ_E_NS1_11comp_targetILNS1_3genE9ELNS1_11target_archE1100ELNS1_3gpuE3ELNS1_3repE0EEENS1_47radix_sort_onesweep_sort_config_static_selectorELNS0_4arch9wavefront6targetE0EEEvSG_.num_agpr, 0
	.set _ZN7rocprim17ROCPRIM_400000_NS6detail17trampoline_kernelINS0_14default_configENS1_35radix_sort_onesweep_config_selectorIdNS0_10empty_typeEEEZZNS1_29radix_sort_onesweep_iterationIS3_Lb0EPKdPdPS5_SB_mNS0_19identity_decomposerENS1_16block_id_wrapperIjLb1EEEEE10hipError_tT1_PNSt15iterator_traitsISG_E10value_typeET2_T3_PNSH_ISM_E10value_typeET4_T5_PSR_SS_PNS1_23onesweep_lookback_stateEbbT6_jjT7_P12ihipStream_tbENKUlT_T0_SG_SL_E_clIS9_SA_SB_SB_EEDaSZ_S10_SG_SL_EUlSZ_E_NS1_11comp_targetILNS1_3genE9ELNS1_11target_archE1100ELNS1_3gpuE3ELNS1_3repE0EEENS1_47radix_sort_onesweep_sort_config_static_selectorELNS0_4arch9wavefront6targetE0EEEvSG_.numbered_sgpr, 0
	.set _ZN7rocprim17ROCPRIM_400000_NS6detail17trampoline_kernelINS0_14default_configENS1_35radix_sort_onesweep_config_selectorIdNS0_10empty_typeEEEZZNS1_29radix_sort_onesweep_iterationIS3_Lb0EPKdPdPS5_SB_mNS0_19identity_decomposerENS1_16block_id_wrapperIjLb1EEEEE10hipError_tT1_PNSt15iterator_traitsISG_E10value_typeET2_T3_PNSH_ISM_E10value_typeET4_T5_PSR_SS_PNS1_23onesweep_lookback_stateEbbT6_jjT7_P12ihipStream_tbENKUlT_T0_SG_SL_E_clIS9_SA_SB_SB_EEDaSZ_S10_SG_SL_EUlSZ_E_NS1_11comp_targetILNS1_3genE9ELNS1_11target_archE1100ELNS1_3gpuE3ELNS1_3repE0EEENS1_47radix_sort_onesweep_sort_config_static_selectorELNS0_4arch9wavefront6targetE0EEEvSG_.num_named_barrier, 0
	.set _ZN7rocprim17ROCPRIM_400000_NS6detail17trampoline_kernelINS0_14default_configENS1_35radix_sort_onesweep_config_selectorIdNS0_10empty_typeEEEZZNS1_29radix_sort_onesweep_iterationIS3_Lb0EPKdPdPS5_SB_mNS0_19identity_decomposerENS1_16block_id_wrapperIjLb1EEEEE10hipError_tT1_PNSt15iterator_traitsISG_E10value_typeET2_T3_PNSH_ISM_E10value_typeET4_T5_PSR_SS_PNS1_23onesweep_lookback_stateEbbT6_jjT7_P12ihipStream_tbENKUlT_T0_SG_SL_E_clIS9_SA_SB_SB_EEDaSZ_S10_SG_SL_EUlSZ_E_NS1_11comp_targetILNS1_3genE9ELNS1_11target_archE1100ELNS1_3gpuE3ELNS1_3repE0EEENS1_47radix_sort_onesweep_sort_config_static_selectorELNS0_4arch9wavefront6targetE0EEEvSG_.private_seg_size, 0
	.set _ZN7rocprim17ROCPRIM_400000_NS6detail17trampoline_kernelINS0_14default_configENS1_35radix_sort_onesweep_config_selectorIdNS0_10empty_typeEEEZZNS1_29radix_sort_onesweep_iterationIS3_Lb0EPKdPdPS5_SB_mNS0_19identity_decomposerENS1_16block_id_wrapperIjLb1EEEEE10hipError_tT1_PNSt15iterator_traitsISG_E10value_typeET2_T3_PNSH_ISM_E10value_typeET4_T5_PSR_SS_PNS1_23onesweep_lookback_stateEbbT6_jjT7_P12ihipStream_tbENKUlT_T0_SG_SL_E_clIS9_SA_SB_SB_EEDaSZ_S10_SG_SL_EUlSZ_E_NS1_11comp_targetILNS1_3genE9ELNS1_11target_archE1100ELNS1_3gpuE3ELNS1_3repE0EEENS1_47radix_sort_onesweep_sort_config_static_selectorELNS0_4arch9wavefront6targetE0EEEvSG_.uses_vcc, 0
	.set _ZN7rocprim17ROCPRIM_400000_NS6detail17trampoline_kernelINS0_14default_configENS1_35radix_sort_onesweep_config_selectorIdNS0_10empty_typeEEEZZNS1_29radix_sort_onesweep_iterationIS3_Lb0EPKdPdPS5_SB_mNS0_19identity_decomposerENS1_16block_id_wrapperIjLb1EEEEE10hipError_tT1_PNSt15iterator_traitsISG_E10value_typeET2_T3_PNSH_ISM_E10value_typeET4_T5_PSR_SS_PNS1_23onesweep_lookback_stateEbbT6_jjT7_P12ihipStream_tbENKUlT_T0_SG_SL_E_clIS9_SA_SB_SB_EEDaSZ_S10_SG_SL_EUlSZ_E_NS1_11comp_targetILNS1_3genE9ELNS1_11target_archE1100ELNS1_3gpuE3ELNS1_3repE0EEENS1_47radix_sort_onesweep_sort_config_static_selectorELNS0_4arch9wavefront6targetE0EEEvSG_.uses_flat_scratch, 0
	.set _ZN7rocprim17ROCPRIM_400000_NS6detail17trampoline_kernelINS0_14default_configENS1_35radix_sort_onesweep_config_selectorIdNS0_10empty_typeEEEZZNS1_29radix_sort_onesweep_iterationIS3_Lb0EPKdPdPS5_SB_mNS0_19identity_decomposerENS1_16block_id_wrapperIjLb1EEEEE10hipError_tT1_PNSt15iterator_traitsISG_E10value_typeET2_T3_PNSH_ISM_E10value_typeET4_T5_PSR_SS_PNS1_23onesweep_lookback_stateEbbT6_jjT7_P12ihipStream_tbENKUlT_T0_SG_SL_E_clIS9_SA_SB_SB_EEDaSZ_S10_SG_SL_EUlSZ_E_NS1_11comp_targetILNS1_3genE9ELNS1_11target_archE1100ELNS1_3gpuE3ELNS1_3repE0EEENS1_47radix_sort_onesweep_sort_config_static_selectorELNS0_4arch9wavefront6targetE0EEEvSG_.has_dyn_sized_stack, 0
	.set _ZN7rocprim17ROCPRIM_400000_NS6detail17trampoline_kernelINS0_14default_configENS1_35radix_sort_onesweep_config_selectorIdNS0_10empty_typeEEEZZNS1_29radix_sort_onesweep_iterationIS3_Lb0EPKdPdPS5_SB_mNS0_19identity_decomposerENS1_16block_id_wrapperIjLb1EEEEE10hipError_tT1_PNSt15iterator_traitsISG_E10value_typeET2_T3_PNSH_ISM_E10value_typeET4_T5_PSR_SS_PNS1_23onesweep_lookback_stateEbbT6_jjT7_P12ihipStream_tbENKUlT_T0_SG_SL_E_clIS9_SA_SB_SB_EEDaSZ_S10_SG_SL_EUlSZ_E_NS1_11comp_targetILNS1_3genE9ELNS1_11target_archE1100ELNS1_3gpuE3ELNS1_3repE0EEENS1_47radix_sort_onesweep_sort_config_static_selectorELNS0_4arch9wavefront6targetE0EEEvSG_.has_recursion, 0
	.set _ZN7rocprim17ROCPRIM_400000_NS6detail17trampoline_kernelINS0_14default_configENS1_35radix_sort_onesweep_config_selectorIdNS0_10empty_typeEEEZZNS1_29radix_sort_onesweep_iterationIS3_Lb0EPKdPdPS5_SB_mNS0_19identity_decomposerENS1_16block_id_wrapperIjLb1EEEEE10hipError_tT1_PNSt15iterator_traitsISG_E10value_typeET2_T3_PNSH_ISM_E10value_typeET4_T5_PSR_SS_PNS1_23onesweep_lookback_stateEbbT6_jjT7_P12ihipStream_tbENKUlT_T0_SG_SL_E_clIS9_SA_SB_SB_EEDaSZ_S10_SG_SL_EUlSZ_E_NS1_11comp_targetILNS1_3genE9ELNS1_11target_archE1100ELNS1_3gpuE3ELNS1_3repE0EEENS1_47radix_sort_onesweep_sort_config_static_selectorELNS0_4arch9wavefront6targetE0EEEvSG_.has_indirect_call, 0
	.section	.AMDGPU.csdata,"",@progbits
; Kernel info:
; codeLenInByte = 0
; TotalNumSgprs: 0
; NumVgprs: 0
; ScratchSize: 0
; MemoryBound: 0
; FloatMode: 240
; IeeeMode: 1
; LDSByteSize: 0 bytes/workgroup (compile time only)
; SGPRBlocks: 0
; VGPRBlocks: 0
; NumSGPRsForWavesPerEU: 1
; NumVGPRsForWavesPerEU: 1
; NamedBarCnt: 0
; Occupancy: 16
; WaveLimiterHint : 0
; COMPUTE_PGM_RSRC2:SCRATCH_EN: 0
; COMPUTE_PGM_RSRC2:USER_SGPR: 2
; COMPUTE_PGM_RSRC2:TRAP_HANDLER: 0
; COMPUTE_PGM_RSRC2:TGID_X_EN: 1
; COMPUTE_PGM_RSRC2:TGID_Y_EN: 0
; COMPUTE_PGM_RSRC2:TGID_Z_EN: 0
; COMPUTE_PGM_RSRC2:TIDIG_COMP_CNT: 0
	.section	.text._ZN7rocprim17ROCPRIM_400000_NS6detail17trampoline_kernelINS0_14default_configENS1_35radix_sort_onesweep_config_selectorIdNS0_10empty_typeEEEZZNS1_29radix_sort_onesweep_iterationIS3_Lb0EPKdPdPS5_SB_mNS0_19identity_decomposerENS1_16block_id_wrapperIjLb1EEEEE10hipError_tT1_PNSt15iterator_traitsISG_E10value_typeET2_T3_PNSH_ISM_E10value_typeET4_T5_PSR_SS_PNS1_23onesweep_lookback_stateEbbT6_jjT7_P12ihipStream_tbENKUlT_T0_SG_SL_E_clIS9_SA_SB_SB_EEDaSZ_S10_SG_SL_EUlSZ_E_NS1_11comp_targetILNS1_3genE8ELNS1_11target_archE1030ELNS1_3gpuE2ELNS1_3repE0EEENS1_47radix_sort_onesweep_sort_config_static_selectorELNS0_4arch9wavefront6targetE0EEEvSG_,"axG",@progbits,_ZN7rocprim17ROCPRIM_400000_NS6detail17trampoline_kernelINS0_14default_configENS1_35radix_sort_onesweep_config_selectorIdNS0_10empty_typeEEEZZNS1_29radix_sort_onesweep_iterationIS3_Lb0EPKdPdPS5_SB_mNS0_19identity_decomposerENS1_16block_id_wrapperIjLb1EEEEE10hipError_tT1_PNSt15iterator_traitsISG_E10value_typeET2_T3_PNSH_ISM_E10value_typeET4_T5_PSR_SS_PNS1_23onesweep_lookback_stateEbbT6_jjT7_P12ihipStream_tbENKUlT_T0_SG_SL_E_clIS9_SA_SB_SB_EEDaSZ_S10_SG_SL_EUlSZ_E_NS1_11comp_targetILNS1_3genE8ELNS1_11target_archE1030ELNS1_3gpuE2ELNS1_3repE0EEENS1_47radix_sort_onesweep_sort_config_static_selectorELNS0_4arch9wavefront6targetE0EEEvSG_,comdat
	.protected	_ZN7rocprim17ROCPRIM_400000_NS6detail17trampoline_kernelINS0_14default_configENS1_35radix_sort_onesweep_config_selectorIdNS0_10empty_typeEEEZZNS1_29radix_sort_onesweep_iterationIS3_Lb0EPKdPdPS5_SB_mNS0_19identity_decomposerENS1_16block_id_wrapperIjLb1EEEEE10hipError_tT1_PNSt15iterator_traitsISG_E10value_typeET2_T3_PNSH_ISM_E10value_typeET4_T5_PSR_SS_PNS1_23onesweep_lookback_stateEbbT6_jjT7_P12ihipStream_tbENKUlT_T0_SG_SL_E_clIS9_SA_SB_SB_EEDaSZ_S10_SG_SL_EUlSZ_E_NS1_11comp_targetILNS1_3genE8ELNS1_11target_archE1030ELNS1_3gpuE2ELNS1_3repE0EEENS1_47radix_sort_onesweep_sort_config_static_selectorELNS0_4arch9wavefront6targetE0EEEvSG_ ; -- Begin function _ZN7rocprim17ROCPRIM_400000_NS6detail17trampoline_kernelINS0_14default_configENS1_35radix_sort_onesweep_config_selectorIdNS0_10empty_typeEEEZZNS1_29radix_sort_onesweep_iterationIS3_Lb0EPKdPdPS5_SB_mNS0_19identity_decomposerENS1_16block_id_wrapperIjLb1EEEEE10hipError_tT1_PNSt15iterator_traitsISG_E10value_typeET2_T3_PNSH_ISM_E10value_typeET4_T5_PSR_SS_PNS1_23onesweep_lookback_stateEbbT6_jjT7_P12ihipStream_tbENKUlT_T0_SG_SL_E_clIS9_SA_SB_SB_EEDaSZ_S10_SG_SL_EUlSZ_E_NS1_11comp_targetILNS1_3genE8ELNS1_11target_archE1030ELNS1_3gpuE2ELNS1_3repE0EEENS1_47radix_sort_onesweep_sort_config_static_selectorELNS0_4arch9wavefront6targetE0EEEvSG_
	.globl	_ZN7rocprim17ROCPRIM_400000_NS6detail17trampoline_kernelINS0_14default_configENS1_35radix_sort_onesweep_config_selectorIdNS0_10empty_typeEEEZZNS1_29radix_sort_onesweep_iterationIS3_Lb0EPKdPdPS5_SB_mNS0_19identity_decomposerENS1_16block_id_wrapperIjLb1EEEEE10hipError_tT1_PNSt15iterator_traitsISG_E10value_typeET2_T3_PNSH_ISM_E10value_typeET4_T5_PSR_SS_PNS1_23onesweep_lookback_stateEbbT6_jjT7_P12ihipStream_tbENKUlT_T0_SG_SL_E_clIS9_SA_SB_SB_EEDaSZ_S10_SG_SL_EUlSZ_E_NS1_11comp_targetILNS1_3genE8ELNS1_11target_archE1030ELNS1_3gpuE2ELNS1_3repE0EEENS1_47radix_sort_onesweep_sort_config_static_selectorELNS0_4arch9wavefront6targetE0EEEvSG_
	.p2align	8
	.type	_ZN7rocprim17ROCPRIM_400000_NS6detail17trampoline_kernelINS0_14default_configENS1_35radix_sort_onesweep_config_selectorIdNS0_10empty_typeEEEZZNS1_29radix_sort_onesweep_iterationIS3_Lb0EPKdPdPS5_SB_mNS0_19identity_decomposerENS1_16block_id_wrapperIjLb1EEEEE10hipError_tT1_PNSt15iterator_traitsISG_E10value_typeET2_T3_PNSH_ISM_E10value_typeET4_T5_PSR_SS_PNS1_23onesweep_lookback_stateEbbT6_jjT7_P12ihipStream_tbENKUlT_T0_SG_SL_E_clIS9_SA_SB_SB_EEDaSZ_S10_SG_SL_EUlSZ_E_NS1_11comp_targetILNS1_3genE8ELNS1_11target_archE1030ELNS1_3gpuE2ELNS1_3repE0EEENS1_47radix_sort_onesweep_sort_config_static_selectorELNS0_4arch9wavefront6targetE0EEEvSG_,@function
_ZN7rocprim17ROCPRIM_400000_NS6detail17trampoline_kernelINS0_14default_configENS1_35radix_sort_onesweep_config_selectorIdNS0_10empty_typeEEEZZNS1_29radix_sort_onesweep_iterationIS3_Lb0EPKdPdPS5_SB_mNS0_19identity_decomposerENS1_16block_id_wrapperIjLb1EEEEE10hipError_tT1_PNSt15iterator_traitsISG_E10value_typeET2_T3_PNSH_ISM_E10value_typeET4_T5_PSR_SS_PNS1_23onesweep_lookback_stateEbbT6_jjT7_P12ihipStream_tbENKUlT_T0_SG_SL_E_clIS9_SA_SB_SB_EEDaSZ_S10_SG_SL_EUlSZ_E_NS1_11comp_targetILNS1_3genE8ELNS1_11target_archE1030ELNS1_3gpuE2ELNS1_3repE0EEENS1_47radix_sort_onesweep_sort_config_static_selectorELNS0_4arch9wavefront6targetE0EEEvSG_: ; @_ZN7rocprim17ROCPRIM_400000_NS6detail17trampoline_kernelINS0_14default_configENS1_35radix_sort_onesweep_config_selectorIdNS0_10empty_typeEEEZZNS1_29radix_sort_onesweep_iterationIS3_Lb0EPKdPdPS5_SB_mNS0_19identity_decomposerENS1_16block_id_wrapperIjLb1EEEEE10hipError_tT1_PNSt15iterator_traitsISG_E10value_typeET2_T3_PNSH_ISM_E10value_typeET4_T5_PSR_SS_PNS1_23onesweep_lookback_stateEbbT6_jjT7_P12ihipStream_tbENKUlT_T0_SG_SL_E_clIS9_SA_SB_SB_EEDaSZ_S10_SG_SL_EUlSZ_E_NS1_11comp_targetILNS1_3genE8ELNS1_11target_archE1030ELNS1_3gpuE2ELNS1_3repE0EEENS1_47radix_sort_onesweep_sort_config_static_selectorELNS0_4arch9wavefront6targetE0EEEvSG_
; %bb.0:
	.section	.rodata,"a",@progbits
	.p2align	6, 0x0
	.amdhsa_kernel _ZN7rocprim17ROCPRIM_400000_NS6detail17trampoline_kernelINS0_14default_configENS1_35radix_sort_onesweep_config_selectorIdNS0_10empty_typeEEEZZNS1_29radix_sort_onesweep_iterationIS3_Lb0EPKdPdPS5_SB_mNS0_19identity_decomposerENS1_16block_id_wrapperIjLb1EEEEE10hipError_tT1_PNSt15iterator_traitsISG_E10value_typeET2_T3_PNSH_ISM_E10value_typeET4_T5_PSR_SS_PNS1_23onesweep_lookback_stateEbbT6_jjT7_P12ihipStream_tbENKUlT_T0_SG_SL_E_clIS9_SA_SB_SB_EEDaSZ_S10_SG_SL_EUlSZ_E_NS1_11comp_targetILNS1_3genE8ELNS1_11target_archE1030ELNS1_3gpuE2ELNS1_3repE0EEENS1_47radix_sort_onesweep_sort_config_static_selectorELNS0_4arch9wavefront6targetE0EEEvSG_
		.amdhsa_group_segment_fixed_size 0
		.amdhsa_private_segment_fixed_size 0
		.amdhsa_kernarg_size 88
		.amdhsa_user_sgpr_count 2
		.amdhsa_user_sgpr_dispatch_ptr 0
		.amdhsa_user_sgpr_queue_ptr 0
		.amdhsa_user_sgpr_kernarg_segment_ptr 1
		.amdhsa_user_sgpr_dispatch_id 0
		.amdhsa_user_sgpr_kernarg_preload_length 0
		.amdhsa_user_sgpr_kernarg_preload_offset 0
		.amdhsa_user_sgpr_private_segment_size 0
		.amdhsa_wavefront_size32 1
		.amdhsa_uses_dynamic_stack 0
		.amdhsa_enable_private_segment 0
		.amdhsa_system_sgpr_workgroup_id_x 1
		.amdhsa_system_sgpr_workgroup_id_y 0
		.amdhsa_system_sgpr_workgroup_id_z 0
		.amdhsa_system_sgpr_workgroup_info 0
		.amdhsa_system_vgpr_workitem_id 0
		.amdhsa_next_free_vgpr 1
		.amdhsa_next_free_sgpr 1
		.amdhsa_named_barrier_count 0
		.amdhsa_reserve_vcc 0
		.amdhsa_float_round_mode_32 0
		.amdhsa_float_round_mode_16_64 0
		.amdhsa_float_denorm_mode_32 3
		.amdhsa_float_denorm_mode_16_64 3
		.amdhsa_fp16_overflow 0
		.amdhsa_memory_ordered 1
		.amdhsa_forward_progress 1
		.amdhsa_inst_pref_size 0
		.amdhsa_round_robin_scheduling 0
		.amdhsa_exception_fp_ieee_invalid_op 0
		.amdhsa_exception_fp_denorm_src 0
		.amdhsa_exception_fp_ieee_div_zero 0
		.amdhsa_exception_fp_ieee_overflow 0
		.amdhsa_exception_fp_ieee_underflow 0
		.amdhsa_exception_fp_ieee_inexact 0
		.amdhsa_exception_int_div_zero 0
	.end_amdhsa_kernel
	.section	.text._ZN7rocprim17ROCPRIM_400000_NS6detail17trampoline_kernelINS0_14default_configENS1_35radix_sort_onesweep_config_selectorIdNS0_10empty_typeEEEZZNS1_29radix_sort_onesweep_iterationIS3_Lb0EPKdPdPS5_SB_mNS0_19identity_decomposerENS1_16block_id_wrapperIjLb1EEEEE10hipError_tT1_PNSt15iterator_traitsISG_E10value_typeET2_T3_PNSH_ISM_E10value_typeET4_T5_PSR_SS_PNS1_23onesweep_lookback_stateEbbT6_jjT7_P12ihipStream_tbENKUlT_T0_SG_SL_E_clIS9_SA_SB_SB_EEDaSZ_S10_SG_SL_EUlSZ_E_NS1_11comp_targetILNS1_3genE8ELNS1_11target_archE1030ELNS1_3gpuE2ELNS1_3repE0EEENS1_47radix_sort_onesweep_sort_config_static_selectorELNS0_4arch9wavefront6targetE0EEEvSG_,"axG",@progbits,_ZN7rocprim17ROCPRIM_400000_NS6detail17trampoline_kernelINS0_14default_configENS1_35radix_sort_onesweep_config_selectorIdNS0_10empty_typeEEEZZNS1_29radix_sort_onesweep_iterationIS3_Lb0EPKdPdPS5_SB_mNS0_19identity_decomposerENS1_16block_id_wrapperIjLb1EEEEE10hipError_tT1_PNSt15iterator_traitsISG_E10value_typeET2_T3_PNSH_ISM_E10value_typeET4_T5_PSR_SS_PNS1_23onesweep_lookback_stateEbbT6_jjT7_P12ihipStream_tbENKUlT_T0_SG_SL_E_clIS9_SA_SB_SB_EEDaSZ_S10_SG_SL_EUlSZ_E_NS1_11comp_targetILNS1_3genE8ELNS1_11target_archE1030ELNS1_3gpuE2ELNS1_3repE0EEENS1_47radix_sort_onesweep_sort_config_static_selectorELNS0_4arch9wavefront6targetE0EEEvSG_,comdat
.Lfunc_end1613:
	.size	_ZN7rocprim17ROCPRIM_400000_NS6detail17trampoline_kernelINS0_14default_configENS1_35radix_sort_onesweep_config_selectorIdNS0_10empty_typeEEEZZNS1_29radix_sort_onesweep_iterationIS3_Lb0EPKdPdPS5_SB_mNS0_19identity_decomposerENS1_16block_id_wrapperIjLb1EEEEE10hipError_tT1_PNSt15iterator_traitsISG_E10value_typeET2_T3_PNSH_ISM_E10value_typeET4_T5_PSR_SS_PNS1_23onesweep_lookback_stateEbbT6_jjT7_P12ihipStream_tbENKUlT_T0_SG_SL_E_clIS9_SA_SB_SB_EEDaSZ_S10_SG_SL_EUlSZ_E_NS1_11comp_targetILNS1_3genE8ELNS1_11target_archE1030ELNS1_3gpuE2ELNS1_3repE0EEENS1_47radix_sort_onesweep_sort_config_static_selectorELNS0_4arch9wavefront6targetE0EEEvSG_, .Lfunc_end1613-_ZN7rocprim17ROCPRIM_400000_NS6detail17trampoline_kernelINS0_14default_configENS1_35radix_sort_onesweep_config_selectorIdNS0_10empty_typeEEEZZNS1_29radix_sort_onesweep_iterationIS3_Lb0EPKdPdPS5_SB_mNS0_19identity_decomposerENS1_16block_id_wrapperIjLb1EEEEE10hipError_tT1_PNSt15iterator_traitsISG_E10value_typeET2_T3_PNSH_ISM_E10value_typeET4_T5_PSR_SS_PNS1_23onesweep_lookback_stateEbbT6_jjT7_P12ihipStream_tbENKUlT_T0_SG_SL_E_clIS9_SA_SB_SB_EEDaSZ_S10_SG_SL_EUlSZ_E_NS1_11comp_targetILNS1_3genE8ELNS1_11target_archE1030ELNS1_3gpuE2ELNS1_3repE0EEENS1_47radix_sort_onesweep_sort_config_static_selectorELNS0_4arch9wavefront6targetE0EEEvSG_
                                        ; -- End function
	.set _ZN7rocprim17ROCPRIM_400000_NS6detail17trampoline_kernelINS0_14default_configENS1_35radix_sort_onesweep_config_selectorIdNS0_10empty_typeEEEZZNS1_29radix_sort_onesweep_iterationIS3_Lb0EPKdPdPS5_SB_mNS0_19identity_decomposerENS1_16block_id_wrapperIjLb1EEEEE10hipError_tT1_PNSt15iterator_traitsISG_E10value_typeET2_T3_PNSH_ISM_E10value_typeET4_T5_PSR_SS_PNS1_23onesweep_lookback_stateEbbT6_jjT7_P12ihipStream_tbENKUlT_T0_SG_SL_E_clIS9_SA_SB_SB_EEDaSZ_S10_SG_SL_EUlSZ_E_NS1_11comp_targetILNS1_3genE8ELNS1_11target_archE1030ELNS1_3gpuE2ELNS1_3repE0EEENS1_47radix_sort_onesweep_sort_config_static_selectorELNS0_4arch9wavefront6targetE0EEEvSG_.num_vgpr, 0
	.set _ZN7rocprim17ROCPRIM_400000_NS6detail17trampoline_kernelINS0_14default_configENS1_35radix_sort_onesweep_config_selectorIdNS0_10empty_typeEEEZZNS1_29radix_sort_onesweep_iterationIS3_Lb0EPKdPdPS5_SB_mNS0_19identity_decomposerENS1_16block_id_wrapperIjLb1EEEEE10hipError_tT1_PNSt15iterator_traitsISG_E10value_typeET2_T3_PNSH_ISM_E10value_typeET4_T5_PSR_SS_PNS1_23onesweep_lookback_stateEbbT6_jjT7_P12ihipStream_tbENKUlT_T0_SG_SL_E_clIS9_SA_SB_SB_EEDaSZ_S10_SG_SL_EUlSZ_E_NS1_11comp_targetILNS1_3genE8ELNS1_11target_archE1030ELNS1_3gpuE2ELNS1_3repE0EEENS1_47radix_sort_onesweep_sort_config_static_selectorELNS0_4arch9wavefront6targetE0EEEvSG_.num_agpr, 0
	.set _ZN7rocprim17ROCPRIM_400000_NS6detail17trampoline_kernelINS0_14default_configENS1_35radix_sort_onesweep_config_selectorIdNS0_10empty_typeEEEZZNS1_29radix_sort_onesweep_iterationIS3_Lb0EPKdPdPS5_SB_mNS0_19identity_decomposerENS1_16block_id_wrapperIjLb1EEEEE10hipError_tT1_PNSt15iterator_traitsISG_E10value_typeET2_T3_PNSH_ISM_E10value_typeET4_T5_PSR_SS_PNS1_23onesweep_lookback_stateEbbT6_jjT7_P12ihipStream_tbENKUlT_T0_SG_SL_E_clIS9_SA_SB_SB_EEDaSZ_S10_SG_SL_EUlSZ_E_NS1_11comp_targetILNS1_3genE8ELNS1_11target_archE1030ELNS1_3gpuE2ELNS1_3repE0EEENS1_47radix_sort_onesweep_sort_config_static_selectorELNS0_4arch9wavefront6targetE0EEEvSG_.numbered_sgpr, 0
	.set _ZN7rocprim17ROCPRIM_400000_NS6detail17trampoline_kernelINS0_14default_configENS1_35radix_sort_onesweep_config_selectorIdNS0_10empty_typeEEEZZNS1_29radix_sort_onesweep_iterationIS3_Lb0EPKdPdPS5_SB_mNS0_19identity_decomposerENS1_16block_id_wrapperIjLb1EEEEE10hipError_tT1_PNSt15iterator_traitsISG_E10value_typeET2_T3_PNSH_ISM_E10value_typeET4_T5_PSR_SS_PNS1_23onesweep_lookback_stateEbbT6_jjT7_P12ihipStream_tbENKUlT_T0_SG_SL_E_clIS9_SA_SB_SB_EEDaSZ_S10_SG_SL_EUlSZ_E_NS1_11comp_targetILNS1_3genE8ELNS1_11target_archE1030ELNS1_3gpuE2ELNS1_3repE0EEENS1_47radix_sort_onesweep_sort_config_static_selectorELNS0_4arch9wavefront6targetE0EEEvSG_.num_named_barrier, 0
	.set _ZN7rocprim17ROCPRIM_400000_NS6detail17trampoline_kernelINS0_14default_configENS1_35radix_sort_onesweep_config_selectorIdNS0_10empty_typeEEEZZNS1_29radix_sort_onesweep_iterationIS3_Lb0EPKdPdPS5_SB_mNS0_19identity_decomposerENS1_16block_id_wrapperIjLb1EEEEE10hipError_tT1_PNSt15iterator_traitsISG_E10value_typeET2_T3_PNSH_ISM_E10value_typeET4_T5_PSR_SS_PNS1_23onesweep_lookback_stateEbbT6_jjT7_P12ihipStream_tbENKUlT_T0_SG_SL_E_clIS9_SA_SB_SB_EEDaSZ_S10_SG_SL_EUlSZ_E_NS1_11comp_targetILNS1_3genE8ELNS1_11target_archE1030ELNS1_3gpuE2ELNS1_3repE0EEENS1_47radix_sort_onesweep_sort_config_static_selectorELNS0_4arch9wavefront6targetE0EEEvSG_.private_seg_size, 0
	.set _ZN7rocprim17ROCPRIM_400000_NS6detail17trampoline_kernelINS0_14default_configENS1_35radix_sort_onesweep_config_selectorIdNS0_10empty_typeEEEZZNS1_29radix_sort_onesweep_iterationIS3_Lb0EPKdPdPS5_SB_mNS0_19identity_decomposerENS1_16block_id_wrapperIjLb1EEEEE10hipError_tT1_PNSt15iterator_traitsISG_E10value_typeET2_T3_PNSH_ISM_E10value_typeET4_T5_PSR_SS_PNS1_23onesweep_lookback_stateEbbT6_jjT7_P12ihipStream_tbENKUlT_T0_SG_SL_E_clIS9_SA_SB_SB_EEDaSZ_S10_SG_SL_EUlSZ_E_NS1_11comp_targetILNS1_3genE8ELNS1_11target_archE1030ELNS1_3gpuE2ELNS1_3repE0EEENS1_47radix_sort_onesweep_sort_config_static_selectorELNS0_4arch9wavefront6targetE0EEEvSG_.uses_vcc, 0
	.set _ZN7rocprim17ROCPRIM_400000_NS6detail17trampoline_kernelINS0_14default_configENS1_35radix_sort_onesweep_config_selectorIdNS0_10empty_typeEEEZZNS1_29radix_sort_onesweep_iterationIS3_Lb0EPKdPdPS5_SB_mNS0_19identity_decomposerENS1_16block_id_wrapperIjLb1EEEEE10hipError_tT1_PNSt15iterator_traitsISG_E10value_typeET2_T3_PNSH_ISM_E10value_typeET4_T5_PSR_SS_PNS1_23onesweep_lookback_stateEbbT6_jjT7_P12ihipStream_tbENKUlT_T0_SG_SL_E_clIS9_SA_SB_SB_EEDaSZ_S10_SG_SL_EUlSZ_E_NS1_11comp_targetILNS1_3genE8ELNS1_11target_archE1030ELNS1_3gpuE2ELNS1_3repE0EEENS1_47radix_sort_onesweep_sort_config_static_selectorELNS0_4arch9wavefront6targetE0EEEvSG_.uses_flat_scratch, 0
	.set _ZN7rocprim17ROCPRIM_400000_NS6detail17trampoline_kernelINS0_14default_configENS1_35radix_sort_onesweep_config_selectorIdNS0_10empty_typeEEEZZNS1_29radix_sort_onesweep_iterationIS3_Lb0EPKdPdPS5_SB_mNS0_19identity_decomposerENS1_16block_id_wrapperIjLb1EEEEE10hipError_tT1_PNSt15iterator_traitsISG_E10value_typeET2_T3_PNSH_ISM_E10value_typeET4_T5_PSR_SS_PNS1_23onesweep_lookback_stateEbbT6_jjT7_P12ihipStream_tbENKUlT_T0_SG_SL_E_clIS9_SA_SB_SB_EEDaSZ_S10_SG_SL_EUlSZ_E_NS1_11comp_targetILNS1_3genE8ELNS1_11target_archE1030ELNS1_3gpuE2ELNS1_3repE0EEENS1_47radix_sort_onesweep_sort_config_static_selectorELNS0_4arch9wavefront6targetE0EEEvSG_.has_dyn_sized_stack, 0
	.set _ZN7rocprim17ROCPRIM_400000_NS6detail17trampoline_kernelINS0_14default_configENS1_35radix_sort_onesweep_config_selectorIdNS0_10empty_typeEEEZZNS1_29radix_sort_onesweep_iterationIS3_Lb0EPKdPdPS5_SB_mNS0_19identity_decomposerENS1_16block_id_wrapperIjLb1EEEEE10hipError_tT1_PNSt15iterator_traitsISG_E10value_typeET2_T3_PNSH_ISM_E10value_typeET4_T5_PSR_SS_PNS1_23onesweep_lookback_stateEbbT6_jjT7_P12ihipStream_tbENKUlT_T0_SG_SL_E_clIS9_SA_SB_SB_EEDaSZ_S10_SG_SL_EUlSZ_E_NS1_11comp_targetILNS1_3genE8ELNS1_11target_archE1030ELNS1_3gpuE2ELNS1_3repE0EEENS1_47radix_sort_onesweep_sort_config_static_selectorELNS0_4arch9wavefront6targetE0EEEvSG_.has_recursion, 0
	.set _ZN7rocprim17ROCPRIM_400000_NS6detail17trampoline_kernelINS0_14default_configENS1_35radix_sort_onesweep_config_selectorIdNS0_10empty_typeEEEZZNS1_29radix_sort_onesweep_iterationIS3_Lb0EPKdPdPS5_SB_mNS0_19identity_decomposerENS1_16block_id_wrapperIjLb1EEEEE10hipError_tT1_PNSt15iterator_traitsISG_E10value_typeET2_T3_PNSH_ISM_E10value_typeET4_T5_PSR_SS_PNS1_23onesweep_lookback_stateEbbT6_jjT7_P12ihipStream_tbENKUlT_T0_SG_SL_E_clIS9_SA_SB_SB_EEDaSZ_S10_SG_SL_EUlSZ_E_NS1_11comp_targetILNS1_3genE8ELNS1_11target_archE1030ELNS1_3gpuE2ELNS1_3repE0EEENS1_47radix_sort_onesweep_sort_config_static_selectorELNS0_4arch9wavefront6targetE0EEEvSG_.has_indirect_call, 0
	.section	.AMDGPU.csdata,"",@progbits
; Kernel info:
; codeLenInByte = 0
; TotalNumSgprs: 0
; NumVgprs: 0
; ScratchSize: 0
; MemoryBound: 0
; FloatMode: 240
; IeeeMode: 1
; LDSByteSize: 0 bytes/workgroup (compile time only)
; SGPRBlocks: 0
; VGPRBlocks: 0
; NumSGPRsForWavesPerEU: 1
; NumVGPRsForWavesPerEU: 1
; NamedBarCnt: 0
; Occupancy: 16
; WaveLimiterHint : 0
; COMPUTE_PGM_RSRC2:SCRATCH_EN: 0
; COMPUTE_PGM_RSRC2:USER_SGPR: 2
; COMPUTE_PGM_RSRC2:TRAP_HANDLER: 0
; COMPUTE_PGM_RSRC2:TGID_X_EN: 1
; COMPUTE_PGM_RSRC2:TGID_Y_EN: 0
; COMPUTE_PGM_RSRC2:TGID_Z_EN: 0
; COMPUTE_PGM_RSRC2:TIDIG_COMP_CNT: 0
	.section	.text._ZN7rocprim17ROCPRIM_400000_NS6detail17trampoline_kernelINS0_14default_configENS1_35radix_sort_onesweep_config_selectorIdNS0_10empty_typeEEEZZNS1_29radix_sort_onesweep_iterationIS3_Lb0EPKdPdPS5_SB_mNS0_19identity_decomposerENS1_16block_id_wrapperIjLb1EEEEE10hipError_tT1_PNSt15iterator_traitsISG_E10value_typeET2_T3_PNSH_ISM_E10value_typeET4_T5_PSR_SS_PNS1_23onesweep_lookback_stateEbbT6_jjT7_P12ihipStream_tbENKUlT_T0_SG_SL_E_clISA_SA_SB_SB_EEDaSZ_S10_SG_SL_EUlSZ_E_NS1_11comp_targetILNS1_3genE0ELNS1_11target_archE4294967295ELNS1_3gpuE0ELNS1_3repE0EEENS1_47radix_sort_onesweep_sort_config_static_selectorELNS0_4arch9wavefront6targetE0EEEvSG_,"axG",@progbits,_ZN7rocprim17ROCPRIM_400000_NS6detail17trampoline_kernelINS0_14default_configENS1_35radix_sort_onesweep_config_selectorIdNS0_10empty_typeEEEZZNS1_29radix_sort_onesweep_iterationIS3_Lb0EPKdPdPS5_SB_mNS0_19identity_decomposerENS1_16block_id_wrapperIjLb1EEEEE10hipError_tT1_PNSt15iterator_traitsISG_E10value_typeET2_T3_PNSH_ISM_E10value_typeET4_T5_PSR_SS_PNS1_23onesweep_lookback_stateEbbT6_jjT7_P12ihipStream_tbENKUlT_T0_SG_SL_E_clISA_SA_SB_SB_EEDaSZ_S10_SG_SL_EUlSZ_E_NS1_11comp_targetILNS1_3genE0ELNS1_11target_archE4294967295ELNS1_3gpuE0ELNS1_3repE0EEENS1_47radix_sort_onesweep_sort_config_static_selectorELNS0_4arch9wavefront6targetE0EEEvSG_,comdat
	.protected	_ZN7rocprim17ROCPRIM_400000_NS6detail17trampoline_kernelINS0_14default_configENS1_35radix_sort_onesweep_config_selectorIdNS0_10empty_typeEEEZZNS1_29radix_sort_onesweep_iterationIS3_Lb0EPKdPdPS5_SB_mNS0_19identity_decomposerENS1_16block_id_wrapperIjLb1EEEEE10hipError_tT1_PNSt15iterator_traitsISG_E10value_typeET2_T3_PNSH_ISM_E10value_typeET4_T5_PSR_SS_PNS1_23onesweep_lookback_stateEbbT6_jjT7_P12ihipStream_tbENKUlT_T0_SG_SL_E_clISA_SA_SB_SB_EEDaSZ_S10_SG_SL_EUlSZ_E_NS1_11comp_targetILNS1_3genE0ELNS1_11target_archE4294967295ELNS1_3gpuE0ELNS1_3repE0EEENS1_47radix_sort_onesweep_sort_config_static_selectorELNS0_4arch9wavefront6targetE0EEEvSG_ ; -- Begin function _ZN7rocprim17ROCPRIM_400000_NS6detail17trampoline_kernelINS0_14default_configENS1_35radix_sort_onesweep_config_selectorIdNS0_10empty_typeEEEZZNS1_29radix_sort_onesweep_iterationIS3_Lb0EPKdPdPS5_SB_mNS0_19identity_decomposerENS1_16block_id_wrapperIjLb1EEEEE10hipError_tT1_PNSt15iterator_traitsISG_E10value_typeET2_T3_PNSH_ISM_E10value_typeET4_T5_PSR_SS_PNS1_23onesweep_lookback_stateEbbT6_jjT7_P12ihipStream_tbENKUlT_T0_SG_SL_E_clISA_SA_SB_SB_EEDaSZ_S10_SG_SL_EUlSZ_E_NS1_11comp_targetILNS1_3genE0ELNS1_11target_archE4294967295ELNS1_3gpuE0ELNS1_3repE0EEENS1_47radix_sort_onesweep_sort_config_static_selectorELNS0_4arch9wavefront6targetE0EEEvSG_
	.globl	_ZN7rocprim17ROCPRIM_400000_NS6detail17trampoline_kernelINS0_14default_configENS1_35radix_sort_onesweep_config_selectorIdNS0_10empty_typeEEEZZNS1_29radix_sort_onesweep_iterationIS3_Lb0EPKdPdPS5_SB_mNS0_19identity_decomposerENS1_16block_id_wrapperIjLb1EEEEE10hipError_tT1_PNSt15iterator_traitsISG_E10value_typeET2_T3_PNSH_ISM_E10value_typeET4_T5_PSR_SS_PNS1_23onesweep_lookback_stateEbbT6_jjT7_P12ihipStream_tbENKUlT_T0_SG_SL_E_clISA_SA_SB_SB_EEDaSZ_S10_SG_SL_EUlSZ_E_NS1_11comp_targetILNS1_3genE0ELNS1_11target_archE4294967295ELNS1_3gpuE0ELNS1_3repE0EEENS1_47radix_sort_onesweep_sort_config_static_selectorELNS0_4arch9wavefront6targetE0EEEvSG_
	.p2align	8
	.type	_ZN7rocprim17ROCPRIM_400000_NS6detail17trampoline_kernelINS0_14default_configENS1_35radix_sort_onesweep_config_selectorIdNS0_10empty_typeEEEZZNS1_29radix_sort_onesweep_iterationIS3_Lb0EPKdPdPS5_SB_mNS0_19identity_decomposerENS1_16block_id_wrapperIjLb1EEEEE10hipError_tT1_PNSt15iterator_traitsISG_E10value_typeET2_T3_PNSH_ISM_E10value_typeET4_T5_PSR_SS_PNS1_23onesweep_lookback_stateEbbT6_jjT7_P12ihipStream_tbENKUlT_T0_SG_SL_E_clISA_SA_SB_SB_EEDaSZ_S10_SG_SL_EUlSZ_E_NS1_11comp_targetILNS1_3genE0ELNS1_11target_archE4294967295ELNS1_3gpuE0ELNS1_3repE0EEENS1_47radix_sort_onesweep_sort_config_static_selectorELNS0_4arch9wavefront6targetE0EEEvSG_,@function
_ZN7rocprim17ROCPRIM_400000_NS6detail17trampoline_kernelINS0_14default_configENS1_35radix_sort_onesweep_config_selectorIdNS0_10empty_typeEEEZZNS1_29radix_sort_onesweep_iterationIS3_Lb0EPKdPdPS5_SB_mNS0_19identity_decomposerENS1_16block_id_wrapperIjLb1EEEEE10hipError_tT1_PNSt15iterator_traitsISG_E10value_typeET2_T3_PNSH_ISM_E10value_typeET4_T5_PSR_SS_PNS1_23onesweep_lookback_stateEbbT6_jjT7_P12ihipStream_tbENKUlT_T0_SG_SL_E_clISA_SA_SB_SB_EEDaSZ_S10_SG_SL_EUlSZ_E_NS1_11comp_targetILNS1_3genE0ELNS1_11target_archE4294967295ELNS1_3gpuE0ELNS1_3repE0EEENS1_47radix_sort_onesweep_sort_config_static_selectorELNS0_4arch9wavefront6targetE0EEEvSG_: ; @_ZN7rocprim17ROCPRIM_400000_NS6detail17trampoline_kernelINS0_14default_configENS1_35radix_sort_onesweep_config_selectorIdNS0_10empty_typeEEEZZNS1_29radix_sort_onesweep_iterationIS3_Lb0EPKdPdPS5_SB_mNS0_19identity_decomposerENS1_16block_id_wrapperIjLb1EEEEE10hipError_tT1_PNSt15iterator_traitsISG_E10value_typeET2_T3_PNSH_ISM_E10value_typeET4_T5_PSR_SS_PNS1_23onesweep_lookback_stateEbbT6_jjT7_P12ihipStream_tbENKUlT_T0_SG_SL_E_clISA_SA_SB_SB_EEDaSZ_S10_SG_SL_EUlSZ_E_NS1_11comp_targetILNS1_3genE0ELNS1_11target_archE4294967295ELNS1_3gpuE0ELNS1_3repE0EEENS1_47radix_sort_onesweep_sort_config_static_selectorELNS0_4arch9wavefront6targetE0EEEvSG_
; %bb.0:
	s_clause 0x1
	s_load_b128 s[12:15], s[0:1], 0x28
	s_load_b64 s[10:11], s[0:1], 0x38
	v_and_b32_e32 v32, 0x3ff, v0
	s_delay_alu instid0(VALU_DEP_1)
	v_cmp_eq_u32_e64 s2, 0, v32
	s_and_saveexec_b32 s3, s2
	s_cbranch_execz .LBB1614_4
; %bb.1:
	s_mov_b32 s5, exec_lo
	s_mov_b32 s4, exec_lo
	v_mbcnt_lo_u32_b32 v1, s5, 0
                                        ; implicit-def: $vgpr2
	s_delay_alu instid0(VALU_DEP_1)
	v_cmpx_eq_u32_e32 0, v1
	s_cbranch_execz .LBB1614_3
; %bb.2:
	s_load_b64 s[6:7], s[0:1], 0x50
	s_bcnt1_i32_b32 s5, s5
	s_delay_alu instid0(SALU_CYCLE_1)
	v_dual_mov_b32 v2, 0 :: v_dual_mov_b32 v3, s5
	s_wait_xcnt 0x0
	s_wait_kmcnt 0x0
	global_atomic_add_u32 v2, v2, v3, s[6:7] th:TH_ATOMIC_RETURN scope:SCOPE_DEV
.LBB1614_3:
	s_wait_xcnt 0x0
	s_or_b32 exec_lo, exec_lo, s4
	s_wait_loadcnt 0x0
	v_readfirstlane_b32 s4, v2
	s_delay_alu instid0(VALU_DEP_1)
	v_dual_mov_b32 v2, 0 :: v_dual_add_nc_u32 v1, s4, v1
	ds_store_b32 v2, v1 offset:18496
.LBB1614_4:
	s_or_b32 exec_lo, exec_lo, s3
	v_dual_mov_b32 v5, 0 :: v_dual_lshlrev_b32 v2, 3, v32
	s_clause 0x2
	s_load_b128 s[16:19], s[0:1], 0x0
	s_load_b32 s3, s[0:1], 0x20
	s_load_b96 s[20:22], s[0:1], 0x44
	s_wait_dscnt 0x0
	s_barrier_signal -1
	s_barrier_wait -1
	ds_load_b32 v1, v5 offset:18496
	v_mbcnt_lo_u32_b32 v33, -1, 0
	s_mov_b32 s4, -1
	s_add_nc_u64 s[24:25], s[0:1], 0x58
	s_getreg_b32 s27, hwreg(HW_REG_IB_STS2, 6, 4)
	s_wait_dscnt 0x0
	s_barrier_signal -1
	s_barrier_wait -1
	s_wait_kmcnt 0x0
	v_cmp_le_u32_e32 vcc_lo, s22, v1
	v_readfirstlane_b32 s26, v1
	s_cbranch_vccz .LBB1614_70
; %bb.5:
	s_lshl_b32 s4, s26, 12
	s_mov_b32 s5, 0
	v_lshlrev_b32_e32 v4, 3, v33
	s_lshl_b64 s[4:5], s[4:5], 3
	v_and_b32_e32 v1, 0x1f00, v2
	s_add_nc_u64 s[4:5], s[16:17], s[4:5]
	v_mov_b64_e32 v[6:7], 0x7fffffffffffffff
	v_add_nc_u64_e32 v[8:9], s[4:5], v[4:5]
	s_lshl_b32 s4, s22, 12
	v_dual_lshlrev_b32 v4, 3, v1 :: v_dual_bitop2_b32 v1, v33, v1 bitop3:0x54
	s_sub_co_i32 s28, s3, s4
	s_mov_b32 s3, exec_lo
	s_delay_alu instid0(VALU_DEP_1)
	v_add_nc_u64_e32 v[20:21], v[8:9], v[4:5]
	v_mov_b64_e32 v[4:5], 0x7fffffffffffffff
	v_cmpx_gt_u32_e64 s28, v1
	s_cbranch_execz .LBB1614_7
; %bb.6:
	global_load_b64 v[4:5], v[20:21], off
.LBB1614_7:
	s_wait_xcnt 0x0
	s_or_b32 exec_lo, exec_lo, s3
	v_or_b32_e32 v3, 32, v1
	s_mov_b32 s3, exec_lo
	s_delay_alu instid0(VALU_DEP_1)
	v_cmpx_gt_u32_e64 s28, v3
	s_cbranch_execz .LBB1614_9
; %bb.8:
	global_load_b64 v[6:7], v[20:21], off offset:256
.LBB1614_9:
	s_wait_xcnt 0x0
	s_or_b32 exec_lo, exec_lo, s3
	v_mov_b64_e32 v[10:11], 0x7fffffffffffffff
	v_mov_b64_e32 v[8:9], 0x7fffffffffffffff
	v_or_b32_e32 v3, 64, v1
	s_mov_b32 s3, exec_lo
	s_delay_alu instid0(VALU_DEP_1)
	v_cmpx_gt_u32_e64 s28, v3
	s_cbranch_execz .LBB1614_11
; %bb.10:
	global_load_b64 v[8:9], v[20:21], off offset:512
.LBB1614_11:
	s_wait_xcnt 0x0
	s_or_b32 exec_lo, exec_lo, s3
	v_or_b32_e32 v3, 0x60, v1
	s_mov_b32 s3, exec_lo
	s_delay_alu instid0(VALU_DEP_1)
	v_cmpx_gt_u32_e64 s28, v3
	s_cbranch_execz .LBB1614_13
; %bb.12:
	global_load_b64 v[10:11], v[20:21], off offset:768
.LBB1614_13:
	s_wait_xcnt 0x0
	s_or_b32 exec_lo, exec_lo, s3
	v_mov_b64_e32 v[16:17], 0x7fffffffffffffff
	v_mov_b64_e32 v[12:13], 0x7fffffffffffffff
	v_or_b32_e32 v3, 0x80, v1
	s_mov_b32 s3, exec_lo
	s_delay_alu instid0(VALU_DEP_1)
	v_cmpx_gt_u32_e64 s28, v3
	s_cbranch_execz .LBB1614_15
; %bb.14:
	global_load_b64 v[12:13], v[20:21], off offset:1024
.LBB1614_15:
	;; [unrolled: 22-line block ×3, first 2 shown]
	s_wait_xcnt 0x0
	s_or_b32 exec_lo, exec_lo, s3
	v_or_b32_e32 v1, 0xe0, v1
	s_mov_b32 s3, exec_lo
	s_delay_alu instid0(VALU_DEP_1)
	v_cmpx_gt_u32_e64 s28, v1
	s_cbranch_execz .LBB1614_21
; %bb.20:
	global_load_b64 v[14:15], v[20:21], off offset:1792
.LBB1614_21:
	s_wait_xcnt 0x0
	s_or_b32 exec_lo, exec_lo, s3
	s_wait_loadcnt 0x0
	v_cmp_lt_i64_e32 vcc_lo, -1, v[4:5]
	s_clause 0x1
	s_load_b32 s29, s[0:1], 0x58
	s_load_u16 s3, s[0:1], 0x66
	s_mov_b64 s[6:7], 0x7fffffffffffffff
	s_bfe_u32 s4, ttmp6, 0x4000c
	s_and_b32 s5, ttmp6, 15
	s_add_co_i32 s4, s4, 1
	v_cndmask_b32_e64 v1, -1, 0x80000000, vcc_lo
	v_ashrrev_i32_e32 v3, 31, v5
	s_mul_i32 s4, ttmp9, s4
	s_delay_alu instid0(SALU_CYCLE_1) | instskip(NEXT) | instid1(VALU_DEP_2)
	s_add_co_i32 s5, s5, s4
	v_xor_b32_e32 v5, v1, v5
	s_delay_alu instid0(VALU_DEP_2)
	v_xor_b32_e32 v4, v3, v4
	s_cmp_eq_u32 s27, 0
	v_bfe_u32 v1, v0, 10, 10
	s_cselect_b32 s4, ttmp9, s5
	v_bfe_u32 v3, v0, 20, 10
	v_cmp_ne_u64_e32 vcc_lo, s[6:7], v[4:5]
	s_mov_b32 s5, 0
	s_wait_kmcnt 0x0
	s_cmp_lt_u32 s4, s29
	v_mad_u32_u24 v1, v3, s3, v1
	s_cselect_b32 s4, 12, 18
	s_lshl_b32 s8, -1, s21
	v_cndmask_b32_e32 v21, 0x80000000, v5, vcc_lo
	v_cndmask_b32_e32 v20, 0, v4, vcc_lo
	s_add_nc_u64 s[4:5], s[24:25], s[4:5]
	s_not_b32 s30, s8
	s_load_u16 s9, s[4:5], 0x0
	s_delay_alu instid0(VALU_DEP_1) | instskip(NEXT) | instid1(VALU_DEP_1)
	v_lshrrev_b64 v[20:21], s20, v[20:21]
	v_bitop3_b32 v22, v20, s8, v20 bitop3:0x30
	v_bitop3_b32 v3, v20, 1, s8 bitop3:0x40
	s_delay_alu instid0(VALU_DEP_2) | instskip(NEXT) | instid1(VALU_DEP_2)
	v_lshlrev_b32_e32 v21, 30, v22
	v_add_co_u32 v3, s3, v3, -1
	s_delay_alu instid0(VALU_DEP_1) | instskip(SKIP_1) | instid1(VALU_DEP_4)
	v_cndmask_b32_e64 v20, 0, 1, s3
	v_dual_lshlrev_b32 v23, 29, v22 :: v_dual_lshlrev_b32 v24, 28, v22
	v_not_b32_e32 v27, v21
	v_dual_lshlrev_b32 v25, 27, v22 :: v_dual_lshlrev_b32 v26, 26, v22
	s_delay_alu instid0(VALU_DEP_4)
	v_cmp_ne_u32_e32 vcc_lo, 0, v20
	v_cmp_gt_i32_e64 s3, 0, v21
	s_wait_xcnt 0x0
	v_cmp_gt_i32_e64 s4, 0, v23
	v_not_b32_e32 v20, v23
	v_ashrrev_i32_e32 v21, 31, v27
	v_not_b32_e32 v23, v24
	v_cmp_gt_i32_e64 s5, 0, v24
	v_not_b32_e32 v24, v25
	v_dual_ashrrev_i32 v20, 31, v20 :: v_dual_bitop2_b32 v3, vcc_lo, v3 bitop3:0x14
	s_delay_alu instid0(VALU_DEP_4) | instskip(SKIP_1) | instid1(VALU_DEP_4)
	v_dual_ashrrev_i32 v23, 31, v23 :: v_dual_bitop2_b32 v21, s3, v21 bitop3:0x14
	v_cmp_gt_i32_e32 vcc_lo, 0, v25
	v_ashrrev_i32_e32 v24, 31, v24
	s_delay_alu instid0(VALU_DEP_4) | instskip(NEXT) | instid1(VALU_DEP_4)
	v_dual_lshlrev_b32 v25, 25, v22 :: v_dual_bitop2_b32 v20, s4, v20 bitop3:0x14
	v_bitop3_b32 v3, v3, v21, exec_lo bitop3:0x80
	v_xor_b32_e32 v21, s5, v23
	v_not_b32_e32 v23, v26
	v_cmp_gt_i32_e64 s3, 0, v26
	v_lshlrev_b32_e32 v26, 24, v22
	s_wait_kmcnt 0x0
	v_mad_u32 v1, v1, s9, v32
	v_bitop3_b32 v20, v3, v21, v20 bitop3:0x80
	v_dual_ashrrev_i32 v23, 31, v23 :: v_dual_bitop2_b32 v21, vcc_lo, v24 bitop3:0x14
	v_not_b32_e32 v3, v25
	v_not_b32_e32 v24, v26
	v_cmp_gt_i32_e32 vcc_lo, 0, v25
	s_delay_alu instid0(VALU_DEP_4) | instskip(SKIP_1) | instid1(VALU_DEP_4)
	v_xor_b32_e32 v23, s3, v23
	v_cmp_gt_i32_e64 s3, 0, v26
	v_dual_ashrrev_i32 v25, 31, v3 :: v_dual_ashrrev_i32 v24, 31, v24
	v_lshrrev_b32_e32 v1, 5, v1
	s_delay_alu instid0(VALU_DEP_4) | instskip(SKIP_1) | instid1(VALU_DEP_4)
	v_bitop3_b32 v21, v20, v23, v21 bitop3:0x80
	v_mul_u32_u24_e32 v3, 36, v32
	v_dual_mov_b32 v25, 0 :: v_dual_bitop2_b32 v23, vcc_lo, v25 bitop3:0x14
	s_delay_alu instid0(VALU_DEP_4)
	v_dual_lshlrev_b32 v20, 2, v1 :: v_dual_bitop2_b32 v24, s3, v24 bitop3:0x14
	ds_store_2addr_b32 v3, v25, v25 offset0:16 offset1:17
	ds_store_2addr_b32 v3, v25, v25 offset0:18 offset1:19
	;; [unrolled: 1-line block ×4, first 2 shown]
	v_bitop3_b32 v21, v21, v24, v23 bitop3:0x80
	v_mad_u32 v28, 0x44, v22, v20
	ds_store_b32 v3, v25 offset:96
	s_wait_dscnt 0x0
	s_barrier_signal -1
	v_mbcnt_lo_u32_b32 v1, v21, 0
	v_cmp_ne_u32_e64 s3, 0, v21
	s_barrier_wait -1
	s_delay_alu instid0(VALU_DEP_2) | instskip(SKIP_1) | instid1(SALU_CYCLE_1)
	v_cmp_eq_u32_e32 vcc_lo, 0, v1
	; wave barrier
	s_and_b32 s4, s3, vcc_lo
	s_and_saveexec_b32 s3, s4
; %bb.22:
	v_bcnt_u32_b32 v21, v21, 0
	ds_store_b32 v28, v21 offset:64
; %bb.23:
	s_or_b32 exec_lo, exec_lo, s3
	v_cmp_lt_i64_e32 vcc_lo, -1, v[6:7]
	; wave barrier
	v_cndmask_b32_e64 v21, -1, 0x80000000, vcc_lo
	s_delay_alu instid0(VALU_DEP_1) | instskip(NEXT) | instid1(VALU_DEP_1)
	v_dual_ashrrev_i32 v22, 31, v7 :: v_dual_bitop2_b32 v7, v21, v7 bitop3:0x14
	v_xor_b32_e32 v6, v22, v6
	s_delay_alu instid0(VALU_DEP_1) | instskip(SKIP_2) | instid1(VALU_DEP_1)
	v_cmp_ne_u64_e32 vcc_lo, s[6:7], v[6:7]
	v_cndmask_b32_e32 v23, 0x80000000, v7, vcc_lo
	v_cndmask_b32_e32 v22, 0, v6, vcc_lo
	v_lshrrev_b64 v[22:23], s20, v[22:23]
	s_delay_alu instid0(VALU_DEP_1) | instskip(SKIP_1) | instid1(VALU_DEP_2)
	v_and_b32_e32 v21, s30, v22
	v_bitop3_b32 v22, v22, 1, s30 bitop3:0x80
	v_lshlrev_b32_e32 v24, 30, v21
	s_delay_alu instid0(VALU_DEP_2) | instskip(NEXT) | instid1(VALU_DEP_1)
	v_add_co_u32 v22, s3, v22, -1
	v_cndmask_b32_e64 v23, 0, 1, s3
	s_delay_alu instid0(VALU_DEP_3) | instskip(NEXT) | instid1(VALU_DEP_2)
	v_cmp_gt_i32_e64 s3, 0, v24
	v_cmp_ne_u32_e32 vcc_lo, 0, v23
	v_not_b32_e32 v23, v24
	s_delay_alu instid0(VALU_DEP_1) | instskip(SKIP_3) | instid1(VALU_DEP_4)
	v_dual_ashrrev_i32 v23, 31, v23 :: v_dual_lshlrev_b32 v25, 29, v21
	v_dual_lshlrev_b32 v26, 28, v21 :: v_dual_lshlrev_b32 v27, 27, v21
	v_lshlrev_b32_e32 v30, 26, v21
	v_mad_u32 v29, 0x44, v21, v20
	v_cmp_gt_i32_e64 s4, 0, v25
	v_not_b32_e32 v24, v25
	v_not_b32_e32 v25, v26
	v_dual_lshlrev_b32 v31, 25, v21 :: v_dual_lshlrev_b32 v21, 24, v21
	v_cmp_gt_i32_e64 s5, 0, v26
	v_cmp_gt_i32_e64 s6, 0, v27
	v_not_b32_e32 v26, v27
	v_not_b32_e32 v27, v30
	v_dual_ashrrev_i32 v24, 31, v24 :: v_dual_bitop2_b32 v22, vcc_lo, v22 bitop3:0x14
	v_dual_ashrrev_i32 v25, 31, v25 :: v_dual_bitop2_b32 v23, s3, v23 bitop3:0x14
	v_cmp_gt_i32_e64 s7, 0, v30
	v_not_b32_e32 v30, v31
	v_cmp_gt_i32_e64 s9, 0, v21
	v_not_b32_e32 v21, v21
	v_dual_ashrrev_i32 v26, 31, v26 :: v_dual_ashrrev_i32 v27, 31, v27
	v_xor_b32_e32 v24, s4, v24
	v_xor_b32_e32 v25, s5, v25
	v_bitop3_b32 v22, v22, v23, exec_lo bitop3:0x80
	v_cmp_gt_i32_e64 s8, 0, v31
	v_dual_ashrrev_i32 v23, 31, v30 :: v_dual_ashrrev_i32 v21, 31, v21
	v_xor_b32_e32 v26, s6, v26
	v_xor_b32_e32 v27, s7, v27
	v_bitop3_b32 v22, v22, v25, v24 bitop3:0x80
	s_delay_alu instid0(VALU_DEP_4) | instskip(SKIP_3) | instid1(VALU_DEP_1)
	v_xor_b32_e32 v23, s8, v23
	v_xor_b32_e32 v21, s9, v21
	ds_load_b32 v34, v29 offset:64
	v_bitop3_b32 v22, v22, v27, v26 bitop3:0x80
	; wave barrier
	v_bitop3_b32 v21, v22, v21, v23 bitop3:0x80
	s_delay_alu instid0(VALU_DEP_1) | instskip(SKIP_1) | instid1(VALU_DEP_2)
	v_mbcnt_lo_u32_b32 v35, v21, 0
	v_cmp_ne_u32_e64 s3, 0, v21
	v_cmp_eq_u32_e32 vcc_lo, 0, v35
	s_and_b32 s4, s3, vcc_lo
	s_delay_alu instid0(SALU_CYCLE_1)
	s_and_saveexec_b32 s3, s4
	s_cbranch_execz .LBB1614_25
; %bb.24:
	s_wait_dscnt 0x0
	v_bcnt_u32_b32 v21, v21, v34
	ds_store_b32 v29, v21 offset:64
.LBB1614_25:
	s_or_b32 exec_lo, exec_lo, s3
	v_cmp_lt_i64_e32 vcc_lo, -1, v[8:9]
	s_mov_b64 s[22:23], 0x7fffffffffffffff
	; wave barrier
	v_cndmask_b32_e64 v21, -1, 0x80000000, vcc_lo
	s_delay_alu instid0(VALU_DEP_1) | instskip(NEXT) | instid1(VALU_DEP_1)
	v_dual_ashrrev_i32 v22, 31, v9 :: v_dual_bitop2_b32 v9, v21, v9 bitop3:0x14
	v_xor_b32_e32 v8, v22, v8
	s_delay_alu instid0(VALU_DEP_1) | instskip(SKIP_2) | instid1(VALU_DEP_1)
	v_cmp_ne_u64_e32 vcc_lo, s[22:23], v[8:9]
	v_cndmask_b32_e32 v23, 0x80000000, v9, vcc_lo
	v_cndmask_b32_e32 v22, 0, v8, vcc_lo
	v_lshrrev_b64 v[22:23], s20, v[22:23]
	s_delay_alu instid0(VALU_DEP_1) | instskip(SKIP_1) | instid1(VALU_DEP_2)
	v_and_b32_e32 v21, s30, v22
	v_bitop3_b32 v22, v22, 1, s30 bitop3:0x80
	v_lshlrev_b32_e32 v24, 30, v21
	s_delay_alu instid0(VALU_DEP_2) | instskip(NEXT) | instid1(VALU_DEP_1)
	v_add_co_u32 v22, s3, v22, -1
	v_cndmask_b32_e64 v23, 0, 1, s3
	s_delay_alu instid0(VALU_DEP_3) | instskip(NEXT) | instid1(VALU_DEP_2)
	v_cmp_gt_i32_e64 s3, 0, v24
	v_cmp_ne_u32_e32 vcc_lo, 0, v23
	v_not_b32_e32 v23, v24
	s_delay_alu instid0(VALU_DEP_1) | instskip(SKIP_3) | instid1(VALU_DEP_3)
	v_dual_ashrrev_i32 v23, 31, v23 :: v_dual_bitop2_b32 v22, vcc_lo, v22 bitop3:0x14
	v_dual_lshlrev_b32 v25, 29, v21 :: v_dual_lshlrev_b32 v26, 28, v21
	v_dual_lshlrev_b32 v27, 27, v21 :: v_dual_lshlrev_b32 v31, 26, v21
	v_lshlrev_b32_e32 v36, 25, v21
	v_cmp_gt_i32_e64 s4, 0, v25
	v_not_b32_e32 v24, v25
	v_not_b32_e32 v25, v26
	v_mad_u32 v30, 0x44, v21, v20
	v_lshlrev_b32_e32 v21, 24, v21
	v_cmp_gt_i32_e64 s5, 0, v26
	v_cmp_gt_i32_e64 s6, 0, v27
	v_not_b32_e32 v26, v27
	v_not_b32_e32 v27, v31
	v_dual_ashrrev_i32 v24, 31, v24 :: v_dual_ashrrev_i32 v25, 31, v25
	v_xor_b32_e32 v23, s3, v23
	v_cmp_gt_i32_e64 s7, 0, v31
	v_not_b32_e32 v31, v36
	v_cmp_gt_i32_e64 s9, 0, v21
	v_not_b32_e32 v21, v21
	v_dual_ashrrev_i32 v26, 31, v26 :: v_dual_ashrrev_i32 v27, 31, v27
	v_xor_b32_e32 v24, s4, v24
	v_xor_b32_e32 v25, s5, v25
	v_bitop3_b32 v22, v22, v23, exec_lo bitop3:0x80
	v_cmp_gt_i32_e64 s8, 0, v36
	v_dual_ashrrev_i32 v23, 31, v31 :: v_dual_ashrrev_i32 v21, 31, v21
	v_xor_b32_e32 v26, s6, v26
	v_xor_b32_e32 v27, s7, v27
	v_bitop3_b32 v22, v22, v25, v24 bitop3:0x80
	s_delay_alu instid0(VALU_DEP_4) | instskip(SKIP_3) | instid1(VALU_DEP_1)
	v_xor_b32_e32 v23, s8, v23
	v_xor_b32_e32 v21, s9, v21
	ds_load_b32 v36, v30 offset:64
	v_bitop3_b32 v22, v22, v27, v26 bitop3:0x80
	; wave barrier
	v_bitop3_b32 v21, v22, v21, v23 bitop3:0x80
	s_delay_alu instid0(VALU_DEP_1) | instskip(SKIP_1) | instid1(VALU_DEP_2)
	v_mbcnt_lo_u32_b32 v37, v21, 0
	v_cmp_ne_u32_e64 s3, 0, v21
	v_cmp_eq_u32_e32 vcc_lo, 0, v37
	s_and_b32 s4, s3, vcc_lo
	s_delay_alu instid0(SALU_CYCLE_1)
	s_and_saveexec_b32 s3, s4
	s_cbranch_execz .LBB1614_27
; %bb.26:
	s_wait_dscnt 0x0
	v_bcnt_u32_b32 v21, v21, v36
	ds_store_b32 v30, v21 offset:64
.LBB1614_27:
	s_or_b32 exec_lo, exec_lo, s3
	v_cmp_lt_i64_e32 vcc_lo, -1, v[10:11]
	; wave barrier
	v_cndmask_b32_e64 v21, -1, 0x80000000, vcc_lo
	s_delay_alu instid0(VALU_DEP_1) | instskip(NEXT) | instid1(VALU_DEP_1)
	v_dual_ashrrev_i32 v22, 31, v11 :: v_dual_bitop2_b32 v11, v21, v11 bitop3:0x14
	v_xor_b32_e32 v10, v22, v10
	s_delay_alu instid0(VALU_DEP_1) | instskip(SKIP_2) | instid1(VALU_DEP_1)
	v_cmp_ne_u64_e32 vcc_lo, s[22:23], v[10:11]
	v_cndmask_b32_e32 v23, 0x80000000, v11, vcc_lo
	v_cndmask_b32_e32 v22, 0, v10, vcc_lo
	v_lshrrev_b64 v[22:23], s20, v[22:23]
	s_delay_alu instid0(VALU_DEP_1) | instskip(SKIP_1) | instid1(VALU_DEP_2)
	v_and_b32_e32 v21, s30, v22
	v_bitop3_b32 v22, v22, 1, s30 bitop3:0x80
	v_lshlrev_b32_e32 v24, 30, v21
	s_delay_alu instid0(VALU_DEP_2) | instskip(NEXT) | instid1(VALU_DEP_1)
	v_add_co_u32 v22, s3, v22, -1
	v_cndmask_b32_e64 v23, 0, 1, s3
	s_delay_alu instid0(VALU_DEP_3) | instskip(NEXT) | instid1(VALU_DEP_2)
	v_cmp_gt_i32_e64 s3, 0, v24
	v_cmp_ne_u32_e32 vcc_lo, 0, v23
	v_not_b32_e32 v23, v24
	s_delay_alu instid0(VALU_DEP_1) | instskip(SKIP_3) | instid1(VALU_DEP_4)
	v_dual_ashrrev_i32 v23, 31, v23 :: v_dual_lshlrev_b32 v25, 29, v21
	v_dual_lshlrev_b32 v26, 28, v21 :: v_dual_lshlrev_b32 v27, 27, v21
	v_lshlrev_b32_e32 v38, 26, v21
	v_mad_u32 v31, 0x44, v21, v20
	v_cmp_gt_i32_e64 s4, 0, v25
	v_not_b32_e32 v24, v25
	v_not_b32_e32 v25, v26
	v_dual_lshlrev_b32 v39, 25, v21 :: v_dual_lshlrev_b32 v21, 24, v21
	v_cmp_gt_i32_e64 s5, 0, v26
	v_cmp_gt_i32_e64 s6, 0, v27
	v_not_b32_e32 v26, v27
	v_not_b32_e32 v27, v38
	v_dual_ashrrev_i32 v24, 31, v24 :: v_dual_bitop2_b32 v22, vcc_lo, v22 bitop3:0x14
	v_dual_ashrrev_i32 v25, 31, v25 :: v_dual_bitop2_b32 v23, s3, v23 bitop3:0x14
	v_cmp_gt_i32_e64 s7, 0, v38
	v_not_b32_e32 v38, v39
	v_cmp_gt_i32_e64 s9, 0, v21
	v_not_b32_e32 v21, v21
	v_dual_ashrrev_i32 v26, 31, v26 :: v_dual_ashrrev_i32 v27, 31, v27
	v_xor_b32_e32 v24, s4, v24
	v_xor_b32_e32 v25, s5, v25
	v_bitop3_b32 v22, v22, v23, exec_lo bitop3:0x80
	v_cmp_gt_i32_e64 s8, 0, v39
	v_dual_ashrrev_i32 v23, 31, v38 :: v_dual_ashrrev_i32 v21, 31, v21
	v_xor_b32_e32 v26, s6, v26
	v_xor_b32_e32 v27, s7, v27
	v_bitop3_b32 v22, v22, v25, v24 bitop3:0x80
	s_delay_alu instid0(VALU_DEP_4) | instskip(SKIP_3) | instid1(VALU_DEP_1)
	v_xor_b32_e32 v23, s8, v23
	v_xor_b32_e32 v21, s9, v21
	ds_load_b32 v38, v31 offset:64
	v_bitop3_b32 v22, v22, v27, v26 bitop3:0x80
	; wave barrier
	v_bitop3_b32 v21, v22, v21, v23 bitop3:0x80
	s_delay_alu instid0(VALU_DEP_1) | instskip(SKIP_1) | instid1(VALU_DEP_2)
	v_mbcnt_lo_u32_b32 v39, v21, 0
	v_cmp_ne_u32_e64 s3, 0, v21
	v_cmp_eq_u32_e32 vcc_lo, 0, v39
	s_and_b32 s4, s3, vcc_lo
	s_delay_alu instid0(SALU_CYCLE_1)
	s_and_saveexec_b32 s3, s4
	s_cbranch_execz .LBB1614_29
; %bb.28:
	s_wait_dscnt 0x0
	v_bcnt_u32_b32 v21, v21, v38
	ds_store_b32 v31, v21 offset:64
.LBB1614_29:
	s_or_b32 exec_lo, exec_lo, s3
	v_cmp_lt_i64_e32 vcc_lo, -1, v[12:13]
	; wave barrier
	v_cndmask_b32_e64 v21, -1, 0x80000000, vcc_lo
	s_delay_alu instid0(VALU_DEP_1) | instskip(NEXT) | instid1(VALU_DEP_1)
	v_dual_ashrrev_i32 v22, 31, v13 :: v_dual_bitop2_b32 v13, v21, v13 bitop3:0x14
	v_xor_b32_e32 v12, v22, v12
	s_delay_alu instid0(VALU_DEP_1) | instskip(SKIP_2) | instid1(VALU_DEP_1)
	v_cmp_ne_u64_e32 vcc_lo, s[22:23], v[12:13]
	v_cndmask_b32_e32 v23, 0x80000000, v13, vcc_lo
	v_cndmask_b32_e32 v22, 0, v12, vcc_lo
	v_lshrrev_b64 v[22:23], s20, v[22:23]
	s_delay_alu instid0(VALU_DEP_1) | instskip(SKIP_1) | instid1(VALU_DEP_2)
	v_and_b32_e32 v21, s30, v22
	v_bitop3_b32 v22, v22, 1, s30 bitop3:0x80
	v_lshlrev_b32_e32 v24, 30, v21
	s_delay_alu instid0(VALU_DEP_2) | instskip(NEXT) | instid1(VALU_DEP_1)
	v_add_co_u32 v22, s3, v22, -1
	v_cndmask_b32_e64 v23, 0, 1, s3
	s_delay_alu instid0(VALU_DEP_3) | instskip(NEXT) | instid1(VALU_DEP_2)
	v_cmp_gt_i32_e64 s3, 0, v24
	v_cmp_ne_u32_e32 vcc_lo, 0, v23
	v_not_b32_e32 v23, v24
	s_delay_alu instid0(VALU_DEP_1) | instskip(SKIP_3) | instid1(VALU_DEP_3)
	v_dual_ashrrev_i32 v23, 31, v23 :: v_dual_bitop2_b32 v22, vcc_lo, v22 bitop3:0x14
	v_dual_lshlrev_b32 v25, 29, v21 :: v_dual_lshlrev_b32 v26, 28, v21
	v_dual_lshlrev_b32 v27, 27, v21 :: v_dual_lshlrev_b32 v40, 26, v21
	v_lshlrev_b32_e32 v41, 25, v21
	v_cmp_gt_i32_e64 s4, 0, v25
	v_not_b32_e32 v24, v25
	v_not_b32_e32 v25, v26
	v_mad_u32 v42, 0x44, v21, v20
	v_lshlrev_b32_e32 v21, 24, v21
	v_cmp_gt_i32_e64 s5, 0, v26
	v_cmp_gt_i32_e64 s6, 0, v27
	v_not_b32_e32 v26, v27
	v_not_b32_e32 v27, v40
	v_dual_ashrrev_i32 v24, 31, v24 :: v_dual_ashrrev_i32 v25, 31, v25
	v_xor_b32_e32 v23, s3, v23
	v_cmp_gt_i32_e64 s7, 0, v40
	v_not_b32_e32 v40, v41
	v_cmp_gt_i32_e64 s9, 0, v21
	v_not_b32_e32 v21, v21
	v_dual_ashrrev_i32 v26, 31, v26 :: v_dual_ashrrev_i32 v27, 31, v27
	v_xor_b32_e32 v24, s4, v24
	v_xor_b32_e32 v25, s5, v25
	v_bitop3_b32 v22, v22, v23, exec_lo bitop3:0x80
	v_cmp_gt_i32_e64 s8, 0, v41
	v_dual_ashrrev_i32 v23, 31, v40 :: v_dual_ashrrev_i32 v21, 31, v21
	v_xor_b32_e32 v26, s6, v26
	v_xor_b32_e32 v27, s7, v27
	v_bitop3_b32 v22, v22, v25, v24 bitop3:0x80
	s_delay_alu instid0(VALU_DEP_4) | instskip(SKIP_3) | instid1(VALU_DEP_1)
	v_xor_b32_e32 v23, s8, v23
	v_xor_b32_e32 v21, s9, v21
	ds_load_b32 v40, v42 offset:64
	v_bitop3_b32 v22, v22, v27, v26 bitop3:0x80
	; wave barrier
	v_bitop3_b32 v21, v22, v21, v23 bitop3:0x80
	s_delay_alu instid0(VALU_DEP_1) | instskip(SKIP_1) | instid1(VALU_DEP_2)
	v_mbcnt_lo_u32_b32 v41, v21, 0
	v_cmp_ne_u32_e64 s3, 0, v21
	v_cmp_eq_u32_e32 vcc_lo, 0, v41
	s_and_b32 s4, s3, vcc_lo
	s_delay_alu instid0(SALU_CYCLE_1)
	s_and_saveexec_b32 s3, s4
	s_cbranch_execz .LBB1614_31
; %bb.30:
	s_wait_dscnt 0x0
	v_bcnt_u32_b32 v21, v21, v40
	ds_store_b32 v42, v21 offset:64
.LBB1614_31:
	s_or_b32 exec_lo, exec_lo, s3
	v_cmp_lt_i64_e32 vcc_lo, -1, v[16:17]
	; wave barrier
	v_cndmask_b32_e64 v21, -1, 0x80000000, vcc_lo
	s_delay_alu instid0(VALU_DEP_1) | instskip(NEXT) | instid1(VALU_DEP_1)
	v_dual_ashrrev_i32 v22, 31, v17 :: v_dual_bitop2_b32 v17, v21, v17 bitop3:0x14
	v_xor_b32_e32 v16, v22, v16
	s_delay_alu instid0(VALU_DEP_1) | instskip(SKIP_2) | instid1(VALU_DEP_1)
	v_cmp_ne_u64_e32 vcc_lo, s[22:23], v[16:17]
	v_cndmask_b32_e32 v23, 0x80000000, v17, vcc_lo
	v_cndmask_b32_e32 v22, 0, v16, vcc_lo
	v_lshrrev_b64 v[22:23], s20, v[22:23]
	s_delay_alu instid0(VALU_DEP_1) | instskip(SKIP_1) | instid1(VALU_DEP_2)
	v_and_b32_e32 v21, s30, v22
	v_bitop3_b32 v22, v22, 1, s30 bitop3:0x80
	v_lshlrev_b32_e32 v24, 30, v21
	s_delay_alu instid0(VALU_DEP_2) | instskip(NEXT) | instid1(VALU_DEP_1)
	v_add_co_u32 v22, s3, v22, -1
	v_cndmask_b32_e64 v23, 0, 1, s3
	s_delay_alu instid0(VALU_DEP_3) | instskip(NEXT) | instid1(VALU_DEP_2)
	v_cmp_gt_i32_e64 s3, 0, v24
	v_cmp_ne_u32_e32 vcc_lo, 0, v23
	v_not_b32_e32 v23, v24
	s_delay_alu instid0(VALU_DEP_1) | instskip(SKIP_3) | instid1(VALU_DEP_3)
	v_dual_ashrrev_i32 v23, 31, v23 :: v_dual_bitop2_b32 v22, vcc_lo, v22 bitop3:0x14
	v_dual_lshlrev_b32 v25, 29, v21 :: v_dual_lshlrev_b32 v26, 28, v21
	v_dual_lshlrev_b32 v27, 27, v21 :: v_dual_lshlrev_b32 v43, 26, v21
	v_lshlrev_b32_e32 v44, 25, v21
	v_cmp_gt_i32_e64 s4, 0, v25
	v_not_b32_e32 v24, v25
	v_not_b32_e32 v25, v26
	v_mad_u32 v45, 0x44, v21, v20
	v_lshlrev_b32_e32 v21, 24, v21
	v_cmp_gt_i32_e64 s5, 0, v26
	v_cmp_gt_i32_e64 s6, 0, v27
	v_not_b32_e32 v26, v27
	v_not_b32_e32 v27, v43
	v_dual_ashrrev_i32 v24, 31, v24 :: v_dual_ashrrev_i32 v25, 31, v25
	v_xor_b32_e32 v23, s3, v23
	v_cmp_gt_i32_e64 s7, 0, v43
	v_not_b32_e32 v43, v44
	v_cmp_gt_i32_e64 s9, 0, v21
	v_not_b32_e32 v21, v21
	v_dual_ashrrev_i32 v26, 31, v26 :: v_dual_ashrrev_i32 v27, 31, v27
	v_xor_b32_e32 v24, s4, v24
	v_xor_b32_e32 v25, s5, v25
	v_bitop3_b32 v22, v22, v23, exec_lo bitop3:0x80
	v_cmp_gt_i32_e64 s8, 0, v44
	v_dual_ashrrev_i32 v23, 31, v43 :: v_dual_ashrrev_i32 v21, 31, v21
	v_xor_b32_e32 v26, s6, v26
	v_xor_b32_e32 v27, s7, v27
	v_bitop3_b32 v22, v22, v25, v24 bitop3:0x80
	s_delay_alu instid0(VALU_DEP_4) | instskip(SKIP_3) | instid1(VALU_DEP_1)
	v_xor_b32_e32 v23, s8, v23
	v_xor_b32_e32 v21, s9, v21
	ds_load_b32 v43, v45 offset:64
	v_bitop3_b32 v22, v22, v27, v26 bitop3:0x80
	; wave barrier
	v_bitop3_b32 v21, v22, v21, v23 bitop3:0x80
	s_delay_alu instid0(VALU_DEP_1) | instskip(SKIP_1) | instid1(VALU_DEP_2)
	v_mbcnt_lo_u32_b32 v44, v21, 0
	v_cmp_ne_u32_e64 s3, 0, v21
	v_cmp_eq_u32_e32 vcc_lo, 0, v44
	s_and_b32 s4, s3, vcc_lo
	s_delay_alu instid0(SALU_CYCLE_1)
	s_and_saveexec_b32 s3, s4
	s_cbranch_execz .LBB1614_33
; %bb.32:
	s_wait_dscnt 0x0
	v_bcnt_u32_b32 v21, v21, v43
	ds_store_b32 v45, v21 offset:64
.LBB1614_33:
	s_or_b32 exec_lo, exec_lo, s3
	v_cmp_lt_i64_e32 vcc_lo, -1, v[18:19]
	; wave barrier
	v_cndmask_b32_e64 v21, -1, 0x80000000, vcc_lo
	s_delay_alu instid0(VALU_DEP_1) | instskip(NEXT) | instid1(VALU_DEP_1)
	v_dual_ashrrev_i32 v22, 31, v19 :: v_dual_bitop2_b32 v19, v21, v19 bitop3:0x14
	v_xor_b32_e32 v18, v22, v18
	s_delay_alu instid0(VALU_DEP_1) | instskip(SKIP_2) | instid1(VALU_DEP_1)
	v_cmp_ne_u64_e32 vcc_lo, s[22:23], v[18:19]
	v_cndmask_b32_e32 v23, 0x80000000, v19, vcc_lo
	v_cndmask_b32_e32 v22, 0, v18, vcc_lo
	v_lshrrev_b64 v[22:23], s20, v[22:23]
	s_delay_alu instid0(VALU_DEP_1) | instskip(SKIP_1) | instid1(VALU_DEP_2)
	v_and_b32_e32 v21, s30, v22
	v_bitop3_b32 v22, v22, 1, s30 bitop3:0x80
	v_lshlrev_b32_e32 v24, 30, v21
	s_delay_alu instid0(VALU_DEP_2) | instskip(NEXT) | instid1(VALU_DEP_1)
	v_add_co_u32 v22, s3, v22, -1
	v_cndmask_b32_e64 v23, 0, 1, s3
	s_delay_alu instid0(VALU_DEP_3) | instskip(NEXT) | instid1(VALU_DEP_2)
	v_cmp_gt_i32_e64 s3, 0, v24
	v_cmp_ne_u32_e32 vcc_lo, 0, v23
	v_not_b32_e32 v23, v24
	s_delay_alu instid0(VALU_DEP_1) | instskip(SKIP_3) | instid1(VALU_DEP_4)
	v_dual_ashrrev_i32 v23, 31, v23 :: v_dual_lshlrev_b32 v25, 29, v21
	v_dual_lshlrev_b32 v26, 28, v21 :: v_dual_lshlrev_b32 v27, 27, v21
	v_lshlrev_b32_e32 v46, 26, v21
	v_mad_u32 v48, 0x44, v21, v20
	v_cmp_gt_i32_e64 s4, 0, v25
	v_not_b32_e32 v24, v25
	v_not_b32_e32 v25, v26
	v_dual_lshlrev_b32 v47, 25, v21 :: v_dual_lshlrev_b32 v21, 24, v21
	v_cmp_gt_i32_e64 s5, 0, v26
	v_cmp_gt_i32_e64 s6, 0, v27
	v_not_b32_e32 v26, v27
	v_not_b32_e32 v27, v46
	v_dual_ashrrev_i32 v24, 31, v24 :: v_dual_bitop2_b32 v22, vcc_lo, v22 bitop3:0x14
	v_dual_ashrrev_i32 v25, 31, v25 :: v_dual_bitop2_b32 v23, s3, v23 bitop3:0x14
	v_cmp_gt_i32_e64 s7, 0, v46
	v_not_b32_e32 v46, v47
	v_cmp_gt_i32_e64 s9, 0, v21
	v_not_b32_e32 v21, v21
	v_dual_ashrrev_i32 v26, 31, v26 :: v_dual_ashrrev_i32 v27, 31, v27
	v_xor_b32_e32 v24, s4, v24
	v_xor_b32_e32 v25, s5, v25
	v_bitop3_b32 v22, v22, v23, exec_lo bitop3:0x80
	v_cmp_gt_i32_e64 s8, 0, v47
	v_dual_ashrrev_i32 v23, 31, v46 :: v_dual_ashrrev_i32 v21, 31, v21
	v_xor_b32_e32 v26, s6, v26
	v_xor_b32_e32 v27, s7, v27
	v_bitop3_b32 v22, v22, v25, v24 bitop3:0x80
	s_delay_alu instid0(VALU_DEP_4) | instskip(SKIP_3) | instid1(VALU_DEP_1)
	v_xor_b32_e32 v23, s8, v23
	v_xor_b32_e32 v21, s9, v21
	ds_load_b32 v46, v48 offset:64
	v_bitop3_b32 v22, v22, v27, v26 bitop3:0x80
	; wave barrier
	v_bitop3_b32 v21, v22, v21, v23 bitop3:0x80
	s_delay_alu instid0(VALU_DEP_1) | instskip(SKIP_1) | instid1(VALU_DEP_2)
	v_mbcnt_lo_u32_b32 v47, v21, 0
	v_cmp_ne_u32_e64 s3, 0, v21
	v_cmp_eq_u32_e32 vcc_lo, 0, v47
	s_and_b32 s4, s3, vcc_lo
	s_delay_alu instid0(SALU_CYCLE_1)
	s_and_saveexec_b32 s3, s4
	s_cbranch_execz .LBB1614_35
; %bb.34:
	s_wait_dscnt 0x0
	v_bcnt_u32_b32 v21, v21, v46
	ds_store_b32 v48, v21 offset:64
.LBB1614_35:
	s_or_b32 exec_lo, exec_lo, s3
	v_cmp_lt_i64_e32 vcc_lo, -1, v[14:15]
	; wave barrier
	v_cndmask_b32_e64 v21, -1, 0x80000000, vcc_lo
	s_delay_alu instid0(VALU_DEP_1) | instskip(NEXT) | instid1(VALU_DEP_1)
	v_dual_ashrrev_i32 v22, 31, v15 :: v_dual_bitop2_b32 v15, v21, v15 bitop3:0x14
	v_xor_b32_e32 v14, v22, v14
	s_delay_alu instid0(VALU_DEP_1) | instskip(SKIP_2) | instid1(VALU_DEP_1)
	v_cmp_ne_u64_e32 vcc_lo, s[22:23], v[14:15]
	v_cndmask_b32_e32 v23, 0x80000000, v15, vcc_lo
	v_cndmask_b32_e32 v22, 0, v14, vcc_lo
	v_lshrrev_b64 v[22:23], s20, v[22:23]
	s_delay_alu instid0(VALU_DEP_1) | instskip(SKIP_1) | instid1(VALU_DEP_2)
	v_and_b32_e32 v21, s30, v22
	v_bitop3_b32 v22, v22, 1, s30 bitop3:0x80
	v_mad_u32 v51, 0x44, v21, v20
	s_delay_alu instid0(VALU_DEP_2) | instskip(NEXT) | instid1(VALU_DEP_1)
	v_add_co_u32 v20, s3, v22, -1
	v_cndmask_b32_e64 v22, 0, 1, s3
	v_lshlrev_b32_e32 v23, 30, v21
	s_delay_alu instid0(VALU_DEP_2) | instskip(NEXT) | instid1(VALU_DEP_2)
	v_cmp_ne_u32_e32 vcc_lo, 0, v22
	v_not_b32_e32 v22, v23
	v_cmp_gt_i32_e64 s3, 0, v23
	s_delay_alu instid0(VALU_DEP_2) | instskip(SKIP_3) | instid1(VALU_DEP_4)
	v_dual_ashrrev_i32 v22, 31, v22 :: v_dual_lshlrev_b32 v24, 29, v21
	v_dual_lshlrev_b32 v25, 28, v21 :: v_dual_lshlrev_b32 v26, 27, v21
	v_dual_lshlrev_b32 v27, 26, v21 :: v_dual_lshlrev_b32 v49, 25, v21
	v_lshlrev_b32_e32 v21, 24, v21
	v_cmp_gt_i32_e64 s4, 0, v24
	v_not_b32_e32 v23, v24
	v_not_b32_e32 v24, v25
	v_cmp_gt_i32_e64 s5, 0, v25
	v_cmp_gt_i32_e64 s6, 0, v26
	v_not_b32_e32 v25, v26
	v_not_b32_e32 v26, v27
	v_dual_ashrrev_i32 v23, 31, v23 :: v_dual_bitop2_b32 v20, vcc_lo, v20 bitop3:0x14
	v_dual_ashrrev_i32 v24, 31, v24 :: v_dual_bitop2_b32 v22, s3, v22 bitop3:0x14
	v_cmp_gt_i32_e64 s7, 0, v27
	v_not_b32_e32 v27, v49
	v_cmp_gt_i32_e64 s9, 0, v21
	v_not_b32_e32 v21, v21
	v_dual_ashrrev_i32 v25, 31, v25 :: v_dual_ashrrev_i32 v26, 31, v26
	v_xor_b32_e32 v23, s4, v23
	v_xor_b32_e32 v24, s5, v24
	v_bitop3_b32 v20, v20, v22, exec_lo bitop3:0x80
	v_cmp_gt_i32_e64 s8, 0, v49
	v_dual_ashrrev_i32 v22, 31, v27 :: v_dual_ashrrev_i32 v21, 31, v21
	v_xor_b32_e32 v25, s6, v25
	v_xor_b32_e32 v26, s7, v26
	v_bitop3_b32 v20, v20, v24, v23 bitop3:0x80
	s_delay_alu instid0(VALU_DEP_4) | instskip(SKIP_3) | instid1(VALU_DEP_1)
	v_xor_b32_e32 v22, s8, v22
	v_xor_b32_e32 v21, s9, v21
	ds_load_b32 v49, v51 offset:64
	v_bitop3_b32 v20, v20, v26, v25 bitop3:0x80
	; wave barrier
	v_bitop3_b32 v20, v20, v21, v22 bitop3:0x80
	s_delay_alu instid0(VALU_DEP_1) | instskip(SKIP_1) | instid1(VALU_DEP_2)
	v_mbcnt_lo_u32_b32 v50, v20, 0
	v_cmp_ne_u32_e64 s3, 0, v20
	v_cmp_eq_u32_e32 vcc_lo, 0, v50
	s_and_b32 s4, s3, vcc_lo
	s_delay_alu instid0(SALU_CYCLE_1)
	s_and_saveexec_b32 s3, s4
	s_cbranch_execz .LBB1614_37
; %bb.36:
	s_wait_dscnt 0x0
	v_bcnt_u32_b32 v20, v20, v49
	ds_store_b32 v51, v20 offset:64
.LBB1614_37:
	s_or_b32 exec_lo, exec_lo, s3
	; wave barrier
	s_wait_dscnt 0x0
	s_barrier_signal -1
	s_barrier_wait -1
	ds_load_2addr_b32 v[26:27], v3 offset0:16 offset1:17
	ds_load_2addr_b32 v[24:25], v3 offset0:18 offset1:19
	;; [unrolled: 1-line block ×4, first 2 shown]
	ds_load_b32 v52, v3 offset:96
	v_bfe_i32 v55, v33, 4, 1
	s_mov_b32 s7, exec_lo
	s_wait_dscnt 0x3
	v_add3_u32 v53, v27, v26, v24
	s_wait_dscnt 0x2
	s_delay_alu instid0(VALU_DEP_1) | instskip(SKIP_1) | instid1(VALU_DEP_1)
	v_add3_u32 v53, v53, v25, v22
	s_wait_dscnt 0x1
	v_add3_u32 v53, v53, v23, v20
	s_wait_dscnt 0x0
	s_delay_alu instid0(VALU_DEP_1) | instskip(SKIP_1) | instid1(VALU_DEP_2)
	v_add3_u32 v52, v53, v21, v52
	v_and_b32_e32 v53, 15, v33
	v_mov_b32_dpp v54, v52 row_shr:1 row_mask:0xf bank_mask:0xf
	s_delay_alu instid0(VALU_DEP_2) | instskip(NEXT) | instid1(VALU_DEP_2)
	v_cmp_eq_u32_e32 vcc_lo, 0, v53
	v_cndmask_b32_e64 v54, v54, 0, vcc_lo
	s_delay_alu instid0(VALU_DEP_1) | instskip(SKIP_3) | instid1(VALU_DEP_4)
	v_add_nc_u32_e32 v52, v54, v52
	v_cmp_lt_u32_e64 s3, 1, v53
	v_cmp_lt_u32_e64 s4, 3, v53
	;; [unrolled: 1-line block ×3, first 2 shown]
	v_mov_b32_dpp v54, v52 row_shr:2 row_mask:0xf bank_mask:0xf
	s_delay_alu instid0(VALU_DEP_1) | instskip(NEXT) | instid1(VALU_DEP_1)
	v_cndmask_b32_e64 v54, 0, v54, s3
	v_add_nc_u32_e32 v52, v52, v54
	s_delay_alu instid0(VALU_DEP_1) | instskip(NEXT) | instid1(VALU_DEP_1)
	v_mov_b32_dpp v54, v52 row_shr:4 row_mask:0xf bank_mask:0xf
	v_cndmask_b32_e64 v54, 0, v54, s4
	s_delay_alu instid0(VALU_DEP_1) | instskip(NEXT) | instid1(VALU_DEP_1)
	v_add_nc_u32_e32 v52, v52, v54
	v_mov_b32_dpp v54, v52 row_shr:8 row_mask:0xf bank_mask:0xf
	s_delay_alu instid0(VALU_DEP_1) | instskip(SKIP_1) | instid1(VALU_DEP_2)
	v_cndmask_b32_e64 v53, 0, v54, s5
	v_and_b32_e32 v54, 0x3e0, v32
	v_add_nc_u32_e32 v52, v52, v53
	s_delay_alu instid0(VALU_DEP_2) | instskip(SKIP_3) | instid1(VALU_DEP_1)
	v_min_u32_e32 v54, 0x1e0, v54
	ds_swizzle_b32 v53, v52 offset:swizzle(BROADCAST,32,15)
	s_wait_dscnt 0x0
	v_dual_lshrrev_b32 v53, 5, v32 :: v_dual_bitop2_b32 v55, v55, v53 bitop3:0x40
	v_dual_add_nc_u32 v52, v52, v55 :: v_dual_bitop2_b32 v54, 31, v54 bitop3:0x54
	s_delay_alu instid0(VALU_DEP_1)
	v_cmpx_eq_u32_e64 v32, v54
; %bb.38:
	s_delay_alu instid0(VALU_DEP_3)
	v_lshlrev_b32_e32 v54, 2, v53
	ds_store_b32 v54, v52
; %bb.39:
	s_or_b32 exec_lo, exec_lo, s7
	s_delay_alu instid0(SALU_CYCLE_1)
	s_mov_b32 s7, exec_lo
	s_wait_dscnt 0x0
	s_barrier_signal -1
	s_barrier_wait -1
	v_cmpx_gt_u32_e32 16, v32
	s_cbranch_execz .LBB1614_41
; %bb.40:
	v_lshlrev_b32_e32 v54, 2, v32
	ds_load_b32 v55, v54
	s_wait_dscnt 0x0
	v_mov_b32_dpp v56, v55 row_shr:1 row_mask:0xf bank_mask:0xf
	s_delay_alu instid0(VALU_DEP_1) | instskip(NEXT) | instid1(VALU_DEP_1)
	v_cndmask_b32_e64 v56, v56, 0, vcc_lo
	v_add_nc_u32_e32 v55, v56, v55
	s_delay_alu instid0(VALU_DEP_1) | instskip(NEXT) | instid1(VALU_DEP_1)
	v_mov_b32_dpp v56, v55 row_shr:2 row_mask:0xf bank_mask:0xf
	v_cndmask_b32_e64 v56, 0, v56, s3
	s_delay_alu instid0(VALU_DEP_1) | instskip(NEXT) | instid1(VALU_DEP_1)
	v_add_nc_u32_e32 v55, v55, v56
	v_mov_b32_dpp v56, v55 row_shr:4 row_mask:0xf bank_mask:0xf
	s_delay_alu instid0(VALU_DEP_1) | instskip(NEXT) | instid1(VALU_DEP_1)
	v_cndmask_b32_e64 v56, 0, v56, s4
	v_add_nc_u32_e32 v55, v55, v56
	s_delay_alu instid0(VALU_DEP_1) | instskip(NEXT) | instid1(VALU_DEP_1)
	v_mov_b32_dpp v56, v55 row_shr:8 row_mask:0xf bank_mask:0xf
	v_cndmask_b32_e64 v56, 0, v56, s5
	s_delay_alu instid0(VALU_DEP_1)
	v_add_nc_u32_e32 v55, v55, v56
	ds_store_b32 v54, v55
.LBB1614_41:
	s_or_b32 exec_lo, exec_lo, s7
	v_mov_b32_e32 v54, 0
	s_mov_b32 s3, exec_lo
	s_wait_dscnt 0x0
	s_barrier_signal -1
	s_barrier_wait -1
	v_cmpx_lt_u32_e32 31, v32
; %bb.42:
	v_lshl_add_u32 v53, v53, 2, -4
	ds_load_b32 v54, v53
; %bb.43:
	s_or_b32 exec_lo, exec_lo, s3
	v_sub_co_u32 v53, vcc_lo, v33, 1
	s_wait_dscnt 0x0
	v_add_nc_u32_e32 v52, v54, v52
	s_delay_alu instid0(VALU_DEP_2) | instskip(NEXT) | instid1(VALU_DEP_1)
	v_cmp_gt_i32_e64 s3, 0, v53
	v_cndmask_b32_e64 v53, v53, v33, s3
	v_cmp_lt_u32_e64 s3, 0xff, v32
	s_delay_alu instid0(VALU_DEP_2) | instskip(SKIP_4) | instid1(VALU_DEP_2)
	v_lshlrev_b32_e32 v53, 2, v53
	ds_bpermute_b32 v52, v53, v52
	s_wait_dscnt 0x0
	v_cndmask_b32_e32 v52, v52, v54, vcc_lo
	v_cmp_gt_u32_e32 vcc_lo, 0x100, v32
	v_cndmask_b32_e64 v52, v52, 0, s2
	s_delay_alu instid0(VALU_DEP_1) | instskip(NEXT) | instid1(VALU_DEP_1)
	v_add_nc_u32_e32 v26, v52, v26
	v_add_nc_u32_e32 v27, v26, v27
	s_delay_alu instid0(VALU_DEP_1) | instskip(NEXT) | instid1(VALU_DEP_1)
	v_add_nc_u32_e32 v24, v27, v24
	v_add_nc_u32_e32 v25, v24, v25
	;; [unrolled: 3-line block ×4, first 2 shown]
	ds_store_2addr_b32 v3, v52, v26 offset0:16 offset1:17
	ds_store_2addr_b32 v3, v27, v24 offset0:18 offset1:19
	;; [unrolled: 1-line block ×4, first 2 shown]
	ds_store_b32 v3, v21 offset:96
	s_wait_dscnt 0x0
	s_barrier_signal -1
	s_barrier_wait -1
	ds_load_b32 v23, v28 offset:64
	ds_load_b32 v52, v29 offset:64
	;; [unrolled: 1-line block ×8, first 2 shown]
	v_mov_b64_e32 v[20:21], 0
                                        ; implicit-def: $vgpr22
	s_and_saveexec_b32 s5, vcc_lo
	s_cbranch_execz .LBB1614_47
; %bb.44:
	v_mul_u32_u24_e32 v3, 0x44, v32
	v_add_nc_u32_e32 v21, 1, v32
	s_mov_b32 s6, exec_lo
	ds_load_b32 v20, v3 offset:64
	v_mov_b32_e32 v3, 0x1000
	v_cmpx_ne_u32_e32 0x100, v21
; %bb.45:
	v_mul_u32_u24_e32 v3, 0x44, v21
	ds_load_b32 v3, v3 offset:64
; %bb.46:
	s_or_b32 exec_lo, exec_lo, s6
	s_wait_dscnt 0x0
	v_dual_mov_b32 v21, 0 :: v_dual_sub_nc_u32 v22, v3, v20
.LBB1614_47:
	s_or_b32 exec_lo, exec_lo, s5
	v_mov_b32_e32 v25, 0
	s_wait_dscnt 0x0
	s_barrier_signal -1
	s_barrier_wait -1
	s_and_saveexec_b32 s4, vcc_lo
	s_cbranch_execz .LBB1614_57
; %bb.48:
	v_lshl_add_u32 v24, s26, 8, v32
	v_dual_mov_b32 v28, 0 :: v_dual_bitop2_b32 v3, 2.0, v22 bitop3:0x54
	s_mov_b32 s5, 0
	s_mov_b32 s6, s26
	s_delay_alu instid0(VALU_DEP_2)
	v_lshl_add_u64 v[26:27], v[24:25], 2, s[10:11]
	global_store_b32 v24, v3, s[10:11] scale_offset scope:SCOPE_DEV
                                        ; implicit-def: $sgpr7
	s_branch .LBB1614_51
.LBB1614_49:                            ;   in Loop: Header=BB1614_51 Depth=1
	s_or_b32 exec_lo, exec_lo, s8
.LBB1614_50:                            ;   in Loop: Header=BB1614_51 Depth=1
	s_delay_alu instid0(SALU_CYCLE_1) | instskip(SKIP_2) | instid1(VALU_DEP_2)
	s_or_b32 exec_lo, exec_lo, s7
	v_and_b32_e32 v24, 0x3fffffff, v3
	v_cmp_gt_i32_e64 s7, -2.0, v3
	v_add_nc_u32_e32 v28, v24, v28
	s_and_b32 s8, exec_lo, s7
	s_delay_alu instid0(SALU_CYCLE_1) | instskip(NEXT) | instid1(SALU_CYCLE_1)
	s_or_b32 s5, s8, s5
	s_and_not1_b32 exec_lo, exec_lo, s5
	s_cbranch_execz .LBB1614_56
.LBB1614_51:                            ; =>This Loop Header: Depth=1
                                        ;     Child Loop BB1614_54 Depth 2
	s_or_b32 s7, s7, exec_lo
	s_cmp_eq_u32 s6, 0
	s_cbranch_scc1 .LBB1614_55
; %bb.52:                               ;   in Loop: Header=BB1614_51 Depth=1
	s_add_co_i32 s6, s6, -1
	s_mov_b32 s7, exec_lo
	s_wait_xcnt 0x0
	v_lshl_or_b32 v24, s6, 8, v32
	global_load_b32 v3, v24, s[10:11] scale_offset scope:SCOPE_DEV
	s_wait_loadcnt 0x0
	v_cmpx_gt_u32_e32 2.0, v3
	s_cbranch_execz .LBB1614_50
; %bb.53:                               ;   in Loop: Header=BB1614_51 Depth=1
	v_lshl_add_u64 v[30:31], v[24:25], 2, s[10:11]
	s_mov_b32 s8, 0
.LBB1614_54:                            ;   Parent Loop BB1614_51 Depth=1
                                        ; =>  This Inner Loop Header: Depth=2
	global_load_b32 v3, v[30:31], off scope:SCOPE_DEV
	s_wait_loadcnt 0x0
	v_cmp_lt_u32_e32 vcc_lo, 0x3fffffff, v3
	s_or_b32 s8, vcc_lo, s8
	s_wait_xcnt 0x0
	s_and_not1_b32 exec_lo, exec_lo, s8
	s_cbranch_execnz .LBB1614_54
	s_branch .LBB1614_49
.LBB1614_55:                            ;   in Loop: Header=BB1614_51 Depth=1
                                        ; implicit-def: $sgpr6
	s_and_b32 s8, exec_lo, s7
	s_delay_alu instid0(SALU_CYCLE_1)
	s_or_b32 s5, s8, s5
	s_wait_xcnt 0x0
	s_and_not1_b32 exec_lo, exec_lo, s5
	s_cbranch_execnz .LBB1614_51
.LBB1614_56:
	s_or_b32 exec_lo, exec_lo, s5
	v_dual_add_nc_u32 v3, v28, v22 :: v_dual_mov_b32 v29, 0
	s_delay_alu instid0(VALU_DEP_1)
	v_or_b32_e32 v3, 0x80000000, v3
	global_store_b32 v[26:27], v3, off scope:SCOPE_DEV
	global_load_b64 v[24:25], v32, s[12:13] scale_offset
	s_wait_xcnt 0x1
	v_sub_nc_u64_e32 v[26:27], v[28:29], v[20:21]
	s_wait_loadcnt 0x0
	s_delay_alu instid0(VALU_DEP_1)
	v_add_nc_u64_e32 v[24:25], v[26:27], v[24:25]
	ds_store_b64 v2, v[24:25]
.LBB1614_57:
	s_wait_xcnt 0x0
	s_or_b32 exec_lo, exec_lo, s4
	v_dual_mov_b32 v3, 0 :: v_dual_add_nc_u32 v1, v23, v1
	v_add3_u32 v23, v47, v48, v46
	v_add3_u32 v26, v44, v45, v43
	;; [unrolled: 1-line block ×3, first 2 shown]
	s_delay_alu instid0(VALU_DEP_4)
	v_add_nc_u64_e32 v[24:25], s[18:19], v[2:3]
	v_add3_u32 v3, v50, v51, v49
	v_add3_u32 v28, v39, v54, v38
	;; [unrolled: 1-line block ×4, first 2 shown]
	v_mov_b32_e32 v31, v32
	s_mov_b64 s[4:5], 0x7fffffffffffffff
	v_add_nc_u64_e32 v[24:25], 0x3000, v[24:25]
	s_mov_b32 s7, -1
	s_mov_b32 s6, 0
	s_branch .LBB1614_59
.LBB1614_58:                            ;   in Loop: Header=BB1614_59 Depth=1
	s_wait_xcnt 0x0
	s_or_b32 exec_lo, exec_lo, s8
	v_add_nc_u64_e32 v[24:25], 0x4000, v[24:25]
	v_add_nc_u32_e32 v31, 0x800, v31
	s_xor_b32 s7, s7, -1
	s_addk_co_i32 s6, 0xf800
	s_and_b32 vcc_lo, exec_lo, s7
	s_mov_b32 s7, 0
	s_wait_storecnt 0x0
	s_barrier_signal -1
	s_barrier_wait -1
	s_cbranch_vccnz .LBB1614_67
.LBB1614_59:                            ; =>This Inner Loop Header: Depth=1
	v_add_min_u32_e64 v34, v1, s6, 0x800
	v_add_min_u32_e64 v35, v30, s6, 0x800
	;; [unrolled: 1-line block ×5, first 2 shown]
	s_delay_alu instid0(VALU_DEP_4) | instskip(NEXT) | instid1(VALU_DEP_3)
	v_dual_lshlrev_b32 v34, 3, v34 :: v_dual_lshlrev_b32 v35, 3, v35
	v_dual_lshlrev_b32 v36, 3, v36 :: v_dual_lshlrev_b32 v37, 3, v37
	s_mov_b32 s8, exec_lo
	ds_store_b64 v34, v[4:5] offset:2048
	ds_store_b64 v35, v[6:7] offset:2048
	;; [unrolled: 1-line block ×3, first 2 shown]
	v_add_min_u32_e64 v34, v26, s6, 0x800
	v_add_min_u32_e64 v35, v23, s6, 0x800
	;; [unrolled: 1-line block ×3, first 2 shown]
	v_lshlrev_b32_e32 v38, 3, v38
	s_delay_alu instid0(VALU_DEP_3) | instskip(NEXT) | instid1(VALU_DEP_3)
	v_dual_lshlrev_b32 v34, 3, v34 :: v_dual_lshlrev_b32 v35, 3, v35
	v_lshlrev_b32_e32 v36, 3, v36
	ds_store_b64 v37, v[10:11] offset:2048
	ds_store_b64 v38, v[12:13] offset:2048
	;; [unrolled: 1-line block ×5, first 2 shown]
	s_wait_storecnt_dscnt 0x0
	s_barrier_signal -1
	s_barrier_wait -1
	v_cmpx_gt_u32_e64 s28, v31
	s_cbranch_execz .LBB1614_61
; %bb.60:                               ;   in Loop: Header=BB1614_59 Depth=1
	ds_load_b64 v[34:35], v2 offset:2048
	s_wait_dscnt 0x0
	v_cmp_ne_u64_e32 vcc_lo, s[4:5], v[34:35]
	v_ashrrev_i32_e32 v38, 31, v35
	s_delay_alu instid0(VALU_DEP_1) | instskip(SKIP_3) | instid1(VALU_DEP_4)
	v_not_b32_e32 v38, v38
	v_cndmask_b32_e32 v37, 0x80000000, v35, vcc_lo
	v_cndmask_b32_e32 v36, 0, v34, vcc_lo
	v_cmp_lt_i64_e32 vcc_lo, -1, v[34:35]
	v_xor_b32_e32 v34, v38, v34
	s_delay_alu instid0(VALU_DEP_3) | instskip(SKIP_1) | instid1(VALU_DEP_2)
	v_lshrrev_b64 v[36:37], s20, v[36:37]
	v_cndmask_b32_e64 v39, 0x80000000, -1, vcc_lo
	v_and_b32_e32 v36, s30, v36
	s_delay_alu instid0(VALU_DEP_1)
	v_dual_lshlrev_b32 v36, 3, v36 :: v_dual_bitop2_b32 v35, v39, v35 bitop3:0x14
	ds_load_b64 v[36:37], v36
	s_wait_dscnt 0x0
	v_lshl_add_u64 v[36:37], v[36:37], 3, v[24:25]
	global_store_b64 v[36:37], v[34:35], off offset:-12288
.LBB1614_61:                            ;   in Loop: Header=BB1614_59 Depth=1
	s_wait_xcnt 0x0
	s_or_b32 exec_lo, exec_lo, s8
	v_add_nc_u32_e32 v34, 0x200, v31
	s_mov_b32 s8, exec_lo
	s_delay_alu instid0(VALU_DEP_1)
	v_cmpx_gt_u32_e64 s28, v34
	s_cbranch_execz .LBB1614_63
; %bb.62:                               ;   in Loop: Header=BB1614_59 Depth=1
	ds_load_b64 v[34:35], v2 offset:6144
	s_wait_dscnt 0x0
	v_cmp_ne_u64_e32 vcc_lo, s[4:5], v[34:35]
	v_ashrrev_i32_e32 v38, 31, v35
	s_delay_alu instid0(VALU_DEP_1) | instskip(SKIP_3) | instid1(VALU_DEP_4)
	v_not_b32_e32 v38, v38
	v_cndmask_b32_e32 v37, 0x80000000, v35, vcc_lo
	v_cndmask_b32_e32 v36, 0, v34, vcc_lo
	v_cmp_lt_i64_e32 vcc_lo, -1, v[34:35]
	v_xor_b32_e32 v34, v38, v34
	s_delay_alu instid0(VALU_DEP_3) | instskip(SKIP_1) | instid1(VALU_DEP_2)
	v_lshrrev_b64 v[36:37], s20, v[36:37]
	v_cndmask_b32_e64 v39, 0x80000000, -1, vcc_lo
	v_and_b32_e32 v36, s30, v36
	s_delay_alu instid0(VALU_DEP_1)
	v_dual_lshlrev_b32 v36, 3, v36 :: v_dual_bitop2_b32 v35, v39, v35 bitop3:0x14
	ds_load_b64 v[36:37], v36
	s_wait_dscnt 0x0
	v_lshl_add_u64 v[36:37], v[36:37], 3, v[24:25]
	global_store_b64 v[36:37], v[34:35], off offset:-8192
.LBB1614_63:                            ;   in Loop: Header=BB1614_59 Depth=1
	s_wait_xcnt 0x0
	s_or_b32 exec_lo, exec_lo, s8
	v_add_nc_u32_e32 v34, 0x400, v31
	s_mov_b32 s8, exec_lo
	s_delay_alu instid0(VALU_DEP_1)
	;; [unrolled: 29-line block ×3, first 2 shown]
	v_cmpx_gt_u32_e64 s28, v34
	s_cbranch_execz .LBB1614_58
; %bb.66:                               ;   in Loop: Header=BB1614_59 Depth=1
	ds_load_b64 v[34:35], v2 offset:14336
	s_wait_dscnt 0x0
	v_cmp_ne_u64_e32 vcc_lo, s[4:5], v[34:35]
	v_ashrrev_i32_e32 v38, 31, v35
	s_delay_alu instid0(VALU_DEP_1) | instskip(SKIP_3) | instid1(VALU_DEP_4)
	v_not_b32_e32 v38, v38
	v_cndmask_b32_e32 v37, 0x80000000, v35, vcc_lo
	v_cndmask_b32_e32 v36, 0, v34, vcc_lo
	v_cmp_lt_i64_e32 vcc_lo, -1, v[34:35]
	v_xor_b32_e32 v34, v38, v34
	s_delay_alu instid0(VALU_DEP_3) | instskip(SKIP_1) | instid1(VALU_DEP_2)
	v_lshrrev_b64 v[36:37], s20, v[36:37]
	v_cndmask_b32_e64 v39, 0x80000000, -1, vcc_lo
	v_and_b32_e32 v36, s30, v36
	s_delay_alu instid0(VALU_DEP_1)
	v_dual_lshlrev_b32 v36, 3, v36 :: v_dual_bitop2_b32 v35, v39, v35 bitop3:0x14
	ds_load_b64 v[36:37], v36
	s_wait_dscnt 0x0
	v_lshl_add_u64 v[36:37], v[36:37], 3, v[24:25]
	global_store_b64 v[36:37], v[34:35], off
	s_branch .LBB1614_58
.LBB1614_67:
	s_add_co_i32 s29, s29, -1
	s_delay_alu instid0(SALU_CYCLE_1) | instskip(SKIP_2) | instid1(SALU_CYCLE_1)
	s_cmp_eq_u32 s26, s29
	s_cselect_b32 s4, -1, 0
	s_xor_b32 s3, s3, -1
	s_and_b32 s4, s3, s4
	s_delay_alu instid0(SALU_CYCLE_1)
	s_and_saveexec_b32 s3, s4
	s_cbranch_execz .LBB1614_69
; %bb.68:
	ds_load_b64 v[4:5], v2
	v_mov_b32_e32 v23, 0
	s_delay_alu instid0(VALU_DEP_1) | instskip(SKIP_1) | instid1(VALU_DEP_1)
	v_add_nc_u64_e32 v[6:7], v[20:21], v[22:23]
	s_wait_dscnt 0x0
	v_add_nc_u64_e32 v[4:5], v[6:7], v[4:5]
	global_store_b64 v32, v[4:5], s[14:15] scale_offset
.LBB1614_69:
	s_wait_xcnt 0x0
	s_or_b32 exec_lo, exec_lo, s3
	s_mov_b32 s4, 0
.LBB1614_70:
	s_delay_alu instid0(SALU_CYCLE_1)
	s_and_b32 vcc_lo, exec_lo, s4
	s_cbranch_vccz .LBB1614_111
; %bb.71:
	s_lshl_b32 s4, s26, 12
	s_mov_b32 s5, 0
	v_dual_mov_b32 v21, 0 :: v_dual_lshlrev_b32 v20, 3, v33
	s_lshl_b64 s[6:7], s[4:5], 3
	v_lshlrev_b32_e32 v1, 6, v32
	s_add_nc_u64 s[6:7], s[16:17], s[6:7]
	s_bfe_u32 s3, ttmp6, 0x4000c
	v_add_nc_u64_e32 v[4:5], s[6:7], v[20:21]
	s_add_co_i32 s3, s3, 1
	v_and_b32_e32 v20, 0xf800, v1
	s_and_b32 s4, ttmp6, 15
	s_mul_i32 s3, ttmp9, s3
	s_mov_b64 s[8:9], 0x7fffffffffffffff
	s_add_co_i32 s4, s4, s3
	v_add_nc_u64_e32 v[4:5], v[4:5], v[20:21]
	s_cmp_eq_u32 s27, 0
	v_bfe_u32 v20, v0, 20, 10
	s_cselect_b32 s3, ttmp9, s4
	s_clause 0x7
	global_load_b64 v[22:23], v[4:5], off
	global_load_b64 v[18:19], v[4:5], off offset:256
	global_load_b64 v[6:7], v[4:5], off offset:512
	;; [unrolled: 1-line block ×7, first 2 shown]
	s_clause 0x1
	s_load_b32 s16, s[0:1], 0x58
	s_load_u16 s6, s[0:1], 0x66
	s_wait_kmcnt 0x0
	s_cmp_lt_u32 s3, s16
	s_cselect_b32 s4, 12, 18
	s_lshl_b32 s17, -1, s21
	s_add_nc_u64 s[0:1], s[24:25], s[4:5]
	s_load_u16 s0, s[0:1], 0x0
	s_wait_loadcnt 0x7
	v_cmp_lt_i64_e32 vcc_lo, -1, v[22:23]
	v_ashrrev_i32_e32 v3, 31, v23
	s_delay_alu instid0(VALU_DEP_1) | instskip(SKIP_2) | instid1(VALU_DEP_2)
	v_xor_b32_e32 v4, v3, v22
	v_cndmask_b32_e64 v1, -1, 0x80000000, vcc_lo
	v_bfe_u32 v3, v0, 10, 10
	v_xor_b32_e32 v5, v1, v23
	s_delay_alu instid0(VALU_DEP_1) | instskip(SKIP_2) | instid1(VALU_DEP_1)
	v_cmp_ne_u64_e32 vcc_lo, s[8:9], v[4:5]
	v_cndmask_b32_e32 v22, 0, v4, vcc_lo
	v_cndmask_b32_e32 v23, 0x80000000, v5, vcc_lo
	v_lshrrev_b64 v[0:1], s20, v[22:23]
	v_mad_u32_u24 v1, v20, s6, v3
	s_delay_alu instid0(VALU_DEP_2) | instskip(SKIP_2) | instid1(VALU_DEP_3)
	v_bitop3_b32 v3, v0, 1, s17 bitop3:0x40
	v_bitop3_b32 v22, v0, s17, v0 bitop3:0x30
	s_wait_kmcnt 0x0
	v_mad_u32 v0, v1, s0, v32
	s_not_b32 s17, s17
	v_add_co_u32 v1, s0, v3, -1
	s_delay_alu instid0(VALU_DEP_1) | instskip(SKIP_2) | instid1(VALU_DEP_3)
	v_cndmask_b32_e64 v3, 0, 1, s0
	v_dual_lshlrev_b32 v20, 30, v22 :: v_dual_lshlrev_b32 v23, 29, v22
	v_dual_lshlrev_b32 v25, 27, v22 :: v_dual_lshlrev_b32 v24, 28, v22
	v_cmp_ne_u32_e32 vcc_lo, 0, v3
	s_delay_alu instid0(VALU_DEP_3)
	v_not_b32_e32 v3, v20
	v_dual_lshlrev_b32 v26, 26, v22 :: v_dual_lshlrev_b32 v27, 25, v22
	v_lshlrev_b32_e32 v28, 24, v22
	v_cmp_gt_i32_e64 s0, 0, v20
	v_cmp_gt_i32_e64 s1, 0, v23
	v_not_b32_e32 v20, v23
	v_not_b32_e32 v23, v24
	v_ashrrev_i32_e32 v3, 31, v3
	v_cmp_gt_i32_e64 s3, 0, v24
	v_cmp_gt_i32_e64 s4, 0, v25
	v_not_b32_e32 v24, v25
	v_not_b32_e32 v25, v26
	v_dual_ashrrev_i32 v20, 31, v20 :: v_dual_bitop2_b32 v1, vcc_lo, v1 bitop3:0x14
	s_delay_alu instid0(VALU_DEP_3) | instskip(NEXT) | instid1(VALU_DEP_3)
	v_dual_ashrrev_i32 v23, 31, v23 :: v_dual_ashrrev_i32 v24, 31, v24
	v_dual_ashrrev_i32 v25, 31, v25 :: v_dual_bitop2_b32 v3, s0, v3 bitop3:0x14
	v_cmp_gt_i32_e64 s5, 0, v26
	v_cmp_gt_i32_e64 s6, 0, v27
	v_not_b32_e32 v26, v27
	v_not_b32_e32 v27, v28
	v_xor_b32_e32 v20, s1, v20
	v_dual_lshrrev_b32 v0, 5, v0 :: v_dual_bitop2_b32 v23, s3, v23 bitop3:0x14
	v_bitop3_b32 v1, v1, v3, exec_lo bitop3:0x80
	v_cmp_gt_i32_e64 s7, 0, v28
	v_dual_ashrrev_i32 v3, 31, v26 :: v_dual_ashrrev_i32 v26, 31, v27
	v_xor_b32_e32 v24, s4, v24
	v_xor_b32_e32 v25, s5, v25
	v_bitop3_b32 v1, v1, v23, v20 bitop3:0x80
	s_delay_alu instid0(VALU_DEP_4) | instskip(SKIP_2) | instid1(VALU_DEP_4)
	v_xor_b32_e32 v3, s6, v3
	v_dual_lshlrev_b32 v20, 2, v0 :: v_dual_bitop2_b32 v23, s7, v26 bitop3:0x14
	v_mul_u32_u24_e32 v26, 36, v32
	v_bitop3_b32 v1, v1, v25, v24 bitop3:0x80
	ds_store_2addr_b32 v26, v21, v21 offset0:16 offset1:17
	ds_store_2addr_b32 v26, v21, v21 offset0:18 offset1:19
	;; [unrolled: 1-line block ×4, first 2 shown]
	v_bitop3_b32 v0, v1, v23, v3 bitop3:0x80
	v_mad_u32 v27, 0x44, v22, v20
	ds_store_b32 v26, v21 offset:96
	s_wait_storecnt 0x0
	s_wait_loadcnt_dscnt 0x0
	s_barrier_signal -1
	v_mbcnt_lo_u32_b32 v3, v0, 0
	v_cmp_ne_u32_e64 s0, 0, v0
	s_barrier_wait -1
	s_delay_alu instid0(VALU_DEP_2) | instskip(SKIP_1) | instid1(SALU_CYCLE_1)
	v_cmp_eq_u32_e32 vcc_lo, 0, v3
	; wave barrier
	s_and_b32 s1, s0, vcc_lo
	s_and_saveexec_b32 s0, s1
; %bb.72:
	v_bcnt_u32_b32 v0, v0, 0
	ds_store_b32 v27, v0 offset:64
; %bb.73:
	s_or_b32 exec_lo, exec_lo, s0
	v_cmp_lt_i64_e32 vcc_lo, -1, v[18:19]
	; wave barrier
	v_cndmask_b32_e64 v0, -1, 0x80000000, vcc_lo
	s_delay_alu instid0(VALU_DEP_1) | instskip(NEXT) | instid1(VALU_DEP_1)
	v_dual_ashrrev_i32 v21, 31, v19 :: v_dual_bitop2_b32 v1, v0, v19 bitop3:0x14
	v_xor_b32_e32 v0, v21, v18
	s_delay_alu instid0(VALU_DEP_1) | instskip(SKIP_2) | instid1(VALU_DEP_1)
	v_cmp_ne_u64_e32 vcc_lo, s[8:9], v[0:1]
	v_cndmask_b32_e32 v19, 0x80000000, v1, vcc_lo
	v_cndmask_b32_e32 v18, 0, v0, vcc_lo
	v_lshrrev_b64 v[18:19], s20, v[18:19]
	s_delay_alu instid0(VALU_DEP_1) | instskip(SKIP_1) | instid1(VALU_DEP_2)
	v_and_b32_e32 v19, s17, v18
	v_bitop3_b32 v18, v18, 1, s17 bitop3:0x80
	v_lshlrev_b32_e32 v22, 30, v19
	s_delay_alu instid0(VALU_DEP_2) | instskip(NEXT) | instid1(VALU_DEP_1)
	v_add_co_u32 v18, s0, v18, -1
	v_cndmask_b32_e64 v21, 0, 1, s0
	s_delay_alu instid0(VALU_DEP_3) | instskip(NEXT) | instid1(VALU_DEP_2)
	v_cmp_gt_i32_e64 s0, 0, v22
	v_cmp_ne_u32_e32 vcc_lo, 0, v21
	v_not_b32_e32 v21, v22
	s_delay_alu instid0(VALU_DEP_1) | instskip(SKIP_3) | instid1(VALU_DEP_3)
	v_dual_ashrrev_i32 v21, 31, v21 :: v_dual_bitop2_b32 v18, vcc_lo, v18 bitop3:0x14
	v_dual_lshlrev_b32 v23, 29, v19 :: v_dual_lshlrev_b32 v24, 28, v19
	v_dual_lshlrev_b32 v25, 27, v19 :: v_dual_lshlrev_b32 v29, 26, v19
	v_lshlrev_b32_e32 v30, 25, v19
	v_cmp_gt_i32_e64 s1, 0, v23
	v_not_b32_e32 v22, v23
	v_not_b32_e32 v23, v24
	v_mad_u32 v28, 0x44, v19, v20
	v_lshlrev_b32_e32 v19, 24, v19
	v_cmp_gt_i32_e64 s3, 0, v24
	v_cmp_gt_i32_e64 s4, 0, v25
	v_not_b32_e32 v24, v25
	v_not_b32_e32 v25, v29
	v_dual_ashrrev_i32 v22, 31, v22 :: v_dual_ashrrev_i32 v23, 31, v23
	v_xor_b32_e32 v21, s0, v21
	v_cmp_gt_i32_e64 s5, 0, v29
	v_not_b32_e32 v29, v30
	v_cmp_gt_i32_e64 s7, 0, v19
	v_not_b32_e32 v19, v19
	v_dual_ashrrev_i32 v24, 31, v24 :: v_dual_ashrrev_i32 v25, 31, v25
	v_xor_b32_e32 v22, s1, v22
	v_xor_b32_e32 v23, s3, v23
	v_bitop3_b32 v18, v18, v21, exec_lo bitop3:0x80
	v_cmp_gt_i32_e64 s6, 0, v30
	v_dual_ashrrev_i32 v21, 31, v29 :: v_dual_ashrrev_i32 v19, 31, v19
	v_xor_b32_e32 v24, s4, v24
	v_xor_b32_e32 v25, s5, v25
	v_bitop3_b32 v18, v18, v23, v22 bitop3:0x80
	s_delay_alu instid0(VALU_DEP_4) | instskip(SKIP_3) | instid1(VALU_DEP_1)
	v_xor_b32_e32 v21, s6, v21
	v_xor_b32_e32 v19, s7, v19
	ds_load_b32 v30, v28 offset:64
	v_bitop3_b32 v18, v18, v25, v24 bitop3:0x80
	; wave barrier
	v_bitop3_b32 v18, v18, v19, v21 bitop3:0x80
	s_delay_alu instid0(VALU_DEP_1) | instskip(SKIP_1) | instid1(VALU_DEP_2)
	v_mbcnt_lo_u32_b32 v31, v18, 0
	v_cmp_ne_u32_e64 s0, 0, v18
	v_cmp_eq_u32_e32 vcc_lo, 0, v31
	s_and_b32 s1, s0, vcc_lo
	s_delay_alu instid0(SALU_CYCLE_1)
	s_and_saveexec_b32 s0, s1
	s_cbranch_execz .LBB1614_75
; %bb.74:
	s_wait_dscnt 0x0
	v_bcnt_u32_b32 v18, v18, v30
	ds_store_b32 v28, v18 offset:64
.LBB1614_75:
	s_or_b32 exec_lo, exec_lo, s0
	v_cmp_lt_i64_e32 vcc_lo, -1, v[6:7]
	; wave barrier
	v_cndmask_b32_e64 v18, -1, 0x80000000, vcc_lo
	s_delay_alu instid0(VALU_DEP_1) | instskip(NEXT) | instid1(VALU_DEP_1)
	v_dual_ashrrev_i32 v19, 31, v7 :: v_dual_bitop2_b32 v7, v18, v7 bitop3:0x14
	v_xor_b32_e32 v6, v19, v6
	s_delay_alu instid0(VALU_DEP_1) | instskip(SKIP_2) | instid1(VALU_DEP_1)
	v_cmp_ne_u64_e32 vcc_lo, s[8:9], v[6:7]
	v_cndmask_b32_e32 v19, 0x80000000, v7, vcc_lo
	v_cndmask_b32_e32 v18, 0, v6, vcc_lo
	v_lshrrev_b64 v[18:19], s20, v[18:19]
	s_delay_alu instid0(VALU_DEP_1) | instskip(SKIP_1) | instid1(VALU_DEP_2)
	v_and_b32_e32 v19, s17, v18
	v_bitop3_b32 v18, v18, 1, s17 bitop3:0x80
	v_lshlrev_b32_e32 v22, 30, v19
	s_delay_alu instid0(VALU_DEP_2) | instskip(NEXT) | instid1(VALU_DEP_1)
	v_add_co_u32 v18, s0, v18, -1
	v_cndmask_b32_e64 v21, 0, 1, s0
	s_delay_alu instid0(VALU_DEP_3) | instskip(NEXT) | instid1(VALU_DEP_2)
	v_cmp_gt_i32_e64 s0, 0, v22
	v_cmp_ne_u32_e32 vcc_lo, 0, v21
	v_not_b32_e32 v21, v22
	s_delay_alu instid0(VALU_DEP_1) | instskip(SKIP_3) | instid1(VALU_DEP_3)
	v_dual_ashrrev_i32 v21, 31, v21 :: v_dual_bitop2_b32 v18, vcc_lo, v18 bitop3:0x14
	v_dual_lshlrev_b32 v23, 29, v19 :: v_dual_lshlrev_b32 v24, 28, v19
	v_dual_lshlrev_b32 v25, 27, v19 :: v_dual_lshlrev_b32 v34, 26, v19
	v_lshlrev_b32_e32 v35, 25, v19
	v_cmp_gt_i32_e64 s1, 0, v23
	v_not_b32_e32 v22, v23
	v_not_b32_e32 v23, v24
	v_mad_u32 v29, 0x44, v19, v20
	v_lshlrev_b32_e32 v19, 24, v19
	v_cmp_gt_i32_e64 s3, 0, v24
	v_cmp_gt_i32_e64 s4, 0, v25
	v_not_b32_e32 v24, v25
	v_not_b32_e32 v25, v34
	v_dual_ashrrev_i32 v22, 31, v22 :: v_dual_ashrrev_i32 v23, 31, v23
	v_xor_b32_e32 v21, s0, v21
	v_cmp_gt_i32_e64 s5, 0, v34
	v_not_b32_e32 v34, v35
	v_cmp_gt_i32_e64 s7, 0, v19
	v_not_b32_e32 v19, v19
	v_dual_ashrrev_i32 v24, 31, v24 :: v_dual_ashrrev_i32 v25, 31, v25
	v_xor_b32_e32 v22, s1, v22
	v_xor_b32_e32 v23, s3, v23
	v_bitop3_b32 v18, v18, v21, exec_lo bitop3:0x80
	v_cmp_gt_i32_e64 s6, 0, v35
	v_dual_ashrrev_i32 v21, 31, v34 :: v_dual_ashrrev_i32 v19, 31, v19
	v_xor_b32_e32 v24, s4, v24
	v_xor_b32_e32 v25, s5, v25
	v_bitop3_b32 v18, v18, v23, v22 bitop3:0x80
	s_delay_alu instid0(VALU_DEP_4) | instskip(SKIP_3) | instid1(VALU_DEP_1)
	v_xor_b32_e32 v21, s6, v21
	v_xor_b32_e32 v19, s7, v19
	ds_load_b32 v34, v29 offset:64
	v_bitop3_b32 v18, v18, v25, v24 bitop3:0x80
	; wave barrier
	v_bitop3_b32 v18, v18, v19, v21 bitop3:0x80
	s_delay_alu instid0(VALU_DEP_1) | instskip(SKIP_1) | instid1(VALU_DEP_2)
	v_mbcnt_lo_u32_b32 v35, v18, 0
	v_cmp_ne_u32_e64 s0, 0, v18
	v_cmp_eq_u32_e32 vcc_lo, 0, v35
	s_and_b32 s1, s0, vcc_lo
	s_delay_alu instid0(SALU_CYCLE_1)
	s_and_saveexec_b32 s0, s1
	s_cbranch_execz .LBB1614_77
; %bb.76:
	s_wait_dscnt 0x0
	v_bcnt_u32_b32 v18, v18, v34
	ds_store_b32 v29, v18 offset:64
.LBB1614_77:
	s_or_b32 exec_lo, exec_lo, s0
	v_cmp_lt_i64_e32 vcc_lo, -1, v[8:9]
	; wave barrier
	v_cndmask_b32_e64 v18, -1, 0x80000000, vcc_lo
	s_delay_alu instid0(VALU_DEP_1) | instskip(NEXT) | instid1(VALU_DEP_1)
	v_dual_ashrrev_i32 v19, 31, v9 :: v_dual_bitop2_b32 v9, v18, v9 bitop3:0x14
	v_xor_b32_e32 v8, v19, v8
	s_delay_alu instid0(VALU_DEP_1) | instskip(SKIP_2) | instid1(VALU_DEP_1)
	v_cmp_ne_u64_e32 vcc_lo, s[8:9], v[8:9]
	v_cndmask_b32_e32 v19, 0x80000000, v9, vcc_lo
	v_cndmask_b32_e32 v18, 0, v8, vcc_lo
	v_lshrrev_b64 v[18:19], s20, v[18:19]
	s_delay_alu instid0(VALU_DEP_1) | instskip(SKIP_1) | instid1(VALU_DEP_2)
	v_and_b32_e32 v19, s17, v18
	v_bitop3_b32 v18, v18, 1, s17 bitop3:0x80
	v_lshlrev_b32_e32 v22, 30, v19
	s_delay_alu instid0(VALU_DEP_2) | instskip(NEXT) | instid1(VALU_DEP_1)
	v_add_co_u32 v18, s0, v18, -1
	v_cndmask_b32_e64 v21, 0, 1, s0
	s_delay_alu instid0(VALU_DEP_3) | instskip(NEXT) | instid1(VALU_DEP_2)
	v_cmp_gt_i32_e64 s0, 0, v22
	v_cmp_ne_u32_e32 vcc_lo, 0, v21
	v_not_b32_e32 v21, v22
	s_delay_alu instid0(VALU_DEP_1) | instskip(SKIP_3) | instid1(VALU_DEP_3)
	v_dual_ashrrev_i32 v21, 31, v21 :: v_dual_bitop2_b32 v18, vcc_lo, v18 bitop3:0x14
	v_dual_lshlrev_b32 v23, 29, v19 :: v_dual_lshlrev_b32 v24, 28, v19
	v_dual_lshlrev_b32 v25, 27, v19 :: v_dual_lshlrev_b32 v36, 26, v19
	v_lshlrev_b32_e32 v37, 25, v19
	v_cmp_gt_i32_e64 s1, 0, v23
	v_not_b32_e32 v22, v23
	v_not_b32_e32 v23, v24
	v_mad_u32 v38, 0x44, v19, v20
	v_lshlrev_b32_e32 v19, 24, v19
	v_cmp_gt_i32_e64 s3, 0, v24
	v_cmp_gt_i32_e64 s4, 0, v25
	v_not_b32_e32 v24, v25
	v_not_b32_e32 v25, v36
	v_dual_ashrrev_i32 v22, 31, v22 :: v_dual_ashrrev_i32 v23, 31, v23
	v_xor_b32_e32 v21, s0, v21
	v_cmp_gt_i32_e64 s5, 0, v36
	v_not_b32_e32 v36, v37
	v_cmp_gt_i32_e64 s7, 0, v19
	v_not_b32_e32 v19, v19
	v_dual_ashrrev_i32 v24, 31, v24 :: v_dual_ashrrev_i32 v25, 31, v25
	v_xor_b32_e32 v22, s1, v22
	v_xor_b32_e32 v23, s3, v23
	v_bitop3_b32 v18, v18, v21, exec_lo bitop3:0x80
	v_cmp_gt_i32_e64 s6, 0, v37
	v_dual_ashrrev_i32 v21, 31, v36 :: v_dual_ashrrev_i32 v19, 31, v19
	v_xor_b32_e32 v24, s4, v24
	v_xor_b32_e32 v25, s5, v25
	v_bitop3_b32 v18, v18, v23, v22 bitop3:0x80
	s_delay_alu instid0(VALU_DEP_4) | instskip(SKIP_3) | instid1(VALU_DEP_1)
	v_xor_b32_e32 v21, s6, v21
	v_xor_b32_e32 v19, s7, v19
	ds_load_b32 v36, v38 offset:64
	v_bitop3_b32 v18, v18, v25, v24 bitop3:0x80
	; wave barrier
	v_bitop3_b32 v18, v18, v19, v21 bitop3:0x80
	s_delay_alu instid0(VALU_DEP_1) | instskip(SKIP_1) | instid1(VALU_DEP_2)
	v_mbcnt_lo_u32_b32 v37, v18, 0
	v_cmp_ne_u32_e64 s0, 0, v18
	v_cmp_eq_u32_e32 vcc_lo, 0, v37
	s_and_b32 s1, s0, vcc_lo
	s_delay_alu instid0(SALU_CYCLE_1)
	s_and_saveexec_b32 s0, s1
	s_cbranch_execz .LBB1614_79
; %bb.78:
	s_wait_dscnt 0x0
	v_bcnt_u32_b32 v18, v18, v36
	ds_store_b32 v38, v18 offset:64
.LBB1614_79:
	s_or_b32 exec_lo, exec_lo, s0
	v_cmp_lt_i64_e32 vcc_lo, -1, v[10:11]
	; wave barrier
	v_cndmask_b32_e64 v18, -1, 0x80000000, vcc_lo
	s_delay_alu instid0(VALU_DEP_1) | instskip(NEXT) | instid1(VALU_DEP_1)
	v_dual_ashrrev_i32 v19, 31, v11 :: v_dual_bitop2_b32 v11, v18, v11 bitop3:0x14
	v_xor_b32_e32 v10, v19, v10
	s_delay_alu instid0(VALU_DEP_1) | instskip(SKIP_2) | instid1(VALU_DEP_1)
	v_cmp_ne_u64_e32 vcc_lo, s[8:9], v[10:11]
	v_cndmask_b32_e32 v19, 0x80000000, v11, vcc_lo
	v_cndmask_b32_e32 v18, 0, v10, vcc_lo
	v_lshrrev_b64 v[18:19], s20, v[18:19]
	s_delay_alu instid0(VALU_DEP_1) | instskip(SKIP_1) | instid1(VALU_DEP_2)
	v_and_b32_e32 v19, s17, v18
	v_bitop3_b32 v18, v18, 1, s17 bitop3:0x80
	v_lshlrev_b32_e32 v22, 30, v19
	s_delay_alu instid0(VALU_DEP_2) | instskip(NEXT) | instid1(VALU_DEP_1)
	v_add_co_u32 v18, s0, v18, -1
	v_cndmask_b32_e64 v21, 0, 1, s0
	s_delay_alu instid0(VALU_DEP_3) | instskip(NEXT) | instid1(VALU_DEP_2)
	v_cmp_gt_i32_e64 s0, 0, v22
	v_cmp_ne_u32_e32 vcc_lo, 0, v21
	v_not_b32_e32 v21, v22
	s_delay_alu instid0(VALU_DEP_1) | instskip(SKIP_3) | instid1(VALU_DEP_3)
	v_dual_ashrrev_i32 v21, 31, v21 :: v_dual_bitop2_b32 v18, vcc_lo, v18 bitop3:0x14
	v_dual_lshlrev_b32 v23, 29, v19 :: v_dual_lshlrev_b32 v24, 28, v19
	v_dual_lshlrev_b32 v25, 27, v19 :: v_dual_lshlrev_b32 v39, 26, v19
	v_lshlrev_b32_e32 v40, 25, v19
	v_cmp_gt_i32_e64 s1, 0, v23
	v_not_b32_e32 v22, v23
	v_not_b32_e32 v23, v24
	v_mad_u32 v41, 0x44, v19, v20
	v_lshlrev_b32_e32 v19, 24, v19
	v_cmp_gt_i32_e64 s3, 0, v24
	v_cmp_gt_i32_e64 s4, 0, v25
	v_not_b32_e32 v24, v25
	v_not_b32_e32 v25, v39
	v_dual_ashrrev_i32 v22, 31, v22 :: v_dual_ashrrev_i32 v23, 31, v23
	v_xor_b32_e32 v21, s0, v21
	v_cmp_gt_i32_e64 s5, 0, v39
	v_not_b32_e32 v39, v40
	v_cmp_gt_i32_e64 s7, 0, v19
	v_not_b32_e32 v19, v19
	v_dual_ashrrev_i32 v24, 31, v24 :: v_dual_ashrrev_i32 v25, 31, v25
	v_xor_b32_e32 v22, s1, v22
	v_xor_b32_e32 v23, s3, v23
	v_bitop3_b32 v18, v18, v21, exec_lo bitop3:0x80
	v_cmp_gt_i32_e64 s6, 0, v40
	v_ashrrev_i32_e32 v21, 31, v39
	v_dual_ashrrev_i32 v19, 31, v19 :: v_dual_bitop2_b32 v24, s4, v24 bitop3:0x14
	v_xor_b32_e32 v25, s5, v25
	v_bitop3_b32 v18, v18, v23, v22 bitop3:0x80
	s_delay_alu instid0(VALU_DEP_4) | instskip(NEXT) | instid1(VALU_DEP_4)
	v_xor_b32_e32 v21, s6, v21
	v_xor_b32_e32 v19, s7, v19
	ds_load_b32 v39, v41 offset:64
	v_bitop3_b32 v18, v18, v25, v24 bitop3:0x80
	; wave barrier
	s_delay_alu instid0(VALU_DEP_1) | instskip(NEXT) | instid1(VALU_DEP_1)
	v_bitop3_b32 v18, v18, v19, v21 bitop3:0x80
	v_mbcnt_lo_u32_b32 v40, v18, 0
	v_cmp_ne_u32_e64 s0, 0, v18
	s_delay_alu instid0(VALU_DEP_2) | instskip(SKIP_1) | instid1(SALU_CYCLE_1)
	v_cmp_eq_u32_e32 vcc_lo, 0, v40
	s_and_b32 s1, s0, vcc_lo
	s_and_saveexec_b32 s0, s1
	s_cbranch_execz .LBB1614_81
; %bb.80:
	s_wait_dscnt 0x0
	v_bcnt_u32_b32 v18, v18, v39
	ds_store_b32 v41, v18 offset:64
.LBB1614_81:
	s_or_b32 exec_lo, exec_lo, s0
	v_cmp_lt_i64_e32 vcc_lo, -1, v[12:13]
	; wave barrier
	v_cndmask_b32_e64 v18, -1, 0x80000000, vcc_lo
	s_delay_alu instid0(VALU_DEP_1) | instskip(NEXT) | instid1(VALU_DEP_1)
	v_dual_ashrrev_i32 v19, 31, v13 :: v_dual_bitop2_b32 v13, v18, v13 bitop3:0x14
	v_xor_b32_e32 v12, v19, v12
	s_delay_alu instid0(VALU_DEP_1) | instskip(SKIP_2) | instid1(VALU_DEP_1)
	v_cmp_ne_u64_e32 vcc_lo, s[8:9], v[12:13]
	v_cndmask_b32_e32 v19, 0x80000000, v13, vcc_lo
	v_cndmask_b32_e32 v18, 0, v12, vcc_lo
	v_lshrrev_b64 v[18:19], s20, v[18:19]
	s_delay_alu instid0(VALU_DEP_1) | instskip(SKIP_1) | instid1(VALU_DEP_2)
	v_and_b32_e32 v19, s17, v18
	v_bitop3_b32 v18, v18, 1, s17 bitop3:0x80
	v_lshlrev_b32_e32 v22, 30, v19
	s_delay_alu instid0(VALU_DEP_2) | instskip(NEXT) | instid1(VALU_DEP_1)
	v_add_co_u32 v18, s0, v18, -1
	v_cndmask_b32_e64 v21, 0, 1, s0
	s_delay_alu instid0(VALU_DEP_3) | instskip(NEXT) | instid1(VALU_DEP_2)
	v_cmp_gt_i32_e64 s0, 0, v22
	v_cmp_ne_u32_e32 vcc_lo, 0, v21
	v_not_b32_e32 v21, v22
	s_delay_alu instid0(VALU_DEP_1) | instskip(SKIP_3) | instid1(VALU_DEP_3)
	v_dual_ashrrev_i32 v21, 31, v21 :: v_dual_bitop2_b32 v18, vcc_lo, v18 bitop3:0x14
	v_dual_lshlrev_b32 v23, 29, v19 :: v_dual_lshlrev_b32 v24, 28, v19
	v_dual_lshlrev_b32 v25, 27, v19 :: v_dual_lshlrev_b32 v42, 26, v19
	v_lshlrev_b32_e32 v43, 25, v19
	v_cmp_gt_i32_e64 s1, 0, v23
	v_not_b32_e32 v22, v23
	v_not_b32_e32 v23, v24
	v_mad_u32 v44, 0x44, v19, v20
	v_lshlrev_b32_e32 v19, 24, v19
	v_cmp_gt_i32_e64 s3, 0, v24
	v_cmp_gt_i32_e64 s4, 0, v25
	v_not_b32_e32 v24, v25
	v_not_b32_e32 v25, v42
	v_dual_ashrrev_i32 v22, 31, v22 :: v_dual_ashrrev_i32 v23, 31, v23
	v_xor_b32_e32 v21, s0, v21
	v_cmp_gt_i32_e64 s5, 0, v42
	v_not_b32_e32 v42, v43
	v_cmp_gt_i32_e64 s7, 0, v19
	v_not_b32_e32 v19, v19
	v_dual_ashrrev_i32 v24, 31, v24 :: v_dual_ashrrev_i32 v25, 31, v25
	v_xor_b32_e32 v22, s1, v22
	v_xor_b32_e32 v23, s3, v23
	v_bitop3_b32 v18, v18, v21, exec_lo bitop3:0x80
	v_cmp_gt_i32_e64 s6, 0, v43
	v_dual_ashrrev_i32 v21, 31, v42 :: v_dual_ashrrev_i32 v19, 31, v19
	v_xor_b32_e32 v24, s4, v24
	v_xor_b32_e32 v25, s5, v25
	v_bitop3_b32 v18, v18, v23, v22 bitop3:0x80
	s_delay_alu instid0(VALU_DEP_4) | instskip(SKIP_3) | instid1(VALU_DEP_1)
	v_xor_b32_e32 v21, s6, v21
	v_xor_b32_e32 v19, s7, v19
	ds_load_b32 v42, v44 offset:64
	v_bitop3_b32 v18, v18, v25, v24 bitop3:0x80
	; wave barrier
	v_bitop3_b32 v18, v18, v19, v21 bitop3:0x80
	s_delay_alu instid0(VALU_DEP_1) | instskip(SKIP_1) | instid1(VALU_DEP_2)
	v_mbcnt_lo_u32_b32 v43, v18, 0
	v_cmp_ne_u32_e64 s0, 0, v18
	v_cmp_eq_u32_e32 vcc_lo, 0, v43
	s_and_b32 s1, s0, vcc_lo
	s_delay_alu instid0(SALU_CYCLE_1)
	s_and_saveexec_b32 s0, s1
	s_cbranch_execz .LBB1614_83
; %bb.82:
	s_wait_dscnt 0x0
	v_bcnt_u32_b32 v18, v18, v42
	ds_store_b32 v44, v18 offset:64
.LBB1614_83:
	s_or_b32 exec_lo, exec_lo, s0
	v_cmp_lt_i64_e32 vcc_lo, -1, v[16:17]
	; wave barrier
	v_cndmask_b32_e64 v18, -1, 0x80000000, vcc_lo
	s_delay_alu instid0(VALU_DEP_1) | instskip(NEXT) | instid1(VALU_DEP_1)
	v_dual_ashrrev_i32 v19, 31, v17 :: v_dual_bitop2_b32 v17, v18, v17 bitop3:0x14
	v_xor_b32_e32 v16, v19, v16
	s_delay_alu instid0(VALU_DEP_1) | instskip(SKIP_2) | instid1(VALU_DEP_1)
	v_cmp_ne_u64_e32 vcc_lo, s[8:9], v[16:17]
	v_cndmask_b32_e32 v19, 0x80000000, v17, vcc_lo
	v_cndmask_b32_e32 v18, 0, v16, vcc_lo
	v_lshrrev_b64 v[18:19], s20, v[18:19]
	s_delay_alu instid0(VALU_DEP_1) | instskip(SKIP_1) | instid1(VALU_DEP_2)
	v_and_b32_e32 v19, s17, v18
	v_bitop3_b32 v18, v18, 1, s17 bitop3:0x80
	v_lshlrev_b32_e32 v22, 30, v19
	s_delay_alu instid0(VALU_DEP_2) | instskip(NEXT) | instid1(VALU_DEP_1)
	v_add_co_u32 v18, s0, v18, -1
	v_cndmask_b32_e64 v21, 0, 1, s0
	s_delay_alu instid0(VALU_DEP_3) | instskip(NEXT) | instid1(VALU_DEP_2)
	v_cmp_gt_i32_e64 s0, 0, v22
	v_cmp_ne_u32_e32 vcc_lo, 0, v21
	v_not_b32_e32 v21, v22
	s_delay_alu instid0(VALU_DEP_1) | instskip(SKIP_3) | instid1(VALU_DEP_3)
	v_dual_ashrrev_i32 v21, 31, v21 :: v_dual_bitop2_b32 v18, vcc_lo, v18 bitop3:0x14
	v_dual_lshlrev_b32 v23, 29, v19 :: v_dual_lshlrev_b32 v24, 28, v19
	v_dual_lshlrev_b32 v25, 27, v19 :: v_dual_lshlrev_b32 v45, 26, v19
	v_lshlrev_b32_e32 v46, 25, v19
	v_cmp_gt_i32_e64 s1, 0, v23
	v_not_b32_e32 v22, v23
	v_not_b32_e32 v23, v24
	v_mad_u32 v47, 0x44, v19, v20
	v_lshlrev_b32_e32 v19, 24, v19
	v_cmp_gt_i32_e64 s3, 0, v24
	v_cmp_gt_i32_e64 s4, 0, v25
	v_not_b32_e32 v24, v25
	v_not_b32_e32 v25, v45
	v_dual_ashrrev_i32 v22, 31, v22 :: v_dual_ashrrev_i32 v23, 31, v23
	v_xor_b32_e32 v21, s0, v21
	v_cmp_gt_i32_e64 s5, 0, v45
	v_not_b32_e32 v45, v46
	v_cmp_gt_i32_e64 s7, 0, v19
	v_not_b32_e32 v19, v19
	v_dual_ashrrev_i32 v24, 31, v24 :: v_dual_ashrrev_i32 v25, 31, v25
	v_xor_b32_e32 v22, s1, v22
	v_xor_b32_e32 v23, s3, v23
	v_bitop3_b32 v18, v18, v21, exec_lo bitop3:0x80
	v_cmp_gt_i32_e64 s6, 0, v46
	v_dual_ashrrev_i32 v21, 31, v45 :: v_dual_ashrrev_i32 v19, 31, v19
	v_xor_b32_e32 v24, s4, v24
	v_xor_b32_e32 v25, s5, v25
	v_bitop3_b32 v18, v18, v23, v22 bitop3:0x80
	s_delay_alu instid0(VALU_DEP_4) | instskip(SKIP_3) | instid1(VALU_DEP_1)
	v_xor_b32_e32 v21, s6, v21
	v_xor_b32_e32 v19, s7, v19
	ds_load_b32 v45, v47 offset:64
	v_bitop3_b32 v18, v18, v25, v24 bitop3:0x80
	; wave barrier
	v_bitop3_b32 v18, v18, v19, v21 bitop3:0x80
	s_delay_alu instid0(VALU_DEP_1) | instskip(SKIP_1) | instid1(VALU_DEP_2)
	v_mbcnt_lo_u32_b32 v46, v18, 0
	v_cmp_ne_u32_e64 s0, 0, v18
	v_cmp_eq_u32_e32 vcc_lo, 0, v46
	s_and_b32 s1, s0, vcc_lo
	s_delay_alu instid0(SALU_CYCLE_1)
	s_and_saveexec_b32 s0, s1
	s_cbranch_execz .LBB1614_85
; %bb.84:
	s_wait_dscnt 0x0
	v_bcnt_u32_b32 v18, v18, v45
	ds_store_b32 v47, v18 offset:64
.LBB1614_85:
	s_or_b32 exec_lo, exec_lo, s0
	v_cmp_lt_i64_e32 vcc_lo, -1, v[14:15]
	; wave barrier
	v_cndmask_b32_e64 v18, -1, 0x80000000, vcc_lo
	s_delay_alu instid0(VALU_DEP_1) | instskip(NEXT) | instid1(VALU_DEP_1)
	v_dual_ashrrev_i32 v19, 31, v15 :: v_dual_bitop2_b32 v15, v18, v15 bitop3:0x14
	v_xor_b32_e32 v14, v19, v14
	s_delay_alu instid0(VALU_DEP_1) | instskip(SKIP_2) | instid1(VALU_DEP_1)
	v_cmp_ne_u64_e32 vcc_lo, s[8:9], v[14:15]
	v_cndmask_b32_e32 v19, 0x80000000, v15, vcc_lo
	v_cndmask_b32_e32 v18, 0, v14, vcc_lo
	v_lshrrev_b64 v[18:19], s20, v[18:19]
	s_delay_alu instid0(VALU_DEP_1) | instskip(SKIP_1) | instid1(VALU_DEP_2)
	v_and_b32_e32 v19, s17, v18
	v_bitop3_b32 v18, v18, 1, s17 bitop3:0x80
	v_mad_u32 v50, 0x44, v19, v20
	s_delay_alu instid0(VALU_DEP_2) | instskip(NEXT) | instid1(VALU_DEP_1)
	v_add_co_u32 v18, s0, v18, -1
	v_cndmask_b32_e64 v20, 0, 1, s0
	v_dual_lshlrev_b32 v21, 30, v19 :: v_dual_lshlrev_b32 v22, 29, v19
	s_delay_alu instid0(VALU_DEP_2) | instskip(NEXT) | instid1(VALU_DEP_2)
	v_cmp_ne_u32_e32 vcc_lo, 0, v20
	v_cmp_gt_i32_e64 s0, 0, v21
	v_not_b32_e32 v20, v21
	s_delay_alu instid0(VALU_DEP_4) | instskip(SKIP_1) | instid1(VALU_DEP_3)
	v_not_b32_e32 v21, v22
	v_cmp_gt_i32_e64 s1, 0, v22
	v_dual_ashrrev_i32 v20, 31, v20 :: v_dual_bitop2_b32 v18, vcc_lo, v18 bitop3:0x14
	s_delay_alu instid0(VALU_DEP_3) | instskip(SKIP_2) | instid1(VALU_DEP_3)
	v_dual_ashrrev_i32 v21, 31, v21 :: v_dual_lshlrev_b32 v23, 28, v19
	v_dual_lshlrev_b32 v24, 27, v19 :: v_dual_lshlrev_b32 v25, 26, v19
	v_dual_lshlrev_b32 v48, 25, v19 :: v_dual_lshlrev_b32 v19, 24, v19
	v_not_b32_e32 v22, v23
	v_cmp_gt_i32_e64 s3, 0, v23
	s_delay_alu instid0(VALU_DEP_4)
	v_cmp_gt_i32_e64 s4, 0, v24
	v_not_b32_e32 v23, v24
	v_not_b32_e32 v24, v25
	v_dual_ashrrev_i32 v22, 31, v22 :: v_dual_bitop2_b32 v20, s0, v20 bitop3:0x14
	v_cmp_gt_i32_e64 s5, 0, v25
	v_not_b32_e32 v25, v48
	v_cmp_gt_i32_e64 s7, 0, v19
	v_not_b32_e32 v19, v19
	v_dual_ashrrev_i32 v23, 31, v23 :: v_dual_ashrrev_i32 v24, 31, v24
	v_xor_b32_e32 v21, s1, v21
	v_xor_b32_e32 v22, s3, v22
	v_bitop3_b32 v18, v18, v20, exec_lo bitop3:0x80
	v_cmp_gt_i32_e64 s6, 0, v48
	v_dual_ashrrev_i32 v20, 31, v25 :: v_dual_ashrrev_i32 v19, 31, v19
	v_xor_b32_e32 v23, s4, v23
	v_xor_b32_e32 v24, s5, v24
	v_bitop3_b32 v18, v18, v22, v21 bitop3:0x80
	s_delay_alu instid0(VALU_DEP_4) | instskip(SKIP_3) | instid1(VALU_DEP_1)
	v_xor_b32_e32 v20, s6, v20
	v_xor_b32_e32 v19, s7, v19
	ds_load_b32 v48, v50 offset:64
	v_bitop3_b32 v18, v18, v24, v23 bitop3:0x80
	; wave barrier
	v_bitop3_b32 v18, v18, v19, v20 bitop3:0x80
	s_delay_alu instid0(VALU_DEP_1) | instskip(SKIP_1) | instid1(VALU_DEP_2)
	v_mbcnt_lo_u32_b32 v49, v18, 0
	v_cmp_ne_u32_e64 s0, 0, v18
	v_cmp_eq_u32_e32 vcc_lo, 0, v49
	s_and_b32 s1, s0, vcc_lo
	s_delay_alu instid0(SALU_CYCLE_1)
	s_and_saveexec_b32 s0, s1
	s_cbranch_execz .LBB1614_87
; %bb.86:
	s_wait_dscnt 0x0
	v_bcnt_u32_b32 v18, v18, v48
	ds_store_b32 v50, v18 offset:64
.LBB1614_87:
	s_or_b32 exec_lo, exec_lo, s0
	; wave barrier
	s_wait_dscnt 0x0
	s_barrier_signal -1
	s_barrier_wait -1
	ds_load_2addr_b32 v[24:25], v26 offset0:16 offset1:17
	ds_load_2addr_b32 v[22:23], v26 offset0:18 offset1:19
	;; [unrolled: 1-line block ×4, first 2 shown]
	ds_load_b32 v51, v26 offset:96
	v_bfe_i32 v54, v33, 4, 1
	s_mov_b32 s5, exec_lo
	s_wait_dscnt 0x3
	v_add3_u32 v52, v25, v24, v22
	s_wait_dscnt 0x2
	s_delay_alu instid0(VALU_DEP_1) | instskip(SKIP_1) | instid1(VALU_DEP_1)
	v_add3_u32 v52, v52, v23, v20
	s_wait_dscnt 0x1
	v_add3_u32 v52, v52, v21, v18
	s_wait_dscnt 0x0
	s_delay_alu instid0(VALU_DEP_1) | instskip(SKIP_1) | instid1(VALU_DEP_2)
	v_add3_u32 v51, v52, v19, v51
	v_and_b32_e32 v52, 15, v33
	v_mov_b32_dpp v53, v51 row_shr:1 row_mask:0xf bank_mask:0xf
	s_delay_alu instid0(VALU_DEP_2) | instskip(NEXT) | instid1(VALU_DEP_2)
	v_cmp_eq_u32_e32 vcc_lo, 0, v52
	v_cndmask_b32_e64 v53, v53, 0, vcc_lo
	s_delay_alu instid0(VALU_DEP_1) | instskip(SKIP_3) | instid1(VALU_DEP_4)
	v_add_nc_u32_e32 v51, v53, v51
	v_cmp_lt_u32_e64 s0, 1, v52
	v_cmp_lt_u32_e64 s1, 3, v52
	;; [unrolled: 1-line block ×3, first 2 shown]
	v_mov_b32_dpp v53, v51 row_shr:2 row_mask:0xf bank_mask:0xf
	s_delay_alu instid0(VALU_DEP_1) | instskip(NEXT) | instid1(VALU_DEP_1)
	v_cndmask_b32_e64 v53, 0, v53, s0
	v_add_nc_u32_e32 v51, v51, v53
	s_delay_alu instid0(VALU_DEP_1) | instskip(NEXT) | instid1(VALU_DEP_1)
	v_mov_b32_dpp v53, v51 row_shr:4 row_mask:0xf bank_mask:0xf
	v_cndmask_b32_e64 v53, 0, v53, s1
	s_delay_alu instid0(VALU_DEP_1) | instskip(NEXT) | instid1(VALU_DEP_1)
	v_add_nc_u32_e32 v51, v51, v53
	v_mov_b32_dpp v53, v51 row_shr:8 row_mask:0xf bank_mask:0xf
	s_delay_alu instid0(VALU_DEP_1) | instskip(SKIP_1) | instid1(VALU_DEP_2)
	v_cndmask_b32_e64 v52, 0, v53, s3
	v_and_b32_e32 v53, 0x3e0, v32
	v_add_nc_u32_e32 v51, v51, v52
	s_delay_alu instid0(VALU_DEP_2) | instskip(SKIP_4) | instid1(VALU_DEP_1)
	v_min_u32_e32 v53, 0x1e0, v53
	ds_swizzle_b32 v52, v51 offset:swizzle(BROADCAST,32,15)
	v_or_b32_e32 v53, 31, v53
	s_wait_dscnt 0x0
	v_and_b32_e32 v54, v54, v52
	v_dual_lshrrev_b32 v52, 5, v32 :: v_dual_add_nc_u32 v51, v51, v54
	s_delay_alu instid0(VALU_DEP_3)
	v_cmpx_eq_u32_e64 v32, v53
; %bb.88:
	s_delay_alu instid0(VALU_DEP_2)
	v_lshlrev_b32_e32 v53, 2, v52
	ds_store_b32 v53, v51
; %bb.89:
	s_or_b32 exec_lo, exec_lo, s5
	s_delay_alu instid0(SALU_CYCLE_1)
	s_mov_b32 s5, exec_lo
	s_wait_dscnt 0x0
	s_barrier_signal -1
	s_barrier_wait -1
	v_cmpx_gt_u32_e32 16, v32
	s_cbranch_execz .LBB1614_91
; %bb.90:
	v_lshlrev_b32_e32 v53, 2, v32
	ds_load_b32 v54, v53
	s_wait_dscnt 0x0
	v_mov_b32_dpp v55, v54 row_shr:1 row_mask:0xf bank_mask:0xf
	s_delay_alu instid0(VALU_DEP_1) | instskip(NEXT) | instid1(VALU_DEP_1)
	v_cndmask_b32_e64 v55, v55, 0, vcc_lo
	v_add_nc_u32_e32 v54, v55, v54
	s_delay_alu instid0(VALU_DEP_1) | instskip(NEXT) | instid1(VALU_DEP_1)
	v_mov_b32_dpp v55, v54 row_shr:2 row_mask:0xf bank_mask:0xf
	v_cndmask_b32_e64 v55, 0, v55, s0
	s_delay_alu instid0(VALU_DEP_1) | instskip(NEXT) | instid1(VALU_DEP_1)
	v_add_nc_u32_e32 v54, v54, v55
	v_mov_b32_dpp v55, v54 row_shr:4 row_mask:0xf bank_mask:0xf
	s_delay_alu instid0(VALU_DEP_1) | instskip(NEXT) | instid1(VALU_DEP_1)
	v_cndmask_b32_e64 v55, 0, v55, s1
	v_add_nc_u32_e32 v54, v54, v55
	s_delay_alu instid0(VALU_DEP_1) | instskip(NEXT) | instid1(VALU_DEP_1)
	v_mov_b32_dpp v55, v54 row_shr:8 row_mask:0xf bank_mask:0xf
	v_cndmask_b32_e64 v55, 0, v55, s3
	s_delay_alu instid0(VALU_DEP_1)
	v_add_nc_u32_e32 v54, v54, v55
	ds_store_b32 v53, v54
.LBB1614_91:
	s_or_b32 exec_lo, exec_lo, s5
	v_mov_b32_e32 v53, 0
	s_mov_b32 s0, exec_lo
	s_wait_dscnt 0x0
	s_barrier_signal -1
	s_barrier_wait -1
	v_cmpx_lt_u32_e32 31, v32
; %bb.92:
	v_lshl_add_u32 v52, v52, 2, -4
	ds_load_b32 v53, v52
; %bb.93:
	s_or_b32 exec_lo, exec_lo, s0
	v_sub_co_u32 v52, vcc_lo, v33, 1
	s_wait_dscnt 0x0
	v_add_nc_u32_e32 v51, v53, v51
	s_delay_alu instid0(VALU_DEP_2) | instskip(NEXT) | instid1(VALU_DEP_1)
	v_cmp_gt_i32_e64 s0, 0, v52
	v_cndmask_b32_e64 v33, v52, v33, s0
	v_cmp_lt_u32_e64 s0, 0xff, v32
	s_delay_alu instid0(VALU_DEP_2) | instskip(SKIP_4) | instid1(VALU_DEP_2)
	v_lshlrev_b32_e32 v33, 2, v33
	ds_bpermute_b32 v33, v33, v51
	s_wait_dscnt 0x0
	v_cndmask_b32_e32 v33, v33, v53, vcc_lo
	v_cmp_gt_u32_e32 vcc_lo, 0x100, v32
	v_cndmask_b32_e64 v33, v33, 0, s2
	s_delay_alu instid0(VALU_DEP_1) | instskip(NEXT) | instid1(VALU_DEP_1)
	v_add_nc_u32_e32 v24, v33, v24
	v_add_nc_u32_e32 v25, v24, v25
	s_delay_alu instid0(VALU_DEP_1) | instskip(NEXT) | instid1(VALU_DEP_1)
	v_add_nc_u32_e32 v22, v25, v22
	v_add_nc_u32_e32 v23, v22, v23
	;; [unrolled: 3-line block ×4, first 2 shown]
	ds_store_2addr_b32 v26, v33, v24 offset0:16 offset1:17
	ds_store_2addr_b32 v26, v25, v22 offset0:18 offset1:19
	;; [unrolled: 1-line block ×4, first 2 shown]
	ds_store_b32 v26, v19 offset:96
	s_wait_dscnt 0x0
	s_barrier_signal -1
	s_barrier_wait -1
	ds_load_b32 v21, v27 offset:64
	ds_load_b32 v33, v28 offset:64
	;; [unrolled: 1-line block ×8, first 2 shown]
	v_mov_b64_e32 v[18:19], 0
                                        ; implicit-def: $vgpr20
	s_and_saveexec_b32 s2, vcc_lo
	s_cbranch_execz .LBB1614_97
; %bb.94:
	v_mul_u32_u24_e32 v18, 0x44, v32
	v_dual_mov_b32 v19, 0x1000 :: v_dual_add_nc_u32 v20, 1, v32
	s_mov_b32 s3, exec_lo
	ds_load_b32 v18, v18 offset:64
	v_cmpx_ne_u32_e32 0x100, v20
; %bb.95:
	v_mul_u32_u24_e32 v19, 0x44, v20
	ds_load_b32 v19, v19 offset:64
; %bb.96:
	s_or_b32 exec_lo, exec_lo, s3
	s_wait_dscnt 0x0
	v_dual_mov_b32 v19, 0 :: v_dual_sub_nc_u32 v20, v19, v18
.LBB1614_97:
	s_or_b32 exec_lo, exec_lo, s2
	v_mov_b32_e32 v23, 0
	s_wait_dscnt 0x0
	s_barrier_signal -1
	s_barrier_wait -1
	s_and_saveexec_b32 s1, vcc_lo
	s_cbranch_execz .LBB1614_107
; %bb.98:
	v_lshl_add_u32 v22, s26, 8, v32
	v_dual_mov_b32 v26, 0 :: v_dual_bitop2_b32 v27, 2.0, v20 bitop3:0x54
	s_mov_b32 s2, 0
	s_mov_b32 s3, s26
	s_delay_alu instid0(VALU_DEP_2)
	v_lshl_add_u64 v[24:25], v[22:23], 2, s[10:11]
	global_store_b32 v22, v27, s[10:11] scale_offset scope:SCOPE_DEV
                                        ; implicit-def: $sgpr4
	s_branch .LBB1614_101
.LBB1614_99:                            ;   in Loop: Header=BB1614_101 Depth=1
	s_or_b32 exec_lo, exec_lo, s5
.LBB1614_100:                           ;   in Loop: Header=BB1614_101 Depth=1
	s_delay_alu instid0(SALU_CYCLE_1) | instskip(SKIP_2) | instid1(VALU_DEP_2)
	s_or_b32 exec_lo, exec_lo, s4
	v_and_b32_e32 v22, 0x3fffffff, v27
	v_cmp_gt_i32_e64 s4, -2.0, v27
	v_add_nc_u32_e32 v26, v22, v26
	s_and_b32 s5, exec_lo, s4
	s_delay_alu instid0(SALU_CYCLE_1) | instskip(NEXT) | instid1(SALU_CYCLE_1)
	s_or_b32 s2, s5, s2
	s_and_not1_b32 exec_lo, exec_lo, s2
	s_cbranch_execz .LBB1614_106
.LBB1614_101:                           ; =>This Loop Header: Depth=1
                                        ;     Child Loop BB1614_104 Depth 2
	s_or_b32 s4, s4, exec_lo
	s_cmp_eq_u32 s3, 0
	s_cbranch_scc1 .LBB1614_105
; %bb.102:                              ;   in Loop: Header=BB1614_101 Depth=1
	s_add_co_i32 s3, s3, -1
	s_mov_b32 s4, exec_lo
	s_wait_xcnt 0x0
	v_lshl_or_b32 v22, s3, 8, v32
	global_load_b32 v27, v22, s[10:11] scale_offset scope:SCOPE_DEV
	s_wait_loadcnt 0x0
	v_cmpx_gt_u32_e32 2.0, v27
	s_cbranch_execz .LBB1614_100
; %bb.103:                              ;   in Loop: Header=BB1614_101 Depth=1
	v_lshl_add_u64 v[28:29], v[22:23], 2, s[10:11]
	s_mov_b32 s5, 0
.LBB1614_104:                           ;   Parent Loop BB1614_101 Depth=1
                                        ; =>  This Inner Loop Header: Depth=2
	global_load_b32 v27, v[28:29], off scope:SCOPE_DEV
	s_wait_loadcnt 0x0
	v_cmp_lt_u32_e32 vcc_lo, 0x3fffffff, v27
	s_or_b32 s5, vcc_lo, s5
	s_wait_xcnt 0x0
	s_and_not1_b32 exec_lo, exec_lo, s5
	s_cbranch_execnz .LBB1614_104
	s_branch .LBB1614_99
.LBB1614_105:                           ;   in Loop: Header=BB1614_101 Depth=1
                                        ; implicit-def: $sgpr3
	s_and_b32 s5, exec_lo, s4
	s_delay_alu instid0(SALU_CYCLE_1)
	s_or_b32 s2, s5, s2
	s_wait_xcnt 0x0
	s_and_not1_b32 exec_lo, exec_lo, s2
	s_cbranch_execnz .LBB1614_101
.LBB1614_106:
	s_or_b32 exec_lo, exec_lo, s2
	v_dual_mov_b32 v27, 0 :: v_dual_add_nc_u32 v22, v26, v20
	s_delay_alu instid0(VALU_DEP_1) | instskip(SKIP_4) | instid1(VALU_DEP_1)
	v_or_b32_e32 v22, 0x80000000, v22
	global_store_b32 v[24:25], v22, off scope:SCOPE_DEV
	global_load_b64 v[22:23], v32, s[12:13] scale_offset
	v_sub_nc_u64_e32 v[24:25], v[26:27], v[18:19]
	s_wait_loadcnt 0x0
	v_add_nc_u64_e32 v[22:23], v[24:25], v[22:23]
	ds_store_b64 v2, v[22:23]
.LBB1614_107:
	s_wait_xcnt 0x0
	s_or_b32 exec_lo, exec_lo, s1
	v_dual_add_nc_u32 v21, v21, v3 :: v_dual_mov_b32 v3, 0
	v_add3_u32 v24, v49, v50, v48
	v_add3_u32 v25, v46, v47, v45
	;; [unrolled: 1-line block ×4, first 2 shown]
	v_add_nc_u64_e32 v[22:23], s[18:19], v[2:3]
	v_add3_u32 v28, v37, v38, v36
	v_add3_u32 v3, v35, v51, v34
	;; [unrolled: 1-line block ×3, first 2 shown]
	s_mov_b64 s[6:7], 0x7fffffffffffffff
	s_mov_b32 s9, -1
	s_mov_b32 s8, 0
.LBB1614_108:                           ; =>This Inner Loop Header: Depth=1
	s_wait_xcnt 0x3
	v_add_min_u32_e64 v30, v21, s8, 0x800
	v_add_min_u32_e64 v31, v29, s8, 0x800
	v_add_min_u32_e64 v33, v3, s8, 0x800
	v_add_min_u32_e64 v34, v28, s8, 0x800
	v_add_min_u32_e64 v35, v27, s8, 0x800
	s_wait_xcnt 0x2
	v_add_min_u32_e64 v36, v26, s8, 0x800
	v_add_min_u32_e64 v37, v25, s8, 0x800
	s_wait_xcnt 0x1
	v_add_min_u32_e64 v38, v24, s8, 0x800
	v_dual_lshlrev_b32 v30, 3, v30 :: v_dual_lshlrev_b32 v31, 3, v31
	v_dual_lshlrev_b32 v33, 3, v33 :: v_dual_lshlrev_b32 v34, 3, v34
	;; [unrolled: 1-line block ×3, first 2 shown]
	s_delay_alu instid0(VALU_DEP_4)
	v_dual_lshlrev_b32 v37, 3, v37 :: v_dual_lshlrev_b32 v38, 3, v38
	ds_store_b64 v30, v[4:5] offset:2048
	ds_store_b64 v31, v[0:1] offset:2048
	;; [unrolled: 1-line block ×8, first 2 shown]
	s_wait_storecnt_dscnt 0x0
	s_barrier_signal -1
	s_barrier_wait -1
	ds_load_2addr_stride64_b64 v[34:37], v2 offset0:4 offset1:12
	s_wait_xcnt 0x0
	ds_load_2addr_stride64_b64 v[38:41], v2 offset0:20 offset1:28
	s_addk_co_i32 s8, 0xf800
	s_and_b32 vcc_lo, exec_lo, s9
	s_mov_b32 s9, 0
	s_wait_dscnt 0x1
	v_cmp_lt_i64_e64 s2, -1, v[34:35]
	v_cmp_lt_i64_e64 s3, -1, v[36:37]
	v_cmp_ne_u64_e64 s1, s[6:7], v[34:35]
	s_wait_dscnt 0x0
	v_cmp_lt_i64_e64 s4, -1, v[38:39]
	v_dual_ashrrev_i32 v33, 31, v35 :: v_dual_ashrrev_i32 v49, 31, v37
	v_cmp_lt_i64_e64 s5, -1, v[40:41]
	v_cndmask_b32_e64 v30, 0x80000000, -1, s2
	v_cmp_ne_u64_e64 s2, s[6:7], v[36:37]
	v_cndmask_b32_e64 v48, 0x80000000, -1, s3
	v_cmp_ne_u64_e64 s3, s[6:7], v[38:39]
	v_cndmask_b32_e64 v31, 0x80000000, v35, s1
	v_cndmask_b32_e64 v50, 0x80000000, -1, s4
	v_cmp_ne_u64_e64 s4, s[6:7], v[40:41]
	v_dual_cndmask_b32 v30, 0, v34, s1 :: v_dual_bitop2_b32 v35, v30, v35 bitop3:0x14
	v_cndmask_b32_e64 v43, 0x80000000, v37, s2
	v_cndmask_b32_e64 v45, 0x80000000, v39, s3
	v_dual_cndmask_b32 v42, 0, v36, s2 :: v_dual_cndmask_b32 v44, 0, v38, s3
	s_delay_alu instid0(VALU_DEP_4) | instskip(SKIP_2) | instid1(VALU_DEP_4)
	v_lshrrev_b64 v[30:31], s20, v[30:31]
	v_cndmask_b32_e64 v47, 0x80000000, v41, s4
	v_cndmask_b32_e64 v46, 0, v40, s4
	v_lshrrev_b64 v[42:43], s20, v[42:43]
	v_lshrrev_b64 v[44:45], s20, v[44:45]
	v_dual_ashrrev_i32 v51, 31, v39 :: v_dual_bitop2_b32 v37, v48, v37 bitop3:0x14
	v_dual_ashrrev_i32 v53, 31, v41 :: v_dual_bitop2_b32 v30, s17, v30 bitop3:0x40
	v_lshrrev_b64 v[46:47], s20, v[46:47]
	v_and_b32_e32 v31, s17, v42
	v_and_b32_e32 v42, s17, v44
	v_not_b32_e32 v33, v33
	v_lshlrev_b32_e32 v30, 3, v30
	v_not_b32_e32 v49, v49
	v_not_b32_e32 v48, v51
	v_lshlrev_b32_e32 v45, 3, v42
	v_dual_lshlrev_b32 v44, 3, v31 :: v_dual_bitop2_b32 v43, s17, v46 bitop3:0x40
	v_cndmask_b32_e64 v52, 0x80000000, -1, s5
	v_xor_b32_e32 v39, v50, v39
	v_not_b32_e32 v50, v53
	s_delay_alu instid0(VALU_DEP_4)
	v_lshlrev_b32_e32 v46, 3, v43
	ds_load_b64 v[30:31], v30
	ds_load_b64 v[42:43], v44
	;; [unrolled: 1-line block ×4, first 2 shown]
	v_xor_b32_e32 v34, v33, v34
	v_xor_b32_e32 v36, v49, v36
	;; [unrolled: 1-line block ×5, first 2 shown]
	s_wait_dscnt 0x3
	v_lshl_add_u64 v[30:31], v[30:31], 3, v[22:23]
	s_wait_dscnt 0x2
	v_lshl_add_u64 v[42:43], v[42:43], 3, v[22:23]
	;; [unrolled: 2-line block ×4, first 2 shown]
	v_add_nc_u64_e32 v[22:23], 0x4000, v[22:23]
	s_clause 0x3
	global_store_b64 v[30:31], v[34:35], off
	global_store_b64 v[42:43], v[36:37], off offset:4096
	global_store_b64 v[44:45], v[38:39], off offset:8192
	global_store_b64 v[46:47], v[40:41], off offset:12288
	s_wait_storecnt 0x0
	s_barrier_signal -1
	s_barrier_wait -1
	s_cbranch_vccnz .LBB1614_108
; %bb.109:
	s_add_co_i32 s16, s16, -1
	s_delay_alu instid0(SALU_CYCLE_1) | instskip(SKIP_2) | instid1(SALU_CYCLE_1)
	s_cmp_eq_u32 s26, s16
	s_cselect_b32 s1, -1, 0
	s_xor_b32 s0, s0, -1
	s_and_b32 s0, s0, s1
	s_wait_xcnt 0x0
	s_and_saveexec_b32 s1, s0
	s_cbranch_execz .LBB1614_111
; %bb.110:
	ds_load_b64 v[0:1], v2
	v_mov_b32_e32 v21, 0
	s_delay_alu instid0(VALU_DEP_1) | instskip(SKIP_1) | instid1(VALU_DEP_1)
	v_add_nc_u64_e32 v[2:3], v[18:19], v[20:21]
	s_wait_dscnt 0x0
	v_add_nc_u64_e32 v[0:1], v[2:3], v[0:1]
	global_store_b64 v32, v[0:1], s[14:15] scale_offset
.LBB1614_111:
	s_endpgm
	.section	.rodata,"a",@progbits
	.p2align	6, 0x0
	.amdhsa_kernel _ZN7rocprim17ROCPRIM_400000_NS6detail17trampoline_kernelINS0_14default_configENS1_35radix_sort_onesweep_config_selectorIdNS0_10empty_typeEEEZZNS1_29radix_sort_onesweep_iterationIS3_Lb0EPKdPdPS5_SB_mNS0_19identity_decomposerENS1_16block_id_wrapperIjLb1EEEEE10hipError_tT1_PNSt15iterator_traitsISG_E10value_typeET2_T3_PNSH_ISM_E10value_typeET4_T5_PSR_SS_PNS1_23onesweep_lookback_stateEbbT6_jjT7_P12ihipStream_tbENKUlT_T0_SG_SL_E_clISA_SA_SB_SB_EEDaSZ_S10_SG_SL_EUlSZ_E_NS1_11comp_targetILNS1_3genE0ELNS1_11target_archE4294967295ELNS1_3gpuE0ELNS1_3repE0EEENS1_47radix_sort_onesweep_sort_config_static_selectorELNS0_4arch9wavefront6targetE0EEEvSG_
		.amdhsa_group_segment_fixed_size 18504
		.amdhsa_private_segment_fixed_size 0
		.amdhsa_kernarg_size 344
		.amdhsa_user_sgpr_count 2
		.amdhsa_user_sgpr_dispatch_ptr 0
		.amdhsa_user_sgpr_queue_ptr 0
		.amdhsa_user_sgpr_kernarg_segment_ptr 1
		.amdhsa_user_sgpr_dispatch_id 0
		.amdhsa_user_sgpr_kernarg_preload_length 0
		.amdhsa_user_sgpr_kernarg_preload_offset 0
		.amdhsa_user_sgpr_private_segment_size 0
		.amdhsa_wavefront_size32 1
		.amdhsa_uses_dynamic_stack 0
		.amdhsa_enable_private_segment 0
		.amdhsa_system_sgpr_workgroup_id_x 1
		.amdhsa_system_sgpr_workgroup_id_y 0
		.amdhsa_system_sgpr_workgroup_id_z 0
		.amdhsa_system_sgpr_workgroup_info 0
		.amdhsa_system_vgpr_workitem_id 2
		.amdhsa_next_free_vgpr 57
		.amdhsa_next_free_sgpr 31
		.amdhsa_named_barrier_count 0
		.amdhsa_reserve_vcc 1
		.amdhsa_float_round_mode_32 0
		.amdhsa_float_round_mode_16_64 0
		.amdhsa_float_denorm_mode_32 3
		.amdhsa_float_denorm_mode_16_64 3
		.amdhsa_fp16_overflow 0
		.amdhsa_memory_ordered 1
		.amdhsa_forward_progress 1
		.amdhsa_inst_pref_size 100
		.amdhsa_round_robin_scheduling 0
		.amdhsa_exception_fp_ieee_invalid_op 0
		.amdhsa_exception_fp_denorm_src 0
		.amdhsa_exception_fp_ieee_div_zero 0
		.amdhsa_exception_fp_ieee_overflow 0
		.amdhsa_exception_fp_ieee_underflow 0
		.amdhsa_exception_fp_ieee_inexact 0
		.amdhsa_exception_int_div_zero 0
	.end_amdhsa_kernel
	.section	.text._ZN7rocprim17ROCPRIM_400000_NS6detail17trampoline_kernelINS0_14default_configENS1_35radix_sort_onesweep_config_selectorIdNS0_10empty_typeEEEZZNS1_29radix_sort_onesweep_iterationIS3_Lb0EPKdPdPS5_SB_mNS0_19identity_decomposerENS1_16block_id_wrapperIjLb1EEEEE10hipError_tT1_PNSt15iterator_traitsISG_E10value_typeET2_T3_PNSH_ISM_E10value_typeET4_T5_PSR_SS_PNS1_23onesweep_lookback_stateEbbT6_jjT7_P12ihipStream_tbENKUlT_T0_SG_SL_E_clISA_SA_SB_SB_EEDaSZ_S10_SG_SL_EUlSZ_E_NS1_11comp_targetILNS1_3genE0ELNS1_11target_archE4294967295ELNS1_3gpuE0ELNS1_3repE0EEENS1_47radix_sort_onesweep_sort_config_static_selectorELNS0_4arch9wavefront6targetE0EEEvSG_,"axG",@progbits,_ZN7rocprim17ROCPRIM_400000_NS6detail17trampoline_kernelINS0_14default_configENS1_35radix_sort_onesweep_config_selectorIdNS0_10empty_typeEEEZZNS1_29radix_sort_onesweep_iterationIS3_Lb0EPKdPdPS5_SB_mNS0_19identity_decomposerENS1_16block_id_wrapperIjLb1EEEEE10hipError_tT1_PNSt15iterator_traitsISG_E10value_typeET2_T3_PNSH_ISM_E10value_typeET4_T5_PSR_SS_PNS1_23onesweep_lookback_stateEbbT6_jjT7_P12ihipStream_tbENKUlT_T0_SG_SL_E_clISA_SA_SB_SB_EEDaSZ_S10_SG_SL_EUlSZ_E_NS1_11comp_targetILNS1_3genE0ELNS1_11target_archE4294967295ELNS1_3gpuE0ELNS1_3repE0EEENS1_47radix_sort_onesweep_sort_config_static_selectorELNS0_4arch9wavefront6targetE0EEEvSG_,comdat
.Lfunc_end1614:
	.size	_ZN7rocprim17ROCPRIM_400000_NS6detail17trampoline_kernelINS0_14default_configENS1_35radix_sort_onesweep_config_selectorIdNS0_10empty_typeEEEZZNS1_29radix_sort_onesweep_iterationIS3_Lb0EPKdPdPS5_SB_mNS0_19identity_decomposerENS1_16block_id_wrapperIjLb1EEEEE10hipError_tT1_PNSt15iterator_traitsISG_E10value_typeET2_T3_PNSH_ISM_E10value_typeET4_T5_PSR_SS_PNS1_23onesweep_lookback_stateEbbT6_jjT7_P12ihipStream_tbENKUlT_T0_SG_SL_E_clISA_SA_SB_SB_EEDaSZ_S10_SG_SL_EUlSZ_E_NS1_11comp_targetILNS1_3genE0ELNS1_11target_archE4294967295ELNS1_3gpuE0ELNS1_3repE0EEENS1_47radix_sort_onesweep_sort_config_static_selectorELNS0_4arch9wavefront6targetE0EEEvSG_, .Lfunc_end1614-_ZN7rocprim17ROCPRIM_400000_NS6detail17trampoline_kernelINS0_14default_configENS1_35radix_sort_onesweep_config_selectorIdNS0_10empty_typeEEEZZNS1_29radix_sort_onesweep_iterationIS3_Lb0EPKdPdPS5_SB_mNS0_19identity_decomposerENS1_16block_id_wrapperIjLb1EEEEE10hipError_tT1_PNSt15iterator_traitsISG_E10value_typeET2_T3_PNSH_ISM_E10value_typeET4_T5_PSR_SS_PNS1_23onesweep_lookback_stateEbbT6_jjT7_P12ihipStream_tbENKUlT_T0_SG_SL_E_clISA_SA_SB_SB_EEDaSZ_S10_SG_SL_EUlSZ_E_NS1_11comp_targetILNS1_3genE0ELNS1_11target_archE4294967295ELNS1_3gpuE0ELNS1_3repE0EEENS1_47radix_sort_onesweep_sort_config_static_selectorELNS0_4arch9wavefront6targetE0EEEvSG_
                                        ; -- End function
	.set _ZN7rocprim17ROCPRIM_400000_NS6detail17trampoline_kernelINS0_14default_configENS1_35radix_sort_onesweep_config_selectorIdNS0_10empty_typeEEEZZNS1_29radix_sort_onesweep_iterationIS3_Lb0EPKdPdPS5_SB_mNS0_19identity_decomposerENS1_16block_id_wrapperIjLb1EEEEE10hipError_tT1_PNSt15iterator_traitsISG_E10value_typeET2_T3_PNSH_ISM_E10value_typeET4_T5_PSR_SS_PNS1_23onesweep_lookback_stateEbbT6_jjT7_P12ihipStream_tbENKUlT_T0_SG_SL_E_clISA_SA_SB_SB_EEDaSZ_S10_SG_SL_EUlSZ_E_NS1_11comp_targetILNS1_3genE0ELNS1_11target_archE4294967295ELNS1_3gpuE0ELNS1_3repE0EEENS1_47radix_sort_onesweep_sort_config_static_selectorELNS0_4arch9wavefront6targetE0EEEvSG_.num_vgpr, 57
	.set _ZN7rocprim17ROCPRIM_400000_NS6detail17trampoline_kernelINS0_14default_configENS1_35radix_sort_onesweep_config_selectorIdNS0_10empty_typeEEEZZNS1_29radix_sort_onesweep_iterationIS3_Lb0EPKdPdPS5_SB_mNS0_19identity_decomposerENS1_16block_id_wrapperIjLb1EEEEE10hipError_tT1_PNSt15iterator_traitsISG_E10value_typeET2_T3_PNSH_ISM_E10value_typeET4_T5_PSR_SS_PNS1_23onesweep_lookback_stateEbbT6_jjT7_P12ihipStream_tbENKUlT_T0_SG_SL_E_clISA_SA_SB_SB_EEDaSZ_S10_SG_SL_EUlSZ_E_NS1_11comp_targetILNS1_3genE0ELNS1_11target_archE4294967295ELNS1_3gpuE0ELNS1_3repE0EEENS1_47radix_sort_onesweep_sort_config_static_selectorELNS0_4arch9wavefront6targetE0EEEvSG_.num_agpr, 0
	.set _ZN7rocprim17ROCPRIM_400000_NS6detail17trampoline_kernelINS0_14default_configENS1_35radix_sort_onesweep_config_selectorIdNS0_10empty_typeEEEZZNS1_29radix_sort_onesweep_iterationIS3_Lb0EPKdPdPS5_SB_mNS0_19identity_decomposerENS1_16block_id_wrapperIjLb1EEEEE10hipError_tT1_PNSt15iterator_traitsISG_E10value_typeET2_T3_PNSH_ISM_E10value_typeET4_T5_PSR_SS_PNS1_23onesweep_lookback_stateEbbT6_jjT7_P12ihipStream_tbENKUlT_T0_SG_SL_E_clISA_SA_SB_SB_EEDaSZ_S10_SG_SL_EUlSZ_E_NS1_11comp_targetILNS1_3genE0ELNS1_11target_archE4294967295ELNS1_3gpuE0ELNS1_3repE0EEENS1_47radix_sort_onesweep_sort_config_static_selectorELNS0_4arch9wavefront6targetE0EEEvSG_.numbered_sgpr, 31
	.set _ZN7rocprim17ROCPRIM_400000_NS6detail17trampoline_kernelINS0_14default_configENS1_35radix_sort_onesweep_config_selectorIdNS0_10empty_typeEEEZZNS1_29radix_sort_onesweep_iterationIS3_Lb0EPKdPdPS5_SB_mNS0_19identity_decomposerENS1_16block_id_wrapperIjLb1EEEEE10hipError_tT1_PNSt15iterator_traitsISG_E10value_typeET2_T3_PNSH_ISM_E10value_typeET4_T5_PSR_SS_PNS1_23onesweep_lookback_stateEbbT6_jjT7_P12ihipStream_tbENKUlT_T0_SG_SL_E_clISA_SA_SB_SB_EEDaSZ_S10_SG_SL_EUlSZ_E_NS1_11comp_targetILNS1_3genE0ELNS1_11target_archE4294967295ELNS1_3gpuE0ELNS1_3repE0EEENS1_47radix_sort_onesweep_sort_config_static_selectorELNS0_4arch9wavefront6targetE0EEEvSG_.num_named_barrier, 0
	.set _ZN7rocprim17ROCPRIM_400000_NS6detail17trampoline_kernelINS0_14default_configENS1_35radix_sort_onesweep_config_selectorIdNS0_10empty_typeEEEZZNS1_29radix_sort_onesweep_iterationIS3_Lb0EPKdPdPS5_SB_mNS0_19identity_decomposerENS1_16block_id_wrapperIjLb1EEEEE10hipError_tT1_PNSt15iterator_traitsISG_E10value_typeET2_T3_PNSH_ISM_E10value_typeET4_T5_PSR_SS_PNS1_23onesweep_lookback_stateEbbT6_jjT7_P12ihipStream_tbENKUlT_T0_SG_SL_E_clISA_SA_SB_SB_EEDaSZ_S10_SG_SL_EUlSZ_E_NS1_11comp_targetILNS1_3genE0ELNS1_11target_archE4294967295ELNS1_3gpuE0ELNS1_3repE0EEENS1_47radix_sort_onesweep_sort_config_static_selectorELNS0_4arch9wavefront6targetE0EEEvSG_.private_seg_size, 0
	.set _ZN7rocprim17ROCPRIM_400000_NS6detail17trampoline_kernelINS0_14default_configENS1_35radix_sort_onesweep_config_selectorIdNS0_10empty_typeEEEZZNS1_29radix_sort_onesweep_iterationIS3_Lb0EPKdPdPS5_SB_mNS0_19identity_decomposerENS1_16block_id_wrapperIjLb1EEEEE10hipError_tT1_PNSt15iterator_traitsISG_E10value_typeET2_T3_PNSH_ISM_E10value_typeET4_T5_PSR_SS_PNS1_23onesweep_lookback_stateEbbT6_jjT7_P12ihipStream_tbENKUlT_T0_SG_SL_E_clISA_SA_SB_SB_EEDaSZ_S10_SG_SL_EUlSZ_E_NS1_11comp_targetILNS1_3genE0ELNS1_11target_archE4294967295ELNS1_3gpuE0ELNS1_3repE0EEENS1_47radix_sort_onesweep_sort_config_static_selectorELNS0_4arch9wavefront6targetE0EEEvSG_.uses_vcc, 1
	.set _ZN7rocprim17ROCPRIM_400000_NS6detail17trampoline_kernelINS0_14default_configENS1_35radix_sort_onesweep_config_selectorIdNS0_10empty_typeEEEZZNS1_29radix_sort_onesweep_iterationIS3_Lb0EPKdPdPS5_SB_mNS0_19identity_decomposerENS1_16block_id_wrapperIjLb1EEEEE10hipError_tT1_PNSt15iterator_traitsISG_E10value_typeET2_T3_PNSH_ISM_E10value_typeET4_T5_PSR_SS_PNS1_23onesweep_lookback_stateEbbT6_jjT7_P12ihipStream_tbENKUlT_T0_SG_SL_E_clISA_SA_SB_SB_EEDaSZ_S10_SG_SL_EUlSZ_E_NS1_11comp_targetILNS1_3genE0ELNS1_11target_archE4294967295ELNS1_3gpuE0ELNS1_3repE0EEENS1_47radix_sort_onesweep_sort_config_static_selectorELNS0_4arch9wavefront6targetE0EEEvSG_.uses_flat_scratch, 0
	.set _ZN7rocprim17ROCPRIM_400000_NS6detail17trampoline_kernelINS0_14default_configENS1_35radix_sort_onesweep_config_selectorIdNS0_10empty_typeEEEZZNS1_29radix_sort_onesweep_iterationIS3_Lb0EPKdPdPS5_SB_mNS0_19identity_decomposerENS1_16block_id_wrapperIjLb1EEEEE10hipError_tT1_PNSt15iterator_traitsISG_E10value_typeET2_T3_PNSH_ISM_E10value_typeET4_T5_PSR_SS_PNS1_23onesweep_lookback_stateEbbT6_jjT7_P12ihipStream_tbENKUlT_T0_SG_SL_E_clISA_SA_SB_SB_EEDaSZ_S10_SG_SL_EUlSZ_E_NS1_11comp_targetILNS1_3genE0ELNS1_11target_archE4294967295ELNS1_3gpuE0ELNS1_3repE0EEENS1_47radix_sort_onesweep_sort_config_static_selectorELNS0_4arch9wavefront6targetE0EEEvSG_.has_dyn_sized_stack, 0
	.set _ZN7rocprim17ROCPRIM_400000_NS6detail17trampoline_kernelINS0_14default_configENS1_35radix_sort_onesweep_config_selectorIdNS0_10empty_typeEEEZZNS1_29radix_sort_onesweep_iterationIS3_Lb0EPKdPdPS5_SB_mNS0_19identity_decomposerENS1_16block_id_wrapperIjLb1EEEEE10hipError_tT1_PNSt15iterator_traitsISG_E10value_typeET2_T3_PNSH_ISM_E10value_typeET4_T5_PSR_SS_PNS1_23onesweep_lookback_stateEbbT6_jjT7_P12ihipStream_tbENKUlT_T0_SG_SL_E_clISA_SA_SB_SB_EEDaSZ_S10_SG_SL_EUlSZ_E_NS1_11comp_targetILNS1_3genE0ELNS1_11target_archE4294967295ELNS1_3gpuE0ELNS1_3repE0EEENS1_47radix_sort_onesweep_sort_config_static_selectorELNS0_4arch9wavefront6targetE0EEEvSG_.has_recursion, 0
	.set _ZN7rocprim17ROCPRIM_400000_NS6detail17trampoline_kernelINS0_14default_configENS1_35radix_sort_onesweep_config_selectorIdNS0_10empty_typeEEEZZNS1_29radix_sort_onesweep_iterationIS3_Lb0EPKdPdPS5_SB_mNS0_19identity_decomposerENS1_16block_id_wrapperIjLb1EEEEE10hipError_tT1_PNSt15iterator_traitsISG_E10value_typeET2_T3_PNSH_ISM_E10value_typeET4_T5_PSR_SS_PNS1_23onesweep_lookback_stateEbbT6_jjT7_P12ihipStream_tbENKUlT_T0_SG_SL_E_clISA_SA_SB_SB_EEDaSZ_S10_SG_SL_EUlSZ_E_NS1_11comp_targetILNS1_3genE0ELNS1_11target_archE4294967295ELNS1_3gpuE0ELNS1_3repE0EEENS1_47radix_sort_onesweep_sort_config_static_selectorELNS0_4arch9wavefront6targetE0EEEvSG_.has_indirect_call, 0
	.section	.AMDGPU.csdata,"",@progbits
; Kernel info:
; codeLenInByte = 12764
; TotalNumSgprs: 33
; NumVgprs: 57
; ScratchSize: 0
; MemoryBound: 0
; FloatMode: 240
; IeeeMode: 1
; LDSByteSize: 18504 bytes/workgroup (compile time only)
; SGPRBlocks: 0
; VGPRBlocks: 3
; NumSGPRsForWavesPerEU: 33
; NumVGPRsForWavesPerEU: 57
; NamedBarCnt: 0
; Occupancy: 16
; WaveLimiterHint : 1
; COMPUTE_PGM_RSRC2:SCRATCH_EN: 0
; COMPUTE_PGM_RSRC2:USER_SGPR: 2
; COMPUTE_PGM_RSRC2:TRAP_HANDLER: 0
; COMPUTE_PGM_RSRC2:TGID_X_EN: 1
; COMPUTE_PGM_RSRC2:TGID_Y_EN: 0
; COMPUTE_PGM_RSRC2:TGID_Z_EN: 0
; COMPUTE_PGM_RSRC2:TIDIG_COMP_CNT: 2
	.section	.text._ZN7rocprim17ROCPRIM_400000_NS6detail17trampoline_kernelINS0_14default_configENS1_35radix_sort_onesweep_config_selectorIdNS0_10empty_typeEEEZZNS1_29radix_sort_onesweep_iterationIS3_Lb0EPKdPdPS5_SB_mNS0_19identity_decomposerENS1_16block_id_wrapperIjLb1EEEEE10hipError_tT1_PNSt15iterator_traitsISG_E10value_typeET2_T3_PNSH_ISM_E10value_typeET4_T5_PSR_SS_PNS1_23onesweep_lookback_stateEbbT6_jjT7_P12ihipStream_tbENKUlT_T0_SG_SL_E_clISA_SA_SB_SB_EEDaSZ_S10_SG_SL_EUlSZ_E_NS1_11comp_targetILNS1_3genE6ELNS1_11target_archE950ELNS1_3gpuE13ELNS1_3repE0EEENS1_47radix_sort_onesweep_sort_config_static_selectorELNS0_4arch9wavefront6targetE0EEEvSG_,"axG",@progbits,_ZN7rocprim17ROCPRIM_400000_NS6detail17trampoline_kernelINS0_14default_configENS1_35radix_sort_onesweep_config_selectorIdNS0_10empty_typeEEEZZNS1_29radix_sort_onesweep_iterationIS3_Lb0EPKdPdPS5_SB_mNS0_19identity_decomposerENS1_16block_id_wrapperIjLb1EEEEE10hipError_tT1_PNSt15iterator_traitsISG_E10value_typeET2_T3_PNSH_ISM_E10value_typeET4_T5_PSR_SS_PNS1_23onesweep_lookback_stateEbbT6_jjT7_P12ihipStream_tbENKUlT_T0_SG_SL_E_clISA_SA_SB_SB_EEDaSZ_S10_SG_SL_EUlSZ_E_NS1_11comp_targetILNS1_3genE6ELNS1_11target_archE950ELNS1_3gpuE13ELNS1_3repE0EEENS1_47radix_sort_onesweep_sort_config_static_selectorELNS0_4arch9wavefront6targetE0EEEvSG_,comdat
	.protected	_ZN7rocprim17ROCPRIM_400000_NS6detail17trampoline_kernelINS0_14default_configENS1_35radix_sort_onesweep_config_selectorIdNS0_10empty_typeEEEZZNS1_29radix_sort_onesweep_iterationIS3_Lb0EPKdPdPS5_SB_mNS0_19identity_decomposerENS1_16block_id_wrapperIjLb1EEEEE10hipError_tT1_PNSt15iterator_traitsISG_E10value_typeET2_T3_PNSH_ISM_E10value_typeET4_T5_PSR_SS_PNS1_23onesweep_lookback_stateEbbT6_jjT7_P12ihipStream_tbENKUlT_T0_SG_SL_E_clISA_SA_SB_SB_EEDaSZ_S10_SG_SL_EUlSZ_E_NS1_11comp_targetILNS1_3genE6ELNS1_11target_archE950ELNS1_3gpuE13ELNS1_3repE0EEENS1_47radix_sort_onesweep_sort_config_static_selectorELNS0_4arch9wavefront6targetE0EEEvSG_ ; -- Begin function _ZN7rocprim17ROCPRIM_400000_NS6detail17trampoline_kernelINS0_14default_configENS1_35radix_sort_onesweep_config_selectorIdNS0_10empty_typeEEEZZNS1_29radix_sort_onesweep_iterationIS3_Lb0EPKdPdPS5_SB_mNS0_19identity_decomposerENS1_16block_id_wrapperIjLb1EEEEE10hipError_tT1_PNSt15iterator_traitsISG_E10value_typeET2_T3_PNSH_ISM_E10value_typeET4_T5_PSR_SS_PNS1_23onesweep_lookback_stateEbbT6_jjT7_P12ihipStream_tbENKUlT_T0_SG_SL_E_clISA_SA_SB_SB_EEDaSZ_S10_SG_SL_EUlSZ_E_NS1_11comp_targetILNS1_3genE6ELNS1_11target_archE950ELNS1_3gpuE13ELNS1_3repE0EEENS1_47radix_sort_onesweep_sort_config_static_selectorELNS0_4arch9wavefront6targetE0EEEvSG_
	.globl	_ZN7rocprim17ROCPRIM_400000_NS6detail17trampoline_kernelINS0_14default_configENS1_35radix_sort_onesweep_config_selectorIdNS0_10empty_typeEEEZZNS1_29radix_sort_onesweep_iterationIS3_Lb0EPKdPdPS5_SB_mNS0_19identity_decomposerENS1_16block_id_wrapperIjLb1EEEEE10hipError_tT1_PNSt15iterator_traitsISG_E10value_typeET2_T3_PNSH_ISM_E10value_typeET4_T5_PSR_SS_PNS1_23onesweep_lookback_stateEbbT6_jjT7_P12ihipStream_tbENKUlT_T0_SG_SL_E_clISA_SA_SB_SB_EEDaSZ_S10_SG_SL_EUlSZ_E_NS1_11comp_targetILNS1_3genE6ELNS1_11target_archE950ELNS1_3gpuE13ELNS1_3repE0EEENS1_47radix_sort_onesweep_sort_config_static_selectorELNS0_4arch9wavefront6targetE0EEEvSG_
	.p2align	8
	.type	_ZN7rocprim17ROCPRIM_400000_NS6detail17trampoline_kernelINS0_14default_configENS1_35radix_sort_onesweep_config_selectorIdNS0_10empty_typeEEEZZNS1_29radix_sort_onesweep_iterationIS3_Lb0EPKdPdPS5_SB_mNS0_19identity_decomposerENS1_16block_id_wrapperIjLb1EEEEE10hipError_tT1_PNSt15iterator_traitsISG_E10value_typeET2_T3_PNSH_ISM_E10value_typeET4_T5_PSR_SS_PNS1_23onesweep_lookback_stateEbbT6_jjT7_P12ihipStream_tbENKUlT_T0_SG_SL_E_clISA_SA_SB_SB_EEDaSZ_S10_SG_SL_EUlSZ_E_NS1_11comp_targetILNS1_3genE6ELNS1_11target_archE950ELNS1_3gpuE13ELNS1_3repE0EEENS1_47radix_sort_onesweep_sort_config_static_selectorELNS0_4arch9wavefront6targetE0EEEvSG_,@function
_ZN7rocprim17ROCPRIM_400000_NS6detail17trampoline_kernelINS0_14default_configENS1_35radix_sort_onesweep_config_selectorIdNS0_10empty_typeEEEZZNS1_29radix_sort_onesweep_iterationIS3_Lb0EPKdPdPS5_SB_mNS0_19identity_decomposerENS1_16block_id_wrapperIjLb1EEEEE10hipError_tT1_PNSt15iterator_traitsISG_E10value_typeET2_T3_PNSH_ISM_E10value_typeET4_T5_PSR_SS_PNS1_23onesweep_lookback_stateEbbT6_jjT7_P12ihipStream_tbENKUlT_T0_SG_SL_E_clISA_SA_SB_SB_EEDaSZ_S10_SG_SL_EUlSZ_E_NS1_11comp_targetILNS1_3genE6ELNS1_11target_archE950ELNS1_3gpuE13ELNS1_3repE0EEENS1_47radix_sort_onesweep_sort_config_static_selectorELNS0_4arch9wavefront6targetE0EEEvSG_: ; @_ZN7rocprim17ROCPRIM_400000_NS6detail17trampoline_kernelINS0_14default_configENS1_35radix_sort_onesweep_config_selectorIdNS0_10empty_typeEEEZZNS1_29radix_sort_onesweep_iterationIS3_Lb0EPKdPdPS5_SB_mNS0_19identity_decomposerENS1_16block_id_wrapperIjLb1EEEEE10hipError_tT1_PNSt15iterator_traitsISG_E10value_typeET2_T3_PNSH_ISM_E10value_typeET4_T5_PSR_SS_PNS1_23onesweep_lookback_stateEbbT6_jjT7_P12ihipStream_tbENKUlT_T0_SG_SL_E_clISA_SA_SB_SB_EEDaSZ_S10_SG_SL_EUlSZ_E_NS1_11comp_targetILNS1_3genE6ELNS1_11target_archE950ELNS1_3gpuE13ELNS1_3repE0EEENS1_47radix_sort_onesweep_sort_config_static_selectorELNS0_4arch9wavefront6targetE0EEEvSG_
; %bb.0:
	.section	.rodata,"a",@progbits
	.p2align	6, 0x0
	.amdhsa_kernel _ZN7rocprim17ROCPRIM_400000_NS6detail17trampoline_kernelINS0_14default_configENS1_35radix_sort_onesweep_config_selectorIdNS0_10empty_typeEEEZZNS1_29radix_sort_onesweep_iterationIS3_Lb0EPKdPdPS5_SB_mNS0_19identity_decomposerENS1_16block_id_wrapperIjLb1EEEEE10hipError_tT1_PNSt15iterator_traitsISG_E10value_typeET2_T3_PNSH_ISM_E10value_typeET4_T5_PSR_SS_PNS1_23onesweep_lookback_stateEbbT6_jjT7_P12ihipStream_tbENKUlT_T0_SG_SL_E_clISA_SA_SB_SB_EEDaSZ_S10_SG_SL_EUlSZ_E_NS1_11comp_targetILNS1_3genE6ELNS1_11target_archE950ELNS1_3gpuE13ELNS1_3repE0EEENS1_47radix_sort_onesweep_sort_config_static_selectorELNS0_4arch9wavefront6targetE0EEEvSG_
		.amdhsa_group_segment_fixed_size 0
		.amdhsa_private_segment_fixed_size 0
		.amdhsa_kernarg_size 88
		.amdhsa_user_sgpr_count 2
		.amdhsa_user_sgpr_dispatch_ptr 0
		.amdhsa_user_sgpr_queue_ptr 0
		.amdhsa_user_sgpr_kernarg_segment_ptr 1
		.amdhsa_user_sgpr_dispatch_id 0
		.amdhsa_user_sgpr_kernarg_preload_length 0
		.amdhsa_user_sgpr_kernarg_preload_offset 0
		.amdhsa_user_sgpr_private_segment_size 0
		.amdhsa_wavefront_size32 1
		.amdhsa_uses_dynamic_stack 0
		.amdhsa_enable_private_segment 0
		.amdhsa_system_sgpr_workgroup_id_x 1
		.amdhsa_system_sgpr_workgroup_id_y 0
		.amdhsa_system_sgpr_workgroup_id_z 0
		.amdhsa_system_sgpr_workgroup_info 0
		.amdhsa_system_vgpr_workitem_id 0
		.amdhsa_next_free_vgpr 1
		.amdhsa_next_free_sgpr 1
		.amdhsa_named_barrier_count 0
		.amdhsa_reserve_vcc 0
		.amdhsa_float_round_mode_32 0
		.amdhsa_float_round_mode_16_64 0
		.amdhsa_float_denorm_mode_32 3
		.amdhsa_float_denorm_mode_16_64 3
		.amdhsa_fp16_overflow 0
		.amdhsa_memory_ordered 1
		.amdhsa_forward_progress 1
		.amdhsa_inst_pref_size 0
		.amdhsa_round_robin_scheduling 0
		.amdhsa_exception_fp_ieee_invalid_op 0
		.amdhsa_exception_fp_denorm_src 0
		.amdhsa_exception_fp_ieee_div_zero 0
		.amdhsa_exception_fp_ieee_overflow 0
		.amdhsa_exception_fp_ieee_underflow 0
		.amdhsa_exception_fp_ieee_inexact 0
		.amdhsa_exception_int_div_zero 0
	.end_amdhsa_kernel
	.section	.text._ZN7rocprim17ROCPRIM_400000_NS6detail17trampoline_kernelINS0_14default_configENS1_35radix_sort_onesweep_config_selectorIdNS0_10empty_typeEEEZZNS1_29radix_sort_onesweep_iterationIS3_Lb0EPKdPdPS5_SB_mNS0_19identity_decomposerENS1_16block_id_wrapperIjLb1EEEEE10hipError_tT1_PNSt15iterator_traitsISG_E10value_typeET2_T3_PNSH_ISM_E10value_typeET4_T5_PSR_SS_PNS1_23onesweep_lookback_stateEbbT6_jjT7_P12ihipStream_tbENKUlT_T0_SG_SL_E_clISA_SA_SB_SB_EEDaSZ_S10_SG_SL_EUlSZ_E_NS1_11comp_targetILNS1_3genE6ELNS1_11target_archE950ELNS1_3gpuE13ELNS1_3repE0EEENS1_47radix_sort_onesweep_sort_config_static_selectorELNS0_4arch9wavefront6targetE0EEEvSG_,"axG",@progbits,_ZN7rocprim17ROCPRIM_400000_NS6detail17trampoline_kernelINS0_14default_configENS1_35radix_sort_onesweep_config_selectorIdNS0_10empty_typeEEEZZNS1_29radix_sort_onesweep_iterationIS3_Lb0EPKdPdPS5_SB_mNS0_19identity_decomposerENS1_16block_id_wrapperIjLb1EEEEE10hipError_tT1_PNSt15iterator_traitsISG_E10value_typeET2_T3_PNSH_ISM_E10value_typeET4_T5_PSR_SS_PNS1_23onesweep_lookback_stateEbbT6_jjT7_P12ihipStream_tbENKUlT_T0_SG_SL_E_clISA_SA_SB_SB_EEDaSZ_S10_SG_SL_EUlSZ_E_NS1_11comp_targetILNS1_3genE6ELNS1_11target_archE950ELNS1_3gpuE13ELNS1_3repE0EEENS1_47radix_sort_onesweep_sort_config_static_selectorELNS0_4arch9wavefront6targetE0EEEvSG_,comdat
.Lfunc_end1615:
	.size	_ZN7rocprim17ROCPRIM_400000_NS6detail17trampoline_kernelINS0_14default_configENS1_35radix_sort_onesweep_config_selectorIdNS0_10empty_typeEEEZZNS1_29radix_sort_onesweep_iterationIS3_Lb0EPKdPdPS5_SB_mNS0_19identity_decomposerENS1_16block_id_wrapperIjLb1EEEEE10hipError_tT1_PNSt15iterator_traitsISG_E10value_typeET2_T3_PNSH_ISM_E10value_typeET4_T5_PSR_SS_PNS1_23onesweep_lookback_stateEbbT6_jjT7_P12ihipStream_tbENKUlT_T0_SG_SL_E_clISA_SA_SB_SB_EEDaSZ_S10_SG_SL_EUlSZ_E_NS1_11comp_targetILNS1_3genE6ELNS1_11target_archE950ELNS1_3gpuE13ELNS1_3repE0EEENS1_47radix_sort_onesweep_sort_config_static_selectorELNS0_4arch9wavefront6targetE0EEEvSG_, .Lfunc_end1615-_ZN7rocprim17ROCPRIM_400000_NS6detail17trampoline_kernelINS0_14default_configENS1_35radix_sort_onesweep_config_selectorIdNS0_10empty_typeEEEZZNS1_29radix_sort_onesweep_iterationIS3_Lb0EPKdPdPS5_SB_mNS0_19identity_decomposerENS1_16block_id_wrapperIjLb1EEEEE10hipError_tT1_PNSt15iterator_traitsISG_E10value_typeET2_T3_PNSH_ISM_E10value_typeET4_T5_PSR_SS_PNS1_23onesweep_lookback_stateEbbT6_jjT7_P12ihipStream_tbENKUlT_T0_SG_SL_E_clISA_SA_SB_SB_EEDaSZ_S10_SG_SL_EUlSZ_E_NS1_11comp_targetILNS1_3genE6ELNS1_11target_archE950ELNS1_3gpuE13ELNS1_3repE0EEENS1_47radix_sort_onesweep_sort_config_static_selectorELNS0_4arch9wavefront6targetE0EEEvSG_
                                        ; -- End function
	.set _ZN7rocprim17ROCPRIM_400000_NS6detail17trampoline_kernelINS0_14default_configENS1_35radix_sort_onesweep_config_selectorIdNS0_10empty_typeEEEZZNS1_29radix_sort_onesweep_iterationIS3_Lb0EPKdPdPS5_SB_mNS0_19identity_decomposerENS1_16block_id_wrapperIjLb1EEEEE10hipError_tT1_PNSt15iterator_traitsISG_E10value_typeET2_T3_PNSH_ISM_E10value_typeET4_T5_PSR_SS_PNS1_23onesweep_lookback_stateEbbT6_jjT7_P12ihipStream_tbENKUlT_T0_SG_SL_E_clISA_SA_SB_SB_EEDaSZ_S10_SG_SL_EUlSZ_E_NS1_11comp_targetILNS1_3genE6ELNS1_11target_archE950ELNS1_3gpuE13ELNS1_3repE0EEENS1_47radix_sort_onesweep_sort_config_static_selectorELNS0_4arch9wavefront6targetE0EEEvSG_.num_vgpr, 0
	.set _ZN7rocprim17ROCPRIM_400000_NS6detail17trampoline_kernelINS0_14default_configENS1_35radix_sort_onesweep_config_selectorIdNS0_10empty_typeEEEZZNS1_29radix_sort_onesweep_iterationIS3_Lb0EPKdPdPS5_SB_mNS0_19identity_decomposerENS1_16block_id_wrapperIjLb1EEEEE10hipError_tT1_PNSt15iterator_traitsISG_E10value_typeET2_T3_PNSH_ISM_E10value_typeET4_T5_PSR_SS_PNS1_23onesweep_lookback_stateEbbT6_jjT7_P12ihipStream_tbENKUlT_T0_SG_SL_E_clISA_SA_SB_SB_EEDaSZ_S10_SG_SL_EUlSZ_E_NS1_11comp_targetILNS1_3genE6ELNS1_11target_archE950ELNS1_3gpuE13ELNS1_3repE0EEENS1_47radix_sort_onesweep_sort_config_static_selectorELNS0_4arch9wavefront6targetE0EEEvSG_.num_agpr, 0
	.set _ZN7rocprim17ROCPRIM_400000_NS6detail17trampoline_kernelINS0_14default_configENS1_35radix_sort_onesweep_config_selectorIdNS0_10empty_typeEEEZZNS1_29radix_sort_onesweep_iterationIS3_Lb0EPKdPdPS5_SB_mNS0_19identity_decomposerENS1_16block_id_wrapperIjLb1EEEEE10hipError_tT1_PNSt15iterator_traitsISG_E10value_typeET2_T3_PNSH_ISM_E10value_typeET4_T5_PSR_SS_PNS1_23onesweep_lookback_stateEbbT6_jjT7_P12ihipStream_tbENKUlT_T0_SG_SL_E_clISA_SA_SB_SB_EEDaSZ_S10_SG_SL_EUlSZ_E_NS1_11comp_targetILNS1_3genE6ELNS1_11target_archE950ELNS1_3gpuE13ELNS1_3repE0EEENS1_47radix_sort_onesweep_sort_config_static_selectorELNS0_4arch9wavefront6targetE0EEEvSG_.numbered_sgpr, 0
	.set _ZN7rocprim17ROCPRIM_400000_NS6detail17trampoline_kernelINS0_14default_configENS1_35radix_sort_onesweep_config_selectorIdNS0_10empty_typeEEEZZNS1_29radix_sort_onesweep_iterationIS3_Lb0EPKdPdPS5_SB_mNS0_19identity_decomposerENS1_16block_id_wrapperIjLb1EEEEE10hipError_tT1_PNSt15iterator_traitsISG_E10value_typeET2_T3_PNSH_ISM_E10value_typeET4_T5_PSR_SS_PNS1_23onesweep_lookback_stateEbbT6_jjT7_P12ihipStream_tbENKUlT_T0_SG_SL_E_clISA_SA_SB_SB_EEDaSZ_S10_SG_SL_EUlSZ_E_NS1_11comp_targetILNS1_3genE6ELNS1_11target_archE950ELNS1_3gpuE13ELNS1_3repE0EEENS1_47radix_sort_onesweep_sort_config_static_selectorELNS0_4arch9wavefront6targetE0EEEvSG_.num_named_barrier, 0
	.set _ZN7rocprim17ROCPRIM_400000_NS6detail17trampoline_kernelINS0_14default_configENS1_35radix_sort_onesweep_config_selectorIdNS0_10empty_typeEEEZZNS1_29radix_sort_onesweep_iterationIS3_Lb0EPKdPdPS5_SB_mNS0_19identity_decomposerENS1_16block_id_wrapperIjLb1EEEEE10hipError_tT1_PNSt15iterator_traitsISG_E10value_typeET2_T3_PNSH_ISM_E10value_typeET4_T5_PSR_SS_PNS1_23onesweep_lookback_stateEbbT6_jjT7_P12ihipStream_tbENKUlT_T0_SG_SL_E_clISA_SA_SB_SB_EEDaSZ_S10_SG_SL_EUlSZ_E_NS1_11comp_targetILNS1_3genE6ELNS1_11target_archE950ELNS1_3gpuE13ELNS1_3repE0EEENS1_47radix_sort_onesweep_sort_config_static_selectorELNS0_4arch9wavefront6targetE0EEEvSG_.private_seg_size, 0
	.set _ZN7rocprim17ROCPRIM_400000_NS6detail17trampoline_kernelINS0_14default_configENS1_35radix_sort_onesweep_config_selectorIdNS0_10empty_typeEEEZZNS1_29radix_sort_onesweep_iterationIS3_Lb0EPKdPdPS5_SB_mNS0_19identity_decomposerENS1_16block_id_wrapperIjLb1EEEEE10hipError_tT1_PNSt15iterator_traitsISG_E10value_typeET2_T3_PNSH_ISM_E10value_typeET4_T5_PSR_SS_PNS1_23onesweep_lookback_stateEbbT6_jjT7_P12ihipStream_tbENKUlT_T0_SG_SL_E_clISA_SA_SB_SB_EEDaSZ_S10_SG_SL_EUlSZ_E_NS1_11comp_targetILNS1_3genE6ELNS1_11target_archE950ELNS1_3gpuE13ELNS1_3repE0EEENS1_47radix_sort_onesweep_sort_config_static_selectorELNS0_4arch9wavefront6targetE0EEEvSG_.uses_vcc, 0
	.set _ZN7rocprim17ROCPRIM_400000_NS6detail17trampoline_kernelINS0_14default_configENS1_35radix_sort_onesweep_config_selectorIdNS0_10empty_typeEEEZZNS1_29radix_sort_onesweep_iterationIS3_Lb0EPKdPdPS5_SB_mNS0_19identity_decomposerENS1_16block_id_wrapperIjLb1EEEEE10hipError_tT1_PNSt15iterator_traitsISG_E10value_typeET2_T3_PNSH_ISM_E10value_typeET4_T5_PSR_SS_PNS1_23onesweep_lookback_stateEbbT6_jjT7_P12ihipStream_tbENKUlT_T0_SG_SL_E_clISA_SA_SB_SB_EEDaSZ_S10_SG_SL_EUlSZ_E_NS1_11comp_targetILNS1_3genE6ELNS1_11target_archE950ELNS1_3gpuE13ELNS1_3repE0EEENS1_47radix_sort_onesweep_sort_config_static_selectorELNS0_4arch9wavefront6targetE0EEEvSG_.uses_flat_scratch, 0
	.set _ZN7rocprim17ROCPRIM_400000_NS6detail17trampoline_kernelINS0_14default_configENS1_35radix_sort_onesweep_config_selectorIdNS0_10empty_typeEEEZZNS1_29radix_sort_onesweep_iterationIS3_Lb0EPKdPdPS5_SB_mNS0_19identity_decomposerENS1_16block_id_wrapperIjLb1EEEEE10hipError_tT1_PNSt15iterator_traitsISG_E10value_typeET2_T3_PNSH_ISM_E10value_typeET4_T5_PSR_SS_PNS1_23onesweep_lookback_stateEbbT6_jjT7_P12ihipStream_tbENKUlT_T0_SG_SL_E_clISA_SA_SB_SB_EEDaSZ_S10_SG_SL_EUlSZ_E_NS1_11comp_targetILNS1_3genE6ELNS1_11target_archE950ELNS1_3gpuE13ELNS1_3repE0EEENS1_47radix_sort_onesweep_sort_config_static_selectorELNS0_4arch9wavefront6targetE0EEEvSG_.has_dyn_sized_stack, 0
	.set _ZN7rocprim17ROCPRIM_400000_NS6detail17trampoline_kernelINS0_14default_configENS1_35radix_sort_onesweep_config_selectorIdNS0_10empty_typeEEEZZNS1_29radix_sort_onesweep_iterationIS3_Lb0EPKdPdPS5_SB_mNS0_19identity_decomposerENS1_16block_id_wrapperIjLb1EEEEE10hipError_tT1_PNSt15iterator_traitsISG_E10value_typeET2_T3_PNSH_ISM_E10value_typeET4_T5_PSR_SS_PNS1_23onesweep_lookback_stateEbbT6_jjT7_P12ihipStream_tbENKUlT_T0_SG_SL_E_clISA_SA_SB_SB_EEDaSZ_S10_SG_SL_EUlSZ_E_NS1_11comp_targetILNS1_3genE6ELNS1_11target_archE950ELNS1_3gpuE13ELNS1_3repE0EEENS1_47radix_sort_onesweep_sort_config_static_selectorELNS0_4arch9wavefront6targetE0EEEvSG_.has_recursion, 0
	.set _ZN7rocprim17ROCPRIM_400000_NS6detail17trampoline_kernelINS0_14default_configENS1_35radix_sort_onesweep_config_selectorIdNS0_10empty_typeEEEZZNS1_29radix_sort_onesweep_iterationIS3_Lb0EPKdPdPS5_SB_mNS0_19identity_decomposerENS1_16block_id_wrapperIjLb1EEEEE10hipError_tT1_PNSt15iterator_traitsISG_E10value_typeET2_T3_PNSH_ISM_E10value_typeET4_T5_PSR_SS_PNS1_23onesweep_lookback_stateEbbT6_jjT7_P12ihipStream_tbENKUlT_T0_SG_SL_E_clISA_SA_SB_SB_EEDaSZ_S10_SG_SL_EUlSZ_E_NS1_11comp_targetILNS1_3genE6ELNS1_11target_archE950ELNS1_3gpuE13ELNS1_3repE0EEENS1_47radix_sort_onesweep_sort_config_static_selectorELNS0_4arch9wavefront6targetE0EEEvSG_.has_indirect_call, 0
	.section	.AMDGPU.csdata,"",@progbits
; Kernel info:
; codeLenInByte = 0
; TotalNumSgprs: 0
; NumVgprs: 0
; ScratchSize: 0
; MemoryBound: 0
; FloatMode: 240
; IeeeMode: 1
; LDSByteSize: 0 bytes/workgroup (compile time only)
; SGPRBlocks: 0
; VGPRBlocks: 0
; NumSGPRsForWavesPerEU: 1
; NumVGPRsForWavesPerEU: 1
; NamedBarCnt: 0
; Occupancy: 16
; WaveLimiterHint : 0
; COMPUTE_PGM_RSRC2:SCRATCH_EN: 0
; COMPUTE_PGM_RSRC2:USER_SGPR: 2
; COMPUTE_PGM_RSRC2:TRAP_HANDLER: 0
; COMPUTE_PGM_RSRC2:TGID_X_EN: 1
; COMPUTE_PGM_RSRC2:TGID_Y_EN: 0
; COMPUTE_PGM_RSRC2:TGID_Z_EN: 0
; COMPUTE_PGM_RSRC2:TIDIG_COMP_CNT: 0
	.section	.text._ZN7rocprim17ROCPRIM_400000_NS6detail17trampoline_kernelINS0_14default_configENS1_35radix_sort_onesweep_config_selectorIdNS0_10empty_typeEEEZZNS1_29radix_sort_onesweep_iterationIS3_Lb0EPKdPdPS5_SB_mNS0_19identity_decomposerENS1_16block_id_wrapperIjLb1EEEEE10hipError_tT1_PNSt15iterator_traitsISG_E10value_typeET2_T3_PNSH_ISM_E10value_typeET4_T5_PSR_SS_PNS1_23onesweep_lookback_stateEbbT6_jjT7_P12ihipStream_tbENKUlT_T0_SG_SL_E_clISA_SA_SB_SB_EEDaSZ_S10_SG_SL_EUlSZ_E_NS1_11comp_targetILNS1_3genE5ELNS1_11target_archE942ELNS1_3gpuE9ELNS1_3repE0EEENS1_47radix_sort_onesweep_sort_config_static_selectorELNS0_4arch9wavefront6targetE0EEEvSG_,"axG",@progbits,_ZN7rocprim17ROCPRIM_400000_NS6detail17trampoline_kernelINS0_14default_configENS1_35radix_sort_onesweep_config_selectorIdNS0_10empty_typeEEEZZNS1_29radix_sort_onesweep_iterationIS3_Lb0EPKdPdPS5_SB_mNS0_19identity_decomposerENS1_16block_id_wrapperIjLb1EEEEE10hipError_tT1_PNSt15iterator_traitsISG_E10value_typeET2_T3_PNSH_ISM_E10value_typeET4_T5_PSR_SS_PNS1_23onesweep_lookback_stateEbbT6_jjT7_P12ihipStream_tbENKUlT_T0_SG_SL_E_clISA_SA_SB_SB_EEDaSZ_S10_SG_SL_EUlSZ_E_NS1_11comp_targetILNS1_3genE5ELNS1_11target_archE942ELNS1_3gpuE9ELNS1_3repE0EEENS1_47radix_sort_onesweep_sort_config_static_selectorELNS0_4arch9wavefront6targetE0EEEvSG_,comdat
	.protected	_ZN7rocprim17ROCPRIM_400000_NS6detail17trampoline_kernelINS0_14default_configENS1_35radix_sort_onesweep_config_selectorIdNS0_10empty_typeEEEZZNS1_29radix_sort_onesweep_iterationIS3_Lb0EPKdPdPS5_SB_mNS0_19identity_decomposerENS1_16block_id_wrapperIjLb1EEEEE10hipError_tT1_PNSt15iterator_traitsISG_E10value_typeET2_T3_PNSH_ISM_E10value_typeET4_T5_PSR_SS_PNS1_23onesweep_lookback_stateEbbT6_jjT7_P12ihipStream_tbENKUlT_T0_SG_SL_E_clISA_SA_SB_SB_EEDaSZ_S10_SG_SL_EUlSZ_E_NS1_11comp_targetILNS1_3genE5ELNS1_11target_archE942ELNS1_3gpuE9ELNS1_3repE0EEENS1_47radix_sort_onesweep_sort_config_static_selectorELNS0_4arch9wavefront6targetE0EEEvSG_ ; -- Begin function _ZN7rocprim17ROCPRIM_400000_NS6detail17trampoline_kernelINS0_14default_configENS1_35radix_sort_onesweep_config_selectorIdNS0_10empty_typeEEEZZNS1_29radix_sort_onesweep_iterationIS3_Lb0EPKdPdPS5_SB_mNS0_19identity_decomposerENS1_16block_id_wrapperIjLb1EEEEE10hipError_tT1_PNSt15iterator_traitsISG_E10value_typeET2_T3_PNSH_ISM_E10value_typeET4_T5_PSR_SS_PNS1_23onesweep_lookback_stateEbbT6_jjT7_P12ihipStream_tbENKUlT_T0_SG_SL_E_clISA_SA_SB_SB_EEDaSZ_S10_SG_SL_EUlSZ_E_NS1_11comp_targetILNS1_3genE5ELNS1_11target_archE942ELNS1_3gpuE9ELNS1_3repE0EEENS1_47radix_sort_onesweep_sort_config_static_selectorELNS0_4arch9wavefront6targetE0EEEvSG_
	.globl	_ZN7rocprim17ROCPRIM_400000_NS6detail17trampoline_kernelINS0_14default_configENS1_35radix_sort_onesweep_config_selectorIdNS0_10empty_typeEEEZZNS1_29radix_sort_onesweep_iterationIS3_Lb0EPKdPdPS5_SB_mNS0_19identity_decomposerENS1_16block_id_wrapperIjLb1EEEEE10hipError_tT1_PNSt15iterator_traitsISG_E10value_typeET2_T3_PNSH_ISM_E10value_typeET4_T5_PSR_SS_PNS1_23onesweep_lookback_stateEbbT6_jjT7_P12ihipStream_tbENKUlT_T0_SG_SL_E_clISA_SA_SB_SB_EEDaSZ_S10_SG_SL_EUlSZ_E_NS1_11comp_targetILNS1_3genE5ELNS1_11target_archE942ELNS1_3gpuE9ELNS1_3repE0EEENS1_47radix_sort_onesweep_sort_config_static_selectorELNS0_4arch9wavefront6targetE0EEEvSG_
	.p2align	8
	.type	_ZN7rocprim17ROCPRIM_400000_NS6detail17trampoline_kernelINS0_14default_configENS1_35radix_sort_onesweep_config_selectorIdNS0_10empty_typeEEEZZNS1_29radix_sort_onesweep_iterationIS3_Lb0EPKdPdPS5_SB_mNS0_19identity_decomposerENS1_16block_id_wrapperIjLb1EEEEE10hipError_tT1_PNSt15iterator_traitsISG_E10value_typeET2_T3_PNSH_ISM_E10value_typeET4_T5_PSR_SS_PNS1_23onesweep_lookback_stateEbbT6_jjT7_P12ihipStream_tbENKUlT_T0_SG_SL_E_clISA_SA_SB_SB_EEDaSZ_S10_SG_SL_EUlSZ_E_NS1_11comp_targetILNS1_3genE5ELNS1_11target_archE942ELNS1_3gpuE9ELNS1_3repE0EEENS1_47radix_sort_onesweep_sort_config_static_selectorELNS0_4arch9wavefront6targetE0EEEvSG_,@function
_ZN7rocprim17ROCPRIM_400000_NS6detail17trampoline_kernelINS0_14default_configENS1_35radix_sort_onesweep_config_selectorIdNS0_10empty_typeEEEZZNS1_29radix_sort_onesweep_iterationIS3_Lb0EPKdPdPS5_SB_mNS0_19identity_decomposerENS1_16block_id_wrapperIjLb1EEEEE10hipError_tT1_PNSt15iterator_traitsISG_E10value_typeET2_T3_PNSH_ISM_E10value_typeET4_T5_PSR_SS_PNS1_23onesweep_lookback_stateEbbT6_jjT7_P12ihipStream_tbENKUlT_T0_SG_SL_E_clISA_SA_SB_SB_EEDaSZ_S10_SG_SL_EUlSZ_E_NS1_11comp_targetILNS1_3genE5ELNS1_11target_archE942ELNS1_3gpuE9ELNS1_3repE0EEENS1_47radix_sort_onesweep_sort_config_static_selectorELNS0_4arch9wavefront6targetE0EEEvSG_: ; @_ZN7rocprim17ROCPRIM_400000_NS6detail17trampoline_kernelINS0_14default_configENS1_35radix_sort_onesweep_config_selectorIdNS0_10empty_typeEEEZZNS1_29radix_sort_onesweep_iterationIS3_Lb0EPKdPdPS5_SB_mNS0_19identity_decomposerENS1_16block_id_wrapperIjLb1EEEEE10hipError_tT1_PNSt15iterator_traitsISG_E10value_typeET2_T3_PNSH_ISM_E10value_typeET4_T5_PSR_SS_PNS1_23onesweep_lookback_stateEbbT6_jjT7_P12ihipStream_tbENKUlT_T0_SG_SL_E_clISA_SA_SB_SB_EEDaSZ_S10_SG_SL_EUlSZ_E_NS1_11comp_targetILNS1_3genE5ELNS1_11target_archE942ELNS1_3gpuE9ELNS1_3repE0EEENS1_47radix_sort_onesweep_sort_config_static_selectorELNS0_4arch9wavefront6targetE0EEEvSG_
; %bb.0:
	.section	.rodata,"a",@progbits
	.p2align	6, 0x0
	.amdhsa_kernel _ZN7rocprim17ROCPRIM_400000_NS6detail17trampoline_kernelINS0_14default_configENS1_35radix_sort_onesweep_config_selectorIdNS0_10empty_typeEEEZZNS1_29radix_sort_onesweep_iterationIS3_Lb0EPKdPdPS5_SB_mNS0_19identity_decomposerENS1_16block_id_wrapperIjLb1EEEEE10hipError_tT1_PNSt15iterator_traitsISG_E10value_typeET2_T3_PNSH_ISM_E10value_typeET4_T5_PSR_SS_PNS1_23onesweep_lookback_stateEbbT6_jjT7_P12ihipStream_tbENKUlT_T0_SG_SL_E_clISA_SA_SB_SB_EEDaSZ_S10_SG_SL_EUlSZ_E_NS1_11comp_targetILNS1_3genE5ELNS1_11target_archE942ELNS1_3gpuE9ELNS1_3repE0EEENS1_47radix_sort_onesweep_sort_config_static_selectorELNS0_4arch9wavefront6targetE0EEEvSG_
		.amdhsa_group_segment_fixed_size 0
		.amdhsa_private_segment_fixed_size 0
		.amdhsa_kernarg_size 88
		.amdhsa_user_sgpr_count 2
		.amdhsa_user_sgpr_dispatch_ptr 0
		.amdhsa_user_sgpr_queue_ptr 0
		.amdhsa_user_sgpr_kernarg_segment_ptr 1
		.amdhsa_user_sgpr_dispatch_id 0
		.amdhsa_user_sgpr_kernarg_preload_length 0
		.amdhsa_user_sgpr_kernarg_preload_offset 0
		.amdhsa_user_sgpr_private_segment_size 0
		.amdhsa_wavefront_size32 1
		.amdhsa_uses_dynamic_stack 0
		.amdhsa_enable_private_segment 0
		.amdhsa_system_sgpr_workgroup_id_x 1
		.amdhsa_system_sgpr_workgroup_id_y 0
		.amdhsa_system_sgpr_workgroup_id_z 0
		.amdhsa_system_sgpr_workgroup_info 0
		.amdhsa_system_vgpr_workitem_id 0
		.amdhsa_next_free_vgpr 1
		.amdhsa_next_free_sgpr 1
		.amdhsa_named_barrier_count 0
		.amdhsa_reserve_vcc 0
		.amdhsa_float_round_mode_32 0
		.amdhsa_float_round_mode_16_64 0
		.amdhsa_float_denorm_mode_32 3
		.amdhsa_float_denorm_mode_16_64 3
		.amdhsa_fp16_overflow 0
		.amdhsa_memory_ordered 1
		.amdhsa_forward_progress 1
		.amdhsa_inst_pref_size 0
		.amdhsa_round_robin_scheduling 0
		.amdhsa_exception_fp_ieee_invalid_op 0
		.amdhsa_exception_fp_denorm_src 0
		.amdhsa_exception_fp_ieee_div_zero 0
		.amdhsa_exception_fp_ieee_overflow 0
		.amdhsa_exception_fp_ieee_underflow 0
		.amdhsa_exception_fp_ieee_inexact 0
		.amdhsa_exception_int_div_zero 0
	.end_amdhsa_kernel
	.section	.text._ZN7rocprim17ROCPRIM_400000_NS6detail17trampoline_kernelINS0_14default_configENS1_35radix_sort_onesweep_config_selectorIdNS0_10empty_typeEEEZZNS1_29radix_sort_onesweep_iterationIS3_Lb0EPKdPdPS5_SB_mNS0_19identity_decomposerENS1_16block_id_wrapperIjLb1EEEEE10hipError_tT1_PNSt15iterator_traitsISG_E10value_typeET2_T3_PNSH_ISM_E10value_typeET4_T5_PSR_SS_PNS1_23onesweep_lookback_stateEbbT6_jjT7_P12ihipStream_tbENKUlT_T0_SG_SL_E_clISA_SA_SB_SB_EEDaSZ_S10_SG_SL_EUlSZ_E_NS1_11comp_targetILNS1_3genE5ELNS1_11target_archE942ELNS1_3gpuE9ELNS1_3repE0EEENS1_47radix_sort_onesweep_sort_config_static_selectorELNS0_4arch9wavefront6targetE0EEEvSG_,"axG",@progbits,_ZN7rocprim17ROCPRIM_400000_NS6detail17trampoline_kernelINS0_14default_configENS1_35radix_sort_onesweep_config_selectorIdNS0_10empty_typeEEEZZNS1_29radix_sort_onesweep_iterationIS3_Lb0EPKdPdPS5_SB_mNS0_19identity_decomposerENS1_16block_id_wrapperIjLb1EEEEE10hipError_tT1_PNSt15iterator_traitsISG_E10value_typeET2_T3_PNSH_ISM_E10value_typeET4_T5_PSR_SS_PNS1_23onesweep_lookback_stateEbbT6_jjT7_P12ihipStream_tbENKUlT_T0_SG_SL_E_clISA_SA_SB_SB_EEDaSZ_S10_SG_SL_EUlSZ_E_NS1_11comp_targetILNS1_3genE5ELNS1_11target_archE942ELNS1_3gpuE9ELNS1_3repE0EEENS1_47radix_sort_onesweep_sort_config_static_selectorELNS0_4arch9wavefront6targetE0EEEvSG_,comdat
.Lfunc_end1616:
	.size	_ZN7rocprim17ROCPRIM_400000_NS6detail17trampoline_kernelINS0_14default_configENS1_35radix_sort_onesweep_config_selectorIdNS0_10empty_typeEEEZZNS1_29radix_sort_onesweep_iterationIS3_Lb0EPKdPdPS5_SB_mNS0_19identity_decomposerENS1_16block_id_wrapperIjLb1EEEEE10hipError_tT1_PNSt15iterator_traitsISG_E10value_typeET2_T3_PNSH_ISM_E10value_typeET4_T5_PSR_SS_PNS1_23onesweep_lookback_stateEbbT6_jjT7_P12ihipStream_tbENKUlT_T0_SG_SL_E_clISA_SA_SB_SB_EEDaSZ_S10_SG_SL_EUlSZ_E_NS1_11comp_targetILNS1_3genE5ELNS1_11target_archE942ELNS1_3gpuE9ELNS1_3repE0EEENS1_47radix_sort_onesweep_sort_config_static_selectorELNS0_4arch9wavefront6targetE0EEEvSG_, .Lfunc_end1616-_ZN7rocprim17ROCPRIM_400000_NS6detail17trampoline_kernelINS0_14default_configENS1_35radix_sort_onesweep_config_selectorIdNS0_10empty_typeEEEZZNS1_29radix_sort_onesweep_iterationIS3_Lb0EPKdPdPS5_SB_mNS0_19identity_decomposerENS1_16block_id_wrapperIjLb1EEEEE10hipError_tT1_PNSt15iterator_traitsISG_E10value_typeET2_T3_PNSH_ISM_E10value_typeET4_T5_PSR_SS_PNS1_23onesweep_lookback_stateEbbT6_jjT7_P12ihipStream_tbENKUlT_T0_SG_SL_E_clISA_SA_SB_SB_EEDaSZ_S10_SG_SL_EUlSZ_E_NS1_11comp_targetILNS1_3genE5ELNS1_11target_archE942ELNS1_3gpuE9ELNS1_3repE0EEENS1_47radix_sort_onesweep_sort_config_static_selectorELNS0_4arch9wavefront6targetE0EEEvSG_
                                        ; -- End function
	.set _ZN7rocprim17ROCPRIM_400000_NS6detail17trampoline_kernelINS0_14default_configENS1_35radix_sort_onesweep_config_selectorIdNS0_10empty_typeEEEZZNS1_29radix_sort_onesweep_iterationIS3_Lb0EPKdPdPS5_SB_mNS0_19identity_decomposerENS1_16block_id_wrapperIjLb1EEEEE10hipError_tT1_PNSt15iterator_traitsISG_E10value_typeET2_T3_PNSH_ISM_E10value_typeET4_T5_PSR_SS_PNS1_23onesweep_lookback_stateEbbT6_jjT7_P12ihipStream_tbENKUlT_T0_SG_SL_E_clISA_SA_SB_SB_EEDaSZ_S10_SG_SL_EUlSZ_E_NS1_11comp_targetILNS1_3genE5ELNS1_11target_archE942ELNS1_3gpuE9ELNS1_3repE0EEENS1_47radix_sort_onesweep_sort_config_static_selectorELNS0_4arch9wavefront6targetE0EEEvSG_.num_vgpr, 0
	.set _ZN7rocprim17ROCPRIM_400000_NS6detail17trampoline_kernelINS0_14default_configENS1_35radix_sort_onesweep_config_selectorIdNS0_10empty_typeEEEZZNS1_29radix_sort_onesweep_iterationIS3_Lb0EPKdPdPS5_SB_mNS0_19identity_decomposerENS1_16block_id_wrapperIjLb1EEEEE10hipError_tT1_PNSt15iterator_traitsISG_E10value_typeET2_T3_PNSH_ISM_E10value_typeET4_T5_PSR_SS_PNS1_23onesweep_lookback_stateEbbT6_jjT7_P12ihipStream_tbENKUlT_T0_SG_SL_E_clISA_SA_SB_SB_EEDaSZ_S10_SG_SL_EUlSZ_E_NS1_11comp_targetILNS1_3genE5ELNS1_11target_archE942ELNS1_3gpuE9ELNS1_3repE0EEENS1_47radix_sort_onesweep_sort_config_static_selectorELNS0_4arch9wavefront6targetE0EEEvSG_.num_agpr, 0
	.set _ZN7rocprim17ROCPRIM_400000_NS6detail17trampoline_kernelINS0_14default_configENS1_35radix_sort_onesweep_config_selectorIdNS0_10empty_typeEEEZZNS1_29radix_sort_onesweep_iterationIS3_Lb0EPKdPdPS5_SB_mNS0_19identity_decomposerENS1_16block_id_wrapperIjLb1EEEEE10hipError_tT1_PNSt15iterator_traitsISG_E10value_typeET2_T3_PNSH_ISM_E10value_typeET4_T5_PSR_SS_PNS1_23onesweep_lookback_stateEbbT6_jjT7_P12ihipStream_tbENKUlT_T0_SG_SL_E_clISA_SA_SB_SB_EEDaSZ_S10_SG_SL_EUlSZ_E_NS1_11comp_targetILNS1_3genE5ELNS1_11target_archE942ELNS1_3gpuE9ELNS1_3repE0EEENS1_47radix_sort_onesweep_sort_config_static_selectorELNS0_4arch9wavefront6targetE0EEEvSG_.numbered_sgpr, 0
	.set _ZN7rocprim17ROCPRIM_400000_NS6detail17trampoline_kernelINS0_14default_configENS1_35radix_sort_onesweep_config_selectorIdNS0_10empty_typeEEEZZNS1_29radix_sort_onesweep_iterationIS3_Lb0EPKdPdPS5_SB_mNS0_19identity_decomposerENS1_16block_id_wrapperIjLb1EEEEE10hipError_tT1_PNSt15iterator_traitsISG_E10value_typeET2_T3_PNSH_ISM_E10value_typeET4_T5_PSR_SS_PNS1_23onesweep_lookback_stateEbbT6_jjT7_P12ihipStream_tbENKUlT_T0_SG_SL_E_clISA_SA_SB_SB_EEDaSZ_S10_SG_SL_EUlSZ_E_NS1_11comp_targetILNS1_3genE5ELNS1_11target_archE942ELNS1_3gpuE9ELNS1_3repE0EEENS1_47radix_sort_onesweep_sort_config_static_selectorELNS0_4arch9wavefront6targetE0EEEvSG_.num_named_barrier, 0
	.set _ZN7rocprim17ROCPRIM_400000_NS6detail17trampoline_kernelINS0_14default_configENS1_35radix_sort_onesweep_config_selectorIdNS0_10empty_typeEEEZZNS1_29radix_sort_onesweep_iterationIS3_Lb0EPKdPdPS5_SB_mNS0_19identity_decomposerENS1_16block_id_wrapperIjLb1EEEEE10hipError_tT1_PNSt15iterator_traitsISG_E10value_typeET2_T3_PNSH_ISM_E10value_typeET4_T5_PSR_SS_PNS1_23onesweep_lookback_stateEbbT6_jjT7_P12ihipStream_tbENKUlT_T0_SG_SL_E_clISA_SA_SB_SB_EEDaSZ_S10_SG_SL_EUlSZ_E_NS1_11comp_targetILNS1_3genE5ELNS1_11target_archE942ELNS1_3gpuE9ELNS1_3repE0EEENS1_47radix_sort_onesweep_sort_config_static_selectorELNS0_4arch9wavefront6targetE0EEEvSG_.private_seg_size, 0
	.set _ZN7rocprim17ROCPRIM_400000_NS6detail17trampoline_kernelINS0_14default_configENS1_35radix_sort_onesweep_config_selectorIdNS0_10empty_typeEEEZZNS1_29radix_sort_onesweep_iterationIS3_Lb0EPKdPdPS5_SB_mNS0_19identity_decomposerENS1_16block_id_wrapperIjLb1EEEEE10hipError_tT1_PNSt15iterator_traitsISG_E10value_typeET2_T3_PNSH_ISM_E10value_typeET4_T5_PSR_SS_PNS1_23onesweep_lookback_stateEbbT6_jjT7_P12ihipStream_tbENKUlT_T0_SG_SL_E_clISA_SA_SB_SB_EEDaSZ_S10_SG_SL_EUlSZ_E_NS1_11comp_targetILNS1_3genE5ELNS1_11target_archE942ELNS1_3gpuE9ELNS1_3repE0EEENS1_47radix_sort_onesweep_sort_config_static_selectorELNS0_4arch9wavefront6targetE0EEEvSG_.uses_vcc, 0
	.set _ZN7rocprim17ROCPRIM_400000_NS6detail17trampoline_kernelINS0_14default_configENS1_35radix_sort_onesweep_config_selectorIdNS0_10empty_typeEEEZZNS1_29radix_sort_onesweep_iterationIS3_Lb0EPKdPdPS5_SB_mNS0_19identity_decomposerENS1_16block_id_wrapperIjLb1EEEEE10hipError_tT1_PNSt15iterator_traitsISG_E10value_typeET2_T3_PNSH_ISM_E10value_typeET4_T5_PSR_SS_PNS1_23onesweep_lookback_stateEbbT6_jjT7_P12ihipStream_tbENKUlT_T0_SG_SL_E_clISA_SA_SB_SB_EEDaSZ_S10_SG_SL_EUlSZ_E_NS1_11comp_targetILNS1_3genE5ELNS1_11target_archE942ELNS1_3gpuE9ELNS1_3repE0EEENS1_47radix_sort_onesweep_sort_config_static_selectorELNS0_4arch9wavefront6targetE0EEEvSG_.uses_flat_scratch, 0
	.set _ZN7rocprim17ROCPRIM_400000_NS6detail17trampoline_kernelINS0_14default_configENS1_35radix_sort_onesweep_config_selectorIdNS0_10empty_typeEEEZZNS1_29radix_sort_onesweep_iterationIS3_Lb0EPKdPdPS5_SB_mNS0_19identity_decomposerENS1_16block_id_wrapperIjLb1EEEEE10hipError_tT1_PNSt15iterator_traitsISG_E10value_typeET2_T3_PNSH_ISM_E10value_typeET4_T5_PSR_SS_PNS1_23onesweep_lookback_stateEbbT6_jjT7_P12ihipStream_tbENKUlT_T0_SG_SL_E_clISA_SA_SB_SB_EEDaSZ_S10_SG_SL_EUlSZ_E_NS1_11comp_targetILNS1_3genE5ELNS1_11target_archE942ELNS1_3gpuE9ELNS1_3repE0EEENS1_47radix_sort_onesweep_sort_config_static_selectorELNS0_4arch9wavefront6targetE0EEEvSG_.has_dyn_sized_stack, 0
	.set _ZN7rocprim17ROCPRIM_400000_NS6detail17trampoline_kernelINS0_14default_configENS1_35radix_sort_onesweep_config_selectorIdNS0_10empty_typeEEEZZNS1_29radix_sort_onesweep_iterationIS3_Lb0EPKdPdPS5_SB_mNS0_19identity_decomposerENS1_16block_id_wrapperIjLb1EEEEE10hipError_tT1_PNSt15iterator_traitsISG_E10value_typeET2_T3_PNSH_ISM_E10value_typeET4_T5_PSR_SS_PNS1_23onesweep_lookback_stateEbbT6_jjT7_P12ihipStream_tbENKUlT_T0_SG_SL_E_clISA_SA_SB_SB_EEDaSZ_S10_SG_SL_EUlSZ_E_NS1_11comp_targetILNS1_3genE5ELNS1_11target_archE942ELNS1_3gpuE9ELNS1_3repE0EEENS1_47radix_sort_onesweep_sort_config_static_selectorELNS0_4arch9wavefront6targetE0EEEvSG_.has_recursion, 0
	.set _ZN7rocprim17ROCPRIM_400000_NS6detail17trampoline_kernelINS0_14default_configENS1_35radix_sort_onesweep_config_selectorIdNS0_10empty_typeEEEZZNS1_29radix_sort_onesweep_iterationIS3_Lb0EPKdPdPS5_SB_mNS0_19identity_decomposerENS1_16block_id_wrapperIjLb1EEEEE10hipError_tT1_PNSt15iterator_traitsISG_E10value_typeET2_T3_PNSH_ISM_E10value_typeET4_T5_PSR_SS_PNS1_23onesweep_lookback_stateEbbT6_jjT7_P12ihipStream_tbENKUlT_T0_SG_SL_E_clISA_SA_SB_SB_EEDaSZ_S10_SG_SL_EUlSZ_E_NS1_11comp_targetILNS1_3genE5ELNS1_11target_archE942ELNS1_3gpuE9ELNS1_3repE0EEENS1_47radix_sort_onesweep_sort_config_static_selectorELNS0_4arch9wavefront6targetE0EEEvSG_.has_indirect_call, 0
	.section	.AMDGPU.csdata,"",@progbits
; Kernel info:
; codeLenInByte = 0
; TotalNumSgprs: 0
; NumVgprs: 0
; ScratchSize: 0
; MemoryBound: 0
; FloatMode: 240
; IeeeMode: 1
; LDSByteSize: 0 bytes/workgroup (compile time only)
; SGPRBlocks: 0
; VGPRBlocks: 0
; NumSGPRsForWavesPerEU: 1
; NumVGPRsForWavesPerEU: 1
; NamedBarCnt: 0
; Occupancy: 16
; WaveLimiterHint : 0
; COMPUTE_PGM_RSRC2:SCRATCH_EN: 0
; COMPUTE_PGM_RSRC2:USER_SGPR: 2
; COMPUTE_PGM_RSRC2:TRAP_HANDLER: 0
; COMPUTE_PGM_RSRC2:TGID_X_EN: 1
; COMPUTE_PGM_RSRC2:TGID_Y_EN: 0
; COMPUTE_PGM_RSRC2:TGID_Z_EN: 0
; COMPUTE_PGM_RSRC2:TIDIG_COMP_CNT: 0
	.section	.text._ZN7rocprim17ROCPRIM_400000_NS6detail17trampoline_kernelINS0_14default_configENS1_35radix_sort_onesweep_config_selectorIdNS0_10empty_typeEEEZZNS1_29radix_sort_onesweep_iterationIS3_Lb0EPKdPdPS5_SB_mNS0_19identity_decomposerENS1_16block_id_wrapperIjLb1EEEEE10hipError_tT1_PNSt15iterator_traitsISG_E10value_typeET2_T3_PNSH_ISM_E10value_typeET4_T5_PSR_SS_PNS1_23onesweep_lookback_stateEbbT6_jjT7_P12ihipStream_tbENKUlT_T0_SG_SL_E_clISA_SA_SB_SB_EEDaSZ_S10_SG_SL_EUlSZ_E_NS1_11comp_targetILNS1_3genE2ELNS1_11target_archE906ELNS1_3gpuE6ELNS1_3repE0EEENS1_47radix_sort_onesweep_sort_config_static_selectorELNS0_4arch9wavefront6targetE0EEEvSG_,"axG",@progbits,_ZN7rocprim17ROCPRIM_400000_NS6detail17trampoline_kernelINS0_14default_configENS1_35radix_sort_onesweep_config_selectorIdNS0_10empty_typeEEEZZNS1_29radix_sort_onesweep_iterationIS3_Lb0EPKdPdPS5_SB_mNS0_19identity_decomposerENS1_16block_id_wrapperIjLb1EEEEE10hipError_tT1_PNSt15iterator_traitsISG_E10value_typeET2_T3_PNSH_ISM_E10value_typeET4_T5_PSR_SS_PNS1_23onesweep_lookback_stateEbbT6_jjT7_P12ihipStream_tbENKUlT_T0_SG_SL_E_clISA_SA_SB_SB_EEDaSZ_S10_SG_SL_EUlSZ_E_NS1_11comp_targetILNS1_3genE2ELNS1_11target_archE906ELNS1_3gpuE6ELNS1_3repE0EEENS1_47radix_sort_onesweep_sort_config_static_selectorELNS0_4arch9wavefront6targetE0EEEvSG_,comdat
	.protected	_ZN7rocprim17ROCPRIM_400000_NS6detail17trampoline_kernelINS0_14default_configENS1_35radix_sort_onesweep_config_selectorIdNS0_10empty_typeEEEZZNS1_29radix_sort_onesweep_iterationIS3_Lb0EPKdPdPS5_SB_mNS0_19identity_decomposerENS1_16block_id_wrapperIjLb1EEEEE10hipError_tT1_PNSt15iterator_traitsISG_E10value_typeET2_T3_PNSH_ISM_E10value_typeET4_T5_PSR_SS_PNS1_23onesweep_lookback_stateEbbT6_jjT7_P12ihipStream_tbENKUlT_T0_SG_SL_E_clISA_SA_SB_SB_EEDaSZ_S10_SG_SL_EUlSZ_E_NS1_11comp_targetILNS1_3genE2ELNS1_11target_archE906ELNS1_3gpuE6ELNS1_3repE0EEENS1_47radix_sort_onesweep_sort_config_static_selectorELNS0_4arch9wavefront6targetE0EEEvSG_ ; -- Begin function _ZN7rocprim17ROCPRIM_400000_NS6detail17trampoline_kernelINS0_14default_configENS1_35radix_sort_onesweep_config_selectorIdNS0_10empty_typeEEEZZNS1_29radix_sort_onesweep_iterationIS3_Lb0EPKdPdPS5_SB_mNS0_19identity_decomposerENS1_16block_id_wrapperIjLb1EEEEE10hipError_tT1_PNSt15iterator_traitsISG_E10value_typeET2_T3_PNSH_ISM_E10value_typeET4_T5_PSR_SS_PNS1_23onesweep_lookback_stateEbbT6_jjT7_P12ihipStream_tbENKUlT_T0_SG_SL_E_clISA_SA_SB_SB_EEDaSZ_S10_SG_SL_EUlSZ_E_NS1_11comp_targetILNS1_3genE2ELNS1_11target_archE906ELNS1_3gpuE6ELNS1_3repE0EEENS1_47radix_sort_onesweep_sort_config_static_selectorELNS0_4arch9wavefront6targetE0EEEvSG_
	.globl	_ZN7rocprim17ROCPRIM_400000_NS6detail17trampoline_kernelINS0_14default_configENS1_35radix_sort_onesweep_config_selectorIdNS0_10empty_typeEEEZZNS1_29radix_sort_onesweep_iterationIS3_Lb0EPKdPdPS5_SB_mNS0_19identity_decomposerENS1_16block_id_wrapperIjLb1EEEEE10hipError_tT1_PNSt15iterator_traitsISG_E10value_typeET2_T3_PNSH_ISM_E10value_typeET4_T5_PSR_SS_PNS1_23onesweep_lookback_stateEbbT6_jjT7_P12ihipStream_tbENKUlT_T0_SG_SL_E_clISA_SA_SB_SB_EEDaSZ_S10_SG_SL_EUlSZ_E_NS1_11comp_targetILNS1_3genE2ELNS1_11target_archE906ELNS1_3gpuE6ELNS1_3repE0EEENS1_47radix_sort_onesweep_sort_config_static_selectorELNS0_4arch9wavefront6targetE0EEEvSG_
	.p2align	8
	.type	_ZN7rocprim17ROCPRIM_400000_NS6detail17trampoline_kernelINS0_14default_configENS1_35radix_sort_onesweep_config_selectorIdNS0_10empty_typeEEEZZNS1_29radix_sort_onesweep_iterationIS3_Lb0EPKdPdPS5_SB_mNS0_19identity_decomposerENS1_16block_id_wrapperIjLb1EEEEE10hipError_tT1_PNSt15iterator_traitsISG_E10value_typeET2_T3_PNSH_ISM_E10value_typeET4_T5_PSR_SS_PNS1_23onesweep_lookback_stateEbbT6_jjT7_P12ihipStream_tbENKUlT_T0_SG_SL_E_clISA_SA_SB_SB_EEDaSZ_S10_SG_SL_EUlSZ_E_NS1_11comp_targetILNS1_3genE2ELNS1_11target_archE906ELNS1_3gpuE6ELNS1_3repE0EEENS1_47radix_sort_onesweep_sort_config_static_selectorELNS0_4arch9wavefront6targetE0EEEvSG_,@function
_ZN7rocprim17ROCPRIM_400000_NS6detail17trampoline_kernelINS0_14default_configENS1_35radix_sort_onesweep_config_selectorIdNS0_10empty_typeEEEZZNS1_29radix_sort_onesweep_iterationIS3_Lb0EPKdPdPS5_SB_mNS0_19identity_decomposerENS1_16block_id_wrapperIjLb1EEEEE10hipError_tT1_PNSt15iterator_traitsISG_E10value_typeET2_T3_PNSH_ISM_E10value_typeET4_T5_PSR_SS_PNS1_23onesweep_lookback_stateEbbT6_jjT7_P12ihipStream_tbENKUlT_T0_SG_SL_E_clISA_SA_SB_SB_EEDaSZ_S10_SG_SL_EUlSZ_E_NS1_11comp_targetILNS1_3genE2ELNS1_11target_archE906ELNS1_3gpuE6ELNS1_3repE0EEENS1_47radix_sort_onesweep_sort_config_static_selectorELNS0_4arch9wavefront6targetE0EEEvSG_: ; @_ZN7rocprim17ROCPRIM_400000_NS6detail17trampoline_kernelINS0_14default_configENS1_35radix_sort_onesweep_config_selectorIdNS0_10empty_typeEEEZZNS1_29radix_sort_onesweep_iterationIS3_Lb0EPKdPdPS5_SB_mNS0_19identity_decomposerENS1_16block_id_wrapperIjLb1EEEEE10hipError_tT1_PNSt15iterator_traitsISG_E10value_typeET2_T3_PNSH_ISM_E10value_typeET4_T5_PSR_SS_PNS1_23onesweep_lookback_stateEbbT6_jjT7_P12ihipStream_tbENKUlT_T0_SG_SL_E_clISA_SA_SB_SB_EEDaSZ_S10_SG_SL_EUlSZ_E_NS1_11comp_targetILNS1_3genE2ELNS1_11target_archE906ELNS1_3gpuE6ELNS1_3repE0EEENS1_47radix_sort_onesweep_sort_config_static_selectorELNS0_4arch9wavefront6targetE0EEEvSG_
; %bb.0:
	.section	.rodata,"a",@progbits
	.p2align	6, 0x0
	.amdhsa_kernel _ZN7rocprim17ROCPRIM_400000_NS6detail17trampoline_kernelINS0_14default_configENS1_35radix_sort_onesweep_config_selectorIdNS0_10empty_typeEEEZZNS1_29radix_sort_onesweep_iterationIS3_Lb0EPKdPdPS5_SB_mNS0_19identity_decomposerENS1_16block_id_wrapperIjLb1EEEEE10hipError_tT1_PNSt15iterator_traitsISG_E10value_typeET2_T3_PNSH_ISM_E10value_typeET4_T5_PSR_SS_PNS1_23onesweep_lookback_stateEbbT6_jjT7_P12ihipStream_tbENKUlT_T0_SG_SL_E_clISA_SA_SB_SB_EEDaSZ_S10_SG_SL_EUlSZ_E_NS1_11comp_targetILNS1_3genE2ELNS1_11target_archE906ELNS1_3gpuE6ELNS1_3repE0EEENS1_47radix_sort_onesweep_sort_config_static_selectorELNS0_4arch9wavefront6targetE0EEEvSG_
		.amdhsa_group_segment_fixed_size 0
		.amdhsa_private_segment_fixed_size 0
		.amdhsa_kernarg_size 88
		.amdhsa_user_sgpr_count 2
		.amdhsa_user_sgpr_dispatch_ptr 0
		.amdhsa_user_sgpr_queue_ptr 0
		.amdhsa_user_sgpr_kernarg_segment_ptr 1
		.amdhsa_user_sgpr_dispatch_id 0
		.amdhsa_user_sgpr_kernarg_preload_length 0
		.amdhsa_user_sgpr_kernarg_preload_offset 0
		.amdhsa_user_sgpr_private_segment_size 0
		.amdhsa_wavefront_size32 1
		.amdhsa_uses_dynamic_stack 0
		.amdhsa_enable_private_segment 0
		.amdhsa_system_sgpr_workgroup_id_x 1
		.amdhsa_system_sgpr_workgroup_id_y 0
		.amdhsa_system_sgpr_workgroup_id_z 0
		.amdhsa_system_sgpr_workgroup_info 0
		.amdhsa_system_vgpr_workitem_id 0
		.amdhsa_next_free_vgpr 1
		.amdhsa_next_free_sgpr 1
		.amdhsa_named_barrier_count 0
		.amdhsa_reserve_vcc 0
		.amdhsa_float_round_mode_32 0
		.amdhsa_float_round_mode_16_64 0
		.amdhsa_float_denorm_mode_32 3
		.amdhsa_float_denorm_mode_16_64 3
		.amdhsa_fp16_overflow 0
		.amdhsa_memory_ordered 1
		.amdhsa_forward_progress 1
		.amdhsa_inst_pref_size 0
		.amdhsa_round_robin_scheduling 0
		.amdhsa_exception_fp_ieee_invalid_op 0
		.amdhsa_exception_fp_denorm_src 0
		.amdhsa_exception_fp_ieee_div_zero 0
		.amdhsa_exception_fp_ieee_overflow 0
		.amdhsa_exception_fp_ieee_underflow 0
		.amdhsa_exception_fp_ieee_inexact 0
		.amdhsa_exception_int_div_zero 0
	.end_amdhsa_kernel
	.section	.text._ZN7rocprim17ROCPRIM_400000_NS6detail17trampoline_kernelINS0_14default_configENS1_35radix_sort_onesweep_config_selectorIdNS0_10empty_typeEEEZZNS1_29radix_sort_onesweep_iterationIS3_Lb0EPKdPdPS5_SB_mNS0_19identity_decomposerENS1_16block_id_wrapperIjLb1EEEEE10hipError_tT1_PNSt15iterator_traitsISG_E10value_typeET2_T3_PNSH_ISM_E10value_typeET4_T5_PSR_SS_PNS1_23onesweep_lookback_stateEbbT6_jjT7_P12ihipStream_tbENKUlT_T0_SG_SL_E_clISA_SA_SB_SB_EEDaSZ_S10_SG_SL_EUlSZ_E_NS1_11comp_targetILNS1_3genE2ELNS1_11target_archE906ELNS1_3gpuE6ELNS1_3repE0EEENS1_47radix_sort_onesweep_sort_config_static_selectorELNS0_4arch9wavefront6targetE0EEEvSG_,"axG",@progbits,_ZN7rocprim17ROCPRIM_400000_NS6detail17trampoline_kernelINS0_14default_configENS1_35radix_sort_onesweep_config_selectorIdNS0_10empty_typeEEEZZNS1_29radix_sort_onesweep_iterationIS3_Lb0EPKdPdPS5_SB_mNS0_19identity_decomposerENS1_16block_id_wrapperIjLb1EEEEE10hipError_tT1_PNSt15iterator_traitsISG_E10value_typeET2_T3_PNSH_ISM_E10value_typeET4_T5_PSR_SS_PNS1_23onesweep_lookback_stateEbbT6_jjT7_P12ihipStream_tbENKUlT_T0_SG_SL_E_clISA_SA_SB_SB_EEDaSZ_S10_SG_SL_EUlSZ_E_NS1_11comp_targetILNS1_3genE2ELNS1_11target_archE906ELNS1_3gpuE6ELNS1_3repE0EEENS1_47radix_sort_onesweep_sort_config_static_selectorELNS0_4arch9wavefront6targetE0EEEvSG_,comdat
.Lfunc_end1617:
	.size	_ZN7rocprim17ROCPRIM_400000_NS6detail17trampoline_kernelINS0_14default_configENS1_35radix_sort_onesweep_config_selectorIdNS0_10empty_typeEEEZZNS1_29radix_sort_onesweep_iterationIS3_Lb0EPKdPdPS5_SB_mNS0_19identity_decomposerENS1_16block_id_wrapperIjLb1EEEEE10hipError_tT1_PNSt15iterator_traitsISG_E10value_typeET2_T3_PNSH_ISM_E10value_typeET4_T5_PSR_SS_PNS1_23onesweep_lookback_stateEbbT6_jjT7_P12ihipStream_tbENKUlT_T0_SG_SL_E_clISA_SA_SB_SB_EEDaSZ_S10_SG_SL_EUlSZ_E_NS1_11comp_targetILNS1_3genE2ELNS1_11target_archE906ELNS1_3gpuE6ELNS1_3repE0EEENS1_47radix_sort_onesweep_sort_config_static_selectorELNS0_4arch9wavefront6targetE0EEEvSG_, .Lfunc_end1617-_ZN7rocprim17ROCPRIM_400000_NS6detail17trampoline_kernelINS0_14default_configENS1_35radix_sort_onesweep_config_selectorIdNS0_10empty_typeEEEZZNS1_29radix_sort_onesweep_iterationIS3_Lb0EPKdPdPS5_SB_mNS0_19identity_decomposerENS1_16block_id_wrapperIjLb1EEEEE10hipError_tT1_PNSt15iterator_traitsISG_E10value_typeET2_T3_PNSH_ISM_E10value_typeET4_T5_PSR_SS_PNS1_23onesweep_lookback_stateEbbT6_jjT7_P12ihipStream_tbENKUlT_T0_SG_SL_E_clISA_SA_SB_SB_EEDaSZ_S10_SG_SL_EUlSZ_E_NS1_11comp_targetILNS1_3genE2ELNS1_11target_archE906ELNS1_3gpuE6ELNS1_3repE0EEENS1_47radix_sort_onesweep_sort_config_static_selectorELNS0_4arch9wavefront6targetE0EEEvSG_
                                        ; -- End function
	.set _ZN7rocprim17ROCPRIM_400000_NS6detail17trampoline_kernelINS0_14default_configENS1_35radix_sort_onesweep_config_selectorIdNS0_10empty_typeEEEZZNS1_29radix_sort_onesweep_iterationIS3_Lb0EPKdPdPS5_SB_mNS0_19identity_decomposerENS1_16block_id_wrapperIjLb1EEEEE10hipError_tT1_PNSt15iterator_traitsISG_E10value_typeET2_T3_PNSH_ISM_E10value_typeET4_T5_PSR_SS_PNS1_23onesweep_lookback_stateEbbT6_jjT7_P12ihipStream_tbENKUlT_T0_SG_SL_E_clISA_SA_SB_SB_EEDaSZ_S10_SG_SL_EUlSZ_E_NS1_11comp_targetILNS1_3genE2ELNS1_11target_archE906ELNS1_3gpuE6ELNS1_3repE0EEENS1_47radix_sort_onesweep_sort_config_static_selectorELNS0_4arch9wavefront6targetE0EEEvSG_.num_vgpr, 0
	.set _ZN7rocprim17ROCPRIM_400000_NS6detail17trampoline_kernelINS0_14default_configENS1_35radix_sort_onesweep_config_selectorIdNS0_10empty_typeEEEZZNS1_29radix_sort_onesweep_iterationIS3_Lb0EPKdPdPS5_SB_mNS0_19identity_decomposerENS1_16block_id_wrapperIjLb1EEEEE10hipError_tT1_PNSt15iterator_traitsISG_E10value_typeET2_T3_PNSH_ISM_E10value_typeET4_T5_PSR_SS_PNS1_23onesweep_lookback_stateEbbT6_jjT7_P12ihipStream_tbENKUlT_T0_SG_SL_E_clISA_SA_SB_SB_EEDaSZ_S10_SG_SL_EUlSZ_E_NS1_11comp_targetILNS1_3genE2ELNS1_11target_archE906ELNS1_3gpuE6ELNS1_3repE0EEENS1_47radix_sort_onesweep_sort_config_static_selectorELNS0_4arch9wavefront6targetE0EEEvSG_.num_agpr, 0
	.set _ZN7rocprim17ROCPRIM_400000_NS6detail17trampoline_kernelINS0_14default_configENS1_35radix_sort_onesweep_config_selectorIdNS0_10empty_typeEEEZZNS1_29radix_sort_onesweep_iterationIS3_Lb0EPKdPdPS5_SB_mNS0_19identity_decomposerENS1_16block_id_wrapperIjLb1EEEEE10hipError_tT1_PNSt15iterator_traitsISG_E10value_typeET2_T3_PNSH_ISM_E10value_typeET4_T5_PSR_SS_PNS1_23onesweep_lookback_stateEbbT6_jjT7_P12ihipStream_tbENKUlT_T0_SG_SL_E_clISA_SA_SB_SB_EEDaSZ_S10_SG_SL_EUlSZ_E_NS1_11comp_targetILNS1_3genE2ELNS1_11target_archE906ELNS1_3gpuE6ELNS1_3repE0EEENS1_47radix_sort_onesweep_sort_config_static_selectorELNS0_4arch9wavefront6targetE0EEEvSG_.numbered_sgpr, 0
	.set _ZN7rocprim17ROCPRIM_400000_NS6detail17trampoline_kernelINS0_14default_configENS1_35radix_sort_onesweep_config_selectorIdNS0_10empty_typeEEEZZNS1_29radix_sort_onesweep_iterationIS3_Lb0EPKdPdPS5_SB_mNS0_19identity_decomposerENS1_16block_id_wrapperIjLb1EEEEE10hipError_tT1_PNSt15iterator_traitsISG_E10value_typeET2_T3_PNSH_ISM_E10value_typeET4_T5_PSR_SS_PNS1_23onesweep_lookback_stateEbbT6_jjT7_P12ihipStream_tbENKUlT_T0_SG_SL_E_clISA_SA_SB_SB_EEDaSZ_S10_SG_SL_EUlSZ_E_NS1_11comp_targetILNS1_3genE2ELNS1_11target_archE906ELNS1_3gpuE6ELNS1_3repE0EEENS1_47radix_sort_onesweep_sort_config_static_selectorELNS0_4arch9wavefront6targetE0EEEvSG_.num_named_barrier, 0
	.set _ZN7rocprim17ROCPRIM_400000_NS6detail17trampoline_kernelINS0_14default_configENS1_35radix_sort_onesweep_config_selectorIdNS0_10empty_typeEEEZZNS1_29radix_sort_onesweep_iterationIS3_Lb0EPKdPdPS5_SB_mNS0_19identity_decomposerENS1_16block_id_wrapperIjLb1EEEEE10hipError_tT1_PNSt15iterator_traitsISG_E10value_typeET2_T3_PNSH_ISM_E10value_typeET4_T5_PSR_SS_PNS1_23onesweep_lookback_stateEbbT6_jjT7_P12ihipStream_tbENKUlT_T0_SG_SL_E_clISA_SA_SB_SB_EEDaSZ_S10_SG_SL_EUlSZ_E_NS1_11comp_targetILNS1_3genE2ELNS1_11target_archE906ELNS1_3gpuE6ELNS1_3repE0EEENS1_47radix_sort_onesweep_sort_config_static_selectorELNS0_4arch9wavefront6targetE0EEEvSG_.private_seg_size, 0
	.set _ZN7rocprim17ROCPRIM_400000_NS6detail17trampoline_kernelINS0_14default_configENS1_35radix_sort_onesweep_config_selectorIdNS0_10empty_typeEEEZZNS1_29radix_sort_onesweep_iterationIS3_Lb0EPKdPdPS5_SB_mNS0_19identity_decomposerENS1_16block_id_wrapperIjLb1EEEEE10hipError_tT1_PNSt15iterator_traitsISG_E10value_typeET2_T3_PNSH_ISM_E10value_typeET4_T5_PSR_SS_PNS1_23onesweep_lookback_stateEbbT6_jjT7_P12ihipStream_tbENKUlT_T0_SG_SL_E_clISA_SA_SB_SB_EEDaSZ_S10_SG_SL_EUlSZ_E_NS1_11comp_targetILNS1_3genE2ELNS1_11target_archE906ELNS1_3gpuE6ELNS1_3repE0EEENS1_47radix_sort_onesweep_sort_config_static_selectorELNS0_4arch9wavefront6targetE0EEEvSG_.uses_vcc, 0
	.set _ZN7rocprim17ROCPRIM_400000_NS6detail17trampoline_kernelINS0_14default_configENS1_35radix_sort_onesweep_config_selectorIdNS0_10empty_typeEEEZZNS1_29radix_sort_onesweep_iterationIS3_Lb0EPKdPdPS5_SB_mNS0_19identity_decomposerENS1_16block_id_wrapperIjLb1EEEEE10hipError_tT1_PNSt15iterator_traitsISG_E10value_typeET2_T3_PNSH_ISM_E10value_typeET4_T5_PSR_SS_PNS1_23onesweep_lookback_stateEbbT6_jjT7_P12ihipStream_tbENKUlT_T0_SG_SL_E_clISA_SA_SB_SB_EEDaSZ_S10_SG_SL_EUlSZ_E_NS1_11comp_targetILNS1_3genE2ELNS1_11target_archE906ELNS1_3gpuE6ELNS1_3repE0EEENS1_47radix_sort_onesweep_sort_config_static_selectorELNS0_4arch9wavefront6targetE0EEEvSG_.uses_flat_scratch, 0
	.set _ZN7rocprim17ROCPRIM_400000_NS6detail17trampoline_kernelINS0_14default_configENS1_35radix_sort_onesweep_config_selectorIdNS0_10empty_typeEEEZZNS1_29radix_sort_onesweep_iterationIS3_Lb0EPKdPdPS5_SB_mNS0_19identity_decomposerENS1_16block_id_wrapperIjLb1EEEEE10hipError_tT1_PNSt15iterator_traitsISG_E10value_typeET2_T3_PNSH_ISM_E10value_typeET4_T5_PSR_SS_PNS1_23onesweep_lookback_stateEbbT6_jjT7_P12ihipStream_tbENKUlT_T0_SG_SL_E_clISA_SA_SB_SB_EEDaSZ_S10_SG_SL_EUlSZ_E_NS1_11comp_targetILNS1_3genE2ELNS1_11target_archE906ELNS1_3gpuE6ELNS1_3repE0EEENS1_47radix_sort_onesweep_sort_config_static_selectorELNS0_4arch9wavefront6targetE0EEEvSG_.has_dyn_sized_stack, 0
	.set _ZN7rocprim17ROCPRIM_400000_NS6detail17trampoline_kernelINS0_14default_configENS1_35radix_sort_onesweep_config_selectorIdNS0_10empty_typeEEEZZNS1_29radix_sort_onesweep_iterationIS3_Lb0EPKdPdPS5_SB_mNS0_19identity_decomposerENS1_16block_id_wrapperIjLb1EEEEE10hipError_tT1_PNSt15iterator_traitsISG_E10value_typeET2_T3_PNSH_ISM_E10value_typeET4_T5_PSR_SS_PNS1_23onesweep_lookback_stateEbbT6_jjT7_P12ihipStream_tbENKUlT_T0_SG_SL_E_clISA_SA_SB_SB_EEDaSZ_S10_SG_SL_EUlSZ_E_NS1_11comp_targetILNS1_3genE2ELNS1_11target_archE906ELNS1_3gpuE6ELNS1_3repE0EEENS1_47radix_sort_onesweep_sort_config_static_selectorELNS0_4arch9wavefront6targetE0EEEvSG_.has_recursion, 0
	.set _ZN7rocprim17ROCPRIM_400000_NS6detail17trampoline_kernelINS0_14default_configENS1_35radix_sort_onesweep_config_selectorIdNS0_10empty_typeEEEZZNS1_29radix_sort_onesweep_iterationIS3_Lb0EPKdPdPS5_SB_mNS0_19identity_decomposerENS1_16block_id_wrapperIjLb1EEEEE10hipError_tT1_PNSt15iterator_traitsISG_E10value_typeET2_T3_PNSH_ISM_E10value_typeET4_T5_PSR_SS_PNS1_23onesweep_lookback_stateEbbT6_jjT7_P12ihipStream_tbENKUlT_T0_SG_SL_E_clISA_SA_SB_SB_EEDaSZ_S10_SG_SL_EUlSZ_E_NS1_11comp_targetILNS1_3genE2ELNS1_11target_archE906ELNS1_3gpuE6ELNS1_3repE0EEENS1_47radix_sort_onesweep_sort_config_static_selectorELNS0_4arch9wavefront6targetE0EEEvSG_.has_indirect_call, 0
	.section	.AMDGPU.csdata,"",@progbits
; Kernel info:
; codeLenInByte = 0
; TotalNumSgprs: 0
; NumVgprs: 0
; ScratchSize: 0
; MemoryBound: 0
; FloatMode: 240
; IeeeMode: 1
; LDSByteSize: 0 bytes/workgroup (compile time only)
; SGPRBlocks: 0
; VGPRBlocks: 0
; NumSGPRsForWavesPerEU: 1
; NumVGPRsForWavesPerEU: 1
; NamedBarCnt: 0
; Occupancy: 16
; WaveLimiterHint : 0
; COMPUTE_PGM_RSRC2:SCRATCH_EN: 0
; COMPUTE_PGM_RSRC2:USER_SGPR: 2
; COMPUTE_PGM_RSRC2:TRAP_HANDLER: 0
; COMPUTE_PGM_RSRC2:TGID_X_EN: 1
; COMPUTE_PGM_RSRC2:TGID_Y_EN: 0
; COMPUTE_PGM_RSRC2:TGID_Z_EN: 0
; COMPUTE_PGM_RSRC2:TIDIG_COMP_CNT: 0
	.section	.text._ZN7rocprim17ROCPRIM_400000_NS6detail17trampoline_kernelINS0_14default_configENS1_35radix_sort_onesweep_config_selectorIdNS0_10empty_typeEEEZZNS1_29radix_sort_onesweep_iterationIS3_Lb0EPKdPdPS5_SB_mNS0_19identity_decomposerENS1_16block_id_wrapperIjLb1EEEEE10hipError_tT1_PNSt15iterator_traitsISG_E10value_typeET2_T3_PNSH_ISM_E10value_typeET4_T5_PSR_SS_PNS1_23onesweep_lookback_stateEbbT6_jjT7_P12ihipStream_tbENKUlT_T0_SG_SL_E_clISA_SA_SB_SB_EEDaSZ_S10_SG_SL_EUlSZ_E_NS1_11comp_targetILNS1_3genE4ELNS1_11target_archE910ELNS1_3gpuE8ELNS1_3repE0EEENS1_47radix_sort_onesweep_sort_config_static_selectorELNS0_4arch9wavefront6targetE0EEEvSG_,"axG",@progbits,_ZN7rocprim17ROCPRIM_400000_NS6detail17trampoline_kernelINS0_14default_configENS1_35radix_sort_onesweep_config_selectorIdNS0_10empty_typeEEEZZNS1_29radix_sort_onesweep_iterationIS3_Lb0EPKdPdPS5_SB_mNS0_19identity_decomposerENS1_16block_id_wrapperIjLb1EEEEE10hipError_tT1_PNSt15iterator_traitsISG_E10value_typeET2_T3_PNSH_ISM_E10value_typeET4_T5_PSR_SS_PNS1_23onesweep_lookback_stateEbbT6_jjT7_P12ihipStream_tbENKUlT_T0_SG_SL_E_clISA_SA_SB_SB_EEDaSZ_S10_SG_SL_EUlSZ_E_NS1_11comp_targetILNS1_3genE4ELNS1_11target_archE910ELNS1_3gpuE8ELNS1_3repE0EEENS1_47radix_sort_onesweep_sort_config_static_selectorELNS0_4arch9wavefront6targetE0EEEvSG_,comdat
	.protected	_ZN7rocprim17ROCPRIM_400000_NS6detail17trampoline_kernelINS0_14default_configENS1_35radix_sort_onesweep_config_selectorIdNS0_10empty_typeEEEZZNS1_29radix_sort_onesweep_iterationIS3_Lb0EPKdPdPS5_SB_mNS0_19identity_decomposerENS1_16block_id_wrapperIjLb1EEEEE10hipError_tT1_PNSt15iterator_traitsISG_E10value_typeET2_T3_PNSH_ISM_E10value_typeET4_T5_PSR_SS_PNS1_23onesweep_lookback_stateEbbT6_jjT7_P12ihipStream_tbENKUlT_T0_SG_SL_E_clISA_SA_SB_SB_EEDaSZ_S10_SG_SL_EUlSZ_E_NS1_11comp_targetILNS1_3genE4ELNS1_11target_archE910ELNS1_3gpuE8ELNS1_3repE0EEENS1_47radix_sort_onesweep_sort_config_static_selectorELNS0_4arch9wavefront6targetE0EEEvSG_ ; -- Begin function _ZN7rocprim17ROCPRIM_400000_NS6detail17trampoline_kernelINS0_14default_configENS1_35radix_sort_onesweep_config_selectorIdNS0_10empty_typeEEEZZNS1_29radix_sort_onesweep_iterationIS3_Lb0EPKdPdPS5_SB_mNS0_19identity_decomposerENS1_16block_id_wrapperIjLb1EEEEE10hipError_tT1_PNSt15iterator_traitsISG_E10value_typeET2_T3_PNSH_ISM_E10value_typeET4_T5_PSR_SS_PNS1_23onesweep_lookback_stateEbbT6_jjT7_P12ihipStream_tbENKUlT_T0_SG_SL_E_clISA_SA_SB_SB_EEDaSZ_S10_SG_SL_EUlSZ_E_NS1_11comp_targetILNS1_3genE4ELNS1_11target_archE910ELNS1_3gpuE8ELNS1_3repE0EEENS1_47radix_sort_onesweep_sort_config_static_selectorELNS0_4arch9wavefront6targetE0EEEvSG_
	.globl	_ZN7rocprim17ROCPRIM_400000_NS6detail17trampoline_kernelINS0_14default_configENS1_35radix_sort_onesweep_config_selectorIdNS0_10empty_typeEEEZZNS1_29radix_sort_onesweep_iterationIS3_Lb0EPKdPdPS5_SB_mNS0_19identity_decomposerENS1_16block_id_wrapperIjLb1EEEEE10hipError_tT1_PNSt15iterator_traitsISG_E10value_typeET2_T3_PNSH_ISM_E10value_typeET4_T5_PSR_SS_PNS1_23onesweep_lookback_stateEbbT6_jjT7_P12ihipStream_tbENKUlT_T0_SG_SL_E_clISA_SA_SB_SB_EEDaSZ_S10_SG_SL_EUlSZ_E_NS1_11comp_targetILNS1_3genE4ELNS1_11target_archE910ELNS1_3gpuE8ELNS1_3repE0EEENS1_47radix_sort_onesweep_sort_config_static_selectorELNS0_4arch9wavefront6targetE0EEEvSG_
	.p2align	8
	.type	_ZN7rocprim17ROCPRIM_400000_NS6detail17trampoline_kernelINS0_14default_configENS1_35radix_sort_onesweep_config_selectorIdNS0_10empty_typeEEEZZNS1_29radix_sort_onesweep_iterationIS3_Lb0EPKdPdPS5_SB_mNS0_19identity_decomposerENS1_16block_id_wrapperIjLb1EEEEE10hipError_tT1_PNSt15iterator_traitsISG_E10value_typeET2_T3_PNSH_ISM_E10value_typeET4_T5_PSR_SS_PNS1_23onesweep_lookback_stateEbbT6_jjT7_P12ihipStream_tbENKUlT_T0_SG_SL_E_clISA_SA_SB_SB_EEDaSZ_S10_SG_SL_EUlSZ_E_NS1_11comp_targetILNS1_3genE4ELNS1_11target_archE910ELNS1_3gpuE8ELNS1_3repE0EEENS1_47radix_sort_onesweep_sort_config_static_selectorELNS0_4arch9wavefront6targetE0EEEvSG_,@function
_ZN7rocprim17ROCPRIM_400000_NS6detail17trampoline_kernelINS0_14default_configENS1_35radix_sort_onesweep_config_selectorIdNS0_10empty_typeEEEZZNS1_29radix_sort_onesweep_iterationIS3_Lb0EPKdPdPS5_SB_mNS0_19identity_decomposerENS1_16block_id_wrapperIjLb1EEEEE10hipError_tT1_PNSt15iterator_traitsISG_E10value_typeET2_T3_PNSH_ISM_E10value_typeET4_T5_PSR_SS_PNS1_23onesweep_lookback_stateEbbT6_jjT7_P12ihipStream_tbENKUlT_T0_SG_SL_E_clISA_SA_SB_SB_EEDaSZ_S10_SG_SL_EUlSZ_E_NS1_11comp_targetILNS1_3genE4ELNS1_11target_archE910ELNS1_3gpuE8ELNS1_3repE0EEENS1_47radix_sort_onesweep_sort_config_static_selectorELNS0_4arch9wavefront6targetE0EEEvSG_: ; @_ZN7rocprim17ROCPRIM_400000_NS6detail17trampoline_kernelINS0_14default_configENS1_35radix_sort_onesweep_config_selectorIdNS0_10empty_typeEEEZZNS1_29radix_sort_onesweep_iterationIS3_Lb0EPKdPdPS5_SB_mNS0_19identity_decomposerENS1_16block_id_wrapperIjLb1EEEEE10hipError_tT1_PNSt15iterator_traitsISG_E10value_typeET2_T3_PNSH_ISM_E10value_typeET4_T5_PSR_SS_PNS1_23onesweep_lookback_stateEbbT6_jjT7_P12ihipStream_tbENKUlT_T0_SG_SL_E_clISA_SA_SB_SB_EEDaSZ_S10_SG_SL_EUlSZ_E_NS1_11comp_targetILNS1_3genE4ELNS1_11target_archE910ELNS1_3gpuE8ELNS1_3repE0EEENS1_47radix_sort_onesweep_sort_config_static_selectorELNS0_4arch9wavefront6targetE0EEEvSG_
; %bb.0:
	.section	.rodata,"a",@progbits
	.p2align	6, 0x0
	.amdhsa_kernel _ZN7rocprim17ROCPRIM_400000_NS6detail17trampoline_kernelINS0_14default_configENS1_35radix_sort_onesweep_config_selectorIdNS0_10empty_typeEEEZZNS1_29radix_sort_onesweep_iterationIS3_Lb0EPKdPdPS5_SB_mNS0_19identity_decomposerENS1_16block_id_wrapperIjLb1EEEEE10hipError_tT1_PNSt15iterator_traitsISG_E10value_typeET2_T3_PNSH_ISM_E10value_typeET4_T5_PSR_SS_PNS1_23onesweep_lookback_stateEbbT6_jjT7_P12ihipStream_tbENKUlT_T0_SG_SL_E_clISA_SA_SB_SB_EEDaSZ_S10_SG_SL_EUlSZ_E_NS1_11comp_targetILNS1_3genE4ELNS1_11target_archE910ELNS1_3gpuE8ELNS1_3repE0EEENS1_47radix_sort_onesweep_sort_config_static_selectorELNS0_4arch9wavefront6targetE0EEEvSG_
		.amdhsa_group_segment_fixed_size 0
		.amdhsa_private_segment_fixed_size 0
		.amdhsa_kernarg_size 88
		.amdhsa_user_sgpr_count 2
		.amdhsa_user_sgpr_dispatch_ptr 0
		.amdhsa_user_sgpr_queue_ptr 0
		.amdhsa_user_sgpr_kernarg_segment_ptr 1
		.amdhsa_user_sgpr_dispatch_id 0
		.amdhsa_user_sgpr_kernarg_preload_length 0
		.amdhsa_user_sgpr_kernarg_preload_offset 0
		.amdhsa_user_sgpr_private_segment_size 0
		.amdhsa_wavefront_size32 1
		.amdhsa_uses_dynamic_stack 0
		.amdhsa_enable_private_segment 0
		.amdhsa_system_sgpr_workgroup_id_x 1
		.amdhsa_system_sgpr_workgroup_id_y 0
		.amdhsa_system_sgpr_workgroup_id_z 0
		.amdhsa_system_sgpr_workgroup_info 0
		.amdhsa_system_vgpr_workitem_id 0
		.amdhsa_next_free_vgpr 1
		.amdhsa_next_free_sgpr 1
		.amdhsa_named_barrier_count 0
		.amdhsa_reserve_vcc 0
		.amdhsa_float_round_mode_32 0
		.amdhsa_float_round_mode_16_64 0
		.amdhsa_float_denorm_mode_32 3
		.amdhsa_float_denorm_mode_16_64 3
		.amdhsa_fp16_overflow 0
		.amdhsa_memory_ordered 1
		.amdhsa_forward_progress 1
		.amdhsa_inst_pref_size 0
		.amdhsa_round_robin_scheduling 0
		.amdhsa_exception_fp_ieee_invalid_op 0
		.amdhsa_exception_fp_denorm_src 0
		.amdhsa_exception_fp_ieee_div_zero 0
		.amdhsa_exception_fp_ieee_overflow 0
		.amdhsa_exception_fp_ieee_underflow 0
		.amdhsa_exception_fp_ieee_inexact 0
		.amdhsa_exception_int_div_zero 0
	.end_amdhsa_kernel
	.section	.text._ZN7rocprim17ROCPRIM_400000_NS6detail17trampoline_kernelINS0_14default_configENS1_35radix_sort_onesweep_config_selectorIdNS0_10empty_typeEEEZZNS1_29radix_sort_onesweep_iterationIS3_Lb0EPKdPdPS5_SB_mNS0_19identity_decomposerENS1_16block_id_wrapperIjLb1EEEEE10hipError_tT1_PNSt15iterator_traitsISG_E10value_typeET2_T3_PNSH_ISM_E10value_typeET4_T5_PSR_SS_PNS1_23onesweep_lookback_stateEbbT6_jjT7_P12ihipStream_tbENKUlT_T0_SG_SL_E_clISA_SA_SB_SB_EEDaSZ_S10_SG_SL_EUlSZ_E_NS1_11comp_targetILNS1_3genE4ELNS1_11target_archE910ELNS1_3gpuE8ELNS1_3repE0EEENS1_47radix_sort_onesweep_sort_config_static_selectorELNS0_4arch9wavefront6targetE0EEEvSG_,"axG",@progbits,_ZN7rocprim17ROCPRIM_400000_NS6detail17trampoline_kernelINS0_14default_configENS1_35radix_sort_onesweep_config_selectorIdNS0_10empty_typeEEEZZNS1_29radix_sort_onesweep_iterationIS3_Lb0EPKdPdPS5_SB_mNS0_19identity_decomposerENS1_16block_id_wrapperIjLb1EEEEE10hipError_tT1_PNSt15iterator_traitsISG_E10value_typeET2_T3_PNSH_ISM_E10value_typeET4_T5_PSR_SS_PNS1_23onesweep_lookback_stateEbbT6_jjT7_P12ihipStream_tbENKUlT_T0_SG_SL_E_clISA_SA_SB_SB_EEDaSZ_S10_SG_SL_EUlSZ_E_NS1_11comp_targetILNS1_3genE4ELNS1_11target_archE910ELNS1_3gpuE8ELNS1_3repE0EEENS1_47radix_sort_onesweep_sort_config_static_selectorELNS0_4arch9wavefront6targetE0EEEvSG_,comdat
.Lfunc_end1618:
	.size	_ZN7rocprim17ROCPRIM_400000_NS6detail17trampoline_kernelINS0_14default_configENS1_35radix_sort_onesweep_config_selectorIdNS0_10empty_typeEEEZZNS1_29radix_sort_onesweep_iterationIS3_Lb0EPKdPdPS5_SB_mNS0_19identity_decomposerENS1_16block_id_wrapperIjLb1EEEEE10hipError_tT1_PNSt15iterator_traitsISG_E10value_typeET2_T3_PNSH_ISM_E10value_typeET4_T5_PSR_SS_PNS1_23onesweep_lookback_stateEbbT6_jjT7_P12ihipStream_tbENKUlT_T0_SG_SL_E_clISA_SA_SB_SB_EEDaSZ_S10_SG_SL_EUlSZ_E_NS1_11comp_targetILNS1_3genE4ELNS1_11target_archE910ELNS1_3gpuE8ELNS1_3repE0EEENS1_47radix_sort_onesweep_sort_config_static_selectorELNS0_4arch9wavefront6targetE0EEEvSG_, .Lfunc_end1618-_ZN7rocprim17ROCPRIM_400000_NS6detail17trampoline_kernelINS0_14default_configENS1_35radix_sort_onesweep_config_selectorIdNS0_10empty_typeEEEZZNS1_29radix_sort_onesweep_iterationIS3_Lb0EPKdPdPS5_SB_mNS0_19identity_decomposerENS1_16block_id_wrapperIjLb1EEEEE10hipError_tT1_PNSt15iterator_traitsISG_E10value_typeET2_T3_PNSH_ISM_E10value_typeET4_T5_PSR_SS_PNS1_23onesweep_lookback_stateEbbT6_jjT7_P12ihipStream_tbENKUlT_T0_SG_SL_E_clISA_SA_SB_SB_EEDaSZ_S10_SG_SL_EUlSZ_E_NS1_11comp_targetILNS1_3genE4ELNS1_11target_archE910ELNS1_3gpuE8ELNS1_3repE0EEENS1_47radix_sort_onesweep_sort_config_static_selectorELNS0_4arch9wavefront6targetE0EEEvSG_
                                        ; -- End function
	.set _ZN7rocprim17ROCPRIM_400000_NS6detail17trampoline_kernelINS0_14default_configENS1_35radix_sort_onesweep_config_selectorIdNS0_10empty_typeEEEZZNS1_29radix_sort_onesweep_iterationIS3_Lb0EPKdPdPS5_SB_mNS0_19identity_decomposerENS1_16block_id_wrapperIjLb1EEEEE10hipError_tT1_PNSt15iterator_traitsISG_E10value_typeET2_T3_PNSH_ISM_E10value_typeET4_T5_PSR_SS_PNS1_23onesweep_lookback_stateEbbT6_jjT7_P12ihipStream_tbENKUlT_T0_SG_SL_E_clISA_SA_SB_SB_EEDaSZ_S10_SG_SL_EUlSZ_E_NS1_11comp_targetILNS1_3genE4ELNS1_11target_archE910ELNS1_3gpuE8ELNS1_3repE0EEENS1_47radix_sort_onesweep_sort_config_static_selectorELNS0_4arch9wavefront6targetE0EEEvSG_.num_vgpr, 0
	.set _ZN7rocprim17ROCPRIM_400000_NS6detail17trampoline_kernelINS0_14default_configENS1_35radix_sort_onesweep_config_selectorIdNS0_10empty_typeEEEZZNS1_29radix_sort_onesweep_iterationIS3_Lb0EPKdPdPS5_SB_mNS0_19identity_decomposerENS1_16block_id_wrapperIjLb1EEEEE10hipError_tT1_PNSt15iterator_traitsISG_E10value_typeET2_T3_PNSH_ISM_E10value_typeET4_T5_PSR_SS_PNS1_23onesweep_lookback_stateEbbT6_jjT7_P12ihipStream_tbENKUlT_T0_SG_SL_E_clISA_SA_SB_SB_EEDaSZ_S10_SG_SL_EUlSZ_E_NS1_11comp_targetILNS1_3genE4ELNS1_11target_archE910ELNS1_3gpuE8ELNS1_3repE0EEENS1_47radix_sort_onesweep_sort_config_static_selectorELNS0_4arch9wavefront6targetE0EEEvSG_.num_agpr, 0
	.set _ZN7rocprim17ROCPRIM_400000_NS6detail17trampoline_kernelINS0_14default_configENS1_35radix_sort_onesweep_config_selectorIdNS0_10empty_typeEEEZZNS1_29radix_sort_onesweep_iterationIS3_Lb0EPKdPdPS5_SB_mNS0_19identity_decomposerENS1_16block_id_wrapperIjLb1EEEEE10hipError_tT1_PNSt15iterator_traitsISG_E10value_typeET2_T3_PNSH_ISM_E10value_typeET4_T5_PSR_SS_PNS1_23onesweep_lookback_stateEbbT6_jjT7_P12ihipStream_tbENKUlT_T0_SG_SL_E_clISA_SA_SB_SB_EEDaSZ_S10_SG_SL_EUlSZ_E_NS1_11comp_targetILNS1_3genE4ELNS1_11target_archE910ELNS1_3gpuE8ELNS1_3repE0EEENS1_47radix_sort_onesweep_sort_config_static_selectorELNS0_4arch9wavefront6targetE0EEEvSG_.numbered_sgpr, 0
	.set _ZN7rocprim17ROCPRIM_400000_NS6detail17trampoline_kernelINS0_14default_configENS1_35radix_sort_onesweep_config_selectorIdNS0_10empty_typeEEEZZNS1_29radix_sort_onesweep_iterationIS3_Lb0EPKdPdPS5_SB_mNS0_19identity_decomposerENS1_16block_id_wrapperIjLb1EEEEE10hipError_tT1_PNSt15iterator_traitsISG_E10value_typeET2_T3_PNSH_ISM_E10value_typeET4_T5_PSR_SS_PNS1_23onesweep_lookback_stateEbbT6_jjT7_P12ihipStream_tbENKUlT_T0_SG_SL_E_clISA_SA_SB_SB_EEDaSZ_S10_SG_SL_EUlSZ_E_NS1_11comp_targetILNS1_3genE4ELNS1_11target_archE910ELNS1_3gpuE8ELNS1_3repE0EEENS1_47radix_sort_onesweep_sort_config_static_selectorELNS0_4arch9wavefront6targetE0EEEvSG_.num_named_barrier, 0
	.set _ZN7rocprim17ROCPRIM_400000_NS6detail17trampoline_kernelINS0_14default_configENS1_35radix_sort_onesweep_config_selectorIdNS0_10empty_typeEEEZZNS1_29radix_sort_onesweep_iterationIS3_Lb0EPKdPdPS5_SB_mNS0_19identity_decomposerENS1_16block_id_wrapperIjLb1EEEEE10hipError_tT1_PNSt15iterator_traitsISG_E10value_typeET2_T3_PNSH_ISM_E10value_typeET4_T5_PSR_SS_PNS1_23onesweep_lookback_stateEbbT6_jjT7_P12ihipStream_tbENKUlT_T0_SG_SL_E_clISA_SA_SB_SB_EEDaSZ_S10_SG_SL_EUlSZ_E_NS1_11comp_targetILNS1_3genE4ELNS1_11target_archE910ELNS1_3gpuE8ELNS1_3repE0EEENS1_47radix_sort_onesweep_sort_config_static_selectorELNS0_4arch9wavefront6targetE0EEEvSG_.private_seg_size, 0
	.set _ZN7rocprim17ROCPRIM_400000_NS6detail17trampoline_kernelINS0_14default_configENS1_35radix_sort_onesweep_config_selectorIdNS0_10empty_typeEEEZZNS1_29radix_sort_onesweep_iterationIS3_Lb0EPKdPdPS5_SB_mNS0_19identity_decomposerENS1_16block_id_wrapperIjLb1EEEEE10hipError_tT1_PNSt15iterator_traitsISG_E10value_typeET2_T3_PNSH_ISM_E10value_typeET4_T5_PSR_SS_PNS1_23onesweep_lookback_stateEbbT6_jjT7_P12ihipStream_tbENKUlT_T0_SG_SL_E_clISA_SA_SB_SB_EEDaSZ_S10_SG_SL_EUlSZ_E_NS1_11comp_targetILNS1_3genE4ELNS1_11target_archE910ELNS1_3gpuE8ELNS1_3repE0EEENS1_47radix_sort_onesweep_sort_config_static_selectorELNS0_4arch9wavefront6targetE0EEEvSG_.uses_vcc, 0
	.set _ZN7rocprim17ROCPRIM_400000_NS6detail17trampoline_kernelINS0_14default_configENS1_35radix_sort_onesweep_config_selectorIdNS0_10empty_typeEEEZZNS1_29radix_sort_onesweep_iterationIS3_Lb0EPKdPdPS5_SB_mNS0_19identity_decomposerENS1_16block_id_wrapperIjLb1EEEEE10hipError_tT1_PNSt15iterator_traitsISG_E10value_typeET2_T3_PNSH_ISM_E10value_typeET4_T5_PSR_SS_PNS1_23onesweep_lookback_stateEbbT6_jjT7_P12ihipStream_tbENKUlT_T0_SG_SL_E_clISA_SA_SB_SB_EEDaSZ_S10_SG_SL_EUlSZ_E_NS1_11comp_targetILNS1_3genE4ELNS1_11target_archE910ELNS1_3gpuE8ELNS1_3repE0EEENS1_47radix_sort_onesweep_sort_config_static_selectorELNS0_4arch9wavefront6targetE0EEEvSG_.uses_flat_scratch, 0
	.set _ZN7rocprim17ROCPRIM_400000_NS6detail17trampoline_kernelINS0_14default_configENS1_35radix_sort_onesweep_config_selectorIdNS0_10empty_typeEEEZZNS1_29radix_sort_onesweep_iterationIS3_Lb0EPKdPdPS5_SB_mNS0_19identity_decomposerENS1_16block_id_wrapperIjLb1EEEEE10hipError_tT1_PNSt15iterator_traitsISG_E10value_typeET2_T3_PNSH_ISM_E10value_typeET4_T5_PSR_SS_PNS1_23onesweep_lookback_stateEbbT6_jjT7_P12ihipStream_tbENKUlT_T0_SG_SL_E_clISA_SA_SB_SB_EEDaSZ_S10_SG_SL_EUlSZ_E_NS1_11comp_targetILNS1_3genE4ELNS1_11target_archE910ELNS1_3gpuE8ELNS1_3repE0EEENS1_47radix_sort_onesweep_sort_config_static_selectorELNS0_4arch9wavefront6targetE0EEEvSG_.has_dyn_sized_stack, 0
	.set _ZN7rocprim17ROCPRIM_400000_NS6detail17trampoline_kernelINS0_14default_configENS1_35radix_sort_onesweep_config_selectorIdNS0_10empty_typeEEEZZNS1_29radix_sort_onesweep_iterationIS3_Lb0EPKdPdPS5_SB_mNS0_19identity_decomposerENS1_16block_id_wrapperIjLb1EEEEE10hipError_tT1_PNSt15iterator_traitsISG_E10value_typeET2_T3_PNSH_ISM_E10value_typeET4_T5_PSR_SS_PNS1_23onesweep_lookback_stateEbbT6_jjT7_P12ihipStream_tbENKUlT_T0_SG_SL_E_clISA_SA_SB_SB_EEDaSZ_S10_SG_SL_EUlSZ_E_NS1_11comp_targetILNS1_3genE4ELNS1_11target_archE910ELNS1_3gpuE8ELNS1_3repE0EEENS1_47radix_sort_onesweep_sort_config_static_selectorELNS0_4arch9wavefront6targetE0EEEvSG_.has_recursion, 0
	.set _ZN7rocprim17ROCPRIM_400000_NS6detail17trampoline_kernelINS0_14default_configENS1_35radix_sort_onesweep_config_selectorIdNS0_10empty_typeEEEZZNS1_29radix_sort_onesweep_iterationIS3_Lb0EPKdPdPS5_SB_mNS0_19identity_decomposerENS1_16block_id_wrapperIjLb1EEEEE10hipError_tT1_PNSt15iterator_traitsISG_E10value_typeET2_T3_PNSH_ISM_E10value_typeET4_T5_PSR_SS_PNS1_23onesweep_lookback_stateEbbT6_jjT7_P12ihipStream_tbENKUlT_T0_SG_SL_E_clISA_SA_SB_SB_EEDaSZ_S10_SG_SL_EUlSZ_E_NS1_11comp_targetILNS1_3genE4ELNS1_11target_archE910ELNS1_3gpuE8ELNS1_3repE0EEENS1_47radix_sort_onesweep_sort_config_static_selectorELNS0_4arch9wavefront6targetE0EEEvSG_.has_indirect_call, 0
	.section	.AMDGPU.csdata,"",@progbits
; Kernel info:
; codeLenInByte = 0
; TotalNumSgprs: 0
; NumVgprs: 0
; ScratchSize: 0
; MemoryBound: 0
; FloatMode: 240
; IeeeMode: 1
; LDSByteSize: 0 bytes/workgroup (compile time only)
; SGPRBlocks: 0
; VGPRBlocks: 0
; NumSGPRsForWavesPerEU: 1
; NumVGPRsForWavesPerEU: 1
; NamedBarCnt: 0
; Occupancy: 16
; WaveLimiterHint : 0
; COMPUTE_PGM_RSRC2:SCRATCH_EN: 0
; COMPUTE_PGM_RSRC2:USER_SGPR: 2
; COMPUTE_PGM_RSRC2:TRAP_HANDLER: 0
; COMPUTE_PGM_RSRC2:TGID_X_EN: 1
; COMPUTE_PGM_RSRC2:TGID_Y_EN: 0
; COMPUTE_PGM_RSRC2:TGID_Z_EN: 0
; COMPUTE_PGM_RSRC2:TIDIG_COMP_CNT: 0
	.section	.text._ZN7rocprim17ROCPRIM_400000_NS6detail17trampoline_kernelINS0_14default_configENS1_35radix_sort_onesweep_config_selectorIdNS0_10empty_typeEEEZZNS1_29radix_sort_onesweep_iterationIS3_Lb0EPKdPdPS5_SB_mNS0_19identity_decomposerENS1_16block_id_wrapperIjLb1EEEEE10hipError_tT1_PNSt15iterator_traitsISG_E10value_typeET2_T3_PNSH_ISM_E10value_typeET4_T5_PSR_SS_PNS1_23onesweep_lookback_stateEbbT6_jjT7_P12ihipStream_tbENKUlT_T0_SG_SL_E_clISA_SA_SB_SB_EEDaSZ_S10_SG_SL_EUlSZ_E_NS1_11comp_targetILNS1_3genE3ELNS1_11target_archE908ELNS1_3gpuE7ELNS1_3repE0EEENS1_47radix_sort_onesweep_sort_config_static_selectorELNS0_4arch9wavefront6targetE0EEEvSG_,"axG",@progbits,_ZN7rocprim17ROCPRIM_400000_NS6detail17trampoline_kernelINS0_14default_configENS1_35radix_sort_onesweep_config_selectorIdNS0_10empty_typeEEEZZNS1_29radix_sort_onesweep_iterationIS3_Lb0EPKdPdPS5_SB_mNS0_19identity_decomposerENS1_16block_id_wrapperIjLb1EEEEE10hipError_tT1_PNSt15iterator_traitsISG_E10value_typeET2_T3_PNSH_ISM_E10value_typeET4_T5_PSR_SS_PNS1_23onesweep_lookback_stateEbbT6_jjT7_P12ihipStream_tbENKUlT_T0_SG_SL_E_clISA_SA_SB_SB_EEDaSZ_S10_SG_SL_EUlSZ_E_NS1_11comp_targetILNS1_3genE3ELNS1_11target_archE908ELNS1_3gpuE7ELNS1_3repE0EEENS1_47radix_sort_onesweep_sort_config_static_selectorELNS0_4arch9wavefront6targetE0EEEvSG_,comdat
	.protected	_ZN7rocprim17ROCPRIM_400000_NS6detail17trampoline_kernelINS0_14default_configENS1_35radix_sort_onesweep_config_selectorIdNS0_10empty_typeEEEZZNS1_29radix_sort_onesweep_iterationIS3_Lb0EPKdPdPS5_SB_mNS0_19identity_decomposerENS1_16block_id_wrapperIjLb1EEEEE10hipError_tT1_PNSt15iterator_traitsISG_E10value_typeET2_T3_PNSH_ISM_E10value_typeET4_T5_PSR_SS_PNS1_23onesweep_lookback_stateEbbT6_jjT7_P12ihipStream_tbENKUlT_T0_SG_SL_E_clISA_SA_SB_SB_EEDaSZ_S10_SG_SL_EUlSZ_E_NS1_11comp_targetILNS1_3genE3ELNS1_11target_archE908ELNS1_3gpuE7ELNS1_3repE0EEENS1_47radix_sort_onesweep_sort_config_static_selectorELNS0_4arch9wavefront6targetE0EEEvSG_ ; -- Begin function _ZN7rocprim17ROCPRIM_400000_NS6detail17trampoline_kernelINS0_14default_configENS1_35radix_sort_onesweep_config_selectorIdNS0_10empty_typeEEEZZNS1_29radix_sort_onesweep_iterationIS3_Lb0EPKdPdPS5_SB_mNS0_19identity_decomposerENS1_16block_id_wrapperIjLb1EEEEE10hipError_tT1_PNSt15iterator_traitsISG_E10value_typeET2_T3_PNSH_ISM_E10value_typeET4_T5_PSR_SS_PNS1_23onesweep_lookback_stateEbbT6_jjT7_P12ihipStream_tbENKUlT_T0_SG_SL_E_clISA_SA_SB_SB_EEDaSZ_S10_SG_SL_EUlSZ_E_NS1_11comp_targetILNS1_3genE3ELNS1_11target_archE908ELNS1_3gpuE7ELNS1_3repE0EEENS1_47radix_sort_onesweep_sort_config_static_selectorELNS0_4arch9wavefront6targetE0EEEvSG_
	.globl	_ZN7rocprim17ROCPRIM_400000_NS6detail17trampoline_kernelINS0_14default_configENS1_35radix_sort_onesweep_config_selectorIdNS0_10empty_typeEEEZZNS1_29radix_sort_onesweep_iterationIS3_Lb0EPKdPdPS5_SB_mNS0_19identity_decomposerENS1_16block_id_wrapperIjLb1EEEEE10hipError_tT1_PNSt15iterator_traitsISG_E10value_typeET2_T3_PNSH_ISM_E10value_typeET4_T5_PSR_SS_PNS1_23onesweep_lookback_stateEbbT6_jjT7_P12ihipStream_tbENKUlT_T0_SG_SL_E_clISA_SA_SB_SB_EEDaSZ_S10_SG_SL_EUlSZ_E_NS1_11comp_targetILNS1_3genE3ELNS1_11target_archE908ELNS1_3gpuE7ELNS1_3repE0EEENS1_47radix_sort_onesweep_sort_config_static_selectorELNS0_4arch9wavefront6targetE0EEEvSG_
	.p2align	8
	.type	_ZN7rocprim17ROCPRIM_400000_NS6detail17trampoline_kernelINS0_14default_configENS1_35radix_sort_onesweep_config_selectorIdNS0_10empty_typeEEEZZNS1_29radix_sort_onesweep_iterationIS3_Lb0EPKdPdPS5_SB_mNS0_19identity_decomposerENS1_16block_id_wrapperIjLb1EEEEE10hipError_tT1_PNSt15iterator_traitsISG_E10value_typeET2_T3_PNSH_ISM_E10value_typeET4_T5_PSR_SS_PNS1_23onesweep_lookback_stateEbbT6_jjT7_P12ihipStream_tbENKUlT_T0_SG_SL_E_clISA_SA_SB_SB_EEDaSZ_S10_SG_SL_EUlSZ_E_NS1_11comp_targetILNS1_3genE3ELNS1_11target_archE908ELNS1_3gpuE7ELNS1_3repE0EEENS1_47radix_sort_onesweep_sort_config_static_selectorELNS0_4arch9wavefront6targetE0EEEvSG_,@function
_ZN7rocprim17ROCPRIM_400000_NS6detail17trampoline_kernelINS0_14default_configENS1_35radix_sort_onesweep_config_selectorIdNS0_10empty_typeEEEZZNS1_29radix_sort_onesweep_iterationIS3_Lb0EPKdPdPS5_SB_mNS0_19identity_decomposerENS1_16block_id_wrapperIjLb1EEEEE10hipError_tT1_PNSt15iterator_traitsISG_E10value_typeET2_T3_PNSH_ISM_E10value_typeET4_T5_PSR_SS_PNS1_23onesweep_lookback_stateEbbT6_jjT7_P12ihipStream_tbENKUlT_T0_SG_SL_E_clISA_SA_SB_SB_EEDaSZ_S10_SG_SL_EUlSZ_E_NS1_11comp_targetILNS1_3genE3ELNS1_11target_archE908ELNS1_3gpuE7ELNS1_3repE0EEENS1_47radix_sort_onesweep_sort_config_static_selectorELNS0_4arch9wavefront6targetE0EEEvSG_: ; @_ZN7rocprim17ROCPRIM_400000_NS6detail17trampoline_kernelINS0_14default_configENS1_35radix_sort_onesweep_config_selectorIdNS0_10empty_typeEEEZZNS1_29radix_sort_onesweep_iterationIS3_Lb0EPKdPdPS5_SB_mNS0_19identity_decomposerENS1_16block_id_wrapperIjLb1EEEEE10hipError_tT1_PNSt15iterator_traitsISG_E10value_typeET2_T3_PNSH_ISM_E10value_typeET4_T5_PSR_SS_PNS1_23onesweep_lookback_stateEbbT6_jjT7_P12ihipStream_tbENKUlT_T0_SG_SL_E_clISA_SA_SB_SB_EEDaSZ_S10_SG_SL_EUlSZ_E_NS1_11comp_targetILNS1_3genE3ELNS1_11target_archE908ELNS1_3gpuE7ELNS1_3repE0EEENS1_47radix_sort_onesweep_sort_config_static_selectorELNS0_4arch9wavefront6targetE0EEEvSG_
; %bb.0:
	.section	.rodata,"a",@progbits
	.p2align	6, 0x0
	.amdhsa_kernel _ZN7rocprim17ROCPRIM_400000_NS6detail17trampoline_kernelINS0_14default_configENS1_35radix_sort_onesweep_config_selectorIdNS0_10empty_typeEEEZZNS1_29radix_sort_onesweep_iterationIS3_Lb0EPKdPdPS5_SB_mNS0_19identity_decomposerENS1_16block_id_wrapperIjLb1EEEEE10hipError_tT1_PNSt15iterator_traitsISG_E10value_typeET2_T3_PNSH_ISM_E10value_typeET4_T5_PSR_SS_PNS1_23onesweep_lookback_stateEbbT6_jjT7_P12ihipStream_tbENKUlT_T0_SG_SL_E_clISA_SA_SB_SB_EEDaSZ_S10_SG_SL_EUlSZ_E_NS1_11comp_targetILNS1_3genE3ELNS1_11target_archE908ELNS1_3gpuE7ELNS1_3repE0EEENS1_47radix_sort_onesweep_sort_config_static_selectorELNS0_4arch9wavefront6targetE0EEEvSG_
		.amdhsa_group_segment_fixed_size 0
		.amdhsa_private_segment_fixed_size 0
		.amdhsa_kernarg_size 88
		.amdhsa_user_sgpr_count 2
		.amdhsa_user_sgpr_dispatch_ptr 0
		.amdhsa_user_sgpr_queue_ptr 0
		.amdhsa_user_sgpr_kernarg_segment_ptr 1
		.amdhsa_user_sgpr_dispatch_id 0
		.amdhsa_user_sgpr_kernarg_preload_length 0
		.amdhsa_user_sgpr_kernarg_preload_offset 0
		.amdhsa_user_sgpr_private_segment_size 0
		.amdhsa_wavefront_size32 1
		.amdhsa_uses_dynamic_stack 0
		.amdhsa_enable_private_segment 0
		.amdhsa_system_sgpr_workgroup_id_x 1
		.amdhsa_system_sgpr_workgroup_id_y 0
		.amdhsa_system_sgpr_workgroup_id_z 0
		.amdhsa_system_sgpr_workgroup_info 0
		.amdhsa_system_vgpr_workitem_id 0
		.amdhsa_next_free_vgpr 1
		.amdhsa_next_free_sgpr 1
		.amdhsa_named_barrier_count 0
		.amdhsa_reserve_vcc 0
		.amdhsa_float_round_mode_32 0
		.amdhsa_float_round_mode_16_64 0
		.amdhsa_float_denorm_mode_32 3
		.amdhsa_float_denorm_mode_16_64 3
		.amdhsa_fp16_overflow 0
		.amdhsa_memory_ordered 1
		.amdhsa_forward_progress 1
		.amdhsa_inst_pref_size 0
		.amdhsa_round_robin_scheduling 0
		.amdhsa_exception_fp_ieee_invalid_op 0
		.amdhsa_exception_fp_denorm_src 0
		.amdhsa_exception_fp_ieee_div_zero 0
		.amdhsa_exception_fp_ieee_overflow 0
		.amdhsa_exception_fp_ieee_underflow 0
		.amdhsa_exception_fp_ieee_inexact 0
		.amdhsa_exception_int_div_zero 0
	.end_amdhsa_kernel
	.section	.text._ZN7rocprim17ROCPRIM_400000_NS6detail17trampoline_kernelINS0_14default_configENS1_35radix_sort_onesweep_config_selectorIdNS0_10empty_typeEEEZZNS1_29radix_sort_onesweep_iterationIS3_Lb0EPKdPdPS5_SB_mNS0_19identity_decomposerENS1_16block_id_wrapperIjLb1EEEEE10hipError_tT1_PNSt15iterator_traitsISG_E10value_typeET2_T3_PNSH_ISM_E10value_typeET4_T5_PSR_SS_PNS1_23onesweep_lookback_stateEbbT6_jjT7_P12ihipStream_tbENKUlT_T0_SG_SL_E_clISA_SA_SB_SB_EEDaSZ_S10_SG_SL_EUlSZ_E_NS1_11comp_targetILNS1_3genE3ELNS1_11target_archE908ELNS1_3gpuE7ELNS1_3repE0EEENS1_47radix_sort_onesweep_sort_config_static_selectorELNS0_4arch9wavefront6targetE0EEEvSG_,"axG",@progbits,_ZN7rocprim17ROCPRIM_400000_NS6detail17trampoline_kernelINS0_14default_configENS1_35radix_sort_onesweep_config_selectorIdNS0_10empty_typeEEEZZNS1_29radix_sort_onesweep_iterationIS3_Lb0EPKdPdPS5_SB_mNS0_19identity_decomposerENS1_16block_id_wrapperIjLb1EEEEE10hipError_tT1_PNSt15iterator_traitsISG_E10value_typeET2_T3_PNSH_ISM_E10value_typeET4_T5_PSR_SS_PNS1_23onesweep_lookback_stateEbbT6_jjT7_P12ihipStream_tbENKUlT_T0_SG_SL_E_clISA_SA_SB_SB_EEDaSZ_S10_SG_SL_EUlSZ_E_NS1_11comp_targetILNS1_3genE3ELNS1_11target_archE908ELNS1_3gpuE7ELNS1_3repE0EEENS1_47radix_sort_onesweep_sort_config_static_selectorELNS0_4arch9wavefront6targetE0EEEvSG_,comdat
.Lfunc_end1619:
	.size	_ZN7rocprim17ROCPRIM_400000_NS6detail17trampoline_kernelINS0_14default_configENS1_35radix_sort_onesweep_config_selectorIdNS0_10empty_typeEEEZZNS1_29radix_sort_onesweep_iterationIS3_Lb0EPKdPdPS5_SB_mNS0_19identity_decomposerENS1_16block_id_wrapperIjLb1EEEEE10hipError_tT1_PNSt15iterator_traitsISG_E10value_typeET2_T3_PNSH_ISM_E10value_typeET4_T5_PSR_SS_PNS1_23onesweep_lookback_stateEbbT6_jjT7_P12ihipStream_tbENKUlT_T0_SG_SL_E_clISA_SA_SB_SB_EEDaSZ_S10_SG_SL_EUlSZ_E_NS1_11comp_targetILNS1_3genE3ELNS1_11target_archE908ELNS1_3gpuE7ELNS1_3repE0EEENS1_47radix_sort_onesweep_sort_config_static_selectorELNS0_4arch9wavefront6targetE0EEEvSG_, .Lfunc_end1619-_ZN7rocprim17ROCPRIM_400000_NS6detail17trampoline_kernelINS0_14default_configENS1_35radix_sort_onesweep_config_selectorIdNS0_10empty_typeEEEZZNS1_29radix_sort_onesweep_iterationIS3_Lb0EPKdPdPS5_SB_mNS0_19identity_decomposerENS1_16block_id_wrapperIjLb1EEEEE10hipError_tT1_PNSt15iterator_traitsISG_E10value_typeET2_T3_PNSH_ISM_E10value_typeET4_T5_PSR_SS_PNS1_23onesweep_lookback_stateEbbT6_jjT7_P12ihipStream_tbENKUlT_T0_SG_SL_E_clISA_SA_SB_SB_EEDaSZ_S10_SG_SL_EUlSZ_E_NS1_11comp_targetILNS1_3genE3ELNS1_11target_archE908ELNS1_3gpuE7ELNS1_3repE0EEENS1_47radix_sort_onesweep_sort_config_static_selectorELNS0_4arch9wavefront6targetE0EEEvSG_
                                        ; -- End function
	.set _ZN7rocprim17ROCPRIM_400000_NS6detail17trampoline_kernelINS0_14default_configENS1_35radix_sort_onesweep_config_selectorIdNS0_10empty_typeEEEZZNS1_29radix_sort_onesweep_iterationIS3_Lb0EPKdPdPS5_SB_mNS0_19identity_decomposerENS1_16block_id_wrapperIjLb1EEEEE10hipError_tT1_PNSt15iterator_traitsISG_E10value_typeET2_T3_PNSH_ISM_E10value_typeET4_T5_PSR_SS_PNS1_23onesweep_lookback_stateEbbT6_jjT7_P12ihipStream_tbENKUlT_T0_SG_SL_E_clISA_SA_SB_SB_EEDaSZ_S10_SG_SL_EUlSZ_E_NS1_11comp_targetILNS1_3genE3ELNS1_11target_archE908ELNS1_3gpuE7ELNS1_3repE0EEENS1_47radix_sort_onesweep_sort_config_static_selectorELNS0_4arch9wavefront6targetE0EEEvSG_.num_vgpr, 0
	.set _ZN7rocprim17ROCPRIM_400000_NS6detail17trampoline_kernelINS0_14default_configENS1_35radix_sort_onesweep_config_selectorIdNS0_10empty_typeEEEZZNS1_29radix_sort_onesweep_iterationIS3_Lb0EPKdPdPS5_SB_mNS0_19identity_decomposerENS1_16block_id_wrapperIjLb1EEEEE10hipError_tT1_PNSt15iterator_traitsISG_E10value_typeET2_T3_PNSH_ISM_E10value_typeET4_T5_PSR_SS_PNS1_23onesweep_lookback_stateEbbT6_jjT7_P12ihipStream_tbENKUlT_T0_SG_SL_E_clISA_SA_SB_SB_EEDaSZ_S10_SG_SL_EUlSZ_E_NS1_11comp_targetILNS1_3genE3ELNS1_11target_archE908ELNS1_3gpuE7ELNS1_3repE0EEENS1_47radix_sort_onesweep_sort_config_static_selectorELNS0_4arch9wavefront6targetE0EEEvSG_.num_agpr, 0
	.set _ZN7rocprim17ROCPRIM_400000_NS6detail17trampoline_kernelINS0_14default_configENS1_35radix_sort_onesweep_config_selectorIdNS0_10empty_typeEEEZZNS1_29radix_sort_onesweep_iterationIS3_Lb0EPKdPdPS5_SB_mNS0_19identity_decomposerENS1_16block_id_wrapperIjLb1EEEEE10hipError_tT1_PNSt15iterator_traitsISG_E10value_typeET2_T3_PNSH_ISM_E10value_typeET4_T5_PSR_SS_PNS1_23onesweep_lookback_stateEbbT6_jjT7_P12ihipStream_tbENKUlT_T0_SG_SL_E_clISA_SA_SB_SB_EEDaSZ_S10_SG_SL_EUlSZ_E_NS1_11comp_targetILNS1_3genE3ELNS1_11target_archE908ELNS1_3gpuE7ELNS1_3repE0EEENS1_47radix_sort_onesweep_sort_config_static_selectorELNS0_4arch9wavefront6targetE0EEEvSG_.numbered_sgpr, 0
	.set _ZN7rocprim17ROCPRIM_400000_NS6detail17trampoline_kernelINS0_14default_configENS1_35radix_sort_onesweep_config_selectorIdNS0_10empty_typeEEEZZNS1_29radix_sort_onesweep_iterationIS3_Lb0EPKdPdPS5_SB_mNS0_19identity_decomposerENS1_16block_id_wrapperIjLb1EEEEE10hipError_tT1_PNSt15iterator_traitsISG_E10value_typeET2_T3_PNSH_ISM_E10value_typeET4_T5_PSR_SS_PNS1_23onesweep_lookback_stateEbbT6_jjT7_P12ihipStream_tbENKUlT_T0_SG_SL_E_clISA_SA_SB_SB_EEDaSZ_S10_SG_SL_EUlSZ_E_NS1_11comp_targetILNS1_3genE3ELNS1_11target_archE908ELNS1_3gpuE7ELNS1_3repE0EEENS1_47radix_sort_onesweep_sort_config_static_selectorELNS0_4arch9wavefront6targetE0EEEvSG_.num_named_barrier, 0
	.set _ZN7rocprim17ROCPRIM_400000_NS6detail17trampoline_kernelINS0_14default_configENS1_35radix_sort_onesweep_config_selectorIdNS0_10empty_typeEEEZZNS1_29radix_sort_onesweep_iterationIS3_Lb0EPKdPdPS5_SB_mNS0_19identity_decomposerENS1_16block_id_wrapperIjLb1EEEEE10hipError_tT1_PNSt15iterator_traitsISG_E10value_typeET2_T3_PNSH_ISM_E10value_typeET4_T5_PSR_SS_PNS1_23onesweep_lookback_stateEbbT6_jjT7_P12ihipStream_tbENKUlT_T0_SG_SL_E_clISA_SA_SB_SB_EEDaSZ_S10_SG_SL_EUlSZ_E_NS1_11comp_targetILNS1_3genE3ELNS1_11target_archE908ELNS1_3gpuE7ELNS1_3repE0EEENS1_47radix_sort_onesweep_sort_config_static_selectorELNS0_4arch9wavefront6targetE0EEEvSG_.private_seg_size, 0
	.set _ZN7rocprim17ROCPRIM_400000_NS6detail17trampoline_kernelINS0_14default_configENS1_35radix_sort_onesweep_config_selectorIdNS0_10empty_typeEEEZZNS1_29radix_sort_onesweep_iterationIS3_Lb0EPKdPdPS5_SB_mNS0_19identity_decomposerENS1_16block_id_wrapperIjLb1EEEEE10hipError_tT1_PNSt15iterator_traitsISG_E10value_typeET2_T3_PNSH_ISM_E10value_typeET4_T5_PSR_SS_PNS1_23onesweep_lookback_stateEbbT6_jjT7_P12ihipStream_tbENKUlT_T0_SG_SL_E_clISA_SA_SB_SB_EEDaSZ_S10_SG_SL_EUlSZ_E_NS1_11comp_targetILNS1_3genE3ELNS1_11target_archE908ELNS1_3gpuE7ELNS1_3repE0EEENS1_47radix_sort_onesweep_sort_config_static_selectorELNS0_4arch9wavefront6targetE0EEEvSG_.uses_vcc, 0
	.set _ZN7rocprim17ROCPRIM_400000_NS6detail17trampoline_kernelINS0_14default_configENS1_35radix_sort_onesweep_config_selectorIdNS0_10empty_typeEEEZZNS1_29radix_sort_onesweep_iterationIS3_Lb0EPKdPdPS5_SB_mNS0_19identity_decomposerENS1_16block_id_wrapperIjLb1EEEEE10hipError_tT1_PNSt15iterator_traitsISG_E10value_typeET2_T3_PNSH_ISM_E10value_typeET4_T5_PSR_SS_PNS1_23onesweep_lookback_stateEbbT6_jjT7_P12ihipStream_tbENKUlT_T0_SG_SL_E_clISA_SA_SB_SB_EEDaSZ_S10_SG_SL_EUlSZ_E_NS1_11comp_targetILNS1_3genE3ELNS1_11target_archE908ELNS1_3gpuE7ELNS1_3repE0EEENS1_47radix_sort_onesweep_sort_config_static_selectorELNS0_4arch9wavefront6targetE0EEEvSG_.uses_flat_scratch, 0
	.set _ZN7rocprim17ROCPRIM_400000_NS6detail17trampoline_kernelINS0_14default_configENS1_35radix_sort_onesweep_config_selectorIdNS0_10empty_typeEEEZZNS1_29radix_sort_onesweep_iterationIS3_Lb0EPKdPdPS5_SB_mNS0_19identity_decomposerENS1_16block_id_wrapperIjLb1EEEEE10hipError_tT1_PNSt15iterator_traitsISG_E10value_typeET2_T3_PNSH_ISM_E10value_typeET4_T5_PSR_SS_PNS1_23onesweep_lookback_stateEbbT6_jjT7_P12ihipStream_tbENKUlT_T0_SG_SL_E_clISA_SA_SB_SB_EEDaSZ_S10_SG_SL_EUlSZ_E_NS1_11comp_targetILNS1_3genE3ELNS1_11target_archE908ELNS1_3gpuE7ELNS1_3repE0EEENS1_47radix_sort_onesweep_sort_config_static_selectorELNS0_4arch9wavefront6targetE0EEEvSG_.has_dyn_sized_stack, 0
	.set _ZN7rocprim17ROCPRIM_400000_NS6detail17trampoline_kernelINS0_14default_configENS1_35radix_sort_onesweep_config_selectorIdNS0_10empty_typeEEEZZNS1_29radix_sort_onesweep_iterationIS3_Lb0EPKdPdPS5_SB_mNS0_19identity_decomposerENS1_16block_id_wrapperIjLb1EEEEE10hipError_tT1_PNSt15iterator_traitsISG_E10value_typeET2_T3_PNSH_ISM_E10value_typeET4_T5_PSR_SS_PNS1_23onesweep_lookback_stateEbbT6_jjT7_P12ihipStream_tbENKUlT_T0_SG_SL_E_clISA_SA_SB_SB_EEDaSZ_S10_SG_SL_EUlSZ_E_NS1_11comp_targetILNS1_3genE3ELNS1_11target_archE908ELNS1_3gpuE7ELNS1_3repE0EEENS1_47radix_sort_onesweep_sort_config_static_selectorELNS0_4arch9wavefront6targetE0EEEvSG_.has_recursion, 0
	.set _ZN7rocprim17ROCPRIM_400000_NS6detail17trampoline_kernelINS0_14default_configENS1_35radix_sort_onesweep_config_selectorIdNS0_10empty_typeEEEZZNS1_29radix_sort_onesweep_iterationIS3_Lb0EPKdPdPS5_SB_mNS0_19identity_decomposerENS1_16block_id_wrapperIjLb1EEEEE10hipError_tT1_PNSt15iterator_traitsISG_E10value_typeET2_T3_PNSH_ISM_E10value_typeET4_T5_PSR_SS_PNS1_23onesweep_lookback_stateEbbT6_jjT7_P12ihipStream_tbENKUlT_T0_SG_SL_E_clISA_SA_SB_SB_EEDaSZ_S10_SG_SL_EUlSZ_E_NS1_11comp_targetILNS1_3genE3ELNS1_11target_archE908ELNS1_3gpuE7ELNS1_3repE0EEENS1_47radix_sort_onesweep_sort_config_static_selectorELNS0_4arch9wavefront6targetE0EEEvSG_.has_indirect_call, 0
	.section	.AMDGPU.csdata,"",@progbits
; Kernel info:
; codeLenInByte = 0
; TotalNumSgprs: 0
; NumVgprs: 0
; ScratchSize: 0
; MemoryBound: 0
; FloatMode: 240
; IeeeMode: 1
; LDSByteSize: 0 bytes/workgroup (compile time only)
; SGPRBlocks: 0
; VGPRBlocks: 0
; NumSGPRsForWavesPerEU: 1
; NumVGPRsForWavesPerEU: 1
; NamedBarCnt: 0
; Occupancy: 16
; WaveLimiterHint : 0
; COMPUTE_PGM_RSRC2:SCRATCH_EN: 0
; COMPUTE_PGM_RSRC2:USER_SGPR: 2
; COMPUTE_PGM_RSRC2:TRAP_HANDLER: 0
; COMPUTE_PGM_RSRC2:TGID_X_EN: 1
; COMPUTE_PGM_RSRC2:TGID_Y_EN: 0
; COMPUTE_PGM_RSRC2:TGID_Z_EN: 0
; COMPUTE_PGM_RSRC2:TIDIG_COMP_CNT: 0
	.section	.text._ZN7rocprim17ROCPRIM_400000_NS6detail17trampoline_kernelINS0_14default_configENS1_35radix_sort_onesweep_config_selectorIdNS0_10empty_typeEEEZZNS1_29radix_sort_onesweep_iterationIS3_Lb0EPKdPdPS5_SB_mNS0_19identity_decomposerENS1_16block_id_wrapperIjLb1EEEEE10hipError_tT1_PNSt15iterator_traitsISG_E10value_typeET2_T3_PNSH_ISM_E10value_typeET4_T5_PSR_SS_PNS1_23onesweep_lookback_stateEbbT6_jjT7_P12ihipStream_tbENKUlT_T0_SG_SL_E_clISA_SA_SB_SB_EEDaSZ_S10_SG_SL_EUlSZ_E_NS1_11comp_targetILNS1_3genE10ELNS1_11target_archE1201ELNS1_3gpuE5ELNS1_3repE0EEENS1_47radix_sort_onesweep_sort_config_static_selectorELNS0_4arch9wavefront6targetE0EEEvSG_,"axG",@progbits,_ZN7rocprim17ROCPRIM_400000_NS6detail17trampoline_kernelINS0_14default_configENS1_35radix_sort_onesweep_config_selectorIdNS0_10empty_typeEEEZZNS1_29radix_sort_onesweep_iterationIS3_Lb0EPKdPdPS5_SB_mNS0_19identity_decomposerENS1_16block_id_wrapperIjLb1EEEEE10hipError_tT1_PNSt15iterator_traitsISG_E10value_typeET2_T3_PNSH_ISM_E10value_typeET4_T5_PSR_SS_PNS1_23onesweep_lookback_stateEbbT6_jjT7_P12ihipStream_tbENKUlT_T0_SG_SL_E_clISA_SA_SB_SB_EEDaSZ_S10_SG_SL_EUlSZ_E_NS1_11comp_targetILNS1_3genE10ELNS1_11target_archE1201ELNS1_3gpuE5ELNS1_3repE0EEENS1_47radix_sort_onesweep_sort_config_static_selectorELNS0_4arch9wavefront6targetE0EEEvSG_,comdat
	.protected	_ZN7rocprim17ROCPRIM_400000_NS6detail17trampoline_kernelINS0_14default_configENS1_35radix_sort_onesweep_config_selectorIdNS0_10empty_typeEEEZZNS1_29radix_sort_onesweep_iterationIS3_Lb0EPKdPdPS5_SB_mNS0_19identity_decomposerENS1_16block_id_wrapperIjLb1EEEEE10hipError_tT1_PNSt15iterator_traitsISG_E10value_typeET2_T3_PNSH_ISM_E10value_typeET4_T5_PSR_SS_PNS1_23onesweep_lookback_stateEbbT6_jjT7_P12ihipStream_tbENKUlT_T0_SG_SL_E_clISA_SA_SB_SB_EEDaSZ_S10_SG_SL_EUlSZ_E_NS1_11comp_targetILNS1_3genE10ELNS1_11target_archE1201ELNS1_3gpuE5ELNS1_3repE0EEENS1_47radix_sort_onesweep_sort_config_static_selectorELNS0_4arch9wavefront6targetE0EEEvSG_ ; -- Begin function _ZN7rocprim17ROCPRIM_400000_NS6detail17trampoline_kernelINS0_14default_configENS1_35radix_sort_onesweep_config_selectorIdNS0_10empty_typeEEEZZNS1_29radix_sort_onesweep_iterationIS3_Lb0EPKdPdPS5_SB_mNS0_19identity_decomposerENS1_16block_id_wrapperIjLb1EEEEE10hipError_tT1_PNSt15iterator_traitsISG_E10value_typeET2_T3_PNSH_ISM_E10value_typeET4_T5_PSR_SS_PNS1_23onesweep_lookback_stateEbbT6_jjT7_P12ihipStream_tbENKUlT_T0_SG_SL_E_clISA_SA_SB_SB_EEDaSZ_S10_SG_SL_EUlSZ_E_NS1_11comp_targetILNS1_3genE10ELNS1_11target_archE1201ELNS1_3gpuE5ELNS1_3repE0EEENS1_47radix_sort_onesweep_sort_config_static_selectorELNS0_4arch9wavefront6targetE0EEEvSG_
	.globl	_ZN7rocprim17ROCPRIM_400000_NS6detail17trampoline_kernelINS0_14default_configENS1_35radix_sort_onesweep_config_selectorIdNS0_10empty_typeEEEZZNS1_29radix_sort_onesweep_iterationIS3_Lb0EPKdPdPS5_SB_mNS0_19identity_decomposerENS1_16block_id_wrapperIjLb1EEEEE10hipError_tT1_PNSt15iterator_traitsISG_E10value_typeET2_T3_PNSH_ISM_E10value_typeET4_T5_PSR_SS_PNS1_23onesweep_lookback_stateEbbT6_jjT7_P12ihipStream_tbENKUlT_T0_SG_SL_E_clISA_SA_SB_SB_EEDaSZ_S10_SG_SL_EUlSZ_E_NS1_11comp_targetILNS1_3genE10ELNS1_11target_archE1201ELNS1_3gpuE5ELNS1_3repE0EEENS1_47radix_sort_onesweep_sort_config_static_selectorELNS0_4arch9wavefront6targetE0EEEvSG_
	.p2align	8
	.type	_ZN7rocprim17ROCPRIM_400000_NS6detail17trampoline_kernelINS0_14default_configENS1_35radix_sort_onesweep_config_selectorIdNS0_10empty_typeEEEZZNS1_29radix_sort_onesweep_iterationIS3_Lb0EPKdPdPS5_SB_mNS0_19identity_decomposerENS1_16block_id_wrapperIjLb1EEEEE10hipError_tT1_PNSt15iterator_traitsISG_E10value_typeET2_T3_PNSH_ISM_E10value_typeET4_T5_PSR_SS_PNS1_23onesweep_lookback_stateEbbT6_jjT7_P12ihipStream_tbENKUlT_T0_SG_SL_E_clISA_SA_SB_SB_EEDaSZ_S10_SG_SL_EUlSZ_E_NS1_11comp_targetILNS1_3genE10ELNS1_11target_archE1201ELNS1_3gpuE5ELNS1_3repE0EEENS1_47radix_sort_onesweep_sort_config_static_selectorELNS0_4arch9wavefront6targetE0EEEvSG_,@function
_ZN7rocprim17ROCPRIM_400000_NS6detail17trampoline_kernelINS0_14default_configENS1_35radix_sort_onesweep_config_selectorIdNS0_10empty_typeEEEZZNS1_29radix_sort_onesweep_iterationIS3_Lb0EPKdPdPS5_SB_mNS0_19identity_decomposerENS1_16block_id_wrapperIjLb1EEEEE10hipError_tT1_PNSt15iterator_traitsISG_E10value_typeET2_T3_PNSH_ISM_E10value_typeET4_T5_PSR_SS_PNS1_23onesweep_lookback_stateEbbT6_jjT7_P12ihipStream_tbENKUlT_T0_SG_SL_E_clISA_SA_SB_SB_EEDaSZ_S10_SG_SL_EUlSZ_E_NS1_11comp_targetILNS1_3genE10ELNS1_11target_archE1201ELNS1_3gpuE5ELNS1_3repE0EEENS1_47radix_sort_onesweep_sort_config_static_selectorELNS0_4arch9wavefront6targetE0EEEvSG_: ; @_ZN7rocprim17ROCPRIM_400000_NS6detail17trampoline_kernelINS0_14default_configENS1_35radix_sort_onesweep_config_selectorIdNS0_10empty_typeEEEZZNS1_29radix_sort_onesweep_iterationIS3_Lb0EPKdPdPS5_SB_mNS0_19identity_decomposerENS1_16block_id_wrapperIjLb1EEEEE10hipError_tT1_PNSt15iterator_traitsISG_E10value_typeET2_T3_PNSH_ISM_E10value_typeET4_T5_PSR_SS_PNS1_23onesweep_lookback_stateEbbT6_jjT7_P12ihipStream_tbENKUlT_T0_SG_SL_E_clISA_SA_SB_SB_EEDaSZ_S10_SG_SL_EUlSZ_E_NS1_11comp_targetILNS1_3genE10ELNS1_11target_archE1201ELNS1_3gpuE5ELNS1_3repE0EEENS1_47radix_sort_onesweep_sort_config_static_selectorELNS0_4arch9wavefront6targetE0EEEvSG_
; %bb.0:
	.section	.rodata,"a",@progbits
	.p2align	6, 0x0
	.amdhsa_kernel _ZN7rocprim17ROCPRIM_400000_NS6detail17trampoline_kernelINS0_14default_configENS1_35radix_sort_onesweep_config_selectorIdNS0_10empty_typeEEEZZNS1_29radix_sort_onesweep_iterationIS3_Lb0EPKdPdPS5_SB_mNS0_19identity_decomposerENS1_16block_id_wrapperIjLb1EEEEE10hipError_tT1_PNSt15iterator_traitsISG_E10value_typeET2_T3_PNSH_ISM_E10value_typeET4_T5_PSR_SS_PNS1_23onesweep_lookback_stateEbbT6_jjT7_P12ihipStream_tbENKUlT_T0_SG_SL_E_clISA_SA_SB_SB_EEDaSZ_S10_SG_SL_EUlSZ_E_NS1_11comp_targetILNS1_3genE10ELNS1_11target_archE1201ELNS1_3gpuE5ELNS1_3repE0EEENS1_47radix_sort_onesweep_sort_config_static_selectorELNS0_4arch9wavefront6targetE0EEEvSG_
		.amdhsa_group_segment_fixed_size 0
		.amdhsa_private_segment_fixed_size 0
		.amdhsa_kernarg_size 88
		.amdhsa_user_sgpr_count 2
		.amdhsa_user_sgpr_dispatch_ptr 0
		.amdhsa_user_sgpr_queue_ptr 0
		.amdhsa_user_sgpr_kernarg_segment_ptr 1
		.amdhsa_user_sgpr_dispatch_id 0
		.amdhsa_user_sgpr_kernarg_preload_length 0
		.amdhsa_user_sgpr_kernarg_preload_offset 0
		.amdhsa_user_sgpr_private_segment_size 0
		.amdhsa_wavefront_size32 1
		.amdhsa_uses_dynamic_stack 0
		.amdhsa_enable_private_segment 0
		.amdhsa_system_sgpr_workgroup_id_x 1
		.amdhsa_system_sgpr_workgroup_id_y 0
		.amdhsa_system_sgpr_workgroup_id_z 0
		.amdhsa_system_sgpr_workgroup_info 0
		.amdhsa_system_vgpr_workitem_id 0
		.amdhsa_next_free_vgpr 1
		.amdhsa_next_free_sgpr 1
		.amdhsa_named_barrier_count 0
		.amdhsa_reserve_vcc 0
		.amdhsa_float_round_mode_32 0
		.amdhsa_float_round_mode_16_64 0
		.amdhsa_float_denorm_mode_32 3
		.amdhsa_float_denorm_mode_16_64 3
		.amdhsa_fp16_overflow 0
		.amdhsa_memory_ordered 1
		.amdhsa_forward_progress 1
		.amdhsa_inst_pref_size 0
		.amdhsa_round_robin_scheduling 0
		.amdhsa_exception_fp_ieee_invalid_op 0
		.amdhsa_exception_fp_denorm_src 0
		.amdhsa_exception_fp_ieee_div_zero 0
		.amdhsa_exception_fp_ieee_overflow 0
		.amdhsa_exception_fp_ieee_underflow 0
		.amdhsa_exception_fp_ieee_inexact 0
		.amdhsa_exception_int_div_zero 0
	.end_amdhsa_kernel
	.section	.text._ZN7rocprim17ROCPRIM_400000_NS6detail17trampoline_kernelINS0_14default_configENS1_35radix_sort_onesweep_config_selectorIdNS0_10empty_typeEEEZZNS1_29radix_sort_onesweep_iterationIS3_Lb0EPKdPdPS5_SB_mNS0_19identity_decomposerENS1_16block_id_wrapperIjLb1EEEEE10hipError_tT1_PNSt15iterator_traitsISG_E10value_typeET2_T3_PNSH_ISM_E10value_typeET4_T5_PSR_SS_PNS1_23onesweep_lookback_stateEbbT6_jjT7_P12ihipStream_tbENKUlT_T0_SG_SL_E_clISA_SA_SB_SB_EEDaSZ_S10_SG_SL_EUlSZ_E_NS1_11comp_targetILNS1_3genE10ELNS1_11target_archE1201ELNS1_3gpuE5ELNS1_3repE0EEENS1_47radix_sort_onesweep_sort_config_static_selectorELNS0_4arch9wavefront6targetE0EEEvSG_,"axG",@progbits,_ZN7rocprim17ROCPRIM_400000_NS6detail17trampoline_kernelINS0_14default_configENS1_35radix_sort_onesweep_config_selectorIdNS0_10empty_typeEEEZZNS1_29radix_sort_onesweep_iterationIS3_Lb0EPKdPdPS5_SB_mNS0_19identity_decomposerENS1_16block_id_wrapperIjLb1EEEEE10hipError_tT1_PNSt15iterator_traitsISG_E10value_typeET2_T3_PNSH_ISM_E10value_typeET4_T5_PSR_SS_PNS1_23onesweep_lookback_stateEbbT6_jjT7_P12ihipStream_tbENKUlT_T0_SG_SL_E_clISA_SA_SB_SB_EEDaSZ_S10_SG_SL_EUlSZ_E_NS1_11comp_targetILNS1_3genE10ELNS1_11target_archE1201ELNS1_3gpuE5ELNS1_3repE0EEENS1_47radix_sort_onesweep_sort_config_static_selectorELNS0_4arch9wavefront6targetE0EEEvSG_,comdat
.Lfunc_end1620:
	.size	_ZN7rocprim17ROCPRIM_400000_NS6detail17trampoline_kernelINS0_14default_configENS1_35radix_sort_onesweep_config_selectorIdNS0_10empty_typeEEEZZNS1_29radix_sort_onesweep_iterationIS3_Lb0EPKdPdPS5_SB_mNS0_19identity_decomposerENS1_16block_id_wrapperIjLb1EEEEE10hipError_tT1_PNSt15iterator_traitsISG_E10value_typeET2_T3_PNSH_ISM_E10value_typeET4_T5_PSR_SS_PNS1_23onesweep_lookback_stateEbbT6_jjT7_P12ihipStream_tbENKUlT_T0_SG_SL_E_clISA_SA_SB_SB_EEDaSZ_S10_SG_SL_EUlSZ_E_NS1_11comp_targetILNS1_3genE10ELNS1_11target_archE1201ELNS1_3gpuE5ELNS1_3repE0EEENS1_47radix_sort_onesweep_sort_config_static_selectorELNS0_4arch9wavefront6targetE0EEEvSG_, .Lfunc_end1620-_ZN7rocprim17ROCPRIM_400000_NS6detail17trampoline_kernelINS0_14default_configENS1_35radix_sort_onesweep_config_selectorIdNS0_10empty_typeEEEZZNS1_29radix_sort_onesweep_iterationIS3_Lb0EPKdPdPS5_SB_mNS0_19identity_decomposerENS1_16block_id_wrapperIjLb1EEEEE10hipError_tT1_PNSt15iterator_traitsISG_E10value_typeET2_T3_PNSH_ISM_E10value_typeET4_T5_PSR_SS_PNS1_23onesweep_lookback_stateEbbT6_jjT7_P12ihipStream_tbENKUlT_T0_SG_SL_E_clISA_SA_SB_SB_EEDaSZ_S10_SG_SL_EUlSZ_E_NS1_11comp_targetILNS1_3genE10ELNS1_11target_archE1201ELNS1_3gpuE5ELNS1_3repE0EEENS1_47radix_sort_onesweep_sort_config_static_selectorELNS0_4arch9wavefront6targetE0EEEvSG_
                                        ; -- End function
	.set _ZN7rocprim17ROCPRIM_400000_NS6detail17trampoline_kernelINS0_14default_configENS1_35radix_sort_onesweep_config_selectorIdNS0_10empty_typeEEEZZNS1_29radix_sort_onesweep_iterationIS3_Lb0EPKdPdPS5_SB_mNS0_19identity_decomposerENS1_16block_id_wrapperIjLb1EEEEE10hipError_tT1_PNSt15iterator_traitsISG_E10value_typeET2_T3_PNSH_ISM_E10value_typeET4_T5_PSR_SS_PNS1_23onesweep_lookback_stateEbbT6_jjT7_P12ihipStream_tbENKUlT_T0_SG_SL_E_clISA_SA_SB_SB_EEDaSZ_S10_SG_SL_EUlSZ_E_NS1_11comp_targetILNS1_3genE10ELNS1_11target_archE1201ELNS1_3gpuE5ELNS1_3repE0EEENS1_47radix_sort_onesweep_sort_config_static_selectorELNS0_4arch9wavefront6targetE0EEEvSG_.num_vgpr, 0
	.set _ZN7rocprim17ROCPRIM_400000_NS6detail17trampoline_kernelINS0_14default_configENS1_35radix_sort_onesweep_config_selectorIdNS0_10empty_typeEEEZZNS1_29radix_sort_onesweep_iterationIS3_Lb0EPKdPdPS5_SB_mNS0_19identity_decomposerENS1_16block_id_wrapperIjLb1EEEEE10hipError_tT1_PNSt15iterator_traitsISG_E10value_typeET2_T3_PNSH_ISM_E10value_typeET4_T5_PSR_SS_PNS1_23onesweep_lookback_stateEbbT6_jjT7_P12ihipStream_tbENKUlT_T0_SG_SL_E_clISA_SA_SB_SB_EEDaSZ_S10_SG_SL_EUlSZ_E_NS1_11comp_targetILNS1_3genE10ELNS1_11target_archE1201ELNS1_3gpuE5ELNS1_3repE0EEENS1_47radix_sort_onesweep_sort_config_static_selectorELNS0_4arch9wavefront6targetE0EEEvSG_.num_agpr, 0
	.set _ZN7rocprim17ROCPRIM_400000_NS6detail17trampoline_kernelINS0_14default_configENS1_35radix_sort_onesweep_config_selectorIdNS0_10empty_typeEEEZZNS1_29radix_sort_onesweep_iterationIS3_Lb0EPKdPdPS5_SB_mNS0_19identity_decomposerENS1_16block_id_wrapperIjLb1EEEEE10hipError_tT1_PNSt15iterator_traitsISG_E10value_typeET2_T3_PNSH_ISM_E10value_typeET4_T5_PSR_SS_PNS1_23onesweep_lookback_stateEbbT6_jjT7_P12ihipStream_tbENKUlT_T0_SG_SL_E_clISA_SA_SB_SB_EEDaSZ_S10_SG_SL_EUlSZ_E_NS1_11comp_targetILNS1_3genE10ELNS1_11target_archE1201ELNS1_3gpuE5ELNS1_3repE0EEENS1_47radix_sort_onesweep_sort_config_static_selectorELNS0_4arch9wavefront6targetE0EEEvSG_.numbered_sgpr, 0
	.set _ZN7rocprim17ROCPRIM_400000_NS6detail17trampoline_kernelINS0_14default_configENS1_35radix_sort_onesweep_config_selectorIdNS0_10empty_typeEEEZZNS1_29radix_sort_onesweep_iterationIS3_Lb0EPKdPdPS5_SB_mNS0_19identity_decomposerENS1_16block_id_wrapperIjLb1EEEEE10hipError_tT1_PNSt15iterator_traitsISG_E10value_typeET2_T3_PNSH_ISM_E10value_typeET4_T5_PSR_SS_PNS1_23onesweep_lookback_stateEbbT6_jjT7_P12ihipStream_tbENKUlT_T0_SG_SL_E_clISA_SA_SB_SB_EEDaSZ_S10_SG_SL_EUlSZ_E_NS1_11comp_targetILNS1_3genE10ELNS1_11target_archE1201ELNS1_3gpuE5ELNS1_3repE0EEENS1_47radix_sort_onesweep_sort_config_static_selectorELNS0_4arch9wavefront6targetE0EEEvSG_.num_named_barrier, 0
	.set _ZN7rocprim17ROCPRIM_400000_NS6detail17trampoline_kernelINS0_14default_configENS1_35radix_sort_onesweep_config_selectorIdNS0_10empty_typeEEEZZNS1_29radix_sort_onesweep_iterationIS3_Lb0EPKdPdPS5_SB_mNS0_19identity_decomposerENS1_16block_id_wrapperIjLb1EEEEE10hipError_tT1_PNSt15iterator_traitsISG_E10value_typeET2_T3_PNSH_ISM_E10value_typeET4_T5_PSR_SS_PNS1_23onesweep_lookback_stateEbbT6_jjT7_P12ihipStream_tbENKUlT_T0_SG_SL_E_clISA_SA_SB_SB_EEDaSZ_S10_SG_SL_EUlSZ_E_NS1_11comp_targetILNS1_3genE10ELNS1_11target_archE1201ELNS1_3gpuE5ELNS1_3repE0EEENS1_47radix_sort_onesweep_sort_config_static_selectorELNS0_4arch9wavefront6targetE0EEEvSG_.private_seg_size, 0
	.set _ZN7rocprim17ROCPRIM_400000_NS6detail17trampoline_kernelINS0_14default_configENS1_35radix_sort_onesweep_config_selectorIdNS0_10empty_typeEEEZZNS1_29radix_sort_onesweep_iterationIS3_Lb0EPKdPdPS5_SB_mNS0_19identity_decomposerENS1_16block_id_wrapperIjLb1EEEEE10hipError_tT1_PNSt15iterator_traitsISG_E10value_typeET2_T3_PNSH_ISM_E10value_typeET4_T5_PSR_SS_PNS1_23onesweep_lookback_stateEbbT6_jjT7_P12ihipStream_tbENKUlT_T0_SG_SL_E_clISA_SA_SB_SB_EEDaSZ_S10_SG_SL_EUlSZ_E_NS1_11comp_targetILNS1_3genE10ELNS1_11target_archE1201ELNS1_3gpuE5ELNS1_3repE0EEENS1_47radix_sort_onesweep_sort_config_static_selectorELNS0_4arch9wavefront6targetE0EEEvSG_.uses_vcc, 0
	.set _ZN7rocprim17ROCPRIM_400000_NS6detail17trampoline_kernelINS0_14default_configENS1_35radix_sort_onesweep_config_selectorIdNS0_10empty_typeEEEZZNS1_29radix_sort_onesweep_iterationIS3_Lb0EPKdPdPS5_SB_mNS0_19identity_decomposerENS1_16block_id_wrapperIjLb1EEEEE10hipError_tT1_PNSt15iterator_traitsISG_E10value_typeET2_T3_PNSH_ISM_E10value_typeET4_T5_PSR_SS_PNS1_23onesweep_lookback_stateEbbT6_jjT7_P12ihipStream_tbENKUlT_T0_SG_SL_E_clISA_SA_SB_SB_EEDaSZ_S10_SG_SL_EUlSZ_E_NS1_11comp_targetILNS1_3genE10ELNS1_11target_archE1201ELNS1_3gpuE5ELNS1_3repE0EEENS1_47radix_sort_onesweep_sort_config_static_selectorELNS0_4arch9wavefront6targetE0EEEvSG_.uses_flat_scratch, 0
	.set _ZN7rocprim17ROCPRIM_400000_NS6detail17trampoline_kernelINS0_14default_configENS1_35radix_sort_onesweep_config_selectorIdNS0_10empty_typeEEEZZNS1_29radix_sort_onesweep_iterationIS3_Lb0EPKdPdPS5_SB_mNS0_19identity_decomposerENS1_16block_id_wrapperIjLb1EEEEE10hipError_tT1_PNSt15iterator_traitsISG_E10value_typeET2_T3_PNSH_ISM_E10value_typeET4_T5_PSR_SS_PNS1_23onesweep_lookback_stateEbbT6_jjT7_P12ihipStream_tbENKUlT_T0_SG_SL_E_clISA_SA_SB_SB_EEDaSZ_S10_SG_SL_EUlSZ_E_NS1_11comp_targetILNS1_3genE10ELNS1_11target_archE1201ELNS1_3gpuE5ELNS1_3repE0EEENS1_47radix_sort_onesweep_sort_config_static_selectorELNS0_4arch9wavefront6targetE0EEEvSG_.has_dyn_sized_stack, 0
	.set _ZN7rocprim17ROCPRIM_400000_NS6detail17trampoline_kernelINS0_14default_configENS1_35radix_sort_onesweep_config_selectorIdNS0_10empty_typeEEEZZNS1_29radix_sort_onesweep_iterationIS3_Lb0EPKdPdPS5_SB_mNS0_19identity_decomposerENS1_16block_id_wrapperIjLb1EEEEE10hipError_tT1_PNSt15iterator_traitsISG_E10value_typeET2_T3_PNSH_ISM_E10value_typeET4_T5_PSR_SS_PNS1_23onesweep_lookback_stateEbbT6_jjT7_P12ihipStream_tbENKUlT_T0_SG_SL_E_clISA_SA_SB_SB_EEDaSZ_S10_SG_SL_EUlSZ_E_NS1_11comp_targetILNS1_3genE10ELNS1_11target_archE1201ELNS1_3gpuE5ELNS1_3repE0EEENS1_47radix_sort_onesweep_sort_config_static_selectorELNS0_4arch9wavefront6targetE0EEEvSG_.has_recursion, 0
	.set _ZN7rocprim17ROCPRIM_400000_NS6detail17trampoline_kernelINS0_14default_configENS1_35radix_sort_onesweep_config_selectorIdNS0_10empty_typeEEEZZNS1_29radix_sort_onesweep_iterationIS3_Lb0EPKdPdPS5_SB_mNS0_19identity_decomposerENS1_16block_id_wrapperIjLb1EEEEE10hipError_tT1_PNSt15iterator_traitsISG_E10value_typeET2_T3_PNSH_ISM_E10value_typeET4_T5_PSR_SS_PNS1_23onesweep_lookback_stateEbbT6_jjT7_P12ihipStream_tbENKUlT_T0_SG_SL_E_clISA_SA_SB_SB_EEDaSZ_S10_SG_SL_EUlSZ_E_NS1_11comp_targetILNS1_3genE10ELNS1_11target_archE1201ELNS1_3gpuE5ELNS1_3repE0EEENS1_47radix_sort_onesweep_sort_config_static_selectorELNS0_4arch9wavefront6targetE0EEEvSG_.has_indirect_call, 0
	.section	.AMDGPU.csdata,"",@progbits
; Kernel info:
; codeLenInByte = 0
; TotalNumSgprs: 0
; NumVgprs: 0
; ScratchSize: 0
; MemoryBound: 0
; FloatMode: 240
; IeeeMode: 1
; LDSByteSize: 0 bytes/workgroup (compile time only)
; SGPRBlocks: 0
; VGPRBlocks: 0
; NumSGPRsForWavesPerEU: 1
; NumVGPRsForWavesPerEU: 1
; NamedBarCnt: 0
; Occupancy: 16
; WaveLimiterHint : 0
; COMPUTE_PGM_RSRC2:SCRATCH_EN: 0
; COMPUTE_PGM_RSRC2:USER_SGPR: 2
; COMPUTE_PGM_RSRC2:TRAP_HANDLER: 0
; COMPUTE_PGM_RSRC2:TGID_X_EN: 1
; COMPUTE_PGM_RSRC2:TGID_Y_EN: 0
; COMPUTE_PGM_RSRC2:TGID_Z_EN: 0
; COMPUTE_PGM_RSRC2:TIDIG_COMP_CNT: 0
	.section	.text._ZN7rocprim17ROCPRIM_400000_NS6detail17trampoline_kernelINS0_14default_configENS1_35radix_sort_onesweep_config_selectorIdNS0_10empty_typeEEEZZNS1_29radix_sort_onesweep_iterationIS3_Lb0EPKdPdPS5_SB_mNS0_19identity_decomposerENS1_16block_id_wrapperIjLb1EEEEE10hipError_tT1_PNSt15iterator_traitsISG_E10value_typeET2_T3_PNSH_ISM_E10value_typeET4_T5_PSR_SS_PNS1_23onesweep_lookback_stateEbbT6_jjT7_P12ihipStream_tbENKUlT_T0_SG_SL_E_clISA_SA_SB_SB_EEDaSZ_S10_SG_SL_EUlSZ_E_NS1_11comp_targetILNS1_3genE9ELNS1_11target_archE1100ELNS1_3gpuE3ELNS1_3repE0EEENS1_47radix_sort_onesweep_sort_config_static_selectorELNS0_4arch9wavefront6targetE0EEEvSG_,"axG",@progbits,_ZN7rocprim17ROCPRIM_400000_NS6detail17trampoline_kernelINS0_14default_configENS1_35radix_sort_onesweep_config_selectorIdNS0_10empty_typeEEEZZNS1_29radix_sort_onesweep_iterationIS3_Lb0EPKdPdPS5_SB_mNS0_19identity_decomposerENS1_16block_id_wrapperIjLb1EEEEE10hipError_tT1_PNSt15iterator_traitsISG_E10value_typeET2_T3_PNSH_ISM_E10value_typeET4_T5_PSR_SS_PNS1_23onesweep_lookback_stateEbbT6_jjT7_P12ihipStream_tbENKUlT_T0_SG_SL_E_clISA_SA_SB_SB_EEDaSZ_S10_SG_SL_EUlSZ_E_NS1_11comp_targetILNS1_3genE9ELNS1_11target_archE1100ELNS1_3gpuE3ELNS1_3repE0EEENS1_47radix_sort_onesweep_sort_config_static_selectorELNS0_4arch9wavefront6targetE0EEEvSG_,comdat
	.protected	_ZN7rocprim17ROCPRIM_400000_NS6detail17trampoline_kernelINS0_14default_configENS1_35radix_sort_onesweep_config_selectorIdNS0_10empty_typeEEEZZNS1_29radix_sort_onesweep_iterationIS3_Lb0EPKdPdPS5_SB_mNS0_19identity_decomposerENS1_16block_id_wrapperIjLb1EEEEE10hipError_tT1_PNSt15iterator_traitsISG_E10value_typeET2_T3_PNSH_ISM_E10value_typeET4_T5_PSR_SS_PNS1_23onesweep_lookback_stateEbbT6_jjT7_P12ihipStream_tbENKUlT_T0_SG_SL_E_clISA_SA_SB_SB_EEDaSZ_S10_SG_SL_EUlSZ_E_NS1_11comp_targetILNS1_3genE9ELNS1_11target_archE1100ELNS1_3gpuE3ELNS1_3repE0EEENS1_47radix_sort_onesweep_sort_config_static_selectorELNS0_4arch9wavefront6targetE0EEEvSG_ ; -- Begin function _ZN7rocprim17ROCPRIM_400000_NS6detail17trampoline_kernelINS0_14default_configENS1_35radix_sort_onesweep_config_selectorIdNS0_10empty_typeEEEZZNS1_29radix_sort_onesweep_iterationIS3_Lb0EPKdPdPS5_SB_mNS0_19identity_decomposerENS1_16block_id_wrapperIjLb1EEEEE10hipError_tT1_PNSt15iterator_traitsISG_E10value_typeET2_T3_PNSH_ISM_E10value_typeET4_T5_PSR_SS_PNS1_23onesweep_lookback_stateEbbT6_jjT7_P12ihipStream_tbENKUlT_T0_SG_SL_E_clISA_SA_SB_SB_EEDaSZ_S10_SG_SL_EUlSZ_E_NS1_11comp_targetILNS1_3genE9ELNS1_11target_archE1100ELNS1_3gpuE3ELNS1_3repE0EEENS1_47radix_sort_onesweep_sort_config_static_selectorELNS0_4arch9wavefront6targetE0EEEvSG_
	.globl	_ZN7rocprim17ROCPRIM_400000_NS6detail17trampoline_kernelINS0_14default_configENS1_35radix_sort_onesweep_config_selectorIdNS0_10empty_typeEEEZZNS1_29radix_sort_onesweep_iterationIS3_Lb0EPKdPdPS5_SB_mNS0_19identity_decomposerENS1_16block_id_wrapperIjLb1EEEEE10hipError_tT1_PNSt15iterator_traitsISG_E10value_typeET2_T3_PNSH_ISM_E10value_typeET4_T5_PSR_SS_PNS1_23onesweep_lookback_stateEbbT6_jjT7_P12ihipStream_tbENKUlT_T0_SG_SL_E_clISA_SA_SB_SB_EEDaSZ_S10_SG_SL_EUlSZ_E_NS1_11comp_targetILNS1_3genE9ELNS1_11target_archE1100ELNS1_3gpuE3ELNS1_3repE0EEENS1_47radix_sort_onesweep_sort_config_static_selectorELNS0_4arch9wavefront6targetE0EEEvSG_
	.p2align	8
	.type	_ZN7rocprim17ROCPRIM_400000_NS6detail17trampoline_kernelINS0_14default_configENS1_35radix_sort_onesweep_config_selectorIdNS0_10empty_typeEEEZZNS1_29radix_sort_onesweep_iterationIS3_Lb0EPKdPdPS5_SB_mNS0_19identity_decomposerENS1_16block_id_wrapperIjLb1EEEEE10hipError_tT1_PNSt15iterator_traitsISG_E10value_typeET2_T3_PNSH_ISM_E10value_typeET4_T5_PSR_SS_PNS1_23onesweep_lookback_stateEbbT6_jjT7_P12ihipStream_tbENKUlT_T0_SG_SL_E_clISA_SA_SB_SB_EEDaSZ_S10_SG_SL_EUlSZ_E_NS1_11comp_targetILNS1_3genE9ELNS1_11target_archE1100ELNS1_3gpuE3ELNS1_3repE0EEENS1_47radix_sort_onesweep_sort_config_static_selectorELNS0_4arch9wavefront6targetE0EEEvSG_,@function
_ZN7rocprim17ROCPRIM_400000_NS6detail17trampoline_kernelINS0_14default_configENS1_35radix_sort_onesweep_config_selectorIdNS0_10empty_typeEEEZZNS1_29radix_sort_onesweep_iterationIS3_Lb0EPKdPdPS5_SB_mNS0_19identity_decomposerENS1_16block_id_wrapperIjLb1EEEEE10hipError_tT1_PNSt15iterator_traitsISG_E10value_typeET2_T3_PNSH_ISM_E10value_typeET4_T5_PSR_SS_PNS1_23onesweep_lookback_stateEbbT6_jjT7_P12ihipStream_tbENKUlT_T0_SG_SL_E_clISA_SA_SB_SB_EEDaSZ_S10_SG_SL_EUlSZ_E_NS1_11comp_targetILNS1_3genE9ELNS1_11target_archE1100ELNS1_3gpuE3ELNS1_3repE0EEENS1_47radix_sort_onesweep_sort_config_static_selectorELNS0_4arch9wavefront6targetE0EEEvSG_: ; @_ZN7rocprim17ROCPRIM_400000_NS6detail17trampoline_kernelINS0_14default_configENS1_35radix_sort_onesweep_config_selectorIdNS0_10empty_typeEEEZZNS1_29radix_sort_onesweep_iterationIS3_Lb0EPKdPdPS5_SB_mNS0_19identity_decomposerENS1_16block_id_wrapperIjLb1EEEEE10hipError_tT1_PNSt15iterator_traitsISG_E10value_typeET2_T3_PNSH_ISM_E10value_typeET4_T5_PSR_SS_PNS1_23onesweep_lookback_stateEbbT6_jjT7_P12ihipStream_tbENKUlT_T0_SG_SL_E_clISA_SA_SB_SB_EEDaSZ_S10_SG_SL_EUlSZ_E_NS1_11comp_targetILNS1_3genE9ELNS1_11target_archE1100ELNS1_3gpuE3ELNS1_3repE0EEENS1_47radix_sort_onesweep_sort_config_static_selectorELNS0_4arch9wavefront6targetE0EEEvSG_
; %bb.0:
	.section	.rodata,"a",@progbits
	.p2align	6, 0x0
	.amdhsa_kernel _ZN7rocprim17ROCPRIM_400000_NS6detail17trampoline_kernelINS0_14default_configENS1_35radix_sort_onesweep_config_selectorIdNS0_10empty_typeEEEZZNS1_29radix_sort_onesweep_iterationIS3_Lb0EPKdPdPS5_SB_mNS0_19identity_decomposerENS1_16block_id_wrapperIjLb1EEEEE10hipError_tT1_PNSt15iterator_traitsISG_E10value_typeET2_T3_PNSH_ISM_E10value_typeET4_T5_PSR_SS_PNS1_23onesweep_lookback_stateEbbT6_jjT7_P12ihipStream_tbENKUlT_T0_SG_SL_E_clISA_SA_SB_SB_EEDaSZ_S10_SG_SL_EUlSZ_E_NS1_11comp_targetILNS1_3genE9ELNS1_11target_archE1100ELNS1_3gpuE3ELNS1_3repE0EEENS1_47radix_sort_onesweep_sort_config_static_selectorELNS0_4arch9wavefront6targetE0EEEvSG_
		.amdhsa_group_segment_fixed_size 0
		.amdhsa_private_segment_fixed_size 0
		.amdhsa_kernarg_size 88
		.amdhsa_user_sgpr_count 2
		.amdhsa_user_sgpr_dispatch_ptr 0
		.amdhsa_user_sgpr_queue_ptr 0
		.amdhsa_user_sgpr_kernarg_segment_ptr 1
		.amdhsa_user_sgpr_dispatch_id 0
		.amdhsa_user_sgpr_kernarg_preload_length 0
		.amdhsa_user_sgpr_kernarg_preload_offset 0
		.amdhsa_user_sgpr_private_segment_size 0
		.amdhsa_wavefront_size32 1
		.amdhsa_uses_dynamic_stack 0
		.amdhsa_enable_private_segment 0
		.amdhsa_system_sgpr_workgroup_id_x 1
		.amdhsa_system_sgpr_workgroup_id_y 0
		.amdhsa_system_sgpr_workgroup_id_z 0
		.amdhsa_system_sgpr_workgroup_info 0
		.amdhsa_system_vgpr_workitem_id 0
		.amdhsa_next_free_vgpr 1
		.amdhsa_next_free_sgpr 1
		.amdhsa_named_barrier_count 0
		.amdhsa_reserve_vcc 0
		.amdhsa_float_round_mode_32 0
		.amdhsa_float_round_mode_16_64 0
		.amdhsa_float_denorm_mode_32 3
		.amdhsa_float_denorm_mode_16_64 3
		.amdhsa_fp16_overflow 0
		.amdhsa_memory_ordered 1
		.amdhsa_forward_progress 1
		.amdhsa_inst_pref_size 0
		.amdhsa_round_robin_scheduling 0
		.amdhsa_exception_fp_ieee_invalid_op 0
		.amdhsa_exception_fp_denorm_src 0
		.amdhsa_exception_fp_ieee_div_zero 0
		.amdhsa_exception_fp_ieee_overflow 0
		.amdhsa_exception_fp_ieee_underflow 0
		.amdhsa_exception_fp_ieee_inexact 0
		.amdhsa_exception_int_div_zero 0
	.end_amdhsa_kernel
	.section	.text._ZN7rocprim17ROCPRIM_400000_NS6detail17trampoline_kernelINS0_14default_configENS1_35radix_sort_onesweep_config_selectorIdNS0_10empty_typeEEEZZNS1_29radix_sort_onesweep_iterationIS3_Lb0EPKdPdPS5_SB_mNS0_19identity_decomposerENS1_16block_id_wrapperIjLb1EEEEE10hipError_tT1_PNSt15iterator_traitsISG_E10value_typeET2_T3_PNSH_ISM_E10value_typeET4_T5_PSR_SS_PNS1_23onesweep_lookback_stateEbbT6_jjT7_P12ihipStream_tbENKUlT_T0_SG_SL_E_clISA_SA_SB_SB_EEDaSZ_S10_SG_SL_EUlSZ_E_NS1_11comp_targetILNS1_3genE9ELNS1_11target_archE1100ELNS1_3gpuE3ELNS1_3repE0EEENS1_47radix_sort_onesweep_sort_config_static_selectorELNS0_4arch9wavefront6targetE0EEEvSG_,"axG",@progbits,_ZN7rocprim17ROCPRIM_400000_NS6detail17trampoline_kernelINS0_14default_configENS1_35radix_sort_onesweep_config_selectorIdNS0_10empty_typeEEEZZNS1_29radix_sort_onesweep_iterationIS3_Lb0EPKdPdPS5_SB_mNS0_19identity_decomposerENS1_16block_id_wrapperIjLb1EEEEE10hipError_tT1_PNSt15iterator_traitsISG_E10value_typeET2_T3_PNSH_ISM_E10value_typeET4_T5_PSR_SS_PNS1_23onesweep_lookback_stateEbbT6_jjT7_P12ihipStream_tbENKUlT_T0_SG_SL_E_clISA_SA_SB_SB_EEDaSZ_S10_SG_SL_EUlSZ_E_NS1_11comp_targetILNS1_3genE9ELNS1_11target_archE1100ELNS1_3gpuE3ELNS1_3repE0EEENS1_47radix_sort_onesweep_sort_config_static_selectorELNS0_4arch9wavefront6targetE0EEEvSG_,comdat
.Lfunc_end1621:
	.size	_ZN7rocprim17ROCPRIM_400000_NS6detail17trampoline_kernelINS0_14default_configENS1_35radix_sort_onesweep_config_selectorIdNS0_10empty_typeEEEZZNS1_29radix_sort_onesweep_iterationIS3_Lb0EPKdPdPS5_SB_mNS0_19identity_decomposerENS1_16block_id_wrapperIjLb1EEEEE10hipError_tT1_PNSt15iterator_traitsISG_E10value_typeET2_T3_PNSH_ISM_E10value_typeET4_T5_PSR_SS_PNS1_23onesweep_lookback_stateEbbT6_jjT7_P12ihipStream_tbENKUlT_T0_SG_SL_E_clISA_SA_SB_SB_EEDaSZ_S10_SG_SL_EUlSZ_E_NS1_11comp_targetILNS1_3genE9ELNS1_11target_archE1100ELNS1_3gpuE3ELNS1_3repE0EEENS1_47radix_sort_onesweep_sort_config_static_selectorELNS0_4arch9wavefront6targetE0EEEvSG_, .Lfunc_end1621-_ZN7rocprim17ROCPRIM_400000_NS6detail17trampoline_kernelINS0_14default_configENS1_35radix_sort_onesweep_config_selectorIdNS0_10empty_typeEEEZZNS1_29radix_sort_onesweep_iterationIS3_Lb0EPKdPdPS5_SB_mNS0_19identity_decomposerENS1_16block_id_wrapperIjLb1EEEEE10hipError_tT1_PNSt15iterator_traitsISG_E10value_typeET2_T3_PNSH_ISM_E10value_typeET4_T5_PSR_SS_PNS1_23onesweep_lookback_stateEbbT6_jjT7_P12ihipStream_tbENKUlT_T0_SG_SL_E_clISA_SA_SB_SB_EEDaSZ_S10_SG_SL_EUlSZ_E_NS1_11comp_targetILNS1_3genE9ELNS1_11target_archE1100ELNS1_3gpuE3ELNS1_3repE0EEENS1_47radix_sort_onesweep_sort_config_static_selectorELNS0_4arch9wavefront6targetE0EEEvSG_
                                        ; -- End function
	.set _ZN7rocprim17ROCPRIM_400000_NS6detail17trampoline_kernelINS0_14default_configENS1_35radix_sort_onesweep_config_selectorIdNS0_10empty_typeEEEZZNS1_29radix_sort_onesweep_iterationIS3_Lb0EPKdPdPS5_SB_mNS0_19identity_decomposerENS1_16block_id_wrapperIjLb1EEEEE10hipError_tT1_PNSt15iterator_traitsISG_E10value_typeET2_T3_PNSH_ISM_E10value_typeET4_T5_PSR_SS_PNS1_23onesweep_lookback_stateEbbT6_jjT7_P12ihipStream_tbENKUlT_T0_SG_SL_E_clISA_SA_SB_SB_EEDaSZ_S10_SG_SL_EUlSZ_E_NS1_11comp_targetILNS1_3genE9ELNS1_11target_archE1100ELNS1_3gpuE3ELNS1_3repE0EEENS1_47radix_sort_onesweep_sort_config_static_selectorELNS0_4arch9wavefront6targetE0EEEvSG_.num_vgpr, 0
	.set _ZN7rocprim17ROCPRIM_400000_NS6detail17trampoline_kernelINS0_14default_configENS1_35radix_sort_onesweep_config_selectorIdNS0_10empty_typeEEEZZNS1_29radix_sort_onesweep_iterationIS3_Lb0EPKdPdPS5_SB_mNS0_19identity_decomposerENS1_16block_id_wrapperIjLb1EEEEE10hipError_tT1_PNSt15iterator_traitsISG_E10value_typeET2_T3_PNSH_ISM_E10value_typeET4_T5_PSR_SS_PNS1_23onesweep_lookback_stateEbbT6_jjT7_P12ihipStream_tbENKUlT_T0_SG_SL_E_clISA_SA_SB_SB_EEDaSZ_S10_SG_SL_EUlSZ_E_NS1_11comp_targetILNS1_3genE9ELNS1_11target_archE1100ELNS1_3gpuE3ELNS1_3repE0EEENS1_47radix_sort_onesweep_sort_config_static_selectorELNS0_4arch9wavefront6targetE0EEEvSG_.num_agpr, 0
	.set _ZN7rocprim17ROCPRIM_400000_NS6detail17trampoline_kernelINS0_14default_configENS1_35radix_sort_onesweep_config_selectorIdNS0_10empty_typeEEEZZNS1_29radix_sort_onesweep_iterationIS3_Lb0EPKdPdPS5_SB_mNS0_19identity_decomposerENS1_16block_id_wrapperIjLb1EEEEE10hipError_tT1_PNSt15iterator_traitsISG_E10value_typeET2_T3_PNSH_ISM_E10value_typeET4_T5_PSR_SS_PNS1_23onesweep_lookback_stateEbbT6_jjT7_P12ihipStream_tbENKUlT_T0_SG_SL_E_clISA_SA_SB_SB_EEDaSZ_S10_SG_SL_EUlSZ_E_NS1_11comp_targetILNS1_3genE9ELNS1_11target_archE1100ELNS1_3gpuE3ELNS1_3repE0EEENS1_47radix_sort_onesweep_sort_config_static_selectorELNS0_4arch9wavefront6targetE0EEEvSG_.numbered_sgpr, 0
	.set _ZN7rocprim17ROCPRIM_400000_NS6detail17trampoline_kernelINS0_14default_configENS1_35radix_sort_onesweep_config_selectorIdNS0_10empty_typeEEEZZNS1_29radix_sort_onesweep_iterationIS3_Lb0EPKdPdPS5_SB_mNS0_19identity_decomposerENS1_16block_id_wrapperIjLb1EEEEE10hipError_tT1_PNSt15iterator_traitsISG_E10value_typeET2_T3_PNSH_ISM_E10value_typeET4_T5_PSR_SS_PNS1_23onesweep_lookback_stateEbbT6_jjT7_P12ihipStream_tbENKUlT_T0_SG_SL_E_clISA_SA_SB_SB_EEDaSZ_S10_SG_SL_EUlSZ_E_NS1_11comp_targetILNS1_3genE9ELNS1_11target_archE1100ELNS1_3gpuE3ELNS1_3repE0EEENS1_47radix_sort_onesweep_sort_config_static_selectorELNS0_4arch9wavefront6targetE0EEEvSG_.num_named_barrier, 0
	.set _ZN7rocprim17ROCPRIM_400000_NS6detail17trampoline_kernelINS0_14default_configENS1_35radix_sort_onesweep_config_selectorIdNS0_10empty_typeEEEZZNS1_29radix_sort_onesweep_iterationIS3_Lb0EPKdPdPS5_SB_mNS0_19identity_decomposerENS1_16block_id_wrapperIjLb1EEEEE10hipError_tT1_PNSt15iterator_traitsISG_E10value_typeET2_T3_PNSH_ISM_E10value_typeET4_T5_PSR_SS_PNS1_23onesweep_lookback_stateEbbT6_jjT7_P12ihipStream_tbENKUlT_T0_SG_SL_E_clISA_SA_SB_SB_EEDaSZ_S10_SG_SL_EUlSZ_E_NS1_11comp_targetILNS1_3genE9ELNS1_11target_archE1100ELNS1_3gpuE3ELNS1_3repE0EEENS1_47radix_sort_onesweep_sort_config_static_selectorELNS0_4arch9wavefront6targetE0EEEvSG_.private_seg_size, 0
	.set _ZN7rocprim17ROCPRIM_400000_NS6detail17trampoline_kernelINS0_14default_configENS1_35radix_sort_onesweep_config_selectorIdNS0_10empty_typeEEEZZNS1_29radix_sort_onesweep_iterationIS3_Lb0EPKdPdPS5_SB_mNS0_19identity_decomposerENS1_16block_id_wrapperIjLb1EEEEE10hipError_tT1_PNSt15iterator_traitsISG_E10value_typeET2_T3_PNSH_ISM_E10value_typeET4_T5_PSR_SS_PNS1_23onesweep_lookback_stateEbbT6_jjT7_P12ihipStream_tbENKUlT_T0_SG_SL_E_clISA_SA_SB_SB_EEDaSZ_S10_SG_SL_EUlSZ_E_NS1_11comp_targetILNS1_3genE9ELNS1_11target_archE1100ELNS1_3gpuE3ELNS1_3repE0EEENS1_47radix_sort_onesweep_sort_config_static_selectorELNS0_4arch9wavefront6targetE0EEEvSG_.uses_vcc, 0
	.set _ZN7rocprim17ROCPRIM_400000_NS6detail17trampoline_kernelINS0_14default_configENS1_35radix_sort_onesweep_config_selectorIdNS0_10empty_typeEEEZZNS1_29radix_sort_onesweep_iterationIS3_Lb0EPKdPdPS5_SB_mNS0_19identity_decomposerENS1_16block_id_wrapperIjLb1EEEEE10hipError_tT1_PNSt15iterator_traitsISG_E10value_typeET2_T3_PNSH_ISM_E10value_typeET4_T5_PSR_SS_PNS1_23onesweep_lookback_stateEbbT6_jjT7_P12ihipStream_tbENKUlT_T0_SG_SL_E_clISA_SA_SB_SB_EEDaSZ_S10_SG_SL_EUlSZ_E_NS1_11comp_targetILNS1_3genE9ELNS1_11target_archE1100ELNS1_3gpuE3ELNS1_3repE0EEENS1_47radix_sort_onesweep_sort_config_static_selectorELNS0_4arch9wavefront6targetE0EEEvSG_.uses_flat_scratch, 0
	.set _ZN7rocprim17ROCPRIM_400000_NS6detail17trampoline_kernelINS0_14default_configENS1_35radix_sort_onesweep_config_selectorIdNS0_10empty_typeEEEZZNS1_29radix_sort_onesweep_iterationIS3_Lb0EPKdPdPS5_SB_mNS0_19identity_decomposerENS1_16block_id_wrapperIjLb1EEEEE10hipError_tT1_PNSt15iterator_traitsISG_E10value_typeET2_T3_PNSH_ISM_E10value_typeET4_T5_PSR_SS_PNS1_23onesweep_lookback_stateEbbT6_jjT7_P12ihipStream_tbENKUlT_T0_SG_SL_E_clISA_SA_SB_SB_EEDaSZ_S10_SG_SL_EUlSZ_E_NS1_11comp_targetILNS1_3genE9ELNS1_11target_archE1100ELNS1_3gpuE3ELNS1_3repE0EEENS1_47radix_sort_onesweep_sort_config_static_selectorELNS0_4arch9wavefront6targetE0EEEvSG_.has_dyn_sized_stack, 0
	.set _ZN7rocprim17ROCPRIM_400000_NS6detail17trampoline_kernelINS0_14default_configENS1_35radix_sort_onesweep_config_selectorIdNS0_10empty_typeEEEZZNS1_29radix_sort_onesweep_iterationIS3_Lb0EPKdPdPS5_SB_mNS0_19identity_decomposerENS1_16block_id_wrapperIjLb1EEEEE10hipError_tT1_PNSt15iterator_traitsISG_E10value_typeET2_T3_PNSH_ISM_E10value_typeET4_T5_PSR_SS_PNS1_23onesweep_lookback_stateEbbT6_jjT7_P12ihipStream_tbENKUlT_T0_SG_SL_E_clISA_SA_SB_SB_EEDaSZ_S10_SG_SL_EUlSZ_E_NS1_11comp_targetILNS1_3genE9ELNS1_11target_archE1100ELNS1_3gpuE3ELNS1_3repE0EEENS1_47radix_sort_onesweep_sort_config_static_selectorELNS0_4arch9wavefront6targetE0EEEvSG_.has_recursion, 0
	.set _ZN7rocprim17ROCPRIM_400000_NS6detail17trampoline_kernelINS0_14default_configENS1_35radix_sort_onesweep_config_selectorIdNS0_10empty_typeEEEZZNS1_29radix_sort_onesweep_iterationIS3_Lb0EPKdPdPS5_SB_mNS0_19identity_decomposerENS1_16block_id_wrapperIjLb1EEEEE10hipError_tT1_PNSt15iterator_traitsISG_E10value_typeET2_T3_PNSH_ISM_E10value_typeET4_T5_PSR_SS_PNS1_23onesweep_lookback_stateEbbT6_jjT7_P12ihipStream_tbENKUlT_T0_SG_SL_E_clISA_SA_SB_SB_EEDaSZ_S10_SG_SL_EUlSZ_E_NS1_11comp_targetILNS1_3genE9ELNS1_11target_archE1100ELNS1_3gpuE3ELNS1_3repE0EEENS1_47radix_sort_onesweep_sort_config_static_selectorELNS0_4arch9wavefront6targetE0EEEvSG_.has_indirect_call, 0
	.section	.AMDGPU.csdata,"",@progbits
; Kernel info:
; codeLenInByte = 0
; TotalNumSgprs: 0
; NumVgprs: 0
; ScratchSize: 0
; MemoryBound: 0
; FloatMode: 240
; IeeeMode: 1
; LDSByteSize: 0 bytes/workgroup (compile time only)
; SGPRBlocks: 0
; VGPRBlocks: 0
; NumSGPRsForWavesPerEU: 1
; NumVGPRsForWavesPerEU: 1
; NamedBarCnt: 0
; Occupancy: 16
; WaveLimiterHint : 0
; COMPUTE_PGM_RSRC2:SCRATCH_EN: 0
; COMPUTE_PGM_RSRC2:USER_SGPR: 2
; COMPUTE_PGM_RSRC2:TRAP_HANDLER: 0
; COMPUTE_PGM_RSRC2:TGID_X_EN: 1
; COMPUTE_PGM_RSRC2:TGID_Y_EN: 0
; COMPUTE_PGM_RSRC2:TGID_Z_EN: 0
; COMPUTE_PGM_RSRC2:TIDIG_COMP_CNT: 0
	.section	.text._ZN7rocprim17ROCPRIM_400000_NS6detail17trampoline_kernelINS0_14default_configENS1_35radix_sort_onesweep_config_selectorIdNS0_10empty_typeEEEZZNS1_29radix_sort_onesweep_iterationIS3_Lb0EPKdPdPS5_SB_mNS0_19identity_decomposerENS1_16block_id_wrapperIjLb1EEEEE10hipError_tT1_PNSt15iterator_traitsISG_E10value_typeET2_T3_PNSH_ISM_E10value_typeET4_T5_PSR_SS_PNS1_23onesweep_lookback_stateEbbT6_jjT7_P12ihipStream_tbENKUlT_T0_SG_SL_E_clISA_SA_SB_SB_EEDaSZ_S10_SG_SL_EUlSZ_E_NS1_11comp_targetILNS1_3genE8ELNS1_11target_archE1030ELNS1_3gpuE2ELNS1_3repE0EEENS1_47radix_sort_onesweep_sort_config_static_selectorELNS0_4arch9wavefront6targetE0EEEvSG_,"axG",@progbits,_ZN7rocprim17ROCPRIM_400000_NS6detail17trampoline_kernelINS0_14default_configENS1_35radix_sort_onesweep_config_selectorIdNS0_10empty_typeEEEZZNS1_29radix_sort_onesweep_iterationIS3_Lb0EPKdPdPS5_SB_mNS0_19identity_decomposerENS1_16block_id_wrapperIjLb1EEEEE10hipError_tT1_PNSt15iterator_traitsISG_E10value_typeET2_T3_PNSH_ISM_E10value_typeET4_T5_PSR_SS_PNS1_23onesweep_lookback_stateEbbT6_jjT7_P12ihipStream_tbENKUlT_T0_SG_SL_E_clISA_SA_SB_SB_EEDaSZ_S10_SG_SL_EUlSZ_E_NS1_11comp_targetILNS1_3genE8ELNS1_11target_archE1030ELNS1_3gpuE2ELNS1_3repE0EEENS1_47radix_sort_onesweep_sort_config_static_selectorELNS0_4arch9wavefront6targetE0EEEvSG_,comdat
	.protected	_ZN7rocprim17ROCPRIM_400000_NS6detail17trampoline_kernelINS0_14default_configENS1_35radix_sort_onesweep_config_selectorIdNS0_10empty_typeEEEZZNS1_29radix_sort_onesweep_iterationIS3_Lb0EPKdPdPS5_SB_mNS0_19identity_decomposerENS1_16block_id_wrapperIjLb1EEEEE10hipError_tT1_PNSt15iterator_traitsISG_E10value_typeET2_T3_PNSH_ISM_E10value_typeET4_T5_PSR_SS_PNS1_23onesweep_lookback_stateEbbT6_jjT7_P12ihipStream_tbENKUlT_T0_SG_SL_E_clISA_SA_SB_SB_EEDaSZ_S10_SG_SL_EUlSZ_E_NS1_11comp_targetILNS1_3genE8ELNS1_11target_archE1030ELNS1_3gpuE2ELNS1_3repE0EEENS1_47radix_sort_onesweep_sort_config_static_selectorELNS0_4arch9wavefront6targetE0EEEvSG_ ; -- Begin function _ZN7rocprim17ROCPRIM_400000_NS6detail17trampoline_kernelINS0_14default_configENS1_35radix_sort_onesweep_config_selectorIdNS0_10empty_typeEEEZZNS1_29radix_sort_onesweep_iterationIS3_Lb0EPKdPdPS5_SB_mNS0_19identity_decomposerENS1_16block_id_wrapperIjLb1EEEEE10hipError_tT1_PNSt15iterator_traitsISG_E10value_typeET2_T3_PNSH_ISM_E10value_typeET4_T5_PSR_SS_PNS1_23onesweep_lookback_stateEbbT6_jjT7_P12ihipStream_tbENKUlT_T0_SG_SL_E_clISA_SA_SB_SB_EEDaSZ_S10_SG_SL_EUlSZ_E_NS1_11comp_targetILNS1_3genE8ELNS1_11target_archE1030ELNS1_3gpuE2ELNS1_3repE0EEENS1_47radix_sort_onesweep_sort_config_static_selectorELNS0_4arch9wavefront6targetE0EEEvSG_
	.globl	_ZN7rocprim17ROCPRIM_400000_NS6detail17trampoline_kernelINS0_14default_configENS1_35radix_sort_onesweep_config_selectorIdNS0_10empty_typeEEEZZNS1_29radix_sort_onesweep_iterationIS3_Lb0EPKdPdPS5_SB_mNS0_19identity_decomposerENS1_16block_id_wrapperIjLb1EEEEE10hipError_tT1_PNSt15iterator_traitsISG_E10value_typeET2_T3_PNSH_ISM_E10value_typeET4_T5_PSR_SS_PNS1_23onesweep_lookback_stateEbbT6_jjT7_P12ihipStream_tbENKUlT_T0_SG_SL_E_clISA_SA_SB_SB_EEDaSZ_S10_SG_SL_EUlSZ_E_NS1_11comp_targetILNS1_3genE8ELNS1_11target_archE1030ELNS1_3gpuE2ELNS1_3repE0EEENS1_47radix_sort_onesweep_sort_config_static_selectorELNS0_4arch9wavefront6targetE0EEEvSG_
	.p2align	8
	.type	_ZN7rocprim17ROCPRIM_400000_NS6detail17trampoline_kernelINS0_14default_configENS1_35radix_sort_onesweep_config_selectorIdNS0_10empty_typeEEEZZNS1_29radix_sort_onesweep_iterationIS3_Lb0EPKdPdPS5_SB_mNS0_19identity_decomposerENS1_16block_id_wrapperIjLb1EEEEE10hipError_tT1_PNSt15iterator_traitsISG_E10value_typeET2_T3_PNSH_ISM_E10value_typeET4_T5_PSR_SS_PNS1_23onesweep_lookback_stateEbbT6_jjT7_P12ihipStream_tbENKUlT_T0_SG_SL_E_clISA_SA_SB_SB_EEDaSZ_S10_SG_SL_EUlSZ_E_NS1_11comp_targetILNS1_3genE8ELNS1_11target_archE1030ELNS1_3gpuE2ELNS1_3repE0EEENS1_47radix_sort_onesweep_sort_config_static_selectorELNS0_4arch9wavefront6targetE0EEEvSG_,@function
_ZN7rocprim17ROCPRIM_400000_NS6detail17trampoline_kernelINS0_14default_configENS1_35radix_sort_onesweep_config_selectorIdNS0_10empty_typeEEEZZNS1_29radix_sort_onesweep_iterationIS3_Lb0EPKdPdPS5_SB_mNS0_19identity_decomposerENS1_16block_id_wrapperIjLb1EEEEE10hipError_tT1_PNSt15iterator_traitsISG_E10value_typeET2_T3_PNSH_ISM_E10value_typeET4_T5_PSR_SS_PNS1_23onesweep_lookback_stateEbbT6_jjT7_P12ihipStream_tbENKUlT_T0_SG_SL_E_clISA_SA_SB_SB_EEDaSZ_S10_SG_SL_EUlSZ_E_NS1_11comp_targetILNS1_3genE8ELNS1_11target_archE1030ELNS1_3gpuE2ELNS1_3repE0EEENS1_47radix_sort_onesweep_sort_config_static_selectorELNS0_4arch9wavefront6targetE0EEEvSG_: ; @_ZN7rocprim17ROCPRIM_400000_NS6detail17trampoline_kernelINS0_14default_configENS1_35radix_sort_onesweep_config_selectorIdNS0_10empty_typeEEEZZNS1_29radix_sort_onesweep_iterationIS3_Lb0EPKdPdPS5_SB_mNS0_19identity_decomposerENS1_16block_id_wrapperIjLb1EEEEE10hipError_tT1_PNSt15iterator_traitsISG_E10value_typeET2_T3_PNSH_ISM_E10value_typeET4_T5_PSR_SS_PNS1_23onesweep_lookback_stateEbbT6_jjT7_P12ihipStream_tbENKUlT_T0_SG_SL_E_clISA_SA_SB_SB_EEDaSZ_S10_SG_SL_EUlSZ_E_NS1_11comp_targetILNS1_3genE8ELNS1_11target_archE1030ELNS1_3gpuE2ELNS1_3repE0EEENS1_47radix_sort_onesweep_sort_config_static_selectorELNS0_4arch9wavefront6targetE0EEEvSG_
; %bb.0:
	.section	.rodata,"a",@progbits
	.p2align	6, 0x0
	.amdhsa_kernel _ZN7rocprim17ROCPRIM_400000_NS6detail17trampoline_kernelINS0_14default_configENS1_35radix_sort_onesweep_config_selectorIdNS0_10empty_typeEEEZZNS1_29radix_sort_onesweep_iterationIS3_Lb0EPKdPdPS5_SB_mNS0_19identity_decomposerENS1_16block_id_wrapperIjLb1EEEEE10hipError_tT1_PNSt15iterator_traitsISG_E10value_typeET2_T3_PNSH_ISM_E10value_typeET4_T5_PSR_SS_PNS1_23onesweep_lookback_stateEbbT6_jjT7_P12ihipStream_tbENKUlT_T0_SG_SL_E_clISA_SA_SB_SB_EEDaSZ_S10_SG_SL_EUlSZ_E_NS1_11comp_targetILNS1_3genE8ELNS1_11target_archE1030ELNS1_3gpuE2ELNS1_3repE0EEENS1_47radix_sort_onesweep_sort_config_static_selectorELNS0_4arch9wavefront6targetE0EEEvSG_
		.amdhsa_group_segment_fixed_size 0
		.amdhsa_private_segment_fixed_size 0
		.amdhsa_kernarg_size 88
		.amdhsa_user_sgpr_count 2
		.amdhsa_user_sgpr_dispatch_ptr 0
		.amdhsa_user_sgpr_queue_ptr 0
		.amdhsa_user_sgpr_kernarg_segment_ptr 1
		.amdhsa_user_sgpr_dispatch_id 0
		.amdhsa_user_sgpr_kernarg_preload_length 0
		.amdhsa_user_sgpr_kernarg_preload_offset 0
		.amdhsa_user_sgpr_private_segment_size 0
		.amdhsa_wavefront_size32 1
		.amdhsa_uses_dynamic_stack 0
		.amdhsa_enable_private_segment 0
		.amdhsa_system_sgpr_workgroup_id_x 1
		.amdhsa_system_sgpr_workgroup_id_y 0
		.amdhsa_system_sgpr_workgroup_id_z 0
		.amdhsa_system_sgpr_workgroup_info 0
		.amdhsa_system_vgpr_workitem_id 0
		.amdhsa_next_free_vgpr 1
		.amdhsa_next_free_sgpr 1
		.amdhsa_named_barrier_count 0
		.amdhsa_reserve_vcc 0
		.amdhsa_float_round_mode_32 0
		.amdhsa_float_round_mode_16_64 0
		.amdhsa_float_denorm_mode_32 3
		.amdhsa_float_denorm_mode_16_64 3
		.amdhsa_fp16_overflow 0
		.amdhsa_memory_ordered 1
		.amdhsa_forward_progress 1
		.amdhsa_inst_pref_size 0
		.amdhsa_round_robin_scheduling 0
		.amdhsa_exception_fp_ieee_invalid_op 0
		.amdhsa_exception_fp_denorm_src 0
		.amdhsa_exception_fp_ieee_div_zero 0
		.amdhsa_exception_fp_ieee_overflow 0
		.amdhsa_exception_fp_ieee_underflow 0
		.amdhsa_exception_fp_ieee_inexact 0
		.amdhsa_exception_int_div_zero 0
	.end_amdhsa_kernel
	.section	.text._ZN7rocprim17ROCPRIM_400000_NS6detail17trampoline_kernelINS0_14default_configENS1_35radix_sort_onesweep_config_selectorIdNS0_10empty_typeEEEZZNS1_29radix_sort_onesweep_iterationIS3_Lb0EPKdPdPS5_SB_mNS0_19identity_decomposerENS1_16block_id_wrapperIjLb1EEEEE10hipError_tT1_PNSt15iterator_traitsISG_E10value_typeET2_T3_PNSH_ISM_E10value_typeET4_T5_PSR_SS_PNS1_23onesweep_lookback_stateEbbT6_jjT7_P12ihipStream_tbENKUlT_T0_SG_SL_E_clISA_SA_SB_SB_EEDaSZ_S10_SG_SL_EUlSZ_E_NS1_11comp_targetILNS1_3genE8ELNS1_11target_archE1030ELNS1_3gpuE2ELNS1_3repE0EEENS1_47radix_sort_onesweep_sort_config_static_selectorELNS0_4arch9wavefront6targetE0EEEvSG_,"axG",@progbits,_ZN7rocprim17ROCPRIM_400000_NS6detail17trampoline_kernelINS0_14default_configENS1_35radix_sort_onesweep_config_selectorIdNS0_10empty_typeEEEZZNS1_29radix_sort_onesweep_iterationIS3_Lb0EPKdPdPS5_SB_mNS0_19identity_decomposerENS1_16block_id_wrapperIjLb1EEEEE10hipError_tT1_PNSt15iterator_traitsISG_E10value_typeET2_T3_PNSH_ISM_E10value_typeET4_T5_PSR_SS_PNS1_23onesweep_lookback_stateEbbT6_jjT7_P12ihipStream_tbENKUlT_T0_SG_SL_E_clISA_SA_SB_SB_EEDaSZ_S10_SG_SL_EUlSZ_E_NS1_11comp_targetILNS1_3genE8ELNS1_11target_archE1030ELNS1_3gpuE2ELNS1_3repE0EEENS1_47radix_sort_onesweep_sort_config_static_selectorELNS0_4arch9wavefront6targetE0EEEvSG_,comdat
.Lfunc_end1622:
	.size	_ZN7rocprim17ROCPRIM_400000_NS6detail17trampoline_kernelINS0_14default_configENS1_35radix_sort_onesweep_config_selectorIdNS0_10empty_typeEEEZZNS1_29radix_sort_onesweep_iterationIS3_Lb0EPKdPdPS5_SB_mNS0_19identity_decomposerENS1_16block_id_wrapperIjLb1EEEEE10hipError_tT1_PNSt15iterator_traitsISG_E10value_typeET2_T3_PNSH_ISM_E10value_typeET4_T5_PSR_SS_PNS1_23onesweep_lookback_stateEbbT6_jjT7_P12ihipStream_tbENKUlT_T0_SG_SL_E_clISA_SA_SB_SB_EEDaSZ_S10_SG_SL_EUlSZ_E_NS1_11comp_targetILNS1_3genE8ELNS1_11target_archE1030ELNS1_3gpuE2ELNS1_3repE0EEENS1_47radix_sort_onesweep_sort_config_static_selectorELNS0_4arch9wavefront6targetE0EEEvSG_, .Lfunc_end1622-_ZN7rocprim17ROCPRIM_400000_NS6detail17trampoline_kernelINS0_14default_configENS1_35radix_sort_onesweep_config_selectorIdNS0_10empty_typeEEEZZNS1_29radix_sort_onesweep_iterationIS3_Lb0EPKdPdPS5_SB_mNS0_19identity_decomposerENS1_16block_id_wrapperIjLb1EEEEE10hipError_tT1_PNSt15iterator_traitsISG_E10value_typeET2_T3_PNSH_ISM_E10value_typeET4_T5_PSR_SS_PNS1_23onesweep_lookback_stateEbbT6_jjT7_P12ihipStream_tbENKUlT_T0_SG_SL_E_clISA_SA_SB_SB_EEDaSZ_S10_SG_SL_EUlSZ_E_NS1_11comp_targetILNS1_3genE8ELNS1_11target_archE1030ELNS1_3gpuE2ELNS1_3repE0EEENS1_47radix_sort_onesweep_sort_config_static_selectorELNS0_4arch9wavefront6targetE0EEEvSG_
                                        ; -- End function
	.set _ZN7rocprim17ROCPRIM_400000_NS6detail17trampoline_kernelINS0_14default_configENS1_35radix_sort_onesweep_config_selectorIdNS0_10empty_typeEEEZZNS1_29radix_sort_onesweep_iterationIS3_Lb0EPKdPdPS5_SB_mNS0_19identity_decomposerENS1_16block_id_wrapperIjLb1EEEEE10hipError_tT1_PNSt15iterator_traitsISG_E10value_typeET2_T3_PNSH_ISM_E10value_typeET4_T5_PSR_SS_PNS1_23onesweep_lookback_stateEbbT6_jjT7_P12ihipStream_tbENKUlT_T0_SG_SL_E_clISA_SA_SB_SB_EEDaSZ_S10_SG_SL_EUlSZ_E_NS1_11comp_targetILNS1_3genE8ELNS1_11target_archE1030ELNS1_3gpuE2ELNS1_3repE0EEENS1_47radix_sort_onesweep_sort_config_static_selectorELNS0_4arch9wavefront6targetE0EEEvSG_.num_vgpr, 0
	.set _ZN7rocprim17ROCPRIM_400000_NS6detail17trampoline_kernelINS0_14default_configENS1_35radix_sort_onesweep_config_selectorIdNS0_10empty_typeEEEZZNS1_29radix_sort_onesweep_iterationIS3_Lb0EPKdPdPS5_SB_mNS0_19identity_decomposerENS1_16block_id_wrapperIjLb1EEEEE10hipError_tT1_PNSt15iterator_traitsISG_E10value_typeET2_T3_PNSH_ISM_E10value_typeET4_T5_PSR_SS_PNS1_23onesweep_lookback_stateEbbT6_jjT7_P12ihipStream_tbENKUlT_T0_SG_SL_E_clISA_SA_SB_SB_EEDaSZ_S10_SG_SL_EUlSZ_E_NS1_11comp_targetILNS1_3genE8ELNS1_11target_archE1030ELNS1_3gpuE2ELNS1_3repE0EEENS1_47radix_sort_onesweep_sort_config_static_selectorELNS0_4arch9wavefront6targetE0EEEvSG_.num_agpr, 0
	.set _ZN7rocprim17ROCPRIM_400000_NS6detail17trampoline_kernelINS0_14default_configENS1_35radix_sort_onesweep_config_selectorIdNS0_10empty_typeEEEZZNS1_29radix_sort_onesweep_iterationIS3_Lb0EPKdPdPS5_SB_mNS0_19identity_decomposerENS1_16block_id_wrapperIjLb1EEEEE10hipError_tT1_PNSt15iterator_traitsISG_E10value_typeET2_T3_PNSH_ISM_E10value_typeET4_T5_PSR_SS_PNS1_23onesweep_lookback_stateEbbT6_jjT7_P12ihipStream_tbENKUlT_T0_SG_SL_E_clISA_SA_SB_SB_EEDaSZ_S10_SG_SL_EUlSZ_E_NS1_11comp_targetILNS1_3genE8ELNS1_11target_archE1030ELNS1_3gpuE2ELNS1_3repE0EEENS1_47radix_sort_onesweep_sort_config_static_selectorELNS0_4arch9wavefront6targetE0EEEvSG_.numbered_sgpr, 0
	.set _ZN7rocprim17ROCPRIM_400000_NS6detail17trampoline_kernelINS0_14default_configENS1_35radix_sort_onesweep_config_selectorIdNS0_10empty_typeEEEZZNS1_29radix_sort_onesweep_iterationIS3_Lb0EPKdPdPS5_SB_mNS0_19identity_decomposerENS1_16block_id_wrapperIjLb1EEEEE10hipError_tT1_PNSt15iterator_traitsISG_E10value_typeET2_T3_PNSH_ISM_E10value_typeET4_T5_PSR_SS_PNS1_23onesweep_lookback_stateEbbT6_jjT7_P12ihipStream_tbENKUlT_T0_SG_SL_E_clISA_SA_SB_SB_EEDaSZ_S10_SG_SL_EUlSZ_E_NS1_11comp_targetILNS1_3genE8ELNS1_11target_archE1030ELNS1_3gpuE2ELNS1_3repE0EEENS1_47radix_sort_onesweep_sort_config_static_selectorELNS0_4arch9wavefront6targetE0EEEvSG_.num_named_barrier, 0
	.set _ZN7rocprim17ROCPRIM_400000_NS6detail17trampoline_kernelINS0_14default_configENS1_35radix_sort_onesweep_config_selectorIdNS0_10empty_typeEEEZZNS1_29radix_sort_onesweep_iterationIS3_Lb0EPKdPdPS5_SB_mNS0_19identity_decomposerENS1_16block_id_wrapperIjLb1EEEEE10hipError_tT1_PNSt15iterator_traitsISG_E10value_typeET2_T3_PNSH_ISM_E10value_typeET4_T5_PSR_SS_PNS1_23onesweep_lookback_stateEbbT6_jjT7_P12ihipStream_tbENKUlT_T0_SG_SL_E_clISA_SA_SB_SB_EEDaSZ_S10_SG_SL_EUlSZ_E_NS1_11comp_targetILNS1_3genE8ELNS1_11target_archE1030ELNS1_3gpuE2ELNS1_3repE0EEENS1_47radix_sort_onesweep_sort_config_static_selectorELNS0_4arch9wavefront6targetE0EEEvSG_.private_seg_size, 0
	.set _ZN7rocprim17ROCPRIM_400000_NS6detail17trampoline_kernelINS0_14default_configENS1_35radix_sort_onesweep_config_selectorIdNS0_10empty_typeEEEZZNS1_29radix_sort_onesweep_iterationIS3_Lb0EPKdPdPS5_SB_mNS0_19identity_decomposerENS1_16block_id_wrapperIjLb1EEEEE10hipError_tT1_PNSt15iterator_traitsISG_E10value_typeET2_T3_PNSH_ISM_E10value_typeET4_T5_PSR_SS_PNS1_23onesweep_lookback_stateEbbT6_jjT7_P12ihipStream_tbENKUlT_T0_SG_SL_E_clISA_SA_SB_SB_EEDaSZ_S10_SG_SL_EUlSZ_E_NS1_11comp_targetILNS1_3genE8ELNS1_11target_archE1030ELNS1_3gpuE2ELNS1_3repE0EEENS1_47radix_sort_onesweep_sort_config_static_selectorELNS0_4arch9wavefront6targetE0EEEvSG_.uses_vcc, 0
	.set _ZN7rocprim17ROCPRIM_400000_NS6detail17trampoline_kernelINS0_14default_configENS1_35radix_sort_onesweep_config_selectorIdNS0_10empty_typeEEEZZNS1_29radix_sort_onesweep_iterationIS3_Lb0EPKdPdPS5_SB_mNS0_19identity_decomposerENS1_16block_id_wrapperIjLb1EEEEE10hipError_tT1_PNSt15iterator_traitsISG_E10value_typeET2_T3_PNSH_ISM_E10value_typeET4_T5_PSR_SS_PNS1_23onesweep_lookback_stateEbbT6_jjT7_P12ihipStream_tbENKUlT_T0_SG_SL_E_clISA_SA_SB_SB_EEDaSZ_S10_SG_SL_EUlSZ_E_NS1_11comp_targetILNS1_3genE8ELNS1_11target_archE1030ELNS1_3gpuE2ELNS1_3repE0EEENS1_47radix_sort_onesweep_sort_config_static_selectorELNS0_4arch9wavefront6targetE0EEEvSG_.uses_flat_scratch, 0
	.set _ZN7rocprim17ROCPRIM_400000_NS6detail17trampoline_kernelINS0_14default_configENS1_35radix_sort_onesweep_config_selectorIdNS0_10empty_typeEEEZZNS1_29radix_sort_onesweep_iterationIS3_Lb0EPKdPdPS5_SB_mNS0_19identity_decomposerENS1_16block_id_wrapperIjLb1EEEEE10hipError_tT1_PNSt15iterator_traitsISG_E10value_typeET2_T3_PNSH_ISM_E10value_typeET4_T5_PSR_SS_PNS1_23onesweep_lookback_stateEbbT6_jjT7_P12ihipStream_tbENKUlT_T0_SG_SL_E_clISA_SA_SB_SB_EEDaSZ_S10_SG_SL_EUlSZ_E_NS1_11comp_targetILNS1_3genE8ELNS1_11target_archE1030ELNS1_3gpuE2ELNS1_3repE0EEENS1_47radix_sort_onesweep_sort_config_static_selectorELNS0_4arch9wavefront6targetE0EEEvSG_.has_dyn_sized_stack, 0
	.set _ZN7rocprim17ROCPRIM_400000_NS6detail17trampoline_kernelINS0_14default_configENS1_35radix_sort_onesweep_config_selectorIdNS0_10empty_typeEEEZZNS1_29radix_sort_onesweep_iterationIS3_Lb0EPKdPdPS5_SB_mNS0_19identity_decomposerENS1_16block_id_wrapperIjLb1EEEEE10hipError_tT1_PNSt15iterator_traitsISG_E10value_typeET2_T3_PNSH_ISM_E10value_typeET4_T5_PSR_SS_PNS1_23onesweep_lookback_stateEbbT6_jjT7_P12ihipStream_tbENKUlT_T0_SG_SL_E_clISA_SA_SB_SB_EEDaSZ_S10_SG_SL_EUlSZ_E_NS1_11comp_targetILNS1_3genE8ELNS1_11target_archE1030ELNS1_3gpuE2ELNS1_3repE0EEENS1_47radix_sort_onesweep_sort_config_static_selectorELNS0_4arch9wavefront6targetE0EEEvSG_.has_recursion, 0
	.set _ZN7rocprim17ROCPRIM_400000_NS6detail17trampoline_kernelINS0_14default_configENS1_35radix_sort_onesweep_config_selectorIdNS0_10empty_typeEEEZZNS1_29radix_sort_onesweep_iterationIS3_Lb0EPKdPdPS5_SB_mNS0_19identity_decomposerENS1_16block_id_wrapperIjLb1EEEEE10hipError_tT1_PNSt15iterator_traitsISG_E10value_typeET2_T3_PNSH_ISM_E10value_typeET4_T5_PSR_SS_PNS1_23onesweep_lookback_stateEbbT6_jjT7_P12ihipStream_tbENKUlT_T0_SG_SL_E_clISA_SA_SB_SB_EEDaSZ_S10_SG_SL_EUlSZ_E_NS1_11comp_targetILNS1_3genE8ELNS1_11target_archE1030ELNS1_3gpuE2ELNS1_3repE0EEENS1_47radix_sort_onesweep_sort_config_static_selectorELNS0_4arch9wavefront6targetE0EEEvSG_.has_indirect_call, 0
	.section	.AMDGPU.csdata,"",@progbits
; Kernel info:
; codeLenInByte = 0
; TotalNumSgprs: 0
; NumVgprs: 0
; ScratchSize: 0
; MemoryBound: 0
; FloatMode: 240
; IeeeMode: 1
; LDSByteSize: 0 bytes/workgroup (compile time only)
; SGPRBlocks: 0
; VGPRBlocks: 0
; NumSGPRsForWavesPerEU: 1
; NumVGPRsForWavesPerEU: 1
; NamedBarCnt: 0
; Occupancy: 16
; WaveLimiterHint : 0
; COMPUTE_PGM_RSRC2:SCRATCH_EN: 0
; COMPUTE_PGM_RSRC2:USER_SGPR: 2
; COMPUTE_PGM_RSRC2:TRAP_HANDLER: 0
; COMPUTE_PGM_RSRC2:TGID_X_EN: 1
; COMPUTE_PGM_RSRC2:TGID_Y_EN: 0
; COMPUTE_PGM_RSRC2:TGID_Z_EN: 0
; COMPUTE_PGM_RSRC2:TIDIG_COMP_CNT: 0
	.section	.text._ZN7rocprim17ROCPRIM_400000_NS6detail17trampoline_kernelINS0_14default_configENS1_35radix_sort_onesweep_config_selectorIdNS0_10empty_typeEEEZZNS1_29radix_sort_onesweep_iterationIS3_Lb0EPKdPdPS5_SB_mNS0_19identity_decomposerENS1_16block_id_wrapperIjLb0EEEEE10hipError_tT1_PNSt15iterator_traitsISG_E10value_typeET2_T3_PNSH_ISM_E10value_typeET4_T5_PSR_SS_PNS1_23onesweep_lookback_stateEbbT6_jjT7_P12ihipStream_tbENKUlT_T0_SG_SL_E_clIS9_SA_SB_SB_EEDaSZ_S10_SG_SL_EUlSZ_E_NS1_11comp_targetILNS1_3genE0ELNS1_11target_archE4294967295ELNS1_3gpuE0ELNS1_3repE0EEENS1_47radix_sort_onesweep_sort_config_static_selectorELNS0_4arch9wavefront6targetE0EEEvSG_,"axG",@progbits,_ZN7rocprim17ROCPRIM_400000_NS6detail17trampoline_kernelINS0_14default_configENS1_35radix_sort_onesweep_config_selectorIdNS0_10empty_typeEEEZZNS1_29radix_sort_onesweep_iterationIS3_Lb0EPKdPdPS5_SB_mNS0_19identity_decomposerENS1_16block_id_wrapperIjLb0EEEEE10hipError_tT1_PNSt15iterator_traitsISG_E10value_typeET2_T3_PNSH_ISM_E10value_typeET4_T5_PSR_SS_PNS1_23onesweep_lookback_stateEbbT6_jjT7_P12ihipStream_tbENKUlT_T0_SG_SL_E_clIS9_SA_SB_SB_EEDaSZ_S10_SG_SL_EUlSZ_E_NS1_11comp_targetILNS1_3genE0ELNS1_11target_archE4294967295ELNS1_3gpuE0ELNS1_3repE0EEENS1_47radix_sort_onesweep_sort_config_static_selectorELNS0_4arch9wavefront6targetE0EEEvSG_,comdat
	.protected	_ZN7rocprim17ROCPRIM_400000_NS6detail17trampoline_kernelINS0_14default_configENS1_35radix_sort_onesweep_config_selectorIdNS0_10empty_typeEEEZZNS1_29radix_sort_onesweep_iterationIS3_Lb0EPKdPdPS5_SB_mNS0_19identity_decomposerENS1_16block_id_wrapperIjLb0EEEEE10hipError_tT1_PNSt15iterator_traitsISG_E10value_typeET2_T3_PNSH_ISM_E10value_typeET4_T5_PSR_SS_PNS1_23onesweep_lookback_stateEbbT6_jjT7_P12ihipStream_tbENKUlT_T0_SG_SL_E_clIS9_SA_SB_SB_EEDaSZ_S10_SG_SL_EUlSZ_E_NS1_11comp_targetILNS1_3genE0ELNS1_11target_archE4294967295ELNS1_3gpuE0ELNS1_3repE0EEENS1_47radix_sort_onesweep_sort_config_static_selectorELNS0_4arch9wavefront6targetE0EEEvSG_ ; -- Begin function _ZN7rocprim17ROCPRIM_400000_NS6detail17trampoline_kernelINS0_14default_configENS1_35radix_sort_onesweep_config_selectorIdNS0_10empty_typeEEEZZNS1_29radix_sort_onesweep_iterationIS3_Lb0EPKdPdPS5_SB_mNS0_19identity_decomposerENS1_16block_id_wrapperIjLb0EEEEE10hipError_tT1_PNSt15iterator_traitsISG_E10value_typeET2_T3_PNSH_ISM_E10value_typeET4_T5_PSR_SS_PNS1_23onesweep_lookback_stateEbbT6_jjT7_P12ihipStream_tbENKUlT_T0_SG_SL_E_clIS9_SA_SB_SB_EEDaSZ_S10_SG_SL_EUlSZ_E_NS1_11comp_targetILNS1_3genE0ELNS1_11target_archE4294967295ELNS1_3gpuE0ELNS1_3repE0EEENS1_47radix_sort_onesweep_sort_config_static_selectorELNS0_4arch9wavefront6targetE0EEEvSG_
	.globl	_ZN7rocprim17ROCPRIM_400000_NS6detail17trampoline_kernelINS0_14default_configENS1_35radix_sort_onesweep_config_selectorIdNS0_10empty_typeEEEZZNS1_29radix_sort_onesweep_iterationIS3_Lb0EPKdPdPS5_SB_mNS0_19identity_decomposerENS1_16block_id_wrapperIjLb0EEEEE10hipError_tT1_PNSt15iterator_traitsISG_E10value_typeET2_T3_PNSH_ISM_E10value_typeET4_T5_PSR_SS_PNS1_23onesweep_lookback_stateEbbT6_jjT7_P12ihipStream_tbENKUlT_T0_SG_SL_E_clIS9_SA_SB_SB_EEDaSZ_S10_SG_SL_EUlSZ_E_NS1_11comp_targetILNS1_3genE0ELNS1_11target_archE4294967295ELNS1_3gpuE0ELNS1_3repE0EEENS1_47radix_sort_onesweep_sort_config_static_selectorELNS0_4arch9wavefront6targetE0EEEvSG_
	.p2align	8
	.type	_ZN7rocprim17ROCPRIM_400000_NS6detail17trampoline_kernelINS0_14default_configENS1_35radix_sort_onesweep_config_selectorIdNS0_10empty_typeEEEZZNS1_29radix_sort_onesweep_iterationIS3_Lb0EPKdPdPS5_SB_mNS0_19identity_decomposerENS1_16block_id_wrapperIjLb0EEEEE10hipError_tT1_PNSt15iterator_traitsISG_E10value_typeET2_T3_PNSH_ISM_E10value_typeET4_T5_PSR_SS_PNS1_23onesweep_lookback_stateEbbT6_jjT7_P12ihipStream_tbENKUlT_T0_SG_SL_E_clIS9_SA_SB_SB_EEDaSZ_S10_SG_SL_EUlSZ_E_NS1_11comp_targetILNS1_3genE0ELNS1_11target_archE4294967295ELNS1_3gpuE0ELNS1_3repE0EEENS1_47radix_sort_onesweep_sort_config_static_selectorELNS0_4arch9wavefront6targetE0EEEvSG_,@function
_ZN7rocprim17ROCPRIM_400000_NS6detail17trampoline_kernelINS0_14default_configENS1_35radix_sort_onesweep_config_selectorIdNS0_10empty_typeEEEZZNS1_29radix_sort_onesweep_iterationIS3_Lb0EPKdPdPS5_SB_mNS0_19identity_decomposerENS1_16block_id_wrapperIjLb0EEEEE10hipError_tT1_PNSt15iterator_traitsISG_E10value_typeET2_T3_PNSH_ISM_E10value_typeET4_T5_PSR_SS_PNS1_23onesweep_lookback_stateEbbT6_jjT7_P12ihipStream_tbENKUlT_T0_SG_SL_E_clIS9_SA_SB_SB_EEDaSZ_S10_SG_SL_EUlSZ_E_NS1_11comp_targetILNS1_3genE0ELNS1_11target_archE4294967295ELNS1_3gpuE0ELNS1_3repE0EEENS1_47radix_sort_onesweep_sort_config_static_selectorELNS0_4arch9wavefront6targetE0EEEvSG_: ; @_ZN7rocprim17ROCPRIM_400000_NS6detail17trampoline_kernelINS0_14default_configENS1_35radix_sort_onesweep_config_selectorIdNS0_10empty_typeEEEZZNS1_29radix_sort_onesweep_iterationIS3_Lb0EPKdPdPS5_SB_mNS0_19identity_decomposerENS1_16block_id_wrapperIjLb0EEEEE10hipError_tT1_PNSt15iterator_traitsISG_E10value_typeET2_T3_PNSH_ISM_E10value_typeET4_T5_PSR_SS_PNS1_23onesweep_lookback_stateEbbT6_jjT7_P12ihipStream_tbENKUlT_T0_SG_SL_E_clIS9_SA_SB_SB_EEDaSZ_S10_SG_SL_EUlSZ_E_NS1_11comp_targetILNS1_3genE0ELNS1_11target_archE4294967295ELNS1_3gpuE0ELNS1_3repE0EEENS1_47radix_sort_onesweep_sort_config_static_selectorELNS0_4arch9wavefront6targetE0EEEvSG_
; %bb.0:
	s_clause 0x3
	s_load_b96 s[20:22], s[0:1], 0x44
	s_load_b64 s[10:11], s[0:1], 0x38
	s_load_b128 s[16:19], s[0:1], 0x0
	s_load_b128 s[12:15], s[0:1], 0x28
	s_bfe_u32 s2, ttmp6, 0x4000c
	s_and_b32 s3, ttmp6, 15
	s_add_co_i32 s2, s2, 1
	s_getreg_b32 s4, hwreg(HW_REG_IB_STS2, 6, 4)
	s_mul_i32 s2, ttmp9, s2
	v_and_b32_e32 v32, 0x3ff, v0
	s_add_co_i32 s2, s3, s2
	s_cmp_eq_u32 s4, 0
	v_mbcnt_lo_u32_b32 v33, -1, 0
	s_cselect_b32 s26, ttmp9, s2
	s_mov_b32 s3, 0
	s_mov_b32 s2, -1
	s_add_nc_u64 s[24:25], s[0:1], 0x58
	s_wait_kmcnt 0x0
	s_cmp_ge_u32 s26, s22
	s_cbranch_scc0 .LBB1623_66
; %bb.1:
	v_dual_lshlrev_b32 v2, 3, v32 :: v_dual_lshlrev_b32 v4, 3, v33
	s_load_b32 s4, s[0:1], 0x20
	s_lshl_b32 s2, s26, 12
	v_mov_b64_e32 v[6:7], 0x7fffffffffffffff
	s_delay_alu instid0(VALU_DEP_2) | instskip(SKIP_2) | instid1(SALU_CYCLE_1)
	v_and_b32_e32 v1, 0xf00, v2
	v_mov_b32_e32 v5, 0
	s_lshl_b64 s[2:3], s[2:3], 3
	s_add_nc_u64 s[2:3], s[16:17], s[2:3]
	s_delay_alu instid0(VALU_DEP_1) | instid1(SALU_CYCLE_1)
	v_add_nc_u64_e32 v[8:9], s[2:3], v[4:5]
	v_dual_lshlrev_b32 v4, 3, v1 :: v_dual_bitop2_b32 v1, v33, v1 bitop3:0x54
	s_lshl_b32 s2, s22, 12
	s_delay_alu instid0(VALU_DEP_1)
	v_add_nc_u64_e32 v[20:21], v[8:9], v[4:5]
	v_mov_b64_e32 v[4:5], 0x7fffffffffffffff
	s_wait_kmcnt 0x0
	s_sub_co_i32 s27, s4, s2
	s_mov_b32 s2, exec_lo
	v_cmpx_gt_u32_e64 s27, v1
	s_cbranch_execz .LBB1623_3
; %bb.2:
	global_load_b64 v[4:5], v[20:21], off
.LBB1623_3:
	s_wait_xcnt 0x0
	s_or_b32 exec_lo, exec_lo, s2
	v_or_b32_e32 v3, 32, v1
	s_mov_b32 s2, exec_lo
	s_delay_alu instid0(VALU_DEP_1)
	v_cmpx_gt_u32_e64 s27, v3
	s_cbranch_execz .LBB1623_5
; %bb.4:
	global_load_b64 v[6:7], v[20:21], off offset:256
.LBB1623_5:
	s_wait_xcnt 0x0
	s_or_b32 exec_lo, exec_lo, s2
	v_mov_b64_e32 v[10:11], 0x7fffffffffffffff
	v_mov_b64_e32 v[8:9], 0x7fffffffffffffff
	v_or_b32_e32 v3, 64, v1
	s_mov_b32 s2, exec_lo
	s_delay_alu instid0(VALU_DEP_1)
	v_cmpx_gt_u32_e64 s27, v3
	s_cbranch_execz .LBB1623_7
; %bb.6:
	global_load_b64 v[8:9], v[20:21], off offset:512
.LBB1623_7:
	s_wait_xcnt 0x0
	s_or_b32 exec_lo, exec_lo, s2
	v_or_b32_e32 v3, 0x60, v1
	s_mov_b32 s2, exec_lo
	s_delay_alu instid0(VALU_DEP_1)
	v_cmpx_gt_u32_e64 s27, v3
	s_cbranch_execz .LBB1623_9
; %bb.8:
	global_load_b64 v[10:11], v[20:21], off offset:768
.LBB1623_9:
	s_wait_xcnt 0x0
	s_or_b32 exec_lo, exec_lo, s2
	v_mov_b64_e32 v[16:17], 0x7fffffffffffffff
	v_mov_b64_e32 v[12:13], 0x7fffffffffffffff
	v_or_b32_e32 v3, 0x80, v1
	s_mov_b32 s2, exec_lo
	s_delay_alu instid0(VALU_DEP_1)
	v_cmpx_gt_u32_e64 s27, v3
	s_cbranch_execz .LBB1623_11
; %bb.10:
	global_load_b64 v[12:13], v[20:21], off offset:1024
.LBB1623_11:
	;; [unrolled: 22-line block ×3, first 2 shown]
	s_wait_xcnt 0x0
	s_or_b32 exec_lo, exec_lo, s2
	v_or_b32_e32 v1, 0xe0, v1
	s_mov_b32 s2, exec_lo
	s_delay_alu instid0(VALU_DEP_1)
	v_cmpx_gt_u32_e64 s27, v1
	s_cbranch_execz .LBB1623_17
; %bb.16:
	global_load_b64 v[14:15], v[20:21], off offset:1792
.LBB1623_17:
	s_wait_xcnt 0x0
	s_or_b32 exec_lo, exec_lo, s2
	s_wait_loadcnt 0x0
	v_cmp_lt_i64_e32 vcc_lo, -1, v[4:5]
	s_clause 0x1
	s_load_b32 s28, s[0:1], 0x58
	s_load_u16 s4, s[0:1], 0x66
	s_mov_b64 s[8:9], 0x7fffffffffffffff
	s_mov_b32 s3, 0
	v_cndmask_b32_e64 v1, -1, 0x80000000, vcc_lo
	s_delay_alu instid0(VALU_DEP_1) | instskip(NEXT) | instid1(VALU_DEP_1)
	v_dual_ashrrev_i32 v3, 31, v5 :: v_dual_bitop2_b32 v5, v1, v5 bitop3:0x14
	v_xor_b32_e32 v4, v3, v4
	v_bfe_u32 v1, v0, 10, 10
	v_bfe_u32 v3, v0, 20, 10
	s_delay_alu instid0(VALU_DEP_3) | instskip(SKIP_2) | instid1(VALU_DEP_2)
	v_cmp_ne_u64_e32 vcc_lo, s[8:9], v[4:5]
	s_wait_kmcnt 0x0
	s_cmp_lt_u32 s26, s28
	v_mad_u32_u24 v1, v3, s4, v1
	s_cselect_b32 s2, 12, 18
	s_lshl_b32 s7, -1, s21
	v_cndmask_b32_e32 v21, 0x80000000, v5, vcc_lo
	v_cndmask_b32_e32 v20, 0, v4, vcc_lo
	s_add_nc_u64 s[2:3], s[24:25], s[2:3]
	s_not_b32 s29, s7
	s_load_u16 s22, s[2:3], 0x0
	s_delay_alu instid0(VALU_DEP_1) | instskip(NEXT) | instid1(VALU_DEP_1)
	v_lshrrev_b64 v[20:21], s20, v[20:21]
	v_bitop3_b32 v3, v20, 1, s7 bitop3:0x40
	v_bitop3_b32 v22, v20, s7, v20 bitop3:0x30
	s_wait_xcnt 0x0
	s_delay_alu instid0(VALU_DEP_2) | instskip(NEXT) | instid1(VALU_DEP_1)
	v_add_co_u32 v3, s2, v3, -1
	v_cndmask_b32_e64 v20, 0, 1, s2
	s_delay_alu instid0(VALU_DEP_3) | instskip(SKIP_2) | instid1(VALU_DEP_4)
	v_dual_lshlrev_b32 v21, 30, v22 :: v_dual_lshlrev_b32 v23, 29, v22
	v_dual_lshlrev_b32 v24, 28, v22 :: v_dual_lshlrev_b32 v25, 27, v22
	v_lshlrev_b32_e32 v26, 26, v22
	v_cmp_ne_u32_e32 vcc_lo, 0, v20
	s_delay_alu instid0(VALU_DEP_4)
	v_not_b32_e32 v20, v21
	v_cmp_gt_i32_e64 s2, 0, v21
	v_cmp_gt_i32_e64 s3, 0, v23
	v_not_b32_e32 v21, v23
	v_not_b32_e32 v23, v24
	v_dual_ashrrev_i32 v20, 31, v20 :: v_dual_bitop2_b32 v3, vcc_lo, v3 bitop3:0x14
	v_dual_lshlrev_b32 v27, 25, v22 :: v_dual_lshlrev_b32 v28, 24, v22
	v_cmp_gt_i32_e64 s4, 0, v24
	v_cmp_gt_i32_e64 s5, 0, v25
	v_not_b32_e32 v24, v25
	v_not_b32_e32 v25, v26
	v_dual_ashrrev_i32 v21, 31, v21 :: v_dual_ashrrev_i32 v23, 31, v23
	v_xor_b32_e32 v20, s2, v20
	s_wait_kmcnt 0x0
	v_mad_u32 v1, v1, s22, v32
	v_cmp_gt_i32_e64 s6, 0, v26
	v_dual_ashrrev_i32 v24, 31, v24 :: v_dual_bitop2_b32 v21, s3, v21 bitop3:0x14
	v_ashrrev_i32_e32 v25, 31, v25
	v_bitop3_b32 v3, v3, v20, exec_lo bitop3:0x80
	v_not_b32_e32 v20, v27
	v_xor_b32_e32 v23, s4, v23
	v_not_b32_e32 v26, v28
	v_xor_b32_e32 v24, s5, v24
	v_cmp_gt_i32_e32 vcc_lo, 0, v27
	v_ashrrev_i32_e32 v20, 31, v20
	v_bitop3_b32 v3, v3, v23, v21 bitop3:0x80
	v_dual_mov_b32 v25, 0 :: v_dual_bitop2_b32 v21, s6, v25 bitop3:0x14
	v_cmp_gt_i32_e64 s2, 0, v28
	v_dual_ashrrev_i32 v23, 31, v26 :: v_dual_lshrrev_b32 v1, 5, v1
	s_delay_alu instid0(VALU_DEP_3) | instskip(SKIP_2) | instid1(VALU_DEP_4)
	v_bitop3_b32 v21, v3, v21, v24 bitop3:0x80
	v_xor_b32_e32 v24, vcc_lo, v20
	v_mul_u32_u24_e32 v3, 36, v32
	v_dual_lshlrev_b32 v20, 2, v1 :: v_dual_bitop2_b32 v23, s2, v23 bitop3:0x14
	ds_store_2addr_b32 v3, v25, v25 offset0:16 offset1:17
	ds_store_2addr_b32 v3, v25, v25 offset0:18 offset1:19
	;; [unrolled: 1-line block ×4, first 2 shown]
	v_bitop3_b32 v21, v21, v23, v24 bitop3:0x80
	v_mad_u32 v28, 0x44, v22, v20
	ds_store_b32 v3, v25 offset:96
	s_wait_dscnt 0x0
	s_barrier_signal -1
	v_mbcnt_lo_u32_b32 v1, v21, 0
	v_cmp_ne_u32_e64 s2, 0, v21
	s_barrier_wait -1
	s_delay_alu instid0(VALU_DEP_2) | instskip(SKIP_1) | instid1(SALU_CYCLE_1)
	v_cmp_eq_u32_e32 vcc_lo, 0, v1
	; wave barrier
	s_and_b32 s3, s2, vcc_lo
	s_and_saveexec_b32 s2, s3
; %bb.18:
	v_bcnt_u32_b32 v21, v21, 0
	ds_store_b32 v28, v21 offset:64
; %bb.19:
	s_or_b32 exec_lo, exec_lo, s2
	v_cmp_lt_i64_e32 vcc_lo, -1, v[6:7]
	; wave barrier
	v_cndmask_b32_e64 v21, -1, 0x80000000, vcc_lo
	s_delay_alu instid0(VALU_DEP_1) | instskip(NEXT) | instid1(VALU_DEP_1)
	v_dual_ashrrev_i32 v22, 31, v7 :: v_dual_bitop2_b32 v7, v21, v7 bitop3:0x14
	v_xor_b32_e32 v6, v22, v6
	s_delay_alu instid0(VALU_DEP_1) | instskip(SKIP_2) | instid1(VALU_DEP_1)
	v_cmp_ne_u64_e32 vcc_lo, s[8:9], v[6:7]
	v_cndmask_b32_e32 v23, 0x80000000, v7, vcc_lo
	v_cndmask_b32_e32 v22, 0, v6, vcc_lo
	v_lshrrev_b64 v[22:23], s20, v[22:23]
	s_delay_alu instid0(VALU_DEP_1) | instskip(SKIP_1) | instid1(VALU_DEP_2)
	v_and_b32_e32 v21, s29, v22
	v_bitop3_b32 v22, v22, 1, s29 bitop3:0x80
	v_lshlrev_b32_e32 v24, 30, v21
	s_delay_alu instid0(VALU_DEP_2) | instskip(NEXT) | instid1(VALU_DEP_1)
	v_add_co_u32 v22, s2, v22, -1
	v_cndmask_b32_e64 v23, 0, 1, s2
	s_delay_alu instid0(VALU_DEP_3) | instskip(NEXT) | instid1(VALU_DEP_2)
	v_cmp_gt_i32_e64 s2, 0, v24
	v_cmp_ne_u32_e32 vcc_lo, 0, v23
	v_not_b32_e32 v23, v24
	s_delay_alu instid0(VALU_DEP_1) | instskip(SKIP_3) | instid1(VALU_DEP_4)
	v_dual_ashrrev_i32 v23, 31, v23 :: v_dual_lshlrev_b32 v25, 29, v21
	v_dual_lshlrev_b32 v26, 28, v21 :: v_dual_lshlrev_b32 v27, 27, v21
	v_lshlrev_b32_e32 v30, 26, v21
	v_mad_u32 v29, 0x44, v21, v20
	v_cmp_gt_i32_e64 s3, 0, v25
	v_not_b32_e32 v24, v25
	v_not_b32_e32 v25, v26
	v_dual_lshlrev_b32 v31, 25, v21 :: v_dual_lshlrev_b32 v21, 24, v21
	v_cmp_gt_i32_e64 s4, 0, v26
	v_cmp_gt_i32_e64 s5, 0, v27
	v_not_b32_e32 v26, v27
	v_not_b32_e32 v27, v30
	v_dual_ashrrev_i32 v24, 31, v24 :: v_dual_bitop2_b32 v22, vcc_lo, v22 bitop3:0x14
	v_dual_ashrrev_i32 v25, 31, v25 :: v_dual_bitop2_b32 v23, s2, v23 bitop3:0x14
	v_cmp_gt_i32_e64 s6, 0, v30
	v_not_b32_e32 v30, v31
	v_cmp_gt_i32_e64 s8, 0, v21
	v_not_b32_e32 v21, v21
	v_dual_ashrrev_i32 v26, 31, v26 :: v_dual_ashrrev_i32 v27, 31, v27
	v_xor_b32_e32 v24, s3, v24
	v_xor_b32_e32 v25, s4, v25
	v_bitop3_b32 v22, v22, v23, exec_lo bitop3:0x80
	v_cmp_gt_i32_e64 s7, 0, v31
	v_dual_ashrrev_i32 v23, 31, v30 :: v_dual_ashrrev_i32 v21, 31, v21
	v_xor_b32_e32 v26, s5, v26
	v_xor_b32_e32 v27, s6, v27
	v_bitop3_b32 v22, v22, v25, v24 bitop3:0x80
	s_delay_alu instid0(VALU_DEP_4) | instskip(SKIP_3) | instid1(VALU_DEP_1)
	v_xor_b32_e32 v23, s7, v23
	v_xor_b32_e32 v21, s8, v21
	ds_load_b32 v34, v29 offset:64
	v_bitop3_b32 v22, v22, v27, v26 bitop3:0x80
	; wave barrier
	v_bitop3_b32 v21, v22, v21, v23 bitop3:0x80
	s_delay_alu instid0(VALU_DEP_1) | instskip(SKIP_1) | instid1(VALU_DEP_2)
	v_mbcnt_lo_u32_b32 v35, v21, 0
	v_cmp_ne_u32_e64 s2, 0, v21
	v_cmp_eq_u32_e32 vcc_lo, 0, v35
	s_and_b32 s3, s2, vcc_lo
	s_delay_alu instid0(SALU_CYCLE_1)
	s_and_saveexec_b32 s2, s3
	s_cbranch_execz .LBB1623_21
; %bb.20:
	s_wait_dscnt 0x0
	v_bcnt_u32_b32 v21, v21, v34
	ds_store_b32 v29, v21 offset:64
.LBB1623_21:
	s_or_b32 exec_lo, exec_lo, s2
	v_cmp_lt_i64_e32 vcc_lo, -1, v[8:9]
	s_mov_b64 s[22:23], 0x7fffffffffffffff
	; wave barrier
	v_cndmask_b32_e64 v21, -1, 0x80000000, vcc_lo
	s_delay_alu instid0(VALU_DEP_1) | instskip(NEXT) | instid1(VALU_DEP_1)
	v_dual_ashrrev_i32 v22, 31, v9 :: v_dual_bitop2_b32 v9, v21, v9 bitop3:0x14
	v_xor_b32_e32 v8, v22, v8
	s_delay_alu instid0(VALU_DEP_1) | instskip(SKIP_2) | instid1(VALU_DEP_1)
	v_cmp_ne_u64_e32 vcc_lo, s[22:23], v[8:9]
	v_cndmask_b32_e32 v23, 0x80000000, v9, vcc_lo
	v_cndmask_b32_e32 v22, 0, v8, vcc_lo
	v_lshrrev_b64 v[22:23], s20, v[22:23]
	s_delay_alu instid0(VALU_DEP_1) | instskip(SKIP_1) | instid1(VALU_DEP_2)
	v_and_b32_e32 v21, s29, v22
	v_bitop3_b32 v22, v22, 1, s29 bitop3:0x80
	v_lshlrev_b32_e32 v24, 30, v21
	s_delay_alu instid0(VALU_DEP_2) | instskip(NEXT) | instid1(VALU_DEP_1)
	v_add_co_u32 v22, s2, v22, -1
	v_cndmask_b32_e64 v23, 0, 1, s2
	s_delay_alu instid0(VALU_DEP_3) | instskip(NEXT) | instid1(VALU_DEP_2)
	v_cmp_gt_i32_e64 s2, 0, v24
	v_cmp_ne_u32_e32 vcc_lo, 0, v23
	v_not_b32_e32 v23, v24
	s_delay_alu instid0(VALU_DEP_1) | instskip(SKIP_3) | instid1(VALU_DEP_3)
	v_dual_ashrrev_i32 v23, 31, v23 :: v_dual_bitop2_b32 v22, vcc_lo, v22 bitop3:0x14
	v_dual_lshlrev_b32 v25, 29, v21 :: v_dual_lshlrev_b32 v26, 28, v21
	v_dual_lshlrev_b32 v27, 27, v21 :: v_dual_lshlrev_b32 v31, 26, v21
	v_lshlrev_b32_e32 v36, 25, v21
	v_cmp_gt_i32_e64 s3, 0, v25
	v_not_b32_e32 v24, v25
	v_not_b32_e32 v25, v26
	v_mad_u32 v30, 0x44, v21, v20
	v_lshlrev_b32_e32 v21, 24, v21
	v_cmp_gt_i32_e64 s4, 0, v26
	v_cmp_gt_i32_e64 s5, 0, v27
	v_not_b32_e32 v26, v27
	v_not_b32_e32 v27, v31
	v_dual_ashrrev_i32 v24, 31, v24 :: v_dual_ashrrev_i32 v25, 31, v25
	v_xor_b32_e32 v23, s2, v23
	v_cmp_gt_i32_e64 s6, 0, v31
	v_not_b32_e32 v31, v36
	v_cmp_gt_i32_e64 s8, 0, v21
	v_not_b32_e32 v21, v21
	v_dual_ashrrev_i32 v26, 31, v26 :: v_dual_ashrrev_i32 v27, 31, v27
	v_xor_b32_e32 v24, s3, v24
	v_xor_b32_e32 v25, s4, v25
	v_bitop3_b32 v22, v22, v23, exec_lo bitop3:0x80
	v_cmp_gt_i32_e64 s7, 0, v36
	v_dual_ashrrev_i32 v23, 31, v31 :: v_dual_ashrrev_i32 v21, 31, v21
	v_xor_b32_e32 v26, s5, v26
	v_xor_b32_e32 v27, s6, v27
	v_bitop3_b32 v22, v22, v25, v24 bitop3:0x80
	s_delay_alu instid0(VALU_DEP_4) | instskip(SKIP_3) | instid1(VALU_DEP_1)
	v_xor_b32_e32 v23, s7, v23
	v_xor_b32_e32 v21, s8, v21
	ds_load_b32 v36, v30 offset:64
	v_bitop3_b32 v22, v22, v27, v26 bitop3:0x80
	; wave barrier
	v_bitop3_b32 v21, v22, v21, v23 bitop3:0x80
	s_delay_alu instid0(VALU_DEP_1) | instskip(SKIP_1) | instid1(VALU_DEP_2)
	v_mbcnt_lo_u32_b32 v37, v21, 0
	v_cmp_ne_u32_e64 s2, 0, v21
	v_cmp_eq_u32_e32 vcc_lo, 0, v37
	s_and_b32 s3, s2, vcc_lo
	s_delay_alu instid0(SALU_CYCLE_1)
	s_and_saveexec_b32 s2, s3
	s_cbranch_execz .LBB1623_23
; %bb.22:
	s_wait_dscnt 0x0
	v_bcnt_u32_b32 v21, v21, v36
	ds_store_b32 v30, v21 offset:64
.LBB1623_23:
	s_or_b32 exec_lo, exec_lo, s2
	v_cmp_lt_i64_e32 vcc_lo, -1, v[10:11]
	; wave barrier
	v_cndmask_b32_e64 v21, -1, 0x80000000, vcc_lo
	s_delay_alu instid0(VALU_DEP_1) | instskip(NEXT) | instid1(VALU_DEP_1)
	v_dual_ashrrev_i32 v22, 31, v11 :: v_dual_bitop2_b32 v11, v21, v11 bitop3:0x14
	v_xor_b32_e32 v10, v22, v10
	s_delay_alu instid0(VALU_DEP_1) | instskip(SKIP_2) | instid1(VALU_DEP_1)
	v_cmp_ne_u64_e32 vcc_lo, s[22:23], v[10:11]
	v_cndmask_b32_e32 v23, 0x80000000, v11, vcc_lo
	v_cndmask_b32_e32 v22, 0, v10, vcc_lo
	v_lshrrev_b64 v[22:23], s20, v[22:23]
	s_delay_alu instid0(VALU_DEP_1) | instskip(SKIP_1) | instid1(VALU_DEP_2)
	v_and_b32_e32 v21, s29, v22
	v_bitop3_b32 v22, v22, 1, s29 bitop3:0x80
	v_lshlrev_b32_e32 v24, 30, v21
	s_delay_alu instid0(VALU_DEP_2) | instskip(NEXT) | instid1(VALU_DEP_1)
	v_add_co_u32 v22, s2, v22, -1
	v_cndmask_b32_e64 v23, 0, 1, s2
	s_delay_alu instid0(VALU_DEP_3) | instskip(NEXT) | instid1(VALU_DEP_2)
	v_cmp_gt_i32_e64 s2, 0, v24
	v_cmp_ne_u32_e32 vcc_lo, 0, v23
	v_not_b32_e32 v23, v24
	s_delay_alu instid0(VALU_DEP_1) | instskip(SKIP_3) | instid1(VALU_DEP_4)
	v_dual_ashrrev_i32 v23, 31, v23 :: v_dual_lshlrev_b32 v25, 29, v21
	v_dual_lshlrev_b32 v26, 28, v21 :: v_dual_lshlrev_b32 v27, 27, v21
	v_lshlrev_b32_e32 v38, 26, v21
	v_mad_u32 v31, 0x44, v21, v20
	v_cmp_gt_i32_e64 s3, 0, v25
	v_not_b32_e32 v24, v25
	v_not_b32_e32 v25, v26
	v_dual_lshlrev_b32 v39, 25, v21 :: v_dual_lshlrev_b32 v21, 24, v21
	v_cmp_gt_i32_e64 s4, 0, v26
	v_cmp_gt_i32_e64 s5, 0, v27
	v_not_b32_e32 v26, v27
	v_not_b32_e32 v27, v38
	v_dual_ashrrev_i32 v24, 31, v24 :: v_dual_bitop2_b32 v22, vcc_lo, v22 bitop3:0x14
	v_dual_ashrrev_i32 v25, 31, v25 :: v_dual_bitop2_b32 v23, s2, v23 bitop3:0x14
	v_cmp_gt_i32_e64 s6, 0, v38
	v_not_b32_e32 v38, v39
	v_cmp_gt_i32_e64 s8, 0, v21
	v_not_b32_e32 v21, v21
	v_dual_ashrrev_i32 v26, 31, v26 :: v_dual_ashrrev_i32 v27, 31, v27
	v_xor_b32_e32 v24, s3, v24
	v_xor_b32_e32 v25, s4, v25
	v_bitop3_b32 v22, v22, v23, exec_lo bitop3:0x80
	v_cmp_gt_i32_e64 s7, 0, v39
	v_dual_ashrrev_i32 v23, 31, v38 :: v_dual_ashrrev_i32 v21, 31, v21
	v_xor_b32_e32 v26, s5, v26
	v_xor_b32_e32 v27, s6, v27
	v_bitop3_b32 v22, v22, v25, v24 bitop3:0x80
	s_delay_alu instid0(VALU_DEP_4) | instskip(SKIP_3) | instid1(VALU_DEP_1)
	v_xor_b32_e32 v23, s7, v23
	v_xor_b32_e32 v21, s8, v21
	ds_load_b32 v38, v31 offset:64
	v_bitop3_b32 v22, v22, v27, v26 bitop3:0x80
	; wave barrier
	v_bitop3_b32 v21, v22, v21, v23 bitop3:0x80
	s_delay_alu instid0(VALU_DEP_1) | instskip(SKIP_1) | instid1(VALU_DEP_2)
	v_mbcnt_lo_u32_b32 v39, v21, 0
	v_cmp_ne_u32_e64 s2, 0, v21
	v_cmp_eq_u32_e32 vcc_lo, 0, v39
	s_and_b32 s3, s2, vcc_lo
	s_delay_alu instid0(SALU_CYCLE_1)
	s_and_saveexec_b32 s2, s3
	s_cbranch_execz .LBB1623_25
; %bb.24:
	s_wait_dscnt 0x0
	v_bcnt_u32_b32 v21, v21, v38
	ds_store_b32 v31, v21 offset:64
.LBB1623_25:
	s_or_b32 exec_lo, exec_lo, s2
	v_cmp_lt_i64_e32 vcc_lo, -1, v[12:13]
	; wave barrier
	v_cndmask_b32_e64 v21, -1, 0x80000000, vcc_lo
	s_delay_alu instid0(VALU_DEP_1) | instskip(NEXT) | instid1(VALU_DEP_1)
	v_dual_ashrrev_i32 v22, 31, v13 :: v_dual_bitop2_b32 v13, v21, v13 bitop3:0x14
	v_xor_b32_e32 v12, v22, v12
	s_delay_alu instid0(VALU_DEP_1) | instskip(SKIP_2) | instid1(VALU_DEP_1)
	v_cmp_ne_u64_e32 vcc_lo, s[22:23], v[12:13]
	v_cndmask_b32_e32 v23, 0x80000000, v13, vcc_lo
	v_cndmask_b32_e32 v22, 0, v12, vcc_lo
	v_lshrrev_b64 v[22:23], s20, v[22:23]
	s_delay_alu instid0(VALU_DEP_1) | instskip(SKIP_1) | instid1(VALU_DEP_2)
	v_and_b32_e32 v21, s29, v22
	v_bitop3_b32 v22, v22, 1, s29 bitop3:0x80
	v_lshlrev_b32_e32 v24, 30, v21
	s_delay_alu instid0(VALU_DEP_2) | instskip(NEXT) | instid1(VALU_DEP_1)
	v_add_co_u32 v22, s2, v22, -1
	v_cndmask_b32_e64 v23, 0, 1, s2
	s_delay_alu instid0(VALU_DEP_3) | instskip(NEXT) | instid1(VALU_DEP_2)
	v_cmp_gt_i32_e64 s2, 0, v24
	v_cmp_ne_u32_e32 vcc_lo, 0, v23
	v_not_b32_e32 v23, v24
	s_delay_alu instid0(VALU_DEP_1) | instskip(SKIP_3) | instid1(VALU_DEP_3)
	v_dual_ashrrev_i32 v23, 31, v23 :: v_dual_bitop2_b32 v22, vcc_lo, v22 bitop3:0x14
	v_dual_lshlrev_b32 v25, 29, v21 :: v_dual_lshlrev_b32 v26, 28, v21
	v_dual_lshlrev_b32 v27, 27, v21 :: v_dual_lshlrev_b32 v40, 26, v21
	v_lshlrev_b32_e32 v41, 25, v21
	v_cmp_gt_i32_e64 s3, 0, v25
	v_not_b32_e32 v24, v25
	v_not_b32_e32 v25, v26
	v_mad_u32 v42, 0x44, v21, v20
	v_lshlrev_b32_e32 v21, 24, v21
	v_cmp_gt_i32_e64 s4, 0, v26
	v_cmp_gt_i32_e64 s5, 0, v27
	v_not_b32_e32 v26, v27
	v_not_b32_e32 v27, v40
	v_dual_ashrrev_i32 v24, 31, v24 :: v_dual_ashrrev_i32 v25, 31, v25
	v_xor_b32_e32 v23, s2, v23
	v_cmp_gt_i32_e64 s6, 0, v40
	v_not_b32_e32 v40, v41
	v_cmp_gt_i32_e64 s8, 0, v21
	v_not_b32_e32 v21, v21
	v_dual_ashrrev_i32 v26, 31, v26 :: v_dual_ashrrev_i32 v27, 31, v27
	v_xor_b32_e32 v24, s3, v24
	v_xor_b32_e32 v25, s4, v25
	v_bitop3_b32 v22, v22, v23, exec_lo bitop3:0x80
	v_cmp_gt_i32_e64 s7, 0, v41
	v_dual_ashrrev_i32 v23, 31, v40 :: v_dual_ashrrev_i32 v21, 31, v21
	v_xor_b32_e32 v26, s5, v26
	v_xor_b32_e32 v27, s6, v27
	v_bitop3_b32 v22, v22, v25, v24 bitop3:0x80
	s_delay_alu instid0(VALU_DEP_4) | instskip(SKIP_3) | instid1(VALU_DEP_1)
	v_xor_b32_e32 v23, s7, v23
	v_xor_b32_e32 v21, s8, v21
	ds_load_b32 v40, v42 offset:64
	v_bitop3_b32 v22, v22, v27, v26 bitop3:0x80
	; wave barrier
	v_bitop3_b32 v21, v22, v21, v23 bitop3:0x80
	s_delay_alu instid0(VALU_DEP_1) | instskip(SKIP_1) | instid1(VALU_DEP_2)
	v_mbcnt_lo_u32_b32 v41, v21, 0
	v_cmp_ne_u32_e64 s2, 0, v21
	v_cmp_eq_u32_e32 vcc_lo, 0, v41
	s_and_b32 s3, s2, vcc_lo
	s_delay_alu instid0(SALU_CYCLE_1)
	s_and_saveexec_b32 s2, s3
	s_cbranch_execz .LBB1623_27
; %bb.26:
	s_wait_dscnt 0x0
	v_bcnt_u32_b32 v21, v21, v40
	ds_store_b32 v42, v21 offset:64
.LBB1623_27:
	s_or_b32 exec_lo, exec_lo, s2
	v_cmp_lt_i64_e32 vcc_lo, -1, v[16:17]
	; wave barrier
	v_cndmask_b32_e64 v21, -1, 0x80000000, vcc_lo
	s_delay_alu instid0(VALU_DEP_1) | instskip(NEXT) | instid1(VALU_DEP_1)
	v_dual_ashrrev_i32 v22, 31, v17 :: v_dual_bitop2_b32 v17, v21, v17 bitop3:0x14
	v_xor_b32_e32 v16, v22, v16
	s_delay_alu instid0(VALU_DEP_1) | instskip(SKIP_2) | instid1(VALU_DEP_1)
	v_cmp_ne_u64_e32 vcc_lo, s[22:23], v[16:17]
	v_cndmask_b32_e32 v23, 0x80000000, v17, vcc_lo
	v_cndmask_b32_e32 v22, 0, v16, vcc_lo
	v_lshrrev_b64 v[22:23], s20, v[22:23]
	s_delay_alu instid0(VALU_DEP_1) | instskip(SKIP_1) | instid1(VALU_DEP_2)
	v_and_b32_e32 v21, s29, v22
	v_bitop3_b32 v22, v22, 1, s29 bitop3:0x80
	v_lshlrev_b32_e32 v24, 30, v21
	s_delay_alu instid0(VALU_DEP_2) | instskip(NEXT) | instid1(VALU_DEP_1)
	v_add_co_u32 v22, s2, v22, -1
	v_cndmask_b32_e64 v23, 0, 1, s2
	s_delay_alu instid0(VALU_DEP_3) | instskip(NEXT) | instid1(VALU_DEP_2)
	v_cmp_gt_i32_e64 s2, 0, v24
	v_cmp_ne_u32_e32 vcc_lo, 0, v23
	v_not_b32_e32 v23, v24
	s_delay_alu instid0(VALU_DEP_1) | instskip(SKIP_3) | instid1(VALU_DEP_3)
	v_dual_ashrrev_i32 v23, 31, v23 :: v_dual_bitop2_b32 v22, vcc_lo, v22 bitop3:0x14
	v_dual_lshlrev_b32 v25, 29, v21 :: v_dual_lshlrev_b32 v26, 28, v21
	v_dual_lshlrev_b32 v27, 27, v21 :: v_dual_lshlrev_b32 v43, 26, v21
	v_lshlrev_b32_e32 v44, 25, v21
	v_cmp_gt_i32_e64 s3, 0, v25
	v_not_b32_e32 v24, v25
	v_not_b32_e32 v25, v26
	v_mad_u32 v45, 0x44, v21, v20
	v_lshlrev_b32_e32 v21, 24, v21
	v_cmp_gt_i32_e64 s4, 0, v26
	v_cmp_gt_i32_e64 s5, 0, v27
	v_not_b32_e32 v26, v27
	v_not_b32_e32 v27, v43
	v_dual_ashrrev_i32 v24, 31, v24 :: v_dual_ashrrev_i32 v25, 31, v25
	v_xor_b32_e32 v23, s2, v23
	v_cmp_gt_i32_e64 s6, 0, v43
	v_not_b32_e32 v43, v44
	v_cmp_gt_i32_e64 s8, 0, v21
	v_not_b32_e32 v21, v21
	v_dual_ashrrev_i32 v26, 31, v26 :: v_dual_ashrrev_i32 v27, 31, v27
	v_xor_b32_e32 v24, s3, v24
	v_xor_b32_e32 v25, s4, v25
	v_bitop3_b32 v22, v22, v23, exec_lo bitop3:0x80
	v_cmp_gt_i32_e64 s7, 0, v44
	v_dual_ashrrev_i32 v23, 31, v43 :: v_dual_ashrrev_i32 v21, 31, v21
	v_xor_b32_e32 v26, s5, v26
	v_xor_b32_e32 v27, s6, v27
	v_bitop3_b32 v22, v22, v25, v24 bitop3:0x80
	s_delay_alu instid0(VALU_DEP_4) | instskip(SKIP_3) | instid1(VALU_DEP_1)
	v_xor_b32_e32 v23, s7, v23
	v_xor_b32_e32 v21, s8, v21
	ds_load_b32 v43, v45 offset:64
	v_bitop3_b32 v22, v22, v27, v26 bitop3:0x80
	; wave barrier
	v_bitop3_b32 v21, v22, v21, v23 bitop3:0x80
	s_delay_alu instid0(VALU_DEP_1) | instskip(SKIP_1) | instid1(VALU_DEP_2)
	v_mbcnt_lo_u32_b32 v44, v21, 0
	v_cmp_ne_u32_e64 s2, 0, v21
	v_cmp_eq_u32_e32 vcc_lo, 0, v44
	s_and_b32 s3, s2, vcc_lo
	s_delay_alu instid0(SALU_CYCLE_1)
	s_and_saveexec_b32 s2, s3
	s_cbranch_execz .LBB1623_29
; %bb.28:
	s_wait_dscnt 0x0
	v_bcnt_u32_b32 v21, v21, v43
	ds_store_b32 v45, v21 offset:64
.LBB1623_29:
	s_or_b32 exec_lo, exec_lo, s2
	v_cmp_lt_i64_e32 vcc_lo, -1, v[18:19]
	; wave barrier
	v_cndmask_b32_e64 v21, -1, 0x80000000, vcc_lo
	s_delay_alu instid0(VALU_DEP_1) | instskip(NEXT) | instid1(VALU_DEP_1)
	v_dual_ashrrev_i32 v22, 31, v19 :: v_dual_bitop2_b32 v19, v21, v19 bitop3:0x14
	v_xor_b32_e32 v18, v22, v18
	s_delay_alu instid0(VALU_DEP_1) | instskip(SKIP_2) | instid1(VALU_DEP_1)
	v_cmp_ne_u64_e32 vcc_lo, s[22:23], v[18:19]
	v_cndmask_b32_e32 v23, 0x80000000, v19, vcc_lo
	v_cndmask_b32_e32 v22, 0, v18, vcc_lo
	v_lshrrev_b64 v[22:23], s20, v[22:23]
	s_delay_alu instid0(VALU_DEP_1) | instskip(SKIP_1) | instid1(VALU_DEP_2)
	v_and_b32_e32 v21, s29, v22
	v_bitop3_b32 v22, v22, 1, s29 bitop3:0x80
	v_lshlrev_b32_e32 v24, 30, v21
	s_delay_alu instid0(VALU_DEP_2) | instskip(NEXT) | instid1(VALU_DEP_1)
	v_add_co_u32 v22, s2, v22, -1
	v_cndmask_b32_e64 v23, 0, 1, s2
	s_delay_alu instid0(VALU_DEP_3) | instskip(NEXT) | instid1(VALU_DEP_2)
	v_cmp_gt_i32_e64 s2, 0, v24
	v_cmp_ne_u32_e32 vcc_lo, 0, v23
	v_not_b32_e32 v23, v24
	s_delay_alu instid0(VALU_DEP_1) | instskip(SKIP_3) | instid1(VALU_DEP_4)
	v_dual_ashrrev_i32 v23, 31, v23 :: v_dual_lshlrev_b32 v25, 29, v21
	v_dual_lshlrev_b32 v26, 28, v21 :: v_dual_lshlrev_b32 v27, 27, v21
	v_lshlrev_b32_e32 v46, 26, v21
	v_mad_u32 v48, 0x44, v21, v20
	v_cmp_gt_i32_e64 s3, 0, v25
	v_not_b32_e32 v24, v25
	v_not_b32_e32 v25, v26
	v_dual_lshlrev_b32 v47, 25, v21 :: v_dual_lshlrev_b32 v21, 24, v21
	v_cmp_gt_i32_e64 s4, 0, v26
	v_cmp_gt_i32_e64 s5, 0, v27
	v_not_b32_e32 v26, v27
	v_not_b32_e32 v27, v46
	v_dual_ashrrev_i32 v24, 31, v24 :: v_dual_bitop2_b32 v22, vcc_lo, v22 bitop3:0x14
	v_dual_ashrrev_i32 v25, 31, v25 :: v_dual_bitop2_b32 v23, s2, v23 bitop3:0x14
	v_cmp_gt_i32_e64 s6, 0, v46
	v_not_b32_e32 v46, v47
	v_cmp_gt_i32_e64 s8, 0, v21
	v_not_b32_e32 v21, v21
	v_dual_ashrrev_i32 v26, 31, v26 :: v_dual_ashrrev_i32 v27, 31, v27
	v_xor_b32_e32 v24, s3, v24
	v_xor_b32_e32 v25, s4, v25
	v_bitop3_b32 v22, v22, v23, exec_lo bitop3:0x80
	v_cmp_gt_i32_e64 s7, 0, v47
	v_dual_ashrrev_i32 v23, 31, v46 :: v_dual_ashrrev_i32 v21, 31, v21
	v_xor_b32_e32 v26, s5, v26
	v_xor_b32_e32 v27, s6, v27
	v_bitop3_b32 v22, v22, v25, v24 bitop3:0x80
	s_delay_alu instid0(VALU_DEP_4) | instskip(SKIP_3) | instid1(VALU_DEP_1)
	v_xor_b32_e32 v23, s7, v23
	v_xor_b32_e32 v21, s8, v21
	ds_load_b32 v46, v48 offset:64
	v_bitop3_b32 v22, v22, v27, v26 bitop3:0x80
	; wave barrier
	v_bitop3_b32 v21, v22, v21, v23 bitop3:0x80
	s_delay_alu instid0(VALU_DEP_1) | instskip(SKIP_1) | instid1(VALU_DEP_2)
	v_mbcnt_lo_u32_b32 v47, v21, 0
	v_cmp_ne_u32_e64 s2, 0, v21
	v_cmp_eq_u32_e32 vcc_lo, 0, v47
	s_and_b32 s3, s2, vcc_lo
	s_delay_alu instid0(SALU_CYCLE_1)
	s_and_saveexec_b32 s2, s3
	s_cbranch_execz .LBB1623_31
; %bb.30:
	s_wait_dscnt 0x0
	v_bcnt_u32_b32 v21, v21, v46
	ds_store_b32 v48, v21 offset:64
.LBB1623_31:
	s_or_b32 exec_lo, exec_lo, s2
	v_cmp_lt_i64_e32 vcc_lo, -1, v[14:15]
	; wave barrier
	v_cndmask_b32_e64 v21, -1, 0x80000000, vcc_lo
	s_delay_alu instid0(VALU_DEP_1) | instskip(NEXT) | instid1(VALU_DEP_1)
	v_dual_ashrrev_i32 v22, 31, v15 :: v_dual_bitop2_b32 v15, v21, v15 bitop3:0x14
	v_xor_b32_e32 v14, v22, v14
	s_delay_alu instid0(VALU_DEP_1) | instskip(SKIP_2) | instid1(VALU_DEP_1)
	v_cmp_ne_u64_e32 vcc_lo, s[22:23], v[14:15]
	v_cndmask_b32_e32 v23, 0x80000000, v15, vcc_lo
	v_cndmask_b32_e32 v22, 0, v14, vcc_lo
	v_lshrrev_b64 v[22:23], s20, v[22:23]
	s_delay_alu instid0(VALU_DEP_1) | instskip(SKIP_1) | instid1(VALU_DEP_2)
	v_and_b32_e32 v21, s29, v22
	v_bitop3_b32 v22, v22, 1, s29 bitop3:0x80
	v_mad_u32 v51, 0x44, v21, v20
	s_delay_alu instid0(VALU_DEP_2) | instskip(NEXT) | instid1(VALU_DEP_1)
	v_add_co_u32 v20, s2, v22, -1
	v_cndmask_b32_e64 v22, 0, 1, s2
	v_lshlrev_b32_e32 v23, 30, v21
	s_delay_alu instid0(VALU_DEP_2) | instskip(NEXT) | instid1(VALU_DEP_2)
	v_cmp_ne_u32_e32 vcc_lo, 0, v22
	v_not_b32_e32 v22, v23
	v_cmp_gt_i32_e64 s2, 0, v23
	s_delay_alu instid0(VALU_DEP_2) | instskip(SKIP_3) | instid1(VALU_DEP_4)
	v_dual_ashrrev_i32 v22, 31, v22 :: v_dual_lshlrev_b32 v24, 29, v21
	v_dual_lshlrev_b32 v25, 28, v21 :: v_dual_lshlrev_b32 v26, 27, v21
	v_dual_lshlrev_b32 v27, 26, v21 :: v_dual_lshlrev_b32 v49, 25, v21
	v_lshlrev_b32_e32 v21, 24, v21
	v_cmp_gt_i32_e64 s3, 0, v24
	v_not_b32_e32 v23, v24
	v_not_b32_e32 v24, v25
	v_cmp_gt_i32_e64 s4, 0, v25
	v_cmp_gt_i32_e64 s5, 0, v26
	v_not_b32_e32 v25, v26
	v_not_b32_e32 v26, v27
	v_dual_ashrrev_i32 v23, 31, v23 :: v_dual_bitop2_b32 v20, vcc_lo, v20 bitop3:0x14
	v_dual_ashrrev_i32 v24, 31, v24 :: v_dual_bitop2_b32 v22, s2, v22 bitop3:0x14
	v_cmp_gt_i32_e64 s6, 0, v27
	v_not_b32_e32 v27, v49
	v_cmp_gt_i32_e64 s8, 0, v21
	v_not_b32_e32 v21, v21
	v_dual_ashrrev_i32 v25, 31, v25 :: v_dual_ashrrev_i32 v26, 31, v26
	v_xor_b32_e32 v23, s3, v23
	v_xor_b32_e32 v24, s4, v24
	v_bitop3_b32 v20, v20, v22, exec_lo bitop3:0x80
	v_cmp_gt_i32_e64 s7, 0, v49
	v_dual_ashrrev_i32 v22, 31, v27 :: v_dual_ashrrev_i32 v21, 31, v21
	v_xor_b32_e32 v25, s5, v25
	v_xor_b32_e32 v26, s6, v26
	v_bitop3_b32 v20, v20, v24, v23 bitop3:0x80
	s_delay_alu instid0(VALU_DEP_4) | instskip(SKIP_3) | instid1(VALU_DEP_1)
	v_xor_b32_e32 v22, s7, v22
	v_xor_b32_e32 v21, s8, v21
	ds_load_b32 v49, v51 offset:64
	v_bitop3_b32 v20, v20, v26, v25 bitop3:0x80
	; wave barrier
	v_bitop3_b32 v20, v20, v21, v22 bitop3:0x80
	s_delay_alu instid0(VALU_DEP_1) | instskip(SKIP_1) | instid1(VALU_DEP_2)
	v_mbcnt_lo_u32_b32 v50, v20, 0
	v_cmp_ne_u32_e64 s2, 0, v20
	v_cmp_eq_u32_e32 vcc_lo, 0, v50
	s_and_b32 s3, s2, vcc_lo
	s_delay_alu instid0(SALU_CYCLE_1)
	s_and_saveexec_b32 s2, s3
	s_cbranch_execz .LBB1623_33
; %bb.32:
	s_wait_dscnt 0x0
	v_bcnt_u32_b32 v20, v20, v49
	ds_store_b32 v51, v20 offset:64
.LBB1623_33:
	s_or_b32 exec_lo, exec_lo, s2
	; wave barrier
	s_wait_dscnt 0x0
	s_barrier_signal -1
	s_barrier_wait -1
	ds_load_2addr_b32 v[26:27], v3 offset0:16 offset1:17
	ds_load_2addr_b32 v[24:25], v3 offset0:18 offset1:19
	ds_load_2addr_b32 v[22:23], v3 offset0:20 offset1:21
	ds_load_2addr_b32 v[20:21], v3 offset0:22 offset1:23
	ds_load_b32 v52, v3 offset:96
	v_bfe_i32 v55, v33, 4, 1
	s_mov_b32 s6, exec_lo
	s_wait_dscnt 0x3
	v_add3_u32 v53, v27, v26, v24
	s_wait_dscnt 0x2
	s_delay_alu instid0(VALU_DEP_1) | instskip(SKIP_1) | instid1(VALU_DEP_1)
	v_add3_u32 v53, v53, v25, v22
	s_wait_dscnt 0x1
	v_add3_u32 v53, v53, v23, v20
	s_wait_dscnt 0x0
	s_delay_alu instid0(VALU_DEP_1) | instskip(SKIP_1) | instid1(VALU_DEP_2)
	v_add3_u32 v52, v53, v21, v52
	v_and_b32_e32 v53, 15, v33
	v_mov_b32_dpp v54, v52 row_shr:1 row_mask:0xf bank_mask:0xf
	s_delay_alu instid0(VALU_DEP_2) | instskip(NEXT) | instid1(VALU_DEP_2)
	v_cmp_eq_u32_e32 vcc_lo, 0, v53
	v_cndmask_b32_e64 v54, v54, 0, vcc_lo
	s_delay_alu instid0(VALU_DEP_1) | instskip(SKIP_3) | instid1(VALU_DEP_4)
	v_add_nc_u32_e32 v52, v54, v52
	v_cmp_lt_u32_e64 s2, 1, v53
	v_cmp_lt_u32_e64 s3, 3, v53
	;; [unrolled: 1-line block ×3, first 2 shown]
	v_mov_b32_dpp v54, v52 row_shr:2 row_mask:0xf bank_mask:0xf
	s_delay_alu instid0(VALU_DEP_1) | instskip(NEXT) | instid1(VALU_DEP_1)
	v_cndmask_b32_e64 v54, 0, v54, s2
	v_add_nc_u32_e32 v52, v52, v54
	s_delay_alu instid0(VALU_DEP_1) | instskip(NEXT) | instid1(VALU_DEP_1)
	v_mov_b32_dpp v54, v52 row_shr:4 row_mask:0xf bank_mask:0xf
	v_cndmask_b32_e64 v54, 0, v54, s3
	s_delay_alu instid0(VALU_DEP_1) | instskip(NEXT) | instid1(VALU_DEP_1)
	v_add_nc_u32_e32 v52, v52, v54
	v_mov_b32_dpp v54, v52 row_shr:8 row_mask:0xf bank_mask:0xf
	s_delay_alu instid0(VALU_DEP_1) | instskip(SKIP_1) | instid1(VALU_DEP_2)
	v_cndmask_b32_e64 v53, 0, v54, s4
	v_and_b32_e32 v54, 0x3e0, v32
	v_add_nc_u32_e32 v52, v52, v53
	s_delay_alu instid0(VALU_DEP_2) | instskip(SKIP_3) | instid1(VALU_DEP_1)
	v_min_u32_e32 v54, 0x1e0, v54
	ds_swizzle_b32 v53, v52 offset:swizzle(BROADCAST,32,15)
	s_wait_dscnt 0x0
	v_dual_lshrrev_b32 v53, 5, v32 :: v_dual_bitop2_b32 v55, v55, v53 bitop3:0x40
	v_dual_add_nc_u32 v52, v52, v55 :: v_dual_bitop2_b32 v54, 31, v54 bitop3:0x54
	s_delay_alu instid0(VALU_DEP_1)
	v_cmpx_eq_u32_e64 v32, v54
; %bb.34:
	s_delay_alu instid0(VALU_DEP_3)
	v_lshlrev_b32_e32 v54, 2, v53
	ds_store_b32 v54, v52
; %bb.35:
	s_or_b32 exec_lo, exec_lo, s6
	s_delay_alu instid0(SALU_CYCLE_1)
	s_mov_b32 s6, exec_lo
	s_wait_dscnt 0x0
	s_barrier_signal -1
	s_barrier_wait -1
	v_cmpx_gt_u32_e32 16, v32
	s_cbranch_execz .LBB1623_37
; %bb.36:
	v_lshlrev_b32_e32 v54, 2, v32
	ds_load_b32 v55, v54
	s_wait_dscnt 0x0
	v_mov_b32_dpp v56, v55 row_shr:1 row_mask:0xf bank_mask:0xf
	s_delay_alu instid0(VALU_DEP_1) | instskip(NEXT) | instid1(VALU_DEP_1)
	v_cndmask_b32_e64 v56, v56, 0, vcc_lo
	v_add_nc_u32_e32 v55, v56, v55
	s_delay_alu instid0(VALU_DEP_1) | instskip(NEXT) | instid1(VALU_DEP_1)
	v_mov_b32_dpp v56, v55 row_shr:2 row_mask:0xf bank_mask:0xf
	v_cndmask_b32_e64 v56, 0, v56, s2
	s_delay_alu instid0(VALU_DEP_1) | instskip(NEXT) | instid1(VALU_DEP_1)
	v_add_nc_u32_e32 v55, v55, v56
	v_mov_b32_dpp v56, v55 row_shr:4 row_mask:0xf bank_mask:0xf
	s_delay_alu instid0(VALU_DEP_1) | instskip(NEXT) | instid1(VALU_DEP_1)
	v_cndmask_b32_e64 v56, 0, v56, s3
	v_add_nc_u32_e32 v55, v55, v56
	s_delay_alu instid0(VALU_DEP_1) | instskip(NEXT) | instid1(VALU_DEP_1)
	v_mov_b32_dpp v56, v55 row_shr:8 row_mask:0xf bank_mask:0xf
	v_cndmask_b32_e64 v56, 0, v56, s4
	s_delay_alu instid0(VALU_DEP_1)
	v_add_nc_u32_e32 v55, v55, v56
	ds_store_b32 v54, v55
.LBB1623_37:
	s_or_b32 exec_lo, exec_lo, s6
	v_mov_b32_e32 v54, 0
	s_mov_b32 s2, exec_lo
	s_wait_dscnt 0x0
	s_barrier_signal -1
	s_barrier_wait -1
	v_cmpx_lt_u32_e32 31, v32
; %bb.38:
	v_lshl_add_u32 v53, v53, 2, -4
	ds_load_b32 v54, v53
; %bb.39:
	s_or_b32 exec_lo, exec_lo, s2
	v_sub_co_u32 v53, vcc_lo, v33, 1
	s_wait_dscnt 0x0
	v_add_nc_u32_e32 v52, v54, v52
	s_delay_alu instid0(VALU_DEP_2) | instskip(NEXT) | instid1(VALU_DEP_1)
	v_cmp_gt_i32_e64 s2, 0, v53
	v_cndmask_b32_e64 v53, v53, v33, s2
	v_cmp_lt_u32_e64 s2, 0xff, v32
	s_delay_alu instid0(VALU_DEP_2) | instskip(SKIP_4) | instid1(VALU_DEP_2)
	v_lshlrev_b32_e32 v53, 2, v53
	ds_bpermute_b32 v52, v53, v52
	s_wait_dscnt 0x0
	v_cndmask_b32_e32 v52, v52, v54, vcc_lo
	v_cmp_ne_u32_e32 vcc_lo, 0, v32
	v_cndmask_b32_e32 v52, 0, v52, vcc_lo
	v_cmp_gt_u32_e32 vcc_lo, 0x100, v32
	s_delay_alu instid0(VALU_DEP_2) | instskip(NEXT) | instid1(VALU_DEP_1)
	v_add_nc_u32_e32 v26, v52, v26
	v_add_nc_u32_e32 v27, v26, v27
	s_delay_alu instid0(VALU_DEP_1) | instskip(NEXT) | instid1(VALU_DEP_1)
	v_add_nc_u32_e32 v24, v27, v24
	v_add_nc_u32_e32 v25, v24, v25
	s_delay_alu instid0(VALU_DEP_1) | instskip(NEXT) | instid1(VALU_DEP_1)
	;; [unrolled: 3-line block ×3, first 2 shown]
	v_add_nc_u32_e32 v20, v23, v20
	v_add_nc_u32_e32 v21, v20, v21
	ds_store_2addr_b32 v3, v52, v26 offset0:16 offset1:17
	ds_store_2addr_b32 v3, v27, v24 offset0:18 offset1:19
	;; [unrolled: 1-line block ×4, first 2 shown]
	ds_store_b32 v3, v21 offset:96
	s_wait_dscnt 0x0
	s_barrier_signal -1
	s_barrier_wait -1
	ds_load_b32 v23, v28 offset:64
	ds_load_b32 v52, v29 offset:64
	;; [unrolled: 1-line block ×8, first 2 shown]
	v_mov_b64_e32 v[20:21], 0
                                        ; implicit-def: $vgpr22
	s_and_saveexec_b32 s4, vcc_lo
	s_cbranch_execz .LBB1623_43
; %bb.40:
	v_mul_u32_u24_e32 v3, 0x44, v32
	v_add_nc_u32_e32 v21, 1, v32
	s_mov_b32 s5, exec_lo
	ds_load_b32 v20, v3 offset:64
	v_mov_b32_e32 v3, 0x1000
	v_cmpx_ne_u32_e32 0x100, v21
; %bb.41:
	v_mul_u32_u24_e32 v3, 0x44, v21
	ds_load_b32 v3, v3 offset:64
; %bb.42:
	s_or_b32 exec_lo, exec_lo, s5
	s_wait_dscnt 0x0
	v_dual_mov_b32 v21, 0 :: v_dual_sub_nc_u32 v22, v3, v20
.LBB1623_43:
	s_or_b32 exec_lo, exec_lo, s4
	v_mov_b32_e32 v25, 0
	s_wait_dscnt 0x0
	s_barrier_signal -1
	s_barrier_wait -1
	s_and_saveexec_b32 s3, vcc_lo
	s_cbranch_execz .LBB1623_53
; %bb.44:
	v_lshl_add_u32 v24, s26, 8, v32
	v_dual_mov_b32 v28, 0 :: v_dual_bitop2_b32 v3, 2.0, v22 bitop3:0x54
	s_mov_b32 s4, 0
	s_mov_b32 s5, s26
	s_delay_alu instid0(VALU_DEP_2)
	v_lshl_add_u64 v[26:27], v[24:25], 2, s[10:11]
	global_store_b32 v24, v3, s[10:11] scale_offset scope:SCOPE_DEV
                                        ; implicit-def: $sgpr6
	s_branch .LBB1623_47
.LBB1623_45:                            ;   in Loop: Header=BB1623_47 Depth=1
	s_or_b32 exec_lo, exec_lo, s7
.LBB1623_46:                            ;   in Loop: Header=BB1623_47 Depth=1
	s_delay_alu instid0(SALU_CYCLE_1) | instskip(SKIP_2) | instid1(VALU_DEP_2)
	s_or_b32 exec_lo, exec_lo, s6
	v_and_b32_e32 v24, 0x3fffffff, v3
	v_cmp_gt_i32_e64 s6, -2.0, v3
	v_add_nc_u32_e32 v28, v24, v28
	s_and_b32 s7, exec_lo, s6
	s_delay_alu instid0(SALU_CYCLE_1) | instskip(NEXT) | instid1(SALU_CYCLE_1)
	s_or_b32 s4, s7, s4
	s_and_not1_b32 exec_lo, exec_lo, s4
	s_cbranch_execz .LBB1623_52
.LBB1623_47:                            ; =>This Loop Header: Depth=1
                                        ;     Child Loop BB1623_50 Depth 2
	s_or_b32 s6, s6, exec_lo
	s_cmp_eq_u32 s5, 0
	s_cbranch_scc1 .LBB1623_51
; %bb.48:                               ;   in Loop: Header=BB1623_47 Depth=1
	s_add_co_i32 s5, s5, -1
	s_mov_b32 s6, exec_lo
	s_wait_xcnt 0x0
	v_lshl_or_b32 v24, s5, 8, v32
	global_load_b32 v3, v24, s[10:11] scale_offset scope:SCOPE_DEV
	s_wait_loadcnt 0x0
	v_cmpx_gt_u32_e32 2.0, v3
	s_cbranch_execz .LBB1623_46
; %bb.49:                               ;   in Loop: Header=BB1623_47 Depth=1
	v_lshl_add_u64 v[30:31], v[24:25], 2, s[10:11]
	s_mov_b32 s7, 0
.LBB1623_50:                            ;   Parent Loop BB1623_47 Depth=1
                                        ; =>  This Inner Loop Header: Depth=2
	global_load_b32 v3, v[30:31], off scope:SCOPE_DEV
	s_wait_loadcnt 0x0
	v_cmp_lt_u32_e32 vcc_lo, 0x3fffffff, v3
	s_or_b32 s7, vcc_lo, s7
	s_wait_xcnt 0x0
	s_and_not1_b32 exec_lo, exec_lo, s7
	s_cbranch_execnz .LBB1623_50
	s_branch .LBB1623_45
.LBB1623_51:                            ;   in Loop: Header=BB1623_47 Depth=1
                                        ; implicit-def: $sgpr5
	s_and_b32 s7, exec_lo, s6
	s_delay_alu instid0(SALU_CYCLE_1)
	s_or_b32 s4, s7, s4
	s_wait_xcnt 0x0
	s_and_not1_b32 exec_lo, exec_lo, s4
	s_cbranch_execnz .LBB1623_47
.LBB1623_52:
	s_or_b32 exec_lo, exec_lo, s4
	v_dual_add_nc_u32 v3, v28, v22 :: v_dual_mov_b32 v29, 0
	s_delay_alu instid0(VALU_DEP_1)
	v_or_b32_e32 v3, 0x80000000, v3
	global_store_b32 v[26:27], v3, off scope:SCOPE_DEV
	global_load_b64 v[24:25], v32, s[12:13] scale_offset
	s_wait_xcnt 0x1
	v_sub_nc_u64_e32 v[26:27], v[28:29], v[20:21]
	s_wait_loadcnt 0x0
	s_delay_alu instid0(VALU_DEP_1)
	v_add_nc_u64_e32 v[24:25], v[26:27], v[24:25]
	ds_store_b64 v2, v[24:25]
.LBB1623_53:
	s_wait_xcnt 0x0
	s_or_b32 exec_lo, exec_lo, s3
	v_dual_mov_b32 v3, 0 :: v_dual_add_nc_u32 v1, v23, v1
	v_add3_u32 v23, v47, v48, v46
	v_add3_u32 v26, v44, v45, v43
	;; [unrolled: 1-line block ×3, first 2 shown]
	s_delay_alu instid0(VALU_DEP_4)
	v_add_nc_u64_e32 v[24:25], s[18:19], v[2:3]
	v_add3_u32 v3, v50, v51, v49
	v_add3_u32 v28, v39, v54, v38
	;; [unrolled: 1-line block ×4, first 2 shown]
	v_mov_b32_e32 v31, v32
	s_mov_b64 s[4:5], 0x7fffffffffffffff
	v_add_nc_u64_e32 v[24:25], 0x3000, v[24:25]
	s_mov_b32 s6, -1
	s_mov_b32 s3, 0
	s_branch .LBB1623_55
.LBB1623_54:                            ;   in Loop: Header=BB1623_55 Depth=1
	s_wait_xcnt 0x0
	s_or_b32 exec_lo, exec_lo, s7
	v_add_nc_u64_e32 v[24:25], 0x4000, v[24:25]
	v_add_nc_u32_e32 v31, 0x800, v31
	s_xor_b32 s6, s6, -1
	s_addk_co_i32 s3, 0xf800
	s_and_b32 vcc_lo, exec_lo, s6
	s_mov_b32 s6, 0
	s_wait_storecnt 0x0
	s_barrier_signal -1
	s_barrier_wait -1
	s_cbranch_vccnz .LBB1623_63
.LBB1623_55:                            ; =>This Inner Loop Header: Depth=1
	v_add_min_u32_e64 v34, v1, s3, 0x800
	v_add_min_u32_e64 v35, v30, s3, 0x800
	;; [unrolled: 1-line block ×5, first 2 shown]
	s_delay_alu instid0(VALU_DEP_4) | instskip(NEXT) | instid1(VALU_DEP_3)
	v_dual_lshlrev_b32 v34, 3, v34 :: v_dual_lshlrev_b32 v35, 3, v35
	v_dual_lshlrev_b32 v36, 3, v36 :: v_dual_lshlrev_b32 v37, 3, v37
	s_mov_b32 s7, exec_lo
	ds_store_b64 v34, v[4:5] offset:2048
	ds_store_b64 v35, v[6:7] offset:2048
	;; [unrolled: 1-line block ×3, first 2 shown]
	v_add_min_u32_e64 v34, v26, s3, 0x800
	v_add_min_u32_e64 v35, v23, s3, 0x800
	;; [unrolled: 1-line block ×3, first 2 shown]
	v_lshlrev_b32_e32 v38, 3, v38
	s_delay_alu instid0(VALU_DEP_3) | instskip(NEXT) | instid1(VALU_DEP_3)
	v_dual_lshlrev_b32 v34, 3, v34 :: v_dual_lshlrev_b32 v35, 3, v35
	v_lshlrev_b32_e32 v36, 3, v36
	ds_store_b64 v37, v[10:11] offset:2048
	ds_store_b64 v38, v[12:13] offset:2048
	;; [unrolled: 1-line block ×5, first 2 shown]
	s_wait_storecnt_dscnt 0x0
	s_barrier_signal -1
	s_barrier_wait -1
	v_cmpx_gt_u32_e64 s27, v31
	s_cbranch_execz .LBB1623_57
; %bb.56:                               ;   in Loop: Header=BB1623_55 Depth=1
	ds_load_b64 v[34:35], v2 offset:2048
	s_wait_dscnt 0x0
	v_cmp_ne_u64_e32 vcc_lo, s[4:5], v[34:35]
	v_ashrrev_i32_e32 v38, 31, v35
	s_delay_alu instid0(VALU_DEP_1) | instskip(SKIP_3) | instid1(VALU_DEP_4)
	v_not_b32_e32 v38, v38
	v_cndmask_b32_e32 v37, 0x80000000, v35, vcc_lo
	v_cndmask_b32_e32 v36, 0, v34, vcc_lo
	v_cmp_lt_i64_e32 vcc_lo, -1, v[34:35]
	v_xor_b32_e32 v34, v38, v34
	s_delay_alu instid0(VALU_DEP_3) | instskip(SKIP_1) | instid1(VALU_DEP_2)
	v_lshrrev_b64 v[36:37], s20, v[36:37]
	v_cndmask_b32_e64 v39, 0x80000000, -1, vcc_lo
	v_and_b32_e32 v36, s29, v36
	s_delay_alu instid0(VALU_DEP_1)
	v_dual_lshlrev_b32 v36, 3, v36 :: v_dual_bitop2_b32 v35, v39, v35 bitop3:0x14
	ds_load_b64 v[36:37], v36
	s_wait_dscnt 0x0
	v_lshl_add_u64 v[36:37], v[36:37], 3, v[24:25]
	global_store_b64 v[36:37], v[34:35], off offset:-12288
.LBB1623_57:                            ;   in Loop: Header=BB1623_55 Depth=1
	s_wait_xcnt 0x0
	s_or_b32 exec_lo, exec_lo, s7
	v_add_nc_u32_e32 v34, 0x200, v31
	s_mov_b32 s7, exec_lo
	s_delay_alu instid0(VALU_DEP_1)
	v_cmpx_gt_u32_e64 s27, v34
	s_cbranch_execz .LBB1623_59
; %bb.58:                               ;   in Loop: Header=BB1623_55 Depth=1
	ds_load_b64 v[34:35], v2 offset:6144
	s_wait_dscnt 0x0
	v_cmp_ne_u64_e32 vcc_lo, s[4:5], v[34:35]
	v_ashrrev_i32_e32 v38, 31, v35
	s_delay_alu instid0(VALU_DEP_1) | instskip(SKIP_3) | instid1(VALU_DEP_4)
	v_not_b32_e32 v38, v38
	v_cndmask_b32_e32 v37, 0x80000000, v35, vcc_lo
	v_cndmask_b32_e32 v36, 0, v34, vcc_lo
	v_cmp_lt_i64_e32 vcc_lo, -1, v[34:35]
	v_xor_b32_e32 v34, v38, v34
	s_delay_alu instid0(VALU_DEP_3) | instskip(SKIP_1) | instid1(VALU_DEP_2)
	v_lshrrev_b64 v[36:37], s20, v[36:37]
	v_cndmask_b32_e64 v39, 0x80000000, -1, vcc_lo
	v_and_b32_e32 v36, s29, v36
	s_delay_alu instid0(VALU_DEP_1)
	v_dual_lshlrev_b32 v36, 3, v36 :: v_dual_bitop2_b32 v35, v39, v35 bitop3:0x14
	ds_load_b64 v[36:37], v36
	s_wait_dscnt 0x0
	v_lshl_add_u64 v[36:37], v[36:37], 3, v[24:25]
	global_store_b64 v[36:37], v[34:35], off offset:-8192
.LBB1623_59:                            ;   in Loop: Header=BB1623_55 Depth=1
	s_wait_xcnt 0x0
	s_or_b32 exec_lo, exec_lo, s7
	v_add_nc_u32_e32 v34, 0x400, v31
	s_mov_b32 s7, exec_lo
	s_delay_alu instid0(VALU_DEP_1)
	;; [unrolled: 29-line block ×3, first 2 shown]
	v_cmpx_gt_u32_e64 s27, v34
	s_cbranch_execz .LBB1623_54
; %bb.62:                               ;   in Loop: Header=BB1623_55 Depth=1
	ds_load_b64 v[34:35], v2 offset:14336
	s_wait_dscnt 0x0
	v_cmp_ne_u64_e32 vcc_lo, s[4:5], v[34:35]
	v_ashrrev_i32_e32 v38, 31, v35
	s_delay_alu instid0(VALU_DEP_1) | instskip(SKIP_3) | instid1(VALU_DEP_4)
	v_not_b32_e32 v38, v38
	v_cndmask_b32_e32 v37, 0x80000000, v35, vcc_lo
	v_cndmask_b32_e32 v36, 0, v34, vcc_lo
	v_cmp_lt_i64_e32 vcc_lo, -1, v[34:35]
	v_xor_b32_e32 v34, v38, v34
	s_delay_alu instid0(VALU_DEP_3) | instskip(SKIP_1) | instid1(VALU_DEP_2)
	v_lshrrev_b64 v[36:37], s20, v[36:37]
	v_cndmask_b32_e64 v39, 0x80000000, -1, vcc_lo
	v_and_b32_e32 v36, s29, v36
	s_delay_alu instid0(VALU_DEP_1)
	v_dual_lshlrev_b32 v36, 3, v36 :: v_dual_bitop2_b32 v35, v39, v35 bitop3:0x14
	ds_load_b64 v[36:37], v36
	s_wait_dscnt 0x0
	v_lshl_add_u64 v[36:37], v[36:37], 3, v[24:25]
	global_store_b64 v[36:37], v[34:35], off
	s_branch .LBB1623_54
.LBB1623_63:
	s_add_co_i32 s28, s28, -1
	s_delay_alu instid0(SALU_CYCLE_1) | instskip(SKIP_2) | instid1(SALU_CYCLE_1)
	s_cmp_eq_u32 s26, s28
	s_cselect_b32 s3, -1, 0
	s_xor_b32 s2, s2, -1
	s_and_b32 s3, s2, s3
	s_delay_alu instid0(SALU_CYCLE_1)
	s_and_saveexec_b32 s2, s3
	s_cbranch_execz .LBB1623_65
; %bb.64:
	ds_load_b64 v[2:3], v2
	v_mov_b32_e32 v23, 0
	s_delay_alu instid0(VALU_DEP_1) | instskip(SKIP_1) | instid1(VALU_DEP_1)
	v_add_nc_u64_e32 v[4:5], v[20:21], v[22:23]
	s_wait_dscnt 0x0
	v_add_nc_u64_e32 v[2:3], v[4:5], v[2:3]
	global_store_b64 v32, v[2:3], s[14:15] scale_offset
.LBB1623_65:
	s_wait_xcnt 0x0
	s_or_b32 exec_lo, exec_lo, s2
	s_mov_b32 s2, 0
.LBB1623_66:
	s_delay_alu instid0(SALU_CYCLE_1)
	s_and_b32 vcc_lo, exec_lo, s2
	s_cbranch_vccz .LBB1623_107
; %bb.67:
	s_lshl_b32 s2, s26, 12
	s_mov_b32 s3, 0
	v_dual_mov_b32 v19, 0 :: v_dual_lshlrev_b32 v18, 3, v33
	s_lshl_b64 s[4:5], s[2:3], 3
	v_lshlrev_b32_e32 v1, 6, v32
	s_add_nc_u64 s[4:5], s[16:17], s[4:5]
	s_mov_b64 s[8:9], 0x7fffffffffffffff
	v_add_nc_u64_e32 v[2:3], s[4:5], v[18:19]
	v_bfe_u32 v22, v0, 20, 10
	v_and_b32_e32 v18, 0x7800, v1
	s_delay_alu instid0(VALU_DEP_1)
	v_add_nc_u64_e32 v[2:3], v[2:3], v[18:19]
	v_bfe_u32 v18, v0, 10, 10
	s_clause 0x7
	global_load_b64 v[20:21], v[2:3], off
	global_load_b64 v[16:17], v[2:3], off offset:256
	global_load_b64 v[4:5], v[2:3], off offset:512
	;; [unrolled: 1-line block ×7, first 2 shown]
	s_clause 0x1
	s_load_b32 s16, s[0:1], 0x58
	s_load_u16 s4, s[0:1], 0x66
	s_wait_kmcnt 0x0
	s_cmp_lt_u32 s26, s16
	s_cselect_b32 s2, 12, 18
	s_lshl_b32 s7, -1, s21
	s_add_nc_u64 s[0:1], s[24:25], s[2:3]
	s_not_b32 s17, s7
	s_load_u16 s0, s[0:1], 0x0
	s_wait_loadcnt 0x7
	v_cmp_lt_i64_e32 vcc_lo, -1, v[20:21]
	v_ashrrev_i32_e32 v2, 31, v21
	s_delay_alu instid0(VALU_DEP_1) | instskip(SKIP_1) | instid1(VALU_DEP_1)
	v_xor_b32_e32 v2, v2, v20
	v_cndmask_b32_e64 v1, -1, 0x80000000, vcc_lo
	v_xor_b32_e32 v3, v1, v21
	s_delay_alu instid0(VALU_DEP_1) | instskip(SKIP_2) | instid1(VALU_DEP_1)
	v_cmp_ne_u64_e32 vcc_lo, s[8:9], v[2:3]
	v_cndmask_b32_e32 v20, 0, v2, vcc_lo
	v_cndmask_b32_e32 v21, 0x80000000, v3, vcc_lo
	v_lshrrev_b64 v[0:1], s20, v[20:21]
	v_mad_u32_u24 v1, v22, s4, v18
	s_delay_alu instid0(VALU_DEP_2) | instskip(SKIP_2) | instid1(VALU_DEP_3)
	v_bitop3_b32 v18, v0, 1, s7 bitop3:0x40
	v_bitop3_b32 v20, v0, s7, v0 bitop3:0x30
	s_wait_kmcnt 0x0
	v_mad_u32 v0, v1, s0, v32
	s_delay_alu instid0(VALU_DEP_3) | instskip(NEXT) | instid1(VALU_DEP_1)
	v_add_co_u32 v1, s0, v18, -1
	v_cndmask_b32_e64 v18, 0, 1, s0
	v_dual_lshlrev_b32 v21, 30, v20 :: v_dual_lshlrev_b32 v22, 29, v20
	v_dual_lshlrev_b32 v23, 28, v20 :: v_dual_lshlrev_b32 v24, 27, v20
	s_delay_alu instid0(VALU_DEP_3) | instskip(NEXT) | instid1(VALU_DEP_3)
	v_cmp_ne_u32_e32 vcc_lo, 0, v18
	v_not_b32_e32 v18, v21
	v_dual_lshlrev_b32 v25, 26, v20 :: v_dual_lshlrev_b32 v26, 25, v20
	v_lshlrev_b32_e32 v27, 24, v20
	v_cmp_gt_i32_e64 s0, 0, v21
	v_cmp_gt_i32_e64 s1, 0, v22
	v_not_b32_e32 v21, v22
	v_not_b32_e32 v22, v23
	v_ashrrev_i32_e32 v18, 31, v18
	v_cmp_gt_i32_e64 s2, 0, v23
	v_cmp_gt_i32_e64 s3, 0, v24
	v_not_b32_e32 v23, v24
	v_not_b32_e32 v24, v25
	v_dual_ashrrev_i32 v22, 31, v22 :: v_dual_bitop2_b32 v1, vcc_lo, v1 bitop3:0x14
	v_dual_ashrrev_i32 v21, 31, v21 :: v_dual_bitop2_b32 v18, s0, v18 bitop3:0x14
	v_cmp_gt_i32_e64 s4, 0, v25
	v_cmp_gt_i32_e64 s5, 0, v26
	v_not_b32_e32 v25, v26
	v_not_b32_e32 v26, v27
	v_dual_ashrrev_i32 v23, 31, v23 :: v_dual_ashrrev_i32 v24, 31, v24
	v_xor_b32_e32 v21, s1, v21
	v_xor_b32_e32 v22, s2, v22
	v_bitop3_b32 v1, v1, v18, exec_lo bitop3:0x80
	v_cmp_gt_i32_e64 s6, 0, v27
	v_dual_ashrrev_i32 v18, 31, v25 :: v_dual_ashrrev_i32 v25, 31, v26
	v_dual_lshrrev_b32 v0, 5, v0 :: v_dual_bitop2_b32 v23, s3, v23 bitop3:0x14
	v_xor_b32_e32 v24, s4, v24
	v_bitop3_b32 v1, v1, v22, v21 bitop3:0x80
	s_delay_alu instid0(VALU_DEP_4) | instskip(NEXT) | instid1(VALU_DEP_4)
	v_xor_b32_e32 v21, s5, v18
	v_dual_lshlrev_b32 v18, 2, v0 :: v_dual_bitop2_b32 v22, s6, v25 bitop3:0x14
	s_delay_alu instid0(VALU_DEP_3)
	v_bitop3_b32 v1, v1, v24, v23 bitop3:0x80
	v_mul_u32_u24_e32 v24, 36, v32
	ds_store_2addr_b32 v24, v19, v19 offset0:16 offset1:17
	ds_store_2addr_b32 v24, v19, v19 offset0:18 offset1:19
	;; [unrolled: 1-line block ×4, first 2 shown]
	v_bitop3_b32 v0, v1, v22, v21 bitop3:0x80
	v_mad_u32 v25, 0x44, v20, v18
	ds_store_b32 v24, v19 offset:96
	s_wait_storecnt 0x0
	s_wait_loadcnt_dscnt 0x0
	s_barrier_signal -1
	v_mbcnt_lo_u32_b32 v30, v0, 0
	v_cmp_ne_u32_e64 s0, 0, v0
	s_barrier_wait -1
	s_delay_alu instid0(VALU_DEP_2) | instskip(SKIP_1) | instid1(SALU_CYCLE_1)
	v_cmp_eq_u32_e32 vcc_lo, 0, v30
	; wave barrier
	s_and_b32 s1, s0, vcc_lo
	s_and_saveexec_b32 s0, s1
; %bb.68:
	v_bcnt_u32_b32 v0, v0, 0
	ds_store_b32 v25, v0 offset:64
; %bb.69:
	s_or_b32 exec_lo, exec_lo, s0
	v_cmp_lt_i64_e32 vcc_lo, -1, v[16:17]
	; wave barrier
	v_cndmask_b32_e64 v0, -1, 0x80000000, vcc_lo
	s_delay_alu instid0(VALU_DEP_1) | instskip(NEXT) | instid1(VALU_DEP_1)
	v_dual_ashrrev_i32 v19, 31, v17 :: v_dual_bitop2_b32 v1, v0, v17 bitop3:0x14
	v_xor_b32_e32 v0, v19, v16
	s_delay_alu instid0(VALU_DEP_1) | instskip(SKIP_2) | instid1(VALU_DEP_1)
	v_cmp_ne_u64_e32 vcc_lo, s[8:9], v[0:1]
	v_cndmask_b32_e32 v17, 0x80000000, v1, vcc_lo
	v_cndmask_b32_e32 v16, 0, v0, vcc_lo
	v_lshrrev_b64 v[16:17], s20, v[16:17]
	s_delay_alu instid0(VALU_DEP_1) | instskip(SKIP_1) | instid1(VALU_DEP_2)
	v_and_b32_e32 v17, s17, v16
	v_bitop3_b32 v16, v16, 1, s17 bitop3:0x80
	v_lshlrev_b32_e32 v20, 30, v17
	s_delay_alu instid0(VALU_DEP_2) | instskip(NEXT) | instid1(VALU_DEP_1)
	v_add_co_u32 v16, s0, v16, -1
	v_cndmask_b32_e64 v19, 0, 1, s0
	s_delay_alu instid0(VALU_DEP_3) | instskip(NEXT) | instid1(VALU_DEP_2)
	v_cmp_gt_i32_e64 s0, 0, v20
	v_cmp_ne_u32_e32 vcc_lo, 0, v19
	v_not_b32_e32 v19, v20
	s_delay_alu instid0(VALU_DEP_1) | instskip(SKIP_3) | instid1(VALU_DEP_3)
	v_dual_ashrrev_i32 v19, 31, v19 :: v_dual_bitop2_b32 v16, vcc_lo, v16 bitop3:0x14
	v_dual_lshlrev_b32 v21, 29, v17 :: v_dual_lshlrev_b32 v22, 28, v17
	v_dual_lshlrev_b32 v23, 27, v17 :: v_dual_lshlrev_b32 v27, 26, v17
	v_lshlrev_b32_e32 v28, 25, v17
	v_cmp_gt_i32_e64 s1, 0, v21
	v_not_b32_e32 v20, v21
	v_not_b32_e32 v21, v22
	v_mad_u32 v26, 0x44, v17, v18
	v_lshlrev_b32_e32 v17, 24, v17
	v_cmp_gt_i32_e64 s2, 0, v22
	v_cmp_gt_i32_e64 s3, 0, v23
	v_not_b32_e32 v22, v23
	v_not_b32_e32 v23, v27
	v_dual_ashrrev_i32 v20, 31, v20 :: v_dual_ashrrev_i32 v21, 31, v21
	v_xor_b32_e32 v19, s0, v19
	v_cmp_gt_i32_e64 s4, 0, v27
	v_not_b32_e32 v27, v28
	v_cmp_gt_i32_e64 s6, 0, v17
	v_not_b32_e32 v17, v17
	v_dual_ashrrev_i32 v22, 31, v22 :: v_dual_ashrrev_i32 v23, 31, v23
	v_xor_b32_e32 v20, s1, v20
	v_xor_b32_e32 v21, s2, v21
	v_bitop3_b32 v16, v16, v19, exec_lo bitop3:0x80
	v_cmp_gt_i32_e64 s5, 0, v28
	v_dual_ashrrev_i32 v19, 31, v27 :: v_dual_ashrrev_i32 v17, 31, v17
	v_xor_b32_e32 v22, s3, v22
	v_xor_b32_e32 v23, s4, v23
	v_bitop3_b32 v16, v16, v21, v20 bitop3:0x80
	s_delay_alu instid0(VALU_DEP_4) | instskip(SKIP_3) | instid1(VALU_DEP_1)
	v_xor_b32_e32 v19, s5, v19
	v_xor_b32_e32 v17, s6, v17
	ds_load_b32 v31, v26 offset:64
	v_bitop3_b32 v16, v16, v23, v22 bitop3:0x80
	; wave barrier
	v_bitop3_b32 v16, v16, v17, v19 bitop3:0x80
	s_delay_alu instid0(VALU_DEP_1) | instskip(SKIP_1) | instid1(VALU_DEP_2)
	v_mbcnt_lo_u32_b32 v34, v16, 0
	v_cmp_ne_u32_e64 s0, 0, v16
	v_cmp_eq_u32_e32 vcc_lo, 0, v34
	s_and_b32 s1, s0, vcc_lo
	s_delay_alu instid0(SALU_CYCLE_1)
	s_and_saveexec_b32 s0, s1
	s_cbranch_execz .LBB1623_71
; %bb.70:
	s_wait_dscnt 0x0
	v_bcnt_u32_b32 v16, v16, v31
	ds_store_b32 v26, v16 offset:64
.LBB1623_71:
	s_or_b32 exec_lo, exec_lo, s0
	v_cmp_lt_i64_e32 vcc_lo, -1, v[4:5]
	; wave barrier
	v_cndmask_b32_e64 v16, -1, 0x80000000, vcc_lo
	s_delay_alu instid0(VALU_DEP_1) | instskip(NEXT) | instid1(VALU_DEP_1)
	v_dual_ashrrev_i32 v17, 31, v5 :: v_dual_bitop2_b32 v5, v16, v5 bitop3:0x14
	v_xor_b32_e32 v4, v17, v4
	s_delay_alu instid0(VALU_DEP_1) | instskip(SKIP_2) | instid1(VALU_DEP_1)
	v_cmp_ne_u64_e32 vcc_lo, s[8:9], v[4:5]
	v_cndmask_b32_e32 v17, 0x80000000, v5, vcc_lo
	v_cndmask_b32_e32 v16, 0, v4, vcc_lo
	v_lshrrev_b64 v[16:17], s20, v[16:17]
	s_delay_alu instid0(VALU_DEP_1) | instskip(SKIP_1) | instid1(VALU_DEP_2)
	v_and_b32_e32 v17, s17, v16
	v_bitop3_b32 v16, v16, 1, s17 bitop3:0x80
	v_lshlrev_b32_e32 v20, 30, v17
	s_delay_alu instid0(VALU_DEP_2) | instskip(NEXT) | instid1(VALU_DEP_1)
	v_add_co_u32 v16, s0, v16, -1
	v_cndmask_b32_e64 v19, 0, 1, s0
	s_delay_alu instid0(VALU_DEP_3) | instskip(NEXT) | instid1(VALU_DEP_2)
	v_cmp_gt_i32_e64 s0, 0, v20
	v_cmp_ne_u32_e32 vcc_lo, 0, v19
	v_not_b32_e32 v19, v20
	s_delay_alu instid0(VALU_DEP_1) | instskip(SKIP_3) | instid1(VALU_DEP_3)
	v_dual_ashrrev_i32 v19, 31, v19 :: v_dual_bitop2_b32 v16, vcc_lo, v16 bitop3:0x14
	v_dual_lshlrev_b32 v21, 29, v17 :: v_dual_lshlrev_b32 v22, 28, v17
	v_dual_lshlrev_b32 v23, 27, v17 :: v_dual_lshlrev_b32 v28, 26, v17
	v_lshlrev_b32_e32 v29, 25, v17
	v_cmp_gt_i32_e64 s1, 0, v21
	v_not_b32_e32 v20, v21
	v_not_b32_e32 v21, v22
	v_mad_u32 v27, 0x44, v17, v18
	v_lshlrev_b32_e32 v17, 24, v17
	v_cmp_gt_i32_e64 s2, 0, v22
	v_cmp_gt_i32_e64 s3, 0, v23
	v_not_b32_e32 v22, v23
	v_not_b32_e32 v23, v28
	v_dual_ashrrev_i32 v20, 31, v20 :: v_dual_ashrrev_i32 v21, 31, v21
	v_xor_b32_e32 v19, s0, v19
	v_cmp_gt_i32_e64 s4, 0, v28
	v_not_b32_e32 v28, v29
	v_cmp_gt_i32_e64 s6, 0, v17
	v_not_b32_e32 v17, v17
	v_dual_ashrrev_i32 v22, 31, v22 :: v_dual_ashrrev_i32 v23, 31, v23
	v_xor_b32_e32 v20, s1, v20
	v_xor_b32_e32 v21, s2, v21
	v_bitop3_b32 v16, v16, v19, exec_lo bitop3:0x80
	v_cmp_gt_i32_e64 s5, 0, v29
	v_dual_ashrrev_i32 v19, 31, v28 :: v_dual_ashrrev_i32 v17, 31, v17
	v_xor_b32_e32 v22, s3, v22
	v_xor_b32_e32 v23, s4, v23
	v_bitop3_b32 v16, v16, v21, v20 bitop3:0x80
	s_delay_alu instid0(VALU_DEP_4) | instskip(SKIP_3) | instid1(VALU_DEP_1)
	v_xor_b32_e32 v19, s5, v19
	v_xor_b32_e32 v17, s6, v17
	ds_load_b32 v35, v27 offset:64
	v_bitop3_b32 v16, v16, v23, v22 bitop3:0x80
	; wave barrier
	v_bitop3_b32 v16, v16, v17, v19 bitop3:0x80
	s_delay_alu instid0(VALU_DEP_1) | instskip(SKIP_1) | instid1(VALU_DEP_2)
	v_mbcnt_lo_u32_b32 v36, v16, 0
	v_cmp_ne_u32_e64 s0, 0, v16
	v_cmp_eq_u32_e32 vcc_lo, 0, v36
	s_and_b32 s1, s0, vcc_lo
	s_delay_alu instid0(SALU_CYCLE_1)
	s_and_saveexec_b32 s0, s1
	s_cbranch_execz .LBB1623_73
; %bb.72:
	s_wait_dscnt 0x0
	v_bcnt_u32_b32 v16, v16, v35
	ds_store_b32 v27, v16 offset:64
.LBB1623_73:
	s_or_b32 exec_lo, exec_lo, s0
	v_cmp_lt_i64_e32 vcc_lo, -1, v[6:7]
	; wave barrier
	v_cndmask_b32_e64 v16, -1, 0x80000000, vcc_lo
	s_delay_alu instid0(VALU_DEP_1) | instskip(NEXT) | instid1(VALU_DEP_1)
	v_dual_ashrrev_i32 v17, 31, v7 :: v_dual_bitop2_b32 v7, v16, v7 bitop3:0x14
	v_xor_b32_e32 v6, v17, v6
	s_delay_alu instid0(VALU_DEP_1) | instskip(SKIP_2) | instid1(VALU_DEP_1)
	v_cmp_ne_u64_e32 vcc_lo, s[8:9], v[6:7]
	v_cndmask_b32_e32 v17, 0x80000000, v7, vcc_lo
	v_cndmask_b32_e32 v16, 0, v6, vcc_lo
	v_lshrrev_b64 v[16:17], s20, v[16:17]
	s_delay_alu instid0(VALU_DEP_1) | instskip(SKIP_1) | instid1(VALU_DEP_2)
	v_and_b32_e32 v17, s17, v16
	v_bitop3_b32 v16, v16, 1, s17 bitop3:0x80
	v_lshlrev_b32_e32 v20, 30, v17
	s_delay_alu instid0(VALU_DEP_2) | instskip(NEXT) | instid1(VALU_DEP_1)
	v_add_co_u32 v16, s0, v16, -1
	v_cndmask_b32_e64 v19, 0, 1, s0
	s_delay_alu instid0(VALU_DEP_3) | instskip(NEXT) | instid1(VALU_DEP_2)
	v_cmp_gt_i32_e64 s0, 0, v20
	v_cmp_ne_u32_e32 vcc_lo, 0, v19
	v_not_b32_e32 v19, v20
	s_delay_alu instid0(VALU_DEP_1) | instskip(SKIP_3) | instid1(VALU_DEP_3)
	v_dual_ashrrev_i32 v19, 31, v19 :: v_dual_bitop2_b32 v16, vcc_lo, v16 bitop3:0x14
	v_dual_lshlrev_b32 v21, 29, v17 :: v_dual_lshlrev_b32 v22, 28, v17
	v_dual_lshlrev_b32 v23, 27, v17 :: v_dual_lshlrev_b32 v29, 26, v17
	v_lshlrev_b32_e32 v37, 25, v17
	v_cmp_gt_i32_e64 s1, 0, v21
	v_not_b32_e32 v20, v21
	v_not_b32_e32 v21, v22
	v_mad_u32 v28, 0x44, v17, v18
	v_lshlrev_b32_e32 v17, 24, v17
	v_cmp_gt_i32_e64 s2, 0, v22
	v_cmp_gt_i32_e64 s3, 0, v23
	v_not_b32_e32 v22, v23
	v_not_b32_e32 v23, v29
	v_dual_ashrrev_i32 v20, 31, v20 :: v_dual_ashrrev_i32 v21, 31, v21
	v_xor_b32_e32 v19, s0, v19
	v_cmp_gt_i32_e64 s4, 0, v29
	v_not_b32_e32 v29, v37
	v_cmp_gt_i32_e64 s6, 0, v17
	v_not_b32_e32 v17, v17
	v_dual_ashrrev_i32 v22, 31, v22 :: v_dual_ashrrev_i32 v23, 31, v23
	v_xor_b32_e32 v20, s1, v20
	v_xor_b32_e32 v21, s2, v21
	v_bitop3_b32 v16, v16, v19, exec_lo bitop3:0x80
	v_cmp_gt_i32_e64 s5, 0, v37
	v_ashrrev_i32_e32 v19, 31, v29
	v_dual_ashrrev_i32 v17, 31, v17 :: v_dual_bitop2_b32 v22, s3, v22 bitop3:0x14
	v_xor_b32_e32 v23, s4, v23
	v_bitop3_b32 v16, v16, v21, v20 bitop3:0x80
	s_delay_alu instid0(VALU_DEP_4) | instskip(NEXT) | instid1(VALU_DEP_4)
	v_xor_b32_e32 v19, s5, v19
	v_xor_b32_e32 v17, s6, v17
	ds_load_b32 v37, v28 offset:64
	v_bitop3_b32 v16, v16, v23, v22 bitop3:0x80
	; wave barrier
	s_delay_alu instid0(VALU_DEP_1) | instskip(NEXT) | instid1(VALU_DEP_1)
	v_bitop3_b32 v16, v16, v17, v19 bitop3:0x80
	v_mbcnt_lo_u32_b32 v38, v16, 0
	v_cmp_ne_u32_e64 s0, 0, v16
	s_delay_alu instid0(VALU_DEP_2) | instskip(SKIP_1) | instid1(SALU_CYCLE_1)
	v_cmp_eq_u32_e32 vcc_lo, 0, v38
	s_and_b32 s1, s0, vcc_lo
	s_and_saveexec_b32 s0, s1
	s_cbranch_execz .LBB1623_75
; %bb.74:
	s_wait_dscnt 0x0
	v_bcnt_u32_b32 v16, v16, v37
	ds_store_b32 v28, v16 offset:64
.LBB1623_75:
	s_or_b32 exec_lo, exec_lo, s0
	v_cmp_lt_i64_e32 vcc_lo, -1, v[8:9]
	; wave barrier
	v_cndmask_b32_e64 v16, -1, 0x80000000, vcc_lo
	s_delay_alu instid0(VALU_DEP_1) | instskip(NEXT) | instid1(VALU_DEP_1)
	v_dual_ashrrev_i32 v17, 31, v9 :: v_dual_bitop2_b32 v9, v16, v9 bitop3:0x14
	v_xor_b32_e32 v8, v17, v8
	s_delay_alu instid0(VALU_DEP_1) | instskip(SKIP_2) | instid1(VALU_DEP_1)
	v_cmp_ne_u64_e32 vcc_lo, s[8:9], v[8:9]
	v_cndmask_b32_e32 v17, 0x80000000, v9, vcc_lo
	v_cndmask_b32_e32 v16, 0, v8, vcc_lo
	v_lshrrev_b64 v[16:17], s20, v[16:17]
	s_delay_alu instid0(VALU_DEP_1) | instskip(SKIP_1) | instid1(VALU_DEP_2)
	v_and_b32_e32 v17, s17, v16
	v_bitop3_b32 v16, v16, 1, s17 bitop3:0x80
	v_lshlrev_b32_e32 v20, 30, v17
	s_delay_alu instid0(VALU_DEP_2) | instskip(NEXT) | instid1(VALU_DEP_1)
	v_add_co_u32 v16, s0, v16, -1
	v_cndmask_b32_e64 v19, 0, 1, s0
	s_delay_alu instid0(VALU_DEP_3) | instskip(NEXT) | instid1(VALU_DEP_2)
	v_cmp_gt_i32_e64 s0, 0, v20
	v_cmp_ne_u32_e32 vcc_lo, 0, v19
	v_not_b32_e32 v19, v20
	s_delay_alu instid0(VALU_DEP_1) | instskip(SKIP_3) | instid1(VALU_DEP_3)
	v_dual_ashrrev_i32 v19, 31, v19 :: v_dual_bitop2_b32 v16, vcc_lo, v16 bitop3:0x14
	v_dual_lshlrev_b32 v21, 29, v17 :: v_dual_lshlrev_b32 v22, 28, v17
	v_dual_lshlrev_b32 v23, 27, v17 :: v_dual_lshlrev_b32 v39, 26, v17
	v_lshlrev_b32_e32 v40, 25, v17
	v_cmp_gt_i32_e64 s1, 0, v21
	v_not_b32_e32 v20, v21
	v_not_b32_e32 v21, v22
	v_mad_u32 v29, 0x44, v17, v18
	v_lshlrev_b32_e32 v17, 24, v17
	v_cmp_gt_i32_e64 s2, 0, v22
	v_cmp_gt_i32_e64 s3, 0, v23
	v_not_b32_e32 v22, v23
	v_not_b32_e32 v23, v39
	v_dual_ashrrev_i32 v20, 31, v20 :: v_dual_ashrrev_i32 v21, 31, v21
	v_xor_b32_e32 v19, s0, v19
	v_cmp_gt_i32_e64 s4, 0, v39
	v_not_b32_e32 v39, v40
	v_cmp_gt_i32_e64 s6, 0, v17
	v_not_b32_e32 v17, v17
	v_dual_ashrrev_i32 v22, 31, v22 :: v_dual_ashrrev_i32 v23, 31, v23
	v_xor_b32_e32 v20, s1, v20
	v_xor_b32_e32 v21, s2, v21
	v_bitop3_b32 v16, v16, v19, exec_lo bitop3:0x80
	v_cmp_gt_i32_e64 s5, 0, v40
	v_dual_ashrrev_i32 v19, 31, v39 :: v_dual_ashrrev_i32 v17, 31, v17
	v_xor_b32_e32 v22, s3, v22
	v_xor_b32_e32 v23, s4, v23
	v_bitop3_b32 v16, v16, v21, v20 bitop3:0x80
	s_delay_alu instid0(VALU_DEP_4) | instskip(SKIP_3) | instid1(VALU_DEP_1)
	v_xor_b32_e32 v19, s5, v19
	v_xor_b32_e32 v17, s6, v17
	ds_load_b32 v39, v29 offset:64
	v_bitop3_b32 v16, v16, v23, v22 bitop3:0x80
	; wave barrier
	v_bitop3_b32 v16, v16, v17, v19 bitop3:0x80
	s_delay_alu instid0(VALU_DEP_1) | instskip(SKIP_1) | instid1(VALU_DEP_2)
	v_mbcnt_lo_u32_b32 v40, v16, 0
	v_cmp_ne_u32_e64 s0, 0, v16
	v_cmp_eq_u32_e32 vcc_lo, 0, v40
	s_and_b32 s1, s0, vcc_lo
	s_delay_alu instid0(SALU_CYCLE_1)
	s_and_saveexec_b32 s0, s1
	s_cbranch_execz .LBB1623_77
; %bb.76:
	s_wait_dscnt 0x0
	v_bcnt_u32_b32 v16, v16, v39
	ds_store_b32 v29, v16 offset:64
.LBB1623_77:
	s_or_b32 exec_lo, exec_lo, s0
	v_cmp_lt_i64_e32 vcc_lo, -1, v[10:11]
	; wave barrier
	v_cndmask_b32_e64 v16, -1, 0x80000000, vcc_lo
	s_delay_alu instid0(VALU_DEP_1) | instskip(NEXT) | instid1(VALU_DEP_1)
	v_dual_ashrrev_i32 v17, 31, v11 :: v_dual_bitop2_b32 v11, v16, v11 bitop3:0x14
	v_xor_b32_e32 v10, v17, v10
	s_delay_alu instid0(VALU_DEP_1) | instskip(SKIP_2) | instid1(VALU_DEP_1)
	v_cmp_ne_u64_e32 vcc_lo, s[8:9], v[10:11]
	v_cndmask_b32_e32 v17, 0x80000000, v11, vcc_lo
	v_cndmask_b32_e32 v16, 0, v10, vcc_lo
	v_lshrrev_b64 v[16:17], s20, v[16:17]
	s_delay_alu instid0(VALU_DEP_1) | instskip(SKIP_1) | instid1(VALU_DEP_2)
	v_and_b32_e32 v17, s17, v16
	v_bitop3_b32 v16, v16, 1, s17 bitop3:0x80
	v_lshlrev_b32_e32 v20, 30, v17
	s_delay_alu instid0(VALU_DEP_2) | instskip(NEXT) | instid1(VALU_DEP_1)
	v_add_co_u32 v16, s0, v16, -1
	v_cndmask_b32_e64 v19, 0, 1, s0
	s_delay_alu instid0(VALU_DEP_3) | instskip(NEXT) | instid1(VALU_DEP_2)
	v_cmp_gt_i32_e64 s0, 0, v20
	v_cmp_ne_u32_e32 vcc_lo, 0, v19
	v_not_b32_e32 v19, v20
	s_delay_alu instid0(VALU_DEP_1) | instskip(SKIP_3) | instid1(VALU_DEP_3)
	v_dual_ashrrev_i32 v19, 31, v19 :: v_dual_bitop2_b32 v16, vcc_lo, v16 bitop3:0x14
	v_dual_lshlrev_b32 v21, 29, v17 :: v_dual_lshlrev_b32 v22, 28, v17
	v_dual_lshlrev_b32 v23, 27, v17 :: v_dual_lshlrev_b32 v41, 26, v17
	v_lshlrev_b32_e32 v42, 25, v17
	v_cmp_gt_i32_e64 s1, 0, v21
	v_not_b32_e32 v20, v21
	v_not_b32_e32 v21, v22
	v_mad_u32 v43, 0x44, v17, v18
	v_lshlrev_b32_e32 v17, 24, v17
	v_cmp_gt_i32_e64 s2, 0, v22
	v_cmp_gt_i32_e64 s3, 0, v23
	v_not_b32_e32 v22, v23
	v_not_b32_e32 v23, v41
	v_dual_ashrrev_i32 v20, 31, v20 :: v_dual_ashrrev_i32 v21, 31, v21
	v_xor_b32_e32 v19, s0, v19
	v_cmp_gt_i32_e64 s4, 0, v41
	v_not_b32_e32 v41, v42
	v_cmp_gt_i32_e64 s6, 0, v17
	v_not_b32_e32 v17, v17
	v_dual_ashrrev_i32 v22, 31, v22 :: v_dual_ashrrev_i32 v23, 31, v23
	v_xor_b32_e32 v20, s1, v20
	v_xor_b32_e32 v21, s2, v21
	v_bitop3_b32 v16, v16, v19, exec_lo bitop3:0x80
	v_cmp_gt_i32_e64 s5, 0, v42
	v_ashrrev_i32_e32 v19, 31, v41
	v_dual_ashrrev_i32 v17, 31, v17 :: v_dual_bitop2_b32 v22, s3, v22 bitop3:0x14
	v_xor_b32_e32 v23, s4, v23
	v_bitop3_b32 v16, v16, v21, v20 bitop3:0x80
	s_delay_alu instid0(VALU_DEP_4) | instskip(NEXT) | instid1(VALU_DEP_4)
	v_xor_b32_e32 v19, s5, v19
	v_xor_b32_e32 v17, s6, v17
	ds_load_b32 v41, v43 offset:64
	v_bitop3_b32 v16, v16, v23, v22 bitop3:0x80
	; wave barrier
	s_delay_alu instid0(VALU_DEP_1) | instskip(NEXT) | instid1(VALU_DEP_1)
	v_bitop3_b32 v16, v16, v17, v19 bitop3:0x80
	v_mbcnt_lo_u32_b32 v42, v16, 0
	v_cmp_ne_u32_e64 s0, 0, v16
	s_delay_alu instid0(VALU_DEP_2) | instskip(SKIP_1) | instid1(SALU_CYCLE_1)
	v_cmp_eq_u32_e32 vcc_lo, 0, v42
	s_and_b32 s1, s0, vcc_lo
	s_and_saveexec_b32 s0, s1
	s_cbranch_execz .LBB1623_79
; %bb.78:
	s_wait_dscnt 0x0
	v_bcnt_u32_b32 v16, v16, v41
	ds_store_b32 v43, v16 offset:64
.LBB1623_79:
	s_or_b32 exec_lo, exec_lo, s0
	v_cmp_lt_i64_e32 vcc_lo, -1, v[14:15]
	; wave barrier
	v_cndmask_b32_e64 v16, -1, 0x80000000, vcc_lo
	s_delay_alu instid0(VALU_DEP_1) | instskip(NEXT) | instid1(VALU_DEP_1)
	v_dual_ashrrev_i32 v17, 31, v15 :: v_dual_bitop2_b32 v15, v16, v15 bitop3:0x14
	v_xor_b32_e32 v14, v17, v14
	s_delay_alu instid0(VALU_DEP_1) | instskip(SKIP_2) | instid1(VALU_DEP_1)
	v_cmp_ne_u64_e32 vcc_lo, s[8:9], v[14:15]
	v_cndmask_b32_e32 v17, 0x80000000, v15, vcc_lo
	v_cndmask_b32_e32 v16, 0, v14, vcc_lo
	v_lshrrev_b64 v[16:17], s20, v[16:17]
	s_delay_alu instid0(VALU_DEP_1) | instskip(SKIP_1) | instid1(VALU_DEP_2)
	v_and_b32_e32 v17, s17, v16
	v_bitop3_b32 v16, v16, 1, s17 bitop3:0x80
	v_lshlrev_b32_e32 v20, 30, v17
	s_delay_alu instid0(VALU_DEP_2) | instskip(NEXT) | instid1(VALU_DEP_1)
	v_add_co_u32 v16, s0, v16, -1
	v_cndmask_b32_e64 v19, 0, 1, s0
	s_delay_alu instid0(VALU_DEP_3) | instskip(NEXT) | instid1(VALU_DEP_2)
	v_cmp_gt_i32_e64 s0, 0, v20
	v_cmp_ne_u32_e32 vcc_lo, 0, v19
	v_not_b32_e32 v19, v20
	s_delay_alu instid0(VALU_DEP_1) | instskip(SKIP_3) | instid1(VALU_DEP_3)
	v_dual_ashrrev_i32 v19, 31, v19 :: v_dual_bitop2_b32 v16, vcc_lo, v16 bitop3:0x14
	v_dual_lshlrev_b32 v21, 29, v17 :: v_dual_lshlrev_b32 v22, 28, v17
	v_dual_lshlrev_b32 v23, 27, v17 :: v_dual_lshlrev_b32 v44, 26, v17
	v_lshlrev_b32_e32 v45, 25, v17
	v_cmp_gt_i32_e64 s1, 0, v21
	v_not_b32_e32 v20, v21
	v_not_b32_e32 v21, v22
	v_mad_u32 v46, 0x44, v17, v18
	v_lshlrev_b32_e32 v17, 24, v17
	v_cmp_gt_i32_e64 s2, 0, v22
	v_cmp_gt_i32_e64 s3, 0, v23
	v_not_b32_e32 v22, v23
	v_not_b32_e32 v23, v44
	v_dual_ashrrev_i32 v20, 31, v20 :: v_dual_ashrrev_i32 v21, 31, v21
	v_xor_b32_e32 v19, s0, v19
	v_cmp_gt_i32_e64 s4, 0, v44
	v_not_b32_e32 v44, v45
	v_cmp_gt_i32_e64 s6, 0, v17
	v_not_b32_e32 v17, v17
	v_dual_ashrrev_i32 v22, 31, v22 :: v_dual_ashrrev_i32 v23, 31, v23
	v_xor_b32_e32 v20, s1, v20
	v_xor_b32_e32 v21, s2, v21
	v_bitop3_b32 v16, v16, v19, exec_lo bitop3:0x80
	v_cmp_gt_i32_e64 s5, 0, v45
	v_dual_ashrrev_i32 v19, 31, v44 :: v_dual_ashrrev_i32 v17, 31, v17
	v_xor_b32_e32 v22, s3, v22
	v_xor_b32_e32 v23, s4, v23
	v_bitop3_b32 v16, v16, v21, v20 bitop3:0x80
	s_delay_alu instid0(VALU_DEP_4) | instskip(SKIP_3) | instid1(VALU_DEP_1)
	v_xor_b32_e32 v19, s5, v19
	v_xor_b32_e32 v17, s6, v17
	ds_load_b32 v44, v46 offset:64
	v_bitop3_b32 v16, v16, v23, v22 bitop3:0x80
	; wave barrier
	v_bitop3_b32 v16, v16, v17, v19 bitop3:0x80
	s_delay_alu instid0(VALU_DEP_1) | instskip(SKIP_1) | instid1(VALU_DEP_2)
	v_mbcnt_lo_u32_b32 v45, v16, 0
	v_cmp_ne_u32_e64 s0, 0, v16
	v_cmp_eq_u32_e32 vcc_lo, 0, v45
	s_and_b32 s1, s0, vcc_lo
	s_delay_alu instid0(SALU_CYCLE_1)
	s_and_saveexec_b32 s0, s1
	s_cbranch_execz .LBB1623_81
; %bb.80:
	s_wait_dscnt 0x0
	v_bcnt_u32_b32 v16, v16, v44
	ds_store_b32 v46, v16 offset:64
.LBB1623_81:
	s_or_b32 exec_lo, exec_lo, s0
	v_cmp_lt_i64_e32 vcc_lo, -1, v[12:13]
	; wave barrier
	v_cndmask_b32_e64 v16, -1, 0x80000000, vcc_lo
	s_delay_alu instid0(VALU_DEP_1) | instskip(NEXT) | instid1(VALU_DEP_1)
	v_dual_ashrrev_i32 v17, 31, v13 :: v_dual_bitop2_b32 v13, v16, v13 bitop3:0x14
	v_xor_b32_e32 v12, v17, v12
	s_delay_alu instid0(VALU_DEP_1) | instskip(SKIP_2) | instid1(VALU_DEP_1)
	v_cmp_ne_u64_e32 vcc_lo, s[8:9], v[12:13]
	v_cndmask_b32_e32 v17, 0x80000000, v13, vcc_lo
	v_cndmask_b32_e32 v16, 0, v12, vcc_lo
	v_lshrrev_b64 v[16:17], s20, v[16:17]
	s_delay_alu instid0(VALU_DEP_1) | instskip(SKIP_1) | instid1(VALU_DEP_2)
	v_and_b32_e32 v17, s17, v16
	v_bitop3_b32 v16, v16, 1, s17 bitop3:0x80
	v_mad_u32 v49, 0x44, v17, v18
	s_delay_alu instid0(VALU_DEP_2) | instskip(NEXT) | instid1(VALU_DEP_1)
	v_add_co_u32 v16, s0, v16, -1
	v_cndmask_b32_e64 v18, 0, 1, s0
	v_dual_lshlrev_b32 v19, 30, v17 :: v_dual_lshlrev_b32 v20, 29, v17
	s_delay_alu instid0(VALU_DEP_2) | instskip(NEXT) | instid1(VALU_DEP_2)
	v_cmp_ne_u32_e32 vcc_lo, 0, v18
	v_cmp_gt_i32_e64 s0, 0, v19
	v_not_b32_e32 v18, v19
	s_delay_alu instid0(VALU_DEP_4) | instskip(SKIP_1) | instid1(VALU_DEP_3)
	v_not_b32_e32 v19, v20
	v_cmp_gt_i32_e64 s1, 0, v20
	v_dual_ashrrev_i32 v18, 31, v18 :: v_dual_bitop2_b32 v16, vcc_lo, v16 bitop3:0x14
	s_delay_alu instid0(VALU_DEP_3) | instskip(SKIP_2) | instid1(VALU_DEP_3)
	v_dual_ashrrev_i32 v19, 31, v19 :: v_dual_lshlrev_b32 v21, 28, v17
	v_dual_lshlrev_b32 v22, 27, v17 :: v_dual_lshlrev_b32 v23, 26, v17
	v_dual_lshlrev_b32 v47, 25, v17 :: v_dual_lshlrev_b32 v17, 24, v17
	v_not_b32_e32 v20, v21
	v_cmp_gt_i32_e64 s2, 0, v21
	s_delay_alu instid0(VALU_DEP_4)
	v_cmp_gt_i32_e64 s3, 0, v22
	v_not_b32_e32 v21, v22
	v_not_b32_e32 v22, v23
	v_dual_ashrrev_i32 v20, 31, v20 :: v_dual_bitop2_b32 v18, s0, v18 bitop3:0x14
	v_cmp_gt_i32_e64 s4, 0, v23
	v_not_b32_e32 v23, v47
	v_cmp_gt_i32_e64 s6, 0, v17
	v_not_b32_e32 v17, v17
	v_dual_ashrrev_i32 v21, 31, v21 :: v_dual_ashrrev_i32 v22, 31, v22
	v_xor_b32_e32 v19, s1, v19
	v_xor_b32_e32 v20, s2, v20
	v_bitop3_b32 v16, v16, v18, exec_lo bitop3:0x80
	v_cmp_gt_i32_e64 s5, 0, v47
	v_dual_ashrrev_i32 v18, 31, v23 :: v_dual_ashrrev_i32 v17, 31, v17
	v_xor_b32_e32 v21, s3, v21
	v_xor_b32_e32 v22, s4, v22
	v_bitop3_b32 v16, v16, v20, v19 bitop3:0x80
	s_delay_alu instid0(VALU_DEP_4) | instskip(SKIP_3) | instid1(VALU_DEP_1)
	v_xor_b32_e32 v18, s5, v18
	v_xor_b32_e32 v17, s6, v17
	ds_load_b32 v47, v49 offset:64
	v_bitop3_b32 v16, v16, v22, v21 bitop3:0x80
	; wave barrier
	v_bitop3_b32 v16, v16, v17, v18 bitop3:0x80
	s_delay_alu instid0(VALU_DEP_1) | instskip(SKIP_1) | instid1(VALU_DEP_2)
	v_mbcnt_lo_u32_b32 v48, v16, 0
	v_cmp_ne_u32_e64 s0, 0, v16
	v_cmp_eq_u32_e32 vcc_lo, 0, v48
	s_and_b32 s1, s0, vcc_lo
	s_delay_alu instid0(SALU_CYCLE_1)
	s_and_saveexec_b32 s0, s1
	s_cbranch_execz .LBB1623_83
; %bb.82:
	s_wait_dscnt 0x0
	v_bcnt_u32_b32 v16, v16, v47
	ds_store_b32 v49, v16 offset:64
.LBB1623_83:
	s_or_b32 exec_lo, exec_lo, s0
	; wave barrier
	s_wait_dscnt 0x0
	s_barrier_signal -1
	s_barrier_wait -1
	ds_load_2addr_b32 v[22:23], v24 offset0:16 offset1:17
	ds_load_2addr_b32 v[20:21], v24 offset0:18 offset1:19
	;; [unrolled: 1-line block ×4, first 2 shown]
	ds_load_b32 v50, v24 offset:96
	v_bfe_i32 v53, v33, 4, 1
	s_mov_b32 s4, exec_lo
	s_wait_dscnt 0x3
	v_add3_u32 v51, v23, v22, v20
	s_wait_dscnt 0x2
	s_delay_alu instid0(VALU_DEP_1) | instskip(SKIP_1) | instid1(VALU_DEP_1)
	v_add3_u32 v51, v51, v21, v18
	s_wait_dscnt 0x1
	v_add3_u32 v51, v51, v19, v16
	s_wait_dscnt 0x0
	s_delay_alu instid0(VALU_DEP_1) | instskip(SKIP_1) | instid1(VALU_DEP_2)
	v_add3_u32 v50, v51, v17, v50
	v_and_b32_e32 v51, 15, v33
	v_mov_b32_dpp v52, v50 row_shr:1 row_mask:0xf bank_mask:0xf
	s_delay_alu instid0(VALU_DEP_2) | instskip(NEXT) | instid1(VALU_DEP_2)
	v_cmp_eq_u32_e32 vcc_lo, 0, v51
	v_cndmask_b32_e64 v52, v52, 0, vcc_lo
	s_delay_alu instid0(VALU_DEP_1) | instskip(SKIP_3) | instid1(VALU_DEP_4)
	v_add_nc_u32_e32 v50, v52, v50
	v_cmp_lt_u32_e64 s0, 1, v51
	v_cmp_lt_u32_e64 s1, 3, v51
	;; [unrolled: 1-line block ×3, first 2 shown]
	v_mov_b32_dpp v52, v50 row_shr:2 row_mask:0xf bank_mask:0xf
	s_delay_alu instid0(VALU_DEP_1) | instskip(NEXT) | instid1(VALU_DEP_1)
	v_cndmask_b32_e64 v52, 0, v52, s0
	v_add_nc_u32_e32 v50, v50, v52
	s_delay_alu instid0(VALU_DEP_1) | instskip(NEXT) | instid1(VALU_DEP_1)
	v_mov_b32_dpp v52, v50 row_shr:4 row_mask:0xf bank_mask:0xf
	v_cndmask_b32_e64 v52, 0, v52, s1
	s_delay_alu instid0(VALU_DEP_1) | instskip(NEXT) | instid1(VALU_DEP_1)
	v_add_nc_u32_e32 v50, v50, v52
	v_mov_b32_dpp v52, v50 row_shr:8 row_mask:0xf bank_mask:0xf
	s_delay_alu instid0(VALU_DEP_1) | instskip(SKIP_1) | instid1(VALU_DEP_2)
	v_cndmask_b32_e64 v51, 0, v52, s2
	v_and_b32_e32 v52, 0x3e0, v32
	v_add_nc_u32_e32 v50, v50, v51
	s_delay_alu instid0(VALU_DEP_2) | instskip(SKIP_3) | instid1(VALU_DEP_1)
	v_min_u32_e32 v52, 0x1e0, v52
	ds_swizzle_b32 v51, v50 offset:swizzle(BROADCAST,32,15)
	s_wait_dscnt 0x0
	v_dual_lshrrev_b32 v51, 5, v32 :: v_dual_bitop2_b32 v53, v53, v51 bitop3:0x40
	v_dual_add_nc_u32 v50, v50, v53 :: v_dual_bitop2_b32 v52, 31, v52 bitop3:0x54
	s_delay_alu instid0(VALU_DEP_1)
	v_cmpx_eq_u32_e64 v32, v52
; %bb.84:
	s_delay_alu instid0(VALU_DEP_3)
	v_lshlrev_b32_e32 v52, 2, v51
	ds_store_b32 v52, v50
; %bb.85:
	s_or_b32 exec_lo, exec_lo, s4
	s_delay_alu instid0(SALU_CYCLE_1)
	s_mov_b32 s4, exec_lo
	s_wait_dscnt 0x0
	s_barrier_signal -1
	s_barrier_wait -1
	v_cmpx_gt_u32_e32 16, v32
	s_cbranch_execz .LBB1623_87
; %bb.86:
	v_lshlrev_b32_e32 v52, 2, v32
	ds_load_b32 v53, v52
	s_wait_dscnt 0x0
	v_mov_b32_dpp v54, v53 row_shr:1 row_mask:0xf bank_mask:0xf
	s_delay_alu instid0(VALU_DEP_1) | instskip(NEXT) | instid1(VALU_DEP_1)
	v_cndmask_b32_e64 v54, v54, 0, vcc_lo
	v_add_nc_u32_e32 v53, v54, v53
	s_delay_alu instid0(VALU_DEP_1) | instskip(NEXT) | instid1(VALU_DEP_1)
	v_mov_b32_dpp v54, v53 row_shr:2 row_mask:0xf bank_mask:0xf
	v_cndmask_b32_e64 v54, 0, v54, s0
	s_delay_alu instid0(VALU_DEP_1) | instskip(NEXT) | instid1(VALU_DEP_1)
	v_add_nc_u32_e32 v53, v53, v54
	v_mov_b32_dpp v54, v53 row_shr:4 row_mask:0xf bank_mask:0xf
	s_delay_alu instid0(VALU_DEP_1) | instskip(NEXT) | instid1(VALU_DEP_1)
	v_cndmask_b32_e64 v54, 0, v54, s1
	v_add_nc_u32_e32 v53, v53, v54
	s_delay_alu instid0(VALU_DEP_1) | instskip(NEXT) | instid1(VALU_DEP_1)
	v_mov_b32_dpp v54, v53 row_shr:8 row_mask:0xf bank_mask:0xf
	v_cndmask_b32_e64 v54, 0, v54, s2
	s_delay_alu instid0(VALU_DEP_1)
	v_add_nc_u32_e32 v53, v53, v54
	ds_store_b32 v52, v53
.LBB1623_87:
	s_or_b32 exec_lo, exec_lo, s4
	v_mov_b32_e32 v52, 0
	s_mov_b32 s0, exec_lo
	s_wait_dscnt 0x0
	s_barrier_signal -1
	s_barrier_wait -1
	v_cmpx_lt_u32_e32 31, v32
; %bb.88:
	v_lshl_add_u32 v51, v51, 2, -4
	ds_load_b32 v52, v51
; %bb.89:
	s_or_b32 exec_lo, exec_lo, s0
	v_sub_co_u32 v51, vcc_lo, v33, 1
	s_wait_dscnt 0x0
	v_add_nc_u32_e32 v50, v52, v50
	s_delay_alu instid0(VALU_DEP_2) | instskip(NEXT) | instid1(VALU_DEP_1)
	v_cmp_gt_i32_e64 s0, 0, v51
	v_cndmask_b32_e64 v33, v51, v33, s0
	v_cmp_lt_u32_e64 s0, 0xff, v32
	s_delay_alu instid0(VALU_DEP_2) | instskip(SKIP_4) | instid1(VALU_DEP_2)
	v_lshlrev_b32_e32 v33, 2, v33
	ds_bpermute_b32 v33, v33, v50
	s_wait_dscnt 0x0
	v_cndmask_b32_e32 v33, v33, v52, vcc_lo
	v_cmp_ne_u32_e32 vcc_lo, 0, v32
	v_cndmask_b32_e32 v33, 0, v33, vcc_lo
	v_cmp_gt_u32_e32 vcc_lo, 0x100, v32
	s_delay_alu instid0(VALU_DEP_2) | instskip(NEXT) | instid1(VALU_DEP_1)
	v_add_nc_u32_e32 v22, v33, v22
	v_add_nc_u32_e32 v23, v22, v23
	s_delay_alu instid0(VALU_DEP_1) | instskip(NEXT) | instid1(VALU_DEP_1)
	v_add_nc_u32_e32 v20, v23, v20
	v_add_nc_u32_e32 v21, v20, v21
	s_delay_alu instid0(VALU_DEP_1) | instskip(NEXT) | instid1(VALU_DEP_1)
	;; [unrolled: 3-line block ×3, first 2 shown]
	v_add_nc_u32_e32 v16, v19, v16
	v_add_nc_u32_e32 v17, v16, v17
	ds_store_2addr_b32 v24, v33, v22 offset0:16 offset1:17
	ds_store_2addr_b32 v24, v23, v20 offset0:18 offset1:19
	;; [unrolled: 1-line block ×4, first 2 shown]
	ds_store_b32 v24, v17 offset:96
	s_wait_dscnt 0x0
	s_barrier_signal -1
	s_barrier_wait -1
	ds_load_b32 v19, v25 offset:64
	ds_load_b32 v33, v26 offset:64
	;; [unrolled: 1-line block ×8, first 2 shown]
	v_mov_b64_e32 v[16:17], 0
                                        ; implicit-def: $vgpr18
	s_and_saveexec_b32 s2, vcc_lo
	s_cbranch_execz .LBB1623_93
; %bb.90:
	v_mul_u32_u24_e32 v16, 0x44, v32
	v_dual_mov_b32 v17, 0x1000 :: v_dual_add_nc_u32 v18, 1, v32
	s_mov_b32 s3, exec_lo
	ds_load_b32 v16, v16 offset:64
	v_cmpx_ne_u32_e32 0x100, v18
; %bb.91:
	v_mul_u32_u24_e32 v17, 0x44, v18
	ds_load_b32 v17, v17 offset:64
; %bb.92:
	s_or_b32 exec_lo, exec_lo, s3
	s_wait_dscnt 0x0
	v_dual_mov_b32 v17, 0 :: v_dual_sub_nc_u32 v18, v17, v16
.LBB1623_93:
	s_or_b32 exec_lo, exec_lo, s2
	v_dual_mov_b32 v23, 0 :: v_dual_lshlrev_b32 v20, 3, v32
	s_wait_dscnt 0x0
	s_barrier_signal -1
	s_barrier_wait -1
	s_and_saveexec_b32 s1, vcc_lo
	s_cbranch_execz .LBB1623_103
; %bb.94:
	v_lshl_add_u32 v22, s26, 8, v32
	v_dual_mov_b32 v26, 0 :: v_dual_bitop2_b32 v27, 2.0, v18 bitop3:0x54
	s_mov_b32 s2, 0
	s_mov_b32 s3, s26
	s_delay_alu instid0(VALU_DEP_2)
	v_lshl_add_u64 v[24:25], v[22:23], 2, s[10:11]
	global_store_b32 v22, v27, s[10:11] scale_offset scope:SCOPE_DEV
                                        ; implicit-def: $sgpr4
	s_branch .LBB1623_97
.LBB1623_95:                            ;   in Loop: Header=BB1623_97 Depth=1
	s_or_b32 exec_lo, exec_lo, s5
.LBB1623_96:                            ;   in Loop: Header=BB1623_97 Depth=1
	s_delay_alu instid0(SALU_CYCLE_1) | instskip(SKIP_2) | instid1(VALU_DEP_2)
	s_or_b32 exec_lo, exec_lo, s4
	v_and_b32_e32 v22, 0x3fffffff, v27
	v_cmp_gt_i32_e64 s4, -2.0, v27
	v_add_nc_u32_e32 v26, v22, v26
	s_and_b32 s5, exec_lo, s4
	s_delay_alu instid0(SALU_CYCLE_1) | instskip(NEXT) | instid1(SALU_CYCLE_1)
	s_or_b32 s2, s5, s2
	s_and_not1_b32 exec_lo, exec_lo, s2
	s_cbranch_execz .LBB1623_102
.LBB1623_97:                            ; =>This Loop Header: Depth=1
                                        ;     Child Loop BB1623_100 Depth 2
	s_or_b32 s4, s4, exec_lo
	s_cmp_eq_u32 s3, 0
	s_cbranch_scc1 .LBB1623_101
; %bb.98:                               ;   in Loop: Header=BB1623_97 Depth=1
	s_add_co_i32 s3, s3, -1
	s_mov_b32 s4, exec_lo
	s_wait_xcnt 0x0
	v_lshl_or_b32 v22, s3, 8, v32
	global_load_b32 v27, v22, s[10:11] scale_offset scope:SCOPE_DEV
	s_wait_loadcnt 0x0
	v_cmpx_gt_u32_e32 2.0, v27
	s_cbranch_execz .LBB1623_96
; %bb.99:                               ;   in Loop: Header=BB1623_97 Depth=1
	v_lshl_add_u64 v[28:29], v[22:23], 2, s[10:11]
	s_mov_b32 s5, 0
.LBB1623_100:                           ;   Parent Loop BB1623_97 Depth=1
                                        ; =>  This Inner Loop Header: Depth=2
	global_load_b32 v27, v[28:29], off scope:SCOPE_DEV
	s_wait_loadcnt 0x0
	v_cmp_lt_u32_e32 vcc_lo, 0x3fffffff, v27
	s_or_b32 s5, vcc_lo, s5
	s_wait_xcnt 0x0
	s_and_not1_b32 exec_lo, exec_lo, s5
	s_cbranch_execnz .LBB1623_100
	s_branch .LBB1623_95
.LBB1623_101:                           ;   in Loop: Header=BB1623_97 Depth=1
                                        ; implicit-def: $sgpr3
	s_and_b32 s5, exec_lo, s4
	s_delay_alu instid0(SALU_CYCLE_1)
	s_or_b32 s2, s5, s2
	s_wait_xcnt 0x0
	s_and_not1_b32 exec_lo, exec_lo, s2
	s_cbranch_execnz .LBB1623_97
.LBB1623_102:
	s_or_b32 exec_lo, exec_lo, s2
	v_dual_mov_b32 v27, 0 :: v_dual_add_nc_u32 v22, v26, v18
	s_delay_alu instid0(VALU_DEP_1) | instskip(SKIP_4) | instid1(VALU_DEP_1)
	v_or_b32_e32 v22, 0x80000000, v22
	global_store_b32 v[24:25], v22, off scope:SCOPE_DEV
	global_load_b64 v[22:23], v32, s[12:13] scale_offset
	v_sub_nc_u64_e32 v[24:25], v[26:27], v[16:17]
	s_wait_loadcnt 0x0
	v_add_nc_u64_e32 v[22:23], v[24:25], v[22:23]
	ds_store_b64 v20, v[22:23]
.LBB1623_103:
	s_wait_xcnt 0x0
	s_or_b32 exec_lo, exec_lo, s1
	v_add_nc_u32_e32 v19, v19, v30
	v_add3_u32 v24, v48, v21, v47
	v_mov_b32_e32 v21, 0
	v_add3_u32 v25, v45, v46, v44
	v_add3_u32 v26, v42, v43, v41
	;; [unrolled: 1-line block ×4, first 2 shown]
	v_add_nc_u64_e32 v[22:23], s[18:19], v[20:21]
	v_add3_u32 v21, v36, v50, v35
	v_add3_u32 v29, v34, v33, v31
	s_mov_b64 s[6:7], 0x7fffffffffffffff
	s_mov_b32 s9, -1
	s_mov_b32 s8, 0
.LBB1623_104:                           ; =>This Inner Loop Header: Depth=1
	s_wait_xcnt 0x3
	v_add_min_u32_e64 v30, v19, s8, 0x800
	v_add_min_u32_e64 v31, v29, s8, 0x800
	;; [unrolled: 1-line block ×5, first 2 shown]
	s_wait_xcnt 0x2
	v_add_min_u32_e64 v36, v26, s8, 0x800
	v_add_min_u32_e64 v37, v25, s8, 0x800
	s_wait_xcnt 0x1
	v_add_min_u32_e64 v38, v24, s8, 0x800
	v_dual_lshlrev_b32 v30, 3, v30 :: v_dual_lshlrev_b32 v31, 3, v31
	v_dual_lshlrev_b32 v33, 3, v33 :: v_dual_lshlrev_b32 v34, 3, v34
	;; [unrolled: 1-line block ×3, first 2 shown]
	s_delay_alu instid0(VALU_DEP_4)
	v_dual_lshlrev_b32 v37, 3, v37 :: v_dual_lshlrev_b32 v38, 3, v38
	ds_store_b64 v30, v[2:3] offset:2048
	ds_store_b64 v31, v[0:1] offset:2048
	;; [unrolled: 1-line block ×8, first 2 shown]
	s_wait_storecnt_dscnt 0x0
	s_barrier_signal -1
	s_barrier_wait -1
	ds_load_2addr_stride64_b64 v[34:37], v20 offset0:4 offset1:12
	s_wait_xcnt 0x0
	ds_load_2addr_stride64_b64 v[38:41], v20 offset0:20 offset1:28
	s_addk_co_i32 s8, 0xf800
	s_and_b32 vcc_lo, exec_lo, s9
	s_mov_b32 s9, 0
	s_wait_dscnt 0x1
	v_cmp_lt_i64_e64 s2, -1, v[34:35]
	v_cmp_lt_i64_e64 s3, -1, v[36:37]
	v_cmp_ne_u64_e64 s1, s[6:7], v[34:35]
	s_wait_dscnt 0x0
	v_cmp_lt_i64_e64 s4, -1, v[38:39]
	v_dual_ashrrev_i32 v33, 31, v35 :: v_dual_ashrrev_i32 v49, 31, v37
	v_cmp_lt_i64_e64 s5, -1, v[40:41]
	v_cndmask_b32_e64 v30, 0x80000000, -1, s2
	v_cmp_ne_u64_e64 s2, s[6:7], v[36:37]
	v_cndmask_b32_e64 v48, 0x80000000, -1, s3
	v_cmp_ne_u64_e64 s3, s[6:7], v[38:39]
	v_cndmask_b32_e64 v31, 0x80000000, v35, s1
	v_cndmask_b32_e64 v50, 0x80000000, -1, s4
	v_cmp_ne_u64_e64 s4, s[6:7], v[40:41]
	v_dual_cndmask_b32 v30, 0, v34, s1 :: v_dual_bitop2_b32 v35, v30, v35 bitop3:0x14
	v_cndmask_b32_e64 v43, 0x80000000, v37, s2
	v_cndmask_b32_e64 v45, 0x80000000, v39, s3
	v_dual_cndmask_b32 v42, 0, v36, s2 :: v_dual_cndmask_b32 v44, 0, v38, s3
	s_delay_alu instid0(VALU_DEP_4) | instskip(SKIP_2) | instid1(VALU_DEP_4)
	v_lshrrev_b64 v[30:31], s20, v[30:31]
	v_cndmask_b32_e64 v47, 0x80000000, v41, s4
	v_cndmask_b32_e64 v46, 0, v40, s4
	v_lshrrev_b64 v[42:43], s20, v[42:43]
	v_lshrrev_b64 v[44:45], s20, v[44:45]
	v_dual_ashrrev_i32 v51, 31, v39 :: v_dual_bitop2_b32 v37, v48, v37 bitop3:0x14
	v_dual_ashrrev_i32 v53, 31, v41 :: v_dual_bitop2_b32 v30, s17, v30 bitop3:0x40
	v_lshrrev_b64 v[46:47], s20, v[46:47]
	v_and_b32_e32 v31, s17, v42
	v_and_b32_e32 v42, s17, v44
	v_not_b32_e32 v33, v33
	v_lshlrev_b32_e32 v30, 3, v30
	v_not_b32_e32 v49, v49
	v_not_b32_e32 v48, v51
	v_lshlrev_b32_e32 v45, 3, v42
	v_dual_lshlrev_b32 v44, 3, v31 :: v_dual_bitop2_b32 v43, s17, v46 bitop3:0x40
	v_cndmask_b32_e64 v52, 0x80000000, -1, s5
	v_xor_b32_e32 v39, v50, v39
	v_not_b32_e32 v50, v53
	s_delay_alu instid0(VALU_DEP_4)
	v_lshlrev_b32_e32 v46, 3, v43
	ds_load_b64 v[30:31], v30
	ds_load_b64 v[42:43], v44
	;; [unrolled: 1-line block ×4, first 2 shown]
	v_xor_b32_e32 v34, v33, v34
	v_xor_b32_e32 v36, v49, v36
	v_xor_b32_e32 v38, v48, v38
	v_xor_b32_e32 v41, v52, v41
	v_xor_b32_e32 v40, v50, v40
	s_wait_dscnt 0x3
	v_lshl_add_u64 v[30:31], v[30:31], 3, v[22:23]
	s_wait_dscnt 0x2
	v_lshl_add_u64 v[42:43], v[42:43], 3, v[22:23]
	;; [unrolled: 2-line block ×4, first 2 shown]
	v_add_nc_u64_e32 v[22:23], 0x4000, v[22:23]
	s_clause 0x3
	global_store_b64 v[30:31], v[34:35], off
	global_store_b64 v[42:43], v[36:37], off offset:4096
	global_store_b64 v[44:45], v[38:39], off offset:8192
	;; [unrolled: 1-line block ×3, first 2 shown]
	s_wait_storecnt 0x0
	s_barrier_signal -1
	s_barrier_wait -1
	s_cbranch_vccnz .LBB1623_104
; %bb.105:
	s_add_co_i32 s16, s16, -1
	s_delay_alu instid0(SALU_CYCLE_1) | instskip(SKIP_2) | instid1(SALU_CYCLE_1)
	s_cmp_eq_u32 s26, s16
	s_cselect_b32 s1, -1, 0
	s_xor_b32 s0, s0, -1
	s_and_b32 s0, s0, s1
	s_wait_xcnt 0x0
	s_and_saveexec_b32 s1, s0
	s_cbranch_execz .LBB1623_107
; %bb.106:
	ds_load_b64 v[0:1], v20
	v_mov_b32_e32 v19, 0
	s_delay_alu instid0(VALU_DEP_1) | instskip(SKIP_1) | instid1(VALU_DEP_1)
	v_add_nc_u64_e32 v[2:3], v[16:17], v[18:19]
	s_wait_dscnt 0x0
	v_add_nc_u64_e32 v[0:1], v[2:3], v[0:1]
	global_store_b64 v32, v[0:1], s[14:15] scale_offset
.LBB1623_107:
	s_endpgm
	.section	.rodata,"a",@progbits
	.p2align	6, 0x0
	.amdhsa_kernel _ZN7rocprim17ROCPRIM_400000_NS6detail17trampoline_kernelINS0_14default_configENS1_35radix_sort_onesweep_config_selectorIdNS0_10empty_typeEEEZZNS1_29radix_sort_onesweep_iterationIS3_Lb0EPKdPdPS5_SB_mNS0_19identity_decomposerENS1_16block_id_wrapperIjLb0EEEEE10hipError_tT1_PNSt15iterator_traitsISG_E10value_typeET2_T3_PNSH_ISM_E10value_typeET4_T5_PSR_SS_PNS1_23onesweep_lookback_stateEbbT6_jjT7_P12ihipStream_tbENKUlT_T0_SG_SL_E_clIS9_SA_SB_SB_EEDaSZ_S10_SG_SL_EUlSZ_E_NS1_11comp_targetILNS1_3genE0ELNS1_11target_archE4294967295ELNS1_3gpuE0ELNS1_3repE0EEENS1_47radix_sort_onesweep_sort_config_static_selectorELNS0_4arch9wavefront6targetE0EEEvSG_
		.amdhsa_group_segment_fixed_size 18504
		.amdhsa_private_segment_fixed_size 0
		.amdhsa_kernarg_size 344
		.amdhsa_user_sgpr_count 2
		.amdhsa_user_sgpr_dispatch_ptr 0
		.amdhsa_user_sgpr_queue_ptr 0
		.amdhsa_user_sgpr_kernarg_segment_ptr 1
		.amdhsa_user_sgpr_dispatch_id 0
		.amdhsa_user_sgpr_kernarg_preload_length 0
		.amdhsa_user_sgpr_kernarg_preload_offset 0
		.amdhsa_user_sgpr_private_segment_size 0
		.amdhsa_wavefront_size32 1
		.amdhsa_uses_dynamic_stack 0
		.amdhsa_enable_private_segment 0
		.amdhsa_system_sgpr_workgroup_id_x 1
		.amdhsa_system_sgpr_workgroup_id_y 0
		.amdhsa_system_sgpr_workgroup_id_z 0
		.amdhsa_system_sgpr_workgroup_info 0
		.amdhsa_system_vgpr_workitem_id 2
		.amdhsa_next_free_vgpr 57
		.amdhsa_next_free_sgpr 30
		.amdhsa_named_barrier_count 0
		.amdhsa_reserve_vcc 1
		.amdhsa_float_round_mode_32 0
		.amdhsa_float_round_mode_16_64 0
		.amdhsa_float_denorm_mode_32 3
		.amdhsa_float_denorm_mode_16_64 3
		.amdhsa_fp16_overflow 0
		.amdhsa_memory_ordered 1
		.amdhsa_forward_progress 1
		.amdhsa_inst_pref_size 99
		.amdhsa_round_robin_scheduling 0
		.amdhsa_exception_fp_ieee_invalid_op 0
		.amdhsa_exception_fp_denorm_src 0
		.amdhsa_exception_fp_ieee_div_zero 0
		.amdhsa_exception_fp_ieee_overflow 0
		.amdhsa_exception_fp_ieee_underflow 0
		.amdhsa_exception_fp_ieee_inexact 0
		.amdhsa_exception_int_div_zero 0
	.end_amdhsa_kernel
	.section	.text._ZN7rocprim17ROCPRIM_400000_NS6detail17trampoline_kernelINS0_14default_configENS1_35radix_sort_onesweep_config_selectorIdNS0_10empty_typeEEEZZNS1_29radix_sort_onesweep_iterationIS3_Lb0EPKdPdPS5_SB_mNS0_19identity_decomposerENS1_16block_id_wrapperIjLb0EEEEE10hipError_tT1_PNSt15iterator_traitsISG_E10value_typeET2_T3_PNSH_ISM_E10value_typeET4_T5_PSR_SS_PNS1_23onesweep_lookback_stateEbbT6_jjT7_P12ihipStream_tbENKUlT_T0_SG_SL_E_clIS9_SA_SB_SB_EEDaSZ_S10_SG_SL_EUlSZ_E_NS1_11comp_targetILNS1_3genE0ELNS1_11target_archE4294967295ELNS1_3gpuE0ELNS1_3repE0EEENS1_47radix_sort_onesweep_sort_config_static_selectorELNS0_4arch9wavefront6targetE0EEEvSG_,"axG",@progbits,_ZN7rocprim17ROCPRIM_400000_NS6detail17trampoline_kernelINS0_14default_configENS1_35radix_sort_onesweep_config_selectorIdNS0_10empty_typeEEEZZNS1_29radix_sort_onesweep_iterationIS3_Lb0EPKdPdPS5_SB_mNS0_19identity_decomposerENS1_16block_id_wrapperIjLb0EEEEE10hipError_tT1_PNSt15iterator_traitsISG_E10value_typeET2_T3_PNSH_ISM_E10value_typeET4_T5_PSR_SS_PNS1_23onesweep_lookback_stateEbbT6_jjT7_P12ihipStream_tbENKUlT_T0_SG_SL_E_clIS9_SA_SB_SB_EEDaSZ_S10_SG_SL_EUlSZ_E_NS1_11comp_targetILNS1_3genE0ELNS1_11target_archE4294967295ELNS1_3gpuE0ELNS1_3repE0EEENS1_47radix_sort_onesweep_sort_config_static_selectorELNS0_4arch9wavefront6targetE0EEEvSG_,comdat
.Lfunc_end1623:
	.size	_ZN7rocprim17ROCPRIM_400000_NS6detail17trampoline_kernelINS0_14default_configENS1_35radix_sort_onesweep_config_selectorIdNS0_10empty_typeEEEZZNS1_29radix_sort_onesweep_iterationIS3_Lb0EPKdPdPS5_SB_mNS0_19identity_decomposerENS1_16block_id_wrapperIjLb0EEEEE10hipError_tT1_PNSt15iterator_traitsISG_E10value_typeET2_T3_PNSH_ISM_E10value_typeET4_T5_PSR_SS_PNS1_23onesweep_lookback_stateEbbT6_jjT7_P12ihipStream_tbENKUlT_T0_SG_SL_E_clIS9_SA_SB_SB_EEDaSZ_S10_SG_SL_EUlSZ_E_NS1_11comp_targetILNS1_3genE0ELNS1_11target_archE4294967295ELNS1_3gpuE0ELNS1_3repE0EEENS1_47radix_sort_onesweep_sort_config_static_selectorELNS0_4arch9wavefront6targetE0EEEvSG_, .Lfunc_end1623-_ZN7rocprim17ROCPRIM_400000_NS6detail17trampoline_kernelINS0_14default_configENS1_35radix_sort_onesweep_config_selectorIdNS0_10empty_typeEEEZZNS1_29radix_sort_onesweep_iterationIS3_Lb0EPKdPdPS5_SB_mNS0_19identity_decomposerENS1_16block_id_wrapperIjLb0EEEEE10hipError_tT1_PNSt15iterator_traitsISG_E10value_typeET2_T3_PNSH_ISM_E10value_typeET4_T5_PSR_SS_PNS1_23onesweep_lookback_stateEbbT6_jjT7_P12ihipStream_tbENKUlT_T0_SG_SL_E_clIS9_SA_SB_SB_EEDaSZ_S10_SG_SL_EUlSZ_E_NS1_11comp_targetILNS1_3genE0ELNS1_11target_archE4294967295ELNS1_3gpuE0ELNS1_3repE0EEENS1_47radix_sort_onesweep_sort_config_static_selectorELNS0_4arch9wavefront6targetE0EEEvSG_
                                        ; -- End function
	.set _ZN7rocprim17ROCPRIM_400000_NS6detail17trampoline_kernelINS0_14default_configENS1_35radix_sort_onesweep_config_selectorIdNS0_10empty_typeEEEZZNS1_29radix_sort_onesweep_iterationIS3_Lb0EPKdPdPS5_SB_mNS0_19identity_decomposerENS1_16block_id_wrapperIjLb0EEEEE10hipError_tT1_PNSt15iterator_traitsISG_E10value_typeET2_T3_PNSH_ISM_E10value_typeET4_T5_PSR_SS_PNS1_23onesweep_lookback_stateEbbT6_jjT7_P12ihipStream_tbENKUlT_T0_SG_SL_E_clIS9_SA_SB_SB_EEDaSZ_S10_SG_SL_EUlSZ_E_NS1_11comp_targetILNS1_3genE0ELNS1_11target_archE4294967295ELNS1_3gpuE0ELNS1_3repE0EEENS1_47radix_sort_onesweep_sort_config_static_selectorELNS0_4arch9wavefront6targetE0EEEvSG_.num_vgpr, 57
	.set _ZN7rocprim17ROCPRIM_400000_NS6detail17trampoline_kernelINS0_14default_configENS1_35radix_sort_onesweep_config_selectorIdNS0_10empty_typeEEEZZNS1_29radix_sort_onesweep_iterationIS3_Lb0EPKdPdPS5_SB_mNS0_19identity_decomposerENS1_16block_id_wrapperIjLb0EEEEE10hipError_tT1_PNSt15iterator_traitsISG_E10value_typeET2_T3_PNSH_ISM_E10value_typeET4_T5_PSR_SS_PNS1_23onesweep_lookback_stateEbbT6_jjT7_P12ihipStream_tbENKUlT_T0_SG_SL_E_clIS9_SA_SB_SB_EEDaSZ_S10_SG_SL_EUlSZ_E_NS1_11comp_targetILNS1_3genE0ELNS1_11target_archE4294967295ELNS1_3gpuE0ELNS1_3repE0EEENS1_47radix_sort_onesweep_sort_config_static_selectorELNS0_4arch9wavefront6targetE0EEEvSG_.num_agpr, 0
	.set _ZN7rocprim17ROCPRIM_400000_NS6detail17trampoline_kernelINS0_14default_configENS1_35radix_sort_onesweep_config_selectorIdNS0_10empty_typeEEEZZNS1_29radix_sort_onesweep_iterationIS3_Lb0EPKdPdPS5_SB_mNS0_19identity_decomposerENS1_16block_id_wrapperIjLb0EEEEE10hipError_tT1_PNSt15iterator_traitsISG_E10value_typeET2_T3_PNSH_ISM_E10value_typeET4_T5_PSR_SS_PNS1_23onesweep_lookback_stateEbbT6_jjT7_P12ihipStream_tbENKUlT_T0_SG_SL_E_clIS9_SA_SB_SB_EEDaSZ_S10_SG_SL_EUlSZ_E_NS1_11comp_targetILNS1_3genE0ELNS1_11target_archE4294967295ELNS1_3gpuE0ELNS1_3repE0EEENS1_47radix_sort_onesweep_sort_config_static_selectorELNS0_4arch9wavefront6targetE0EEEvSG_.numbered_sgpr, 30
	.set _ZN7rocprim17ROCPRIM_400000_NS6detail17trampoline_kernelINS0_14default_configENS1_35radix_sort_onesweep_config_selectorIdNS0_10empty_typeEEEZZNS1_29radix_sort_onesweep_iterationIS3_Lb0EPKdPdPS5_SB_mNS0_19identity_decomposerENS1_16block_id_wrapperIjLb0EEEEE10hipError_tT1_PNSt15iterator_traitsISG_E10value_typeET2_T3_PNSH_ISM_E10value_typeET4_T5_PSR_SS_PNS1_23onesweep_lookback_stateEbbT6_jjT7_P12ihipStream_tbENKUlT_T0_SG_SL_E_clIS9_SA_SB_SB_EEDaSZ_S10_SG_SL_EUlSZ_E_NS1_11comp_targetILNS1_3genE0ELNS1_11target_archE4294967295ELNS1_3gpuE0ELNS1_3repE0EEENS1_47radix_sort_onesweep_sort_config_static_selectorELNS0_4arch9wavefront6targetE0EEEvSG_.num_named_barrier, 0
	.set _ZN7rocprim17ROCPRIM_400000_NS6detail17trampoline_kernelINS0_14default_configENS1_35radix_sort_onesweep_config_selectorIdNS0_10empty_typeEEEZZNS1_29radix_sort_onesweep_iterationIS3_Lb0EPKdPdPS5_SB_mNS0_19identity_decomposerENS1_16block_id_wrapperIjLb0EEEEE10hipError_tT1_PNSt15iterator_traitsISG_E10value_typeET2_T3_PNSH_ISM_E10value_typeET4_T5_PSR_SS_PNS1_23onesweep_lookback_stateEbbT6_jjT7_P12ihipStream_tbENKUlT_T0_SG_SL_E_clIS9_SA_SB_SB_EEDaSZ_S10_SG_SL_EUlSZ_E_NS1_11comp_targetILNS1_3genE0ELNS1_11target_archE4294967295ELNS1_3gpuE0ELNS1_3repE0EEENS1_47radix_sort_onesweep_sort_config_static_selectorELNS0_4arch9wavefront6targetE0EEEvSG_.private_seg_size, 0
	.set _ZN7rocprim17ROCPRIM_400000_NS6detail17trampoline_kernelINS0_14default_configENS1_35radix_sort_onesweep_config_selectorIdNS0_10empty_typeEEEZZNS1_29radix_sort_onesweep_iterationIS3_Lb0EPKdPdPS5_SB_mNS0_19identity_decomposerENS1_16block_id_wrapperIjLb0EEEEE10hipError_tT1_PNSt15iterator_traitsISG_E10value_typeET2_T3_PNSH_ISM_E10value_typeET4_T5_PSR_SS_PNS1_23onesweep_lookback_stateEbbT6_jjT7_P12ihipStream_tbENKUlT_T0_SG_SL_E_clIS9_SA_SB_SB_EEDaSZ_S10_SG_SL_EUlSZ_E_NS1_11comp_targetILNS1_3genE0ELNS1_11target_archE4294967295ELNS1_3gpuE0ELNS1_3repE0EEENS1_47radix_sort_onesweep_sort_config_static_selectorELNS0_4arch9wavefront6targetE0EEEvSG_.uses_vcc, 1
	.set _ZN7rocprim17ROCPRIM_400000_NS6detail17trampoline_kernelINS0_14default_configENS1_35radix_sort_onesweep_config_selectorIdNS0_10empty_typeEEEZZNS1_29radix_sort_onesweep_iterationIS3_Lb0EPKdPdPS5_SB_mNS0_19identity_decomposerENS1_16block_id_wrapperIjLb0EEEEE10hipError_tT1_PNSt15iterator_traitsISG_E10value_typeET2_T3_PNSH_ISM_E10value_typeET4_T5_PSR_SS_PNS1_23onesweep_lookback_stateEbbT6_jjT7_P12ihipStream_tbENKUlT_T0_SG_SL_E_clIS9_SA_SB_SB_EEDaSZ_S10_SG_SL_EUlSZ_E_NS1_11comp_targetILNS1_3genE0ELNS1_11target_archE4294967295ELNS1_3gpuE0ELNS1_3repE0EEENS1_47radix_sort_onesweep_sort_config_static_selectorELNS0_4arch9wavefront6targetE0EEEvSG_.uses_flat_scratch, 0
	.set _ZN7rocprim17ROCPRIM_400000_NS6detail17trampoline_kernelINS0_14default_configENS1_35radix_sort_onesweep_config_selectorIdNS0_10empty_typeEEEZZNS1_29radix_sort_onesweep_iterationIS3_Lb0EPKdPdPS5_SB_mNS0_19identity_decomposerENS1_16block_id_wrapperIjLb0EEEEE10hipError_tT1_PNSt15iterator_traitsISG_E10value_typeET2_T3_PNSH_ISM_E10value_typeET4_T5_PSR_SS_PNS1_23onesweep_lookback_stateEbbT6_jjT7_P12ihipStream_tbENKUlT_T0_SG_SL_E_clIS9_SA_SB_SB_EEDaSZ_S10_SG_SL_EUlSZ_E_NS1_11comp_targetILNS1_3genE0ELNS1_11target_archE4294967295ELNS1_3gpuE0ELNS1_3repE0EEENS1_47radix_sort_onesweep_sort_config_static_selectorELNS0_4arch9wavefront6targetE0EEEvSG_.has_dyn_sized_stack, 0
	.set _ZN7rocprim17ROCPRIM_400000_NS6detail17trampoline_kernelINS0_14default_configENS1_35radix_sort_onesweep_config_selectorIdNS0_10empty_typeEEEZZNS1_29radix_sort_onesweep_iterationIS3_Lb0EPKdPdPS5_SB_mNS0_19identity_decomposerENS1_16block_id_wrapperIjLb0EEEEE10hipError_tT1_PNSt15iterator_traitsISG_E10value_typeET2_T3_PNSH_ISM_E10value_typeET4_T5_PSR_SS_PNS1_23onesweep_lookback_stateEbbT6_jjT7_P12ihipStream_tbENKUlT_T0_SG_SL_E_clIS9_SA_SB_SB_EEDaSZ_S10_SG_SL_EUlSZ_E_NS1_11comp_targetILNS1_3genE0ELNS1_11target_archE4294967295ELNS1_3gpuE0ELNS1_3repE0EEENS1_47radix_sort_onesweep_sort_config_static_selectorELNS0_4arch9wavefront6targetE0EEEvSG_.has_recursion, 0
	.set _ZN7rocprim17ROCPRIM_400000_NS6detail17trampoline_kernelINS0_14default_configENS1_35radix_sort_onesweep_config_selectorIdNS0_10empty_typeEEEZZNS1_29radix_sort_onesweep_iterationIS3_Lb0EPKdPdPS5_SB_mNS0_19identity_decomposerENS1_16block_id_wrapperIjLb0EEEEE10hipError_tT1_PNSt15iterator_traitsISG_E10value_typeET2_T3_PNSH_ISM_E10value_typeET4_T5_PSR_SS_PNS1_23onesweep_lookback_stateEbbT6_jjT7_P12ihipStream_tbENKUlT_T0_SG_SL_E_clIS9_SA_SB_SB_EEDaSZ_S10_SG_SL_EUlSZ_E_NS1_11comp_targetILNS1_3genE0ELNS1_11target_archE4294967295ELNS1_3gpuE0ELNS1_3repE0EEENS1_47radix_sort_onesweep_sort_config_static_selectorELNS0_4arch9wavefront6targetE0EEEvSG_.has_indirect_call, 0
	.section	.AMDGPU.csdata,"",@progbits
; Kernel info:
; codeLenInByte = 12576
; TotalNumSgprs: 32
; NumVgprs: 57
; ScratchSize: 0
; MemoryBound: 0
; FloatMode: 240
; IeeeMode: 1
; LDSByteSize: 18504 bytes/workgroup (compile time only)
; SGPRBlocks: 0
; VGPRBlocks: 3
; NumSGPRsForWavesPerEU: 32
; NumVGPRsForWavesPerEU: 57
; NamedBarCnt: 0
; Occupancy: 16
; WaveLimiterHint : 1
; COMPUTE_PGM_RSRC2:SCRATCH_EN: 0
; COMPUTE_PGM_RSRC2:USER_SGPR: 2
; COMPUTE_PGM_RSRC2:TRAP_HANDLER: 0
; COMPUTE_PGM_RSRC2:TGID_X_EN: 1
; COMPUTE_PGM_RSRC2:TGID_Y_EN: 0
; COMPUTE_PGM_RSRC2:TGID_Z_EN: 0
; COMPUTE_PGM_RSRC2:TIDIG_COMP_CNT: 2
	.section	.text._ZN7rocprim17ROCPRIM_400000_NS6detail17trampoline_kernelINS0_14default_configENS1_35radix_sort_onesweep_config_selectorIdNS0_10empty_typeEEEZZNS1_29radix_sort_onesweep_iterationIS3_Lb0EPKdPdPS5_SB_mNS0_19identity_decomposerENS1_16block_id_wrapperIjLb0EEEEE10hipError_tT1_PNSt15iterator_traitsISG_E10value_typeET2_T3_PNSH_ISM_E10value_typeET4_T5_PSR_SS_PNS1_23onesweep_lookback_stateEbbT6_jjT7_P12ihipStream_tbENKUlT_T0_SG_SL_E_clIS9_SA_SB_SB_EEDaSZ_S10_SG_SL_EUlSZ_E_NS1_11comp_targetILNS1_3genE6ELNS1_11target_archE950ELNS1_3gpuE13ELNS1_3repE0EEENS1_47radix_sort_onesweep_sort_config_static_selectorELNS0_4arch9wavefront6targetE0EEEvSG_,"axG",@progbits,_ZN7rocprim17ROCPRIM_400000_NS6detail17trampoline_kernelINS0_14default_configENS1_35radix_sort_onesweep_config_selectorIdNS0_10empty_typeEEEZZNS1_29radix_sort_onesweep_iterationIS3_Lb0EPKdPdPS5_SB_mNS0_19identity_decomposerENS1_16block_id_wrapperIjLb0EEEEE10hipError_tT1_PNSt15iterator_traitsISG_E10value_typeET2_T3_PNSH_ISM_E10value_typeET4_T5_PSR_SS_PNS1_23onesweep_lookback_stateEbbT6_jjT7_P12ihipStream_tbENKUlT_T0_SG_SL_E_clIS9_SA_SB_SB_EEDaSZ_S10_SG_SL_EUlSZ_E_NS1_11comp_targetILNS1_3genE6ELNS1_11target_archE950ELNS1_3gpuE13ELNS1_3repE0EEENS1_47radix_sort_onesweep_sort_config_static_selectorELNS0_4arch9wavefront6targetE0EEEvSG_,comdat
	.protected	_ZN7rocprim17ROCPRIM_400000_NS6detail17trampoline_kernelINS0_14default_configENS1_35radix_sort_onesweep_config_selectorIdNS0_10empty_typeEEEZZNS1_29radix_sort_onesweep_iterationIS3_Lb0EPKdPdPS5_SB_mNS0_19identity_decomposerENS1_16block_id_wrapperIjLb0EEEEE10hipError_tT1_PNSt15iterator_traitsISG_E10value_typeET2_T3_PNSH_ISM_E10value_typeET4_T5_PSR_SS_PNS1_23onesweep_lookback_stateEbbT6_jjT7_P12ihipStream_tbENKUlT_T0_SG_SL_E_clIS9_SA_SB_SB_EEDaSZ_S10_SG_SL_EUlSZ_E_NS1_11comp_targetILNS1_3genE6ELNS1_11target_archE950ELNS1_3gpuE13ELNS1_3repE0EEENS1_47radix_sort_onesweep_sort_config_static_selectorELNS0_4arch9wavefront6targetE0EEEvSG_ ; -- Begin function _ZN7rocprim17ROCPRIM_400000_NS6detail17trampoline_kernelINS0_14default_configENS1_35radix_sort_onesweep_config_selectorIdNS0_10empty_typeEEEZZNS1_29radix_sort_onesweep_iterationIS3_Lb0EPKdPdPS5_SB_mNS0_19identity_decomposerENS1_16block_id_wrapperIjLb0EEEEE10hipError_tT1_PNSt15iterator_traitsISG_E10value_typeET2_T3_PNSH_ISM_E10value_typeET4_T5_PSR_SS_PNS1_23onesweep_lookback_stateEbbT6_jjT7_P12ihipStream_tbENKUlT_T0_SG_SL_E_clIS9_SA_SB_SB_EEDaSZ_S10_SG_SL_EUlSZ_E_NS1_11comp_targetILNS1_3genE6ELNS1_11target_archE950ELNS1_3gpuE13ELNS1_3repE0EEENS1_47radix_sort_onesweep_sort_config_static_selectorELNS0_4arch9wavefront6targetE0EEEvSG_
	.globl	_ZN7rocprim17ROCPRIM_400000_NS6detail17trampoline_kernelINS0_14default_configENS1_35radix_sort_onesweep_config_selectorIdNS0_10empty_typeEEEZZNS1_29radix_sort_onesweep_iterationIS3_Lb0EPKdPdPS5_SB_mNS0_19identity_decomposerENS1_16block_id_wrapperIjLb0EEEEE10hipError_tT1_PNSt15iterator_traitsISG_E10value_typeET2_T3_PNSH_ISM_E10value_typeET4_T5_PSR_SS_PNS1_23onesweep_lookback_stateEbbT6_jjT7_P12ihipStream_tbENKUlT_T0_SG_SL_E_clIS9_SA_SB_SB_EEDaSZ_S10_SG_SL_EUlSZ_E_NS1_11comp_targetILNS1_3genE6ELNS1_11target_archE950ELNS1_3gpuE13ELNS1_3repE0EEENS1_47radix_sort_onesweep_sort_config_static_selectorELNS0_4arch9wavefront6targetE0EEEvSG_
	.p2align	8
	.type	_ZN7rocprim17ROCPRIM_400000_NS6detail17trampoline_kernelINS0_14default_configENS1_35radix_sort_onesweep_config_selectorIdNS0_10empty_typeEEEZZNS1_29radix_sort_onesweep_iterationIS3_Lb0EPKdPdPS5_SB_mNS0_19identity_decomposerENS1_16block_id_wrapperIjLb0EEEEE10hipError_tT1_PNSt15iterator_traitsISG_E10value_typeET2_T3_PNSH_ISM_E10value_typeET4_T5_PSR_SS_PNS1_23onesweep_lookback_stateEbbT6_jjT7_P12ihipStream_tbENKUlT_T0_SG_SL_E_clIS9_SA_SB_SB_EEDaSZ_S10_SG_SL_EUlSZ_E_NS1_11comp_targetILNS1_3genE6ELNS1_11target_archE950ELNS1_3gpuE13ELNS1_3repE0EEENS1_47radix_sort_onesweep_sort_config_static_selectorELNS0_4arch9wavefront6targetE0EEEvSG_,@function
_ZN7rocprim17ROCPRIM_400000_NS6detail17trampoline_kernelINS0_14default_configENS1_35radix_sort_onesweep_config_selectorIdNS0_10empty_typeEEEZZNS1_29radix_sort_onesweep_iterationIS3_Lb0EPKdPdPS5_SB_mNS0_19identity_decomposerENS1_16block_id_wrapperIjLb0EEEEE10hipError_tT1_PNSt15iterator_traitsISG_E10value_typeET2_T3_PNSH_ISM_E10value_typeET4_T5_PSR_SS_PNS1_23onesweep_lookback_stateEbbT6_jjT7_P12ihipStream_tbENKUlT_T0_SG_SL_E_clIS9_SA_SB_SB_EEDaSZ_S10_SG_SL_EUlSZ_E_NS1_11comp_targetILNS1_3genE6ELNS1_11target_archE950ELNS1_3gpuE13ELNS1_3repE0EEENS1_47radix_sort_onesweep_sort_config_static_selectorELNS0_4arch9wavefront6targetE0EEEvSG_: ; @_ZN7rocprim17ROCPRIM_400000_NS6detail17trampoline_kernelINS0_14default_configENS1_35radix_sort_onesweep_config_selectorIdNS0_10empty_typeEEEZZNS1_29radix_sort_onesweep_iterationIS3_Lb0EPKdPdPS5_SB_mNS0_19identity_decomposerENS1_16block_id_wrapperIjLb0EEEEE10hipError_tT1_PNSt15iterator_traitsISG_E10value_typeET2_T3_PNSH_ISM_E10value_typeET4_T5_PSR_SS_PNS1_23onesweep_lookback_stateEbbT6_jjT7_P12ihipStream_tbENKUlT_T0_SG_SL_E_clIS9_SA_SB_SB_EEDaSZ_S10_SG_SL_EUlSZ_E_NS1_11comp_targetILNS1_3genE6ELNS1_11target_archE950ELNS1_3gpuE13ELNS1_3repE0EEENS1_47radix_sort_onesweep_sort_config_static_selectorELNS0_4arch9wavefront6targetE0EEEvSG_
; %bb.0:
	.section	.rodata,"a",@progbits
	.p2align	6, 0x0
	.amdhsa_kernel _ZN7rocprim17ROCPRIM_400000_NS6detail17trampoline_kernelINS0_14default_configENS1_35radix_sort_onesweep_config_selectorIdNS0_10empty_typeEEEZZNS1_29radix_sort_onesweep_iterationIS3_Lb0EPKdPdPS5_SB_mNS0_19identity_decomposerENS1_16block_id_wrapperIjLb0EEEEE10hipError_tT1_PNSt15iterator_traitsISG_E10value_typeET2_T3_PNSH_ISM_E10value_typeET4_T5_PSR_SS_PNS1_23onesweep_lookback_stateEbbT6_jjT7_P12ihipStream_tbENKUlT_T0_SG_SL_E_clIS9_SA_SB_SB_EEDaSZ_S10_SG_SL_EUlSZ_E_NS1_11comp_targetILNS1_3genE6ELNS1_11target_archE950ELNS1_3gpuE13ELNS1_3repE0EEENS1_47radix_sort_onesweep_sort_config_static_selectorELNS0_4arch9wavefront6targetE0EEEvSG_
		.amdhsa_group_segment_fixed_size 0
		.amdhsa_private_segment_fixed_size 0
		.amdhsa_kernarg_size 88
		.amdhsa_user_sgpr_count 2
		.amdhsa_user_sgpr_dispatch_ptr 0
		.amdhsa_user_sgpr_queue_ptr 0
		.amdhsa_user_sgpr_kernarg_segment_ptr 1
		.amdhsa_user_sgpr_dispatch_id 0
		.amdhsa_user_sgpr_kernarg_preload_length 0
		.amdhsa_user_sgpr_kernarg_preload_offset 0
		.amdhsa_user_sgpr_private_segment_size 0
		.amdhsa_wavefront_size32 1
		.amdhsa_uses_dynamic_stack 0
		.amdhsa_enable_private_segment 0
		.amdhsa_system_sgpr_workgroup_id_x 1
		.amdhsa_system_sgpr_workgroup_id_y 0
		.amdhsa_system_sgpr_workgroup_id_z 0
		.amdhsa_system_sgpr_workgroup_info 0
		.amdhsa_system_vgpr_workitem_id 0
		.amdhsa_next_free_vgpr 1
		.amdhsa_next_free_sgpr 1
		.amdhsa_named_barrier_count 0
		.amdhsa_reserve_vcc 0
		.amdhsa_float_round_mode_32 0
		.amdhsa_float_round_mode_16_64 0
		.amdhsa_float_denorm_mode_32 3
		.amdhsa_float_denorm_mode_16_64 3
		.amdhsa_fp16_overflow 0
		.amdhsa_memory_ordered 1
		.amdhsa_forward_progress 1
		.amdhsa_inst_pref_size 0
		.amdhsa_round_robin_scheduling 0
		.amdhsa_exception_fp_ieee_invalid_op 0
		.amdhsa_exception_fp_denorm_src 0
		.amdhsa_exception_fp_ieee_div_zero 0
		.amdhsa_exception_fp_ieee_overflow 0
		.amdhsa_exception_fp_ieee_underflow 0
		.amdhsa_exception_fp_ieee_inexact 0
		.amdhsa_exception_int_div_zero 0
	.end_amdhsa_kernel
	.section	.text._ZN7rocprim17ROCPRIM_400000_NS6detail17trampoline_kernelINS0_14default_configENS1_35radix_sort_onesweep_config_selectorIdNS0_10empty_typeEEEZZNS1_29radix_sort_onesweep_iterationIS3_Lb0EPKdPdPS5_SB_mNS0_19identity_decomposerENS1_16block_id_wrapperIjLb0EEEEE10hipError_tT1_PNSt15iterator_traitsISG_E10value_typeET2_T3_PNSH_ISM_E10value_typeET4_T5_PSR_SS_PNS1_23onesweep_lookback_stateEbbT6_jjT7_P12ihipStream_tbENKUlT_T0_SG_SL_E_clIS9_SA_SB_SB_EEDaSZ_S10_SG_SL_EUlSZ_E_NS1_11comp_targetILNS1_3genE6ELNS1_11target_archE950ELNS1_3gpuE13ELNS1_3repE0EEENS1_47radix_sort_onesweep_sort_config_static_selectorELNS0_4arch9wavefront6targetE0EEEvSG_,"axG",@progbits,_ZN7rocprim17ROCPRIM_400000_NS6detail17trampoline_kernelINS0_14default_configENS1_35radix_sort_onesweep_config_selectorIdNS0_10empty_typeEEEZZNS1_29radix_sort_onesweep_iterationIS3_Lb0EPKdPdPS5_SB_mNS0_19identity_decomposerENS1_16block_id_wrapperIjLb0EEEEE10hipError_tT1_PNSt15iterator_traitsISG_E10value_typeET2_T3_PNSH_ISM_E10value_typeET4_T5_PSR_SS_PNS1_23onesweep_lookback_stateEbbT6_jjT7_P12ihipStream_tbENKUlT_T0_SG_SL_E_clIS9_SA_SB_SB_EEDaSZ_S10_SG_SL_EUlSZ_E_NS1_11comp_targetILNS1_3genE6ELNS1_11target_archE950ELNS1_3gpuE13ELNS1_3repE0EEENS1_47radix_sort_onesweep_sort_config_static_selectorELNS0_4arch9wavefront6targetE0EEEvSG_,comdat
.Lfunc_end1624:
	.size	_ZN7rocprim17ROCPRIM_400000_NS6detail17trampoline_kernelINS0_14default_configENS1_35radix_sort_onesweep_config_selectorIdNS0_10empty_typeEEEZZNS1_29radix_sort_onesweep_iterationIS3_Lb0EPKdPdPS5_SB_mNS0_19identity_decomposerENS1_16block_id_wrapperIjLb0EEEEE10hipError_tT1_PNSt15iterator_traitsISG_E10value_typeET2_T3_PNSH_ISM_E10value_typeET4_T5_PSR_SS_PNS1_23onesweep_lookback_stateEbbT6_jjT7_P12ihipStream_tbENKUlT_T0_SG_SL_E_clIS9_SA_SB_SB_EEDaSZ_S10_SG_SL_EUlSZ_E_NS1_11comp_targetILNS1_3genE6ELNS1_11target_archE950ELNS1_3gpuE13ELNS1_3repE0EEENS1_47radix_sort_onesweep_sort_config_static_selectorELNS0_4arch9wavefront6targetE0EEEvSG_, .Lfunc_end1624-_ZN7rocprim17ROCPRIM_400000_NS6detail17trampoline_kernelINS0_14default_configENS1_35radix_sort_onesweep_config_selectorIdNS0_10empty_typeEEEZZNS1_29radix_sort_onesweep_iterationIS3_Lb0EPKdPdPS5_SB_mNS0_19identity_decomposerENS1_16block_id_wrapperIjLb0EEEEE10hipError_tT1_PNSt15iterator_traitsISG_E10value_typeET2_T3_PNSH_ISM_E10value_typeET4_T5_PSR_SS_PNS1_23onesweep_lookback_stateEbbT6_jjT7_P12ihipStream_tbENKUlT_T0_SG_SL_E_clIS9_SA_SB_SB_EEDaSZ_S10_SG_SL_EUlSZ_E_NS1_11comp_targetILNS1_3genE6ELNS1_11target_archE950ELNS1_3gpuE13ELNS1_3repE0EEENS1_47radix_sort_onesweep_sort_config_static_selectorELNS0_4arch9wavefront6targetE0EEEvSG_
                                        ; -- End function
	.set _ZN7rocprim17ROCPRIM_400000_NS6detail17trampoline_kernelINS0_14default_configENS1_35radix_sort_onesweep_config_selectorIdNS0_10empty_typeEEEZZNS1_29radix_sort_onesweep_iterationIS3_Lb0EPKdPdPS5_SB_mNS0_19identity_decomposerENS1_16block_id_wrapperIjLb0EEEEE10hipError_tT1_PNSt15iterator_traitsISG_E10value_typeET2_T3_PNSH_ISM_E10value_typeET4_T5_PSR_SS_PNS1_23onesweep_lookback_stateEbbT6_jjT7_P12ihipStream_tbENKUlT_T0_SG_SL_E_clIS9_SA_SB_SB_EEDaSZ_S10_SG_SL_EUlSZ_E_NS1_11comp_targetILNS1_3genE6ELNS1_11target_archE950ELNS1_3gpuE13ELNS1_3repE0EEENS1_47radix_sort_onesweep_sort_config_static_selectorELNS0_4arch9wavefront6targetE0EEEvSG_.num_vgpr, 0
	.set _ZN7rocprim17ROCPRIM_400000_NS6detail17trampoline_kernelINS0_14default_configENS1_35radix_sort_onesweep_config_selectorIdNS0_10empty_typeEEEZZNS1_29radix_sort_onesweep_iterationIS3_Lb0EPKdPdPS5_SB_mNS0_19identity_decomposerENS1_16block_id_wrapperIjLb0EEEEE10hipError_tT1_PNSt15iterator_traitsISG_E10value_typeET2_T3_PNSH_ISM_E10value_typeET4_T5_PSR_SS_PNS1_23onesweep_lookback_stateEbbT6_jjT7_P12ihipStream_tbENKUlT_T0_SG_SL_E_clIS9_SA_SB_SB_EEDaSZ_S10_SG_SL_EUlSZ_E_NS1_11comp_targetILNS1_3genE6ELNS1_11target_archE950ELNS1_3gpuE13ELNS1_3repE0EEENS1_47radix_sort_onesweep_sort_config_static_selectorELNS0_4arch9wavefront6targetE0EEEvSG_.num_agpr, 0
	.set _ZN7rocprim17ROCPRIM_400000_NS6detail17trampoline_kernelINS0_14default_configENS1_35radix_sort_onesweep_config_selectorIdNS0_10empty_typeEEEZZNS1_29radix_sort_onesweep_iterationIS3_Lb0EPKdPdPS5_SB_mNS0_19identity_decomposerENS1_16block_id_wrapperIjLb0EEEEE10hipError_tT1_PNSt15iterator_traitsISG_E10value_typeET2_T3_PNSH_ISM_E10value_typeET4_T5_PSR_SS_PNS1_23onesweep_lookback_stateEbbT6_jjT7_P12ihipStream_tbENKUlT_T0_SG_SL_E_clIS9_SA_SB_SB_EEDaSZ_S10_SG_SL_EUlSZ_E_NS1_11comp_targetILNS1_3genE6ELNS1_11target_archE950ELNS1_3gpuE13ELNS1_3repE0EEENS1_47radix_sort_onesweep_sort_config_static_selectorELNS0_4arch9wavefront6targetE0EEEvSG_.numbered_sgpr, 0
	.set _ZN7rocprim17ROCPRIM_400000_NS6detail17trampoline_kernelINS0_14default_configENS1_35radix_sort_onesweep_config_selectorIdNS0_10empty_typeEEEZZNS1_29radix_sort_onesweep_iterationIS3_Lb0EPKdPdPS5_SB_mNS0_19identity_decomposerENS1_16block_id_wrapperIjLb0EEEEE10hipError_tT1_PNSt15iterator_traitsISG_E10value_typeET2_T3_PNSH_ISM_E10value_typeET4_T5_PSR_SS_PNS1_23onesweep_lookback_stateEbbT6_jjT7_P12ihipStream_tbENKUlT_T0_SG_SL_E_clIS9_SA_SB_SB_EEDaSZ_S10_SG_SL_EUlSZ_E_NS1_11comp_targetILNS1_3genE6ELNS1_11target_archE950ELNS1_3gpuE13ELNS1_3repE0EEENS1_47radix_sort_onesweep_sort_config_static_selectorELNS0_4arch9wavefront6targetE0EEEvSG_.num_named_barrier, 0
	.set _ZN7rocprim17ROCPRIM_400000_NS6detail17trampoline_kernelINS0_14default_configENS1_35radix_sort_onesweep_config_selectorIdNS0_10empty_typeEEEZZNS1_29radix_sort_onesweep_iterationIS3_Lb0EPKdPdPS5_SB_mNS0_19identity_decomposerENS1_16block_id_wrapperIjLb0EEEEE10hipError_tT1_PNSt15iterator_traitsISG_E10value_typeET2_T3_PNSH_ISM_E10value_typeET4_T5_PSR_SS_PNS1_23onesweep_lookback_stateEbbT6_jjT7_P12ihipStream_tbENKUlT_T0_SG_SL_E_clIS9_SA_SB_SB_EEDaSZ_S10_SG_SL_EUlSZ_E_NS1_11comp_targetILNS1_3genE6ELNS1_11target_archE950ELNS1_3gpuE13ELNS1_3repE0EEENS1_47radix_sort_onesweep_sort_config_static_selectorELNS0_4arch9wavefront6targetE0EEEvSG_.private_seg_size, 0
	.set _ZN7rocprim17ROCPRIM_400000_NS6detail17trampoline_kernelINS0_14default_configENS1_35radix_sort_onesweep_config_selectorIdNS0_10empty_typeEEEZZNS1_29radix_sort_onesweep_iterationIS3_Lb0EPKdPdPS5_SB_mNS0_19identity_decomposerENS1_16block_id_wrapperIjLb0EEEEE10hipError_tT1_PNSt15iterator_traitsISG_E10value_typeET2_T3_PNSH_ISM_E10value_typeET4_T5_PSR_SS_PNS1_23onesweep_lookback_stateEbbT6_jjT7_P12ihipStream_tbENKUlT_T0_SG_SL_E_clIS9_SA_SB_SB_EEDaSZ_S10_SG_SL_EUlSZ_E_NS1_11comp_targetILNS1_3genE6ELNS1_11target_archE950ELNS1_3gpuE13ELNS1_3repE0EEENS1_47radix_sort_onesweep_sort_config_static_selectorELNS0_4arch9wavefront6targetE0EEEvSG_.uses_vcc, 0
	.set _ZN7rocprim17ROCPRIM_400000_NS6detail17trampoline_kernelINS0_14default_configENS1_35radix_sort_onesweep_config_selectorIdNS0_10empty_typeEEEZZNS1_29radix_sort_onesweep_iterationIS3_Lb0EPKdPdPS5_SB_mNS0_19identity_decomposerENS1_16block_id_wrapperIjLb0EEEEE10hipError_tT1_PNSt15iterator_traitsISG_E10value_typeET2_T3_PNSH_ISM_E10value_typeET4_T5_PSR_SS_PNS1_23onesweep_lookback_stateEbbT6_jjT7_P12ihipStream_tbENKUlT_T0_SG_SL_E_clIS9_SA_SB_SB_EEDaSZ_S10_SG_SL_EUlSZ_E_NS1_11comp_targetILNS1_3genE6ELNS1_11target_archE950ELNS1_3gpuE13ELNS1_3repE0EEENS1_47radix_sort_onesweep_sort_config_static_selectorELNS0_4arch9wavefront6targetE0EEEvSG_.uses_flat_scratch, 0
	.set _ZN7rocprim17ROCPRIM_400000_NS6detail17trampoline_kernelINS0_14default_configENS1_35radix_sort_onesweep_config_selectorIdNS0_10empty_typeEEEZZNS1_29radix_sort_onesweep_iterationIS3_Lb0EPKdPdPS5_SB_mNS0_19identity_decomposerENS1_16block_id_wrapperIjLb0EEEEE10hipError_tT1_PNSt15iterator_traitsISG_E10value_typeET2_T3_PNSH_ISM_E10value_typeET4_T5_PSR_SS_PNS1_23onesweep_lookback_stateEbbT6_jjT7_P12ihipStream_tbENKUlT_T0_SG_SL_E_clIS9_SA_SB_SB_EEDaSZ_S10_SG_SL_EUlSZ_E_NS1_11comp_targetILNS1_3genE6ELNS1_11target_archE950ELNS1_3gpuE13ELNS1_3repE0EEENS1_47radix_sort_onesweep_sort_config_static_selectorELNS0_4arch9wavefront6targetE0EEEvSG_.has_dyn_sized_stack, 0
	.set _ZN7rocprim17ROCPRIM_400000_NS6detail17trampoline_kernelINS0_14default_configENS1_35radix_sort_onesweep_config_selectorIdNS0_10empty_typeEEEZZNS1_29radix_sort_onesweep_iterationIS3_Lb0EPKdPdPS5_SB_mNS0_19identity_decomposerENS1_16block_id_wrapperIjLb0EEEEE10hipError_tT1_PNSt15iterator_traitsISG_E10value_typeET2_T3_PNSH_ISM_E10value_typeET4_T5_PSR_SS_PNS1_23onesweep_lookback_stateEbbT6_jjT7_P12ihipStream_tbENKUlT_T0_SG_SL_E_clIS9_SA_SB_SB_EEDaSZ_S10_SG_SL_EUlSZ_E_NS1_11comp_targetILNS1_3genE6ELNS1_11target_archE950ELNS1_3gpuE13ELNS1_3repE0EEENS1_47radix_sort_onesweep_sort_config_static_selectorELNS0_4arch9wavefront6targetE0EEEvSG_.has_recursion, 0
	.set _ZN7rocprim17ROCPRIM_400000_NS6detail17trampoline_kernelINS0_14default_configENS1_35radix_sort_onesweep_config_selectorIdNS0_10empty_typeEEEZZNS1_29radix_sort_onesweep_iterationIS3_Lb0EPKdPdPS5_SB_mNS0_19identity_decomposerENS1_16block_id_wrapperIjLb0EEEEE10hipError_tT1_PNSt15iterator_traitsISG_E10value_typeET2_T3_PNSH_ISM_E10value_typeET4_T5_PSR_SS_PNS1_23onesweep_lookback_stateEbbT6_jjT7_P12ihipStream_tbENKUlT_T0_SG_SL_E_clIS9_SA_SB_SB_EEDaSZ_S10_SG_SL_EUlSZ_E_NS1_11comp_targetILNS1_3genE6ELNS1_11target_archE950ELNS1_3gpuE13ELNS1_3repE0EEENS1_47radix_sort_onesweep_sort_config_static_selectorELNS0_4arch9wavefront6targetE0EEEvSG_.has_indirect_call, 0
	.section	.AMDGPU.csdata,"",@progbits
; Kernel info:
; codeLenInByte = 0
; TotalNumSgprs: 0
; NumVgprs: 0
; ScratchSize: 0
; MemoryBound: 0
; FloatMode: 240
; IeeeMode: 1
; LDSByteSize: 0 bytes/workgroup (compile time only)
; SGPRBlocks: 0
; VGPRBlocks: 0
; NumSGPRsForWavesPerEU: 1
; NumVGPRsForWavesPerEU: 1
; NamedBarCnt: 0
; Occupancy: 16
; WaveLimiterHint : 0
; COMPUTE_PGM_RSRC2:SCRATCH_EN: 0
; COMPUTE_PGM_RSRC2:USER_SGPR: 2
; COMPUTE_PGM_RSRC2:TRAP_HANDLER: 0
; COMPUTE_PGM_RSRC2:TGID_X_EN: 1
; COMPUTE_PGM_RSRC2:TGID_Y_EN: 0
; COMPUTE_PGM_RSRC2:TGID_Z_EN: 0
; COMPUTE_PGM_RSRC2:TIDIG_COMP_CNT: 0
	.section	.text._ZN7rocprim17ROCPRIM_400000_NS6detail17trampoline_kernelINS0_14default_configENS1_35radix_sort_onesweep_config_selectorIdNS0_10empty_typeEEEZZNS1_29radix_sort_onesweep_iterationIS3_Lb0EPKdPdPS5_SB_mNS0_19identity_decomposerENS1_16block_id_wrapperIjLb0EEEEE10hipError_tT1_PNSt15iterator_traitsISG_E10value_typeET2_T3_PNSH_ISM_E10value_typeET4_T5_PSR_SS_PNS1_23onesweep_lookback_stateEbbT6_jjT7_P12ihipStream_tbENKUlT_T0_SG_SL_E_clIS9_SA_SB_SB_EEDaSZ_S10_SG_SL_EUlSZ_E_NS1_11comp_targetILNS1_3genE5ELNS1_11target_archE942ELNS1_3gpuE9ELNS1_3repE0EEENS1_47radix_sort_onesweep_sort_config_static_selectorELNS0_4arch9wavefront6targetE0EEEvSG_,"axG",@progbits,_ZN7rocprim17ROCPRIM_400000_NS6detail17trampoline_kernelINS0_14default_configENS1_35radix_sort_onesweep_config_selectorIdNS0_10empty_typeEEEZZNS1_29radix_sort_onesweep_iterationIS3_Lb0EPKdPdPS5_SB_mNS0_19identity_decomposerENS1_16block_id_wrapperIjLb0EEEEE10hipError_tT1_PNSt15iterator_traitsISG_E10value_typeET2_T3_PNSH_ISM_E10value_typeET4_T5_PSR_SS_PNS1_23onesweep_lookback_stateEbbT6_jjT7_P12ihipStream_tbENKUlT_T0_SG_SL_E_clIS9_SA_SB_SB_EEDaSZ_S10_SG_SL_EUlSZ_E_NS1_11comp_targetILNS1_3genE5ELNS1_11target_archE942ELNS1_3gpuE9ELNS1_3repE0EEENS1_47radix_sort_onesweep_sort_config_static_selectorELNS0_4arch9wavefront6targetE0EEEvSG_,comdat
	.protected	_ZN7rocprim17ROCPRIM_400000_NS6detail17trampoline_kernelINS0_14default_configENS1_35radix_sort_onesweep_config_selectorIdNS0_10empty_typeEEEZZNS1_29radix_sort_onesweep_iterationIS3_Lb0EPKdPdPS5_SB_mNS0_19identity_decomposerENS1_16block_id_wrapperIjLb0EEEEE10hipError_tT1_PNSt15iterator_traitsISG_E10value_typeET2_T3_PNSH_ISM_E10value_typeET4_T5_PSR_SS_PNS1_23onesweep_lookback_stateEbbT6_jjT7_P12ihipStream_tbENKUlT_T0_SG_SL_E_clIS9_SA_SB_SB_EEDaSZ_S10_SG_SL_EUlSZ_E_NS1_11comp_targetILNS1_3genE5ELNS1_11target_archE942ELNS1_3gpuE9ELNS1_3repE0EEENS1_47radix_sort_onesweep_sort_config_static_selectorELNS0_4arch9wavefront6targetE0EEEvSG_ ; -- Begin function _ZN7rocprim17ROCPRIM_400000_NS6detail17trampoline_kernelINS0_14default_configENS1_35radix_sort_onesweep_config_selectorIdNS0_10empty_typeEEEZZNS1_29radix_sort_onesweep_iterationIS3_Lb0EPKdPdPS5_SB_mNS0_19identity_decomposerENS1_16block_id_wrapperIjLb0EEEEE10hipError_tT1_PNSt15iterator_traitsISG_E10value_typeET2_T3_PNSH_ISM_E10value_typeET4_T5_PSR_SS_PNS1_23onesweep_lookback_stateEbbT6_jjT7_P12ihipStream_tbENKUlT_T0_SG_SL_E_clIS9_SA_SB_SB_EEDaSZ_S10_SG_SL_EUlSZ_E_NS1_11comp_targetILNS1_3genE5ELNS1_11target_archE942ELNS1_3gpuE9ELNS1_3repE0EEENS1_47radix_sort_onesweep_sort_config_static_selectorELNS0_4arch9wavefront6targetE0EEEvSG_
	.globl	_ZN7rocprim17ROCPRIM_400000_NS6detail17trampoline_kernelINS0_14default_configENS1_35radix_sort_onesweep_config_selectorIdNS0_10empty_typeEEEZZNS1_29radix_sort_onesweep_iterationIS3_Lb0EPKdPdPS5_SB_mNS0_19identity_decomposerENS1_16block_id_wrapperIjLb0EEEEE10hipError_tT1_PNSt15iterator_traitsISG_E10value_typeET2_T3_PNSH_ISM_E10value_typeET4_T5_PSR_SS_PNS1_23onesweep_lookback_stateEbbT6_jjT7_P12ihipStream_tbENKUlT_T0_SG_SL_E_clIS9_SA_SB_SB_EEDaSZ_S10_SG_SL_EUlSZ_E_NS1_11comp_targetILNS1_3genE5ELNS1_11target_archE942ELNS1_3gpuE9ELNS1_3repE0EEENS1_47radix_sort_onesweep_sort_config_static_selectorELNS0_4arch9wavefront6targetE0EEEvSG_
	.p2align	8
	.type	_ZN7rocprim17ROCPRIM_400000_NS6detail17trampoline_kernelINS0_14default_configENS1_35radix_sort_onesweep_config_selectorIdNS0_10empty_typeEEEZZNS1_29radix_sort_onesweep_iterationIS3_Lb0EPKdPdPS5_SB_mNS0_19identity_decomposerENS1_16block_id_wrapperIjLb0EEEEE10hipError_tT1_PNSt15iterator_traitsISG_E10value_typeET2_T3_PNSH_ISM_E10value_typeET4_T5_PSR_SS_PNS1_23onesweep_lookback_stateEbbT6_jjT7_P12ihipStream_tbENKUlT_T0_SG_SL_E_clIS9_SA_SB_SB_EEDaSZ_S10_SG_SL_EUlSZ_E_NS1_11comp_targetILNS1_3genE5ELNS1_11target_archE942ELNS1_3gpuE9ELNS1_3repE0EEENS1_47radix_sort_onesweep_sort_config_static_selectorELNS0_4arch9wavefront6targetE0EEEvSG_,@function
_ZN7rocprim17ROCPRIM_400000_NS6detail17trampoline_kernelINS0_14default_configENS1_35radix_sort_onesweep_config_selectorIdNS0_10empty_typeEEEZZNS1_29radix_sort_onesweep_iterationIS3_Lb0EPKdPdPS5_SB_mNS0_19identity_decomposerENS1_16block_id_wrapperIjLb0EEEEE10hipError_tT1_PNSt15iterator_traitsISG_E10value_typeET2_T3_PNSH_ISM_E10value_typeET4_T5_PSR_SS_PNS1_23onesweep_lookback_stateEbbT6_jjT7_P12ihipStream_tbENKUlT_T0_SG_SL_E_clIS9_SA_SB_SB_EEDaSZ_S10_SG_SL_EUlSZ_E_NS1_11comp_targetILNS1_3genE5ELNS1_11target_archE942ELNS1_3gpuE9ELNS1_3repE0EEENS1_47radix_sort_onesweep_sort_config_static_selectorELNS0_4arch9wavefront6targetE0EEEvSG_: ; @_ZN7rocprim17ROCPRIM_400000_NS6detail17trampoline_kernelINS0_14default_configENS1_35radix_sort_onesweep_config_selectorIdNS0_10empty_typeEEEZZNS1_29radix_sort_onesweep_iterationIS3_Lb0EPKdPdPS5_SB_mNS0_19identity_decomposerENS1_16block_id_wrapperIjLb0EEEEE10hipError_tT1_PNSt15iterator_traitsISG_E10value_typeET2_T3_PNSH_ISM_E10value_typeET4_T5_PSR_SS_PNS1_23onesweep_lookback_stateEbbT6_jjT7_P12ihipStream_tbENKUlT_T0_SG_SL_E_clIS9_SA_SB_SB_EEDaSZ_S10_SG_SL_EUlSZ_E_NS1_11comp_targetILNS1_3genE5ELNS1_11target_archE942ELNS1_3gpuE9ELNS1_3repE0EEENS1_47radix_sort_onesweep_sort_config_static_selectorELNS0_4arch9wavefront6targetE0EEEvSG_
; %bb.0:
	.section	.rodata,"a",@progbits
	.p2align	6, 0x0
	.amdhsa_kernel _ZN7rocprim17ROCPRIM_400000_NS6detail17trampoline_kernelINS0_14default_configENS1_35radix_sort_onesweep_config_selectorIdNS0_10empty_typeEEEZZNS1_29radix_sort_onesweep_iterationIS3_Lb0EPKdPdPS5_SB_mNS0_19identity_decomposerENS1_16block_id_wrapperIjLb0EEEEE10hipError_tT1_PNSt15iterator_traitsISG_E10value_typeET2_T3_PNSH_ISM_E10value_typeET4_T5_PSR_SS_PNS1_23onesweep_lookback_stateEbbT6_jjT7_P12ihipStream_tbENKUlT_T0_SG_SL_E_clIS9_SA_SB_SB_EEDaSZ_S10_SG_SL_EUlSZ_E_NS1_11comp_targetILNS1_3genE5ELNS1_11target_archE942ELNS1_3gpuE9ELNS1_3repE0EEENS1_47radix_sort_onesweep_sort_config_static_selectorELNS0_4arch9wavefront6targetE0EEEvSG_
		.amdhsa_group_segment_fixed_size 0
		.amdhsa_private_segment_fixed_size 0
		.amdhsa_kernarg_size 88
		.amdhsa_user_sgpr_count 2
		.amdhsa_user_sgpr_dispatch_ptr 0
		.amdhsa_user_sgpr_queue_ptr 0
		.amdhsa_user_sgpr_kernarg_segment_ptr 1
		.amdhsa_user_sgpr_dispatch_id 0
		.amdhsa_user_sgpr_kernarg_preload_length 0
		.amdhsa_user_sgpr_kernarg_preload_offset 0
		.amdhsa_user_sgpr_private_segment_size 0
		.amdhsa_wavefront_size32 1
		.amdhsa_uses_dynamic_stack 0
		.amdhsa_enable_private_segment 0
		.amdhsa_system_sgpr_workgroup_id_x 1
		.amdhsa_system_sgpr_workgroup_id_y 0
		.amdhsa_system_sgpr_workgroup_id_z 0
		.amdhsa_system_sgpr_workgroup_info 0
		.amdhsa_system_vgpr_workitem_id 0
		.amdhsa_next_free_vgpr 1
		.amdhsa_next_free_sgpr 1
		.amdhsa_named_barrier_count 0
		.amdhsa_reserve_vcc 0
		.amdhsa_float_round_mode_32 0
		.amdhsa_float_round_mode_16_64 0
		.amdhsa_float_denorm_mode_32 3
		.amdhsa_float_denorm_mode_16_64 3
		.amdhsa_fp16_overflow 0
		.amdhsa_memory_ordered 1
		.amdhsa_forward_progress 1
		.amdhsa_inst_pref_size 0
		.amdhsa_round_robin_scheduling 0
		.amdhsa_exception_fp_ieee_invalid_op 0
		.amdhsa_exception_fp_denorm_src 0
		.amdhsa_exception_fp_ieee_div_zero 0
		.amdhsa_exception_fp_ieee_overflow 0
		.amdhsa_exception_fp_ieee_underflow 0
		.amdhsa_exception_fp_ieee_inexact 0
		.amdhsa_exception_int_div_zero 0
	.end_amdhsa_kernel
	.section	.text._ZN7rocprim17ROCPRIM_400000_NS6detail17trampoline_kernelINS0_14default_configENS1_35radix_sort_onesweep_config_selectorIdNS0_10empty_typeEEEZZNS1_29radix_sort_onesweep_iterationIS3_Lb0EPKdPdPS5_SB_mNS0_19identity_decomposerENS1_16block_id_wrapperIjLb0EEEEE10hipError_tT1_PNSt15iterator_traitsISG_E10value_typeET2_T3_PNSH_ISM_E10value_typeET4_T5_PSR_SS_PNS1_23onesweep_lookback_stateEbbT6_jjT7_P12ihipStream_tbENKUlT_T0_SG_SL_E_clIS9_SA_SB_SB_EEDaSZ_S10_SG_SL_EUlSZ_E_NS1_11comp_targetILNS1_3genE5ELNS1_11target_archE942ELNS1_3gpuE9ELNS1_3repE0EEENS1_47radix_sort_onesweep_sort_config_static_selectorELNS0_4arch9wavefront6targetE0EEEvSG_,"axG",@progbits,_ZN7rocprim17ROCPRIM_400000_NS6detail17trampoline_kernelINS0_14default_configENS1_35radix_sort_onesweep_config_selectorIdNS0_10empty_typeEEEZZNS1_29radix_sort_onesweep_iterationIS3_Lb0EPKdPdPS5_SB_mNS0_19identity_decomposerENS1_16block_id_wrapperIjLb0EEEEE10hipError_tT1_PNSt15iterator_traitsISG_E10value_typeET2_T3_PNSH_ISM_E10value_typeET4_T5_PSR_SS_PNS1_23onesweep_lookback_stateEbbT6_jjT7_P12ihipStream_tbENKUlT_T0_SG_SL_E_clIS9_SA_SB_SB_EEDaSZ_S10_SG_SL_EUlSZ_E_NS1_11comp_targetILNS1_3genE5ELNS1_11target_archE942ELNS1_3gpuE9ELNS1_3repE0EEENS1_47radix_sort_onesweep_sort_config_static_selectorELNS0_4arch9wavefront6targetE0EEEvSG_,comdat
.Lfunc_end1625:
	.size	_ZN7rocprim17ROCPRIM_400000_NS6detail17trampoline_kernelINS0_14default_configENS1_35radix_sort_onesweep_config_selectorIdNS0_10empty_typeEEEZZNS1_29radix_sort_onesweep_iterationIS3_Lb0EPKdPdPS5_SB_mNS0_19identity_decomposerENS1_16block_id_wrapperIjLb0EEEEE10hipError_tT1_PNSt15iterator_traitsISG_E10value_typeET2_T3_PNSH_ISM_E10value_typeET4_T5_PSR_SS_PNS1_23onesweep_lookback_stateEbbT6_jjT7_P12ihipStream_tbENKUlT_T0_SG_SL_E_clIS9_SA_SB_SB_EEDaSZ_S10_SG_SL_EUlSZ_E_NS1_11comp_targetILNS1_3genE5ELNS1_11target_archE942ELNS1_3gpuE9ELNS1_3repE0EEENS1_47radix_sort_onesweep_sort_config_static_selectorELNS0_4arch9wavefront6targetE0EEEvSG_, .Lfunc_end1625-_ZN7rocprim17ROCPRIM_400000_NS6detail17trampoline_kernelINS0_14default_configENS1_35radix_sort_onesweep_config_selectorIdNS0_10empty_typeEEEZZNS1_29radix_sort_onesweep_iterationIS3_Lb0EPKdPdPS5_SB_mNS0_19identity_decomposerENS1_16block_id_wrapperIjLb0EEEEE10hipError_tT1_PNSt15iterator_traitsISG_E10value_typeET2_T3_PNSH_ISM_E10value_typeET4_T5_PSR_SS_PNS1_23onesweep_lookback_stateEbbT6_jjT7_P12ihipStream_tbENKUlT_T0_SG_SL_E_clIS9_SA_SB_SB_EEDaSZ_S10_SG_SL_EUlSZ_E_NS1_11comp_targetILNS1_3genE5ELNS1_11target_archE942ELNS1_3gpuE9ELNS1_3repE0EEENS1_47radix_sort_onesweep_sort_config_static_selectorELNS0_4arch9wavefront6targetE0EEEvSG_
                                        ; -- End function
	.set _ZN7rocprim17ROCPRIM_400000_NS6detail17trampoline_kernelINS0_14default_configENS1_35radix_sort_onesweep_config_selectorIdNS0_10empty_typeEEEZZNS1_29radix_sort_onesweep_iterationIS3_Lb0EPKdPdPS5_SB_mNS0_19identity_decomposerENS1_16block_id_wrapperIjLb0EEEEE10hipError_tT1_PNSt15iterator_traitsISG_E10value_typeET2_T3_PNSH_ISM_E10value_typeET4_T5_PSR_SS_PNS1_23onesweep_lookback_stateEbbT6_jjT7_P12ihipStream_tbENKUlT_T0_SG_SL_E_clIS9_SA_SB_SB_EEDaSZ_S10_SG_SL_EUlSZ_E_NS1_11comp_targetILNS1_3genE5ELNS1_11target_archE942ELNS1_3gpuE9ELNS1_3repE0EEENS1_47radix_sort_onesweep_sort_config_static_selectorELNS0_4arch9wavefront6targetE0EEEvSG_.num_vgpr, 0
	.set _ZN7rocprim17ROCPRIM_400000_NS6detail17trampoline_kernelINS0_14default_configENS1_35radix_sort_onesweep_config_selectorIdNS0_10empty_typeEEEZZNS1_29radix_sort_onesweep_iterationIS3_Lb0EPKdPdPS5_SB_mNS0_19identity_decomposerENS1_16block_id_wrapperIjLb0EEEEE10hipError_tT1_PNSt15iterator_traitsISG_E10value_typeET2_T3_PNSH_ISM_E10value_typeET4_T5_PSR_SS_PNS1_23onesweep_lookback_stateEbbT6_jjT7_P12ihipStream_tbENKUlT_T0_SG_SL_E_clIS9_SA_SB_SB_EEDaSZ_S10_SG_SL_EUlSZ_E_NS1_11comp_targetILNS1_3genE5ELNS1_11target_archE942ELNS1_3gpuE9ELNS1_3repE0EEENS1_47radix_sort_onesweep_sort_config_static_selectorELNS0_4arch9wavefront6targetE0EEEvSG_.num_agpr, 0
	.set _ZN7rocprim17ROCPRIM_400000_NS6detail17trampoline_kernelINS0_14default_configENS1_35radix_sort_onesweep_config_selectorIdNS0_10empty_typeEEEZZNS1_29radix_sort_onesweep_iterationIS3_Lb0EPKdPdPS5_SB_mNS0_19identity_decomposerENS1_16block_id_wrapperIjLb0EEEEE10hipError_tT1_PNSt15iterator_traitsISG_E10value_typeET2_T3_PNSH_ISM_E10value_typeET4_T5_PSR_SS_PNS1_23onesweep_lookback_stateEbbT6_jjT7_P12ihipStream_tbENKUlT_T0_SG_SL_E_clIS9_SA_SB_SB_EEDaSZ_S10_SG_SL_EUlSZ_E_NS1_11comp_targetILNS1_3genE5ELNS1_11target_archE942ELNS1_3gpuE9ELNS1_3repE0EEENS1_47radix_sort_onesweep_sort_config_static_selectorELNS0_4arch9wavefront6targetE0EEEvSG_.numbered_sgpr, 0
	.set _ZN7rocprim17ROCPRIM_400000_NS6detail17trampoline_kernelINS0_14default_configENS1_35radix_sort_onesweep_config_selectorIdNS0_10empty_typeEEEZZNS1_29radix_sort_onesweep_iterationIS3_Lb0EPKdPdPS5_SB_mNS0_19identity_decomposerENS1_16block_id_wrapperIjLb0EEEEE10hipError_tT1_PNSt15iterator_traitsISG_E10value_typeET2_T3_PNSH_ISM_E10value_typeET4_T5_PSR_SS_PNS1_23onesweep_lookback_stateEbbT6_jjT7_P12ihipStream_tbENKUlT_T0_SG_SL_E_clIS9_SA_SB_SB_EEDaSZ_S10_SG_SL_EUlSZ_E_NS1_11comp_targetILNS1_3genE5ELNS1_11target_archE942ELNS1_3gpuE9ELNS1_3repE0EEENS1_47radix_sort_onesweep_sort_config_static_selectorELNS0_4arch9wavefront6targetE0EEEvSG_.num_named_barrier, 0
	.set _ZN7rocprim17ROCPRIM_400000_NS6detail17trampoline_kernelINS0_14default_configENS1_35radix_sort_onesweep_config_selectorIdNS0_10empty_typeEEEZZNS1_29radix_sort_onesweep_iterationIS3_Lb0EPKdPdPS5_SB_mNS0_19identity_decomposerENS1_16block_id_wrapperIjLb0EEEEE10hipError_tT1_PNSt15iterator_traitsISG_E10value_typeET2_T3_PNSH_ISM_E10value_typeET4_T5_PSR_SS_PNS1_23onesweep_lookback_stateEbbT6_jjT7_P12ihipStream_tbENKUlT_T0_SG_SL_E_clIS9_SA_SB_SB_EEDaSZ_S10_SG_SL_EUlSZ_E_NS1_11comp_targetILNS1_3genE5ELNS1_11target_archE942ELNS1_3gpuE9ELNS1_3repE0EEENS1_47radix_sort_onesweep_sort_config_static_selectorELNS0_4arch9wavefront6targetE0EEEvSG_.private_seg_size, 0
	.set _ZN7rocprim17ROCPRIM_400000_NS6detail17trampoline_kernelINS0_14default_configENS1_35radix_sort_onesweep_config_selectorIdNS0_10empty_typeEEEZZNS1_29radix_sort_onesweep_iterationIS3_Lb0EPKdPdPS5_SB_mNS0_19identity_decomposerENS1_16block_id_wrapperIjLb0EEEEE10hipError_tT1_PNSt15iterator_traitsISG_E10value_typeET2_T3_PNSH_ISM_E10value_typeET4_T5_PSR_SS_PNS1_23onesweep_lookback_stateEbbT6_jjT7_P12ihipStream_tbENKUlT_T0_SG_SL_E_clIS9_SA_SB_SB_EEDaSZ_S10_SG_SL_EUlSZ_E_NS1_11comp_targetILNS1_3genE5ELNS1_11target_archE942ELNS1_3gpuE9ELNS1_3repE0EEENS1_47radix_sort_onesweep_sort_config_static_selectorELNS0_4arch9wavefront6targetE0EEEvSG_.uses_vcc, 0
	.set _ZN7rocprim17ROCPRIM_400000_NS6detail17trampoline_kernelINS0_14default_configENS1_35radix_sort_onesweep_config_selectorIdNS0_10empty_typeEEEZZNS1_29radix_sort_onesweep_iterationIS3_Lb0EPKdPdPS5_SB_mNS0_19identity_decomposerENS1_16block_id_wrapperIjLb0EEEEE10hipError_tT1_PNSt15iterator_traitsISG_E10value_typeET2_T3_PNSH_ISM_E10value_typeET4_T5_PSR_SS_PNS1_23onesweep_lookback_stateEbbT6_jjT7_P12ihipStream_tbENKUlT_T0_SG_SL_E_clIS9_SA_SB_SB_EEDaSZ_S10_SG_SL_EUlSZ_E_NS1_11comp_targetILNS1_3genE5ELNS1_11target_archE942ELNS1_3gpuE9ELNS1_3repE0EEENS1_47radix_sort_onesweep_sort_config_static_selectorELNS0_4arch9wavefront6targetE0EEEvSG_.uses_flat_scratch, 0
	.set _ZN7rocprim17ROCPRIM_400000_NS6detail17trampoline_kernelINS0_14default_configENS1_35radix_sort_onesweep_config_selectorIdNS0_10empty_typeEEEZZNS1_29radix_sort_onesweep_iterationIS3_Lb0EPKdPdPS5_SB_mNS0_19identity_decomposerENS1_16block_id_wrapperIjLb0EEEEE10hipError_tT1_PNSt15iterator_traitsISG_E10value_typeET2_T3_PNSH_ISM_E10value_typeET4_T5_PSR_SS_PNS1_23onesweep_lookback_stateEbbT6_jjT7_P12ihipStream_tbENKUlT_T0_SG_SL_E_clIS9_SA_SB_SB_EEDaSZ_S10_SG_SL_EUlSZ_E_NS1_11comp_targetILNS1_3genE5ELNS1_11target_archE942ELNS1_3gpuE9ELNS1_3repE0EEENS1_47radix_sort_onesweep_sort_config_static_selectorELNS0_4arch9wavefront6targetE0EEEvSG_.has_dyn_sized_stack, 0
	.set _ZN7rocprim17ROCPRIM_400000_NS6detail17trampoline_kernelINS0_14default_configENS1_35radix_sort_onesweep_config_selectorIdNS0_10empty_typeEEEZZNS1_29radix_sort_onesweep_iterationIS3_Lb0EPKdPdPS5_SB_mNS0_19identity_decomposerENS1_16block_id_wrapperIjLb0EEEEE10hipError_tT1_PNSt15iterator_traitsISG_E10value_typeET2_T3_PNSH_ISM_E10value_typeET4_T5_PSR_SS_PNS1_23onesweep_lookback_stateEbbT6_jjT7_P12ihipStream_tbENKUlT_T0_SG_SL_E_clIS9_SA_SB_SB_EEDaSZ_S10_SG_SL_EUlSZ_E_NS1_11comp_targetILNS1_3genE5ELNS1_11target_archE942ELNS1_3gpuE9ELNS1_3repE0EEENS1_47radix_sort_onesweep_sort_config_static_selectorELNS0_4arch9wavefront6targetE0EEEvSG_.has_recursion, 0
	.set _ZN7rocprim17ROCPRIM_400000_NS6detail17trampoline_kernelINS0_14default_configENS1_35radix_sort_onesweep_config_selectorIdNS0_10empty_typeEEEZZNS1_29radix_sort_onesweep_iterationIS3_Lb0EPKdPdPS5_SB_mNS0_19identity_decomposerENS1_16block_id_wrapperIjLb0EEEEE10hipError_tT1_PNSt15iterator_traitsISG_E10value_typeET2_T3_PNSH_ISM_E10value_typeET4_T5_PSR_SS_PNS1_23onesweep_lookback_stateEbbT6_jjT7_P12ihipStream_tbENKUlT_T0_SG_SL_E_clIS9_SA_SB_SB_EEDaSZ_S10_SG_SL_EUlSZ_E_NS1_11comp_targetILNS1_3genE5ELNS1_11target_archE942ELNS1_3gpuE9ELNS1_3repE0EEENS1_47radix_sort_onesweep_sort_config_static_selectorELNS0_4arch9wavefront6targetE0EEEvSG_.has_indirect_call, 0
	.section	.AMDGPU.csdata,"",@progbits
; Kernel info:
; codeLenInByte = 0
; TotalNumSgprs: 0
; NumVgprs: 0
; ScratchSize: 0
; MemoryBound: 0
; FloatMode: 240
; IeeeMode: 1
; LDSByteSize: 0 bytes/workgroup (compile time only)
; SGPRBlocks: 0
; VGPRBlocks: 0
; NumSGPRsForWavesPerEU: 1
; NumVGPRsForWavesPerEU: 1
; NamedBarCnt: 0
; Occupancy: 16
; WaveLimiterHint : 0
; COMPUTE_PGM_RSRC2:SCRATCH_EN: 0
; COMPUTE_PGM_RSRC2:USER_SGPR: 2
; COMPUTE_PGM_RSRC2:TRAP_HANDLER: 0
; COMPUTE_PGM_RSRC2:TGID_X_EN: 1
; COMPUTE_PGM_RSRC2:TGID_Y_EN: 0
; COMPUTE_PGM_RSRC2:TGID_Z_EN: 0
; COMPUTE_PGM_RSRC2:TIDIG_COMP_CNT: 0
	.section	.text._ZN7rocprim17ROCPRIM_400000_NS6detail17trampoline_kernelINS0_14default_configENS1_35radix_sort_onesweep_config_selectorIdNS0_10empty_typeEEEZZNS1_29radix_sort_onesweep_iterationIS3_Lb0EPKdPdPS5_SB_mNS0_19identity_decomposerENS1_16block_id_wrapperIjLb0EEEEE10hipError_tT1_PNSt15iterator_traitsISG_E10value_typeET2_T3_PNSH_ISM_E10value_typeET4_T5_PSR_SS_PNS1_23onesweep_lookback_stateEbbT6_jjT7_P12ihipStream_tbENKUlT_T0_SG_SL_E_clIS9_SA_SB_SB_EEDaSZ_S10_SG_SL_EUlSZ_E_NS1_11comp_targetILNS1_3genE2ELNS1_11target_archE906ELNS1_3gpuE6ELNS1_3repE0EEENS1_47radix_sort_onesweep_sort_config_static_selectorELNS0_4arch9wavefront6targetE0EEEvSG_,"axG",@progbits,_ZN7rocprim17ROCPRIM_400000_NS6detail17trampoline_kernelINS0_14default_configENS1_35radix_sort_onesweep_config_selectorIdNS0_10empty_typeEEEZZNS1_29radix_sort_onesweep_iterationIS3_Lb0EPKdPdPS5_SB_mNS0_19identity_decomposerENS1_16block_id_wrapperIjLb0EEEEE10hipError_tT1_PNSt15iterator_traitsISG_E10value_typeET2_T3_PNSH_ISM_E10value_typeET4_T5_PSR_SS_PNS1_23onesweep_lookback_stateEbbT6_jjT7_P12ihipStream_tbENKUlT_T0_SG_SL_E_clIS9_SA_SB_SB_EEDaSZ_S10_SG_SL_EUlSZ_E_NS1_11comp_targetILNS1_3genE2ELNS1_11target_archE906ELNS1_3gpuE6ELNS1_3repE0EEENS1_47radix_sort_onesweep_sort_config_static_selectorELNS0_4arch9wavefront6targetE0EEEvSG_,comdat
	.protected	_ZN7rocprim17ROCPRIM_400000_NS6detail17trampoline_kernelINS0_14default_configENS1_35radix_sort_onesweep_config_selectorIdNS0_10empty_typeEEEZZNS1_29radix_sort_onesweep_iterationIS3_Lb0EPKdPdPS5_SB_mNS0_19identity_decomposerENS1_16block_id_wrapperIjLb0EEEEE10hipError_tT1_PNSt15iterator_traitsISG_E10value_typeET2_T3_PNSH_ISM_E10value_typeET4_T5_PSR_SS_PNS1_23onesweep_lookback_stateEbbT6_jjT7_P12ihipStream_tbENKUlT_T0_SG_SL_E_clIS9_SA_SB_SB_EEDaSZ_S10_SG_SL_EUlSZ_E_NS1_11comp_targetILNS1_3genE2ELNS1_11target_archE906ELNS1_3gpuE6ELNS1_3repE0EEENS1_47radix_sort_onesweep_sort_config_static_selectorELNS0_4arch9wavefront6targetE0EEEvSG_ ; -- Begin function _ZN7rocprim17ROCPRIM_400000_NS6detail17trampoline_kernelINS0_14default_configENS1_35radix_sort_onesweep_config_selectorIdNS0_10empty_typeEEEZZNS1_29radix_sort_onesweep_iterationIS3_Lb0EPKdPdPS5_SB_mNS0_19identity_decomposerENS1_16block_id_wrapperIjLb0EEEEE10hipError_tT1_PNSt15iterator_traitsISG_E10value_typeET2_T3_PNSH_ISM_E10value_typeET4_T5_PSR_SS_PNS1_23onesweep_lookback_stateEbbT6_jjT7_P12ihipStream_tbENKUlT_T0_SG_SL_E_clIS9_SA_SB_SB_EEDaSZ_S10_SG_SL_EUlSZ_E_NS1_11comp_targetILNS1_3genE2ELNS1_11target_archE906ELNS1_3gpuE6ELNS1_3repE0EEENS1_47radix_sort_onesweep_sort_config_static_selectorELNS0_4arch9wavefront6targetE0EEEvSG_
	.globl	_ZN7rocprim17ROCPRIM_400000_NS6detail17trampoline_kernelINS0_14default_configENS1_35radix_sort_onesweep_config_selectorIdNS0_10empty_typeEEEZZNS1_29radix_sort_onesweep_iterationIS3_Lb0EPKdPdPS5_SB_mNS0_19identity_decomposerENS1_16block_id_wrapperIjLb0EEEEE10hipError_tT1_PNSt15iterator_traitsISG_E10value_typeET2_T3_PNSH_ISM_E10value_typeET4_T5_PSR_SS_PNS1_23onesweep_lookback_stateEbbT6_jjT7_P12ihipStream_tbENKUlT_T0_SG_SL_E_clIS9_SA_SB_SB_EEDaSZ_S10_SG_SL_EUlSZ_E_NS1_11comp_targetILNS1_3genE2ELNS1_11target_archE906ELNS1_3gpuE6ELNS1_3repE0EEENS1_47radix_sort_onesweep_sort_config_static_selectorELNS0_4arch9wavefront6targetE0EEEvSG_
	.p2align	8
	.type	_ZN7rocprim17ROCPRIM_400000_NS6detail17trampoline_kernelINS0_14default_configENS1_35radix_sort_onesweep_config_selectorIdNS0_10empty_typeEEEZZNS1_29radix_sort_onesweep_iterationIS3_Lb0EPKdPdPS5_SB_mNS0_19identity_decomposerENS1_16block_id_wrapperIjLb0EEEEE10hipError_tT1_PNSt15iterator_traitsISG_E10value_typeET2_T3_PNSH_ISM_E10value_typeET4_T5_PSR_SS_PNS1_23onesweep_lookback_stateEbbT6_jjT7_P12ihipStream_tbENKUlT_T0_SG_SL_E_clIS9_SA_SB_SB_EEDaSZ_S10_SG_SL_EUlSZ_E_NS1_11comp_targetILNS1_3genE2ELNS1_11target_archE906ELNS1_3gpuE6ELNS1_3repE0EEENS1_47radix_sort_onesweep_sort_config_static_selectorELNS0_4arch9wavefront6targetE0EEEvSG_,@function
_ZN7rocprim17ROCPRIM_400000_NS6detail17trampoline_kernelINS0_14default_configENS1_35radix_sort_onesweep_config_selectorIdNS0_10empty_typeEEEZZNS1_29radix_sort_onesweep_iterationIS3_Lb0EPKdPdPS5_SB_mNS0_19identity_decomposerENS1_16block_id_wrapperIjLb0EEEEE10hipError_tT1_PNSt15iterator_traitsISG_E10value_typeET2_T3_PNSH_ISM_E10value_typeET4_T5_PSR_SS_PNS1_23onesweep_lookback_stateEbbT6_jjT7_P12ihipStream_tbENKUlT_T0_SG_SL_E_clIS9_SA_SB_SB_EEDaSZ_S10_SG_SL_EUlSZ_E_NS1_11comp_targetILNS1_3genE2ELNS1_11target_archE906ELNS1_3gpuE6ELNS1_3repE0EEENS1_47radix_sort_onesweep_sort_config_static_selectorELNS0_4arch9wavefront6targetE0EEEvSG_: ; @_ZN7rocprim17ROCPRIM_400000_NS6detail17trampoline_kernelINS0_14default_configENS1_35radix_sort_onesweep_config_selectorIdNS0_10empty_typeEEEZZNS1_29radix_sort_onesweep_iterationIS3_Lb0EPKdPdPS5_SB_mNS0_19identity_decomposerENS1_16block_id_wrapperIjLb0EEEEE10hipError_tT1_PNSt15iterator_traitsISG_E10value_typeET2_T3_PNSH_ISM_E10value_typeET4_T5_PSR_SS_PNS1_23onesweep_lookback_stateEbbT6_jjT7_P12ihipStream_tbENKUlT_T0_SG_SL_E_clIS9_SA_SB_SB_EEDaSZ_S10_SG_SL_EUlSZ_E_NS1_11comp_targetILNS1_3genE2ELNS1_11target_archE906ELNS1_3gpuE6ELNS1_3repE0EEENS1_47radix_sort_onesweep_sort_config_static_selectorELNS0_4arch9wavefront6targetE0EEEvSG_
; %bb.0:
	.section	.rodata,"a",@progbits
	.p2align	6, 0x0
	.amdhsa_kernel _ZN7rocprim17ROCPRIM_400000_NS6detail17trampoline_kernelINS0_14default_configENS1_35radix_sort_onesweep_config_selectorIdNS0_10empty_typeEEEZZNS1_29radix_sort_onesweep_iterationIS3_Lb0EPKdPdPS5_SB_mNS0_19identity_decomposerENS1_16block_id_wrapperIjLb0EEEEE10hipError_tT1_PNSt15iterator_traitsISG_E10value_typeET2_T3_PNSH_ISM_E10value_typeET4_T5_PSR_SS_PNS1_23onesweep_lookback_stateEbbT6_jjT7_P12ihipStream_tbENKUlT_T0_SG_SL_E_clIS9_SA_SB_SB_EEDaSZ_S10_SG_SL_EUlSZ_E_NS1_11comp_targetILNS1_3genE2ELNS1_11target_archE906ELNS1_3gpuE6ELNS1_3repE0EEENS1_47radix_sort_onesweep_sort_config_static_selectorELNS0_4arch9wavefront6targetE0EEEvSG_
		.amdhsa_group_segment_fixed_size 0
		.amdhsa_private_segment_fixed_size 0
		.amdhsa_kernarg_size 88
		.amdhsa_user_sgpr_count 2
		.amdhsa_user_sgpr_dispatch_ptr 0
		.amdhsa_user_sgpr_queue_ptr 0
		.amdhsa_user_sgpr_kernarg_segment_ptr 1
		.amdhsa_user_sgpr_dispatch_id 0
		.amdhsa_user_sgpr_kernarg_preload_length 0
		.amdhsa_user_sgpr_kernarg_preload_offset 0
		.amdhsa_user_sgpr_private_segment_size 0
		.amdhsa_wavefront_size32 1
		.amdhsa_uses_dynamic_stack 0
		.amdhsa_enable_private_segment 0
		.amdhsa_system_sgpr_workgroup_id_x 1
		.amdhsa_system_sgpr_workgroup_id_y 0
		.amdhsa_system_sgpr_workgroup_id_z 0
		.amdhsa_system_sgpr_workgroup_info 0
		.amdhsa_system_vgpr_workitem_id 0
		.amdhsa_next_free_vgpr 1
		.amdhsa_next_free_sgpr 1
		.amdhsa_named_barrier_count 0
		.amdhsa_reserve_vcc 0
		.amdhsa_float_round_mode_32 0
		.amdhsa_float_round_mode_16_64 0
		.amdhsa_float_denorm_mode_32 3
		.amdhsa_float_denorm_mode_16_64 3
		.amdhsa_fp16_overflow 0
		.amdhsa_memory_ordered 1
		.amdhsa_forward_progress 1
		.amdhsa_inst_pref_size 0
		.amdhsa_round_robin_scheduling 0
		.amdhsa_exception_fp_ieee_invalid_op 0
		.amdhsa_exception_fp_denorm_src 0
		.amdhsa_exception_fp_ieee_div_zero 0
		.amdhsa_exception_fp_ieee_overflow 0
		.amdhsa_exception_fp_ieee_underflow 0
		.amdhsa_exception_fp_ieee_inexact 0
		.amdhsa_exception_int_div_zero 0
	.end_amdhsa_kernel
	.section	.text._ZN7rocprim17ROCPRIM_400000_NS6detail17trampoline_kernelINS0_14default_configENS1_35radix_sort_onesweep_config_selectorIdNS0_10empty_typeEEEZZNS1_29radix_sort_onesweep_iterationIS3_Lb0EPKdPdPS5_SB_mNS0_19identity_decomposerENS1_16block_id_wrapperIjLb0EEEEE10hipError_tT1_PNSt15iterator_traitsISG_E10value_typeET2_T3_PNSH_ISM_E10value_typeET4_T5_PSR_SS_PNS1_23onesweep_lookback_stateEbbT6_jjT7_P12ihipStream_tbENKUlT_T0_SG_SL_E_clIS9_SA_SB_SB_EEDaSZ_S10_SG_SL_EUlSZ_E_NS1_11comp_targetILNS1_3genE2ELNS1_11target_archE906ELNS1_3gpuE6ELNS1_3repE0EEENS1_47radix_sort_onesweep_sort_config_static_selectorELNS0_4arch9wavefront6targetE0EEEvSG_,"axG",@progbits,_ZN7rocprim17ROCPRIM_400000_NS6detail17trampoline_kernelINS0_14default_configENS1_35radix_sort_onesweep_config_selectorIdNS0_10empty_typeEEEZZNS1_29radix_sort_onesweep_iterationIS3_Lb0EPKdPdPS5_SB_mNS0_19identity_decomposerENS1_16block_id_wrapperIjLb0EEEEE10hipError_tT1_PNSt15iterator_traitsISG_E10value_typeET2_T3_PNSH_ISM_E10value_typeET4_T5_PSR_SS_PNS1_23onesweep_lookback_stateEbbT6_jjT7_P12ihipStream_tbENKUlT_T0_SG_SL_E_clIS9_SA_SB_SB_EEDaSZ_S10_SG_SL_EUlSZ_E_NS1_11comp_targetILNS1_3genE2ELNS1_11target_archE906ELNS1_3gpuE6ELNS1_3repE0EEENS1_47radix_sort_onesweep_sort_config_static_selectorELNS0_4arch9wavefront6targetE0EEEvSG_,comdat
.Lfunc_end1626:
	.size	_ZN7rocprim17ROCPRIM_400000_NS6detail17trampoline_kernelINS0_14default_configENS1_35radix_sort_onesweep_config_selectorIdNS0_10empty_typeEEEZZNS1_29radix_sort_onesweep_iterationIS3_Lb0EPKdPdPS5_SB_mNS0_19identity_decomposerENS1_16block_id_wrapperIjLb0EEEEE10hipError_tT1_PNSt15iterator_traitsISG_E10value_typeET2_T3_PNSH_ISM_E10value_typeET4_T5_PSR_SS_PNS1_23onesweep_lookback_stateEbbT6_jjT7_P12ihipStream_tbENKUlT_T0_SG_SL_E_clIS9_SA_SB_SB_EEDaSZ_S10_SG_SL_EUlSZ_E_NS1_11comp_targetILNS1_3genE2ELNS1_11target_archE906ELNS1_3gpuE6ELNS1_3repE0EEENS1_47radix_sort_onesweep_sort_config_static_selectorELNS0_4arch9wavefront6targetE0EEEvSG_, .Lfunc_end1626-_ZN7rocprim17ROCPRIM_400000_NS6detail17trampoline_kernelINS0_14default_configENS1_35radix_sort_onesweep_config_selectorIdNS0_10empty_typeEEEZZNS1_29radix_sort_onesweep_iterationIS3_Lb0EPKdPdPS5_SB_mNS0_19identity_decomposerENS1_16block_id_wrapperIjLb0EEEEE10hipError_tT1_PNSt15iterator_traitsISG_E10value_typeET2_T3_PNSH_ISM_E10value_typeET4_T5_PSR_SS_PNS1_23onesweep_lookback_stateEbbT6_jjT7_P12ihipStream_tbENKUlT_T0_SG_SL_E_clIS9_SA_SB_SB_EEDaSZ_S10_SG_SL_EUlSZ_E_NS1_11comp_targetILNS1_3genE2ELNS1_11target_archE906ELNS1_3gpuE6ELNS1_3repE0EEENS1_47radix_sort_onesweep_sort_config_static_selectorELNS0_4arch9wavefront6targetE0EEEvSG_
                                        ; -- End function
	.set _ZN7rocprim17ROCPRIM_400000_NS6detail17trampoline_kernelINS0_14default_configENS1_35radix_sort_onesweep_config_selectorIdNS0_10empty_typeEEEZZNS1_29radix_sort_onesweep_iterationIS3_Lb0EPKdPdPS5_SB_mNS0_19identity_decomposerENS1_16block_id_wrapperIjLb0EEEEE10hipError_tT1_PNSt15iterator_traitsISG_E10value_typeET2_T3_PNSH_ISM_E10value_typeET4_T5_PSR_SS_PNS1_23onesweep_lookback_stateEbbT6_jjT7_P12ihipStream_tbENKUlT_T0_SG_SL_E_clIS9_SA_SB_SB_EEDaSZ_S10_SG_SL_EUlSZ_E_NS1_11comp_targetILNS1_3genE2ELNS1_11target_archE906ELNS1_3gpuE6ELNS1_3repE0EEENS1_47radix_sort_onesweep_sort_config_static_selectorELNS0_4arch9wavefront6targetE0EEEvSG_.num_vgpr, 0
	.set _ZN7rocprim17ROCPRIM_400000_NS6detail17trampoline_kernelINS0_14default_configENS1_35radix_sort_onesweep_config_selectorIdNS0_10empty_typeEEEZZNS1_29radix_sort_onesweep_iterationIS3_Lb0EPKdPdPS5_SB_mNS0_19identity_decomposerENS1_16block_id_wrapperIjLb0EEEEE10hipError_tT1_PNSt15iterator_traitsISG_E10value_typeET2_T3_PNSH_ISM_E10value_typeET4_T5_PSR_SS_PNS1_23onesweep_lookback_stateEbbT6_jjT7_P12ihipStream_tbENKUlT_T0_SG_SL_E_clIS9_SA_SB_SB_EEDaSZ_S10_SG_SL_EUlSZ_E_NS1_11comp_targetILNS1_3genE2ELNS1_11target_archE906ELNS1_3gpuE6ELNS1_3repE0EEENS1_47radix_sort_onesweep_sort_config_static_selectorELNS0_4arch9wavefront6targetE0EEEvSG_.num_agpr, 0
	.set _ZN7rocprim17ROCPRIM_400000_NS6detail17trampoline_kernelINS0_14default_configENS1_35radix_sort_onesweep_config_selectorIdNS0_10empty_typeEEEZZNS1_29radix_sort_onesweep_iterationIS3_Lb0EPKdPdPS5_SB_mNS0_19identity_decomposerENS1_16block_id_wrapperIjLb0EEEEE10hipError_tT1_PNSt15iterator_traitsISG_E10value_typeET2_T3_PNSH_ISM_E10value_typeET4_T5_PSR_SS_PNS1_23onesweep_lookback_stateEbbT6_jjT7_P12ihipStream_tbENKUlT_T0_SG_SL_E_clIS9_SA_SB_SB_EEDaSZ_S10_SG_SL_EUlSZ_E_NS1_11comp_targetILNS1_3genE2ELNS1_11target_archE906ELNS1_3gpuE6ELNS1_3repE0EEENS1_47radix_sort_onesweep_sort_config_static_selectorELNS0_4arch9wavefront6targetE0EEEvSG_.numbered_sgpr, 0
	.set _ZN7rocprim17ROCPRIM_400000_NS6detail17trampoline_kernelINS0_14default_configENS1_35radix_sort_onesweep_config_selectorIdNS0_10empty_typeEEEZZNS1_29radix_sort_onesweep_iterationIS3_Lb0EPKdPdPS5_SB_mNS0_19identity_decomposerENS1_16block_id_wrapperIjLb0EEEEE10hipError_tT1_PNSt15iterator_traitsISG_E10value_typeET2_T3_PNSH_ISM_E10value_typeET4_T5_PSR_SS_PNS1_23onesweep_lookback_stateEbbT6_jjT7_P12ihipStream_tbENKUlT_T0_SG_SL_E_clIS9_SA_SB_SB_EEDaSZ_S10_SG_SL_EUlSZ_E_NS1_11comp_targetILNS1_3genE2ELNS1_11target_archE906ELNS1_3gpuE6ELNS1_3repE0EEENS1_47radix_sort_onesweep_sort_config_static_selectorELNS0_4arch9wavefront6targetE0EEEvSG_.num_named_barrier, 0
	.set _ZN7rocprim17ROCPRIM_400000_NS6detail17trampoline_kernelINS0_14default_configENS1_35radix_sort_onesweep_config_selectorIdNS0_10empty_typeEEEZZNS1_29radix_sort_onesweep_iterationIS3_Lb0EPKdPdPS5_SB_mNS0_19identity_decomposerENS1_16block_id_wrapperIjLb0EEEEE10hipError_tT1_PNSt15iterator_traitsISG_E10value_typeET2_T3_PNSH_ISM_E10value_typeET4_T5_PSR_SS_PNS1_23onesweep_lookback_stateEbbT6_jjT7_P12ihipStream_tbENKUlT_T0_SG_SL_E_clIS9_SA_SB_SB_EEDaSZ_S10_SG_SL_EUlSZ_E_NS1_11comp_targetILNS1_3genE2ELNS1_11target_archE906ELNS1_3gpuE6ELNS1_3repE0EEENS1_47radix_sort_onesweep_sort_config_static_selectorELNS0_4arch9wavefront6targetE0EEEvSG_.private_seg_size, 0
	.set _ZN7rocprim17ROCPRIM_400000_NS6detail17trampoline_kernelINS0_14default_configENS1_35radix_sort_onesweep_config_selectorIdNS0_10empty_typeEEEZZNS1_29radix_sort_onesweep_iterationIS3_Lb0EPKdPdPS5_SB_mNS0_19identity_decomposerENS1_16block_id_wrapperIjLb0EEEEE10hipError_tT1_PNSt15iterator_traitsISG_E10value_typeET2_T3_PNSH_ISM_E10value_typeET4_T5_PSR_SS_PNS1_23onesweep_lookback_stateEbbT6_jjT7_P12ihipStream_tbENKUlT_T0_SG_SL_E_clIS9_SA_SB_SB_EEDaSZ_S10_SG_SL_EUlSZ_E_NS1_11comp_targetILNS1_3genE2ELNS1_11target_archE906ELNS1_3gpuE6ELNS1_3repE0EEENS1_47radix_sort_onesweep_sort_config_static_selectorELNS0_4arch9wavefront6targetE0EEEvSG_.uses_vcc, 0
	.set _ZN7rocprim17ROCPRIM_400000_NS6detail17trampoline_kernelINS0_14default_configENS1_35radix_sort_onesweep_config_selectorIdNS0_10empty_typeEEEZZNS1_29radix_sort_onesweep_iterationIS3_Lb0EPKdPdPS5_SB_mNS0_19identity_decomposerENS1_16block_id_wrapperIjLb0EEEEE10hipError_tT1_PNSt15iterator_traitsISG_E10value_typeET2_T3_PNSH_ISM_E10value_typeET4_T5_PSR_SS_PNS1_23onesweep_lookback_stateEbbT6_jjT7_P12ihipStream_tbENKUlT_T0_SG_SL_E_clIS9_SA_SB_SB_EEDaSZ_S10_SG_SL_EUlSZ_E_NS1_11comp_targetILNS1_3genE2ELNS1_11target_archE906ELNS1_3gpuE6ELNS1_3repE0EEENS1_47radix_sort_onesweep_sort_config_static_selectorELNS0_4arch9wavefront6targetE0EEEvSG_.uses_flat_scratch, 0
	.set _ZN7rocprim17ROCPRIM_400000_NS6detail17trampoline_kernelINS0_14default_configENS1_35radix_sort_onesweep_config_selectorIdNS0_10empty_typeEEEZZNS1_29radix_sort_onesweep_iterationIS3_Lb0EPKdPdPS5_SB_mNS0_19identity_decomposerENS1_16block_id_wrapperIjLb0EEEEE10hipError_tT1_PNSt15iterator_traitsISG_E10value_typeET2_T3_PNSH_ISM_E10value_typeET4_T5_PSR_SS_PNS1_23onesweep_lookback_stateEbbT6_jjT7_P12ihipStream_tbENKUlT_T0_SG_SL_E_clIS9_SA_SB_SB_EEDaSZ_S10_SG_SL_EUlSZ_E_NS1_11comp_targetILNS1_3genE2ELNS1_11target_archE906ELNS1_3gpuE6ELNS1_3repE0EEENS1_47radix_sort_onesweep_sort_config_static_selectorELNS0_4arch9wavefront6targetE0EEEvSG_.has_dyn_sized_stack, 0
	.set _ZN7rocprim17ROCPRIM_400000_NS6detail17trampoline_kernelINS0_14default_configENS1_35radix_sort_onesweep_config_selectorIdNS0_10empty_typeEEEZZNS1_29radix_sort_onesweep_iterationIS3_Lb0EPKdPdPS5_SB_mNS0_19identity_decomposerENS1_16block_id_wrapperIjLb0EEEEE10hipError_tT1_PNSt15iterator_traitsISG_E10value_typeET2_T3_PNSH_ISM_E10value_typeET4_T5_PSR_SS_PNS1_23onesweep_lookback_stateEbbT6_jjT7_P12ihipStream_tbENKUlT_T0_SG_SL_E_clIS9_SA_SB_SB_EEDaSZ_S10_SG_SL_EUlSZ_E_NS1_11comp_targetILNS1_3genE2ELNS1_11target_archE906ELNS1_3gpuE6ELNS1_3repE0EEENS1_47radix_sort_onesweep_sort_config_static_selectorELNS0_4arch9wavefront6targetE0EEEvSG_.has_recursion, 0
	.set _ZN7rocprim17ROCPRIM_400000_NS6detail17trampoline_kernelINS0_14default_configENS1_35radix_sort_onesweep_config_selectorIdNS0_10empty_typeEEEZZNS1_29radix_sort_onesweep_iterationIS3_Lb0EPKdPdPS5_SB_mNS0_19identity_decomposerENS1_16block_id_wrapperIjLb0EEEEE10hipError_tT1_PNSt15iterator_traitsISG_E10value_typeET2_T3_PNSH_ISM_E10value_typeET4_T5_PSR_SS_PNS1_23onesweep_lookback_stateEbbT6_jjT7_P12ihipStream_tbENKUlT_T0_SG_SL_E_clIS9_SA_SB_SB_EEDaSZ_S10_SG_SL_EUlSZ_E_NS1_11comp_targetILNS1_3genE2ELNS1_11target_archE906ELNS1_3gpuE6ELNS1_3repE0EEENS1_47radix_sort_onesweep_sort_config_static_selectorELNS0_4arch9wavefront6targetE0EEEvSG_.has_indirect_call, 0
	.section	.AMDGPU.csdata,"",@progbits
; Kernel info:
; codeLenInByte = 0
; TotalNumSgprs: 0
; NumVgprs: 0
; ScratchSize: 0
; MemoryBound: 0
; FloatMode: 240
; IeeeMode: 1
; LDSByteSize: 0 bytes/workgroup (compile time only)
; SGPRBlocks: 0
; VGPRBlocks: 0
; NumSGPRsForWavesPerEU: 1
; NumVGPRsForWavesPerEU: 1
; NamedBarCnt: 0
; Occupancy: 16
; WaveLimiterHint : 0
; COMPUTE_PGM_RSRC2:SCRATCH_EN: 0
; COMPUTE_PGM_RSRC2:USER_SGPR: 2
; COMPUTE_PGM_RSRC2:TRAP_HANDLER: 0
; COMPUTE_PGM_RSRC2:TGID_X_EN: 1
; COMPUTE_PGM_RSRC2:TGID_Y_EN: 0
; COMPUTE_PGM_RSRC2:TGID_Z_EN: 0
; COMPUTE_PGM_RSRC2:TIDIG_COMP_CNT: 0
	.section	.text._ZN7rocprim17ROCPRIM_400000_NS6detail17trampoline_kernelINS0_14default_configENS1_35radix_sort_onesweep_config_selectorIdNS0_10empty_typeEEEZZNS1_29radix_sort_onesweep_iterationIS3_Lb0EPKdPdPS5_SB_mNS0_19identity_decomposerENS1_16block_id_wrapperIjLb0EEEEE10hipError_tT1_PNSt15iterator_traitsISG_E10value_typeET2_T3_PNSH_ISM_E10value_typeET4_T5_PSR_SS_PNS1_23onesweep_lookback_stateEbbT6_jjT7_P12ihipStream_tbENKUlT_T0_SG_SL_E_clIS9_SA_SB_SB_EEDaSZ_S10_SG_SL_EUlSZ_E_NS1_11comp_targetILNS1_3genE4ELNS1_11target_archE910ELNS1_3gpuE8ELNS1_3repE0EEENS1_47radix_sort_onesweep_sort_config_static_selectorELNS0_4arch9wavefront6targetE0EEEvSG_,"axG",@progbits,_ZN7rocprim17ROCPRIM_400000_NS6detail17trampoline_kernelINS0_14default_configENS1_35radix_sort_onesweep_config_selectorIdNS0_10empty_typeEEEZZNS1_29radix_sort_onesweep_iterationIS3_Lb0EPKdPdPS5_SB_mNS0_19identity_decomposerENS1_16block_id_wrapperIjLb0EEEEE10hipError_tT1_PNSt15iterator_traitsISG_E10value_typeET2_T3_PNSH_ISM_E10value_typeET4_T5_PSR_SS_PNS1_23onesweep_lookback_stateEbbT6_jjT7_P12ihipStream_tbENKUlT_T0_SG_SL_E_clIS9_SA_SB_SB_EEDaSZ_S10_SG_SL_EUlSZ_E_NS1_11comp_targetILNS1_3genE4ELNS1_11target_archE910ELNS1_3gpuE8ELNS1_3repE0EEENS1_47radix_sort_onesweep_sort_config_static_selectorELNS0_4arch9wavefront6targetE0EEEvSG_,comdat
	.protected	_ZN7rocprim17ROCPRIM_400000_NS6detail17trampoline_kernelINS0_14default_configENS1_35radix_sort_onesweep_config_selectorIdNS0_10empty_typeEEEZZNS1_29radix_sort_onesweep_iterationIS3_Lb0EPKdPdPS5_SB_mNS0_19identity_decomposerENS1_16block_id_wrapperIjLb0EEEEE10hipError_tT1_PNSt15iterator_traitsISG_E10value_typeET2_T3_PNSH_ISM_E10value_typeET4_T5_PSR_SS_PNS1_23onesweep_lookback_stateEbbT6_jjT7_P12ihipStream_tbENKUlT_T0_SG_SL_E_clIS9_SA_SB_SB_EEDaSZ_S10_SG_SL_EUlSZ_E_NS1_11comp_targetILNS1_3genE4ELNS1_11target_archE910ELNS1_3gpuE8ELNS1_3repE0EEENS1_47radix_sort_onesweep_sort_config_static_selectorELNS0_4arch9wavefront6targetE0EEEvSG_ ; -- Begin function _ZN7rocprim17ROCPRIM_400000_NS6detail17trampoline_kernelINS0_14default_configENS1_35radix_sort_onesweep_config_selectorIdNS0_10empty_typeEEEZZNS1_29radix_sort_onesweep_iterationIS3_Lb0EPKdPdPS5_SB_mNS0_19identity_decomposerENS1_16block_id_wrapperIjLb0EEEEE10hipError_tT1_PNSt15iterator_traitsISG_E10value_typeET2_T3_PNSH_ISM_E10value_typeET4_T5_PSR_SS_PNS1_23onesweep_lookback_stateEbbT6_jjT7_P12ihipStream_tbENKUlT_T0_SG_SL_E_clIS9_SA_SB_SB_EEDaSZ_S10_SG_SL_EUlSZ_E_NS1_11comp_targetILNS1_3genE4ELNS1_11target_archE910ELNS1_3gpuE8ELNS1_3repE0EEENS1_47radix_sort_onesweep_sort_config_static_selectorELNS0_4arch9wavefront6targetE0EEEvSG_
	.globl	_ZN7rocprim17ROCPRIM_400000_NS6detail17trampoline_kernelINS0_14default_configENS1_35radix_sort_onesweep_config_selectorIdNS0_10empty_typeEEEZZNS1_29radix_sort_onesweep_iterationIS3_Lb0EPKdPdPS5_SB_mNS0_19identity_decomposerENS1_16block_id_wrapperIjLb0EEEEE10hipError_tT1_PNSt15iterator_traitsISG_E10value_typeET2_T3_PNSH_ISM_E10value_typeET4_T5_PSR_SS_PNS1_23onesweep_lookback_stateEbbT6_jjT7_P12ihipStream_tbENKUlT_T0_SG_SL_E_clIS9_SA_SB_SB_EEDaSZ_S10_SG_SL_EUlSZ_E_NS1_11comp_targetILNS1_3genE4ELNS1_11target_archE910ELNS1_3gpuE8ELNS1_3repE0EEENS1_47radix_sort_onesweep_sort_config_static_selectorELNS0_4arch9wavefront6targetE0EEEvSG_
	.p2align	8
	.type	_ZN7rocprim17ROCPRIM_400000_NS6detail17trampoline_kernelINS0_14default_configENS1_35radix_sort_onesweep_config_selectorIdNS0_10empty_typeEEEZZNS1_29radix_sort_onesweep_iterationIS3_Lb0EPKdPdPS5_SB_mNS0_19identity_decomposerENS1_16block_id_wrapperIjLb0EEEEE10hipError_tT1_PNSt15iterator_traitsISG_E10value_typeET2_T3_PNSH_ISM_E10value_typeET4_T5_PSR_SS_PNS1_23onesweep_lookback_stateEbbT6_jjT7_P12ihipStream_tbENKUlT_T0_SG_SL_E_clIS9_SA_SB_SB_EEDaSZ_S10_SG_SL_EUlSZ_E_NS1_11comp_targetILNS1_3genE4ELNS1_11target_archE910ELNS1_3gpuE8ELNS1_3repE0EEENS1_47radix_sort_onesweep_sort_config_static_selectorELNS0_4arch9wavefront6targetE0EEEvSG_,@function
_ZN7rocprim17ROCPRIM_400000_NS6detail17trampoline_kernelINS0_14default_configENS1_35radix_sort_onesweep_config_selectorIdNS0_10empty_typeEEEZZNS1_29radix_sort_onesweep_iterationIS3_Lb0EPKdPdPS5_SB_mNS0_19identity_decomposerENS1_16block_id_wrapperIjLb0EEEEE10hipError_tT1_PNSt15iterator_traitsISG_E10value_typeET2_T3_PNSH_ISM_E10value_typeET4_T5_PSR_SS_PNS1_23onesweep_lookback_stateEbbT6_jjT7_P12ihipStream_tbENKUlT_T0_SG_SL_E_clIS9_SA_SB_SB_EEDaSZ_S10_SG_SL_EUlSZ_E_NS1_11comp_targetILNS1_3genE4ELNS1_11target_archE910ELNS1_3gpuE8ELNS1_3repE0EEENS1_47radix_sort_onesweep_sort_config_static_selectorELNS0_4arch9wavefront6targetE0EEEvSG_: ; @_ZN7rocprim17ROCPRIM_400000_NS6detail17trampoline_kernelINS0_14default_configENS1_35radix_sort_onesweep_config_selectorIdNS0_10empty_typeEEEZZNS1_29radix_sort_onesweep_iterationIS3_Lb0EPKdPdPS5_SB_mNS0_19identity_decomposerENS1_16block_id_wrapperIjLb0EEEEE10hipError_tT1_PNSt15iterator_traitsISG_E10value_typeET2_T3_PNSH_ISM_E10value_typeET4_T5_PSR_SS_PNS1_23onesweep_lookback_stateEbbT6_jjT7_P12ihipStream_tbENKUlT_T0_SG_SL_E_clIS9_SA_SB_SB_EEDaSZ_S10_SG_SL_EUlSZ_E_NS1_11comp_targetILNS1_3genE4ELNS1_11target_archE910ELNS1_3gpuE8ELNS1_3repE0EEENS1_47radix_sort_onesweep_sort_config_static_selectorELNS0_4arch9wavefront6targetE0EEEvSG_
; %bb.0:
	.section	.rodata,"a",@progbits
	.p2align	6, 0x0
	.amdhsa_kernel _ZN7rocprim17ROCPRIM_400000_NS6detail17trampoline_kernelINS0_14default_configENS1_35radix_sort_onesweep_config_selectorIdNS0_10empty_typeEEEZZNS1_29radix_sort_onesweep_iterationIS3_Lb0EPKdPdPS5_SB_mNS0_19identity_decomposerENS1_16block_id_wrapperIjLb0EEEEE10hipError_tT1_PNSt15iterator_traitsISG_E10value_typeET2_T3_PNSH_ISM_E10value_typeET4_T5_PSR_SS_PNS1_23onesweep_lookback_stateEbbT6_jjT7_P12ihipStream_tbENKUlT_T0_SG_SL_E_clIS9_SA_SB_SB_EEDaSZ_S10_SG_SL_EUlSZ_E_NS1_11comp_targetILNS1_3genE4ELNS1_11target_archE910ELNS1_3gpuE8ELNS1_3repE0EEENS1_47radix_sort_onesweep_sort_config_static_selectorELNS0_4arch9wavefront6targetE0EEEvSG_
		.amdhsa_group_segment_fixed_size 0
		.amdhsa_private_segment_fixed_size 0
		.amdhsa_kernarg_size 88
		.amdhsa_user_sgpr_count 2
		.amdhsa_user_sgpr_dispatch_ptr 0
		.amdhsa_user_sgpr_queue_ptr 0
		.amdhsa_user_sgpr_kernarg_segment_ptr 1
		.amdhsa_user_sgpr_dispatch_id 0
		.amdhsa_user_sgpr_kernarg_preload_length 0
		.amdhsa_user_sgpr_kernarg_preload_offset 0
		.amdhsa_user_sgpr_private_segment_size 0
		.amdhsa_wavefront_size32 1
		.amdhsa_uses_dynamic_stack 0
		.amdhsa_enable_private_segment 0
		.amdhsa_system_sgpr_workgroup_id_x 1
		.amdhsa_system_sgpr_workgroup_id_y 0
		.amdhsa_system_sgpr_workgroup_id_z 0
		.amdhsa_system_sgpr_workgroup_info 0
		.amdhsa_system_vgpr_workitem_id 0
		.amdhsa_next_free_vgpr 1
		.amdhsa_next_free_sgpr 1
		.amdhsa_named_barrier_count 0
		.amdhsa_reserve_vcc 0
		.amdhsa_float_round_mode_32 0
		.amdhsa_float_round_mode_16_64 0
		.amdhsa_float_denorm_mode_32 3
		.amdhsa_float_denorm_mode_16_64 3
		.amdhsa_fp16_overflow 0
		.amdhsa_memory_ordered 1
		.amdhsa_forward_progress 1
		.amdhsa_inst_pref_size 0
		.amdhsa_round_robin_scheduling 0
		.amdhsa_exception_fp_ieee_invalid_op 0
		.amdhsa_exception_fp_denorm_src 0
		.amdhsa_exception_fp_ieee_div_zero 0
		.amdhsa_exception_fp_ieee_overflow 0
		.amdhsa_exception_fp_ieee_underflow 0
		.amdhsa_exception_fp_ieee_inexact 0
		.amdhsa_exception_int_div_zero 0
	.end_amdhsa_kernel
	.section	.text._ZN7rocprim17ROCPRIM_400000_NS6detail17trampoline_kernelINS0_14default_configENS1_35radix_sort_onesweep_config_selectorIdNS0_10empty_typeEEEZZNS1_29radix_sort_onesweep_iterationIS3_Lb0EPKdPdPS5_SB_mNS0_19identity_decomposerENS1_16block_id_wrapperIjLb0EEEEE10hipError_tT1_PNSt15iterator_traitsISG_E10value_typeET2_T3_PNSH_ISM_E10value_typeET4_T5_PSR_SS_PNS1_23onesweep_lookback_stateEbbT6_jjT7_P12ihipStream_tbENKUlT_T0_SG_SL_E_clIS9_SA_SB_SB_EEDaSZ_S10_SG_SL_EUlSZ_E_NS1_11comp_targetILNS1_3genE4ELNS1_11target_archE910ELNS1_3gpuE8ELNS1_3repE0EEENS1_47radix_sort_onesweep_sort_config_static_selectorELNS0_4arch9wavefront6targetE0EEEvSG_,"axG",@progbits,_ZN7rocprim17ROCPRIM_400000_NS6detail17trampoline_kernelINS0_14default_configENS1_35radix_sort_onesweep_config_selectorIdNS0_10empty_typeEEEZZNS1_29radix_sort_onesweep_iterationIS3_Lb0EPKdPdPS5_SB_mNS0_19identity_decomposerENS1_16block_id_wrapperIjLb0EEEEE10hipError_tT1_PNSt15iterator_traitsISG_E10value_typeET2_T3_PNSH_ISM_E10value_typeET4_T5_PSR_SS_PNS1_23onesweep_lookback_stateEbbT6_jjT7_P12ihipStream_tbENKUlT_T0_SG_SL_E_clIS9_SA_SB_SB_EEDaSZ_S10_SG_SL_EUlSZ_E_NS1_11comp_targetILNS1_3genE4ELNS1_11target_archE910ELNS1_3gpuE8ELNS1_3repE0EEENS1_47radix_sort_onesweep_sort_config_static_selectorELNS0_4arch9wavefront6targetE0EEEvSG_,comdat
.Lfunc_end1627:
	.size	_ZN7rocprim17ROCPRIM_400000_NS6detail17trampoline_kernelINS0_14default_configENS1_35radix_sort_onesweep_config_selectorIdNS0_10empty_typeEEEZZNS1_29radix_sort_onesweep_iterationIS3_Lb0EPKdPdPS5_SB_mNS0_19identity_decomposerENS1_16block_id_wrapperIjLb0EEEEE10hipError_tT1_PNSt15iterator_traitsISG_E10value_typeET2_T3_PNSH_ISM_E10value_typeET4_T5_PSR_SS_PNS1_23onesweep_lookback_stateEbbT6_jjT7_P12ihipStream_tbENKUlT_T0_SG_SL_E_clIS9_SA_SB_SB_EEDaSZ_S10_SG_SL_EUlSZ_E_NS1_11comp_targetILNS1_3genE4ELNS1_11target_archE910ELNS1_3gpuE8ELNS1_3repE0EEENS1_47radix_sort_onesweep_sort_config_static_selectorELNS0_4arch9wavefront6targetE0EEEvSG_, .Lfunc_end1627-_ZN7rocprim17ROCPRIM_400000_NS6detail17trampoline_kernelINS0_14default_configENS1_35radix_sort_onesweep_config_selectorIdNS0_10empty_typeEEEZZNS1_29radix_sort_onesweep_iterationIS3_Lb0EPKdPdPS5_SB_mNS0_19identity_decomposerENS1_16block_id_wrapperIjLb0EEEEE10hipError_tT1_PNSt15iterator_traitsISG_E10value_typeET2_T3_PNSH_ISM_E10value_typeET4_T5_PSR_SS_PNS1_23onesweep_lookback_stateEbbT6_jjT7_P12ihipStream_tbENKUlT_T0_SG_SL_E_clIS9_SA_SB_SB_EEDaSZ_S10_SG_SL_EUlSZ_E_NS1_11comp_targetILNS1_3genE4ELNS1_11target_archE910ELNS1_3gpuE8ELNS1_3repE0EEENS1_47radix_sort_onesweep_sort_config_static_selectorELNS0_4arch9wavefront6targetE0EEEvSG_
                                        ; -- End function
	.set _ZN7rocprim17ROCPRIM_400000_NS6detail17trampoline_kernelINS0_14default_configENS1_35radix_sort_onesweep_config_selectorIdNS0_10empty_typeEEEZZNS1_29radix_sort_onesweep_iterationIS3_Lb0EPKdPdPS5_SB_mNS0_19identity_decomposerENS1_16block_id_wrapperIjLb0EEEEE10hipError_tT1_PNSt15iterator_traitsISG_E10value_typeET2_T3_PNSH_ISM_E10value_typeET4_T5_PSR_SS_PNS1_23onesweep_lookback_stateEbbT6_jjT7_P12ihipStream_tbENKUlT_T0_SG_SL_E_clIS9_SA_SB_SB_EEDaSZ_S10_SG_SL_EUlSZ_E_NS1_11comp_targetILNS1_3genE4ELNS1_11target_archE910ELNS1_3gpuE8ELNS1_3repE0EEENS1_47radix_sort_onesweep_sort_config_static_selectorELNS0_4arch9wavefront6targetE0EEEvSG_.num_vgpr, 0
	.set _ZN7rocprim17ROCPRIM_400000_NS6detail17trampoline_kernelINS0_14default_configENS1_35radix_sort_onesweep_config_selectorIdNS0_10empty_typeEEEZZNS1_29radix_sort_onesweep_iterationIS3_Lb0EPKdPdPS5_SB_mNS0_19identity_decomposerENS1_16block_id_wrapperIjLb0EEEEE10hipError_tT1_PNSt15iterator_traitsISG_E10value_typeET2_T3_PNSH_ISM_E10value_typeET4_T5_PSR_SS_PNS1_23onesweep_lookback_stateEbbT6_jjT7_P12ihipStream_tbENKUlT_T0_SG_SL_E_clIS9_SA_SB_SB_EEDaSZ_S10_SG_SL_EUlSZ_E_NS1_11comp_targetILNS1_3genE4ELNS1_11target_archE910ELNS1_3gpuE8ELNS1_3repE0EEENS1_47radix_sort_onesweep_sort_config_static_selectorELNS0_4arch9wavefront6targetE0EEEvSG_.num_agpr, 0
	.set _ZN7rocprim17ROCPRIM_400000_NS6detail17trampoline_kernelINS0_14default_configENS1_35radix_sort_onesweep_config_selectorIdNS0_10empty_typeEEEZZNS1_29radix_sort_onesweep_iterationIS3_Lb0EPKdPdPS5_SB_mNS0_19identity_decomposerENS1_16block_id_wrapperIjLb0EEEEE10hipError_tT1_PNSt15iterator_traitsISG_E10value_typeET2_T3_PNSH_ISM_E10value_typeET4_T5_PSR_SS_PNS1_23onesweep_lookback_stateEbbT6_jjT7_P12ihipStream_tbENKUlT_T0_SG_SL_E_clIS9_SA_SB_SB_EEDaSZ_S10_SG_SL_EUlSZ_E_NS1_11comp_targetILNS1_3genE4ELNS1_11target_archE910ELNS1_3gpuE8ELNS1_3repE0EEENS1_47radix_sort_onesweep_sort_config_static_selectorELNS0_4arch9wavefront6targetE0EEEvSG_.numbered_sgpr, 0
	.set _ZN7rocprim17ROCPRIM_400000_NS6detail17trampoline_kernelINS0_14default_configENS1_35radix_sort_onesweep_config_selectorIdNS0_10empty_typeEEEZZNS1_29radix_sort_onesweep_iterationIS3_Lb0EPKdPdPS5_SB_mNS0_19identity_decomposerENS1_16block_id_wrapperIjLb0EEEEE10hipError_tT1_PNSt15iterator_traitsISG_E10value_typeET2_T3_PNSH_ISM_E10value_typeET4_T5_PSR_SS_PNS1_23onesweep_lookback_stateEbbT6_jjT7_P12ihipStream_tbENKUlT_T0_SG_SL_E_clIS9_SA_SB_SB_EEDaSZ_S10_SG_SL_EUlSZ_E_NS1_11comp_targetILNS1_3genE4ELNS1_11target_archE910ELNS1_3gpuE8ELNS1_3repE0EEENS1_47radix_sort_onesweep_sort_config_static_selectorELNS0_4arch9wavefront6targetE0EEEvSG_.num_named_barrier, 0
	.set _ZN7rocprim17ROCPRIM_400000_NS6detail17trampoline_kernelINS0_14default_configENS1_35radix_sort_onesweep_config_selectorIdNS0_10empty_typeEEEZZNS1_29radix_sort_onesweep_iterationIS3_Lb0EPKdPdPS5_SB_mNS0_19identity_decomposerENS1_16block_id_wrapperIjLb0EEEEE10hipError_tT1_PNSt15iterator_traitsISG_E10value_typeET2_T3_PNSH_ISM_E10value_typeET4_T5_PSR_SS_PNS1_23onesweep_lookback_stateEbbT6_jjT7_P12ihipStream_tbENKUlT_T0_SG_SL_E_clIS9_SA_SB_SB_EEDaSZ_S10_SG_SL_EUlSZ_E_NS1_11comp_targetILNS1_3genE4ELNS1_11target_archE910ELNS1_3gpuE8ELNS1_3repE0EEENS1_47radix_sort_onesweep_sort_config_static_selectorELNS0_4arch9wavefront6targetE0EEEvSG_.private_seg_size, 0
	.set _ZN7rocprim17ROCPRIM_400000_NS6detail17trampoline_kernelINS0_14default_configENS1_35radix_sort_onesweep_config_selectorIdNS0_10empty_typeEEEZZNS1_29radix_sort_onesweep_iterationIS3_Lb0EPKdPdPS5_SB_mNS0_19identity_decomposerENS1_16block_id_wrapperIjLb0EEEEE10hipError_tT1_PNSt15iterator_traitsISG_E10value_typeET2_T3_PNSH_ISM_E10value_typeET4_T5_PSR_SS_PNS1_23onesweep_lookback_stateEbbT6_jjT7_P12ihipStream_tbENKUlT_T0_SG_SL_E_clIS9_SA_SB_SB_EEDaSZ_S10_SG_SL_EUlSZ_E_NS1_11comp_targetILNS1_3genE4ELNS1_11target_archE910ELNS1_3gpuE8ELNS1_3repE0EEENS1_47radix_sort_onesweep_sort_config_static_selectorELNS0_4arch9wavefront6targetE0EEEvSG_.uses_vcc, 0
	.set _ZN7rocprim17ROCPRIM_400000_NS6detail17trampoline_kernelINS0_14default_configENS1_35radix_sort_onesweep_config_selectorIdNS0_10empty_typeEEEZZNS1_29radix_sort_onesweep_iterationIS3_Lb0EPKdPdPS5_SB_mNS0_19identity_decomposerENS1_16block_id_wrapperIjLb0EEEEE10hipError_tT1_PNSt15iterator_traitsISG_E10value_typeET2_T3_PNSH_ISM_E10value_typeET4_T5_PSR_SS_PNS1_23onesweep_lookback_stateEbbT6_jjT7_P12ihipStream_tbENKUlT_T0_SG_SL_E_clIS9_SA_SB_SB_EEDaSZ_S10_SG_SL_EUlSZ_E_NS1_11comp_targetILNS1_3genE4ELNS1_11target_archE910ELNS1_3gpuE8ELNS1_3repE0EEENS1_47radix_sort_onesweep_sort_config_static_selectorELNS0_4arch9wavefront6targetE0EEEvSG_.uses_flat_scratch, 0
	.set _ZN7rocprim17ROCPRIM_400000_NS6detail17trampoline_kernelINS0_14default_configENS1_35radix_sort_onesweep_config_selectorIdNS0_10empty_typeEEEZZNS1_29radix_sort_onesweep_iterationIS3_Lb0EPKdPdPS5_SB_mNS0_19identity_decomposerENS1_16block_id_wrapperIjLb0EEEEE10hipError_tT1_PNSt15iterator_traitsISG_E10value_typeET2_T3_PNSH_ISM_E10value_typeET4_T5_PSR_SS_PNS1_23onesweep_lookback_stateEbbT6_jjT7_P12ihipStream_tbENKUlT_T0_SG_SL_E_clIS9_SA_SB_SB_EEDaSZ_S10_SG_SL_EUlSZ_E_NS1_11comp_targetILNS1_3genE4ELNS1_11target_archE910ELNS1_3gpuE8ELNS1_3repE0EEENS1_47radix_sort_onesweep_sort_config_static_selectorELNS0_4arch9wavefront6targetE0EEEvSG_.has_dyn_sized_stack, 0
	.set _ZN7rocprim17ROCPRIM_400000_NS6detail17trampoline_kernelINS0_14default_configENS1_35radix_sort_onesweep_config_selectorIdNS0_10empty_typeEEEZZNS1_29radix_sort_onesweep_iterationIS3_Lb0EPKdPdPS5_SB_mNS0_19identity_decomposerENS1_16block_id_wrapperIjLb0EEEEE10hipError_tT1_PNSt15iterator_traitsISG_E10value_typeET2_T3_PNSH_ISM_E10value_typeET4_T5_PSR_SS_PNS1_23onesweep_lookback_stateEbbT6_jjT7_P12ihipStream_tbENKUlT_T0_SG_SL_E_clIS9_SA_SB_SB_EEDaSZ_S10_SG_SL_EUlSZ_E_NS1_11comp_targetILNS1_3genE4ELNS1_11target_archE910ELNS1_3gpuE8ELNS1_3repE0EEENS1_47radix_sort_onesweep_sort_config_static_selectorELNS0_4arch9wavefront6targetE0EEEvSG_.has_recursion, 0
	.set _ZN7rocprim17ROCPRIM_400000_NS6detail17trampoline_kernelINS0_14default_configENS1_35radix_sort_onesweep_config_selectorIdNS0_10empty_typeEEEZZNS1_29radix_sort_onesweep_iterationIS3_Lb0EPKdPdPS5_SB_mNS0_19identity_decomposerENS1_16block_id_wrapperIjLb0EEEEE10hipError_tT1_PNSt15iterator_traitsISG_E10value_typeET2_T3_PNSH_ISM_E10value_typeET4_T5_PSR_SS_PNS1_23onesweep_lookback_stateEbbT6_jjT7_P12ihipStream_tbENKUlT_T0_SG_SL_E_clIS9_SA_SB_SB_EEDaSZ_S10_SG_SL_EUlSZ_E_NS1_11comp_targetILNS1_3genE4ELNS1_11target_archE910ELNS1_3gpuE8ELNS1_3repE0EEENS1_47radix_sort_onesweep_sort_config_static_selectorELNS0_4arch9wavefront6targetE0EEEvSG_.has_indirect_call, 0
	.section	.AMDGPU.csdata,"",@progbits
; Kernel info:
; codeLenInByte = 0
; TotalNumSgprs: 0
; NumVgprs: 0
; ScratchSize: 0
; MemoryBound: 0
; FloatMode: 240
; IeeeMode: 1
; LDSByteSize: 0 bytes/workgroup (compile time only)
; SGPRBlocks: 0
; VGPRBlocks: 0
; NumSGPRsForWavesPerEU: 1
; NumVGPRsForWavesPerEU: 1
; NamedBarCnt: 0
; Occupancy: 16
; WaveLimiterHint : 0
; COMPUTE_PGM_RSRC2:SCRATCH_EN: 0
; COMPUTE_PGM_RSRC2:USER_SGPR: 2
; COMPUTE_PGM_RSRC2:TRAP_HANDLER: 0
; COMPUTE_PGM_RSRC2:TGID_X_EN: 1
; COMPUTE_PGM_RSRC2:TGID_Y_EN: 0
; COMPUTE_PGM_RSRC2:TGID_Z_EN: 0
; COMPUTE_PGM_RSRC2:TIDIG_COMP_CNT: 0
	.section	.text._ZN7rocprim17ROCPRIM_400000_NS6detail17trampoline_kernelINS0_14default_configENS1_35radix_sort_onesweep_config_selectorIdNS0_10empty_typeEEEZZNS1_29radix_sort_onesweep_iterationIS3_Lb0EPKdPdPS5_SB_mNS0_19identity_decomposerENS1_16block_id_wrapperIjLb0EEEEE10hipError_tT1_PNSt15iterator_traitsISG_E10value_typeET2_T3_PNSH_ISM_E10value_typeET4_T5_PSR_SS_PNS1_23onesweep_lookback_stateEbbT6_jjT7_P12ihipStream_tbENKUlT_T0_SG_SL_E_clIS9_SA_SB_SB_EEDaSZ_S10_SG_SL_EUlSZ_E_NS1_11comp_targetILNS1_3genE3ELNS1_11target_archE908ELNS1_3gpuE7ELNS1_3repE0EEENS1_47radix_sort_onesweep_sort_config_static_selectorELNS0_4arch9wavefront6targetE0EEEvSG_,"axG",@progbits,_ZN7rocprim17ROCPRIM_400000_NS6detail17trampoline_kernelINS0_14default_configENS1_35radix_sort_onesweep_config_selectorIdNS0_10empty_typeEEEZZNS1_29radix_sort_onesweep_iterationIS3_Lb0EPKdPdPS5_SB_mNS0_19identity_decomposerENS1_16block_id_wrapperIjLb0EEEEE10hipError_tT1_PNSt15iterator_traitsISG_E10value_typeET2_T3_PNSH_ISM_E10value_typeET4_T5_PSR_SS_PNS1_23onesweep_lookback_stateEbbT6_jjT7_P12ihipStream_tbENKUlT_T0_SG_SL_E_clIS9_SA_SB_SB_EEDaSZ_S10_SG_SL_EUlSZ_E_NS1_11comp_targetILNS1_3genE3ELNS1_11target_archE908ELNS1_3gpuE7ELNS1_3repE0EEENS1_47radix_sort_onesweep_sort_config_static_selectorELNS0_4arch9wavefront6targetE0EEEvSG_,comdat
	.protected	_ZN7rocprim17ROCPRIM_400000_NS6detail17trampoline_kernelINS0_14default_configENS1_35radix_sort_onesweep_config_selectorIdNS0_10empty_typeEEEZZNS1_29radix_sort_onesweep_iterationIS3_Lb0EPKdPdPS5_SB_mNS0_19identity_decomposerENS1_16block_id_wrapperIjLb0EEEEE10hipError_tT1_PNSt15iterator_traitsISG_E10value_typeET2_T3_PNSH_ISM_E10value_typeET4_T5_PSR_SS_PNS1_23onesweep_lookback_stateEbbT6_jjT7_P12ihipStream_tbENKUlT_T0_SG_SL_E_clIS9_SA_SB_SB_EEDaSZ_S10_SG_SL_EUlSZ_E_NS1_11comp_targetILNS1_3genE3ELNS1_11target_archE908ELNS1_3gpuE7ELNS1_3repE0EEENS1_47radix_sort_onesweep_sort_config_static_selectorELNS0_4arch9wavefront6targetE0EEEvSG_ ; -- Begin function _ZN7rocprim17ROCPRIM_400000_NS6detail17trampoline_kernelINS0_14default_configENS1_35radix_sort_onesweep_config_selectorIdNS0_10empty_typeEEEZZNS1_29radix_sort_onesweep_iterationIS3_Lb0EPKdPdPS5_SB_mNS0_19identity_decomposerENS1_16block_id_wrapperIjLb0EEEEE10hipError_tT1_PNSt15iterator_traitsISG_E10value_typeET2_T3_PNSH_ISM_E10value_typeET4_T5_PSR_SS_PNS1_23onesweep_lookback_stateEbbT6_jjT7_P12ihipStream_tbENKUlT_T0_SG_SL_E_clIS9_SA_SB_SB_EEDaSZ_S10_SG_SL_EUlSZ_E_NS1_11comp_targetILNS1_3genE3ELNS1_11target_archE908ELNS1_3gpuE7ELNS1_3repE0EEENS1_47radix_sort_onesweep_sort_config_static_selectorELNS0_4arch9wavefront6targetE0EEEvSG_
	.globl	_ZN7rocprim17ROCPRIM_400000_NS6detail17trampoline_kernelINS0_14default_configENS1_35radix_sort_onesweep_config_selectorIdNS0_10empty_typeEEEZZNS1_29radix_sort_onesweep_iterationIS3_Lb0EPKdPdPS5_SB_mNS0_19identity_decomposerENS1_16block_id_wrapperIjLb0EEEEE10hipError_tT1_PNSt15iterator_traitsISG_E10value_typeET2_T3_PNSH_ISM_E10value_typeET4_T5_PSR_SS_PNS1_23onesweep_lookback_stateEbbT6_jjT7_P12ihipStream_tbENKUlT_T0_SG_SL_E_clIS9_SA_SB_SB_EEDaSZ_S10_SG_SL_EUlSZ_E_NS1_11comp_targetILNS1_3genE3ELNS1_11target_archE908ELNS1_3gpuE7ELNS1_3repE0EEENS1_47radix_sort_onesweep_sort_config_static_selectorELNS0_4arch9wavefront6targetE0EEEvSG_
	.p2align	8
	.type	_ZN7rocprim17ROCPRIM_400000_NS6detail17trampoline_kernelINS0_14default_configENS1_35radix_sort_onesweep_config_selectorIdNS0_10empty_typeEEEZZNS1_29radix_sort_onesweep_iterationIS3_Lb0EPKdPdPS5_SB_mNS0_19identity_decomposerENS1_16block_id_wrapperIjLb0EEEEE10hipError_tT1_PNSt15iterator_traitsISG_E10value_typeET2_T3_PNSH_ISM_E10value_typeET4_T5_PSR_SS_PNS1_23onesweep_lookback_stateEbbT6_jjT7_P12ihipStream_tbENKUlT_T0_SG_SL_E_clIS9_SA_SB_SB_EEDaSZ_S10_SG_SL_EUlSZ_E_NS1_11comp_targetILNS1_3genE3ELNS1_11target_archE908ELNS1_3gpuE7ELNS1_3repE0EEENS1_47radix_sort_onesweep_sort_config_static_selectorELNS0_4arch9wavefront6targetE0EEEvSG_,@function
_ZN7rocprim17ROCPRIM_400000_NS6detail17trampoline_kernelINS0_14default_configENS1_35radix_sort_onesweep_config_selectorIdNS0_10empty_typeEEEZZNS1_29radix_sort_onesweep_iterationIS3_Lb0EPKdPdPS5_SB_mNS0_19identity_decomposerENS1_16block_id_wrapperIjLb0EEEEE10hipError_tT1_PNSt15iterator_traitsISG_E10value_typeET2_T3_PNSH_ISM_E10value_typeET4_T5_PSR_SS_PNS1_23onesweep_lookback_stateEbbT6_jjT7_P12ihipStream_tbENKUlT_T0_SG_SL_E_clIS9_SA_SB_SB_EEDaSZ_S10_SG_SL_EUlSZ_E_NS1_11comp_targetILNS1_3genE3ELNS1_11target_archE908ELNS1_3gpuE7ELNS1_3repE0EEENS1_47radix_sort_onesweep_sort_config_static_selectorELNS0_4arch9wavefront6targetE0EEEvSG_: ; @_ZN7rocprim17ROCPRIM_400000_NS6detail17trampoline_kernelINS0_14default_configENS1_35radix_sort_onesweep_config_selectorIdNS0_10empty_typeEEEZZNS1_29radix_sort_onesweep_iterationIS3_Lb0EPKdPdPS5_SB_mNS0_19identity_decomposerENS1_16block_id_wrapperIjLb0EEEEE10hipError_tT1_PNSt15iterator_traitsISG_E10value_typeET2_T3_PNSH_ISM_E10value_typeET4_T5_PSR_SS_PNS1_23onesweep_lookback_stateEbbT6_jjT7_P12ihipStream_tbENKUlT_T0_SG_SL_E_clIS9_SA_SB_SB_EEDaSZ_S10_SG_SL_EUlSZ_E_NS1_11comp_targetILNS1_3genE3ELNS1_11target_archE908ELNS1_3gpuE7ELNS1_3repE0EEENS1_47radix_sort_onesweep_sort_config_static_selectorELNS0_4arch9wavefront6targetE0EEEvSG_
; %bb.0:
	.section	.rodata,"a",@progbits
	.p2align	6, 0x0
	.amdhsa_kernel _ZN7rocprim17ROCPRIM_400000_NS6detail17trampoline_kernelINS0_14default_configENS1_35radix_sort_onesweep_config_selectorIdNS0_10empty_typeEEEZZNS1_29radix_sort_onesweep_iterationIS3_Lb0EPKdPdPS5_SB_mNS0_19identity_decomposerENS1_16block_id_wrapperIjLb0EEEEE10hipError_tT1_PNSt15iterator_traitsISG_E10value_typeET2_T3_PNSH_ISM_E10value_typeET4_T5_PSR_SS_PNS1_23onesweep_lookback_stateEbbT6_jjT7_P12ihipStream_tbENKUlT_T0_SG_SL_E_clIS9_SA_SB_SB_EEDaSZ_S10_SG_SL_EUlSZ_E_NS1_11comp_targetILNS1_3genE3ELNS1_11target_archE908ELNS1_3gpuE7ELNS1_3repE0EEENS1_47radix_sort_onesweep_sort_config_static_selectorELNS0_4arch9wavefront6targetE0EEEvSG_
		.amdhsa_group_segment_fixed_size 0
		.amdhsa_private_segment_fixed_size 0
		.amdhsa_kernarg_size 88
		.amdhsa_user_sgpr_count 2
		.amdhsa_user_sgpr_dispatch_ptr 0
		.amdhsa_user_sgpr_queue_ptr 0
		.amdhsa_user_sgpr_kernarg_segment_ptr 1
		.amdhsa_user_sgpr_dispatch_id 0
		.amdhsa_user_sgpr_kernarg_preload_length 0
		.amdhsa_user_sgpr_kernarg_preload_offset 0
		.amdhsa_user_sgpr_private_segment_size 0
		.amdhsa_wavefront_size32 1
		.amdhsa_uses_dynamic_stack 0
		.amdhsa_enable_private_segment 0
		.amdhsa_system_sgpr_workgroup_id_x 1
		.amdhsa_system_sgpr_workgroup_id_y 0
		.amdhsa_system_sgpr_workgroup_id_z 0
		.amdhsa_system_sgpr_workgroup_info 0
		.amdhsa_system_vgpr_workitem_id 0
		.amdhsa_next_free_vgpr 1
		.amdhsa_next_free_sgpr 1
		.amdhsa_named_barrier_count 0
		.amdhsa_reserve_vcc 0
		.amdhsa_float_round_mode_32 0
		.amdhsa_float_round_mode_16_64 0
		.amdhsa_float_denorm_mode_32 3
		.amdhsa_float_denorm_mode_16_64 3
		.amdhsa_fp16_overflow 0
		.amdhsa_memory_ordered 1
		.amdhsa_forward_progress 1
		.amdhsa_inst_pref_size 0
		.amdhsa_round_robin_scheduling 0
		.amdhsa_exception_fp_ieee_invalid_op 0
		.amdhsa_exception_fp_denorm_src 0
		.amdhsa_exception_fp_ieee_div_zero 0
		.amdhsa_exception_fp_ieee_overflow 0
		.amdhsa_exception_fp_ieee_underflow 0
		.amdhsa_exception_fp_ieee_inexact 0
		.amdhsa_exception_int_div_zero 0
	.end_amdhsa_kernel
	.section	.text._ZN7rocprim17ROCPRIM_400000_NS6detail17trampoline_kernelINS0_14default_configENS1_35radix_sort_onesweep_config_selectorIdNS0_10empty_typeEEEZZNS1_29radix_sort_onesweep_iterationIS3_Lb0EPKdPdPS5_SB_mNS0_19identity_decomposerENS1_16block_id_wrapperIjLb0EEEEE10hipError_tT1_PNSt15iterator_traitsISG_E10value_typeET2_T3_PNSH_ISM_E10value_typeET4_T5_PSR_SS_PNS1_23onesweep_lookback_stateEbbT6_jjT7_P12ihipStream_tbENKUlT_T0_SG_SL_E_clIS9_SA_SB_SB_EEDaSZ_S10_SG_SL_EUlSZ_E_NS1_11comp_targetILNS1_3genE3ELNS1_11target_archE908ELNS1_3gpuE7ELNS1_3repE0EEENS1_47radix_sort_onesweep_sort_config_static_selectorELNS0_4arch9wavefront6targetE0EEEvSG_,"axG",@progbits,_ZN7rocprim17ROCPRIM_400000_NS6detail17trampoline_kernelINS0_14default_configENS1_35radix_sort_onesweep_config_selectorIdNS0_10empty_typeEEEZZNS1_29radix_sort_onesweep_iterationIS3_Lb0EPKdPdPS5_SB_mNS0_19identity_decomposerENS1_16block_id_wrapperIjLb0EEEEE10hipError_tT1_PNSt15iterator_traitsISG_E10value_typeET2_T3_PNSH_ISM_E10value_typeET4_T5_PSR_SS_PNS1_23onesweep_lookback_stateEbbT6_jjT7_P12ihipStream_tbENKUlT_T0_SG_SL_E_clIS9_SA_SB_SB_EEDaSZ_S10_SG_SL_EUlSZ_E_NS1_11comp_targetILNS1_3genE3ELNS1_11target_archE908ELNS1_3gpuE7ELNS1_3repE0EEENS1_47radix_sort_onesweep_sort_config_static_selectorELNS0_4arch9wavefront6targetE0EEEvSG_,comdat
.Lfunc_end1628:
	.size	_ZN7rocprim17ROCPRIM_400000_NS6detail17trampoline_kernelINS0_14default_configENS1_35radix_sort_onesweep_config_selectorIdNS0_10empty_typeEEEZZNS1_29radix_sort_onesweep_iterationIS3_Lb0EPKdPdPS5_SB_mNS0_19identity_decomposerENS1_16block_id_wrapperIjLb0EEEEE10hipError_tT1_PNSt15iterator_traitsISG_E10value_typeET2_T3_PNSH_ISM_E10value_typeET4_T5_PSR_SS_PNS1_23onesweep_lookback_stateEbbT6_jjT7_P12ihipStream_tbENKUlT_T0_SG_SL_E_clIS9_SA_SB_SB_EEDaSZ_S10_SG_SL_EUlSZ_E_NS1_11comp_targetILNS1_3genE3ELNS1_11target_archE908ELNS1_3gpuE7ELNS1_3repE0EEENS1_47radix_sort_onesweep_sort_config_static_selectorELNS0_4arch9wavefront6targetE0EEEvSG_, .Lfunc_end1628-_ZN7rocprim17ROCPRIM_400000_NS6detail17trampoline_kernelINS0_14default_configENS1_35radix_sort_onesweep_config_selectorIdNS0_10empty_typeEEEZZNS1_29radix_sort_onesweep_iterationIS3_Lb0EPKdPdPS5_SB_mNS0_19identity_decomposerENS1_16block_id_wrapperIjLb0EEEEE10hipError_tT1_PNSt15iterator_traitsISG_E10value_typeET2_T3_PNSH_ISM_E10value_typeET4_T5_PSR_SS_PNS1_23onesweep_lookback_stateEbbT6_jjT7_P12ihipStream_tbENKUlT_T0_SG_SL_E_clIS9_SA_SB_SB_EEDaSZ_S10_SG_SL_EUlSZ_E_NS1_11comp_targetILNS1_3genE3ELNS1_11target_archE908ELNS1_3gpuE7ELNS1_3repE0EEENS1_47radix_sort_onesweep_sort_config_static_selectorELNS0_4arch9wavefront6targetE0EEEvSG_
                                        ; -- End function
	.set _ZN7rocprim17ROCPRIM_400000_NS6detail17trampoline_kernelINS0_14default_configENS1_35radix_sort_onesweep_config_selectorIdNS0_10empty_typeEEEZZNS1_29radix_sort_onesweep_iterationIS3_Lb0EPKdPdPS5_SB_mNS0_19identity_decomposerENS1_16block_id_wrapperIjLb0EEEEE10hipError_tT1_PNSt15iterator_traitsISG_E10value_typeET2_T3_PNSH_ISM_E10value_typeET4_T5_PSR_SS_PNS1_23onesweep_lookback_stateEbbT6_jjT7_P12ihipStream_tbENKUlT_T0_SG_SL_E_clIS9_SA_SB_SB_EEDaSZ_S10_SG_SL_EUlSZ_E_NS1_11comp_targetILNS1_3genE3ELNS1_11target_archE908ELNS1_3gpuE7ELNS1_3repE0EEENS1_47radix_sort_onesweep_sort_config_static_selectorELNS0_4arch9wavefront6targetE0EEEvSG_.num_vgpr, 0
	.set _ZN7rocprim17ROCPRIM_400000_NS6detail17trampoline_kernelINS0_14default_configENS1_35radix_sort_onesweep_config_selectorIdNS0_10empty_typeEEEZZNS1_29radix_sort_onesweep_iterationIS3_Lb0EPKdPdPS5_SB_mNS0_19identity_decomposerENS1_16block_id_wrapperIjLb0EEEEE10hipError_tT1_PNSt15iterator_traitsISG_E10value_typeET2_T3_PNSH_ISM_E10value_typeET4_T5_PSR_SS_PNS1_23onesweep_lookback_stateEbbT6_jjT7_P12ihipStream_tbENKUlT_T0_SG_SL_E_clIS9_SA_SB_SB_EEDaSZ_S10_SG_SL_EUlSZ_E_NS1_11comp_targetILNS1_3genE3ELNS1_11target_archE908ELNS1_3gpuE7ELNS1_3repE0EEENS1_47radix_sort_onesweep_sort_config_static_selectorELNS0_4arch9wavefront6targetE0EEEvSG_.num_agpr, 0
	.set _ZN7rocprim17ROCPRIM_400000_NS6detail17trampoline_kernelINS0_14default_configENS1_35radix_sort_onesweep_config_selectorIdNS0_10empty_typeEEEZZNS1_29radix_sort_onesweep_iterationIS3_Lb0EPKdPdPS5_SB_mNS0_19identity_decomposerENS1_16block_id_wrapperIjLb0EEEEE10hipError_tT1_PNSt15iterator_traitsISG_E10value_typeET2_T3_PNSH_ISM_E10value_typeET4_T5_PSR_SS_PNS1_23onesweep_lookback_stateEbbT6_jjT7_P12ihipStream_tbENKUlT_T0_SG_SL_E_clIS9_SA_SB_SB_EEDaSZ_S10_SG_SL_EUlSZ_E_NS1_11comp_targetILNS1_3genE3ELNS1_11target_archE908ELNS1_3gpuE7ELNS1_3repE0EEENS1_47radix_sort_onesweep_sort_config_static_selectorELNS0_4arch9wavefront6targetE0EEEvSG_.numbered_sgpr, 0
	.set _ZN7rocprim17ROCPRIM_400000_NS6detail17trampoline_kernelINS0_14default_configENS1_35radix_sort_onesweep_config_selectorIdNS0_10empty_typeEEEZZNS1_29radix_sort_onesweep_iterationIS3_Lb0EPKdPdPS5_SB_mNS0_19identity_decomposerENS1_16block_id_wrapperIjLb0EEEEE10hipError_tT1_PNSt15iterator_traitsISG_E10value_typeET2_T3_PNSH_ISM_E10value_typeET4_T5_PSR_SS_PNS1_23onesweep_lookback_stateEbbT6_jjT7_P12ihipStream_tbENKUlT_T0_SG_SL_E_clIS9_SA_SB_SB_EEDaSZ_S10_SG_SL_EUlSZ_E_NS1_11comp_targetILNS1_3genE3ELNS1_11target_archE908ELNS1_3gpuE7ELNS1_3repE0EEENS1_47radix_sort_onesweep_sort_config_static_selectorELNS0_4arch9wavefront6targetE0EEEvSG_.num_named_barrier, 0
	.set _ZN7rocprim17ROCPRIM_400000_NS6detail17trampoline_kernelINS0_14default_configENS1_35radix_sort_onesweep_config_selectorIdNS0_10empty_typeEEEZZNS1_29radix_sort_onesweep_iterationIS3_Lb0EPKdPdPS5_SB_mNS0_19identity_decomposerENS1_16block_id_wrapperIjLb0EEEEE10hipError_tT1_PNSt15iterator_traitsISG_E10value_typeET2_T3_PNSH_ISM_E10value_typeET4_T5_PSR_SS_PNS1_23onesweep_lookback_stateEbbT6_jjT7_P12ihipStream_tbENKUlT_T0_SG_SL_E_clIS9_SA_SB_SB_EEDaSZ_S10_SG_SL_EUlSZ_E_NS1_11comp_targetILNS1_3genE3ELNS1_11target_archE908ELNS1_3gpuE7ELNS1_3repE0EEENS1_47radix_sort_onesweep_sort_config_static_selectorELNS0_4arch9wavefront6targetE0EEEvSG_.private_seg_size, 0
	.set _ZN7rocprim17ROCPRIM_400000_NS6detail17trampoline_kernelINS0_14default_configENS1_35radix_sort_onesweep_config_selectorIdNS0_10empty_typeEEEZZNS1_29radix_sort_onesweep_iterationIS3_Lb0EPKdPdPS5_SB_mNS0_19identity_decomposerENS1_16block_id_wrapperIjLb0EEEEE10hipError_tT1_PNSt15iterator_traitsISG_E10value_typeET2_T3_PNSH_ISM_E10value_typeET4_T5_PSR_SS_PNS1_23onesweep_lookback_stateEbbT6_jjT7_P12ihipStream_tbENKUlT_T0_SG_SL_E_clIS9_SA_SB_SB_EEDaSZ_S10_SG_SL_EUlSZ_E_NS1_11comp_targetILNS1_3genE3ELNS1_11target_archE908ELNS1_3gpuE7ELNS1_3repE0EEENS1_47radix_sort_onesweep_sort_config_static_selectorELNS0_4arch9wavefront6targetE0EEEvSG_.uses_vcc, 0
	.set _ZN7rocprim17ROCPRIM_400000_NS6detail17trampoline_kernelINS0_14default_configENS1_35radix_sort_onesweep_config_selectorIdNS0_10empty_typeEEEZZNS1_29radix_sort_onesweep_iterationIS3_Lb0EPKdPdPS5_SB_mNS0_19identity_decomposerENS1_16block_id_wrapperIjLb0EEEEE10hipError_tT1_PNSt15iterator_traitsISG_E10value_typeET2_T3_PNSH_ISM_E10value_typeET4_T5_PSR_SS_PNS1_23onesweep_lookback_stateEbbT6_jjT7_P12ihipStream_tbENKUlT_T0_SG_SL_E_clIS9_SA_SB_SB_EEDaSZ_S10_SG_SL_EUlSZ_E_NS1_11comp_targetILNS1_3genE3ELNS1_11target_archE908ELNS1_3gpuE7ELNS1_3repE0EEENS1_47radix_sort_onesweep_sort_config_static_selectorELNS0_4arch9wavefront6targetE0EEEvSG_.uses_flat_scratch, 0
	.set _ZN7rocprim17ROCPRIM_400000_NS6detail17trampoline_kernelINS0_14default_configENS1_35radix_sort_onesweep_config_selectorIdNS0_10empty_typeEEEZZNS1_29radix_sort_onesweep_iterationIS3_Lb0EPKdPdPS5_SB_mNS0_19identity_decomposerENS1_16block_id_wrapperIjLb0EEEEE10hipError_tT1_PNSt15iterator_traitsISG_E10value_typeET2_T3_PNSH_ISM_E10value_typeET4_T5_PSR_SS_PNS1_23onesweep_lookback_stateEbbT6_jjT7_P12ihipStream_tbENKUlT_T0_SG_SL_E_clIS9_SA_SB_SB_EEDaSZ_S10_SG_SL_EUlSZ_E_NS1_11comp_targetILNS1_3genE3ELNS1_11target_archE908ELNS1_3gpuE7ELNS1_3repE0EEENS1_47radix_sort_onesweep_sort_config_static_selectorELNS0_4arch9wavefront6targetE0EEEvSG_.has_dyn_sized_stack, 0
	.set _ZN7rocprim17ROCPRIM_400000_NS6detail17trampoline_kernelINS0_14default_configENS1_35radix_sort_onesweep_config_selectorIdNS0_10empty_typeEEEZZNS1_29radix_sort_onesweep_iterationIS3_Lb0EPKdPdPS5_SB_mNS0_19identity_decomposerENS1_16block_id_wrapperIjLb0EEEEE10hipError_tT1_PNSt15iterator_traitsISG_E10value_typeET2_T3_PNSH_ISM_E10value_typeET4_T5_PSR_SS_PNS1_23onesweep_lookback_stateEbbT6_jjT7_P12ihipStream_tbENKUlT_T0_SG_SL_E_clIS9_SA_SB_SB_EEDaSZ_S10_SG_SL_EUlSZ_E_NS1_11comp_targetILNS1_3genE3ELNS1_11target_archE908ELNS1_3gpuE7ELNS1_3repE0EEENS1_47radix_sort_onesweep_sort_config_static_selectorELNS0_4arch9wavefront6targetE0EEEvSG_.has_recursion, 0
	.set _ZN7rocprim17ROCPRIM_400000_NS6detail17trampoline_kernelINS0_14default_configENS1_35radix_sort_onesweep_config_selectorIdNS0_10empty_typeEEEZZNS1_29radix_sort_onesweep_iterationIS3_Lb0EPKdPdPS5_SB_mNS0_19identity_decomposerENS1_16block_id_wrapperIjLb0EEEEE10hipError_tT1_PNSt15iterator_traitsISG_E10value_typeET2_T3_PNSH_ISM_E10value_typeET4_T5_PSR_SS_PNS1_23onesweep_lookback_stateEbbT6_jjT7_P12ihipStream_tbENKUlT_T0_SG_SL_E_clIS9_SA_SB_SB_EEDaSZ_S10_SG_SL_EUlSZ_E_NS1_11comp_targetILNS1_3genE3ELNS1_11target_archE908ELNS1_3gpuE7ELNS1_3repE0EEENS1_47radix_sort_onesweep_sort_config_static_selectorELNS0_4arch9wavefront6targetE0EEEvSG_.has_indirect_call, 0
	.section	.AMDGPU.csdata,"",@progbits
; Kernel info:
; codeLenInByte = 0
; TotalNumSgprs: 0
; NumVgprs: 0
; ScratchSize: 0
; MemoryBound: 0
; FloatMode: 240
; IeeeMode: 1
; LDSByteSize: 0 bytes/workgroup (compile time only)
; SGPRBlocks: 0
; VGPRBlocks: 0
; NumSGPRsForWavesPerEU: 1
; NumVGPRsForWavesPerEU: 1
; NamedBarCnt: 0
; Occupancy: 16
; WaveLimiterHint : 0
; COMPUTE_PGM_RSRC2:SCRATCH_EN: 0
; COMPUTE_PGM_RSRC2:USER_SGPR: 2
; COMPUTE_PGM_RSRC2:TRAP_HANDLER: 0
; COMPUTE_PGM_RSRC2:TGID_X_EN: 1
; COMPUTE_PGM_RSRC2:TGID_Y_EN: 0
; COMPUTE_PGM_RSRC2:TGID_Z_EN: 0
; COMPUTE_PGM_RSRC2:TIDIG_COMP_CNT: 0
	.section	.text._ZN7rocprim17ROCPRIM_400000_NS6detail17trampoline_kernelINS0_14default_configENS1_35radix_sort_onesweep_config_selectorIdNS0_10empty_typeEEEZZNS1_29radix_sort_onesweep_iterationIS3_Lb0EPKdPdPS5_SB_mNS0_19identity_decomposerENS1_16block_id_wrapperIjLb0EEEEE10hipError_tT1_PNSt15iterator_traitsISG_E10value_typeET2_T3_PNSH_ISM_E10value_typeET4_T5_PSR_SS_PNS1_23onesweep_lookback_stateEbbT6_jjT7_P12ihipStream_tbENKUlT_T0_SG_SL_E_clIS9_SA_SB_SB_EEDaSZ_S10_SG_SL_EUlSZ_E_NS1_11comp_targetILNS1_3genE10ELNS1_11target_archE1201ELNS1_3gpuE5ELNS1_3repE0EEENS1_47radix_sort_onesweep_sort_config_static_selectorELNS0_4arch9wavefront6targetE0EEEvSG_,"axG",@progbits,_ZN7rocprim17ROCPRIM_400000_NS6detail17trampoline_kernelINS0_14default_configENS1_35radix_sort_onesweep_config_selectorIdNS0_10empty_typeEEEZZNS1_29radix_sort_onesweep_iterationIS3_Lb0EPKdPdPS5_SB_mNS0_19identity_decomposerENS1_16block_id_wrapperIjLb0EEEEE10hipError_tT1_PNSt15iterator_traitsISG_E10value_typeET2_T3_PNSH_ISM_E10value_typeET4_T5_PSR_SS_PNS1_23onesweep_lookback_stateEbbT6_jjT7_P12ihipStream_tbENKUlT_T0_SG_SL_E_clIS9_SA_SB_SB_EEDaSZ_S10_SG_SL_EUlSZ_E_NS1_11comp_targetILNS1_3genE10ELNS1_11target_archE1201ELNS1_3gpuE5ELNS1_3repE0EEENS1_47radix_sort_onesweep_sort_config_static_selectorELNS0_4arch9wavefront6targetE0EEEvSG_,comdat
	.protected	_ZN7rocprim17ROCPRIM_400000_NS6detail17trampoline_kernelINS0_14default_configENS1_35radix_sort_onesweep_config_selectorIdNS0_10empty_typeEEEZZNS1_29radix_sort_onesweep_iterationIS3_Lb0EPKdPdPS5_SB_mNS0_19identity_decomposerENS1_16block_id_wrapperIjLb0EEEEE10hipError_tT1_PNSt15iterator_traitsISG_E10value_typeET2_T3_PNSH_ISM_E10value_typeET4_T5_PSR_SS_PNS1_23onesweep_lookback_stateEbbT6_jjT7_P12ihipStream_tbENKUlT_T0_SG_SL_E_clIS9_SA_SB_SB_EEDaSZ_S10_SG_SL_EUlSZ_E_NS1_11comp_targetILNS1_3genE10ELNS1_11target_archE1201ELNS1_3gpuE5ELNS1_3repE0EEENS1_47radix_sort_onesweep_sort_config_static_selectorELNS0_4arch9wavefront6targetE0EEEvSG_ ; -- Begin function _ZN7rocprim17ROCPRIM_400000_NS6detail17trampoline_kernelINS0_14default_configENS1_35radix_sort_onesweep_config_selectorIdNS0_10empty_typeEEEZZNS1_29radix_sort_onesweep_iterationIS3_Lb0EPKdPdPS5_SB_mNS0_19identity_decomposerENS1_16block_id_wrapperIjLb0EEEEE10hipError_tT1_PNSt15iterator_traitsISG_E10value_typeET2_T3_PNSH_ISM_E10value_typeET4_T5_PSR_SS_PNS1_23onesweep_lookback_stateEbbT6_jjT7_P12ihipStream_tbENKUlT_T0_SG_SL_E_clIS9_SA_SB_SB_EEDaSZ_S10_SG_SL_EUlSZ_E_NS1_11comp_targetILNS1_3genE10ELNS1_11target_archE1201ELNS1_3gpuE5ELNS1_3repE0EEENS1_47radix_sort_onesweep_sort_config_static_selectorELNS0_4arch9wavefront6targetE0EEEvSG_
	.globl	_ZN7rocprim17ROCPRIM_400000_NS6detail17trampoline_kernelINS0_14default_configENS1_35radix_sort_onesweep_config_selectorIdNS0_10empty_typeEEEZZNS1_29radix_sort_onesweep_iterationIS3_Lb0EPKdPdPS5_SB_mNS0_19identity_decomposerENS1_16block_id_wrapperIjLb0EEEEE10hipError_tT1_PNSt15iterator_traitsISG_E10value_typeET2_T3_PNSH_ISM_E10value_typeET4_T5_PSR_SS_PNS1_23onesweep_lookback_stateEbbT6_jjT7_P12ihipStream_tbENKUlT_T0_SG_SL_E_clIS9_SA_SB_SB_EEDaSZ_S10_SG_SL_EUlSZ_E_NS1_11comp_targetILNS1_3genE10ELNS1_11target_archE1201ELNS1_3gpuE5ELNS1_3repE0EEENS1_47radix_sort_onesweep_sort_config_static_selectorELNS0_4arch9wavefront6targetE0EEEvSG_
	.p2align	8
	.type	_ZN7rocprim17ROCPRIM_400000_NS6detail17trampoline_kernelINS0_14default_configENS1_35radix_sort_onesweep_config_selectorIdNS0_10empty_typeEEEZZNS1_29radix_sort_onesweep_iterationIS3_Lb0EPKdPdPS5_SB_mNS0_19identity_decomposerENS1_16block_id_wrapperIjLb0EEEEE10hipError_tT1_PNSt15iterator_traitsISG_E10value_typeET2_T3_PNSH_ISM_E10value_typeET4_T5_PSR_SS_PNS1_23onesweep_lookback_stateEbbT6_jjT7_P12ihipStream_tbENKUlT_T0_SG_SL_E_clIS9_SA_SB_SB_EEDaSZ_S10_SG_SL_EUlSZ_E_NS1_11comp_targetILNS1_3genE10ELNS1_11target_archE1201ELNS1_3gpuE5ELNS1_3repE0EEENS1_47radix_sort_onesweep_sort_config_static_selectorELNS0_4arch9wavefront6targetE0EEEvSG_,@function
_ZN7rocprim17ROCPRIM_400000_NS6detail17trampoline_kernelINS0_14default_configENS1_35radix_sort_onesweep_config_selectorIdNS0_10empty_typeEEEZZNS1_29radix_sort_onesweep_iterationIS3_Lb0EPKdPdPS5_SB_mNS0_19identity_decomposerENS1_16block_id_wrapperIjLb0EEEEE10hipError_tT1_PNSt15iterator_traitsISG_E10value_typeET2_T3_PNSH_ISM_E10value_typeET4_T5_PSR_SS_PNS1_23onesweep_lookback_stateEbbT6_jjT7_P12ihipStream_tbENKUlT_T0_SG_SL_E_clIS9_SA_SB_SB_EEDaSZ_S10_SG_SL_EUlSZ_E_NS1_11comp_targetILNS1_3genE10ELNS1_11target_archE1201ELNS1_3gpuE5ELNS1_3repE0EEENS1_47radix_sort_onesweep_sort_config_static_selectorELNS0_4arch9wavefront6targetE0EEEvSG_: ; @_ZN7rocprim17ROCPRIM_400000_NS6detail17trampoline_kernelINS0_14default_configENS1_35radix_sort_onesweep_config_selectorIdNS0_10empty_typeEEEZZNS1_29radix_sort_onesweep_iterationIS3_Lb0EPKdPdPS5_SB_mNS0_19identity_decomposerENS1_16block_id_wrapperIjLb0EEEEE10hipError_tT1_PNSt15iterator_traitsISG_E10value_typeET2_T3_PNSH_ISM_E10value_typeET4_T5_PSR_SS_PNS1_23onesweep_lookback_stateEbbT6_jjT7_P12ihipStream_tbENKUlT_T0_SG_SL_E_clIS9_SA_SB_SB_EEDaSZ_S10_SG_SL_EUlSZ_E_NS1_11comp_targetILNS1_3genE10ELNS1_11target_archE1201ELNS1_3gpuE5ELNS1_3repE0EEENS1_47radix_sort_onesweep_sort_config_static_selectorELNS0_4arch9wavefront6targetE0EEEvSG_
; %bb.0:
	.section	.rodata,"a",@progbits
	.p2align	6, 0x0
	.amdhsa_kernel _ZN7rocprim17ROCPRIM_400000_NS6detail17trampoline_kernelINS0_14default_configENS1_35radix_sort_onesweep_config_selectorIdNS0_10empty_typeEEEZZNS1_29radix_sort_onesweep_iterationIS3_Lb0EPKdPdPS5_SB_mNS0_19identity_decomposerENS1_16block_id_wrapperIjLb0EEEEE10hipError_tT1_PNSt15iterator_traitsISG_E10value_typeET2_T3_PNSH_ISM_E10value_typeET4_T5_PSR_SS_PNS1_23onesweep_lookback_stateEbbT6_jjT7_P12ihipStream_tbENKUlT_T0_SG_SL_E_clIS9_SA_SB_SB_EEDaSZ_S10_SG_SL_EUlSZ_E_NS1_11comp_targetILNS1_3genE10ELNS1_11target_archE1201ELNS1_3gpuE5ELNS1_3repE0EEENS1_47radix_sort_onesweep_sort_config_static_selectorELNS0_4arch9wavefront6targetE0EEEvSG_
		.amdhsa_group_segment_fixed_size 0
		.amdhsa_private_segment_fixed_size 0
		.amdhsa_kernarg_size 88
		.amdhsa_user_sgpr_count 2
		.amdhsa_user_sgpr_dispatch_ptr 0
		.amdhsa_user_sgpr_queue_ptr 0
		.amdhsa_user_sgpr_kernarg_segment_ptr 1
		.amdhsa_user_sgpr_dispatch_id 0
		.amdhsa_user_sgpr_kernarg_preload_length 0
		.amdhsa_user_sgpr_kernarg_preload_offset 0
		.amdhsa_user_sgpr_private_segment_size 0
		.amdhsa_wavefront_size32 1
		.amdhsa_uses_dynamic_stack 0
		.amdhsa_enable_private_segment 0
		.amdhsa_system_sgpr_workgroup_id_x 1
		.amdhsa_system_sgpr_workgroup_id_y 0
		.amdhsa_system_sgpr_workgroup_id_z 0
		.amdhsa_system_sgpr_workgroup_info 0
		.amdhsa_system_vgpr_workitem_id 0
		.amdhsa_next_free_vgpr 1
		.amdhsa_next_free_sgpr 1
		.amdhsa_named_barrier_count 0
		.amdhsa_reserve_vcc 0
		.amdhsa_float_round_mode_32 0
		.amdhsa_float_round_mode_16_64 0
		.amdhsa_float_denorm_mode_32 3
		.amdhsa_float_denorm_mode_16_64 3
		.amdhsa_fp16_overflow 0
		.amdhsa_memory_ordered 1
		.amdhsa_forward_progress 1
		.amdhsa_inst_pref_size 0
		.amdhsa_round_robin_scheduling 0
		.amdhsa_exception_fp_ieee_invalid_op 0
		.amdhsa_exception_fp_denorm_src 0
		.amdhsa_exception_fp_ieee_div_zero 0
		.amdhsa_exception_fp_ieee_overflow 0
		.amdhsa_exception_fp_ieee_underflow 0
		.amdhsa_exception_fp_ieee_inexact 0
		.amdhsa_exception_int_div_zero 0
	.end_amdhsa_kernel
	.section	.text._ZN7rocprim17ROCPRIM_400000_NS6detail17trampoline_kernelINS0_14default_configENS1_35radix_sort_onesweep_config_selectorIdNS0_10empty_typeEEEZZNS1_29radix_sort_onesweep_iterationIS3_Lb0EPKdPdPS5_SB_mNS0_19identity_decomposerENS1_16block_id_wrapperIjLb0EEEEE10hipError_tT1_PNSt15iterator_traitsISG_E10value_typeET2_T3_PNSH_ISM_E10value_typeET4_T5_PSR_SS_PNS1_23onesweep_lookback_stateEbbT6_jjT7_P12ihipStream_tbENKUlT_T0_SG_SL_E_clIS9_SA_SB_SB_EEDaSZ_S10_SG_SL_EUlSZ_E_NS1_11comp_targetILNS1_3genE10ELNS1_11target_archE1201ELNS1_3gpuE5ELNS1_3repE0EEENS1_47radix_sort_onesweep_sort_config_static_selectorELNS0_4arch9wavefront6targetE0EEEvSG_,"axG",@progbits,_ZN7rocprim17ROCPRIM_400000_NS6detail17trampoline_kernelINS0_14default_configENS1_35radix_sort_onesweep_config_selectorIdNS0_10empty_typeEEEZZNS1_29radix_sort_onesweep_iterationIS3_Lb0EPKdPdPS5_SB_mNS0_19identity_decomposerENS1_16block_id_wrapperIjLb0EEEEE10hipError_tT1_PNSt15iterator_traitsISG_E10value_typeET2_T3_PNSH_ISM_E10value_typeET4_T5_PSR_SS_PNS1_23onesweep_lookback_stateEbbT6_jjT7_P12ihipStream_tbENKUlT_T0_SG_SL_E_clIS9_SA_SB_SB_EEDaSZ_S10_SG_SL_EUlSZ_E_NS1_11comp_targetILNS1_3genE10ELNS1_11target_archE1201ELNS1_3gpuE5ELNS1_3repE0EEENS1_47radix_sort_onesweep_sort_config_static_selectorELNS0_4arch9wavefront6targetE0EEEvSG_,comdat
.Lfunc_end1629:
	.size	_ZN7rocprim17ROCPRIM_400000_NS6detail17trampoline_kernelINS0_14default_configENS1_35radix_sort_onesweep_config_selectorIdNS0_10empty_typeEEEZZNS1_29radix_sort_onesweep_iterationIS3_Lb0EPKdPdPS5_SB_mNS0_19identity_decomposerENS1_16block_id_wrapperIjLb0EEEEE10hipError_tT1_PNSt15iterator_traitsISG_E10value_typeET2_T3_PNSH_ISM_E10value_typeET4_T5_PSR_SS_PNS1_23onesweep_lookback_stateEbbT6_jjT7_P12ihipStream_tbENKUlT_T0_SG_SL_E_clIS9_SA_SB_SB_EEDaSZ_S10_SG_SL_EUlSZ_E_NS1_11comp_targetILNS1_3genE10ELNS1_11target_archE1201ELNS1_3gpuE5ELNS1_3repE0EEENS1_47radix_sort_onesweep_sort_config_static_selectorELNS0_4arch9wavefront6targetE0EEEvSG_, .Lfunc_end1629-_ZN7rocprim17ROCPRIM_400000_NS6detail17trampoline_kernelINS0_14default_configENS1_35radix_sort_onesweep_config_selectorIdNS0_10empty_typeEEEZZNS1_29radix_sort_onesweep_iterationIS3_Lb0EPKdPdPS5_SB_mNS0_19identity_decomposerENS1_16block_id_wrapperIjLb0EEEEE10hipError_tT1_PNSt15iterator_traitsISG_E10value_typeET2_T3_PNSH_ISM_E10value_typeET4_T5_PSR_SS_PNS1_23onesweep_lookback_stateEbbT6_jjT7_P12ihipStream_tbENKUlT_T0_SG_SL_E_clIS9_SA_SB_SB_EEDaSZ_S10_SG_SL_EUlSZ_E_NS1_11comp_targetILNS1_3genE10ELNS1_11target_archE1201ELNS1_3gpuE5ELNS1_3repE0EEENS1_47radix_sort_onesweep_sort_config_static_selectorELNS0_4arch9wavefront6targetE0EEEvSG_
                                        ; -- End function
	.set _ZN7rocprim17ROCPRIM_400000_NS6detail17trampoline_kernelINS0_14default_configENS1_35radix_sort_onesweep_config_selectorIdNS0_10empty_typeEEEZZNS1_29radix_sort_onesweep_iterationIS3_Lb0EPKdPdPS5_SB_mNS0_19identity_decomposerENS1_16block_id_wrapperIjLb0EEEEE10hipError_tT1_PNSt15iterator_traitsISG_E10value_typeET2_T3_PNSH_ISM_E10value_typeET4_T5_PSR_SS_PNS1_23onesweep_lookback_stateEbbT6_jjT7_P12ihipStream_tbENKUlT_T0_SG_SL_E_clIS9_SA_SB_SB_EEDaSZ_S10_SG_SL_EUlSZ_E_NS1_11comp_targetILNS1_3genE10ELNS1_11target_archE1201ELNS1_3gpuE5ELNS1_3repE0EEENS1_47radix_sort_onesweep_sort_config_static_selectorELNS0_4arch9wavefront6targetE0EEEvSG_.num_vgpr, 0
	.set _ZN7rocprim17ROCPRIM_400000_NS6detail17trampoline_kernelINS0_14default_configENS1_35radix_sort_onesweep_config_selectorIdNS0_10empty_typeEEEZZNS1_29radix_sort_onesweep_iterationIS3_Lb0EPKdPdPS5_SB_mNS0_19identity_decomposerENS1_16block_id_wrapperIjLb0EEEEE10hipError_tT1_PNSt15iterator_traitsISG_E10value_typeET2_T3_PNSH_ISM_E10value_typeET4_T5_PSR_SS_PNS1_23onesweep_lookback_stateEbbT6_jjT7_P12ihipStream_tbENKUlT_T0_SG_SL_E_clIS9_SA_SB_SB_EEDaSZ_S10_SG_SL_EUlSZ_E_NS1_11comp_targetILNS1_3genE10ELNS1_11target_archE1201ELNS1_3gpuE5ELNS1_3repE0EEENS1_47radix_sort_onesweep_sort_config_static_selectorELNS0_4arch9wavefront6targetE0EEEvSG_.num_agpr, 0
	.set _ZN7rocprim17ROCPRIM_400000_NS6detail17trampoline_kernelINS0_14default_configENS1_35radix_sort_onesweep_config_selectorIdNS0_10empty_typeEEEZZNS1_29radix_sort_onesweep_iterationIS3_Lb0EPKdPdPS5_SB_mNS0_19identity_decomposerENS1_16block_id_wrapperIjLb0EEEEE10hipError_tT1_PNSt15iterator_traitsISG_E10value_typeET2_T3_PNSH_ISM_E10value_typeET4_T5_PSR_SS_PNS1_23onesweep_lookback_stateEbbT6_jjT7_P12ihipStream_tbENKUlT_T0_SG_SL_E_clIS9_SA_SB_SB_EEDaSZ_S10_SG_SL_EUlSZ_E_NS1_11comp_targetILNS1_3genE10ELNS1_11target_archE1201ELNS1_3gpuE5ELNS1_3repE0EEENS1_47radix_sort_onesweep_sort_config_static_selectorELNS0_4arch9wavefront6targetE0EEEvSG_.numbered_sgpr, 0
	.set _ZN7rocprim17ROCPRIM_400000_NS6detail17trampoline_kernelINS0_14default_configENS1_35radix_sort_onesweep_config_selectorIdNS0_10empty_typeEEEZZNS1_29radix_sort_onesweep_iterationIS3_Lb0EPKdPdPS5_SB_mNS0_19identity_decomposerENS1_16block_id_wrapperIjLb0EEEEE10hipError_tT1_PNSt15iterator_traitsISG_E10value_typeET2_T3_PNSH_ISM_E10value_typeET4_T5_PSR_SS_PNS1_23onesweep_lookback_stateEbbT6_jjT7_P12ihipStream_tbENKUlT_T0_SG_SL_E_clIS9_SA_SB_SB_EEDaSZ_S10_SG_SL_EUlSZ_E_NS1_11comp_targetILNS1_3genE10ELNS1_11target_archE1201ELNS1_3gpuE5ELNS1_3repE0EEENS1_47radix_sort_onesweep_sort_config_static_selectorELNS0_4arch9wavefront6targetE0EEEvSG_.num_named_barrier, 0
	.set _ZN7rocprim17ROCPRIM_400000_NS6detail17trampoline_kernelINS0_14default_configENS1_35radix_sort_onesweep_config_selectorIdNS0_10empty_typeEEEZZNS1_29radix_sort_onesweep_iterationIS3_Lb0EPKdPdPS5_SB_mNS0_19identity_decomposerENS1_16block_id_wrapperIjLb0EEEEE10hipError_tT1_PNSt15iterator_traitsISG_E10value_typeET2_T3_PNSH_ISM_E10value_typeET4_T5_PSR_SS_PNS1_23onesweep_lookback_stateEbbT6_jjT7_P12ihipStream_tbENKUlT_T0_SG_SL_E_clIS9_SA_SB_SB_EEDaSZ_S10_SG_SL_EUlSZ_E_NS1_11comp_targetILNS1_3genE10ELNS1_11target_archE1201ELNS1_3gpuE5ELNS1_3repE0EEENS1_47radix_sort_onesweep_sort_config_static_selectorELNS0_4arch9wavefront6targetE0EEEvSG_.private_seg_size, 0
	.set _ZN7rocprim17ROCPRIM_400000_NS6detail17trampoline_kernelINS0_14default_configENS1_35radix_sort_onesweep_config_selectorIdNS0_10empty_typeEEEZZNS1_29radix_sort_onesweep_iterationIS3_Lb0EPKdPdPS5_SB_mNS0_19identity_decomposerENS1_16block_id_wrapperIjLb0EEEEE10hipError_tT1_PNSt15iterator_traitsISG_E10value_typeET2_T3_PNSH_ISM_E10value_typeET4_T5_PSR_SS_PNS1_23onesweep_lookback_stateEbbT6_jjT7_P12ihipStream_tbENKUlT_T0_SG_SL_E_clIS9_SA_SB_SB_EEDaSZ_S10_SG_SL_EUlSZ_E_NS1_11comp_targetILNS1_3genE10ELNS1_11target_archE1201ELNS1_3gpuE5ELNS1_3repE0EEENS1_47radix_sort_onesweep_sort_config_static_selectorELNS0_4arch9wavefront6targetE0EEEvSG_.uses_vcc, 0
	.set _ZN7rocprim17ROCPRIM_400000_NS6detail17trampoline_kernelINS0_14default_configENS1_35radix_sort_onesweep_config_selectorIdNS0_10empty_typeEEEZZNS1_29radix_sort_onesweep_iterationIS3_Lb0EPKdPdPS5_SB_mNS0_19identity_decomposerENS1_16block_id_wrapperIjLb0EEEEE10hipError_tT1_PNSt15iterator_traitsISG_E10value_typeET2_T3_PNSH_ISM_E10value_typeET4_T5_PSR_SS_PNS1_23onesweep_lookback_stateEbbT6_jjT7_P12ihipStream_tbENKUlT_T0_SG_SL_E_clIS9_SA_SB_SB_EEDaSZ_S10_SG_SL_EUlSZ_E_NS1_11comp_targetILNS1_3genE10ELNS1_11target_archE1201ELNS1_3gpuE5ELNS1_3repE0EEENS1_47radix_sort_onesweep_sort_config_static_selectorELNS0_4arch9wavefront6targetE0EEEvSG_.uses_flat_scratch, 0
	.set _ZN7rocprim17ROCPRIM_400000_NS6detail17trampoline_kernelINS0_14default_configENS1_35radix_sort_onesweep_config_selectorIdNS0_10empty_typeEEEZZNS1_29radix_sort_onesweep_iterationIS3_Lb0EPKdPdPS5_SB_mNS0_19identity_decomposerENS1_16block_id_wrapperIjLb0EEEEE10hipError_tT1_PNSt15iterator_traitsISG_E10value_typeET2_T3_PNSH_ISM_E10value_typeET4_T5_PSR_SS_PNS1_23onesweep_lookback_stateEbbT6_jjT7_P12ihipStream_tbENKUlT_T0_SG_SL_E_clIS9_SA_SB_SB_EEDaSZ_S10_SG_SL_EUlSZ_E_NS1_11comp_targetILNS1_3genE10ELNS1_11target_archE1201ELNS1_3gpuE5ELNS1_3repE0EEENS1_47radix_sort_onesweep_sort_config_static_selectorELNS0_4arch9wavefront6targetE0EEEvSG_.has_dyn_sized_stack, 0
	.set _ZN7rocprim17ROCPRIM_400000_NS6detail17trampoline_kernelINS0_14default_configENS1_35radix_sort_onesweep_config_selectorIdNS0_10empty_typeEEEZZNS1_29radix_sort_onesweep_iterationIS3_Lb0EPKdPdPS5_SB_mNS0_19identity_decomposerENS1_16block_id_wrapperIjLb0EEEEE10hipError_tT1_PNSt15iterator_traitsISG_E10value_typeET2_T3_PNSH_ISM_E10value_typeET4_T5_PSR_SS_PNS1_23onesweep_lookback_stateEbbT6_jjT7_P12ihipStream_tbENKUlT_T0_SG_SL_E_clIS9_SA_SB_SB_EEDaSZ_S10_SG_SL_EUlSZ_E_NS1_11comp_targetILNS1_3genE10ELNS1_11target_archE1201ELNS1_3gpuE5ELNS1_3repE0EEENS1_47radix_sort_onesweep_sort_config_static_selectorELNS0_4arch9wavefront6targetE0EEEvSG_.has_recursion, 0
	.set _ZN7rocprim17ROCPRIM_400000_NS6detail17trampoline_kernelINS0_14default_configENS1_35radix_sort_onesweep_config_selectorIdNS0_10empty_typeEEEZZNS1_29radix_sort_onesweep_iterationIS3_Lb0EPKdPdPS5_SB_mNS0_19identity_decomposerENS1_16block_id_wrapperIjLb0EEEEE10hipError_tT1_PNSt15iterator_traitsISG_E10value_typeET2_T3_PNSH_ISM_E10value_typeET4_T5_PSR_SS_PNS1_23onesweep_lookback_stateEbbT6_jjT7_P12ihipStream_tbENKUlT_T0_SG_SL_E_clIS9_SA_SB_SB_EEDaSZ_S10_SG_SL_EUlSZ_E_NS1_11comp_targetILNS1_3genE10ELNS1_11target_archE1201ELNS1_3gpuE5ELNS1_3repE0EEENS1_47radix_sort_onesweep_sort_config_static_selectorELNS0_4arch9wavefront6targetE0EEEvSG_.has_indirect_call, 0
	.section	.AMDGPU.csdata,"",@progbits
; Kernel info:
; codeLenInByte = 0
; TotalNumSgprs: 0
; NumVgprs: 0
; ScratchSize: 0
; MemoryBound: 0
; FloatMode: 240
; IeeeMode: 1
; LDSByteSize: 0 bytes/workgroup (compile time only)
; SGPRBlocks: 0
; VGPRBlocks: 0
; NumSGPRsForWavesPerEU: 1
; NumVGPRsForWavesPerEU: 1
; NamedBarCnt: 0
; Occupancy: 16
; WaveLimiterHint : 0
; COMPUTE_PGM_RSRC2:SCRATCH_EN: 0
; COMPUTE_PGM_RSRC2:USER_SGPR: 2
; COMPUTE_PGM_RSRC2:TRAP_HANDLER: 0
; COMPUTE_PGM_RSRC2:TGID_X_EN: 1
; COMPUTE_PGM_RSRC2:TGID_Y_EN: 0
; COMPUTE_PGM_RSRC2:TGID_Z_EN: 0
; COMPUTE_PGM_RSRC2:TIDIG_COMP_CNT: 0
	.section	.text._ZN7rocprim17ROCPRIM_400000_NS6detail17trampoline_kernelINS0_14default_configENS1_35radix_sort_onesweep_config_selectorIdNS0_10empty_typeEEEZZNS1_29radix_sort_onesweep_iterationIS3_Lb0EPKdPdPS5_SB_mNS0_19identity_decomposerENS1_16block_id_wrapperIjLb0EEEEE10hipError_tT1_PNSt15iterator_traitsISG_E10value_typeET2_T3_PNSH_ISM_E10value_typeET4_T5_PSR_SS_PNS1_23onesweep_lookback_stateEbbT6_jjT7_P12ihipStream_tbENKUlT_T0_SG_SL_E_clIS9_SA_SB_SB_EEDaSZ_S10_SG_SL_EUlSZ_E_NS1_11comp_targetILNS1_3genE9ELNS1_11target_archE1100ELNS1_3gpuE3ELNS1_3repE0EEENS1_47radix_sort_onesweep_sort_config_static_selectorELNS0_4arch9wavefront6targetE0EEEvSG_,"axG",@progbits,_ZN7rocprim17ROCPRIM_400000_NS6detail17trampoline_kernelINS0_14default_configENS1_35radix_sort_onesweep_config_selectorIdNS0_10empty_typeEEEZZNS1_29radix_sort_onesweep_iterationIS3_Lb0EPKdPdPS5_SB_mNS0_19identity_decomposerENS1_16block_id_wrapperIjLb0EEEEE10hipError_tT1_PNSt15iterator_traitsISG_E10value_typeET2_T3_PNSH_ISM_E10value_typeET4_T5_PSR_SS_PNS1_23onesweep_lookback_stateEbbT6_jjT7_P12ihipStream_tbENKUlT_T0_SG_SL_E_clIS9_SA_SB_SB_EEDaSZ_S10_SG_SL_EUlSZ_E_NS1_11comp_targetILNS1_3genE9ELNS1_11target_archE1100ELNS1_3gpuE3ELNS1_3repE0EEENS1_47radix_sort_onesweep_sort_config_static_selectorELNS0_4arch9wavefront6targetE0EEEvSG_,comdat
	.protected	_ZN7rocprim17ROCPRIM_400000_NS6detail17trampoline_kernelINS0_14default_configENS1_35radix_sort_onesweep_config_selectorIdNS0_10empty_typeEEEZZNS1_29radix_sort_onesweep_iterationIS3_Lb0EPKdPdPS5_SB_mNS0_19identity_decomposerENS1_16block_id_wrapperIjLb0EEEEE10hipError_tT1_PNSt15iterator_traitsISG_E10value_typeET2_T3_PNSH_ISM_E10value_typeET4_T5_PSR_SS_PNS1_23onesweep_lookback_stateEbbT6_jjT7_P12ihipStream_tbENKUlT_T0_SG_SL_E_clIS9_SA_SB_SB_EEDaSZ_S10_SG_SL_EUlSZ_E_NS1_11comp_targetILNS1_3genE9ELNS1_11target_archE1100ELNS1_3gpuE3ELNS1_3repE0EEENS1_47radix_sort_onesweep_sort_config_static_selectorELNS0_4arch9wavefront6targetE0EEEvSG_ ; -- Begin function _ZN7rocprim17ROCPRIM_400000_NS6detail17trampoline_kernelINS0_14default_configENS1_35radix_sort_onesweep_config_selectorIdNS0_10empty_typeEEEZZNS1_29radix_sort_onesweep_iterationIS3_Lb0EPKdPdPS5_SB_mNS0_19identity_decomposerENS1_16block_id_wrapperIjLb0EEEEE10hipError_tT1_PNSt15iterator_traitsISG_E10value_typeET2_T3_PNSH_ISM_E10value_typeET4_T5_PSR_SS_PNS1_23onesweep_lookback_stateEbbT6_jjT7_P12ihipStream_tbENKUlT_T0_SG_SL_E_clIS9_SA_SB_SB_EEDaSZ_S10_SG_SL_EUlSZ_E_NS1_11comp_targetILNS1_3genE9ELNS1_11target_archE1100ELNS1_3gpuE3ELNS1_3repE0EEENS1_47radix_sort_onesweep_sort_config_static_selectorELNS0_4arch9wavefront6targetE0EEEvSG_
	.globl	_ZN7rocprim17ROCPRIM_400000_NS6detail17trampoline_kernelINS0_14default_configENS1_35radix_sort_onesweep_config_selectorIdNS0_10empty_typeEEEZZNS1_29radix_sort_onesweep_iterationIS3_Lb0EPKdPdPS5_SB_mNS0_19identity_decomposerENS1_16block_id_wrapperIjLb0EEEEE10hipError_tT1_PNSt15iterator_traitsISG_E10value_typeET2_T3_PNSH_ISM_E10value_typeET4_T5_PSR_SS_PNS1_23onesweep_lookback_stateEbbT6_jjT7_P12ihipStream_tbENKUlT_T0_SG_SL_E_clIS9_SA_SB_SB_EEDaSZ_S10_SG_SL_EUlSZ_E_NS1_11comp_targetILNS1_3genE9ELNS1_11target_archE1100ELNS1_3gpuE3ELNS1_3repE0EEENS1_47radix_sort_onesweep_sort_config_static_selectorELNS0_4arch9wavefront6targetE0EEEvSG_
	.p2align	8
	.type	_ZN7rocprim17ROCPRIM_400000_NS6detail17trampoline_kernelINS0_14default_configENS1_35radix_sort_onesweep_config_selectorIdNS0_10empty_typeEEEZZNS1_29radix_sort_onesweep_iterationIS3_Lb0EPKdPdPS5_SB_mNS0_19identity_decomposerENS1_16block_id_wrapperIjLb0EEEEE10hipError_tT1_PNSt15iterator_traitsISG_E10value_typeET2_T3_PNSH_ISM_E10value_typeET4_T5_PSR_SS_PNS1_23onesweep_lookback_stateEbbT6_jjT7_P12ihipStream_tbENKUlT_T0_SG_SL_E_clIS9_SA_SB_SB_EEDaSZ_S10_SG_SL_EUlSZ_E_NS1_11comp_targetILNS1_3genE9ELNS1_11target_archE1100ELNS1_3gpuE3ELNS1_3repE0EEENS1_47radix_sort_onesweep_sort_config_static_selectorELNS0_4arch9wavefront6targetE0EEEvSG_,@function
_ZN7rocprim17ROCPRIM_400000_NS6detail17trampoline_kernelINS0_14default_configENS1_35radix_sort_onesweep_config_selectorIdNS0_10empty_typeEEEZZNS1_29radix_sort_onesweep_iterationIS3_Lb0EPKdPdPS5_SB_mNS0_19identity_decomposerENS1_16block_id_wrapperIjLb0EEEEE10hipError_tT1_PNSt15iterator_traitsISG_E10value_typeET2_T3_PNSH_ISM_E10value_typeET4_T5_PSR_SS_PNS1_23onesweep_lookback_stateEbbT6_jjT7_P12ihipStream_tbENKUlT_T0_SG_SL_E_clIS9_SA_SB_SB_EEDaSZ_S10_SG_SL_EUlSZ_E_NS1_11comp_targetILNS1_3genE9ELNS1_11target_archE1100ELNS1_3gpuE3ELNS1_3repE0EEENS1_47radix_sort_onesweep_sort_config_static_selectorELNS0_4arch9wavefront6targetE0EEEvSG_: ; @_ZN7rocprim17ROCPRIM_400000_NS6detail17trampoline_kernelINS0_14default_configENS1_35radix_sort_onesweep_config_selectorIdNS0_10empty_typeEEEZZNS1_29radix_sort_onesweep_iterationIS3_Lb0EPKdPdPS5_SB_mNS0_19identity_decomposerENS1_16block_id_wrapperIjLb0EEEEE10hipError_tT1_PNSt15iterator_traitsISG_E10value_typeET2_T3_PNSH_ISM_E10value_typeET4_T5_PSR_SS_PNS1_23onesweep_lookback_stateEbbT6_jjT7_P12ihipStream_tbENKUlT_T0_SG_SL_E_clIS9_SA_SB_SB_EEDaSZ_S10_SG_SL_EUlSZ_E_NS1_11comp_targetILNS1_3genE9ELNS1_11target_archE1100ELNS1_3gpuE3ELNS1_3repE0EEENS1_47radix_sort_onesweep_sort_config_static_selectorELNS0_4arch9wavefront6targetE0EEEvSG_
; %bb.0:
	.section	.rodata,"a",@progbits
	.p2align	6, 0x0
	.amdhsa_kernel _ZN7rocprim17ROCPRIM_400000_NS6detail17trampoline_kernelINS0_14default_configENS1_35radix_sort_onesweep_config_selectorIdNS0_10empty_typeEEEZZNS1_29radix_sort_onesweep_iterationIS3_Lb0EPKdPdPS5_SB_mNS0_19identity_decomposerENS1_16block_id_wrapperIjLb0EEEEE10hipError_tT1_PNSt15iterator_traitsISG_E10value_typeET2_T3_PNSH_ISM_E10value_typeET4_T5_PSR_SS_PNS1_23onesweep_lookback_stateEbbT6_jjT7_P12ihipStream_tbENKUlT_T0_SG_SL_E_clIS9_SA_SB_SB_EEDaSZ_S10_SG_SL_EUlSZ_E_NS1_11comp_targetILNS1_3genE9ELNS1_11target_archE1100ELNS1_3gpuE3ELNS1_3repE0EEENS1_47radix_sort_onesweep_sort_config_static_selectorELNS0_4arch9wavefront6targetE0EEEvSG_
		.amdhsa_group_segment_fixed_size 0
		.amdhsa_private_segment_fixed_size 0
		.amdhsa_kernarg_size 88
		.amdhsa_user_sgpr_count 2
		.amdhsa_user_sgpr_dispatch_ptr 0
		.amdhsa_user_sgpr_queue_ptr 0
		.amdhsa_user_sgpr_kernarg_segment_ptr 1
		.amdhsa_user_sgpr_dispatch_id 0
		.amdhsa_user_sgpr_kernarg_preload_length 0
		.amdhsa_user_sgpr_kernarg_preload_offset 0
		.amdhsa_user_sgpr_private_segment_size 0
		.amdhsa_wavefront_size32 1
		.amdhsa_uses_dynamic_stack 0
		.amdhsa_enable_private_segment 0
		.amdhsa_system_sgpr_workgroup_id_x 1
		.amdhsa_system_sgpr_workgroup_id_y 0
		.amdhsa_system_sgpr_workgroup_id_z 0
		.amdhsa_system_sgpr_workgroup_info 0
		.amdhsa_system_vgpr_workitem_id 0
		.amdhsa_next_free_vgpr 1
		.amdhsa_next_free_sgpr 1
		.amdhsa_named_barrier_count 0
		.amdhsa_reserve_vcc 0
		.amdhsa_float_round_mode_32 0
		.amdhsa_float_round_mode_16_64 0
		.amdhsa_float_denorm_mode_32 3
		.amdhsa_float_denorm_mode_16_64 3
		.amdhsa_fp16_overflow 0
		.amdhsa_memory_ordered 1
		.amdhsa_forward_progress 1
		.amdhsa_inst_pref_size 0
		.amdhsa_round_robin_scheduling 0
		.amdhsa_exception_fp_ieee_invalid_op 0
		.amdhsa_exception_fp_denorm_src 0
		.amdhsa_exception_fp_ieee_div_zero 0
		.amdhsa_exception_fp_ieee_overflow 0
		.amdhsa_exception_fp_ieee_underflow 0
		.amdhsa_exception_fp_ieee_inexact 0
		.amdhsa_exception_int_div_zero 0
	.end_amdhsa_kernel
	.section	.text._ZN7rocprim17ROCPRIM_400000_NS6detail17trampoline_kernelINS0_14default_configENS1_35radix_sort_onesweep_config_selectorIdNS0_10empty_typeEEEZZNS1_29radix_sort_onesweep_iterationIS3_Lb0EPKdPdPS5_SB_mNS0_19identity_decomposerENS1_16block_id_wrapperIjLb0EEEEE10hipError_tT1_PNSt15iterator_traitsISG_E10value_typeET2_T3_PNSH_ISM_E10value_typeET4_T5_PSR_SS_PNS1_23onesweep_lookback_stateEbbT6_jjT7_P12ihipStream_tbENKUlT_T0_SG_SL_E_clIS9_SA_SB_SB_EEDaSZ_S10_SG_SL_EUlSZ_E_NS1_11comp_targetILNS1_3genE9ELNS1_11target_archE1100ELNS1_3gpuE3ELNS1_3repE0EEENS1_47radix_sort_onesweep_sort_config_static_selectorELNS0_4arch9wavefront6targetE0EEEvSG_,"axG",@progbits,_ZN7rocprim17ROCPRIM_400000_NS6detail17trampoline_kernelINS0_14default_configENS1_35radix_sort_onesweep_config_selectorIdNS0_10empty_typeEEEZZNS1_29radix_sort_onesweep_iterationIS3_Lb0EPKdPdPS5_SB_mNS0_19identity_decomposerENS1_16block_id_wrapperIjLb0EEEEE10hipError_tT1_PNSt15iterator_traitsISG_E10value_typeET2_T3_PNSH_ISM_E10value_typeET4_T5_PSR_SS_PNS1_23onesweep_lookback_stateEbbT6_jjT7_P12ihipStream_tbENKUlT_T0_SG_SL_E_clIS9_SA_SB_SB_EEDaSZ_S10_SG_SL_EUlSZ_E_NS1_11comp_targetILNS1_3genE9ELNS1_11target_archE1100ELNS1_3gpuE3ELNS1_3repE0EEENS1_47radix_sort_onesweep_sort_config_static_selectorELNS0_4arch9wavefront6targetE0EEEvSG_,comdat
.Lfunc_end1630:
	.size	_ZN7rocprim17ROCPRIM_400000_NS6detail17trampoline_kernelINS0_14default_configENS1_35radix_sort_onesweep_config_selectorIdNS0_10empty_typeEEEZZNS1_29radix_sort_onesweep_iterationIS3_Lb0EPKdPdPS5_SB_mNS0_19identity_decomposerENS1_16block_id_wrapperIjLb0EEEEE10hipError_tT1_PNSt15iterator_traitsISG_E10value_typeET2_T3_PNSH_ISM_E10value_typeET4_T5_PSR_SS_PNS1_23onesweep_lookback_stateEbbT6_jjT7_P12ihipStream_tbENKUlT_T0_SG_SL_E_clIS9_SA_SB_SB_EEDaSZ_S10_SG_SL_EUlSZ_E_NS1_11comp_targetILNS1_3genE9ELNS1_11target_archE1100ELNS1_3gpuE3ELNS1_3repE0EEENS1_47radix_sort_onesweep_sort_config_static_selectorELNS0_4arch9wavefront6targetE0EEEvSG_, .Lfunc_end1630-_ZN7rocprim17ROCPRIM_400000_NS6detail17trampoline_kernelINS0_14default_configENS1_35radix_sort_onesweep_config_selectorIdNS0_10empty_typeEEEZZNS1_29radix_sort_onesweep_iterationIS3_Lb0EPKdPdPS5_SB_mNS0_19identity_decomposerENS1_16block_id_wrapperIjLb0EEEEE10hipError_tT1_PNSt15iterator_traitsISG_E10value_typeET2_T3_PNSH_ISM_E10value_typeET4_T5_PSR_SS_PNS1_23onesweep_lookback_stateEbbT6_jjT7_P12ihipStream_tbENKUlT_T0_SG_SL_E_clIS9_SA_SB_SB_EEDaSZ_S10_SG_SL_EUlSZ_E_NS1_11comp_targetILNS1_3genE9ELNS1_11target_archE1100ELNS1_3gpuE3ELNS1_3repE0EEENS1_47radix_sort_onesweep_sort_config_static_selectorELNS0_4arch9wavefront6targetE0EEEvSG_
                                        ; -- End function
	.set _ZN7rocprim17ROCPRIM_400000_NS6detail17trampoline_kernelINS0_14default_configENS1_35radix_sort_onesweep_config_selectorIdNS0_10empty_typeEEEZZNS1_29radix_sort_onesweep_iterationIS3_Lb0EPKdPdPS5_SB_mNS0_19identity_decomposerENS1_16block_id_wrapperIjLb0EEEEE10hipError_tT1_PNSt15iterator_traitsISG_E10value_typeET2_T3_PNSH_ISM_E10value_typeET4_T5_PSR_SS_PNS1_23onesweep_lookback_stateEbbT6_jjT7_P12ihipStream_tbENKUlT_T0_SG_SL_E_clIS9_SA_SB_SB_EEDaSZ_S10_SG_SL_EUlSZ_E_NS1_11comp_targetILNS1_3genE9ELNS1_11target_archE1100ELNS1_3gpuE3ELNS1_3repE0EEENS1_47radix_sort_onesweep_sort_config_static_selectorELNS0_4arch9wavefront6targetE0EEEvSG_.num_vgpr, 0
	.set _ZN7rocprim17ROCPRIM_400000_NS6detail17trampoline_kernelINS0_14default_configENS1_35radix_sort_onesweep_config_selectorIdNS0_10empty_typeEEEZZNS1_29radix_sort_onesweep_iterationIS3_Lb0EPKdPdPS5_SB_mNS0_19identity_decomposerENS1_16block_id_wrapperIjLb0EEEEE10hipError_tT1_PNSt15iterator_traitsISG_E10value_typeET2_T3_PNSH_ISM_E10value_typeET4_T5_PSR_SS_PNS1_23onesweep_lookback_stateEbbT6_jjT7_P12ihipStream_tbENKUlT_T0_SG_SL_E_clIS9_SA_SB_SB_EEDaSZ_S10_SG_SL_EUlSZ_E_NS1_11comp_targetILNS1_3genE9ELNS1_11target_archE1100ELNS1_3gpuE3ELNS1_3repE0EEENS1_47radix_sort_onesweep_sort_config_static_selectorELNS0_4arch9wavefront6targetE0EEEvSG_.num_agpr, 0
	.set _ZN7rocprim17ROCPRIM_400000_NS6detail17trampoline_kernelINS0_14default_configENS1_35radix_sort_onesweep_config_selectorIdNS0_10empty_typeEEEZZNS1_29radix_sort_onesweep_iterationIS3_Lb0EPKdPdPS5_SB_mNS0_19identity_decomposerENS1_16block_id_wrapperIjLb0EEEEE10hipError_tT1_PNSt15iterator_traitsISG_E10value_typeET2_T3_PNSH_ISM_E10value_typeET4_T5_PSR_SS_PNS1_23onesweep_lookback_stateEbbT6_jjT7_P12ihipStream_tbENKUlT_T0_SG_SL_E_clIS9_SA_SB_SB_EEDaSZ_S10_SG_SL_EUlSZ_E_NS1_11comp_targetILNS1_3genE9ELNS1_11target_archE1100ELNS1_3gpuE3ELNS1_3repE0EEENS1_47radix_sort_onesweep_sort_config_static_selectorELNS0_4arch9wavefront6targetE0EEEvSG_.numbered_sgpr, 0
	.set _ZN7rocprim17ROCPRIM_400000_NS6detail17trampoline_kernelINS0_14default_configENS1_35radix_sort_onesweep_config_selectorIdNS0_10empty_typeEEEZZNS1_29radix_sort_onesweep_iterationIS3_Lb0EPKdPdPS5_SB_mNS0_19identity_decomposerENS1_16block_id_wrapperIjLb0EEEEE10hipError_tT1_PNSt15iterator_traitsISG_E10value_typeET2_T3_PNSH_ISM_E10value_typeET4_T5_PSR_SS_PNS1_23onesweep_lookback_stateEbbT6_jjT7_P12ihipStream_tbENKUlT_T0_SG_SL_E_clIS9_SA_SB_SB_EEDaSZ_S10_SG_SL_EUlSZ_E_NS1_11comp_targetILNS1_3genE9ELNS1_11target_archE1100ELNS1_3gpuE3ELNS1_3repE0EEENS1_47radix_sort_onesweep_sort_config_static_selectorELNS0_4arch9wavefront6targetE0EEEvSG_.num_named_barrier, 0
	.set _ZN7rocprim17ROCPRIM_400000_NS6detail17trampoline_kernelINS0_14default_configENS1_35radix_sort_onesweep_config_selectorIdNS0_10empty_typeEEEZZNS1_29radix_sort_onesweep_iterationIS3_Lb0EPKdPdPS5_SB_mNS0_19identity_decomposerENS1_16block_id_wrapperIjLb0EEEEE10hipError_tT1_PNSt15iterator_traitsISG_E10value_typeET2_T3_PNSH_ISM_E10value_typeET4_T5_PSR_SS_PNS1_23onesweep_lookback_stateEbbT6_jjT7_P12ihipStream_tbENKUlT_T0_SG_SL_E_clIS9_SA_SB_SB_EEDaSZ_S10_SG_SL_EUlSZ_E_NS1_11comp_targetILNS1_3genE9ELNS1_11target_archE1100ELNS1_3gpuE3ELNS1_3repE0EEENS1_47radix_sort_onesweep_sort_config_static_selectorELNS0_4arch9wavefront6targetE0EEEvSG_.private_seg_size, 0
	.set _ZN7rocprim17ROCPRIM_400000_NS6detail17trampoline_kernelINS0_14default_configENS1_35radix_sort_onesweep_config_selectorIdNS0_10empty_typeEEEZZNS1_29radix_sort_onesweep_iterationIS3_Lb0EPKdPdPS5_SB_mNS0_19identity_decomposerENS1_16block_id_wrapperIjLb0EEEEE10hipError_tT1_PNSt15iterator_traitsISG_E10value_typeET2_T3_PNSH_ISM_E10value_typeET4_T5_PSR_SS_PNS1_23onesweep_lookback_stateEbbT6_jjT7_P12ihipStream_tbENKUlT_T0_SG_SL_E_clIS9_SA_SB_SB_EEDaSZ_S10_SG_SL_EUlSZ_E_NS1_11comp_targetILNS1_3genE9ELNS1_11target_archE1100ELNS1_3gpuE3ELNS1_3repE0EEENS1_47radix_sort_onesweep_sort_config_static_selectorELNS0_4arch9wavefront6targetE0EEEvSG_.uses_vcc, 0
	.set _ZN7rocprim17ROCPRIM_400000_NS6detail17trampoline_kernelINS0_14default_configENS1_35radix_sort_onesweep_config_selectorIdNS0_10empty_typeEEEZZNS1_29radix_sort_onesweep_iterationIS3_Lb0EPKdPdPS5_SB_mNS0_19identity_decomposerENS1_16block_id_wrapperIjLb0EEEEE10hipError_tT1_PNSt15iterator_traitsISG_E10value_typeET2_T3_PNSH_ISM_E10value_typeET4_T5_PSR_SS_PNS1_23onesweep_lookback_stateEbbT6_jjT7_P12ihipStream_tbENKUlT_T0_SG_SL_E_clIS9_SA_SB_SB_EEDaSZ_S10_SG_SL_EUlSZ_E_NS1_11comp_targetILNS1_3genE9ELNS1_11target_archE1100ELNS1_3gpuE3ELNS1_3repE0EEENS1_47radix_sort_onesweep_sort_config_static_selectorELNS0_4arch9wavefront6targetE0EEEvSG_.uses_flat_scratch, 0
	.set _ZN7rocprim17ROCPRIM_400000_NS6detail17trampoline_kernelINS0_14default_configENS1_35radix_sort_onesweep_config_selectorIdNS0_10empty_typeEEEZZNS1_29radix_sort_onesweep_iterationIS3_Lb0EPKdPdPS5_SB_mNS0_19identity_decomposerENS1_16block_id_wrapperIjLb0EEEEE10hipError_tT1_PNSt15iterator_traitsISG_E10value_typeET2_T3_PNSH_ISM_E10value_typeET4_T5_PSR_SS_PNS1_23onesweep_lookback_stateEbbT6_jjT7_P12ihipStream_tbENKUlT_T0_SG_SL_E_clIS9_SA_SB_SB_EEDaSZ_S10_SG_SL_EUlSZ_E_NS1_11comp_targetILNS1_3genE9ELNS1_11target_archE1100ELNS1_3gpuE3ELNS1_3repE0EEENS1_47radix_sort_onesweep_sort_config_static_selectorELNS0_4arch9wavefront6targetE0EEEvSG_.has_dyn_sized_stack, 0
	.set _ZN7rocprim17ROCPRIM_400000_NS6detail17trampoline_kernelINS0_14default_configENS1_35radix_sort_onesweep_config_selectorIdNS0_10empty_typeEEEZZNS1_29radix_sort_onesweep_iterationIS3_Lb0EPKdPdPS5_SB_mNS0_19identity_decomposerENS1_16block_id_wrapperIjLb0EEEEE10hipError_tT1_PNSt15iterator_traitsISG_E10value_typeET2_T3_PNSH_ISM_E10value_typeET4_T5_PSR_SS_PNS1_23onesweep_lookback_stateEbbT6_jjT7_P12ihipStream_tbENKUlT_T0_SG_SL_E_clIS9_SA_SB_SB_EEDaSZ_S10_SG_SL_EUlSZ_E_NS1_11comp_targetILNS1_3genE9ELNS1_11target_archE1100ELNS1_3gpuE3ELNS1_3repE0EEENS1_47radix_sort_onesweep_sort_config_static_selectorELNS0_4arch9wavefront6targetE0EEEvSG_.has_recursion, 0
	.set _ZN7rocprim17ROCPRIM_400000_NS6detail17trampoline_kernelINS0_14default_configENS1_35radix_sort_onesweep_config_selectorIdNS0_10empty_typeEEEZZNS1_29radix_sort_onesweep_iterationIS3_Lb0EPKdPdPS5_SB_mNS0_19identity_decomposerENS1_16block_id_wrapperIjLb0EEEEE10hipError_tT1_PNSt15iterator_traitsISG_E10value_typeET2_T3_PNSH_ISM_E10value_typeET4_T5_PSR_SS_PNS1_23onesweep_lookback_stateEbbT6_jjT7_P12ihipStream_tbENKUlT_T0_SG_SL_E_clIS9_SA_SB_SB_EEDaSZ_S10_SG_SL_EUlSZ_E_NS1_11comp_targetILNS1_3genE9ELNS1_11target_archE1100ELNS1_3gpuE3ELNS1_3repE0EEENS1_47radix_sort_onesweep_sort_config_static_selectorELNS0_4arch9wavefront6targetE0EEEvSG_.has_indirect_call, 0
	.section	.AMDGPU.csdata,"",@progbits
; Kernel info:
; codeLenInByte = 0
; TotalNumSgprs: 0
; NumVgprs: 0
; ScratchSize: 0
; MemoryBound: 0
; FloatMode: 240
; IeeeMode: 1
; LDSByteSize: 0 bytes/workgroup (compile time only)
; SGPRBlocks: 0
; VGPRBlocks: 0
; NumSGPRsForWavesPerEU: 1
; NumVGPRsForWavesPerEU: 1
; NamedBarCnt: 0
; Occupancy: 16
; WaveLimiterHint : 0
; COMPUTE_PGM_RSRC2:SCRATCH_EN: 0
; COMPUTE_PGM_RSRC2:USER_SGPR: 2
; COMPUTE_PGM_RSRC2:TRAP_HANDLER: 0
; COMPUTE_PGM_RSRC2:TGID_X_EN: 1
; COMPUTE_PGM_RSRC2:TGID_Y_EN: 0
; COMPUTE_PGM_RSRC2:TGID_Z_EN: 0
; COMPUTE_PGM_RSRC2:TIDIG_COMP_CNT: 0
	.section	.text._ZN7rocprim17ROCPRIM_400000_NS6detail17trampoline_kernelINS0_14default_configENS1_35radix_sort_onesweep_config_selectorIdNS0_10empty_typeEEEZZNS1_29radix_sort_onesweep_iterationIS3_Lb0EPKdPdPS5_SB_mNS0_19identity_decomposerENS1_16block_id_wrapperIjLb0EEEEE10hipError_tT1_PNSt15iterator_traitsISG_E10value_typeET2_T3_PNSH_ISM_E10value_typeET4_T5_PSR_SS_PNS1_23onesweep_lookback_stateEbbT6_jjT7_P12ihipStream_tbENKUlT_T0_SG_SL_E_clIS9_SA_SB_SB_EEDaSZ_S10_SG_SL_EUlSZ_E_NS1_11comp_targetILNS1_3genE8ELNS1_11target_archE1030ELNS1_3gpuE2ELNS1_3repE0EEENS1_47radix_sort_onesweep_sort_config_static_selectorELNS0_4arch9wavefront6targetE0EEEvSG_,"axG",@progbits,_ZN7rocprim17ROCPRIM_400000_NS6detail17trampoline_kernelINS0_14default_configENS1_35radix_sort_onesweep_config_selectorIdNS0_10empty_typeEEEZZNS1_29radix_sort_onesweep_iterationIS3_Lb0EPKdPdPS5_SB_mNS0_19identity_decomposerENS1_16block_id_wrapperIjLb0EEEEE10hipError_tT1_PNSt15iterator_traitsISG_E10value_typeET2_T3_PNSH_ISM_E10value_typeET4_T5_PSR_SS_PNS1_23onesweep_lookback_stateEbbT6_jjT7_P12ihipStream_tbENKUlT_T0_SG_SL_E_clIS9_SA_SB_SB_EEDaSZ_S10_SG_SL_EUlSZ_E_NS1_11comp_targetILNS1_3genE8ELNS1_11target_archE1030ELNS1_3gpuE2ELNS1_3repE0EEENS1_47radix_sort_onesweep_sort_config_static_selectorELNS0_4arch9wavefront6targetE0EEEvSG_,comdat
	.protected	_ZN7rocprim17ROCPRIM_400000_NS6detail17trampoline_kernelINS0_14default_configENS1_35radix_sort_onesweep_config_selectorIdNS0_10empty_typeEEEZZNS1_29radix_sort_onesweep_iterationIS3_Lb0EPKdPdPS5_SB_mNS0_19identity_decomposerENS1_16block_id_wrapperIjLb0EEEEE10hipError_tT1_PNSt15iterator_traitsISG_E10value_typeET2_T3_PNSH_ISM_E10value_typeET4_T5_PSR_SS_PNS1_23onesweep_lookback_stateEbbT6_jjT7_P12ihipStream_tbENKUlT_T0_SG_SL_E_clIS9_SA_SB_SB_EEDaSZ_S10_SG_SL_EUlSZ_E_NS1_11comp_targetILNS1_3genE8ELNS1_11target_archE1030ELNS1_3gpuE2ELNS1_3repE0EEENS1_47radix_sort_onesweep_sort_config_static_selectorELNS0_4arch9wavefront6targetE0EEEvSG_ ; -- Begin function _ZN7rocprim17ROCPRIM_400000_NS6detail17trampoline_kernelINS0_14default_configENS1_35radix_sort_onesweep_config_selectorIdNS0_10empty_typeEEEZZNS1_29radix_sort_onesweep_iterationIS3_Lb0EPKdPdPS5_SB_mNS0_19identity_decomposerENS1_16block_id_wrapperIjLb0EEEEE10hipError_tT1_PNSt15iterator_traitsISG_E10value_typeET2_T3_PNSH_ISM_E10value_typeET4_T5_PSR_SS_PNS1_23onesweep_lookback_stateEbbT6_jjT7_P12ihipStream_tbENKUlT_T0_SG_SL_E_clIS9_SA_SB_SB_EEDaSZ_S10_SG_SL_EUlSZ_E_NS1_11comp_targetILNS1_3genE8ELNS1_11target_archE1030ELNS1_3gpuE2ELNS1_3repE0EEENS1_47radix_sort_onesweep_sort_config_static_selectorELNS0_4arch9wavefront6targetE0EEEvSG_
	.globl	_ZN7rocprim17ROCPRIM_400000_NS6detail17trampoline_kernelINS0_14default_configENS1_35radix_sort_onesweep_config_selectorIdNS0_10empty_typeEEEZZNS1_29radix_sort_onesweep_iterationIS3_Lb0EPKdPdPS5_SB_mNS0_19identity_decomposerENS1_16block_id_wrapperIjLb0EEEEE10hipError_tT1_PNSt15iterator_traitsISG_E10value_typeET2_T3_PNSH_ISM_E10value_typeET4_T5_PSR_SS_PNS1_23onesweep_lookback_stateEbbT6_jjT7_P12ihipStream_tbENKUlT_T0_SG_SL_E_clIS9_SA_SB_SB_EEDaSZ_S10_SG_SL_EUlSZ_E_NS1_11comp_targetILNS1_3genE8ELNS1_11target_archE1030ELNS1_3gpuE2ELNS1_3repE0EEENS1_47radix_sort_onesweep_sort_config_static_selectorELNS0_4arch9wavefront6targetE0EEEvSG_
	.p2align	8
	.type	_ZN7rocprim17ROCPRIM_400000_NS6detail17trampoline_kernelINS0_14default_configENS1_35radix_sort_onesweep_config_selectorIdNS0_10empty_typeEEEZZNS1_29radix_sort_onesweep_iterationIS3_Lb0EPKdPdPS5_SB_mNS0_19identity_decomposerENS1_16block_id_wrapperIjLb0EEEEE10hipError_tT1_PNSt15iterator_traitsISG_E10value_typeET2_T3_PNSH_ISM_E10value_typeET4_T5_PSR_SS_PNS1_23onesweep_lookback_stateEbbT6_jjT7_P12ihipStream_tbENKUlT_T0_SG_SL_E_clIS9_SA_SB_SB_EEDaSZ_S10_SG_SL_EUlSZ_E_NS1_11comp_targetILNS1_3genE8ELNS1_11target_archE1030ELNS1_3gpuE2ELNS1_3repE0EEENS1_47radix_sort_onesweep_sort_config_static_selectorELNS0_4arch9wavefront6targetE0EEEvSG_,@function
_ZN7rocprim17ROCPRIM_400000_NS6detail17trampoline_kernelINS0_14default_configENS1_35radix_sort_onesweep_config_selectorIdNS0_10empty_typeEEEZZNS1_29radix_sort_onesweep_iterationIS3_Lb0EPKdPdPS5_SB_mNS0_19identity_decomposerENS1_16block_id_wrapperIjLb0EEEEE10hipError_tT1_PNSt15iterator_traitsISG_E10value_typeET2_T3_PNSH_ISM_E10value_typeET4_T5_PSR_SS_PNS1_23onesweep_lookback_stateEbbT6_jjT7_P12ihipStream_tbENKUlT_T0_SG_SL_E_clIS9_SA_SB_SB_EEDaSZ_S10_SG_SL_EUlSZ_E_NS1_11comp_targetILNS1_3genE8ELNS1_11target_archE1030ELNS1_3gpuE2ELNS1_3repE0EEENS1_47radix_sort_onesweep_sort_config_static_selectorELNS0_4arch9wavefront6targetE0EEEvSG_: ; @_ZN7rocprim17ROCPRIM_400000_NS6detail17trampoline_kernelINS0_14default_configENS1_35radix_sort_onesweep_config_selectorIdNS0_10empty_typeEEEZZNS1_29radix_sort_onesweep_iterationIS3_Lb0EPKdPdPS5_SB_mNS0_19identity_decomposerENS1_16block_id_wrapperIjLb0EEEEE10hipError_tT1_PNSt15iterator_traitsISG_E10value_typeET2_T3_PNSH_ISM_E10value_typeET4_T5_PSR_SS_PNS1_23onesweep_lookback_stateEbbT6_jjT7_P12ihipStream_tbENKUlT_T0_SG_SL_E_clIS9_SA_SB_SB_EEDaSZ_S10_SG_SL_EUlSZ_E_NS1_11comp_targetILNS1_3genE8ELNS1_11target_archE1030ELNS1_3gpuE2ELNS1_3repE0EEENS1_47radix_sort_onesweep_sort_config_static_selectorELNS0_4arch9wavefront6targetE0EEEvSG_
; %bb.0:
	.section	.rodata,"a",@progbits
	.p2align	6, 0x0
	.amdhsa_kernel _ZN7rocprim17ROCPRIM_400000_NS6detail17trampoline_kernelINS0_14default_configENS1_35radix_sort_onesweep_config_selectorIdNS0_10empty_typeEEEZZNS1_29radix_sort_onesweep_iterationIS3_Lb0EPKdPdPS5_SB_mNS0_19identity_decomposerENS1_16block_id_wrapperIjLb0EEEEE10hipError_tT1_PNSt15iterator_traitsISG_E10value_typeET2_T3_PNSH_ISM_E10value_typeET4_T5_PSR_SS_PNS1_23onesweep_lookback_stateEbbT6_jjT7_P12ihipStream_tbENKUlT_T0_SG_SL_E_clIS9_SA_SB_SB_EEDaSZ_S10_SG_SL_EUlSZ_E_NS1_11comp_targetILNS1_3genE8ELNS1_11target_archE1030ELNS1_3gpuE2ELNS1_3repE0EEENS1_47radix_sort_onesweep_sort_config_static_selectorELNS0_4arch9wavefront6targetE0EEEvSG_
		.amdhsa_group_segment_fixed_size 0
		.amdhsa_private_segment_fixed_size 0
		.amdhsa_kernarg_size 88
		.amdhsa_user_sgpr_count 2
		.amdhsa_user_sgpr_dispatch_ptr 0
		.amdhsa_user_sgpr_queue_ptr 0
		.amdhsa_user_sgpr_kernarg_segment_ptr 1
		.amdhsa_user_sgpr_dispatch_id 0
		.amdhsa_user_sgpr_kernarg_preload_length 0
		.amdhsa_user_sgpr_kernarg_preload_offset 0
		.amdhsa_user_sgpr_private_segment_size 0
		.amdhsa_wavefront_size32 1
		.amdhsa_uses_dynamic_stack 0
		.amdhsa_enable_private_segment 0
		.amdhsa_system_sgpr_workgroup_id_x 1
		.amdhsa_system_sgpr_workgroup_id_y 0
		.amdhsa_system_sgpr_workgroup_id_z 0
		.amdhsa_system_sgpr_workgroup_info 0
		.amdhsa_system_vgpr_workitem_id 0
		.amdhsa_next_free_vgpr 1
		.amdhsa_next_free_sgpr 1
		.amdhsa_named_barrier_count 0
		.amdhsa_reserve_vcc 0
		.amdhsa_float_round_mode_32 0
		.amdhsa_float_round_mode_16_64 0
		.amdhsa_float_denorm_mode_32 3
		.amdhsa_float_denorm_mode_16_64 3
		.amdhsa_fp16_overflow 0
		.amdhsa_memory_ordered 1
		.amdhsa_forward_progress 1
		.amdhsa_inst_pref_size 0
		.amdhsa_round_robin_scheduling 0
		.amdhsa_exception_fp_ieee_invalid_op 0
		.amdhsa_exception_fp_denorm_src 0
		.amdhsa_exception_fp_ieee_div_zero 0
		.amdhsa_exception_fp_ieee_overflow 0
		.amdhsa_exception_fp_ieee_underflow 0
		.amdhsa_exception_fp_ieee_inexact 0
		.amdhsa_exception_int_div_zero 0
	.end_amdhsa_kernel
	.section	.text._ZN7rocprim17ROCPRIM_400000_NS6detail17trampoline_kernelINS0_14default_configENS1_35radix_sort_onesweep_config_selectorIdNS0_10empty_typeEEEZZNS1_29radix_sort_onesweep_iterationIS3_Lb0EPKdPdPS5_SB_mNS0_19identity_decomposerENS1_16block_id_wrapperIjLb0EEEEE10hipError_tT1_PNSt15iterator_traitsISG_E10value_typeET2_T3_PNSH_ISM_E10value_typeET4_T5_PSR_SS_PNS1_23onesweep_lookback_stateEbbT6_jjT7_P12ihipStream_tbENKUlT_T0_SG_SL_E_clIS9_SA_SB_SB_EEDaSZ_S10_SG_SL_EUlSZ_E_NS1_11comp_targetILNS1_3genE8ELNS1_11target_archE1030ELNS1_3gpuE2ELNS1_3repE0EEENS1_47radix_sort_onesweep_sort_config_static_selectorELNS0_4arch9wavefront6targetE0EEEvSG_,"axG",@progbits,_ZN7rocprim17ROCPRIM_400000_NS6detail17trampoline_kernelINS0_14default_configENS1_35radix_sort_onesweep_config_selectorIdNS0_10empty_typeEEEZZNS1_29radix_sort_onesweep_iterationIS3_Lb0EPKdPdPS5_SB_mNS0_19identity_decomposerENS1_16block_id_wrapperIjLb0EEEEE10hipError_tT1_PNSt15iterator_traitsISG_E10value_typeET2_T3_PNSH_ISM_E10value_typeET4_T5_PSR_SS_PNS1_23onesweep_lookback_stateEbbT6_jjT7_P12ihipStream_tbENKUlT_T0_SG_SL_E_clIS9_SA_SB_SB_EEDaSZ_S10_SG_SL_EUlSZ_E_NS1_11comp_targetILNS1_3genE8ELNS1_11target_archE1030ELNS1_3gpuE2ELNS1_3repE0EEENS1_47radix_sort_onesweep_sort_config_static_selectorELNS0_4arch9wavefront6targetE0EEEvSG_,comdat
.Lfunc_end1631:
	.size	_ZN7rocprim17ROCPRIM_400000_NS6detail17trampoline_kernelINS0_14default_configENS1_35radix_sort_onesweep_config_selectorIdNS0_10empty_typeEEEZZNS1_29radix_sort_onesweep_iterationIS3_Lb0EPKdPdPS5_SB_mNS0_19identity_decomposerENS1_16block_id_wrapperIjLb0EEEEE10hipError_tT1_PNSt15iterator_traitsISG_E10value_typeET2_T3_PNSH_ISM_E10value_typeET4_T5_PSR_SS_PNS1_23onesweep_lookback_stateEbbT6_jjT7_P12ihipStream_tbENKUlT_T0_SG_SL_E_clIS9_SA_SB_SB_EEDaSZ_S10_SG_SL_EUlSZ_E_NS1_11comp_targetILNS1_3genE8ELNS1_11target_archE1030ELNS1_3gpuE2ELNS1_3repE0EEENS1_47radix_sort_onesweep_sort_config_static_selectorELNS0_4arch9wavefront6targetE0EEEvSG_, .Lfunc_end1631-_ZN7rocprim17ROCPRIM_400000_NS6detail17trampoline_kernelINS0_14default_configENS1_35radix_sort_onesweep_config_selectorIdNS0_10empty_typeEEEZZNS1_29radix_sort_onesweep_iterationIS3_Lb0EPKdPdPS5_SB_mNS0_19identity_decomposerENS1_16block_id_wrapperIjLb0EEEEE10hipError_tT1_PNSt15iterator_traitsISG_E10value_typeET2_T3_PNSH_ISM_E10value_typeET4_T5_PSR_SS_PNS1_23onesweep_lookback_stateEbbT6_jjT7_P12ihipStream_tbENKUlT_T0_SG_SL_E_clIS9_SA_SB_SB_EEDaSZ_S10_SG_SL_EUlSZ_E_NS1_11comp_targetILNS1_3genE8ELNS1_11target_archE1030ELNS1_3gpuE2ELNS1_3repE0EEENS1_47radix_sort_onesweep_sort_config_static_selectorELNS0_4arch9wavefront6targetE0EEEvSG_
                                        ; -- End function
	.set _ZN7rocprim17ROCPRIM_400000_NS6detail17trampoline_kernelINS0_14default_configENS1_35radix_sort_onesweep_config_selectorIdNS0_10empty_typeEEEZZNS1_29radix_sort_onesweep_iterationIS3_Lb0EPKdPdPS5_SB_mNS0_19identity_decomposerENS1_16block_id_wrapperIjLb0EEEEE10hipError_tT1_PNSt15iterator_traitsISG_E10value_typeET2_T3_PNSH_ISM_E10value_typeET4_T5_PSR_SS_PNS1_23onesweep_lookback_stateEbbT6_jjT7_P12ihipStream_tbENKUlT_T0_SG_SL_E_clIS9_SA_SB_SB_EEDaSZ_S10_SG_SL_EUlSZ_E_NS1_11comp_targetILNS1_3genE8ELNS1_11target_archE1030ELNS1_3gpuE2ELNS1_3repE0EEENS1_47radix_sort_onesweep_sort_config_static_selectorELNS0_4arch9wavefront6targetE0EEEvSG_.num_vgpr, 0
	.set _ZN7rocprim17ROCPRIM_400000_NS6detail17trampoline_kernelINS0_14default_configENS1_35radix_sort_onesweep_config_selectorIdNS0_10empty_typeEEEZZNS1_29radix_sort_onesweep_iterationIS3_Lb0EPKdPdPS5_SB_mNS0_19identity_decomposerENS1_16block_id_wrapperIjLb0EEEEE10hipError_tT1_PNSt15iterator_traitsISG_E10value_typeET2_T3_PNSH_ISM_E10value_typeET4_T5_PSR_SS_PNS1_23onesweep_lookback_stateEbbT6_jjT7_P12ihipStream_tbENKUlT_T0_SG_SL_E_clIS9_SA_SB_SB_EEDaSZ_S10_SG_SL_EUlSZ_E_NS1_11comp_targetILNS1_3genE8ELNS1_11target_archE1030ELNS1_3gpuE2ELNS1_3repE0EEENS1_47radix_sort_onesweep_sort_config_static_selectorELNS0_4arch9wavefront6targetE0EEEvSG_.num_agpr, 0
	.set _ZN7rocprim17ROCPRIM_400000_NS6detail17trampoline_kernelINS0_14default_configENS1_35radix_sort_onesweep_config_selectorIdNS0_10empty_typeEEEZZNS1_29radix_sort_onesweep_iterationIS3_Lb0EPKdPdPS5_SB_mNS0_19identity_decomposerENS1_16block_id_wrapperIjLb0EEEEE10hipError_tT1_PNSt15iterator_traitsISG_E10value_typeET2_T3_PNSH_ISM_E10value_typeET4_T5_PSR_SS_PNS1_23onesweep_lookback_stateEbbT6_jjT7_P12ihipStream_tbENKUlT_T0_SG_SL_E_clIS9_SA_SB_SB_EEDaSZ_S10_SG_SL_EUlSZ_E_NS1_11comp_targetILNS1_3genE8ELNS1_11target_archE1030ELNS1_3gpuE2ELNS1_3repE0EEENS1_47radix_sort_onesweep_sort_config_static_selectorELNS0_4arch9wavefront6targetE0EEEvSG_.numbered_sgpr, 0
	.set _ZN7rocprim17ROCPRIM_400000_NS6detail17trampoline_kernelINS0_14default_configENS1_35radix_sort_onesweep_config_selectorIdNS0_10empty_typeEEEZZNS1_29radix_sort_onesweep_iterationIS3_Lb0EPKdPdPS5_SB_mNS0_19identity_decomposerENS1_16block_id_wrapperIjLb0EEEEE10hipError_tT1_PNSt15iterator_traitsISG_E10value_typeET2_T3_PNSH_ISM_E10value_typeET4_T5_PSR_SS_PNS1_23onesweep_lookback_stateEbbT6_jjT7_P12ihipStream_tbENKUlT_T0_SG_SL_E_clIS9_SA_SB_SB_EEDaSZ_S10_SG_SL_EUlSZ_E_NS1_11comp_targetILNS1_3genE8ELNS1_11target_archE1030ELNS1_3gpuE2ELNS1_3repE0EEENS1_47radix_sort_onesweep_sort_config_static_selectorELNS0_4arch9wavefront6targetE0EEEvSG_.num_named_barrier, 0
	.set _ZN7rocprim17ROCPRIM_400000_NS6detail17trampoline_kernelINS0_14default_configENS1_35radix_sort_onesweep_config_selectorIdNS0_10empty_typeEEEZZNS1_29radix_sort_onesweep_iterationIS3_Lb0EPKdPdPS5_SB_mNS0_19identity_decomposerENS1_16block_id_wrapperIjLb0EEEEE10hipError_tT1_PNSt15iterator_traitsISG_E10value_typeET2_T3_PNSH_ISM_E10value_typeET4_T5_PSR_SS_PNS1_23onesweep_lookback_stateEbbT6_jjT7_P12ihipStream_tbENKUlT_T0_SG_SL_E_clIS9_SA_SB_SB_EEDaSZ_S10_SG_SL_EUlSZ_E_NS1_11comp_targetILNS1_3genE8ELNS1_11target_archE1030ELNS1_3gpuE2ELNS1_3repE0EEENS1_47radix_sort_onesweep_sort_config_static_selectorELNS0_4arch9wavefront6targetE0EEEvSG_.private_seg_size, 0
	.set _ZN7rocprim17ROCPRIM_400000_NS6detail17trampoline_kernelINS0_14default_configENS1_35radix_sort_onesweep_config_selectorIdNS0_10empty_typeEEEZZNS1_29radix_sort_onesweep_iterationIS3_Lb0EPKdPdPS5_SB_mNS0_19identity_decomposerENS1_16block_id_wrapperIjLb0EEEEE10hipError_tT1_PNSt15iterator_traitsISG_E10value_typeET2_T3_PNSH_ISM_E10value_typeET4_T5_PSR_SS_PNS1_23onesweep_lookback_stateEbbT6_jjT7_P12ihipStream_tbENKUlT_T0_SG_SL_E_clIS9_SA_SB_SB_EEDaSZ_S10_SG_SL_EUlSZ_E_NS1_11comp_targetILNS1_3genE8ELNS1_11target_archE1030ELNS1_3gpuE2ELNS1_3repE0EEENS1_47radix_sort_onesweep_sort_config_static_selectorELNS0_4arch9wavefront6targetE0EEEvSG_.uses_vcc, 0
	.set _ZN7rocprim17ROCPRIM_400000_NS6detail17trampoline_kernelINS0_14default_configENS1_35radix_sort_onesweep_config_selectorIdNS0_10empty_typeEEEZZNS1_29radix_sort_onesweep_iterationIS3_Lb0EPKdPdPS5_SB_mNS0_19identity_decomposerENS1_16block_id_wrapperIjLb0EEEEE10hipError_tT1_PNSt15iterator_traitsISG_E10value_typeET2_T3_PNSH_ISM_E10value_typeET4_T5_PSR_SS_PNS1_23onesweep_lookback_stateEbbT6_jjT7_P12ihipStream_tbENKUlT_T0_SG_SL_E_clIS9_SA_SB_SB_EEDaSZ_S10_SG_SL_EUlSZ_E_NS1_11comp_targetILNS1_3genE8ELNS1_11target_archE1030ELNS1_3gpuE2ELNS1_3repE0EEENS1_47radix_sort_onesweep_sort_config_static_selectorELNS0_4arch9wavefront6targetE0EEEvSG_.uses_flat_scratch, 0
	.set _ZN7rocprim17ROCPRIM_400000_NS6detail17trampoline_kernelINS0_14default_configENS1_35radix_sort_onesweep_config_selectorIdNS0_10empty_typeEEEZZNS1_29radix_sort_onesweep_iterationIS3_Lb0EPKdPdPS5_SB_mNS0_19identity_decomposerENS1_16block_id_wrapperIjLb0EEEEE10hipError_tT1_PNSt15iterator_traitsISG_E10value_typeET2_T3_PNSH_ISM_E10value_typeET4_T5_PSR_SS_PNS1_23onesweep_lookback_stateEbbT6_jjT7_P12ihipStream_tbENKUlT_T0_SG_SL_E_clIS9_SA_SB_SB_EEDaSZ_S10_SG_SL_EUlSZ_E_NS1_11comp_targetILNS1_3genE8ELNS1_11target_archE1030ELNS1_3gpuE2ELNS1_3repE0EEENS1_47radix_sort_onesweep_sort_config_static_selectorELNS0_4arch9wavefront6targetE0EEEvSG_.has_dyn_sized_stack, 0
	.set _ZN7rocprim17ROCPRIM_400000_NS6detail17trampoline_kernelINS0_14default_configENS1_35radix_sort_onesweep_config_selectorIdNS0_10empty_typeEEEZZNS1_29radix_sort_onesweep_iterationIS3_Lb0EPKdPdPS5_SB_mNS0_19identity_decomposerENS1_16block_id_wrapperIjLb0EEEEE10hipError_tT1_PNSt15iterator_traitsISG_E10value_typeET2_T3_PNSH_ISM_E10value_typeET4_T5_PSR_SS_PNS1_23onesweep_lookback_stateEbbT6_jjT7_P12ihipStream_tbENKUlT_T0_SG_SL_E_clIS9_SA_SB_SB_EEDaSZ_S10_SG_SL_EUlSZ_E_NS1_11comp_targetILNS1_3genE8ELNS1_11target_archE1030ELNS1_3gpuE2ELNS1_3repE0EEENS1_47radix_sort_onesweep_sort_config_static_selectorELNS0_4arch9wavefront6targetE0EEEvSG_.has_recursion, 0
	.set _ZN7rocprim17ROCPRIM_400000_NS6detail17trampoline_kernelINS0_14default_configENS1_35radix_sort_onesweep_config_selectorIdNS0_10empty_typeEEEZZNS1_29radix_sort_onesweep_iterationIS3_Lb0EPKdPdPS5_SB_mNS0_19identity_decomposerENS1_16block_id_wrapperIjLb0EEEEE10hipError_tT1_PNSt15iterator_traitsISG_E10value_typeET2_T3_PNSH_ISM_E10value_typeET4_T5_PSR_SS_PNS1_23onesweep_lookback_stateEbbT6_jjT7_P12ihipStream_tbENKUlT_T0_SG_SL_E_clIS9_SA_SB_SB_EEDaSZ_S10_SG_SL_EUlSZ_E_NS1_11comp_targetILNS1_3genE8ELNS1_11target_archE1030ELNS1_3gpuE2ELNS1_3repE0EEENS1_47radix_sort_onesweep_sort_config_static_selectorELNS0_4arch9wavefront6targetE0EEEvSG_.has_indirect_call, 0
	.section	.AMDGPU.csdata,"",@progbits
; Kernel info:
; codeLenInByte = 0
; TotalNumSgprs: 0
; NumVgprs: 0
; ScratchSize: 0
; MemoryBound: 0
; FloatMode: 240
; IeeeMode: 1
; LDSByteSize: 0 bytes/workgroup (compile time only)
; SGPRBlocks: 0
; VGPRBlocks: 0
; NumSGPRsForWavesPerEU: 1
; NumVGPRsForWavesPerEU: 1
; NamedBarCnt: 0
; Occupancy: 16
; WaveLimiterHint : 0
; COMPUTE_PGM_RSRC2:SCRATCH_EN: 0
; COMPUTE_PGM_RSRC2:USER_SGPR: 2
; COMPUTE_PGM_RSRC2:TRAP_HANDLER: 0
; COMPUTE_PGM_RSRC2:TGID_X_EN: 1
; COMPUTE_PGM_RSRC2:TGID_Y_EN: 0
; COMPUTE_PGM_RSRC2:TGID_Z_EN: 0
; COMPUTE_PGM_RSRC2:TIDIG_COMP_CNT: 0
	.section	.text._ZN7rocprim17ROCPRIM_400000_NS6detail17trampoline_kernelINS0_14default_configENS1_35radix_sort_onesweep_config_selectorIdNS0_10empty_typeEEEZZNS1_29radix_sort_onesweep_iterationIS3_Lb0EPKdPdPS5_SB_mNS0_19identity_decomposerENS1_16block_id_wrapperIjLb0EEEEE10hipError_tT1_PNSt15iterator_traitsISG_E10value_typeET2_T3_PNSH_ISM_E10value_typeET4_T5_PSR_SS_PNS1_23onesweep_lookback_stateEbbT6_jjT7_P12ihipStream_tbENKUlT_T0_SG_SL_E_clISA_SA_SB_SB_EEDaSZ_S10_SG_SL_EUlSZ_E_NS1_11comp_targetILNS1_3genE0ELNS1_11target_archE4294967295ELNS1_3gpuE0ELNS1_3repE0EEENS1_47radix_sort_onesweep_sort_config_static_selectorELNS0_4arch9wavefront6targetE0EEEvSG_,"axG",@progbits,_ZN7rocprim17ROCPRIM_400000_NS6detail17trampoline_kernelINS0_14default_configENS1_35radix_sort_onesweep_config_selectorIdNS0_10empty_typeEEEZZNS1_29radix_sort_onesweep_iterationIS3_Lb0EPKdPdPS5_SB_mNS0_19identity_decomposerENS1_16block_id_wrapperIjLb0EEEEE10hipError_tT1_PNSt15iterator_traitsISG_E10value_typeET2_T3_PNSH_ISM_E10value_typeET4_T5_PSR_SS_PNS1_23onesweep_lookback_stateEbbT6_jjT7_P12ihipStream_tbENKUlT_T0_SG_SL_E_clISA_SA_SB_SB_EEDaSZ_S10_SG_SL_EUlSZ_E_NS1_11comp_targetILNS1_3genE0ELNS1_11target_archE4294967295ELNS1_3gpuE0ELNS1_3repE0EEENS1_47radix_sort_onesweep_sort_config_static_selectorELNS0_4arch9wavefront6targetE0EEEvSG_,comdat
	.protected	_ZN7rocprim17ROCPRIM_400000_NS6detail17trampoline_kernelINS0_14default_configENS1_35radix_sort_onesweep_config_selectorIdNS0_10empty_typeEEEZZNS1_29radix_sort_onesweep_iterationIS3_Lb0EPKdPdPS5_SB_mNS0_19identity_decomposerENS1_16block_id_wrapperIjLb0EEEEE10hipError_tT1_PNSt15iterator_traitsISG_E10value_typeET2_T3_PNSH_ISM_E10value_typeET4_T5_PSR_SS_PNS1_23onesweep_lookback_stateEbbT6_jjT7_P12ihipStream_tbENKUlT_T0_SG_SL_E_clISA_SA_SB_SB_EEDaSZ_S10_SG_SL_EUlSZ_E_NS1_11comp_targetILNS1_3genE0ELNS1_11target_archE4294967295ELNS1_3gpuE0ELNS1_3repE0EEENS1_47radix_sort_onesweep_sort_config_static_selectorELNS0_4arch9wavefront6targetE0EEEvSG_ ; -- Begin function _ZN7rocprim17ROCPRIM_400000_NS6detail17trampoline_kernelINS0_14default_configENS1_35radix_sort_onesweep_config_selectorIdNS0_10empty_typeEEEZZNS1_29radix_sort_onesweep_iterationIS3_Lb0EPKdPdPS5_SB_mNS0_19identity_decomposerENS1_16block_id_wrapperIjLb0EEEEE10hipError_tT1_PNSt15iterator_traitsISG_E10value_typeET2_T3_PNSH_ISM_E10value_typeET4_T5_PSR_SS_PNS1_23onesweep_lookback_stateEbbT6_jjT7_P12ihipStream_tbENKUlT_T0_SG_SL_E_clISA_SA_SB_SB_EEDaSZ_S10_SG_SL_EUlSZ_E_NS1_11comp_targetILNS1_3genE0ELNS1_11target_archE4294967295ELNS1_3gpuE0ELNS1_3repE0EEENS1_47radix_sort_onesweep_sort_config_static_selectorELNS0_4arch9wavefront6targetE0EEEvSG_
	.globl	_ZN7rocprim17ROCPRIM_400000_NS6detail17trampoline_kernelINS0_14default_configENS1_35radix_sort_onesweep_config_selectorIdNS0_10empty_typeEEEZZNS1_29radix_sort_onesweep_iterationIS3_Lb0EPKdPdPS5_SB_mNS0_19identity_decomposerENS1_16block_id_wrapperIjLb0EEEEE10hipError_tT1_PNSt15iterator_traitsISG_E10value_typeET2_T3_PNSH_ISM_E10value_typeET4_T5_PSR_SS_PNS1_23onesweep_lookback_stateEbbT6_jjT7_P12ihipStream_tbENKUlT_T0_SG_SL_E_clISA_SA_SB_SB_EEDaSZ_S10_SG_SL_EUlSZ_E_NS1_11comp_targetILNS1_3genE0ELNS1_11target_archE4294967295ELNS1_3gpuE0ELNS1_3repE0EEENS1_47radix_sort_onesweep_sort_config_static_selectorELNS0_4arch9wavefront6targetE0EEEvSG_
	.p2align	8
	.type	_ZN7rocprim17ROCPRIM_400000_NS6detail17trampoline_kernelINS0_14default_configENS1_35radix_sort_onesweep_config_selectorIdNS0_10empty_typeEEEZZNS1_29radix_sort_onesweep_iterationIS3_Lb0EPKdPdPS5_SB_mNS0_19identity_decomposerENS1_16block_id_wrapperIjLb0EEEEE10hipError_tT1_PNSt15iterator_traitsISG_E10value_typeET2_T3_PNSH_ISM_E10value_typeET4_T5_PSR_SS_PNS1_23onesweep_lookback_stateEbbT6_jjT7_P12ihipStream_tbENKUlT_T0_SG_SL_E_clISA_SA_SB_SB_EEDaSZ_S10_SG_SL_EUlSZ_E_NS1_11comp_targetILNS1_3genE0ELNS1_11target_archE4294967295ELNS1_3gpuE0ELNS1_3repE0EEENS1_47radix_sort_onesweep_sort_config_static_selectorELNS0_4arch9wavefront6targetE0EEEvSG_,@function
_ZN7rocprim17ROCPRIM_400000_NS6detail17trampoline_kernelINS0_14default_configENS1_35radix_sort_onesweep_config_selectorIdNS0_10empty_typeEEEZZNS1_29radix_sort_onesweep_iterationIS3_Lb0EPKdPdPS5_SB_mNS0_19identity_decomposerENS1_16block_id_wrapperIjLb0EEEEE10hipError_tT1_PNSt15iterator_traitsISG_E10value_typeET2_T3_PNSH_ISM_E10value_typeET4_T5_PSR_SS_PNS1_23onesweep_lookback_stateEbbT6_jjT7_P12ihipStream_tbENKUlT_T0_SG_SL_E_clISA_SA_SB_SB_EEDaSZ_S10_SG_SL_EUlSZ_E_NS1_11comp_targetILNS1_3genE0ELNS1_11target_archE4294967295ELNS1_3gpuE0ELNS1_3repE0EEENS1_47radix_sort_onesweep_sort_config_static_selectorELNS0_4arch9wavefront6targetE0EEEvSG_: ; @_ZN7rocprim17ROCPRIM_400000_NS6detail17trampoline_kernelINS0_14default_configENS1_35radix_sort_onesweep_config_selectorIdNS0_10empty_typeEEEZZNS1_29radix_sort_onesweep_iterationIS3_Lb0EPKdPdPS5_SB_mNS0_19identity_decomposerENS1_16block_id_wrapperIjLb0EEEEE10hipError_tT1_PNSt15iterator_traitsISG_E10value_typeET2_T3_PNSH_ISM_E10value_typeET4_T5_PSR_SS_PNS1_23onesweep_lookback_stateEbbT6_jjT7_P12ihipStream_tbENKUlT_T0_SG_SL_E_clISA_SA_SB_SB_EEDaSZ_S10_SG_SL_EUlSZ_E_NS1_11comp_targetILNS1_3genE0ELNS1_11target_archE4294967295ELNS1_3gpuE0ELNS1_3repE0EEENS1_47radix_sort_onesweep_sort_config_static_selectorELNS0_4arch9wavefront6targetE0EEEvSG_
; %bb.0:
	s_clause 0x3
	s_load_b96 s[20:22], s[0:1], 0x44
	s_load_b64 s[10:11], s[0:1], 0x38
	s_load_b128 s[16:19], s[0:1], 0x0
	s_load_b128 s[12:15], s[0:1], 0x28
	s_bfe_u32 s2, ttmp6, 0x4000c
	s_and_b32 s3, ttmp6, 15
	s_add_co_i32 s2, s2, 1
	s_getreg_b32 s4, hwreg(HW_REG_IB_STS2, 6, 4)
	s_mul_i32 s2, ttmp9, s2
	v_and_b32_e32 v32, 0x3ff, v0
	s_add_co_i32 s2, s3, s2
	s_cmp_eq_u32 s4, 0
	v_mbcnt_lo_u32_b32 v33, -1, 0
	s_cselect_b32 s26, ttmp9, s2
	s_mov_b32 s3, 0
	s_mov_b32 s2, -1
	s_add_nc_u64 s[24:25], s[0:1], 0x58
	s_wait_kmcnt 0x0
	s_cmp_ge_u32 s26, s22
	s_cbranch_scc0 .LBB1632_66
; %bb.1:
	v_dual_lshlrev_b32 v2, 3, v32 :: v_dual_lshlrev_b32 v4, 3, v33
	s_load_b32 s4, s[0:1], 0x20
	s_lshl_b32 s2, s26, 12
	v_mov_b64_e32 v[6:7], 0x7fffffffffffffff
	s_delay_alu instid0(VALU_DEP_2) | instskip(SKIP_2) | instid1(SALU_CYCLE_1)
	v_and_b32_e32 v1, 0xf00, v2
	v_mov_b32_e32 v5, 0
	s_lshl_b64 s[2:3], s[2:3], 3
	s_add_nc_u64 s[2:3], s[16:17], s[2:3]
	s_delay_alu instid0(VALU_DEP_1) | instid1(SALU_CYCLE_1)
	v_add_nc_u64_e32 v[8:9], s[2:3], v[4:5]
	v_dual_lshlrev_b32 v4, 3, v1 :: v_dual_bitop2_b32 v1, v33, v1 bitop3:0x54
	s_lshl_b32 s2, s22, 12
	s_delay_alu instid0(VALU_DEP_1)
	v_add_nc_u64_e32 v[20:21], v[8:9], v[4:5]
	v_mov_b64_e32 v[4:5], 0x7fffffffffffffff
	s_wait_kmcnt 0x0
	s_sub_co_i32 s27, s4, s2
	s_mov_b32 s2, exec_lo
	v_cmpx_gt_u32_e64 s27, v1
	s_cbranch_execz .LBB1632_3
; %bb.2:
	global_load_b64 v[4:5], v[20:21], off
.LBB1632_3:
	s_wait_xcnt 0x0
	s_or_b32 exec_lo, exec_lo, s2
	v_or_b32_e32 v3, 32, v1
	s_mov_b32 s2, exec_lo
	s_delay_alu instid0(VALU_DEP_1)
	v_cmpx_gt_u32_e64 s27, v3
	s_cbranch_execz .LBB1632_5
; %bb.4:
	global_load_b64 v[6:7], v[20:21], off offset:256
.LBB1632_5:
	s_wait_xcnt 0x0
	s_or_b32 exec_lo, exec_lo, s2
	v_mov_b64_e32 v[10:11], 0x7fffffffffffffff
	v_mov_b64_e32 v[8:9], 0x7fffffffffffffff
	v_or_b32_e32 v3, 64, v1
	s_mov_b32 s2, exec_lo
	s_delay_alu instid0(VALU_DEP_1)
	v_cmpx_gt_u32_e64 s27, v3
	s_cbranch_execz .LBB1632_7
; %bb.6:
	global_load_b64 v[8:9], v[20:21], off offset:512
.LBB1632_7:
	s_wait_xcnt 0x0
	s_or_b32 exec_lo, exec_lo, s2
	v_or_b32_e32 v3, 0x60, v1
	s_mov_b32 s2, exec_lo
	s_delay_alu instid0(VALU_DEP_1)
	v_cmpx_gt_u32_e64 s27, v3
	s_cbranch_execz .LBB1632_9
; %bb.8:
	global_load_b64 v[10:11], v[20:21], off offset:768
.LBB1632_9:
	s_wait_xcnt 0x0
	s_or_b32 exec_lo, exec_lo, s2
	v_mov_b64_e32 v[16:17], 0x7fffffffffffffff
	v_mov_b64_e32 v[12:13], 0x7fffffffffffffff
	v_or_b32_e32 v3, 0x80, v1
	s_mov_b32 s2, exec_lo
	s_delay_alu instid0(VALU_DEP_1)
	v_cmpx_gt_u32_e64 s27, v3
	s_cbranch_execz .LBB1632_11
; %bb.10:
	global_load_b64 v[12:13], v[20:21], off offset:1024
.LBB1632_11:
	;; [unrolled: 22-line block ×3, first 2 shown]
	s_wait_xcnt 0x0
	s_or_b32 exec_lo, exec_lo, s2
	v_or_b32_e32 v1, 0xe0, v1
	s_mov_b32 s2, exec_lo
	s_delay_alu instid0(VALU_DEP_1)
	v_cmpx_gt_u32_e64 s27, v1
	s_cbranch_execz .LBB1632_17
; %bb.16:
	global_load_b64 v[14:15], v[20:21], off offset:1792
.LBB1632_17:
	s_wait_xcnt 0x0
	s_or_b32 exec_lo, exec_lo, s2
	s_wait_loadcnt 0x0
	v_cmp_lt_i64_e32 vcc_lo, -1, v[4:5]
	s_clause 0x1
	s_load_b32 s28, s[0:1], 0x58
	s_load_u16 s4, s[0:1], 0x66
	s_mov_b64 s[8:9], 0x7fffffffffffffff
	s_mov_b32 s3, 0
	v_cndmask_b32_e64 v1, -1, 0x80000000, vcc_lo
	s_delay_alu instid0(VALU_DEP_1) | instskip(NEXT) | instid1(VALU_DEP_1)
	v_dual_ashrrev_i32 v3, 31, v5 :: v_dual_bitop2_b32 v5, v1, v5 bitop3:0x14
	v_xor_b32_e32 v4, v3, v4
	v_bfe_u32 v1, v0, 10, 10
	v_bfe_u32 v3, v0, 20, 10
	s_delay_alu instid0(VALU_DEP_3) | instskip(SKIP_2) | instid1(VALU_DEP_2)
	v_cmp_ne_u64_e32 vcc_lo, s[8:9], v[4:5]
	s_wait_kmcnt 0x0
	s_cmp_lt_u32 s26, s28
	v_mad_u32_u24 v1, v3, s4, v1
	s_cselect_b32 s2, 12, 18
	s_lshl_b32 s7, -1, s21
	v_cndmask_b32_e32 v21, 0x80000000, v5, vcc_lo
	v_cndmask_b32_e32 v20, 0, v4, vcc_lo
	s_add_nc_u64 s[2:3], s[24:25], s[2:3]
	s_not_b32 s29, s7
	s_load_u16 s22, s[2:3], 0x0
	s_delay_alu instid0(VALU_DEP_1) | instskip(NEXT) | instid1(VALU_DEP_1)
	v_lshrrev_b64 v[20:21], s20, v[20:21]
	v_bitop3_b32 v3, v20, 1, s7 bitop3:0x40
	v_bitop3_b32 v22, v20, s7, v20 bitop3:0x30
	s_wait_xcnt 0x0
	s_delay_alu instid0(VALU_DEP_2) | instskip(NEXT) | instid1(VALU_DEP_1)
	v_add_co_u32 v3, s2, v3, -1
	v_cndmask_b32_e64 v20, 0, 1, s2
	s_delay_alu instid0(VALU_DEP_3) | instskip(SKIP_2) | instid1(VALU_DEP_4)
	v_dual_lshlrev_b32 v21, 30, v22 :: v_dual_lshlrev_b32 v23, 29, v22
	v_dual_lshlrev_b32 v24, 28, v22 :: v_dual_lshlrev_b32 v25, 27, v22
	v_lshlrev_b32_e32 v26, 26, v22
	v_cmp_ne_u32_e32 vcc_lo, 0, v20
	s_delay_alu instid0(VALU_DEP_4)
	v_not_b32_e32 v20, v21
	v_cmp_gt_i32_e64 s2, 0, v21
	v_cmp_gt_i32_e64 s3, 0, v23
	v_not_b32_e32 v21, v23
	v_not_b32_e32 v23, v24
	v_dual_ashrrev_i32 v20, 31, v20 :: v_dual_bitop2_b32 v3, vcc_lo, v3 bitop3:0x14
	v_dual_lshlrev_b32 v27, 25, v22 :: v_dual_lshlrev_b32 v28, 24, v22
	v_cmp_gt_i32_e64 s4, 0, v24
	v_cmp_gt_i32_e64 s5, 0, v25
	v_not_b32_e32 v24, v25
	v_not_b32_e32 v25, v26
	v_dual_ashrrev_i32 v21, 31, v21 :: v_dual_ashrrev_i32 v23, 31, v23
	v_xor_b32_e32 v20, s2, v20
	s_wait_kmcnt 0x0
	v_mad_u32 v1, v1, s22, v32
	v_cmp_gt_i32_e64 s6, 0, v26
	v_dual_ashrrev_i32 v24, 31, v24 :: v_dual_bitop2_b32 v21, s3, v21 bitop3:0x14
	v_ashrrev_i32_e32 v25, 31, v25
	v_bitop3_b32 v3, v3, v20, exec_lo bitop3:0x80
	v_not_b32_e32 v20, v27
	v_xor_b32_e32 v23, s4, v23
	v_not_b32_e32 v26, v28
	v_xor_b32_e32 v24, s5, v24
	v_cmp_gt_i32_e32 vcc_lo, 0, v27
	v_ashrrev_i32_e32 v20, 31, v20
	v_bitop3_b32 v3, v3, v23, v21 bitop3:0x80
	v_dual_mov_b32 v25, 0 :: v_dual_bitop2_b32 v21, s6, v25 bitop3:0x14
	v_cmp_gt_i32_e64 s2, 0, v28
	v_dual_ashrrev_i32 v23, 31, v26 :: v_dual_lshrrev_b32 v1, 5, v1
	s_delay_alu instid0(VALU_DEP_3) | instskip(SKIP_2) | instid1(VALU_DEP_4)
	v_bitop3_b32 v21, v3, v21, v24 bitop3:0x80
	v_xor_b32_e32 v24, vcc_lo, v20
	v_mul_u32_u24_e32 v3, 36, v32
	v_dual_lshlrev_b32 v20, 2, v1 :: v_dual_bitop2_b32 v23, s2, v23 bitop3:0x14
	ds_store_2addr_b32 v3, v25, v25 offset0:16 offset1:17
	ds_store_2addr_b32 v3, v25, v25 offset0:18 offset1:19
	;; [unrolled: 1-line block ×4, first 2 shown]
	v_bitop3_b32 v21, v21, v23, v24 bitop3:0x80
	v_mad_u32 v28, 0x44, v22, v20
	ds_store_b32 v3, v25 offset:96
	s_wait_dscnt 0x0
	s_barrier_signal -1
	v_mbcnt_lo_u32_b32 v1, v21, 0
	v_cmp_ne_u32_e64 s2, 0, v21
	s_barrier_wait -1
	s_delay_alu instid0(VALU_DEP_2) | instskip(SKIP_1) | instid1(SALU_CYCLE_1)
	v_cmp_eq_u32_e32 vcc_lo, 0, v1
	; wave barrier
	s_and_b32 s3, s2, vcc_lo
	s_and_saveexec_b32 s2, s3
; %bb.18:
	v_bcnt_u32_b32 v21, v21, 0
	ds_store_b32 v28, v21 offset:64
; %bb.19:
	s_or_b32 exec_lo, exec_lo, s2
	v_cmp_lt_i64_e32 vcc_lo, -1, v[6:7]
	; wave barrier
	v_cndmask_b32_e64 v21, -1, 0x80000000, vcc_lo
	s_delay_alu instid0(VALU_DEP_1) | instskip(NEXT) | instid1(VALU_DEP_1)
	v_dual_ashrrev_i32 v22, 31, v7 :: v_dual_bitop2_b32 v7, v21, v7 bitop3:0x14
	v_xor_b32_e32 v6, v22, v6
	s_delay_alu instid0(VALU_DEP_1) | instskip(SKIP_2) | instid1(VALU_DEP_1)
	v_cmp_ne_u64_e32 vcc_lo, s[8:9], v[6:7]
	v_cndmask_b32_e32 v23, 0x80000000, v7, vcc_lo
	v_cndmask_b32_e32 v22, 0, v6, vcc_lo
	v_lshrrev_b64 v[22:23], s20, v[22:23]
	s_delay_alu instid0(VALU_DEP_1) | instskip(SKIP_1) | instid1(VALU_DEP_2)
	v_and_b32_e32 v21, s29, v22
	v_bitop3_b32 v22, v22, 1, s29 bitop3:0x80
	v_lshlrev_b32_e32 v24, 30, v21
	s_delay_alu instid0(VALU_DEP_2) | instskip(NEXT) | instid1(VALU_DEP_1)
	v_add_co_u32 v22, s2, v22, -1
	v_cndmask_b32_e64 v23, 0, 1, s2
	s_delay_alu instid0(VALU_DEP_3) | instskip(NEXT) | instid1(VALU_DEP_2)
	v_cmp_gt_i32_e64 s2, 0, v24
	v_cmp_ne_u32_e32 vcc_lo, 0, v23
	v_not_b32_e32 v23, v24
	s_delay_alu instid0(VALU_DEP_1) | instskip(SKIP_3) | instid1(VALU_DEP_4)
	v_dual_ashrrev_i32 v23, 31, v23 :: v_dual_lshlrev_b32 v25, 29, v21
	v_dual_lshlrev_b32 v26, 28, v21 :: v_dual_lshlrev_b32 v27, 27, v21
	v_lshlrev_b32_e32 v30, 26, v21
	v_mad_u32 v29, 0x44, v21, v20
	v_cmp_gt_i32_e64 s3, 0, v25
	v_not_b32_e32 v24, v25
	v_not_b32_e32 v25, v26
	v_dual_lshlrev_b32 v31, 25, v21 :: v_dual_lshlrev_b32 v21, 24, v21
	v_cmp_gt_i32_e64 s4, 0, v26
	v_cmp_gt_i32_e64 s5, 0, v27
	v_not_b32_e32 v26, v27
	v_not_b32_e32 v27, v30
	v_dual_ashrrev_i32 v24, 31, v24 :: v_dual_bitop2_b32 v22, vcc_lo, v22 bitop3:0x14
	v_dual_ashrrev_i32 v25, 31, v25 :: v_dual_bitop2_b32 v23, s2, v23 bitop3:0x14
	v_cmp_gt_i32_e64 s6, 0, v30
	v_not_b32_e32 v30, v31
	v_cmp_gt_i32_e64 s8, 0, v21
	v_not_b32_e32 v21, v21
	v_dual_ashrrev_i32 v26, 31, v26 :: v_dual_ashrrev_i32 v27, 31, v27
	v_xor_b32_e32 v24, s3, v24
	v_xor_b32_e32 v25, s4, v25
	v_bitop3_b32 v22, v22, v23, exec_lo bitop3:0x80
	v_cmp_gt_i32_e64 s7, 0, v31
	v_dual_ashrrev_i32 v23, 31, v30 :: v_dual_ashrrev_i32 v21, 31, v21
	v_xor_b32_e32 v26, s5, v26
	v_xor_b32_e32 v27, s6, v27
	v_bitop3_b32 v22, v22, v25, v24 bitop3:0x80
	s_delay_alu instid0(VALU_DEP_4) | instskip(SKIP_3) | instid1(VALU_DEP_1)
	v_xor_b32_e32 v23, s7, v23
	v_xor_b32_e32 v21, s8, v21
	ds_load_b32 v34, v29 offset:64
	v_bitop3_b32 v22, v22, v27, v26 bitop3:0x80
	; wave barrier
	v_bitop3_b32 v21, v22, v21, v23 bitop3:0x80
	s_delay_alu instid0(VALU_DEP_1) | instskip(SKIP_1) | instid1(VALU_DEP_2)
	v_mbcnt_lo_u32_b32 v35, v21, 0
	v_cmp_ne_u32_e64 s2, 0, v21
	v_cmp_eq_u32_e32 vcc_lo, 0, v35
	s_and_b32 s3, s2, vcc_lo
	s_delay_alu instid0(SALU_CYCLE_1)
	s_and_saveexec_b32 s2, s3
	s_cbranch_execz .LBB1632_21
; %bb.20:
	s_wait_dscnt 0x0
	v_bcnt_u32_b32 v21, v21, v34
	ds_store_b32 v29, v21 offset:64
.LBB1632_21:
	s_or_b32 exec_lo, exec_lo, s2
	v_cmp_lt_i64_e32 vcc_lo, -1, v[8:9]
	s_mov_b64 s[22:23], 0x7fffffffffffffff
	; wave barrier
	v_cndmask_b32_e64 v21, -1, 0x80000000, vcc_lo
	s_delay_alu instid0(VALU_DEP_1) | instskip(NEXT) | instid1(VALU_DEP_1)
	v_dual_ashrrev_i32 v22, 31, v9 :: v_dual_bitop2_b32 v9, v21, v9 bitop3:0x14
	v_xor_b32_e32 v8, v22, v8
	s_delay_alu instid0(VALU_DEP_1) | instskip(SKIP_2) | instid1(VALU_DEP_1)
	v_cmp_ne_u64_e32 vcc_lo, s[22:23], v[8:9]
	v_cndmask_b32_e32 v23, 0x80000000, v9, vcc_lo
	v_cndmask_b32_e32 v22, 0, v8, vcc_lo
	v_lshrrev_b64 v[22:23], s20, v[22:23]
	s_delay_alu instid0(VALU_DEP_1) | instskip(SKIP_1) | instid1(VALU_DEP_2)
	v_and_b32_e32 v21, s29, v22
	v_bitop3_b32 v22, v22, 1, s29 bitop3:0x80
	v_lshlrev_b32_e32 v24, 30, v21
	s_delay_alu instid0(VALU_DEP_2) | instskip(NEXT) | instid1(VALU_DEP_1)
	v_add_co_u32 v22, s2, v22, -1
	v_cndmask_b32_e64 v23, 0, 1, s2
	s_delay_alu instid0(VALU_DEP_3) | instskip(NEXT) | instid1(VALU_DEP_2)
	v_cmp_gt_i32_e64 s2, 0, v24
	v_cmp_ne_u32_e32 vcc_lo, 0, v23
	v_not_b32_e32 v23, v24
	s_delay_alu instid0(VALU_DEP_1) | instskip(SKIP_3) | instid1(VALU_DEP_3)
	v_dual_ashrrev_i32 v23, 31, v23 :: v_dual_bitop2_b32 v22, vcc_lo, v22 bitop3:0x14
	v_dual_lshlrev_b32 v25, 29, v21 :: v_dual_lshlrev_b32 v26, 28, v21
	v_dual_lshlrev_b32 v27, 27, v21 :: v_dual_lshlrev_b32 v31, 26, v21
	v_lshlrev_b32_e32 v36, 25, v21
	v_cmp_gt_i32_e64 s3, 0, v25
	v_not_b32_e32 v24, v25
	v_not_b32_e32 v25, v26
	v_mad_u32 v30, 0x44, v21, v20
	v_lshlrev_b32_e32 v21, 24, v21
	v_cmp_gt_i32_e64 s4, 0, v26
	v_cmp_gt_i32_e64 s5, 0, v27
	v_not_b32_e32 v26, v27
	v_not_b32_e32 v27, v31
	v_dual_ashrrev_i32 v24, 31, v24 :: v_dual_ashrrev_i32 v25, 31, v25
	v_xor_b32_e32 v23, s2, v23
	v_cmp_gt_i32_e64 s6, 0, v31
	v_not_b32_e32 v31, v36
	v_cmp_gt_i32_e64 s8, 0, v21
	v_not_b32_e32 v21, v21
	v_dual_ashrrev_i32 v26, 31, v26 :: v_dual_ashrrev_i32 v27, 31, v27
	v_xor_b32_e32 v24, s3, v24
	v_xor_b32_e32 v25, s4, v25
	v_bitop3_b32 v22, v22, v23, exec_lo bitop3:0x80
	v_cmp_gt_i32_e64 s7, 0, v36
	v_dual_ashrrev_i32 v23, 31, v31 :: v_dual_ashrrev_i32 v21, 31, v21
	v_xor_b32_e32 v26, s5, v26
	v_xor_b32_e32 v27, s6, v27
	v_bitop3_b32 v22, v22, v25, v24 bitop3:0x80
	s_delay_alu instid0(VALU_DEP_4) | instskip(SKIP_3) | instid1(VALU_DEP_1)
	v_xor_b32_e32 v23, s7, v23
	v_xor_b32_e32 v21, s8, v21
	ds_load_b32 v36, v30 offset:64
	v_bitop3_b32 v22, v22, v27, v26 bitop3:0x80
	; wave barrier
	v_bitop3_b32 v21, v22, v21, v23 bitop3:0x80
	s_delay_alu instid0(VALU_DEP_1) | instskip(SKIP_1) | instid1(VALU_DEP_2)
	v_mbcnt_lo_u32_b32 v37, v21, 0
	v_cmp_ne_u32_e64 s2, 0, v21
	v_cmp_eq_u32_e32 vcc_lo, 0, v37
	s_and_b32 s3, s2, vcc_lo
	s_delay_alu instid0(SALU_CYCLE_1)
	s_and_saveexec_b32 s2, s3
	s_cbranch_execz .LBB1632_23
; %bb.22:
	s_wait_dscnt 0x0
	v_bcnt_u32_b32 v21, v21, v36
	ds_store_b32 v30, v21 offset:64
.LBB1632_23:
	s_or_b32 exec_lo, exec_lo, s2
	v_cmp_lt_i64_e32 vcc_lo, -1, v[10:11]
	; wave barrier
	v_cndmask_b32_e64 v21, -1, 0x80000000, vcc_lo
	s_delay_alu instid0(VALU_DEP_1) | instskip(NEXT) | instid1(VALU_DEP_1)
	v_dual_ashrrev_i32 v22, 31, v11 :: v_dual_bitop2_b32 v11, v21, v11 bitop3:0x14
	v_xor_b32_e32 v10, v22, v10
	s_delay_alu instid0(VALU_DEP_1) | instskip(SKIP_2) | instid1(VALU_DEP_1)
	v_cmp_ne_u64_e32 vcc_lo, s[22:23], v[10:11]
	v_cndmask_b32_e32 v23, 0x80000000, v11, vcc_lo
	v_cndmask_b32_e32 v22, 0, v10, vcc_lo
	v_lshrrev_b64 v[22:23], s20, v[22:23]
	s_delay_alu instid0(VALU_DEP_1) | instskip(SKIP_1) | instid1(VALU_DEP_2)
	v_and_b32_e32 v21, s29, v22
	v_bitop3_b32 v22, v22, 1, s29 bitop3:0x80
	v_lshlrev_b32_e32 v24, 30, v21
	s_delay_alu instid0(VALU_DEP_2) | instskip(NEXT) | instid1(VALU_DEP_1)
	v_add_co_u32 v22, s2, v22, -1
	v_cndmask_b32_e64 v23, 0, 1, s2
	s_delay_alu instid0(VALU_DEP_3) | instskip(NEXT) | instid1(VALU_DEP_2)
	v_cmp_gt_i32_e64 s2, 0, v24
	v_cmp_ne_u32_e32 vcc_lo, 0, v23
	v_not_b32_e32 v23, v24
	s_delay_alu instid0(VALU_DEP_1) | instskip(SKIP_3) | instid1(VALU_DEP_4)
	v_dual_ashrrev_i32 v23, 31, v23 :: v_dual_lshlrev_b32 v25, 29, v21
	v_dual_lshlrev_b32 v26, 28, v21 :: v_dual_lshlrev_b32 v27, 27, v21
	v_lshlrev_b32_e32 v38, 26, v21
	v_mad_u32 v31, 0x44, v21, v20
	v_cmp_gt_i32_e64 s3, 0, v25
	v_not_b32_e32 v24, v25
	v_not_b32_e32 v25, v26
	v_dual_lshlrev_b32 v39, 25, v21 :: v_dual_lshlrev_b32 v21, 24, v21
	v_cmp_gt_i32_e64 s4, 0, v26
	v_cmp_gt_i32_e64 s5, 0, v27
	v_not_b32_e32 v26, v27
	v_not_b32_e32 v27, v38
	v_dual_ashrrev_i32 v24, 31, v24 :: v_dual_bitop2_b32 v22, vcc_lo, v22 bitop3:0x14
	v_dual_ashrrev_i32 v25, 31, v25 :: v_dual_bitop2_b32 v23, s2, v23 bitop3:0x14
	v_cmp_gt_i32_e64 s6, 0, v38
	v_not_b32_e32 v38, v39
	v_cmp_gt_i32_e64 s8, 0, v21
	v_not_b32_e32 v21, v21
	v_dual_ashrrev_i32 v26, 31, v26 :: v_dual_ashrrev_i32 v27, 31, v27
	v_xor_b32_e32 v24, s3, v24
	v_xor_b32_e32 v25, s4, v25
	v_bitop3_b32 v22, v22, v23, exec_lo bitop3:0x80
	v_cmp_gt_i32_e64 s7, 0, v39
	v_dual_ashrrev_i32 v23, 31, v38 :: v_dual_ashrrev_i32 v21, 31, v21
	v_xor_b32_e32 v26, s5, v26
	v_xor_b32_e32 v27, s6, v27
	v_bitop3_b32 v22, v22, v25, v24 bitop3:0x80
	s_delay_alu instid0(VALU_DEP_4) | instskip(SKIP_3) | instid1(VALU_DEP_1)
	v_xor_b32_e32 v23, s7, v23
	v_xor_b32_e32 v21, s8, v21
	ds_load_b32 v38, v31 offset:64
	v_bitop3_b32 v22, v22, v27, v26 bitop3:0x80
	; wave barrier
	v_bitop3_b32 v21, v22, v21, v23 bitop3:0x80
	s_delay_alu instid0(VALU_DEP_1) | instskip(SKIP_1) | instid1(VALU_DEP_2)
	v_mbcnt_lo_u32_b32 v39, v21, 0
	v_cmp_ne_u32_e64 s2, 0, v21
	v_cmp_eq_u32_e32 vcc_lo, 0, v39
	s_and_b32 s3, s2, vcc_lo
	s_delay_alu instid0(SALU_CYCLE_1)
	s_and_saveexec_b32 s2, s3
	s_cbranch_execz .LBB1632_25
; %bb.24:
	s_wait_dscnt 0x0
	v_bcnt_u32_b32 v21, v21, v38
	ds_store_b32 v31, v21 offset:64
.LBB1632_25:
	s_or_b32 exec_lo, exec_lo, s2
	v_cmp_lt_i64_e32 vcc_lo, -1, v[12:13]
	; wave barrier
	v_cndmask_b32_e64 v21, -1, 0x80000000, vcc_lo
	s_delay_alu instid0(VALU_DEP_1) | instskip(NEXT) | instid1(VALU_DEP_1)
	v_dual_ashrrev_i32 v22, 31, v13 :: v_dual_bitop2_b32 v13, v21, v13 bitop3:0x14
	v_xor_b32_e32 v12, v22, v12
	s_delay_alu instid0(VALU_DEP_1) | instskip(SKIP_2) | instid1(VALU_DEP_1)
	v_cmp_ne_u64_e32 vcc_lo, s[22:23], v[12:13]
	v_cndmask_b32_e32 v23, 0x80000000, v13, vcc_lo
	v_cndmask_b32_e32 v22, 0, v12, vcc_lo
	v_lshrrev_b64 v[22:23], s20, v[22:23]
	s_delay_alu instid0(VALU_DEP_1) | instskip(SKIP_1) | instid1(VALU_DEP_2)
	v_and_b32_e32 v21, s29, v22
	v_bitop3_b32 v22, v22, 1, s29 bitop3:0x80
	v_lshlrev_b32_e32 v24, 30, v21
	s_delay_alu instid0(VALU_DEP_2) | instskip(NEXT) | instid1(VALU_DEP_1)
	v_add_co_u32 v22, s2, v22, -1
	v_cndmask_b32_e64 v23, 0, 1, s2
	s_delay_alu instid0(VALU_DEP_3) | instskip(NEXT) | instid1(VALU_DEP_2)
	v_cmp_gt_i32_e64 s2, 0, v24
	v_cmp_ne_u32_e32 vcc_lo, 0, v23
	v_not_b32_e32 v23, v24
	s_delay_alu instid0(VALU_DEP_1) | instskip(SKIP_3) | instid1(VALU_DEP_3)
	v_dual_ashrrev_i32 v23, 31, v23 :: v_dual_bitop2_b32 v22, vcc_lo, v22 bitop3:0x14
	v_dual_lshlrev_b32 v25, 29, v21 :: v_dual_lshlrev_b32 v26, 28, v21
	v_dual_lshlrev_b32 v27, 27, v21 :: v_dual_lshlrev_b32 v40, 26, v21
	v_lshlrev_b32_e32 v41, 25, v21
	v_cmp_gt_i32_e64 s3, 0, v25
	v_not_b32_e32 v24, v25
	v_not_b32_e32 v25, v26
	v_mad_u32 v42, 0x44, v21, v20
	v_lshlrev_b32_e32 v21, 24, v21
	v_cmp_gt_i32_e64 s4, 0, v26
	v_cmp_gt_i32_e64 s5, 0, v27
	v_not_b32_e32 v26, v27
	v_not_b32_e32 v27, v40
	v_dual_ashrrev_i32 v24, 31, v24 :: v_dual_ashrrev_i32 v25, 31, v25
	v_xor_b32_e32 v23, s2, v23
	v_cmp_gt_i32_e64 s6, 0, v40
	v_not_b32_e32 v40, v41
	v_cmp_gt_i32_e64 s8, 0, v21
	v_not_b32_e32 v21, v21
	v_dual_ashrrev_i32 v26, 31, v26 :: v_dual_ashrrev_i32 v27, 31, v27
	v_xor_b32_e32 v24, s3, v24
	v_xor_b32_e32 v25, s4, v25
	v_bitop3_b32 v22, v22, v23, exec_lo bitop3:0x80
	v_cmp_gt_i32_e64 s7, 0, v41
	v_dual_ashrrev_i32 v23, 31, v40 :: v_dual_ashrrev_i32 v21, 31, v21
	v_xor_b32_e32 v26, s5, v26
	v_xor_b32_e32 v27, s6, v27
	v_bitop3_b32 v22, v22, v25, v24 bitop3:0x80
	s_delay_alu instid0(VALU_DEP_4) | instskip(SKIP_3) | instid1(VALU_DEP_1)
	v_xor_b32_e32 v23, s7, v23
	v_xor_b32_e32 v21, s8, v21
	ds_load_b32 v40, v42 offset:64
	v_bitop3_b32 v22, v22, v27, v26 bitop3:0x80
	; wave barrier
	v_bitop3_b32 v21, v22, v21, v23 bitop3:0x80
	s_delay_alu instid0(VALU_DEP_1) | instskip(SKIP_1) | instid1(VALU_DEP_2)
	v_mbcnt_lo_u32_b32 v41, v21, 0
	v_cmp_ne_u32_e64 s2, 0, v21
	v_cmp_eq_u32_e32 vcc_lo, 0, v41
	s_and_b32 s3, s2, vcc_lo
	s_delay_alu instid0(SALU_CYCLE_1)
	s_and_saveexec_b32 s2, s3
	s_cbranch_execz .LBB1632_27
; %bb.26:
	s_wait_dscnt 0x0
	v_bcnt_u32_b32 v21, v21, v40
	ds_store_b32 v42, v21 offset:64
.LBB1632_27:
	s_or_b32 exec_lo, exec_lo, s2
	v_cmp_lt_i64_e32 vcc_lo, -1, v[16:17]
	; wave barrier
	v_cndmask_b32_e64 v21, -1, 0x80000000, vcc_lo
	s_delay_alu instid0(VALU_DEP_1) | instskip(NEXT) | instid1(VALU_DEP_1)
	v_dual_ashrrev_i32 v22, 31, v17 :: v_dual_bitop2_b32 v17, v21, v17 bitop3:0x14
	v_xor_b32_e32 v16, v22, v16
	s_delay_alu instid0(VALU_DEP_1) | instskip(SKIP_2) | instid1(VALU_DEP_1)
	v_cmp_ne_u64_e32 vcc_lo, s[22:23], v[16:17]
	v_cndmask_b32_e32 v23, 0x80000000, v17, vcc_lo
	v_cndmask_b32_e32 v22, 0, v16, vcc_lo
	v_lshrrev_b64 v[22:23], s20, v[22:23]
	s_delay_alu instid0(VALU_DEP_1) | instskip(SKIP_1) | instid1(VALU_DEP_2)
	v_and_b32_e32 v21, s29, v22
	v_bitop3_b32 v22, v22, 1, s29 bitop3:0x80
	v_lshlrev_b32_e32 v24, 30, v21
	s_delay_alu instid0(VALU_DEP_2) | instskip(NEXT) | instid1(VALU_DEP_1)
	v_add_co_u32 v22, s2, v22, -1
	v_cndmask_b32_e64 v23, 0, 1, s2
	s_delay_alu instid0(VALU_DEP_3) | instskip(NEXT) | instid1(VALU_DEP_2)
	v_cmp_gt_i32_e64 s2, 0, v24
	v_cmp_ne_u32_e32 vcc_lo, 0, v23
	v_not_b32_e32 v23, v24
	s_delay_alu instid0(VALU_DEP_1) | instskip(SKIP_3) | instid1(VALU_DEP_3)
	v_dual_ashrrev_i32 v23, 31, v23 :: v_dual_bitop2_b32 v22, vcc_lo, v22 bitop3:0x14
	v_dual_lshlrev_b32 v25, 29, v21 :: v_dual_lshlrev_b32 v26, 28, v21
	v_dual_lshlrev_b32 v27, 27, v21 :: v_dual_lshlrev_b32 v43, 26, v21
	v_lshlrev_b32_e32 v44, 25, v21
	v_cmp_gt_i32_e64 s3, 0, v25
	v_not_b32_e32 v24, v25
	v_not_b32_e32 v25, v26
	v_mad_u32 v45, 0x44, v21, v20
	v_lshlrev_b32_e32 v21, 24, v21
	v_cmp_gt_i32_e64 s4, 0, v26
	v_cmp_gt_i32_e64 s5, 0, v27
	v_not_b32_e32 v26, v27
	v_not_b32_e32 v27, v43
	v_dual_ashrrev_i32 v24, 31, v24 :: v_dual_ashrrev_i32 v25, 31, v25
	v_xor_b32_e32 v23, s2, v23
	v_cmp_gt_i32_e64 s6, 0, v43
	v_not_b32_e32 v43, v44
	v_cmp_gt_i32_e64 s8, 0, v21
	v_not_b32_e32 v21, v21
	v_dual_ashrrev_i32 v26, 31, v26 :: v_dual_ashrrev_i32 v27, 31, v27
	v_xor_b32_e32 v24, s3, v24
	v_xor_b32_e32 v25, s4, v25
	v_bitop3_b32 v22, v22, v23, exec_lo bitop3:0x80
	v_cmp_gt_i32_e64 s7, 0, v44
	v_dual_ashrrev_i32 v23, 31, v43 :: v_dual_ashrrev_i32 v21, 31, v21
	v_xor_b32_e32 v26, s5, v26
	v_xor_b32_e32 v27, s6, v27
	v_bitop3_b32 v22, v22, v25, v24 bitop3:0x80
	s_delay_alu instid0(VALU_DEP_4) | instskip(SKIP_3) | instid1(VALU_DEP_1)
	v_xor_b32_e32 v23, s7, v23
	v_xor_b32_e32 v21, s8, v21
	ds_load_b32 v43, v45 offset:64
	v_bitop3_b32 v22, v22, v27, v26 bitop3:0x80
	; wave barrier
	v_bitop3_b32 v21, v22, v21, v23 bitop3:0x80
	s_delay_alu instid0(VALU_DEP_1) | instskip(SKIP_1) | instid1(VALU_DEP_2)
	v_mbcnt_lo_u32_b32 v44, v21, 0
	v_cmp_ne_u32_e64 s2, 0, v21
	v_cmp_eq_u32_e32 vcc_lo, 0, v44
	s_and_b32 s3, s2, vcc_lo
	s_delay_alu instid0(SALU_CYCLE_1)
	s_and_saveexec_b32 s2, s3
	s_cbranch_execz .LBB1632_29
; %bb.28:
	s_wait_dscnt 0x0
	v_bcnt_u32_b32 v21, v21, v43
	ds_store_b32 v45, v21 offset:64
.LBB1632_29:
	s_or_b32 exec_lo, exec_lo, s2
	v_cmp_lt_i64_e32 vcc_lo, -1, v[18:19]
	; wave barrier
	v_cndmask_b32_e64 v21, -1, 0x80000000, vcc_lo
	s_delay_alu instid0(VALU_DEP_1) | instskip(NEXT) | instid1(VALU_DEP_1)
	v_dual_ashrrev_i32 v22, 31, v19 :: v_dual_bitop2_b32 v19, v21, v19 bitop3:0x14
	v_xor_b32_e32 v18, v22, v18
	s_delay_alu instid0(VALU_DEP_1) | instskip(SKIP_2) | instid1(VALU_DEP_1)
	v_cmp_ne_u64_e32 vcc_lo, s[22:23], v[18:19]
	v_cndmask_b32_e32 v23, 0x80000000, v19, vcc_lo
	v_cndmask_b32_e32 v22, 0, v18, vcc_lo
	v_lshrrev_b64 v[22:23], s20, v[22:23]
	s_delay_alu instid0(VALU_DEP_1) | instskip(SKIP_1) | instid1(VALU_DEP_2)
	v_and_b32_e32 v21, s29, v22
	v_bitop3_b32 v22, v22, 1, s29 bitop3:0x80
	v_lshlrev_b32_e32 v24, 30, v21
	s_delay_alu instid0(VALU_DEP_2) | instskip(NEXT) | instid1(VALU_DEP_1)
	v_add_co_u32 v22, s2, v22, -1
	v_cndmask_b32_e64 v23, 0, 1, s2
	s_delay_alu instid0(VALU_DEP_3) | instskip(NEXT) | instid1(VALU_DEP_2)
	v_cmp_gt_i32_e64 s2, 0, v24
	v_cmp_ne_u32_e32 vcc_lo, 0, v23
	v_not_b32_e32 v23, v24
	s_delay_alu instid0(VALU_DEP_1) | instskip(SKIP_3) | instid1(VALU_DEP_4)
	v_dual_ashrrev_i32 v23, 31, v23 :: v_dual_lshlrev_b32 v25, 29, v21
	v_dual_lshlrev_b32 v26, 28, v21 :: v_dual_lshlrev_b32 v27, 27, v21
	v_lshlrev_b32_e32 v46, 26, v21
	v_mad_u32 v48, 0x44, v21, v20
	v_cmp_gt_i32_e64 s3, 0, v25
	v_not_b32_e32 v24, v25
	v_not_b32_e32 v25, v26
	v_dual_lshlrev_b32 v47, 25, v21 :: v_dual_lshlrev_b32 v21, 24, v21
	v_cmp_gt_i32_e64 s4, 0, v26
	v_cmp_gt_i32_e64 s5, 0, v27
	v_not_b32_e32 v26, v27
	v_not_b32_e32 v27, v46
	v_dual_ashrrev_i32 v24, 31, v24 :: v_dual_bitop2_b32 v22, vcc_lo, v22 bitop3:0x14
	v_dual_ashrrev_i32 v25, 31, v25 :: v_dual_bitop2_b32 v23, s2, v23 bitop3:0x14
	v_cmp_gt_i32_e64 s6, 0, v46
	v_not_b32_e32 v46, v47
	v_cmp_gt_i32_e64 s8, 0, v21
	v_not_b32_e32 v21, v21
	v_dual_ashrrev_i32 v26, 31, v26 :: v_dual_ashrrev_i32 v27, 31, v27
	v_xor_b32_e32 v24, s3, v24
	v_xor_b32_e32 v25, s4, v25
	v_bitop3_b32 v22, v22, v23, exec_lo bitop3:0x80
	v_cmp_gt_i32_e64 s7, 0, v47
	v_dual_ashrrev_i32 v23, 31, v46 :: v_dual_ashrrev_i32 v21, 31, v21
	v_xor_b32_e32 v26, s5, v26
	v_xor_b32_e32 v27, s6, v27
	v_bitop3_b32 v22, v22, v25, v24 bitop3:0x80
	s_delay_alu instid0(VALU_DEP_4) | instskip(SKIP_3) | instid1(VALU_DEP_1)
	v_xor_b32_e32 v23, s7, v23
	v_xor_b32_e32 v21, s8, v21
	ds_load_b32 v46, v48 offset:64
	v_bitop3_b32 v22, v22, v27, v26 bitop3:0x80
	; wave barrier
	v_bitop3_b32 v21, v22, v21, v23 bitop3:0x80
	s_delay_alu instid0(VALU_DEP_1) | instskip(SKIP_1) | instid1(VALU_DEP_2)
	v_mbcnt_lo_u32_b32 v47, v21, 0
	v_cmp_ne_u32_e64 s2, 0, v21
	v_cmp_eq_u32_e32 vcc_lo, 0, v47
	s_and_b32 s3, s2, vcc_lo
	s_delay_alu instid0(SALU_CYCLE_1)
	s_and_saveexec_b32 s2, s3
	s_cbranch_execz .LBB1632_31
; %bb.30:
	s_wait_dscnt 0x0
	v_bcnt_u32_b32 v21, v21, v46
	ds_store_b32 v48, v21 offset:64
.LBB1632_31:
	s_or_b32 exec_lo, exec_lo, s2
	v_cmp_lt_i64_e32 vcc_lo, -1, v[14:15]
	; wave barrier
	v_cndmask_b32_e64 v21, -1, 0x80000000, vcc_lo
	s_delay_alu instid0(VALU_DEP_1) | instskip(NEXT) | instid1(VALU_DEP_1)
	v_dual_ashrrev_i32 v22, 31, v15 :: v_dual_bitop2_b32 v15, v21, v15 bitop3:0x14
	v_xor_b32_e32 v14, v22, v14
	s_delay_alu instid0(VALU_DEP_1) | instskip(SKIP_2) | instid1(VALU_DEP_1)
	v_cmp_ne_u64_e32 vcc_lo, s[22:23], v[14:15]
	v_cndmask_b32_e32 v23, 0x80000000, v15, vcc_lo
	v_cndmask_b32_e32 v22, 0, v14, vcc_lo
	v_lshrrev_b64 v[22:23], s20, v[22:23]
	s_delay_alu instid0(VALU_DEP_1) | instskip(SKIP_1) | instid1(VALU_DEP_2)
	v_and_b32_e32 v21, s29, v22
	v_bitop3_b32 v22, v22, 1, s29 bitop3:0x80
	v_mad_u32 v51, 0x44, v21, v20
	s_delay_alu instid0(VALU_DEP_2) | instskip(NEXT) | instid1(VALU_DEP_1)
	v_add_co_u32 v20, s2, v22, -1
	v_cndmask_b32_e64 v22, 0, 1, s2
	v_lshlrev_b32_e32 v23, 30, v21
	s_delay_alu instid0(VALU_DEP_2) | instskip(NEXT) | instid1(VALU_DEP_2)
	v_cmp_ne_u32_e32 vcc_lo, 0, v22
	v_not_b32_e32 v22, v23
	v_cmp_gt_i32_e64 s2, 0, v23
	s_delay_alu instid0(VALU_DEP_2) | instskip(SKIP_3) | instid1(VALU_DEP_4)
	v_dual_ashrrev_i32 v22, 31, v22 :: v_dual_lshlrev_b32 v24, 29, v21
	v_dual_lshlrev_b32 v25, 28, v21 :: v_dual_lshlrev_b32 v26, 27, v21
	v_dual_lshlrev_b32 v27, 26, v21 :: v_dual_lshlrev_b32 v49, 25, v21
	v_lshlrev_b32_e32 v21, 24, v21
	v_cmp_gt_i32_e64 s3, 0, v24
	v_not_b32_e32 v23, v24
	v_not_b32_e32 v24, v25
	v_cmp_gt_i32_e64 s4, 0, v25
	v_cmp_gt_i32_e64 s5, 0, v26
	v_not_b32_e32 v25, v26
	v_not_b32_e32 v26, v27
	v_dual_ashrrev_i32 v23, 31, v23 :: v_dual_bitop2_b32 v20, vcc_lo, v20 bitop3:0x14
	v_dual_ashrrev_i32 v24, 31, v24 :: v_dual_bitop2_b32 v22, s2, v22 bitop3:0x14
	v_cmp_gt_i32_e64 s6, 0, v27
	v_not_b32_e32 v27, v49
	v_cmp_gt_i32_e64 s8, 0, v21
	v_not_b32_e32 v21, v21
	v_dual_ashrrev_i32 v25, 31, v25 :: v_dual_ashrrev_i32 v26, 31, v26
	v_xor_b32_e32 v23, s3, v23
	v_xor_b32_e32 v24, s4, v24
	v_bitop3_b32 v20, v20, v22, exec_lo bitop3:0x80
	v_cmp_gt_i32_e64 s7, 0, v49
	v_dual_ashrrev_i32 v22, 31, v27 :: v_dual_ashrrev_i32 v21, 31, v21
	v_xor_b32_e32 v25, s5, v25
	v_xor_b32_e32 v26, s6, v26
	v_bitop3_b32 v20, v20, v24, v23 bitop3:0x80
	s_delay_alu instid0(VALU_DEP_4) | instskip(SKIP_3) | instid1(VALU_DEP_1)
	v_xor_b32_e32 v22, s7, v22
	v_xor_b32_e32 v21, s8, v21
	ds_load_b32 v49, v51 offset:64
	v_bitop3_b32 v20, v20, v26, v25 bitop3:0x80
	; wave barrier
	v_bitop3_b32 v20, v20, v21, v22 bitop3:0x80
	s_delay_alu instid0(VALU_DEP_1) | instskip(SKIP_1) | instid1(VALU_DEP_2)
	v_mbcnt_lo_u32_b32 v50, v20, 0
	v_cmp_ne_u32_e64 s2, 0, v20
	v_cmp_eq_u32_e32 vcc_lo, 0, v50
	s_and_b32 s3, s2, vcc_lo
	s_delay_alu instid0(SALU_CYCLE_1)
	s_and_saveexec_b32 s2, s3
	s_cbranch_execz .LBB1632_33
; %bb.32:
	s_wait_dscnt 0x0
	v_bcnt_u32_b32 v20, v20, v49
	ds_store_b32 v51, v20 offset:64
.LBB1632_33:
	s_or_b32 exec_lo, exec_lo, s2
	; wave barrier
	s_wait_dscnt 0x0
	s_barrier_signal -1
	s_barrier_wait -1
	ds_load_2addr_b32 v[26:27], v3 offset0:16 offset1:17
	ds_load_2addr_b32 v[24:25], v3 offset0:18 offset1:19
	;; [unrolled: 1-line block ×4, first 2 shown]
	ds_load_b32 v52, v3 offset:96
	v_bfe_i32 v55, v33, 4, 1
	s_mov_b32 s6, exec_lo
	s_wait_dscnt 0x3
	v_add3_u32 v53, v27, v26, v24
	s_wait_dscnt 0x2
	s_delay_alu instid0(VALU_DEP_1) | instskip(SKIP_1) | instid1(VALU_DEP_1)
	v_add3_u32 v53, v53, v25, v22
	s_wait_dscnt 0x1
	v_add3_u32 v53, v53, v23, v20
	s_wait_dscnt 0x0
	s_delay_alu instid0(VALU_DEP_1) | instskip(SKIP_1) | instid1(VALU_DEP_2)
	v_add3_u32 v52, v53, v21, v52
	v_and_b32_e32 v53, 15, v33
	v_mov_b32_dpp v54, v52 row_shr:1 row_mask:0xf bank_mask:0xf
	s_delay_alu instid0(VALU_DEP_2) | instskip(NEXT) | instid1(VALU_DEP_2)
	v_cmp_eq_u32_e32 vcc_lo, 0, v53
	v_cndmask_b32_e64 v54, v54, 0, vcc_lo
	s_delay_alu instid0(VALU_DEP_1) | instskip(SKIP_3) | instid1(VALU_DEP_4)
	v_add_nc_u32_e32 v52, v54, v52
	v_cmp_lt_u32_e64 s2, 1, v53
	v_cmp_lt_u32_e64 s3, 3, v53
	;; [unrolled: 1-line block ×3, first 2 shown]
	v_mov_b32_dpp v54, v52 row_shr:2 row_mask:0xf bank_mask:0xf
	s_delay_alu instid0(VALU_DEP_1) | instskip(NEXT) | instid1(VALU_DEP_1)
	v_cndmask_b32_e64 v54, 0, v54, s2
	v_add_nc_u32_e32 v52, v52, v54
	s_delay_alu instid0(VALU_DEP_1) | instskip(NEXT) | instid1(VALU_DEP_1)
	v_mov_b32_dpp v54, v52 row_shr:4 row_mask:0xf bank_mask:0xf
	v_cndmask_b32_e64 v54, 0, v54, s3
	s_delay_alu instid0(VALU_DEP_1) | instskip(NEXT) | instid1(VALU_DEP_1)
	v_add_nc_u32_e32 v52, v52, v54
	v_mov_b32_dpp v54, v52 row_shr:8 row_mask:0xf bank_mask:0xf
	s_delay_alu instid0(VALU_DEP_1) | instskip(SKIP_1) | instid1(VALU_DEP_2)
	v_cndmask_b32_e64 v53, 0, v54, s4
	v_and_b32_e32 v54, 0x3e0, v32
	v_add_nc_u32_e32 v52, v52, v53
	s_delay_alu instid0(VALU_DEP_2) | instskip(SKIP_3) | instid1(VALU_DEP_1)
	v_min_u32_e32 v54, 0x1e0, v54
	ds_swizzle_b32 v53, v52 offset:swizzle(BROADCAST,32,15)
	s_wait_dscnt 0x0
	v_dual_lshrrev_b32 v53, 5, v32 :: v_dual_bitop2_b32 v55, v55, v53 bitop3:0x40
	v_dual_add_nc_u32 v52, v52, v55 :: v_dual_bitop2_b32 v54, 31, v54 bitop3:0x54
	s_delay_alu instid0(VALU_DEP_1)
	v_cmpx_eq_u32_e64 v32, v54
; %bb.34:
	s_delay_alu instid0(VALU_DEP_3)
	v_lshlrev_b32_e32 v54, 2, v53
	ds_store_b32 v54, v52
; %bb.35:
	s_or_b32 exec_lo, exec_lo, s6
	s_delay_alu instid0(SALU_CYCLE_1)
	s_mov_b32 s6, exec_lo
	s_wait_dscnt 0x0
	s_barrier_signal -1
	s_barrier_wait -1
	v_cmpx_gt_u32_e32 16, v32
	s_cbranch_execz .LBB1632_37
; %bb.36:
	v_lshlrev_b32_e32 v54, 2, v32
	ds_load_b32 v55, v54
	s_wait_dscnt 0x0
	v_mov_b32_dpp v56, v55 row_shr:1 row_mask:0xf bank_mask:0xf
	s_delay_alu instid0(VALU_DEP_1) | instskip(NEXT) | instid1(VALU_DEP_1)
	v_cndmask_b32_e64 v56, v56, 0, vcc_lo
	v_add_nc_u32_e32 v55, v56, v55
	s_delay_alu instid0(VALU_DEP_1) | instskip(NEXT) | instid1(VALU_DEP_1)
	v_mov_b32_dpp v56, v55 row_shr:2 row_mask:0xf bank_mask:0xf
	v_cndmask_b32_e64 v56, 0, v56, s2
	s_delay_alu instid0(VALU_DEP_1) | instskip(NEXT) | instid1(VALU_DEP_1)
	v_add_nc_u32_e32 v55, v55, v56
	v_mov_b32_dpp v56, v55 row_shr:4 row_mask:0xf bank_mask:0xf
	s_delay_alu instid0(VALU_DEP_1) | instskip(NEXT) | instid1(VALU_DEP_1)
	v_cndmask_b32_e64 v56, 0, v56, s3
	v_add_nc_u32_e32 v55, v55, v56
	s_delay_alu instid0(VALU_DEP_1) | instskip(NEXT) | instid1(VALU_DEP_1)
	v_mov_b32_dpp v56, v55 row_shr:8 row_mask:0xf bank_mask:0xf
	v_cndmask_b32_e64 v56, 0, v56, s4
	s_delay_alu instid0(VALU_DEP_1)
	v_add_nc_u32_e32 v55, v55, v56
	ds_store_b32 v54, v55
.LBB1632_37:
	s_or_b32 exec_lo, exec_lo, s6
	v_mov_b32_e32 v54, 0
	s_mov_b32 s2, exec_lo
	s_wait_dscnt 0x0
	s_barrier_signal -1
	s_barrier_wait -1
	v_cmpx_lt_u32_e32 31, v32
; %bb.38:
	v_lshl_add_u32 v53, v53, 2, -4
	ds_load_b32 v54, v53
; %bb.39:
	s_or_b32 exec_lo, exec_lo, s2
	v_sub_co_u32 v53, vcc_lo, v33, 1
	s_wait_dscnt 0x0
	v_add_nc_u32_e32 v52, v54, v52
	s_delay_alu instid0(VALU_DEP_2) | instskip(NEXT) | instid1(VALU_DEP_1)
	v_cmp_gt_i32_e64 s2, 0, v53
	v_cndmask_b32_e64 v53, v53, v33, s2
	v_cmp_lt_u32_e64 s2, 0xff, v32
	s_delay_alu instid0(VALU_DEP_2) | instskip(SKIP_4) | instid1(VALU_DEP_2)
	v_lshlrev_b32_e32 v53, 2, v53
	ds_bpermute_b32 v52, v53, v52
	s_wait_dscnt 0x0
	v_cndmask_b32_e32 v52, v52, v54, vcc_lo
	v_cmp_ne_u32_e32 vcc_lo, 0, v32
	v_cndmask_b32_e32 v52, 0, v52, vcc_lo
	v_cmp_gt_u32_e32 vcc_lo, 0x100, v32
	s_delay_alu instid0(VALU_DEP_2) | instskip(NEXT) | instid1(VALU_DEP_1)
	v_add_nc_u32_e32 v26, v52, v26
	v_add_nc_u32_e32 v27, v26, v27
	s_delay_alu instid0(VALU_DEP_1) | instskip(NEXT) | instid1(VALU_DEP_1)
	v_add_nc_u32_e32 v24, v27, v24
	v_add_nc_u32_e32 v25, v24, v25
	s_delay_alu instid0(VALU_DEP_1) | instskip(NEXT) | instid1(VALU_DEP_1)
	;; [unrolled: 3-line block ×3, first 2 shown]
	v_add_nc_u32_e32 v20, v23, v20
	v_add_nc_u32_e32 v21, v20, v21
	ds_store_2addr_b32 v3, v52, v26 offset0:16 offset1:17
	ds_store_2addr_b32 v3, v27, v24 offset0:18 offset1:19
	;; [unrolled: 1-line block ×4, first 2 shown]
	ds_store_b32 v3, v21 offset:96
	s_wait_dscnt 0x0
	s_barrier_signal -1
	s_barrier_wait -1
	ds_load_b32 v23, v28 offset:64
	ds_load_b32 v52, v29 offset:64
	;; [unrolled: 1-line block ×8, first 2 shown]
	v_mov_b64_e32 v[20:21], 0
                                        ; implicit-def: $vgpr22
	s_and_saveexec_b32 s4, vcc_lo
	s_cbranch_execz .LBB1632_43
; %bb.40:
	v_mul_u32_u24_e32 v3, 0x44, v32
	v_add_nc_u32_e32 v21, 1, v32
	s_mov_b32 s5, exec_lo
	ds_load_b32 v20, v3 offset:64
	v_mov_b32_e32 v3, 0x1000
	v_cmpx_ne_u32_e32 0x100, v21
; %bb.41:
	v_mul_u32_u24_e32 v3, 0x44, v21
	ds_load_b32 v3, v3 offset:64
; %bb.42:
	s_or_b32 exec_lo, exec_lo, s5
	s_wait_dscnt 0x0
	v_dual_mov_b32 v21, 0 :: v_dual_sub_nc_u32 v22, v3, v20
.LBB1632_43:
	s_or_b32 exec_lo, exec_lo, s4
	v_mov_b32_e32 v25, 0
	s_wait_dscnt 0x0
	s_barrier_signal -1
	s_barrier_wait -1
	s_and_saveexec_b32 s3, vcc_lo
	s_cbranch_execz .LBB1632_53
; %bb.44:
	v_lshl_add_u32 v24, s26, 8, v32
	v_dual_mov_b32 v28, 0 :: v_dual_bitop2_b32 v3, 2.0, v22 bitop3:0x54
	s_mov_b32 s4, 0
	s_mov_b32 s5, s26
	s_delay_alu instid0(VALU_DEP_2)
	v_lshl_add_u64 v[26:27], v[24:25], 2, s[10:11]
	global_store_b32 v24, v3, s[10:11] scale_offset scope:SCOPE_DEV
                                        ; implicit-def: $sgpr6
	s_branch .LBB1632_47
.LBB1632_45:                            ;   in Loop: Header=BB1632_47 Depth=1
	s_or_b32 exec_lo, exec_lo, s7
.LBB1632_46:                            ;   in Loop: Header=BB1632_47 Depth=1
	s_delay_alu instid0(SALU_CYCLE_1) | instskip(SKIP_2) | instid1(VALU_DEP_2)
	s_or_b32 exec_lo, exec_lo, s6
	v_and_b32_e32 v24, 0x3fffffff, v3
	v_cmp_gt_i32_e64 s6, -2.0, v3
	v_add_nc_u32_e32 v28, v24, v28
	s_and_b32 s7, exec_lo, s6
	s_delay_alu instid0(SALU_CYCLE_1) | instskip(NEXT) | instid1(SALU_CYCLE_1)
	s_or_b32 s4, s7, s4
	s_and_not1_b32 exec_lo, exec_lo, s4
	s_cbranch_execz .LBB1632_52
.LBB1632_47:                            ; =>This Loop Header: Depth=1
                                        ;     Child Loop BB1632_50 Depth 2
	s_or_b32 s6, s6, exec_lo
	s_cmp_eq_u32 s5, 0
	s_cbranch_scc1 .LBB1632_51
; %bb.48:                               ;   in Loop: Header=BB1632_47 Depth=1
	s_add_co_i32 s5, s5, -1
	s_mov_b32 s6, exec_lo
	s_wait_xcnt 0x0
	v_lshl_or_b32 v24, s5, 8, v32
	global_load_b32 v3, v24, s[10:11] scale_offset scope:SCOPE_DEV
	s_wait_loadcnt 0x0
	v_cmpx_gt_u32_e32 2.0, v3
	s_cbranch_execz .LBB1632_46
; %bb.49:                               ;   in Loop: Header=BB1632_47 Depth=1
	v_lshl_add_u64 v[30:31], v[24:25], 2, s[10:11]
	s_mov_b32 s7, 0
.LBB1632_50:                            ;   Parent Loop BB1632_47 Depth=1
                                        ; =>  This Inner Loop Header: Depth=2
	global_load_b32 v3, v[30:31], off scope:SCOPE_DEV
	s_wait_loadcnt 0x0
	v_cmp_lt_u32_e32 vcc_lo, 0x3fffffff, v3
	s_or_b32 s7, vcc_lo, s7
	s_wait_xcnt 0x0
	s_and_not1_b32 exec_lo, exec_lo, s7
	s_cbranch_execnz .LBB1632_50
	s_branch .LBB1632_45
.LBB1632_51:                            ;   in Loop: Header=BB1632_47 Depth=1
                                        ; implicit-def: $sgpr5
	s_and_b32 s7, exec_lo, s6
	s_delay_alu instid0(SALU_CYCLE_1)
	s_or_b32 s4, s7, s4
	s_wait_xcnt 0x0
	s_and_not1_b32 exec_lo, exec_lo, s4
	s_cbranch_execnz .LBB1632_47
.LBB1632_52:
	s_or_b32 exec_lo, exec_lo, s4
	v_dual_add_nc_u32 v3, v28, v22 :: v_dual_mov_b32 v29, 0
	s_delay_alu instid0(VALU_DEP_1)
	v_or_b32_e32 v3, 0x80000000, v3
	global_store_b32 v[26:27], v3, off scope:SCOPE_DEV
	global_load_b64 v[24:25], v32, s[12:13] scale_offset
	s_wait_xcnt 0x1
	v_sub_nc_u64_e32 v[26:27], v[28:29], v[20:21]
	s_wait_loadcnt 0x0
	s_delay_alu instid0(VALU_DEP_1)
	v_add_nc_u64_e32 v[24:25], v[26:27], v[24:25]
	ds_store_b64 v2, v[24:25]
.LBB1632_53:
	s_wait_xcnt 0x0
	s_or_b32 exec_lo, exec_lo, s3
	v_dual_mov_b32 v3, 0 :: v_dual_add_nc_u32 v1, v23, v1
	v_add3_u32 v23, v47, v48, v46
	v_add3_u32 v26, v44, v45, v43
	v_add3_u32 v27, v41, v42, v40
	s_delay_alu instid0(VALU_DEP_4)
	v_add_nc_u64_e32 v[24:25], s[18:19], v[2:3]
	v_add3_u32 v3, v50, v51, v49
	v_add3_u32 v28, v39, v54, v38
	;; [unrolled: 1-line block ×4, first 2 shown]
	v_mov_b32_e32 v31, v32
	s_mov_b64 s[4:5], 0x7fffffffffffffff
	v_add_nc_u64_e32 v[24:25], 0x3000, v[24:25]
	s_mov_b32 s6, -1
	s_mov_b32 s3, 0
	s_branch .LBB1632_55
.LBB1632_54:                            ;   in Loop: Header=BB1632_55 Depth=1
	s_wait_xcnt 0x0
	s_or_b32 exec_lo, exec_lo, s7
	v_add_nc_u64_e32 v[24:25], 0x4000, v[24:25]
	v_add_nc_u32_e32 v31, 0x800, v31
	s_xor_b32 s6, s6, -1
	s_addk_co_i32 s3, 0xf800
	s_and_b32 vcc_lo, exec_lo, s6
	s_mov_b32 s6, 0
	s_wait_storecnt 0x0
	s_barrier_signal -1
	s_barrier_wait -1
	s_cbranch_vccnz .LBB1632_63
.LBB1632_55:                            ; =>This Inner Loop Header: Depth=1
	v_add_min_u32_e64 v34, v1, s3, 0x800
	v_add_min_u32_e64 v35, v30, s3, 0x800
	;; [unrolled: 1-line block ×5, first 2 shown]
	s_delay_alu instid0(VALU_DEP_4) | instskip(NEXT) | instid1(VALU_DEP_3)
	v_dual_lshlrev_b32 v34, 3, v34 :: v_dual_lshlrev_b32 v35, 3, v35
	v_dual_lshlrev_b32 v36, 3, v36 :: v_dual_lshlrev_b32 v37, 3, v37
	s_mov_b32 s7, exec_lo
	ds_store_b64 v34, v[4:5] offset:2048
	ds_store_b64 v35, v[6:7] offset:2048
	;; [unrolled: 1-line block ×3, first 2 shown]
	v_add_min_u32_e64 v34, v26, s3, 0x800
	v_add_min_u32_e64 v35, v23, s3, 0x800
	;; [unrolled: 1-line block ×3, first 2 shown]
	v_lshlrev_b32_e32 v38, 3, v38
	s_delay_alu instid0(VALU_DEP_3) | instskip(NEXT) | instid1(VALU_DEP_3)
	v_dual_lshlrev_b32 v34, 3, v34 :: v_dual_lshlrev_b32 v35, 3, v35
	v_lshlrev_b32_e32 v36, 3, v36
	ds_store_b64 v37, v[10:11] offset:2048
	ds_store_b64 v38, v[12:13] offset:2048
	;; [unrolled: 1-line block ×5, first 2 shown]
	s_wait_storecnt_dscnt 0x0
	s_barrier_signal -1
	s_barrier_wait -1
	v_cmpx_gt_u32_e64 s27, v31
	s_cbranch_execz .LBB1632_57
; %bb.56:                               ;   in Loop: Header=BB1632_55 Depth=1
	ds_load_b64 v[34:35], v2 offset:2048
	s_wait_dscnt 0x0
	v_cmp_ne_u64_e32 vcc_lo, s[4:5], v[34:35]
	v_ashrrev_i32_e32 v38, 31, v35
	s_delay_alu instid0(VALU_DEP_1) | instskip(SKIP_3) | instid1(VALU_DEP_4)
	v_not_b32_e32 v38, v38
	v_cndmask_b32_e32 v37, 0x80000000, v35, vcc_lo
	v_cndmask_b32_e32 v36, 0, v34, vcc_lo
	v_cmp_lt_i64_e32 vcc_lo, -1, v[34:35]
	v_xor_b32_e32 v34, v38, v34
	s_delay_alu instid0(VALU_DEP_3) | instskip(SKIP_1) | instid1(VALU_DEP_2)
	v_lshrrev_b64 v[36:37], s20, v[36:37]
	v_cndmask_b32_e64 v39, 0x80000000, -1, vcc_lo
	v_and_b32_e32 v36, s29, v36
	s_delay_alu instid0(VALU_DEP_1)
	v_dual_lshlrev_b32 v36, 3, v36 :: v_dual_bitop2_b32 v35, v39, v35 bitop3:0x14
	ds_load_b64 v[36:37], v36
	s_wait_dscnt 0x0
	v_lshl_add_u64 v[36:37], v[36:37], 3, v[24:25]
	global_store_b64 v[36:37], v[34:35], off offset:-12288
.LBB1632_57:                            ;   in Loop: Header=BB1632_55 Depth=1
	s_wait_xcnt 0x0
	s_or_b32 exec_lo, exec_lo, s7
	v_add_nc_u32_e32 v34, 0x200, v31
	s_mov_b32 s7, exec_lo
	s_delay_alu instid0(VALU_DEP_1)
	v_cmpx_gt_u32_e64 s27, v34
	s_cbranch_execz .LBB1632_59
; %bb.58:                               ;   in Loop: Header=BB1632_55 Depth=1
	ds_load_b64 v[34:35], v2 offset:6144
	s_wait_dscnt 0x0
	v_cmp_ne_u64_e32 vcc_lo, s[4:5], v[34:35]
	v_ashrrev_i32_e32 v38, 31, v35
	s_delay_alu instid0(VALU_DEP_1) | instskip(SKIP_3) | instid1(VALU_DEP_4)
	v_not_b32_e32 v38, v38
	v_cndmask_b32_e32 v37, 0x80000000, v35, vcc_lo
	v_cndmask_b32_e32 v36, 0, v34, vcc_lo
	v_cmp_lt_i64_e32 vcc_lo, -1, v[34:35]
	v_xor_b32_e32 v34, v38, v34
	s_delay_alu instid0(VALU_DEP_3) | instskip(SKIP_1) | instid1(VALU_DEP_2)
	v_lshrrev_b64 v[36:37], s20, v[36:37]
	v_cndmask_b32_e64 v39, 0x80000000, -1, vcc_lo
	v_and_b32_e32 v36, s29, v36
	s_delay_alu instid0(VALU_DEP_1)
	v_dual_lshlrev_b32 v36, 3, v36 :: v_dual_bitop2_b32 v35, v39, v35 bitop3:0x14
	ds_load_b64 v[36:37], v36
	s_wait_dscnt 0x0
	v_lshl_add_u64 v[36:37], v[36:37], 3, v[24:25]
	global_store_b64 v[36:37], v[34:35], off offset:-8192
.LBB1632_59:                            ;   in Loop: Header=BB1632_55 Depth=1
	s_wait_xcnt 0x0
	s_or_b32 exec_lo, exec_lo, s7
	v_add_nc_u32_e32 v34, 0x400, v31
	s_mov_b32 s7, exec_lo
	s_delay_alu instid0(VALU_DEP_1)
	;; [unrolled: 29-line block ×3, first 2 shown]
	v_cmpx_gt_u32_e64 s27, v34
	s_cbranch_execz .LBB1632_54
; %bb.62:                               ;   in Loop: Header=BB1632_55 Depth=1
	ds_load_b64 v[34:35], v2 offset:14336
	s_wait_dscnt 0x0
	v_cmp_ne_u64_e32 vcc_lo, s[4:5], v[34:35]
	v_ashrrev_i32_e32 v38, 31, v35
	s_delay_alu instid0(VALU_DEP_1) | instskip(SKIP_3) | instid1(VALU_DEP_4)
	v_not_b32_e32 v38, v38
	v_cndmask_b32_e32 v37, 0x80000000, v35, vcc_lo
	v_cndmask_b32_e32 v36, 0, v34, vcc_lo
	v_cmp_lt_i64_e32 vcc_lo, -1, v[34:35]
	v_xor_b32_e32 v34, v38, v34
	s_delay_alu instid0(VALU_DEP_3) | instskip(SKIP_1) | instid1(VALU_DEP_2)
	v_lshrrev_b64 v[36:37], s20, v[36:37]
	v_cndmask_b32_e64 v39, 0x80000000, -1, vcc_lo
	v_and_b32_e32 v36, s29, v36
	s_delay_alu instid0(VALU_DEP_1)
	v_dual_lshlrev_b32 v36, 3, v36 :: v_dual_bitop2_b32 v35, v39, v35 bitop3:0x14
	ds_load_b64 v[36:37], v36
	s_wait_dscnt 0x0
	v_lshl_add_u64 v[36:37], v[36:37], 3, v[24:25]
	global_store_b64 v[36:37], v[34:35], off
	s_branch .LBB1632_54
.LBB1632_63:
	s_add_co_i32 s28, s28, -1
	s_delay_alu instid0(SALU_CYCLE_1) | instskip(SKIP_2) | instid1(SALU_CYCLE_1)
	s_cmp_eq_u32 s26, s28
	s_cselect_b32 s3, -1, 0
	s_xor_b32 s2, s2, -1
	s_and_b32 s3, s2, s3
	s_delay_alu instid0(SALU_CYCLE_1)
	s_and_saveexec_b32 s2, s3
	s_cbranch_execz .LBB1632_65
; %bb.64:
	ds_load_b64 v[2:3], v2
	v_mov_b32_e32 v23, 0
	s_delay_alu instid0(VALU_DEP_1) | instskip(SKIP_1) | instid1(VALU_DEP_1)
	v_add_nc_u64_e32 v[4:5], v[20:21], v[22:23]
	s_wait_dscnt 0x0
	v_add_nc_u64_e32 v[2:3], v[4:5], v[2:3]
	global_store_b64 v32, v[2:3], s[14:15] scale_offset
.LBB1632_65:
	s_wait_xcnt 0x0
	s_or_b32 exec_lo, exec_lo, s2
	s_mov_b32 s2, 0
.LBB1632_66:
	s_delay_alu instid0(SALU_CYCLE_1)
	s_and_b32 vcc_lo, exec_lo, s2
	s_cbranch_vccz .LBB1632_107
; %bb.67:
	s_lshl_b32 s2, s26, 12
	s_mov_b32 s3, 0
	v_dual_mov_b32 v19, 0 :: v_dual_lshlrev_b32 v18, 3, v33
	s_lshl_b64 s[4:5], s[2:3], 3
	v_lshlrev_b32_e32 v1, 6, v32
	s_add_nc_u64 s[4:5], s[16:17], s[4:5]
	s_mov_b64 s[8:9], 0x7fffffffffffffff
	v_add_nc_u64_e32 v[2:3], s[4:5], v[18:19]
	v_bfe_u32 v22, v0, 20, 10
	v_and_b32_e32 v18, 0x7800, v1
	s_delay_alu instid0(VALU_DEP_1)
	v_add_nc_u64_e32 v[2:3], v[2:3], v[18:19]
	v_bfe_u32 v18, v0, 10, 10
	s_clause 0x7
	global_load_b64 v[20:21], v[2:3], off
	global_load_b64 v[16:17], v[2:3], off offset:256
	global_load_b64 v[4:5], v[2:3], off offset:512
	;; [unrolled: 1-line block ×7, first 2 shown]
	s_clause 0x1
	s_load_b32 s16, s[0:1], 0x58
	s_load_u16 s4, s[0:1], 0x66
	s_wait_kmcnt 0x0
	s_cmp_lt_u32 s26, s16
	s_cselect_b32 s2, 12, 18
	s_lshl_b32 s7, -1, s21
	s_add_nc_u64 s[0:1], s[24:25], s[2:3]
	s_not_b32 s17, s7
	s_load_u16 s0, s[0:1], 0x0
	s_wait_loadcnt 0x7
	v_cmp_lt_i64_e32 vcc_lo, -1, v[20:21]
	v_ashrrev_i32_e32 v2, 31, v21
	s_delay_alu instid0(VALU_DEP_1) | instskip(SKIP_1) | instid1(VALU_DEP_1)
	v_xor_b32_e32 v2, v2, v20
	v_cndmask_b32_e64 v1, -1, 0x80000000, vcc_lo
	v_xor_b32_e32 v3, v1, v21
	s_delay_alu instid0(VALU_DEP_1) | instskip(SKIP_2) | instid1(VALU_DEP_1)
	v_cmp_ne_u64_e32 vcc_lo, s[8:9], v[2:3]
	v_cndmask_b32_e32 v20, 0, v2, vcc_lo
	v_cndmask_b32_e32 v21, 0x80000000, v3, vcc_lo
	v_lshrrev_b64 v[0:1], s20, v[20:21]
	v_mad_u32_u24 v1, v22, s4, v18
	s_delay_alu instid0(VALU_DEP_2) | instskip(SKIP_2) | instid1(VALU_DEP_3)
	v_bitop3_b32 v18, v0, 1, s7 bitop3:0x40
	v_bitop3_b32 v20, v0, s7, v0 bitop3:0x30
	s_wait_kmcnt 0x0
	v_mad_u32 v0, v1, s0, v32
	s_delay_alu instid0(VALU_DEP_3) | instskip(NEXT) | instid1(VALU_DEP_1)
	v_add_co_u32 v1, s0, v18, -1
	v_cndmask_b32_e64 v18, 0, 1, s0
	v_dual_lshlrev_b32 v21, 30, v20 :: v_dual_lshlrev_b32 v22, 29, v20
	v_dual_lshlrev_b32 v23, 28, v20 :: v_dual_lshlrev_b32 v24, 27, v20
	s_delay_alu instid0(VALU_DEP_3) | instskip(NEXT) | instid1(VALU_DEP_3)
	v_cmp_ne_u32_e32 vcc_lo, 0, v18
	v_not_b32_e32 v18, v21
	v_dual_lshlrev_b32 v25, 26, v20 :: v_dual_lshlrev_b32 v26, 25, v20
	v_lshlrev_b32_e32 v27, 24, v20
	v_cmp_gt_i32_e64 s0, 0, v21
	v_cmp_gt_i32_e64 s1, 0, v22
	v_not_b32_e32 v21, v22
	v_not_b32_e32 v22, v23
	v_ashrrev_i32_e32 v18, 31, v18
	v_cmp_gt_i32_e64 s2, 0, v23
	v_cmp_gt_i32_e64 s3, 0, v24
	v_not_b32_e32 v23, v24
	v_not_b32_e32 v24, v25
	v_dual_ashrrev_i32 v22, 31, v22 :: v_dual_bitop2_b32 v1, vcc_lo, v1 bitop3:0x14
	v_dual_ashrrev_i32 v21, 31, v21 :: v_dual_bitop2_b32 v18, s0, v18 bitop3:0x14
	v_cmp_gt_i32_e64 s4, 0, v25
	v_cmp_gt_i32_e64 s5, 0, v26
	v_not_b32_e32 v25, v26
	v_not_b32_e32 v26, v27
	v_dual_ashrrev_i32 v23, 31, v23 :: v_dual_ashrrev_i32 v24, 31, v24
	v_xor_b32_e32 v21, s1, v21
	v_xor_b32_e32 v22, s2, v22
	v_bitop3_b32 v1, v1, v18, exec_lo bitop3:0x80
	v_cmp_gt_i32_e64 s6, 0, v27
	v_dual_ashrrev_i32 v18, 31, v25 :: v_dual_ashrrev_i32 v25, 31, v26
	v_dual_lshrrev_b32 v0, 5, v0 :: v_dual_bitop2_b32 v23, s3, v23 bitop3:0x14
	v_xor_b32_e32 v24, s4, v24
	v_bitop3_b32 v1, v1, v22, v21 bitop3:0x80
	s_delay_alu instid0(VALU_DEP_4) | instskip(NEXT) | instid1(VALU_DEP_4)
	v_xor_b32_e32 v21, s5, v18
	v_dual_lshlrev_b32 v18, 2, v0 :: v_dual_bitop2_b32 v22, s6, v25 bitop3:0x14
	s_delay_alu instid0(VALU_DEP_3)
	v_bitop3_b32 v1, v1, v24, v23 bitop3:0x80
	v_mul_u32_u24_e32 v24, 36, v32
	ds_store_2addr_b32 v24, v19, v19 offset0:16 offset1:17
	ds_store_2addr_b32 v24, v19, v19 offset0:18 offset1:19
	;; [unrolled: 1-line block ×4, first 2 shown]
	v_bitop3_b32 v0, v1, v22, v21 bitop3:0x80
	v_mad_u32 v25, 0x44, v20, v18
	ds_store_b32 v24, v19 offset:96
	s_wait_storecnt 0x0
	s_wait_loadcnt_dscnt 0x0
	s_barrier_signal -1
	v_mbcnt_lo_u32_b32 v30, v0, 0
	v_cmp_ne_u32_e64 s0, 0, v0
	s_barrier_wait -1
	s_delay_alu instid0(VALU_DEP_2) | instskip(SKIP_1) | instid1(SALU_CYCLE_1)
	v_cmp_eq_u32_e32 vcc_lo, 0, v30
	; wave barrier
	s_and_b32 s1, s0, vcc_lo
	s_and_saveexec_b32 s0, s1
; %bb.68:
	v_bcnt_u32_b32 v0, v0, 0
	ds_store_b32 v25, v0 offset:64
; %bb.69:
	s_or_b32 exec_lo, exec_lo, s0
	v_cmp_lt_i64_e32 vcc_lo, -1, v[16:17]
	; wave barrier
	v_cndmask_b32_e64 v0, -1, 0x80000000, vcc_lo
	s_delay_alu instid0(VALU_DEP_1) | instskip(NEXT) | instid1(VALU_DEP_1)
	v_dual_ashrrev_i32 v19, 31, v17 :: v_dual_bitop2_b32 v1, v0, v17 bitop3:0x14
	v_xor_b32_e32 v0, v19, v16
	s_delay_alu instid0(VALU_DEP_1) | instskip(SKIP_2) | instid1(VALU_DEP_1)
	v_cmp_ne_u64_e32 vcc_lo, s[8:9], v[0:1]
	v_cndmask_b32_e32 v17, 0x80000000, v1, vcc_lo
	v_cndmask_b32_e32 v16, 0, v0, vcc_lo
	v_lshrrev_b64 v[16:17], s20, v[16:17]
	s_delay_alu instid0(VALU_DEP_1) | instskip(SKIP_1) | instid1(VALU_DEP_2)
	v_and_b32_e32 v17, s17, v16
	v_bitop3_b32 v16, v16, 1, s17 bitop3:0x80
	v_lshlrev_b32_e32 v20, 30, v17
	s_delay_alu instid0(VALU_DEP_2) | instskip(NEXT) | instid1(VALU_DEP_1)
	v_add_co_u32 v16, s0, v16, -1
	v_cndmask_b32_e64 v19, 0, 1, s0
	s_delay_alu instid0(VALU_DEP_3) | instskip(NEXT) | instid1(VALU_DEP_2)
	v_cmp_gt_i32_e64 s0, 0, v20
	v_cmp_ne_u32_e32 vcc_lo, 0, v19
	v_not_b32_e32 v19, v20
	s_delay_alu instid0(VALU_DEP_1) | instskip(SKIP_3) | instid1(VALU_DEP_3)
	v_dual_ashrrev_i32 v19, 31, v19 :: v_dual_bitop2_b32 v16, vcc_lo, v16 bitop3:0x14
	v_dual_lshlrev_b32 v21, 29, v17 :: v_dual_lshlrev_b32 v22, 28, v17
	v_dual_lshlrev_b32 v23, 27, v17 :: v_dual_lshlrev_b32 v27, 26, v17
	v_lshlrev_b32_e32 v28, 25, v17
	v_cmp_gt_i32_e64 s1, 0, v21
	v_not_b32_e32 v20, v21
	v_not_b32_e32 v21, v22
	v_mad_u32 v26, 0x44, v17, v18
	v_lshlrev_b32_e32 v17, 24, v17
	v_cmp_gt_i32_e64 s2, 0, v22
	v_cmp_gt_i32_e64 s3, 0, v23
	v_not_b32_e32 v22, v23
	v_not_b32_e32 v23, v27
	v_dual_ashrrev_i32 v20, 31, v20 :: v_dual_ashrrev_i32 v21, 31, v21
	v_xor_b32_e32 v19, s0, v19
	v_cmp_gt_i32_e64 s4, 0, v27
	v_not_b32_e32 v27, v28
	v_cmp_gt_i32_e64 s6, 0, v17
	v_not_b32_e32 v17, v17
	v_dual_ashrrev_i32 v22, 31, v22 :: v_dual_ashrrev_i32 v23, 31, v23
	v_xor_b32_e32 v20, s1, v20
	v_xor_b32_e32 v21, s2, v21
	v_bitop3_b32 v16, v16, v19, exec_lo bitop3:0x80
	v_cmp_gt_i32_e64 s5, 0, v28
	v_dual_ashrrev_i32 v19, 31, v27 :: v_dual_ashrrev_i32 v17, 31, v17
	v_xor_b32_e32 v22, s3, v22
	v_xor_b32_e32 v23, s4, v23
	v_bitop3_b32 v16, v16, v21, v20 bitop3:0x80
	s_delay_alu instid0(VALU_DEP_4) | instskip(SKIP_3) | instid1(VALU_DEP_1)
	v_xor_b32_e32 v19, s5, v19
	v_xor_b32_e32 v17, s6, v17
	ds_load_b32 v31, v26 offset:64
	v_bitop3_b32 v16, v16, v23, v22 bitop3:0x80
	; wave barrier
	v_bitop3_b32 v16, v16, v17, v19 bitop3:0x80
	s_delay_alu instid0(VALU_DEP_1) | instskip(SKIP_1) | instid1(VALU_DEP_2)
	v_mbcnt_lo_u32_b32 v34, v16, 0
	v_cmp_ne_u32_e64 s0, 0, v16
	v_cmp_eq_u32_e32 vcc_lo, 0, v34
	s_and_b32 s1, s0, vcc_lo
	s_delay_alu instid0(SALU_CYCLE_1)
	s_and_saveexec_b32 s0, s1
	s_cbranch_execz .LBB1632_71
; %bb.70:
	s_wait_dscnt 0x0
	v_bcnt_u32_b32 v16, v16, v31
	ds_store_b32 v26, v16 offset:64
.LBB1632_71:
	s_or_b32 exec_lo, exec_lo, s0
	v_cmp_lt_i64_e32 vcc_lo, -1, v[4:5]
	; wave barrier
	v_cndmask_b32_e64 v16, -1, 0x80000000, vcc_lo
	s_delay_alu instid0(VALU_DEP_1) | instskip(NEXT) | instid1(VALU_DEP_1)
	v_dual_ashrrev_i32 v17, 31, v5 :: v_dual_bitop2_b32 v5, v16, v5 bitop3:0x14
	v_xor_b32_e32 v4, v17, v4
	s_delay_alu instid0(VALU_DEP_1) | instskip(SKIP_2) | instid1(VALU_DEP_1)
	v_cmp_ne_u64_e32 vcc_lo, s[8:9], v[4:5]
	v_cndmask_b32_e32 v17, 0x80000000, v5, vcc_lo
	v_cndmask_b32_e32 v16, 0, v4, vcc_lo
	v_lshrrev_b64 v[16:17], s20, v[16:17]
	s_delay_alu instid0(VALU_DEP_1) | instskip(SKIP_1) | instid1(VALU_DEP_2)
	v_and_b32_e32 v17, s17, v16
	v_bitop3_b32 v16, v16, 1, s17 bitop3:0x80
	v_lshlrev_b32_e32 v20, 30, v17
	s_delay_alu instid0(VALU_DEP_2) | instskip(NEXT) | instid1(VALU_DEP_1)
	v_add_co_u32 v16, s0, v16, -1
	v_cndmask_b32_e64 v19, 0, 1, s0
	s_delay_alu instid0(VALU_DEP_3) | instskip(NEXT) | instid1(VALU_DEP_2)
	v_cmp_gt_i32_e64 s0, 0, v20
	v_cmp_ne_u32_e32 vcc_lo, 0, v19
	v_not_b32_e32 v19, v20
	s_delay_alu instid0(VALU_DEP_1) | instskip(SKIP_3) | instid1(VALU_DEP_3)
	v_dual_ashrrev_i32 v19, 31, v19 :: v_dual_bitop2_b32 v16, vcc_lo, v16 bitop3:0x14
	v_dual_lshlrev_b32 v21, 29, v17 :: v_dual_lshlrev_b32 v22, 28, v17
	v_dual_lshlrev_b32 v23, 27, v17 :: v_dual_lshlrev_b32 v28, 26, v17
	v_lshlrev_b32_e32 v29, 25, v17
	v_cmp_gt_i32_e64 s1, 0, v21
	v_not_b32_e32 v20, v21
	v_not_b32_e32 v21, v22
	v_mad_u32 v27, 0x44, v17, v18
	v_lshlrev_b32_e32 v17, 24, v17
	v_cmp_gt_i32_e64 s2, 0, v22
	v_cmp_gt_i32_e64 s3, 0, v23
	v_not_b32_e32 v22, v23
	v_not_b32_e32 v23, v28
	v_dual_ashrrev_i32 v20, 31, v20 :: v_dual_ashrrev_i32 v21, 31, v21
	v_xor_b32_e32 v19, s0, v19
	v_cmp_gt_i32_e64 s4, 0, v28
	v_not_b32_e32 v28, v29
	v_cmp_gt_i32_e64 s6, 0, v17
	v_not_b32_e32 v17, v17
	v_dual_ashrrev_i32 v22, 31, v22 :: v_dual_ashrrev_i32 v23, 31, v23
	v_xor_b32_e32 v20, s1, v20
	v_xor_b32_e32 v21, s2, v21
	v_bitop3_b32 v16, v16, v19, exec_lo bitop3:0x80
	v_cmp_gt_i32_e64 s5, 0, v29
	v_dual_ashrrev_i32 v19, 31, v28 :: v_dual_ashrrev_i32 v17, 31, v17
	v_xor_b32_e32 v22, s3, v22
	v_xor_b32_e32 v23, s4, v23
	v_bitop3_b32 v16, v16, v21, v20 bitop3:0x80
	s_delay_alu instid0(VALU_DEP_4) | instskip(SKIP_3) | instid1(VALU_DEP_1)
	v_xor_b32_e32 v19, s5, v19
	v_xor_b32_e32 v17, s6, v17
	ds_load_b32 v35, v27 offset:64
	v_bitop3_b32 v16, v16, v23, v22 bitop3:0x80
	; wave barrier
	v_bitop3_b32 v16, v16, v17, v19 bitop3:0x80
	s_delay_alu instid0(VALU_DEP_1) | instskip(SKIP_1) | instid1(VALU_DEP_2)
	v_mbcnt_lo_u32_b32 v36, v16, 0
	v_cmp_ne_u32_e64 s0, 0, v16
	v_cmp_eq_u32_e32 vcc_lo, 0, v36
	s_and_b32 s1, s0, vcc_lo
	s_delay_alu instid0(SALU_CYCLE_1)
	s_and_saveexec_b32 s0, s1
	s_cbranch_execz .LBB1632_73
; %bb.72:
	s_wait_dscnt 0x0
	v_bcnt_u32_b32 v16, v16, v35
	ds_store_b32 v27, v16 offset:64
.LBB1632_73:
	s_or_b32 exec_lo, exec_lo, s0
	v_cmp_lt_i64_e32 vcc_lo, -1, v[6:7]
	; wave barrier
	v_cndmask_b32_e64 v16, -1, 0x80000000, vcc_lo
	s_delay_alu instid0(VALU_DEP_1) | instskip(NEXT) | instid1(VALU_DEP_1)
	v_dual_ashrrev_i32 v17, 31, v7 :: v_dual_bitop2_b32 v7, v16, v7 bitop3:0x14
	v_xor_b32_e32 v6, v17, v6
	s_delay_alu instid0(VALU_DEP_1) | instskip(SKIP_2) | instid1(VALU_DEP_1)
	v_cmp_ne_u64_e32 vcc_lo, s[8:9], v[6:7]
	v_cndmask_b32_e32 v17, 0x80000000, v7, vcc_lo
	v_cndmask_b32_e32 v16, 0, v6, vcc_lo
	v_lshrrev_b64 v[16:17], s20, v[16:17]
	s_delay_alu instid0(VALU_DEP_1) | instskip(SKIP_1) | instid1(VALU_DEP_2)
	v_and_b32_e32 v17, s17, v16
	v_bitop3_b32 v16, v16, 1, s17 bitop3:0x80
	v_lshlrev_b32_e32 v20, 30, v17
	s_delay_alu instid0(VALU_DEP_2) | instskip(NEXT) | instid1(VALU_DEP_1)
	v_add_co_u32 v16, s0, v16, -1
	v_cndmask_b32_e64 v19, 0, 1, s0
	s_delay_alu instid0(VALU_DEP_3) | instskip(NEXT) | instid1(VALU_DEP_2)
	v_cmp_gt_i32_e64 s0, 0, v20
	v_cmp_ne_u32_e32 vcc_lo, 0, v19
	v_not_b32_e32 v19, v20
	s_delay_alu instid0(VALU_DEP_1) | instskip(SKIP_3) | instid1(VALU_DEP_3)
	v_dual_ashrrev_i32 v19, 31, v19 :: v_dual_bitop2_b32 v16, vcc_lo, v16 bitop3:0x14
	v_dual_lshlrev_b32 v21, 29, v17 :: v_dual_lshlrev_b32 v22, 28, v17
	v_dual_lshlrev_b32 v23, 27, v17 :: v_dual_lshlrev_b32 v29, 26, v17
	v_lshlrev_b32_e32 v37, 25, v17
	v_cmp_gt_i32_e64 s1, 0, v21
	v_not_b32_e32 v20, v21
	v_not_b32_e32 v21, v22
	v_mad_u32 v28, 0x44, v17, v18
	v_lshlrev_b32_e32 v17, 24, v17
	v_cmp_gt_i32_e64 s2, 0, v22
	v_cmp_gt_i32_e64 s3, 0, v23
	v_not_b32_e32 v22, v23
	v_not_b32_e32 v23, v29
	v_dual_ashrrev_i32 v20, 31, v20 :: v_dual_ashrrev_i32 v21, 31, v21
	v_xor_b32_e32 v19, s0, v19
	v_cmp_gt_i32_e64 s4, 0, v29
	v_not_b32_e32 v29, v37
	v_cmp_gt_i32_e64 s6, 0, v17
	v_not_b32_e32 v17, v17
	v_dual_ashrrev_i32 v22, 31, v22 :: v_dual_ashrrev_i32 v23, 31, v23
	v_xor_b32_e32 v20, s1, v20
	v_xor_b32_e32 v21, s2, v21
	v_bitop3_b32 v16, v16, v19, exec_lo bitop3:0x80
	v_cmp_gt_i32_e64 s5, 0, v37
	v_ashrrev_i32_e32 v19, 31, v29
	v_dual_ashrrev_i32 v17, 31, v17 :: v_dual_bitop2_b32 v22, s3, v22 bitop3:0x14
	v_xor_b32_e32 v23, s4, v23
	v_bitop3_b32 v16, v16, v21, v20 bitop3:0x80
	s_delay_alu instid0(VALU_DEP_4) | instskip(NEXT) | instid1(VALU_DEP_4)
	v_xor_b32_e32 v19, s5, v19
	v_xor_b32_e32 v17, s6, v17
	ds_load_b32 v37, v28 offset:64
	v_bitop3_b32 v16, v16, v23, v22 bitop3:0x80
	; wave barrier
	s_delay_alu instid0(VALU_DEP_1) | instskip(NEXT) | instid1(VALU_DEP_1)
	v_bitop3_b32 v16, v16, v17, v19 bitop3:0x80
	v_mbcnt_lo_u32_b32 v38, v16, 0
	v_cmp_ne_u32_e64 s0, 0, v16
	s_delay_alu instid0(VALU_DEP_2) | instskip(SKIP_1) | instid1(SALU_CYCLE_1)
	v_cmp_eq_u32_e32 vcc_lo, 0, v38
	s_and_b32 s1, s0, vcc_lo
	s_and_saveexec_b32 s0, s1
	s_cbranch_execz .LBB1632_75
; %bb.74:
	s_wait_dscnt 0x0
	v_bcnt_u32_b32 v16, v16, v37
	ds_store_b32 v28, v16 offset:64
.LBB1632_75:
	s_or_b32 exec_lo, exec_lo, s0
	v_cmp_lt_i64_e32 vcc_lo, -1, v[8:9]
	; wave barrier
	v_cndmask_b32_e64 v16, -1, 0x80000000, vcc_lo
	s_delay_alu instid0(VALU_DEP_1) | instskip(NEXT) | instid1(VALU_DEP_1)
	v_dual_ashrrev_i32 v17, 31, v9 :: v_dual_bitop2_b32 v9, v16, v9 bitop3:0x14
	v_xor_b32_e32 v8, v17, v8
	s_delay_alu instid0(VALU_DEP_1) | instskip(SKIP_2) | instid1(VALU_DEP_1)
	v_cmp_ne_u64_e32 vcc_lo, s[8:9], v[8:9]
	v_cndmask_b32_e32 v17, 0x80000000, v9, vcc_lo
	v_cndmask_b32_e32 v16, 0, v8, vcc_lo
	v_lshrrev_b64 v[16:17], s20, v[16:17]
	s_delay_alu instid0(VALU_DEP_1) | instskip(SKIP_1) | instid1(VALU_DEP_2)
	v_and_b32_e32 v17, s17, v16
	v_bitop3_b32 v16, v16, 1, s17 bitop3:0x80
	v_lshlrev_b32_e32 v20, 30, v17
	s_delay_alu instid0(VALU_DEP_2) | instskip(NEXT) | instid1(VALU_DEP_1)
	v_add_co_u32 v16, s0, v16, -1
	v_cndmask_b32_e64 v19, 0, 1, s0
	s_delay_alu instid0(VALU_DEP_3) | instskip(NEXT) | instid1(VALU_DEP_2)
	v_cmp_gt_i32_e64 s0, 0, v20
	v_cmp_ne_u32_e32 vcc_lo, 0, v19
	v_not_b32_e32 v19, v20
	s_delay_alu instid0(VALU_DEP_1) | instskip(SKIP_3) | instid1(VALU_DEP_3)
	v_dual_ashrrev_i32 v19, 31, v19 :: v_dual_bitop2_b32 v16, vcc_lo, v16 bitop3:0x14
	v_dual_lshlrev_b32 v21, 29, v17 :: v_dual_lshlrev_b32 v22, 28, v17
	v_dual_lshlrev_b32 v23, 27, v17 :: v_dual_lshlrev_b32 v39, 26, v17
	v_lshlrev_b32_e32 v40, 25, v17
	v_cmp_gt_i32_e64 s1, 0, v21
	v_not_b32_e32 v20, v21
	v_not_b32_e32 v21, v22
	v_mad_u32 v29, 0x44, v17, v18
	v_lshlrev_b32_e32 v17, 24, v17
	v_cmp_gt_i32_e64 s2, 0, v22
	v_cmp_gt_i32_e64 s3, 0, v23
	v_not_b32_e32 v22, v23
	v_not_b32_e32 v23, v39
	v_dual_ashrrev_i32 v20, 31, v20 :: v_dual_ashrrev_i32 v21, 31, v21
	v_xor_b32_e32 v19, s0, v19
	v_cmp_gt_i32_e64 s4, 0, v39
	v_not_b32_e32 v39, v40
	v_cmp_gt_i32_e64 s6, 0, v17
	v_not_b32_e32 v17, v17
	v_dual_ashrrev_i32 v22, 31, v22 :: v_dual_ashrrev_i32 v23, 31, v23
	v_xor_b32_e32 v20, s1, v20
	v_xor_b32_e32 v21, s2, v21
	v_bitop3_b32 v16, v16, v19, exec_lo bitop3:0x80
	v_cmp_gt_i32_e64 s5, 0, v40
	v_dual_ashrrev_i32 v19, 31, v39 :: v_dual_ashrrev_i32 v17, 31, v17
	v_xor_b32_e32 v22, s3, v22
	v_xor_b32_e32 v23, s4, v23
	v_bitop3_b32 v16, v16, v21, v20 bitop3:0x80
	s_delay_alu instid0(VALU_DEP_4) | instskip(SKIP_3) | instid1(VALU_DEP_1)
	v_xor_b32_e32 v19, s5, v19
	v_xor_b32_e32 v17, s6, v17
	ds_load_b32 v39, v29 offset:64
	v_bitop3_b32 v16, v16, v23, v22 bitop3:0x80
	; wave barrier
	v_bitop3_b32 v16, v16, v17, v19 bitop3:0x80
	s_delay_alu instid0(VALU_DEP_1) | instskip(SKIP_1) | instid1(VALU_DEP_2)
	v_mbcnt_lo_u32_b32 v40, v16, 0
	v_cmp_ne_u32_e64 s0, 0, v16
	v_cmp_eq_u32_e32 vcc_lo, 0, v40
	s_and_b32 s1, s0, vcc_lo
	s_delay_alu instid0(SALU_CYCLE_1)
	s_and_saveexec_b32 s0, s1
	s_cbranch_execz .LBB1632_77
; %bb.76:
	s_wait_dscnt 0x0
	v_bcnt_u32_b32 v16, v16, v39
	ds_store_b32 v29, v16 offset:64
.LBB1632_77:
	s_or_b32 exec_lo, exec_lo, s0
	v_cmp_lt_i64_e32 vcc_lo, -1, v[10:11]
	; wave barrier
	v_cndmask_b32_e64 v16, -1, 0x80000000, vcc_lo
	s_delay_alu instid0(VALU_DEP_1) | instskip(NEXT) | instid1(VALU_DEP_1)
	v_dual_ashrrev_i32 v17, 31, v11 :: v_dual_bitop2_b32 v11, v16, v11 bitop3:0x14
	v_xor_b32_e32 v10, v17, v10
	s_delay_alu instid0(VALU_DEP_1) | instskip(SKIP_2) | instid1(VALU_DEP_1)
	v_cmp_ne_u64_e32 vcc_lo, s[8:9], v[10:11]
	v_cndmask_b32_e32 v17, 0x80000000, v11, vcc_lo
	v_cndmask_b32_e32 v16, 0, v10, vcc_lo
	v_lshrrev_b64 v[16:17], s20, v[16:17]
	s_delay_alu instid0(VALU_DEP_1) | instskip(SKIP_1) | instid1(VALU_DEP_2)
	v_and_b32_e32 v17, s17, v16
	v_bitop3_b32 v16, v16, 1, s17 bitop3:0x80
	v_lshlrev_b32_e32 v20, 30, v17
	s_delay_alu instid0(VALU_DEP_2) | instskip(NEXT) | instid1(VALU_DEP_1)
	v_add_co_u32 v16, s0, v16, -1
	v_cndmask_b32_e64 v19, 0, 1, s0
	s_delay_alu instid0(VALU_DEP_3) | instskip(NEXT) | instid1(VALU_DEP_2)
	v_cmp_gt_i32_e64 s0, 0, v20
	v_cmp_ne_u32_e32 vcc_lo, 0, v19
	v_not_b32_e32 v19, v20
	s_delay_alu instid0(VALU_DEP_1) | instskip(SKIP_3) | instid1(VALU_DEP_3)
	v_dual_ashrrev_i32 v19, 31, v19 :: v_dual_bitop2_b32 v16, vcc_lo, v16 bitop3:0x14
	v_dual_lshlrev_b32 v21, 29, v17 :: v_dual_lshlrev_b32 v22, 28, v17
	v_dual_lshlrev_b32 v23, 27, v17 :: v_dual_lshlrev_b32 v41, 26, v17
	v_lshlrev_b32_e32 v42, 25, v17
	v_cmp_gt_i32_e64 s1, 0, v21
	v_not_b32_e32 v20, v21
	v_not_b32_e32 v21, v22
	v_mad_u32 v43, 0x44, v17, v18
	v_lshlrev_b32_e32 v17, 24, v17
	v_cmp_gt_i32_e64 s2, 0, v22
	v_cmp_gt_i32_e64 s3, 0, v23
	v_not_b32_e32 v22, v23
	v_not_b32_e32 v23, v41
	v_dual_ashrrev_i32 v20, 31, v20 :: v_dual_ashrrev_i32 v21, 31, v21
	v_xor_b32_e32 v19, s0, v19
	v_cmp_gt_i32_e64 s4, 0, v41
	v_not_b32_e32 v41, v42
	v_cmp_gt_i32_e64 s6, 0, v17
	v_not_b32_e32 v17, v17
	v_dual_ashrrev_i32 v22, 31, v22 :: v_dual_ashrrev_i32 v23, 31, v23
	v_xor_b32_e32 v20, s1, v20
	v_xor_b32_e32 v21, s2, v21
	v_bitop3_b32 v16, v16, v19, exec_lo bitop3:0x80
	v_cmp_gt_i32_e64 s5, 0, v42
	v_ashrrev_i32_e32 v19, 31, v41
	v_dual_ashrrev_i32 v17, 31, v17 :: v_dual_bitop2_b32 v22, s3, v22 bitop3:0x14
	v_xor_b32_e32 v23, s4, v23
	v_bitop3_b32 v16, v16, v21, v20 bitop3:0x80
	s_delay_alu instid0(VALU_DEP_4) | instskip(NEXT) | instid1(VALU_DEP_4)
	v_xor_b32_e32 v19, s5, v19
	v_xor_b32_e32 v17, s6, v17
	ds_load_b32 v41, v43 offset:64
	v_bitop3_b32 v16, v16, v23, v22 bitop3:0x80
	; wave barrier
	s_delay_alu instid0(VALU_DEP_1) | instskip(NEXT) | instid1(VALU_DEP_1)
	v_bitop3_b32 v16, v16, v17, v19 bitop3:0x80
	v_mbcnt_lo_u32_b32 v42, v16, 0
	v_cmp_ne_u32_e64 s0, 0, v16
	s_delay_alu instid0(VALU_DEP_2) | instskip(SKIP_1) | instid1(SALU_CYCLE_1)
	v_cmp_eq_u32_e32 vcc_lo, 0, v42
	s_and_b32 s1, s0, vcc_lo
	s_and_saveexec_b32 s0, s1
	s_cbranch_execz .LBB1632_79
; %bb.78:
	s_wait_dscnt 0x0
	v_bcnt_u32_b32 v16, v16, v41
	ds_store_b32 v43, v16 offset:64
.LBB1632_79:
	s_or_b32 exec_lo, exec_lo, s0
	v_cmp_lt_i64_e32 vcc_lo, -1, v[14:15]
	; wave barrier
	v_cndmask_b32_e64 v16, -1, 0x80000000, vcc_lo
	s_delay_alu instid0(VALU_DEP_1) | instskip(NEXT) | instid1(VALU_DEP_1)
	v_dual_ashrrev_i32 v17, 31, v15 :: v_dual_bitop2_b32 v15, v16, v15 bitop3:0x14
	v_xor_b32_e32 v14, v17, v14
	s_delay_alu instid0(VALU_DEP_1) | instskip(SKIP_2) | instid1(VALU_DEP_1)
	v_cmp_ne_u64_e32 vcc_lo, s[8:9], v[14:15]
	v_cndmask_b32_e32 v17, 0x80000000, v15, vcc_lo
	v_cndmask_b32_e32 v16, 0, v14, vcc_lo
	v_lshrrev_b64 v[16:17], s20, v[16:17]
	s_delay_alu instid0(VALU_DEP_1) | instskip(SKIP_1) | instid1(VALU_DEP_2)
	v_and_b32_e32 v17, s17, v16
	v_bitop3_b32 v16, v16, 1, s17 bitop3:0x80
	v_lshlrev_b32_e32 v20, 30, v17
	s_delay_alu instid0(VALU_DEP_2) | instskip(NEXT) | instid1(VALU_DEP_1)
	v_add_co_u32 v16, s0, v16, -1
	v_cndmask_b32_e64 v19, 0, 1, s0
	s_delay_alu instid0(VALU_DEP_3) | instskip(NEXT) | instid1(VALU_DEP_2)
	v_cmp_gt_i32_e64 s0, 0, v20
	v_cmp_ne_u32_e32 vcc_lo, 0, v19
	v_not_b32_e32 v19, v20
	s_delay_alu instid0(VALU_DEP_1) | instskip(SKIP_3) | instid1(VALU_DEP_3)
	v_dual_ashrrev_i32 v19, 31, v19 :: v_dual_bitop2_b32 v16, vcc_lo, v16 bitop3:0x14
	v_dual_lshlrev_b32 v21, 29, v17 :: v_dual_lshlrev_b32 v22, 28, v17
	v_dual_lshlrev_b32 v23, 27, v17 :: v_dual_lshlrev_b32 v44, 26, v17
	v_lshlrev_b32_e32 v45, 25, v17
	v_cmp_gt_i32_e64 s1, 0, v21
	v_not_b32_e32 v20, v21
	v_not_b32_e32 v21, v22
	v_mad_u32 v46, 0x44, v17, v18
	v_lshlrev_b32_e32 v17, 24, v17
	v_cmp_gt_i32_e64 s2, 0, v22
	v_cmp_gt_i32_e64 s3, 0, v23
	v_not_b32_e32 v22, v23
	v_not_b32_e32 v23, v44
	v_dual_ashrrev_i32 v20, 31, v20 :: v_dual_ashrrev_i32 v21, 31, v21
	v_xor_b32_e32 v19, s0, v19
	v_cmp_gt_i32_e64 s4, 0, v44
	v_not_b32_e32 v44, v45
	v_cmp_gt_i32_e64 s6, 0, v17
	v_not_b32_e32 v17, v17
	v_dual_ashrrev_i32 v22, 31, v22 :: v_dual_ashrrev_i32 v23, 31, v23
	v_xor_b32_e32 v20, s1, v20
	v_xor_b32_e32 v21, s2, v21
	v_bitop3_b32 v16, v16, v19, exec_lo bitop3:0x80
	v_cmp_gt_i32_e64 s5, 0, v45
	v_dual_ashrrev_i32 v19, 31, v44 :: v_dual_ashrrev_i32 v17, 31, v17
	v_xor_b32_e32 v22, s3, v22
	v_xor_b32_e32 v23, s4, v23
	v_bitop3_b32 v16, v16, v21, v20 bitop3:0x80
	s_delay_alu instid0(VALU_DEP_4) | instskip(SKIP_3) | instid1(VALU_DEP_1)
	v_xor_b32_e32 v19, s5, v19
	v_xor_b32_e32 v17, s6, v17
	ds_load_b32 v44, v46 offset:64
	v_bitop3_b32 v16, v16, v23, v22 bitop3:0x80
	; wave barrier
	v_bitop3_b32 v16, v16, v17, v19 bitop3:0x80
	s_delay_alu instid0(VALU_DEP_1) | instskip(SKIP_1) | instid1(VALU_DEP_2)
	v_mbcnt_lo_u32_b32 v45, v16, 0
	v_cmp_ne_u32_e64 s0, 0, v16
	v_cmp_eq_u32_e32 vcc_lo, 0, v45
	s_and_b32 s1, s0, vcc_lo
	s_delay_alu instid0(SALU_CYCLE_1)
	s_and_saveexec_b32 s0, s1
	s_cbranch_execz .LBB1632_81
; %bb.80:
	s_wait_dscnt 0x0
	v_bcnt_u32_b32 v16, v16, v44
	ds_store_b32 v46, v16 offset:64
.LBB1632_81:
	s_or_b32 exec_lo, exec_lo, s0
	v_cmp_lt_i64_e32 vcc_lo, -1, v[12:13]
	; wave barrier
	v_cndmask_b32_e64 v16, -1, 0x80000000, vcc_lo
	s_delay_alu instid0(VALU_DEP_1) | instskip(NEXT) | instid1(VALU_DEP_1)
	v_dual_ashrrev_i32 v17, 31, v13 :: v_dual_bitop2_b32 v13, v16, v13 bitop3:0x14
	v_xor_b32_e32 v12, v17, v12
	s_delay_alu instid0(VALU_DEP_1) | instskip(SKIP_2) | instid1(VALU_DEP_1)
	v_cmp_ne_u64_e32 vcc_lo, s[8:9], v[12:13]
	v_cndmask_b32_e32 v17, 0x80000000, v13, vcc_lo
	v_cndmask_b32_e32 v16, 0, v12, vcc_lo
	v_lshrrev_b64 v[16:17], s20, v[16:17]
	s_delay_alu instid0(VALU_DEP_1) | instskip(SKIP_1) | instid1(VALU_DEP_2)
	v_and_b32_e32 v17, s17, v16
	v_bitop3_b32 v16, v16, 1, s17 bitop3:0x80
	v_mad_u32 v49, 0x44, v17, v18
	s_delay_alu instid0(VALU_DEP_2) | instskip(NEXT) | instid1(VALU_DEP_1)
	v_add_co_u32 v16, s0, v16, -1
	v_cndmask_b32_e64 v18, 0, 1, s0
	v_dual_lshlrev_b32 v19, 30, v17 :: v_dual_lshlrev_b32 v20, 29, v17
	s_delay_alu instid0(VALU_DEP_2) | instskip(NEXT) | instid1(VALU_DEP_2)
	v_cmp_ne_u32_e32 vcc_lo, 0, v18
	v_cmp_gt_i32_e64 s0, 0, v19
	v_not_b32_e32 v18, v19
	s_delay_alu instid0(VALU_DEP_4) | instskip(SKIP_1) | instid1(VALU_DEP_3)
	v_not_b32_e32 v19, v20
	v_cmp_gt_i32_e64 s1, 0, v20
	v_dual_ashrrev_i32 v18, 31, v18 :: v_dual_bitop2_b32 v16, vcc_lo, v16 bitop3:0x14
	s_delay_alu instid0(VALU_DEP_3) | instskip(SKIP_2) | instid1(VALU_DEP_3)
	v_dual_ashrrev_i32 v19, 31, v19 :: v_dual_lshlrev_b32 v21, 28, v17
	v_dual_lshlrev_b32 v22, 27, v17 :: v_dual_lshlrev_b32 v23, 26, v17
	v_dual_lshlrev_b32 v47, 25, v17 :: v_dual_lshlrev_b32 v17, 24, v17
	v_not_b32_e32 v20, v21
	v_cmp_gt_i32_e64 s2, 0, v21
	s_delay_alu instid0(VALU_DEP_4)
	v_cmp_gt_i32_e64 s3, 0, v22
	v_not_b32_e32 v21, v22
	v_not_b32_e32 v22, v23
	v_dual_ashrrev_i32 v20, 31, v20 :: v_dual_bitop2_b32 v18, s0, v18 bitop3:0x14
	v_cmp_gt_i32_e64 s4, 0, v23
	v_not_b32_e32 v23, v47
	v_cmp_gt_i32_e64 s6, 0, v17
	v_not_b32_e32 v17, v17
	v_dual_ashrrev_i32 v21, 31, v21 :: v_dual_ashrrev_i32 v22, 31, v22
	v_xor_b32_e32 v19, s1, v19
	v_xor_b32_e32 v20, s2, v20
	v_bitop3_b32 v16, v16, v18, exec_lo bitop3:0x80
	v_cmp_gt_i32_e64 s5, 0, v47
	v_dual_ashrrev_i32 v18, 31, v23 :: v_dual_ashrrev_i32 v17, 31, v17
	v_xor_b32_e32 v21, s3, v21
	v_xor_b32_e32 v22, s4, v22
	v_bitop3_b32 v16, v16, v20, v19 bitop3:0x80
	s_delay_alu instid0(VALU_DEP_4) | instskip(SKIP_3) | instid1(VALU_DEP_1)
	v_xor_b32_e32 v18, s5, v18
	v_xor_b32_e32 v17, s6, v17
	ds_load_b32 v47, v49 offset:64
	v_bitop3_b32 v16, v16, v22, v21 bitop3:0x80
	; wave barrier
	v_bitop3_b32 v16, v16, v17, v18 bitop3:0x80
	s_delay_alu instid0(VALU_DEP_1) | instskip(SKIP_1) | instid1(VALU_DEP_2)
	v_mbcnt_lo_u32_b32 v48, v16, 0
	v_cmp_ne_u32_e64 s0, 0, v16
	v_cmp_eq_u32_e32 vcc_lo, 0, v48
	s_and_b32 s1, s0, vcc_lo
	s_delay_alu instid0(SALU_CYCLE_1)
	s_and_saveexec_b32 s0, s1
	s_cbranch_execz .LBB1632_83
; %bb.82:
	s_wait_dscnt 0x0
	v_bcnt_u32_b32 v16, v16, v47
	ds_store_b32 v49, v16 offset:64
.LBB1632_83:
	s_or_b32 exec_lo, exec_lo, s0
	; wave barrier
	s_wait_dscnt 0x0
	s_barrier_signal -1
	s_barrier_wait -1
	ds_load_2addr_b32 v[22:23], v24 offset0:16 offset1:17
	ds_load_2addr_b32 v[20:21], v24 offset0:18 offset1:19
	;; [unrolled: 1-line block ×4, first 2 shown]
	ds_load_b32 v50, v24 offset:96
	v_bfe_i32 v53, v33, 4, 1
	s_mov_b32 s4, exec_lo
	s_wait_dscnt 0x3
	v_add3_u32 v51, v23, v22, v20
	s_wait_dscnt 0x2
	s_delay_alu instid0(VALU_DEP_1) | instskip(SKIP_1) | instid1(VALU_DEP_1)
	v_add3_u32 v51, v51, v21, v18
	s_wait_dscnt 0x1
	v_add3_u32 v51, v51, v19, v16
	s_wait_dscnt 0x0
	s_delay_alu instid0(VALU_DEP_1) | instskip(SKIP_1) | instid1(VALU_DEP_2)
	v_add3_u32 v50, v51, v17, v50
	v_and_b32_e32 v51, 15, v33
	v_mov_b32_dpp v52, v50 row_shr:1 row_mask:0xf bank_mask:0xf
	s_delay_alu instid0(VALU_DEP_2) | instskip(NEXT) | instid1(VALU_DEP_2)
	v_cmp_eq_u32_e32 vcc_lo, 0, v51
	v_cndmask_b32_e64 v52, v52, 0, vcc_lo
	s_delay_alu instid0(VALU_DEP_1) | instskip(SKIP_3) | instid1(VALU_DEP_4)
	v_add_nc_u32_e32 v50, v52, v50
	v_cmp_lt_u32_e64 s0, 1, v51
	v_cmp_lt_u32_e64 s1, 3, v51
	;; [unrolled: 1-line block ×3, first 2 shown]
	v_mov_b32_dpp v52, v50 row_shr:2 row_mask:0xf bank_mask:0xf
	s_delay_alu instid0(VALU_DEP_1) | instskip(NEXT) | instid1(VALU_DEP_1)
	v_cndmask_b32_e64 v52, 0, v52, s0
	v_add_nc_u32_e32 v50, v50, v52
	s_delay_alu instid0(VALU_DEP_1) | instskip(NEXT) | instid1(VALU_DEP_1)
	v_mov_b32_dpp v52, v50 row_shr:4 row_mask:0xf bank_mask:0xf
	v_cndmask_b32_e64 v52, 0, v52, s1
	s_delay_alu instid0(VALU_DEP_1) | instskip(NEXT) | instid1(VALU_DEP_1)
	v_add_nc_u32_e32 v50, v50, v52
	v_mov_b32_dpp v52, v50 row_shr:8 row_mask:0xf bank_mask:0xf
	s_delay_alu instid0(VALU_DEP_1) | instskip(SKIP_1) | instid1(VALU_DEP_2)
	v_cndmask_b32_e64 v51, 0, v52, s2
	v_and_b32_e32 v52, 0x3e0, v32
	v_add_nc_u32_e32 v50, v50, v51
	s_delay_alu instid0(VALU_DEP_2) | instskip(SKIP_3) | instid1(VALU_DEP_1)
	v_min_u32_e32 v52, 0x1e0, v52
	ds_swizzle_b32 v51, v50 offset:swizzle(BROADCAST,32,15)
	s_wait_dscnt 0x0
	v_dual_lshrrev_b32 v51, 5, v32 :: v_dual_bitop2_b32 v53, v53, v51 bitop3:0x40
	v_dual_add_nc_u32 v50, v50, v53 :: v_dual_bitop2_b32 v52, 31, v52 bitop3:0x54
	s_delay_alu instid0(VALU_DEP_1)
	v_cmpx_eq_u32_e64 v32, v52
; %bb.84:
	s_delay_alu instid0(VALU_DEP_3)
	v_lshlrev_b32_e32 v52, 2, v51
	ds_store_b32 v52, v50
; %bb.85:
	s_or_b32 exec_lo, exec_lo, s4
	s_delay_alu instid0(SALU_CYCLE_1)
	s_mov_b32 s4, exec_lo
	s_wait_dscnt 0x0
	s_barrier_signal -1
	s_barrier_wait -1
	v_cmpx_gt_u32_e32 16, v32
	s_cbranch_execz .LBB1632_87
; %bb.86:
	v_lshlrev_b32_e32 v52, 2, v32
	ds_load_b32 v53, v52
	s_wait_dscnt 0x0
	v_mov_b32_dpp v54, v53 row_shr:1 row_mask:0xf bank_mask:0xf
	s_delay_alu instid0(VALU_DEP_1) | instskip(NEXT) | instid1(VALU_DEP_1)
	v_cndmask_b32_e64 v54, v54, 0, vcc_lo
	v_add_nc_u32_e32 v53, v54, v53
	s_delay_alu instid0(VALU_DEP_1) | instskip(NEXT) | instid1(VALU_DEP_1)
	v_mov_b32_dpp v54, v53 row_shr:2 row_mask:0xf bank_mask:0xf
	v_cndmask_b32_e64 v54, 0, v54, s0
	s_delay_alu instid0(VALU_DEP_1) | instskip(NEXT) | instid1(VALU_DEP_1)
	v_add_nc_u32_e32 v53, v53, v54
	v_mov_b32_dpp v54, v53 row_shr:4 row_mask:0xf bank_mask:0xf
	s_delay_alu instid0(VALU_DEP_1) | instskip(NEXT) | instid1(VALU_DEP_1)
	v_cndmask_b32_e64 v54, 0, v54, s1
	v_add_nc_u32_e32 v53, v53, v54
	s_delay_alu instid0(VALU_DEP_1) | instskip(NEXT) | instid1(VALU_DEP_1)
	v_mov_b32_dpp v54, v53 row_shr:8 row_mask:0xf bank_mask:0xf
	v_cndmask_b32_e64 v54, 0, v54, s2
	s_delay_alu instid0(VALU_DEP_1)
	v_add_nc_u32_e32 v53, v53, v54
	ds_store_b32 v52, v53
.LBB1632_87:
	s_or_b32 exec_lo, exec_lo, s4
	v_mov_b32_e32 v52, 0
	s_mov_b32 s0, exec_lo
	s_wait_dscnt 0x0
	s_barrier_signal -1
	s_barrier_wait -1
	v_cmpx_lt_u32_e32 31, v32
; %bb.88:
	v_lshl_add_u32 v51, v51, 2, -4
	ds_load_b32 v52, v51
; %bb.89:
	s_or_b32 exec_lo, exec_lo, s0
	v_sub_co_u32 v51, vcc_lo, v33, 1
	s_wait_dscnt 0x0
	v_add_nc_u32_e32 v50, v52, v50
	s_delay_alu instid0(VALU_DEP_2) | instskip(NEXT) | instid1(VALU_DEP_1)
	v_cmp_gt_i32_e64 s0, 0, v51
	v_cndmask_b32_e64 v33, v51, v33, s0
	v_cmp_lt_u32_e64 s0, 0xff, v32
	s_delay_alu instid0(VALU_DEP_2) | instskip(SKIP_4) | instid1(VALU_DEP_2)
	v_lshlrev_b32_e32 v33, 2, v33
	ds_bpermute_b32 v33, v33, v50
	s_wait_dscnt 0x0
	v_cndmask_b32_e32 v33, v33, v52, vcc_lo
	v_cmp_ne_u32_e32 vcc_lo, 0, v32
	v_cndmask_b32_e32 v33, 0, v33, vcc_lo
	v_cmp_gt_u32_e32 vcc_lo, 0x100, v32
	s_delay_alu instid0(VALU_DEP_2) | instskip(NEXT) | instid1(VALU_DEP_1)
	v_add_nc_u32_e32 v22, v33, v22
	v_add_nc_u32_e32 v23, v22, v23
	s_delay_alu instid0(VALU_DEP_1) | instskip(NEXT) | instid1(VALU_DEP_1)
	v_add_nc_u32_e32 v20, v23, v20
	v_add_nc_u32_e32 v21, v20, v21
	s_delay_alu instid0(VALU_DEP_1) | instskip(NEXT) | instid1(VALU_DEP_1)
	;; [unrolled: 3-line block ×3, first 2 shown]
	v_add_nc_u32_e32 v16, v19, v16
	v_add_nc_u32_e32 v17, v16, v17
	ds_store_2addr_b32 v24, v33, v22 offset0:16 offset1:17
	ds_store_2addr_b32 v24, v23, v20 offset0:18 offset1:19
	;; [unrolled: 1-line block ×4, first 2 shown]
	ds_store_b32 v24, v17 offset:96
	s_wait_dscnt 0x0
	s_barrier_signal -1
	s_barrier_wait -1
	ds_load_b32 v19, v25 offset:64
	ds_load_b32 v33, v26 offset:64
	;; [unrolled: 1-line block ×8, first 2 shown]
	v_mov_b64_e32 v[16:17], 0
                                        ; implicit-def: $vgpr18
	s_and_saveexec_b32 s2, vcc_lo
	s_cbranch_execz .LBB1632_93
; %bb.90:
	v_mul_u32_u24_e32 v16, 0x44, v32
	v_dual_mov_b32 v17, 0x1000 :: v_dual_add_nc_u32 v18, 1, v32
	s_mov_b32 s3, exec_lo
	ds_load_b32 v16, v16 offset:64
	v_cmpx_ne_u32_e32 0x100, v18
; %bb.91:
	v_mul_u32_u24_e32 v17, 0x44, v18
	ds_load_b32 v17, v17 offset:64
; %bb.92:
	s_or_b32 exec_lo, exec_lo, s3
	s_wait_dscnt 0x0
	v_dual_mov_b32 v17, 0 :: v_dual_sub_nc_u32 v18, v17, v16
.LBB1632_93:
	s_or_b32 exec_lo, exec_lo, s2
	v_dual_mov_b32 v23, 0 :: v_dual_lshlrev_b32 v20, 3, v32
	s_wait_dscnt 0x0
	s_barrier_signal -1
	s_barrier_wait -1
	s_and_saveexec_b32 s1, vcc_lo
	s_cbranch_execz .LBB1632_103
; %bb.94:
	v_lshl_add_u32 v22, s26, 8, v32
	v_dual_mov_b32 v26, 0 :: v_dual_bitop2_b32 v27, 2.0, v18 bitop3:0x54
	s_mov_b32 s2, 0
	s_mov_b32 s3, s26
	s_delay_alu instid0(VALU_DEP_2)
	v_lshl_add_u64 v[24:25], v[22:23], 2, s[10:11]
	global_store_b32 v22, v27, s[10:11] scale_offset scope:SCOPE_DEV
                                        ; implicit-def: $sgpr4
	s_branch .LBB1632_97
.LBB1632_95:                            ;   in Loop: Header=BB1632_97 Depth=1
	s_or_b32 exec_lo, exec_lo, s5
.LBB1632_96:                            ;   in Loop: Header=BB1632_97 Depth=1
	s_delay_alu instid0(SALU_CYCLE_1) | instskip(SKIP_2) | instid1(VALU_DEP_2)
	s_or_b32 exec_lo, exec_lo, s4
	v_and_b32_e32 v22, 0x3fffffff, v27
	v_cmp_gt_i32_e64 s4, -2.0, v27
	v_add_nc_u32_e32 v26, v22, v26
	s_and_b32 s5, exec_lo, s4
	s_delay_alu instid0(SALU_CYCLE_1) | instskip(NEXT) | instid1(SALU_CYCLE_1)
	s_or_b32 s2, s5, s2
	s_and_not1_b32 exec_lo, exec_lo, s2
	s_cbranch_execz .LBB1632_102
.LBB1632_97:                            ; =>This Loop Header: Depth=1
                                        ;     Child Loop BB1632_100 Depth 2
	s_or_b32 s4, s4, exec_lo
	s_cmp_eq_u32 s3, 0
	s_cbranch_scc1 .LBB1632_101
; %bb.98:                               ;   in Loop: Header=BB1632_97 Depth=1
	s_add_co_i32 s3, s3, -1
	s_mov_b32 s4, exec_lo
	s_wait_xcnt 0x0
	v_lshl_or_b32 v22, s3, 8, v32
	global_load_b32 v27, v22, s[10:11] scale_offset scope:SCOPE_DEV
	s_wait_loadcnt 0x0
	v_cmpx_gt_u32_e32 2.0, v27
	s_cbranch_execz .LBB1632_96
; %bb.99:                               ;   in Loop: Header=BB1632_97 Depth=1
	v_lshl_add_u64 v[28:29], v[22:23], 2, s[10:11]
	s_mov_b32 s5, 0
.LBB1632_100:                           ;   Parent Loop BB1632_97 Depth=1
                                        ; =>  This Inner Loop Header: Depth=2
	global_load_b32 v27, v[28:29], off scope:SCOPE_DEV
	s_wait_loadcnt 0x0
	v_cmp_lt_u32_e32 vcc_lo, 0x3fffffff, v27
	s_or_b32 s5, vcc_lo, s5
	s_wait_xcnt 0x0
	s_and_not1_b32 exec_lo, exec_lo, s5
	s_cbranch_execnz .LBB1632_100
	s_branch .LBB1632_95
.LBB1632_101:                           ;   in Loop: Header=BB1632_97 Depth=1
                                        ; implicit-def: $sgpr3
	s_and_b32 s5, exec_lo, s4
	s_delay_alu instid0(SALU_CYCLE_1)
	s_or_b32 s2, s5, s2
	s_wait_xcnt 0x0
	s_and_not1_b32 exec_lo, exec_lo, s2
	s_cbranch_execnz .LBB1632_97
.LBB1632_102:
	s_or_b32 exec_lo, exec_lo, s2
	v_dual_mov_b32 v27, 0 :: v_dual_add_nc_u32 v22, v26, v18
	s_delay_alu instid0(VALU_DEP_1) | instskip(SKIP_4) | instid1(VALU_DEP_1)
	v_or_b32_e32 v22, 0x80000000, v22
	global_store_b32 v[24:25], v22, off scope:SCOPE_DEV
	global_load_b64 v[22:23], v32, s[12:13] scale_offset
	v_sub_nc_u64_e32 v[24:25], v[26:27], v[16:17]
	s_wait_loadcnt 0x0
	v_add_nc_u64_e32 v[22:23], v[24:25], v[22:23]
	ds_store_b64 v20, v[22:23]
.LBB1632_103:
	s_wait_xcnt 0x0
	s_or_b32 exec_lo, exec_lo, s1
	v_add_nc_u32_e32 v19, v19, v30
	v_add3_u32 v24, v48, v21, v47
	v_mov_b32_e32 v21, 0
	v_add3_u32 v25, v45, v46, v44
	v_add3_u32 v26, v42, v43, v41
	;; [unrolled: 1-line block ×4, first 2 shown]
	v_add_nc_u64_e32 v[22:23], s[18:19], v[20:21]
	v_add3_u32 v21, v36, v50, v35
	v_add3_u32 v29, v34, v33, v31
	s_mov_b64 s[6:7], 0x7fffffffffffffff
	s_mov_b32 s9, -1
	s_mov_b32 s8, 0
.LBB1632_104:                           ; =>This Inner Loop Header: Depth=1
	s_wait_xcnt 0x3
	v_add_min_u32_e64 v30, v19, s8, 0x800
	v_add_min_u32_e64 v31, v29, s8, 0x800
	;; [unrolled: 1-line block ×5, first 2 shown]
	s_wait_xcnt 0x2
	v_add_min_u32_e64 v36, v26, s8, 0x800
	v_add_min_u32_e64 v37, v25, s8, 0x800
	s_wait_xcnt 0x1
	v_add_min_u32_e64 v38, v24, s8, 0x800
	v_dual_lshlrev_b32 v30, 3, v30 :: v_dual_lshlrev_b32 v31, 3, v31
	v_dual_lshlrev_b32 v33, 3, v33 :: v_dual_lshlrev_b32 v34, 3, v34
	;; [unrolled: 1-line block ×3, first 2 shown]
	s_delay_alu instid0(VALU_DEP_4)
	v_dual_lshlrev_b32 v37, 3, v37 :: v_dual_lshlrev_b32 v38, 3, v38
	ds_store_b64 v30, v[2:3] offset:2048
	ds_store_b64 v31, v[0:1] offset:2048
	;; [unrolled: 1-line block ×8, first 2 shown]
	s_wait_storecnt_dscnt 0x0
	s_barrier_signal -1
	s_barrier_wait -1
	ds_load_2addr_stride64_b64 v[34:37], v20 offset0:4 offset1:12
	s_wait_xcnt 0x0
	ds_load_2addr_stride64_b64 v[38:41], v20 offset0:20 offset1:28
	s_addk_co_i32 s8, 0xf800
	s_and_b32 vcc_lo, exec_lo, s9
	s_mov_b32 s9, 0
	s_wait_dscnt 0x1
	v_cmp_lt_i64_e64 s2, -1, v[34:35]
	v_cmp_lt_i64_e64 s3, -1, v[36:37]
	v_cmp_ne_u64_e64 s1, s[6:7], v[34:35]
	s_wait_dscnt 0x0
	v_cmp_lt_i64_e64 s4, -1, v[38:39]
	v_dual_ashrrev_i32 v33, 31, v35 :: v_dual_ashrrev_i32 v49, 31, v37
	v_cmp_lt_i64_e64 s5, -1, v[40:41]
	v_cndmask_b32_e64 v30, 0x80000000, -1, s2
	v_cmp_ne_u64_e64 s2, s[6:7], v[36:37]
	v_cndmask_b32_e64 v48, 0x80000000, -1, s3
	v_cmp_ne_u64_e64 s3, s[6:7], v[38:39]
	v_cndmask_b32_e64 v31, 0x80000000, v35, s1
	v_cndmask_b32_e64 v50, 0x80000000, -1, s4
	v_cmp_ne_u64_e64 s4, s[6:7], v[40:41]
	v_dual_cndmask_b32 v30, 0, v34, s1 :: v_dual_bitop2_b32 v35, v30, v35 bitop3:0x14
	v_cndmask_b32_e64 v43, 0x80000000, v37, s2
	v_cndmask_b32_e64 v45, 0x80000000, v39, s3
	v_dual_cndmask_b32 v42, 0, v36, s2 :: v_dual_cndmask_b32 v44, 0, v38, s3
	s_delay_alu instid0(VALU_DEP_4) | instskip(SKIP_2) | instid1(VALU_DEP_4)
	v_lshrrev_b64 v[30:31], s20, v[30:31]
	v_cndmask_b32_e64 v47, 0x80000000, v41, s4
	v_cndmask_b32_e64 v46, 0, v40, s4
	v_lshrrev_b64 v[42:43], s20, v[42:43]
	v_lshrrev_b64 v[44:45], s20, v[44:45]
	v_dual_ashrrev_i32 v51, 31, v39 :: v_dual_bitop2_b32 v37, v48, v37 bitop3:0x14
	v_dual_ashrrev_i32 v53, 31, v41 :: v_dual_bitop2_b32 v30, s17, v30 bitop3:0x40
	v_lshrrev_b64 v[46:47], s20, v[46:47]
	v_and_b32_e32 v31, s17, v42
	v_and_b32_e32 v42, s17, v44
	v_not_b32_e32 v33, v33
	v_lshlrev_b32_e32 v30, 3, v30
	v_not_b32_e32 v49, v49
	v_not_b32_e32 v48, v51
	v_lshlrev_b32_e32 v45, 3, v42
	v_dual_lshlrev_b32 v44, 3, v31 :: v_dual_bitop2_b32 v43, s17, v46 bitop3:0x40
	v_cndmask_b32_e64 v52, 0x80000000, -1, s5
	v_xor_b32_e32 v39, v50, v39
	v_not_b32_e32 v50, v53
	s_delay_alu instid0(VALU_DEP_4)
	v_lshlrev_b32_e32 v46, 3, v43
	ds_load_b64 v[30:31], v30
	ds_load_b64 v[42:43], v44
	;; [unrolled: 1-line block ×4, first 2 shown]
	v_xor_b32_e32 v34, v33, v34
	v_xor_b32_e32 v36, v49, v36
	;; [unrolled: 1-line block ×5, first 2 shown]
	s_wait_dscnt 0x3
	v_lshl_add_u64 v[30:31], v[30:31], 3, v[22:23]
	s_wait_dscnt 0x2
	v_lshl_add_u64 v[42:43], v[42:43], 3, v[22:23]
	;; [unrolled: 2-line block ×4, first 2 shown]
	v_add_nc_u64_e32 v[22:23], 0x4000, v[22:23]
	s_clause 0x3
	global_store_b64 v[30:31], v[34:35], off
	global_store_b64 v[42:43], v[36:37], off offset:4096
	global_store_b64 v[44:45], v[38:39], off offset:8192
	;; [unrolled: 1-line block ×3, first 2 shown]
	s_wait_storecnt 0x0
	s_barrier_signal -1
	s_barrier_wait -1
	s_cbranch_vccnz .LBB1632_104
; %bb.105:
	s_add_co_i32 s16, s16, -1
	s_delay_alu instid0(SALU_CYCLE_1) | instskip(SKIP_2) | instid1(SALU_CYCLE_1)
	s_cmp_eq_u32 s26, s16
	s_cselect_b32 s1, -1, 0
	s_xor_b32 s0, s0, -1
	s_and_b32 s0, s0, s1
	s_wait_xcnt 0x0
	s_and_saveexec_b32 s1, s0
	s_cbranch_execz .LBB1632_107
; %bb.106:
	ds_load_b64 v[0:1], v20
	v_mov_b32_e32 v19, 0
	s_delay_alu instid0(VALU_DEP_1) | instskip(SKIP_1) | instid1(VALU_DEP_1)
	v_add_nc_u64_e32 v[2:3], v[16:17], v[18:19]
	s_wait_dscnt 0x0
	v_add_nc_u64_e32 v[0:1], v[2:3], v[0:1]
	global_store_b64 v32, v[0:1], s[14:15] scale_offset
.LBB1632_107:
	s_endpgm
	.section	.rodata,"a",@progbits
	.p2align	6, 0x0
	.amdhsa_kernel _ZN7rocprim17ROCPRIM_400000_NS6detail17trampoline_kernelINS0_14default_configENS1_35radix_sort_onesweep_config_selectorIdNS0_10empty_typeEEEZZNS1_29radix_sort_onesweep_iterationIS3_Lb0EPKdPdPS5_SB_mNS0_19identity_decomposerENS1_16block_id_wrapperIjLb0EEEEE10hipError_tT1_PNSt15iterator_traitsISG_E10value_typeET2_T3_PNSH_ISM_E10value_typeET4_T5_PSR_SS_PNS1_23onesweep_lookback_stateEbbT6_jjT7_P12ihipStream_tbENKUlT_T0_SG_SL_E_clISA_SA_SB_SB_EEDaSZ_S10_SG_SL_EUlSZ_E_NS1_11comp_targetILNS1_3genE0ELNS1_11target_archE4294967295ELNS1_3gpuE0ELNS1_3repE0EEENS1_47radix_sort_onesweep_sort_config_static_selectorELNS0_4arch9wavefront6targetE0EEEvSG_
		.amdhsa_group_segment_fixed_size 18504
		.amdhsa_private_segment_fixed_size 0
		.amdhsa_kernarg_size 344
		.amdhsa_user_sgpr_count 2
		.amdhsa_user_sgpr_dispatch_ptr 0
		.amdhsa_user_sgpr_queue_ptr 0
		.amdhsa_user_sgpr_kernarg_segment_ptr 1
		.amdhsa_user_sgpr_dispatch_id 0
		.amdhsa_user_sgpr_kernarg_preload_length 0
		.amdhsa_user_sgpr_kernarg_preload_offset 0
		.amdhsa_user_sgpr_private_segment_size 0
		.amdhsa_wavefront_size32 1
		.amdhsa_uses_dynamic_stack 0
		.amdhsa_enable_private_segment 0
		.amdhsa_system_sgpr_workgroup_id_x 1
		.amdhsa_system_sgpr_workgroup_id_y 0
		.amdhsa_system_sgpr_workgroup_id_z 0
		.amdhsa_system_sgpr_workgroup_info 0
		.amdhsa_system_vgpr_workitem_id 2
		.amdhsa_next_free_vgpr 57
		.amdhsa_next_free_sgpr 30
		.amdhsa_named_barrier_count 0
		.amdhsa_reserve_vcc 1
		.amdhsa_float_round_mode_32 0
		.amdhsa_float_round_mode_16_64 0
		.amdhsa_float_denorm_mode_32 3
		.amdhsa_float_denorm_mode_16_64 3
		.amdhsa_fp16_overflow 0
		.amdhsa_memory_ordered 1
		.amdhsa_forward_progress 1
		.amdhsa_inst_pref_size 99
		.amdhsa_round_robin_scheduling 0
		.amdhsa_exception_fp_ieee_invalid_op 0
		.amdhsa_exception_fp_denorm_src 0
		.amdhsa_exception_fp_ieee_div_zero 0
		.amdhsa_exception_fp_ieee_overflow 0
		.amdhsa_exception_fp_ieee_underflow 0
		.amdhsa_exception_fp_ieee_inexact 0
		.amdhsa_exception_int_div_zero 0
	.end_amdhsa_kernel
	.section	.text._ZN7rocprim17ROCPRIM_400000_NS6detail17trampoline_kernelINS0_14default_configENS1_35radix_sort_onesweep_config_selectorIdNS0_10empty_typeEEEZZNS1_29radix_sort_onesweep_iterationIS3_Lb0EPKdPdPS5_SB_mNS0_19identity_decomposerENS1_16block_id_wrapperIjLb0EEEEE10hipError_tT1_PNSt15iterator_traitsISG_E10value_typeET2_T3_PNSH_ISM_E10value_typeET4_T5_PSR_SS_PNS1_23onesweep_lookback_stateEbbT6_jjT7_P12ihipStream_tbENKUlT_T0_SG_SL_E_clISA_SA_SB_SB_EEDaSZ_S10_SG_SL_EUlSZ_E_NS1_11comp_targetILNS1_3genE0ELNS1_11target_archE4294967295ELNS1_3gpuE0ELNS1_3repE0EEENS1_47radix_sort_onesweep_sort_config_static_selectorELNS0_4arch9wavefront6targetE0EEEvSG_,"axG",@progbits,_ZN7rocprim17ROCPRIM_400000_NS6detail17trampoline_kernelINS0_14default_configENS1_35radix_sort_onesweep_config_selectorIdNS0_10empty_typeEEEZZNS1_29radix_sort_onesweep_iterationIS3_Lb0EPKdPdPS5_SB_mNS0_19identity_decomposerENS1_16block_id_wrapperIjLb0EEEEE10hipError_tT1_PNSt15iterator_traitsISG_E10value_typeET2_T3_PNSH_ISM_E10value_typeET4_T5_PSR_SS_PNS1_23onesweep_lookback_stateEbbT6_jjT7_P12ihipStream_tbENKUlT_T0_SG_SL_E_clISA_SA_SB_SB_EEDaSZ_S10_SG_SL_EUlSZ_E_NS1_11comp_targetILNS1_3genE0ELNS1_11target_archE4294967295ELNS1_3gpuE0ELNS1_3repE0EEENS1_47radix_sort_onesweep_sort_config_static_selectorELNS0_4arch9wavefront6targetE0EEEvSG_,comdat
.Lfunc_end1632:
	.size	_ZN7rocprim17ROCPRIM_400000_NS6detail17trampoline_kernelINS0_14default_configENS1_35radix_sort_onesweep_config_selectorIdNS0_10empty_typeEEEZZNS1_29radix_sort_onesweep_iterationIS3_Lb0EPKdPdPS5_SB_mNS0_19identity_decomposerENS1_16block_id_wrapperIjLb0EEEEE10hipError_tT1_PNSt15iterator_traitsISG_E10value_typeET2_T3_PNSH_ISM_E10value_typeET4_T5_PSR_SS_PNS1_23onesweep_lookback_stateEbbT6_jjT7_P12ihipStream_tbENKUlT_T0_SG_SL_E_clISA_SA_SB_SB_EEDaSZ_S10_SG_SL_EUlSZ_E_NS1_11comp_targetILNS1_3genE0ELNS1_11target_archE4294967295ELNS1_3gpuE0ELNS1_3repE0EEENS1_47radix_sort_onesweep_sort_config_static_selectorELNS0_4arch9wavefront6targetE0EEEvSG_, .Lfunc_end1632-_ZN7rocprim17ROCPRIM_400000_NS6detail17trampoline_kernelINS0_14default_configENS1_35radix_sort_onesweep_config_selectorIdNS0_10empty_typeEEEZZNS1_29radix_sort_onesweep_iterationIS3_Lb0EPKdPdPS5_SB_mNS0_19identity_decomposerENS1_16block_id_wrapperIjLb0EEEEE10hipError_tT1_PNSt15iterator_traitsISG_E10value_typeET2_T3_PNSH_ISM_E10value_typeET4_T5_PSR_SS_PNS1_23onesweep_lookback_stateEbbT6_jjT7_P12ihipStream_tbENKUlT_T0_SG_SL_E_clISA_SA_SB_SB_EEDaSZ_S10_SG_SL_EUlSZ_E_NS1_11comp_targetILNS1_3genE0ELNS1_11target_archE4294967295ELNS1_3gpuE0ELNS1_3repE0EEENS1_47radix_sort_onesweep_sort_config_static_selectorELNS0_4arch9wavefront6targetE0EEEvSG_
                                        ; -- End function
	.set _ZN7rocprim17ROCPRIM_400000_NS6detail17trampoline_kernelINS0_14default_configENS1_35radix_sort_onesweep_config_selectorIdNS0_10empty_typeEEEZZNS1_29radix_sort_onesweep_iterationIS3_Lb0EPKdPdPS5_SB_mNS0_19identity_decomposerENS1_16block_id_wrapperIjLb0EEEEE10hipError_tT1_PNSt15iterator_traitsISG_E10value_typeET2_T3_PNSH_ISM_E10value_typeET4_T5_PSR_SS_PNS1_23onesweep_lookback_stateEbbT6_jjT7_P12ihipStream_tbENKUlT_T0_SG_SL_E_clISA_SA_SB_SB_EEDaSZ_S10_SG_SL_EUlSZ_E_NS1_11comp_targetILNS1_3genE0ELNS1_11target_archE4294967295ELNS1_3gpuE0ELNS1_3repE0EEENS1_47radix_sort_onesweep_sort_config_static_selectorELNS0_4arch9wavefront6targetE0EEEvSG_.num_vgpr, 57
	.set _ZN7rocprim17ROCPRIM_400000_NS6detail17trampoline_kernelINS0_14default_configENS1_35radix_sort_onesweep_config_selectorIdNS0_10empty_typeEEEZZNS1_29radix_sort_onesweep_iterationIS3_Lb0EPKdPdPS5_SB_mNS0_19identity_decomposerENS1_16block_id_wrapperIjLb0EEEEE10hipError_tT1_PNSt15iterator_traitsISG_E10value_typeET2_T3_PNSH_ISM_E10value_typeET4_T5_PSR_SS_PNS1_23onesweep_lookback_stateEbbT6_jjT7_P12ihipStream_tbENKUlT_T0_SG_SL_E_clISA_SA_SB_SB_EEDaSZ_S10_SG_SL_EUlSZ_E_NS1_11comp_targetILNS1_3genE0ELNS1_11target_archE4294967295ELNS1_3gpuE0ELNS1_3repE0EEENS1_47radix_sort_onesweep_sort_config_static_selectorELNS0_4arch9wavefront6targetE0EEEvSG_.num_agpr, 0
	.set _ZN7rocprim17ROCPRIM_400000_NS6detail17trampoline_kernelINS0_14default_configENS1_35radix_sort_onesweep_config_selectorIdNS0_10empty_typeEEEZZNS1_29radix_sort_onesweep_iterationIS3_Lb0EPKdPdPS5_SB_mNS0_19identity_decomposerENS1_16block_id_wrapperIjLb0EEEEE10hipError_tT1_PNSt15iterator_traitsISG_E10value_typeET2_T3_PNSH_ISM_E10value_typeET4_T5_PSR_SS_PNS1_23onesweep_lookback_stateEbbT6_jjT7_P12ihipStream_tbENKUlT_T0_SG_SL_E_clISA_SA_SB_SB_EEDaSZ_S10_SG_SL_EUlSZ_E_NS1_11comp_targetILNS1_3genE0ELNS1_11target_archE4294967295ELNS1_3gpuE0ELNS1_3repE0EEENS1_47radix_sort_onesweep_sort_config_static_selectorELNS0_4arch9wavefront6targetE0EEEvSG_.numbered_sgpr, 30
	.set _ZN7rocprim17ROCPRIM_400000_NS6detail17trampoline_kernelINS0_14default_configENS1_35radix_sort_onesweep_config_selectorIdNS0_10empty_typeEEEZZNS1_29radix_sort_onesweep_iterationIS3_Lb0EPKdPdPS5_SB_mNS0_19identity_decomposerENS1_16block_id_wrapperIjLb0EEEEE10hipError_tT1_PNSt15iterator_traitsISG_E10value_typeET2_T3_PNSH_ISM_E10value_typeET4_T5_PSR_SS_PNS1_23onesweep_lookback_stateEbbT6_jjT7_P12ihipStream_tbENKUlT_T0_SG_SL_E_clISA_SA_SB_SB_EEDaSZ_S10_SG_SL_EUlSZ_E_NS1_11comp_targetILNS1_3genE0ELNS1_11target_archE4294967295ELNS1_3gpuE0ELNS1_3repE0EEENS1_47radix_sort_onesweep_sort_config_static_selectorELNS0_4arch9wavefront6targetE0EEEvSG_.num_named_barrier, 0
	.set _ZN7rocprim17ROCPRIM_400000_NS6detail17trampoline_kernelINS0_14default_configENS1_35radix_sort_onesweep_config_selectorIdNS0_10empty_typeEEEZZNS1_29radix_sort_onesweep_iterationIS3_Lb0EPKdPdPS5_SB_mNS0_19identity_decomposerENS1_16block_id_wrapperIjLb0EEEEE10hipError_tT1_PNSt15iterator_traitsISG_E10value_typeET2_T3_PNSH_ISM_E10value_typeET4_T5_PSR_SS_PNS1_23onesweep_lookback_stateEbbT6_jjT7_P12ihipStream_tbENKUlT_T0_SG_SL_E_clISA_SA_SB_SB_EEDaSZ_S10_SG_SL_EUlSZ_E_NS1_11comp_targetILNS1_3genE0ELNS1_11target_archE4294967295ELNS1_3gpuE0ELNS1_3repE0EEENS1_47radix_sort_onesweep_sort_config_static_selectorELNS0_4arch9wavefront6targetE0EEEvSG_.private_seg_size, 0
	.set _ZN7rocprim17ROCPRIM_400000_NS6detail17trampoline_kernelINS0_14default_configENS1_35radix_sort_onesweep_config_selectorIdNS0_10empty_typeEEEZZNS1_29radix_sort_onesweep_iterationIS3_Lb0EPKdPdPS5_SB_mNS0_19identity_decomposerENS1_16block_id_wrapperIjLb0EEEEE10hipError_tT1_PNSt15iterator_traitsISG_E10value_typeET2_T3_PNSH_ISM_E10value_typeET4_T5_PSR_SS_PNS1_23onesweep_lookback_stateEbbT6_jjT7_P12ihipStream_tbENKUlT_T0_SG_SL_E_clISA_SA_SB_SB_EEDaSZ_S10_SG_SL_EUlSZ_E_NS1_11comp_targetILNS1_3genE0ELNS1_11target_archE4294967295ELNS1_3gpuE0ELNS1_3repE0EEENS1_47radix_sort_onesweep_sort_config_static_selectorELNS0_4arch9wavefront6targetE0EEEvSG_.uses_vcc, 1
	.set _ZN7rocprim17ROCPRIM_400000_NS6detail17trampoline_kernelINS0_14default_configENS1_35radix_sort_onesweep_config_selectorIdNS0_10empty_typeEEEZZNS1_29radix_sort_onesweep_iterationIS3_Lb0EPKdPdPS5_SB_mNS0_19identity_decomposerENS1_16block_id_wrapperIjLb0EEEEE10hipError_tT1_PNSt15iterator_traitsISG_E10value_typeET2_T3_PNSH_ISM_E10value_typeET4_T5_PSR_SS_PNS1_23onesweep_lookback_stateEbbT6_jjT7_P12ihipStream_tbENKUlT_T0_SG_SL_E_clISA_SA_SB_SB_EEDaSZ_S10_SG_SL_EUlSZ_E_NS1_11comp_targetILNS1_3genE0ELNS1_11target_archE4294967295ELNS1_3gpuE0ELNS1_3repE0EEENS1_47radix_sort_onesweep_sort_config_static_selectorELNS0_4arch9wavefront6targetE0EEEvSG_.uses_flat_scratch, 0
	.set _ZN7rocprim17ROCPRIM_400000_NS6detail17trampoline_kernelINS0_14default_configENS1_35radix_sort_onesweep_config_selectorIdNS0_10empty_typeEEEZZNS1_29radix_sort_onesweep_iterationIS3_Lb0EPKdPdPS5_SB_mNS0_19identity_decomposerENS1_16block_id_wrapperIjLb0EEEEE10hipError_tT1_PNSt15iterator_traitsISG_E10value_typeET2_T3_PNSH_ISM_E10value_typeET4_T5_PSR_SS_PNS1_23onesweep_lookback_stateEbbT6_jjT7_P12ihipStream_tbENKUlT_T0_SG_SL_E_clISA_SA_SB_SB_EEDaSZ_S10_SG_SL_EUlSZ_E_NS1_11comp_targetILNS1_3genE0ELNS1_11target_archE4294967295ELNS1_3gpuE0ELNS1_3repE0EEENS1_47radix_sort_onesweep_sort_config_static_selectorELNS0_4arch9wavefront6targetE0EEEvSG_.has_dyn_sized_stack, 0
	.set _ZN7rocprim17ROCPRIM_400000_NS6detail17trampoline_kernelINS0_14default_configENS1_35radix_sort_onesweep_config_selectorIdNS0_10empty_typeEEEZZNS1_29radix_sort_onesweep_iterationIS3_Lb0EPKdPdPS5_SB_mNS0_19identity_decomposerENS1_16block_id_wrapperIjLb0EEEEE10hipError_tT1_PNSt15iterator_traitsISG_E10value_typeET2_T3_PNSH_ISM_E10value_typeET4_T5_PSR_SS_PNS1_23onesweep_lookback_stateEbbT6_jjT7_P12ihipStream_tbENKUlT_T0_SG_SL_E_clISA_SA_SB_SB_EEDaSZ_S10_SG_SL_EUlSZ_E_NS1_11comp_targetILNS1_3genE0ELNS1_11target_archE4294967295ELNS1_3gpuE0ELNS1_3repE0EEENS1_47radix_sort_onesweep_sort_config_static_selectorELNS0_4arch9wavefront6targetE0EEEvSG_.has_recursion, 0
	.set _ZN7rocprim17ROCPRIM_400000_NS6detail17trampoline_kernelINS0_14default_configENS1_35radix_sort_onesweep_config_selectorIdNS0_10empty_typeEEEZZNS1_29radix_sort_onesweep_iterationIS3_Lb0EPKdPdPS5_SB_mNS0_19identity_decomposerENS1_16block_id_wrapperIjLb0EEEEE10hipError_tT1_PNSt15iterator_traitsISG_E10value_typeET2_T3_PNSH_ISM_E10value_typeET4_T5_PSR_SS_PNS1_23onesweep_lookback_stateEbbT6_jjT7_P12ihipStream_tbENKUlT_T0_SG_SL_E_clISA_SA_SB_SB_EEDaSZ_S10_SG_SL_EUlSZ_E_NS1_11comp_targetILNS1_3genE0ELNS1_11target_archE4294967295ELNS1_3gpuE0ELNS1_3repE0EEENS1_47radix_sort_onesweep_sort_config_static_selectorELNS0_4arch9wavefront6targetE0EEEvSG_.has_indirect_call, 0
	.section	.AMDGPU.csdata,"",@progbits
; Kernel info:
; codeLenInByte = 12576
; TotalNumSgprs: 32
; NumVgprs: 57
; ScratchSize: 0
; MemoryBound: 0
; FloatMode: 240
; IeeeMode: 1
; LDSByteSize: 18504 bytes/workgroup (compile time only)
; SGPRBlocks: 0
; VGPRBlocks: 3
; NumSGPRsForWavesPerEU: 32
; NumVGPRsForWavesPerEU: 57
; NamedBarCnt: 0
; Occupancy: 16
; WaveLimiterHint : 1
; COMPUTE_PGM_RSRC2:SCRATCH_EN: 0
; COMPUTE_PGM_RSRC2:USER_SGPR: 2
; COMPUTE_PGM_RSRC2:TRAP_HANDLER: 0
; COMPUTE_PGM_RSRC2:TGID_X_EN: 1
; COMPUTE_PGM_RSRC2:TGID_Y_EN: 0
; COMPUTE_PGM_RSRC2:TGID_Z_EN: 0
; COMPUTE_PGM_RSRC2:TIDIG_COMP_CNT: 2
	.section	.text._ZN7rocprim17ROCPRIM_400000_NS6detail17trampoline_kernelINS0_14default_configENS1_35radix_sort_onesweep_config_selectorIdNS0_10empty_typeEEEZZNS1_29radix_sort_onesweep_iterationIS3_Lb0EPKdPdPS5_SB_mNS0_19identity_decomposerENS1_16block_id_wrapperIjLb0EEEEE10hipError_tT1_PNSt15iterator_traitsISG_E10value_typeET2_T3_PNSH_ISM_E10value_typeET4_T5_PSR_SS_PNS1_23onesweep_lookback_stateEbbT6_jjT7_P12ihipStream_tbENKUlT_T0_SG_SL_E_clISA_SA_SB_SB_EEDaSZ_S10_SG_SL_EUlSZ_E_NS1_11comp_targetILNS1_3genE6ELNS1_11target_archE950ELNS1_3gpuE13ELNS1_3repE0EEENS1_47radix_sort_onesweep_sort_config_static_selectorELNS0_4arch9wavefront6targetE0EEEvSG_,"axG",@progbits,_ZN7rocprim17ROCPRIM_400000_NS6detail17trampoline_kernelINS0_14default_configENS1_35radix_sort_onesweep_config_selectorIdNS0_10empty_typeEEEZZNS1_29radix_sort_onesweep_iterationIS3_Lb0EPKdPdPS5_SB_mNS0_19identity_decomposerENS1_16block_id_wrapperIjLb0EEEEE10hipError_tT1_PNSt15iterator_traitsISG_E10value_typeET2_T3_PNSH_ISM_E10value_typeET4_T5_PSR_SS_PNS1_23onesweep_lookback_stateEbbT6_jjT7_P12ihipStream_tbENKUlT_T0_SG_SL_E_clISA_SA_SB_SB_EEDaSZ_S10_SG_SL_EUlSZ_E_NS1_11comp_targetILNS1_3genE6ELNS1_11target_archE950ELNS1_3gpuE13ELNS1_3repE0EEENS1_47radix_sort_onesweep_sort_config_static_selectorELNS0_4arch9wavefront6targetE0EEEvSG_,comdat
	.protected	_ZN7rocprim17ROCPRIM_400000_NS6detail17trampoline_kernelINS0_14default_configENS1_35radix_sort_onesweep_config_selectorIdNS0_10empty_typeEEEZZNS1_29radix_sort_onesweep_iterationIS3_Lb0EPKdPdPS5_SB_mNS0_19identity_decomposerENS1_16block_id_wrapperIjLb0EEEEE10hipError_tT1_PNSt15iterator_traitsISG_E10value_typeET2_T3_PNSH_ISM_E10value_typeET4_T5_PSR_SS_PNS1_23onesweep_lookback_stateEbbT6_jjT7_P12ihipStream_tbENKUlT_T0_SG_SL_E_clISA_SA_SB_SB_EEDaSZ_S10_SG_SL_EUlSZ_E_NS1_11comp_targetILNS1_3genE6ELNS1_11target_archE950ELNS1_3gpuE13ELNS1_3repE0EEENS1_47radix_sort_onesweep_sort_config_static_selectorELNS0_4arch9wavefront6targetE0EEEvSG_ ; -- Begin function _ZN7rocprim17ROCPRIM_400000_NS6detail17trampoline_kernelINS0_14default_configENS1_35radix_sort_onesweep_config_selectorIdNS0_10empty_typeEEEZZNS1_29radix_sort_onesweep_iterationIS3_Lb0EPKdPdPS5_SB_mNS0_19identity_decomposerENS1_16block_id_wrapperIjLb0EEEEE10hipError_tT1_PNSt15iterator_traitsISG_E10value_typeET2_T3_PNSH_ISM_E10value_typeET4_T5_PSR_SS_PNS1_23onesweep_lookback_stateEbbT6_jjT7_P12ihipStream_tbENKUlT_T0_SG_SL_E_clISA_SA_SB_SB_EEDaSZ_S10_SG_SL_EUlSZ_E_NS1_11comp_targetILNS1_3genE6ELNS1_11target_archE950ELNS1_3gpuE13ELNS1_3repE0EEENS1_47radix_sort_onesweep_sort_config_static_selectorELNS0_4arch9wavefront6targetE0EEEvSG_
	.globl	_ZN7rocprim17ROCPRIM_400000_NS6detail17trampoline_kernelINS0_14default_configENS1_35radix_sort_onesweep_config_selectorIdNS0_10empty_typeEEEZZNS1_29radix_sort_onesweep_iterationIS3_Lb0EPKdPdPS5_SB_mNS0_19identity_decomposerENS1_16block_id_wrapperIjLb0EEEEE10hipError_tT1_PNSt15iterator_traitsISG_E10value_typeET2_T3_PNSH_ISM_E10value_typeET4_T5_PSR_SS_PNS1_23onesweep_lookback_stateEbbT6_jjT7_P12ihipStream_tbENKUlT_T0_SG_SL_E_clISA_SA_SB_SB_EEDaSZ_S10_SG_SL_EUlSZ_E_NS1_11comp_targetILNS1_3genE6ELNS1_11target_archE950ELNS1_3gpuE13ELNS1_3repE0EEENS1_47radix_sort_onesweep_sort_config_static_selectorELNS0_4arch9wavefront6targetE0EEEvSG_
	.p2align	8
	.type	_ZN7rocprim17ROCPRIM_400000_NS6detail17trampoline_kernelINS0_14default_configENS1_35radix_sort_onesweep_config_selectorIdNS0_10empty_typeEEEZZNS1_29radix_sort_onesweep_iterationIS3_Lb0EPKdPdPS5_SB_mNS0_19identity_decomposerENS1_16block_id_wrapperIjLb0EEEEE10hipError_tT1_PNSt15iterator_traitsISG_E10value_typeET2_T3_PNSH_ISM_E10value_typeET4_T5_PSR_SS_PNS1_23onesweep_lookback_stateEbbT6_jjT7_P12ihipStream_tbENKUlT_T0_SG_SL_E_clISA_SA_SB_SB_EEDaSZ_S10_SG_SL_EUlSZ_E_NS1_11comp_targetILNS1_3genE6ELNS1_11target_archE950ELNS1_3gpuE13ELNS1_3repE0EEENS1_47radix_sort_onesweep_sort_config_static_selectorELNS0_4arch9wavefront6targetE0EEEvSG_,@function
_ZN7rocprim17ROCPRIM_400000_NS6detail17trampoline_kernelINS0_14default_configENS1_35radix_sort_onesweep_config_selectorIdNS0_10empty_typeEEEZZNS1_29radix_sort_onesweep_iterationIS3_Lb0EPKdPdPS5_SB_mNS0_19identity_decomposerENS1_16block_id_wrapperIjLb0EEEEE10hipError_tT1_PNSt15iterator_traitsISG_E10value_typeET2_T3_PNSH_ISM_E10value_typeET4_T5_PSR_SS_PNS1_23onesweep_lookback_stateEbbT6_jjT7_P12ihipStream_tbENKUlT_T0_SG_SL_E_clISA_SA_SB_SB_EEDaSZ_S10_SG_SL_EUlSZ_E_NS1_11comp_targetILNS1_3genE6ELNS1_11target_archE950ELNS1_3gpuE13ELNS1_3repE0EEENS1_47radix_sort_onesweep_sort_config_static_selectorELNS0_4arch9wavefront6targetE0EEEvSG_: ; @_ZN7rocprim17ROCPRIM_400000_NS6detail17trampoline_kernelINS0_14default_configENS1_35radix_sort_onesweep_config_selectorIdNS0_10empty_typeEEEZZNS1_29radix_sort_onesweep_iterationIS3_Lb0EPKdPdPS5_SB_mNS0_19identity_decomposerENS1_16block_id_wrapperIjLb0EEEEE10hipError_tT1_PNSt15iterator_traitsISG_E10value_typeET2_T3_PNSH_ISM_E10value_typeET4_T5_PSR_SS_PNS1_23onesweep_lookback_stateEbbT6_jjT7_P12ihipStream_tbENKUlT_T0_SG_SL_E_clISA_SA_SB_SB_EEDaSZ_S10_SG_SL_EUlSZ_E_NS1_11comp_targetILNS1_3genE6ELNS1_11target_archE950ELNS1_3gpuE13ELNS1_3repE0EEENS1_47radix_sort_onesweep_sort_config_static_selectorELNS0_4arch9wavefront6targetE0EEEvSG_
; %bb.0:
	.section	.rodata,"a",@progbits
	.p2align	6, 0x0
	.amdhsa_kernel _ZN7rocprim17ROCPRIM_400000_NS6detail17trampoline_kernelINS0_14default_configENS1_35radix_sort_onesweep_config_selectorIdNS0_10empty_typeEEEZZNS1_29radix_sort_onesweep_iterationIS3_Lb0EPKdPdPS5_SB_mNS0_19identity_decomposerENS1_16block_id_wrapperIjLb0EEEEE10hipError_tT1_PNSt15iterator_traitsISG_E10value_typeET2_T3_PNSH_ISM_E10value_typeET4_T5_PSR_SS_PNS1_23onesweep_lookback_stateEbbT6_jjT7_P12ihipStream_tbENKUlT_T0_SG_SL_E_clISA_SA_SB_SB_EEDaSZ_S10_SG_SL_EUlSZ_E_NS1_11comp_targetILNS1_3genE6ELNS1_11target_archE950ELNS1_3gpuE13ELNS1_3repE0EEENS1_47radix_sort_onesweep_sort_config_static_selectorELNS0_4arch9wavefront6targetE0EEEvSG_
		.amdhsa_group_segment_fixed_size 0
		.amdhsa_private_segment_fixed_size 0
		.amdhsa_kernarg_size 88
		.amdhsa_user_sgpr_count 2
		.amdhsa_user_sgpr_dispatch_ptr 0
		.amdhsa_user_sgpr_queue_ptr 0
		.amdhsa_user_sgpr_kernarg_segment_ptr 1
		.amdhsa_user_sgpr_dispatch_id 0
		.amdhsa_user_sgpr_kernarg_preload_length 0
		.amdhsa_user_sgpr_kernarg_preload_offset 0
		.amdhsa_user_sgpr_private_segment_size 0
		.amdhsa_wavefront_size32 1
		.amdhsa_uses_dynamic_stack 0
		.amdhsa_enable_private_segment 0
		.amdhsa_system_sgpr_workgroup_id_x 1
		.amdhsa_system_sgpr_workgroup_id_y 0
		.amdhsa_system_sgpr_workgroup_id_z 0
		.amdhsa_system_sgpr_workgroup_info 0
		.amdhsa_system_vgpr_workitem_id 0
		.amdhsa_next_free_vgpr 1
		.amdhsa_next_free_sgpr 1
		.amdhsa_named_barrier_count 0
		.amdhsa_reserve_vcc 0
		.amdhsa_float_round_mode_32 0
		.amdhsa_float_round_mode_16_64 0
		.amdhsa_float_denorm_mode_32 3
		.amdhsa_float_denorm_mode_16_64 3
		.amdhsa_fp16_overflow 0
		.amdhsa_memory_ordered 1
		.amdhsa_forward_progress 1
		.amdhsa_inst_pref_size 0
		.amdhsa_round_robin_scheduling 0
		.amdhsa_exception_fp_ieee_invalid_op 0
		.amdhsa_exception_fp_denorm_src 0
		.amdhsa_exception_fp_ieee_div_zero 0
		.amdhsa_exception_fp_ieee_overflow 0
		.amdhsa_exception_fp_ieee_underflow 0
		.amdhsa_exception_fp_ieee_inexact 0
		.amdhsa_exception_int_div_zero 0
	.end_amdhsa_kernel
	.section	.text._ZN7rocprim17ROCPRIM_400000_NS6detail17trampoline_kernelINS0_14default_configENS1_35radix_sort_onesweep_config_selectorIdNS0_10empty_typeEEEZZNS1_29radix_sort_onesweep_iterationIS3_Lb0EPKdPdPS5_SB_mNS0_19identity_decomposerENS1_16block_id_wrapperIjLb0EEEEE10hipError_tT1_PNSt15iterator_traitsISG_E10value_typeET2_T3_PNSH_ISM_E10value_typeET4_T5_PSR_SS_PNS1_23onesweep_lookback_stateEbbT6_jjT7_P12ihipStream_tbENKUlT_T0_SG_SL_E_clISA_SA_SB_SB_EEDaSZ_S10_SG_SL_EUlSZ_E_NS1_11comp_targetILNS1_3genE6ELNS1_11target_archE950ELNS1_3gpuE13ELNS1_3repE0EEENS1_47radix_sort_onesweep_sort_config_static_selectorELNS0_4arch9wavefront6targetE0EEEvSG_,"axG",@progbits,_ZN7rocprim17ROCPRIM_400000_NS6detail17trampoline_kernelINS0_14default_configENS1_35radix_sort_onesweep_config_selectorIdNS0_10empty_typeEEEZZNS1_29radix_sort_onesweep_iterationIS3_Lb0EPKdPdPS5_SB_mNS0_19identity_decomposerENS1_16block_id_wrapperIjLb0EEEEE10hipError_tT1_PNSt15iterator_traitsISG_E10value_typeET2_T3_PNSH_ISM_E10value_typeET4_T5_PSR_SS_PNS1_23onesweep_lookback_stateEbbT6_jjT7_P12ihipStream_tbENKUlT_T0_SG_SL_E_clISA_SA_SB_SB_EEDaSZ_S10_SG_SL_EUlSZ_E_NS1_11comp_targetILNS1_3genE6ELNS1_11target_archE950ELNS1_3gpuE13ELNS1_3repE0EEENS1_47radix_sort_onesweep_sort_config_static_selectorELNS0_4arch9wavefront6targetE0EEEvSG_,comdat
.Lfunc_end1633:
	.size	_ZN7rocprim17ROCPRIM_400000_NS6detail17trampoline_kernelINS0_14default_configENS1_35radix_sort_onesweep_config_selectorIdNS0_10empty_typeEEEZZNS1_29radix_sort_onesweep_iterationIS3_Lb0EPKdPdPS5_SB_mNS0_19identity_decomposerENS1_16block_id_wrapperIjLb0EEEEE10hipError_tT1_PNSt15iterator_traitsISG_E10value_typeET2_T3_PNSH_ISM_E10value_typeET4_T5_PSR_SS_PNS1_23onesweep_lookback_stateEbbT6_jjT7_P12ihipStream_tbENKUlT_T0_SG_SL_E_clISA_SA_SB_SB_EEDaSZ_S10_SG_SL_EUlSZ_E_NS1_11comp_targetILNS1_3genE6ELNS1_11target_archE950ELNS1_3gpuE13ELNS1_3repE0EEENS1_47radix_sort_onesweep_sort_config_static_selectorELNS0_4arch9wavefront6targetE0EEEvSG_, .Lfunc_end1633-_ZN7rocprim17ROCPRIM_400000_NS6detail17trampoline_kernelINS0_14default_configENS1_35radix_sort_onesweep_config_selectorIdNS0_10empty_typeEEEZZNS1_29radix_sort_onesweep_iterationIS3_Lb0EPKdPdPS5_SB_mNS0_19identity_decomposerENS1_16block_id_wrapperIjLb0EEEEE10hipError_tT1_PNSt15iterator_traitsISG_E10value_typeET2_T3_PNSH_ISM_E10value_typeET4_T5_PSR_SS_PNS1_23onesweep_lookback_stateEbbT6_jjT7_P12ihipStream_tbENKUlT_T0_SG_SL_E_clISA_SA_SB_SB_EEDaSZ_S10_SG_SL_EUlSZ_E_NS1_11comp_targetILNS1_3genE6ELNS1_11target_archE950ELNS1_3gpuE13ELNS1_3repE0EEENS1_47radix_sort_onesweep_sort_config_static_selectorELNS0_4arch9wavefront6targetE0EEEvSG_
                                        ; -- End function
	.set _ZN7rocprim17ROCPRIM_400000_NS6detail17trampoline_kernelINS0_14default_configENS1_35radix_sort_onesweep_config_selectorIdNS0_10empty_typeEEEZZNS1_29radix_sort_onesweep_iterationIS3_Lb0EPKdPdPS5_SB_mNS0_19identity_decomposerENS1_16block_id_wrapperIjLb0EEEEE10hipError_tT1_PNSt15iterator_traitsISG_E10value_typeET2_T3_PNSH_ISM_E10value_typeET4_T5_PSR_SS_PNS1_23onesweep_lookback_stateEbbT6_jjT7_P12ihipStream_tbENKUlT_T0_SG_SL_E_clISA_SA_SB_SB_EEDaSZ_S10_SG_SL_EUlSZ_E_NS1_11comp_targetILNS1_3genE6ELNS1_11target_archE950ELNS1_3gpuE13ELNS1_3repE0EEENS1_47radix_sort_onesweep_sort_config_static_selectorELNS0_4arch9wavefront6targetE0EEEvSG_.num_vgpr, 0
	.set _ZN7rocprim17ROCPRIM_400000_NS6detail17trampoline_kernelINS0_14default_configENS1_35radix_sort_onesweep_config_selectorIdNS0_10empty_typeEEEZZNS1_29radix_sort_onesweep_iterationIS3_Lb0EPKdPdPS5_SB_mNS0_19identity_decomposerENS1_16block_id_wrapperIjLb0EEEEE10hipError_tT1_PNSt15iterator_traitsISG_E10value_typeET2_T3_PNSH_ISM_E10value_typeET4_T5_PSR_SS_PNS1_23onesweep_lookback_stateEbbT6_jjT7_P12ihipStream_tbENKUlT_T0_SG_SL_E_clISA_SA_SB_SB_EEDaSZ_S10_SG_SL_EUlSZ_E_NS1_11comp_targetILNS1_3genE6ELNS1_11target_archE950ELNS1_3gpuE13ELNS1_3repE0EEENS1_47radix_sort_onesweep_sort_config_static_selectorELNS0_4arch9wavefront6targetE0EEEvSG_.num_agpr, 0
	.set _ZN7rocprim17ROCPRIM_400000_NS6detail17trampoline_kernelINS0_14default_configENS1_35radix_sort_onesweep_config_selectorIdNS0_10empty_typeEEEZZNS1_29radix_sort_onesweep_iterationIS3_Lb0EPKdPdPS5_SB_mNS0_19identity_decomposerENS1_16block_id_wrapperIjLb0EEEEE10hipError_tT1_PNSt15iterator_traitsISG_E10value_typeET2_T3_PNSH_ISM_E10value_typeET4_T5_PSR_SS_PNS1_23onesweep_lookback_stateEbbT6_jjT7_P12ihipStream_tbENKUlT_T0_SG_SL_E_clISA_SA_SB_SB_EEDaSZ_S10_SG_SL_EUlSZ_E_NS1_11comp_targetILNS1_3genE6ELNS1_11target_archE950ELNS1_3gpuE13ELNS1_3repE0EEENS1_47radix_sort_onesweep_sort_config_static_selectorELNS0_4arch9wavefront6targetE0EEEvSG_.numbered_sgpr, 0
	.set _ZN7rocprim17ROCPRIM_400000_NS6detail17trampoline_kernelINS0_14default_configENS1_35radix_sort_onesweep_config_selectorIdNS0_10empty_typeEEEZZNS1_29radix_sort_onesweep_iterationIS3_Lb0EPKdPdPS5_SB_mNS0_19identity_decomposerENS1_16block_id_wrapperIjLb0EEEEE10hipError_tT1_PNSt15iterator_traitsISG_E10value_typeET2_T3_PNSH_ISM_E10value_typeET4_T5_PSR_SS_PNS1_23onesweep_lookback_stateEbbT6_jjT7_P12ihipStream_tbENKUlT_T0_SG_SL_E_clISA_SA_SB_SB_EEDaSZ_S10_SG_SL_EUlSZ_E_NS1_11comp_targetILNS1_3genE6ELNS1_11target_archE950ELNS1_3gpuE13ELNS1_3repE0EEENS1_47radix_sort_onesweep_sort_config_static_selectorELNS0_4arch9wavefront6targetE0EEEvSG_.num_named_barrier, 0
	.set _ZN7rocprim17ROCPRIM_400000_NS6detail17trampoline_kernelINS0_14default_configENS1_35radix_sort_onesweep_config_selectorIdNS0_10empty_typeEEEZZNS1_29radix_sort_onesweep_iterationIS3_Lb0EPKdPdPS5_SB_mNS0_19identity_decomposerENS1_16block_id_wrapperIjLb0EEEEE10hipError_tT1_PNSt15iterator_traitsISG_E10value_typeET2_T3_PNSH_ISM_E10value_typeET4_T5_PSR_SS_PNS1_23onesweep_lookback_stateEbbT6_jjT7_P12ihipStream_tbENKUlT_T0_SG_SL_E_clISA_SA_SB_SB_EEDaSZ_S10_SG_SL_EUlSZ_E_NS1_11comp_targetILNS1_3genE6ELNS1_11target_archE950ELNS1_3gpuE13ELNS1_3repE0EEENS1_47radix_sort_onesweep_sort_config_static_selectorELNS0_4arch9wavefront6targetE0EEEvSG_.private_seg_size, 0
	.set _ZN7rocprim17ROCPRIM_400000_NS6detail17trampoline_kernelINS0_14default_configENS1_35radix_sort_onesweep_config_selectorIdNS0_10empty_typeEEEZZNS1_29radix_sort_onesweep_iterationIS3_Lb0EPKdPdPS5_SB_mNS0_19identity_decomposerENS1_16block_id_wrapperIjLb0EEEEE10hipError_tT1_PNSt15iterator_traitsISG_E10value_typeET2_T3_PNSH_ISM_E10value_typeET4_T5_PSR_SS_PNS1_23onesweep_lookback_stateEbbT6_jjT7_P12ihipStream_tbENKUlT_T0_SG_SL_E_clISA_SA_SB_SB_EEDaSZ_S10_SG_SL_EUlSZ_E_NS1_11comp_targetILNS1_3genE6ELNS1_11target_archE950ELNS1_3gpuE13ELNS1_3repE0EEENS1_47radix_sort_onesweep_sort_config_static_selectorELNS0_4arch9wavefront6targetE0EEEvSG_.uses_vcc, 0
	.set _ZN7rocprim17ROCPRIM_400000_NS6detail17trampoline_kernelINS0_14default_configENS1_35radix_sort_onesweep_config_selectorIdNS0_10empty_typeEEEZZNS1_29radix_sort_onesweep_iterationIS3_Lb0EPKdPdPS5_SB_mNS0_19identity_decomposerENS1_16block_id_wrapperIjLb0EEEEE10hipError_tT1_PNSt15iterator_traitsISG_E10value_typeET2_T3_PNSH_ISM_E10value_typeET4_T5_PSR_SS_PNS1_23onesweep_lookback_stateEbbT6_jjT7_P12ihipStream_tbENKUlT_T0_SG_SL_E_clISA_SA_SB_SB_EEDaSZ_S10_SG_SL_EUlSZ_E_NS1_11comp_targetILNS1_3genE6ELNS1_11target_archE950ELNS1_3gpuE13ELNS1_3repE0EEENS1_47radix_sort_onesweep_sort_config_static_selectorELNS0_4arch9wavefront6targetE0EEEvSG_.uses_flat_scratch, 0
	.set _ZN7rocprim17ROCPRIM_400000_NS6detail17trampoline_kernelINS0_14default_configENS1_35radix_sort_onesweep_config_selectorIdNS0_10empty_typeEEEZZNS1_29radix_sort_onesweep_iterationIS3_Lb0EPKdPdPS5_SB_mNS0_19identity_decomposerENS1_16block_id_wrapperIjLb0EEEEE10hipError_tT1_PNSt15iterator_traitsISG_E10value_typeET2_T3_PNSH_ISM_E10value_typeET4_T5_PSR_SS_PNS1_23onesweep_lookback_stateEbbT6_jjT7_P12ihipStream_tbENKUlT_T0_SG_SL_E_clISA_SA_SB_SB_EEDaSZ_S10_SG_SL_EUlSZ_E_NS1_11comp_targetILNS1_3genE6ELNS1_11target_archE950ELNS1_3gpuE13ELNS1_3repE0EEENS1_47radix_sort_onesweep_sort_config_static_selectorELNS0_4arch9wavefront6targetE0EEEvSG_.has_dyn_sized_stack, 0
	.set _ZN7rocprim17ROCPRIM_400000_NS6detail17trampoline_kernelINS0_14default_configENS1_35radix_sort_onesweep_config_selectorIdNS0_10empty_typeEEEZZNS1_29radix_sort_onesweep_iterationIS3_Lb0EPKdPdPS5_SB_mNS0_19identity_decomposerENS1_16block_id_wrapperIjLb0EEEEE10hipError_tT1_PNSt15iterator_traitsISG_E10value_typeET2_T3_PNSH_ISM_E10value_typeET4_T5_PSR_SS_PNS1_23onesweep_lookback_stateEbbT6_jjT7_P12ihipStream_tbENKUlT_T0_SG_SL_E_clISA_SA_SB_SB_EEDaSZ_S10_SG_SL_EUlSZ_E_NS1_11comp_targetILNS1_3genE6ELNS1_11target_archE950ELNS1_3gpuE13ELNS1_3repE0EEENS1_47radix_sort_onesweep_sort_config_static_selectorELNS0_4arch9wavefront6targetE0EEEvSG_.has_recursion, 0
	.set _ZN7rocprim17ROCPRIM_400000_NS6detail17trampoline_kernelINS0_14default_configENS1_35radix_sort_onesweep_config_selectorIdNS0_10empty_typeEEEZZNS1_29radix_sort_onesweep_iterationIS3_Lb0EPKdPdPS5_SB_mNS0_19identity_decomposerENS1_16block_id_wrapperIjLb0EEEEE10hipError_tT1_PNSt15iterator_traitsISG_E10value_typeET2_T3_PNSH_ISM_E10value_typeET4_T5_PSR_SS_PNS1_23onesweep_lookback_stateEbbT6_jjT7_P12ihipStream_tbENKUlT_T0_SG_SL_E_clISA_SA_SB_SB_EEDaSZ_S10_SG_SL_EUlSZ_E_NS1_11comp_targetILNS1_3genE6ELNS1_11target_archE950ELNS1_3gpuE13ELNS1_3repE0EEENS1_47radix_sort_onesweep_sort_config_static_selectorELNS0_4arch9wavefront6targetE0EEEvSG_.has_indirect_call, 0
	.section	.AMDGPU.csdata,"",@progbits
; Kernel info:
; codeLenInByte = 0
; TotalNumSgprs: 0
; NumVgprs: 0
; ScratchSize: 0
; MemoryBound: 0
; FloatMode: 240
; IeeeMode: 1
; LDSByteSize: 0 bytes/workgroup (compile time only)
; SGPRBlocks: 0
; VGPRBlocks: 0
; NumSGPRsForWavesPerEU: 1
; NumVGPRsForWavesPerEU: 1
; NamedBarCnt: 0
; Occupancy: 16
; WaveLimiterHint : 0
; COMPUTE_PGM_RSRC2:SCRATCH_EN: 0
; COMPUTE_PGM_RSRC2:USER_SGPR: 2
; COMPUTE_PGM_RSRC2:TRAP_HANDLER: 0
; COMPUTE_PGM_RSRC2:TGID_X_EN: 1
; COMPUTE_PGM_RSRC2:TGID_Y_EN: 0
; COMPUTE_PGM_RSRC2:TGID_Z_EN: 0
; COMPUTE_PGM_RSRC2:TIDIG_COMP_CNT: 0
	.section	.text._ZN7rocprim17ROCPRIM_400000_NS6detail17trampoline_kernelINS0_14default_configENS1_35radix_sort_onesweep_config_selectorIdNS0_10empty_typeEEEZZNS1_29radix_sort_onesweep_iterationIS3_Lb0EPKdPdPS5_SB_mNS0_19identity_decomposerENS1_16block_id_wrapperIjLb0EEEEE10hipError_tT1_PNSt15iterator_traitsISG_E10value_typeET2_T3_PNSH_ISM_E10value_typeET4_T5_PSR_SS_PNS1_23onesweep_lookback_stateEbbT6_jjT7_P12ihipStream_tbENKUlT_T0_SG_SL_E_clISA_SA_SB_SB_EEDaSZ_S10_SG_SL_EUlSZ_E_NS1_11comp_targetILNS1_3genE5ELNS1_11target_archE942ELNS1_3gpuE9ELNS1_3repE0EEENS1_47radix_sort_onesweep_sort_config_static_selectorELNS0_4arch9wavefront6targetE0EEEvSG_,"axG",@progbits,_ZN7rocprim17ROCPRIM_400000_NS6detail17trampoline_kernelINS0_14default_configENS1_35radix_sort_onesweep_config_selectorIdNS0_10empty_typeEEEZZNS1_29radix_sort_onesweep_iterationIS3_Lb0EPKdPdPS5_SB_mNS0_19identity_decomposerENS1_16block_id_wrapperIjLb0EEEEE10hipError_tT1_PNSt15iterator_traitsISG_E10value_typeET2_T3_PNSH_ISM_E10value_typeET4_T5_PSR_SS_PNS1_23onesweep_lookback_stateEbbT6_jjT7_P12ihipStream_tbENKUlT_T0_SG_SL_E_clISA_SA_SB_SB_EEDaSZ_S10_SG_SL_EUlSZ_E_NS1_11comp_targetILNS1_3genE5ELNS1_11target_archE942ELNS1_3gpuE9ELNS1_3repE0EEENS1_47radix_sort_onesweep_sort_config_static_selectorELNS0_4arch9wavefront6targetE0EEEvSG_,comdat
	.protected	_ZN7rocprim17ROCPRIM_400000_NS6detail17trampoline_kernelINS0_14default_configENS1_35radix_sort_onesweep_config_selectorIdNS0_10empty_typeEEEZZNS1_29radix_sort_onesweep_iterationIS3_Lb0EPKdPdPS5_SB_mNS0_19identity_decomposerENS1_16block_id_wrapperIjLb0EEEEE10hipError_tT1_PNSt15iterator_traitsISG_E10value_typeET2_T3_PNSH_ISM_E10value_typeET4_T5_PSR_SS_PNS1_23onesweep_lookback_stateEbbT6_jjT7_P12ihipStream_tbENKUlT_T0_SG_SL_E_clISA_SA_SB_SB_EEDaSZ_S10_SG_SL_EUlSZ_E_NS1_11comp_targetILNS1_3genE5ELNS1_11target_archE942ELNS1_3gpuE9ELNS1_3repE0EEENS1_47radix_sort_onesweep_sort_config_static_selectorELNS0_4arch9wavefront6targetE0EEEvSG_ ; -- Begin function _ZN7rocprim17ROCPRIM_400000_NS6detail17trampoline_kernelINS0_14default_configENS1_35radix_sort_onesweep_config_selectorIdNS0_10empty_typeEEEZZNS1_29radix_sort_onesweep_iterationIS3_Lb0EPKdPdPS5_SB_mNS0_19identity_decomposerENS1_16block_id_wrapperIjLb0EEEEE10hipError_tT1_PNSt15iterator_traitsISG_E10value_typeET2_T3_PNSH_ISM_E10value_typeET4_T5_PSR_SS_PNS1_23onesweep_lookback_stateEbbT6_jjT7_P12ihipStream_tbENKUlT_T0_SG_SL_E_clISA_SA_SB_SB_EEDaSZ_S10_SG_SL_EUlSZ_E_NS1_11comp_targetILNS1_3genE5ELNS1_11target_archE942ELNS1_3gpuE9ELNS1_3repE0EEENS1_47radix_sort_onesweep_sort_config_static_selectorELNS0_4arch9wavefront6targetE0EEEvSG_
	.globl	_ZN7rocprim17ROCPRIM_400000_NS6detail17trampoline_kernelINS0_14default_configENS1_35radix_sort_onesweep_config_selectorIdNS0_10empty_typeEEEZZNS1_29radix_sort_onesweep_iterationIS3_Lb0EPKdPdPS5_SB_mNS0_19identity_decomposerENS1_16block_id_wrapperIjLb0EEEEE10hipError_tT1_PNSt15iterator_traitsISG_E10value_typeET2_T3_PNSH_ISM_E10value_typeET4_T5_PSR_SS_PNS1_23onesweep_lookback_stateEbbT6_jjT7_P12ihipStream_tbENKUlT_T0_SG_SL_E_clISA_SA_SB_SB_EEDaSZ_S10_SG_SL_EUlSZ_E_NS1_11comp_targetILNS1_3genE5ELNS1_11target_archE942ELNS1_3gpuE9ELNS1_3repE0EEENS1_47radix_sort_onesweep_sort_config_static_selectorELNS0_4arch9wavefront6targetE0EEEvSG_
	.p2align	8
	.type	_ZN7rocprim17ROCPRIM_400000_NS6detail17trampoline_kernelINS0_14default_configENS1_35radix_sort_onesweep_config_selectorIdNS0_10empty_typeEEEZZNS1_29radix_sort_onesweep_iterationIS3_Lb0EPKdPdPS5_SB_mNS0_19identity_decomposerENS1_16block_id_wrapperIjLb0EEEEE10hipError_tT1_PNSt15iterator_traitsISG_E10value_typeET2_T3_PNSH_ISM_E10value_typeET4_T5_PSR_SS_PNS1_23onesweep_lookback_stateEbbT6_jjT7_P12ihipStream_tbENKUlT_T0_SG_SL_E_clISA_SA_SB_SB_EEDaSZ_S10_SG_SL_EUlSZ_E_NS1_11comp_targetILNS1_3genE5ELNS1_11target_archE942ELNS1_3gpuE9ELNS1_3repE0EEENS1_47radix_sort_onesweep_sort_config_static_selectorELNS0_4arch9wavefront6targetE0EEEvSG_,@function
_ZN7rocprim17ROCPRIM_400000_NS6detail17trampoline_kernelINS0_14default_configENS1_35radix_sort_onesweep_config_selectorIdNS0_10empty_typeEEEZZNS1_29radix_sort_onesweep_iterationIS3_Lb0EPKdPdPS5_SB_mNS0_19identity_decomposerENS1_16block_id_wrapperIjLb0EEEEE10hipError_tT1_PNSt15iterator_traitsISG_E10value_typeET2_T3_PNSH_ISM_E10value_typeET4_T5_PSR_SS_PNS1_23onesweep_lookback_stateEbbT6_jjT7_P12ihipStream_tbENKUlT_T0_SG_SL_E_clISA_SA_SB_SB_EEDaSZ_S10_SG_SL_EUlSZ_E_NS1_11comp_targetILNS1_3genE5ELNS1_11target_archE942ELNS1_3gpuE9ELNS1_3repE0EEENS1_47radix_sort_onesweep_sort_config_static_selectorELNS0_4arch9wavefront6targetE0EEEvSG_: ; @_ZN7rocprim17ROCPRIM_400000_NS6detail17trampoline_kernelINS0_14default_configENS1_35radix_sort_onesweep_config_selectorIdNS0_10empty_typeEEEZZNS1_29radix_sort_onesweep_iterationIS3_Lb0EPKdPdPS5_SB_mNS0_19identity_decomposerENS1_16block_id_wrapperIjLb0EEEEE10hipError_tT1_PNSt15iterator_traitsISG_E10value_typeET2_T3_PNSH_ISM_E10value_typeET4_T5_PSR_SS_PNS1_23onesweep_lookback_stateEbbT6_jjT7_P12ihipStream_tbENKUlT_T0_SG_SL_E_clISA_SA_SB_SB_EEDaSZ_S10_SG_SL_EUlSZ_E_NS1_11comp_targetILNS1_3genE5ELNS1_11target_archE942ELNS1_3gpuE9ELNS1_3repE0EEENS1_47radix_sort_onesweep_sort_config_static_selectorELNS0_4arch9wavefront6targetE0EEEvSG_
; %bb.0:
	.section	.rodata,"a",@progbits
	.p2align	6, 0x0
	.amdhsa_kernel _ZN7rocprim17ROCPRIM_400000_NS6detail17trampoline_kernelINS0_14default_configENS1_35radix_sort_onesweep_config_selectorIdNS0_10empty_typeEEEZZNS1_29radix_sort_onesweep_iterationIS3_Lb0EPKdPdPS5_SB_mNS0_19identity_decomposerENS1_16block_id_wrapperIjLb0EEEEE10hipError_tT1_PNSt15iterator_traitsISG_E10value_typeET2_T3_PNSH_ISM_E10value_typeET4_T5_PSR_SS_PNS1_23onesweep_lookback_stateEbbT6_jjT7_P12ihipStream_tbENKUlT_T0_SG_SL_E_clISA_SA_SB_SB_EEDaSZ_S10_SG_SL_EUlSZ_E_NS1_11comp_targetILNS1_3genE5ELNS1_11target_archE942ELNS1_3gpuE9ELNS1_3repE0EEENS1_47radix_sort_onesweep_sort_config_static_selectorELNS0_4arch9wavefront6targetE0EEEvSG_
		.amdhsa_group_segment_fixed_size 0
		.amdhsa_private_segment_fixed_size 0
		.amdhsa_kernarg_size 88
		.amdhsa_user_sgpr_count 2
		.amdhsa_user_sgpr_dispatch_ptr 0
		.amdhsa_user_sgpr_queue_ptr 0
		.amdhsa_user_sgpr_kernarg_segment_ptr 1
		.amdhsa_user_sgpr_dispatch_id 0
		.amdhsa_user_sgpr_kernarg_preload_length 0
		.amdhsa_user_sgpr_kernarg_preload_offset 0
		.amdhsa_user_sgpr_private_segment_size 0
		.amdhsa_wavefront_size32 1
		.amdhsa_uses_dynamic_stack 0
		.amdhsa_enable_private_segment 0
		.amdhsa_system_sgpr_workgroup_id_x 1
		.amdhsa_system_sgpr_workgroup_id_y 0
		.amdhsa_system_sgpr_workgroup_id_z 0
		.amdhsa_system_sgpr_workgroup_info 0
		.amdhsa_system_vgpr_workitem_id 0
		.amdhsa_next_free_vgpr 1
		.amdhsa_next_free_sgpr 1
		.amdhsa_named_barrier_count 0
		.amdhsa_reserve_vcc 0
		.amdhsa_float_round_mode_32 0
		.amdhsa_float_round_mode_16_64 0
		.amdhsa_float_denorm_mode_32 3
		.amdhsa_float_denorm_mode_16_64 3
		.amdhsa_fp16_overflow 0
		.amdhsa_memory_ordered 1
		.amdhsa_forward_progress 1
		.amdhsa_inst_pref_size 0
		.amdhsa_round_robin_scheduling 0
		.amdhsa_exception_fp_ieee_invalid_op 0
		.amdhsa_exception_fp_denorm_src 0
		.amdhsa_exception_fp_ieee_div_zero 0
		.amdhsa_exception_fp_ieee_overflow 0
		.amdhsa_exception_fp_ieee_underflow 0
		.amdhsa_exception_fp_ieee_inexact 0
		.amdhsa_exception_int_div_zero 0
	.end_amdhsa_kernel
	.section	.text._ZN7rocprim17ROCPRIM_400000_NS6detail17trampoline_kernelINS0_14default_configENS1_35radix_sort_onesweep_config_selectorIdNS0_10empty_typeEEEZZNS1_29radix_sort_onesweep_iterationIS3_Lb0EPKdPdPS5_SB_mNS0_19identity_decomposerENS1_16block_id_wrapperIjLb0EEEEE10hipError_tT1_PNSt15iterator_traitsISG_E10value_typeET2_T3_PNSH_ISM_E10value_typeET4_T5_PSR_SS_PNS1_23onesweep_lookback_stateEbbT6_jjT7_P12ihipStream_tbENKUlT_T0_SG_SL_E_clISA_SA_SB_SB_EEDaSZ_S10_SG_SL_EUlSZ_E_NS1_11comp_targetILNS1_3genE5ELNS1_11target_archE942ELNS1_3gpuE9ELNS1_3repE0EEENS1_47radix_sort_onesweep_sort_config_static_selectorELNS0_4arch9wavefront6targetE0EEEvSG_,"axG",@progbits,_ZN7rocprim17ROCPRIM_400000_NS6detail17trampoline_kernelINS0_14default_configENS1_35radix_sort_onesweep_config_selectorIdNS0_10empty_typeEEEZZNS1_29radix_sort_onesweep_iterationIS3_Lb0EPKdPdPS5_SB_mNS0_19identity_decomposerENS1_16block_id_wrapperIjLb0EEEEE10hipError_tT1_PNSt15iterator_traitsISG_E10value_typeET2_T3_PNSH_ISM_E10value_typeET4_T5_PSR_SS_PNS1_23onesweep_lookback_stateEbbT6_jjT7_P12ihipStream_tbENKUlT_T0_SG_SL_E_clISA_SA_SB_SB_EEDaSZ_S10_SG_SL_EUlSZ_E_NS1_11comp_targetILNS1_3genE5ELNS1_11target_archE942ELNS1_3gpuE9ELNS1_3repE0EEENS1_47radix_sort_onesweep_sort_config_static_selectorELNS0_4arch9wavefront6targetE0EEEvSG_,comdat
.Lfunc_end1634:
	.size	_ZN7rocprim17ROCPRIM_400000_NS6detail17trampoline_kernelINS0_14default_configENS1_35radix_sort_onesweep_config_selectorIdNS0_10empty_typeEEEZZNS1_29radix_sort_onesweep_iterationIS3_Lb0EPKdPdPS5_SB_mNS0_19identity_decomposerENS1_16block_id_wrapperIjLb0EEEEE10hipError_tT1_PNSt15iterator_traitsISG_E10value_typeET2_T3_PNSH_ISM_E10value_typeET4_T5_PSR_SS_PNS1_23onesweep_lookback_stateEbbT6_jjT7_P12ihipStream_tbENKUlT_T0_SG_SL_E_clISA_SA_SB_SB_EEDaSZ_S10_SG_SL_EUlSZ_E_NS1_11comp_targetILNS1_3genE5ELNS1_11target_archE942ELNS1_3gpuE9ELNS1_3repE0EEENS1_47radix_sort_onesweep_sort_config_static_selectorELNS0_4arch9wavefront6targetE0EEEvSG_, .Lfunc_end1634-_ZN7rocprim17ROCPRIM_400000_NS6detail17trampoline_kernelINS0_14default_configENS1_35radix_sort_onesweep_config_selectorIdNS0_10empty_typeEEEZZNS1_29radix_sort_onesweep_iterationIS3_Lb0EPKdPdPS5_SB_mNS0_19identity_decomposerENS1_16block_id_wrapperIjLb0EEEEE10hipError_tT1_PNSt15iterator_traitsISG_E10value_typeET2_T3_PNSH_ISM_E10value_typeET4_T5_PSR_SS_PNS1_23onesweep_lookback_stateEbbT6_jjT7_P12ihipStream_tbENKUlT_T0_SG_SL_E_clISA_SA_SB_SB_EEDaSZ_S10_SG_SL_EUlSZ_E_NS1_11comp_targetILNS1_3genE5ELNS1_11target_archE942ELNS1_3gpuE9ELNS1_3repE0EEENS1_47radix_sort_onesweep_sort_config_static_selectorELNS0_4arch9wavefront6targetE0EEEvSG_
                                        ; -- End function
	.set _ZN7rocprim17ROCPRIM_400000_NS6detail17trampoline_kernelINS0_14default_configENS1_35radix_sort_onesweep_config_selectorIdNS0_10empty_typeEEEZZNS1_29radix_sort_onesweep_iterationIS3_Lb0EPKdPdPS5_SB_mNS0_19identity_decomposerENS1_16block_id_wrapperIjLb0EEEEE10hipError_tT1_PNSt15iterator_traitsISG_E10value_typeET2_T3_PNSH_ISM_E10value_typeET4_T5_PSR_SS_PNS1_23onesweep_lookback_stateEbbT6_jjT7_P12ihipStream_tbENKUlT_T0_SG_SL_E_clISA_SA_SB_SB_EEDaSZ_S10_SG_SL_EUlSZ_E_NS1_11comp_targetILNS1_3genE5ELNS1_11target_archE942ELNS1_3gpuE9ELNS1_3repE0EEENS1_47radix_sort_onesweep_sort_config_static_selectorELNS0_4arch9wavefront6targetE0EEEvSG_.num_vgpr, 0
	.set _ZN7rocprim17ROCPRIM_400000_NS6detail17trampoline_kernelINS0_14default_configENS1_35radix_sort_onesweep_config_selectorIdNS0_10empty_typeEEEZZNS1_29radix_sort_onesweep_iterationIS3_Lb0EPKdPdPS5_SB_mNS0_19identity_decomposerENS1_16block_id_wrapperIjLb0EEEEE10hipError_tT1_PNSt15iterator_traitsISG_E10value_typeET2_T3_PNSH_ISM_E10value_typeET4_T5_PSR_SS_PNS1_23onesweep_lookback_stateEbbT6_jjT7_P12ihipStream_tbENKUlT_T0_SG_SL_E_clISA_SA_SB_SB_EEDaSZ_S10_SG_SL_EUlSZ_E_NS1_11comp_targetILNS1_3genE5ELNS1_11target_archE942ELNS1_3gpuE9ELNS1_3repE0EEENS1_47radix_sort_onesweep_sort_config_static_selectorELNS0_4arch9wavefront6targetE0EEEvSG_.num_agpr, 0
	.set _ZN7rocprim17ROCPRIM_400000_NS6detail17trampoline_kernelINS0_14default_configENS1_35radix_sort_onesweep_config_selectorIdNS0_10empty_typeEEEZZNS1_29radix_sort_onesweep_iterationIS3_Lb0EPKdPdPS5_SB_mNS0_19identity_decomposerENS1_16block_id_wrapperIjLb0EEEEE10hipError_tT1_PNSt15iterator_traitsISG_E10value_typeET2_T3_PNSH_ISM_E10value_typeET4_T5_PSR_SS_PNS1_23onesweep_lookback_stateEbbT6_jjT7_P12ihipStream_tbENKUlT_T0_SG_SL_E_clISA_SA_SB_SB_EEDaSZ_S10_SG_SL_EUlSZ_E_NS1_11comp_targetILNS1_3genE5ELNS1_11target_archE942ELNS1_3gpuE9ELNS1_3repE0EEENS1_47radix_sort_onesweep_sort_config_static_selectorELNS0_4arch9wavefront6targetE0EEEvSG_.numbered_sgpr, 0
	.set _ZN7rocprim17ROCPRIM_400000_NS6detail17trampoline_kernelINS0_14default_configENS1_35radix_sort_onesweep_config_selectorIdNS0_10empty_typeEEEZZNS1_29radix_sort_onesweep_iterationIS3_Lb0EPKdPdPS5_SB_mNS0_19identity_decomposerENS1_16block_id_wrapperIjLb0EEEEE10hipError_tT1_PNSt15iterator_traitsISG_E10value_typeET2_T3_PNSH_ISM_E10value_typeET4_T5_PSR_SS_PNS1_23onesweep_lookback_stateEbbT6_jjT7_P12ihipStream_tbENKUlT_T0_SG_SL_E_clISA_SA_SB_SB_EEDaSZ_S10_SG_SL_EUlSZ_E_NS1_11comp_targetILNS1_3genE5ELNS1_11target_archE942ELNS1_3gpuE9ELNS1_3repE0EEENS1_47radix_sort_onesweep_sort_config_static_selectorELNS0_4arch9wavefront6targetE0EEEvSG_.num_named_barrier, 0
	.set _ZN7rocprim17ROCPRIM_400000_NS6detail17trampoline_kernelINS0_14default_configENS1_35radix_sort_onesweep_config_selectorIdNS0_10empty_typeEEEZZNS1_29radix_sort_onesweep_iterationIS3_Lb0EPKdPdPS5_SB_mNS0_19identity_decomposerENS1_16block_id_wrapperIjLb0EEEEE10hipError_tT1_PNSt15iterator_traitsISG_E10value_typeET2_T3_PNSH_ISM_E10value_typeET4_T5_PSR_SS_PNS1_23onesweep_lookback_stateEbbT6_jjT7_P12ihipStream_tbENKUlT_T0_SG_SL_E_clISA_SA_SB_SB_EEDaSZ_S10_SG_SL_EUlSZ_E_NS1_11comp_targetILNS1_3genE5ELNS1_11target_archE942ELNS1_3gpuE9ELNS1_3repE0EEENS1_47radix_sort_onesweep_sort_config_static_selectorELNS0_4arch9wavefront6targetE0EEEvSG_.private_seg_size, 0
	.set _ZN7rocprim17ROCPRIM_400000_NS6detail17trampoline_kernelINS0_14default_configENS1_35radix_sort_onesweep_config_selectorIdNS0_10empty_typeEEEZZNS1_29radix_sort_onesweep_iterationIS3_Lb0EPKdPdPS5_SB_mNS0_19identity_decomposerENS1_16block_id_wrapperIjLb0EEEEE10hipError_tT1_PNSt15iterator_traitsISG_E10value_typeET2_T3_PNSH_ISM_E10value_typeET4_T5_PSR_SS_PNS1_23onesweep_lookback_stateEbbT6_jjT7_P12ihipStream_tbENKUlT_T0_SG_SL_E_clISA_SA_SB_SB_EEDaSZ_S10_SG_SL_EUlSZ_E_NS1_11comp_targetILNS1_3genE5ELNS1_11target_archE942ELNS1_3gpuE9ELNS1_3repE0EEENS1_47radix_sort_onesweep_sort_config_static_selectorELNS0_4arch9wavefront6targetE0EEEvSG_.uses_vcc, 0
	.set _ZN7rocprim17ROCPRIM_400000_NS6detail17trampoline_kernelINS0_14default_configENS1_35radix_sort_onesweep_config_selectorIdNS0_10empty_typeEEEZZNS1_29radix_sort_onesweep_iterationIS3_Lb0EPKdPdPS5_SB_mNS0_19identity_decomposerENS1_16block_id_wrapperIjLb0EEEEE10hipError_tT1_PNSt15iterator_traitsISG_E10value_typeET2_T3_PNSH_ISM_E10value_typeET4_T5_PSR_SS_PNS1_23onesweep_lookback_stateEbbT6_jjT7_P12ihipStream_tbENKUlT_T0_SG_SL_E_clISA_SA_SB_SB_EEDaSZ_S10_SG_SL_EUlSZ_E_NS1_11comp_targetILNS1_3genE5ELNS1_11target_archE942ELNS1_3gpuE9ELNS1_3repE0EEENS1_47radix_sort_onesweep_sort_config_static_selectorELNS0_4arch9wavefront6targetE0EEEvSG_.uses_flat_scratch, 0
	.set _ZN7rocprim17ROCPRIM_400000_NS6detail17trampoline_kernelINS0_14default_configENS1_35radix_sort_onesweep_config_selectorIdNS0_10empty_typeEEEZZNS1_29radix_sort_onesweep_iterationIS3_Lb0EPKdPdPS5_SB_mNS0_19identity_decomposerENS1_16block_id_wrapperIjLb0EEEEE10hipError_tT1_PNSt15iterator_traitsISG_E10value_typeET2_T3_PNSH_ISM_E10value_typeET4_T5_PSR_SS_PNS1_23onesweep_lookback_stateEbbT6_jjT7_P12ihipStream_tbENKUlT_T0_SG_SL_E_clISA_SA_SB_SB_EEDaSZ_S10_SG_SL_EUlSZ_E_NS1_11comp_targetILNS1_3genE5ELNS1_11target_archE942ELNS1_3gpuE9ELNS1_3repE0EEENS1_47radix_sort_onesweep_sort_config_static_selectorELNS0_4arch9wavefront6targetE0EEEvSG_.has_dyn_sized_stack, 0
	.set _ZN7rocprim17ROCPRIM_400000_NS6detail17trampoline_kernelINS0_14default_configENS1_35radix_sort_onesweep_config_selectorIdNS0_10empty_typeEEEZZNS1_29radix_sort_onesweep_iterationIS3_Lb0EPKdPdPS5_SB_mNS0_19identity_decomposerENS1_16block_id_wrapperIjLb0EEEEE10hipError_tT1_PNSt15iterator_traitsISG_E10value_typeET2_T3_PNSH_ISM_E10value_typeET4_T5_PSR_SS_PNS1_23onesweep_lookback_stateEbbT6_jjT7_P12ihipStream_tbENKUlT_T0_SG_SL_E_clISA_SA_SB_SB_EEDaSZ_S10_SG_SL_EUlSZ_E_NS1_11comp_targetILNS1_3genE5ELNS1_11target_archE942ELNS1_3gpuE9ELNS1_3repE0EEENS1_47radix_sort_onesweep_sort_config_static_selectorELNS0_4arch9wavefront6targetE0EEEvSG_.has_recursion, 0
	.set _ZN7rocprim17ROCPRIM_400000_NS6detail17trampoline_kernelINS0_14default_configENS1_35radix_sort_onesweep_config_selectorIdNS0_10empty_typeEEEZZNS1_29radix_sort_onesweep_iterationIS3_Lb0EPKdPdPS5_SB_mNS0_19identity_decomposerENS1_16block_id_wrapperIjLb0EEEEE10hipError_tT1_PNSt15iterator_traitsISG_E10value_typeET2_T3_PNSH_ISM_E10value_typeET4_T5_PSR_SS_PNS1_23onesweep_lookback_stateEbbT6_jjT7_P12ihipStream_tbENKUlT_T0_SG_SL_E_clISA_SA_SB_SB_EEDaSZ_S10_SG_SL_EUlSZ_E_NS1_11comp_targetILNS1_3genE5ELNS1_11target_archE942ELNS1_3gpuE9ELNS1_3repE0EEENS1_47radix_sort_onesweep_sort_config_static_selectorELNS0_4arch9wavefront6targetE0EEEvSG_.has_indirect_call, 0
	.section	.AMDGPU.csdata,"",@progbits
; Kernel info:
; codeLenInByte = 0
; TotalNumSgprs: 0
; NumVgprs: 0
; ScratchSize: 0
; MemoryBound: 0
; FloatMode: 240
; IeeeMode: 1
; LDSByteSize: 0 bytes/workgroup (compile time only)
; SGPRBlocks: 0
; VGPRBlocks: 0
; NumSGPRsForWavesPerEU: 1
; NumVGPRsForWavesPerEU: 1
; NamedBarCnt: 0
; Occupancy: 16
; WaveLimiterHint : 0
; COMPUTE_PGM_RSRC2:SCRATCH_EN: 0
; COMPUTE_PGM_RSRC2:USER_SGPR: 2
; COMPUTE_PGM_RSRC2:TRAP_HANDLER: 0
; COMPUTE_PGM_RSRC2:TGID_X_EN: 1
; COMPUTE_PGM_RSRC2:TGID_Y_EN: 0
; COMPUTE_PGM_RSRC2:TGID_Z_EN: 0
; COMPUTE_PGM_RSRC2:TIDIG_COMP_CNT: 0
	.section	.text._ZN7rocprim17ROCPRIM_400000_NS6detail17trampoline_kernelINS0_14default_configENS1_35radix_sort_onesweep_config_selectorIdNS0_10empty_typeEEEZZNS1_29radix_sort_onesweep_iterationIS3_Lb0EPKdPdPS5_SB_mNS0_19identity_decomposerENS1_16block_id_wrapperIjLb0EEEEE10hipError_tT1_PNSt15iterator_traitsISG_E10value_typeET2_T3_PNSH_ISM_E10value_typeET4_T5_PSR_SS_PNS1_23onesweep_lookback_stateEbbT6_jjT7_P12ihipStream_tbENKUlT_T0_SG_SL_E_clISA_SA_SB_SB_EEDaSZ_S10_SG_SL_EUlSZ_E_NS1_11comp_targetILNS1_3genE2ELNS1_11target_archE906ELNS1_3gpuE6ELNS1_3repE0EEENS1_47radix_sort_onesweep_sort_config_static_selectorELNS0_4arch9wavefront6targetE0EEEvSG_,"axG",@progbits,_ZN7rocprim17ROCPRIM_400000_NS6detail17trampoline_kernelINS0_14default_configENS1_35radix_sort_onesweep_config_selectorIdNS0_10empty_typeEEEZZNS1_29radix_sort_onesweep_iterationIS3_Lb0EPKdPdPS5_SB_mNS0_19identity_decomposerENS1_16block_id_wrapperIjLb0EEEEE10hipError_tT1_PNSt15iterator_traitsISG_E10value_typeET2_T3_PNSH_ISM_E10value_typeET4_T5_PSR_SS_PNS1_23onesweep_lookback_stateEbbT6_jjT7_P12ihipStream_tbENKUlT_T0_SG_SL_E_clISA_SA_SB_SB_EEDaSZ_S10_SG_SL_EUlSZ_E_NS1_11comp_targetILNS1_3genE2ELNS1_11target_archE906ELNS1_3gpuE6ELNS1_3repE0EEENS1_47radix_sort_onesweep_sort_config_static_selectorELNS0_4arch9wavefront6targetE0EEEvSG_,comdat
	.protected	_ZN7rocprim17ROCPRIM_400000_NS6detail17trampoline_kernelINS0_14default_configENS1_35radix_sort_onesweep_config_selectorIdNS0_10empty_typeEEEZZNS1_29radix_sort_onesweep_iterationIS3_Lb0EPKdPdPS5_SB_mNS0_19identity_decomposerENS1_16block_id_wrapperIjLb0EEEEE10hipError_tT1_PNSt15iterator_traitsISG_E10value_typeET2_T3_PNSH_ISM_E10value_typeET4_T5_PSR_SS_PNS1_23onesweep_lookback_stateEbbT6_jjT7_P12ihipStream_tbENKUlT_T0_SG_SL_E_clISA_SA_SB_SB_EEDaSZ_S10_SG_SL_EUlSZ_E_NS1_11comp_targetILNS1_3genE2ELNS1_11target_archE906ELNS1_3gpuE6ELNS1_3repE0EEENS1_47radix_sort_onesweep_sort_config_static_selectorELNS0_4arch9wavefront6targetE0EEEvSG_ ; -- Begin function _ZN7rocprim17ROCPRIM_400000_NS6detail17trampoline_kernelINS0_14default_configENS1_35radix_sort_onesweep_config_selectorIdNS0_10empty_typeEEEZZNS1_29radix_sort_onesweep_iterationIS3_Lb0EPKdPdPS5_SB_mNS0_19identity_decomposerENS1_16block_id_wrapperIjLb0EEEEE10hipError_tT1_PNSt15iterator_traitsISG_E10value_typeET2_T3_PNSH_ISM_E10value_typeET4_T5_PSR_SS_PNS1_23onesweep_lookback_stateEbbT6_jjT7_P12ihipStream_tbENKUlT_T0_SG_SL_E_clISA_SA_SB_SB_EEDaSZ_S10_SG_SL_EUlSZ_E_NS1_11comp_targetILNS1_3genE2ELNS1_11target_archE906ELNS1_3gpuE6ELNS1_3repE0EEENS1_47radix_sort_onesweep_sort_config_static_selectorELNS0_4arch9wavefront6targetE0EEEvSG_
	.globl	_ZN7rocprim17ROCPRIM_400000_NS6detail17trampoline_kernelINS0_14default_configENS1_35radix_sort_onesweep_config_selectorIdNS0_10empty_typeEEEZZNS1_29radix_sort_onesweep_iterationIS3_Lb0EPKdPdPS5_SB_mNS0_19identity_decomposerENS1_16block_id_wrapperIjLb0EEEEE10hipError_tT1_PNSt15iterator_traitsISG_E10value_typeET2_T3_PNSH_ISM_E10value_typeET4_T5_PSR_SS_PNS1_23onesweep_lookback_stateEbbT6_jjT7_P12ihipStream_tbENKUlT_T0_SG_SL_E_clISA_SA_SB_SB_EEDaSZ_S10_SG_SL_EUlSZ_E_NS1_11comp_targetILNS1_3genE2ELNS1_11target_archE906ELNS1_3gpuE6ELNS1_3repE0EEENS1_47radix_sort_onesweep_sort_config_static_selectorELNS0_4arch9wavefront6targetE0EEEvSG_
	.p2align	8
	.type	_ZN7rocprim17ROCPRIM_400000_NS6detail17trampoline_kernelINS0_14default_configENS1_35radix_sort_onesweep_config_selectorIdNS0_10empty_typeEEEZZNS1_29radix_sort_onesweep_iterationIS3_Lb0EPKdPdPS5_SB_mNS0_19identity_decomposerENS1_16block_id_wrapperIjLb0EEEEE10hipError_tT1_PNSt15iterator_traitsISG_E10value_typeET2_T3_PNSH_ISM_E10value_typeET4_T5_PSR_SS_PNS1_23onesweep_lookback_stateEbbT6_jjT7_P12ihipStream_tbENKUlT_T0_SG_SL_E_clISA_SA_SB_SB_EEDaSZ_S10_SG_SL_EUlSZ_E_NS1_11comp_targetILNS1_3genE2ELNS1_11target_archE906ELNS1_3gpuE6ELNS1_3repE0EEENS1_47radix_sort_onesweep_sort_config_static_selectorELNS0_4arch9wavefront6targetE0EEEvSG_,@function
_ZN7rocprim17ROCPRIM_400000_NS6detail17trampoline_kernelINS0_14default_configENS1_35radix_sort_onesweep_config_selectorIdNS0_10empty_typeEEEZZNS1_29radix_sort_onesweep_iterationIS3_Lb0EPKdPdPS5_SB_mNS0_19identity_decomposerENS1_16block_id_wrapperIjLb0EEEEE10hipError_tT1_PNSt15iterator_traitsISG_E10value_typeET2_T3_PNSH_ISM_E10value_typeET4_T5_PSR_SS_PNS1_23onesweep_lookback_stateEbbT6_jjT7_P12ihipStream_tbENKUlT_T0_SG_SL_E_clISA_SA_SB_SB_EEDaSZ_S10_SG_SL_EUlSZ_E_NS1_11comp_targetILNS1_3genE2ELNS1_11target_archE906ELNS1_3gpuE6ELNS1_3repE0EEENS1_47radix_sort_onesweep_sort_config_static_selectorELNS0_4arch9wavefront6targetE0EEEvSG_: ; @_ZN7rocprim17ROCPRIM_400000_NS6detail17trampoline_kernelINS0_14default_configENS1_35radix_sort_onesweep_config_selectorIdNS0_10empty_typeEEEZZNS1_29radix_sort_onesweep_iterationIS3_Lb0EPKdPdPS5_SB_mNS0_19identity_decomposerENS1_16block_id_wrapperIjLb0EEEEE10hipError_tT1_PNSt15iterator_traitsISG_E10value_typeET2_T3_PNSH_ISM_E10value_typeET4_T5_PSR_SS_PNS1_23onesweep_lookback_stateEbbT6_jjT7_P12ihipStream_tbENKUlT_T0_SG_SL_E_clISA_SA_SB_SB_EEDaSZ_S10_SG_SL_EUlSZ_E_NS1_11comp_targetILNS1_3genE2ELNS1_11target_archE906ELNS1_3gpuE6ELNS1_3repE0EEENS1_47radix_sort_onesweep_sort_config_static_selectorELNS0_4arch9wavefront6targetE0EEEvSG_
; %bb.0:
	.section	.rodata,"a",@progbits
	.p2align	6, 0x0
	.amdhsa_kernel _ZN7rocprim17ROCPRIM_400000_NS6detail17trampoline_kernelINS0_14default_configENS1_35radix_sort_onesweep_config_selectorIdNS0_10empty_typeEEEZZNS1_29radix_sort_onesweep_iterationIS3_Lb0EPKdPdPS5_SB_mNS0_19identity_decomposerENS1_16block_id_wrapperIjLb0EEEEE10hipError_tT1_PNSt15iterator_traitsISG_E10value_typeET2_T3_PNSH_ISM_E10value_typeET4_T5_PSR_SS_PNS1_23onesweep_lookback_stateEbbT6_jjT7_P12ihipStream_tbENKUlT_T0_SG_SL_E_clISA_SA_SB_SB_EEDaSZ_S10_SG_SL_EUlSZ_E_NS1_11comp_targetILNS1_3genE2ELNS1_11target_archE906ELNS1_3gpuE6ELNS1_3repE0EEENS1_47radix_sort_onesweep_sort_config_static_selectorELNS0_4arch9wavefront6targetE0EEEvSG_
		.amdhsa_group_segment_fixed_size 0
		.amdhsa_private_segment_fixed_size 0
		.amdhsa_kernarg_size 88
		.amdhsa_user_sgpr_count 2
		.amdhsa_user_sgpr_dispatch_ptr 0
		.amdhsa_user_sgpr_queue_ptr 0
		.amdhsa_user_sgpr_kernarg_segment_ptr 1
		.amdhsa_user_sgpr_dispatch_id 0
		.amdhsa_user_sgpr_kernarg_preload_length 0
		.amdhsa_user_sgpr_kernarg_preload_offset 0
		.amdhsa_user_sgpr_private_segment_size 0
		.amdhsa_wavefront_size32 1
		.amdhsa_uses_dynamic_stack 0
		.amdhsa_enable_private_segment 0
		.amdhsa_system_sgpr_workgroup_id_x 1
		.amdhsa_system_sgpr_workgroup_id_y 0
		.amdhsa_system_sgpr_workgroup_id_z 0
		.amdhsa_system_sgpr_workgroup_info 0
		.amdhsa_system_vgpr_workitem_id 0
		.amdhsa_next_free_vgpr 1
		.amdhsa_next_free_sgpr 1
		.amdhsa_named_barrier_count 0
		.amdhsa_reserve_vcc 0
		.amdhsa_float_round_mode_32 0
		.amdhsa_float_round_mode_16_64 0
		.amdhsa_float_denorm_mode_32 3
		.amdhsa_float_denorm_mode_16_64 3
		.amdhsa_fp16_overflow 0
		.amdhsa_memory_ordered 1
		.amdhsa_forward_progress 1
		.amdhsa_inst_pref_size 0
		.amdhsa_round_robin_scheduling 0
		.amdhsa_exception_fp_ieee_invalid_op 0
		.amdhsa_exception_fp_denorm_src 0
		.amdhsa_exception_fp_ieee_div_zero 0
		.amdhsa_exception_fp_ieee_overflow 0
		.amdhsa_exception_fp_ieee_underflow 0
		.amdhsa_exception_fp_ieee_inexact 0
		.amdhsa_exception_int_div_zero 0
	.end_amdhsa_kernel
	.section	.text._ZN7rocprim17ROCPRIM_400000_NS6detail17trampoline_kernelINS0_14default_configENS1_35radix_sort_onesweep_config_selectorIdNS0_10empty_typeEEEZZNS1_29radix_sort_onesweep_iterationIS3_Lb0EPKdPdPS5_SB_mNS0_19identity_decomposerENS1_16block_id_wrapperIjLb0EEEEE10hipError_tT1_PNSt15iterator_traitsISG_E10value_typeET2_T3_PNSH_ISM_E10value_typeET4_T5_PSR_SS_PNS1_23onesweep_lookback_stateEbbT6_jjT7_P12ihipStream_tbENKUlT_T0_SG_SL_E_clISA_SA_SB_SB_EEDaSZ_S10_SG_SL_EUlSZ_E_NS1_11comp_targetILNS1_3genE2ELNS1_11target_archE906ELNS1_3gpuE6ELNS1_3repE0EEENS1_47radix_sort_onesweep_sort_config_static_selectorELNS0_4arch9wavefront6targetE0EEEvSG_,"axG",@progbits,_ZN7rocprim17ROCPRIM_400000_NS6detail17trampoline_kernelINS0_14default_configENS1_35radix_sort_onesweep_config_selectorIdNS0_10empty_typeEEEZZNS1_29radix_sort_onesweep_iterationIS3_Lb0EPKdPdPS5_SB_mNS0_19identity_decomposerENS1_16block_id_wrapperIjLb0EEEEE10hipError_tT1_PNSt15iterator_traitsISG_E10value_typeET2_T3_PNSH_ISM_E10value_typeET4_T5_PSR_SS_PNS1_23onesweep_lookback_stateEbbT6_jjT7_P12ihipStream_tbENKUlT_T0_SG_SL_E_clISA_SA_SB_SB_EEDaSZ_S10_SG_SL_EUlSZ_E_NS1_11comp_targetILNS1_3genE2ELNS1_11target_archE906ELNS1_3gpuE6ELNS1_3repE0EEENS1_47radix_sort_onesweep_sort_config_static_selectorELNS0_4arch9wavefront6targetE0EEEvSG_,comdat
.Lfunc_end1635:
	.size	_ZN7rocprim17ROCPRIM_400000_NS6detail17trampoline_kernelINS0_14default_configENS1_35radix_sort_onesweep_config_selectorIdNS0_10empty_typeEEEZZNS1_29radix_sort_onesweep_iterationIS3_Lb0EPKdPdPS5_SB_mNS0_19identity_decomposerENS1_16block_id_wrapperIjLb0EEEEE10hipError_tT1_PNSt15iterator_traitsISG_E10value_typeET2_T3_PNSH_ISM_E10value_typeET4_T5_PSR_SS_PNS1_23onesweep_lookback_stateEbbT6_jjT7_P12ihipStream_tbENKUlT_T0_SG_SL_E_clISA_SA_SB_SB_EEDaSZ_S10_SG_SL_EUlSZ_E_NS1_11comp_targetILNS1_3genE2ELNS1_11target_archE906ELNS1_3gpuE6ELNS1_3repE0EEENS1_47radix_sort_onesweep_sort_config_static_selectorELNS0_4arch9wavefront6targetE0EEEvSG_, .Lfunc_end1635-_ZN7rocprim17ROCPRIM_400000_NS6detail17trampoline_kernelINS0_14default_configENS1_35radix_sort_onesweep_config_selectorIdNS0_10empty_typeEEEZZNS1_29radix_sort_onesweep_iterationIS3_Lb0EPKdPdPS5_SB_mNS0_19identity_decomposerENS1_16block_id_wrapperIjLb0EEEEE10hipError_tT1_PNSt15iterator_traitsISG_E10value_typeET2_T3_PNSH_ISM_E10value_typeET4_T5_PSR_SS_PNS1_23onesweep_lookback_stateEbbT6_jjT7_P12ihipStream_tbENKUlT_T0_SG_SL_E_clISA_SA_SB_SB_EEDaSZ_S10_SG_SL_EUlSZ_E_NS1_11comp_targetILNS1_3genE2ELNS1_11target_archE906ELNS1_3gpuE6ELNS1_3repE0EEENS1_47radix_sort_onesweep_sort_config_static_selectorELNS0_4arch9wavefront6targetE0EEEvSG_
                                        ; -- End function
	.set _ZN7rocprim17ROCPRIM_400000_NS6detail17trampoline_kernelINS0_14default_configENS1_35radix_sort_onesweep_config_selectorIdNS0_10empty_typeEEEZZNS1_29radix_sort_onesweep_iterationIS3_Lb0EPKdPdPS5_SB_mNS0_19identity_decomposerENS1_16block_id_wrapperIjLb0EEEEE10hipError_tT1_PNSt15iterator_traitsISG_E10value_typeET2_T3_PNSH_ISM_E10value_typeET4_T5_PSR_SS_PNS1_23onesweep_lookback_stateEbbT6_jjT7_P12ihipStream_tbENKUlT_T0_SG_SL_E_clISA_SA_SB_SB_EEDaSZ_S10_SG_SL_EUlSZ_E_NS1_11comp_targetILNS1_3genE2ELNS1_11target_archE906ELNS1_3gpuE6ELNS1_3repE0EEENS1_47radix_sort_onesweep_sort_config_static_selectorELNS0_4arch9wavefront6targetE0EEEvSG_.num_vgpr, 0
	.set _ZN7rocprim17ROCPRIM_400000_NS6detail17trampoline_kernelINS0_14default_configENS1_35radix_sort_onesweep_config_selectorIdNS0_10empty_typeEEEZZNS1_29radix_sort_onesweep_iterationIS3_Lb0EPKdPdPS5_SB_mNS0_19identity_decomposerENS1_16block_id_wrapperIjLb0EEEEE10hipError_tT1_PNSt15iterator_traitsISG_E10value_typeET2_T3_PNSH_ISM_E10value_typeET4_T5_PSR_SS_PNS1_23onesweep_lookback_stateEbbT6_jjT7_P12ihipStream_tbENKUlT_T0_SG_SL_E_clISA_SA_SB_SB_EEDaSZ_S10_SG_SL_EUlSZ_E_NS1_11comp_targetILNS1_3genE2ELNS1_11target_archE906ELNS1_3gpuE6ELNS1_3repE0EEENS1_47radix_sort_onesweep_sort_config_static_selectorELNS0_4arch9wavefront6targetE0EEEvSG_.num_agpr, 0
	.set _ZN7rocprim17ROCPRIM_400000_NS6detail17trampoline_kernelINS0_14default_configENS1_35radix_sort_onesweep_config_selectorIdNS0_10empty_typeEEEZZNS1_29radix_sort_onesweep_iterationIS3_Lb0EPKdPdPS5_SB_mNS0_19identity_decomposerENS1_16block_id_wrapperIjLb0EEEEE10hipError_tT1_PNSt15iterator_traitsISG_E10value_typeET2_T3_PNSH_ISM_E10value_typeET4_T5_PSR_SS_PNS1_23onesweep_lookback_stateEbbT6_jjT7_P12ihipStream_tbENKUlT_T0_SG_SL_E_clISA_SA_SB_SB_EEDaSZ_S10_SG_SL_EUlSZ_E_NS1_11comp_targetILNS1_3genE2ELNS1_11target_archE906ELNS1_3gpuE6ELNS1_3repE0EEENS1_47radix_sort_onesweep_sort_config_static_selectorELNS0_4arch9wavefront6targetE0EEEvSG_.numbered_sgpr, 0
	.set _ZN7rocprim17ROCPRIM_400000_NS6detail17trampoline_kernelINS0_14default_configENS1_35radix_sort_onesweep_config_selectorIdNS0_10empty_typeEEEZZNS1_29radix_sort_onesweep_iterationIS3_Lb0EPKdPdPS5_SB_mNS0_19identity_decomposerENS1_16block_id_wrapperIjLb0EEEEE10hipError_tT1_PNSt15iterator_traitsISG_E10value_typeET2_T3_PNSH_ISM_E10value_typeET4_T5_PSR_SS_PNS1_23onesweep_lookback_stateEbbT6_jjT7_P12ihipStream_tbENKUlT_T0_SG_SL_E_clISA_SA_SB_SB_EEDaSZ_S10_SG_SL_EUlSZ_E_NS1_11comp_targetILNS1_3genE2ELNS1_11target_archE906ELNS1_3gpuE6ELNS1_3repE0EEENS1_47radix_sort_onesweep_sort_config_static_selectorELNS0_4arch9wavefront6targetE0EEEvSG_.num_named_barrier, 0
	.set _ZN7rocprim17ROCPRIM_400000_NS6detail17trampoline_kernelINS0_14default_configENS1_35radix_sort_onesweep_config_selectorIdNS0_10empty_typeEEEZZNS1_29radix_sort_onesweep_iterationIS3_Lb0EPKdPdPS5_SB_mNS0_19identity_decomposerENS1_16block_id_wrapperIjLb0EEEEE10hipError_tT1_PNSt15iterator_traitsISG_E10value_typeET2_T3_PNSH_ISM_E10value_typeET4_T5_PSR_SS_PNS1_23onesweep_lookback_stateEbbT6_jjT7_P12ihipStream_tbENKUlT_T0_SG_SL_E_clISA_SA_SB_SB_EEDaSZ_S10_SG_SL_EUlSZ_E_NS1_11comp_targetILNS1_3genE2ELNS1_11target_archE906ELNS1_3gpuE6ELNS1_3repE0EEENS1_47radix_sort_onesweep_sort_config_static_selectorELNS0_4arch9wavefront6targetE0EEEvSG_.private_seg_size, 0
	.set _ZN7rocprim17ROCPRIM_400000_NS6detail17trampoline_kernelINS0_14default_configENS1_35radix_sort_onesweep_config_selectorIdNS0_10empty_typeEEEZZNS1_29radix_sort_onesweep_iterationIS3_Lb0EPKdPdPS5_SB_mNS0_19identity_decomposerENS1_16block_id_wrapperIjLb0EEEEE10hipError_tT1_PNSt15iterator_traitsISG_E10value_typeET2_T3_PNSH_ISM_E10value_typeET4_T5_PSR_SS_PNS1_23onesweep_lookback_stateEbbT6_jjT7_P12ihipStream_tbENKUlT_T0_SG_SL_E_clISA_SA_SB_SB_EEDaSZ_S10_SG_SL_EUlSZ_E_NS1_11comp_targetILNS1_3genE2ELNS1_11target_archE906ELNS1_3gpuE6ELNS1_3repE0EEENS1_47radix_sort_onesweep_sort_config_static_selectorELNS0_4arch9wavefront6targetE0EEEvSG_.uses_vcc, 0
	.set _ZN7rocprim17ROCPRIM_400000_NS6detail17trampoline_kernelINS0_14default_configENS1_35radix_sort_onesweep_config_selectorIdNS0_10empty_typeEEEZZNS1_29radix_sort_onesweep_iterationIS3_Lb0EPKdPdPS5_SB_mNS0_19identity_decomposerENS1_16block_id_wrapperIjLb0EEEEE10hipError_tT1_PNSt15iterator_traitsISG_E10value_typeET2_T3_PNSH_ISM_E10value_typeET4_T5_PSR_SS_PNS1_23onesweep_lookback_stateEbbT6_jjT7_P12ihipStream_tbENKUlT_T0_SG_SL_E_clISA_SA_SB_SB_EEDaSZ_S10_SG_SL_EUlSZ_E_NS1_11comp_targetILNS1_3genE2ELNS1_11target_archE906ELNS1_3gpuE6ELNS1_3repE0EEENS1_47radix_sort_onesweep_sort_config_static_selectorELNS0_4arch9wavefront6targetE0EEEvSG_.uses_flat_scratch, 0
	.set _ZN7rocprim17ROCPRIM_400000_NS6detail17trampoline_kernelINS0_14default_configENS1_35radix_sort_onesweep_config_selectorIdNS0_10empty_typeEEEZZNS1_29radix_sort_onesweep_iterationIS3_Lb0EPKdPdPS5_SB_mNS0_19identity_decomposerENS1_16block_id_wrapperIjLb0EEEEE10hipError_tT1_PNSt15iterator_traitsISG_E10value_typeET2_T3_PNSH_ISM_E10value_typeET4_T5_PSR_SS_PNS1_23onesweep_lookback_stateEbbT6_jjT7_P12ihipStream_tbENKUlT_T0_SG_SL_E_clISA_SA_SB_SB_EEDaSZ_S10_SG_SL_EUlSZ_E_NS1_11comp_targetILNS1_3genE2ELNS1_11target_archE906ELNS1_3gpuE6ELNS1_3repE0EEENS1_47radix_sort_onesweep_sort_config_static_selectorELNS0_4arch9wavefront6targetE0EEEvSG_.has_dyn_sized_stack, 0
	.set _ZN7rocprim17ROCPRIM_400000_NS6detail17trampoline_kernelINS0_14default_configENS1_35radix_sort_onesweep_config_selectorIdNS0_10empty_typeEEEZZNS1_29radix_sort_onesweep_iterationIS3_Lb0EPKdPdPS5_SB_mNS0_19identity_decomposerENS1_16block_id_wrapperIjLb0EEEEE10hipError_tT1_PNSt15iterator_traitsISG_E10value_typeET2_T3_PNSH_ISM_E10value_typeET4_T5_PSR_SS_PNS1_23onesweep_lookback_stateEbbT6_jjT7_P12ihipStream_tbENKUlT_T0_SG_SL_E_clISA_SA_SB_SB_EEDaSZ_S10_SG_SL_EUlSZ_E_NS1_11comp_targetILNS1_3genE2ELNS1_11target_archE906ELNS1_3gpuE6ELNS1_3repE0EEENS1_47radix_sort_onesweep_sort_config_static_selectorELNS0_4arch9wavefront6targetE0EEEvSG_.has_recursion, 0
	.set _ZN7rocprim17ROCPRIM_400000_NS6detail17trampoline_kernelINS0_14default_configENS1_35radix_sort_onesweep_config_selectorIdNS0_10empty_typeEEEZZNS1_29radix_sort_onesweep_iterationIS3_Lb0EPKdPdPS5_SB_mNS0_19identity_decomposerENS1_16block_id_wrapperIjLb0EEEEE10hipError_tT1_PNSt15iterator_traitsISG_E10value_typeET2_T3_PNSH_ISM_E10value_typeET4_T5_PSR_SS_PNS1_23onesweep_lookback_stateEbbT6_jjT7_P12ihipStream_tbENKUlT_T0_SG_SL_E_clISA_SA_SB_SB_EEDaSZ_S10_SG_SL_EUlSZ_E_NS1_11comp_targetILNS1_3genE2ELNS1_11target_archE906ELNS1_3gpuE6ELNS1_3repE0EEENS1_47radix_sort_onesweep_sort_config_static_selectorELNS0_4arch9wavefront6targetE0EEEvSG_.has_indirect_call, 0
	.section	.AMDGPU.csdata,"",@progbits
; Kernel info:
; codeLenInByte = 0
; TotalNumSgprs: 0
; NumVgprs: 0
; ScratchSize: 0
; MemoryBound: 0
; FloatMode: 240
; IeeeMode: 1
; LDSByteSize: 0 bytes/workgroup (compile time only)
; SGPRBlocks: 0
; VGPRBlocks: 0
; NumSGPRsForWavesPerEU: 1
; NumVGPRsForWavesPerEU: 1
; NamedBarCnt: 0
; Occupancy: 16
; WaveLimiterHint : 0
; COMPUTE_PGM_RSRC2:SCRATCH_EN: 0
; COMPUTE_PGM_RSRC2:USER_SGPR: 2
; COMPUTE_PGM_RSRC2:TRAP_HANDLER: 0
; COMPUTE_PGM_RSRC2:TGID_X_EN: 1
; COMPUTE_PGM_RSRC2:TGID_Y_EN: 0
; COMPUTE_PGM_RSRC2:TGID_Z_EN: 0
; COMPUTE_PGM_RSRC2:TIDIG_COMP_CNT: 0
	.section	.text._ZN7rocprim17ROCPRIM_400000_NS6detail17trampoline_kernelINS0_14default_configENS1_35radix_sort_onesweep_config_selectorIdNS0_10empty_typeEEEZZNS1_29radix_sort_onesweep_iterationIS3_Lb0EPKdPdPS5_SB_mNS0_19identity_decomposerENS1_16block_id_wrapperIjLb0EEEEE10hipError_tT1_PNSt15iterator_traitsISG_E10value_typeET2_T3_PNSH_ISM_E10value_typeET4_T5_PSR_SS_PNS1_23onesweep_lookback_stateEbbT6_jjT7_P12ihipStream_tbENKUlT_T0_SG_SL_E_clISA_SA_SB_SB_EEDaSZ_S10_SG_SL_EUlSZ_E_NS1_11comp_targetILNS1_3genE4ELNS1_11target_archE910ELNS1_3gpuE8ELNS1_3repE0EEENS1_47radix_sort_onesweep_sort_config_static_selectorELNS0_4arch9wavefront6targetE0EEEvSG_,"axG",@progbits,_ZN7rocprim17ROCPRIM_400000_NS6detail17trampoline_kernelINS0_14default_configENS1_35radix_sort_onesweep_config_selectorIdNS0_10empty_typeEEEZZNS1_29radix_sort_onesweep_iterationIS3_Lb0EPKdPdPS5_SB_mNS0_19identity_decomposerENS1_16block_id_wrapperIjLb0EEEEE10hipError_tT1_PNSt15iterator_traitsISG_E10value_typeET2_T3_PNSH_ISM_E10value_typeET4_T5_PSR_SS_PNS1_23onesweep_lookback_stateEbbT6_jjT7_P12ihipStream_tbENKUlT_T0_SG_SL_E_clISA_SA_SB_SB_EEDaSZ_S10_SG_SL_EUlSZ_E_NS1_11comp_targetILNS1_3genE4ELNS1_11target_archE910ELNS1_3gpuE8ELNS1_3repE0EEENS1_47radix_sort_onesweep_sort_config_static_selectorELNS0_4arch9wavefront6targetE0EEEvSG_,comdat
	.protected	_ZN7rocprim17ROCPRIM_400000_NS6detail17trampoline_kernelINS0_14default_configENS1_35radix_sort_onesweep_config_selectorIdNS0_10empty_typeEEEZZNS1_29radix_sort_onesweep_iterationIS3_Lb0EPKdPdPS5_SB_mNS0_19identity_decomposerENS1_16block_id_wrapperIjLb0EEEEE10hipError_tT1_PNSt15iterator_traitsISG_E10value_typeET2_T3_PNSH_ISM_E10value_typeET4_T5_PSR_SS_PNS1_23onesweep_lookback_stateEbbT6_jjT7_P12ihipStream_tbENKUlT_T0_SG_SL_E_clISA_SA_SB_SB_EEDaSZ_S10_SG_SL_EUlSZ_E_NS1_11comp_targetILNS1_3genE4ELNS1_11target_archE910ELNS1_3gpuE8ELNS1_3repE0EEENS1_47radix_sort_onesweep_sort_config_static_selectorELNS0_4arch9wavefront6targetE0EEEvSG_ ; -- Begin function _ZN7rocprim17ROCPRIM_400000_NS6detail17trampoline_kernelINS0_14default_configENS1_35radix_sort_onesweep_config_selectorIdNS0_10empty_typeEEEZZNS1_29radix_sort_onesweep_iterationIS3_Lb0EPKdPdPS5_SB_mNS0_19identity_decomposerENS1_16block_id_wrapperIjLb0EEEEE10hipError_tT1_PNSt15iterator_traitsISG_E10value_typeET2_T3_PNSH_ISM_E10value_typeET4_T5_PSR_SS_PNS1_23onesweep_lookback_stateEbbT6_jjT7_P12ihipStream_tbENKUlT_T0_SG_SL_E_clISA_SA_SB_SB_EEDaSZ_S10_SG_SL_EUlSZ_E_NS1_11comp_targetILNS1_3genE4ELNS1_11target_archE910ELNS1_3gpuE8ELNS1_3repE0EEENS1_47radix_sort_onesweep_sort_config_static_selectorELNS0_4arch9wavefront6targetE0EEEvSG_
	.globl	_ZN7rocprim17ROCPRIM_400000_NS6detail17trampoline_kernelINS0_14default_configENS1_35radix_sort_onesweep_config_selectorIdNS0_10empty_typeEEEZZNS1_29radix_sort_onesweep_iterationIS3_Lb0EPKdPdPS5_SB_mNS0_19identity_decomposerENS1_16block_id_wrapperIjLb0EEEEE10hipError_tT1_PNSt15iterator_traitsISG_E10value_typeET2_T3_PNSH_ISM_E10value_typeET4_T5_PSR_SS_PNS1_23onesweep_lookback_stateEbbT6_jjT7_P12ihipStream_tbENKUlT_T0_SG_SL_E_clISA_SA_SB_SB_EEDaSZ_S10_SG_SL_EUlSZ_E_NS1_11comp_targetILNS1_3genE4ELNS1_11target_archE910ELNS1_3gpuE8ELNS1_3repE0EEENS1_47radix_sort_onesweep_sort_config_static_selectorELNS0_4arch9wavefront6targetE0EEEvSG_
	.p2align	8
	.type	_ZN7rocprim17ROCPRIM_400000_NS6detail17trampoline_kernelINS0_14default_configENS1_35radix_sort_onesweep_config_selectorIdNS0_10empty_typeEEEZZNS1_29radix_sort_onesweep_iterationIS3_Lb0EPKdPdPS5_SB_mNS0_19identity_decomposerENS1_16block_id_wrapperIjLb0EEEEE10hipError_tT1_PNSt15iterator_traitsISG_E10value_typeET2_T3_PNSH_ISM_E10value_typeET4_T5_PSR_SS_PNS1_23onesweep_lookback_stateEbbT6_jjT7_P12ihipStream_tbENKUlT_T0_SG_SL_E_clISA_SA_SB_SB_EEDaSZ_S10_SG_SL_EUlSZ_E_NS1_11comp_targetILNS1_3genE4ELNS1_11target_archE910ELNS1_3gpuE8ELNS1_3repE0EEENS1_47radix_sort_onesweep_sort_config_static_selectorELNS0_4arch9wavefront6targetE0EEEvSG_,@function
_ZN7rocprim17ROCPRIM_400000_NS6detail17trampoline_kernelINS0_14default_configENS1_35radix_sort_onesweep_config_selectorIdNS0_10empty_typeEEEZZNS1_29radix_sort_onesweep_iterationIS3_Lb0EPKdPdPS5_SB_mNS0_19identity_decomposerENS1_16block_id_wrapperIjLb0EEEEE10hipError_tT1_PNSt15iterator_traitsISG_E10value_typeET2_T3_PNSH_ISM_E10value_typeET4_T5_PSR_SS_PNS1_23onesweep_lookback_stateEbbT6_jjT7_P12ihipStream_tbENKUlT_T0_SG_SL_E_clISA_SA_SB_SB_EEDaSZ_S10_SG_SL_EUlSZ_E_NS1_11comp_targetILNS1_3genE4ELNS1_11target_archE910ELNS1_3gpuE8ELNS1_3repE0EEENS1_47radix_sort_onesweep_sort_config_static_selectorELNS0_4arch9wavefront6targetE0EEEvSG_: ; @_ZN7rocprim17ROCPRIM_400000_NS6detail17trampoline_kernelINS0_14default_configENS1_35radix_sort_onesweep_config_selectorIdNS0_10empty_typeEEEZZNS1_29radix_sort_onesweep_iterationIS3_Lb0EPKdPdPS5_SB_mNS0_19identity_decomposerENS1_16block_id_wrapperIjLb0EEEEE10hipError_tT1_PNSt15iterator_traitsISG_E10value_typeET2_T3_PNSH_ISM_E10value_typeET4_T5_PSR_SS_PNS1_23onesweep_lookback_stateEbbT6_jjT7_P12ihipStream_tbENKUlT_T0_SG_SL_E_clISA_SA_SB_SB_EEDaSZ_S10_SG_SL_EUlSZ_E_NS1_11comp_targetILNS1_3genE4ELNS1_11target_archE910ELNS1_3gpuE8ELNS1_3repE0EEENS1_47radix_sort_onesweep_sort_config_static_selectorELNS0_4arch9wavefront6targetE0EEEvSG_
; %bb.0:
	.section	.rodata,"a",@progbits
	.p2align	6, 0x0
	.amdhsa_kernel _ZN7rocprim17ROCPRIM_400000_NS6detail17trampoline_kernelINS0_14default_configENS1_35radix_sort_onesweep_config_selectorIdNS0_10empty_typeEEEZZNS1_29radix_sort_onesweep_iterationIS3_Lb0EPKdPdPS5_SB_mNS0_19identity_decomposerENS1_16block_id_wrapperIjLb0EEEEE10hipError_tT1_PNSt15iterator_traitsISG_E10value_typeET2_T3_PNSH_ISM_E10value_typeET4_T5_PSR_SS_PNS1_23onesweep_lookback_stateEbbT6_jjT7_P12ihipStream_tbENKUlT_T0_SG_SL_E_clISA_SA_SB_SB_EEDaSZ_S10_SG_SL_EUlSZ_E_NS1_11comp_targetILNS1_3genE4ELNS1_11target_archE910ELNS1_3gpuE8ELNS1_3repE0EEENS1_47radix_sort_onesweep_sort_config_static_selectorELNS0_4arch9wavefront6targetE0EEEvSG_
		.amdhsa_group_segment_fixed_size 0
		.amdhsa_private_segment_fixed_size 0
		.amdhsa_kernarg_size 88
		.amdhsa_user_sgpr_count 2
		.amdhsa_user_sgpr_dispatch_ptr 0
		.amdhsa_user_sgpr_queue_ptr 0
		.amdhsa_user_sgpr_kernarg_segment_ptr 1
		.amdhsa_user_sgpr_dispatch_id 0
		.amdhsa_user_sgpr_kernarg_preload_length 0
		.amdhsa_user_sgpr_kernarg_preload_offset 0
		.amdhsa_user_sgpr_private_segment_size 0
		.amdhsa_wavefront_size32 1
		.amdhsa_uses_dynamic_stack 0
		.amdhsa_enable_private_segment 0
		.amdhsa_system_sgpr_workgroup_id_x 1
		.amdhsa_system_sgpr_workgroup_id_y 0
		.amdhsa_system_sgpr_workgroup_id_z 0
		.amdhsa_system_sgpr_workgroup_info 0
		.amdhsa_system_vgpr_workitem_id 0
		.amdhsa_next_free_vgpr 1
		.amdhsa_next_free_sgpr 1
		.amdhsa_named_barrier_count 0
		.amdhsa_reserve_vcc 0
		.amdhsa_float_round_mode_32 0
		.amdhsa_float_round_mode_16_64 0
		.amdhsa_float_denorm_mode_32 3
		.amdhsa_float_denorm_mode_16_64 3
		.amdhsa_fp16_overflow 0
		.amdhsa_memory_ordered 1
		.amdhsa_forward_progress 1
		.amdhsa_inst_pref_size 0
		.amdhsa_round_robin_scheduling 0
		.amdhsa_exception_fp_ieee_invalid_op 0
		.amdhsa_exception_fp_denorm_src 0
		.amdhsa_exception_fp_ieee_div_zero 0
		.amdhsa_exception_fp_ieee_overflow 0
		.amdhsa_exception_fp_ieee_underflow 0
		.amdhsa_exception_fp_ieee_inexact 0
		.amdhsa_exception_int_div_zero 0
	.end_amdhsa_kernel
	.section	.text._ZN7rocprim17ROCPRIM_400000_NS6detail17trampoline_kernelINS0_14default_configENS1_35radix_sort_onesweep_config_selectorIdNS0_10empty_typeEEEZZNS1_29radix_sort_onesweep_iterationIS3_Lb0EPKdPdPS5_SB_mNS0_19identity_decomposerENS1_16block_id_wrapperIjLb0EEEEE10hipError_tT1_PNSt15iterator_traitsISG_E10value_typeET2_T3_PNSH_ISM_E10value_typeET4_T5_PSR_SS_PNS1_23onesweep_lookback_stateEbbT6_jjT7_P12ihipStream_tbENKUlT_T0_SG_SL_E_clISA_SA_SB_SB_EEDaSZ_S10_SG_SL_EUlSZ_E_NS1_11comp_targetILNS1_3genE4ELNS1_11target_archE910ELNS1_3gpuE8ELNS1_3repE0EEENS1_47radix_sort_onesweep_sort_config_static_selectorELNS0_4arch9wavefront6targetE0EEEvSG_,"axG",@progbits,_ZN7rocprim17ROCPRIM_400000_NS6detail17trampoline_kernelINS0_14default_configENS1_35radix_sort_onesweep_config_selectorIdNS0_10empty_typeEEEZZNS1_29radix_sort_onesweep_iterationIS3_Lb0EPKdPdPS5_SB_mNS0_19identity_decomposerENS1_16block_id_wrapperIjLb0EEEEE10hipError_tT1_PNSt15iterator_traitsISG_E10value_typeET2_T3_PNSH_ISM_E10value_typeET4_T5_PSR_SS_PNS1_23onesweep_lookback_stateEbbT6_jjT7_P12ihipStream_tbENKUlT_T0_SG_SL_E_clISA_SA_SB_SB_EEDaSZ_S10_SG_SL_EUlSZ_E_NS1_11comp_targetILNS1_3genE4ELNS1_11target_archE910ELNS1_3gpuE8ELNS1_3repE0EEENS1_47radix_sort_onesweep_sort_config_static_selectorELNS0_4arch9wavefront6targetE0EEEvSG_,comdat
.Lfunc_end1636:
	.size	_ZN7rocprim17ROCPRIM_400000_NS6detail17trampoline_kernelINS0_14default_configENS1_35radix_sort_onesweep_config_selectorIdNS0_10empty_typeEEEZZNS1_29radix_sort_onesweep_iterationIS3_Lb0EPKdPdPS5_SB_mNS0_19identity_decomposerENS1_16block_id_wrapperIjLb0EEEEE10hipError_tT1_PNSt15iterator_traitsISG_E10value_typeET2_T3_PNSH_ISM_E10value_typeET4_T5_PSR_SS_PNS1_23onesweep_lookback_stateEbbT6_jjT7_P12ihipStream_tbENKUlT_T0_SG_SL_E_clISA_SA_SB_SB_EEDaSZ_S10_SG_SL_EUlSZ_E_NS1_11comp_targetILNS1_3genE4ELNS1_11target_archE910ELNS1_3gpuE8ELNS1_3repE0EEENS1_47radix_sort_onesweep_sort_config_static_selectorELNS0_4arch9wavefront6targetE0EEEvSG_, .Lfunc_end1636-_ZN7rocprim17ROCPRIM_400000_NS6detail17trampoline_kernelINS0_14default_configENS1_35radix_sort_onesweep_config_selectorIdNS0_10empty_typeEEEZZNS1_29radix_sort_onesweep_iterationIS3_Lb0EPKdPdPS5_SB_mNS0_19identity_decomposerENS1_16block_id_wrapperIjLb0EEEEE10hipError_tT1_PNSt15iterator_traitsISG_E10value_typeET2_T3_PNSH_ISM_E10value_typeET4_T5_PSR_SS_PNS1_23onesweep_lookback_stateEbbT6_jjT7_P12ihipStream_tbENKUlT_T0_SG_SL_E_clISA_SA_SB_SB_EEDaSZ_S10_SG_SL_EUlSZ_E_NS1_11comp_targetILNS1_3genE4ELNS1_11target_archE910ELNS1_3gpuE8ELNS1_3repE0EEENS1_47radix_sort_onesweep_sort_config_static_selectorELNS0_4arch9wavefront6targetE0EEEvSG_
                                        ; -- End function
	.set _ZN7rocprim17ROCPRIM_400000_NS6detail17trampoline_kernelINS0_14default_configENS1_35radix_sort_onesweep_config_selectorIdNS0_10empty_typeEEEZZNS1_29radix_sort_onesweep_iterationIS3_Lb0EPKdPdPS5_SB_mNS0_19identity_decomposerENS1_16block_id_wrapperIjLb0EEEEE10hipError_tT1_PNSt15iterator_traitsISG_E10value_typeET2_T3_PNSH_ISM_E10value_typeET4_T5_PSR_SS_PNS1_23onesweep_lookback_stateEbbT6_jjT7_P12ihipStream_tbENKUlT_T0_SG_SL_E_clISA_SA_SB_SB_EEDaSZ_S10_SG_SL_EUlSZ_E_NS1_11comp_targetILNS1_3genE4ELNS1_11target_archE910ELNS1_3gpuE8ELNS1_3repE0EEENS1_47radix_sort_onesweep_sort_config_static_selectorELNS0_4arch9wavefront6targetE0EEEvSG_.num_vgpr, 0
	.set _ZN7rocprim17ROCPRIM_400000_NS6detail17trampoline_kernelINS0_14default_configENS1_35radix_sort_onesweep_config_selectorIdNS0_10empty_typeEEEZZNS1_29radix_sort_onesweep_iterationIS3_Lb0EPKdPdPS5_SB_mNS0_19identity_decomposerENS1_16block_id_wrapperIjLb0EEEEE10hipError_tT1_PNSt15iterator_traitsISG_E10value_typeET2_T3_PNSH_ISM_E10value_typeET4_T5_PSR_SS_PNS1_23onesweep_lookback_stateEbbT6_jjT7_P12ihipStream_tbENKUlT_T0_SG_SL_E_clISA_SA_SB_SB_EEDaSZ_S10_SG_SL_EUlSZ_E_NS1_11comp_targetILNS1_3genE4ELNS1_11target_archE910ELNS1_3gpuE8ELNS1_3repE0EEENS1_47radix_sort_onesweep_sort_config_static_selectorELNS0_4arch9wavefront6targetE0EEEvSG_.num_agpr, 0
	.set _ZN7rocprim17ROCPRIM_400000_NS6detail17trampoline_kernelINS0_14default_configENS1_35radix_sort_onesweep_config_selectorIdNS0_10empty_typeEEEZZNS1_29radix_sort_onesweep_iterationIS3_Lb0EPKdPdPS5_SB_mNS0_19identity_decomposerENS1_16block_id_wrapperIjLb0EEEEE10hipError_tT1_PNSt15iterator_traitsISG_E10value_typeET2_T3_PNSH_ISM_E10value_typeET4_T5_PSR_SS_PNS1_23onesweep_lookback_stateEbbT6_jjT7_P12ihipStream_tbENKUlT_T0_SG_SL_E_clISA_SA_SB_SB_EEDaSZ_S10_SG_SL_EUlSZ_E_NS1_11comp_targetILNS1_3genE4ELNS1_11target_archE910ELNS1_3gpuE8ELNS1_3repE0EEENS1_47radix_sort_onesweep_sort_config_static_selectorELNS0_4arch9wavefront6targetE0EEEvSG_.numbered_sgpr, 0
	.set _ZN7rocprim17ROCPRIM_400000_NS6detail17trampoline_kernelINS0_14default_configENS1_35radix_sort_onesweep_config_selectorIdNS0_10empty_typeEEEZZNS1_29radix_sort_onesweep_iterationIS3_Lb0EPKdPdPS5_SB_mNS0_19identity_decomposerENS1_16block_id_wrapperIjLb0EEEEE10hipError_tT1_PNSt15iterator_traitsISG_E10value_typeET2_T3_PNSH_ISM_E10value_typeET4_T5_PSR_SS_PNS1_23onesweep_lookback_stateEbbT6_jjT7_P12ihipStream_tbENKUlT_T0_SG_SL_E_clISA_SA_SB_SB_EEDaSZ_S10_SG_SL_EUlSZ_E_NS1_11comp_targetILNS1_3genE4ELNS1_11target_archE910ELNS1_3gpuE8ELNS1_3repE0EEENS1_47radix_sort_onesweep_sort_config_static_selectorELNS0_4arch9wavefront6targetE0EEEvSG_.num_named_barrier, 0
	.set _ZN7rocprim17ROCPRIM_400000_NS6detail17trampoline_kernelINS0_14default_configENS1_35radix_sort_onesweep_config_selectorIdNS0_10empty_typeEEEZZNS1_29radix_sort_onesweep_iterationIS3_Lb0EPKdPdPS5_SB_mNS0_19identity_decomposerENS1_16block_id_wrapperIjLb0EEEEE10hipError_tT1_PNSt15iterator_traitsISG_E10value_typeET2_T3_PNSH_ISM_E10value_typeET4_T5_PSR_SS_PNS1_23onesweep_lookback_stateEbbT6_jjT7_P12ihipStream_tbENKUlT_T0_SG_SL_E_clISA_SA_SB_SB_EEDaSZ_S10_SG_SL_EUlSZ_E_NS1_11comp_targetILNS1_3genE4ELNS1_11target_archE910ELNS1_3gpuE8ELNS1_3repE0EEENS1_47radix_sort_onesweep_sort_config_static_selectorELNS0_4arch9wavefront6targetE0EEEvSG_.private_seg_size, 0
	.set _ZN7rocprim17ROCPRIM_400000_NS6detail17trampoline_kernelINS0_14default_configENS1_35radix_sort_onesweep_config_selectorIdNS0_10empty_typeEEEZZNS1_29radix_sort_onesweep_iterationIS3_Lb0EPKdPdPS5_SB_mNS0_19identity_decomposerENS1_16block_id_wrapperIjLb0EEEEE10hipError_tT1_PNSt15iterator_traitsISG_E10value_typeET2_T3_PNSH_ISM_E10value_typeET4_T5_PSR_SS_PNS1_23onesweep_lookback_stateEbbT6_jjT7_P12ihipStream_tbENKUlT_T0_SG_SL_E_clISA_SA_SB_SB_EEDaSZ_S10_SG_SL_EUlSZ_E_NS1_11comp_targetILNS1_3genE4ELNS1_11target_archE910ELNS1_3gpuE8ELNS1_3repE0EEENS1_47radix_sort_onesweep_sort_config_static_selectorELNS0_4arch9wavefront6targetE0EEEvSG_.uses_vcc, 0
	.set _ZN7rocprim17ROCPRIM_400000_NS6detail17trampoline_kernelINS0_14default_configENS1_35radix_sort_onesweep_config_selectorIdNS0_10empty_typeEEEZZNS1_29radix_sort_onesweep_iterationIS3_Lb0EPKdPdPS5_SB_mNS0_19identity_decomposerENS1_16block_id_wrapperIjLb0EEEEE10hipError_tT1_PNSt15iterator_traitsISG_E10value_typeET2_T3_PNSH_ISM_E10value_typeET4_T5_PSR_SS_PNS1_23onesweep_lookback_stateEbbT6_jjT7_P12ihipStream_tbENKUlT_T0_SG_SL_E_clISA_SA_SB_SB_EEDaSZ_S10_SG_SL_EUlSZ_E_NS1_11comp_targetILNS1_3genE4ELNS1_11target_archE910ELNS1_3gpuE8ELNS1_3repE0EEENS1_47radix_sort_onesweep_sort_config_static_selectorELNS0_4arch9wavefront6targetE0EEEvSG_.uses_flat_scratch, 0
	.set _ZN7rocprim17ROCPRIM_400000_NS6detail17trampoline_kernelINS0_14default_configENS1_35radix_sort_onesweep_config_selectorIdNS0_10empty_typeEEEZZNS1_29radix_sort_onesweep_iterationIS3_Lb0EPKdPdPS5_SB_mNS0_19identity_decomposerENS1_16block_id_wrapperIjLb0EEEEE10hipError_tT1_PNSt15iterator_traitsISG_E10value_typeET2_T3_PNSH_ISM_E10value_typeET4_T5_PSR_SS_PNS1_23onesweep_lookback_stateEbbT6_jjT7_P12ihipStream_tbENKUlT_T0_SG_SL_E_clISA_SA_SB_SB_EEDaSZ_S10_SG_SL_EUlSZ_E_NS1_11comp_targetILNS1_3genE4ELNS1_11target_archE910ELNS1_3gpuE8ELNS1_3repE0EEENS1_47radix_sort_onesweep_sort_config_static_selectorELNS0_4arch9wavefront6targetE0EEEvSG_.has_dyn_sized_stack, 0
	.set _ZN7rocprim17ROCPRIM_400000_NS6detail17trampoline_kernelINS0_14default_configENS1_35radix_sort_onesweep_config_selectorIdNS0_10empty_typeEEEZZNS1_29radix_sort_onesweep_iterationIS3_Lb0EPKdPdPS5_SB_mNS0_19identity_decomposerENS1_16block_id_wrapperIjLb0EEEEE10hipError_tT1_PNSt15iterator_traitsISG_E10value_typeET2_T3_PNSH_ISM_E10value_typeET4_T5_PSR_SS_PNS1_23onesweep_lookback_stateEbbT6_jjT7_P12ihipStream_tbENKUlT_T0_SG_SL_E_clISA_SA_SB_SB_EEDaSZ_S10_SG_SL_EUlSZ_E_NS1_11comp_targetILNS1_3genE4ELNS1_11target_archE910ELNS1_3gpuE8ELNS1_3repE0EEENS1_47radix_sort_onesweep_sort_config_static_selectorELNS0_4arch9wavefront6targetE0EEEvSG_.has_recursion, 0
	.set _ZN7rocprim17ROCPRIM_400000_NS6detail17trampoline_kernelINS0_14default_configENS1_35radix_sort_onesweep_config_selectorIdNS0_10empty_typeEEEZZNS1_29radix_sort_onesweep_iterationIS3_Lb0EPKdPdPS5_SB_mNS0_19identity_decomposerENS1_16block_id_wrapperIjLb0EEEEE10hipError_tT1_PNSt15iterator_traitsISG_E10value_typeET2_T3_PNSH_ISM_E10value_typeET4_T5_PSR_SS_PNS1_23onesweep_lookback_stateEbbT6_jjT7_P12ihipStream_tbENKUlT_T0_SG_SL_E_clISA_SA_SB_SB_EEDaSZ_S10_SG_SL_EUlSZ_E_NS1_11comp_targetILNS1_3genE4ELNS1_11target_archE910ELNS1_3gpuE8ELNS1_3repE0EEENS1_47radix_sort_onesweep_sort_config_static_selectorELNS0_4arch9wavefront6targetE0EEEvSG_.has_indirect_call, 0
	.section	.AMDGPU.csdata,"",@progbits
; Kernel info:
; codeLenInByte = 0
; TotalNumSgprs: 0
; NumVgprs: 0
; ScratchSize: 0
; MemoryBound: 0
; FloatMode: 240
; IeeeMode: 1
; LDSByteSize: 0 bytes/workgroup (compile time only)
; SGPRBlocks: 0
; VGPRBlocks: 0
; NumSGPRsForWavesPerEU: 1
; NumVGPRsForWavesPerEU: 1
; NamedBarCnt: 0
; Occupancy: 16
; WaveLimiterHint : 0
; COMPUTE_PGM_RSRC2:SCRATCH_EN: 0
; COMPUTE_PGM_RSRC2:USER_SGPR: 2
; COMPUTE_PGM_RSRC2:TRAP_HANDLER: 0
; COMPUTE_PGM_RSRC2:TGID_X_EN: 1
; COMPUTE_PGM_RSRC2:TGID_Y_EN: 0
; COMPUTE_PGM_RSRC2:TGID_Z_EN: 0
; COMPUTE_PGM_RSRC2:TIDIG_COMP_CNT: 0
	.section	.text._ZN7rocprim17ROCPRIM_400000_NS6detail17trampoline_kernelINS0_14default_configENS1_35radix_sort_onesweep_config_selectorIdNS0_10empty_typeEEEZZNS1_29radix_sort_onesweep_iterationIS3_Lb0EPKdPdPS5_SB_mNS0_19identity_decomposerENS1_16block_id_wrapperIjLb0EEEEE10hipError_tT1_PNSt15iterator_traitsISG_E10value_typeET2_T3_PNSH_ISM_E10value_typeET4_T5_PSR_SS_PNS1_23onesweep_lookback_stateEbbT6_jjT7_P12ihipStream_tbENKUlT_T0_SG_SL_E_clISA_SA_SB_SB_EEDaSZ_S10_SG_SL_EUlSZ_E_NS1_11comp_targetILNS1_3genE3ELNS1_11target_archE908ELNS1_3gpuE7ELNS1_3repE0EEENS1_47radix_sort_onesweep_sort_config_static_selectorELNS0_4arch9wavefront6targetE0EEEvSG_,"axG",@progbits,_ZN7rocprim17ROCPRIM_400000_NS6detail17trampoline_kernelINS0_14default_configENS1_35radix_sort_onesweep_config_selectorIdNS0_10empty_typeEEEZZNS1_29radix_sort_onesweep_iterationIS3_Lb0EPKdPdPS5_SB_mNS0_19identity_decomposerENS1_16block_id_wrapperIjLb0EEEEE10hipError_tT1_PNSt15iterator_traitsISG_E10value_typeET2_T3_PNSH_ISM_E10value_typeET4_T5_PSR_SS_PNS1_23onesweep_lookback_stateEbbT6_jjT7_P12ihipStream_tbENKUlT_T0_SG_SL_E_clISA_SA_SB_SB_EEDaSZ_S10_SG_SL_EUlSZ_E_NS1_11comp_targetILNS1_3genE3ELNS1_11target_archE908ELNS1_3gpuE7ELNS1_3repE0EEENS1_47radix_sort_onesweep_sort_config_static_selectorELNS0_4arch9wavefront6targetE0EEEvSG_,comdat
	.protected	_ZN7rocprim17ROCPRIM_400000_NS6detail17trampoline_kernelINS0_14default_configENS1_35radix_sort_onesweep_config_selectorIdNS0_10empty_typeEEEZZNS1_29radix_sort_onesweep_iterationIS3_Lb0EPKdPdPS5_SB_mNS0_19identity_decomposerENS1_16block_id_wrapperIjLb0EEEEE10hipError_tT1_PNSt15iterator_traitsISG_E10value_typeET2_T3_PNSH_ISM_E10value_typeET4_T5_PSR_SS_PNS1_23onesweep_lookback_stateEbbT6_jjT7_P12ihipStream_tbENKUlT_T0_SG_SL_E_clISA_SA_SB_SB_EEDaSZ_S10_SG_SL_EUlSZ_E_NS1_11comp_targetILNS1_3genE3ELNS1_11target_archE908ELNS1_3gpuE7ELNS1_3repE0EEENS1_47radix_sort_onesweep_sort_config_static_selectorELNS0_4arch9wavefront6targetE0EEEvSG_ ; -- Begin function _ZN7rocprim17ROCPRIM_400000_NS6detail17trampoline_kernelINS0_14default_configENS1_35radix_sort_onesweep_config_selectorIdNS0_10empty_typeEEEZZNS1_29radix_sort_onesweep_iterationIS3_Lb0EPKdPdPS5_SB_mNS0_19identity_decomposerENS1_16block_id_wrapperIjLb0EEEEE10hipError_tT1_PNSt15iterator_traitsISG_E10value_typeET2_T3_PNSH_ISM_E10value_typeET4_T5_PSR_SS_PNS1_23onesweep_lookback_stateEbbT6_jjT7_P12ihipStream_tbENKUlT_T0_SG_SL_E_clISA_SA_SB_SB_EEDaSZ_S10_SG_SL_EUlSZ_E_NS1_11comp_targetILNS1_3genE3ELNS1_11target_archE908ELNS1_3gpuE7ELNS1_3repE0EEENS1_47radix_sort_onesweep_sort_config_static_selectorELNS0_4arch9wavefront6targetE0EEEvSG_
	.globl	_ZN7rocprim17ROCPRIM_400000_NS6detail17trampoline_kernelINS0_14default_configENS1_35radix_sort_onesweep_config_selectorIdNS0_10empty_typeEEEZZNS1_29radix_sort_onesweep_iterationIS3_Lb0EPKdPdPS5_SB_mNS0_19identity_decomposerENS1_16block_id_wrapperIjLb0EEEEE10hipError_tT1_PNSt15iterator_traitsISG_E10value_typeET2_T3_PNSH_ISM_E10value_typeET4_T5_PSR_SS_PNS1_23onesweep_lookback_stateEbbT6_jjT7_P12ihipStream_tbENKUlT_T0_SG_SL_E_clISA_SA_SB_SB_EEDaSZ_S10_SG_SL_EUlSZ_E_NS1_11comp_targetILNS1_3genE3ELNS1_11target_archE908ELNS1_3gpuE7ELNS1_3repE0EEENS1_47radix_sort_onesweep_sort_config_static_selectorELNS0_4arch9wavefront6targetE0EEEvSG_
	.p2align	8
	.type	_ZN7rocprim17ROCPRIM_400000_NS6detail17trampoline_kernelINS0_14default_configENS1_35radix_sort_onesweep_config_selectorIdNS0_10empty_typeEEEZZNS1_29radix_sort_onesweep_iterationIS3_Lb0EPKdPdPS5_SB_mNS0_19identity_decomposerENS1_16block_id_wrapperIjLb0EEEEE10hipError_tT1_PNSt15iterator_traitsISG_E10value_typeET2_T3_PNSH_ISM_E10value_typeET4_T5_PSR_SS_PNS1_23onesweep_lookback_stateEbbT6_jjT7_P12ihipStream_tbENKUlT_T0_SG_SL_E_clISA_SA_SB_SB_EEDaSZ_S10_SG_SL_EUlSZ_E_NS1_11comp_targetILNS1_3genE3ELNS1_11target_archE908ELNS1_3gpuE7ELNS1_3repE0EEENS1_47radix_sort_onesweep_sort_config_static_selectorELNS0_4arch9wavefront6targetE0EEEvSG_,@function
_ZN7rocprim17ROCPRIM_400000_NS6detail17trampoline_kernelINS0_14default_configENS1_35radix_sort_onesweep_config_selectorIdNS0_10empty_typeEEEZZNS1_29radix_sort_onesweep_iterationIS3_Lb0EPKdPdPS5_SB_mNS0_19identity_decomposerENS1_16block_id_wrapperIjLb0EEEEE10hipError_tT1_PNSt15iterator_traitsISG_E10value_typeET2_T3_PNSH_ISM_E10value_typeET4_T5_PSR_SS_PNS1_23onesweep_lookback_stateEbbT6_jjT7_P12ihipStream_tbENKUlT_T0_SG_SL_E_clISA_SA_SB_SB_EEDaSZ_S10_SG_SL_EUlSZ_E_NS1_11comp_targetILNS1_3genE3ELNS1_11target_archE908ELNS1_3gpuE7ELNS1_3repE0EEENS1_47radix_sort_onesweep_sort_config_static_selectorELNS0_4arch9wavefront6targetE0EEEvSG_: ; @_ZN7rocprim17ROCPRIM_400000_NS6detail17trampoline_kernelINS0_14default_configENS1_35radix_sort_onesweep_config_selectorIdNS0_10empty_typeEEEZZNS1_29radix_sort_onesweep_iterationIS3_Lb0EPKdPdPS5_SB_mNS0_19identity_decomposerENS1_16block_id_wrapperIjLb0EEEEE10hipError_tT1_PNSt15iterator_traitsISG_E10value_typeET2_T3_PNSH_ISM_E10value_typeET4_T5_PSR_SS_PNS1_23onesweep_lookback_stateEbbT6_jjT7_P12ihipStream_tbENKUlT_T0_SG_SL_E_clISA_SA_SB_SB_EEDaSZ_S10_SG_SL_EUlSZ_E_NS1_11comp_targetILNS1_3genE3ELNS1_11target_archE908ELNS1_3gpuE7ELNS1_3repE0EEENS1_47radix_sort_onesweep_sort_config_static_selectorELNS0_4arch9wavefront6targetE0EEEvSG_
; %bb.0:
	.section	.rodata,"a",@progbits
	.p2align	6, 0x0
	.amdhsa_kernel _ZN7rocprim17ROCPRIM_400000_NS6detail17trampoline_kernelINS0_14default_configENS1_35radix_sort_onesweep_config_selectorIdNS0_10empty_typeEEEZZNS1_29radix_sort_onesweep_iterationIS3_Lb0EPKdPdPS5_SB_mNS0_19identity_decomposerENS1_16block_id_wrapperIjLb0EEEEE10hipError_tT1_PNSt15iterator_traitsISG_E10value_typeET2_T3_PNSH_ISM_E10value_typeET4_T5_PSR_SS_PNS1_23onesweep_lookback_stateEbbT6_jjT7_P12ihipStream_tbENKUlT_T0_SG_SL_E_clISA_SA_SB_SB_EEDaSZ_S10_SG_SL_EUlSZ_E_NS1_11comp_targetILNS1_3genE3ELNS1_11target_archE908ELNS1_3gpuE7ELNS1_3repE0EEENS1_47radix_sort_onesweep_sort_config_static_selectorELNS0_4arch9wavefront6targetE0EEEvSG_
		.amdhsa_group_segment_fixed_size 0
		.amdhsa_private_segment_fixed_size 0
		.amdhsa_kernarg_size 88
		.amdhsa_user_sgpr_count 2
		.amdhsa_user_sgpr_dispatch_ptr 0
		.amdhsa_user_sgpr_queue_ptr 0
		.amdhsa_user_sgpr_kernarg_segment_ptr 1
		.amdhsa_user_sgpr_dispatch_id 0
		.amdhsa_user_sgpr_kernarg_preload_length 0
		.amdhsa_user_sgpr_kernarg_preload_offset 0
		.amdhsa_user_sgpr_private_segment_size 0
		.amdhsa_wavefront_size32 1
		.amdhsa_uses_dynamic_stack 0
		.amdhsa_enable_private_segment 0
		.amdhsa_system_sgpr_workgroup_id_x 1
		.amdhsa_system_sgpr_workgroup_id_y 0
		.amdhsa_system_sgpr_workgroup_id_z 0
		.amdhsa_system_sgpr_workgroup_info 0
		.amdhsa_system_vgpr_workitem_id 0
		.amdhsa_next_free_vgpr 1
		.amdhsa_next_free_sgpr 1
		.amdhsa_named_barrier_count 0
		.amdhsa_reserve_vcc 0
		.amdhsa_float_round_mode_32 0
		.amdhsa_float_round_mode_16_64 0
		.amdhsa_float_denorm_mode_32 3
		.amdhsa_float_denorm_mode_16_64 3
		.amdhsa_fp16_overflow 0
		.amdhsa_memory_ordered 1
		.amdhsa_forward_progress 1
		.amdhsa_inst_pref_size 0
		.amdhsa_round_robin_scheduling 0
		.amdhsa_exception_fp_ieee_invalid_op 0
		.amdhsa_exception_fp_denorm_src 0
		.amdhsa_exception_fp_ieee_div_zero 0
		.amdhsa_exception_fp_ieee_overflow 0
		.amdhsa_exception_fp_ieee_underflow 0
		.amdhsa_exception_fp_ieee_inexact 0
		.amdhsa_exception_int_div_zero 0
	.end_amdhsa_kernel
	.section	.text._ZN7rocprim17ROCPRIM_400000_NS6detail17trampoline_kernelINS0_14default_configENS1_35radix_sort_onesweep_config_selectorIdNS0_10empty_typeEEEZZNS1_29radix_sort_onesweep_iterationIS3_Lb0EPKdPdPS5_SB_mNS0_19identity_decomposerENS1_16block_id_wrapperIjLb0EEEEE10hipError_tT1_PNSt15iterator_traitsISG_E10value_typeET2_T3_PNSH_ISM_E10value_typeET4_T5_PSR_SS_PNS1_23onesweep_lookback_stateEbbT6_jjT7_P12ihipStream_tbENKUlT_T0_SG_SL_E_clISA_SA_SB_SB_EEDaSZ_S10_SG_SL_EUlSZ_E_NS1_11comp_targetILNS1_3genE3ELNS1_11target_archE908ELNS1_3gpuE7ELNS1_3repE0EEENS1_47radix_sort_onesweep_sort_config_static_selectorELNS0_4arch9wavefront6targetE0EEEvSG_,"axG",@progbits,_ZN7rocprim17ROCPRIM_400000_NS6detail17trampoline_kernelINS0_14default_configENS1_35radix_sort_onesweep_config_selectorIdNS0_10empty_typeEEEZZNS1_29radix_sort_onesweep_iterationIS3_Lb0EPKdPdPS5_SB_mNS0_19identity_decomposerENS1_16block_id_wrapperIjLb0EEEEE10hipError_tT1_PNSt15iterator_traitsISG_E10value_typeET2_T3_PNSH_ISM_E10value_typeET4_T5_PSR_SS_PNS1_23onesweep_lookback_stateEbbT6_jjT7_P12ihipStream_tbENKUlT_T0_SG_SL_E_clISA_SA_SB_SB_EEDaSZ_S10_SG_SL_EUlSZ_E_NS1_11comp_targetILNS1_3genE3ELNS1_11target_archE908ELNS1_3gpuE7ELNS1_3repE0EEENS1_47radix_sort_onesweep_sort_config_static_selectorELNS0_4arch9wavefront6targetE0EEEvSG_,comdat
.Lfunc_end1637:
	.size	_ZN7rocprim17ROCPRIM_400000_NS6detail17trampoline_kernelINS0_14default_configENS1_35radix_sort_onesweep_config_selectorIdNS0_10empty_typeEEEZZNS1_29radix_sort_onesweep_iterationIS3_Lb0EPKdPdPS5_SB_mNS0_19identity_decomposerENS1_16block_id_wrapperIjLb0EEEEE10hipError_tT1_PNSt15iterator_traitsISG_E10value_typeET2_T3_PNSH_ISM_E10value_typeET4_T5_PSR_SS_PNS1_23onesweep_lookback_stateEbbT6_jjT7_P12ihipStream_tbENKUlT_T0_SG_SL_E_clISA_SA_SB_SB_EEDaSZ_S10_SG_SL_EUlSZ_E_NS1_11comp_targetILNS1_3genE3ELNS1_11target_archE908ELNS1_3gpuE7ELNS1_3repE0EEENS1_47radix_sort_onesweep_sort_config_static_selectorELNS0_4arch9wavefront6targetE0EEEvSG_, .Lfunc_end1637-_ZN7rocprim17ROCPRIM_400000_NS6detail17trampoline_kernelINS0_14default_configENS1_35radix_sort_onesweep_config_selectorIdNS0_10empty_typeEEEZZNS1_29radix_sort_onesweep_iterationIS3_Lb0EPKdPdPS5_SB_mNS0_19identity_decomposerENS1_16block_id_wrapperIjLb0EEEEE10hipError_tT1_PNSt15iterator_traitsISG_E10value_typeET2_T3_PNSH_ISM_E10value_typeET4_T5_PSR_SS_PNS1_23onesweep_lookback_stateEbbT6_jjT7_P12ihipStream_tbENKUlT_T0_SG_SL_E_clISA_SA_SB_SB_EEDaSZ_S10_SG_SL_EUlSZ_E_NS1_11comp_targetILNS1_3genE3ELNS1_11target_archE908ELNS1_3gpuE7ELNS1_3repE0EEENS1_47radix_sort_onesweep_sort_config_static_selectorELNS0_4arch9wavefront6targetE0EEEvSG_
                                        ; -- End function
	.set _ZN7rocprim17ROCPRIM_400000_NS6detail17trampoline_kernelINS0_14default_configENS1_35radix_sort_onesweep_config_selectorIdNS0_10empty_typeEEEZZNS1_29radix_sort_onesweep_iterationIS3_Lb0EPKdPdPS5_SB_mNS0_19identity_decomposerENS1_16block_id_wrapperIjLb0EEEEE10hipError_tT1_PNSt15iterator_traitsISG_E10value_typeET2_T3_PNSH_ISM_E10value_typeET4_T5_PSR_SS_PNS1_23onesweep_lookback_stateEbbT6_jjT7_P12ihipStream_tbENKUlT_T0_SG_SL_E_clISA_SA_SB_SB_EEDaSZ_S10_SG_SL_EUlSZ_E_NS1_11comp_targetILNS1_3genE3ELNS1_11target_archE908ELNS1_3gpuE7ELNS1_3repE0EEENS1_47radix_sort_onesweep_sort_config_static_selectorELNS0_4arch9wavefront6targetE0EEEvSG_.num_vgpr, 0
	.set _ZN7rocprim17ROCPRIM_400000_NS6detail17trampoline_kernelINS0_14default_configENS1_35radix_sort_onesweep_config_selectorIdNS0_10empty_typeEEEZZNS1_29radix_sort_onesweep_iterationIS3_Lb0EPKdPdPS5_SB_mNS0_19identity_decomposerENS1_16block_id_wrapperIjLb0EEEEE10hipError_tT1_PNSt15iterator_traitsISG_E10value_typeET2_T3_PNSH_ISM_E10value_typeET4_T5_PSR_SS_PNS1_23onesweep_lookback_stateEbbT6_jjT7_P12ihipStream_tbENKUlT_T0_SG_SL_E_clISA_SA_SB_SB_EEDaSZ_S10_SG_SL_EUlSZ_E_NS1_11comp_targetILNS1_3genE3ELNS1_11target_archE908ELNS1_3gpuE7ELNS1_3repE0EEENS1_47radix_sort_onesweep_sort_config_static_selectorELNS0_4arch9wavefront6targetE0EEEvSG_.num_agpr, 0
	.set _ZN7rocprim17ROCPRIM_400000_NS6detail17trampoline_kernelINS0_14default_configENS1_35radix_sort_onesweep_config_selectorIdNS0_10empty_typeEEEZZNS1_29radix_sort_onesweep_iterationIS3_Lb0EPKdPdPS5_SB_mNS0_19identity_decomposerENS1_16block_id_wrapperIjLb0EEEEE10hipError_tT1_PNSt15iterator_traitsISG_E10value_typeET2_T3_PNSH_ISM_E10value_typeET4_T5_PSR_SS_PNS1_23onesweep_lookback_stateEbbT6_jjT7_P12ihipStream_tbENKUlT_T0_SG_SL_E_clISA_SA_SB_SB_EEDaSZ_S10_SG_SL_EUlSZ_E_NS1_11comp_targetILNS1_3genE3ELNS1_11target_archE908ELNS1_3gpuE7ELNS1_3repE0EEENS1_47radix_sort_onesweep_sort_config_static_selectorELNS0_4arch9wavefront6targetE0EEEvSG_.numbered_sgpr, 0
	.set _ZN7rocprim17ROCPRIM_400000_NS6detail17trampoline_kernelINS0_14default_configENS1_35radix_sort_onesweep_config_selectorIdNS0_10empty_typeEEEZZNS1_29radix_sort_onesweep_iterationIS3_Lb0EPKdPdPS5_SB_mNS0_19identity_decomposerENS1_16block_id_wrapperIjLb0EEEEE10hipError_tT1_PNSt15iterator_traitsISG_E10value_typeET2_T3_PNSH_ISM_E10value_typeET4_T5_PSR_SS_PNS1_23onesweep_lookback_stateEbbT6_jjT7_P12ihipStream_tbENKUlT_T0_SG_SL_E_clISA_SA_SB_SB_EEDaSZ_S10_SG_SL_EUlSZ_E_NS1_11comp_targetILNS1_3genE3ELNS1_11target_archE908ELNS1_3gpuE7ELNS1_3repE0EEENS1_47radix_sort_onesweep_sort_config_static_selectorELNS0_4arch9wavefront6targetE0EEEvSG_.num_named_barrier, 0
	.set _ZN7rocprim17ROCPRIM_400000_NS6detail17trampoline_kernelINS0_14default_configENS1_35radix_sort_onesweep_config_selectorIdNS0_10empty_typeEEEZZNS1_29radix_sort_onesweep_iterationIS3_Lb0EPKdPdPS5_SB_mNS0_19identity_decomposerENS1_16block_id_wrapperIjLb0EEEEE10hipError_tT1_PNSt15iterator_traitsISG_E10value_typeET2_T3_PNSH_ISM_E10value_typeET4_T5_PSR_SS_PNS1_23onesweep_lookback_stateEbbT6_jjT7_P12ihipStream_tbENKUlT_T0_SG_SL_E_clISA_SA_SB_SB_EEDaSZ_S10_SG_SL_EUlSZ_E_NS1_11comp_targetILNS1_3genE3ELNS1_11target_archE908ELNS1_3gpuE7ELNS1_3repE0EEENS1_47radix_sort_onesweep_sort_config_static_selectorELNS0_4arch9wavefront6targetE0EEEvSG_.private_seg_size, 0
	.set _ZN7rocprim17ROCPRIM_400000_NS6detail17trampoline_kernelINS0_14default_configENS1_35radix_sort_onesweep_config_selectorIdNS0_10empty_typeEEEZZNS1_29radix_sort_onesweep_iterationIS3_Lb0EPKdPdPS5_SB_mNS0_19identity_decomposerENS1_16block_id_wrapperIjLb0EEEEE10hipError_tT1_PNSt15iterator_traitsISG_E10value_typeET2_T3_PNSH_ISM_E10value_typeET4_T5_PSR_SS_PNS1_23onesweep_lookback_stateEbbT6_jjT7_P12ihipStream_tbENKUlT_T0_SG_SL_E_clISA_SA_SB_SB_EEDaSZ_S10_SG_SL_EUlSZ_E_NS1_11comp_targetILNS1_3genE3ELNS1_11target_archE908ELNS1_3gpuE7ELNS1_3repE0EEENS1_47radix_sort_onesweep_sort_config_static_selectorELNS0_4arch9wavefront6targetE0EEEvSG_.uses_vcc, 0
	.set _ZN7rocprim17ROCPRIM_400000_NS6detail17trampoline_kernelINS0_14default_configENS1_35radix_sort_onesweep_config_selectorIdNS0_10empty_typeEEEZZNS1_29radix_sort_onesweep_iterationIS3_Lb0EPKdPdPS5_SB_mNS0_19identity_decomposerENS1_16block_id_wrapperIjLb0EEEEE10hipError_tT1_PNSt15iterator_traitsISG_E10value_typeET2_T3_PNSH_ISM_E10value_typeET4_T5_PSR_SS_PNS1_23onesweep_lookback_stateEbbT6_jjT7_P12ihipStream_tbENKUlT_T0_SG_SL_E_clISA_SA_SB_SB_EEDaSZ_S10_SG_SL_EUlSZ_E_NS1_11comp_targetILNS1_3genE3ELNS1_11target_archE908ELNS1_3gpuE7ELNS1_3repE0EEENS1_47radix_sort_onesweep_sort_config_static_selectorELNS0_4arch9wavefront6targetE0EEEvSG_.uses_flat_scratch, 0
	.set _ZN7rocprim17ROCPRIM_400000_NS6detail17trampoline_kernelINS0_14default_configENS1_35radix_sort_onesweep_config_selectorIdNS0_10empty_typeEEEZZNS1_29radix_sort_onesweep_iterationIS3_Lb0EPKdPdPS5_SB_mNS0_19identity_decomposerENS1_16block_id_wrapperIjLb0EEEEE10hipError_tT1_PNSt15iterator_traitsISG_E10value_typeET2_T3_PNSH_ISM_E10value_typeET4_T5_PSR_SS_PNS1_23onesweep_lookback_stateEbbT6_jjT7_P12ihipStream_tbENKUlT_T0_SG_SL_E_clISA_SA_SB_SB_EEDaSZ_S10_SG_SL_EUlSZ_E_NS1_11comp_targetILNS1_3genE3ELNS1_11target_archE908ELNS1_3gpuE7ELNS1_3repE0EEENS1_47radix_sort_onesweep_sort_config_static_selectorELNS0_4arch9wavefront6targetE0EEEvSG_.has_dyn_sized_stack, 0
	.set _ZN7rocprim17ROCPRIM_400000_NS6detail17trampoline_kernelINS0_14default_configENS1_35radix_sort_onesweep_config_selectorIdNS0_10empty_typeEEEZZNS1_29radix_sort_onesweep_iterationIS3_Lb0EPKdPdPS5_SB_mNS0_19identity_decomposerENS1_16block_id_wrapperIjLb0EEEEE10hipError_tT1_PNSt15iterator_traitsISG_E10value_typeET2_T3_PNSH_ISM_E10value_typeET4_T5_PSR_SS_PNS1_23onesweep_lookback_stateEbbT6_jjT7_P12ihipStream_tbENKUlT_T0_SG_SL_E_clISA_SA_SB_SB_EEDaSZ_S10_SG_SL_EUlSZ_E_NS1_11comp_targetILNS1_3genE3ELNS1_11target_archE908ELNS1_3gpuE7ELNS1_3repE0EEENS1_47radix_sort_onesweep_sort_config_static_selectorELNS0_4arch9wavefront6targetE0EEEvSG_.has_recursion, 0
	.set _ZN7rocprim17ROCPRIM_400000_NS6detail17trampoline_kernelINS0_14default_configENS1_35radix_sort_onesweep_config_selectorIdNS0_10empty_typeEEEZZNS1_29radix_sort_onesweep_iterationIS3_Lb0EPKdPdPS5_SB_mNS0_19identity_decomposerENS1_16block_id_wrapperIjLb0EEEEE10hipError_tT1_PNSt15iterator_traitsISG_E10value_typeET2_T3_PNSH_ISM_E10value_typeET4_T5_PSR_SS_PNS1_23onesweep_lookback_stateEbbT6_jjT7_P12ihipStream_tbENKUlT_T0_SG_SL_E_clISA_SA_SB_SB_EEDaSZ_S10_SG_SL_EUlSZ_E_NS1_11comp_targetILNS1_3genE3ELNS1_11target_archE908ELNS1_3gpuE7ELNS1_3repE0EEENS1_47radix_sort_onesweep_sort_config_static_selectorELNS0_4arch9wavefront6targetE0EEEvSG_.has_indirect_call, 0
	.section	.AMDGPU.csdata,"",@progbits
; Kernel info:
; codeLenInByte = 0
; TotalNumSgprs: 0
; NumVgprs: 0
; ScratchSize: 0
; MemoryBound: 0
; FloatMode: 240
; IeeeMode: 1
; LDSByteSize: 0 bytes/workgroup (compile time only)
; SGPRBlocks: 0
; VGPRBlocks: 0
; NumSGPRsForWavesPerEU: 1
; NumVGPRsForWavesPerEU: 1
; NamedBarCnt: 0
; Occupancy: 16
; WaveLimiterHint : 0
; COMPUTE_PGM_RSRC2:SCRATCH_EN: 0
; COMPUTE_PGM_RSRC2:USER_SGPR: 2
; COMPUTE_PGM_RSRC2:TRAP_HANDLER: 0
; COMPUTE_PGM_RSRC2:TGID_X_EN: 1
; COMPUTE_PGM_RSRC2:TGID_Y_EN: 0
; COMPUTE_PGM_RSRC2:TGID_Z_EN: 0
; COMPUTE_PGM_RSRC2:TIDIG_COMP_CNT: 0
	.section	.text._ZN7rocprim17ROCPRIM_400000_NS6detail17trampoline_kernelINS0_14default_configENS1_35radix_sort_onesweep_config_selectorIdNS0_10empty_typeEEEZZNS1_29radix_sort_onesweep_iterationIS3_Lb0EPKdPdPS5_SB_mNS0_19identity_decomposerENS1_16block_id_wrapperIjLb0EEEEE10hipError_tT1_PNSt15iterator_traitsISG_E10value_typeET2_T3_PNSH_ISM_E10value_typeET4_T5_PSR_SS_PNS1_23onesweep_lookback_stateEbbT6_jjT7_P12ihipStream_tbENKUlT_T0_SG_SL_E_clISA_SA_SB_SB_EEDaSZ_S10_SG_SL_EUlSZ_E_NS1_11comp_targetILNS1_3genE10ELNS1_11target_archE1201ELNS1_3gpuE5ELNS1_3repE0EEENS1_47radix_sort_onesweep_sort_config_static_selectorELNS0_4arch9wavefront6targetE0EEEvSG_,"axG",@progbits,_ZN7rocprim17ROCPRIM_400000_NS6detail17trampoline_kernelINS0_14default_configENS1_35radix_sort_onesweep_config_selectorIdNS0_10empty_typeEEEZZNS1_29radix_sort_onesweep_iterationIS3_Lb0EPKdPdPS5_SB_mNS0_19identity_decomposerENS1_16block_id_wrapperIjLb0EEEEE10hipError_tT1_PNSt15iterator_traitsISG_E10value_typeET2_T3_PNSH_ISM_E10value_typeET4_T5_PSR_SS_PNS1_23onesweep_lookback_stateEbbT6_jjT7_P12ihipStream_tbENKUlT_T0_SG_SL_E_clISA_SA_SB_SB_EEDaSZ_S10_SG_SL_EUlSZ_E_NS1_11comp_targetILNS1_3genE10ELNS1_11target_archE1201ELNS1_3gpuE5ELNS1_3repE0EEENS1_47radix_sort_onesweep_sort_config_static_selectorELNS0_4arch9wavefront6targetE0EEEvSG_,comdat
	.protected	_ZN7rocprim17ROCPRIM_400000_NS6detail17trampoline_kernelINS0_14default_configENS1_35radix_sort_onesweep_config_selectorIdNS0_10empty_typeEEEZZNS1_29radix_sort_onesweep_iterationIS3_Lb0EPKdPdPS5_SB_mNS0_19identity_decomposerENS1_16block_id_wrapperIjLb0EEEEE10hipError_tT1_PNSt15iterator_traitsISG_E10value_typeET2_T3_PNSH_ISM_E10value_typeET4_T5_PSR_SS_PNS1_23onesweep_lookback_stateEbbT6_jjT7_P12ihipStream_tbENKUlT_T0_SG_SL_E_clISA_SA_SB_SB_EEDaSZ_S10_SG_SL_EUlSZ_E_NS1_11comp_targetILNS1_3genE10ELNS1_11target_archE1201ELNS1_3gpuE5ELNS1_3repE0EEENS1_47radix_sort_onesweep_sort_config_static_selectorELNS0_4arch9wavefront6targetE0EEEvSG_ ; -- Begin function _ZN7rocprim17ROCPRIM_400000_NS6detail17trampoline_kernelINS0_14default_configENS1_35radix_sort_onesweep_config_selectorIdNS0_10empty_typeEEEZZNS1_29radix_sort_onesweep_iterationIS3_Lb0EPKdPdPS5_SB_mNS0_19identity_decomposerENS1_16block_id_wrapperIjLb0EEEEE10hipError_tT1_PNSt15iterator_traitsISG_E10value_typeET2_T3_PNSH_ISM_E10value_typeET4_T5_PSR_SS_PNS1_23onesweep_lookback_stateEbbT6_jjT7_P12ihipStream_tbENKUlT_T0_SG_SL_E_clISA_SA_SB_SB_EEDaSZ_S10_SG_SL_EUlSZ_E_NS1_11comp_targetILNS1_3genE10ELNS1_11target_archE1201ELNS1_3gpuE5ELNS1_3repE0EEENS1_47radix_sort_onesweep_sort_config_static_selectorELNS0_4arch9wavefront6targetE0EEEvSG_
	.globl	_ZN7rocprim17ROCPRIM_400000_NS6detail17trampoline_kernelINS0_14default_configENS1_35radix_sort_onesweep_config_selectorIdNS0_10empty_typeEEEZZNS1_29radix_sort_onesweep_iterationIS3_Lb0EPKdPdPS5_SB_mNS0_19identity_decomposerENS1_16block_id_wrapperIjLb0EEEEE10hipError_tT1_PNSt15iterator_traitsISG_E10value_typeET2_T3_PNSH_ISM_E10value_typeET4_T5_PSR_SS_PNS1_23onesweep_lookback_stateEbbT6_jjT7_P12ihipStream_tbENKUlT_T0_SG_SL_E_clISA_SA_SB_SB_EEDaSZ_S10_SG_SL_EUlSZ_E_NS1_11comp_targetILNS1_3genE10ELNS1_11target_archE1201ELNS1_3gpuE5ELNS1_3repE0EEENS1_47radix_sort_onesweep_sort_config_static_selectorELNS0_4arch9wavefront6targetE0EEEvSG_
	.p2align	8
	.type	_ZN7rocprim17ROCPRIM_400000_NS6detail17trampoline_kernelINS0_14default_configENS1_35radix_sort_onesweep_config_selectorIdNS0_10empty_typeEEEZZNS1_29radix_sort_onesweep_iterationIS3_Lb0EPKdPdPS5_SB_mNS0_19identity_decomposerENS1_16block_id_wrapperIjLb0EEEEE10hipError_tT1_PNSt15iterator_traitsISG_E10value_typeET2_T3_PNSH_ISM_E10value_typeET4_T5_PSR_SS_PNS1_23onesweep_lookback_stateEbbT6_jjT7_P12ihipStream_tbENKUlT_T0_SG_SL_E_clISA_SA_SB_SB_EEDaSZ_S10_SG_SL_EUlSZ_E_NS1_11comp_targetILNS1_3genE10ELNS1_11target_archE1201ELNS1_3gpuE5ELNS1_3repE0EEENS1_47radix_sort_onesweep_sort_config_static_selectorELNS0_4arch9wavefront6targetE0EEEvSG_,@function
_ZN7rocprim17ROCPRIM_400000_NS6detail17trampoline_kernelINS0_14default_configENS1_35radix_sort_onesweep_config_selectorIdNS0_10empty_typeEEEZZNS1_29radix_sort_onesweep_iterationIS3_Lb0EPKdPdPS5_SB_mNS0_19identity_decomposerENS1_16block_id_wrapperIjLb0EEEEE10hipError_tT1_PNSt15iterator_traitsISG_E10value_typeET2_T3_PNSH_ISM_E10value_typeET4_T5_PSR_SS_PNS1_23onesweep_lookback_stateEbbT6_jjT7_P12ihipStream_tbENKUlT_T0_SG_SL_E_clISA_SA_SB_SB_EEDaSZ_S10_SG_SL_EUlSZ_E_NS1_11comp_targetILNS1_3genE10ELNS1_11target_archE1201ELNS1_3gpuE5ELNS1_3repE0EEENS1_47radix_sort_onesweep_sort_config_static_selectorELNS0_4arch9wavefront6targetE0EEEvSG_: ; @_ZN7rocprim17ROCPRIM_400000_NS6detail17trampoline_kernelINS0_14default_configENS1_35radix_sort_onesweep_config_selectorIdNS0_10empty_typeEEEZZNS1_29radix_sort_onesweep_iterationIS3_Lb0EPKdPdPS5_SB_mNS0_19identity_decomposerENS1_16block_id_wrapperIjLb0EEEEE10hipError_tT1_PNSt15iterator_traitsISG_E10value_typeET2_T3_PNSH_ISM_E10value_typeET4_T5_PSR_SS_PNS1_23onesweep_lookback_stateEbbT6_jjT7_P12ihipStream_tbENKUlT_T0_SG_SL_E_clISA_SA_SB_SB_EEDaSZ_S10_SG_SL_EUlSZ_E_NS1_11comp_targetILNS1_3genE10ELNS1_11target_archE1201ELNS1_3gpuE5ELNS1_3repE0EEENS1_47radix_sort_onesweep_sort_config_static_selectorELNS0_4arch9wavefront6targetE0EEEvSG_
; %bb.0:
	.section	.rodata,"a",@progbits
	.p2align	6, 0x0
	.amdhsa_kernel _ZN7rocprim17ROCPRIM_400000_NS6detail17trampoline_kernelINS0_14default_configENS1_35radix_sort_onesweep_config_selectorIdNS0_10empty_typeEEEZZNS1_29radix_sort_onesweep_iterationIS3_Lb0EPKdPdPS5_SB_mNS0_19identity_decomposerENS1_16block_id_wrapperIjLb0EEEEE10hipError_tT1_PNSt15iterator_traitsISG_E10value_typeET2_T3_PNSH_ISM_E10value_typeET4_T5_PSR_SS_PNS1_23onesweep_lookback_stateEbbT6_jjT7_P12ihipStream_tbENKUlT_T0_SG_SL_E_clISA_SA_SB_SB_EEDaSZ_S10_SG_SL_EUlSZ_E_NS1_11comp_targetILNS1_3genE10ELNS1_11target_archE1201ELNS1_3gpuE5ELNS1_3repE0EEENS1_47radix_sort_onesweep_sort_config_static_selectorELNS0_4arch9wavefront6targetE0EEEvSG_
		.amdhsa_group_segment_fixed_size 0
		.amdhsa_private_segment_fixed_size 0
		.amdhsa_kernarg_size 88
		.amdhsa_user_sgpr_count 2
		.amdhsa_user_sgpr_dispatch_ptr 0
		.amdhsa_user_sgpr_queue_ptr 0
		.amdhsa_user_sgpr_kernarg_segment_ptr 1
		.amdhsa_user_sgpr_dispatch_id 0
		.amdhsa_user_sgpr_kernarg_preload_length 0
		.amdhsa_user_sgpr_kernarg_preload_offset 0
		.amdhsa_user_sgpr_private_segment_size 0
		.amdhsa_wavefront_size32 1
		.amdhsa_uses_dynamic_stack 0
		.amdhsa_enable_private_segment 0
		.amdhsa_system_sgpr_workgroup_id_x 1
		.amdhsa_system_sgpr_workgroup_id_y 0
		.amdhsa_system_sgpr_workgroup_id_z 0
		.amdhsa_system_sgpr_workgroup_info 0
		.amdhsa_system_vgpr_workitem_id 0
		.amdhsa_next_free_vgpr 1
		.amdhsa_next_free_sgpr 1
		.amdhsa_named_barrier_count 0
		.amdhsa_reserve_vcc 0
		.amdhsa_float_round_mode_32 0
		.amdhsa_float_round_mode_16_64 0
		.amdhsa_float_denorm_mode_32 3
		.amdhsa_float_denorm_mode_16_64 3
		.amdhsa_fp16_overflow 0
		.amdhsa_memory_ordered 1
		.amdhsa_forward_progress 1
		.amdhsa_inst_pref_size 0
		.amdhsa_round_robin_scheduling 0
		.amdhsa_exception_fp_ieee_invalid_op 0
		.amdhsa_exception_fp_denorm_src 0
		.amdhsa_exception_fp_ieee_div_zero 0
		.amdhsa_exception_fp_ieee_overflow 0
		.amdhsa_exception_fp_ieee_underflow 0
		.amdhsa_exception_fp_ieee_inexact 0
		.amdhsa_exception_int_div_zero 0
	.end_amdhsa_kernel
	.section	.text._ZN7rocprim17ROCPRIM_400000_NS6detail17trampoline_kernelINS0_14default_configENS1_35radix_sort_onesweep_config_selectorIdNS0_10empty_typeEEEZZNS1_29radix_sort_onesweep_iterationIS3_Lb0EPKdPdPS5_SB_mNS0_19identity_decomposerENS1_16block_id_wrapperIjLb0EEEEE10hipError_tT1_PNSt15iterator_traitsISG_E10value_typeET2_T3_PNSH_ISM_E10value_typeET4_T5_PSR_SS_PNS1_23onesweep_lookback_stateEbbT6_jjT7_P12ihipStream_tbENKUlT_T0_SG_SL_E_clISA_SA_SB_SB_EEDaSZ_S10_SG_SL_EUlSZ_E_NS1_11comp_targetILNS1_3genE10ELNS1_11target_archE1201ELNS1_3gpuE5ELNS1_3repE0EEENS1_47radix_sort_onesweep_sort_config_static_selectorELNS0_4arch9wavefront6targetE0EEEvSG_,"axG",@progbits,_ZN7rocprim17ROCPRIM_400000_NS6detail17trampoline_kernelINS0_14default_configENS1_35radix_sort_onesweep_config_selectorIdNS0_10empty_typeEEEZZNS1_29radix_sort_onesweep_iterationIS3_Lb0EPKdPdPS5_SB_mNS0_19identity_decomposerENS1_16block_id_wrapperIjLb0EEEEE10hipError_tT1_PNSt15iterator_traitsISG_E10value_typeET2_T3_PNSH_ISM_E10value_typeET4_T5_PSR_SS_PNS1_23onesweep_lookback_stateEbbT6_jjT7_P12ihipStream_tbENKUlT_T0_SG_SL_E_clISA_SA_SB_SB_EEDaSZ_S10_SG_SL_EUlSZ_E_NS1_11comp_targetILNS1_3genE10ELNS1_11target_archE1201ELNS1_3gpuE5ELNS1_3repE0EEENS1_47radix_sort_onesweep_sort_config_static_selectorELNS0_4arch9wavefront6targetE0EEEvSG_,comdat
.Lfunc_end1638:
	.size	_ZN7rocprim17ROCPRIM_400000_NS6detail17trampoline_kernelINS0_14default_configENS1_35radix_sort_onesweep_config_selectorIdNS0_10empty_typeEEEZZNS1_29radix_sort_onesweep_iterationIS3_Lb0EPKdPdPS5_SB_mNS0_19identity_decomposerENS1_16block_id_wrapperIjLb0EEEEE10hipError_tT1_PNSt15iterator_traitsISG_E10value_typeET2_T3_PNSH_ISM_E10value_typeET4_T5_PSR_SS_PNS1_23onesweep_lookback_stateEbbT6_jjT7_P12ihipStream_tbENKUlT_T0_SG_SL_E_clISA_SA_SB_SB_EEDaSZ_S10_SG_SL_EUlSZ_E_NS1_11comp_targetILNS1_3genE10ELNS1_11target_archE1201ELNS1_3gpuE5ELNS1_3repE0EEENS1_47radix_sort_onesweep_sort_config_static_selectorELNS0_4arch9wavefront6targetE0EEEvSG_, .Lfunc_end1638-_ZN7rocprim17ROCPRIM_400000_NS6detail17trampoline_kernelINS0_14default_configENS1_35radix_sort_onesweep_config_selectorIdNS0_10empty_typeEEEZZNS1_29radix_sort_onesweep_iterationIS3_Lb0EPKdPdPS5_SB_mNS0_19identity_decomposerENS1_16block_id_wrapperIjLb0EEEEE10hipError_tT1_PNSt15iterator_traitsISG_E10value_typeET2_T3_PNSH_ISM_E10value_typeET4_T5_PSR_SS_PNS1_23onesweep_lookback_stateEbbT6_jjT7_P12ihipStream_tbENKUlT_T0_SG_SL_E_clISA_SA_SB_SB_EEDaSZ_S10_SG_SL_EUlSZ_E_NS1_11comp_targetILNS1_3genE10ELNS1_11target_archE1201ELNS1_3gpuE5ELNS1_3repE0EEENS1_47radix_sort_onesweep_sort_config_static_selectorELNS0_4arch9wavefront6targetE0EEEvSG_
                                        ; -- End function
	.set _ZN7rocprim17ROCPRIM_400000_NS6detail17trampoline_kernelINS0_14default_configENS1_35radix_sort_onesweep_config_selectorIdNS0_10empty_typeEEEZZNS1_29radix_sort_onesweep_iterationIS3_Lb0EPKdPdPS5_SB_mNS0_19identity_decomposerENS1_16block_id_wrapperIjLb0EEEEE10hipError_tT1_PNSt15iterator_traitsISG_E10value_typeET2_T3_PNSH_ISM_E10value_typeET4_T5_PSR_SS_PNS1_23onesweep_lookback_stateEbbT6_jjT7_P12ihipStream_tbENKUlT_T0_SG_SL_E_clISA_SA_SB_SB_EEDaSZ_S10_SG_SL_EUlSZ_E_NS1_11comp_targetILNS1_3genE10ELNS1_11target_archE1201ELNS1_3gpuE5ELNS1_3repE0EEENS1_47radix_sort_onesweep_sort_config_static_selectorELNS0_4arch9wavefront6targetE0EEEvSG_.num_vgpr, 0
	.set _ZN7rocprim17ROCPRIM_400000_NS6detail17trampoline_kernelINS0_14default_configENS1_35radix_sort_onesweep_config_selectorIdNS0_10empty_typeEEEZZNS1_29radix_sort_onesweep_iterationIS3_Lb0EPKdPdPS5_SB_mNS0_19identity_decomposerENS1_16block_id_wrapperIjLb0EEEEE10hipError_tT1_PNSt15iterator_traitsISG_E10value_typeET2_T3_PNSH_ISM_E10value_typeET4_T5_PSR_SS_PNS1_23onesweep_lookback_stateEbbT6_jjT7_P12ihipStream_tbENKUlT_T0_SG_SL_E_clISA_SA_SB_SB_EEDaSZ_S10_SG_SL_EUlSZ_E_NS1_11comp_targetILNS1_3genE10ELNS1_11target_archE1201ELNS1_3gpuE5ELNS1_3repE0EEENS1_47radix_sort_onesweep_sort_config_static_selectorELNS0_4arch9wavefront6targetE0EEEvSG_.num_agpr, 0
	.set _ZN7rocprim17ROCPRIM_400000_NS6detail17trampoline_kernelINS0_14default_configENS1_35radix_sort_onesweep_config_selectorIdNS0_10empty_typeEEEZZNS1_29radix_sort_onesweep_iterationIS3_Lb0EPKdPdPS5_SB_mNS0_19identity_decomposerENS1_16block_id_wrapperIjLb0EEEEE10hipError_tT1_PNSt15iterator_traitsISG_E10value_typeET2_T3_PNSH_ISM_E10value_typeET4_T5_PSR_SS_PNS1_23onesweep_lookback_stateEbbT6_jjT7_P12ihipStream_tbENKUlT_T0_SG_SL_E_clISA_SA_SB_SB_EEDaSZ_S10_SG_SL_EUlSZ_E_NS1_11comp_targetILNS1_3genE10ELNS1_11target_archE1201ELNS1_3gpuE5ELNS1_3repE0EEENS1_47radix_sort_onesweep_sort_config_static_selectorELNS0_4arch9wavefront6targetE0EEEvSG_.numbered_sgpr, 0
	.set _ZN7rocprim17ROCPRIM_400000_NS6detail17trampoline_kernelINS0_14default_configENS1_35radix_sort_onesweep_config_selectorIdNS0_10empty_typeEEEZZNS1_29radix_sort_onesweep_iterationIS3_Lb0EPKdPdPS5_SB_mNS0_19identity_decomposerENS1_16block_id_wrapperIjLb0EEEEE10hipError_tT1_PNSt15iterator_traitsISG_E10value_typeET2_T3_PNSH_ISM_E10value_typeET4_T5_PSR_SS_PNS1_23onesweep_lookback_stateEbbT6_jjT7_P12ihipStream_tbENKUlT_T0_SG_SL_E_clISA_SA_SB_SB_EEDaSZ_S10_SG_SL_EUlSZ_E_NS1_11comp_targetILNS1_3genE10ELNS1_11target_archE1201ELNS1_3gpuE5ELNS1_3repE0EEENS1_47radix_sort_onesweep_sort_config_static_selectorELNS0_4arch9wavefront6targetE0EEEvSG_.num_named_barrier, 0
	.set _ZN7rocprim17ROCPRIM_400000_NS6detail17trampoline_kernelINS0_14default_configENS1_35radix_sort_onesweep_config_selectorIdNS0_10empty_typeEEEZZNS1_29radix_sort_onesweep_iterationIS3_Lb0EPKdPdPS5_SB_mNS0_19identity_decomposerENS1_16block_id_wrapperIjLb0EEEEE10hipError_tT1_PNSt15iterator_traitsISG_E10value_typeET2_T3_PNSH_ISM_E10value_typeET4_T5_PSR_SS_PNS1_23onesweep_lookback_stateEbbT6_jjT7_P12ihipStream_tbENKUlT_T0_SG_SL_E_clISA_SA_SB_SB_EEDaSZ_S10_SG_SL_EUlSZ_E_NS1_11comp_targetILNS1_3genE10ELNS1_11target_archE1201ELNS1_3gpuE5ELNS1_3repE0EEENS1_47radix_sort_onesweep_sort_config_static_selectorELNS0_4arch9wavefront6targetE0EEEvSG_.private_seg_size, 0
	.set _ZN7rocprim17ROCPRIM_400000_NS6detail17trampoline_kernelINS0_14default_configENS1_35radix_sort_onesweep_config_selectorIdNS0_10empty_typeEEEZZNS1_29radix_sort_onesweep_iterationIS3_Lb0EPKdPdPS5_SB_mNS0_19identity_decomposerENS1_16block_id_wrapperIjLb0EEEEE10hipError_tT1_PNSt15iterator_traitsISG_E10value_typeET2_T3_PNSH_ISM_E10value_typeET4_T5_PSR_SS_PNS1_23onesweep_lookback_stateEbbT6_jjT7_P12ihipStream_tbENKUlT_T0_SG_SL_E_clISA_SA_SB_SB_EEDaSZ_S10_SG_SL_EUlSZ_E_NS1_11comp_targetILNS1_3genE10ELNS1_11target_archE1201ELNS1_3gpuE5ELNS1_3repE0EEENS1_47radix_sort_onesweep_sort_config_static_selectorELNS0_4arch9wavefront6targetE0EEEvSG_.uses_vcc, 0
	.set _ZN7rocprim17ROCPRIM_400000_NS6detail17trampoline_kernelINS0_14default_configENS1_35radix_sort_onesweep_config_selectorIdNS0_10empty_typeEEEZZNS1_29radix_sort_onesweep_iterationIS3_Lb0EPKdPdPS5_SB_mNS0_19identity_decomposerENS1_16block_id_wrapperIjLb0EEEEE10hipError_tT1_PNSt15iterator_traitsISG_E10value_typeET2_T3_PNSH_ISM_E10value_typeET4_T5_PSR_SS_PNS1_23onesweep_lookback_stateEbbT6_jjT7_P12ihipStream_tbENKUlT_T0_SG_SL_E_clISA_SA_SB_SB_EEDaSZ_S10_SG_SL_EUlSZ_E_NS1_11comp_targetILNS1_3genE10ELNS1_11target_archE1201ELNS1_3gpuE5ELNS1_3repE0EEENS1_47radix_sort_onesweep_sort_config_static_selectorELNS0_4arch9wavefront6targetE0EEEvSG_.uses_flat_scratch, 0
	.set _ZN7rocprim17ROCPRIM_400000_NS6detail17trampoline_kernelINS0_14default_configENS1_35radix_sort_onesweep_config_selectorIdNS0_10empty_typeEEEZZNS1_29radix_sort_onesweep_iterationIS3_Lb0EPKdPdPS5_SB_mNS0_19identity_decomposerENS1_16block_id_wrapperIjLb0EEEEE10hipError_tT1_PNSt15iterator_traitsISG_E10value_typeET2_T3_PNSH_ISM_E10value_typeET4_T5_PSR_SS_PNS1_23onesweep_lookback_stateEbbT6_jjT7_P12ihipStream_tbENKUlT_T0_SG_SL_E_clISA_SA_SB_SB_EEDaSZ_S10_SG_SL_EUlSZ_E_NS1_11comp_targetILNS1_3genE10ELNS1_11target_archE1201ELNS1_3gpuE5ELNS1_3repE0EEENS1_47radix_sort_onesweep_sort_config_static_selectorELNS0_4arch9wavefront6targetE0EEEvSG_.has_dyn_sized_stack, 0
	.set _ZN7rocprim17ROCPRIM_400000_NS6detail17trampoline_kernelINS0_14default_configENS1_35radix_sort_onesweep_config_selectorIdNS0_10empty_typeEEEZZNS1_29radix_sort_onesweep_iterationIS3_Lb0EPKdPdPS5_SB_mNS0_19identity_decomposerENS1_16block_id_wrapperIjLb0EEEEE10hipError_tT1_PNSt15iterator_traitsISG_E10value_typeET2_T3_PNSH_ISM_E10value_typeET4_T5_PSR_SS_PNS1_23onesweep_lookback_stateEbbT6_jjT7_P12ihipStream_tbENKUlT_T0_SG_SL_E_clISA_SA_SB_SB_EEDaSZ_S10_SG_SL_EUlSZ_E_NS1_11comp_targetILNS1_3genE10ELNS1_11target_archE1201ELNS1_3gpuE5ELNS1_3repE0EEENS1_47radix_sort_onesweep_sort_config_static_selectorELNS0_4arch9wavefront6targetE0EEEvSG_.has_recursion, 0
	.set _ZN7rocprim17ROCPRIM_400000_NS6detail17trampoline_kernelINS0_14default_configENS1_35radix_sort_onesweep_config_selectorIdNS0_10empty_typeEEEZZNS1_29radix_sort_onesweep_iterationIS3_Lb0EPKdPdPS5_SB_mNS0_19identity_decomposerENS1_16block_id_wrapperIjLb0EEEEE10hipError_tT1_PNSt15iterator_traitsISG_E10value_typeET2_T3_PNSH_ISM_E10value_typeET4_T5_PSR_SS_PNS1_23onesweep_lookback_stateEbbT6_jjT7_P12ihipStream_tbENKUlT_T0_SG_SL_E_clISA_SA_SB_SB_EEDaSZ_S10_SG_SL_EUlSZ_E_NS1_11comp_targetILNS1_3genE10ELNS1_11target_archE1201ELNS1_3gpuE5ELNS1_3repE0EEENS1_47radix_sort_onesweep_sort_config_static_selectorELNS0_4arch9wavefront6targetE0EEEvSG_.has_indirect_call, 0
	.section	.AMDGPU.csdata,"",@progbits
; Kernel info:
; codeLenInByte = 0
; TotalNumSgprs: 0
; NumVgprs: 0
; ScratchSize: 0
; MemoryBound: 0
; FloatMode: 240
; IeeeMode: 1
; LDSByteSize: 0 bytes/workgroup (compile time only)
; SGPRBlocks: 0
; VGPRBlocks: 0
; NumSGPRsForWavesPerEU: 1
; NumVGPRsForWavesPerEU: 1
; NamedBarCnt: 0
; Occupancy: 16
; WaveLimiterHint : 0
; COMPUTE_PGM_RSRC2:SCRATCH_EN: 0
; COMPUTE_PGM_RSRC2:USER_SGPR: 2
; COMPUTE_PGM_RSRC2:TRAP_HANDLER: 0
; COMPUTE_PGM_RSRC2:TGID_X_EN: 1
; COMPUTE_PGM_RSRC2:TGID_Y_EN: 0
; COMPUTE_PGM_RSRC2:TGID_Z_EN: 0
; COMPUTE_PGM_RSRC2:TIDIG_COMP_CNT: 0
	.section	.text._ZN7rocprim17ROCPRIM_400000_NS6detail17trampoline_kernelINS0_14default_configENS1_35radix_sort_onesweep_config_selectorIdNS0_10empty_typeEEEZZNS1_29radix_sort_onesweep_iterationIS3_Lb0EPKdPdPS5_SB_mNS0_19identity_decomposerENS1_16block_id_wrapperIjLb0EEEEE10hipError_tT1_PNSt15iterator_traitsISG_E10value_typeET2_T3_PNSH_ISM_E10value_typeET4_T5_PSR_SS_PNS1_23onesweep_lookback_stateEbbT6_jjT7_P12ihipStream_tbENKUlT_T0_SG_SL_E_clISA_SA_SB_SB_EEDaSZ_S10_SG_SL_EUlSZ_E_NS1_11comp_targetILNS1_3genE9ELNS1_11target_archE1100ELNS1_3gpuE3ELNS1_3repE0EEENS1_47radix_sort_onesweep_sort_config_static_selectorELNS0_4arch9wavefront6targetE0EEEvSG_,"axG",@progbits,_ZN7rocprim17ROCPRIM_400000_NS6detail17trampoline_kernelINS0_14default_configENS1_35radix_sort_onesweep_config_selectorIdNS0_10empty_typeEEEZZNS1_29radix_sort_onesweep_iterationIS3_Lb0EPKdPdPS5_SB_mNS0_19identity_decomposerENS1_16block_id_wrapperIjLb0EEEEE10hipError_tT1_PNSt15iterator_traitsISG_E10value_typeET2_T3_PNSH_ISM_E10value_typeET4_T5_PSR_SS_PNS1_23onesweep_lookback_stateEbbT6_jjT7_P12ihipStream_tbENKUlT_T0_SG_SL_E_clISA_SA_SB_SB_EEDaSZ_S10_SG_SL_EUlSZ_E_NS1_11comp_targetILNS1_3genE9ELNS1_11target_archE1100ELNS1_3gpuE3ELNS1_3repE0EEENS1_47radix_sort_onesweep_sort_config_static_selectorELNS0_4arch9wavefront6targetE0EEEvSG_,comdat
	.protected	_ZN7rocprim17ROCPRIM_400000_NS6detail17trampoline_kernelINS0_14default_configENS1_35radix_sort_onesweep_config_selectorIdNS0_10empty_typeEEEZZNS1_29radix_sort_onesweep_iterationIS3_Lb0EPKdPdPS5_SB_mNS0_19identity_decomposerENS1_16block_id_wrapperIjLb0EEEEE10hipError_tT1_PNSt15iterator_traitsISG_E10value_typeET2_T3_PNSH_ISM_E10value_typeET4_T5_PSR_SS_PNS1_23onesweep_lookback_stateEbbT6_jjT7_P12ihipStream_tbENKUlT_T0_SG_SL_E_clISA_SA_SB_SB_EEDaSZ_S10_SG_SL_EUlSZ_E_NS1_11comp_targetILNS1_3genE9ELNS1_11target_archE1100ELNS1_3gpuE3ELNS1_3repE0EEENS1_47radix_sort_onesweep_sort_config_static_selectorELNS0_4arch9wavefront6targetE0EEEvSG_ ; -- Begin function _ZN7rocprim17ROCPRIM_400000_NS6detail17trampoline_kernelINS0_14default_configENS1_35radix_sort_onesweep_config_selectorIdNS0_10empty_typeEEEZZNS1_29radix_sort_onesweep_iterationIS3_Lb0EPKdPdPS5_SB_mNS0_19identity_decomposerENS1_16block_id_wrapperIjLb0EEEEE10hipError_tT1_PNSt15iterator_traitsISG_E10value_typeET2_T3_PNSH_ISM_E10value_typeET4_T5_PSR_SS_PNS1_23onesweep_lookback_stateEbbT6_jjT7_P12ihipStream_tbENKUlT_T0_SG_SL_E_clISA_SA_SB_SB_EEDaSZ_S10_SG_SL_EUlSZ_E_NS1_11comp_targetILNS1_3genE9ELNS1_11target_archE1100ELNS1_3gpuE3ELNS1_3repE0EEENS1_47radix_sort_onesweep_sort_config_static_selectorELNS0_4arch9wavefront6targetE0EEEvSG_
	.globl	_ZN7rocprim17ROCPRIM_400000_NS6detail17trampoline_kernelINS0_14default_configENS1_35radix_sort_onesweep_config_selectorIdNS0_10empty_typeEEEZZNS1_29radix_sort_onesweep_iterationIS3_Lb0EPKdPdPS5_SB_mNS0_19identity_decomposerENS1_16block_id_wrapperIjLb0EEEEE10hipError_tT1_PNSt15iterator_traitsISG_E10value_typeET2_T3_PNSH_ISM_E10value_typeET4_T5_PSR_SS_PNS1_23onesweep_lookback_stateEbbT6_jjT7_P12ihipStream_tbENKUlT_T0_SG_SL_E_clISA_SA_SB_SB_EEDaSZ_S10_SG_SL_EUlSZ_E_NS1_11comp_targetILNS1_3genE9ELNS1_11target_archE1100ELNS1_3gpuE3ELNS1_3repE0EEENS1_47radix_sort_onesweep_sort_config_static_selectorELNS0_4arch9wavefront6targetE0EEEvSG_
	.p2align	8
	.type	_ZN7rocprim17ROCPRIM_400000_NS6detail17trampoline_kernelINS0_14default_configENS1_35radix_sort_onesweep_config_selectorIdNS0_10empty_typeEEEZZNS1_29radix_sort_onesweep_iterationIS3_Lb0EPKdPdPS5_SB_mNS0_19identity_decomposerENS1_16block_id_wrapperIjLb0EEEEE10hipError_tT1_PNSt15iterator_traitsISG_E10value_typeET2_T3_PNSH_ISM_E10value_typeET4_T5_PSR_SS_PNS1_23onesweep_lookback_stateEbbT6_jjT7_P12ihipStream_tbENKUlT_T0_SG_SL_E_clISA_SA_SB_SB_EEDaSZ_S10_SG_SL_EUlSZ_E_NS1_11comp_targetILNS1_3genE9ELNS1_11target_archE1100ELNS1_3gpuE3ELNS1_3repE0EEENS1_47radix_sort_onesweep_sort_config_static_selectorELNS0_4arch9wavefront6targetE0EEEvSG_,@function
_ZN7rocprim17ROCPRIM_400000_NS6detail17trampoline_kernelINS0_14default_configENS1_35radix_sort_onesweep_config_selectorIdNS0_10empty_typeEEEZZNS1_29radix_sort_onesweep_iterationIS3_Lb0EPKdPdPS5_SB_mNS0_19identity_decomposerENS1_16block_id_wrapperIjLb0EEEEE10hipError_tT1_PNSt15iterator_traitsISG_E10value_typeET2_T3_PNSH_ISM_E10value_typeET4_T5_PSR_SS_PNS1_23onesweep_lookback_stateEbbT6_jjT7_P12ihipStream_tbENKUlT_T0_SG_SL_E_clISA_SA_SB_SB_EEDaSZ_S10_SG_SL_EUlSZ_E_NS1_11comp_targetILNS1_3genE9ELNS1_11target_archE1100ELNS1_3gpuE3ELNS1_3repE0EEENS1_47radix_sort_onesweep_sort_config_static_selectorELNS0_4arch9wavefront6targetE0EEEvSG_: ; @_ZN7rocprim17ROCPRIM_400000_NS6detail17trampoline_kernelINS0_14default_configENS1_35radix_sort_onesweep_config_selectorIdNS0_10empty_typeEEEZZNS1_29radix_sort_onesweep_iterationIS3_Lb0EPKdPdPS5_SB_mNS0_19identity_decomposerENS1_16block_id_wrapperIjLb0EEEEE10hipError_tT1_PNSt15iterator_traitsISG_E10value_typeET2_T3_PNSH_ISM_E10value_typeET4_T5_PSR_SS_PNS1_23onesweep_lookback_stateEbbT6_jjT7_P12ihipStream_tbENKUlT_T0_SG_SL_E_clISA_SA_SB_SB_EEDaSZ_S10_SG_SL_EUlSZ_E_NS1_11comp_targetILNS1_3genE9ELNS1_11target_archE1100ELNS1_3gpuE3ELNS1_3repE0EEENS1_47radix_sort_onesweep_sort_config_static_selectorELNS0_4arch9wavefront6targetE0EEEvSG_
; %bb.0:
	.section	.rodata,"a",@progbits
	.p2align	6, 0x0
	.amdhsa_kernel _ZN7rocprim17ROCPRIM_400000_NS6detail17trampoline_kernelINS0_14default_configENS1_35radix_sort_onesweep_config_selectorIdNS0_10empty_typeEEEZZNS1_29radix_sort_onesweep_iterationIS3_Lb0EPKdPdPS5_SB_mNS0_19identity_decomposerENS1_16block_id_wrapperIjLb0EEEEE10hipError_tT1_PNSt15iterator_traitsISG_E10value_typeET2_T3_PNSH_ISM_E10value_typeET4_T5_PSR_SS_PNS1_23onesweep_lookback_stateEbbT6_jjT7_P12ihipStream_tbENKUlT_T0_SG_SL_E_clISA_SA_SB_SB_EEDaSZ_S10_SG_SL_EUlSZ_E_NS1_11comp_targetILNS1_3genE9ELNS1_11target_archE1100ELNS1_3gpuE3ELNS1_3repE0EEENS1_47radix_sort_onesweep_sort_config_static_selectorELNS0_4arch9wavefront6targetE0EEEvSG_
		.amdhsa_group_segment_fixed_size 0
		.amdhsa_private_segment_fixed_size 0
		.amdhsa_kernarg_size 88
		.amdhsa_user_sgpr_count 2
		.amdhsa_user_sgpr_dispatch_ptr 0
		.amdhsa_user_sgpr_queue_ptr 0
		.amdhsa_user_sgpr_kernarg_segment_ptr 1
		.amdhsa_user_sgpr_dispatch_id 0
		.amdhsa_user_sgpr_kernarg_preload_length 0
		.amdhsa_user_sgpr_kernarg_preload_offset 0
		.amdhsa_user_sgpr_private_segment_size 0
		.amdhsa_wavefront_size32 1
		.amdhsa_uses_dynamic_stack 0
		.amdhsa_enable_private_segment 0
		.amdhsa_system_sgpr_workgroup_id_x 1
		.amdhsa_system_sgpr_workgroup_id_y 0
		.amdhsa_system_sgpr_workgroup_id_z 0
		.amdhsa_system_sgpr_workgroup_info 0
		.amdhsa_system_vgpr_workitem_id 0
		.amdhsa_next_free_vgpr 1
		.amdhsa_next_free_sgpr 1
		.amdhsa_named_barrier_count 0
		.amdhsa_reserve_vcc 0
		.amdhsa_float_round_mode_32 0
		.amdhsa_float_round_mode_16_64 0
		.amdhsa_float_denorm_mode_32 3
		.amdhsa_float_denorm_mode_16_64 3
		.amdhsa_fp16_overflow 0
		.amdhsa_memory_ordered 1
		.amdhsa_forward_progress 1
		.amdhsa_inst_pref_size 0
		.amdhsa_round_robin_scheduling 0
		.amdhsa_exception_fp_ieee_invalid_op 0
		.amdhsa_exception_fp_denorm_src 0
		.amdhsa_exception_fp_ieee_div_zero 0
		.amdhsa_exception_fp_ieee_overflow 0
		.amdhsa_exception_fp_ieee_underflow 0
		.amdhsa_exception_fp_ieee_inexact 0
		.amdhsa_exception_int_div_zero 0
	.end_amdhsa_kernel
	.section	.text._ZN7rocprim17ROCPRIM_400000_NS6detail17trampoline_kernelINS0_14default_configENS1_35radix_sort_onesweep_config_selectorIdNS0_10empty_typeEEEZZNS1_29radix_sort_onesweep_iterationIS3_Lb0EPKdPdPS5_SB_mNS0_19identity_decomposerENS1_16block_id_wrapperIjLb0EEEEE10hipError_tT1_PNSt15iterator_traitsISG_E10value_typeET2_T3_PNSH_ISM_E10value_typeET4_T5_PSR_SS_PNS1_23onesweep_lookback_stateEbbT6_jjT7_P12ihipStream_tbENKUlT_T0_SG_SL_E_clISA_SA_SB_SB_EEDaSZ_S10_SG_SL_EUlSZ_E_NS1_11comp_targetILNS1_3genE9ELNS1_11target_archE1100ELNS1_3gpuE3ELNS1_3repE0EEENS1_47radix_sort_onesweep_sort_config_static_selectorELNS0_4arch9wavefront6targetE0EEEvSG_,"axG",@progbits,_ZN7rocprim17ROCPRIM_400000_NS6detail17trampoline_kernelINS0_14default_configENS1_35radix_sort_onesweep_config_selectorIdNS0_10empty_typeEEEZZNS1_29radix_sort_onesweep_iterationIS3_Lb0EPKdPdPS5_SB_mNS0_19identity_decomposerENS1_16block_id_wrapperIjLb0EEEEE10hipError_tT1_PNSt15iterator_traitsISG_E10value_typeET2_T3_PNSH_ISM_E10value_typeET4_T5_PSR_SS_PNS1_23onesweep_lookback_stateEbbT6_jjT7_P12ihipStream_tbENKUlT_T0_SG_SL_E_clISA_SA_SB_SB_EEDaSZ_S10_SG_SL_EUlSZ_E_NS1_11comp_targetILNS1_3genE9ELNS1_11target_archE1100ELNS1_3gpuE3ELNS1_3repE0EEENS1_47radix_sort_onesweep_sort_config_static_selectorELNS0_4arch9wavefront6targetE0EEEvSG_,comdat
.Lfunc_end1639:
	.size	_ZN7rocprim17ROCPRIM_400000_NS6detail17trampoline_kernelINS0_14default_configENS1_35radix_sort_onesweep_config_selectorIdNS0_10empty_typeEEEZZNS1_29radix_sort_onesweep_iterationIS3_Lb0EPKdPdPS5_SB_mNS0_19identity_decomposerENS1_16block_id_wrapperIjLb0EEEEE10hipError_tT1_PNSt15iterator_traitsISG_E10value_typeET2_T3_PNSH_ISM_E10value_typeET4_T5_PSR_SS_PNS1_23onesweep_lookback_stateEbbT6_jjT7_P12ihipStream_tbENKUlT_T0_SG_SL_E_clISA_SA_SB_SB_EEDaSZ_S10_SG_SL_EUlSZ_E_NS1_11comp_targetILNS1_3genE9ELNS1_11target_archE1100ELNS1_3gpuE3ELNS1_3repE0EEENS1_47radix_sort_onesweep_sort_config_static_selectorELNS0_4arch9wavefront6targetE0EEEvSG_, .Lfunc_end1639-_ZN7rocprim17ROCPRIM_400000_NS6detail17trampoline_kernelINS0_14default_configENS1_35radix_sort_onesweep_config_selectorIdNS0_10empty_typeEEEZZNS1_29radix_sort_onesweep_iterationIS3_Lb0EPKdPdPS5_SB_mNS0_19identity_decomposerENS1_16block_id_wrapperIjLb0EEEEE10hipError_tT1_PNSt15iterator_traitsISG_E10value_typeET2_T3_PNSH_ISM_E10value_typeET4_T5_PSR_SS_PNS1_23onesweep_lookback_stateEbbT6_jjT7_P12ihipStream_tbENKUlT_T0_SG_SL_E_clISA_SA_SB_SB_EEDaSZ_S10_SG_SL_EUlSZ_E_NS1_11comp_targetILNS1_3genE9ELNS1_11target_archE1100ELNS1_3gpuE3ELNS1_3repE0EEENS1_47radix_sort_onesweep_sort_config_static_selectorELNS0_4arch9wavefront6targetE0EEEvSG_
                                        ; -- End function
	.set _ZN7rocprim17ROCPRIM_400000_NS6detail17trampoline_kernelINS0_14default_configENS1_35radix_sort_onesweep_config_selectorIdNS0_10empty_typeEEEZZNS1_29radix_sort_onesweep_iterationIS3_Lb0EPKdPdPS5_SB_mNS0_19identity_decomposerENS1_16block_id_wrapperIjLb0EEEEE10hipError_tT1_PNSt15iterator_traitsISG_E10value_typeET2_T3_PNSH_ISM_E10value_typeET4_T5_PSR_SS_PNS1_23onesweep_lookback_stateEbbT6_jjT7_P12ihipStream_tbENKUlT_T0_SG_SL_E_clISA_SA_SB_SB_EEDaSZ_S10_SG_SL_EUlSZ_E_NS1_11comp_targetILNS1_3genE9ELNS1_11target_archE1100ELNS1_3gpuE3ELNS1_3repE0EEENS1_47radix_sort_onesweep_sort_config_static_selectorELNS0_4arch9wavefront6targetE0EEEvSG_.num_vgpr, 0
	.set _ZN7rocprim17ROCPRIM_400000_NS6detail17trampoline_kernelINS0_14default_configENS1_35radix_sort_onesweep_config_selectorIdNS0_10empty_typeEEEZZNS1_29radix_sort_onesweep_iterationIS3_Lb0EPKdPdPS5_SB_mNS0_19identity_decomposerENS1_16block_id_wrapperIjLb0EEEEE10hipError_tT1_PNSt15iterator_traitsISG_E10value_typeET2_T3_PNSH_ISM_E10value_typeET4_T5_PSR_SS_PNS1_23onesweep_lookback_stateEbbT6_jjT7_P12ihipStream_tbENKUlT_T0_SG_SL_E_clISA_SA_SB_SB_EEDaSZ_S10_SG_SL_EUlSZ_E_NS1_11comp_targetILNS1_3genE9ELNS1_11target_archE1100ELNS1_3gpuE3ELNS1_3repE0EEENS1_47radix_sort_onesweep_sort_config_static_selectorELNS0_4arch9wavefront6targetE0EEEvSG_.num_agpr, 0
	.set _ZN7rocprim17ROCPRIM_400000_NS6detail17trampoline_kernelINS0_14default_configENS1_35radix_sort_onesweep_config_selectorIdNS0_10empty_typeEEEZZNS1_29radix_sort_onesweep_iterationIS3_Lb0EPKdPdPS5_SB_mNS0_19identity_decomposerENS1_16block_id_wrapperIjLb0EEEEE10hipError_tT1_PNSt15iterator_traitsISG_E10value_typeET2_T3_PNSH_ISM_E10value_typeET4_T5_PSR_SS_PNS1_23onesweep_lookback_stateEbbT6_jjT7_P12ihipStream_tbENKUlT_T0_SG_SL_E_clISA_SA_SB_SB_EEDaSZ_S10_SG_SL_EUlSZ_E_NS1_11comp_targetILNS1_3genE9ELNS1_11target_archE1100ELNS1_3gpuE3ELNS1_3repE0EEENS1_47radix_sort_onesweep_sort_config_static_selectorELNS0_4arch9wavefront6targetE0EEEvSG_.numbered_sgpr, 0
	.set _ZN7rocprim17ROCPRIM_400000_NS6detail17trampoline_kernelINS0_14default_configENS1_35radix_sort_onesweep_config_selectorIdNS0_10empty_typeEEEZZNS1_29radix_sort_onesweep_iterationIS3_Lb0EPKdPdPS5_SB_mNS0_19identity_decomposerENS1_16block_id_wrapperIjLb0EEEEE10hipError_tT1_PNSt15iterator_traitsISG_E10value_typeET2_T3_PNSH_ISM_E10value_typeET4_T5_PSR_SS_PNS1_23onesweep_lookback_stateEbbT6_jjT7_P12ihipStream_tbENKUlT_T0_SG_SL_E_clISA_SA_SB_SB_EEDaSZ_S10_SG_SL_EUlSZ_E_NS1_11comp_targetILNS1_3genE9ELNS1_11target_archE1100ELNS1_3gpuE3ELNS1_3repE0EEENS1_47radix_sort_onesweep_sort_config_static_selectorELNS0_4arch9wavefront6targetE0EEEvSG_.num_named_barrier, 0
	.set _ZN7rocprim17ROCPRIM_400000_NS6detail17trampoline_kernelINS0_14default_configENS1_35radix_sort_onesweep_config_selectorIdNS0_10empty_typeEEEZZNS1_29radix_sort_onesweep_iterationIS3_Lb0EPKdPdPS5_SB_mNS0_19identity_decomposerENS1_16block_id_wrapperIjLb0EEEEE10hipError_tT1_PNSt15iterator_traitsISG_E10value_typeET2_T3_PNSH_ISM_E10value_typeET4_T5_PSR_SS_PNS1_23onesweep_lookback_stateEbbT6_jjT7_P12ihipStream_tbENKUlT_T0_SG_SL_E_clISA_SA_SB_SB_EEDaSZ_S10_SG_SL_EUlSZ_E_NS1_11comp_targetILNS1_3genE9ELNS1_11target_archE1100ELNS1_3gpuE3ELNS1_3repE0EEENS1_47radix_sort_onesweep_sort_config_static_selectorELNS0_4arch9wavefront6targetE0EEEvSG_.private_seg_size, 0
	.set _ZN7rocprim17ROCPRIM_400000_NS6detail17trampoline_kernelINS0_14default_configENS1_35radix_sort_onesweep_config_selectorIdNS0_10empty_typeEEEZZNS1_29radix_sort_onesweep_iterationIS3_Lb0EPKdPdPS5_SB_mNS0_19identity_decomposerENS1_16block_id_wrapperIjLb0EEEEE10hipError_tT1_PNSt15iterator_traitsISG_E10value_typeET2_T3_PNSH_ISM_E10value_typeET4_T5_PSR_SS_PNS1_23onesweep_lookback_stateEbbT6_jjT7_P12ihipStream_tbENKUlT_T0_SG_SL_E_clISA_SA_SB_SB_EEDaSZ_S10_SG_SL_EUlSZ_E_NS1_11comp_targetILNS1_3genE9ELNS1_11target_archE1100ELNS1_3gpuE3ELNS1_3repE0EEENS1_47radix_sort_onesweep_sort_config_static_selectorELNS0_4arch9wavefront6targetE0EEEvSG_.uses_vcc, 0
	.set _ZN7rocprim17ROCPRIM_400000_NS6detail17trampoline_kernelINS0_14default_configENS1_35radix_sort_onesweep_config_selectorIdNS0_10empty_typeEEEZZNS1_29radix_sort_onesweep_iterationIS3_Lb0EPKdPdPS5_SB_mNS0_19identity_decomposerENS1_16block_id_wrapperIjLb0EEEEE10hipError_tT1_PNSt15iterator_traitsISG_E10value_typeET2_T3_PNSH_ISM_E10value_typeET4_T5_PSR_SS_PNS1_23onesweep_lookback_stateEbbT6_jjT7_P12ihipStream_tbENKUlT_T0_SG_SL_E_clISA_SA_SB_SB_EEDaSZ_S10_SG_SL_EUlSZ_E_NS1_11comp_targetILNS1_3genE9ELNS1_11target_archE1100ELNS1_3gpuE3ELNS1_3repE0EEENS1_47radix_sort_onesweep_sort_config_static_selectorELNS0_4arch9wavefront6targetE0EEEvSG_.uses_flat_scratch, 0
	.set _ZN7rocprim17ROCPRIM_400000_NS6detail17trampoline_kernelINS0_14default_configENS1_35radix_sort_onesweep_config_selectorIdNS0_10empty_typeEEEZZNS1_29radix_sort_onesweep_iterationIS3_Lb0EPKdPdPS5_SB_mNS0_19identity_decomposerENS1_16block_id_wrapperIjLb0EEEEE10hipError_tT1_PNSt15iterator_traitsISG_E10value_typeET2_T3_PNSH_ISM_E10value_typeET4_T5_PSR_SS_PNS1_23onesweep_lookback_stateEbbT6_jjT7_P12ihipStream_tbENKUlT_T0_SG_SL_E_clISA_SA_SB_SB_EEDaSZ_S10_SG_SL_EUlSZ_E_NS1_11comp_targetILNS1_3genE9ELNS1_11target_archE1100ELNS1_3gpuE3ELNS1_3repE0EEENS1_47radix_sort_onesweep_sort_config_static_selectorELNS0_4arch9wavefront6targetE0EEEvSG_.has_dyn_sized_stack, 0
	.set _ZN7rocprim17ROCPRIM_400000_NS6detail17trampoline_kernelINS0_14default_configENS1_35radix_sort_onesweep_config_selectorIdNS0_10empty_typeEEEZZNS1_29radix_sort_onesweep_iterationIS3_Lb0EPKdPdPS5_SB_mNS0_19identity_decomposerENS1_16block_id_wrapperIjLb0EEEEE10hipError_tT1_PNSt15iterator_traitsISG_E10value_typeET2_T3_PNSH_ISM_E10value_typeET4_T5_PSR_SS_PNS1_23onesweep_lookback_stateEbbT6_jjT7_P12ihipStream_tbENKUlT_T0_SG_SL_E_clISA_SA_SB_SB_EEDaSZ_S10_SG_SL_EUlSZ_E_NS1_11comp_targetILNS1_3genE9ELNS1_11target_archE1100ELNS1_3gpuE3ELNS1_3repE0EEENS1_47radix_sort_onesweep_sort_config_static_selectorELNS0_4arch9wavefront6targetE0EEEvSG_.has_recursion, 0
	.set _ZN7rocprim17ROCPRIM_400000_NS6detail17trampoline_kernelINS0_14default_configENS1_35radix_sort_onesweep_config_selectorIdNS0_10empty_typeEEEZZNS1_29radix_sort_onesweep_iterationIS3_Lb0EPKdPdPS5_SB_mNS0_19identity_decomposerENS1_16block_id_wrapperIjLb0EEEEE10hipError_tT1_PNSt15iterator_traitsISG_E10value_typeET2_T3_PNSH_ISM_E10value_typeET4_T5_PSR_SS_PNS1_23onesweep_lookback_stateEbbT6_jjT7_P12ihipStream_tbENKUlT_T0_SG_SL_E_clISA_SA_SB_SB_EEDaSZ_S10_SG_SL_EUlSZ_E_NS1_11comp_targetILNS1_3genE9ELNS1_11target_archE1100ELNS1_3gpuE3ELNS1_3repE0EEENS1_47radix_sort_onesweep_sort_config_static_selectorELNS0_4arch9wavefront6targetE0EEEvSG_.has_indirect_call, 0
	.section	.AMDGPU.csdata,"",@progbits
; Kernel info:
; codeLenInByte = 0
; TotalNumSgprs: 0
; NumVgprs: 0
; ScratchSize: 0
; MemoryBound: 0
; FloatMode: 240
; IeeeMode: 1
; LDSByteSize: 0 bytes/workgroup (compile time only)
; SGPRBlocks: 0
; VGPRBlocks: 0
; NumSGPRsForWavesPerEU: 1
; NumVGPRsForWavesPerEU: 1
; NamedBarCnt: 0
; Occupancy: 16
; WaveLimiterHint : 0
; COMPUTE_PGM_RSRC2:SCRATCH_EN: 0
; COMPUTE_PGM_RSRC2:USER_SGPR: 2
; COMPUTE_PGM_RSRC2:TRAP_HANDLER: 0
; COMPUTE_PGM_RSRC2:TGID_X_EN: 1
; COMPUTE_PGM_RSRC2:TGID_Y_EN: 0
; COMPUTE_PGM_RSRC2:TGID_Z_EN: 0
; COMPUTE_PGM_RSRC2:TIDIG_COMP_CNT: 0
	.section	.text._ZN7rocprim17ROCPRIM_400000_NS6detail17trampoline_kernelINS0_14default_configENS1_35radix_sort_onesweep_config_selectorIdNS0_10empty_typeEEEZZNS1_29radix_sort_onesweep_iterationIS3_Lb0EPKdPdPS5_SB_mNS0_19identity_decomposerENS1_16block_id_wrapperIjLb0EEEEE10hipError_tT1_PNSt15iterator_traitsISG_E10value_typeET2_T3_PNSH_ISM_E10value_typeET4_T5_PSR_SS_PNS1_23onesweep_lookback_stateEbbT6_jjT7_P12ihipStream_tbENKUlT_T0_SG_SL_E_clISA_SA_SB_SB_EEDaSZ_S10_SG_SL_EUlSZ_E_NS1_11comp_targetILNS1_3genE8ELNS1_11target_archE1030ELNS1_3gpuE2ELNS1_3repE0EEENS1_47radix_sort_onesweep_sort_config_static_selectorELNS0_4arch9wavefront6targetE0EEEvSG_,"axG",@progbits,_ZN7rocprim17ROCPRIM_400000_NS6detail17trampoline_kernelINS0_14default_configENS1_35radix_sort_onesweep_config_selectorIdNS0_10empty_typeEEEZZNS1_29radix_sort_onesweep_iterationIS3_Lb0EPKdPdPS5_SB_mNS0_19identity_decomposerENS1_16block_id_wrapperIjLb0EEEEE10hipError_tT1_PNSt15iterator_traitsISG_E10value_typeET2_T3_PNSH_ISM_E10value_typeET4_T5_PSR_SS_PNS1_23onesweep_lookback_stateEbbT6_jjT7_P12ihipStream_tbENKUlT_T0_SG_SL_E_clISA_SA_SB_SB_EEDaSZ_S10_SG_SL_EUlSZ_E_NS1_11comp_targetILNS1_3genE8ELNS1_11target_archE1030ELNS1_3gpuE2ELNS1_3repE0EEENS1_47radix_sort_onesweep_sort_config_static_selectorELNS0_4arch9wavefront6targetE0EEEvSG_,comdat
	.protected	_ZN7rocprim17ROCPRIM_400000_NS6detail17trampoline_kernelINS0_14default_configENS1_35radix_sort_onesweep_config_selectorIdNS0_10empty_typeEEEZZNS1_29radix_sort_onesweep_iterationIS3_Lb0EPKdPdPS5_SB_mNS0_19identity_decomposerENS1_16block_id_wrapperIjLb0EEEEE10hipError_tT1_PNSt15iterator_traitsISG_E10value_typeET2_T3_PNSH_ISM_E10value_typeET4_T5_PSR_SS_PNS1_23onesweep_lookback_stateEbbT6_jjT7_P12ihipStream_tbENKUlT_T0_SG_SL_E_clISA_SA_SB_SB_EEDaSZ_S10_SG_SL_EUlSZ_E_NS1_11comp_targetILNS1_3genE8ELNS1_11target_archE1030ELNS1_3gpuE2ELNS1_3repE0EEENS1_47radix_sort_onesweep_sort_config_static_selectorELNS0_4arch9wavefront6targetE0EEEvSG_ ; -- Begin function _ZN7rocprim17ROCPRIM_400000_NS6detail17trampoline_kernelINS0_14default_configENS1_35radix_sort_onesweep_config_selectorIdNS0_10empty_typeEEEZZNS1_29radix_sort_onesweep_iterationIS3_Lb0EPKdPdPS5_SB_mNS0_19identity_decomposerENS1_16block_id_wrapperIjLb0EEEEE10hipError_tT1_PNSt15iterator_traitsISG_E10value_typeET2_T3_PNSH_ISM_E10value_typeET4_T5_PSR_SS_PNS1_23onesweep_lookback_stateEbbT6_jjT7_P12ihipStream_tbENKUlT_T0_SG_SL_E_clISA_SA_SB_SB_EEDaSZ_S10_SG_SL_EUlSZ_E_NS1_11comp_targetILNS1_3genE8ELNS1_11target_archE1030ELNS1_3gpuE2ELNS1_3repE0EEENS1_47radix_sort_onesweep_sort_config_static_selectorELNS0_4arch9wavefront6targetE0EEEvSG_
	.globl	_ZN7rocprim17ROCPRIM_400000_NS6detail17trampoline_kernelINS0_14default_configENS1_35radix_sort_onesweep_config_selectorIdNS0_10empty_typeEEEZZNS1_29radix_sort_onesweep_iterationIS3_Lb0EPKdPdPS5_SB_mNS0_19identity_decomposerENS1_16block_id_wrapperIjLb0EEEEE10hipError_tT1_PNSt15iterator_traitsISG_E10value_typeET2_T3_PNSH_ISM_E10value_typeET4_T5_PSR_SS_PNS1_23onesweep_lookback_stateEbbT6_jjT7_P12ihipStream_tbENKUlT_T0_SG_SL_E_clISA_SA_SB_SB_EEDaSZ_S10_SG_SL_EUlSZ_E_NS1_11comp_targetILNS1_3genE8ELNS1_11target_archE1030ELNS1_3gpuE2ELNS1_3repE0EEENS1_47radix_sort_onesweep_sort_config_static_selectorELNS0_4arch9wavefront6targetE0EEEvSG_
	.p2align	8
	.type	_ZN7rocprim17ROCPRIM_400000_NS6detail17trampoline_kernelINS0_14default_configENS1_35radix_sort_onesweep_config_selectorIdNS0_10empty_typeEEEZZNS1_29radix_sort_onesweep_iterationIS3_Lb0EPKdPdPS5_SB_mNS0_19identity_decomposerENS1_16block_id_wrapperIjLb0EEEEE10hipError_tT1_PNSt15iterator_traitsISG_E10value_typeET2_T3_PNSH_ISM_E10value_typeET4_T5_PSR_SS_PNS1_23onesweep_lookback_stateEbbT6_jjT7_P12ihipStream_tbENKUlT_T0_SG_SL_E_clISA_SA_SB_SB_EEDaSZ_S10_SG_SL_EUlSZ_E_NS1_11comp_targetILNS1_3genE8ELNS1_11target_archE1030ELNS1_3gpuE2ELNS1_3repE0EEENS1_47radix_sort_onesweep_sort_config_static_selectorELNS0_4arch9wavefront6targetE0EEEvSG_,@function
_ZN7rocprim17ROCPRIM_400000_NS6detail17trampoline_kernelINS0_14default_configENS1_35radix_sort_onesweep_config_selectorIdNS0_10empty_typeEEEZZNS1_29radix_sort_onesweep_iterationIS3_Lb0EPKdPdPS5_SB_mNS0_19identity_decomposerENS1_16block_id_wrapperIjLb0EEEEE10hipError_tT1_PNSt15iterator_traitsISG_E10value_typeET2_T3_PNSH_ISM_E10value_typeET4_T5_PSR_SS_PNS1_23onesweep_lookback_stateEbbT6_jjT7_P12ihipStream_tbENKUlT_T0_SG_SL_E_clISA_SA_SB_SB_EEDaSZ_S10_SG_SL_EUlSZ_E_NS1_11comp_targetILNS1_3genE8ELNS1_11target_archE1030ELNS1_3gpuE2ELNS1_3repE0EEENS1_47radix_sort_onesweep_sort_config_static_selectorELNS0_4arch9wavefront6targetE0EEEvSG_: ; @_ZN7rocprim17ROCPRIM_400000_NS6detail17trampoline_kernelINS0_14default_configENS1_35radix_sort_onesweep_config_selectorIdNS0_10empty_typeEEEZZNS1_29radix_sort_onesweep_iterationIS3_Lb0EPKdPdPS5_SB_mNS0_19identity_decomposerENS1_16block_id_wrapperIjLb0EEEEE10hipError_tT1_PNSt15iterator_traitsISG_E10value_typeET2_T3_PNSH_ISM_E10value_typeET4_T5_PSR_SS_PNS1_23onesweep_lookback_stateEbbT6_jjT7_P12ihipStream_tbENKUlT_T0_SG_SL_E_clISA_SA_SB_SB_EEDaSZ_S10_SG_SL_EUlSZ_E_NS1_11comp_targetILNS1_3genE8ELNS1_11target_archE1030ELNS1_3gpuE2ELNS1_3repE0EEENS1_47radix_sort_onesweep_sort_config_static_selectorELNS0_4arch9wavefront6targetE0EEEvSG_
; %bb.0:
	.section	.rodata,"a",@progbits
	.p2align	6, 0x0
	.amdhsa_kernel _ZN7rocprim17ROCPRIM_400000_NS6detail17trampoline_kernelINS0_14default_configENS1_35radix_sort_onesweep_config_selectorIdNS0_10empty_typeEEEZZNS1_29radix_sort_onesweep_iterationIS3_Lb0EPKdPdPS5_SB_mNS0_19identity_decomposerENS1_16block_id_wrapperIjLb0EEEEE10hipError_tT1_PNSt15iterator_traitsISG_E10value_typeET2_T3_PNSH_ISM_E10value_typeET4_T5_PSR_SS_PNS1_23onesweep_lookback_stateEbbT6_jjT7_P12ihipStream_tbENKUlT_T0_SG_SL_E_clISA_SA_SB_SB_EEDaSZ_S10_SG_SL_EUlSZ_E_NS1_11comp_targetILNS1_3genE8ELNS1_11target_archE1030ELNS1_3gpuE2ELNS1_3repE0EEENS1_47radix_sort_onesweep_sort_config_static_selectorELNS0_4arch9wavefront6targetE0EEEvSG_
		.amdhsa_group_segment_fixed_size 0
		.amdhsa_private_segment_fixed_size 0
		.amdhsa_kernarg_size 88
		.amdhsa_user_sgpr_count 2
		.amdhsa_user_sgpr_dispatch_ptr 0
		.amdhsa_user_sgpr_queue_ptr 0
		.amdhsa_user_sgpr_kernarg_segment_ptr 1
		.amdhsa_user_sgpr_dispatch_id 0
		.amdhsa_user_sgpr_kernarg_preload_length 0
		.amdhsa_user_sgpr_kernarg_preload_offset 0
		.amdhsa_user_sgpr_private_segment_size 0
		.amdhsa_wavefront_size32 1
		.amdhsa_uses_dynamic_stack 0
		.amdhsa_enable_private_segment 0
		.amdhsa_system_sgpr_workgroup_id_x 1
		.amdhsa_system_sgpr_workgroup_id_y 0
		.amdhsa_system_sgpr_workgroup_id_z 0
		.amdhsa_system_sgpr_workgroup_info 0
		.amdhsa_system_vgpr_workitem_id 0
		.amdhsa_next_free_vgpr 1
		.amdhsa_next_free_sgpr 1
		.amdhsa_named_barrier_count 0
		.amdhsa_reserve_vcc 0
		.amdhsa_float_round_mode_32 0
		.amdhsa_float_round_mode_16_64 0
		.amdhsa_float_denorm_mode_32 3
		.amdhsa_float_denorm_mode_16_64 3
		.amdhsa_fp16_overflow 0
		.amdhsa_memory_ordered 1
		.amdhsa_forward_progress 1
		.amdhsa_inst_pref_size 0
		.amdhsa_round_robin_scheduling 0
		.amdhsa_exception_fp_ieee_invalid_op 0
		.amdhsa_exception_fp_denorm_src 0
		.amdhsa_exception_fp_ieee_div_zero 0
		.amdhsa_exception_fp_ieee_overflow 0
		.amdhsa_exception_fp_ieee_underflow 0
		.amdhsa_exception_fp_ieee_inexact 0
		.amdhsa_exception_int_div_zero 0
	.end_amdhsa_kernel
	.section	.text._ZN7rocprim17ROCPRIM_400000_NS6detail17trampoline_kernelINS0_14default_configENS1_35radix_sort_onesweep_config_selectorIdNS0_10empty_typeEEEZZNS1_29radix_sort_onesweep_iterationIS3_Lb0EPKdPdPS5_SB_mNS0_19identity_decomposerENS1_16block_id_wrapperIjLb0EEEEE10hipError_tT1_PNSt15iterator_traitsISG_E10value_typeET2_T3_PNSH_ISM_E10value_typeET4_T5_PSR_SS_PNS1_23onesweep_lookback_stateEbbT6_jjT7_P12ihipStream_tbENKUlT_T0_SG_SL_E_clISA_SA_SB_SB_EEDaSZ_S10_SG_SL_EUlSZ_E_NS1_11comp_targetILNS1_3genE8ELNS1_11target_archE1030ELNS1_3gpuE2ELNS1_3repE0EEENS1_47radix_sort_onesweep_sort_config_static_selectorELNS0_4arch9wavefront6targetE0EEEvSG_,"axG",@progbits,_ZN7rocprim17ROCPRIM_400000_NS6detail17trampoline_kernelINS0_14default_configENS1_35radix_sort_onesweep_config_selectorIdNS0_10empty_typeEEEZZNS1_29radix_sort_onesweep_iterationIS3_Lb0EPKdPdPS5_SB_mNS0_19identity_decomposerENS1_16block_id_wrapperIjLb0EEEEE10hipError_tT1_PNSt15iterator_traitsISG_E10value_typeET2_T3_PNSH_ISM_E10value_typeET4_T5_PSR_SS_PNS1_23onesweep_lookback_stateEbbT6_jjT7_P12ihipStream_tbENKUlT_T0_SG_SL_E_clISA_SA_SB_SB_EEDaSZ_S10_SG_SL_EUlSZ_E_NS1_11comp_targetILNS1_3genE8ELNS1_11target_archE1030ELNS1_3gpuE2ELNS1_3repE0EEENS1_47radix_sort_onesweep_sort_config_static_selectorELNS0_4arch9wavefront6targetE0EEEvSG_,comdat
.Lfunc_end1640:
	.size	_ZN7rocprim17ROCPRIM_400000_NS6detail17trampoline_kernelINS0_14default_configENS1_35radix_sort_onesweep_config_selectorIdNS0_10empty_typeEEEZZNS1_29radix_sort_onesweep_iterationIS3_Lb0EPKdPdPS5_SB_mNS0_19identity_decomposerENS1_16block_id_wrapperIjLb0EEEEE10hipError_tT1_PNSt15iterator_traitsISG_E10value_typeET2_T3_PNSH_ISM_E10value_typeET4_T5_PSR_SS_PNS1_23onesweep_lookback_stateEbbT6_jjT7_P12ihipStream_tbENKUlT_T0_SG_SL_E_clISA_SA_SB_SB_EEDaSZ_S10_SG_SL_EUlSZ_E_NS1_11comp_targetILNS1_3genE8ELNS1_11target_archE1030ELNS1_3gpuE2ELNS1_3repE0EEENS1_47radix_sort_onesweep_sort_config_static_selectorELNS0_4arch9wavefront6targetE0EEEvSG_, .Lfunc_end1640-_ZN7rocprim17ROCPRIM_400000_NS6detail17trampoline_kernelINS0_14default_configENS1_35radix_sort_onesweep_config_selectorIdNS0_10empty_typeEEEZZNS1_29radix_sort_onesweep_iterationIS3_Lb0EPKdPdPS5_SB_mNS0_19identity_decomposerENS1_16block_id_wrapperIjLb0EEEEE10hipError_tT1_PNSt15iterator_traitsISG_E10value_typeET2_T3_PNSH_ISM_E10value_typeET4_T5_PSR_SS_PNS1_23onesweep_lookback_stateEbbT6_jjT7_P12ihipStream_tbENKUlT_T0_SG_SL_E_clISA_SA_SB_SB_EEDaSZ_S10_SG_SL_EUlSZ_E_NS1_11comp_targetILNS1_3genE8ELNS1_11target_archE1030ELNS1_3gpuE2ELNS1_3repE0EEENS1_47radix_sort_onesweep_sort_config_static_selectorELNS0_4arch9wavefront6targetE0EEEvSG_
                                        ; -- End function
	.set _ZN7rocprim17ROCPRIM_400000_NS6detail17trampoline_kernelINS0_14default_configENS1_35radix_sort_onesweep_config_selectorIdNS0_10empty_typeEEEZZNS1_29radix_sort_onesweep_iterationIS3_Lb0EPKdPdPS5_SB_mNS0_19identity_decomposerENS1_16block_id_wrapperIjLb0EEEEE10hipError_tT1_PNSt15iterator_traitsISG_E10value_typeET2_T3_PNSH_ISM_E10value_typeET4_T5_PSR_SS_PNS1_23onesweep_lookback_stateEbbT6_jjT7_P12ihipStream_tbENKUlT_T0_SG_SL_E_clISA_SA_SB_SB_EEDaSZ_S10_SG_SL_EUlSZ_E_NS1_11comp_targetILNS1_3genE8ELNS1_11target_archE1030ELNS1_3gpuE2ELNS1_3repE0EEENS1_47radix_sort_onesweep_sort_config_static_selectorELNS0_4arch9wavefront6targetE0EEEvSG_.num_vgpr, 0
	.set _ZN7rocprim17ROCPRIM_400000_NS6detail17trampoline_kernelINS0_14default_configENS1_35radix_sort_onesweep_config_selectorIdNS0_10empty_typeEEEZZNS1_29radix_sort_onesweep_iterationIS3_Lb0EPKdPdPS5_SB_mNS0_19identity_decomposerENS1_16block_id_wrapperIjLb0EEEEE10hipError_tT1_PNSt15iterator_traitsISG_E10value_typeET2_T3_PNSH_ISM_E10value_typeET4_T5_PSR_SS_PNS1_23onesweep_lookback_stateEbbT6_jjT7_P12ihipStream_tbENKUlT_T0_SG_SL_E_clISA_SA_SB_SB_EEDaSZ_S10_SG_SL_EUlSZ_E_NS1_11comp_targetILNS1_3genE8ELNS1_11target_archE1030ELNS1_3gpuE2ELNS1_3repE0EEENS1_47radix_sort_onesweep_sort_config_static_selectorELNS0_4arch9wavefront6targetE0EEEvSG_.num_agpr, 0
	.set _ZN7rocprim17ROCPRIM_400000_NS6detail17trampoline_kernelINS0_14default_configENS1_35radix_sort_onesweep_config_selectorIdNS0_10empty_typeEEEZZNS1_29radix_sort_onesweep_iterationIS3_Lb0EPKdPdPS5_SB_mNS0_19identity_decomposerENS1_16block_id_wrapperIjLb0EEEEE10hipError_tT1_PNSt15iterator_traitsISG_E10value_typeET2_T3_PNSH_ISM_E10value_typeET4_T5_PSR_SS_PNS1_23onesweep_lookback_stateEbbT6_jjT7_P12ihipStream_tbENKUlT_T0_SG_SL_E_clISA_SA_SB_SB_EEDaSZ_S10_SG_SL_EUlSZ_E_NS1_11comp_targetILNS1_3genE8ELNS1_11target_archE1030ELNS1_3gpuE2ELNS1_3repE0EEENS1_47radix_sort_onesweep_sort_config_static_selectorELNS0_4arch9wavefront6targetE0EEEvSG_.numbered_sgpr, 0
	.set _ZN7rocprim17ROCPRIM_400000_NS6detail17trampoline_kernelINS0_14default_configENS1_35radix_sort_onesweep_config_selectorIdNS0_10empty_typeEEEZZNS1_29radix_sort_onesweep_iterationIS3_Lb0EPKdPdPS5_SB_mNS0_19identity_decomposerENS1_16block_id_wrapperIjLb0EEEEE10hipError_tT1_PNSt15iterator_traitsISG_E10value_typeET2_T3_PNSH_ISM_E10value_typeET4_T5_PSR_SS_PNS1_23onesweep_lookback_stateEbbT6_jjT7_P12ihipStream_tbENKUlT_T0_SG_SL_E_clISA_SA_SB_SB_EEDaSZ_S10_SG_SL_EUlSZ_E_NS1_11comp_targetILNS1_3genE8ELNS1_11target_archE1030ELNS1_3gpuE2ELNS1_3repE0EEENS1_47radix_sort_onesweep_sort_config_static_selectorELNS0_4arch9wavefront6targetE0EEEvSG_.num_named_barrier, 0
	.set _ZN7rocprim17ROCPRIM_400000_NS6detail17trampoline_kernelINS0_14default_configENS1_35radix_sort_onesweep_config_selectorIdNS0_10empty_typeEEEZZNS1_29radix_sort_onesweep_iterationIS3_Lb0EPKdPdPS5_SB_mNS0_19identity_decomposerENS1_16block_id_wrapperIjLb0EEEEE10hipError_tT1_PNSt15iterator_traitsISG_E10value_typeET2_T3_PNSH_ISM_E10value_typeET4_T5_PSR_SS_PNS1_23onesweep_lookback_stateEbbT6_jjT7_P12ihipStream_tbENKUlT_T0_SG_SL_E_clISA_SA_SB_SB_EEDaSZ_S10_SG_SL_EUlSZ_E_NS1_11comp_targetILNS1_3genE8ELNS1_11target_archE1030ELNS1_3gpuE2ELNS1_3repE0EEENS1_47radix_sort_onesweep_sort_config_static_selectorELNS0_4arch9wavefront6targetE0EEEvSG_.private_seg_size, 0
	.set _ZN7rocprim17ROCPRIM_400000_NS6detail17trampoline_kernelINS0_14default_configENS1_35radix_sort_onesweep_config_selectorIdNS0_10empty_typeEEEZZNS1_29radix_sort_onesweep_iterationIS3_Lb0EPKdPdPS5_SB_mNS0_19identity_decomposerENS1_16block_id_wrapperIjLb0EEEEE10hipError_tT1_PNSt15iterator_traitsISG_E10value_typeET2_T3_PNSH_ISM_E10value_typeET4_T5_PSR_SS_PNS1_23onesweep_lookback_stateEbbT6_jjT7_P12ihipStream_tbENKUlT_T0_SG_SL_E_clISA_SA_SB_SB_EEDaSZ_S10_SG_SL_EUlSZ_E_NS1_11comp_targetILNS1_3genE8ELNS1_11target_archE1030ELNS1_3gpuE2ELNS1_3repE0EEENS1_47radix_sort_onesweep_sort_config_static_selectorELNS0_4arch9wavefront6targetE0EEEvSG_.uses_vcc, 0
	.set _ZN7rocprim17ROCPRIM_400000_NS6detail17trampoline_kernelINS0_14default_configENS1_35radix_sort_onesweep_config_selectorIdNS0_10empty_typeEEEZZNS1_29radix_sort_onesweep_iterationIS3_Lb0EPKdPdPS5_SB_mNS0_19identity_decomposerENS1_16block_id_wrapperIjLb0EEEEE10hipError_tT1_PNSt15iterator_traitsISG_E10value_typeET2_T3_PNSH_ISM_E10value_typeET4_T5_PSR_SS_PNS1_23onesweep_lookback_stateEbbT6_jjT7_P12ihipStream_tbENKUlT_T0_SG_SL_E_clISA_SA_SB_SB_EEDaSZ_S10_SG_SL_EUlSZ_E_NS1_11comp_targetILNS1_3genE8ELNS1_11target_archE1030ELNS1_3gpuE2ELNS1_3repE0EEENS1_47radix_sort_onesweep_sort_config_static_selectorELNS0_4arch9wavefront6targetE0EEEvSG_.uses_flat_scratch, 0
	.set _ZN7rocprim17ROCPRIM_400000_NS6detail17trampoline_kernelINS0_14default_configENS1_35radix_sort_onesweep_config_selectorIdNS0_10empty_typeEEEZZNS1_29radix_sort_onesweep_iterationIS3_Lb0EPKdPdPS5_SB_mNS0_19identity_decomposerENS1_16block_id_wrapperIjLb0EEEEE10hipError_tT1_PNSt15iterator_traitsISG_E10value_typeET2_T3_PNSH_ISM_E10value_typeET4_T5_PSR_SS_PNS1_23onesweep_lookback_stateEbbT6_jjT7_P12ihipStream_tbENKUlT_T0_SG_SL_E_clISA_SA_SB_SB_EEDaSZ_S10_SG_SL_EUlSZ_E_NS1_11comp_targetILNS1_3genE8ELNS1_11target_archE1030ELNS1_3gpuE2ELNS1_3repE0EEENS1_47radix_sort_onesweep_sort_config_static_selectorELNS0_4arch9wavefront6targetE0EEEvSG_.has_dyn_sized_stack, 0
	.set _ZN7rocprim17ROCPRIM_400000_NS6detail17trampoline_kernelINS0_14default_configENS1_35radix_sort_onesweep_config_selectorIdNS0_10empty_typeEEEZZNS1_29radix_sort_onesweep_iterationIS3_Lb0EPKdPdPS5_SB_mNS0_19identity_decomposerENS1_16block_id_wrapperIjLb0EEEEE10hipError_tT1_PNSt15iterator_traitsISG_E10value_typeET2_T3_PNSH_ISM_E10value_typeET4_T5_PSR_SS_PNS1_23onesweep_lookback_stateEbbT6_jjT7_P12ihipStream_tbENKUlT_T0_SG_SL_E_clISA_SA_SB_SB_EEDaSZ_S10_SG_SL_EUlSZ_E_NS1_11comp_targetILNS1_3genE8ELNS1_11target_archE1030ELNS1_3gpuE2ELNS1_3repE0EEENS1_47radix_sort_onesweep_sort_config_static_selectorELNS0_4arch9wavefront6targetE0EEEvSG_.has_recursion, 0
	.set _ZN7rocprim17ROCPRIM_400000_NS6detail17trampoline_kernelINS0_14default_configENS1_35radix_sort_onesweep_config_selectorIdNS0_10empty_typeEEEZZNS1_29radix_sort_onesweep_iterationIS3_Lb0EPKdPdPS5_SB_mNS0_19identity_decomposerENS1_16block_id_wrapperIjLb0EEEEE10hipError_tT1_PNSt15iterator_traitsISG_E10value_typeET2_T3_PNSH_ISM_E10value_typeET4_T5_PSR_SS_PNS1_23onesweep_lookback_stateEbbT6_jjT7_P12ihipStream_tbENKUlT_T0_SG_SL_E_clISA_SA_SB_SB_EEDaSZ_S10_SG_SL_EUlSZ_E_NS1_11comp_targetILNS1_3genE8ELNS1_11target_archE1030ELNS1_3gpuE2ELNS1_3repE0EEENS1_47radix_sort_onesweep_sort_config_static_selectorELNS0_4arch9wavefront6targetE0EEEvSG_.has_indirect_call, 0
	.section	.AMDGPU.csdata,"",@progbits
; Kernel info:
; codeLenInByte = 0
; TotalNumSgprs: 0
; NumVgprs: 0
; ScratchSize: 0
; MemoryBound: 0
; FloatMode: 240
; IeeeMode: 1
; LDSByteSize: 0 bytes/workgroup (compile time only)
; SGPRBlocks: 0
; VGPRBlocks: 0
; NumSGPRsForWavesPerEU: 1
; NumVGPRsForWavesPerEU: 1
; NamedBarCnt: 0
; Occupancy: 16
; WaveLimiterHint : 0
; COMPUTE_PGM_RSRC2:SCRATCH_EN: 0
; COMPUTE_PGM_RSRC2:USER_SGPR: 2
; COMPUTE_PGM_RSRC2:TRAP_HANDLER: 0
; COMPUTE_PGM_RSRC2:TGID_X_EN: 1
; COMPUTE_PGM_RSRC2:TGID_Y_EN: 0
; COMPUTE_PGM_RSRC2:TGID_Z_EN: 0
; COMPUTE_PGM_RSRC2:TIDIG_COMP_CNT: 0
	.section	.text._ZN7rocprim17ROCPRIM_400000_NS6detail17trampoline_kernelINS0_13kernel_configILj256ELj4ELj4294967295EEENS1_37radix_sort_block_sort_config_selectorIbNS0_10empty_typeEEEZNS1_21radix_sort_block_sortIS4_Lb1EPKbPbPS6_SC_NS0_19identity_decomposerEEE10hipError_tT1_T2_T3_T4_jRjT5_jjP12ihipStream_tbEUlT_E_NS1_11comp_targetILNS1_3genE0ELNS1_11target_archE4294967295ELNS1_3gpuE0ELNS1_3repE0EEENS1_44radix_sort_block_sort_config_static_selectorELNS0_4arch9wavefront6targetE0EEEvSF_,"axG",@progbits,_ZN7rocprim17ROCPRIM_400000_NS6detail17trampoline_kernelINS0_13kernel_configILj256ELj4ELj4294967295EEENS1_37radix_sort_block_sort_config_selectorIbNS0_10empty_typeEEEZNS1_21radix_sort_block_sortIS4_Lb1EPKbPbPS6_SC_NS0_19identity_decomposerEEE10hipError_tT1_T2_T3_T4_jRjT5_jjP12ihipStream_tbEUlT_E_NS1_11comp_targetILNS1_3genE0ELNS1_11target_archE4294967295ELNS1_3gpuE0ELNS1_3repE0EEENS1_44radix_sort_block_sort_config_static_selectorELNS0_4arch9wavefront6targetE0EEEvSF_,comdat
	.protected	_ZN7rocprim17ROCPRIM_400000_NS6detail17trampoline_kernelINS0_13kernel_configILj256ELj4ELj4294967295EEENS1_37radix_sort_block_sort_config_selectorIbNS0_10empty_typeEEEZNS1_21radix_sort_block_sortIS4_Lb1EPKbPbPS6_SC_NS0_19identity_decomposerEEE10hipError_tT1_T2_T3_T4_jRjT5_jjP12ihipStream_tbEUlT_E_NS1_11comp_targetILNS1_3genE0ELNS1_11target_archE4294967295ELNS1_3gpuE0ELNS1_3repE0EEENS1_44radix_sort_block_sort_config_static_selectorELNS0_4arch9wavefront6targetE0EEEvSF_ ; -- Begin function _ZN7rocprim17ROCPRIM_400000_NS6detail17trampoline_kernelINS0_13kernel_configILj256ELj4ELj4294967295EEENS1_37radix_sort_block_sort_config_selectorIbNS0_10empty_typeEEEZNS1_21radix_sort_block_sortIS4_Lb1EPKbPbPS6_SC_NS0_19identity_decomposerEEE10hipError_tT1_T2_T3_T4_jRjT5_jjP12ihipStream_tbEUlT_E_NS1_11comp_targetILNS1_3genE0ELNS1_11target_archE4294967295ELNS1_3gpuE0ELNS1_3repE0EEENS1_44radix_sort_block_sort_config_static_selectorELNS0_4arch9wavefront6targetE0EEEvSF_
	.globl	_ZN7rocprim17ROCPRIM_400000_NS6detail17trampoline_kernelINS0_13kernel_configILj256ELj4ELj4294967295EEENS1_37radix_sort_block_sort_config_selectorIbNS0_10empty_typeEEEZNS1_21radix_sort_block_sortIS4_Lb1EPKbPbPS6_SC_NS0_19identity_decomposerEEE10hipError_tT1_T2_T3_T4_jRjT5_jjP12ihipStream_tbEUlT_E_NS1_11comp_targetILNS1_3genE0ELNS1_11target_archE4294967295ELNS1_3gpuE0ELNS1_3repE0EEENS1_44radix_sort_block_sort_config_static_selectorELNS0_4arch9wavefront6targetE0EEEvSF_
	.p2align	8
	.type	_ZN7rocprim17ROCPRIM_400000_NS6detail17trampoline_kernelINS0_13kernel_configILj256ELj4ELj4294967295EEENS1_37radix_sort_block_sort_config_selectorIbNS0_10empty_typeEEEZNS1_21radix_sort_block_sortIS4_Lb1EPKbPbPS6_SC_NS0_19identity_decomposerEEE10hipError_tT1_T2_T3_T4_jRjT5_jjP12ihipStream_tbEUlT_E_NS1_11comp_targetILNS1_3genE0ELNS1_11target_archE4294967295ELNS1_3gpuE0ELNS1_3repE0EEENS1_44radix_sort_block_sort_config_static_selectorELNS0_4arch9wavefront6targetE0EEEvSF_,@function
_ZN7rocprim17ROCPRIM_400000_NS6detail17trampoline_kernelINS0_13kernel_configILj256ELj4ELj4294967295EEENS1_37radix_sort_block_sort_config_selectorIbNS0_10empty_typeEEEZNS1_21radix_sort_block_sortIS4_Lb1EPKbPbPS6_SC_NS0_19identity_decomposerEEE10hipError_tT1_T2_T3_T4_jRjT5_jjP12ihipStream_tbEUlT_E_NS1_11comp_targetILNS1_3genE0ELNS1_11target_archE4294967295ELNS1_3gpuE0ELNS1_3repE0EEENS1_44radix_sort_block_sort_config_static_selectorELNS0_4arch9wavefront6targetE0EEEvSF_: ; @_ZN7rocprim17ROCPRIM_400000_NS6detail17trampoline_kernelINS0_13kernel_configILj256ELj4ELj4294967295EEENS1_37radix_sort_block_sort_config_selectorIbNS0_10empty_typeEEEZNS1_21radix_sort_block_sortIS4_Lb1EPKbPbPS6_SC_NS0_19identity_decomposerEEE10hipError_tT1_T2_T3_T4_jRjT5_jjP12ihipStream_tbEUlT_E_NS1_11comp_targetILNS1_3genE0ELNS1_11target_archE4294967295ELNS1_3gpuE0ELNS1_3repE0EEENS1_44radix_sort_block_sort_config_static_selectorELNS0_4arch9wavefront6targetE0EEEvSF_
; %bb.0:
	s_clause 0x1
	s_load_b128 s[12:15], s[0:1], 0x0
	s_load_b32 s2, s[0:1], 0x20
	s_bfe_u32 s3, ttmp6, 0x4000c
	s_and_b32 s4, ttmp6, 15
	s_add_co_i32 s3, s3, 1
	s_getreg_b32 s5, hwreg(HW_REG_IB_STS2, 6, 4)
	s_mul_i32 s3, ttmp9, s3
	v_and_b32_e32 v8, 0x3ff, v0
	s_add_co_i32 s4, s4, s3
	s_cmp_eq_u32 s5, 0
	v_mbcnt_lo_u32_b32 v2, -1, 0
	s_cselect_b32 s3, ttmp9, s4
	v_dual_mov_b32 v3, 0 :: v_dual_lshlrev_b32 v1, 2, v8
	s_mov_b32 s17, 0
	s_lshl_b32 s16, s3, 10
	s_delay_alu instid0(VALU_DEP_1) | instskip(NEXT) | instid1(VALU_DEP_2)
	v_mov_b32_e32 v5, v3
	v_and_b32_e32 v4, 0x380, v1
	s_wait_kmcnt 0x0
	s_add_nc_u64 s[4:5], s[12:13], s[16:17]
	s_delay_alu instid0(SALU_CYCLE_1) | instskip(SKIP_1) | instid1(SALU_CYCLE_1)
	v_add_nc_u64_e32 v[6:7], s[4:5], v[2:3]
	s_lshr_b32 s4, s2, 10
	s_cmp_lg_u32 s3, s4
	s_cselect_b32 s21, -1, 0
	s_cmp_eq_u32 s3, s4
	s_delay_alu instid0(VALU_DEP_1)
	v_add_nc_u64_e32 v[6:7], v[6:7], v[4:5]
	s_mov_b32 s4, -1
	s_cbranch_scc1 .LBB1641_2
; %bb.1:
	s_clause 0x2
	global_load_u8 v3, v[6:7], off offset:64
	global_load_u8 v5, v[6:7], off offset:32
	global_load_u8 v1, v[6:7], off
	s_mov_b32 s3, -1
	s_load_b64 s[18:19], s[0:1], 0x28
	s_sub_co_i32 s20, s2, s16
                                        ; implicit-def: $vgpr9
	s_cbranch_execnz .LBB1641_10
	s_branch .LBB1641_3
.LBB1641_2:
	s_mov_b32 s3, s17
                                        ; implicit-def: $vgpr1
                                        ; implicit-def: $vgpr5
                                        ; implicit-def: $vgpr3
	s_load_b64 s[18:19], s[0:1], 0x28
	s_and_not1_b32 vcc_lo, exec_lo, s4
	s_sub_co_i32 s20, s2, s16
                                        ; implicit-def: $vgpr9
	s_cbranch_vccnz .LBB1641_10
.LBB1641_3:
	s_wait_loadcnt 0x2
	v_dual_mov_b32 v3, 0 :: v_dual_bitop2_b32 v10, v2, v4 bitop3:0x54
	s_wait_loadcnt 0x0
	v_dual_mov_b32 v1, 0 :: v_dual_mov_b32 v9, 0
	s_mov_b32 s2, exec_lo
	s_delay_alu instid0(VALU_DEP_2)
	v_cmpx_gt_u32_e64 s20, v10
	s_cbranch_execz .LBB1641_5
; %bb.4:
	global_load_u8 v1, v[6:7], off
	v_mov_b32_e32 v9, 0
.LBB1641_5:
	s_wait_xcnt 0x0
	s_or_b32 exec_lo, exec_lo, s2
	v_or_b32_e32 v5, 32, v10
	s_delay_alu instid0(VALU_DEP_1)
	v_cmp_gt_u32_e32 vcc_lo, s20, v5
	v_mov_b32_e32 v5, v3
	s_and_saveexec_b32 s2, vcc_lo
	s_cbranch_execz .LBB1641_7
; %bb.6:
	global_load_u8 v5, v[6:7], off offset:32
.LBB1641_7:
	s_wait_xcnt 0x0
	s_or_b32 exec_lo, exec_lo, s2
	v_or_b32_e32 v11, 64, v10
	s_mov_b32 s2, exec_lo
	s_delay_alu instid0(VALU_DEP_1)
	v_cmpx_gt_u32_e64 s20, v11
	s_cbranch_execz .LBB1641_9
; %bb.8:
	global_load_u8 v3, v[6:7], off offset:64
.LBB1641_9:
	s_wait_xcnt 0x0
	s_or_b32 exec_lo, exec_lo, s2
	v_or_b32_e32 v10, 0x60, v10
	s_delay_alu instid0(VALU_DEP_1)
	v_cmp_gt_u32_e64 s3, s20, v10
.LBB1641_10:
	s_delay_alu instid0(VALU_DEP_1)
	s_and_saveexec_b32 s2, s3
	s_cbranch_execz .LBB1641_12
; %bb.11:
	global_load_u8 v9, v[6:7], off offset:96
.LBB1641_12:
	s_wait_xcnt 0x0
	s_or_b32 exec_lo, exec_lo, s2
	s_load_b32 s3, s[0:1], 0x3c
	s_wait_loadcnt 0x0
	v_and_b32_e32 v5, 1, v5
	v_and_b32_e32 v3, 1, v3
	v_bfe_u32 v7, v0, 10, 10
	v_bfe_u32 v0, v0, 20, 10
	v_dual_lshlrev_b32 v9, 5, v8 :: v_dual_bitop2_b32 v6, 1, v9 bitop3:0x40
	s_wait_xcnt 0x0
	v_cmp_eq_u32_e64 s0, 1, v5
	v_cmp_eq_u32_e64 s2, 1, v3
	v_and_b32_e32 v1, 1, v1
	v_cmp_eq_u32_e64 s1, 1, v6
	s_get_pc_i64 s[4:5]
	s_add_nc_u64 s[4:5], s[4:5], _ZN7rocprim17ROCPRIM_400000_NS16block_radix_sortIbLj256ELj4ENS0_10empty_typeELj1ELj1ELj0ELNS0_26block_radix_rank_algorithmE1ELNS0_18block_padding_hintE2ELNS0_4arch9wavefront6targetE0EE19radix_bits_per_passE@rel64+4
	s_xor_b32 s0, s0, -1
	v_and_b32_e32 v10, 0x3e0, v8
	v_cndmask_b32_e64 v3, 0, 1, s0
	v_cmp_eq_u32_e32 vcc_lo, 1, v1
	s_xor_b32 s1, s1, -1
	s_load_b32 s22, s[4:5], 0x0
	v_cndmask_b32_e64 v5, 0, 1, s1
	v_lshlrev_b16 v3, 8, v3
	s_wait_kmcnt 0x0
	s_lshr_b32 s0, s3, 16
	s_xor_b32 s6, vcc_lo, -1
	v_mad_u32_u24 v0, v0, s0, v7
	s_xor_b32 s0, s2, -1
	v_cndmask_b32_e64 v1, 0, 1, s6
	v_cndmask_b32_e64 v6, 0, 1, s0
	s_and_b32 s0, s3, 0xffff
	v_lshlrev_b16 v5, 8, v5
	v_mad_u32 v0, v0, s0, v8
	v_and_b32_e32 v7, 15, v2
	s_mov_b32 s24, 0
	v_cmp_gt_u32_e64 s7, 8, v8
	s_mov_b32 s25, s24
	s_mov_b32 s26, s24
	;; [unrolled: 1-line block ×3, first 2 shown]
	v_cmp_lt_u32_e64 s8, 31, v8
	v_mov_b64_e32 v[12:13], s[26:27]
	v_cmp_eq_u32_e64 s9, 0, v8
	s_add_co_i32 s23, s19, s18
	v_lshrrev_b32_e32 v0, 3, v0
	v_add_nc_u32_e32 v20, v2, v4
	s_delay_alu instid0(VALU_DEP_2) | instskip(SKIP_1) | instid1(VALU_DEP_1)
	v_and_b32_e32 v14, 0x1ffffffc, v0
	v_sub_co_u32 v0, s2, v2, 1
	v_cmp_gt_i32_e32 vcc_lo, 0, v0
	v_dual_cndmask_b32 v0, v0, v2, vcc_lo :: v_dual_bitop2_b32 v1, v1, v3 bitop3:0x54
	s_delay_alu instid0(VALU_DEP_1) | instskip(SKIP_2) | instid1(VALU_DEP_4)
	v_lshlrev_b32_e32 v16, 2, v0
	v_mul_i32_i24_e32 v0, 0xffffffe4, v8
	v_or_b32_e32 v3, v6, v5
	v_and_b32_e32 v1, 0xffff, v1
	v_min_u32_e32 v6, 0xe0, v10
	v_mov_b64_e32 v[10:11], s[24:25]
	s_delay_alu instid0(VALU_DEP_4) | instskip(NEXT) | instid1(VALU_DEP_3)
	v_dual_add_nc_u32 v19, v9, v0 :: v_dual_lshlrev_b32 v3, 16, v3
	v_or_b32_e32 v6, 31, v6
	s_delay_alu instid0(VALU_DEP_2)
	v_dual_lshrrev_b32 v1, 3, v8 :: v_dual_bitop2_b32 v15, v1, v3 bitop3:0x54
	v_and_b32_e32 v3, 7, v2
	v_cmp_eq_u32_e64 s0, 0, v7
	v_cmp_lt_u32_e64 s1, 1, v7
	v_cmp_lt_u32_e64 s3, 3, v7
	v_and_b32_e32 v17, 0x7c, v1
	v_and_b32_e32 v5, 16, v2
	v_cmp_lt_u32_e64 s4, 7, v7
	v_cmp_eq_u32_e64 s6, v8, v6
	v_cmp_eq_u32_e64 s10, 0, v3
	v_cmp_lt_u32_e64 s11, 1, v3
	v_cmp_lt_u32_e64 s12, 3, v3
	v_add_nc_u32_e32 v18, -4, v17
	v_cmp_eq_u32_e64 s5, 0, v5
	s_branch .LBB1641_14
.LBB1641_13:                            ;   in Loop: Header=BB1641_14 Depth=1
	s_and_not1_b32 vcc_lo, exec_lo, s24
	s_mov_b32 s19, s13
	s_cbranch_vccz .LBB1641_30
.LBB1641_14:                            ; =>This Inner Loop Header: Depth=1
	v_and_b32_e32 v0, 0xff, v15
	s_min_u32 s13, s22, s19
	ds_store_2addr_b64 v9, v[10:11], v[12:13] offset0:4 offset1:5
	ds_store_2addr_b64 v9, v[10:11], v[12:13] offset0:6 offset1:7
	s_lshl_b32 s24, -1, s13
	s_wait_dscnt 0x0
	v_lshrrev_b32_e32 v0, s18, v0
	s_barrier_signal -1
	s_barrier_wait -1
	s_delay_alu instid0(VALU_DEP_1) | instskip(NEXT) | instid1(VALU_DEP_1)
	v_bitop3_b32 v1, v0, s24, v0 bitop3:0x30
	; wave barrier
	v_add_co_u32 v0, s13, v1, -1
	s_delay_alu instid0(VALU_DEP_1) | instskip(SKIP_1) | instid1(VALU_DEP_2)
	v_cndmask_b32_e64 v2, 0, 1, s13
	v_lshlrev_b32_e32 v1, 5, v1
	v_cmp_ne_u32_e32 vcc_lo, 0, v2
	s_delay_alu instid0(VALU_DEP_2) | instskip(SKIP_1) | instid1(VALU_DEP_1)
	v_add_nc_u32_e32 v22, v14, v1
	v_bitop3_b32 v0, vcc_lo, exec_lo, v0 bitop3:0x48
	v_mbcnt_lo_u32_b32 v21, v0, 0
	v_cmp_ne_u32_e64 s13, 0, v0
	s_delay_alu instid0(VALU_DEP_2) | instskip(SKIP_1) | instid1(SALU_CYCLE_1)
	v_cmp_eq_u32_e32 vcc_lo, 0, v21
	s_and_b32 s25, s13, vcc_lo
	s_and_saveexec_b32 s13, s25
; %bb.15:                               ;   in Loop: Header=BB1641_14 Depth=1
	v_bcnt_u32_b32 v0, v0, 0
	ds_store_b32 v22, v0 offset:32
; %bb.16:                               ;   in Loop: Header=BB1641_14 Depth=1
	s_or_b32 exec_lo, exec_lo, s13
	v_bfe_u32 v0, v15, 8, 8
	s_not_b32 s24, s24
	; wave barrier
	s_delay_alu instid0(VALU_DEP_1) | instskip(NEXT) | instid1(VALU_DEP_1)
	v_lshrrev_b32_e32 v0, s18, v0
	v_and_b32_e32 v0, s24, v0
	s_delay_alu instid0(VALU_DEP_1) | instskip(SKIP_1) | instid1(VALU_DEP_1)
	v_lshlrev_b32_e32 v1, 5, v0
	v_add_co_u32 v0, s13, v0, -1
	v_cndmask_b32_e64 v2, 0, 1, s13
	s_delay_alu instid0(VALU_DEP_3) | instskip(NEXT) | instid1(VALU_DEP_2)
	v_add_nc_u32_e32 v25, v14, v1
	v_cmp_ne_u32_e32 vcc_lo, 0, v2
	ds_load_b32 v24, v25 offset:32
	; wave barrier
	v_bitop3_b32 v0, vcc_lo, exec_lo, v0 bitop3:0x48
	s_delay_alu instid0(VALU_DEP_1) | instskip(SKIP_1) | instid1(VALU_DEP_2)
	v_mbcnt_lo_u32_b32 v26, v0, 0
	v_cmp_ne_u32_e64 s13, 0, v0
	v_cmp_eq_u32_e32 vcc_lo, 0, v26
	s_and_b32 s25, s13, vcc_lo
	s_delay_alu instid0(SALU_CYCLE_1)
	s_and_saveexec_b32 s13, s25
	s_cbranch_execz .LBB1641_18
; %bb.17:                               ;   in Loop: Header=BB1641_14 Depth=1
	s_wait_dscnt 0x0
	v_bcnt_u32_b32 v0, v0, v24
	ds_store_b32 v25, v0 offset:32
.LBB1641_18:                            ;   in Loop: Header=BB1641_14 Depth=1
	s_or_b32 exec_lo, exec_lo, s13
	v_bfe_u32 v0, v15, 16, 8
	; wave barrier
	s_delay_alu instid0(VALU_DEP_1) | instskip(NEXT) | instid1(VALU_DEP_1)
	v_lshrrev_b32_e32 v0, s18, v0
	v_and_b32_e32 v0, s24, v0
	s_delay_alu instid0(VALU_DEP_1) | instskip(SKIP_1) | instid1(VALU_DEP_1)
	v_lshlrev_b32_e32 v1, 5, v0
	v_add_co_u32 v0, s13, v0, -1
	v_cndmask_b32_e64 v2, 0, 1, s13
	s_delay_alu instid0(VALU_DEP_3) | instskip(NEXT) | instid1(VALU_DEP_2)
	v_add_nc_u32_e32 v28, v14, v1
	v_cmp_ne_u32_e32 vcc_lo, 0, v2
	ds_load_b32 v27, v28 offset:32
	; wave barrier
	v_bitop3_b32 v0, vcc_lo, exec_lo, v0 bitop3:0x48
	s_delay_alu instid0(VALU_DEP_1) | instskip(SKIP_1) | instid1(VALU_DEP_2)
	v_mbcnt_lo_u32_b32 v29, v0, 0
	v_cmp_ne_u32_e64 s13, 0, v0
	v_cmp_eq_u32_e32 vcc_lo, 0, v29
	s_and_b32 s25, s13, vcc_lo
	s_delay_alu instid0(SALU_CYCLE_1)
	s_and_saveexec_b32 s13, s25
	s_cbranch_execz .LBB1641_20
; %bb.19:                               ;   in Loop: Header=BB1641_14 Depth=1
	s_wait_dscnt 0x0
	v_bcnt_u32_b32 v0, v0, v27
	ds_store_b32 v28, v0 offset:32
.LBB1641_20:                            ;   in Loop: Header=BB1641_14 Depth=1
	s_or_b32 exec_lo, exec_lo, s13
	v_lshrrev_b32_e32 v23, 24, v15
	; wave barrier
	s_delay_alu instid0(VALU_DEP_1) | instskip(NEXT) | instid1(VALU_DEP_1)
	v_lshrrev_b32_e32 v0, s18, v23
	v_and_b32_e32 v0, s24, v0
	s_delay_alu instid0(VALU_DEP_1) | instskip(SKIP_1) | instid1(VALU_DEP_1)
	v_lshlrev_b32_e32 v1, 5, v0
	v_add_co_u32 v0, s13, v0, -1
	v_cndmask_b32_e64 v2, 0, 1, s13
	s_delay_alu instid0(VALU_DEP_3) | instskip(NEXT) | instid1(VALU_DEP_2)
	v_add_nc_u32_e32 v31, v14, v1
	v_cmp_ne_u32_e32 vcc_lo, 0, v2
	ds_load_b32 v30, v31 offset:32
	; wave barrier
	v_bitop3_b32 v0, vcc_lo, exec_lo, v0 bitop3:0x48
	s_delay_alu instid0(VALU_DEP_1) | instskip(SKIP_1) | instid1(VALU_DEP_2)
	v_mbcnt_lo_u32_b32 v32, v0, 0
	v_cmp_ne_u32_e64 s13, 0, v0
	v_cmp_eq_u32_e32 vcc_lo, 0, v32
	s_and_b32 s24, s13, vcc_lo
	s_delay_alu instid0(SALU_CYCLE_1)
	s_and_saveexec_b32 s13, s24
	s_cbranch_execz .LBB1641_22
; %bb.21:                               ;   in Loop: Header=BB1641_14 Depth=1
	s_wait_dscnt 0x0
	v_bcnt_u32_b32 v0, v0, v30
	ds_store_b32 v31, v0 offset:32
.LBB1641_22:                            ;   in Loop: Header=BB1641_14 Depth=1
	s_or_b32 exec_lo, exec_lo, s13
	; wave barrier
	s_wait_dscnt 0x0
	s_barrier_signal -1
	s_barrier_wait -1
	ds_load_2addr_b64 v[4:7], v9 offset0:4 offset1:5
	ds_load_2addr_b64 v[0:3], v9 offset0:6 offset1:7
	s_wait_dscnt 0x1
	v_add_nc_u32_e32 v33, v5, v4
	s_delay_alu instid0(VALU_DEP_1) | instskip(SKIP_1) | instid1(VALU_DEP_1)
	v_add3_u32 v33, v33, v6, v7
	s_wait_dscnt 0x0
	v_add3_u32 v33, v33, v0, v1
	s_delay_alu instid0(VALU_DEP_1) | instskip(NEXT) | instid1(VALU_DEP_1)
	v_add3_u32 v3, v33, v2, v3
	v_mov_b32_dpp v33, v3 row_shr:1 row_mask:0xf bank_mask:0xf
	s_delay_alu instid0(VALU_DEP_1) | instskip(NEXT) | instid1(VALU_DEP_1)
	v_cndmask_b32_e64 v33, v33, 0, s0
	v_add_nc_u32_e32 v3, v33, v3
	s_delay_alu instid0(VALU_DEP_1) | instskip(NEXT) | instid1(VALU_DEP_1)
	v_mov_b32_dpp v33, v3 row_shr:2 row_mask:0xf bank_mask:0xf
	v_cndmask_b32_e64 v33, 0, v33, s1
	s_delay_alu instid0(VALU_DEP_1) | instskip(NEXT) | instid1(VALU_DEP_1)
	v_add_nc_u32_e32 v3, v3, v33
	v_mov_b32_dpp v33, v3 row_shr:4 row_mask:0xf bank_mask:0xf
	s_delay_alu instid0(VALU_DEP_1) | instskip(NEXT) | instid1(VALU_DEP_1)
	v_cndmask_b32_e64 v33, 0, v33, s3
	v_add_nc_u32_e32 v3, v3, v33
	s_delay_alu instid0(VALU_DEP_1) | instskip(NEXT) | instid1(VALU_DEP_1)
	v_mov_b32_dpp v33, v3 row_shr:8 row_mask:0xf bank_mask:0xf
	v_cndmask_b32_e64 v33, 0, v33, s4
	s_delay_alu instid0(VALU_DEP_1) | instskip(SKIP_3) | instid1(VALU_DEP_1)
	v_add_nc_u32_e32 v3, v3, v33
	ds_swizzle_b32 v33, v3 offset:swizzle(BROADCAST,32,15)
	s_wait_dscnt 0x0
	v_cndmask_b32_e64 v33, v33, 0, s5
	v_add_nc_u32_e32 v3, v3, v33
	s_and_saveexec_b32 s13, s6
; %bb.23:                               ;   in Loop: Header=BB1641_14 Depth=1
	ds_store_b32 v17, v3
; %bb.24:                               ;   in Loop: Header=BB1641_14 Depth=1
	s_or_b32 exec_lo, exec_lo, s13
	s_wait_dscnt 0x0
	s_barrier_signal -1
	s_barrier_wait -1
	s_and_saveexec_b32 s13, s7
	s_cbranch_execz .LBB1641_26
; %bb.25:                               ;   in Loop: Header=BB1641_14 Depth=1
	ds_load_b32 v33, v19
	s_wait_dscnt 0x0
	v_mov_b32_dpp v34, v33 row_shr:1 row_mask:0xf bank_mask:0xf
	s_delay_alu instid0(VALU_DEP_1) | instskip(NEXT) | instid1(VALU_DEP_1)
	v_cndmask_b32_e64 v34, v34, 0, s10
	v_add_nc_u32_e32 v33, v34, v33
	s_delay_alu instid0(VALU_DEP_1) | instskip(NEXT) | instid1(VALU_DEP_1)
	v_mov_b32_dpp v34, v33 row_shr:2 row_mask:0xf bank_mask:0xf
	v_cndmask_b32_e64 v34, 0, v34, s11
	s_delay_alu instid0(VALU_DEP_1) | instskip(NEXT) | instid1(VALU_DEP_1)
	v_add_nc_u32_e32 v33, v33, v34
	v_mov_b32_dpp v34, v33 row_shr:4 row_mask:0xf bank_mask:0xf
	s_delay_alu instid0(VALU_DEP_1) | instskip(NEXT) | instid1(VALU_DEP_1)
	v_cndmask_b32_e64 v34, 0, v34, s12
	v_add_nc_u32_e32 v33, v33, v34
	ds_store_b32 v19, v33
.LBB1641_26:                            ;   in Loop: Header=BB1641_14 Depth=1
	s_or_b32 exec_lo, exec_lo, s13
	v_mov_b32_e32 v33, 0
	s_wait_dscnt 0x0
	s_barrier_signal -1
	s_barrier_wait -1
	s_and_saveexec_b32 s13, s8
; %bb.27:                               ;   in Loop: Header=BB1641_14 Depth=1
	ds_load_b32 v33, v18
; %bb.28:                               ;   in Loop: Header=BB1641_14 Depth=1
	s_or_b32 exec_lo, exec_lo, s13
	s_wait_dscnt 0x0
	v_dual_add_nc_u32 v3, v33, v3 :: v_dual_add_nc_u32 v24, v26, v24
	s_add_co_i32 s18, s18, 8
	s_mov_b32 s24, -1
	s_cmp_ge_u32 s18, s23
	ds_bpermute_b32 v3, v16, v3
	s_wait_dscnt 0x0
	v_cndmask_b32_e64 v3, v3, v33, s2
	s_delay_alu instid0(VALU_DEP_1) | instskip(NEXT) | instid1(VALU_DEP_1)
	v_cndmask_b32_e64 v34, v3, 0, s9
	v_add_nc_u32_e32 v35, v34, v4
	s_delay_alu instid0(VALU_DEP_1) | instskip(NEXT) | instid1(VALU_DEP_1)
	v_add_nc_u32_e32 v4, v35, v5
	v_add_nc_u32_e32 v5, v4, v6
	s_delay_alu instid0(VALU_DEP_1) | instskip(NEXT) | instid1(VALU_DEP_1)
	v_add_nc_u32_e32 v6, v5, v7
	;; [unrolled: 3-line block ×3, first 2 shown]
	v_add_nc_u32_e32 v1, v0, v2
	ds_store_2addr_b64 v9, v[34:35], v[4:5] offset0:4 offset1:5
	ds_store_2addr_b64 v9, v[6:7], v[0:1] offset0:6 offset1:7
	s_wait_dscnt 0x0
	s_barrier_signal -1
	s_barrier_wait -1
	ds_load_b32 v6, v22 offset:32
	ds_load_b32 v5, v25 offset:32
	;; [unrolled: 1-line block ×4, first 2 shown]
	v_dual_mov_b32 v0, v15 :: v_dual_lshrrev_b32 v2, 16, v15
	v_lshrrev_b32_e32 v1, 8, v15
	v_dual_add_nc_u32 v22, v29, v27 :: v_dual_add_nc_u32 v7, v32, v30
	s_delay_alu instid0(VALU_DEP_3)
	v_readfirstlane_b32 s13, v0
	s_wait_dscnt 0x0
	s_cbranch_scc1 .LBB1641_13
; %bb.29:                               ;   in Loop: Header=BB1641_14 Depth=1
	v_dual_add_nc_u32 v25, v6, v21 :: v_dual_add_nc_u32 v28, v7, v3
	v_dual_add_nc_u32 v26, v24, v5 :: v_dual_add_nc_u32 v27, v22, v4
	s_barrier_signal -1
	s_barrier_wait -1
	ds_store_b8 v25, v15
	ds_store_b8 v26, v1
	;; [unrolled: 1-line block ×4, first 2 shown]
	s_wait_dscnt 0x0
	s_barrier_signal -1
	s_barrier_wait -1
	ds_load_u8 v15, v20 offset:96
	ds_load_u8 v25, v20 offset:64
	ds_load_u8 v26, v20
	ds_load_u8 v27, v20 offset:32
	s_add_co_i32 s13, s19, -8
	s_mov_b32 s24, 0
	s_wait_dscnt 0x0
	s_barrier_signal -1
	s_barrier_wait -1
	v_perm_b32 v15, v25, v15, 0xc0c0004
	v_perm_b32 v25, v26, v27, 0xc0c0004
	s_delay_alu instid0(VALU_DEP_1)
	v_lshl_or_b32 v15, v15, 16, v25
	s_branch .LBB1641_13
.LBB1641_30:
	v_dual_add_nc_u32 v6, v6, v21 :: v_dual_add_nc_u32 v3, v7, v3
	v_dual_add_nc_u32 v5, v24, v5 :: v_dual_add_nc_u32 v4, v22, v4
	s_barrier_signal -1
	s_barrier_wait -1
	ds_store_b8 v6, v0
	ds_store_b8 v5, v1
	;; [unrolled: 1-line block ×4, first 2 shown]
	s_wait_dscnt 0x0
	s_barrier_signal -1
	s_barrier_wait -1
	ds_load_u8 v3, v8
	ds_load_u8 v4, v8 offset:256
	ds_load_u8 v6, v8 offset:512
	;; [unrolled: 1-line block ×3, first 2 shown]
	v_mov_b32_e32 v9, 0
	s_add_nc_u64 s[0:1], s[14:15], s[16:17]
	s_and_not1_b32 vcc_lo, exec_lo, s21
	s_wait_dscnt 0x3
	v_xor_b32_e32 v5, 1, v3
	v_add_nc_u64_e32 v[0:1], s[0:1], v[8:9]
	s_wait_dscnt 0x2
	v_xor_b32_e32 v4, 1, v4
	s_wait_dscnt 0x1
	v_xor_b32_e32 v3, 1, v6
	s_cbranch_vccnz .LBB1641_34
; %bb.31:
	s_mov_b32 s0, -1
	s_clause 0x2
	global_store_b8 v[0:1], v5, off
	global_store_b8 v[0:1], v4, off offset:256
	global_store_b8 v[0:1], v3, off offset:512
	s_cbranch_execz .LBB1641_35
; %bb.32:
	s_wait_xcnt 0x0
	s_and_saveexec_b32 s1, s0
	s_cbranch_execz .LBB1641_42
.LBB1641_33:
	s_wait_dscnt 0x0
	v_xor_b32_e32 v2, 1, v2
	global_store_b8 v[0:1], v2, off offset:768
	s_endpgm
.LBB1641_34:
	s_mov_b32 s0, 0
.LBB1641_35:
	s_mov_b32 s0, exec_lo
	s_wait_xcnt 0x0
	v_cmpx_gt_u32_e64 s20, v8
	s_cbranch_execz .LBB1641_37
; %bb.36:
	global_store_b8 v[0:1], v5, off
.LBB1641_37:
	s_wait_xcnt 0x0
	s_or_b32 exec_lo, exec_lo, s0
	v_add_nc_u32_e32 v5, 0x100, v8
	s_mov_b32 s0, exec_lo
	s_delay_alu instid0(VALU_DEP_1)
	v_cmpx_gt_u32_e64 s20, v5
	s_cbranch_execz .LBB1641_39
; %bb.38:
	global_store_b8 v[0:1], v4, off offset:256
.LBB1641_39:
	s_wait_xcnt 0x0
	s_or_b32 exec_lo, exec_lo, s0
	v_add_nc_u32_e32 v4, 0x200, v8
	s_mov_b32 s0, exec_lo
	s_delay_alu instid0(VALU_DEP_1)
	v_cmpx_gt_u32_e64 s20, v4
	s_cbranch_execz .LBB1641_41
; %bb.40:
	global_store_b8 v[0:1], v3, off offset:512
.LBB1641_41:
	s_wait_xcnt 0x0
	s_or_b32 exec_lo, exec_lo, s0
	v_add_nc_u32_e32 v3, 0x300, v8
	s_delay_alu instid0(VALU_DEP_1)
	v_cmp_gt_u32_e64 s0, s20, v3
	s_and_saveexec_b32 s1, s0
	s_cbranch_execnz .LBB1641_33
.LBB1641_42:
	s_endpgm
	.section	.rodata,"a",@progbits
	.p2align	6, 0x0
	.amdhsa_kernel _ZN7rocprim17ROCPRIM_400000_NS6detail17trampoline_kernelINS0_13kernel_configILj256ELj4ELj4294967295EEENS1_37radix_sort_block_sort_config_selectorIbNS0_10empty_typeEEEZNS1_21radix_sort_block_sortIS4_Lb1EPKbPbPS6_SC_NS0_19identity_decomposerEEE10hipError_tT1_T2_T3_T4_jRjT5_jjP12ihipStream_tbEUlT_E_NS1_11comp_targetILNS1_3genE0ELNS1_11target_archE4294967295ELNS1_3gpuE0ELNS1_3repE0EEENS1_44radix_sort_block_sort_config_static_selectorELNS0_4arch9wavefront6targetE0EEEvSF_
		.amdhsa_group_segment_fixed_size 8224
		.amdhsa_private_segment_fixed_size 0
		.amdhsa_kernarg_size 304
		.amdhsa_user_sgpr_count 2
		.amdhsa_user_sgpr_dispatch_ptr 0
		.amdhsa_user_sgpr_queue_ptr 0
		.amdhsa_user_sgpr_kernarg_segment_ptr 1
		.amdhsa_user_sgpr_dispatch_id 0
		.amdhsa_user_sgpr_kernarg_preload_length 0
		.amdhsa_user_sgpr_kernarg_preload_offset 0
		.amdhsa_user_sgpr_private_segment_size 0
		.amdhsa_wavefront_size32 1
		.amdhsa_uses_dynamic_stack 0
		.amdhsa_enable_private_segment 0
		.amdhsa_system_sgpr_workgroup_id_x 1
		.amdhsa_system_sgpr_workgroup_id_y 0
		.amdhsa_system_sgpr_workgroup_id_z 0
		.amdhsa_system_sgpr_workgroup_info 0
		.amdhsa_system_vgpr_workitem_id 2
		.amdhsa_next_free_vgpr 36
		.amdhsa_next_free_sgpr 28
		.amdhsa_named_barrier_count 0
		.amdhsa_reserve_vcc 1
		.amdhsa_float_round_mode_32 0
		.amdhsa_float_round_mode_16_64 0
		.amdhsa_float_denorm_mode_32 3
		.amdhsa_float_denorm_mode_16_64 3
		.amdhsa_fp16_overflow 0
		.amdhsa_memory_ordered 1
		.amdhsa_forward_progress 1
		.amdhsa_inst_pref_size 21
		.amdhsa_round_robin_scheduling 0
		.amdhsa_exception_fp_ieee_invalid_op 0
		.amdhsa_exception_fp_denorm_src 0
		.amdhsa_exception_fp_ieee_div_zero 0
		.amdhsa_exception_fp_ieee_overflow 0
		.amdhsa_exception_fp_ieee_underflow 0
		.amdhsa_exception_fp_ieee_inexact 0
		.amdhsa_exception_int_div_zero 0
	.end_amdhsa_kernel
	.section	.text._ZN7rocprim17ROCPRIM_400000_NS6detail17trampoline_kernelINS0_13kernel_configILj256ELj4ELj4294967295EEENS1_37radix_sort_block_sort_config_selectorIbNS0_10empty_typeEEEZNS1_21radix_sort_block_sortIS4_Lb1EPKbPbPS6_SC_NS0_19identity_decomposerEEE10hipError_tT1_T2_T3_T4_jRjT5_jjP12ihipStream_tbEUlT_E_NS1_11comp_targetILNS1_3genE0ELNS1_11target_archE4294967295ELNS1_3gpuE0ELNS1_3repE0EEENS1_44radix_sort_block_sort_config_static_selectorELNS0_4arch9wavefront6targetE0EEEvSF_,"axG",@progbits,_ZN7rocprim17ROCPRIM_400000_NS6detail17trampoline_kernelINS0_13kernel_configILj256ELj4ELj4294967295EEENS1_37radix_sort_block_sort_config_selectorIbNS0_10empty_typeEEEZNS1_21radix_sort_block_sortIS4_Lb1EPKbPbPS6_SC_NS0_19identity_decomposerEEE10hipError_tT1_T2_T3_T4_jRjT5_jjP12ihipStream_tbEUlT_E_NS1_11comp_targetILNS1_3genE0ELNS1_11target_archE4294967295ELNS1_3gpuE0ELNS1_3repE0EEENS1_44radix_sort_block_sort_config_static_selectorELNS0_4arch9wavefront6targetE0EEEvSF_,comdat
.Lfunc_end1641:
	.size	_ZN7rocprim17ROCPRIM_400000_NS6detail17trampoline_kernelINS0_13kernel_configILj256ELj4ELj4294967295EEENS1_37radix_sort_block_sort_config_selectorIbNS0_10empty_typeEEEZNS1_21radix_sort_block_sortIS4_Lb1EPKbPbPS6_SC_NS0_19identity_decomposerEEE10hipError_tT1_T2_T3_T4_jRjT5_jjP12ihipStream_tbEUlT_E_NS1_11comp_targetILNS1_3genE0ELNS1_11target_archE4294967295ELNS1_3gpuE0ELNS1_3repE0EEENS1_44radix_sort_block_sort_config_static_selectorELNS0_4arch9wavefront6targetE0EEEvSF_, .Lfunc_end1641-_ZN7rocprim17ROCPRIM_400000_NS6detail17trampoline_kernelINS0_13kernel_configILj256ELj4ELj4294967295EEENS1_37radix_sort_block_sort_config_selectorIbNS0_10empty_typeEEEZNS1_21radix_sort_block_sortIS4_Lb1EPKbPbPS6_SC_NS0_19identity_decomposerEEE10hipError_tT1_T2_T3_T4_jRjT5_jjP12ihipStream_tbEUlT_E_NS1_11comp_targetILNS1_3genE0ELNS1_11target_archE4294967295ELNS1_3gpuE0ELNS1_3repE0EEENS1_44radix_sort_block_sort_config_static_selectorELNS0_4arch9wavefront6targetE0EEEvSF_
                                        ; -- End function
	.set _ZN7rocprim17ROCPRIM_400000_NS6detail17trampoline_kernelINS0_13kernel_configILj256ELj4ELj4294967295EEENS1_37radix_sort_block_sort_config_selectorIbNS0_10empty_typeEEEZNS1_21radix_sort_block_sortIS4_Lb1EPKbPbPS6_SC_NS0_19identity_decomposerEEE10hipError_tT1_T2_T3_T4_jRjT5_jjP12ihipStream_tbEUlT_E_NS1_11comp_targetILNS1_3genE0ELNS1_11target_archE4294967295ELNS1_3gpuE0ELNS1_3repE0EEENS1_44radix_sort_block_sort_config_static_selectorELNS0_4arch9wavefront6targetE0EEEvSF_.num_vgpr, 36
	.set _ZN7rocprim17ROCPRIM_400000_NS6detail17trampoline_kernelINS0_13kernel_configILj256ELj4ELj4294967295EEENS1_37radix_sort_block_sort_config_selectorIbNS0_10empty_typeEEEZNS1_21radix_sort_block_sortIS4_Lb1EPKbPbPS6_SC_NS0_19identity_decomposerEEE10hipError_tT1_T2_T3_T4_jRjT5_jjP12ihipStream_tbEUlT_E_NS1_11comp_targetILNS1_3genE0ELNS1_11target_archE4294967295ELNS1_3gpuE0ELNS1_3repE0EEENS1_44radix_sort_block_sort_config_static_selectorELNS0_4arch9wavefront6targetE0EEEvSF_.num_agpr, 0
	.set _ZN7rocprim17ROCPRIM_400000_NS6detail17trampoline_kernelINS0_13kernel_configILj256ELj4ELj4294967295EEENS1_37radix_sort_block_sort_config_selectorIbNS0_10empty_typeEEEZNS1_21radix_sort_block_sortIS4_Lb1EPKbPbPS6_SC_NS0_19identity_decomposerEEE10hipError_tT1_T2_T3_T4_jRjT5_jjP12ihipStream_tbEUlT_E_NS1_11comp_targetILNS1_3genE0ELNS1_11target_archE4294967295ELNS1_3gpuE0ELNS1_3repE0EEENS1_44radix_sort_block_sort_config_static_selectorELNS0_4arch9wavefront6targetE0EEEvSF_.numbered_sgpr, 28
	.set _ZN7rocprim17ROCPRIM_400000_NS6detail17trampoline_kernelINS0_13kernel_configILj256ELj4ELj4294967295EEENS1_37radix_sort_block_sort_config_selectorIbNS0_10empty_typeEEEZNS1_21radix_sort_block_sortIS4_Lb1EPKbPbPS6_SC_NS0_19identity_decomposerEEE10hipError_tT1_T2_T3_T4_jRjT5_jjP12ihipStream_tbEUlT_E_NS1_11comp_targetILNS1_3genE0ELNS1_11target_archE4294967295ELNS1_3gpuE0ELNS1_3repE0EEENS1_44radix_sort_block_sort_config_static_selectorELNS0_4arch9wavefront6targetE0EEEvSF_.num_named_barrier, 0
	.set _ZN7rocprim17ROCPRIM_400000_NS6detail17trampoline_kernelINS0_13kernel_configILj256ELj4ELj4294967295EEENS1_37radix_sort_block_sort_config_selectorIbNS0_10empty_typeEEEZNS1_21radix_sort_block_sortIS4_Lb1EPKbPbPS6_SC_NS0_19identity_decomposerEEE10hipError_tT1_T2_T3_T4_jRjT5_jjP12ihipStream_tbEUlT_E_NS1_11comp_targetILNS1_3genE0ELNS1_11target_archE4294967295ELNS1_3gpuE0ELNS1_3repE0EEENS1_44radix_sort_block_sort_config_static_selectorELNS0_4arch9wavefront6targetE0EEEvSF_.private_seg_size, 0
	.set _ZN7rocprim17ROCPRIM_400000_NS6detail17trampoline_kernelINS0_13kernel_configILj256ELj4ELj4294967295EEENS1_37radix_sort_block_sort_config_selectorIbNS0_10empty_typeEEEZNS1_21radix_sort_block_sortIS4_Lb1EPKbPbPS6_SC_NS0_19identity_decomposerEEE10hipError_tT1_T2_T3_T4_jRjT5_jjP12ihipStream_tbEUlT_E_NS1_11comp_targetILNS1_3genE0ELNS1_11target_archE4294967295ELNS1_3gpuE0ELNS1_3repE0EEENS1_44radix_sort_block_sort_config_static_selectorELNS0_4arch9wavefront6targetE0EEEvSF_.uses_vcc, 1
	.set _ZN7rocprim17ROCPRIM_400000_NS6detail17trampoline_kernelINS0_13kernel_configILj256ELj4ELj4294967295EEENS1_37radix_sort_block_sort_config_selectorIbNS0_10empty_typeEEEZNS1_21radix_sort_block_sortIS4_Lb1EPKbPbPS6_SC_NS0_19identity_decomposerEEE10hipError_tT1_T2_T3_T4_jRjT5_jjP12ihipStream_tbEUlT_E_NS1_11comp_targetILNS1_3genE0ELNS1_11target_archE4294967295ELNS1_3gpuE0ELNS1_3repE0EEENS1_44radix_sort_block_sort_config_static_selectorELNS0_4arch9wavefront6targetE0EEEvSF_.uses_flat_scratch, 0
	.set _ZN7rocprim17ROCPRIM_400000_NS6detail17trampoline_kernelINS0_13kernel_configILj256ELj4ELj4294967295EEENS1_37radix_sort_block_sort_config_selectorIbNS0_10empty_typeEEEZNS1_21radix_sort_block_sortIS4_Lb1EPKbPbPS6_SC_NS0_19identity_decomposerEEE10hipError_tT1_T2_T3_T4_jRjT5_jjP12ihipStream_tbEUlT_E_NS1_11comp_targetILNS1_3genE0ELNS1_11target_archE4294967295ELNS1_3gpuE0ELNS1_3repE0EEENS1_44radix_sort_block_sort_config_static_selectorELNS0_4arch9wavefront6targetE0EEEvSF_.has_dyn_sized_stack, 0
	.set _ZN7rocprim17ROCPRIM_400000_NS6detail17trampoline_kernelINS0_13kernel_configILj256ELj4ELj4294967295EEENS1_37radix_sort_block_sort_config_selectorIbNS0_10empty_typeEEEZNS1_21radix_sort_block_sortIS4_Lb1EPKbPbPS6_SC_NS0_19identity_decomposerEEE10hipError_tT1_T2_T3_T4_jRjT5_jjP12ihipStream_tbEUlT_E_NS1_11comp_targetILNS1_3genE0ELNS1_11target_archE4294967295ELNS1_3gpuE0ELNS1_3repE0EEENS1_44radix_sort_block_sort_config_static_selectorELNS0_4arch9wavefront6targetE0EEEvSF_.has_recursion, 0
	.set _ZN7rocprim17ROCPRIM_400000_NS6detail17trampoline_kernelINS0_13kernel_configILj256ELj4ELj4294967295EEENS1_37radix_sort_block_sort_config_selectorIbNS0_10empty_typeEEEZNS1_21radix_sort_block_sortIS4_Lb1EPKbPbPS6_SC_NS0_19identity_decomposerEEE10hipError_tT1_T2_T3_T4_jRjT5_jjP12ihipStream_tbEUlT_E_NS1_11comp_targetILNS1_3genE0ELNS1_11target_archE4294967295ELNS1_3gpuE0ELNS1_3repE0EEENS1_44radix_sort_block_sort_config_static_selectorELNS0_4arch9wavefront6targetE0EEEvSF_.has_indirect_call, 0
	.section	.AMDGPU.csdata,"",@progbits
; Kernel info:
; codeLenInByte = 2664
; TotalNumSgprs: 30
; NumVgprs: 36
; ScratchSize: 0
; MemoryBound: 0
; FloatMode: 240
; IeeeMode: 1
; LDSByteSize: 8224 bytes/workgroup (compile time only)
; SGPRBlocks: 0
; VGPRBlocks: 2
; NumSGPRsForWavesPerEU: 30
; NumVGPRsForWavesPerEU: 36
; NamedBarCnt: 0
; Occupancy: 16
; WaveLimiterHint : 1
; COMPUTE_PGM_RSRC2:SCRATCH_EN: 0
; COMPUTE_PGM_RSRC2:USER_SGPR: 2
; COMPUTE_PGM_RSRC2:TRAP_HANDLER: 0
; COMPUTE_PGM_RSRC2:TGID_X_EN: 1
; COMPUTE_PGM_RSRC2:TGID_Y_EN: 0
; COMPUTE_PGM_RSRC2:TGID_Z_EN: 0
; COMPUTE_PGM_RSRC2:TIDIG_COMP_CNT: 2
	.section	.text._ZN7rocprim17ROCPRIM_400000_NS6detail17trampoline_kernelINS0_13kernel_configILj256ELj4ELj4294967295EEENS1_37radix_sort_block_sort_config_selectorIbNS0_10empty_typeEEEZNS1_21radix_sort_block_sortIS4_Lb1EPKbPbPS6_SC_NS0_19identity_decomposerEEE10hipError_tT1_T2_T3_T4_jRjT5_jjP12ihipStream_tbEUlT_E_NS1_11comp_targetILNS1_3genE5ELNS1_11target_archE942ELNS1_3gpuE9ELNS1_3repE0EEENS1_44radix_sort_block_sort_config_static_selectorELNS0_4arch9wavefront6targetE0EEEvSF_,"axG",@progbits,_ZN7rocprim17ROCPRIM_400000_NS6detail17trampoline_kernelINS0_13kernel_configILj256ELj4ELj4294967295EEENS1_37radix_sort_block_sort_config_selectorIbNS0_10empty_typeEEEZNS1_21radix_sort_block_sortIS4_Lb1EPKbPbPS6_SC_NS0_19identity_decomposerEEE10hipError_tT1_T2_T3_T4_jRjT5_jjP12ihipStream_tbEUlT_E_NS1_11comp_targetILNS1_3genE5ELNS1_11target_archE942ELNS1_3gpuE9ELNS1_3repE0EEENS1_44radix_sort_block_sort_config_static_selectorELNS0_4arch9wavefront6targetE0EEEvSF_,comdat
	.protected	_ZN7rocprim17ROCPRIM_400000_NS6detail17trampoline_kernelINS0_13kernel_configILj256ELj4ELj4294967295EEENS1_37radix_sort_block_sort_config_selectorIbNS0_10empty_typeEEEZNS1_21radix_sort_block_sortIS4_Lb1EPKbPbPS6_SC_NS0_19identity_decomposerEEE10hipError_tT1_T2_T3_T4_jRjT5_jjP12ihipStream_tbEUlT_E_NS1_11comp_targetILNS1_3genE5ELNS1_11target_archE942ELNS1_3gpuE9ELNS1_3repE0EEENS1_44radix_sort_block_sort_config_static_selectorELNS0_4arch9wavefront6targetE0EEEvSF_ ; -- Begin function _ZN7rocprim17ROCPRIM_400000_NS6detail17trampoline_kernelINS0_13kernel_configILj256ELj4ELj4294967295EEENS1_37radix_sort_block_sort_config_selectorIbNS0_10empty_typeEEEZNS1_21radix_sort_block_sortIS4_Lb1EPKbPbPS6_SC_NS0_19identity_decomposerEEE10hipError_tT1_T2_T3_T4_jRjT5_jjP12ihipStream_tbEUlT_E_NS1_11comp_targetILNS1_3genE5ELNS1_11target_archE942ELNS1_3gpuE9ELNS1_3repE0EEENS1_44radix_sort_block_sort_config_static_selectorELNS0_4arch9wavefront6targetE0EEEvSF_
	.globl	_ZN7rocprim17ROCPRIM_400000_NS6detail17trampoline_kernelINS0_13kernel_configILj256ELj4ELj4294967295EEENS1_37radix_sort_block_sort_config_selectorIbNS0_10empty_typeEEEZNS1_21radix_sort_block_sortIS4_Lb1EPKbPbPS6_SC_NS0_19identity_decomposerEEE10hipError_tT1_T2_T3_T4_jRjT5_jjP12ihipStream_tbEUlT_E_NS1_11comp_targetILNS1_3genE5ELNS1_11target_archE942ELNS1_3gpuE9ELNS1_3repE0EEENS1_44radix_sort_block_sort_config_static_selectorELNS0_4arch9wavefront6targetE0EEEvSF_
	.p2align	8
	.type	_ZN7rocprim17ROCPRIM_400000_NS6detail17trampoline_kernelINS0_13kernel_configILj256ELj4ELj4294967295EEENS1_37radix_sort_block_sort_config_selectorIbNS0_10empty_typeEEEZNS1_21radix_sort_block_sortIS4_Lb1EPKbPbPS6_SC_NS0_19identity_decomposerEEE10hipError_tT1_T2_T3_T4_jRjT5_jjP12ihipStream_tbEUlT_E_NS1_11comp_targetILNS1_3genE5ELNS1_11target_archE942ELNS1_3gpuE9ELNS1_3repE0EEENS1_44radix_sort_block_sort_config_static_selectorELNS0_4arch9wavefront6targetE0EEEvSF_,@function
_ZN7rocprim17ROCPRIM_400000_NS6detail17trampoline_kernelINS0_13kernel_configILj256ELj4ELj4294967295EEENS1_37radix_sort_block_sort_config_selectorIbNS0_10empty_typeEEEZNS1_21radix_sort_block_sortIS4_Lb1EPKbPbPS6_SC_NS0_19identity_decomposerEEE10hipError_tT1_T2_T3_T4_jRjT5_jjP12ihipStream_tbEUlT_E_NS1_11comp_targetILNS1_3genE5ELNS1_11target_archE942ELNS1_3gpuE9ELNS1_3repE0EEENS1_44radix_sort_block_sort_config_static_selectorELNS0_4arch9wavefront6targetE0EEEvSF_: ; @_ZN7rocprim17ROCPRIM_400000_NS6detail17trampoline_kernelINS0_13kernel_configILj256ELj4ELj4294967295EEENS1_37radix_sort_block_sort_config_selectorIbNS0_10empty_typeEEEZNS1_21radix_sort_block_sortIS4_Lb1EPKbPbPS6_SC_NS0_19identity_decomposerEEE10hipError_tT1_T2_T3_T4_jRjT5_jjP12ihipStream_tbEUlT_E_NS1_11comp_targetILNS1_3genE5ELNS1_11target_archE942ELNS1_3gpuE9ELNS1_3repE0EEENS1_44radix_sort_block_sort_config_static_selectorELNS0_4arch9wavefront6targetE0EEEvSF_
; %bb.0:
	.section	.rodata,"a",@progbits
	.p2align	6, 0x0
	.amdhsa_kernel _ZN7rocprim17ROCPRIM_400000_NS6detail17trampoline_kernelINS0_13kernel_configILj256ELj4ELj4294967295EEENS1_37radix_sort_block_sort_config_selectorIbNS0_10empty_typeEEEZNS1_21radix_sort_block_sortIS4_Lb1EPKbPbPS6_SC_NS0_19identity_decomposerEEE10hipError_tT1_T2_T3_T4_jRjT5_jjP12ihipStream_tbEUlT_E_NS1_11comp_targetILNS1_3genE5ELNS1_11target_archE942ELNS1_3gpuE9ELNS1_3repE0EEENS1_44radix_sort_block_sort_config_static_selectorELNS0_4arch9wavefront6targetE0EEEvSF_
		.amdhsa_group_segment_fixed_size 0
		.amdhsa_private_segment_fixed_size 0
		.amdhsa_kernarg_size 48
		.amdhsa_user_sgpr_count 2
		.amdhsa_user_sgpr_dispatch_ptr 0
		.amdhsa_user_sgpr_queue_ptr 0
		.amdhsa_user_sgpr_kernarg_segment_ptr 1
		.amdhsa_user_sgpr_dispatch_id 0
		.amdhsa_user_sgpr_kernarg_preload_length 0
		.amdhsa_user_sgpr_kernarg_preload_offset 0
		.amdhsa_user_sgpr_private_segment_size 0
		.amdhsa_wavefront_size32 1
		.amdhsa_uses_dynamic_stack 0
		.amdhsa_enable_private_segment 0
		.amdhsa_system_sgpr_workgroup_id_x 1
		.amdhsa_system_sgpr_workgroup_id_y 0
		.amdhsa_system_sgpr_workgroup_id_z 0
		.amdhsa_system_sgpr_workgroup_info 0
		.amdhsa_system_vgpr_workitem_id 0
		.amdhsa_next_free_vgpr 1
		.amdhsa_next_free_sgpr 1
		.amdhsa_named_barrier_count 0
		.amdhsa_reserve_vcc 0
		.amdhsa_float_round_mode_32 0
		.amdhsa_float_round_mode_16_64 0
		.amdhsa_float_denorm_mode_32 3
		.amdhsa_float_denorm_mode_16_64 3
		.amdhsa_fp16_overflow 0
		.amdhsa_memory_ordered 1
		.amdhsa_forward_progress 1
		.amdhsa_inst_pref_size 0
		.amdhsa_round_robin_scheduling 0
		.amdhsa_exception_fp_ieee_invalid_op 0
		.amdhsa_exception_fp_denorm_src 0
		.amdhsa_exception_fp_ieee_div_zero 0
		.amdhsa_exception_fp_ieee_overflow 0
		.amdhsa_exception_fp_ieee_underflow 0
		.amdhsa_exception_fp_ieee_inexact 0
		.amdhsa_exception_int_div_zero 0
	.end_amdhsa_kernel
	.section	.text._ZN7rocprim17ROCPRIM_400000_NS6detail17trampoline_kernelINS0_13kernel_configILj256ELj4ELj4294967295EEENS1_37radix_sort_block_sort_config_selectorIbNS0_10empty_typeEEEZNS1_21radix_sort_block_sortIS4_Lb1EPKbPbPS6_SC_NS0_19identity_decomposerEEE10hipError_tT1_T2_T3_T4_jRjT5_jjP12ihipStream_tbEUlT_E_NS1_11comp_targetILNS1_3genE5ELNS1_11target_archE942ELNS1_3gpuE9ELNS1_3repE0EEENS1_44radix_sort_block_sort_config_static_selectorELNS0_4arch9wavefront6targetE0EEEvSF_,"axG",@progbits,_ZN7rocprim17ROCPRIM_400000_NS6detail17trampoline_kernelINS0_13kernel_configILj256ELj4ELj4294967295EEENS1_37radix_sort_block_sort_config_selectorIbNS0_10empty_typeEEEZNS1_21radix_sort_block_sortIS4_Lb1EPKbPbPS6_SC_NS0_19identity_decomposerEEE10hipError_tT1_T2_T3_T4_jRjT5_jjP12ihipStream_tbEUlT_E_NS1_11comp_targetILNS1_3genE5ELNS1_11target_archE942ELNS1_3gpuE9ELNS1_3repE0EEENS1_44radix_sort_block_sort_config_static_selectorELNS0_4arch9wavefront6targetE0EEEvSF_,comdat
.Lfunc_end1642:
	.size	_ZN7rocprim17ROCPRIM_400000_NS6detail17trampoline_kernelINS0_13kernel_configILj256ELj4ELj4294967295EEENS1_37radix_sort_block_sort_config_selectorIbNS0_10empty_typeEEEZNS1_21radix_sort_block_sortIS4_Lb1EPKbPbPS6_SC_NS0_19identity_decomposerEEE10hipError_tT1_T2_T3_T4_jRjT5_jjP12ihipStream_tbEUlT_E_NS1_11comp_targetILNS1_3genE5ELNS1_11target_archE942ELNS1_3gpuE9ELNS1_3repE0EEENS1_44radix_sort_block_sort_config_static_selectorELNS0_4arch9wavefront6targetE0EEEvSF_, .Lfunc_end1642-_ZN7rocprim17ROCPRIM_400000_NS6detail17trampoline_kernelINS0_13kernel_configILj256ELj4ELj4294967295EEENS1_37radix_sort_block_sort_config_selectorIbNS0_10empty_typeEEEZNS1_21radix_sort_block_sortIS4_Lb1EPKbPbPS6_SC_NS0_19identity_decomposerEEE10hipError_tT1_T2_T3_T4_jRjT5_jjP12ihipStream_tbEUlT_E_NS1_11comp_targetILNS1_3genE5ELNS1_11target_archE942ELNS1_3gpuE9ELNS1_3repE0EEENS1_44radix_sort_block_sort_config_static_selectorELNS0_4arch9wavefront6targetE0EEEvSF_
                                        ; -- End function
	.set _ZN7rocprim17ROCPRIM_400000_NS6detail17trampoline_kernelINS0_13kernel_configILj256ELj4ELj4294967295EEENS1_37radix_sort_block_sort_config_selectorIbNS0_10empty_typeEEEZNS1_21radix_sort_block_sortIS4_Lb1EPKbPbPS6_SC_NS0_19identity_decomposerEEE10hipError_tT1_T2_T3_T4_jRjT5_jjP12ihipStream_tbEUlT_E_NS1_11comp_targetILNS1_3genE5ELNS1_11target_archE942ELNS1_3gpuE9ELNS1_3repE0EEENS1_44radix_sort_block_sort_config_static_selectorELNS0_4arch9wavefront6targetE0EEEvSF_.num_vgpr, 0
	.set _ZN7rocprim17ROCPRIM_400000_NS6detail17trampoline_kernelINS0_13kernel_configILj256ELj4ELj4294967295EEENS1_37radix_sort_block_sort_config_selectorIbNS0_10empty_typeEEEZNS1_21radix_sort_block_sortIS4_Lb1EPKbPbPS6_SC_NS0_19identity_decomposerEEE10hipError_tT1_T2_T3_T4_jRjT5_jjP12ihipStream_tbEUlT_E_NS1_11comp_targetILNS1_3genE5ELNS1_11target_archE942ELNS1_3gpuE9ELNS1_3repE0EEENS1_44radix_sort_block_sort_config_static_selectorELNS0_4arch9wavefront6targetE0EEEvSF_.num_agpr, 0
	.set _ZN7rocprim17ROCPRIM_400000_NS6detail17trampoline_kernelINS0_13kernel_configILj256ELj4ELj4294967295EEENS1_37radix_sort_block_sort_config_selectorIbNS0_10empty_typeEEEZNS1_21radix_sort_block_sortIS4_Lb1EPKbPbPS6_SC_NS0_19identity_decomposerEEE10hipError_tT1_T2_T3_T4_jRjT5_jjP12ihipStream_tbEUlT_E_NS1_11comp_targetILNS1_3genE5ELNS1_11target_archE942ELNS1_3gpuE9ELNS1_3repE0EEENS1_44radix_sort_block_sort_config_static_selectorELNS0_4arch9wavefront6targetE0EEEvSF_.numbered_sgpr, 0
	.set _ZN7rocprim17ROCPRIM_400000_NS6detail17trampoline_kernelINS0_13kernel_configILj256ELj4ELj4294967295EEENS1_37radix_sort_block_sort_config_selectorIbNS0_10empty_typeEEEZNS1_21radix_sort_block_sortIS4_Lb1EPKbPbPS6_SC_NS0_19identity_decomposerEEE10hipError_tT1_T2_T3_T4_jRjT5_jjP12ihipStream_tbEUlT_E_NS1_11comp_targetILNS1_3genE5ELNS1_11target_archE942ELNS1_3gpuE9ELNS1_3repE0EEENS1_44radix_sort_block_sort_config_static_selectorELNS0_4arch9wavefront6targetE0EEEvSF_.num_named_barrier, 0
	.set _ZN7rocprim17ROCPRIM_400000_NS6detail17trampoline_kernelINS0_13kernel_configILj256ELj4ELj4294967295EEENS1_37radix_sort_block_sort_config_selectorIbNS0_10empty_typeEEEZNS1_21radix_sort_block_sortIS4_Lb1EPKbPbPS6_SC_NS0_19identity_decomposerEEE10hipError_tT1_T2_T3_T4_jRjT5_jjP12ihipStream_tbEUlT_E_NS1_11comp_targetILNS1_3genE5ELNS1_11target_archE942ELNS1_3gpuE9ELNS1_3repE0EEENS1_44radix_sort_block_sort_config_static_selectorELNS0_4arch9wavefront6targetE0EEEvSF_.private_seg_size, 0
	.set _ZN7rocprim17ROCPRIM_400000_NS6detail17trampoline_kernelINS0_13kernel_configILj256ELj4ELj4294967295EEENS1_37radix_sort_block_sort_config_selectorIbNS0_10empty_typeEEEZNS1_21radix_sort_block_sortIS4_Lb1EPKbPbPS6_SC_NS0_19identity_decomposerEEE10hipError_tT1_T2_T3_T4_jRjT5_jjP12ihipStream_tbEUlT_E_NS1_11comp_targetILNS1_3genE5ELNS1_11target_archE942ELNS1_3gpuE9ELNS1_3repE0EEENS1_44radix_sort_block_sort_config_static_selectorELNS0_4arch9wavefront6targetE0EEEvSF_.uses_vcc, 0
	.set _ZN7rocprim17ROCPRIM_400000_NS6detail17trampoline_kernelINS0_13kernel_configILj256ELj4ELj4294967295EEENS1_37radix_sort_block_sort_config_selectorIbNS0_10empty_typeEEEZNS1_21radix_sort_block_sortIS4_Lb1EPKbPbPS6_SC_NS0_19identity_decomposerEEE10hipError_tT1_T2_T3_T4_jRjT5_jjP12ihipStream_tbEUlT_E_NS1_11comp_targetILNS1_3genE5ELNS1_11target_archE942ELNS1_3gpuE9ELNS1_3repE0EEENS1_44radix_sort_block_sort_config_static_selectorELNS0_4arch9wavefront6targetE0EEEvSF_.uses_flat_scratch, 0
	.set _ZN7rocprim17ROCPRIM_400000_NS6detail17trampoline_kernelINS0_13kernel_configILj256ELj4ELj4294967295EEENS1_37radix_sort_block_sort_config_selectorIbNS0_10empty_typeEEEZNS1_21radix_sort_block_sortIS4_Lb1EPKbPbPS6_SC_NS0_19identity_decomposerEEE10hipError_tT1_T2_T3_T4_jRjT5_jjP12ihipStream_tbEUlT_E_NS1_11comp_targetILNS1_3genE5ELNS1_11target_archE942ELNS1_3gpuE9ELNS1_3repE0EEENS1_44radix_sort_block_sort_config_static_selectorELNS0_4arch9wavefront6targetE0EEEvSF_.has_dyn_sized_stack, 0
	.set _ZN7rocprim17ROCPRIM_400000_NS6detail17trampoline_kernelINS0_13kernel_configILj256ELj4ELj4294967295EEENS1_37radix_sort_block_sort_config_selectorIbNS0_10empty_typeEEEZNS1_21radix_sort_block_sortIS4_Lb1EPKbPbPS6_SC_NS0_19identity_decomposerEEE10hipError_tT1_T2_T3_T4_jRjT5_jjP12ihipStream_tbEUlT_E_NS1_11comp_targetILNS1_3genE5ELNS1_11target_archE942ELNS1_3gpuE9ELNS1_3repE0EEENS1_44radix_sort_block_sort_config_static_selectorELNS0_4arch9wavefront6targetE0EEEvSF_.has_recursion, 0
	.set _ZN7rocprim17ROCPRIM_400000_NS6detail17trampoline_kernelINS0_13kernel_configILj256ELj4ELj4294967295EEENS1_37radix_sort_block_sort_config_selectorIbNS0_10empty_typeEEEZNS1_21radix_sort_block_sortIS4_Lb1EPKbPbPS6_SC_NS0_19identity_decomposerEEE10hipError_tT1_T2_T3_T4_jRjT5_jjP12ihipStream_tbEUlT_E_NS1_11comp_targetILNS1_3genE5ELNS1_11target_archE942ELNS1_3gpuE9ELNS1_3repE0EEENS1_44radix_sort_block_sort_config_static_selectorELNS0_4arch9wavefront6targetE0EEEvSF_.has_indirect_call, 0
	.section	.AMDGPU.csdata,"",@progbits
; Kernel info:
; codeLenInByte = 0
; TotalNumSgprs: 0
; NumVgprs: 0
; ScratchSize: 0
; MemoryBound: 0
; FloatMode: 240
; IeeeMode: 1
; LDSByteSize: 0 bytes/workgroup (compile time only)
; SGPRBlocks: 0
; VGPRBlocks: 0
; NumSGPRsForWavesPerEU: 1
; NumVGPRsForWavesPerEU: 1
; NamedBarCnt: 0
; Occupancy: 16
; WaveLimiterHint : 0
; COMPUTE_PGM_RSRC2:SCRATCH_EN: 0
; COMPUTE_PGM_RSRC2:USER_SGPR: 2
; COMPUTE_PGM_RSRC2:TRAP_HANDLER: 0
; COMPUTE_PGM_RSRC2:TGID_X_EN: 1
; COMPUTE_PGM_RSRC2:TGID_Y_EN: 0
; COMPUTE_PGM_RSRC2:TGID_Z_EN: 0
; COMPUTE_PGM_RSRC2:TIDIG_COMP_CNT: 0
	.section	.text._ZN7rocprim17ROCPRIM_400000_NS6detail17trampoline_kernelINS0_13kernel_configILj256ELj4ELj4294967295EEENS1_37radix_sort_block_sort_config_selectorIbNS0_10empty_typeEEEZNS1_21radix_sort_block_sortIS4_Lb1EPKbPbPS6_SC_NS0_19identity_decomposerEEE10hipError_tT1_T2_T3_T4_jRjT5_jjP12ihipStream_tbEUlT_E_NS1_11comp_targetILNS1_3genE4ELNS1_11target_archE910ELNS1_3gpuE8ELNS1_3repE0EEENS1_44radix_sort_block_sort_config_static_selectorELNS0_4arch9wavefront6targetE0EEEvSF_,"axG",@progbits,_ZN7rocprim17ROCPRIM_400000_NS6detail17trampoline_kernelINS0_13kernel_configILj256ELj4ELj4294967295EEENS1_37radix_sort_block_sort_config_selectorIbNS0_10empty_typeEEEZNS1_21radix_sort_block_sortIS4_Lb1EPKbPbPS6_SC_NS0_19identity_decomposerEEE10hipError_tT1_T2_T3_T4_jRjT5_jjP12ihipStream_tbEUlT_E_NS1_11comp_targetILNS1_3genE4ELNS1_11target_archE910ELNS1_3gpuE8ELNS1_3repE0EEENS1_44radix_sort_block_sort_config_static_selectorELNS0_4arch9wavefront6targetE0EEEvSF_,comdat
	.protected	_ZN7rocprim17ROCPRIM_400000_NS6detail17trampoline_kernelINS0_13kernel_configILj256ELj4ELj4294967295EEENS1_37radix_sort_block_sort_config_selectorIbNS0_10empty_typeEEEZNS1_21radix_sort_block_sortIS4_Lb1EPKbPbPS6_SC_NS0_19identity_decomposerEEE10hipError_tT1_T2_T3_T4_jRjT5_jjP12ihipStream_tbEUlT_E_NS1_11comp_targetILNS1_3genE4ELNS1_11target_archE910ELNS1_3gpuE8ELNS1_3repE0EEENS1_44radix_sort_block_sort_config_static_selectorELNS0_4arch9wavefront6targetE0EEEvSF_ ; -- Begin function _ZN7rocprim17ROCPRIM_400000_NS6detail17trampoline_kernelINS0_13kernel_configILj256ELj4ELj4294967295EEENS1_37radix_sort_block_sort_config_selectorIbNS0_10empty_typeEEEZNS1_21radix_sort_block_sortIS4_Lb1EPKbPbPS6_SC_NS0_19identity_decomposerEEE10hipError_tT1_T2_T3_T4_jRjT5_jjP12ihipStream_tbEUlT_E_NS1_11comp_targetILNS1_3genE4ELNS1_11target_archE910ELNS1_3gpuE8ELNS1_3repE0EEENS1_44radix_sort_block_sort_config_static_selectorELNS0_4arch9wavefront6targetE0EEEvSF_
	.globl	_ZN7rocprim17ROCPRIM_400000_NS6detail17trampoline_kernelINS0_13kernel_configILj256ELj4ELj4294967295EEENS1_37radix_sort_block_sort_config_selectorIbNS0_10empty_typeEEEZNS1_21radix_sort_block_sortIS4_Lb1EPKbPbPS6_SC_NS0_19identity_decomposerEEE10hipError_tT1_T2_T3_T4_jRjT5_jjP12ihipStream_tbEUlT_E_NS1_11comp_targetILNS1_3genE4ELNS1_11target_archE910ELNS1_3gpuE8ELNS1_3repE0EEENS1_44radix_sort_block_sort_config_static_selectorELNS0_4arch9wavefront6targetE0EEEvSF_
	.p2align	8
	.type	_ZN7rocprim17ROCPRIM_400000_NS6detail17trampoline_kernelINS0_13kernel_configILj256ELj4ELj4294967295EEENS1_37radix_sort_block_sort_config_selectorIbNS0_10empty_typeEEEZNS1_21radix_sort_block_sortIS4_Lb1EPKbPbPS6_SC_NS0_19identity_decomposerEEE10hipError_tT1_T2_T3_T4_jRjT5_jjP12ihipStream_tbEUlT_E_NS1_11comp_targetILNS1_3genE4ELNS1_11target_archE910ELNS1_3gpuE8ELNS1_3repE0EEENS1_44radix_sort_block_sort_config_static_selectorELNS0_4arch9wavefront6targetE0EEEvSF_,@function
_ZN7rocprim17ROCPRIM_400000_NS6detail17trampoline_kernelINS0_13kernel_configILj256ELj4ELj4294967295EEENS1_37radix_sort_block_sort_config_selectorIbNS0_10empty_typeEEEZNS1_21radix_sort_block_sortIS4_Lb1EPKbPbPS6_SC_NS0_19identity_decomposerEEE10hipError_tT1_T2_T3_T4_jRjT5_jjP12ihipStream_tbEUlT_E_NS1_11comp_targetILNS1_3genE4ELNS1_11target_archE910ELNS1_3gpuE8ELNS1_3repE0EEENS1_44radix_sort_block_sort_config_static_selectorELNS0_4arch9wavefront6targetE0EEEvSF_: ; @_ZN7rocprim17ROCPRIM_400000_NS6detail17trampoline_kernelINS0_13kernel_configILj256ELj4ELj4294967295EEENS1_37radix_sort_block_sort_config_selectorIbNS0_10empty_typeEEEZNS1_21radix_sort_block_sortIS4_Lb1EPKbPbPS6_SC_NS0_19identity_decomposerEEE10hipError_tT1_T2_T3_T4_jRjT5_jjP12ihipStream_tbEUlT_E_NS1_11comp_targetILNS1_3genE4ELNS1_11target_archE910ELNS1_3gpuE8ELNS1_3repE0EEENS1_44radix_sort_block_sort_config_static_selectorELNS0_4arch9wavefront6targetE0EEEvSF_
; %bb.0:
	.section	.rodata,"a",@progbits
	.p2align	6, 0x0
	.amdhsa_kernel _ZN7rocprim17ROCPRIM_400000_NS6detail17trampoline_kernelINS0_13kernel_configILj256ELj4ELj4294967295EEENS1_37radix_sort_block_sort_config_selectorIbNS0_10empty_typeEEEZNS1_21radix_sort_block_sortIS4_Lb1EPKbPbPS6_SC_NS0_19identity_decomposerEEE10hipError_tT1_T2_T3_T4_jRjT5_jjP12ihipStream_tbEUlT_E_NS1_11comp_targetILNS1_3genE4ELNS1_11target_archE910ELNS1_3gpuE8ELNS1_3repE0EEENS1_44radix_sort_block_sort_config_static_selectorELNS0_4arch9wavefront6targetE0EEEvSF_
		.amdhsa_group_segment_fixed_size 0
		.amdhsa_private_segment_fixed_size 0
		.amdhsa_kernarg_size 48
		.amdhsa_user_sgpr_count 2
		.amdhsa_user_sgpr_dispatch_ptr 0
		.amdhsa_user_sgpr_queue_ptr 0
		.amdhsa_user_sgpr_kernarg_segment_ptr 1
		.amdhsa_user_sgpr_dispatch_id 0
		.amdhsa_user_sgpr_kernarg_preload_length 0
		.amdhsa_user_sgpr_kernarg_preload_offset 0
		.amdhsa_user_sgpr_private_segment_size 0
		.amdhsa_wavefront_size32 1
		.amdhsa_uses_dynamic_stack 0
		.amdhsa_enable_private_segment 0
		.amdhsa_system_sgpr_workgroup_id_x 1
		.amdhsa_system_sgpr_workgroup_id_y 0
		.amdhsa_system_sgpr_workgroup_id_z 0
		.amdhsa_system_sgpr_workgroup_info 0
		.amdhsa_system_vgpr_workitem_id 0
		.amdhsa_next_free_vgpr 1
		.amdhsa_next_free_sgpr 1
		.amdhsa_named_barrier_count 0
		.amdhsa_reserve_vcc 0
		.amdhsa_float_round_mode_32 0
		.amdhsa_float_round_mode_16_64 0
		.amdhsa_float_denorm_mode_32 3
		.amdhsa_float_denorm_mode_16_64 3
		.amdhsa_fp16_overflow 0
		.amdhsa_memory_ordered 1
		.amdhsa_forward_progress 1
		.amdhsa_inst_pref_size 0
		.amdhsa_round_robin_scheduling 0
		.amdhsa_exception_fp_ieee_invalid_op 0
		.amdhsa_exception_fp_denorm_src 0
		.amdhsa_exception_fp_ieee_div_zero 0
		.amdhsa_exception_fp_ieee_overflow 0
		.amdhsa_exception_fp_ieee_underflow 0
		.amdhsa_exception_fp_ieee_inexact 0
		.amdhsa_exception_int_div_zero 0
	.end_amdhsa_kernel
	.section	.text._ZN7rocprim17ROCPRIM_400000_NS6detail17trampoline_kernelINS0_13kernel_configILj256ELj4ELj4294967295EEENS1_37radix_sort_block_sort_config_selectorIbNS0_10empty_typeEEEZNS1_21radix_sort_block_sortIS4_Lb1EPKbPbPS6_SC_NS0_19identity_decomposerEEE10hipError_tT1_T2_T3_T4_jRjT5_jjP12ihipStream_tbEUlT_E_NS1_11comp_targetILNS1_3genE4ELNS1_11target_archE910ELNS1_3gpuE8ELNS1_3repE0EEENS1_44radix_sort_block_sort_config_static_selectorELNS0_4arch9wavefront6targetE0EEEvSF_,"axG",@progbits,_ZN7rocprim17ROCPRIM_400000_NS6detail17trampoline_kernelINS0_13kernel_configILj256ELj4ELj4294967295EEENS1_37radix_sort_block_sort_config_selectorIbNS0_10empty_typeEEEZNS1_21radix_sort_block_sortIS4_Lb1EPKbPbPS6_SC_NS0_19identity_decomposerEEE10hipError_tT1_T2_T3_T4_jRjT5_jjP12ihipStream_tbEUlT_E_NS1_11comp_targetILNS1_3genE4ELNS1_11target_archE910ELNS1_3gpuE8ELNS1_3repE0EEENS1_44radix_sort_block_sort_config_static_selectorELNS0_4arch9wavefront6targetE0EEEvSF_,comdat
.Lfunc_end1643:
	.size	_ZN7rocprim17ROCPRIM_400000_NS6detail17trampoline_kernelINS0_13kernel_configILj256ELj4ELj4294967295EEENS1_37radix_sort_block_sort_config_selectorIbNS0_10empty_typeEEEZNS1_21radix_sort_block_sortIS4_Lb1EPKbPbPS6_SC_NS0_19identity_decomposerEEE10hipError_tT1_T2_T3_T4_jRjT5_jjP12ihipStream_tbEUlT_E_NS1_11comp_targetILNS1_3genE4ELNS1_11target_archE910ELNS1_3gpuE8ELNS1_3repE0EEENS1_44radix_sort_block_sort_config_static_selectorELNS0_4arch9wavefront6targetE0EEEvSF_, .Lfunc_end1643-_ZN7rocprim17ROCPRIM_400000_NS6detail17trampoline_kernelINS0_13kernel_configILj256ELj4ELj4294967295EEENS1_37radix_sort_block_sort_config_selectorIbNS0_10empty_typeEEEZNS1_21radix_sort_block_sortIS4_Lb1EPKbPbPS6_SC_NS0_19identity_decomposerEEE10hipError_tT1_T2_T3_T4_jRjT5_jjP12ihipStream_tbEUlT_E_NS1_11comp_targetILNS1_3genE4ELNS1_11target_archE910ELNS1_3gpuE8ELNS1_3repE0EEENS1_44radix_sort_block_sort_config_static_selectorELNS0_4arch9wavefront6targetE0EEEvSF_
                                        ; -- End function
	.set _ZN7rocprim17ROCPRIM_400000_NS6detail17trampoline_kernelINS0_13kernel_configILj256ELj4ELj4294967295EEENS1_37radix_sort_block_sort_config_selectorIbNS0_10empty_typeEEEZNS1_21radix_sort_block_sortIS4_Lb1EPKbPbPS6_SC_NS0_19identity_decomposerEEE10hipError_tT1_T2_T3_T4_jRjT5_jjP12ihipStream_tbEUlT_E_NS1_11comp_targetILNS1_3genE4ELNS1_11target_archE910ELNS1_3gpuE8ELNS1_3repE0EEENS1_44radix_sort_block_sort_config_static_selectorELNS0_4arch9wavefront6targetE0EEEvSF_.num_vgpr, 0
	.set _ZN7rocprim17ROCPRIM_400000_NS6detail17trampoline_kernelINS0_13kernel_configILj256ELj4ELj4294967295EEENS1_37radix_sort_block_sort_config_selectorIbNS0_10empty_typeEEEZNS1_21radix_sort_block_sortIS4_Lb1EPKbPbPS6_SC_NS0_19identity_decomposerEEE10hipError_tT1_T2_T3_T4_jRjT5_jjP12ihipStream_tbEUlT_E_NS1_11comp_targetILNS1_3genE4ELNS1_11target_archE910ELNS1_3gpuE8ELNS1_3repE0EEENS1_44radix_sort_block_sort_config_static_selectorELNS0_4arch9wavefront6targetE0EEEvSF_.num_agpr, 0
	.set _ZN7rocprim17ROCPRIM_400000_NS6detail17trampoline_kernelINS0_13kernel_configILj256ELj4ELj4294967295EEENS1_37radix_sort_block_sort_config_selectorIbNS0_10empty_typeEEEZNS1_21radix_sort_block_sortIS4_Lb1EPKbPbPS6_SC_NS0_19identity_decomposerEEE10hipError_tT1_T2_T3_T4_jRjT5_jjP12ihipStream_tbEUlT_E_NS1_11comp_targetILNS1_3genE4ELNS1_11target_archE910ELNS1_3gpuE8ELNS1_3repE0EEENS1_44radix_sort_block_sort_config_static_selectorELNS0_4arch9wavefront6targetE0EEEvSF_.numbered_sgpr, 0
	.set _ZN7rocprim17ROCPRIM_400000_NS6detail17trampoline_kernelINS0_13kernel_configILj256ELj4ELj4294967295EEENS1_37radix_sort_block_sort_config_selectorIbNS0_10empty_typeEEEZNS1_21radix_sort_block_sortIS4_Lb1EPKbPbPS6_SC_NS0_19identity_decomposerEEE10hipError_tT1_T2_T3_T4_jRjT5_jjP12ihipStream_tbEUlT_E_NS1_11comp_targetILNS1_3genE4ELNS1_11target_archE910ELNS1_3gpuE8ELNS1_3repE0EEENS1_44radix_sort_block_sort_config_static_selectorELNS0_4arch9wavefront6targetE0EEEvSF_.num_named_barrier, 0
	.set _ZN7rocprim17ROCPRIM_400000_NS6detail17trampoline_kernelINS0_13kernel_configILj256ELj4ELj4294967295EEENS1_37radix_sort_block_sort_config_selectorIbNS0_10empty_typeEEEZNS1_21radix_sort_block_sortIS4_Lb1EPKbPbPS6_SC_NS0_19identity_decomposerEEE10hipError_tT1_T2_T3_T4_jRjT5_jjP12ihipStream_tbEUlT_E_NS1_11comp_targetILNS1_3genE4ELNS1_11target_archE910ELNS1_3gpuE8ELNS1_3repE0EEENS1_44radix_sort_block_sort_config_static_selectorELNS0_4arch9wavefront6targetE0EEEvSF_.private_seg_size, 0
	.set _ZN7rocprim17ROCPRIM_400000_NS6detail17trampoline_kernelINS0_13kernel_configILj256ELj4ELj4294967295EEENS1_37radix_sort_block_sort_config_selectorIbNS0_10empty_typeEEEZNS1_21radix_sort_block_sortIS4_Lb1EPKbPbPS6_SC_NS0_19identity_decomposerEEE10hipError_tT1_T2_T3_T4_jRjT5_jjP12ihipStream_tbEUlT_E_NS1_11comp_targetILNS1_3genE4ELNS1_11target_archE910ELNS1_3gpuE8ELNS1_3repE0EEENS1_44radix_sort_block_sort_config_static_selectorELNS0_4arch9wavefront6targetE0EEEvSF_.uses_vcc, 0
	.set _ZN7rocprim17ROCPRIM_400000_NS6detail17trampoline_kernelINS0_13kernel_configILj256ELj4ELj4294967295EEENS1_37radix_sort_block_sort_config_selectorIbNS0_10empty_typeEEEZNS1_21radix_sort_block_sortIS4_Lb1EPKbPbPS6_SC_NS0_19identity_decomposerEEE10hipError_tT1_T2_T3_T4_jRjT5_jjP12ihipStream_tbEUlT_E_NS1_11comp_targetILNS1_3genE4ELNS1_11target_archE910ELNS1_3gpuE8ELNS1_3repE0EEENS1_44radix_sort_block_sort_config_static_selectorELNS0_4arch9wavefront6targetE0EEEvSF_.uses_flat_scratch, 0
	.set _ZN7rocprim17ROCPRIM_400000_NS6detail17trampoline_kernelINS0_13kernel_configILj256ELj4ELj4294967295EEENS1_37radix_sort_block_sort_config_selectorIbNS0_10empty_typeEEEZNS1_21radix_sort_block_sortIS4_Lb1EPKbPbPS6_SC_NS0_19identity_decomposerEEE10hipError_tT1_T2_T3_T4_jRjT5_jjP12ihipStream_tbEUlT_E_NS1_11comp_targetILNS1_3genE4ELNS1_11target_archE910ELNS1_3gpuE8ELNS1_3repE0EEENS1_44radix_sort_block_sort_config_static_selectorELNS0_4arch9wavefront6targetE0EEEvSF_.has_dyn_sized_stack, 0
	.set _ZN7rocprim17ROCPRIM_400000_NS6detail17trampoline_kernelINS0_13kernel_configILj256ELj4ELj4294967295EEENS1_37radix_sort_block_sort_config_selectorIbNS0_10empty_typeEEEZNS1_21radix_sort_block_sortIS4_Lb1EPKbPbPS6_SC_NS0_19identity_decomposerEEE10hipError_tT1_T2_T3_T4_jRjT5_jjP12ihipStream_tbEUlT_E_NS1_11comp_targetILNS1_3genE4ELNS1_11target_archE910ELNS1_3gpuE8ELNS1_3repE0EEENS1_44radix_sort_block_sort_config_static_selectorELNS0_4arch9wavefront6targetE0EEEvSF_.has_recursion, 0
	.set _ZN7rocprim17ROCPRIM_400000_NS6detail17trampoline_kernelINS0_13kernel_configILj256ELj4ELj4294967295EEENS1_37radix_sort_block_sort_config_selectorIbNS0_10empty_typeEEEZNS1_21radix_sort_block_sortIS4_Lb1EPKbPbPS6_SC_NS0_19identity_decomposerEEE10hipError_tT1_T2_T3_T4_jRjT5_jjP12ihipStream_tbEUlT_E_NS1_11comp_targetILNS1_3genE4ELNS1_11target_archE910ELNS1_3gpuE8ELNS1_3repE0EEENS1_44radix_sort_block_sort_config_static_selectorELNS0_4arch9wavefront6targetE0EEEvSF_.has_indirect_call, 0
	.section	.AMDGPU.csdata,"",@progbits
; Kernel info:
; codeLenInByte = 0
; TotalNumSgprs: 0
; NumVgprs: 0
; ScratchSize: 0
; MemoryBound: 0
; FloatMode: 240
; IeeeMode: 1
; LDSByteSize: 0 bytes/workgroup (compile time only)
; SGPRBlocks: 0
; VGPRBlocks: 0
; NumSGPRsForWavesPerEU: 1
; NumVGPRsForWavesPerEU: 1
; NamedBarCnt: 0
; Occupancy: 16
; WaveLimiterHint : 0
; COMPUTE_PGM_RSRC2:SCRATCH_EN: 0
; COMPUTE_PGM_RSRC2:USER_SGPR: 2
; COMPUTE_PGM_RSRC2:TRAP_HANDLER: 0
; COMPUTE_PGM_RSRC2:TGID_X_EN: 1
; COMPUTE_PGM_RSRC2:TGID_Y_EN: 0
; COMPUTE_PGM_RSRC2:TGID_Z_EN: 0
; COMPUTE_PGM_RSRC2:TIDIG_COMP_CNT: 0
	.section	.text._ZN7rocprim17ROCPRIM_400000_NS6detail17trampoline_kernelINS0_13kernel_configILj256ELj4ELj4294967295EEENS1_37radix_sort_block_sort_config_selectorIbNS0_10empty_typeEEEZNS1_21radix_sort_block_sortIS4_Lb1EPKbPbPS6_SC_NS0_19identity_decomposerEEE10hipError_tT1_T2_T3_T4_jRjT5_jjP12ihipStream_tbEUlT_E_NS1_11comp_targetILNS1_3genE3ELNS1_11target_archE908ELNS1_3gpuE7ELNS1_3repE0EEENS1_44radix_sort_block_sort_config_static_selectorELNS0_4arch9wavefront6targetE0EEEvSF_,"axG",@progbits,_ZN7rocprim17ROCPRIM_400000_NS6detail17trampoline_kernelINS0_13kernel_configILj256ELj4ELj4294967295EEENS1_37radix_sort_block_sort_config_selectorIbNS0_10empty_typeEEEZNS1_21radix_sort_block_sortIS4_Lb1EPKbPbPS6_SC_NS0_19identity_decomposerEEE10hipError_tT1_T2_T3_T4_jRjT5_jjP12ihipStream_tbEUlT_E_NS1_11comp_targetILNS1_3genE3ELNS1_11target_archE908ELNS1_3gpuE7ELNS1_3repE0EEENS1_44radix_sort_block_sort_config_static_selectorELNS0_4arch9wavefront6targetE0EEEvSF_,comdat
	.protected	_ZN7rocprim17ROCPRIM_400000_NS6detail17trampoline_kernelINS0_13kernel_configILj256ELj4ELj4294967295EEENS1_37radix_sort_block_sort_config_selectorIbNS0_10empty_typeEEEZNS1_21radix_sort_block_sortIS4_Lb1EPKbPbPS6_SC_NS0_19identity_decomposerEEE10hipError_tT1_T2_T3_T4_jRjT5_jjP12ihipStream_tbEUlT_E_NS1_11comp_targetILNS1_3genE3ELNS1_11target_archE908ELNS1_3gpuE7ELNS1_3repE0EEENS1_44radix_sort_block_sort_config_static_selectorELNS0_4arch9wavefront6targetE0EEEvSF_ ; -- Begin function _ZN7rocprim17ROCPRIM_400000_NS6detail17trampoline_kernelINS0_13kernel_configILj256ELj4ELj4294967295EEENS1_37radix_sort_block_sort_config_selectorIbNS0_10empty_typeEEEZNS1_21radix_sort_block_sortIS4_Lb1EPKbPbPS6_SC_NS0_19identity_decomposerEEE10hipError_tT1_T2_T3_T4_jRjT5_jjP12ihipStream_tbEUlT_E_NS1_11comp_targetILNS1_3genE3ELNS1_11target_archE908ELNS1_3gpuE7ELNS1_3repE0EEENS1_44radix_sort_block_sort_config_static_selectorELNS0_4arch9wavefront6targetE0EEEvSF_
	.globl	_ZN7rocprim17ROCPRIM_400000_NS6detail17trampoline_kernelINS0_13kernel_configILj256ELj4ELj4294967295EEENS1_37radix_sort_block_sort_config_selectorIbNS0_10empty_typeEEEZNS1_21radix_sort_block_sortIS4_Lb1EPKbPbPS6_SC_NS0_19identity_decomposerEEE10hipError_tT1_T2_T3_T4_jRjT5_jjP12ihipStream_tbEUlT_E_NS1_11comp_targetILNS1_3genE3ELNS1_11target_archE908ELNS1_3gpuE7ELNS1_3repE0EEENS1_44radix_sort_block_sort_config_static_selectorELNS0_4arch9wavefront6targetE0EEEvSF_
	.p2align	8
	.type	_ZN7rocprim17ROCPRIM_400000_NS6detail17trampoline_kernelINS0_13kernel_configILj256ELj4ELj4294967295EEENS1_37radix_sort_block_sort_config_selectorIbNS0_10empty_typeEEEZNS1_21radix_sort_block_sortIS4_Lb1EPKbPbPS6_SC_NS0_19identity_decomposerEEE10hipError_tT1_T2_T3_T4_jRjT5_jjP12ihipStream_tbEUlT_E_NS1_11comp_targetILNS1_3genE3ELNS1_11target_archE908ELNS1_3gpuE7ELNS1_3repE0EEENS1_44radix_sort_block_sort_config_static_selectorELNS0_4arch9wavefront6targetE0EEEvSF_,@function
_ZN7rocprim17ROCPRIM_400000_NS6detail17trampoline_kernelINS0_13kernel_configILj256ELj4ELj4294967295EEENS1_37radix_sort_block_sort_config_selectorIbNS0_10empty_typeEEEZNS1_21radix_sort_block_sortIS4_Lb1EPKbPbPS6_SC_NS0_19identity_decomposerEEE10hipError_tT1_T2_T3_T4_jRjT5_jjP12ihipStream_tbEUlT_E_NS1_11comp_targetILNS1_3genE3ELNS1_11target_archE908ELNS1_3gpuE7ELNS1_3repE0EEENS1_44radix_sort_block_sort_config_static_selectorELNS0_4arch9wavefront6targetE0EEEvSF_: ; @_ZN7rocprim17ROCPRIM_400000_NS6detail17trampoline_kernelINS0_13kernel_configILj256ELj4ELj4294967295EEENS1_37radix_sort_block_sort_config_selectorIbNS0_10empty_typeEEEZNS1_21radix_sort_block_sortIS4_Lb1EPKbPbPS6_SC_NS0_19identity_decomposerEEE10hipError_tT1_T2_T3_T4_jRjT5_jjP12ihipStream_tbEUlT_E_NS1_11comp_targetILNS1_3genE3ELNS1_11target_archE908ELNS1_3gpuE7ELNS1_3repE0EEENS1_44radix_sort_block_sort_config_static_selectorELNS0_4arch9wavefront6targetE0EEEvSF_
; %bb.0:
	.section	.rodata,"a",@progbits
	.p2align	6, 0x0
	.amdhsa_kernel _ZN7rocprim17ROCPRIM_400000_NS6detail17trampoline_kernelINS0_13kernel_configILj256ELj4ELj4294967295EEENS1_37radix_sort_block_sort_config_selectorIbNS0_10empty_typeEEEZNS1_21radix_sort_block_sortIS4_Lb1EPKbPbPS6_SC_NS0_19identity_decomposerEEE10hipError_tT1_T2_T3_T4_jRjT5_jjP12ihipStream_tbEUlT_E_NS1_11comp_targetILNS1_3genE3ELNS1_11target_archE908ELNS1_3gpuE7ELNS1_3repE0EEENS1_44radix_sort_block_sort_config_static_selectorELNS0_4arch9wavefront6targetE0EEEvSF_
		.amdhsa_group_segment_fixed_size 0
		.amdhsa_private_segment_fixed_size 0
		.amdhsa_kernarg_size 48
		.amdhsa_user_sgpr_count 2
		.amdhsa_user_sgpr_dispatch_ptr 0
		.amdhsa_user_sgpr_queue_ptr 0
		.amdhsa_user_sgpr_kernarg_segment_ptr 1
		.amdhsa_user_sgpr_dispatch_id 0
		.amdhsa_user_sgpr_kernarg_preload_length 0
		.amdhsa_user_sgpr_kernarg_preload_offset 0
		.amdhsa_user_sgpr_private_segment_size 0
		.amdhsa_wavefront_size32 1
		.amdhsa_uses_dynamic_stack 0
		.amdhsa_enable_private_segment 0
		.amdhsa_system_sgpr_workgroup_id_x 1
		.amdhsa_system_sgpr_workgroup_id_y 0
		.amdhsa_system_sgpr_workgroup_id_z 0
		.amdhsa_system_sgpr_workgroup_info 0
		.amdhsa_system_vgpr_workitem_id 0
		.amdhsa_next_free_vgpr 1
		.amdhsa_next_free_sgpr 1
		.amdhsa_named_barrier_count 0
		.amdhsa_reserve_vcc 0
		.amdhsa_float_round_mode_32 0
		.amdhsa_float_round_mode_16_64 0
		.amdhsa_float_denorm_mode_32 3
		.amdhsa_float_denorm_mode_16_64 3
		.amdhsa_fp16_overflow 0
		.amdhsa_memory_ordered 1
		.amdhsa_forward_progress 1
		.amdhsa_inst_pref_size 0
		.amdhsa_round_robin_scheduling 0
		.amdhsa_exception_fp_ieee_invalid_op 0
		.amdhsa_exception_fp_denorm_src 0
		.amdhsa_exception_fp_ieee_div_zero 0
		.amdhsa_exception_fp_ieee_overflow 0
		.amdhsa_exception_fp_ieee_underflow 0
		.amdhsa_exception_fp_ieee_inexact 0
		.amdhsa_exception_int_div_zero 0
	.end_amdhsa_kernel
	.section	.text._ZN7rocprim17ROCPRIM_400000_NS6detail17trampoline_kernelINS0_13kernel_configILj256ELj4ELj4294967295EEENS1_37radix_sort_block_sort_config_selectorIbNS0_10empty_typeEEEZNS1_21radix_sort_block_sortIS4_Lb1EPKbPbPS6_SC_NS0_19identity_decomposerEEE10hipError_tT1_T2_T3_T4_jRjT5_jjP12ihipStream_tbEUlT_E_NS1_11comp_targetILNS1_3genE3ELNS1_11target_archE908ELNS1_3gpuE7ELNS1_3repE0EEENS1_44radix_sort_block_sort_config_static_selectorELNS0_4arch9wavefront6targetE0EEEvSF_,"axG",@progbits,_ZN7rocprim17ROCPRIM_400000_NS6detail17trampoline_kernelINS0_13kernel_configILj256ELj4ELj4294967295EEENS1_37radix_sort_block_sort_config_selectorIbNS0_10empty_typeEEEZNS1_21radix_sort_block_sortIS4_Lb1EPKbPbPS6_SC_NS0_19identity_decomposerEEE10hipError_tT1_T2_T3_T4_jRjT5_jjP12ihipStream_tbEUlT_E_NS1_11comp_targetILNS1_3genE3ELNS1_11target_archE908ELNS1_3gpuE7ELNS1_3repE0EEENS1_44radix_sort_block_sort_config_static_selectorELNS0_4arch9wavefront6targetE0EEEvSF_,comdat
.Lfunc_end1644:
	.size	_ZN7rocprim17ROCPRIM_400000_NS6detail17trampoline_kernelINS0_13kernel_configILj256ELj4ELj4294967295EEENS1_37radix_sort_block_sort_config_selectorIbNS0_10empty_typeEEEZNS1_21radix_sort_block_sortIS4_Lb1EPKbPbPS6_SC_NS0_19identity_decomposerEEE10hipError_tT1_T2_T3_T4_jRjT5_jjP12ihipStream_tbEUlT_E_NS1_11comp_targetILNS1_3genE3ELNS1_11target_archE908ELNS1_3gpuE7ELNS1_3repE0EEENS1_44radix_sort_block_sort_config_static_selectorELNS0_4arch9wavefront6targetE0EEEvSF_, .Lfunc_end1644-_ZN7rocprim17ROCPRIM_400000_NS6detail17trampoline_kernelINS0_13kernel_configILj256ELj4ELj4294967295EEENS1_37radix_sort_block_sort_config_selectorIbNS0_10empty_typeEEEZNS1_21radix_sort_block_sortIS4_Lb1EPKbPbPS6_SC_NS0_19identity_decomposerEEE10hipError_tT1_T2_T3_T4_jRjT5_jjP12ihipStream_tbEUlT_E_NS1_11comp_targetILNS1_3genE3ELNS1_11target_archE908ELNS1_3gpuE7ELNS1_3repE0EEENS1_44radix_sort_block_sort_config_static_selectorELNS0_4arch9wavefront6targetE0EEEvSF_
                                        ; -- End function
	.set _ZN7rocprim17ROCPRIM_400000_NS6detail17trampoline_kernelINS0_13kernel_configILj256ELj4ELj4294967295EEENS1_37radix_sort_block_sort_config_selectorIbNS0_10empty_typeEEEZNS1_21radix_sort_block_sortIS4_Lb1EPKbPbPS6_SC_NS0_19identity_decomposerEEE10hipError_tT1_T2_T3_T4_jRjT5_jjP12ihipStream_tbEUlT_E_NS1_11comp_targetILNS1_3genE3ELNS1_11target_archE908ELNS1_3gpuE7ELNS1_3repE0EEENS1_44radix_sort_block_sort_config_static_selectorELNS0_4arch9wavefront6targetE0EEEvSF_.num_vgpr, 0
	.set _ZN7rocprim17ROCPRIM_400000_NS6detail17trampoline_kernelINS0_13kernel_configILj256ELj4ELj4294967295EEENS1_37radix_sort_block_sort_config_selectorIbNS0_10empty_typeEEEZNS1_21radix_sort_block_sortIS4_Lb1EPKbPbPS6_SC_NS0_19identity_decomposerEEE10hipError_tT1_T2_T3_T4_jRjT5_jjP12ihipStream_tbEUlT_E_NS1_11comp_targetILNS1_3genE3ELNS1_11target_archE908ELNS1_3gpuE7ELNS1_3repE0EEENS1_44radix_sort_block_sort_config_static_selectorELNS0_4arch9wavefront6targetE0EEEvSF_.num_agpr, 0
	.set _ZN7rocprim17ROCPRIM_400000_NS6detail17trampoline_kernelINS0_13kernel_configILj256ELj4ELj4294967295EEENS1_37radix_sort_block_sort_config_selectorIbNS0_10empty_typeEEEZNS1_21radix_sort_block_sortIS4_Lb1EPKbPbPS6_SC_NS0_19identity_decomposerEEE10hipError_tT1_T2_T3_T4_jRjT5_jjP12ihipStream_tbEUlT_E_NS1_11comp_targetILNS1_3genE3ELNS1_11target_archE908ELNS1_3gpuE7ELNS1_3repE0EEENS1_44radix_sort_block_sort_config_static_selectorELNS0_4arch9wavefront6targetE0EEEvSF_.numbered_sgpr, 0
	.set _ZN7rocprim17ROCPRIM_400000_NS6detail17trampoline_kernelINS0_13kernel_configILj256ELj4ELj4294967295EEENS1_37radix_sort_block_sort_config_selectorIbNS0_10empty_typeEEEZNS1_21radix_sort_block_sortIS4_Lb1EPKbPbPS6_SC_NS0_19identity_decomposerEEE10hipError_tT1_T2_T3_T4_jRjT5_jjP12ihipStream_tbEUlT_E_NS1_11comp_targetILNS1_3genE3ELNS1_11target_archE908ELNS1_3gpuE7ELNS1_3repE0EEENS1_44radix_sort_block_sort_config_static_selectorELNS0_4arch9wavefront6targetE0EEEvSF_.num_named_barrier, 0
	.set _ZN7rocprim17ROCPRIM_400000_NS6detail17trampoline_kernelINS0_13kernel_configILj256ELj4ELj4294967295EEENS1_37radix_sort_block_sort_config_selectorIbNS0_10empty_typeEEEZNS1_21radix_sort_block_sortIS4_Lb1EPKbPbPS6_SC_NS0_19identity_decomposerEEE10hipError_tT1_T2_T3_T4_jRjT5_jjP12ihipStream_tbEUlT_E_NS1_11comp_targetILNS1_3genE3ELNS1_11target_archE908ELNS1_3gpuE7ELNS1_3repE0EEENS1_44radix_sort_block_sort_config_static_selectorELNS0_4arch9wavefront6targetE0EEEvSF_.private_seg_size, 0
	.set _ZN7rocprim17ROCPRIM_400000_NS6detail17trampoline_kernelINS0_13kernel_configILj256ELj4ELj4294967295EEENS1_37radix_sort_block_sort_config_selectorIbNS0_10empty_typeEEEZNS1_21radix_sort_block_sortIS4_Lb1EPKbPbPS6_SC_NS0_19identity_decomposerEEE10hipError_tT1_T2_T3_T4_jRjT5_jjP12ihipStream_tbEUlT_E_NS1_11comp_targetILNS1_3genE3ELNS1_11target_archE908ELNS1_3gpuE7ELNS1_3repE0EEENS1_44radix_sort_block_sort_config_static_selectorELNS0_4arch9wavefront6targetE0EEEvSF_.uses_vcc, 0
	.set _ZN7rocprim17ROCPRIM_400000_NS6detail17trampoline_kernelINS0_13kernel_configILj256ELj4ELj4294967295EEENS1_37radix_sort_block_sort_config_selectorIbNS0_10empty_typeEEEZNS1_21radix_sort_block_sortIS4_Lb1EPKbPbPS6_SC_NS0_19identity_decomposerEEE10hipError_tT1_T2_T3_T4_jRjT5_jjP12ihipStream_tbEUlT_E_NS1_11comp_targetILNS1_3genE3ELNS1_11target_archE908ELNS1_3gpuE7ELNS1_3repE0EEENS1_44radix_sort_block_sort_config_static_selectorELNS0_4arch9wavefront6targetE0EEEvSF_.uses_flat_scratch, 0
	.set _ZN7rocprim17ROCPRIM_400000_NS6detail17trampoline_kernelINS0_13kernel_configILj256ELj4ELj4294967295EEENS1_37radix_sort_block_sort_config_selectorIbNS0_10empty_typeEEEZNS1_21radix_sort_block_sortIS4_Lb1EPKbPbPS6_SC_NS0_19identity_decomposerEEE10hipError_tT1_T2_T3_T4_jRjT5_jjP12ihipStream_tbEUlT_E_NS1_11comp_targetILNS1_3genE3ELNS1_11target_archE908ELNS1_3gpuE7ELNS1_3repE0EEENS1_44radix_sort_block_sort_config_static_selectorELNS0_4arch9wavefront6targetE0EEEvSF_.has_dyn_sized_stack, 0
	.set _ZN7rocprim17ROCPRIM_400000_NS6detail17trampoline_kernelINS0_13kernel_configILj256ELj4ELj4294967295EEENS1_37radix_sort_block_sort_config_selectorIbNS0_10empty_typeEEEZNS1_21radix_sort_block_sortIS4_Lb1EPKbPbPS6_SC_NS0_19identity_decomposerEEE10hipError_tT1_T2_T3_T4_jRjT5_jjP12ihipStream_tbEUlT_E_NS1_11comp_targetILNS1_3genE3ELNS1_11target_archE908ELNS1_3gpuE7ELNS1_3repE0EEENS1_44radix_sort_block_sort_config_static_selectorELNS0_4arch9wavefront6targetE0EEEvSF_.has_recursion, 0
	.set _ZN7rocprim17ROCPRIM_400000_NS6detail17trampoline_kernelINS0_13kernel_configILj256ELj4ELj4294967295EEENS1_37radix_sort_block_sort_config_selectorIbNS0_10empty_typeEEEZNS1_21radix_sort_block_sortIS4_Lb1EPKbPbPS6_SC_NS0_19identity_decomposerEEE10hipError_tT1_T2_T3_T4_jRjT5_jjP12ihipStream_tbEUlT_E_NS1_11comp_targetILNS1_3genE3ELNS1_11target_archE908ELNS1_3gpuE7ELNS1_3repE0EEENS1_44radix_sort_block_sort_config_static_selectorELNS0_4arch9wavefront6targetE0EEEvSF_.has_indirect_call, 0
	.section	.AMDGPU.csdata,"",@progbits
; Kernel info:
; codeLenInByte = 0
; TotalNumSgprs: 0
; NumVgprs: 0
; ScratchSize: 0
; MemoryBound: 0
; FloatMode: 240
; IeeeMode: 1
; LDSByteSize: 0 bytes/workgroup (compile time only)
; SGPRBlocks: 0
; VGPRBlocks: 0
; NumSGPRsForWavesPerEU: 1
; NumVGPRsForWavesPerEU: 1
; NamedBarCnt: 0
; Occupancy: 16
; WaveLimiterHint : 0
; COMPUTE_PGM_RSRC2:SCRATCH_EN: 0
; COMPUTE_PGM_RSRC2:USER_SGPR: 2
; COMPUTE_PGM_RSRC2:TRAP_HANDLER: 0
; COMPUTE_PGM_RSRC2:TGID_X_EN: 1
; COMPUTE_PGM_RSRC2:TGID_Y_EN: 0
; COMPUTE_PGM_RSRC2:TGID_Z_EN: 0
; COMPUTE_PGM_RSRC2:TIDIG_COMP_CNT: 0
	.section	.text._ZN7rocprim17ROCPRIM_400000_NS6detail17trampoline_kernelINS0_13kernel_configILj256ELj4ELj4294967295EEENS1_37radix_sort_block_sort_config_selectorIbNS0_10empty_typeEEEZNS1_21radix_sort_block_sortIS4_Lb1EPKbPbPS6_SC_NS0_19identity_decomposerEEE10hipError_tT1_T2_T3_T4_jRjT5_jjP12ihipStream_tbEUlT_E_NS1_11comp_targetILNS1_3genE2ELNS1_11target_archE906ELNS1_3gpuE6ELNS1_3repE0EEENS1_44radix_sort_block_sort_config_static_selectorELNS0_4arch9wavefront6targetE0EEEvSF_,"axG",@progbits,_ZN7rocprim17ROCPRIM_400000_NS6detail17trampoline_kernelINS0_13kernel_configILj256ELj4ELj4294967295EEENS1_37radix_sort_block_sort_config_selectorIbNS0_10empty_typeEEEZNS1_21radix_sort_block_sortIS4_Lb1EPKbPbPS6_SC_NS0_19identity_decomposerEEE10hipError_tT1_T2_T3_T4_jRjT5_jjP12ihipStream_tbEUlT_E_NS1_11comp_targetILNS1_3genE2ELNS1_11target_archE906ELNS1_3gpuE6ELNS1_3repE0EEENS1_44radix_sort_block_sort_config_static_selectorELNS0_4arch9wavefront6targetE0EEEvSF_,comdat
	.protected	_ZN7rocprim17ROCPRIM_400000_NS6detail17trampoline_kernelINS0_13kernel_configILj256ELj4ELj4294967295EEENS1_37radix_sort_block_sort_config_selectorIbNS0_10empty_typeEEEZNS1_21radix_sort_block_sortIS4_Lb1EPKbPbPS6_SC_NS0_19identity_decomposerEEE10hipError_tT1_T2_T3_T4_jRjT5_jjP12ihipStream_tbEUlT_E_NS1_11comp_targetILNS1_3genE2ELNS1_11target_archE906ELNS1_3gpuE6ELNS1_3repE0EEENS1_44radix_sort_block_sort_config_static_selectorELNS0_4arch9wavefront6targetE0EEEvSF_ ; -- Begin function _ZN7rocprim17ROCPRIM_400000_NS6detail17trampoline_kernelINS0_13kernel_configILj256ELj4ELj4294967295EEENS1_37radix_sort_block_sort_config_selectorIbNS0_10empty_typeEEEZNS1_21radix_sort_block_sortIS4_Lb1EPKbPbPS6_SC_NS0_19identity_decomposerEEE10hipError_tT1_T2_T3_T4_jRjT5_jjP12ihipStream_tbEUlT_E_NS1_11comp_targetILNS1_3genE2ELNS1_11target_archE906ELNS1_3gpuE6ELNS1_3repE0EEENS1_44radix_sort_block_sort_config_static_selectorELNS0_4arch9wavefront6targetE0EEEvSF_
	.globl	_ZN7rocprim17ROCPRIM_400000_NS6detail17trampoline_kernelINS0_13kernel_configILj256ELj4ELj4294967295EEENS1_37radix_sort_block_sort_config_selectorIbNS0_10empty_typeEEEZNS1_21radix_sort_block_sortIS4_Lb1EPKbPbPS6_SC_NS0_19identity_decomposerEEE10hipError_tT1_T2_T3_T4_jRjT5_jjP12ihipStream_tbEUlT_E_NS1_11comp_targetILNS1_3genE2ELNS1_11target_archE906ELNS1_3gpuE6ELNS1_3repE0EEENS1_44radix_sort_block_sort_config_static_selectorELNS0_4arch9wavefront6targetE0EEEvSF_
	.p2align	8
	.type	_ZN7rocprim17ROCPRIM_400000_NS6detail17trampoline_kernelINS0_13kernel_configILj256ELj4ELj4294967295EEENS1_37radix_sort_block_sort_config_selectorIbNS0_10empty_typeEEEZNS1_21radix_sort_block_sortIS4_Lb1EPKbPbPS6_SC_NS0_19identity_decomposerEEE10hipError_tT1_T2_T3_T4_jRjT5_jjP12ihipStream_tbEUlT_E_NS1_11comp_targetILNS1_3genE2ELNS1_11target_archE906ELNS1_3gpuE6ELNS1_3repE0EEENS1_44radix_sort_block_sort_config_static_selectorELNS0_4arch9wavefront6targetE0EEEvSF_,@function
_ZN7rocprim17ROCPRIM_400000_NS6detail17trampoline_kernelINS0_13kernel_configILj256ELj4ELj4294967295EEENS1_37radix_sort_block_sort_config_selectorIbNS0_10empty_typeEEEZNS1_21radix_sort_block_sortIS4_Lb1EPKbPbPS6_SC_NS0_19identity_decomposerEEE10hipError_tT1_T2_T3_T4_jRjT5_jjP12ihipStream_tbEUlT_E_NS1_11comp_targetILNS1_3genE2ELNS1_11target_archE906ELNS1_3gpuE6ELNS1_3repE0EEENS1_44radix_sort_block_sort_config_static_selectorELNS0_4arch9wavefront6targetE0EEEvSF_: ; @_ZN7rocprim17ROCPRIM_400000_NS6detail17trampoline_kernelINS0_13kernel_configILj256ELj4ELj4294967295EEENS1_37radix_sort_block_sort_config_selectorIbNS0_10empty_typeEEEZNS1_21radix_sort_block_sortIS4_Lb1EPKbPbPS6_SC_NS0_19identity_decomposerEEE10hipError_tT1_T2_T3_T4_jRjT5_jjP12ihipStream_tbEUlT_E_NS1_11comp_targetILNS1_3genE2ELNS1_11target_archE906ELNS1_3gpuE6ELNS1_3repE0EEENS1_44radix_sort_block_sort_config_static_selectorELNS0_4arch9wavefront6targetE0EEEvSF_
; %bb.0:
	.section	.rodata,"a",@progbits
	.p2align	6, 0x0
	.amdhsa_kernel _ZN7rocprim17ROCPRIM_400000_NS6detail17trampoline_kernelINS0_13kernel_configILj256ELj4ELj4294967295EEENS1_37radix_sort_block_sort_config_selectorIbNS0_10empty_typeEEEZNS1_21radix_sort_block_sortIS4_Lb1EPKbPbPS6_SC_NS0_19identity_decomposerEEE10hipError_tT1_T2_T3_T4_jRjT5_jjP12ihipStream_tbEUlT_E_NS1_11comp_targetILNS1_3genE2ELNS1_11target_archE906ELNS1_3gpuE6ELNS1_3repE0EEENS1_44radix_sort_block_sort_config_static_selectorELNS0_4arch9wavefront6targetE0EEEvSF_
		.amdhsa_group_segment_fixed_size 0
		.amdhsa_private_segment_fixed_size 0
		.amdhsa_kernarg_size 48
		.amdhsa_user_sgpr_count 2
		.amdhsa_user_sgpr_dispatch_ptr 0
		.amdhsa_user_sgpr_queue_ptr 0
		.amdhsa_user_sgpr_kernarg_segment_ptr 1
		.amdhsa_user_sgpr_dispatch_id 0
		.amdhsa_user_sgpr_kernarg_preload_length 0
		.amdhsa_user_sgpr_kernarg_preload_offset 0
		.amdhsa_user_sgpr_private_segment_size 0
		.amdhsa_wavefront_size32 1
		.amdhsa_uses_dynamic_stack 0
		.amdhsa_enable_private_segment 0
		.amdhsa_system_sgpr_workgroup_id_x 1
		.amdhsa_system_sgpr_workgroup_id_y 0
		.amdhsa_system_sgpr_workgroup_id_z 0
		.amdhsa_system_sgpr_workgroup_info 0
		.amdhsa_system_vgpr_workitem_id 0
		.amdhsa_next_free_vgpr 1
		.amdhsa_next_free_sgpr 1
		.amdhsa_named_barrier_count 0
		.amdhsa_reserve_vcc 0
		.amdhsa_float_round_mode_32 0
		.amdhsa_float_round_mode_16_64 0
		.amdhsa_float_denorm_mode_32 3
		.amdhsa_float_denorm_mode_16_64 3
		.amdhsa_fp16_overflow 0
		.amdhsa_memory_ordered 1
		.amdhsa_forward_progress 1
		.amdhsa_inst_pref_size 0
		.amdhsa_round_robin_scheduling 0
		.amdhsa_exception_fp_ieee_invalid_op 0
		.amdhsa_exception_fp_denorm_src 0
		.amdhsa_exception_fp_ieee_div_zero 0
		.amdhsa_exception_fp_ieee_overflow 0
		.amdhsa_exception_fp_ieee_underflow 0
		.amdhsa_exception_fp_ieee_inexact 0
		.amdhsa_exception_int_div_zero 0
	.end_amdhsa_kernel
	.section	.text._ZN7rocprim17ROCPRIM_400000_NS6detail17trampoline_kernelINS0_13kernel_configILj256ELj4ELj4294967295EEENS1_37radix_sort_block_sort_config_selectorIbNS0_10empty_typeEEEZNS1_21radix_sort_block_sortIS4_Lb1EPKbPbPS6_SC_NS0_19identity_decomposerEEE10hipError_tT1_T2_T3_T4_jRjT5_jjP12ihipStream_tbEUlT_E_NS1_11comp_targetILNS1_3genE2ELNS1_11target_archE906ELNS1_3gpuE6ELNS1_3repE0EEENS1_44radix_sort_block_sort_config_static_selectorELNS0_4arch9wavefront6targetE0EEEvSF_,"axG",@progbits,_ZN7rocprim17ROCPRIM_400000_NS6detail17trampoline_kernelINS0_13kernel_configILj256ELj4ELj4294967295EEENS1_37radix_sort_block_sort_config_selectorIbNS0_10empty_typeEEEZNS1_21radix_sort_block_sortIS4_Lb1EPKbPbPS6_SC_NS0_19identity_decomposerEEE10hipError_tT1_T2_T3_T4_jRjT5_jjP12ihipStream_tbEUlT_E_NS1_11comp_targetILNS1_3genE2ELNS1_11target_archE906ELNS1_3gpuE6ELNS1_3repE0EEENS1_44radix_sort_block_sort_config_static_selectorELNS0_4arch9wavefront6targetE0EEEvSF_,comdat
.Lfunc_end1645:
	.size	_ZN7rocprim17ROCPRIM_400000_NS6detail17trampoline_kernelINS0_13kernel_configILj256ELj4ELj4294967295EEENS1_37radix_sort_block_sort_config_selectorIbNS0_10empty_typeEEEZNS1_21radix_sort_block_sortIS4_Lb1EPKbPbPS6_SC_NS0_19identity_decomposerEEE10hipError_tT1_T2_T3_T4_jRjT5_jjP12ihipStream_tbEUlT_E_NS1_11comp_targetILNS1_3genE2ELNS1_11target_archE906ELNS1_3gpuE6ELNS1_3repE0EEENS1_44radix_sort_block_sort_config_static_selectorELNS0_4arch9wavefront6targetE0EEEvSF_, .Lfunc_end1645-_ZN7rocprim17ROCPRIM_400000_NS6detail17trampoline_kernelINS0_13kernel_configILj256ELj4ELj4294967295EEENS1_37radix_sort_block_sort_config_selectorIbNS0_10empty_typeEEEZNS1_21radix_sort_block_sortIS4_Lb1EPKbPbPS6_SC_NS0_19identity_decomposerEEE10hipError_tT1_T2_T3_T4_jRjT5_jjP12ihipStream_tbEUlT_E_NS1_11comp_targetILNS1_3genE2ELNS1_11target_archE906ELNS1_3gpuE6ELNS1_3repE0EEENS1_44radix_sort_block_sort_config_static_selectorELNS0_4arch9wavefront6targetE0EEEvSF_
                                        ; -- End function
	.set _ZN7rocprim17ROCPRIM_400000_NS6detail17trampoline_kernelINS0_13kernel_configILj256ELj4ELj4294967295EEENS1_37radix_sort_block_sort_config_selectorIbNS0_10empty_typeEEEZNS1_21radix_sort_block_sortIS4_Lb1EPKbPbPS6_SC_NS0_19identity_decomposerEEE10hipError_tT1_T2_T3_T4_jRjT5_jjP12ihipStream_tbEUlT_E_NS1_11comp_targetILNS1_3genE2ELNS1_11target_archE906ELNS1_3gpuE6ELNS1_3repE0EEENS1_44radix_sort_block_sort_config_static_selectorELNS0_4arch9wavefront6targetE0EEEvSF_.num_vgpr, 0
	.set _ZN7rocprim17ROCPRIM_400000_NS6detail17trampoline_kernelINS0_13kernel_configILj256ELj4ELj4294967295EEENS1_37radix_sort_block_sort_config_selectorIbNS0_10empty_typeEEEZNS1_21radix_sort_block_sortIS4_Lb1EPKbPbPS6_SC_NS0_19identity_decomposerEEE10hipError_tT1_T2_T3_T4_jRjT5_jjP12ihipStream_tbEUlT_E_NS1_11comp_targetILNS1_3genE2ELNS1_11target_archE906ELNS1_3gpuE6ELNS1_3repE0EEENS1_44radix_sort_block_sort_config_static_selectorELNS0_4arch9wavefront6targetE0EEEvSF_.num_agpr, 0
	.set _ZN7rocprim17ROCPRIM_400000_NS6detail17trampoline_kernelINS0_13kernel_configILj256ELj4ELj4294967295EEENS1_37radix_sort_block_sort_config_selectorIbNS0_10empty_typeEEEZNS1_21radix_sort_block_sortIS4_Lb1EPKbPbPS6_SC_NS0_19identity_decomposerEEE10hipError_tT1_T2_T3_T4_jRjT5_jjP12ihipStream_tbEUlT_E_NS1_11comp_targetILNS1_3genE2ELNS1_11target_archE906ELNS1_3gpuE6ELNS1_3repE0EEENS1_44radix_sort_block_sort_config_static_selectorELNS0_4arch9wavefront6targetE0EEEvSF_.numbered_sgpr, 0
	.set _ZN7rocprim17ROCPRIM_400000_NS6detail17trampoline_kernelINS0_13kernel_configILj256ELj4ELj4294967295EEENS1_37radix_sort_block_sort_config_selectorIbNS0_10empty_typeEEEZNS1_21radix_sort_block_sortIS4_Lb1EPKbPbPS6_SC_NS0_19identity_decomposerEEE10hipError_tT1_T2_T3_T4_jRjT5_jjP12ihipStream_tbEUlT_E_NS1_11comp_targetILNS1_3genE2ELNS1_11target_archE906ELNS1_3gpuE6ELNS1_3repE0EEENS1_44radix_sort_block_sort_config_static_selectorELNS0_4arch9wavefront6targetE0EEEvSF_.num_named_barrier, 0
	.set _ZN7rocprim17ROCPRIM_400000_NS6detail17trampoline_kernelINS0_13kernel_configILj256ELj4ELj4294967295EEENS1_37radix_sort_block_sort_config_selectorIbNS0_10empty_typeEEEZNS1_21radix_sort_block_sortIS4_Lb1EPKbPbPS6_SC_NS0_19identity_decomposerEEE10hipError_tT1_T2_T3_T4_jRjT5_jjP12ihipStream_tbEUlT_E_NS1_11comp_targetILNS1_3genE2ELNS1_11target_archE906ELNS1_3gpuE6ELNS1_3repE0EEENS1_44radix_sort_block_sort_config_static_selectorELNS0_4arch9wavefront6targetE0EEEvSF_.private_seg_size, 0
	.set _ZN7rocprim17ROCPRIM_400000_NS6detail17trampoline_kernelINS0_13kernel_configILj256ELj4ELj4294967295EEENS1_37radix_sort_block_sort_config_selectorIbNS0_10empty_typeEEEZNS1_21radix_sort_block_sortIS4_Lb1EPKbPbPS6_SC_NS0_19identity_decomposerEEE10hipError_tT1_T2_T3_T4_jRjT5_jjP12ihipStream_tbEUlT_E_NS1_11comp_targetILNS1_3genE2ELNS1_11target_archE906ELNS1_3gpuE6ELNS1_3repE0EEENS1_44radix_sort_block_sort_config_static_selectorELNS0_4arch9wavefront6targetE0EEEvSF_.uses_vcc, 0
	.set _ZN7rocprim17ROCPRIM_400000_NS6detail17trampoline_kernelINS0_13kernel_configILj256ELj4ELj4294967295EEENS1_37radix_sort_block_sort_config_selectorIbNS0_10empty_typeEEEZNS1_21radix_sort_block_sortIS4_Lb1EPKbPbPS6_SC_NS0_19identity_decomposerEEE10hipError_tT1_T2_T3_T4_jRjT5_jjP12ihipStream_tbEUlT_E_NS1_11comp_targetILNS1_3genE2ELNS1_11target_archE906ELNS1_3gpuE6ELNS1_3repE0EEENS1_44radix_sort_block_sort_config_static_selectorELNS0_4arch9wavefront6targetE0EEEvSF_.uses_flat_scratch, 0
	.set _ZN7rocprim17ROCPRIM_400000_NS6detail17trampoline_kernelINS0_13kernel_configILj256ELj4ELj4294967295EEENS1_37radix_sort_block_sort_config_selectorIbNS0_10empty_typeEEEZNS1_21radix_sort_block_sortIS4_Lb1EPKbPbPS6_SC_NS0_19identity_decomposerEEE10hipError_tT1_T2_T3_T4_jRjT5_jjP12ihipStream_tbEUlT_E_NS1_11comp_targetILNS1_3genE2ELNS1_11target_archE906ELNS1_3gpuE6ELNS1_3repE0EEENS1_44radix_sort_block_sort_config_static_selectorELNS0_4arch9wavefront6targetE0EEEvSF_.has_dyn_sized_stack, 0
	.set _ZN7rocprim17ROCPRIM_400000_NS6detail17trampoline_kernelINS0_13kernel_configILj256ELj4ELj4294967295EEENS1_37radix_sort_block_sort_config_selectorIbNS0_10empty_typeEEEZNS1_21radix_sort_block_sortIS4_Lb1EPKbPbPS6_SC_NS0_19identity_decomposerEEE10hipError_tT1_T2_T3_T4_jRjT5_jjP12ihipStream_tbEUlT_E_NS1_11comp_targetILNS1_3genE2ELNS1_11target_archE906ELNS1_3gpuE6ELNS1_3repE0EEENS1_44radix_sort_block_sort_config_static_selectorELNS0_4arch9wavefront6targetE0EEEvSF_.has_recursion, 0
	.set _ZN7rocprim17ROCPRIM_400000_NS6detail17trampoline_kernelINS0_13kernel_configILj256ELj4ELj4294967295EEENS1_37radix_sort_block_sort_config_selectorIbNS0_10empty_typeEEEZNS1_21radix_sort_block_sortIS4_Lb1EPKbPbPS6_SC_NS0_19identity_decomposerEEE10hipError_tT1_T2_T3_T4_jRjT5_jjP12ihipStream_tbEUlT_E_NS1_11comp_targetILNS1_3genE2ELNS1_11target_archE906ELNS1_3gpuE6ELNS1_3repE0EEENS1_44radix_sort_block_sort_config_static_selectorELNS0_4arch9wavefront6targetE0EEEvSF_.has_indirect_call, 0
	.section	.AMDGPU.csdata,"",@progbits
; Kernel info:
; codeLenInByte = 0
; TotalNumSgprs: 0
; NumVgprs: 0
; ScratchSize: 0
; MemoryBound: 0
; FloatMode: 240
; IeeeMode: 1
; LDSByteSize: 0 bytes/workgroup (compile time only)
; SGPRBlocks: 0
; VGPRBlocks: 0
; NumSGPRsForWavesPerEU: 1
; NumVGPRsForWavesPerEU: 1
; NamedBarCnt: 0
; Occupancy: 16
; WaveLimiterHint : 0
; COMPUTE_PGM_RSRC2:SCRATCH_EN: 0
; COMPUTE_PGM_RSRC2:USER_SGPR: 2
; COMPUTE_PGM_RSRC2:TRAP_HANDLER: 0
; COMPUTE_PGM_RSRC2:TGID_X_EN: 1
; COMPUTE_PGM_RSRC2:TGID_Y_EN: 0
; COMPUTE_PGM_RSRC2:TGID_Z_EN: 0
; COMPUTE_PGM_RSRC2:TIDIG_COMP_CNT: 0
	.section	.text._ZN7rocprim17ROCPRIM_400000_NS6detail17trampoline_kernelINS0_13kernel_configILj256ELj4ELj4294967295EEENS1_37radix_sort_block_sort_config_selectorIbNS0_10empty_typeEEEZNS1_21radix_sort_block_sortIS4_Lb1EPKbPbPS6_SC_NS0_19identity_decomposerEEE10hipError_tT1_T2_T3_T4_jRjT5_jjP12ihipStream_tbEUlT_E_NS1_11comp_targetILNS1_3genE10ELNS1_11target_archE1201ELNS1_3gpuE5ELNS1_3repE0EEENS1_44radix_sort_block_sort_config_static_selectorELNS0_4arch9wavefront6targetE0EEEvSF_,"axG",@progbits,_ZN7rocprim17ROCPRIM_400000_NS6detail17trampoline_kernelINS0_13kernel_configILj256ELj4ELj4294967295EEENS1_37radix_sort_block_sort_config_selectorIbNS0_10empty_typeEEEZNS1_21radix_sort_block_sortIS4_Lb1EPKbPbPS6_SC_NS0_19identity_decomposerEEE10hipError_tT1_T2_T3_T4_jRjT5_jjP12ihipStream_tbEUlT_E_NS1_11comp_targetILNS1_3genE10ELNS1_11target_archE1201ELNS1_3gpuE5ELNS1_3repE0EEENS1_44radix_sort_block_sort_config_static_selectorELNS0_4arch9wavefront6targetE0EEEvSF_,comdat
	.protected	_ZN7rocprim17ROCPRIM_400000_NS6detail17trampoline_kernelINS0_13kernel_configILj256ELj4ELj4294967295EEENS1_37radix_sort_block_sort_config_selectorIbNS0_10empty_typeEEEZNS1_21radix_sort_block_sortIS4_Lb1EPKbPbPS6_SC_NS0_19identity_decomposerEEE10hipError_tT1_T2_T3_T4_jRjT5_jjP12ihipStream_tbEUlT_E_NS1_11comp_targetILNS1_3genE10ELNS1_11target_archE1201ELNS1_3gpuE5ELNS1_3repE0EEENS1_44radix_sort_block_sort_config_static_selectorELNS0_4arch9wavefront6targetE0EEEvSF_ ; -- Begin function _ZN7rocprim17ROCPRIM_400000_NS6detail17trampoline_kernelINS0_13kernel_configILj256ELj4ELj4294967295EEENS1_37radix_sort_block_sort_config_selectorIbNS0_10empty_typeEEEZNS1_21radix_sort_block_sortIS4_Lb1EPKbPbPS6_SC_NS0_19identity_decomposerEEE10hipError_tT1_T2_T3_T4_jRjT5_jjP12ihipStream_tbEUlT_E_NS1_11comp_targetILNS1_3genE10ELNS1_11target_archE1201ELNS1_3gpuE5ELNS1_3repE0EEENS1_44radix_sort_block_sort_config_static_selectorELNS0_4arch9wavefront6targetE0EEEvSF_
	.globl	_ZN7rocprim17ROCPRIM_400000_NS6detail17trampoline_kernelINS0_13kernel_configILj256ELj4ELj4294967295EEENS1_37radix_sort_block_sort_config_selectorIbNS0_10empty_typeEEEZNS1_21radix_sort_block_sortIS4_Lb1EPKbPbPS6_SC_NS0_19identity_decomposerEEE10hipError_tT1_T2_T3_T4_jRjT5_jjP12ihipStream_tbEUlT_E_NS1_11comp_targetILNS1_3genE10ELNS1_11target_archE1201ELNS1_3gpuE5ELNS1_3repE0EEENS1_44radix_sort_block_sort_config_static_selectorELNS0_4arch9wavefront6targetE0EEEvSF_
	.p2align	8
	.type	_ZN7rocprim17ROCPRIM_400000_NS6detail17trampoline_kernelINS0_13kernel_configILj256ELj4ELj4294967295EEENS1_37radix_sort_block_sort_config_selectorIbNS0_10empty_typeEEEZNS1_21radix_sort_block_sortIS4_Lb1EPKbPbPS6_SC_NS0_19identity_decomposerEEE10hipError_tT1_T2_T3_T4_jRjT5_jjP12ihipStream_tbEUlT_E_NS1_11comp_targetILNS1_3genE10ELNS1_11target_archE1201ELNS1_3gpuE5ELNS1_3repE0EEENS1_44radix_sort_block_sort_config_static_selectorELNS0_4arch9wavefront6targetE0EEEvSF_,@function
_ZN7rocprim17ROCPRIM_400000_NS6detail17trampoline_kernelINS0_13kernel_configILj256ELj4ELj4294967295EEENS1_37radix_sort_block_sort_config_selectorIbNS0_10empty_typeEEEZNS1_21radix_sort_block_sortIS4_Lb1EPKbPbPS6_SC_NS0_19identity_decomposerEEE10hipError_tT1_T2_T3_T4_jRjT5_jjP12ihipStream_tbEUlT_E_NS1_11comp_targetILNS1_3genE10ELNS1_11target_archE1201ELNS1_3gpuE5ELNS1_3repE0EEENS1_44radix_sort_block_sort_config_static_selectorELNS0_4arch9wavefront6targetE0EEEvSF_: ; @_ZN7rocprim17ROCPRIM_400000_NS6detail17trampoline_kernelINS0_13kernel_configILj256ELj4ELj4294967295EEENS1_37radix_sort_block_sort_config_selectorIbNS0_10empty_typeEEEZNS1_21radix_sort_block_sortIS4_Lb1EPKbPbPS6_SC_NS0_19identity_decomposerEEE10hipError_tT1_T2_T3_T4_jRjT5_jjP12ihipStream_tbEUlT_E_NS1_11comp_targetILNS1_3genE10ELNS1_11target_archE1201ELNS1_3gpuE5ELNS1_3repE0EEENS1_44radix_sort_block_sort_config_static_selectorELNS0_4arch9wavefront6targetE0EEEvSF_
; %bb.0:
	.section	.rodata,"a",@progbits
	.p2align	6, 0x0
	.amdhsa_kernel _ZN7rocprim17ROCPRIM_400000_NS6detail17trampoline_kernelINS0_13kernel_configILj256ELj4ELj4294967295EEENS1_37radix_sort_block_sort_config_selectorIbNS0_10empty_typeEEEZNS1_21radix_sort_block_sortIS4_Lb1EPKbPbPS6_SC_NS0_19identity_decomposerEEE10hipError_tT1_T2_T3_T4_jRjT5_jjP12ihipStream_tbEUlT_E_NS1_11comp_targetILNS1_3genE10ELNS1_11target_archE1201ELNS1_3gpuE5ELNS1_3repE0EEENS1_44radix_sort_block_sort_config_static_selectorELNS0_4arch9wavefront6targetE0EEEvSF_
		.amdhsa_group_segment_fixed_size 0
		.amdhsa_private_segment_fixed_size 0
		.amdhsa_kernarg_size 48
		.amdhsa_user_sgpr_count 2
		.amdhsa_user_sgpr_dispatch_ptr 0
		.amdhsa_user_sgpr_queue_ptr 0
		.amdhsa_user_sgpr_kernarg_segment_ptr 1
		.amdhsa_user_sgpr_dispatch_id 0
		.amdhsa_user_sgpr_kernarg_preload_length 0
		.amdhsa_user_sgpr_kernarg_preload_offset 0
		.amdhsa_user_sgpr_private_segment_size 0
		.amdhsa_wavefront_size32 1
		.amdhsa_uses_dynamic_stack 0
		.amdhsa_enable_private_segment 0
		.amdhsa_system_sgpr_workgroup_id_x 1
		.amdhsa_system_sgpr_workgroup_id_y 0
		.amdhsa_system_sgpr_workgroup_id_z 0
		.amdhsa_system_sgpr_workgroup_info 0
		.amdhsa_system_vgpr_workitem_id 0
		.amdhsa_next_free_vgpr 1
		.amdhsa_next_free_sgpr 1
		.amdhsa_named_barrier_count 0
		.amdhsa_reserve_vcc 0
		.amdhsa_float_round_mode_32 0
		.amdhsa_float_round_mode_16_64 0
		.amdhsa_float_denorm_mode_32 3
		.amdhsa_float_denorm_mode_16_64 3
		.amdhsa_fp16_overflow 0
		.amdhsa_memory_ordered 1
		.amdhsa_forward_progress 1
		.amdhsa_inst_pref_size 0
		.amdhsa_round_robin_scheduling 0
		.amdhsa_exception_fp_ieee_invalid_op 0
		.amdhsa_exception_fp_denorm_src 0
		.amdhsa_exception_fp_ieee_div_zero 0
		.amdhsa_exception_fp_ieee_overflow 0
		.amdhsa_exception_fp_ieee_underflow 0
		.amdhsa_exception_fp_ieee_inexact 0
		.amdhsa_exception_int_div_zero 0
	.end_amdhsa_kernel
	.section	.text._ZN7rocprim17ROCPRIM_400000_NS6detail17trampoline_kernelINS0_13kernel_configILj256ELj4ELj4294967295EEENS1_37radix_sort_block_sort_config_selectorIbNS0_10empty_typeEEEZNS1_21radix_sort_block_sortIS4_Lb1EPKbPbPS6_SC_NS0_19identity_decomposerEEE10hipError_tT1_T2_T3_T4_jRjT5_jjP12ihipStream_tbEUlT_E_NS1_11comp_targetILNS1_3genE10ELNS1_11target_archE1201ELNS1_3gpuE5ELNS1_3repE0EEENS1_44radix_sort_block_sort_config_static_selectorELNS0_4arch9wavefront6targetE0EEEvSF_,"axG",@progbits,_ZN7rocprim17ROCPRIM_400000_NS6detail17trampoline_kernelINS0_13kernel_configILj256ELj4ELj4294967295EEENS1_37radix_sort_block_sort_config_selectorIbNS0_10empty_typeEEEZNS1_21radix_sort_block_sortIS4_Lb1EPKbPbPS6_SC_NS0_19identity_decomposerEEE10hipError_tT1_T2_T3_T4_jRjT5_jjP12ihipStream_tbEUlT_E_NS1_11comp_targetILNS1_3genE10ELNS1_11target_archE1201ELNS1_3gpuE5ELNS1_3repE0EEENS1_44radix_sort_block_sort_config_static_selectorELNS0_4arch9wavefront6targetE0EEEvSF_,comdat
.Lfunc_end1646:
	.size	_ZN7rocprim17ROCPRIM_400000_NS6detail17trampoline_kernelINS0_13kernel_configILj256ELj4ELj4294967295EEENS1_37radix_sort_block_sort_config_selectorIbNS0_10empty_typeEEEZNS1_21radix_sort_block_sortIS4_Lb1EPKbPbPS6_SC_NS0_19identity_decomposerEEE10hipError_tT1_T2_T3_T4_jRjT5_jjP12ihipStream_tbEUlT_E_NS1_11comp_targetILNS1_3genE10ELNS1_11target_archE1201ELNS1_3gpuE5ELNS1_3repE0EEENS1_44radix_sort_block_sort_config_static_selectorELNS0_4arch9wavefront6targetE0EEEvSF_, .Lfunc_end1646-_ZN7rocprim17ROCPRIM_400000_NS6detail17trampoline_kernelINS0_13kernel_configILj256ELj4ELj4294967295EEENS1_37radix_sort_block_sort_config_selectorIbNS0_10empty_typeEEEZNS1_21radix_sort_block_sortIS4_Lb1EPKbPbPS6_SC_NS0_19identity_decomposerEEE10hipError_tT1_T2_T3_T4_jRjT5_jjP12ihipStream_tbEUlT_E_NS1_11comp_targetILNS1_3genE10ELNS1_11target_archE1201ELNS1_3gpuE5ELNS1_3repE0EEENS1_44radix_sort_block_sort_config_static_selectorELNS0_4arch9wavefront6targetE0EEEvSF_
                                        ; -- End function
	.set _ZN7rocprim17ROCPRIM_400000_NS6detail17trampoline_kernelINS0_13kernel_configILj256ELj4ELj4294967295EEENS1_37radix_sort_block_sort_config_selectorIbNS0_10empty_typeEEEZNS1_21radix_sort_block_sortIS4_Lb1EPKbPbPS6_SC_NS0_19identity_decomposerEEE10hipError_tT1_T2_T3_T4_jRjT5_jjP12ihipStream_tbEUlT_E_NS1_11comp_targetILNS1_3genE10ELNS1_11target_archE1201ELNS1_3gpuE5ELNS1_3repE0EEENS1_44radix_sort_block_sort_config_static_selectorELNS0_4arch9wavefront6targetE0EEEvSF_.num_vgpr, 0
	.set _ZN7rocprim17ROCPRIM_400000_NS6detail17trampoline_kernelINS0_13kernel_configILj256ELj4ELj4294967295EEENS1_37radix_sort_block_sort_config_selectorIbNS0_10empty_typeEEEZNS1_21radix_sort_block_sortIS4_Lb1EPKbPbPS6_SC_NS0_19identity_decomposerEEE10hipError_tT1_T2_T3_T4_jRjT5_jjP12ihipStream_tbEUlT_E_NS1_11comp_targetILNS1_3genE10ELNS1_11target_archE1201ELNS1_3gpuE5ELNS1_3repE0EEENS1_44radix_sort_block_sort_config_static_selectorELNS0_4arch9wavefront6targetE0EEEvSF_.num_agpr, 0
	.set _ZN7rocprim17ROCPRIM_400000_NS6detail17trampoline_kernelINS0_13kernel_configILj256ELj4ELj4294967295EEENS1_37radix_sort_block_sort_config_selectorIbNS0_10empty_typeEEEZNS1_21radix_sort_block_sortIS4_Lb1EPKbPbPS6_SC_NS0_19identity_decomposerEEE10hipError_tT1_T2_T3_T4_jRjT5_jjP12ihipStream_tbEUlT_E_NS1_11comp_targetILNS1_3genE10ELNS1_11target_archE1201ELNS1_3gpuE5ELNS1_3repE0EEENS1_44radix_sort_block_sort_config_static_selectorELNS0_4arch9wavefront6targetE0EEEvSF_.numbered_sgpr, 0
	.set _ZN7rocprim17ROCPRIM_400000_NS6detail17trampoline_kernelINS0_13kernel_configILj256ELj4ELj4294967295EEENS1_37radix_sort_block_sort_config_selectorIbNS0_10empty_typeEEEZNS1_21radix_sort_block_sortIS4_Lb1EPKbPbPS6_SC_NS0_19identity_decomposerEEE10hipError_tT1_T2_T3_T4_jRjT5_jjP12ihipStream_tbEUlT_E_NS1_11comp_targetILNS1_3genE10ELNS1_11target_archE1201ELNS1_3gpuE5ELNS1_3repE0EEENS1_44radix_sort_block_sort_config_static_selectorELNS0_4arch9wavefront6targetE0EEEvSF_.num_named_barrier, 0
	.set _ZN7rocprim17ROCPRIM_400000_NS6detail17trampoline_kernelINS0_13kernel_configILj256ELj4ELj4294967295EEENS1_37radix_sort_block_sort_config_selectorIbNS0_10empty_typeEEEZNS1_21radix_sort_block_sortIS4_Lb1EPKbPbPS6_SC_NS0_19identity_decomposerEEE10hipError_tT1_T2_T3_T4_jRjT5_jjP12ihipStream_tbEUlT_E_NS1_11comp_targetILNS1_3genE10ELNS1_11target_archE1201ELNS1_3gpuE5ELNS1_3repE0EEENS1_44radix_sort_block_sort_config_static_selectorELNS0_4arch9wavefront6targetE0EEEvSF_.private_seg_size, 0
	.set _ZN7rocprim17ROCPRIM_400000_NS6detail17trampoline_kernelINS0_13kernel_configILj256ELj4ELj4294967295EEENS1_37radix_sort_block_sort_config_selectorIbNS0_10empty_typeEEEZNS1_21radix_sort_block_sortIS4_Lb1EPKbPbPS6_SC_NS0_19identity_decomposerEEE10hipError_tT1_T2_T3_T4_jRjT5_jjP12ihipStream_tbEUlT_E_NS1_11comp_targetILNS1_3genE10ELNS1_11target_archE1201ELNS1_3gpuE5ELNS1_3repE0EEENS1_44radix_sort_block_sort_config_static_selectorELNS0_4arch9wavefront6targetE0EEEvSF_.uses_vcc, 0
	.set _ZN7rocprim17ROCPRIM_400000_NS6detail17trampoline_kernelINS0_13kernel_configILj256ELj4ELj4294967295EEENS1_37radix_sort_block_sort_config_selectorIbNS0_10empty_typeEEEZNS1_21radix_sort_block_sortIS4_Lb1EPKbPbPS6_SC_NS0_19identity_decomposerEEE10hipError_tT1_T2_T3_T4_jRjT5_jjP12ihipStream_tbEUlT_E_NS1_11comp_targetILNS1_3genE10ELNS1_11target_archE1201ELNS1_3gpuE5ELNS1_3repE0EEENS1_44radix_sort_block_sort_config_static_selectorELNS0_4arch9wavefront6targetE0EEEvSF_.uses_flat_scratch, 0
	.set _ZN7rocprim17ROCPRIM_400000_NS6detail17trampoline_kernelINS0_13kernel_configILj256ELj4ELj4294967295EEENS1_37radix_sort_block_sort_config_selectorIbNS0_10empty_typeEEEZNS1_21radix_sort_block_sortIS4_Lb1EPKbPbPS6_SC_NS0_19identity_decomposerEEE10hipError_tT1_T2_T3_T4_jRjT5_jjP12ihipStream_tbEUlT_E_NS1_11comp_targetILNS1_3genE10ELNS1_11target_archE1201ELNS1_3gpuE5ELNS1_3repE0EEENS1_44radix_sort_block_sort_config_static_selectorELNS0_4arch9wavefront6targetE0EEEvSF_.has_dyn_sized_stack, 0
	.set _ZN7rocprim17ROCPRIM_400000_NS6detail17trampoline_kernelINS0_13kernel_configILj256ELj4ELj4294967295EEENS1_37radix_sort_block_sort_config_selectorIbNS0_10empty_typeEEEZNS1_21radix_sort_block_sortIS4_Lb1EPKbPbPS6_SC_NS0_19identity_decomposerEEE10hipError_tT1_T2_T3_T4_jRjT5_jjP12ihipStream_tbEUlT_E_NS1_11comp_targetILNS1_3genE10ELNS1_11target_archE1201ELNS1_3gpuE5ELNS1_3repE0EEENS1_44radix_sort_block_sort_config_static_selectorELNS0_4arch9wavefront6targetE0EEEvSF_.has_recursion, 0
	.set _ZN7rocprim17ROCPRIM_400000_NS6detail17trampoline_kernelINS0_13kernel_configILj256ELj4ELj4294967295EEENS1_37radix_sort_block_sort_config_selectorIbNS0_10empty_typeEEEZNS1_21radix_sort_block_sortIS4_Lb1EPKbPbPS6_SC_NS0_19identity_decomposerEEE10hipError_tT1_T2_T3_T4_jRjT5_jjP12ihipStream_tbEUlT_E_NS1_11comp_targetILNS1_3genE10ELNS1_11target_archE1201ELNS1_3gpuE5ELNS1_3repE0EEENS1_44radix_sort_block_sort_config_static_selectorELNS0_4arch9wavefront6targetE0EEEvSF_.has_indirect_call, 0
	.section	.AMDGPU.csdata,"",@progbits
; Kernel info:
; codeLenInByte = 0
; TotalNumSgprs: 0
; NumVgprs: 0
; ScratchSize: 0
; MemoryBound: 0
; FloatMode: 240
; IeeeMode: 1
; LDSByteSize: 0 bytes/workgroup (compile time only)
; SGPRBlocks: 0
; VGPRBlocks: 0
; NumSGPRsForWavesPerEU: 1
; NumVGPRsForWavesPerEU: 1
; NamedBarCnt: 0
; Occupancy: 16
; WaveLimiterHint : 0
; COMPUTE_PGM_RSRC2:SCRATCH_EN: 0
; COMPUTE_PGM_RSRC2:USER_SGPR: 2
; COMPUTE_PGM_RSRC2:TRAP_HANDLER: 0
; COMPUTE_PGM_RSRC2:TGID_X_EN: 1
; COMPUTE_PGM_RSRC2:TGID_Y_EN: 0
; COMPUTE_PGM_RSRC2:TGID_Z_EN: 0
; COMPUTE_PGM_RSRC2:TIDIG_COMP_CNT: 0
	.section	.text._ZN7rocprim17ROCPRIM_400000_NS6detail17trampoline_kernelINS0_13kernel_configILj256ELj4ELj4294967295EEENS1_37radix_sort_block_sort_config_selectorIbNS0_10empty_typeEEEZNS1_21radix_sort_block_sortIS4_Lb1EPKbPbPS6_SC_NS0_19identity_decomposerEEE10hipError_tT1_T2_T3_T4_jRjT5_jjP12ihipStream_tbEUlT_E_NS1_11comp_targetILNS1_3genE10ELNS1_11target_archE1200ELNS1_3gpuE4ELNS1_3repE0EEENS1_44radix_sort_block_sort_config_static_selectorELNS0_4arch9wavefront6targetE0EEEvSF_,"axG",@progbits,_ZN7rocprim17ROCPRIM_400000_NS6detail17trampoline_kernelINS0_13kernel_configILj256ELj4ELj4294967295EEENS1_37radix_sort_block_sort_config_selectorIbNS0_10empty_typeEEEZNS1_21radix_sort_block_sortIS4_Lb1EPKbPbPS6_SC_NS0_19identity_decomposerEEE10hipError_tT1_T2_T3_T4_jRjT5_jjP12ihipStream_tbEUlT_E_NS1_11comp_targetILNS1_3genE10ELNS1_11target_archE1200ELNS1_3gpuE4ELNS1_3repE0EEENS1_44radix_sort_block_sort_config_static_selectorELNS0_4arch9wavefront6targetE0EEEvSF_,comdat
	.protected	_ZN7rocprim17ROCPRIM_400000_NS6detail17trampoline_kernelINS0_13kernel_configILj256ELj4ELj4294967295EEENS1_37radix_sort_block_sort_config_selectorIbNS0_10empty_typeEEEZNS1_21radix_sort_block_sortIS4_Lb1EPKbPbPS6_SC_NS0_19identity_decomposerEEE10hipError_tT1_T2_T3_T4_jRjT5_jjP12ihipStream_tbEUlT_E_NS1_11comp_targetILNS1_3genE10ELNS1_11target_archE1200ELNS1_3gpuE4ELNS1_3repE0EEENS1_44radix_sort_block_sort_config_static_selectorELNS0_4arch9wavefront6targetE0EEEvSF_ ; -- Begin function _ZN7rocprim17ROCPRIM_400000_NS6detail17trampoline_kernelINS0_13kernel_configILj256ELj4ELj4294967295EEENS1_37radix_sort_block_sort_config_selectorIbNS0_10empty_typeEEEZNS1_21radix_sort_block_sortIS4_Lb1EPKbPbPS6_SC_NS0_19identity_decomposerEEE10hipError_tT1_T2_T3_T4_jRjT5_jjP12ihipStream_tbEUlT_E_NS1_11comp_targetILNS1_3genE10ELNS1_11target_archE1200ELNS1_3gpuE4ELNS1_3repE0EEENS1_44radix_sort_block_sort_config_static_selectorELNS0_4arch9wavefront6targetE0EEEvSF_
	.globl	_ZN7rocprim17ROCPRIM_400000_NS6detail17trampoline_kernelINS0_13kernel_configILj256ELj4ELj4294967295EEENS1_37radix_sort_block_sort_config_selectorIbNS0_10empty_typeEEEZNS1_21radix_sort_block_sortIS4_Lb1EPKbPbPS6_SC_NS0_19identity_decomposerEEE10hipError_tT1_T2_T3_T4_jRjT5_jjP12ihipStream_tbEUlT_E_NS1_11comp_targetILNS1_3genE10ELNS1_11target_archE1200ELNS1_3gpuE4ELNS1_3repE0EEENS1_44radix_sort_block_sort_config_static_selectorELNS0_4arch9wavefront6targetE0EEEvSF_
	.p2align	8
	.type	_ZN7rocprim17ROCPRIM_400000_NS6detail17trampoline_kernelINS0_13kernel_configILj256ELj4ELj4294967295EEENS1_37radix_sort_block_sort_config_selectorIbNS0_10empty_typeEEEZNS1_21radix_sort_block_sortIS4_Lb1EPKbPbPS6_SC_NS0_19identity_decomposerEEE10hipError_tT1_T2_T3_T4_jRjT5_jjP12ihipStream_tbEUlT_E_NS1_11comp_targetILNS1_3genE10ELNS1_11target_archE1200ELNS1_3gpuE4ELNS1_3repE0EEENS1_44radix_sort_block_sort_config_static_selectorELNS0_4arch9wavefront6targetE0EEEvSF_,@function
_ZN7rocprim17ROCPRIM_400000_NS6detail17trampoline_kernelINS0_13kernel_configILj256ELj4ELj4294967295EEENS1_37radix_sort_block_sort_config_selectorIbNS0_10empty_typeEEEZNS1_21radix_sort_block_sortIS4_Lb1EPKbPbPS6_SC_NS0_19identity_decomposerEEE10hipError_tT1_T2_T3_T4_jRjT5_jjP12ihipStream_tbEUlT_E_NS1_11comp_targetILNS1_3genE10ELNS1_11target_archE1200ELNS1_3gpuE4ELNS1_3repE0EEENS1_44radix_sort_block_sort_config_static_selectorELNS0_4arch9wavefront6targetE0EEEvSF_: ; @_ZN7rocprim17ROCPRIM_400000_NS6detail17trampoline_kernelINS0_13kernel_configILj256ELj4ELj4294967295EEENS1_37radix_sort_block_sort_config_selectorIbNS0_10empty_typeEEEZNS1_21radix_sort_block_sortIS4_Lb1EPKbPbPS6_SC_NS0_19identity_decomposerEEE10hipError_tT1_T2_T3_T4_jRjT5_jjP12ihipStream_tbEUlT_E_NS1_11comp_targetILNS1_3genE10ELNS1_11target_archE1200ELNS1_3gpuE4ELNS1_3repE0EEENS1_44radix_sort_block_sort_config_static_selectorELNS0_4arch9wavefront6targetE0EEEvSF_
; %bb.0:
	.section	.rodata,"a",@progbits
	.p2align	6, 0x0
	.amdhsa_kernel _ZN7rocprim17ROCPRIM_400000_NS6detail17trampoline_kernelINS0_13kernel_configILj256ELj4ELj4294967295EEENS1_37radix_sort_block_sort_config_selectorIbNS0_10empty_typeEEEZNS1_21radix_sort_block_sortIS4_Lb1EPKbPbPS6_SC_NS0_19identity_decomposerEEE10hipError_tT1_T2_T3_T4_jRjT5_jjP12ihipStream_tbEUlT_E_NS1_11comp_targetILNS1_3genE10ELNS1_11target_archE1200ELNS1_3gpuE4ELNS1_3repE0EEENS1_44radix_sort_block_sort_config_static_selectorELNS0_4arch9wavefront6targetE0EEEvSF_
		.amdhsa_group_segment_fixed_size 0
		.amdhsa_private_segment_fixed_size 0
		.amdhsa_kernarg_size 48
		.amdhsa_user_sgpr_count 2
		.amdhsa_user_sgpr_dispatch_ptr 0
		.amdhsa_user_sgpr_queue_ptr 0
		.amdhsa_user_sgpr_kernarg_segment_ptr 1
		.amdhsa_user_sgpr_dispatch_id 0
		.amdhsa_user_sgpr_kernarg_preload_length 0
		.amdhsa_user_sgpr_kernarg_preload_offset 0
		.amdhsa_user_sgpr_private_segment_size 0
		.amdhsa_wavefront_size32 1
		.amdhsa_uses_dynamic_stack 0
		.amdhsa_enable_private_segment 0
		.amdhsa_system_sgpr_workgroup_id_x 1
		.amdhsa_system_sgpr_workgroup_id_y 0
		.amdhsa_system_sgpr_workgroup_id_z 0
		.amdhsa_system_sgpr_workgroup_info 0
		.amdhsa_system_vgpr_workitem_id 0
		.amdhsa_next_free_vgpr 1
		.amdhsa_next_free_sgpr 1
		.amdhsa_named_barrier_count 0
		.amdhsa_reserve_vcc 0
		.amdhsa_float_round_mode_32 0
		.amdhsa_float_round_mode_16_64 0
		.amdhsa_float_denorm_mode_32 3
		.amdhsa_float_denorm_mode_16_64 3
		.amdhsa_fp16_overflow 0
		.amdhsa_memory_ordered 1
		.amdhsa_forward_progress 1
		.amdhsa_inst_pref_size 0
		.amdhsa_round_robin_scheduling 0
		.amdhsa_exception_fp_ieee_invalid_op 0
		.amdhsa_exception_fp_denorm_src 0
		.amdhsa_exception_fp_ieee_div_zero 0
		.amdhsa_exception_fp_ieee_overflow 0
		.amdhsa_exception_fp_ieee_underflow 0
		.amdhsa_exception_fp_ieee_inexact 0
		.amdhsa_exception_int_div_zero 0
	.end_amdhsa_kernel
	.section	.text._ZN7rocprim17ROCPRIM_400000_NS6detail17trampoline_kernelINS0_13kernel_configILj256ELj4ELj4294967295EEENS1_37radix_sort_block_sort_config_selectorIbNS0_10empty_typeEEEZNS1_21radix_sort_block_sortIS4_Lb1EPKbPbPS6_SC_NS0_19identity_decomposerEEE10hipError_tT1_T2_T3_T4_jRjT5_jjP12ihipStream_tbEUlT_E_NS1_11comp_targetILNS1_3genE10ELNS1_11target_archE1200ELNS1_3gpuE4ELNS1_3repE0EEENS1_44radix_sort_block_sort_config_static_selectorELNS0_4arch9wavefront6targetE0EEEvSF_,"axG",@progbits,_ZN7rocprim17ROCPRIM_400000_NS6detail17trampoline_kernelINS0_13kernel_configILj256ELj4ELj4294967295EEENS1_37radix_sort_block_sort_config_selectorIbNS0_10empty_typeEEEZNS1_21radix_sort_block_sortIS4_Lb1EPKbPbPS6_SC_NS0_19identity_decomposerEEE10hipError_tT1_T2_T3_T4_jRjT5_jjP12ihipStream_tbEUlT_E_NS1_11comp_targetILNS1_3genE10ELNS1_11target_archE1200ELNS1_3gpuE4ELNS1_3repE0EEENS1_44radix_sort_block_sort_config_static_selectorELNS0_4arch9wavefront6targetE0EEEvSF_,comdat
.Lfunc_end1647:
	.size	_ZN7rocprim17ROCPRIM_400000_NS6detail17trampoline_kernelINS0_13kernel_configILj256ELj4ELj4294967295EEENS1_37radix_sort_block_sort_config_selectorIbNS0_10empty_typeEEEZNS1_21radix_sort_block_sortIS4_Lb1EPKbPbPS6_SC_NS0_19identity_decomposerEEE10hipError_tT1_T2_T3_T4_jRjT5_jjP12ihipStream_tbEUlT_E_NS1_11comp_targetILNS1_3genE10ELNS1_11target_archE1200ELNS1_3gpuE4ELNS1_3repE0EEENS1_44radix_sort_block_sort_config_static_selectorELNS0_4arch9wavefront6targetE0EEEvSF_, .Lfunc_end1647-_ZN7rocprim17ROCPRIM_400000_NS6detail17trampoline_kernelINS0_13kernel_configILj256ELj4ELj4294967295EEENS1_37radix_sort_block_sort_config_selectorIbNS0_10empty_typeEEEZNS1_21radix_sort_block_sortIS4_Lb1EPKbPbPS6_SC_NS0_19identity_decomposerEEE10hipError_tT1_T2_T3_T4_jRjT5_jjP12ihipStream_tbEUlT_E_NS1_11comp_targetILNS1_3genE10ELNS1_11target_archE1200ELNS1_3gpuE4ELNS1_3repE0EEENS1_44radix_sort_block_sort_config_static_selectorELNS0_4arch9wavefront6targetE0EEEvSF_
                                        ; -- End function
	.set _ZN7rocprim17ROCPRIM_400000_NS6detail17trampoline_kernelINS0_13kernel_configILj256ELj4ELj4294967295EEENS1_37radix_sort_block_sort_config_selectorIbNS0_10empty_typeEEEZNS1_21radix_sort_block_sortIS4_Lb1EPKbPbPS6_SC_NS0_19identity_decomposerEEE10hipError_tT1_T2_T3_T4_jRjT5_jjP12ihipStream_tbEUlT_E_NS1_11comp_targetILNS1_3genE10ELNS1_11target_archE1200ELNS1_3gpuE4ELNS1_3repE0EEENS1_44radix_sort_block_sort_config_static_selectorELNS0_4arch9wavefront6targetE0EEEvSF_.num_vgpr, 0
	.set _ZN7rocprim17ROCPRIM_400000_NS6detail17trampoline_kernelINS0_13kernel_configILj256ELj4ELj4294967295EEENS1_37radix_sort_block_sort_config_selectorIbNS0_10empty_typeEEEZNS1_21radix_sort_block_sortIS4_Lb1EPKbPbPS6_SC_NS0_19identity_decomposerEEE10hipError_tT1_T2_T3_T4_jRjT5_jjP12ihipStream_tbEUlT_E_NS1_11comp_targetILNS1_3genE10ELNS1_11target_archE1200ELNS1_3gpuE4ELNS1_3repE0EEENS1_44radix_sort_block_sort_config_static_selectorELNS0_4arch9wavefront6targetE0EEEvSF_.num_agpr, 0
	.set _ZN7rocprim17ROCPRIM_400000_NS6detail17trampoline_kernelINS0_13kernel_configILj256ELj4ELj4294967295EEENS1_37radix_sort_block_sort_config_selectorIbNS0_10empty_typeEEEZNS1_21radix_sort_block_sortIS4_Lb1EPKbPbPS6_SC_NS0_19identity_decomposerEEE10hipError_tT1_T2_T3_T4_jRjT5_jjP12ihipStream_tbEUlT_E_NS1_11comp_targetILNS1_3genE10ELNS1_11target_archE1200ELNS1_3gpuE4ELNS1_3repE0EEENS1_44radix_sort_block_sort_config_static_selectorELNS0_4arch9wavefront6targetE0EEEvSF_.numbered_sgpr, 0
	.set _ZN7rocprim17ROCPRIM_400000_NS6detail17trampoline_kernelINS0_13kernel_configILj256ELj4ELj4294967295EEENS1_37radix_sort_block_sort_config_selectorIbNS0_10empty_typeEEEZNS1_21radix_sort_block_sortIS4_Lb1EPKbPbPS6_SC_NS0_19identity_decomposerEEE10hipError_tT1_T2_T3_T4_jRjT5_jjP12ihipStream_tbEUlT_E_NS1_11comp_targetILNS1_3genE10ELNS1_11target_archE1200ELNS1_3gpuE4ELNS1_3repE0EEENS1_44radix_sort_block_sort_config_static_selectorELNS0_4arch9wavefront6targetE0EEEvSF_.num_named_barrier, 0
	.set _ZN7rocprim17ROCPRIM_400000_NS6detail17trampoline_kernelINS0_13kernel_configILj256ELj4ELj4294967295EEENS1_37radix_sort_block_sort_config_selectorIbNS0_10empty_typeEEEZNS1_21radix_sort_block_sortIS4_Lb1EPKbPbPS6_SC_NS0_19identity_decomposerEEE10hipError_tT1_T2_T3_T4_jRjT5_jjP12ihipStream_tbEUlT_E_NS1_11comp_targetILNS1_3genE10ELNS1_11target_archE1200ELNS1_3gpuE4ELNS1_3repE0EEENS1_44radix_sort_block_sort_config_static_selectorELNS0_4arch9wavefront6targetE0EEEvSF_.private_seg_size, 0
	.set _ZN7rocprim17ROCPRIM_400000_NS6detail17trampoline_kernelINS0_13kernel_configILj256ELj4ELj4294967295EEENS1_37radix_sort_block_sort_config_selectorIbNS0_10empty_typeEEEZNS1_21radix_sort_block_sortIS4_Lb1EPKbPbPS6_SC_NS0_19identity_decomposerEEE10hipError_tT1_T2_T3_T4_jRjT5_jjP12ihipStream_tbEUlT_E_NS1_11comp_targetILNS1_3genE10ELNS1_11target_archE1200ELNS1_3gpuE4ELNS1_3repE0EEENS1_44radix_sort_block_sort_config_static_selectorELNS0_4arch9wavefront6targetE0EEEvSF_.uses_vcc, 0
	.set _ZN7rocprim17ROCPRIM_400000_NS6detail17trampoline_kernelINS0_13kernel_configILj256ELj4ELj4294967295EEENS1_37radix_sort_block_sort_config_selectorIbNS0_10empty_typeEEEZNS1_21radix_sort_block_sortIS4_Lb1EPKbPbPS6_SC_NS0_19identity_decomposerEEE10hipError_tT1_T2_T3_T4_jRjT5_jjP12ihipStream_tbEUlT_E_NS1_11comp_targetILNS1_3genE10ELNS1_11target_archE1200ELNS1_3gpuE4ELNS1_3repE0EEENS1_44radix_sort_block_sort_config_static_selectorELNS0_4arch9wavefront6targetE0EEEvSF_.uses_flat_scratch, 0
	.set _ZN7rocprim17ROCPRIM_400000_NS6detail17trampoline_kernelINS0_13kernel_configILj256ELj4ELj4294967295EEENS1_37radix_sort_block_sort_config_selectorIbNS0_10empty_typeEEEZNS1_21radix_sort_block_sortIS4_Lb1EPKbPbPS6_SC_NS0_19identity_decomposerEEE10hipError_tT1_T2_T3_T4_jRjT5_jjP12ihipStream_tbEUlT_E_NS1_11comp_targetILNS1_3genE10ELNS1_11target_archE1200ELNS1_3gpuE4ELNS1_3repE0EEENS1_44radix_sort_block_sort_config_static_selectorELNS0_4arch9wavefront6targetE0EEEvSF_.has_dyn_sized_stack, 0
	.set _ZN7rocprim17ROCPRIM_400000_NS6detail17trampoline_kernelINS0_13kernel_configILj256ELj4ELj4294967295EEENS1_37radix_sort_block_sort_config_selectorIbNS0_10empty_typeEEEZNS1_21radix_sort_block_sortIS4_Lb1EPKbPbPS6_SC_NS0_19identity_decomposerEEE10hipError_tT1_T2_T3_T4_jRjT5_jjP12ihipStream_tbEUlT_E_NS1_11comp_targetILNS1_3genE10ELNS1_11target_archE1200ELNS1_3gpuE4ELNS1_3repE0EEENS1_44radix_sort_block_sort_config_static_selectorELNS0_4arch9wavefront6targetE0EEEvSF_.has_recursion, 0
	.set _ZN7rocprim17ROCPRIM_400000_NS6detail17trampoline_kernelINS0_13kernel_configILj256ELj4ELj4294967295EEENS1_37radix_sort_block_sort_config_selectorIbNS0_10empty_typeEEEZNS1_21radix_sort_block_sortIS4_Lb1EPKbPbPS6_SC_NS0_19identity_decomposerEEE10hipError_tT1_T2_T3_T4_jRjT5_jjP12ihipStream_tbEUlT_E_NS1_11comp_targetILNS1_3genE10ELNS1_11target_archE1200ELNS1_3gpuE4ELNS1_3repE0EEENS1_44radix_sort_block_sort_config_static_selectorELNS0_4arch9wavefront6targetE0EEEvSF_.has_indirect_call, 0
	.section	.AMDGPU.csdata,"",@progbits
; Kernel info:
; codeLenInByte = 0
; TotalNumSgprs: 0
; NumVgprs: 0
; ScratchSize: 0
; MemoryBound: 0
; FloatMode: 240
; IeeeMode: 1
; LDSByteSize: 0 bytes/workgroup (compile time only)
; SGPRBlocks: 0
; VGPRBlocks: 0
; NumSGPRsForWavesPerEU: 1
; NumVGPRsForWavesPerEU: 1
; NamedBarCnt: 0
; Occupancy: 16
; WaveLimiterHint : 0
; COMPUTE_PGM_RSRC2:SCRATCH_EN: 0
; COMPUTE_PGM_RSRC2:USER_SGPR: 2
; COMPUTE_PGM_RSRC2:TRAP_HANDLER: 0
; COMPUTE_PGM_RSRC2:TGID_X_EN: 1
; COMPUTE_PGM_RSRC2:TGID_Y_EN: 0
; COMPUTE_PGM_RSRC2:TGID_Z_EN: 0
; COMPUTE_PGM_RSRC2:TIDIG_COMP_CNT: 0
	.section	.text._ZN7rocprim17ROCPRIM_400000_NS6detail17trampoline_kernelINS0_13kernel_configILj256ELj4ELj4294967295EEENS1_37radix_sort_block_sort_config_selectorIbNS0_10empty_typeEEEZNS1_21radix_sort_block_sortIS4_Lb1EPKbPbPS6_SC_NS0_19identity_decomposerEEE10hipError_tT1_T2_T3_T4_jRjT5_jjP12ihipStream_tbEUlT_E_NS1_11comp_targetILNS1_3genE9ELNS1_11target_archE1100ELNS1_3gpuE3ELNS1_3repE0EEENS1_44radix_sort_block_sort_config_static_selectorELNS0_4arch9wavefront6targetE0EEEvSF_,"axG",@progbits,_ZN7rocprim17ROCPRIM_400000_NS6detail17trampoline_kernelINS0_13kernel_configILj256ELj4ELj4294967295EEENS1_37radix_sort_block_sort_config_selectorIbNS0_10empty_typeEEEZNS1_21radix_sort_block_sortIS4_Lb1EPKbPbPS6_SC_NS0_19identity_decomposerEEE10hipError_tT1_T2_T3_T4_jRjT5_jjP12ihipStream_tbEUlT_E_NS1_11comp_targetILNS1_3genE9ELNS1_11target_archE1100ELNS1_3gpuE3ELNS1_3repE0EEENS1_44radix_sort_block_sort_config_static_selectorELNS0_4arch9wavefront6targetE0EEEvSF_,comdat
	.protected	_ZN7rocprim17ROCPRIM_400000_NS6detail17trampoline_kernelINS0_13kernel_configILj256ELj4ELj4294967295EEENS1_37radix_sort_block_sort_config_selectorIbNS0_10empty_typeEEEZNS1_21radix_sort_block_sortIS4_Lb1EPKbPbPS6_SC_NS0_19identity_decomposerEEE10hipError_tT1_T2_T3_T4_jRjT5_jjP12ihipStream_tbEUlT_E_NS1_11comp_targetILNS1_3genE9ELNS1_11target_archE1100ELNS1_3gpuE3ELNS1_3repE0EEENS1_44radix_sort_block_sort_config_static_selectorELNS0_4arch9wavefront6targetE0EEEvSF_ ; -- Begin function _ZN7rocprim17ROCPRIM_400000_NS6detail17trampoline_kernelINS0_13kernel_configILj256ELj4ELj4294967295EEENS1_37radix_sort_block_sort_config_selectorIbNS0_10empty_typeEEEZNS1_21radix_sort_block_sortIS4_Lb1EPKbPbPS6_SC_NS0_19identity_decomposerEEE10hipError_tT1_T2_T3_T4_jRjT5_jjP12ihipStream_tbEUlT_E_NS1_11comp_targetILNS1_3genE9ELNS1_11target_archE1100ELNS1_3gpuE3ELNS1_3repE0EEENS1_44radix_sort_block_sort_config_static_selectorELNS0_4arch9wavefront6targetE0EEEvSF_
	.globl	_ZN7rocprim17ROCPRIM_400000_NS6detail17trampoline_kernelINS0_13kernel_configILj256ELj4ELj4294967295EEENS1_37radix_sort_block_sort_config_selectorIbNS0_10empty_typeEEEZNS1_21radix_sort_block_sortIS4_Lb1EPKbPbPS6_SC_NS0_19identity_decomposerEEE10hipError_tT1_T2_T3_T4_jRjT5_jjP12ihipStream_tbEUlT_E_NS1_11comp_targetILNS1_3genE9ELNS1_11target_archE1100ELNS1_3gpuE3ELNS1_3repE0EEENS1_44radix_sort_block_sort_config_static_selectorELNS0_4arch9wavefront6targetE0EEEvSF_
	.p2align	8
	.type	_ZN7rocprim17ROCPRIM_400000_NS6detail17trampoline_kernelINS0_13kernel_configILj256ELj4ELj4294967295EEENS1_37radix_sort_block_sort_config_selectorIbNS0_10empty_typeEEEZNS1_21radix_sort_block_sortIS4_Lb1EPKbPbPS6_SC_NS0_19identity_decomposerEEE10hipError_tT1_T2_T3_T4_jRjT5_jjP12ihipStream_tbEUlT_E_NS1_11comp_targetILNS1_3genE9ELNS1_11target_archE1100ELNS1_3gpuE3ELNS1_3repE0EEENS1_44radix_sort_block_sort_config_static_selectorELNS0_4arch9wavefront6targetE0EEEvSF_,@function
_ZN7rocprim17ROCPRIM_400000_NS6detail17trampoline_kernelINS0_13kernel_configILj256ELj4ELj4294967295EEENS1_37radix_sort_block_sort_config_selectorIbNS0_10empty_typeEEEZNS1_21radix_sort_block_sortIS4_Lb1EPKbPbPS6_SC_NS0_19identity_decomposerEEE10hipError_tT1_T2_T3_T4_jRjT5_jjP12ihipStream_tbEUlT_E_NS1_11comp_targetILNS1_3genE9ELNS1_11target_archE1100ELNS1_3gpuE3ELNS1_3repE0EEENS1_44radix_sort_block_sort_config_static_selectorELNS0_4arch9wavefront6targetE0EEEvSF_: ; @_ZN7rocprim17ROCPRIM_400000_NS6detail17trampoline_kernelINS0_13kernel_configILj256ELj4ELj4294967295EEENS1_37radix_sort_block_sort_config_selectorIbNS0_10empty_typeEEEZNS1_21radix_sort_block_sortIS4_Lb1EPKbPbPS6_SC_NS0_19identity_decomposerEEE10hipError_tT1_T2_T3_T4_jRjT5_jjP12ihipStream_tbEUlT_E_NS1_11comp_targetILNS1_3genE9ELNS1_11target_archE1100ELNS1_3gpuE3ELNS1_3repE0EEENS1_44radix_sort_block_sort_config_static_selectorELNS0_4arch9wavefront6targetE0EEEvSF_
; %bb.0:
	.section	.rodata,"a",@progbits
	.p2align	6, 0x0
	.amdhsa_kernel _ZN7rocprim17ROCPRIM_400000_NS6detail17trampoline_kernelINS0_13kernel_configILj256ELj4ELj4294967295EEENS1_37radix_sort_block_sort_config_selectorIbNS0_10empty_typeEEEZNS1_21radix_sort_block_sortIS4_Lb1EPKbPbPS6_SC_NS0_19identity_decomposerEEE10hipError_tT1_T2_T3_T4_jRjT5_jjP12ihipStream_tbEUlT_E_NS1_11comp_targetILNS1_3genE9ELNS1_11target_archE1100ELNS1_3gpuE3ELNS1_3repE0EEENS1_44radix_sort_block_sort_config_static_selectorELNS0_4arch9wavefront6targetE0EEEvSF_
		.amdhsa_group_segment_fixed_size 0
		.amdhsa_private_segment_fixed_size 0
		.amdhsa_kernarg_size 48
		.amdhsa_user_sgpr_count 2
		.amdhsa_user_sgpr_dispatch_ptr 0
		.amdhsa_user_sgpr_queue_ptr 0
		.amdhsa_user_sgpr_kernarg_segment_ptr 1
		.amdhsa_user_sgpr_dispatch_id 0
		.amdhsa_user_sgpr_kernarg_preload_length 0
		.amdhsa_user_sgpr_kernarg_preload_offset 0
		.amdhsa_user_sgpr_private_segment_size 0
		.amdhsa_wavefront_size32 1
		.amdhsa_uses_dynamic_stack 0
		.amdhsa_enable_private_segment 0
		.amdhsa_system_sgpr_workgroup_id_x 1
		.amdhsa_system_sgpr_workgroup_id_y 0
		.amdhsa_system_sgpr_workgroup_id_z 0
		.amdhsa_system_sgpr_workgroup_info 0
		.amdhsa_system_vgpr_workitem_id 0
		.amdhsa_next_free_vgpr 1
		.amdhsa_next_free_sgpr 1
		.amdhsa_named_barrier_count 0
		.amdhsa_reserve_vcc 0
		.amdhsa_float_round_mode_32 0
		.amdhsa_float_round_mode_16_64 0
		.amdhsa_float_denorm_mode_32 3
		.amdhsa_float_denorm_mode_16_64 3
		.amdhsa_fp16_overflow 0
		.amdhsa_memory_ordered 1
		.amdhsa_forward_progress 1
		.amdhsa_inst_pref_size 0
		.amdhsa_round_robin_scheduling 0
		.amdhsa_exception_fp_ieee_invalid_op 0
		.amdhsa_exception_fp_denorm_src 0
		.amdhsa_exception_fp_ieee_div_zero 0
		.amdhsa_exception_fp_ieee_overflow 0
		.amdhsa_exception_fp_ieee_underflow 0
		.amdhsa_exception_fp_ieee_inexact 0
		.amdhsa_exception_int_div_zero 0
	.end_amdhsa_kernel
	.section	.text._ZN7rocprim17ROCPRIM_400000_NS6detail17trampoline_kernelINS0_13kernel_configILj256ELj4ELj4294967295EEENS1_37radix_sort_block_sort_config_selectorIbNS0_10empty_typeEEEZNS1_21radix_sort_block_sortIS4_Lb1EPKbPbPS6_SC_NS0_19identity_decomposerEEE10hipError_tT1_T2_T3_T4_jRjT5_jjP12ihipStream_tbEUlT_E_NS1_11comp_targetILNS1_3genE9ELNS1_11target_archE1100ELNS1_3gpuE3ELNS1_3repE0EEENS1_44radix_sort_block_sort_config_static_selectorELNS0_4arch9wavefront6targetE0EEEvSF_,"axG",@progbits,_ZN7rocprim17ROCPRIM_400000_NS6detail17trampoline_kernelINS0_13kernel_configILj256ELj4ELj4294967295EEENS1_37radix_sort_block_sort_config_selectorIbNS0_10empty_typeEEEZNS1_21radix_sort_block_sortIS4_Lb1EPKbPbPS6_SC_NS0_19identity_decomposerEEE10hipError_tT1_T2_T3_T4_jRjT5_jjP12ihipStream_tbEUlT_E_NS1_11comp_targetILNS1_3genE9ELNS1_11target_archE1100ELNS1_3gpuE3ELNS1_3repE0EEENS1_44radix_sort_block_sort_config_static_selectorELNS0_4arch9wavefront6targetE0EEEvSF_,comdat
.Lfunc_end1648:
	.size	_ZN7rocprim17ROCPRIM_400000_NS6detail17trampoline_kernelINS0_13kernel_configILj256ELj4ELj4294967295EEENS1_37radix_sort_block_sort_config_selectorIbNS0_10empty_typeEEEZNS1_21radix_sort_block_sortIS4_Lb1EPKbPbPS6_SC_NS0_19identity_decomposerEEE10hipError_tT1_T2_T3_T4_jRjT5_jjP12ihipStream_tbEUlT_E_NS1_11comp_targetILNS1_3genE9ELNS1_11target_archE1100ELNS1_3gpuE3ELNS1_3repE0EEENS1_44radix_sort_block_sort_config_static_selectorELNS0_4arch9wavefront6targetE0EEEvSF_, .Lfunc_end1648-_ZN7rocprim17ROCPRIM_400000_NS6detail17trampoline_kernelINS0_13kernel_configILj256ELj4ELj4294967295EEENS1_37radix_sort_block_sort_config_selectorIbNS0_10empty_typeEEEZNS1_21radix_sort_block_sortIS4_Lb1EPKbPbPS6_SC_NS0_19identity_decomposerEEE10hipError_tT1_T2_T3_T4_jRjT5_jjP12ihipStream_tbEUlT_E_NS1_11comp_targetILNS1_3genE9ELNS1_11target_archE1100ELNS1_3gpuE3ELNS1_3repE0EEENS1_44radix_sort_block_sort_config_static_selectorELNS0_4arch9wavefront6targetE0EEEvSF_
                                        ; -- End function
	.set _ZN7rocprim17ROCPRIM_400000_NS6detail17trampoline_kernelINS0_13kernel_configILj256ELj4ELj4294967295EEENS1_37radix_sort_block_sort_config_selectorIbNS0_10empty_typeEEEZNS1_21radix_sort_block_sortIS4_Lb1EPKbPbPS6_SC_NS0_19identity_decomposerEEE10hipError_tT1_T2_T3_T4_jRjT5_jjP12ihipStream_tbEUlT_E_NS1_11comp_targetILNS1_3genE9ELNS1_11target_archE1100ELNS1_3gpuE3ELNS1_3repE0EEENS1_44radix_sort_block_sort_config_static_selectorELNS0_4arch9wavefront6targetE0EEEvSF_.num_vgpr, 0
	.set _ZN7rocprim17ROCPRIM_400000_NS6detail17trampoline_kernelINS0_13kernel_configILj256ELj4ELj4294967295EEENS1_37radix_sort_block_sort_config_selectorIbNS0_10empty_typeEEEZNS1_21radix_sort_block_sortIS4_Lb1EPKbPbPS6_SC_NS0_19identity_decomposerEEE10hipError_tT1_T2_T3_T4_jRjT5_jjP12ihipStream_tbEUlT_E_NS1_11comp_targetILNS1_3genE9ELNS1_11target_archE1100ELNS1_3gpuE3ELNS1_3repE0EEENS1_44radix_sort_block_sort_config_static_selectorELNS0_4arch9wavefront6targetE0EEEvSF_.num_agpr, 0
	.set _ZN7rocprim17ROCPRIM_400000_NS6detail17trampoline_kernelINS0_13kernel_configILj256ELj4ELj4294967295EEENS1_37radix_sort_block_sort_config_selectorIbNS0_10empty_typeEEEZNS1_21radix_sort_block_sortIS4_Lb1EPKbPbPS6_SC_NS0_19identity_decomposerEEE10hipError_tT1_T2_T3_T4_jRjT5_jjP12ihipStream_tbEUlT_E_NS1_11comp_targetILNS1_3genE9ELNS1_11target_archE1100ELNS1_3gpuE3ELNS1_3repE0EEENS1_44radix_sort_block_sort_config_static_selectorELNS0_4arch9wavefront6targetE0EEEvSF_.numbered_sgpr, 0
	.set _ZN7rocprim17ROCPRIM_400000_NS6detail17trampoline_kernelINS0_13kernel_configILj256ELj4ELj4294967295EEENS1_37radix_sort_block_sort_config_selectorIbNS0_10empty_typeEEEZNS1_21radix_sort_block_sortIS4_Lb1EPKbPbPS6_SC_NS0_19identity_decomposerEEE10hipError_tT1_T2_T3_T4_jRjT5_jjP12ihipStream_tbEUlT_E_NS1_11comp_targetILNS1_3genE9ELNS1_11target_archE1100ELNS1_3gpuE3ELNS1_3repE0EEENS1_44radix_sort_block_sort_config_static_selectorELNS0_4arch9wavefront6targetE0EEEvSF_.num_named_barrier, 0
	.set _ZN7rocprim17ROCPRIM_400000_NS6detail17trampoline_kernelINS0_13kernel_configILj256ELj4ELj4294967295EEENS1_37radix_sort_block_sort_config_selectorIbNS0_10empty_typeEEEZNS1_21radix_sort_block_sortIS4_Lb1EPKbPbPS6_SC_NS0_19identity_decomposerEEE10hipError_tT1_T2_T3_T4_jRjT5_jjP12ihipStream_tbEUlT_E_NS1_11comp_targetILNS1_3genE9ELNS1_11target_archE1100ELNS1_3gpuE3ELNS1_3repE0EEENS1_44radix_sort_block_sort_config_static_selectorELNS0_4arch9wavefront6targetE0EEEvSF_.private_seg_size, 0
	.set _ZN7rocprim17ROCPRIM_400000_NS6detail17trampoline_kernelINS0_13kernel_configILj256ELj4ELj4294967295EEENS1_37radix_sort_block_sort_config_selectorIbNS0_10empty_typeEEEZNS1_21radix_sort_block_sortIS4_Lb1EPKbPbPS6_SC_NS0_19identity_decomposerEEE10hipError_tT1_T2_T3_T4_jRjT5_jjP12ihipStream_tbEUlT_E_NS1_11comp_targetILNS1_3genE9ELNS1_11target_archE1100ELNS1_3gpuE3ELNS1_3repE0EEENS1_44radix_sort_block_sort_config_static_selectorELNS0_4arch9wavefront6targetE0EEEvSF_.uses_vcc, 0
	.set _ZN7rocprim17ROCPRIM_400000_NS6detail17trampoline_kernelINS0_13kernel_configILj256ELj4ELj4294967295EEENS1_37radix_sort_block_sort_config_selectorIbNS0_10empty_typeEEEZNS1_21radix_sort_block_sortIS4_Lb1EPKbPbPS6_SC_NS0_19identity_decomposerEEE10hipError_tT1_T2_T3_T4_jRjT5_jjP12ihipStream_tbEUlT_E_NS1_11comp_targetILNS1_3genE9ELNS1_11target_archE1100ELNS1_3gpuE3ELNS1_3repE0EEENS1_44radix_sort_block_sort_config_static_selectorELNS0_4arch9wavefront6targetE0EEEvSF_.uses_flat_scratch, 0
	.set _ZN7rocprim17ROCPRIM_400000_NS6detail17trampoline_kernelINS0_13kernel_configILj256ELj4ELj4294967295EEENS1_37radix_sort_block_sort_config_selectorIbNS0_10empty_typeEEEZNS1_21radix_sort_block_sortIS4_Lb1EPKbPbPS6_SC_NS0_19identity_decomposerEEE10hipError_tT1_T2_T3_T4_jRjT5_jjP12ihipStream_tbEUlT_E_NS1_11comp_targetILNS1_3genE9ELNS1_11target_archE1100ELNS1_3gpuE3ELNS1_3repE0EEENS1_44radix_sort_block_sort_config_static_selectorELNS0_4arch9wavefront6targetE0EEEvSF_.has_dyn_sized_stack, 0
	.set _ZN7rocprim17ROCPRIM_400000_NS6detail17trampoline_kernelINS0_13kernel_configILj256ELj4ELj4294967295EEENS1_37radix_sort_block_sort_config_selectorIbNS0_10empty_typeEEEZNS1_21radix_sort_block_sortIS4_Lb1EPKbPbPS6_SC_NS0_19identity_decomposerEEE10hipError_tT1_T2_T3_T4_jRjT5_jjP12ihipStream_tbEUlT_E_NS1_11comp_targetILNS1_3genE9ELNS1_11target_archE1100ELNS1_3gpuE3ELNS1_3repE0EEENS1_44radix_sort_block_sort_config_static_selectorELNS0_4arch9wavefront6targetE0EEEvSF_.has_recursion, 0
	.set _ZN7rocprim17ROCPRIM_400000_NS6detail17trampoline_kernelINS0_13kernel_configILj256ELj4ELj4294967295EEENS1_37radix_sort_block_sort_config_selectorIbNS0_10empty_typeEEEZNS1_21radix_sort_block_sortIS4_Lb1EPKbPbPS6_SC_NS0_19identity_decomposerEEE10hipError_tT1_T2_T3_T4_jRjT5_jjP12ihipStream_tbEUlT_E_NS1_11comp_targetILNS1_3genE9ELNS1_11target_archE1100ELNS1_3gpuE3ELNS1_3repE0EEENS1_44radix_sort_block_sort_config_static_selectorELNS0_4arch9wavefront6targetE0EEEvSF_.has_indirect_call, 0
	.section	.AMDGPU.csdata,"",@progbits
; Kernel info:
; codeLenInByte = 0
; TotalNumSgprs: 0
; NumVgprs: 0
; ScratchSize: 0
; MemoryBound: 0
; FloatMode: 240
; IeeeMode: 1
; LDSByteSize: 0 bytes/workgroup (compile time only)
; SGPRBlocks: 0
; VGPRBlocks: 0
; NumSGPRsForWavesPerEU: 1
; NumVGPRsForWavesPerEU: 1
; NamedBarCnt: 0
; Occupancy: 16
; WaveLimiterHint : 0
; COMPUTE_PGM_RSRC2:SCRATCH_EN: 0
; COMPUTE_PGM_RSRC2:USER_SGPR: 2
; COMPUTE_PGM_RSRC2:TRAP_HANDLER: 0
; COMPUTE_PGM_RSRC2:TGID_X_EN: 1
; COMPUTE_PGM_RSRC2:TGID_Y_EN: 0
; COMPUTE_PGM_RSRC2:TGID_Z_EN: 0
; COMPUTE_PGM_RSRC2:TIDIG_COMP_CNT: 0
	.section	.text._ZN7rocprim17ROCPRIM_400000_NS6detail17trampoline_kernelINS0_13kernel_configILj256ELj4ELj4294967295EEENS1_37radix_sort_block_sort_config_selectorIbNS0_10empty_typeEEEZNS1_21radix_sort_block_sortIS4_Lb1EPKbPbPS6_SC_NS0_19identity_decomposerEEE10hipError_tT1_T2_T3_T4_jRjT5_jjP12ihipStream_tbEUlT_E_NS1_11comp_targetILNS1_3genE8ELNS1_11target_archE1030ELNS1_3gpuE2ELNS1_3repE0EEENS1_44radix_sort_block_sort_config_static_selectorELNS0_4arch9wavefront6targetE0EEEvSF_,"axG",@progbits,_ZN7rocprim17ROCPRIM_400000_NS6detail17trampoline_kernelINS0_13kernel_configILj256ELj4ELj4294967295EEENS1_37radix_sort_block_sort_config_selectorIbNS0_10empty_typeEEEZNS1_21radix_sort_block_sortIS4_Lb1EPKbPbPS6_SC_NS0_19identity_decomposerEEE10hipError_tT1_T2_T3_T4_jRjT5_jjP12ihipStream_tbEUlT_E_NS1_11comp_targetILNS1_3genE8ELNS1_11target_archE1030ELNS1_3gpuE2ELNS1_3repE0EEENS1_44radix_sort_block_sort_config_static_selectorELNS0_4arch9wavefront6targetE0EEEvSF_,comdat
	.protected	_ZN7rocprim17ROCPRIM_400000_NS6detail17trampoline_kernelINS0_13kernel_configILj256ELj4ELj4294967295EEENS1_37radix_sort_block_sort_config_selectorIbNS0_10empty_typeEEEZNS1_21radix_sort_block_sortIS4_Lb1EPKbPbPS6_SC_NS0_19identity_decomposerEEE10hipError_tT1_T2_T3_T4_jRjT5_jjP12ihipStream_tbEUlT_E_NS1_11comp_targetILNS1_3genE8ELNS1_11target_archE1030ELNS1_3gpuE2ELNS1_3repE0EEENS1_44radix_sort_block_sort_config_static_selectorELNS0_4arch9wavefront6targetE0EEEvSF_ ; -- Begin function _ZN7rocprim17ROCPRIM_400000_NS6detail17trampoline_kernelINS0_13kernel_configILj256ELj4ELj4294967295EEENS1_37radix_sort_block_sort_config_selectorIbNS0_10empty_typeEEEZNS1_21radix_sort_block_sortIS4_Lb1EPKbPbPS6_SC_NS0_19identity_decomposerEEE10hipError_tT1_T2_T3_T4_jRjT5_jjP12ihipStream_tbEUlT_E_NS1_11comp_targetILNS1_3genE8ELNS1_11target_archE1030ELNS1_3gpuE2ELNS1_3repE0EEENS1_44radix_sort_block_sort_config_static_selectorELNS0_4arch9wavefront6targetE0EEEvSF_
	.globl	_ZN7rocprim17ROCPRIM_400000_NS6detail17trampoline_kernelINS0_13kernel_configILj256ELj4ELj4294967295EEENS1_37radix_sort_block_sort_config_selectorIbNS0_10empty_typeEEEZNS1_21radix_sort_block_sortIS4_Lb1EPKbPbPS6_SC_NS0_19identity_decomposerEEE10hipError_tT1_T2_T3_T4_jRjT5_jjP12ihipStream_tbEUlT_E_NS1_11comp_targetILNS1_3genE8ELNS1_11target_archE1030ELNS1_3gpuE2ELNS1_3repE0EEENS1_44radix_sort_block_sort_config_static_selectorELNS0_4arch9wavefront6targetE0EEEvSF_
	.p2align	8
	.type	_ZN7rocprim17ROCPRIM_400000_NS6detail17trampoline_kernelINS0_13kernel_configILj256ELj4ELj4294967295EEENS1_37radix_sort_block_sort_config_selectorIbNS0_10empty_typeEEEZNS1_21radix_sort_block_sortIS4_Lb1EPKbPbPS6_SC_NS0_19identity_decomposerEEE10hipError_tT1_T2_T3_T4_jRjT5_jjP12ihipStream_tbEUlT_E_NS1_11comp_targetILNS1_3genE8ELNS1_11target_archE1030ELNS1_3gpuE2ELNS1_3repE0EEENS1_44radix_sort_block_sort_config_static_selectorELNS0_4arch9wavefront6targetE0EEEvSF_,@function
_ZN7rocprim17ROCPRIM_400000_NS6detail17trampoline_kernelINS0_13kernel_configILj256ELj4ELj4294967295EEENS1_37radix_sort_block_sort_config_selectorIbNS0_10empty_typeEEEZNS1_21radix_sort_block_sortIS4_Lb1EPKbPbPS6_SC_NS0_19identity_decomposerEEE10hipError_tT1_T2_T3_T4_jRjT5_jjP12ihipStream_tbEUlT_E_NS1_11comp_targetILNS1_3genE8ELNS1_11target_archE1030ELNS1_3gpuE2ELNS1_3repE0EEENS1_44radix_sort_block_sort_config_static_selectorELNS0_4arch9wavefront6targetE0EEEvSF_: ; @_ZN7rocprim17ROCPRIM_400000_NS6detail17trampoline_kernelINS0_13kernel_configILj256ELj4ELj4294967295EEENS1_37radix_sort_block_sort_config_selectorIbNS0_10empty_typeEEEZNS1_21radix_sort_block_sortIS4_Lb1EPKbPbPS6_SC_NS0_19identity_decomposerEEE10hipError_tT1_T2_T3_T4_jRjT5_jjP12ihipStream_tbEUlT_E_NS1_11comp_targetILNS1_3genE8ELNS1_11target_archE1030ELNS1_3gpuE2ELNS1_3repE0EEENS1_44radix_sort_block_sort_config_static_selectorELNS0_4arch9wavefront6targetE0EEEvSF_
; %bb.0:
	.section	.rodata,"a",@progbits
	.p2align	6, 0x0
	.amdhsa_kernel _ZN7rocprim17ROCPRIM_400000_NS6detail17trampoline_kernelINS0_13kernel_configILj256ELj4ELj4294967295EEENS1_37radix_sort_block_sort_config_selectorIbNS0_10empty_typeEEEZNS1_21radix_sort_block_sortIS4_Lb1EPKbPbPS6_SC_NS0_19identity_decomposerEEE10hipError_tT1_T2_T3_T4_jRjT5_jjP12ihipStream_tbEUlT_E_NS1_11comp_targetILNS1_3genE8ELNS1_11target_archE1030ELNS1_3gpuE2ELNS1_3repE0EEENS1_44radix_sort_block_sort_config_static_selectorELNS0_4arch9wavefront6targetE0EEEvSF_
		.amdhsa_group_segment_fixed_size 0
		.amdhsa_private_segment_fixed_size 0
		.amdhsa_kernarg_size 48
		.amdhsa_user_sgpr_count 2
		.amdhsa_user_sgpr_dispatch_ptr 0
		.amdhsa_user_sgpr_queue_ptr 0
		.amdhsa_user_sgpr_kernarg_segment_ptr 1
		.amdhsa_user_sgpr_dispatch_id 0
		.amdhsa_user_sgpr_kernarg_preload_length 0
		.amdhsa_user_sgpr_kernarg_preload_offset 0
		.amdhsa_user_sgpr_private_segment_size 0
		.amdhsa_wavefront_size32 1
		.amdhsa_uses_dynamic_stack 0
		.amdhsa_enable_private_segment 0
		.amdhsa_system_sgpr_workgroup_id_x 1
		.amdhsa_system_sgpr_workgroup_id_y 0
		.amdhsa_system_sgpr_workgroup_id_z 0
		.amdhsa_system_sgpr_workgroup_info 0
		.amdhsa_system_vgpr_workitem_id 0
		.amdhsa_next_free_vgpr 1
		.amdhsa_next_free_sgpr 1
		.amdhsa_named_barrier_count 0
		.amdhsa_reserve_vcc 0
		.amdhsa_float_round_mode_32 0
		.amdhsa_float_round_mode_16_64 0
		.amdhsa_float_denorm_mode_32 3
		.amdhsa_float_denorm_mode_16_64 3
		.amdhsa_fp16_overflow 0
		.amdhsa_memory_ordered 1
		.amdhsa_forward_progress 1
		.amdhsa_inst_pref_size 0
		.amdhsa_round_robin_scheduling 0
		.amdhsa_exception_fp_ieee_invalid_op 0
		.amdhsa_exception_fp_denorm_src 0
		.amdhsa_exception_fp_ieee_div_zero 0
		.amdhsa_exception_fp_ieee_overflow 0
		.amdhsa_exception_fp_ieee_underflow 0
		.amdhsa_exception_fp_ieee_inexact 0
		.amdhsa_exception_int_div_zero 0
	.end_amdhsa_kernel
	.section	.text._ZN7rocprim17ROCPRIM_400000_NS6detail17trampoline_kernelINS0_13kernel_configILj256ELj4ELj4294967295EEENS1_37radix_sort_block_sort_config_selectorIbNS0_10empty_typeEEEZNS1_21radix_sort_block_sortIS4_Lb1EPKbPbPS6_SC_NS0_19identity_decomposerEEE10hipError_tT1_T2_T3_T4_jRjT5_jjP12ihipStream_tbEUlT_E_NS1_11comp_targetILNS1_3genE8ELNS1_11target_archE1030ELNS1_3gpuE2ELNS1_3repE0EEENS1_44radix_sort_block_sort_config_static_selectorELNS0_4arch9wavefront6targetE0EEEvSF_,"axG",@progbits,_ZN7rocprim17ROCPRIM_400000_NS6detail17trampoline_kernelINS0_13kernel_configILj256ELj4ELj4294967295EEENS1_37radix_sort_block_sort_config_selectorIbNS0_10empty_typeEEEZNS1_21radix_sort_block_sortIS4_Lb1EPKbPbPS6_SC_NS0_19identity_decomposerEEE10hipError_tT1_T2_T3_T4_jRjT5_jjP12ihipStream_tbEUlT_E_NS1_11comp_targetILNS1_3genE8ELNS1_11target_archE1030ELNS1_3gpuE2ELNS1_3repE0EEENS1_44radix_sort_block_sort_config_static_selectorELNS0_4arch9wavefront6targetE0EEEvSF_,comdat
.Lfunc_end1649:
	.size	_ZN7rocprim17ROCPRIM_400000_NS6detail17trampoline_kernelINS0_13kernel_configILj256ELj4ELj4294967295EEENS1_37radix_sort_block_sort_config_selectorIbNS0_10empty_typeEEEZNS1_21radix_sort_block_sortIS4_Lb1EPKbPbPS6_SC_NS0_19identity_decomposerEEE10hipError_tT1_T2_T3_T4_jRjT5_jjP12ihipStream_tbEUlT_E_NS1_11comp_targetILNS1_3genE8ELNS1_11target_archE1030ELNS1_3gpuE2ELNS1_3repE0EEENS1_44radix_sort_block_sort_config_static_selectorELNS0_4arch9wavefront6targetE0EEEvSF_, .Lfunc_end1649-_ZN7rocprim17ROCPRIM_400000_NS6detail17trampoline_kernelINS0_13kernel_configILj256ELj4ELj4294967295EEENS1_37radix_sort_block_sort_config_selectorIbNS0_10empty_typeEEEZNS1_21radix_sort_block_sortIS4_Lb1EPKbPbPS6_SC_NS0_19identity_decomposerEEE10hipError_tT1_T2_T3_T4_jRjT5_jjP12ihipStream_tbEUlT_E_NS1_11comp_targetILNS1_3genE8ELNS1_11target_archE1030ELNS1_3gpuE2ELNS1_3repE0EEENS1_44radix_sort_block_sort_config_static_selectorELNS0_4arch9wavefront6targetE0EEEvSF_
                                        ; -- End function
	.set _ZN7rocprim17ROCPRIM_400000_NS6detail17trampoline_kernelINS0_13kernel_configILj256ELj4ELj4294967295EEENS1_37radix_sort_block_sort_config_selectorIbNS0_10empty_typeEEEZNS1_21radix_sort_block_sortIS4_Lb1EPKbPbPS6_SC_NS0_19identity_decomposerEEE10hipError_tT1_T2_T3_T4_jRjT5_jjP12ihipStream_tbEUlT_E_NS1_11comp_targetILNS1_3genE8ELNS1_11target_archE1030ELNS1_3gpuE2ELNS1_3repE0EEENS1_44radix_sort_block_sort_config_static_selectorELNS0_4arch9wavefront6targetE0EEEvSF_.num_vgpr, 0
	.set _ZN7rocprim17ROCPRIM_400000_NS6detail17trampoline_kernelINS0_13kernel_configILj256ELj4ELj4294967295EEENS1_37radix_sort_block_sort_config_selectorIbNS0_10empty_typeEEEZNS1_21radix_sort_block_sortIS4_Lb1EPKbPbPS6_SC_NS0_19identity_decomposerEEE10hipError_tT1_T2_T3_T4_jRjT5_jjP12ihipStream_tbEUlT_E_NS1_11comp_targetILNS1_3genE8ELNS1_11target_archE1030ELNS1_3gpuE2ELNS1_3repE0EEENS1_44radix_sort_block_sort_config_static_selectorELNS0_4arch9wavefront6targetE0EEEvSF_.num_agpr, 0
	.set _ZN7rocprim17ROCPRIM_400000_NS6detail17trampoline_kernelINS0_13kernel_configILj256ELj4ELj4294967295EEENS1_37radix_sort_block_sort_config_selectorIbNS0_10empty_typeEEEZNS1_21radix_sort_block_sortIS4_Lb1EPKbPbPS6_SC_NS0_19identity_decomposerEEE10hipError_tT1_T2_T3_T4_jRjT5_jjP12ihipStream_tbEUlT_E_NS1_11comp_targetILNS1_3genE8ELNS1_11target_archE1030ELNS1_3gpuE2ELNS1_3repE0EEENS1_44radix_sort_block_sort_config_static_selectorELNS0_4arch9wavefront6targetE0EEEvSF_.numbered_sgpr, 0
	.set _ZN7rocprim17ROCPRIM_400000_NS6detail17trampoline_kernelINS0_13kernel_configILj256ELj4ELj4294967295EEENS1_37radix_sort_block_sort_config_selectorIbNS0_10empty_typeEEEZNS1_21radix_sort_block_sortIS4_Lb1EPKbPbPS6_SC_NS0_19identity_decomposerEEE10hipError_tT1_T2_T3_T4_jRjT5_jjP12ihipStream_tbEUlT_E_NS1_11comp_targetILNS1_3genE8ELNS1_11target_archE1030ELNS1_3gpuE2ELNS1_3repE0EEENS1_44radix_sort_block_sort_config_static_selectorELNS0_4arch9wavefront6targetE0EEEvSF_.num_named_barrier, 0
	.set _ZN7rocprim17ROCPRIM_400000_NS6detail17trampoline_kernelINS0_13kernel_configILj256ELj4ELj4294967295EEENS1_37radix_sort_block_sort_config_selectorIbNS0_10empty_typeEEEZNS1_21radix_sort_block_sortIS4_Lb1EPKbPbPS6_SC_NS0_19identity_decomposerEEE10hipError_tT1_T2_T3_T4_jRjT5_jjP12ihipStream_tbEUlT_E_NS1_11comp_targetILNS1_3genE8ELNS1_11target_archE1030ELNS1_3gpuE2ELNS1_3repE0EEENS1_44radix_sort_block_sort_config_static_selectorELNS0_4arch9wavefront6targetE0EEEvSF_.private_seg_size, 0
	.set _ZN7rocprim17ROCPRIM_400000_NS6detail17trampoline_kernelINS0_13kernel_configILj256ELj4ELj4294967295EEENS1_37radix_sort_block_sort_config_selectorIbNS0_10empty_typeEEEZNS1_21radix_sort_block_sortIS4_Lb1EPKbPbPS6_SC_NS0_19identity_decomposerEEE10hipError_tT1_T2_T3_T4_jRjT5_jjP12ihipStream_tbEUlT_E_NS1_11comp_targetILNS1_3genE8ELNS1_11target_archE1030ELNS1_3gpuE2ELNS1_3repE0EEENS1_44radix_sort_block_sort_config_static_selectorELNS0_4arch9wavefront6targetE0EEEvSF_.uses_vcc, 0
	.set _ZN7rocprim17ROCPRIM_400000_NS6detail17trampoline_kernelINS0_13kernel_configILj256ELj4ELj4294967295EEENS1_37radix_sort_block_sort_config_selectorIbNS0_10empty_typeEEEZNS1_21radix_sort_block_sortIS4_Lb1EPKbPbPS6_SC_NS0_19identity_decomposerEEE10hipError_tT1_T2_T3_T4_jRjT5_jjP12ihipStream_tbEUlT_E_NS1_11comp_targetILNS1_3genE8ELNS1_11target_archE1030ELNS1_3gpuE2ELNS1_3repE0EEENS1_44radix_sort_block_sort_config_static_selectorELNS0_4arch9wavefront6targetE0EEEvSF_.uses_flat_scratch, 0
	.set _ZN7rocprim17ROCPRIM_400000_NS6detail17trampoline_kernelINS0_13kernel_configILj256ELj4ELj4294967295EEENS1_37radix_sort_block_sort_config_selectorIbNS0_10empty_typeEEEZNS1_21radix_sort_block_sortIS4_Lb1EPKbPbPS6_SC_NS0_19identity_decomposerEEE10hipError_tT1_T2_T3_T4_jRjT5_jjP12ihipStream_tbEUlT_E_NS1_11comp_targetILNS1_3genE8ELNS1_11target_archE1030ELNS1_3gpuE2ELNS1_3repE0EEENS1_44radix_sort_block_sort_config_static_selectorELNS0_4arch9wavefront6targetE0EEEvSF_.has_dyn_sized_stack, 0
	.set _ZN7rocprim17ROCPRIM_400000_NS6detail17trampoline_kernelINS0_13kernel_configILj256ELj4ELj4294967295EEENS1_37radix_sort_block_sort_config_selectorIbNS0_10empty_typeEEEZNS1_21radix_sort_block_sortIS4_Lb1EPKbPbPS6_SC_NS0_19identity_decomposerEEE10hipError_tT1_T2_T3_T4_jRjT5_jjP12ihipStream_tbEUlT_E_NS1_11comp_targetILNS1_3genE8ELNS1_11target_archE1030ELNS1_3gpuE2ELNS1_3repE0EEENS1_44radix_sort_block_sort_config_static_selectorELNS0_4arch9wavefront6targetE0EEEvSF_.has_recursion, 0
	.set _ZN7rocprim17ROCPRIM_400000_NS6detail17trampoline_kernelINS0_13kernel_configILj256ELj4ELj4294967295EEENS1_37radix_sort_block_sort_config_selectorIbNS0_10empty_typeEEEZNS1_21radix_sort_block_sortIS4_Lb1EPKbPbPS6_SC_NS0_19identity_decomposerEEE10hipError_tT1_T2_T3_T4_jRjT5_jjP12ihipStream_tbEUlT_E_NS1_11comp_targetILNS1_3genE8ELNS1_11target_archE1030ELNS1_3gpuE2ELNS1_3repE0EEENS1_44radix_sort_block_sort_config_static_selectorELNS0_4arch9wavefront6targetE0EEEvSF_.has_indirect_call, 0
	.section	.AMDGPU.csdata,"",@progbits
; Kernel info:
; codeLenInByte = 0
; TotalNumSgprs: 0
; NumVgprs: 0
; ScratchSize: 0
; MemoryBound: 0
; FloatMode: 240
; IeeeMode: 1
; LDSByteSize: 0 bytes/workgroup (compile time only)
; SGPRBlocks: 0
; VGPRBlocks: 0
; NumSGPRsForWavesPerEU: 1
; NumVGPRsForWavesPerEU: 1
; NamedBarCnt: 0
; Occupancy: 16
; WaveLimiterHint : 0
; COMPUTE_PGM_RSRC2:SCRATCH_EN: 0
; COMPUTE_PGM_RSRC2:USER_SGPR: 2
; COMPUTE_PGM_RSRC2:TRAP_HANDLER: 0
; COMPUTE_PGM_RSRC2:TGID_X_EN: 1
; COMPUTE_PGM_RSRC2:TGID_Y_EN: 0
; COMPUTE_PGM_RSRC2:TGID_Z_EN: 0
; COMPUTE_PGM_RSRC2:TIDIG_COMP_CNT: 0
	.section	.text._ZN7rocprim17ROCPRIM_400000_NS6detail44device_merge_sort_compile_time_verifier_archINS1_11comp_targetILNS1_3genE0ELNS1_11target_archE4294967295ELNS1_3gpuE0ELNS1_3repE0EEES8_NS1_28merge_sort_block_sort_configILj256ELj4ELNS0_20block_sort_algorithmE0EEENS0_14default_configENS1_37merge_sort_block_sort_config_selectorIbNS0_10empty_typeEEENS1_38merge_sort_block_merge_config_selectorIbSE_EEEEvv,"axG",@progbits,_ZN7rocprim17ROCPRIM_400000_NS6detail44device_merge_sort_compile_time_verifier_archINS1_11comp_targetILNS1_3genE0ELNS1_11target_archE4294967295ELNS1_3gpuE0ELNS1_3repE0EEES8_NS1_28merge_sort_block_sort_configILj256ELj4ELNS0_20block_sort_algorithmE0EEENS0_14default_configENS1_37merge_sort_block_sort_config_selectorIbNS0_10empty_typeEEENS1_38merge_sort_block_merge_config_selectorIbSE_EEEEvv,comdat
	.protected	_ZN7rocprim17ROCPRIM_400000_NS6detail44device_merge_sort_compile_time_verifier_archINS1_11comp_targetILNS1_3genE0ELNS1_11target_archE4294967295ELNS1_3gpuE0ELNS1_3repE0EEES8_NS1_28merge_sort_block_sort_configILj256ELj4ELNS0_20block_sort_algorithmE0EEENS0_14default_configENS1_37merge_sort_block_sort_config_selectorIbNS0_10empty_typeEEENS1_38merge_sort_block_merge_config_selectorIbSE_EEEEvv ; -- Begin function _ZN7rocprim17ROCPRIM_400000_NS6detail44device_merge_sort_compile_time_verifier_archINS1_11comp_targetILNS1_3genE0ELNS1_11target_archE4294967295ELNS1_3gpuE0ELNS1_3repE0EEES8_NS1_28merge_sort_block_sort_configILj256ELj4ELNS0_20block_sort_algorithmE0EEENS0_14default_configENS1_37merge_sort_block_sort_config_selectorIbNS0_10empty_typeEEENS1_38merge_sort_block_merge_config_selectorIbSE_EEEEvv
	.globl	_ZN7rocprim17ROCPRIM_400000_NS6detail44device_merge_sort_compile_time_verifier_archINS1_11comp_targetILNS1_3genE0ELNS1_11target_archE4294967295ELNS1_3gpuE0ELNS1_3repE0EEES8_NS1_28merge_sort_block_sort_configILj256ELj4ELNS0_20block_sort_algorithmE0EEENS0_14default_configENS1_37merge_sort_block_sort_config_selectorIbNS0_10empty_typeEEENS1_38merge_sort_block_merge_config_selectorIbSE_EEEEvv
	.p2align	8
	.type	_ZN7rocprim17ROCPRIM_400000_NS6detail44device_merge_sort_compile_time_verifier_archINS1_11comp_targetILNS1_3genE0ELNS1_11target_archE4294967295ELNS1_3gpuE0ELNS1_3repE0EEES8_NS1_28merge_sort_block_sort_configILj256ELj4ELNS0_20block_sort_algorithmE0EEENS0_14default_configENS1_37merge_sort_block_sort_config_selectorIbNS0_10empty_typeEEENS1_38merge_sort_block_merge_config_selectorIbSE_EEEEvv,@function
_ZN7rocprim17ROCPRIM_400000_NS6detail44device_merge_sort_compile_time_verifier_archINS1_11comp_targetILNS1_3genE0ELNS1_11target_archE4294967295ELNS1_3gpuE0ELNS1_3repE0EEES8_NS1_28merge_sort_block_sort_configILj256ELj4ELNS0_20block_sort_algorithmE0EEENS0_14default_configENS1_37merge_sort_block_sort_config_selectorIbNS0_10empty_typeEEENS1_38merge_sort_block_merge_config_selectorIbSE_EEEEvv: ; @_ZN7rocprim17ROCPRIM_400000_NS6detail44device_merge_sort_compile_time_verifier_archINS1_11comp_targetILNS1_3genE0ELNS1_11target_archE4294967295ELNS1_3gpuE0ELNS1_3repE0EEES8_NS1_28merge_sort_block_sort_configILj256ELj4ELNS0_20block_sort_algorithmE0EEENS0_14default_configENS1_37merge_sort_block_sort_config_selectorIbNS0_10empty_typeEEENS1_38merge_sort_block_merge_config_selectorIbSE_EEEEvv
; %bb.0:
	s_endpgm
	.section	.rodata,"a",@progbits
	.p2align	6, 0x0
	.amdhsa_kernel _ZN7rocprim17ROCPRIM_400000_NS6detail44device_merge_sort_compile_time_verifier_archINS1_11comp_targetILNS1_3genE0ELNS1_11target_archE4294967295ELNS1_3gpuE0ELNS1_3repE0EEES8_NS1_28merge_sort_block_sort_configILj256ELj4ELNS0_20block_sort_algorithmE0EEENS0_14default_configENS1_37merge_sort_block_sort_config_selectorIbNS0_10empty_typeEEENS1_38merge_sort_block_merge_config_selectorIbSE_EEEEvv
		.amdhsa_group_segment_fixed_size 0
		.amdhsa_private_segment_fixed_size 0
		.amdhsa_kernarg_size 0
		.amdhsa_user_sgpr_count 0
		.amdhsa_user_sgpr_dispatch_ptr 0
		.amdhsa_user_sgpr_queue_ptr 0
		.amdhsa_user_sgpr_kernarg_segment_ptr 0
		.amdhsa_user_sgpr_dispatch_id 0
		.amdhsa_user_sgpr_kernarg_preload_length 0
		.amdhsa_user_sgpr_kernarg_preload_offset 0
		.amdhsa_user_sgpr_private_segment_size 0
		.amdhsa_wavefront_size32 1
		.amdhsa_uses_dynamic_stack 0
		.amdhsa_enable_private_segment 0
		.amdhsa_system_sgpr_workgroup_id_x 1
		.amdhsa_system_sgpr_workgroup_id_y 0
		.amdhsa_system_sgpr_workgroup_id_z 0
		.amdhsa_system_sgpr_workgroup_info 0
		.amdhsa_system_vgpr_workitem_id 0
		.amdhsa_next_free_vgpr 1
		.amdhsa_next_free_sgpr 1
		.amdhsa_named_barrier_count 0
		.amdhsa_reserve_vcc 0
		.amdhsa_float_round_mode_32 0
		.amdhsa_float_round_mode_16_64 0
		.amdhsa_float_denorm_mode_32 3
		.amdhsa_float_denorm_mode_16_64 3
		.amdhsa_fp16_overflow 0
		.amdhsa_memory_ordered 1
		.amdhsa_forward_progress 1
		.amdhsa_inst_pref_size 1
		.amdhsa_round_robin_scheduling 0
		.amdhsa_exception_fp_ieee_invalid_op 0
		.amdhsa_exception_fp_denorm_src 0
		.amdhsa_exception_fp_ieee_div_zero 0
		.amdhsa_exception_fp_ieee_overflow 0
		.amdhsa_exception_fp_ieee_underflow 0
		.amdhsa_exception_fp_ieee_inexact 0
		.amdhsa_exception_int_div_zero 0
	.end_amdhsa_kernel
	.section	.text._ZN7rocprim17ROCPRIM_400000_NS6detail44device_merge_sort_compile_time_verifier_archINS1_11comp_targetILNS1_3genE0ELNS1_11target_archE4294967295ELNS1_3gpuE0ELNS1_3repE0EEES8_NS1_28merge_sort_block_sort_configILj256ELj4ELNS0_20block_sort_algorithmE0EEENS0_14default_configENS1_37merge_sort_block_sort_config_selectorIbNS0_10empty_typeEEENS1_38merge_sort_block_merge_config_selectorIbSE_EEEEvv,"axG",@progbits,_ZN7rocprim17ROCPRIM_400000_NS6detail44device_merge_sort_compile_time_verifier_archINS1_11comp_targetILNS1_3genE0ELNS1_11target_archE4294967295ELNS1_3gpuE0ELNS1_3repE0EEES8_NS1_28merge_sort_block_sort_configILj256ELj4ELNS0_20block_sort_algorithmE0EEENS0_14default_configENS1_37merge_sort_block_sort_config_selectorIbNS0_10empty_typeEEENS1_38merge_sort_block_merge_config_selectorIbSE_EEEEvv,comdat
.Lfunc_end1650:
	.size	_ZN7rocprim17ROCPRIM_400000_NS6detail44device_merge_sort_compile_time_verifier_archINS1_11comp_targetILNS1_3genE0ELNS1_11target_archE4294967295ELNS1_3gpuE0ELNS1_3repE0EEES8_NS1_28merge_sort_block_sort_configILj256ELj4ELNS0_20block_sort_algorithmE0EEENS0_14default_configENS1_37merge_sort_block_sort_config_selectorIbNS0_10empty_typeEEENS1_38merge_sort_block_merge_config_selectorIbSE_EEEEvv, .Lfunc_end1650-_ZN7rocprim17ROCPRIM_400000_NS6detail44device_merge_sort_compile_time_verifier_archINS1_11comp_targetILNS1_3genE0ELNS1_11target_archE4294967295ELNS1_3gpuE0ELNS1_3repE0EEES8_NS1_28merge_sort_block_sort_configILj256ELj4ELNS0_20block_sort_algorithmE0EEENS0_14default_configENS1_37merge_sort_block_sort_config_selectorIbNS0_10empty_typeEEENS1_38merge_sort_block_merge_config_selectorIbSE_EEEEvv
                                        ; -- End function
	.set _ZN7rocprim17ROCPRIM_400000_NS6detail44device_merge_sort_compile_time_verifier_archINS1_11comp_targetILNS1_3genE0ELNS1_11target_archE4294967295ELNS1_3gpuE0ELNS1_3repE0EEES8_NS1_28merge_sort_block_sort_configILj256ELj4ELNS0_20block_sort_algorithmE0EEENS0_14default_configENS1_37merge_sort_block_sort_config_selectorIbNS0_10empty_typeEEENS1_38merge_sort_block_merge_config_selectorIbSE_EEEEvv.num_vgpr, 0
	.set _ZN7rocprim17ROCPRIM_400000_NS6detail44device_merge_sort_compile_time_verifier_archINS1_11comp_targetILNS1_3genE0ELNS1_11target_archE4294967295ELNS1_3gpuE0ELNS1_3repE0EEES8_NS1_28merge_sort_block_sort_configILj256ELj4ELNS0_20block_sort_algorithmE0EEENS0_14default_configENS1_37merge_sort_block_sort_config_selectorIbNS0_10empty_typeEEENS1_38merge_sort_block_merge_config_selectorIbSE_EEEEvv.num_agpr, 0
	.set _ZN7rocprim17ROCPRIM_400000_NS6detail44device_merge_sort_compile_time_verifier_archINS1_11comp_targetILNS1_3genE0ELNS1_11target_archE4294967295ELNS1_3gpuE0ELNS1_3repE0EEES8_NS1_28merge_sort_block_sort_configILj256ELj4ELNS0_20block_sort_algorithmE0EEENS0_14default_configENS1_37merge_sort_block_sort_config_selectorIbNS0_10empty_typeEEENS1_38merge_sort_block_merge_config_selectorIbSE_EEEEvv.numbered_sgpr, 0
	.set _ZN7rocprim17ROCPRIM_400000_NS6detail44device_merge_sort_compile_time_verifier_archINS1_11comp_targetILNS1_3genE0ELNS1_11target_archE4294967295ELNS1_3gpuE0ELNS1_3repE0EEES8_NS1_28merge_sort_block_sort_configILj256ELj4ELNS0_20block_sort_algorithmE0EEENS0_14default_configENS1_37merge_sort_block_sort_config_selectorIbNS0_10empty_typeEEENS1_38merge_sort_block_merge_config_selectorIbSE_EEEEvv.num_named_barrier, 0
	.set _ZN7rocprim17ROCPRIM_400000_NS6detail44device_merge_sort_compile_time_verifier_archINS1_11comp_targetILNS1_3genE0ELNS1_11target_archE4294967295ELNS1_3gpuE0ELNS1_3repE0EEES8_NS1_28merge_sort_block_sort_configILj256ELj4ELNS0_20block_sort_algorithmE0EEENS0_14default_configENS1_37merge_sort_block_sort_config_selectorIbNS0_10empty_typeEEENS1_38merge_sort_block_merge_config_selectorIbSE_EEEEvv.private_seg_size, 0
	.set _ZN7rocprim17ROCPRIM_400000_NS6detail44device_merge_sort_compile_time_verifier_archINS1_11comp_targetILNS1_3genE0ELNS1_11target_archE4294967295ELNS1_3gpuE0ELNS1_3repE0EEES8_NS1_28merge_sort_block_sort_configILj256ELj4ELNS0_20block_sort_algorithmE0EEENS0_14default_configENS1_37merge_sort_block_sort_config_selectorIbNS0_10empty_typeEEENS1_38merge_sort_block_merge_config_selectorIbSE_EEEEvv.uses_vcc, 0
	.set _ZN7rocprim17ROCPRIM_400000_NS6detail44device_merge_sort_compile_time_verifier_archINS1_11comp_targetILNS1_3genE0ELNS1_11target_archE4294967295ELNS1_3gpuE0ELNS1_3repE0EEES8_NS1_28merge_sort_block_sort_configILj256ELj4ELNS0_20block_sort_algorithmE0EEENS0_14default_configENS1_37merge_sort_block_sort_config_selectorIbNS0_10empty_typeEEENS1_38merge_sort_block_merge_config_selectorIbSE_EEEEvv.uses_flat_scratch, 0
	.set _ZN7rocprim17ROCPRIM_400000_NS6detail44device_merge_sort_compile_time_verifier_archINS1_11comp_targetILNS1_3genE0ELNS1_11target_archE4294967295ELNS1_3gpuE0ELNS1_3repE0EEES8_NS1_28merge_sort_block_sort_configILj256ELj4ELNS0_20block_sort_algorithmE0EEENS0_14default_configENS1_37merge_sort_block_sort_config_selectorIbNS0_10empty_typeEEENS1_38merge_sort_block_merge_config_selectorIbSE_EEEEvv.has_dyn_sized_stack, 0
	.set _ZN7rocprim17ROCPRIM_400000_NS6detail44device_merge_sort_compile_time_verifier_archINS1_11comp_targetILNS1_3genE0ELNS1_11target_archE4294967295ELNS1_3gpuE0ELNS1_3repE0EEES8_NS1_28merge_sort_block_sort_configILj256ELj4ELNS0_20block_sort_algorithmE0EEENS0_14default_configENS1_37merge_sort_block_sort_config_selectorIbNS0_10empty_typeEEENS1_38merge_sort_block_merge_config_selectorIbSE_EEEEvv.has_recursion, 0
	.set _ZN7rocprim17ROCPRIM_400000_NS6detail44device_merge_sort_compile_time_verifier_archINS1_11comp_targetILNS1_3genE0ELNS1_11target_archE4294967295ELNS1_3gpuE0ELNS1_3repE0EEES8_NS1_28merge_sort_block_sort_configILj256ELj4ELNS0_20block_sort_algorithmE0EEENS0_14default_configENS1_37merge_sort_block_sort_config_selectorIbNS0_10empty_typeEEENS1_38merge_sort_block_merge_config_selectorIbSE_EEEEvv.has_indirect_call, 0
	.section	.AMDGPU.csdata,"",@progbits
; Kernel info:
; codeLenInByte = 4
; TotalNumSgprs: 0
; NumVgprs: 0
; ScratchSize: 0
; MemoryBound: 0
; FloatMode: 240
; IeeeMode: 1
; LDSByteSize: 0 bytes/workgroup (compile time only)
; SGPRBlocks: 0
; VGPRBlocks: 0
; NumSGPRsForWavesPerEU: 1
; NumVGPRsForWavesPerEU: 1
; NamedBarCnt: 0
; Occupancy: 16
; WaveLimiterHint : 0
; COMPUTE_PGM_RSRC2:SCRATCH_EN: 0
; COMPUTE_PGM_RSRC2:USER_SGPR: 0
; COMPUTE_PGM_RSRC2:TRAP_HANDLER: 0
; COMPUTE_PGM_RSRC2:TGID_X_EN: 1
; COMPUTE_PGM_RSRC2:TGID_Y_EN: 0
; COMPUTE_PGM_RSRC2:TGID_Z_EN: 0
; COMPUTE_PGM_RSRC2:TIDIG_COMP_CNT: 0
	.section	.text._ZN7rocprim17ROCPRIM_400000_NS6detail44device_merge_sort_compile_time_verifier_archINS1_11comp_targetILNS1_3genE5ELNS1_11target_archE942ELNS1_3gpuE9ELNS1_3repE0EEES8_NS1_28merge_sort_block_sort_configILj256ELj4ELNS0_20block_sort_algorithmE0EEENS0_14default_configENS1_37merge_sort_block_sort_config_selectorIbNS0_10empty_typeEEENS1_38merge_sort_block_merge_config_selectorIbSE_EEEEvv,"axG",@progbits,_ZN7rocprim17ROCPRIM_400000_NS6detail44device_merge_sort_compile_time_verifier_archINS1_11comp_targetILNS1_3genE5ELNS1_11target_archE942ELNS1_3gpuE9ELNS1_3repE0EEES8_NS1_28merge_sort_block_sort_configILj256ELj4ELNS0_20block_sort_algorithmE0EEENS0_14default_configENS1_37merge_sort_block_sort_config_selectorIbNS0_10empty_typeEEENS1_38merge_sort_block_merge_config_selectorIbSE_EEEEvv,comdat
	.protected	_ZN7rocprim17ROCPRIM_400000_NS6detail44device_merge_sort_compile_time_verifier_archINS1_11comp_targetILNS1_3genE5ELNS1_11target_archE942ELNS1_3gpuE9ELNS1_3repE0EEES8_NS1_28merge_sort_block_sort_configILj256ELj4ELNS0_20block_sort_algorithmE0EEENS0_14default_configENS1_37merge_sort_block_sort_config_selectorIbNS0_10empty_typeEEENS1_38merge_sort_block_merge_config_selectorIbSE_EEEEvv ; -- Begin function _ZN7rocprim17ROCPRIM_400000_NS6detail44device_merge_sort_compile_time_verifier_archINS1_11comp_targetILNS1_3genE5ELNS1_11target_archE942ELNS1_3gpuE9ELNS1_3repE0EEES8_NS1_28merge_sort_block_sort_configILj256ELj4ELNS0_20block_sort_algorithmE0EEENS0_14default_configENS1_37merge_sort_block_sort_config_selectorIbNS0_10empty_typeEEENS1_38merge_sort_block_merge_config_selectorIbSE_EEEEvv
	.globl	_ZN7rocprim17ROCPRIM_400000_NS6detail44device_merge_sort_compile_time_verifier_archINS1_11comp_targetILNS1_3genE5ELNS1_11target_archE942ELNS1_3gpuE9ELNS1_3repE0EEES8_NS1_28merge_sort_block_sort_configILj256ELj4ELNS0_20block_sort_algorithmE0EEENS0_14default_configENS1_37merge_sort_block_sort_config_selectorIbNS0_10empty_typeEEENS1_38merge_sort_block_merge_config_selectorIbSE_EEEEvv
	.p2align	8
	.type	_ZN7rocprim17ROCPRIM_400000_NS6detail44device_merge_sort_compile_time_verifier_archINS1_11comp_targetILNS1_3genE5ELNS1_11target_archE942ELNS1_3gpuE9ELNS1_3repE0EEES8_NS1_28merge_sort_block_sort_configILj256ELj4ELNS0_20block_sort_algorithmE0EEENS0_14default_configENS1_37merge_sort_block_sort_config_selectorIbNS0_10empty_typeEEENS1_38merge_sort_block_merge_config_selectorIbSE_EEEEvv,@function
_ZN7rocprim17ROCPRIM_400000_NS6detail44device_merge_sort_compile_time_verifier_archINS1_11comp_targetILNS1_3genE5ELNS1_11target_archE942ELNS1_3gpuE9ELNS1_3repE0EEES8_NS1_28merge_sort_block_sort_configILj256ELj4ELNS0_20block_sort_algorithmE0EEENS0_14default_configENS1_37merge_sort_block_sort_config_selectorIbNS0_10empty_typeEEENS1_38merge_sort_block_merge_config_selectorIbSE_EEEEvv: ; @_ZN7rocprim17ROCPRIM_400000_NS6detail44device_merge_sort_compile_time_verifier_archINS1_11comp_targetILNS1_3genE5ELNS1_11target_archE942ELNS1_3gpuE9ELNS1_3repE0EEES8_NS1_28merge_sort_block_sort_configILj256ELj4ELNS0_20block_sort_algorithmE0EEENS0_14default_configENS1_37merge_sort_block_sort_config_selectorIbNS0_10empty_typeEEENS1_38merge_sort_block_merge_config_selectorIbSE_EEEEvv
; %bb.0:
	s_endpgm
	.section	.rodata,"a",@progbits
	.p2align	6, 0x0
	.amdhsa_kernel _ZN7rocprim17ROCPRIM_400000_NS6detail44device_merge_sort_compile_time_verifier_archINS1_11comp_targetILNS1_3genE5ELNS1_11target_archE942ELNS1_3gpuE9ELNS1_3repE0EEES8_NS1_28merge_sort_block_sort_configILj256ELj4ELNS0_20block_sort_algorithmE0EEENS0_14default_configENS1_37merge_sort_block_sort_config_selectorIbNS0_10empty_typeEEENS1_38merge_sort_block_merge_config_selectorIbSE_EEEEvv
		.amdhsa_group_segment_fixed_size 0
		.amdhsa_private_segment_fixed_size 0
		.amdhsa_kernarg_size 0
		.amdhsa_user_sgpr_count 0
		.amdhsa_user_sgpr_dispatch_ptr 0
		.amdhsa_user_sgpr_queue_ptr 0
		.amdhsa_user_sgpr_kernarg_segment_ptr 0
		.amdhsa_user_sgpr_dispatch_id 0
		.amdhsa_user_sgpr_kernarg_preload_length 0
		.amdhsa_user_sgpr_kernarg_preload_offset 0
		.amdhsa_user_sgpr_private_segment_size 0
		.amdhsa_wavefront_size32 1
		.amdhsa_uses_dynamic_stack 0
		.amdhsa_enable_private_segment 0
		.amdhsa_system_sgpr_workgroup_id_x 1
		.amdhsa_system_sgpr_workgroup_id_y 0
		.amdhsa_system_sgpr_workgroup_id_z 0
		.amdhsa_system_sgpr_workgroup_info 0
		.amdhsa_system_vgpr_workitem_id 0
		.amdhsa_next_free_vgpr 1
		.amdhsa_next_free_sgpr 1
		.amdhsa_named_barrier_count 0
		.amdhsa_reserve_vcc 0
		.amdhsa_float_round_mode_32 0
		.amdhsa_float_round_mode_16_64 0
		.amdhsa_float_denorm_mode_32 3
		.amdhsa_float_denorm_mode_16_64 3
		.amdhsa_fp16_overflow 0
		.amdhsa_memory_ordered 1
		.amdhsa_forward_progress 1
		.amdhsa_inst_pref_size 1
		.amdhsa_round_robin_scheduling 0
		.amdhsa_exception_fp_ieee_invalid_op 0
		.amdhsa_exception_fp_denorm_src 0
		.amdhsa_exception_fp_ieee_div_zero 0
		.amdhsa_exception_fp_ieee_overflow 0
		.amdhsa_exception_fp_ieee_underflow 0
		.amdhsa_exception_fp_ieee_inexact 0
		.amdhsa_exception_int_div_zero 0
	.end_amdhsa_kernel
	.section	.text._ZN7rocprim17ROCPRIM_400000_NS6detail44device_merge_sort_compile_time_verifier_archINS1_11comp_targetILNS1_3genE5ELNS1_11target_archE942ELNS1_3gpuE9ELNS1_3repE0EEES8_NS1_28merge_sort_block_sort_configILj256ELj4ELNS0_20block_sort_algorithmE0EEENS0_14default_configENS1_37merge_sort_block_sort_config_selectorIbNS0_10empty_typeEEENS1_38merge_sort_block_merge_config_selectorIbSE_EEEEvv,"axG",@progbits,_ZN7rocprim17ROCPRIM_400000_NS6detail44device_merge_sort_compile_time_verifier_archINS1_11comp_targetILNS1_3genE5ELNS1_11target_archE942ELNS1_3gpuE9ELNS1_3repE0EEES8_NS1_28merge_sort_block_sort_configILj256ELj4ELNS0_20block_sort_algorithmE0EEENS0_14default_configENS1_37merge_sort_block_sort_config_selectorIbNS0_10empty_typeEEENS1_38merge_sort_block_merge_config_selectorIbSE_EEEEvv,comdat
.Lfunc_end1651:
	.size	_ZN7rocprim17ROCPRIM_400000_NS6detail44device_merge_sort_compile_time_verifier_archINS1_11comp_targetILNS1_3genE5ELNS1_11target_archE942ELNS1_3gpuE9ELNS1_3repE0EEES8_NS1_28merge_sort_block_sort_configILj256ELj4ELNS0_20block_sort_algorithmE0EEENS0_14default_configENS1_37merge_sort_block_sort_config_selectorIbNS0_10empty_typeEEENS1_38merge_sort_block_merge_config_selectorIbSE_EEEEvv, .Lfunc_end1651-_ZN7rocprim17ROCPRIM_400000_NS6detail44device_merge_sort_compile_time_verifier_archINS1_11comp_targetILNS1_3genE5ELNS1_11target_archE942ELNS1_3gpuE9ELNS1_3repE0EEES8_NS1_28merge_sort_block_sort_configILj256ELj4ELNS0_20block_sort_algorithmE0EEENS0_14default_configENS1_37merge_sort_block_sort_config_selectorIbNS0_10empty_typeEEENS1_38merge_sort_block_merge_config_selectorIbSE_EEEEvv
                                        ; -- End function
	.set _ZN7rocprim17ROCPRIM_400000_NS6detail44device_merge_sort_compile_time_verifier_archINS1_11comp_targetILNS1_3genE5ELNS1_11target_archE942ELNS1_3gpuE9ELNS1_3repE0EEES8_NS1_28merge_sort_block_sort_configILj256ELj4ELNS0_20block_sort_algorithmE0EEENS0_14default_configENS1_37merge_sort_block_sort_config_selectorIbNS0_10empty_typeEEENS1_38merge_sort_block_merge_config_selectorIbSE_EEEEvv.num_vgpr, 0
	.set _ZN7rocprim17ROCPRIM_400000_NS6detail44device_merge_sort_compile_time_verifier_archINS1_11comp_targetILNS1_3genE5ELNS1_11target_archE942ELNS1_3gpuE9ELNS1_3repE0EEES8_NS1_28merge_sort_block_sort_configILj256ELj4ELNS0_20block_sort_algorithmE0EEENS0_14default_configENS1_37merge_sort_block_sort_config_selectorIbNS0_10empty_typeEEENS1_38merge_sort_block_merge_config_selectorIbSE_EEEEvv.num_agpr, 0
	.set _ZN7rocprim17ROCPRIM_400000_NS6detail44device_merge_sort_compile_time_verifier_archINS1_11comp_targetILNS1_3genE5ELNS1_11target_archE942ELNS1_3gpuE9ELNS1_3repE0EEES8_NS1_28merge_sort_block_sort_configILj256ELj4ELNS0_20block_sort_algorithmE0EEENS0_14default_configENS1_37merge_sort_block_sort_config_selectorIbNS0_10empty_typeEEENS1_38merge_sort_block_merge_config_selectorIbSE_EEEEvv.numbered_sgpr, 0
	.set _ZN7rocprim17ROCPRIM_400000_NS6detail44device_merge_sort_compile_time_verifier_archINS1_11comp_targetILNS1_3genE5ELNS1_11target_archE942ELNS1_3gpuE9ELNS1_3repE0EEES8_NS1_28merge_sort_block_sort_configILj256ELj4ELNS0_20block_sort_algorithmE0EEENS0_14default_configENS1_37merge_sort_block_sort_config_selectorIbNS0_10empty_typeEEENS1_38merge_sort_block_merge_config_selectorIbSE_EEEEvv.num_named_barrier, 0
	.set _ZN7rocprim17ROCPRIM_400000_NS6detail44device_merge_sort_compile_time_verifier_archINS1_11comp_targetILNS1_3genE5ELNS1_11target_archE942ELNS1_3gpuE9ELNS1_3repE0EEES8_NS1_28merge_sort_block_sort_configILj256ELj4ELNS0_20block_sort_algorithmE0EEENS0_14default_configENS1_37merge_sort_block_sort_config_selectorIbNS0_10empty_typeEEENS1_38merge_sort_block_merge_config_selectorIbSE_EEEEvv.private_seg_size, 0
	.set _ZN7rocprim17ROCPRIM_400000_NS6detail44device_merge_sort_compile_time_verifier_archINS1_11comp_targetILNS1_3genE5ELNS1_11target_archE942ELNS1_3gpuE9ELNS1_3repE0EEES8_NS1_28merge_sort_block_sort_configILj256ELj4ELNS0_20block_sort_algorithmE0EEENS0_14default_configENS1_37merge_sort_block_sort_config_selectorIbNS0_10empty_typeEEENS1_38merge_sort_block_merge_config_selectorIbSE_EEEEvv.uses_vcc, 0
	.set _ZN7rocprim17ROCPRIM_400000_NS6detail44device_merge_sort_compile_time_verifier_archINS1_11comp_targetILNS1_3genE5ELNS1_11target_archE942ELNS1_3gpuE9ELNS1_3repE0EEES8_NS1_28merge_sort_block_sort_configILj256ELj4ELNS0_20block_sort_algorithmE0EEENS0_14default_configENS1_37merge_sort_block_sort_config_selectorIbNS0_10empty_typeEEENS1_38merge_sort_block_merge_config_selectorIbSE_EEEEvv.uses_flat_scratch, 0
	.set _ZN7rocprim17ROCPRIM_400000_NS6detail44device_merge_sort_compile_time_verifier_archINS1_11comp_targetILNS1_3genE5ELNS1_11target_archE942ELNS1_3gpuE9ELNS1_3repE0EEES8_NS1_28merge_sort_block_sort_configILj256ELj4ELNS0_20block_sort_algorithmE0EEENS0_14default_configENS1_37merge_sort_block_sort_config_selectorIbNS0_10empty_typeEEENS1_38merge_sort_block_merge_config_selectorIbSE_EEEEvv.has_dyn_sized_stack, 0
	.set _ZN7rocprim17ROCPRIM_400000_NS6detail44device_merge_sort_compile_time_verifier_archINS1_11comp_targetILNS1_3genE5ELNS1_11target_archE942ELNS1_3gpuE9ELNS1_3repE0EEES8_NS1_28merge_sort_block_sort_configILj256ELj4ELNS0_20block_sort_algorithmE0EEENS0_14default_configENS1_37merge_sort_block_sort_config_selectorIbNS0_10empty_typeEEENS1_38merge_sort_block_merge_config_selectorIbSE_EEEEvv.has_recursion, 0
	.set _ZN7rocprim17ROCPRIM_400000_NS6detail44device_merge_sort_compile_time_verifier_archINS1_11comp_targetILNS1_3genE5ELNS1_11target_archE942ELNS1_3gpuE9ELNS1_3repE0EEES8_NS1_28merge_sort_block_sort_configILj256ELj4ELNS0_20block_sort_algorithmE0EEENS0_14default_configENS1_37merge_sort_block_sort_config_selectorIbNS0_10empty_typeEEENS1_38merge_sort_block_merge_config_selectorIbSE_EEEEvv.has_indirect_call, 0
	.section	.AMDGPU.csdata,"",@progbits
; Kernel info:
; codeLenInByte = 4
; TotalNumSgprs: 0
; NumVgprs: 0
; ScratchSize: 0
; MemoryBound: 0
; FloatMode: 240
; IeeeMode: 1
; LDSByteSize: 0 bytes/workgroup (compile time only)
; SGPRBlocks: 0
; VGPRBlocks: 0
; NumSGPRsForWavesPerEU: 1
; NumVGPRsForWavesPerEU: 1
; NamedBarCnt: 0
; Occupancy: 16
; WaveLimiterHint : 0
; COMPUTE_PGM_RSRC2:SCRATCH_EN: 0
; COMPUTE_PGM_RSRC2:USER_SGPR: 0
; COMPUTE_PGM_RSRC2:TRAP_HANDLER: 0
; COMPUTE_PGM_RSRC2:TGID_X_EN: 1
; COMPUTE_PGM_RSRC2:TGID_Y_EN: 0
; COMPUTE_PGM_RSRC2:TGID_Z_EN: 0
; COMPUTE_PGM_RSRC2:TIDIG_COMP_CNT: 0
	.section	.text._ZN7rocprim17ROCPRIM_400000_NS6detail44device_merge_sort_compile_time_verifier_archINS1_11comp_targetILNS1_3genE4ELNS1_11target_archE910ELNS1_3gpuE8ELNS1_3repE0EEES8_NS1_28merge_sort_block_sort_configILj256ELj4ELNS0_20block_sort_algorithmE0EEENS0_14default_configENS1_37merge_sort_block_sort_config_selectorIbNS0_10empty_typeEEENS1_38merge_sort_block_merge_config_selectorIbSE_EEEEvv,"axG",@progbits,_ZN7rocprim17ROCPRIM_400000_NS6detail44device_merge_sort_compile_time_verifier_archINS1_11comp_targetILNS1_3genE4ELNS1_11target_archE910ELNS1_3gpuE8ELNS1_3repE0EEES8_NS1_28merge_sort_block_sort_configILj256ELj4ELNS0_20block_sort_algorithmE0EEENS0_14default_configENS1_37merge_sort_block_sort_config_selectorIbNS0_10empty_typeEEENS1_38merge_sort_block_merge_config_selectorIbSE_EEEEvv,comdat
	.protected	_ZN7rocprim17ROCPRIM_400000_NS6detail44device_merge_sort_compile_time_verifier_archINS1_11comp_targetILNS1_3genE4ELNS1_11target_archE910ELNS1_3gpuE8ELNS1_3repE0EEES8_NS1_28merge_sort_block_sort_configILj256ELj4ELNS0_20block_sort_algorithmE0EEENS0_14default_configENS1_37merge_sort_block_sort_config_selectorIbNS0_10empty_typeEEENS1_38merge_sort_block_merge_config_selectorIbSE_EEEEvv ; -- Begin function _ZN7rocprim17ROCPRIM_400000_NS6detail44device_merge_sort_compile_time_verifier_archINS1_11comp_targetILNS1_3genE4ELNS1_11target_archE910ELNS1_3gpuE8ELNS1_3repE0EEES8_NS1_28merge_sort_block_sort_configILj256ELj4ELNS0_20block_sort_algorithmE0EEENS0_14default_configENS1_37merge_sort_block_sort_config_selectorIbNS0_10empty_typeEEENS1_38merge_sort_block_merge_config_selectorIbSE_EEEEvv
	.globl	_ZN7rocprim17ROCPRIM_400000_NS6detail44device_merge_sort_compile_time_verifier_archINS1_11comp_targetILNS1_3genE4ELNS1_11target_archE910ELNS1_3gpuE8ELNS1_3repE0EEES8_NS1_28merge_sort_block_sort_configILj256ELj4ELNS0_20block_sort_algorithmE0EEENS0_14default_configENS1_37merge_sort_block_sort_config_selectorIbNS0_10empty_typeEEENS1_38merge_sort_block_merge_config_selectorIbSE_EEEEvv
	.p2align	8
	.type	_ZN7rocprim17ROCPRIM_400000_NS6detail44device_merge_sort_compile_time_verifier_archINS1_11comp_targetILNS1_3genE4ELNS1_11target_archE910ELNS1_3gpuE8ELNS1_3repE0EEES8_NS1_28merge_sort_block_sort_configILj256ELj4ELNS0_20block_sort_algorithmE0EEENS0_14default_configENS1_37merge_sort_block_sort_config_selectorIbNS0_10empty_typeEEENS1_38merge_sort_block_merge_config_selectorIbSE_EEEEvv,@function
_ZN7rocprim17ROCPRIM_400000_NS6detail44device_merge_sort_compile_time_verifier_archINS1_11comp_targetILNS1_3genE4ELNS1_11target_archE910ELNS1_3gpuE8ELNS1_3repE0EEES8_NS1_28merge_sort_block_sort_configILj256ELj4ELNS0_20block_sort_algorithmE0EEENS0_14default_configENS1_37merge_sort_block_sort_config_selectorIbNS0_10empty_typeEEENS1_38merge_sort_block_merge_config_selectorIbSE_EEEEvv: ; @_ZN7rocprim17ROCPRIM_400000_NS6detail44device_merge_sort_compile_time_verifier_archINS1_11comp_targetILNS1_3genE4ELNS1_11target_archE910ELNS1_3gpuE8ELNS1_3repE0EEES8_NS1_28merge_sort_block_sort_configILj256ELj4ELNS0_20block_sort_algorithmE0EEENS0_14default_configENS1_37merge_sort_block_sort_config_selectorIbNS0_10empty_typeEEENS1_38merge_sort_block_merge_config_selectorIbSE_EEEEvv
; %bb.0:
	s_endpgm
	.section	.rodata,"a",@progbits
	.p2align	6, 0x0
	.amdhsa_kernel _ZN7rocprim17ROCPRIM_400000_NS6detail44device_merge_sort_compile_time_verifier_archINS1_11comp_targetILNS1_3genE4ELNS1_11target_archE910ELNS1_3gpuE8ELNS1_3repE0EEES8_NS1_28merge_sort_block_sort_configILj256ELj4ELNS0_20block_sort_algorithmE0EEENS0_14default_configENS1_37merge_sort_block_sort_config_selectorIbNS0_10empty_typeEEENS1_38merge_sort_block_merge_config_selectorIbSE_EEEEvv
		.amdhsa_group_segment_fixed_size 0
		.amdhsa_private_segment_fixed_size 0
		.amdhsa_kernarg_size 0
		.amdhsa_user_sgpr_count 0
		.amdhsa_user_sgpr_dispatch_ptr 0
		.amdhsa_user_sgpr_queue_ptr 0
		.amdhsa_user_sgpr_kernarg_segment_ptr 0
		.amdhsa_user_sgpr_dispatch_id 0
		.amdhsa_user_sgpr_kernarg_preload_length 0
		.amdhsa_user_sgpr_kernarg_preload_offset 0
		.amdhsa_user_sgpr_private_segment_size 0
		.amdhsa_wavefront_size32 1
		.amdhsa_uses_dynamic_stack 0
		.amdhsa_enable_private_segment 0
		.amdhsa_system_sgpr_workgroup_id_x 1
		.amdhsa_system_sgpr_workgroup_id_y 0
		.amdhsa_system_sgpr_workgroup_id_z 0
		.amdhsa_system_sgpr_workgroup_info 0
		.amdhsa_system_vgpr_workitem_id 0
		.amdhsa_next_free_vgpr 1
		.amdhsa_next_free_sgpr 1
		.amdhsa_named_barrier_count 0
		.amdhsa_reserve_vcc 0
		.amdhsa_float_round_mode_32 0
		.amdhsa_float_round_mode_16_64 0
		.amdhsa_float_denorm_mode_32 3
		.amdhsa_float_denorm_mode_16_64 3
		.amdhsa_fp16_overflow 0
		.amdhsa_memory_ordered 1
		.amdhsa_forward_progress 1
		.amdhsa_inst_pref_size 1
		.amdhsa_round_robin_scheduling 0
		.amdhsa_exception_fp_ieee_invalid_op 0
		.amdhsa_exception_fp_denorm_src 0
		.amdhsa_exception_fp_ieee_div_zero 0
		.amdhsa_exception_fp_ieee_overflow 0
		.amdhsa_exception_fp_ieee_underflow 0
		.amdhsa_exception_fp_ieee_inexact 0
		.amdhsa_exception_int_div_zero 0
	.end_amdhsa_kernel
	.section	.text._ZN7rocprim17ROCPRIM_400000_NS6detail44device_merge_sort_compile_time_verifier_archINS1_11comp_targetILNS1_3genE4ELNS1_11target_archE910ELNS1_3gpuE8ELNS1_3repE0EEES8_NS1_28merge_sort_block_sort_configILj256ELj4ELNS0_20block_sort_algorithmE0EEENS0_14default_configENS1_37merge_sort_block_sort_config_selectorIbNS0_10empty_typeEEENS1_38merge_sort_block_merge_config_selectorIbSE_EEEEvv,"axG",@progbits,_ZN7rocprim17ROCPRIM_400000_NS6detail44device_merge_sort_compile_time_verifier_archINS1_11comp_targetILNS1_3genE4ELNS1_11target_archE910ELNS1_3gpuE8ELNS1_3repE0EEES8_NS1_28merge_sort_block_sort_configILj256ELj4ELNS0_20block_sort_algorithmE0EEENS0_14default_configENS1_37merge_sort_block_sort_config_selectorIbNS0_10empty_typeEEENS1_38merge_sort_block_merge_config_selectorIbSE_EEEEvv,comdat
.Lfunc_end1652:
	.size	_ZN7rocprim17ROCPRIM_400000_NS6detail44device_merge_sort_compile_time_verifier_archINS1_11comp_targetILNS1_3genE4ELNS1_11target_archE910ELNS1_3gpuE8ELNS1_3repE0EEES8_NS1_28merge_sort_block_sort_configILj256ELj4ELNS0_20block_sort_algorithmE0EEENS0_14default_configENS1_37merge_sort_block_sort_config_selectorIbNS0_10empty_typeEEENS1_38merge_sort_block_merge_config_selectorIbSE_EEEEvv, .Lfunc_end1652-_ZN7rocprim17ROCPRIM_400000_NS6detail44device_merge_sort_compile_time_verifier_archINS1_11comp_targetILNS1_3genE4ELNS1_11target_archE910ELNS1_3gpuE8ELNS1_3repE0EEES8_NS1_28merge_sort_block_sort_configILj256ELj4ELNS0_20block_sort_algorithmE0EEENS0_14default_configENS1_37merge_sort_block_sort_config_selectorIbNS0_10empty_typeEEENS1_38merge_sort_block_merge_config_selectorIbSE_EEEEvv
                                        ; -- End function
	.set _ZN7rocprim17ROCPRIM_400000_NS6detail44device_merge_sort_compile_time_verifier_archINS1_11comp_targetILNS1_3genE4ELNS1_11target_archE910ELNS1_3gpuE8ELNS1_3repE0EEES8_NS1_28merge_sort_block_sort_configILj256ELj4ELNS0_20block_sort_algorithmE0EEENS0_14default_configENS1_37merge_sort_block_sort_config_selectorIbNS0_10empty_typeEEENS1_38merge_sort_block_merge_config_selectorIbSE_EEEEvv.num_vgpr, 0
	.set _ZN7rocprim17ROCPRIM_400000_NS6detail44device_merge_sort_compile_time_verifier_archINS1_11comp_targetILNS1_3genE4ELNS1_11target_archE910ELNS1_3gpuE8ELNS1_3repE0EEES8_NS1_28merge_sort_block_sort_configILj256ELj4ELNS0_20block_sort_algorithmE0EEENS0_14default_configENS1_37merge_sort_block_sort_config_selectorIbNS0_10empty_typeEEENS1_38merge_sort_block_merge_config_selectorIbSE_EEEEvv.num_agpr, 0
	.set _ZN7rocprim17ROCPRIM_400000_NS6detail44device_merge_sort_compile_time_verifier_archINS1_11comp_targetILNS1_3genE4ELNS1_11target_archE910ELNS1_3gpuE8ELNS1_3repE0EEES8_NS1_28merge_sort_block_sort_configILj256ELj4ELNS0_20block_sort_algorithmE0EEENS0_14default_configENS1_37merge_sort_block_sort_config_selectorIbNS0_10empty_typeEEENS1_38merge_sort_block_merge_config_selectorIbSE_EEEEvv.numbered_sgpr, 0
	.set _ZN7rocprim17ROCPRIM_400000_NS6detail44device_merge_sort_compile_time_verifier_archINS1_11comp_targetILNS1_3genE4ELNS1_11target_archE910ELNS1_3gpuE8ELNS1_3repE0EEES8_NS1_28merge_sort_block_sort_configILj256ELj4ELNS0_20block_sort_algorithmE0EEENS0_14default_configENS1_37merge_sort_block_sort_config_selectorIbNS0_10empty_typeEEENS1_38merge_sort_block_merge_config_selectorIbSE_EEEEvv.num_named_barrier, 0
	.set _ZN7rocprim17ROCPRIM_400000_NS6detail44device_merge_sort_compile_time_verifier_archINS1_11comp_targetILNS1_3genE4ELNS1_11target_archE910ELNS1_3gpuE8ELNS1_3repE0EEES8_NS1_28merge_sort_block_sort_configILj256ELj4ELNS0_20block_sort_algorithmE0EEENS0_14default_configENS1_37merge_sort_block_sort_config_selectorIbNS0_10empty_typeEEENS1_38merge_sort_block_merge_config_selectorIbSE_EEEEvv.private_seg_size, 0
	.set _ZN7rocprim17ROCPRIM_400000_NS6detail44device_merge_sort_compile_time_verifier_archINS1_11comp_targetILNS1_3genE4ELNS1_11target_archE910ELNS1_3gpuE8ELNS1_3repE0EEES8_NS1_28merge_sort_block_sort_configILj256ELj4ELNS0_20block_sort_algorithmE0EEENS0_14default_configENS1_37merge_sort_block_sort_config_selectorIbNS0_10empty_typeEEENS1_38merge_sort_block_merge_config_selectorIbSE_EEEEvv.uses_vcc, 0
	.set _ZN7rocprim17ROCPRIM_400000_NS6detail44device_merge_sort_compile_time_verifier_archINS1_11comp_targetILNS1_3genE4ELNS1_11target_archE910ELNS1_3gpuE8ELNS1_3repE0EEES8_NS1_28merge_sort_block_sort_configILj256ELj4ELNS0_20block_sort_algorithmE0EEENS0_14default_configENS1_37merge_sort_block_sort_config_selectorIbNS0_10empty_typeEEENS1_38merge_sort_block_merge_config_selectorIbSE_EEEEvv.uses_flat_scratch, 0
	.set _ZN7rocprim17ROCPRIM_400000_NS6detail44device_merge_sort_compile_time_verifier_archINS1_11comp_targetILNS1_3genE4ELNS1_11target_archE910ELNS1_3gpuE8ELNS1_3repE0EEES8_NS1_28merge_sort_block_sort_configILj256ELj4ELNS0_20block_sort_algorithmE0EEENS0_14default_configENS1_37merge_sort_block_sort_config_selectorIbNS0_10empty_typeEEENS1_38merge_sort_block_merge_config_selectorIbSE_EEEEvv.has_dyn_sized_stack, 0
	.set _ZN7rocprim17ROCPRIM_400000_NS6detail44device_merge_sort_compile_time_verifier_archINS1_11comp_targetILNS1_3genE4ELNS1_11target_archE910ELNS1_3gpuE8ELNS1_3repE0EEES8_NS1_28merge_sort_block_sort_configILj256ELj4ELNS0_20block_sort_algorithmE0EEENS0_14default_configENS1_37merge_sort_block_sort_config_selectorIbNS0_10empty_typeEEENS1_38merge_sort_block_merge_config_selectorIbSE_EEEEvv.has_recursion, 0
	.set _ZN7rocprim17ROCPRIM_400000_NS6detail44device_merge_sort_compile_time_verifier_archINS1_11comp_targetILNS1_3genE4ELNS1_11target_archE910ELNS1_3gpuE8ELNS1_3repE0EEES8_NS1_28merge_sort_block_sort_configILj256ELj4ELNS0_20block_sort_algorithmE0EEENS0_14default_configENS1_37merge_sort_block_sort_config_selectorIbNS0_10empty_typeEEENS1_38merge_sort_block_merge_config_selectorIbSE_EEEEvv.has_indirect_call, 0
	.section	.AMDGPU.csdata,"",@progbits
; Kernel info:
; codeLenInByte = 4
; TotalNumSgprs: 0
; NumVgprs: 0
; ScratchSize: 0
; MemoryBound: 0
; FloatMode: 240
; IeeeMode: 1
; LDSByteSize: 0 bytes/workgroup (compile time only)
; SGPRBlocks: 0
; VGPRBlocks: 0
; NumSGPRsForWavesPerEU: 1
; NumVGPRsForWavesPerEU: 1
; NamedBarCnt: 0
; Occupancy: 16
; WaveLimiterHint : 0
; COMPUTE_PGM_RSRC2:SCRATCH_EN: 0
; COMPUTE_PGM_RSRC2:USER_SGPR: 0
; COMPUTE_PGM_RSRC2:TRAP_HANDLER: 0
; COMPUTE_PGM_RSRC2:TGID_X_EN: 1
; COMPUTE_PGM_RSRC2:TGID_Y_EN: 0
; COMPUTE_PGM_RSRC2:TGID_Z_EN: 0
; COMPUTE_PGM_RSRC2:TIDIG_COMP_CNT: 0
	.section	.text._ZN7rocprim17ROCPRIM_400000_NS6detail44device_merge_sort_compile_time_verifier_archINS1_11comp_targetILNS1_3genE3ELNS1_11target_archE908ELNS1_3gpuE7ELNS1_3repE0EEES8_NS1_28merge_sort_block_sort_configILj256ELj4ELNS0_20block_sort_algorithmE0EEENS0_14default_configENS1_37merge_sort_block_sort_config_selectorIbNS0_10empty_typeEEENS1_38merge_sort_block_merge_config_selectorIbSE_EEEEvv,"axG",@progbits,_ZN7rocprim17ROCPRIM_400000_NS6detail44device_merge_sort_compile_time_verifier_archINS1_11comp_targetILNS1_3genE3ELNS1_11target_archE908ELNS1_3gpuE7ELNS1_3repE0EEES8_NS1_28merge_sort_block_sort_configILj256ELj4ELNS0_20block_sort_algorithmE0EEENS0_14default_configENS1_37merge_sort_block_sort_config_selectorIbNS0_10empty_typeEEENS1_38merge_sort_block_merge_config_selectorIbSE_EEEEvv,comdat
	.protected	_ZN7rocprim17ROCPRIM_400000_NS6detail44device_merge_sort_compile_time_verifier_archINS1_11comp_targetILNS1_3genE3ELNS1_11target_archE908ELNS1_3gpuE7ELNS1_3repE0EEES8_NS1_28merge_sort_block_sort_configILj256ELj4ELNS0_20block_sort_algorithmE0EEENS0_14default_configENS1_37merge_sort_block_sort_config_selectorIbNS0_10empty_typeEEENS1_38merge_sort_block_merge_config_selectorIbSE_EEEEvv ; -- Begin function _ZN7rocprim17ROCPRIM_400000_NS6detail44device_merge_sort_compile_time_verifier_archINS1_11comp_targetILNS1_3genE3ELNS1_11target_archE908ELNS1_3gpuE7ELNS1_3repE0EEES8_NS1_28merge_sort_block_sort_configILj256ELj4ELNS0_20block_sort_algorithmE0EEENS0_14default_configENS1_37merge_sort_block_sort_config_selectorIbNS0_10empty_typeEEENS1_38merge_sort_block_merge_config_selectorIbSE_EEEEvv
	.globl	_ZN7rocprim17ROCPRIM_400000_NS6detail44device_merge_sort_compile_time_verifier_archINS1_11comp_targetILNS1_3genE3ELNS1_11target_archE908ELNS1_3gpuE7ELNS1_3repE0EEES8_NS1_28merge_sort_block_sort_configILj256ELj4ELNS0_20block_sort_algorithmE0EEENS0_14default_configENS1_37merge_sort_block_sort_config_selectorIbNS0_10empty_typeEEENS1_38merge_sort_block_merge_config_selectorIbSE_EEEEvv
	.p2align	8
	.type	_ZN7rocprim17ROCPRIM_400000_NS6detail44device_merge_sort_compile_time_verifier_archINS1_11comp_targetILNS1_3genE3ELNS1_11target_archE908ELNS1_3gpuE7ELNS1_3repE0EEES8_NS1_28merge_sort_block_sort_configILj256ELj4ELNS0_20block_sort_algorithmE0EEENS0_14default_configENS1_37merge_sort_block_sort_config_selectorIbNS0_10empty_typeEEENS1_38merge_sort_block_merge_config_selectorIbSE_EEEEvv,@function
_ZN7rocprim17ROCPRIM_400000_NS6detail44device_merge_sort_compile_time_verifier_archINS1_11comp_targetILNS1_3genE3ELNS1_11target_archE908ELNS1_3gpuE7ELNS1_3repE0EEES8_NS1_28merge_sort_block_sort_configILj256ELj4ELNS0_20block_sort_algorithmE0EEENS0_14default_configENS1_37merge_sort_block_sort_config_selectorIbNS0_10empty_typeEEENS1_38merge_sort_block_merge_config_selectorIbSE_EEEEvv: ; @_ZN7rocprim17ROCPRIM_400000_NS6detail44device_merge_sort_compile_time_verifier_archINS1_11comp_targetILNS1_3genE3ELNS1_11target_archE908ELNS1_3gpuE7ELNS1_3repE0EEES8_NS1_28merge_sort_block_sort_configILj256ELj4ELNS0_20block_sort_algorithmE0EEENS0_14default_configENS1_37merge_sort_block_sort_config_selectorIbNS0_10empty_typeEEENS1_38merge_sort_block_merge_config_selectorIbSE_EEEEvv
; %bb.0:
	s_endpgm
	.section	.rodata,"a",@progbits
	.p2align	6, 0x0
	.amdhsa_kernel _ZN7rocprim17ROCPRIM_400000_NS6detail44device_merge_sort_compile_time_verifier_archINS1_11comp_targetILNS1_3genE3ELNS1_11target_archE908ELNS1_3gpuE7ELNS1_3repE0EEES8_NS1_28merge_sort_block_sort_configILj256ELj4ELNS0_20block_sort_algorithmE0EEENS0_14default_configENS1_37merge_sort_block_sort_config_selectorIbNS0_10empty_typeEEENS1_38merge_sort_block_merge_config_selectorIbSE_EEEEvv
		.amdhsa_group_segment_fixed_size 0
		.amdhsa_private_segment_fixed_size 0
		.amdhsa_kernarg_size 0
		.amdhsa_user_sgpr_count 0
		.amdhsa_user_sgpr_dispatch_ptr 0
		.amdhsa_user_sgpr_queue_ptr 0
		.amdhsa_user_sgpr_kernarg_segment_ptr 0
		.amdhsa_user_sgpr_dispatch_id 0
		.amdhsa_user_sgpr_kernarg_preload_length 0
		.amdhsa_user_sgpr_kernarg_preload_offset 0
		.amdhsa_user_sgpr_private_segment_size 0
		.amdhsa_wavefront_size32 1
		.amdhsa_uses_dynamic_stack 0
		.amdhsa_enable_private_segment 0
		.amdhsa_system_sgpr_workgroup_id_x 1
		.amdhsa_system_sgpr_workgroup_id_y 0
		.amdhsa_system_sgpr_workgroup_id_z 0
		.amdhsa_system_sgpr_workgroup_info 0
		.amdhsa_system_vgpr_workitem_id 0
		.amdhsa_next_free_vgpr 1
		.amdhsa_next_free_sgpr 1
		.amdhsa_named_barrier_count 0
		.amdhsa_reserve_vcc 0
		.amdhsa_float_round_mode_32 0
		.amdhsa_float_round_mode_16_64 0
		.amdhsa_float_denorm_mode_32 3
		.amdhsa_float_denorm_mode_16_64 3
		.amdhsa_fp16_overflow 0
		.amdhsa_memory_ordered 1
		.amdhsa_forward_progress 1
		.amdhsa_inst_pref_size 1
		.amdhsa_round_robin_scheduling 0
		.amdhsa_exception_fp_ieee_invalid_op 0
		.amdhsa_exception_fp_denorm_src 0
		.amdhsa_exception_fp_ieee_div_zero 0
		.amdhsa_exception_fp_ieee_overflow 0
		.amdhsa_exception_fp_ieee_underflow 0
		.amdhsa_exception_fp_ieee_inexact 0
		.amdhsa_exception_int_div_zero 0
	.end_amdhsa_kernel
	.section	.text._ZN7rocprim17ROCPRIM_400000_NS6detail44device_merge_sort_compile_time_verifier_archINS1_11comp_targetILNS1_3genE3ELNS1_11target_archE908ELNS1_3gpuE7ELNS1_3repE0EEES8_NS1_28merge_sort_block_sort_configILj256ELj4ELNS0_20block_sort_algorithmE0EEENS0_14default_configENS1_37merge_sort_block_sort_config_selectorIbNS0_10empty_typeEEENS1_38merge_sort_block_merge_config_selectorIbSE_EEEEvv,"axG",@progbits,_ZN7rocprim17ROCPRIM_400000_NS6detail44device_merge_sort_compile_time_verifier_archINS1_11comp_targetILNS1_3genE3ELNS1_11target_archE908ELNS1_3gpuE7ELNS1_3repE0EEES8_NS1_28merge_sort_block_sort_configILj256ELj4ELNS0_20block_sort_algorithmE0EEENS0_14default_configENS1_37merge_sort_block_sort_config_selectorIbNS0_10empty_typeEEENS1_38merge_sort_block_merge_config_selectorIbSE_EEEEvv,comdat
.Lfunc_end1653:
	.size	_ZN7rocprim17ROCPRIM_400000_NS6detail44device_merge_sort_compile_time_verifier_archINS1_11comp_targetILNS1_3genE3ELNS1_11target_archE908ELNS1_3gpuE7ELNS1_3repE0EEES8_NS1_28merge_sort_block_sort_configILj256ELj4ELNS0_20block_sort_algorithmE0EEENS0_14default_configENS1_37merge_sort_block_sort_config_selectorIbNS0_10empty_typeEEENS1_38merge_sort_block_merge_config_selectorIbSE_EEEEvv, .Lfunc_end1653-_ZN7rocprim17ROCPRIM_400000_NS6detail44device_merge_sort_compile_time_verifier_archINS1_11comp_targetILNS1_3genE3ELNS1_11target_archE908ELNS1_3gpuE7ELNS1_3repE0EEES8_NS1_28merge_sort_block_sort_configILj256ELj4ELNS0_20block_sort_algorithmE0EEENS0_14default_configENS1_37merge_sort_block_sort_config_selectorIbNS0_10empty_typeEEENS1_38merge_sort_block_merge_config_selectorIbSE_EEEEvv
                                        ; -- End function
	.set _ZN7rocprim17ROCPRIM_400000_NS6detail44device_merge_sort_compile_time_verifier_archINS1_11comp_targetILNS1_3genE3ELNS1_11target_archE908ELNS1_3gpuE7ELNS1_3repE0EEES8_NS1_28merge_sort_block_sort_configILj256ELj4ELNS0_20block_sort_algorithmE0EEENS0_14default_configENS1_37merge_sort_block_sort_config_selectorIbNS0_10empty_typeEEENS1_38merge_sort_block_merge_config_selectorIbSE_EEEEvv.num_vgpr, 0
	.set _ZN7rocprim17ROCPRIM_400000_NS6detail44device_merge_sort_compile_time_verifier_archINS1_11comp_targetILNS1_3genE3ELNS1_11target_archE908ELNS1_3gpuE7ELNS1_3repE0EEES8_NS1_28merge_sort_block_sort_configILj256ELj4ELNS0_20block_sort_algorithmE0EEENS0_14default_configENS1_37merge_sort_block_sort_config_selectorIbNS0_10empty_typeEEENS1_38merge_sort_block_merge_config_selectorIbSE_EEEEvv.num_agpr, 0
	.set _ZN7rocprim17ROCPRIM_400000_NS6detail44device_merge_sort_compile_time_verifier_archINS1_11comp_targetILNS1_3genE3ELNS1_11target_archE908ELNS1_3gpuE7ELNS1_3repE0EEES8_NS1_28merge_sort_block_sort_configILj256ELj4ELNS0_20block_sort_algorithmE0EEENS0_14default_configENS1_37merge_sort_block_sort_config_selectorIbNS0_10empty_typeEEENS1_38merge_sort_block_merge_config_selectorIbSE_EEEEvv.numbered_sgpr, 0
	.set _ZN7rocprim17ROCPRIM_400000_NS6detail44device_merge_sort_compile_time_verifier_archINS1_11comp_targetILNS1_3genE3ELNS1_11target_archE908ELNS1_3gpuE7ELNS1_3repE0EEES8_NS1_28merge_sort_block_sort_configILj256ELj4ELNS0_20block_sort_algorithmE0EEENS0_14default_configENS1_37merge_sort_block_sort_config_selectorIbNS0_10empty_typeEEENS1_38merge_sort_block_merge_config_selectorIbSE_EEEEvv.num_named_barrier, 0
	.set _ZN7rocprim17ROCPRIM_400000_NS6detail44device_merge_sort_compile_time_verifier_archINS1_11comp_targetILNS1_3genE3ELNS1_11target_archE908ELNS1_3gpuE7ELNS1_3repE0EEES8_NS1_28merge_sort_block_sort_configILj256ELj4ELNS0_20block_sort_algorithmE0EEENS0_14default_configENS1_37merge_sort_block_sort_config_selectorIbNS0_10empty_typeEEENS1_38merge_sort_block_merge_config_selectorIbSE_EEEEvv.private_seg_size, 0
	.set _ZN7rocprim17ROCPRIM_400000_NS6detail44device_merge_sort_compile_time_verifier_archINS1_11comp_targetILNS1_3genE3ELNS1_11target_archE908ELNS1_3gpuE7ELNS1_3repE0EEES8_NS1_28merge_sort_block_sort_configILj256ELj4ELNS0_20block_sort_algorithmE0EEENS0_14default_configENS1_37merge_sort_block_sort_config_selectorIbNS0_10empty_typeEEENS1_38merge_sort_block_merge_config_selectorIbSE_EEEEvv.uses_vcc, 0
	.set _ZN7rocprim17ROCPRIM_400000_NS6detail44device_merge_sort_compile_time_verifier_archINS1_11comp_targetILNS1_3genE3ELNS1_11target_archE908ELNS1_3gpuE7ELNS1_3repE0EEES8_NS1_28merge_sort_block_sort_configILj256ELj4ELNS0_20block_sort_algorithmE0EEENS0_14default_configENS1_37merge_sort_block_sort_config_selectorIbNS0_10empty_typeEEENS1_38merge_sort_block_merge_config_selectorIbSE_EEEEvv.uses_flat_scratch, 0
	.set _ZN7rocprim17ROCPRIM_400000_NS6detail44device_merge_sort_compile_time_verifier_archINS1_11comp_targetILNS1_3genE3ELNS1_11target_archE908ELNS1_3gpuE7ELNS1_3repE0EEES8_NS1_28merge_sort_block_sort_configILj256ELj4ELNS0_20block_sort_algorithmE0EEENS0_14default_configENS1_37merge_sort_block_sort_config_selectorIbNS0_10empty_typeEEENS1_38merge_sort_block_merge_config_selectorIbSE_EEEEvv.has_dyn_sized_stack, 0
	.set _ZN7rocprim17ROCPRIM_400000_NS6detail44device_merge_sort_compile_time_verifier_archINS1_11comp_targetILNS1_3genE3ELNS1_11target_archE908ELNS1_3gpuE7ELNS1_3repE0EEES8_NS1_28merge_sort_block_sort_configILj256ELj4ELNS0_20block_sort_algorithmE0EEENS0_14default_configENS1_37merge_sort_block_sort_config_selectorIbNS0_10empty_typeEEENS1_38merge_sort_block_merge_config_selectorIbSE_EEEEvv.has_recursion, 0
	.set _ZN7rocprim17ROCPRIM_400000_NS6detail44device_merge_sort_compile_time_verifier_archINS1_11comp_targetILNS1_3genE3ELNS1_11target_archE908ELNS1_3gpuE7ELNS1_3repE0EEES8_NS1_28merge_sort_block_sort_configILj256ELj4ELNS0_20block_sort_algorithmE0EEENS0_14default_configENS1_37merge_sort_block_sort_config_selectorIbNS0_10empty_typeEEENS1_38merge_sort_block_merge_config_selectorIbSE_EEEEvv.has_indirect_call, 0
	.section	.AMDGPU.csdata,"",@progbits
; Kernel info:
; codeLenInByte = 4
; TotalNumSgprs: 0
; NumVgprs: 0
; ScratchSize: 0
; MemoryBound: 0
; FloatMode: 240
; IeeeMode: 1
; LDSByteSize: 0 bytes/workgroup (compile time only)
; SGPRBlocks: 0
; VGPRBlocks: 0
; NumSGPRsForWavesPerEU: 1
; NumVGPRsForWavesPerEU: 1
; NamedBarCnt: 0
; Occupancy: 16
; WaveLimiterHint : 0
; COMPUTE_PGM_RSRC2:SCRATCH_EN: 0
; COMPUTE_PGM_RSRC2:USER_SGPR: 0
; COMPUTE_PGM_RSRC2:TRAP_HANDLER: 0
; COMPUTE_PGM_RSRC2:TGID_X_EN: 1
; COMPUTE_PGM_RSRC2:TGID_Y_EN: 0
; COMPUTE_PGM_RSRC2:TGID_Z_EN: 0
; COMPUTE_PGM_RSRC2:TIDIG_COMP_CNT: 0
	.section	.text._ZN7rocprim17ROCPRIM_400000_NS6detail44device_merge_sort_compile_time_verifier_archINS1_11comp_targetILNS1_3genE2ELNS1_11target_archE906ELNS1_3gpuE6ELNS1_3repE0EEES8_NS1_28merge_sort_block_sort_configILj256ELj4ELNS0_20block_sort_algorithmE0EEENS0_14default_configENS1_37merge_sort_block_sort_config_selectorIbNS0_10empty_typeEEENS1_38merge_sort_block_merge_config_selectorIbSE_EEEEvv,"axG",@progbits,_ZN7rocprim17ROCPRIM_400000_NS6detail44device_merge_sort_compile_time_verifier_archINS1_11comp_targetILNS1_3genE2ELNS1_11target_archE906ELNS1_3gpuE6ELNS1_3repE0EEES8_NS1_28merge_sort_block_sort_configILj256ELj4ELNS0_20block_sort_algorithmE0EEENS0_14default_configENS1_37merge_sort_block_sort_config_selectorIbNS0_10empty_typeEEENS1_38merge_sort_block_merge_config_selectorIbSE_EEEEvv,comdat
	.protected	_ZN7rocprim17ROCPRIM_400000_NS6detail44device_merge_sort_compile_time_verifier_archINS1_11comp_targetILNS1_3genE2ELNS1_11target_archE906ELNS1_3gpuE6ELNS1_3repE0EEES8_NS1_28merge_sort_block_sort_configILj256ELj4ELNS0_20block_sort_algorithmE0EEENS0_14default_configENS1_37merge_sort_block_sort_config_selectorIbNS0_10empty_typeEEENS1_38merge_sort_block_merge_config_selectorIbSE_EEEEvv ; -- Begin function _ZN7rocprim17ROCPRIM_400000_NS6detail44device_merge_sort_compile_time_verifier_archINS1_11comp_targetILNS1_3genE2ELNS1_11target_archE906ELNS1_3gpuE6ELNS1_3repE0EEES8_NS1_28merge_sort_block_sort_configILj256ELj4ELNS0_20block_sort_algorithmE0EEENS0_14default_configENS1_37merge_sort_block_sort_config_selectorIbNS0_10empty_typeEEENS1_38merge_sort_block_merge_config_selectorIbSE_EEEEvv
	.globl	_ZN7rocprim17ROCPRIM_400000_NS6detail44device_merge_sort_compile_time_verifier_archINS1_11comp_targetILNS1_3genE2ELNS1_11target_archE906ELNS1_3gpuE6ELNS1_3repE0EEES8_NS1_28merge_sort_block_sort_configILj256ELj4ELNS0_20block_sort_algorithmE0EEENS0_14default_configENS1_37merge_sort_block_sort_config_selectorIbNS0_10empty_typeEEENS1_38merge_sort_block_merge_config_selectorIbSE_EEEEvv
	.p2align	8
	.type	_ZN7rocprim17ROCPRIM_400000_NS6detail44device_merge_sort_compile_time_verifier_archINS1_11comp_targetILNS1_3genE2ELNS1_11target_archE906ELNS1_3gpuE6ELNS1_3repE0EEES8_NS1_28merge_sort_block_sort_configILj256ELj4ELNS0_20block_sort_algorithmE0EEENS0_14default_configENS1_37merge_sort_block_sort_config_selectorIbNS0_10empty_typeEEENS1_38merge_sort_block_merge_config_selectorIbSE_EEEEvv,@function
_ZN7rocprim17ROCPRIM_400000_NS6detail44device_merge_sort_compile_time_verifier_archINS1_11comp_targetILNS1_3genE2ELNS1_11target_archE906ELNS1_3gpuE6ELNS1_3repE0EEES8_NS1_28merge_sort_block_sort_configILj256ELj4ELNS0_20block_sort_algorithmE0EEENS0_14default_configENS1_37merge_sort_block_sort_config_selectorIbNS0_10empty_typeEEENS1_38merge_sort_block_merge_config_selectorIbSE_EEEEvv: ; @_ZN7rocprim17ROCPRIM_400000_NS6detail44device_merge_sort_compile_time_verifier_archINS1_11comp_targetILNS1_3genE2ELNS1_11target_archE906ELNS1_3gpuE6ELNS1_3repE0EEES8_NS1_28merge_sort_block_sort_configILj256ELj4ELNS0_20block_sort_algorithmE0EEENS0_14default_configENS1_37merge_sort_block_sort_config_selectorIbNS0_10empty_typeEEENS1_38merge_sort_block_merge_config_selectorIbSE_EEEEvv
; %bb.0:
	s_endpgm
	.section	.rodata,"a",@progbits
	.p2align	6, 0x0
	.amdhsa_kernel _ZN7rocprim17ROCPRIM_400000_NS6detail44device_merge_sort_compile_time_verifier_archINS1_11comp_targetILNS1_3genE2ELNS1_11target_archE906ELNS1_3gpuE6ELNS1_3repE0EEES8_NS1_28merge_sort_block_sort_configILj256ELj4ELNS0_20block_sort_algorithmE0EEENS0_14default_configENS1_37merge_sort_block_sort_config_selectorIbNS0_10empty_typeEEENS1_38merge_sort_block_merge_config_selectorIbSE_EEEEvv
		.amdhsa_group_segment_fixed_size 0
		.amdhsa_private_segment_fixed_size 0
		.amdhsa_kernarg_size 0
		.amdhsa_user_sgpr_count 0
		.amdhsa_user_sgpr_dispatch_ptr 0
		.amdhsa_user_sgpr_queue_ptr 0
		.amdhsa_user_sgpr_kernarg_segment_ptr 0
		.amdhsa_user_sgpr_dispatch_id 0
		.amdhsa_user_sgpr_kernarg_preload_length 0
		.amdhsa_user_sgpr_kernarg_preload_offset 0
		.amdhsa_user_sgpr_private_segment_size 0
		.amdhsa_wavefront_size32 1
		.amdhsa_uses_dynamic_stack 0
		.amdhsa_enable_private_segment 0
		.amdhsa_system_sgpr_workgroup_id_x 1
		.amdhsa_system_sgpr_workgroup_id_y 0
		.amdhsa_system_sgpr_workgroup_id_z 0
		.amdhsa_system_sgpr_workgroup_info 0
		.amdhsa_system_vgpr_workitem_id 0
		.amdhsa_next_free_vgpr 1
		.amdhsa_next_free_sgpr 1
		.amdhsa_named_barrier_count 0
		.amdhsa_reserve_vcc 0
		.amdhsa_float_round_mode_32 0
		.amdhsa_float_round_mode_16_64 0
		.amdhsa_float_denorm_mode_32 3
		.amdhsa_float_denorm_mode_16_64 3
		.amdhsa_fp16_overflow 0
		.amdhsa_memory_ordered 1
		.amdhsa_forward_progress 1
		.amdhsa_inst_pref_size 1
		.amdhsa_round_robin_scheduling 0
		.amdhsa_exception_fp_ieee_invalid_op 0
		.amdhsa_exception_fp_denorm_src 0
		.amdhsa_exception_fp_ieee_div_zero 0
		.amdhsa_exception_fp_ieee_overflow 0
		.amdhsa_exception_fp_ieee_underflow 0
		.amdhsa_exception_fp_ieee_inexact 0
		.amdhsa_exception_int_div_zero 0
	.end_amdhsa_kernel
	.section	.text._ZN7rocprim17ROCPRIM_400000_NS6detail44device_merge_sort_compile_time_verifier_archINS1_11comp_targetILNS1_3genE2ELNS1_11target_archE906ELNS1_3gpuE6ELNS1_3repE0EEES8_NS1_28merge_sort_block_sort_configILj256ELj4ELNS0_20block_sort_algorithmE0EEENS0_14default_configENS1_37merge_sort_block_sort_config_selectorIbNS0_10empty_typeEEENS1_38merge_sort_block_merge_config_selectorIbSE_EEEEvv,"axG",@progbits,_ZN7rocprim17ROCPRIM_400000_NS6detail44device_merge_sort_compile_time_verifier_archINS1_11comp_targetILNS1_3genE2ELNS1_11target_archE906ELNS1_3gpuE6ELNS1_3repE0EEES8_NS1_28merge_sort_block_sort_configILj256ELj4ELNS0_20block_sort_algorithmE0EEENS0_14default_configENS1_37merge_sort_block_sort_config_selectorIbNS0_10empty_typeEEENS1_38merge_sort_block_merge_config_selectorIbSE_EEEEvv,comdat
.Lfunc_end1654:
	.size	_ZN7rocprim17ROCPRIM_400000_NS6detail44device_merge_sort_compile_time_verifier_archINS1_11comp_targetILNS1_3genE2ELNS1_11target_archE906ELNS1_3gpuE6ELNS1_3repE0EEES8_NS1_28merge_sort_block_sort_configILj256ELj4ELNS0_20block_sort_algorithmE0EEENS0_14default_configENS1_37merge_sort_block_sort_config_selectorIbNS0_10empty_typeEEENS1_38merge_sort_block_merge_config_selectorIbSE_EEEEvv, .Lfunc_end1654-_ZN7rocprim17ROCPRIM_400000_NS6detail44device_merge_sort_compile_time_verifier_archINS1_11comp_targetILNS1_3genE2ELNS1_11target_archE906ELNS1_3gpuE6ELNS1_3repE0EEES8_NS1_28merge_sort_block_sort_configILj256ELj4ELNS0_20block_sort_algorithmE0EEENS0_14default_configENS1_37merge_sort_block_sort_config_selectorIbNS0_10empty_typeEEENS1_38merge_sort_block_merge_config_selectorIbSE_EEEEvv
                                        ; -- End function
	.set _ZN7rocprim17ROCPRIM_400000_NS6detail44device_merge_sort_compile_time_verifier_archINS1_11comp_targetILNS1_3genE2ELNS1_11target_archE906ELNS1_3gpuE6ELNS1_3repE0EEES8_NS1_28merge_sort_block_sort_configILj256ELj4ELNS0_20block_sort_algorithmE0EEENS0_14default_configENS1_37merge_sort_block_sort_config_selectorIbNS0_10empty_typeEEENS1_38merge_sort_block_merge_config_selectorIbSE_EEEEvv.num_vgpr, 0
	.set _ZN7rocprim17ROCPRIM_400000_NS6detail44device_merge_sort_compile_time_verifier_archINS1_11comp_targetILNS1_3genE2ELNS1_11target_archE906ELNS1_3gpuE6ELNS1_3repE0EEES8_NS1_28merge_sort_block_sort_configILj256ELj4ELNS0_20block_sort_algorithmE0EEENS0_14default_configENS1_37merge_sort_block_sort_config_selectorIbNS0_10empty_typeEEENS1_38merge_sort_block_merge_config_selectorIbSE_EEEEvv.num_agpr, 0
	.set _ZN7rocprim17ROCPRIM_400000_NS6detail44device_merge_sort_compile_time_verifier_archINS1_11comp_targetILNS1_3genE2ELNS1_11target_archE906ELNS1_3gpuE6ELNS1_3repE0EEES8_NS1_28merge_sort_block_sort_configILj256ELj4ELNS0_20block_sort_algorithmE0EEENS0_14default_configENS1_37merge_sort_block_sort_config_selectorIbNS0_10empty_typeEEENS1_38merge_sort_block_merge_config_selectorIbSE_EEEEvv.numbered_sgpr, 0
	.set _ZN7rocprim17ROCPRIM_400000_NS6detail44device_merge_sort_compile_time_verifier_archINS1_11comp_targetILNS1_3genE2ELNS1_11target_archE906ELNS1_3gpuE6ELNS1_3repE0EEES8_NS1_28merge_sort_block_sort_configILj256ELj4ELNS0_20block_sort_algorithmE0EEENS0_14default_configENS1_37merge_sort_block_sort_config_selectorIbNS0_10empty_typeEEENS1_38merge_sort_block_merge_config_selectorIbSE_EEEEvv.num_named_barrier, 0
	.set _ZN7rocprim17ROCPRIM_400000_NS6detail44device_merge_sort_compile_time_verifier_archINS1_11comp_targetILNS1_3genE2ELNS1_11target_archE906ELNS1_3gpuE6ELNS1_3repE0EEES8_NS1_28merge_sort_block_sort_configILj256ELj4ELNS0_20block_sort_algorithmE0EEENS0_14default_configENS1_37merge_sort_block_sort_config_selectorIbNS0_10empty_typeEEENS1_38merge_sort_block_merge_config_selectorIbSE_EEEEvv.private_seg_size, 0
	.set _ZN7rocprim17ROCPRIM_400000_NS6detail44device_merge_sort_compile_time_verifier_archINS1_11comp_targetILNS1_3genE2ELNS1_11target_archE906ELNS1_3gpuE6ELNS1_3repE0EEES8_NS1_28merge_sort_block_sort_configILj256ELj4ELNS0_20block_sort_algorithmE0EEENS0_14default_configENS1_37merge_sort_block_sort_config_selectorIbNS0_10empty_typeEEENS1_38merge_sort_block_merge_config_selectorIbSE_EEEEvv.uses_vcc, 0
	.set _ZN7rocprim17ROCPRIM_400000_NS6detail44device_merge_sort_compile_time_verifier_archINS1_11comp_targetILNS1_3genE2ELNS1_11target_archE906ELNS1_3gpuE6ELNS1_3repE0EEES8_NS1_28merge_sort_block_sort_configILj256ELj4ELNS0_20block_sort_algorithmE0EEENS0_14default_configENS1_37merge_sort_block_sort_config_selectorIbNS0_10empty_typeEEENS1_38merge_sort_block_merge_config_selectorIbSE_EEEEvv.uses_flat_scratch, 0
	.set _ZN7rocprim17ROCPRIM_400000_NS6detail44device_merge_sort_compile_time_verifier_archINS1_11comp_targetILNS1_3genE2ELNS1_11target_archE906ELNS1_3gpuE6ELNS1_3repE0EEES8_NS1_28merge_sort_block_sort_configILj256ELj4ELNS0_20block_sort_algorithmE0EEENS0_14default_configENS1_37merge_sort_block_sort_config_selectorIbNS0_10empty_typeEEENS1_38merge_sort_block_merge_config_selectorIbSE_EEEEvv.has_dyn_sized_stack, 0
	.set _ZN7rocprim17ROCPRIM_400000_NS6detail44device_merge_sort_compile_time_verifier_archINS1_11comp_targetILNS1_3genE2ELNS1_11target_archE906ELNS1_3gpuE6ELNS1_3repE0EEES8_NS1_28merge_sort_block_sort_configILj256ELj4ELNS0_20block_sort_algorithmE0EEENS0_14default_configENS1_37merge_sort_block_sort_config_selectorIbNS0_10empty_typeEEENS1_38merge_sort_block_merge_config_selectorIbSE_EEEEvv.has_recursion, 0
	.set _ZN7rocprim17ROCPRIM_400000_NS6detail44device_merge_sort_compile_time_verifier_archINS1_11comp_targetILNS1_3genE2ELNS1_11target_archE906ELNS1_3gpuE6ELNS1_3repE0EEES8_NS1_28merge_sort_block_sort_configILj256ELj4ELNS0_20block_sort_algorithmE0EEENS0_14default_configENS1_37merge_sort_block_sort_config_selectorIbNS0_10empty_typeEEENS1_38merge_sort_block_merge_config_selectorIbSE_EEEEvv.has_indirect_call, 0
	.section	.AMDGPU.csdata,"",@progbits
; Kernel info:
; codeLenInByte = 4
; TotalNumSgprs: 0
; NumVgprs: 0
; ScratchSize: 0
; MemoryBound: 0
; FloatMode: 240
; IeeeMode: 1
; LDSByteSize: 0 bytes/workgroup (compile time only)
; SGPRBlocks: 0
; VGPRBlocks: 0
; NumSGPRsForWavesPerEU: 1
; NumVGPRsForWavesPerEU: 1
; NamedBarCnt: 0
; Occupancy: 16
; WaveLimiterHint : 0
; COMPUTE_PGM_RSRC2:SCRATCH_EN: 0
; COMPUTE_PGM_RSRC2:USER_SGPR: 0
; COMPUTE_PGM_RSRC2:TRAP_HANDLER: 0
; COMPUTE_PGM_RSRC2:TGID_X_EN: 1
; COMPUTE_PGM_RSRC2:TGID_Y_EN: 0
; COMPUTE_PGM_RSRC2:TGID_Z_EN: 0
; COMPUTE_PGM_RSRC2:TIDIG_COMP_CNT: 0
	.section	.text._ZN7rocprim17ROCPRIM_400000_NS6detail44device_merge_sort_compile_time_verifier_archINS1_11comp_targetILNS1_3genE10ELNS1_11target_archE1201ELNS1_3gpuE5ELNS1_3repE0EEES8_NS1_28merge_sort_block_sort_configILj256ELj4ELNS0_20block_sort_algorithmE0EEENS0_14default_configENS1_37merge_sort_block_sort_config_selectorIbNS0_10empty_typeEEENS1_38merge_sort_block_merge_config_selectorIbSE_EEEEvv,"axG",@progbits,_ZN7rocprim17ROCPRIM_400000_NS6detail44device_merge_sort_compile_time_verifier_archINS1_11comp_targetILNS1_3genE10ELNS1_11target_archE1201ELNS1_3gpuE5ELNS1_3repE0EEES8_NS1_28merge_sort_block_sort_configILj256ELj4ELNS0_20block_sort_algorithmE0EEENS0_14default_configENS1_37merge_sort_block_sort_config_selectorIbNS0_10empty_typeEEENS1_38merge_sort_block_merge_config_selectorIbSE_EEEEvv,comdat
	.protected	_ZN7rocprim17ROCPRIM_400000_NS6detail44device_merge_sort_compile_time_verifier_archINS1_11comp_targetILNS1_3genE10ELNS1_11target_archE1201ELNS1_3gpuE5ELNS1_3repE0EEES8_NS1_28merge_sort_block_sort_configILj256ELj4ELNS0_20block_sort_algorithmE0EEENS0_14default_configENS1_37merge_sort_block_sort_config_selectorIbNS0_10empty_typeEEENS1_38merge_sort_block_merge_config_selectorIbSE_EEEEvv ; -- Begin function _ZN7rocprim17ROCPRIM_400000_NS6detail44device_merge_sort_compile_time_verifier_archINS1_11comp_targetILNS1_3genE10ELNS1_11target_archE1201ELNS1_3gpuE5ELNS1_3repE0EEES8_NS1_28merge_sort_block_sort_configILj256ELj4ELNS0_20block_sort_algorithmE0EEENS0_14default_configENS1_37merge_sort_block_sort_config_selectorIbNS0_10empty_typeEEENS1_38merge_sort_block_merge_config_selectorIbSE_EEEEvv
	.globl	_ZN7rocprim17ROCPRIM_400000_NS6detail44device_merge_sort_compile_time_verifier_archINS1_11comp_targetILNS1_3genE10ELNS1_11target_archE1201ELNS1_3gpuE5ELNS1_3repE0EEES8_NS1_28merge_sort_block_sort_configILj256ELj4ELNS0_20block_sort_algorithmE0EEENS0_14default_configENS1_37merge_sort_block_sort_config_selectorIbNS0_10empty_typeEEENS1_38merge_sort_block_merge_config_selectorIbSE_EEEEvv
	.p2align	8
	.type	_ZN7rocprim17ROCPRIM_400000_NS6detail44device_merge_sort_compile_time_verifier_archINS1_11comp_targetILNS1_3genE10ELNS1_11target_archE1201ELNS1_3gpuE5ELNS1_3repE0EEES8_NS1_28merge_sort_block_sort_configILj256ELj4ELNS0_20block_sort_algorithmE0EEENS0_14default_configENS1_37merge_sort_block_sort_config_selectorIbNS0_10empty_typeEEENS1_38merge_sort_block_merge_config_selectorIbSE_EEEEvv,@function
_ZN7rocprim17ROCPRIM_400000_NS6detail44device_merge_sort_compile_time_verifier_archINS1_11comp_targetILNS1_3genE10ELNS1_11target_archE1201ELNS1_3gpuE5ELNS1_3repE0EEES8_NS1_28merge_sort_block_sort_configILj256ELj4ELNS0_20block_sort_algorithmE0EEENS0_14default_configENS1_37merge_sort_block_sort_config_selectorIbNS0_10empty_typeEEENS1_38merge_sort_block_merge_config_selectorIbSE_EEEEvv: ; @_ZN7rocprim17ROCPRIM_400000_NS6detail44device_merge_sort_compile_time_verifier_archINS1_11comp_targetILNS1_3genE10ELNS1_11target_archE1201ELNS1_3gpuE5ELNS1_3repE0EEES8_NS1_28merge_sort_block_sort_configILj256ELj4ELNS0_20block_sort_algorithmE0EEENS0_14default_configENS1_37merge_sort_block_sort_config_selectorIbNS0_10empty_typeEEENS1_38merge_sort_block_merge_config_selectorIbSE_EEEEvv
; %bb.0:
	s_endpgm
	.section	.rodata,"a",@progbits
	.p2align	6, 0x0
	.amdhsa_kernel _ZN7rocprim17ROCPRIM_400000_NS6detail44device_merge_sort_compile_time_verifier_archINS1_11comp_targetILNS1_3genE10ELNS1_11target_archE1201ELNS1_3gpuE5ELNS1_3repE0EEES8_NS1_28merge_sort_block_sort_configILj256ELj4ELNS0_20block_sort_algorithmE0EEENS0_14default_configENS1_37merge_sort_block_sort_config_selectorIbNS0_10empty_typeEEENS1_38merge_sort_block_merge_config_selectorIbSE_EEEEvv
		.amdhsa_group_segment_fixed_size 0
		.amdhsa_private_segment_fixed_size 0
		.amdhsa_kernarg_size 0
		.amdhsa_user_sgpr_count 0
		.amdhsa_user_sgpr_dispatch_ptr 0
		.amdhsa_user_sgpr_queue_ptr 0
		.amdhsa_user_sgpr_kernarg_segment_ptr 0
		.amdhsa_user_sgpr_dispatch_id 0
		.amdhsa_user_sgpr_kernarg_preload_length 0
		.amdhsa_user_sgpr_kernarg_preload_offset 0
		.amdhsa_user_sgpr_private_segment_size 0
		.amdhsa_wavefront_size32 1
		.amdhsa_uses_dynamic_stack 0
		.amdhsa_enable_private_segment 0
		.amdhsa_system_sgpr_workgroup_id_x 1
		.amdhsa_system_sgpr_workgroup_id_y 0
		.amdhsa_system_sgpr_workgroup_id_z 0
		.amdhsa_system_sgpr_workgroup_info 0
		.amdhsa_system_vgpr_workitem_id 0
		.amdhsa_next_free_vgpr 1
		.amdhsa_next_free_sgpr 1
		.amdhsa_named_barrier_count 0
		.amdhsa_reserve_vcc 0
		.amdhsa_float_round_mode_32 0
		.amdhsa_float_round_mode_16_64 0
		.amdhsa_float_denorm_mode_32 3
		.amdhsa_float_denorm_mode_16_64 3
		.amdhsa_fp16_overflow 0
		.amdhsa_memory_ordered 1
		.amdhsa_forward_progress 1
		.amdhsa_inst_pref_size 1
		.amdhsa_round_robin_scheduling 0
		.amdhsa_exception_fp_ieee_invalid_op 0
		.amdhsa_exception_fp_denorm_src 0
		.amdhsa_exception_fp_ieee_div_zero 0
		.amdhsa_exception_fp_ieee_overflow 0
		.amdhsa_exception_fp_ieee_underflow 0
		.amdhsa_exception_fp_ieee_inexact 0
		.amdhsa_exception_int_div_zero 0
	.end_amdhsa_kernel
	.section	.text._ZN7rocprim17ROCPRIM_400000_NS6detail44device_merge_sort_compile_time_verifier_archINS1_11comp_targetILNS1_3genE10ELNS1_11target_archE1201ELNS1_3gpuE5ELNS1_3repE0EEES8_NS1_28merge_sort_block_sort_configILj256ELj4ELNS0_20block_sort_algorithmE0EEENS0_14default_configENS1_37merge_sort_block_sort_config_selectorIbNS0_10empty_typeEEENS1_38merge_sort_block_merge_config_selectorIbSE_EEEEvv,"axG",@progbits,_ZN7rocprim17ROCPRIM_400000_NS6detail44device_merge_sort_compile_time_verifier_archINS1_11comp_targetILNS1_3genE10ELNS1_11target_archE1201ELNS1_3gpuE5ELNS1_3repE0EEES8_NS1_28merge_sort_block_sort_configILj256ELj4ELNS0_20block_sort_algorithmE0EEENS0_14default_configENS1_37merge_sort_block_sort_config_selectorIbNS0_10empty_typeEEENS1_38merge_sort_block_merge_config_selectorIbSE_EEEEvv,comdat
.Lfunc_end1655:
	.size	_ZN7rocprim17ROCPRIM_400000_NS6detail44device_merge_sort_compile_time_verifier_archINS1_11comp_targetILNS1_3genE10ELNS1_11target_archE1201ELNS1_3gpuE5ELNS1_3repE0EEES8_NS1_28merge_sort_block_sort_configILj256ELj4ELNS0_20block_sort_algorithmE0EEENS0_14default_configENS1_37merge_sort_block_sort_config_selectorIbNS0_10empty_typeEEENS1_38merge_sort_block_merge_config_selectorIbSE_EEEEvv, .Lfunc_end1655-_ZN7rocprim17ROCPRIM_400000_NS6detail44device_merge_sort_compile_time_verifier_archINS1_11comp_targetILNS1_3genE10ELNS1_11target_archE1201ELNS1_3gpuE5ELNS1_3repE0EEES8_NS1_28merge_sort_block_sort_configILj256ELj4ELNS0_20block_sort_algorithmE0EEENS0_14default_configENS1_37merge_sort_block_sort_config_selectorIbNS0_10empty_typeEEENS1_38merge_sort_block_merge_config_selectorIbSE_EEEEvv
                                        ; -- End function
	.set _ZN7rocprim17ROCPRIM_400000_NS6detail44device_merge_sort_compile_time_verifier_archINS1_11comp_targetILNS1_3genE10ELNS1_11target_archE1201ELNS1_3gpuE5ELNS1_3repE0EEES8_NS1_28merge_sort_block_sort_configILj256ELj4ELNS0_20block_sort_algorithmE0EEENS0_14default_configENS1_37merge_sort_block_sort_config_selectorIbNS0_10empty_typeEEENS1_38merge_sort_block_merge_config_selectorIbSE_EEEEvv.num_vgpr, 0
	.set _ZN7rocprim17ROCPRIM_400000_NS6detail44device_merge_sort_compile_time_verifier_archINS1_11comp_targetILNS1_3genE10ELNS1_11target_archE1201ELNS1_3gpuE5ELNS1_3repE0EEES8_NS1_28merge_sort_block_sort_configILj256ELj4ELNS0_20block_sort_algorithmE0EEENS0_14default_configENS1_37merge_sort_block_sort_config_selectorIbNS0_10empty_typeEEENS1_38merge_sort_block_merge_config_selectorIbSE_EEEEvv.num_agpr, 0
	.set _ZN7rocprim17ROCPRIM_400000_NS6detail44device_merge_sort_compile_time_verifier_archINS1_11comp_targetILNS1_3genE10ELNS1_11target_archE1201ELNS1_3gpuE5ELNS1_3repE0EEES8_NS1_28merge_sort_block_sort_configILj256ELj4ELNS0_20block_sort_algorithmE0EEENS0_14default_configENS1_37merge_sort_block_sort_config_selectorIbNS0_10empty_typeEEENS1_38merge_sort_block_merge_config_selectorIbSE_EEEEvv.numbered_sgpr, 0
	.set _ZN7rocprim17ROCPRIM_400000_NS6detail44device_merge_sort_compile_time_verifier_archINS1_11comp_targetILNS1_3genE10ELNS1_11target_archE1201ELNS1_3gpuE5ELNS1_3repE0EEES8_NS1_28merge_sort_block_sort_configILj256ELj4ELNS0_20block_sort_algorithmE0EEENS0_14default_configENS1_37merge_sort_block_sort_config_selectorIbNS0_10empty_typeEEENS1_38merge_sort_block_merge_config_selectorIbSE_EEEEvv.num_named_barrier, 0
	.set _ZN7rocprim17ROCPRIM_400000_NS6detail44device_merge_sort_compile_time_verifier_archINS1_11comp_targetILNS1_3genE10ELNS1_11target_archE1201ELNS1_3gpuE5ELNS1_3repE0EEES8_NS1_28merge_sort_block_sort_configILj256ELj4ELNS0_20block_sort_algorithmE0EEENS0_14default_configENS1_37merge_sort_block_sort_config_selectorIbNS0_10empty_typeEEENS1_38merge_sort_block_merge_config_selectorIbSE_EEEEvv.private_seg_size, 0
	.set _ZN7rocprim17ROCPRIM_400000_NS6detail44device_merge_sort_compile_time_verifier_archINS1_11comp_targetILNS1_3genE10ELNS1_11target_archE1201ELNS1_3gpuE5ELNS1_3repE0EEES8_NS1_28merge_sort_block_sort_configILj256ELj4ELNS0_20block_sort_algorithmE0EEENS0_14default_configENS1_37merge_sort_block_sort_config_selectorIbNS0_10empty_typeEEENS1_38merge_sort_block_merge_config_selectorIbSE_EEEEvv.uses_vcc, 0
	.set _ZN7rocprim17ROCPRIM_400000_NS6detail44device_merge_sort_compile_time_verifier_archINS1_11comp_targetILNS1_3genE10ELNS1_11target_archE1201ELNS1_3gpuE5ELNS1_3repE0EEES8_NS1_28merge_sort_block_sort_configILj256ELj4ELNS0_20block_sort_algorithmE0EEENS0_14default_configENS1_37merge_sort_block_sort_config_selectorIbNS0_10empty_typeEEENS1_38merge_sort_block_merge_config_selectorIbSE_EEEEvv.uses_flat_scratch, 0
	.set _ZN7rocprim17ROCPRIM_400000_NS6detail44device_merge_sort_compile_time_verifier_archINS1_11comp_targetILNS1_3genE10ELNS1_11target_archE1201ELNS1_3gpuE5ELNS1_3repE0EEES8_NS1_28merge_sort_block_sort_configILj256ELj4ELNS0_20block_sort_algorithmE0EEENS0_14default_configENS1_37merge_sort_block_sort_config_selectorIbNS0_10empty_typeEEENS1_38merge_sort_block_merge_config_selectorIbSE_EEEEvv.has_dyn_sized_stack, 0
	.set _ZN7rocprim17ROCPRIM_400000_NS6detail44device_merge_sort_compile_time_verifier_archINS1_11comp_targetILNS1_3genE10ELNS1_11target_archE1201ELNS1_3gpuE5ELNS1_3repE0EEES8_NS1_28merge_sort_block_sort_configILj256ELj4ELNS0_20block_sort_algorithmE0EEENS0_14default_configENS1_37merge_sort_block_sort_config_selectorIbNS0_10empty_typeEEENS1_38merge_sort_block_merge_config_selectorIbSE_EEEEvv.has_recursion, 0
	.set _ZN7rocprim17ROCPRIM_400000_NS6detail44device_merge_sort_compile_time_verifier_archINS1_11comp_targetILNS1_3genE10ELNS1_11target_archE1201ELNS1_3gpuE5ELNS1_3repE0EEES8_NS1_28merge_sort_block_sort_configILj256ELj4ELNS0_20block_sort_algorithmE0EEENS0_14default_configENS1_37merge_sort_block_sort_config_selectorIbNS0_10empty_typeEEENS1_38merge_sort_block_merge_config_selectorIbSE_EEEEvv.has_indirect_call, 0
	.section	.AMDGPU.csdata,"",@progbits
; Kernel info:
; codeLenInByte = 4
; TotalNumSgprs: 0
; NumVgprs: 0
; ScratchSize: 0
; MemoryBound: 0
; FloatMode: 240
; IeeeMode: 1
; LDSByteSize: 0 bytes/workgroup (compile time only)
; SGPRBlocks: 0
; VGPRBlocks: 0
; NumSGPRsForWavesPerEU: 1
; NumVGPRsForWavesPerEU: 1
; NamedBarCnt: 0
; Occupancy: 16
; WaveLimiterHint : 0
; COMPUTE_PGM_RSRC2:SCRATCH_EN: 0
; COMPUTE_PGM_RSRC2:USER_SGPR: 0
; COMPUTE_PGM_RSRC2:TRAP_HANDLER: 0
; COMPUTE_PGM_RSRC2:TGID_X_EN: 1
; COMPUTE_PGM_RSRC2:TGID_Y_EN: 0
; COMPUTE_PGM_RSRC2:TGID_Z_EN: 0
; COMPUTE_PGM_RSRC2:TIDIG_COMP_CNT: 0
	.section	.text._ZN7rocprim17ROCPRIM_400000_NS6detail44device_merge_sort_compile_time_verifier_archINS1_11comp_targetILNS1_3genE10ELNS1_11target_archE1200ELNS1_3gpuE4ELNS1_3repE0EEENS3_ILS4_10ELS5_1201ELS6_5ELS7_0EEENS1_28merge_sort_block_sort_configILj256ELj4ELNS0_20block_sort_algorithmE0EEENS0_14default_configENS1_37merge_sort_block_sort_config_selectorIbNS0_10empty_typeEEENS1_38merge_sort_block_merge_config_selectorIbSF_EEEEvv,"axG",@progbits,_ZN7rocprim17ROCPRIM_400000_NS6detail44device_merge_sort_compile_time_verifier_archINS1_11comp_targetILNS1_3genE10ELNS1_11target_archE1200ELNS1_3gpuE4ELNS1_3repE0EEENS3_ILS4_10ELS5_1201ELS6_5ELS7_0EEENS1_28merge_sort_block_sort_configILj256ELj4ELNS0_20block_sort_algorithmE0EEENS0_14default_configENS1_37merge_sort_block_sort_config_selectorIbNS0_10empty_typeEEENS1_38merge_sort_block_merge_config_selectorIbSF_EEEEvv,comdat
	.protected	_ZN7rocprim17ROCPRIM_400000_NS6detail44device_merge_sort_compile_time_verifier_archINS1_11comp_targetILNS1_3genE10ELNS1_11target_archE1200ELNS1_3gpuE4ELNS1_3repE0EEENS3_ILS4_10ELS5_1201ELS6_5ELS7_0EEENS1_28merge_sort_block_sort_configILj256ELj4ELNS0_20block_sort_algorithmE0EEENS0_14default_configENS1_37merge_sort_block_sort_config_selectorIbNS0_10empty_typeEEENS1_38merge_sort_block_merge_config_selectorIbSF_EEEEvv ; -- Begin function _ZN7rocprim17ROCPRIM_400000_NS6detail44device_merge_sort_compile_time_verifier_archINS1_11comp_targetILNS1_3genE10ELNS1_11target_archE1200ELNS1_3gpuE4ELNS1_3repE0EEENS3_ILS4_10ELS5_1201ELS6_5ELS7_0EEENS1_28merge_sort_block_sort_configILj256ELj4ELNS0_20block_sort_algorithmE0EEENS0_14default_configENS1_37merge_sort_block_sort_config_selectorIbNS0_10empty_typeEEENS1_38merge_sort_block_merge_config_selectorIbSF_EEEEvv
	.globl	_ZN7rocprim17ROCPRIM_400000_NS6detail44device_merge_sort_compile_time_verifier_archINS1_11comp_targetILNS1_3genE10ELNS1_11target_archE1200ELNS1_3gpuE4ELNS1_3repE0EEENS3_ILS4_10ELS5_1201ELS6_5ELS7_0EEENS1_28merge_sort_block_sort_configILj256ELj4ELNS0_20block_sort_algorithmE0EEENS0_14default_configENS1_37merge_sort_block_sort_config_selectorIbNS0_10empty_typeEEENS1_38merge_sort_block_merge_config_selectorIbSF_EEEEvv
	.p2align	8
	.type	_ZN7rocprim17ROCPRIM_400000_NS6detail44device_merge_sort_compile_time_verifier_archINS1_11comp_targetILNS1_3genE10ELNS1_11target_archE1200ELNS1_3gpuE4ELNS1_3repE0EEENS3_ILS4_10ELS5_1201ELS6_5ELS7_0EEENS1_28merge_sort_block_sort_configILj256ELj4ELNS0_20block_sort_algorithmE0EEENS0_14default_configENS1_37merge_sort_block_sort_config_selectorIbNS0_10empty_typeEEENS1_38merge_sort_block_merge_config_selectorIbSF_EEEEvv,@function
_ZN7rocprim17ROCPRIM_400000_NS6detail44device_merge_sort_compile_time_verifier_archINS1_11comp_targetILNS1_3genE10ELNS1_11target_archE1200ELNS1_3gpuE4ELNS1_3repE0EEENS3_ILS4_10ELS5_1201ELS6_5ELS7_0EEENS1_28merge_sort_block_sort_configILj256ELj4ELNS0_20block_sort_algorithmE0EEENS0_14default_configENS1_37merge_sort_block_sort_config_selectorIbNS0_10empty_typeEEENS1_38merge_sort_block_merge_config_selectorIbSF_EEEEvv: ; @_ZN7rocprim17ROCPRIM_400000_NS6detail44device_merge_sort_compile_time_verifier_archINS1_11comp_targetILNS1_3genE10ELNS1_11target_archE1200ELNS1_3gpuE4ELNS1_3repE0EEENS3_ILS4_10ELS5_1201ELS6_5ELS7_0EEENS1_28merge_sort_block_sort_configILj256ELj4ELNS0_20block_sort_algorithmE0EEENS0_14default_configENS1_37merge_sort_block_sort_config_selectorIbNS0_10empty_typeEEENS1_38merge_sort_block_merge_config_selectorIbSF_EEEEvv
; %bb.0:
	s_endpgm
	.section	.rodata,"a",@progbits
	.p2align	6, 0x0
	.amdhsa_kernel _ZN7rocprim17ROCPRIM_400000_NS6detail44device_merge_sort_compile_time_verifier_archINS1_11comp_targetILNS1_3genE10ELNS1_11target_archE1200ELNS1_3gpuE4ELNS1_3repE0EEENS3_ILS4_10ELS5_1201ELS6_5ELS7_0EEENS1_28merge_sort_block_sort_configILj256ELj4ELNS0_20block_sort_algorithmE0EEENS0_14default_configENS1_37merge_sort_block_sort_config_selectorIbNS0_10empty_typeEEENS1_38merge_sort_block_merge_config_selectorIbSF_EEEEvv
		.amdhsa_group_segment_fixed_size 0
		.amdhsa_private_segment_fixed_size 0
		.amdhsa_kernarg_size 0
		.amdhsa_user_sgpr_count 0
		.amdhsa_user_sgpr_dispatch_ptr 0
		.amdhsa_user_sgpr_queue_ptr 0
		.amdhsa_user_sgpr_kernarg_segment_ptr 0
		.amdhsa_user_sgpr_dispatch_id 0
		.amdhsa_user_sgpr_kernarg_preload_length 0
		.amdhsa_user_sgpr_kernarg_preload_offset 0
		.amdhsa_user_sgpr_private_segment_size 0
		.amdhsa_wavefront_size32 1
		.amdhsa_uses_dynamic_stack 0
		.amdhsa_enable_private_segment 0
		.amdhsa_system_sgpr_workgroup_id_x 1
		.amdhsa_system_sgpr_workgroup_id_y 0
		.amdhsa_system_sgpr_workgroup_id_z 0
		.amdhsa_system_sgpr_workgroup_info 0
		.amdhsa_system_vgpr_workitem_id 0
		.amdhsa_next_free_vgpr 1
		.amdhsa_next_free_sgpr 1
		.amdhsa_named_barrier_count 0
		.amdhsa_reserve_vcc 0
		.amdhsa_float_round_mode_32 0
		.amdhsa_float_round_mode_16_64 0
		.amdhsa_float_denorm_mode_32 3
		.amdhsa_float_denorm_mode_16_64 3
		.amdhsa_fp16_overflow 0
		.amdhsa_memory_ordered 1
		.amdhsa_forward_progress 1
		.amdhsa_inst_pref_size 1
		.amdhsa_round_robin_scheduling 0
		.amdhsa_exception_fp_ieee_invalid_op 0
		.amdhsa_exception_fp_denorm_src 0
		.amdhsa_exception_fp_ieee_div_zero 0
		.amdhsa_exception_fp_ieee_overflow 0
		.amdhsa_exception_fp_ieee_underflow 0
		.amdhsa_exception_fp_ieee_inexact 0
		.amdhsa_exception_int_div_zero 0
	.end_amdhsa_kernel
	.section	.text._ZN7rocprim17ROCPRIM_400000_NS6detail44device_merge_sort_compile_time_verifier_archINS1_11comp_targetILNS1_3genE10ELNS1_11target_archE1200ELNS1_3gpuE4ELNS1_3repE0EEENS3_ILS4_10ELS5_1201ELS6_5ELS7_0EEENS1_28merge_sort_block_sort_configILj256ELj4ELNS0_20block_sort_algorithmE0EEENS0_14default_configENS1_37merge_sort_block_sort_config_selectorIbNS0_10empty_typeEEENS1_38merge_sort_block_merge_config_selectorIbSF_EEEEvv,"axG",@progbits,_ZN7rocprim17ROCPRIM_400000_NS6detail44device_merge_sort_compile_time_verifier_archINS1_11comp_targetILNS1_3genE10ELNS1_11target_archE1200ELNS1_3gpuE4ELNS1_3repE0EEENS3_ILS4_10ELS5_1201ELS6_5ELS7_0EEENS1_28merge_sort_block_sort_configILj256ELj4ELNS0_20block_sort_algorithmE0EEENS0_14default_configENS1_37merge_sort_block_sort_config_selectorIbNS0_10empty_typeEEENS1_38merge_sort_block_merge_config_selectorIbSF_EEEEvv,comdat
.Lfunc_end1656:
	.size	_ZN7rocprim17ROCPRIM_400000_NS6detail44device_merge_sort_compile_time_verifier_archINS1_11comp_targetILNS1_3genE10ELNS1_11target_archE1200ELNS1_3gpuE4ELNS1_3repE0EEENS3_ILS4_10ELS5_1201ELS6_5ELS7_0EEENS1_28merge_sort_block_sort_configILj256ELj4ELNS0_20block_sort_algorithmE0EEENS0_14default_configENS1_37merge_sort_block_sort_config_selectorIbNS0_10empty_typeEEENS1_38merge_sort_block_merge_config_selectorIbSF_EEEEvv, .Lfunc_end1656-_ZN7rocprim17ROCPRIM_400000_NS6detail44device_merge_sort_compile_time_verifier_archINS1_11comp_targetILNS1_3genE10ELNS1_11target_archE1200ELNS1_3gpuE4ELNS1_3repE0EEENS3_ILS4_10ELS5_1201ELS6_5ELS7_0EEENS1_28merge_sort_block_sort_configILj256ELj4ELNS0_20block_sort_algorithmE0EEENS0_14default_configENS1_37merge_sort_block_sort_config_selectorIbNS0_10empty_typeEEENS1_38merge_sort_block_merge_config_selectorIbSF_EEEEvv
                                        ; -- End function
	.set _ZN7rocprim17ROCPRIM_400000_NS6detail44device_merge_sort_compile_time_verifier_archINS1_11comp_targetILNS1_3genE10ELNS1_11target_archE1200ELNS1_3gpuE4ELNS1_3repE0EEENS3_ILS4_10ELS5_1201ELS6_5ELS7_0EEENS1_28merge_sort_block_sort_configILj256ELj4ELNS0_20block_sort_algorithmE0EEENS0_14default_configENS1_37merge_sort_block_sort_config_selectorIbNS0_10empty_typeEEENS1_38merge_sort_block_merge_config_selectorIbSF_EEEEvv.num_vgpr, 0
	.set _ZN7rocprim17ROCPRIM_400000_NS6detail44device_merge_sort_compile_time_verifier_archINS1_11comp_targetILNS1_3genE10ELNS1_11target_archE1200ELNS1_3gpuE4ELNS1_3repE0EEENS3_ILS4_10ELS5_1201ELS6_5ELS7_0EEENS1_28merge_sort_block_sort_configILj256ELj4ELNS0_20block_sort_algorithmE0EEENS0_14default_configENS1_37merge_sort_block_sort_config_selectorIbNS0_10empty_typeEEENS1_38merge_sort_block_merge_config_selectorIbSF_EEEEvv.num_agpr, 0
	.set _ZN7rocprim17ROCPRIM_400000_NS6detail44device_merge_sort_compile_time_verifier_archINS1_11comp_targetILNS1_3genE10ELNS1_11target_archE1200ELNS1_3gpuE4ELNS1_3repE0EEENS3_ILS4_10ELS5_1201ELS6_5ELS7_0EEENS1_28merge_sort_block_sort_configILj256ELj4ELNS0_20block_sort_algorithmE0EEENS0_14default_configENS1_37merge_sort_block_sort_config_selectorIbNS0_10empty_typeEEENS1_38merge_sort_block_merge_config_selectorIbSF_EEEEvv.numbered_sgpr, 0
	.set _ZN7rocprim17ROCPRIM_400000_NS6detail44device_merge_sort_compile_time_verifier_archINS1_11comp_targetILNS1_3genE10ELNS1_11target_archE1200ELNS1_3gpuE4ELNS1_3repE0EEENS3_ILS4_10ELS5_1201ELS6_5ELS7_0EEENS1_28merge_sort_block_sort_configILj256ELj4ELNS0_20block_sort_algorithmE0EEENS0_14default_configENS1_37merge_sort_block_sort_config_selectorIbNS0_10empty_typeEEENS1_38merge_sort_block_merge_config_selectorIbSF_EEEEvv.num_named_barrier, 0
	.set _ZN7rocprim17ROCPRIM_400000_NS6detail44device_merge_sort_compile_time_verifier_archINS1_11comp_targetILNS1_3genE10ELNS1_11target_archE1200ELNS1_3gpuE4ELNS1_3repE0EEENS3_ILS4_10ELS5_1201ELS6_5ELS7_0EEENS1_28merge_sort_block_sort_configILj256ELj4ELNS0_20block_sort_algorithmE0EEENS0_14default_configENS1_37merge_sort_block_sort_config_selectorIbNS0_10empty_typeEEENS1_38merge_sort_block_merge_config_selectorIbSF_EEEEvv.private_seg_size, 0
	.set _ZN7rocprim17ROCPRIM_400000_NS6detail44device_merge_sort_compile_time_verifier_archINS1_11comp_targetILNS1_3genE10ELNS1_11target_archE1200ELNS1_3gpuE4ELNS1_3repE0EEENS3_ILS4_10ELS5_1201ELS6_5ELS7_0EEENS1_28merge_sort_block_sort_configILj256ELj4ELNS0_20block_sort_algorithmE0EEENS0_14default_configENS1_37merge_sort_block_sort_config_selectorIbNS0_10empty_typeEEENS1_38merge_sort_block_merge_config_selectorIbSF_EEEEvv.uses_vcc, 0
	.set _ZN7rocprim17ROCPRIM_400000_NS6detail44device_merge_sort_compile_time_verifier_archINS1_11comp_targetILNS1_3genE10ELNS1_11target_archE1200ELNS1_3gpuE4ELNS1_3repE0EEENS3_ILS4_10ELS5_1201ELS6_5ELS7_0EEENS1_28merge_sort_block_sort_configILj256ELj4ELNS0_20block_sort_algorithmE0EEENS0_14default_configENS1_37merge_sort_block_sort_config_selectorIbNS0_10empty_typeEEENS1_38merge_sort_block_merge_config_selectorIbSF_EEEEvv.uses_flat_scratch, 0
	.set _ZN7rocprim17ROCPRIM_400000_NS6detail44device_merge_sort_compile_time_verifier_archINS1_11comp_targetILNS1_3genE10ELNS1_11target_archE1200ELNS1_3gpuE4ELNS1_3repE0EEENS3_ILS4_10ELS5_1201ELS6_5ELS7_0EEENS1_28merge_sort_block_sort_configILj256ELj4ELNS0_20block_sort_algorithmE0EEENS0_14default_configENS1_37merge_sort_block_sort_config_selectorIbNS0_10empty_typeEEENS1_38merge_sort_block_merge_config_selectorIbSF_EEEEvv.has_dyn_sized_stack, 0
	.set _ZN7rocprim17ROCPRIM_400000_NS6detail44device_merge_sort_compile_time_verifier_archINS1_11comp_targetILNS1_3genE10ELNS1_11target_archE1200ELNS1_3gpuE4ELNS1_3repE0EEENS3_ILS4_10ELS5_1201ELS6_5ELS7_0EEENS1_28merge_sort_block_sort_configILj256ELj4ELNS0_20block_sort_algorithmE0EEENS0_14default_configENS1_37merge_sort_block_sort_config_selectorIbNS0_10empty_typeEEENS1_38merge_sort_block_merge_config_selectorIbSF_EEEEvv.has_recursion, 0
	.set _ZN7rocprim17ROCPRIM_400000_NS6detail44device_merge_sort_compile_time_verifier_archINS1_11comp_targetILNS1_3genE10ELNS1_11target_archE1200ELNS1_3gpuE4ELNS1_3repE0EEENS3_ILS4_10ELS5_1201ELS6_5ELS7_0EEENS1_28merge_sort_block_sort_configILj256ELj4ELNS0_20block_sort_algorithmE0EEENS0_14default_configENS1_37merge_sort_block_sort_config_selectorIbNS0_10empty_typeEEENS1_38merge_sort_block_merge_config_selectorIbSF_EEEEvv.has_indirect_call, 0
	.section	.AMDGPU.csdata,"",@progbits
; Kernel info:
; codeLenInByte = 4
; TotalNumSgprs: 0
; NumVgprs: 0
; ScratchSize: 0
; MemoryBound: 0
; FloatMode: 240
; IeeeMode: 1
; LDSByteSize: 0 bytes/workgroup (compile time only)
; SGPRBlocks: 0
; VGPRBlocks: 0
; NumSGPRsForWavesPerEU: 1
; NumVGPRsForWavesPerEU: 1
; NamedBarCnt: 0
; Occupancy: 16
; WaveLimiterHint : 0
; COMPUTE_PGM_RSRC2:SCRATCH_EN: 0
; COMPUTE_PGM_RSRC2:USER_SGPR: 0
; COMPUTE_PGM_RSRC2:TRAP_HANDLER: 0
; COMPUTE_PGM_RSRC2:TGID_X_EN: 1
; COMPUTE_PGM_RSRC2:TGID_Y_EN: 0
; COMPUTE_PGM_RSRC2:TGID_Z_EN: 0
; COMPUTE_PGM_RSRC2:TIDIG_COMP_CNT: 0
	.section	.text._ZN7rocprim17ROCPRIM_400000_NS6detail44device_merge_sort_compile_time_verifier_archINS1_11comp_targetILNS1_3genE9ELNS1_11target_archE1100ELNS1_3gpuE3ELNS1_3repE0EEES8_NS1_28merge_sort_block_sort_configILj256ELj4ELNS0_20block_sort_algorithmE0EEENS0_14default_configENS1_37merge_sort_block_sort_config_selectorIbNS0_10empty_typeEEENS1_38merge_sort_block_merge_config_selectorIbSE_EEEEvv,"axG",@progbits,_ZN7rocprim17ROCPRIM_400000_NS6detail44device_merge_sort_compile_time_verifier_archINS1_11comp_targetILNS1_3genE9ELNS1_11target_archE1100ELNS1_3gpuE3ELNS1_3repE0EEES8_NS1_28merge_sort_block_sort_configILj256ELj4ELNS0_20block_sort_algorithmE0EEENS0_14default_configENS1_37merge_sort_block_sort_config_selectorIbNS0_10empty_typeEEENS1_38merge_sort_block_merge_config_selectorIbSE_EEEEvv,comdat
	.protected	_ZN7rocprim17ROCPRIM_400000_NS6detail44device_merge_sort_compile_time_verifier_archINS1_11comp_targetILNS1_3genE9ELNS1_11target_archE1100ELNS1_3gpuE3ELNS1_3repE0EEES8_NS1_28merge_sort_block_sort_configILj256ELj4ELNS0_20block_sort_algorithmE0EEENS0_14default_configENS1_37merge_sort_block_sort_config_selectorIbNS0_10empty_typeEEENS1_38merge_sort_block_merge_config_selectorIbSE_EEEEvv ; -- Begin function _ZN7rocprim17ROCPRIM_400000_NS6detail44device_merge_sort_compile_time_verifier_archINS1_11comp_targetILNS1_3genE9ELNS1_11target_archE1100ELNS1_3gpuE3ELNS1_3repE0EEES8_NS1_28merge_sort_block_sort_configILj256ELj4ELNS0_20block_sort_algorithmE0EEENS0_14default_configENS1_37merge_sort_block_sort_config_selectorIbNS0_10empty_typeEEENS1_38merge_sort_block_merge_config_selectorIbSE_EEEEvv
	.globl	_ZN7rocprim17ROCPRIM_400000_NS6detail44device_merge_sort_compile_time_verifier_archINS1_11comp_targetILNS1_3genE9ELNS1_11target_archE1100ELNS1_3gpuE3ELNS1_3repE0EEES8_NS1_28merge_sort_block_sort_configILj256ELj4ELNS0_20block_sort_algorithmE0EEENS0_14default_configENS1_37merge_sort_block_sort_config_selectorIbNS0_10empty_typeEEENS1_38merge_sort_block_merge_config_selectorIbSE_EEEEvv
	.p2align	8
	.type	_ZN7rocprim17ROCPRIM_400000_NS6detail44device_merge_sort_compile_time_verifier_archINS1_11comp_targetILNS1_3genE9ELNS1_11target_archE1100ELNS1_3gpuE3ELNS1_3repE0EEES8_NS1_28merge_sort_block_sort_configILj256ELj4ELNS0_20block_sort_algorithmE0EEENS0_14default_configENS1_37merge_sort_block_sort_config_selectorIbNS0_10empty_typeEEENS1_38merge_sort_block_merge_config_selectorIbSE_EEEEvv,@function
_ZN7rocprim17ROCPRIM_400000_NS6detail44device_merge_sort_compile_time_verifier_archINS1_11comp_targetILNS1_3genE9ELNS1_11target_archE1100ELNS1_3gpuE3ELNS1_3repE0EEES8_NS1_28merge_sort_block_sort_configILj256ELj4ELNS0_20block_sort_algorithmE0EEENS0_14default_configENS1_37merge_sort_block_sort_config_selectorIbNS0_10empty_typeEEENS1_38merge_sort_block_merge_config_selectorIbSE_EEEEvv: ; @_ZN7rocprim17ROCPRIM_400000_NS6detail44device_merge_sort_compile_time_verifier_archINS1_11comp_targetILNS1_3genE9ELNS1_11target_archE1100ELNS1_3gpuE3ELNS1_3repE0EEES8_NS1_28merge_sort_block_sort_configILj256ELj4ELNS0_20block_sort_algorithmE0EEENS0_14default_configENS1_37merge_sort_block_sort_config_selectorIbNS0_10empty_typeEEENS1_38merge_sort_block_merge_config_selectorIbSE_EEEEvv
; %bb.0:
	s_endpgm
	.section	.rodata,"a",@progbits
	.p2align	6, 0x0
	.amdhsa_kernel _ZN7rocprim17ROCPRIM_400000_NS6detail44device_merge_sort_compile_time_verifier_archINS1_11comp_targetILNS1_3genE9ELNS1_11target_archE1100ELNS1_3gpuE3ELNS1_3repE0EEES8_NS1_28merge_sort_block_sort_configILj256ELj4ELNS0_20block_sort_algorithmE0EEENS0_14default_configENS1_37merge_sort_block_sort_config_selectorIbNS0_10empty_typeEEENS1_38merge_sort_block_merge_config_selectorIbSE_EEEEvv
		.amdhsa_group_segment_fixed_size 0
		.amdhsa_private_segment_fixed_size 0
		.amdhsa_kernarg_size 0
		.amdhsa_user_sgpr_count 0
		.amdhsa_user_sgpr_dispatch_ptr 0
		.amdhsa_user_sgpr_queue_ptr 0
		.amdhsa_user_sgpr_kernarg_segment_ptr 0
		.amdhsa_user_sgpr_dispatch_id 0
		.amdhsa_user_sgpr_kernarg_preload_length 0
		.amdhsa_user_sgpr_kernarg_preload_offset 0
		.amdhsa_user_sgpr_private_segment_size 0
		.amdhsa_wavefront_size32 1
		.amdhsa_uses_dynamic_stack 0
		.amdhsa_enable_private_segment 0
		.amdhsa_system_sgpr_workgroup_id_x 1
		.amdhsa_system_sgpr_workgroup_id_y 0
		.amdhsa_system_sgpr_workgroup_id_z 0
		.amdhsa_system_sgpr_workgroup_info 0
		.amdhsa_system_vgpr_workitem_id 0
		.amdhsa_next_free_vgpr 1
		.amdhsa_next_free_sgpr 1
		.amdhsa_named_barrier_count 0
		.amdhsa_reserve_vcc 0
		.amdhsa_float_round_mode_32 0
		.amdhsa_float_round_mode_16_64 0
		.amdhsa_float_denorm_mode_32 3
		.amdhsa_float_denorm_mode_16_64 3
		.amdhsa_fp16_overflow 0
		.amdhsa_memory_ordered 1
		.amdhsa_forward_progress 1
		.amdhsa_inst_pref_size 1
		.amdhsa_round_robin_scheduling 0
		.amdhsa_exception_fp_ieee_invalid_op 0
		.amdhsa_exception_fp_denorm_src 0
		.amdhsa_exception_fp_ieee_div_zero 0
		.amdhsa_exception_fp_ieee_overflow 0
		.amdhsa_exception_fp_ieee_underflow 0
		.amdhsa_exception_fp_ieee_inexact 0
		.amdhsa_exception_int_div_zero 0
	.end_amdhsa_kernel
	.section	.text._ZN7rocprim17ROCPRIM_400000_NS6detail44device_merge_sort_compile_time_verifier_archINS1_11comp_targetILNS1_3genE9ELNS1_11target_archE1100ELNS1_3gpuE3ELNS1_3repE0EEES8_NS1_28merge_sort_block_sort_configILj256ELj4ELNS0_20block_sort_algorithmE0EEENS0_14default_configENS1_37merge_sort_block_sort_config_selectorIbNS0_10empty_typeEEENS1_38merge_sort_block_merge_config_selectorIbSE_EEEEvv,"axG",@progbits,_ZN7rocprim17ROCPRIM_400000_NS6detail44device_merge_sort_compile_time_verifier_archINS1_11comp_targetILNS1_3genE9ELNS1_11target_archE1100ELNS1_3gpuE3ELNS1_3repE0EEES8_NS1_28merge_sort_block_sort_configILj256ELj4ELNS0_20block_sort_algorithmE0EEENS0_14default_configENS1_37merge_sort_block_sort_config_selectorIbNS0_10empty_typeEEENS1_38merge_sort_block_merge_config_selectorIbSE_EEEEvv,comdat
.Lfunc_end1657:
	.size	_ZN7rocprim17ROCPRIM_400000_NS6detail44device_merge_sort_compile_time_verifier_archINS1_11comp_targetILNS1_3genE9ELNS1_11target_archE1100ELNS1_3gpuE3ELNS1_3repE0EEES8_NS1_28merge_sort_block_sort_configILj256ELj4ELNS0_20block_sort_algorithmE0EEENS0_14default_configENS1_37merge_sort_block_sort_config_selectorIbNS0_10empty_typeEEENS1_38merge_sort_block_merge_config_selectorIbSE_EEEEvv, .Lfunc_end1657-_ZN7rocprim17ROCPRIM_400000_NS6detail44device_merge_sort_compile_time_verifier_archINS1_11comp_targetILNS1_3genE9ELNS1_11target_archE1100ELNS1_3gpuE3ELNS1_3repE0EEES8_NS1_28merge_sort_block_sort_configILj256ELj4ELNS0_20block_sort_algorithmE0EEENS0_14default_configENS1_37merge_sort_block_sort_config_selectorIbNS0_10empty_typeEEENS1_38merge_sort_block_merge_config_selectorIbSE_EEEEvv
                                        ; -- End function
	.set _ZN7rocprim17ROCPRIM_400000_NS6detail44device_merge_sort_compile_time_verifier_archINS1_11comp_targetILNS1_3genE9ELNS1_11target_archE1100ELNS1_3gpuE3ELNS1_3repE0EEES8_NS1_28merge_sort_block_sort_configILj256ELj4ELNS0_20block_sort_algorithmE0EEENS0_14default_configENS1_37merge_sort_block_sort_config_selectorIbNS0_10empty_typeEEENS1_38merge_sort_block_merge_config_selectorIbSE_EEEEvv.num_vgpr, 0
	.set _ZN7rocprim17ROCPRIM_400000_NS6detail44device_merge_sort_compile_time_verifier_archINS1_11comp_targetILNS1_3genE9ELNS1_11target_archE1100ELNS1_3gpuE3ELNS1_3repE0EEES8_NS1_28merge_sort_block_sort_configILj256ELj4ELNS0_20block_sort_algorithmE0EEENS0_14default_configENS1_37merge_sort_block_sort_config_selectorIbNS0_10empty_typeEEENS1_38merge_sort_block_merge_config_selectorIbSE_EEEEvv.num_agpr, 0
	.set _ZN7rocprim17ROCPRIM_400000_NS6detail44device_merge_sort_compile_time_verifier_archINS1_11comp_targetILNS1_3genE9ELNS1_11target_archE1100ELNS1_3gpuE3ELNS1_3repE0EEES8_NS1_28merge_sort_block_sort_configILj256ELj4ELNS0_20block_sort_algorithmE0EEENS0_14default_configENS1_37merge_sort_block_sort_config_selectorIbNS0_10empty_typeEEENS1_38merge_sort_block_merge_config_selectorIbSE_EEEEvv.numbered_sgpr, 0
	.set _ZN7rocprim17ROCPRIM_400000_NS6detail44device_merge_sort_compile_time_verifier_archINS1_11comp_targetILNS1_3genE9ELNS1_11target_archE1100ELNS1_3gpuE3ELNS1_3repE0EEES8_NS1_28merge_sort_block_sort_configILj256ELj4ELNS0_20block_sort_algorithmE0EEENS0_14default_configENS1_37merge_sort_block_sort_config_selectorIbNS0_10empty_typeEEENS1_38merge_sort_block_merge_config_selectorIbSE_EEEEvv.num_named_barrier, 0
	.set _ZN7rocprim17ROCPRIM_400000_NS6detail44device_merge_sort_compile_time_verifier_archINS1_11comp_targetILNS1_3genE9ELNS1_11target_archE1100ELNS1_3gpuE3ELNS1_3repE0EEES8_NS1_28merge_sort_block_sort_configILj256ELj4ELNS0_20block_sort_algorithmE0EEENS0_14default_configENS1_37merge_sort_block_sort_config_selectorIbNS0_10empty_typeEEENS1_38merge_sort_block_merge_config_selectorIbSE_EEEEvv.private_seg_size, 0
	.set _ZN7rocprim17ROCPRIM_400000_NS6detail44device_merge_sort_compile_time_verifier_archINS1_11comp_targetILNS1_3genE9ELNS1_11target_archE1100ELNS1_3gpuE3ELNS1_3repE0EEES8_NS1_28merge_sort_block_sort_configILj256ELj4ELNS0_20block_sort_algorithmE0EEENS0_14default_configENS1_37merge_sort_block_sort_config_selectorIbNS0_10empty_typeEEENS1_38merge_sort_block_merge_config_selectorIbSE_EEEEvv.uses_vcc, 0
	.set _ZN7rocprim17ROCPRIM_400000_NS6detail44device_merge_sort_compile_time_verifier_archINS1_11comp_targetILNS1_3genE9ELNS1_11target_archE1100ELNS1_3gpuE3ELNS1_3repE0EEES8_NS1_28merge_sort_block_sort_configILj256ELj4ELNS0_20block_sort_algorithmE0EEENS0_14default_configENS1_37merge_sort_block_sort_config_selectorIbNS0_10empty_typeEEENS1_38merge_sort_block_merge_config_selectorIbSE_EEEEvv.uses_flat_scratch, 0
	.set _ZN7rocprim17ROCPRIM_400000_NS6detail44device_merge_sort_compile_time_verifier_archINS1_11comp_targetILNS1_3genE9ELNS1_11target_archE1100ELNS1_3gpuE3ELNS1_3repE0EEES8_NS1_28merge_sort_block_sort_configILj256ELj4ELNS0_20block_sort_algorithmE0EEENS0_14default_configENS1_37merge_sort_block_sort_config_selectorIbNS0_10empty_typeEEENS1_38merge_sort_block_merge_config_selectorIbSE_EEEEvv.has_dyn_sized_stack, 0
	.set _ZN7rocprim17ROCPRIM_400000_NS6detail44device_merge_sort_compile_time_verifier_archINS1_11comp_targetILNS1_3genE9ELNS1_11target_archE1100ELNS1_3gpuE3ELNS1_3repE0EEES8_NS1_28merge_sort_block_sort_configILj256ELj4ELNS0_20block_sort_algorithmE0EEENS0_14default_configENS1_37merge_sort_block_sort_config_selectorIbNS0_10empty_typeEEENS1_38merge_sort_block_merge_config_selectorIbSE_EEEEvv.has_recursion, 0
	.set _ZN7rocprim17ROCPRIM_400000_NS6detail44device_merge_sort_compile_time_verifier_archINS1_11comp_targetILNS1_3genE9ELNS1_11target_archE1100ELNS1_3gpuE3ELNS1_3repE0EEES8_NS1_28merge_sort_block_sort_configILj256ELj4ELNS0_20block_sort_algorithmE0EEENS0_14default_configENS1_37merge_sort_block_sort_config_selectorIbNS0_10empty_typeEEENS1_38merge_sort_block_merge_config_selectorIbSE_EEEEvv.has_indirect_call, 0
	.section	.AMDGPU.csdata,"",@progbits
; Kernel info:
; codeLenInByte = 4
; TotalNumSgprs: 0
; NumVgprs: 0
; ScratchSize: 0
; MemoryBound: 0
; FloatMode: 240
; IeeeMode: 1
; LDSByteSize: 0 bytes/workgroup (compile time only)
; SGPRBlocks: 0
; VGPRBlocks: 0
; NumSGPRsForWavesPerEU: 1
; NumVGPRsForWavesPerEU: 1
; NamedBarCnt: 0
; Occupancy: 16
; WaveLimiterHint : 0
; COMPUTE_PGM_RSRC2:SCRATCH_EN: 0
; COMPUTE_PGM_RSRC2:USER_SGPR: 0
; COMPUTE_PGM_RSRC2:TRAP_HANDLER: 0
; COMPUTE_PGM_RSRC2:TGID_X_EN: 1
; COMPUTE_PGM_RSRC2:TGID_Y_EN: 0
; COMPUTE_PGM_RSRC2:TGID_Z_EN: 0
; COMPUTE_PGM_RSRC2:TIDIG_COMP_CNT: 0
	.section	.text._ZN7rocprim17ROCPRIM_400000_NS6detail44device_merge_sort_compile_time_verifier_archINS1_11comp_targetILNS1_3genE8ELNS1_11target_archE1030ELNS1_3gpuE2ELNS1_3repE0EEES8_NS1_28merge_sort_block_sort_configILj256ELj4ELNS0_20block_sort_algorithmE0EEENS0_14default_configENS1_37merge_sort_block_sort_config_selectorIbNS0_10empty_typeEEENS1_38merge_sort_block_merge_config_selectorIbSE_EEEEvv,"axG",@progbits,_ZN7rocprim17ROCPRIM_400000_NS6detail44device_merge_sort_compile_time_verifier_archINS1_11comp_targetILNS1_3genE8ELNS1_11target_archE1030ELNS1_3gpuE2ELNS1_3repE0EEES8_NS1_28merge_sort_block_sort_configILj256ELj4ELNS0_20block_sort_algorithmE0EEENS0_14default_configENS1_37merge_sort_block_sort_config_selectorIbNS0_10empty_typeEEENS1_38merge_sort_block_merge_config_selectorIbSE_EEEEvv,comdat
	.protected	_ZN7rocprim17ROCPRIM_400000_NS6detail44device_merge_sort_compile_time_verifier_archINS1_11comp_targetILNS1_3genE8ELNS1_11target_archE1030ELNS1_3gpuE2ELNS1_3repE0EEES8_NS1_28merge_sort_block_sort_configILj256ELj4ELNS0_20block_sort_algorithmE0EEENS0_14default_configENS1_37merge_sort_block_sort_config_selectorIbNS0_10empty_typeEEENS1_38merge_sort_block_merge_config_selectorIbSE_EEEEvv ; -- Begin function _ZN7rocprim17ROCPRIM_400000_NS6detail44device_merge_sort_compile_time_verifier_archINS1_11comp_targetILNS1_3genE8ELNS1_11target_archE1030ELNS1_3gpuE2ELNS1_3repE0EEES8_NS1_28merge_sort_block_sort_configILj256ELj4ELNS0_20block_sort_algorithmE0EEENS0_14default_configENS1_37merge_sort_block_sort_config_selectorIbNS0_10empty_typeEEENS1_38merge_sort_block_merge_config_selectorIbSE_EEEEvv
	.globl	_ZN7rocprim17ROCPRIM_400000_NS6detail44device_merge_sort_compile_time_verifier_archINS1_11comp_targetILNS1_3genE8ELNS1_11target_archE1030ELNS1_3gpuE2ELNS1_3repE0EEES8_NS1_28merge_sort_block_sort_configILj256ELj4ELNS0_20block_sort_algorithmE0EEENS0_14default_configENS1_37merge_sort_block_sort_config_selectorIbNS0_10empty_typeEEENS1_38merge_sort_block_merge_config_selectorIbSE_EEEEvv
	.p2align	8
	.type	_ZN7rocprim17ROCPRIM_400000_NS6detail44device_merge_sort_compile_time_verifier_archINS1_11comp_targetILNS1_3genE8ELNS1_11target_archE1030ELNS1_3gpuE2ELNS1_3repE0EEES8_NS1_28merge_sort_block_sort_configILj256ELj4ELNS0_20block_sort_algorithmE0EEENS0_14default_configENS1_37merge_sort_block_sort_config_selectorIbNS0_10empty_typeEEENS1_38merge_sort_block_merge_config_selectorIbSE_EEEEvv,@function
_ZN7rocprim17ROCPRIM_400000_NS6detail44device_merge_sort_compile_time_verifier_archINS1_11comp_targetILNS1_3genE8ELNS1_11target_archE1030ELNS1_3gpuE2ELNS1_3repE0EEES8_NS1_28merge_sort_block_sort_configILj256ELj4ELNS0_20block_sort_algorithmE0EEENS0_14default_configENS1_37merge_sort_block_sort_config_selectorIbNS0_10empty_typeEEENS1_38merge_sort_block_merge_config_selectorIbSE_EEEEvv: ; @_ZN7rocprim17ROCPRIM_400000_NS6detail44device_merge_sort_compile_time_verifier_archINS1_11comp_targetILNS1_3genE8ELNS1_11target_archE1030ELNS1_3gpuE2ELNS1_3repE0EEES8_NS1_28merge_sort_block_sort_configILj256ELj4ELNS0_20block_sort_algorithmE0EEENS0_14default_configENS1_37merge_sort_block_sort_config_selectorIbNS0_10empty_typeEEENS1_38merge_sort_block_merge_config_selectorIbSE_EEEEvv
; %bb.0:
	s_endpgm
	.section	.rodata,"a",@progbits
	.p2align	6, 0x0
	.amdhsa_kernel _ZN7rocprim17ROCPRIM_400000_NS6detail44device_merge_sort_compile_time_verifier_archINS1_11comp_targetILNS1_3genE8ELNS1_11target_archE1030ELNS1_3gpuE2ELNS1_3repE0EEES8_NS1_28merge_sort_block_sort_configILj256ELj4ELNS0_20block_sort_algorithmE0EEENS0_14default_configENS1_37merge_sort_block_sort_config_selectorIbNS0_10empty_typeEEENS1_38merge_sort_block_merge_config_selectorIbSE_EEEEvv
		.amdhsa_group_segment_fixed_size 0
		.amdhsa_private_segment_fixed_size 0
		.amdhsa_kernarg_size 0
		.amdhsa_user_sgpr_count 0
		.amdhsa_user_sgpr_dispatch_ptr 0
		.amdhsa_user_sgpr_queue_ptr 0
		.amdhsa_user_sgpr_kernarg_segment_ptr 0
		.amdhsa_user_sgpr_dispatch_id 0
		.amdhsa_user_sgpr_kernarg_preload_length 0
		.amdhsa_user_sgpr_kernarg_preload_offset 0
		.amdhsa_user_sgpr_private_segment_size 0
		.amdhsa_wavefront_size32 1
		.amdhsa_uses_dynamic_stack 0
		.amdhsa_enable_private_segment 0
		.amdhsa_system_sgpr_workgroup_id_x 1
		.amdhsa_system_sgpr_workgroup_id_y 0
		.amdhsa_system_sgpr_workgroup_id_z 0
		.amdhsa_system_sgpr_workgroup_info 0
		.amdhsa_system_vgpr_workitem_id 0
		.amdhsa_next_free_vgpr 1
		.amdhsa_next_free_sgpr 1
		.amdhsa_named_barrier_count 0
		.amdhsa_reserve_vcc 0
		.amdhsa_float_round_mode_32 0
		.amdhsa_float_round_mode_16_64 0
		.amdhsa_float_denorm_mode_32 3
		.amdhsa_float_denorm_mode_16_64 3
		.amdhsa_fp16_overflow 0
		.amdhsa_memory_ordered 1
		.amdhsa_forward_progress 1
		.amdhsa_inst_pref_size 1
		.amdhsa_round_robin_scheduling 0
		.amdhsa_exception_fp_ieee_invalid_op 0
		.amdhsa_exception_fp_denorm_src 0
		.amdhsa_exception_fp_ieee_div_zero 0
		.amdhsa_exception_fp_ieee_overflow 0
		.amdhsa_exception_fp_ieee_underflow 0
		.amdhsa_exception_fp_ieee_inexact 0
		.amdhsa_exception_int_div_zero 0
	.end_amdhsa_kernel
	.section	.text._ZN7rocprim17ROCPRIM_400000_NS6detail44device_merge_sort_compile_time_verifier_archINS1_11comp_targetILNS1_3genE8ELNS1_11target_archE1030ELNS1_3gpuE2ELNS1_3repE0EEES8_NS1_28merge_sort_block_sort_configILj256ELj4ELNS0_20block_sort_algorithmE0EEENS0_14default_configENS1_37merge_sort_block_sort_config_selectorIbNS0_10empty_typeEEENS1_38merge_sort_block_merge_config_selectorIbSE_EEEEvv,"axG",@progbits,_ZN7rocprim17ROCPRIM_400000_NS6detail44device_merge_sort_compile_time_verifier_archINS1_11comp_targetILNS1_3genE8ELNS1_11target_archE1030ELNS1_3gpuE2ELNS1_3repE0EEES8_NS1_28merge_sort_block_sort_configILj256ELj4ELNS0_20block_sort_algorithmE0EEENS0_14default_configENS1_37merge_sort_block_sort_config_selectorIbNS0_10empty_typeEEENS1_38merge_sort_block_merge_config_selectorIbSE_EEEEvv,comdat
.Lfunc_end1658:
	.size	_ZN7rocprim17ROCPRIM_400000_NS6detail44device_merge_sort_compile_time_verifier_archINS1_11comp_targetILNS1_3genE8ELNS1_11target_archE1030ELNS1_3gpuE2ELNS1_3repE0EEES8_NS1_28merge_sort_block_sort_configILj256ELj4ELNS0_20block_sort_algorithmE0EEENS0_14default_configENS1_37merge_sort_block_sort_config_selectorIbNS0_10empty_typeEEENS1_38merge_sort_block_merge_config_selectorIbSE_EEEEvv, .Lfunc_end1658-_ZN7rocprim17ROCPRIM_400000_NS6detail44device_merge_sort_compile_time_verifier_archINS1_11comp_targetILNS1_3genE8ELNS1_11target_archE1030ELNS1_3gpuE2ELNS1_3repE0EEES8_NS1_28merge_sort_block_sort_configILj256ELj4ELNS0_20block_sort_algorithmE0EEENS0_14default_configENS1_37merge_sort_block_sort_config_selectorIbNS0_10empty_typeEEENS1_38merge_sort_block_merge_config_selectorIbSE_EEEEvv
                                        ; -- End function
	.set _ZN7rocprim17ROCPRIM_400000_NS6detail44device_merge_sort_compile_time_verifier_archINS1_11comp_targetILNS1_3genE8ELNS1_11target_archE1030ELNS1_3gpuE2ELNS1_3repE0EEES8_NS1_28merge_sort_block_sort_configILj256ELj4ELNS0_20block_sort_algorithmE0EEENS0_14default_configENS1_37merge_sort_block_sort_config_selectorIbNS0_10empty_typeEEENS1_38merge_sort_block_merge_config_selectorIbSE_EEEEvv.num_vgpr, 0
	.set _ZN7rocprim17ROCPRIM_400000_NS6detail44device_merge_sort_compile_time_verifier_archINS1_11comp_targetILNS1_3genE8ELNS1_11target_archE1030ELNS1_3gpuE2ELNS1_3repE0EEES8_NS1_28merge_sort_block_sort_configILj256ELj4ELNS0_20block_sort_algorithmE0EEENS0_14default_configENS1_37merge_sort_block_sort_config_selectorIbNS0_10empty_typeEEENS1_38merge_sort_block_merge_config_selectorIbSE_EEEEvv.num_agpr, 0
	.set _ZN7rocprim17ROCPRIM_400000_NS6detail44device_merge_sort_compile_time_verifier_archINS1_11comp_targetILNS1_3genE8ELNS1_11target_archE1030ELNS1_3gpuE2ELNS1_3repE0EEES8_NS1_28merge_sort_block_sort_configILj256ELj4ELNS0_20block_sort_algorithmE0EEENS0_14default_configENS1_37merge_sort_block_sort_config_selectorIbNS0_10empty_typeEEENS1_38merge_sort_block_merge_config_selectorIbSE_EEEEvv.numbered_sgpr, 0
	.set _ZN7rocprim17ROCPRIM_400000_NS6detail44device_merge_sort_compile_time_verifier_archINS1_11comp_targetILNS1_3genE8ELNS1_11target_archE1030ELNS1_3gpuE2ELNS1_3repE0EEES8_NS1_28merge_sort_block_sort_configILj256ELj4ELNS0_20block_sort_algorithmE0EEENS0_14default_configENS1_37merge_sort_block_sort_config_selectorIbNS0_10empty_typeEEENS1_38merge_sort_block_merge_config_selectorIbSE_EEEEvv.num_named_barrier, 0
	.set _ZN7rocprim17ROCPRIM_400000_NS6detail44device_merge_sort_compile_time_verifier_archINS1_11comp_targetILNS1_3genE8ELNS1_11target_archE1030ELNS1_3gpuE2ELNS1_3repE0EEES8_NS1_28merge_sort_block_sort_configILj256ELj4ELNS0_20block_sort_algorithmE0EEENS0_14default_configENS1_37merge_sort_block_sort_config_selectorIbNS0_10empty_typeEEENS1_38merge_sort_block_merge_config_selectorIbSE_EEEEvv.private_seg_size, 0
	.set _ZN7rocprim17ROCPRIM_400000_NS6detail44device_merge_sort_compile_time_verifier_archINS1_11comp_targetILNS1_3genE8ELNS1_11target_archE1030ELNS1_3gpuE2ELNS1_3repE0EEES8_NS1_28merge_sort_block_sort_configILj256ELj4ELNS0_20block_sort_algorithmE0EEENS0_14default_configENS1_37merge_sort_block_sort_config_selectorIbNS0_10empty_typeEEENS1_38merge_sort_block_merge_config_selectorIbSE_EEEEvv.uses_vcc, 0
	.set _ZN7rocprim17ROCPRIM_400000_NS6detail44device_merge_sort_compile_time_verifier_archINS1_11comp_targetILNS1_3genE8ELNS1_11target_archE1030ELNS1_3gpuE2ELNS1_3repE0EEES8_NS1_28merge_sort_block_sort_configILj256ELj4ELNS0_20block_sort_algorithmE0EEENS0_14default_configENS1_37merge_sort_block_sort_config_selectorIbNS0_10empty_typeEEENS1_38merge_sort_block_merge_config_selectorIbSE_EEEEvv.uses_flat_scratch, 0
	.set _ZN7rocprim17ROCPRIM_400000_NS6detail44device_merge_sort_compile_time_verifier_archINS1_11comp_targetILNS1_3genE8ELNS1_11target_archE1030ELNS1_3gpuE2ELNS1_3repE0EEES8_NS1_28merge_sort_block_sort_configILj256ELj4ELNS0_20block_sort_algorithmE0EEENS0_14default_configENS1_37merge_sort_block_sort_config_selectorIbNS0_10empty_typeEEENS1_38merge_sort_block_merge_config_selectorIbSE_EEEEvv.has_dyn_sized_stack, 0
	.set _ZN7rocprim17ROCPRIM_400000_NS6detail44device_merge_sort_compile_time_verifier_archINS1_11comp_targetILNS1_3genE8ELNS1_11target_archE1030ELNS1_3gpuE2ELNS1_3repE0EEES8_NS1_28merge_sort_block_sort_configILj256ELj4ELNS0_20block_sort_algorithmE0EEENS0_14default_configENS1_37merge_sort_block_sort_config_selectorIbNS0_10empty_typeEEENS1_38merge_sort_block_merge_config_selectorIbSE_EEEEvv.has_recursion, 0
	.set _ZN7rocprim17ROCPRIM_400000_NS6detail44device_merge_sort_compile_time_verifier_archINS1_11comp_targetILNS1_3genE8ELNS1_11target_archE1030ELNS1_3gpuE2ELNS1_3repE0EEES8_NS1_28merge_sort_block_sort_configILj256ELj4ELNS0_20block_sort_algorithmE0EEENS0_14default_configENS1_37merge_sort_block_sort_config_selectorIbNS0_10empty_typeEEENS1_38merge_sort_block_merge_config_selectorIbSE_EEEEvv.has_indirect_call, 0
	.section	.AMDGPU.csdata,"",@progbits
; Kernel info:
; codeLenInByte = 4
; TotalNumSgprs: 0
; NumVgprs: 0
; ScratchSize: 0
; MemoryBound: 0
; FloatMode: 240
; IeeeMode: 1
; LDSByteSize: 0 bytes/workgroup (compile time only)
; SGPRBlocks: 0
; VGPRBlocks: 0
; NumSGPRsForWavesPerEU: 1
; NumVGPRsForWavesPerEU: 1
; NamedBarCnt: 0
; Occupancy: 16
; WaveLimiterHint : 0
; COMPUTE_PGM_RSRC2:SCRATCH_EN: 0
; COMPUTE_PGM_RSRC2:USER_SGPR: 0
; COMPUTE_PGM_RSRC2:TRAP_HANDLER: 0
; COMPUTE_PGM_RSRC2:TGID_X_EN: 1
; COMPUTE_PGM_RSRC2:TGID_Y_EN: 0
; COMPUTE_PGM_RSRC2:TGID_Z_EN: 0
; COMPUTE_PGM_RSRC2:TIDIG_COMP_CNT: 0
	.section	.text._ZN7rocprim17ROCPRIM_400000_NS6detail17trampoline_kernelINS0_14default_configENS1_38merge_sort_block_merge_config_selectorIbNS0_10empty_typeEEEZZNS1_27merge_sort_block_merge_implIS3_PbPS5_jNS1_19radix_merge_compareILb1ELb0EbNS0_19identity_decomposerEEEEE10hipError_tT0_T1_T2_jT3_P12ihipStream_tbPNSt15iterator_traitsISE_E10value_typeEPNSK_ISF_E10value_typeEPSG_NS1_7vsmem_tEENKUlT_SE_SF_SG_E_clIS8_S8_S9_S9_EESD_ST_SE_SF_SG_EUlST_E_NS1_11comp_targetILNS1_3genE0ELNS1_11target_archE4294967295ELNS1_3gpuE0ELNS1_3repE0EEENS1_48merge_mergepath_partition_config_static_selectorELNS0_4arch9wavefront6targetE0EEEvSF_,"axG",@progbits,_ZN7rocprim17ROCPRIM_400000_NS6detail17trampoline_kernelINS0_14default_configENS1_38merge_sort_block_merge_config_selectorIbNS0_10empty_typeEEEZZNS1_27merge_sort_block_merge_implIS3_PbPS5_jNS1_19radix_merge_compareILb1ELb0EbNS0_19identity_decomposerEEEEE10hipError_tT0_T1_T2_jT3_P12ihipStream_tbPNSt15iterator_traitsISE_E10value_typeEPNSK_ISF_E10value_typeEPSG_NS1_7vsmem_tEENKUlT_SE_SF_SG_E_clIS8_S8_S9_S9_EESD_ST_SE_SF_SG_EUlST_E_NS1_11comp_targetILNS1_3genE0ELNS1_11target_archE4294967295ELNS1_3gpuE0ELNS1_3repE0EEENS1_48merge_mergepath_partition_config_static_selectorELNS0_4arch9wavefront6targetE0EEEvSF_,comdat
	.protected	_ZN7rocprim17ROCPRIM_400000_NS6detail17trampoline_kernelINS0_14default_configENS1_38merge_sort_block_merge_config_selectorIbNS0_10empty_typeEEEZZNS1_27merge_sort_block_merge_implIS3_PbPS5_jNS1_19radix_merge_compareILb1ELb0EbNS0_19identity_decomposerEEEEE10hipError_tT0_T1_T2_jT3_P12ihipStream_tbPNSt15iterator_traitsISE_E10value_typeEPNSK_ISF_E10value_typeEPSG_NS1_7vsmem_tEENKUlT_SE_SF_SG_E_clIS8_S8_S9_S9_EESD_ST_SE_SF_SG_EUlST_E_NS1_11comp_targetILNS1_3genE0ELNS1_11target_archE4294967295ELNS1_3gpuE0ELNS1_3repE0EEENS1_48merge_mergepath_partition_config_static_selectorELNS0_4arch9wavefront6targetE0EEEvSF_ ; -- Begin function _ZN7rocprim17ROCPRIM_400000_NS6detail17trampoline_kernelINS0_14default_configENS1_38merge_sort_block_merge_config_selectorIbNS0_10empty_typeEEEZZNS1_27merge_sort_block_merge_implIS3_PbPS5_jNS1_19radix_merge_compareILb1ELb0EbNS0_19identity_decomposerEEEEE10hipError_tT0_T1_T2_jT3_P12ihipStream_tbPNSt15iterator_traitsISE_E10value_typeEPNSK_ISF_E10value_typeEPSG_NS1_7vsmem_tEENKUlT_SE_SF_SG_E_clIS8_S8_S9_S9_EESD_ST_SE_SF_SG_EUlST_E_NS1_11comp_targetILNS1_3genE0ELNS1_11target_archE4294967295ELNS1_3gpuE0ELNS1_3repE0EEENS1_48merge_mergepath_partition_config_static_selectorELNS0_4arch9wavefront6targetE0EEEvSF_
	.globl	_ZN7rocprim17ROCPRIM_400000_NS6detail17trampoline_kernelINS0_14default_configENS1_38merge_sort_block_merge_config_selectorIbNS0_10empty_typeEEEZZNS1_27merge_sort_block_merge_implIS3_PbPS5_jNS1_19radix_merge_compareILb1ELb0EbNS0_19identity_decomposerEEEEE10hipError_tT0_T1_T2_jT3_P12ihipStream_tbPNSt15iterator_traitsISE_E10value_typeEPNSK_ISF_E10value_typeEPSG_NS1_7vsmem_tEENKUlT_SE_SF_SG_E_clIS8_S8_S9_S9_EESD_ST_SE_SF_SG_EUlST_E_NS1_11comp_targetILNS1_3genE0ELNS1_11target_archE4294967295ELNS1_3gpuE0ELNS1_3repE0EEENS1_48merge_mergepath_partition_config_static_selectorELNS0_4arch9wavefront6targetE0EEEvSF_
	.p2align	8
	.type	_ZN7rocprim17ROCPRIM_400000_NS6detail17trampoline_kernelINS0_14default_configENS1_38merge_sort_block_merge_config_selectorIbNS0_10empty_typeEEEZZNS1_27merge_sort_block_merge_implIS3_PbPS5_jNS1_19radix_merge_compareILb1ELb0EbNS0_19identity_decomposerEEEEE10hipError_tT0_T1_T2_jT3_P12ihipStream_tbPNSt15iterator_traitsISE_E10value_typeEPNSK_ISF_E10value_typeEPSG_NS1_7vsmem_tEENKUlT_SE_SF_SG_E_clIS8_S8_S9_S9_EESD_ST_SE_SF_SG_EUlST_E_NS1_11comp_targetILNS1_3genE0ELNS1_11target_archE4294967295ELNS1_3gpuE0ELNS1_3repE0EEENS1_48merge_mergepath_partition_config_static_selectorELNS0_4arch9wavefront6targetE0EEEvSF_,@function
_ZN7rocprim17ROCPRIM_400000_NS6detail17trampoline_kernelINS0_14default_configENS1_38merge_sort_block_merge_config_selectorIbNS0_10empty_typeEEEZZNS1_27merge_sort_block_merge_implIS3_PbPS5_jNS1_19radix_merge_compareILb1ELb0EbNS0_19identity_decomposerEEEEE10hipError_tT0_T1_T2_jT3_P12ihipStream_tbPNSt15iterator_traitsISE_E10value_typeEPNSK_ISF_E10value_typeEPSG_NS1_7vsmem_tEENKUlT_SE_SF_SG_E_clIS8_S8_S9_S9_EESD_ST_SE_SF_SG_EUlST_E_NS1_11comp_targetILNS1_3genE0ELNS1_11target_archE4294967295ELNS1_3gpuE0ELNS1_3repE0EEENS1_48merge_mergepath_partition_config_static_selectorELNS0_4arch9wavefront6targetE0EEEvSF_: ; @_ZN7rocprim17ROCPRIM_400000_NS6detail17trampoline_kernelINS0_14default_configENS1_38merge_sort_block_merge_config_selectorIbNS0_10empty_typeEEEZZNS1_27merge_sort_block_merge_implIS3_PbPS5_jNS1_19radix_merge_compareILb1ELb0EbNS0_19identity_decomposerEEEEE10hipError_tT0_T1_T2_jT3_P12ihipStream_tbPNSt15iterator_traitsISE_E10value_typeEPNSK_ISF_E10value_typeEPSG_NS1_7vsmem_tEENKUlT_SE_SF_SG_E_clIS8_S8_S9_S9_EESD_ST_SE_SF_SG_EUlST_E_NS1_11comp_targetILNS1_3genE0ELNS1_11target_archE4294967295ELNS1_3gpuE0ELNS1_3repE0EEENS1_48merge_mergepath_partition_config_static_selectorELNS0_4arch9wavefront6targetE0EEEvSF_
; %bb.0:
	s_load_b32 s2, s[0:1], 0x0
	s_bfe_u32 s3, ttmp6, 0x4000c
	s_and_b32 s4, ttmp6, 15
	s_add_co_i32 s3, s3, 1
	s_getreg_b32 s5, hwreg(HW_REG_IB_STS2, 6, 4)
	s_mul_i32 s3, ttmp9, s3
	s_delay_alu instid0(SALU_CYCLE_1) | instskip(SKIP_2) | instid1(SALU_CYCLE_1)
	s_add_co_i32 s4, s4, s3
	s_cmp_eq_u32 s5, 0
	s_cselect_b32 s3, ttmp9, s4
	v_lshl_or_b32 v8, s3, 7, v0
	s_wait_kmcnt 0x0
	s_delay_alu instid0(VALU_DEP_1)
	v_cmp_gt_u32_e32 vcc_lo, s2, v8
	s_and_saveexec_b32 s2, vcc_lo
	s_cbranch_execz .LBB1659_6
; %bb.1:
	s_load_b64 s[2:3], s[0:1], 0x4
	s_wait_kmcnt 0x0
	s_lshr_b32 s4, s2, 9
	s_delay_alu instid0(SALU_CYCLE_1) | instskip(NEXT) | instid1(SALU_CYCLE_1)
	s_and_b32 s4, s4, 0x7ffffe
	s_sub_co_i32 s5, 0, s4
	s_add_co_i32 s4, s4, -1
	s_delay_alu instid0(SALU_CYCLE_1) | instskip(SKIP_2) | instid1(VALU_DEP_1)
	v_and_b32_e32 v1, s4, v8
	v_and_b32_e32 v0, s5, v8
	s_mov_b32 s4, exec_lo
	v_dual_lshlrev_b32 v1, 10, v1 :: v_dual_lshlrev_b32 v0, 10, v0
	s_delay_alu instid0(VALU_DEP_1) | instskip(SKIP_1) | instid1(VALU_DEP_2)
	v_add_min_u32_e64 v2, v0, s2, s3
	v_min_u32_e32 v0, s3, v0
	v_add_min_u32_e64 v3, v2, s2, s3
	s_load_b64 s[2:3], s[0:1], 0x20
	s_delay_alu instid0(VALU_DEP_1) | instskip(NEXT) | instid1(VALU_DEP_1)
	v_dual_sub_nc_u32 v4, v3, v0 :: v_dual_sub_nc_u32 v3, v3, v2
	v_min_u32_e32 v10, v4, v1
	v_sub_nc_u32_e32 v1, v2, v0
	s_delay_alu instid0(VALU_DEP_2) | instskip(NEXT) | instid1(VALU_DEP_2)
	v_sub_nc_u32_e64 v9, v10, v3 clamp
	v_min_u32_e32 v11, v10, v1
	s_delay_alu instid0(VALU_DEP_1)
	v_cmpx_lt_u32_e64 v9, v11
	s_cbranch_execz .LBB1659_5
; %bb.2:
	s_wait_xcnt 0x0
	s_load_b64 s[0:1], s[0:1], 0x10
	v_mov_b32_e32 v3, 0
	s_delay_alu instid0(VALU_DEP_1) | instskip(SKIP_1) | instid1(VALU_DEP_1)
	v_mov_b32_e32 v1, v3
	s_wait_kmcnt 0x0
	v_add_nc_u64_e32 v[4:5], s[0:1], v[0:1]
	v_add_nc_u64_e32 v[6:7], s[0:1], v[2:3]
	s_mov_b32 s0, 0
.LBB1659_3:                             ; =>This Inner Loop Header: Depth=1
	v_add_nc_u32_e32 v1, v11, v9
	s_delay_alu instid0(VALU_DEP_1) | instskip(NEXT) | instid1(VALU_DEP_1)
	v_dual_mov_b32 v13, v3 :: v_dual_lshrrev_b32 v2, 1, v1
	v_xad_u32 v12, v2, -1, v10
	v_add_nc_u64_e32 v[14:15], v[4:5], v[2:3]
	s_delay_alu instid0(VALU_DEP_2)
	v_add_nc_u64_e32 v[12:13], v[6:7], v[12:13]
	s_clause 0x1
	global_load_u8 v1, v[14:15], off
	global_load_u8 v16, v[12:13], off
	s_wait_xcnt 0x0
	v_add_nc_u32_e32 v12, 1, v2
	s_wait_loadcnt 0x0
	v_cmp_gt_u16_e32 vcc_lo, v16, v1
	s_delay_alu instid0(VALU_DEP_2) | instskip(NEXT) | instid1(VALU_DEP_1)
	v_dual_cndmask_b32 v11, v11, v2, vcc_lo :: v_dual_cndmask_b32 v9, v12, v9, vcc_lo
	v_cmp_ge_u32_e32 vcc_lo, v9, v11
	s_or_b32 s0, vcc_lo, s0
	s_delay_alu instid0(SALU_CYCLE_1)
	s_and_not1_b32 exec_lo, exec_lo, s0
	s_cbranch_execnz .LBB1659_3
; %bb.4:
	s_or_b32 exec_lo, exec_lo, s0
.LBB1659_5:
	s_delay_alu instid0(SALU_CYCLE_1)
	s_or_b32 exec_lo, exec_lo, s4
	v_add_nc_u32_e32 v0, v9, v0
	s_wait_kmcnt 0x0
	global_store_b32 v8, v0, s[2:3] scale_offset
.LBB1659_6:
	s_endpgm
	.section	.rodata,"a",@progbits
	.p2align	6, 0x0
	.amdhsa_kernel _ZN7rocprim17ROCPRIM_400000_NS6detail17trampoline_kernelINS0_14default_configENS1_38merge_sort_block_merge_config_selectorIbNS0_10empty_typeEEEZZNS1_27merge_sort_block_merge_implIS3_PbPS5_jNS1_19radix_merge_compareILb1ELb0EbNS0_19identity_decomposerEEEEE10hipError_tT0_T1_T2_jT3_P12ihipStream_tbPNSt15iterator_traitsISE_E10value_typeEPNSK_ISF_E10value_typeEPSG_NS1_7vsmem_tEENKUlT_SE_SF_SG_E_clIS8_S8_S9_S9_EESD_ST_SE_SF_SG_EUlST_E_NS1_11comp_targetILNS1_3genE0ELNS1_11target_archE4294967295ELNS1_3gpuE0ELNS1_3repE0EEENS1_48merge_mergepath_partition_config_static_selectorELNS0_4arch9wavefront6targetE0EEEvSF_
		.amdhsa_group_segment_fixed_size 0
		.amdhsa_private_segment_fixed_size 0
		.amdhsa_kernarg_size 40
		.amdhsa_user_sgpr_count 2
		.amdhsa_user_sgpr_dispatch_ptr 0
		.amdhsa_user_sgpr_queue_ptr 0
		.amdhsa_user_sgpr_kernarg_segment_ptr 1
		.amdhsa_user_sgpr_dispatch_id 0
		.amdhsa_user_sgpr_kernarg_preload_length 0
		.amdhsa_user_sgpr_kernarg_preload_offset 0
		.amdhsa_user_sgpr_private_segment_size 0
		.amdhsa_wavefront_size32 1
		.amdhsa_uses_dynamic_stack 0
		.amdhsa_enable_private_segment 0
		.amdhsa_system_sgpr_workgroup_id_x 1
		.amdhsa_system_sgpr_workgroup_id_y 0
		.amdhsa_system_sgpr_workgroup_id_z 0
		.amdhsa_system_sgpr_workgroup_info 0
		.amdhsa_system_vgpr_workitem_id 0
		.amdhsa_next_free_vgpr 17
		.amdhsa_next_free_sgpr 6
		.amdhsa_named_barrier_count 0
		.amdhsa_reserve_vcc 1
		.amdhsa_float_round_mode_32 0
		.amdhsa_float_round_mode_16_64 0
		.amdhsa_float_denorm_mode_32 3
		.amdhsa_float_denorm_mode_16_64 3
		.amdhsa_fp16_overflow 0
		.amdhsa_memory_ordered 1
		.amdhsa_forward_progress 1
		.amdhsa_inst_pref_size 4
		.amdhsa_round_robin_scheduling 0
		.amdhsa_exception_fp_ieee_invalid_op 0
		.amdhsa_exception_fp_denorm_src 0
		.amdhsa_exception_fp_ieee_div_zero 0
		.amdhsa_exception_fp_ieee_overflow 0
		.amdhsa_exception_fp_ieee_underflow 0
		.amdhsa_exception_fp_ieee_inexact 0
		.amdhsa_exception_int_div_zero 0
	.end_amdhsa_kernel
	.section	.text._ZN7rocprim17ROCPRIM_400000_NS6detail17trampoline_kernelINS0_14default_configENS1_38merge_sort_block_merge_config_selectorIbNS0_10empty_typeEEEZZNS1_27merge_sort_block_merge_implIS3_PbPS5_jNS1_19radix_merge_compareILb1ELb0EbNS0_19identity_decomposerEEEEE10hipError_tT0_T1_T2_jT3_P12ihipStream_tbPNSt15iterator_traitsISE_E10value_typeEPNSK_ISF_E10value_typeEPSG_NS1_7vsmem_tEENKUlT_SE_SF_SG_E_clIS8_S8_S9_S9_EESD_ST_SE_SF_SG_EUlST_E_NS1_11comp_targetILNS1_3genE0ELNS1_11target_archE4294967295ELNS1_3gpuE0ELNS1_3repE0EEENS1_48merge_mergepath_partition_config_static_selectorELNS0_4arch9wavefront6targetE0EEEvSF_,"axG",@progbits,_ZN7rocprim17ROCPRIM_400000_NS6detail17trampoline_kernelINS0_14default_configENS1_38merge_sort_block_merge_config_selectorIbNS0_10empty_typeEEEZZNS1_27merge_sort_block_merge_implIS3_PbPS5_jNS1_19radix_merge_compareILb1ELb0EbNS0_19identity_decomposerEEEEE10hipError_tT0_T1_T2_jT3_P12ihipStream_tbPNSt15iterator_traitsISE_E10value_typeEPNSK_ISF_E10value_typeEPSG_NS1_7vsmem_tEENKUlT_SE_SF_SG_E_clIS8_S8_S9_S9_EESD_ST_SE_SF_SG_EUlST_E_NS1_11comp_targetILNS1_3genE0ELNS1_11target_archE4294967295ELNS1_3gpuE0ELNS1_3repE0EEENS1_48merge_mergepath_partition_config_static_selectorELNS0_4arch9wavefront6targetE0EEEvSF_,comdat
.Lfunc_end1659:
	.size	_ZN7rocprim17ROCPRIM_400000_NS6detail17trampoline_kernelINS0_14default_configENS1_38merge_sort_block_merge_config_selectorIbNS0_10empty_typeEEEZZNS1_27merge_sort_block_merge_implIS3_PbPS5_jNS1_19radix_merge_compareILb1ELb0EbNS0_19identity_decomposerEEEEE10hipError_tT0_T1_T2_jT3_P12ihipStream_tbPNSt15iterator_traitsISE_E10value_typeEPNSK_ISF_E10value_typeEPSG_NS1_7vsmem_tEENKUlT_SE_SF_SG_E_clIS8_S8_S9_S9_EESD_ST_SE_SF_SG_EUlST_E_NS1_11comp_targetILNS1_3genE0ELNS1_11target_archE4294967295ELNS1_3gpuE0ELNS1_3repE0EEENS1_48merge_mergepath_partition_config_static_selectorELNS0_4arch9wavefront6targetE0EEEvSF_, .Lfunc_end1659-_ZN7rocprim17ROCPRIM_400000_NS6detail17trampoline_kernelINS0_14default_configENS1_38merge_sort_block_merge_config_selectorIbNS0_10empty_typeEEEZZNS1_27merge_sort_block_merge_implIS3_PbPS5_jNS1_19radix_merge_compareILb1ELb0EbNS0_19identity_decomposerEEEEE10hipError_tT0_T1_T2_jT3_P12ihipStream_tbPNSt15iterator_traitsISE_E10value_typeEPNSK_ISF_E10value_typeEPSG_NS1_7vsmem_tEENKUlT_SE_SF_SG_E_clIS8_S8_S9_S9_EESD_ST_SE_SF_SG_EUlST_E_NS1_11comp_targetILNS1_3genE0ELNS1_11target_archE4294967295ELNS1_3gpuE0ELNS1_3repE0EEENS1_48merge_mergepath_partition_config_static_selectorELNS0_4arch9wavefront6targetE0EEEvSF_
                                        ; -- End function
	.set _ZN7rocprim17ROCPRIM_400000_NS6detail17trampoline_kernelINS0_14default_configENS1_38merge_sort_block_merge_config_selectorIbNS0_10empty_typeEEEZZNS1_27merge_sort_block_merge_implIS3_PbPS5_jNS1_19radix_merge_compareILb1ELb0EbNS0_19identity_decomposerEEEEE10hipError_tT0_T1_T2_jT3_P12ihipStream_tbPNSt15iterator_traitsISE_E10value_typeEPNSK_ISF_E10value_typeEPSG_NS1_7vsmem_tEENKUlT_SE_SF_SG_E_clIS8_S8_S9_S9_EESD_ST_SE_SF_SG_EUlST_E_NS1_11comp_targetILNS1_3genE0ELNS1_11target_archE4294967295ELNS1_3gpuE0ELNS1_3repE0EEENS1_48merge_mergepath_partition_config_static_selectorELNS0_4arch9wavefront6targetE0EEEvSF_.num_vgpr, 17
	.set _ZN7rocprim17ROCPRIM_400000_NS6detail17trampoline_kernelINS0_14default_configENS1_38merge_sort_block_merge_config_selectorIbNS0_10empty_typeEEEZZNS1_27merge_sort_block_merge_implIS3_PbPS5_jNS1_19radix_merge_compareILb1ELb0EbNS0_19identity_decomposerEEEEE10hipError_tT0_T1_T2_jT3_P12ihipStream_tbPNSt15iterator_traitsISE_E10value_typeEPNSK_ISF_E10value_typeEPSG_NS1_7vsmem_tEENKUlT_SE_SF_SG_E_clIS8_S8_S9_S9_EESD_ST_SE_SF_SG_EUlST_E_NS1_11comp_targetILNS1_3genE0ELNS1_11target_archE4294967295ELNS1_3gpuE0ELNS1_3repE0EEENS1_48merge_mergepath_partition_config_static_selectorELNS0_4arch9wavefront6targetE0EEEvSF_.num_agpr, 0
	.set _ZN7rocprim17ROCPRIM_400000_NS6detail17trampoline_kernelINS0_14default_configENS1_38merge_sort_block_merge_config_selectorIbNS0_10empty_typeEEEZZNS1_27merge_sort_block_merge_implIS3_PbPS5_jNS1_19radix_merge_compareILb1ELb0EbNS0_19identity_decomposerEEEEE10hipError_tT0_T1_T2_jT3_P12ihipStream_tbPNSt15iterator_traitsISE_E10value_typeEPNSK_ISF_E10value_typeEPSG_NS1_7vsmem_tEENKUlT_SE_SF_SG_E_clIS8_S8_S9_S9_EESD_ST_SE_SF_SG_EUlST_E_NS1_11comp_targetILNS1_3genE0ELNS1_11target_archE4294967295ELNS1_3gpuE0ELNS1_3repE0EEENS1_48merge_mergepath_partition_config_static_selectorELNS0_4arch9wavefront6targetE0EEEvSF_.numbered_sgpr, 6
	.set _ZN7rocprim17ROCPRIM_400000_NS6detail17trampoline_kernelINS0_14default_configENS1_38merge_sort_block_merge_config_selectorIbNS0_10empty_typeEEEZZNS1_27merge_sort_block_merge_implIS3_PbPS5_jNS1_19radix_merge_compareILb1ELb0EbNS0_19identity_decomposerEEEEE10hipError_tT0_T1_T2_jT3_P12ihipStream_tbPNSt15iterator_traitsISE_E10value_typeEPNSK_ISF_E10value_typeEPSG_NS1_7vsmem_tEENKUlT_SE_SF_SG_E_clIS8_S8_S9_S9_EESD_ST_SE_SF_SG_EUlST_E_NS1_11comp_targetILNS1_3genE0ELNS1_11target_archE4294967295ELNS1_3gpuE0ELNS1_3repE0EEENS1_48merge_mergepath_partition_config_static_selectorELNS0_4arch9wavefront6targetE0EEEvSF_.num_named_barrier, 0
	.set _ZN7rocprim17ROCPRIM_400000_NS6detail17trampoline_kernelINS0_14default_configENS1_38merge_sort_block_merge_config_selectorIbNS0_10empty_typeEEEZZNS1_27merge_sort_block_merge_implIS3_PbPS5_jNS1_19radix_merge_compareILb1ELb0EbNS0_19identity_decomposerEEEEE10hipError_tT0_T1_T2_jT3_P12ihipStream_tbPNSt15iterator_traitsISE_E10value_typeEPNSK_ISF_E10value_typeEPSG_NS1_7vsmem_tEENKUlT_SE_SF_SG_E_clIS8_S8_S9_S9_EESD_ST_SE_SF_SG_EUlST_E_NS1_11comp_targetILNS1_3genE0ELNS1_11target_archE4294967295ELNS1_3gpuE0ELNS1_3repE0EEENS1_48merge_mergepath_partition_config_static_selectorELNS0_4arch9wavefront6targetE0EEEvSF_.private_seg_size, 0
	.set _ZN7rocprim17ROCPRIM_400000_NS6detail17trampoline_kernelINS0_14default_configENS1_38merge_sort_block_merge_config_selectorIbNS0_10empty_typeEEEZZNS1_27merge_sort_block_merge_implIS3_PbPS5_jNS1_19radix_merge_compareILb1ELb0EbNS0_19identity_decomposerEEEEE10hipError_tT0_T1_T2_jT3_P12ihipStream_tbPNSt15iterator_traitsISE_E10value_typeEPNSK_ISF_E10value_typeEPSG_NS1_7vsmem_tEENKUlT_SE_SF_SG_E_clIS8_S8_S9_S9_EESD_ST_SE_SF_SG_EUlST_E_NS1_11comp_targetILNS1_3genE0ELNS1_11target_archE4294967295ELNS1_3gpuE0ELNS1_3repE0EEENS1_48merge_mergepath_partition_config_static_selectorELNS0_4arch9wavefront6targetE0EEEvSF_.uses_vcc, 1
	.set _ZN7rocprim17ROCPRIM_400000_NS6detail17trampoline_kernelINS0_14default_configENS1_38merge_sort_block_merge_config_selectorIbNS0_10empty_typeEEEZZNS1_27merge_sort_block_merge_implIS3_PbPS5_jNS1_19radix_merge_compareILb1ELb0EbNS0_19identity_decomposerEEEEE10hipError_tT0_T1_T2_jT3_P12ihipStream_tbPNSt15iterator_traitsISE_E10value_typeEPNSK_ISF_E10value_typeEPSG_NS1_7vsmem_tEENKUlT_SE_SF_SG_E_clIS8_S8_S9_S9_EESD_ST_SE_SF_SG_EUlST_E_NS1_11comp_targetILNS1_3genE0ELNS1_11target_archE4294967295ELNS1_3gpuE0ELNS1_3repE0EEENS1_48merge_mergepath_partition_config_static_selectorELNS0_4arch9wavefront6targetE0EEEvSF_.uses_flat_scratch, 0
	.set _ZN7rocprim17ROCPRIM_400000_NS6detail17trampoline_kernelINS0_14default_configENS1_38merge_sort_block_merge_config_selectorIbNS0_10empty_typeEEEZZNS1_27merge_sort_block_merge_implIS3_PbPS5_jNS1_19radix_merge_compareILb1ELb0EbNS0_19identity_decomposerEEEEE10hipError_tT0_T1_T2_jT3_P12ihipStream_tbPNSt15iterator_traitsISE_E10value_typeEPNSK_ISF_E10value_typeEPSG_NS1_7vsmem_tEENKUlT_SE_SF_SG_E_clIS8_S8_S9_S9_EESD_ST_SE_SF_SG_EUlST_E_NS1_11comp_targetILNS1_3genE0ELNS1_11target_archE4294967295ELNS1_3gpuE0ELNS1_3repE0EEENS1_48merge_mergepath_partition_config_static_selectorELNS0_4arch9wavefront6targetE0EEEvSF_.has_dyn_sized_stack, 0
	.set _ZN7rocprim17ROCPRIM_400000_NS6detail17trampoline_kernelINS0_14default_configENS1_38merge_sort_block_merge_config_selectorIbNS0_10empty_typeEEEZZNS1_27merge_sort_block_merge_implIS3_PbPS5_jNS1_19radix_merge_compareILb1ELb0EbNS0_19identity_decomposerEEEEE10hipError_tT0_T1_T2_jT3_P12ihipStream_tbPNSt15iterator_traitsISE_E10value_typeEPNSK_ISF_E10value_typeEPSG_NS1_7vsmem_tEENKUlT_SE_SF_SG_E_clIS8_S8_S9_S9_EESD_ST_SE_SF_SG_EUlST_E_NS1_11comp_targetILNS1_3genE0ELNS1_11target_archE4294967295ELNS1_3gpuE0ELNS1_3repE0EEENS1_48merge_mergepath_partition_config_static_selectorELNS0_4arch9wavefront6targetE0EEEvSF_.has_recursion, 0
	.set _ZN7rocprim17ROCPRIM_400000_NS6detail17trampoline_kernelINS0_14default_configENS1_38merge_sort_block_merge_config_selectorIbNS0_10empty_typeEEEZZNS1_27merge_sort_block_merge_implIS3_PbPS5_jNS1_19radix_merge_compareILb1ELb0EbNS0_19identity_decomposerEEEEE10hipError_tT0_T1_T2_jT3_P12ihipStream_tbPNSt15iterator_traitsISE_E10value_typeEPNSK_ISF_E10value_typeEPSG_NS1_7vsmem_tEENKUlT_SE_SF_SG_E_clIS8_S8_S9_S9_EESD_ST_SE_SF_SG_EUlST_E_NS1_11comp_targetILNS1_3genE0ELNS1_11target_archE4294967295ELNS1_3gpuE0ELNS1_3repE0EEENS1_48merge_mergepath_partition_config_static_selectorELNS0_4arch9wavefront6targetE0EEEvSF_.has_indirect_call, 0
	.section	.AMDGPU.csdata,"",@progbits
; Kernel info:
; codeLenInByte = 420
; TotalNumSgprs: 8
; NumVgprs: 17
; ScratchSize: 0
; MemoryBound: 0
; FloatMode: 240
; IeeeMode: 1
; LDSByteSize: 0 bytes/workgroup (compile time only)
; SGPRBlocks: 0
; VGPRBlocks: 1
; NumSGPRsForWavesPerEU: 8
; NumVGPRsForWavesPerEU: 17
; NamedBarCnt: 0
; Occupancy: 16
; WaveLimiterHint : 0
; COMPUTE_PGM_RSRC2:SCRATCH_EN: 0
; COMPUTE_PGM_RSRC2:USER_SGPR: 2
; COMPUTE_PGM_RSRC2:TRAP_HANDLER: 0
; COMPUTE_PGM_RSRC2:TGID_X_EN: 1
; COMPUTE_PGM_RSRC2:TGID_Y_EN: 0
; COMPUTE_PGM_RSRC2:TGID_Z_EN: 0
; COMPUTE_PGM_RSRC2:TIDIG_COMP_CNT: 0
	.section	.text._ZN7rocprim17ROCPRIM_400000_NS6detail17trampoline_kernelINS0_14default_configENS1_38merge_sort_block_merge_config_selectorIbNS0_10empty_typeEEEZZNS1_27merge_sort_block_merge_implIS3_PbPS5_jNS1_19radix_merge_compareILb1ELb0EbNS0_19identity_decomposerEEEEE10hipError_tT0_T1_T2_jT3_P12ihipStream_tbPNSt15iterator_traitsISE_E10value_typeEPNSK_ISF_E10value_typeEPSG_NS1_7vsmem_tEENKUlT_SE_SF_SG_E_clIS8_S8_S9_S9_EESD_ST_SE_SF_SG_EUlST_E_NS1_11comp_targetILNS1_3genE10ELNS1_11target_archE1201ELNS1_3gpuE5ELNS1_3repE0EEENS1_48merge_mergepath_partition_config_static_selectorELNS0_4arch9wavefront6targetE0EEEvSF_,"axG",@progbits,_ZN7rocprim17ROCPRIM_400000_NS6detail17trampoline_kernelINS0_14default_configENS1_38merge_sort_block_merge_config_selectorIbNS0_10empty_typeEEEZZNS1_27merge_sort_block_merge_implIS3_PbPS5_jNS1_19radix_merge_compareILb1ELb0EbNS0_19identity_decomposerEEEEE10hipError_tT0_T1_T2_jT3_P12ihipStream_tbPNSt15iterator_traitsISE_E10value_typeEPNSK_ISF_E10value_typeEPSG_NS1_7vsmem_tEENKUlT_SE_SF_SG_E_clIS8_S8_S9_S9_EESD_ST_SE_SF_SG_EUlST_E_NS1_11comp_targetILNS1_3genE10ELNS1_11target_archE1201ELNS1_3gpuE5ELNS1_3repE0EEENS1_48merge_mergepath_partition_config_static_selectorELNS0_4arch9wavefront6targetE0EEEvSF_,comdat
	.protected	_ZN7rocprim17ROCPRIM_400000_NS6detail17trampoline_kernelINS0_14default_configENS1_38merge_sort_block_merge_config_selectorIbNS0_10empty_typeEEEZZNS1_27merge_sort_block_merge_implIS3_PbPS5_jNS1_19radix_merge_compareILb1ELb0EbNS0_19identity_decomposerEEEEE10hipError_tT0_T1_T2_jT3_P12ihipStream_tbPNSt15iterator_traitsISE_E10value_typeEPNSK_ISF_E10value_typeEPSG_NS1_7vsmem_tEENKUlT_SE_SF_SG_E_clIS8_S8_S9_S9_EESD_ST_SE_SF_SG_EUlST_E_NS1_11comp_targetILNS1_3genE10ELNS1_11target_archE1201ELNS1_3gpuE5ELNS1_3repE0EEENS1_48merge_mergepath_partition_config_static_selectorELNS0_4arch9wavefront6targetE0EEEvSF_ ; -- Begin function _ZN7rocprim17ROCPRIM_400000_NS6detail17trampoline_kernelINS0_14default_configENS1_38merge_sort_block_merge_config_selectorIbNS0_10empty_typeEEEZZNS1_27merge_sort_block_merge_implIS3_PbPS5_jNS1_19radix_merge_compareILb1ELb0EbNS0_19identity_decomposerEEEEE10hipError_tT0_T1_T2_jT3_P12ihipStream_tbPNSt15iterator_traitsISE_E10value_typeEPNSK_ISF_E10value_typeEPSG_NS1_7vsmem_tEENKUlT_SE_SF_SG_E_clIS8_S8_S9_S9_EESD_ST_SE_SF_SG_EUlST_E_NS1_11comp_targetILNS1_3genE10ELNS1_11target_archE1201ELNS1_3gpuE5ELNS1_3repE0EEENS1_48merge_mergepath_partition_config_static_selectorELNS0_4arch9wavefront6targetE0EEEvSF_
	.globl	_ZN7rocprim17ROCPRIM_400000_NS6detail17trampoline_kernelINS0_14default_configENS1_38merge_sort_block_merge_config_selectorIbNS0_10empty_typeEEEZZNS1_27merge_sort_block_merge_implIS3_PbPS5_jNS1_19radix_merge_compareILb1ELb0EbNS0_19identity_decomposerEEEEE10hipError_tT0_T1_T2_jT3_P12ihipStream_tbPNSt15iterator_traitsISE_E10value_typeEPNSK_ISF_E10value_typeEPSG_NS1_7vsmem_tEENKUlT_SE_SF_SG_E_clIS8_S8_S9_S9_EESD_ST_SE_SF_SG_EUlST_E_NS1_11comp_targetILNS1_3genE10ELNS1_11target_archE1201ELNS1_3gpuE5ELNS1_3repE0EEENS1_48merge_mergepath_partition_config_static_selectorELNS0_4arch9wavefront6targetE0EEEvSF_
	.p2align	8
	.type	_ZN7rocprim17ROCPRIM_400000_NS6detail17trampoline_kernelINS0_14default_configENS1_38merge_sort_block_merge_config_selectorIbNS0_10empty_typeEEEZZNS1_27merge_sort_block_merge_implIS3_PbPS5_jNS1_19radix_merge_compareILb1ELb0EbNS0_19identity_decomposerEEEEE10hipError_tT0_T1_T2_jT3_P12ihipStream_tbPNSt15iterator_traitsISE_E10value_typeEPNSK_ISF_E10value_typeEPSG_NS1_7vsmem_tEENKUlT_SE_SF_SG_E_clIS8_S8_S9_S9_EESD_ST_SE_SF_SG_EUlST_E_NS1_11comp_targetILNS1_3genE10ELNS1_11target_archE1201ELNS1_3gpuE5ELNS1_3repE0EEENS1_48merge_mergepath_partition_config_static_selectorELNS0_4arch9wavefront6targetE0EEEvSF_,@function
_ZN7rocprim17ROCPRIM_400000_NS6detail17trampoline_kernelINS0_14default_configENS1_38merge_sort_block_merge_config_selectorIbNS0_10empty_typeEEEZZNS1_27merge_sort_block_merge_implIS3_PbPS5_jNS1_19radix_merge_compareILb1ELb0EbNS0_19identity_decomposerEEEEE10hipError_tT0_T1_T2_jT3_P12ihipStream_tbPNSt15iterator_traitsISE_E10value_typeEPNSK_ISF_E10value_typeEPSG_NS1_7vsmem_tEENKUlT_SE_SF_SG_E_clIS8_S8_S9_S9_EESD_ST_SE_SF_SG_EUlST_E_NS1_11comp_targetILNS1_3genE10ELNS1_11target_archE1201ELNS1_3gpuE5ELNS1_3repE0EEENS1_48merge_mergepath_partition_config_static_selectorELNS0_4arch9wavefront6targetE0EEEvSF_: ; @_ZN7rocprim17ROCPRIM_400000_NS6detail17trampoline_kernelINS0_14default_configENS1_38merge_sort_block_merge_config_selectorIbNS0_10empty_typeEEEZZNS1_27merge_sort_block_merge_implIS3_PbPS5_jNS1_19radix_merge_compareILb1ELb0EbNS0_19identity_decomposerEEEEE10hipError_tT0_T1_T2_jT3_P12ihipStream_tbPNSt15iterator_traitsISE_E10value_typeEPNSK_ISF_E10value_typeEPSG_NS1_7vsmem_tEENKUlT_SE_SF_SG_E_clIS8_S8_S9_S9_EESD_ST_SE_SF_SG_EUlST_E_NS1_11comp_targetILNS1_3genE10ELNS1_11target_archE1201ELNS1_3gpuE5ELNS1_3repE0EEENS1_48merge_mergepath_partition_config_static_selectorELNS0_4arch9wavefront6targetE0EEEvSF_
; %bb.0:
	.section	.rodata,"a",@progbits
	.p2align	6, 0x0
	.amdhsa_kernel _ZN7rocprim17ROCPRIM_400000_NS6detail17trampoline_kernelINS0_14default_configENS1_38merge_sort_block_merge_config_selectorIbNS0_10empty_typeEEEZZNS1_27merge_sort_block_merge_implIS3_PbPS5_jNS1_19radix_merge_compareILb1ELb0EbNS0_19identity_decomposerEEEEE10hipError_tT0_T1_T2_jT3_P12ihipStream_tbPNSt15iterator_traitsISE_E10value_typeEPNSK_ISF_E10value_typeEPSG_NS1_7vsmem_tEENKUlT_SE_SF_SG_E_clIS8_S8_S9_S9_EESD_ST_SE_SF_SG_EUlST_E_NS1_11comp_targetILNS1_3genE10ELNS1_11target_archE1201ELNS1_3gpuE5ELNS1_3repE0EEENS1_48merge_mergepath_partition_config_static_selectorELNS0_4arch9wavefront6targetE0EEEvSF_
		.amdhsa_group_segment_fixed_size 0
		.amdhsa_private_segment_fixed_size 0
		.amdhsa_kernarg_size 40
		.amdhsa_user_sgpr_count 2
		.amdhsa_user_sgpr_dispatch_ptr 0
		.amdhsa_user_sgpr_queue_ptr 0
		.amdhsa_user_sgpr_kernarg_segment_ptr 1
		.amdhsa_user_sgpr_dispatch_id 0
		.amdhsa_user_sgpr_kernarg_preload_length 0
		.amdhsa_user_sgpr_kernarg_preload_offset 0
		.amdhsa_user_sgpr_private_segment_size 0
		.amdhsa_wavefront_size32 1
		.amdhsa_uses_dynamic_stack 0
		.amdhsa_enable_private_segment 0
		.amdhsa_system_sgpr_workgroup_id_x 1
		.amdhsa_system_sgpr_workgroup_id_y 0
		.amdhsa_system_sgpr_workgroup_id_z 0
		.amdhsa_system_sgpr_workgroup_info 0
		.amdhsa_system_vgpr_workitem_id 0
		.amdhsa_next_free_vgpr 1
		.amdhsa_next_free_sgpr 1
		.amdhsa_named_barrier_count 0
		.amdhsa_reserve_vcc 0
		.amdhsa_float_round_mode_32 0
		.amdhsa_float_round_mode_16_64 0
		.amdhsa_float_denorm_mode_32 3
		.amdhsa_float_denorm_mode_16_64 3
		.amdhsa_fp16_overflow 0
		.amdhsa_memory_ordered 1
		.amdhsa_forward_progress 1
		.amdhsa_inst_pref_size 0
		.amdhsa_round_robin_scheduling 0
		.amdhsa_exception_fp_ieee_invalid_op 0
		.amdhsa_exception_fp_denorm_src 0
		.amdhsa_exception_fp_ieee_div_zero 0
		.amdhsa_exception_fp_ieee_overflow 0
		.amdhsa_exception_fp_ieee_underflow 0
		.amdhsa_exception_fp_ieee_inexact 0
		.amdhsa_exception_int_div_zero 0
	.end_amdhsa_kernel
	.section	.text._ZN7rocprim17ROCPRIM_400000_NS6detail17trampoline_kernelINS0_14default_configENS1_38merge_sort_block_merge_config_selectorIbNS0_10empty_typeEEEZZNS1_27merge_sort_block_merge_implIS3_PbPS5_jNS1_19radix_merge_compareILb1ELb0EbNS0_19identity_decomposerEEEEE10hipError_tT0_T1_T2_jT3_P12ihipStream_tbPNSt15iterator_traitsISE_E10value_typeEPNSK_ISF_E10value_typeEPSG_NS1_7vsmem_tEENKUlT_SE_SF_SG_E_clIS8_S8_S9_S9_EESD_ST_SE_SF_SG_EUlST_E_NS1_11comp_targetILNS1_3genE10ELNS1_11target_archE1201ELNS1_3gpuE5ELNS1_3repE0EEENS1_48merge_mergepath_partition_config_static_selectorELNS0_4arch9wavefront6targetE0EEEvSF_,"axG",@progbits,_ZN7rocprim17ROCPRIM_400000_NS6detail17trampoline_kernelINS0_14default_configENS1_38merge_sort_block_merge_config_selectorIbNS0_10empty_typeEEEZZNS1_27merge_sort_block_merge_implIS3_PbPS5_jNS1_19radix_merge_compareILb1ELb0EbNS0_19identity_decomposerEEEEE10hipError_tT0_T1_T2_jT3_P12ihipStream_tbPNSt15iterator_traitsISE_E10value_typeEPNSK_ISF_E10value_typeEPSG_NS1_7vsmem_tEENKUlT_SE_SF_SG_E_clIS8_S8_S9_S9_EESD_ST_SE_SF_SG_EUlST_E_NS1_11comp_targetILNS1_3genE10ELNS1_11target_archE1201ELNS1_3gpuE5ELNS1_3repE0EEENS1_48merge_mergepath_partition_config_static_selectorELNS0_4arch9wavefront6targetE0EEEvSF_,comdat
.Lfunc_end1660:
	.size	_ZN7rocprim17ROCPRIM_400000_NS6detail17trampoline_kernelINS0_14default_configENS1_38merge_sort_block_merge_config_selectorIbNS0_10empty_typeEEEZZNS1_27merge_sort_block_merge_implIS3_PbPS5_jNS1_19radix_merge_compareILb1ELb0EbNS0_19identity_decomposerEEEEE10hipError_tT0_T1_T2_jT3_P12ihipStream_tbPNSt15iterator_traitsISE_E10value_typeEPNSK_ISF_E10value_typeEPSG_NS1_7vsmem_tEENKUlT_SE_SF_SG_E_clIS8_S8_S9_S9_EESD_ST_SE_SF_SG_EUlST_E_NS1_11comp_targetILNS1_3genE10ELNS1_11target_archE1201ELNS1_3gpuE5ELNS1_3repE0EEENS1_48merge_mergepath_partition_config_static_selectorELNS0_4arch9wavefront6targetE0EEEvSF_, .Lfunc_end1660-_ZN7rocprim17ROCPRIM_400000_NS6detail17trampoline_kernelINS0_14default_configENS1_38merge_sort_block_merge_config_selectorIbNS0_10empty_typeEEEZZNS1_27merge_sort_block_merge_implIS3_PbPS5_jNS1_19radix_merge_compareILb1ELb0EbNS0_19identity_decomposerEEEEE10hipError_tT0_T1_T2_jT3_P12ihipStream_tbPNSt15iterator_traitsISE_E10value_typeEPNSK_ISF_E10value_typeEPSG_NS1_7vsmem_tEENKUlT_SE_SF_SG_E_clIS8_S8_S9_S9_EESD_ST_SE_SF_SG_EUlST_E_NS1_11comp_targetILNS1_3genE10ELNS1_11target_archE1201ELNS1_3gpuE5ELNS1_3repE0EEENS1_48merge_mergepath_partition_config_static_selectorELNS0_4arch9wavefront6targetE0EEEvSF_
                                        ; -- End function
	.set _ZN7rocprim17ROCPRIM_400000_NS6detail17trampoline_kernelINS0_14default_configENS1_38merge_sort_block_merge_config_selectorIbNS0_10empty_typeEEEZZNS1_27merge_sort_block_merge_implIS3_PbPS5_jNS1_19radix_merge_compareILb1ELb0EbNS0_19identity_decomposerEEEEE10hipError_tT0_T1_T2_jT3_P12ihipStream_tbPNSt15iterator_traitsISE_E10value_typeEPNSK_ISF_E10value_typeEPSG_NS1_7vsmem_tEENKUlT_SE_SF_SG_E_clIS8_S8_S9_S9_EESD_ST_SE_SF_SG_EUlST_E_NS1_11comp_targetILNS1_3genE10ELNS1_11target_archE1201ELNS1_3gpuE5ELNS1_3repE0EEENS1_48merge_mergepath_partition_config_static_selectorELNS0_4arch9wavefront6targetE0EEEvSF_.num_vgpr, 0
	.set _ZN7rocprim17ROCPRIM_400000_NS6detail17trampoline_kernelINS0_14default_configENS1_38merge_sort_block_merge_config_selectorIbNS0_10empty_typeEEEZZNS1_27merge_sort_block_merge_implIS3_PbPS5_jNS1_19radix_merge_compareILb1ELb0EbNS0_19identity_decomposerEEEEE10hipError_tT0_T1_T2_jT3_P12ihipStream_tbPNSt15iterator_traitsISE_E10value_typeEPNSK_ISF_E10value_typeEPSG_NS1_7vsmem_tEENKUlT_SE_SF_SG_E_clIS8_S8_S9_S9_EESD_ST_SE_SF_SG_EUlST_E_NS1_11comp_targetILNS1_3genE10ELNS1_11target_archE1201ELNS1_3gpuE5ELNS1_3repE0EEENS1_48merge_mergepath_partition_config_static_selectorELNS0_4arch9wavefront6targetE0EEEvSF_.num_agpr, 0
	.set _ZN7rocprim17ROCPRIM_400000_NS6detail17trampoline_kernelINS0_14default_configENS1_38merge_sort_block_merge_config_selectorIbNS0_10empty_typeEEEZZNS1_27merge_sort_block_merge_implIS3_PbPS5_jNS1_19radix_merge_compareILb1ELb0EbNS0_19identity_decomposerEEEEE10hipError_tT0_T1_T2_jT3_P12ihipStream_tbPNSt15iterator_traitsISE_E10value_typeEPNSK_ISF_E10value_typeEPSG_NS1_7vsmem_tEENKUlT_SE_SF_SG_E_clIS8_S8_S9_S9_EESD_ST_SE_SF_SG_EUlST_E_NS1_11comp_targetILNS1_3genE10ELNS1_11target_archE1201ELNS1_3gpuE5ELNS1_3repE0EEENS1_48merge_mergepath_partition_config_static_selectorELNS0_4arch9wavefront6targetE0EEEvSF_.numbered_sgpr, 0
	.set _ZN7rocprim17ROCPRIM_400000_NS6detail17trampoline_kernelINS0_14default_configENS1_38merge_sort_block_merge_config_selectorIbNS0_10empty_typeEEEZZNS1_27merge_sort_block_merge_implIS3_PbPS5_jNS1_19radix_merge_compareILb1ELb0EbNS0_19identity_decomposerEEEEE10hipError_tT0_T1_T2_jT3_P12ihipStream_tbPNSt15iterator_traitsISE_E10value_typeEPNSK_ISF_E10value_typeEPSG_NS1_7vsmem_tEENKUlT_SE_SF_SG_E_clIS8_S8_S9_S9_EESD_ST_SE_SF_SG_EUlST_E_NS1_11comp_targetILNS1_3genE10ELNS1_11target_archE1201ELNS1_3gpuE5ELNS1_3repE0EEENS1_48merge_mergepath_partition_config_static_selectorELNS0_4arch9wavefront6targetE0EEEvSF_.num_named_barrier, 0
	.set _ZN7rocprim17ROCPRIM_400000_NS6detail17trampoline_kernelINS0_14default_configENS1_38merge_sort_block_merge_config_selectorIbNS0_10empty_typeEEEZZNS1_27merge_sort_block_merge_implIS3_PbPS5_jNS1_19radix_merge_compareILb1ELb0EbNS0_19identity_decomposerEEEEE10hipError_tT0_T1_T2_jT3_P12ihipStream_tbPNSt15iterator_traitsISE_E10value_typeEPNSK_ISF_E10value_typeEPSG_NS1_7vsmem_tEENKUlT_SE_SF_SG_E_clIS8_S8_S9_S9_EESD_ST_SE_SF_SG_EUlST_E_NS1_11comp_targetILNS1_3genE10ELNS1_11target_archE1201ELNS1_3gpuE5ELNS1_3repE0EEENS1_48merge_mergepath_partition_config_static_selectorELNS0_4arch9wavefront6targetE0EEEvSF_.private_seg_size, 0
	.set _ZN7rocprim17ROCPRIM_400000_NS6detail17trampoline_kernelINS0_14default_configENS1_38merge_sort_block_merge_config_selectorIbNS0_10empty_typeEEEZZNS1_27merge_sort_block_merge_implIS3_PbPS5_jNS1_19radix_merge_compareILb1ELb0EbNS0_19identity_decomposerEEEEE10hipError_tT0_T1_T2_jT3_P12ihipStream_tbPNSt15iterator_traitsISE_E10value_typeEPNSK_ISF_E10value_typeEPSG_NS1_7vsmem_tEENKUlT_SE_SF_SG_E_clIS8_S8_S9_S9_EESD_ST_SE_SF_SG_EUlST_E_NS1_11comp_targetILNS1_3genE10ELNS1_11target_archE1201ELNS1_3gpuE5ELNS1_3repE0EEENS1_48merge_mergepath_partition_config_static_selectorELNS0_4arch9wavefront6targetE0EEEvSF_.uses_vcc, 0
	.set _ZN7rocprim17ROCPRIM_400000_NS6detail17trampoline_kernelINS0_14default_configENS1_38merge_sort_block_merge_config_selectorIbNS0_10empty_typeEEEZZNS1_27merge_sort_block_merge_implIS3_PbPS5_jNS1_19radix_merge_compareILb1ELb0EbNS0_19identity_decomposerEEEEE10hipError_tT0_T1_T2_jT3_P12ihipStream_tbPNSt15iterator_traitsISE_E10value_typeEPNSK_ISF_E10value_typeEPSG_NS1_7vsmem_tEENKUlT_SE_SF_SG_E_clIS8_S8_S9_S9_EESD_ST_SE_SF_SG_EUlST_E_NS1_11comp_targetILNS1_3genE10ELNS1_11target_archE1201ELNS1_3gpuE5ELNS1_3repE0EEENS1_48merge_mergepath_partition_config_static_selectorELNS0_4arch9wavefront6targetE0EEEvSF_.uses_flat_scratch, 0
	.set _ZN7rocprim17ROCPRIM_400000_NS6detail17trampoline_kernelINS0_14default_configENS1_38merge_sort_block_merge_config_selectorIbNS0_10empty_typeEEEZZNS1_27merge_sort_block_merge_implIS3_PbPS5_jNS1_19radix_merge_compareILb1ELb0EbNS0_19identity_decomposerEEEEE10hipError_tT0_T1_T2_jT3_P12ihipStream_tbPNSt15iterator_traitsISE_E10value_typeEPNSK_ISF_E10value_typeEPSG_NS1_7vsmem_tEENKUlT_SE_SF_SG_E_clIS8_S8_S9_S9_EESD_ST_SE_SF_SG_EUlST_E_NS1_11comp_targetILNS1_3genE10ELNS1_11target_archE1201ELNS1_3gpuE5ELNS1_3repE0EEENS1_48merge_mergepath_partition_config_static_selectorELNS0_4arch9wavefront6targetE0EEEvSF_.has_dyn_sized_stack, 0
	.set _ZN7rocprim17ROCPRIM_400000_NS6detail17trampoline_kernelINS0_14default_configENS1_38merge_sort_block_merge_config_selectorIbNS0_10empty_typeEEEZZNS1_27merge_sort_block_merge_implIS3_PbPS5_jNS1_19radix_merge_compareILb1ELb0EbNS0_19identity_decomposerEEEEE10hipError_tT0_T1_T2_jT3_P12ihipStream_tbPNSt15iterator_traitsISE_E10value_typeEPNSK_ISF_E10value_typeEPSG_NS1_7vsmem_tEENKUlT_SE_SF_SG_E_clIS8_S8_S9_S9_EESD_ST_SE_SF_SG_EUlST_E_NS1_11comp_targetILNS1_3genE10ELNS1_11target_archE1201ELNS1_3gpuE5ELNS1_3repE0EEENS1_48merge_mergepath_partition_config_static_selectorELNS0_4arch9wavefront6targetE0EEEvSF_.has_recursion, 0
	.set _ZN7rocprim17ROCPRIM_400000_NS6detail17trampoline_kernelINS0_14default_configENS1_38merge_sort_block_merge_config_selectorIbNS0_10empty_typeEEEZZNS1_27merge_sort_block_merge_implIS3_PbPS5_jNS1_19radix_merge_compareILb1ELb0EbNS0_19identity_decomposerEEEEE10hipError_tT0_T1_T2_jT3_P12ihipStream_tbPNSt15iterator_traitsISE_E10value_typeEPNSK_ISF_E10value_typeEPSG_NS1_7vsmem_tEENKUlT_SE_SF_SG_E_clIS8_S8_S9_S9_EESD_ST_SE_SF_SG_EUlST_E_NS1_11comp_targetILNS1_3genE10ELNS1_11target_archE1201ELNS1_3gpuE5ELNS1_3repE0EEENS1_48merge_mergepath_partition_config_static_selectorELNS0_4arch9wavefront6targetE0EEEvSF_.has_indirect_call, 0
	.section	.AMDGPU.csdata,"",@progbits
; Kernel info:
; codeLenInByte = 0
; TotalNumSgprs: 0
; NumVgprs: 0
; ScratchSize: 0
; MemoryBound: 0
; FloatMode: 240
; IeeeMode: 1
; LDSByteSize: 0 bytes/workgroup (compile time only)
; SGPRBlocks: 0
; VGPRBlocks: 0
; NumSGPRsForWavesPerEU: 1
; NumVGPRsForWavesPerEU: 1
; NamedBarCnt: 0
; Occupancy: 16
; WaveLimiterHint : 0
; COMPUTE_PGM_RSRC2:SCRATCH_EN: 0
; COMPUTE_PGM_RSRC2:USER_SGPR: 2
; COMPUTE_PGM_RSRC2:TRAP_HANDLER: 0
; COMPUTE_PGM_RSRC2:TGID_X_EN: 1
; COMPUTE_PGM_RSRC2:TGID_Y_EN: 0
; COMPUTE_PGM_RSRC2:TGID_Z_EN: 0
; COMPUTE_PGM_RSRC2:TIDIG_COMP_CNT: 0
	.section	.text._ZN7rocprim17ROCPRIM_400000_NS6detail17trampoline_kernelINS0_14default_configENS1_38merge_sort_block_merge_config_selectorIbNS0_10empty_typeEEEZZNS1_27merge_sort_block_merge_implIS3_PbPS5_jNS1_19radix_merge_compareILb1ELb0EbNS0_19identity_decomposerEEEEE10hipError_tT0_T1_T2_jT3_P12ihipStream_tbPNSt15iterator_traitsISE_E10value_typeEPNSK_ISF_E10value_typeEPSG_NS1_7vsmem_tEENKUlT_SE_SF_SG_E_clIS8_S8_S9_S9_EESD_ST_SE_SF_SG_EUlST_E_NS1_11comp_targetILNS1_3genE5ELNS1_11target_archE942ELNS1_3gpuE9ELNS1_3repE0EEENS1_48merge_mergepath_partition_config_static_selectorELNS0_4arch9wavefront6targetE0EEEvSF_,"axG",@progbits,_ZN7rocprim17ROCPRIM_400000_NS6detail17trampoline_kernelINS0_14default_configENS1_38merge_sort_block_merge_config_selectorIbNS0_10empty_typeEEEZZNS1_27merge_sort_block_merge_implIS3_PbPS5_jNS1_19radix_merge_compareILb1ELb0EbNS0_19identity_decomposerEEEEE10hipError_tT0_T1_T2_jT3_P12ihipStream_tbPNSt15iterator_traitsISE_E10value_typeEPNSK_ISF_E10value_typeEPSG_NS1_7vsmem_tEENKUlT_SE_SF_SG_E_clIS8_S8_S9_S9_EESD_ST_SE_SF_SG_EUlST_E_NS1_11comp_targetILNS1_3genE5ELNS1_11target_archE942ELNS1_3gpuE9ELNS1_3repE0EEENS1_48merge_mergepath_partition_config_static_selectorELNS0_4arch9wavefront6targetE0EEEvSF_,comdat
	.protected	_ZN7rocprim17ROCPRIM_400000_NS6detail17trampoline_kernelINS0_14default_configENS1_38merge_sort_block_merge_config_selectorIbNS0_10empty_typeEEEZZNS1_27merge_sort_block_merge_implIS3_PbPS5_jNS1_19radix_merge_compareILb1ELb0EbNS0_19identity_decomposerEEEEE10hipError_tT0_T1_T2_jT3_P12ihipStream_tbPNSt15iterator_traitsISE_E10value_typeEPNSK_ISF_E10value_typeEPSG_NS1_7vsmem_tEENKUlT_SE_SF_SG_E_clIS8_S8_S9_S9_EESD_ST_SE_SF_SG_EUlST_E_NS1_11comp_targetILNS1_3genE5ELNS1_11target_archE942ELNS1_3gpuE9ELNS1_3repE0EEENS1_48merge_mergepath_partition_config_static_selectorELNS0_4arch9wavefront6targetE0EEEvSF_ ; -- Begin function _ZN7rocprim17ROCPRIM_400000_NS6detail17trampoline_kernelINS0_14default_configENS1_38merge_sort_block_merge_config_selectorIbNS0_10empty_typeEEEZZNS1_27merge_sort_block_merge_implIS3_PbPS5_jNS1_19radix_merge_compareILb1ELb0EbNS0_19identity_decomposerEEEEE10hipError_tT0_T1_T2_jT3_P12ihipStream_tbPNSt15iterator_traitsISE_E10value_typeEPNSK_ISF_E10value_typeEPSG_NS1_7vsmem_tEENKUlT_SE_SF_SG_E_clIS8_S8_S9_S9_EESD_ST_SE_SF_SG_EUlST_E_NS1_11comp_targetILNS1_3genE5ELNS1_11target_archE942ELNS1_3gpuE9ELNS1_3repE0EEENS1_48merge_mergepath_partition_config_static_selectorELNS0_4arch9wavefront6targetE0EEEvSF_
	.globl	_ZN7rocprim17ROCPRIM_400000_NS6detail17trampoline_kernelINS0_14default_configENS1_38merge_sort_block_merge_config_selectorIbNS0_10empty_typeEEEZZNS1_27merge_sort_block_merge_implIS3_PbPS5_jNS1_19radix_merge_compareILb1ELb0EbNS0_19identity_decomposerEEEEE10hipError_tT0_T1_T2_jT3_P12ihipStream_tbPNSt15iterator_traitsISE_E10value_typeEPNSK_ISF_E10value_typeEPSG_NS1_7vsmem_tEENKUlT_SE_SF_SG_E_clIS8_S8_S9_S9_EESD_ST_SE_SF_SG_EUlST_E_NS1_11comp_targetILNS1_3genE5ELNS1_11target_archE942ELNS1_3gpuE9ELNS1_3repE0EEENS1_48merge_mergepath_partition_config_static_selectorELNS0_4arch9wavefront6targetE0EEEvSF_
	.p2align	8
	.type	_ZN7rocprim17ROCPRIM_400000_NS6detail17trampoline_kernelINS0_14default_configENS1_38merge_sort_block_merge_config_selectorIbNS0_10empty_typeEEEZZNS1_27merge_sort_block_merge_implIS3_PbPS5_jNS1_19radix_merge_compareILb1ELb0EbNS0_19identity_decomposerEEEEE10hipError_tT0_T1_T2_jT3_P12ihipStream_tbPNSt15iterator_traitsISE_E10value_typeEPNSK_ISF_E10value_typeEPSG_NS1_7vsmem_tEENKUlT_SE_SF_SG_E_clIS8_S8_S9_S9_EESD_ST_SE_SF_SG_EUlST_E_NS1_11comp_targetILNS1_3genE5ELNS1_11target_archE942ELNS1_3gpuE9ELNS1_3repE0EEENS1_48merge_mergepath_partition_config_static_selectorELNS0_4arch9wavefront6targetE0EEEvSF_,@function
_ZN7rocprim17ROCPRIM_400000_NS6detail17trampoline_kernelINS0_14default_configENS1_38merge_sort_block_merge_config_selectorIbNS0_10empty_typeEEEZZNS1_27merge_sort_block_merge_implIS3_PbPS5_jNS1_19radix_merge_compareILb1ELb0EbNS0_19identity_decomposerEEEEE10hipError_tT0_T1_T2_jT3_P12ihipStream_tbPNSt15iterator_traitsISE_E10value_typeEPNSK_ISF_E10value_typeEPSG_NS1_7vsmem_tEENKUlT_SE_SF_SG_E_clIS8_S8_S9_S9_EESD_ST_SE_SF_SG_EUlST_E_NS1_11comp_targetILNS1_3genE5ELNS1_11target_archE942ELNS1_3gpuE9ELNS1_3repE0EEENS1_48merge_mergepath_partition_config_static_selectorELNS0_4arch9wavefront6targetE0EEEvSF_: ; @_ZN7rocprim17ROCPRIM_400000_NS6detail17trampoline_kernelINS0_14default_configENS1_38merge_sort_block_merge_config_selectorIbNS0_10empty_typeEEEZZNS1_27merge_sort_block_merge_implIS3_PbPS5_jNS1_19radix_merge_compareILb1ELb0EbNS0_19identity_decomposerEEEEE10hipError_tT0_T1_T2_jT3_P12ihipStream_tbPNSt15iterator_traitsISE_E10value_typeEPNSK_ISF_E10value_typeEPSG_NS1_7vsmem_tEENKUlT_SE_SF_SG_E_clIS8_S8_S9_S9_EESD_ST_SE_SF_SG_EUlST_E_NS1_11comp_targetILNS1_3genE5ELNS1_11target_archE942ELNS1_3gpuE9ELNS1_3repE0EEENS1_48merge_mergepath_partition_config_static_selectorELNS0_4arch9wavefront6targetE0EEEvSF_
; %bb.0:
	.section	.rodata,"a",@progbits
	.p2align	6, 0x0
	.amdhsa_kernel _ZN7rocprim17ROCPRIM_400000_NS6detail17trampoline_kernelINS0_14default_configENS1_38merge_sort_block_merge_config_selectorIbNS0_10empty_typeEEEZZNS1_27merge_sort_block_merge_implIS3_PbPS5_jNS1_19radix_merge_compareILb1ELb0EbNS0_19identity_decomposerEEEEE10hipError_tT0_T1_T2_jT3_P12ihipStream_tbPNSt15iterator_traitsISE_E10value_typeEPNSK_ISF_E10value_typeEPSG_NS1_7vsmem_tEENKUlT_SE_SF_SG_E_clIS8_S8_S9_S9_EESD_ST_SE_SF_SG_EUlST_E_NS1_11comp_targetILNS1_3genE5ELNS1_11target_archE942ELNS1_3gpuE9ELNS1_3repE0EEENS1_48merge_mergepath_partition_config_static_selectorELNS0_4arch9wavefront6targetE0EEEvSF_
		.amdhsa_group_segment_fixed_size 0
		.amdhsa_private_segment_fixed_size 0
		.amdhsa_kernarg_size 40
		.amdhsa_user_sgpr_count 2
		.amdhsa_user_sgpr_dispatch_ptr 0
		.amdhsa_user_sgpr_queue_ptr 0
		.amdhsa_user_sgpr_kernarg_segment_ptr 1
		.amdhsa_user_sgpr_dispatch_id 0
		.amdhsa_user_sgpr_kernarg_preload_length 0
		.amdhsa_user_sgpr_kernarg_preload_offset 0
		.amdhsa_user_sgpr_private_segment_size 0
		.amdhsa_wavefront_size32 1
		.amdhsa_uses_dynamic_stack 0
		.amdhsa_enable_private_segment 0
		.amdhsa_system_sgpr_workgroup_id_x 1
		.amdhsa_system_sgpr_workgroup_id_y 0
		.amdhsa_system_sgpr_workgroup_id_z 0
		.amdhsa_system_sgpr_workgroup_info 0
		.amdhsa_system_vgpr_workitem_id 0
		.amdhsa_next_free_vgpr 1
		.amdhsa_next_free_sgpr 1
		.amdhsa_named_barrier_count 0
		.amdhsa_reserve_vcc 0
		.amdhsa_float_round_mode_32 0
		.amdhsa_float_round_mode_16_64 0
		.amdhsa_float_denorm_mode_32 3
		.amdhsa_float_denorm_mode_16_64 3
		.amdhsa_fp16_overflow 0
		.amdhsa_memory_ordered 1
		.amdhsa_forward_progress 1
		.amdhsa_inst_pref_size 0
		.amdhsa_round_robin_scheduling 0
		.amdhsa_exception_fp_ieee_invalid_op 0
		.amdhsa_exception_fp_denorm_src 0
		.amdhsa_exception_fp_ieee_div_zero 0
		.amdhsa_exception_fp_ieee_overflow 0
		.amdhsa_exception_fp_ieee_underflow 0
		.amdhsa_exception_fp_ieee_inexact 0
		.amdhsa_exception_int_div_zero 0
	.end_amdhsa_kernel
	.section	.text._ZN7rocprim17ROCPRIM_400000_NS6detail17trampoline_kernelINS0_14default_configENS1_38merge_sort_block_merge_config_selectorIbNS0_10empty_typeEEEZZNS1_27merge_sort_block_merge_implIS3_PbPS5_jNS1_19radix_merge_compareILb1ELb0EbNS0_19identity_decomposerEEEEE10hipError_tT0_T1_T2_jT3_P12ihipStream_tbPNSt15iterator_traitsISE_E10value_typeEPNSK_ISF_E10value_typeEPSG_NS1_7vsmem_tEENKUlT_SE_SF_SG_E_clIS8_S8_S9_S9_EESD_ST_SE_SF_SG_EUlST_E_NS1_11comp_targetILNS1_3genE5ELNS1_11target_archE942ELNS1_3gpuE9ELNS1_3repE0EEENS1_48merge_mergepath_partition_config_static_selectorELNS0_4arch9wavefront6targetE0EEEvSF_,"axG",@progbits,_ZN7rocprim17ROCPRIM_400000_NS6detail17trampoline_kernelINS0_14default_configENS1_38merge_sort_block_merge_config_selectorIbNS0_10empty_typeEEEZZNS1_27merge_sort_block_merge_implIS3_PbPS5_jNS1_19radix_merge_compareILb1ELb0EbNS0_19identity_decomposerEEEEE10hipError_tT0_T1_T2_jT3_P12ihipStream_tbPNSt15iterator_traitsISE_E10value_typeEPNSK_ISF_E10value_typeEPSG_NS1_7vsmem_tEENKUlT_SE_SF_SG_E_clIS8_S8_S9_S9_EESD_ST_SE_SF_SG_EUlST_E_NS1_11comp_targetILNS1_3genE5ELNS1_11target_archE942ELNS1_3gpuE9ELNS1_3repE0EEENS1_48merge_mergepath_partition_config_static_selectorELNS0_4arch9wavefront6targetE0EEEvSF_,comdat
.Lfunc_end1661:
	.size	_ZN7rocprim17ROCPRIM_400000_NS6detail17trampoline_kernelINS0_14default_configENS1_38merge_sort_block_merge_config_selectorIbNS0_10empty_typeEEEZZNS1_27merge_sort_block_merge_implIS3_PbPS5_jNS1_19radix_merge_compareILb1ELb0EbNS0_19identity_decomposerEEEEE10hipError_tT0_T1_T2_jT3_P12ihipStream_tbPNSt15iterator_traitsISE_E10value_typeEPNSK_ISF_E10value_typeEPSG_NS1_7vsmem_tEENKUlT_SE_SF_SG_E_clIS8_S8_S9_S9_EESD_ST_SE_SF_SG_EUlST_E_NS1_11comp_targetILNS1_3genE5ELNS1_11target_archE942ELNS1_3gpuE9ELNS1_3repE0EEENS1_48merge_mergepath_partition_config_static_selectorELNS0_4arch9wavefront6targetE0EEEvSF_, .Lfunc_end1661-_ZN7rocprim17ROCPRIM_400000_NS6detail17trampoline_kernelINS0_14default_configENS1_38merge_sort_block_merge_config_selectorIbNS0_10empty_typeEEEZZNS1_27merge_sort_block_merge_implIS3_PbPS5_jNS1_19radix_merge_compareILb1ELb0EbNS0_19identity_decomposerEEEEE10hipError_tT0_T1_T2_jT3_P12ihipStream_tbPNSt15iterator_traitsISE_E10value_typeEPNSK_ISF_E10value_typeEPSG_NS1_7vsmem_tEENKUlT_SE_SF_SG_E_clIS8_S8_S9_S9_EESD_ST_SE_SF_SG_EUlST_E_NS1_11comp_targetILNS1_3genE5ELNS1_11target_archE942ELNS1_3gpuE9ELNS1_3repE0EEENS1_48merge_mergepath_partition_config_static_selectorELNS0_4arch9wavefront6targetE0EEEvSF_
                                        ; -- End function
	.set _ZN7rocprim17ROCPRIM_400000_NS6detail17trampoline_kernelINS0_14default_configENS1_38merge_sort_block_merge_config_selectorIbNS0_10empty_typeEEEZZNS1_27merge_sort_block_merge_implIS3_PbPS5_jNS1_19radix_merge_compareILb1ELb0EbNS0_19identity_decomposerEEEEE10hipError_tT0_T1_T2_jT3_P12ihipStream_tbPNSt15iterator_traitsISE_E10value_typeEPNSK_ISF_E10value_typeEPSG_NS1_7vsmem_tEENKUlT_SE_SF_SG_E_clIS8_S8_S9_S9_EESD_ST_SE_SF_SG_EUlST_E_NS1_11comp_targetILNS1_3genE5ELNS1_11target_archE942ELNS1_3gpuE9ELNS1_3repE0EEENS1_48merge_mergepath_partition_config_static_selectorELNS0_4arch9wavefront6targetE0EEEvSF_.num_vgpr, 0
	.set _ZN7rocprim17ROCPRIM_400000_NS6detail17trampoline_kernelINS0_14default_configENS1_38merge_sort_block_merge_config_selectorIbNS0_10empty_typeEEEZZNS1_27merge_sort_block_merge_implIS3_PbPS5_jNS1_19radix_merge_compareILb1ELb0EbNS0_19identity_decomposerEEEEE10hipError_tT0_T1_T2_jT3_P12ihipStream_tbPNSt15iterator_traitsISE_E10value_typeEPNSK_ISF_E10value_typeEPSG_NS1_7vsmem_tEENKUlT_SE_SF_SG_E_clIS8_S8_S9_S9_EESD_ST_SE_SF_SG_EUlST_E_NS1_11comp_targetILNS1_3genE5ELNS1_11target_archE942ELNS1_3gpuE9ELNS1_3repE0EEENS1_48merge_mergepath_partition_config_static_selectorELNS0_4arch9wavefront6targetE0EEEvSF_.num_agpr, 0
	.set _ZN7rocprim17ROCPRIM_400000_NS6detail17trampoline_kernelINS0_14default_configENS1_38merge_sort_block_merge_config_selectorIbNS0_10empty_typeEEEZZNS1_27merge_sort_block_merge_implIS3_PbPS5_jNS1_19radix_merge_compareILb1ELb0EbNS0_19identity_decomposerEEEEE10hipError_tT0_T1_T2_jT3_P12ihipStream_tbPNSt15iterator_traitsISE_E10value_typeEPNSK_ISF_E10value_typeEPSG_NS1_7vsmem_tEENKUlT_SE_SF_SG_E_clIS8_S8_S9_S9_EESD_ST_SE_SF_SG_EUlST_E_NS1_11comp_targetILNS1_3genE5ELNS1_11target_archE942ELNS1_3gpuE9ELNS1_3repE0EEENS1_48merge_mergepath_partition_config_static_selectorELNS0_4arch9wavefront6targetE0EEEvSF_.numbered_sgpr, 0
	.set _ZN7rocprim17ROCPRIM_400000_NS6detail17trampoline_kernelINS0_14default_configENS1_38merge_sort_block_merge_config_selectorIbNS0_10empty_typeEEEZZNS1_27merge_sort_block_merge_implIS3_PbPS5_jNS1_19radix_merge_compareILb1ELb0EbNS0_19identity_decomposerEEEEE10hipError_tT0_T1_T2_jT3_P12ihipStream_tbPNSt15iterator_traitsISE_E10value_typeEPNSK_ISF_E10value_typeEPSG_NS1_7vsmem_tEENKUlT_SE_SF_SG_E_clIS8_S8_S9_S9_EESD_ST_SE_SF_SG_EUlST_E_NS1_11comp_targetILNS1_3genE5ELNS1_11target_archE942ELNS1_3gpuE9ELNS1_3repE0EEENS1_48merge_mergepath_partition_config_static_selectorELNS0_4arch9wavefront6targetE0EEEvSF_.num_named_barrier, 0
	.set _ZN7rocprim17ROCPRIM_400000_NS6detail17trampoline_kernelINS0_14default_configENS1_38merge_sort_block_merge_config_selectorIbNS0_10empty_typeEEEZZNS1_27merge_sort_block_merge_implIS3_PbPS5_jNS1_19radix_merge_compareILb1ELb0EbNS0_19identity_decomposerEEEEE10hipError_tT0_T1_T2_jT3_P12ihipStream_tbPNSt15iterator_traitsISE_E10value_typeEPNSK_ISF_E10value_typeEPSG_NS1_7vsmem_tEENKUlT_SE_SF_SG_E_clIS8_S8_S9_S9_EESD_ST_SE_SF_SG_EUlST_E_NS1_11comp_targetILNS1_3genE5ELNS1_11target_archE942ELNS1_3gpuE9ELNS1_3repE0EEENS1_48merge_mergepath_partition_config_static_selectorELNS0_4arch9wavefront6targetE0EEEvSF_.private_seg_size, 0
	.set _ZN7rocprim17ROCPRIM_400000_NS6detail17trampoline_kernelINS0_14default_configENS1_38merge_sort_block_merge_config_selectorIbNS0_10empty_typeEEEZZNS1_27merge_sort_block_merge_implIS3_PbPS5_jNS1_19radix_merge_compareILb1ELb0EbNS0_19identity_decomposerEEEEE10hipError_tT0_T1_T2_jT3_P12ihipStream_tbPNSt15iterator_traitsISE_E10value_typeEPNSK_ISF_E10value_typeEPSG_NS1_7vsmem_tEENKUlT_SE_SF_SG_E_clIS8_S8_S9_S9_EESD_ST_SE_SF_SG_EUlST_E_NS1_11comp_targetILNS1_3genE5ELNS1_11target_archE942ELNS1_3gpuE9ELNS1_3repE0EEENS1_48merge_mergepath_partition_config_static_selectorELNS0_4arch9wavefront6targetE0EEEvSF_.uses_vcc, 0
	.set _ZN7rocprim17ROCPRIM_400000_NS6detail17trampoline_kernelINS0_14default_configENS1_38merge_sort_block_merge_config_selectorIbNS0_10empty_typeEEEZZNS1_27merge_sort_block_merge_implIS3_PbPS5_jNS1_19radix_merge_compareILb1ELb0EbNS0_19identity_decomposerEEEEE10hipError_tT0_T1_T2_jT3_P12ihipStream_tbPNSt15iterator_traitsISE_E10value_typeEPNSK_ISF_E10value_typeEPSG_NS1_7vsmem_tEENKUlT_SE_SF_SG_E_clIS8_S8_S9_S9_EESD_ST_SE_SF_SG_EUlST_E_NS1_11comp_targetILNS1_3genE5ELNS1_11target_archE942ELNS1_3gpuE9ELNS1_3repE0EEENS1_48merge_mergepath_partition_config_static_selectorELNS0_4arch9wavefront6targetE0EEEvSF_.uses_flat_scratch, 0
	.set _ZN7rocprim17ROCPRIM_400000_NS6detail17trampoline_kernelINS0_14default_configENS1_38merge_sort_block_merge_config_selectorIbNS0_10empty_typeEEEZZNS1_27merge_sort_block_merge_implIS3_PbPS5_jNS1_19radix_merge_compareILb1ELb0EbNS0_19identity_decomposerEEEEE10hipError_tT0_T1_T2_jT3_P12ihipStream_tbPNSt15iterator_traitsISE_E10value_typeEPNSK_ISF_E10value_typeEPSG_NS1_7vsmem_tEENKUlT_SE_SF_SG_E_clIS8_S8_S9_S9_EESD_ST_SE_SF_SG_EUlST_E_NS1_11comp_targetILNS1_3genE5ELNS1_11target_archE942ELNS1_3gpuE9ELNS1_3repE0EEENS1_48merge_mergepath_partition_config_static_selectorELNS0_4arch9wavefront6targetE0EEEvSF_.has_dyn_sized_stack, 0
	.set _ZN7rocprim17ROCPRIM_400000_NS6detail17trampoline_kernelINS0_14default_configENS1_38merge_sort_block_merge_config_selectorIbNS0_10empty_typeEEEZZNS1_27merge_sort_block_merge_implIS3_PbPS5_jNS1_19radix_merge_compareILb1ELb0EbNS0_19identity_decomposerEEEEE10hipError_tT0_T1_T2_jT3_P12ihipStream_tbPNSt15iterator_traitsISE_E10value_typeEPNSK_ISF_E10value_typeEPSG_NS1_7vsmem_tEENKUlT_SE_SF_SG_E_clIS8_S8_S9_S9_EESD_ST_SE_SF_SG_EUlST_E_NS1_11comp_targetILNS1_3genE5ELNS1_11target_archE942ELNS1_3gpuE9ELNS1_3repE0EEENS1_48merge_mergepath_partition_config_static_selectorELNS0_4arch9wavefront6targetE0EEEvSF_.has_recursion, 0
	.set _ZN7rocprim17ROCPRIM_400000_NS6detail17trampoline_kernelINS0_14default_configENS1_38merge_sort_block_merge_config_selectorIbNS0_10empty_typeEEEZZNS1_27merge_sort_block_merge_implIS3_PbPS5_jNS1_19radix_merge_compareILb1ELb0EbNS0_19identity_decomposerEEEEE10hipError_tT0_T1_T2_jT3_P12ihipStream_tbPNSt15iterator_traitsISE_E10value_typeEPNSK_ISF_E10value_typeEPSG_NS1_7vsmem_tEENKUlT_SE_SF_SG_E_clIS8_S8_S9_S9_EESD_ST_SE_SF_SG_EUlST_E_NS1_11comp_targetILNS1_3genE5ELNS1_11target_archE942ELNS1_3gpuE9ELNS1_3repE0EEENS1_48merge_mergepath_partition_config_static_selectorELNS0_4arch9wavefront6targetE0EEEvSF_.has_indirect_call, 0
	.section	.AMDGPU.csdata,"",@progbits
; Kernel info:
; codeLenInByte = 0
; TotalNumSgprs: 0
; NumVgprs: 0
; ScratchSize: 0
; MemoryBound: 0
; FloatMode: 240
; IeeeMode: 1
; LDSByteSize: 0 bytes/workgroup (compile time only)
; SGPRBlocks: 0
; VGPRBlocks: 0
; NumSGPRsForWavesPerEU: 1
; NumVGPRsForWavesPerEU: 1
; NamedBarCnt: 0
; Occupancy: 16
; WaveLimiterHint : 0
; COMPUTE_PGM_RSRC2:SCRATCH_EN: 0
; COMPUTE_PGM_RSRC2:USER_SGPR: 2
; COMPUTE_PGM_RSRC2:TRAP_HANDLER: 0
; COMPUTE_PGM_RSRC2:TGID_X_EN: 1
; COMPUTE_PGM_RSRC2:TGID_Y_EN: 0
; COMPUTE_PGM_RSRC2:TGID_Z_EN: 0
; COMPUTE_PGM_RSRC2:TIDIG_COMP_CNT: 0
	.section	.text._ZN7rocprim17ROCPRIM_400000_NS6detail17trampoline_kernelINS0_14default_configENS1_38merge_sort_block_merge_config_selectorIbNS0_10empty_typeEEEZZNS1_27merge_sort_block_merge_implIS3_PbPS5_jNS1_19radix_merge_compareILb1ELb0EbNS0_19identity_decomposerEEEEE10hipError_tT0_T1_T2_jT3_P12ihipStream_tbPNSt15iterator_traitsISE_E10value_typeEPNSK_ISF_E10value_typeEPSG_NS1_7vsmem_tEENKUlT_SE_SF_SG_E_clIS8_S8_S9_S9_EESD_ST_SE_SF_SG_EUlST_E_NS1_11comp_targetILNS1_3genE4ELNS1_11target_archE910ELNS1_3gpuE8ELNS1_3repE0EEENS1_48merge_mergepath_partition_config_static_selectorELNS0_4arch9wavefront6targetE0EEEvSF_,"axG",@progbits,_ZN7rocprim17ROCPRIM_400000_NS6detail17trampoline_kernelINS0_14default_configENS1_38merge_sort_block_merge_config_selectorIbNS0_10empty_typeEEEZZNS1_27merge_sort_block_merge_implIS3_PbPS5_jNS1_19radix_merge_compareILb1ELb0EbNS0_19identity_decomposerEEEEE10hipError_tT0_T1_T2_jT3_P12ihipStream_tbPNSt15iterator_traitsISE_E10value_typeEPNSK_ISF_E10value_typeEPSG_NS1_7vsmem_tEENKUlT_SE_SF_SG_E_clIS8_S8_S9_S9_EESD_ST_SE_SF_SG_EUlST_E_NS1_11comp_targetILNS1_3genE4ELNS1_11target_archE910ELNS1_3gpuE8ELNS1_3repE0EEENS1_48merge_mergepath_partition_config_static_selectorELNS0_4arch9wavefront6targetE0EEEvSF_,comdat
	.protected	_ZN7rocprim17ROCPRIM_400000_NS6detail17trampoline_kernelINS0_14default_configENS1_38merge_sort_block_merge_config_selectorIbNS0_10empty_typeEEEZZNS1_27merge_sort_block_merge_implIS3_PbPS5_jNS1_19radix_merge_compareILb1ELb0EbNS0_19identity_decomposerEEEEE10hipError_tT0_T1_T2_jT3_P12ihipStream_tbPNSt15iterator_traitsISE_E10value_typeEPNSK_ISF_E10value_typeEPSG_NS1_7vsmem_tEENKUlT_SE_SF_SG_E_clIS8_S8_S9_S9_EESD_ST_SE_SF_SG_EUlST_E_NS1_11comp_targetILNS1_3genE4ELNS1_11target_archE910ELNS1_3gpuE8ELNS1_3repE0EEENS1_48merge_mergepath_partition_config_static_selectorELNS0_4arch9wavefront6targetE0EEEvSF_ ; -- Begin function _ZN7rocprim17ROCPRIM_400000_NS6detail17trampoline_kernelINS0_14default_configENS1_38merge_sort_block_merge_config_selectorIbNS0_10empty_typeEEEZZNS1_27merge_sort_block_merge_implIS3_PbPS5_jNS1_19radix_merge_compareILb1ELb0EbNS0_19identity_decomposerEEEEE10hipError_tT0_T1_T2_jT3_P12ihipStream_tbPNSt15iterator_traitsISE_E10value_typeEPNSK_ISF_E10value_typeEPSG_NS1_7vsmem_tEENKUlT_SE_SF_SG_E_clIS8_S8_S9_S9_EESD_ST_SE_SF_SG_EUlST_E_NS1_11comp_targetILNS1_3genE4ELNS1_11target_archE910ELNS1_3gpuE8ELNS1_3repE0EEENS1_48merge_mergepath_partition_config_static_selectorELNS0_4arch9wavefront6targetE0EEEvSF_
	.globl	_ZN7rocprim17ROCPRIM_400000_NS6detail17trampoline_kernelINS0_14default_configENS1_38merge_sort_block_merge_config_selectorIbNS0_10empty_typeEEEZZNS1_27merge_sort_block_merge_implIS3_PbPS5_jNS1_19radix_merge_compareILb1ELb0EbNS0_19identity_decomposerEEEEE10hipError_tT0_T1_T2_jT3_P12ihipStream_tbPNSt15iterator_traitsISE_E10value_typeEPNSK_ISF_E10value_typeEPSG_NS1_7vsmem_tEENKUlT_SE_SF_SG_E_clIS8_S8_S9_S9_EESD_ST_SE_SF_SG_EUlST_E_NS1_11comp_targetILNS1_3genE4ELNS1_11target_archE910ELNS1_3gpuE8ELNS1_3repE0EEENS1_48merge_mergepath_partition_config_static_selectorELNS0_4arch9wavefront6targetE0EEEvSF_
	.p2align	8
	.type	_ZN7rocprim17ROCPRIM_400000_NS6detail17trampoline_kernelINS0_14default_configENS1_38merge_sort_block_merge_config_selectorIbNS0_10empty_typeEEEZZNS1_27merge_sort_block_merge_implIS3_PbPS5_jNS1_19radix_merge_compareILb1ELb0EbNS0_19identity_decomposerEEEEE10hipError_tT0_T1_T2_jT3_P12ihipStream_tbPNSt15iterator_traitsISE_E10value_typeEPNSK_ISF_E10value_typeEPSG_NS1_7vsmem_tEENKUlT_SE_SF_SG_E_clIS8_S8_S9_S9_EESD_ST_SE_SF_SG_EUlST_E_NS1_11comp_targetILNS1_3genE4ELNS1_11target_archE910ELNS1_3gpuE8ELNS1_3repE0EEENS1_48merge_mergepath_partition_config_static_selectorELNS0_4arch9wavefront6targetE0EEEvSF_,@function
_ZN7rocprim17ROCPRIM_400000_NS6detail17trampoline_kernelINS0_14default_configENS1_38merge_sort_block_merge_config_selectorIbNS0_10empty_typeEEEZZNS1_27merge_sort_block_merge_implIS3_PbPS5_jNS1_19radix_merge_compareILb1ELb0EbNS0_19identity_decomposerEEEEE10hipError_tT0_T1_T2_jT3_P12ihipStream_tbPNSt15iterator_traitsISE_E10value_typeEPNSK_ISF_E10value_typeEPSG_NS1_7vsmem_tEENKUlT_SE_SF_SG_E_clIS8_S8_S9_S9_EESD_ST_SE_SF_SG_EUlST_E_NS1_11comp_targetILNS1_3genE4ELNS1_11target_archE910ELNS1_3gpuE8ELNS1_3repE0EEENS1_48merge_mergepath_partition_config_static_selectorELNS0_4arch9wavefront6targetE0EEEvSF_: ; @_ZN7rocprim17ROCPRIM_400000_NS6detail17trampoline_kernelINS0_14default_configENS1_38merge_sort_block_merge_config_selectorIbNS0_10empty_typeEEEZZNS1_27merge_sort_block_merge_implIS3_PbPS5_jNS1_19radix_merge_compareILb1ELb0EbNS0_19identity_decomposerEEEEE10hipError_tT0_T1_T2_jT3_P12ihipStream_tbPNSt15iterator_traitsISE_E10value_typeEPNSK_ISF_E10value_typeEPSG_NS1_7vsmem_tEENKUlT_SE_SF_SG_E_clIS8_S8_S9_S9_EESD_ST_SE_SF_SG_EUlST_E_NS1_11comp_targetILNS1_3genE4ELNS1_11target_archE910ELNS1_3gpuE8ELNS1_3repE0EEENS1_48merge_mergepath_partition_config_static_selectorELNS0_4arch9wavefront6targetE0EEEvSF_
; %bb.0:
	.section	.rodata,"a",@progbits
	.p2align	6, 0x0
	.amdhsa_kernel _ZN7rocprim17ROCPRIM_400000_NS6detail17trampoline_kernelINS0_14default_configENS1_38merge_sort_block_merge_config_selectorIbNS0_10empty_typeEEEZZNS1_27merge_sort_block_merge_implIS3_PbPS5_jNS1_19radix_merge_compareILb1ELb0EbNS0_19identity_decomposerEEEEE10hipError_tT0_T1_T2_jT3_P12ihipStream_tbPNSt15iterator_traitsISE_E10value_typeEPNSK_ISF_E10value_typeEPSG_NS1_7vsmem_tEENKUlT_SE_SF_SG_E_clIS8_S8_S9_S9_EESD_ST_SE_SF_SG_EUlST_E_NS1_11comp_targetILNS1_3genE4ELNS1_11target_archE910ELNS1_3gpuE8ELNS1_3repE0EEENS1_48merge_mergepath_partition_config_static_selectorELNS0_4arch9wavefront6targetE0EEEvSF_
		.amdhsa_group_segment_fixed_size 0
		.amdhsa_private_segment_fixed_size 0
		.amdhsa_kernarg_size 40
		.amdhsa_user_sgpr_count 2
		.amdhsa_user_sgpr_dispatch_ptr 0
		.amdhsa_user_sgpr_queue_ptr 0
		.amdhsa_user_sgpr_kernarg_segment_ptr 1
		.amdhsa_user_sgpr_dispatch_id 0
		.amdhsa_user_sgpr_kernarg_preload_length 0
		.amdhsa_user_sgpr_kernarg_preload_offset 0
		.amdhsa_user_sgpr_private_segment_size 0
		.amdhsa_wavefront_size32 1
		.amdhsa_uses_dynamic_stack 0
		.amdhsa_enable_private_segment 0
		.amdhsa_system_sgpr_workgroup_id_x 1
		.amdhsa_system_sgpr_workgroup_id_y 0
		.amdhsa_system_sgpr_workgroup_id_z 0
		.amdhsa_system_sgpr_workgroup_info 0
		.amdhsa_system_vgpr_workitem_id 0
		.amdhsa_next_free_vgpr 1
		.amdhsa_next_free_sgpr 1
		.amdhsa_named_barrier_count 0
		.amdhsa_reserve_vcc 0
		.amdhsa_float_round_mode_32 0
		.amdhsa_float_round_mode_16_64 0
		.amdhsa_float_denorm_mode_32 3
		.amdhsa_float_denorm_mode_16_64 3
		.amdhsa_fp16_overflow 0
		.amdhsa_memory_ordered 1
		.amdhsa_forward_progress 1
		.amdhsa_inst_pref_size 0
		.amdhsa_round_robin_scheduling 0
		.amdhsa_exception_fp_ieee_invalid_op 0
		.amdhsa_exception_fp_denorm_src 0
		.amdhsa_exception_fp_ieee_div_zero 0
		.amdhsa_exception_fp_ieee_overflow 0
		.amdhsa_exception_fp_ieee_underflow 0
		.amdhsa_exception_fp_ieee_inexact 0
		.amdhsa_exception_int_div_zero 0
	.end_amdhsa_kernel
	.section	.text._ZN7rocprim17ROCPRIM_400000_NS6detail17trampoline_kernelINS0_14default_configENS1_38merge_sort_block_merge_config_selectorIbNS0_10empty_typeEEEZZNS1_27merge_sort_block_merge_implIS3_PbPS5_jNS1_19radix_merge_compareILb1ELb0EbNS0_19identity_decomposerEEEEE10hipError_tT0_T1_T2_jT3_P12ihipStream_tbPNSt15iterator_traitsISE_E10value_typeEPNSK_ISF_E10value_typeEPSG_NS1_7vsmem_tEENKUlT_SE_SF_SG_E_clIS8_S8_S9_S9_EESD_ST_SE_SF_SG_EUlST_E_NS1_11comp_targetILNS1_3genE4ELNS1_11target_archE910ELNS1_3gpuE8ELNS1_3repE0EEENS1_48merge_mergepath_partition_config_static_selectorELNS0_4arch9wavefront6targetE0EEEvSF_,"axG",@progbits,_ZN7rocprim17ROCPRIM_400000_NS6detail17trampoline_kernelINS0_14default_configENS1_38merge_sort_block_merge_config_selectorIbNS0_10empty_typeEEEZZNS1_27merge_sort_block_merge_implIS3_PbPS5_jNS1_19radix_merge_compareILb1ELb0EbNS0_19identity_decomposerEEEEE10hipError_tT0_T1_T2_jT3_P12ihipStream_tbPNSt15iterator_traitsISE_E10value_typeEPNSK_ISF_E10value_typeEPSG_NS1_7vsmem_tEENKUlT_SE_SF_SG_E_clIS8_S8_S9_S9_EESD_ST_SE_SF_SG_EUlST_E_NS1_11comp_targetILNS1_3genE4ELNS1_11target_archE910ELNS1_3gpuE8ELNS1_3repE0EEENS1_48merge_mergepath_partition_config_static_selectorELNS0_4arch9wavefront6targetE0EEEvSF_,comdat
.Lfunc_end1662:
	.size	_ZN7rocprim17ROCPRIM_400000_NS6detail17trampoline_kernelINS0_14default_configENS1_38merge_sort_block_merge_config_selectorIbNS0_10empty_typeEEEZZNS1_27merge_sort_block_merge_implIS3_PbPS5_jNS1_19radix_merge_compareILb1ELb0EbNS0_19identity_decomposerEEEEE10hipError_tT0_T1_T2_jT3_P12ihipStream_tbPNSt15iterator_traitsISE_E10value_typeEPNSK_ISF_E10value_typeEPSG_NS1_7vsmem_tEENKUlT_SE_SF_SG_E_clIS8_S8_S9_S9_EESD_ST_SE_SF_SG_EUlST_E_NS1_11comp_targetILNS1_3genE4ELNS1_11target_archE910ELNS1_3gpuE8ELNS1_3repE0EEENS1_48merge_mergepath_partition_config_static_selectorELNS0_4arch9wavefront6targetE0EEEvSF_, .Lfunc_end1662-_ZN7rocprim17ROCPRIM_400000_NS6detail17trampoline_kernelINS0_14default_configENS1_38merge_sort_block_merge_config_selectorIbNS0_10empty_typeEEEZZNS1_27merge_sort_block_merge_implIS3_PbPS5_jNS1_19radix_merge_compareILb1ELb0EbNS0_19identity_decomposerEEEEE10hipError_tT0_T1_T2_jT3_P12ihipStream_tbPNSt15iterator_traitsISE_E10value_typeEPNSK_ISF_E10value_typeEPSG_NS1_7vsmem_tEENKUlT_SE_SF_SG_E_clIS8_S8_S9_S9_EESD_ST_SE_SF_SG_EUlST_E_NS1_11comp_targetILNS1_3genE4ELNS1_11target_archE910ELNS1_3gpuE8ELNS1_3repE0EEENS1_48merge_mergepath_partition_config_static_selectorELNS0_4arch9wavefront6targetE0EEEvSF_
                                        ; -- End function
	.set _ZN7rocprim17ROCPRIM_400000_NS6detail17trampoline_kernelINS0_14default_configENS1_38merge_sort_block_merge_config_selectorIbNS0_10empty_typeEEEZZNS1_27merge_sort_block_merge_implIS3_PbPS5_jNS1_19radix_merge_compareILb1ELb0EbNS0_19identity_decomposerEEEEE10hipError_tT0_T1_T2_jT3_P12ihipStream_tbPNSt15iterator_traitsISE_E10value_typeEPNSK_ISF_E10value_typeEPSG_NS1_7vsmem_tEENKUlT_SE_SF_SG_E_clIS8_S8_S9_S9_EESD_ST_SE_SF_SG_EUlST_E_NS1_11comp_targetILNS1_3genE4ELNS1_11target_archE910ELNS1_3gpuE8ELNS1_3repE0EEENS1_48merge_mergepath_partition_config_static_selectorELNS0_4arch9wavefront6targetE0EEEvSF_.num_vgpr, 0
	.set _ZN7rocprim17ROCPRIM_400000_NS6detail17trampoline_kernelINS0_14default_configENS1_38merge_sort_block_merge_config_selectorIbNS0_10empty_typeEEEZZNS1_27merge_sort_block_merge_implIS3_PbPS5_jNS1_19radix_merge_compareILb1ELb0EbNS0_19identity_decomposerEEEEE10hipError_tT0_T1_T2_jT3_P12ihipStream_tbPNSt15iterator_traitsISE_E10value_typeEPNSK_ISF_E10value_typeEPSG_NS1_7vsmem_tEENKUlT_SE_SF_SG_E_clIS8_S8_S9_S9_EESD_ST_SE_SF_SG_EUlST_E_NS1_11comp_targetILNS1_3genE4ELNS1_11target_archE910ELNS1_3gpuE8ELNS1_3repE0EEENS1_48merge_mergepath_partition_config_static_selectorELNS0_4arch9wavefront6targetE0EEEvSF_.num_agpr, 0
	.set _ZN7rocprim17ROCPRIM_400000_NS6detail17trampoline_kernelINS0_14default_configENS1_38merge_sort_block_merge_config_selectorIbNS0_10empty_typeEEEZZNS1_27merge_sort_block_merge_implIS3_PbPS5_jNS1_19radix_merge_compareILb1ELb0EbNS0_19identity_decomposerEEEEE10hipError_tT0_T1_T2_jT3_P12ihipStream_tbPNSt15iterator_traitsISE_E10value_typeEPNSK_ISF_E10value_typeEPSG_NS1_7vsmem_tEENKUlT_SE_SF_SG_E_clIS8_S8_S9_S9_EESD_ST_SE_SF_SG_EUlST_E_NS1_11comp_targetILNS1_3genE4ELNS1_11target_archE910ELNS1_3gpuE8ELNS1_3repE0EEENS1_48merge_mergepath_partition_config_static_selectorELNS0_4arch9wavefront6targetE0EEEvSF_.numbered_sgpr, 0
	.set _ZN7rocprim17ROCPRIM_400000_NS6detail17trampoline_kernelINS0_14default_configENS1_38merge_sort_block_merge_config_selectorIbNS0_10empty_typeEEEZZNS1_27merge_sort_block_merge_implIS3_PbPS5_jNS1_19radix_merge_compareILb1ELb0EbNS0_19identity_decomposerEEEEE10hipError_tT0_T1_T2_jT3_P12ihipStream_tbPNSt15iterator_traitsISE_E10value_typeEPNSK_ISF_E10value_typeEPSG_NS1_7vsmem_tEENKUlT_SE_SF_SG_E_clIS8_S8_S9_S9_EESD_ST_SE_SF_SG_EUlST_E_NS1_11comp_targetILNS1_3genE4ELNS1_11target_archE910ELNS1_3gpuE8ELNS1_3repE0EEENS1_48merge_mergepath_partition_config_static_selectorELNS0_4arch9wavefront6targetE0EEEvSF_.num_named_barrier, 0
	.set _ZN7rocprim17ROCPRIM_400000_NS6detail17trampoline_kernelINS0_14default_configENS1_38merge_sort_block_merge_config_selectorIbNS0_10empty_typeEEEZZNS1_27merge_sort_block_merge_implIS3_PbPS5_jNS1_19radix_merge_compareILb1ELb0EbNS0_19identity_decomposerEEEEE10hipError_tT0_T1_T2_jT3_P12ihipStream_tbPNSt15iterator_traitsISE_E10value_typeEPNSK_ISF_E10value_typeEPSG_NS1_7vsmem_tEENKUlT_SE_SF_SG_E_clIS8_S8_S9_S9_EESD_ST_SE_SF_SG_EUlST_E_NS1_11comp_targetILNS1_3genE4ELNS1_11target_archE910ELNS1_3gpuE8ELNS1_3repE0EEENS1_48merge_mergepath_partition_config_static_selectorELNS0_4arch9wavefront6targetE0EEEvSF_.private_seg_size, 0
	.set _ZN7rocprim17ROCPRIM_400000_NS6detail17trampoline_kernelINS0_14default_configENS1_38merge_sort_block_merge_config_selectorIbNS0_10empty_typeEEEZZNS1_27merge_sort_block_merge_implIS3_PbPS5_jNS1_19radix_merge_compareILb1ELb0EbNS0_19identity_decomposerEEEEE10hipError_tT0_T1_T2_jT3_P12ihipStream_tbPNSt15iterator_traitsISE_E10value_typeEPNSK_ISF_E10value_typeEPSG_NS1_7vsmem_tEENKUlT_SE_SF_SG_E_clIS8_S8_S9_S9_EESD_ST_SE_SF_SG_EUlST_E_NS1_11comp_targetILNS1_3genE4ELNS1_11target_archE910ELNS1_3gpuE8ELNS1_3repE0EEENS1_48merge_mergepath_partition_config_static_selectorELNS0_4arch9wavefront6targetE0EEEvSF_.uses_vcc, 0
	.set _ZN7rocprim17ROCPRIM_400000_NS6detail17trampoline_kernelINS0_14default_configENS1_38merge_sort_block_merge_config_selectorIbNS0_10empty_typeEEEZZNS1_27merge_sort_block_merge_implIS3_PbPS5_jNS1_19radix_merge_compareILb1ELb0EbNS0_19identity_decomposerEEEEE10hipError_tT0_T1_T2_jT3_P12ihipStream_tbPNSt15iterator_traitsISE_E10value_typeEPNSK_ISF_E10value_typeEPSG_NS1_7vsmem_tEENKUlT_SE_SF_SG_E_clIS8_S8_S9_S9_EESD_ST_SE_SF_SG_EUlST_E_NS1_11comp_targetILNS1_3genE4ELNS1_11target_archE910ELNS1_3gpuE8ELNS1_3repE0EEENS1_48merge_mergepath_partition_config_static_selectorELNS0_4arch9wavefront6targetE0EEEvSF_.uses_flat_scratch, 0
	.set _ZN7rocprim17ROCPRIM_400000_NS6detail17trampoline_kernelINS0_14default_configENS1_38merge_sort_block_merge_config_selectorIbNS0_10empty_typeEEEZZNS1_27merge_sort_block_merge_implIS3_PbPS5_jNS1_19radix_merge_compareILb1ELb0EbNS0_19identity_decomposerEEEEE10hipError_tT0_T1_T2_jT3_P12ihipStream_tbPNSt15iterator_traitsISE_E10value_typeEPNSK_ISF_E10value_typeEPSG_NS1_7vsmem_tEENKUlT_SE_SF_SG_E_clIS8_S8_S9_S9_EESD_ST_SE_SF_SG_EUlST_E_NS1_11comp_targetILNS1_3genE4ELNS1_11target_archE910ELNS1_3gpuE8ELNS1_3repE0EEENS1_48merge_mergepath_partition_config_static_selectorELNS0_4arch9wavefront6targetE0EEEvSF_.has_dyn_sized_stack, 0
	.set _ZN7rocprim17ROCPRIM_400000_NS6detail17trampoline_kernelINS0_14default_configENS1_38merge_sort_block_merge_config_selectorIbNS0_10empty_typeEEEZZNS1_27merge_sort_block_merge_implIS3_PbPS5_jNS1_19radix_merge_compareILb1ELb0EbNS0_19identity_decomposerEEEEE10hipError_tT0_T1_T2_jT3_P12ihipStream_tbPNSt15iterator_traitsISE_E10value_typeEPNSK_ISF_E10value_typeEPSG_NS1_7vsmem_tEENKUlT_SE_SF_SG_E_clIS8_S8_S9_S9_EESD_ST_SE_SF_SG_EUlST_E_NS1_11comp_targetILNS1_3genE4ELNS1_11target_archE910ELNS1_3gpuE8ELNS1_3repE0EEENS1_48merge_mergepath_partition_config_static_selectorELNS0_4arch9wavefront6targetE0EEEvSF_.has_recursion, 0
	.set _ZN7rocprim17ROCPRIM_400000_NS6detail17trampoline_kernelINS0_14default_configENS1_38merge_sort_block_merge_config_selectorIbNS0_10empty_typeEEEZZNS1_27merge_sort_block_merge_implIS3_PbPS5_jNS1_19radix_merge_compareILb1ELb0EbNS0_19identity_decomposerEEEEE10hipError_tT0_T1_T2_jT3_P12ihipStream_tbPNSt15iterator_traitsISE_E10value_typeEPNSK_ISF_E10value_typeEPSG_NS1_7vsmem_tEENKUlT_SE_SF_SG_E_clIS8_S8_S9_S9_EESD_ST_SE_SF_SG_EUlST_E_NS1_11comp_targetILNS1_3genE4ELNS1_11target_archE910ELNS1_3gpuE8ELNS1_3repE0EEENS1_48merge_mergepath_partition_config_static_selectorELNS0_4arch9wavefront6targetE0EEEvSF_.has_indirect_call, 0
	.section	.AMDGPU.csdata,"",@progbits
; Kernel info:
; codeLenInByte = 0
; TotalNumSgprs: 0
; NumVgprs: 0
; ScratchSize: 0
; MemoryBound: 0
; FloatMode: 240
; IeeeMode: 1
; LDSByteSize: 0 bytes/workgroup (compile time only)
; SGPRBlocks: 0
; VGPRBlocks: 0
; NumSGPRsForWavesPerEU: 1
; NumVGPRsForWavesPerEU: 1
; NamedBarCnt: 0
; Occupancy: 16
; WaveLimiterHint : 0
; COMPUTE_PGM_RSRC2:SCRATCH_EN: 0
; COMPUTE_PGM_RSRC2:USER_SGPR: 2
; COMPUTE_PGM_RSRC2:TRAP_HANDLER: 0
; COMPUTE_PGM_RSRC2:TGID_X_EN: 1
; COMPUTE_PGM_RSRC2:TGID_Y_EN: 0
; COMPUTE_PGM_RSRC2:TGID_Z_EN: 0
; COMPUTE_PGM_RSRC2:TIDIG_COMP_CNT: 0
	.section	.text._ZN7rocprim17ROCPRIM_400000_NS6detail17trampoline_kernelINS0_14default_configENS1_38merge_sort_block_merge_config_selectorIbNS0_10empty_typeEEEZZNS1_27merge_sort_block_merge_implIS3_PbPS5_jNS1_19radix_merge_compareILb1ELb0EbNS0_19identity_decomposerEEEEE10hipError_tT0_T1_T2_jT3_P12ihipStream_tbPNSt15iterator_traitsISE_E10value_typeEPNSK_ISF_E10value_typeEPSG_NS1_7vsmem_tEENKUlT_SE_SF_SG_E_clIS8_S8_S9_S9_EESD_ST_SE_SF_SG_EUlST_E_NS1_11comp_targetILNS1_3genE3ELNS1_11target_archE908ELNS1_3gpuE7ELNS1_3repE0EEENS1_48merge_mergepath_partition_config_static_selectorELNS0_4arch9wavefront6targetE0EEEvSF_,"axG",@progbits,_ZN7rocprim17ROCPRIM_400000_NS6detail17trampoline_kernelINS0_14default_configENS1_38merge_sort_block_merge_config_selectorIbNS0_10empty_typeEEEZZNS1_27merge_sort_block_merge_implIS3_PbPS5_jNS1_19radix_merge_compareILb1ELb0EbNS0_19identity_decomposerEEEEE10hipError_tT0_T1_T2_jT3_P12ihipStream_tbPNSt15iterator_traitsISE_E10value_typeEPNSK_ISF_E10value_typeEPSG_NS1_7vsmem_tEENKUlT_SE_SF_SG_E_clIS8_S8_S9_S9_EESD_ST_SE_SF_SG_EUlST_E_NS1_11comp_targetILNS1_3genE3ELNS1_11target_archE908ELNS1_3gpuE7ELNS1_3repE0EEENS1_48merge_mergepath_partition_config_static_selectorELNS0_4arch9wavefront6targetE0EEEvSF_,comdat
	.protected	_ZN7rocprim17ROCPRIM_400000_NS6detail17trampoline_kernelINS0_14default_configENS1_38merge_sort_block_merge_config_selectorIbNS0_10empty_typeEEEZZNS1_27merge_sort_block_merge_implIS3_PbPS5_jNS1_19radix_merge_compareILb1ELb0EbNS0_19identity_decomposerEEEEE10hipError_tT0_T1_T2_jT3_P12ihipStream_tbPNSt15iterator_traitsISE_E10value_typeEPNSK_ISF_E10value_typeEPSG_NS1_7vsmem_tEENKUlT_SE_SF_SG_E_clIS8_S8_S9_S9_EESD_ST_SE_SF_SG_EUlST_E_NS1_11comp_targetILNS1_3genE3ELNS1_11target_archE908ELNS1_3gpuE7ELNS1_3repE0EEENS1_48merge_mergepath_partition_config_static_selectorELNS0_4arch9wavefront6targetE0EEEvSF_ ; -- Begin function _ZN7rocprim17ROCPRIM_400000_NS6detail17trampoline_kernelINS0_14default_configENS1_38merge_sort_block_merge_config_selectorIbNS0_10empty_typeEEEZZNS1_27merge_sort_block_merge_implIS3_PbPS5_jNS1_19radix_merge_compareILb1ELb0EbNS0_19identity_decomposerEEEEE10hipError_tT0_T1_T2_jT3_P12ihipStream_tbPNSt15iterator_traitsISE_E10value_typeEPNSK_ISF_E10value_typeEPSG_NS1_7vsmem_tEENKUlT_SE_SF_SG_E_clIS8_S8_S9_S9_EESD_ST_SE_SF_SG_EUlST_E_NS1_11comp_targetILNS1_3genE3ELNS1_11target_archE908ELNS1_3gpuE7ELNS1_3repE0EEENS1_48merge_mergepath_partition_config_static_selectorELNS0_4arch9wavefront6targetE0EEEvSF_
	.globl	_ZN7rocprim17ROCPRIM_400000_NS6detail17trampoline_kernelINS0_14default_configENS1_38merge_sort_block_merge_config_selectorIbNS0_10empty_typeEEEZZNS1_27merge_sort_block_merge_implIS3_PbPS5_jNS1_19radix_merge_compareILb1ELb0EbNS0_19identity_decomposerEEEEE10hipError_tT0_T1_T2_jT3_P12ihipStream_tbPNSt15iterator_traitsISE_E10value_typeEPNSK_ISF_E10value_typeEPSG_NS1_7vsmem_tEENKUlT_SE_SF_SG_E_clIS8_S8_S9_S9_EESD_ST_SE_SF_SG_EUlST_E_NS1_11comp_targetILNS1_3genE3ELNS1_11target_archE908ELNS1_3gpuE7ELNS1_3repE0EEENS1_48merge_mergepath_partition_config_static_selectorELNS0_4arch9wavefront6targetE0EEEvSF_
	.p2align	8
	.type	_ZN7rocprim17ROCPRIM_400000_NS6detail17trampoline_kernelINS0_14default_configENS1_38merge_sort_block_merge_config_selectorIbNS0_10empty_typeEEEZZNS1_27merge_sort_block_merge_implIS3_PbPS5_jNS1_19radix_merge_compareILb1ELb0EbNS0_19identity_decomposerEEEEE10hipError_tT0_T1_T2_jT3_P12ihipStream_tbPNSt15iterator_traitsISE_E10value_typeEPNSK_ISF_E10value_typeEPSG_NS1_7vsmem_tEENKUlT_SE_SF_SG_E_clIS8_S8_S9_S9_EESD_ST_SE_SF_SG_EUlST_E_NS1_11comp_targetILNS1_3genE3ELNS1_11target_archE908ELNS1_3gpuE7ELNS1_3repE0EEENS1_48merge_mergepath_partition_config_static_selectorELNS0_4arch9wavefront6targetE0EEEvSF_,@function
_ZN7rocprim17ROCPRIM_400000_NS6detail17trampoline_kernelINS0_14default_configENS1_38merge_sort_block_merge_config_selectorIbNS0_10empty_typeEEEZZNS1_27merge_sort_block_merge_implIS3_PbPS5_jNS1_19radix_merge_compareILb1ELb0EbNS0_19identity_decomposerEEEEE10hipError_tT0_T1_T2_jT3_P12ihipStream_tbPNSt15iterator_traitsISE_E10value_typeEPNSK_ISF_E10value_typeEPSG_NS1_7vsmem_tEENKUlT_SE_SF_SG_E_clIS8_S8_S9_S9_EESD_ST_SE_SF_SG_EUlST_E_NS1_11comp_targetILNS1_3genE3ELNS1_11target_archE908ELNS1_3gpuE7ELNS1_3repE0EEENS1_48merge_mergepath_partition_config_static_selectorELNS0_4arch9wavefront6targetE0EEEvSF_: ; @_ZN7rocprim17ROCPRIM_400000_NS6detail17trampoline_kernelINS0_14default_configENS1_38merge_sort_block_merge_config_selectorIbNS0_10empty_typeEEEZZNS1_27merge_sort_block_merge_implIS3_PbPS5_jNS1_19radix_merge_compareILb1ELb0EbNS0_19identity_decomposerEEEEE10hipError_tT0_T1_T2_jT3_P12ihipStream_tbPNSt15iterator_traitsISE_E10value_typeEPNSK_ISF_E10value_typeEPSG_NS1_7vsmem_tEENKUlT_SE_SF_SG_E_clIS8_S8_S9_S9_EESD_ST_SE_SF_SG_EUlST_E_NS1_11comp_targetILNS1_3genE3ELNS1_11target_archE908ELNS1_3gpuE7ELNS1_3repE0EEENS1_48merge_mergepath_partition_config_static_selectorELNS0_4arch9wavefront6targetE0EEEvSF_
; %bb.0:
	.section	.rodata,"a",@progbits
	.p2align	6, 0x0
	.amdhsa_kernel _ZN7rocprim17ROCPRIM_400000_NS6detail17trampoline_kernelINS0_14default_configENS1_38merge_sort_block_merge_config_selectorIbNS0_10empty_typeEEEZZNS1_27merge_sort_block_merge_implIS3_PbPS5_jNS1_19radix_merge_compareILb1ELb0EbNS0_19identity_decomposerEEEEE10hipError_tT0_T1_T2_jT3_P12ihipStream_tbPNSt15iterator_traitsISE_E10value_typeEPNSK_ISF_E10value_typeEPSG_NS1_7vsmem_tEENKUlT_SE_SF_SG_E_clIS8_S8_S9_S9_EESD_ST_SE_SF_SG_EUlST_E_NS1_11comp_targetILNS1_3genE3ELNS1_11target_archE908ELNS1_3gpuE7ELNS1_3repE0EEENS1_48merge_mergepath_partition_config_static_selectorELNS0_4arch9wavefront6targetE0EEEvSF_
		.amdhsa_group_segment_fixed_size 0
		.amdhsa_private_segment_fixed_size 0
		.amdhsa_kernarg_size 40
		.amdhsa_user_sgpr_count 2
		.amdhsa_user_sgpr_dispatch_ptr 0
		.amdhsa_user_sgpr_queue_ptr 0
		.amdhsa_user_sgpr_kernarg_segment_ptr 1
		.amdhsa_user_sgpr_dispatch_id 0
		.amdhsa_user_sgpr_kernarg_preload_length 0
		.amdhsa_user_sgpr_kernarg_preload_offset 0
		.amdhsa_user_sgpr_private_segment_size 0
		.amdhsa_wavefront_size32 1
		.amdhsa_uses_dynamic_stack 0
		.amdhsa_enable_private_segment 0
		.amdhsa_system_sgpr_workgroup_id_x 1
		.amdhsa_system_sgpr_workgroup_id_y 0
		.amdhsa_system_sgpr_workgroup_id_z 0
		.amdhsa_system_sgpr_workgroup_info 0
		.amdhsa_system_vgpr_workitem_id 0
		.amdhsa_next_free_vgpr 1
		.amdhsa_next_free_sgpr 1
		.amdhsa_named_barrier_count 0
		.amdhsa_reserve_vcc 0
		.amdhsa_float_round_mode_32 0
		.amdhsa_float_round_mode_16_64 0
		.amdhsa_float_denorm_mode_32 3
		.amdhsa_float_denorm_mode_16_64 3
		.amdhsa_fp16_overflow 0
		.amdhsa_memory_ordered 1
		.amdhsa_forward_progress 1
		.amdhsa_inst_pref_size 0
		.amdhsa_round_robin_scheduling 0
		.amdhsa_exception_fp_ieee_invalid_op 0
		.amdhsa_exception_fp_denorm_src 0
		.amdhsa_exception_fp_ieee_div_zero 0
		.amdhsa_exception_fp_ieee_overflow 0
		.amdhsa_exception_fp_ieee_underflow 0
		.amdhsa_exception_fp_ieee_inexact 0
		.amdhsa_exception_int_div_zero 0
	.end_amdhsa_kernel
	.section	.text._ZN7rocprim17ROCPRIM_400000_NS6detail17trampoline_kernelINS0_14default_configENS1_38merge_sort_block_merge_config_selectorIbNS0_10empty_typeEEEZZNS1_27merge_sort_block_merge_implIS3_PbPS5_jNS1_19radix_merge_compareILb1ELb0EbNS0_19identity_decomposerEEEEE10hipError_tT0_T1_T2_jT3_P12ihipStream_tbPNSt15iterator_traitsISE_E10value_typeEPNSK_ISF_E10value_typeEPSG_NS1_7vsmem_tEENKUlT_SE_SF_SG_E_clIS8_S8_S9_S9_EESD_ST_SE_SF_SG_EUlST_E_NS1_11comp_targetILNS1_3genE3ELNS1_11target_archE908ELNS1_3gpuE7ELNS1_3repE0EEENS1_48merge_mergepath_partition_config_static_selectorELNS0_4arch9wavefront6targetE0EEEvSF_,"axG",@progbits,_ZN7rocprim17ROCPRIM_400000_NS6detail17trampoline_kernelINS0_14default_configENS1_38merge_sort_block_merge_config_selectorIbNS0_10empty_typeEEEZZNS1_27merge_sort_block_merge_implIS3_PbPS5_jNS1_19radix_merge_compareILb1ELb0EbNS0_19identity_decomposerEEEEE10hipError_tT0_T1_T2_jT3_P12ihipStream_tbPNSt15iterator_traitsISE_E10value_typeEPNSK_ISF_E10value_typeEPSG_NS1_7vsmem_tEENKUlT_SE_SF_SG_E_clIS8_S8_S9_S9_EESD_ST_SE_SF_SG_EUlST_E_NS1_11comp_targetILNS1_3genE3ELNS1_11target_archE908ELNS1_3gpuE7ELNS1_3repE0EEENS1_48merge_mergepath_partition_config_static_selectorELNS0_4arch9wavefront6targetE0EEEvSF_,comdat
.Lfunc_end1663:
	.size	_ZN7rocprim17ROCPRIM_400000_NS6detail17trampoline_kernelINS0_14default_configENS1_38merge_sort_block_merge_config_selectorIbNS0_10empty_typeEEEZZNS1_27merge_sort_block_merge_implIS3_PbPS5_jNS1_19radix_merge_compareILb1ELb0EbNS0_19identity_decomposerEEEEE10hipError_tT0_T1_T2_jT3_P12ihipStream_tbPNSt15iterator_traitsISE_E10value_typeEPNSK_ISF_E10value_typeEPSG_NS1_7vsmem_tEENKUlT_SE_SF_SG_E_clIS8_S8_S9_S9_EESD_ST_SE_SF_SG_EUlST_E_NS1_11comp_targetILNS1_3genE3ELNS1_11target_archE908ELNS1_3gpuE7ELNS1_3repE0EEENS1_48merge_mergepath_partition_config_static_selectorELNS0_4arch9wavefront6targetE0EEEvSF_, .Lfunc_end1663-_ZN7rocprim17ROCPRIM_400000_NS6detail17trampoline_kernelINS0_14default_configENS1_38merge_sort_block_merge_config_selectorIbNS0_10empty_typeEEEZZNS1_27merge_sort_block_merge_implIS3_PbPS5_jNS1_19radix_merge_compareILb1ELb0EbNS0_19identity_decomposerEEEEE10hipError_tT0_T1_T2_jT3_P12ihipStream_tbPNSt15iterator_traitsISE_E10value_typeEPNSK_ISF_E10value_typeEPSG_NS1_7vsmem_tEENKUlT_SE_SF_SG_E_clIS8_S8_S9_S9_EESD_ST_SE_SF_SG_EUlST_E_NS1_11comp_targetILNS1_3genE3ELNS1_11target_archE908ELNS1_3gpuE7ELNS1_3repE0EEENS1_48merge_mergepath_partition_config_static_selectorELNS0_4arch9wavefront6targetE0EEEvSF_
                                        ; -- End function
	.set _ZN7rocprim17ROCPRIM_400000_NS6detail17trampoline_kernelINS0_14default_configENS1_38merge_sort_block_merge_config_selectorIbNS0_10empty_typeEEEZZNS1_27merge_sort_block_merge_implIS3_PbPS5_jNS1_19radix_merge_compareILb1ELb0EbNS0_19identity_decomposerEEEEE10hipError_tT0_T1_T2_jT3_P12ihipStream_tbPNSt15iterator_traitsISE_E10value_typeEPNSK_ISF_E10value_typeEPSG_NS1_7vsmem_tEENKUlT_SE_SF_SG_E_clIS8_S8_S9_S9_EESD_ST_SE_SF_SG_EUlST_E_NS1_11comp_targetILNS1_3genE3ELNS1_11target_archE908ELNS1_3gpuE7ELNS1_3repE0EEENS1_48merge_mergepath_partition_config_static_selectorELNS0_4arch9wavefront6targetE0EEEvSF_.num_vgpr, 0
	.set _ZN7rocprim17ROCPRIM_400000_NS6detail17trampoline_kernelINS0_14default_configENS1_38merge_sort_block_merge_config_selectorIbNS0_10empty_typeEEEZZNS1_27merge_sort_block_merge_implIS3_PbPS5_jNS1_19radix_merge_compareILb1ELb0EbNS0_19identity_decomposerEEEEE10hipError_tT0_T1_T2_jT3_P12ihipStream_tbPNSt15iterator_traitsISE_E10value_typeEPNSK_ISF_E10value_typeEPSG_NS1_7vsmem_tEENKUlT_SE_SF_SG_E_clIS8_S8_S9_S9_EESD_ST_SE_SF_SG_EUlST_E_NS1_11comp_targetILNS1_3genE3ELNS1_11target_archE908ELNS1_3gpuE7ELNS1_3repE0EEENS1_48merge_mergepath_partition_config_static_selectorELNS0_4arch9wavefront6targetE0EEEvSF_.num_agpr, 0
	.set _ZN7rocprim17ROCPRIM_400000_NS6detail17trampoline_kernelINS0_14default_configENS1_38merge_sort_block_merge_config_selectorIbNS0_10empty_typeEEEZZNS1_27merge_sort_block_merge_implIS3_PbPS5_jNS1_19radix_merge_compareILb1ELb0EbNS0_19identity_decomposerEEEEE10hipError_tT0_T1_T2_jT3_P12ihipStream_tbPNSt15iterator_traitsISE_E10value_typeEPNSK_ISF_E10value_typeEPSG_NS1_7vsmem_tEENKUlT_SE_SF_SG_E_clIS8_S8_S9_S9_EESD_ST_SE_SF_SG_EUlST_E_NS1_11comp_targetILNS1_3genE3ELNS1_11target_archE908ELNS1_3gpuE7ELNS1_3repE0EEENS1_48merge_mergepath_partition_config_static_selectorELNS0_4arch9wavefront6targetE0EEEvSF_.numbered_sgpr, 0
	.set _ZN7rocprim17ROCPRIM_400000_NS6detail17trampoline_kernelINS0_14default_configENS1_38merge_sort_block_merge_config_selectorIbNS0_10empty_typeEEEZZNS1_27merge_sort_block_merge_implIS3_PbPS5_jNS1_19radix_merge_compareILb1ELb0EbNS0_19identity_decomposerEEEEE10hipError_tT0_T1_T2_jT3_P12ihipStream_tbPNSt15iterator_traitsISE_E10value_typeEPNSK_ISF_E10value_typeEPSG_NS1_7vsmem_tEENKUlT_SE_SF_SG_E_clIS8_S8_S9_S9_EESD_ST_SE_SF_SG_EUlST_E_NS1_11comp_targetILNS1_3genE3ELNS1_11target_archE908ELNS1_3gpuE7ELNS1_3repE0EEENS1_48merge_mergepath_partition_config_static_selectorELNS0_4arch9wavefront6targetE0EEEvSF_.num_named_barrier, 0
	.set _ZN7rocprim17ROCPRIM_400000_NS6detail17trampoline_kernelINS0_14default_configENS1_38merge_sort_block_merge_config_selectorIbNS0_10empty_typeEEEZZNS1_27merge_sort_block_merge_implIS3_PbPS5_jNS1_19radix_merge_compareILb1ELb0EbNS0_19identity_decomposerEEEEE10hipError_tT0_T1_T2_jT3_P12ihipStream_tbPNSt15iterator_traitsISE_E10value_typeEPNSK_ISF_E10value_typeEPSG_NS1_7vsmem_tEENKUlT_SE_SF_SG_E_clIS8_S8_S9_S9_EESD_ST_SE_SF_SG_EUlST_E_NS1_11comp_targetILNS1_3genE3ELNS1_11target_archE908ELNS1_3gpuE7ELNS1_3repE0EEENS1_48merge_mergepath_partition_config_static_selectorELNS0_4arch9wavefront6targetE0EEEvSF_.private_seg_size, 0
	.set _ZN7rocprim17ROCPRIM_400000_NS6detail17trampoline_kernelINS0_14default_configENS1_38merge_sort_block_merge_config_selectorIbNS0_10empty_typeEEEZZNS1_27merge_sort_block_merge_implIS3_PbPS5_jNS1_19radix_merge_compareILb1ELb0EbNS0_19identity_decomposerEEEEE10hipError_tT0_T1_T2_jT3_P12ihipStream_tbPNSt15iterator_traitsISE_E10value_typeEPNSK_ISF_E10value_typeEPSG_NS1_7vsmem_tEENKUlT_SE_SF_SG_E_clIS8_S8_S9_S9_EESD_ST_SE_SF_SG_EUlST_E_NS1_11comp_targetILNS1_3genE3ELNS1_11target_archE908ELNS1_3gpuE7ELNS1_3repE0EEENS1_48merge_mergepath_partition_config_static_selectorELNS0_4arch9wavefront6targetE0EEEvSF_.uses_vcc, 0
	.set _ZN7rocprim17ROCPRIM_400000_NS6detail17trampoline_kernelINS0_14default_configENS1_38merge_sort_block_merge_config_selectorIbNS0_10empty_typeEEEZZNS1_27merge_sort_block_merge_implIS3_PbPS5_jNS1_19radix_merge_compareILb1ELb0EbNS0_19identity_decomposerEEEEE10hipError_tT0_T1_T2_jT3_P12ihipStream_tbPNSt15iterator_traitsISE_E10value_typeEPNSK_ISF_E10value_typeEPSG_NS1_7vsmem_tEENKUlT_SE_SF_SG_E_clIS8_S8_S9_S9_EESD_ST_SE_SF_SG_EUlST_E_NS1_11comp_targetILNS1_3genE3ELNS1_11target_archE908ELNS1_3gpuE7ELNS1_3repE0EEENS1_48merge_mergepath_partition_config_static_selectorELNS0_4arch9wavefront6targetE0EEEvSF_.uses_flat_scratch, 0
	.set _ZN7rocprim17ROCPRIM_400000_NS6detail17trampoline_kernelINS0_14default_configENS1_38merge_sort_block_merge_config_selectorIbNS0_10empty_typeEEEZZNS1_27merge_sort_block_merge_implIS3_PbPS5_jNS1_19radix_merge_compareILb1ELb0EbNS0_19identity_decomposerEEEEE10hipError_tT0_T1_T2_jT3_P12ihipStream_tbPNSt15iterator_traitsISE_E10value_typeEPNSK_ISF_E10value_typeEPSG_NS1_7vsmem_tEENKUlT_SE_SF_SG_E_clIS8_S8_S9_S9_EESD_ST_SE_SF_SG_EUlST_E_NS1_11comp_targetILNS1_3genE3ELNS1_11target_archE908ELNS1_3gpuE7ELNS1_3repE0EEENS1_48merge_mergepath_partition_config_static_selectorELNS0_4arch9wavefront6targetE0EEEvSF_.has_dyn_sized_stack, 0
	.set _ZN7rocprim17ROCPRIM_400000_NS6detail17trampoline_kernelINS0_14default_configENS1_38merge_sort_block_merge_config_selectorIbNS0_10empty_typeEEEZZNS1_27merge_sort_block_merge_implIS3_PbPS5_jNS1_19radix_merge_compareILb1ELb0EbNS0_19identity_decomposerEEEEE10hipError_tT0_T1_T2_jT3_P12ihipStream_tbPNSt15iterator_traitsISE_E10value_typeEPNSK_ISF_E10value_typeEPSG_NS1_7vsmem_tEENKUlT_SE_SF_SG_E_clIS8_S8_S9_S9_EESD_ST_SE_SF_SG_EUlST_E_NS1_11comp_targetILNS1_3genE3ELNS1_11target_archE908ELNS1_3gpuE7ELNS1_3repE0EEENS1_48merge_mergepath_partition_config_static_selectorELNS0_4arch9wavefront6targetE0EEEvSF_.has_recursion, 0
	.set _ZN7rocprim17ROCPRIM_400000_NS6detail17trampoline_kernelINS0_14default_configENS1_38merge_sort_block_merge_config_selectorIbNS0_10empty_typeEEEZZNS1_27merge_sort_block_merge_implIS3_PbPS5_jNS1_19radix_merge_compareILb1ELb0EbNS0_19identity_decomposerEEEEE10hipError_tT0_T1_T2_jT3_P12ihipStream_tbPNSt15iterator_traitsISE_E10value_typeEPNSK_ISF_E10value_typeEPSG_NS1_7vsmem_tEENKUlT_SE_SF_SG_E_clIS8_S8_S9_S9_EESD_ST_SE_SF_SG_EUlST_E_NS1_11comp_targetILNS1_3genE3ELNS1_11target_archE908ELNS1_3gpuE7ELNS1_3repE0EEENS1_48merge_mergepath_partition_config_static_selectorELNS0_4arch9wavefront6targetE0EEEvSF_.has_indirect_call, 0
	.section	.AMDGPU.csdata,"",@progbits
; Kernel info:
; codeLenInByte = 0
; TotalNumSgprs: 0
; NumVgprs: 0
; ScratchSize: 0
; MemoryBound: 0
; FloatMode: 240
; IeeeMode: 1
; LDSByteSize: 0 bytes/workgroup (compile time only)
; SGPRBlocks: 0
; VGPRBlocks: 0
; NumSGPRsForWavesPerEU: 1
; NumVGPRsForWavesPerEU: 1
; NamedBarCnt: 0
; Occupancy: 16
; WaveLimiterHint : 0
; COMPUTE_PGM_RSRC2:SCRATCH_EN: 0
; COMPUTE_PGM_RSRC2:USER_SGPR: 2
; COMPUTE_PGM_RSRC2:TRAP_HANDLER: 0
; COMPUTE_PGM_RSRC2:TGID_X_EN: 1
; COMPUTE_PGM_RSRC2:TGID_Y_EN: 0
; COMPUTE_PGM_RSRC2:TGID_Z_EN: 0
; COMPUTE_PGM_RSRC2:TIDIG_COMP_CNT: 0
	.section	.text._ZN7rocprim17ROCPRIM_400000_NS6detail17trampoline_kernelINS0_14default_configENS1_38merge_sort_block_merge_config_selectorIbNS0_10empty_typeEEEZZNS1_27merge_sort_block_merge_implIS3_PbPS5_jNS1_19radix_merge_compareILb1ELb0EbNS0_19identity_decomposerEEEEE10hipError_tT0_T1_T2_jT3_P12ihipStream_tbPNSt15iterator_traitsISE_E10value_typeEPNSK_ISF_E10value_typeEPSG_NS1_7vsmem_tEENKUlT_SE_SF_SG_E_clIS8_S8_S9_S9_EESD_ST_SE_SF_SG_EUlST_E_NS1_11comp_targetILNS1_3genE2ELNS1_11target_archE906ELNS1_3gpuE6ELNS1_3repE0EEENS1_48merge_mergepath_partition_config_static_selectorELNS0_4arch9wavefront6targetE0EEEvSF_,"axG",@progbits,_ZN7rocprim17ROCPRIM_400000_NS6detail17trampoline_kernelINS0_14default_configENS1_38merge_sort_block_merge_config_selectorIbNS0_10empty_typeEEEZZNS1_27merge_sort_block_merge_implIS3_PbPS5_jNS1_19radix_merge_compareILb1ELb0EbNS0_19identity_decomposerEEEEE10hipError_tT0_T1_T2_jT3_P12ihipStream_tbPNSt15iterator_traitsISE_E10value_typeEPNSK_ISF_E10value_typeEPSG_NS1_7vsmem_tEENKUlT_SE_SF_SG_E_clIS8_S8_S9_S9_EESD_ST_SE_SF_SG_EUlST_E_NS1_11comp_targetILNS1_3genE2ELNS1_11target_archE906ELNS1_3gpuE6ELNS1_3repE0EEENS1_48merge_mergepath_partition_config_static_selectorELNS0_4arch9wavefront6targetE0EEEvSF_,comdat
	.protected	_ZN7rocprim17ROCPRIM_400000_NS6detail17trampoline_kernelINS0_14default_configENS1_38merge_sort_block_merge_config_selectorIbNS0_10empty_typeEEEZZNS1_27merge_sort_block_merge_implIS3_PbPS5_jNS1_19radix_merge_compareILb1ELb0EbNS0_19identity_decomposerEEEEE10hipError_tT0_T1_T2_jT3_P12ihipStream_tbPNSt15iterator_traitsISE_E10value_typeEPNSK_ISF_E10value_typeEPSG_NS1_7vsmem_tEENKUlT_SE_SF_SG_E_clIS8_S8_S9_S9_EESD_ST_SE_SF_SG_EUlST_E_NS1_11comp_targetILNS1_3genE2ELNS1_11target_archE906ELNS1_3gpuE6ELNS1_3repE0EEENS1_48merge_mergepath_partition_config_static_selectorELNS0_4arch9wavefront6targetE0EEEvSF_ ; -- Begin function _ZN7rocprim17ROCPRIM_400000_NS6detail17trampoline_kernelINS0_14default_configENS1_38merge_sort_block_merge_config_selectorIbNS0_10empty_typeEEEZZNS1_27merge_sort_block_merge_implIS3_PbPS5_jNS1_19radix_merge_compareILb1ELb0EbNS0_19identity_decomposerEEEEE10hipError_tT0_T1_T2_jT3_P12ihipStream_tbPNSt15iterator_traitsISE_E10value_typeEPNSK_ISF_E10value_typeEPSG_NS1_7vsmem_tEENKUlT_SE_SF_SG_E_clIS8_S8_S9_S9_EESD_ST_SE_SF_SG_EUlST_E_NS1_11comp_targetILNS1_3genE2ELNS1_11target_archE906ELNS1_3gpuE6ELNS1_3repE0EEENS1_48merge_mergepath_partition_config_static_selectorELNS0_4arch9wavefront6targetE0EEEvSF_
	.globl	_ZN7rocprim17ROCPRIM_400000_NS6detail17trampoline_kernelINS0_14default_configENS1_38merge_sort_block_merge_config_selectorIbNS0_10empty_typeEEEZZNS1_27merge_sort_block_merge_implIS3_PbPS5_jNS1_19radix_merge_compareILb1ELb0EbNS0_19identity_decomposerEEEEE10hipError_tT0_T1_T2_jT3_P12ihipStream_tbPNSt15iterator_traitsISE_E10value_typeEPNSK_ISF_E10value_typeEPSG_NS1_7vsmem_tEENKUlT_SE_SF_SG_E_clIS8_S8_S9_S9_EESD_ST_SE_SF_SG_EUlST_E_NS1_11comp_targetILNS1_3genE2ELNS1_11target_archE906ELNS1_3gpuE6ELNS1_3repE0EEENS1_48merge_mergepath_partition_config_static_selectorELNS0_4arch9wavefront6targetE0EEEvSF_
	.p2align	8
	.type	_ZN7rocprim17ROCPRIM_400000_NS6detail17trampoline_kernelINS0_14default_configENS1_38merge_sort_block_merge_config_selectorIbNS0_10empty_typeEEEZZNS1_27merge_sort_block_merge_implIS3_PbPS5_jNS1_19radix_merge_compareILb1ELb0EbNS0_19identity_decomposerEEEEE10hipError_tT0_T1_T2_jT3_P12ihipStream_tbPNSt15iterator_traitsISE_E10value_typeEPNSK_ISF_E10value_typeEPSG_NS1_7vsmem_tEENKUlT_SE_SF_SG_E_clIS8_S8_S9_S9_EESD_ST_SE_SF_SG_EUlST_E_NS1_11comp_targetILNS1_3genE2ELNS1_11target_archE906ELNS1_3gpuE6ELNS1_3repE0EEENS1_48merge_mergepath_partition_config_static_selectorELNS0_4arch9wavefront6targetE0EEEvSF_,@function
_ZN7rocprim17ROCPRIM_400000_NS6detail17trampoline_kernelINS0_14default_configENS1_38merge_sort_block_merge_config_selectorIbNS0_10empty_typeEEEZZNS1_27merge_sort_block_merge_implIS3_PbPS5_jNS1_19radix_merge_compareILb1ELb0EbNS0_19identity_decomposerEEEEE10hipError_tT0_T1_T2_jT3_P12ihipStream_tbPNSt15iterator_traitsISE_E10value_typeEPNSK_ISF_E10value_typeEPSG_NS1_7vsmem_tEENKUlT_SE_SF_SG_E_clIS8_S8_S9_S9_EESD_ST_SE_SF_SG_EUlST_E_NS1_11comp_targetILNS1_3genE2ELNS1_11target_archE906ELNS1_3gpuE6ELNS1_3repE0EEENS1_48merge_mergepath_partition_config_static_selectorELNS0_4arch9wavefront6targetE0EEEvSF_: ; @_ZN7rocprim17ROCPRIM_400000_NS6detail17trampoline_kernelINS0_14default_configENS1_38merge_sort_block_merge_config_selectorIbNS0_10empty_typeEEEZZNS1_27merge_sort_block_merge_implIS3_PbPS5_jNS1_19radix_merge_compareILb1ELb0EbNS0_19identity_decomposerEEEEE10hipError_tT0_T1_T2_jT3_P12ihipStream_tbPNSt15iterator_traitsISE_E10value_typeEPNSK_ISF_E10value_typeEPSG_NS1_7vsmem_tEENKUlT_SE_SF_SG_E_clIS8_S8_S9_S9_EESD_ST_SE_SF_SG_EUlST_E_NS1_11comp_targetILNS1_3genE2ELNS1_11target_archE906ELNS1_3gpuE6ELNS1_3repE0EEENS1_48merge_mergepath_partition_config_static_selectorELNS0_4arch9wavefront6targetE0EEEvSF_
; %bb.0:
	.section	.rodata,"a",@progbits
	.p2align	6, 0x0
	.amdhsa_kernel _ZN7rocprim17ROCPRIM_400000_NS6detail17trampoline_kernelINS0_14default_configENS1_38merge_sort_block_merge_config_selectorIbNS0_10empty_typeEEEZZNS1_27merge_sort_block_merge_implIS3_PbPS5_jNS1_19radix_merge_compareILb1ELb0EbNS0_19identity_decomposerEEEEE10hipError_tT0_T1_T2_jT3_P12ihipStream_tbPNSt15iterator_traitsISE_E10value_typeEPNSK_ISF_E10value_typeEPSG_NS1_7vsmem_tEENKUlT_SE_SF_SG_E_clIS8_S8_S9_S9_EESD_ST_SE_SF_SG_EUlST_E_NS1_11comp_targetILNS1_3genE2ELNS1_11target_archE906ELNS1_3gpuE6ELNS1_3repE0EEENS1_48merge_mergepath_partition_config_static_selectorELNS0_4arch9wavefront6targetE0EEEvSF_
		.amdhsa_group_segment_fixed_size 0
		.amdhsa_private_segment_fixed_size 0
		.amdhsa_kernarg_size 40
		.amdhsa_user_sgpr_count 2
		.amdhsa_user_sgpr_dispatch_ptr 0
		.amdhsa_user_sgpr_queue_ptr 0
		.amdhsa_user_sgpr_kernarg_segment_ptr 1
		.amdhsa_user_sgpr_dispatch_id 0
		.amdhsa_user_sgpr_kernarg_preload_length 0
		.amdhsa_user_sgpr_kernarg_preload_offset 0
		.amdhsa_user_sgpr_private_segment_size 0
		.amdhsa_wavefront_size32 1
		.amdhsa_uses_dynamic_stack 0
		.amdhsa_enable_private_segment 0
		.amdhsa_system_sgpr_workgroup_id_x 1
		.amdhsa_system_sgpr_workgroup_id_y 0
		.amdhsa_system_sgpr_workgroup_id_z 0
		.amdhsa_system_sgpr_workgroup_info 0
		.amdhsa_system_vgpr_workitem_id 0
		.amdhsa_next_free_vgpr 1
		.amdhsa_next_free_sgpr 1
		.amdhsa_named_barrier_count 0
		.amdhsa_reserve_vcc 0
		.amdhsa_float_round_mode_32 0
		.amdhsa_float_round_mode_16_64 0
		.amdhsa_float_denorm_mode_32 3
		.amdhsa_float_denorm_mode_16_64 3
		.amdhsa_fp16_overflow 0
		.amdhsa_memory_ordered 1
		.amdhsa_forward_progress 1
		.amdhsa_inst_pref_size 0
		.amdhsa_round_robin_scheduling 0
		.amdhsa_exception_fp_ieee_invalid_op 0
		.amdhsa_exception_fp_denorm_src 0
		.amdhsa_exception_fp_ieee_div_zero 0
		.amdhsa_exception_fp_ieee_overflow 0
		.amdhsa_exception_fp_ieee_underflow 0
		.amdhsa_exception_fp_ieee_inexact 0
		.amdhsa_exception_int_div_zero 0
	.end_amdhsa_kernel
	.section	.text._ZN7rocprim17ROCPRIM_400000_NS6detail17trampoline_kernelINS0_14default_configENS1_38merge_sort_block_merge_config_selectorIbNS0_10empty_typeEEEZZNS1_27merge_sort_block_merge_implIS3_PbPS5_jNS1_19radix_merge_compareILb1ELb0EbNS0_19identity_decomposerEEEEE10hipError_tT0_T1_T2_jT3_P12ihipStream_tbPNSt15iterator_traitsISE_E10value_typeEPNSK_ISF_E10value_typeEPSG_NS1_7vsmem_tEENKUlT_SE_SF_SG_E_clIS8_S8_S9_S9_EESD_ST_SE_SF_SG_EUlST_E_NS1_11comp_targetILNS1_3genE2ELNS1_11target_archE906ELNS1_3gpuE6ELNS1_3repE0EEENS1_48merge_mergepath_partition_config_static_selectorELNS0_4arch9wavefront6targetE0EEEvSF_,"axG",@progbits,_ZN7rocprim17ROCPRIM_400000_NS6detail17trampoline_kernelINS0_14default_configENS1_38merge_sort_block_merge_config_selectorIbNS0_10empty_typeEEEZZNS1_27merge_sort_block_merge_implIS3_PbPS5_jNS1_19radix_merge_compareILb1ELb0EbNS0_19identity_decomposerEEEEE10hipError_tT0_T1_T2_jT3_P12ihipStream_tbPNSt15iterator_traitsISE_E10value_typeEPNSK_ISF_E10value_typeEPSG_NS1_7vsmem_tEENKUlT_SE_SF_SG_E_clIS8_S8_S9_S9_EESD_ST_SE_SF_SG_EUlST_E_NS1_11comp_targetILNS1_3genE2ELNS1_11target_archE906ELNS1_3gpuE6ELNS1_3repE0EEENS1_48merge_mergepath_partition_config_static_selectorELNS0_4arch9wavefront6targetE0EEEvSF_,comdat
.Lfunc_end1664:
	.size	_ZN7rocprim17ROCPRIM_400000_NS6detail17trampoline_kernelINS0_14default_configENS1_38merge_sort_block_merge_config_selectorIbNS0_10empty_typeEEEZZNS1_27merge_sort_block_merge_implIS3_PbPS5_jNS1_19radix_merge_compareILb1ELb0EbNS0_19identity_decomposerEEEEE10hipError_tT0_T1_T2_jT3_P12ihipStream_tbPNSt15iterator_traitsISE_E10value_typeEPNSK_ISF_E10value_typeEPSG_NS1_7vsmem_tEENKUlT_SE_SF_SG_E_clIS8_S8_S9_S9_EESD_ST_SE_SF_SG_EUlST_E_NS1_11comp_targetILNS1_3genE2ELNS1_11target_archE906ELNS1_3gpuE6ELNS1_3repE0EEENS1_48merge_mergepath_partition_config_static_selectorELNS0_4arch9wavefront6targetE0EEEvSF_, .Lfunc_end1664-_ZN7rocprim17ROCPRIM_400000_NS6detail17trampoline_kernelINS0_14default_configENS1_38merge_sort_block_merge_config_selectorIbNS0_10empty_typeEEEZZNS1_27merge_sort_block_merge_implIS3_PbPS5_jNS1_19radix_merge_compareILb1ELb0EbNS0_19identity_decomposerEEEEE10hipError_tT0_T1_T2_jT3_P12ihipStream_tbPNSt15iterator_traitsISE_E10value_typeEPNSK_ISF_E10value_typeEPSG_NS1_7vsmem_tEENKUlT_SE_SF_SG_E_clIS8_S8_S9_S9_EESD_ST_SE_SF_SG_EUlST_E_NS1_11comp_targetILNS1_3genE2ELNS1_11target_archE906ELNS1_3gpuE6ELNS1_3repE0EEENS1_48merge_mergepath_partition_config_static_selectorELNS0_4arch9wavefront6targetE0EEEvSF_
                                        ; -- End function
	.set _ZN7rocprim17ROCPRIM_400000_NS6detail17trampoline_kernelINS0_14default_configENS1_38merge_sort_block_merge_config_selectorIbNS0_10empty_typeEEEZZNS1_27merge_sort_block_merge_implIS3_PbPS5_jNS1_19radix_merge_compareILb1ELb0EbNS0_19identity_decomposerEEEEE10hipError_tT0_T1_T2_jT3_P12ihipStream_tbPNSt15iterator_traitsISE_E10value_typeEPNSK_ISF_E10value_typeEPSG_NS1_7vsmem_tEENKUlT_SE_SF_SG_E_clIS8_S8_S9_S9_EESD_ST_SE_SF_SG_EUlST_E_NS1_11comp_targetILNS1_3genE2ELNS1_11target_archE906ELNS1_3gpuE6ELNS1_3repE0EEENS1_48merge_mergepath_partition_config_static_selectorELNS0_4arch9wavefront6targetE0EEEvSF_.num_vgpr, 0
	.set _ZN7rocprim17ROCPRIM_400000_NS6detail17trampoline_kernelINS0_14default_configENS1_38merge_sort_block_merge_config_selectorIbNS0_10empty_typeEEEZZNS1_27merge_sort_block_merge_implIS3_PbPS5_jNS1_19radix_merge_compareILb1ELb0EbNS0_19identity_decomposerEEEEE10hipError_tT0_T1_T2_jT3_P12ihipStream_tbPNSt15iterator_traitsISE_E10value_typeEPNSK_ISF_E10value_typeEPSG_NS1_7vsmem_tEENKUlT_SE_SF_SG_E_clIS8_S8_S9_S9_EESD_ST_SE_SF_SG_EUlST_E_NS1_11comp_targetILNS1_3genE2ELNS1_11target_archE906ELNS1_3gpuE6ELNS1_3repE0EEENS1_48merge_mergepath_partition_config_static_selectorELNS0_4arch9wavefront6targetE0EEEvSF_.num_agpr, 0
	.set _ZN7rocprim17ROCPRIM_400000_NS6detail17trampoline_kernelINS0_14default_configENS1_38merge_sort_block_merge_config_selectorIbNS0_10empty_typeEEEZZNS1_27merge_sort_block_merge_implIS3_PbPS5_jNS1_19radix_merge_compareILb1ELb0EbNS0_19identity_decomposerEEEEE10hipError_tT0_T1_T2_jT3_P12ihipStream_tbPNSt15iterator_traitsISE_E10value_typeEPNSK_ISF_E10value_typeEPSG_NS1_7vsmem_tEENKUlT_SE_SF_SG_E_clIS8_S8_S9_S9_EESD_ST_SE_SF_SG_EUlST_E_NS1_11comp_targetILNS1_3genE2ELNS1_11target_archE906ELNS1_3gpuE6ELNS1_3repE0EEENS1_48merge_mergepath_partition_config_static_selectorELNS0_4arch9wavefront6targetE0EEEvSF_.numbered_sgpr, 0
	.set _ZN7rocprim17ROCPRIM_400000_NS6detail17trampoline_kernelINS0_14default_configENS1_38merge_sort_block_merge_config_selectorIbNS0_10empty_typeEEEZZNS1_27merge_sort_block_merge_implIS3_PbPS5_jNS1_19radix_merge_compareILb1ELb0EbNS0_19identity_decomposerEEEEE10hipError_tT0_T1_T2_jT3_P12ihipStream_tbPNSt15iterator_traitsISE_E10value_typeEPNSK_ISF_E10value_typeEPSG_NS1_7vsmem_tEENKUlT_SE_SF_SG_E_clIS8_S8_S9_S9_EESD_ST_SE_SF_SG_EUlST_E_NS1_11comp_targetILNS1_3genE2ELNS1_11target_archE906ELNS1_3gpuE6ELNS1_3repE0EEENS1_48merge_mergepath_partition_config_static_selectorELNS0_4arch9wavefront6targetE0EEEvSF_.num_named_barrier, 0
	.set _ZN7rocprim17ROCPRIM_400000_NS6detail17trampoline_kernelINS0_14default_configENS1_38merge_sort_block_merge_config_selectorIbNS0_10empty_typeEEEZZNS1_27merge_sort_block_merge_implIS3_PbPS5_jNS1_19radix_merge_compareILb1ELb0EbNS0_19identity_decomposerEEEEE10hipError_tT0_T1_T2_jT3_P12ihipStream_tbPNSt15iterator_traitsISE_E10value_typeEPNSK_ISF_E10value_typeEPSG_NS1_7vsmem_tEENKUlT_SE_SF_SG_E_clIS8_S8_S9_S9_EESD_ST_SE_SF_SG_EUlST_E_NS1_11comp_targetILNS1_3genE2ELNS1_11target_archE906ELNS1_3gpuE6ELNS1_3repE0EEENS1_48merge_mergepath_partition_config_static_selectorELNS0_4arch9wavefront6targetE0EEEvSF_.private_seg_size, 0
	.set _ZN7rocprim17ROCPRIM_400000_NS6detail17trampoline_kernelINS0_14default_configENS1_38merge_sort_block_merge_config_selectorIbNS0_10empty_typeEEEZZNS1_27merge_sort_block_merge_implIS3_PbPS5_jNS1_19radix_merge_compareILb1ELb0EbNS0_19identity_decomposerEEEEE10hipError_tT0_T1_T2_jT3_P12ihipStream_tbPNSt15iterator_traitsISE_E10value_typeEPNSK_ISF_E10value_typeEPSG_NS1_7vsmem_tEENKUlT_SE_SF_SG_E_clIS8_S8_S9_S9_EESD_ST_SE_SF_SG_EUlST_E_NS1_11comp_targetILNS1_3genE2ELNS1_11target_archE906ELNS1_3gpuE6ELNS1_3repE0EEENS1_48merge_mergepath_partition_config_static_selectorELNS0_4arch9wavefront6targetE0EEEvSF_.uses_vcc, 0
	.set _ZN7rocprim17ROCPRIM_400000_NS6detail17trampoline_kernelINS0_14default_configENS1_38merge_sort_block_merge_config_selectorIbNS0_10empty_typeEEEZZNS1_27merge_sort_block_merge_implIS3_PbPS5_jNS1_19radix_merge_compareILb1ELb0EbNS0_19identity_decomposerEEEEE10hipError_tT0_T1_T2_jT3_P12ihipStream_tbPNSt15iterator_traitsISE_E10value_typeEPNSK_ISF_E10value_typeEPSG_NS1_7vsmem_tEENKUlT_SE_SF_SG_E_clIS8_S8_S9_S9_EESD_ST_SE_SF_SG_EUlST_E_NS1_11comp_targetILNS1_3genE2ELNS1_11target_archE906ELNS1_3gpuE6ELNS1_3repE0EEENS1_48merge_mergepath_partition_config_static_selectorELNS0_4arch9wavefront6targetE0EEEvSF_.uses_flat_scratch, 0
	.set _ZN7rocprim17ROCPRIM_400000_NS6detail17trampoline_kernelINS0_14default_configENS1_38merge_sort_block_merge_config_selectorIbNS0_10empty_typeEEEZZNS1_27merge_sort_block_merge_implIS3_PbPS5_jNS1_19radix_merge_compareILb1ELb0EbNS0_19identity_decomposerEEEEE10hipError_tT0_T1_T2_jT3_P12ihipStream_tbPNSt15iterator_traitsISE_E10value_typeEPNSK_ISF_E10value_typeEPSG_NS1_7vsmem_tEENKUlT_SE_SF_SG_E_clIS8_S8_S9_S9_EESD_ST_SE_SF_SG_EUlST_E_NS1_11comp_targetILNS1_3genE2ELNS1_11target_archE906ELNS1_3gpuE6ELNS1_3repE0EEENS1_48merge_mergepath_partition_config_static_selectorELNS0_4arch9wavefront6targetE0EEEvSF_.has_dyn_sized_stack, 0
	.set _ZN7rocprim17ROCPRIM_400000_NS6detail17trampoline_kernelINS0_14default_configENS1_38merge_sort_block_merge_config_selectorIbNS0_10empty_typeEEEZZNS1_27merge_sort_block_merge_implIS3_PbPS5_jNS1_19radix_merge_compareILb1ELb0EbNS0_19identity_decomposerEEEEE10hipError_tT0_T1_T2_jT3_P12ihipStream_tbPNSt15iterator_traitsISE_E10value_typeEPNSK_ISF_E10value_typeEPSG_NS1_7vsmem_tEENKUlT_SE_SF_SG_E_clIS8_S8_S9_S9_EESD_ST_SE_SF_SG_EUlST_E_NS1_11comp_targetILNS1_3genE2ELNS1_11target_archE906ELNS1_3gpuE6ELNS1_3repE0EEENS1_48merge_mergepath_partition_config_static_selectorELNS0_4arch9wavefront6targetE0EEEvSF_.has_recursion, 0
	.set _ZN7rocprim17ROCPRIM_400000_NS6detail17trampoline_kernelINS0_14default_configENS1_38merge_sort_block_merge_config_selectorIbNS0_10empty_typeEEEZZNS1_27merge_sort_block_merge_implIS3_PbPS5_jNS1_19radix_merge_compareILb1ELb0EbNS0_19identity_decomposerEEEEE10hipError_tT0_T1_T2_jT3_P12ihipStream_tbPNSt15iterator_traitsISE_E10value_typeEPNSK_ISF_E10value_typeEPSG_NS1_7vsmem_tEENKUlT_SE_SF_SG_E_clIS8_S8_S9_S9_EESD_ST_SE_SF_SG_EUlST_E_NS1_11comp_targetILNS1_3genE2ELNS1_11target_archE906ELNS1_3gpuE6ELNS1_3repE0EEENS1_48merge_mergepath_partition_config_static_selectorELNS0_4arch9wavefront6targetE0EEEvSF_.has_indirect_call, 0
	.section	.AMDGPU.csdata,"",@progbits
; Kernel info:
; codeLenInByte = 0
; TotalNumSgprs: 0
; NumVgprs: 0
; ScratchSize: 0
; MemoryBound: 0
; FloatMode: 240
; IeeeMode: 1
; LDSByteSize: 0 bytes/workgroup (compile time only)
; SGPRBlocks: 0
; VGPRBlocks: 0
; NumSGPRsForWavesPerEU: 1
; NumVGPRsForWavesPerEU: 1
; NamedBarCnt: 0
; Occupancy: 16
; WaveLimiterHint : 0
; COMPUTE_PGM_RSRC2:SCRATCH_EN: 0
; COMPUTE_PGM_RSRC2:USER_SGPR: 2
; COMPUTE_PGM_RSRC2:TRAP_HANDLER: 0
; COMPUTE_PGM_RSRC2:TGID_X_EN: 1
; COMPUTE_PGM_RSRC2:TGID_Y_EN: 0
; COMPUTE_PGM_RSRC2:TGID_Z_EN: 0
; COMPUTE_PGM_RSRC2:TIDIG_COMP_CNT: 0
	.section	.text._ZN7rocprim17ROCPRIM_400000_NS6detail17trampoline_kernelINS0_14default_configENS1_38merge_sort_block_merge_config_selectorIbNS0_10empty_typeEEEZZNS1_27merge_sort_block_merge_implIS3_PbPS5_jNS1_19radix_merge_compareILb1ELb0EbNS0_19identity_decomposerEEEEE10hipError_tT0_T1_T2_jT3_P12ihipStream_tbPNSt15iterator_traitsISE_E10value_typeEPNSK_ISF_E10value_typeEPSG_NS1_7vsmem_tEENKUlT_SE_SF_SG_E_clIS8_S8_S9_S9_EESD_ST_SE_SF_SG_EUlST_E_NS1_11comp_targetILNS1_3genE9ELNS1_11target_archE1100ELNS1_3gpuE3ELNS1_3repE0EEENS1_48merge_mergepath_partition_config_static_selectorELNS0_4arch9wavefront6targetE0EEEvSF_,"axG",@progbits,_ZN7rocprim17ROCPRIM_400000_NS6detail17trampoline_kernelINS0_14default_configENS1_38merge_sort_block_merge_config_selectorIbNS0_10empty_typeEEEZZNS1_27merge_sort_block_merge_implIS3_PbPS5_jNS1_19radix_merge_compareILb1ELb0EbNS0_19identity_decomposerEEEEE10hipError_tT0_T1_T2_jT3_P12ihipStream_tbPNSt15iterator_traitsISE_E10value_typeEPNSK_ISF_E10value_typeEPSG_NS1_7vsmem_tEENKUlT_SE_SF_SG_E_clIS8_S8_S9_S9_EESD_ST_SE_SF_SG_EUlST_E_NS1_11comp_targetILNS1_3genE9ELNS1_11target_archE1100ELNS1_3gpuE3ELNS1_3repE0EEENS1_48merge_mergepath_partition_config_static_selectorELNS0_4arch9wavefront6targetE0EEEvSF_,comdat
	.protected	_ZN7rocprim17ROCPRIM_400000_NS6detail17trampoline_kernelINS0_14default_configENS1_38merge_sort_block_merge_config_selectorIbNS0_10empty_typeEEEZZNS1_27merge_sort_block_merge_implIS3_PbPS5_jNS1_19radix_merge_compareILb1ELb0EbNS0_19identity_decomposerEEEEE10hipError_tT0_T1_T2_jT3_P12ihipStream_tbPNSt15iterator_traitsISE_E10value_typeEPNSK_ISF_E10value_typeEPSG_NS1_7vsmem_tEENKUlT_SE_SF_SG_E_clIS8_S8_S9_S9_EESD_ST_SE_SF_SG_EUlST_E_NS1_11comp_targetILNS1_3genE9ELNS1_11target_archE1100ELNS1_3gpuE3ELNS1_3repE0EEENS1_48merge_mergepath_partition_config_static_selectorELNS0_4arch9wavefront6targetE0EEEvSF_ ; -- Begin function _ZN7rocprim17ROCPRIM_400000_NS6detail17trampoline_kernelINS0_14default_configENS1_38merge_sort_block_merge_config_selectorIbNS0_10empty_typeEEEZZNS1_27merge_sort_block_merge_implIS3_PbPS5_jNS1_19radix_merge_compareILb1ELb0EbNS0_19identity_decomposerEEEEE10hipError_tT0_T1_T2_jT3_P12ihipStream_tbPNSt15iterator_traitsISE_E10value_typeEPNSK_ISF_E10value_typeEPSG_NS1_7vsmem_tEENKUlT_SE_SF_SG_E_clIS8_S8_S9_S9_EESD_ST_SE_SF_SG_EUlST_E_NS1_11comp_targetILNS1_3genE9ELNS1_11target_archE1100ELNS1_3gpuE3ELNS1_3repE0EEENS1_48merge_mergepath_partition_config_static_selectorELNS0_4arch9wavefront6targetE0EEEvSF_
	.globl	_ZN7rocprim17ROCPRIM_400000_NS6detail17trampoline_kernelINS0_14default_configENS1_38merge_sort_block_merge_config_selectorIbNS0_10empty_typeEEEZZNS1_27merge_sort_block_merge_implIS3_PbPS5_jNS1_19radix_merge_compareILb1ELb0EbNS0_19identity_decomposerEEEEE10hipError_tT0_T1_T2_jT3_P12ihipStream_tbPNSt15iterator_traitsISE_E10value_typeEPNSK_ISF_E10value_typeEPSG_NS1_7vsmem_tEENKUlT_SE_SF_SG_E_clIS8_S8_S9_S9_EESD_ST_SE_SF_SG_EUlST_E_NS1_11comp_targetILNS1_3genE9ELNS1_11target_archE1100ELNS1_3gpuE3ELNS1_3repE0EEENS1_48merge_mergepath_partition_config_static_selectorELNS0_4arch9wavefront6targetE0EEEvSF_
	.p2align	8
	.type	_ZN7rocprim17ROCPRIM_400000_NS6detail17trampoline_kernelINS0_14default_configENS1_38merge_sort_block_merge_config_selectorIbNS0_10empty_typeEEEZZNS1_27merge_sort_block_merge_implIS3_PbPS5_jNS1_19radix_merge_compareILb1ELb0EbNS0_19identity_decomposerEEEEE10hipError_tT0_T1_T2_jT3_P12ihipStream_tbPNSt15iterator_traitsISE_E10value_typeEPNSK_ISF_E10value_typeEPSG_NS1_7vsmem_tEENKUlT_SE_SF_SG_E_clIS8_S8_S9_S9_EESD_ST_SE_SF_SG_EUlST_E_NS1_11comp_targetILNS1_3genE9ELNS1_11target_archE1100ELNS1_3gpuE3ELNS1_3repE0EEENS1_48merge_mergepath_partition_config_static_selectorELNS0_4arch9wavefront6targetE0EEEvSF_,@function
_ZN7rocprim17ROCPRIM_400000_NS6detail17trampoline_kernelINS0_14default_configENS1_38merge_sort_block_merge_config_selectorIbNS0_10empty_typeEEEZZNS1_27merge_sort_block_merge_implIS3_PbPS5_jNS1_19radix_merge_compareILb1ELb0EbNS0_19identity_decomposerEEEEE10hipError_tT0_T1_T2_jT3_P12ihipStream_tbPNSt15iterator_traitsISE_E10value_typeEPNSK_ISF_E10value_typeEPSG_NS1_7vsmem_tEENKUlT_SE_SF_SG_E_clIS8_S8_S9_S9_EESD_ST_SE_SF_SG_EUlST_E_NS1_11comp_targetILNS1_3genE9ELNS1_11target_archE1100ELNS1_3gpuE3ELNS1_3repE0EEENS1_48merge_mergepath_partition_config_static_selectorELNS0_4arch9wavefront6targetE0EEEvSF_: ; @_ZN7rocprim17ROCPRIM_400000_NS6detail17trampoline_kernelINS0_14default_configENS1_38merge_sort_block_merge_config_selectorIbNS0_10empty_typeEEEZZNS1_27merge_sort_block_merge_implIS3_PbPS5_jNS1_19radix_merge_compareILb1ELb0EbNS0_19identity_decomposerEEEEE10hipError_tT0_T1_T2_jT3_P12ihipStream_tbPNSt15iterator_traitsISE_E10value_typeEPNSK_ISF_E10value_typeEPSG_NS1_7vsmem_tEENKUlT_SE_SF_SG_E_clIS8_S8_S9_S9_EESD_ST_SE_SF_SG_EUlST_E_NS1_11comp_targetILNS1_3genE9ELNS1_11target_archE1100ELNS1_3gpuE3ELNS1_3repE0EEENS1_48merge_mergepath_partition_config_static_selectorELNS0_4arch9wavefront6targetE0EEEvSF_
; %bb.0:
	.section	.rodata,"a",@progbits
	.p2align	6, 0x0
	.amdhsa_kernel _ZN7rocprim17ROCPRIM_400000_NS6detail17trampoline_kernelINS0_14default_configENS1_38merge_sort_block_merge_config_selectorIbNS0_10empty_typeEEEZZNS1_27merge_sort_block_merge_implIS3_PbPS5_jNS1_19radix_merge_compareILb1ELb0EbNS0_19identity_decomposerEEEEE10hipError_tT0_T1_T2_jT3_P12ihipStream_tbPNSt15iterator_traitsISE_E10value_typeEPNSK_ISF_E10value_typeEPSG_NS1_7vsmem_tEENKUlT_SE_SF_SG_E_clIS8_S8_S9_S9_EESD_ST_SE_SF_SG_EUlST_E_NS1_11comp_targetILNS1_3genE9ELNS1_11target_archE1100ELNS1_3gpuE3ELNS1_3repE0EEENS1_48merge_mergepath_partition_config_static_selectorELNS0_4arch9wavefront6targetE0EEEvSF_
		.amdhsa_group_segment_fixed_size 0
		.amdhsa_private_segment_fixed_size 0
		.amdhsa_kernarg_size 40
		.amdhsa_user_sgpr_count 2
		.amdhsa_user_sgpr_dispatch_ptr 0
		.amdhsa_user_sgpr_queue_ptr 0
		.amdhsa_user_sgpr_kernarg_segment_ptr 1
		.amdhsa_user_sgpr_dispatch_id 0
		.amdhsa_user_sgpr_kernarg_preload_length 0
		.amdhsa_user_sgpr_kernarg_preload_offset 0
		.amdhsa_user_sgpr_private_segment_size 0
		.amdhsa_wavefront_size32 1
		.amdhsa_uses_dynamic_stack 0
		.amdhsa_enable_private_segment 0
		.amdhsa_system_sgpr_workgroup_id_x 1
		.amdhsa_system_sgpr_workgroup_id_y 0
		.amdhsa_system_sgpr_workgroup_id_z 0
		.amdhsa_system_sgpr_workgroup_info 0
		.amdhsa_system_vgpr_workitem_id 0
		.amdhsa_next_free_vgpr 1
		.amdhsa_next_free_sgpr 1
		.amdhsa_named_barrier_count 0
		.amdhsa_reserve_vcc 0
		.amdhsa_float_round_mode_32 0
		.amdhsa_float_round_mode_16_64 0
		.amdhsa_float_denorm_mode_32 3
		.amdhsa_float_denorm_mode_16_64 3
		.amdhsa_fp16_overflow 0
		.amdhsa_memory_ordered 1
		.amdhsa_forward_progress 1
		.amdhsa_inst_pref_size 0
		.amdhsa_round_robin_scheduling 0
		.amdhsa_exception_fp_ieee_invalid_op 0
		.amdhsa_exception_fp_denorm_src 0
		.amdhsa_exception_fp_ieee_div_zero 0
		.amdhsa_exception_fp_ieee_overflow 0
		.amdhsa_exception_fp_ieee_underflow 0
		.amdhsa_exception_fp_ieee_inexact 0
		.amdhsa_exception_int_div_zero 0
	.end_amdhsa_kernel
	.section	.text._ZN7rocprim17ROCPRIM_400000_NS6detail17trampoline_kernelINS0_14default_configENS1_38merge_sort_block_merge_config_selectorIbNS0_10empty_typeEEEZZNS1_27merge_sort_block_merge_implIS3_PbPS5_jNS1_19radix_merge_compareILb1ELb0EbNS0_19identity_decomposerEEEEE10hipError_tT0_T1_T2_jT3_P12ihipStream_tbPNSt15iterator_traitsISE_E10value_typeEPNSK_ISF_E10value_typeEPSG_NS1_7vsmem_tEENKUlT_SE_SF_SG_E_clIS8_S8_S9_S9_EESD_ST_SE_SF_SG_EUlST_E_NS1_11comp_targetILNS1_3genE9ELNS1_11target_archE1100ELNS1_3gpuE3ELNS1_3repE0EEENS1_48merge_mergepath_partition_config_static_selectorELNS0_4arch9wavefront6targetE0EEEvSF_,"axG",@progbits,_ZN7rocprim17ROCPRIM_400000_NS6detail17trampoline_kernelINS0_14default_configENS1_38merge_sort_block_merge_config_selectorIbNS0_10empty_typeEEEZZNS1_27merge_sort_block_merge_implIS3_PbPS5_jNS1_19radix_merge_compareILb1ELb0EbNS0_19identity_decomposerEEEEE10hipError_tT0_T1_T2_jT3_P12ihipStream_tbPNSt15iterator_traitsISE_E10value_typeEPNSK_ISF_E10value_typeEPSG_NS1_7vsmem_tEENKUlT_SE_SF_SG_E_clIS8_S8_S9_S9_EESD_ST_SE_SF_SG_EUlST_E_NS1_11comp_targetILNS1_3genE9ELNS1_11target_archE1100ELNS1_3gpuE3ELNS1_3repE0EEENS1_48merge_mergepath_partition_config_static_selectorELNS0_4arch9wavefront6targetE0EEEvSF_,comdat
.Lfunc_end1665:
	.size	_ZN7rocprim17ROCPRIM_400000_NS6detail17trampoline_kernelINS0_14default_configENS1_38merge_sort_block_merge_config_selectorIbNS0_10empty_typeEEEZZNS1_27merge_sort_block_merge_implIS3_PbPS5_jNS1_19radix_merge_compareILb1ELb0EbNS0_19identity_decomposerEEEEE10hipError_tT0_T1_T2_jT3_P12ihipStream_tbPNSt15iterator_traitsISE_E10value_typeEPNSK_ISF_E10value_typeEPSG_NS1_7vsmem_tEENKUlT_SE_SF_SG_E_clIS8_S8_S9_S9_EESD_ST_SE_SF_SG_EUlST_E_NS1_11comp_targetILNS1_3genE9ELNS1_11target_archE1100ELNS1_3gpuE3ELNS1_3repE0EEENS1_48merge_mergepath_partition_config_static_selectorELNS0_4arch9wavefront6targetE0EEEvSF_, .Lfunc_end1665-_ZN7rocprim17ROCPRIM_400000_NS6detail17trampoline_kernelINS0_14default_configENS1_38merge_sort_block_merge_config_selectorIbNS0_10empty_typeEEEZZNS1_27merge_sort_block_merge_implIS3_PbPS5_jNS1_19radix_merge_compareILb1ELb0EbNS0_19identity_decomposerEEEEE10hipError_tT0_T1_T2_jT3_P12ihipStream_tbPNSt15iterator_traitsISE_E10value_typeEPNSK_ISF_E10value_typeEPSG_NS1_7vsmem_tEENKUlT_SE_SF_SG_E_clIS8_S8_S9_S9_EESD_ST_SE_SF_SG_EUlST_E_NS1_11comp_targetILNS1_3genE9ELNS1_11target_archE1100ELNS1_3gpuE3ELNS1_3repE0EEENS1_48merge_mergepath_partition_config_static_selectorELNS0_4arch9wavefront6targetE0EEEvSF_
                                        ; -- End function
	.set _ZN7rocprim17ROCPRIM_400000_NS6detail17trampoline_kernelINS0_14default_configENS1_38merge_sort_block_merge_config_selectorIbNS0_10empty_typeEEEZZNS1_27merge_sort_block_merge_implIS3_PbPS5_jNS1_19radix_merge_compareILb1ELb0EbNS0_19identity_decomposerEEEEE10hipError_tT0_T1_T2_jT3_P12ihipStream_tbPNSt15iterator_traitsISE_E10value_typeEPNSK_ISF_E10value_typeEPSG_NS1_7vsmem_tEENKUlT_SE_SF_SG_E_clIS8_S8_S9_S9_EESD_ST_SE_SF_SG_EUlST_E_NS1_11comp_targetILNS1_3genE9ELNS1_11target_archE1100ELNS1_3gpuE3ELNS1_3repE0EEENS1_48merge_mergepath_partition_config_static_selectorELNS0_4arch9wavefront6targetE0EEEvSF_.num_vgpr, 0
	.set _ZN7rocprim17ROCPRIM_400000_NS6detail17trampoline_kernelINS0_14default_configENS1_38merge_sort_block_merge_config_selectorIbNS0_10empty_typeEEEZZNS1_27merge_sort_block_merge_implIS3_PbPS5_jNS1_19radix_merge_compareILb1ELb0EbNS0_19identity_decomposerEEEEE10hipError_tT0_T1_T2_jT3_P12ihipStream_tbPNSt15iterator_traitsISE_E10value_typeEPNSK_ISF_E10value_typeEPSG_NS1_7vsmem_tEENKUlT_SE_SF_SG_E_clIS8_S8_S9_S9_EESD_ST_SE_SF_SG_EUlST_E_NS1_11comp_targetILNS1_3genE9ELNS1_11target_archE1100ELNS1_3gpuE3ELNS1_3repE0EEENS1_48merge_mergepath_partition_config_static_selectorELNS0_4arch9wavefront6targetE0EEEvSF_.num_agpr, 0
	.set _ZN7rocprim17ROCPRIM_400000_NS6detail17trampoline_kernelINS0_14default_configENS1_38merge_sort_block_merge_config_selectorIbNS0_10empty_typeEEEZZNS1_27merge_sort_block_merge_implIS3_PbPS5_jNS1_19radix_merge_compareILb1ELb0EbNS0_19identity_decomposerEEEEE10hipError_tT0_T1_T2_jT3_P12ihipStream_tbPNSt15iterator_traitsISE_E10value_typeEPNSK_ISF_E10value_typeEPSG_NS1_7vsmem_tEENKUlT_SE_SF_SG_E_clIS8_S8_S9_S9_EESD_ST_SE_SF_SG_EUlST_E_NS1_11comp_targetILNS1_3genE9ELNS1_11target_archE1100ELNS1_3gpuE3ELNS1_3repE0EEENS1_48merge_mergepath_partition_config_static_selectorELNS0_4arch9wavefront6targetE0EEEvSF_.numbered_sgpr, 0
	.set _ZN7rocprim17ROCPRIM_400000_NS6detail17trampoline_kernelINS0_14default_configENS1_38merge_sort_block_merge_config_selectorIbNS0_10empty_typeEEEZZNS1_27merge_sort_block_merge_implIS3_PbPS5_jNS1_19radix_merge_compareILb1ELb0EbNS0_19identity_decomposerEEEEE10hipError_tT0_T1_T2_jT3_P12ihipStream_tbPNSt15iterator_traitsISE_E10value_typeEPNSK_ISF_E10value_typeEPSG_NS1_7vsmem_tEENKUlT_SE_SF_SG_E_clIS8_S8_S9_S9_EESD_ST_SE_SF_SG_EUlST_E_NS1_11comp_targetILNS1_3genE9ELNS1_11target_archE1100ELNS1_3gpuE3ELNS1_3repE0EEENS1_48merge_mergepath_partition_config_static_selectorELNS0_4arch9wavefront6targetE0EEEvSF_.num_named_barrier, 0
	.set _ZN7rocprim17ROCPRIM_400000_NS6detail17trampoline_kernelINS0_14default_configENS1_38merge_sort_block_merge_config_selectorIbNS0_10empty_typeEEEZZNS1_27merge_sort_block_merge_implIS3_PbPS5_jNS1_19radix_merge_compareILb1ELb0EbNS0_19identity_decomposerEEEEE10hipError_tT0_T1_T2_jT3_P12ihipStream_tbPNSt15iterator_traitsISE_E10value_typeEPNSK_ISF_E10value_typeEPSG_NS1_7vsmem_tEENKUlT_SE_SF_SG_E_clIS8_S8_S9_S9_EESD_ST_SE_SF_SG_EUlST_E_NS1_11comp_targetILNS1_3genE9ELNS1_11target_archE1100ELNS1_3gpuE3ELNS1_3repE0EEENS1_48merge_mergepath_partition_config_static_selectorELNS0_4arch9wavefront6targetE0EEEvSF_.private_seg_size, 0
	.set _ZN7rocprim17ROCPRIM_400000_NS6detail17trampoline_kernelINS0_14default_configENS1_38merge_sort_block_merge_config_selectorIbNS0_10empty_typeEEEZZNS1_27merge_sort_block_merge_implIS3_PbPS5_jNS1_19radix_merge_compareILb1ELb0EbNS0_19identity_decomposerEEEEE10hipError_tT0_T1_T2_jT3_P12ihipStream_tbPNSt15iterator_traitsISE_E10value_typeEPNSK_ISF_E10value_typeEPSG_NS1_7vsmem_tEENKUlT_SE_SF_SG_E_clIS8_S8_S9_S9_EESD_ST_SE_SF_SG_EUlST_E_NS1_11comp_targetILNS1_3genE9ELNS1_11target_archE1100ELNS1_3gpuE3ELNS1_3repE0EEENS1_48merge_mergepath_partition_config_static_selectorELNS0_4arch9wavefront6targetE0EEEvSF_.uses_vcc, 0
	.set _ZN7rocprim17ROCPRIM_400000_NS6detail17trampoline_kernelINS0_14default_configENS1_38merge_sort_block_merge_config_selectorIbNS0_10empty_typeEEEZZNS1_27merge_sort_block_merge_implIS3_PbPS5_jNS1_19radix_merge_compareILb1ELb0EbNS0_19identity_decomposerEEEEE10hipError_tT0_T1_T2_jT3_P12ihipStream_tbPNSt15iterator_traitsISE_E10value_typeEPNSK_ISF_E10value_typeEPSG_NS1_7vsmem_tEENKUlT_SE_SF_SG_E_clIS8_S8_S9_S9_EESD_ST_SE_SF_SG_EUlST_E_NS1_11comp_targetILNS1_3genE9ELNS1_11target_archE1100ELNS1_3gpuE3ELNS1_3repE0EEENS1_48merge_mergepath_partition_config_static_selectorELNS0_4arch9wavefront6targetE0EEEvSF_.uses_flat_scratch, 0
	.set _ZN7rocprim17ROCPRIM_400000_NS6detail17trampoline_kernelINS0_14default_configENS1_38merge_sort_block_merge_config_selectorIbNS0_10empty_typeEEEZZNS1_27merge_sort_block_merge_implIS3_PbPS5_jNS1_19radix_merge_compareILb1ELb0EbNS0_19identity_decomposerEEEEE10hipError_tT0_T1_T2_jT3_P12ihipStream_tbPNSt15iterator_traitsISE_E10value_typeEPNSK_ISF_E10value_typeEPSG_NS1_7vsmem_tEENKUlT_SE_SF_SG_E_clIS8_S8_S9_S9_EESD_ST_SE_SF_SG_EUlST_E_NS1_11comp_targetILNS1_3genE9ELNS1_11target_archE1100ELNS1_3gpuE3ELNS1_3repE0EEENS1_48merge_mergepath_partition_config_static_selectorELNS0_4arch9wavefront6targetE0EEEvSF_.has_dyn_sized_stack, 0
	.set _ZN7rocprim17ROCPRIM_400000_NS6detail17trampoline_kernelINS0_14default_configENS1_38merge_sort_block_merge_config_selectorIbNS0_10empty_typeEEEZZNS1_27merge_sort_block_merge_implIS3_PbPS5_jNS1_19radix_merge_compareILb1ELb0EbNS0_19identity_decomposerEEEEE10hipError_tT0_T1_T2_jT3_P12ihipStream_tbPNSt15iterator_traitsISE_E10value_typeEPNSK_ISF_E10value_typeEPSG_NS1_7vsmem_tEENKUlT_SE_SF_SG_E_clIS8_S8_S9_S9_EESD_ST_SE_SF_SG_EUlST_E_NS1_11comp_targetILNS1_3genE9ELNS1_11target_archE1100ELNS1_3gpuE3ELNS1_3repE0EEENS1_48merge_mergepath_partition_config_static_selectorELNS0_4arch9wavefront6targetE0EEEvSF_.has_recursion, 0
	.set _ZN7rocprim17ROCPRIM_400000_NS6detail17trampoline_kernelINS0_14default_configENS1_38merge_sort_block_merge_config_selectorIbNS0_10empty_typeEEEZZNS1_27merge_sort_block_merge_implIS3_PbPS5_jNS1_19radix_merge_compareILb1ELb0EbNS0_19identity_decomposerEEEEE10hipError_tT0_T1_T2_jT3_P12ihipStream_tbPNSt15iterator_traitsISE_E10value_typeEPNSK_ISF_E10value_typeEPSG_NS1_7vsmem_tEENKUlT_SE_SF_SG_E_clIS8_S8_S9_S9_EESD_ST_SE_SF_SG_EUlST_E_NS1_11comp_targetILNS1_3genE9ELNS1_11target_archE1100ELNS1_3gpuE3ELNS1_3repE0EEENS1_48merge_mergepath_partition_config_static_selectorELNS0_4arch9wavefront6targetE0EEEvSF_.has_indirect_call, 0
	.section	.AMDGPU.csdata,"",@progbits
; Kernel info:
; codeLenInByte = 0
; TotalNumSgprs: 0
; NumVgprs: 0
; ScratchSize: 0
; MemoryBound: 0
; FloatMode: 240
; IeeeMode: 1
; LDSByteSize: 0 bytes/workgroup (compile time only)
; SGPRBlocks: 0
; VGPRBlocks: 0
; NumSGPRsForWavesPerEU: 1
; NumVGPRsForWavesPerEU: 1
; NamedBarCnt: 0
; Occupancy: 16
; WaveLimiterHint : 0
; COMPUTE_PGM_RSRC2:SCRATCH_EN: 0
; COMPUTE_PGM_RSRC2:USER_SGPR: 2
; COMPUTE_PGM_RSRC2:TRAP_HANDLER: 0
; COMPUTE_PGM_RSRC2:TGID_X_EN: 1
; COMPUTE_PGM_RSRC2:TGID_Y_EN: 0
; COMPUTE_PGM_RSRC2:TGID_Z_EN: 0
; COMPUTE_PGM_RSRC2:TIDIG_COMP_CNT: 0
	.section	.text._ZN7rocprim17ROCPRIM_400000_NS6detail17trampoline_kernelINS0_14default_configENS1_38merge_sort_block_merge_config_selectorIbNS0_10empty_typeEEEZZNS1_27merge_sort_block_merge_implIS3_PbPS5_jNS1_19radix_merge_compareILb1ELb0EbNS0_19identity_decomposerEEEEE10hipError_tT0_T1_T2_jT3_P12ihipStream_tbPNSt15iterator_traitsISE_E10value_typeEPNSK_ISF_E10value_typeEPSG_NS1_7vsmem_tEENKUlT_SE_SF_SG_E_clIS8_S8_S9_S9_EESD_ST_SE_SF_SG_EUlST_E_NS1_11comp_targetILNS1_3genE8ELNS1_11target_archE1030ELNS1_3gpuE2ELNS1_3repE0EEENS1_48merge_mergepath_partition_config_static_selectorELNS0_4arch9wavefront6targetE0EEEvSF_,"axG",@progbits,_ZN7rocprim17ROCPRIM_400000_NS6detail17trampoline_kernelINS0_14default_configENS1_38merge_sort_block_merge_config_selectorIbNS0_10empty_typeEEEZZNS1_27merge_sort_block_merge_implIS3_PbPS5_jNS1_19radix_merge_compareILb1ELb0EbNS0_19identity_decomposerEEEEE10hipError_tT0_T1_T2_jT3_P12ihipStream_tbPNSt15iterator_traitsISE_E10value_typeEPNSK_ISF_E10value_typeEPSG_NS1_7vsmem_tEENKUlT_SE_SF_SG_E_clIS8_S8_S9_S9_EESD_ST_SE_SF_SG_EUlST_E_NS1_11comp_targetILNS1_3genE8ELNS1_11target_archE1030ELNS1_3gpuE2ELNS1_3repE0EEENS1_48merge_mergepath_partition_config_static_selectorELNS0_4arch9wavefront6targetE0EEEvSF_,comdat
	.protected	_ZN7rocprim17ROCPRIM_400000_NS6detail17trampoline_kernelINS0_14default_configENS1_38merge_sort_block_merge_config_selectorIbNS0_10empty_typeEEEZZNS1_27merge_sort_block_merge_implIS3_PbPS5_jNS1_19radix_merge_compareILb1ELb0EbNS0_19identity_decomposerEEEEE10hipError_tT0_T1_T2_jT3_P12ihipStream_tbPNSt15iterator_traitsISE_E10value_typeEPNSK_ISF_E10value_typeEPSG_NS1_7vsmem_tEENKUlT_SE_SF_SG_E_clIS8_S8_S9_S9_EESD_ST_SE_SF_SG_EUlST_E_NS1_11comp_targetILNS1_3genE8ELNS1_11target_archE1030ELNS1_3gpuE2ELNS1_3repE0EEENS1_48merge_mergepath_partition_config_static_selectorELNS0_4arch9wavefront6targetE0EEEvSF_ ; -- Begin function _ZN7rocprim17ROCPRIM_400000_NS6detail17trampoline_kernelINS0_14default_configENS1_38merge_sort_block_merge_config_selectorIbNS0_10empty_typeEEEZZNS1_27merge_sort_block_merge_implIS3_PbPS5_jNS1_19radix_merge_compareILb1ELb0EbNS0_19identity_decomposerEEEEE10hipError_tT0_T1_T2_jT3_P12ihipStream_tbPNSt15iterator_traitsISE_E10value_typeEPNSK_ISF_E10value_typeEPSG_NS1_7vsmem_tEENKUlT_SE_SF_SG_E_clIS8_S8_S9_S9_EESD_ST_SE_SF_SG_EUlST_E_NS1_11comp_targetILNS1_3genE8ELNS1_11target_archE1030ELNS1_3gpuE2ELNS1_3repE0EEENS1_48merge_mergepath_partition_config_static_selectorELNS0_4arch9wavefront6targetE0EEEvSF_
	.globl	_ZN7rocprim17ROCPRIM_400000_NS6detail17trampoline_kernelINS0_14default_configENS1_38merge_sort_block_merge_config_selectorIbNS0_10empty_typeEEEZZNS1_27merge_sort_block_merge_implIS3_PbPS5_jNS1_19radix_merge_compareILb1ELb0EbNS0_19identity_decomposerEEEEE10hipError_tT0_T1_T2_jT3_P12ihipStream_tbPNSt15iterator_traitsISE_E10value_typeEPNSK_ISF_E10value_typeEPSG_NS1_7vsmem_tEENKUlT_SE_SF_SG_E_clIS8_S8_S9_S9_EESD_ST_SE_SF_SG_EUlST_E_NS1_11comp_targetILNS1_3genE8ELNS1_11target_archE1030ELNS1_3gpuE2ELNS1_3repE0EEENS1_48merge_mergepath_partition_config_static_selectorELNS0_4arch9wavefront6targetE0EEEvSF_
	.p2align	8
	.type	_ZN7rocprim17ROCPRIM_400000_NS6detail17trampoline_kernelINS0_14default_configENS1_38merge_sort_block_merge_config_selectorIbNS0_10empty_typeEEEZZNS1_27merge_sort_block_merge_implIS3_PbPS5_jNS1_19radix_merge_compareILb1ELb0EbNS0_19identity_decomposerEEEEE10hipError_tT0_T1_T2_jT3_P12ihipStream_tbPNSt15iterator_traitsISE_E10value_typeEPNSK_ISF_E10value_typeEPSG_NS1_7vsmem_tEENKUlT_SE_SF_SG_E_clIS8_S8_S9_S9_EESD_ST_SE_SF_SG_EUlST_E_NS1_11comp_targetILNS1_3genE8ELNS1_11target_archE1030ELNS1_3gpuE2ELNS1_3repE0EEENS1_48merge_mergepath_partition_config_static_selectorELNS0_4arch9wavefront6targetE0EEEvSF_,@function
_ZN7rocprim17ROCPRIM_400000_NS6detail17trampoline_kernelINS0_14default_configENS1_38merge_sort_block_merge_config_selectorIbNS0_10empty_typeEEEZZNS1_27merge_sort_block_merge_implIS3_PbPS5_jNS1_19radix_merge_compareILb1ELb0EbNS0_19identity_decomposerEEEEE10hipError_tT0_T1_T2_jT3_P12ihipStream_tbPNSt15iterator_traitsISE_E10value_typeEPNSK_ISF_E10value_typeEPSG_NS1_7vsmem_tEENKUlT_SE_SF_SG_E_clIS8_S8_S9_S9_EESD_ST_SE_SF_SG_EUlST_E_NS1_11comp_targetILNS1_3genE8ELNS1_11target_archE1030ELNS1_3gpuE2ELNS1_3repE0EEENS1_48merge_mergepath_partition_config_static_selectorELNS0_4arch9wavefront6targetE0EEEvSF_: ; @_ZN7rocprim17ROCPRIM_400000_NS6detail17trampoline_kernelINS0_14default_configENS1_38merge_sort_block_merge_config_selectorIbNS0_10empty_typeEEEZZNS1_27merge_sort_block_merge_implIS3_PbPS5_jNS1_19radix_merge_compareILb1ELb0EbNS0_19identity_decomposerEEEEE10hipError_tT0_T1_T2_jT3_P12ihipStream_tbPNSt15iterator_traitsISE_E10value_typeEPNSK_ISF_E10value_typeEPSG_NS1_7vsmem_tEENKUlT_SE_SF_SG_E_clIS8_S8_S9_S9_EESD_ST_SE_SF_SG_EUlST_E_NS1_11comp_targetILNS1_3genE8ELNS1_11target_archE1030ELNS1_3gpuE2ELNS1_3repE0EEENS1_48merge_mergepath_partition_config_static_selectorELNS0_4arch9wavefront6targetE0EEEvSF_
; %bb.0:
	.section	.rodata,"a",@progbits
	.p2align	6, 0x0
	.amdhsa_kernel _ZN7rocprim17ROCPRIM_400000_NS6detail17trampoline_kernelINS0_14default_configENS1_38merge_sort_block_merge_config_selectorIbNS0_10empty_typeEEEZZNS1_27merge_sort_block_merge_implIS3_PbPS5_jNS1_19radix_merge_compareILb1ELb0EbNS0_19identity_decomposerEEEEE10hipError_tT0_T1_T2_jT3_P12ihipStream_tbPNSt15iterator_traitsISE_E10value_typeEPNSK_ISF_E10value_typeEPSG_NS1_7vsmem_tEENKUlT_SE_SF_SG_E_clIS8_S8_S9_S9_EESD_ST_SE_SF_SG_EUlST_E_NS1_11comp_targetILNS1_3genE8ELNS1_11target_archE1030ELNS1_3gpuE2ELNS1_3repE0EEENS1_48merge_mergepath_partition_config_static_selectorELNS0_4arch9wavefront6targetE0EEEvSF_
		.amdhsa_group_segment_fixed_size 0
		.amdhsa_private_segment_fixed_size 0
		.amdhsa_kernarg_size 40
		.amdhsa_user_sgpr_count 2
		.amdhsa_user_sgpr_dispatch_ptr 0
		.amdhsa_user_sgpr_queue_ptr 0
		.amdhsa_user_sgpr_kernarg_segment_ptr 1
		.amdhsa_user_sgpr_dispatch_id 0
		.amdhsa_user_sgpr_kernarg_preload_length 0
		.amdhsa_user_sgpr_kernarg_preload_offset 0
		.amdhsa_user_sgpr_private_segment_size 0
		.amdhsa_wavefront_size32 1
		.amdhsa_uses_dynamic_stack 0
		.amdhsa_enable_private_segment 0
		.amdhsa_system_sgpr_workgroup_id_x 1
		.amdhsa_system_sgpr_workgroup_id_y 0
		.amdhsa_system_sgpr_workgroup_id_z 0
		.amdhsa_system_sgpr_workgroup_info 0
		.amdhsa_system_vgpr_workitem_id 0
		.amdhsa_next_free_vgpr 1
		.amdhsa_next_free_sgpr 1
		.amdhsa_named_barrier_count 0
		.amdhsa_reserve_vcc 0
		.amdhsa_float_round_mode_32 0
		.amdhsa_float_round_mode_16_64 0
		.amdhsa_float_denorm_mode_32 3
		.amdhsa_float_denorm_mode_16_64 3
		.amdhsa_fp16_overflow 0
		.amdhsa_memory_ordered 1
		.amdhsa_forward_progress 1
		.amdhsa_inst_pref_size 0
		.amdhsa_round_robin_scheduling 0
		.amdhsa_exception_fp_ieee_invalid_op 0
		.amdhsa_exception_fp_denorm_src 0
		.amdhsa_exception_fp_ieee_div_zero 0
		.amdhsa_exception_fp_ieee_overflow 0
		.amdhsa_exception_fp_ieee_underflow 0
		.amdhsa_exception_fp_ieee_inexact 0
		.amdhsa_exception_int_div_zero 0
	.end_amdhsa_kernel
	.section	.text._ZN7rocprim17ROCPRIM_400000_NS6detail17trampoline_kernelINS0_14default_configENS1_38merge_sort_block_merge_config_selectorIbNS0_10empty_typeEEEZZNS1_27merge_sort_block_merge_implIS3_PbPS5_jNS1_19radix_merge_compareILb1ELb0EbNS0_19identity_decomposerEEEEE10hipError_tT0_T1_T2_jT3_P12ihipStream_tbPNSt15iterator_traitsISE_E10value_typeEPNSK_ISF_E10value_typeEPSG_NS1_7vsmem_tEENKUlT_SE_SF_SG_E_clIS8_S8_S9_S9_EESD_ST_SE_SF_SG_EUlST_E_NS1_11comp_targetILNS1_3genE8ELNS1_11target_archE1030ELNS1_3gpuE2ELNS1_3repE0EEENS1_48merge_mergepath_partition_config_static_selectorELNS0_4arch9wavefront6targetE0EEEvSF_,"axG",@progbits,_ZN7rocprim17ROCPRIM_400000_NS6detail17trampoline_kernelINS0_14default_configENS1_38merge_sort_block_merge_config_selectorIbNS0_10empty_typeEEEZZNS1_27merge_sort_block_merge_implIS3_PbPS5_jNS1_19radix_merge_compareILb1ELb0EbNS0_19identity_decomposerEEEEE10hipError_tT0_T1_T2_jT3_P12ihipStream_tbPNSt15iterator_traitsISE_E10value_typeEPNSK_ISF_E10value_typeEPSG_NS1_7vsmem_tEENKUlT_SE_SF_SG_E_clIS8_S8_S9_S9_EESD_ST_SE_SF_SG_EUlST_E_NS1_11comp_targetILNS1_3genE8ELNS1_11target_archE1030ELNS1_3gpuE2ELNS1_3repE0EEENS1_48merge_mergepath_partition_config_static_selectorELNS0_4arch9wavefront6targetE0EEEvSF_,comdat
.Lfunc_end1666:
	.size	_ZN7rocprim17ROCPRIM_400000_NS6detail17trampoline_kernelINS0_14default_configENS1_38merge_sort_block_merge_config_selectorIbNS0_10empty_typeEEEZZNS1_27merge_sort_block_merge_implIS3_PbPS5_jNS1_19radix_merge_compareILb1ELb0EbNS0_19identity_decomposerEEEEE10hipError_tT0_T1_T2_jT3_P12ihipStream_tbPNSt15iterator_traitsISE_E10value_typeEPNSK_ISF_E10value_typeEPSG_NS1_7vsmem_tEENKUlT_SE_SF_SG_E_clIS8_S8_S9_S9_EESD_ST_SE_SF_SG_EUlST_E_NS1_11comp_targetILNS1_3genE8ELNS1_11target_archE1030ELNS1_3gpuE2ELNS1_3repE0EEENS1_48merge_mergepath_partition_config_static_selectorELNS0_4arch9wavefront6targetE0EEEvSF_, .Lfunc_end1666-_ZN7rocprim17ROCPRIM_400000_NS6detail17trampoline_kernelINS0_14default_configENS1_38merge_sort_block_merge_config_selectorIbNS0_10empty_typeEEEZZNS1_27merge_sort_block_merge_implIS3_PbPS5_jNS1_19radix_merge_compareILb1ELb0EbNS0_19identity_decomposerEEEEE10hipError_tT0_T1_T2_jT3_P12ihipStream_tbPNSt15iterator_traitsISE_E10value_typeEPNSK_ISF_E10value_typeEPSG_NS1_7vsmem_tEENKUlT_SE_SF_SG_E_clIS8_S8_S9_S9_EESD_ST_SE_SF_SG_EUlST_E_NS1_11comp_targetILNS1_3genE8ELNS1_11target_archE1030ELNS1_3gpuE2ELNS1_3repE0EEENS1_48merge_mergepath_partition_config_static_selectorELNS0_4arch9wavefront6targetE0EEEvSF_
                                        ; -- End function
	.set _ZN7rocprim17ROCPRIM_400000_NS6detail17trampoline_kernelINS0_14default_configENS1_38merge_sort_block_merge_config_selectorIbNS0_10empty_typeEEEZZNS1_27merge_sort_block_merge_implIS3_PbPS5_jNS1_19radix_merge_compareILb1ELb0EbNS0_19identity_decomposerEEEEE10hipError_tT0_T1_T2_jT3_P12ihipStream_tbPNSt15iterator_traitsISE_E10value_typeEPNSK_ISF_E10value_typeEPSG_NS1_7vsmem_tEENKUlT_SE_SF_SG_E_clIS8_S8_S9_S9_EESD_ST_SE_SF_SG_EUlST_E_NS1_11comp_targetILNS1_3genE8ELNS1_11target_archE1030ELNS1_3gpuE2ELNS1_3repE0EEENS1_48merge_mergepath_partition_config_static_selectorELNS0_4arch9wavefront6targetE0EEEvSF_.num_vgpr, 0
	.set _ZN7rocprim17ROCPRIM_400000_NS6detail17trampoline_kernelINS0_14default_configENS1_38merge_sort_block_merge_config_selectorIbNS0_10empty_typeEEEZZNS1_27merge_sort_block_merge_implIS3_PbPS5_jNS1_19radix_merge_compareILb1ELb0EbNS0_19identity_decomposerEEEEE10hipError_tT0_T1_T2_jT3_P12ihipStream_tbPNSt15iterator_traitsISE_E10value_typeEPNSK_ISF_E10value_typeEPSG_NS1_7vsmem_tEENKUlT_SE_SF_SG_E_clIS8_S8_S9_S9_EESD_ST_SE_SF_SG_EUlST_E_NS1_11comp_targetILNS1_3genE8ELNS1_11target_archE1030ELNS1_3gpuE2ELNS1_3repE0EEENS1_48merge_mergepath_partition_config_static_selectorELNS0_4arch9wavefront6targetE0EEEvSF_.num_agpr, 0
	.set _ZN7rocprim17ROCPRIM_400000_NS6detail17trampoline_kernelINS0_14default_configENS1_38merge_sort_block_merge_config_selectorIbNS0_10empty_typeEEEZZNS1_27merge_sort_block_merge_implIS3_PbPS5_jNS1_19radix_merge_compareILb1ELb0EbNS0_19identity_decomposerEEEEE10hipError_tT0_T1_T2_jT3_P12ihipStream_tbPNSt15iterator_traitsISE_E10value_typeEPNSK_ISF_E10value_typeEPSG_NS1_7vsmem_tEENKUlT_SE_SF_SG_E_clIS8_S8_S9_S9_EESD_ST_SE_SF_SG_EUlST_E_NS1_11comp_targetILNS1_3genE8ELNS1_11target_archE1030ELNS1_3gpuE2ELNS1_3repE0EEENS1_48merge_mergepath_partition_config_static_selectorELNS0_4arch9wavefront6targetE0EEEvSF_.numbered_sgpr, 0
	.set _ZN7rocprim17ROCPRIM_400000_NS6detail17trampoline_kernelINS0_14default_configENS1_38merge_sort_block_merge_config_selectorIbNS0_10empty_typeEEEZZNS1_27merge_sort_block_merge_implIS3_PbPS5_jNS1_19radix_merge_compareILb1ELb0EbNS0_19identity_decomposerEEEEE10hipError_tT0_T1_T2_jT3_P12ihipStream_tbPNSt15iterator_traitsISE_E10value_typeEPNSK_ISF_E10value_typeEPSG_NS1_7vsmem_tEENKUlT_SE_SF_SG_E_clIS8_S8_S9_S9_EESD_ST_SE_SF_SG_EUlST_E_NS1_11comp_targetILNS1_3genE8ELNS1_11target_archE1030ELNS1_3gpuE2ELNS1_3repE0EEENS1_48merge_mergepath_partition_config_static_selectorELNS0_4arch9wavefront6targetE0EEEvSF_.num_named_barrier, 0
	.set _ZN7rocprim17ROCPRIM_400000_NS6detail17trampoline_kernelINS0_14default_configENS1_38merge_sort_block_merge_config_selectorIbNS0_10empty_typeEEEZZNS1_27merge_sort_block_merge_implIS3_PbPS5_jNS1_19radix_merge_compareILb1ELb0EbNS0_19identity_decomposerEEEEE10hipError_tT0_T1_T2_jT3_P12ihipStream_tbPNSt15iterator_traitsISE_E10value_typeEPNSK_ISF_E10value_typeEPSG_NS1_7vsmem_tEENKUlT_SE_SF_SG_E_clIS8_S8_S9_S9_EESD_ST_SE_SF_SG_EUlST_E_NS1_11comp_targetILNS1_3genE8ELNS1_11target_archE1030ELNS1_3gpuE2ELNS1_3repE0EEENS1_48merge_mergepath_partition_config_static_selectorELNS0_4arch9wavefront6targetE0EEEvSF_.private_seg_size, 0
	.set _ZN7rocprim17ROCPRIM_400000_NS6detail17trampoline_kernelINS0_14default_configENS1_38merge_sort_block_merge_config_selectorIbNS0_10empty_typeEEEZZNS1_27merge_sort_block_merge_implIS3_PbPS5_jNS1_19radix_merge_compareILb1ELb0EbNS0_19identity_decomposerEEEEE10hipError_tT0_T1_T2_jT3_P12ihipStream_tbPNSt15iterator_traitsISE_E10value_typeEPNSK_ISF_E10value_typeEPSG_NS1_7vsmem_tEENKUlT_SE_SF_SG_E_clIS8_S8_S9_S9_EESD_ST_SE_SF_SG_EUlST_E_NS1_11comp_targetILNS1_3genE8ELNS1_11target_archE1030ELNS1_3gpuE2ELNS1_3repE0EEENS1_48merge_mergepath_partition_config_static_selectorELNS0_4arch9wavefront6targetE0EEEvSF_.uses_vcc, 0
	.set _ZN7rocprim17ROCPRIM_400000_NS6detail17trampoline_kernelINS0_14default_configENS1_38merge_sort_block_merge_config_selectorIbNS0_10empty_typeEEEZZNS1_27merge_sort_block_merge_implIS3_PbPS5_jNS1_19radix_merge_compareILb1ELb0EbNS0_19identity_decomposerEEEEE10hipError_tT0_T1_T2_jT3_P12ihipStream_tbPNSt15iterator_traitsISE_E10value_typeEPNSK_ISF_E10value_typeEPSG_NS1_7vsmem_tEENKUlT_SE_SF_SG_E_clIS8_S8_S9_S9_EESD_ST_SE_SF_SG_EUlST_E_NS1_11comp_targetILNS1_3genE8ELNS1_11target_archE1030ELNS1_3gpuE2ELNS1_3repE0EEENS1_48merge_mergepath_partition_config_static_selectorELNS0_4arch9wavefront6targetE0EEEvSF_.uses_flat_scratch, 0
	.set _ZN7rocprim17ROCPRIM_400000_NS6detail17trampoline_kernelINS0_14default_configENS1_38merge_sort_block_merge_config_selectorIbNS0_10empty_typeEEEZZNS1_27merge_sort_block_merge_implIS3_PbPS5_jNS1_19radix_merge_compareILb1ELb0EbNS0_19identity_decomposerEEEEE10hipError_tT0_T1_T2_jT3_P12ihipStream_tbPNSt15iterator_traitsISE_E10value_typeEPNSK_ISF_E10value_typeEPSG_NS1_7vsmem_tEENKUlT_SE_SF_SG_E_clIS8_S8_S9_S9_EESD_ST_SE_SF_SG_EUlST_E_NS1_11comp_targetILNS1_3genE8ELNS1_11target_archE1030ELNS1_3gpuE2ELNS1_3repE0EEENS1_48merge_mergepath_partition_config_static_selectorELNS0_4arch9wavefront6targetE0EEEvSF_.has_dyn_sized_stack, 0
	.set _ZN7rocprim17ROCPRIM_400000_NS6detail17trampoline_kernelINS0_14default_configENS1_38merge_sort_block_merge_config_selectorIbNS0_10empty_typeEEEZZNS1_27merge_sort_block_merge_implIS3_PbPS5_jNS1_19radix_merge_compareILb1ELb0EbNS0_19identity_decomposerEEEEE10hipError_tT0_T1_T2_jT3_P12ihipStream_tbPNSt15iterator_traitsISE_E10value_typeEPNSK_ISF_E10value_typeEPSG_NS1_7vsmem_tEENKUlT_SE_SF_SG_E_clIS8_S8_S9_S9_EESD_ST_SE_SF_SG_EUlST_E_NS1_11comp_targetILNS1_3genE8ELNS1_11target_archE1030ELNS1_3gpuE2ELNS1_3repE0EEENS1_48merge_mergepath_partition_config_static_selectorELNS0_4arch9wavefront6targetE0EEEvSF_.has_recursion, 0
	.set _ZN7rocprim17ROCPRIM_400000_NS6detail17trampoline_kernelINS0_14default_configENS1_38merge_sort_block_merge_config_selectorIbNS0_10empty_typeEEEZZNS1_27merge_sort_block_merge_implIS3_PbPS5_jNS1_19radix_merge_compareILb1ELb0EbNS0_19identity_decomposerEEEEE10hipError_tT0_T1_T2_jT3_P12ihipStream_tbPNSt15iterator_traitsISE_E10value_typeEPNSK_ISF_E10value_typeEPSG_NS1_7vsmem_tEENKUlT_SE_SF_SG_E_clIS8_S8_S9_S9_EESD_ST_SE_SF_SG_EUlST_E_NS1_11comp_targetILNS1_3genE8ELNS1_11target_archE1030ELNS1_3gpuE2ELNS1_3repE0EEENS1_48merge_mergepath_partition_config_static_selectorELNS0_4arch9wavefront6targetE0EEEvSF_.has_indirect_call, 0
	.section	.AMDGPU.csdata,"",@progbits
; Kernel info:
; codeLenInByte = 0
; TotalNumSgprs: 0
; NumVgprs: 0
; ScratchSize: 0
; MemoryBound: 0
; FloatMode: 240
; IeeeMode: 1
; LDSByteSize: 0 bytes/workgroup (compile time only)
; SGPRBlocks: 0
; VGPRBlocks: 0
; NumSGPRsForWavesPerEU: 1
; NumVGPRsForWavesPerEU: 1
; NamedBarCnt: 0
; Occupancy: 16
; WaveLimiterHint : 0
; COMPUTE_PGM_RSRC2:SCRATCH_EN: 0
; COMPUTE_PGM_RSRC2:USER_SGPR: 2
; COMPUTE_PGM_RSRC2:TRAP_HANDLER: 0
; COMPUTE_PGM_RSRC2:TGID_X_EN: 1
; COMPUTE_PGM_RSRC2:TGID_Y_EN: 0
; COMPUTE_PGM_RSRC2:TGID_Z_EN: 0
; COMPUTE_PGM_RSRC2:TIDIG_COMP_CNT: 0
	.section	.text._ZN7rocprim17ROCPRIM_400000_NS6detail17trampoline_kernelINS0_14default_configENS1_38merge_sort_block_merge_config_selectorIbNS0_10empty_typeEEEZZNS1_27merge_sort_block_merge_implIS3_PbPS5_jNS1_19radix_merge_compareILb1ELb0EbNS0_19identity_decomposerEEEEE10hipError_tT0_T1_T2_jT3_P12ihipStream_tbPNSt15iterator_traitsISE_E10value_typeEPNSK_ISF_E10value_typeEPSG_NS1_7vsmem_tEENKUlT_SE_SF_SG_E_clIS8_S8_S9_S9_EESD_ST_SE_SF_SG_EUlST_E0_NS1_11comp_targetILNS1_3genE0ELNS1_11target_archE4294967295ELNS1_3gpuE0ELNS1_3repE0EEENS1_38merge_mergepath_config_static_selectorELNS0_4arch9wavefront6targetE0EEEvSF_,"axG",@progbits,_ZN7rocprim17ROCPRIM_400000_NS6detail17trampoline_kernelINS0_14default_configENS1_38merge_sort_block_merge_config_selectorIbNS0_10empty_typeEEEZZNS1_27merge_sort_block_merge_implIS3_PbPS5_jNS1_19radix_merge_compareILb1ELb0EbNS0_19identity_decomposerEEEEE10hipError_tT0_T1_T2_jT3_P12ihipStream_tbPNSt15iterator_traitsISE_E10value_typeEPNSK_ISF_E10value_typeEPSG_NS1_7vsmem_tEENKUlT_SE_SF_SG_E_clIS8_S8_S9_S9_EESD_ST_SE_SF_SG_EUlST_E0_NS1_11comp_targetILNS1_3genE0ELNS1_11target_archE4294967295ELNS1_3gpuE0ELNS1_3repE0EEENS1_38merge_mergepath_config_static_selectorELNS0_4arch9wavefront6targetE0EEEvSF_,comdat
	.protected	_ZN7rocprim17ROCPRIM_400000_NS6detail17trampoline_kernelINS0_14default_configENS1_38merge_sort_block_merge_config_selectorIbNS0_10empty_typeEEEZZNS1_27merge_sort_block_merge_implIS3_PbPS5_jNS1_19radix_merge_compareILb1ELb0EbNS0_19identity_decomposerEEEEE10hipError_tT0_T1_T2_jT3_P12ihipStream_tbPNSt15iterator_traitsISE_E10value_typeEPNSK_ISF_E10value_typeEPSG_NS1_7vsmem_tEENKUlT_SE_SF_SG_E_clIS8_S8_S9_S9_EESD_ST_SE_SF_SG_EUlST_E0_NS1_11comp_targetILNS1_3genE0ELNS1_11target_archE4294967295ELNS1_3gpuE0ELNS1_3repE0EEENS1_38merge_mergepath_config_static_selectorELNS0_4arch9wavefront6targetE0EEEvSF_ ; -- Begin function _ZN7rocprim17ROCPRIM_400000_NS6detail17trampoline_kernelINS0_14default_configENS1_38merge_sort_block_merge_config_selectorIbNS0_10empty_typeEEEZZNS1_27merge_sort_block_merge_implIS3_PbPS5_jNS1_19radix_merge_compareILb1ELb0EbNS0_19identity_decomposerEEEEE10hipError_tT0_T1_T2_jT3_P12ihipStream_tbPNSt15iterator_traitsISE_E10value_typeEPNSK_ISF_E10value_typeEPSG_NS1_7vsmem_tEENKUlT_SE_SF_SG_E_clIS8_S8_S9_S9_EESD_ST_SE_SF_SG_EUlST_E0_NS1_11comp_targetILNS1_3genE0ELNS1_11target_archE4294967295ELNS1_3gpuE0ELNS1_3repE0EEENS1_38merge_mergepath_config_static_selectorELNS0_4arch9wavefront6targetE0EEEvSF_
	.globl	_ZN7rocprim17ROCPRIM_400000_NS6detail17trampoline_kernelINS0_14default_configENS1_38merge_sort_block_merge_config_selectorIbNS0_10empty_typeEEEZZNS1_27merge_sort_block_merge_implIS3_PbPS5_jNS1_19radix_merge_compareILb1ELb0EbNS0_19identity_decomposerEEEEE10hipError_tT0_T1_T2_jT3_P12ihipStream_tbPNSt15iterator_traitsISE_E10value_typeEPNSK_ISF_E10value_typeEPSG_NS1_7vsmem_tEENKUlT_SE_SF_SG_E_clIS8_S8_S9_S9_EESD_ST_SE_SF_SG_EUlST_E0_NS1_11comp_targetILNS1_3genE0ELNS1_11target_archE4294967295ELNS1_3gpuE0ELNS1_3repE0EEENS1_38merge_mergepath_config_static_selectorELNS0_4arch9wavefront6targetE0EEEvSF_
	.p2align	8
	.type	_ZN7rocprim17ROCPRIM_400000_NS6detail17trampoline_kernelINS0_14default_configENS1_38merge_sort_block_merge_config_selectorIbNS0_10empty_typeEEEZZNS1_27merge_sort_block_merge_implIS3_PbPS5_jNS1_19radix_merge_compareILb1ELb0EbNS0_19identity_decomposerEEEEE10hipError_tT0_T1_T2_jT3_P12ihipStream_tbPNSt15iterator_traitsISE_E10value_typeEPNSK_ISF_E10value_typeEPSG_NS1_7vsmem_tEENKUlT_SE_SF_SG_E_clIS8_S8_S9_S9_EESD_ST_SE_SF_SG_EUlST_E0_NS1_11comp_targetILNS1_3genE0ELNS1_11target_archE4294967295ELNS1_3gpuE0ELNS1_3repE0EEENS1_38merge_mergepath_config_static_selectorELNS0_4arch9wavefront6targetE0EEEvSF_,@function
_ZN7rocprim17ROCPRIM_400000_NS6detail17trampoline_kernelINS0_14default_configENS1_38merge_sort_block_merge_config_selectorIbNS0_10empty_typeEEEZZNS1_27merge_sort_block_merge_implIS3_PbPS5_jNS1_19radix_merge_compareILb1ELb0EbNS0_19identity_decomposerEEEEE10hipError_tT0_T1_T2_jT3_P12ihipStream_tbPNSt15iterator_traitsISE_E10value_typeEPNSK_ISF_E10value_typeEPSG_NS1_7vsmem_tEENKUlT_SE_SF_SG_E_clIS8_S8_S9_S9_EESD_ST_SE_SF_SG_EUlST_E0_NS1_11comp_targetILNS1_3genE0ELNS1_11target_archE4294967295ELNS1_3gpuE0ELNS1_3repE0EEENS1_38merge_mergepath_config_static_selectorELNS0_4arch9wavefront6targetE0EEEvSF_: ; @_ZN7rocprim17ROCPRIM_400000_NS6detail17trampoline_kernelINS0_14default_configENS1_38merge_sort_block_merge_config_selectorIbNS0_10empty_typeEEEZZNS1_27merge_sort_block_merge_implIS3_PbPS5_jNS1_19radix_merge_compareILb1ELb0EbNS0_19identity_decomposerEEEEE10hipError_tT0_T1_T2_jT3_P12ihipStream_tbPNSt15iterator_traitsISE_E10value_typeEPNSK_ISF_E10value_typeEPSG_NS1_7vsmem_tEENKUlT_SE_SF_SG_E_clIS8_S8_S9_S9_EESD_ST_SE_SF_SG_EUlST_E0_NS1_11comp_targetILNS1_3genE0ELNS1_11target_archE4294967295ELNS1_3gpuE0ELNS1_3repE0EEENS1_38merge_mergepath_config_static_selectorELNS0_4arch9wavefront6targetE0EEEvSF_
; %bb.0:
	s_bfe_u32 s2, ttmp6, 0x40010
	s_and_b32 s4, ttmp7, 0xffff
	s_add_co_i32 s5, s2, 1
	s_clause 0x1
	s_load_b32 s7, s[0:1], 0x30
	s_load_b64 s[2:3], s[0:1], 0x40
	s_bfe_u32 s8, ttmp6, 0x4000c
	s_mul_i32 s5, s4, s5
	s_bfe_u32 s6, ttmp6, 0x40004
	s_add_co_i32 s8, s8, 1
	s_bfe_u32 s9, ttmp6, 0x40014
	s_add_co_i32 s6, s6, s5
	s_and_b32 s5, ttmp6, 15
	s_mul_i32 s8, ttmp9, s8
	s_lshr_b32 s10, ttmp7, 16
	s_add_co_i32 s9, s9, 1
	s_add_co_i32 s5, s5, s8
	s_mul_i32 s8, s10, s9
	s_bfe_u32 s9, ttmp6, 0x40008
	s_getreg_b32 s11, hwreg(HW_REG_IB_STS2, 6, 4)
	s_add_co_i32 s9, s9, s8
	s_cmp_eq_u32 s11, 0
	s_cselect_b32 s8, s10, s9
	s_cselect_b32 s4, s4, s6
	s_wait_kmcnt 0x0
	s_mul_i32 s8, s3, s8
	s_cselect_b32 s3, ttmp9, s5
	s_add_co_i32 s4, s8, s4
	s_delay_alu instid0(SALU_CYCLE_1) | instskip(NEXT) | instid1(SALU_CYCLE_1)
	s_mul_i32 s4, s4, s2
	s_add_co_i32 s6, s4, s3
	s_delay_alu instid0(SALU_CYCLE_1)
	s_cmp_ge_u32 s6, s7
	s_mov_b32 s7, 0
	s_cbranch_scc1 .LBB1667_51
; %bb.1:
	v_mov_b32_e32 v3, 0
	s_add_nc_u64 s[4:5], s[0:1], 64
	global_load_b32 v1, v3, s[4:5] offset:14
	s_clause 0x2
	s_load_b64 s[8:9], s[0:1], 0x28
	s_load_b64 s[10:11], s[0:1], 0x38
	;; [unrolled: 1-line block ×3, first 2 shown]
	s_wait_kmcnt 0x0
	s_lshr_b32 s15, s8, 10
	s_delay_alu instid0(SALU_CYCLE_1) | instskip(SKIP_2) | instid1(SALU_CYCLE_1)
	s_cmp_lg_u32 s6, s15
	s_cselect_b32 s14, -1, 0
	s_lshl_b64 s[12:13], s[6:7], 2
	s_add_nc_u64 s[10:11], s[10:11], s[12:13]
	s_load_b64 s[18:19], s[10:11], 0x0
	s_wait_xcnt 0x0
	s_lshr_b32 s10, s9, 9
	s_delay_alu instid0(SALU_CYCLE_1) | instskip(NEXT) | instid1(SALU_CYCLE_1)
	s_and_b32 s10, s10, 0x7ffffe
	s_sub_co_i32 s11, 0, s10
	s_lshl_b32 s10, s6, 10
	s_and_b32 s12, s6, s11
	s_or_b32 s11, s6, s11
	s_lshl_b32 s13, s12, 11
	s_lshl_b32 s12, s12, 10
	s_add_co_i32 s13, s13, s9
	s_sub_co_i32 s20, s10, s12
	s_sub_co_i32 s12, s13, s12
	s_add_co_i32 s13, s13, s20
	s_min_u32 s21, s8, s12
	s_add_co_i32 s12, s12, s9
	s_wait_kmcnt 0x0
	s_sub_co_i32 s9, s13, s18
	s_sub_co_i32 s13, s13, s19
	s_min_u32 s20, s8, s9
	s_addk_co_i32 s13, 0x400
	s_cmp_eq_u32 s11, -1
	s_cselect_b32 s9, s12, s13
	s_cselect_b32 s11, s21, s19
	s_min_u32 s12, s9, s8
	s_sub_co_i32 s9, s11, s18
	s_sub_co_i32 s11, s12, s20
	s_cmp_lt_u32 s3, s2
	s_mov_b32 s3, s7
	s_cselect_b32 s2, 12, 18
	s_mov_b32 s19, s7
	s_add_nc_u64 s[2:3], s[4:5], s[2:3]
	s_mov_b32 s21, s7
	s_load_u16 s2, s[2:3], 0x0
	s_mov_b32 s12, -1
	s_cmp_eq_u32 s6, s15
	s_add_nc_u64 s[4:5], s[16:17], s[20:21]
	s_wait_loadcnt 0x0
	v_lshrrev_b32_e32 v2, 16, v1
	v_and_b32_e32 v1, 0xffff, v1
	s_delay_alu instid0(VALU_DEP_1) | instskip(SKIP_1) | instid1(VALU_DEP_1)
	v_mul_lo_u32 v1, v1, v2
	s_wait_kmcnt 0x0
	v_mul_lo_u32 v1, v1, s2
	s_add_nc_u64 s[2:3], s[16:17], s[18:19]
	s_delay_alu instid0(VALU_DEP_1)
	v_add_nc_u32_e32 v4, v1, v0
	s_cbranch_scc1 .LBB1667_3
; %bb.2:
	v_subrev_nc_u32_e32 v2, s9, v0
	v_dual_mov_b32 v5, s3 :: v_dual_mov_b32 v18, s2
	v_cmp_gt_u32_e32 vcc_lo, s9, v0
	v_subrev_nc_u32_e32 v8, s9, v4
	s_delay_alu instid0(VALU_DEP_4)
	v_min_u32_e32 v2, v0, v2
	v_add_nc_u32_e32 v10, v4, v1
	s_add_co_i32 s6, s11, s9
	v_cndmask_b32_e32 v7, s5, v5, vcc_lo
	v_cndmask_b32_e32 v6, s4, v18, vcc_lo
	v_cmp_gt_u32_e32 vcc_lo, s9, v4
	v_subrev_nc_u32_e32 v11, s9, v10
	v_add_nc_u32_e32 v12, v10, v1
	s_delay_alu instid0(VALU_DEP_4)
	v_add_nc_u64_e32 v[6:7], v[6:7], v[2:3]
	v_min_u32_e32 v2, v4, v8
	v_cndmask_b32_e32 v9, s5, v5, vcc_lo
	v_cndmask_b32_e32 v8, s4, v18, vcc_lo
	v_cmp_gt_u32_e32 vcc_lo, s9, v10
	v_subrev_nc_u32_e32 v13, s9, v12
	v_add_nc_u32_e32 v14, v12, v1
	s_mov_b32 s7, -1
	v_add_nc_u64_e32 v[8:9], v[8:9], v[2:3]
	v_min_u32_e32 v2, v10, v11
	v_cndmask_b32_e32 v11, s5, v5, vcc_lo
	v_cndmask_b32_e32 v10, s4, v18, vcc_lo
	v_cmp_gt_u32_e32 vcc_lo, s9, v12
	v_subrev_nc_u32_e32 v15, s9, v14
	v_add_nc_u32_e32 v16, v14, v1
	s_delay_alu instid0(VALU_DEP_4)
	v_add_nc_u64_e32 v[10:11], v[10:11], v[2:3]
	v_min_u32_e32 v2, v12, v13
	v_cndmask_b32_e32 v13, s5, v5, vcc_lo
	v_cndmask_b32_e32 v12, s4, v18, vcc_lo
	v_cmp_gt_u32_e32 vcc_lo, s9, v14
	v_subrev_nc_u32_e32 v17, s9, v16
	v_add_nc_u32_e32 v20, v16, v1
	s_delay_alu instid0(VALU_DEP_4)
	v_add_nc_u64_e32 v[12:13], v[12:13], v[2:3]
	v_min_u32_e32 v2, v14, v15
	v_cndmask_b32_e32 v15, s5, v5, vcc_lo
	v_cndmask_b32_e32 v14, s4, v18, vcc_lo
	v_cmp_gt_u32_e32 vcc_lo, s9, v16
	v_subrev_nc_u32_e32 v19, s9, v20
	s_delay_alu instid0(VALU_DEP_3) | instskip(SKIP_4) | instid1(VALU_DEP_2)
	v_add_nc_u64_e32 v[14:15], v[14:15], v[2:3]
	v_min_u32_e32 v2, v16, v17
	v_cndmask_b32_e32 v17, s5, v5, vcc_lo
	v_cndmask_b32_e32 v16, s4, v18, vcc_lo
	v_cmp_gt_u32_e32 vcc_lo, s9, v20
	v_add_nc_u64_e32 v[16:17], v[16:17], v[2:3]
	v_min_u32_e32 v2, v20, v19
	v_cndmask_b32_e32 v19, s5, v5, vcc_lo
	v_cndmask_b32_e32 v18, s4, v18, vcc_lo
	s_delay_alu instid0(VALU_DEP_1)
	v_add_nc_u64_e32 v[2:3], v[18:19], v[2:3]
	global_load_u8 v5, v[10:11], off
	global_load_u8 v18, v[12:13], off
	global_load_u8 v19, v[8:9], off
	global_load_u8 v21, v[6:7], off
	global_load_u8 v22, v[14:15], off
	global_load_u8 v23, v[16:17], off
	global_load_u8 v24, v[2:3], off
	s_wait_loadcnt 0x5
	s_wait_xcnt 0x0
	v_perm_b32 v3, v5, v18, 0xc0c0004
	v_add_nc_u32_e32 v5, v20, v1
	s_wait_loadcnt 0x3
	v_perm_b32 v2, v21, v19, 0xc0c0004
	s_wait_loadcnt 0x1
	v_perm_b32 v6, v22, v23, 0xc0c0004
	s_delay_alu instid0(VALU_DEP_2) | instskip(SKIP_1) | instid1(VALU_DEP_2)
	v_lshl_or_b32 v2, v3, 16, v2
	s_wait_loadcnt 0x0
	v_lshl_or_b32 v3, v24, 16, v6
	v_mov_b32_e32 v6, s6
	s_cbranch_execz .LBB1667_4
	s_branch .LBB1667_19
.LBB1667_3:
                                        ; implicit-def: $vgpr5
                                        ; implicit-def: $vgpr2_vgpr3
                                        ; implicit-def: $vgpr6
	s_and_not1_b32 vcc_lo, exec_lo, s12
	s_cbranch_vccnz .LBB1667_19
.LBB1667_4:
	v_mov_b64_e32 v[2:3], 0
	s_add_co_i32 s6, s11, s9
	s_mov_b32 s7, exec_lo
	v_cmpx_gt_u32_e64 s6, v0
	s_cbranch_execz .LBB1667_6
; %bb.5:
	v_dual_mov_b32 v2, s3 :: v_dual_mov_b32 v5, s2
	v_cmp_gt_u32_e32 vcc_lo, s9, v0
	v_subrev_nc_u32_e32 v6, s9, v0
	s_mov_b32 s12, 0
	s_delay_alu instid0(VALU_DEP_3) | instskip(SKIP_1) | instid1(VALU_DEP_3)
	v_dual_mov_b32 v7, 0 :: v_dual_cndmask_b32 v3, s5, v2, vcc_lo
	v_cndmask_b32_e32 v2, s4, v5, vcc_lo
	v_min_u32_e32 v6, v0, v6
	s_delay_alu instid0(VALU_DEP_1)
	v_add_nc_u64_e32 v[2:3], v[2:3], v[6:7]
	global_load_u8 v2, v[2:3], off
	s_wait_xcnt 0x0
	v_mov_b32_e32 v3, s12
	s_wait_loadcnt 0x0
	v_and_b32_e32 v2, 0xffff, v2
.LBB1667_6:
	s_or_b32 exec_lo, exec_lo, s7
	s_delay_alu instid0(SALU_CYCLE_1)
	s_mov_b32 s7, exec_lo
	v_cmpx_gt_u32_e64 s6, v4
	s_cbranch_execz .LBB1667_8
; %bb.7:
	v_dual_mov_b32 v5, s3 :: v_dual_mov_b32 v6, s2
	v_cmp_gt_u32_e32 vcc_lo, s9, v4
	v_subrev_nc_u32_e32 v8, s9, v4
	s_delay_alu instid0(VALU_DEP_3) | instskip(NEXT) | instid1(VALU_DEP_4)
	v_dual_mov_b32 v9, 0 :: v_dual_cndmask_b32 v7, s5, v5, vcc_lo
	v_cndmask_b32_e32 v6, s4, v6, vcc_lo
	s_delay_alu instid0(VALU_DEP_3) | instskip(NEXT) | instid1(VALU_DEP_1)
	v_min_u32_e32 v8, v4, v8
	v_add_nc_u64_e32 v[6:7], v[6:7], v[8:9]
	global_load_u8 v5, v[6:7], off
	s_wait_loadcnt 0x0
	v_perm_b32 v2, v2, v5, 0x7060004
.LBB1667_8:
	s_or_b32 exec_lo, exec_lo, s7
	v_add_nc_u32_e32 v4, v4, v1
	s_mov_b32 s7, exec_lo
	s_delay_alu instid0(VALU_DEP_1)
	v_cmpx_gt_u32_e64 s6, v4
	s_cbranch_execz .LBB1667_10
; %bb.9:
	v_dual_mov_b32 v5, s3 :: v_dual_mov_b32 v6, s2
	v_cmp_gt_u32_e32 vcc_lo, s9, v4
	v_subrev_nc_u32_e32 v8, s9, v4
	s_delay_alu instid0(VALU_DEP_3) | instskip(NEXT) | instid1(VALU_DEP_4)
	v_dual_mov_b32 v9, 0 :: v_dual_cndmask_b32 v7, s5, v5, vcc_lo
	v_cndmask_b32_e32 v6, s4, v6, vcc_lo
	s_delay_alu instid0(VALU_DEP_3) | instskip(NEXT) | instid1(VALU_DEP_1)
	v_min_u32_e32 v8, v4, v8
	v_add_nc_u64_e32 v[6:7], v[6:7], v[8:9]
	global_load_u8 v5, v[6:7], off
	s_wait_loadcnt 0x0
	v_perm_b32 v5, v5, v2, 0xc0c0304
	s_delay_alu instid0(VALU_DEP_1) | instskip(NEXT) | instid1(VALU_DEP_1)
	v_lshlrev_b32_e32 v5, 16, v5
	v_and_or_b32 v2, 0xffff, v2, v5
.LBB1667_10:
	s_or_b32 exec_lo, exec_lo, s7
	v_add_nc_u32_e32 v4, v4, v1
	s_mov_b32 s7, exec_lo
	s_delay_alu instid0(VALU_DEP_1)
	v_cmpx_gt_u32_e64 s6, v4
	s_cbranch_execz .LBB1667_12
; %bb.11:
	v_dual_mov_b32 v5, s3 :: v_dual_mov_b32 v6, s2
	v_cmp_gt_u32_e32 vcc_lo, s9, v4
	v_subrev_nc_u32_e32 v8, s9, v4
	s_delay_alu instid0(VALU_DEP_3) | instskip(NEXT) | instid1(VALU_DEP_4)
	v_dual_mov_b32 v9, 0 :: v_dual_cndmask_b32 v7, s5, v5, vcc_lo
	v_cndmask_b32_e32 v6, s4, v6, vcc_lo
	s_delay_alu instid0(VALU_DEP_3) | instskip(NEXT) | instid1(VALU_DEP_1)
	v_min_u32_e32 v8, v4, v8
	v_add_nc_u64_e32 v[6:7], v[6:7], v[8:9]
	global_load_u8 v5, v[6:7], off
	s_wait_loadcnt 0x0
	v_perm_b32 v5, v2, v5, 0xc0c0006
	s_delay_alu instid0(VALU_DEP_1) | instskip(NEXT) | instid1(VALU_DEP_1)
	v_lshlrev_b32_e32 v5, 16, v5
	v_and_or_b32 v2, 0xffff, v2, v5
.LBB1667_12:
	s_or_b32 exec_lo, exec_lo, s7
	v_add_nc_u32_e32 v4, v4, v1
	s_mov_b32 s7, exec_lo
	s_delay_alu instid0(VALU_DEP_1)
	v_cmpx_gt_u32_e64 s6, v4
	s_cbranch_execz .LBB1667_14
; %bb.13:
	v_dual_mov_b32 v5, s3 :: v_dual_mov_b32 v6, s2
	v_cmp_gt_u32_e32 vcc_lo, s9, v4
	v_subrev_nc_u32_e32 v8, s9, v4
	s_delay_alu instid0(VALU_DEP_3) | instskip(NEXT) | instid1(VALU_DEP_4)
	v_dual_mov_b32 v9, 0 :: v_dual_cndmask_b32 v7, s5, v5, vcc_lo
	v_cndmask_b32_e32 v6, s4, v6, vcc_lo
	s_delay_alu instid0(VALU_DEP_3) | instskip(NEXT) | instid1(VALU_DEP_1)
	v_min_u32_e32 v8, v4, v8
	v_add_nc_u64_e32 v[6:7], v[6:7], v[8:9]
	global_load_u8 v5, v[6:7], off
	s_wait_loadcnt 0x0
	v_perm_b32 v3, v5, v3, 0x3020104
.LBB1667_14:
	s_or_b32 exec_lo, exec_lo, s7
	v_add_nc_u32_e32 v4, v4, v1
	s_mov_b32 s7, exec_lo
	s_delay_alu instid0(VALU_DEP_1)
	v_cmpx_gt_u32_e64 s6, v4
	s_cbranch_execz .LBB1667_16
; %bb.15:
	v_dual_mov_b32 v5, s3 :: v_dual_mov_b32 v6, s2
	v_cmp_gt_u32_e32 vcc_lo, s9, v4
	v_subrev_nc_u32_e32 v8, s9, v4
	s_delay_alu instid0(VALU_DEP_3) | instskip(NEXT) | instid1(VALU_DEP_4)
	v_dual_mov_b32 v9, 0 :: v_dual_cndmask_b32 v7, s5, v5, vcc_lo
	v_cndmask_b32_e32 v6, s4, v6, vcc_lo
	s_delay_alu instid0(VALU_DEP_3) | instskip(NEXT) | instid1(VALU_DEP_1)
	v_min_u32_e32 v8, v4, v8
	v_add_nc_u64_e32 v[6:7], v[6:7], v[8:9]
	global_load_u8 v5, v[6:7], off
	s_wait_loadcnt 0x0
	v_perm_b32 v3, v3, v5, 0x7060004
.LBB1667_16:
	;; [unrolled: 20-line block ×3, first 2 shown]
	s_or_b32 exec_lo, exec_lo, s7
	v_dual_mov_b32 v6, s6 :: v_dual_add_nc_u32 v5, v4, v1
	s_delay_alu instid0(VALU_DEP_1)
	v_cmp_gt_u32_e64 s7, s6, v5
.LBB1667_19:
	s_delay_alu instid0(VALU_DEP_1)
	s_and_saveexec_b32 s6, s7
	s_cbranch_execz .LBB1667_21
; %bb.20:
	v_subrev_nc_u32_e32 v1, s9, v5
	v_dual_mov_b32 v4, s3 :: v_dual_mov_b32 v7, s2
	v_cmp_gt_u32_e32 vcc_lo, s9, v5
	v_mov_b32_e32 v9, 0
	s_delay_alu instid0(VALU_DEP_4) | instskip(NEXT) | instid1(VALU_DEP_4)
	v_min_u32_e32 v8, v5, v1
	v_cndmask_b32_e32 v5, s5, v4, vcc_lo
	v_cndmask_b32_e32 v4, s4, v7, vcc_lo
	s_delay_alu instid0(VALU_DEP_1)
	v_add_nc_u64_e32 v[4:5], v[4:5], v[8:9]
	global_load_u8 v1, v[4:5], off
	s_wait_loadcnt 0x0
	v_perm_b32 v3, v3, v1, 0x60504
.LBB1667_21:
	s_or_b32 exec_lo, exec_lo, s6
	v_dual_lshlrev_b32 v7, 3, v0 :: v_dual_lshrrev_b32 v8, 8, v2
	s_delay_alu instid0(VALU_DEP_2) | instskip(SKIP_1) | instid1(VALU_DEP_3)
	v_lshrrev_b64 v[4:5], 24, v[2:3]
	v_dual_lshrrev_b32 v9, 16, v2 :: v_dual_lshrrev_b32 v5, 8, v3
	v_min_u32_e32 v1, v6, v7
	v_dual_lshrrev_b32 v10, 16, v3 :: v_dual_lshrrev_b32 v11, 24, v3
	s_mov_b32 s2, exec_lo
	ds_store_b8 v0, v2
	ds_store_b8 v0, v8 offset:128
	ds_store_b8 v0, v9 offset:256
	;; [unrolled: 1-line block ×7, first 2 shown]
	v_sub_nc_u32_e64 v12, v1, s11 clamp
	v_min_u32_e32 v13, s9, v1
	s_wait_dscnt 0x0
	s_barrier_signal -1
	s_barrier_wait -1
	s_delay_alu instid0(VALU_DEP_1)
	v_cmpx_lt_u32_e64 v12, v13
	s_cbranch_execz .LBB1667_25
; %bb.22:
	v_add_nc_u32_e32 v14, s9, v1
	s_mov_b32 s3, 0
.LBB1667_23:                            ; =>This Inner Loop Header: Depth=1
	v_add_nc_u32_e32 v15, v13, v12
	s_delay_alu instid0(VALU_DEP_1) | instskip(NEXT) | instid1(VALU_DEP_1)
	v_lshrrev_b32_e32 v15, 1, v15
	v_xad_u32 v16, v15, -1, v14
	ds_load_u8 v17, v15
	ds_load_u8 v16, v16
	s_wait_dscnt 0x0
	v_cmp_gt_u16_e32 vcc_lo, v16, v17
	v_dual_cndmask_b32 v13, v13, v15 :: v_dual_add_nc_u32 v18, 1, v15
	s_delay_alu instid0(VALU_DEP_1) | instskip(NEXT) | instid1(VALU_DEP_1)
	v_cndmask_b32_e32 v12, v18, v12, vcc_lo
	v_cmp_ge_u32_e32 vcc_lo, v12, v13
	s_or_b32 s3, vcc_lo, s3
	s_delay_alu instid0(SALU_CYCLE_1)
	s_and_not1_b32 exec_lo, exec_lo, s3
	s_cbranch_execnz .LBB1667_23
; %bb.24:
	s_or_b32 exec_lo, exec_lo, s3
.LBB1667_25:
	s_delay_alu instid0(SALU_CYCLE_1) | instskip(SKIP_3) | instid1(VALU_DEP_2)
	s_or_b32 exec_lo, exec_lo, s2
	s_load_b64 s[12:13], s[0:1], 0x10
	v_sub_nc_u32_e32 v1, v1, v12
	v_cmp_ge_u32_e32 vcc_lo, s9, v12
	v_add_nc_u32_e32 v13, s9, v1
	s_wait_xcnt 0x0
	s_delay_alu instid0(VALU_DEP_1) | instskip(SKIP_1) | instid1(SALU_CYCLE_1)
	v_cmp_le_u32_e64 s0, v13, v6
	s_or_b32 s0, vcc_lo, s0
	s_and_saveexec_b32 s11, s0
	s_cbranch_execz .LBB1667_31
; %bb.26:
	v_cmp_gt_u32_e32 vcc_lo, s9, v12
                                        ; implicit-def: $vgpr1
	s_and_saveexec_b32 s0, vcc_lo
; %bb.27:
	ds_load_u8 v1, v12
; %bb.28:
	s_or_b32 exec_lo, exec_lo, s0
	v_cmp_ge_u32_e64 s0, v13, v6
	s_mov_b32 s2, exec_lo
                                        ; implicit-def: $vgpr2
	v_cmpx_lt_u32_e64 v13, v6
; %bb.29:
	ds_load_u8 v2, v13
; %bb.30:
	s_or_b32 exec_lo, exec_lo, s2
	s_wait_dscnt 0x0
	v_and_b32_e32 v3, 0xff, v1
	v_and_b32_e32 v4, 0xff, v2
	s_delay_alu instid0(VALU_DEP_1) | instskip(SKIP_1) | instid1(SALU_CYCLE_1)
	v_cmp_le_u16_e64 s1, v4, v3
	s_and_b32 s1, vcc_lo, s1
	s_or_b32 vcc_lo, s0, s1
	v_cndmask_b32_e32 v3, v13, v12, vcc_lo
	v_cndmask_b32_e64 v4, v6, s9, vcc_lo
	s_delay_alu instid0(VALU_DEP_2) | instskip(NEXT) | instid1(VALU_DEP_1)
	v_add_nc_u32_e32 v3, 1, v3
	v_add_min_u32_e64 v4, v4, -1, v3
	ds_load_u8 v4, v4
	s_wait_dscnt 0x0
	v_dual_cndmask_b32 v5, v4, v2 :: v_dual_cndmask_b32 v4, v1, v4
	v_dual_cndmask_b32 v8, v12, v3 :: v_dual_cndmask_b32 v3, v3, v13
	s_delay_alu instid0(VALU_DEP_2) | instskip(NEXT) | instid1(VALU_DEP_3)
	v_and_b32_e32 v9, 0xff, v5
	v_and_b32_e32 v10, 0xff, v4
	s_delay_alu instid0(VALU_DEP_3) | instskip(NEXT) | instid1(VALU_DEP_4)
	v_cmp_gt_u32_e64 s0, s9, v8
	v_cmp_ge_u32_e64 s2, v3, v6
	s_delay_alu instid0(VALU_DEP_3) | instskip(SKIP_1) | instid1(SALU_CYCLE_1)
	v_cmp_le_u16_e64 s1, v9, v10
	s_and_b32 s0, s0, s1
	s_or_b32 s0, s2, s0
	s_delay_alu instid0(SALU_CYCLE_1) | instskip(SKIP_1) | instid1(VALU_DEP_2)
	v_dual_cndmask_b32 v2, v2, v1, vcc_lo :: v_dual_cndmask_b32 v9, v3, v8, s0
	v_cndmask_b32_e64 v10, v6, s9, s0
	v_add_nc_u32_e32 v9, 1, v9
	s_delay_alu instid0(VALU_DEP_1) | instskip(SKIP_4) | instid1(VALU_DEP_2)
	v_add_min_u32_e64 v10, v10, -1, v9
	ds_load_u8 v10, v10
	s_wait_dscnt 0x0
	v_dual_cndmask_b32 v11, v10, v5, s0 :: v_dual_cndmask_b32 v10, v4, v10, s0
	v_dual_cndmask_b32 v8, v8, v9, s0 :: v_dual_cndmask_b32 v3, v9, v3, s0
	v_and_b32_e32 v12, 0xff, v11
	s_delay_alu instid0(VALU_DEP_3) | instskip(NEXT) | instid1(VALU_DEP_3)
	v_and_b32_e32 v13, 0xff, v10
	v_cmp_gt_u32_e64 s1, s9, v8
	s_delay_alu instid0(VALU_DEP_4) | instskip(NEXT) | instid1(VALU_DEP_3)
	v_cmp_ge_u32_e64 s3, v3, v6
	v_cmp_le_u16_e64 s2, v12, v13
	s_and_b32 s1, s1, s2
	s_delay_alu instid0(SALU_CYCLE_1) | instskip(NEXT) | instid1(SALU_CYCLE_1)
	s_or_b32 s1, s3, s1
	v_cndmask_b32_e64 v9, v3, v8, s1
	v_cndmask_b32_e64 v12, v6, s9, s1
	s_delay_alu instid0(VALU_DEP_2) | instskip(NEXT) | instid1(VALU_DEP_1)
	v_add_nc_u32_e32 v9, 1, v9
	v_add_min_u32_e64 v12, v12, -1, v9
	ds_load_u8 v12, v12
	s_wait_dscnt 0x0
	v_dual_cndmask_b32 v13, v12, v11, s1 :: v_dual_cndmask_b32 v12, v10, v12, s1
	v_dual_cndmask_b32 v8, v8, v9, s1 :: v_dual_cndmask_b32 v3, v9, v3, s1
	s_delay_alu instid0(VALU_DEP_2) | instskip(NEXT) | instid1(VALU_DEP_3)
	v_and_b32_e32 v14, 0xff, v13
	v_and_b32_e32 v15, 0xff, v12
	s_delay_alu instid0(VALU_DEP_3) | instskip(NEXT) | instid1(VALU_DEP_4)
	v_cmp_gt_u32_e64 s2, s9, v8
	v_cmp_ge_u32_e64 s4, v3, v6
	s_delay_alu instid0(VALU_DEP_3) | instskip(SKIP_1) | instid1(SALU_CYCLE_1)
	v_cmp_le_u16_e64 s3, v14, v15
	s_and_b32 s2, s2, s3
	s_or_b32 s2, s4, s2
	s_delay_alu instid0(SALU_CYCLE_1) | instskip(SKIP_1) | instid1(VALU_DEP_2)
	v_cndmask_b32_e64 v9, v3, v8, s2
	v_cndmask_b32_e64 v14, v6, s9, s2
	v_add_nc_u32_e32 v9, 1, v9
	s_delay_alu instid0(VALU_DEP_1) | instskip(SKIP_4) | instid1(VALU_DEP_2)
	v_add_min_u32_e64 v14, v14, -1, v9
	ds_load_u8 v14, v14
	s_wait_dscnt 0x0
	v_dual_cndmask_b32 v15, v14, v13, s2 :: v_dual_cndmask_b32 v14, v12, v14, s2
	v_dual_cndmask_b32 v8, v8, v9, s2 :: v_dual_cndmask_b32 v3, v9, v3, s2
	v_and_b32_e32 v16, 0xff, v15
	s_delay_alu instid0(VALU_DEP_3) | instskip(NEXT) | instid1(VALU_DEP_3)
	v_and_b32_e32 v17, 0xff, v14
	v_cmp_gt_u32_e64 s3, s9, v8
	s_delay_alu instid0(VALU_DEP_4) | instskip(NEXT) | instid1(VALU_DEP_3)
	v_cmp_ge_u32_e64 s5, v3, v6
	v_cmp_le_u16_e64 s4, v16, v17
	s_and_b32 s3, s3, s4
	s_delay_alu instid0(SALU_CYCLE_1) | instskip(NEXT) | instid1(SALU_CYCLE_1)
	s_or_b32 s3, s5, s3
	v_cndmask_b32_e64 v9, v3, v8, s3
	v_cndmask_b32_e64 v16, v6, s9, s3
	s_delay_alu instid0(VALU_DEP_2) | instskip(NEXT) | instid1(VALU_DEP_1)
	v_add_nc_u32_e32 v9, 1, v9
	v_add_min_u32_e64 v16, v16, -1, v9
	ds_load_u8 v16, v16
	s_wait_dscnt 0x0
	v_dual_cndmask_b32 v17, v16, v15, s3 :: v_dual_cndmask_b32 v16, v14, v16, s3
	v_dual_cndmask_b32 v8, v8, v9, s3 :: v_dual_cndmask_b32 v3, v9, v3, s3
	s_delay_alu instid0(VALU_DEP_2) | instskip(NEXT) | instid1(VALU_DEP_3)
	v_and_b32_e32 v18, 0xff, v17
	v_and_b32_e32 v19, 0xff, v16
	s_delay_alu instid0(VALU_DEP_3) | instskip(NEXT) | instid1(VALU_DEP_4)
	v_cmp_gt_u32_e64 s4, s9, v8
	v_cmp_ge_u32_e64 s6, v3, v6
	s_delay_alu instid0(VALU_DEP_3) | instskip(SKIP_1) | instid1(SALU_CYCLE_1)
	v_cmp_le_u16_e64 s5, v18, v19
	s_and_b32 s4, s4, s5
	s_or_b32 s4, s6, s4
	s_delay_alu instid0(SALU_CYCLE_1) | instskip(SKIP_1) | instid1(VALU_DEP_2)
	v_cndmask_b32_e64 v9, v3, v8, s4
	v_cndmask_b32_e64 v18, v6, s9, s4
	v_add_nc_u32_e32 v9, 1, v9
	s_delay_alu instid0(VALU_DEP_1) | instskip(SKIP_4) | instid1(VALU_DEP_2)
	v_add_min_u32_e64 v18, v18, -1, v9
	ds_load_u8 v18, v18
	s_wait_dscnt 0x0
	v_dual_cndmask_b32 v19, v18, v17, s4 :: v_dual_cndmask_b32 v18, v16, v18, s4
	v_dual_cndmask_b32 v8, v8, v9, s4 :: v_dual_cndmask_b32 v3, v9, v3, s4
	v_and_b32_e32 v20, 0xff, v19
	s_delay_alu instid0(VALU_DEP_3) | instskip(NEXT) | instid1(VALU_DEP_3)
	v_and_b32_e32 v21, 0xff, v18
	v_cmp_gt_u32_e64 s5, s9, v8
	s_delay_alu instid0(VALU_DEP_4) | instskip(NEXT) | instid1(VALU_DEP_3)
	v_cmp_ge_u32_e64 s7, v3, v6
	v_cmp_le_u16_e64 s6, v20, v21
	s_and_b32 s5, s5, s6
	s_delay_alu instid0(SALU_CYCLE_1) | instskip(NEXT) | instid1(SALU_CYCLE_1)
	s_or_b32 s5, s7, s5
	v_cndmask_b32_e64 v9, v3, v8, s5
	v_cndmask_b32_e64 v20, v6, s9, s5
	s_delay_alu instid0(VALU_DEP_2) | instskip(NEXT) | instid1(VALU_DEP_1)
	v_add_nc_u32_e32 v9, 1, v9
	v_add_min_u32_e64 v20, v20, -1, v9
	ds_load_u8 v20, v20
	s_wait_dscnt 0x0
	v_dual_cndmask_b32 v21, v20, v19, s5 :: v_dual_cndmask_b32 v20, v18, v20, s5
	v_dual_cndmask_b32 v1, v8, v9, s5 :: v_dual_cndmask_b32 v3, v9, v3, s5
	v_cndmask_b32_e64 v8, v5, v4, s0
	s_delay_alu instid0(VALU_DEP_3) | instskip(NEXT) | instid1(VALU_DEP_4)
	v_and_b32_e32 v22, 0xff, v21
	v_and_b32_e32 v23, 0xff, v20
	s_delay_alu instid0(VALU_DEP_4) | instskip(SKIP_2) | instid1(VALU_DEP_4)
	v_cmp_gt_u32_e32 vcc_lo, s9, v1
	v_dual_cndmask_b32 v9, v11, v10, s1 :: v_dual_cndmask_b32 v4, v13, v12, s2
	v_cmp_ge_u32_e64 s1, v3, v6
	v_cmp_le_u16_e64 s0, v22, v23
	v_dual_cndmask_b32 v3, v15, v14, s3 :: v_dual_cndmask_b32 v5, v17, v16, s4
	s_and_b32 s0, vcc_lo, s0
	s_delay_alu instid0(SALU_CYCLE_1) | instskip(NEXT) | instid1(SALU_CYCLE_1)
	s_or_b32 vcc_lo, s1, s0
	v_dual_cndmask_b32 v10, v19, v18, s5 :: v_dual_cndmask_b32 v11, v21, v20, vcc_lo
.LBB1667_31:
	s_or_b32 exec_lo, exec_lo, s11
	v_dual_mov_b32 v1, 0 :: v_dual_lshrrev_b32 v6, 2, v0
	v_perm_b32 v3, v3, v5, 0xc0c0004
	s_delay_alu instid0(VALU_DEP_3) | instskip(SKIP_1) | instid1(VALU_DEP_4)
	v_perm_b32 v5, v10, v11, 0xc0c0004
	v_perm_b32 v2, v2, v8, 0xc0c0004
	v_and_b32_e32 v6, 28, v6
	v_perm_b32 v4, v9, v4, 0xc0c0004
	s_mov_b32 s11, 0
	v_lshl_or_b32 v3, v5, 16, v3
	s_wait_kmcnt 0x0
	s_add_nc_u64 s[0:1], s[12:13], s[10:11]
	v_lshl_or_b32 v2, v4, 16, v2
	v_dual_add_nc_u32 v4, 4, v0 :: v_dual_add_nc_u32 v6, v6, v7
	v_add_nc_u32_e32 v5, 8, v0
	s_barrier_signal -1
	s_barrier_wait -1
	s_barrier_signal -1
	s_barrier_wait -1
	ds_store_2addr_b32 v6, v2, v3 offset1:1
	v_add_nc_u64_e32 v[2:3], s[0:1], v[0:1]
	v_dual_add_nc_u32 v6, 12, v0 :: v_dual_add_nc_u32 v7, 16, v0
	v_dual_add_nc_u32 v8, 20, v0 :: v_dual_add_nc_u32 v9, 24, v0
	v_add_nc_u32_e32 v10, 28, v0
	s_and_b32 vcc_lo, exec_lo, s14
	s_wait_dscnt 0x0
	s_cbranch_vccz .LBB1667_33
; %bb.32:
	s_barrier_signal -1
	s_barrier_wait -1
	ds_load_u8 v11, v0
	ds_load_u8 v12, v4 offset:128
	ds_load_u8 v13, v5 offset:256
	;; [unrolled: 1-line block ×7, first 2 shown]
	s_mov_b32 s11, -1
	s_wait_dscnt 0x7
	global_store_b8 v[2:3], v11, off
	s_wait_dscnt 0x6
	global_store_b8 v[2:3], v12, off offset:128
	s_wait_dscnt 0x5
	global_store_b8 v[2:3], v13, off offset:256
	;; [unrolled: 2-line block ×6, first 2 shown]
	s_cbranch_execz .LBB1667_34
	s_branch .LBB1667_49
.LBB1667_33:
                                        ; implicit-def: $vgpr1
.LBB1667_34:
	s_barrier_signal -1
	s_barrier_wait -1
	s_wait_storecnt_dscnt 0x0
	s_wait_xcnt 0x4
	ds_load_u8 v13, v4 offset:128
	ds_load_u8 v12, v5 offset:256
	ds_load_u8 v11, v6 offset:384
	ds_load_u8 v6, v7 offset:512
	ds_load_u8 v5, v8 offset:640
	ds_load_u8 v4, v9 offset:768
	ds_load_u8 v1, v10 offset:896
	v_or_b32_e32 v7, 0x80, v0
	s_sub_co_i32 s0, s8, s10
	s_mov_b32 s1, exec_lo
	s_wait_xcnt 0x0
	v_cmpx_gt_u32_e64 s0, v0
	s_cbranch_execz .LBB1667_36
; %bb.35:
	ds_load_u8 v8, v0
	s_wait_dscnt 0x0
	global_store_b8 v[2:3], v8, off
.LBB1667_36:
	s_wait_xcnt 0x0
	s_or_b32 exec_lo, exec_lo, s1
	v_or_b32_e32 v8, 0x100, v0
	s_mov_b32 s1, exec_lo
	v_cmpx_gt_u32_e64 s0, v7
	s_cbranch_execz .LBB1667_38
; %bb.37:
	s_wait_dscnt 0x6
	global_store_b8 v[2:3], v13, off offset:128
.LBB1667_38:
	s_wait_xcnt 0x0
	s_or_b32 exec_lo, exec_lo, s1
	v_or_b32_e32 v7, 0x180, v0
	s_mov_b32 s1, exec_lo
	v_cmpx_gt_u32_e64 s0, v8
	s_cbranch_execz .LBB1667_40
; %bb.39:
	s_wait_dscnt 0x5
	global_store_b8 v[2:3], v12, off offset:256
.LBB1667_40:
	;; [unrolled: 10-line block ×4, first 2 shown]
	s_wait_xcnt 0x0
	s_or_b32 exec_lo, exec_lo, s1
	s_wait_dscnt 0x3
	v_or_b32_e32 v6, 0x300, v0
	s_mov_b32 s1, exec_lo
	v_cmpx_gt_u32_e64 s0, v7
	s_cbranch_execz .LBB1667_46
; %bb.45:
	s_wait_dscnt 0x2
	global_store_b8 v[2:3], v5, off offset:640
.LBB1667_46:
	s_wait_xcnt 0x0
	s_or_b32 exec_lo, exec_lo, s1
	v_or_b32_e32 v0, 0x380, v0
	s_mov_b32 s1, exec_lo
	v_cmpx_gt_u32_e64 s0, v6
	s_cbranch_execz .LBB1667_48
; %bb.47:
	s_wait_dscnt 0x1
	global_store_b8 v[2:3], v4, off offset:768
.LBB1667_48:
	s_wait_xcnt 0x0
	s_or_b32 exec_lo, exec_lo, s1
	v_cmp_gt_u32_e64 s11, s0, v0
.LBB1667_49:
	s_wait_xcnt 0x0
	s_delay_alu instid0(VALU_DEP_1)
	s_and_saveexec_b32 s0, s11
	s_cbranch_execz .LBB1667_51
; %bb.50:
	s_wait_dscnt 0x0
	global_store_b8 v[2:3], v1, off offset:896
.LBB1667_51:
	s_endpgm
	.section	.rodata,"a",@progbits
	.p2align	6, 0x0
	.amdhsa_kernel _ZN7rocprim17ROCPRIM_400000_NS6detail17trampoline_kernelINS0_14default_configENS1_38merge_sort_block_merge_config_selectorIbNS0_10empty_typeEEEZZNS1_27merge_sort_block_merge_implIS3_PbPS5_jNS1_19radix_merge_compareILb1ELb0EbNS0_19identity_decomposerEEEEE10hipError_tT0_T1_T2_jT3_P12ihipStream_tbPNSt15iterator_traitsISE_E10value_typeEPNSK_ISF_E10value_typeEPSG_NS1_7vsmem_tEENKUlT_SE_SF_SG_E_clIS8_S8_S9_S9_EESD_ST_SE_SF_SG_EUlST_E0_NS1_11comp_targetILNS1_3genE0ELNS1_11target_archE4294967295ELNS1_3gpuE0ELNS1_3repE0EEENS1_38merge_mergepath_config_static_selectorELNS0_4arch9wavefront6targetE0EEEvSF_
		.amdhsa_group_segment_fixed_size 1056
		.amdhsa_private_segment_fixed_size 0
		.amdhsa_kernarg_size 320
		.amdhsa_user_sgpr_count 2
		.amdhsa_user_sgpr_dispatch_ptr 0
		.amdhsa_user_sgpr_queue_ptr 0
		.amdhsa_user_sgpr_kernarg_segment_ptr 1
		.amdhsa_user_sgpr_dispatch_id 0
		.amdhsa_user_sgpr_kernarg_preload_length 0
		.amdhsa_user_sgpr_kernarg_preload_offset 0
		.amdhsa_user_sgpr_private_segment_size 0
		.amdhsa_wavefront_size32 1
		.amdhsa_uses_dynamic_stack 0
		.amdhsa_enable_private_segment 0
		.amdhsa_system_sgpr_workgroup_id_x 1
		.amdhsa_system_sgpr_workgroup_id_y 1
		.amdhsa_system_sgpr_workgroup_id_z 1
		.amdhsa_system_sgpr_workgroup_info 0
		.amdhsa_system_vgpr_workitem_id 0
		.amdhsa_next_free_vgpr 25
		.amdhsa_next_free_sgpr 22
		.amdhsa_named_barrier_count 0
		.amdhsa_reserve_vcc 1
		.amdhsa_float_round_mode_32 0
		.amdhsa_float_round_mode_16_64 0
		.amdhsa_float_denorm_mode_32 3
		.amdhsa_float_denorm_mode_16_64 3
		.amdhsa_fp16_overflow 0
		.amdhsa_memory_ordered 1
		.amdhsa_forward_progress 1
		.amdhsa_inst_pref_size 31
		.amdhsa_round_robin_scheduling 0
		.amdhsa_exception_fp_ieee_invalid_op 0
		.amdhsa_exception_fp_denorm_src 0
		.amdhsa_exception_fp_ieee_div_zero 0
		.amdhsa_exception_fp_ieee_overflow 0
		.amdhsa_exception_fp_ieee_underflow 0
		.amdhsa_exception_fp_ieee_inexact 0
		.amdhsa_exception_int_div_zero 0
	.end_amdhsa_kernel
	.section	.text._ZN7rocprim17ROCPRIM_400000_NS6detail17trampoline_kernelINS0_14default_configENS1_38merge_sort_block_merge_config_selectorIbNS0_10empty_typeEEEZZNS1_27merge_sort_block_merge_implIS3_PbPS5_jNS1_19radix_merge_compareILb1ELb0EbNS0_19identity_decomposerEEEEE10hipError_tT0_T1_T2_jT3_P12ihipStream_tbPNSt15iterator_traitsISE_E10value_typeEPNSK_ISF_E10value_typeEPSG_NS1_7vsmem_tEENKUlT_SE_SF_SG_E_clIS8_S8_S9_S9_EESD_ST_SE_SF_SG_EUlST_E0_NS1_11comp_targetILNS1_3genE0ELNS1_11target_archE4294967295ELNS1_3gpuE0ELNS1_3repE0EEENS1_38merge_mergepath_config_static_selectorELNS0_4arch9wavefront6targetE0EEEvSF_,"axG",@progbits,_ZN7rocprim17ROCPRIM_400000_NS6detail17trampoline_kernelINS0_14default_configENS1_38merge_sort_block_merge_config_selectorIbNS0_10empty_typeEEEZZNS1_27merge_sort_block_merge_implIS3_PbPS5_jNS1_19radix_merge_compareILb1ELb0EbNS0_19identity_decomposerEEEEE10hipError_tT0_T1_T2_jT3_P12ihipStream_tbPNSt15iterator_traitsISE_E10value_typeEPNSK_ISF_E10value_typeEPSG_NS1_7vsmem_tEENKUlT_SE_SF_SG_E_clIS8_S8_S9_S9_EESD_ST_SE_SF_SG_EUlST_E0_NS1_11comp_targetILNS1_3genE0ELNS1_11target_archE4294967295ELNS1_3gpuE0ELNS1_3repE0EEENS1_38merge_mergepath_config_static_selectorELNS0_4arch9wavefront6targetE0EEEvSF_,comdat
.Lfunc_end1667:
	.size	_ZN7rocprim17ROCPRIM_400000_NS6detail17trampoline_kernelINS0_14default_configENS1_38merge_sort_block_merge_config_selectorIbNS0_10empty_typeEEEZZNS1_27merge_sort_block_merge_implIS3_PbPS5_jNS1_19radix_merge_compareILb1ELb0EbNS0_19identity_decomposerEEEEE10hipError_tT0_T1_T2_jT3_P12ihipStream_tbPNSt15iterator_traitsISE_E10value_typeEPNSK_ISF_E10value_typeEPSG_NS1_7vsmem_tEENKUlT_SE_SF_SG_E_clIS8_S8_S9_S9_EESD_ST_SE_SF_SG_EUlST_E0_NS1_11comp_targetILNS1_3genE0ELNS1_11target_archE4294967295ELNS1_3gpuE0ELNS1_3repE0EEENS1_38merge_mergepath_config_static_selectorELNS0_4arch9wavefront6targetE0EEEvSF_, .Lfunc_end1667-_ZN7rocprim17ROCPRIM_400000_NS6detail17trampoline_kernelINS0_14default_configENS1_38merge_sort_block_merge_config_selectorIbNS0_10empty_typeEEEZZNS1_27merge_sort_block_merge_implIS3_PbPS5_jNS1_19radix_merge_compareILb1ELb0EbNS0_19identity_decomposerEEEEE10hipError_tT0_T1_T2_jT3_P12ihipStream_tbPNSt15iterator_traitsISE_E10value_typeEPNSK_ISF_E10value_typeEPSG_NS1_7vsmem_tEENKUlT_SE_SF_SG_E_clIS8_S8_S9_S9_EESD_ST_SE_SF_SG_EUlST_E0_NS1_11comp_targetILNS1_3genE0ELNS1_11target_archE4294967295ELNS1_3gpuE0ELNS1_3repE0EEENS1_38merge_mergepath_config_static_selectorELNS0_4arch9wavefront6targetE0EEEvSF_
                                        ; -- End function
	.set _ZN7rocprim17ROCPRIM_400000_NS6detail17trampoline_kernelINS0_14default_configENS1_38merge_sort_block_merge_config_selectorIbNS0_10empty_typeEEEZZNS1_27merge_sort_block_merge_implIS3_PbPS5_jNS1_19radix_merge_compareILb1ELb0EbNS0_19identity_decomposerEEEEE10hipError_tT0_T1_T2_jT3_P12ihipStream_tbPNSt15iterator_traitsISE_E10value_typeEPNSK_ISF_E10value_typeEPSG_NS1_7vsmem_tEENKUlT_SE_SF_SG_E_clIS8_S8_S9_S9_EESD_ST_SE_SF_SG_EUlST_E0_NS1_11comp_targetILNS1_3genE0ELNS1_11target_archE4294967295ELNS1_3gpuE0ELNS1_3repE0EEENS1_38merge_mergepath_config_static_selectorELNS0_4arch9wavefront6targetE0EEEvSF_.num_vgpr, 25
	.set _ZN7rocprim17ROCPRIM_400000_NS6detail17trampoline_kernelINS0_14default_configENS1_38merge_sort_block_merge_config_selectorIbNS0_10empty_typeEEEZZNS1_27merge_sort_block_merge_implIS3_PbPS5_jNS1_19radix_merge_compareILb1ELb0EbNS0_19identity_decomposerEEEEE10hipError_tT0_T1_T2_jT3_P12ihipStream_tbPNSt15iterator_traitsISE_E10value_typeEPNSK_ISF_E10value_typeEPSG_NS1_7vsmem_tEENKUlT_SE_SF_SG_E_clIS8_S8_S9_S9_EESD_ST_SE_SF_SG_EUlST_E0_NS1_11comp_targetILNS1_3genE0ELNS1_11target_archE4294967295ELNS1_3gpuE0ELNS1_3repE0EEENS1_38merge_mergepath_config_static_selectorELNS0_4arch9wavefront6targetE0EEEvSF_.num_agpr, 0
	.set _ZN7rocprim17ROCPRIM_400000_NS6detail17trampoline_kernelINS0_14default_configENS1_38merge_sort_block_merge_config_selectorIbNS0_10empty_typeEEEZZNS1_27merge_sort_block_merge_implIS3_PbPS5_jNS1_19radix_merge_compareILb1ELb0EbNS0_19identity_decomposerEEEEE10hipError_tT0_T1_T2_jT3_P12ihipStream_tbPNSt15iterator_traitsISE_E10value_typeEPNSK_ISF_E10value_typeEPSG_NS1_7vsmem_tEENKUlT_SE_SF_SG_E_clIS8_S8_S9_S9_EESD_ST_SE_SF_SG_EUlST_E0_NS1_11comp_targetILNS1_3genE0ELNS1_11target_archE4294967295ELNS1_3gpuE0ELNS1_3repE0EEENS1_38merge_mergepath_config_static_selectorELNS0_4arch9wavefront6targetE0EEEvSF_.numbered_sgpr, 22
	.set _ZN7rocprim17ROCPRIM_400000_NS6detail17trampoline_kernelINS0_14default_configENS1_38merge_sort_block_merge_config_selectorIbNS0_10empty_typeEEEZZNS1_27merge_sort_block_merge_implIS3_PbPS5_jNS1_19radix_merge_compareILb1ELb0EbNS0_19identity_decomposerEEEEE10hipError_tT0_T1_T2_jT3_P12ihipStream_tbPNSt15iterator_traitsISE_E10value_typeEPNSK_ISF_E10value_typeEPSG_NS1_7vsmem_tEENKUlT_SE_SF_SG_E_clIS8_S8_S9_S9_EESD_ST_SE_SF_SG_EUlST_E0_NS1_11comp_targetILNS1_3genE0ELNS1_11target_archE4294967295ELNS1_3gpuE0ELNS1_3repE0EEENS1_38merge_mergepath_config_static_selectorELNS0_4arch9wavefront6targetE0EEEvSF_.num_named_barrier, 0
	.set _ZN7rocprim17ROCPRIM_400000_NS6detail17trampoline_kernelINS0_14default_configENS1_38merge_sort_block_merge_config_selectorIbNS0_10empty_typeEEEZZNS1_27merge_sort_block_merge_implIS3_PbPS5_jNS1_19radix_merge_compareILb1ELb0EbNS0_19identity_decomposerEEEEE10hipError_tT0_T1_T2_jT3_P12ihipStream_tbPNSt15iterator_traitsISE_E10value_typeEPNSK_ISF_E10value_typeEPSG_NS1_7vsmem_tEENKUlT_SE_SF_SG_E_clIS8_S8_S9_S9_EESD_ST_SE_SF_SG_EUlST_E0_NS1_11comp_targetILNS1_3genE0ELNS1_11target_archE4294967295ELNS1_3gpuE0ELNS1_3repE0EEENS1_38merge_mergepath_config_static_selectorELNS0_4arch9wavefront6targetE0EEEvSF_.private_seg_size, 0
	.set _ZN7rocprim17ROCPRIM_400000_NS6detail17trampoline_kernelINS0_14default_configENS1_38merge_sort_block_merge_config_selectorIbNS0_10empty_typeEEEZZNS1_27merge_sort_block_merge_implIS3_PbPS5_jNS1_19radix_merge_compareILb1ELb0EbNS0_19identity_decomposerEEEEE10hipError_tT0_T1_T2_jT3_P12ihipStream_tbPNSt15iterator_traitsISE_E10value_typeEPNSK_ISF_E10value_typeEPSG_NS1_7vsmem_tEENKUlT_SE_SF_SG_E_clIS8_S8_S9_S9_EESD_ST_SE_SF_SG_EUlST_E0_NS1_11comp_targetILNS1_3genE0ELNS1_11target_archE4294967295ELNS1_3gpuE0ELNS1_3repE0EEENS1_38merge_mergepath_config_static_selectorELNS0_4arch9wavefront6targetE0EEEvSF_.uses_vcc, 1
	.set _ZN7rocprim17ROCPRIM_400000_NS6detail17trampoline_kernelINS0_14default_configENS1_38merge_sort_block_merge_config_selectorIbNS0_10empty_typeEEEZZNS1_27merge_sort_block_merge_implIS3_PbPS5_jNS1_19radix_merge_compareILb1ELb0EbNS0_19identity_decomposerEEEEE10hipError_tT0_T1_T2_jT3_P12ihipStream_tbPNSt15iterator_traitsISE_E10value_typeEPNSK_ISF_E10value_typeEPSG_NS1_7vsmem_tEENKUlT_SE_SF_SG_E_clIS8_S8_S9_S9_EESD_ST_SE_SF_SG_EUlST_E0_NS1_11comp_targetILNS1_3genE0ELNS1_11target_archE4294967295ELNS1_3gpuE0ELNS1_3repE0EEENS1_38merge_mergepath_config_static_selectorELNS0_4arch9wavefront6targetE0EEEvSF_.uses_flat_scratch, 0
	.set _ZN7rocprim17ROCPRIM_400000_NS6detail17trampoline_kernelINS0_14default_configENS1_38merge_sort_block_merge_config_selectorIbNS0_10empty_typeEEEZZNS1_27merge_sort_block_merge_implIS3_PbPS5_jNS1_19radix_merge_compareILb1ELb0EbNS0_19identity_decomposerEEEEE10hipError_tT0_T1_T2_jT3_P12ihipStream_tbPNSt15iterator_traitsISE_E10value_typeEPNSK_ISF_E10value_typeEPSG_NS1_7vsmem_tEENKUlT_SE_SF_SG_E_clIS8_S8_S9_S9_EESD_ST_SE_SF_SG_EUlST_E0_NS1_11comp_targetILNS1_3genE0ELNS1_11target_archE4294967295ELNS1_3gpuE0ELNS1_3repE0EEENS1_38merge_mergepath_config_static_selectorELNS0_4arch9wavefront6targetE0EEEvSF_.has_dyn_sized_stack, 0
	.set _ZN7rocprim17ROCPRIM_400000_NS6detail17trampoline_kernelINS0_14default_configENS1_38merge_sort_block_merge_config_selectorIbNS0_10empty_typeEEEZZNS1_27merge_sort_block_merge_implIS3_PbPS5_jNS1_19radix_merge_compareILb1ELb0EbNS0_19identity_decomposerEEEEE10hipError_tT0_T1_T2_jT3_P12ihipStream_tbPNSt15iterator_traitsISE_E10value_typeEPNSK_ISF_E10value_typeEPSG_NS1_7vsmem_tEENKUlT_SE_SF_SG_E_clIS8_S8_S9_S9_EESD_ST_SE_SF_SG_EUlST_E0_NS1_11comp_targetILNS1_3genE0ELNS1_11target_archE4294967295ELNS1_3gpuE0ELNS1_3repE0EEENS1_38merge_mergepath_config_static_selectorELNS0_4arch9wavefront6targetE0EEEvSF_.has_recursion, 0
	.set _ZN7rocprim17ROCPRIM_400000_NS6detail17trampoline_kernelINS0_14default_configENS1_38merge_sort_block_merge_config_selectorIbNS0_10empty_typeEEEZZNS1_27merge_sort_block_merge_implIS3_PbPS5_jNS1_19radix_merge_compareILb1ELb0EbNS0_19identity_decomposerEEEEE10hipError_tT0_T1_T2_jT3_P12ihipStream_tbPNSt15iterator_traitsISE_E10value_typeEPNSK_ISF_E10value_typeEPSG_NS1_7vsmem_tEENKUlT_SE_SF_SG_E_clIS8_S8_S9_S9_EESD_ST_SE_SF_SG_EUlST_E0_NS1_11comp_targetILNS1_3genE0ELNS1_11target_archE4294967295ELNS1_3gpuE0ELNS1_3repE0EEENS1_38merge_mergepath_config_static_selectorELNS0_4arch9wavefront6targetE0EEEvSF_.has_indirect_call, 0
	.section	.AMDGPU.csdata,"",@progbits
; Kernel info:
; codeLenInByte = 3948
; TotalNumSgprs: 24
; NumVgprs: 25
; ScratchSize: 0
; MemoryBound: 0
; FloatMode: 240
; IeeeMode: 1
; LDSByteSize: 1056 bytes/workgroup (compile time only)
; SGPRBlocks: 0
; VGPRBlocks: 1
; NumSGPRsForWavesPerEU: 24
; NumVGPRsForWavesPerEU: 25
; NamedBarCnt: 0
; Occupancy: 16
; WaveLimiterHint : 1
; COMPUTE_PGM_RSRC2:SCRATCH_EN: 0
; COMPUTE_PGM_RSRC2:USER_SGPR: 2
; COMPUTE_PGM_RSRC2:TRAP_HANDLER: 0
; COMPUTE_PGM_RSRC2:TGID_X_EN: 1
; COMPUTE_PGM_RSRC2:TGID_Y_EN: 1
; COMPUTE_PGM_RSRC2:TGID_Z_EN: 1
; COMPUTE_PGM_RSRC2:TIDIG_COMP_CNT: 0
	.section	.text._ZN7rocprim17ROCPRIM_400000_NS6detail17trampoline_kernelINS0_14default_configENS1_38merge_sort_block_merge_config_selectorIbNS0_10empty_typeEEEZZNS1_27merge_sort_block_merge_implIS3_PbPS5_jNS1_19radix_merge_compareILb1ELb0EbNS0_19identity_decomposerEEEEE10hipError_tT0_T1_T2_jT3_P12ihipStream_tbPNSt15iterator_traitsISE_E10value_typeEPNSK_ISF_E10value_typeEPSG_NS1_7vsmem_tEENKUlT_SE_SF_SG_E_clIS8_S8_S9_S9_EESD_ST_SE_SF_SG_EUlST_E0_NS1_11comp_targetILNS1_3genE10ELNS1_11target_archE1201ELNS1_3gpuE5ELNS1_3repE0EEENS1_38merge_mergepath_config_static_selectorELNS0_4arch9wavefront6targetE0EEEvSF_,"axG",@progbits,_ZN7rocprim17ROCPRIM_400000_NS6detail17trampoline_kernelINS0_14default_configENS1_38merge_sort_block_merge_config_selectorIbNS0_10empty_typeEEEZZNS1_27merge_sort_block_merge_implIS3_PbPS5_jNS1_19radix_merge_compareILb1ELb0EbNS0_19identity_decomposerEEEEE10hipError_tT0_T1_T2_jT3_P12ihipStream_tbPNSt15iterator_traitsISE_E10value_typeEPNSK_ISF_E10value_typeEPSG_NS1_7vsmem_tEENKUlT_SE_SF_SG_E_clIS8_S8_S9_S9_EESD_ST_SE_SF_SG_EUlST_E0_NS1_11comp_targetILNS1_3genE10ELNS1_11target_archE1201ELNS1_3gpuE5ELNS1_3repE0EEENS1_38merge_mergepath_config_static_selectorELNS0_4arch9wavefront6targetE0EEEvSF_,comdat
	.protected	_ZN7rocprim17ROCPRIM_400000_NS6detail17trampoline_kernelINS0_14default_configENS1_38merge_sort_block_merge_config_selectorIbNS0_10empty_typeEEEZZNS1_27merge_sort_block_merge_implIS3_PbPS5_jNS1_19radix_merge_compareILb1ELb0EbNS0_19identity_decomposerEEEEE10hipError_tT0_T1_T2_jT3_P12ihipStream_tbPNSt15iterator_traitsISE_E10value_typeEPNSK_ISF_E10value_typeEPSG_NS1_7vsmem_tEENKUlT_SE_SF_SG_E_clIS8_S8_S9_S9_EESD_ST_SE_SF_SG_EUlST_E0_NS1_11comp_targetILNS1_3genE10ELNS1_11target_archE1201ELNS1_3gpuE5ELNS1_3repE0EEENS1_38merge_mergepath_config_static_selectorELNS0_4arch9wavefront6targetE0EEEvSF_ ; -- Begin function _ZN7rocprim17ROCPRIM_400000_NS6detail17trampoline_kernelINS0_14default_configENS1_38merge_sort_block_merge_config_selectorIbNS0_10empty_typeEEEZZNS1_27merge_sort_block_merge_implIS3_PbPS5_jNS1_19radix_merge_compareILb1ELb0EbNS0_19identity_decomposerEEEEE10hipError_tT0_T1_T2_jT3_P12ihipStream_tbPNSt15iterator_traitsISE_E10value_typeEPNSK_ISF_E10value_typeEPSG_NS1_7vsmem_tEENKUlT_SE_SF_SG_E_clIS8_S8_S9_S9_EESD_ST_SE_SF_SG_EUlST_E0_NS1_11comp_targetILNS1_3genE10ELNS1_11target_archE1201ELNS1_3gpuE5ELNS1_3repE0EEENS1_38merge_mergepath_config_static_selectorELNS0_4arch9wavefront6targetE0EEEvSF_
	.globl	_ZN7rocprim17ROCPRIM_400000_NS6detail17trampoline_kernelINS0_14default_configENS1_38merge_sort_block_merge_config_selectorIbNS0_10empty_typeEEEZZNS1_27merge_sort_block_merge_implIS3_PbPS5_jNS1_19radix_merge_compareILb1ELb0EbNS0_19identity_decomposerEEEEE10hipError_tT0_T1_T2_jT3_P12ihipStream_tbPNSt15iterator_traitsISE_E10value_typeEPNSK_ISF_E10value_typeEPSG_NS1_7vsmem_tEENKUlT_SE_SF_SG_E_clIS8_S8_S9_S9_EESD_ST_SE_SF_SG_EUlST_E0_NS1_11comp_targetILNS1_3genE10ELNS1_11target_archE1201ELNS1_3gpuE5ELNS1_3repE0EEENS1_38merge_mergepath_config_static_selectorELNS0_4arch9wavefront6targetE0EEEvSF_
	.p2align	8
	.type	_ZN7rocprim17ROCPRIM_400000_NS6detail17trampoline_kernelINS0_14default_configENS1_38merge_sort_block_merge_config_selectorIbNS0_10empty_typeEEEZZNS1_27merge_sort_block_merge_implIS3_PbPS5_jNS1_19radix_merge_compareILb1ELb0EbNS0_19identity_decomposerEEEEE10hipError_tT0_T1_T2_jT3_P12ihipStream_tbPNSt15iterator_traitsISE_E10value_typeEPNSK_ISF_E10value_typeEPSG_NS1_7vsmem_tEENKUlT_SE_SF_SG_E_clIS8_S8_S9_S9_EESD_ST_SE_SF_SG_EUlST_E0_NS1_11comp_targetILNS1_3genE10ELNS1_11target_archE1201ELNS1_3gpuE5ELNS1_3repE0EEENS1_38merge_mergepath_config_static_selectorELNS0_4arch9wavefront6targetE0EEEvSF_,@function
_ZN7rocprim17ROCPRIM_400000_NS6detail17trampoline_kernelINS0_14default_configENS1_38merge_sort_block_merge_config_selectorIbNS0_10empty_typeEEEZZNS1_27merge_sort_block_merge_implIS3_PbPS5_jNS1_19radix_merge_compareILb1ELb0EbNS0_19identity_decomposerEEEEE10hipError_tT0_T1_T2_jT3_P12ihipStream_tbPNSt15iterator_traitsISE_E10value_typeEPNSK_ISF_E10value_typeEPSG_NS1_7vsmem_tEENKUlT_SE_SF_SG_E_clIS8_S8_S9_S9_EESD_ST_SE_SF_SG_EUlST_E0_NS1_11comp_targetILNS1_3genE10ELNS1_11target_archE1201ELNS1_3gpuE5ELNS1_3repE0EEENS1_38merge_mergepath_config_static_selectorELNS0_4arch9wavefront6targetE0EEEvSF_: ; @_ZN7rocprim17ROCPRIM_400000_NS6detail17trampoline_kernelINS0_14default_configENS1_38merge_sort_block_merge_config_selectorIbNS0_10empty_typeEEEZZNS1_27merge_sort_block_merge_implIS3_PbPS5_jNS1_19radix_merge_compareILb1ELb0EbNS0_19identity_decomposerEEEEE10hipError_tT0_T1_T2_jT3_P12ihipStream_tbPNSt15iterator_traitsISE_E10value_typeEPNSK_ISF_E10value_typeEPSG_NS1_7vsmem_tEENKUlT_SE_SF_SG_E_clIS8_S8_S9_S9_EESD_ST_SE_SF_SG_EUlST_E0_NS1_11comp_targetILNS1_3genE10ELNS1_11target_archE1201ELNS1_3gpuE5ELNS1_3repE0EEENS1_38merge_mergepath_config_static_selectorELNS0_4arch9wavefront6targetE0EEEvSF_
; %bb.0:
	.section	.rodata,"a",@progbits
	.p2align	6, 0x0
	.amdhsa_kernel _ZN7rocprim17ROCPRIM_400000_NS6detail17trampoline_kernelINS0_14default_configENS1_38merge_sort_block_merge_config_selectorIbNS0_10empty_typeEEEZZNS1_27merge_sort_block_merge_implIS3_PbPS5_jNS1_19radix_merge_compareILb1ELb0EbNS0_19identity_decomposerEEEEE10hipError_tT0_T1_T2_jT3_P12ihipStream_tbPNSt15iterator_traitsISE_E10value_typeEPNSK_ISF_E10value_typeEPSG_NS1_7vsmem_tEENKUlT_SE_SF_SG_E_clIS8_S8_S9_S9_EESD_ST_SE_SF_SG_EUlST_E0_NS1_11comp_targetILNS1_3genE10ELNS1_11target_archE1201ELNS1_3gpuE5ELNS1_3repE0EEENS1_38merge_mergepath_config_static_selectorELNS0_4arch9wavefront6targetE0EEEvSF_
		.amdhsa_group_segment_fixed_size 0
		.amdhsa_private_segment_fixed_size 0
		.amdhsa_kernarg_size 64
		.amdhsa_user_sgpr_count 2
		.amdhsa_user_sgpr_dispatch_ptr 0
		.amdhsa_user_sgpr_queue_ptr 0
		.amdhsa_user_sgpr_kernarg_segment_ptr 1
		.amdhsa_user_sgpr_dispatch_id 0
		.amdhsa_user_sgpr_kernarg_preload_length 0
		.amdhsa_user_sgpr_kernarg_preload_offset 0
		.amdhsa_user_sgpr_private_segment_size 0
		.amdhsa_wavefront_size32 1
		.amdhsa_uses_dynamic_stack 0
		.amdhsa_enable_private_segment 0
		.amdhsa_system_sgpr_workgroup_id_x 1
		.amdhsa_system_sgpr_workgroup_id_y 0
		.amdhsa_system_sgpr_workgroup_id_z 0
		.amdhsa_system_sgpr_workgroup_info 0
		.amdhsa_system_vgpr_workitem_id 0
		.amdhsa_next_free_vgpr 1
		.amdhsa_next_free_sgpr 1
		.amdhsa_named_barrier_count 0
		.amdhsa_reserve_vcc 0
		.amdhsa_float_round_mode_32 0
		.amdhsa_float_round_mode_16_64 0
		.amdhsa_float_denorm_mode_32 3
		.amdhsa_float_denorm_mode_16_64 3
		.amdhsa_fp16_overflow 0
		.amdhsa_memory_ordered 1
		.amdhsa_forward_progress 1
		.amdhsa_inst_pref_size 0
		.amdhsa_round_robin_scheduling 0
		.amdhsa_exception_fp_ieee_invalid_op 0
		.amdhsa_exception_fp_denorm_src 0
		.amdhsa_exception_fp_ieee_div_zero 0
		.amdhsa_exception_fp_ieee_overflow 0
		.amdhsa_exception_fp_ieee_underflow 0
		.amdhsa_exception_fp_ieee_inexact 0
		.amdhsa_exception_int_div_zero 0
	.end_amdhsa_kernel
	.section	.text._ZN7rocprim17ROCPRIM_400000_NS6detail17trampoline_kernelINS0_14default_configENS1_38merge_sort_block_merge_config_selectorIbNS0_10empty_typeEEEZZNS1_27merge_sort_block_merge_implIS3_PbPS5_jNS1_19radix_merge_compareILb1ELb0EbNS0_19identity_decomposerEEEEE10hipError_tT0_T1_T2_jT3_P12ihipStream_tbPNSt15iterator_traitsISE_E10value_typeEPNSK_ISF_E10value_typeEPSG_NS1_7vsmem_tEENKUlT_SE_SF_SG_E_clIS8_S8_S9_S9_EESD_ST_SE_SF_SG_EUlST_E0_NS1_11comp_targetILNS1_3genE10ELNS1_11target_archE1201ELNS1_3gpuE5ELNS1_3repE0EEENS1_38merge_mergepath_config_static_selectorELNS0_4arch9wavefront6targetE0EEEvSF_,"axG",@progbits,_ZN7rocprim17ROCPRIM_400000_NS6detail17trampoline_kernelINS0_14default_configENS1_38merge_sort_block_merge_config_selectorIbNS0_10empty_typeEEEZZNS1_27merge_sort_block_merge_implIS3_PbPS5_jNS1_19radix_merge_compareILb1ELb0EbNS0_19identity_decomposerEEEEE10hipError_tT0_T1_T2_jT3_P12ihipStream_tbPNSt15iterator_traitsISE_E10value_typeEPNSK_ISF_E10value_typeEPSG_NS1_7vsmem_tEENKUlT_SE_SF_SG_E_clIS8_S8_S9_S9_EESD_ST_SE_SF_SG_EUlST_E0_NS1_11comp_targetILNS1_3genE10ELNS1_11target_archE1201ELNS1_3gpuE5ELNS1_3repE0EEENS1_38merge_mergepath_config_static_selectorELNS0_4arch9wavefront6targetE0EEEvSF_,comdat
.Lfunc_end1668:
	.size	_ZN7rocprim17ROCPRIM_400000_NS6detail17trampoline_kernelINS0_14default_configENS1_38merge_sort_block_merge_config_selectorIbNS0_10empty_typeEEEZZNS1_27merge_sort_block_merge_implIS3_PbPS5_jNS1_19radix_merge_compareILb1ELb0EbNS0_19identity_decomposerEEEEE10hipError_tT0_T1_T2_jT3_P12ihipStream_tbPNSt15iterator_traitsISE_E10value_typeEPNSK_ISF_E10value_typeEPSG_NS1_7vsmem_tEENKUlT_SE_SF_SG_E_clIS8_S8_S9_S9_EESD_ST_SE_SF_SG_EUlST_E0_NS1_11comp_targetILNS1_3genE10ELNS1_11target_archE1201ELNS1_3gpuE5ELNS1_3repE0EEENS1_38merge_mergepath_config_static_selectorELNS0_4arch9wavefront6targetE0EEEvSF_, .Lfunc_end1668-_ZN7rocprim17ROCPRIM_400000_NS6detail17trampoline_kernelINS0_14default_configENS1_38merge_sort_block_merge_config_selectorIbNS0_10empty_typeEEEZZNS1_27merge_sort_block_merge_implIS3_PbPS5_jNS1_19radix_merge_compareILb1ELb0EbNS0_19identity_decomposerEEEEE10hipError_tT0_T1_T2_jT3_P12ihipStream_tbPNSt15iterator_traitsISE_E10value_typeEPNSK_ISF_E10value_typeEPSG_NS1_7vsmem_tEENKUlT_SE_SF_SG_E_clIS8_S8_S9_S9_EESD_ST_SE_SF_SG_EUlST_E0_NS1_11comp_targetILNS1_3genE10ELNS1_11target_archE1201ELNS1_3gpuE5ELNS1_3repE0EEENS1_38merge_mergepath_config_static_selectorELNS0_4arch9wavefront6targetE0EEEvSF_
                                        ; -- End function
	.set _ZN7rocprim17ROCPRIM_400000_NS6detail17trampoline_kernelINS0_14default_configENS1_38merge_sort_block_merge_config_selectorIbNS0_10empty_typeEEEZZNS1_27merge_sort_block_merge_implIS3_PbPS5_jNS1_19radix_merge_compareILb1ELb0EbNS0_19identity_decomposerEEEEE10hipError_tT0_T1_T2_jT3_P12ihipStream_tbPNSt15iterator_traitsISE_E10value_typeEPNSK_ISF_E10value_typeEPSG_NS1_7vsmem_tEENKUlT_SE_SF_SG_E_clIS8_S8_S9_S9_EESD_ST_SE_SF_SG_EUlST_E0_NS1_11comp_targetILNS1_3genE10ELNS1_11target_archE1201ELNS1_3gpuE5ELNS1_3repE0EEENS1_38merge_mergepath_config_static_selectorELNS0_4arch9wavefront6targetE0EEEvSF_.num_vgpr, 0
	.set _ZN7rocprim17ROCPRIM_400000_NS6detail17trampoline_kernelINS0_14default_configENS1_38merge_sort_block_merge_config_selectorIbNS0_10empty_typeEEEZZNS1_27merge_sort_block_merge_implIS3_PbPS5_jNS1_19radix_merge_compareILb1ELb0EbNS0_19identity_decomposerEEEEE10hipError_tT0_T1_T2_jT3_P12ihipStream_tbPNSt15iterator_traitsISE_E10value_typeEPNSK_ISF_E10value_typeEPSG_NS1_7vsmem_tEENKUlT_SE_SF_SG_E_clIS8_S8_S9_S9_EESD_ST_SE_SF_SG_EUlST_E0_NS1_11comp_targetILNS1_3genE10ELNS1_11target_archE1201ELNS1_3gpuE5ELNS1_3repE0EEENS1_38merge_mergepath_config_static_selectorELNS0_4arch9wavefront6targetE0EEEvSF_.num_agpr, 0
	.set _ZN7rocprim17ROCPRIM_400000_NS6detail17trampoline_kernelINS0_14default_configENS1_38merge_sort_block_merge_config_selectorIbNS0_10empty_typeEEEZZNS1_27merge_sort_block_merge_implIS3_PbPS5_jNS1_19radix_merge_compareILb1ELb0EbNS0_19identity_decomposerEEEEE10hipError_tT0_T1_T2_jT3_P12ihipStream_tbPNSt15iterator_traitsISE_E10value_typeEPNSK_ISF_E10value_typeEPSG_NS1_7vsmem_tEENKUlT_SE_SF_SG_E_clIS8_S8_S9_S9_EESD_ST_SE_SF_SG_EUlST_E0_NS1_11comp_targetILNS1_3genE10ELNS1_11target_archE1201ELNS1_3gpuE5ELNS1_3repE0EEENS1_38merge_mergepath_config_static_selectorELNS0_4arch9wavefront6targetE0EEEvSF_.numbered_sgpr, 0
	.set _ZN7rocprim17ROCPRIM_400000_NS6detail17trampoline_kernelINS0_14default_configENS1_38merge_sort_block_merge_config_selectorIbNS0_10empty_typeEEEZZNS1_27merge_sort_block_merge_implIS3_PbPS5_jNS1_19radix_merge_compareILb1ELb0EbNS0_19identity_decomposerEEEEE10hipError_tT0_T1_T2_jT3_P12ihipStream_tbPNSt15iterator_traitsISE_E10value_typeEPNSK_ISF_E10value_typeEPSG_NS1_7vsmem_tEENKUlT_SE_SF_SG_E_clIS8_S8_S9_S9_EESD_ST_SE_SF_SG_EUlST_E0_NS1_11comp_targetILNS1_3genE10ELNS1_11target_archE1201ELNS1_3gpuE5ELNS1_3repE0EEENS1_38merge_mergepath_config_static_selectorELNS0_4arch9wavefront6targetE0EEEvSF_.num_named_barrier, 0
	.set _ZN7rocprim17ROCPRIM_400000_NS6detail17trampoline_kernelINS0_14default_configENS1_38merge_sort_block_merge_config_selectorIbNS0_10empty_typeEEEZZNS1_27merge_sort_block_merge_implIS3_PbPS5_jNS1_19radix_merge_compareILb1ELb0EbNS0_19identity_decomposerEEEEE10hipError_tT0_T1_T2_jT3_P12ihipStream_tbPNSt15iterator_traitsISE_E10value_typeEPNSK_ISF_E10value_typeEPSG_NS1_7vsmem_tEENKUlT_SE_SF_SG_E_clIS8_S8_S9_S9_EESD_ST_SE_SF_SG_EUlST_E0_NS1_11comp_targetILNS1_3genE10ELNS1_11target_archE1201ELNS1_3gpuE5ELNS1_3repE0EEENS1_38merge_mergepath_config_static_selectorELNS0_4arch9wavefront6targetE0EEEvSF_.private_seg_size, 0
	.set _ZN7rocprim17ROCPRIM_400000_NS6detail17trampoline_kernelINS0_14default_configENS1_38merge_sort_block_merge_config_selectorIbNS0_10empty_typeEEEZZNS1_27merge_sort_block_merge_implIS3_PbPS5_jNS1_19radix_merge_compareILb1ELb0EbNS0_19identity_decomposerEEEEE10hipError_tT0_T1_T2_jT3_P12ihipStream_tbPNSt15iterator_traitsISE_E10value_typeEPNSK_ISF_E10value_typeEPSG_NS1_7vsmem_tEENKUlT_SE_SF_SG_E_clIS8_S8_S9_S9_EESD_ST_SE_SF_SG_EUlST_E0_NS1_11comp_targetILNS1_3genE10ELNS1_11target_archE1201ELNS1_3gpuE5ELNS1_3repE0EEENS1_38merge_mergepath_config_static_selectorELNS0_4arch9wavefront6targetE0EEEvSF_.uses_vcc, 0
	.set _ZN7rocprim17ROCPRIM_400000_NS6detail17trampoline_kernelINS0_14default_configENS1_38merge_sort_block_merge_config_selectorIbNS0_10empty_typeEEEZZNS1_27merge_sort_block_merge_implIS3_PbPS5_jNS1_19radix_merge_compareILb1ELb0EbNS0_19identity_decomposerEEEEE10hipError_tT0_T1_T2_jT3_P12ihipStream_tbPNSt15iterator_traitsISE_E10value_typeEPNSK_ISF_E10value_typeEPSG_NS1_7vsmem_tEENKUlT_SE_SF_SG_E_clIS8_S8_S9_S9_EESD_ST_SE_SF_SG_EUlST_E0_NS1_11comp_targetILNS1_3genE10ELNS1_11target_archE1201ELNS1_3gpuE5ELNS1_3repE0EEENS1_38merge_mergepath_config_static_selectorELNS0_4arch9wavefront6targetE0EEEvSF_.uses_flat_scratch, 0
	.set _ZN7rocprim17ROCPRIM_400000_NS6detail17trampoline_kernelINS0_14default_configENS1_38merge_sort_block_merge_config_selectorIbNS0_10empty_typeEEEZZNS1_27merge_sort_block_merge_implIS3_PbPS5_jNS1_19radix_merge_compareILb1ELb0EbNS0_19identity_decomposerEEEEE10hipError_tT0_T1_T2_jT3_P12ihipStream_tbPNSt15iterator_traitsISE_E10value_typeEPNSK_ISF_E10value_typeEPSG_NS1_7vsmem_tEENKUlT_SE_SF_SG_E_clIS8_S8_S9_S9_EESD_ST_SE_SF_SG_EUlST_E0_NS1_11comp_targetILNS1_3genE10ELNS1_11target_archE1201ELNS1_3gpuE5ELNS1_3repE0EEENS1_38merge_mergepath_config_static_selectorELNS0_4arch9wavefront6targetE0EEEvSF_.has_dyn_sized_stack, 0
	.set _ZN7rocprim17ROCPRIM_400000_NS6detail17trampoline_kernelINS0_14default_configENS1_38merge_sort_block_merge_config_selectorIbNS0_10empty_typeEEEZZNS1_27merge_sort_block_merge_implIS3_PbPS5_jNS1_19radix_merge_compareILb1ELb0EbNS0_19identity_decomposerEEEEE10hipError_tT0_T1_T2_jT3_P12ihipStream_tbPNSt15iterator_traitsISE_E10value_typeEPNSK_ISF_E10value_typeEPSG_NS1_7vsmem_tEENKUlT_SE_SF_SG_E_clIS8_S8_S9_S9_EESD_ST_SE_SF_SG_EUlST_E0_NS1_11comp_targetILNS1_3genE10ELNS1_11target_archE1201ELNS1_3gpuE5ELNS1_3repE0EEENS1_38merge_mergepath_config_static_selectorELNS0_4arch9wavefront6targetE0EEEvSF_.has_recursion, 0
	.set _ZN7rocprim17ROCPRIM_400000_NS6detail17trampoline_kernelINS0_14default_configENS1_38merge_sort_block_merge_config_selectorIbNS0_10empty_typeEEEZZNS1_27merge_sort_block_merge_implIS3_PbPS5_jNS1_19radix_merge_compareILb1ELb0EbNS0_19identity_decomposerEEEEE10hipError_tT0_T1_T2_jT3_P12ihipStream_tbPNSt15iterator_traitsISE_E10value_typeEPNSK_ISF_E10value_typeEPSG_NS1_7vsmem_tEENKUlT_SE_SF_SG_E_clIS8_S8_S9_S9_EESD_ST_SE_SF_SG_EUlST_E0_NS1_11comp_targetILNS1_3genE10ELNS1_11target_archE1201ELNS1_3gpuE5ELNS1_3repE0EEENS1_38merge_mergepath_config_static_selectorELNS0_4arch9wavefront6targetE0EEEvSF_.has_indirect_call, 0
	.section	.AMDGPU.csdata,"",@progbits
; Kernel info:
; codeLenInByte = 0
; TotalNumSgprs: 0
; NumVgprs: 0
; ScratchSize: 0
; MemoryBound: 0
; FloatMode: 240
; IeeeMode: 1
; LDSByteSize: 0 bytes/workgroup (compile time only)
; SGPRBlocks: 0
; VGPRBlocks: 0
; NumSGPRsForWavesPerEU: 1
; NumVGPRsForWavesPerEU: 1
; NamedBarCnt: 0
; Occupancy: 16
; WaveLimiterHint : 0
; COMPUTE_PGM_RSRC2:SCRATCH_EN: 0
; COMPUTE_PGM_RSRC2:USER_SGPR: 2
; COMPUTE_PGM_RSRC2:TRAP_HANDLER: 0
; COMPUTE_PGM_RSRC2:TGID_X_EN: 1
; COMPUTE_PGM_RSRC2:TGID_Y_EN: 0
; COMPUTE_PGM_RSRC2:TGID_Z_EN: 0
; COMPUTE_PGM_RSRC2:TIDIG_COMP_CNT: 0
	.section	.text._ZN7rocprim17ROCPRIM_400000_NS6detail17trampoline_kernelINS0_14default_configENS1_38merge_sort_block_merge_config_selectorIbNS0_10empty_typeEEEZZNS1_27merge_sort_block_merge_implIS3_PbPS5_jNS1_19radix_merge_compareILb1ELb0EbNS0_19identity_decomposerEEEEE10hipError_tT0_T1_T2_jT3_P12ihipStream_tbPNSt15iterator_traitsISE_E10value_typeEPNSK_ISF_E10value_typeEPSG_NS1_7vsmem_tEENKUlT_SE_SF_SG_E_clIS8_S8_S9_S9_EESD_ST_SE_SF_SG_EUlST_E0_NS1_11comp_targetILNS1_3genE5ELNS1_11target_archE942ELNS1_3gpuE9ELNS1_3repE0EEENS1_38merge_mergepath_config_static_selectorELNS0_4arch9wavefront6targetE0EEEvSF_,"axG",@progbits,_ZN7rocprim17ROCPRIM_400000_NS6detail17trampoline_kernelINS0_14default_configENS1_38merge_sort_block_merge_config_selectorIbNS0_10empty_typeEEEZZNS1_27merge_sort_block_merge_implIS3_PbPS5_jNS1_19radix_merge_compareILb1ELb0EbNS0_19identity_decomposerEEEEE10hipError_tT0_T1_T2_jT3_P12ihipStream_tbPNSt15iterator_traitsISE_E10value_typeEPNSK_ISF_E10value_typeEPSG_NS1_7vsmem_tEENKUlT_SE_SF_SG_E_clIS8_S8_S9_S9_EESD_ST_SE_SF_SG_EUlST_E0_NS1_11comp_targetILNS1_3genE5ELNS1_11target_archE942ELNS1_3gpuE9ELNS1_3repE0EEENS1_38merge_mergepath_config_static_selectorELNS0_4arch9wavefront6targetE0EEEvSF_,comdat
	.protected	_ZN7rocprim17ROCPRIM_400000_NS6detail17trampoline_kernelINS0_14default_configENS1_38merge_sort_block_merge_config_selectorIbNS0_10empty_typeEEEZZNS1_27merge_sort_block_merge_implIS3_PbPS5_jNS1_19radix_merge_compareILb1ELb0EbNS0_19identity_decomposerEEEEE10hipError_tT0_T1_T2_jT3_P12ihipStream_tbPNSt15iterator_traitsISE_E10value_typeEPNSK_ISF_E10value_typeEPSG_NS1_7vsmem_tEENKUlT_SE_SF_SG_E_clIS8_S8_S9_S9_EESD_ST_SE_SF_SG_EUlST_E0_NS1_11comp_targetILNS1_3genE5ELNS1_11target_archE942ELNS1_3gpuE9ELNS1_3repE0EEENS1_38merge_mergepath_config_static_selectorELNS0_4arch9wavefront6targetE0EEEvSF_ ; -- Begin function _ZN7rocprim17ROCPRIM_400000_NS6detail17trampoline_kernelINS0_14default_configENS1_38merge_sort_block_merge_config_selectorIbNS0_10empty_typeEEEZZNS1_27merge_sort_block_merge_implIS3_PbPS5_jNS1_19radix_merge_compareILb1ELb0EbNS0_19identity_decomposerEEEEE10hipError_tT0_T1_T2_jT3_P12ihipStream_tbPNSt15iterator_traitsISE_E10value_typeEPNSK_ISF_E10value_typeEPSG_NS1_7vsmem_tEENKUlT_SE_SF_SG_E_clIS8_S8_S9_S9_EESD_ST_SE_SF_SG_EUlST_E0_NS1_11comp_targetILNS1_3genE5ELNS1_11target_archE942ELNS1_3gpuE9ELNS1_3repE0EEENS1_38merge_mergepath_config_static_selectorELNS0_4arch9wavefront6targetE0EEEvSF_
	.globl	_ZN7rocprim17ROCPRIM_400000_NS6detail17trampoline_kernelINS0_14default_configENS1_38merge_sort_block_merge_config_selectorIbNS0_10empty_typeEEEZZNS1_27merge_sort_block_merge_implIS3_PbPS5_jNS1_19radix_merge_compareILb1ELb0EbNS0_19identity_decomposerEEEEE10hipError_tT0_T1_T2_jT3_P12ihipStream_tbPNSt15iterator_traitsISE_E10value_typeEPNSK_ISF_E10value_typeEPSG_NS1_7vsmem_tEENKUlT_SE_SF_SG_E_clIS8_S8_S9_S9_EESD_ST_SE_SF_SG_EUlST_E0_NS1_11comp_targetILNS1_3genE5ELNS1_11target_archE942ELNS1_3gpuE9ELNS1_3repE0EEENS1_38merge_mergepath_config_static_selectorELNS0_4arch9wavefront6targetE0EEEvSF_
	.p2align	8
	.type	_ZN7rocprim17ROCPRIM_400000_NS6detail17trampoline_kernelINS0_14default_configENS1_38merge_sort_block_merge_config_selectorIbNS0_10empty_typeEEEZZNS1_27merge_sort_block_merge_implIS3_PbPS5_jNS1_19radix_merge_compareILb1ELb0EbNS0_19identity_decomposerEEEEE10hipError_tT0_T1_T2_jT3_P12ihipStream_tbPNSt15iterator_traitsISE_E10value_typeEPNSK_ISF_E10value_typeEPSG_NS1_7vsmem_tEENKUlT_SE_SF_SG_E_clIS8_S8_S9_S9_EESD_ST_SE_SF_SG_EUlST_E0_NS1_11comp_targetILNS1_3genE5ELNS1_11target_archE942ELNS1_3gpuE9ELNS1_3repE0EEENS1_38merge_mergepath_config_static_selectorELNS0_4arch9wavefront6targetE0EEEvSF_,@function
_ZN7rocprim17ROCPRIM_400000_NS6detail17trampoline_kernelINS0_14default_configENS1_38merge_sort_block_merge_config_selectorIbNS0_10empty_typeEEEZZNS1_27merge_sort_block_merge_implIS3_PbPS5_jNS1_19radix_merge_compareILb1ELb0EbNS0_19identity_decomposerEEEEE10hipError_tT0_T1_T2_jT3_P12ihipStream_tbPNSt15iterator_traitsISE_E10value_typeEPNSK_ISF_E10value_typeEPSG_NS1_7vsmem_tEENKUlT_SE_SF_SG_E_clIS8_S8_S9_S9_EESD_ST_SE_SF_SG_EUlST_E0_NS1_11comp_targetILNS1_3genE5ELNS1_11target_archE942ELNS1_3gpuE9ELNS1_3repE0EEENS1_38merge_mergepath_config_static_selectorELNS0_4arch9wavefront6targetE0EEEvSF_: ; @_ZN7rocprim17ROCPRIM_400000_NS6detail17trampoline_kernelINS0_14default_configENS1_38merge_sort_block_merge_config_selectorIbNS0_10empty_typeEEEZZNS1_27merge_sort_block_merge_implIS3_PbPS5_jNS1_19radix_merge_compareILb1ELb0EbNS0_19identity_decomposerEEEEE10hipError_tT0_T1_T2_jT3_P12ihipStream_tbPNSt15iterator_traitsISE_E10value_typeEPNSK_ISF_E10value_typeEPSG_NS1_7vsmem_tEENKUlT_SE_SF_SG_E_clIS8_S8_S9_S9_EESD_ST_SE_SF_SG_EUlST_E0_NS1_11comp_targetILNS1_3genE5ELNS1_11target_archE942ELNS1_3gpuE9ELNS1_3repE0EEENS1_38merge_mergepath_config_static_selectorELNS0_4arch9wavefront6targetE0EEEvSF_
; %bb.0:
	.section	.rodata,"a",@progbits
	.p2align	6, 0x0
	.amdhsa_kernel _ZN7rocprim17ROCPRIM_400000_NS6detail17trampoline_kernelINS0_14default_configENS1_38merge_sort_block_merge_config_selectorIbNS0_10empty_typeEEEZZNS1_27merge_sort_block_merge_implIS3_PbPS5_jNS1_19radix_merge_compareILb1ELb0EbNS0_19identity_decomposerEEEEE10hipError_tT0_T1_T2_jT3_P12ihipStream_tbPNSt15iterator_traitsISE_E10value_typeEPNSK_ISF_E10value_typeEPSG_NS1_7vsmem_tEENKUlT_SE_SF_SG_E_clIS8_S8_S9_S9_EESD_ST_SE_SF_SG_EUlST_E0_NS1_11comp_targetILNS1_3genE5ELNS1_11target_archE942ELNS1_3gpuE9ELNS1_3repE0EEENS1_38merge_mergepath_config_static_selectorELNS0_4arch9wavefront6targetE0EEEvSF_
		.amdhsa_group_segment_fixed_size 0
		.amdhsa_private_segment_fixed_size 0
		.amdhsa_kernarg_size 64
		.amdhsa_user_sgpr_count 2
		.amdhsa_user_sgpr_dispatch_ptr 0
		.amdhsa_user_sgpr_queue_ptr 0
		.amdhsa_user_sgpr_kernarg_segment_ptr 1
		.amdhsa_user_sgpr_dispatch_id 0
		.amdhsa_user_sgpr_kernarg_preload_length 0
		.amdhsa_user_sgpr_kernarg_preload_offset 0
		.amdhsa_user_sgpr_private_segment_size 0
		.amdhsa_wavefront_size32 1
		.amdhsa_uses_dynamic_stack 0
		.amdhsa_enable_private_segment 0
		.amdhsa_system_sgpr_workgroup_id_x 1
		.amdhsa_system_sgpr_workgroup_id_y 0
		.amdhsa_system_sgpr_workgroup_id_z 0
		.amdhsa_system_sgpr_workgroup_info 0
		.amdhsa_system_vgpr_workitem_id 0
		.amdhsa_next_free_vgpr 1
		.amdhsa_next_free_sgpr 1
		.amdhsa_named_barrier_count 0
		.amdhsa_reserve_vcc 0
		.amdhsa_float_round_mode_32 0
		.amdhsa_float_round_mode_16_64 0
		.amdhsa_float_denorm_mode_32 3
		.amdhsa_float_denorm_mode_16_64 3
		.amdhsa_fp16_overflow 0
		.amdhsa_memory_ordered 1
		.amdhsa_forward_progress 1
		.amdhsa_inst_pref_size 0
		.amdhsa_round_robin_scheduling 0
		.amdhsa_exception_fp_ieee_invalid_op 0
		.amdhsa_exception_fp_denorm_src 0
		.amdhsa_exception_fp_ieee_div_zero 0
		.amdhsa_exception_fp_ieee_overflow 0
		.amdhsa_exception_fp_ieee_underflow 0
		.amdhsa_exception_fp_ieee_inexact 0
		.amdhsa_exception_int_div_zero 0
	.end_amdhsa_kernel
	.section	.text._ZN7rocprim17ROCPRIM_400000_NS6detail17trampoline_kernelINS0_14default_configENS1_38merge_sort_block_merge_config_selectorIbNS0_10empty_typeEEEZZNS1_27merge_sort_block_merge_implIS3_PbPS5_jNS1_19radix_merge_compareILb1ELb0EbNS0_19identity_decomposerEEEEE10hipError_tT0_T1_T2_jT3_P12ihipStream_tbPNSt15iterator_traitsISE_E10value_typeEPNSK_ISF_E10value_typeEPSG_NS1_7vsmem_tEENKUlT_SE_SF_SG_E_clIS8_S8_S9_S9_EESD_ST_SE_SF_SG_EUlST_E0_NS1_11comp_targetILNS1_3genE5ELNS1_11target_archE942ELNS1_3gpuE9ELNS1_3repE0EEENS1_38merge_mergepath_config_static_selectorELNS0_4arch9wavefront6targetE0EEEvSF_,"axG",@progbits,_ZN7rocprim17ROCPRIM_400000_NS6detail17trampoline_kernelINS0_14default_configENS1_38merge_sort_block_merge_config_selectorIbNS0_10empty_typeEEEZZNS1_27merge_sort_block_merge_implIS3_PbPS5_jNS1_19radix_merge_compareILb1ELb0EbNS0_19identity_decomposerEEEEE10hipError_tT0_T1_T2_jT3_P12ihipStream_tbPNSt15iterator_traitsISE_E10value_typeEPNSK_ISF_E10value_typeEPSG_NS1_7vsmem_tEENKUlT_SE_SF_SG_E_clIS8_S8_S9_S9_EESD_ST_SE_SF_SG_EUlST_E0_NS1_11comp_targetILNS1_3genE5ELNS1_11target_archE942ELNS1_3gpuE9ELNS1_3repE0EEENS1_38merge_mergepath_config_static_selectorELNS0_4arch9wavefront6targetE0EEEvSF_,comdat
.Lfunc_end1669:
	.size	_ZN7rocprim17ROCPRIM_400000_NS6detail17trampoline_kernelINS0_14default_configENS1_38merge_sort_block_merge_config_selectorIbNS0_10empty_typeEEEZZNS1_27merge_sort_block_merge_implIS3_PbPS5_jNS1_19radix_merge_compareILb1ELb0EbNS0_19identity_decomposerEEEEE10hipError_tT0_T1_T2_jT3_P12ihipStream_tbPNSt15iterator_traitsISE_E10value_typeEPNSK_ISF_E10value_typeEPSG_NS1_7vsmem_tEENKUlT_SE_SF_SG_E_clIS8_S8_S9_S9_EESD_ST_SE_SF_SG_EUlST_E0_NS1_11comp_targetILNS1_3genE5ELNS1_11target_archE942ELNS1_3gpuE9ELNS1_3repE0EEENS1_38merge_mergepath_config_static_selectorELNS0_4arch9wavefront6targetE0EEEvSF_, .Lfunc_end1669-_ZN7rocprim17ROCPRIM_400000_NS6detail17trampoline_kernelINS0_14default_configENS1_38merge_sort_block_merge_config_selectorIbNS0_10empty_typeEEEZZNS1_27merge_sort_block_merge_implIS3_PbPS5_jNS1_19radix_merge_compareILb1ELb0EbNS0_19identity_decomposerEEEEE10hipError_tT0_T1_T2_jT3_P12ihipStream_tbPNSt15iterator_traitsISE_E10value_typeEPNSK_ISF_E10value_typeEPSG_NS1_7vsmem_tEENKUlT_SE_SF_SG_E_clIS8_S8_S9_S9_EESD_ST_SE_SF_SG_EUlST_E0_NS1_11comp_targetILNS1_3genE5ELNS1_11target_archE942ELNS1_3gpuE9ELNS1_3repE0EEENS1_38merge_mergepath_config_static_selectorELNS0_4arch9wavefront6targetE0EEEvSF_
                                        ; -- End function
	.set _ZN7rocprim17ROCPRIM_400000_NS6detail17trampoline_kernelINS0_14default_configENS1_38merge_sort_block_merge_config_selectorIbNS0_10empty_typeEEEZZNS1_27merge_sort_block_merge_implIS3_PbPS5_jNS1_19radix_merge_compareILb1ELb0EbNS0_19identity_decomposerEEEEE10hipError_tT0_T1_T2_jT3_P12ihipStream_tbPNSt15iterator_traitsISE_E10value_typeEPNSK_ISF_E10value_typeEPSG_NS1_7vsmem_tEENKUlT_SE_SF_SG_E_clIS8_S8_S9_S9_EESD_ST_SE_SF_SG_EUlST_E0_NS1_11comp_targetILNS1_3genE5ELNS1_11target_archE942ELNS1_3gpuE9ELNS1_3repE0EEENS1_38merge_mergepath_config_static_selectorELNS0_4arch9wavefront6targetE0EEEvSF_.num_vgpr, 0
	.set _ZN7rocprim17ROCPRIM_400000_NS6detail17trampoline_kernelINS0_14default_configENS1_38merge_sort_block_merge_config_selectorIbNS0_10empty_typeEEEZZNS1_27merge_sort_block_merge_implIS3_PbPS5_jNS1_19radix_merge_compareILb1ELb0EbNS0_19identity_decomposerEEEEE10hipError_tT0_T1_T2_jT3_P12ihipStream_tbPNSt15iterator_traitsISE_E10value_typeEPNSK_ISF_E10value_typeEPSG_NS1_7vsmem_tEENKUlT_SE_SF_SG_E_clIS8_S8_S9_S9_EESD_ST_SE_SF_SG_EUlST_E0_NS1_11comp_targetILNS1_3genE5ELNS1_11target_archE942ELNS1_3gpuE9ELNS1_3repE0EEENS1_38merge_mergepath_config_static_selectorELNS0_4arch9wavefront6targetE0EEEvSF_.num_agpr, 0
	.set _ZN7rocprim17ROCPRIM_400000_NS6detail17trampoline_kernelINS0_14default_configENS1_38merge_sort_block_merge_config_selectorIbNS0_10empty_typeEEEZZNS1_27merge_sort_block_merge_implIS3_PbPS5_jNS1_19radix_merge_compareILb1ELb0EbNS0_19identity_decomposerEEEEE10hipError_tT0_T1_T2_jT3_P12ihipStream_tbPNSt15iterator_traitsISE_E10value_typeEPNSK_ISF_E10value_typeEPSG_NS1_7vsmem_tEENKUlT_SE_SF_SG_E_clIS8_S8_S9_S9_EESD_ST_SE_SF_SG_EUlST_E0_NS1_11comp_targetILNS1_3genE5ELNS1_11target_archE942ELNS1_3gpuE9ELNS1_3repE0EEENS1_38merge_mergepath_config_static_selectorELNS0_4arch9wavefront6targetE0EEEvSF_.numbered_sgpr, 0
	.set _ZN7rocprim17ROCPRIM_400000_NS6detail17trampoline_kernelINS0_14default_configENS1_38merge_sort_block_merge_config_selectorIbNS0_10empty_typeEEEZZNS1_27merge_sort_block_merge_implIS3_PbPS5_jNS1_19radix_merge_compareILb1ELb0EbNS0_19identity_decomposerEEEEE10hipError_tT0_T1_T2_jT3_P12ihipStream_tbPNSt15iterator_traitsISE_E10value_typeEPNSK_ISF_E10value_typeEPSG_NS1_7vsmem_tEENKUlT_SE_SF_SG_E_clIS8_S8_S9_S9_EESD_ST_SE_SF_SG_EUlST_E0_NS1_11comp_targetILNS1_3genE5ELNS1_11target_archE942ELNS1_3gpuE9ELNS1_3repE0EEENS1_38merge_mergepath_config_static_selectorELNS0_4arch9wavefront6targetE0EEEvSF_.num_named_barrier, 0
	.set _ZN7rocprim17ROCPRIM_400000_NS6detail17trampoline_kernelINS0_14default_configENS1_38merge_sort_block_merge_config_selectorIbNS0_10empty_typeEEEZZNS1_27merge_sort_block_merge_implIS3_PbPS5_jNS1_19radix_merge_compareILb1ELb0EbNS0_19identity_decomposerEEEEE10hipError_tT0_T1_T2_jT3_P12ihipStream_tbPNSt15iterator_traitsISE_E10value_typeEPNSK_ISF_E10value_typeEPSG_NS1_7vsmem_tEENKUlT_SE_SF_SG_E_clIS8_S8_S9_S9_EESD_ST_SE_SF_SG_EUlST_E0_NS1_11comp_targetILNS1_3genE5ELNS1_11target_archE942ELNS1_3gpuE9ELNS1_3repE0EEENS1_38merge_mergepath_config_static_selectorELNS0_4arch9wavefront6targetE0EEEvSF_.private_seg_size, 0
	.set _ZN7rocprim17ROCPRIM_400000_NS6detail17trampoline_kernelINS0_14default_configENS1_38merge_sort_block_merge_config_selectorIbNS0_10empty_typeEEEZZNS1_27merge_sort_block_merge_implIS3_PbPS5_jNS1_19radix_merge_compareILb1ELb0EbNS0_19identity_decomposerEEEEE10hipError_tT0_T1_T2_jT3_P12ihipStream_tbPNSt15iterator_traitsISE_E10value_typeEPNSK_ISF_E10value_typeEPSG_NS1_7vsmem_tEENKUlT_SE_SF_SG_E_clIS8_S8_S9_S9_EESD_ST_SE_SF_SG_EUlST_E0_NS1_11comp_targetILNS1_3genE5ELNS1_11target_archE942ELNS1_3gpuE9ELNS1_3repE0EEENS1_38merge_mergepath_config_static_selectorELNS0_4arch9wavefront6targetE0EEEvSF_.uses_vcc, 0
	.set _ZN7rocprim17ROCPRIM_400000_NS6detail17trampoline_kernelINS0_14default_configENS1_38merge_sort_block_merge_config_selectorIbNS0_10empty_typeEEEZZNS1_27merge_sort_block_merge_implIS3_PbPS5_jNS1_19radix_merge_compareILb1ELb0EbNS0_19identity_decomposerEEEEE10hipError_tT0_T1_T2_jT3_P12ihipStream_tbPNSt15iterator_traitsISE_E10value_typeEPNSK_ISF_E10value_typeEPSG_NS1_7vsmem_tEENKUlT_SE_SF_SG_E_clIS8_S8_S9_S9_EESD_ST_SE_SF_SG_EUlST_E0_NS1_11comp_targetILNS1_3genE5ELNS1_11target_archE942ELNS1_3gpuE9ELNS1_3repE0EEENS1_38merge_mergepath_config_static_selectorELNS0_4arch9wavefront6targetE0EEEvSF_.uses_flat_scratch, 0
	.set _ZN7rocprim17ROCPRIM_400000_NS6detail17trampoline_kernelINS0_14default_configENS1_38merge_sort_block_merge_config_selectorIbNS0_10empty_typeEEEZZNS1_27merge_sort_block_merge_implIS3_PbPS5_jNS1_19radix_merge_compareILb1ELb0EbNS0_19identity_decomposerEEEEE10hipError_tT0_T1_T2_jT3_P12ihipStream_tbPNSt15iterator_traitsISE_E10value_typeEPNSK_ISF_E10value_typeEPSG_NS1_7vsmem_tEENKUlT_SE_SF_SG_E_clIS8_S8_S9_S9_EESD_ST_SE_SF_SG_EUlST_E0_NS1_11comp_targetILNS1_3genE5ELNS1_11target_archE942ELNS1_3gpuE9ELNS1_3repE0EEENS1_38merge_mergepath_config_static_selectorELNS0_4arch9wavefront6targetE0EEEvSF_.has_dyn_sized_stack, 0
	.set _ZN7rocprim17ROCPRIM_400000_NS6detail17trampoline_kernelINS0_14default_configENS1_38merge_sort_block_merge_config_selectorIbNS0_10empty_typeEEEZZNS1_27merge_sort_block_merge_implIS3_PbPS5_jNS1_19radix_merge_compareILb1ELb0EbNS0_19identity_decomposerEEEEE10hipError_tT0_T1_T2_jT3_P12ihipStream_tbPNSt15iterator_traitsISE_E10value_typeEPNSK_ISF_E10value_typeEPSG_NS1_7vsmem_tEENKUlT_SE_SF_SG_E_clIS8_S8_S9_S9_EESD_ST_SE_SF_SG_EUlST_E0_NS1_11comp_targetILNS1_3genE5ELNS1_11target_archE942ELNS1_3gpuE9ELNS1_3repE0EEENS1_38merge_mergepath_config_static_selectorELNS0_4arch9wavefront6targetE0EEEvSF_.has_recursion, 0
	.set _ZN7rocprim17ROCPRIM_400000_NS6detail17trampoline_kernelINS0_14default_configENS1_38merge_sort_block_merge_config_selectorIbNS0_10empty_typeEEEZZNS1_27merge_sort_block_merge_implIS3_PbPS5_jNS1_19radix_merge_compareILb1ELb0EbNS0_19identity_decomposerEEEEE10hipError_tT0_T1_T2_jT3_P12ihipStream_tbPNSt15iterator_traitsISE_E10value_typeEPNSK_ISF_E10value_typeEPSG_NS1_7vsmem_tEENKUlT_SE_SF_SG_E_clIS8_S8_S9_S9_EESD_ST_SE_SF_SG_EUlST_E0_NS1_11comp_targetILNS1_3genE5ELNS1_11target_archE942ELNS1_3gpuE9ELNS1_3repE0EEENS1_38merge_mergepath_config_static_selectorELNS0_4arch9wavefront6targetE0EEEvSF_.has_indirect_call, 0
	.section	.AMDGPU.csdata,"",@progbits
; Kernel info:
; codeLenInByte = 0
; TotalNumSgprs: 0
; NumVgprs: 0
; ScratchSize: 0
; MemoryBound: 0
; FloatMode: 240
; IeeeMode: 1
; LDSByteSize: 0 bytes/workgroup (compile time only)
; SGPRBlocks: 0
; VGPRBlocks: 0
; NumSGPRsForWavesPerEU: 1
; NumVGPRsForWavesPerEU: 1
; NamedBarCnt: 0
; Occupancy: 16
; WaveLimiterHint : 0
; COMPUTE_PGM_RSRC2:SCRATCH_EN: 0
; COMPUTE_PGM_RSRC2:USER_SGPR: 2
; COMPUTE_PGM_RSRC2:TRAP_HANDLER: 0
; COMPUTE_PGM_RSRC2:TGID_X_EN: 1
; COMPUTE_PGM_RSRC2:TGID_Y_EN: 0
; COMPUTE_PGM_RSRC2:TGID_Z_EN: 0
; COMPUTE_PGM_RSRC2:TIDIG_COMP_CNT: 0
	.section	.text._ZN7rocprim17ROCPRIM_400000_NS6detail17trampoline_kernelINS0_14default_configENS1_38merge_sort_block_merge_config_selectorIbNS0_10empty_typeEEEZZNS1_27merge_sort_block_merge_implIS3_PbPS5_jNS1_19radix_merge_compareILb1ELb0EbNS0_19identity_decomposerEEEEE10hipError_tT0_T1_T2_jT3_P12ihipStream_tbPNSt15iterator_traitsISE_E10value_typeEPNSK_ISF_E10value_typeEPSG_NS1_7vsmem_tEENKUlT_SE_SF_SG_E_clIS8_S8_S9_S9_EESD_ST_SE_SF_SG_EUlST_E0_NS1_11comp_targetILNS1_3genE4ELNS1_11target_archE910ELNS1_3gpuE8ELNS1_3repE0EEENS1_38merge_mergepath_config_static_selectorELNS0_4arch9wavefront6targetE0EEEvSF_,"axG",@progbits,_ZN7rocprim17ROCPRIM_400000_NS6detail17trampoline_kernelINS0_14default_configENS1_38merge_sort_block_merge_config_selectorIbNS0_10empty_typeEEEZZNS1_27merge_sort_block_merge_implIS3_PbPS5_jNS1_19radix_merge_compareILb1ELb0EbNS0_19identity_decomposerEEEEE10hipError_tT0_T1_T2_jT3_P12ihipStream_tbPNSt15iterator_traitsISE_E10value_typeEPNSK_ISF_E10value_typeEPSG_NS1_7vsmem_tEENKUlT_SE_SF_SG_E_clIS8_S8_S9_S9_EESD_ST_SE_SF_SG_EUlST_E0_NS1_11comp_targetILNS1_3genE4ELNS1_11target_archE910ELNS1_3gpuE8ELNS1_3repE0EEENS1_38merge_mergepath_config_static_selectorELNS0_4arch9wavefront6targetE0EEEvSF_,comdat
	.protected	_ZN7rocprim17ROCPRIM_400000_NS6detail17trampoline_kernelINS0_14default_configENS1_38merge_sort_block_merge_config_selectorIbNS0_10empty_typeEEEZZNS1_27merge_sort_block_merge_implIS3_PbPS5_jNS1_19radix_merge_compareILb1ELb0EbNS0_19identity_decomposerEEEEE10hipError_tT0_T1_T2_jT3_P12ihipStream_tbPNSt15iterator_traitsISE_E10value_typeEPNSK_ISF_E10value_typeEPSG_NS1_7vsmem_tEENKUlT_SE_SF_SG_E_clIS8_S8_S9_S9_EESD_ST_SE_SF_SG_EUlST_E0_NS1_11comp_targetILNS1_3genE4ELNS1_11target_archE910ELNS1_3gpuE8ELNS1_3repE0EEENS1_38merge_mergepath_config_static_selectorELNS0_4arch9wavefront6targetE0EEEvSF_ ; -- Begin function _ZN7rocprim17ROCPRIM_400000_NS6detail17trampoline_kernelINS0_14default_configENS1_38merge_sort_block_merge_config_selectorIbNS0_10empty_typeEEEZZNS1_27merge_sort_block_merge_implIS3_PbPS5_jNS1_19radix_merge_compareILb1ELb0EbNS0_19identity_decomposerEEEEE10hipError_tT0_T1_T2_jT3_P12ihipStream_tbPNSt15iterator_traitsISE_E10value_typeEPNSK_ISF_E10value_typeEPSG_NS1_7vsmem_tEENKUlT_SE_SF_SG_E_clIS8_S8_S9_S9_EESD_ST_SE_SF_SG_EUlST_E0_NS1_11comp_targetILNS1_3genE4ELNS1_11target_archE910ELNS1_3gpuE8ELNS1_3repE0EEENS1_38merge_mergepath_config_static_selectorELNS0_4arch9wavefront6targetE0EEEvSF_
	.globl	_ZN7rocprim17ROCPRIM_400000_NS6detail17trampoline_kernelINS0_14default_configENS1_38merge_sort_block_merge_config_selectorIbNS0_10empty_typeEEEZZNS1_27merge_sort_block_merge_implIS3_PbPS5_jNS1_19radix_merge_compareILb1ELb0EbNS0_19identity_decomposerEEEEE10hipError_tT0_T1_T2_jT3_P12ihipStream_tbPNSt15iterator_traitsISE_E10value_typeEPNSK_ISF_E10value_typeEPSG_NS1_7vsmem_tEENKUlT_SE_SF_SG_E_clIS8_S8_S9_S9_EESD_ST_SE_SF_SG_EUlST_E0_NS1_11comp_targetILNS1_3genE4ELNS1_11target_archE910ELNS1_3gpuE8ELNS1_3repE0EEENS1_38merge_mergepath_config_static_selectorELNS0_4arch9wavefront6targetE0EEEvSF_
	.p2align	8
	.type	_ZN7rocprim17ROCPRIM_400000_NS6detail17trampoline_kernelINS0_14default_configENS1_38merge_sort_block_merge_config_selectorIbNS0_10empty_typeEEEZZNS1_27merge_sort_block_merge_implIS3_PbPS5_jNS1_19radix_merge_compareILb1ELb0EbNS0_19identity_decomposerEEEEE10hipError_tT0_T1_T2_jT3_P12ihipStream_tbPNSt15iterator_traitsISE_E10value_typeEPNSK_ISF_E10value_typeEPSG_NS1_7vsmem_tEENKUlT_SE_SF_SG_E_clIS8_S8_S9_S9_EESD_ST_SE_SF_SG_EUlST_E0_NS1_11comp_targetILNS1_3genE4ELNS1_11target_archE910ELNS1_3gpuE8ELNS1_3repE0EEENS1_38merge_mergepath_config_static_selectorELNS0_4arch9wavefront6targetE0EEEvSF_,@function
_ZN7rocprim17ROCPRIM_400000_NS6detail17trampoline_kernelINS0_14default_configENS1_38merge_sort_block_merge_config_selectorIbNS0_10empty_typeEEEZZNS1_27merge_sort_block_merge_implIS3_PbPS5_jNS1_19radix_merge_compareILb1ELb0EbNS0_19identity_decomposerEEEEE10hipError_tT0_T1_T2_jT3_P12ihipStream_tbPNSt15iterator_traitsISE_E10value_typeEPNSK_ISF_E10value_typeEPSG_NS1_7vsmem_tEENKUlT_SE_SF_SG_E_clIS8_S8_S9_S9_EESD_ST_SE_SF_SG_EUlST_E0_NS1_11comp_targetILNS1_3genE4ELNS1_11target_archE910ELNS1_3gpuE8ELNS1_3repE0EEENS1_38merge_mergepath_config_static_selectorELNS0_4arch9wavefront6targetE0EEEvSF_: ; @_ZN7rocprim17ROCPRIM_400000_NS6detail17trampoline_kernelINS0_14default_configENS1_38merge_sort_block_merge_config_selectorIbNS0_10empty_typeEEEZZNS1_27merge_sort_block_merge_implIS3_PbPS5_jNS1_19radix_merge_compareILb1ELb0EbNS0_19identity_decomposerEEEEE10hipError_tT0_T1_T2_jT3_P12ihipStream_tbPNSt15iterator_traitsISE_E10value_typeEPNSK_ISF_E10value_typeEPSG_NS1_7vsmem_tEENKUlT_SE_SF_SG_E_clIS8_S8_S9_S9_EESD_ST_SE_SF_SG_EUlST_E0_NS1_11comp_targetILNS1_3genE4ELNS1_11target_archE910ELNS1_3gpuE8ELNS1_3repE0EEENS1_38merge_mergepath_config_static_selectorELNS0_4arch9wavefront6targetE0EEEvSF_
; %bb.0:
	.section	.rodata,"a",@progbits
	.p2align	6, 0x0
	.amdhsa_kernel _ZN7rocprim17ROCPRIM_400000_NS6detail17trampoline_kernelINS0_14default_configENS1_38merge_sort_block_merge_config_selectorIbNS0_10empty_typeEEEZZNS1_27merge_sort_block_merge_implIS3_PbPS5_jNS1_19radix_merge_compareILb1ELb0EbNS0_19identity_decomposerEEEEE10hipError_tT0_T1_T2_jT3_P12ihipStream_tbPNSt15iterator_traitsISE_E10value_typeEPNSK_ISF_E10value_typeEPSG_NS1_7vsmem_tEENKUlT_SE_SF_SG_E_clIS8_S8_S9_S9_EESD_ST_SE_SF_SG_EUlST_E0_NS1_11comp_targetILNS1_3genE4ELNS1_11target_archE910ELNS1_3gpuE8ELNS1_3repE0EEENS1_38merge_mergepath_config_static_selectorELNS0_4arch9wavefront6targetE0EEEvSF_
		.amdhsa_group_segment_fixed_size 0
		.amdhsa_private_segment_fixed_size 0
		.amdhsa_kernarg_size 64
		.amdhsa_user_sgpr_count 2
		.amdhsa_user_sgpr_dispatch_ptr 0
		.amdhsa_user_sgpr_queue_ptr 0
		.amdhsa_user_sgpr_kernarg_segment_ptr 1
		.amdhsa_user_sgpr_dispatch_id 0
		.amdhsa_user_sgpr_kernarg_preload_length 0
		.amdhsa_user_sgpr_kernarg_preload_offset 0
		.amdhsa_user_sgpr_private_segment_size 0
		.amdhsa_wavefront_size32 1
		.amdhsa_uses_dynamic_stack 0
		.amdhsa_enable_private_segment 0
		.amdhsa_system_sgpr_workgroup_id_x 1
		.amdhsa_system_sgpr_workgroup_id_y 0
		.amdhsa_system_sgpr_workgroup_id_z 0
		.amdhsa_system_sgpr_workgroup_info 0
		.amdhsa_system_vgpr_workitem_id 0
		.amdhsa_next_free_vgpr 1
		.amdhsa_next_free_sgpr 1
		.amdhsa_named_barrier_count 0
		.amdhsa_reserve_vcc 0
		.amdhsa_float_round_mode_32 0
		.amdhsa_float_round_mode_16_64 0
		.amdhsa_float_denorm_mode_32 3
		.amdhsa_float_denorm_mode_16_64 3
		.amdhsa_fp16_overflow 0
		.amdhsa_memory_ordered 1
		.amdhsa_forward_progress 1
		.amdhsa_inst_pref_size 0
		.amdhsa_round_robin_scheduling 0
		.amdhsa_exception_fp_ieee_invalid_op 0
		.amdhsa_exception_fp_denorm_src 0
		.amdhsa_exception_fp_ieee_div_zero 0
		.amdhsa_exception_fp_ieee_overflow 0
		.amdhsa_exception_fp_ieee_underflow 0
		.amdhsa_exception_fp_ieee_inexact 0
		.amdhsa_exception_int_div_zero 0
	.end_amdhsa_kernel
	.section	.text._ZN7rocprim17ROCPRIM_400000_NS6detail17trampoline_kernelINS0_14default_configENS1_38merge_sort_block_merge_config_selectorIbNS0_10empty_typeEEEZZNS1_27merge_sort_block_merge_implIS3_PbPS5_jNS1_19radix_merge_compareILb1ELb0EbNS0_19identity_decomposerEEEEE10hipError_tT0_T1_T2_jT3_P12ihipStream_tbPNSt15iterator_traitsISE_E10value_typeEPNSK_ISF_E10value_typeEPSG_NS1_7vsmem_tEENKUlT_SE_SF_SG_E_clIS8_S8_S9_S9_EESD_ST_SE_SF_SG_EUlST_E0_NS1_11comp_targetILNS1_3genE4ELNS1_11target_archE910ELNS1_3gpuE8ELNS1_3repE0EEENS1_38merge_mergepath_config_static_selectorELNS0_4arch9wavefront6targetE0EEEvSF_,"axG",@progbits,_ZN7rocprim17ROCPRIM_400000_NS6detail17trampoline_kernelINS0_14default_configENS1_38merge_sort_block_merge_config_selectorIbNS0_10empty_typeEEEZZNS1_27merge_sort_block_merge_implIS3_PbPS5_jNS1_19radix_merge_compareILb1ELb0EbNS0_19identity_decomposerEEEEE10hipError_tT0_T1_T2_jT3_P12ihipStream_tbPNSt15iterator_traitsISE_E10value_typeEPNSK_ISF_E10value_typeEPSG_NS1_7vsmem_tEENKUlT_SE_SF_SG_E_clIS8_S8_S9_S9_EESD_ST_SE_SF_SG_EUlST_E0_NS1_11comp_targetILNS1_3genE4ELNS1_11target_archE910ELNS1_3gpuE8ELNS1_3repE0EEENS1_38merge_mergepath_config_static_selectorELNS0_4arch9wavefront6targetE0EEEvSF_,comdat
.Lfunc_end1670:
	.size	_ZN7rocprim17ROCPRIM_400000_NS6detail17trampoline_kernelINS0_14default_configENS1_38merge_sort_block_merge_config_selectorIbNS0_10empty_typeEEEZZNS1_27merge_sort_block_merge_implIS3_PbPS5_jNS1_19radix_merge_compareILb1ELb0EbNS0_19identity_decomposerEEEEE10hipError_tT0_T1_T2_jT3_P12ihipStream_tbPNSt15iterator_traitsISE_E10value_typeEPNSK_ISF_E10value_typeEPSG_NS1_7vsmem_tEENKUlT_SE_SF_SG_E_clIS8_S8_S9_S9_EESD_ST_SE_SF_SG_EUlST_E0_NS1_11comp_targetILNS1_3genE4ELNS1_11target_archE910ELNS1_3gpuE8ELNS1_3repE0EEENS1_38merge_mergepath_config_static_selectorELNS0_4arch9wavefront6targetE0EEEvSF_, .Lfunc_end1670-_ZN7rocprim17ROCPRIM_400000_NS6detail17trampoline_kernelINS0_14default_configENS1_38merge_sort_block_merge_config_selectorIbNS0_10empty_typeEEEZZNS1_27merge_sort_block_merge_implIS3_PbPS5_jNS1_19radix_merge_compareILb1ELb0EbNS0_19identity_decomposerEEEEE10hipError_tT0_T1_T2_jT3_P12ihipStream_tbPNSt15iterator_traitsISE_E10value_typeEPNSK_ISF_E10value_typeEPSG_NS1_7vsmem_tEENKUlT_SE_SF_SG_E_clIS8_S8_S9_S9_EESD_ST_SE_SF_SG_EUlST_E0_NS1_11comp_targetILNS1_3genE4ELNS1_11target_archE910ELNS1_3gpuE8ELNS1_3repE0EEENS1_38merge_mergepath_config_static_selectorELNS0_4arch9wavefront6targetE0EEEvSF_
                                        ; -- End function
	.set _ZN7rocprim17ROCPRIM_400000_NS6detail17trampoline_kernelINS0_14default_configENS1_38merge_sort_block_merge_config_selectorIbNS0_10empty_typeEEEZZNS1_27merge_sort_block_merge_implIS3_PbPS5_jNS1_19radix_merge_compareILb1ELb0EbNS0_19identity_decomposerEEEEE10hipError_tT0_T1_T2_jT3_P12ihipStream_tbPNSt15iterator_traitsISE_E10value_typeEPNSK_ISF_E10value_typeEPSG_NS1_7vsmem_tEENKUlT_SE_SF_SG_E_clIS8_S8_S9_S9_EESD_ST_SE_SF_SG_EUlST_E0_NS1_11comp_targetILNS1_3genE4ELNS1_11target_archE910ELNS1_3gpuE8ELNS1_3repE0EEENS1_38merge_mergepath_config_static_selectorELNS0_4arch9wavefront6targetE0EEEvSF_.num_vgpr, 0
	.set _ZN7rocprim17ROCPRIM_400000_NS6detail17trampoline_kernelINS0_14default_configENS1_38merge_sort_block_merge_config_selectorIbNS0_10empty_typeEEEZZNS1_27merge_sort_block_merge_implIS3_PbPS5_jNS1_19radix_merge_compareILb1ELb0EbNS0_19identity_decomposerEEEEE10hipError_tT0_T1_T2_jT3_P12ihipStream_tbPNSt15iterator_traitsISE_E10value_typeEPNSK_ISF_E10value_typeEPSG_NS1_7vsmem_tEENKUlT_SE_SF_SG_E_clIS8_S8_S9_S9_EESD_ST_SE_SF_SG_EUlST_E0_NS1_11comp_targetILNS1_3genE4ELNS1_11target_archE910ELNS1_3gpuE8ELNS1_3repE0EEENS1_38merge_mergepath_config_static_selectorELNS0_4arch9wavefront6targetE0EEEvSF_.num_agpr, 0
	.set _ZN7rocprim17ROCPRIM_400000_NS6detail17trampoline_kernelINS0_14default_configENS1_38merge_sort_block_merge_config_selectorIbNS0_10empty_typeEEEZZNS1_27merge_sort_block_merge_implIS3_PbPS5_jNS1_19radix_merge_compareILb1ELb0EbNS0_19identity_decomposerEEEEE10hipError_tT0_T1_T2_jT3_P12ihipStream_tbPNSt15iterator_traitsISE_E10value_typeEPNSK_ISF_E10value_typeEPSG_NS1_7vsmem_tEENKUlT_SE_SF_SG_E_clIS8_S8_S9_S9_EESD_ST_SE_SF_SG_EUlST_E0_NS1_11comp_targetILNS1_3genE4ELNS1_11target_archE910ELNS1_3gpuE8ELNS1_3repE0EEENS1_38merge_mergepath_config_static_selectorELNS0_4arch9wavefront6targetE0EEEvSF_.numbered_sgpr, 0
	.set _ZN7rocprim17ROCPRIM_400000_NS6detail17trampoline_kernelINS0_14default_configENS1_38merge_sort_block_merge_config_selectorIbNS0_10empty_typeEEEZZNS1_27merge_sort_block_merge_implIS3_PbPS5_jNS1_19radix_merge_compareILb1ELb0EbNS0_19identity_decomposerEEEEE10hipError_tT0_T1_T2_jT3_P12ihipStream_tbPNSt15iterator_traitsISE_E10value_typeEPNSK_ISF_E10value_typeEPSG_NS1_7vsmem_tEENKUlT_SE_SF_SG_E_clIS8_S8_S9_S9_EESD_ST_SE_SF_SG_EUlST_E0_NS1_11comp_targetILNS1_3genE4ELNS1_11target_archE910ELNS1_3gpuE8ELNS1_3repE0EEENS1_38merge_mergepath_config_static_selectorELNS0_4arch9wavefront6targetE0EEEvSF_.num_named_barrier, 0
	.set _ZN7rocprim17ROCPRIM_400000_NS6detail17trampoline_kernelINS0_14default_configENS1_38merge_sort_block_merge_config_selectorIbNS0_10empty_typeEEEZZNS1_27merge_sort_block_merge_implIS3_PbPS5_jNS1_19radix_merge_compareILb1ELb0EbNS0_19identity_decomposerEEEEE10hipError_tT0_T1_T2_jT3_P12ihipStream_tbPNSt15iterator_traitsISE_E10value_typeEPNSK_ISF_E10value_typeEPSG_NS1_7vsmem_tEENKUlT_SE_SF_SG_E_clIS8_S8_S9_S9_EESD_ST_SE_SF_SG_EUlST_E0_NS1_11comp_targetILNS1_3genE4ELNS1_11target_archE910ELNS1_3gpuE8ELNS1_3repE0EEENS1_38merge_mergepath_config_static_selectorELNS0_4arch9wavefront6targetE0EEEvSF_.private_seg_size, 0
	.set _ZN7rocprim17ROCPRIM_400000_NS6detail17trampoline_kernelINS0_14default_configENS1_38merge_sort_block_merge_config_selectorIbNS0_10empty_typeEEEZZNS1_27merge_sort_block_merge_implIS3_PbPS5_jNS1_19radix_merge_compareILb1ELb0EbNS0_19identity_decomposerEEEEE10hipError_tT0_T1_T2_jT3_P12ihipStream_tbPNSt15iterator_traitsISE_E10value_typeEPNSK_ISF_E10value_typeEPSG_NS1_7vsmem_tEENKUlT_SE_SF_SG_E_clIS8_S8_S9_S9_EESD_ST_SE_SF_SG_EUlST_E0_NS1_11comp_targetILNS1_3genE4ELNS1_11target_archE910ELNS1_3gpuE8ELNS1_3repE0EEENS1_38merge_mergepath_config_static_selectorELNS0_4arch9wavefront6targetE0EEEvSF_.uses_vcc, 0
	.set _ZN7rocprim17ROCPRIM_400000_NS6detail17trampoline_kernelINS0_14default_configENS1_38merge_sort_block_merge_config_selectorIbNS0_10empty_typeEEEZZNS1_27merge_sort_block_merge_implIS3_PbPS5_jNS1_19radix_merge_compareILb1ELb0EbNS0_19identity_decomposerEEEEE10hipError_tT0_T1_T2_jT3_P12ihipStream_tbPNSt15iterator_traitsISE_E10value_typeEPNSK_ISF_E10value_typeEPSG_NS1_7vsmem_tEENKUlT_SE_SF_SG_E_clIS8_S8_S9_S9_EESD_ST_SE_SF_SG_EUlST_E0_NS1_11comp_targetILNS1_3genE4ELNS1_11target_archE910ELNS1_3gpuE8ELNS1_3repE0EEENS1_38merge_mergepath_config_static_selectorELNS0_4arch9wavefront6targetE0EEEvSF_.uses_flat_scratch, 0
	.set _ZN7rocprim17ROCPRIM_400000_NS6detail17trampoline_kernelINS0_14default_configENS1_38merge_sort_block_merge_config_selectorIbNS0_10empty_typeEEEZZNS1_27merge_sort_block_merge_implIS3_PbPS5_jNS1_19radix_merge_compareILb1ELb0EbNS0_19identity_decomposerEEEEE10hipError_tT0_T1_T2_jT3_P12ihipStream_tbPNSt15iterator_traitsISE_E10value_typeEPNSK_ISF_E10value_typeEPSG_NS1_7vsmem_tEENKUlT_SE_SF_SG_E_clIS8_S8_S9_S9_EESD_ST_SE_SF_SG_EUlST_E0_NS1_11comp_targetILNS1_3genE4ELNS1_11target_archE910ELNS1_3gpuE8ELNS1_3repE0EEENS1_38merge_mergepath_config_static_selectorELNS0_4arch9wavefront6targetE0EEEvSF_.has_dyn_sized_stack, 0
	.set _ZN7rocprim17ROCPRIM_400000_NS6detail17trampoline_kernelINS0_14default_configENS1_38merge_sort_block_merge_config_selectorIbNS0_10empty_typeEEEZZNS1_27merge_sort_block_merge_implIS3_PbPS5_jNS1_19radix_merge_compareILb1ELb0EbNS0_19identity_decomposerEEEEE10hipError_tT0_T1_T2_jT3_P12ihipStream_tbPNSt15iterator_traitsISE_E10value_typeEPNSK_ISF_E10value_typeEPSG_NS1_7vsmem_tEENKUlT_SE_SF_SG_E_clIS8_S8_S9_S9_EESD_ST_SE_SF_SG_EUlST_E0_NS1_11comp_targetILNS1_3genE4ELNS1_11target_archE910ELNS1_3gpuE8ELNS1_3repE0EEENS1_38merge_mergepath_config_static_selectorELNS0_4arch9wavefront6targetE0EEEvSF_.has_recursion, 0
	.set _ZN7rocprim17ROCPRIM_400000_NS6detail17trampoline_kernelINS0_14default_configENS1_38merge_sort_block_merge_config_selectorIbNS0_10empty_typeEEEZZNS1_27merge_sort_block_merge_implIS3_PbPS5_jNS1_19radix_merge_compareILb1ELb0EbNS0_19identity_decomposerEEEEE10hipError_tT0_T1_T2_jT3_P12ihipStream_tbPNSt15iterator_traitsISE_E10value_typeEPNSK_ISF_E10value_typeEPSG_NS1_7vsmem_tEENKUlT_SE_SF_SG_E_clIS8_S8_S9_S9_EESD_ST_SE_SF_SG_EUlST_E0_NS1_11comp_targetILNS1_3genE4ELNS1_11target_archE910ELNS1_3gpuE8ELNS1_3repE0EEENS1_38merge_mergepath_config_static_selectorELNS0_4arch9wavefront6targetE0EEEvSF_.has_indirect_call, 0
	.section	.AMDGPU.csdata,"",@progbits
; Kernel info:
; codeLenInByte = 0
; TotalNumSgprs: 0
; NumVgprs: 0
; ScratchSize: 0
; MemoryBound: 0
; FloatMode: 240
; IeeeMode: 1
; LDSByteSize: 0 bytes/workgroup (compile time only)
; SGPRBlocks: 0
; VGPRBlocks: 0
; NumSGPRsForWavesPerEU: 1
; NumVGPRsForWavesPerEU: 1
; NamedBarCnt: 0
; Occupancy: 16
; WaveLimiterHint : 0
; COMPUTE_PGM_RSRC2:SCRATCH_EN: 0
; COMPUTE_PGM_RSRC2:USER_SGPR: 2
; COMPUTE_PGM_RSRC2:TRAP_HANDLER: 0
; COMPUTE_PGM_RSRC2:TGID_X_EN: 1
; COMPUTE_PGM_RSRC2:TGID_Y_EN: 0
; COMPUTE_PGM_RSRC2:TGID_Z_EN: 0
; COMPUTE_PGM_RSRC2:TIDIG_COMP_CNT: 0
	.section	.text._ZN7rocprim17ROCPRIM_400000_NS6detail17trampoline_kernelINS0_14default_configENS1_38merge_sort_block_merge_config_selectorIbNS0_10empty_typeEEEZZNS1_27merge_sort_block_merge_implIS3_PbPS5_jNS1_19radix_merge_compareILb1ELb0EbNS0_19identity_decomposerEEEEE10hipError_tT0_T1_T2_jT3_P12ihipStream_tbPNSt15iterator_traitsISE_E10value_typeEPNSK_ISF_E10value_typeEPSG_NS1_7vsmem_tEENKUlT_SE_SF_SG_E_clIS8_S8_S9_S9_EESD_ST_SE_SF_SG_EUlST_E0_NS1_11comp_targetILNS1_3genE3ELNS1_11target_archE908ELNS1_3gpuE7ELNS1_3repE0EEENS1_38merge_mergepath_config_static_selectorELNS0_4arch9wavefront6targetE0EEEvSF_,"axG",@progbits,_ZN7rocprim17ROCPRIM_400000_NS6detail17trampoline_kernelINS0_14default_configENS1_38merge_sort_block_merge_config_selectorIbNS0_10empty_typeEEEZZNS1_27merge_sort_block_merge_implIS3_PbPS5_jNS1_19radix_merge_compareILb1ELb0EbNS0_19identity_decomposerEEEEE10hipError_tT0_T1_T2_jT3_P12ihipStream_tbPNSt15iterator_traitsISE_E10value_typeEPNSK_ISF_E10value_typeEPSG_NS1_7vsmem_tEENKUlT_SE_SF_SG_E_clIS8_S8_S9_S9_EESD_ST_SE_SF_SG_EUlST_E0_NS1_11comp_targetILNS1_3genE3ELNS1_11target_archE908ELNS1_3gpuE7ELNS1_3repE0EEENS1_38merge_mergepath_config_static_selectorELNS0_4arch9wavefront6targetE0EEEvSF_,comdat
	.protected	_ZN7rocprim17ROCPRIM_400000_NS6detail17trampoline_kernelINS0_14default_configENS1_38merge_sort_block_merge_config_selectorIbNS0_10empty_typeEEEZZNS1_27merge_sort_block_merge_implIS3_PbPS5_jNS1_19radix_merge_compareILb1ELb0EbNS0_19identity_decomposerEEEEE10hipError_tT0_T1_T2_jT3_P12ihipStream_tbPNSt15iterator_traitsISE_E10value_typeEPNSK_ISF_E10value_typeEPSG_NS1_7vsmem_tEENKUlT_SE_SF_SG_E_clIS8_S8_S9_S9_EESD_ST_SE_SF_SG_EUlST_E0_NS1_11comp_targetILNS1_3genE3ELNS1_11target_archE908ELNS1_3gpuE7ELNS1_3repE0EEENS1_38merge_mergepath_config_static_selectorELNS0_4arch9wavefront6targetE0EEEvSF_ ; -- Begin function _ZN7rocprim17ROCPRIM_400000_NS6detail17trampoline_kernelINS0_14default_configENS1_38merge_sort_block_merge_config_selectorIbNS0_10empty_typeEEEZZNS1_27merge_sort_block_merge_implIS3_PbPS5_jNS1_19radix_merge_compareILb1ELb0EbNS0_19identity_decomposerEEEEE10hipError_tT0_T1_T2_jT3_P12ihipStream_tbPNSt15iterator_traitsISE_E10value_typeEPNSK_ISF_E10value_typeEPSG_NS1_7vsmem_tEENKUlT_SE_SF_SG_E_clIS8_S8_S9_S9_EESD_ST_SE_SF_SG_EUlST_E0_NS1_11comp_targetILNS1_3genE3ELNS1_11target_archE908ELNS1_3gpuE7ELNS1_3repE0EEENS1_38merge_mergepath_config_static_selectorELNS0_4arch9wavefront6targetE0EEEvSF_
	.globl	_ZN7rocprim17ROCPRIM_400000_NS6detail17trampoline_kernelINS0_14default_configENS1_38merge_sort_block_merge_config_selectorIbNS0_10empty_typeEEEZZNS1_27merge_sort_block_merge_implIS3_PbPS5_jNS1_19radix_merge_compareILb1ELb0EbNS0_19identity_decomposerEEEEE10hipError_tT0_T1_T2_jT3_P12ihipStream_tbPNSt15iterator_traitsISE_E10value_typeEPNSK_ISF_E10value_typeEPSG_NS1_7vsmem_tEENKUlT_SE_SF_SG_E_clIS8_S8_S9_S9_EESD_ST_SE_SF_SG_EUlST_E0_NS1_11comp_targetILNS1_3genE3ELNS1_11target_archE908ELNS1_3gpuE7ELNS1_3repE0EEENS1_38merge_mergepath_config_static_selectorELNS0_4arch9wavefront6targetE0EEEvSF_
	.p2align	8
	.type	_ZN7rocprim17ROCPRIM_400000_NS6detail17trampoline_kernelINS0_14default_configENS1_38merge_sort_block_merge_config_selectorIbNS0_10empty_typeEEEZZNS1_27merge_sort_block_merge_implIS3_PbPS5_jNS1_19radix_merge_compareILb1ELb0EbNS0_19identity_decomposerEEEEE10hipError_tT0_T1_T2_jT3_P12ihipStream_tbPNSt15iterator_traitsISE_E10value_typeEPNSK_ISF_E10value_typeEPSG_NS1_7vsmem_tEENKUlT_SE_SF_SG_E_clIS8_S8_S9_S9_EESD_ST_SE_SF_SG_EUlST_E0_NS1_11comp_targetILNS1_3genE3ELNS1_11target_archE908ELNS1_3gpuE7ELNS1_3repE0EEENS1_38merge_mergepath_config_static_selectorELNS0_4arch9wavefront6targetE0EEEvSF_,@function
_ZN7rocprim17ROCPRIM_400000_NS6detail17trampoline_kernelINS0_14default_configENS1_38merge_sort_block_merge_config_selectorIbNS0_10empty_typeEEEZZNS1_27merge_sort_block_merge_implIS3_PbPS5_jNS1_19radix_merge_compareILb1ELb0EbNS0_19identity_decomposerEEEEE10hipError_tT0_T1_T2_jT3_P12ihipStream_tbPNSt15iterator_traitsISE_E10value_typeEPNSK_ISF_E10value_typeEPSG_NS1_7vsmem_tEENKUlT_SE_SF_SG_E_clIS8_S8_S9_S9_EESD_ST_SE_SF_SG_EUlST_E0_NS1_11comp_targetILNS1_3genE3ELNS1_11target_archE908ELNS1_3gpuE7ELNS1_3repE0EEENS1_38merge_mergepath_config_static_selectorELNS0_4arch9wavefront6targetE0EEEvSF_: ; @_ZN7rocprim17ROCPRIM_400000_NS6detail17trampoline_kernelINS0_14default_configENS1_38merge_sort_block_merge_config_selectorIbNS0_10empty_typeEEEZZNS1_27merge_sort_block_merge_implIS3_PbPS5_jNS1_19radix_merge_compareILb1ELb0EbNS0_19identity_decomposerEEEEE10hipError_tT0_T1_T2_jT3_P12ihipStream_tbPNSt15iterator_traitsISE_E10value_typeEPNSK_ISF_E10value_typeEPSG_NS1_7vsmem_tEENKUlT_SE_SF_SG_E_clIS8_S8_S9_S9_EESD_ST_SE_SF_SG_EUlST_E0_NS1_11comp_targetILNS1_3genE3ELNS1_11target_archE908ELNS1_3gpuE7ELNS1_3repE0EEENS1_38merge_mergepath_config_static_selectorELNS0_4arch9wavefront6targetE0EEEvSF_
; %bb.0:
	.section	.rodata,"a",@progbits
	.p2align	6, 0x0
	.amdhsa_kernel _ZN7rocprim17ROCPRIM_400000_NS6detail17trampoline_kernelINS0_14default_configENS1_38merge_sort_block_merge_config_selectorIbNS0_10empty_typeEEEZZNS1_27merge_sort_block_merge_implIS3_PbPS5_jNS1_19radix_merge_compareILb1ELb0EbNS0_19identity_decomposerEEEEE10hipError_tT0_T1_T2_jT3_P12ihipStream_tbPNSt15iterator_traitsISE_E10value_typeEPNSK_ISF_E10value_typeEPSG_NS1_7vsmem_tEENKUlT_SE_SF_SG_E_clIS8_S8_S9_S9_EESD_ST_SE_SF_SG_EUlST_E0_NS1_11comp_targetILNS1_3genE3ELNS1_11target_archE908ELNS1_3gpuE7ELNS1_3repE0EEENS1_38merge_mergepath_config_static_selectorELNS0_4arch9wavefront6targetE0EEEvSF_
		.amdhsa_group_segment_fixed_size 0
		.amdhsa_private_segment_fixed_size 0
		.amdhsa_kernarg_size 64
		.amdhsa_user_sgpr_count 2
		.amdhsa_user_sgpr_dispatch_ptr 0
		.amdhsa_user_sgpr_queue_ptr 0
		.amdhsa_user_sgpr_kernarg_segment_ptr 1
		.amdhsa_user_sgpr_dispatch_id 0
		.amdhsa_user_sgpr_kernarg_preload_length 0
		.amdhsa_user_sgpr_kernarg_preload_offset 0
		.amdhsa_user_sgpr_private_segment_size 0
		.amdhsa_wavefront_size32 1
		.amdhsa_uses_dynamic_stack 0
		.amdhsa_enable_private_segment 0
		.amdhsa_system_sgpr_workgroup_id_x 1
		.amdhsa_system_sgpr_workgroup_id_y 0
		.amdhsa_system_sgpr_workgroup_id_z 0
		.amdhsa_system_sgpr_workgroup_info 0
		.amdhsa_system_vgpr_workitem_id 0
		.amdhsa_next_free_vgpr 1
		.amdhsa_next_free_sgpr 1
		.amdhsa_named_barrier_count 0
		.amdhsa_reserve_vcc 0
		.amdhsa_float_round_mode_32 0
		.amdhsa_float_round_mode_16_64 0
		.amdhsa_float_denorm_mode_32 3
		.amdhsa_float_denorm_mode_16_64 3
		.amdhsa_fp16_overflow 0
		.amdhsa_memory_ordered 1
		.amdhsa_forward_progress 1
		.amdhsa_inst_pref_size 0
		.amdhsa_round_robin_scheduling 0
		.amdhsa_exception_fp_ieee_invalid_op 0
		.amdhsa_exception_fp_denorm_src 0
		.amdhsa_exception_fp_ieee_div_zero 0
		.amdhsa_exception_fp_ieee_overflow 0
		.amdhsa_exception_fp_ieee_underflow 0
		.amdhsa_exception_fp_ieee_inexact 0
		.amdhsa_exception_int_div_zero 0
	.end_amdhsa_kernel
	.section	.text._ZN7rocprim17ROCPRIM_400000_NS6detail17trampoline_kernelINS0_14default_configENS1_38merge_sort_block_merge_config_selectorIbNS0_10empty_typeEEEZZNS1_27merge_sort_block_merge_implIS3_PbPS5_jNS1_19radix_merge_compareILb1ELb0EbNS0_19identity_decomposerEEEEE10hipError_tT0_T1_T2_jT3_P12ihipStream_tbPNSt15iterator_traitsISE_E10value_typeEPNSK_ISF_E10value_typeEPSG_NS1_7vsmem_tEENKUlT_SE_SF_SG_E_clIS8_S8_S9_S9_EESD_ST_SE_SF_SG_EUlST_E0_NS1_11comp_targetILNS1_3genE3ELNS1_11target_archE908ELNS1_3gpuE7ELNS1_3repE0EEENS1_38merge_mergepath_config_static_selectorELNS0_4arch9wavefront6targetE0EEEvSF_,"axG",@progbits,_ZN7rocprim17ROCPRIM_400000_NS6detail17trampoline_kernelINS0_14default_configENS1_38merge_sort_block_merge_config_selectorIbNS0_10empty_typeEEEZZNS1_27merge_sort_block_merge_implIS3_PbPS5_jNS1_19radix_merge_compareILb1ELb0EbNS0_19identity_decomposerEEEEE10hipError_tT0_T1_T2_jT3_P12ihipStream_tbPNSt15iterator_traitsISE_E10value_typeEPNSK_ISF_E10value_typeEPSG_NS1_7vsmem_tEENKUlT_SE_SF_SG_E_clIS8_S8_S9_S9_EESD_ST_SE_SF_SG_EUlST_E0_NS1_11comp_targetILNS1_3genE3ELNS1_11target_archE908ELNS1_3gpuE7ELNS1_3repE0EEENS1_38merge_mergepath_config_static_selectorELNS0_4arch9wavefront6targetE0EEEvSF_,comdat
.Lfunc_end1671:
	.size	_ZN7rocprim17ROCPRIM_400000_NS6detail17trampoline_kernelINS0_14default_configENS1_38merge_sort_block_merge_config_selectorIbNS0_10empty_typeEEEZZNS1_27merge_sort_block_merge_implIS3_PbPS5_jNS1_19radix_merge_compareILb1ELb0EbNS0_19identity_decomposerEEEEE10hipError_tT0_T1_T2_jT3_P12ihipStream_tbPNSt15iterator_traitsISE_E10value_typeEPNSK_ISF_E10value_typeEPSG_NS1_7vsmem_tEENKUlT_SE_SF_SG_E_clIS8_S8_S9_S9_EESD_ST_SE_SF_SG_EUlST_E0_NS1_11comp_targetILNS1_3genE3ELNS1_11target_archE908ELNS1_3gpuE7ELNS1_3repE0EEENS1_38merge_mergepath_config_static_selectorELNS0_4arch9wavefront6targetE0EEEvSF_, .Lfunc_end1671-_ZN7rocprim17ROCPRIM_400000_NS6detail17trampoline_kernelINS0_14default_configENS1_38merge_sort_block_merge_config_selectorIbNS0_10empty_typeEEEZZNS1_27merge_sort_block_merge_implIS3_PbPS5_jNS1_19radix_merge_compareILb1ELb0EbNS0_19identity_decomposerEEEEE10hipError_tT0_T1_T2_jT3_P12ihipStream_tbPNSt15iterator_traitsISE_E10value_typeEPNSK_ISF_E10value_typeEPSG_NS1_7vsmem_tEENKUlT_SE_SF_SG_E_clIS8_S8_S9_S9_EESD_ST_SE_SF_SG_EUlST_E0_NS1_11comp_targetILNS1_3genE3ELNS1_11target_archE908ELNS1_3gpuE7ELNS1_3repE0EEENS1_38merge_mergepath_config_static_selectorELNS0_4arch9wavefront6targetE0EEEvSF_
                                        ; -- End function
	.set _ZN7rocprim17ROCPRIM_400000_NS6detail17trampoline_kernelINS0_14default_configENS1_38merge_sort_block_merge_config_selectorIbNS0_10empty_typeEEEZZNS1_27merge_sort_block_merge_implIS3_PbPS5_jNS1_19radix_merge_compareILb1ELb0EbNS0_19identity_decomposerEEEEE10hipError_tT0_T1_T2_jT3_P12ihipStream_tbPNSt15iterator_traitsISE_E10value_typeEPNSK_ISF_E10value_typeEPSG_NS1_7vsmem_tEENKUlT_SE_SF_SG_E_clIS8_S8_S9_S9_EESD_ST_SE_SF_SG_EUlST_E0_NS1_11comp_targetILNS1_3genE3ELNS1_11target_archE908ELNS1_3gpuE7ELNS1_3repE0EEENS1_38merge_mergepath_config_static_selectorELNS0_4arch9wavefront6targetE0EEEvSF_.num_vgpr, 0
	.set _ZN7rocprim17ROCPRIM_400000_NS6detail17trampoline_kernelINS0_14default_configENS1_38merge_sort_block_merge_config_selectorIbNS0_10empty_typeEEEZZNS1_27merge_sort_block_merge_implIS3_PbPS5_jNS1_19radix_merge_compareILb1ELb0EbNS0_19identity_decomposerEEEEE10hipError_tT0_T1_T2_jT3_P12ihipStream_tbPNSt15iterator_traitsISE_E10value_typeEPNSK_ISF_E10value_typeEPSG_NS1_7vsmem_tEENKUlT_SE_SF_SG_E_clIS8_S8_S9_S9_EESD_ST_SE_SF_SG_EUlST_E0_NS1_11comp_targetILNS1_3genE3ELNS1_11target_archE908ELNS1_3gpuE7ELNS1_3repE0EEENS1_38merge_mergepath_config_static_selectorELNS0_4arch9wavefront6targetE0EEEvSF_.num_agpr, 0
	.set _ZN7rocprim17ROCPRIM_400000_NS6detail17trampoline_kernelINS0_14default_configENS1_38merge_sort_block_merge_config_selectorIbNS0_10empty_typeEEEZZNS1_27merge_sort_block_merge_implIS3_PbPS5_jNS1_19radix_merge_compareILb1ELb0EbNS0_19identity_decomposerEEEEE10hipError_tT0_T1_T2_jT3_P12ihipStream_tbPNSt15iterator_traitsISE_E10value_typeEPNSK_ISF_E10value_typeEPSG_NS1_7vsmem_tEENKUlT_SE_SF_SG_E_clIS8_S8_S9_S9_EESD_ST_SE_SF_SG_EUlST_E0_NS1_11comp_targetILNS1_3genE3ELNS1_11target_archE908ELNS1_3gpuE7ELNS1_3repE0EEENS1_38merge_mergepath_config_static_selectorELNS0_4arch9wavefront6targetE0EEEvSF_.numbered_sgpr, 0
	.set _ZN7rocprim17ROCPRIM_400000_NS6detail17trampoline_kernelINS0_14default_configENS1_38merge_sort_block_merge_config_selectorIbNS0_10empty_typeEEEZZNS1_27merge_sort_block_merge_implIS3_PbPS5_jNS1_19radix_merge_compareILb1ELb0EbNS0_19identity_decomposerEEEEE10hipError_tT0_T1_T2_jT3_P12ihipStream_tbPNSt15iterator_traitsISE_E10value_typeEPNSK_ISF_E10value_typeEPSG_NS1_7vsmem_tEENKUlT_SE_SF_SG_E_clIS8_S8_S9_S9_EESD_ST_SE_SF_SG_EUlST_E0_NS1_11comp_targetILNS1_3genE3ELNS1_11target_archE908ELNS1_3gpuE7ELNS1_3repE0EEENS1_38merge_mergepath_config_static_selectorELNS0_4arch9wavefront6targetE0EEEvSF_.num_named_barrier, 0
	.set _ZN7rocprim17ROCPRIM_400000_NS6detail17trampoline_kernelINS0_14default_configENS1_38merge_sort_block_merge_config_selectorIbNS0_10empty_typeEEEZZNS1_27merge_sort_block_merge_implIS3_PbPS5_jNS1_19radix_merge_compareILb1ELb0EbNS0_19identity_decomposerEEEEE10hipError_tT0_T1_T2_jT3_P12ihipStream_tbPNSt15iterator_traitsISE_E10value_typeEPNSK_ISF_E10value_typeEPSG_NS1_7vsmem_tEENKUlT_SE_SF_SG_E_clIS8_S8_S9_S9_EESD_ST_SE_SF_SG_EUlST_E0_NS1_11comp_targetILNS1_3genE3ELNS1_11target_archE908ELNS1_3gpuE7ELNS1_3repE0EEENS1_38merge_mergepath_config_static_selectorELNS0_4arch9wavefront6targetE0EEEvSF_.private_seg_size, 0
	.set _ZN7rocprim17ROCPRIM_400000_NS6detail17trampoline_kernelINS0_14default_configENS1_38merge_sort_block_merge_config_selectorIbNS0_10empty_typeEEEZZNS1_27merge_sort_block_merge_implIS3_PbPS5_jNS1_19radix_merge_compareILb1ELb0EbNS0_19identity_decomposerEEEEE10hipError_tT0_T1_T2_jT3_P12ihipStream_tbPNSt15iterator_traitsISE_E10value_typeEPNSK_ISF_E10value_typeEPSG_NS1_7vsmem_tEENKUlT_SE_SF_SG_E_clIS8_S8_S9_S9_EESD_ST_SE_SF_SG_EUlST_E0_NS1_11comp_targetILNS1_3genE3ELNS1_11target_archE908ELNS1_3gpuE7ELNS1_3repE0EEENS1_38merge_mergepath_config_static_selectorELNS0_4arch9wavefront6targetE0EEEvSF_.uses_vcc, 0
	.set _ZN7rocprim17ROCPRIM_400000_NS6detail17trampoline_kernelINS0_14default_configENS1_38merge_sort_block_merge_config_selectorIbNS0_10empty_typeEEEZZNS1_27merge_sort_block_merge_implIS3_PbPS5_jNS1_19radix_merge_compareILb1ELb0EbNS0_19identity_decomposerEEEEE10hipError_tT0_T1_T2_jT3_P12ihipStream_tbPNSt15iterator_traitsISE_E10value_typeEPNSK_ISF_E10value_typeEPSG_NS1_7vsmem_tEENKUlT_SE_SF_SG_E_clIS8_S8_S9_S9_EESD_ST_SE_SF_SG_EUlST_E0_NS1_11comp_targetILNS1_3genE3ELNS1_11target_archE908ELNS1_3gpuE7ELNS1_3repE0EEENS1_38merge_mergepath_config_static_selectorELNS0_4arch9wavefront6targetE0EEEvSF_.uses_flat_scratch, 0
	.set _ZN7rocprim17ROCPRIM_400000_NS6detail17trampoline_kernelINS0_14default_configENS1_38merge_sort_block_merge_config_selectorIbNS0_10empty_typeEEEZZNS1_27merge_sort_block_merge_implIS3_PbPS5_jNS1_19radix_merge_compareILb1ELb0EbNS0_19identity_decomposerEEEEE10hipError_tT0_T1_T2_jT3_P12ihipStream_tbPNSt15iterator_traitsISE_E10value_typeEPNSK_ISF_E10value_typeEPSG_NS1_7vsmem_tEENKUlT_SE_SF_SG_E_clIS8_S8_S9_S9_EESD_ST_SE_SF_SG_EUlST_E0_NS1_11comp_targetILNS1_3genE3ELNS1_11target_archE908ELNS1_3gpuE7ELNS1_3repE0EEENS1_38merge_mergepath_config_static_selectorELNS0_4arch9wavefront6targetE0EEEvSF_.has_dyn_sized_stack, 0
	.set _ZN7rocprim17ROCPRIM_400000_NS6detail17trampoline_kernelINS0_14default_configENS1_38merge_sort_block_merge_config_selectorIbNS0_10empty_typeEEEZZNS1_27merge_sort_block_merge_implIS3_PbPS5_jNS1_19radix_merge_compareILb1ELb0EbNS0_19identity_decomposerEEEEE10hipError_tT0_T1_T2_jT3_P12ihipStream_tbPNSt15iterator_traitsISE_E10value_typeEPNSK_ISF_E10value_typeEPSG_NS1_7vsmem_tEENKUlT_SE_SF_SG_E_clIS8_S8_S9_S9_EESD_ST_SE_SF_SG_EUlST_E0_NS1_11comp_targetILNS1_3genE3ELNS1_11target_archE908ELNS1_3gpuE7ELNS1_3repE0EEENS1_38merge_mergepath_config_static_selectorELNS0_4arch9wavefront6targetE0EEEvSF_.has_recursion, 0
	.set _ZN7rocprim17ROCPRIM_400000_NS6detail17trampoline_kernelINS0_14default_configENS1_38merge_sort_block_merge_config_selectorIbNS0_10empty_typeEEEZZNS1_27merge_sort_block_merge_implIS3_PbPS5_jNS1_19radix_merge_compareILb1ELb0EbNS0_19identity_decomposerEEEEE10hipError_tT0_T1_T2_jT3_P12ihipStream_tbPNSt15iterator_traitsISE_E10value_typeEPNSK_ISF_E10value_typeEPSG_NS1_7vsmem_tEENKUlT_SE_SF_SG_E_clIS8_S8_S9_S9_EESD_ST_SE_SF_SG_EUlST_E0_NS1_11comp_targetILNS1_3genE3ELNS1_11target_archE908ELNS1_3gpuE7ELNS1_3repE0EEENS1_38merge_mergepath_config_static_selectorELNS0_4arch9wavefront6targetE0EEEvSF_.has_indirect_call, 0
	.section	.AMDGPU.csdata,"",@progbits
; Kernel info:
; codeLenInByte = 0
; TotalNumSgprs: 0
; NumVgprs: 0
; ScratchSize: 0
; MemoryBound: 0
; FloatMode: 240
; IeeeMode: 1
; LDSByteSize: 0 bytes/workgroup (compile time only)
; SGPRBlocks: 0
; VGPRBlocks: 0
; NumSGPRsForWavesPerEU: 1
; NumVGPRsForWavesPerEU: 1
; NamedBarCnt: 0
; Occupancy: 16
; WaveLimiterHint : 0
; COMPUTE_PGM_RSRC2:SCRATCH_EN: 0
; COMPUTE_PGM_RSRC2:USER_SGPR: 2
; COMPUTE_PGM_RSRC2:TRAP_HANDLER: 0
; COMPUTE_PGM_RSRC2:TGID_X_EN: 1
; COMPUTE_PGM_RSRC2:TGID_Y_EN: 0
; COMPUTE_PGM_RSRC2:TGID_Z_EN: 0
; COMPUTE_PGM_RSRC2:TIDIG_COMP_CNT: 0
	.section	.text._ZN7rocprim17ROCPRIM_400000_NS6detail17trampoline_kernelINS0_14default_configENS1_38merge_sort_block_merge_config_selectorIbNS0_10empty_typeEEEZZNS1_27merge_sort_block_merge_implIS3_PbPS5_jNS1_19radix_merge_compareILb1ELb0EbNS0_19identity_decomposerEEEEE10hipError_tT0_T1_T2_jT3_P12ihipStream_tbPNSt15iterator_traitsISE_E10value_typeEPNSK_ISF_E10value_typeEPSG_NS1_7vsmem_tEENKUlT_SE_SF_SG_E_clIS8_S8_S9_S9_EESD_ST_SE_SF_SG_EUlST_E0_NS1_11comp_targetILNS1_3genE2ELNS1_11target_archE906ELNS1_3gpuE6ELNS1_3repE0EEENS1_38merge_mergepath_config_static_selectorELNS0_4arch9wavefront6targetE0EEEvSF_,"axG",@progbits,_ZN7rocprim17ROCPRIM_400000_NS6detail17trampoline_kernelINS0_14default_configENS1_38merge_sort_block_merge_config_selectorIbNS0_10empty_typeEEEZZNS1_27merge_sort_block_merge_implIS3_PbPS5_jNS1_19radix_merge_compareILb1ELb0EbNS0_19identity_decomposerEEEEE10hipError_tT0_T1_T2_jT3_P12ihipStream_tbPNSt15iterator_traitsISE_E10value_typeEPNSK_ISF_E10value_typeEPSG_NS1_7vsmem_tEENKUlT_SE_SF_SG_E_clIS8_S8_S9_S9_EESD_ST_SE_SF_SG_EUlST_E0_NS1_11comp_targetILNS1_3genE2ELNS1_11target_archE906ELNS1_3gpuE6ELNS1_3repE0EEENS1_38merge_mergepath_config_static_selectorELNS0_4arch9wavefront6targetE0EEEvSF_,comdat
	.protected	_ZN7rocprim17ROCPRIM_400000_NS6detail17trampoline_kernelINS0_14default_configENS1_38merge_sort_block_merge_config_selectorIbNS0_10empty_typeEEEZZNS1_27merge_sort_block_merge_implIS3_PbPS5_jNS1_19radix_merge_compareILb1ELb0EbNS0_19identity_decomposerEEEEE10hipError_tT0_T1_T2_jT3_P12ihipStream_tbPNSt15iterator_traitsISE_E10value_typeEPNSK_ISF_E10value_typeEPSG_NS1_7vsmem_tEENKUlT_SE_SF_SG_E_clIS8_S8_S9_S9_EESD_ST_SE_SF_SG_EUlST_E0_NS1_11comp_targetILNS1_3genE2ELNS1_11target_archE906ELNS1_3gpuE6ELNS1_3repE0EEENS1_38merge_mergepath_config_static_selectorELNS0_4arch9wavefront6targetE0EEEvSF_ ; -- Begin function _ZN7rocprim17ROCPRIM_400000_NS6detail17trampoline_kernelINS0_14default_configENS1_38merge_sort_block_merge_config_selectorIbNS0_10empty_typeEEEZZNS1_27merge_sort_block_merge_implIS3_PbPS5_jNS1_19radix_merge_compareILb1ELb0EbNS0_19identity_decomposerEEEEE10hipError_tT0_T1_T2_jT3_P12ihipStream_tbPNSt15iterator_traitsISE_E10value_typeEPNSK_ISF_E10value_typeEPSG_NS1_7vsmem_tEENKUlT_SE_SF_SG_E_clIS8_S8_S9_S9_EESD_ST_SE_SF_SG_EUlST_E0_NS1_11comp_targetILNS1_3genE2ELNS1_11target_archE906ELNS1_3gpuE6ELNS1_3repE0EEENS1_38merge_mergepath_config_static_selectorELNS0_4arch9wavefront6targetE0EEEvSF_
	.globl	_ZN7rocprim17ROCPRIM_400000_NS6detail17trampoline_kernelINS0_14default_configENS1_38merge_sort_block_merge_config_selectorIbNS0_10empty_typeEEEZZNS1_27merge_sort_block_merge_implIS3_PbPS5_jNS1_19radix_merge_compareILb1ELb0EbNS0_19identity_decomposerEEEEE10hipError_tT0_T1_T2_jT3_P12ihipStream_tbPNSt15iterator_traitsISE_E10value_typeEPNSK_ISF_E10value_typeEPSG_NS1_7vsmem_tEENKUlT_SE_SF_SG_E_clIS8_S8_S9_S9_EESD_ST_SE_SF_SG_EUlST_E0_NS1_11comp_targetILNS1_3genE2ELNS1_11target_archE906ELNS1_3gpuE6ELNS1_3repE0EEENS1_38merge_mergepath_config_static_selectorELNS0_4arch9wavefront6targetE0EEEvSF_
	.p2align	8
	.type	_ZN7rocprim17ROCPRIM_400000_NS6detail17trampoline_kernelINS0_14default_configENS1_38merge_sort_block_merge_config_selectorIbNS0_10empty_typeEEEZZNS1_27merge_sort_block_merge_implIS3_PbPS5_jNS1_19radix_merge_compareILb1ELb0EbNS0_19identity_decomposerEEEEE10hipError_tT0_T1_T2_jT3_P12ihipStream_tbPNSt15iterator_traitsISE_E10value_typeEPNSK_ISF_E10value_typeEPSG_NS1_7vsmem_tEENKUlT_SE_SF_SG_E_clIS8_S8_S9_S9_EESD_ST_SE_SF_SG_EUlST_E0_NS1_11comp_targetILNS1_3genE2ELNS1_11target_archE906ELNS1_3gpuE6ELNS1_3repE0EEENS1_38merge_mergepath_config_static_selectorELNS0_4arch9wavefront6targetE0EEEvSF_,@function
_ZN7rocprim17ROCPRIM_400000_NS6detail17trampoline_kernelINS0_14default_configENS1_38merge_sort_block_merge_config_selectorIbNS0_10empty_typeEEEZZNS1_27merge_sort_block_merge_implIS3_PbPS5_jNS1_19radix_merge_compareILb1ELb0EbNS0_19identity_decomposerEEEEE10hipError_tT0_T1_T2_jT3_P12ihipStream_tbPNSt15iterator_traitsISE_E10value_typeEPNSK_ISF_E10value_typeEPSG_NS1_7vsmem_tEENKUlT_SE_SF_SG_E_clIS8_S8_S9_S9_EESD_ST_SE_SF_SG_EUlST_E0_NS1_11comp_targetILNS1_3genE2ELNS1_11target_archE906ELNS1_3gpuE6ELNS1_3repE0EEENS1_38merge_mergepath_config_static_selectorELNS0_4arch9wavefront6targetE0EEEvSF_: ; @_ZN7rocprim17ROCPRIM_400000_NS6detail17trampoline_kernelINS0_14default_configENS1_38merge_sort_block_merge_config_selectorIbNS0_10empty_typeEEEZZNS1_27merge_sort_block_merge_implIS3_PbPS5_jNS1_19radix_merge_compareILb1ELb0EbNS0_19identity_decomposerEEEEE10hipError_tT0_T1_T2_jT3_P12ihipStream_tbPNSt15iterator_traitsISE_E10value_typeEPNSK_ISF_E10value_typeEPSG_NS1_7vsmem_tEENKUlT_SE_SF_SG_E_clIS8_S8_S9_S9_EESD_ST_SE_SF_SG_EUlST_E0_NS1_11comp_targetILNS1_3genE2ELNS1_11target_archE906ELNS1_3gpuE6ELNS1_3repE0EEENS1_38merge_mergepath_config_static_selectorELNS0_4arch9wavefront6targetE0EEEvSF_
; %bb.0:
	.section	.rodata,"a",@progbits
	.p2align	6, 0x0
	.amdhsa_kernel _ZN7rocprim17ROCPRIM_400000_NS6detail17trampoline_kernelINS0_14default_configENS1_38merge_sort_block_merge_config_selectorIbNS0_10empty_typeEEEZZNS1_27merge_sort_block_merge_implIS3_PbPS5_jNS1_19radix_merge_compareILb1ELb0EbNS0_19identity_decomposerEEEEE10hipError_tT0_T1_T2_jT3_P12ihipStream_tbPNSt15iterator_traitsISE_E10value_typeEPNSK_ISF_E10value_typeEPSG_NS1_7vsmem_tEENKUlT_SE_SF_SG_E_clIS8_S8_S9_S9_EESD_ST_SE_SF_SG_EUlST_E0_NS1_11comp_targetILNS1_3genE2ELNS1_11target_archE906ELNS1_3gpuE6ELNS1_3repE0EEENS1_38merge_mergepath_config_static_selectorELNS0_4arch9wavefront6targetE0EEEvSF_
		.amdhsa_group_segment_fixed_size 0
		.amdhsa_private_segment_fixed_size 0
		.amdhsa_kernarg_size 64
		.amdhsa_user_sgpr_count 2
		.amdhsa_user_sgpr_dispatch_ptr 0
		.amdhsa_user_sgpr_queue_ptr 0
		.amdhsa_user_sgpr_kernarg_segment_ptr 1
		.amdhsa_user_sgpr_dispatch_id 0
		.amdhsa_user_sgpr_kernarg_preload_length 0
		.amdhsa_user_sgpr_kernarg_preload_offset 0
		.amdhsa_user_sgpr_private_segment_size 0
		.amdhsa_wavefront_size32 1
		.amdhsa_uses_dynamic_stack 0
		.amdhsa_enable_private_segment 0
		.amdhsa_system_sgpr_workgroup_id_x 1
		.amdhsa_system_sgpr_workgroup_id_y 0
		.amdhsa_system_sgpr_workgroup_id_z 0
		.amdhsa_system_sgpr_workgroup_info 0
		.amdhsa_system_vgpr_workitem_id 0
		.amdhsa_next_free_vgpr 1
		.amdhsa_next_free_sgpr 1
		.amdhsa_named_barrier_count 0
		.amdhsa_reserve_vcc 0
		.amdhsa_float_round_mode_32 0
		.amdhsa_float_round_mode_16_64 0
		.amdhsa_float_denorm_mode_32 3
		.amdhsa_float_denorm_mode_16_64 3
		.amdhsa_fp16_overflow 0
		.amdhsa_memory_ordered 1
		.amdhsa_forward_progress 1
		.amdhsa_inst_pref_size 0
		.amdhsa_round_robin_scheduling 0
		.amdhsa_exception_fp_ieee_invalid_op 0
		.amdhsa_exception_fp_denorm_src 0
		.amdhsa_exception_fp_ieee_div_zero 0
		.amdhsa_exception_fp_ieee_overflow 0
		.amdhsa_exception_fp_ieee_underflow 0
		.amdhsa_exception_fp_ieee_inexact 0
		.amdhsa_exception_int_div_zero 0
	.end_amdhsa_kernel
	.section	.text._ZN7rocprim17ROCPRIM_400000_NS6detail17trampoline_kernelINS0_14default_configENS1_38merge_sort_block_merge_config_selectorIbNS0_10empty_typeEEEZZNS1_27merge_sort_block_merge_implIS3_PbPS5_jNS1_19radix_merge_compareILb1ELb0EbNS0_19identity_decomposerEEEEE10hipError_tT0_T1_T2_jT3_P12ihipStream_tbPNSt15iterator_traitsISE_E10value_typeEPNSK_ISF_E10value_typeEPSG_NS1_7vsmem_tEENKUlT_SE_SF_SG_E_clIS8_S8_S9_S9_EESD_ST_SE_SF_SG_EUlST_E0_NS1_11comp_targetILNS1_3genE2ELNS1_11target_archE906ELNS1_3gpuE6ELNS1_3repE0EEENS1_38merge_mergepath_config_static_selectorELNS0_4arch9wavefront6targetE0EEEvSF_,"axG",@progbits,_ZN7rocprim17ROCPRIM_400000_NS6detail17trampoline_kernelINS0_14default_configENS1_38merge_sort_block_merge_config_selectorIbNS0_10empty_typeEEEZZNS1_27merge_sort_block_merge_implIS3_PbPS5_jNS1_19radix_merge_compareILb1ELb0EbNS0_19identity_decomposerEEEEE10hipError_tT0_T1_T2_jT3_P12ihipStream_tbPNSt15iterator_traitsISE_E10value_typeEPNSK_ISF_E10value_typeEPSG_NS1_7vsmem_tEENKUlT_SE_SF_SG_E_clIS8_S8_S9_S9_EESD_ST_SE_SF_SG_EUlST_E0_NS1_11comp_targetILNS1_3genE2ELNS1_11target_archE906ELNS1_3gpuE6ELNS1_3repE0EEENS1_38merge_mergepath_config_static_selectorELNS0_4arch9wavefront6targetE0EEEvSF_,comdat
.Lfunc_end1672:
	.size	_ZN7rocprim17ROCPRIM_400000_NS6detail17trampoline_kernelINS0_14default_configENS1_38merge_sort_block_merge_config_selectorIbNS0_10empty_typeEEEZZNS1_27merge_sort_block_merge_implIS3_PbPS5_jNS1_19radix_merge_compareILb1ELb0EbNS0_19identity_decomposerEEEEE10hipError_tT0_T1_T2_jT3_P12ihipStream_tbPNSt15iterator_traitsISE_E10value_typeEPNSK_ISF_E10value_typeEPSG_NS1_7vsmem_tEENKUlT_SE_SF_SG_E_clIS8_S8_S9_S9_EESD_ST_SE_SF_SG_EUlST_E0_NS1_11comp_targetILNS1_3genE2ELNS1_11target_archE906ELNS1_3gpuE6ELNS1_3repE0EEENS1_38merge_mergepath_config_static_selectorELNS0_4arch9wavefront6targetE0EEEvSF_, .Lfunc_end1672-_ZN7rocprim17ROCPRIM_400000_NS6detail17trampoline_kernelINS0_14default_configENS1_38merge_sort_block_merge_config_selectorIbNS0_10empty_typeEEEZZNS1_27merge_sort_block_merge_implIS3_PbPS5_jNS1_19radix_merge_compareILb1ELb0EbNS0_19identity_decomposerEEEEE10hipError_tT0_T1_T2_jT3_P12ihipStream_tbPNSt15iterator_traitsISE_E10value_typeEPNSK_ISF_E10value_typeEPSG_NS1_7vsmem_tEENKUlT_SE_SF_SG_E_clIS8_S8_S9_S9_EESD_ST_SE_SF_SG_EUlST_E0_NS1_11comp_targetILNS1_3genE2ELNS1_11target_archE906ELNS1_3gpuE6ELNS1_3repE0EEENS1_38merge_mergepath_config_static_selectorELNS0_4arch9wavefront6targetE0EEEvSF_
                                        ; -- End function
	.set _ZN7rocprim17ROCPRIM_400000_NS6detail17trampoline_kernelINS0_14default_configENS1_38merge_sort_block_merge_config_selectorIbNS0_10empty_typeEEEZZNS1_27merge_sort_block_merge_implIS3_PbPS5_jNS1_19radix_merge_compareILb1ELb0EbNS0_19identity_decomposerEEEEE10hipError_tT0_T1_T2_jT3_P12ihipStream_tbPNSt15iterator_traitsISE_E10value_typeEPNSK_ISF_E10value_typeEPSG_NS1_7vsmem_tEENKUlT_SE_SF_SG_E_clIS8_S8_S9_S9_EESD_ST_SE_SF_SG_EUlST_E0_NS1_11comp_targetILNS1_3genE2ELNS1_11target_archE906ELNS1_3gpuE6ELNS1_3repE0EEENS1_38merge_mergepath_config_static_selectorELNS0_4arch9wavefront6targetE0EEEvSF_.num_vgpr, 0
	.set _ZN7rocprim17ROCPRIM_400000_NS6detail17trampoline_kernelINS0_14default_configENS1_38merge_sort_block_merge_config_selectorIbNS0_10empty_typeEEEZZNS1_27merge_sort_block_merge_implIS3_PbPS5_jNS1_19radix_merge_compareILb1ELb0EbNS0_19identity_decomposerEEEEE10hipError_tT0_T1_T2_jT3_P12ihipStream_tbPNSt15iterator_traitsISE_E10value_typeEPNSK_ISF_E10value_typeEPSG_NS1_7vsmem_tEENKUlT_SE_SF_SG_E_clIS8_S8_S9_S9_EESD_ST_SE_SF_SG_EUlST_E0_NS1_11comp_targetILNS1_3genE2ELNS1_11target_archE906ELNS1_3gpuE6ELNS1_3repE0EEENS1_38merge_mergepath_config_static_selectorELNS0_4arch9wavefront6targetE0EEEvSF_.num_agpr, 0
	.set _ZN7rocprim17ROCPRIM_400000_NS6detail17trampoline_kernelINS0_14default_configENS1_38merge_sort_block_merge_config_selectorIbNS0_10empty_typeEEEZZNS1_27merge_sort_block_merge_implIS3_PbPS5_jNS1_19radix_merge_compareILb1ELb0EbNS0_19identity_decomposerEEEEE10hipError_tT0_T1_T2_jT3_P12ihipStream_tbPNSt15iterator_traitsISE_E10value_typeEPNSK_ISF_E10value_typeEPSG_NS1_7vsmem_tEENKUlT_SE_SF_SG_E_clIS8_S8_S9_S9_EESD_ST_SE_SF_SG_EUlST_E0_NS1_11comp_targetILNS1_3genE2ELNS1_11target_archE906ELNS1_3gpuE6ELNS1_3repE0EEENS1_38merge_mergepath_config_static_selectorELNS0_4arch9wavefront6targetE0EEEvSF_.numbered_sgpr, 0
	.set _ZN7rocprim17ROCPRIM_400000_NS6detail17trampoline_kernelINS0_14default_configENS1_38merge_sort_block_merge_config_selectorIbNS0_10empty_typeEEEZZNS1_27merge_sort_block_merge_implIS3_PbPS5_jNS1_19radix_merge_compareILb1ELb0EbNS0_19identity_decomposerEEEEE10hipError_tT0_T1_T2_jT3_P12ihipStream_tbPNSt15iterator_traitsISE_E10value_typeEPNSK_ISF_E10value_typeEPSG_NS1_7vsmem_tEENKUlT_SE_SF_SG_E_clIS8_S8_S9_S9_EESD_ST_SE_SF_SG_EUlST_E0_NS1_11comp_targetILNS1_3genE2ELNS1_11target_archE906ELNS1_3gpuE6ELNS1_3repE0EEENS1_38merge_mergepath_config_static_selectorELNS0_4arch9wavefront6targetE0EEEvSF_.num_named_barrier, 0
	.set _ZN7rocprim17ROCPRIM_400000_NS6detail17trampoline_kernelINS0_14default_configENS1_38merge_sort_block_merge_config_selectorIbNS0_10empty_typeEEEZZNS1_27merge_sort_block_merge_implIS3_PbPS5_jNS1_19radix_merge_compareILb1ELb0EbNS0_19identity_decomposerEEEEE10hipError_tT0_T1_T2_jT3_P12ihipStream_tbPNSt15iterator_traitsISE_E10value_typeEPNSK_ISF_E10value_typeEPSG_NS1_7vsmem_tEENKUlT_SE_SF_SG_E_clIS8_S8_S9_S9_EESD_ST_SE_SF_SG_EUlST_E0_NS1_11comp_targetILNS1_3genE2ELNS1_11target_archE906ELNS1_3gpuE6ELNS1_3repE0EEENS1_38merge_mergepath_config_static_selectorELNS0_4arch9wavefront6targetE0EEEvSF_.private_seg_size, 0
	.set _ZN7rocprim17ROCPRIM_400000_NS6detail17trampoline_kernelINS0_14default_configENS1_38merge_sort_block_merge_config_selectorIbNS0_10empty_typeEEEZZNS1_27merge_sort_block_merge_implIS3_PbPS5_jNS1_19radix_merge_compareILb1ELb0EbNS0_19identity_decomposerEEEEE10hipError_tT0_T1_T2_jT3_P12ihipStream_tbPNSt15iterator_traitsISE_E10value_typeEPNSK_ISF_E10value_typeEPSG_NS1_7vsmem_tEENKUlT_SE_SF_SG_E_clIS8_S8_S9_S9_EESD_ST_SE_SF_SG_EUlST_E0_NS1_11comp_targetILNS1_3genE2ELNS1_11target_archE906ELNS1_3gpuE6ELNS1_3repE0EEENS1_38merge_mergepath_config_static_selectorELNS0_4arch9wavefront6targetE0EEEvSF_.uses_vcc, 0
	.set _ZN7rocprim17ROCPRIM_400000_NS6detail17trampoline_kernelINS0_14default_configENS1_38merge_sort_block_merge_config_selectorIbNS0_10empty_typeEEEZZNS1_27merge_sort_block_merge_implIS3_PbPS5_jNS1_19radix_merge_compareILb1ELb0EbNS0_19identity_decomposerEEEEE10hipError_tT0_T1_T2_jT3_P12ihipStream_tbPNSt15iterator_traitsISE_E10value_typeEPNSK_ISF_E10value_typeEPSG_NS1_7vsmem_tEENKUlT_SE_SF_SG_E_clIS8_S8_S9_S9_EESD_ST_SE_SF_SG_EUlST_E0_NS1_11comp_targetILNS1_3genE2ELNS1_11target_archE906ELNS1_3gpuE6ELNS1_3repE0EEENS1_38merge_mergepath_config_static_selectorELNS0_4arch9wavefront6targetE0EEEvSF_.uses_flat_scratch, 0
	.set _ZN7rocprim17ROCPRIM_400000_NS6detail17trampoline_kernelINS0_14default_configENS1_38merge_sort_block_merge_config_selectorIbNS0_10empty_typeEEEZZNS1_27merge_sort_block_merge_implIS3_PbPS5_jNS1_19radix_merge_compareILb1ELb0EbNS0_19identity_decomposerEEEEE10hipError_tT0_T1_T2_jT3_P12ihipStream_tbPNSt15iterator_traitsISE_E10value_typeEPNSK_ISF_E10value_typeEPSG_NS1_7vsmem_tEENKUlT_SE_SF_SG_E_clIS8_S8_S9_S9_EESD_ST_SE_SF_SG_EUlST_E0_NS1_11comp_targetILNS1_3genE2ELNS1_11target_archE906ELNS1_3gpuE6ELNS1_3repE0EEENS1_38merge_mergepath_config_static_selectorELNS0_4arch9wavefront6targetE0EEEvSF_.has_dyn_sized_stack, 0
	.set _ZN7rocprim17ROCPRIM_400000_NS6detail17trampoline_kernelINS0_14default_configENS1_38merge_sort_block_merge_config_selectorIbNS0_10empty_typeEEEZZNS1_27merge_sort_block_merge_implIS3_PbPS5_jNS1_19radix_merge_compareILb1ELb0EbNS0_19identity_decomposerEEEEE10hipError_tT0_T1_T2_jT3_P12ihipStream_tbPNSt15iterator_traitsISE_E10value_typeEPNSK_ISF_E10value_typeEPSG_NS1_7vsmem_tEENKUlT_SE_SF_SG_E_clIS8_S8_S9_S9_EESD_ST_SE_SF_SG_EUlST_E0_NS1_11comp_targetILNS1_3genE2ELNS1_11target_archE906ELNS1_3gpuE6ELNS1_3repE0EEENS1_38merge_mergepath_config_static_selectorELNS0_4arch9wavefront6targetE0EEEvSF_.has_recursion, 0
	.set _ZN7rocprim17ROCPRIM_400000_NS6detail17trampoline_kernelINS0_14default_configENS1_38merge_sort_block_merge_config_selectorIbNS0_10empty_typeEEEZZNS1_27merge_sort_block_merge_implIS3_PbPS5_jNS1_19radix_merge_compareILb1ELb0EbNS0_19identity_decomposerEEEEE10hipError_tT0_T1_T2_jT3_P12ihipStream_tbPNSt15iterator_traitsISE_E10value_typeEPNSK_ISF_E10value_typeEPSG_NS1_7vsmem_tEENKUlT_SE_SF_SG_E_clIS8_S8_S9_S9_EESD_ST_SE_SF_SG_EUlST_E0_NS1_11comp_targetILNS1_3genE2ELNS1_11target_archE906ELNS1_3gpuE6ELNS1_3repE0EEENS1_38merge_mergepath_config_static_selectorELNS0_4arch9wavefront6targetE0EEEvSF_.has_indirect_call, 0
	.section	.AMDGPU.csdata,"",@progbits
; Kernel info:
; codeLenInByte = 0
; TotalNumSgprs: 0
; NumVgprs: 0
; ScratchSize: 0
; MemoryBound: 0
; FloatMode: 240
; IeeeMode: 1
; LDSByteSize: 0 bytes/workgroup (compile time only)
; SGPRBlocks: 0
; VGPRBlocks: 0
; NumSGPRsForWavesPerEU: 1
; NumVGPRsForWavesPerEU: 1
; NamedBarCnt: 0
; Occupancy: 16
; WaveLimiterHint : 0
; COMPUTE_PGM_RSRC2:SCRATCH_EN: 0
; COMPUTE_PGM_RSRC2:USER_SGPR: 2
; COMPUTE_PGM_RSRC2:TRAP_HANDLER: 0
; COMPUTE_PGM_RSRC2:TGID_X_EN: 1
; COMPUTE_PGM_RSRC2:TGID_Y_EN: 0
; COMPUTE_PGM_RSRC2:TGID_Z_EN: 0
; COMPUTE_PGM_RSRC2:TIDIG_COMP_CNT: 0
	.section	.text._ZN7rocprim17ROCPRIM_400000_NS6detail17trampoline_kernelINS0_14default_configENS1_38merge_sort_block_merge_config_selectorIbNS0_10empty_typeEEEZZNS1_27merge_sort_block_merge_implIS3_PbPS5_jNS1_19radix_merge_compareILb1ELb0EbNS0_19identity_decomposerEEEEE10hipError_tT0_T1_T2_jT3_P12ihipStream_tbPNSt15iterator_traitsISE_E10value_typeEPNSK_ISF_E10value_typeEPSG_NS1_7vsmem_tEENKUlT_SE_SF_SG_E_clIS8_S8_S9_S9_EESD_ST_SE_SF_SG_EUlST_E0_NS1_11comp_targetILNS1_3genE9ELNS1_11target_archE1100ELNS1_3gpuE3ELNS1_3repE0EEENS1_38merge_mergepath_config_static_selectorELNS0_4arch9wavefront6targetE0EEEvSF_,"axG",@progbits,_ZN7rocprim17ROCPRIM_400000_NS6detail17trampoline_kernelINS0_14default_configENS1_38merge_sort_block_merge_config_selectorIbNS0_10empty_typeEEEZZNS1_27merge_sort_block_merge_implIS3_PbPS5_jNS1_19radix_merge_compareILb1ELb0EbNS0_19identity_decomposerEEEEE10hipError_tT0_T1_T2_jT3_P12ihipStream_tbPNSt15iterator_traitsISE_E10value_typeEPNSK_ISF_E10value_typeEPSG_NS1_7vsmem_tEENKUlT_SE_SF_SG_E_clIS8_S8_S9_S9_EESD_ST_SE_SF_SG_EUlST_E0_NS1_11comp_targetILNS1_3genE9ELNS1_11target_archE1100ELNS1_3gpuE3ELNS1_3repE0EEENS1_38merge_mergepath_config_static_selectorELNS0_4arch9wavefront6targetE0EEEvSF_,comdat
	.protected	_ZN7rocprim17ROCPRIM_400000_NS6detail17trampoline_kernelINS0_14default_configENS1_38merge_sort_block_merge_config_selectorIbNS0_10empty_typeEEEZZNS1_27merge_sort_block_merge_implIS3_PbPS5_jNS1_19radix_merge_compareILb1ELb0EbNS0_19identity_decomposerEEEEE10hipError_tT0_T1_T2_jT3_P12ihipStream_tbPNSt15iterator_traitsISE_E10value_typeEPNSK_ISF_E10value_typeEPSG_NS1_7vsmem_tEENKUlT_SE_SF_SG_E_clIS8_S8_S9_S9_EESD_ST_SE_SF_SG_EUlST_E0_NS1_11comp_targetILNS1_3genE9ELNS1_11target_archE1100ELNS1_3gpuE3ELNS1_3repE0EEENS1_38merge_mergepath_config_static_selectorELNS0_4arch9wavefront6targetE0EEEvSF_ ; -- Begin function _ZN7rocprim17ROCPRIM_400000_NS6detail17trampoline_kernelINS0_14default_configENS1_38merge_sort_block_merge_config_selectorIbNS0_10empty_typeEEEZZNS1_27merge_sort_block_merge_implIS3_PbPS5_jNS1_19radix_merge_compareILb1ELb0EbNS0_19identity_decomposerEEEEE10hipError_tT0_T1_T2_jT3_P12ihipStream_tbPNSt15iterator_traitsISE_E10value_typeEPNSK_ISF_E10value_typeEPSG_NS1_7vsmem_tEENKUlT_SE_SF_SG_E_clIS8_S8_S9_S9_EESD_ST_SE_SF_SG_EUlST_E0_NS1_11comp_targetILNS1_3genE9ELNS1_11target_archE1100ELNS1_3gpuE3ELNS1_3repE0EEENS1_38merge_mergepath_config_static_selectorELNS0_4arch9wavefront6targetE0EEEvSF_
	.globl	_ZN7rocprim17ROCPRIM_400000_NS6detail17trampoline_kernelINS0_14default_configENS1_38merge_sort_block_merge_config_selectorIbNS0_10empty_typeEEEZZNS1_27merge_sort_block_merge_implIS3_PbPS5_jNS1_19radix_merge_compareILb1ELb0EbNS0_19identity_decomposerEEEEE10hipError_tT0_T1_T2_jT3_P12ihipStream_tbPNSt15iterator_traitsISE_E10value_typeEPNSK_ISF_E10value_typeEPSG_NS1_7vsmem_tEENKUlT_SE_SF_SG_E_clIS8_S8_S9_S9_EESD_ST_SE_SF_SG_EUlST_E0_NS1_11comp_targetILNS1_3genE9ELNS1_11target_archE1100ELNS1_3gpuE3ELNS1_3repE0EEENS1_38merge_mergepath_config_static_selectorELNS0_4arch9wavefront6targetE0EEEvSF_
	.p2align	8
	.type	_ZN7rocprim17ROCPRIM_400000_NS6detail17trampoline_kernelINS0_14default_configENS1_38merge_sort_block_merge_config_selectorIbNS0_10empty_typeEEEZZNS1_27merge_sort_block_merge_implIS3_PbPS5_jNS1_19radix_merge_compareILb1ELb0EbNS0_19identity_decomposerEEEEE10hipError_tT0_T1_T2_jT3_P12ihipStream_tbPNSt15iterator_traitsISE_E10value_typeEPNSK_ISF_E10value_typeEPSG_NS1_7vsmem_tEENKUlT_SE_SF_SG_E_clIS8_S8_S9_S9_EESD_ST_SE_SF_SG_EUlST_E0_NS1_11comp_targetILNS1_3genE9ELNS1_11target_archE1100ELNS1_3gpuE3ELNS1_3repE0EEENS1_38merge_mergepath_config_static_selectorELNS0_4arch9wavefront6targetE0EEEvSF_,@function
_ZN7rocprim17ROCPRIM_400000_NS6detail17trampoline_kernelINS0_14default_configENS1_38merge_sort_block_merge_config_selectorIbNS0_10empty_typeEEEZZNS1_27merge_sort_block_merge_implIS3_PbPS5_jNS1_19radix_merge_compareILb1ELb0EbNS0_19identity_decomposerEEEEE10hipError_tT0_T1_T2_jT3_P12ihipStream_tbPNSt15iterator_traitsISE_E10value_typeEPNSK_ISF_E10value_typeEPSG_NS1_7vsmem_tEENKUlT_SE_SF_SG_E_clIS8_S8_S9_S9_EESD_ST_SE_SF_SG_EUlST_E0_NS1_11comp_targetILNS1_3genE9ELNS1_11target_archE1100ELNS1_3gpuE3ELNS1_3repE0EEENS1_38merge_mergepath_config_static_selectorELNS0_4arch9wavefront6targetE0EEEvSF_: ; @_ZN7rocprim17ROCPRIM_400000_NS6detail17trampoline_kernelINS0_14default_configENS1_38merge_sort_block_merge_config_selectorIbNS0_10empty_typeEEEZZNS1_27merge_sort_block_merge_implIS3_PbPS5_jNS1_19radix_merge_compareILb1ELb0EbNS0_19identity_decomposerEEEEE10hipError_tT0_T1_T2_jT3_P12ihipStream_tbPNSt15iterator_traitsISE_E10value_typeEPNSK_ISF_E10value_typeEPSG_NS1_7vsmem_tEENKUlT_SE_SF_SG_E_clIS8_S8_S9_S9_EESD_ST_SE_SF_SG_EUlST_E0_NS1_11comp_targetILNS1_3genE9ELNS1_11target_archE1100ELNS1_3gpuE3ELNS1_3repE0EEENS1_38merge_mergepath_config_static_selectorELNS0_4arch9wavefront6targetE0EEEvSF_
; %bb.0:
	.section	.rodata,"a",@progbits
	.p2align	6, 0x0
	.amdhsa_kernel _ZN7rocprim17ROCPRIM_400000_NS6detail17trampoline_kernelINS0_14default_configENS1_38merge_sort_block_merge_config_selectorIbNS0_10empty_typeEEEZZNS1_27merge_sort_block_merge_implIS3_PbPS5_jNS1_19radix_merge_compareILb1ELb0EbNS0_19identity_decomposerEEEEE10hipError_tT0_T1_T2_jT3_P12ihipStream_tbPNSt15iterator_traitsISE_E10value_typeEPNSK_ISF_E10value_typeEPSG_NS1_7vsmem_tEENKUlT_SE_SF_SG_E_clIS8_S8_S9_S9_EESD_ST_SE_SF_SG_EUlST_E0_NS1_11comp_targetILNS1_3genE9ELNS1_11target_archE1100ELNS1_3gpuE3ELNS1_3repE0EEENS1_38merge_mergepath_config_static_selectorELNS0_4arch9wavefront6targetE0EEEvSF_
		.amdhsa_group_segment_fixed_size 0
		.amdhsa_private_segment_fixed_size 0
		.amdhsa_kernarg_size 64
		.amdhsa_user_sgpr_count 2
		.amdhsa_user_sgpr_dispatch_ptr 0
		.amdhsa_user_sgpr_queue_ptr 0
		.amdhsa_user_sgpr_kernarg_segment_ptr 1
		.amdhsa_user_sgpr_dispatch_id 0
		.amdhsa_user_sgpr_kernarg_preload_length 0
		.amdhsa_user_sgpr_kernarg_preload_offset 0
		.amdhsa_user_sgpr_private_segment_size 0
		.amdhsa_wavefront_size32 1
		.amdhsa_uses_dynamic_stack 0
		.amdhsa_enable_private_segment 0
		.amdhsa_system_sgpr_workgroup_id_x 1
		.amdhsa_system_sgpr_workgroup_id_y 0
		.amdhsa_system_sgpr_workgroup_id_z 0
		.amdhsa_system_sgpr_workgroup_info 0
		.amdhsa_system_vgpr_workitem_id 0
		.amdhsa_next_free_vgpr 1
		.amdhsa_next_free_sgpr 1
		.amdhsa_named_barrier_count 0
		.amdhsa_reserve_vcc 0
		.amdhsa_float_round_mode_32 0
		.amdhsa_float_round_mode_16_64 0
		.amdhsa_float_denorm_mode_32 3
		.amdhsa_float_denorm_mode_16_64 3
		.amdhsa_fp16_overflow 0
		.amdhsa_memory_ordered 1
		.amdhsa_forward_progress 1
		.amdhsa_inst_pref_size 0
		.amdhsa_round_robin_scheduling 0
		.amdhsa_exception_fp_ieee_invalid_op 0
		.amdhsa_exception_fp_denorm_src 0
		.amdhsa_exception_fp_ieee_div_zero 0
		.amdhsa_exception_fp_ieee_overflow 0
		.amdhsa_exception_fp_ieee_underflow 0
		.amdhsa_exception_fp_ieee_inexact 0
		.amdhsa_exception_int_div_zero 0
	.end_amdhsa_kernel
	.section	.text._ZN7rocprim17ROCPRIM_400000_NS6detail17trampoline_kernelINS0_14default_configENS1_38merge_sort_block_merge_config_selectorIbNS0_10empty_typeEEEZZNS1_27merge_sort_block_merge_implIS3_PbPS5_jNS1_19radix_merge_compareILb1ELb0EbNS0_19identity_decomposerEEEEE10hipError_tT0_T1_T2_jT3_P12ihipStream_tbPNSt15iterator_traitsISE_E10value_typeEPNSK_ISF_E10value_typeEPSG_NS1_7vsmem_tEENKUlT_SE_SF_SG_E_clIS8_S8_S9_S9_EESD_ST_SE_SF_SG_EUlST_E0_NS1_11comp_targetILNS1_3genE9ELNS1_11target_archE1100ELNS1_3gpuE3ELNS1_3repE0EEENS1_38merge_mergepath_config_static_selectorELNS0_4arch9wavefront6targetE0EEEvSF_,"axG",@progbits,_ZN7rocprim17ROCPRIM_400000_NS6detail17trampoline_kernelINS0_14default_configENS1_38merge_sort_block_merge_config_selectorIbNS0_10empty_typeEEEZZNS1_27merge_sort_block_merge_implIS3_PbPS5_jNS1_19radix_merge_compareILb1ELb0EbNS0_19identity_decomposerEEEEE10hipError_tT0_T1_T2_jT3_P12ihipStream_tbPNSt15iterator_traitsISE_E10value_typeEPNSK_ISF_E10value_typeEPSG_NS1_7vsmem_tEENKUlT_SE_SF_SG_E_clIS8_S8_S9_S9_EESD_ST_SE_SF_SG_EUlST_E0_NS1_11comp_targetILNS1_3genE9ELNS1_11target_archE1100ELNS1_3gpuE3ELNS1_3repE0EEENS1_38merge_mergepath_config_static_selectorELNS0_4arch9wavefront6targetE0EEEvSF_,comdat
.Lfunc_end1673:
	.size	_ZN7rocprim17ROCPRIM_400000_NS6detail17trampoline_kernelINS0_14default_configENS1_38merge_sort_block_merge_config_selectorIbNS0_10empty_typeEEEZZNS1_27merge_sort_block_merge_implIS3_PbPS5_jNS1_19radix_merge_compareILb1ELb0EbNS0_19identity_decomposerEEEEE10hipError_tT0_T1_T2_jT3_P12ihipStream_tbPNSt15iterator_traitsISE_E10value_typeEPNSK_ISF_E10value_typeEPSG_NS1_7vsmem_tEENKUlT_SE_SF_SG_E_clIS8_S8_S9_S9_EESD_ST_SE_SF_SG_EUlST_E0_NS1_11comp_targetILNS1_3genE9ELNS1_11target_archE1100ELNS1_3gpuE3ELNS1_3repE0EEENS1_38merge_mergepath_config_static_selectorELNS0_4arch9wavefront6targetE0EEEvSF_, .Lfunc_end1673-_ZN7rocprim17ROCPRIM_400000_NS6detail17trampoline_kernelINS0_14default_configENS1_38merge_sort_block_merge_config_selectorIbNS0_10empty_typeEEEZZNS1_27merge_sort_block_merge_implIS3_PbPS5_jNS1_19radix_merge_compareILb1ELb0EbNS0_19identity_decomposerEEEEE10hipError_tT0_T1_T2_jT3_P12ihipStream_tbPNSt15iterator_traitsISE_E10value_typeEPNSK_ISF_E10value_typeEPSG_NS1_7vsmem_tEENKUlT_SE_SF_SG_E_clIS8_S8_S9_S9_EESD_ST_SE_SF_SG_EUlST_E0_NS1_11comp_targetILNS1_3genE9ELNS1_11target_archE1100ELNS1_3gpuE3ELNS1_3repE0EEENS1_38merge_mergepath_config_static_selectorELNS0_4arch9wavefront6targetE0EEEvSF_
                                        ; -- End function
	.set _ZN7rocprim17ROCPRIM_400000_NS6detail17trampoline_kernelINS0_14default_configENS1_38merge_sort_block_merge_config_selectorIbNS0_10empty_typeEEEZZNS1_27merge_sort_block_merge_implIS3_PbPS5_jNS1_19radix_merge_compareILb1ELb0EbNS0_19identity_decomposerEEEEE10hipError_tT0_T1_T2_jT3_P12ihipStream_tbPNSt15iterator_traitsISE_E10value_typeEPNSK_ISF_E10value_typeEPSG_NS1_7vsmem_tEENKUlT_SE_SF_SG_E_clIS8_S8_S9_S9_EESD_ST_SE_SF_SG_EUlST_E0_NS1_11comp_targetILNS1_3genE9ELNS1_11target_archE1100ELNS1_3gpuE3ELNS1_3repE0EEENS1_38merge_mergepath_config_static_selectorELNS0_4arch9wavefront6targetE0EEEvSF_.num_vgpr, 0
	.set _ZN7rocprim17ROCPRIM_400000_NS6detail17trampoline_kernelINS0_14default_configENS1_38merge_sort_block_merge_config_selectorIbNS0_10empty_typeEEEZZNS1_27merge_sort_block_merge_implIS3_PbPS5_jNS1_19radix_merge_compareILb1ELb0EbNS0_19identity_decomposerEEEEE10hipError_tT0_T1_T2_jT3_P12ihipStream_tbPNSt15iterator_traitsISE_E10value_typeEPNSK_ISF_E10value_typeEPSG_NS1_7vsmem_tEENKUlT_SE_SF_SG_E_clIS8_S8_S9_S9_EESD_ST_SE_SF_SG_EUlST_E0_NS1_11comp_targetILNS1_3genE9ELNS1_11target_archE1100ELNS1_3gpuE3ELNS1_3repE0EEENS1_38merge_mergepath_config_static_selectorELNS0_4arch9wavefront6targetE0EEEvSF_.num_agpr, 0
	.set _ZN7rocprim17ROCPRIM_400000_NS6detail17trampoline_kernelINS0_14default_configENS1_38merge_sort_block_merge_config_selectorIbNS0_10empty_typeEEEZZNS1_27merge_sort_block_merge_implIS3_PbPS5_jNS1_19radix_merge_compareILb1ELb0EbNS0_19identity_decomposerEEEEE10hipError_tT0_T1_T2_jT3_P12ihipStream_tbPNSt15iterator_traitsISE_E10value_typeEPNSK_ISF_E10value_typeEPSG_NS1_7vsmem_tEENKUlT_SE_SF_SG_E_clIS8_S8_S9_S9_EESD_ST_SE_SF_SG_EUlST_E0_NS1_11comp_targetILNS1_3genE9ELNS1_11target_archE1100ELNS1_3gpuE3ELNS1_3repE0EEENS1_38merge_mergepath_config_static_selectorELNS0_4arch9wavefront6targetE0EEEvSF_.numbered_sgpr, 0
	.set _ZN7rocprim17ROCPRIM_400000_NS6detail17trampoline_kernelINS0_14default_configENS1_38merge_sort_block_merge_config_selectorIbNS0_10empty_typeEEEZZNS1_27merge_sort_block_merge_implIS3_PbPS5_jNS1_19radix_merge_compareILb1ELb0EbNS0_19identity_decomposerEEEEE10hipError_tT0_T1_T2_jT3_P12ihipStream_tbPNSt15iterator_traitsISE_E10value_typeEPNSK_ISF_E10value_typeEPSG_NS1_7vsmem_tEENKUlT_SE_SF_SG_E_clIS8_S8_S9_S9_EESD_ST_SE_SF_SG_EUlST_E0_NS1_11comp_targetILNS1_3genE9ELNS1_11target_archE1100ELNS1_3gpuE3ELNS1_3repE0EEENS1_38merge_mergepath_config_static_selectorELNS0_4arch9wavefront6targetE0EEEvSF_.num_named_barrier, 0
	.set _ZN7rocprim17ROCPRIM_400000_NS6detail17trampoline_kernelINS0_14default_configENS1_38merge_sort_block_merge_config_selectorIbNS0_10empty_typeEEEZZNS1_27merge_sort_block_merge_implIS3_PbPS5_jNS1_19radix_merge_compareILb1ELb0EbNS0_19identity_decomposerEEEEE10hipError_tT0_T1_T2_jT3_P12ihipStream_tbPNSt15iterator_traitsISE_E10value_typeEPNSK_ISF_E10value_typeEPSG_NS1_7vsmem_tEENKUlT_SE_SF_SG_E_clIS8_S8_S9_S9_EESD_ST_SE_SF_SG_EUlST_E0_NS1_11comp_targetILNS1_3genE9ELNS1_11target_archE1100ELNS1_3gpuE3ELNS1_3repE0EEENS1_38merge_mergepath_config_static_selectorELNS0_4arch9wavefront6targetE0EEEvSF_.private_seg_size, 0
	.set _ZN7rocprim17ROCPRIM_400000_NS6detail17trampoline_kernelINS0_14default_configENS1_38merge_sort_block_merge_config_selectorIbNS0_10empty_typeEEEZZNS1_27merge_sort_block_merge_implIS3_PbPS5_jNS1_19radix_merge_compareILb1ELb0EbNS0_19identity_decomposerEEEEE10hipError_tT0_T1_T2_jT3_P12ihipStream_tbPNSt15iterator_traitsISE_E10value_typeEPNSK_ISF_E10value_typeEPSG_NS1_7vsmem_tEENKUlT_SE_SF_SG_E_clIS8_S8_S9_S9_EESD_ST_SE_SF_SG_EUlST_E0_NS1_11comp_targetILNS1_3genE9ELNS1_11target_archE1100ELNS1_3gpuE3ELNS1_3repE0EEENS1_38merge_mergepath_config_static_selectorELNS0_4arch9wavefront6targetE0EEEvSF_.uses_vcc, 0
	.set _ZN7rocprim17ROCPRIM_400000_NS6detail17trampoline_kernelINS0_14default_configENS1_38merge_sort_block_merge_config_selectorIbNS0_10empty_typeEEEZZNS1_27merge_sort_block_merge_implIS3_PbPS5_jNS1_19radix_merge_compareILb1ELb0EbNS0_19identity_decomposerEEEEE10hipError_tT0_T1_T2_jT3_P12ihipStream_tbPNSt15iterator_traitsISE_E10value_typeEPNSK_ISF_E10value_typeEPSG_NS1_7vsmem_tEENKUlT_SE_SF_SG_E_clIS8_S8_S9_S9_EESD_ST_SE_SF_SG_EUlST_E0_NS1_11comp_targetILNS1_3genE9ELNS1_11target_archE1100ELNS1_3gpuE3ELNS1_3repE0EEENS1_38merge_mergepath_config_static_selectorELNS0_4arch9wavefront6targetE0EEEvSF_.uses_flat_scratch, 0
	.set _ZN7rocprim17ROCPRIM_400000_NS6detail17trampoline_kernelINS0_14default_configENS1_38merge_sort_block_merge_config_selectorIbNS0_10empty_typeEEEZZNS1_27merge_sort_block_merge_implIS3_PbPS5_jNS1_19radix_merge_compareILb1ELb0EbNS0_19identity_decomposerEEEEE10hipError_tT0_T1_T2_jT3_P12ihipStream_tbPNSt15iterator_traitsISE_E10value_typeEPNSK_ISF_E10value_typeEPSG_NS1_7vsmem_tEENKUlT_SE_SF_SG_E_clIS8_S8_S9_S9_EESD_ST_SE_SF_SG_EUlST_E0_NS1_11comp_targetILNS1_3genE9ELNS1_11target_archE1100ELNS1_3gpuE3ELNS1_3repE0EEENS1_38merge_mergepath_config_static_selectorELNS0_4arch9wavefront6targetE0EEEvSF_.has_dyn_sized_stack, 0
	.set _ZN7rocprim17ROCPRIM_400000_NS6detail17trampoline_kernelINS0_14default_configENS1_38merge_sort_block_merge_config_selectorIbNS0_10empty_typeEEEZZNS1_27merge_sort_block_merge_implIS3_PbPS5_jNS1_19radix_merge_compareILb1ELb0EbNS0_19identity_decomposerEEEEE10hipError_tT0_T1_T2_jT3_P12ihipStream_tbPNSt15iterator_traitsISE_E10value_typeEPNSK_ISF_E10value_typeEPSG_NS1_7vsmem_tEENKUlT_SE_SF_SG_E_clIS8_S8_S9_S9_EESD_ST_SE_SF_SG_EUlST_E0_NS1_11comp_targetILNS1_3genE9ELNS1_11target_archE1100ELNS1_3gpuE3ELNS1_3repE0EEENS1_38merge_mergepath_config_static_selectorELNS0_4arch9wavefront6targetE0EEEvSF_.has_recursion, 0
	.set _ZN7rocprim17ROCPRIM_400000_NS6detail17trampoline_kernelINS0_14default_configENS1_38merge_sort_block_merge_config_selectorIbNS0_10empty_typeEEEZZNS1_27merge_sort_block_merge_implIS3_PbPS5_jNS1_19radix_merge_compareILb1ELb0EbNS0_19identity_decomposerEEEEE10hipError_tT0_T1_T2_jT3_P12ihipStream_tbPNSt15iterator_traitsISE_E10value_typeEPNSK_ISF_E10value_typeEPSG_NS1_7vsmem_tEENKUlT_SE_SF_SG_E_clIS8_S8_S9_S9_EESD_ST_SE_SF_SG_EUlST_E0_NS1_11comp_targetILNS1_3genE9ELNS1_11target_archE1100ELNS1_3gpuE3ELNS1_3repE0EEENS1_38merge_mergepath_config_static_selectorELNS0_4arch9wavefront6targetE0EEEvSF_.has_indirect_call, 0
	.section	.AMDGPU.csdata,"",@progbits
; Kernel info:
; codeLenInByte = 0
; TotalNumSgprs: 0
; NumVgprs: 0
; ScratchSize: 0
; MemoryBound: 0
; FloatMode: 240
; IeeeMode: 1
; LDSByteSize: 0 bytes/workgroup (compile time only)
; SGPRBlocks: 0
; VGPRBlocks: 0
; NumSGPRsForWavesPerEU: 1
; NumVGPRsForWavesPerEU: 1
; NamedBarCnt: 0
; Occupancy: 16
; WaveLimiterHint : 0
; COMPUTE_PGM_RSRC2:SCRATCH_EN: 0
; COMPUTE_PGM_RSRC2:USER_SGPR: 2
; COMPUTE_PGM_RSRC2:TRAP_HANDLER: 0
; COMPUTE_PGM_RSRC2:TGID_X_EN: 1
; COMPUTE_PGM_RSRC2:TGID_Y_EN: 0
; COMPUTE_PGM_RSRC2:TGID_Z_EN: 0
; COMPUTE_PGM_RSRC2:TIDIG_COMP_CNT: 0
	.section	.text._ZN7rocprim17ROCPRIM_400000_NS6detail17trampoline_kernelINS0_14default_configENS1_38merge_sort_block_merge_config_selectorIbNS0_10empty_typeEEEZZNS1_27merge_sort_block_merge_implIS3_PbPS5_jNS1_19radix_merge_compareILb1ELb0EbNS0_19identity_decomposerEEEEE10hipError_tT0_T1_T2_jT3_P12ihipStream_tbPNSt15iterator_traitsISE_E10value_typeEPNSK_ISF_E10value_typeEPSG_NS1_7vsmem_tEENKUlT_SE_SF_SG_E_clIS8_S8_S9_S9_EESD_ST_SE_SF_SG_EUlST_E0_NS1_11comp_targetILNS1_3genE8ELNS1_11target_archE1030ELNS1_3gpuE2ELNS1_3repE0EEENS1_38merge_mergepath_config_static_selectorELNS0_4arch9wavefront6targetE0EEEvSF_,"axG",@progbits,_ZN7rocprim17ROCPRIM_400000_NS6detail17trampoline_kernelINS0_14default_configENS1_38merge_sort_block_merge_config_selectorIbNS0_10empty_typeEEEZZNS1_27merge_sort_block_merge_implIS3_PbPS5_jNS1_19radix_merge_compareILb1ELb0EbNS0_19identity_decomposerEEEEE10hipError_tT0_T1_T2_jT3_P12ihipStream_tbPNSt15iterator_traitsISE_E10value_typeEPNSK_ISF_E10value_typeEPSG_NS1_7vsmem_tEENKUlT_SE_SF_SG_E_clIS8_S8_S9_S9_EESD_ST_SE_SF_SG_EUlST_E0_NS1_11comp_targetILNS1_3genE8ELNS1_11target_archE1030ELNS1_3gpuE2ELNS1_3repE0EEENS1_38merge_mergepath_config_static_selectorELNS0_4arch9wavefront6targetE0EEEvSF_,comdat
	.protected	_ZN7rocprim17ROCPRIM_400000_NS6detail17trampoline_kernelINS0_14default_configENS1_38merge_sort_block_merge_config_selectorIbNS0_10empty_typeEEEZZNS1_27merge_sort_block_merge_implIS3_PbPS5_jNS1_19radix_merge_compareILb1ELb0EbNS0_19identity_decomposerEEEEE10hipError_tT0_T1_T2_jT3_P12ihipStream_tbPNSt15iterator_traitsISE_E10value_typeEPNSK_ISF_E10value_typeEPSG_NS1_7vsmem_tEENKUlT_SE_SF_SG_E_clIS8_S8_S9_S9_EESD_ST_SE_SF_SG_EUlST_E0_NS1_11comp_targetILNS1_3genE8ELNS1_11target_archE1030ELNS1_3gpuE2ELNS1_3repE0EEENS1_38merge_mergepath_config_static_selectorELNS0_4arch9wavefront6targetE0EEEvSF_ ; -- Begin function _ZN7rocprim17ROCPRIM_400000_NS6detail17trampoline_kernelINS0_14default_configENS1_38merge_sort_block_merge_config_selectorIbNS0_10empty_typeEEEZZNS1_27merge_sort_block_merge_implIS3_PbPS5_jNS1_19radix_merge_compareILb1ELb0EbNS0_19identity_decomposerEEEEE10hipError_tT0_T1_T2_jT3_P12ihipStream_tbPNSt15iterator_traitsISE_E10value_typeEPNSK_ISF_E10value_typeEPSG_NS1_7vsmem_tEENKUlT_SE_SF_SG_E_clIS8_S8_S9_S9_EESD_ST_SE_SF_SG_EUlST_E0_NS1_11comp_targetILNS1_3genE8ELNS1_11target_archE1030ELNS1_3gpuE2ELNS1_3repE0EEENS1_38merge_mergepath_config_static_selectorELNS0_4arch9wavefront6targetE0EEEvSF_
	.globl	_ZN7rocprim17ROCPRIM_400000_NS6detail17trampoline_kernelINS0_14default_configENS1_38merge_sort_block_merge_config_selectorIbNS0_10empty_typeEEEZZNS1_27merge_sort_block_merge_implIS3_PbPS5_jNS1_19radix_merge_compareILb1ELb0EbNS0_19identity_decomposerEEEEE10hipError_tT0_T1_T2_jT3_P12ihipStream_tbPNSt15iterator_traitsISE_E10value_typeEPNSK_ISF_E10value_typeEPSG_NS1_7vsmem_tEENKUlT_SE_SF_SG_E_clIS8_S8_S9_S9_EESD_ST_SE_SF_SG_EUlST_E0_NS1_11comp_targetILNS1_3genE8ELNS1_11target_archE1030ELNS1_3gpuE2ELNS1_3repE0EEENS1_38merge_mergepath_config_static_selectorELNS0_4arch9wavefront6targetE0EEEvSF_
	.p2align	8
	.type	_ZN7rocprim17ROCPRIM_400000_NS6detail17trampoline_kernelINS0_14default_configENS1_38merge_sort_block_merge_config_selectorIbNS0_10empty_typeEEEZZNS1_27merge_sort_block_merge_implIS3_PbPS5_jNS1_19radix_merge_compareILb1ELb0EbNS0_19identity_decomposerEEEEE10hipError_tT0_T1_T2_jT3_P12ihipStream_tbPNSt15iterator_traitsISE_E10value_typeEPNSK_ISF_E10value_typeEPSG_NS1_7vsmem_tEENKUlT_SE_SF_SG_E_clIS8_S8_S9_S9_EESD_ST_SE_SF_SG_EUlST_E0_NS1_11comp_targetILNS1_3genE8ELNS1_11target_archE1030ELNS1_3gpuE2ELNS1_3repE0EEENS1_38merge_mergepath_config_static_selectorELNS0_4arch9wavefront6targetE0EEEvSF_,@function
_ZN7rocprim17ROCPRIM_400000_NS6detail17trampoline_kernelINS0_14default_configENS1_38merge_sort_block_merge_config_selectorIbNS0_10empty_typeEEEZZNS1_27merge_sort_block_merge_implIS3_PbPS5_jNS1_19radix_merge_compareILb1ELb0EbNS0_19identity_decomposerEEEEE10hipError_tT0_T1_T2_jT3_P12ihipStream_tbPNSt15iterator_traitsISE_E10value_typeEPNSK_ISF_E10value_typeEPSG_NS1_7vsmem_tEENKUlT_SE_SF_SG_E_clIS8_S8_S9_S9_EESD_ST_SE_SF_SG_EUlST_E0_NS1_11comp_targetILNS1_3genE8ELNS1_11target_archE1030ELNS1_3gpuE2ELNS1_3repE0EEENS1_38merge_mergepath_config_static_selectorELNS0_4arch9wavefront6targetE0EEEvSF_: ; @_ZN7rocprim17ROCPRIM_400000_NS6detail17trampoline_kernelINS0_14default_configENS1_38merge_sort_block_merge_config_selectorIbNS0_10empty_typeEEEZZNS1_27merge_sort_block_merge_implIS3_PbPS5_jNS1_19radix_merge_compareILb1ELb0EbNS0_19identity_decomposerEEEEE10hipError_tT0_T1_T2_jT3_P12ihipStream_tbPNSt15iterator_traitsISE_E10value_typeEPNSK_ISF_E10value_typeEPSG_NS1_7vsmem_tEENKUlT_SE_SF_SG_E_clIS8_S8_S9_S9_EESD_ST_SE_SF_SG_EUlST_E0_NS1_11comp_targetILNS1_3genE8ELNS1_11target_archE1030ELNS1_3gpuE2ELNS1_3repE0EEENS1_38merge_mergepath_config_static_selectorELNS0_4arch9wavefront6targetE0EEEvSF_
; %bb.0:
	.section	.rodata,"a",@progbits
	.p2align	6, 0x0
	.amdhsa_kernel _ZN7rocprim17ROCPRIM_400000_NS6detail17trampoline_kernelINS0_14default_configENS1_38merge_sort_block_merge_config_selectorIbNS0_10empty_typeEEEZZNS1_27merge_sort_block_merge_implIS3_PbPS5_jNS1_19radix_merge_compareILb1ELb0EbNS0_19identity_decomposerEEEEE10hipError_tT0_T1_T2_jT3_P12ihipStream_tbPNSt15iterator_traitsISE_E10value_typeEPNSK_ISF_E10value_typeEPSG_NS1_7vsmem_tEENKUlT_SE_SF_SG_E_clIS8_S8_S9_S9_EESD_ST_SE_SF_SG_EUlST_E0_NS1_11comp_targetILNS1_3genE8ELNS1_11target_archE1030ELNS1_3gpuE2ELNS1_3repE0EEENS1_38merge_mergepath_config_static_selectorELNS0_4arch9wavefront6targetE0EEEvSF_
		.amdhsa_group_segment_fixed_size 0
		.amdhsa_private_segment_fixed_size 0
		.amdhsa_kernarg_size 64
		.amdhsa_user_sgpr_count 2
		.amdhsa_user_sgpr_dispatch_ptr 0
		.amdhsa_user_sgpr_queue_ptr 0
		.amdhsa_user_sgpr_kernarg_segment_ptr 1
		.amdhsa_user_sgpr_dispatch_id 0
		.amdhsa_user_sgpr_kernarg_preload_length 0
		.amdhsa_user_sgpr_kernarg_preload_offset 0
		.amdhsa_user_sgpr_private_segment_size 0
		.amdhsa_wavefront_size32 1
		.amdhsa_uses_dynamic_stack 0
		.amdhsa_enable_private_segment 0
		.amdhsa_system_sgpr_workgroup_id_x 1
		.amdhsa_system_sgpr_workgroup_id_y 0
		.amdhsa_system_sgpr_workgroup_id_z 0
		.amdhsa_system_sgpr_workgroup_info 0
		.amdhsa_system_vgpr_workitem_id 0
		.amdhsa_next_free_vgpr 1
		.amdhsa_next_free_sgpr 1
		.amdhsa_named_barrier_count 0
		.amdhsa_reserve_vcc 0
		.amdhsa_float_round_mode_32 0
		.amdhsa_float_round_mode_16_64 0
		.amdhsa_float_denorm_mode_32 3
		.amdhsa_float_denorm_mode_16_64 3
		.amdhsa_fp16_overflow 0
		.amdhsa_memory_ordered 1
		.amdhsa_forward_progress 1
		.amdhsa_inst_pref_size 0
		.amdhsa_round_robin_scheduling 0
		.amdhsa_exception_fp_ieee_invalid_op 0
		.amdhsa_exception_fp_denorm_src 0
		.amdhsa_exception_fp_ieee_div_zero 0
		.amdhsa_exception_fp_ieee_overflow 0
		.amdhsa_exception_fp_ieee_underflow 0
		.amdhsa_exception_fp_ieee_inexact 0
		.amdhsa_exception_int_div_zero 0
	.end_amdhsa_kernel
	.section	.text._ZN7rocprim17ROCPRIM_400000_NS6detail17trampoline_kernelINS0_14default_configENS1_38merge_sort_block_merge_config_selectorIbNS0_10empty_typeEEEZZNS1_27merge_sort_block_merge_implIS3_PbPS5_jNS1_19radix_merge_compareILb1ELb0EbNS0_19identity_decomposerEEEEE10hipError_tT0_T1_T2_jT3_P12ihipStream_tbPNSt15iterator_traitsISE_E10value_typeEPNSK_ISF_E10value_typeEPSG_NS1_7vsmem_tEENKUlT_SE_SF_SG_E_clIS8_S8_S9_S9_EESD_ST_SE_SF_SG_EUlST_E0_NS1_11comp_targetILNS1_3genE8ELNS1_11target_archE1030ELNS1_3gpuE2ELNS1_3repE0EEENS1_38merge_mergepath_config_static_selectorELNS0_4arch9wavefront6targetE0EEEvSF_,"axG",@progbits,_ZN7rocprim17ROCPRIM_400000_NS6detail17trampoline_kernelINS0_14default_configENS1_38merge_sort_block_merge_config_selectorIbNS0_10empty_typeEEEZZNS1_27merge_sort_block_merge_implIS3_PbPS5_jNS1_19radix_merge_compareILb1ELb0EbNS0_19identity_decomposerEEEEE10hipError_tT0_T1_T2_jT3_P12ihipStream_tbPNSt15iterator_traitsISE_E10value_typeEPNSK_ISF_E10value_typeEPSG_NS1_7vsmem_tEENKUlT_SE_SF_SG_E_clIS8_S8_S9_S9_EESD_ST_SE_SF_SG_EUlST_E0_NS1_11comp_targetILNS1_3genE8ELNS1_11target_archE1030ELNS1_3gpuE2ELNS1_3repE0EEENS1_38merge_mergepath_config_static_selectorELNS0_4arch9wavefront6targetE0EEEvSF_,comdat
.Lfunc_end1674:
	.size	_ZN7rocprim17ROCPRIM_400000_NS6detail17trampoline_kernelINS0_14default_configENS1_38merge_sort_block_merge_config_selectorIbNS0_10empty_typeEEEZZNS1_27merge_sort_block_merge_implIS3_PbPS5_jNS1_19radix_merge_compareILb1ELb0EbNS0_19identity_decomposerEEEEE10hipError_tT0_T1_T2_jT3_P12ihipStream_tbPNSt15iterator_traitsISE_E10value_typeEPNSK_ISF_E10value_typeEPSG_NS1_7vsmem_tEENKUlT_SE_SF_SG_E_clIS8_S8_S9_S9_EESD_ST_SE_SF_SG_EUlST_E0_NS1_11comp_targetILNS1_3genE8ELNS1_11target_archE1030ELNS1_3gpuE2ELNS1_3repE0EEENS1_38merge_mergepath_config_static_selectorELNS0_4arch9wavefront6targetE0EEEvSF_, .Lfunc_end1674-_ZN7rocprim17ROCPRIM_400000_NS6detail17trampoline_kernelINS0_14default_configENS1_38merge_sort_block_merge_config_selectorIbNS0_10empty_typeEEEZZNS1_27merge_sort_block_merge_implIS3_PbPS5_jNS1_19radix_merge_compareILb1ELb0EbNS0_19identity_decomposerEEEEE10hipError_tT0_T1_T2_jT3_P12ihipStream_tbPNSt15iterator_traitsISE_E10value_typeEPNSK_ISF_E10value_typeEPSG_NS1_7vsmem_tEENKUlT_SE_SF_SG_E_clIS8_S8_S9_S9_EESD_ST_SE_SF_SG_EUlST_E0_NS1_11comp_targetILNS1_3genE8ELNS1_11target_archE1030ELNS1_3gpuE2ELNS1_3repE0EEENS1_38merge_mergepath_config_static_selectorELNS0_4arch9wavefront6targetE0EEEvSF_
                                        ; -- End function
	.set _ZN7rocprim17ROCPRIM_400000_NS6detail17trampoline_kernelINS0_14default_configENS1_38merge_sort_block_merge_config_selectorIbNS0_10empty_typeEEEZZNS1_27merge_sort_block_merge_implIS3_PbPS5_jNS1_19radix_merge_compareILb1ELb0EbNS0_19identity_decomposerEEEEE10hipError_tT0_T1_T2_jT3_P12ihipStream_tbPNSt15iterator_traitsISE_E10value_typeEPNSK_ISF_E10value_typeEPSG_NS1_7vsmem_tEENKUlT_SE_SF_SG_E_clIS8_S8_S9_S9_EESD_ST_SE_SF_SG_EUlST_E0_NS1_11comp_targetILNS1_3genE8ELNS1_11target_archE1030ELNS1_3gpuE2ELNS1_3repE0EEENS1_38merge_mergepath_config_static_selectorELNS0_4arch9wavefront6targetE0EEEvSF_.num_vgpr, 0
	.set _ZN7rocprim17ROCPRIM_400000_NS6detail17trampoline_kernelINS0_14default_configENS1_38merge_sort_block_merge_config_selectorIbNS0_10empty_typeEEEZZNS1_27merge_sort_block_merge_implIS3_PbPS5_jNS1_19radix_merge_compareILb1ELb0EbNS0_19identity_decomposerEEEEE10hipError_tT0_T1_T2_jT3_P12ihipStream_tbPNSt15iterator_traitsISE_E10value_typeEPNSK_ISF_E10value_typeEPSG_NS1_7vsmem_tEENKUlT_SE_SF_SG_E_clIS8_S8_S9_S9_EESD_ST_SE_SF_SG_EUlST_E0_NS1_11comp_targetILNS1_3genE8ELNS1_11target_archE1030ELNS1_3gpuE2ELNS1_3repE0EEENS1_38merge_mergepath_config_static_selectorELNS0_4arch9wavefront6targetE0EEEvSF_.num_agpr, 0
	.set _ZN7rocprim17ROCPRIM_400000_NS6detail17trampoline_kernelINS0_14default_configENS1_38merge_sort_block_merge_config_selectorIbNS0_10empty_typeEEEZZNS1_27merge_sort_block_merge_implIS3_PbPS5_jNS1_19radix_merge_compareILb1ELb0EbNS0_19identity_decomposerEEEEE10hipError_tT0_T1_T2_jT3_P12ihipStream_tbPNSt15iterator_traitsISE_E10value_typeEPNSK_ISF_E10value_typeEPSG_NS1_7vsmem_tEENKUlT_SE_SF_SG_E_clIS8_S8_S9_S9_EESD_ST_SE_SF_SG_EUlST_E0_NS1_11comp_targetILNS1_3genE8ELNS1_11target_archE1030ELNS1_3gpuE2ELNS1_3repE0EEENS1_38merge_mergepath_config_static_selectorELNS0_4arch9wavefront6targetE0EEEvSF_.numbered_sgpr, 0
	.set _ZN7rocprim17ROCPRIM_400000_NS6detail17trampoline_kernelINS0_14default_configENS1_38merge_sort_block_merge_config_selectorIbNS0_10empty_typeEEEZZNS1_27merge_sort_block_merge_implIS3_PbPS5_jNS1_19radix_merge_compareILb1ELb0EbNS0_19identity_decomposerEEEEE10hipError_tT0_T1_T2_jT3_P12ihipStream_tbPNSt15iterator_traitsISE_E10value_typeEPNSK_ISF_E10value_typeEPSG_NS1_7vsmem_tEENKUlT_SE_SF_SG_E_clIS8_S8_S9_S9_EESD_ST_SE_SF_SG_EUlST_E0_NS1_11comp_targetILNS1_3genE8ELNS1_11target_archE1030ELNS1_3gpuE2ELNS1_3repE0EEENS1_38merge_mergepath_config_static_selectorELNS0_4arch9wavefront6targetE0EEEvSF_.num_named_barrier, 0
	.set _ZN7rocprim17ROCPRIM_400000_NS6detail17trampoline_kernelINS0_14default_configENS1_38merge_sort_block_merge_config_selectorIbNS0_10empty_typeEEEZZNS1_27merge_sort_block_merge_implIS3_PbPS5_jNS1_19radix_merge_compareILb1ELb0EbNS0_19identity_decomposerEEEEE10hipError_tT0_T1_T2_jT3_P12ihipStream_tbPNSt15iterator_traitsISE_E10value_typeEPNSK_ISF_E10value_typeEPSG_NS1_7vsmem_tEENKUlT_SE_SF_SG_E_clIS8_S8_S9_S9_EESD_ST_SE_SF_SG_EUlST_E0_NS1_11comp_targetILNS1_3genE8ELNS1_11target_archE1030ELNS1_3gpuE2ELNS1_3repE0EEENS1_38merge_mergepath_config_static_selectorELNS0_4arch9wavefront6targetE0EEEvSF_.private_seg_size, 0
	.set _ZN7rocprim17ROCPRIM_400000_NS6detail17trampoline_kernelINS0_14default_configENS1_38merge_sort_block_merge_config_selectorIbNS0_10empty_typeEEEZZNS1_27merge_sort_block_merge_implIS3_PbPS5_jNS1_19radix_merge_compareILb1ELb0EbNS0_19identity_decomposerEEEEE10hipError_tT0_T1_T2_jT3_P12ihipStream_tbPNSt15iterator_traitsISE_E10value_typeEPNSK_ISF_E10value_typeEPSG_NS1_7vsmem_tEENKUlT_SE_SF_SG_E_clIS8_S8_S9_S9_EESD_ST_SE_SF_SG_EUlST_E0_NS1_11comp_targetILNS1_3genE8ELNS1_11target_archE1030ELNS1_3gpuE2ELNS1_3repE0EEENS1_38merge_mergepath_config_static_selectorELNS0_4arch9wavefront6targetE0EEEvSF_.uses_vcc, 0
	.set _ZN7rocprim17ROCPRIM_400000_NS6detail17trampoline_kernelINS0_14default_configENS1_38merge_sort_block_merge_config_selectorIbNS0_10empty_typeEEEZZNS1_27merge_sort_block_merge_implIS3_PbPS5_jNS1_19radix_merge_compareILb1ELb0EbNS0_19identity_decomposerEEEEE10hipError_tT0_T1_T2_jT3_P12ihipStream_tbPNSt15iterator_traitsISE_E10value_typeEPNSK_ISF_E10value_typeEPSG_NS1_7vsmem_tEENKUlT_SE_SF_SG_E_clIS8_S8_S9_S9_EESD_ST_SE_SF_SG_EUlST_E0_NS1_11comp_targetILNS1_3genE8ELNS1_11target_archE1030ELNS1_3gpuE2ELNS1_3repE0EEENS1_38merge_mergepath_config_static_selectorELNS0_4arch9wavefront6targetE0EEEvSF_.uses_flat_scratch, 0
	.set _ZN7rocprim17ROCPRIM_400000_NS6detail17trampoline_kernelINS0_14default_configENS1_38merge_sort_block_merge_config_selectorIbNS0_10empty_typeEEEZZNS1_27merge_sort_block_merge_implIS3_PbPS5_jNS1_19radix_merge_compareILb1ELb0EbNS0_19identity_decomposerEEEEE10hipError_tT0_T1_T2_jT3_P12ihipStream_tbPNSt15iterator_traitsISE_E10value_typeEPNSK_ISF_E10value_typeEPSG_NS1_7vsmem_tEENKUlT_SE_SF_SG_E_clIS8_S8_S9_S9_EESD_ST_SE_SF_SG_EUlST_E0_NS1_11comp_targetILNS1_3genE8ELNS1_11target_archE1030ELNS1_3gpuE2ELNS1_3repE0EEENS1_38merge_mergepath_config_static_selectorELNS0_4arch9wavefront6targetE0EEEvSF_.has_dyn_sized_stack, 0
	.set _ZN7rocprim17ROCPRIM_400000_NS6detail17trampoline_kernelINS0_14default_configENS1_38merge_sort_block_merge_config_selectorIbNS0_10empty_typeEEEZZNS1_27merge_sort_block_merge_implIS3_PbPS5_jNS1_19radix_merge_compareILb1ELb0EbNS0_19identity_decomposerEEEEE10hipError_tT0_T1_T2_jT3_P12ihipStream_tbPNSt15iterator_traitsISE_E10value_typeEPNSK_ISF_E10value_typeEPSG_NS1_7vsmem_tEENKUlT_SE_SF_SG_E_clIS8_S8_S9_S9_EESD_ST_SE_SF_SG_EUlST_E0_NS1_11comp_targetILNS1_3genE8ELNS1_11target_archE1030ELNS1_3gpuE2ELNS1_3repE0EEENS1_38merge_mergepath_config_static_selectorELNS0_4arch9wavefront6targetE0EEEvSF_.has_recursion, 0
	.set _ZN7rocprim17ROCPRIM_400000_NS6detail17trampoline_kernelINS0_14default_configENS1_38merge_sort_block_merge_config_selectorIbNS0_10empty_typeEEEZZNS1_27merge_sort_block_merge_implIS3_PbPS5_jNS1_19radix_merge_compareILb1ELb0EbNS0_19identity_decomposerEEEEE10hipError_tT0_T1_T2_jT3_P12ihipStream_tbPNSt15iterator_traitsISE_E10value_typeEPNSK_ISF_E10value_typeEPSG_NS1_7vsmem_tEENKUlT_SE_SF_SG_E_clIS8_S8_S9_S9_EESD_ST_SE_SF_SG_EUlST_E0_NS1_11comp_targetILNS1_3genE8ELNS1_11target_archE1030ELNS1_3gpuE2ELNS1_3repE0EEENS1_38merge_mergepath_config_static_selectorELNS0_4arch9wavefront6targetE0EEEvSF_.has_indirect_call, 0
	.section	.AMDGPU.csdata,"",@progbits
; Kernel info:
; codeLenInByte = 0
; TotalNumSgprs: 0
; NumVgprs: 0
; ScratchSize: 0
; MemoryBound: 0
; FloatMode: 240
; IeeeMode: 1
; LDSByteSize: 0 bytes/workgroup (compile time only)
; SGPRBlocks: 0
; VGPRBlocks: 0
; NumSGPRsForWavesPerEU: 1
; NumVGPRsForWavesPerEU: 1
; NamedBarCnt: 0
; Occupancy: 16
; WaveLimiterHint : 0
; COMPUTE_PGM_RSRC2:SCRATCH_EN: 0
; COMPUTE_PGM_RSRC2:USER_SGPR: 2
; COMPUTE_PGM_RSRC2:TRAP_HANDLER: 0
; COMPUTE_PGM_RSRC2:TGID_X_EN: 1
; COMPUTE_PGM_RSRC2:TGID_Y_EN: 0
; COMPUTE_PGM_RSRC2:TGID_Z_EN: 0
; COMPUTE_PGM_RSRC2:TIDIG_COMP_CNT: 0
	.section	.text._ZN7rocprim17ROCPRIM_400000_NS6detail17trampoline_kernelINS0_14default_configENS1_38merge_sort_block_merge_config_selectorIbNS0_10empty_typeEEEZZNS1_27merge_sort_block_merge_implIS3_PbPS5_jNS1_19radix_merge_compareILb1ELb0EbNS0_19identity_decomposerEEEEE10hipError_tT0_T1_T2_jT3_P12ihipStream_tbPNSt15iterator_traitsISE_E10value_typeEPNSK_ISF_E10value_typeEPSG_NS1_7vsmem_tEENKUlT_SE_SF_SG_E_clIS8_S8_S9_S9_EESD_ST_SE_SF_SG_EUlST_E1_NS1_11comp_targetILNS1_3genE0ELNS1_11target_archE4294967295ELNS1_3gpuE0ELNS1_3repE0EEENS1_36merge_oddeven_config_static_selectorELNS0_4arch9wavefront6targetE0EEEvSF_,"axG",@progbits,_ZN7rocprim17ROCPRIM_400000_NS6detail17trampoline_kernelINS0_14default_configENS1_38merge_sort_block_merge_config_selectorIbNS0_10empty_typeEEEZZNS1_27merge_sort_block_merge_implIS3_PbPS5_jNS1_19radix_merge_compareILb1ELb0EbNS0_19identity_decomposerEEEEE10hipError_tT0_T1_T2_jT3_P12ihipStream_tbPNSt15iterator_traitsISE_E10value_typeEPNSK_ISF_E10value_typeEPSG_NS1_7vsmem_tEENKUlT_SE_SF_SG_E_clIS8_S8_S9_S9_EESD_ST_SE_SF_SG_EUlST_E1_NS1_11comp_targetILNS1_3genE0ELNS1_11target_archE4294967295ELNS1_3gpuE0ELNS1_3repE0EEENS1_36merge_oddeven_config_static_selectorELNS0_4arch9wavefront6targetE0EEEvSF_,comdat
	.protected	_ZN7rocprim17ROCPRIM_400000_NS6detail17trampoline_kernelINS0_14default_configENS1_38merge_sort_block_merge_config_selectorIbNS0_10empty_typeEEEZZNS1_27merge_sort_block_merge_implIS3_PbPS5_jNS1_19radix_merge_compareILb1ELb0EbNS0_19identity_decomposerEEEEE10hipError_tT0_T1_T2_jT3_P12ihipStream_tbPNSt15iterator_traitsISE_E10value_typeEPNSK_ISF_E10value_typeEPSG_NS1_7vsmem_tEENKUlT_SE_SF_SG_E_clIS8_S8_S9_S9_EESD_ST_SE_SF_SG_EUlST_E1_NS1_11comp_targetILNS1_3genE0ELNS1_11target_archE4294967295ELNS1_3gpuE0ELNS1_3repE0EEENS1_36merge_oddeven_config_static_selectorELNS0_4arch9wavefront6targetE0EEEvSF_ ; -- Begin function _ZN7rocprim17ROCPRIM_400000_NS6detail17trampoline_kernelINS0_14default_configENS1_38merge_sort_block_merge_config_selectorIbNS0_10empty_typeEEEZZNS1_27merge_sort_block_merge_implIS3_PbPS5_jNS1_19radix_merge_compareILb1ELb0EbNS0_19identity_decomposerEEEEE10hipError_tT0_T1_T2_jT3_P12ihipStream_tbPNSt15iterator_traitsISE_E10value_typeEPNSK_ISF_E10value_typeEPSG_NS1_7vsmem_tEENKUlT_SE_SF_SG_E_clIS8_S8_S9_S9_EESD_ST_SE_SF_SG_EUlST_E1_NS1_11comp_targetILNS1_3genE0ELNS1_11target_archE4294967295ELNS1_3gpuE0ELNS1_3repE0EEENS1_36merge_oddeven_config_static_selectorELNS0_4arch9wavefront6targetE0EEEvSF_
	.globl	_ZN7rocprim17ROCPRIM_400000_NS6detail17trampoline_kernelINS0_14default_configENS1_38merge_sort_block_merge_config_selectorIbNS0_10empty_typeEEEZZNS1_27merge_sort_block_merge_implIS3_PbPS5_jNS1_19radix_merge_compareILb1ELb0EbNS0_19identity_decomposerEEEEE10hipError_tT0_T1_T2_jT3_P12ihipStream_tbPNSt15iterator_traitsISE_E10value_typeEPNSK_ISF_E10value_typeEPSG_NS1_7vsmem_tEENKUlT_SE_SF_SG_E_clIS8_S8_S9_S9_EESD_ST_SE_SF_SG_EUlST_E1_NS1_11comp_targetILNS1_3genE0ELNS1_11target_archE4294967295ELNS1_3gpuE0ELNS1_3repE0EEENS1_36merge_oddeven_config_static_selectorELNS0_4arch9wavefront6targetE0EEEvSF_
	.p2align	8
	.type	_ZN7rocprim17ROCPRIM_400000_NS6detail17trampoline_kernelINS0_14default_configENS1_38merge_sort_block_merge_config_selectorIbNS0_10empty_typeEEEZZNS1_27merge_sort_block_merge_implIS3_PbPS5_jNS1_19radix_merge_compareILb1ELb0EbNS0_19identity_decomposerEEEEE10hipError_tT0_T1_T2_jT3_P12ihipStream_tbPNSt15iterator_traitsISE_E10value_typeEPNSK_ISF_E10value_typeEPSG_NS1_7vsmem_tEENKUlT_SE_SF_SG_E_clIS8_S8_S9_S9_EESD_ST_SE_SF_SG_EUlST_E1_NS1_11comp_targetILNS1_3genE0ELNS1_11target_archE4294967295ELNS1_3gpuE0ELNS1_3repE0EEENS1_36merge_oddeven_config_static_selectorELNS0_4arch9wavefront6targetE0EEEvSF_,@function
_ZN7rocprim17ROCPRIM_400000_NS6detail17trampoline_kernelINS0_14default_configENS1_38merge_sort_block_merge_config_selectorIbNS0_10empty_typeEEEZZNS1_27merge_sort_block_merge_implIS3_PbPS5_jNS1_19radix_merge_compareILb1ELb0EbNS0_19identity_decomposerEEEEE10hipError_tT0_T1_T2_jT3_P12ihipStream_tbPNSt15iterator_traitsISE_E10value_typeEPNSK_ISF_E10value_typeEPSG_NS1_7vsmem_tEENKUlT_SE_SF_SG_E_clIS8_S8_S9_S9_EESD_ST_SE_SF_SG_EUlST_E1_NS1_11comp_targetILNS1_3genE0ELNS1_11target_archE4294967295ELNS1_3gpuE0ELNS1_3repE0EEENS1_36merge_oddeven_config_static_selectorELNS0_4arch9wavefront6targetE0EEEvSF_: ; @_ZN7rocprim17ROCPRIM_400000_NS6detail17trampoline_kernelINS0_14default_configENS1_38merge_sort_block_merge_config_selectorIbNS0_10empty_typeEEEZZNS1_27merge_sort_block_merge_implIS3_PbPS5_jNS1_19radix_merge_compareILb1ELb0EbNS0_19identity_decomposerEEEEE10hipError_tT0_T1_T2_jT3_P12ihipStream_tbPNSt15iterator_traitsISE_E10value_typeEPNSK_ISF_E10value_typeEPSG_NS1_7vsmem_tEENKUlT_SE_SF_SG_E_clIS8_S8_S9_S9_EESD_ST_SE_SF_SG_EUlST_E1_NS1_11comp_targetILNS1_3genE0ELNS1_11target_archE4294967295ELNS1_3gpuE0ELNS1_3repE0EEENS1_36merge_oddeven_config_static_selectorELNS0_4arch9wavefront6targetE0EEEvSF_
; %bb.0:
	s_load_b32 s10, s[0:1], 0x20
	s_bfe_u32 s2, ttmp6, 0x4000c
	s_and_b32 s3, ttmp6, 15
	s_add_co_i32 s2, s2, 1
	s_getreg_b32 s4, hwreg(HW_REG_IB_STS2, 6, 4)
	s_mul_i32 s2, ttmp9, s2
	s_mov_b32 s9, 0
	s_add_co_i32 s3, s3, s2
	s_cmp_eq_u32 s4, 0
	s_cselect_b32 s13, ttmp9, s3
	s_wait_kmcnt 0x0
	s_lshr_b32 s2, s10, 8
	s_delay_alu instid0(SALU_CYCLE_1) | instskip(SKIP_4) | instid1(SALU_CYCLE_1)
	s_cmp_lg_u32 s13, s2
	s_cselect_b32 s3, -1, 0
	s_cmp_eq_u32 s13, s2
	s_cselect_b32 s11, -1, 0
	s_lshl_b32 s8, s13, 8
	s_sub_co_i32 s2, s10, s8
	s_delay_alu instid0(SALU_CYCLE_1) | instskip(SKIP_1) | instid1(SALU_CYCLE_1)
	v_cmp_gt_u32_e64 s2, s2, v0
	s_or_b32 s4, s3, s2
	s_and_saveexec_b32 s5, s4
	s_cbranch_execz .LBB1675_20
; %bb.1:
	s_clause 0x1
	s_load_b128 s[4:7], s[0:1], 0x0
	s_load_b32 s12, s[0:1], 0x24
	v_add_nc_u32_e32 v2, s8, v0
	s_wait_kmcnt 0x0
	s_add_nc_u64 s[0:1], s[4:5], s[8:9]
	global_load_u8 v1, v0, s[0:1]
	s_wait_xcnt 0x0
	s_lshr_b32 s0, s12, 8
	s_delay_alu instid0(SALU_CYCLE_1) | instskip(NEXT) | instid1(SALU_CYCLE_1)
	s_sub_co_i32 s1, 0, s0
	s_and_b32 s1, s13, s1
	s_delay_alu instid0(SALU_CYCLE_1) | instskip(SKIP_4) | instid1(SALU_CYCLE_1)
	s_and_b32 s0, s1, s0
	s_lshl_b32 s13, s1, 8
	s_sub_co_i32 s1, 0, s12
	s_cmp_eq_u32 s0, 0
	s_cselect_b32 s0, -1, 0
	s_and_b32 s14, s0, exec_lo
	s_cselect_b32 s1, s12, s1
	s_delay_alu instid0(SALU_CYCLE_1) | instskip(NEXT) | instid1(SALU_CYCLE_1)
	s_add_co_i32 s1, s1, s13
	s_cmp_gt_u32 s10, s1
	s_cbranch_scc1 .LBB1675_3
; %bb.2:
	v_cmp_gt_u32_e32 vcc_lo, s10, v2
	s_or_b32 s8, vcc_lo, s3
	s_delay_alu instid0(SALU_CYCLE_1)
	s_and_b32 s9, s8, exec_lo
	s_cbranch_execz .LBB1675_4
	s_branch .LBB1675_18
.LBB1675_3:
.LBB1675_4:
	s_min_u32 s3, s1, s10
	s_and_b32 vcc_lo, exec_lo, s11
	s_add_co_i32 s8, s13, s3
	s_add_co_i32 s12, s3, s12
	v_subrev_nc_u32_e32 v0, s8, v2
	s_min_u32 s8, s13, s3
	s_delay_alu instid0(VALU_DEP_1) | instid1(SALU_CYCLE_1)
	v_add_nc_u32_e32 v0, s8, v0
	s_min_u32 s8, s12, s10
	s_cbranch_vccz .LBB1675_12
; %bb.5:
                                        ; implicit-def: $vgpr2
	s_and_saveexec_b32 s10, s2
	s_cbranch_execz .LBB1675_11
; %bb.6:
	v_mov_b32_e32 v2, s3
	s_cmp_ge_u32 s1, s8
	s_cbranch_scc1 .LBB1675_10
; %bb.7:
	v_dual_mov_b32 v3, s8 :: v_dual_mov_b32 v2, s3
	s_wait_loadcnt 0x0
	v_and_b32_e32 v4, 0xff, v1
	s_mov_b32 s2, 0
.LBB1675_8:                             ; =>This Inner Loop Header: Depth=1
	s_delay_alu instid0(VALU_DEP_2) | instskip(NEXT) | instid1(VALU_DEP_1)
	v_add_nc_u32_e32 v5, v2, v3
	v_lshrrev_b32_e32 v5, 1, v5
	global_load_u8 v6, v5, s[4:5]
	s_wait_loadcnt 0x0
	v_cmp_gt_u16_e32 vcc_lo, v6, v4
	v_cndmask_b32_e64 v7, 0, 1, vcc_lo
	v_cmp_le_u16_e32 vcc_lo, v4, v6
	v_cndmask_b32_e64 v6, 0, 1, vcc_lo
	s_delay_alu instid0(VALU_DEP_1) | instskip(NEXT) | instid1(VALU_DEP_1)
	v_cndmask_b32_e64 v6, v6, v7, s0
	v_and_b32_e32 v6, 1, v6
	s_delay_alu instid0(VALU_DEP_1) | instskip(SKIP_1) | instid1(VALU_DEP_1)
	v_cmp_eq_u32_e32 vcc_lo, 1, v6
	v_dual_add_nc_u32 v7, 1, v5 :: v_dual_cndmask_b32 v3, v5, v3, vcc_lo
	v_cndmask_b32_e32 v2, v2, v7, vcc_lo
	s_delay_alu instid0(VALU_DEP_1) | instskip(SKIP_1) | instid1(SALU_CYCLE_1)
	v_cmp_ge_u32_e32 vcc_lo, v2, v3
	s_or_b32 s2, vcc_lo, s2
	s_and_not1_b32 exec_lo, exec_lo, s2
	s_cbranch_execnz .LBB1675_8
; %bb.9:
	s_or_b32 exec_lo, exec_lo, s2
.LBB1675_10:
	s_delay_alu instid0(VALU_DEP_1)
	v_add_nc_u32_e32 v2, v2, v0
	s_or_b32 s9, s9, exec_lo
.LBB1675_11:
	s_or_b32 exec_lo, exec_lo, s10
	s_branch .LBB1675_18
.LBB1675_12:
                                        ; implicit-def: $vgpr2
	s_cbranch_execz .LBB1675_18
; %bb.13:
	v_mov_b32_e32 v2, s3
	s_cmp_ge_u32 s1, s8
	s_cbranch_scc1 .LBB1675_17
; %bb.14:
	v_dual_mov_b32 v3, s8 :: v_dual_mov_b32 v2, s3
	s_wait_loadcnt 0x0
	v_and_b32_e32 v4, 0xff, v1
	s_mov_b32 s1, 0
.LBB1675_15:                            ; =>This Inner Loop Header: Depth=1
	s_delay_alu instid0(VALU_DEP_2) | instskip(NEXT) | instid1(VALU_DEP_1)
	v_add_nc_u32_e32 v5, v2, v3
	v_lshrrev_b32_e32 v5, 1, v5
	global_load_u8 v6, v5, s[4:5]
	s_wait_loadcnt 0x0
	v_cmp_gt_u16_e32 vcc_lo, v6, v4
	v_cndmask_b32_e64 v7, 0, 1, vcc_lo
	v_cmp_le_u16_e32 vcc_lo, v4, v6
	v_cndmask_b32_e64 v6, 0, 1, vcc_lo
	s_delay_alu instid0(VALU_DEP_1) | instskip(NEXT) | instid1(VALU_DEP_1)
	v_cndmask_b32_e64 v6, v6, v7, s0
	v_and_b32_e32 v6, 1, v6
	s_delay_alu instid0(VALU_DEP_1) | instskip(SKIP_1) | instid1(VALU_DEP_1)
	v_cmp_eq_u32_e32 vcc_lo, 1, v6
	v_dual_add_nc_u32 v7, 1, v5 :: v_dual_cndmask_b32 v3, v5, v3, vcc_lo
	v_cndmask_b32_e32 v2, v2, v7, vcc_lo
	s_delay_alu instid0(VALU_DEP_1) | instskip(SKIP_1) | instid1(SALU_CYCLE_1)
	v_cmp_ge_u32_e32 vcc_lo, v2, v3
	s_or_b32 s1, vcc_lo, s1
	s_and_not1_b32 exec_lo, exec_lo, s1
	s_cbranch_execnz .LBB1675_15
; %bb.16:
	s_or_b32 exec_lo, exec_lo, s1
.LBB1675_17:
	s_delay_alu instid0(VALU_DEP_1)
	v_add_nc_u32_e32 v2, v2, v0
	s_mov_b32 s9, -1
.LBB1675_18:
	s_delay_alu instid0(SALU_CYCLE_1)
	s_and_b32 exec_lo, exec_lo, s9
	s_cbranch_execz .LBB1675_20
; %bb.19:
	s_wait_loadcnt 0x0
	global_store_b8 v2, v1, s[6:7]
.LBB1675_20:
	s_endpgm
	.section	.rodata,"a",@progbits
	.p2align	6, 0x0
	.amdhsa_kernel _ZN7rocprim17ROCPRIM_400000_NS6detail17trampoline_kernelINS0_14default_configENS1_38merge_sort_block_merge_config_selectorIbNS0_10empty_typeEEEZZNS1_27merge_sort_block_merge_implIS3_PbPS5_jNS1_19radix_merge_compareILb1ELb0EbNS0_19identity_decomposerEEEEE10hipError_tT0_T1_T2_jT3_P12ihipStream_tbPNSt15iterator_traitsISE_E10value_typeEPNSK_ISF_E10value_typeEPSG_NS1_7vsmem_tEENKUlT_SE_SF_SG_E_clIS8_S8_S9_S9_EESD_ST_SE_SF_SG_EUlST_E1_NS1_11comp_targetILNS1_3genE0ELNS1_11target_archE4294967295ELNS1_3gpuE0ELNS1_3repE0EEENS1_36merge_oddeven_config_static_selectorELNS0_4arch9wavefront6targetE0EEEvSF_
		.amdhsa_group_segment_fixed_size 0
		.amdhsa_private_segment_fixed_size 0
		.amdhsa_kernarg_size 48
		.amdhsa_user_sgpr_count 2
		.amdhsa_user_sgpr_dispatch_ptr 0
		.amdhsa_user_sgpr_queue_ptr 0
		.amdhsa_user_sgpr_kernarg_segment_ptr 1
		.amdhsa_user_sgpr_dispatch_id 0
		.amdhsa_user_sgpr_kernarg_preload_length 0
		.amdhsa_user_sgpr_kernarg_preload_offset 0
		.amdhsa_user_sgpr_private_segment_size 0
		.amdhsa_wavefront_size32 1
		.amdhsa_uses_dynamic_stack 0
		.amdhsa_enable_private_segment 0
		.amdhsa_system_sgpr_workgroup_id_x 1
		.amdhsa_system_sgpr_workgroup_id_y 0
		.amdhsa_system_sgpr_workgroup_id_z 0
		.amdhsa_system_sgpr_workgroup_info 0
		.amdhsa_system_vgpr_workitem_id 0
		.amdhsa_next_free_vgpr 8
		.amdhsa_next_free_sgpr 15
		.amdhsa_named_barrier_count 0
		.amdhsa_reserve_vcc 1
		.amdhsa_float_round_mode_32 0
		.amdhsa_float_round_mode_16_64 0
		.amdhsa_float_denorm_mode_32 3
		.amdhsa_float_denorm_mode_16_64 3
		.amdhsa_fp16_overflow 0
		.amdhsa_memory_ordered 1
		.amdhsa_forward_progress 1
		.amdhsa_inst_pref_size 6
		.amdhsa_round_robin_scheduling 0
		.amdhsa_exception_fp_ieee_invalid_op 0
		.amdhsa_exception_fp_denorm_src 0
		.amdhsa_exception_fp_ieee_div_zero 0
		.amdhsa_exception_fp_ieee_overflow 0
		.amdhsa_exception_fp_ieee_underflow 0
		.amdhsa_exception_fp_ieee_inexact 0
		.amdhsa_exception_int_div_zero 0
	.end_amdhsa_kernel
	.section	.text._ZN7rocprim17ROCPRIM_400000_NS6detail17trampoline_kernelINS0_14default_configENS1_38merge_sort_block_merge_config_selectorIbNS0_10empty_typeEEEZZNS1_27merge_sort_block_merge_implIS3_PbPS5_jNS1_19radix_merge_compareILb1ELb0EbNS0_19identity_decomposerEEEEE10hipError_tT0_T1_T2_jT3_P12ihipStream_tbPNSt15iterator_traitsISE_E10value_typeEPNSK_ISF_E10value_typeEPSG_NS1_7vsmem_tEENKUlT_SE_SF_SG_E_clIS8_S8_S9_S9_EESD_ST_SE_SF_SG_EUlST_E1_NS1_11comp_targetILNS1_3genE0ELNS1_11target_archE4294967295ELNS1_3gpuE0ELNS1_3repE0EEENS1_36merge_oddeven_config_static_selectorELNS0_4arch9wavefront6targetE0EEEvSF_,"axG",@progbits,_ZN7rocprim17ROCPRIM_400000_NS6detail17trampoline_kernelINS0_14default_configENS1_38merge_sort_block_merge_config_selectorIbNS0_10empty_typeEEEZZNS1_27merge_sort_block_merge_implIS3_PbPS5_jNS1_19radix_merge_compareILb1ELb0EbNS0_19identity_decomposerEEEEE10hipError_tT0_T1_T2_jT3_P12ihipStream_tbPNSt15iterator_traitsISE_E10value_typeEPNSK_ISF_E10value_typeEPSG_NS1_7vsmem_tEENKUlT_SE_SF_SG_E_clIS8_S8_S9_S9_EESD_ST_SE_SF_SG_EUlST_E1_NS1_11comp_targetILNS1_3genE0ELNS1_11target_archE4294967295ELNS1_3gpuE0ELNS1_3repE0EEENS1_36merge_oddeven_config_static_selectorELNS0_4arch9wavefront6targetE0EEEvSF_,comdat
.Lfunc_end1675:
	.size	_ZN7rocprim17ROCPRIM_400000_NS6detail17trampoline_kernelINS0_14default_configENS1_38merge_sort_block_merge_config_selectorIbNS0_10empty_typeEEEZZNS1_27merge_sort_block_merge_implIS3_PbPS5_jNS1_19radix_merge_compareILb1ELb0EbNS0_19identity_decomposerEEEEE10hipError_tT0_T1_T2_jT3_P12ihipStream_tbPNSt15iterator_traitsISE_E10value_typeEPNSK_ISF_E10value_typeEPSG_NS1_7vsmem_tEENKUlT_SE_SF_SG_E_clIS8_S8_S9_S9_EESD_ST_SE_SF_SG_EUlST_E1_NS1_11comp_targetILNS1_3genE0ELNS1_11target_archE4294967295ELNS1_3gpuE0ELNS1_3repE0EEENS1_36merge_oddeven_config_static_selectorELNS0_4arch9wavefront6targetE0EEEvSF_, .Lfunc_end1675-_ZN7rocprim17ROCPRIM_400000_NS6detail17trampoline_kernelINS0_14default_configENS1_38merge_sort_block_merge_config_selectorIbNS0_10empty_typeEEEZZNS1_27merge_sort_block_merge_implIS3_PbPS5_jNS1_19radix_merge_compareILb1ELb0EbNS0_19identity_decomposerEEEEE10hipError_tT0_T1_T2_jT3_P12ihipStream_tbPNSt15iterator_traitsISE_E10value_typeEPNSK_ISF_E10value_typeEPSG_NS1_7vsmem_tEENKUlT_SE_SF_SG_E_clIS8_S8_S9_S9_EESD_ST_SE_SF_SG_EUlST_E1_NS1_11comp_targetILNS1_3genE0ELNS1_11target_archE4294967295ELNS1_3gpuE0ELNS1_3repE0EEENS1_36merge_oddeven_config_static_selectorELNS0_4arch9wavefront6targetE0EEEvSF_
                                        ; -- End function
	.set _ZN7rocprim17ROCPRIM_400000_NS6detail17trampoline_kernelINS0_14default_configENS1_38merge_sort_block_merge_config_selectorIbNS0_10empty_typeEEEZZNS1_27merge_sort_block_merge_implIS3_PbPS5_jNS1_19radix_merge_compareILb1ELb0EbNS0_19identity_decomposerEEEEE10hipError_tT0_T1_T2_jT3_P12ihipStream_tbPNSt15iterator_traitsISE_E10value_typeEPNSK_ISF_E10value_typeEPSG_NS1_7vsmem_tEENKUlT_SE_SF_SG_E_clIS8_S8_S9_S9_EESD_ST_SE_SF_SG_EUlST_E1_NS1_11comp_targetILNS1_3genE0ELNS1_11target_archE4294967295ELNS1_3gpuE0ELNS1_3repE0EEENS1_36merge_oddeven_config_static_selectorELNS0_4arch9wavefront6targetE0EEEvSF_.num_vgpr, 8
	.set _ZN7rocprim17ROCPRIM_400000_NS6detail17trampoline_kernelINS0_14default_configENS1_38merge_sort_block_merge_config_selectorIbNS0_10empty_typeEEEZZNS1_27merge_sort_block_merge_implIS3_PbPS5_jNS1_19radix_merge_compareILb1ELb0EbNS0_19identity_decomposerEEEEE10hipError_tT0_T1_T2_jT3_P12ihipStream_tbPNSt15iterator_traitsISE_E10value_typeEPNSK_ISF_E10value_typeEPSG_NS1_7vsmem_tEENKUlT_SE_SF_SG_E_clIS8_S8_S9_S9_EESD_ST_SE_SF_SG_EUlST_E1_NS1_11comp_targetILNS1_3genE0ELNS1_11target_archE4294967295ELNS1_3gpuE0ELNS1_3repE0EEENS1_36merge_oddeven_config_static_selectorELNS0_4arch9wavefront6targetE0EEEvSF_.num_agpr, 0
	.set _ZN7rocprim17ROCPRIM_400000_NS6detail17trampoline_kernelINS0_14default_configENS1_38merge_sort_block_merge_config_selectorIbNS0_10empty_typeEEEZZNS1_27merge_sort_block_merge_implIS3_PbPS5_jNS1_19radix_merge_compareILb1ELb0EbNS0_19identity_decomposerEEEEE10hipError_tT0_T1_T2_jT3_P12ihipStream_tbPNSt15iterator_traitsISE_E10value_typeEPNSK_ISF_E10value_typeEPSG_NS1_7vsmem_tEENKUlT_SE_SF_SG_E_clIS8_S8_S9_S9_EESD_ST_SE_SF_SG_EUlST_E1_NS1_11comp_targetILNS1_3genE0ELNS1_11target_archE4294967295ELNS1_3gpuE0ELNS1_3repE0EEENS1_36merge_oddeven_config_static_selectorELNS0_4arch9wavefront6targetE0EEEvSF_.numbered_sgpr, 15
	.set _ZN7rocprim17ROCPRIM_400000_NS6detail17trampoline_kernelINS0_14default_configENS1_38merge_sort_block_merge_config_selectorIbNS0_10empty_typeEEEZZNS1_27merge_sort_block_merge_implIS3_PbPS5_jNS1_19radix_merge_compareILb1ELb0EbNS0_19identity_decomposerEEEEE10hipError_tT0_T1_T2_jT3_P12ihipStream_tbPNSt15iterator_traitsISE_E10value_typeEPNSK_ISF_E10value_typeEPSG_NS1_7vsmem_tEENKUlT_SE_SF_SG_E_clIS8_S8_S9_S9_EESD_ST_SE_SF_SG_EUlST_E1_NS1_11comp_targetILNS1_3genE0ELNS1_11target_archE4294967295ELNS1_3gpuE0ELNS1_3repE0EEENS1_36merge_oddeven_config_static_selectorELNS0_4arch9wavefront6targetE0EEEvSF_.num_named_barrier, 0
	.set _ZN7rocprim17ROCPRIM_400000_NS6detail17trampoline_kernelINS0_14default_configENS1_38merge_sort_block_merge_config_selectorIbNS0_10empty_typeEEEZZNS1_27merge_sort_block_merge_implIS3_PbPS5_jNS1_19radix_merge_compareILb1ELb0EbNS0_19identity_decomposerEEEEE10hipError_tT0_T1_T2_jT3_P12ihipStream_tbPNSt15iterator_traitsISE_E10value_typeEPNSK_ISF_E10value_typeEPSG_NS1_7vsmem_tEENKUlT_SE_SF_SG_E_clIS8_S8_S9_S9_EESD_ST_SE_SF_SG_EUlST_E1_NS1_11comp_targetILNS1_3genE0ELNS1_11target_archE4294967295ELNS1_3gpuE0ELNS1_3repE0EEENS1_36merge_oddeven_config_static_selectorELNS0_4arch9wavefront6targetE0EEEvSF_.private_seg_size, 0
	.set _ZN7rocprim17ROCPRIM_400000_NS6detail17trampoline_kernelINS0_14default_configENS1_38merge_sort_block_merge_config_selectorIbNS0_10empty_typeEEEZZNS1_27merge_sort_block_merge_implIS3_PbPS5_jNS1_19radix_merge_compareILb1ELb0EbNS0_19identity_decomposerEEEEE10hipError_tT0_T1_T2_jT3_P12ihipStream_tbPNSt15iterator_traitsISE_E10value_typeEPNSK_ISF_E10value_typeEPSG_NS1_7vsmem_tEENKUlT_SE_SF_SG_E_clIS8_S8_S9_S9_EESD_ST_SE_SF_SG_EUlST_E1_NS1_11comp_targetILNS1_3genE0ELNS1_11target_archE4294967295ELNS1_3gpuE0ELNS1_3repE0EEENS1_36merge_oddeven_config_static_selectorELNS0_4arch9wavefront6targetE0EEEvSF_.uses_vcc, 1
	.set _ZN7rocprim17ROCPRIM_400000_NS6detail17trampoline_kernelINS0_14default_configENS1_38merge_sort_block_merge_config_selectorIbNS0_10empty_typeEEEZZNS1_27merge_sort_block_merge_implIS3_PbPS5_jNS1_19radix_merge_compareILb1ELb0EbNS0_19identity_decomposerEEEEE10hipError_tT0_T1_T2_jT3_P12ihipStream_tbPNSt15iterator_traitsISE_E10value_typeEPNSK_ISF_E10value_typeEPSG_NS1_7vsmem_tEENKUlT_SE_SF_SG_E_clIS8_S8_S9_S9_EESD_ST_SE_SF_SG_EUlST_E1_NS1_11comp_targetILNS1_3genE0ELNS1_11target_archE4294967295ELNS1_3gpuE0ELNS1_3repE0EEENS1_36merge_oddeven_config_static_selectorELNS0_4arch9wavefront6targetE0EEEvSF_.uses_flat_scratch, 0
	.set _ZN7rocprim17ROCPRIM_400000_NS6detail17trampoline_kernelINS0_14default_configENS1_38merge_sort_block_merge_config_selectorIbNS0_10empty_typeEEEZZNS1_27merge_sort_block_merge_implIS3_PbPS5_jNS1_19radix_merge_compareILb1ELb0EbNS0_19identity_decomposerEEEEE10hipError_tT0_T1_T2_jT3_P12ihipStream_tbPNSt15iterator_traitsISE_E10value_typeEPNSK_ISF_E10value_typeEPSG_NS1_7vsmem_tEENKUlT_SE_SF_SG_E_clIS8_S8_S9_S9_EESD_ST_SE_SF_SG_EUlST_E1_NS1_11comp_targetILNS1_3genE0ELNS1_11target_archE4294967295ELNS1_3gpuE0ELNS1_3repE0EEENS1_36merge_oddeven_config_static_selectorELNS0_4arch9wavefront6targetE0EEEvSF_.has_dyn_sized_stack, 0
	.set _ZN7rocprim17ROCPRIM_400000_NS6detail17trampoline_kernelINS0_14default_configENS1_38merge_sort_block_merge_config_selectorIbNS0_10empty_typeEEEZZNS1_27merge_sort_block_merge_implIS3_PbPS5_jNS1_19radix_merge_compareILb1ELb0EbNS0_19identity_decomposerEEEEE10hipError_tT0_T1_T2_jT3_P12ihipStream_tbPNSt15iterator_traitsISE_E10value_typeEPNSK_ISF_E10value_typeEPSG_NS1_7vsmem_tEENKUlT_SE_SF_SG_E_clIS8_S8_S9_S9_EESD_ST_SE_SF_SG_EUlST_E1_NS1_11comp_targetILNS1_3genE0ELNS1_11target_archE4294967295ELNS1_3gpuE0ELNS1_3repE0EEENS1_36merge_oddeven_config_static_selectorELNS0_4arch9wavefront6targetE0EEEvSF_.has_recursion, 0
	.set _ZN7rocprim17ROCPRIM_400000_NS6detail17trampoline_kernelINS0_14default_configENS1_38merge_sort_block_merge_config_selectorIbNS0_10empty_typeEEEZZNS1_27merge_sort_block_merge_implIS3_PbPS5_jNS1_19radix_merge_compareILb1ELb0EbNS0_19identity_decomposerEEEEE10hipError_tT0_T1_T2_jT3_P12ihipStream_tbPNSt15iterator_traitsISE_E10value_typeEPNSK_ISF_E10value_typeEPSG_NS1_7vsmem_tEENKUlT_SE_SF_SG_E_clIS8_S8_S9_S9_EESD_ST_SE_SF_SG_EUlST_E1_NS1_11comp_targetILNS1_3genE0ELNS1_11target_archE4294967295ELNS1_3gpuE0ELNS1_3repE0EEENS1_36merge_oddeven_config_static_selectorELNS0_4arch9wavefront6targetE0EEEvSF_.has_indirect_call, 0
	.section	.AMDGPU.csdata,"",@progbits
; Kernel info:
; codeLenInByte = 664
; TotalNumSgprs: 17
; NumVgprs: 8
; ScratchSize: 0
; MemoryBound: 0
; FloatMode: 240
; IeeeMode: 1
; LDSByteSize: 0 bytes/workgroup (compile time only)
; SGPRBlocks: 0
; VGPRBlocks: 0
; NumSGPRsForWavesPerEU: 17
; NumVGPRsForWavesPerEU: 8
; NamedBarCnt: 0
; Occupancy: 16
; WaveLimiterHint : 0
; COMPUTE_PGM_RSRC2:SCRATCH_EN: 0
; COMPUTE_PGM_RSRC2:USER_SGPR: 2
; COMPUTE_PGM_RSRC2:TRAP_HANDLER: 0
; COMPUTE_PGM_RSRC2:TGID_X_EN: 1
; COMPUTE_PGM_RSRC2:TGID_Y_EN: 0
; COMPUTE_PGM_RSRC2:TGID_Z_EN: 0
; COMPUTE_PGM_RSRC2:TIDIG_COMP_CNT: 0
	.section	.text._ZN7rocprim17ROCPRIM_400000_NS6detail17trampoline_kernelINS0_14default_configENS1_38merge_sort_block_merge_config_selectorIbNS0_10empty_typeEEEZZNS1_27merge_sort_block_merge_implIS3_PbPS5_jNS1_19radix_merge_compareILb1ELb0EbNS0_19identity_decomposerEEEEE10hipError_tT0_T1_T2_jT3_P12ihipStream_tbPNSt15iterator_traitsISE_E10value_typeEPNSK_ISF_E10value_typeEPSG_NS1_7vsmem_tEENKUlT_SE_SF_SG_E_clIS8_S8_S9_S9_EESD_ST_SE_SF_SG_EUlST_E1_NS1_11comp_targetILNS1_3genE10ELNS1_11target_archE1201ELNS1_3gpuE5ELNS1_3repE0EEENS1_36merge_oddeven_config_static_selectorELNS0_4arch9wavefront6targetE0EEEvSF_,"axG",@progbits,_ZN7rocprim17ROCPRIM_400000_NS6detail17trampoline_kernelINS0_14default_configENS1_38merge_sort_block_merge_config_selectorIbNS0_10empty_typeEEEZZNS1_27merge_sort_block_merge_implIS3_PbPS5_jNS1_19radix_merge_compareILb1ELb0EbNS0_19identity_decomposerEEEEE10hipError_tT0_T1_T2_jT3_P12ihipStream_tbPNSt15iterator_traitsISE_E10value_typeEPNSK_ISF_E10value_typeEPSG_NS1_7vsmem_tEENKUlT_SE_SF_SG_E_clIS8_S8_S9_S9_EESD_ST_SE_SF_SG_EUlST_E1_NS1_11comp_targetILNS1_3genE10ELNS1_11target_archE1201ELNS1_3gpuE5ELNS1_3repE0EEENS1_36merge_oddeven_config_static_selectorELNS0_4arch9wavefront6targetE0EEEvSF_,comdat
	.protected	_ZN7rocprim17ROCPRIM_400000_NS6detail17trampoline_kernelINS0_14default_configENS1_38merge_sort_block_merge_config_selectorIbNS0_10empty_typeEEEZZNS1_27merge_sort_block_merge_implIS3_PbPS5_jNS1_19radix_merge_compareILb1ELb0EbNS0_19identity_decomposerEEEEE10hipError_tT0_T1_T2_jT3_P12ihipStream_tbPNSt15iterator_traitsISE_E10value_typeEPNSK_ISF_E10value_typeEPSG_NS1_7vsmem_tEENKUlT_SE_SF_SG_E_clIS8_S8_S9_S9_EESD_ST_SE_SF_SG_EUlST_E1_NS1_11comp_targetILNS1_3genE10ELNS1_11target_archE1201ELNS1_3gpuE5ELNS1_3repE0EEENS1_36merge_oddeven_config_static_selectorELNS0_4arch9wavefront6targetE0EEEvSF_ ; -- Begin function _ZN7rocprim17ROCPRIM_400000_NS6detail17trampoline_kernelINS0_14default_configENS1_38merge_sort_block_merge_config_selectorIbNS0_10empty_typeEEEZZNS1_27merge_sort_block_merge_implIS3_PbPS5_jNS1_19radix_merge_compareILb1ELb0EbNS0_19identity_decomposerEEEEE10hipError_tT0_T1_T2_jT3_P12ihipStream_tbPNSt15iterator_traitsISE_E10value_typeEPNSK_ISF_E10value_typeEPSG_NS1_7vsmem_tEENKUlT_SE_SF_SG_E_clIS8_S8_S9_S9_EESD_ST_SE_SF_SG_EUlST_E1_NS1_11comp_targetILNS1_3genE10ELNS1_11target_archE1201ELNS1_3gpuE5ELNS1_3repE0EEENS1_36merge_oddeven_config_static_selectorELNS0_4arch9wavefront6targetE0EEEvSF_
	.globl	_ZN7rocprim17ROCPRIM_400000_NS6detail17trampoline_kernelINS0_14default_configENS1_38merge_sort_block_merge_config_selectorIbNS0_10empty_typeEEEZZNS1_27merge_sort_block_merge_implIS3_PbPS5_jNS1_19radix_merge_compareILb1ELb0EbNS0_19identity_decomposerEEEEE10hipError_tT0_T1_T2_jT3_P12ihipStream_tbPNSt15iterator_traitsISE_E10value_typeEPNSK_ISF_E10value_typeEPSG_NS1_7vsmem_tEENKUlT_SE_SF_SG_E_clIS8_S8_S9_S9_EESD_ST_SE_SF_SG_EUlST_E1_NS1_11comp_targetILNS1_3genE10ELNS1_11target_archE1201ELNS1_3gpuE5ELNS1_3repE0EEENS1_36merge_oddeven_config_static_selectorELNS0_4arch9wavefront6targetE0EEEvSF_
	.p2align	8
	.type	_ZN7rocprim17ROCPRIM_400000_NS6detail17trampoline_kernelINS0_14default_configENS1_38merge_sort_block_merge_config_selectorIbNS0_10empty_typeEEEZZNS1_27merge_sort_block_merge_implIS3_PbPS5_jNS1_19radix_merge_compareILb1ELb0EbNS0_19identity_decomposerEEEEE10hipError_tT0_T1_T2_jT3_P12ihipStream_tbPNSt15iterator_traitsISE_E10value_typeEPNSK_ISF_E10value_typeEPSG_NS1_7vsmem_tEENKUlT_SE_SF_SG_E_clIS8_S8_S9_S9_EESD_ST_SE_SF_SG_EUlST_E1_NS1_11comp_targetILNS1_3genE10ELNS1_11target_archE1201ELNS1_3gpuE5ELNS1_3repE0EEENS1_36merge_oddeven_config_static_selectorELNS0_4arch9wavefront6targetE0EEEvSF_,@function
_ZN7rocprim17ROCPRIM_400000_NS6detail17trampoline_kernelINS0_14default_configENS1_38merge_sort_block_merge_config_selectorIbNS0_10empty_typeEEEZZNS1_27merge_sort_block_merge_implIS3_PbPS5_jNS1_19radix_merge_compareILb1ELb0EbNS0_19identity_decomposerEEEEE10hipError_tT0_T1_T2_jT3_P12ihipStream_tbPNSt15iterator_traitsISE_E10value_typeEPNSK_ISF_E10value_typeEPSG_NS1_7vsmem_tEENKUlT_SE_SF_SG_E_clIS8_S8_S9_S9_EESD_ST_SE_SF_SG_EUlST_E1_NS1_11comp_targetILNS1_3genE10ELNS1_11target_archE1201ELNS1_3gpuE5ELNS1_3repE0EEENS1_36merge_oddeven_config_static_selectorELNS0_4arch9wavefront6targetE0EEEvSF_: ; @_ZN7rocprim17ROCPRIM_400000_NS6detail17trampoline_kernelINS0_14default_configENS1_38merge_sort_block_merge_config_selectorIbNS0_10empty_typeEEEZZNS1_27merge_sort_block_merge_implIS3_PbPS5_jNS1_19radix_merge_compareILb1ELb0EbNS0_19identity_decomposerEEEEE10hipError_tT0_T1_T2_jT3_P12ihipStream_tbPNSt15iterator_traitsISE_E10value_typeEPNSK_ISF_E10value_typeEPSG_NS1_7vsmem_tEENKUlT_SE_SF_SG_E_clIS8_S8_S9_S9_EESD_ST_SE_SF_SG_EUlST_E1_NS1_11comp_targetILNS1_3genE10ELNS1_11target_archE1201ELNS1_3gpuE5ELNS1_3repE0EEENS1_36merge_oddeven_config_static_selectorELNS0_4arch9wavefront6targetE0EEEvSF_
; %bb.0:
	.section	.rodata,"a",@progbits
	.p2align	6, 0x0
	.amdhsa_kernel _ZN7rocprim17ROCPRIM_400000_NS6detail17trampoline_kernelINS0_14default_configENS1_38merge_sort_block_merge_config_selectorIbNS0_10empty_typeEEEZZNS1_27merge_sort_block_merge_implIS3_PbPS5_jNS1_19radix_merge_compareILb1ELb0EbNS0_19identity_decomposerEEEEE10hipError_tT0_T1_T2_jT3_P12ihipStream_tbPNSt15iterator_traitsISE_E10value_typeEPNSK_ISF_E10value_typeEPSG_NS1_7vsmem_tEENKUlT_SE_SF_SG_E_clIS8_S8_S9_S9_EESD_ST_SE_SF_SG_EUlST_E1_NS1_11comp_targetILNS1_3genE10ELNS1_11target_archE1201ELNS1_3gpuE5ELNS1_3repE0EEENS1_36merge_oddeven_config_static_selectorELNS0_4arch9wavefront6targetE0EEEvSF_
		.amdhsa_group_segment_fixed_size 0
		.amdhsa_private_segment_fixed_size 0
		.amdhsa_kernarg_size 48
		.amdhsa_user_sgpr_count 2
		.amdhsa_user_sgpr_dispatch_ptr 0
		.amdhsa_user_sgpr_queue_ptr 0
		.amdhsa_user_sgpr_kernarg_segment_ptr 1
		.amdhsa_user_sgpr_dispatch_id 0
		.amdhsa_user_sgpr_kernarg_preload_length 0
		.amdhsa_user_sgpr_kernarg_preload_offset 0
		.amdhsa_user_sgpr_private_segment_size 0
		.amdhsa_wavefront_size32 1
		.amdhsa_uses_dynamic_stack 0
		.amdhsa_enable_private_segment 0
		.amdhsa_system_sgpr_workgroup_id_x 1
		.amdhsa_system_sgpr_workgroup_id_y 0
		.amdhsa_system_sgpr_workgroup_id_z 0
		.amdhsa_system_sgpr_workgroup_info 0
		.amdhsa_system_vgpr_workitem_id 0
		.amdhsa_next_free_vgpr 1
		.amdhsa_next_free_sgpr 1
		.amdhsa_named_barrier_count 0
		.amdhsa_reserve_vcc 0
		.amdhsa_float_round_mode_32 0
		.amdhsa_float_round_mode_16_64 0
		.amdhsa_float_denorm_mode_32 3
		.amdhsa_float_denorm_mode_16_64 3
		.amdhsa_fp16_overflow 0
		.amdhsa_memory_ordered 1
		.amdhsa_forward_progress 1
		.amdhsa_inst_pref_size 0
		.amdhsa_round_robin_scheduling 0
		.amdhsa_exception_fp_ieee_invalid_op 0
		.amdhsa_exception_fp_denorm_src 0
		.amdhsa_exception_fp_ieee_div_zero 0
		.amdhsa_exception_fp_ieee_overflow 0
		.amdhsa_exception_fp_ieee_underflow 0
		.amdhsa_exception_fp_ieee_inexact 0
		.amdhsa_exception_int_div_zero 0
	.end_amdhsa_kernel
	.section	.text._ZN7rocprim17ROCPRIM_400000_NS6detail17trampoline_kernelINS0_14default_configENS1_38merge_sort_block_merge_config_selectorIbNS0_10empty_typeEEEZZNS1_27merge_sort_block_merge_implIS3_PbPS5_jNS1_19radix_merge_compareILb1ELb0EbNS0_19identity_decomposerEEEEE10hipError_tT0_T1_T2_jT3_P12ihipStream_tbPNSt15iterator_traitsISE_E10value_typeEPNSK_ISF_E10value_typeEPSG_NS1_7vsmem_tEENKUlT_SE_SF_SG_E_clIS8_S8_S9_S9_EESD_ST_SE_SF_SG_EUlST_E1_NS1_11comp_targetILNS1_3genE10ELNS1_11target_archE1201ELNS1_3gpuE5ELNS1_3repE0EEENS1_36merge_oddeven_config_static_selectorELNS0_4arch9wavefront6targetE0EEEvSF_,"axG",@progbits,_ZN7rocprim17ROCPRIM_400000_NS6detail17trampoline_kernelINS0_14default_configENS1_38merge_sort_block_merge_config_selectorIbNS0_10empty_typeEEEZZNS1_27merge_sort_block_merge_implIS3_PbPS5_jNS1_19radix_merge_compareILb1ELb0EbNS0_19identity_decomposerEEEEE10hipError_tT0_T1_T2_jT3_P12ihipStream_tbPNSt15iterator_traitsISE_E10value_typeEPNSK_ISF_E10value_typeEPSG_NS1_7vsmem_tEENKUlT_SE_SF_SG_E_clIS8_S8_S9_S9_EESD_ST_SE_SF_SG_EUlST_E1_NS1_11comp_targetILNS1_3genE10ELNS1_11target_archE1201ELNS1_3gpuE5ELNS1_3repE0EEENS1_36merge_oddeven_config_static_selectorELNS0_4arch9wavefront6targetE0EEEvSF_,comdat
.Lfunc_end1676:
	.size	_ZN7rocprim17ROCPRIM_400000_NS6detail17trampoline_kernelINS0_14default_configENS1_38merge_sort_block_merge_config_selectorIbNS0_10empty_typeEEEZZNS1_27merge_sort_block_merge_implIS3_PbPS5_jNS1_19radix_merge_compareILb1ELb0EbNS0_19identity_decomposerEEEEE10hipError_tT0_T1_T2_jT3_P12ihipStream_tbPNSt15iterator_traitsISE_E10value_typeEPNSK_ISF_E10value_typeEPSG_NS1_7vsmem_tEENKUlT_SE_SF_SG_E_clIS8_S8_S9_S9_EESD_ST_SE_SF_SG_EUlST_E1_NS1_11comp_targetILNS1_3genE10ELNS1_11target_archE1201ELNS1_3gpuE5ELNS1_3repE0EEENS1_36merge_oddeven_config_static_selectorELNS0_4arch9wavefront6targetE0EEEvSF_, .Lfunc_end1676-_ZN7rocprim17ROCPRIM_400000_NS6detail17trampoline_kernelINS0_14default_configENS1_38merge_sort_block_merge_config_selectorIbNS0_10empty_typeEEEZZNS1_27merge_sort_block_merge_implIS3_PbPS5_jNS1_19radix_merge_compareILb1ELb0EbNS0_19identity_decomposerEEEEE10hipError_tT0_T1_T2_jT3_P12ihipStream_tbPNSt15iterator_traitsISE_E10value_typeEPNSK_ISF_E10value_typeEPSG_NS1_7vsmem_tEENKUlT_SE_SF_SG_E_clIS8_S8_S9_S9_EESD_ST_SE_SF_SG_EUlST_E1_NS1_11comp_targetILNS1_3genE10ELNS1_11target_archE1201ELNS1_3gpuE5ELNS1_3repE0EEENS1_36merge_oddeven_config_static_selectorELNS0_4arch9wavefront6targetE0EEEvSF_
                                        ; -- End function
	.set _ZN7rocprim17ROCPRIM_400000_NS6detail17trampoline_kernelINS0_14default_configENS1_38merge_sort_block_merge_config_selectorIbNS0_10empty_typeEEEZZNS1_27merge_sort_block_merge_implIS3_PbPS5_jNS1_19radix_merge_compareILb1ELb0EbNS0_19identity_decomposerEEEEE10hipError_tT0_T1_T2_jT3_P12ihipStream_tbPNSt15iterator_traitsISE_E10value_typeEPNSK_ISF_E10value_typeEPSG_NS1_7vsmem_tEENKUlT_SE_SF_SG_E_clIS8_S8_S9_S9_EESD_ST_SE_SF_SG_EUlST_E1_NS1_11comp_targetILNS1_3genE10ELNS1_11target_archE1201ELNS1_3gpuE5ELNS1_3repE0EEENS1_36merge_oddeven_config_static_selectorELNS0_4arch9wavefront6targetE0EEEvSF_.num_vgpr, 0
	.set _ZN7rocprim17ROCPRIM_400000_NS6detail17trampoline_kernelINS0_14default_configENS1_38merge_sort_block_merge_config_selectorIbNS0_10empty_typeEEEZZNS1_27merge_sort_block_merge_implIS3_PbPS5_jNS1_19radix_merge_compareILb1ELb0EbNS0_19identity_decomposerEEEEE10hipError_tT0_T1_T2_jT3_P12ihipStream_tbPNSt15iterator_traitsISE_E10value_typeEPNSK_ISF_E10value_typeEPSG_NS1_7vsmem_tEENKUlT_SE_SF_SG_E_clIS8_S8_S9_S9_EESD_ST_SE_SF_SG_EUlST_E1_NS1_11comp_targetILNS1_3genE10ELNS1_11target_archE1201ELNS1_3gpuE5ELNS1_3repE0EEENS1_36merge_oddeven_config_static_selectorELNS0_4arch9wavefront6targetE0EEEvSF_.num_agpr, 0
	.set _ZN7rocprim17ROCPRIM_400000_NS6detail17trampoline_kernelINS0_14default_configENS1_38merge_sort_block_merge_config_selectorIbNS0_10empty_typeEEEZZNS1_27merge_sort_block_merge_implIS3_PbPS5_jNS1_19radix_merge_compareILb1ELb0EbNS0_19identity_decomposerEEEEE10hipError_tT0_T1_T2_jT3_P12ihipStream_tbPNSt15iterator_traitsISE_E10value_typeEPNSK_ISF_E10value_typeEPSG_NS1_7vsmem_tEENKUlT_SE_SF_SG_E_clIS8_S8_S9_S9_EESD_ST_SE_SF_SG_EUlST_E1_NS1_11comp_targetILNS1_3genE10ELNS1_11target_archE1201ELNS1_3gpuE5ELNS1_3repE0EEENS1_36merge_oddeven_config_static_selectorELNS0_4arch9wavefront6targetE0EEEvSF_.numbered_sgpr, 0
	.set _ZN7rocprim17ROCPRIM_400000_NS6detail17trampoline_kernelINS0_14default_configENS1_38merge_sort_block_merge_config_selectorIbNS0_10empty_typeEEEZZNS1_27merge_sort_block_merge_implIS3_PbPS5_jNS1_19radix_merge_compareILb1ELb0EbNS0_19identity_decomposerEEEEE10hipError_tT0_T1_T2_jT3_P12ihipStream_tbPNSt15iterator_traitsISE_E10value_typeEPNSK_ISF_E10value_typeEPSG_NS1_7vsmem_tEENKUlT_SE_SF_SG_E_clIS8_S8_S9_S9_EESD_ST_SE_SF_SG_EUlST_E1_NS1_11comp_targetILNS1_3genE10ELNS1_11target_archE1201ELNS1_3gpuE5ELNS1_3repE0EEENS1_36merge_oddeven_config_static_selectorELNS0_4arch9wavefront6targetE0EEEvSF_.num_named_barrier, 0
	.set _ZN7rocprim17ROCPRIM_400000_NS6detail17trampoline_kernelINS0_14default_configENS1_38merge_sort_block_merge_config_selectorIbNS0_10empty_typeEEEZZNS1_27merge_sort_block_merge_implIS3_PbPS5_jNS1_19radix_merge_compareILb1ELb0EbNS0_19identity_decomposerEEEEE10hipError_tT0_T1_T2_jT3_P12ihipStream_tbPNSt15iterator_traitsISE_E10value_typeEPNSK_ISF_E10value_typeEPSG_NS1_7vsmem_tEENKUlT_SE_SF_SG_E_clIS8_S8_S9_S9_EESD_ST_SE_SF_SG_EUlST_E1_NS1_11comp_targetILNS1_3genE10ELNS1_11target_archE1201ELNS1_3gpuE5ELNS1_3repE0EEENS1_36merge_oddeven_config_static_selectorELNS0_4arch9wavefront6targetE0EEEvSF_.private_seg_size, 0
	.set _ZN7rocprim17ROCPRIM_400000_NS6detail17trampoline_kernelINS0_14default_configENS1_38merge_sort_block_merge_config_selectorIbNS0_10empty_typeEEEZZNS1_27merge_sort_block_merge_implIS3_PbPS5_jNS1_19radix_merge_compareILb1ELb0EbNS0_19identity_decomposerEEEEE10hipError_tT0_T1_T2_jT3_P12ihipStream_tbPNSt15iterator_traitsISE_E10value_typeEPNSK_ISF_E10value_typeEPSG_NS1_7vsmem_tEENKUlT_SE_SF_SG_E_clIS8_S8_S9_S9_EESD_ST_SE_SF_SG_EUlST_E1_NS1_11comp_targetILNS1_3genE10ELNS1_11target_archE1201ELNS1_3gpuE5ELNS1_3repE0EEENS1_36merge_oddeven_config_static_selectorELNS0_4arch9wavefront6targetE0EEEvSF_.uses_vcc, 0
	.set _ZN7rocprim17ROCPRIM_400000_NS6detail17trampoline_kernelINS0_14default_configENS1_38merge_sort_block_merge_config_selectorIbNS0_10empty_typeEEEZZNS1_27merge_sort_block_merge_implIS3_PbPS5_jNS1_19radix_merge_compareILb1ELb0EbNS0_19identity_decomposerEEEEE10hipError_tT0_T1_T2_jT3_P12ihipStream_tbPNSt15iterator_traitsISE_E10value_typeEPNSK_ISF_E10value_typeEPSG_NS1_7vsmem_tEENKUlT_SE_SF_SG_E_clIS8_S8_S9_S9_EESD_ST_SE_SF_SG_EUlST_E1_NS1_11comp_targetILNS1_3genE10ELNS1_11target_archE1201ELNS1_3gpuE5ELNS1_3repE0EEENS1_36merge_oddeven_config_static_selectorELNS0_4arch9wavefront6targetE0EEEvSF_.uses_flat_scratch, 0
	.set _ZN7rocprim17ROCPRIM_400000_NS6detail17trampoline_kernelINS0_14default_configENS1_38merge_sort_block_merge_config_selectorIbNS0_10empty_typeEEEZZNS1_27merge_sort_block_merge_implIS3_PbPS5_jNS1_19radix_merge_compareILb1ELb0EbNS0_19identity_decomposerEEEEE10hipError_tT0_T1_T2_jT3_P12ihipStream_tbPNSt15iterator_traitsISE_E10value_typeEPNSK_ISF_E10value_typeEPSG_NS1_7vsmem_tEENKUlT_SE_SF_SG_E_clIS8_S8_S9_S9_EESD_ST_SE_SF_SG_EUlST_E1_NS1_11comp_targetILNS1_3genE10ELNS1_11target_archE1201ELNS1_3gpuE5ELNS1_3repE0EEENS1_36merge_oddeven_config_static_selectorELNS0_4arch9wavefront6targetE0EEEvSF_.has_dyn_sized_stack, 0
	.set _ZN7rocprim17ROCPRIM_400000_NS6detail17trampoline_kernelINS0_14default_configENS1_38merge_sort_block_merge_config_selectorIbNS0_10empty_typeEEEZZNS1_27merge_sort_block_merge_implIS3_PbPS5_jNS1_19radix_merge_compareILb1ELb0EbNS0_19identity_decomposerEEEEE10hipError_tT0_T1_T2_jT3_P12ihipStream_tbPNSt15iterator_traitsISE_E10value_typeEPNSK_ISF_E10value_typeEPSG_NS1_7vsmem_tEENKUlT_SE_SF_SG_E_clIS8_S8_S9_S9_EESD_ST_SE_SF_SG_EUlST_E1_NS1_11comp_targetILNS1_3genE10ELNS1_11target_archE1201ELNS1_3gpuE5ELNS1_3repE0EEENS1_36merge_oddeven_config_static_selectorELNS0_4arch9wavefront6targetE0EEEvSF_.has_recursion, 0
	.set _ZN7rocprim17ROCPRIM_400000_NS6detail17trampoline_kernelINS0_14default_configENS1_38merge_sort_block_merge_config_selectorIbNS0_10empty_typeEEEZZNS1_27merge_sort_block_merge_implIS3_PbPS5_jNS1_19radix_merge_compareILb1ELb0EbNS0_19identity_decomposerEEEEE10hipError_tT0_T1_T2_jT3_P12ihipStream_tbPNSt15iterator_traitsISE_E10value_typeEPNSK_ISF_E10value_typeEPSG_NS1_7vsmem_tEENKUlT_SE_SF_SG_E_clIS8_S8_S9_S9_EESD_ST_SE_SF_SG_EUlST_E1_NS1_11comp_targetILNS1_3genE10ELNS1_11target_archE1201ELNS1_3gpuE5ELNS1_3repE0EEENS1_36merge_oddeven_config_static_selectorELNS0_4arch9wavefront6targetE0EEEvSF_.has_indirect_call, 0
	.section	.AMDGPU.csdata,"",@progbits
; Kernel info:
; codeLenInByte = 0
; TotalNumSgprs: 0
; NumVgprs: 0
; ScratchSize: 0
; MemoryBound: 0
; FloatMode: 240
; IeeeMode: 1
; LDSByteSize: 0 bytes/workgroup (compile time only)
; SGPRBlocks: 0
; VGPRBlocks: 0
; NumSGPRsForWavesPerEU: 1
; NumVGPRsForWavesPerEU: 1
; NamedBarCnt: 0
; Occupancy: 16
; WaveLimiterHint : 0
; COMPUTE_PGM_RSRC2:SCRATCH_EN: 0
; COMPUTE_PGM_RSRC2:USER_SGPR: 2
; COMPUTE_PGM_RSRC2:TRAP_HANDLER: 0
; COMPUTE_PGM_RSRC2:TGID_X_EN: 1
; COMPUTE_PGM_RSRC2:TGID_Y_EN: 0
; COMPUTE_PGM_RSRC2:TGID_Z_EN: 0
; COMPUTE_PGM_RSRC2:TIDIG_COMP_CNT: 0
	.section	.text._ZN7rocprim17ROCPRIM_400000_NS6detail17trampoline_kernelINS0_14default_configENS1_38merge_sort_block_merge_config_selectorIbNS0_10empty_typeEEEZZNS1_27merge_sort_block_merge_implIS3_PbPS5_jNS1_19radix_merge_compareILb1ELb0EbNS0_19identity_decomposerEEEEE10hipError_tT0_T1_T2_jT3_P12ihipStream_tbPNSt15iterator_traitsISE_E10value_typeEPNSK_ISF_E10value_typeEPSG_NS1_7vsmem_tEENKUlT_SE_SF_SG_E_clIS8_S8_S9_S9_EESD_ST_SE_SF_SG_EUlST_E1_NS1_11comp_targetILNS1_3genE5ELNS1_11target_archE942ELNS1_3gpuE9ELNS1_3repE0EEENS1_36merge_oddeven_config_static_selectorELNS0_4arch9wavefront6targetE0EEEvSF_,"axG",@progbits,_ZN7rocprim17ROCPRIM_400000_NS6detail17trampoline_kernelINS0_14default_configENS1_38merge_sort_block_merge_config_selectorIbNS0_10empty_typeEEEZZNS1_27merge_sort_block_merge_implIS3_PbPS5_jNS1_19radix_merge_compareILb1ELb0EbNS0_19identity_decomposerEEEEE10hipError_tT0_T1_T2_jT3_P12ihipStream_tbPNSt15iterator_traitsISE_E10value_typeEPNSK_ISF_E10value_typeEPSG_NS1_7vsmem_tEENKUlT_SE_SF_SG_E_clIS8_S8_S9_S9_EESD_ST_SE_SF_SG_EUlST_E1_NS1_11comp_targetILNS1_3genE5ELNS1_11target_archE942ELNS1_3gpuE9ELNS1_3repE0EEENS1_36merge_oddeven_config_static_selectorELNS0_4arch9wavefront6targetE0EEEvSF_,comdat
	.protected	_ZN7rocprim17ROCPRIM_400000_NS6detail17trampoline_kernelINS0_14default_configENS1_38merge_sort_block_merge_config_selectorIbNS0_10empty_typeEEEZZNS1_27merge_sort_block_merge_implIS3_PbPS5_jNS1_19radix_merge_compareILb1ELb0EbNS0_19identity_decomposerEEEEE10hipError_tT0_T1_T2_jT3_P12ihipStream_tbPNSt15iterator_traitsISE_E10value_typeEPNSK_ISF_E10value_typeEPSG_NS1_7vsmem_tEENKUlT_SE_SF_SG_E_clIS8_S8_S9_S9_EESD_ST_SE_SF_SG_EUlST_E1_NS1_11comp_targetILNS1_3genE5ELNS1_11target_archE942ELNS1_3gpuE9ELNS1_3repE0EEENS1_36merge_oddeven_config_static_selectorELNS0_4arch9wavefront6targetE0EEEvSF_ ; -- Begin function _ZN7rocprim17ROCPRIM_400000_NS6detail17trampoline_kernelINS0_14default_configENS1_38merge_sort_block_merge_config_selectorIbNS0_10empty_typeEEEZZNS1_27merge_sort_block_merge_implIS3_PbPS5_jNS1_19radix_merge_compareILb1ELb0EbNS0_19identity_decomposerEEEEE10hipError_tT0_T1_T2_jT3_P12ihipStream_tbPNSt15iterator_traitsISE_E10value_typeEPNSK_ISF_E10value_typeEPSG_NS1_7vsmem_tEENKUlT_SE_SF_SG_E_clIS8_S8_S9_S9_EESD_ST_SE_SF_SG_EUlST_E1_NS1_11comp_targetILNS1_3genE5ELNS1_11target_archE942ELNS1_3gpuE9ELNS1_3repE0EEENS1_36merge_oddeven_config_static_selectorELNS0_4arch9wavefront6targetE0EEEvSF_
	.globl	_ZN7rocprim17ROCPRIM_400000_NS6detail17trampoline_kernelINS0_14default_configENS1_38merge_sort_block_merge_config_selectorIbNS0_10empty_typeEEEZZNS1_27merge_sort_block_merge_implIS3_PbPS5_jNS1_19radix_merge_compareILb1ELb0EbNS0_19identity_decomposerEEEEE10hipError_tT0_T1_T2_jT3_P12ihipStream_tbPNSt15iterator_traitsISE_E10value_typeEPNSK_ISF_E10value_typeEPSG_NS1_7vsmem_tEENKUlT_SE_SF_SG_E_clIS8_S8_S9_S9_EESD_ST_SE_SF_SG_EUlST_E1_NS1_11comp_targetILNS1_3genE5ELNS1_11target_archE942ELNS1_3gpuE9ELNS1_3repE0EEENS1_36merge_oddeven_config_static_selectorELNS0_4arch9wavefront6targetE0EEEvSF_
	.p2align	8
	.type	_ZN7rocprim17ROCPRIM_400000_NS6detail17trampoline_kernelINS0_14default_configENS1_38merge_sort_block_merge_config_selectorIbNS0_10empty_typeEEEZZNS1_27merge_sort_block_merge_implIS3_PbPS5_jNS1_19radix_merge_compareILb1ELb0EbNS0_19identity_decomposerEEEEE10hipError_tT0_T1_T2_jT3_P12ihipStream_tbPNSt15iterator_traitsISE_E10value_typeEPNSK_ISF_E10value_typeEPSG_NS1_7vsmem_tEENKUlT_SE_SF_SG_E_clIS8_S8_S9_S9_EESD_ST_SE_SF_SG_EUlST_E1_NS1_11comp_targetILNS1_3genE5ELNS1_11target_archE942ELNS1_3gpuE9ELNS1_3repE0EEENS1_36merge_oddeven_config_static_selectorELNS0_4arch9wavefront6targetE0EEEvSF_,@function
_ZN7rocprim17ROCPRIM_400000_NS6detail17trampoline_kernelINS0_14default_configENS1_38merge_sort_block_merge_config_selectorIbNS0_10empty_typeEEEZZNS1_27merge_sort_block_merge_implIS3_PbPS5_jNS1_19radix_merge_compareILb1ELb0EbNS0_19identity_decomposerEEEEE10hipError_tT0_T1_T2_jT3_P12ihipStream_tbPNSt15iterator_traitsISE_E10value_typeEPNSK_ISF_E10value_typeEPSG_NS1_7vsmem_tEENKUlT_SE_SF_SG_E_clIS8_S8_S9_S9_EESD_ST_SE_SF_SG_EUlST_E1_NS1_11comp_targetILNS1_3genE5ELNS1_11target_archE942ELNS1_3gpuE9ELNS1_3repE0EEENS1_36merge_oddeven_config_static_selectorELNS0_4arch9wavefront6targetE0EEEvSF_: ; @_ZN7rocprim17ROCPRIM_400000_NS6detail17trampoline_kernelINS0_14default_configENS1_38merge_sort_block_merge_config_selectorIbNS0_10empty_typeEEEZZNS1_27merge_sort_block_merge_implIS3_PbPS5_jNS1_19radix_merge_compareILb1ELb0EbNS0_19identity_decomposerEEEEE10hipError_tT0_T1_T2_jT3_P12ihipStream_tbPNSt15iterator_traitsISE_E10value_typeEPNSK_ISF_E10value_typeEPSG_NS1_7vsmem_tEENKUlT_SE_SF_SG_E_clIS8_S8_S9_S9_EESD_ST_SE_SF_SG_EUlST_E1_NS1_11comp_targetILNS1_3genE5ELNS1_11target_archE942ELNS1_3gpuE9ELNS1_3repE0EEENS1_36merge_oddeven_config_static_selectorELNS0_4arch9wavefront6targetE0EEEvSF_
; %bb.0:
	.section	.rodata,"a",@progbits
	.p2align	6, 0x0
	.amdhsa_kernel _ZN7rocprim17ROCPRIM_400000_NS6detail17trampoline_kernelINS0_14default_configENS1_38merge_sort_block_merge_config_selectorIbNS0_10empty_typeEEEZZNS1_27merge_sort_block_merge_implIS3_PbPS5_jNS1_19radix_merge_compareILb1ELb0EbNS0_19identity_decomposerEEEEE10hipError_tT0_T1_T2_jT3_P12ihipStream_tbPNSt15iterator_traitsISE_E10value_typeEPNSK_ISF_E10value_typeEPSG_NS1_7vsmem_tEENKUlT_SE_SF_SG_E_clIS8_S8_S9_S9_EESD_ST_SE_SF_SG_EUlST_E1_NS1_11comp_targetILNS1_3genE5ELNS1_11target_archE942ELNS1_3gpuE9ELNS1_3repE0EEENS1_36merge_oddeven_config_static_selectorELNS0_4arch9wavefront6targetE0EEEvSF_
		.amdhsa_group_segment_fixed_size 0
		.amdhsa_private_segment_fixed_size 0
		.amdhsa_kernarg_size 48
		.amdhsa_user_sgpr_count 2
		.amdhsa_user_sgpr_dispatch_ptr 0
		.amdhsa_user_sgpr_queue_ptr 0
		.amdhsa_user_sgpr_kernarg_segment_ptr 1
		.amdhsa_user_sgpr_dispatch_id 0
		.amdhsa_user_sgpr_kernarg_preload_length 0
		.amdhsa_user_sgpr_kernarg_preload_offset 0
		.amdhsa_user_sgpr_private_segment_size 0
		.amdhsa_wavefront_size32 1
		.amdhsa_uses_dynamic_stack 0
		.amdhsa_enable_private_segment 0
		.amdhsa_system_sgpr_workgroup_id_x 1
		.amdhsa_system_sgpr_workgroup_id_y 0
		.amdhsa_system_sgpr_workgroup_id_z 0
		.amdhsa_system_sgpr_workgroup_info 0
		.amdhsa_system_vgpr_workitem_id 0
		.amdhsa_next_free_vgpr 1
		.amdhsa_next_free_sgpr 1
		.amdhsa_named_barrier_count 0
		.amdhsa_reserve_vcc 0
		.amdhsa_float_round_mode_32 0
		.amdhsa_float_round_mode_16_64 0
		.amdhsa_float_denorm_mode_32 3
		.amdhsa_float_denorm_mode_16_64 3
		.amdhsa_fp16_overflow 0
		.amdhsa_memory_ordered 1
		.amdhsa_forward_progress 1
		.amdhsa_inst_pref_size 0
		.amdhsa_round_robin_scheduling 0
		.amdhsa_exception_fp_ieee_invalid_op 0
		.amdhsa_exception_fp_denorm_src 0
		.amdhsa_exception_fp_ieee_div_zero 0
		.amdhsa_exception_fp_ieee_overflow 0
		.amdhsa_exception_fp_ieee_underflow 0
		.amdhsa_exception_fp_ieee_inexact 0
		.amdhsa_exception_int_div_zero 0
	.end_amdhsa_kernel
	.section	.text._ZN7rocprim17ROCPRIM_400000_NS6detail17trampoline_kernelINS0_14default_configENS1_38merge_sort_block_merge_config_selectorIbNS0_10empty_typeEEEZZNS1_27merge_sort_block_merge_implIS3_PbPS5_jNS1_19radix_merge_compareILb1ELb0EbNS0_19identity_decomposerEEEEE10hipError_tT0_T1_T2_jT3_P12ihipStream_tbPNSt15iterator_traitsISE_E10value_typeEPNSK_ISF_E10value_typeEPSG_NS1_7vsmem_tEENKUlT_SE_SF_SG_E_clIS8_S8_S9_S9_EESD_ST_SE_SF_SG_EUlST_E1_NS1_11comp_targetILNS1_3genE5ELNS1_11target_archE942ELNS1_3gpuE9ELNS1_3repE0EEENS1_36merge_oddeven_config_static_selectorELNS0_4arch9wavefront6targetE0EEEvSF_,"axG",@progbits,_ZN7rocprim17ROCPRIM_400000_NS6detail17trampoline_kernelINS0_14default_configENS1_38merge_sort_block_merge_config_selectorIbNS0_10empty_typeEEEZZNS1_27merge_sort_block_merge_implIS3_PbPS5_jNS1_19radix_merge_compareILb1ELb0EbNS0_19identity_decomposerEEEEE10hipError_tT0_T1_T2_jT3_P12ihipStream_tbPNSt15iterator_traitsISE_E10value_typeEPNSK_ISF_E10value_typeEPSG_NS1_7vsmem_tEENKUlT_SE_SF_SG_E_clIS8_S8_S9_S9_EESD_ST_SE_SF_SG_EUlST_E1_NS1_11comp_targetILNS1_3genE5ELNS1_11target_archE942ELNS1_3gpuE9ELNS1_3repE0EEENS1_36merge_oddeven_config_static_selectorELNS0_4arch9wavefront6targetE0EEEvSF_,comdat
.Lfunc_end1677:
	.size	_ZN7rocprim17ROCPRIM_400000_NS6detail17trampoline_kernelINS0_14default_configENS1_38merge_sort_block_merge_config_selectorIbNS0_10empty_typeEEEZZNS1_27merge_sort_block_merge_implIS3_PbPS5_jNS1_19radix_merge_compareILb1ELb0EbNS0_19identity_decomposerEEEEE10hipError_tT0_T1_T2_jT3_P12ihipStream_tbPNSt15iterator_traitsISE_E10value_typeEPNSK_ISF_E10value_typeEPSG_NS1_7vsmem_tEENKUlT_SE_SF_SG_E_clIS8_S8_S9_S9_EESD_ST_SE_SF_SG_EUlST_E1_NS1_11comp_targetILNS1_3genE5ELNS1_11target_archE942ELNS1_3gpuE9ELNS1_3repE0EEENS1_36merge_oddeven_config_static_selectorELNS0_4arch9wavefront6targetE0EEEvSF_, .Lfunc_end1677-_ZN7rocprim17ROCPRIM_400000_NS6detail17trampoline_kernelINS0_14default_configENS1_38merge_sort_block_merge_config_selectorIbNS0_10empty_typeEEEZZNS1_27merge_sort_block_merge_implIS3_PbPS5_jNS1_19radix_merge_compareILb1ELb0EbNS0_19identity_decomposerEEEEE10hipError_tT0_T1_T2_jT3_P12ihipStream_tbPNSt15iterator_traitsISE_E10value_typeEPNSK_ISF_E10value_typeEPSG_NS1_7vsmem_tEENKUlT_SE_SF_SG_E_clIS8_S8_S9_S9_EESD_ST_SE_SF_SG_EUlST_E1_NS1_11comp_targetILNS1_3genE5ELNS1_11target_archE942ELNS1_3gpuE9ELNS1_3repE0EEENS1_36merge_oddeven_config_static_selectorELNS0_4arch9wavefront6targetE0EEEvSF_
                                        ; -- End function
	.set _ZN7rocprim17ROCPRIM_400000_NS6detail17trampoline_kernelINS0_14default_configENS1_38merge_sort_block_merge_config_selectorIbNS0_10empty_typeEEEZZNS1_27merge_sort_block_merge_implIS3_PbPS5_jNS1_19radix_merge_compareILb1ELb0EbNS0_19identity_decomposerEEEEE10hipError_tT0_T1_T2_jT3_P12ihipStream_tbPNSt15iterator_traitsISE_E10value_typeEPNSK_ISF_E10value_typeEPSG_NS1_7vsmem_tEENKUlT_SE_SF_SG_E_clIS8_S8_S9_S9_EESD_ST_SE_SF_SG_EUlST_E1_NS1_11comp_targetILNS1_3genE5ELNS1_11target_archE942ELNS1_3gpuE9ELNS1_3repE0EEENS1_36merge_oddeven_config_static_selectorELNS0_4arch9wavefront6targetE0EEEvSF_.num_vgpr, 0
	.set _ZN7rocprim17ROCPRIM_400000_NS6detail17trampoline_kernelINS0_14default_configENS1_38merge_sort_block_merge_config_selectorIbNS0_10empty_typeEEEZZNS1_27merge_sort_block_merge_implIS3_PbPS5_jNS1_19radix_merge_compareILb1ELb0EbNS0_19identity_decomposerEEEEE10hipError_tT0_T1_T2_jT3_P12ihipStream_tbPNSt15iterator_traitsISE_E10value_typeEPNSK_ISF_E10value_typeEPSG_NS1_7vsmem_tEENKUlT_SE_SF_SG_E_clIS8_S8_S9_S9_EESD_ST_SE_SF_SG_EUlST_E1_NS1_11comp_targetILNS1_3genE5ELNS1_11target_archE942ELNS1_3gpuE9ELNS1_3repE0EEENS1_36merge_oddeven_config_static_selectorELNS0_4arch9wavefront6targetE0EEEvSF_.num_agpr, 0
	.set _ZN7rocprim17ROCPRIM_400000_NS6detail17trampoline_kernelINS0_14default_configENS1_38merge_sort_block_merge_config_selectorIbNS0_10empty_typeEEEZZNS1_27merge_sort_block_merge_implIS3_PbPS5_jNS1_19radix_merge_compareILb1ELb0EbNS0_19identity_decomposerEEEEE10hipError_tT0_T1_T2_jT3_P12ihipStream_tbPNSt15iterator_traitsISE_E10value_typeEPNSK_ISF_E10value_typeEPSG_NS1_7vsmem_tEENKUlT_SE_SF_SG_E_clIS8_S8_S9_S9_EESD_ST_SE_SF_SG_EUlST_E1_NS1_11comp_targetILNS1_3genE5ELNS1_11target_archE942ELNS1_3gpuE9ELNS1_3repE0EEENS1_36merge_oddeven_config_static_selectorELNS0_4arch9wavefront6targetE0EEEvSF_.numbered_sgpr, 0
	.set _ZN7rocprim17ROCPRIM_400000_NS6detail17trampoline_kernelINS0_14default_configENS1_38merge_sort_block_merge_config_selectorIbNS0_10empty_typeEEEZZNS1_27merge_sort_block_merge_implIS3_PbPS5_jNS1_19radix_merge_compareILb1ELb0EbNS0_19identity_decomposerEEEEE10hipError_tT0_T1_T2_jT3_P12ihipStream_tbPNSt15iterator_traitsISE_E10value_typeEPNSK_ISF_E10value_typeEPSG_NS1_7vsmem_tEENKUlT_SE_SF_SG_E_clIS8_S8_S9_S9_EESD_ST_SE_SF_SG_EUlST_E1_NS1_11comp_targetILNS1_3genE5ELNS1_11target_archE942ELNS1_3gpuE9ELNS1_3repE0EEENS1_36merge_oddeven_config_static_selectorELNS0_4arch9wavefront6targetE0EEEvSF_.num_named_barrier, 0
	.set _ZN7rocprim17ROCPRIM_400000_NS6detail17trampoline_kernelINS0_14default_configENS1_38merge_sort_block_merge_config_selectorIbNS0_10empty_typeEEEZZNS1_27merge_sort_block_merge_implIS3_PbPS5_jNS1_19radix_merge_compareILb1ELb0EbNS0_19identity_decomposerEEEEE10hipError_tT0_T1_T2_jT3_P12ihipStream_tbPNSt15iterator_traitsISE_E10value_typeEPNSK_ISF_E10value_typeEPSG_NS1_7vsmem_tEENKUlT_SE_SF_SG_E_clIS8_S8_S9_S9_EESD_ST_SE_SF_SG_EUlST_E1_NS1_11comp_targetILNS1_3genE5ELNS1_11target_archE942ELNS1_3gpuE9ELNS1_3repE0EEENS1_36merge_oddeven_config_static_selectorELNS0_4arch9wavefront6targetE0EEEvSF_.private_seg_size, 0
	.set _ZN7rocprim17ROCPRIM_400000_NS6detail17trampoline_kernelINS0_14default_configENS1_38merge_sort_block_merge_config_selectorIbNS0_10empty_typeEEEZZNS1_27merge_sort_block_merge_implIS3_PbPS5_jNS1_19radix_merge_compareILb1ELb0EbNS0_19identity_decomposerEEEEE10hipError_tT0_T1_T2_jT3_P12ihipStream_tbPNSt15iterator_traitsISE_E10value_typeEPNSK_ISF_E10value_typeEPSG_NS1_7vsmem_tEENKUlT_SE_SF_SG_E_clIS8_S8_S9_S9_EESD_ST_SE_SF_SG_EUlST_E1_NS1_11comp_targetILNS1_3genE5ELNS1_11target_archE942ELNS1_3gpuE9ELNS1_3repE0EEENS1_36merge_oddeven_config_static_selectorELNS0_4arch9wavefront6targetE0EEEvSF_.uses_vcc, 0
	.set _ZN7rocprim17ROCPRIM_400000_NS6detail17trampoline_kernelINS0_14default_configENS1_38merge_sort_block_merge_config_selectorIbNS0_10empty_typeEEEZZNS1_27merge_sort_block_merge_implIS3_PbPS5_jNS1_19radix_merge_compareILb1ELb0EbNS0_19identity_decomposerEEEEE10hipError_tT0_T1_T2_jT3_P12ihipStream_tbPNSt15iterator_traitsISE_E10value_typeEPNSK_ISF_E10value_typeEPSG_NS1_7vsmem_tEENKUlT_SE_SF_SG_E_clIS8_S8_S9_S9_EESD_ST_SE_SF_SG_EUlST_E1_NS1_11comp_targetILNS1_3genE5ELNS1_11target_archE942ELNS1_3gpuE9ELNS1_3repE0EEENS1_36merge_oddeven_config_static_selectorELNS0_4arch9wavefront6targetE0EEEvSF_.uses_flat_scratch, 0
	.set _ZN7rocprim17ROCPRIM_400000_NS6detail17trampoline_kernelINS0_14default_configENS1_38merge_sort_block_merge_config_selectorIbNS0_10empty_typeEEEZZNS1_27merge_sort_block_merge_implIS3_PbPS5_jNS1_19radix_merge_compareILb1ELb0EbNS0_19identity_decomposerEEEEE10hipError_tT0_T1_T2_jT3_P12ihipStream_tbPNSt15iterator_traitsISE_E10value_typeEPNSK_ISF_E10value_typeEPSG_NS1_7vsmem_tEENKUlT_SE_SF_SG_E_clIS8_S8_S9_S9_EESD_ST_SE_SF_SG_EUlST_E1_NS1_11comp_targetILNS1_3genE5ELNS1_11target_archE942ELNS1_3gpuE9ELNS1_3repE0EEENS1_36merge_oddeven_config_static_selectorELNS0_4arch9wavefront6targetE0EEEvSF_.has_dyn_sized_stack, 0
	.set _ZN7rocprim17ROCPRIM_400000_NS6detail17trampoline_kernelINS0_14default_configENS1_38merge_sort_block_merge_config_selectorIbNS0_10empty_typeEEEZZNS1_27merge_sort_block_merge_implIS3_PbPS5_jNS1_19radix_merge_compareILb1ELb0EbNS0_19identity_decomposerEEEEE10hipError_tT0_T1_T2_jT3_P12ihipStream_tbPNSt15iterator_traitsISE_E10value_typeEPNSK_ISF_E10value_typeEPSG_NS1_7vsmem_tEENKUlT_SE_SF_SG_E_clIS8_S8_S9_S9_EESD_ST_SE_SF_SG_EUlST_E1_NS1_11comp_targetILNS1_3genE5ELNS1_11target_archE942ELNS1_3gpuE9ELNS1_3repE0EEENS1_36merge_oddeven_config_static_selectorELNS0_4arch9wavefront6targetE0EEEvSF_.has_recursion, 0
	.set _ZN7rocprim17ROCPRIM_400000_NS6detail17trampoline_kernelINS0_14default_configENS1_38merge_sort_block_merge_config_selectorIbNS0_10empty_typeEEEZZNS1_27merge_sort_block_merge_implIS3_PbPS5_jNS1_19radix_merge_compareILb1ELb0EbNS0_19identity_decomposerEEEEE10hipError_tT0_T1_T2_jT3_P12ihipStream_tbPNSt15iterator_traitsISE_E10value_typeEPNSK_ISF_E10value_typeEPSG_NS1_7vsmem_tEENKUlT_SE_SF_SG_E_clIS8_S8_S9_S9_EESD_ST_SE_SF_SG_EUlST_E1_NS1_11comp_targetILNS1_3genE5ELNS1_11target_archE942ELNS1_3gpuE9ELNS1_3repE0EEENS1_36merge_oddeven_config_static_selectorELNS0_4arch9wavefront6targetE0EEEvSF_.has_indirect_call, 0
	.section	.AMDGPU.csdata,"",@progbits
; Kernel info:
; codeLenInByte = 0
; TotalNumSgprs: 0
; NumVgprs: 0
; ScratchSize: 0
; MemoryBound: 0
; FloatMode: 240
; IeeeMode: 1
; LDSByteSize: 0 bytes/workgroup (compile time only)
; SGPRBlocks: 0
; VGPRBlocks: 0
; NumSGPRsForWavesPerEU: 1
; NumVGPRsForWavesPerEU: 1
; NamedBarCnt: 0
; Occupancy: 16
; WaveLimiterHint : 0
; COMPUTE_PGM_RSRC2:SCRATCH_EN: 0
; COMPUTE_PGM_RSRC2:USER_SGPR: 2
; COMPUTE_PGM_RSRC2:TRAP_HANDLER: 0
; COMPUTE_PGM_RSRC2:TGID_X_EN: 1
; COMPUTE_PGM_RSRC2:TGID_Y_EN: 0
; COMPUTE_PGM_RSRC2:TGID_Z_EN: 0
; COMPUTE_PGM_RSRC2:TIDIG_COMP_CNT: 0
	.section	.text._ZN7rocprim17ROCPRIM_400000_NS6detail17trampoline_kernelINS0_14default_configENS1_38merge_sort_block_merge_config_selectorIbNS0_10empty_typeEEEZZNS1_27merge_sort_block_merge_implIS3_PbPS5_jNS1_19radix_merge_compareILb1ELb0EbNS0_19identity_decomposerEEEEE10hipError_tT0_T1_T2_jT3_P12ihipStream_tbPNSt15iterator_traitsISE_E10value_typeEPNSK_ISF_E10value_typeEPSG_NS1_7vsmem_tEENKUlT_SE_SF_SG_E_clIS8_S8_S9_S9_EESD_ST_SE_SF_SG_EUlST_E1_NS1_11comp_targetILNS1_3genE4ELNS1_11target_archE910ELNS1_3gpuE8ELNS1_3repE0EEENS1_36merge_oddeven_config_static_selectorELNS0_4arch9wavefront6targetE0EEEvSF_,"axG",@progbits,_ZN7rocprim17ROCPRIM_400000_NS6detail17trampoline_kernelINS0_14default_configENS1_38merge_sort_block_merge_config_selectorIbNS0_10empty_typeEEEZZNS1_27merge_sort_block_merge_implIS3_PbPS5_jNS1_19radix_merge_compareILb1ELb0EbNS0_19identity_decomposerEEEEE10hipError_tT0_T1_T2_jT3_P12ihipStream_tbPNSt15iterator_traitsISE_E10value_typeEPNSK_ISF_E10value_typeEPSG_NS1_7vsmem_tEENKUlT_SE_SF_SG_E_clIS8_S8_S9_S9_EESD_ST_SE_SF_SG_EUlST_E1_NS1_11comp_targetILNS1_3genE4ELNS1_11target_archE910ELNS1_3gpuE8ELNS1_3repE0EEENS1_36merge_oddeven_config_static_selectorELNS0_4arch9wavefront6targetE0EEEvSF_,comdat
	.protected	_ZN7rocprim17ROCPRIM_400000_NS6detail17trampoline_kernelINS0_14default_configENS1_38merge_sort_block_merge_config_selectorIbNS0_10empty_typeEEEZZNS1_27merge_sort_block_merge_implIS3_PbPS5_jNS1_19radix_merge_compareILb1ELb0EbNS0_19identity_decomposerEEEEE10hipError_tT0_T1_T2_jT3_P12ihipStream_tbPNSt15iterator_traitsISE_E10value_typeEPNSK_ISF_E10value_typeEPSG_NS1_7vsmem_tEENKUlT_SE_SF_SG_E_clIS8_S8_S9_S9_EESD_ST_SE_SF_SG_EUlST_E1_NS1_11comp_targetILNS1_3genE4ELNS1_11target_archE910ELNS1_3gpuE8ELNS1_3repE0EEENS1_36merge_oddeven_config_static_selectorELNS0_4arch9wavefront6targetE0EEEvSF_ ; -- Begin function _ZN7rocprim17ROCPRIM_400000_NS6detail17trampoline_kernelINS0_14default_configENS1_38merge_sort_block_merge_config_selectorIbNS0_10empty_typeEEEZZNS1_27merge_sort_block_merge_implIS3_PbPS5_jNS1_19radix_merge_compareILb1ELb0EbNS0_19identity_decomposerEEEEE10hipError_tT0_T1_T2_jT3_P12ihipStream_tbPNSt15iterator_traitsISE_E10value_typeEPNSK_ISF_E10value_typeEPSG_NS1_7vsmem_tEENKUlT_SE_SF_SG_E_clIS8_S8_S9_S9_EESD_ST_SE_SF_SG_EUlST_E1_NS1_11comp_targetILNS1_3genE4ELNS1_11target_archE910ELNS1_3gpuE8ELNS1_3repE0EEENS1_36merge_oddeven_config_static_selectorELNS0_4arch9wavefront6targetE0EEEvSF_
	.globl	_ZN7rocprim17ROCPRIM_400000_NS6detail17trampoline_kernelINS0_14default_configENS1_38merge_sort_block_merge_config_selectorIbNS0_10empty_typeEEEZZNS1_27merge_sort_block_merge_implIS3_PbPS5_jNS1_19radix_merge_compareILb1ELb0EbNS0_19identity_decomposerEEEEE10hipError_tT0_T1_T2_jT3_P12ihipStream_tbPNSt15iterator_traitsISE_E10value_typeEPNSK_ISF_E10value_typeEPSG_NS1_7vsmem_tEENKUlT_SE_SF_SG_E_clIS8_S8_S9_S9_EESD_ST_SE_SF_SG_EUlST_E1_NS1_11comp_targetILNS1_3genE4ELNS1_11target_archE910ELNS1_3gpuE8ELNS1_3repE0EEENS1_36merge_oddeven_config_static_selectorELNS0_4arch9wavefront6targetE0EEEvSF_
	.p2align	8
	.type	_ZN7rocprim17ROCPRIM_400000_NS6detail17trampoline_kernelINS0_14default_configENS1_38merge_sort_block_merge_config_selectorIbNS0_10empty_typeEEEZZNS1_27merge_sort_block_merge_implIS3_PbPS5_jNS1_19radix_merge_compareILb1ELb0EbNS0_19identity_decomposerEEEEE10hipError_tT0_T1_T2_jT3_P12ihipStream_tbPNSt15iterator_traitsISE_E10value_typeEPNSK_ISF_E10value_typeEPSG_NS1_7vsmem_tEENKUlT_SE_SF_SG_E_clIS8_S8_S9_S9_EESD_ST_SE_SF_SG_EUlST_E1_NS1_11comp_targetILNS1_3genE4ELNS1_11target_archE910ELNS1_3gpuE8ELNS1_3repE0EEENS1_36merge_oddeven_config_static_selectorELNS0_4arch9wavefront6targetE0EEEvSF_,@function
_ZN7rocprim17ROCPRIM_400000_NS6detail17trampoline_kernelINS0_14default_configENS1_38merge_sort_block_merge_config_selectorIbNS0_10empty_typeEEEZZNS1_27merge_sort_block_merge_implIS3_PbPS5_jNS1_19radix_merge_compareILb1ELb0EbNS0_19identity_decomposerEEEEE10hipError_tT0_T1_T2_jT3_P12ihipStream_tbPNSt15iterator_traitsISE_E10value_typeEPNSK_ISF_E10value_typeEPSG_NS1_7vsmem_tEENKUlT_SE_SF_SG_E_clIS8_S8_S9_S9_EESD_ST_SE_SF_SG_EUlST_E1_NS1_11comp_targetILNS1_3genE4ELNS1_11target_archE910ELNS1_3gpuE8ELNS1_3repE0EEENS1_36merge_oddeven_config_static_selectorELNS0_4arch9wavefront6targetE0EEEvSF_: ; @_ZN7rocprim17ROCPRIM_400000_NS6detail17trampoline_kernelINS0_14default_configENS1_38merge_sort_block_merge_config_selectorIbNS0_10empty_typeEEEZZNS1_27merge_sort_block_merge_implIS3_PbPS5_jNS1_19radix_merge_compareILb1ELb0EbNS0_19identity_decomposerEEEEE10hipError_tT0_T1_T2_jT3_P12ihipStream_tbPNSt15iterator_traitsISE_E10value_typeEPNSK_ISF_E10value_typeEPSG_NS1_7vsmem_tEENKUlT_SE_SF_SG_E_clIS8_S8_S9_S9_EESD_ST_SE_SF_SG_EUlST_E1_NS1_11comp_targetILNS1_3genE4ELNS1_11target_archE910ELNS1_3gpuE8ELNS1_3repE0EEENS1_36merge_oddeven_config_static_selectorELNS0_4arch9wavefront6targetE0EEEvSF_
; %bb.0:
	.section	.rodata,"a",@progbits
	.p2align	6, 0x0
	.amdhsa_kernel _ZN7rocprim17ROCPRIM_400000_NS6detail17trampoline_kernelINS0_14default_configENS1_38merge_sort_block_merge_config_selectorIbNS0_10empty_typeEEEZZNS1_27merge_sort_block_merge_implIS3_PbPS5_jNS1_19radix_merge_compareILb1ELb0EbNS0_19identity_decomposerEEEEE10hipError_tT0_T1_T2_jT3_P12ihipStream_tbPNSt15iterator_traitsISE_E10value_typeEPNSK_ISF_E10value_typeEPSG_NS1_7vsmem_tEENKUlT_SE_SF_SG_E_clIS8_S8_S9_S9_EESD_ST_SE_SF_SG_EUlST_E1_NS1_11comp_targetILNS1_3genE4ELNS1_11target_archE910ELNS1_3gpuE8ELNS1_3repE0EEENS1_36merge_oddeven_config_static_selectorELNS0_4arch9wavefront6targetE0EEEvSF_
		.amdhsa_group_segment_fixed_size 0
		.amdhsa_private_segment_fixed_size 0
		.amdhsa_kernarg_size 48
		.amdhsa_user_sgpr_count 2
		.amdhsa_user_sgpr_dispatch_ptr 0
		.amdhsa_user_sgpr_queue_ptr 0
		.amdhsa_user_sgpr_kernarg_segment_ptr 1
		.amdhsa_user_sgpr_dispatch_id 0
		.amdhsa_user_sgpr_kernarg_preload_length 0
		.amdhsa_user_sgpr_kernarg_preload_offset 0
		.amdhsa_user_sgpr_private_segment_size 0
		.amdhsa_wavefront_size32 1
		.amdhsa_uses_dynamic_stack 0
		.amdhsa_enable_private_segment 0
		.amdhsa_system_sgpr_workgroup_id_x 1
		.amdhsa_system_sgpr_workgroup_id_y 0
		.amdhsa_system_sgpr_workgroup_id_z 0
		.amdhsa_system_sgpr_workgroup_info 0
		.amdhsa_system_vgpr_workitem_id 0
		.amdhsa_next_free_vgpr 1
		.amdhsa_next_free_sgpr 1
		.amdhsa_named_barrier_count 0
		.amdhsa_reserve_vcc 0
		.amdhsa_float_round_mode_32 0
		.amdhsa_float_round_mode_16_64 0
		.amdhsa_float_denorm_mode_32 3
		.amdhsa_float_denorm_mode_16_64 3
		.amdhsa_fp16_overflow 0
		.amdhsa_memory_ordered 1
		.amdhsa_forward_progress 1
		.amdhsa_inst_pref_size 0
		.amdhsa_round_robin_scheduling 0
		.amdhsa_exception_fp_ieee_invalid_op 0
		.amdhsa_exception_fp_denorm_src 0
		.amdhsa_exception_fp_ieee_div_zero 0
		.amdhsa_exception_fp_ieee_overflow 0
		.amdhsa_exception_fp_ieee_underflow 0
		.amdhsa_exception_fp_ieee_inexact 0
		.amdhsa_exception_int_div_zero 0
	.end_amdhsa_kernel
	.section	.text._ZN7rocprim17ROCPRIM_400000_NS6detail17trampoline_kernelINS0_14default_configENS1_38merge_sort_block_merge_config_selectorIbNS0_10empty_typeEEEZZNS1_27merge_sort_block_merge_implIS3_PbPS5_jNS1_19radix_merge_compareILb1ELb0EbNS0_19identity_decomposerEEEEE10hipError_tT0_T1_T2_jT3_P12ihipStream_tbPNSt15iterator_traitsISE_E10value_typeEPNSK_ISF_E10value_typeEPSG_NS1_7vsmem_tEENKUlT_SE_SF_SG_E_clIS8_S8_S9_S9_EESD_ST_SE_SF_SG_EUlST_E1_NS1_11comp_targetILNS1_3genE4ELNS1_11target_archE910ELNS1_3gpuE8ELNS1_3repE0EEENS1_36merge_oddeven_config_static_selectorELNS0_4arch9wavefront6targetE0EEEvSF_,"axG",@progbits,_ZN7rocprim17ROCPRIM_400000_NS6detail17trampoline_kernelINS0_14default_configENS1_38merge_sort_block_merge_config_selectorIbNS0_10empty_typeEEEZZNS1_27merge_sort_block_merge_implIS3_PbPS5_jNS1_19radix_merge_compareILb1ELb0EbNS0_19identity_decomposerEEEEE10hipError_tT0_T1_T2_jT3_P12ihipStream_tbPNSt15iterator_traitsISE_E10value_typeEPNSK_ISF_E10value_typeEPSG_NS1_7vsmem_tEENKUlT_SE_SF_SG_E_clIS8_S8_S9_S9_EESD_ST_SE_SF_SG_EUlST_E1_NS1_11comp_targetILNS1_3genE4ELNS1_11target_archE910ELNS1_3gpuE8ELNS1_3repE0EEENS1_36merge_oddeven_config_static_selectorELNS0_4arch9wavefront6targetE0EEEvSF_,comdat
.Lfunc_end1678:
	.size	_ZN7rocprim17ROCPRIM_400000_NS6detail17trampoline_kernelINS0_14default_configENS1_38merge_sort_block_merge_config_selectorIbNS0_10empty_typeEEEZZNS1_27merge_sort_block_merge_implIS3_PbPS5_jNS1_19radix_merge_compareILb1ELb0EbNS0_19identity_decomposerEEEEE10hipError_tT0_T1_T2_jT3_P12ihipStream_tbPNSt15iterator_traitsISE_E10value_typeEPNSK_ISF_E10value_typeEPSG_NS1_7vsmem_tEENKUlT_SE_SF_SG_E_clIS8_S8_S9_S9_EESD_ST_SE_SF_SG_EUlST_E1_NS1_11comp_targetILNS1_3genE4ELNS1_11target_archE910ELNS1_3gpuE8ELNS1_3repE0EEENS1_36merge_oddeven_config_static_selectorELNS0_4arch9wavefront6targetE0EEEvSF_, .Lfunc_end1678-_ZN7rocprim17ROCPRIM_400000_NS6detail17trampoline_kernelINS0_14default_configENS1_38merge_sort_block_merge_config_selectorIbNS0_10empty_typeEEEZZNS1_27merge_sort_block_merge_implIS3_PbPS5_jNS1_19radix_merge_compareILb1ELb0EbNS0_19identity_decomposerEEEEE10hipError_tT0_T1_T2_jT3_P12ihipStream_tbPNSt15iterator_traitsISE_E10value_typeEPNSK_ISF_E10value_typeEPSG_NS1_7vsmem_tEENKUlT_SE_SF_SG_E_clIS8_S8_S9_S9_EESD_ST_SE_SF_SG_EUlST_E1_NS1_11comp_targetILNS1_3genE4ELNS1_11target_archE910ELNS1_3gpuE8ELNS1_3repE0EEENS1_36merge_oddeven_config_static_selectorELNS0_4arch9wavefront6targetE0EEEvSF_
                                        ; -- End function
	.set _ZN7rocprim17ROCPRIM_400000_NS6detail17trampoline_kernelINS0_14default_configENS1_38merge_sort_block_merge_config_selectorIbNS0_10empty_typeEEEZZNS1_27merge_sort_block_merge_implIS3_PbPS5_jNS1_19radix_merge_compareILb1ELb0EbNS0_19identity_decomposerEEEEE10hipError_tT0_T1_T2_jT3_P12ihipStream_tbPNSt15iterator_traitsISE_E10value_typeEPNSK_ISF_E10value_typeEPSG_NS1_7vsmem_tEENKUlT_SE_SF_SG_E_clIS8_S8_S9_S9_EESD_ST_SE_SF_SG_EUlST_E1_NS1_11comp_targetILNS1_3genE4ELNS1_11target_archE910ELNS1_3gpuE8ELNS1_3repE0EEENS1_36merge_oddeven_config_static_selectorELNS0_4arch9wavefront6targetE0EEEvSF_.num_vgpr, 0
	.set _ZN7rocprim17ROCPRIM_400000_NS6detail17trampoline_kernelINS0_14default_configENS1_38merge_sort_block_merge_config_selectorIbNS0_10empty_typeEEEZZNS1_27merge_sort_block_merge_implIS3_PbPS5_jNS1_19radix_merge_compareILb1ELb0EbNS0_19identity_decomposerEEEEE10hipError_tT0_T1_T2_jT3_P12ihipStream_tbPNSt15iterator_traitsISE_E10value_typeEPNSK_ISF_E10value_typeEPSG_NS1_7vsmem_tEENKUlT_SE_SF_SG_E_clIS8_S8_S9_S9_EESD_ST_SE_SF_SG_EUlST_E1_NS1_11comp_targetILNS1_3genE4ELNS1_11target_archE910ELNS1_3gpuE8ELNS1_3repE0EEENS1_36merge_oddeven_config_static_selectorELNS0_4arch9wavefront6targetE0EEEvSF_.num_agpr, 0
	.set _ZN7rocprim17ROCPRIM_400000_NS6detail17trampoline_kernelINS0_14default_configENS1_38merge_sort_block_merge_config_selectorIbNS0_10empty_typeEEEZZNS1_27merge_sort_block_merge_implIS3_PbPS5_jNS1_19radix_merge_compareILb1ELb0EbNS0_19identity_decomposerEEEEE10hipError_tT0_T1_T2_jT3_P12ihipStream_tbPNSt15iterator_traitsISE_E10value_typeEPNSK_ISF_E10value_typeEPSG_NS1_7vsmem_tEENKUlT_SE_SF_SG_E_clIS8_S8_S9_S9_EESD_ST_SE_SF_SG_EUlST_E1_NS1_11comp_targetILNS1_3genE4ELNS1_11target_archE910ELNS1_3gpuE8ELNS1_3repE0EEENS1_36merge_oddeven_config_static_selectorELNS0_4arch9wavefront6targetE0EEEvSF_.numbered_sgpr, 0
	.set _ZN7rocprim17ROCPRIM_400000_NS6detail17trampoline_kernelINS0_14default_configENS1_38merge_sort_block_merge_config_selectorIbNS0_10empty_typeEEEZZNS1_27merge_sort_block_merge_implIS3_PbPS5_jNS1_19radix_merge_compareILb1ELb0EbNS0_19identity_decomposerEEEEE10hipError_tT0_T1_T2_jT3_P12ihipStream_tbPNSt15iterator_traitsISE_E10value_typeEPNSK_ISF_E10value_typeEPSG_NS1_7vsmem_tEENKUlT_SE_SF_SG_E_clIS8_S8_S9_S9_EESD_ST_SE_SF_SG_EUlST_E1_NS1_11comp_targetILNS1_3genE4ELNS1_11target_archE910ELNS1_3gpuE8ELNS1_3repE0EEENS1_36merge_oddeven_config_static_selectorELNS0_4arch9wavefront6targetE0EEEvSF_.num_named_barrier, 0
	.set _ZN7rocprim17ROCPRIM_400000_NS6detail17trampoline_kernelINS0_14default_configENS1_38merge_sort_block_merge_config_selectorIbNS0_10empty_typeEEEZZNS1_27merge_sort_block_merge_implIS3_PbPS5_jNS1_19radix_merge_compareILb1ELb0EbNS0_19identity_decomposerEEEEE10hipError_tT0_T1_T2_jT3_P12ihipStream_tbPNSt15iterator_traitsISE_E10value_typeEPNSK_ISF_E10value_typeEPSG_NS1_7vsmem_tEENKUlT_SE_SF_SG_E_clIS8_S8_S9_S9_EESD_ST_SE_SF_SG_EUlST_E1_NS1_11comp_targetILNS1_3genE4ELNS1_11target_archE910ELNS1_3gpuE8ELNS1_3repE0EEENS1_36merge_oddeven_config_static_selectorELNS0_4arch9wavefront6targetE0EEEvSF_.private_seg_size, 0
	.set _ZN7rocprim17ROCPRIM_400000_NS6detail17trampoline_kernelINS0_14default_configENS1_38merge_sort_block_merge_config_selectorIbNS0_10empty_typeEEEZZNS1_27merge_sort_block_merge_implIS3_PbPS5_jNS1_19radix_merge_compareILb1ELb0EbNS0_19identity_decomposerEEEEE10hipError_tT0_T1_T2_jT3_P12ihipStream_tbPNSt15iterator_traitsISE_E10value_typeEPNSK_ISF_E10value_typeEPSG_NS1_7vsmem_tEENKUlT_SE_SF_SG_E_clIS8_S8_S9_S9_EESD_ST_SE_SF_SG_EUlST_E1_NS1_11comp_targetILNS1_3genE4ELNS1_11target_archE910ELNS1_3gpuE8ELNS1_3repE0EEENS1_36merge_oddeven_config_static_selectorELNS0_4arch9wavefront6targetE0EEEvSF_.uses_vcc, 0
	.set _ZN7rocprim17ROCPRIM_400000_NS6detail17trampoline_kernelINS0_14default_configENS1_38merge_sort_block_merge_config_selectorIbNS0_10empty_typeEEEZZNS1_27merge_sort_block_merge_implIS3_PbPS5_jNS1_19radix_merge_compareILb1ELb0EbNS0_19identity_decomposerEEEEE10hipError_tT0_T1_T2_jT3_P12ihipStream_tbPNSt15iterator_traitsISE_E10value_typeEPNSK_ISF_E10value_typeEPSG_NS1_7vsmem_tEENKUlT_SE_SF_SG_E_clIS8_S8_S9_S9_EESD_ST_SE_SF_SG_EUlST_E1_NS1_11comp_targetILNS1_3genE4ELNS1_11target_archE910ELNS1_3gpuE8ELNS1_3repE0EEENS1_36merge_oddeven_config_static_selectorELNS0_4arch9wavefront6targetE0EEEvSF_.uses_flat_scratch, 0
	.set _ZN7rocprim17ROCPRIM_400000_NS6detail17trampoline_kernelINS0_14default_configENS1_38merge_sort_block_merge_config_selectorIbNS0_10empty_typeEEEZZNS1_27merge_sort_block_merge_implIS3_PbPS5_jNS1_19radix_merge_compareILb1ELb0EbNS0_19identity_decomposerEEEEE10hipError_tT0_T1_T2_jT3_P12ihipStream_tbPNSt15iterator_traitsISE_E10value_typeEPNSK_ISF_E10value_typeEPSG_NS1_7vsmem_tEENKUlT_SE_SF_SG_E_clIS8_S8_S9_S9_EESD_ST_SE_SF_SG_EUlST_E1_NS1_11comp_targetILNS1_3genE4ELNS1_11target_archE910ELNS1_3gpuE8ELNS1_3repE0EEENS1_36merge_oddeven_config_static_selectorELNS0_4arch9wavefront6targetE0EEEvSF_.has_dyn_sized_stack, 0
	.set _ZN7rocprim17ROCPRIM_400000_NS6detail17trampoline_kernelINS0_14default_configENS1_38merge_sort_block_merge_config_selectorIbNS0_10empty_typeEEEZZNS1_27merge_sort_block_merge_implIS3_PbPS5_jNS1_19radix_merge_compareILb1ELb0EbNS0_19identity_decomposerEEEEE10hipError_tT0_T1_T2_jT3_P12ihipStream_tbPNSt15iterator_traitsISE_E10value_typeEPNSK_ISF_E10value_typeEPSG_NS1_7vsmem_tEENKUlT_SE_SF_SG_E_clIS8_S8_S9_S9_EESD_ST_SE_SF_SG_EUlST_E1_NS1_11comp_targetILNS1_3genE4ELNS1_11target_archE910ELNS1_3gpuE8ELNS1_3repE0EEENS1_36merge_oddeven_config_static_selectorELNS0_4arch9wavefront6targetE0EEEvSF_.has_recursion, 0
	.set _ZN7rocprim17ROCPRIM_400000_NS6detail17trampoline_kernelINS0_14default_configENS1_38merge_sort_block_merge_config_selectorIbNS0_10empty_typeEEEZZNS1_27merge_sort_block_merge_implIS3_PbPS5_jNS1_19radix_merge_compareILb1ELb0EbNS0_19identity_decomposerEEEEE10hipError_tT0_T1_T2_jT3_P12ihipStream_tbPNSt15iterator_traitsISE_E10value_typeEPNSK_ISF_E10value_typeEPSG_NS1_7vsmem_tEENKUlT_SE_SF_SG_E_clIS8_S8_S9_S9_EESD_ST_SE_SF_SG_EUlST_E1_NS1_11comp_targetILNS1_3genE4ELNS1_11target_archE910ELNS1_3gpuE8ELNS1_3repE0EEENS1_36merge_oddeven_config_static_selectorELNS0_4arch9wavefront6targetE0EEEvSF_.has_indirect_call, 0
	.section	.AMDGPU.csdata,"",@progbits
; Kernel info:
; codeLenInByte = 0
; TotalNumSgprs: 0
; NumVgprs: 0
; ScratchSize: 0
; MemoryBound: 0
; FloatMode: 240
; IeeeMode: 1
; LDSByteSize: 0 bytes/workgroup (compile time only)
; SGPRBlocks: 0
; VGPRBlocks: 0
; NumSGPRsForWavesPerEU: 1
; NumVGPRsForWavesPerEU: 1
; NamedBarCnt: 0
; Occupancy: 16
; WaveLimiterHint : 0
; COMPUTE_PGM_RSRC2:SCRATCH_EN: 0
; COMPUTE_PGM_RSRC2:USER_SGPR: 2
; COMPUTE_PGM_RSRC2:TRAP_HANDLER: 0
; COMPUTE_PGM_RSRC2:TGID_X_EN: 1
; COMPUTE_PGM_RSRC2:TGID_Y_EN: 0
; COMPUTE_PGM_RSRC2:TGID_Z_EN: 0
; COMPUTE_PGM_RSRC2:TIDIG_COMP_CNT: 0
	.section	.text._ZN7rocprim17ROCPRIM_400000_NS6detail17trampoline_kernelINS0_14default_configENS1_38merge_sort_block_merge_config_selectorIbNS0_10empty_typeEEEZZNS1_27merge_sort_block_merge_implIS3_PbPS5_jNS1_19radix_merge_compareILb1ELb0EbNS0_19identity_decomposerEEEEE10hipError_tT0_T1_T2_jT3_P12ihipStream_tbPNSt15iterator_traitsISE_E10value_typeEPNSK_ISF_E10value_typeEPSG_NS1_7vsmem_tEENKUlT_SE_SF_SG_E_clIS8_S8_S9_S9_EESD_ST_SE_SF_SG_EUlST_E1_NS1_11comp_targetILNS1_3genE3ELNS1_11target_archE908ELNS1_3gpuE7ELNS1_3repE0EEENS1_36merge_oddeven_config_static_selectorELNS0_4arch9wavefront6targetE0EEEvSF_,"axG",@progbits,_ZN7rocprim17ROCPRIM_400000_NS6detail17trampoline_kernelINS0_14default_configENS1_38merge_sort_block_merge_config_selectorIbNS0_10empty_typeEEEZZNS1_27merge_sort_block_merge_implIS3_PbPS5_jNS1_19radix_merge_compareILb1ELb0EbNS0_19identity_decomposerEEEEE10hipError_tT0_T1_T2_jT3_P12ihipStream_tbPNSt15iterator_traitsISE_E10value_typeEPNSK_ISF_E10value_typeEPSG_NS1_7vsmem_tEENKUlT_SE_SF_SG_E_clIS8_S8_S9_S9_EESD_ST_SE_SF_SG_EUlST_E1_NS1_11comp_targetILNS1_3genE3ELNS1_11target_archE908ELNS1_3gpuE7ELNS1_3repE0EEENS1_36merge_oddeven_config_static_selectorELNS0_4arch9wavefront6targetE0EEEvSF_,comdat
	.protected	_ZN7rocprim17ROCPRIM_400000_NS6detail17trampoline_kernelINS0_14default_configENS1_38merge_sort_block_merge_config_selectorIbNS0_10empty_typeEEEZZNS1_27merge_sort_block_merge_implIS3_PbPS5_jNS1_19radix_merge_compareILb1ELb0EbNS0_19identity_decomposerEEEEE10hipError_tT0_T1_T2_jT3_P12ihipStream_tbPNSt15iterator_traitsISE_E10value_typeEPNSK_ISF_E10value_typeEPSG_NS1_7vsmem_tEENKUlT_SE_SF_SG_E_clIS8_S8_S9_S9_EESD_ST_SE_SF_SG_EUlST_E1_NS1_11comp_targetILNS1_3genE3ELNS1_11target_archE908ELNS1_3gpuE7ELNS1_3repE0EEENS1_36merge_oddeven_config_static_selectorELNS0_4arch9wavefront6targetE0EEEvSF_ ; -- Begin function _ZN7rocprim17ROCPRIM_400000_NS6detail17trampoline_kernelINS0_14default_configENS1_38merge_sort_block_merge_config_selectorIbNS0_10empty_typeEEEZZNS1_27merge_sort_block_merge_implIS3_PbPS5_jNS1_19radix_merge_compareILb1ELb0EbNS0_19identity_decomposerEEEEE10hipError_tT0_T1_T2_jT3_P12ihipStream_tbPNSt15iterator_traitsISE_E10value_typeEPNSK_ISF_E10value_typeEPSG_NS1_7vsmem_tEENKUlT_SE_SF_SG_E_clIS8_S8_S9_S9_EESD_ST_SE_SF_SG_EUlST_E1_NS1_11comp_targetILNS1_3genE3ELNS1_11target_archE908ELNS1_3gpuE7ELNS1_3repE0EEENS1_36merge_oddeven_config_static_selectorELNS0_4arch9wavefront6targetE0EEEvSF_
	.globl	_ZN7rocprim17ROCPRIM_400000_NS6detail17trampoline_kernelINS0_14default_configENS1_38merge_sort_block_merge_config_selectorIbNS0_10empty_typeEEEZZNS1_27merge_sort_block_merge_implIS3_PbPS5_jNS1_19radix_merge_compareILb1ELb0EbNS0_19identity_decomposerEEEEE10hipError_tT0_T1_T2_jT3_P12ihipStream_tbPNSt15iterator_traitsISE_E10value_typeEPNSK_ISF_E10value_typeEPSG_NS1_7vsmem_tEENKUlT_SE_SF_SG_E_clIS8_S8_S9_S9_EESD_ST_SE_SF_SG_EUlST_E1_NS1_11comp_targetILNS1_3genE3ELNS1_11target_archE908ELNS1_3gpuE7ELNS1_3repE0EEENS1_36merge_oddeven_config_static_selectorELNS0_4arch9wavefront6targetE0EEEvSF_
	.p2align	8
	.type	_ZN7rocprim17ROCPRIM_400000_NS6detail17trampoline_kernelINS0_14default_configENS1_38merge_sort_block_merge_config_selectorIbNS0_10empty_typeEEEZZNS1_27merge_sort_block_merge_implIS3_PbPS5_jNS1_19radix_merge_compareILb1ELb0EbNS0_19identity_decomposerEEEEE10hipError_tT0_T1_T2_jT3_P12ihipStream_tbPNSt15iterator_traitsISE_E10value_typeEPNSK_ISF_E10value_typeEPSG_NS1_7vsmem_tEENKUlT_SE_SF_SG_E_clIS8_S8_S9_S9_EESD_ST_SE_SF_SG_EUlST_E1_NS1_11comp_targetILNS1_3genE3ELNS1_11target_archE908ELNS1_3gpuE7ELNS1_3repE0EEENS1_36merge_oddeven_config_static_selectorELNS0_4arch9wavefront6targetE0EEEvSF_,@function
_ZN7rocprim17ROCPRIM_400000_NS6detail17trampoline_kernelINS0_14default_configENS1_38merge_sort_block_merge_config_selectorIbNS0_10empty_typeEEEZZNS1_27merge_sort_block_merge_implIS3_PbPS5_jNS1_19radix_merge_compareILb1ELb0EbNS0_19identity_decomposerEEEEE10hipError_tT0_T1_T2_jT3_P12ihipStream_tbPNSt15iterator_traitsISE_E10value_typeEPNSK_ISF_E10value_typeEPSG_NS1_7vsmem_tEENKUlT_SE_SF_SG_E_clIS8_S8_S9_S9_EESD_ST_SE_SF_SG_EUlST_E1_NS1_11comp_targetILNS1_3genE3ELNS1_11target_archE908ELNS1_3gpuE7ELNS1_3repE0EEENS1_36merge_oddeven_config_static_selectorELNS0_4arch9wavefront6targetE0EEEvSF_: ; @_ZN7rocprim17ROCPRIM_400000_NS6detail17trampoline_kernelINS0_14default_configENS1_38merge_sort_block_merge_config_selectorIbNS0_10empty_typeEEEZZNS1_27merge_sort_block_merge_implIS3_PbPS5_jNS1_19radix_merge_compareILb1ELb0EbNS0_19identity_decomposerEEEEE10hipError_tT0_T1_T2_jT3_P12ihipStream_tbPNSt15iterator_traitsISE_E10value_typeEPNSK_ISF_E10value_typeEPSG_NS1_7vsmem_tEENKUlT_SE_SF_SG_E_clIS8_S8_S9_S9_EESD_ST_SE_SF_SG_EUlST_E1_NS1_11comp_targetILNS1_3genE3ELNS1_11target_archE908ELNS1_3gpuE7ELNS1_3repE0EEENS1_36merge_oddeven_config_static_selectorELNS0_4arch9wavefront6targetE0EEEvSF_
; %bb.0:
	.section	.rodata,"a",@progbits
	.p2align	6, 0x0
	.amdhsa_kernel _ZN7rocprim17ROCPRIM_400000_NS6detail17trampoline_kernelINS0_14default_configENS1_38merge_sort_block_merge_config_selectorIbNS0_10empty_typeEEEZZNS1_27merge_sort_block_merge_implIS3_PbPS5_jNS1_19radix_merge_compareILb1ELb0EbNS0_19identity_decomposerEEEEE10hipError_tT0_T1_T2_jT3_P12ihipStream_tbPNSt15iterator_traitsISE_E10value_typeEPNSK_ISF_E10value_typeEPSG_NS1_7vsmem_tEENKUlT_SE_SF_SG_E_clIS8_S8_S9_S9_EESD_ST_SE_SF_SG_EUlST_E1_NS1_11comp_targetILNS1_3genE3ELNS1_11target_archE908ELNS1_3gpuE7ELNS1_3repE0EEENS1_36merge_oddeven_config_static_selectorELNS0_4arch9wavefront6targetE0EEEvSF_
		.amdhsa_group_segment_fixed_size 0
		.amdhsa_private_segment_fixed_size 0
		.amdhsa_kernarg_size 48
		.amdhsa_user_sgpr_count 2
		.amdhsa_user_sgpr_dispatch_ptr 0
		.amdhsa_user_sgpr_queue_ptr 0
		.amdhsa_user_sgpr_kernarg_segment_ptr 1
		.amdhsa_user_sgpr_dispatch_id 0
		.amdhsa_user_sgpr_kernarg_preload_length 0
		.amdhsa_user_sgpr_kernarg_preload_offset 0
		.amdhsa_user_sgpr_private_segment_size 0
		.amdhsa_wavefront_size32 1
		.amdhsa_uses_dynamic_stack 0
		.amdhsa_enable_private_segment 0
		.amdhsa_system_sgpr_workgroup_id_x 1
		.amdhsa_system_sgpr_workgroup_id_y 0
		.amdhsa_system_sgpr_workgroup_id_z 0
		.amdhsa_system_sgpr_workgroup_info 0
		.amdhsa_system_vgpr_workitem_id 0
		.amdhsa_next_free_vgpr 1
		.amdhsa_next_free_sgpr 1
		.amdhsa_named_barrier_count 0
		.amdhsa_reserve_vcc 0
		.amdhsa_float_round_mode_32 0
		.amdhsa_float_round_mode_16_64 0
		.amdhsa_float_denorm_mode_32 3
		.amdhsa_float_denorm_mode_16_64 3
		.amdhsa_fp16_overflow 0
		.amdhsa_memory_ordered 1
		.amdhsa_forward_progress 1
		.amdhsa_inst_pref_size 0
		.amdhsa_round_robin_scheduling 0
		.amdhsa_exception_fp_ieee_invalid_op 0
		.amdhsa_exception_fp_denorm_src 0
		.amdhsa_exception_fp_ieee_div_zero 0
		.amdhsa_exception_fp_ieee_overflow 0
		.amdhsa_exception_fp_ieee_underflow 0
		.amdhsa_exception_fp_ieee_inexact 0
		.amdhsa_exception_int_div_zero 0
	.end_amdhsa_kernel
	.section	.text._ZN7rocprim17ROCPRIM_400000_NS6detail17trampoline_kernelINS0_14default_configENS1_38merge_sort_block_merge_config_selectorIbNS0_10empty_typeEEEZZNS1_27merge_sort_block_merge_implIS3_PbPS5_jNS1_19radix_merge_compareILb1ELb0EbNS0_19identity_decomposerEEEEE10hipError_tT0_T1_T2_jT3_P12ihipStream_tbPNSt15iterator_traitsISE_E10value_typeEPNSK_ISF_E10value_typeEPSG_NS1_7vsmem_tEENKUlT_SE_SF_SG_E_clIS8_S8_S9_S9_EESD_ST_SE_SF_SG_EUlST_E1_NS1_11comp_targetILNS1_3genE3ELNS1_11target_archE908ELNS1_3gpuE7ELNS1_3repE0EEENS1_36merge_oddeven_config_static_selectorELNS0_4arch9wavefront6targetE0EEEvSF_,"axG",@progbits,_ZN7rocprim17ROCPRIM_400000_NS6detail17trampoline_kernelINS0_14default_configENS1_38merge_sort_block_merge_config_selectorIbNS0_10empty_typeEEEZZNS1_27merge_sort_block_merge_implIS3_PbPS5_jNS1_19radix_merge_compareILb1ELb0EbNS0_19identity_decomposerEEEEE10hipError_tT0_T1_T2_jT3_P12ihipStream_tbPNSt15iterator_traitsISE_E10value_typeEPNSK_ISF_E10value_typeEPSG_NS1_7vsmem_tEENKUlT_SE_SF_SG_E_clIS8_S8_S9_S9_EESD_ST_SE_SF_SG_EUlST_E1_NS1_11comp_targetILNS1_3genE3ELNS1_11target_archE908ELNS1_3gpuE7ELNS1_3repE0EEENS1_36merge_oddeven_config_static_selectorELNS0_4arch9wavefront6targetE0EEEvSF_,comdat
.Lfunc_end1679:
	.size	_ZN7rocprim17ROCPRIM_400000_NS6detail17trampoline_kernelINS0_14default_configENS1_38merge_sort_block_merge_config_selectorIbNS0_10empty_typeEEEZZNS1_27merge_sort_block_merge_implIS3_PbPS5_jNS1_19radix_merge_compareILb1ELb0EbNS0_19identity_decomposerEEEEE10hipError_tT0_T1_T2_jT3_P12ihipStream_tbPNSt15iterator_traitsISE_E10value_typeEPNSK_ISF_E10value_typeEPSG_NS1_7vsmem_tEENKUlT_SE_SF_SG_E_clIS8_S8_S9_S9_EESD_ST_SE_SF_SG_EUlST_E1_NS1_11comp_targetILNS1_3genE3ELNS1_11target_archE908ELNS1_3gpuE7ELNS1_3repE0EEENS1_36merge_oddeven_config_static_selectorELNS0_4arch9wavefront6targetE0EEEvSF_, .Lfunc_end1679-_ZN7rocprim17ROCPRIM_400000_NS6detail17trampoline_kernelINS0_14default_configENS1_38merge_sort_block_merge_config_selectorIbNS0_10empty_typeEEEZZNS1_27merge_sort_block_merge_implIS3_PbPS5_jNS1_19radix_merge_compareILb1ELb0EbNS0_19identity_decomposerEEEEE10hipError_tT0_T1_T2_jT3_P12ihipStream_tbPNSt15iterator_traitsISE_E10value_typeEPNSK_ISF_E10value_typeEPSG_NS1_7vsmem_tEENKUlT_SE_SF_SG_E_clIS8_S8_S9_S9_EESD_ST_SE_SF_SG_EUlST_E1_NS1_11comp_targetILNS1_3genE3ELNS1_11target_archE908ELNS1_3gpuE7ELNS1_3repE0EEENS1_36merge_oddeven_config_static_selectorELNS0_4arch9wavefront6targetE0EEEvSF_
                                        ; -- End function
	.set _ZN7rocprim17ROCPRIM_400000_NS6detail17trampoline_kernelINS0_14default_configENS1_38merge_sort_block_merge_config_selectorIbNS0_10empty_typeEEEZZNS1_27merge_sort_block_merge_implIS3_PbPS5_jNS1_19radix_merge_compareILb1ELb0EbNS0_19identity_decomposerEEEEE10hipError_tT0_T1_T2_jT3_P12ihipStream_tbPNSt15iterator_traitsISE_E10value_typeEPNSK_ISF_E10value_typeEPSG_NS1_7vsmem_tEENKUlT_SE_SF_SG_E_clIS8_S8_S9_S9_EESD_ST_SE_SF_SG_EUlST_E1_NS1_11comp_targetILNS1_3genE3ELNS1_11target_archE908ELNS1_3gpuE7ELNS1_3repE0EEENS1_36merge_oddeven_config_static_selectorELNS0_4arch9wavefront6targetE0EEEvSF_.num_vgpr, 0
	.set _ZN7rocprim17ROCPRIM_400000_NS6detail17trampoline_kernelINS0_14default_configENS1_38merge_sort_block_merge_config_selectorIbNS0_10empty_typeEEEZZNS1_27merge_sort_block_merge_implIS3_PbPS5_jNS1_19radix_merge_compareILb1ELb0EbNS0_19identity_decomposerEEEEE10hipError_tT0_T1_T2_jT3_P12ihipStream_tbPNSt15iterator_traitsISE_E10value_typeEPNSK_ISF_E10value_typeEPSG_NS1_7vsmem_tEENKUlT_SE_SF_SG_E_clIS8_S8_S9_S9_EESD_ST_SE_SF_SG_EUlST_E1_NS1_11comp_targetILNS1_3genE3ELNS1_11target_archE908ELNS1_3gpuE7ELNS1_3repE0EEENS1_36merge_oddeven_config_static_selectorELNS0_4arch9wavefront6targetE0EEEvSF_.num_agpr, 0
	.set _ZN7rocprim17ROCPRIM_400000_NS6detail17trampoline_kernelINS0_14default_configENS1_38merge_sort_block_merge_config_selectorIbNS0_10empty_typeEEEZZNS1_27merge_sort_block_merge_implIS3_PbPS5_jNS1_19radix_merge_compareILb1ELb0EbNS0_19identity_decomposerEEEEE10hipError_tT0_T1_T2_jT3_P12ihipStream_tbPNSt15iterator_traitsISE_E10value_typeEPNSK_ISF_E10value_typeEPSG_NS1_7vsmem_tEENKUlT_SE_SF_SG_E_clIS8_S8_S9_S9_EESD_ST_SE_SF_SG_EUlST_E1_NS1_11comp_targetILNS1_3genE3ELNS1_11target_archE908ELNS1_3gpuE7ELNS1_3repE0EEENS1_36merge_oddeven_config_static_selectorELNS0_4arch9wavefront6targetE0EEEvSF_.numbered_sgpr, 0
	.set _ZN7rocprim17ROCPRIM_400000_NS6detail17trampoline_kernelINS0_14default_configENS1_38merge_sort_block_merge_config_selectorIbNS0_10empty_typeEEEZZNS1_27merge_sort_block_merge_implIS3_PbPS5_jNS1_19radix_merge_compareILb1ELb0EbNS0_19identity_decomposerEEEEE10hipError_tT0_T1_T2_jT3_P12ihipStream_tbPNSt15iterator_traitsISE_E10value_typeEPNSK_ISF_E10value_typeEPSG_NS1_7vsmem_tEENKUlT_SE_SF_SG_E_clIS8_S8_S9_S9_EESD_ST_SE_SF_SG_EUlST_E1_NS1_11comp_targetILNS1_3genE3ELNS1_11target_archE908ELNS1_3gpuE7ELNS1_3repE0EEENS1_36merge_oddeven_config_static_selectorELNS0_4arch9wavefront6targetE0EEEvSF_.num_named_barrier, 0
	.set _ZN7rocprim17ROCPRIM_400000_NS6detail17trampoline_kernelINS0_14default_configENS1_38merge_sort_block_merge_config_selectorIbNS0_10empty_typeEEEZZNS1_27merge_sort_block_merge_implIS3_PbPS5_jNS1_19radix_merge_compareILb1ELb0EbNS0_19identity_decomposerEEEEE10hipError_tT0_T1_T2_jT3_P12ihipStream_tbPNSt15iterator_traitsISE_E10value_typeEPNSK_ISF_E10value_typeEPSG_NS1_7vsmem_tEENKUlT_SE_SF_SG_E_clIS8_S8_S9_S9_EESD_ST_SE_SF_SG_EUlST_E1_NS1_11comp_targetILNS1_3genE3ELNS1_11target_archE908ELNS1_3gpuE7ELNS1_3repE0EEENS1_36merge_oddeven_config_static_selectorELNS0_4arch9wavefront6targetE0EEEvSF_.private_seg_size, 0
	.set _ZN7rocprim17ROCPRIM_400000_NS6detail17trampoline_kernelINS0_14default_configENS1_38merge_sort_block_merge_config_selectorIbNS0_10empty_typeEEEZZNS1_27merge_sort_block_merge_implIS3_PbPS5_jNS1_19radix_merge_compareILb1ELb0EbNS0_19identity_decomposerEEEEE10hipError_tT0_T1_T2_jT3_P12ihipStream_tbPNSt15iterator_traitsISE_E10value_typeEPNSK_ISF_E10value_typeEPSG_NS1_7vsmem_tEENKUlT_SE_SF_SG_E_clIS8_S8_S9_S9_EESD_ST_SE_SF_SG_EUlST_E1_NS1_11comp_targetILNS1_3genE3ELNS1_11target_archE908ELNS1_3gpuE7ELNS1_3repE0EEENS1_36merge_oddeven_config_static_selectorELNS0_4arch9wavefront6targetE0EEEvSF_.uses_vcc, 0
	.set _ZN7rocprim17ROCPRIM_400000_NS6detail17trampoline_kernelINS0_14default_configENS1_38merge_sort_block_merge_config_selectorIbNS0_10empty_typeEEEZZNS1_27merge_sort_block_merge_implIS3_PbPS5_jNS1_19radix_merge_compareILb1ELb0EbNS0_19identity_decomposerEEEEE10hipError_tT0_T1_T2_jT3_P12ihipStream_tbPNSt15iterator_traitsISE_E10value_typeEPNSK_ISF_E10value_typeEPSG_NS1_7vsmem_tEENKUlT_SE_SF_SG_E_clIS8_S8_S9_S9_EESD_ST_SE_SF_SG_EUlST_E1_NS1_11comp_targetILNS1_3genE3ELNS1_11target_archE908ELNS1_3gpuE7ELNS1_3repE0EEENS1_36merge_oddeven_config_static_selectorELNS0_4arch9wavefront6targetE0EEEvSF_.uses_flat_scratch, 0
	.set _ZN7rocprim17ROCPRIM_400000_NS6detail17trampoline_kernelINS0_14default_configENS1_38merge_sort_block_merge_config_selectorIbNS0_10empty_typeEEEZZNS1_27merge_sort_block_merge_implIS3_PbPS5_jNS1_19radix_merge_compareILb1ELb0EbNS0_19identity_decomposerEEEEE10hipError_tT0_T1_T2_jT3_P12ihipStream_tbPNSt15iterator_traitsISE_E10value_typeEPNSK_ISF_E10value_typeEPSG_NS1_7vsmem_tEENKUlT_SE_SF_SG_E_clIS8_S8_S9_S9_EESD_ST_SE_SF_SG_EUlST_E1_NS1_11comp_targetILNS1_3genE3ELNS1_11target_archE908ELNS1_3gpuE7ELNS1_3repE0EEENS1_36merge_oddeven_config_static_selectorELNS0_4arch9wavefront6targetE0EEEvSF_.has_dyn_sized_stack, 0
	.set _ZN7rocprim17ROCPRIM_400000_NS6detail17trampoline_kernelINS0_14default_configENS1_38merge_sort_block_merge_config_selectorIbNS0_10empty_typeEEEZZNS1_27merge_sort_block_merge_implIS3_PbPS5_jNS1_19radix_merge_compareILb1ELb0EbNS0_19identity_decomposerEEEEE10hipError_tT0_T1_T2_jT3_P12ihipStream_tbPNSt15iterator_traitsISE_E10value_typeEPNSK_ISF_E10value_typeEPSG_NS1_7vsmem_tEENKUlT_SE_SF_SG_E_clIS8_S8_S9_S9_EESD_ST_SE_SF_SG_EUlST_E1_NS1_11comp_targetILNS1_3genE3ELNS1_11target_archE908ELNS1_3gpuE7ELNS1_3repE0EEENS1_36merge_oddeven_config_static_selectorELNS0_4arch9wavefront6targetE0EEEvSF_.has_recursion, 0
	.set _ZN7rocprim17ROCPRIM_400000_NS6detail17trampoline_kernelINS0_14default_configENS1_38merge_sort_block_merge_config_selectorIbNS0_10empty_typeEEEZZNS1_27merge_sort_block_merge_implIS3_PbPS5_jNS1_19radix_merge_compareILb1ELb0EbNS0_19identity_decomposerEEEEE10hipError_tT0_T1_T2_jT3_P12ihipStream_tbPNSt15iterator_traitsISE_E10value_typeEPNSK_ISF_E10value_typeEPSG_NS1_7vsmem_tEENKUlT_SE_SF_SG_E_clIS8_S8_S9_S9_EESD_ST_SE_SF_SG_EUlST_E1_NS1_11comp_targetILNS1_3genE3ELNS1_11target_archE908ELNS1_3gpuE7ELNS1_3repE0EEENS1_36merge_oddeven_config_static_selectorELNS0_4arch9wavefront6targetE0EEEvSF_.has_indirect_call, 0
	.section	.AMDGPU.csdata,"",@progbits
; Kernel info:
; codeLenInByte = 0
; TotalNumSgprs: 0
; NumVgprs: 0
; ScratchSize: 0
; MemoryBound: 0
; FloatMode: 240
; IeeeMode: 1
; LDSByteSize: 0 bytes/workgroup (compile time only)
; SGPRBlocks: 0
; VGPRBlocks: 0
; NumSGPRsForWavesPerEU: 1
; NumVGPRsForWavesPerEU: 1
; NamedBarCnt: 0
; Occupancy: 16
; WaveLimiterHint : 0
; COMPUTE_PGM_RSRC2:SCRATCH_EN: 0
; COMPUTE_PGM_RSRC2:USER_SGPR: 2
; COMPUTE_PGM_RSRC2:TRAP_HANDLER: 0
; COMPUTE_PGM_RSRC2:TGID_X_EN: 1
; COMPUTE_PGM_RSRC2:TGID_Y_EN: 0
; COMPUTE_PGM_RSRC2:TGID_Z_EN: 0
; COMPUTE_PGM_RSRC2:TIDIG_COMP_CNT: 0
	.section	.text._ZN7rocprim17ROCPRIM_400000_NS6detail17trampoline_kernelINS0_14default_configENS1_38merge_sort_block_merge_config_selectorIbNS0_10empty_typeEEEZZNS1_27merge_sort_block_merge_implIS3_PbPS5_jNS1_19radix_merge_compareILb1ELb0EbNS0_19identity_decomposerEEEEE10hipError_tT0_T1_T2_jT3_P12ihipStream_tbPNSt15iterator_traitsISE_E10value_typeEPNSK_ISF_E10value_typeEPSG_NS1_7vsmem_tEENKUlT_SE_SF_SG_E_clIS8_S8_S9_S9_EESD_ST_SE_SF_SG_EUlST_E1_NS1_11comp_targetILNS1_3genE2ELNS1_11target_archE906ELNS1_3gpuE6ELNS1_3repE0EEENS1_36merge_oddeven_config_static_selectorELNS0_4arch9wavefront6targetE0EEEvSF_,"axG",@progbits,_ZN7rocprim17ROCPRIM_400000_NS6detail17trampoline_kernelINS0_14default_configENS1_38merge_sort_block_merge_config_selectorIbNS0_10empty_typeEEEZZNS1_27merge_sort_block_merge_implIS3_PbPS5_jNS1_19radix_merge_compareILb1ELb0EbNS0_19identity_decomposerEEEEE10hipError_tT0_T1_T2_jT3_P12ihipStream_tbPNSt15iterator_traitsISE_E10value_typeEPNSK_ISF_E10value_typeEPSG_NS1_7vsmem_tEENKUlT_SE_SF_SG_E_clIS8_S8_S9_S9_EESD_ST_SE_SF_SG_EUlST_E1_NS1_11comp_targetILNS1_3genE2ELNS1_11target_archE906ELNS1_3gpuE6ELNS1_3repE0EEENS1_36merge_oddeven_config_static_selectorELNS0_4arch9wavefront6targetE0EEEvSF_,comdat
	.protected	_ZN7rocprim17ROCPRIM_400000_NS6detail17trampoline_kernelINS0_14default_configENS1_38merge_sort_block_merge_config_selectorIbNS0_10empty_typeEEEZZNS1_27merge_sort_block_merge_implIS3_PbPS5_jNS1_19radix_merge_compareILb1ELb0EbNS0_19identity_decomposerEEEEE10hipError_tT0_T1_T2_jT3_P12ihipStream_tbPNSt15iterator_traitsISE_E10value_typeEPNSK_ISF_E10value_typeEPSG_NS1_7vsmem_tEENKUlT_SE_SF_SG_E_clIS8_S8_S9_S9_EESD_ST_SE_SF_SG_EUlST_E1_NS1_11comp_targetILNS1_3genE2ELNS1_11target_archE906ELNS1_3gpuE6ELNS1_3repE0EEENS1_36merge_oddeven_config_static_selectorELNS0_4arch9wavefront6targetE0EEEvSF_ ; -- Begin function _ZN7rocprim17ROCPRIM_400000_NS6detail17trampoline_kernelINS0_14default_configENS1_38merge_sort_block_merge_config_selectorIbNS0_10empty_typeEEEZZNS1_27merge_sort_block_merge_implIS3_PbPS5_jNS1_19radix_merge_compareILb1ELb0EbNS0_19identity_decomposerEEEEE10hipError_tT0_T1_T2_jT3_P12ihipStream_tbPNSt15iterator_traitsISE_E10value_typeEPNSK_ISF_E10value_typeEPSG_NS1_7vsmem_tEENKUlT_SE_SF_SG_E_clIS8_S8_S9_S9_EESD_ST_SE_SF_SG_EUlST_E1_NS1_11comp_targetILNS1_3genE2ELNS1_11target_archE906ELNS1_3gpuE6ELNS1_3repE0EEENS1_36merge_oddeven_config_static_selectorELNS0_4arch9wavefront6targetE0EEEvSF_
	.globl	_ZN7rocprim17ROCPRIM_400000_NS6detail17trampoline_kernelINS0_14default_configENS1_38merge_sort_block_merge_config_selectorIbNS0_10empty_typeEEEZZNS1_27merge_sort_block_merge_implIS3_PbPS5_jNS1_19radix_merge_compareILb1ELb0EbNS0_19identity_decomposerEEEEE10hipError_tT0_T1_T2_jT3_P12ihipStream_tbPNSt15iterator_traitsISE_E10value_typeEPNSK_ISF_E10value_typeEPSG_NS1_7vsmem_tEENKUlT_SE_SF_SG_E_clIS8_S8_S9_S9_EESD_ST_SE_SF_SG_EUlST_E1_NS1_11comp_targetILNS1_3genE2ELNS1_11target_archE906ELNS1_3gpuE6ELNS1_3repE0EEENS1_36merge_oddeven_config_static_selectorELNS0_4arch9wavefront6targetE0EEEvSF_
	.p2align	8
	.type	_ZN7rocprim17ROCPRIM_400000_NS6detail17trampoline_kernelINS0_14default_configENS1_38merge_sort_block_merge_config_selectorIbNS0_10empty_typeEEEZZNS1_27merge_sort_block_merge_implIS3_PbPS5_jNS1_19radix_merge_compareILb1ELb0EbNS0_19identity_decomposerEEEEE10hipError_tT0_T1_T2_jT3_P12ihipStream_tbPNSt15iterator_traitsISE_E10value_typeEPNSK_ISF_E10value_typeEPSG_NS1_7vsmem_tEENKUlT_SE_SF_SG_E_clIS8_S8_S9_S9_EESD_ST_SE_SF_SG_EUlST_E1_NS1_11comp_targetILNS1_3genE2ELNS1_11target_archE906ELNS1_3gpuE6ELNS1_3repE0EEENS1_36merge_oddeven_config_static_selectorELNS0_4arch9wavefront6targetE0EEEvSF_,@function
_ZN7rocprim17ROCPRIM_400000_NS6detail17trampoline_kernelINS0_14default_configENS1_38merge_sort_block_merge_config_selectorIbNS0_10empty_typeEEEZZNS1_27merge_sort_block_merge_implIS3_PbPS5_jNS1_19radix_merge_compareILb1ELb0EbNS0_19identity_decomposerEEEEE10hipError_tT0_T1_T2_jT3_P12ihipStream_tbPNSt15iterator_traitsISE_E10value_typeEPNSK_ISF_E10value_typeEPSG_NS1_7vsmem_tEENKUlT_SE_SF_SG_E_clIS8_S8_S9_S9_EESD_ST_SE_SF_SG_EUlST_E1_NS1_11comp_targetILNS1_3genE2ELNS1_11target_archE906ELNS1_3gpuE6ELNS1_3repE0EEENS1_36merge_oddeven_config_static_selectorELNS0_4arch9wavefront6targetE0EEEvSF_: ; @_ZN7rocprim17ROCPRIM_400000_NS6detail17trampoline_kernelINS0_14default_configENS1_38merge_sort_block_merge_config_selectorIbNS0_10empty_typeEEEZZNS1_27merge_sort_block_merge_implIS3_PbPS5_jNS1_19radix_merge_compareILb1ELb0EbNS0_19identity_decomposerEEEEE10hipError_tT0_T1_T2_jT3_P12ihipStream_tbPNSt15iterator_traitsISE_E10value_typeEPNSK_ISF_E10value_typeEPSG_NS1_7vsmem_tEENKUlT_SE_SF_SG_E_clIS8_S8_S9_S9_EESD_ST_SE_SF_SG_EUlST_E1_NS1_11comp_targetILNS1_3genE2ELNS1_11target_archE906ELNS1_3gpuE6ELNS1_3repE0EEENS1_36merge_oddeven_config_static_selectorELNS0_4arch9wavefront6targetE0EEEvSF_
; %bb.0:
	.section	.rodata,"a",@progbits
	.p2align	6, 0x0
	.amdhsa_kernel _ZN7rocprim17ROCPRIM_400000_NS6detail17trampoline_kernelINS0_14default_configENS1_38merge_sort_block_merge_config_selectorIbNS0_10empty_typeEEEZZNS1_27merge_sort_block_merge_implIS3_PbPS5_jNS1_19radix_merge_compareILb1ELb0EbNS0_19identity_decomposerEEEEE10hipError_tT0_T1_T2_jT3_P12ihipStream_tbPNSt15iterator_traitsISE_E10value_typeEPNSK_ISF_E10value_typeEPSG_NS1_7vsmem_tEENKUlT_SE_SF_SG_E_clIS8_S8_S9_S9_EESD_ST_SE_SF_SG_EUlST_E1_NS1_11comp_targetILNS1_3genE2ELNS1_11target_archE906ELNS1_3gpuE6ELNS1_3repE0EEENS1_36merge_oddeven_config_static_selectorELNS0_4arch9wavefront6targetE0EEEvSF_
		.amdhsa_group_segment_fixed_size 0
		.amdhsa_private_segment_fixed_size 0
		.amdhsa_kernarg_size 48
		.amdhsa_user_sgpr_count 2
		.amdhsa_user_sgpr_dispatch_ptr 0
		.amdhsa_user_sgpr_queue_ptr 0
		.amdhsa_user_sgpr_kernarg_segment_ptr 1
		.amdhsa_user_sgpr_dispatch_id 0
		.amdhsa_user_sgpr_kernarg_preload_length 0
		.amdhsa_user_sgpr_kernarg_preload_offset 0
		.amdhsa_user_sgpr_private_segment_size 0
		.amdhsa_wavefront_size32 1
		.amdhsa_uses_dynamic_stack 0
		.amdhsa_enable_private_segment 0
		.amdhsa_system_sgpr_workgroup_id_x 1
		.amdhsa_system_sgpr_workgroup_id_y 0
		.amdhsa_system_sgpr_workgroup_id_z 0
		.amdhsa_system_sgpr_workgroup_info 0
		.amdhsa_system_vgpr_workitem_id 0
		.amdhsa_next_free_vgpr 1
		.amdhsa_next_free_sgpr 1
		.amdhsa_named_barrier_count 0
		.amdhsa_reserve_vcc 0
		.amdhsa_float_round_mode_32 0
		.amdhsa_float_round_mode_16_64 0
		.amdhsa_float_denorm_mode_32 3
		.amdhsa_float_denorm_mode_16_64 3
		.amdhsa_fp16_overflow 0
		.amdhsa_memory_ordered 1
		.amdhsa_forward_progress 1
		.amdhsa_inst_pref_size 0
		.amdhsa_round_robin_scheduling 0
		.amdhsa_exception_fp_ieee_invalid_op 0
		.amdhsa_exception_fp_denorm_src 0
		.amdhsa_exception_fp_ieee_div_zero 0
		.amdhsa_exception_fp_ieee_overflow 0
		.amdhsa_exception_fp_ieee_underflow 0
		.amdhsa_exception_fp_ieee_inexact 0
		.amdhsa_exception_int_div_zero 0
	.end_amdhsa_kernel
	.section	.text._ZN7rocprim17ROCPRIM_400000_NS6detail17trampoline_kernelINS0_14default_configENS1_38merge_sort_block_merge_config_selectorIbNS0_10empty_typeEEEZZNS1_27merge_sort_block_merge_implIS3_PbPS5_jNS1_19radix_merge_compareILb1ELb0EbNS0_19identity_decomposerEEEEE10hipError_tT0_T1_T2_jT3_P12ihipStream_tbPNSt15iterator_traitsISE_E10value_typeEPNSK_ISF_E10value_typeEPSG_NS1_7vsmem_tEENKUlT_SE_SF_SG_E_clIS8_S8_S9_S9_EESD_ST_SE_SF_SG_EUlST_E1_NS1_11comp_targetILNS1_3genE2ELNS1_11target_archE906ELNS1_3gpuE6ELNS1_3repE0EEENS1_36merge_oddeven_config_static_selectorELNS0_4arch9wavefront6targetE0EEEvSF_,"axG",@progbits,_ZN7rocprim17ROCPRIM_400000_NS6detail17trampoline_kernelINS0_14default_configENS1_38merge_sort_block_merge_config_selectorIbNS0_10empty_typeEEEZZNS1_27merge_sort_block_merge_implIS3_PbPS5_jNS1_19radix_merge_compareILb1ELb0EbNS0_19identity_decomposerEEEEE10hipError_tT0_T1_T2_jT3_P12ihipStream_tbPNSt15iterator_traitsISE_E10value_typeEPNSK_ISF_E10value_typeEPSG_NS1_7vsmem_tEENKUlT_SE_SF_SG_E_clIS8_S8_S9_S9_EESD_ST_SE_SF_SG_EUlST_E1_NS1_11comp_targetILNS1_3genE2ELNS1_11target_archE906ELNS1_3gpuE6ELNS1_3repE0EEENS1_36merge_oddeven_config_static_selectorELNS0_4arch9wavefront6targetE0EEEvSF_,comdat
.Lfunc_end1680:
	.size	_ZN7rocprim17ROCPRIM_400000_NS6detail17trampoline_kernelINS0_14default_configENS1_38merge_sort_block_merge_config_selectorIbNS0_10empty_typeEEEZZNS1_27merge_sort_block_merge_implIS3_PbPS5_jNS1_19radix_merge_compareILb1ELb0EbNS0_19identity_decomposerEEEEE10hipError_tT0_T1_T2_jT3_P12ihipStream_tbPNSt15iterator_traitsISE_E10value_typeEPNSK_ISF_E10value_typeEPSG_NS1_7vsmem_tEENKUlT_SE_SF_SG_E_clIS8_S8_S9_S9_EESD_ST_SE_SF_SG_EUlST_E1_NS1_11comp_targetILNS1_3genE2ELNS1_11target_archE906ELNS1_3gpuE6ELNS1_3repE0EEENS1_36merge_oddeven_config_static_selectorELNS0_4arch9wavefront6targetE0EEEvSF_, .Lfunc_end1680-_ZN7rocprim17ROCPRIM_400000_NS6detail17trampoline_kernelINS0_14default_configENS1_38merge_sort_block_merge_config_selectorIbNS0_10empty_typeEEEZZNS1_27merge_sort_block_merge_implIS3_PbPS5_jNS1_19radix_merge_compareILb1ELb0EbNS0_19identity_decomposerEEEEE10hipError_tT0_T1_T2_jT3_P12ihipStream_tbPNSt15iterator_traitsISE_E10value_typeEPNSK_ISF_E10value_typeEPSG_NS1_7vsmem_tEENKUlT_SE_SF_SG_E_clIS8_S8_S9_S9_EESD_ST_SE_SF_SG_EUlST_E1_NS1_11comp_targetILNS1_3genE2ELNS1_11target_archE906ELNS1_3gpuE6ELNS1_3repE0EEENS1_36merge_oddeven_config_static_selectorELNS0_4arch9wavefront6targetE0EEEvSF_
                                        ; -- End function
	.set _ZN7rocprim17ROCPRIM_400000_NS6detail17trampoline_kernelINS0_14default_configENS1_38merge_sort_block_merge_config_selectorIbNS0_10empty_typeEEEZZNS1_27merge_sort_block_merge_implIS3_PbPS5_jNS1_19radix_merge_compareILb1ELb0EbNS0_19identity_decomposerEEEEE10hipError_tT0_T1_T2_jT3_P12ihipStream_tbPNSt15iterator_traitsISE_E10value_typeEPNSK_ISF_E10value_typeEPSG_NS1_7vsmem_tEENKUlT_SE_SF_SG_E_clIS8_S8_S9_S9_EESD_ST_SE_SF_SG_EUlST_E1_NS1_11comp_targetILNS1_3genE2ELNS1_11target_archE906ELNS1_3gpuE6ELNS1_3repE0EEENS1_36merge_oddeven_config_static_selectorELNS0_4arch9wavefront6targetE0EEEvSF_.num_vgpr, 0
	.set _ZN7rocprim17ROCPRIM_400000_NS6detail17trampoline_kernelINS0_14default_configENS1_38merge_sort_block_merge_config_selectorIbNS0_10empty_typeEEEZZNS1_27merge_sort_block_merge_implIS3_PbPS5_jNS1_19radix_merge_compareILb1ELb0EbNS0_19identity_decomposerEEEEE10hipError_tT0_T1_T2_jT3_P12ihipStream_tbPNSt15iterator_traitsISE_E10value_typeEPNSK_ISF_E10value_typeEPSG_NS1_7vsmem_tEENKUlT_SE_SF_SG_E_clIS8_S8_S9_S9_EESD_ST_SE_SF_SG_EUlST_E1_NS1_11comp_targetILNS1_3genE2ELNS1_11target_archE906ELNS1_3gpuE6ELNS1_3repE0EEENS1_36merge_oddeven_config_static_selectorELNS0_4arch9wavefront6targetE0EEEvSF_.num_agpr, 0
	.set _ZN7rocprim17ROCPRIM_400000_NS6detail17trampoline_kernelINS0_14default_configENS1_38merge_sort_block_merge_config_selectorIbNS0_10empty_typeEEEZZNS1_27merge_sort_block_merge_implIS3_PbPS5_jNS1_19radix_merge_compareILb1ELb0EbNS0_19identity_decomposerEEEEE10hipError_tT0_T1_T2_jT3_P12ihipStream_tbPNSt15iterator_traitsISE_E10value_typeEPNSK_ISF_E10value_typeEPSG_NS1_7vsmem_tEENKUlT_SE_SF_SG_E_clIS8_S8_S9_S9_EESD_ST_SE_SF_SG_EUlST_E1_NS1_11comp_targetILNS1_3genE2ELNS1_11target_archE906ELNS1_3gpuE6ELNS1_3repE0EEENS1_36merge_oddeven_config_static_selectorELNS0_4arch9wavefront6targetE0EEEvSF_.numbered_sgpr, 0
	.set _ZN7rocprim17ROCPRIM_400000_NS6detail17trampoline_kernelINS0_14default_configENS1_38merge_sort_block_merge_config_selectorIbNS0_10empty_typeEEEZZNS1_27merge_sort_block_merge_implIS3_PbPS5_jNS1_19radix_merge_compareILb1ELb0EbNS0_19identity_decomposerEEEEE10hipError_tT0_T1_T2_jT3_P12ihipStream_tbPNSt15iterator_traitsISE_E10value_typeEPNSK_ISF_E10value_typeEPSG_NS1_7vsmem_tEENKUlT_SE_SF_SG_E_clIS8_S8_S9_S9_EESD_ST_SE_SF_SG_EUlST_E1_NS1_11comp_targetILNS1_3genE2ELNS1_11target_archE906ELNS1_3gpuE6ELNS1_3repE0EEENS1_36merge_oddeven_config_static_selectorELNS0_4arch9wavefront6targetE0EEEvSF_.num_named_barrier, 0
	.set _ZN7rocprim17ROCPRIM_400000_NS6detail17trampoline_kernelINS0_14default_configENS1_38merge_sort_block_merge_config_selectorIbNS0_10empty_typeEEEZZNS1_27merge_sort_block_merge_implIS3_PbPS5_jNS1_19radix_merge_compareILb1ELb0EbNS0_19identity_decomposerEEEEE10hipError_tT0_T1_T2_jT3_P12ihipStream_tbPNSt15iterator_traitsISE_E10value_typeEPNSK_ISF_E10value_typeEPSG_NS1_7vsmem_tEENKUlT_SE_SF_SG_E_clIS8_S8_S9_S9_EESD_ST_SE_SF_SG_EUlST_E1_NS1_11comp_targetILNS1_3genE2ELNS1_11target_archE906ELNS1_3gpuE6ELNS1_3repE0EEENS1_36merge_oddeven_config_static_selectorELNS0_4arch9wavefront6targetE0EEEvSF_.private_seg_size, 0
	.set _ZN7rocprim17ROCPRIM_400000_NS6detail17trampoline_kernelINS0_14default_configENS1_38merge_sort_block_merge_config_selectorIbNS0_10empty_typeEEEZZNS1_27merge_sort_block_merge_implIS3_PbPS5_jNS1_19radix_merge_compareILb1ELb0EbNS0_19identity_decomposerEEEEE10hipError_tT0_T1_T2_jT3_P12ihipStream_tbPNSt15iterator_traitsISE_E10value_typeEPNSK_ISF_E10value_typeEPSG_NS1_7vsmem_tEENKUlT_SE_SF_SG_E_clIS8_S8_S9_S9_EESD_ST_SE_SF_SG_EUlST_E1_NS1_11comp_targetILNS1_3genE2ELNS1_11target_archE906ELNS1_3gpuE6ELNS1_3repE0EEENS1_36merge_oddeven_config_static_selectorELNS0_4arch9wavefront6targetE0EEEvSF_.uses_vcc, 0
	.set _ZN7rocprim17ROCPRIM_400000_NS6detail17trampoline_kernelINS0_14default_configENS1_38merge_sort_block_merge_config_selectorIbNS0_10empty_typeEEEZZNS1_27merge_sort_block_merge_implIS3_PbPS5_jNS1_19radix_merge_compareILb1ELb0EbNS0_19identity_decomposerEEEEE10hipError_tT0_T1_T2_jT3_P12ihipStream_tbPNSt15iterator_traitsISE_E10value_typeEPNSK_ISF_E10value_typeEPSG_NS1_7vsmem_tEENKUlT_SE_SF_SG_E_clIS8_S8_S9_S9_EESD_ST_SE_SF_SG_EUlST_E1_NS1_11comp_targetILNS1_3genE2ELNS1_11target_archE906ELNS1_3gpuE6ELNS1_3repE0EEENS1_36merge_oddeven_config_static_selectorELNS0_4arch9wavefront6targetE0EEEvSF_.uses_flat_scratch, 0
	.set _ZN7rocprim17ROCPRIM_400000_NS6detail17trampoline_kernelINS0_14default_configENS1_38merge_sort_block_merge_config_selectorIbNS0_10empty_typeEEEZZNS1_27merge_sort_block_merge_implIS3_PbPS5_jNS1_19radix_merge_compareILb1ELb0EbNS0_19identity_decomposerEEEEE10hipError_tT0_T1_T2_jT3_P12ihipStream_tbPNSt15iterator_traitsISE_E10value_typeEPNSK_ISF_E10value_typeEPSG_NS1_7vsmem_tEENKUlT_SE_SF_SG_E_clIS8_S8_S9_S9_EESD_ST_SE_SF_SG_EUlST_E1_NS1_11comp_targetILNS1_3genE2ELNS1_11target_archE906ELNS1_3gpuE6ELNS1_3repE0EEENS1_36merge_oddeven_config_static_selectorELNS0_4arch9wavefront6targetE0EEEvSF_.has_dyn_sized_stack, 0
	.set _ZN7rocprim17ROCPRIM_400000_NS6detail17trampoline_kernelINS0_14default_configENS1_38merge_sort_block_merge_config_selectorIbNS0_10empty_typeEEEZZNS1_27merge_sort_block_merge_implIS3_PbPS5_jNS1_19radix_merge_compareILb1ELb0EbNS0_19identity_decomposerEEEEE10hipError_tT0_T1_T2_jT3_P12ihipStream_tbPNSt15iterator_traitsISE_E10value_typeEPNSK_ISF_E10value_typeEPSG_NS1_7vsmem_tEENKUlT_SE_SF_SG_E_clIS8_S8_S9_S9_EESD_ST_SE_SF_SG_EUlST_E1_NS1_11comp_targetILNS1_3genE2ELNS1_11target_archE906ELNS1_3gpuE6ELNS1_3repE0EEENS1_36merge_oddeven_config_static_selectorELNS0_4arch9wavefront6targetE0EEEvSF_.has_recursion, 0
	.set _ZN7rocprim17ROCPRIM_400000_NS6detail17trampoline_kernelINS0_14default_configENS1_38merge_sort_block_merge_config_selectorIbNS0_10empty_typeEEEZZNS1_27merge_sort_block_merge_implIS3_PbPS5_jNS1_19radix_merge_compareILb1ELb0EbNS0_19identity_decomposerEEEEE10hipError_tT0_T1_T2_jT3_P12ihipStream_tbPNSt15iterator_traitsISE_E10value_typeEPNSK_ISF_E10value_typeEPSG_NS1_7vsmem_tEENKUlT_SE_SF_SG_E_clIS8_S8_S9_S9_EESD_ST_SE_SF_SG_EUlST_E1_NS1_11comp_targetILNS1_3genE2ELNS1_11target_archE906ELNS1_3gpuE6ELNS1_3repE0EEENS1_36merge_oddeven_config_static_selectorELNS0_4arch9wavefront6targetE0EEEvSF_.has_indirect_call, 0
	.section	.AMDGPU.csdata,"",@progbits
; Kernel info:
; codeLenInByte = 0
; TotalNumSgprs: 0
; NumVgprs: 0
; ScratchSize: 0
; MemoryBound: 0
; FloatMode: 240
; IeeeMode: 1
; LDSByteSize: 0 bytes/workgroup (compile time only)
; SGPRBlocks: 0
; VGPRBlocks: 0
; NumSGPRsForWavesPerEU: 1
; NumVGPRsForWavesPerEU: 1
; NamedBarCnt: 0
; Occupancy: 16
; WaveLimiterHint : 0
; COMPUTE_PGM_RSRC2:SCRATCH_EN: 0
; COMPUTE_PGM_RSRC2:USER_SGPR: 2
; COMPUTE_PGM_RSRC2:TRAP_HANDLER: 0
; COMPUTE_PGM_RSRC2:TGID_X_EN: 1
; COMPUTE_PGM_RSRC2:TGID_Y_EN: 0
; COMPUTE_PGM_RSRC2:TGID_Z_EN: 0
; COMPUTE_PGM_RSRC2:TIDIG_COMP_CNT: 0
	.section	.text._ZN7rocprim17ROCPRIM_400000_NS6detail17trampoline_kernelINS0_14default_configENS1_38merge_sort_block_merge_config_selectorIbNS0_10empty_typeEEEZZNS1_27merge_sort_block_merge_implIS3_PbPS5_jNS1_19radix_merge_compareILb1ELb0EbNS0_19identity_decomposerEEEEE10hipError_tT0_T1_T2_jT3_P12ihipStream_tbPNSt15iterator_traitsISE_E10value_typeEPNSK_ISF_E10value_typeEPSG_NS1_7vsmem_tEENKUlT_SE_SF_SG_E_clIS8_S8_S9_S9_EESD_ST_SE_SF_SG_EUlST_E1_NS1_11comp_targetILNS1_3genE9ELNS1_11target_archE1100ELNS1_3gpuE3ELNS1_3repE0EEENS1_36merge_oddeven_config_static_selectorELNS0_4arch9wavefront6targetE0EEEvSF_,"axG",@progbits,_ZN7rocprim17ROCPRIM_400000_NS6detail17trampoline_kernelINS0_14default_configENS1_38merge_sort_block_merge_config_selectorIbNS0_10empty_typeEEEZZNS1_27merge_sort_block_merge_implIS3_PbPS5_jNS1_19radix_merge_compareILb1ELb0EbNS0_19identity_decomposerEEEEE10hipError_tT0_T1_T2_jT3_P12ihipStream_tbPNSt15iterator_traitsISE_E10value_typeEPNSK_ISF_E10value_typeEPSG_NS1_7vsmem_tEENKUlT_SE_SF_SG_E_clIS8_S8_S9_S9_EESD_ST_SE_SF_SG_EUlST_E1_NS1_11comp_targetILNS1_3genE9ELNS1_11target_archE1100ELNS1_3gpuE3ELNS1_3repE0EEENS1_36merge_oddeven_config_static_selectorELNS0_4arch9wavefront6targetE0EEEvSF_,comdat
	.protected	_ZN7rocprim17ROCPRIM_400000_NS6detail17trampoline_kernelINS0_14default_configENS1_38merge_sort_block_merge_config_selectorIbNS0_10empty_typeEEEZZNS1_27merge_sort_block_merge_implIS3_PbPS5_jNS1_19radix_merge_compareILb1ELb0EbNS0_19identity_decomposerEEEEE10hipError_tT0_T1_T2_jT3_P12ihipStream_tbPNSt15iterator_traitsISE_E10value_typeEPNSK_ISF_E10value_typeEPSG_NS1_7vsmem_tEENKUlT_SE_SF_SG_E_clIS8_S8_S9_S9_EESD_ST_SE_SF_SG_EUlST_E1_NS1_11comp_targetILNS1_3genE9ELNS1_11target_archE1100ELNS1_3gpuE3ELNS1_3repE0EEENS1_36merge_oddeven_config_static_selectorELNS0_4arch9wavefront6targetE0EEEvSF_ ; -- Begin function _ZN7rocprim17ROCPRIM_400000_NS6detail17trampoline_kernelINS0_14default_configENS1_38merge_sort_block_merge_config_selectorIbNS0_10empty_typeEEEZZNS1_27merge_sort_block_merge_implIS3_PbPS5_jNS1_19radix_merge_compareILb1ELb0EbNS0_19identity_decomposerEEEEE10hipError_tT0_T1_T2_jT3_P12ihipStream_tbPNSt15iterator_traitsISE_E10value_typeEPNSK_ISF_E10value_typeEPSG_NS1_7vsmem_tEENKUlT_SE_SF_SG_E_clIS8_S8_S9_S9_EESD_ST_SE_SF_SG_EUlST_E1_NS1_11comp_targetILNS1_3genE9ELNS1_11target_archE1100ELNS1_3gpuE3ELNS1_3repE0EEENS1_36merge_oddeven_config_static_selectorELNS0_4arch9wavefront6targetE0EEEvSF_
	.globl	_ZN7rocprim17ROCPRIM_400000_NS6detail17trampoline_kernelINS0_14default_configENS1_38merge_sort_block_merge_config_selectorIbNS0_10empty_typeEEEZZNS1_27merge_sort_block_merge_implIS3_PbPS5_jNS1_19radix_merge_compareILb1ELb0EbNS0_19identity_decomposerEEEEE10hipError_tT0_T1_T2_jT3_P12ihipStream_tbPNSt15iterator_traitsISE_E10value_typeEPNSK_ISF_E10value_typeEPSG_NS1_7vsmem_tEENKUlT_SE_SF_SG_E_clIS8_S8_S9_S9_EESD_ST_SE_SF_SG_EUlST_E1_NS1_11comp_targetILNS1_3genE9ELNS1_11target_archE1100ELNS1_3gpuE3ELNS1_3repE0EEENS1_36merge_oddeven_config_static_selectorELNS0_4arch9wavefront6targetE0EEEvSF_
	.p2align	8
	.type	_ZN7rocprim17ROCPRIM_400000_NS6detail17trampoline_kernelINS0_14default_configENS1_38merge_sort_block_merge_config_selectorIbNS0_10empty_typeEEEZZNS1_27merge_sort_block_merge_implIS3_PbPS5_jNS1_19radix_merge_compareILb1ELb0EbNS0_19identity_decomposerEEEEE10hipError_tT0_T1_T2_jT3_P12ihipStream_tbPNSt15iterator_traitsISE_E10value_typeEPNSK_ISF_E10value_typeEPSG_NS1_7vsmem_tEENKUlT_SE_SF_SG_E_clIS8_S8_S9_S9_EESD_ST_SE_SF_SG_EUlST_E1_NS1_11comp_targetILNS1_3genE9ELNS1_11target_archE1100ELNS1_3gpuE3ELNS1_3repE0EEENS1_36merge_oddeven_config_static_selectorELNS0_4arch9wavefront6targetE0EEEvSF_,@function
_ZN7rocprim17ROCPRIM_400000_NS6detail17trampoline_kernelINS0_14default_configENS1_38merge_sort_block_merge_config_selectorIbNS0_10empty_typeEEEZZNS1_27merge_sort_block_merge_implIS3_PbPS5_jNS1_19radix_merge_compareILb1ELb0EbNS0_19identity_decomposerEEEEE10hipError_tT0_T1_T2_jT3_P12ihipStream_tbPNSt15iterator_traitsISE_E10value_typeEPNSK_ISF_E10value_typeEPSG_NS1_7vsmem_tEENKUlT_SE_SF_SG_E_clIS8_S8_S9_S9_EESD_ST_SE_SF_SG_EUlST_E1_NS1_11comp_targetILNS1_3genE9ELNS1_11target_archE1100ELNS1_3gpuE3ELNS1_3repE0EEENS1_36merge_oddeven_config_static_selectorELNS0_4arch9wavefront6targetE0EEEvSF_: ; @_ZN7rocprim17ROCPRIM_400000_NS6detail17trampoline_kernelINS0_14default_configENS1_38merge_sort_block_merge_config_selectorIbNS0_10empty_typeEEEZZNS1_27merge_sort_block_merge_implIS3_PbPS5_jNS1_19radix_merge_compareILb1ELb0EbNS0_19identity_decomposerEEEEE10hipError_tT0_T1_T2_jT3_P12ihipStream_tbPNSt15iterator_traitsISE_E10value_typeEPNSK_ISF_E10value_typeEPSG_NS1_7vsmem_tEENKUlT_SE_SF_SG_E_clIS8_S8_S9_S9_EESD_ST_SE_SF_SG_EUlST_E1_NS1_11comp_targetILNS1_3genE9ELNS1_11target_archE1100ELNS1_3gpuE3ELNS1_3repE0EEENS1_36merge_oddeven_config_static_selectorELNS0_4arch9wavefront6targetE0EEEvSF_
; %bb.0:
	.section	.rodata,"a",@progbits
	.p2align	6, 0x0
	.amdhsa_kernel _ZN7rocprim17ROCPRIM_400000_NS6detail17trampoline_kernelINS0_14default_configENS1_38merge_sort_block_merge_config_selectorIbNS0_10empty_typeEEEZZNS1_27merge_sort_block_merge_implIS3_PbPS5_jNS1_19radix_merge_compareILb1ELb0EbNS0_19identity_decomposerEEEEE10hipError_tT0_T1_T2_jT3_P12ihipStream_tbPNSt15iterator_traitsISE_E10value_typeEPNSK_ISF_E10value_typeEPSG_NS1_7vsmem_tEENKUlT_SE_SF_SG_E_clIS8_S8_S9_S9_EESD_ST_SE_SF_SG_EUlST_E1_NS1_11comp_targetILNS1_3genE9ELNS1_11target_archE1100ELNS1_3gpuE3ELNS1_3repE0EEENS1_36merge_oddeven_config_static_selectorELNS0_4arch9wavefront6targetE0EEEvSF_
		.amdhsa_group_segment_fixed_size 0
		.amdhsa_private_segment_fixed_size 0
		.amdhsa_kernarg_size 48
		.amdhsa_user_sgpr_count 2
		.amdhsa_user_sgpr_dispatch_ptr 0
		.amdhsa_user_sgpr_queue_ptr 0
		.amdhsa_user_sgpr_kernarg_segment_ptr 1
		.amdhsa_user_sgpr_dispatch_id 0
		.amdhsa_user_sgpr_kernarg_preload_length 0
		.amdhsa_user_sgpr_kernarg_preload_offset 0
		.amdhsa_user_sgpr_private_segment_size 0
		.amdhsa_wavefront_size32 1
		.amdhsa_uses_dynamic_stack 0
		.amdhsa_enable_private_segment 0
		.amdhsa_system_sgpr_workgroup_id_x 1
		.amdhsa_system_sgpr_workgroup_id_y 0
		.amdhsa_system_sgpr_workgroup_id_z 0
		.amdhsa_system_sgpr_workgroup_info 0
		.amdhsa_system_vgpr_workitem_id 0
		.amdhsa_next_free_vgpr 1
		.amdhsa_next_free_sgpr 1
		.amdhsa_named_barrier_count 0
		.amdhsa_reserve_vcc 0
		.amdhsa_float_round_mode_32 0
		.amdhsa_float_round_mode_16_64 0
		.amdhsa_float_denorm_mode_32 3
		.amdhsa_float_denorm_mode_16_64 3
		.amdhsa_fp16_overflow 0
		.amdhsa_memory_ordered 1
		.amdhsa_forward_progress 1
		.amdhsa_inst_pref_size 0
		.amdhsa_round_robin_scheduling 0
		.amdhsa_exception_fp_ieee_invalid_op 0
		.amdhsa_exception_fp_denorm_src 0
		.amdhsa_exception_fp_ieee_div_zero 0
		.amdhsa_exception_fp_ieee_overflow 0
		.amdhsa_exception_fp_ieee_underflow 0
		.amdhsa_exception_fp_ieee_inexact 0
		.amdhsa_exception_int_div_zero 0
	.end_amdhsa_kernel
	.section	.text._ZN7rocprim17ROCPRIM_400000_NS6detail17trampoline_kernelINS0_14default_configENS1_38merge_sort_block_merge_config_selectorIbNS0_10empty_typeEEEZZNS1_27merge_sort_block_merge_implIS3_PbPS5_jNS1_19radix_merge_compareILb1ELb0EbNS0_19identity_decomposerEEEEE10hipError_tT0_T1_T2_jT3_P12ihipStream_tbPNSt15iterator_traitsISE_E10value_typeEPNSK_ISF_E10value_typeEPSG_NS1_7vsmem_tEENKUlT_SE_SF_SG_E_clIS8_S8_S9_S9_EESD_ST_SE_SF_SG_EUlST_E1_NS1_11comp_targetILNS1_3genE9ELNS1_11target_archE1100ELNS1_3gpuE3ELNS1_3repE0EEENS1_36merge_oddeven_config_static_selectorELNS0_4arch9wavefront6targetE0EEEvSF_,"axG",@progbits,_ZN7rocprim17ROCPRIM_400000_NS6detail17trampoline_kernelINS0_14default_configENS1_38merge_sort_block_merge_config_selectorIbNS0_10empty_typeEEEZZNS1_27merge_sort_block_merge_implIS3_PbPS5_jNS1_19radix_merge_compareILb1ELb0EbNS0_19identity_decomposerEEEEE10hipError_tT0_T1_T2_jT3_P12ihipStream_tbPNSt15iterator_traitsISE_E10value_typeEPNSK_ISF_E10value_typeEPSG_NS1_7vsmem_tEENKUlT_SE_SF_SG_E_clIS8_S8_S9_S9_EESD_ST_SE_SF_SG_EUlST_E1_NS1_11comp_targetILNS1_3genE9ELNS1_11target_archE1100ELNS1_3gpuE3ELNS1_3repE0EEENS1_36merge_oddeven_config_static_selectorELNS0_4arch9wavefront6targetE0EEEvSF_,comdat
.Lfunc_end1681:
	.size	_ZN7rocprim17ROCPRIM_400000_NS6detail17trampoline_kernelINS0_14default_configENS1_38merge_sort_block_merge_config_selectorIbNS0_10empty_typeEEEZZNS1_27merge_sort_block_merge_implIS3_PbPS5_jNS1_19radix_merge_compareILb1ELb0EbNS0_19identity_decomposerEEEEE10hipError_tT0_T1_T2_jT3_P12ihipStream_tbPNSt15iterator_traitsISE_E10value_typeEPNSK_ISF_E10value_typeEPSG_NS1_7vsmem_tEENKUlT_SE_SF_SG_E_clIS8_S8_S9_S9_EESD_ST_SE_SF_SG_EUlST_E1_NS1_11comp_targetILNS1_3genE9ELNS1_11target_archE1100ELNS1_3gpuE3ELNS1_3repE0EEENS1_36merge_oddeven_config_static_selectorELNS0_4arch9wavefront6targetE0EEEvSF_, .Lfunc_end1681-_ZN7rocprim17ROCPRIM_400000_NS6detail17trampoline_kernelINS0_14default_configENS1_38merge_sort_block_merge_config_selectorIbNS0_10empty_typeEEEZZNS1_27merge_sort_block_merge_implIS3_PbPS5_jNS1_19radix_merge_compareILb1ELb0EbNS0_19identity_decomposerEEEEE10hipError_tT0_T1_T2_jT3_P12ihipStream_tbPNSt15iterator_traitsISE_E10value_typeEPNSK_ISF_E10value_typeEPSG_NS1_7vsmem_tEENKUlT_SE_SF_SG_E_clIS8_S8_S9_S9_EESD_ST_SE_SF_SG_EUlST_E1_NS1_11comp_targetILNS1_3genE9ELNS1_11target_archE1100ELNS1_3gpuE3ELNS1_3repE0EEENS1_36merge_oddeven_config_static_selectorELNS0_4arch9wavefront6targetE0EEEvSF_
                                        ; -- End function
	.set _ZN7rocprim17ROCPRIM_400000_NS6detail17trampoline_kernelINS0_14default_configENS1_38merge_sort_block_merge_config_selectorIbNS0_10empty_typeEEEZZNS1_27merge_sort_block_merge_implIS3_PbPS5_jNS1_19radix_merge_compareILb1ELb0EbNS0_19identity_decomposerEEEEE10hipError_tT0_T1_T2_jT3_P12ihipStream_tbPNSt15iterator_traitsISE_E10value_typeEPNSK_ISF_E10value_typeEPSG_NS1_7vsmem_tEENKUlT_SE_SF_SG_E_clIS8_S8_S9_S9_EESD_ST_SE_SF_SG_EUlST_E1_NS1_11comp_targetILNS1_3genE9ELNS1_11target_archE1100ELNS1_3gpuE3ELNS1_3repE0EEENS1_36merge_oddeven_config_static_selectorELNS0_4arch9wavefront6targetE0EEEvSF_.num_vgpr, 0
	.set _ZN7rocprim17ROCPRIM_400000_NS6detail17trampoline_kernelINS0_14default_configENS1_38merge_sort_block_merge_config_selectorIbNS0_10empty_typeEEEZZNS1_27merge_sort_block_merge_implIS3_PbPS5_jNS1_19radix_merge_compareILb1ELb0EbNS0_19identity_decomposerEEEEE10hipError_tT0_T1_T2_jT3_P12ihipStream_tbPNSt15iterator_traitsISE_E10value_typeEPNSK_ISF_E10value_typeEPSG_NS1_7vsmem_tEENKUlT_SE_SF_SG_E_clIS8_S8_S9_S9_EESD_ST_SE_SF_SG_EUlST_E1_NS1_11comp_targetILNS1_3genE9ELNS1_11target_archE1100ELNS1_3gpuE3ELNS1_3repE0EEENS1_36merge_oddeven_config_static_selectorELNS0_4arch9wavefront6targetE0EEEvSF_.num_agpr, 0
	.set _ZN7rocprim17ROCPRIM_400000_NS6detail17trampoline_kernelINS0_14default_configENS1_38merge_sort_block_merge_config_selectorIbNS0_10empty_typeEEEZZNS1_27merge_sort_block_merge_implIS3_PbPS5_jNS1_19radix_merge_compareILb1ELb0EbNS0_19identity_decomposerEEEEE10hipError_tT0_T1_T2_jT3_P12ihipStream_tbPNSt15iterator_traitsISE_E10value_typeEPNSK_ISF_E10value_typeEPSG_NS1_7vsmem_tEENKUlT_SE_SF_SG_E_clIS8_S8_S9_S9_EESD_ST_SE_SF_SG_EUlST_E1_NS1_11comp_targetILNS1_3genE9ELNS1_11target_archE1100ELNS1_3gpuE3ELNS1_3repE0EEENS1_36merge_oddeven_config_static_selectorELNS0_4arch9wavefront6targetE0EEEvSF_.numbered_sgpr, 0
	.set _ZN7rocprim17ROCPRIM_400000_NS6detail17trampoline_kernelINS0_14default_configENS1_38merge_sort_block_merge_config_selectorIbNS0_10empty_typeEEEZZNS1_27merge_sort_block_merge_implIS3_PbPS5_jNS1_19radix_merge_compareILb1ELb0EbNS0_19identity_decomposerEEEEE10hipError_tT0_T1_T2_jT3_P12ihipStream_tbPNSt15iterator_traitsISE_E10value_typeEPNSK_ISF_E10value_typeEPSG_NS1_7vsmem_tEENKUlT_SE_SF_SG_E_clIS8_S8_S9_S9_EESD_ST_SE_SF_SG_EUlST_E1_NS1_11comp_targetILNS1_3genE9ELNS1_11target_archE1100ELNS1_3gpuE3ELNS1_3repE0EEENS1_36merge_oddeven_config_static_selectorELNS0_4arch9wavefront6targetE0EEEvSF_.num_named_barrier, 0
	.set _ZN7rocprim17ROCPRIM_400000_NS6detail17trampoline_kernelINS0_14default_configENS1_38merge_sort_block_merge_config_selectorIbNS0_10empty_typeEEEZZNS1_27merge_sort_block_merge_implIS3_PbPS5_jNS1_19radix_merge_compareILb1ELb0EbNS0_19identity_decomposerEEEEE10hipError_tT0_T1_T2_jT3_P12ihipStream_tbPNSt15iterator_traitsISE_E10value_typeEPNSK_ISF_E10value_typeEPSG_NS1_7vsmem_tEENKUlT_SE_SF_SG_E_clIS8_S8_S9_S9_EESD_ST_SE_SF_SG_EUlST_E1_NS1_11comp_targetILNS1_3genE9ELNS1_11target_archE1100ELNS1_3gpuE3ELNS1_3repE0EEENS1_36merge_oddeven_config_static_selectorELNS0_4arch9wavefront6targetE0EEEvSF_.private_seg_size, 0
	.set _ZN7rocprim17ROCPRIM_400000_NS6detail17trampoline_kernelINS0_14default_configENS1_38merge_sort_block_merge_config_selectorIbNS0_10empty_typeEEEZZNS1_27merge_sort_block_merge_implIS3_PbPS5_jNS1_19radix_merge_compareILb1ELb0EbNS0_19identity_decomposerEEEEE10hipError_tT0_T1_T2_jT3_P12ihipStream_tbPNSt15iterator_traitsISE_E10value_typeEPNSK_ISF_E10value_typeEPSG_NS1_7vsmem_tEENKUlT_SE_SF_SG_E_clIS8_S8_S9_S9_EESD_ST_SE_SF_SG_EUlST_E1_NS1_11comp_targetILNS1_3genE9ELNS1_11target_archE1100ELNS1_3gpuE3ELNS1_3repE0EEENS1_36merge_oddeven_config_static_selectorELNS0_4arch9wavefront6targetE0EEEvSF_.uses_vcc, 0
	.set _ZN7rocprim17ROCPRIM_400000_NS6detail17trampoline_kernelINS0_14default_configENS1_38merge_sort_block_merge_config_selectorIbNS0_10empty_typeEEEZZNS1_27merge_sort_block_merge_implIS3_PbPS5_jNS1_19radix_merge_compareILb1ELb0EbNS0_19identity_decomposerEEEEE10hipError_tT0_T1_T2_jT3_P12ihipStream_tbPNSt15iterator_traitsISE_E10value_typeEPNSK_ISF_E10value_typeEPSG_NS1_7vsmem_tEENKUlT_SE_SF_SG_E_clIS8_S8_S9_S9_EESD_ST_SE_SF_SG_EUlST_E1_NS1_11comp_targetILNS1_3genE9ELNS1_11target_archE1100ELNS1_3gpuE3ELNS1_3repE0EEENS1_36merge_oddeven_config_static_selectorELNS0_4arch9wavefront6targetE0EEEvSF_.uses_flat_scratch, 0
	.set _ZN7rocprim17ROCPRIM_400000_NS6detail17trampoline_kernelINS0_14default_configENS1_38merge_sort_block_merge_config_selectorIbNS0_10empty_typeEEEZZNS1_27merge_sort_block_merge_implIS3_PbPS5_jNS1_19radix_merge_compareILb1ELb0EbNS0_19identity_decomposerEEEEE10hipError_tT0_T1_T2_jT3_P12ihipStream_tbPNSt15iterator_traitsISE_E10value_typeEPNSK_ISF_E10value_typeEPSG_NS1_7vsmem_tEENKUlT_SE_SF_SG_E_clIS8_S8_S9_S9_EESD_ST_SE_SF_SG_EUlST_E1_NS1_11comp_targetILNS1_3genE9ELNS1_11target_archE1100ELNS1_3gpuE3ELNS1_3repE0EEENS1_36merge_oddeven_config_static_selectorELNS0_4arch9wavefront6targetE0EEEvSF_.has_dyn_sized_stack, 0
	.set _ZN7rocprim17ROCPRIM_400000_NS6detail17trampoline_kernelINS0_14default_configENS1_38merge_sort_block_merge_config_selectorIbNS0_10empty_typeEEEZZNS1_27merge_sort_block_merge_implIS3_PbPS5_jNS1_19radix_merge_compareILb1ELb0EbNS0_19identity_decomposerEEEEE10hipError_tT0_T1_T2_jT3_P12ihipStream_tbPNSt15iterator_traitsISE_E10value_typeEPNSK_ISF_E10value_typeEPSG_NS1_7vsmem_tEENKUlT_SE_SF_SG_E_clIS8_S8_S9_S9_EESD_ST_SE_SF_SG_EUlST_E1_NS1_11comp_targetILNS1_3genE9ELNS1_11target_archE1100ELNS1_3gpuE3ELNS1_3repE0EEENS1_36merge_oddeven_config_static_selectorELNS0_4arch9wavefront6targetE0EEEvSF_.has_recursion, 0
	.set _ZN7rocprim17ROCPRIM_400000_NS6detail17trampoline_kernelINS0_14default_configENS1_38merge_sort_block_merge_config_selectorIbNS0_10empty_typeEEEZZNS1_27merge_sort_block_merge_implIS3_PbPS5_jNS1_19radix_merge_compareILb1ELb0EbNS0_19identity_decomposerEEEEE10hipError_tT0_T1_T2_jT3_P12ihipStream_tbPNSt15iterator_traitsISE_E10value_typeEPNSK_ISF_E10value_typeEPSG_NS1_7vsmem_tEENKUlT_SE_SF_SG_E_clIS8_S8_S9_S9_EESD_ST_SE_SF_SG_EUlST_E1_NS1_11comp_targetILNS1_3genE9ELNS1_11target_archE1100ELNS1_3gpuE3ELNS1_3repE0EEENS1_36merge_oddeven_config_static_selectorELNS0_4arch9wavefront6targetE0EEEvSF_.has_indirect_call, 0
	.section	.AMDGPU.csdata,"",@progbits
; Kernel info:
; codeLenInByte = 0
; TotalNumSgprs: 0
; NumVgprs: 0
; ScratchSize: 0
; MemoryBound: 0
; FloatMode: 240
; IeeeMode: 1
; LDSByteSize: 0 bytes/workgroup (compile time only)
; SGPRBlocks: 0
; VGPRBlocks: 0
; NumSGPRsForWavesPerEU: 1
; NumVGPRsForWavesPerEU: 1
; NamedBarCnt: 0
; Occupancy: 16
; WaveLimiterHint : 0
; COMPUTE_PGM_RSRC2:SCRATCH_EN: 0
; COMPUTE_PGM_RSRC2:USER_SGPR: 2
; COMPUTE_PGM_RSRC2:TRAP_HANDLER: 0
; COMPUTE_PGM_RSRC2:TGID_X_EN: 1
; COMPUTE_PGM_RSRC2:TGID_Y_EN: 0
; COMPUTE_PGM_RSRC2:TGID_Z_EN: 0
; COMPUTE_PGM_RSRC2:TIDIG_COMP_CNT: 0
	.section	.text._ZN7rocprim17ROCPRIM_400000_NS6detail17trampoline_kernelINS0_14default_configENS1_38merge_sort_block_merge_config_selectorIbNS0_10empty_typeEEEZZNS1_27merge_sort_block_merge_implIS3_PbPS5_jNS1_19radix_merge_compareILb1ELb0EbNS0_19identity_decomposerEEEEE10hipError_tT0_T1_T2_jT3_P12ihipStream_tbPNSt15iterator_traitsISE_E10value_typeEPNSK_ISF_E10value_typeEPSG_NS1_7vsmem_tEENKUlT_SE_SF_SG_E_clIS8_S8_S9_S9_EESD_ST_SE_SF_SG_EUlST_E1_NS1_11comp_targetILNS1_3genE8ELNS1_11target_archE1030ELNS1_3gpuE2ELNS1_3repE0EEENS1_36merge_oddeven_config_static_selectorELNS0_4arch9wavefront6targetE0EEEvSF_,"axG",@progbits,_ZN7rocprim17ROCPRIM_400000_NS6detail17trampoline_kernelINS0_14default_configENS1_38merge_sort_block_merge_config_selectorIbNS0_10empty_typeEEEZZNS1_27merge_sort_block_merge_implIS3_PbPS5_jNS1_19radix_merge_compareILb1ELb0EbNS0_19identity_decomposerEEEEE10hipError_tT0_T1_T2_jT3_P12ihipStream_tbPNSt15iterator_traitsISE_E10value_typeEPNSK_ISF_E10value_typeEPSG_NS1_7vsmem_tEENKUlT_SE_SF_SG_E_clIS8_S8_S9_S9_EESD_ST_SE_SF_SG_EUlST_E1_NS1_11comp_targetILNS1_3genE8ELNS1_11target_archE1030ELNS1_3gpuE2ELNS1_3repE0EEENS1_36merge_oddeven_config_static_selectorELNS0_4arch9wavefront6targetE0EEEvSF_,comdat
	.protected	_ZN7rocprim17ROCPRIM_400000_NS6detail17trampoline_kernelINS0_14default_configENS1_38merge_sort_block_merge_config_selectorIbNS0_10empty_typeEEEZZNS1_27merge_sort_block_merge_implIS3_PbPS5_jNS1_19radix_merge_compareILb1ELb0EbNS0_19identity_decomposerEEEEE10hipError_tT0_T1_T2_jT3_P12ihipStream_tbPNSt15iterator_traitsISE_E10value_typeEPNSK_ISF_E10value_typeEPSG_NS1_7vsmem_tEENKUlT_SE_SF_SG_E_clIS8_S8_S9_S9_EESD_ST_SE_SF_SG_EUlST_E1_NS1_11comp_targetILNS1_3genE8ELNS1_11target_archE1030ELNS1_3gpuE2ELNS1_3repE0EEENS1_36merge_oddeven_config_static_selectorELNS0_4arch9wavefront6targetE0EEEvSF_ ; -- Begin function _ZN7rocprim17ROCPRIM_400000_NS6detail17trampoline_kernelINS0_14default_configENS1_38merge_sort_block_merge_config_selectorIbNS0_10empty_typeEEEZZNS1_27merge_sort_block_merge_implIS3_PbPS5_jNS1_19radix_merge_compareILb1ELb0EbNS0_19identity_decomposerEEEEE10hipError_tT0_T1_T2_jT3_P12ihipStream_tbPNSt15iterator_traitsISE_E10value_typeEPNSK_ISF_E10value_typeEPSG_NS1_7vsmem_tEENKUlT_SE_SF_SG_E_clIS8_S8_S9_S9_EESD_ST_SE_SF_SG_EUlST_E1_NS1_11comp_targetILNS1_3genE8ELNS1_11target_archE1030ELNS1_3gpuE2ELNS1_3repE0EEENS1_36merge_oddeven_config_static_selectorELNS0_4arch9wavefront6targetE0EEEvSF_
	.globl	_ZN7rocprim17ROCPRIM_400000_NS6detail17trampoline_kernelINS0_14default_configENS1_38merge_sort_block_merge_config_selectorIbNS0_10empty_typeEEEZZNS1_27merge_sort_block_merge_implIS3_PbPS5_jNS1_19radix_merge_compareILb1ELb0EbNS0_19identity_decomposerEEEEE10hipError_tT0_T1_T2_jT3_P12ihipStream_tbPNSt15iterator_traitsISE_E10value_typeEPNSK_ISF_E10value_typeEPSG_NS1_7vsmem_tEENKUlT_SE_SF_SG_E_clIS8_S8_S9_S9_EESD_ST_SE_SF_SG_EUlST_E1_NS1_11comp_targetILNS1_3genE8ELNS1_11target_archE1030ELNS1_3gpuE2ELNS1_3repE0EEENS1_36merge_oddeven_config_static_selectorELNS0_4arch9wavefront6targetE0EEEvSF_
	.p2align	8
	.type	_ZN7rocprim17ROCPRIM_400000_NS6detail17trampoline_kernelINS0_14default_configENS1_38merge_sort_block_merge_config_selectorIbNS0_10empty_typeEEEZZNS1_27merge_sort_block_merge_implIS3_PbPS5_jNS1_19radix_merge_compareILb1ELb0EbNS0_19identity_decomposerEEEEE10hipError_tT0_T1_T2_jT3_P12ihipStream_tbPNSt15iterator_traitsISE_E10value_typeEPNSK_ISF_E10value_typeEPSG_NS1_7vsmem_tEENKUlT_SE_SF_SG_E_clIS8_S8_S9_S9_EESD_ST_SE_SF_SG_EUlST_E1_NS1_11comp_targetILNS1_3genE8ELNS1_11target_archE1030ELNS1_3gpuE2ELNS1_3repE0EEENS1_36merge_oddeven_config_static_selectorELNS0_4arch9wavefront6targetE0EEEvSF_,@function
_ZN7rocprim17ROCPRIM_400000_NS6detail17trampoline_kernelINS0_14default_configENS1_38merge_sort_block_merge_config_selectorIbNS0_10empty_typeEEEZZNS1_27merge_sort_block_merge_implIS3_PbPS5_jNS1_19radix_merge_compareILb1ELb0EbNS0_19identity_decomposerEEEEE10hipError_tT0_T1_T2_jT3_P12ihipStream_tbPNSt15iterator_traitsISE_E10value_typeEPNSK_ISF_E10value_typeEPSG_NS1_7vsmem_tEENKUlT_SE_SF_SG_E_clIS8_S8_S9_S9_EESD_ST_SE_SF_SG_EUlST_E1_NS1_11comp_targetILNS1_3genE8ELNS1_11target_archE1030ELNS1_3gpuE2ELNS1_3repE0EEENS1_36merge_oddeven_config_static_selectorELNS0_4arch9wavefront6targetE0EEEvSF_: ; @_ZN7rocprim17ROCPRIM_400000_NS6detail17trampoline_kernelINS0_14default_configENS1_38merge_sort_block_merge_config_selectorIbNS0_10empty_typeEEEZZNS1_27merge_sort_block_merge_implIS3_PbPS5_jNS1_19radix_merge_compareILb1ELb0EbNS0_19identity_decomposerEEEEE10hipError_tT0_T1_T2_jT3_P12ihipStream_tbPNSt15iterator_traitsISE_E10value_typeEPNSK_ISF_E10value_typeEPSG_NS1_7vsmem_tEENKUlT_SE_SF_SG_E_clIS8_S8_S9_S9_EESD_ST_SE_SF_SG_EUlST_E1_NS1_11comp_targetILNS1_3genE8ELNS1_11target_archE1030ELNS1_3gpuE2ELNS1_3repE0EEENS1_36merge_oddeven_config_static_selectorELNS0_4arch9wavefront6targetE0EEEvSF_
; %bb.0:
	.section	.rodata,"a",@progbits
	.p2align	6, 0x0
	.amdhsa_kernel _ZN7rocprim17ROCPRIM_400000_NS6detail17trampoline_kernelINS0_14default_configENS1_38merge_sort_block_merge_config_selectorIbNS0_10empty_typeEEEZZNS1_27merge_sort_block_merge_implIS3_PbPS5_jNS1_19radix_merge_compareILb1ELb0EbNS0_19identity_decomposerEEEEE10hipError_tT0_T1_T2_jT3_P12ihipStream_tbPNSt15iterator_traitsISE_E10value_typeEPNSK_ISF_E10value_typeEPSG_NS1_7vsmem_tEENKUlT_SE_SF_SG_E_clIS8_S8_S9_S9_EESD_ST_SE_SF_SG_EUlST_E1_NS1_11comp_targetILNS1_3genE8ELNS1_11target_archE1030ELNS1_3gpuE2ELNS1_3repE0EEENS1_36merge_oddeven_config_static_selectorELNS0_4arch9wavefront6targetE0EEEvSF_
		.amdhsa_group_segment_fixed_size 0
		.amdhsa_private_segment_fixed_size 0
		.amdhsa_kernarg_size 48
		.amdhsa_user_sgpr_count 2
		.amdhsa_user_sgpr_dispatch_ptr 0
		.amdhsa_user_sgpr_queue_ptr 0
		.amdhsa_user_sgpr_kernarg_segment_ptr 1
		.amdhsa_user_sgpr_dispatch_id 0
		.amdhsa_user_sgpr_kernarg_preload_length 0
		.amdhsa_user_sgpr_kernarg_preload_offset 0
		.amdhsa_user_sgpr_private_segment_size 0
		.amdhsa_wavefront_size32 1
		.amdhsa_uses_dynamic_stack 0
		.amdhsa_enable_private_segment 0
		.amdhsa_system_sgpr_workgroup_id_x 1
		.amdhsa_system_sgpr_workgroup_id_y 0
		.amdhsa_system_sgpr_workgroup_id_z 0
		.amdhsa_system_sgpr_workgroup_info 0
		.amdhsa_system_vgpr_workitem_id 0
		.amdhsa_next_free_vgpr 1
		.amdhsa_next_free_sgpr 1
		.amdhsa_named_barrier_count 0
		.amdhsa_reserve_vcc 0
		.amdhsa_float_round_mode_32 0
		.amdhsa_float_round_mode_16_64 0
		.amdhsa_float_denorm_mode_32 3
		.amdhsa_float_denorm_mode_16_64 3
		.amdhsa_fp16_overflow 0
		.amdhsa_memory_ordered 1
		.amdhsa_forward_progress 1
		.amdhsa_inst_pref_size 0
		.amdhsa_round_robin_scheduling 0
		.amdhsa_exception_fp_ieee_invalid_op 0
		.amdhsa_exception_fp_denorm_src 0
		.amdhsa_exception_fp_ieee_div_zero 0
		.amdhsa_exception_fp_ieee_overflow 0
		.amdhsa_exception_fp_ieee_underflow 0
		.amdhsa_exception_fp_ieee_inexact 0
		.amdhsa_exception_int_div_zero 0
	.end_amdhsa_kernel
	.section	.text._ZN7rocprim17ROCPRIM_400000_NS6detail17trampoline_kernelINS0_14default_configENS1_38merge_sort_block_merge_config_selectorIbNS0_10empty_typeEEEZZNS1_27merge_sort_block_merge_implIS3_PbPS5_jNS1_19radix_merge_compareILb1ELb0EbNS0_19identity_decomposerEEEEE10hipError_tT0_T1_T2_jT3_P12ihipStream_tbPNSt15iterator_traitsISE_E10value_typeEPNSK_ISF_E10value_typeEPSG_NS1_7vsmem_tEENKUlT_SE_SF_SG_E_clIS8_S8_S9_S9_EESD_ST_SE_SF_SG_EUlST_E1_NS1_11comp_targetILNS1_3genE8ELNS1_11target_archE1030ELNS1_3gpuE2ELNS1_3repE0EEENS1_36merge_oddeven_config_static_selectorELNS0_4arch9wavefront6targetE0EEEvSF_,"axG",@progbits,_ZN7rocprim17ROCPRIM_400000_NS6detail17trampoline_kernelINS0_14default_configENS1_38merge_sort_block_merge_config_selectorIbNS0_10empty_typeEEEZZNS1_27merge_sort_block_merge_implIS3_PbPS5_jNS1_19radix_merge_compareILb1ELb0EbNS0_19identity_decomposerEEEEE10hipError_tT0_T1_T2_jT3_P12ihipStream_tbPNSt15iterator_traitsISE_E10value_typeEPNSK_ISF_E10value_typeEPSG_NS1_7vsmem_tEENKUlT_SE_SF_SG_E_clIS8_S8_S9_S9_EESD_ST_SE_SF_SG_EUlST_E1_NS1_11comp_targetILNS1_3genE8ELNS1_11target_archE1030ELNS1_3gpuE2ELNS1_3repE0EEENS1_36merge_oddeven_config_static_selectorELNS0_4arch9wavefront6targetE0EEEvSF_,comdat
.Lfunc_end1682:
	.size	_ZN7rocprim17ROCPRIM_400000_NS6detail17trampoline_kernelINS0_14default_configENS1_38merge_sort_block_merge_config_selectorIbNS0_10empty_typeEEEZZNS1_27merge_sort_block_merge_implIS3_PbPS5_jNS1_19radix_merge_compareILb1ELb0EbNS0_19identity_decomposerEEEEE10hipError_tT0_T1_T2_jT3_P12ihipStream_tbPNSt15iterator_traitsISE_E10value_typeEPNSK_ISF_E10value_typeEPSG_NS1_7vsmem_tEENKUlT_SE_SF_SG_E_clIS8_S8_S9_S9_EESD_ST_SE_SF_SG_EUlST_E1_NS1_11comp_targetILNS1_3genE8ELNS1_11target_archE1030ELNS1_3gpuE2ELNS1_3repE0EEENS1_36merge_oddeven_config_static_selectorELNS0_4arch9wavefront6targetE0EEEvSF_, .Lfunc_end1682-_ZN7rocprim17ROCPRIM_400000_NS6detail17trampoline_kernelINS0_14default_configENS1_38merge_sort_block_merge_config_selectorIbNS0_10empty_typeEEEZZNS1_27merge_sort_block_merge_implIS3_PbPS5_jNS1_19radix_merge_compareILb1ELb0EbNS0_19identity_decomposerEEEEE10hipError_tT0_T1_T2_jT3_P12ihipStream_tbPNSt15iterator_traitsISE_E10value_typeEPNSK_ISF_E10value_typeEPSG_NS1_7vsmem_tEENKUlT_SE_SF_SG_E_clIS8_S8_S9_S9_EESD_ST_SE_SF_SG_EUlST_E1_NS1_11comp_targetILNS1_3genE8ELNS1_11target_archE1030ELNS1_3gpuE2ELNS1_3repE0EEENS1_36merge_oddeven_config_static_selectorELNS0_4arch9wavefront6targetE0EEEvSF_
                                        ; -- End function
	.set _ZN7rocprim17ROCPRIM_400000_NS6detail17trampoline_kernelINS0_14default_configENS1_38merge_sort_block_merge_config_selectorIbNS0_10empty_typeEEEZZNS1_27merge_sort_block_merge_implIS3_PbPS5_jNS1_19radix_merge_compareILb1ELb0EbNS0_19identity_decomposerEEEEE10hipError_tT0_T1_T2_jT3_P12ihipStream_tbPNSt15iterator_traitsISE_E10value_typeEPNSK_ISF_E10value_typeEPSG_NS1_7vsmem_tEENKUlT_SE_SF_SG_E_clIS8_S8_S9_S9_EESD_ST_SE_SF_SG_EUlST_E1_NS1_11comp_targetILNS1_3genE8ELNS1_11target_archE1030ELNS1_3gpuE2ELNS1_3repE0EEENS1_36merge_oddeven_config_static_selectorELNS0_4arch9wavefront6targetE0EEEvSF_.num_vgpr, 0
	.set _ZN7rocprim17ROCPRIM_400000_NS6detail17trampoline_kernelINS0_14default_configENS1_38merge_sort_block_merge_config_selectorIbNS0_10empty_typeEEEZZNS1_27merge_sort_block_merge_implIS3_PbPS5_jNS1_19radix_merge_compareILb1ELb0EbNS0_19identity_decomposerEEEEE10hipError_tT0_T1_T2_jT3_P12ihipStream_tbPNSt15iterator_traitsISE_E10value_typeEPNSK_ISF_E10value_typeEPSG_NS1_7vsmem_tEENKUlT_SE_SF_SG_E_clIS8_S8_S9_S9_EESD_ST_SE_SF_SG_EUlST_E1_NS1_11comp_targetILNS1_3genE8ELNS1_11target_archE1030ELNS1_3gpuE2ELNS1_3repE0EEENS1_36merge_oddeven_config_static_selectorELNS0_4arch9wavefront6targetE0EEEvSF_.num_agpr, 0
	.set _ZN7rocprim17ROCPRIM_400000_NS6detail17trampoline_kernelINS0_14default_configENS1_38merge_sort_block_merge_config_selectorIbNS0_10empty_typeEEEZZNS1_27merge_sort_block_merge_implIS3_PbPS5_jNS1_19radix_merge_compareILb1ELb0EbNS0_19identity_decomposerEEEEE10hipError_tT0_T1_T2_jT3_P12ihipStream_tbPNSt15iterator_traitsISE_E10value_typeEPNSK_ISF_E10value_typeEPSG_NS1_7vsmem_tEENKUlT_SE_SF_SG_E_clIS8_S8_S9_S9_EESD_ST_SE_SF_SG_EUlST_E1_NS1_11comp_targetILNS1_3genE8ELNS1_11target_archE1030ELNS1_3gpuE2ELNS1_3repE0EEENS1_36merge_oddeven_config_static_selectorELNS0_4arch9wavefront6targetE0EEEvSF_.numbered_sgpr, 0
	.set _ZN7rocprim17ROCPRIM_400000_NS6detail17trampoline_kernelINS0_14default_configENS1_38merge_sort_block_merge_config_selectorIbNS0_10empty_typeEEEZZNS1_27merge_sort_block_merge_implIS3_PbPS5_jNS1_19radix_merge_compareILb1ELb0EbNS0_19identity_decomposerEEEEE10hipError_tT0_T1_T2_jT3_P12ihipStream_tbPNSt15iterator_traitsISE_E10value_typeEPNSK_ISF_E10value_typeEPSG_NS1_7vsmem_tEENKUlT_SE_SF_SG_E_clIS8_S8_S9_S9_EESD_ST_SE_SF_SG_EUlST_E1_NS1_11comp_targetILNS1_3genE8ELNS1_11target_archE1030ELNS1_3gpuE2ELNS1_3repE0EEENS1_36merge_oddeven_config_static_selectorELNS0_4arch9wavefront6targetE0EEEvSF_.num_named_barrier, 0
	.set _ZN7rocprim17ROCPRIM_400000_NS6detail17trampoline_kernelINS0_14default_configENS1_38merge_sort_block_merge_config_selectorIbNS0_10empty_typeEEEZZNS1_27merge_sort_block_merge_implIS3_PbPS5_jNS1_19radix_merge_compareILb1ELb0EbNS0_19identity_decomposerEEEEE10hipError_tT0_T1_T2_jT3_P12ihipStream_tbPNSt15iterator_traitsISE_E10value_typeEPNSK_ISF_E10value_typeEPSG_NS1_7vsmem_tEENKUlT_SE_SF_SG_E_clIS8_S8_S9_S9_EESD_ST_SE_SF_SG_EUlST_E1_NS1_11comp_targetILNS1_3genE8ELNS1_11target_archE1030ELNS1_3gpuE2ELNS1_3repE0EEENS1_36merge_oddeven_config_static_selectorELNS0_4arch9wavefront6targetE0EEEvSF_.private_seg_size, 0
	.set _ZN7rocprim17ROCPRIM_400000_NS6detail17trampoline_kernelINS0_14default_configENS1_38merge_sort_block_merge_config_selectorIbNS0_10empty_typeEEEZZNS1_27merge_sort_block_merge_implIS3_PbPS5_jNS1_19radix_merge_compareILb1ELb0EbNS0_19identity_decomposerEEEEE10hipError_tT0_T1_T2_jT3_P12ihipStream_tbPNSt15iterator_traitsISE_E10value_typeEPNSK_ISF_E10value_typeEPSG_NS1_7vsmem_tEENKUlT_SE_SF_SG_E_clIS8_S8_S9_S9_EESD_ST_SE_SF_SG_EUlST_E1_NS1_11comp_targetILNS1_3genE8ELNS1_11target_archE1030ELNS1_3gpuE2ELNS1_3repE0EEENS1_36merge_oddeven_config_static_selectorELNS0_4arch9wavefront6targetE0EEEvSF_.uses_vcc, 0
	.set _ZN7rocprim17ROCPRIM_400000_NS6detail17trampoline_kernelINS0_14default_configENS1_38merge_sort_block_merge_config_selectorIbNS0_10empty_typeEEEZZNS1_27merge_sort_block_merge_implIS3_PbPS5_jNS1_19radix_merge_compareILb1ELb0EbNS0_19identity_decomposerEEEEE10hipError_tT0_T1_T2_jT3_P12ihipStream_tbPNSt15iterator_traitsISE_E10value_typeEPNSK_ISF_E10value_typeEPSG_NS1_7vsmem_tEENKUlT_SE_SF_SG_E_clIS8_S8_S9_S9_EESD_ST_SE_SF_SG_EUlST_E1_NS1_11comp_targetILNS1_3genE8ELNS1_11target_archE1030ELNS1_3gpuE2ELNS1_3repE0EEENS1_36merge_oddeven_config_static_selectorELNS0_4arch9wavefront6targetE0EEEvSF_.uses_flat_scratch, 0
	.set _ZN7rocprim17ROCPRIM_400000_NS6detail17trampoline_kernelINS0_14default_configENS1_38merge_sort_block_merge_config_selectorIbNS0_10empty_typeEEEZZNS1_27merge_sort_block_merge_implIS3_PbPS5_jNS1_19radix_merge_compareILb1ELb0EbNS0_19identity_decomposerEEEEE10hipError_tT0_T1_T2_jT3_P12ihipStream_tbPNSt15iterator_traitsISE_E10value_typeEPNSK_ISF_E10value_typeEPSG_NS1_7vsmem_tEENKUlT_SE_SF_SG_E_clIS8_S8_S9_S9_EESD_ST_SE_SF_SG_EUlST_E1_NS1_11comp_targetILNS1_3genE8ELNS1_11target_archE1030ELNS1_3gpuE2ELNS1_3repE0EEENS1_36merge_oddeven_config_static_selectorELNS0_4arch9wavefront6targetE0EEEvSF_.has_dyn_sized_stack, 0
	.set _ZN7rocprim17ROCPRIM_400000_NS6detail17trampoline_kernelINS0_14default_configENS1_38merge_sort_block_merge_config_selectorIbNS0_10empty_typeEEEZZNS1_27merge_sort_block_merge_implIS3_PbPS5_jNS1_19radix_merge_compareILb1ELb0EbNS0_19identity_decomposerEEEEE10hipError_tT0_T1_T2_jT3_P12ihipStream_tbPNSt15iterator_traitsISE_E10value_typeEPNSK_ISF_E10value_typeEPSG_NS1_7vsmem_tEENKUlT_SE_SF_SG_E_clIS8_S8_S9_S9_EESD_ST_SE_SF_SG_EUlST_E1_NS1_11comp_targetILNS1_3genE8ELNS1_11target_archE1030ELNS1_3gpuE2ELNS1_3repE0EEENS1_36merge_oddeven_config_static_selectorELNS0_4arch9wavefront6targetE0EEEvSF_.has_recursion, 0
	.set _ZN7rocprim17ROCPRIM_400000_NS6detail17trampoline_kernelINS0_14default_configENS1_38merge_sort_block_merge_config_selectorIbNS0_10empty_typeEEEZZNS1_27merge_sort_block_merge_implIS3_PbPS5_jNS1_19radix_merge_compareILb1ELb0EbNS0_19identity_decomposerEEEEE10hipError_tT0_T1_T2_jT3_P12ihipStream_tbPNSt15iterator_traitsISE_E10value_typeEPNSK_ISF_E10value_typeEPSG_NS1_7vsmem_tEENKUlT_SE_SF_SG_E_clIS8_S8_S9_S9_EESD_ST_SE_SF_SG_EUlST_E1_NS1_11comp_targetILNS1_3genE8ELNS1_11target_archE1030ELNS1_3gpuE2ELNS1_3repE0EEENS1_36merge_oddeven_config_static_selectorELNS0_4arch9wavefront6targetE0EEEvSF_.has_indirect_call, 0
	.section	.AMDGPU.csdata,"",@progbits
; Kernel info:
; codeLenInByte = 0
; TotalNumSgprs: 0
; NumVgprs: 0
; ScratchSize: 0
; MemoryBound: 0
; FloatMode: 240
; IeeeMode: 1
; LDSByteSize: 0 bytes/workgroup (compile time only)
; SGPRBlocks: 0
; VGPRBlocks: 0
; NumSGPRsForWavesPerEU: 1
; NumVGPRsForWavesPerEU: 1
; NamedBarCnt: 0
; Occupancy: 16
; WaveLimiterHint : 0
; COMPUTE_PGM_RSRC2:SCRATCH_EN: 0
; COMPUTE_PGM_RSRC2:USER_SGPR: 2
; COMPUTE_PGM_RSRC2:TRAP_HANDLER: 0
; COMPUTE_PGM_RSRC2:TGID_X_EN: 1
; COMPUTE_PGM_RSRC2:TGID_Y_EN: 0
; COMPUTE_PGM_RSRC2:TGID_Z_EN: 0
; COMPUTE_PGM_RSRC2:TIDIG_COMP_CNT: 0
	.section	.text._ZN7rocprim17ROCPRIM_400000_NS6detail17trampoline_kernelINS0_14default_configENS1_25transform_config_selectorIbLb1EEEZNS1_14transform_implILb1ES3_S5_PbS7_NS0_8identityIbEEEE10hipError_tT2_T3_mT4_P12ihipStream_tbEUlT_E_NS1_11comp_targetILNS1_3genE0ELNS1_11target_archE4294967295ELNS1_3gpuE0ELNS1_3repE0EEENS1_30default_config_static_selectorELNS0_4arch9wavefront6targetE0EEEvT1_,"axG",@progbits,_ZN7rocprim17ROCPRIM_400000_NS6detail17trampoline_kernelINS0_14default_configENS1_25transform_config_selectorIbLb1EEEZNS1_14transform_implILb1ES3_S5_PbS7_NS0_8identityIbEEEE10hipError_tT2_T3_mT4_P12ihipStream_tbEUlT_E_NS1_11comp_targetILNS1_3genE0ELNS1_11target_archE4294967295ELNS1_3gpuE0ELNS1_3repE0EEENS1_30default_config_static_selectorELNS0_4arch9wavefront6targetE0EEEvT1_,comdat
	.protected	_ZN7rocprim17ROCPRIM_400000_NS6detail17trampoline_kernelINS0_14default_configENS1_25transform_config_selectorIbLb1EEEZNS1_14transform_implILb1ES3_S5_PbS7_NS0_8identityIbEEEE10hipError_tT2_T3_mT4_P12ihipStream_tbEUlT_E_NS1_11comp_targetILNS1_3genE0ELNS1_11target_archE4294967295ELNS1_3gpuE0ELNS1_3repE0EEENS1_30default_config_static_selectorELNS0_4arch9wavefront6targetE0EEEvT1_ ; -- Begin function _ZN7rocprim17ROCPRIM_400000_NS6detail17trampoline_kernelINS0_14default_configENS1_25transform_config_selectorIbLb1EEEZNS1_14transform_implILb1ES3_S5_PbS7_NS0_8identityIbEEEE10hipError_tT2_T3_mT4_P12ihipStream_tbEUlT_E_NS1_11comp_targetILNS1_3genE0ELNS1_11target_archE4294967295ELNS1_3gpuE0ELNS1_3repE0EEENS1_30default_config_static_selectorELNS0_4arch9wavefront6targetE0EEEvT1_
	.globl	_ZN7rocprim17ROCPRIM_400000_NS6detail17trampoline_kernelINS0_14default_configENS1_25transform_config_selectorIbLb1EEEZNS1_14transform_implILb1ES3_S5_PbS7_NS0_8identityIbEEEE10hipError_tT2_T3_mT4_P12ihipStream_tbEUlT_E_NS1_11comp_targetILNS1_3genE0ELNS1_11target_archE4294967295ELNS1_3gpuE0ELNS1_3repE0EEENS1_30default_config_static_selectorELNS0_4arch9wavefront6targetE0EEEvT1_
	.p2align	8
	.type	_ZN7rocprim17ROCPRIM_400000_NS6detail17trampoline_kernelINS0_14default_configENS1_25transform_config_selectorIbLb1EEEZNS1_14transform_implILb1ES3_S5_PbS7_NS0_8identityIbEEEE10hipError_tT2_T3_mT4_P12ihipStream_tbEUlT_E_NS1_11comp_targetILNS1_3genE0ELNS1_11target_archE4294967295ELNS1_3gpuE0ELNS1_3repE0EEENS1_30default_config_static_selectorELNS0_4arch9wavefront6targetE0EEEvT1_,@function
_ZN7rocprim17ROCPRIM_400000_NS6detail17trampoline_kernelINS0_14default_configENS1_25transform_config_selectorIbLb1EEEZNS1_14transform_implILb1ES3_S5_PbS7_NS0_8identityIbEEEE10hipError_tT2_T3_mT4_P12ihipStream_tbEUlT_E_NS1_11comp_targetILNS1_3genE0ELNS1_11target_archE4294967295ELNS1_3gpuE0ELNS1_3repE0EEENS1_30default_config_static_selectorELNS0_4arch9wavefront6targetE0EEEvT1_: ; @_ZN7rocprim17ROCPRIM_400000_NS6detail17trampoline_kernelINS0_14default_configENS1_25transform_config_selectorIbLb1EEEZNS1_14transform_implILb1ES3_S5_PbS7_NS0_8identityIbEEEE10hipError_tT2_T3_mT4_P12ihipStream_tbEUlT_E_NS1_11comp_targetILNS1_3genE0ELNS1_11target_archE4294967295ELNS1_3gpuE0ELNS1_3repE0EEENS1_30default_config_static_selectorELNS0_4arch9wavefront6targetE0EEEvT1_
; %bb.0:
	s_clause 0x1
	s_load_b256 s[4:11], s[0:1], 0x0
	s_load_b32 s3, s[0:1], 0x28
	s_wait_xcnt 0x0
	s_bfe_u32 s0, ttmp6, 0x4000c
	s_and_b32 s1, ttmp6, 15
	s_add_co_i32 s0, s0, 1
	s_getreg_b32 s2, hwreg(HW_REG_IB_STS2, 6, 4)
	s_mul_i32 s0, ttmp9, s0
	s_delay_alu instid0(SALU_CYCLE_1)
	s_add_co_i32 s0, s1, s0
	s_cmp_eq_u32 s2, 0
	s_mov_b32 s1, 0
	s_wait_kmcnt 0x0
	s_cselect_b32 s9, ttmp9, s0
	s_mov_b32 s2, -1
	s_lshl_b32 s0, s9, 10
	s_add_nc_u64 s[4:5], s[4:5], s[6:7]
	s_add_nc_u64 s[6:7], s[10:11], s[6:7]
	s_add_co_i32 s3, s3, -1
	s_add_nc_u64 s[12:13], s[4:5], s[0:1]
	s_cmp_lg_u32 s9, s3
	s_add_nc_u64 s[10:11], s[6:7], s[0:1]
	s_cbranch_scc0 .LBB1683_2
; %bb.1:
	global_load_b64 v[2:3], v0, s[12:13] scale_offset
	s_mov_b32 s2, 0
	s_wait_loadcnt 0x0
	v_and_b32_e32 v2, 0x1010101, v2
	v_and_b32_e32 v3, 0x1010101, v3
	global_store_b64 v0, v[2:3], s[10:11] scale_offset
.LBB1683_2:
	s_and_not1_b32 vcc_lo, exec_lo, s2
	s_cbranch_vccnz .LBB1683_28
; %bb.3:
	s_sub_co_i32 s7, s8, s0
	s_wait_xcnt 0x0
	v_dual_mov_b32 v2, 0 :: v_dual_mov_b32 v5, 0
	v_cmp_gt_u32_e32 vcc_lo, s7, v0
	v_dual_mov_b32 v3, 0 :: v_dual_mov_b32 v8, 0
	v_dual_mov_b32 v7, 0 :: v_dual_mov_b32 v6, 0
	v_mov_b32_e32 v4, 0
	s_and_saveexec_b32 s0, vcc_lo
	s_cbranch_execz .LBB1683_5
; %bb.4:
	global_load_u8 v5, v0, s[12:13]
	v_dual_mov_b32 v3, 0 :: v_dual_mov_b32 v8, 0
	v_dual_mov_b32 v7, 0 :: v_dual_mov_b32 v6, 0
	v_mov_b32_e32 v4, 0
.LBB1683_5:
	s_wait_xcnt 0x0
	s_or_b32 exec_lo, exec_lo, s0
	v_or_b32_e32 v1, 0x80, v0
	v_mov_b32_e32 v9, v2
	s_delay_alu instid0(VALU_DEP_2)
	v_cmp_gt_u32_e64 s0, s7, v1
	s_and_saveexec_b32 s1, s0
	s_cbranch_execz .LBB1683_7
; %bb.6:
	global_load_u8 v9, v0, s[12:13] offset:128
.LBB1683_7:
	s_wait_xcnt 0x0
	s_or_b32 exec_lo, exec_lo, s1
	v_or_b32_e32 v1, 0x100, v0
	s_delay_alu instid0(VALU_DEP_1)
	v_cmp_gt_u32_e64 s1, s7, v1
	s_and_saveexec_b32 s2, s1
	s_cbranch_execz .LBB1683_9
; %bb.8:
	global_load_u8 v2, v0, s[12:13] offset:256
.LBB1683_9:
	s_wait_xcnt 0x0
	s_or_b32 exec_lo, exec_lo, s2
	v_or_b32_e32 v1, 0x180, v0
	s_delay_alu instid0(VALU_DEP_1)
	;; [unrolled: 10-line block ×5, first 2 shown]
	v_cmp_gt_u32_e64 s5, s7, v1
	s_and_saveexec_b32 s6, s5
	s_cbranch_execz .LBB1683_17
; %bb.16:
	global_load_u8 v6, v0, s[12:13] offset:768
.LBB1683_17:
	s_wait_xcnt 0x0
	s_or_b32 exec_lo, exec_lo, s6
	v_or_b32_e32 v1, 0x380, v0
	s_delay_alu instid0(VALU_DEP_1) | instskip(SKIP_3) | instid1(SALU_CYCLE_1)
	v_cmp_gt_u32_e64 s6, s7, v1
	v_cmp_le_u32_e64 s7, s7, v1
	v_mov_b32_e32 v1, 0
	s_and_saveexec_b32 s8, s7
	s_xor_b32 s7, exec_lo, s8
	s_delay_alu instid0(SALU_CYCLE_1)
	s_and_not1_saveexec_b32 s7, s7
	s_cbranch_execz .LBB1683_19
; %bb.18:
	v_add_nc_u64_e32 v[10:11], s[12:13], v[0:1]
	global_load_u8 v4, v[10:11], off offset:896
.LBB1683_19:
	s_wait_xcnt 0x0
	s_or_b32 exec_lo, exec_lo, s7
	s_wait_loadcnt 0x0
	v_and_b32_e32 v5, 1, v5
	v_add_nc_u64_e32 v[0:1], s[10:11], v[0:1]
	v_and_b32_e32 v3, 1, v3
	v_and_b32_e32 v4, 1, v4
	s_delay_alu instid0(VALU_DEP_4) | instskip(SKIP_1) | instid1(VALU_DEP_4)
	v_and_b32_e32 v5, 0xffff, v5
	v_and_b32_e32 v8, 1, v8
	v_lshlrev_b16 v3, 8, v3
	s_delay_alu instid0(VALU_DEP_4) | instskip(NEXT) | instid1(VALU_DEP_4)
	v_lshlrev_b16 v4, 8, v4
	v_cndmask_b32_e32 v5, 0, v5, vcc_lo
	s_delay_alu instid0(VALU_DEP_4) | instskip(SKIP_2) | instid1(VALU_DEP_3)
	v_and_b32_e32 v8, 0xffff, v8
	v_and_b32_e32 v7, 1, v7
	;; [unrolled: 1-line block ×3, first 2 shown]
	v_dual_cndmask_b32 v8, 0, v8, s3 :: v_dual_bitop2_b32 v9, 1, v9 bitop3:0x40
	s_delay_alu instid0(VALU_DEP_3) | instskip(NEXT) | instid1(VALU_DEP_3)
	v_lshlrev_b16 v7, 8, v7
	v_lshlrev_b32_e32 v2, 16, v2
	s_delay_alu instid0(VALU_DEP_2) | instskip(NEXT) | instid1(VALU_DEP_1)
	v_bitop3_b16 v7, v8, v7, 0xff bitop3:0xec
	v_and_b32_e32 v7, 0xffff, v7
	s_delay_alu instid0(VALU_DEP_1) | instskip(SKIP_1) | instid1(VALU_DEP_1)
	v_cndmask_b32_e64 v7, v8, v7, s4
	v_lshlrev_b16 v8, 8, v9
	v_dual_lshrrev_b32 v9, 16, v7 :: v_dual_bitop2_b32 v8, v5, v8 bitop3:0x54
	s_delay_alu instid0(VALU_DEP_1) | instskip(NEXT) | instid1(VALU_DEP_2)
	v_and_b32_e32 v9, 0xffffff00, v9
	v_and_b32_e32 v8, 0xffff, v8
	s_delay_alu instid0(VALU_DEP_2) | instskip(NEXT) | instid1(VALU_DEP_1)
	v_bitop3_b16 v6, v6, v9, 1 bitop3:0xec
	v_dual_cndmask_b32 v5, v5, v8, s0 :: v_dual_lshlrev_b32 v6, 16, v6
	s_delay_alu instid0(VALU_DEP_1) | instskip(NEXT) | instid1(VALU_DEP_2)
	v_and_or_b32 v2, 0x1ff, v5, v2
	v_and_or_b32 v6, 0xffff, v7, v6
	s_delay_alu instid0(VALU_DEP_2) | instskip(NEXT) | instid1(VALU_DEP_2)
	v_cndmask_b32_e64 v2, v5, v2, s1
	v_cndmask_b32_e64 v5, v7, v6, s5
	s_delay_alu instid0(VALU_DEP_2) | instskip(NEXT) | instid1(VALU_DEP_1)
	v_lshrrev_b32_e32 v6, 16, v2
	v_bitop3_b16 v3, v6, v3, 0xff bitop3:0xec
	s_delay_alu instid0(VALU_DEP_1) | instskip(NEXT) | instid1(VALU_DEP_1)
	v_dual_lshlrev_b32 v3, 16, v3 :: v_dual_lshrrev_b32 v7, 16, v5
	v_and_or_b32 v3, 0xffff, v2, v3
	s_delay_alu instid0(VALU_DEP_2) | instskip(NEXT) | instid1(VALU_DEP_1)
	v_bitop3_b16 v4, v7, v4, 0xff bitop3:0xec
	v_dual_cndmask_b32 v3, v2, v3, s2 :: v_dual_lshlrev_b32 v4, 16, v4
	s_delay_alu instid0(VALU_DEP_1) | instskip(NEXT) | instid1(VALU_DEP_1)
	v_and_or_b32 v4, 0xffff, v5, v4
	v_cndmask_b32_e64 v2, v5, v4, s6
	s_and_saveexec_b32 s7, vcc_lo
	s_cbranch_execnz .LBB1683_29
; %bb.20:
	s_or_b32 exec_lo, exec_lo, s7
	s_and_saveexec_b32 s7, s0
	s_cbranch_execnz .LBB1683_30
.LBB1683_21:
	s_or_b32 exec_lo, exec_lo, s7
	s_and_saveexec_b32 s0, s1
	s_cbranch_execnz .LBB1683_31
.LBB1683_22:
	s_or_b32 exec_lo, exec_lo, s0
	s_and_saveexec_b32 s0, s2
	s_cbranch_execnz .LBB1683_32
.LBB1683_23:
	s_or_b32 exec_lo, exec_lo, s0
	s_and_saveexec_b32 s0, s3
	s_cbranch_execnz .LBB1683_33
.LBB1683_24:
	s_or_b32 exec_lo, exec_lo, s0
	s_and_saveexec_b32 s0, s4
	s_cbranch_execnz .LBB1683_34
.LBB1683_25:
	s_or_b32 exec_lo, exec_lo, s0
	s_and_saveexec_b32 s0, s5
	s_cbranch_execnz .LBB1683_35
.LBB1683_26:
	s_or_b32 exec_lo, exec_lo, s0
	s_and_saveexec_b32 s0, s6
	s_cbranch_execz .LBB1683_28
.LBB1683_27:
	v_lshrrev_b32_e32 v2, 24, v2
	global_store_b8 v[0:1], v2, off offset:896
.LBB1683_28:
	s_endpgm
.LBB1683_29:
	global_store_b8 v[0:1], v3, off
	s_wait_xcnt 0x0
	s_or_b32 exec_lo, exec_lo, s7
	s_and_saveexec_b32 s7, s0
	s_cbranch_execz .LBB1683_21
.LBB1683_30:
	v_lshrrev_b32_e32 v4, 8, v3
	global_store_b8 v[0:1], v4, off offset:128
	s_wait_xcnt 0x0
	s_or_b32 exec_lo, exec_lo, s7
	s_and_saveexec_b32 s0, s1
	s_cbranch_execz .LBB1683_22
.LBB1683_31:
	global_store_d16_hi_b8 v[0:1], v3, off offset:256
	s_wait_xcnt 0x0
	s_or_b32 exec_lo, exec_lo, s0
	s_and_saveexec_b32 s0, s2
	s_cbranch_execz .LBB1683_23
.LBB1683_32:
	v_lshrrev_b32_e32 v3, 24, v3
	global_store_b8 v[0:1], v3, off offset:384
	s_wait_xcnt 0x0
	s_or_b32 exec_lo, exec_lo, s0
	s_and_saveexec_b32 s0, s3
	s_cbranch_execz .LBB1683_24
.LBB1683_33:
	global_store_b8 v[0:1], v2, off offset:512
	s_wait_xcnt 0x0
	s_or_b32 exec_lo, exec_lo, s0
	s_and_saveexec_b32 s0, s4
	s_cbranch_execz .LBB1683_25
.LBB1683_34:
	v_lshrrev_b32_e32 v3, 8, v2
	global_store_b8 v[0:1], v3, off offset:640
	s_wait_xcnt 0x0
	s_or_b32 exec_lo, exec_lo, s0
	s_and_saveexec_b32 s0, s5
	s_cbranch_execz .LBB1683_26
.LBB1683_35:
	global_store_d16_hi_b8 v[0:1], v2, off offset:768
	s_wait_xcnt 0x0
	s_or_b32 exec_lo, exec_lo, s0
	s_and_saveexec_b32 s0, s6
	s_cbranch_execnz .LBB1683_27
	s_branch .LBB1683_28
	.section	.rodata,"a",@progbits
	.p2align	6, 0x0
	.amdhsa_kernel _ZN7rocprim17ROCPRIM_400000_NS6detail17trampoline_kernelINS0_14default_configENS1_25transform_config_selectorIbLb1EEEZNS1_14transform_implILb1ES3_S5_PbS7_NS0_8identityIbEEEE10hipError_tT2_T3_mT4_P12ihipStream_tbEUlT_E_NS1_11comp_targetILNS1_3genE0ELNS1_11target_archE4294967295ELNS1_3gpuE0ELNS1_3repE0EEENS1_30default_config_static_selectorELNS0_4arch9wavefront6targetE0EEEvT1_
		.amdhsa_group_segment_fixed_size 0
		.amdhsa_private_segment_fixed_size 0
		.amdhsa_kernarg_size 296
		.amdhsa_user_sgpr_count 2
		.amdhsa_user_sgpr_dispatch_ptr 0
		.amdhsa_user_sgpr_queue_ptr 0
		.amdhsa_user_sgpr_kernarg_segment_ptr 1
		.amdhsa_user_sgpr_dispatch_id 0
		.amdhsa_user_sgpr_kernarg_preload_length 0
		.amdhsa_user_sgpr_kernarg_preload_offset 0
		.amdhsa_user_sgpr_private_segment_size 0
		.amdhsa_wavefront_size32 1
		.amdhsa_uses_dynamic_stack 0
		.amdhsa_enable_private_segment 0
		.amdhsa_system_sgpr_workgroup_id_x 1
		.amdhsa_system_sgpr_workgroup_id_y 0
		.amdhsa_system_sgpr_workgroup_id_z 0
		.amdhsa_system_sgpr_workgroup_info 0
		.amdhsa_system_vgpr_workitem_id 0
		.amdhsa_next_free_vgpr 12
		.amdhsa_next_free_sgpr 14
		.amdhsa_named_barrier_count 0
		.amdhsa_reserve_vcc 1
		.amdhsa_float_round_mode_32 0
		.amdhsa_float_round_mode_16_64 0
		.amdhsa_float_denorm_mode_32 3
		.amdhsa_float_denorm_mode_16_64 3
		.amdhsa_fp16_overflow 0
		.amdhsa_memory_ordered 1
		.amdhsa_forward_progress 1
		.amdhsa_inst_pref_size 11
		.amdhsa_round_robin_scheduling 0
		.amdhsa_exception_fp_ieee_invalid_op 0
		.amdhsa_exception_fp_denorm_src 0
		.amdhsa_exception_fp_ieee_div_zero 0
		.amdhsa_exception_fp_ieee_overflow 0
		.amdhsa_exception_fp_ieee_underflow 0
		.amdhsa_exception_fp_ieee_inexact 0
		.amdhsa_exception_int_div_zero 0
	.end_amdhsa_kernel
	.section	.text._ZN7rocprim17ROCPRIM_400000_NS6detail17trampoline_kernelINS0_14default_configENS1_25transform_config_selectorIbLb1EEEZNS1_14transform_implILb1ES3_S5_PbS7_NS0_8identityIbEEEE10hipError_tT2_T3_mT4_P12ihipStream_tbEUlT_E_NS1_11comp_targetILNS1_3genE0ELNS1_11target_archE4294967295ELNS1_3gpuE0ELNS1_3repE0EEENS1_30default_config_static_selectorELNS0_4arch9wavefront6targetE0EEEvT1_,"axG",@progbits,_ZN7rocprim17ROCPRIM_400000_NS6detail17trampoline_kernelINS0_14default_configENS1_25transform_config_selectorIbLb1EEEZNS1_14transform_implILb1ES3_S5_PbS7_NS0_8identityIbEEEE10hipError_tT2_T3_mT4_P12ihipStream_tbEUlT_E_NS1_11comp_targetILNS1_3genE0ELNS1_11target_archE4294967295ELNS1_3gpuE0ELNS1_3repE0EEENS1_30default_config_static_selectorELNS0_4arch9wavefront6targetE0EEEvT1_,comdat
.Lfunc_end1683:
	.size	_ZN7rocprim17ROCPRIM_400000_NS6detail17trampoline_kernelINS0_14default_configENS1_25transform_config_selectorIbLb1EEEZNS1_14transform_implILb1ES3_S5_PbS7_NS0_8identityIbEEEE10hipError_tT2_T3_mT4_P12ihipStream_tbEUlT_E_NS1_11comp_targetILNS1_3genE0ELNS1_11target_archE4294967295ELNS1_3gpuE0ELNS1_3repE0EEENS1_30default_config_static_selectorELNS0_4arch9wavefront6targetE0EEEvT1_, .Lfunc_end1683-_ZN7rocprim17ROCPRIM_400000_NS6detail17trampoline_kernelINS0_14default_configENS1_25transform_config_selectorIbLb1EEEZNS1_14transform_implILb1ES3_S5_PbS7_NS0_8identityIbEEEE10hipError_tT2_T3_mT4_P12ihipStream_tbEUlT_E_NS1_11comp_targetILNS1_3genE0ELNS1_11target_archE4294967295ELNS1_3gpuE0ELNS1_3repE0EEENS1_30default_config_static_selectorELNS0_4arch9wavefront6targetE0EEEvT1_
                                        ; -- End function
	.set _ZN7rocprim17ROCPRIM_400000_NS6detail17trampoline_kernelINS0_14default_configENS1_25transform_config_selectorIbLb1EEEZNS1_14transform_implILb1ES3_S5_PbS7_NS0_8identityIbEEEE10hipError_tT2_T3_mT4_P12ihipStream_tbEUlT_E_NS1_11comp_targetILNS1_3genE0ELNS1_11target_archE4294967295ELNS1_3gpuE0ELNS1_3repE0EEENS1_30default_config_static_selectorELNS0_4arch9wavefront6targetE0EEEvT1_.num_vgpr, 12
	.set _ZN7rocprim17ROCPRIM_400000_NS6detail17trampoline_kernelINS0_14default_configENS1_25transform_config_selectorIbLb1EEEZNS1_14transform_implILb1ES3_S5_PbS7_NS0_8identityIbEEEE10hipError_tT2_T3_mT4_P12ihipStream_tbEUlT_E_NS1_11comp_targetILNS1_3genE0ELNS1_11target_archE4294967295ELNS1_3gpuE0ELNS1_3repE0EEENS1_30default_config_static_selectorELNS0_4arch9wavefront6targetE0EEEvT1_.num_agpr, 0
	.set _ZN7rocprim17ROCPRIM_400000_NS6detail17trampoline_kernelINS0_14default_configENS1_25transform_config_selectorIbLb1EEEZNS1_14transform_implILb1ES3_S5_PbS7_NS0_8identityIbEEEE10hipError_tT2_T3_mT4_P12ihipStream_tbEUlT_E_NS1_11comp_targetILNS1_3genE0ELNS1_11target_archE4294967295ELNS1_3gpuE0ELNS1_3repE0EEENS1_30default_config_static_selectorELNS0_4arch9wavefront6targetE0EEEvT1_.numbered_sgpr, 14
	.set _ZN7rocprim17ROCPRIM_400000_NS6detail17trampoline_kernelINS0_14default_configENS1_25transform_config_selectorIbLb1EEEZNS1_14transform_implILb1ES3_S5_PbS7_NS0_8identityIbEEEE10hipError_tT2_T3_mT4_P12ihipStream_tbEUlT_E_NS1_11comp_targetILNS1_3genE0ELNS1_11target_archE4294967295ELNS1_3gpuE0ELNS1_3repE0EEENS1_30default_config_static_selectorELNS0_4arch9wavefront6targetE0EEEvT1_.num_named_barrier, 0
	.set _ZN7rocprim17ROCPRIM_400000_NS6detail17trampoline_kernelINS0_14default_configENS1_25transform_config_selectorIbLb1EEEZNS1_14transform_implILb1ES3_S5_PbS7_NS0_8identityIbEEEE10hipError_tT2_T3_mT4_P12ihipStream_tbEUlT_E_NS1_11comp_targetILNS1_3genE0ELNS1_11target_archE4294967295ELNS1_3gpuE0ELNS1_3repE0EEENS1_30default_config_static_selectorELNS0_4arch9wavefront6targetE0EEEvT1_.private_seg_size, 0
	.set _ZN7rocprim17ROCPRIM_400000_NS6detail17trampoline_kernelINS0_14default_configENS1_25transform_config_selectorIbLb1EEEZNS1_14transform_implILb1ES3_S5_PbS7_NS0_8identityIbEEEE10hipError_tT2_T3_mT4_P12ihipStream_tbEUlT_E_NS1_11comp_targetILNS1_3genE0ELNS1_11target_archE4294967295ELNS1_3gpuE0ELNS1_3repE0EEENS1_30default_config_static_selectorELNS0_4arch9wavefront6targetE0EEEvT1_.uses_vcc, 1
	.set _ZN7rocprim17ROCPRIM_400000_NS6detail17trampoline_kernelINS0_14default_configENS1_25transform_config_selectorIbLb1EEEZNS1_14transform_implILb1ES3_S5_PbS7_NS0_8identityIbEEEE10hipError_tT2_T3_mT4_P12ihipStream_tbEUlT_E_NS1_11comp_targetILNS1_3genE0ELNS1_11target_archE4294967295ELNS1_3gpuE0ELNS1_3repE0EEENS1_30default_config_static_selectorELNS0_4arch9wavefront6targetE0EEEvT1_.uses_flat_scratch, 0
	.set _ZN7rocprim17ROCPRIM_400000_NS6detail17trampoline_kernelINS0_14default_configENS1_25transform_config_selectorIbLb1EEEZNS1_14transform_implILb1ES3_S5_PbS7_NS0_8identityIbEEEE10hipError_tT2_T3_mT4_P12ihipStream_tbEUlT_E_NS1_11comp_targetILNS1_3genE0ELNS1_11target_archE4294967295ELNS1_3gpuE0ELNS1_3repE0EEENS1_30default_config_static_selectorELNS0_4arch9wavefront6targetE0EEEvT1_.has_dyn_sized_stack, 0
	.set _ZN7rocprim17ROCPRIM_400000_NS6detail17trampoline_kernelINS0_14default_configENS1_25transform_config_selectorIbLb1EEEZNS1_14transform_implILb1ES3_S5_PbS7_NS0_8identityIbEEEE10hipError_tT2_T3_mT4_P12ihipStream_tbEUlT_E_NS1_11comp_targetILNS1_3genE0ELNS1_11target_archE4294967295ELNS1_3gpuE0ELNS1_3repE0EEENS1_30default_config_static_selectorELNS0_4arch9wavefront6targetE0EEEvT1_.has_recursion, 0
	.set _ZN7rocprim17ROCPRIM_400000_NS6detail17trampoline_kernelINS0_14default_configENS1_25transform_config_selectorIbLb1EEEZNS1_14transform_implILb1ES3_S5_PbS7_NS0_8identityIbEEEE10hipError_tT2_T3_mT4_P12ihipStream_tbEUlT_E_NS1_11comp_targetILNS1_3genE0ELNS1_11target_archE4294967295ELNS1_3gpuE0ELNS1_3repE0EEENS1_30default_config_static_selectorELNS0_4arch9wavefront6targetE0EEEvT1_.has_indirect_call, 0
	.section	.AMDGPU.csdata,"",@progbits
; Kernel info:
; codeLenInByte = 1300
; TotalNumSgprs: 16
; NumVgprs: 12
; ScratchSize: 0
; MemoryBound: 0
; FloatMode: 240
; IeeeMode: 1
; LDSByteSize: 0 bytes/workgroup (compile time only)
; SGPRBlocks: 0
; VGPRBlocks: 0
; NumSGPRsForWavesPerEU: 16
; NumVGPRsForWavesPerEU: 12
; NamedBarCnt: 0
; Occupancy: 16
; WaveLimiterHint : 0
; COMPUTE_PGM_RSRC2:SCRATCH_EN: 0
; COMPUTE_PGM_RSRC2:USER_SGPR: 2
; COMPUTE_PGM_RSRC2:TRAP_HANDLER: 0
; COMPUTE_PGM_RSRC2:TGID_X_EN: 1
; COMPUTE_PGM_RSRC2:TGID_Y_EN: 0
; COMPUTE_PGM_RSRC2:TGID_Z_EN: 0
; COMPUTE_PGM_RSRC2:TIDIG_COMP_CNT: 0
	.section	.text._ZN7rocprim17ROCPRIM_400000_NS6detail17trampoline_kernelINS0_14default_configENS1_25transform_config_selectorIbLb1EEEZNS1_14transform_implILb1ES3_S5_PbS7_NS0_8identityIbEEEE10hipError_tT2_T3_mT4_P12ihipStream_tbEUlT_E_NS1_11comp_targetILNS1_3genE10ELNS1_11target_archE1201ELNS1_3gpuE5ELNS1_3repE0EEENS1_30default_config_static_selectorELNS0_4arch9wavefront6targetE0EEEvT1_,"axG",@progbits,_ZN7rocprim17ROCPRIM_400000_NS6detail17trampoline_kernelINS0_14default_configENS1_25transform_config_selectorIbLb1EEEZNS1_14transform_implILb1ES3_S5_PbS7_NS0_8identityIbEEEE10hipError_tT2_T3_mT4_P12ihipStream_tbEUlT_E_NS1_11comp_targetILNS1_3genE10ELNS1_11target_archE1201ELNS1_3gpuE5ELNS1_3repE0EEENS1_30default_config_static_selectorELNS0_4arch9wavefront6targetE0EEEvT1_,comdat
	.protected	_ZN7rocprim17ROCPRIM_400000_NS6detail17trampoline_kernelINS0_14default_configENS1_25transform_config_selectorIbLb1EEEZNS1_14transform_implILb1ES3_S5_PbS7_NS0_8identityIbEEEE10hipError_tT2_T3_mT4_P12ihipStream_tbEUlT_E_NS1_11comp_targetILNS1_3genE10ELNS1_11target_archE1201ELNS1_3gpuE5ELNS1_3repE0EEENS1_30default_config_static_selectorELNS0_4arch9wavefront6targetE0EEEvT1_ ; -- Begin function _ZN7rocprim17ROCPRIM_400000_NS6detail17trampoline_kernelINS0_14default_configENS1_25transform_config_selectorIbLb1EEEZNS1_14transform_implILb1ES3_S5_PbS7_NS0_8identityIbEEEE10hipError_tT2_T3_mT4_P12ihipStream_tbEUlT_E_NS1_11comp_targetILNS1_3genE10ELNS1_11target_archE1201ELNS1_3gpuE5ELNS1_3repE0EEENS1_30default_config_static_selectorELNS0_4arch9wavefront6targetE0EEEvT1_
	.globl	_ZN7rocprim17ROCPRIM_400000_NS6detail17trampoline_kernelINS0_14default_configENS1_25transform_config_selectorIbLb1EEEZNS1_14transform_implILb1ES3_S5_PbS7_NS0_8identityIbEEEE10hipError_tT2_T3_mT4_P12ihipStream_tbEUlT_E_NS1_11comp_targetILNS1_3genE10ELNS1_11target_archE1201ELNS1_3gpuE5ELNS1_3repE0EEENS1_30default_config_static_selectorELNS0_4arch9wavefront6targetE0EEEvT1_
	.p2align	8
	.type	_ZN7rocprim17ROCPRIM_400000_NS6detail17trampoline_kernelINS0_14default_configENS1_25transform_config_selectorIbLb1EEEZNS1_14transform_implILb1ES3_S5_PbS7_NS0_8identityIbEEEE10hipError_tT2_T3_mT4_P12ihipStream_tbEUlT_E_NS1_11comp_targetILNS1_3genE10ELNS1_11target_archE1201ELNS1_3gpuE5ELNS1_3repE0EEENS1_30default_config_static_selectorELNS0_4arch9wavefront6targetE0EEEvT1_,@function
_ZN7rocprim17ROCPRIM_400000_NS6detail17trampoline_kernelINS0_14default_configENS1_25transform_config_selectorIbLb1EEEZNS1_14transform_implILb1ES3_S5_PbS7_NS0_8identityIbEEEE10hipError_tT2_T3_mT4_P12ihipStream_tbEUlT_E_NS1_11comp_targetILNS1_3genE10ELNS1_11target_archE1201ELNS1_3gpuE5ELNS1_3repE0EEENS1_30default_config_static_selectorELNS0_4arch9wavefront6targetE0EEEvT1_: ; @_ZN7rocprim17ROCPRIM_400000_NS6detail17trampoline_kernelINS0_14default_configENS1_25transform_config_selectorIbLb1EEEZNS1_14transform_implILb1ES3_S5_PbS7_NS0_8identityIbEEEE10hipError_tT2_T3_mT4_P12ihipStream_tbEUlT_E_NS1_11comp_targetILNS1_3genE10ELNS1_11target_archE1201ELNS1_3gpuE5ELNS1_3repE0EEENS1_30default_config_static_selectorELNS0_4arch9wavefront6targetE0EEEvT1_
; %bb.0:
	.section	.rodata,"a",@progbits
	.p2align	6, 0x0
	.amdhsa_kernel _ZN7rocprim17ROCPRIM_400000_NS6detail17trampoline_kernelINS0_14default_configENS1_25transform_config_selectorIbLb1EEEZNS1_14transform_implILb1ES3_S5_PbS7_NS0_8identityIbEEEE10hipError_tT2_T3_mT4_P12ihipStream_tbEUlT_E_NS1_11comp_targetILNS1_3genE10ELNS1_11target_archE1201ELNS1_3gpuE5ELNS1_3repE0EEENS1_30default_config_static_selectorELNS0_4arch9wavefront6targetE0EEEvT1_
		.amdhsa_group_segment_fixed_size 0
		.amdhsa_private_segment_fixed_size 0
		.amdhsa_kernarg_size 40
		.amdhsa_user_sgpr_count 2
		.amdhsa_user_sgpr_dispatch_ptr 0
		.amdhsa_user_sgpr_queue_ptr 0
		.amdhsa_user_sgpr_kernarg_segment_ptr 1
		.amdhsa_user_sgpr_dispatch_id 0
		.amdhsa_user_sgpr_kernarg_preload_length 0
		.amdhsa_user_sgpr_kernarg_preload_offset 0
		.amdhsa_user_sgpr_private_segment_size 0
		.amdhsa_wavefront_size32 1
		.amdhsa_uses_dynamic_stack 0
		.amdhsa_enable_private_segment 0
		.amdhsa_system_sgpr_workgroup_id_x 1
		.amdhsa_system_sgpr_workgroup_id_y 0
		.amdhsa_system_sgpr_workgroup_id_z 0
		.amdhsa_system_sgpr_workgroup_info 0
		.amdhsa_system_vgpr_workitem_id 0
		.amdhsa_next_free_vgpr 1
		.amdhsa_next_free_sgpr 1
		.amdhsa_named_barrier_count 0
		.amdhsa_reserve_vcc 0
		.amdhsa_float_round_mode_32 0
		.amdhsa_float_round_mode_16_64 0
		.amdhsa_float_denorm_mode_32 3
		.amdhsa_float_denorm_mode_16_64 3
		.amdhsa_fp16_overflow 0
		.amdhsa_memory_ordered 1
		.amdhsa_forward_progress 1
		.amdhsa_inst_pref_size 0
		.amdhsa_round_robin_scheduling 0
		.amdhsa_exception_fp_ieee_invalid_op 0
		.amdhsa_exception_fp_denorm_src 0
		.amdhsa_exception_fp_ieee_div_zero 0
		.amdhsa_exception_fp_ieee_overflow 0
		.amdhsa_exception_fp_ieee_underflow 0
		.amdhsa_exception_fp_ieee_inexact 0
		.amdhsa_exception_int_div_zero 0
	.end_amdhsa_kernel
	.section	.text._ZN7rocprim17ROCPRIM_400000_NS6detail17trampoline_kernelINS0_14default_configENS1_25transform_config_selectorIbLb1EEEZNS1_14transform_implILb1ES3_S5_PbS7_NS0_8identityIbEEEE10hipError_tT2_T3_mT4_P12ihipStream_tbEUlT_E_NS1_11comp_targetILNS1_3genE10ELNS1_11target_archE1201ELNS1_3gpuE5ELNS1_3repE0EEENS1_30default_config_static_selectorELNS0_4arch9wavefront6targetE0EEEvT1_,"axG",@progbits,_ZN7rocprim17ROCPRIM_400000_NS6detail17trampoline_kernelINS0_14default_configENS1_25transform_config_selectorIbLb1EEEZNS1_14transform_implILb1ES3_S5_PbS7_NS0_8identityIbEEEE10hipError_tT2_T3_mT4_P12ihipStream_tbEUlT_E_NS1_11comp_targetILNS1_3genE10ELNS1_11target_archE1201ELNS1_3gpuE5ELNS1_3repE0EEENS1_30default_config_static_selectorELNS0_4arch9wavefront6targetE0EEEvT1_,comdat
.Lfunc_end1684:
	.size	_ZN7rocprim17ROCPRIM_400000_NS6detail17trampoline_kernelINS0_14default_configENS1_25transform_config_selectorIbLb1EEEZNS1_14transform_implILb1ES3_S5_PbS7_NS0_8identityIbEEEE10hipError_tT2_T3_mT4_P12ihipStream_tbEUlT_E_NS1_11comp_targetILNS1_3genE10ELNS1_11target_archE1201ELNS1_3gpuE5ELNS1_3repE0EEENS1_30default_config_static_selectorELNS0_4arch9wavefront6targetE0EEEvT1_, .Lfunc_end1684-_ZN7rocprim17ROCPRIM_400000_NS6detail17trampoline_kernelINS0_14default_configENS1_25transform_config_selectorIbLb1EEEZNS1_14transform_implILb1ES3_S5_PbS7_NS0_8identityIbEEEE10hipError_tT2_T3_mT4_P12ihipStream_tbEUlT_E_NS1_11comp_targetILNS1_3genE10ELNS1_11target_archE1201ELNS1_3gpuE5ELNS1_3repE0EEENS1_30default_config_static_selectorELNS0_4arch9wavefront6targetE0EEEvT1_
                                        ; -- End function
	.set _ZN7rocprim17ROCPRIM_400000_NS6detail17trampoline_kernelINS0_14default_configENS1_25transform_config_selectorIbLb1EEEZNS1_14transform_implILb1ES3_S5_PbS7_NS0_8identityIbEEEE10hipError_tT2_T3_mT4_P12ihipStream_tbEUlT_E_NS1_11comp_targetILNS1_3genE10ELNS1_11target_archE1201ELNS1_3gpuE5ELNS1_3repE0EEENS1_30default_config_static_selectorELNS0_4arch9wavefront6targetE0EEEvT1_.num_vgpr, 0
	.set _ZN7rocprim17ROCPRIM_400000_NS6detail17trampoline_kernelINS0_14default_configENS1_25transform_config_selectorIbLb1EEEZNS1_14transform_implILb1ES3_S5_PbS7_NS0_8identityIbEEEE10hipError_tT2_T3_mT4_P12ihipStream_tbEUlT_E_NS1_11comp_targetILNS1_3genE10ELNS1_11target_archE1201ELNS1_3gpuE5ELNS1_3repE0EEENS1_30default_config_static_selectorELNS0_4arch9wavefront6targetE0EEEvT1_.num_agpr, 0
	.set _ZN7rocprim17ROCPRIM_400000_NS6detail17trampoline_kernelINS0_14default_configENS1_25transform_config_selectorIbLb1EEEZNS1_14transform_implILb1ES3_S5_PbS7_NS0_8identityIbEEEE10hipError_tT2_T3_mT4_P12ihipStream_tbEUlT_E_NS1_11comp_targetILNS1_3genE10ELNS1_11target_archE1201ELNS1_3gpuE5ELNS1_3repE0EEENS1_30default_config_static_selectorELNS0_4arch9wavefront6targetE0EEEvT1_.numbered_sgpr, 0
	.set _ZN7rocprim17ROCPRIM_400000_NS6detail17trampoline_kernelINS0_14default_configENS1_25transform_config_selectorIbLb1EEEZNS1_14transform_implILb1ES3_S5_PbS7_NS0_8identityIbEEEE10hipError_tT2_T3_mT4_P12ihipStream_tbEUlT_E_NS1_11comp_targetILNS1_3genE10ELNS1_11target_archE1201ELNS1_3gpuE5ELNS1_3repE0EEENS1_30default_config_static_selectorELNS0_4arch9wavefront6targetE0EEEvT1_.num_named_barrier, 0
	.set _ZN7rocprim17ROCPRIM_400000_NS6detail17trampoline_kernelINS0_14default_configENS1_25transform_config_selectorIbLb1EEEZNS1_14transform_implILb1ES3_S5_PbS7_NS0_8identityIbEEEE10hipError_tT2_T3_mT4_P12ihipStream_tbEUlT_E_NS1_11comp_targetILNS1_3genE10ELNS1_11target_archE1201ELNS1_3gpuE5ELNS1_3repE0EEENS1_30default_config_static_selectorELNS0_4arch9wavefront6targetE0EEEvT1_.private_seg_size, 0
	.set _ZN7rocprim17ROCPRIM_400000_NS6detail17trampoline_kernelINS0_14default_configENS1_25transform_config_selectorIbLb1EEEZNS1_14transform_implILb1ES3_S5_PbS7_NS0_8identityIbEEEE10hipError_tT2_T3_mT4_P12ihipStream_tbEUlT_E_NS1_11comp_targetILNS1_3genE10ELNS1_11target_archE1201ELNS1_3gpuE5ELNS1_3repE0EEENS1_30default_config_static_selectorELNS0_4arch9wavefront6targetE0EEEvT1_.uses_vcc, 0
	.set _ZN7rocprim17ROCPRIM_400000_NS6detail17trampoline_kernelINS0_14default_configENS1_25transform_config_selectorIbLb1EEEZNS1_14transform_implILb1ES3_S5_PbS7_NS0_8identityIbEEEE10hipError_tT2_T3_mT4_P12ihipStream_tbEUlT_E_NS1_11comp_targetILNS1_3genE10ELNS1_11target_archE1201ELNS1_3gpuE5ELNS1_3repE0EEENS1_30default_config_static_selectorELNS0_4arch9wavefront6targetE0EEEvT1_.uses_flat_scratch, 0
	.set _ZN7rocprim17ROCPRIM_400000_NS6detail17trampoline_kernelINS0_14default_configENS1_25transform_config_selectorIbLb1EEEZNS1_14transform_implILb1ES3_S5_PbS7_NS0_8identityIbEEEE10hipError_tT2_T3_mT4_P12ihipStream_tbEUlT_E_NS1_11comp_targetILNS1_3genE10ELNS1_11target_archE1201ELNS1_3gpuE5ELNS1_3repE0EEENS1_30default_config_static_selectorELNS0_4arch9wavefront6targetE0EEEvT1_.has_dyn_sized_stack, 0
	.set _ZN7rocprim17ROCPRIM_400000_NS6detail17trampoline_kernelINS0_14default_configENS1_25transform_config_selectorIbLb1EEEZNS1_14transform_implILb1ES3_S5_PbS7_NS0_8identityIbEEEE10hipError_tT2_T3_mT4_P12ihipStream_tbEUlT_E_NS1_11comp_targetILNS1_3genE10ELNS1_11target_archE1201ELNS1_3gpuE5ELNS1_3repE0EEENS1_30default_config_static_selectorELNS0_4arch9wavefront6targetE0EEEvT1_.has_recursion, 0
	.set _ZN7rocprim17ROCPRIM_400000_NS6detail17trampoline_kernelINS0_14default_configENS1_25transform_config_selectorIbLb1EEEZNS1_14transform_implILb1ES3_S5_PbS7_NS0_8identityIbEEEE10hipError_tT2_T3_mT4_P12ihipStream_tbEUlT_E_NS1_11comp_targetILNS1_3genE10ELNS1_11target_archE1201ELNS1_3gpuE5ELNS1_3repE0EEENS1_30default_config_static_selectorELNS0_4arch9wavefront6targetE0EEEvT1_.has_indirect_call, 0
	.section	.AMDGPU.csdata,"",@progbits
; Kernel info:
; codeLenInByte = 0
; TotalNumSgprs: 0
; NumVgprs: 0
; ScratchSize: 0
; MemoryBound: 0
; FloatMode: 240
; IeeeMode: 1
; LDSByteSize: 0 bytes/workgroup (compile time only)
; SGPRBlocks: 0
; VGPRBlocks: 0
; NumSGPRsForWavesPerEU: 1
; NumVGPRsForWavesPerEU: 1
; NamedBarCnt: 0
; Occupancy: 16
; WaveLimiterHint : 0
; COMPUTE_PGM_RSRC2:SCRATCH_EN: 0
; COMPUTE_PGM_RSRC2:USER_SGPR: 2
; COMPUTE_PGM_RSRC2:TRAP_HANDLER: 0
; COMPUTE_PGM_RSRC2:TGID_X_EN: 1
; COMPUTE_PGM_RSRC2:TGID_Y_EN: 0
; COMPUTE_PGM_RSRC2:TGID_Z_EN: 0
; COMPUTE_PGM_RSRC2:TIDIG_COMP_CNT: 0
	.section	.text._ZN7rocprim17ROCPRIM_400000_NS6detail17trampoline_kernelINS0_14default_configENS1_25transform_config_selectorIbLb1EEEZNS1_14transform_implILb1ES3_S5_PbS7_NS0_8identityIbEEEE10hipError_tT2_T3_mT4_P12ihipStream_tbEUlT_E_NS1_11comp_targetILNS1_3genE5ELNS1_11target_archE942ELNS1_3gpuE9ELNS1_3repE0EEENS1_30default_config_static_selectorELNS0_4arch9wavefront6targetE0EEEvT1_,"axG",@progbits,_ZN7rocprim17ROCPRIM_400000_NS6detail17trampoline_kernelINS0_14default_configENS1_25transform_config_selectorIbLb1EEEZNS1_14transform_implILb1ES3_S5_PbS7_NS0_8identityIbEEEE10hipError_tT2_T3_mT4_P12ihipStream_tbEUlT_E_NS1_11comp_targetILNS1_3genE5ELNS1_11target_archE942ELNS1_3gpuE9ELNS1_3repE0EEENS1_30default_config_static_selectorELNS0_4arch9wavefront6targetE0EEEvT1_,comdat
	.protected	_ZN7rocprim17ROCPRIM_400000_NS6detail17trampoline_kernelINS0_14default_configENS1_25transform_config_selectorIbLb1EEEZNS1_14transform_implILb1ES3_S5_PbS7_NS0_8identityIbEEEE10hipError_tT2_T3_mT4_P12ihipStream_tbEUlT_E_NS1_11comp_targetILNS1_3genE5ELNS1_11target_archE942ELNS1_3gpuE9ELNS1_3repE0EEENS1_30default_config_static_selectorELNS0_4arch9wavefront6targetE0EEEvT1_ ; -- Begin function _ZN7rocprim17ROCPRIM_400000_NS6detail17trampoline_kernelINS0_14default_configENS1_25transform_config_selectorIbLb1EEEZNS1_14transform_implILb1ES3_S5_PbS7_NS0_8identityIbEEEE10hipError_tT2_T3_mT4_P12ihipStream_tbEUlT_E_NS1_11comp_targetILNS1_3genE5ELNS1_11target_archE942ELNS1_3gpuE9ELNS1_3repE0EEENS1_30default_config_static_selectorELNS0_4arch9wavefront6targetE0EEEvT1_
	.globl	_ZN7rocprim17ROCPRIM_400000_NS6detail17trampoline_kernelINS0_14default_configENS1_25transform_config_selectorIbLb1EEEZNS1_14transform_implILb1ES3_S5_PbS7_NS0_8identityIbEEEE10hipError_tT2_T3_mT4_P12ihipStream_tbEUlT_E_NS1_11comp_targetILNS1_3genE5ELNS1_11target_archE942ELNS1_3gpuE9ELNS1_3repE0EEENS1_30default_config_static_selectorELNS0_4arch9wavefront6targetE0EEEvT1_
	.p2align	8
	.type	_ZN7rocprim17ROCPRIM_400000_NS6detail17trampoline_kernelINS0_14default_configENS1_25transform_config_selectorIbLb1EEEZNS1_14transform_implILb1ES3_S5_PbS7_NS0_8identityIbEEEE10hipError_tT2_T3_mT4_P12ihipStream_tbEUlT_E_NS1_11comp_targetILNS1_3genE5ELNS1_11target_archE942ELNS1_3gpuE9ELNS1_3repE0EEENS1_30default_config_static_selectorELNS0_4arch9wavefront6targetE0EEEvT1_,@function
_ZN7rocprim17ROCPRIM_400000_NS6detail17trampoline_kernelINS0_14default_configENS1_25transform_config_selectorIbLb1EEEZNS1_14transform_implILb1ES3_S5_PbS7_NS0_8identityIbEEEE10hipError_tT2_T3_mT4_P12ihipStream_tbEUlT_E_NS1_11comp_targetILNS1_3genE5ELNS1_11target_archE942ELNS1_3gpuE9ELNS1_3repE0EEENS1_30default_config_static_selectorELNS0_4arch9wavefront6targetE0EEEvT1_: ; @_ZN7rocprim17ROCPRIM_400000_NS6detail17trampoline_kernelINS0_14default_configENS1_25transform_config_selectorIbLb1EEEZNS1_14transform_implILb1ES3_S5_PbS7_NS0_8identityIbEEEE10hipError_tT2_T3_mT4_P12ihipStream_tbEUlT_E_NS1_11comp_targetILNS1_3genE5ELNS1_11target_archE942ELNS1_3gpuE9ELNS1_3repE0EEENS1_30default_config_static_selectorELNS0_4arch9wavefront6targetE0EEEvT1_
; %bb.0:
	.section	.rodata,"a",@progbits
	.p2align	6, 0x0
	.amdhsa_kernel _ZN7rocprim17ROCPRIM_400000_NS6detail17trampoline_kernelINS0_14default_configENS1_25transform_config_selectorIbLb1EEEZNS1_14transform_implILb1ES3_S5_PbS7_NS0_8identityIbEEEE10hipError_tT2_T3_mT4_P12ihipStream_tbEUlT_E_NS1_11comp_targetILNS1_3genE5ELNS1_11target_archE942ELNS1_3gpuE9ELNS1_3repE0EEENS1_30default_config_static_selectorELNS0_4arch9wavefront6targetE0EEEvT1_
		.amdhsa_group_segment_fixed_size 0
		.amdhsa_private_segment_fixed_size 0
		.amdhsa_kernarg_size 40
		.amdhsa_user_sgpr_count 2
		.amdhsa_user_sgpr_dispatch_ptr 0
		.amdhsa_user_sgpr_queue_ptr 0
		.amdhsa_user_sgpr_kernarg_segment_ptr 1
		.amdhsa_user_sgpr_dispatch_id 0
		.amdhsa_user_sgpr_kernarg_preload_length 0
		.amdhsa_user_sgpr_kernarg_preload_offset 0
		.amdhsa_user_sgpr_private_segment_size 0
		.amdhsa_wavefront_size32 1
		.amdhsa_uses_dynamic_stack 0
		.amdhsa_enable_private_segment 0
		.amdhsa_system_sgpr_workgroup_id_x 1
		.amdhsa_system_sgpr_workgroup_id_y 0
		.amdhsa_system_sgpr_workgroup_id_z 0
		.amdhsa_system_sgpr_workgroup_info 0
		.amdhsa_system_vgpr_workitem_id 0
		.amdhsa_next_free_vgpr 1
		.amdhsa_next_free_sgpr 1
		.amdhsa_named_barrier_count 0
		.amdhsa_reserve_vcc 0
		.amdhsa_float_round_mode_32 0
		.amdhsa_float_round_mode_16_64 0
		.amdhsa_float_denorm_mode_32 3
		.amdhsa_float_denorm_mode_16_64 3
		.amdhsa_fp16_overflow 0
		.amdhsa_memory_ordered 1
		.amdhsa_forward_progress 1
		.amdhsa_inst_pref_size 0
		.amdhsa_round_robin_scheduling 0
		.amdhsa_exception_fp_ieee_invalid_op 0
		.amdhsa_exception_fp_denorm_src 0
		.amdhsa_exception_fp_ieee_div_zero 0
		.amdhsa_exception_fp_ieee_overflow 0
		.amdhsa_exception_fp_ieee_underflow 0
		.amdhsa_exception_fp_ieee_inexact 0
		.amdhsa_exception_int_div_zero 0
	.end_amdhsa_kernel
	.section	.text._ZN7rocprim17ROCPRIM_400000_NS6detail17trampoline_kernelINS0_14default_configENS1_25transform_config_selectorIbLb1EEEZNS1_14transform_implILb1ES3_S5_PbS7_NS0_8identityIbEEEE10hipError_tT2_T3_mT4_P12ihipStream_tbEUlT_E_NS1_11comp_targetILNS1_3genE5ELNS1_11target_archE942ELNS1_3gpuE9ELNS1_3repE0EEENS1_30default_config_static_selectorELNS0_4arch9wavefront6targetE0EEEvT1_,"axG",@progbits,_ZN7rocprim17ROCPRIM_400000_NS6detail17trampoline_kernelINS0_14default_configENS1_25transform_config_selectorIbLb1EEEZNS1_14transform_implILb1ES3_S5_PbS7_NS0_8identityIbEEEE10hipError_tT2_T3_mT4_P12ihipStream_tbEUlT_E_NS1_11comp_targetILNS1_3genE5ELNS1_11target_archE942ELNS1_3gpuE9ELNS1_3repE0EEENS1_30default_config_static_selectorELNS0_4arch9wavefront6targetE0EEEvT1_,comdat
.Lfunc_end1685:
	.size	_ZN7rocprim17ROCPRIM_400000_NS6detail17trampoline_kernelINS0_14default_configENS1_25transform_config_selectorIbLb1EEEZNS1_14transform_implILb1ES3_S5_PbS7_NS0_8identityIbEEEE10hipError_tT2_T3_mT4_P12ihipStream_tbEUlT_E_NS1_11comp_targetILNS1_3genE5ELNS1_11target_archE942ELNS1_3gpuE9ELNS1_3repE0EEENS1_30default_config_static_selectorELNS0_4arch9wavefront6targetE0EEEvT1_, .Lfunc_end1685-_ZN7rocprim17ROCPRIM_400000_NS6detail17trampoline_kernelINS0_14default_configENS1_25transform_config_selectorIbLb1EEEZNS1_14transform_implILb1ES3_S5_PbS7_NS0_8identityIbEEEE10hipError_tT2_T3_mT4_P12ihipStream_tbEUlT_E_NS1_11comp_targetILNS1_3genE5ELNS1_11target_archE942ELNS1_3gpuE9ELNS1_3repE0EEENS1_30default_config_static_selectorELNS0_4arch9wavefront6targetE0EEEvT1_
                                        ; -- End function
	.set _ZN7rocprim17ROCPRIM_400000_NS6detail17trampoline_kernelINS0_14default_configENS1_25transform_config_selectorIbLb1EEEZNS1_14transform_implILb1ES3_S5_PbS7_NS0_8identityIbEEEE10hipError_tT2_T3_mT4_P12ihipStream_tbEUlT_E_NS1_11comp_targetILNS1_3genE5ELNS1_11target_archE942ELNS1_3gpuE9ELNS1_3repE0EEENS1_30default_config_static_selectorELNS0_4arch9wavefront6targetE0EEEvT1_.num_vgpr, 0
	.set _ZN7rocprim17ROCPRIM_400000_NS6detail17trampoline_kernelINS0_14default_configENS1_25transform_config_selectorIbLb1EEEZNS1_14transform_implILb1ES3_S5_PbS7_NS0_8identityIbEEEE10hipError_tT2_T3_mT4_P12ihipStream_tbEUlT_E_NS1_11comp_targetILNS1_3genE5ELNS1_11target_archE942ELNS1_3gpuE9ELNS1_3repE0EEENS1_30default_config_static_selectorELNS0_4arch9wavefront6targetE0EEEvT1_.num_agpr, 0
	.set _ZN7rocprim17ROCPRIM_400000_NS6detail17trampoline_kernelINS0_14default_configENS1_25transform_config_selectorIbLb1EEEZNS1_14transform_implILb1ES3_S5_PbS7_NS0_8identityIbEEEE10hipError_tT2_T3_mT4_P12ihipStream_tbEUlT_E_NS1_11comp_targetILNS1_3genE5ELNS1_11target_archE942ELNS1_3gpuE9ELNS1_3repE0EEENS1_30default_config_static_selectorELNS0_4arch9wavefront6targetE0EEEvT1_.numbered_sgpr, 0
	.set _ZN7rocprim17ROCPRIM_400000_NS6detail17trampoline_kernelINS0_14default_configENS1_25transform_config_selectorIbLb1EEEZNS1_14transform_implILb1ES3_S5_PbS7_NS0_8identityIbEEEE10hipError_tT2_T3_mT4_P12ihipStream_tbEUlT_E_NS1_11comp_targetILNS1_3genE5ELNS1_11target_archE942ELNS1_3gpuE9ELNS1_3repE0EEENS1_30default_config_static_selectorELNS0_4arch9wavefront6targetE0EEEvT1_.num_named_barrier, 0
	.set _ZN7rocprim17ROCPRIM_400000_NS6detail17trampoline_kernelINS0_14default_configENS1_25transform_config_selectorIbLb1EEEZNS1_14transform_implILb1ES3_S5_PbS7_NS0_8identityIbEEEE10hipError_tT2_T3_mT4_P12ihipStream_tbEUlT_E_NS1_11comp_targetILNS1_3genE5ELNS1_11target_archE942ELNS1_3gpuE9ELNS1_3repE0EEENS1_30default_config_static_selectorELNS0_4arch9wavefront6targetE0EEEvT1_.private_seg_size, 0
	.set _ZN7rocprim17ROCPRIM_400000_NS6detail17trampoline_kernelINS0_14default_configENS1_25transform_config_selectorIbLb1EEEZNS1_14transform_implILb1ES3_S5_PbS7_NS0_8identityIbEEEE10hipError_tT2_T3_mT4_P12ihipStream_tbEUlT_E_NS1_11comp_targetILNS1_3genE5ELNS1_11target_archE942ELNS1_3gpuE9ELNS1_3repE0EEENS1_30default_config_static_selectorELNS0_4arch9wavefront6targetE0EEEvT1_.uses_vcc, 0
	.set _ZN7rocprim17ROCPRIM_400000_NS6detail17trampoline_kernelINS0_14default_configENS1_25transform_config_selectorIbLb1EEEZNS1_14transform_implILb1ES3_S5_PbS7_NS0_8identityIbEEEE10hipError_tT2_T3_mT4_P12ihipStream_tbEUlT_E_NS1_11comp_targetILNS1_3genE5ELNS1_11target_archE942ELNS1_3gpuE9ELNS1_3repE0EEENS1_30default_config_static_selectorELNS0_4arch9wavefront6targetE0EEEvT1_.uses_flat_scratch, 0
	.set _ZN7rocprim17ROCPRIM_400000_NS6detail17trampoline_kernelINS0_14default_configENS1_25transform_config_selectorIbLb1EEEZNS1_14transform_implILb1ES3_S5_PbS7_NS0_8identityIbEEEE10hipError_tT2_T3_mT4_P12ihipStream_tbEUlT_E_NS1_11comp_targetILNS1_3genE5ELNS1_11target_archE942ELNS1_3gpuE9ELNS1_3repE0EEENS1_30default_config_static_selectorELNS0_4arch9wavefront6targetE0EEEvT1_.has_dyn_sized_stack, 0
	.set _ZN7rocprim17ROCPRIM_400000_NS6detail17trampoline_kernelINS0_14default_configENS1_25transform_config_selectorIbLb1EEEZNS1_14transform_implILb1ES3_S5_PbS7_NS0_8identityIbEEEE10hipError_tT2_T3_mT4_P12ihipStream_tbEUlT_E_NS1_11comp_targetILNS1_3genE5ELNS1_11target_archE942ELNS1_3gpuE9ELNS1_3repE0EEENS1_30default_config_static_selectorELNS0_4arch9wavefront6targetE0EEEvT1_.has_recursion, 0
	.set _ZN7rocprim17ROCPRIM_400000_NS6detail17trampoline_kernelINS0_14default_configENS1_25transform_config_selectorIbLb1EEEZNS1_14transform_implILb1ES3_S5_PbS7_NS0_8identityIbEEEE10hipError_tT2_T3_mT4_P12ihipStream_tbEUlT_E_NS1_11comp_targetILNS1_3genE5ELNS1_11target_archE942ELNS1_3gpuE9ELNS1_3repE0EEENS1_30default_config_static_selectorELNS0_4arch9wavefront6targetE0EEEvT1_.has_indirect_call, 0
	.section	.AMDGPU.csdata,"",@progbits
; Kernel info:
; codeLenInByte = 0
; TotalNumSgprs: 0
; NumVgprs: 0
; ScratchSize: 0
; MemoryBound: 0
; FloatMode: 240
; IeeeMode: 1
; LDSByteSize: 0 bytes/workgroup (compile time only)
; SGPRBlocks: 0
; VGPRBlocks: 0
; NumSGPRsForWavesPerEU: 1
; NumVGPRsForWavesPerEU: 1
; NamedBarCnt: 0
; Occupancy: 16
; WaveLimiterHint : 0
; COMPUTE_PGM_RSRC2:SCRATCH_EN: 0
; COMPUTE_PGM_RSRC2:USER_SGPR: 2
; COMPUTE_PGM_RSRC2:TRAP_HANDLER: 0
; COMPUTE_PGM_RSRC2:TGID_X_EN: 1
; COMPUTE_PGM_RSRC2:TGID_Y_EN: 0
; COMPUTE_PGM_RSRC2:TGID_Z_EN: 0
; COMPUTE_PGM_RSRC2:TIDIG_COMP_CNT: 0
	.section	.text._ZN7rocprim17ROCPRIM_400000_NS6detail17trampoline_kernelINS0_14default_configENS1_25transform_config_selectorIbLb1EEEZNS1_14transform_implILb1ES3_S5_PbS7_NS0_8identityIbEEEE10hipError_tT2_T3_mT4_P12ihipStream_tbEUlT_E_NS1_11comp_targetILNS1_3genE4ELNS1_11target_archE910ELNS1_3gpuE8ELNS1_3repE0EEENS1_30default_config_static_selectorELNS0_4arch9wavefront6targetE0EEEvT1_,"axG",@progbits,_ZN7rocprim17ROCPRIM_400000_NS6detail17trampoline_kernelINS0_14default_configENS1_25transform_config_selectorIbLb1EEEZNS1_14transform_implILb1ES3_S5_PbS7_NS0_8identityIbEEEE10hipError_tT2_T3_mT4_P12ihipStream_tbEUlT_E_NS1_11comp_targetILNS1_3genE4ELNS1_11target_archE910ELNS1_3gpuE8ELNS1_3repE0EEENS1_30default_config_static_selectorELNS0_4arch9wavefront6targetE0EEEvT1_,comdat
	.protected	_ZN7rocprim17ROCPRIM_400000_NS6detail17trampoline_kernelINS0_14default_configENS1_25transform_config_selectorIbLb1EEEZNS1_14transform_implILb1ES3_S5_PbS7_NS0_8identityIbEEEE10hipError_tT2_T3_mT4_P12ihipStream_tbEUlT_E_NS1_11comp_targetILNS1_3genE4ELNS1_11target_archE910ELNS1_3gpuE8ELNS1_3repE0EEENS1_30default_config_static_selectorELNS0_4arch9wavefront6targetE0EEEvT1_ ; -- Begin function _ZN7rocprim17ROCPRIM_400000_NS6detail17trampoline_kernelINS0_14default_configENS1_25transform_config_selectorIbLb1EEEZNS1_14transform_implILb1ES3_S5_PbS7_NS0_8identityIbEEEE10hipError_tT2_T3_mT4_P12ihipStream_tbEUlT_E_NS1_11comp_targetILNS1_3genE4ELNS1_11target_archE910ELNS1_3gpuE8ELNS1_3repE0EEENS1_30default_config_static_selectorELNS0_4arch9wavefront6targetE0EEEvT1_
	.globl	_ZN7rocprim17ROCPRIM_400000_NS6detail17trampoline_kernelINS0_14default_configENS1_25transform_config_selectorIbLb1EEEZNS1_14transform_implILb1ES3_S5_PbS7_NS0_8identityIbEEEE10hipError_tT2_T3_mT4_P12ihipStream_tbEUlT_E_NS1_11comp_targetILNS1_3genE4ELNS1_11target_archE910ELNS1_3gpuE8ELNS1_3repE0EEENS1_30default_config_static_selectorELNS0_4arch9wavefront6targetE0EEEvT1_
	.p2align	8
	.type	_ZN7rocprim17ROCPRIM_400000_NS6detail17trampoline_kernelINS0_14default_configENS1_25transform_config_selectorIbLb1EEEZNS1_14transform_implILb1ES3_S5_PbS7_NS0_8identityIbEEEE10hipError_tT2_T3_mT4_P12ihipStream_tbEUlT_E_NS1_11comp_targetILNS1_3genE4ELNS1_11target_archE910ELNS1_3gpuE8ELNS1_3repE0EEENS1_30default_config_static_selectorELNS0_4arch9wavefront6targetE0EEEvT1_,@function
_ZN7rocprim17ROCPRIM_400000_NS6detail17trampoline_kernelINS0_14default_configENS1_25transform_config_selectorIbLb1EEEZNS1_14transform_implILb1ES3_S5_PbS7_NS0_8identityIbEEEE10hipError_tT2_T3_mT4_P12ihipStream_tbEUlT_E_NS1_11comp_targetILNS1_3genE4ELNS1_11target_archE910ELNS1_3gpuE8ELNS1_3repE0EEENS1_30default_config_static_selectorELNS0_4arch9wavefront6targetE0EEEvT1_: ; @_ZN7rocprim17ROCPRIM_400000_NS6detail17trampoline_kernelINS0_14default_configENS1_25transform_config_selectorIbLb1EEEZNS1_14transform_implILb1ES3_S5_PbS7_NS0_8identityIbEEEE10hipError_tT2_T3_mT4_P12ihipStream_tbEUlT_E_NS1_11comp_targetILNS1_3genE4ELNS1_11target_archE910ELNS1_3gpuE8ELNS1_3repE0EEENS1_30default_config_static_selectorELNS0_4arch9wavefront6targetE0EEEvT1_
; %bb.0:
	.section	.rodata,"a",@progbits
	.p2align	6, 0x0
	.amdhsa_kernel _ZN7rocprim17ROCPRIM_400000_NS6detail17trampoline_kernelINS0_14default_configENS1_25transform_config_selectorIbLb1EEEZNS1_14transform_implILb1ES3_S5_PbS7_NS0_8identityIbEEEE10hipError_tT2_T3_mT4_P12ihipStream_tbEUlT_E_NS1_11comp_targetILNS1_3genE4ELNS1_11target_archE910ELNS1_3gpuE8ELNS1_3repE0EEENS1_30default_config_static_selectorELNS0_4arch9wavefront6targetE0EEEvT1_
		.amdhsa_group_segment_fixed_size 0
		.amdhsa_private_segment_fixed_size 0
		.amdhsa_kernarg_size 40
		.amdhsa_user_sgpr_count 2
		.amdhsa_user_sgpr_dispatch_ptr 0
		.amdhsa_user_sgpr_queue_ptr 0
		.amdhsa_user_sgpr_kernarg_segment_ptr 1
		.amdhsa_user_sgpr_dispatch_id 0
		.amdhsa_user_sgpr_kernarg_preload_length 0
		.amdhsa_user_sgpr_kernarg_preload_offset 0
		.amdhsa_user_sgpr_private_segment_size 0
		.amdhsa_wavefront_size32 1
		.amdhsa_uses_dynamic_stack 0
		.amdhsa_enable_private_segment 0
		.amdhsa_system_sgpr_workgroup_id_x 1
		.amdhsa_system_sgpr_workgroup_id_y 0
		.amdhsa_system_sgpr_workgroup_id_z 0
		.amdhsa_system_sgpr_workgroup_info 0
		.amdhsa_system_vgpr_workitem_id 0
		.amdhsa_next_free_vgpr 1
		.amdhsa_next_free_sgpr 1
		.amdhsa_named_barrier_count 0
		.amdhsa_reserve_vcc 0
		.amdhsa_float_round_mode_32 0
		.amdhsa_float_round_mode_16_64 0
		.amdhsa_float_denorm_mode_32 3
		.amdhsa_float_denorm_mode_16_64 3
		.amdhsa_fp16_overflow 0
		.amdhsa_memory_ordered 1
		.amdhsa_forward_progress 1
		.amdhsa_inst_pref_size 0
		.amdhsa_round_robin_scheduling 0
		.amdhsa_exception_fp_ieee_invalid_op 0
		.amdhsa_exception_fp_denorm_src 0
		.amdhsa_exception_fp_ieee_div_zero 0
		.amdhsa_exception_fp_ieee_overflow 0
		.amdhsa_exception_fp_ieee_underflow 0
		.amdhsa_exception_fp_ieee_inexact 0
		.amdhsa_exception_int_div_zero 0
	.end_amdhsa_kernel
	.section	.text._ZN7rocprim17ROCPRIM_400000_NS6detail17trampoline_kernelINS0_14default_configENS1_25transform_config_selectorIbLb1EEEZNS1_14transform_implILb1ES3_S5_PbS7_NS0_8identityIbEEEE10hipError_tT2_T3_mT4_P12ihipStream_tbEUlT_E_NS1_11comp_targetILNS1_3genE4ELNS1_11target_archE910ELNS1_3gpuE8ELNS1_3repE0EEENS1_30default_config_static_selectorELNS0_4arch9wavefront6targetE0EEEvT1_,"axG",@progbits,_ZN7rocprim17ROCPRIM_400000_NS6detail17trampoline_kernelINS0_14default_configENS1_25transform_config_selectorIbLb1EEEZNS1_14transform_implILb1ES3_S5_PbS7_NS0_8identityIbEEEE10hipError_tT2_T3_mT4_P12ihipStream_tbEUlT_E_NS1_11comp_targetILNS1_3genE4ELNS1_11target_archE910ELNS1_3gpuE8ELNS1_3repE0EEENS1_30default_config_static_selectorELNS0_4arch9wavefront6targetE0EEEvT1_,comdat
.Lfunc_end1686:
	.size	_ZN7rocprim17ROCPRIM_400000_NS6detail17trampoline_kernelINS0_14default_configENS1_25transform_config_selectorIbLb1EEEZNS1_14transform_implILb1ES3_S5_PbS7_NS0_8identityIbEEEE10hipError_tT2_T3_mT4_P12ihipStream_tbEUlT_E_NS1_11comp_targetILNS1_3genE4ELNS1_11target_archE910ELNS1_3gpuE8ELNS1_3repE0EEENS1_30default_config_static_selectorELNS0_4arch9wavefront6targetE0EEEvT1_, .Lfunc_end1686-_ZN7rocprim17ROCPRIM_400000_NS6detail17trampoline_kernelINS0_14default_configENS1_25transform_config_selectorIbLb1EEEZNS1_14transform_implILb1ES3_S5_PbS7_NS0_8identityIbEEEE10hipError_tT2_T3_mT4_P12ihipStream_tbEUlT_E_NS1_11comp_targetILNS1_3genE4ELNS1_11target_archE910ELNS1_3gpuE8ELNS1_3repE0EEENS1_30default_config_static_selectorELNS0_4arch9wavefront6targetE0EEEvT1_
                                        ; -- End function
	.set _ZN7rocprim17ROCPRIM_400000_NS6detail17trampoline_kernelINS0_14default_configENS1_25transform_config_selectorIbLb1EEEZNS1_14transform_implILb1ES3_S5_PbS7_NS0_8identityIbEEEE10hipError_tT2_T3_mT4_P12ihipStream_tbEUlT_E_NS1_11comp_targetILNS1_3genE4ELNS1_11target_archE910ELNS1_3gpuE8ELNS1_3repE0EEENS1_30default_config_static_selectorELNS0_4arch9wavefront6targetE0EEEvT1_.num_vgpr, 0
	.set _ZN7rocprim17ROCPRIM_400000_NS6detail17trampoline_kernelINS0_14default_configENS1_25transform_config_selectorIbLb1EEEZNS1_14transform_implILb1ES3_S5_PbS7_NS0_8identityIbEEEE10hipError_tT2_T3_mT4_P12ihipStream_tbEUlT_E_NS1_11comp_targetILNS1_3genE4ELNS1_11target_archE910ELNS1_3gpuE8ELNS1_3repE0EEENS1_30default_config_static_selectorELNS0_4arch9wavefront6targetE0EEEvT1_.num_agpr, 0
	.set _ZN7rocprim17ROCPRIM_400000_NS6detail17trampoline_kernelINS0_14default_configENS1_25transform_config_selectorIbLb1EEEZNS1_14transform_implILb1ES3_S5_PbS7_NS0_8identityIbEEEE10hipError_tT2_T3_mT4_P12ihipStream_tbEUlT_E_NS1_11comp_targetILNS1_3genE4ELNS1_11target_archE910ELNS1_3gpuE8ELNS1_3repE0EEENS1_30default_config_static_selectorELNS0_4arch9wavefront6targetE0EEEvT1_.numbered_sgpr, 0
	.set _ZN7rocprim17ROCPRIM_400000_NS6detail17trampoline_kernelINS0_14default_configENS1_25transform_config_selectorIbLb1EEEZNS1_14transform_implILb1ES3_S5_PbS7_NS0_8identityIbEEEE10hipError_tT2_T3_mT4_P12ihipStream_tbEUlT_E_NS1_11comp_targetILNS1_3genE4ELNS1_11target_archE910ELNS1_3gpuE8ELNS1_3repE0EEENS1_30default_config_static_selectorELNS0_4arch9wavefront6targetE0EEEvT1_.num_named_barrier, 0
	.set _ZN7rocprim17ROCPRIM_400000_NS6detail17trampoline_kernelINS0_14default_configENS1_25transform_config_selectorIbLb1EEEZNS1_14transform_implILb1ES3_S5_PbS7_NS0_8identityIbEEEE10hipError_tT2_T3_mT4_P12ihipStream_tbEUlT_E_NS1_11comp_targetILNS1_3genE4ELNS1_11target_archE910ELNS1_3gpuE8ELNS1_3repE0EEENS1_30default_config_static_selectorELNS0_4arch9wavefront6targetE0EEEvT1_.private_seg_size, 0
	.set _ZN7rocprim17ROCPRIM_400000_NS6detail17trampoline_kernelINS0_14default_configENS1_25transform_config_selectorIbLb1EEEZNS1_14transform_implILb1ES3_S5_PbS7_NS0_8identityIbEEEE10hipError_tT2_T3_mT4_P12ihipStream_tbEUlT_E_NS1_11comp_targetILNS1_3genE4ELNS1_11target_archE910ELNS1_3gpuE8ELNS1_3repE0EEENS1_30default_config_static_selectorELNS0_4arch9wavefront6targetE0EEEvT1_.uses_vcc, 0
	.set _ZN7rocprim17ROCPRIM_400000_NS6detail17trampoline_kernelINS0_14default_configENS1_25transform_config_selectorIbLb1EEEZNS1_14transform_implILb1ES3_S5_PbS7_NS0_8identityIbEEEE10hipError_tT2_T3_mT4_P12ihipStream_tbEUlT_E_NS1_11comp_targetILNS1_3genE4ELNS1_11target_archE910ELNS1_3gpuE8ELNS1_3repE0EEENS1_30default_config_static_selectorELNS0_4arch9wavefront6targetE0EEEvT1_.uses_flat_scratch, 0
	.set _ZN7rocprim17ROCPRIM_400000_NS6detail17trampoline_kernelINS0_14default_configENS1_25transform_config_selectorIbLb1EEEZNS1_14transform_implILb1ES3_S5_PbS7_NS0_8identityIbEEEE10hipError_tT2_T3_mT4_P12ihipStream_tbEUlT_E_NS1_11comp_targetILNS1_3genE4ELNS1_11target_archE910ELNS1_3gpuE8ELNS1_3repE0EEENS1_30default_config_static_selectorELNS0_4arch9wavefront6targetE0EEEvT1_.has_dyn_sized_stack, 0
	.set _ZN7rocprim17ROCPRIM_400000_NS6detail17trampoline_kernelINS0_14default_configENS1_25transform_config_selectorIbLb1EEEZNS1_14transform_implILb1ES3_S5_PbS7_NS0_8identityIbEEEE10hipError_tT2_T3_mT4_P12ihipStream_tbEUlT_E_NS1_11comp_targetILNS1_3genE4ELNS1_11target_archE910ELNS1_3gpuE8ELNS1_3repE0EEENS1_30default_config_static_selectorELNS0_4arch9wavefront6targetE0EEEvT1_.has_recursion, 0
	.set _ZN7rocprim17ROCPRIM_400000_NS6detail17trampoline_kernelINS0_14default_configENS1_25transform_config_selectorIbLb1EEEZNS1_14transform_implILb1ES3_S5_PbS7_NS0_8identityIbEEEE10hipError_tT2_T3_mT4_P12ihipStream_tbEUlT_E_NS1_11comp_targetILNS1_3genE4ELNS1_11target_archE910ELNS1_3gpuE8ELNS1_3repE0EEENS1_30default_config_static_selectorELNS0_4arch9wavefront6targetE0EEEvT1_.has_indirect_call, 0
	.section	.AMDGPU.csdata,"",@progbits
; Kernel info:
; codeLenInByte = 0
; TotalNumSgprs: 0
; NumVgprs: 0
; ScratchSize: 0
; MemoryBound: 0
; FloatMode: 240
; IeeeMode: 1
; LDSByteSize: 0 bytes/workgroup (compile time only)
; SGPRBlocks: 0
; VGPRBlocks: 0
; NumSGPRsForWavesPerEU: 1
; NumVGPRsForWavesPerEU: 1
; NamedBarCnt: 0
; Occupancy: 16
; WaveLimiterHint : 0
; COMPUTE_PGM_RSRC2:SCRATCH_EN: 0
; COMPUTE_PGM_RSRC2:USER_SGPR: 2
; COMPUTE_PGM_RSRC2:TRAP_HANDLER: 0
; COMPUTE_PGM_RSRC2:TGID_X_EN: 1
; COMPUTE_PGM_RSRC2:TGID_Y_EN: 0
; COMPUTE_PGM_RSRC2:TGID_Z_EN: 0
; COMPUTE_PGM_RSRC2:TIDIG_COMP_CNT: 0
	.section	.text._ZN7rocprim17ROCPRIM_400000_NS6detail17trampoline_kernelINS0_14default_configENS1_25transform_config_selectorIbLb1EEEZNS1_14transform_implILb1ES3_S5_PbS7_NS0_8identityIbEEEE10hipError_tT2_T3_mT4_P12ihipStream_tbEUlT_E_NS1_11comp_targetILNS1_3genE3ELNS1_11target_archE908ELNS1_3gpuE7ELNS1_3repE0EEENS1_30default_config_static_selectorELNS0_4arch9wavefront6targetE0EEEvT1_,"axG",@progbits,_ZN7rocprim17ROCPRIM_400000_NS6detail17trampoline_kernelINS0_14default_configENS1_25transform_config_selectorIbLb1EEEZNS1_14transform_implILb1ES3_S5_PbS7_NS0_8identityIbEEEE10hipError_tT2_T3_mT4_P12ihipStream_tbEUlT_E_NS1_11comp_targetILNS1_3genE3ELNS1_11target_archE908ELNS1_3gpuE7ELNS1_3repE0EEENS1_30default_config_static_selectorELNS0_4arch9wavefront6targetE0EEEvT1_,comdat
	.protected	_ZN7rocprim17ROCPRIM_400000_NS6detail17trampoline_kernelINS0_14default_configENS1_25transform_config_selectorIbLb1EEEZNS1_14transform_implILb1ES3_S5_PbS7_NS0_8identityIbEEEE10hipError_tT2_T3_mT4_P12ihipStream_tbEUlT_E_NS1_11comp_targetILNS1_3genE3ELNS1_11target_archE908ELNS1_3gpuE7ELNS1_3repE0EEENS1_30default_config_static_selectorELNS0_4arch9wavefront6targetE0EEEvT1_ ; -- Begin function _ZN7rocprim17ROCPRIM_400000_NS6detail17trampoline_kernelINS0_14default_configENS1_25transform_config_selectorIbLb1EEEZNS1_14transform_implILb1ES3_S5_PbS7_NS0_8identityIbEEEE10hipError_tT2_T3_mT4_P12ihipStream_tbEUlT_E_NS1_11comp_targetILNS1_3genE3ELNS1_11target_archE908ELNS1_3gpuE7ELNS1_3repE0EEENS1_30default_config_static_selectorELNS0_4arch9wavefront6targetE0EEEvT1_
	.globl	_ZN7rocprim17ROCPRIM_400000_NS6detail17trampoline_kernelINS0_14default_configENS1_25transform_config_selectorIbLb1EEEZNS1_14transform_implILb1ES3_S5_PbS7_NS0_8identityIbEEEE10hipError_tT2_T3_mT4_P12ihipStream_tbEUlT_E_NS1_11comp_targetILNS1_3genE3ELNS1_11target_archE908ELNS1_3gpuE7ELNS1_3repE0EEENS1_30default_config_static_selectorELNS0_4arch9wavefront6targetE0EEEvT1_
	.p2align	8
	.type	_ZN7rocprim17ROCPRIM_400000_NS6detail17trampoline_kernelINS0_14default_configENS1_25transform_config_selectorIbLb1EEEZNS1_14transform_implILb1ES3_S5_PbS7_NS0_8identityIbEEEE10hipError_tT2_T3_mT4_P12ihipStream_tbEUlT_E_NS1_11comp_targetILNS1_3genE3ELNS1_11target_archE908ELNS1_3gpuE7ELNS1_3repE0EEENS1_30default_config_static_selectorELNS0_4arch9wavefront6targetE0EEEvT1_,@function
_ZN7rocprim17ROCPRIM_400000_NS6detail17trampoline_kernelINS0_14default_configENS1_25transform_config_selectorIbLb1EEEZNS1_14transform_implILb1ES3_S5_PbS7_NS0_8identityIbEEEE10hipError_tT2_T3_mT4_P12ihipStream_tbEUlT_E_NS1_11comp_targetILNS1_3genE3ELNS1_11target_archE908ELNS1_3gpuE7ELNS1_3repE0EEENS1_30default_config_static_selectorELNS0_4arch9wavefront6targetE0EEEvT1_: ; @_ZN7rocprim17ROCPRIM_400000_NS6detail17trampoline_kernelINS0_14default_configENS1_25transform_config_selectorIbLb1EEEZNS1_14transform_implILb1ES3_S5_PbS7_NS0_8identityIbEEEE10hipError_tT2_T3_mT4_P12ihipStream_tbEUlT_E_NS1_11comp_targetILNS1_3genE3ELNS1_11target_archE908ELNS1_3gpuE7ELNS1_3repE0EEENS1_30default_config_static_selectorELNS0_4arch9wavefront6targetE0EEEvT1_
; %bb.0:
	.section	.rodata,"a",@progbits
	.p2align	6, 0x0
	.amdhsa_kernel _ZN7rocprim17ROCPRIM_400000_NS6detail17trampoline_kernelINS0_14default_configENS1_25transform_config_selectorIbLb1EEEZNS1_14transform_implILb1ES3_S5_PbS7_NS0_8identityIbEEEE10hipError_tT2_T3_mT4_P12ihipStream_tbEUlT_E_NS1_11comp_targetILNS1_3genE3ELNS1_11target_archE908ELNS1_3gpuE7ELNS1_3repE0EEENS1_30default_config_static_selectorELNS0_4arch9wavefront6targetE0EEEvT1_
		.amdhsa_group_segment_fixed_size 0
		.amdhsa_private_segment_fixed_size 0
		.amdhsa_kernarg_size 40
		.amdhsa_user_sgpr_count 2
		.amdhsa_user_sgpr_dispatch_ptr 0
		.amdhsa_user_sgpr_queue_ptr 0
		.amdhsa_user_sgpr_kernarg_segment_ptr 1
		.amdhsa_user_sgpr_dispatch_id 0
		.amdhsa_user_sgpr_kernarg_preload_length 0
		.amdhsa_user_sgpr_kernarg_preload_offset 0
		.amdhsa_user_sgpr_private_segment_size 0
		.amdhsa_wavefront_size32 1
		.amdhsa_uses_dynamic_stack 0
		.amdhsa_enable_private_segment 0
		.amdhsa_system_sgpr_workgroup_id_x 1
		.amdhsa_system_sgpr_workgroup_id_y 0
		.amdhsa_system_sgpr_workgroup_id_z 0
		.amdhsa_system_sgpr_workgroup_info 0
		.amdhsa_system_vgpr_workitem_id 0
		.amdhsa_next_free_vgpr 1
		.amdhsa_next_free_sgpr 1
		.amdhsa_named_barrier_count 0
		.amdhsa_reserve_vcc 0
		.amdhsa_float_round_mode_32 0
		.amdhsa_float_round_mode_16_64 0
		.amdhsa_float_denorm_mode_32 3
		.amdhsa_float_denorm_mode_16_64 3
		.amdhsa_fp16_overflow 0
		.amdhsa_memory_ordered 1
		.amdhsa_forward_progress 1
		.amdhsa_inst_pref_size 0
		.amdhsa_round_robin_scheduling 0
		.amdhsa_exception_fp_ieee_invalid_op 0
		.amdhsa_exception_fp_denorm_src 0
		.amdhsa_exception_fp_ieee_div_zero 0
		.amdhsa_exception_fp_ieee_overflow 0
		.amdhsa_exception_fp_ieee_underflow 0
		.amdhsa_exception_fp_ieee_inexact 0
		.amdhsa_exception_int_div_zero 0
	.end_amdhsa_kernel
	.section	.text._ZN7rocprim17ROCPRIM_400000_NS6detail17trampoline_kernelINS0_14default_configENS1_25transform_config_selectorIbLb1EEEZNS1_14transform_implILb1ES3_S5_PbS7_NS0_8identityIbEEEE10hipError_tT2_T3_mT4_P12ihipStream_tbEUlT_E_NS1_11comp_targetILNS1_3genE3ELNS1_11target_archE908ELNS1_3gpuE7ELNS1_3repE0EEENS1_30default_config_static_selectorELNS0_4arch9wavefront6targetE0EEEvT1_,"axG",@progbits,_ZN7rocprim17ROCPRIM_400000_NS6detail17trampoline_kernelINS0_14default_configENS1_25transform_config_selectorIbLb1EEEZNS1_14transform_implILb1ES3_S5_PbS7_NS0_8identityIbEEEE10hipError_tT2_T3_mT4_P12ihipStream_tbEUlT_E_NS1_11comp_targetILNS1_3genE3ELNS1_11target_archE908ELNS1_3gpuE7ELNS1_3repE0EEENS1_30default_config_static_selectorELNS0_4arch9wavefront6targetE0EEEvT1_,comdat
.Lfunc_end1687:
	.size	_ZN7rocprim17ROCPRIM_400000_NS6detail17trampoline_kernelINS0_14default_configENS1_25transform_config_selectorIbLb1EEEZNS1_14transform_implILb1ES3_S5_PbS7_NS0_8identityIbEEEE10hipError_tT2_T3_mT4_P12ihipStream_tbEUlT_E_NS1_11comp_targetILNS1_3genE3ELNS1_11target_archE908ELNS1_3gpuE7ELNS1_3repE0EEENS1_30default_config_static_selectorELNS0_4arch9wavefront6targetE0EEEvT1_, .Lfunc_end1687-_ZN7rocprim17ROCPRIM_400000_NS6detail17trampoline_kernelINS0_14default_configENS1_25transform_config_selectorIbLb1EEEZNS1_14transform_implILb1ES3_S5_PbS7_NS0_8identityIbEEEE10hipError_tT2_T3_mT4_P12ihipStream_tbEUlT_E_NS1_11comp_targetILNS1_3genE3ELNS1_11target_archE908ELNS1_3gpuE7ELNS1_3repE0EEENS1_30default_config_static_selectorELNS0_4arch9wavefront6targetE0EEEvT1_
                                        ; -- End function
	.set _ZN7rocprim17ROCPRIM_400000_NS6detail17trampoline_kernelINS0_14default_configENS1_25transform_config_selectorIbLb1EEEZNS1_14transform_implILb1ES3_S5_PbS7_NS0_8identityIbEEEE10hipError_tT2_T3_mT4_P12ihipStream_tbEUlT_E_NS1_11comp_targetILNS1_3genE3ELNS1_11target_archE908ELNS1_3gpuE7ELNS1_3repE0EEENS1_30default_config_static_selectorELNS0_4arch9wavefront6targetE0EEEvT1_.num_vgpr, 0
	.set _ZN7rocprim17ROCPRIM_400000_NS6detail17trampoline_kernelINS0_14default_configENS1_25transform_config_selectorIbLb1EEEZNS1_14transform_implILb1ES3_S5_PbS7_NS0_8identityIbEEEE10hipError_tT2_T3_mT4_P12ihipStream_tbEUlT_E_NS1_11comp_targetILNS1_3genE3ELNS1_11target_archE908ELNS1_3gpuE7ELNS1_3repE0EEENS1_30default_config_static_selectorELNS0_4arch9wavefront6targetE0EEEvT1_.num_agpr, 0
	.set _ZN7rocprim17ROCPRIM_400000_NS6detail17trampoline_kernelINS0_14default_configENS1_25transform_config_selectorIbLb1EEEZNS1_14transform_implILb1ES3_S5_PbS7_NS0_8identityIbEEEE10hipError_tT2_T3_mT4_P12ihipStream_tbEUlT_E_NS1_11comp_targetILNS1_3genE3ELNS1_11target_archE908ELNS1_3gpuE7ELNS1_3repE0EEENS1_30default_config_static_selectorELNS0_4arch9wavefront6targetE0EEEvT1_.numbered_sgpr, 0
	.set _ZN7rocprim17ROCPRIM_400000_NS6detail17trampoline_kernelINS0_14default_configENS1_25transform_config_selectorIbLb1EEEZNS1_14transform_implILb1ES3_S5_PbS7_NS0_8identityIbEEEE10hipError_tT2_T3_mT4_P12ihipStream_tbEUlT_E_NS1_11comp_targetILNS1_3genE3ELNS1_11target_archE908ELNS1_3gpuE7ELNS1_3repE0EEENS1_30default_config_static_selectorELNS0_4arch9wavefront6targetE0EEEvT1_.num_named_barrier, 0
	.set _ZN7rocprim17ROCPRIM_400000_NS6detail17trampoline_kernelINS0_14default_configENS1_25transform_config_selectorIbLb1EEEZNS1_14transform_implILb1ES3_S5_PbS7_NS0_8identityIbEEEE10hipError_tT2_T3_mT4_P12ihipStream_tbEUlT_E_NS1_11comp_targetILNS1_3genE3ELNS1_11target_archE908ELNS1_3gpuE7ELNS1_3repE0EEENS1_30default_config_static_selectorELNS0_4arch9wavefront6targetE0EEEvT1_.private_seg_size, 0
	.set _ZN7rocprim17ROCPRIM_400000_NS6detail17trampoline_kernelINS0_14default_configENS1_25transform_config_selectorIbLb1EEEZNS1_14transform_implILb1ES3_S5_PbS7_NS0_8identityIbEEEE10hipError_tT2_T3_mT4_P12ihipStream_tbEUlT_E_NS1_11comp_targetILNS1_3genE3ELNS1_11target_archE908ELNS1_3gpuE7ELNS1_3repE0EEENS1_30default_config_static_selectorELNS0_4arch9wavefront6targetE0EEEvT1_.uses_vcc, 0
	.set _ZN7rocprim17ROCPRIM_400000_NS6detail17trampoline_kernelINS0_14default_configENS1_25transform_config_selectorIbLb1EEEZNS1_14transform_implILb1ES3_S5_PbS7_NS0_8identityIbEEEE10hipError_tT2_T3_mT4_P12ihipStream_tbEUlT_E_NS1_11comp_targetILNS1_3genE3ELNS1_11target_archE908ELNS1_3gpuE7ELNS1_3repE0EEENS1_30default_config_static_selectorELNS0_4arch9wavefront6targetE0EEEvT1_.uses_flat_scratch, 0
	.set _ZN7rocprim17ROCPRIM_400000_NS6detail17trampoline_kernelINS0_14default_configENS1_25transform_config_selectorIbLb1EEEZNS1_14transform_implILb1ES3_S5_PbS7_NS0_8identityIbEEEE10hipError_tT2_T3_mT4_P12ihipStream_tbEUlT_E_NS1_11comp_targetILNS1_3genE3ELNS1_11target_archE908ELNS1_3gpuE7ELNS1_3repE0EEENS1_30default_config_static_selectorELNS0_4arch9wavefront6targetE0EEEvT1_.has_dyn_sized_stack, 0
	.set _ZN7rocprim17ROCPRIM_400000_NS6detail17trampoline_kernelINS0_14default_configENS1_25transform_config_selectorIbLb1EEEZNS1_14transform_implILb1ES3_S5_PbS7_NS0_8identityIbEEEE10hipError_tT2_T3_mT4_P12ihipStream_tbEUlT_E_NS1_11comp_targetILNS1_3genE3ELNS1_11target_archE908ELNS1_3gpuE7ELNS1_3repE0EEENS1_30default_config_static_selectorELNS0_4arch9wavefront6targetE0EEEvT1_.has_recursion, 0
	.set _ZN7rocprim17ROCPRIM_400000_NS6detail17trampoline_kernelINS0_14default_configENS1_25transform_config_selectorIbLb1EEEZNS1_14transform_implILb1ES3_S5_PbS7_NS0_8identityIbEEEE10hipError_tT2_T3_mT4_P12ihipStream_tbEUlT_E_NS1_11comp_targetILNS1_3genE3ELNS1_11target_archE908ELNS1_3gpuE7ELNS1_3repE0EEENS1_30default_config_static_selectorELNS0_4arch9wavefront6targetE0EEEvT1_.has_indirect_call, 0
	.section	.AMDGPU.csdata,"",@progbits
; Kernel info:
; codeLenInByte = 0
; TotalNumSgprs: 0
; NumVgprs: 0
; ScratchSize: 0
; MemoryBound: 0
; FloatMode: 240
; IeeeMode: 1
; LDSByteSize: 0 bytes/workgroup (compile time only)
; SGPRBlocks: 0
; VGPRBlocks: 0
; NumSGPRsForWavesPerEU: 1
; NumVGPRsForWavesPerEU: 1
; NamedBarCnt: 0
; Occupancy: 16
; WaveLimiterHint : 0
; COMPUTE_PGM_RSRC2:SCRATCH_EN: 0
; COMPUTE_PGM_RSRC2:USER_SGPR: 2
; COMPUTE_PGM_RSRC2:TRAP_HANDLER: 0
; COMPUTE_PGM_RSRC2:TGID_X_EN: 1
; COMPUTE_PGM_RSRC2:TGID_Y_EN: 0
; COMPUTE_PGM_RSRC2:TGID_Z_EN: 0
; COMPUTE_PGM_RSRC2:TIDIG_COMP_CNT: 0
	.section	.text._ZN7rocprim17ROCPRIM_400000_NS6detail17trampoline_kernelINS0_14default_configENS1_25transform_config_selectorIbLb1EEEZNS1_14transform_implILb1ES3_S5_PbS7_NS0_8identityIbEEEE10hipError_tT2_T3_mT4_P12ihipStream_tbEUlT_E_NS1_11comp_targetILNS1_3genE2ELNS1_11target_archE906ELNS1_3gpuE6ELNS1_3repE0EEENS1_30default_config_static_selectorELNS0_4arch9wavefront6targetE0EEEvT1_,"axG",@progbits,_ZN7rocprim17ROCPRIM_400000_NS6detail17trampoline_kernelINS0_14default_configENS1_25transform_config_selectorIbLb1EEEZNS1_14transform_implILb1ES3_S5_PbS7_NS0_8identityIbEEEE10hipError_tT2_T3_mT4_P12ihipStream_tbEUlT_E_NS1_11comp_targetILNS1_3genE2ELNS1_11target_archE906ELNS1_3gpuE6ELNS1_3repE0EEENS1_30default_config_static_selectorELNS0_4arch9wavefront6targetE0EEEvT1_,comdat
	.protected	_ZN7rocprim17ROCPRIM_400000_NS6detail17trampoline_kernelINS0_14default_configENS1_25transform_config_selectorIbLb1EEEZNS1_14transform_implILb1ES3_S5_PbS7_NS0_8identityIbEEEE10hipError_tT2_T3_mT4_P12ihipStream_tbEUlT_E_NS1_11comp_targetILNS1_3genE2ELNS1_11target_archE906ELNS1_3gpuE6ELNS1_3repE0EEENS1_30default_config_static_selectorELNS0_4arch9wavefront6targetE0EEEvT1_ ; -- Begin function _ZN7rocprim17ROCPRIM_400000_NS6detail17trampoline_kernelINS0_14default_configENS1_25transform_config_selectorIbLb1EEEZNS1_14transform_implILb1ES3_S5_PbS7_NS0_8identityIbEEEE10hipError_tT2_T3_mT4_P12ihipStream_tbEUlT_E_NS1_11comp_targetILNS1_3genE2ELNS1_11target_archE906ELNS1_3gpuE6ELNS1_3repE0EEENS1_30default_config_static_selectorELNS0_4arch9wavefront6targetE0EEEvT1_
	.globl	_ZN7rocprim17ROCPRIM_400000_NS6detail17trampoline_kernelINS0_14default_configENS1_25transform_config_selectorIbLb1EEEZNS1_14transform_implILb1ES3_S5_PbS7_NS0_8identityIbEEEE10hipError_tT2_T3_mT4_P12ihipStream_tbEUlT_E_NS1_11comp_targetILNS1_3genE2ELNS1_11target_archE906ELNS1_3gpuE6ELNS1_3repE0EEENS1_30default_config_static_selectorELNS0_4arch9wavefront6targetE0EEEvT1_
	.p2align	8
	.type	_ZN7rocprim17ROCPRIM_400000_NS6detail17trampoline_kernelINS0_14default_configENS1_25transform_config_selectorIbLb1EEEZNS1_14transform_implILb1ES3_S5_PbS7_NS0_8identityIbEEEE10hipError_tT2_T3_mT4_P12ihipStream_tbEUlT_E_NS1_11comp_targetILNS1_3genE2ELNS1_11target_archE906ELNS1_3gpuE6ELNS1_3repE0EEENS1_30default_config_static_selectorELNS0_4arch9wavefront6targetE0EEEvT1_,@function
_ZN7rocprim17ROCPRIM_400000_NS6detail17trampoline_kernelINS0_14default_configENS1_25transform_config_selectorIbLb1EEEZNS1_14transform_implILb1ES3_S5_PbS7_NS0_8identityIbEEEE10hipError_tT2_T3_mT4_P12ihipStream_tbEUlT_E_NS1_11comp_targetILNS1_3genE2ELNS1_11target_archE906ELNS1_3gpuE6ELNS1_3repE0EEENS1_30default_config_static_selectorELNS0_4arch9wavefront6targetE0EEEvT1_: ; @_ZN7rocprim17ROCPRIM_400000_NS6detail17trampoline_kernelINS0_14default_configENS1_25transform_config_selectorIbLb1EEEZNS1_14transform_implILb1ES3_S5_PbS7_NS0_8identityIbEEEE10hipError_tT2_T3_mT4_P12ihipStream_tbEUlT_E_NS1_11comp_targetILNS1_3genE2ELNS1_11target_archE906ELNS1_3gpuE6ELNS1_3repE0EEENS1_30default_config_static_selectorELNS0_4arch9wavefront6targetE0EEEvT1_
; %bb.0:
	.section	.rodata,"a",@progbits
	.p2align	6, 0x0
	.amdhsa_kernel _ZN7rocprim17ROCPRIM_400000_NS6detail17trampoline_kernelINS0_14default_configENS1_25transform_config_selectorIbLb1EEEZNS1_14transform_implILb1ES3_S5_PbS7_NS0_8identityIbEEEE10hipError_tT2_T3_mT4_P12ihipStream_tbEUlT_E_NS1_11comp_targetILNS1_3genE2ELNS1_11target_archE906ELNS1_3gpuE6ELNS1_3repE0EEENS1_30default_config_static_selectorELNS0_4arch9wavefront6targetE0EEEvT1_
		.amdhsa_group_segment_fixed_size 0
		.amdhsa_private_segment_fixed_size 0
		.amdhsa_kernarg_size 40
		.amdhsa_user_sgpr_count 2
		.amdhsa_user_sgpr_dispatch_ptr 0
		.amdhsa_user_sgpr_queue_ptr 0
		.amdhsa_user_sgpr_kernarg_segment_ptr 1
		.amdhsa_user_sgpr_dispatch_id 0
		.amdhsa_user_sgpr_kernarg_preload_length 0
		.amdhsa_user_sgpr_kernarg_preload_offset 0
		.amdhsa_user_sgpr_private_segment_size 0
		.amdhsa_wavefront_size32 1
		.amdhsa_uses_dynamic_stack 0
		.amdhsa_enable_private_segment 0
		.amdhsa_system_sgpr_workgroup_id_x 1
		.amdhsa_system_sgpr_workgroup_id_y 0
		.amdhsa_system_sgpr_workgroup_id_z 0
		.amdhsa_system_sgpr_workgroup_info 0
		.amdhsa_system_vgpr_workitem_id 0
		.amdhsa_next_free_vgpr 1
		.amdhsa_next_free_sgpr 1
		.amdhsa_named_barrier_count 0
		.amdhsa_reserve_vcc 0
		.amdhsa_float_round_mode_32 0
		.amdhsa_float_round_mode_16_64 0
		.amdhsa_float_denorm_mode_32 3
		.amdhsa_float_denorm_mode_16_64 3
		.amdhsa_fp16_overflow 0
		.amdhsa_memory_ordered 1
		.amdhsa_forward_progress 1
		.amdhsa_inst_pref_size 0
		.amdhsa_round_robin_scheduling 0
		.amdhsa_exception_fp_ieee_invalid_op 0
		.amdhsa_exception_fp_denorm_src 0
		.amdhsa_exception_fp_ieee_div_zero 0
		.amdhsa_exception_fp_ieee_overflow 0
		.amdhsa_exception_fp_ieee_underflow 0
		.amdhsa_exception_fp_ieee_inexact 0
		.amdhsa_exception_int_div_zero 0
	.end_amdhsa_kernel
	.section	.text._ZN7rocprim17ROCPRIM_400000_NS6detail17trampoline_kernelINS0_14default_configENS1_25transform_config_selectorIbLb1EEEZNS1_14transform_implILb1ES3_S5_PbS7_NS0_8identityIbEEEE10hipError_tT2_T3_mT4_P12ihipStream_tbEUlT_E_NS1_11comp_targetILNS1_3genE2ELNS1_11target_archE906ELNS1_3gpuE6ELNS1_3repE0EEENS1_30default_config_static_selectorELNS0_4arch9wavefront6targetE0EEEvT1_,"axG",@progbits,_ZN7rocprim17ROCPRIM_400000_NS6detail17trampoline_kernelINS0_14default_configENS1_25transform_config_selectorIbLb1EEEZNS1_14transform_implILb1ES3_S5_PbS7_NS0_8identityIbEEEE10hipError_tT2_T3_mT4_P12ihipStream_tbEUlT_E_NS1_11comp_targetILNS1_3genE2ELNS1_11target_archE906ELNS1_3gpuE6ELNS1_3repE0EEENS1_30default_config_static_selectorELNS0_4arch9wavefront6targetE0EEEvT1_,comdat
.Lfunc_end1688:
	.size	_ZN7rocprim17ROCPRIM_400000_NS6detail17trampoline_kernelINS0_14default_configENS1_25transform_config_selectorIbLb1EEEZNS1_14transform_implILb1ES3_S5_PbS7_NS0_8identityIbEEEE10hipError_tT2_T3_mT4_P12ihipStream_tbEUlT_E_NS1_11comp_targetILNS1_3genE2ELNS1_11target_archE906ELNS1_3gpuE6ELNS1_3repE0EEENS1_30default_config_static_selectorELNS0_4arch9wavefront6targetE0EEEvT1_, .Lfunc_end1688-_ZN7rocprim17ROCPRIM_400000_NS6detail17trampoline_kernelINS0_14default_configENS1_25transform_config_selectorIbLb1EEEZNS1_14transform_implILb1ES3_S5_PbS7_NS0_8identityIbEEEE10hipError_tT2_T3_mT4_P12ihipStream_tbEUlT_E_NS1_11comp_targetILNS1_3genE2ELNS1_11target_archE906ELNS1_3gpuE6ELNS1_3repE0EEENS1_30default_config_static_selectorELNS0_4arch9wavefront6targetE0EEEvT1_
                                        ; -- End function
	.set _ZN7rocprim17ROCPRIM_400000_NS6detail17trampoline_kernelINS0_14default_configENS1_25transform_config_selectorIbLb1EEEZNS1_14transform_implILb1ES3_S5_PbS7_NS0_8identityIbEEEE10hipError_tT2_T3_mT4_P12ihipStream_tbEUlT_E_NS1_11comp_targetILNS1_3genE2ELNS1_11target_archE906ELNS1_3gpuE6ELNS1_3repE0EEENS1_30default_config_static_selectorELNS0_4arch9wavefront6targetE0EEEvT1_.num_vgpr, 0
	.set _ZN7rocprim17ROCPRIM_400000_NS6detail17trampoline_kernelINS0_14default_configENS1_25transform_config_selectorIbLb1EEEZNS1_14transform_implILb1ES3_S5_PbS7_NS0_8identityIbEEEE10hipError_tT2_T3_mT4_P12ihipStream_tbEUlT_E_NS1_11comp_targetILNS1_3genE2ELNS1_11target_archE906ELNS1_3gpuE6ELNS1_3repE0EEENS1_30default_config_static_selectorELNS0_4arch9wavefront6targetE0EEEvT1_.num_agpr, 0
	.set _ZN7rocprim17ROCPRIM_400000_NS6detail17trampoline_kernelINS0_14default_configENS1_25transform_config_selectorIbLb1EEEZNS1_14transform_implILb1ES3_S5_PbS7_NS0_8identityIbEEEE10hipError_tT2_T3_mT4_P12ihipStream_tbEUlT_E_NS1_11comp_targetILNS1_3genE2ELNS1_11target_archE906ELNS1_3gpuE6ELNS1_3repE0EEENS1_30default_config_static_selectorELNS0_4arch9wavefront6targetE0EEEvT1_.numbered_sgpr, 0
	.set _ZN7rocprim17ROCPRIM_400000_NS6detail17trampoline_kernelINS0_14default_configENS1_25transform_config_selectorIbLb1EEEZNS1_14transform_implILb1ES3_S5_PbS7_NS0_8identityIbEEEE10hipError_tT2_T3_mT4_P12ihipStream_tbEUlT_E_NS1_11comp_targetILNS1_3genE2ELNS1_11target_archE906ELNS1_3gpuE6ELNS1_3repE0EEENS1_30default_config_static_selectorELNS0_4arch9wavefront6targetE0EEEvT1_.num_named_barrier, 0
	.set _ZN7rocprim17ROCPRIM_400000_NS6detail17trampoline_kernelINS0_14default_configENS1_25transform_config_selectorIbLb1EEEZNS1_14transform_implILb1ES3_S5_PbS7_NS0_8identityIbEEEE10hipError_tT2_T3_mT4_P12ihipStream_tbEUlT_E_NS1_11comp_targetILNS1_3genE2ELNS1_11target_archE906ELNS1_3gpuE6ELNS1_3repE0EEENS1_30default_config_static_selectorELNS0_4arch9wavefront6targetE0EEEvT1_.private_seg_size, 0
	.set _ZN7rocprim17ROCPRIM_400000_NS6detail17trampoline_kernelINS0_14default_configENS1_25transform_config_selectorIbLb1EEEZNS1_14transform_implILb1ES3_S5_PbS7_NS0_8identityIbEEEE10hipError_tT2_T3_mT4_P12ihipStream_tbEUlT_E_NS1_11comp_targetILNS1_3genE2ELNS1_11target_archE906ELNS1_3gpuE6ELNS1_3repE0EEENS1_30default_config_static_selectorELNS0_4arch9wavefront6targetE0EEEvT1_.uses_vcc, 0
	.set _ZN7rocprim17ROCPRIM_400000_NS6detail17trampoline_kernelINS0_14default_configENS1_25transform_config_selectorIbLb1EEEZNS1_14transform_implILb1ES3_S5_PbS7_NS0_8identityIbEEEE10hipError_tT2_T3_mT4_P12ihipStream_tbEUlT_E_NS1_11comp_targetILNS1_3genE2ELNS1_11target_archE906ELNS1_3gpuE6ELNS1_3repE0EEENS1_30default_config_static_selectorELNS0_4arch9wavefront6targetE0EEEvT1_.uses_flat_scratch, 0
	.set _ZN7rocprim17ROCPRIM_400000_NS6detail17trampoline_kernelINS0_14default_configENS1_25transform_config_selectorIbLb1EEEZNS1_14transform_implILb1ES3_S5_PbS7_NS0_8identityIbEEEE10hipError_tT2_T3_mT4_P12ihipStream_tbEUlT_E_NS1_11comp_targetILNS1_3genE2ELNS1_11target_archE906ELNS1_3gpuE6ELNS1_3repE0EEENS1_30default_config_static_selectorELNS0_4arch9wavefront6targetE0EEEvT1_.has_dyn_sized_stack, 0
	.set _ZN7rocprim17ROCPRIM_400000_NS6detail17trampoline_kernelINS0_14default_configENS1_25transform_config_selectorIbLb1EEEZNS1_14transform_implILb1ES3_S5_PbS7_NS0_8identityIbEEEE10hipError_tT2_T3_mT4_P12ihipStream_tbEUlT_E_NS1_11comp_targetILNS1_3genE2ELNS1_11target_archE906ELNS1_3gpuE6ELNS1_3repE0EEENS1_30default_config_static_selectorELNS0_4arch9wavefront6targetE0EEEvT1_.has_recursion, 0
	.set _ZN7rocprim17ROCPRIM_400000_NS6detail17trampoline_kernelINS0_14default_configENS1_25transform_config_selectorIbLb1EEEZNS1_14transform_implILb1ES3_S5_PbS7_NS0_8identityIbEEEE10hipError_tT2_T3_mT4_P12ihipStream_tbEUlT_E_NS1_11comp_targetILNS1_3genE2ELNS1_11target_archE906ELNS1_3gpuE6ELNS1_3repE0EEENS1_30default_config_static_selectorELNS0_4arch9wavefront6targetE0EEEvT1_.has_indirect_call, 0
	.section	.AMDGPU.csdata,"",@progbits
; Kernel info:
; codeLenInByte = 0
; TotalNumSgprs: 0
; NumVgprs: 0
; ScratchSize: 0
; MemoryBound: 0
; FloatMode: 240
; IeeeMode: 1
; LDSByteSize: 0 bytes/workgroup (compile time only)
; SGPRBlocks: 0
; VGPRBlocks: 0
; NumSGPRsForWavesPerEU: 1
; NumVGPRsForWavesPerEU: 1
; NamedBarCnt: 0
; Occupancy: 16
; WaveLimiterHint : 0
; COMPUTE_PGM_RSRC2:SCRATCH_EN: 0
; COMPUTE_PGM_RSRC2:USER_SGPR: 2
; COMPUTE_PGM_RSRC2:TRAP_HANDLER: 0
; COMPUTE_PGM_RSRC2:TGID_X_EN: 1
; COMPUTE_PGM_RSRC2:TGID_Y_EN: 0
; COMPUTE_PGM_RSRC2:TGID_Z_EN: 0
; COMPUTE_PGM_RSRC2:TIDIG_COMP_CNT: 0
	.section	.text._ZN7rocprim17ROCPRIM_400000_NS6detail17trampoline_kernelINS0_14default_configENS1_25transform_config_selectorIbLb1EEEZNS1_14transform_implILb1ES3_S5_PbS7_NS0_8identityIbEEEE10hipError_tT2_T3_mT4_P12ihipStream_tbEUlT_E_NS1_11comp_targetILNS1_3genE9ELNS1_11target_archE1100ELNS1_3gpuE3ELNS1_3repE0EEENS1_30default_config_static_selectorELNS0_4arch9wavefront6targetE0EEEvT1_,"axG",@progbits,_ZN7rocprim17ROCPRIM_400000_NS6detail17trampoline_kernelINS0_14default_configENS1_25transform_config_selectorIbLb1EEEZNS1_14transform_implILb1ES3_S5_PbS7_NS0_8identityIbEEEE10hipError_tT2_T3_mT4_P12ihipStream_tbEUlT_E_NS1_11comp_targetILNS1_3genE9ELNS1_11target_archE1100ELNS1_3gpuE3ELNS1_3repE0EEENS1_30default_config_static_selectorELNS0_4arch9wavefront6targetE0EEEvT1_,comdat
	.protected	_ZN7rocprim17ROCPRIM_400000_NS6detail17trampoline_kernelINS0_14default_configENS1_25transform_config_selectorIbLb1EEEZNS1_14transform_implILb1ES3_S5_PbS7_NS0_8identityIbEEEE10hipError_tT2_T3_mT4_P12ihipStream_tbEUlT_E_NS1_11comp_targetILNS1_3genE9ELNS1_11target_archE1100ELNS1_3gpuE3ELNS1_3repE0EEENS1_30default_config_static_selectorELNS0_4arch9wavefront6targetE0EEEvT1_ ; -- Begin function _ZN7rocprim17ROCPRIM_400000_NS6detail17trampoline_kernelINS0_14default_configENS1_25transform_config_selectorIbLb1EEEZNS1_14transform_implILb1ES3_S5_PbS7_NS0_8identityIbEEEE10hipError_tT2_T3_mT4_P12ihipStream_tbEUlT_E_NS1_11comp_targetILNS1_3genE9ELNS1_11target_archE1100ELNS1_3gpuE3ELNS1_3repE0EEENS1_30default_config_static_selectorELNS0_4arch9wavefront6targetE0EEEvT1_
	.globl	_ZN7rocprim17ROCPRIM_400000_NS6detail17trampoline_kernelINS0_14default_configENS1_25transform_config_selectorIbLb1EEEZNS1_14transform_implILb1ES3_S5_PbS7_NS0_8identityIbEEEE10hipError_tT2_T3_mT4_P12ihipStream_tbEUlT_E_NS1_11comp_targetILNS1_3genE9ELNS1_11target_archE1100ELNS1_3gpuE3ELNS1_3repE0EEENS1_30default_config_static_selectorELNS0_4arch9wavefront6targetE0EEEvT1_
	.p2align	8
	.type	_ZN7rocprim17ROCPRIM_400000_NS6detail17trampoline_kernelINS0_14default_configENS1_25transform_config_selectorIbLb1EEEZNS1_14transform_implILb1ES3_S5_PbS7_NS0_8identityIbEEEE10hipError_tT2_T3_mT4_P12ihipStream_tbEUlT_E_NS1_11comp_targetILNS1_3genE9ELNS1_11target_archE1100ELNS1_3gpuE3ELNS1_3repE0EEENS1_30default_config_static_selectorELNS0_4arch9wavefront6targetE0EEEvT1_,@function
_ZN7rocprim17ROCPRIM_400000_NS6detail17trampoline_kernelINS0_14default_configENS1_25transform_config_selectorIbLb1EEEZNS1_14transform_implILb1ES3_S5_PbS7_NS0_8identityIbEEEE10hipError_tT2_T3_mT4_P12ihipStream_tbEUlT_E_NS1_11comp_targetILNS1_3genE9ELNS1_11target_archE1100ELNS1_3gpuE3ELNS1_3repE0EEENS1_30default_config_static_selectorELNS0_4arch9wavefront6targetE0EEEvT1_: ; @_ZN7rocprim17ROCPRIM_400000_NS6detail17trampoline_kernelINS0_14default_configENS1_25transform_config_selectorIbLb1EEEZNS1_14transform_implILb1ES3_S5_PbS7_NS0_8identityIbEEEE10hipError_tT2_T3_mT4_P12ihipStream_tbEUlT_E_NS1_11comp_targetILNS1_3genE9ELNS1_11target_archE1100ELNS1_3gpuE3ELNS1_3repE0EEENS1_30default_config_static_selectorELNS0_4arch9wavefront6targetE0EEEvT1_
; %bb.0:
	.section	.rodata,"a",@progbits
	.p2align	6, 0x0
	.amdhsa_kernel _ZN7rocprim17ROCPRIM_400000_NS6detail17trampoline_kernelINS0_14default_configENS1_25transform_config_selectorIbLb1EEEZNS1_14transform_implILb1ES3_S5_PbS7_NS0_8identityIbEEEE10hipError_tT2_T3_mT4_P12ihipStream_tbEUlT_E_NS1_11comp_targetILNS1_3genE9ELNS1_11target_archE1100ELNS1_3gpuE3ELNS1_3repE0EEENS1_30default_config_static_selectorELNS0_4arch9wavefront6targetE0EEEvT1_
		.amdhsa_group_segment_fixed_size 0
		.amdhsa_private_segment_fixed_size 0
		.amdhsa_kernarg_size 40
		.amdhsa_user_sgpr_count 2
		.amdhsa_user_sgpr_dispatch_ptr 0
		.amdhsa_user_sgpr_queue_ptr 0
		.amdhsa_user_sgpr_kernarg_segment_ptr 1
		.amdhsa_user_sgpr_dispatch_id 0
		.amdhsa_user_sgpr_kernarg_preload_length 0
		.amdhsa_user_sgpr_kernarg_preload_offset 0
		.amdhsa_user_sgpr_private_segment_size 0
		.amdhsa_wavefront_size32 1
		.amdhsa_uses_dynamic_stack 0
		.amdhsa_enable_private_segment 0
		.amdhsa_system_sgpr_workgroup_id_x 1
		.amdhsa_system_sgpr_workgroup_id_y 0
		.amdhsa_system_sgpr_workgroup_id_z 0
		.amdhsa_system_sgpr_workgroup_info 0
		.amdhsa_system_vgpr_workitem_id 0
		.amdhsa_next_free_vgpr 1
		.amdhsa_next_free_sgpr 1
		.amdhsa_named_barrier_count 0
		.amdhsa_reserve_vcc 0
		.amdhsa_float_round_mode_32 0
		.amdhsa_float_round_mode_16_64 0
		.amdhsa_float_denorm_mode_32 3
		.amdhsa_float_denorm_mode_16_64 3
		.amdhsa_fp16_overflow 0
		.amdhsa_memory_ordered 1
		.amdhsa_forward_progress 1
		.amdhsa_inst_pref_size 0
		.amdhsa_round_robin_scheduling 0
		.amdhsa_exception_fp_ieee_invalid_op 0
		.amdhsa_exception_fp_denorm_src 0
		.amdhsa_exception_fp_ieee_div_zero 0
		.amdhsa_exception_fp_ieee_overflow 0
		.amdhsa_exception_fp_ieee_underflow 0
		.amdhsa_exception_fp_ieee_inexact 0
		.amdhsa_exception_int_div_zero 0
	.end_amdhsa_kernel
	.section	.text._ZN7rocprim17ROCPRIM_400000_NS6detail17trampoline_kernelINS0_14default_configENS1_25transform_config_selectorIbLb1EEEZNS1_14transform_implILb1ES3_S5_PbS7_NS0_8identityIbEEEE10hipError_tT2_T3_mT4_P12ihipStream_tbEUlT_E_NS1_11comp_targetILNS1_3genE9ELNS1_11target_archE1100ELNS1_3gpuE3ELNS1_3repE0EEENS1_30default_config_static_selectorELNS0_4arch9wavefront6targetE0EEEvT1_,"axG",@progbits,_ZN7rocprim17ROCPRIM_400000_NS6detail17trampoline_kernelINS0_14default_configENS1_25transform_config_selectorIbLb1EEEZNS1_14transform_implILb1ES3_S5_PbS7_NS0_8identityIbEEEE10hipError_tT2_T3_mT4_P12ihipStream_tbEUlT_E_NS1_11comp_targetILNS1_3genE9ELNS1_11target_archE1100ELNS1_3gpuE3ELNS1_3repE0EEENS1_30default_config_static_selectorELNS0_4arch9wavefront6targetE0EEEvT1_,comdat
.Lfunc_end1689:
	.size	_ZN7rocprim17ROCPRIM_400000_NS6detail17trampoline_kernelINS0_14default_configENS1_25transform_config_selectorIbLb1EEEZNS1_14transform_implILb1ES3_S5_PbS7_NS0_8identityIbEEEE10hipError_tT2_T3_mT4_P12ihipStream_tbEUlT_E_NS1_11comp_targetILNS1_3genE9ELNS1_11target_archE1100ELNS1_3gpuE3ELNS1_3repE0EEENS1_30default_config_static_selectorELNS0_4arch9wavefront6targetE0EEEvT1_, .Lfunc_end1689-_ZN7rocprim17ROCPRIM_400000_NS6detail17trampoline_kernelINS0_14default_configENS1_25transform_config_selectorIbLb1EEEZNS1_14transform_implILb1ES3_S5_PbS7_NS0_8identityIbEEEE10hipError_tT2_T3_mT4_P12ihipStream_tbEUlT_E_NS1_11comp_targetILNS1_3genE9ELNS1_11target_archE1100ELNS1_3gpuE3ELNS1_3repE0EEENS1_30default_config_static_selectorELNS0_4arch9wavefront6targetE0EEEvT1_
                                        ; -- End function
	.set _ZN7rocprim17ROCPRIM_400000_NS6detail17trampoline_kernelINS0_14default_configENS1_25transform_config_selectorIbLb1EEEZNS1_14transform_implILb1ES3_S5_PbS7_NS0_8identityIbEEEE10hipError_tT2_T3_mT4_P12ihipStream_tbEUlT_E_NS1_11comp_targetILNS1_3genE9ELNS1_11target_archE1100ELNS1_3gpuE3ELNS1_3repE0EEENS1_30default_config_static_selectorELNS0_4arch9wavefront6targetE0EEEvT1_.num_vgpr, 0
	.set _ZN7rocprim17ROCPRIM_400000_NS6detail17trampoline_kernelINS0_14default_configENS1_25transform_config_selectorIbLb1EEEZNS1_14transform_implILb1ES3_S5_PbS7_NS0_8identityIbEEEE10hipError_tT2_T3_mT4_P12ihipStream_tbEUlT_E_NS1_11comp_targetILNS1_3genE9ELNS1_11target_archE1100ELNS1_3gpuE3ELNS1_3repE0EEENS1_30default_config_static_selectorELNS0_4arch9wavefront6targetE0EEEvT1_.num_agpr, 0
	.set _ZN7rocprim17ROCPRIM_400000_NS6detail17trampoline_kernelINS0_14default_configENS1_25transform_config_selectorIbLb1EEEZNS1_14transform_implILb1ES3_S5_PbS7_NS0_8identityIbEEEE10hipError_tT2_T3_mT4_P12ihipStream_tbEUlT_E_NS1_11comp_targetILNS1_3genE9ELNS1_11target_archE1100ELNS1_3gpuE3ELNS1_3repE0EEENS1_30default_config_static_selectorELNS0_4arch9wavefront6targetE0EEEvT1_.numbered_sgpr, 0
	.set _ZN7rocprim17ROCPRIM_400000_NS6detail17trampoline_kernelINS0_14default_configENS1_25transform_config_selectorIbLb1EEEZNS1_14transform_implILb1ES3_S5_PbS7_NS0_8identityIbEEEE10hipError_tT2_T3_mT4_P12ihipStream_tbEUlT_E_NS1_11comp_targetILNS1_3genE9ELNS1_11target_archE1100ELNS1_3gpuE3ELNS1_3repE0EEENS1_30default_config_static_selectorELNS0_4arch9wavefront6targetE0EEEvT1_.num_named_barrier, 0
	.set _ZN7rocprim17ROCPRIM_400000_NS6detail17trampoline_kernelINS0_14default_configENS1_25transform_config_selectorIbLb1EEEZNS1_14transform_implILb1ES3_S5_PbS7_NS0_8identityIbEEEE10hipError_tT2_T3_mT4_P12ihipStream_tbEUlT_E_NS1_11comp_targetILNS1_3genE9ELNS1_11target_archE1100ELNS1_3gpuE3ELNS1_3repE0EEENS1_30default_config_static_selectorELNS0_4arch9wavefront6targetE0EEEvT1_.private_seg_size, 0
	.set _ZN7rocprim17ROCPRIM_400000_NS6detail17trampoline_kernelINS0_14default_configENS1_25transform_config_selectorIbLb1EEEZNS1_14transform_implILb1ES3_S5_PbS7_NS0_8identityIbEEEE10hipError_tT2_T3_mT4_P12ihipStream_tbEUlT_E_NS1_11comp_targetILNS1_3genE9ELNS1_11target_archE1100ELNS1_3gpuE3ELNS1_3repE0EEENS1_30default_config_static_selectorELNS0_4arch9wavefront6targetE0EEEvT1_.uses_vcc, 0
	.set _ZN7rocprim17ROCPRIM_400000_NS6detail17trampoline_kernelINS0_14default_configENS1_25transform_config_selectorIbLb1EEEZNS1_14transform_implILb1ES3_S5_PbS7_NS0_8identityIbEEEE10hipError_tT2_T3_mT4_P12ihipStream_tbEUlT_E_NS1_11comp_targetILNS1_3genE9ELNS1_11target_archE1100ELNS1_3gpuE3ELNS1_3repE0EEENS1_30default_config_static_selectorELNS0_4arch9wavefront6targetE0EEEvT1_.uses_flat_scratch, 0
	.set _ZN7rocprim17ROCPRIM_400000_NS6detail17trampoline_kernelINS0_14default_configENS1_25transform_config_selectorIbLb1EEEZNS1_14transform_implILb1ES3_S5_PbS7_NS0_8identityIbEEEE10hipError_tT2_T3_mT4_P12ihipStream_tbEUlT_E_NS1_11comp_targetILNS1_3genE9ELNS1_11target_archE1100ELNS1_3gpuE3ELNS1_3repE0EEENS1_30default_config_static_selectorELNS0_4arch9wavefront6targetE0EEEvT1_.has_dyn_sized_stack, 0
	.set _ZN7rocprim17ROCPRIM_400000_NS6detail17trampoline_kernelINS0_14default_configENS1_25transform_config_selectorIbLb1EEEZNS1_14transform_implILb1ES3_S5_PbS7_NS0_8identityIbEEEE10hipError_tT2_T3_mT4_P12ihipStream_tbEUlT_E_NS1_11comp_targetILNS1_3genE9ELNS1_11target_archE1100ELNS1_3gpuE3ELNS1_3repE0EEENS1_30default_config_static_selectorELNS0_4arch9wavefront6targetE0EEEvT1_.has_recursion, 0
	.set _ZN7rocprim17ROCPRIM_400000_NS6detail17trampoline_kernelINS0_14default_configENS1_25transform_config_selectorIbLb1EEEZNS1_14transform_implILb1ES3_S5_PbS7_NS0_8identityIbEEEE10hipError_tT2_T3_mT4_P12ihipStream_tbEUlT_E_NS1_11comp_targetILNS1_3genE9ELNS1_11target_archE1100ELNS1_3gpuE3ELNS1_3repE0EEENS1_30default_config_static_selectorELNS0_4arch9wavefront6targetE0EEEvT1_.has_indirect_call, 0
	.section	.AMDGPU.csdata,"",@progbits
; Kernel info:
; codeLenInByte = 0
; TotalNumSgprs: 0
; NumVgprs: 0
; ScratchSize: 0
; MemoryBound: 0
; FloatMode: 240
; IeeeMode: 1
; LDSByteSize: 0 bytes/workgroup (compile time only)
; SGPRBlocks: 0
; VGPRBlocks: 0
; NumSGPRsForWavesPerEU: 1
; NumVGPRsForWavesPerEU: 1
; NamedBarCnt: 0
; Occupancy: 16
; WaveLimiterHint : 0
; COMPUTE_PGM_RSRC2:SCRATCH_EN: 0
; COMPUTE_PGM_RSRC2:USER_SGPR: 2
; COMPUTE_PGM_RSRC2:TRAP_HANDLER: 0
; COMPUTE_PGM_RSRC2:TGID_X_EN: 1
; COMPUTE_PGM_RSRC2:TGID_Y_EN: 0
; COMPUTE_PGM_RSRC2:TGID_Z_EN: 0
; COMPUTE_PGM_RSRC2:TIDIG_COMP_CNT: 0
	.section	.text._ZN7rocprim17ROCPRIM_400000_NS6detail17trampoline_kernelINS0_14default_configENS1_25transform_config_selectorIbLb1EEEZNS1_14transform_implILb1ES3_S5_PbS7_NS0_8identityIbEEEE10hipError_tT2_T3_mT4_P12ihipStream_tbEUlT_E_NS1_11comp_targetILNS1_3genE8ELNS1_11target_archE1030ELNS1_3gpuE2ELNS1_3repE0EEENS1_30default_config_static_selectorELNS0_4arch9wavefront6targetE0EEEvT1_,"axG",@progbits,_ZN7rocprim17ROCPRIM_400000_NS6detail17trampoline_kernelINS0_14default_configENS1_25transform_config_selectorIbLb1EEEZNS1_14transform_implILb1ES3_S5_PbS7_NS0_8identityIbEEEE10hipError_tT2_T3_mT4_P12ihipStream_tbEUlT_E_NS1_11comp_targetILNS1_3genE8ELNS1_11target_archE1030ELNS1_3gpuE2ELNS1_3repE0EEENS1_30default_config_static_selectorELNS0_4arch9wavefront6targetE0EEEvT1_,comdat
	.protected	_ZN7rocprim17ROCPRIM_400000_NS6detail17trampoline_kernelINS0_14default_configENS1_25transform_config_selectorIbLb1EEEZNS1_14transform_implILb1ES3_S5_PbS7_NS0_8identityIbEEEE10hipError_tT2_T3_mT4_P12ihipStream_tbEUlT_E_NS1_11comp_targetILNS1_3genE8ELNS1_11target_archE1030ELNS1_3gpuE2ELNS1_3repE0EEENS1_30default_config_static_selectorELNS0_4arch9wavefront6targetE0EEEvT1_ ; -- Begin function _ZN7rocprim17ROCPRIM_400000_NS6detail17trampoline_kernelINS0_14default_configENS1_25transform_config_selectorIbLb1EEEZNS1_14transform_implILb1ES3_S5_PbS7_NS0_8identityIbEEEE10hipError_tT2_T3_mT4_P12ihipStream_tbEUlT_E_NS1_11comp_targetILNS1_3genE8ELNS1_11target_archE1030ELNS1_3gpuE2ELNS1_3repE0EEENS1_30default_config_static_selectorELNS0_4arch9wavefront6targetE0EEEvT1_
	.globl	_ZN7rocprim17ROCPRIM_400000_NS6detail17trampoline_kernelINS0_14default_configENS1_25transform_config_selectorIbLb1EEEZNS1_14transform_implILb1ES3_S5_PbS7_NS0_8identityIbEEEE10hipError_tT2_T3_mT4_P12ihipStream_tbEUlT_E_NS1_11comp_targetILNS1_3genE8ELNS1_11target_archE1030ELNS1_3gpuE2ELNS1_3repE0EEENS1_30default_config_static_selectorELNS0_4arch9wavefront6targetE0EEEvT1_
	.p2align	8
	.type	_ZN7rocprim17ROCPRIM_400000_NS6detail17trampoline_kernelINS0_14default_configENS1_25transform_config_selectorIbLb1EEEZNS1_14transform_implILb1ES3_S5_PbS7_NS0_8identityIbEEEE10hipError_tT2_T3_mT4_P12ihipStream_tbEUlT_E_NS1_11comp_targetILNS1_3genE8ELNS1_11target_archE1030ELNS1_3gpuE2ELNS1_3repE0EEENS1_30default_config_static_selectorELNS0_4arch9wavefront6targetE0EEEvT1_,@function
_ZN7rocprim17ROCPRIM_400000_NS6detail17trampoline_kernelINS0_14default_configENS1_25transform_config_selectorIbLb1EEEZNS1_14transform_implILb1ES3_S5_PbS7_NS0_8identityIbEEEE10hipError_tT2_T3_mT4_P12ihipStream_tbEUlT_E_NS1_11comp_targetILNS1_3genE8ELNS1_11target_archE1030ELNS1_3gpuE2ELNS1_3repE0EEENS1_30default_config_static_selectorELNS0_4arch9wavefront6targetE0EEEvT1_: ; @_ZN7rocprim17ROCPRIM_400000_NS6detail17trampoline_kernelINS0_14default_configENS1_25transform_config_selectorIbLb1EEEZNS1_14transform_implILb1ES3_S5_PbS7_NS0_8identityIbEEEE10hipError_tT2_T3_mT4_P12ihipStream_tbEUlT_E_NS1_11comp_targetILNS1_3genE8ELNS1_11target_archE1030ELNS1_3gpuE2ELNS1_3repE0EEENS1_30default_config_static_selectorELNS0_4arch9wavefront6targetE0EEEvT1_
; %bb.0:
	.section	.rodata,"a",@progbits
	.p2align	6, 0x0
	.amdhsa_kernel _ZN7rocprim17ROCPRIM_400000_NS6detail17trampoline_kernelINS0_14default_configENS1_25transform_config_selectorIbLb1EEEZNS1_14transform_implILb1ES3_S5_PbS7_NS0_8identityIbEEEE10hipError_tT2_T3_mT4_P12ihipStream_tbEUlT_E_NS1_11comp_targetILNS1_3genE8ELNS1_11target_archE1030ELNS1_3gpuE2ELNS1_3repE0EEENS1_30default_config_static_selectorELNS0_4arch9wavefront6targetE0EEEvT1_
		.amdhsa_group_segment_fixed_size 0
		.amdhsa_private_segment_fixed_size 0
		.amdhsa_kernarg_size 40
		.amdhsa_user_sgpr_count 2
		.amdhsa_user_sgpr_dispatch_ptr 0
		.amdhsa_user_sgpr_queue_ptr 0
		.amdhsa_user_sgpr_kernarg_segment_ptr 1
		.amdhsa_user_sgpr_dispatch_id 0
		.amdhsa_user_sgpr_kernarg_preload_length 0
		.amdhsa_user_sgpr_kernarg_preload_offset 0
		.amdhsa_user_sgpr_private_segment_size 0
		.amdhsa_wavefront_size32 1
		.amdhsa_uses_dynamic_stack 0
		.amdhsa_enable_private_segment 0
		.amdhsa_system_sgpr_workgroup_id_x 1
		.amdhsa_system_sgpr_workgroup_id_y 0
		.amdhsa_system_sgpr_workgroup_id_z 0
		.amdhsa_system_sgpr_workgroup_info 0
		.amdhsa_system_vgpr_workitem_id 0
		.amdhsa_next_free_vgpr 1
		.amdhsa_next_free_sgpr 1
		.amdhsa_named_barrier_count 0
		.amdhsa_reserve_vcc 0
		.amdhsa_float_round_mode_32 0
		.amdhsa_float_round_mode_16_64 0
		.amdhsa_float_denorm_mode_32 3
		.amdhsa_float_denorm_mode_16_64 3
		.amdhsa_fp16_overflow 0
		.amdhsa_memory_ordered 1
		.amdhsa_forward_progress 1
		.amdhsa_inst_pref_size 0
		.amdhsa_round_robin_scheduling 0
		.amdhsa_exception_fp_ieee_invalid_op 0
		.amdhsa_exception_fp_denorm_src 0
		.amdhsa_exception_fp_ieee_div_zero 0
		.amdhsa_exception_fp_ieee_overflow 0
		.amdhsa_exception_fp_ieee_underflow 0
		.amdhsa_exception_fp_ieee_inexact 0
		.amdhsa_exception_int_div_zero 0
	.end_amdhsa_kernel
	.section	.text._ZN7rocprim17ROCPRIM_400000_NS6detail17trampoline_kernelINS0_14default_configENS1_25transform_config_selectorIbLb1EEEZNS1_14transform_implILb1ES3_S5_PbS7_NS0_8identityIbEEEE10hipError_tT2_T3_mT4_P12ihipStream_tbEUlT_E_NS1_11comp_targetILNS1_3genE8ELNS1_11target_archE1030ELNS1_3gpuE2ELNS1_3repE0EEENS1_30default_config_static_selectorELNS0_4arch9wavefront6targetE0EEEvT1_,"axG",@progbits,_ZN7rocprim17ROCPRIM_400000_NS6detail17trampoline_kernelINS0_14default_configENS1_25transform_config_selectorIbLb1EEEZNS1_14transform_implILb1ES3_S5_PbS7_NS0_8identityIbEEEE10hipError_tT2_T3_mT4_P12ihipStream_tbEUlT_E_NS1_11comp_targetILNS1_3genE8ELNS1_11target_archE1030ELNS1_3gpuE2ELNS1_3repE0EEENS1_30default_config_static_selectorELNS0_4arch9wavefront6targetE0EEEvT1_,comdat
.Lfunc_end1690:
	.size	_ZN7rocprim17ROCPRIM_400000_NS6detail17trampoline_kernelINS0_14default_configENS1_25transform_config_selectorIbLb1EEEZNS1_14transform_implILb1ES3_S5_PbS7_NS0_8identityIbEEEE10hipError_tT2_T3_mT4_P12ihipStream_tbEUlT_E_NS1_11comp_targetILNS1_3genE8ELNS1_11target_archE1030ELNS1_3gpuE2ELNS1_3repE0EEENS1_30default_config_static_selectorELNS0_4arch9wavefront6targetE0EEEvT1_, .Lfunc_end1690-_ZN7rocprim17ROCPRIM_400000_NS6detail17trampoline_kernelINS0_14default_configENS1_25transform_config_selectorIbLb1EEEZNS1_14transform_implILb1ES3_S5_PbS7_NS0_8identityIbEEEE10hipError_tT2_T3_mT4_P12ihipStream_tbEUlT_E_NS1_11comp_targetILNS1_3genE8ELNS1_11target_archE1030ELNS1_3gpuE2ELNS1_3repE0EEENS1_30default_config_static_selectorELNS0_4arch9wavefront6targetE0EEEvT1_
                                        ; -- End function
	.set _ZN7rocprim17ROCPRIM_400000_NS6detail17trampoline_kernelINS0_14default_configENS1_25transform_config_selectorIbLb1EEEZNS1_14transform_implILb1ES3_S5_PbS7_NS0_8identityIbEEEE10hipError_tT2_T3_mT4_P12ihipStream_tbEUlT_E_NS1_11comp_targetILNS1_3genE8ELNS1_11target_archE1030ELNS1_3gpuE2ELNS1_3repE0EEENS1_30default_config_static_selectorELNS0_4arch9wavefront6targetE0EEEvT1_.num_vgpr, 0
	.set _ZN7rocprim17ROCPRIM_400000_NS6detail17trampoline_kernelINS0_14default_configENS1_25transform_config_selectorIbLb1EEEZNS1_14transform_implILb1ES3_S5_PbS7_NS0_8identityIbEEEE10hipError_tT2_T3_mT4_P12ihipStream_tbEUlT_E_NS1_11comp_targetILNS1_3genE8ELNS1_11target_archE1030ELNS1_3gpuE2ELNS1_3repE0EEENS1_30default_config_static_selectorELNS0_4arch9wavefront6targetE0EEEvT1_.num_agpr, 0
	.set _ZN7rocprim17ROCPRIM_400000_NS6detail17trampoline_kernelINS0_14default_configENS1_25transform_config_selectorIbLb1EEEZNS1_14transform_implILb1ES3_S5_PbS7_NS0_8identityIbEEEE10hipError_tT2_T3_mT4_P12ihipStream_tbEUlT_E_NS1_11comp_targetILNS1_3genE8ELNS1_11target_archE1030ELNS1_3gpuE2ELNS1_3repE0EEENS1_30default_config_static_selectorELNS0_4arch9wavefront6targetE0EEEvT1_.numbered_sgpr, 0
	.set _ZN7rocprim17ROCPRIM_400000_NS6detail17trampoline_kernelINS0_14default_configENS1_25transform_config_selectorIbLb1EEEZNS1_14transform_implILb1ES3_S5_PbS7_NS0_8identityIbEEEE10hipError_tT2_T3_mT4_P12ihipStream_tbEUlT_E_NS1_11comp_targetILNS1_3genE8ELNS1_11target_archE1030ELNS1_3gpuE2ELNS1_3repE0EEENS1_30default_config_static_selectorELNS0_4arch9wavefront6targetE0EEEvT1_.num_named_barrier, 0
	.set _ZN7rocprim17ROCPRIM_400000_NS6detail17trampoline_kernelINS0_14default_configENS1_25transform_config_selectorIbLb1EEEZNS1_14transform_implILb1ES3_S5_PbS7_NS0_8identityIbEEEE10hipError_tT2_T3_mT4_P12ihipStream_tbEUlT_E_NS1_11comp_targetILNS1_3genE8ELNS1_11target_archE1030ELNS1_3gpuE2ELNS1_3repE0EEENS1_30default_config_static_selectorELNS0_4arch9wavefront6targetE0EEEvT1_.private_seg_size, 0
	.set _ZN7rocprim17ROCPRIM_400000_NS6detail17trampoline_kernelINS0_14default_configENS1_25transform_config_selectorIbLb1EEEZNS1_14transform_implILb1ES3_S5_PbS7_NS0_8identityIbEEEE10hipError_tT2_T3_mT4_P12ihipStream_tbEUlT_E_NS1_11comp_targetILNS1_3genE8ELNS1_11target_archE1030ELNS1_3gpuE2ELNS1_3repE0EEENS1_30default_config_static_selectorELNS0_4arch9wavefront6targetE0EEEvT1_.uses_vcc, 0
	.set _ZN7rocprim17ROCPRIM_400000_NS6detail17trampoline_kernelINS0_14default_configENS1_25transform_config_selectorIbLb1EEEZNS1_14transform_implILb1ES3_S5_PbS7_NS0_8identityIbEEEE10hipError_tT2_T3_mT4_P12ihipStream_tbEUlT_E_NS1_11comp_targetILNS1_3genE8ELNS1_11target_archE1030ELNS1_3gpuE2ELNS1_3repE0EEENS1_30default_config_static_selectorELNS0_4arch9wavefront6targetE0EEEvT1_.uses_flat_scratch, 0
	.set _ZN7rocprim17ROCPRIM_400000_NS6detail17trampoline_kernelINS0_14default_configENS1_25transform_config_selectorIbLb1EEEZNS1_14transform_implILb1ES3_S5_PbS7_NS0_8identityIbEEEE10hipError_tT2_T3_mT4_P12ihipStream_tbEUlT_E_NS1_11comp_targetILNS1_3genE8ELNS1_11target_archE1030ELNS1_3gpuE2ELNS1_3repE0EEENS1_30default_config_static_selectorELNS0_4arch9wavefront6targetE0EEEvT1_.has_dyn_sized_stack, 0
	.set _ZN7rocprim17ROCPRIM_400000_NS6detail17trampoline_kernelINS0_14default_configENS1_25transform_config_selectorIbLb1EEEZNS1_14transform_implILb1ES3_S5_PbS7_NS0_8identityIbEEEE10hipError_tT2_T3_mT4_P12ihipStream_tbEUlT_E_NS1_11comp_targetILNS1_3genE8ELNS1_11target_archE1030ELNS1_3gpuE2ELNS1_3repE0EEENS1_30default_config_static_selectorELNS0_4arch9wavefront6targetE0EEEvT1_.has_recursion, 0
	.set _ZN7rocprim17ROCPRIM_400000_NS6detail17trampoline_kernelINS0_14default_configENS1_25transform_config_selectorIbLb1EEEZNS1_14transform_implILb1ES3_S5_PbS7_NS0_8identityIbEEEE10hipError_tT2_T3_mT4_P12ihipStream_tbEUlT_E_NS1_11comp_targetILNS1_3genE8ELNS1_11target_archE1030ELNS1_3gpuE2ELNS1_3repE0EEENS1_30default_config_static_selectorELNS0_4arch9wavefront6targetE0EEEvT1_.has_indirect_call, 0
	.section	.AMDGPU.csdata,"",@progbits
; Kernel info:
; codeLenInByte = 0
; TotalNumSgprs: 0
; NumVgprs: 0
; ScratchSize: 0
; MemoryBound: 0
; FloatMode: 240
; IeeeMode: 1
; LDSByteSize: 0 bytes/workgroup (compile time only)
; SGPRBlocks: 0
; VGPRBlocks: 0
; NumSGPRsForWavesPerEU: 1
; NumVGPRsForWavesPerEU: 1
; NamedBarCnt: 0
; Occupancy: 16
; WaveLimiterHint : 0
; COMPUTE_PGM_RSRC2:SCRATCH_EN: 0
; COMPUTE_PGM_RSRC2:USER_SGPR: 2
; COMPUTE_PGM_RSRC2:TRAP_HANDLER: 0
; COMPUTE_PGM_RSRC2:TGID_X_EN: 1
; COMPUTE_PGM_RSRC2:TGID_Y_EN: 0
; COMPUTE_PGM_RSRC2:TGID_Z_EN: 0
; COMPUTE_PGM_RSRC2:TIDIG_COMP_CNT: 0
	.section	.text._ZN7rocprim17ROCPRIM_400000_NS6detail17trampoline_kernelINS0_14default_configENS1_38merge_sort_block_merge_config_selectorIbNS0_10empty_typeEEEZZNS1_27merge_sort_block_merge_implIS3_PbPS5_jNS1_19radix_merge_compareILb1ELb1EbNS0_19identity_decomposerEEEEE10hipError_tT0_T1_T2_jT3_P12ihipStream_tbPNSt15iterator_traitsISE_E10value_typeEPNSK_ISF_E10value_typeEPSG_NS1_7vsmem_tEENKUlT_SE_SF_SG_E_clIS8_S8_S9_S9_EESD_ST_SE_SF_SG_EUlST_E_NS1_11comp_targetILNS1_3genE0ELNS1_11target_archE4294967295ELNS1_3gpuE0ELNS1_3repE0EEENS1_48merge_mergepath_partition_config_static_selectorELNS0_4arch9wavefront6targetE0EEEvSF_,"axG",@progbits,_ZN7rocprim17ROCPRIM_400000_NS6detail17trampoline_kernelINS0_14default_configENS1_38merge_sort_block_merge_config_selectorIbNS0_10empty_typeEEEZZNS1_27merge_sort_block_merge_implIS3_PbPS5_jNS1_19radix_merge_compareILb1ELb1EbNS0_19identity_decomposerEEEEE10hipError_tT0_T1_T2_jT3_P12ihipStream_tbPNSt15iterator_traitsISE_E10value_typeEPNSK_ISF_E10value_typeEPSG_NS1_7vsmem_tEENKUlT_SE_SF_SG_E_clIS8_S8_S9_S9_EESD_ST_SE_SF_SG_EUlST_E_NS1_11comp_targetILNS1_3genE0ELNS1_11target_archE4294967295ELNS1_3gpuE0ELNS1_3repE0EEENS1_48merge_mergepath_partition_config_static_selectorELNS0_4arch9wavefront6targetE0EEEvSF_,comdat
	.protected	_ZN7rocprim17ROCPRIM_400000_NS6detail17trampoline_kernelINS0_14default_configENS1_38merge_sort_block_merge_config_selectorIbNS0_10empty_typeEEEZZNS1_27merge_sort_block_merge_implIS3_PbPS5_jNS1_19radix_merge_compareILb1ELb1EbNS0_19identity_decomposerEEEEE10hipError_tT0_T1_T2_jT3_P12ihipStream_tbPNSt15iterator_traitsISE_E10value_typeEPNSK_ISF_E10value_typeEPSG_NS1_7vsmem_tEENKUlT_SE_SF_SG_E_clIS8_S8_S9_S9_EESD_ST_SE_SF_SG_EUlST_E_NS1_11comp_targetILNS1_3genE0ELNS1_11target_archE4294967295ELNS1_3gpuE0ELNS1_3repE0EEENS1_48merge_mergepath_partition_config_static_selectorELNS0_4arch9wavefront6targetE0EEEvSF_ ; -- Begin function _ZN7rocprim17ROCPRIM_400000_NS6detail17trampoline_kernelINS0_14default_configENS1_38merge_sort_block_merge_config_selectorIbNS0_10empty_typeEEEZZNS1_27merge_sort_block_merge_implIS3_PbPS5_jNS1_19radix_merge_compareILb1ELb1EbNS0_19identity_decomposerEEEEE10hipError_tT0_T1_T2_jT3_P12ihipStream_tbPNSt15iterator_traitsISE_E10value_typeEPNSK_ISF_E10value_typeEPSG_NS1_7vsmem_tEENKUlT_SE_SF_SG_E_clIS8_S8_S9_S9_EESD_ST_SE_SF_SG_EUlST_E_NS1_11comp_targetILNS1_3genE0ELNS1_11target_archE4294967295ELNS1_3gpuE0ELNS1_3repE0EEENS1_48merge_mergepath_partition_config_static_selectorELNS0_4arch9wavefront6targetE0EEEvSF_
	.globl	_ZN7rocprim17ROCPRIM_400000_NS6detail17trampoline_kernelINS0_14default_configENS1_38merge_sort_block_merge_config_selectorIbNS0_10empty_typeEEEZZNS1_27merge_sort_block_merge_implIS3_PbPS5_jNS1_19radix_merge_compareILb1ELb1EbNS0_19identity_decomposerEEEEE10hipError_tT0_T1_T2_jT3_P12ihipStream_tbPNSt15iterator_traitsISE_E10value_typeEPNSK_ISF_E10value_typeEPSG_NS1_7vsmem_tEENKUlT_SE_SF_SG_E_clIS8_S8_S9_S9_EESD_ST_SE_SF_SG_EUlST_E_NS1_11comp_targetILNS1_3genE0ELNS1_11target_archE4294967295ELNS1_3gpuE0ELNS1_3repE0EEENS1_48merge_mergepath_partition_config_static_selectorELNS0_4arch9wavefront6targetE0EEEvSF_
	.p2align	8
	.type	_ZN7rocprim17ROCPRIM_400000_NS6detail17trampoline_kernelINS0_14default_configENS1_38merge_sort_block_merge_config_selectorIbNS0_10empty_typeEEEZZNS1_27merge_sort_block_merge_implIS3_PbPS5_jNS1_19radix_merge_compareILb1ELb1EbNS0_19identity_decomposerEEEEE10hipError_tT0_T1_T2_jT3_P12ihipStream_tbPNSt15iterator_traitsISE_E10value_typeEPNSK_ISF_E10value_typeEPSG_NS1_7vsmem_tEENKUlT_SE_SF_SG_E_clIS8_S8_S9_S9_EESD_ST_SE_SF_SG_EUlST_E_NS1_11comp_targetILNS1_3genE0ELNS1_11target_archE4294967295ELNS1_3gpuE0ELNS1_3repE0EEENS1_48merge_mergepath_partition_config_static_selectorELNS0_4arch9wavefront6targetE0EEEvSF_,@function
_ZN7rocprim17ROCPRIM_400000_NS6detail17trampoline_kernelINS0_14default_configENS1_38merge_sort_block_merge_config_selectorIbNS0_10empty_typeEEEZZNS1_27merge_sort_block_merge_implIS3_PbPS5_jNS1_19radix_merge_compareILb1ELb1EbNS0_19identity_decomposerEEEEE10hipError_tT0_T1_T2_jT3_P12ihipStream_tbPNSt15iterator_traitsISE_E10value_typeEPNSK_ISF_E10value_typeEPSG_NS1_7vsmem_tEENKUlT_SE_SF_SG_E_clIS8_S8_S9_S9_EESD_ST_SE_SF_SG_EUlST_E_NS1_11comp_targetILNS1_3genE0ELNS1_11target_archE4294967295ELNS1_3gpuE0ELNS1_3repE0EEENS1_48merge_mergepath_partition_config_static_selectorELNS0_4arch9wavefront6targetE0EEEvSF_: ; @_ZN7rocprim17ROCPRIM_400000_NS6detail17trampoline_kernelINS0_14default_configENS1_38merge_sort_block_merge_config_selectorIbNS0_10empty_typeEEEZZNS1_27merge_sort_block_merge_implIS3_PbPS5_jNS1_19radix_merge_compareILb1ELb1EbNS0_19identity_decomposerEEEEE10hipError_tT0_T1_T2_jT3_P12ihipStream_tbPNSt15iterator_traitsISE_E10value_typeEPNSK_ISF_E10value_typeEPSG_NS1_7vsmem_tEENKUlT_SE_SF_SG_E_clIS8_S8_S9_S9_EESD_ST_SE_SF_SG_EUlST_E_NS1_11comp_targetILNS1_3genE0ELNS1_11target_archE4294967295ELNS1_3gpuE0ELNS1_3repE0EEENS1_48merge_mergepath_partition_config_static_selectorELNS0_4arch9wavefront6targetE0EEEvSF_
; %bb.0:
	s_load_b32 s4, s[2:3], 0x0
	s_bfe_u32 s5, ttmp6, 0x4000c
	s_and_b32 s6, ttmp6, 15
	s_add_co_i32 s5, s5, 1
	s_getreg_b32 s7, hwreg(HW_REG_IB_STS2, 6, 4)
	s_mul_i32 s5, ttmp9, s5
	v_and_b32_e32 v1, 0x3ff, v0
	s_add_co_i32 s6, s6, s5
	s_cmp_eq_u32 s7, 0
	s_cselect_b32 s5, ttmp9, s6
	s_delay_alu instid0(VALU_DEP_1) | instid1(SALU_CYCLE_1)
	v_lshl_or_b32 v8, s5, 7, v1
	s_wait_kmcnt 0x0
	s_delay_alu instid0(VALU_DEP_1)
	v_cmp_gt_u32_e32 vcc_lo, s4, v8
	s_and_saveexec_b32 s4, vcc_lo
	s_cbranch_execz .LBB1691_6
; %bb.1:
	s_clause 0x1
	s_load_b64 s[4:5], s[2:3], 0x4
	s_load_b32 s8, s[2:3], 0x18
	v_bfe_u32 v7, v0, 10, 10
	v_bfe_u32 v0, v0, 20, 10
	s_wait_kmcnt 0x0
	s_lshr_b32 s6, s4, 9
	s_delay_alu instid0(SALU_CYCLE_1) | instskip(NEXT) | instid1(SALU_CYCLE_1)
	s_and_b32 s9, s6, 0x7ffffe
	s_sub_co_i32 s6, 0, s9
	s_add_co_i32 s9, s9, -1
	s_delay_alu instid0(SALU_CYCLE_1) | instskip(SKIP_2) | instid1(VALU_DEP_1)
	v_and_b32_e32 v3, s9, v8
	v_and_b32_e32 v2, s6, v8
	s_load_b64 s[6:7], s[0:1], 0x4
	v_dual_lshlrev_b32 v3, 10, v3 :: v_dual_lshlrev_b32 v2, 10, v2
	s_wait_xcnt 0x0
	s_load_b64 s[0:1], s[2:3], 0x20
	s_delay_alu instid0(VALU_DEP_1) | instskip(SKIP_1) | instid1(VALU_DEP_2)
	v_add_min_u32_e64 v4, v2, s4, s5
	v_min_u32_e32 v2, s5, v2
	v_add_min_u32_e64 v5, v4, s4, s5
	s_delay_alu instid0(VALU_DEP_1)
	v_sub_nc_u32_e32 v6, v5, v2
	s_wait_kmcnt 0x0
	s_lshr_b32 s4, s6, 16
	v_sub_nc_u32_e32 v5, v5, v4
	s_mul_i32 s4, s4, s7
	v_min_u32_e32 v10, v6, v3
	v_mul_u32_u24_e32 v6, s7, v7
	v_mul_u32_u24_e32 v1, s4, v1
	s_and_b32 s4, s8, 1
	v_sub_nc_u32_e32 v3, v4, v2
	v_sub_nc_u32_e64 v9, v10, v5 clamp
	s_delay_alu instid0(VALU_DEP_3) | instskip(SKIP_1) | instid1(VALU_DEP_4)
	v_add3_u32 v0, v1, v6, v0
	v_mov_b32_e32 v1, s4
	v_min_u32_e32 v11, v10, v3
	s_mov_b32 s4, exec_lo
	ds_store_b8 v0, v1
	v_cmpx_lt_u32_e64 v9, v11
	s_cbranch_execz .LBB1691_5
; %bb.2:
	s_load_b64 s[2:3], s[2:3], 0x10
	ds_load_u8 v12, v0
	v_mov_b32_e32 v5, 0
	s_delay_alu instid0(VALU_DEP_1) | instskip(SKIP_1) | instid1(VALU_DEP_1)
	v_mov_b32_e32 v3, v5
	s_wait_kmcnt 0x0
	v_add_nc_u64_e32 v[0:1], s[2:3], v[2:3]
	v_add_nc_u64_e32 v[6:7], s[2:3], v[4:5]
	s_mov_b32 s2, 0
.LBB1691_3:                             ; =>This Inner Loop Header: Depth=1
	v_dual_add_nc_u32 v3, v11, v9 :: v_dual_mov_b32 v15, v5
	s_delay_alu instid0(VALU_DEP_1) | instskip(NEXT) | instid1(VALU_DEP_1)
	v_lshrrev_b32_e32 v4, 1, v3
	v_xad_u32 v14, v4, -1, v10
	v_add_nc_u64_e32 v[16:17], v[0:1], v[4:5]
	s_delay_alu instid0(VALU_DEP_2)
	v_add_nc_u64_e32 v[14:15], v[6:7], v[14:15]
	s_clause 0x1
	global_load_u8 v3, v[16:17], off
	global_load_u8 v13, v[14:15], off
	s_wait_loadcnt_dscnt 0x100
	v_bitop3_b16 v3, v3, 1, v12 bitop3:0x80
	s_wait_loadcnt 0x0
	v_bitop3_b16 v13, v13, 1, v12 bitop3:0x80
	s_delay_alu instid0(VALU_DEP_1) | instskip(SKIP_1) | instid1(VALU_DEP_1)
	v_cmp_gt_u16_e32 vcc_lo, v13, v3
	v_add_nc_u32_e32 v14, 1, v4
	v_dual_cndmask_b32 v9, v14, v9, vcc_lo :: v_dual_cndmask_b32 v11, v11, v4, vcc_lo
	s_delay_alu instid0(VALU_DEP_1) | instskip(SKIP_1) | instid1(SALU_CYCLE_1)
	v_cmp_ge_u32_e32 vcc_lo, v9, v11
	s_or_b32 s2, vcc_lo, s2
	s_and_not1_b32 exec_lo, exec_lo, s2
	s_cbranch_execnz .LBB1691_3
; %bb.4:
	s_or_b32 exec_lo, exec_lo, s2
.LBB1691_5:
	s_delay_alu instid0(SALU_CYCLE_1)
	s_or_b32 exec_lo, exec_lo, s4
	v_add_nc_u32_e32 v0, v9, v2
	global_store_b32 v8, v0, s[0:1] scale_offset
.LBB1691_6:
	s_endpgm
	.section	.rodata,"a",@progbits
	.p2align	6, 0x0
	.amdhsa_kernel _ZN7rocprim17ROCPRIM_400000_NS6detail17trampoline_kernelINS0_14default_configENS1_38merge_sort_block_merge_config_selectorIbNS0_10empty_typeEEEZZNS1_27merge_sort_block_merge_implIS3_PbPS5_jNS1_19radix_merge_compareILb1ELb1EbNS0_19identity_decomposerEEEEE10hipError_tT0_T1_T2_jT3_P12ihipStream_tbPNSt15iterator_traitsISE_E10value_typeEPNSK_ISF_E10value_typeEPSG_NS1_7vsmem_tEENKUlT_SE_SF_SG_E_clIS8_S8_S9_S9_EESD_ST_SE_SF_SG_EUlST_E_NS1_11comp_targetILNS1_3genE0ELNS1_11target_archE4294967295ELNS1_3gpuE0ELNS1_3repE0EEENS1_48merge_mergepath_partition_config_static_selectorELNS0_4arch9wavefront6targetE0EEEvSF_
		.amdhsa_group_segment_fixed_size 128
		.amdhsa_private_segment_fixed_size 0
		.amdhsa_kernarg_size 40
		.amdhsa_user_sgpr_count 4
		.amdhsa_user_sgpr_dispatch_ptr 1
		.amdhsa_user_sgpr_queue_ptr 0
		.amdhsa_user_sgpr_kernarg_segment_ptr 1
		.amdhsa_user_sgpr_dispatch_id 0
		.amdhsa_user_sgpr_kernarg_preload_length 0
		.amdhsa_user_sgpr_kernarg_preload_offset 0
		.amdhsa_user_sgpr_private_segment_size 0
		.amdhsa_wavefront_size32 1
		.amdhsa_uses_dynamic_stack 0
		.amdhsa_enable_private_segment 0
		.amdhsa_system_sgpr_workgroup_id_x 1
		.amdhsa_system_sgpr_workgroup_id_y 0
		.amdhsa_system_sgpr_workgroup_id_z 0
		.amdhsa_system_sgpr_workgroup_info 0
		.amdhsa_system_vgpr_workitem_id 2
		.amdhsa_next_free_vgpr 18
		.amdhsa_next_free_sgpr 10
		.amdhsa_named_barrier_count 0
		.amdhsa_reserve_vcc 1
		.amdhsa_float_round_mode_32 0
		.amdhsa_float_round_mode_16_64 0
		.amdhsa_float_denorm_mode_32 3
		.amdhsa_float_denorm_mode_16_64 3
		.amdhsa_fp16_overflow 0
		.amdhsa_memory_ordered 1
		.amdhsa_forward_progress 1
		.amdhsa_inst_pref_size 5
		.amdhsa_round_robin_scheduling 0
		.amdhsa_exception_fp_ieee_invalid_op 0
		.amdhsa_exception_fp_denorm_src 0
		.amdhsa_exception_fp_ieee_div_zero 0
		.amdhsa_exception_fp_ieee_overflow 0
		.amdhsa_exception_fp_ieee_underflow 0
		.amdhsa_exception_fp_ieee_inexact 0
		.amdhsa_exception_int_div_zero 0
	.end_amdhsa_kernel
	.section	.text._ZN7rocprim17ROCPRIM_400000_NS6detail17trampoline_kernelINS0_14default_configENS1_38merge_sort_block_merge_config_selectorIbNS0_10empty_typeEEEZZNS1_27merge_sort_block_merge_implIS3_PbPS5_jNS1_19radix_merge_compareILb1ELb1EbNS0_19identity_decomposerEEEEE10hipError_tT0_T1_T2_jT3_P12ihipStream_tbPNSt15iterator_traitsISE_E10value_typeEPNSK_ISF_E10value_typeEPSG_NS1_7vsmem_tEENKUlT_SE_SF_SG_E_clIS8_S8_S9_S9_EESD_ST_SE_SF_SG_EUlST_E_NS1_11comp_targetILNS1_3genE0ELNS1_11target_archE4294967295ELNS1_3gpuE0ELNS1_3repE0EEENS1_48merge_mergepath_partition_config_static_selectorELNS0_4arch9wavefront6targetE0EEEvSF_,"axG",@progbits,_ZN7rocprim17ROCPRIM_400000_NS6detail17trampoline_kernelINS0_14default_configENS1_38merge_sort_block_merge_config_selectorIbNS0_10empty_typeEEEZZNS1_27merge_sort_block_merge_implIS3_PbPS5_jNS1_19radix_merge_compareILb1ELb1EbNS0_19identity_decomposerEEEEE10hipError_tT0_T1_T2_jT3_P12ihipStream_tbPNSt15iterator_traitsISE_E10value_typeEPNSK_ISF_E10value_typeEPSG_NS1_7vsmem_tEENKUlT_SE_SF_SG_E_clIS8_S8_S9_S9_EESD_ST_SE_SF_SG_EUlST_E_NS1_11comp_targetILNS1_3genE0ELNS1_11target_archE4294967295ELNS1_3gpuE0ELNS1_3repE0EEENS1_48merge_mergepath_partition_config_static_selectorELNS0_4arch9wavefront6targetE0EEEvSF_,comdat
.Lfunc_end1691:
	.size	_ZN7rocprim17ROCPRIM_400000_NS6detail17trampoline_kernelINS0_14default_configENS1_38merge_sort_block_merge_config_selectorIbNS0_10empty_typeEEEZZNS1_27merge_sort_block_merge_implIS3_PbPS5_jNS1_19radix_merge_compareILb1ELb1EbNS0_19identity_decomposerEEEEE10hipError_tT0_T1_T2_jT3_P12ihipStream_tbPNSt15iterator_traitsISE_E10value_typeEPNSK_ISF_E10value_typeEPSG_NS1_7vsmem_tEENKUlT_SE_SF_SG_E_clIS8_S8_S9_S9_EESD_ST_SE_SF_SG_EUlST_E_NS1_11comp_targetILNS1_3genE0ELNS1_11target_archE4294967295ELNS1_3gpuE0ELNS1_3repE0EEENS1_48merge_mergepath_partition_config_static_selectorELNS0_4arch9wavefront6targetE0EEEvSF_, .Lfunc_end1691-_ZN7rocprim17ROCPRIM_400000_NS6detail17trampoline_kernelINS0_14default_configENS1_38merge_sort_block_merge_config_selectorIbNS0_10empty_typeEEEZZNS1_27merge_sort_block_merge_implIS3_PbPS5_jNS1_19radix_merge_compareILb1ELb1EbNS0_19identity_decomposerEEEEE10hipError_tT0_T1_T2_jT3_P12ihipStream_tbPNSt15iterator_traitsISE_E10value_typeEPNSK_ISF_E10value_typeEPSG_NS1_7vsmem_tEENKUlT_SE_SF_SG_E_clIS8_S8_S9_S9_EESD_ST_SE_SF_SG_EUlST_E_NS1_11comp_targetILNS1_3genE0ELNS1_11target_archE4294967295ELNS1_3gpuE0ELNS1_3repE0EEENS1_48merge_mergepath_partition_config_static_selectorELNS0_4arch9wavefront6targetE0EEEvSF_
                                        ; -- End function
	.set _ZN7rocprim17ROCPRIM_400000_NS6detail17trampoline_kernelINS0_14default_configENS1_38merge_sort_block_merge_config_selectorIbNS0_10empty_typeEEEZZNS1_27merge_sort_block_merge_implIS3_PbPS5_jNS1_19radix_merge_compareILb1ELb1EbNS0_19identity_decomposerEEEEE10hipError_tT0_T1_T2_jT3_P12ihipStream_tbPNSt15iterator_traitsISE_E10value_typeEPNSK_ISF_E10value_typeEPSG_NS1_7vsmem_tEENKUlT_SE_SF_SG_E_clIS8_S8_S9_S9_EESD_ST_SE_SF_SG_EUlST_E_NS1_11comp_targetILNS1_3genE0ELNS1_11target_archE4294967295ELNS1_3gpuE0ELNS1_3repE0EEENS1_48merge_mergepath_partition_config_static_selectorELNS0_4arch9wavefront6targetE0EEEvSF_.num_vgpr, 18
	.set _ZN7rocprim17ROCPRIM_400000_NS6detail17trampoline_kernelINS0_14default_configENS1_38merge_sort_block_merge_config_selectorIbNS0_10empty_typeEEEZZNS1_27merge_sort_block_merge_implIS3_PbPS5_jNS1_19radix_merge_compareILb1ELb1EbNS0_19identity_decomposerEEEEE10hipError_tT0_T1_T2_jT3_P12ihipStream_tbPNSt15iterator_traitsISE_E10value_typeEPNSK_ISF_E10value_typeEPSG_NS1_7vsmem_tEENKUlT_SE_SF_SG_E_clIS8_S8_S9_S9_EESD_ST_SE_SF_SG_EUlST_E_NS1_11comp_targetILNS1_3genE0ELNS1_11target_archE4294967295ELNS1_3gpuE0ELNS1_3repE0EEENS1_48merge_mergepath_partition_config_static_selectorELNS0_4arch9wavefront6targetE0EEEvSF_.num_agpr, 0
	.set _ZN7rocprim17ROCPRIM_400000_NS6detail17trampoline_kernelINS0_14default_configENS1_38merge_sort_block_merge_config_selectorIbNS0_10empty_typeEEEZZNS1_27merge_sort_block_merge_implIS3_PbPS5_jNS1_19radix_merge_compareILb1ELb1EbNS0_19identity_decomposerEEEEE10hipError_tT0_T1_T2_jT3_P12ihipStream_tbPNSt15iterator_traitsISE_E10value_typeEPNSK_ISF_E10value_typeEPSG_NS1_7vsmem_tEENKUlT_SE_SF_SG_E_clIS8_S8_S9_S9_EESD_ST_SE_SF_SG_EUlST_E_NS1_11comp_targetILNS1_3genE0ELNS1_11target_archE4294967295ELNS1_3gpuE0ELNS1_3repE0EEENS1_48merge_mergepath_partition_config_static_selectorELNS0_4arch9wavefront6targetE0EEEvSF_.numbered_sgpr, 10
	.set _ZN7rocprim17ROCPRIM_400000_NS6detail17trampoline_kernelINS0_14default_configENS1_38merge_sort_block_merge_config_selectorIbNS0_10empty_typeEEEZZNS1_27merge_sort_block_merge_implIS3_PbPS5_jNS1_19radix_merge_compareILb1ELb1EbNS0_19identity_decomposerEEEEE10hipError_tT0_T1_T2_jT3_P12ihipStream_tbPNSt15iterator_traitsISE_E10value_typeEPNSK_ISF_E10value_typeEPSG_NS1_7vsmem_tEENKUlT_SE_SF_SG_E_clIS8_S8_S9_S9_EESD_ST_SE_SF_SG_EUlST_E_NS1_11comp_targetILNS1_3genE0ELNS1_11target_archE4294967295ELNS1_3gpuE0ELNS1_3repE0EEENS1_48merge_mergepath_partition_config_static_selectorELNS0_4arch9wavefront6targetE0EEEvSF_.num_named_barrier, 0
	.set _ZN7rocprim17ROCPRIM_400000_NS6detail17trampoline_kernelINS0_14default_configENS1_38merge_sort_block_merge_config_selectorIbNS0_10empty_typeEEEZZNS1_27merge_sort_block_merge_implIS3_PbPS5_jNS1_19radix_merge_compareILb1ELb1EbNS0_19identity_decomposerEEEEE10hipError_tT0_T1_T2_jT3_P12ihipStream_tbPNSt15iterator_traitsISE_E10value_typeEPNSK_ISF_E10value_typeEPSG_NS1_7vsmem_tEENKUlT_SE_SF_SG_E_clIS8_S8_S9_S9_EESD_ST_SE_SF_SG_EUlST_E_NS1_11comp_targetILNS1_3genE0ELNS1_11target_archE4294967295ELNS1_3gpuE0ELNS1_3repE0EEENS1_48merge_mergepath_partition_config_static_selectorELNS0_4arch9wavefront6targetE0EEEvSF_.private_seg_size, 0
	.set _ZN7rocprim17ROCPRIM_400000_NS6detail17trampoline_kernelINS0_14default_configENS1_38merge_sort_block_merge_config_selectorIbNS0_10empty_typeEEEZZNS1_27merge_sort_block_merge_implIS3_PbPS5_jNS1_19radix_merge_compareILb1ELb1EbNS0_19identity_decomposerEEEEE10hipError_tT0_T1_T2_jT3_P12ihipStream_tbPNSt15iterator_traitsISE_E10value_typeEPNSK_ISF_E10value_typeEPSG_NS1_7vsmem_tEENKUlT_SE_SF_SG_E_clIS8_S8_S9_S9_EESD_ST_SE_SF_SG_EUlST_E_NS1_11comp_targetILNS1_3genE0ELNS1_11target_archE4294967295ELNS1_3gpuE0ELNS1_3repE0EEENS1_48merge_mergepath_partition_config_static_selectorELNS0_4arch9wavefront6targetE0EEEvSF_.uses_vcc, 1
	.set _ZN7rocprim17ROCPRIM_400000_NS6detail17trampoline_kernelINS0_14default_configENS1_38merge_sort_block_merge_config_selectorIbNS0_10empty_typeEEEZZNS1_27merge_sort_block_merge_implIS3_PbPS5_jNS1_19radix_merge_compareILb1ELb1EbNS0_19identity_decomposerEEEEE10hipError_tT0_T1_T2_jT3_P12ihipStream_tbPNSt15iterator_traitsISE_E10value_typeEPNSK_ISF_E10value_typeEPSG_NS1_7vsmem_tEENKUlT_SE_SF_SG_E_clIS8_S8_S9_S9_EESD_ST_SE_SF_SG_EUlST_E_NS1_11comp_targetILNS1_3genE0ELNS1_11target_archE4294967295ELNS1_3gpuE0ELNS1_3repE0EEENS1_48merge_mergepath_partition_config_static_selectorELNS0_4arch9wavefront6targetE0EEEvSF_.uses_flat_scratch, 0
	.set _ZN7rocprim17ROCPRIM_400000_NS6detail17trampoline_kernelINS0_14default_configENS1_38merge_sort_block_merge_config_selectorIbNS0_10empty_typeEEEZZNS1_27merge_sort_block_merge_implIS3_PbPS5_jNS1_19radix_merge_compareILb1ELb1EbNS0_19identity_decomposerEEEEE10hipError_tT0_T1_T2_jT3_P12ihipStream_tbPNSt15iterator_traitsISE_E10value_typeEPNSK_ISF_E10value_typeEPSG_NS1_7vsmem_tEENKUlT_SE_SF_SG_E_clIS8_S8_S9_S9_EESD_ST_SE_SF_SG_EUlST_E_NS1_11comp_targetILNS1_3genE0ELNS1_11target_archE4294967295ELNS1_3gpuE0ELNS1_3repE0EEENS1_48merge_mergepath_partition_config_static_selectorELNS0_4arch9wavefront6targetE0EEEvSF_.has_dyn_sized_stack, 0
	.set _ZN7rocprim17ROCPRIM_400000_NS6detail17trampoline_kernelINS0_14default_configENS1_38merge_sort_block_merge_config_selectorIbNS0_10empty_typeEEEZZNS1_27merge_sort_block_merge_implIS3_PbPS5_jNS1_19radix_merge_compareILb1ELb1EbNS0_19identity_decomposerEEEEE10hipError_tT0_T1_T2_jT3_P12ihipStream_tbPNSt15iterator_traitsISE_E10value_typeEPNSK_ISF_E10value_typeEPSG_NS1_7vsmem_tEENKUlT_SE_SF_SG_E_clIS8_S8_S9_S9_EESD_ST_SE_SF_SG_EUlST_E_NS1_11comp_targetILNS1_3genE0ELNS1_11target_archE4294967295ELNS1_3gpuE0ELNS1_3repE0EEENS1_48merge_mergepath_partition_config_static_selectorELNS0_4arch9wavefront6targetE0EEEvSF_.has_recursion, 0
	.set _ZN7rocprim17ROCPRIM_400000_NS6detail17trampoline_kernelINS0_14default_configENS1_38merge_sort_block_merge_config_selectorIbNS0_10empty_typeEEEZZNS1_27merge_sort_block_merge_implIS3_PbPS5_jNS1_19radix_merge_compareILb1ELb1EbNS0_19identity_decomposerEEEEE10hipError_tT0_T1_T2_jT3_P12ihipStream_tbPNSt15iterator_traitsISE_E10value_typeEPNSK_ISF_E10value_typeEPSG_NS1_7vsmem_tEENKUlT_SE_SF_SG_E_clIS8_S8_S9_S9_EESD_ST_SE_SF_SG_EUlST_E_NS1_11comp_targetILNS1_3genE0ELNS1_11target_archE4294967295ELNS1_3gpuE0ELNS1_3repE0EEENS1_48merge_mergepath_partition_config_static_selectorELNS0_4arch9wavefront6targetE0EEEvSF_.has_indirect_call, 0
	.section	.AMDGPU.csdata,"",@progbits
; Kernel info:
; codeLenInByte = 524
; TotalNumSgprs: 12
; NumVgprs: 18
; ScratchSize: 0
; MemoryBound: 0
; FloatMode: 240
; IeeeMode: 1
; LDSByteSize: 128 bytes/workgroup (compile time only)
; SGPRBlocks: 0
; VGPRBlocks: 1
; NumSGPRsForWavesPerEU: 12
; NumVGPRsForWavesPerEU: 18
; NamedBarCnt: 0
; Occupancy: 16
; WaveLimiterHint : 0
; COMPUTE_PGM_RSRC2:SCRATCH_EN: 0
; COMPUTE_PGM_RSRC2:USER_SGPR: 4
; COMPUTE_PGM_RSRC2:TRAP_HANDLER: 0
; COMPUTE_PGM_RSRC2:TGID_X_EN: 1
; COMPUTE_PGM_RSRC2:TGID_Y_EN: 0
; COMPUTE_PGM_RSRC2:TGID_Z_EN: 0
; COMPUTE_PGM_RSRC2:TIDIG_COMP_CNT: 2
	.section	.text._ZN7rocprim17ROCPRIM_400000_NS6detail17trampoline_kernelINS0_14default_configENS1_38merge_sort_block_merge_config_selectorIbNS0_10empty_typeEEEZZNS1_27merge_sort_block_merge_implIS3_PbPS5_jNS1_19radix_merge_compareILb1ELb1EbNS0_19identity_decomposerEEEEE10hipError_tT0_T1_T2_jT3_P12ihipStream_tbPNSt15iterator_traitsISE_E10value_typeEPNSK_ISF_E10value_typeEPSG_NS1_7vsmem_tEENKUlT_SE_SF_SG_E_clIS8_S8_S9_S9_EESD_ST_SE_SF_SG_EUlST_E_NS1_11comp_targetILNS1_3genE10ELNS1_11target_archE1201ELNS1_3gpuE5ELNS1_3repE0EEENS1_48merge_mergepath_partition_config_static_selectorELNS0_4arch9wavefront6targetE0EEEvSF_,"axG",@progbits,_ZN7rocprim17ROCPRIM_400000_NS6detail17trampoline_kernelINS0_14default_configENS1_38merge_sort_block_merge_config_selectorIbNS0_10empty_typeEEEZZNS1_27merge_sort_block_merge_implIS3_PbPS5_jNS1_19radix_merge_compareILb1ELb1EbNS0_19identity_decomposerEEEEE10hipError_tT0_T1_T2_jT3_P12ihipStream_tbPNSt15iterator_traitsISE_E10value_typeEPNSK_ISF_E10value_typeEPSG_NS1_7vsmem_tEENKUlT_SE_SF_SG_E_clIS8_S8_S9_S9_EESD_ST_SE_SF_SG_EUlST_E_NS1_11comp_targetILNS1_3genE10ELNS1_11target_archE1201ELNS1_3gpuE5ELNS1_3repE0EEENS1_48merge_mergepath_partition_config_static_selectorELNS0_4arch9wavefront6targetE0EEEvSF_,comdat
	.protected	_ZN7rocprim17ROCPRIM_400000_NS6detail17trampoline_kernelINS0_14default_configENS1_38merge_sort_block_merge_config_selectorIbNS0_10empty_typeEEEZZNS1_27merge_sort_block_merge_implIS3_PbPS5_jNS1_19radix_merge_compareILb1ELb1EbNS0_19identity_decomposerEEEEE10hipError_tT0_T1_T2_jT3_P12ihipStream_tbPNSt15iterator_traitsISE_E10value_typeEPNSK_ISF_E10value_typeEPSG_NS1_7vsmem_tEENKUlT_SE_SF_SG_E_clIS8_S8_S9_S9_EESD_ST_SE_SF_SG_EUlST_E_NS1_11comp_targetILNS1_3genE10ELNS1_11target_archE1201ELNS1_3gpuE5ELNS1_3repE0EEENS1_48merge_mergepath_partition_config_static_selectorELNS0_4arch9wavefront6targetE0EEEvSF_ ; -- Begin function _ZN7rocprim17ROCPRIM_400000_NS6detail17trampoline_kernelINS0_14default_configENS1_38merge_sort_block_merge_config_selectorIbNS0_10empty_typeEEEZZNS1_27merge_sort_block_merge_implIS3_PbPS5_jNS1_19radix_merge_compareILb1ELb1EbNS0_19identity_decomposerEEEEE10hipError_tT0_T1_T2_jT3_P12ihipStream_tbPNSt15iterator_traitsISE_E10value_typeEPNSK_ISF_E10value_typeEPSG_NS1_7vsmem_tEENKUlT_SE_SF_SG_E_clIS8_S8_S9_S9_EESD_ST_SE_SF_SG_EUlST_E_NS1_11comp_targetILNS1_3genE10ELNS1_11target_archE1201ELNS1_3gpuE5ELNS1_3repE0EEENS1_48merge_mergepath_partition_config_static_selectorELNS0_4arch9wavefront6targetE0EEEvSF_
	.globl	_ZN7rocprim17ROCPRIM_400000_NS6detail17trampoline_kernelINS0_14default_configENS1_38merge_sort_block_merge_config_selectorIbNS0_10empty_typeEEEZZNS1_27merge_sort_block_merge_implIS3_PbPS5_jNS1_19radix_merge_compareILb1ELb1EbNS0_19identity_decomposerEEEEE10hipError_tT0_T1_T2_jT3_P12ihipStream_tbPNSt15iterator_traitsISE_E10value_typeEPNSK_ISF_E10value_typeEPSG_NS1_7vsmem_tEENKUlT_SE_SF_SG_E_clIS8_S8_S9_S9_EESD_ST_SE_SF_SG_EUlST_E_NS1_11comp_targetILNS1_3genE10ELNS1_11target_archE1201ELNS1_3gpuE5ELNS1_3repE0EEENS1_48merge_mergepath_partition_config_static_selectorELNS0_4arch9wavefront6targetE0EEEvSF_
	.p2align	8
	.type	_ZN7rocprim17ROCPRIM_400000_NS6detail17trampoline_kernelINS0_14default_configENS1_38merge_sort_block_merge_config_selectorIbNS0_10empty_typeEEEZZNS1_27merge_sort_block_merge_implIS3_PbPS5_jNS1_19radix_merge_compareILb1ELb1EbNS0_19identity_decomposerEEEEE10hipError_tT0_T1_T2_jT3_P12ihipStream_tbPNSt15iterator_traitsISE_E10value_typeEPNSK_ISF_E10value_typeEPSG_NS1_7vsmem_tEENKUlT_SE_SF_SG_E_clIS8_S8_S9_S9_EESD_ST_SE_SF_SG_EUlST_E_NS1_11comp_targetILNS1_3genE10ELNS1_11target_archE1201ELNS1_3gpuE5ELNS1_3repE0EEENS1_48merge_mergepath_partition_config_static_selectorELNS0_4arch9wavefront6targetE0EEEvSF_,@function
_ZN7rocprim17ROCPRIM_400000_NS6detail17trampoline_kernelINS0_14default_configENS1_38merge_sort_block_merge_config_selectorIbNS0_10empty_typeEEEZZNS1_27merge_sort_block_merge_implIS3_PbPS5_jNS1_19radix_merge_compareILb1ELb1EbNS0_19identity_decomposerEEEEE10hipError_tT0_T1_T2_jT3_P12ihipStream_tbPNSt15iterator_traitsISE_E10value_typeEPNSK_ISF_E10value_typeEPSG_NS1_7vsmem_tEENKUlT_SE_SF_SG_E_clIS8_S8_S9_S9_EESD_ST_SE_SF_SG_EUlST_E_NS1_11comp_targetILNS1_3genE10ELNS1_11target_archE1201ELNS1_3gpuE5ELNS1_3repE0EEENS1_48merge_mergepath_partition_config_static_selectorELNS0_4arch9wavefront6targetE0EEEvSF_: ; @_ZN7rocprim17ROCPRIM_400000_NS6detail17trampoline_kernelINS0_14default_configENS1_38merge_sort_block_merge_config_selectorIbNS0_10empty_typeEEEZZNS1_27merge_sort_block_merge_implIS3_PbPS5_jNS1_19radix_merge_compareILb1ELb1EbNS0_19identity_decomposerEEEEE10hipError_tT0_T1_T2_jT3_P12ihipStream_tbPNSt15iterator_traitsISE_E10value_typeEPNSK_ISF_E10value_typeEPSG_NS1_7vsmem_tEENKUlT_SE_SF_SG_E_clIS8_S8_S9_S9_EESD_ST_SE_SF_SG_EUlST_E_NS1_11comp_targetILNS1_3genE10ELNS1_11target_archE1201ELNS1_3gpuE5ELNS1_3repE0EEENS1_48merge_mergepath_partition_config_static_selectorELNS0_4arch9wavefront6targetE0EEEvSF_
; %bb.0:
	.section	.rodata,"a",@progbits
	.p2align	6, 0x0
	.amdhsa_kernel _ZN7rocprim17ROCPRIM_400000_NS6detail17trampoline_kernelINS0_14default_configENS1_38merge_sort_block_merge_config_selectorIbNS0_10empty_typeEEEZZNS1_27merge_sort_block_merge_implIS3_PbPS5_jNS1_19radix_merge_compareILb1ELb1EbNS0_19identity_decomposerEEEEE10hipError_tT0_T1_T2_jT3_P12ihipStream_tbPNSt15iterator_traitsISE_E10value_typeEPNSK_ISF_E10value_typeEPSG_NS1_7vsmem_tEENKUlT_SE_SF_SG_E_clIS8_S8_S9_S9_EESD_ST_SE_SF_SG_EUlST_E_NS1_11comp_targetILNS1_3genE10ELNS1_11target_archE1201ELNS1_3gpuE5ELNS1_3repE0EEENS1_48merge_mergepath_partition_config_static_selectorELNS0_4arch9wavefront6targetE0EEEvSF_
		.amdhsa_group_segment_fixed_size 0
		.amdhsa_private_segment_fixed_size 0
		.amdhsa_kernarg_size 40
		.amdhsa_user_sgpr_count 2
		.amdhsa_user_sgpr_dispatch_ptr 0
		.amdhsa_user_sgpr_queue_ptr 0
		.amdhsa_user_sgpr_kernarg_segment_ptr 1
		.amdhsa_user_sgpr_dispatch_id 0
		.amdhsa_user_sgpr_kernarg_preload_length 0
		.amdhsa_user_sgpr_kernarg_preload_offset 0
		.amdhsa_user_sgpr_private_segment_size 0
		.amdhsa_wavefront_size32 1
		.amdhsa_uses_dynamic_stack 0
		.amdhsa_enable_private_segment 0
		.amdhsa_system_sgpr_workgroup_id_x 1
		.amdhsa_system_sgpr_workgroup_id_y 0
		.amdhsa_system_sgpr_workgroup_id_z 0
		.amdhsa_system_sgpr_workgroup_info 0
		.amdhsa_system_vgpr_workitem_id 0
		.amdhsa_next_free_vgpr 1
		.amdhsa_next_free_sgpr 1
		.amdhsa_named_barrier_count 0
		.amdhsa_reserve_vcc 0
		.amdhsa_float_round_mode_32 0
		.amdhsa_float_round_mode_16_64 0
		.amdhsa_float_denorm_mode_32 3
		.amdhsa_float_denorm_mode_16_64 3
		.amdhsa_fp16_overflow 0
		.amdhsa_memory_ordered 1
		.amdhsa_forward_progress 1
		.amdhsa_inst_pref_size 0
		.amdhsa_round_robin_scheduling 0
		.amdhsa_exception_fp_ieee_invalid_op 0
		.amdhsa_exception_fp_denorm_src 0
		.amdhsa_exception_fp_ieee_div_zero 0
		.amdhsa_exception_fp_ieee_overflow 0
		.amdhsa_exception_fp_ieee_underflow 0
		.amdhsa_exception_fp_ieee_inexact 0
		.amdhsa_exception_int_div_zero 0
	.end_amdhsa_kernel
	.section	.text._ZN7rocprim17ROCPRIM_400000_NS6detail17trampoline_kernelINS0_14default_configENS1_38merge_sort_block_merge_config_selectorIbNS0_10empty_typeEEEZZNS1_27merge_sort_block_merge_implIS3_PbPS5_jNS1_19radix_merge_compareILb1ELb1EbNS0_19identity_decomposerEEEEE10hipError_tT0_T1_T2_jT3_P12ihipStream_tbPNSt15iterator_traitsISE_E10value_typeEPNSK_ISF_E10value_typeEPSG_NS1_7vsmem_tEENKUlT_SE_SF_SG_E_clIS8_S8_S9_S9_EESD_ST_SE_SF_SG_EUlST_E_NS1_11comp_targetILNS1_3genE10ELNS1_11target_archE1201ELNS1_3gpuE5ELNS1_3repE0EEENS1_48merge_mergepath_partition_config_static_selectorELNS0_4arch9wavefront6targetE0EEEvSF_,"axG",@progbits,_ZN7rocprim17ROCPRIM_400000_NS6detail17trampoline_kernelINS0_14default_configENS1_38merge_sort_block_merge_config_selectorIbNS0_10empty_typeEEEZZNS1_27merge_sort_block_merge_implIS3_PbPS5_jNS1_19radix_merge_compareILb1ELb1EbNS0_19identity_decomposerEEEEE10hipError_tT0_T1_T2_jT3_P12ihipStream_tbPNSt15iterator_traitsISE_E10value_typeEPNSK_ISF_E10value_typeEPSG_NS1_7vsmem_tEENKUlT_SE_SF_SG_E_clIS8_S8_S9_S9_EESD_ST_SE_SF_SG_EUlST_E_NS1_11comp_targetILNS1_3genE10ELNS1_11target_archE1201ELNS1_3gpuE5ELNS1_3repE0EEENS1_48merge_mergepath_partition_config_static_selectorELNS0_4arch9wavefront6targetE0EEEvSF_,comdat
.Lfunc_end1692:
	.size	_ZN7rocprim17ROCPRIM_400000_NS6detail17trampoline_kernelINS0_14default_configENS1_38merge_sort_block_merge_config_selectorIbNS0_10empty_typeEEEZZNS1_27merge_sort_block_merge_implIS3_PbPS5_jNS1_19radix_merge_compareILb1ELb1EbNS0_19identity_decomposerEEEEE10hipError_tT0_T1_T2_jT3_P12ihipStream_tbPNSt15iterator_traitsISE_E10value_typeEPNSK_ISF_E10value_typeEPSG_NS1_7vsmem_tEENKUlT_SE_SF_SG_E_clIS8_S8_S9_S9_EESD_ST_SE_SF_SG_EUlST_E_NS1_11comp_targetILNS1_3genE10ELNS1_11target_archE1201ELNS1_3gpuE5ELNS1_3repE0EEENS1_48merge_mergepath_partition_config_static_selectorELNS0_4arch9wavefront6targetE0EEEvSF_, .Lfunc_end1692-_ZN7rocprim17ROCPRIM_400000_NS6detail17trampoline_kernelINS0_14default_configENS1_38merge_sort_block_merge_config_selectorIbNS0_10empty_typeEEEZZNS1_27merge_sort_block_merge_implIS3_PbPS5_jNS1_19radix_merge_compareILb1ELb1EbNS0_19identity_decomposerEEEEE10hipError_tT0_T1_T2_jT3_P12ihipStream_tbPNSt15iterator_traitsISE_E10value_typeEPNSK_ISF_E10value_typeEPSG_NS1_7vsmem_tEENKUlT_SE_SF_SG_E_clIS8_S8_S9_S9_EESD_ST_SE_SF_SG_EUlST_E_NS1_11comp_targetILNS1_3genE10ELNS1_11target_archE1201ELNS1_3gpuE5ELNS1_3repE0EEENS1_48merge_mergepath_partition_config_static_selectorELNS0_4arch9wavefront6targetE0EEEvSF_
                                        ; -- End function
	.set _ZN7rocprim17ROCPRIM_400000_NS6detail17trampoline_kernelINS0_14default_configENS1_38merge_sort_block_merge_config_selectorIbNS0_10empty_typeEEEZZNS1_27merge_sort_block_merge_implIS3_PbPS5_jNS1_19radix_merge_compareILb1ELb1EbNS0_19identity_decomposerEEEEE10hipError_tT0_T1_T2_jT3_P12ihipStream_tbPNSt15iterator_traitsISE_E10value_typeEPNSK_ISF_E10value_typeEPSG_NS1_7vsmem_tEENKUlT_SE_SF_SG_E_clIS8_S8_S9_S9_EESD_ST_SE_SF_SG_EUlST_E_NS1_11comp_targetILNS1_3genE10ELNS1_11target_archE1201ELNS1_3gpuE5ELNS1_3repE0EEENS1_48merge_mergepath_partition_config_static_selectorELNS0_4arch9wavefront6targetE0EEEvSF_.num_vgpr, 0
	.set _ZN7rocprim17ROCPRIM_400000_NS6detail17trampoline_kernelINS0_14default_configENS1_38merge_sort_block_merge_config_selectorIbNS0_10empty_typeEEEZZNS1_27merge_sort_block_merge_implIS3_PbPS5_jNS1_19radix_merge_compareILb1ELb1EbNS0_19identity_decomposerEEEEE10hipError_tT0_T1_T2_jT3_P12ihipStream_tbPNSt15iterator_traitsISE_E10value_typeEPNSK_ISF_E10value_typeEPSG_NS1_7vsmem_tEENKUlT_SE_SF_SG_E_clIS8_S8_S9_S9_EESD_ST_SE_SF_SG_EUlST_E_NS1_11comp_targetILNS1_3genE10ELNS1_11target_archE1201ELNS1_3gpuE5ELNS1_3repE0EEENS1_48merge_mergepath_partition_config_static_selectorELNS0_4arch9wavefront6targetE0EEEvSF_.num_agpr, 0
	.set _ZN7rocprim17ROCPRIM_400000_NS6detail17trampoline_kernelINS0_14default_configENS1_38merge_sort_block_merge_config_selectorIbNS0_10empty_typeEEEZZNS1_27merge_sort_block_merge_implIS3_PbPS5_jNS1_19radix_merge_compareILb1ELb1EbNS0_19identity_decomposerEEEEE10hipError_tT0_T1_T2_jT3_P12ihipStream_tbPNSt15iterator_traitsISE_E10value_typeEPNSK_ISF_E10value_typeEPSG_NS1_7vsmem_tEENKUlT_SE_SF_SG_E_clIS8_S8_S9_S9_EESD_ST_SE_SF_SG_EUlST_E_NS1_11comp_targetILNS1_3genE10ELNS1_11target_archE1201ELNS1_3gpuE5ELNS1_3repE0EEENS1_48merge_mergepath_partition_config_static_selectorELNS0_4arch9wavefront6targetE0EEEvSF_.numbered_sgpr, 0
	.set _ZN7rocprim17ROCPRIM_400000_NS6detail17trampoline_kernelINS0_14default_configENS1_38merge_sort_block_merge_config_selectorIbNS0_10empty_typeEEEZZNS1_27merge_sort_block_merge_implIS3_PbPS5_jNS1_19radix_merge_compareILb1ELb1EbNS0_19identity_decomposerEEEEE10hipError_tT0_T1_T2_jT3_P12ihipStream_tbPNSt15iterator_traitsISE_E10value_typeEPNSK_ISF_E10value_typeEPSG_NS1_7vsmem_tEENKUlT_SE_SF_SG_E_clIS8_S8_S9_S9_EESD_ST_SE_SF_SG_EUlST_E_NS1_11comp_targetILNS1_3genE10ELNS1_11target_archE1201ELNS1_3gpuE5ELNS1_3repE0EEENS1_48merge_mergepath_partition_config_static_selectorELNS0_4arch9wavefront6targetE0EEEvSF_.num_named_barrier, 0
	.set _ZN7rocprim17ROCPRIM_400000_NS6detail17trampoline_kernelINS0_14default_configENS1_38merge_sort_block_merge_config_selectorIbNS0_10empty_typeEEEZZNS1_27merge_sort_block_merge_implIS3_PbPS5_jNS1_19radix_merge_compareILb1ELb1EbNS0_19identity_decomposerEEEEE10hipError_tT0_T1_T2_jT3_P12ihipStream_tbPNSt15iterator_traitsISE_E10value_typeEPNSK_ISF_E10value_typeEPSG_NS1_7vsmem_tEENKUlT_SE_SF_SG_E_clIS8_S8_S9_S9_EESD_ST_SE_SF_SG_EUlST_E_NS1_11comp_targetILNS1_3genE10ELNS1_11target_archE1201ELNS1_3gpuE5ELNS1_3repE0EEENS1_48merge_mergepath_partition_config_static_selectorELNS0_4arch9wavefront6targetE0EEEvSF_.private_seg_size, 0
	.set _ZN7rocprim17ROCPRIM_400000_NS6detail17trampoline_kernelINS0_14default_configENS1_38merge_sort_block_merge_config_selectorIbNS0_10empty_typeEEEZZNS1_27merge_sort_block_merge_implIS3_PbPS5_jNS1_19radix_merge_compareILb1ELb1EbNS0_19identity_decomposerEEEEE10hipError_tT0_T1_T2_jT3_P12ihipStream_tbPNSt15iterator_traitsISE_E10value_typeEPNSK_ISF_E10value_typeEPSG_NS1_7vsmem_tEENKUlT_SE_SF_SG_E_clIS8_S8_S9_S9_EESD_ST_SE_SF_SG_EUlST_E_NS1_11comp_targetILNS1_3genE10ELNS1_11target_archE1201ELNS1_3gpuE5ELNS1_3repE0EEENS1_48merge_mergepath_partition_config_static_selectorELNS0_4arch9wavefront6targetE0EEEvSF_.uses_vcc, 0
	.set _ZN7rocprim17ROCPRIM_400000_NS6detail17trampoline_kernelINS0_14default_configENS1_38merge_sort_block_merge_config_selectorIbNS0_10empty_typeEEEZZNS1_27merge_sort_block_merge_implIS3_PbPS5_jNS1_19radix_merge_compareILb1ELb1EbNS0_19identity_decomposerEEEEE10hipError_tT0_T1_T2_jT3_P12ihipStream_tbPNSt15iterator_traitsISE_E10value_typeEPNSK_ISF_E10value_typeEPSG_NS1_7vsmem_tEENKUlT_SE_SF_SG_E_clIS8_S8_S9_S9_EESD_ST_SE_SF_SG_EUlST_E_NS1_11comp_targetILNS1_3genE10ELNS1_11target_archE1201ELNS1_3gpuE5ELNS1_3repE0EEENS1_48merge_mergepath_partition_config_static_selectorELNS0_4arch9wavefront6targetE0EEEvSF_.uses_flat_scratch, 0
	.set _ZN7rocprim17ROCPRIM_400000_NS6detail17trampoline_kernelINS0_14default_configENS1_38merge_sort_block_merge_config_selectorIbNS0_10empty_typeEEEZZNS1_27merge_sort_block_merge_implIS3_PbPS5_jNS1_19radix_merge_compareILb1ELb1EbNS0_19identity_decomposerEEEEE10hipError_tT0_T1_T2_jT3_P12ihipStream_tbPNSt15iterator_traitsISE_E10value_typeEPNSK_ISF_E10value_typeEPSG_NS1_7vsmem_tEENKUlT_SE_SF_SG_E_clIS8_S8_S9_S9_EESD_ST_SE_SF_SG_EUlST_E_NS1_11comp_targetILNS1_3genE10ELNS1_11target_archE1201ELNS1_3gpuE5ELNS1_3repE0EEENS1_48merge_mergepath_partition_config_static_selectorELNS0_4arch9wavefront6targetE0EEEvSF_.has_dyn_sized_stack, 0
	.set _ZN7rocprim17ROCPRIM_400000_NS6detail17trampoline_kernelINS0_14default_configENS1_38merge_sort_block_merge_config_selectorIbNS0_10empty_typeEEEZZNS1_27merge_sort_block_merge_implIS3_PbPS5_jNS1_19radix_merge_compareILb1ELb1EbNS0_19identity_decomposerEEEEE10hipError_tT0_T1_T2_jT3_P12ihipStream_tbPNSt15iterator_traitsISE_E10value_typeEPNSK_ISF_E10value_typeEPSG_NS1_7vsmem_tEENKUlT_SE_SF_SG_E_clIS8_S8_S9_S9_EESD_ST_SE_SF_SG_EUlST_E_NS1_11comp_targetILNS1_3genE10ELNS1_11target_archE1201ELNS1_3gpuE5ELNS1_3repE0EEENS1_48merge_mergepath_partition_config_static_selectorELNS0_4arch9wavefront6targetE0EEEvSF_.has_recursion, 0
	.set _ZN7rocprim17ROCPRIM_400000_NS6detail17trampoline_kernelINS0_14default_configENS1_38merge_sort_block_merge_config_selectorIbNS0_10empty_typeEEEZZNS1_27merge_sort_block_merge_implIS3_PbPS5_jNS1_19radix_merge_compareILb1ELb1EbNS0_19identity_decomposerEEEEE10hipError_tT0_T1_T2_jT3_P12ihipStream_tbPNSt15iterator_traitsISE_E10value_typeEPNSK_ISF_E10value_typeEPSG_NS1_7vsmem_tEENKUlT_SE_SF_SG_E_clIS8_S8_S9_S9_EESD_ST_SE_SF_SG_EUlST_E_NS1_11comp_targetILNS1_3genE10ELNS1_11target_archE1201ELNS1_3gpuE5ELNS1_3repE0EEENS1_48merge_mergepath_partition_config_static_selectorELNS0_4arch9wavefront6targetE0EEEvSF_.has_indirect_call, 0
	.section	.AMDGPU.csdata,"",@progbits
; Kernel info:
; codeLenInByte = 0
; TotalNumSgprs: 0
; NumVgprs: 0
; ScratchSize: 0
; MemoryBound: 0
; FloatMode: 240
; IeeeMode: 1
; LDSByteSize: 0 bytes/workgroup (compile time only)
; SGPRBlocks: 0
; VGPRBlocks: 0
; NumSGPRsForWavesPerEU: 1
; NumVGPRsForWavesPerEU: 1
; NamedBarCnt: 0
; Occupancy: 16
; WaveLimiterHint : 0
; COMPUTE_PGM_RSRC2:SCRATCH_EN: 0
; COMPUTE_PGM_RSRC2:USER_SGPR: 2
; COMPUTE_PGM_RSRC2:TRAP_HANDLER: 0
; COMPUTE_PGM_RSRC2:TGID_X_EN: 1
; COMPUTE_PGM_RSRC2:TGID_Y_EN: 0
; COMPUTE_PGM_RSRC2:TGID_Z_EN: 0
; COMPUTE_PGM_RSRC2:TIDIG_COMP_CNT: 0
	.section	.text._ZN7rocprim17ROCPRIM_400000_NS6detail17trampoline_kernelINS0_14default_configENS1_38merge_sort_block_merge_config_selectorIbNS0_10empty_typeEEEZZNS1_27merge_sort_block_merge_implIS3_PbPS5_jNS1_19radix_merge_compareILb1ELb1EbNS0_19identity_decomposerEEEEE10hipError_tT0_T1_T2_jT3_P12ihipStream_tbPNSt15iterator_traitsISE_E10value_typeEPNSK_ISF_E10value_typeEPSG_NS1_7vsmem_tEENKUlT_SE_SF_SG_E_clIS8_S8_S9_S9_EESD_ST_SE_SF_SG_EUlST_E_NS1_11comp_targetILNS1_3genE5ELNS1_11target_archE942ELNS1_3gpuE9ELNS1_3repE0EEENS1_48merge_mergepath_partition_config_static_selectorELNS0_4arch9wavefront6targetE0EEEvSF_,"axG",@progbits,_ZN7rocprim17ROCPRIM_400000_NS6detail17trampoline_kernelINS0_14default_configENS1_38merge_sort_block_merge_config_selectorIbNS0_10empty_typeEEEZZNS1_27merge_sort_block_merge_implIS3_PbPS5_jNS1_19radix_merge_compareILb1ELb1EbNS0_19identity_decomposerEEEEE10hipError_tT0_T1_T2_jT3_P12ihipStream_tbPNSt15iterator_traitsISE_E10value_typeEPNSK_ISF_E10value_typeEPSG_NS1_7vsmem_tEENKUlT_SE_SF_SG_E_clIS8_S8_S9_S9_EESD_ST_SE_SF_SG_EUlST_E_NS1_11comp_targetILNS1_3genE5ELNS1_11target_archE942ELNS1_3gpuE9ELNS1_3repE0EEENS1_48merge_mergepath_partition_config_static_selectorELNS0_4arch9wavefront6targetE0EEEvSF_,comdat
	.protected	_ZN7rocprim17ROCPRIM_400000_NS6detail17trampoline_kernelINS0_14default_configENS1_38merge_sort_block_merge_config_selectorIbNS0_10empty_typeEEEZZNS1_27merge_sort_block_merge_implIS3_PbPS5_jNS1_19radix_merge_compareILb1ELb1EbNS0_19identity_decomposerEEEEE10hipError_tT0_T1_T2_jT3_P12ihipStream_tbPNSt15iterator_traitsISE_E10value_typeEPNSK_ISF_E10value_typeEPSG_NS1_7vsmem_tEENKUlT_SE_SF_SG_E_clIS8_S8_S9_S9_EESD_ST_SE_SF_SG_EUlST_E_NS1_11comp_targetILNS1_3genE5ELNS1_11target_archE942ELNS1_3gpuE9ELNS1_3repE0EEENS1_48merge_mergepath_partition_config_static_selectorELNS0_4arch9wavefront6targetE0EEEvSF_ ; -- Begin function _ZN7rocprim17ROCPRIM_400000_NS6detail17trampoline_kernelINS0_14default_configENS1_38merge_sort_block_merge_config_selectorIbNS0_10empty_typeEEEZZNS1_27merge_sort_block_merge_implIS3_PbPS5_jNS1_19radix_merge_compareILb1ELb1EbNS0_19identity_decomposerEEEEE10hipError_tT0_T1_T2_jT3_P12ihipStream_tbPNSt15iterator_traitsISE_E10value_typeEPNSK_ISF_E10value_typeEPSG_NS1_7vsmem_tEENKUlT_SE_SF_SG_E_clIS8_S8_S9_S9_EESD_ST_SE_SF_SG_EUlST_E_NS1_11comp_targetILNS1_3genE5ELNS1_11target_archE942ELNS1_3gpuE9ELNS1_3repE0EEENS1_48merge_mergepath_partition_config_static_selectorELNS0_4arch9wavefront6targetE0EEEvSF_
	.globl	_ZN7rocprim17ROCPRIM_400000_NS6detail17trampoline_kernelINS0_14default_configENS1_38merge_sort_block_merge_config_selectorIbNS0_10empty_typeEEEZZNS1_27merge_sort_block_merge_implIS3_PbPS5_jNS1_19radix_merge_compareILb1ELb1EbNS0_19identity_decomposerEEEEE10hipError_tT0_T1_T2_jT3_P12ihipStream_tbPNSt15iterator_traitsISE_E10value_typeEPNSK_ISF_E10value_typeEPSG_NS1_7vsmem_tEENKUlT_SE_SF_SG_E_clIS8_S8_S9_S9_EESD_ST_SE_SF_SG_EUlST_E_NS1_11comp_targetILNS1_3genE5ELNS1_11target_archE942ELNS1_3gpuE9ELNS1_3repE0EEENS1_48merge_mergepath_partition_config_static_selectorELNS0_4arch9wavefront6targetE0EEEvSF_
	.p2align	8
	.type	_ZN7rocprim17ROCPRIM_400000_NS6detail17trampoline_kernelINS0_14default_configENS1_38merge_sort_block_merge_config_selectorIbNS0_10empty_typeEEEZZNS1_27merge_sort_block_merge_implIS3_PbPS5_jNS1_19radix_merge_compareILb1ELb1EbNS0_19identity_decomposerEEEEE10hipError_tT0_T1_T2_jT3_P12ihipStream_tbPNSt15iterator_traitsISE_E10value_typeEPNSK_ISF_E10value_typeEPSG_NS1_7vsmem_tEENKUlT_SE_SF_SG_E_clIS8_S8_S9_S9_EESD_ST_SE_SF_SG_EUlST_E_NS1_11comp_targetILNS1_3genE5ELNS1_11target_archE942ELNS1_3gpuE9ELNS1_3repE0EEENS1_48merge_mergepath_partition_config_static_selectorELNS0_4arch9wavefront6targetE0EEEvSF_,@function
_ZN7rocprim17ROCPRIM_400000_NS6detail17trampoline_kernelINS0_14default_configENS1_38merge_sort_block_merge_config_selectorIbNS0_10empty_typeEEEZZNS1_27merge_sort_block_merge_implIS3_PbPS5_jNS1_19radix_merge_compareILb1ELb1EbNS0_19identity_decomposerEEEEE10hipError_tT0_T1_T2_jT3_P12ihipStream_tbPNSt15iterator_traitsISE_E10value_typeEPNSK_ISF_E10value_typeEPSG_NS1_7vsmem_tEENKUlT_SE_SF_SG_E_clIS8_S8_S9_S9_EESD_ST_SE_SF_SG_EUlST_E_NS1_11comp_targetILNS1_3genE5ELNS1_11target_archE942ELNS1_3gpuE9ELNS1_3repE0EEENS1_48merge_mergepath_partition_config_static_selectorELNS0_4arch9wavefront6targetE0EEEvSF_: ; @_ZN7rocprim17ROCPRIM_400000_NS6detail17trampoline_kernelINS0_14default_configENS1_38merge_sort_block_merge_config_selectorIbNS0_10empty_typeEEEZZNS1_27merge_sort_block_merge_implIS3_PbPS5_jNS1_19radix_merge_compareILb1ELb1EbNS0_19identity_decomposerEEEEE10hipError_tT0_T1_T2_jT3_P12ihipStream_tbPNSt15iterator_traitsISE_E10value_typeEPNSK_ISF_E10value_typeEPSG_NS1_7vsmem_tEENKUlT_SE_SF_SG_E_clIS8_S8_S9_S9_EESD_ST_SE_SF_SG_EUlST_E_NS1_11comp_targetILNS1_3genE5ELNS1_11target_archE942ELNS1_3gpuE9ELNS1_3repE0EEENS1_48merge_mergepath_partition_config_static_selectorELNS0_4arch9wavefront6targetE0EEEvSF_
; %bb.0:
	.section	.rodata,"a",@progbits
	.p2align	6, 0x0
	.amdhsa_kernel _ZN7rocprim17ROCPRIM_400000_NS6detail17trampoline_kernelINS0_14default_configENS1_38merge_sort_block_merge_config_selectorIbNS0_10empty_typeEEEZZNS1_27merge_sort_block_merge_implIS3_PbPS5_jNS1_19radix_merge_compareILb1ELb1EbNS0_19identity_decomposerEEEEE10hipError_tT0_T1_T2_jT3_P12ihipStream_tbPNSt15iterator_traitsISE_E10value_typeEPNSK_ISF_E10value_typeEPSG_NS1_7vsmem_tEENKUlT_SE_SF_SG_E_clIS8_S8_S9_S9_EESD_ST_SE_SF_SG_EUlST_E_NS1_11comp_targetILNS1_3genE5ELNS1_11target_archE942ELNS1_3gpuE9ELNS1_3repE0EEENS1_48merge_mergepath_partition_config_static_selectorELNS0_4arch9wavefront6targetE0EEEvSF_
		.amdhsa_group_segment_fixed_size 0
		.amdhsa_private_segment_fixed_size 0
		.amdhsa_kernarg_size 40
		.amdhsa_user_sgpr_count 2
		.amdhsa_user_sgpr_dispatch_ptr 0
		.amdhsa_user_sgpr_queue_ptr 0
		.amdhsa_user_sgpr_kernarg_segment_ptr 1
		.amdhsa_user_sgpr_dispatch_id 0
		.amdhsa_user_sgpr_kernarg_preload_length 0
		.amdhsa_user_sgpr_kernarg_preload_offset 0
		.amdhsa_user_sgpr_private_segment_size 0
		.amdhsa_wavefront_size32 1
		.amdhsa_uses_dynamic_stack 0
		.amdhsa_enable_private_segment 0
		.amdhsa_system_sgpr_workgroup_id_x 1
		.amdhsa_system_sgpr_workgroup_id_y 0
		.amdhsa_system_sgpr_workgroup_id_z 0
		.amdhsa_system_sgpr_workgroup_info 0
		.amdhsa_system_vgpr_workitem_id 0
		.amdhsa_next_free_vgpr 1
		.amdhsa_next_free_sgpr 1
		.amdhsa_named_barrier_count 0
		.amdhsa_reserve_vcc 0
		.amdhsa_float_round_mode_32 0
		.amdhsa_float_round_mode_16_64 0
		.amdhsa_float_denorm_mode_32 3
		.amdhsa_float_denorm_mode_16_64 3
		.amdhsa_fp16_overflow 0
		.amdhsa_memory_ordered 1
		.amdhsa_forward_progress 1
		.amdhsa_inst_pref_size 0
		.amdhsa_round_robin_scheduling 0
		.amdhsa_exception_fp_ieee_invalid_op 0
		.amdhsa_exception_fp_denorm_src 0
		.amdhsa_exception_fp_ieee_div_zero 0
		.amdhsa_exception_fp_ieee_overflow 0
		.amdhsa_exception_fp_ieee_underflow 0
		.amdhsa_exception_fp_ieee_inexact 0
		.amdhsa_exception_int_div_zero 0
	.end_amdhsa_kernel
	.section	.text._ZN7rocprim17ROCPRIM_400000_NS6detail17trampoline_kernelINS0_14default_configENS1_38merge_sort_block_merge_config_selectorIbNS0_10empty_typeEEEZZNS1_27merge_sort_block_merge_implIS3_PbPS5_jNS1_19radix_merge_compareILb1ELb1EbNS0_19identity_decomposerEEEEE10hipError_tT0_T1_T2_jT3_P12ihipStream_tbPNSt15iterator_traitsISE_E10value_typeEPNSK_ISF_E10value_typeEPSG_NS1_7vsmem_tEENKUlT_SE_SF_SG_E_clIS8_S8_S9_S9_EESD_ST_SE_SF_SG_EUlST_E_NS1_11comp_targetILNS1_3genE5ELNS1_11target_archE942ELNS1_3gpuE9ELNS1_3repE0EEENS1_48merge_mergepath_partition_config_static_selectorELNS0_4arch9wavefront6targetE0EEEvSF_,"axG",@progbits,_ZN7rocprim17ROCPRIM_400000_NS6detail17trampoline_kernelINS0_14default_configENS1_38merge_sort_block_merge_config_selectorIbNS0_10empty_typeEEEZZNS1_27merge_sort_block_merge_implIS3_PbPS5_jNS1_19radix_merge_compareILb1ELb1EbNS0_19identity_decomposerEEEEE10hipError_tT0_T1_T2_jT3_P12ihipStream_tbPNSt15iterator_traitsISE_E10value_typeEPNSK_ISF_E10value_typeEPSG_NS1_7vsmem_tEENKUlT_SE_SF_SG_E_clIS8_S8_S9_S9_EESD_ST_SE_SF_SG_EUlST_E_NS1_11comp_targetILNS1_3genE5ELNS1_11target_archE942ELNS1_3gpuE9ELNS1_3repE0EEENS1_48merge_mergepath_partition_config_static_selectorELNS0_4arch9wavefront6targetE0EEEvSF_,comdat
.Lfunc_end1693:
	.size	_ZN7rocprim17ROCPRIM_400000_NS6detail17trampoline_kernelINS0_14default_configENS1_38merge_sort_block_merge_config_selectorIbNS0_10empty_typeEEEZZNS1_27merge_sort_block_merge_implIS3_PbPS5_jNS1_19radix_merge_compareILb1ELb1EbNS0_19identity_decomposerEEEEE10hipError_tT0_T1_T2_jT3_P12ihipStream_tbPNSt15iterator_traitsISE_E10value_typeEPNSK_ISF_E10value_typeEPSG_NS1_7vsmem_tEENKUlT_SE_SF_SG_E_clIS8_S8_S9_S9_EESD_ST_SE_SF_SG_EUlST_E_NS1_11comp_targetILNS1_3genE5ELNS1_11target_archE942ELNS1_3gpuE9ELNS1_3repE0EEENS1_48merge_mergepath_partition_config_static_selectorELNS0_4arch9wavefront6targetE0EEEvSF_, .Lfunc_end1693-_ZN7rocprim17ROCPRIM_400000_NS6detail17trampoline_kernelINS0_14default_configENS1_38merge_sort_block_merge_config_selectorIbNS0_10empty_typeEEEZZNS1_27merge_sort_block_merge_implIS3_PbPS5_jNS1_19radix_merge_compareILb1ELb1EbNS0_19identity_decomposerEEEEE10hipError_tT0_T1_T2_jT3_P12ihipStream_tbPNSt15iterator_traitsISE_E10value_typeEPNSK_ISF_E10value_typeEPSG_NS1_7vsmem_tEENKUlT_SE_SF_SG_E_clIS8_S8_S9_S9_EESD_ST_SE_SF_SG_EUlST_E_NS1_11comp_targetILNS1_3genE5ELNS1_11target_archE942ELNS1_3gpuE9ELNS1_3repE0EEENS1_48merge_mergepath_partition_config_static_selectorELNS0_4arch9wavefront6targetE0EEEvSF_
                                        ; -- End function
	.set _ZN7rocprim17ROCPRIM_400000_NS6detail17trampoline_kernelINS0_14default_configENS1_38merge_sort_block_merge_config_selectorIbNS0_10empty_typeEEEZZNS1_27merge_sort_block_merge_implIS3_PbPS5_jNS1_19radix_merge_compareILb1ELb1EbNS0_19identity_decomposerEEEEE10hipError_tT0_T1_T2_jT3_P12ihipStream_tbPNSt15iterator_traitsISE_E10value_typeEPNSK_ISF_E10value_typeEPSG_NS1_7vsmem_tEENKUlT_SE_SF_SG_E_clIS8_S8_S9_S9_EESD_ST_SE_SF_SG_EUlST_E_NS1_11comp_targetILNS1_3genE5ELNS1_11target_archE942ELNS1_3gpuE9ELNS1_3repE0EEENS1_48merge_mergepath_partition_config_static_selectorELNS0_4arch9wavefront6targetE0EEEvSF_.num_vgpr, 0
	.set _ZN7rocprim17ROCPRIM_400000_NS6detail17trampoline_kernelINS0_14default_configENS1_38merge_sort_block_merge_config_selectorIbNS0_10empty_typeEEEZZNS1_27merge_sort_block_merge_implIS3_PbPS5_jNS1_19radix_merge_compareILb1ELb1EbNS0_19identity_decomposerEEEEE10hipError_tT0_T1_T2_jT3_P12ihipStream_tbPNSt15iterator_traitsISE_E10value_typeEPNSK_ISF_E10value_typeEPSG_NS1_7vsmem_tEENKUlT_SE_SF_SG_E_clIS8_S8_S9_S9_EESD_ST_SE_SF_SG_EUlST_E_NS1_11comp_targetILNS1_3genE5ELNS1_11target_archE942ELNS1_3gpuE9ELNS1_3repE0EEENS1_48merge_mergepath_partition_config_static_selectorELNS0_4arch9wavefront6targetE0EEEvSF_.num_agpr, 0
	.set _ZN7rocprim17ROCPRIM_400000_NS6detail17trampoline_kernelINS0_14default_configENS1_38merge_sort_block_merge_config_selectorIbNS0_10empty_typeEEEZZNS1_27merge_sort_block_merge_implIS3_PbPS5_jNS1_19radix_merge_compareILb1ELb1EbNS0_19identity_decomposerEEEEE10hipError_tT0_T1_T2_jT3_P12ihipStream_tbPNSt15iterator_traitsISE_E10value_typeEPNSK_ISF_E10value_typeEPSG_NS1_7vsmem_tEENKUlT_SE_SF_SG_E_clIS8_S8_S9_S9_EESD_ST_SE_SF_SG_EUlST_E_NS1_11comp_targetILNS1_3genE5ELNS1_11target_archE942ELNS1_3gpuE9ELNS1_3repE0EEENS1_48merge_mergepath_partition_config_static_selectorELNS0_4arch9wavefront6targetE0EEEvSF_.numbered_sgpr, 0
	.set _ZN7rocprim17ROCPRIM_400000_NS6detail17trampoline_kernelINS0_14default_configENS1_38merge_sort_block_merge_config_selectorIbNS0_10empty_typeEEEZZNS1_27merge_sort_block_merge_implIS3_PbPS5_jNS1_19radix_merge_compareILb1ELb1EbNS0_19identity_decomposerEEEEE10hipError_tT0_T1_T2_jT3_P12ihipStream_tbPNSt15iterator_traitsISE_E10value_typeEPNSK_ISF_E10value_typeEPSG_NS1_7vsmem_tEENKUlT_SE_SF_SG_E_clIS8_S8_S9_S9_EESD_ST_SE_SF_SG_EUlST_E_NS1_11comp_targetILNS1_3genE5ELNS1_11target_archE942ELNS1_3gpuE9ELNS1_3repE0EEENS1_48merge_mergepath_partition_config_static_selectorELNS0_4arch9wavefront6targetE0EEEvSF_.num_named_barrier, 0
	.set _ZN7rocprim17ROCPRIM_400000_NS6detail17trampoline_kernelINS0_14default_configENS1_38merge_sort_block_merge_config_selectorIbNS0_10empty_typeEEEZZNS1_27merge_sort_block_merge_implIS3_PbPS5_jNS1_19radix_merge_compareILb1ELb1EbNS0_19identity_decomposerEEEEE10hipError_tT0_T1_T2_jT3_P12ihipStream_tbPNSt15iterator_traitsISE_E10value_typeEPNSK_ISF_E10value_typeEPSG_NS1_7vsmem_tEENKUlT_SE_SF_SG_E_clIS8_S8_S9_S9_EESD_ST_SE_SF_SG_EUlST_E_NS1_11comp_targetILNS1_3genE5ELNS1_11target_archE942ELNS1_3gpuE9ELNS1_3repE0EEENS1_48merge_mergepath_partition_config_static_selectorELNS0_4arch9wavefront6targetE0EEEvSF_.private_seg_size, 0
	.set _ZN7rocprim17ROCPRIM_400000_NS6detail17trampoline_kernelINS0_14default_configENS1_38merge_sort_block_merge_config_selectorIbNS0_10empty_typeEEEZZNS1_27merge_sort_block_merge_implIS3_PbPS5_jNS1_19radix_merge_compareILb1ELb1EbNS0_19identity_decomposerEEEEE10hipError_tT0_T1_T2_jT3_P12ihipStream_tbPNSt15iterator_traitsISE_E10value_typeEPNSK_ISF_E10value_typeEPSG_NS1_7vsmem_tEENKUlT_SE_SF_SG_E_clIS8_S8_S9_S9_EESD_ST_SE_SF_SG_EUlST_E_NS1_11comp_targetILNS1_3genE5ELNS1_11target_archE942ELNS1_3gpuE9ELNS1_3repE0EEENS1_48merge_mergepath_partition_config_static_selectorELNS0_4arch9wavefront6targetE0EEEvSF_.uses_vcc, 0
	.set _ZN7rocprim17ROCPRIM_400000_NS6detail17trampoline_kernelINS0_14default_configENS1_38merge_sort_block_merge_config_selectorIbNS0_10empty_typeEEEZZNS1_27merge_sort_block_merge_implIS3_PbPS5_jNS1_19radix_merge_compareILb1ELb1EbNS0_19identity_decomposerEEEEE10hipError_tT0_T1_T2_jT3_P12ihipStream_tbPNSt15iterator_traitsISE_E10value_typeEPNSK_ISF_E10value_typeEPSG_NS1_7vsmem_tEENKUlT_SE_SF_SG_E_clIS8_S8_S9_S9_EESD_ST_SE_SF_SG_EUlST_E_NS1_11comp_targetILNS1_3genE5ELNS1_11target_archE942ELNS1_3gpuE9ELNS1_3repE0EEENS1_48merge_mergepath_partition_config_static_selectorELNS0_4arch9wavefront6targetE0EEEvSF_.uses_flat_scratch, 0
	.set _ZN7rocprim17ROCPRIM_400000_NS6detail17trampoline_kernelINS0_14default_configENS1_38merge_sort_block_merge_config_selectorIbNS0_10empty_typeEEEZZNS1_27merge_sort_block_merge_implIS3_PbPS5_jNS1_19radix_merge_compareILb1ELb1EbNS0_19identity_decomposerEEEEE10hipError_tT0_T1_T2_jT3_P12ihipStream_tbPNSt15iterator_traitsISE_E10value_typeEPNSK_ISF_E10value_typeEPSG_NS1_7vsmem_tEENKUlT_SE_SF_SG_E_clIS8_S8_S9_S9_EESD_ST_SE_SF_SG_EUlST_E_NS1_11comp_targetILNS1_3genE5ELNS1_11target_archE942ELNS1_3gpuE9ELNS1_3repE0EEENS1_48merge_mergepath_partition_config_static_selectorELNS0_4arch9wavefront6targetE0EEEvSF_.has_dyn_sized_stack, 0
	.set _ZN7rocprim17ROCPRIM_400000_NS6detail17trampoline_kernelINS0_14default_configENS1_38merge_sort_block_merge_config_selectorIbNS0_10empty_typeEEEZZNS1_27merge_sort_block_merge_implIS3_PbPS5_jNS1_19radix_merge_compareILb1ELb1EbNS0_19identity_decomposerEEEEE10hipError_tT0_T1_T2_jT3_P12ihipStream_tbPNSt15iterator_traitsISE_E10value_typeEPNSK_ISF_E10value_typeEPSG_NS1_7vsmem_tEENKUlT_SE_SF_SG_E_clIS8_S8_S9_S9_EESD_ST_SE_SF_SG_EUlST_E_NS1_11comp_targetILNS1_3genE5ELNS1_11target_archE942ELNS1_3gpuE9ELNS1_3repE0EEENS1_48merge_mergepath_partition_config_static_selectorELNS0_4arch9wavefront6targetE0EEEvSF_.has_recursion, 0
	.set _ZN7rocprim17ROCPRIM_400000_NS6detail17trampoline_kernelINS0_14default_configENS1_38merge_sort_block_merge_config_selectorIbNS0_10empty_typeEEEZZNS1_27merge_sort_block_merge_implIS3_PbPS5_jNS1_19radix_merge_compareILb1ELb1EbNS0_19identity_decomposerEEEEE10hipError_tT0_T1_T2_jT3_P12ihipStream_tbPNSt15iterator_traitsISE_E10value_typeEPNSK_ISF_E10value_typeEPSG_NS1_7vsmem_tEENKUlT_SE_SF_SG_E_clIS8_S8_S9_S9_EESD_ST_SE_SF_SG_EUlST_E_NS1_11comp_targetILNS1_3genE5ELNS1_11target_archE942ELNS1_3gpuE9ELNS1_3repE0EEENS1_48merge_mergepath_partition_config_static_selectorELNS0_4arch9wavefront6targetE0EEEvSF_.has_indirect_call, 0
	.section	.AMDGPU.csdata,"",@progbits
; Kernel info:
; codeLenInByte = 0
; TotalNumSgprs: 0
; NumVgprs: 0
; ScratchSize: 0
; MemoryBound: 0
; FloatMode: 240
; IeeeMode: 1
; LDSByteSize: 0 bytes/workgroup (compile time only)
; SGPRBlocks: 0
; VGPRBlocks: 0
; NumSGPRsForWavesPerEU: 1
; NumVGPRsForWavesPerEU: 1
; NamedBarCnt: 0
; Occupancy: 16
; WaveLimiterHint : 0
; COMPUTE_PGM_RSRC2:SCRATCH_EN: 0
; COMPUTE_PGM_RSRC2:USER_SGPR: 2
; COMPUTE_PGM_RSRC2:TRAP_HANDLER: 0
; COMPUTE_PGM_RSRC2:TGID_X_EN: 1
; COMPUTE_PGM_RSRC2:TGID_Y_EN: 0
; COMPUTE_PGM_RSRC2:TGID_Z_EN: 0
; COMPUTE_PGM_RSRC2:TIDIG_COMP_CNT: 0
	.section	.text._ZN7rocprim17ROCPRIM_400000_NS6detail17trampoline_kernelINS0_14default_configENS1_38merge_sort_block_merge_config_selectorIbNS0_10empty_typeEEEZZNS1_27merge_sort_block_merge_implIS3_PbPS5_jNS1_19radix_merge_compareILb1ELb1EbNS0_19identity_decomposerEEEEE10hipError_tT0_T1_T2_jT3_P12ihipStream_tbPNSt15iterator_traitsISE_E10value_typeEPNSK_ISF_E10value_typeEPSG_NS1_7vsmem_tEENKUlT_SE_SF_SG_E_clIS8_S8_S9_S9_EESD_ST_SE_SF_SG_EUlST_E_NS1_11comp_targetILNS1_3genE4ELNS1_11target_archE910ELNS1_3gpuE8ELNS1_3repE0EEENS1_48merge_mergepath_partition_config_static_selectorELNS0_4arch9wavefront6targetE0EEEvSF_,"axG",@progbits,_ZN7rocprim17ROCPRIM_400000_NS6detail17trampoline_kernelINS0_14default_configENS1_38merge_sort_block_merge_config_selectorIbNS0_10empty_typeEEEZZNS1_27merge_sort_block_merge_implIS3_PbPS5_jNS1_19radix_merge_compareILb1ELb1EbNS0_19identity_decomposerEEEEE10hipError_tT0_T1_T2_jT3_P12ihipStream_tbPNSt15iterator_traitsISE_E10value_typeEPNSK_ISF_E10value_typeEPSG_NS1_7vsmem_tEENKUlT_SE_SF_SG_E_clIS8_S8_S9_S9_EESD_ST_SE_SF_SG_EUlST_E_NS1_11comp_targetILNS1_3genE4ELNS1_11target_archE910ELNS1_3gpuE8ELNS1_3repE0EEENS1_48merge_mergepath_partition_config_static_selectorELNS0_4arch9wavefront6targetE0EEEvSF_,comdat
	.protected	_ZN7rocprim17ROCPRIM_400000_NS6detail17trampoline_kernelINS0_14default_configENS1_38merge_sort_block_merge_config_selectorIbNS0_10empty_typeEEEZZNS1_27merge_sort_block_merge_implIS3_PbPS5_jNS1_19radix_merge_compareILb1ELb1EbNS0_19identity_decomposerEEEEE10hipError_tT0_T1_T2_jT3_P12ihipStream_tbPNSt15iterator_traitsISE_E10value_typeEPNSK_ISF_E10value_typeEPSG_NS1_7vsmem_tEENKUlT_SE_SF_SG_E_clIS8_S8_S9_S9_EESD_ST_SE_SF_SG_EUlST_E_NS1_11comp_targetILNS1_3genE4ELNS1_11target_archE910ELNS1_3gpuE8ELNS1_3repE0EEENS1_48merge_mergepath_partition_config_static_selectorELNS0_4arch9wavefront6targetE0EEEvSF_ ; -- Begin function _ZN7rocprim17ROCPRIM_400000_NS6detail17trampoline_kernelINS0_14default_configENS1_38merge_sort_block_merge_config_selectorIbNS0_10empty_typeEEEZZNS1_27merge_sort_block_merge_implIS3_PbPS5_jNS1_19radix_merge_compareILb1ELb1EbNS0_19identity_decomposerEEEEE10hipError_tT0_T1_T2_jT3_P12ihipStream_tbPNSt15iterator_traitsISE_E10value_typeEPNSK_ISF_E10value_typeEPSG_NS1_7vsmem_tEENKUlT_SE_SF_SG_E_clIS8_S8_S9_S9_EESD_ST_SE_SF_SG_EUlST_E_NS1_11comp_targetILNS1_3genE4ELNS1_11target_archE910ELNS1_3gpuE8ELNS1_3repE0EEENS1_48merge_mergepath_partition_config_static_selectorELNS0_4arch9wavefront6targetE0EEEvSF_
	.globl	_ZN7rocprim17ROCPRIM_400000_NS6detail17trampoline_kernelINS0_14default_configENS1_38merge_sort_block_merge_config_selectorIbNS0_10empty_typeEEEZZNS1_27merge_sort_block_merge_implIS3_PbPS5_jNS1_19radix_merge_compareILb1ELb1EbNS0_19identity_decomposerEEEEE10hipError_tT0_T1_T2_jT3_P12ihipStream_tbPNSt15iterator_traitsISE_E10value_typeEPNSK_ISF_E10value_typeEPSG_NS1_7vsmem_tEENKUlT_SE_SF_SG_E_clIS8_S8_S9_S9_EESD_ST_SE_SF_SG_EUlST_E_NS1_11comp_targetILNS1_3genE4ELNS1_11target_archE910ELNS1_3gpuE8ELNS1_3repE0EEENS1_48merge_mergepath_partition_config_static_selectorELNS0_4arch9wavefront6targetE0EEEvSF_
	.p2align	8
	.type	_ZN7rocprim17ROCPRIM_400000_NS6detail17trampoline_kernelINS0_14default_configENS1_38merge_sort_block_merge_config_selectorIbNS0_10empty_typeEEEZZNS1_27merge_sort_block_merge_implIS3_PbPS5_jNS1_19radix_merge_compareILb1ELb1EbNS0_19identity_decomposerEEEEE10hipError_tT0_T1_T2_jT3_P12ihipStream_tbPNSt15iterator_traitsISE_E10value_typeEPNSK_ISF_E10value_typeEPSG_NS1_7vsmem_tEENKUlT_SE_SF_SG_E_clIS8_S8_S9_S9_EESD_ST_SE_SF_SG_EUlST_E_NS1_11comp_targetILNS1_3genE4ELNS1_11target_archE910ELNS1_3gpuE8ELNS1_3repE0EEENS1_48merge_mergepath_partition_config_static_selectorELNS0_4arch9wavefront6targetE0EEEvSF_,@function
_ZN7rocprim17ROCPRIM_400000_NS6detail17trampoline_kernelINS0_14default_configENS1_38merge_sort_block_merge_config_selectorIbNS0_10empty_typeEEEZZNS1_27merge_sort_block_merge_implIS3_PbPS5_jNS1_19radix_merge_compareILb1ELb1EbNS0_19identity_decomposerEEEEE10hipError_tT0_T1_T2_jT3_P12ihipStream_tbPNSt15iterator_traitsISE_E10value_typeEPNSK_ISF_E10value_typeEPSG_NS1_7vsmem_tEENKUlT_SE_SF_SG_E_clIS8_S8_S9_S9_EESD_ST_SE_SF_SG_EUlST_E_NS1_11comp_targetILNS1_3genE4ELNS1_11target_archE910ELNS1_3gpuE8ELNS1_3repE0EEENS1_48merge_mergepath_partition_config_static_selectorELNS0_4arch9wavefront6targetE0EEEvSF_: ; @_ZN7rocprim17ROCPRIM_400000_NS6detail17trampoline_kernelINS0_14default_configENS1_38merge_sort_block_merge_config_selectorIbNS0_10empty_typeEEEZZNS1_27merge_sort_block_merge_implIS3_PbPS5_jNS1_19radix_merge_compareILb1ELb1EbNS0_19identity_decomposerEEEEE10hipError_tT0_T1_T2_jT3_P12ihipStream_tbPNSt15iterator_traitsISE_E10value_typeEPNSK_ISF_E10value_typeEPSG_NS1_7vsmem_tEENKUlT_SE_SF_SG_E_clIS8_S8_S9_S9_EESD_ST_SE_SF_SG_EUlST_E_NS1_11comp_targetILNS1_3genE4ELNS1_11target_archE910ELNS1_3gpuE8ELNS1_3repE0EEENS1_48merge_mergepath_partition_config_static_selectorELNS0_4arch9wavefront6targetE0EEEvSF_
; %bb.0:
	.section	.rodata,"a",@progbits
	.p2align	6, 0x0
	.amdhsa_kernel _ZN7rocprim17ROCPRIM_400000_NS6detail17trampoline_kernelINS0_14default_configENS1_38merge_sort_block_merge_config_selectorIbNS0_10empty_typeEEEZZNS1_27merge_sort_block_merge_implIS3_PbPS5_jNS1_19radix_merge_compareILb1ELb1EbNS0_19identity_decomposerEEEEE10hipError_tT0_T1_T2_jT3_P12ihipStream_tbPNSt15iterator_traitsISE_E10value_typeEPNSK_ISF_E10value_typeEPSG_NS1_7vsmem_tEENKUlT_SE_SF_SG_E_clIS8_S8_S9_S9_EESD_ST_SE_SF_SG_EUlST_E_NS1_11comp_targetILNS1_3genE4ELNS1_11target_archE910ELNS1_3gpuE8ELNS1_3repE0EEENS1_48merge_mergepath_partition_config_static_selectorELNS0_4arch9wavefront6targetE0EEEvSF_
		.amdhsa_group_segment_fixed_size 0
		.amdhsa_private_segment_fixed_size 0
		.amdhsa_kernarg_size 40
		.amdhsa_user_sgpr_count 2
		.amdhsa_user_sgpr_dispatch_ptr 0
		.amdhsa_user_sgpr_queue_ptr 0
		.amdhsa_user_sgpr_kernarg_segment_ptr 1
		.amdhsa_user_sgpr_dispatch_id 0
		.amdhsa_user_sgpr_kernarg_preload_length 0
		.amdhsa_user_sgpr_kernarg_preload_offset 0
		.amdhsa_user_sgpr_private_segment_size 0
		.amdhsa_wavefront_size32 1
		.amdhsa_uses_dynamic_stack 0
		.amdhsa_enable_private_segment 0
		.amdhsa_system_sgpr_workgroup_id_x 1
		.amdhsa_system_sgpr_workgroup_id_y 0
		.amdhsa_system_sgpr_workgroup_id_z 0
		.amdhsa_system_sgpr_workgroup_info 0
		.amdhsa_system_vgpr_workitem_id 0
		.amdhsa_next_free_vgpr 1
		.amdhsa_next_free_sgpr 1
		.amdhsa_named_barrier_count 0
		.amdhsa_reserve_vcc 0
		.amdhsa_float_round_mode_32 0
		.amdhsa_float_round_mode_16_64 0
		.amdhsa_float_denorm_mode_32 3
		.amdhsa_float_denorm_mode_16_64 3
		.amdhsa_fp16_overflow 0
		.amdhsa_memory_ordered 1
		.amdhsa_forward_progress 1
		.amdhsa_inst_pref_size 0
		.amdhsa_round_robin_scheduling 0
		.amdhsa_exception_fp_ieee_invalid_op 0
		.amdhsa_exception_fp_denorm_src 0
		.amdhsa_exception_fp_ieee_div_zero 0
		.amdhsa_exception_fp_ieee_overflow 0
		.amdhsa_exception_fp_ieee_underflow 0
		.amdhsa_exception_fp_ieee_inexact 0
		.amdhsa_exception_int_div_zero 0
	.end_amdhsa_kernel
	.section	.text._ZN7rocprim17ROCPRIM_400000_NS6detail17trampoline_kernelINS0_14default_configENS1_38merge_sort_block_merge_config_selectorIbNS0_10empty_typeEEEZZNS1_27merge_sort_block_merge_implIS3_PbPS5_jNS1_19radix_merge_compareILb1ELb1EbNS0_19identity_decomposerEEEEE10hipError_tT0_T1_T2_jT3_P12ihipStream_tbPNSt15iterator_traitsISE_E10value_typeEPNSK_ISF_E10value_typeEPSG_NS1_7vsmem_tEENKUlT_SE_SF_SG_E_clIS8_S8_S9_S9_EESD_ST_SE_SF_SG_EUlST_E_NS1_11comp_targetILNS1_3genE4ELNS1_11target_archE910ELNS1_3gpuE8ELNS1_3repE0EEENS1_48merge_mergepath_partition_config_static_selectorELNS0_4arch9wavefront6targetE0EEEvSF_,"axG",@progbits,_ZN7rocprim17ROCPRIM_400000_NS6detail17trampoline_kernelINS0_14default_configENS1_38merge_sort_block_merge_config_selectorIbNS0_10empty_typeEEEZZNS1_27merge_sort_block_merge_implIS3_PbPS5_jNS1_19radix_merge_compareILb1ELb1EbNS0_19identity_decomposerEEEEE10hipError_tT0_T1_T2_jT3_P12ihipStream_tbPNSt15iterator_traitsISE_E10value_typeEPNSK_ISF_E10value_typeEPSG_NS1_7vsmem_tEENKUlT_SE_SF_SG_E_clIS8_S8_S9_S9_EESD_ST_SE_SF_SG_EUlST_E_NS1_11comp_targetILNS1_3genE4ELNS1_11target_archE910ELNS1_3gpuE8ELNS1_3repE0EEENS1_48merge_mergepath_partition_config_static_selectorELNS0_4arch9wavefront6targetE0EEEvSF_,comdat
.Lfunc_end1694:
	.size	_ZN7rocprim17ROCPRIM_400000_NS6detail17trampoline_kernelINS0_14default_configENS1_38merge_sort_block_merge_config_selectorIbNS0_10empty_typeEEEZZNS1_27merge_sort_block_merge_implIS3_PbPS5_jNS1_19radix_merge_compareILb1ELb1EbNS0_19identity_decomposerEEEEE10hipError_tT0_T1_T2_jT3_P12ihipStream_tbPNSt15iterator_traitsISE_E10value_typeEPNSK_ISF_E10value_typeEPSG_NS1_7vsmem_tEENKUlT_SE_SF_SG_E_clIS8_S8_S9_S9_EESD_ST_SE_SF_SG_EUlST_E_NS1_11comp_targetILNS1_3genE4ELNS1_11target_archE910ELNS1_3gpuE8ELNS1_3repE0EEENS1_48merge_mergepath_partition_config_static_selectorELNS0_4arch9wavefront6targetE0EEEvSF_, .Lfunc_end1694-_ZN7rocprim17ROCPRIM_400000_NS6detail17trampoline_kernelINS0_14default_configENS1_38merge_sort_block_merge_config_selectorIbNS0_10empty_typeEEEZZNS1_27merge_sort_block_merge_implIS3_PbPS5_jNS1_19radix_merge_compareILb1ELb1EbNS0_19identity_decomposerEEEEE10hipError_tT0_T1_T2_jT3_P12ihipStream_tbPNSt15iterator_traitsISE_E10value_typeEPNSK_ISF_E10value_typeEPSG_NS1_7vsmem_tEENKUlT_SE_SF_SG_E_clIS8_S8_S9_S9_EESD_ST_SE_SF_SG_EUlST_E_NS1_11comp_targetILNS1_3genE4ELNS1_11target_archE910ELNS1_3gpuE8ELNS1_3repE0EEENS1_48merge_mergepath_partition_config_static_selectorELNS0_4arch9wavefront6targetE0EEEvSF_
                                        ; -- End function
	.set _ZN7rocprim17ROCPRIM_400000_NS6detail17trampoline_kernelINS0_14default_configENS1_38merge_sort_block_merge_config_selectorIbNS0_10empty_typeEEEZZNS1_27merge_sort_block_merge_implIS3_PbPS5_jNS1_19radix_merge_compareILb1ELb1EbNS0_19identity_decomposerEEEEE10hipError_tT0_T1_T2_jT3_P12ihipStream_tbPNSt15iterator_traitsISE_E10value_typeEPNSK_ISF_E10value_typeEPSG_NS1_7vsmem_tEENKUlT_SE_SF_SG_E_clIS8_S8_S9_S9_EESD_ST_SE_SF_SG_EUlST_E_NS1_11comp_targetILNS1_3genE4ELNS1_11target_archE910ELNS1_3gpuE8ELNS1_3repE0EEENS1_48merge_mergepath_partition_config_static_selectorELNS0_4arch9wavefront6targetE0EEEvSF_.num_vgpr, 0
	.set _ZN7rocprim17ROCPRIM_400000_NS6detail17trampoline_kernelINS0_14default_configENS1_38merge_sort_block_merge_config_selectorIbNS0_10empty_typeEEEZZNS1_27merge_sort_block_merge_implIS3_PbPS5_jNS1_19radix_merge_compareILb1ELb1EbNS0_19identity_decomposerEEEEE10hipError_tT0_T1_T2_jT3_P12ihipStream_tbPNSt15iterator_traitsISE_E10value_typeEPNSK_ISF_E10value_typeEPSG_NS1_7vsmem_tEENKUlT_SE_SF_SG_E_clIS8_S8_S9_S9_EESD_ST_SE_SF_SG_EUlST_E_NS1_11comp_targetILNS1_3genE4ELNS1_11target_archE910ELNS1_3gpuE8ELNS1_3repE0EEENS1_48merge_mergepath_partition_config_static_selectorELNS0_4arch9wavefront6targetE0EEEvSF_.num_agpr, 0
	.set _ZN7rocprim17ROCPRIM_400000_NS6detail17trampoline_kernelINS0_14default_configENS1_38merge_sort_block_merge_config_selectorIbNS0_10empty_typeEEEZZNS1_27merge_sort_block_merge_implIS3_PbPS5_jNS1_19radix_merge_compareILb1ELb1EbNS0_19identity_decomposerEEEEE10hipError_tT0_T1_T2_jT3_P12ihipStream_tbPNSt15iterator_traitsISE_E10value_typeEPNSK_ISF_E10value_typeEPSG_NS1_7vsmem_tEENKUlT_SE_SF_SG_E_clIS8_S8_S9_S9_EESD_ST_SE_SF_SG_EUlST_E_NS1_11comp_targetILNS1_3genE4ELNS1_11target_archE910ELNS1_3gpuE8ELNS1_3repE0EEENS1_48merge_mergepath_partition_config_static_selectorELNS0_4arch9wavefront6targetE0EEEvSF_.numbered_sgpr, 0
	.set _ZN7rocprim17ROCPRIM_400000_NS6detail17trampoline_kernelINS0_14default_configENS1_38merge_sort_block_merge_config_selectorIbNS0_10empty_typeEEEZZNS1_27merge_sort_block_merge_implIS3_PbPS5_jNS1_19radix_merge_compareILb1ELb1EbNS0_19identity_decomposerEEEEE10hipError_tT0_T1_T2_jT3_P12ihipStream_tbPNSt15iterator_traitsISE_E10value_typeEPNSK_ISF_E10value_typeEPSG_NS1_7vsmem_tEENKUlT_SE_SF_SG_E_clIS8_S8_S9_S9_EESD_ST_SE_SF_SG_EUlST_E_NS1_11comp_targetILNS1_3genE4ELNS1_11target_archE910ELNS1_3gpuE8ELNS1_3repE0EEENS1_48merge_mergepath_partition_config_static_selectorELNS0_4arch9wavefront6targetE0EEEvSF_.num_named_barrier, 0
	.set _ZN7rocprim17ROCPRIM_400000_NS6detail17trampoline_kernelINS0_14default_configENS1_38merge_sort_block_merge_config_selectorIbNS0_10empty_typeEEEZZNS1_27merge_sort_block_merge_implIS3_PbPS5_jNS1_19radix_merge_compareILb1ELb1EbNS0_19identity_decomposerEEEEE10hipError_tT0_T1_T2_jT3_P12ihipStream_tbPNSt15iterator_traitsISE_E10value_typeEPNSK_ISF_E10value_typeEPSG_NS1_7vsmem_tEENKUlT_SE_SF_SG_E_clIS8_S8_S9_S9_EESD_ST_SE_SF_SG_EUlST_E_NS1_11comp_targetILNS1_3genE4ELNS1_11target_archE910ELNS1_3gpuE8ELNS1_3repE0EEENS1_48merge_mergepath_partition_config_static_selectorELNS0_4arch9wavefront6targetE0EEEvSF_.private_seg_size, 0
	.set _ZN7rocprim17ROCPRIM_400000_NS6detail17trampoline_kernelINS0_14default_configENS1_38merge_sort_block_merge_config_selectorIbNS0_10empty_typeEEEZZNS1_27merge_sort_block_merge_implIS3_PbPS5_jNS1_19radix_merge_compareILb1ELb1EbNS0_19identity_decomposerEEEEE10hipError_tT0_T1_T2_jT3_P12ihipStream_tbPNSt15iterator_traitsISE_E10value_typeEPNSK_ISF_E10value_typeEPSG_NS1_7vsmem_tEENKUlT_SE_SF_SG_E_clIS8_S8_S9_S9_EESD_ST_SE_SF_SG_EUlST_E_NS1_11comp_targetILNS1_3genE4ELNS1_11target_archE910ELNS1_3gpuE8ELNS1_3repE0EEENS1_48merge_mergepath_partition_config_static_selectorELNS0_4arch9wavefront6targetE0EEEvSF_.uses_vcc, 0
	.set _ZN7rocprim17ROCPRIM_400000_NS6detail17trampoline_kernelINS0_14default_configENS1_38merge_sort_block_merge_config_selectorIbNS0_10empty_typeEEEZZNS1_27merge_sort_block_merge_implIS3_PbPS5_jNS1_19radix_merge_compareILb1ELb1EbNS0_19identity_decomposerEEEEE10hipError_tT0_T1_T2_jT3_P12ihipStream_tbPNSt15iterator_traitsISE_E10value_typeEPNSK_ISF_E10value_typeEPSG_NS1_7vsmem_tEENKUlT_SE_SF_SG_E_clIS8_S8_S9_S9_EESD_ST_SE_SF_SG_EUlST_E_NS1_11comp_targetILNS1_3genE4ELNS1_11target_archE910ELNS1_3gpuE8ELNS1_3repE0EEENS1_48merge_mergepath_partition_config_static_selectorELNS0_4arch9wavefront6targetE0EEEvSF_.uses_flat_scratch, 0
	.set _ZN7rocprim17ROCPRIM_400000_NS6detail17trampoline_kernelINS0_14default_configENS1_38merge_sort_block_merge_config_selectorIbNS0_10empty_typeEEEZZNS1_27merge_sort_block_merge_implIS3_PbPS5_jNS1_19radix_merge_compareILb1ELb1EbNS0_19identity_decomposerEEEEE10hipError_tT0_T1_T2_jT3_P12ihipStream_tbPNSt15iterator_traitsISE_E10value_typeEPNSK_ISF_E10value_typeEPSG_NS1_7vsmem_tEENKUlT_SE_SF_SG_E_clIS8_S8_S9_S9_EESD_ST_SE_SF_SG_EUlST_E_NS1_11comp_targetILNS1_3genE4ELNS1_11target_archE910ELNS1_3gpuE8ELNS1_3repE0EEENS1_48merge_mergepath_partition_config_static_selectorELNS0_4arch9wavefront6targetE0EEEvSF_.has_dyn_sized_stack, 0
	.set _ZN7rocprim17ROCPRIM_400000_NS6detail17trampoline_kernelINS0_14default_configENS1_38merge_sort_block_merge_config_selectorIbNS0_10empty_typeEEEZZNS1_27merge_sort_block_merge_implIS3_PbPS5_jNS1_19radix_merge_compareILb1ELb1EbNS0_19identity_decomposerEEEEE10hipError_tT0_T1_T2_jT3_P12ihipStream_tbPNSt15iterator_traitsISE_E10value_typeEPNSK_ISF_E10value_typeEPSG_NS1_7vsmem_tEENKUlT_SE_SF_SG_E_clIS8_S8_S9_S9_EESD_ST_SE_SF_SG_EUlST_E_NS1_11comp_targetILNS1_3genE4ELNS1_11target_archE910ELNS1_3gpuE8ELNS1_3repE0EEENS1_48merge_mergepath_partition_config_static_selectorELNS0_4arch9wavefront6targetE0EEEvSF_.has_recursion, 0
	.set _ZN7rocprim17ROCPRIM_400000_NS6detail17trampoline_kernelINS0_14default_configENS1_38merge_sort_block_merge_config_selectorIbNS0_10empty_typeEEEZZNS1_27merge_sort_block_merge_implIS3_PbPS5_jNS1_19radix_merge_compareILb1ELb1EbNS0_19identity_decomposerEEEEE10hipError_tT0_T1_T2_jT3_P12ihipStream_tbPNSt15iterator_traitsISE_E10value_typeEPNSK_ISF_E10value_typeEPSG_NS1_7vsmem_tEENKUlT_SE_SF_SG_E_clIS8_S8_S9_S9_EESD_ST_SE_SF_SG_EUlST_E_NS1_11comp_targetILNS1_3genE4ELNS1_11target_archE910ELNS1_3gpuE8ELNS1_3repE0EEENS1_48merge_mergepath_partition_config_static_selectorELNS0_4arch9wavefront6targetE0EEEvSF_.has_indirect_call, 0
	.section	.AMDGPU.csdata,"",@progbits
; Kernel info:
; codeLenInByte = 0
; TotalNumSgprs: 0
; NumVgprs: 0
; ScratchSize: 0
; MemoryBound: 0
; FloatMode: 240
; IeeeMode: 1
; LDSByteSize: 0 bytes/workgroup (compile time only)
; SGPRBlocks: 0
; VGPRBlocks: 0
; NumSGPRsForWavesPerEU: 1
; NumVGPRsForWavesPerEU: 1
; NamedBarCnt: 0
; Occupancy: 16
; WaveLimiterHint : 0
; COMPUTE_PGM_RSRC2:SCRATCH_EN: 0
; COMPUTE_PGM_RSRC2:USER_SGPR: 2
; COMPUTE_PGM_RSRC2:TRAP_HANDLER: 0
; COMPUTE_PGM_RSRC2:TGID_X_EN: 1
; COMPUTE_PGM_RSRC2:TGID_Y_EN: 0
; COMPUTE_PGM_RSRC2:TGID_Z_EN: 0
; COMPUTE_PGM_RSRC2:TIDIG_COMP_CNT: 0
	.section	.text._ZN7rocprim17ROCPRIM_400000_NS6detail17trampoline_kernelINS0_14default_configENS1_38merge_sort_block_merge_config_selectorIbNS0_10empty_typeEEEZZNS1_27merge_sort_block_merge_implIS3_PbPS5_jNS1_19radix_merge_compareILb1ELb1EbNS0_19identity_decomposerEEEEE10hipError_tT0_T1_T2_jT3_P12ihipStream_tbPNSt15iterator_traitsISE_E10value_typeEPNSK_ISF_E10value_typeEPSG_NS1_7vsmem_tEENKUlT_SE_SF_SG_E_clIS8_S8_S9_S9_EESD_ST_SE_SF_SG_EUlST_E_NS1_11comp_targetILNS1_3genE3ELNS1_11target_archE908ELNS1_3gpuE7ELNS1_3repE0EEENS1_48merge_mergepath_partition_config_static_selectorELNS0_4arch9wavefront6targetE0EEEvSF_,"axG",@progbits,_ZN7rocprim17ROCPRIM_400000_NS6detail17trampoline_kernelINS0_14default_configENS1_38merge_sort_block_merge_config_selectorIbNS0_10empty_typeEEEZZNS1_27merge_sort_block_merge_implIS3_PbPS5_jNS1_19radix_merge_compareILb1ELb1EbNS0_19identity_decomposerEEEEE10hipError_tT0_T1_T2_jT3_P12ihipStream_tbPNSt15iterator_traitsISE_E10value_typeEPNSK_ISF_E10value_typeEPSG_NS1_7vsmem_tEENKUlT_SE_SF_SG_E_clIS8_S8_S9_S9_EESD_ST_SE_SF_SG_EUlST_E_NS1_11comp_targetILNS1_3genE3ELNS1_11target_archE908ELNS1_3gpuE7ELNS1_3repE0EEENS1_48merge_mergepath_partition_config_static_selectorELNS0_4arch9wavefront6targetE0EEEvSF_,comdat
	.protected	_ZN7rocprim17ROCPRIM_400000_NS6detail17trampoline_kernelINS0_14default_configENS1_38merge_sort_block_merge_config_selectorIbNS0_10empty_typeEEEZZNS1_27merge_sort_block_merge_implIS3_PbPS5_jNS1_19radix_merge_compareILb1ELb1EbNS0_19identity_decomposerEEEEE10hipError_tT0_T1_T2_jT3_P12ihipStream_tbPNSt15iterator_traitsISE_E10value_typeEPNSK_ISF_E10value_typeEPSG_NS1_7vsmem_tEENKUlT_SE_SF_SG_E_clIS8_S8_S9_S9_EESD_ST_SE_SF_SG_EUlST_E_NS1_11comp_targetILNS1_3genE3ELNS1_11target_archE908ELNS1_3gpuE7ELNS1_3repE0EEENS1_48merge_mergepath_partition_config_static_selectorELNS0_4arch9wavefront6targetE0EEEvSF_ ; -- Begin function _ZN7rocprim17ROCPRIM_400000_NS6detail17trampoline_kernelINS0_14default_configENS1_38merge_sort_block_merge_config_selectorIbNS0_10empty_typeEEEZZNS1_27merge_sort_block_merge_implIS3_PbPS5_jNS1_19radix_merge_compareILb1ELb1EbNS0_19identity_decomposerEEEEE10hipError_tT0_T1_T2_jT3_P12ihipStream_tbPNSt15iterator_traitsISE_E10value_typeEPNSK_ISF_E10value_typeEPSG_NS1_7vsmem_tEENKUlT_SE_SF_SG_E_clIS8_S8_S9_S9_EESD_ST_SE_SF_SG_EUlST_E_NS1_11comp_targetILNS1_3genE3ELNS1_11target_archE908ELNS1_3gpuE7ELNS1_3repE0EEENS1_48merge_mergepath_partition_config_static_selectorELNS0_4arch9wavefront6targetE0EEEvSF_
	.globl	_ZN7rocprim17ROCPRIM_400000_NS6detail17trampoline_kernelINS0_14default_configENS1_38merge_sort_block_merge_config_selectorIbNS0_10empty_typeEEEZZNS1_27merge_sort_block_merge_implIS3_PbPS5_jNS1_19radix_merge_compareILb1ELb1EbNS0_19identity_decomposerEEEEE10hipError_tT0_T1_T2_jT3_P12ihipStream_tbPNSt15iterator_traitsISE_E10value_typeEPNSK_ISF_E10value_typeEPSG_NS1_7vsmem_tEENKUlT_SE_SF_SG_E_clIS8_S8_S9_S9_EESD_ST_SE_SF_SG_EUlST_E_NS1_11comp_targetILNS1_3genE3ELNS1_11target_archE908ELNS1_3gpuE7ELNS1_3repE0EEENS1_48merge_mergepath_partition_config_static_selectorELNS0_4arch9wavefront6targetE0EEEvSF_
	.p2align	8
	.type	_ZN7rocprim17ROCPRIM_400000_NS6detail17trampoline_kernelINS0_14default_configENS1_38merge_sort_block_merge_config_selectorIbNS0_10empty_typeEEEZZNS1_27merge_sort_block_merge_implIS3_PbPS5_jNS1_19radix_merge_compareILb1ELb1EbNS0_19identity_decomposerEEEEE10hipError_tT0_T1_T2_jT3_P12ihipStream_tbPNSt15iterator_traitsISE_E10value_typeEPNSK_ISF_E10value_typeEPSG_NS1_7vsmem_tEENKUlT_SE_SF_SG_E_clIS8_S8_S9_S9_EESD_ST_SE_SF_SG_EUlST_E_NS1_11comp_targetILNS1_3genE3ELNS1_11target_archE908ELNS1_3gpuE7ELNS1_3repE0EEENS1_48merge_mergepath_partition_config_static_selectorELNS0_4arch9wavefront6targetE0EEEvSF_,@function
_ZN7rocprim17ROCPRIM_400000_NS6detail17trampoline_kernelINS0_14default_configENS1_38merge_sort_block_merge_config_selectorIbNS0_10empty_typeEEEZZNS1_27merge_sort_block_merge_implIS3_PbPS5_jNS1_19radix_merge_compareILb1ELb1EbNS0_19identity_decomposerEEEEE10hipError_tT0_T1_T2_jT3_P12ihipStream_tbPNSt15iterator_traitsISE_E10value_typeEPNSK_ISF_E10value_typeEPSG_NS1_7vsmem_tEENKUlT_SE_SF_SG_E_clIS8_S8_S9_S9_EESD_ST_SE_SF_SG_EUlST_E_NS1_11comp_targetILNS1_3genE3ELNS1_11target_archE908ELNS1_3gpuE7ELNS1_3repE0EEENS1_48merge_mergepath_partition_config_static_selectorELNS0_4arch9wavefront6targetE0EEEvSF_: ; @_ZN7rocprim17ROCPRIM_400000_NS6detail17trampoline_kernelINS0_14default_configENS1_38merge_sort_block_merge_config_selectorIbNS0_10empty_typeEEEZZNS1_27merge_sort_block_merge_implIS3_PbPS5_jNS1_19radix_merge_compareILb1ELb1EbNS0_19identity_decomposerEEEEE10hipError_tT0_T1_T2_jT3_P12ihipStream_tbPNSt15iterator_traitsISE_E10value_typeEPNSK_ISF_E10value_typeEPSG_NS1_7vsmem_tEENKUlT_SE_SF_SG_E_clIS8_S8_S9_S9_EESD_ST_SE_SF_SG_EUlST_E_NS1_11comp_targetILNS1_3genE3ELNS1_11target_archE908ELNS1_3gpuE7ELNS1_3repE0EEENS1_48merge_mergepath_partition_config_static_selectorELNS0_4arch9wavefront6targetE0EEEvSF_
; %bb.0:
	.section	.rodata,"a",@progbits
	.p2align	6, 0x0
	.amdhsa_kernel _ZN7rocprim17ROCPRIM_400000_NS6detail17trampoline_kernelINS0_14default_configENS1_38merge_sort_block_merge_config_selectorIbNS0_10empty_typeEEEZZNS1_27merge_sort_block_merge_implIS3_PbPS5_jNS1_19radix_merge_compareILb1ELb1EbNS0_19identity_decomposerEEEEE10hipError_tT0_T1_T2_jT3_P12ihipStream_tbPNSt15iterator_traitsISE_E10value_typeEPNSK_ISF_E10value_typeEPSG_NS1_7vsmem_tEENKUlT_SE_SF_SG_E_clIS8_S8_S9_S9_EESD_ST_SE_SF_SG_EUlST_E_NS1_11comp_targetILNS1_3genE3ELNS1_11target_archE908ELNS1_3gpuE7ELNS1_3repE0EEENS1_48merge_mergepath_partition_config_static_selectorELNS0_4arch9wavefront6targetE0EEEvSF_
		.amdhsa_group_segment_fixed_size 0
		.amdhsa_private_segment_fixed_size 0
		.amdhsa_kernarg_size 40
		.amdhsa_user_sgpr_count 2
		.amdhsa_user_sgpr_dispatch_ptr 0
		.amdhsa_user_sgpr_queue_ptr 0
		.amdhsa_user_sgpr_kernarg_segment_ptr 1
		.amdhsa_user_sgpr_dispatch_id 0
		.amdhsa_user_sgpr_kernarg_preload_length 0
		.amdhsa_user_sgpr_kernarg_preload_offset 0
		.amdhsa_user_sgpr_private_segment_size 0
		.amdhsa_wavefront_size32 1
		.amdhsa_uses_dynamic_stack 0
		.amdhsa_enable_private_segment 0
		.amdhsa_system_sgpr_workgroup_id_x 1
		.amdhsa_system_sgpr_workgroup_id_y 0
		.amdhsa_system_sgpr_workgroup_id_z 0
		.amdhsa_system_sgpr_workgroup_info 0
		.amdhsa_system_vgpr_workitem_id 0
		.amdhsa_next_free_vgpr 1
		.amdhsa_next_free_sgpr 1
		.amdhsa_named_barrier_count 0
		.amdhsa_reserve_vcc 0
		.amdhsa_float_round_mode_32 0
		.amdhsa_float_round_mode_16_64 0
		.amdhsa_float_denorm_mode_32 3
		.amdhsa_float_denorm_mode_16_64 3
		.amdhsa_fp16_overflow 0
		.amdhsa_memory_ordered 1
		.amdhsa_forward_progress 1
		.amdhsa_inst_pref_size 0
		.amdhsa_round_robin_scheduling 0
		.amdhsa_exception_fp_ieee_invalid_op 0
		.amdhsa_exception_fp_denorm_src 0
		.amdhsa_exception_fp_ieee_div_zero 0
		.amdhsa_exception_fp_ieee_overflow 0
		.amdhsa_exception_fp_ieee_underflow 0
		.amdhsa_exception_fp_ieee_inexact 0
		.amdhsa_exception_int_div_zero 0
	.end_amdhsa_kernel
	.section	.text._ZN7rocprim17ROCPRIM_400000_NS6detail17trampoline_kernelINS0_14default_configENS1_38merge_sort_block_merge_config_selectorIbNS0_10empty_typeEEEZZNS1_27merge_sort_block_merge_implIS3_PbPS5_jNS1_19radix_merge_compareILb1ELb1EbNS0_19identity_decomposerEEEEE10hipError_tT0_T1_T2_jT3_P12ihipStream_tbPNSt15iterator_traitsISE_E10value_typeEPNSK_ISF_E10value_typeEPSG_NS1_7vsmem_tEENKUlT_SE_SF_SG_E_clIS8_S8_S9_S9_EESD_ST_SE_SF_SG_EUlST_E_NS1_11comp_targetILNS1_3genE3ELNS1_11target_archE908ELNS1_3gpuE7ELNS1_3repE0EEENS1_48merge_mergepath_partition_config_static_selectorELNS0_4arch9wavefront6targetE0EEEvSF_,"axG",@progbits,_ZN7rocprim17ROCPRIM_400000_NS6detail17trampoline_kernelINS0_14default_configENS1_38merge_sort_block_merge_config_selectorIbNS0_10empty_typeEEEZZNS1_27merge_sort_block_merge_implIS3_PbPS5_jNS1_19radix_merge_compareILb1ELb1EbNS0_19identity_decomposerEEEEE10hipError_tT0_T1_T2_jT3_P12ihipStream_tbPNSt15iterator_traitsISE_E10value_typeEPNSK_ISF_E10value_typeEPSG_NS1_7vsmem_tEENKUlT_SE_SF_SG_E_clIS8_S8_S9_S9_EESD_ST_SE_SF_SG_EUlST_E_NS1_11comp_targetILNS1_3genE3ELNS1_11target_archE908ELNS1_3gpuE7ELNS1_3repE0EEENS1_48merge_mergepath_partition_config_static_selectorELNS0_4arch9wavefront6targetE0EEEvSF_,comdat
.Lfunc_end1695:
	.size	_ZN7rocprim17ROCPRIM_400000_NS6detail17trampoline_kernelINS0_14default_configENS1_38merge_sort_block_merge_config_selectorIbNS0_10empty_typeEEEZZNS1_27merge_sort_block_merge_implIS3_PbPS5_jNS1_19radix_merge_compareILb1ELb1EbNS0_19identity_decomposerEEEEE10hipError_tT0_T1_T2_jT3_P12ihipStream_tbPNSt15iterator_traitsISE_E10value_typeEPNSK_ISF_E10value_typeEPSG_NS1_7vsmem_tEENKUlT_SE_SF_SG_E_clIS8_S8_S9_S9_EESD_ST_SE_SF_SG_EUlST_E_NS1_11comp_targetILNS1_3genE3ELNS1_11target_archE908ELNS1_3gpuE7ELNS1_3repE0EEENS1_48merge_mergepath_partition_config_static_selectorELNS0_4arch9wavefront6targetE0EEEvSF_, .Lfunc_end1695-_ZN7rocprim17ROCPRIM_400000_NS6detail17trampoline_kernelINS0_14default_configENS1_38merge_sort_block_merge_config_selectorIbNS0_10empty_typeEEEZZNS1_27merge_sort_block_merge_implIS3_PbPS5_jNS1_19radix_merge_compareILb1ELb1EbNS0_19identity_decomposerEEEEE10hipError_tT0_T1_T2_jT3_P12ihipStream_tbPNSt15iterator_traitsISE_E10value_typeEPNSK_ISF_E10value_typeEPSG_NS1_7vsmem_tEENKUlT_SE_SF_SG_E_clIS8_S8_S9_S9_EESD_ST_SE_SF_SG_EUlST_E_NS1_11comp_targetILNS1_3genE3ELNS1_11target_archE908ELNS1_3gpuE7ELNS1_3repE0EEENS1_48merge_mergepath_partition_config_static_selectorELNS0_4arch9wavefront6targetE0EEEvSF_
                                        ; -- End function
	.set _ZN7rocprim17ROCPRIM_400000_NS6detail17trampoline_kernelINS0_14default_configENS1_38merge_sort_block_merge_config_selectorIbNS0_10empty_typeEEEZZNS1_27merge_sort_block_merge_implIS3_PbPS5_jNS1_19radix_merge_compareILb1ELb1EbNS0_19identity_decomposerEEEEE10hipError_tT0_T1_T2_jT3_P12ihipStream_tbPNSt15iterator_traitsISE_E10value_typeEPNSK_ISF_E10value_typeEPSG_NS1_7vsmem_tEENKUlT_SE_SF_SG_E_clIS8_S8_S9_S9_EESD_ST_SE_SF_SG_EUlST_E_NS1_11comp_targetILNS1_3genE3ELNS1_11target_archE908ELNS1_3gpuE7ELNS1_3repE0EEENS1_48merge_mergepath_partition_config_static_selectorELNS0_4arch9wavefront6targetE0EEEvSF_.num_vgpr, 0
	.set _ZN7rocprim17ROCPRIM_400000_NS6detail17trampoline_kernelINS0_14default_configENS1_38merge_sort_block_merge_config_selectorIbNS0_10empty_typeEEEZZNS1_27merge_sort_block_merge_implIS3_PbPS5_jNS1_19radix_merge_compareILb1ELb1EbNS0_19identity_decomposerEEEEE10hipError_tT0_T1_T2_jT3_P12ihipStream_tbPNSt15iterator_traitsISE_E10value_typeEPNSK_ISF_E10value_typeEPSG_NS1_7vsmem_tEENKUlT_SE_SF_SG_E_clIS8_S8_S9_S9_EESD_ST_SE_SF_SG_EUlST_E_NS1_11comp_targetILNS1_3genE3ELNS1_11target_archE908ELNS1_3gpuE7ELNS1_3repE0EEENS1_48merge_mergepath_partition_config_static_selectorELNS0_4arch9wavefront6targetE0EEEvSF_.num_agpr, 0
	.set _ZN7rocprim17ROCPRIM_400000_NS6detail17trampoline_kernelINS0_14default_configENS1_38merge_sort_block_merge_config_selectorIbNS0_10empty_typeEEEZZNS1_27merge_sort_block_merge_implIS3_PbPS5_jNS1_19radix_merge_compareILb1ELb1EbNS0_19identity_decomposerEEEEE10hipError_tT0_T1_T2_jT3_P12ihipStream_tbPNSt15iterator_traitsISE_E10value_typeEPNSK_ISF_E10value_typeEPSG_NS1_7vsmem_tEENKUlT_SE_SF_SG_E_clIS8_S8_S9_S9_EESD_ST_SE_SF_SG_EUlST_E_NS1_11comp_targetILNS1_3genE3ELNS1_11target_archE908ELNS1_3gpuE7ELNS1_3repE0EEENS1_48merge_mergepath_partition_config_static_selectorELNS0_4arch9wavefront6targetE0EEEvSF_.numbered_sgpr, 0
	.set _ZN7rocprim17ROCPRIM_400000_NS6detail17trampoline_kernelINS0_14default_configENS1_38merge_sort_block_merge_config_selectorIbNS0_10empty_typeEEEZZNS1_27merge_sort_block_merge_implIS3_PbPS5_jNS1_19radix_merge_compareILb1ELb1EbNS0_19identity_decomposerEEEEE10hipError_tT0_T1_T2_jT3_P12ihipStream_tbPNSt15iterator_traitsISE_E10value_typeEPNSK_ISF_E10value_typeEPSG_NS1_7vsmem_tEENKUlT_SE_SF_SG_E_clIS8_S8_S9_S9_EESD_ST_SE_SF_SG_EUlST_E_NS1_11comp_targetILNS1_3genE3ELNS1_11target_archE908ELNS1_3gpuE7ELNS1_3repE0EEENS1_48merge_mergepath_partition_config_static_selectorELNS0_4arch9wavefront6targetE0EEEvSF_.num_named_barrier, 0
	.set _ZN7rocprim17ROCPRIM_400000_NS6detail17trampoline_kernelINS0_14default_configENS1_38merge_sort_block_merge_config_selectorIbNS0_10empty_typeEEEZZNS1_27merge_sort_block_merge_implIS3_PbPS5_jNS1_19radix_merge_compareILb1ELb1EbNS0_19identity_decomposerEEEEE10hipError_tT0_T1_T2_jT3_P12ihipStream_tbPNSt15iterator_traitsISE_E10value_typeEPNSK_ISF_E10value_typeEPSG_NS1_7vsmem_tEENKUlT_SE_SF_SG_E_clIS8_S8_S9_S9_EESD_ST_SE_SF_SG_EUlST_E_NS1_11comp_targetILNS1_3genE3ELNS1_11target_archE908ELNS1_3gpuE7ELNS1_3repE0EEENS1_48merge_mergepath_partition_config_static_selectorELNS0_4arch9wavefront6targetE0EEEvSF_.private_seg_size, 0
	.set _ZN7rocprim17ROCPRIM_400000_NS6detail17trampoline_kernelINS0_14default_configENS1_38merge_sort_block_merge_config_selectorIbNS0_10empty_typeEEEZZNS1_27merge_sort_block_merge_implIS3_PbPS5_jNS1_19radix_merge_compareILb1ELb1EbNS0_19identity_decomposerEEEEE10hipError_tT0_T1_T2_jT3_P12ihipStream_tbPNSt15iterator_traitsISE_E10value_typeEPNSK_ISF_E10value_typeEPSG_NS1_7vsmem_tEENKUlT_SE_SF_SG_E_clIS8_S8_S9_S9_EESD_ST_SE_SF_SG_EUlST_E_NS1_11comp_targetILNS1_3genE3ELNS1_11target_archE908ELNS1_3gpuE7ELNS1_3repE0EEENS1_48merge_mergepath_partition_config_static_selectorELNS0_4arch9wavefront6targetE0EEEvSF_.uses_vcc, 0
	.set _ZN7rocprim17ROCPRIM_400000_NS6detail17trampoline_kernelINS0_14default_configENS1_38merge_sort_block_merge_config_selectorIbNS0_10empty_typeEEEZZNS1_27merge_sort_block_merge_implIS3_PbPS5_jNS1_19radix_merge_compareILb1ELb1EbNS0_19identity_decomposerEEEEE10hipError_tT0_T1_T2_jT3_P12ihipStream_tbPNSt15iterator_traitsISE_E10value_typeEPNSK_ISF_E10value_typeEPSG_NS1_7vsmem_tEENKUlT_SE_SF_SG_E_clIS8_S8_S9_S9_EESD_ST_SE_SF_SG_EUlST_E_NS1_11comp_targetILNS1_3genE3ELNS1_11target_archE908ELNS1_3gpuE7ELNS1_3repE0EEENS1_48merge_mergepath_partition_config_static_selectorELNS0_4arch9wavefront6targetE0EEEvSF_.uses_flat_scratch, 0
	.set _ZN7rocprim17ROCPRIM_400000_NS6detail17trampoline_kernelINS0_14default_configENS1_38merge_sort_block_merge_config_selectorIbNS0_10empty_typeEEEZZNS1_27merge_sort_block_merge_implIS3_PbPS5_jNS1_19radix_merge_compareILb1ELb1EbNS0_19identity_decomposerEEEEE10hipError_tT0_T1_T2_jT3_P12ihipStream_tbPNSt15iterator_traitsISE_E10value_typeEPNSK_ISF_E10value_typeEPSG_NS1_7vsmem_tEENKUlT_SE_SF_SG_E_clIS8_S8_S9_S9_EESD_ST_SE_SF_SG_EUlST_E_NS1_11comp_targetILNS1_3genE3ELNS1_11target_archE908ELNS1_3gpuE7ELNS1_3repE0EEENS1_48merge_mergepath_partition_config_static_selectorELNS0_4arch9wavefront6targetE0EEEvSF_.has_dyn_sized_stack, 0
	.set _ZN7rocprim17ROCPRIM_400000_NS6detail17trampoline_kernelINS0_14default_configENS1_38merge_sort_block_merge_config_selectorIbNS0_10empty_typeEEEZZNS1_27merge_sort_block_merge_implIS3_PbPS5_jNS1_19radix_merge_compareILb1ELb1EbNS0_19identity_decomposerEEEEE10hipError_tT0_T1_T2_jT3_P12ihipStream_tbPNSt15iterator_traitsISE_E10value_typeEPNSK_ISF_E10value_typeEPSG_NS1_7vsmem_tEENKUlT_SE_SF_SG_E_clIS8_S8_S9_S9_EESD_ST_SE_SF_SG_EUlST_E_NS1_11comp_targetILNS1_3genE3ELNS1_11target_archE908ELNS1_3gpuE7ELNS1_3repE0EEENS1_48merge_mergepath_partition_config_static_selectorELNS0_4arch9wavefront6targetE0EEEvSF_.has_recursion, 0
	.set _ZN7rocprim17ROCPRIM_400000_NS6detail17trampoline_kernelINS0_14default_configENS1_38merge_sort_block_merge_config_selectorIbNS0_10empty_typeEEEZZNS1_27merge_sort_block_merge_implIS3_PbPS5_jNS1_19radix_merge_compareILb1ELb1EbNS0_19identity_decomposerEEEEE10hipError_tT0_T1_T2_jT3_P12ihipStream_tbPNSt15iterator_traitsISE_E10value_typeEPNSK_ISF_E10value_typeEPSG_NS1_7vsmem_tEENKUlT_SE_SF_SG_E_clIS8_S8_S9_S9_EESD_ST_SE_SF_SG_EUlST_E_NS1_11comp_targetILNS1_3genE3ELNS1_11target_archE908ELNS1_3gpuE7ELNS1_3repE0EEENS1_48merge_mergepath_partition_config_static_selectorELNS0_4arch9wavefront6targetE0EEEvSF_.has_indirect_call, 0
	.section	.AMDGPU.csdata,"",@progbits
; Kernel info:
; codeLenInByte = 0
; TotalNumSgprs: 0
; NumVgprs: 0
; ScratchSize: 0
; MemoryBound: 0
; FloatMode: 240
; IeeeMode: 1
; LDSByteSize: 0 bytes/workgroup (compile time only)
; SGPRBlocks: 0
; VGPRBlocks: 0
; NumSGPRsForWavesPerEU: 1
; NumVGPRsForWavesPerEU: 1
; NamedBarCnt: 0
; Occupancy: 16
; WaveLimiterHint : 0
; COMPUTE_PGM_RSRC2:SCRATCH_EN: 0
; COMPUTE_PGM_RSRC2:USER_SGPR: 2
; COMPUTE_PGM_RSRC2:TRAP_HANDLER: 0
; COMPUTE_PGM_RSRC2:TGID_X_EN: 1
; COMPUTE_PGM_RSRC2:TGID_Y_EN: 0
; COMPUTE_PGM_RSRC2:TGID_Z_EN: 0
; COMPUTE_PGM_RSRC2:TIDIG_COMP_CNT: 0
	.section	.text._ZN7rocprim17ROCPRIM_400000_NS6detail17trampoline_kernelINS0_14default_configENS1_38merge_sort_block_merge_config_selectorIbNS0_10empty_typeEEEZZNS1_27merge_sort_block_merge_implIS3_PbPS5_jNS1_19radix_merge_compareILb1ELb1EbNS0_19identity_decomposerEEEEE10hipError_tT0_T1_T2_jT3_P12ihipStream_tbPNSt15iterator_traitsISE_E10value_typeEPNSK_ISF_E10value_typeEPSG_NS1_7vsmem_tEENKUlT_SE_SF_SG_E_clIS8_S8_S9_S9_EESD_ST_SE_SF_SG_EUlST_E_NS1_11comp_targetILNS1_3genE2ELNS1_11target_archE906ELNS1_3gpuE6ELNS1_3repE0EEENS1_48merge_mergepath_partition_config_static_selectorELNS0_4arch9wavefront6targetE0EEEvSF_,"axG",@progbits,_ZN7rocprim17ROCPRIM_400000_NS6detail17trampoline_kernelINS0_14default_configENS1_38merge_sort_block_merge_config_selectorIbNS0_10empty_typeEEEZZNS1_27merge_sort_block_merge_implIS3_PbPS5_jNS1_19radix_merge_compareILb1ELb1EbNS0_19identity_decomposerEEEEE10hipError_tT0_T1_T2_jT3_P12ihipStream_tbPNSt15iterator_traitsISE_E10value_typeEPNSK_ISF_E10value_typeEPSG_NS1_7vsmem_tEENKUlT_SE_SF_SG_E_clIS8_S8_S9_S9_EESD_ST_SE_SF_SG_EUlST_E_NS1_11comp_targetILNS1_3genE2ELNS1_11target_archE906ELNS1_3gpuE6ELNS1_3repE0EEENS1_48merge_mergepath_partition_config_static_selectorELNS0_4arch9wavefront6targetE0EEEvSF_,comdat
	.protected	_ZN7rocprim17ROCPRIM_400000_NS6detail17trampoline_kernelINS0_14default_configENS1_38merge_sort_block_merge_config_selectorIbNS0_10empty_typeEEEZZNS1_27merge_sort_block_merge_implIS3_PbPS5_jNS1_19radix_merge_compareILb1ELb1EbNS0_19identity_decomposerEEEEE10hipError_tT0_T1_T2_jT3_P12ihipStream_tbPNSt15iterator_traitsISE_E10value_typeEPNSK_ISF_E10value_typeEPSG_NS1_7vsmem_tEENKUlT_SE_SF_SG_E_clIS8_S8_S9_S9_EESD_ST_SE_SF_SG_EUlST_E_NS1_11comp_targetILNS1_3genE2ELNS1_11target_archE906ELNS1_3gpuE6ELNS1_3repE0EEENS1_48merge_mergepath_partition_config_static_selectorELNS0_4arch9wavefront6targetE0EEEvSF_ ; -- Begin function _ZN7rocprim17ROCPRIM_400000_NS6detail17trampoline_kernelINS0_14default_configENS1_38merge_sort_block_merge_config_selectorIbNS0_10empty_typeEEEZZNS1_27merge_sort_block_merge_implIS3_PbPS5_jNS1_19radix_merge_compareILb1ELb1EbNS0_19identity_decomposerEEEEE10hipError_tT0_T1_T2_jT3_P12ihipStream_tbPNSt15iterator_traitsISE_E10value_typeEPNSK_ISF_E10value_typeEPSG_NS1_7vsmem_tEENKUlT_SE_SF_SG_E_clIS8_S8_S9_S9_EESD_ST_SE_SF_SG_EUlST_E_NS1_11comp_targetILNS1_3genE2ELNS1_11target_archE906ELNS1_3gpuE6ELNS1_3repE0EEENS1_48merge_mergepath_partition_config_static_selectorELNS0_4arch9wavefront6targetE0EEEvSF_
	.globl	_ZN7rocprim17ROCPRIM_400000_NS6detail17trampoline_kernelINS0_14default_configENS1_38merge_sort_block_merge_config_selectorIbNS0_10empty_typeEEEZZNS1_27merge_sort_block_merge_implIS3_PbPS5_jNS1_19radix_merge_compareILb1ELb1EbNS0_19identity_decomposerEEEEE10hipError_tT0_T1_T2_jT3_P12ihipStream_tbPNSt15iterator_traitsISE_E10value_typeEPNSK_ISF_E10value_typeEPSG_NS1_7vsmem_tEENKUlT_SE_SF_SG_E_clIS8_S8_S9_S9_EESD_ST_SE_SF_SG_EUlST_E_NS1_11comp_targetILNS1_3genE2ELNS1_11target_archE906ELNS1_3gpuE6ELNS1_3repE0EEENS1_48merge_mergepath_partition_config_static_selectorELNS0_4arch9wavefront6targetE0EEEvSF_
	.p2align	8
	.type	_ZN7rocprim17ROCPRIM_400000_NS6detail17trampoline_kernelINS0_14default_configENS1_38merge_sort_block_merge_config_selectorIbNS0_10empty_typeEEEZZNS1_27merge_sort_block_merge_implIS3_PbPS5_jNS1_19radix_merge_compareILb1ELb1EbNS0_19identity_decomposerEEEEE10hipError_tT0_T1_T2_jT3_P12ihipStream_tbPNSt15iterator_traitsISE_E10value_typeEPNSK_ISF_E10value_typeEPSG_NS1_7vsmem_tEENKUlT_SE_SF_SG_E_clIS8_S8_S9_S9_EESD_ST_SE_SF_SG_EUlST_E_NS1_11comp_targetILNS1_3genE2ELNS1_11target_archE906ELNS1_3gpuE6ELNS1_3repE0EEENS1_48merge_mergepath_partition_config_static_selectorELNS0_4arch9wavefront6targetE0EEEvSF_,@function
_ZN7rocprim17ROCPRIM_400000_NS6detail17trampoline_kernelINS0_14default_configENS1_38merge_sort_block_merge_config_selectorIbNS0_10empty_typeEEEZZNS1_27merge_sort_block_merge_implIS3_PbPS5_jNS1_19radix_merge_compareILb1ELb1EbNS0_19identity_decomposerEEEEE10hipError_tT0_T1_T2_jT3_P12ihipStream_tbPNSt15iterator_traitsISE_E10value_typeEPNSK_ISF_E10value_typeEPSG_NS1_7vsmem_tEENKUlT_SE_SF_SG_E_clIS8_S8_S9_S9_EESD_ST_SE_SF_SG_EUlST_E_NS1_11comp_targetILNS1_3genE2ELNS1_11target_archE906ELNS1_3gpuE6ELNS1_3repE0EEENS1_48merge_mergepath_partition_config_static_selectorELNS0_4arch9wavefront6targetE0EEEvSF_: ; @_ZN7rocprim17ROCPRIM_400000_NS6detail17trampoline_kernelINS0_14default_configENS1_38merge_sort_block_merge_config_selectorIbNS0_10empty_typeEEEZZNS1_27merge_sort_block_merge_implIS3_PbPS5_jNS1_19radix_merge_compareILb1ELb1EbNS0_19identity_decomposerEEEEE10hipError_tT0_T1_T2_jT3_P12ihipStream_tbPNSt15iterator_traitsISE_E10value_typeEPNSK_ISF_E10value_typeEPSG_NS1_7vsmem_tEENKUlT_SE_SF_SG_E_clIS8_S8_S9_S9_EESD_ST_SE_SF_SG_EUlST_E_NS1_11comp_targetILNS1_3genE2ELNS1_11target_archE906ELNS1_3gpuE6ELNS1_3repE0EEENS1_48merge_mergepath_partition_config_static_selectorELNS0_4arch9wavefront6targetE0EEEvSF_
; %bb.0:
	.section	.rodata,"a",@progbits
	.p2align	6, 0x0
	.amdhsa_kernel _ZN7rocprim17ROCPRIM_400000_NS6detail17trampoline_kernelINS0_14default_configENS1_38merge_sort_block_merge_config_selectorIbNS0_10empty_typeEEEZZNS1_27merge_sort_block_merge_implIS3_PbPS5_jNS1_19radix_merge_compareILb1ELb1EbNS0_19identity_decomposerEEEEE10hipError_tT0_T1_T2_jT3_P12ihipStream_tbPNSt15iterator_traitsISE_E10value_typeEPNSK_ISF_E10value_typeEPSG_NS1_7vsmem_tEENKUlT_SE_SF_SG_E_clIS8_S8_S9_S9_EESD_ST_SE_SF_SG_EUlST_E_NS1_11comp_targetILNS1_3genE2ELNS1_11target_archE906ELNS1_3gpuE6ELNS1_3repE0EEENS1_48merge_mergepath_partition_config_static_selectorELNS0_4arch9wavefront6targetE0EEEvSF_
		.amdhsa_group_segment_fixed_size 0
		.amdhsa_private_segment_fixed_size 0
		.amdhsa_kernarg_size 40
		.amdhsa_user_sgpr_count 2
		.amdhsa_user_sgpr_dispatch_ptr 0
		.amdhsa_user_sgpr_queue_ptr 0
		.amdhsa_user_sgpr_kernarg_segment_ptr 1
		.amdhsa_user_sgpr_dispatch_id 0
		.amdhsa_user_sgpr_kernarg_preload_length 0
		.amdhsa_user_sgpr_kernarg_preload_offset 0
		.amdhsa_user_sgpr_private_segment_size 0
		.amdhsa_wavefront_size32 1
		.amdhsa_uses_dynamic_stack 0
		.amdhsa_enable_private_segment 0
		.amdhsa_system_sgpr_workgroup_id_x 1
		.amdhsa_system_sgpr_workgroup_id_y 0
		.amdhsa_system_sgpr_workgroup_id_z 0
		.amdhsa_system_sgpr_workgroup_info 0
		.amdhsa_system_vgpr_workitem_id 0
		.amdhsa_next_free_vgpr 1
		.amdhsa_next_free_sgpr 1
		.amdhsa_named_barrier_count 0
		.amdhsa_reserve_vcc 0
		.amdhsa_float_round_mode_32 0
		.amdhsa_float_round_mode_16_64 0
		.amdhsa_float_denorm_mode_32 3
		.amdhsa_float_denorm_mode_16_64 3
		.amdhsa_fp16_overflow 0
		.amdhsa_memory_ordered 1
		.amdhsa_forward_progress 1
		.amdhsa_inst_pref_size 0
		.amdhsa_round_robin_scheduling 0
		.amdhsa_exception_fp_ieee_invalid_op 0
		.amdhsa_exception_fp_denorm_src 0
		.amdhsa_exception_fp_ieee_div_zero 0
		.amdhsa_exception_fp_ieee_overflow 0
		.amdhsa_exception_fp_ieee_underflow 0
		.amdhsa_exception_fp_ieee_inexact 0
		.amdhsa_exception_int_div_zero 0
	.end_amdhsa_kernel
	.section	.text._ZN7rocprim17ROCPRIM_400000_NS6detail17trampoline_kernelINS0_14default_configENS1_38merge_sort_block_merge_config_selectorIbNS0_10empty_typeEEEZZNS1_27merge_sort_block_merge_implIS3_PbPS5_jNS1_19radix_merge_compareILb1ELb1EbNS0_19identity_decomposerEEEEE10hipError_tT0_T1_T2_jT3_P12ihipStream_tbPNSt15iterator_traitsISE_E10value_typeEPNSK_ISF_E10value_typeEPSG_NS1_7vsmem_tEENKUlT_SE_SF_SG_E_clIS8_S8_S9_S9_EESD_ST_SE_SF_SG_EUlST_E_NS1_11comp_targetILNS1_3genE2ELNS1_11target_archE906ELNS1_3gpuE6ELNS1_3repE0EEENS1_48merge_mergepath_partition_config_static_selectorELNS0_4arch9wavefront6targetE0EEEvSF_,"axG",@progbits,_ZN7rocprim17ROCPRIM_400000_NS6detail17trampoline_kernelINS0_14default_configENS1_38merge_sort_block_merge_config_selectorIbNS0_10empty_typeEEEZZNS1_27merge_sort_block_merge_implIS3_PbPS5_jNS1_19radix_merge_compareILb1ELb1EbNS0_19identity_decomposerEEEEE10hipError_tT0_T1_T2_jT3_P12ihipStream_tbPNSt15iterator_traitsISE_E10value_typeEPNSK_ISF_E10value_typeEPSG_NS1_7vsmem_tEENKUlT_SE_SF_SG_E_clIS8_S8_S9_S9_EESD_ST_SE_SF_SG_EUlST_E_NS1_11comp_targetILNS1_3genE2ELNS1_11target_archE906ELNS1_3gpuE6ELNS1_3repE0EEENS1_48merge_mergepath_partition_config_static_selectorELNS0_4arch9wavefront6targetE0EEEvSF_,comdat
.Lfunc_end1696:
	.size	_ZN7rocprim17ROCPRIM_400000_NS6detail17trampoline_kernelINS0_14default_configENS1_38merge_sort_block_merge_config_selectorIbNS0_10empty_typeEEEZZNS1_27merge_sort_block_merge_implIS3_PbPS5_jNS1_19radix_merge_compareILb1ELb1EbNS0_19identity_decomposerEEEEE10hipError_tT0_T1_T2_jT3_P12ihipStream_tbPNSt15iterator_traitsISE_E10value_typeEPNSK_ISF_E10value_typeEPSG_NS1_7vsmem_tEENKUlT_SE_SF_SG_E_clIS8_S8_S9_S9_EESD_ST_SE_SF_SG_EUlST_E_NS1_11comp_targetILNS1_3genE2ELNS1_11target_archE906ELNS1_3gpuE6ELNS1_3repE0EEENS1_48merge_mergepath_partition_config_static_selectorELNS0_4arch9wavefront6targetE0EEEvSF_, .Lfunc_end1696-_ZN7rocprim17ROCPRIM_400000_NS6detail17trampoline_kernelINS0_14default_configENS1_38merge_sort_block_merge_config_selectorIbNS0_10empty_typeEEEZZNS1_27merge_sort_block_merge_implIS3_PbPS5_jNS1_19radix_merge_compareILb1ELb1EbNS0_19identity_decomposerEEEEE10hipError_tT0_T1_T2_jT3_P12ihipStream_tbPNSt15iterator_traitsISE_E10value_typeEPNSK_ISF_E10value_typeEPSG_NS1_7vsmem_tEENKUlT_SE_SF_SG_E_clIS8_S8_S9_S9_EESD_ST_SE_SF_SG_EUlST_E_NS1_11comp_targetILNS1_3genE2ELNS1_11target_archE906ELNS1_3gpuE6ELNS1_3repE0EEENS1_48merge_mergepath_partition_config_static_selectorELNS0_4arch9wavefront6targetE0EEEvSF_
                                        ; -- End function
	.set _ZN7rocprim17ROCPRIM_400000_NS6detail17trampoline_kernelINS0_14default_configENS1_38merge_sort_block_merge_config_selectorIbNS0_10empty_typeEEEZZNS1_27merge_sort_block_merge_implIS3_PbPS5_jNS1_19radix_merge_compareILb1ELb1EbNS0_19identity_decomposerEEEEE10hipError_tT0_T1_T2_jT3_P12ihipStream_tbPNSt15iterator_traitsISE_E10value_typeEPNSK_ISF_E10value_typeEPSG_NS1_7vsmem_tEENKUlT_SE_SF_SG_E_clIS8_S8_S9_S9_EESD_ST_SE_SF_SG_EUlST_E_NS1_11comp_targetILNS1_3genE2ELNS1_11target_archE906ELNS1_3gpuE6ELNS1_3repE0EEENS1_48merge_mergepath_partition_config_static_selectorELNS0_4arch9wavefront6targetE0EEEvSF_.num_vgpr, 0
	.set _ZN7rocprim17ROCPRIM_400000_NS6detail17trampoline_kernelINS0_14default_configENS1_38merge_sort_block_merge_config_selectorIbNS0_10empty_typeEEEZZNS1_27merge_sort_block_merge_implIS3_PbPS5_jNS1_19radix_merge_compareILb1ELb1EbNS0_19identity_decomposerEEEEE10hipError_tT0_T1_T2_jT3_P12ihipStream_tbPNSt15iterator_traitsISE_E10value_typeEPNSK_ISF_E10value_typeEPSG_NS1_7vsmem_tEENKUlT_SE_SF_SG_E_clIS8_S8_S9_S9_EESD_ST_SE_SF_SG_EUlST_E_NS1_11comp_targetILNS1_3genE2ELNS1_11target_archE906ELNS1_3gpuE6ELNS1_3repE0EEENS1_48merge_mergepath_partition_config_static_selectorELNS0_4arch9wavefront6targetE0EEEvSF_.num_agpr, 0
	.set _ZN7rocprim17ROCPRIM_400000_NS6detail17trampoline_kernelINS0_14default_configENS1_38merge_sort_block_merge_config_selectorIbNS0_10empty_typeEEEZZNS1_27merge_sort_block_merge_implIS3_PbPS5_jNS1_19radix_merge_compareILb1ELb1EbNS0_19identity_decomposerEEEEE10hipError_tT0_T1_T2_jT3_P12ihipStream_tbPNSt15iterator_traitsISE_E10value_typeEPNSK_ISF_E10value_typeEPSG_NS1_7vsmem_tEENKUlT_SE_SF_SG_E_clIS8_S8_S9_S9_EESD_ST_SE_SF_SG_EUlST_E_NS1_11comp_targetILNS1_3genE2ELNS1_11target_archE906ELNS1_3gpuE6ELNS1_3repE0EEENS1_48merge_mergepath_partition_config_static_selectorELNS0_4arch9wavefront6targetE0EEEvSF_.numbered_sgpr, 0
	.set _ZN7rocprim17ROCPRIM_400000_NS6detail17trampoline_kernelINS0_14default_configENS1_38merge_sort_block_merge_config_selectorIbNS0_10empty_typeEEEZZNS1_27merge_sort_block_merge_implIS3_PbPS5_jNS1_19radix_merge_compareILb1ELb1EbNS0_19identity_decomposerEEEEE10hipError_tT0_T1_T2_jT3_P12ihipStream_tbPNSt15iterator_traitsISE_E10value_typeEPNSK_ISF_E10value_typeEPSG_NS1_7vsmem_tEENKUlT_SE_SF_SG_E_clIS8_S8_S9_S9_EESD_ST_SE_SF_SG_EUlST_E_NS1_11comp_targetILNS1_3genE2ELNS1_11target_archE906ELNS1_3gpuE6ELNS1_3repE0EEENS1_48merge_mergepath_partition_config_static_selectorELNS0_4arch9wavefront6targetE0EEEvSF_.num_named_barrier, 0
	.set _ZN7rocprim17ROCPRIM_400000_NS6detail17trampoline_kernelINS0_14default_configENS1_38merge_sort_block_merge_config_selectorIbNS0_10empty_typeEEEZZNS1_27merge_sort_block_merge_implIS3_PbPS5_jNS1_19radix_merge_compareILb1ELb1EbNS0_19identity_decomposerEEEEE10hipError_tT0_T1_T2_jT3_P12ihipStream_tbPNSt15iterator_traitsISE_E10value_typeEPNSK_ISF_E10value_typeEPSG_NS1_7vsmem_tEENKUlT_SE_SF_SG_E_clIS8_S8_S9_S9_EESD_ST_SE_SF_SG_EUlST_E_NS1_11comp_targetILNS1_3genE2ELNS1_11target_archE906ELNS1_3gpuE6ELNS1_3repE0EEENS1_48merge_mergepath_partition_config_static_selectorELNS0_4arch9wavefront6targetE0EEEvSF_.private_seg_size, 0
	.set _ZN7rocprim17ROCPRIM_400000_NS6detail17trampoline_kernelINS0_14default_configENS1_38merge_sort_block_merge_config_selectorIbNS0_10empty_typeEEEZZNS1_27merge_sort_block_merge_implIS3_PbPS5_jNS1_19radix_merge_compareILb1ELb1EbNS0_19identity_decomposerEEEEE10hipError_tT0_T1_T2_jT3_P12ihipStream_tbPNSt15iterator_traitsISE_E10value_typeEPNSK_ISF_E10value_typeEPSG_NS1_7vsmem_tEENKUlT_SE_SF_SG_E_clIS8_S8_S9_S9_EESD_ST_SE_SF_SG_EUlST_E_NS1_11comp_targetILNS1_3genE2ELNS1_11target_archE906ELNS1_3gpuE6ELNS1_3repE0EEENS1_48merge_mergepath_partition_config_static_selectorELNS0_4arch9wavefront6targetE0EEEvSF_.uses_vcc, 0
	.set _ZN7rocprim17ROCPRIM_400000_NS6detail17trampoline_kernelINS0_14default_configENS1_38merge_sort_block_merge_config_selectorIbNS0_10empty_typeEEEZZNS1_27merge_sort_block_merge_implIS3_PbPS5_jNS1_19radix_merge_compareILb1ELb1EbNS0_19identity_decomposerEEEEE10hipError_tT0_T1_T2_jT3_P12ihipStream_tbPNSt15iterator_traitsISE_E10value_typeEPNSK_ISF_E10value_typeEPSG_NS1_7vsmem_tEENKUlT_SE_SF_SG_E_clIS8_S8_S9_S9_EESD_ST_SE_SF_SG_EUlST_E_NS1_11comp_targetILNS1_3genE2ELNS1_11target_archE906ELNS1_3gpuE6ELNS1_3repE0EEENS1_48merge_mergepath_partition_config_static_selectorELNS0_4arch9wavefront6targetE0EEEvSF_.uses_flat_scratch, 0
	.set _ZN7rocprim17ROCPRIM_400000_NS6detail17trampoline_kernelINS0_14default_configENS1_38merge_sort_block_merge_config_selectorIbNS0_10empty_typeEEEZZNS1_27merge_sort_block_merge_implIS3_PbPS5_jNS1_19radix_merge_compareILb1ELb1EbNS0_19identity_decomposerEEEEE10hipError_tT0_T1_T2_jT3_P12ihipStream_tbPNSt15iterator_traitsISE_E10value_typeEPNSK_ISF_E10value_typeEPSG_NS1_7vsmem_tEENKUlT_SE_SF_SG_E_clIS8_S8_S9_S9_EESD_ST_SE_SF_SG_EUlST_E_NS1_11comp_targetILNS1_3genE2ELNS1_11target_archE906ELNS1_3gpuE6ELNS1_3repE0EEENS1_48merge_mergepath_partition_config_static_selectorELNS0_4arch9wavefront6targetE0EEEvSF_.has_dyn_sized_stack, 0
	.set _ZN7rocprim17ROCPRIM_400000_NS6detail17trampoline_kernelINS0_14default_configENS1_38merge_sort_block_merge_config_selectorIbNS0_10empty_typeEEEZZNS1_27merge_sort_block_merge_implIS3_PbPS5_jNS1_19radix_merge_compareILb1ELb1EbNS0_19identity_decomposerEEEEE10hipError_tT0_T1_T2_jT3_P12ihipStream_tbPNSt15iterator_traitsISE_E10value_typeEPNSK_ISF_E10value_typeEPSG_NS1_7vsmem_tEENKUlT_SE_SF_SG_E_clIS8_S8_S9_S9_EESD_ST_SE_SF_SG_EUlST_E_NS1_11comp_targetILNS1_3genE2ELNS1_11target_archE906ELNS1_3gpuE6ELNS1_3repE0EEENS1_48merge_mergepath_partition_config_static_selectorELNS0_4arch9wavefront6targetE0EEEvSF_.has_recursion, 0
	.set _ZN7rocprim17ROCPRIM_400000_NS6detail17trampoline_kernelINS0_14default_configENS1_38merge_sort_block_merge_config_selectorIbNS0_10empty_typeEEEZZNS1_27merge_sort_block_merge_implIS3_PbPS5_jNS1_19radix_merge_compareILb1ELb1EbNS0_19identity_decomposerEEEEE10hipError_tT0_T1_T2_jT3_P12ihipStream_tbPNSt15iterator_traitsISE_E10value_typeEPNSK_ISF_E10value_typeEPSG_NS1_7vsmem_tEENKUlT_SE_SF_SG_E_clIS8_S8_S9_S9_EESD_ST_SE_SF_SG_EUlST_E_NS1_11comp_targetILNS1_3genE2ELNS1_11target_archE906ELNS1_3gpuE6ELNS1_3repE0EEENS1_48merge_mergepath_partition_config_static_selectorELNS0_4arch9wavefront6targetE0EEEvSF_.has_indirect_call, 0
	.section	.AMDGPU.csdata,"",@progbits
; Kernel info:
; codeLenInByte = 0
; TotalNumSgprs: 0
; NumVgprs: 0
; ScratchSize: 0
; MemoryBound: 0
; FloatMode: 240
; IeeeMode: 1
; LDSByteSize: 0 bytes/workgroup (compile time only)
; SGPRBlocks: 0
; VGPRBlocks: 0
; NumSGPRsForWavesPerEU: 1
; NumVGPRsForWavesPerEU: 1
; NamedBarCnt: 0
; Occupancy: 16
; WaveLimiterHint : 0
; COMPUTE_PGM_RSRC2:SCRATCH_EN: 0
; COMPUTE_PGM_RSRC2:USER_SGPR: 2
; COMPUTE_PGM_RSRC2:TRAP_HANDLER: 0
; COMPUTE_PGM_RSRC2:TGID_X_EN: 1
; COMPUTE_PGM_RSRC2:TGID_Y_EN: 0
; COMPUTE_PGM_RSRC2:TGID_Z_EN: 0
; COMPUTE_PGM_RSRC2:TIDIG_COMP_CNT: 0
	.section	.text._ZN7rocprim17ROCPRIM_400000_NS6detail17trampoline_kernelINS0_14default_configENS1_38merge_sort_block_merge_config_selectorIbNS0_10empty_typeEEEZZNS1_27merge_sort_block_merge_implIS3_PbPS5_jNS1_19radix_merge_compareILb1ELb1EbNS0_19identity_decomposerEEEEE10hipError_tT0_T1_T2_jT3_P12ihipStream_tbPNSt15iterator_traitsISE_E10value_typeEPNSK_ISF_E10value_typeEPSG_NS1_7vsmem_tEENKUlT_SE_SF_SG_E_clIS8_S8_S9_S9_EESD_ST_SE_SF_SG_EUlST_E_NS1_11comp_targetILNS1_3genE9ELNS1_11target_archE1100ELNS1_3gpuE3ELNS1_3repE0EEENS1_48merge_mergepath_partition_config_static_selectorELNS0_4arch9wavefront6targetE0EEEvSF_,"axG",@progbits,_ZN7rocprim17ROCPRIM_400000_NS6detail17trampoline_kernelINS0_14default_configENS1_38merge_sort_block_merge_config_selectorIbNS0_10empty_typeEEEZZNS1_27merge_sort_block_merge_implIS3_PbPS5_jNS1_19radix_merge_compareILb1ELb1EbNS0_19identity_decomposerEEEEE10hipError_tT0_T1_T2_jT3_P12ihipStream_tbPNSt15iterator_traitsISE_E10value_typeEPNSK_ISF_E10value_typeEPSG_NS1_7vsmem_tEENKUlT_SE_SF_SG_E_clIS8_S8_S9_S9_EESD_ST_SE_SF_SG_EUlST_E_NS1_11comp_targetILNS1_3genE9ELNS1_11target_archE1100ELNS1_3gpuE3ELNS1_3repE0EEENS1_48merge_mergepath_partition_config_static_selectorELNS0_4arch9wavefront6targetE0EEEvSF_,comdat
	.protected	_ZN7rocprim17ROCPRIM_400000_NS6detail17trampoline_kernelINS0_14default_configENS1_38merge_sort_block_merge_config_selectorIbNS0_10empty_typeEEEZZNS1_27merge_sort_block_merge_implIS3_PbPS5_jNS1_19radix_merge_compareILb1ELb1EbNS0_19identity_decomposerEEEEE10hipError_tT0_T1_T2_jT3_P12ihipStream_tbPNSt15iterator_traitsISE_E10value_typeEPNSK_ISF_E10value_typeEPSG_NS1_7vsmem_tEENKUlT_SE_SF_SG_E_clIS8_S8_S9_S9_EESD_ST_SE_SF_SG_EUlST_E_NS1_11comp_targetILNS1_3genE9ELNS1_11target_archE1100ELNS1_3gpuE3ELNS1_3repE0EEENS1_48merge_mergepath_partition_config_static_selectorELNS0_4arch9wavefront6targetE0EEEvSF_ ; -- Begin function _ZN7rocprim17ROCPRIM_400000_NS6detail17trampoline_kernelINS0_14default_configENS1_38merge_sort_block_merge_config_selectorIbNS0_10empty_typeEEEZZNS1_27merge_sort_block_merge_implIS3_PbPS5_jNS1_19radix_merge_compareILb1ELb1EbNS0_19identity_decomposerEEEEE10hipError_tT0_T1_T2_jT3_P12ihipStream_tbPNSt15iterator_traitsISE_E10value_typeEPNSK_ISF_E10value_typeEPSG_NS1_7vsmem_tEENKUlT_SE_SF_SG_E_clIS8_S8_S9_S9_EESD_ST_SE_SF_SG_EUlST_E_NS1_11comp_targetILNS1_3genE9ELNS1_11target_archE1100ELNS1_3gpuE3ELNS1_3repE0EEENS1_48merge_mergepath_partition_config_static_selectorELNS0_4arch9wavefront6targetE0EEEvSF_
	.globl	_ZN7rocprim17ROCPRIM_400000_NS6detail17trampoline_kernelINS0_14default_configENS1_38merge_sort_block_merge_config_selectorIbNS0_10empty_typeEEEZZNS1_27merge_sort_block_merge_implIS3_PbPS5_jNS1_19radix_merge_compareILb1ELb1EbNS0_19identity_decomposerEEEEE10hipError_tT0_T1_T2_jT3_P12ihipStream_tbPNSt15iterator_traitsISE_E10value_typeEPNSK_ISF_E10value_typeEPSG_NS1_7vsmem_tEENKUlT_SE_SF_SG_E_clIS8_S8_S9_S9_EESD_ST_SE_SF_SG_EUlST_E_NS1_11comp_targetILNS1_3genE9ELNS1_11target_archE1100ELNS1_3gpuE3ELNS1_3repE0EEENS1_48merge_mergepath_partition_config_static_selectorELNS0_4arch9wavefront6targetE0EEEvSF_
	.p2align	8
	.type	_ZN7rocprim17ROCPRIM_400000_NS6detail17trampoline_kernelINS0_14default_configENS1_38merge_sort_block_merge_config_selectorIbNS0_10empty_typeEEEZZNS1_27merge_sort_block_merge_implIS3_PbPS5_jNS1_19radix_merge_compareILb1ELb1EbNS0_19identity_decomposerEEEEE10hipError_tT0_T1_T2_jT3_P12ihipStream_tbPNSt15iterator_traitsISE_E10value_typeEPNSK_ISF_E10value_typeEPSG_NS1_7vsmem_tEENKUlT_SE_SF_SG_E_clIS8_S8_S9_S9_EESD_ST_SE_SF_SG_EUlST_E_NS1_11comp_targetILNS1_3genE9ELNS1_11target_archE1100ELNS1_3gpuE3ELNS1_3repE0EEENS1_48merge_mergepath_partition_config_static_selectorELNS0_4arch9wavefront6targetE0EEEvSF_,@function
_ZN7rocprim17ROCPRIM_400000_NS6detail17trampoline_kernelINS0_14default_configENS1_38merge_sort_block_merge_config_selectorIbNS0_10empty_typeEEEZZNS1_27merge_sort_block_merge_implIS3_PbPS5_jNS1_19radix_merge_compareILb1ELb1EbNS0_19identity_decomposerEEEEE10hipError_tT0_T1_T2_jT3_P12ihipStream_tbPNSt15iterator_traitsISE_E10value_typeEPNSK_ISF_E10value_typeEPSG_NS1_7vsmem_tEENKUlT_SE_SF_SG_E_clIS8_S8_S9_S9_EESD_ST_SE_SF_SG_EUlST_E_NS1_11comp_targetILNS1_3genE9ELNS1_11target_archE1100ELNS1_3gpuE3ELNS1_3repE0EEENS1_48merge_mergepath_partition_config_static_selectorELNS0_4arch9wavefront6targetE0EEEvSF_: ; @_ZN7rocprim17ROCPRIM_400000_NS6detail17trampoline_kernelINS0_14default_configENS1_38merge_sort_block_merge_config_selectorIbNS0_10empty_typeEEEZZNS1_27merge_sort_block_merge_implIS3_PbPS5_jNS1_19radix_merge_compareILb1ELb1EbNS0_19identity_decomposerEEEEE10hipError_tT0_T1_T2_jT3_P12ihipStream_tbPNSt15iterator_traitsISE_E10value_typeEPNSK_ISF_E10value_typeEPSG_NS1_7vsmem_tEENKUlT_SE_SF_SG_E_clIS8_S8_S9_S9_EESD_ST_SE_SF_SG_EUlST_E_NS1_11comp_targetILNS1_3genE9ELNS1_11target_archE1100ELNS1_3gpuE3ELNS1_3repE0EEENS1_48merge_mergepath_partition_config_static_selectorELNS0_4arch9wavefront6targetE0EEEvSF_
; %bb.0:
	.section	.rodata,"a",@progbits
	.p2align	6, 0x0
	.amdhsa_kernel _ZN7rocprim17ROCPRIM_400000_NS6detail17trampoline_kernelINS0_14default_configENS1_38merge_sort_block_merge_config_selectorIbNS0_10empty_typeEEEZZNS1_27merge_sort_block_merge_implIS3_PbPS5_jNS1_19radix_merge_compareILb1ELb1EbNS0_19identity_decomposerEEEEE10hipError_tT0_T1_T2_jT3_P12ihipStream_tbPNSt15iterator_traitsISE_E10value_typeEPNSK_ISF_E10value_typeEPSG_NS1_7vsmem_tEENKUlT_SE_SF_SG_E_clIS8_S8_S9_S9_EESD_ST_SE_SF_SG_EUlST_E_NS1_11comp_targetILNS1_3genE9ELNS1_11target_archE1100ELNS1_3gpuE3ELNS1_3repE0EEENS1_48merge_mergepath_partition_config_static_selectorELNS0_4arch9wavefront6targetE0EEEvSF_
		.amdhsa_group_segment_fixed_size 0
		.amdhsa_private_segment_fixed_size 0
		.amdhsa_kernarg_size 40
		.amdhsa_user_sgpr_count 2
		.amdhsa_user_sgpr_dispatch_ptr 0
		.amdhsa_user_sgpr_queue_ptr 0
		.amdhsa_user_sgpr_kernarg_segment_ptr 1
		.amdhsa_user_sgpr_dispatch_id 0
		.amdhsa_user_sgpr_kernarg_preload_length 0
		.amdhsa_user_sgpr_kernarg_preload_offset 0
		.amdhsa_user_sgpr_private_segment_size 0
		.amdhsa_wavefront_size32 1
		.amdhsa_uses_dynamic_stack 0
		.amdhsa_enable_private_segment 0
		.amdhsa_system_sgpr_workgroup_id_x 1
		.amdhsa_system_sgpr_workgroup_id_y 0
		.amdhsa_system_sgpr_workgroup_id_z 0
		.amdhsa_system_sgpr_workgroup_info 0
		.amdhsa_system_vgpr_workitem_id 0
		.amdhsa_next_free_vgpr 1
		.amdhsa_next_free_sgpr 1
		.amdhsa_named_barrier_count 0
		.amdhsa_reserve_vcc 0
		.amdhsa_float_round_mode_32 0
		.amdhsa_float_round_mode_16_64 0
		.amdhsa_float_denorm_mode_32 3
		.amdhsa_float_denorm_mode_16_64 3
		.amdhsa_fp16_overflow 0
		.amdhsa_memory_ordered 1
		.amdhsa_forward_progress 1
		.amdhsa_inst_pref_size 0
		.amdhsa_round_robin_scheduling 0
		.amdhsa_exception_fp_ieee_invalid_op 0
		.amdhsa_exception_fp_denorm_src 0
		.amdhsa_exception_fp_ieee_div_zero 0
		.amdhsa_exception_fp_ieee_overflow 0
		.amdhsa_exception_fp_ieee_underflow 0
		.amdhsa_exception_fp_ieee_inexact 0
		.amdhsa_exception_int_div_zero 0
	.end_amdhsa_kernel
	.section	.text._ZN7rocprim17ROCPRIM_400000_NS6detail17trampoline_kernelINS0_14default_configENS1_38merge_sort_block_merge_config_selectorIbNS0_10empty_typeEEEZZNS1_27merge_sort_block_merge_implIS3_PbPS5_jNS1_19radix_merge_compareILb1ELb1EbNS0_19identity_decomposerEEEEE10hipError_tT0_T1_T2_jT3_P12ihipStream_tbPNSt15iterator_traitsISE_E10value_typeEPNSK_ISF_E10value_typeEPSG_NS1_7vsmem_tEENKUlT_SE_SF_SG_E_clIS8_S8_S9_S9_EESD_ST_SE_SF_SG_EUlST_E_NS1_11comp_targetILNS1_3genE9ELNS1_11target_archE1100ELNS1_3gpuE3ELNS1_3repE0EEENS1_48merge_mergepath_partition_config_static_selectorELNS0_4arch9wavefront6targetE0EEEvSF_,"axG",@progbits,_ZN7rocprim17ROCPRIM_400000_NS6detail17trampoline_kernelINS0_14default_configENS1_38merge_sort_block_merge_config_selectorIbNS0_10empty_typeEEEZZNS1_27merge_sort_block_merge_implIS3_PbPS5_jNS1_19radix_merge_compareILb1ELb1EbNS0_19identity_decomposerEEEEE10hipError_tT0_T1_T2_jT3_P12ihipStream_tbPNSt15iterator_traitsISE_E10value_typeEPNSK_ISF_E10value_typeEPSG_NS1_7vsmem_tEENKUlT_SE_SF_SG_E_clIS8_S8_S9_S9_EESD_ST_SE_SF_SG_EUlST_E_NS1_11comp_targetILNS1_3genE9ELNS1_11target_archE1100ELNS1_3gpuE3ELNS1_3repE0EEENS1_48merge_mergepath_partition_config_static_selectorELNS0_4arch9wavefront6targetE0EEEvSF_,comdat
.Lfunc_end1697:
	.size	_ZN7rocprim17ROCPRIM_400000_NS6detail17trampoline_kernelINS0_14default_configENS1_38merge_sort_block_merge_config_selectorIbNS0_10empty_typeEEEZZNS1_27merge_sort_block_merge_implIS3_PbPS5_jNS1_19radix_merge_compareILb1ELb1EbNS0_19identity_decomposerEEEEE10hipError_tT0_T1_T2_jT3_P12ihipStream_tbPNSt15iterator_traitsISE_E10value_typeEPNSK_ISF_E10value_typeEPSG_NS1_7vsmem_tEENKUlT_SE_SF_SG_E_clIS8_S8_S9_S9_EESD_ST_SE_SF_SG_EUlST_E_NS1_11comp_targetILNS1_3genE9ELNS1_11target_archE1100ELNS1_3gpuE3ELNS1_3repE0EEENS1_48merge_mergepath_partition_config_static_selectorELNS0_4arch9wavefront6targetE0EEEvSF_, .Lfunc_end1697-_ZN7rocprim17ROCPRIM_400000_NS6detail17trampoline_kernelINS0_14default_configENS1_38merge_sort_block_merge_config_selectorIbNS0_10empty_typeEEEZZNS1_27merge_sort_block_merge_implIS3_PbPS5_jNS1_19radix_merge_compareILb1ELb1EbNS0_19identity_decomposerEEEEE10hipError_tT0_T1_T2_jT3_P12ihipStream_tbPNSt15iterator_traitsISE_E10value_typeEPNSK_ISF_E10value_typeEPSG_NS1_7vsmem_tEENKUlT_SE_SF_SG_E_clIS8_S8_S9_S9_EESD_ST_SE_SF_SG_EUlST_E_NS1_11comp_targetILNS1_3genE9ELNS1_11target_archE1100ELNS1_3gpuE3ELNS1_3repE0EEENS1_48merge_mergepath_partition_config_static_selectorELNS0_4arch9wavefront6targetE0EEEvSF_
                                        ; -- End function
	.set _ZN7rocprim17ROCPRIM_400000_NS6detail17trampoline_kernelINS0_14default_configENS1_38merge_sort_block_merge_config_selectorIbNS0_10empty_typeEEEZZNS1_27merge_sort_block_merge_implIS3_PbPS5_jNS1_19radix_merge_compareILb1ELb1EbNS0_19identity_decomposerEEEEE10hipError_tT0_T1_T2_jT3_P12ihipStream_tbPNSt15iterator_traitsISE_E10value_typeEPNSK_ISF_E10value_typeEPSG_NS1_7vsmem_tEENKUlT_SE_SF_SG_E_clIS8_S8_S9_S9_EESD_ST_SE_SF_SG_EUlST_E_NS1_11comp_targetILNS1_3genE9ELNS1_11target_archE1100ELNS1_3gpuE3ELNS1_3repE0EEENS1_48merge_mergepath_partition_config_static_selectorELNS0_4arch9wavefront6targetE0EEEvSF_.num_vgpr, 0
	.set _ZN7rocprim17ROCPRIM_400000_NS6detail17trampoline_kernelINS0_14default_configENS1_38merge_sort_block_merge_config_selectorIbNS0_10empty_typeEEEZZNS1_27merge_sort_block_merge_implIS3_PbPS5_jNS1_19radix_merge_compareILb1ELb1EbNS0_19identity_decomposerEEEEE10hipError_tT0_T1_T2_jT3_P12ihipStream_tbPNSt15iterator_traitsISE_E10value_typeEPNSK_ISF_E10value_typeEPSG_NS1_7vsmem_tEENKUlT_SE_SF_SG_E_clIS8_S8_S9_S9_EESD_ST_SE_SF_SG_EUlST_E_NS1_11comp_targetILNS1_3genE9ELNS1_11target_archE1100ELNS1_3gpuE3ELNS1_3repE0EEENS1_48merge_mergepath_partition_config_static_selectorELNS0_4arch9wavefront6targetE0EEEvSF_.num_agpr, 0
	.set _ZN7rocprim17ROCPRIM_400000_NS6detail17trampoline_kernelINS0_14default_configENS1_38merge_sort_block_merge_config_selectorIbNS0_10empty_typeEEEZZNS1_27merge_sort_block_merge_implIS3_PbPS5_jNS1_19radix_merge_compareILb1ELb1EbNS0_19identity_decomposerEEEEE10hipError_tT0_T1_T2_jT3_P12ihipStream_tbPNSt15iterator_traitsISE_E10value_typeEPNSK_ISF_E10value_typeEPSG_NS1_7vsmem_tEENKUlT_SE_SF_SG_E_clIS8_S8_S9_S9_EESD_ST_SE_SF_SG_EUlST_E_NS1_11comp_targetILNS1_3genE9ELNS1_11target_archE1100ELNS1_3gpuE3ELNS1_3repE0EEENS1_48merge_mergepath_partition_config_static_selectorELNS0_4arch9wavefront6targetE0EEEvSF_.numbered_sgpr, 0
	.set _ZN7rocprim17ROCPRIM_400000_NS6detail17trampoline_kernelINS0_14default_configENS1_38merge_sort_block_merge_config_selectorIbNS0_10empty_typeEEEZZNS1_27merge_sort_block_merge_implIS3_PbPS5_jNS1_19radix_merge_compareILb1ELb1EbNS0_19identity_decomposerEEEEE10hipError_tT0_T1_T2_jT3_P12ihipStream_tbPNSt15iterator_traitsISE_E10value_typeEPNSK_ISF_E10value_typeEPSG_NS1_7vsmem_tEENKUlT_SE_SF_SG_E_clIS8_S8_S9_S9_EESD_ST_SE_SF_SG_EUlST_E_NS1_11comp_targetILNS1_3genE9ELNS1_11target_archE1100ELNS1_3gpuE3ELNS1_3repE0EEENS1_48merge_mergepath_partition_config_static_selectorELNS0_4arch9wavefront6targetE0EEEvSF_.num_named_barrier, 0
	.set _ZN7rocprim17ROCPRIM_400000_NS6detail17trampoline_kernelINS0_14default_configENS1_38merge_sort_block_merge_config_selectorIbNS0_10empty_typeEEEZZNS1_27merge_sort_block_merge_implIS3_PbPS5_jNS1_19radix_merge_compareILb1ELb1EbNS0_19identity_decomposerEEEEE10hipError_tT0_T1_T2_jT3_P12ihipStream_tbPNSt15iterator_traitsISE_E10value_typeEPNSK_ISF_E10value_typeEPSG_NS1_7vsmem_tEENKUlT_SE_SF_SG_E_clIS8_S8_S9_S9_EESD_ST_SE_SF_SG_EUlST_E_NS1_11comp_targetILNS1_3genE9ELNS1_11target_archE1100ELNS1_3gpuE3ELNS1_3repE0EEENS1_48merge_mergepath_partition_config_static_selectorELNS0_4arch9wavefront6targetE0EEEvSF_.private_seg_size, 0
	.set _ZN7rocprim17ROCPRIM_400000_NS6detail17trampoline_kernelINS0_14default_configENS1_38merge_sort_block_merge_config_selectorIbNS0_10empty_typeEEEZZNS1_27merge_sort_block_merge_implIS3_PbPS5_jNS1_19radix_merge_compareILb1ELb1EbNS0_19identity_decomposerEEEEE10hipError_tT0_T1_T2_jT3_P12ihipStream_tbPNSt15iterator_traitsISE_E10value_typeEPNSK_ISF_E10value_typeEPSG_NS1_7vsmem_tEENKUlT_SE_SF_SG_E_clIS8_S8_S9_S9_EESD_ST_SE_SF_SG_EUlST_E_NS1_11comp_targetILNS1_3genE9ELNS1_11target_archE1100ELNS1_3gpuE3ELNS1_3repE0EEENS1_48merge_mergepath_partition_config_static_selectorELNS0_4arch9wavefront6targetE0EEEvSF_.uses_vcc, 0
	.set _ZN7rocprim17ROCPRIM_400000_NS6detail17trampoline_kernelINS0_14default_configENS1_38merge_sort_block_merge_config_selectorIbNS0_10empty_typeEEEZZNS1_27merge_sort_block_merge_implIS3_PbPS5_jNS1_19radix_merge_compareILb1ELb1EbNS0_19identity_decomposerEEEEE10hipError_tT0_T1_T2_jT3_P12ihipStream_tbPNSt15iterator_traitsISE_E10value_typeEPNSK_ISF_E10value_typeEPSG_NS1_7vsmem_tEENKUlT_SE_SF_SG_E_clIS8_S8_S9_S9_EESD_ST_SE_SF_SG_EUlST_E_NS1_11comp_targetILNS1_3genE9ELNS1_11target_archE1100ELNS1_3gpuE3ELNS1_3repE0EEENS1_48merge_mergepath_partition_config_static_selectorELNS0_4arch9wavefront6targetE0EEEvSF_.uses_flat_scratch, 0
	.set _ZN7rocprim17ROCPRIM_400000_NS6detail17trampoline_kernelINS0_14default_configENS1_38merge_sort_block_merge_config_selectorIbNS0_10empty_typeEEEZZNS1_27merge_sort_block_merge_implIS3_PbPS5_jNS1_19radix_merge_compareILb1ELb1EbNS0_19identity_decomposerEEEEE10hipError_tT0_T1_T2_jT3_P12ihipStream_tbPNSt15iterator_traitsISE_E10value_typeEPNSK_ISF_E10value_typeEPSG_NS1_7vsmem_tEENKUlT_SE_SF_SG_E_clIS8_S8_S9_S9_EESD_ST_SE_SF_SG_EUlST_E_NS1_11comp_targetILNS1_3genE9ELNS1_11target_archE1100ELNS1_3gpuE3ELNS1_3repE0EEENS1_48merge_mergepath_partition_config_static_selectorELNS0_4arch9wavefront6targetE0EEEvSF_.has_dyn_sized_stack, 0
	.set _ZN7rocprim17ROCPRIM_400000_NS6detail17trampoline_kernelINS0_14default_configENS1_38merge_sort_block_merge_config_selectorIbNS0_10empty_typeEEEZZNS1_27merge_sort_block_merge_implIS3_PbPS5_jNS1_19radix_merge_compareILb1ELb1EbNS0_19identity_decomposerEEEEE10hipError_tT0_T1_T2_jT3_P12ihipStream_tbPNSt15iterator_traitsISE_E10value_typeEPNSK_ISF_E10value_typeEPSG_NS1_7vsmem_tEENKUlT_SE_SF_SG_E_clIS8_S8_S9_S9_EESD_ST_SE_SF_SG_EUlST_E_NS1_11comp_targetILNS1_3genE9ELNS1_11target_archE1100ELNS1_3gpuE3ELNS1_3repE0EEENS1_48merge_mergepath_partition_config_static_selectorELNS0_4arch9wavefront6targetE0EEEvSF_.has_recursion, 0
	.set _ZN7rocprim17ROCPRIM_400000_NS6detail17trampoline_kernelINS0_14default_configENS1_38merge_sort_block_merge_config_selectorIbNS0_10empty_typeEEEZZNS1_27merge_sort_block_merge_implIS3_PbPS5_jNS1_19radix_merge_compareILb1ELb1EbNS0_19identity_decomposerEEEEE10hipError_tT0_T1_T2_jT3_P12ihipStream_tbPNSt15iterator_traitsISE_E10value_typeEPNSK_ISF_E10value_typeEPSG_NS1_7vsmem_tEENKUlT_SE_SF_SG_E_clIS8_S8_S9_S9_EESD_ST_SE_SF_SG_EUlST_E_NS1_11comp_targetILNS1_3genE9ELNS1_11target_archE1100ELNS1_3gpuE3ELNS1_3repE0EEENS1_48merge_mergepath_partition_config_static_selectorELNS0_4arch9wavefront6targetE0EEEvSF_.has_indirect_call, 0
	.section	.AMDGPU.csdata,"",@progbits
; Kernel info:
; codeLenInByte = 0
; TotalNumSgprs: 0
; NumVgprs: 0
; ScratchSize: 0
; MemoryBound: 0
; FloatMode: 240
; IeeeMode: 1
; LDSByteSize: 0 bytes/workgroup (compile time only)
; SGPRBlocks: 0
; VGPRBlocks: 0
; NumSGPRsForWavesPerEU: 1
; NumVGPRsForWavesPerEU: 1
; NamedBarCnt: 0
; Occupancy: 16
; WaveLimiterHint : 0
; COMPUTE_PGM_RSRC2:SCRATCH_EN: 0
; COMPUTE_PGM_RSRC2:USER_SGPR: 2
; COMPUTE_PGM_RSRC2:TRAP_HANDLER: 0
; COMPUTE_PGM_RSRC2:TGID_X_EN: 1
; COMPUTE_PGM_RSRC2:TGID_Y_EN: 0
; COMPUTE_PGM_RSRC2:TGID_Z_EN: 0
; COMPUTE_PGM_RSRC2:TIDIG_COMP_CNT: 0
	.section	.text._ZN7rocprim17ROCPRIM_400000_NS6detail17trampoline_kernelINS0_14default_configENS1_38merge_sort_block_merge_config_selectorIbNS0_10empty_typeEEEZZNS1_27merge_sort_block_merge_implIS3_PbPS5_jNS1_19radix_merge_compareILb1ELb1EbNS0_19identity_decomposerEEEEE10hipError_tT0_T1_T2_jT3_P12ihipStream_tbPNSt15iterator_traitsISE_E10value_typeEPNSK_ISF_E10value_typeEPSG_NS1_7vsmem_tEENKUlT_SE_SF_SG_E_clIS8_S8_S9_S9_EESD_ST_SE_SF_SG_EUlST_E_NS1_11comp_targetILNS1_3genE8ELNS1_11target_archE1030ELNS1_3gpuE2ELNS1_3repE0EEENS1_48merge_mergepath_partition_config_static_selectorELNS0_4arch9wavefront6targetE0EEEvSF_,"axG",@progbits,_ZN7rocprim17ROCPRIM_400000_NS6detail17trampoline_kernelINS0_14default_configENS1_38merge_sort_block_merge_config_selectorIbNS0_10empty_typeEEEZZNS1_27merge_sort_block_merge_implIS3_PbPS5_jNS1_19radix_merge_compareILb1ELb1EbNS0_19identity_decomposerEEEEE10hipError_tT0_T1_T2_jT3_P12ihipStream_tbPNSt15iterator_traitsISE_E10value_typeEPNSK_ISF_E10value_typeEPSG_NS1_7vsmem_tEENKUlT_SE_SF_SG_E_clIS8_S8_S9_S9_EESD_ST_SE_SF_SG_EUlST_E_NS1_11comp_targetILNS1_3genE8ELNS1_11target_archE1030ELNS1_3gpuE2ELNS1_3repE0EEENS1_48merge_mergepath_partition_config_static_selectorELNS0_4arch9wavefront6targetE0EEEvSF_,comdat
	.protected	_ZN7rocprim17ROCPRIM_400000_NS6detail17trampoline_kernelINS0_14default_configENS1_38merge_sort_block_merge_config_selectorIbNS0_10empty_typeEEEZZNS1_27merge_sort_block_merge_implIS3_PbPS5_jNS1_19radix_merge_compareILb1ELb1EbNS0_19identity_decomposerEEEEE10hipError_tT0_T1_T2_jT3_P12ihipStream_tbPNSt15iterator_traitsISE_E10value_typeEPNSK_ISF_E10value_typeEPSG_NS1_7vsmem_tEENKUlT_SE_SF_SG_E_clIS8_S8_S9_S9_EESD_ST_SE_SF_SG_EUlST_E_NS1_11comp_targetILNS1_3genE8ELNS1_11target_archE1030ELNS1_3gpuE2ELNS1_3repE0EEENS1_48merge_mergepath_partition_config_static_selectorELNS0_4arch9wavefront6targetE0EEEvSF_ ; -- Begin function _ZN7rocprim17ROCPRIM_400000_NS6detail17trampoline_kernelINS0_14default_configENS1_38merge_sort_block_merge_config_selectorIbNS0_10empty_typeEEEZZNS1_27merge_sort_block_merge_implIS3_PbPS5_jNS1_19radix_merge_compareILb1ELb1EbNS0_19identity_decomposerEEEEE10hipError_tT0_T1_T2_jT3_P12ihipStream_tbPNSt15iterator_traitsISE_E10value_typeEPNSK_ISF_E10value_typeEPSG_NS1_7vsmem_tEENKUlT_SE_SF_SG_E_clIS8_S8_S9_S9_EESD_ST_SE_SF_SG_EUlST_E_NS1_11comp_targetILNS1_3genE8ELNS1_11target_archE1030ELNS1_3gpuE2ELNS1_3repE0EEENS1_48merge_mergepath_partition_config_static_selectorELNS0_4arch9wavefront6targetE0EEEvSF_
	.globl	_ZN7rocprim17ROCPRIM_400000_NS6detail17trampoline_kernelINS0_14default_configENS1_38merge_sort_block_merge_config_selectorIbNS0_10empty_typeEEEZZNS1_27merge_sort_block_merge_implIS3_PbPS5_jNS1_19radix_merge_compareILb1ELb1EbNS0_19identity_decomposerEEEEE10hipError_tT0_T1_T2_jT3_P12ihipStream_tbPNSt15iterator_traitsISE_E10value_typeEPNSK_ISF_E10value_typeEPSG_NS1_7vsmem_tEENKUlT_SE_SF_SG_E_clIS8_S8_S9_S9_EESD_ST_SE_SF_SG_EUlST_E_NS1_11comp_targetILNS1_3genE8ELNS1_11target_archE1030ELNS1_3gpuE2ELNS1_3repE0EEENS1_48merge_mergepath_partition_config_static_selectorELNS0_4arch9wavefront6targetE0EEEvSF_
	.p2align	8
	.type	_ZN7rocprim17ROCPRIM_400000_NS6detail17trampoline_kernelINS0_14default_configENS1_38merge_sort_block_merge_config_selectorIbNS0_10empty_typeEEEZZNS1_27merge_sort_block_merge_implIS3_PbPS5_jNS1_19radix_merge_compareILb1ELb1EbNS0_19identity_decomposerEEEEE10hipError_tT0_T1_T2_jT3_P12ihipStream_tbPNSt15iterator_traitsISE_E10value_typeEPNSK_ISF_E10value_typeEPSG_NS1_7vsmem_tEENKUlT_SE_SF_SG_E_clIS8_S8_S9_S9_EESD_ST_SE_SF_SG_EUlST_E_NS1_11comp_targetILNS1_3genE8ELNS1_11target_archE1030ELNS1_3gpuE2ELNS1_3repE0EEENS1_48merge_mergepath_partition_config_static_selectorELNS0_4arch9wavefront6targetE0EEEvSF_,@function
_ZN7rocprim17ROCPRIM_400000_NS6detail17trampoline_kernelINS0_14default_configENS1_38merge_sort_block_merge_config_selectorIbNS0_10empty_typeEEEZZNS1_27merge_sort_block_merge_implIS3_PbPS5_jNS1_19radix_merge_compareILb1ELb1EbNS0_19identity_decomposerEEEEE10hipError_tT0_T1_T2_jT3_P12ihipStream_tbPNSt15iterator_traitsISE_E10value_typeEPNSK_ISF_E10value_typeEPSG_NS1_7vsmem_tEENKUlT_SE_SF_SG_E_clIS8_S8_S9_S9_EESD_ST_SE_SF_SG_EUlST_E_NS1_11comp_targetILNS1_3genE8ELNS1_11target_archE1030ELNS1_3gpuE2ELNS1_3repE0EEENS1_48merge_mergepath_partition_config_static_selectorELNS0_4arch9wavefront6targetE0EEEvSF_: ; @_ZN7rocprim17ROCPRIM_400000_NS6detail17trampoline_kernelINS0_14default_configENS1_38merge_sort_block_merge_config_selectorIbNS0_10empty_typeEEEZZNS1_27merge_sort_block_merge_implIS3_PbPS5_jNS1_19radix_merge_compareILb1ELb1EbNS0_19identity_decomposerEEEEE10hipError_tT0_T1_T2_jT3_P12ihipStream_tbPNSt15iterator_traitsISE_E10value_typeEPNSK_ISF_E10value_typeEPSG_NS1_7vsmem_tEENKUlT_SE_SF_SG_E_clIS8_S8_S9_S9_EESD_ST_SE_SF_SG_EUlST_E_NS1_11comp_targetILNS1_3genE8ELNS1_11target_archE1030ELNS1_3gpuE2ELNS1_3repE0EEENS1_48merge_mergepath_partition_config_static_selectorELNS0_4arch9wavefront6targetE0EEEvSF_
; %bb.0:
	.section	.rodata,"a",@progbits
	.p2align	6, 0x0
	.amdhsa_kernel _ZN7rocprim17ROCPRIM_400000_NS6detail17trampoline_kernelINS0_14default_configENS1_38merge_sort_block_merge_config_selectorIbNS0_10empty_typeEEEZZNS1_27merge_sort_block_merge_implIS3_PbPS5_jNS1_19radix_merge_compareILb1ELb1EbNS0_19identity_decomposerEEEEE10hipError_tT0_T1_T2_jT3_P12ihipStream_tbPNSt15iterator_traitsISE_E10value_typeEPNSK_ISF_E10value_typeEPSG_NS1_7vsmem_tEENKUlT_SE_SF_SG_E_clIS8_S8_S9_S9_EESD_ST_SE_SF_SG_EUlST_E_NS1_11comp_targetILNS1_3genE8ELNS1_11target_archE1030ELNS1_3gpuE2ELNS1_3repE0EEENS1_48merge_mergepath_partition_config_static_selectorELNS0_4arch9wavefront6targetE0EEEvSF_
		.amdhsa_group_segment_fixed_size 0
		.amdhsa_private_segment_fixed_size 0
		.amdhsa_kernarg_size 40
		.amdhsa_user_sgpr_count 2
		.amdhsa_user_sgpr_dispatch_ptr 0
		.amdhsa_user_sgpr_queue_ptr 0
		.amdhsa_user_sgpr_kernarg_segment_ptr 1
		.amdhsa_user_sgpr_dispatch_id 0
		.amdhsa_user_sgpr_kernarg_preload_length 0
		.amdhsa_user_sgpr_kernarg_preload_offset 0
		.amdhsa_user_sgpr_private_segment_size 0
		.amdhsa_wavefront_size32 1
		.amdhsa_uses_dynamic_stack 0
		.amdhsa_enable_private_segment 0
		.amdhsa_system_sgpr_workgroup_id_x 1
		.amdhsa_system_sgpr_workgroup_id_y 0
		.amdhsa_system_sgpr_workgroup_id_z 0
		.amdhsa_system_sgpr_workgroup_info 0
		.amdhsa_system_vgpr_workitem_id 0
		.amdhsa_next_free_vgpr 1
		.amdhsa_next_free_sgpr 1
		.amdhsa_named_barrier_count 0
		.amdhsa_reserve_vcc 0
		.amdhsa_float_round_mode_32 0
		.amdhsa_float_round_mode_16_64 0
		.amdhsa_float_denorm_mode_32 3
		.amdhsa_float_denorm_mode_16_64 3
		.amdhsa_fp16_overflow 0
		.amdhsa_memory_ordered 1
		.amdhsa_forward_progress 1
		.amdhsa_inst_pref_size 0
		.amdhsa_round_robin_scheduling 0
		.amdhsa_exception_fp_ieee_invalid_op 0
		.amdhsa_exception_fp_denorm_src 0
		.amdhsa_exception_fp_ieee_div_zero 0
		.amdhsa_exception_fp_ieee_overflow 0
		.amdhsa_exception_fp_ieee_underflow 0
		.amdhsa_exception_fp_ieee_inexact 0
		.amdhsa_exception_int_div_zero 0
	.end_amdhsa_kernel
	.section	.text._ZN7rocprim17ROCPRIM_400000_NS6detail17trampoline_kernelINS0_14default_configENS1_38merge_sort_block_merge_config_selectorIbNS0_10empty_typeEEEZZNS1_27merge_sort_block_merge_implIS3_PbPS5_jNS1_19radix_merge_compareILb1ELb1EbNS0_19identity_decomposerEEEEE10hipError_tT0_T1_T2_jT3_P12ihipStream_tbPNSt15iterator_traitsISE_E10value_typeEPNSK_ISF_E10value_typeEPSG_NS1_7vsmem_tEENKUlT_SE_SF_SG_E_clIS8_S8_S9_S9_EESD_ST_SE_SF_SG_EUlST_E_NS1_11comp_targetILNS1_3genE8ELNS1_11target_archE1030ELNS1_3gpuE2ELNS1_3repE0EEENS1_48merge_mergepath_partition_config_static_selectorELNS0_4arch9wavefront6targetE0EEEvSF_,"axG",@progbits,_ZN7rocprim17ROCPRIM_400000_NS6detail17trampoline_kernelINS0_14default_configENS1_38merge_sort_block_merge_config_selectorIbNS0_10empty_typeEEEZZNS1_27merge_sort_block_merge_implIS3_PbPS5_jNS1_19radix_merge_compareILb1ELb1EbNS0_19identity_decomposerEEEEE10hipError_tT0_T1_T2_jT3_P12ihipStream_tbPNSt15iterator_traitsISE_E10value_typeEPNSK_ISF_E10value_typeEPSG_NS1_7vsmem_tEENKUlT_SE_SF_SG_E_clIS8_S8_S9_S9_EESD_ST_SE_SF_SG_EUlST_E_NS1_11comp_targetILNS1_3genE8ELNS1_11target_archE1030ELNS1_3gpuE2ELNS1_3repE0EEENS1_48merge_mergepath_partition_config_static_selectorELNS0_4arch9wavefront6targetE0EEEvSF_,comdat
.Lfunc_end1698:
	.size	_ZN7rocprim17ROCPRIM_400000_NS6detail17trampoline_kernelINS0_14default_configENS1_38merge_sort_block_merge_config_selectorIbNS0_10empty_typeEEEZZNS1_27merge_sort_block_merge_implIS3_PbPS5_jNS1_19radix_merge_compareILb1ELb1EbNS0_19identity_decomposerEEEEE10hipError_tT0_T1_T2_jT3_P12ihipStream_tbPNSt15iterator_traitsISE_E10value_typeEPNSK_ISF_E10value_typeEPSG_NS1_7vsmem_tEENKUlT_SE_SF_SG_E_clIS8_S8_S9_S9_EESD_ST_SE_SF_SG_EUlST_E_NS1_11comp_targetILNS1_3genE8ELNS1_11target_archE1030ELNS1_3gpuE2ELNS1_3repE0EEENS1_48merge_mergepath_partition_config_static_selectorELNS0_4arch9wavefront6targetE0EEEvSF_, .Lfunc_end1698-_ZN7rocprim17ROCPRIM_400000_NS6detail17trampoline_kernelINS0_14default_configENS1_38merge_sort_block_merge_config_selectorIbNS0_10empty_typeEEEZZNS1_27merge_sort_block_merge_implIS3_PbPS5_jNS1_19radix_merge_compareILb1ELb1EbNS0_19identity_decomposerEEEEE10hipError_tT0_T1_T2_jT3_P12ihipStream_tbPNSt15iterator_traitsISE_E10value_typeEPNSK_ISF_E10value_typeEPSG_NS1_7vsmem_tEENKUlT_SE_SF_SG_E_clIS8_S8_S9_S9_EESD_ST_SE_SF_SG_EUlST_E_NS1_11comp_targetILNS1_3genE8ELNS1_11target_archE1030ELNS1_3gpuE2ELNS1_3repE0EEENS1_48merge_mergepath_partition_config_static_selectorELNS0_4arch9wavefront6targetE0EEEvSF_
                                        ; -- End function
	.set _ZN7rocprim17ROCPRIM_400000_NS6detail17trampoline_kernelINS0_14default_configENS1_38merge_sort_block_merge_config_selectorIbNS0_10empty_typeEEEZZNS1_27merge_sort_block_merge_implIS3_PbPS5_jNS1_19radix_merge_compareILb1ELb1EbNS0_19identity_decomposerEEEEE10hipError_tT0_T1_T2_jT3_P12ihipStream_tbPNSt15iterator_traitsISE_E10value_typeEPNSK_ISF_E10value_typeEPSG_NS1_7vsmem_tEENKUlT_SE_SF_SG_E_clIS8_S8_S9_S9_EESD_ST_SE_SF_SG_EUlST_E_NS1_11comp_targetILNS1_3genE8ELNS1_11target_archE1030ELNS1_3gpuE2ELNS1_3repE0EEENS1_48merge_mergepath_partition_config_static_selectorELNS0_4arch9wavefront6targetE0EEEvSF_.num_vgpr, 0
	.set _ZN7rocprim17ROCPRIM_400000_NS6detail17trampoline_kernelINS0_14default_configENS1_38merge_sort_block_merge_config_selectorIbNS0_10empty_typeEEEZZNS1_27merge_sort_block_merge_implIS3_PbPS5_jNS1_19radix_merge_compareILb1ELb1EbNS0_19identity_decomposerEEEEE10hipError_tT0_T1_T2_jT3_P12ihipStream_tbPNSt15iterator_traitsISE_E10value_typeEPNSK_ISF_E10value_typeEPSG_NS1_7vsmem_tEENKUlT_SE_SF_SG_E_clIS8_S8_S9_S9_EESD_ST_SE_SF_SG_EUlST_E_NS1_11comp_targetILNS1_3genE8ELNS1_11target_archE1030ELNS1_3gpuE2ELNS1_3repE0EEENS1_48merge_mergepath_partition_config_static_selectorELNS0_4arch9wavefront6targetE0EEEvSF_.num_agpr, 0
	.set _ZN7rocprim17ROCPRIM_400000_NS6detail17trampoline_kernelINS0_14default_configENS1_38merge_sort_block_merge_config_selectorIbNS0_10empty_typeEEEZZNS1_27merge_sort_block_merge_implIS3_PbPS5_jNS1_19radix_merge_compareILb1ELb1EbNS0_19identity_decomposerEEEEE10hipError_tT0_T1_T2_jT3_P12ihipStream_tbPNSt15iterator_traitsISE_E10value_typeEPNSK_ISF_E10value_typeEPSG_NS1_7vsmem_tEENKUlT_SE_SF_SG_E_clIS8_S8_S9_S9_EESD_ST_SE_SF_SG_EUlST_E_NS1_11comp_targetILNS1_3genE8ELNS1_11target_archE1030ELNS1_3gpuE2ELNS1_3repE0EEENS1_48merge_mergepath_partition_config_static_selectorELNS0_4arch9wavefront6targetE0EEEvSF_.numbered_sgpr, 0
	.set _ZN7rocprim17ROCPRIM_400000_NS6detail17trampoline_kernelINS0_14default_configENS1_38merge_sort_block_merge_config_selectorIbNS0_10empty_typeEEEZZNS1_27merge_sort_block_merge_implIS3_PbPS5_jNS1_19radix_merge_compareILb1ELb1EbNS0_19identity_decomposerEEEEE10hipError_tT0_T1_T2_jT3_P12ihipStream_tbPNSt15iterator_traitsISE_E10value_typeEPNSK_ISF_E10value_typeEPSG_NS1_7vsmem_tEENKUlT_SE_SF_SG_E_clIS8_S8_S9_S9_EESD_ST_SE_SF_SG_EUlST_E_NS1_11comp_targetILNS1_3genE8ELNS1_11target_archE1030ELNS1_3gpuE2ELNS1_3repE0EEENS1_48merge_mergepath_partition_config_static_selectorELNS0_4arch9wavefront6targetE0EEEvSF_.num_named_barrier, 0
	.set _ZN7rocprim17ROCPRIM_400000_NS6detail17trampoline_kernelINS0_14default_configENS1_38merge_sort_block_merge_config_selectorIbNS0_10empty_typeEEEZZNS1_27merge_sort_block_merge_implIS3_PbPS5_jNS1_19radix_merge_compareILb1ELb1EbNS0_19identity_decomposerEEEEE10hipError_tT0_T1_T2_jT3_P12ihipStream_tbPNSt15iterator_traitsISE_E10value_typeEPNSK_ISF_E10value_typeEPSG_NS1_7vsmem_tEENKUlT_SE_SF_SG_E_clIS8_S8_S9_S9_EESD_ST_SE_SF_SG_EUlST_E_NS1_11comp_targetILNS1_3genE8ELNS1_11target_archE1030ELNS1_3gpuE2ELNS1_3repE0EEENS1_48merge_mergepath_partition_config_static_selectorELNS0_4arch9wavefront6targetE0EEEvSF_.private_seg_size, 0
	.set _ZN7rocprim17ROCPRIM_400000_NS6detail17trampoline_kernelINS0_14default_configENS1_38merge_sort_block_merge_config_selectorIbNS0_10empty_typeEEEZZNS1_27merge_sort_block_merge_implIS3_PbPS5_jNS1_19radix_merge_compareILb1ELb1EbNS0_19identity_decomposerEEEEE10hipError_tT0_T1_T2_jT3_P12ihipStream_tbPNSt15iterator_traitsISE_E10value_typeEPNSK_ISF_E10value_typeEPSG_NS1_7vsmem_tEENKUlT_SE_SF_SG_E_clIS8_S8_S9_S9_EESD_ST_SE_SF_SG_EUlST_E_NS1_11comp_targetILNS1_3genE8ELNS1_11target_archE1030ELNS1_3gpuE2ELNS1_3repE0EEENS1_48merge_mergepath_partition_config_static_selectorELNS0_4arch9wavefront6targetE0EEEvSF_.uses_vcc, 0
	.set _ZN7rocprim17ROCPRIM_400000_NS6detail17trampoline_kernelINS0_14default_configENS1_38merge_sort_block_merge_config_selectorIbNS0_10empty_typeEEEZZNS1_27merge_sort_block_merge_implIS3_PbPS5_jNS1_19radix_merge_compareILb1ELb1EbNS0_19identity_decomposerEEEEE10hipError_tT0_T1_T2_jT3_P12ihipStream_tbPNSt15iterator_traitsISE_E10value_typeEPNSK_ISF_E10value_typeEPSG_NS1_7vsmem_tEENKUlT_SE_SF_SG_E_clIS8_S8_S9_S9_EESD_ST_SE_SF_SG_EUlST_E_NS1_11comp_targetILNS1_3genE8ELNS1_11target_archE1030ELNS1_3gpuE2ELNS1_3repE0EEENS1_48merge_mergepath_partition_config_static_selectorELNS0_4arch9wavefront6targetE0EEEvSF_.uses_flat_scratch, 0
	.set _ZN7rocprim17ROCPRIM_400000_NS6detail17trampoline_kernelINS0_14default_configENS1_38merge_sort_block_merge_config_selectorIbNS0_10empty_typeEEEZZNS1_27merge_sort_block_merge_implIS3_PbPS5_jNS1_19radix_merge_compareILb1ELb1EbNS0_19identity_decomposerEEEEE10hipError_tT0_T1_T2_jT3_P12ihipStream_tbPNSt15iterator_traitsISE_E10value_typeEPNSK_ISF_E10value_typeEPSG_NS1_7vsmem_tEENKUlT_SE_SF_SG_E_clIS8_S8_S9_S9_EESD_ST_SE_SF_SG_EUlST_E_NS1_11comp_targetILNS1_3genE8ELNS1_11target_archE1030ELNS1_3gpuE2ELNS1_3repE0EEENS1_48merge_mergepath_partition_config_static_selectorELNS0_4arch9wavefront6targetE0EEEvSF_.has_dyn_sized_stack, 0
	.set _ZN7rocprim17ROCPRIM_400000_NS6detail17trampoline_kernelINS0_14default_configENS1_38merge_sort_block_merge_config_selectorIbNS0_10empty_typeEEEZZNS1_27merge_sort_block_merge_implIS3_PbPS5_jNS1_19radix_merge_compareILb1ELb1EbNS0_19identity_decomposerEEEEE10hipError_tT0_T1_T2_jT3_P12ihipStream_tbPNSt15iterator_traitsISE_E10value_typeEPNSK_ISF_E10value_typeEPSG_NS1_7vsmem_tEENKUlT_SE_SF_SG_E_clIS8_S8_S9_S9_EESD_ST_SE_SF_SG_EUlST_E_NS1_11comp_targetILNS1_3genE8ELNS1_11target_archE1030ELNS1_3gpuE2ELNS1_3repE0EEENS1_48merge_mergepath_partition_config_static_selectorELNS0_4arch9wavefront6targetE0EEEvSF_.has_recursion, 0
	.set _ZN7rocprim17ROCPRIM_400000_NS6detail17trampoline_kernelINS0_14default_configENS1_38merge_sort_block_merge_config_selectorIbNS0_10empty_typeEEEZZNS1_27merge_sort_block_merge_implIS3_PbPS5_jNS1_19radix_merge_compareILb1ELb1EbNS0_19identity_decomposerEEEEE10hipError_tT0_T1_T2_jT3_P12ihipStream_tbPNSt15iterator_traitsISE_E10value_typeEPNSK_ISF_E10value_typeEPSG_NS1_7vsmem_tEENKUlT_SE_SF_SG_E_clIS8_S8_S9_S9_EESD_ST_SE_SF_SG_EUlST_E_NS1_11comp_targetILNS1_3genE8ELNS1_11target_archE1030ELNS1_3gpuE2ELNS1_3repE0EEENS1_48merge_mergepath_partition_config_static_selectorELNS0_4arch9wavefront6targetE0EEEvSF_.has_indirect_call, 0
	.section	.AMDGPU.csdata,"",@progbits
; Kernel info:
; codeLenInByte = 0
; TotalNumSgprs: 0
; NumVgprs: 0
; ScratchSize: 0
; MemoryBound: 0
; FloatMode: 240
; IeeeMode: 1
; LDSByteSize: 0 bytes/workgroup (compile time only)
; SGPRBlocks: 0
; VGPRBlocks: 0
; NumSGPRsForWavesPerEU: 1
; NumVGPRsForWavesPerEU: 1
; NamedBarCnt: 0
; Occupancy: 16
; WaveLimiterHint : 0
; COMPUTE_PGM_RSRC2:SCRATCH_EN: 0
; COMPUTE_PGM_RSRC2:USER_SGPR: 2
; COMPUTE_PGM_RSRC2:TRAP_HANDLER: 0
; COMPUTE_PGM_RSRC2:TGID_X_EN: 1
; COMPUTE_PGM_RSRC2:TGID_Y_EN: 0
; COMPUTE_PGM_RSRC2:TGID_Z_EN: 0
; COMPUTE_PGM_RSRC2:TIDIG_COMP_CNT: 0
	.section	.text._ZN7rocprim17ROCPRIM_400000_NS6detail17trampoline_kernelINS0_14default_configENS1_38merge_sort_block_merge_config_selectorIbNS0_10empty_typeEEEZZNS1_27merge_sort_block_merge_implIS3_PbPS5_jNS1_19radix_merge_compareILb1ELb1EbNS0_19identity_decomposerEEEEE10hipError_tT0_T1_T2_jT3_P12ihipStream_tbPNSt15iterator_traitsISE_E10value_typeEPNSK_ISF_E10value_typeEPSG_NS1_7vsmem_tEENKUlT_SE_SF_SG_E_clIS8_S8_S9_S9_EESD_ST_SE_SF_SG_EUlST_E0_NS1_11comp_targetILNS1_3genE0ELNS1_11target_archE4294967295ELNS1_3gpuE0ELNS1_3repE0EEENS1_38merge_mergepath_config_static_selectorELNS0_4arch9wavefront6targetE0EEEvSF_,"axG",@progbits,_ZN7rocprim17ROCPRIM_400000_NS6detail17trampoline_kernelINS0_14default_configENS1_38merge_sort_block_merge_config_selectorIbNS0_10empty_typeEEEZZNS1_27merge_sort_block_merge_implIS3_PbPS5_jNS1_19radix_merge_compareILb1ELb1EbNS0_19identity_decomposerEEEEE10hipError_tT0_T1_T2_jT3_P12ihipStream_tbPNSt15iterator_traitsISE_E10value_typeEPNSK_ISF_E10value_typeEPSG_NS1_7vsmem_tEENKUlT_SE_SF_SG_E_clIS8_S8_S9_S9_EESD_ST_SE_SF_SG_EUlST_E0_NS1_11comp_targetILNS1_3genE0ELNS1_11target_archE4294967295ELNS1_3gpuE0ELNS1_3repE0EEENS1_38merge_mergepath_config_static_selectorELNS0_4arch9wavefront6targetE0EEEvSF_,comdat
	.protected	_ZN7rocprim17ROCPRIM_400000_NS6detail17trampoline_kernelINS0_14default_configENS1_38merge_sort_block_merge_config_selectorIbNS0_10empty_typeEEEZZNS1_27merge_sort_block_merge_implIS3_PbPS5_jNS1_19radix_merge_compareILb1ELb1EbNS0_19identity_decomposerEEEEE10hipError_tT0_T1_T2_jT3_P12ihipStream_tbPNSt15iterator_traitsISE_E10value_typeEPNSK_ISF_E10value_typeEPSG_NS1_7vsmem_tEENKUlT_SE_SF_SG_E_clIS8_S8_S9_S9_EESD_ST_SE_SF_SG_EUlST_E0_NS1_11comp_targetILNS1_3genE0ELNS1_11target_archE4294967295ELNS1_3gpuE0ELNS1_3repE0EEENS1_38merge_mergepath_config_static_selectorELNS0_4arch9wavefront6targetE0EEEvSF_ ; -- Begin function _ZN7rocprim17ROCPRIM_400000_NS6detail17trampoline_kernelINS0_14default_configENS1_38merge_sort_block_merge_config_selectorIbNS0_10empty_typeEEEZZNS1_27merge_sort_block_merge_implIS3_PbPS5_jNS1_19radix_merge_compareILb1ELb1EbNS0_19identity_decomposerEEEEE10hipError_tT0_T1_T2_jT3_P12ihipStream_tbPNSt15iterator_traitsISE_E10value_typeEPNSK_ISF_E10value_typeEPSG_NS1_7vsmem_tEENKUlT_SE_SF_SG_E_clIS8_S8_S9_S9_EESD_ST_SE_SF_SG_EUlST_E0_NS1_11comp_targetILNS1_3genE0ELNS1_11target_archE4294967295ELNS1_3gpuE0ELNS1_3repE0EEENS1_38merge_mergepath_config_static_selectorELNS0_4arch9wavefront6targetE0EEEvSF_
	.globl	_ZN7rocprim17ROCPRIM_400000_NS6detail17trampoline_kernelINS0_14default_configENS1_38merge_sort_block_merge_config_selectorIbNS0_10empty_typeEEEZZNS1_27merge_sort_block_merge_implIS3_PbPS5_jNS1_19radix_merge_compareILb1ELb1EbNS0_19identity_decomposerEEEEE10hipError_tT0_T1_T2_jT3_P12ihipStream_tbPNSt15iterator_traitsISE_E10value_typeEPNSK_ISF_E10value_typeEPSG_NS1_7vsmem_tEENKUlT_SE_SF_SG_E_clIS8_S8_S9_S9_EESD_ST_SE_SF_SG_EUlST_E0_NS1_11comp_targetILNS1_3genE0ELNS1_11target_archE4294967295ELNS1_3gpuE0ELNS1_3repE0EEENS1_38merge_mergepath_config_static_selectorELNS0_4arch9wavefront6targetE0EEEvSF_
	.p2align	8
	.type	_ZN7rocprim17ROCPRIM_400000_NS6detail17trampoline_kernelINS0_14default_configENS1_38merge_sort_block_merge_config_selectorIbNS0_10empty_typeEEEZZNS1_27merge_sort_block_merge_implIS3_PbPS5_jNS1_19radix_merge_compareILb1ELb1EbNS0_19identity_decomposerEEEEE10hipError_tT0_T1_T2_jT3_P12ihipStream_tbPNSt15iterator_traitsISE_E10value_typeEPNSK_ISF_E10value_typeEPSG_NS1_7vsmem_tEENKUlT_SE_SF_SG_E_clIS8_S8_S9_S9_EESD_ST_SE_SF_SG_EUlST_E0_NS1_11comp_targetILNS1_3genE0ELNS1_11target_archE4294967295ELNS1_3gpuE0ELNS1_3repE0EEENS1_38merge_mergepath_config_static_selectorELNS0_4arch9wavefront6targetE0EEEvSF_,@function
_ZN7rocprim17ROCPRIM_400000_NS6detail17trampoline_kernelINS0_14default_configENS1_38merge_sort_block_merge_config_selectorIbNS0_10empty_typeEEEZZNS1_27merge_sort_block_merge_implIS3_PbPS5_jNS1_19radix_merge_compareILb1ELb1EbNS0_19identity_decomposerEEEEE10hipError_tT0_T1_T2_jT3_P12ihipStream_tbPNSt15iterator_traitsISE_E10value_typeEPNSK_ISF_E10value_typeEPSG_NS1_7vsmem_tEENKUlT_SE_SF_SG_E_clIS8_S8_S9_S9_EESD_ST_SE_SF_SG_EUlST_E0_NS1_11comp_targetILNS1_3genE0ELNS1_11target_archE4294967295ELNS1_3gpuE0ELNS1_3repE0EEENS1_38merge_mergepath_config_static_selectorELNS0_4arch9wavefront6targetE0EEEvSF_: ; @_ZN7rocprim17ROCPRIM_400000_NS6detail17trampoline_kernelINS0_14default_configENS1_38merge_sort_block_merge_config_selectorIbNS0_10empty_typeEEEZZNS1_27merge_sort_block_merge_implIS3_PbPS5_jNS1_19radix_merge_compareILb1ELb1EbNS0_19identity_decomposerEEEEE10hipError_tT0_T1_T2_jT3_P12ihipStream_tbPNSt15iterator_traitsISE_E10value_typeEPNSK_ISF_E10value_typeEPSG_NS1_7vsmem_tEENKUlT_SE_SF_SG_E_clIS8_S8_S9_S9_EESD_ST_SE_SF_SG_EUlST_E0_NS1_11comp_targetILNS1_3genE0ELNS1_11target_archE4294967295ELNS1_3gpuE0ELNS1_3repE0EEENS1_38merge_mergepath_config_static_selectorELNS0_4arch9wavefront6targetE0EEEvSF_
; %bb.0:
	s_load_b64 s[4:5], s[0:1], 0x4
	s_load_b128 s[8:11], s[2:3], 0x28
	s_bfe_u32 s7, ttmp6, 0x40010
	s_wait_xcnt 0x0
	s_load_b64 s[0:1], s[2:3], 0x40
	v_and_b32_e32 v2, 0x3ff, v0
	s_bfe_u32 s14, ttmp6, 0x4000c
	s_bfe_u32 s16, ttmp6, 0x40014
	s_and_b32 s6, ttmp7, 0xffff
	s_add_co_i32 s7, s7, 1
	s_lshr_b32 s15, ttmp7, 16
	s_add_co_i32 s14, s14, 1
	s_add_co_i32 s16, s16, 1
	s_bfe_u32 s12, ttmp6, 0x40004
	s_mul_i32 s7, s6, s7
	s_and_b32 s13, ttmp6, 15
	s_mul_i32 s14, ttmp9, s14
	s_mul_i32 s16, s15, s16
	s_add_co_i32 s12, s12, s7
	v_bfe_u32 v1, v0, 10, 10
	s_add_co_i32 s13, s13, s14
	s_wait_kmcnt 0x0
	s_lshr_b32 s4, s4, 16
	s_and_b32 s7, s11, 1
	s_mul_i32 s4, s4, s5
	s_getreg_b32 s11, hwreg(HW_REG_IB_STS2, 6, 4)
	v_mul_u32_u24_e32 v3, s4, v2
	s_bfe_u32 s4, ttmp6, 0x40008
	v_mul_u32_u24_e32 v1, s5, v1
	s_add_co_i32 s4, s4, s16
	s_cmp_eq_u32 s11, 0
	v_bfe_u32 v0, v0, 20, 10
	s_cselect_b32 s4, s15, s4
	s_cselect_b32 s5, s6, s12
	s_mul_i32 s4, s1, s4
	s_cselect_b32 s1, ttmp9, s13
	s_add_co_i32 s4, s4, s5
	v_add3_u32 v3, v3, v1, v0
	s_mul_i32 s4, s4, s0
	v_mov_b32_e32 v0, s7
	s_add_co_i32 s4, s4, s1
	s_mov_b32 s5, 0
	s_cmp_ge_u32 s4, s10
	ds_store_b8 v3, v0 offset:1056
	s_cbranch_scc1 .LBB1699_45
; %bb.1:
	v_mov_b32_e32 v1, 0
	s_add_nc_u64 s[12:13], s[2:3], 64
	s_load_b64 s[6:7], s[2:3], 0x38
	s_lshr_b32 s17, s8, 10
	s_mov_b32 s21, s5
	global_load_b32 v0, v1, s[12:13] offset:14
	s_cmp_lg_u32 s4, s17
	s_cselect_b32 s16, -1, 0
	s_lshl_b64 s[10:11], s[4:5], 2
	s_wait_kmcnt 0x0
	s_add_nc_u64 s[6:7], s[6:7], s[10:11]
	s_lshl_b32 s10, s4, 10
	s_load_b64 s[18:19], s[6:7], 0x0
	s_wait_xcnt 0x0
	s_lshr_b32 s6, s9, 9
	s_delay_alu instid0(SALU_CYCLE_1) | instskip(NEXT) | instid1(SALU_CYCLE_1)
	s_and_b32 s6, s6, 0x7ffffe
	s_sub_co_i32 s6, 0, s6
	s_delay_alu instid0(SALU_CYCLE_1)
	s_and_b32 s7, s4, s6
	s_or_b32 s6, s4, s6
	s_lshl_b32 s11, s7, 11
	s_lshl_b32 s7, s7, 10
	s_add_co_i32 s11, s11, s9
	s_sub_co_i32 s14, s10, s7
	s_sub_co_i32 s7, s11, s7
	s_add_co_i32 s11, s11, s14
	s_min_u32 s14, s8, s7
	s_add_co_i32 s7, s7, s9
	s_wait_kmcnt 0x0
	s_sub_co_i32 s9, s11, s18
	s_sub_co_i32 s11, s11, s19
	s_min_u32 s20, s8, s9
	s_addk_co_i32 s11, 0x400
	s_cmp_eq_u32 s6, -1
	s_cselect_b32 s6, s7, s11
	s_cselect_b32 s7, s14, s19
	s_min_u32 s6, s6, s8
	s_sub_co_i32 s9, s7, s18
	s_sub_co_i32 s6, s6, s20
	s_cmp_lt_u32 s1, s0
	s_mov_b32 s1, s5
	s_cselect_b32 s0, 12, 18
	s_mov_b32 s19, s5
	s_add_nc_u64 s[0:1], s[12:13], s[0:1]
	s_mov_b32 s7, -1
	s_load_u16 s0, s[0:1], 0x0
	s_cmp_eq_u32 s4, s17
	s_load_b128 s[12:15], s[2:3], 0x8
	s_wait_kmcnt 0x0
	s_add_nc_u64 s[2:3], s[12:13], s[20:21]
	s_wait_loadcnt 0x0
	v_lshrrev_b32_e32 v4, 16, v0
	v_and_b32_e32 v0, 0xffff, v0
	s_delay_alu instid0(VALU_DEP_1) | instskip(NEXT) | instid1(VALU_DEP_1)
	v_mul_lo_u32 v0, v0, v4
	v_mul_lo_u32 v4, v0, s0
	s_add_nc_u64 s[0:1], s[12:13], s[18:19]
	s_delay_alu instid0(VALU_DEP_1)
	v_add_nc_u32_e32 v5, v4, v2
	s_cbranch_scc1 .LBB1699_3
; %bb.2:
	v_subrev_nc_u32_e32 v0, s9, v2
	v_dual_mov_b32 v18, s1 :: v_dual_mov_b32 v20, s0
	v_cmp_gt_u32_e32 vcc_lo, s9, v2
	v_subrev_nc_u32_e32 v8, s9, v5
	s_delay_alu instid0(VALU_DEP_4)
	v_min_u32_e32 v0, v2, v0
	v_add_nc_u32_e32 v10, v5, v4
	s_add_co_i32 s4, s6, s9
	v_cndmask_b32_e32 v7, s3, v18, vcc_lo
	v_cndmask_b32_e32 v6, s2, v20, vcc_lo
	v_cmp_gt_u32_e32 vcc_lo, s9, v5
	v_subrev_nc_u32_e32 v11, s9, v10
	v_add_nc_u32_e32 v12, v10, v4
	s_delay_alu instid0(VALU_DEP_4)
	v_add_nc_u64_e32 v[6:7], v[6:7], v[0:1]
	v_min_u32_e32 v0, v5, v8
	v_cndmask_b32_e32 v9, s3, v18, vcc_lo
	v_cndmask_b32_e32 v8, s2, v20, vcc_lo
	v_cmp_gt_u32_e32 vcc_lo, s9, v10
	v_subrev_nc_u32_e32 v13, s9, v12
	v_add_nc_u32_e32 v14, v12, v4
	s_mov_b32 s5, -1
	v_add_nc_u64_e32 v[8:9], v[8:9], v[0:1]
	v_min_u32_e32 v0, v10, v11
	v_cndmask_b32_e32 v11, s3, v18, vcc_lo
	v_cndmask_b32_e32 v10, s2, v20, vcc_lo
	v_cmp_gt_u32_e32 vcc_lo, s9, v12
	v_subrev_nc_u32_e32 v15, s9, v14
	v_add_nc_u32_e32 v16, v14, v4
	s_delay_alu instid0(VALU_DEP_4)
	v_add_nc_u64_e32 v[10:11], v[10:11], v[0:1]
	v_min_u32_e32 v0, v12, v13
	v_cndmask_b32_e32 v13, s3, v18, vcc_lo
	v_cndmask_b32_e32 v12, s2, v20, vcc_lo
	v_cmp_gt_u32_e32 vcc_lo, s9, v14
	v_subrev_nc_u32_e32 v17, s9, v16
	v_add_nc_u32_e32 v21, v16, v4
	s_delay_alu instid0(VALU_DEP_4)
	v_add_nc_u64_e32 v[12:13], v[12:13], v[0:1]
	v_min_u32_e32 v0, v14, v15
	v_cndmask_b32_e32 v15, s3, v18, vcc_lo
	v_cndmask_b32_e32 v14, s2, v20, vcc_lo
	v_cmp_gt_u32_e32 vcc_lo, s9, v16
	v_subrev_nc_u32_e32 v19, s9, v21
	s_delay_alu instid0(VALU_DEP_3) | instskip(SKIP_4) | instid1(VALU_DEP_2)
	v_add_nc_u64_e32 v[14:15], v[14:15], v[0:1]
	v_min_u32_e32 v0, v16, v17
	v_cndmask_b32_e32 v17, s3, v18, vcc_lo
	v_cndmask_b32_e32 v16, s2, v20, vcc_lo
	v_cmp_gt_u32_e32 vcc_lo, s9, v21
	v_add_nc_u64_e32 v[16:17], v[16:17], v[0:1]
	v_min_u32_e32 v0, v21, v19
	v_cndmask_b32_e32 v19, s3, v18, vcc_lo
	v_cndmask_b32_e32 v18, s2, v20, vcc_lo
	s_delay_alu instid0(VALU_DEP_1)
	v_add_nc_u64_e32 v[0:1], v[18:19], v[0:1]
	global_load_u8 v18, v[10:11], off
	global_load_u8 v19, v[12:13], off
	;; [unrolled: 1-line block ×7, first 2 shown]
	s_wait_xcnt 0x3
	v_add_nc_u32_e32 v7, v21, v4
	s_wait_loadcnt 0x5
	s_wait_xcnt 0x0
	v_perm_b32 v1, v18, v19, 0xc0c0004
	s_wait_loadcnt 0x3
	v_perm_b32 v0, v22, v20, 0xc0c0004
	s_wait_loadcnt 0x1
	v_perm_b32 v6, v23, v24, 0xc0c0004
	s_delay_alu instid0(VALU_DEP_2) | instskip(SKIP_1) | instid1(VALU_DEP_2)
	v_lshl_or_b32 v0, v1, 16, v0
	s_wait_loadcnt 0x0
	v_lshl_or_b32 v1, v25, 16, v6
	v_mov_b32_e32 v6, s4
	s_cbranch_execz .LBB1699_4
	s_branch .LBB1699_19
.LBB1699_3:
                                        ; implicit-def: $vgpr7
                                        ; implicit-def: $vgpr0_vgpr1
                                        ; implicit-def: $vgpr6
	s_and_not1_b32 vcc_lo, exec_lo, s7
	s_cbranch_vccnz .LBB1699_19
.LBB1699_4:
	v_mov_b64_e32 v[0:1], 0
	s_add_co_i32 s4, s6, s9
	s_mov_b32 s5, exec_lo
	v_cmpx_gt_u32_e64 s4, v2
	s_cbranch_execz .LBB1699_6
; %bb.5:
	v_dual_mov_b32 v0, s1 :: v_dual_mov_b32 v6, s0
	v_cmp_gt_u32_e32 vcc_lo, s9, v2
	v_subrev_nc_u32_e32 v8, s9, v2
	s_mov_b32 s7, 0
	s_delay_alu instid0(VALU_DEP_3) | instskip(SKIP_1) | instid1(VALU_DEP_3)
	v_dual_mov_b32 v7, 0 :: v_dual_cndmask_b32 v1, s3, v0, vcc_lo
	v_cndmask_b32_e32 v0, s2, v6, vcc_lo
	v_min_u32_e32 v6, v2, v8
	s_delay_alu instid0(VALU_DEP_1)
	v_add_nc_u64_e32 v[0:1], v[0:1], v[6:7]
	global_load_u8 v0, v[0:1], off
	s_wait_xcnt 0x0
	v_mov_b32_e32 v1, s7
	s_wait_loadcnt 0x0
	v_and_b32_e32 v0, 0xffff, v0
.LBB1699_6:
	s_or_b32 exec_lo, exec_lo, s5
	s_delay_alu instid0(SALU_CYCLE_1)
	s_mov_b32 s5, exec_lo
	v_cmpx_gt_u32_e64 s4, v5
	s_cbranch_execz .LBB1699_8
; %bb.7:
	v_dual_mov_b32 v6, s1 :: v_dual_mov_b32 v8, s0
	v_cmp_gt_u32_e32 vcc_lo, s9, v5
	v_subrev_nc_u32_e32 v9, s9, v5
	s_delay_alu instid0(VALU_DEP_3) | instskip(NEXT) | instid1(VALU_DEP_4)
	v_cndmask_b32_e32 v7, s3, v6, vcc_lo
	v_cndmask_b32_e32 v6, s2, v8, vcc_lo
	s_delay_alu instid0(VALU_DEP_3) | instskip(SKIP_1) | instid1(VALU_DEP_1)
	v_min_u32_e32 v8, v5, v9
	v_mov_b32_e32 v9, 0
	v_add_nc_u64_e32 v[6:7], v[6:7], v[8:9]
	global_load_u8 v6, v[6:7], off
	s_wait_loadcnt 0x0
	v_perm_b32 v0, v0, v6, 0x7060004
.LBB1699_8:
	s_or_b32 exec_lo, exec_lo, s5
	v_add_nc_u32_e32 v5, v5, v4
	s_mov_b32 s5, exec_lo
	s_delay_alu instid0(VALU_DEP_1)
	v_cmpx_gt_u32_e64 s4, v5
	s_cbranch_execz .LBB1699_10
; %bb.9:
	v_dual_mov_b32 v6, s1 :: v_dual_mov_b32 v8, s0
	v_cmp_gt_u32_e32 vcc_lo, s9, v5
	v_subrev_nc_u32_e32 v9, s9, v5
	s_delay_alu instid0(VALU_DEP_3) | instskip(NEXT) | instid1(VALU_DEP_4)
	v_cndmask_b32_e32 v7, s3, v6, vcc_lo
	v_cndmask_b32_e32 v6, s2, v8, vcc_lo
	s_delay_alu instid0(VALU_DEP_3) | instskip(SKIP_1) | instid1(VALU_DEP_1)
	v_min_u32_e32 v8, v5, v9
	v_mov_b32_e32 v9, 0
	v_add_nc_u64_e32 v[6:7], v[6:7], v[8:9]
	global_load_u8 v6, v[6:7], off
	s_wait_loadcnt 0x0
	v_perm_b32 v6, v6, v0, 0xc0c0304
	s_delay_alu instid0(VALU_DEP_1) | instskip(NEXT) | instid1(VALU_DEP_1)
	v_lshlrev_b32_e32 v6, 16, v6
	v_and_or_b32 v0, 0xffff, v0, v6
.LBB1699_10:
	s_or_b32 exec_lo, exec_lo, s5
	v_add_nc_u32_e32 v5, v5, v4
	s_mov_b32 s5, exec_lo
	s_delay_alu instid0(VALU_DEP_1)
	v_cmpx_gt_u32_e64 s4, v5
	s_cbranch_execz .LBB1699_12
; %bb.11:
	v_dual_mov_b32 v6, s1 :: v_dual_mov_b32 v8, s0
	v_cmp_gt_u32_e32 vcc_lo, s9, v5
	v_subrev_nc_u32_e32 v9, s9, v5
	s_delay_alu instid0(VALU_DEP_3) | instskip(NEXT) | instid1(VALU_DEP_4)
	v_cndmask_b32_e32 v7, s3, v6, vcc_lo
	v_cndmask_b32_e32 v6, s2, v8, vcc_lo
	s_delay_alu instid0(VALU_DEP_3) | instskip(SKIP_1) | instid1(VALU_DEP_1)
	v_min_u32_e32 v8, v5, v9
	v_mov_b32_e32 v9, 0
	v_add_nc_u64_e32 v[6:7], v[6:7], v[8:9]
	global_load_u8 v6, v[6:7], off
	s_wait_loadcnt 0x0
	v_perm_b32 v6, v0, v6, 0xc0c0006
	s_delay_alu instid0(VALU_DEP_1) | instskip(NEXT) | instid1(VALU_DEP_1)
	v_lshlrev_b32_e32 v6, 16, v6
	v_and_or_b32 v0, 0xffff, v0, v6
.LBB1699_12:
	s_or_b32 exec_lo, exec_lo, s5
	v_add_nc_u32_e32 v5, v5, v4
	s_mov_b32 s5, exec_lo
	s_delay_alu instid0(VALU_DEP_1)
	v_cmpx_gt_u32_e64 s4, v5
	s_cbranch_execz .LBB1699_14
; %bb.13:
	v_dual_mov_b32 v6, s1 :: v_dual_mov_b32 v8, s0
	v_cmp_gt_u32_e32 vcc_lo, s9, v5
	v_subrev_nc_u32_e32 v9, s9, v5
	s_delay_alu instid0(VALU_DEP_3) | instskip(NEXT) | instid1(VALU_DEP_4)
	v_cndmask_b32_e32 v7, s3, v6, vcc_lo
	v_cndmask_b32_e32 v6, s2, v8, vcc_lo
	s_delay_alu instid0(VALU_DEP_3) | instskip(SKIP_1) | instid1(VALU_DEP_1)
	v_min_u32_e32 v8, v5, v9
	v_mov_b32_e32 v9, 0
	v_add_nc_u64_e32 v[6:7], v[6:7], v[8:9]
	global_load_u8 v6, v[6:7], off
	s_wait_loadcnt 0x0
	v_perm_b32 v1, v6, v1, 0x3020104
.LBB1699_14:
	s_or_b32 exec_lo, exec_lo, s5
	v_add_nc_u32_e32 v5, v5, v4
	s_mov_b32 s5, exec_lo
	s_delay_alu instid0(VALU_DEP_1)
	v_cmpx_gt_u32_e64 s4, v5
	s_cbranch_execz .LBB1699_16
; %bb.15:
	v_dual_mov_b32 v6, s1 :: v_dual_mov_b32 v8, s0
	v_cmp_gt_u32_e32 vcc_lo, s9, v5
	v_subrev_nc_u32_e32 v9, s9, v5
	s_delay_alu instid0(VALU_DEP_3) | instskip(NEXT) | instid1(VALU_DEP_4)
	v_cndmask_b32_e32 v7, s3, v6, vcc_lo
	v_cndmask_b32_e32 v6, s2, v8, vcc_lo
	s_delay_alu instid0(VALU_DEP_3) | instskip(SKIP_1) | instid1(VALU_DEP_1)
	v_min_u32_e32 v8, v5, v9
	v_mov_b32_e32 v9, 0
	v_add_nc_u64_e32 v[6:7], v[6:7], v[8:9]
	global_load_u8 v6, v[6:7], off
	s_wait_loadcnt 0x0
	v_perm_b32 v1, v1, v6, 0x7060004
.LBB1699_16:
	s_or_b32 exec_lo, exec_lo, s5
	v_add_nc_u32_e32 v5, v5, v4
	s_mov_b32 s5, exec_lo
	s_delay_alu instid0(VALU_DEP_1)
	v_cmpx_gt_u32_e64 s4, v5
	s_cbranch_execz .LBB1699_18
; %bb.17:
	v_dual_mov_b32 v6, s1 :: v_dual_mov_b32 v8, s0
	v_cmp_gt_u32_e32 vcc_lo, s9, v5
	v_subrev_nc_u32_e32 v10, s9, v5
	s_delay_alu instid0(VALU_DEP_3) | instskip(NEXT) | instid1(VALU_DEP_4)
	v_dual_mov_b32 v7, 0 :: v_dual_cndmask_b32 v9, s3, v6, vcc_lo
	v_cndmask_b32_e32 v8, s2, v8, vcc_lo
	s_delay_alu instid0(VALU_DEP_3) | instskip(NEXT) | instid1(VALU_DEP_1)
	v_min_u32_e32 v6, v5, v10
	v_add_nc_u64_e32 v[6:7], v[8:9], v[6:7]
	global_load_u8 v6, v[6:7], off
	s_wait_loadcnt 0x0
	v_perm_b32 v1, v1, v6, 0x7000504
.LBB1699_18:
	s_or_b32 exec_lo, exec_lo, s5
	v_dual_mov_b32 v6, s4 :: v_dual_add_nc_u32 v7, v5, v4
	s_delay_alu instid0(VALU_DEP_1)
	v_cmp_gt_u32_e64 s5, s4, v7
.LBB1699_19:
	s_delay_alu instid0(VALU_DEP_1)
	s_and_saveexec_b32 s4, s5
	s_cbranch_execz .LBB1699_21
; %bb.20:
	v_subrev_nc_u32_e32 v4, s9, v7
	v_dual_mov_b32 v8, s1 :: v_dual_mov_b32 v10, s0
	v_cmp_gt_u32_e32 vcc_lo, s9, v7
	v_mov_b32_e32 v5, 0
	s_delay_alu instid0(VALU_DEP_4) | instskip(NEXT) | instid1(VALU_DEP_4)
	v_min_u32_e32 v4, v7, v4
	v_cndmask_b32_e32 v9, s3, v8, vcc_lo
	v_cndmask_b32_e32 v8, s2, v10, vcc_lo
	s_delay_alu instid0(VALU_DEP_1)
	v_add_nc_u64_e32 v[4:5], v[8:9], v[4:5]
	global_load_u8 v4, v[4:5], off
	s_wait_loadcnt 0x0
	v_perm_b32 v1, v1, v4, 0x60504
.LBB1699_21:
	s_or_b32 exec_lo, exec_lo, s4
	v_dual_lshrrev_b32 v7, 8, v0 :: v_dual_lshrrev_b32 v8, 16, v0
	s_delay_alu instid0(VALU_DEP_2)
	v_lshrrev_b64 v[4:5], 24, v[0:1]
	v_dual_lshrrev_b32 v9, 8, v1 :: v_dual_lshrrev_b32 v10, 16, v1
	v_dual_lshrrev_b32 v11, 24, v1 :: v_dual_lshlrev_b32 v5, 3, v2
	ds_store_b8 v2, v0
	ds_store_b8 v2, v7 offset:128
	ds_store_b8 v2, v8 offset:256
	;; [unrolled: 1-line block ×7, first 2 shown]
	s_wait_dscnt 0x0
	s_barrier_signal -1
	s_barrier_wait -1
	ds_load_u8 v14, v3 offset:1056
	v_min_u32_e32 v13, v6, v5
	s_mov_b32 s1, exec_lo
	s_delay_alu instid0(VALU_DEP_1) | instskip(SKIP_3) | instid1(VALU_DEP_2)
	v_sub_nc_u32_e64 v12, v13, s6 clamp
	s_wait_dscnt 0x0
	v_and_b32_e32 v15, 1, v14
	v_min_u32_e32 v14, s9, v13
	v_cmp_eq_u32_e32 vcc_lo, 1, v15
	ds_store_b8 v3, v15 offset:1184
	v_cmpx_lt_u32_e64 v12, v14
	s_cbranch_execz .LBB1699_25
; %bb.22:
	ds_load_u8 v15, v3 offset:1184
	v_add_nc_u32_e32 v16, s9, v13
	s_mov_b32 s2, 0
.LBB1699_23:                            ; =>This Inner Loop Header: Depth=1
	v_add_nc_u32_e32 v17, v14, v12
	s_delay_alu instid0(VALU_DEP_1) | instskip(NEXT) | instid1(VALU_DEP_1)
	v_lshrrev_b32_e32 v17, 1, v17
	v_xad_u32 v18, v17, -1, v16
	ds_load_u8 v19, v17
	ds_load_u8 v18, v18
	s_wait_dscnt 0x1
	v_bitop3_b16 v19, v19, 1, v15 bitop3:0x80
	s_wait_dscnt 0x0
	v_bitop3_b16 v18, v18, 1, v15 bitop3:0x80
	s_delay_alu instid0(VALU_DEP_1) | instskip(NEXT) | instid1(VALU_DEP_1)
	v_cmp_gt_u16_e64 s0, v18, v19
	v_dual_add_nc_u32 v20, 1, v17 :: v_dual_cndmask_b32 v14, v14, v17, s0
	s_delay_alu instid0(VALU_DEP_1) | instskip(NEXT) | instid1(VALU_DEP_1)
	v_cndmask_b32_e64 v12, v20, v12, s0
	v_cmp_ge_u32_e64 s0, v12, v14
	s_or_b32 s2, s0, s2
	s_delay_alu instid0(SALU_CYCLE_1)
	s_and_not1_b32 exec_lo, exec_lo, s2
	s_cbranch_execnz .LBB1699_23
; %bb.24:
	s_or_b32 exec_lo, exec_lo, s2
.LBB1699_25:
	s_delay_alu instid0(SALU_CYCLE_1)
	s_or_b32 exec_lo, exec_lo, s1
	v_cndmask_b32_e64 v14, 0, 1, vcc_lo
	v_cmp_ge_u32_e32 vcc_lo, s9, v12
	ds_store_b8 v3, v14 offset:1440
	ds_load_u8 v14, v3 offset:1440
	s_wait_dscnt 0x0
	v_dual_sub_nc_u32 v13, v13, v12 :: v_dual_bitop2_b32 v14, 1, v14 bitop3:0x40
	s_delay_alu instid0(VALU_DEP_1) | instskip(SKIP_3) | instid1(SALU_CYCLE_1)
	v_add_nc_u32_e32 v13, s9, v13
	ds_store_b8 v3, v14 offset:1312
	v_cmp_le_u32_e64 s0, v13, v6
	s_or_b32 s0, vcc_lo, s0
	s_and_saveexec_b32 s11, s0
	s_cbranch_execz .LBB1699_31
; %bb.26:
	s_mov_b32 s1, exec_lo
	v_cmp_le_u32_e32 vcc_lo, s9, v12
                                        ; implicit-def: $vgpr0
	v_cmpx_gt_u32_e64 s9, v12
; %bb.27:
	ds_load_u8 v0, v12
; %bb.28:
	s_or_b32 exec_lo, exec_lo, s1
	v_cmp_ge_u32_e64 s0, v13, v6
	s_mov_b32 s2, exec_lo
                                        ; implicit-def: $vgpr1
	v_cmpx_lt_u32_e64 v13, v6
; %bb.29:
	ds_load_u8 v1, v13
; %bb.30:
	s_or_b32 exec_lo, exec_lo, s2
	ds_load_u8 v3, v3 offset:1312
	v_cndmask_b32_e64 v8, 0, 1, s0
	s_or_b32 vcc_lo, vcc_lo, s0
	s_wait_dscnt 0x0
	v_bitop3_b16 v4, v3, 1, v1 bitop3:0x80
	v_bitop3_b16 v7, v3, 1, v0 bitop3:0x80
	s_delay_alu instid0(VALU_DEP_1) | instskip(NEXT) | instid1(VALU_DEP_1)
	v_cmp_le_u16_e64 s1, v4, v7
	v_cndmask_b32_e64 v4, 0, 1, s1
	s_delay_alu instid0(VALU_DEP_1) | instskip(NEXT) | instid1(VALU_DEP_1)
	v_cndmask_b32_e32 v4, v4, v8, vcc_lo
	v_and_b32_e32 v4, 1, v4
	s_delay_alu instid0(VALU_DEP_1) | instskip(SKIP_2) | instid1(VALU_DEP_2)
	v_cmp_eq_u32_e32 vcc_lo, 1, v4
	v_cndmask_b32_e32 v4, v13, v12, vcc_lo
	v_cndmask_b32_e64 v7, v6, s9, vcc_lo
	v_add_nc_u32_e32 v4, 1, v4
	s_delay_alu instid0(VALU_DEP_1) | instskip(SKIP_3) | instid1(VALU_DEP_1)
	v_add_min_u32_e64 v7, v7, -1, v4
	ds_load_u8 v7, v7
	s_wait_dscnt 0x0
	v_dual_cndmask_b32 v8, v7, v1 :: v_dual_cndmask_b32 v7, v0, v7
	v_dual_cndmask_b32 v0, v1, v0, vcc_lo :: v_dual_bitop2_b32 v9, v8, v3 bitop3:0x40
	s_delay_alu instid0(VALU_DEP_2) | instskip(SKIP_1) | instid1(VALU_DEP_3)
	v_dual_cndmask_b32 v11, v12, v4, vcc_lo :: v_dual_bitop2_b32 v10, v7, v3 bitop3:0x40
	v_cndmask_b32_e32 v4, v4, v13, vcc_lo
	v_and_b32_e32 v9, 0xff, v9
	s_delay_alu instid0(VALU_DEP_3) | instskip(NEXT) | instid1(VALU_DEP_4)
	v_and_b32_e32 v10, 0xff, v10
	v_cmp_gt_u32_e64 s0, s9, v11
	s_delay_alu instid0(VALU_DEP_4) | instskip(NEXT) | instid1(VALU_DEP_3)
	v_cmp_ge_u32_e64 s2, v4, v6
	v_cmp_le_u16_e64 s1, v9, v10
	s_and_b32 s0, s0, s1
	s_delay_alu instid0(SALU_CYCLE_1) | instskip(NEXT) | instid1(SALU_CYCLE_1)
	s_or_b32 s0, s2, s0
	v_cndmask_b32_e64 v9, v4, v11, s0
	v_cndmask_b32_e64 v10, v6, s9, s0
	s_delay_alu instid0(VALU_DEP_2) | instskip(NEXT) | instid1(VALU_DEP_1)
	v_add_nc_u32_e32 v9, 1, v9
	v_add_min_u32_e64 v10, v10, -1, v9
	v_cndmask_b32_e64 v11, v11, v9, s0
	ds_load_u8 v10, v10
	v_cmp_gt_u32_e64 s1, s9, v11
	s_wait_dscnt 0x0
	v_dual_cndmask_b32 v12, v10, v8, s0 :: v_dual_cndmask_b32 v10, v7, v10, s0
	s_delay_alu instid0(VALU_DEP_1) | instskip(NEXT) | instid1(VALU_DEP_2)
	v_dual_cndmask_b32 v4, v9, v4, s0 :: v_dual_bitop2_b32 v13, v12, v3 bitop3:0x40
	v_and_b32_e32 v14, v10, v3
	s_delay_alu instid0(VALU_DEP_2) | instskip(NEXT) | instid1(VALU_DEP_3)
	v_cmp_ge_u32_e64 s3, v4, v6
	v_and_b32_e32 v13, 0xff, v13
	s_delay_alu instid0(VALU_DEP_3) | instskip(NEXT) | instid1(VALU_DEP_1)
	v_and_b32_e32 v14, 0xff, v14
	v_cmp_le_u16_e64 s2, v13, v14
	s_and_b32 s1, s1, s2
	s_delay_alu instid0(SALU_CYCLE_1) | instskip(NEXT) | instid1(SALU_CYCLE_1)
	s_or_b32 s1, s3, s1
	v_cndmask_b32_e64 v9, v4, v11, s1
	v_cndmask_b32_e64 v13, v6, s9, s1
	s_delay_alu instid0(VALU_DEP_2) | instskip(NEXT) | instid1(VALU_DEP_1)
	v_add_nc_u32_e32 v9, 1, v9
	v_add_min_u32_e64 v13, v13, -1, v9
	ds_load_u8 v13, v13
	s_wait_dscnt 0x0
	v_cndmask_b32_e64 v14, v13, v12, s1
	s_delay_alu instid0(VALU_DEP_1) | instskip(SKIP_2) | instid1(VALU_DEP_3)
	v_and_b32_e32 v15, v14, v3
	v_dual_cndmask_b32 v13, v10, v13, s1 :: v_dual_cndmask_b32 v4, v9, v4, s1
	v_cndmask_b32_e64 v11, v11, v9, s1
	v_and_b32_e32 v15, 0xff, v15
	s_delay_alu instid0(VALU_DEP_3) | instskip(NEXT) | instid1(VALU_DEP_4)
	v_and_b32_e32 v16, v13, v3
	v_cmp_ge_u32_e64 s4, v4, v6
	s_delay_alu instid0(VALU_DEP_4) | instskip(NEXT) | instid1(VALU_DEP_3)
	v_cmp_gt_u32_e64 s2, s9, v11
	v_and_b32_e32 v16, 0xff, v16
	s_delay_alu instid0(VALU_DEP_1) | instskip(SKIP_1) | instid1(SALU_CYCLE_1)
	v_cmp_le_u16_e64 s3, v15, v16
	s_and_b32 s2, s2, s3
	s_or_b32 s2, s4, s2
	s_delay_alu instid0(SALU_CYCLE_1) | instskip(SKIP_1) | instid1(VALU_DEP_2)
	v_cndmask_b32_e64 v9, v4, v11, s2
	v_cndmask_b32_e64 v15, v6, s9, s2
	v_add_nc_u32_e32 v9, 1, v9
	s_delay_alu instid0(VALU_DEP_1) | instskip(SKIP_4) | instid1(VALU_DEP_2)
	v_add_min_u32_e64 v15, v15, -1, v9
	ds_load_u8 v15, v15
	s_wait_dscnt 0x0
	v_dual_cndmask_b32 v16, v15, v14, s2 :: v_dual_cndmask_b32 v15, v13, v15, s2
	v_dual_cndmask_b32 v11, v11, v9, s2 :: v_dual_cndmask_b32 v4, v9, v4, s2
	v_and_b32_e32 v17, v16, v3
	s_delay_alu instid0(VALU_DEP_3) | instskip(NEXT) | instid1(VALU_DEP_3)
	v_and_b32_e32 v18, v15, v3
	v_cmp_gt_u32_e64 s3, s9, v11
	s_delay_alu instid0(VALU_DEP_4) | instskip(NEXT) | instid1(VALU_DEP_4)
	v_cmp_ge_u32_e64 s5, v4, v6
	v_and_b32_e32 v17, 0xff, v17
	s_delay_alu instid0(VALU_DEP_4) | instskip(NEXT) | instid1(VALU_DEP_1)
	v_and_b32_e32 v18, 0xff, v18
	v_cmp_le_u16_e64 s4, v17, v18
	s_and_b32 s3, s3, s4
	s_delay_alu instid0(SALU_CYCLE_1) | instskip(NEXT) | instid1(SALU_CYCLE_1)
	s_or_b32 s3, s5, s3
	v_cndmask_b32_e64 v9, v4, v11, s3
	v_cndmask_b32_e64 v17, v6, s9, s3
	s_delay_alu instid0(VALU_DEP_2) | instskip(NEXT) | instid1(VALU_DEP_1)
	v_add_nc_u32_e32 v9, 1, v9
	v_add_min_u32_e64 v17, v17, -1, v9
	ds_load_u8 v17, v17
	s_wait_dscnt 0x0
	v_cndmask_b32_e64 v18, v17, v16, s3
	s_delay_alu instid0(VALU_DEP_1) | instskip(SKIP_1) | instid1(VALU_DEP_2)
	v_dual_cndmask_b32 v17, v15, v17, s3 :: v_dual_bitop2_b32 v19, v18, v3 bitop3:0x40
	v_dual_cndmask_b32 v4, v9, v4, s3 :: v_dual_cndmask_b32 v11, v11, v9, s3
	v_and_b32_e32 v19, 0xff, v19
	s_delay_alu instid0(VALU_DEP_3) | instskip(NEXT) | instid1(VALU_DEP_3)
	v_and_b32_e32 v20, v17, v3
	v_cmp_ge_u32_e64 s6, v4, v6
	s_delay_alu instid0(VALU_DEP_4) | instskip(NEXT) | instid1(VALU_DEP_3)
	v_cmp_gt_u32_e64 s4, s9, v11
	v_and_b32_e32 v20, 0xff, v20
	s_delay_alu instid0(VALU_DEP_1) | instskip(SKIP_1) | instid1(SALU_CYCLE_1)
	v_cmp_le_u16_e64 s5, v19, v20
	s_and_b32 s4, s4, s5
	s_or_b32 s4, s6, s4
	s_delay_alu instid0(SALU_CYCLE_1) | instskip(SKIP_1) | instid1(VALU_DEP_2)
	v_cndmask_b32_e64 v9, v4, v11, s4
	v_cndmask_b32_e64 v19, v6, s9, s4
	v_add_nc_u32_e32 v9, 1, v9
	s_delay_alu instid0(VALU_DEP_1) | instskip(SKIP_4) | instid1(VALU_DEP_2)
	v_add_min_u32_e64 v19, v19, -1, v9
	ds_load_u8 v19, v19
	s_wait_dscnt 0x0
	v_dual_cndmask_b32 v20, v19, v18, s4 :: v_dual_cndmask_b32 v19, v17, v19, s4
	v_dual_cndmask_b32 v11, v11, v9, s4 :: v_dual_cndmask_b32 v4, v9, v4, s4
	v_and_b32_e32 v21, v20, v3
	s_delay_alu instid0(VALU_DEP_3) | instskip(NEXT) | instid1(VALU_DEP_3)
	v_and_b32_e32 v22, v19, v3
	v_cmp_gt_u32_e64 s5, s9, v11
	s_delay_alu instid0(VALU_DEP_4) | instskip(NEXT) | instid1(VALU_DEP_4)
	v_cmp_ge_u32_e64 s7, v4, v6
	v_and_b32_e32 v21, 0xff, v21
	s_delay_alu instid0(VALU_DEP_4) | instskip(NEXT) | instid1(VALU_DEP_1)
	v_and_b32_e32 v22, 0xff, v22
	v_cmp_le_u16_e64 s6, v21, v22
	s_and_b32 s5, s5, s6
	s_delay_alu instid0(SALU_CYCLE_1) | instskip(NEXT) | instid1(SALU_CYCLE_1)
	s_or_b32 s5, s7, s5
	v_cndmask_b32_e64 v9, v4, v11, s5
	v_cndmask_b32_e64 v21, v6, s9, s5
	s_delay_alu instid0(VALU_DEP_2) | instskip(NEXT) | instid1(VALU_DEP_1)
	v_add_nc_u32_e32 v9, 1, v9
	v_add_min_u32_e64 v21, v21, -1, v9
	ds_load_u8 v21, v21
	s_wait_dscnt 0x0
	v_dual_cndmask_b32 v22, v21, v20, s5 :: v_dual_cndmask_b32 v21, v19, v21, s5
	s_delay_alu instid0(VALU_DEP_1) | instskip(NEXT) | instid1(VALU_DEP_2)
	v_and_b32_e32 v23, v22, v3
	v_dual_cndmask_b32 v1, v11, v9, s5 :: v_dual_bitop2_b32 v3, v21, v3 bitop3:0x40
	v_dual_cndmask_b32 v7, v8, v7, s0 :: v_dual_cndmask_b32 v9, v9, v4, s5
	s_delay_alu instid0(VALU_DEP_3) | instskip(NEXT) | instid1(VALU_DEP_3)
	v_and_b32_e32 v11, 0xff, v23
	v_and_b32_e32 v3, 0xff, v3
	s_delay_alu instid0(VALU_DEP_4) | instskip(SKIP_2) | instid1(VALU_DEP_4)
	v_cmp_gt_u32_e32 vcc_lo, s9, v1
	v_dual_cndmask_b32 v8, v12, v10, s1 :: v_dual_cndmask_b32 v4, v14, v13, s2
	v_cmp_ge_u32_e64 s1, v9, v6
	v_cmp_le_u16_e64 s0, v11, v3
	v_dual_cndmask_b32 v1, v16, v15, s3 :: v_dual_cndmask_b32 v9, v18, v17, s4
	s_and_b32 s0, vcc_lo, s0
	s_delay_alu instid0(SALU_CYCLE_1) | instskip(NEXT) | instid1(SALU_CYCLE_1)
	s_or_b32 vcc_lo, s1, s0
	v_dual_cndmask_b32 v10, v20, v19, s5 :: v_dual_cndmask_b32 v11, v22, v21, vcc_lo
.LBB1699_31:
	s_or_b32 exec_lo, exec_lo, s11
	v_dual_mov_b32 v3, 0 :: v_dual_lshrrev_b32 v6, 2, v2
	v_perm_b32 v1, v1, v9, 0xc0c0004
	s_delay_alu instid0(VALU_DEP_3)
	v_perm_b32 v9, v10, v11, 0xc0c0004
	v_perm_b32 v0, v0, v7, 0xc0c0004
	;; [unrolled: 1-line block ×3, first 2 shown]
	v_and_b32_e32 v6, 0xfc, v6
	v_add_nc_u32_e32 v10, 0x80, v2
	v_add_nc_u32_e32 v8, 0x100, v2
	v_lshl_or_b32 v1, v9, 16, v1
	v_lshl_or_b32 v0, v4, 16, v0
	v_dual_add_nc_u32 v5, v6, v5 :: v_dual_lshrrev_b32 v4, 5, v2
	s_delay_alu instid0(VALU_DEP_4)
	v_dual_lshrrev_b32 v6, 5, v10 :: v_dual_lshrrev_b32 v7, 5, v8
	s_wait_dscnt 0x0
	s_barrier_signal -1
	s_barrier_wait -1
	s_barrier_signal -1
	s_barrier_wait -1
	ds_store_2addr_b32 v5, v0, v1 offset1:1
	v_and_b32_e32 v13, 60, v7
	v_add_nc_u32_e32 v9, 0x180, v2
	v_and_b32_e32 v11, 28, v4
	v_add_nc_u32_e32 v7, 0x200, v2
	v_and_b32_e32 v12, 60, v6
	v_add_nc_u32_e32 v6, 0x280, v2
	v_add_nc_u32_e32 v5, 0x300, v2
	v_add_nc_u32_e32 v4, 0x380, v2
	v_dual_lshrrev_b32 v0, 5, v9 :: v_dual_lshrrev_b32 v1, 5, v7
	s_delay_alu instid0(VALU_DEP_3) | instskip(NEXT) | instid1(VALU_DEP_3)
	v_dual_lshrrev_b32 v14, 5, v6 :: v_dual_lshrrev_b32 v15, 5, v5
	v_lshrrev_b32_e32 v16, 5, v4
	s_mov_b32 s11, 0
	s_delay_alu instid0(VALU_DEP_3) | instskip(SKIP_2) | instid1(VALU_DEP_3)
	v_dual_add_nc_u32 v12, v12, v2 :: v_dual_bitop2_b32 v17, 60, v0 bitop3:0x40
	v_dual_add_nc_u32 v13, v13, v2 :: v_dual_bitop2_b32 v18, 60, v1 bitop3:0x40
	v_and_b32_e32 v19, 60, v14
	v_dual_add_nc_u32 v14, v17, v2 :: v_dual_bitop2_b32 v20, 60, v15 bitop3:0x40
	s_delay_alu instid0(VALU_DEP_3) | instskip(SKIP_1) | instid1(VALU_DEP_2)
	v_dual_add_nc_u32 v15, v18, v2 :: v_dual_bitop2_b32 v21, 60, v16 bitop3:0x40
	s_add_nc_u64 s[0:1], s[14:15], s[10:11]
	v_dual_add_nc_u32 v16, v19, v2 :: v_dual_add_nc_u32 v17, v20, v2
	v_add_nc_u64_e32 v[0:1], s[0:1], v[2:3]
	s_delay_alu instid0(VALU_DEP_3)
	v_add_nc_u32_e32 v18, v21, v2
	s_and_b32 vcc_lo, exec_lo, s16
	s_wait_dscnt 0x0
	s_cbranch_vccz .LBB1699_33
; %bb.32:
	v_add_nc_u32_e32 v3, v11, v2
	s_barrier_signal -1
	s_barrier_wait -1
	ds_load_u8 v19, v3
	ds_load_u8 v20, v12 offset:128
	ds_load_u8 v21, v13 offset:256
	;; [unrolled: 1-line block ×7, first 2 shown]
	s_mov_b32 s11, -1
	s_wait_dscnt 0x7
	global_store_b8 v[0:1], v19, off
	s_wait_dscnt 0x6
	global_store_b8 v[0:1], v20, off offset:128
	s_wait_dscnt 0x5
	global_store_b8 v[0:1], v21, off offset:256
	;; [unrolled: 2-line block ×6, first 2 shown]
	s_cbranch_execz .LBB1699_34
	s_branch .LBB1699_43
.LBB1699_33:
                                        ; implicit-def: $vgpr3
.LBB1699_34:
	s_barrier_signal -1
	s_barrier_wait -1
	s_wait_storecnt_dscnt 0x0
	s_wait_xcnt 0x4
	ds_load_u8 v21, v12 offset:128
	ds_load_u8 v20, v13 offset:256
	;; [unrolled: 1-line block ×7, first 2 shown]
	s_sub_co_i32 s0, s8, s10
	s_mov_b32 s1, exec_lo
	s_wait_xcnt 0x0
	v_cmpx_gt_u32_e64 s0, v2
	s_cbranch_execnz .LBB1699_46
; %bb.35:
	s_or_b32 exec_lo, exec_lo, s1
	s_delay_alu instid0(SALU_CYCLE_1)
	s_mov_b32 s1, exec_lo
	v_cmpx_gt_u32_e64 s0, v10
	s_cbranch_execnz .LBB1699_47
.LBB1699_36:
	s_or_b32 exec_lo, exec_lo, s1
	s_delay_alu instid0(SALU_CYCLE_1)
	s_mov_b32 s1, exec_lo
	v_cmpx_gt_u32_e64 s0, v8
	s_cbranch_execnz .LBB1699_48
.LBB1699_37:
	s_or_b32 exec_lo, exec_lo, s1
	s_delay_alu instid0(SALU_CYCLE_1)
	s_mov_b32 s1, exec_lo
	v_cmpx_gt_u32_e64 s0, v9
	s_cbranch_execnz .LBB1699_49
.LBB1699_38:
	s_or_b32 exec_lo, exec_lo, s1
	s_delay_alu instid0(SALU_CYCLE_1)
	s_mov_b32 s1, exec_lo
	v_cmpx_gt_u32_e64 s0, v7
	s_cbranch_execnz .LBB1699_50
.LBB1699_39:
	s_or_b32 exec_lo, exec_lo, s1
	s_delay_alu instid0(SALU_CYCLE_1)
	s_mov_b32 s1, exec_lo
	v_cmpx_gt_u32_e64 s0, v6
	s_cbranch_execnz .LBB1699_51
.LBB1699_40:
	s_or_b32 exec_lo, exec_lo, s1
	s_delay_alu instid0(SALU_CYCLE_1)
	s_mov_b32 s1, exec_lo
	v_cmpx_gt_u32_e64 s0, v5
	s_cbranch_execz .LBB1699_42
.LBB1699_41:
	s_wait_dscnt 0x1
	global_store_b8 v[0:1], v12, off offset:768
.LBB1699_42:
	s_wait_xcnt 0x0
	s_or_b32 exec_lo, exec_lo, s1
	v_cmp_gt_u32_e64 s11, s0, v4
.LBB1699_43:
	s_wait_xcnt 0x0
	s_delay_alu instid0(VALU_DEP_1)
	s_and_saveexec_b32 s0, s11
	s_cbranch_execz .LBB1699_45
; %bb.44:
	s_wait_dscnt 0x0
	global_store_b8 v[0:1], v3, off offset:896
.LBB1699_45:
	s_endpgm
.LBB1699_46:
	v_add_nc_u32_e32 v2, v11, v2
	ds_load_u8 v2, v2
	s_wait_dscnt 0x0
	global_store_b8 v[0:1], v2, off
	s_wait_xcnt 0x0
	s_or_b32 exec_lo, exec_lo, s1
	s_delay_alu instid0(SALU_CYCLE_1)
	s_mov_b32 s1, exec_lo
	v_cmpx_gt_u32_e64 s0, v10
	s_cbranch_execz .LBB1699_36
.LBB1699_47:
	s_wait_dscnt 0x6
	global_store_b8 v[0:1], v21, off offset:128
	s_wait_xcnt 0x0
	s_or_b32 exec_lo, exec_lo, s1
	s_delay_alu instid0(SALU_CYCLE_1)
	s_mov_b32 s1, exec_lo
	v_cmpx_gt_u32_e64 s0, v8
	s_cbranch_execz .LBB1699_37
.LBB1699_48:
	s_wait_dscnt 0x5
	global_store_b8 v[0:1], v20, off offset:256
	s_wait_xcnt 0x0
	s_or_b32 exec_lo, exec_lo, s1
	s_delay_alu instid0(SALU_CYCLE_1)
	s_mov_b32 s1, exec_lo
	v_cmpx_gt_u32_e64 s0, v9
	s_cbranch_execz .LBB1699_38
.LBB1699_49:
	s_wait_dscnt 0x4
	global_store_b8 v[0:1], v19, off offset:384
	s_wait_xcnt 0x0
	s_or_b32 exec_lo, exec_lo, s1
	s_delay_alu instid0(SALU_CYCLE_1)
	s_mov_b32 s1, exec_lo
	v_cmpx_gt_u32_e64 s0, v7
	s_cbranch_execz .LBB1699_39
.LBB1699_50:
	s_wait_dscnt 0x3
	global_store_b8 v[0:1], v14, off offset:512
	s_wait_xcnt 0x0
	s_or_b32 exec_lo, exec_lo, s1
	s_delay_alu instid0(SALU_CYCLE_1)
	s_mov_b32 s1, exec_lo
	v_cmpx_gt_u32_e64 s0, v6
	s_cbranch_execz .LBB1699_40
.LBB1699_51:
	s_wait_dscnt 0x2
	global_store_b8 v[0:1], v13, off offset:640
	s_wait_xcnt 0x0
	s_or_b32 exec_lo, exec_lo, s1
	s_delay_alu instid0(SALU_CYCLE_1)
	s_mov_b32 s1, exec_lo
	v_cmpx_gt_u32_e64 s0, v5
	s_cbranch_execnz .LBB1699_41
	s_branch .LBB1699_42
	.section	.rodata,"a",@progbits
	.p2align	6, 0x0
	.amdhsa_kernel _ZN7rocprim17ROCPRIM_400000_NS6detail17trampoline_kernelINS0_14default_configENS1_38merge_sort_block_merge_config_selectorIbNS0_10empty_typeEEEZZNS1_27merge_sort_block_merge_implIS3_PbPS5_jNS1_19radix_merge_compareILb1ELb1EbNS0_19identity_decomposerEEEEE10hipError_tT0_T1_T2_jT3_P12ihipStream_tbPNSt15iterator_traitsISE_E10value_typeEPNSK_ISF_E10value_typeEPSG_NS1_7vsmem_tEENKUlT_SE_SF_SG_E_clIS8_S8_S9_S9_EESD_ST_SE_SF_SG_EUlST_E0_NS1_11comp_targetILNS1_3genE0ELNS1_11target_archE4294967295ELNS1_3gpuE0ELNS1_3repE0EEENS1_38merge_mergepath_config_static_selectorELNS0_4arch9wavefront6targetE0EEEvSF_
		.amdhsa_group_segment_fixed_size 1568
		.amdhsa_private_segment_fixed_size 0
		.amdhsa_kernarg_size 320
		.amdhsa_user_sgpr_count 4
		.amdhsa_user_sgpr_dispatch_ptr 1
		.amdhsa_user_sgpr_queue_ptr 0
		.amdhsa_user_sgpr_kernarg_segment_ptr 1
		.amdhsa_user_sgpr_dispatch_id 0
		.amdhsa_user_sgpr_kernarg_preload_length 0
		.amdhsa_user_sgpr_kernarg_preload_offset 0
		.amdhsa_user_sgpr_private_segment_size 0
		.amdhsa_wavefront_size32 1
		.amdhsa_uses_dynamic_stack 0
		.amdhsa_enable_private_segment 0
		.amdhsa_system_sgpr_workgroup_id_x 1
		.amdhsa_system_sgpr_workgroup_id_y 1
		.amdhsa_system_sgpr_workgroup_id_z 1
		.amdhsa_system_sgpr_workgroup_info 0
		.amdhsa_system_vgpr_workitem_id 2
		.amdhsa_next_free_vgpr 26
		.amdhsa_next_free_sgpr 22
		.amdhsa_named_barrier_count 0
		.amdhsa_reserve_vcc 1
		.amdhsa_float_round_mode_32 0
		.amdhsa_float_round_mode_16_64 0
		.amdhsa_float_denorm_mode_32 3
		.amdhsa_float_denorm_mode_16_64 3
		.amdhsa_fp16_overflow 0
		.amdhsa_memory_ordered 1
		.amdhsa_forward_progress 1
		.amdhsa_inst_pref_size 36
		.amdhsa_round_robin_scheduling 0
		.amdhsa_exception_fp_ieee_invalid_op 0
		.amdhsa_exception_fp_denorm_src 0
		.amdhsa_exception_fp_ieee_div_zero 0
		.amdhsa_exception_fp_ieee_overflow 0
		.amdhsa_exception_fp_ieee_underflow 0
		.amdhsa_exception_fp_ieee_inexact 0
		.amdhsa_exception_int_div_zero 0
	.end_amdhsa_kernel
	.section	.text._ZN7rocprim17ROCPRIM_400000_NS6detail17trampoline_kernelINS0_14default_configENS1_38merge_sort_block_merge_config_selectorIbNS0_10empty_typeEEEZZNS1_27merge_sort_block_merge_implIS3_PbPS5_jNS1_19radix_merge_compareILb1ELb1EbNS0_19identity_decomposerEEEEE10hipError_tT0_T1_T2_jT3_P12ihipStream_tbPNSt15iterator_traitsISE_E10value_typeEPNSK_ISF_E10value_typeEPSG_NS1_7vsmem_tEENKUlT_SE_SF_SG_E_clIS8_S8_S9_S9_EESD_ST_SE_SF_SG_EUlST_E0_NS1_11comp_targetILNS1_3genE0ELNS1_11target_archE4294967295ELNS1_3gpuE0ELNS1_3repE0EEENS1_38merge_mergepath_config_static_selectorELNS0_4arch9wavefront6targetE0EEEvSF_,"axG",@progbits,_ZN7rocprim17ROCPRIM_400000_NS6detail17trampoline_kernelINS0_14default_configENS1_38merge_sort_block_merge_config_selectorIbNS0_10empty_typeEEEZZNS1_27merge_sort_block_merge_implIS3_PbPS5_jNS1_19radix_merge_compareILb1ELb1EbNS0_19identity_decomposerEEEEE10hipError_tT0_T1_T2_jT3_P12ihipStream_tbPNSt15iterator_traitsISE_E10value_typeEPNSK_ISF_E10value_typeEPSG_NS1_7vsmem_tEENKUlT_SE_SF_SG_E_clIS8_S8_S9_S9_EESD_ST_SE_SF_SG_EUlST_E0_NS1_11comp_targetILNS1_3genE0ELNS1_11target_archE4294967295ELNS1_3gpuE0ELNS1_3repE0EEENS1_38merge_mergepath_config_static_selectorELNS0_4arch9wavefront6targetE0EEEvSF_,comdat
.Lfunc_end1699:
	.size	_ZN7rocprim17ROCPRIM_400000_NS6detail17trampoline_kernelINS0_14default_configENS1_38merge_sort_block_merge_config_selectorIbNS0_10empty_typeEEEZZNS1_27merge_sort_block_merge_implIS3_PbPS5_jNS1_19radix_merge_compareILb1ELb1EbNS0_19identity_decomposerEEEEE10hipError_tT0_T1_T2_jT3_P12ihipStream_tbPNSt15iterator_traitsISE_E10value_typeEPNSK_ISF_E10value_typeEPSG_NS1_7vsmem_tEENKUlT_SE_SF_SG_E_clIS8_S8_S9_S9_EESD_ST_SE_SF_SG_EUlST_E0_NS1_11comp_targetILNS1_3genE0ELNS1_11target_archE4294967295ELNS1_3gpuE0ELNS1_3repE0EEENS1_38merge_mergepath_config_static_selectorELNS0_4arch9wavefront6targetE0EEEvSF_, .Lfunc_end1699-_ZN7rocprim17ROCPRIM_400000_NS6detail17trampoline_kernelINS0_14default_configENS1_38merge_sort_block_merge_config_selectorIbNS0_10empty_typeEEEZZNS1_27merge_sort_block_merge_implIS3_PbPS5_jNS1_19radix_merge_compareILb1ELb1EbNS0_19identity_decomposerEEEEE10hipError_tT0_T1_T2_jT3_P12ihipStream_tbPNSt15iterator_traitsISE_E10value_typeEPNSK_ISF_E10value_typeEPSG_NS1_7vsmem_tEENKUlT_SE_SF_SG_E_clIS8_S8_S9_S9_EESD_ST_SE_SF_SG_EUlST_E0_NS1_11comp_targetILNS1_3genE0ELNS1_11target_archE4294967295ELNS1_3gpuE0ELNS1_3repE0EEENS1_38merge_mergepath_config_static_selectorELNS0_4arch9wavefront6targetE0EEEvSF_
                                        ; -- End function
	.set _ZN7rocprim17ROCPRIM_400000_NS6detail17trampoline_kernelINS0_14default_configENS1_38merge_sort_block_merge_config_selectorIbNS0_10empty_typeEEEZZNS1_27merge_sort_block_merge_implIS3_PbPS5_jNS1_19radix_merge_compareILb1ELb1EbNS0_19identity_decomposerEEEEE10hipError_tT0_T1_T2_jT3_P12ihipStream_tbPNSt15iterator_traitsISE_E10value_typeEPNSK_ISF_E10value_typeEPSG_NS1_7vsmem_tEENKUlT_SE_SF_SG_E_clIS8_S8_S9_S9_EESD_ST_SE_SF_SG_EUlST_E0_NS1_11comp_targetILNS1_3genE0ELNS1_11target_archE4294967295ELNS1_3gpuE0ELNS1_3repE0EEENS1_38merge_mergepath_config_static_selectorELNS0_4arch9wavefront6targetE0EEEvSF_.num_vgpr, 26
	.set _ZN7rocprim17ROCPRIM_400000_NS6detail17trampoline_kernelINS0_14default_configENS1_38merge_sort_block_merge_config_selectorIbNS0_10empty_typeEEEZZNS1_27merge_sort_block_merge_implIS3_PbPS5_jNS1_19radix_merge_compareILb1ELb1EbNS0_19identity_decomposerEEEEE10hipError_tT0_T1_T2_jT3_P12ihipStream_tbPNSt15iterator_traitsISE_E10value_typeEPNSK_ISF_E10value_typeEPSG_NS1_7vsmem_tEENKUlT_SE_SF_SG_E_clIS8_S8_S9_S9_EESD_ST_SE_SF_SG_EUlST_E0_NS1_11comp_targetILNS1_3genE0ELNS1_11target_archE4294967295ELNS1_3gpuE0ELNS1_3repE0EEENS1_38merge_mergepath_config_static_selectorELNS0_4arch9wavefront6targetE0EEEvSF_.num_agpr, 0
	.set _ZN7rocprim17ROCPRIM_400000_NS6detail17trampoline_kernelINS0_14default_configENS1_38merge_sort_block_merge_config_selectorIbNS0_10empty_typeEEEZZNS1_27merge_sort_block_merge_implIS3_PbPS5_jNS1_19radix_merge_compareILb1ELb1EbNS0_19identity_decomposerEEEEE10hipError_tT0_T1_T2_jT3_P12ihipStream_tbPNSt15iterator_traitsISE_E10value_typeEPNSK_ISF_E10value_typeEPSG_NS1_7vsmem_tEENKUlT_SE_SF_SG_E_clIS8_S8_S9_S9_EESD_ST_SE_SF_SG_EUlST_E0_NS1_11comp_targetILNS1_3genE0ELNS1_11target_archE4294967295ELNS1_3gpuE0ELNS1_3repE0EEENS1_38merge_mergepath_config_static_selectorELNS0_4arch9wavefront6targetE0EEEvSF_.numbered_sgpr, 22
	.set _ZN7rocprim17ROCPRIM_400000_NS6detail17trampoline_kernelINS0_14default_configENS1_38merge_sort_block_merge_config_selectorIbNS0_10empty_typeEEEZZNS1_27merge_sort_block_merge_implIS3_PbPS5_jNS1_19radix_merge_compareILb1ELb1EbNS0_19identity_decomposerEEEEE10hipError_tT0_T1_T2_jT3_P12ihipStream_tbPNSt15iterator_traitsISE_E10value_typeEPNSK_ISF_E10value_typeEPSG_NS1_7vsmem_tEENKUlT_SE_SF_SG_E_clIS8_S8_S9_S9_EESD_ST_SE_SF_SG_EUlST_E0_NS1_11comp_targetILNS1_3genE0ELNS1_11target_archE4294967295ELNS1_3gpuE0ELNS1_3repE0EEENS1_38merge_mergepath_config_static_selectorELNS0_4arch9wavefront6targetE0EEEvSF_.num_named_barrier, 0
	.set _ZN7rocprim17ROCPRIM_400000_NS6detail17trampoline_kernelINS0_14default_configENS1_38merge_sort_block_merge_config_selectorIbNS0_10empty_typeEEEZZNS1_27merge_sort_block_merge_implIS3_PbPS5_jNS1_19radix_merge_compareILb1ELb1EbNS0_19identity_decomposerEEEEE10hipError_tT0_T1_T2_jT3_P12ihipStream_tbPNSt15iterator_traitsISE_E10value_typeEPNSK_ISF_E10value_typeEPSG_NS1_7vsmem_tEENKUlT_SE_SF_SG_E_clIS8_S8_S9_S9_EESD_ST_SE_SF_SG_EUlST_E0_NS1_11comp_targetILNS1_3genE0ELNS1_11target_archE4294967295ELNS1_3gpuE0ELNS1_3repE0EEENS1_38merge_mergepath_config_static_selectorELNS0_4arch9wavefront6targetE0EEEvSF_.private_seg_size, 0
	.set _ZN7rocprim17ROCPRIM_400000_NS6detail17trampoline_kernelINS0_14default_configENS1_38merge_sort_block_merge_config_selectorIbNS0_10empty_typeEEEZZNS1_27merge_sort_block_merge_implIS3_PbPS5_jNS1_19radix_merge_compareILb1ELb1EbNS0_19identity_decomposerEEEEE10hipError_tT0_T1_T2_jT3_P12ihipStream_tbPNSt15iterator_traitsISE_E10value_typeEPNSK_ISF_E10value_typeEPSG_NS1_7vsmem_tEENKUlT_SE_SF_SG_E_clIS8_S8_S9_S9_EESD_ST_SE_SF_SG_EUlST_E0_NS1_11comp_targetILNS1_3genE0ELNS1_11target_archE4294967295ELNS1_3gpuE0ELNS1_3repE0EEENS1_38merge_mergepath_config_static_selectorELNS0_4arch9wavefront6targetE0EEEvSF_.uses_vcc, 1
	.set _ZN7rocprim17ROCPRIM_400000_NS6detail17trampoline_kernelINS0_14default_configENS1_38merge_sort_block_merge_config_selectorIbNS0_10empty_typeEEEZZNS1_27merge_sort_block_merge_implIS3_PbPS5_jNS1_19radix_merge_compareILb1ELb1EbNS0_19identity_decomposerEEEEE10hipError_tT0_T1_T2_jT3_P12ihipStream_tbPNSt15iterator_traitsISE_E10value_typeEPNSK_ISF_E10value_typeEPSG_NS1_7vsmem_tEENKUlT_SE_SF_SG_E_clIS8_S8_S9_S9_EESD_ST_SE_SF_SG_EUlST_E0_NS1_11comp_targetILNS1_3genE0ELNS1_11target_archE4294967295ELNS1_3gpuE0ELNS1_3repE0EEENS1_38merge_mergepath_config_static_selectorELNS0_4arch9wavefront6targetE0EEEvSF_.uses_flat_scratch, 0
	.set _ZN7rocprim17ROCPRIM_400000_NS6detail17trampoline_kernelINS0_14default_configENS1_38merge_sort_block_merge_config_selectorIbNS0_10empty_typeEEEZZNS1_27merge_sort_block_merge_implIS3_PbPS5_jNS1_19radix_merge_compareILb1ELb1EbNS0_19identity_decomposerEEEEE10hipError_tT0_T1_T2_jT3_P12ihipStream_tbPNSt15iterator_traitsISE_E10value_typeEPNSK_ISF_E10value_typeEPSG_NS1_7vsmem_tEENKUlT_SE_SF_SG_E_clIS8_S8_S9_S9_EESD_ST_SE_SF_SG_EUlST_E0_NS1_11comp_targetILNS1_3genE0ELNS1_11target_archE4294967295ELNS1_3gpuE0ELNS1_3repE0EEENS1_38merge_mergepath_config_static_selectorELNS0_4arch9wavefront6targetE0EEEvSF_.has_dyn_sized_stack, 0
	.set _ZN7rocprim17ROCPRIM_400000_NS6detail17trampoline_kernelINS0_14default_configENS1_38merge_sort_block_merge_config_selectorIbNS0_10empty_typeEEEZZNS1_27merge_sort_block_merge_implIS3_PbPS5_jNS1_19radix_merge_compareILb1ELb1EbNS0_19identity_decomposerEEEEE10hipError_tT0_T1_T2_jT3_P12ihipStream_tbPNSt15iterator_traitsISE_E10value_typeEPNSK_ISF_E10value_typeEPSG_NS1_7vsmem_tEENKUlT_SE_SF_SG_E_clIS8_S8_S9_S9_EESD_ST_SE_SF_SG_EUlST_E0_NS1_11comp_targetILNS1_3genE0ELNS1_11target_archE4294967295ELNS1_3gpuE0ELNS1_3repE0EEENS1_38merge_mergepath_config_static_selectorELNS0_4arch9wavefront6targetE0EEEvSF_.has_recursion, 0
	.set _ZN7rocprim17ROCPRIM_400000_NS6detail17trampoline_kernelINS0_14default_configENS1_38merge_sort_block_merge_config_selectorIbNS0_10empty_typeEEEZZNS1_27merge_sort_block_merge_implIS3_PbPS5_jNS1_19radix_merge_compareILb1ELb1EbNS0_19identity_decomposerEEEEE10hipError_tT0_T1_T2_jT3_P12ihipStream_tbPNSt15iterator_traitsISE_E10value_typeEPNSK_ISF_E10value_typeEPSG_NS1_7vsmem_tEENKUlT_SE_SF_SG_E_clIS8_S8_S9_S9_EESD_ST_SE_SF_SG_EUlST_E0_NS1_11comp_targetILNS1_3genE0ELNS1_11target_archE4294967295ELNS1_3gpuE0ELNS1_3repE0EEENS1_38merge_mergepath_config_static_selectorELNS0_4arch9wavefront6targetE0EEEvSF_.has_indirect_call, 0
	.section	.AMDGPU.csdata,"",@progbits
; Kernel info:
; codeLenInByte = 4564
; TotalNumSgprs: 24
; NumVgprs: 26
; ScratchSize: 0
; MemoryBound: 0
; FloatMode: 240
; IeeeMode: 1
; LDSByteSize: 1568 bytes/workgroup (compile time only)
; SGPRBlocks: 0
; VGPRBlocks: 1
; NumSGPRsForWavesPerEU: 24
; NumVGPRsForWavesPerEU: 26
; NamedBarCnt: 0
; Occupancy: 16
; WaveLimiterHint : 1
; COMPUTE_PGM_RSRC2:SCRATCH_EN: 0
; COMPUTE_PGM_RSRC2:USER_SGPR: 4
; COMPUTE_PGM_RSRC2:TRAP_HANDLER: 0
; COMPUTE_PGM_RSRC2:TGID_X_EN: 1
; COMPUTE_PGM_RSRC2:TGID_Y_EN: 1
; COMPUTE_PGM_RSRC2:TGID_Z_EN: 1
; COMPUTE_PGM_RSRC2:TIDIG_COMP_CNT: 2
	.section	.text._ZN7rocprim17ROCPRIM_400000_NS6detail17trampoline_kernelINS0_14default_configENS1_38merge_sort_block_merge_config_selectorIbNS0_10empty_typeEEEZZNS1_27merge_sort_block_merge_implIS3_PbPS5_jNS1_19radix_merge_compareILb1ELb1EbNS0_19identity_decomposerEEEEE10hipError_tT0_T1_T2_jT3_P12ihipStream_tbPNSt15iterator_traitsISE_E10value_typeEPNSK_ISF_E10value_typeEPSG_NS1_7vsmem_tEENKUlT_SE_SF_SG_E_clIS8_S8_S9_S9_EESD_ST_SE_SF_SG_EUlST_E0_NS1_11comp_targetILNS1_3genE10ELNS1_11target_archE1201ELNS1_3gpuE5ELNS1_3repE0EEENS1_38merge_mergepath_config_static_selectorELNS0_4arch9wavefront6targetE0EEEvSF_,"axG",@progbits,_ZN7rocprim17ROCPRIM_400000_NS6detail17trampoline_kernelINS0_14default_configENS1_38merge_sort_block_merge_config_selectorIbNS0_10empty_typeEEEZZNS1_27merge_sort_block_merge_implIS3_PbPS5_jNS1_19radix_merge_compareILb1ELb1EbNS0_19identity_decomposerEEEEE10hipError_tT0_T1_T2_jT3_P12ihipStream_tbPNSt15iterator_traitsISE_E10value_typeEPNSK_ISF_E10value_typeEPSG_NS1_7vsmem_tEENKUlT_SE_SF_SG_E_clIS8_S8_S9_S9_EESD_ST_SE_SF_SG_EUlST_E0_NS1_11comp_targetILNS1_3genE10ELNS1_11target_archE1201ELNS1_3gpuE5ELNS1_3repE0EEENS1_38merge_mergepath_config_static_selectorELNS0_4arch9wavefront6targetE0EEEvSF_,comdat
	.protected	_ZN7rocprim17ROCPRIM_400000_NS6detail17trampoline_kernelINS0_14default_configENS1_38merge_sort_block_merge_config_selectorIbNS0_10empty_typeEEEZZNS1_27merge_sort_block_merge_implIS3_PbPS5_jNS1_19radix_merge_compareILb1ELb1EbNS0_19identity_decomposerEEEEE10hipError_tT0_T1_T2_jT3_P12ihipStream_tbPNSt15iterator_traitsISE_E10value_typeEPNSK_ISF_E10value_typeEPSG_NS1_7vsmem_tEENKUlT_SE_SF_SG_E_clIS8_S8_S9_S9_EESD_ST_SE_SF_SG_EUlST_E0_NS1_11comp_targetILNS1_3genE10ELNS1_11target_archE1201ELNS1_3gpuE5ELNS1_3repE0EEENS1_38merge_mergepath_config_static_selectorELNS0_4arch9wavefront6targetE0EEEvSF_ ; -- Begin function _ZN7rocprim17ROCPRIM_400000_NS6detail17trampoline_kernelINS0_14default_configENS1_38merge_sort_block_merge_config_selectorIbNS0_10empty_typeEEEZZNS1_27merge_sort_block_merge_implIS3_PbPS5_jNS1_19radix_merge_compareILb1ELb1EbNS0_19identity_decomposerEEEEE10hipError_tT0_T1_T2_jT3_P12ihipStream_tbPNSt15iterator_traitsISE_E10value_typeEPNSK_ISF_E10value_typeEPSG_NS1_7vsmem_tEENKUlT_SE_SF_SG_E_clIS8_S8_S9_S9_EESD_ST_SE_SF_SG_EUlST_E0_NS1_11comp_targetILNS1_3genE10ELNS1_11target_archE1201ELNS1_3gpuE5ELNS1_3repE0EEENS1_38merge_mergepath_config_static_selectorELNS0_4arch9wavefront6targetE0EEEvSF_
	.globl	_ZN7rocprim17ROCPRIM_400000_NS6detail17trampoline_kernelINS0_14default_configENS1_38merge_sort_block_merge_config_selectorIbNS0_10empty_typeEEEZZNS1_27merge_sort_block_merge_implIS3_PbPS5_jNS1_19radix_merge_compareILb1ELb1EbNS0_19identity_decomposerEEEEE10hipError_tT0_T1_T2_jT3_P12ihipStream_tbPNSt15iterator_traitsISE_E10value_typeEPNSK_ISF_E10value_typeEPSG_NS1_7vsmem_tEENKUlT_SE_SF_SG_E_clIS8_S8_S9_S9_EESD_ST_SE_SF_SG_EUlST_E0_NS1_11comp_targetILNS1_3genE10ELNS1_11target_archE1201ELNS1_3gpuE5ELNS1_3repE0EEENS1_38merge_mergepath_config_static_selectorELNS0_4arch9wavefront6targetE0EEEvSF_
	.p2align	8
	.type	_ZN7rocprim17ROCPRIM_400000_NS6detail17trampoline_kernelINS0_14default_configENS1_38merge_sort_block_merge_config_selectorIbNS0_10empty_typeEEEZZNS1_27merge_sort_block_merge_implIS3_PbPS5_jNS1_19radix_merge_compareILb1ELb1EbNS0_19identity_decomposerEEEEE10hipError_tT0_T1_T2_jT3_P12ihipStream_tbPNSt15iterator_traitsISE_E10value_typeEPNSK_ISF_E10value_typeEPSG_NS1_7vsmem_tEENKUlT_SE_SF_SG_E_clIS8_S8_S9_S9_EESD_ST_SE_SF_SG_EUlST_E0_NS1_11comp_targetILNS1_3genE10ELNS1_11target_archE1201ELNS1_3gpuE5ELNS1_3repE0EEENS1_38merge_mergepath_config_static_selectorELNS0_4arch9wavefront6targetE0EEEvSF_,@function
_ZN7rocprim17ROCPRIM_400000_NS6detail17trampoline_kernelINS0_14default_configENS1_38merge_sort_block_merge_config_selectorIbNS0_10empty_typeEEEZZNS1_27merge_sort_block_merge_implIS3_PbPS5_jNS1_19radix_merge_compareILb1ELb1EbNS0_19identity_decomposerEEEEE10hipError_tT0_T1_T2_jT3_P12ihipStream_tbPNSt15iterator_traitsISE_E10value_typeEPNSK_ISF_E10value_typeEPSG_NS1_7vsmem_tEENKUlT_SE_SF_SG_E_clIS8_S8_S9_S9_EESD_ST_SE_SF_SG_EUlST_E0_NS1_11comp_targetILNS1_3genE10ELNS1_11target_archE1201ELNS1_3gpuE5ELNS1_3repE0EEENS1_38merge_mergepath_config_static_selectorELNS0_4arch9wavefront6targetE0EEEvSF_: ; @_ZN7rocprim17ROCPRIM_400000_NS6detail17trampoline_kernelINS0_14default_configENS1_38merge_sort_block_merge_config_selectorIbNS0_10empty_typeEEEZZNS1_27merge_sort_block_merge_implIS3_PbPS5_jNS1_19radix_merge_compareILb1ELb1EbNS0_19identity_decomposerEEEEE10hipError_tT0_T1_T2_jT3_P12ihipStream_tbPNSt15iterator_traitsISE_E10value_typeEPNSK_ISF_E10value_typeEPSG_NS1_7vsmem_tEENKUlT_SE_SF_SG_E_clIS8_S8_S9_S9_EESD_ST_SE_SF_SG_EUlST_E0_NS1_11comp_targetILNS1_3genE10ELNS1_11target_archE1201ELNS1_3gpuE5ELNS1_3repE0EEENS1_38merge_mergepath_config_static_selectorELNS0_4arch9wavefront6targetE0EEEvSF_
; %bb.0:
	.section	.rodata,"a",@progbits
	.p2align	6, 0x0
	.amdhsa_kernel _ZN7rocprim17ROCPRIM_400000_NS6detail17trampoline_kernelINS0_14default_configENS1_38merge_sort_block_merge_config_selectorIbNS0_10empty_typeEEEZZNS1_27merge_sort_block_merge_implIS3_PbPS5_jNS1_19radix_merge_compareILb1ELb1EbNS0_19identity_decomposerEEEEE10hipError_tT0_T1_T2_jT3_P12ihipStream_tbPNSt15iterator_traitsISE_E10value_typeEPNSK_ISF_E10value_typeEPSG_NS1_7vsmem_tEENKUlT_SE_SF_SG_E_clIS8_S8_S9_S9_EESD_ST_SE_SF_SG_EUlST_E0_NS1_11comp_targetILNS1_3genE10ELNS1_11target_archE1201ELNS1_3gpuE5ELNS1_3repE0EEENS1_38merge_mergepath_config_static_selectorELNS0_4arch9wavefront6targetE0EEEvSF_
		.amdhsa_group_segment_fixed_size 0
		.amdhsa_private_segment_fixed_size 0
		.amdhsa_kernarg_size 64
		.amdhsa_user_sgpr_count 2
		.amdhsa_user_sgpr_dispatch_ptr 0
		.amdhsa_user_sgpr_queue_ptr 0
		.amdhsa_user_sgpr_kernarg_segment_ptr 1
		.amdhsa_user_sgpr_dispatch_id 0
		.amdhsa_user_sgpr_kernarg_preload_length 0
		.amdhsa_user_sgpr_kernarg_preload_offset 0
		.amdhsa_user_sgpr_private_segment_size 0
		.amdhsa_wavefront_size32 1
		.amdhsa_uses_dynamic_stack 0
		.amdhsa_enable_private_segment 0
		.amdhsa_system_sgpr_workgroup_id_x 1
		.amdhsa_system_sgpr_workgroup_id_y 0
		.amdhsa_system_sgpr_workgroup_id_z 0
		.amdhsa_system_sgpr_workgroup_info 0
		.amdhsa_system_vgpr_workitem_id 0
		.amdhsa_next_free_vgpr 1
		.amdhsa_next_free_sgpr 1
		.amdhsa_named_barrier_count 0
		.amdhsa_reserve_vcc 0
		.amdhsa_float_round_mode_32 0
		.amdhsa_float_round_mode_16_64 0
		.amdhsa_float_denorm_mode_32 3
		.amdhsa_float_denorm_mode_16_64 3
		.amdhsa_fp16_overflow 0
		.amdhsa_memory_ordered 1
		.amdhsa_forward_progress 1
		.amdhsa_inst_pref_size 0
		.amdhsa_round_robin_scheduling 0
		.amdhsa_exception_fp_ieee_invalid_op 0
		.amdhsa_exception_fp_denorm_src 0
		.amdhsa_exception_fp_ieee_div_zero 0
		.amdhsa_exception_fp_ieee_overflow 0
		.amdhsa_exception_fp_ieee_underflow 0
		.amdhsa_exception_fp_ieee_inexact 0
		.amdhsa_exception_int_div_zero 0
	.end_amdhsa_kernel
	.section	.text._ZN7rocprim17ROCPRIM_400000_NS6detail17trampoline_kernelINS0_14default_configENS1_38merge_sort_block_merge_config_selectorIbNS0_10empty_typeEEEZZNS1_27merge_sort_block_merge_implIS3_PbPS5_jNS1_19radix_merge_compareILb1ELb1EbNS0_19identity_decomposerEEEEE10hipError_tT0_T1_T2_jT3_P12ihipStream_tbPNSt15iterator_traitsISE_E10value_typeEPNSK_ISF_E10value_typeEPSG_NS1_7vsmem_tEENKUlT_SE_SF_SG_E_clIS8_S8_S9_S9_EESD_ST_SE_SF_SG_EUlST_E0_NS1_11comp_targetILNS1_3genE10ELNS1_11target_archE1201ELNS1_3gpuE5ELNS1_3repE0EEENS1_38merge_mergepath_config_static_selectorELNS0_4arch9wavefront6targetE0EEEvSF_,"axG",@progbits,_ZN7rocprim17ROCPRIM_400000_NS6detail17trampoline_kernelINS0_14default_configENS1_38merge_sort_block_merge_config_selectorIbNS0_10empty_typeEEEZZNS1_27merge_sort_block_merge_implIS3_PbPS5_jNS1_19radix_merge_compareILb1ELb1EbNS0_19identity_decomposerEEEEE10hipError_tT0_T1_T2_jT3_P12ihipStream_tbPNSt15iterator_traitsISE_E10value_typeEPNSK_ISF_E10value_typeEPSG_NS1_7vsmem_tEENKUlT_SE_SF_SG_E_clIS8_S8_S9_S9_EESD_ST_SE_SF_SG_EUlST_E0_NS1_11comp_targetILNS1_3genE10ELNS1_11target_archE1201ELNS1_3gpuE5ELNS1_3repE0EEENS1_38merge_mergepath_config_static_selectorELNS0_4arch9wavefront6targetE0EEEvSF_,comdat
.Lfunc_end1700:
	.size	_ZN7rocprim17ROCPRIM_400000_NS6detail17trampoline_kernelINS0_14default_configENS1_38merge_sort_block_merge_config_selectorIbNS0_10empty_typeEEEZZNS1_27merge_sort_block_merge_implIS3_PbPS5_jNS1_19radix_merge_compareILb1ELb1EbNS0_19identity_decomposerEEEEE10hipError_tT0_T1_T2_jT3_P12ihipStream_tbPNSt15iterator_traitsISE_E10value_typeEPNSK_ISF_E10value_typeEPSG_NS1_7vsmem_tEENKUlT_SE_SF_SG_E_clIS8_S8_S9_S9_EESD_ST_SE_SF_SG_EUlST_E0_NS1_11comp_targetILNS1_3genE10ELNS1_11target_archE1201ELNS1_3gpuE5ELNS1_3repE0EEENS1_38merge_mergepath_config_static_selectorELNS0_4arch9wavefront6targetE0EEEvSF_, .Lfunc_end1700-_ZN7rocprim17ROCPRIM_400000_NS6detail17trampoline_kernelINS0_14default_configENS1_38merge_sort_block_merge_config_selectorIbNS0_10empty_typeEEEZZNS1_27merge_sort_block_merge_implIS3_PbPS5_jNS1_19radix_merge_compareILb1ELb1EbNS0_19identity_decomposerEEEEE10hipError_tT0_T1_T2_jT3_P12ihipStream_tbPNSt15iterator_traitsISE_E10value_typeEPNSK_ISF_E10value_typeEPSG_NS1_7vsmem_tEENKUlT_SE_SF_SG_E_clIS8_S8_S9_S9_EESD_ST_SE_SF_SG_EUlST_E0_NS1_11comp_targetILNS1_3genE10ELNS1_11target_archE1201ELNS1_3gpuE5ELNS1_3repE0EEENS1_38merge_mergepath_config_static_selectorELNS0_4arch9wavefront6targetE0EEEvSF_
                                        ; -- End function
	.set _ZN7rocprim17ROCPRIM_400000_NS6detail17trampoline_kernelINS0_14default_configENS1_38merge_sort_block_merge_config_selectorIbNS0_10empty_typeEEEZZNS1_27merge_sort_block_merge_implIS3_PbPS5_jNS1_19radix_merge_compareILb1ELb1EbNS0_19identity_decomposerEEEEE10hipError_tT0_T1_T2_jT3_P12ihipStream_tbPNSt15iterator_traitsISE_E10value_typeEPNSK_ISF_E10value_typeEPSG_NS1_7vsmem_tEENKUlT_SE_SF_SG_E_clIS8_S8_S9_S9_EESD_ST_SE_SF_SG_EUlST_E0_NS1_11comp_targetILNS1_3genE10ELNS1_11target_archE1201ELNS1_3gpuE5ELNS1_3repE0EEENS1_38merge_mergepath_config_static_selectorELNS0_4arch9wavefront6targetE0EEEvSF_.num_vgpr, 0
	.set _ZN7rocprim17ROCPRIM_400000_NS6detail17trampoline_kernelINS0_14default_configENS1_38merge_sort_block_merge_config_selectorIbNS0_10empty_typeEEEZZNS1_27merge_sort_block_merge_implIS3_PbPS5_jNS1_19radix_merge_compareILb1ELb1EbNS0_19identity_decomposerEEEEE10hipError_tT0_T1_T2_jT3_P12ihipStream_tbPNSt15iterator_traitsISE_E10value_typeEPNSK_ISF_E10value_typeEPSG_NS1_7vsmem_tEENKUlT_SE_SF_SG_E_clIS8_S8_S9_S9_EESD_ST_SE_SF_SG_EUlST_E0_NS1_11comp_targetILNS1_3genE10ELNS1_11target_archE1201ELNS1_3gpuE5ELNS1_3repE0EEENS1_38merge_mergepath_config_static_selectorELNS0_4arch9wavefront6targetE0EEEvSF_.num_agpr, 0
	.set _ZN7rocprim17ROCPRIM_400000_NS6detail17trampoline_kernelINS0_14default_configENS1_38merge_sort_block_merge_config_selectorIbNS0_10empty_typeEEEZZNS1_27merge_sort_block_merge_implIS3_PbPS5_jNS1_19radix_merge_compareILb1ELb1EbNS0_19identity_decomposerEEEEE10hipError_tT0_T1_T2_jT3_P12ihipStream_tbPNSt15iterator_traitsISE_E10value_typeEPNSK_ISF_E10value_typeEPSG_NS1_7vsmem_tEENKUlT_SE_SF_SG_E_clIS8_S8_S9_S9_EESD_ST_SE_SF_SG_EUlST_E0_NS1_11comp_targetILNS1_3genE10ELNS1_11target_archE1201ELNS1_3gpuE5ELNS1_3repE0EEENS1_38merge_mergepath_config_static_selectorELNS0_4arch9wavefront6targetE0EEEvSF_.numbered_sgpr, 0
	.set _ZN7rocprim17ROCPRIM_400000_NS6detail17trampoline_kernelINS0_14default_configENS1_38merge_sort_block_merge_config_selectorIbNS0_10empty_typeEEEZZNS1_27merge_sort_block_merge_implIS3_PbPS5_jNS1_19radix_merge_compareILb1ELb1EbNS0_19identity_decomposerEEEEE10hipError_tT0_T1_T2_jT3_P12ihipStream_tbPNSt15iterator_traitsISE_E10value_typeEPNSK_ISF_E10value_typeEPSG_NS1_7vsmem_tEENKUlT_SE_SF_SG_E_clIS8_S8_S9_S9_EESD_ST_SE_SF_SG_EUlST_E0_NS1_11comp_targetILNS1_3genE10ELNS1_11target_archE1201ELNS1_3gpuE5ELNS1_3repE0EEENS1_38merge_mergepath_config_static_selectorELNS0_4arch9wavefront6targetE0EEEvSF_.num_named_barrier, 0
	.set _ZN7rocprim17ROCPRIM_400000_NS6detail17trampoline_kernelINS0_14default_configENS1_38merge_sort_block_merge_config_selectorIbNS0_10empty_typeEEEZZNS1_27merge_sort_block_merge_implIS3_PbPS5_jNS1_19radix_merge_compareILb1ELb1EbNS0_19identity_decomposerEEEEE10hipError_tT0_T1_T2_jT3_P12ihipStream_tbPNSt15iterator_traitsISE_E10value_typeEPNSK_ISF_E10value_typeEPSG_NS1_7vsmem_tEENKUlT_SE_SF_SG_E_clIS8_S8_S9_S9_EESD_ST_SE_SF_SG_EUlST_E0_NS1_11comp_targetILNS1_3genE10ELNS1_11target_archE1201ELNS1_3gpuE5ELNS1_3repE0EEENS1_38merge_mergepath_config_static_selectorELNS0_4arch9wavefront6targetE0EEEvSF_.private_seg_size, 0
	.set _ZN7rocprim17ROCPRIM_400000_NS6detail17trampoline_kernelINS0_14default_configENS1_38merge_sort_block_merge_config_selectorIbNS0_10empty_typeEEEZZNS1_27merge_sort_block_merge_implIS3_PbPS5_jNS1_19radix_merge_compareILb1ELb1EbNS0_19identity_decomposerEEEEE10hipError_tT0_T1_T2_jT3_P12ihipStream_tbPNSt15iterator_traitsISE_E10value_typeEPNSK_ISF_E10value_typeEPSG_NS1_7vsmem_tEENKUlT_SE_SF_SG_E_clIS8_S8_S9_S9_EESD_ST_SE_SF_SG_EUlST_E0_NS1_11comp_targetILNS1_3genE10ELNS1_11target_archE1201ELNS1_3gpuE5ELNS1_3repE0EEENS1_38merge_mergepath_config_static_selectorELNS0_4arch9wavefront6targetE0EEEvSF_.uses_vcc, 0
	.set _ZN7rocprim17ROCPRIM_400000_NS6detail17trampoline_kernelINS0_14default_configENS1_38merge_sort_block_merge_config_selectorIbNS0_10empty_typeEEEZZNS1_27merge_sort_block_merge_implIS3_PbPS5_jNS1_19radix_merge_compareILb1ELb1EbNS0_19identity_decomposerEEEEE10hipError_tT0_T1_T2_jT3_P12ihipStream_tbPNSt15iterator_traitsISE_E10value_typeEPNSK_ISF_E10value_typeEPSG_NS1_7vsmem_tEENKUlT_SE_SF_SG_E_clIS8_S8_S9_S9_EESD_ST_SE_SF_SG_EUlST_E0_NS1_11comp_targetILNS1_3genE10ELNS1_11target_archE1201ELNS1_3gpuE5ELNS1_3repE0EEENS1_38merge_mergepath_config_static_selectorELNS0_4arch9wavefront6targetE0EEEvSF_.uses_flat_scratch, 0
	.set _ZN7rocprim17ROCPRIM_400000_NS6detail17trampoline_kernelINS0_14default_configENS1_38merge_sort_block_merge_config_selectorIbNS0_10empty_typeEEEZZNS1_27merge_sort_block_merge_implIS3_PbPS5_jNS1_19radix_merge_compareILb1ELb1EbNS0_19identity_decomposerEEEEE10hipError_tT0_T1_T2_jT3_P12ihipStream_tbPNSt15iterator_traitsISE_E10value_typeEPNSK_ISF_E10value_typeEPSG_NS1_7vsmem_tEENKUlT_SE_SF_SG_E_clIS8_S8_S9_S9_EESD_ST_SE_SF_SG_EUlST_E0_NS1_11comp_targetILNS1_3genE10ELNS1_11target_archE1201ELNS1_3gpuE5ELNS1_3repE0EEENS1_38merge_mergepath_config_static_selectorELNS0_4arch9wavefront6targetE0EEEvSF_.has_dyn_sized_stack, 0
	.set _ZN7rocprim17ROCPRIM_400000_NS6detail17trampoline_kernelINS0_14default_configENS1_38merge_sort_block_merge_config_selectorIbNS0_10empty_typeEEEZZNS1_27merge_sort_block_merge_implIS3_PbPS5_jNS1_19radix_merge_compareILb1ELb1EbNS0_19identity_decomposerEEEEE10hipError_tT0_T1_T2_jT3_P12ihipStream_tbPNSt15iterator_traitsISE_E10value_typeEPNSK_ISF_E10value_typeEPSG_NS1_7vsmem_tEENKUlT_SE_SF_SG_E_clIS8_S8_S9_S9_EESD_ST_SE_SF_SG_EUlST_E0_NS1_11comp_targetILNS1_3genE10ELNS1_11target_archE1201ELNS1_3gpuE5ELNS1_3repE0EEENS1_38merge_mergepath_config_static_selectorELNS0_4arch9wavefront6targetE0EEEvSF_.has_recursion, 0
	.set _ZN7rocprim17ROCPRIM_400000_NS6detail17trampoline_kernelINS0_14default_configENS1_38merge_sort_block_merge_config_selectorIbNS0_10empty_typeEEEZZNS1_27merge_sort_block_merge_implIS3_PbPS5_jNS1_19radix_merge_compareILb1ELb1EbNS0_19identity_decomposerEEEEE10hipError_tT0_T1_T2_jT3_P12ihipStream_tbPNSt15iterator_traitsISE_E10value_typeEPNSK_ISF_E10value_typeEPSG_NS1_7vsmem_tEENKUlT_SE_SF_SG_E_clIS8_S8_S9_S9_EESD_ST_SE_SF_SG_EUlST_E0_NS1_11comp_targetILNS1_3genE10ELNS1_11target_archE1201ELNS1_3gpuE5ELNS1_3repE0EEENS1_38merge_mergepath_config_static_selectorELNS0_4arch9wavefront6targetE0EEEvSF_.has_indirect_call, 0
	.section	.AMDGPU.csdata,"",@progbits
; Kernel info:
; codeLenInByte = 0
; TotalNumSgprs: 0
; NumVgprs: 0
; ScratchSize: 0
; MemoryBound: 0
; FloatMode: 240
; IeeeMode: 1
; LDSByteSize: 0 bytes/workgroup (compile time only)
; SGPRBlocks: 0
; VGPRBlocks: 0
; NumSGPRsForWavesPerEU: 1
; NumVGPRsForWavesPerEU: 1
; NamedBarCnt: 0
; Occupancy: 16
; WaveLimiterHint : 0
; COMPUTE_PGM_RSRC2:SCRATCH_EN: 0
; COMPUTE_PGM_RSRC2:USER_SGPR: 2
; COMPUTE_PGM_RSRC2:TRAP_HANDLER: 0
; COMPUTE_PGM_RSRC2:TGID_X_EN: 1
; COMPUTE_PGM_RSRC2:TGID_Y_EN: 0
; COMPUTE_PGM_RSRC2:TGID_Z_EN: 0
; COMPUTE_PGM_RSRC2:TIDIG_COMP_CNT: 0
	.section	.text._ZN7rocprim17ROCPRIM_400000_NS6detail17trampoline_kernelINS0_14default_configENS1_38merge_sort_block_merge_config_selectorIbNS0_10empty_typeEEEZZNS1_27merge_sort_block_merge_implIS3_PbPS5_jNS1_19radix_merge_compareILb1ELb1EbNS0_19identity_decomposerEEEEE10hipError_tT0_T1_T2_jT3_P12ihipStream_tbPNSt15iterator_traitsISE_E10value_typeEPNSK_ISF_E10value_typeEPSG_NS1_7vsmem_tEENKUlT_SE_SF_SG_E_clIS8_S8_S9_S9_EESD_ST_SE_SF_SG_EUlST_E0_NS1_11comp_targetILNS1_3genE5ELNS1_11target_archE942ELNS1_3gpuE9ELNS1_3repE0EEENS1_38merge_mergepath_config_static_selectorELNS0_4arch9wavefront6targetE0EEEvSF_,"axG",@progbits,_ZN7rocprim17ROCPRIM_400000_NS6detail17trampoline_kernelINS0_14default_configENS1_38merge_sort_block_merge_config_selectorIbNS0_10empty_typeEEEZZNS1_27merge_sort_block_merge_implIS3_PbPS5_jNS1_19radix_merge_compareILb1ELb1EbNS0_19identity_decomposerEEEEE10hipError_tT0_T1_T2_jT3_P12ihipStream_tbPNSt15iterator_traitsISE_E10value_typeEPNSK_ISF_E10value_typeEPSG_NS1_7vsmem_tEENKUlT_SE_SF_SG_E_clIS8_S8_S9_S9_EESD_ST_SE_SF_SG_EUlST_E0_NS1_11comp_targetILNS1_3genE5ELNS1_11target_archE942ELNS1_3gpuE9ELNS1_3repE0EEENS1_38merge_mergepath_config_static_selectorELNS0_4arch9wavefront6targetE0EEEvSF_,comdat
	.protected	_ZN7rocprim17ROCPRIM_400000_NS6detail17trampoline_kernelINS0_14default_configENS1_38merge_sort_block_merge_config_selectorIbNS0_10empty_typeEEEZZNS1_27merge_sort_block_merge_implIS3_PbPS5_jNS1_19radix_merge_compareILb1ELb1EbNS0_19identity_decomposerEEEEE10hipError_tT0_T1_T2_jT3_P12ihipStream_tbPNSt15iterator_traitsISE_E10value_typeEPNSK_ISF_E10value_typeEPSG_NS1_7vsmem_tEENKUlT_SE_SF_SG_E_clIS8_S8_S9_S9_EESD_ST_SE_SF_SG_EUlST_E0_NS1_11comp_targetILNS1_3genE5ELNS1_11target_archE942ELNS1_3gpuE9ELNS1_3repE0EEENS1_38merge_mergepath_config_static_selectorELNS0_4arch9wavefront6targetE0EEEvSF_ ; -- Begin function _ZN7rocprim17ROCPRIM_400000_NS6detail17trampoline_kernelINS0_14default_configENS1_38merge_sort_block_merge_config_selectorIbNS0_10empty_typeEEEZZNS1_27merge_sort_block_merge_implIS3_PbPS5_jNS1_19radix_merge_compareILb1ELb1EbNS0_19identity_decomposerEEEEE10hipError_tT0_T1_T2_jT3_P12ihipStream_tbPNSt15iterator_traitsISE_E10value_typeEPNSK_ISF_E10value_typeEPSG_NS1_7vsmem_tEENKUlT_SE_SF_SG_E_clIS8_S8_S9_S9_EESD_ST_SE_SF_SG_EUlST_E0_NS1_11comp_targetILNS1_3genE5ELNS1_11target_archE942ELNS1_3gpuE9ELNS1_3repE0EEENS1_38merge_mergepath_config_static_selectorELNS0_4arch9wavefront6targetE0EEEvSF_
	.globl	_ZN7rocprim17ROCPRIM_400000_NS6detail17trampoline_kernelINS0_14default_configENS1_38merge_sort_block_merge_config_selectorIbNS0_10empty_typeEEEZZNS1_27merge_sort_block_merge_implIS3_PbPS5_jNS1_19radix_merge_compareILb1ELb1EbNS0_19identity_decomposerEEEEE10hipError_tT0_T1_T2_jT3_P12ihipStream_tbPNSt15iterator_traitsISE_E10value_typeEPNSK_ISF_E10value_typeEPSG_NS1_7vsmem_tEENKUlT_SE_SF_SG_E_clIS8_S8_S9_S9_EESD_ST_SE_SF_SG_EUlST_E0_NS1_11comp_targetILNS1_3genE5ELNS1_11target_archE942ELNS1_3gpuE9ELNS1_3repE0EEENS1_38merge_mergepath_config_static_selectorELNS0_4arch9wavefront6targetE0EEEvSF_
	.p2align	8
	.type	_ZN7rocprim17ROCPRIM_400000_NS6detail17trampoline_kernelINS0_14default_configENS1_38merge_sort_block_merge_config_selectorIbNS0_10empty_typeEEEZZNS1_27merge_sort_block_merge_implIS3_PbPS5_jNS1_19radix_merge_compareILb1ELb1EbNS0_19identity_decomposerEEEEE10hipError_tT0_T1_T2_jT3_P12ihipStream_tbPNSt15iterator_traitsISE_E10value_typeEPNSK_ISF_E10value_typeEPSG_NS1_7vsmem_tEENKUlT_SE_SF_SG_E_clIS8_S8_S9_S9_EESD_ST_SE_SF_SG_EUlST_E0_NS1_11comp_targetILNS1_3genE5ELNS1_11target_archE942ELNS1_3gpuE9ELNS1_3repE0EEENS1_38merge_mergepath_config_static_selectorELNS0_4arch9wavefront6targetE0EEEvSF_,@function
_ZN7rocprim17ROCPRIM_400000_NS6detail17trampoline_kernelINS0_14default_configENS1_38merge_sort_block_merge_config_selectorIbNS0_10empty_typeEEEZZNS1_27merge_sort_block_merge_implIS3_PbPS5_jNS1_19radix_merge_compareILb1ELb1EbNS0_19identity_decomposerEEEEE10hipError_tT0_T1_T2_jT3_P12ihipStream_tbPNSt15iterator_traitsISE_E10value_typeEPNSK_ISF_E10value_typeEPSG_NS1_7vsmem_tEENKUlT_SE_SF_SG_E_clIS8_S8_S9_S9_EESD_ST_SE_SF_SG_EUlST_E0_NS1_11comp_targetILNS1_3genE5ELNS1_11target_archE942ELNS1_3gpuE9ELNS1_3repE0EEENS1_38merge_mergepath_config_static_selectorELNS0_4arch9wavefront6targetE0EEEvSF_: ; @_ZN7rocprim17ROCPRIM_400000_NS6detail17trampoline_kernelINS0_14default_configENS1_38merge_sort_block_merge_config_selectorIbNS0_10empty_typeEEEZZNS1_27merge_sort_block_merge_implIS3_PbPS5_jNS1_19radix_merge_compareILb1ELb1EbNS0_19identity_decomposerEEEEE10hipError_tT0_T1_T2_jT3_P12ihipStream_tbPNSt15iterator_traitsISE_E10value_typeEPNSK_ISF_E10value_typeEPSG_NS1_7vsmem_tEENKUlT_SE_SF_SG_E_clIS8_S8_S9_S9_EESD_ST_SE_SF_SG_EUlST_E0_NS1_11comp_targetILNS1_3genE5ELNS1_11target_archE942ELNS1_3gpuE9ELNS1_3repE0EEENS1_38merge_mergepath_config_static_selectorELNS0_4arch9wavefront6targetE0EEEvSF_
; %bb.0:
	.section	.rodata,"a",@progbits
	.p2align	6, 0x0
	.amdhsa_kernel _ZN7rocprim17ROCPRIM_400000_NS6detail17trampoline_kernelINS0_14default_configENS1_38merge_sort_block_merge_config_selectorIbNS0_10empty_typeEEEZZNS1_27merge_sort_block_merge_implIS3_PbPS5_jNS1_19radix_merge_compareILb1ELb1EbNS0_19identity_decomposerEEEEE10hipError_tT0_T1_T2_jT3_P12ihipStream_tbPNSt15iterator_traitsISE_E10value_typeEPNSK_ISF_E10value_typeEPSG_NS1_7vsmem_tEENKUlT_SE_SF_SG_E_clIS8_S8_S9_S9_EESD_ST_SE_SF_SG_EUlST_E0_NS1_11comp_targetILNS1_3genE5ELNS1_11target_archE942ELNS1_3gpuE9ELNS1_3repE0EEENS1_38merge_mergepath_config_static_selectorELNS0_4arch9wavefront6targetE0EEEvSF_
		.amdhsa_group_segment_fixed_size 0
		.amdhsa_private_segment_fixed_size 0
		.amdhsa_kernarg_size 64
		.amdhsa_user_sgpr_count 2
		.amdhsa_user_sgpr_dispatch_ptr 0
		.amdhsa_user_sgpr_queue_ptr 0
		.amdhsa_user_sgpr_kernarg_segment_ptr 1
		.amdhsa_user_sgpr_dispatch_id 0
		.amdhsa_user_sgpr_kernarg_preload_length 0
		.amdhsa_user_sgpr_kernarg_preload_offset 0
		.amdhsa_user_sgpr_private_segment_size 0
		.amdhsa_wavefront_size32 1
		.amdhsa_uses_dynamic_stack 0
		.amdhsa_enable_private_segment 0
		.amdhsa_system_sgpr_workgroup_id_x 1
		.amdhsa_system_sgpr_workgroup_id_y 0
		.amdhsa_system_sgpr_workgroup_id_z 0
		.amdhsa_system_sgpr_workgroup_info 0
		.amdhsa_system_vgpr_workitem_id 0
		.amdhsa_next_free_vgpr 1
		.amdhsa_next_free_sgpr 1
		.amdhsa_named_barrier_count 0
		.amdhsa_reserve_vcc 0
		.amdhsa_float_round_mode_32 0
		.amdhsa_float_round_mode_16_64 0
		.amdhsa_float_denorm_mode_32 3
		.amdhsa_float_denorm_mode_16_64 3
		.amdhsa_fp16_overflow 0
		.amdhsa_memory_ordered 1
		.amdhsa_forward_progress 1
		.amdhsa_inst_pref_size 0
		.amdhsa_round_robin_scheduling 0
		.amdhsa_exception_fp_ieee_invalid_op 0
		.amdhsa_exception_fp_denorm_src 0
		.amdhsa_exception_fp_ieee_div_zero 0
		.amdhsa_exception_fp_ieee_overflow 0
		.amdhsa_exception_fp_ieee_underflow 0
		.amdhsa_exception_fp_ieee_inexact 0
		.amdhsa_exception_int_div_zero 0
	.end_amdhsa_kernel
	.section	.text._ZN7rocprim17ROCPRIM_400000_NS6detail17trampoline_kernelINS0_14default_configENS1_38merge_sort_block_merge_config_selectorIbNS0_10empty_typeEEEZZNS1_27merge_sort_block_merge_implIS3_PbPS5_jNS1_19radix_merge_compareILb1ELb1EbNS0_19identity_decomposerEEEEE10hipError_tT0_T1_T2_jT3_P12ihipStream_tbPNSt15iterator_traitsISE_E10value_typeEPNSK_ISF_E10value_typeEPSG_NS1_7vsmem_tEENKUlT_SE_SF_SG_E_clIS8_S8_S9_S9_EESD_ST_SE_SF_SG_EUlST_E0_NS1_11comp_targetILNS1_3genE5ELNS1_11target_archE942ELNS1_3gpuE9ELNS1_3repE0EEENS1_38merge_mergepath_config_static_selectorELNS0_4arch9wavefront6targetE0EEEvSF_,"axG",@progbits,_ZN7rocprim17ROCPRIM_400000_NS6detail17trampoline_kernelINS0_14default_configENS1_38merge_sort_block_merge_config_selectorIbNS0_10empty_typeEEEZZNS1_27merge_sort_block_merge_implIS3_PbPS5_jNS1_19radix_merge_compareILb1ELb1EbNS0_19identity_decomposerEEEEE10hipError_tT0_T1_T2_jT3_P12ihipStream_tbPNSt15iterator_traitsISE_E10value_typeEPNSK_ISF_E10value_typeEPSG_NS1_7vsmem_tEENKUlT_SE_SF_SG_E_clIS8_S8_S9_S9_EESD_ST_SE_SF_SG_EUlST_E0_NS1_11comp_targetILNS1_3genE5ELNS1_11target_archE942ELNS1_3gpuE9ELNS1_3repE0EEENS1_38merge_mergepath_config_static_selectorELNS0_4arch9wavefront6targetE0EEEvSF_,comdat
.Lfunc_end1701:
	.size	_ZN7rocprim17ROCPRIM_400000_NS6detail17trampoline_kernelINS0_14default_configENS1_38merge_sort_block_merge_config_selectorIbNS0_10empty_typeEEEZZNS1_27merge_sort_block_merge_implIS3_PbPS5_jNS1_19radix_merge_compareILb1ELb1EbNS0_19identity_decomposerEEEEE10hipError_tT0_T1_T2_jT3_P12ihipStream_tbPNSt15iterator_traitsISE_E10value_typeEPNSK_ISF_E10value_typeEPSG_NS1_7vsmem_tEENKUlT_SE_SF_SG_E_clIS8_S8_S9_S9_EESD_ST_SE_SF_SG_EUlST_E0_NS1_11comp_targetILNS1_3genE5ELNS1_11target_archE942ELNS1_3gpuE9ELNS1_3repE0EEENS1_38merge_mergepath_config_static_selectorELNS0_4arch9wavefront6targetE0EEEvSF_, .Lfunc_end1701-_ZN7rocprim17ROCPRIM_400000_NS6detail17trampoline_kernelINS0_14default_configENS1_38merge_sort_block_merge_config_selectorIbNS0_10empty_typeEEEZZNS1_27merge_sort_block_merge_implIS3_PbPS5_jNS1_19radix_merge_compareILb1ELb1EbNS0_19identity_decomposerEEEEE10hipError_tT0_T1_T2_jT3_P12ihipStream_tbPNSt15iterator_traitsISE_E10value_typeEPNSK_ISF_E10value_typeEPSG_NS1_7vsmem_tEENKUlT_SE_SF_SG_E_clIS8_S8_S9_S9_EESD_ST_SE_SF_SG_EUlST_E0_NS1_11comp_targetILNS1_3genE5ELNS1_11target_archE942ELNS1_3gpuE9ELNS1_3repE0EEENS1_38merge_mergepath_config_static_selectorELNS0_4arch9wavefront6targetE0EEEvSF_
                                        ; -- End function
	.set _ZN7rocprim17ROCPRIM_400000_NS6detail17trampoline_kernelINS0_14default_configENS1_38merge_sort_block_merge_config_selectorIbNS0_10empty_typeEEEZZNS1_27merge_sort_block_merge_implIS3_PbPS5_jNS1_19radix_merge_compareILb1ELb1EbNS0_19identity_decomposerEEEEE10hipError_tT0_T1_T2_jT3_P12ihipStream_tbPNSt15iterator_traitsISE_E10value_typeEPNSK_ISF_E10value_typeEPSG_NS1_7vsmem_tEENKUlT_SE_SF_SG_E_clIS8_S8_S9_S9_EESD_ST_SE_SF_SG_EUlST_E0_NS1_11comp_targetILNS1_3genE5ELNS1_11target_archE942ELNS1_3gpuE9ELNS1_3repE0EEENS1_38merge_mergepath_config_static_selectorELNS0_4arch9wavefront6targetE0EEEvSF_.num_vgpr, 0
	.set _ZN7rocprim17ROCPRIM_400000_NS6detail17trampoline_kernelINS0_14default_configENS1_38merge_sort_block_merge_config_selectorIbNS0_10empty_typeEEEZZNS1_27merge_sort_block_merge_implIS3_PbPS5_jNS1_19radix_merge_compareILb1ELb1EbNS0_19identity_decomposerEEEEE10hipError_tT0_T1_T2_jT3_P12ihipStream_tbPNSt15iterator_traitsISE_E10value_typeEPNSK_ISF_E10value_typeEPSG_NS1_7vsmem_tEENKUlT_SE_SF_SG_E_clIS8_S8_S9_S9_EESD_ST_SE_SF_SG_EUlST_E0_NS1_11comp_targetILNS1_3genE5ELNS1_11target_archE942ELNS1_3gpuE9ELNS1_3repE0EEENS1_38merge_mergepath_config_static_selectorELNS0_4arch9wavefront6targetE0EEEvSF_.num_agpr, 0
	.set _ZN7rocprim17ROCPRIM_400000_NS6detail17trampoline_kernelINS0_14default_configENS1_38merge_sort_block_merge_config_selectorIbNS0_10empty_typeEEEZZNS1_27merge_sort_block_merge_implIS3_PbPS5_jNS1_19radix_merge_compareILb1ELb1EbNS0_19identity_decomposerEEEEE10hipError_tT0_T1_T2_jT3_P12ihipStream_tbPNSt15iterator_traitsISE_E10value_typeEPNSK_ISF_E10value_typeEPSG_NS1_7vsmem_tEENKUlT_SE_SF_SG_E_clIS8_S8_S9_S9_EESD_ST_SE_SF_SG_EUlST_E0_NS1_11comp_targetILNS1_3genE5ELNS1_11target_archE942ELNS1_3gpuE9ELNS1_3repE0EEENS1_38merge_mergepath_config_static_selectorELNS0_4arch9wavefront6targetE0EEEvSF_.numbered_sgpr, 0
	.set _ZN7rocprim17ROCPRIM_400000_NS6detail17trampoline_kernelINS0_14default_configENS1_38merge_sort_block_merge_config_selectorIbNS0_10empty_typeEEEZZNS1_27merge_sort_block_merge_implIS3_PbPS5_jNS1_19radix_merge_compareILb1ELb1EbNS0_19identity_decomposerEEEEE10hipError_tT0_T1_T2_jT3_P12ihipStream_tbPNSt15iterator_traitsISE_E10value_typeEPNSK_ISF_E10value_typeEPSG_NS1_7vsmem_tEENKUlT_SE_SF_SG_E_clIS8_S8_S9_S9_EESD_ST_SE_SF_SG_EUlST_E0_NS1_11comp_targetILNS1_3genE5ELNS1_11target_archE942ELNS1_3gpuE9ELNS1_3repE0EEENS1_38merge_mergepath_config_static_selectorELNS0_4arch9wavefront6targetE0EEEvSF_.num_named_barrier, 0
	.set _ZN7rocprim17ROCPRIM_400000_NS6detail17trampoline_kernelINS0_14default_configENS1_38merge_sort_block_merge_config_selectorIbNS0_10empty_typeEEEZZNS1_27merge_sort_block_merge_implIS3_PbPS5_jNS1_19radix_merge_compareILb1ELb1EbNS0_19identity_decomposerEEEEE10hipError_tT0_T1_T2_jT3_P12ihipStream_tbPNSt15iterator_traitsISE_E10value_typeEPNSK_ISF_E10value_typeEPSG_NS1_7vsmem_tEENKUlT_SE_SF_SG_E_clIS8_S8_S9_S9_EESD_ST_SE_SF_SG_EUlST_E0_NS1_11comp_targetILNS1_3genE5ELNS1_11target_archE942ELNS1_3gpuE9ELNS1_3repE0EEENS1_38merge_mergepath_config_static_selectorELNS0_4arch9wavefront6targetE0EEEvSF_.private_seg_size, 0
	.set _ZN7rocprim17ROCPRIM_400000_NS6detail17trampoline_kernelINS0_14default_configENS1_38merge_sort_block_merge_config_selectorIbNS0_10empty_typeEEEZZNS1_27merge_sort_block_merge_implIS3_PbPS5_jNS1_19radix_merge_compareILb1ELb1EbNS0_19identity_decomposerEEEEE10hipError_tT0_T1_T2_jT3_P12ihipStream_tbPNSt15iterator_traitsISE_E10value_typeEPNSK_ISF_E10value_typeEPSG_NS1_7vsmem_tEENKUlT_SE_SF_SG_E_clIS8_S8_S9_S9_EESD_ST_SE_SF_SG_EUlST_E0_NS1_11comp_targetILNS1_3genE5ELNS1_11target_archE942ELNS1_3gpuE9ELNS1_3repE0EEENS1_38merge_mergepath_config_static_selectorELNS0_4arch9wavefront6targetE0EEEvSF_.uses_vcc, 0
	.set _ZN7rocprim17ROCPRIM_400000_NS6detail17trampoline_kernelINS0_14default_configENS1_38merge_sort_block_merge_config_selectorIbNS0_10empty_typeEEEZZNS1_27merge_sort_block_merge_implIS3_PbPS5_jNS1_19radix_merge_compareILb1ELb1EbNS0_19identity_decomposerEEEEE10hipError_tT0_T1_T2_jT3_P12ihipStream_tbPNSt15iterator_traitsISE_E10value_typeEPNSK_ISF_E10value_typeEPSG_NS1_7vsmem_tEENKUlT_SE_SF_SG_E_clIS8_S8_S9_S9_EESD_ST_SE_SF_SG_EUlST_E0_NS1_11comp_targetILNS1_3genE5ELNS1_11target_archE942ELNS1_3gpuE9ELNS1_3repE0EEENS1_38merge_mergepath_config_static_selectorELNS0_4arch9wavefront6targetE0EEEvSF_.uses_flat_scratch, 0
	.set _ZN7rocprim17ROCPRIM_400000_NS6detail17trampoline_kernelINS0_14default_configENS1_38merge_sort_block_merge_config_selectorIbNS0_10empty_typeEEEZZNS1_27merge_sort_block_merge_implIS3_PbPS5_jNS1_19radix_merge_compareILb1ELb1EbNS0_19identity_decomposerEEEEE10hipError_tT0_T1_T2_jT3_P12ihipStream_tbPNSt15iterator_traitsISE_E10value_typeEPNSK_ISF_E10value_typeEPSG_NS1_7vsmem_tEENKUlT_SE_SF_SG_E_clIS8_S8_S9_S9_EESD_ST_SE_SF_SG_EUlST_E0_NS1_11comp_targetILNS1_3genE5ELNS1_11target_archE942ELNS1_3gpuE9ELNS1_3repE0EEENS1_38merge_mergepath_config_static_selectorELNS0_4arch9wavefront6targetE0EEEvSF_.has_dyn_sized_stack, 0
	.set _ZN7rocprim17ROCPRIM_400000_NS6detail17trampoline_kernelINS0_14default_configENS1_38merge_sort_block_merge_config_selectorIbNS0_10empty_typeEEEZZNS1_27merge_sort_block_merge_implIS3_PbPS5_jNS1_19radix_merge_compareILb1ELb1EbNS0_19identity_decomposerEEEEE10hipError_tT0_T1_T2_jT3_P12ihipStream_tbPNSt15iterator_traitsISE_E10value_typeEPNSK_ISF_E10value_typeEPSG_NS1_7vsmem_tEENKUlT_SE_SF_SG_E_clIS8_S8_S9_S9_EESD_ST_SE_SF_SG_EUlST_E0_NS1_11comp_targetILNS1_3genE5ELNS1_11target_archE942ELNS1_3gpuE9ELNS1_3repE0EEENS1_38merge_mergepath_config_static_selectorELNS0_4arch9wavefront6targetE0EEEvSF_.has_recursion, 0
	.set _ZN7rocprim17ROCPRIM_400000_NS6detail17trampoline_kernelINS0_14default_configENS1_38merge_sort_block_merge_config_selectorIbNS0_10empty_typeEEEZZNS1_27merge_sort_block_merge_implIS3_PbPS5_jNS1_19radix_merge_compareILb1ELb1EbNS0_19identity_decomposerEEEEE10hipError_tT0_T1_T2_jT3_P12ihipStream_tbPNSt15iterator_traitsISE_E10value_typeEPNSK_ISF_E10value_typeEPSG_NS1_7vsmem_tEENKUlT_SE_SF_SG_E_clIS8_S8_S9_S9_EESD_ST_SE_SF_SG_EUlST_E0_NS1_11comp_targetILNS1_3genE5ELNS1_11target_archE942ELNS1_3gpuE9ELNS1_3repE0EEENS1_38merge_mergepath_config_static_selectorELNS0_4arch9wavefront6targetE0EEEvSF_.has_indirect_call, 0
	.section	.AMDGPU.csdata,"",@progbits
; Kernel info:
; codeLenInByte = 0
; TotalNumSgprs: 0
; NumVgprs: 0
; ScratchSize: 0
; MemoryBound: 0
; FloatMode: 240
; IeeeMode: 1
; LDSByteSize: 0 bytes/workgroup (compile time only)
; SGPRBlocks: 0
; VGPRBlocks: 0
; NumSGPRsForWavesPerEU: 1
; NumVGPRsForWavesPerEU: 1
; NamedBarCnt: 0
; Occupancy: 16
; WaveLimiterHint : 0
; COMPUTE_PGM_RSRC2:SCRATCH_EN: 0
; COMPUTE_PGM_RSRC2:USER_SGPR: 2
; COMPUTE_PGM_RSRC2:TRAP_HANDLER: 0
; COMPUTE_PGM_RSRC2:TGID_X_EN: 1
; COMPUTE_PGM_RSRC2:TGID_Y_EN: 0
; COMPUTE_PGM_RSRC2:TGID_Z_EN: 0
; COMPUTE_PGM_RSRC2:TIDIG_COMP_CNT: 0
	.section	.text._ZN7rocprim17ROCPRIM_400000_NS6detail17trampoline_kernelINS0_14default_configENS1_38merge_sort_block_merge_config_selectorIbNS0_10empty_typeEEEZZNS1_27merge_sort_block_merge_implIS3_PbPS5_jNS1_19radix_merge_compareILb1ELb1EbNS0_19identity_decomposerEEEEE10hipError_tT0_T1_T2_jT3_P12ihipStream_tbPNSt15iterator_traitsISE_E10value_typeEPNSK_ISF_E10value_typeEPSG_NS1_7vsmem_tEENKUlT_SE_SF_SG_E_clIS8_S8_S9_S9_EESD_ST_SE_SF_SG_EUlST_E0_NS1_11comp_targetILNS1_3genE4ELNS1_11target_archE910ELNS1_3gpuE8ELNS1_3repE0EEENS1_38merge_mergepath_config_static_selectorELNS0_4arch9wavefront6targetE0EEEvSF_,"axG",@progbits,_ZN7rocprim17ROCPRIM_400000_NS6detail17trampoline_kernelINS0_14default_configENS1_38merge_sort_block_merge_config_selectorIbNS0_10empty_typeEEEZZNS1_27merge_sort_block_merge_implIS3_PbPS5_jNS1_19radix_merge_compareILb1ELb1EbNS0_19identity_decomposerEEEEE10hipError_tT0_T1_T2_jT3_P12ihipStream_tbPNSt15iterator_traitsISE_E10value_typeEPNSK_ISF_E10value_typeEPSG_NS1_7vsmem_tEENKUlT_SE_SF_SG_E_clIS8_S8_S9_S9_EESD_ST_SE_SF_SG_EUlST_E0_NS1_11comp_targetILNS1_3genE4ELNS1_11target_archE910ELNS1_3gpuE8ELNS1_3repE0EEENS1_38merge_mergepath_config_static_selectorELNS0_4arch9wavefront6targetE0EEEvSF_,comdat
	.protected	_ZN7rocprim17ROCPRIM_400000_NS6detail17trampoline_kernelINS0_14default_configENS1_38merge_sort_block_merge_config_selectorIbNS0_10empty_typeEEEZZNS1_27merge_sort_block_merge_implIS3_PbPS5_jNS1_19radix_merge_compareILb1ELb1EbNS0_19identity_decomposerEEEEE10hipError_tT0_T1_T2_jT3_P12ihipStream_tbPNSt15iterator_traitsISE_E10value_typeEPNSK_ISF_E10value_typeEPSG_NS1_7vsmem_tEENKUlT_SE_SF_SG_E_clIS8_S8_S9_S9_EESD_ST_SE_SF_SG_EUlST_E0_NS1_11comp_targetILNS1_3genE4ELNS1_11target_archE910ELNS1_3gpuE8ELNS1_3repE0EEENS1_38merge_mergepath_config_static_selectorELNS0_4arch9wavefront6targetE0EEEvSF_ ; -- Begin function _ZN7rocprim17ROCPRIM_400000_NS6detail17trampoline_kernelINS0_14default_configENS1_38merge_sort_block_merge_config_selectorIbNS0_10empty_typeEEEZZNS1_27merge_sort_block_merge_implIS3_PbPS5_jNS1_19radix_merge_compareILb1ELb1EbNS0_19identity_decomposerEEEEE10hipError_tT0_T1_T2_jT3_P12ihipStream_tbPNSt15iterator_traitsISE_E10value_typeEPNSK_ISF_E10value_typeEPSG_NS1_7vsmem_tEENKUlT_SE_SF_SG_E_clIS8_S8_S9_S9_EESD_ST_SE_SF_SG_EUlST_E0_NS1_11comp_targetILNS1_3genE4ELNS1_11target_archE910ELNS1_3gpuE8ELNS1_3repE0EEENS1_38merge_mergepath_config_static_selectorELNS0_4arch9wavefront6targetE0EEEvSF_
	.globl	_ZN7rocprim17ROCPRIM_400000_NS6detail17trampoline_kernelINS0_14default_configENS1_38merge_sort_block_merge_config_selectorIbNS0_10empty_typeEEEZZNS1_27merge_sort_block_merge_implIS3_PbPS5_jNS1_19radix_merge_compareILb1ELb1EbNS0_19identity_decomposerEEEEE10hipError_tT0_T1_T2_jT3_P12ihipStream_tbPNSt15iterator_traitsISE_E10value_typeEPNSK_ISF_E10value_typeEPSG_NS1_7vsmem_tEENKUlT_SE_SF_SG_E_clIS8_S8_S9_S9_EESD_ST_SE_SF_SG_EUlST_E0_NS1_11comp_targetILNS1_3genE4ELNS1_11target_archE910ELNS1_3gpuE8ELNS1_3repE0EEENS1_38merge_mergepath_config_static_selectorELNS0_4arch9wavefront6targetE0EEEvSF_
	.p2align	8
	.type	_ZN7rocprim17ROCPRIM_400000_NS6detail17trampoline_kernelINS0_14default_configENS1_38merge_sort_block_merge_config_selectorIbNS0_10empty_typeEEEZZNS1_27merge_sort_block_merge_implIS3_PbPS5_jNS1_19radix_merge_compareILb1ELb1EbNS0_19identity_decomposerEEEEE10hipError_tT0_T1_T2_jT3_P12ihipStream_tbPNSt15iterator_traitsISE_E10value_typeEPNSK_ISF_E10value_typeEPSG_NS1_7vsmem_tEENKUlT_SE_SF_SG_E_clIS8_S8_S9_S9_EESD_ST_SE_SF_SG_EUlST_E0_NS1_11comp_targetILNS1_3genE4ELNS1_11target_archE910ELNS1_3gpuE8ELNS1_3repE0EEENS1_38merge_mergepath_config_static_selectorELNS0_4arch9wavefront6targetE0EEEvSF_,@function
_ZN7rocprim17ROCPRIM_400000_NS6detail17trampoline_kernelINS0_14default_configENS1_38merge_sort_block_merge_config_selectorIbNS0_10empty_typeEEEZZNS1_27merge_sort_block_merge_implIS3_PbPS5_jNS1_19radix_merge_compareILb1ELb1EbNS0_19identity_decomposerEEEEE10hipError_tT0_T1_T2_jT3_P12ihipStream_tbPNSt15iterator_traitsISE_E10value_typeEPNSK_ISF_E10value_typeEPSG_NS1_7vsmem_tEENKUlT_SE_SF_SG_E_clIS8_S8_S9_S9_EESD_ST_SE_SF_SG_EUlST_E0_NS1_11comp_targetILNS1_3genE4ELNS1_11target_archE910ELNS1_3gpuE8ELNS1_3repE0EEENS1_38merge_mergepath_config_static_selectorELNS0_4arch9wavefront6targetE0EEEvSF_: ; @_ZN7rocprim17ROCPRIM_400000_NS6detail17trampoline_kernelINS0_14default_configENS1_38merge_sort_block_merge_config_selectorIbNS0_10empty_typeEEEZZNS1_27merge_sort_block_merge_implIS3_PbPS5_jNS1_19radix_merge_compareILb1ELb1EbNS0_19identity_decomposerEEEEE10hipError_tT0_T1_T2_jT3_P12ihipStream_tbPNSt15iterator_traitsISE_E10value_typeEPNSK_ISF_E10value_typeEPSG_NS1_7vsmem_tEENKUlT_SE_SF_SG_E_clIS8_S8_S9_S9_EESD_ST_SE_SF_SG_EUlST_E0_NS1_11comp_targetILNS1_3genE4ELNS1_11target_archE910ELNS1_3gpuE8ELNS1_3repE0EEENS1_38merge_mergepath_config_static_selectorELNS0_4arch9wavefront6targetE0EEEvSF_
; %bb.0:
	.section	.rodata,"a",@progbits
	.p2align	6, 0x0
	.amdhsa_kernel _ZN7rocprim17ROCPRIM_400000_NS6detail17trampoline_kernelINS0_14default_configENS1_38merge_sort_block_merge_config_selectorIbNS0_10empty_typeEEEZZNS1_27merge_sort_block_merge_implIS3_PbPS5_jNS1_19radix_merge_compareILb1ELb1EbNS0_19identity_decomposerEEEEE10hipError_tT0_T1_T2_jT3_P12ihipStream_tbPNSt15iterator_traitsISE_E10value_typeEPNSK_ISF_E10value_typeEPSG_NS1_7vsmem_tEENKUlT_SE_SF_SG_E_clIS8_S8_S9_S9_EESD_ST_SE_SF_SG_EUlST_E0_NS1_11comp_targetILNS1_3genE4ELNS1_11target_archE910ELNS1_3gpuE8ELNS1_3repE0EEENS1_38merge_mergepath_config_static_selectorELNS0_4arch9wavefront6targetE0EEEvSF_
		.amdhsa_group_segment_fixed_size 0
		.amdhsa_private_segment_fixed_size 0
		.amdhsa_kernarg_size 64
		.amdhsa_user_sgpr_count 2
		.amdhsa_user_sgpr_dispatch_ptr 0
		.amdhsa_user_sgpr_queue_ptr 0
		.amdhsa_user_sgpr_kernarg_segment_ptr 1
		.amdhsa_user_sgpr_dispatch_id 0
		.amdhsa_user_sgpr_kernarg_preload_length 0
		.amdhsa_user_sgpr_kernarg_preload_offset 0
		.amdhsa_user_sgpr_private_segment_size 0
		.amdhsa_wavefront_size32 1
		.amdhsa_uses_dynamic_stack 0
		.amdhsa_enable_private_segment 0
		.amdhsa_system_sgpr_workgroup_id_x 1
		.amdhsa_system_sgpr_workgroup_id_y 0
		.amdhsa_system_sgpr_workgroup_id_z 0
		.amdhsa_system_sgpr_workgroup_info 0
		.amdhsa_system_vgpr_workitem_id 0
		.amdhsa_next_free_vgpr 1
		.amdhsa_next_free_sgpr 1
		.amdhsa_named_barrier_count 0
		.amdhsa_reserve_vcc 0
		.amdhsa_float_round_mode_32 0
		.amdhsa_float_round_mode_16_64 0
		.amdhsa_float_denorm_mode_32 3
		.amdhsa_float_denorm_mode_16_64 3
		.amdhsa_fp16_overflow 0
		.amdhsa_memory_ordered 1
		.amdhsa_forward_progress 1
		.amdhsa_inst_pref_size 0
		.amdhsa_round_robin_scheduling 0
		.amdhsa_exception_fp_ieee_invalid_op 0
		.amdhsa_exception_fp_denorm_src 0
		.amdhsa_exception_fp_ieee_div_zero 0
		.amdhsa_exception_fp_ieee_overflow 0
		.amdhsa_exception_fp_ieee_underflow 0
		.amdhsa_exception_fp_ieee_inexact 0
		.amdhsa_exception_int_div_zero 0
	.end_amdhsa_kernel
	.section	.text._ZN7rocprim17ROCPRIM_400000_NS6detail17trampoline_kernelINS0_14default_configENS1_38merge_sort_block_merge_config_selectorIbNS0_10empty_typeEEEZZNS1_27merge_sort_block_merge_implIS3_PbPS5_jNS1_19radix_merge_compareILb1ELb1EbNS0_19identity_decomposerEEEEE10hipError_tT0_T1_T2_jT3_P12ihipStream_tbPNSt15iterator_traitsISE_E10value_typeEPNSK_ISF_E10value_typeEPSG_NS1_7vsmem_tEENKUlT_SE_SF_SG_E_clIS8_S8_S9_S9_EESD_ST_SE_SF_SG_EUlST_E0_NS1_11comp_targetILNS1_3genE4ELNS1_11target_archE910ELNS1_3gpuE8ELNS1_3repE0EEENS1_38merge_mergepath_config_static_selectorELNS0_4arch9wavefront6targetE0EEEvSF_,"axG",@progbits,_ZN7rocprim17ROCPRIM_400000_NS6detail17trampoline_kernelINS0_14default_configENS1_38merge_sort_block_merge_config_selectorIbNS0_10empty_typeEEEZZNS1_27merge_sort_block_merge_implIS3_PbPS5_jNS1_19radix_merge_compareILb1ELb1EbNS0_19identity_decomposerEEEEE10hipError_tT0_T1_T2_jT3_P12ihipStream_tbPNSt15iterator_traitsISE_E10value_typeEPNSK_ISF_E10value_typeEPSG_NS1_7vsmem_tEENKUlT_SE_SF_SG_E_clIS8_S8_S9_S9_EESD_ST_SE_SF_SG_EUlST_E0_NS1_11comp_targetILNS1_3genE4ELNS1_11target_archE910ELNS1_3gpuE8ELNS1_3repE0EEENS1_38merge_mergepath_config_static_selectorELNS0_4arch9wavefront6targetE0EEEvSF_,comdat
.Lfunc_end1702:
	.size	_ZN7rocprim17ROCPRIM_400000_NS6detail17trampoline_kernelINS0_14default_configENS1_38merge_sort_block_merge_config_selectorIbNS0_10empty_typeEEEZZNS1_27merge_sort_block_merge_implIS3_PbPS5_jNS1_19radix_merge_compareILb1ELb1EbNS0_19identity_decomposerEEEEE10hipError_tT0_T1_T2_jT3_P12ihipStream_tbPNSt15iterator_traitsISE_E10value_typeEPNSK_ISF_E10value_typeEPSG_NS1_7vsmem_tEENKUlT_SE_SF_SG_E_clIS8_S8_S9_S9_EESD_ST_SE_SF_SG_EUlST_E0_NS1_11comp_targetILNS1_3genE4ELNS1_11target_archE910ELNS1_3gpuE8ELNS1_3repE0EEENS1_38merge_mergepath_config_static_selectorELNS0_4arch9wavefront6targetE0EEEvSF_, .Lfunc_end1702-_ZN7rocprim17ROCPRIM_400000_NS6detail17trampoline_kernelINS0_14default_configENS1_38merge_sort_block_merge_config_selectorIbNS0_10empty_typeEEEZZNS1_27merge_sort_block_merge_implIS3_PbPS5_jNS1_19radix_merge_compareILb1ELb1EbNS0_19identity_decomposerEEEEE10hipError_tT0_T1_T2_jT3_P12ihipStream_tbPNSt15iterator_traitsISE_E10value_typeEPNSK_ISF_E10value_typeEPSG_NS1_7vsmem_tEENKUlT_SE_SF_SG_E_clIS8_S8_S9_S9_EESD_ST_SE_SF_SG_EUlST_E0_NS1_11comp_targetILNS1_3genE4ELNS1_11target_archE910ELNS1_3gpuE8ELNS1_3repE0EEENS1_38merge_mergepath_config_static_selectorELNS0_4arch9wavefront6targetE0EEEvSF_
                                        ; -- End function
	.set _ZN7rocprim17ROCPRIM_400000_NS6detail17trampoline_kernelINS0_14default_configENS1_38merge_sort_block_merge_config_selectorIbNS0_10empty_typeEEEZZNS1_27merge_sort_block_merge_implIS3_PbPS5_jNS1_19radix_merge_compareILb1ELb1EbNS0_19identity_decomposerEEEEE10hipError_tT0_T1_T2_jT3_P12ihipStream_tbPNSt15iterator_traitsISE_E10value_typeEPNSK_ISF_E10value_typeEPSG_NS1_7vsmem_tEENKUlT_SE_SF_SG_E_clIS8_S8_S9_S9_EESD_ST_SE_SF_SG_EUlST_E0_NS1_11comp_targetILNS1_3genE4ELNS1_11target_archE910ELNS1_3gpuE8ELNS1_3repE0EEENS1_38merge_mergepath_config_static_selectorELNS0_4arch9wavefront6targetE0EEEvSF_.num_vgpr, 0
	.set _ZN7rocprim17ROCPRIM_400000_NS6detail17trampoline_kernelINS0_14default_configENS1_38merge_sort_block_merge_config_selectorIbNS0_10empty_typeEEEZZNS1_27merge_sort_block_merge_implIS3_PbPS5_jNS1_19radix_merge_compareILb1ELb1EbNS0_19identity_decomposerEEEEE10hipError_tT0_T1_T2_jT3_P12ihipStream_tbPNSt15iterator_traitsISE_E10value_typeEPNSK_ISF_E10value_typeEPSG_NS1_7vsmem_tEENKUlT_SE_SF_SG_E_clIS8_S8_S9_S9_EESD_ST_SE_SF_SG_EUlST_E0_NS1_11comp_targetILNS1_3genE4ELNS1_11target_archE910ELNS1_3gpuE8ELNS1_3repE0EEENS1_38merge_mergepath_config_static_selectorELNS0_4arch9wavefront6targetE0EEEvSF_.num_agpr, 0
	.set _ZN7rocprim17ROCPRIM_400000_NS6detail17trampoline_kernelINS0_14default_configENS1_38merge_sort_block_merge_config_selectorIbNS0_10empty_typeEEEZZNS1_27merge_sort_block_merge_implIS3_PbPS5_jNS1_19radix_merge_compareILb1ELb1EbNS0_19identity_decomposerEEEEE10hipError_tT0_T1_T2_jT3_P12ihipStream_tbPNSt15iterator_traitsISE_E10value_typeEPNSK_ISF_E10value_typeEPSG_NS1_7vsmem_tEENKUlT_SE_SF_SG_E_clIS8_S8_S9_S9_EESD_ST_SE_SF_SG_EUlST_E0_NS1_11comp_targetILNS1_3genE4ELNS1_11target_archE910ELNS1_3gpuE8ELNS1_3repE0EEENS1_38merge_mergepath_config_static_selectorELNS0_4arch9wavefront6targetE0EEEvSF_.numbered_sgpr, 0
	.set _ZN7rocprim17ROCPRIM_400000_NS6detail17trampoline_kernelINS0_14default_configENS1_38merge_sort_block_merge_config_selectorIbNS0_10empty_typeEEEZZNS1_27merge_sort_block_merge_implIS3_PbPS5_jNS1_19radix_merge_compareILb1ELb1EbNS0_19identity_decomposerEEEEE10hipError_tT0_T1_T2_jT3_P12ihipStream_tbPNSt15iterator_traitsISE_E10value_typeEPNSK_ISF_E10value_typeEPSG_NS1_7vsmem_tEENKUlT_SE_SF_SG_E_clIS8_S8_S9_S9_EESD_ST_SE_SF_SG_EUlST_E0_NS1_11comp_targetILNS1_3genE4ELNS1_11target_archE910ELNS1_3gpuE8ELNS1_3repE0EEENS1_38merge_mergepath_config_static_selectorELNS0_4arch9wavefront6targetE0EEEvSF_.num_named_barrier, 0
	.set _ZN7rocprim17ROCPRIM_400000_NS6detail17trampoline_kernelINS0_14default_configENS1_38merge_sort_block_merge_config_selectorIbNS0_10empty_typeEEEZZNS1_27merge_sort_block_merge_implIS3_PbPS5_jNS1_19radix_merge_compareILb1ELb1EbNS0_19identity_decomposerEEEEE10hipError_tT0_T1_T2_jT3_P12ihipStream_tbPNSt15iterator_traitsISE_E10value_typeEPNSK_ISF_E10value_typeEPSG_NS1_7vsmem_tEENKUlT_SE_SF_SG_E_clIS8_S8_S9_S9_EESD_ST_SE_SF_SG_EUlST_E0_NS1_11comp_targetILNS1_3genE4ELNS1_11target_archE910ELNS1_3gpuE8ELNS1_3repE0EEENS1_38merge_mergepath_config_static_selectorELNS0_4arch9wavefront6targetE0EEEvSF_.private_seg_size, 0
	.set _ZN7rocprim17ROCPRIM_400000_NS6detail17trampoline_kernelINS0_14default_configENS1_38merge_sort_block_merge_config_selectorIbNS0_10empty_typeEEEZZNS1_27merge_sort_block_merge_implIS3_PbPS5_jNS1_19radix_merge_compareILb1ELb1EbNS0_19identity_decomposerEEEEE10hipError_tT0_T1_T2_jT3_P12ihipStream_tbPNSt15iterator_traitsISE_E10value_typeEPNSK_ISF_E10value_typeEPSG_NS1_7vsmem_tEENKUlT_SE_SF_SG_E_clIS8_S8_S9_S9_EESD_ST_SE_SF_SG_EUlST_E0_NS1_11comp_targetILNS1_3genE4ELNS1_11target_archE910ELNS1_3gpuE8ELNS1_3repE0EEENS1_38merge_mergepath_config_static_selectorELNS0_4arch9wavefront6targetE0EEEvSF_.uses_vcc, 0
	.set _ZN7rocprim17ROCPRIM_400000_NS6detail17trampoline_kernelINS0_14default_configENS1_38merge_sort_block_merge_config_selectorIbNS0_10empty_typeEEEZZNS1_27merge_sort_block_merge_implIS3_PbPS5_jNS1_19radix_merge_compareILb1ELb1EbNS0_19identity_decomposerEEEEE10hipError_tT0_T1_T2_jT3_P12ihipStream_tbPNSt15iterator_traitsISE_E10value_typeEPNSK_ISF_E10value_typeEPSG_NS1_7vsmem_tEENKUlT_SE_SF_SG_E_clIS8_S8_S9_S9_EESD_ST_SE_SF_SG_EUlST_E0_NS1_11comp_targetILNS1_3genE4ELNS1_11target_archE910ELNS1_3gpuE8ELNS1_3repE0EEENS1_38merge_mergepath_config_static_selectorELNS0_4arch9wavefront6targetE0EEEvSF_.uses_flat_scratch, 0
	.set _ZN7rocprim17ROCPRIM_400000_NS6detail17trampoline_kernelINS0_14default_configENS1_38merge_sort_block_merge_config_selectorIbNS0_10empty_typeEEEZZNS1_27merge_sort_block_merge_implIS3_PbPS5_jNS1_19radix_merge_compareILb1ELb1EbNS0_19identity_decomposerEEEEE10hipError_tT0_T1_T2_jT3_P12ihipStream_tbPNSt15iterator_traitsISE_E10value_typeEPNSK_ISF_E10value_typeEPSG_NS1_7vsmem_tEENKUlT_SE_SF_SG_E_clIS8_S8_S9_S9_EESD_ST_SE_SF_SG_EUlST_E0_NS1_11comp_targetILNS1_3genE4ELNS1_11target_archE910ELNS1_3gpuE8ELNS1_3repE0EEENS1_38merge_mergepath_config_static_selectorELNS0_4arch9wavefront6targetE0EEEvSF_.has_dyn_sized_stack, 0
	.set _ZN7rocprim17ROCPRIM_400000_NS6detail17trampoline_kernelINS0_14default_configENS1_38merge_sort_block_merge_config_selectorIbNS0_10empty_typeEEEZZNS1_27merge_sort_block_merge_implIS3_PbPS5_jNS1_19radix_merge_compareILb1ELb1EbNS0_19identity_decomposerEEEEE10hipError_tT0_T1_T2_jT3_P12ihipStream_tbPNSt15iterator_traitsISE_E10value_typeEPNSK_ISF_E10value_typeEPSG_NS1_7vsmem_tEENKUlT_SE_SF_SG_E_clIS8_S8_S9_S9_EESD_ST_SE_SF_SG_EUlST_E0_NS1_11comp_targetILNS1_3genE4ELNS1_11target_archE910ELNS1_3gpuE8ELNS1_3repE0EEENS1_38merge_mergepath_config_static_selectorELNS0_4arch9wavefront6targetE0EEEvSF_.has_recursion, 0
	.set _ZN7rocprim17ROCPRIM_400000_NS6detail17trampoline_kernelINS0_14default_configENS1_38merge_sort_block_merge_config_selectorIbNS0_10empty_typeEEEZZNS1_27merge_sort_block_merge_implIS3_PbPS5_jNS1_19radix_merge_compareILb1ELb1EbNS0_19identity_decomposerEEEEE10hipError_tT0_T1_T2_jT3_P12ihipStream_tbPNSt15iterator_traitsISE_E10value_typeEPNSK_ISF_E10value_typeEPSG_NS1_7vsmem_tEENKUlT_SE_SF_SG_E_clIS8_S8_S9_S9_EESD_ST_SE_SF_SG_EUlST_E0_NS1_11comp_targetILNS1_3genE4ELNS1_11target_archE910ELNS1_3gpuE8ELNS1_3repE0EEENS1_38merge_mergepath_config_static_selectorELNS0_4arch9wavefront6targetE0EEEvSF_.has_indirect_call, 0
	.section	.AMDGPU.csdata,"",@progbits
; Kernel info:
; codeLenInByte = 0
; TotalNumSgprs: 0
; NumVgprs: 0
; ScratchSize: 0
; MemoryBound: 0
; FloatMode: 240
; IeeeMode: 1
; LDSByteSize: 0 bytes/workgroup (compile time only)
; SGPRBlocks: 0
; VGPRBlocks: 0
; NumSGPRsForWavesPerEU: 1
; NumVGPRsForWavesPerEU: 1
; NamedBarCnt: 0
; Occupancy: 16
; WaveLimiterHint : 0
; COMPUTE_PGM_RSRC2:SCRATCH_EN: 0
; COMPUTE_PGM_RSRC2:USER_SGPR: 2
; COMPUTE_PGM_RSRC2:TRAP_HANDLER: 0
; COMPUTE_PGM_RSRC2:TGID_X_EN: 1
; COMPUTE_PGM_RSRC2:TGID_Y_EN: 0
; COMPUTE_PGM_RSRC2:TGID_Z_EN: 0
; COMPUTE_PGM_RSRC2:TIDIG_COMP_CNT: 0
	.section	.text._ZN7rocprim17ROCPRIM_400000_NS6detail17trampoline_kernelINS0_14default_configENS1_38merge_sort_block_merge_config_selectorIbNS0_10empty_typeEEEZZNS1_27merge_sort_block_merge_implIS3_PbPS5_jNS1_19radix_merge_compareILb1ELb1EbNS0_19identity_decomposerEEEEE10hipError_tT0_T1_T2_jT3_P12ihipStream_tbPNSt15iterator_traitsISE_E10value_typeEPNSK_ISF_E10value_typeEPSG_NS1_7vsmem_tEENKUlT_SE_SF_SG_E_clIS8_S8_S9_S9_EESD_ST_SE_SF_SG_EUlST_E0_NS1_11comp_targetILNS1_3genE3ELNS1_11target_archE908ELNS1_3gpuE7ELNS1_3repE0EEENS1_38merge_mergepath_config_static_selectorELNS0_4arch9wavefront6targetE0EEEvSF_,"axG",@progbits,_ZN7rocprim17ROCPRIM_400000_NS6detail17trampoline_kernelINS0_14default_configENS1_38merge_sort_block_merge_config_selectorIbNS0_10empty_typeEEEZZNS1_27merge_sort_block_merge_implIS3_PbPS5_jNS1_19radix_merge_compareILb1ELb1EbNS0_19identity_decomposerEEEEE10hipError_tT0_T1_T2_jT3_P12ihipStream_tbPNSt15iterator_traitsISE_E10value_typeEPNSK_ISF_E10value_typeEPSG_NS1_7vsmem_tEENKUlT_SE_SF_SG_E_clIS8_S8_S9_S9_EESD_ST_SE_SF_SG_EUlST_E0_NS1_11comp_targetILNS1_3genE3ELNS1_11target_archE908ELNS1_3gpuE7ELNS1_3repE0EEENS1_38merge_mergepath_config_static_selectorELNS0_4arch9wavefront6targetE0EEEvSF_,comdat
	.protected	_ZN7rocprim17ROCPRIM_400000_NS6detail17trampoline_kernelINS0_14default_configENS1_38merge_sort_block_merge_config_selectorIbNS0_10empty_typeEEEZZNS1_27merge_sort_block_merge_implIS3_PbPS5_jNS1_19radix_merge_compareILb1ELb1EbNS0_19identity_decomposerEEEEE10hipError_tT0_T1_T2_jT3_P12ihipStream_tbPNSt15iterator_traitsISE_E10value_typeEPNSK_ISF_E10value_typeEPSG_NS1_7vsmem_tEENKUlT_SE_SF_SG_E_clIS8_S8_S9_S9_EESD_ST_SE_SF_SG_EUlST_E0_NS1_11comp_targetILNS1_3genE3ELNS1_11target_archE908ELNS1_3gpuE7ELNS1_3repE0EEENS1_38merge_mergepath_config_static_selectorELNS0_4arch9wavefront6targetE0EEEvSF_ ; -- Begin function _ZN7rocprim17ROCPRIM_400000_NS6detail17trampoline_kernelINS0_14default_configENS1_38merge_sort_block_merge_config_selectorIbNS0_10empty_typeEEEZZNS1_27merge_sort_block_merge_implIS3_PbPS5_jNS1_19radix_merge_compareILb1ELb1EbNS0_19identity_decomposerEEEEE10hipError_tT0_T1_T2_jT3_P12ihipStream_tbPNSt15iterator_traitsISE_E10value_typeEPNSK_ISF_E10value_typeEPSG_NS1_7vsmem_tEENKUlT_SE_SF_SG_E_clIS8_S8_S9_S9_EESD_ST_SE_SF_SG_EUlST_E0_NS1_11comp_targetILNS1_3genE3ELNS1_11target_archE908ELNS1_3gpuE7ELNS1_3repE0EEENS1_38merge_mergepath_config_static_selectorELNS0_4arch9wavefront6targetE0EEEvSF_
	.globl	_ZN7rocprim17ROCPRIM_400000_NS6detail17trampoline_kernelINS0_14default_configENS1_38merge_sort_block_merge_config_selectorIbNS0_10empty_typeEEEZZNS1_27merge_sort_block_merge_implIS3_PbPS5_jNS1_19radix_merge_compareILb1ELb1EbNS0_19identity_decomposerEEEEE10hipError_tT0_T1_T2_jT3_P12ihipStream_tbPNSt15iterator_traitsISE_E10value_typeEPNSK_ISF_E10value_typeEPSG_NS1_7vsmem_tEENKUlT_SE_SF_SG_E_clIS8_S8_S9_S9_EESD_ST_SE_SF_SG_EUlST_E0_NS1_11comp_targetILNS1_3genE3ELNS1_11target_archE908ELNS1_3gpuE7ELNS1_3repE0EEENS1_38merge_mergepath_config_static_selectorELNS0_4arch9wavefront6targetE0EEEvSF_
	.p2align	8
	.type	_ZN7rocprim17ROCPRIM_400000_NS6detail17trampoline_kernelINS0_14default_configENS1_38merge_sort_block_merge_config_selectorIbNS0_10empty_typeEEEZZNS1_27merge_sort_block_merge_implIS3_PbPS5_jNS1_19radix_merge_compareILb1ELb1EbNS0_19identity_decomposerEEEEE10hipError_tT0_T1_T2_jT3_P12ihipStream_tbPNSt15iterator_traitsISE_E10value_typeEPNSK_ISF_E10value_typeEPSG_NS1_7vsmem_tEENKUlT_SE_SF_SG_E_clIS8_S8_S9_S9_EESD_ST_SE_SF_SG_EUlST_E0_NS1_11comp_targetILNS1_3genE3ELNS1_11target_archE908ELNS1_3gpuE7ELNS1_3repE0EEENS1_38merge_mergepath_config_static_selectorELNS0_4arch9wavefront6targetE0EEEvSF_,@function
_ZN7rocprim17ROCPRIM_400000_NS6detail17trampoline_kernelINS0_14default_configENS1_38merge_sort_block_merge_config_selectorIbNS0_10empty_typeEEEZZNS1_27merge_sort_block_merge_implIS3_PbPS5_jNS1_19radix_merge_compareILb1ELb1EbNS0_19identity_decomposerEEEEE10hipError_tT0_T1_T2_jT3_P12ihipStream_tbPNSt15iterator_traitsISE_E10value_typeEPNSK_ISF_E10value_typeEPSG_NS1_7vsmem_tEENKUlT_SE_SF_SG_E_clIS8_S8_S9_S9_EESD_ST_SE_SF_SG_EUlST_E0_NS1_11comp_targetILNS1_3genE3ELNS1_11target_archE908ELNS1_3gpuE7ELNS1_3repE0EEENS1_38merge_mergepath_config_static_selectorELNS0_4arch9wavefront6targetE0EEEvSF_: ; @_ZN7rocprim17ROCPRIM_400000_NS6detail17trampoline_kernelINS0_14default_configENS1_38merge_sort_block_merge_config_selectorIbNS0_10empty_typeEEEZZNS1_27merge_sort_block_merge_implIS3_PbPS5_jNS1_19radix_merge_compareILb1ELb1EbNS0_19identity_decomposerEEEEE10hipError_tT0_T1_T2_jT3_P12ihipStream_tbPNSt15iterator_traitsISE_E10value_typeEPNSK_ISF_E10value_typeEPSG_NS1_7vsmem_tEENKUlT_SE_SF_SG_E_clIS8_S8_S9_S9_EESD_ST_SE_SF_SG_EUlST_E0_NS1_11comp_targetILNS1_3genE3ELNS1_11target_archE908ELNS1_3gpuE7ELNS1_3repE0EEENS1_38merge_mergepath_config_static_selectorELNS0_4arch9wavefront6targetE0EEEvSF_
; %bb.0:
	.section	.rodata,"a",@progbits
	.p2align	6, 0x0
	.amdhsa_kernel _ZN7rocprim17ROCPRIM_400000_NS6detail17trampoline_kernelINS0_14default_configENS1_38merge_sort_block_merge_config_selectorIbNS0_10empty_typeEEEZZNS1_27merge_sort_block_merge_implIS3_PbPS5_jNS1_19radix_merge_compareILb1ELb1EbNS0_19identity_decomposerEEEEE10hipError_tT0_T1_T2_jT3_P12ihipStream_tbPNSt15iterator_traitsISE_E10value_typeEPNSK_ISF_E10value_typeEPSG_NS1_7vsmem_tEENKUlT_SE_SF_SG_E_clIS8_S8_S9_S9_EESD_ST_SE_SF_SG_EUlST_E0_NS1_11comp_targetILNS1_3genE3ELNS1_11target_archE908ELNS1_3gpuE7ELNS1_3repE0EEENS1_38merge_mergepath_config_static_selectorELNS0_4arch9wavefront6targetE0EEEvSF_
		.amdhsa_group_segment_fixed_size 0
		.amdhsa_private_segment_fixed_size 0
		.amdhsa_kernarg_size 64
		.amdhsa_user_sgpr_count 2
		.amdhsa_user_sgpr_dispatch_ptr 0
		.amdhsa_user_sgpr_queue_ptr 0
		.amdhsa_user_sgpr_kernarg_segment_ptr 1
		.amdhsa_user_sgpr_dispatch_id 0
		.amdhsa_user_sgpr_kernarg_preload_length 0
		.amdhsa_user_sgpr_kernarg_preload_offset 0
		.amdhsa_user_sgpr_private_segment_size 0
		.amdhsa_wavefront_size32 1
		.amdhsa_uses_dynamic_stack 0
		.amdhsa_enable_private_segment 0
		.amdhsa_system_sgpr_workgroup_id_x 1
		.amdhsa_system_sgpr_workgroup_id_y 0
		.amdhsa_system_sgpr_workgroup_id_z 0
		.amdhsa_system_sgpr_workgroup_info 0
		.amdhsa_system_vgpr_workitem_id 0
		.amdhsa_next_free_vgpr 1
		.amdhsa_next_free_sgpr 1
		.amdhsa_named_barrier_count 0
		.amdhsa_reserve_vcc 0
		.amdhsa_float_round_mode_32 0
		.amdhsa_float_round_mode_16_64 0
		.amdhsa_float_denorm_mode_32 3
		.amdhsa_float_denorm_mode_16_64 3
		.amdhsa_fp16_overflow 0
		.amdhsa_memory_ordered 1
		.amdhsa_forward_progress 1
		.amdhsa_inst_pref_size 0
		.amdhsa_round_robin_scheduling 0
		.amdhsa_exception_fp_ieee_invalid_op 0
		.amdhsa_exception_fp_denorm_src 0
		.amdhsa_exception_fp_ieee_div_zero 0
		.amdhsa_exception_fp_ieee_overflow 0
		.amdhsa_exception_fp_ieee_underflow 0
		.amdhsa_exception_fp_ieee_inexact 0
		.amdhsa_exception_int_div_zero 0
	.end_amdhsa_kernel
	.section	.text._ZN7rocprim17ROCPRIM_400000_NS6detail17trampoline_kernelINS0_14default_configENS1_38merge_sort_block_merge_config_selectorIbNS0_10empty_typeEEEZZNS1_27merge_sort_block_merge_implIS3_PbPS5_jNS1_19radix_merge_compareILb1ELb1EbNS0_19identity_decomposerEEEEE10hipError_tT0_T1_T2_jT3_P12ihipStream_tbPNSt15iterator_traitsISE_E10value_typeEPNSK_ISF_E10value_typeEPSG_NS1_7vsmem_tEENKUlT_SE_SF_SG_E_clIS8_S8_S9_S9_EESD_ST_SE_SF_SG_EUlST_E0_NS1_11comp_targetILNS1_3genE3ELNS1_11target_archE908ELNS1_3gpuE7ELNS1_3repE0EEENS1_38merge_mergepath_config_static_selectorELNS0_4arch9wavefront6targetE0EEEvSF_,"axG",@progbits,_ZN7rocprim17ROCPRIM_400000_NS6detail17trampoline_kernelINS0_14default_configENS1_38merge_sort_block_merge_config_selectorIbNS0_10empty_typeEEEZZNS1_27merge_sort_block_merge_implIS3_PbPS5_jNS1_19radix_merge_compareILb1ELb1EbNS0_19identity_decomposerEEEEE10hipError_tT0_T1_T2_jT3_P12ihipStream_tbPNSt15iterator_traitsISE_E10value_typeEPNSK_ISF_E10value_typeEPSG_NS1_7vsmem_tEENKUlT_SE_SF_SG_E_clIS8_S8_S9_S9_EESD_ST_SE_SF_SG_EUlST_E0_NS1_11comp_targetILNS1_3genE3ELNS1_11target_archE908ELNS1_3gpuE7ELNS1_3repE0EEENS1_38merge_mergepath_config_static_selectorELNS0_4arch9wavefront6targetE0EEEvSF_,comdat
.Lfunc_end1703:
	.size	_ZN7rocprim17ROCPRIM_400000_NS6detail17trampoline_kernelINS0_14default_configENS1_38merge_sort_block_merge_config_selectorIbNS0_10empty_typeEEEZZNS1_27merge_sort_block_merge_implIS3_PbPS5_jNS1_19radix_merge_compareILb1ELb1EbNS0_19identity_decomposerEEEEE10hipError_tT0_T1_T2_jT3_P12ihipStream_tbPNSt15iterator_traitsISE_E10value_typeEPNSK_ISF_E10value_typeEPSG_NS1_7vsmem_tEENKUlT_SE_SF_SG_E_clIS8_S8_S9_S9_EESD_ST_SE_SF_SG_EUlST_E0_NS1_11comp_targetILNS1_3genE3ELNS1_11target_archE908ELNS1_3gpuE7ELNS1_3repE0EEENS1_38merge_mergepath_config_static_selectorELNS0_4arch9wavefront6targetE0EEEvSF_, .Lfunc_end1703-_ZN7rocprim17ROCPRIM_400000_NS6detail17trampoline_kernelINS0_14default_configENS1_38merge_sort_block_merge_config_selectorIbNS0_10empty_typeEEEZZNS1_27merge_sort_block_merge_implIS3_PbPS5_jNS1_19radix_merge_compareILb1ELb1EbNS0_19identity_decomposerEEEEE10hipError_tT0_T1_T2_jT3_P12ihipStream_tbPNSt15iterator_traitsISE_E10value_typeEPNSK_ISF_E10value_typeEPSG_NS1_7vsmem_tEENKUlT_SE_SF_SG_E_clIS8_S8_S9_S9_EESD_ST_SE_SF_SG_EUlST_E0_NS1_11comp_targetILNS1_3genE3ELNS1_11target_archE908ELNS1_3gpuE7ELNS1_3repE0EEENS1_38merge_mergepath_config_static_selectorELNS0_4arch9wavefront6targetE0EEEvSF_
                                        ; -- End function
	.set _ZN7rocprim17ROCPRIM_400000_NS6detail17trampoline_kernelINS0_14default_configENS1_38merge_sort_block_merge_config_selectorIbNS0_10empty_typeEEEZZNS1_27merge_sort_block_merge_implIS3_PbPS5_jNS1_19radix_merge_compareILb1ELb1EbNS0_19identity_decomposerEEEEE10hipError_tT0_T1_T2_jT3_P12ihipStream_tbPNSt15iterator_traitsISE_E10value_typeEPNSK_ISF_E10value_typeEPSG_NS1_7vsmem_tEENKUlT_SE_SF_SG_E_clIS8_S8_S9_S9_EESD_ST_SE_SF_SG_EUlST_E0_NS1_11comp_targetILNS1_3genE3ELNS1_11target_archE908ELNS1_3gpuE7ELNS1_3repE0EEENS1_38merge_mergepath_config_static_selectorELNS0_4arch9wavefront6targetE0EEEvSF_.num_vgpr, 0
	.set _ZN7rocprim17ROCPRIM_400000_NS6detail17trampoline_kernelINS0_14default_configENS1_38merge_sort_block_merge_config_selectorIbNS0_10empty_typeEEEZZNS1_27merge_sort_block_merge_implIS3_PbPS5_jNS1_19radix_merge_compareILb1ELb1EbNS0_19identity_decomposerEEEEE10hipError_tT0_T1_T2_jT3_P12ihipStream_tbPNSt15iterator_traitsISE_E10value_typeEPNSK_ISF_E10value_typeEPSG_NS1_7vsmem_tEENKUlT_SE_SF_SG_E_clIS8_S8_S9_S9_EESD_ST_SE_SF_SG_EUlST_E0_NS1_11comp_targetILNS1_3genE3ELNS1_11target_archE908ELNS1_3gpuE7ELNS1_3repE0EEENS1_38merge_mergepath_config_static_selectorELNS0_4arch9wavefront6targetE0EEEvSF_.num_agpr, 0
	.set _ZN7rocprim17ROCPRIM_400000_NS6detail17trampoline_kernelINS0_14default_configENS1_38merge_sort_block_merge_config_selectorIbNS0_10empty_typeEEEZZNS1_27merge_sort_block_merge_implIS3_PbPS5_jNS1_19radix_merge_compareILb1ELb1EbNS0_19identity_decomposerEEEEE10hipError_tT0_T1_T2_jT3_P12ihipStream_tbPNSt15iterator_traitsISE_E10value_typeEPNSK_ISF_E10value_typeEPSG_NS1_7vsmem_tEENKUlT_SE_SF_SG_E_clIS8_S8_S9_S9_EESD_ST_SE_SF_SG_EUlST_E0_NS1_11comp_targetILNS1_3genE3ELNS1_11target_archE908ELNS1_3gpuE7ELNS1_3repE0EEENS1_38merge_mergepath_config_static_selectorELNS0_4arch9wavefront6targetE0EEEvSF_.numbered_sgpr, 0
	.set _ZN7rocprim17ROCPRIM_400000_NS6detail17trampoline_kernelINS0_14default_configENS1_38merge_sort_block_merge_config_selectorIbNS0_10empty_typeEEEZZNS1_27merge_sort_block_merge_implIS3_PbPS5_jNS1_19radix_merge_compareILb1ELb1EbNS0_19identity_decomposerEEEEE10hipError_tT0_T1_T2_jT3_P12ihipStream_tbPNSt15iterator_traitsISE_E10value_typeEPNSK_ISF_E10value_typeEPSG_NS1_7vsmem_tEENKUlT_SE_SF_SG_E_clIS8_S8_S9_S9_EESD_ST_SE_SF_SG_EUlST_E0_NS1_11comp_targetILNS1_3genE3ELNS1_11target_archE908ELNS1_3gpuE7ELNS1_3repE0EEENS1_38merge_mergepath_config_static_selectorELNS0_4arch9wavefront6targetE0EEEvSF_.num_named_barrier, 0
	.set _ZN7rocprim17ROCPRIM_400000_NS6detail17trampoline_kernelINS0_14default_configENS1_38merge_sort_block_merge_config_selectorIbNS0_10empty_typeEEEZZNS1_27merge_sort_block_merge_implIS3_PbPS5_jNS1_19radix_merge_compareILb1ELb1EbNS0_19identity_decomposerEEEEE10hipError_tT0_T1_T2_jT3_P12ihipStream_tbPNSt15iterator_traitsISE_E10value_typeEPNSK_ISF_E10value_typeEPSG_NS1_7vsmem_tEENKUlT_SE_SF_SG_E_clIS8_S8_S9_S9_EESD_ST_SE_SF_SG_EUlST_E0_NS1_11comp_targetILNS1_3genE3ELNS1_11target_archE908ELNS1_3gpuE7ELNS1_3repE0EEENS1_38merge_mergepath_config_static_selectorELNS0_4arch9wavefront6targetE0EEEvSF_.private_seg_size, 0
	.set _ZN7rocprim17ROCPRIM_400000_NS6detail17trampoline_kernelINS0_14default_configENS1_38merge_sort_block_merge_config_selectorIbNS0_10empty_typeEEEZZNS1_27merge_sort_block_merge_implIS3_PbPS5_jNS1_19radix_merge_compareILb1ELb1EbNS0_19identity_decomposerEEEEE10hipError_tT0_T1_T2_jT3_P12ihipStream_tbPNSt15iterator_traitsISE_E10value_typeEPNSK_ISF_E10value_typeEPSG_NS1_7vsmem_tEENKUlT_SE_SF_SG_E_clIS8_S8_S9_S9_EESD_ST_SE_SF_SG_EUlST_E0_NS1_11comp_targetILNS1_3genE3ELNS1_11target_archE908ELNS1_3gpuE7ELNS1_3repE0EEENS1_38merge_mergepath_config_static_selectorELNS0_4arch9wavefront6targetE0EEEvSF_.uses_vcc, 0
	.set _ZN7rocprim17ROCPRIM_400000_NS6detail17trampoline_kernelINS0_14default_configENS1_38merge_sort_block_merge_config_selectorIbNS0_10empty_typeEEEZZNS1_27merge_sort_block_merge_implIS3_PbPS5_jNS1_19radix_merge_compareILb1ELb1EbNS0_19identity_decomposerEEEEE10hipError_tT0_T1_T2_jT3_P12ihipStream_tbPNSt15iterator_traitsISE_E10value_typeEPNSK_ISF_E10value_typeEPSG_NS1_7vsmem_tEENKUlT_SE_SF_SG_E_clIS8_S8_S9_S9_EESD_ST_SE_SF_SG_EUlST_E0_NS1_11comp_targetILNS1_3genE3ELNS1_11target_archE908ELNS1_3gpuE7ELNS1_3repE0EEENS1_38merge_mergepath_config_static_selectorELNS0_4arch9wavefront6targetE0EEEvSF_.uses_flat_scratch, 0
	.set _ZN7rocprim17ROCPRIM_400000_NS6detail17trampoline_kernelINS0_14default_configENS1_38merge_sort_block_merge_config_selectorIbNS0_10empty_typeEEEZZNS1_27merge_sort_block_merge_implIS3_PbPS5_jNS1_19radix_merge_compareILb1ELb1EbNS0_19identity_decomposerEEEEE10hipError_tT0_T1_T2_jT3_P12ihipStream_tbPNSt15iterator_traitsISE_E10value_typeEPNSK_ISF_E10value_typeEPSG_NS1_7vsmem_tEENKUlT_SE_SF_SG_E_clIS8_S8_S9_S9_EESD_ST_SE_SF_SG_EUlST_E0_NS1_11comp_targetILNS1_3genE3ELNS1_11target_archE908ELNS1_3gpuE7ELNS1_3repE0EEENS1_38merge_mergepath_config_static_selectorELNS0_4arch9wavefront6targetE0EEEvSF_.has_dyn_sized_stack, 0
	.set _ZN7rocprim17ROCPRIM_400000_NS6detail17trampoline_kernelINS0_14default_configENS1_38merge_sort_block_merge_config_selectorIbNS0_10empty_typeEEEZZNS1_27merge_sort_block_merge_implIS3_PbPS5_jNS1_19radix_merge_compareILb1ELb1EbNS0_19identity_decomposerEEEEE10hipError_tT0_T1_T2_jT3_P12ihipStream_tbPNSt15iterator_traitsISE_E10value_typeEPNSK_ISF_E10value_typeEPSG_NS1_7vsmem_tEENKUlT_SE_SF_SG_E_clIS8_S8_S9_S9_EESD_ST_SE_SF_SG_EUlST_E0_NS1_11comp_targetILNS1_3genE3ELNS1_11target_archE908ELNS1_3gpuE7ELNS1_3repE0EEENS1_38merge_mergepath_config_static_selectorELNS0_4arch9wavefront6targetE0EEEvSF_.has_recursion, 0
	.set _ZN7rocprim17ROCPRIM_400000_NS6detail17trampoline_kernelINS0_14default_configENS1_38merge_sort_block_merge_config_selectorIbNS0_10empty_typeEEEZZNS1_27merge_sort_block_merge_implIS3_PbPS5_jNS1_19radix_merge_compareILb1ELb1EbNS0_19identity_decomposerEEEEE10hipError_tT0_T1_T2_jT3_P12ihipStream_tbPNSt15iterator_traitsISE_E10value_typeEPNSK_ISF_E10value_typeEPSG_NS1_7vsmem_tEENKUlT_SE_SF_SG_E_clIS8_S8_S9_S9_EESD_ST_SE_SF_SG_EUlST_E0_NS1_11comp_targetILNS1_3genE3ELNS1_11target_archE908ELNS1_3gpuE7ELNS1_3repE0EEENS1_38merge_mergepath_config_static_selectorELNS0_4arch9wavefront6targetE0EEEvSF_.has_indirect_call, 0
	.section	.AMDGPU.csdata,"",@progbits
; Kernel info:
; codeLenInByte = 0
; TotalNumSgprs: 0
; NumVgprs: 0
; ScratchSize: 0
; MemoryBound: 0
; FloatMode: 240
; IeeeMode: 1
; LDSByteSize: 0 bytes/workgroup (compile time only)
; SGPRBlocks: 0
; VGPRBlocks: 0
; NumSGPRsForWavesPerEU: 1
; NumVGPRsForWavesPerEU: 1
; NamedBarCnt: 0
; Occupancy: 16
; WaveLimiterHint : 0
; COMPUTE_PGM_RSRC2:SCRATCH_EN: 0
; COMPUTE_PGM_RSRC2:USER_SGPR: 2
; COMPUTE_PGM_RSRC2:TRAP_HANDLER: 0
; COMPUTE_PGM_RSRC2:TGID_X_EN: 1
; COMPUTE_PGM_RSRC2:TGID_Y_EN: 0
; COMPUTE_PGM_RSRC2:TGID_Z_EN: 0
; COMPUTE_PGM_RSRC2:TIDIG_COMP_CNT: 0
	.section	.text._ZN7rocprim17ROCPRIM_400000_NS6detail17trampoline_kernelINS0_14default_configENS1_38merge_sort_block_merge_config_selectorIbNS0_10empty_typeEEEZZNS1_27merge_sort_block_merge_implIS3_PbPS5_jNS1_19radix_merge_compareILb1ELb1EbNS0_19identity_decomposerEEEEE10hipError_tT0_T1_T2_jT3_P12ihipStream_tbPNSt15iterator_traitsISE_E10value_typeEPNSK_ISF_E10value_typeEPSG_NS1_7vsmem_tEENKUlT_SE_SF_SG_E_clIS8_S8_S9_S9_EESD_ST_SE_SF_SG_EUlST_E0_NS1_11comp_targetILNS1_3genE2ELNS1_11target_archE906ELNS1_3gpuE6ELNS1_3repE0EEENS1_38merge_mergepath_config_static_selectorELNS0_4arch9wavefront6targetE0EEEvSF_,"axG",@progbits,_ZN7rocprim17ROCPRIM_400000_NS6detail17trampoline_kernelINS0_14default_configENS1_38merge_sort_block_merge_config_selectorIbNS0_10empty_typeEEEZZNS1_27merge_sort_block_merge_implIS3_PbPS5_jNS1_19radix_merge_compareILb1ELb1EbNS0_19identity_decomposerEEEEE10hipError_tT0_T1_T2_jT3_P12ihipStream_tbPNSt15iterator_traitsISE_E10value_typeEPNSK_ISF_E10value_typeEPSG_NS1_7vsmem_tEENKUlT_SE_SF_SG_E_clIS8_S8_S9_S9_EESD_ST_SE_SF_SG_EUlST_E0_NS1_11comp_targetILNS1_3genE2ELNS1_11target_archE906ELNS1_3gpuE6ELNS1_3repE0EEENS1_38merge_mergepath_config_static_selectorELNS0_4arch9wavefront6targetE0EEEvSF_,comdat
	.protected	_ZN7rocprim17ROCPRIM_400000_NS6detail17trampoline_kernelINS0_14default_configENS1_38merge_sort_block_merge_config_selectorIbNS0_10empty_typeEEEZZNS1_27merge_sort_block_merge_implIS3_PbPS5_jNS1_19radix_merge_compareILb1ELb1EbNS0_19identity_decomposerEEEEE10hipError_tT0_T1_T2_jT3_P12ihipStream_tbPNSt15iterator_traitsISE_E10value_typeEPNSK_ISF_E10value_typeEPSG_NS1_7vsmem_tEENKUlT_SE_SF_SG_E_clIS8_S8_S9_S9_EESD_ST_SE_SF_SG_EUlST_E0_NS1_11comp_targetILNS1_3genE2ELNS1_11target_archE906ELNS1_3gpuE6ELNS1_3repE0EEENS1_38merge_mergepath_config_static_selectorELNS0_4arch9wavefront6targetE0EEEvSF_ ; -- Begin function _ZN7rocprim17ROCPRIM_400000_NS6detail17trampoline_kernelINS0_14default_configENS1_38merge_sort_block_merge_config_selectorIbNS0_10empty_typeEEEZZNS1_27merge_sort_block_merge_implIS3_PbPS5_jNS1_19radix_merge_compareILb1ELb1EbNS0_19identity_decomposerEEEEE10hipError_tT0_T1_T2_jT3_P12ihipStream_tbPNSt15iterator_traitsISE_E10value_typeEPNSK_ISF_E10value_typeEPSG_NS1_7vsmem_tEENKUlT_SE_SF_SG_E_clIS8_S8_S9_S9_EESD_ST_SE_SF_SG_EUlST_E0_NS1_11comp_targetILNS1_3genE2ELNS1_11target_archE906ELNS1_3gpuE6ELNS1_3repE0EEENS1_38merge_mergepath_config_static_selectorELNS0_4arch9wavefront6targetE0EEEvSF_
	.globl	_ZN7rocprim17ROCPRIM_400000_NS6detail17trampoline_kernelINS0_14default_configENS1_38merge_sort_block_merge_config_selectorIbNS0_10empty_typeEEEZZNS1_27merge_sort_block_merge_implIS3_PbPS5_jNS1_19radix_merge_compareILb1ELb1EbNS0_19identity_decomposerEEEEE10hipError_tT0_T1_T2_jT3_P12ihipStream_tbPNSt15iterator_traitsISE_E10value_typeEPNSK_ISF_E10value_typeEPSG_NS1_7vsmem_tEENKUlT_SE_SF_SG_E_clIS8_S8_S9_S9_EESD_ST_SE_SF_SG_EUlST_E0_NS1_11comp_targetILNS1_3genE2ELNS1_11target_archE906ELNS1_3gpuE6ELNS1_3repE0EEENS1_38merge_mergepath_config_static_selectorELNS0_4arch9wavefront6targetE0EEEvSF_
	.p2align	8
	.type	_ZN7rocprim17ROCPRIM_400000_NS6detail17trampoline_kernelINS0_14default_configENS1_38merge_sort_block_merge_config_selectorIbNS0_10empty_typeEEEZZNS1_27merge_sort_block_merge_implIS3_PbPS5_jNS1_19radix_merge_compareILb1ELb1EbNS0_19identity_decomposerEEEEE10hipError_tT0_T1_T2_jT3_P12ihipStream_tbPNSt15iterator_traitsISE_E10value_typeEPNSK_ISF_E10value_typeEPSG_NS1_7vsmem_tEENKUlT_SE_SF_SG_E_clIS8_S8_S9_S9_EESD_ST_SE_SF_SG_EUlST_E0_NS1_11comp_targetILNS1_3genE2ELNS1_11target_archE906ELNS1_3gpuE6ELNS1_3repE0EEENS1_38merge_mergepath_config_static_selectorELNS0_4arch9wavefront6targetE0EEEvSF_,@function
_ZN7rocprim17ROCPRIM_400000_NS6detail17trampoline_kernelINS0_14default_configENS1_38merge_sort_block_merge_config_selectorIbNS0_10empty_typeEEEZZNS1_27merge_sort_block_merge_implIS3_PbPS5_jNS1_19radix_merge_compareILb1ELb1EbNS0_19identity_decomposerEEEEE10hipError_tT0_T1_T2_jT3_P12ihipStream_tbPNSt15iterator_traitsISE_E10value_typeEPNSK_ISF_E10value_typeEPSG_NS1_7vsmem_tEENKUlT_SE_SF_SG_E_clIS8_S8_S9_S9_EESD_ST_SE_SF_SG_EUlST_E0_NS1_11comp_targetILNS1_3genE2ELNS1_11target_archE906ELNS1_3gpuE6ELNS1_3repE0EEENS1_38merge_mergepath_config_static_selectorELNS0_4arch9wavefront6targetE0EEEvSF_: ; @_ZN7rocprim17ROCPRIM_400000_NS6detail17trampoline_kernelINS0_14default_configENS1_38merge_sort_block_merge_config_selectorIbNS0_10empty_typeEEEZZNS1_27merge_sort_block_merge_implIS3_PbPS5_jNS1_19radix_merge_compareILb1ELb1EbNS0_19identity_decomposerEEEEE10hipError_tT0_T1_T2_jT3_P12ihipStream_tbPNSt15iterator_traitsISE_E10value_typeEPNSK_ISF_E10value_typeEPSG_NS1_7vsmem_tEENKUlT_SE_SF_SG_E_clIS8_S8_S9_S9_EESD_ST_SE_SF_SG_EUlST_E0_NS1_11comp_targetILNS1_3genE2ELNS1_11target_archE906ELNS1_3gpuE6ELNS1_3repE0EEENS1_38merge_mergepath_config_static_selectorELNS0_4arch9wavefront6targetE0EEEvSF_
; %bb.0:
	.section	.rodata,"a",@progbits
	.p2align	6, 0x0
	.amdhsa_kernel _ZN7rocprim17ROCPRIM_400000_NS6detail17trampoline_kernelINS0_14default_configENS1_38merge_sort_block_merge_config_selectorIbNS0_10empty_typeEEEZZNS1_27merge_sort_block_merge_implIS3_PbPS5_jNS1_19radix_merge_compareILb1ELb1EbNS0_19identity_decomposerEEEEE10hipError_tT0_T1_T2_jT3_P12ihipStream_tbPNSt15iterator_traitsISE_E10value_typeEPNSK_ISF_E10value_typeEPSG_NS1_7vsmem_tEENKUlT_SE_SF_SG_E_clIS8_S8_S9_S9_EESD_ST_SE_SF_SG_EUlST_E0_NS1_11comp_targetILNS1_3genE2ELNS1_11target_archE906ELNS1_3gpuE6ELNS1_3repE0EEENS1_38merge_mergepath_config_static_selectorELNS0_4arch9wavefront6targetE0EEEvSF_
		.amdhsa_group_segment_fixed_size 0
		.amdhsa_private_segment_fixed_size 0
		.amdhsa_kernarg_size 64
		.amdhsa_user_sgpr_count 2
		.amdhsa_user_sgpr_dispatch_ptr 0
		.amdhsa_user_sgpr_queue_ptr 0
		.amdhsa_user_sgpr_kernarg_segment_ptr 1
		.amdhsa_user_sgpr_dispatch_id 0
		.amdhsa_user_sgpr_kernarg_preload_length 0
		.amdhsa_user_sgpr_kernarg_preload_offset 0
		.amdhsa_user_sgpr_private_segment_size 0
		.amdhsa_wavefront_size32 1
		.amdhsa_uses_dynamic_stack 0
		.amdhsa_enable_private_segment 0
		.amdhsa_system_sgpr_workgroup_id_x 1
		.amdhsa_system_sgpr_workgroup_id_y 0
		.amdhsa_system_sgpr_workgroup_id_z 0
		.amdhsa_system_sgpr_workgroup_info 0
		.amdhsa_system_vgpr_workitem_id 0
		.amdhsa_next_free_vgpr 1
		.amdhsa_next_free_sgpr 1
		.amdhsa_named_barrier_count 0
		.amdhsa_reserve_vcc 0
		.amdhsa_float_round_mode_32 0
		.amdhsa_float_round_mode_16_64 0
		.amdhsa_float_denorm_mode_32 3
		.amdhsa_float_denorm_mode_16_64 3
		.amdhsa_fp16_overflow 0
		.amdhsa_memory_ordered 1
		.amdhsa_forward_progress 1
		.amdhsa_inst_pref_size 0
		.amdhsa_round_robin_scheduling 0
		.amdhsa_exception_fp_ieee_invalid_op 0
		.amdhsa_exception_fp_denorm_src 0
		.amdhsa_exception_fp_ieee_div_zero 0
		.amdhsa_exception_fp_ieee_overflow 0
		.amdhsa_exception_fp_ieee_underflow 0
		.amdhsa_exception_fp_ieee_inexact 0
		.amdhsa_exception_int_div_zero 0
	.end_amdhsa_kernel
	.section	.text._ZN7rocprim17ROCPRIM_400000_NS6detail17trampoline_kernelINS0_14default_configENS1_38merge_sort_block_merge_config_selectorIbNS0_10empty_typeEEEZZNS1_27merge_sort_block_merge_implIS3_PbPS5_jNS1_19radix_merge_compareILb1ELb1EbNS0_19identity_decomposerEEEEE10hipError_tT0_T1_T2_jT3_P12ihipStream_tbPNSt15iterator_traitsISE_E10value_typeEPNSK_ISF_E10value_typeEPSG_NS1_7vsmem_tEENKUlT_SE_SF_SG_E_clIS8_S8_S9_S9_EESD_ST_SE_SF_SG_EUlST_E0_NS1_11comp_targetILNS1_3genE2ELNS1_11target_archE906ELNS1_3gpuE6ELNS1_3repE0EEENS1_38merge_mergepath_config_static_selectorELNS0_4arch9wavefront6targetE0EEEvSF_,"axG",@progbits,_ZN7rocprim17ROCPRIM_400000_NS6detail17trampoline_kernelINS0_14default_configENS1_38merge_sort_block_merge_config_selectorIbNS0_10empty_typeEEEZZNS1_27merge_sort_block_merge_implIS3_PbPS5_jNS1_19radix_merge_compareILb1ELb1EbNS0_19identity_decomposerEEEEE10hipError_tT0_T1_T2_jT3_P12ihipStream_tbPNSt15iterator_traitsISE_E10value_typeEPNSK_ISF_E10value_typeEPSG_NS1_7vsmem_tEENKUlT_SE_SF_SG_E_clIS8_S8_S9_S9_EESD_ST_SE_SF_SG_EUlST_E0_NS1_11comp_targetILNS1_3genE2ELNS1_11target_archE906ELNS1_3gpuE6ELNS1_3repE0EEENS1_38merge_mergepath_config_static_selectorELNS0_4arch9wavefront6targetE0EEEvSF_,comdat
.Lfunc_end1704:
	.size	_ZN7rocprim17ROCPRIM_400000_NS6detail17trampoline_kernelINS0_14default_configENS1_38merge_sort_block_merge_config_selectorIbNS0_10empty_typeEEEZZNS1_27merge_sort_block_merge_implIS3_PbPS5_jNS1_19radix_merge_compareILb1ELb1EbNS0_19identity_decomposerEEEEE10hipError_tT0_T1_T2_jT3_P12ihipStream_tbPNSt15iterator_traitsISE_E10value_typeEPNSK_ISF_E10value_typeEPSG_NS1_7vsmem_tEENKUlT_SE_SF_SG_E_clIS8_S8_S9_S9_EESD_ST_SE_SF_SG_EUlST_E0_NS1_11comp_targetILNS1_3genE2ELNS1_11target_archE906ELNS1_3gpuE6ELNS1_3repE0EEENS1_38merge_mergepath_config_static_selectorELNS0_4arch9wavefront6targetE0EEEvSF_, .Lfunc_end1704-_ZN7rocprim17ROCPRIM_400000_NS6detail17trampoline_kernelINS0_14default_configENS1_38merge_sort_block_merge_config_selectorIbNS0_10empty_typeEEEZZNS1_27merge_sort_block_merge_implIS3_PbPS5_jNS1_19radix_merge_compareILb1ELb1EbNS0_19identity_decomposerEEEEE10hipError_tT0_T1_T2_jT3_P12ihipStream_tbPNSt15iterator_traitsISE_E10value_typeEPNSK_ISF_E10value_typeEPSG_NS1_7vsmem_tEENKUlT_SE_SF_SG_E_clIS8_S8_S9_S9_EESD_ST_SE_SF_SG_EUlST_E0_NS1_11comp_targetILNS1_3genE2ELNS1_11target_archE906ELNS1_3gpuE6ELNS1_3repE0EEENS1_38merge_mergepath_config_static_selectorELNS0_4arch9wavefront6targetE0EEEvSF_
                                        ; -- End function
	.set _ZN7rocprim17ROCPRIM_400000_NS6detail17trampoline_kernelINS0_14default_configENS1_38merge_sort_block_merge_config_selectorIbNS0_10empty_typeEEEZZNS1_27merge_sort_block_merge_implIS3_PbPS5_jNS1_19radix_merge_compareILb1ELb1EbNS0_19identity_decomposerEEEEE10hipError_tT0_T1_T2_jT3_P12ihipStream_tbPNSt15iterator_traitsISE_E10value_typeEPNSK_ISF_E10value_typeEPSG_NS1_7vsmem_tEENKUlT_SE_SF_SG_E_clIS8_S8_S9_S9_EESD_ST_SE_SF_SG_EUlST_E0_NS1_11comp_targetILNS1_3genE2ELNS1_11target_archE906ELNS1_3gpuE6ELNS1_3repE0EEENS1_38merge_mergepath_config_static_selectorELNS0_4arch9wavefront6targetE0EEEvSF_.num_vgpr, 0
	.set _ZN7rocprim17ROCPRIM_400000_NS6detail17trampoline_kernelINS0_14default_configENS1_38merge_sort_block_merge_config_selectorIbNS0_10empty_typeEEEZZNS1_27merge_sort_block_merge_implIS3_PbPS5_jNS1_19radix_merge_compareILb1ELb1EbNS0_19identity_decomposerEEEEE10hipError_tT0_T1_T2_jT3_P12ihipStream_tbPNSt15iterator_traitsISE_E10value_typeEPNSK_ISF_E10value_typeEPSG_NS1_7vsmem_tEENKUlT_SE_SF_SG_E_clIS8_S8_S9_S9_EESD_ST_SE_SF_SG_EUlST_E0_NS1_11comp_targetILNS1_3genE2ELNS1_11target_archE906ELNS1_3gpuE6ELNS1_3repE0EEENS1_38merge_mergepath_config_static_selectorELNS0_4arch9wavefront6targetE0EEEvSF_.num_agpr, 0
	.set _ZN7rocprim17ROCPRIM_400000_NS6detail17trampoline_kernelINS0_14default_configENS1_38merge_sort_block_merge_config_selectorIbNS0_10empty_typeEEEZZNS1_27merge_sort_block_merge_implIS3_PbPS5_jNS1_19radix_merge_compareILb1ELb1EbNS0_19identity_decomposerEEEEE10hipError_tT0_T1_T2_jT3_P12ihipStream_tbPNSt15iterator_traitsISE_E10value_typeEPNSK_ISF_E10value_typeEPSG_NS1_7vsmem_tEENKUlT_SE_SF_SG_E_clIS8_S8_S9_S9_EESD_ST_SE_SF_SG_EUlST_E0_NS1_11comp_targetILNS1_3genE2ELNS1_11target_archE906ELNS1_3gpuE6ELNS1_3repE0EEENS1_38merge_mergepath_config_static_selectorELNS0_4arch9wavefront6targetE0EEEvSF_.numbered_sgpr, 0
	.set _ZN7rocprim17ROCPRIM_400000_NS6detail17trampoline_kernelINS0_14default_configENS1_38merge_sort_block_merge_config_selectorIbNS0_10empty_typeEEEZZNS1_27merge_sort_block_merge_implIS3_PbPS5_jNS1_19radix_merge_compareILb1ELb1EbNS0_19identity_decomposerEEEEE10hipError_tT0_T1_T2_jT3_P12ihipStream_tbPNSt15iterator_traitsISE_E10value_typeEPNSK_ISF_E10value_typeEPSG_NS1_7vsmem_tEENKUlT_SE_SF_SG_E_clIS8_S8_S9_S9_EESD_ST_SE_SF_SG_EUlST_E0_NS1_11comp_targetILNS1_3genE2ELNS1_11target_archE906ELNS1_3gpuE6ELNS1_3repE0EEENS1_38merge_mergepath_config_static_selectorELNS0_4arch9wavefront6targetE0EEEvSF_.num_named_barrier, 0
	.set _ZN7rocprim17ROCPRIM_400000_NS6detail17trampoline_kernelINS0_14default_configENS1_38merge_sort_block_merge_config_selectorIbNS0_10empty_typeEEEZZNS1_27merge_sort_block_merge_implIS3_PbPS5_jNS1_19radix_merge_compareILb1ELb1EbNS0_19identity_decomposerEEEEE10hipError_tT0_T1_T2_jT3_P12ihipStream_tbPNSt15iterator_traitsISE_E10value_typeEPNSK_ISF_E10value_typeEPSG_NS1_7vsmem_tEENKUlT_SE_SF_SG_E_clIS8_S8_S9_S9_EESD_ST_SE_SF_SG_EUlST_E0_NS1_11comp_targetILNS1_3genE2ELNS1_11target_archE906ELNS1_3gpuE6ELNS1_3repE0EEENS1_38merge_mergepath_config_static_selectorELNS0_4arch9wavefront6targetE0EEEvSF_.private_seg_size, 0
	.set _ZN7rocprim17ROCPRIM_400000_NS6detail17trampoline_kernelINS0_14default_configENS1_38merge_sort_block_merge_config_selectorIbNS0_10empty_typeEEEZZNS1_27merge_sort_block_merge_implIS3_PbPS5_jNS1_19radix_merge_compareILb1ELb1EbNS0_19identity_decomposerEEEEE10hipError_tT0_T1_T2_jT3_P12ihipStream_tbPNSt15iterator_traitsISE_E10value_typeEPNSK_ISF_E10value_typeEPSG_NS1_7vsmem_tEENKUlT_SE_SF_SG_E_clIS8_S8_S9_S9_EESD_ST_SE_SF_SG_EUlST_E0_NS1_11comp_targetILNS1_3genE2ELNS1_11target_archE906ELNS1_3gpuE6ELNS1_3repE0EEENS1_38merge_mergepath_config_static_selectorELNS0_4arch9wavefront6targetE0EEEvSF_.uses_vcc, 0
	.set _ZN7rocprim17ROCPRIM_400000_NS6detail17trampoline_kernelINS0_14default_configENS1_38merge_sort_block_merge_config_selectorIbNS0_10empty_typeEEEZZNS1_27merge_sort_block_merge_implIS3_PbPS5_jNS1_19radix_merge_compareILb1ELb1EbNS0_19identity_decomposerEEEEE10hipError_tT0_T1_T2_jT3_P12ihipStream_tbPNSt15iterator_traitsISE_E10value_typeEPNSK_ISF_E10value_typeEPSG_NS1_7vsmem_tEENKUlT_SE_SF_SG_E_clIS8_S8_S9_S9_EESD_ST_SE_SF_SG_EUlST_E0_NS1_11comp_targetILNS1_3genE2ELNS1_11target_archE906ELNS1_3gpuE6ELNS1_3repE0EEENS1_38merge_mergepath_config_static_selectorELNS0_4arch9wavefront6targetE0EEEvSF_.uses_flat_scratch, 0
	.set _ZN7rocprim17ROCPRIM_400000_NS6detail17trampoline_kernelINS0_14default_configENS1_38merge_sort_block_merge_config_selectorIbNS0_10empty_typeEEEZZNS1_27merge_sort_block_merge_implIS3_PbPS5_jNS1_19radix_merge_compareILb1ELb1EbNS0_19identity_decomposerEEEEE10hipError_tT0_T1_T2_jT3_P12ihipStream_tbPNSt15iterator_traitsISE_E10value_typeEPNSK_ISF_E10value_typeEPSG_NS1_7vsmem_tEENKUlT_SE_SF_SG_E_clIS8_S8_S9_S9_EESD_ST_SE_SF_SG_EUlST_E0_NS1_11comp_targetILNS1_3genE2ELNS1_11target_archE906ELNS1_3gpuE6ELNS1_3repE0EEENS1_38merge_mergepath_config_static_selectorELNS0_4arch9wavefront6targetE0EEEvSF_.has_dyn_sized_stack, 0
	.set _ZN7rocprim17ROCPRIM_400000_NS6detail17trampoline_kernelINS0_14default_configENS1_38merge_sort_block_merge_config_selectorIbNS0_10empty_typeEEEZZNS1_27merge_sort_block_merge_implIS3_PbPS5_jNS1_19radix_merge_compareILb1ELb1EbNS0_19identity_decomposerEEEEE10hipError_tT0_T1_T2_jT3_P12ihipStream_tbPNSt15iterator_traitsISE_E10value_typeEPNSK_ISF_E10value_typeEPSG_NS1_7vsmem_tEENKUlT_SE_SF_SG_E_clIS8_S8_S9_S9_EESD_ST_SE_SF_SG_EUlST_E0_NS1_11comp_targetILNS1_3genE2ELNS1_11target_archE906ELNS1_3gpuE6ELNS1_3repE0EEENS1_38merge_mergepath_config_static_selectorELNS0_4arch9wavefront6targetE0EEEvSF_.has_recursion, 0
	.set _ZN7rocprim17ROCPRIM_400000_NS6detail17trampoline_kernelINS0_14default_configENS1_38merge_sort_block_merge_config_selectorIbNS0_10empty_typeEEEZZNS1_27merge_sort_block_merge_implIS3_PbPS5_jNS1_19radix_merge_compareILb1ELb1EbNS0_19identity_decomposerEEEEE10hipError_tT0_T1_T2_jT3_P12ihipStream_tbPNSt15iterator_traitsISE_E10value_typeEPNSK_ISF_E10value_typeEPSG_NS1_7vsmem_tEENKUlT_SE_SF_SG_E_clIS8_S8_S9_S9_EESD_ST_SE_SF_SG_EUlST_E0_NS1_11comp_targetILNS1_3genE2ELNS1_11target_archE906ELNS1_3gpuE6ELNS1_3repE0EEENS1_38merge_mergepath_config_static_selectorELNS0_4arch9wavefront6targetE0EEEvSF_.has_indirect_call, 0
	.section	.AMDGPU.csdata,"",@progbits
; Kernel info:
; codeLenInByte = 0
; TotalNumSgprs: 0
; NumVgprs: 0
; ScratchSize: 0
; MemoryBound: 0
; FloatMode: 240
; IeeeMode: 1
; LDSByteSize: 0 bytes/workgroup (compile time only)
; SGPRBlocks: 0
; VGPRBlocks: 0
; NumSGPRsForWavesPerEU: 1
; NumVGPRsForWavesPerEU: 1
; NamedBarCnt: 0
; Occupancy: 16
; WaveLimiterHint : 0
; COMPUTE_PGM_RSRC2:SCRATCH_EN: 0
; COMPUTE_PGM_RSRC2:USER_SGPR: 2
; COMPUTE_PGM_RSRC2:TRAP_HANDLER: 0
; COMPUTE_PGM_RSRC2:TGID_X_EN: 1
; COMPUTE_PGM_RSRC2:TGID_Y_EN: 0
; COMPUTE_PGM_RSRC2:TGID_Z_EN: 0
; COMPUTE_PGM_RSRC2:TIDIG_COMP_CNT: 0
	.section	.text._ZN7rocprim17ROCPRIM_400000_NS6detail17trampoline_kernelINS0_14default_configENS1_38merge_sort_block_merge_config_selectorIbNS0_10empty_typeEEEZZNS1_27merge_sort_block_merge_implIS3_PbPS5_jNS1_19radix_merge_compareILb1ELb1EbNS0_19identity_decomposerEEEEE10hipError_tT0_T1_T2_jT3_P12ihipStream_tbPNSt15iterator_traitsISE_E10value_typeEPNSK_ISF_E10value_typeEPSG_NS1_7vsmem_tEENKUlT_SE_SF_SG_E_clIS8_S8_S9_S9_EESD_ST_SE_SF_SG_EUlST_E0_NS1_11comp_targetILNS1_3genE9ELNS1_11target_archE1100ELNS1_3gpuE3ELNS1_3repE0EEENS1_38merge_mergepath_config_static_selectorELNS0_4arch9wavefront6targetE0EEEvSF_,"axG",@progbits,_ZN7rocprim17ROCPRIM_400000_NS6detail17trampoline_kernelINS0_14default_configENS1_38merge_sort_block_merge_config_selectorIbNS0_10empty_typeEEEZZNS1_27merge_sort_block_merge_implIS3_PbPS5_jNS1_19radix_merge_compareILb1ELb1EbNS0_19identity_decomposerEEEEE10hipError_tT0_T1_T2_jT3_P12ihipStream_tbPNSt15iterator_traitsISE_E10value_typeEPNSK_ISF_E10value_typeEPSG_NS1_7vsmem_tEENKUlT_SE_SF_SG_E_clIS8_S8_S9_S9_EESD_ST_SE_SF_SG_EUlST_E0_NS1_11comp_targetILNS1_3genE9ELNS1_11target_archE1100ELNS1_3gpuE3ELNS1_3repE0EEENS1_38merge_mergepath_config_static_selectorELNS0_4arch9wavefront6targetE0EEEvSF_,comdat
	.protected	_ZN7rocprim17ROCPRIM_400000_NS6detail17trampoline_kernelINS0_14default_configENS1_38merge_sort_block_merge_config_selectorIbNS0_10empty_typeEEEZZNS1_27merge_sort_block_merge_implIS3_PbPS5_jNS1_19radix_merge_compareILb1ELb1EbNS0_19identity_decomposerEEEEE10hipError_tT0_T1_T2_jT3_P12ihipStream_tbPNSt15iterator_traitsISE_E10value_typeEPNSK_ISF_E10value_typeEPSG_NS1_7vsmem_tEENKUlT_SE_SF_SG_E_clIS8_S8_S9_S9_EESD_ST_SE_SF_SG_EUlST_E0_NS1_11comp_targetILNS1_3genE9ELNS1_11target_archE1100ELNS1_3gpuE3ELNS1_3repE0EEENS1_38merge_mergepath_config_static_selectorELNS0_4arch9wavefront6targetE0EEEvSF_ ; -- Begin function _ZN7rocprim17ROCPRIM_400000_NS6detail17trampoline_kernelINS0_14default_configENS1_38merge_sort_block_merge_config_selectorIbNS0_10empty_typeEEEZZNS1_27merge_sort_block_merge_implIS3_PbPS5_jNS1_19radix_merge_compareILb1ELb1EbNS0_19identity_decomposerEEEEE10hipError_tT0_T1_T2_jT3_P12ihipStream_tbPNSt15iterator_traitsISE_E10value_typeEPNSK_ISF_E10value_typeEPSG_NS1_7vsmem_tEENKUlT_SE_SF_SG_E_clIS8_S8_S9_S9_EESD_ST_SE_SF_SG_EUlST_E0_NS1_11comp_targetILNS1_3genE9ELNS1_11target_archE1100ELNS1_3gpuE3ELNS1_3repE0EEENS1_38merge_mergepath_config_static_selectorELNS0_4arch9wavefront6targetE0EEEvSF_
	.globl	_ZN7rocprim17ROCPRIM_400000_NS6detail17trampoline_kernelINS0_14default_configENS1_38merge_sort_block_merge_config_selectorIbNS0_10empty_typeEEEZZNS1_27merge_sort_block_merge_implIS3_PbPS5_jNS1_19radix_merge_compareILb1ELb1EbNS0_19identity_decomposerEEEEE10hipError_tT0_T1_T2_jT3_P12ihipStream_tbPNSt15iterator_traitsISE_E10value_typeEPNSK_ISF_E10value_typeEPSG_NS1_7vsmem_tEENKUlT_SE_SF_SG_E_clIS8_S8_S9_S9_EESD_ST_SE_SF_SG_EUlST_E0_NS1_11comp_targetILNS1_3genE9ELNS1_11target_archE1100ELNS1_3gpuE3ELNS1_3repE0EEENS1_38merge_mergepath_config_static_selectorELNS0_4arch9wavefront6targetE0EEEvSF_
	.p2align	8
	.type	_ZN7rocprim17ROCPRIM_400000_NS6detail17trampoline_kernelINS0_14default_configENS1_38merge_sort_block_merge_config_selectorIbNS0_10empty_typeEEEZZNS1_27merge_sort_block_merge_implIS3_PbPS5_jNS1_19radix_merge_compareILb1ELb1EbNS0_19identity_decomposerEEEEE10hipError_tT0_T1_T2_jT3_P12ihipStream_tbPNSt15iterator_traitsISE_E10value_typeEPNSK_ISF_E10value_typeEPSG_NS1_7vsmem_tEENKUlT_SE_SF_SG_E_clIS8_S8_S9_S9_EESD_ST_SE_SF_SG_EUlST_E0_NS1_11comp_targetILNS1_3genE9ELNS1_11target_archE1100ELNS1_3gpuE3ELNS1_3repE0EEENS1_38merge_mergepath_config_static_selectorELNS0_4arch9wavefront6targetE0EEEvSF_,@function
_ZN7rocprim17ROCPRIM_400000_NS6detail17trampoline_kernelINS0_14default_configENS1_38merge_sort_block_merge_config_selectorIbNS0_10empty_typeEEEZZNS1_27merge_sort_block_merge_implIS3_PbPS5_jNS1_19radix_merge_compareILb1ELb1EbNS0_19identity_decomposerEEEEE10hipError_tT0_T1_T2_jT3_P12ihipStream_tbPNSt15iterator_traitsISE_E10value_typeEPNSK_ISF_E10value_typeEPSG_NS1_7vsmem_tEENKUlT_SE_SF_SG_E_clIS8_S8_S9_S9_EESD_ST_SE_SF_SG_EUlST_E0_NS1_11comp_targetILNS1_3genE9ELNS1_11target_archE1100ELNS1_3gpuE3ELNS1_3repE0EEENS1_38merge_mergepath_config_static_selectorELNS0_4arch9wavefront6targetE0EEEvSF_: ; @_ZN7rocprim17ROCPRIM_400000_NS6detail17trampoline_kernelINS0_14default_configENS1_38merge_sort_block_merge_config_selectorIbNS0_10empty_typeEEEZZNS1_27merge_sort_block_merge_implIS3_PbPS5_jNS1_19radix_merge_compareILb1ELb1EbNS0_19identity_decomposerEEEEE10hipError_tT0_T1_T2_jT3_P12ihipStream_tbPNSt15iterator_traitsISE_E10value_typeEPNSK_ISF_E10value_typeEPSG_NS1_7vsmem_tEENKUlT_SE_SF_SG_E_clIS8_S8_S9_S9_EESD_ST_SE_SF_SG_EUlST_E0_NS1_11comp_targetILNS1_3genE9ELNS1_11target_archE1100ELNS1_3gpuE3ELNS1_3repE0EEENS1_38merge_mergepath_config_static_selectorELNS0_4arch9wavefront6targetE0EEEvSF_
; %bb.0:
	.section	.rodata,"a",@progbits
	.p2align	6, 0x0
	.amdhsa_kernel _ZN7rocprim17ROCPRIM_400000_NS6detail17trampoline_kernelINS0_14default_configENS1_38merge_sort_block_merge_config_selectorIbNS0_10empty_typeEEEZZNS1_27merge_sort_block_merge_implIS3_PbPS5_jNS1_19radix_merge_compareILb1ELb1EbNS0_19identity_decomposerEEEEE10hipError_tT0_T1_T2_jT3_P12ihipStream_tbPNSt15iterator_traitsISE_E10value_typeEPNSK_ISF_E10value_typeEPSG_NS1_7vsmem_tEENKUlT_SE_SF_SG_E_clIS8_S8_S9_S9_EESD_ST_SE_SF_SG_EUlST_E0_NS1_11comp_targetILNS1_3genE9ELNS1_11target_archE1100ELNS1_3gpuE3ELNS1_3repE0EEENS1_38merge_mergepath_config_static_selectorELNS0_4arch9wavefront6targetE0EEEvSF_
		.amdhsa_group_segment_fixed_size 0
		.amdhsa_private_segment_fixed_size 0
		.amdhsa_kernarg_size 64
		.amdhsa_user_sgpr_count 2
		.amdhsa_user_sgpr_dispatch_ptr 0
		.amdhsa_user_sgpr_queue_ptr 0
		.amdhsa_user_sgpr_kernarg_segment_ptr 1
		.amdhsa_user_sgpr_dispatch_id 0
		.amdhsa_user_sgpr_kernarg_preload_length 0
		.amdhsa_user_sgpr_kernarg_preload_offset 0
		.amdhsa_user_sgpr_private_segment_size 0
		.amdhsa_wavefront_size32 1
		.amdhsa_uses_dynamic_stack 0
		.amdhsa_enable_private_segment 0
		.amdhsa_system_sgpr_workgroup_id_x 1
		.amdhsa_system_sgpr_workgroup_id_y 0
		.amdhsa_system_sgpr_workgroup_id_z 0
		.amdhsa_system_sgpr_workgroup_info 0
		.amdhsa_system_vgpr_workitem_id 0
		.amdhsa_next_free_vgpr 1
		.amdhsa_next_free_sgpr 1
		.amdhsa_named_barrier_count 0
		.amdhsa_reserve_vcc 0
		.amdhsa_float_round_mode_32 0
		.amdhsa_float_round_mode_16_64 0
		.amdhsa_float_denorm_mode_32 3
		.amdhsa_float_denorm_mode_16_64 3
		.amdhsa_fp16_overflow 0
		.amdhsa_memory_ordered 1
		.amdhsa_forward_progress 1
		.amdhsa_inst_pref_size 0
		.amdhsa_round_robin_scheduling 0
		.amdhsa_exception_fp_ieee_invalid_op 0
		.amdhsa_exception_fp_denorm_src 0
		.amdhsa_exception_fp_ieee_div_zero 0
		.amdhsa_exception_fp_ieee_overflow 0
		.amdhsa_exception_fp_ieee_underflow 0
		.amdhsa_exception_fp_ieee_inexact 0
		.amdhsa_exception_int_div_zero 0
	.end_amdhsa_kernel
	.section	.text._ZN7rocprim17ROCPRIM_400000_NS6detail17trampoline_kernelINS0_14default_configENS1_38merge_sort_block_merge_config_selectorIbNS0_10empty_typeEEEZZNS1_27merge_sort_block_merge_implIS3_PbPS5_jNS1_19radix_merge_compareILb1ELb1EbNS0_19identity_decomposerEEEEE10hipError_tT0_T1_T2_jT3_P12ihipStream_tbPNSt15iterator_traitsISE_E10value_typeEPNSK_ISF_E10value_typeEPSG_NS1_7vsmem_tEENKUlT_SE_SF_SG_E_clIS8_S8_S9_S9_EESD_ST_SE_SF_SG_EUlST_E0_NS1_11comp_targetILNS1_3genE9ELNS1_11target_archE1100ELNS1_3gpuE3ELNS1_3repE0EEENS1_38merge_mergepath_config_static_selectorELNS0_4arch9wavefront6targetE0EEEvSF_,"axG",@progbits,_ZN7rocprim17ROCPRIM_400000_NS6detail17trampoline_kernelINS0_14default_configENS1_38merge_sort_block_merge_config_selectorIbNS0_10empty_typeEEEZZNS1_27merge_sort_block_merge_implIS3_PbPS5_jNS1_19radix_merge_compareILb1ELb1EbNS0_19identity_decomposerEEEEE10hipError_tT0_T1_T2_jT3_P12ihipStream_tbPNSt15iterator_traitsISE_E10value_typeEPNSK_ISF_E10value_typeEPSG_NS1_7vsmem_tEENKUlT_SE_SF_SG_E_clIS8_S8_S9_S9_EESD_ST_SE_SF_SG_EUlST_E0_NS1_11comp_targetILNS1_3genE9ELNS1_11target_archE1100ELNS1_3gpuE3ELNS1_3repE0EEENS1_38merge_mergepath_config_static_selectorELNS0_4arch9wavefront6targetE0EEEvSF_,comdat
.Lfunc_end1705:
	.size	_ZN7rocprim17ROCPRIM_400000_NS6detail17trampoline_kernelINS0_14default_configENS1_38merge_sort_block_merge_config_selectorIbNS0_10empty_typeEEEZZNS1_27merge_sort_block_merge_implIS3_PbPS5_jNS1_19radix_merge_compareILb1ELb1EbNS0_19identity_decomposerEEEEE10hipError_tT0_T1_T2_jT3_P12ihipStream_tbPNSt15iterator_traitsISE_E10value_typeEPNSK_ISF_E10value_typeEPSG_NS1_7vsmem_tEENKUlT_SE_SF_SG_E_clIS8_S8_S9_S9_EESD_ST_SE_SF_SG_EUlST_E0_NS1_11comp_targetILNS1_3genE9ELNS1_11target_archE1100ELNS1_3gpuE3ELNS1_3repE0EEENS1_38merge_mergepath_config_static_selectorELNS0_4arch9wavefront6targetE0EEEvSF_, .Lfunc_end1705-_ZN7rocprim17ROCPRIM_400000_NS6detail17trampoline_kernelINS0_14default_configENS1_38merge_sort_block_merge_config_selectorIbNS0_10empty_typeEEEZZNS1_27merge_sort_block_merge_implIS3_PbPS5_jNS1_19radix_merge_compareILb1ELb1EbNS0_19identity_decomposerEEEEE10hipError_tT0_T1_T2_jT3_P12ihipStream_tbPNSt15iterator_traitsISE_E10value_typeEPNSK_ISF_E10value_typeEPSG_NS1_7vsmem_tEENKUlT_SE_SF_SG_E_clIS8_S8_S9_S9_EESD_ST_SE_SF_SG_EUlST_E0_NS1_11comp_targetILNS1_3genE9ELNS1_11target_archE1100ELNS1_3gpuE3ELNS1_3repE0EEENS1_38merge_mergepath_config_static_selectorELNS0_4arch9wavefront6targetE0EEEvSF_
                                        ; -- End function
	.set _ZN7rocprim17ROCPRIM_400000_NS6detail17trampoline_kernelINS0_14default_configENS1_38merge_sort_block_merge_config_selectorIbNS0_10empty_typeEEEZZNS1_27merge_sort_block_merge_implIS3_PbPS5_jNS1_19radix_merge_compareILb1ELb1EbNS0_19identity_decomposerEEEEE10hipError_tT0_T1_T2_jT3_P12ihipStream_tbPNSt15iterator_traitsISE_E10value_typeEPNSK_ISF_E10value_typeEPSG_NS1_7vsmem_tEENKUlT_SE_SF_SG_E_clIS8_S8_S9_S9_EESD_ST_SE_SF_SG_EUlST_E0_NS1_11comp_targetILNS1_3genE9ELNS1_11target_archE1100ELNS1_3gpuE3ELNS1_3repE0EEENS1_38merge_mergepath_config_static_selectorELNS0_4arch9wavefront6targetE0EEEvSF_.num_vgpr, 0
	.set _ZN7rocprim17ROCPRIM_400000_NS6detail17trampoline_kernelINS0_14default_configENS1_38merge_sort_block_merge_config_selectorIbNS0_10empty_typeEEEZZNS1_27merge_sort_block_merge_implIS3_PbPS5_jNS1_19radix_merge_compareILb1ELb1EbNS0_19identity_decomposerEEEEE10hipError_tT0_T1_T2_jT3_P12ihipStream_tbPNSt15iterator_traitsISE_E10value_typeEPNSK_ISF_E10value_typeEPSG_NS1_7vsmem_tEENKUlT_SE_SF_SG_E_clIS8_S8_S9_S9_EESD_ST_SE_SF_SG_EUlST_E0_NS1_11comp_targetILNS1_3genE9ELNS1_11target_archE1100ELNS1_3gpuE3ELNS1_3repE0EEENS1_38merge_mergepath_config_static_selectorELNS0_4arch9wavefront6targetE0EEEvSF_.num_agpr, 0
	.set _ZN7rocprim17ROCPRIM_400000_NS6detail17trampoline_kernelINS0_14default_configENS1_38merge_sort_block_merge_config_selectorIbNS0_10empty_typeEEEZZNS1_27merge_sort_block_merge_implIS3_PbPS5_jNS1_19radix_merge_compareILb1ELb1EbNS0_19identity_decomposerEEEEE10hipError_tT0_T1_T2_jT3_P12ihipStream_tbPNSt15iterator_traitsISE_E10value_typeEPNSK_ISF_E10value_typeEPSG_NS1_7vsmem_tEENKUlT_SE_SF_SG_E_clIS8_S8_S9_S9_EESD_ST_SE_SF_SG_EUlST_E0_NS1_11comp_targetILNS1_3genE9ELNS1_11target_archE1100ELNS1_3gpuE3ELNS1_3repE0EEENS1_38merge_mergepath_config_static_selectorELNS0_4arch9wavefront6targetE0EEEvSF_.numbered_sgpr, 0
	.set _ZN7rocprim17ROCPRIM_400000_NS6detail17trampoline_kernelINS0_14default_configENS1_38merge_sort_block_merge_config_selectorIbNS0_10empty_typeEEEZZNS1_27merge_sort_block_merge_implIS3_PbPS5_jNS1_19radix_merge_compareILb1ELb1EbNS0_19identity_decomposerEEEEE10hipError_tT0_T1_T2_jT3_P12ihipStream_tbPNSt15iterator_traitsISE_E10value_typeEPNSK_ISF_E10value_typeEPSG_NS1_7vsmem_tEENKUlT_SE_SF_SG_E_clIS8_S8_S9_S9_EESD_ST_SE_SF_SG_EUlST_E0_NS1_11comp_targetILNS1_3genE9ELNS1_11target_archE1100ELNS1_3gpuE3ELNS1_3repE0EEENS1_38merge_mergepath_config_static_selectorELNS0_4arch9wavefront6targetE0EEEvSF_.num_named_barrier, 0
	.set _ZN7rocprim17ROCPRIM_400000_NS6detail17trampoline_kernelINS0_14default_configENS1_38merge_sort_block_merge_config_selectorIbNS0_10empty_typeEEEZZNS1_27merge_sort_block_merge_implIS3_PbPS5_jNS1_19radix_merge_compareILb1ELb1EbNS0_19identity_decomposerEEEEE10hipError_tT0_T1_T2_jT3_P12ihipStream_tbPNSt15iterator_traitsISE_E10value_typeEPNSK_ISF_E10value_typeEPSG_NS1_7vsmem_tEENKUlT_SE_SF_SG_E_clIS8_S8_S9_S9_EESD_ST_SE_SF_SG_EUlST_E0_NS1_11comp_targetILNS1_3genE9ELNS1_11target_archE1100ELNS1_3gpuE3ELNS1_3repE0EEENS1_38merge_mergepath_config_static_selectorELNS0_4arch9wavefront6targetE0EEEvSF_.private_seg_size, 0
	.set _ZN7rocprim17ROCPRIM_400000_NS6detail17trampoline_kernelINS0_14default_configENS1_38merge_sort_block_merge_config_selectorIbNS0_10empty_typeEEEZZNS1_27merge_sort_block_merge_implIS3_PbPS5_jNS1_19radix_merge_compareILb1ELb1EbNS0_19identity_decomposerEEEEE10hipError_tT0_T1_T2_jT3_P12ihipStream_tbPNSt15iterator_traitsISE_E10value_typeEPNSK_ISF_E10value_typeEPSG_NS1_7vsmem_tEENKUlT_SE_SF_SG_E_clIS8_S8_S9_S9_EESD_ST_SE_SF_SG_EUlST_E0_NS1_11comp_targetILNS1_3genE9ELNS1_11target_archE1100ELNS1_3gpuE3ELNS1_3repE0EEENS1_38merge_mergepath_config_static_selectorELNS0_4arch9wavefront6targetE0EEEvSF_.uses_vcc, 0
	.set _ZN7rocprim17ROCPRIM_400000_NS6detail17trampoline_kernelINS0_14default_configENS1_38merge_sort_block_merge_config_selectorIbNS0_10empty_typeEEEZZNS1_27merge_sort_block_merge_implIS3_PbPS5_jNS1_19radix_merge_compareILb1ELb1EbNS0_19identity_decomposerEEEEE10hipError_tT0_T1_T2_jT3_P12ihipStream_tbPNSt15iterator_traitsISE_E10value_typeEPNSK_ISF_E10value_typeEPSG_NS1_7vsmem_tEENKUlT_SE_SF_SG_E_clIS8_S8_S9_S9_EESD_ST_SE_SF_SG_EUlST_E0_NS1_11comp_targetILNS1_3genE9ELNS1_11target_archE1100ELNS1_3gpuE3ELNS1_3repE0EEENS1_38merge_mergepath_config_static_selectorELNS0_4arch9wavefront6targetE0EEEvSF_.uses_flat_scratch, 0
	.set _ZN7rocprim17ROCPRIM_400000_NS6detail17trampoline_kernelINS0_14default_configENS1_38merge_sort_block_merge_config_selectorIbNS0_10empty_typeEEEZZNS1_27merge_sort_block_merge_implIS3_PbPS5_jNS1_19radix_merge_compareILb1ELb1EbNS0_19identity_decomposerEEEEE10hipError_tT0_T1_T2_jT3_P12ihipStream_tbPNSt15iterator_traitsISE_E10value_typeEPNSK_ISF_E10value_typeEPSG_NS1_7vsmem_tEENKUlT_SE_SF_SG_E_clIS8_S8_S9_S9_EESD_ST_SE_SF_SG_EUlST_E0_NS1_11comp_targetILNS1_3genE9ELNS1_11target_archE1100ELNS1_3gpuE3ELNS1_3repE0EEENS1_38merge_mergepath_config_static_selectorELNS0_4arch9wavefront6targetE0EEEvSF_.has_dyn_sized_stack, 0
	.set _ZN7rocprim17ROCPRIM_400000_NS6detail17trampoline_kernelINS0_14default_configENS1_38merge_sort_block_merge_config_selectorIbNS0_10empty_typeEEEZZNS1_27merge_sort_block_merge_implIS3_PbPS5_jNS1_19radix_merge_compareILb1ELb1EbNS0_19identity_decomposerEEEEE10hipError_tT0_T1_T2_jT3_P12ihipStream_tbPNSt15iterator_traitsISE_E10value_typeEPNSK_ISF_E10value_typeEPSG_NS1_7vsmem_tEENKUlT_SE_SF_SG_E_clIS8_S8_S9_S9_EESD_ST_SE_SF_SG_EUlST_E0_NS1_11comp_targetILNS1_3genE9ELNS1_11target_archE1100ELNS1_3gpuE3ELNS1_3repE0EEENS1_38merge_mergepath_config_static_selectorELNS0_4arch9wavefront6targetE0EEEvSF_.has_recursion, 0
	.set _ZN7rocprim17ROCPRIM_400000_NS6detail17trampoline_kernelINS0_14default_configENS1_38merge_sort_block_merge_config_selectorIbNS0_10empty_typeEEEZZNS1_27merge_sort_block_merge_implIS3_PbPS5_jNS1_19radix_merge_compareILb1ELb1EbNS0_19identity_decomposerEEEEE10hipError_tT0_T1_T2_jT3_P12ihipStream_tbPNSt15iterator_traitsISE_E10value_typeEPNSK_ISF_E10value_typeEPSG_NS1_7vsmem_tEENKUlT_SE_SF_SG_E_clIS8_S8_S9_S9_EESD_ST_SE_SF_SG_EUlST_E0_NS1_11comp_targetILNS1_3genE9ELNS1_11target_archE1100ELNS1_3gpuE3ELNS1_3repE0EEENS1_38merge_mergepath_config_static_selectorELNS0_4arch9wavefront6targetE0EEEvSF_.has_indirect_call, 0
	.section	.AMDGPU.csdata,"",@progbits
; Kernel info:
; codeLenInByte = 0
; TotalNumSgprs: 0
; NumVgprs: 0
; ScratchSize: 0
; MemoryBound: 0
; FloatMode: 240
; IeeeMode: 1
; LDSByteSize: 0 bytes/workgroup (compile time only)
; SGPRBlocks: 0
; VGPRBlocks: 0
; NumSGPRsForWavesPerEU: 1
; NumVGPRsForWavesPerEU: 1
; NamedBarCnt: 0
; Occupancy: 16
; WaveLimiterHint : 0
; COMPUTE_PGM_RSRC2:SCRATCH_EN: 0
; COMPUTE_PGM_RSRC2:USER_SGPR: 2
; COMPUTE_PGM_RSRC2:TRAP_HANDLER: 0
; COMPUTE_PGM_RSRC2:TGID_X_EN: 1
; COMPUTE_PGM_RSRC2:TGID_Y_EN: 0
; COMPUTE_PGM_RSRC2:TGID_Z_EN: 0
; COMPUTE_PGM_RSRC2:TIDIG_COMP_CNT: 0
	.section	.text._ZN7rocprim17ROCPRIM_400000_NS6detail17trampoline_kernelINS0_14default_configENS1_38merge_sort_block_merge_config_selectorIbNS0_10empty_typeEEEZZNS1_27merge_sort_block_merge_implIS3_PbPS5_jNS1_19radix_merge_compareILb1ELb1EbNS0_19identity_decomposerEEEEE10hipError_tT0_T1_T2_jT3_P12ihipStream_tbPNSt15iterator_traitsISE_E10value_typeEPNSK_ISF_E10value_typeEPSG_NS1_7vsmem_tEENKUlT_SE_SF_SG_E_clIS8_S8_S9_S9_EESD_ST_SE_SF_SG_EUlST_E0_NS1_11comp_targetILNS1_3genE8ELNS1_11target_archE1030ELNS1_3gpuE2ELNS1_3repE0EEENS1_38merge_mergepath_config_static_selectorELNS0_4arch9wavefront6targetE0EEEvSF_,"axG",@progbits,_ZN7rocprim17ROCPRIM_400000_NS6detail17trampoline_kernelINS0_14default_configENS1_38merge_sort_block_merge_config_selectorIbNS0_10empty_typeEEEZZNS1_27merge_sort_block_merge_implIS3_PbPS5_jNS1_19radix_merge_compareILb1ELb1EbNS0_19identity_decomposerEEEEE10hipError_tT0_T1_T2_jT3_P12ihipStream_tbPNSt15iterator_traitsISE_E10value_typeEPNSK_ISF_E10value_typeEPSG_NS1_7vsmem_tEENKUlT_SE_SF_SG_E_clIS8_S8_S9_S9_EESD_ST_SE_SF_SG_EUlST_E0_NS1_11comp_targetILNS1_3genE8ELNS1_11target_archE1030ELNS1_3gpuE2ELNS1_3repE0EEENS1_38merge_mergepath_config_static_selectorELNS0_4arch9wavefront6targetE0EEEvSF_,comdat
	.protected	_ZN7rocprim17ROCPRIM_400000_NS6detail17trampoline_kernelINS0_14default_configENS1_38merge_sort_block_merge_config_selectorIbNS0_10empty_typeEEEZZNS1_27merge_sort_block_merge_implIS3_PbPS5_jNS1_19radix_merge_compareILb1ELb1EbNS0_19identity_decomposerEEEEE10hipError_tT0_T1_T2_jT3_P12ihipStream_tbPNSt15iterator_traitsISE_E10value_typeEPNSK_ISF_E10value_typeEPSG_NS1_7vsmem_tEENKUlT_SE_SF_SG_E_clIS8_S8_S9_S9_EESD_ST_SE_SF_SG_EUlST_E0_NS1_11comp_targetILNS1_3genE8ELNS1_11target_archE1030ELNS1_3gpuE2ELNS1_3repE0EEENS1_38merge_mergepath_config_static_selectorELNS0_4arch9wavefront6targetE0EEEvSF_ ; -- Begin function _ZN7rocprim17ROCPRIM_400000_NS6detail17trampoline_kernelINS0_14default_configENS1_38merge_sort_block_merge_config_selectorIbNS0_10empty_typeEEEZZNS1_27merge_sort_block_merge_implIS3_PbPS5_jNS1_19radix_merge_compareILb1ELb1EbNS0_19identity_decomposerEEEEE10hipError_tT0_T1_T2_jT3_P12ihipStream_tbPNSt15iterator_traitsISE_E10value_typeEPNSK_ISF_E10value_typeEPSG_NS1_7vsmem_tEENKUlT_SE_SF_SG_E_clIS8_S8_S9_S9_EESD_ST_SE_SF_SG_EUlST_E0_NS1_11comp_targetILNS1_3genE8ELNS1_11target_archE1030ELNS1_3gpuE2ELNS1_3repE0EEENS1_38merge_mergepath_config_static_selectorELNS0_4arch9wavefront6targetE0EEEvSF_
	.globl	_ZN7rocprim17ROCPRIM_400000_NS6detail17trampoline_kernelINS0_14default_configENS1_38merge_sort_block_merge_config_selectorIbNS0_10empty_typeEEEZZNS1_27merge_sort_block_merge_implIS3_PbPS5_jNS1_19radix_merge_compareILb1ELb1EbNS0_19identity_decomposerEEEEE10hipError_tT0_T1_T2_jT3_P12ihipStream_tbPNSt15iterator_traitsISE_E10value_typeEPNSK_ISF_E10value_typeEPSG_NS1_7vsmem_tEENKUlT_SE_SF_SG_E_clIS8_S8_S9_S9_EESD_ST_SE_SF_SG_EUlST_E0_NS1_11comp_targetILNS1_3genE8ELNS1_11target_archE1030ELNS1_3gpuE2ELNS1_3repE0EEENS1_38merge_mergepath_config_static_selectorELNS0_4arch9wavefront6targetE0EEEvSF_
	.p2align	8
	.type	_ZN7rocprim17ROCPRIM_400000_NS6detail17trampoline_kernelINS0_14default_configENS1_38merge_sort_block_merge_config_selectorIbNS0_10empty_typeEEEZZNS1_27merge_sort_block_merge_implIS3_PbPS5_jNS1_19radix_merge_compareILb1ELb1EbNS0_19identity_decomposerEEEEE10hipError_tT0_T1_T2_jT3_P12ihipStream_tbPNSt15iterator_traitsISE_E10value_typeEPNSK_ISF_E10value_typeEPSG_NS1_7vsmem_tEENKUlT_SE_SF_SG_E_clIS8_S8_S9_S9_EESD_ST_SE_SF_SG_EUlST_E0_NS1_11comp_targetILNS1_3genE8ELNS1_11target_archE1030ELNS1_3gpuE2ELNS1_3repE0EEENS1_38merge_mergepath_config_static_selectorELNS0_4arch9wavefront6targetE0EEEvSF_,@function
_ZN7rocprim17ROCPRIM_400000_NS6detail17trampoline_kernelINS0_14default_configENS1_38merge_sort_block_merge_config_selectorIbNS0_10empty_typeEEEZZNS1_27merge_sort_block_merge_implIS3_PbPS5_jNS1_19radix_merge_compareILb1ELb1EbNS0_19identity_decomposerEEEEE10hipError_tT0_T1_T2_jT3_P12ihipStream_tbPNSt15iterator_traitsISE_E10value_typeEPNSK_ISF_E10value_typeEPSG_NS1_7vsmem_tEENKUlT_SE_SF_SG_E_clIS8_S8_S9_S9_EESD_ST_SE_SF_SG_EUlST_E0_NS1_11comp_targetILNS1_3genE8ELNS1_11target_archE1030ELNS1_3gpuE2ELNS1_3repE0EEENS1_38merge_mergepath_config_static_selectorELNS0_4arch9wavefront6targetE0EEEvSF_: ; @_ZN7rocprim17ROCPRIM_400000_NS6detail17trampoline_kernelINS0_14default_configENS1_38merge_sort_block_merge_config_selectorIbNS0_10empty_typeEEEZZNS1_27merge_sort_block_merge_implIS3_PbPS5_jNS1_19radix_merge_compareILb1ELb1EbNS0_19identity_decomposerEEEEE10hipError_tT0_T1_T2_jT3_P12ihipStream_tbPNSt15iterator_traitsISE_E10value_typeEPNSK_ISF_E10value_typeEPSG_NS1_7vsmem_tEENKUlT_SE_SF_SG_E_clIS8_S8_S9_S9_EESD_ST_SE_SF_SG_EUlST_E0_NS1_11comp_targetILNS1_3genE8ELNS1_11target_archE1030ELNS1_3gpuE2ELNS1_3repE0EEENS1_38merge_mergepath_config_static_selectorELNS0_4arch9wavefront6targetE0EEEvSF_
; %bb.0:
	.section	.rodata,"a",@progbits
	.p2align	6, 0x0
	.amdhsa_kernel _ZN7rocprim17ROCPRIM_400000_NS6detail17trampoline_kernelINS0_14default_configENS1_38merge_sort_block_merge_config_selectorIbNS0_10empty_typeEEEZZNS1_27merge_sort_block_merge_implIS3_PbPS5_jNS1_19radix_merge_compareILb1ELb1EbNS0_19identity_decomposerEEEEE10hipError_tT0_T1_T2_jT3_P12ihipStream_tbPNSt15iterator_traitsISE_E10value_typeEPNSK_ISF_E10value_typeEPSG_NS1_7vsmem_tEENKUlT_SE_SF_SG_E_clIS8_S8_S9_S9_EESD_ST_SE_SF_SG_EUlST_E0_NS1_11comp_targetILNS1_3genE8ELNS1_11target_archE1030ELNS1_3gpuE2ELNS1_3repE0EEENS1_38merge_mergepath_config_static_selectorELNS0_4arch9wavefront6targetE0EEEvSF_
		.amdhsa_group_segment_fixed_size 0
		.amdhsa_private_segment_fixed_size 0
		.amdhsa_kernarg_size 64
		.amdhsa_user_sgpr_count 2
		.amdhsa_user_sgpr_dispatch_ptr 0
		.amdhsa_user_sgpr_queue_ptr 0
		.amdhsa_user_sgpr_kernarg_segment_ptr 1
		.amdhsa_user_sgpr_dispatch_id 0
		.amdhsa_user_sgpr_kernarg_preload_length 0
		.amdhsa_user_sgpr_kernarg_preload_offset 0
		.amdhsa_user_sgpr_private_segment_size 0
		.amdhsa_wavefront_size32 1
		.amdhsa_uses_dynamic_stack 0
		.amdhsa_enable_private_segment 0
		.amdhsa_system_sgpr_workgroup_id_x 1
		.amdhsa_system_sgpr_workgroup_id_y 0
		.amdhsa_system_sgpr_workgroup_id_z 0
		.amdhsa_system_sgpr_workgroup_info 0
		.amdhsa_system_vgpr_workitem_id 0
		.amdhsa_next_free_vgpr 1
		.amdhsa_next_free_sgpr 1
		.amdhsa_named_barrier_count 0
		.amdhsa_reserve_vcc 0
		.amdhsa_float_round_mode_32 0
		.amdhsa_float_round_mode_16_64 0
		.amdhsa_float_denorm_mode_32 3
		.amdhsa_float_denorm_mode_16_64 3
		.amdhsa_fp16_overflow 0
		.amdhsa_memory_ordered 1
		.amdhsa_forward_progress 1
		.amdhsa_inst_pref_size 0
		.amdhsa_round_robin_scheduling 0
		.amdhsa_exception_fp_ieee_invalid_op 0
		.amdhsa_exception_fp_denorm_src 0
		.amdhsa_exception_fp_ieee_div_zero 0
		.amdhsa_exception_fp_ieee_overflow 0
		.amdhsa_exception_fp_ieee_underflow 0
		.amdhsa_exception_fp_ieee_inexact 0
		.amdhsa_exception_int_div_zero 0
	.end_amdhsa_kernel
	.section	.text._ZN7rocprim17ROCPRIM_400000_NS6detail17trampoline_kernelINS0_14default_configENS1_38merge_sort_block_merge_config_selectorIbNS0_10empty_typeEEEZZNS1_27merge_sort_block_merge_implIS3_PbPS5_jNS1_19radix_merge_compareILb1ELb1EbNS0_19identity_decomposerEEEEE10hipError_tT0_T1_T2_jT3_P12ihipStream_tbPNSt15iterator_traitsISE_E10value_typeEPNSK_ISF_E10value_typeEPSG_NS1_7vsmem_tEENKUlT_SE_SF_SG_E_clIS8_S8_S9_S9_EESD_ST_SE_SF_SG_EUlST_E0_NS1_11comp_targetILNS1_3genE8ELNS1_11target_archE1030ELNS1_3gpuE2ELNS1_3repE0EEENS1_38merge_mergepath_config_static_selectorELNS0_4arch9wavefront6targetE0EEEvSF_,"axG",@progbits,_ZN7rocprim17ROCPRIM_400000_NS6detail17trampoline_kernelINS0_14default_configENS1_38merge_sort_block_merge_config_selectorIbNS0_10empty_typeEEEZZNS1_27merge_sort_block_merge_implIS3_PbPS5_jNS1_19radix_merge_compareILb1ELb1EbNS0_19identity_decomposerEEEEE10hipError_tT0_T1_T2_jT3_P12ihipStream_tbPNSt15iterator_traitsISE_E10value_typeEPNSK_ISF_E10value_typeEPSG_NS1_7vsmem_tEENKUlT_SE_SF_SG_E_clIS8_S8_S9_S9_EESD_ST_SE_SF_SG_EUlST_E0_NS1_11comp_targetILNS1_3genE8ELNS1_11target_archE1030ELNS1_3gpuE2ELNS1_3repE0EEENS1_38merge_mergepath_config_static_selectorELNS0_4arch9wavefront6targetE0EEEvSF_,comdat
.Lfunc_end1706:
	.size	_ZN7rocprim17ROCPRIM_400000_NS6detail17trampoline_kernelINS0_14default_configENS1_38merge_sort_block_merge_config_selectorIbNS0_10empty_typeEEEZZNS1_27merge_sort_block_merge_implIS3_PbPS5_jNS1_19radix_merge_compareILb1ELb1EbNS0_19identity_decomposerEEEEE10hipError_tT0_T1_T2_jT3_P12ihipStream_tbPNSt15iterator_traitsISE_E10value_typeEPNSK_ISF_E10value_typeEPSG_NS1_7vsmem_tEENKUlT_SE_SF_SG_E_clIS8_S8_S9_S9_EESD_ST_SE_SF_SG_EUlST_E0_NS1_11comp_targetILNS1_3genE8ELNS1_11target_archE1030ELNS1_3gpuE2ELNS1_3repE0EEENS1_38merge_mergepath_config_static_selectorELNS0_4arch9wavefront6targetE0EEEvSF_, .Lfunc_end1706-_ZN7rocprim17ROCPRIM_400000_NS6detail17trampoline_kernelINS0_14default_configENS1_38merge_sort_block_merge_config_selectorIbNS0_10empty_typeEEEZZNS1_27merge_sort_block_merge_implIS3_PbPS5_jNS1_19radix_merge_compareILb1ELb1EbNS0_19identity_decomposerEEEEE10hipError_tT0_T1_T2_jT3_P12ihipStream_tbPNSt15iterator_traitsISE_E10value_typeEPNSK_ISF_E10value_typeEPSG_NS1_7vsmem_tEENKUlT_SE_SF_SG_E_clIS8_S8_S9_S9_EESD_ST_SE_SF_SG_EUlST_E0_NS1_11comp_targetILNS1_3genE8ELNS1_11target_archE1030ELNS1_3gpuE2ELNS1_3repE0EEENS1_38merge_mergepath_config_static_selectorELNS0_4arch9wavefront6targetE0EEEvSF_
                                        ; -- End function
	.set _ZN7rocprim17ROCPRIM_400000_NS6detail17trampoline_kernelINS0_14default_configENS1_38merge_sort_block_merge_config_selectorIbNS0_10empty_typeEEEZZNS1_27merge_sort_block_merge_implIS3_PbPS5_jNS1_19radix_merge_compareILb1ELb1EbNS0_19identity_decomposerEEEEE10hipError_tT0_T1_T2_jT3_P12ihipStream_tbPNSt15iterator_traitsISE_E10value_typeEPNSK_ISF_E10value_typeEPSG_NS1_7vsmem_tEENKUlT_SE_SF_SG_E_clIS8_S8_S9_S9_EESD_ST_SE_SF_SG_EUlST_E0_NS1_11comp_targetILNS1_3genE8ELNS1_11target_archE1030ELNS1_3gpuE2ELNS1_3repE0EEENS1_38merge_mergepath_config_static_selectorELNS0_4arch9wavefront6targetE0EEEvSF_.num_vgpr, 0
	.set _ZN7rocprim17ROCPRIM_400000_NS6detail17trampoline_kernelINS0_14default_configENS1_38merge_sort_block_merge_config_selectorIbNS0_10empty_typeEEEZZNS1_27merge_sort_block_merge_implIS3_PbPS5_jNS1_19radix_merge_compareILb1ELb1EbNS0_19identity_decomposerEEEEE10hipError_tT0_T1_T2_jT3_P12ihipStream_tbPNSt15iterator_traitsISE_E10value_typeEPNSK_ISF_E10value_typeEPSG_NS1_7vsmem_tEENKUlT_SE_SF_SG_E_clIS8_S8_S9_S9_EESD_ST_SE_SF_SG_EUlST_E0_NS1_11comp_targetILNS1_3genE8ELNS1_11target_archE1030ELNS1_3gpuE2ELNS1_3repE0EEENS1_38merge_mergepath_config_static_selectorELNS0_4arch9wavefront6targetE0EEEvSF_.num_agpr, 0
	.set _ZN7rocprim17ROCPRIM_400000_NS6detail17trampoline_kernelINS0_14default_configENS1_38merge_sort_block_merge_config_selectorIbNS0_10empty_typeEEEZZNS1_27merge_sort_block_merge_implIS3_PbPS5_jNS1_19radix_merge_compareILb1ELb1EbNS0_19identity_decomposerEEEEE10hipError_tT0_T1_T2_jT3_P12ihipStream_tbPNSt15iterator_traitsISE_E10value_typeEPNSK_ISF_E10value_typeEPSG_NS1_7vsmem_tEENKUlT_SE_SF_SG_E_clIS8_S8_S9_S9_EESD_ST_SE_SF_SG_EUlST_E0_NS1_11comp_targetILNS1_3genE8ELNS1_11target_archE1030ELNS1_3gpuE2ELNS1_3repE0EEENS1_38merge_mergepath_config_static_selectorELNS0_4arch9wavefront6targetE0EEEvSF_.numbered_sgpr, 0
	.set _ZN7rocprim17ROCPRIM_400000_NS6detail17trampoline_kernelINS0_14default_configENS1_38merge_sort_block_merge_config_selectorIbNS0_10empty_typeEEEZZNS1_27merge_sort_block_merge_implIS3_PbPS5_jNS1_19radix_merge_compareILb1ELb1EbNS0_19identity_decomposerEEEEE10hipError_tT0_T1_T2_jT3_P12ihipStream_tbPNSt15iterator_traitsISE_E10value_typeEPNSK_ISF_E10value_typeEPSG_NS1_7vsmem_tEENKUlT_SE_SF_SG_E_clIS8_S8_S9_S9_EESD_ST_SE_SF_SG_EUlST_E0_NS1_11comp_targetILNS1_3genE8ELNS1_11target_archE1030ELNS1_3gpuE2ELNS1_3repE0EEENS1_38merge_mergepath_config_static_selectorELNS0_4arch9wavefront6targetE0EEEvSF_.num_named_barrier, 0
	.set _ZN7rocprim17ROCPRIM_400000_NS6detail17trampoline_kernelINS0_14default_configENS1_38merge_sort_block_merge_config_selectorIbNS0_10empty_typeEEEZZNS1_27merge_sort_block_merge_implIS3_PbPS5_jNS1_19radix_merge_compareILb1ELb1EbNS0_19identity_decomposerEEEEE10hipError_tT0_T1_T2_jT3_P12ihipStream_tbPNSt15iterator_traitsISE_E10value_typeEPNSK_ISF_E10value_typeEPSG_NS1_7vsmem_tEENKUlT_SE_SF_SG_E_clIS8_S8_S9_S9_EESD_ST_SE_SF_SG_EUlST_E0_NS1_11comp_targetILNS1_3genE8ELNS1_11target_archE1030ELNS1_3gpuE2ELNS1_3repE0EEENS1_38merge_mergepath_config_static_selectorELNS0_4arch9wavefront6targetE0EEEvSF_.private_seg_size, 0
	.set _ZN7rocprim17ROCPRIM_400000_NS6detail17trampoline_kernelINS0_14default_configENS1_38merge_sort_block_merge_config_selectorIbNS0_10empty_typeEEEZZNS1_27merge_sort_block_merge_implIS3_PbPS5_jNS1_19radix_merge_compareILb1ELb1EbNS0_19identity_decomposerEEEEE10hipError_tT0_T1_T2_jT3_P12ihipStream_tbPNSt15iterator_traitsISE_E10value_typeEPNSK_ISF_E10value_typeEPSG_NS1_7vsmem_tEENKUlT_SE_SF_SG_E_clIS8_S8_S9_S9_EESD_ST_SE_SF_SG_EUlST_E0_NS1_11comp_targetILNS1_3genE8ELNS1_11target_archE1030ELNS1_3gpuE2ELNS1_3repE0EEENS1_38merge_mergepath_config_static_selectorELNS0_4arch9wavefront6targetE0EEEvSF_.uses_vcc, 0
	.set _ZN7rocprim17ROCPRIM_400000_NS6detail17trampoline_kernelINS0_14default_configENS1_38merge_sort_block_merge_config_selectorIbNS0_10empty_typeEEEZZNS1_27merge_sort_block_merge_implIS3_PbPS5_jNS1_19radix_merge_compareILb1ELb1EbNS0_19identity_decomposerEEEEE10hipError_tT0_T1_T2_jT3_P12ihipStream_tbPNSt15iterator_traitsISE_E10value_typeEPNSK_ISF_E10value_typeEPSG_NS1_7vsmem_tEENKUlT_SE_SF_SG_E_clIS8_S8_S9_S9_EESD_ST_SE_SF_SG_EUlST_E0_NS1_11comp_targetILNS1_3genE8ELNS1_11target_archE1030ELNS1_3gpuE2ELNS1_3repE0EEENS1_38merge_mergepath_config_static_selectorELNS0_4arch9wavefront6targetE0EEEvSF_.uses_flat_scratch, 0
	.set _ZN7rocprim17ROCPRIM_400000_NS6detail17trampoline_kernelINS0_14default_configENS1_38merge_sort_block_merge_config_selectorIbNS0_10empty_typeEEEZZNS1_27merge_sort_block_merge_implIS3_PbPS5_jNS1_19radix_merge_compareILb1ELb1EbNS0_19identity_decomposerEEEEE10hipError_tT0_T1_T2_jT3_P12ihipStream_tbPNSt15iterator_traitsISE_E10value_typeEPNSK_ISF_E10value_typeEPSG_NS1_7vsmem_tEENKUlT_SE_SF_SG_E_clIS8_S8_S9_S9_EESD_ST_SE_SF_SG_EUlST_E0_NS1_11comp_targetILNS1_3genE8ELNS1_11target_archE1030ELNS1_3gpuE2ELNS1_3repE0EEENS1_38merge_mergepath_config_static_selectorELNS0_4arch9wavefront6targetE0EEEvSF_.has_dyn_sized_stack, 0
	.set _ZN7rocprim17ROCPRIM_400000_NS6detail17trampoline_kernelINS0_14default_configENS1_38merge_sort_block_merge_config_selectorIbNS0_10empty_typeEEEZZNS1_27merge_sort_block_merge_implIS3_PbPS5_jNS1_19radix_merge_compareILb1ELb1EbNS0_19identity_decomposerEEEEE10hipError_tT0_T1_T2_jT3_P12ihipStream_tbPNSt15iterator_traitsISE_E10value_typeEPNSK_ISF_E10value_typeEPSG_NS1_7vsmem_tEENKUlT_SE_SF_SG_E_clIS8_S8_S9_S9_EESD_ST_SE_SF_SG_EUlST_E0_NS1_11comp_targetILNS1_3genE8ELNS1_11target_archE1030ELNS1_3gpuE2ELNS1_3repE0EEENS1_38merge_mergepath_config_static_selectorELNS0_4arch9wavefront6targetE0EEEvSF_.has_recursion, 0
	.set _ZN7rocprim17ROCPRIM_400000_NS6detail17trampoline_kernelINS0_14default_configENS1_38merge_sort_block_merge_config_selectorIbNS0_10empty_typeEEEZZNS1_27merge_sort_block_merge_implIS3_PbPS5_jNS1_19radix_merge_compareILb1ELb1EbNS0_19identity_decomposerEEEEE10hipError_tT0_T1_T2_jT3_P12ihipStream_tbPNSt15iterator_traitsISE_E10value_typeEPNSK_ISF_E10value_typeEPSG_NS1_7vsmem_tEENKUlT_SE_SF_SG_E_clIS8_S8_S9_S9_EESD_ST_SE_SF_SG_EUlST_E0_NS1_11comp_targetILNS1_3genE8ELNS1_11target_archE1030ELNS1_3gpuE2ELNS1_3repE0EEENS1_38merge_mergepath_config_static_selectorELNS0_4arch9wavefront6targetE0EEEvSF_.has_indirect_call, 0
	.section	.AMDGPU.csdata,"",@progbits
; Kernel info:
; codeLenInByte = 0
; TotalNumSgprs: 0
; NumVgprs: 0
; ScratchSize: 0
; MemoryBound: 0
; FloatMode: 240
; IeeeMode: 1
; LDSByteSize: 0 bytes/workgroup (compile time only)
; SGPRBlocks: 0
; VGPRBlocks: 0
; NumSGPRsForWavesPerEU: 1
; NumVGPRsForWavesPerEU: 1
; NamedBarCnt: 0
; Occupancy: 16
; WaveLimiterHint : 0
; COMPUTE_PGM_RSRC2:SCRATCH_EN: 0
; COMPUTE_PGM_RSRC2:USER_SGPR: 2
; COMPUTE_PGM_RSRC2:TRAP_HANDLER: 0
; COMPUTE_PGM_RSRC2:TGID_X_EN: 1
; COMPUTE_PGM_RSRC2:TGID_Y_EN: 0
; COMPUTE_PGM_RSRC2:TGID_Z_EN: 0
; COMPUTE_PGM_RSRC2:TIDIG_COMP_CNT: 0
	.section	.text._ZN7rocprim17ROCPRIM_400000_NS6detail17trampoline_kernelINS0_14default_configENS1_38merge_sort_block_merge_config_selectorIbNS0_10empty_typeEEEZZNS1_27merge_sort_block_merge_implIS3_PbPS5_jNS1_19radix_merge_compareILb1ELb1EbNS0_19identity_decomposerEEEEE10hipError_tT0_T1_T2_jT3_P12ihipStream_tbPNSt15iterator_traitsISE_E10value_typeEPNSK_ISF_E10value_typeEPSG_NS1_7vsmem_tEENKUlT_SE_SF_SG_E_clIS8_S8_S9_S9_EESD_ST_SE_SF_SG_EUlST_E1_NS1_11comp_targetILNS1_3genE0ELNS1_11target_archE4294967295ELNS1_3gpuE0ELNS1_3repE0EEENS1_36merge_oddeven_config_static_selectorELNS0_4arch9wavefront6targetE0EEEvSF_,"axG",@progbits,_ZN7rocprim17ROCPRIM_400000_NS6detail17trampoline_kernelINS0_14default_configENS1_38merge_sort_block_merge_config_selectorIbNS0_10empty_typeEEEZZNS1_27merge_sort_block_merge_implIS3_PbPS5_jNS1_19radix_merge_compareILb1ELb1EbNS0_19identity_decomposerEEEEE10hipError_tT0_T1_T2_jT3_P12ihipStream_tbPNSt15iterator_traitsISE_E10value_typeEPNSK_ISF_E10value_typeEPSG_NS1_7vsmem_tEENKUlT_SE_SF_SG_E_clIS8_S8_S9_S9_EESD_ST_SE_SF_SG_EUlST_E1_NS1_11comp_targetILNS1_3genE0ELNS1_11target_archE4294967295ELNS1_3gpuE0ELNS1_3repE0EEENS1_36merge_oddeven_config_static_selectorELNS0_4arch9wavefront6targetE0EEEvSF_,comdat
	.protected	_ZN7rocprim17ROCPRIM_400000_NS6detail17trampoline_kernelINS0_14default_configENS1_38merge_sort_block_merge_config_selectorIbNS0_10empty_typeEEEZZNS1_27merge_sort_block_merge_implIS3_PbPS5_jNS1_19radix_merge_compareILb1ELb1EbNS0_19identity_decomposerEEEEE10hipError_tT0_T1_T2_jT3_P12ihipStream_tbPNSt15iterator_traitsISE_E10value_typeEPNSK_ISF_E10value_typeEPSG_NS1_7vsmem_tEENKUlT_SE_SF_SG_E_clIS8_S8_S9_S9_EESD_ST_SE_SF_SG_EUlST_E1_NS1_11comp_targetILNS1_3genE0ELNS1_11target_archE4294967295ELNS1_3gpuE0ELNS1_3repE0EEENS1_36merge_oddeven_config_static_selectorELNS0_4arch9wavefront6targetE0EEEvSF_ ; -- Begin function _ZN7rocprim17ROCPRIM_400000_NS6detail17trampoline_kernelINS0_14default_configENS1_38merge_sort_block_merge_config_selectorIbNS0_10empty_typeEEEZZNS1_27merge_sort_block_merge_implIS3_PbPS5_jNS1_19radix_merge_compareILb1ELb1EbNS0_19identity_decomposerEEEEE10hipError_tT0_T1_T2_jT3_P12ihipStream_tbPNSt15iterator_traitsISE_E10value_typeEPNSK_ISF_E10value_typeEPSG_NS1_7vsmem_tEENKUlT_SE_SF_SG_E_clIS8_S8_S9_S9_EESD_ST_SE_SF_SG_EUlST_E1_NS1_11comp_targetILNS1_3genE0ELNS1_11target_archE4294967295ELNS1_3gpuE0ELNS1_3repE0EEENS1_36merge_oddeven_config_static_selectorELNS0_4arch9wavefront6targetE0EEEvSF_
	.globl	_ZN7rocprim17ROCPRIM_400000_NS6detail17trampoline_kernelINS0_14default_configENS1_38merge_sort_block_merge_config_selectorIbNS0_10empty_typeEEEZZNS1_27merge_sort_block_merge_implIS3_PbPS5_jNS1_19radix_merge_compareILb1ELb1EbNS0_19identity_decomposerEEEEE10hipError_tT0_T1_T2_jT3_P12ihipStream_tbPNSt15iterator_traitsISE_E10value_typeEPNSK_ISF_E10value_typeEPSG_NS1_7vsmem_tEENKUlT_SE_SF_SG_E_clIS8_S8_S9_S9_EESD_ST_SE_SF_SG_EUlST_E1_NS1_11comp_targetILNS1_3genE0ELNS1_11target_archE4294967295ELNS1_3gpuE0ELNS1_3repE0EEENS1_36merge_oddeven_config_static_selectorELNS0_4arch9wavefront6targetE0EEEvSF_
	.p2align	8
	.type	_ZN7rocprim17ROCPRIM_400000_NS6detail17trampoline_kernelINS0_14default_configENS1_38merge_sort_block_merge_config_selectorIbNS0_10empty_typeEEEZZNS1_27merge_sort_block_merge_implIS3_PbPS5_jNS1_19radix_merge_compareILb1ELb1EbNS0_19identity_decomposerEEEEE10hipError_tT0_T1_T2_jT3_P12ihipStream_tbPNSt15iterator_traitsISE_E10value_typeEPNSK_ISF_E10value_typeEPSG_NS1_7vsmem_tEENKUlT_SE_SF_SG_E_clIS8_S8_S9_S9_EESD_ST_SE_SF_SG_EUlST_E1_NS1_11comp_targetILNS1_3genE0ELNS1_11target_archE4294967295ELNS1_3gpuE0ELNS1_3repE0EEENS1_36merge_oddeven_config_static_selectorELNS0_4arch9wavefront6targetE0EEEvSF_,@function
_ZN7rocprim17ROCPRIM_400000_NS6detail17trampoline_kernelINS0_14default_configENS1_38merge_sort_block_merge_config_selectorIbNS0_10empty_typeEEEZZNS1_27merge_sort_block_merge_implIS3_PbPS5_jNS1_19radix_merge_compareILb1ELb1EbNS0_19identity_decomposerEEEEE10hipError_tT0_T1_T2_jT3_P12ihipStream_tbPNSt15iterator_traitsISE_E10value_typeEPNSK_ISF_E10value_typeEPSG_NS1_7vsmem_tEENKUlT_SE_SF_SG_E_clIS8_S8_S9_S9_EESD_ST_SE_SF_SG_EUlST_E1_NS1_11comp_targetILNS1_3genE0ELNS1_11target_archE4294967295ELNS1_3gpuE0ELNS1_3repE0EEENS1_36merge_oddeven_config_static_selectorELNS0_4arch9wavefront6targetE0EEEvSF_: ; @_ZN7rocprim17ROCPRIM_400000_NS6detail17trampoline_kernelINS0_14default_configENS1_38merge_sort_block_merge_config_selectorIbNS0_10empty_typeEEEZZNS1_27merge_sort_block_merge_implIS3_PbPS5_jNS1_19radix_merge_compareILb1ELb1EbNS0_19identity_decomposerEEEEE10hipError_tT0_T1_T2_jT3_P12ihipStream_tbPNSt15iterator_traitsISE_E10value_typeEPNSK_ISF_E10value_typeEPSG_NS1_7vsmem_tEENKUlT_SE_SF_SG_E_clIS8_S8_S9_S9_EESD_ST_SE_SF_SG_EUlST_E1_NS1_11comp_targetILNS1_3genE0ELNS1_11target_archE4294967295ELNS1_3gpuE0ELNS1_3repE0EEENS1_36merge_oddeven_config_static_selectorELNS0_4arch9wavefront6targetE0EEEvSF_
; %bb.0:
	s_load_b64 s[4:5], s[0:1], 0x4
	s_load_b96 s[8:10], s[2:3], 0x20
	s_wait_xcnt 0x0
	s_bfe_u32 s0, ttmp6, 0x4000c
	s_and_b32 s1, ttmp6, 15
	s_add_co_i32 s0, s0, 1
	s_getreg_b32 s6, hwreg(HW_REG_IB_STS2, 6, 4)
	s_mul_i32 s0, ttmp9, s0
	v_and_b32_e32 v2, 0x3ff, v0
	s_add_co_i32 s1, s1, s0
	v_bfe_u32 v1, v0, 10, 10
	v_bfe_u32 v0, v0, 20, 10
	s_mov_b32 s11, 0
	s_wait_kmcnt 0x0
	s_lshr_b32 s0, s4, 16
	s_and_b32 s4, s10, 1
	s_cmp_eq_u32 s6, 0
	s_mul_i32 s6, s0, s5
	s_cselect_b32 s0, ttmp9, s1
	s_lshr_b32 s1, s8, 8
	v_mul_lo_u32 v3, s6, v2
	s_cmp_lg_u32 s0, s1
	v_mul_u32_u24_e32 v1, s5, v1
	s_cselect_b32 s14, -1, 0
	s_cmp_eq_u32 s0, s1
	s_cselect_b32 s12, -1, 0
	s_lshl_b32 s10, s0, 8
	s_delay_alu instid0(SALU_CYCLE_1) | instskip(NEXT) | instid1(SALU_CYCLE_1)
	s_sub_co_i32 s1, s8, s10
	v_cmp_gt_u32_e64 s1, s1, v2
	s_delay_alu instid0(VALU_DEP_3)
	v_add3_u32 v1, v3, v1, v0
	v_mov_b32_e32 v0, s4
	s_or_b32 s4, s14, s1
	ds_store_b8 v1, v0
	s_and_saveexec_b32 s5, s4
	s_cbranch_execz .LBB1707_20
; %bb.1:
	s_load_b128 s[4:7], s[2:3], 0x0
	v_add_nc_u32_e32 v4, s10, v2
	s_wait_kmcnt 0x0
	s_add_nc_u64 s[2:3], s[4:5], s[10:11]
	global_load_u8 v0, v2, s[2:3]
	s_wait_xcnt 0x0
	s_lshr_b32 s2, s9, 8
	s_delay_alu instid0(SALU_CYCLE_1) | instskip(NEXT) | instid1(SALU_CYCLE_1)
	s_sub_co_i32 s3, 0, s2
	s_and_b32 s0, s0, s3
	s_sub_co_i32 s3, 0, s9
	s_and_b32 s2, s0, s2
	s_lshl_b32 s13, s0, 8
	s_cmp_eq_u32 s2, 0
	s_cselect_b32 s0, -1, 0
	s_delay_alu instid0(SALU_CYCLE_1) | instskip(SKIP_1) | instid1(SALU_CYCLE_1)
	s_and_b32 s2, s0, exec_lo
	s_cselect_b32 s2, s9, s3
	s_add_co_i32 s2, s2, s13
	s_delay_alu instid0(SALU_CYCLE_1)
	s_cmp_gt_u32 s8, s2
	s_cbranch_scc1 .LBB1707_3
; %bb.2:
	v_cmp_gt_u32_e32 vcc_lo, s8, v4
	s_or_b32 s10, vcc_lo, s14
	s_delay_alu instid0(SALU_CYCLE_1)
	s_and_b32 s11, s10, exec_lo
	s_cbranch_execz .LBB1707_4
	s_branch .LBB1707_18
.LBB1707_3:
.LBB1707_4:
	ds_load_u8 v2, v1
	s_min_u32 s3, s2, s8
	s_and_b32 vcc_lo, exec_lo, s12
	s_add_co_i32 s10, s13, s3
	s_add_co_i32 s9, s3, s9
	v_subrev_nc_u32_e32 v1, s10, v4
	s_min_u32 s10, s13, s3
	s_min_u32 s8, s9, s8
	s_wait_loadcnt_dscnt 0x0
	s_delay_alu instid0(VALU_DEP_1)
	v_dual_add_nc_u32 v1, s10, v1 :: v_dual_bitop2_b32 v3, v2, v0 bitop3:0x40
	s_cbranch_vccz .LBB1707_12
; %bb.5:
                                        ; implicit-def: $vgpr4
	s_and_saveexec_b32 s9, s1
	s_cbranch_execz .LBB1707_11
; %bb.6:
	v_mov_b32_e32 v4, s3
	s_cmp_ge_u32 s2, s8
	s_cbranch_scc1 .LBB1707_10
; %bb.7:
	v_dual_mov_b32 v5, s8 :: v_dual_mov_b32 v4, s3
	v_and_b32_e32 v6, 0xff, v3
	s_mov_b32 s1, 0
.LBB1707_8:                             ; =>This Inner Loop Header: Depth=1
	s_delay_alu instid0(VALU_DEP_2) | instskip(NEXT) | instid1(VALU_DEP_1)
	v_add_nc_u32_e32 v7, v4, v5
	v_lshrrev_b32_e32 v7, 1, v7
	global_load_u8 v8, v7, s[4:5]
	s_wait_loadcnt 0x0
	v_and_b32_e32 v8, v2, v8
	s_delay_alu instid0(VALU_DEP_1) | instskip(SKIP_3) | instid1(VALU_DEP_1)
	v_cmp_gt_u16_e32 vcc_lo, v8, v6
	v_cndmask_b32_e64 v9, 0, 1, vcc_lo
	v_cmp_le_u16_e32 vcc_lo, v6, v8
	v_cndmask_b32_e64 v8, 0, 1, vcc_lo
	v_dual_cndmask_b32 v8, v8, v9, s0 :: v_dual_add_nc_u32 v9, 1, v7
	s_delay_alu instid0(VALU_DEP_1) | instskip(NEXT) | instid1(VALU_DEP_1)
	v_and_b32_e32 v8, 1, v8
	v_cmp_eq_u32_e32 vcc_lo, 1, v8
	v_cndmask_b32_e32 v5, v7, v5, vcc_lo
	s_delay_alu instid0(VALU_DEP_4) | instskip(NEXT) | instid1(VALU_DEP_1)
	v_cndmask_b32_e32 v4, v4, v9, vcc_lo
	v_cmp_ge_u32_e32 vcc_lo, v4, v5
	s_or_b32 s1, vcc_lo, s1
	s_delay_alu instid0(SALU_CYCLE_1)
	s_and_not1_b32 exec_lo, exec_lo, s1
	s_cbranch_execnz .LBB1707_8
; %bb.9:
	s_or_b32 exec_lo, exec_lo, s1
.LBB1707_10:
	s_delay_alu instid0(VALU_DEP_1)
	v_add_nc_u32_e32 v4, v4, v1
	s_or_b32 s11, s11, exec_lo
.LBB1707_11:
	s_or_b32 exec_lo, exec_lo, s9
	s_branch .LBB1707_18
.LBB1707_12:
                                        ; implicit-def: $vgpr4
	s_cbranch_execz .LBB1707_18
; %bb.13:
	v_mov_b32_e32 v4, s3
	s_cmp_ge_u32 s2, s8
	s_cbranch_scc1 .LBB1707_17
; %bb.14:
	v_dual_mov_b32 v5, s8 :: v_dual_mov_b32 v4, s3
	v_and_b32_e32 v3, 0xff, v3
	s_mov_b32 s1, 0
.LBB1707_15:                            ; =>This Inner Loop Header: Depth=1
	s_delay_alu instid0(VALU_DEP_2) | instskip(NEXT) | instid1(VALU_DEP_1)
	v_add_nc_u32_e32 v6, v4, v5
	v_lshrrev_b32_e32 v6, 1, v6
	global_load_u8 v7, v6, s[4:5]
	s_wait_loadcnt 0x0
	v_and_b32_e32 v7, v2, v7
	s_delay_alu instid0(VALU_DEP_1) | instskip(SKIP_3) | instid1(VALU_DEP_1)
	v_cmp_gt_u16_e32 vcc_lo, v7, v3
	v_cndmask_b32_e64 v8, 0, 1, vcc_lo
	v_cmp_le_u16_e32 vcc_lo, v3, v7
	v_cndmask_b32_e64 v7, 0, 1, vcc_lo
	v_dual_cndmask_b32 v7, v7, v8, s0 :: v_dual_add_nc_u32 v8, 1, v6
	s_delay_alu instid0(VALU_DEP_1) | instskip(NEXT) | instid1(VALU_DEP_1)
	v_and_b32_e32 v7, 1, v7
	v_cmp_eq_u32_e32 vcc_lo, 1, v7
	s_delay_alu instid0(VALU_DEP_3) | instskip(NEXT) | instid1(VALU_DEP_1)
	v_dual_cndmask_b32 v5, v6, v5 :: v_dual_cndmask_b32 v4, v4, v8
	v_cmp_ge_u32_e32 vcc_lo, v4, v5
	s_or_b32 s1, vcc_lo, s1
	s_delay_alu instid0(SALU_CYCLE_1)
	s_and_not1_b32 exec_lo, exec_lo, s1
	s_cbranch_execnz .LBB1707_15
; %bb.16:
	s_or_b32 exec_lo, exec_lo, s1
.LBB1707_17:
	s_delay_alu instid0(VALU_DEP_1)
	v_add_nc_u32_e32 v4, v4, v1
	s_mov_b32 s11, -1
.LBB1707_18:
	s_delay_alu instid0(SALU_CYCLE_1)
	s_and_b32 exec_lo, exec_lo, s11
	s_cbranch_execz .LBB1707_20
; %bb.19:
	s_wait_loadcnt 0x0
	global_store_b8 v4, v0, s[6:7]
.LBB1707_20:
	s_endpgm
	.section	.rodata,"a",@progbits
	.p2align	6, 0x0
	.amdhsa_kernel _ZN7rocprim17ROCPRIM_400000_NS6detail17trampoline_kernelINS0_14default_configENS1_38merge_sort_block_merge_config_selectorIbNS0_10empty_typeEEEZZNS1_27merge_sort_block_merge_implIS3_PbPS5_jNS1_19radix_merge_compareILb1ELb1EbNS0_19identity_decomposerEEEEE10hipError_tT0_T1_T2_jT3_P12ihipStream_tbPNSt15iterator_traitsISE_E10value_typeEPNSK_ISF_E10value_typeEPSG_NS1_7vsmem_tEENKUlT_SE_SF_SG_E_clIS8_S8_S9_S9_EESD_ST_SE_SF_SG_EUlST_E1_NS1_11comp_targetILNS1_3genE0ELNS1_11target_archE4294967295ELNS1_3gpuE0ELNS1_3repE0EEENS1_36merge_oddeven_config_static_selectorELNS0_4arch9wavefront6targetE0EEEvSF_
		.amdhsa_group_segment_fixed_size 256
		.amdhsa_private_segment_fixed_size 0
		.amdhsa_kernarg_size 48
		.amdhsa_user_sgpr_count 4
		.amdhsa_user_sgpr_dispatch_ptr 1
		.amdhsa_user_sgpr_queue_ptr 0
		.amdhsa_user_sgpr_kernarg_segment_ptr 1
		.amdhsa_user_sgpr_dispatch_id 0
		.amdhsa_user_sgpr_kernarg_preload_length 0
		.amdhsa_user_sgpr_kernarg_preload_offset 0
		.amdhsa_user_sgpr_private_segment_size 0
		.amdhsa_wavefront_size32 1
		.amdhsa_uses_dynamic_stack 0
		.amdhsa_enable_private_segment 0
		.amdhsa_system_sgpr_workgroup_id_x 1
		.amdhsa_system_sgpr_workgroup_id_y 0
		.amdhsa_system_sgpr_workgroup_id_z 0
		.amdhsa_system_sgpr_workgroup_info 0
		.amdhsa_system_vgpr_workitem_id 2
		.amdhsa_next_free_vgpr 10
		.amdhsa_next_free_sgpr 15
		.amdhsa_named_barrier_count 0
		.amdhsa_reserve_vcc 1
		.amdhsa_float_round_mode_32 0
		.amdhsa_float_round_mode_16_64 0
		.amdhsa_float_denorm_mode_32 3
		.amdhsa_float_denorm_mode_16_64 3
		.amdhsa_fp16_overflow 0
		.amdhsa_memory_ordered 1
		.amdhsa_forward_progress 1
		.amdhsa_inst_pref_size 6
		.amdhsa_round_robin_scheduling 0
		.amdhsa_exception_fp_ieee_invalid_op 0
		.amdhsa_exception_fp_denorm_src 0
		.amdhsa_exception_fp_ieee_div_zero 0
		.amdhsa_exception_fp_ieee_overflow 0
		.amdhsa_exception_fp_ieee_underflow 0
		.amdhsa_exception_fp_ieee_inexact 0
		.amdhsa_exception_int_div_zero 0
	.end_amdhsa_kernel
	.section	.text._ZN7rocprim17ROCPRIM_400000_NS6detail17trampoline_kernelINS0_14default_configENS1_38merge_sort_block_merge_config_selectorIbNS0_10empty_typeEEEZZNS1_27merge_sort_block_merge_implIS3_PbPS5_jNS1_19radix_merge_compareILb1ELb1EbNS0_19identity_decomposerEEEEE10hipError_tT0_T1_T2_jT3_P12ihipStream_tbPNSt15iterator_traitsISE_E10value_typeEPNSK_ISF_E10value_typeEPSG_NS1_7vsmem_tEENKUlT_SE_SF_SG_E_clIS8_S8_S9_S9_EESD_ST_SE_SF_SG_EUlST_E1_NS1_11comp_targetILNS1_3genE0ELNS1_11target_archE4294967295ELNS1_3gpuE0ELNS1_3repE0EEENS1_36merge_oddeven_config_static_selectorELNS0_4arch9wavefront6targetE0EEEvSF_,"axG",@progbits,_ZN7rocprim17ROCPRIM_400000_NS6detail17trampoline_kernelINS0_14default_configENS1_38merge_sort_block_merge_config_selectorIbNS0_10empty_typeEEEZZNS1_27merge_sort_block_merge_implIS3_PbPS5_jNS1_19radix_merge_compareILb1ELb1EbNS0_19identity_decomposerEEEEE10hipError_tT0_T1_T2_jT3_P12ihipStream_tbPNSt15iterator_traitsISE_E10value_typeEPNSK_ISF_E10value_typeEPSG_NS1_7vsmem_tEENKUlT_SE_SF_SG_E_clIS8_S8_S9_S9_EESD_ST_SE_SF_SG_EUlST_E1_NS1_11comp_targetILNS1_3genE0ELNS1_11target_archE4294967295ELNS1_3gpuE0ELNS1_3repE0EEENS1_36merge_oddeven_config_static_selectorELNS0_4arch9wavefront6targetE0EEEvSF_,comdat
.Lfunc_end1707:
	.size	_ZN7rocprim17ROCPRIM_400000_NS6detail17trampoline_kernelINS0_14default_configENS1_38merge_sort_block_merge_config_selectorIbNS0_10empty_typeEEEZZNS1_27merge_sort_block_merge_implIS3_PbPS5_jNS1_19radix_merge_compareILb1ELb1EbNS0_19identity_decomposerEEEEE10hipError_tT0_T1_T2_jT3_P12ihipStream_tbPNSt15iterator_traitsISE_E10value_typeEPNSK_ISF_E10value_typeEPSG_NS1_7vsmem_tEENKUlT_SE_SF_SG_E_clIS8_S8_S9_S9_EESD_ST_SE_SF_SG_EUlST_E1_NS1_11comp_targetILNS1_3genE0ELNS1_11target_archE4294967295ELNS1_3gpuE0ELNS1_3repE0EEENS1_36merge_oddeven_config_static_selectorELNS0_4arch9wavefront6targetE0EEEvSF_, .Lfunc_end1707-_ZN7rocprim17ROCPRIM_400000_NS6detail17trampoline_kernelINS0_14default_configENS1_38merge_sort_block_merge_config_selectorIbNS0_10empty_typeEEEZZNS1_27merge_sort_block_merge_implIS3_PbPS5_jNS1_19radix_merge_compareILb1ELb1EbNS0_19identity_decomposerEEEEE10hipError_tT0_T1_T2_jT3_P12ihipStream_tbPNSt15iterator_traitsISE_E10value_typeEPNSK_ISF_E10value_typeEPSG_NS1_7vsmem_tEENKUlT_SE_SF_SG_E_clIS8_S8_S9_S9_EESD_ST_SE_SF_SG_EUlST_E1_NS1_11comp_targetILNS1_3genE0ELNS1_11target_archE4294967295ELNS1_3gpuE0ELNS1_3repE0EEENS1_36merge_oddeven_config_static_selectorELNS0_4arch9wavefront6targetE0EEEvSF_
                                        ; -- End function
	.set _ZN7rocprim17ROCPRIM_400000_NS6detail17trampoline_kernelINS0_14default_configENS1_38merge_sort_block_merge_config_selectorIbNS0_10empty_typeEEEZZNS1_27merge_sort_block_merge_implIS3_PbPS5_jNS1_19radix_merge_compareILb1ELb1EbNS0_19identity_decomposerEEEEE10hipError_tT0_T1_T2_jT3_P12ihipStream_tbPNSt15iterator_traitsISE_E10value_typeEPNSK_ISF_E10value_typeEPSG_NS1_7vsmem_tEENKUlT_SE_SF_SG_E_clIS8_S8_S9_S9_EESD_ST_SE_SF_SG_EUlST_E1_NS1_11comp_targetILNS1_3genE0ELNS1_11target_archE4294967295ELNS1_3gpuE0ELNS1_3repE0EEENS1_36merge_oddeven_config_static_selectorELNS0_4arch9wavefront6targetE0EEEvSF_.num_vgpr, 10
	.set _ZN7rocprim17ROCPRIM_400000_NS6detail17trampoline_kernelINS0_14default_configENS1_38merge_sort_block_merge_config_selectorIbNS0_10empty_typeEEEZZNS1_27merge_sort_block_merge_implIS3_PbPS5_jNS1_19radix_merge_compareILb1ELb1EbNS0_19identity_decomposerEEEEE10hipError_tT0_T1_T2_jT3_P12ihipStream_tbPNSt15iterator_traitsISE_E10value_typeEPNSK_ISF_E10value_typeEPSG_NS1_7vsmem_tEENKUlT_SE_SF_SG_E_clIS8_S8_S9_S9_EESD_ST_SE_SF_SG_EUlST_E1_NS1_11comp_targetILNS1_3genE0ELNS1_11target_archE4294967295ELNS1_3gpuE0ELNS1_3repE0EEENS1_36merge_oddeven_config_static_selectorELNS0_4arch9wavefront6targetE0EEEvSF_.num_agpr, 0
	.set _ZN7rocprim17ROCPRIM_400000_NS6detail17trampoline_kernelINS0_14default_configENS1_38merge_sort_block_merge_config_selectorIbNS0_10empty_typeEEEZZNS1_27merge_sort_block_merge_implIS3_PbPS5_jNS1_19radix_merge_compareILb1ELb1EbNS0_19identity_decomposerEEEEE10hipError_tT0_T1_T2_jT3_P12ihipStream_tbPNSt15iterator_traitsISE_E10value_typeEPNSK_ISF_E10value_typeEPSG_NS1_7vsmem_tEENKUlT_SE_SF_SG_E_clIS8_S8_S9_S9_EESD_ST_SE_SF_SG_EUlST_E1_NS1_11comp_targetILNS1_3genE0ELNS1_11target_archE4294967295ELNS1_3gpuE0ELNS1_3repE0EEENS1_36merge_oddeven_config_static_selectorELNS0_4arch9wavefront6targetE0EEEvSF_.numbered_sgpr, 15
	.set _ZN7rocprim17ROCPRIM_400000_NS6detail17trampoline_kernelINS0_14default_configENS1_38merge_sort_block_merge_config_selectorIbNS0_10empty_typeEEEZZNS1_27merge_sort_block_merge_implIS3_PbPS5_jNS1_19radix_merge_compareILb1ELb1EbNS0_19identity_decomposerEEEEE10hipError_tT0_T1_T2_jT3_P12ihipStream_tbPNSt15iterator_traitsISE_E10value_typeEPNSK_ISF_E10value_typeEPSG_NS1_7vsmem_tEENKUlT_SE_SF_SG_E_clIS8_S8_S9_S9_EESD_ST_SE_SF_SG_EUlST_E1_NS1_11comp_targetILNS1_3genE0ELNS1_11target_archE4294967295ELNS1_3gpuE0ELNS1_3repE0EEENS1_36merge_oddeven_config_static_selectorELNS0_4arch9wavefront6targetE0EEEvSF_.num_named_barrier, 0
	.set _ZN7rocprim17ROCPRIM_400000_NS6detail17trampoline_kernelINS0_14default_configENS1_38merge_sort_block_merge_config_selectorIbNS0_10empty_typeEEEZZNS1_27merge_sort_block_merge_implIS3_PbPS5_jNS1_19radix_merge_compareILb1ELb1EbNS0_19identity_decomposerEEEEE10hipError_tT0_T1_T2_jT3_P12ihipStream_tbPNSt15iterator_traitsISE_E10value_typeEPNSK_ISF_E10value_typeEPSG_NS1_7vsmem_tEENKUlT_SE_SF_SG_E_clIS8_S8_S9_S9_EESD_ST_SE_SF_SG_EUlST_E1_NS1_11comp_targetILNS1_3genE0ELNS1_11target_archE4294967295ELNS1_3gpuE0ELNS1_3repE0EEENS1_36merge_oddeven_config_static_selectorELNS0_4arch9wavefront6targetE0EEEvSF_.private_seg_size, 0
	.set _ZN7rocprim17ROCPRIM_400000_NS6detail17trampoline_kernelINS0_14default_configENS1_38merge_sort_block_merge_config_selectorIbNS0_10empty_typeEEEZZNS1_27merge_sort_block_merge_implIS3_PbPS5_jNS1_19radix_merge_compareILb1ELb1EbNS0_19identity_decomposerEEEEE10hipError_tT0_T1_T2_jT3_P12ihipStream_tbPNSt15iterator_traitsISE_E10value_typeEPNSK_ISF_E10value_typeEPSG_NS1_7vsmem_tEENKUlT_SE_SF_SG_E_clIS8_S8_S9_S9_EESD_ST_SE_SF_SG_EUlST_E1_NS1_11comp_targetILNS1_3genE0ELNS1_11target_archE4294967295ELNS1_3gpuE0ELNS1_3repE0EEENS1_36merge_oddeven_config_static_selectorELNS0_4arch9wavefront6targetE0EEEvSF_.uses_vcc, 1
	.set _ZN7rocprim17ROCPRIM_400000_NS6detail17trampoline_kernelINS0_14default_configENS1_38merge_sort_block_merge_config_selectorIbNS0_10empty_typeEEEZZNS1_27merge_sort_block_merge_implIS3_PbPS5_jNS1_19radix_merge_compareILb1ELb1EbNS0_19identity_decomposerEEEEE10hipError_tT0_T1_T2_jT3_P12ihipStream_tbPNSt15iterator_traitsISE_E10value_typeEPNSK_ISF_E10value_typeEPSG_NS1_7vsmem_tEENKUlT_SE_SF_SG_E_clIS8_S8_S9_S9_EESD_ST_SE_SF_SG_EUlST_E1_NS1_11comp_targetILNS1_3genE0ELNS1_11target_archE4294967295ELNS1_3gpuE0ELNS1_3repE0EEENS1_36merge_oddeven_config_static_selectorELNS0_4arch9wavefront6targetE0EEEvSF_.uses_flat_scratch, 0
	.set _ZN7rocprim17ROCPRIM_400000_NS6detail17trampoline_kernelINS0_14default_configENS1_38merge_sort_block_merge_config_selectorIbNS0_10empty_typeEEEZZNS1_27merge_sort_block_merge_implIS3_PbPS5_jNS1_19radix_merge_compareILb1ELb1EbNS0_19identity_decomposerEEEEE10hipError_tT0_T1_T2_jT3_P12ihipStream_tbPNSt15iterator_traitsISE_E10value_typeEPNSK_ISF_E10value_typeEPSG_NS1_7vsmem_tEENKUlT_SE_SF_SG_E_clIS8_S8_S9_S9_EESD_ST_SE_SF_SG_EUlST_E1_NS1_11comp_targetILNS1_3genE0ELNS1_11target_archE4294967295ELNS1_3gpuE0ELNS1_3repE0EEENS1_36merge_oddeven_config_static_selectorELNS0_4arch9wavefront6targetE0EEEvSF_.has_dyn_sized_stack, 0
	.set _ZN7rocprim17ROCPRIM_400000_NS6detail17trampoline_kernelINS0_14default_configENS1_38merge_sort_block_merge_config_selectorIbNS0_10empty_typeEEEZZNS1_27merge_sort_block_merge_implIS3_PbPS5_jNS1_19radix_merge_compareILb1ELb1EbNS0_19identity_decomposerEEEEE10hipError_tT0_T1_T2_jT3_P12ihipStream_tbPNSt15iterator_traitsISE_E10value_typeEPNSK_ISF_E10value_typeEPSG_NS1_7vsmem_tEENKUlT_SE_SF_SG_E_clIS8_S8_S9_S9_EESD_ST_SE_SF_SG_EUlST_E1_NS1_11comp_targetILNS1_3genE0ELNS1_11target_archE4294967295ELNS1_3gpuE0ELNS1_3repE0EEENS1_36merge_oddeven_config_static_selectorELNS0_4arch9wavefront6targetE0EEEvSF_.has_recursion, 0
	.set _ZN7rocprim17ROCPRIM_400000_NS6detail17trampoline_kernelINS0_14default_configENS1_38merge_sort_block_merge_config_selectorIbNS0_10empty_typeEEEZZNS1_27merge_sort_block_merge_implIS3_PbPS5_jNS1_19radix_merge_compareILb1ELb1EbNS0_19identity_decomposerEEEEE10hipError_tT0_T1_T2_jT3_P12ihipStream_tbPNSt15iterator_traitsISE_E10value_typeEPNSK_ISF_E10value_typeEPSG_NS1_7vsmem_tEENKUlT_SE_SF_SG_E_clIS8_S8_S9_S9_EESD_ST_SE_SF_SG_EUlST_E1_NS1_11comp_targetILNS1_3genE0ELNS1_11target_archE4294967295ELNS1_3gpuE0ELNS1_3repE0EEENS1_36merge_oddeven_config_static_selectorELNS0_4arch9wavefront6targetE0EEEvSF_.has_indirect_call, 0
	.section	.AMDGPU.csdata,"",@progbits
; Kernel info:
; codeLenInByte = 752
; TotalNumSgprs: 17
; NumVgprs: 10
; ScratchSize: 0
; MemoryBound: 0
; FloatMode: 240
; IeeeMode: 1
; LDSByteSize: 256 bytes/workgroup (compile time only)
; SGPRBlocks: 0
; VGPRBlocks: 0
; NumSGPRsForWavesPerEU: 17
; NumVGPRsForWavesPerEU: 10
; NamedBarCnt: 0
; Occupancy: 16
; WaveLimiterHint : 0
; COMPUTE_PGM_RSRC2:SCRATCH_EN: 0
; COMPUTE_PGM_RSRC2:USER_SGPR: 4
; COMPUTE_PGM_RSRC2:TRAP_HANDLER: 0
; COMPUTE_PGM_RSRC2:TGID_X_EN: 1
; COMPUTE_PGM_RSRC2:TGID_Y_EN: 0
; COMPUTE_PGM_RSRC2:TGID_Z_EN: 0
; COMPUTE_PGM_RSRC2:TIDIG_COMP_CNT: 2
	.section	.text._ZN7rocprim17ROCPRIM_400000_NS6detail17trampoline_kernelINS0_14default_configENS1_38merge_sort_block_merge_config_selectorIbNS0_10empty_typeEEEZZNS1_27merge_sort_block_merge_implIS3_PbPS5_jNS1_19radix_merge_compareILb1ELb1EbNS0_19identity_decomposerEEEEE10hipError_tT0_T1_T2_jT3_P12ihipStream_tbPNSt15iterator_traitsISE_E10value_typeEPNSK_ISF_E10value_typeEPSG_NS1_7vsmem_tEENKUlT_SE_SF_SG_E_clIS8_S8_S9_S9_EESD_ST_SE_SF_SG_EUlST_E1_NS1_11comp_targetILNS1_3genE10ELNS1_11target_archE1201ELNS1_3gpuE5ELNS1_3repE0EEENS1_36merge_oddeven_config_static_selectorELNS0_4arch9wavefront6targetE0EEEvSF_,"axG",@progbits,_ZN7rocprim17ROCPRIM_400000_NS6detail17trampoline_kernelINS0_14default_configENS1_38merge_sort_block_merge_config_selectorIbNS0_10empty_typeEEEZZNS1_27merge_sort_block_merge_implIS3_PbPS5_jNS1_19radix_merge_compareILb1ELb1EbNS0_19identity_decomposerEEEEE10hipError_tT0_T1_T2_jT3_P12ihipStream_tbPNSt15iterator_traitsISE_E10value_typeEPNSK_ISF_E10value_typeEPSG_NS1_7vsmem_tEENKUlT_SE_SF_SG_E_clIS8_S8_S9_S9_EESD_ST_SE_SF_SG_EUlST_E1_NS1_11comp_targetILNS1_3genE10ELNS1_11target_archE1201ELNS1_3gpuE5ELNS1_3repE0EEENS1_36merge_oddeven_config_static_selectorELNS0_4arch9wavefront6targetE0EEEvSF_,comdat
	.protected	_ZN7rocprim17ROCPRIM_400000_NS6detail17trampoline_kernelINS0_14default_configENS1_38merge_sort_block_merge_config_selectorIbNS0_10empty_typeEEEZZNS1_27merge_sort_block_merge_implIS3_PbPS5_jNS1_19radix_merge_compareILb1ELb1EbNS0_19identity_decomposerEEEEE10hipError_tT0_T1_T2_jT3_P12ihipStream_tbPNSt15iterator_traitsISE_E10value_typeEPNSK_ISF_E10value_typeEPSG_NS1_7vsmem_tEENKUlT_SE_SF_SG_E_clIS8_S8_S9_S9_EESD_ST_SE_SF_SG_EUlST_E1_NS1_11comp_targetILNS1_3genE10ELNS1_11target_archE1201ELNS1_3gpuE5ELNS1_3repE0EEENS1_36merge_oddeven_config_static_selectorELNS0_4arch9wavefront6targetE0EEEvSF_ ; -- Begin function _ZN7rocprim17ROCPRIM_400000_NS6detail17trampoline_kernelINS0_14default_configENS1_38merge_sort_block_merge_config_selectorIbNS0_10empty_typeEEEZZNS1_27merge_sort_block_merge_implIS3_PbPS5_jNS1_19radix_merge_compareILb1ELb1EbNS0_19identity_decomposerEEEEE10hipError_tT0_T1_T2_jT3_P12ihipStream_tbPNSt15iterator_traitsISE_E10value_typeEPNSK_ISF_E10value_typeEPSG_NS1_7vsmem_tEENKUlT_SE_SF_SG_E_clIS8_S8_S9_S9_EESD_ST_SE_SF_SG_EUlST_E1_NS1_11comp_targetILNS1_3genE10ELNS1_11target_archE1201ELNS1_3gpuE5ELNS1_3repE0EEENS1_36merge_oddeven_config_static_selectorELNS0_4arch9wavefront6targetE0EEEvSF_
	.globl	_ZN7rocprim17ROCPRIM_400000_NS6detail17trampoline_kernelINS0_14default_configENS1_38merge_sort_block_merge_config_selectorIbNS0_10empty_typeEEEZZNS1_27merge_sort_block_merge_implIS3_PbPS5_jNS1_19radix_merge_compareILb1ELb1EbNS0_19identity_decomposerEEEEE10hipError_tT0_T1_T2_jT3_P12ihipStream_tbPNSt15iterator_traitsISE_E10value_typeEPNSK_ISF_E10value_typeEPSG_NS1_7vsmem_tEENKUlT_SE_SF_SG_E_clIS8_S8_S9_S9_EESD_ST_SE_SF_SG_EUlST_E1_NS1_11comp_targetILNS1_3genE10ELNS1_11target_archE1201ELNS1_3gpuE5ELNS1_3repE0EEENS1_36merge_oddeven_config_static_selectorELNS0_4arch9wavefront6targetE0EEEvSF_
	.p2align	8
	.type	_ZN7rocprim17ROCPRIM_400000_NS6detail17trampoline_kernelINS0_14default_configENS1_38merge_sort_block_merge_config_selectorIbNS0_10empty_typeEEEZZNS1_27merge_sort_block_merge_implIS3_PbPS5_jNS1_19radix_merge_compareILb1ELb1EbNS0_19identity_decomposerEEEEE10hipError_tT0_T1_T2_jT3_P12ihipStream_tbPNSt15iterator_traitsISE_E10value_typeEPNSK_ISF_E10value_typeEPSG_NS1_7vsmem_tEENKUlT_SE_SF_SG_E_clIS8_S8_S9_S9_EESD_ST_SE_SF_SG_EUlST_E1_NS1_11comp_targetILNS1_3genE10ELNS1_11target_archE1201ELNS1_3gpuE5ELNS1_3repE0EEENS1_36merge_oddeven_config_static_selectorELNS0_4arch9wavefront6targetE0EEEvSF_,@function
_ZN7rocprim17ROCPRIM_400000_NS6detail17trampoline_kernelINS0_14default_configENS1_38merge_sort_block_merge_config_selectorIbNS0_10empty_typeEEEZZNS1_27merge_sort_block_merge_implIS3_PbPS5_jNS1_19radix_merge_compareILb1ELb1EbNS0_19identity_decomposerEEEEE10hipError_tT0_T1_T2_jT3_P12ihipStream_tbPNSt15iterator_traitsISE_E10value_typeEPNSK_ISF_E10value_typeEPSG_NS1_7vsmem_tEENKUlT_SE_SF_SG_E_clIS8_S8_S9_S9_EESD_ST_SE_SF_SG_EUlST_E1_NS1_11comp_targetILNS1_3genE10ELNS1_11target_archE1201ELNS1_3gpuE5ELNS1_3repE0EEENS1_36merge_oddeven_config_static_selectorELNS0_4arch9wavefront6targetE0EEEvSF_: ; @_ZN7rocprim17ROCPRIM_400000_NS6detail17trampoline_kernelINS0_14default_configENS1_38merge_sort_block_merge_config_selectorIbNS0_10empty_typeEEEZZNS1_27merge_sort_block_merge_implIS3_PbPS5_jNS1_19radix_merge_compareILb1ELb1EbNS0_19identity_decomposerEEEEE10hipError_tT0_T1_T2_jT3_P12ihipStream_tbPNSt15iterator_traitsISE_E10value_typeEPNSK_ISF_E10value_typeEPSG_NS1_7vsmem_tEENKUlT_SE_SF_SG_E_clIS8_S8_S9_S9_EESD_ST_SE_SF_SG_EUlST_E1_NS1_11comp_targetILNS1_3genE10ELNS1_11target_archE1201ELNS1_3gpuE5ELNS1_3repE0EEENS1_36merge_oddeven_config_static_selectorELNS0_4arch9wavefront6targetE0EEEvSF_
; %bb.0:
	.section	.rodata,"a",@progbits
	.p2align	6, 0x0
	.amdhsa_kernel _ZN7rocprim17ROCPRIM_400000_NS6detail17trampoline_kernelINS0_14default_configENS1_38merge_sort_block_merge_config_selectorIbNS0_10empty_typeEEEZZNS1_27merge_sort_block_merge_implIS3_PbPS5_jNS1_19radix_merge_compareILb1ELb1EbNS0_19identity_decomposerEEEEE10hipError_tT0_T1_T2_jT3_P12ihipStream_tbPNSt15iterator_traitsISE_E10value_typeEPNSK_ISF_E10value_typeEPSG_NS1_7vsmem_tEENKUlT_SE_SF_SG_E_clIS8_S8_S9_S9_EESD_ST_SE_SF_SG_EUlST_E1_NS1_11comp_targetILNS1_3genE10ELNS1_11target_archE1201ELNS1_3gpuE5ELNS1_3repE0EEENS1_36merge_oddeven_config_static_selectorELNS0_4arch9wavefront6targetE0EEEvSF_
		.amdhsa_group_segment_fixed_size 0
		.amdhsa_private_segment_fixed_size 0
		.amdhsa_kernarg_size 48
		.amdhsa_user_sgpr_count 2
		.amdhsa_user_sgpr_dispatch_ptr 0
		.amdhsa_user_sgpr_queue_ptr 0
		.amdhsa_user_sgpr_kernarg_segment_ptr 1
		.amdhsa_user_sgpr_dispatch_id 0
		.amdhsa_user_sgpr_kernarg_preload_length 0
		.amdhsa_user_sgpr_kernarg_preload_offset 0
		.amdhsa_user_sgpr_private_segment_size 0
		.amdhsa_wavefront_size32 1
		.amdhsa_uses_dynamic_stack 0
		.amdhsa_enable_private_segment 0
		.amdhsa_system_sgpr_workgroup_id_x 1
		.amdhsa_system_sgpr_workgroup_id_y 0
		.amdhsa_system_sgpr_workgroup_id_z 0
		.amdhsa_system_sgpr_workgroup_info 0
		.amdhsa_system_vgpr_workitem_id 0
		.amdhsa_next_free_vgpr 1
		.amdhsa_next_free_sgpr 1
		.amdhsa_named_barrier_count 0
		.amdhsa_reserve_vcc 0
		.amdhsa_float_round_mode_32 0
		.amdhsa_float_round_mode_16_64 0
		.amdhsa_float_denorm_mode_32 3
		.amdhsa_float_denorm_mode_16_64 3
		.amdhsa_fp16_overflow 0
		.amdhsa_memory_ordered 1
		.amdhsa_forward_progress 1
		.amdhsa_inst_pref_size 0
		.amdhsa_round_robin_scheduling 0
		.amdhsa_exception_fp_ieee_invalid_op 0
		.amdhsa_exception_fp_denorm_src 0
		.amdhsa_exception_fp_ieee_div_zero 0
		.amdhsa_exception_fp_ieee_overflow 0
		.amdhsa_exception_fp_ieee_underflow 0
		.amdhsa_exception_fp_ieee_inexact 0
		.amdhsa_exception_int_div_zero 0
	.end_amdhsa_kernel
	.section	.text._ZN7rocprim17ROCPRIM_400000_NS6detail17trampoline_kernelINS0_14default_configENS1_38merge_sort_block_merge_config_selectorIbNS0_10empty_typeEEEZZNS1_27merge_sort_block_merge_implIS3_PbPS5_jNS1_19radix_merge_compareILb1ELb1EbNS0_19identity_decomposerEEEEE10hipError_tT0_T1_T2_jT3_P12ihipStream_tbPNSt15iterator_traitsISE_E10value_typeEPNSK_ISF_E10value_typeEPSG_NS1_7vsmem_tEENKUlT_SE_SF_SG_E_clIS8_S8_S9_S9_EESD_ST_SE_SF_SG_EUlST_E1_NS1_11comp_targetILNS1_3genE10ELNS1_11target_archE1201ELNS1_3gpuE5ELNS1_3repE0EEENS1_36merge_oddeven_config_static_selectorELNS0_4arch9wavefront6targetE0EEEvSF_,"axG",@progbits,_ZN7rocprim17ROCPRIM_400000_NS6detail17trampoline_kernelINS0_14default_configENS1_38merge_sort_block_merge_config_selectorIbNS0_10empty_typeEEEZZNS1_27merge_sort_block_merge_implIS3_PbPS5_jNS1_19radix_merge_compareILb1ELb1EbNS0_19identity_decomposerEEEEE10hipError_tT0_T1_T2_jT3_P12ihipStream_tbPNSt15iterator_traitsISE_E10value_typeEPNSK_ISF_E10value_typeEPSG_NS1_7vsmem_tEENKUlT_SE_SF_SG_E_clIS8_S8_S9_S9_EESD_ST_SE_SF_SG_EUlST_E1_NS1_11comp_targetILNS1_3genE10ELNS1_11target_archE1201ELNS1_3gpuE5ELNS1_3repE0EEENS1_36merge_oddeven_config_static_selectorELNS0_4arch9wavefront6targetE0EEEvSF_,comdat
.Lfunc_end1708:
	.size	_ZN7rocprim17ROCPRIM_400000_NS6detail17trampoline_kernelINS0_14default_configENS1_38merge_sort_block_merge_config_selectorIbNS0_10empty_typeEEEZZNS1_27merge_sort_block_merge_implIS3_PbPS5_jNS1_19radix_merge_compareILb1ELb1EbNS0_19identity_decomposerEEEEE10hipError_tT0_T1_T2_jT3_P12ihipStream_tbPNSt15iterator_traitsISE_E10value_typeEPNSK_ISF_E10value_typeEPSG_NS1_7vsmem_tEENKUlT_SE_SF_SG_E_clIS8_S8_S9_S9_EESD_ST_SE_SF_SG_EUlST_E1_NS1_11comp_targetILNS1_3genE10ELNS1_11target_archE1201ELNS1_3gpuE5ELNS1_3repE0EEENS1_36merge_oddeven_config_static_selectorELNS0_4arch9wavefront6targetE0EEEvSF_, .Lfunc_end1708-_ZN7rocprim17ROCPRIM_400000_NS6detail17trampoline_kernelINS0_14default_configENS1_38merge_sort_block_merge_config_selectorIbNS0_10empty_typeEEEZZNS1_27merge_sort_block_merge_implIS3_PbPS5_jNS1_19radix_merge_compareILb1ELb1EbNS0_19identity_decomposerEEEEE10hipError_tT0_T1_T2_jT3_P12ihipStream_tbPNSt15iterator_traitsISE_E10value_typeEPNSK_ISF_E10value_typeEPSG_NS1_7vsmem_tEENKUlT_SE_SF_SG_E_clIS8_S8_S9_S9_EESD_ST_SE_SF_SG_EUlST_E1_NS1_11comp_targetILNS1_3genE10ELNS1_11target_archE1201ELNS1_3gpuE5ELNS1_3repE0EEENS1_36merge_oddeven_config_static_selectorELNS0_4arch9wavefront6targetE0EEEvSF_
                                        ; -- End function
	.set _ZN7rocprim17ROCPRIM_400000_NS6detail17trampoline_kernelINS0_14default_configENS1_38merge_sort_block_merge_config_selectorIbNS0_10empty_typeEEEZZNS1_27merge_sort_block_merge_implIS3_PbPS5_jNS1_19radix_merge_compareILb1ELb1EbNS0_19identity_decomposerEEEEE10hipError_tT0_T1_T2_jT3_P12ihipStream_tbPNSt15iterator_traitsISE_E10value_typeEPNSK_ISF_E10value_typeEPSG_NS1_7vsmem_tEENKUlT_SE_SF_SG_E_clIS8_S8_S9_S9_EESD_ST_SE_SF_SG_EUlST_E1_NS1_11comp_targetILNS1_3genE10ELNS1_11target_archE1201ELNS1_3gpuE5ELNS1_3repE0EEENS1_36merge_oddeven_config_static_selectorELNS0_4arch9wavefront6targetE0EEEvSF_.num_vgpr, 0
	.set _ZN7rocprim17ROCPRIM_400000_NS6detail17trampoline_kernelINS0_14default_configENS1_38merge_sort_block_merge_config_selectorIbNS0_10empty_typeEEEZZNS1_27merge_sort_block_merge_implIS3_PbPS5_jNS1_19radix_merge_compareILb1ELb1EbNS0_19identity_decomposerEEEEE10hipError_tT0_T1_T2_jT3_P12ihipStream_tbPNSt15iterator_traitsISE_E10value_typeEPNSK_ISF_E10value_typeEPSG_NS1_7vsmem_tEENKUlT_SE_SF_SG_E_clIS8_S8_S9_S9_EESD_ST_SE_SF_SG_EUlST_E1_NS1_11comp_targetILNS1_3genE10ELNS1_11target_archE1201ELNS1_3gpuE5ELNS1_3repE0EEENS1_36merge_oddeven_config_static_selectorELNS0_4arch9wavefront6targetE0EEEvSF_.num_agpr, 0
	.set _ZN7rocprim17ROCPRIM_400000_NS6detail17trampoline_kernelINS0_14default_configENS1_38merge_sort_block_merge_config_selectorIbNS0_10empty_typeEEEZZNS1_27merge_sort_block_merge_implIS3_PbPS5_jNS1_19radix_merge_compareILb1ELb1EbNS0_19identity_decomposerEEEEE10hipError_tT0_T1_T2_jT3_P12ihipStream_tbPNSt15iterator_traitsISE_E10value_typeEPNSK_ISF_E10value_typeEPSG_NS1_7vsmem_tEENKUlT_SE_SF_SG_E_clIS8_S8_S9_S9_EESD_ST_SE_SF_SG_EUlST_E1_NS1_11comp_targetILNS1_3genE10ELNS1_11target_archE1201ELNS1_3gpuE5ELNS1_3repE0EEENS1_36merge_oddeven_config_static_selectorELNS0_4arch9wavefront6targetE0EEEvSF_.numbered_sgpr, 0
	.set _ZN7rocprim17ROCPRIM_400000_NS6detail17trampoline_kernelINS0_14default_configENS1_38merge_sort_block_merge_config_selectorIbNS0_10empty_typeEEEZZNS1_27merge_sort_block_merge_implIS3_PbPS5_jNS1_19radix_merge_compareILb1ELb1EbNS0_19identity_decomposerEEEEE10hipError_tT0_T1_T2_jT3_P12ihipStream_tbPNSt15iterator_traitsISE_E10value_typeEPNSK_ISF_E10value_typeEPSG_NS1_7vsmem_tEENKUlT_SE_SF_SG_E_clIS8_S8_S9_S9_EESD_ST_SE_SF_SG_EUlST_E1_NS1_11comp_targetILNS1_3genE10ELNS1_11target_archE1201ELNS1_3gpuE5ELNS1_3repE0EEENS1_36merge_oddeven_config_static_selectorELNS0_4arch9wavefront6targetE0EEEvSF_.num_named_barrier, 0
	.set _ZN7rocprim17ROCPRIM_400000_NS6detail17trampoline_kernelINS0_14default_configENS1_38merge_sort_block_merge_config_selectorIbNS0_10empty_typeEEEZZNS1_27merge_sort_block_merge_implIS3_PbPS5_jNS1_19radix_merge_compareILb1ELb1EbNS0_19identity_decomposerEEEEE10hipError_tT0_T1_T2_jT3_P12ihipStream_tbPNSt15iterator_traitsISE_E10value_typeEPNSK_ISF_E10value_typeEPSG_NS1_7vsmem_tEENKUlT_SE_SF_SG_E_clIS8_S8_S9_S9_EESD_ST_SE_SF_SG_EUlST_E1_NS1_11comp_targetILNS1_3genE10ELNS1_11target_archE1201ELNS1_3gpuE5ELNS1_3repE0EEENS1_36merge_oddeven_config_static_selectorELNS0_4arch9wavefront6targetE0EEEvSF_.private_seg_size, 0
	.set _ZN7rocprim17ROCPRIM_400000_NS6detail17trampoline_kernelINS0_14default_configENS1_38merge_sort_block_merge_config_selectorIbNS0_10empty_typeEEEZZNS1_27merge_sort_block_merge_implIS3_PbPS5_jNS1_19radix_merge_compareILb1ELb1EbNS0_19identity_decomposerEEEEE10hipError_tT0_T1_T2_jT3_P12ihipStream_tbPNSt15iterator_traitsISE_E10value_typeEPNSK_ISF_E10value_typeEPSG_NS1_7vsmem_tEENKUlT_SE_SF_SG_E_clIS8_S8_S9_S9_EESD_ST_SE_SF_SG_EUlST_E1_NS1_11comp_targetILNS1_3genE10ELNS1_11target_archE1201ELNS1_3gpuE5ELNS1_3repE0EEENS1_36merge_oddeven_config_static_selectorELNS0_4arch9wavefront6targetE0EEEvSF_.uses_vcc, 0
	.set _ZN7rocprim17ROCPRIM_400000_NS6detail17trampoline_kernelINS0_14default_configENS1_38merge_sort_block_merge_config_selectorIbNS0_10empty_typeEEEZZNS1_27merge_sort_block_merge_implIS3_PbPS5_jNS1_19radix_merge_compareILb1ELb1EbNS0_19identity_decomposerEEEEE10hipError_tT0_T1_T2_jT3_P12ihipStream_tbPNSt15iterator_traitsISE_E10value_typeEPNSK_ISF_E10value_typeEPSG_NS1_7vsmem_tEENKUlT_SE_SF_SG_E_clIS8_S8_S9_S9_EESD_ST_SE_SF_SG_EUlST_E1_NS1_11comp_targetILNS1_3genE10ELNS1_11target_archE1201ELNS1_3gpuE5ELNS1_3repE0EEENS1_36merge_oddeven_config_static_selectorELNS0_4arch9wavefront6targetE0EEEvSF_.uses_flat_scratch, 0
	.set _ZN7rocprim17ROCPRIM_400000_NS6detail17trampoline_kernelINS0_14default_configENS1_38merge_sort_block_merge_config_selectorIbNS0_10empty_typeEEEZZNS1_27merge_sort_block_merge_implIS3_PbPS5_jNS1_19radix_merge_compareILb1ELb1EbNS0_19identity_decomposerEEEEE10hipError_tT0_T1_T2_jT3_P12ihipStream_tbPNSt15iterator_traitsISE_E10value_typeEPNSK_ISF_E10value_typeEPSG_NS1_7vsmem_tEENKUlT_SE_SF_SG_E_clIS8_S8_S9_S9_EESD_ST_SE_SF_SG_EUlST_E1_NS1_11comp_targetILNS1_3genE10ELNS1_11target_archE1201ELNS1_3gpuE5ELNS1_3repE0EEENS1_36merge_oddeven_config_static_selectorELNS0_4arch9wavefront6targetE0EEEvSF_.has_dyn_sized_stack, 0
	.set _ZN7rocprim17ROCPRIM_400000_NS6detail17trampoline_kernelINS0_14default_configENS1_38merge_sort_block_merge_config_selectorIbNS0_10empty_typeEEEZZNS1_27merge_sort_block_merge_implIS3_PbPS5_jNS1_19radix_merge_compareILb1ELb1EbNS0_19identity_decomposerEEEEE10hipError_tT0_T1_T2_jT3_P12ihipStream_tbPNSt15iterator_traitsISE_E10value_typeEPNSK_ISF_E10value_typeEPSG_NS1_7vsmem_tEENKUlT_SE_SF_SG_E_clIS8_S8_S9_S9_EESD_ST_SE_SF_SG_EUlST_E1_NS1_11comp_targetILNS1_3genE10ELNS1_11target_archE1201ELNS1_3gpuE5ELNS1_3repE0EEENS1_36merge_oddeven_config_static_selectorELNS0_4arch9wavefront6targetE0EEEvSF_.has_recursion, 0
	.set _ZN7rocprim17ROCPRIM_400000_NS6detail17trampoline_kernelINS0_14default_configENS1_38merge_sort_block_merge_config_selectorIbNS0_10empty_typeEEEZZNS1_27merge_sort_block_merge_implIS3_PbPS5_jNS1_19radix_merge_compareILb1ELb1EbNS0_19identity_decomposerEEEEE10hipError_tT0_T1_T2_jT3_P12ihipStream_tbPNSt15iterator_traitsISE_E10value_typeEPNSK_ISF_E10value_typeEPSG_NS1_7vsmem_tEENKUlT_SE_SF_SG_E_clIS8_S8_S9_S9_EESD_ST_SE_SF_SG_EUlST_E1_NS1_11comp_targetILNS1_3genE10ELNS1_11target_archE1201ELNS1_3gpuE5ELNS1_3repE0EEENS1_36merge_oddeven_config_static_selectorELNS0_4arch9wavefront6targetE0EEEvSF_.has_indirect_call, 0
	.section	.AMDGPU.csdata,"",@progbits
; Kernel info:
; codeLenInByte = 0
; TotalNumSgprs: 0
; NumVgprs: 0
; ScratchSize: 0
; MemoryBound: 0
; FloatMode: 240
; IeeeMode: 1
; LDSByteSize: 0 bytes/workgroup (compile time only)
; SGPRBlocks: 0
; VGPRBlocks: 0
; NumSGPRsForWavesPerEU: 1
; NumVGPRsForWavesPerEU: 1
; NamedBarCnt: 0
; Occupancy: 16
; WaveLimiterHint : 0
; COMPUTE_PGM_RSRC2:SCRATCH_EN: 0
; COMPUTE_PGM_RSRC2:USER_SGPR: 2
; COMPUTE_PGM_RSRC2:TRAP_HANDLER: 0
; COMPUTE_PGM_RSRC2:TGID_X_EN: 1
; COMPUTE_PGM_RSRC2:TGID_Y_EN: 0
; COMPUTE_PGM_RSRC2:TGID_Z_EN: 0
; COMPUTE_PGM_RSRC2:TIDIG_COMP_CNT: 0
	.section	.text._ZN7rocprim17ROCPRIM_400000_NS6detail17trampoline_kernelINS0_14default_configENS1_38merge_sort_block_merge_config_selectorIbNS0_10empty_typeEEEZZNS1_27merge_sort_block_merge_implIS3_PbPS5_jNS1_19radix_merge_compareILb1ELb1EbNS0_19identity_decomposerEEEEE10hipError_tT0_T1_T2_jT3_P12ihipStream_tbPNSt15iterator_traitsISE_E10value_typeEPNSK_ISF_E10value_typeEPSG_NS1_7vsmem_tEENKUlT_SE_SF_SG_E_clIS8_S8_S9_S9_EESD_ST_SE_SF_SG_EUlST_E1_NS1_11comp_targetILNS1_3genE5ELNS1_11target_archE942ELNS1_3gpuE9ELNS1_3repE0EEENS1_36merge_oddeven_config_static_selectorELNS0_4arch9wavefront6targetE0EEEvSF_,"axG",@progbits,_ZN7rocprim17ROCPRIM_400000_NS6detail17trampoline_kernelINS0_14default_configENS1_38merge_sort_block_merge_config_selectorIbNS0_10empty_typeEEEZZNS1_27merge_sort_block_merge_implIS3_PbPS5_jNS1_19radix_merge_compareILb1ELb1EbNS0_19identity_decomposerEEEEE10hipError_tT0_T1_T2_jT3_P12ihipStream_tbPNSt15iterator_traitsISE_E10value_typeEPNSK_ISF_E10value_typeEPSG_NS1_7vsmem_tEENKUlT_SE_SF_SG_E_clIS8_S8_S9_S9_EESD_ST_SE_SF_SG_EUlST_E1_NS1_11comp_targetILNS1_3genE5ELNS1_11target_archE942ELNS1_3gpuE9ELNS1_3repE0EEENS1_36merge_oddeven_config_static_selectorELNS0_4arch9wavefront6targetE0EEEvSF_,comdat
	.protected	_ZN7rocprim17ROCPRIM_400000_NS6detail17trampoline_kernelINS0_14default_configENS1_38merge_sort_block_merge_config_selectorIbNS0_10empty_typeEEEZZNS1_27merge_sort_block_merge_implIS3_PbPS5_jNS1_19radix_merge_compareILb1ELb1EbNS0_19identity_decomposerEEEEE10hipError_tT0_T1_T2_jT3_P12ihipStream_tbPNSt15iterator_traitsISE_E10value_typeEPNSK_ISF_E10value_typeEPSG_NS1_7vsmem_tEENKUlT_SE_SF_SG_E_clIS8_S8_S9_S9_EESD_ST_SE_SF_SG_EUlST_E1_NS1_11comp_targetILNS1_3genE5ELNS1_11target_archE942ELNS1_3gpuE9ELNS1_3repE0EEENS1_36merge_oddeven_config_static_selectorELNS0_4arch9wavefront6targetE0EEEvSF_ ; -- Begin function _ZN7rocprim17ROCPRIM_400000_NS6detail17trampoline_kernelINS0_14default_configENS1_38merge_sort_block_merge_config_selectorIbNS0_10empty_typeEEEZZNS1_27merge_sort_block_merge_implIS3_PbPS5_jNS1_19radix_merge_compareILb1ELb1EbNS0_19identity_decomposerEEEEE10hipError_tT0_T1_T2_jT3_P12ihipStream_tbPNSt15iterator_traitsISE_E10value_typeEPNSK_ISF_E10value_typeEPSG_NS1_7vsmem_tEENKUlT_SE_SF_SG_E_clIS8_S8_S9_S9_EESD_ST_SE_SF_SG_EUlST_E1_NS1_11comp_targetILNS1_3genE5ELNS1_11target_archE942ELNS1_3gpuE9ELNS1_3repE0EEENS1_36merge_oddeven_config_static_selectorELNS0_4arch9wavefront6targetE0EEEvSF_
	.globl	_ZN7rocprim17ROCPRIM_400000_NS6detail17trampoline_kernelINS0_14default_configENS1_38merge_sort_block_merge_config_selectorIbNS0_10empty_typeEEEZZNS1_27merge_sort_block_merge_implIS3_PbPS5_jNS1_19radix_merge_compareILb1ELb1EbNS0_19identity_decomposerEEEEE10hipError_tT0_T1_T2_jT3_P12ihipStream_tbPNSt15iterator_traitsISE_E10value_typeEPNSK_ISF_E10value_typeEPSG_NS1_7vsmem_tEENKUlT_SE_SF_SG_E_clIS8_S8_S9_S9_EESD_ST_SE_SF_SG_EUlST_E1_NS1_11comp_targetILNS1_3genE5ELNS1_11target_archE942ELNS1_3gpuE9ELNS1_3repE0EEENS1_36merge_oddeven_config_static_selectorELNS0_4arch9wavefront6targetE0EEEvSF_
	.p2align	8
	.type	_ZN7rocprim17ROCPRIM_400000_NS6detail17trampoline_kernelINS0_14default_configENS1_38merge_sort_block_merge_config_selectorIbNS0_10empty_typeEEEZZNS1_27merge_sort_block_merge_implIS3_PbPS5_jNS1_19radix_merge_compareILb1ELb1EbNS0_19identity_decomposerEEEEE10hipError_tT0_T1_T2_jT3_P12ihipStream_tbPNSt15iterator_traitsISE_E10value_typeEPNSK_ISF_E10value_typeEPSG_NS1_7vsmem_tEENKUlT_SE_SF_SG_E_clIS8_S8_S9_S9_EESD_ST_SE_SF_SG_EUlST_E1_NS1_11comp_targetILNS1_3genE5ELNS1_11target_archE942ELNS1_3gpuE9ELNS1_3repE0EEENS1_36merge_oddeven_config_static_selectorELNS0_4arch9wavefront6targetE0EEEvSF_,@function
_ZN7rocprim17ROCPRIM_400000_NS6detail17trampoline_kernelINS0_14default_configENS1_38merge_sort_block_merge_config_selectorIbNS0_10empty_typeEEEZZNS1_27merge_sort_block_merge_implIS3_PbPS5_jNS1_19radix_merge_compareILb1ELb1EbNS0_19identity_decomposerEEEEE10hipError_tT0_T1_T2_jT3_P12ihipStream_tbPNSt15iterator_traitsISE_E10value_typeEPNSK_ISF_E10value_typeEPSG_NS1_7vsmem_tEENKUlT_SE_SF_SG_E_clIS8_S8_S9_S9_EESD_ST_SE_SF_SG_EUlST_E1_NS1_11comp_targetILNS1_3genE5ELNS1_11target_archE942ELNS1_3gpuE9ELNS1_3repE0EEENS1_36merge_oddeven_config_static_selectorELNS0_4arch9wavefront6targetE0EEEvSF_: ; @_ZN7rocprim17ROCPRIM_400000_NS6detail17trampoline_kernelINS0_14default_configENS1_38merge_sort_block_merge_config_selectorIbNS0_10empty_typeEEEZZNS1_27merge_sort_block_merge_implIS3_PbPS5_jNS1_19radix_merge_compareILb1ELb1EbNS0_19identity_decomposerEEEEE10hipError_tT0_T1_T2_jT3_P12ihipStream_tbPNSt15iterator_traitsISE_E10value_typeEPNSK_ISF_E10value_typeEPSG_NS1_7vsmem_tEENKUlT_SE_SF_SG_E_clIS8_S8_S9_S9_EESD_ST_SE_SF_SG_EUlST_E1_NS1_11comp_targetILNS1_3genE5ELNS1_11target_archE942ELNS1_3gpuE9ELNS1_3repE0EEENS1_36merge_oddeven_config_static_selectorELNS0_4arch9wavefront6targetE0EEEvSF_
; %bb.0:
	.section	.rodata,"a",@progbits
	.p2align	6, 0x0
	.amdhsa_kernel _ZN7rocprim17ROCPRIM_400000_NS6detail17trampoline_kernelINS0_14default_configENS1_38merge_sort_block_merge_config_selectorIbNS0_10empty_typeEEEZZNS1_27merge_sort_block_merge_implIS3_PbPS5_jNS1_19radix_merge_compareILb1ELb1EbNS0_19identity_decomposerEEEEE10hipError_tT0_T1_T2_jT3_P12ihipStream_tbPNSt15iterator_traitsISE_E10value_typeEPNSK_ISF_E10value_typeEPSG_NS1_7vsmem_tEENKUlT_SE_SF_SG_E_clIS8_S8_S9_S9_EESD_ST_SE_SF_SG_EUlST_E1_NS1_11comp_targetILNS1_3genE5ELNS1_11target_archE942ELNS1_3gpuE9ELNS1_3repE0EEENS1_36merge_oddeven_config_static_selectorELNS0_4arch9wavefront6targetE0EEEvSF_
		.amdhsa_group_segment_fixed_size 0
		.amdhsa_private_segment_fixed_size 0
		.amdhsa_kernarg_size 48
		.amdhsa_user_sgpr_count 2
		.amdhsa_user_sgpr_dispatch_ptr 0
		.amdhsa_user_sgpr_queue_ptr 0
		.amdhsa_user_sgpr_kernarg_segment_ptr 1
		.amdhsa_user_sgpr_dispatch_id 0
		.amdhsa_user_sgpr_kernarg_preload_length 0
		.amdhsa_user_sgpr_kernarg_preload_offset 0
		.amdhsa_user_sgpr_private_segment_size 0
		.amdhsa_wavefront_size32 1
		.amdhsa_uses_dynamic_stack 0
		.amdhsa_enable_private_segment 0
		.amdhsa_system_sgpr_workgroup_id_x 1
		.amdhsa_system_sgpr_workgroup_id_y 0
		.amdhsa_system_sgpr_workgroup_id_z 0
		.amdhsa_system_sgpr_workgroup_info 0
		.amdhsa_system_vgpr_workitem_id 0
		.amdhsa_next_free_vgpr 1
		.amdhsa_next_free_sgpr 1
		.amdhsa_named_barrier_count 0
		.amdhsa_reserve_vcc 0
		.amdhsa_float_round_mode_32 0
		.amdhsa_float_round_mode_16_64 0
		.amdhsa_float_denorm_mode_32 3
		.amdhsa_float_denorm_mode_16_64 3
		.amdhsa_fp16_overflow 0
		.amdhsa_memory_ordered 1
		.amdhsa_forward_progress 1
		.amdhsa_inst_pref_size 0
		.amdhsa_round_robin_scheduling 0
		.amdhsa_exception_fp_ieee_invalid_op 0
		.amdhsa_exception_fp_denorm_src 0
		.amdhsa_exception_fp_ieee_div_zero 0
		.amdhsa_exception_fp_ieee_overflow 0
		.amdhsa_exception_fp_ieee_underflow 0
		.amdhsa_exception_fp_ieee_inexact 0
		.amdhsa_exception_int_div_zero 0
	.end_amdhsa_kernel
	.section	.text._ZN7rocprim17ROCPRIM_400000_NS6detail17trampoline_kernelINS0_14default_configENS1_38merge_sort_block_merge_config_selectorIbNS0_10empty_typeEEEZZNS1_27merge_sort_block_merge_implIS3_PbPS5_jNS1_19radix_merge_compareILb1ELb1EbNS0_19identity_decomposerEEEEE10hipError_tT0_T1_T2_jT3_P12ihipStream_tbPNSt15iterator_traitsISE_E10value_typeEPNSK_ISF_E10value_typeEPSG_NS1_7vsmem_tEENKUlT_SE_SF_SG_E_clIS8_S8_S9_S9_EESD_ST_SE_SF_SG_EUlST_E1_NS1_11comp_targetILNS1_3genE5ELNS1_11target_archE942ELNS1_3gpuE9ELNS1_3repE0EEENS1_36merge_oddeven_config_static_selectorELNS0_4arch9wavefront6targetE0EEEvSF_,"axG",@progbits,_ZN7rocprim17ROCPRIM_400000_NS6detail17trampoline_kernelINS0_14default_configENS1_38merge_sort_block_merge_config_selectorIbNS0_10empty_typeEEEZZNS1_27merge_sort_block_merge_implIS3_PbPS5_jNS1_19radix_merge_compareILb1ELb1EbNS0_19identity_decomposerEEEEE10hipError_tT0_T1_T2_jT3_P12ihipStream_tbPNSt15iterator_traitsISE_E10value_typeEPNSK_ISF_E10value_typeEPSG_NS1_7vsmem_tEENKUlT_SE_SF_SG_E_clIS8_S8_S9_S9_EESD_ST_SE_SF_SG_EUlST_E1_NS1_11comp_targetILNS1_3genE5ELNS1_11target_archE942ELNS1_3gpuE9ELNS1_3repE0EEENS1_36merge_oddeven_config_static_selectorELNS0_4arch9wavefront6targetE0EEEvSF_,comdat
.Lfunc_end1709:
	.size	_ZN7rocprim17ROCPRIM_400000_NS6detail17trampoline_kernelINS0_14default_configENS1_38merge_sort_block_merge_config_selectorIbNS0_10empty_typeEEEZZNS1_27merge_sort_block_merge_implIS3_PbPS5_jNS1_19radix_merge_compareILb1ELb1EbNS0_19identity_decomposerEEEEE10hipError_tT0_T1_T2_jT3_P12ihipStream_tbPNSt15iterator_traitsISE_E10value_typeEPNSK_ISF_E10value_typeEPSG_NS1_7vsmem_tEENKUlT_SE_SF_SG_E_clIS8_S8_S9_S9_EESD_ST_SE_SF_SG_EUlST_E1_NS1_11comp_targetILNS1_3genE5ELNS1_11target_archE942ELNS1_3gpuE9ELNS1_3repE0EEENS1_36merge_oddeven_config_static_selectorELNS0_4arch9wavefront6targetE0EEEvSF_, .Lfunc_end1709-_ZN7rocprim17ROCPRIM_400000_NS6detail17trampoline_kernelINS0_14default_configENS1_38merge_sort_block_merge_config_selectorIbNS0_10empty_typeEEEZZNS1_27merge_sort_block_merge_implIS3_PbPS5_jNS1_19radix_merge_compareILb1ELb1EbNS0_19identity_decomposerEEEEE10hipError_tT0_T1_T2_jT3_P12ihipStream_tbPNSt15iterator_traitsISE_E10value_typeEPNSK_ISF_E10value_typeEPSG_NS1_7vsmem_tEENKUlT_SE_SF_SG_E_clIS8_S8_S9_S9_EESD_ST_SE_SF_SG_EUlST_E1_NS1_11comp_targetILNS1_3genE5ELNS1_11target_archE942ELNS1_3gpuE9ELNS1_3repE0EEENS1_36merge_oddeven_config_static_selectorELNS0_4arch9wavefront6targetE0EEEvSF_
                                        ; -- End function
	.set _ZN7rocprim17ROCPRIM_400000_NS6detail17trampoline_kernelINS0_14default_configENS1_38merge_sort_block_merge_config_selectorIbNS0_10empty_typeEEEZZNS1_27merge_sort_block_merge_implIS3_PbPS5_jNS1_19radix_merge_compareILb1ELb1EbNS0_19identity_decomposerEEEEE10hipError_tT0_T1_T2_jT3_P12ihipStream_tbPNSt15iterator_traitsISE_E10value_typeEPNSK_ISF_E10value_typeEPSG_NS1_7vsmem_tEENKUlT_SE_SF_SG_E_clIS8_S8_S9_S9_EESD_ST_SE_SF_SG_EUlST_E1_NS1_11comp_targetILNS1_3genE5ELNS1_11target_archE942ELNS1_3gpuE9ELNS1_3repE0EEENS1_36merge_oddeven_config_static_selectorELNS0_4arch9wavefront6targetE0EEEvSF_.num_vgpr, 0
	.set _ZN7rocprim17ROCPRIM_400000_NS6detail17trampoline_kernelINS0_14default_configENS1_38merge_sort_block_merge_config_selectorIbNS0_10empty_typeEEEZZNS1_27merge_sort_block_merge_implIS3_PbPS5_jNS1_19radix_merge_compareILb1ELb1EbNS0_19identity_decomposerEEEEE10hipError_tT0_T1_T2_jT3_P12ihipStream_tbPNSt15iterator_traitsISE_E10value_typeEPNSK_ISF_E10value_typeEPSG_NS1_7vsmem_tEENKUlT_SE_SF_SG_E_clIS8_S8_S9_S9_EESD_ST_SE_SF_SG_EUlST_E1_NS1_11comp_targetILNS1_3genE5ELNS1_11target_archE942ELNS1_3gpuE9ELNS1_3repE0EEENS1_36merge_oddeven_config_static_selectorELNS0_4arch9wavefront6targetE0EEEvSF_.num_agpr, 0
	.set _ZN7rocprim17ROCPRIM_400000_NS6detail17trampoline_kernelINS0_14default_configENS1_38merge_sort_block_merge_config_selectorIbNS0_10empty_typeEEEZZNS1_27merge_sort_block_merge_implIS3_PbPS5_jNS1_19radix_merge_compareILb1ELb1EbNS0_19identity_decomposerEEEEE10hipError_tT0_T1_T2_jT3_P12ihipStream_tbPNSt15iterator_traitsISE_E10value_typeEPNSK_ISF_E10value_typeEPSG_NS1_7vsmem_tEENKUlT_SE_SF_SG_E_clIS8_S8_S9_S9_EESD_ST_SE_SF_SG_EUlST_E1_NS1_11comp_targetILNS1_3genE5ELNS1_11target_archE942ELNS1_3gpuE9ELNS1_3repE0EEENS1_36merge_oddeven_config_static_selectorELNS0_4arch9wavefront6targetE0EEEvSF_.numbered_sgpr, 0
	.set _ZN7rocprim17ROCPRIM_400000_NS6detail17trampoline_kernelINS0_14default_configENS1_38merge_sort_block_merge_config_selectorIbNS0_10empty_typeEEEZZNS1_27merge_sort_block_merge_implIS3_PbPS5_jNS1_19radix_merge_compareILb1ELb1EbNS0_19identity_decomposerEEEEE10hipError_tT0_T1_T2_jT3_P12ihipStream_tbPNSt15iterator_traitsISE_E10value_typeEPNSK_ISF_E10value_typeEPSG_NS1_7vsmem_tEENKUlT_SE_SF_SG_E_clIS8_S8_S9_S9_EESD_ST_SE_SF_SG_EUlST_E1_NS1_11comp_targetILNS1_3genE5ELNS1_11target_archE942ELNS1_3gpuE9ELNS1_3repE0EEENS1_36merge_oddeven_config_static_selectorELNS0_4arch9wavefront6targetE0EEEvSF_.num_named_barrier, 0
	.set _ZN7rocprim17ROCPRIM_400000_NS6detail17trampoline_kernelINS0_14default_configENS1_38merge_sort_block_merge_config_selectorIbNS0_10empty_typeEEEZZNS1_27merge_sort_block_merge_implIS3_PbPS5_jNS1_19radix_merge_compareILb1ELb1EbNS0_19identity_decomposerEEEEE10hipError_tT0_T1_T2_jT3_P12ihipStream_tbPNSt15iterator_traitsISE_E10value_typeEPNSK_ISF_E10value_typeEPSG_NS1_7vsmem_tEENKUlT_SE_SF_SG_E_clIS8_S8_S9_S9_EESD_ST_SE_SF_SG_EUlST_E1_NS1_11comp_targetILNS1_3genE5ELNS1_11target_archE942ELNS1_3gpuE9ELNS1_3repE0EEENS1_36merge_oddeven_config_static_selectorELNS0_4arch9wavefront6targetE0EEEvSF_.private_seg_size, 0
	.set _ZN7rocprim17ROCPRIM_400000_NS6detail17trampoline_kernelINS0_14default_configENS1_38merge_sort_block_merge_config_selectorIbNS0_10empty_typeEEEZZNS1_27merge_sort_block_merge_implIS3_PbPS5_jNS1_19radix_merge_compareILb1ELb1EbNS0_19identity_decomposerEEEEE10hipError_tT0_T1_T2_jT3_P12ihipStream_tbPNSt15iterator_traitsISE_E10value_typeEPNSK_ISF_E10value_typeEPSG_NS1_7vsmem_tEENKUlT_SE_SF_SG_E_clIS8_S8_S9_S9_EESD_ST_SE_SF_SG_EUlST_E1_NS1_11comp_targetILNS1_3genE5ELNS1_11target_archE942ELNS1_3gpuE9ELNS1_3repE0EEENS1_36merge_oddeven_config_static_selectorELNS0_4arch9wavefront6targetE0EEEvSF_.uses_vcc, 0
	.set _ZN7rocprim17ROCPRIM_400000_NS6detail17trampoline_kernelINS0_14default_configENS1_38merge_sort_block_merge_config_selectorIbNS0_10empty_typeEEEZZNS1_27merge_sort_block_merge_implIS3_PbPS5_jNS1_19radix_merge_compareILb1ELb1EbNS0_19identity_decomposerEEEEE10hipError_tT0_T1_T2_jT3_P12ihipStream_tbPNSt15iterator_traitsISE_E10value_typeEPNSK_ISF_E10value_typeEPSG_NS1_7vsmem_tEENKUlT_SE_SF_SG_E_clIS8_S8_S9_S9_EESD_ST_SE_SF_SG_EUlST_E1_NS1_11comp_targetILNS1_3genE5ELNS1_11target_archE942ELNS1_3gpuE9ELNS1_3repE0EEENS1_36merge_oddeven_config_static_selectorELNS0_4arch9wavefront6targetE0EEEvSF_.uses_flat_scratch, 0
	.set _ZN7rocprim17ROCPRIM_400000_NS6detail17trampoline_kernelINS0_14default_configENS1_38merge_sort_block_merge_config_selectorIbNS0_10empty_typeEEEZZNS1_27merge_sort_block_merge_implIS3_PbPS5_jNS1_19radix_merge_compareILb1ELb1EbNS0_19identity_decomposerEEEEE10hipError_tT0_T1_T2_jT3_P12ihipStream_tbPNSt15iterator_traitsISE_E10value_typeEPNSK_ISF_E10value_typeEPSG_NS1_7vsmem_tEENKUlT_SE_SF_SG_E_clIS8_S8_S9_S9_EESD_ST_SE_SF_SG_EUlST_E1_NS1_11comp_targetILNS1_3genE5ELNS1_11target_archE942ELNS1_3gpuE9ELNS1_3repE0EEENS1_36merge_oddeven_config_static_selectorELNS0_4arch9wavefront6targetE0EEEvSF_.has_dyn_sized_stack, 0
	.set _ZN7rocprim17ROCPRIM_400000_NS6detail17trampoline_kernelINS0_14default_configENS1_38merge_sort_block_merge_config_selectorIbNS0_10empty_typeEEEZZNS1_27merge_sort_block_merge_implIS3_PbPS5_jNS1_19radix_merge_compareILb1ELb1EbNS0_19identity_decomposerEEEEE10hipError_tT0_T1_T2_jT3_P12ihipStream_tbPNSt15iterator_traitsISE_E10value_typeEPNSK_ISF_E10value_typeEPSG_NS1_7vsmem_tEENKUlT_SE_SF_SG_E_clIS8_S8_S9_S9_EESD_ST_SE_SF_SG_EUlST_E1_NS1_11comp_targetILNS1_3genE5ELNS1_11target_archE942ELNS1_3gpuE9ELNS1_3repE0EEENS1_36merge_oddeven_config_static_selectorELNS0_4arch9wavefront6targetE0EEEvSF_.has_recursion, 0
	.set _ZN7rocprim17ROCPRIM_400000_NS6detail17trampoline_kernelINS0_14default_configENS1_38merge_sort_block_merge_config_selectorIbNS0_10empty_typeEEEZZNS1_27merge_sort_block_merge_implIS3_PbPS5_jNS1_19radix_merge_compareILb1ELb1EbNS0_19identity_decomposerEEEEE10hipError_tT0_T1_T2_jT3_P12ihipStream_tbPNSt15iterator_traitsISE_E10value_typeEPNSK_ISF_E10value_typeEPSG_NS1_7vsmem_tEENKUlT_SE_SF_SG_E_clIS8_S8_S9_S9_EESD_ST_SE_SF_SG_EUlST_E1_NS1_11comp_targetILNS1_3genE5ELNS1_11target_archE942ELNS1_3gpuE9ELNS1_3repE0EEENS1_36merge_oddeven_config_static_selectorELNS0_4arch9wavefront6targetE0EEEvSF_.has_indirect_call, 0
	.section	.AMDGPU.csdata,"",@progbits
; Kernel info:
; codeLenInByte = 0
; TotalNumSgprs: 0
; NumVgprs: 0
; ScratchSize: 0
; MemoryBound: 0
; FloatMode: 240
; IeeeMode: 1
; LDSByteSize: 0 bytes/workgroup (compile time only)
; SGPRBlocks: 0
; VGPRBlocks: 0
; NumSGPRsForWavesPerEU: 1
; NumVGPRsForWavesPerEU: 1
; NamedBarCnt: 0
; Occupancy: 16
; WaveLimiterHint : 0
; COMPUTE_PGM_RSRC2:SCRATCH_EN: 0
; COMPUTE_PGM_RSRC2:USER_SGPR: 2
; COMPUTE_PGM_RSRC2:TRAP_HANDLER: 0
; COMPUTE_PGM_RSRC2:TGID_X_EN: 1
; COMPUTE_PGM_RSRC2:TGID_Y_EN: 0
; COMPUTE_PGM_RSRC2:TGID_Z_EN: 0
; COMPUTE_PGM_RSRC2:TIDIG_COMP_CNT: 0
	.section	.text._ZN7rocprim17ROCPRIM_400000_NS6detail17trampoline_kernelINS0_14default_configENS1_38merge_sort_block_merge_config_selectorIbNS0_10empty_typeEEEZZNS1_27merge_sort_block_merge_implIS3_PbPS5_jNS1_19radix_merge_compareILb1ELb1EbNS0_19identity_decomposerEEEEE10hipError_tT0_T1_T2_jT3_P12ihipStream_tbPNSt15iterator_traitsISE_E10value_typeEPNSK_ISF_E10value_typeEPSG_NS1_7vsmem_tEENKUlT_SE_SF_SG_E_clIS8_S8_S9_S9_EESD_ST_SE_SF_SG_EUlST_E1_NS1_11comp_targetILNS1_3genE4ELNS1_11target_archE910ELNS1_3gpuE8ELNS1_3repE0EEENS1_36merge_oddeven_config_static_selectorELNS0_4arch9wavefront6targetE0EEEvSF_,"axG",@progbits,_ZN7rocprim17ROCPRIM_400000_NS6detail17trampoline_kernelINS0_14default_configENS1_38merge_sort_block_merge_config_selectorIbNS0_10empty_typeEEEZZNS1_27merge_sort_block_merge_implIS3_PbPS5_jNS1_19radix_merge_compareILb1ELb1EbNS0_19identity_decomposerEEEEE10hipError_tT0_T1_T2_jT3_P12ihipStream_tbPNSt15iterator_traitsISE_E10value_typeEPNSK_ISF_E10value_typeEPSG_NS1_7vsmem_tEENKUlT_SE_SF_SG_E_clIS8_S8_S9_S9_EESD_ST_SE_SF_SG_EUlST_E1_NS1_11comp_targetILNS1_3genE4ELNS1_11target_archE910ELNS1_3gpuE8ELNS1_3repE0EEENS1_36merge_oddeven_config_static_selectorELNS0_4arch9wavefront6targetE0EEEvSF_,comdat
	.protected	_ZN7rocprim17ROCPRIM_400000_NS6detail17trampoline_kernelINS0_14default_configENS1_38merge_sort_block_merge_config_selectorIbNS0_10empty_typeEEEZZNS1_27merge_sort_block_merge_implIS3_PbPS5_jNS1_19radix_merge_compareILb1ELb1EbNS0_19identity_decomposerEEEEE10hipError_tT0_T1_T2_jT3_P12ihipStream_tbPNSt15iterator_traitsISE_E10value_typeEPNSK_ISF_E10value_typeEPSG_NS1_7vsmem_tEENKUlT_SE_SF_SG_E_clIS8_S8_S9_S9_EESD_ST_SE_SF_SG_EUlST_E1_NS1_11comp_targetILNS1_3genE4ELNS1_11target_archE910ELNS1_3gpuE8ELNS1_3repE0EEENS1_36merge_oddeven_config_static_selectorELNS0_4arch9wavefront6targetE0EEEvSF_ ; -- Begin function _ZN7rocprim17ROCPRIM_400000_NS6detail17trampoline_kernelINS0_14default_configENS1_38merge_sort_block_merge_config_selectorIbNS0_10empty_typeEEEZZNS1_27merge_sort_block_merge_implIS3_PbPS5_jNS1_19radix_merge_compareILb1ELb1EbNS0_19identity_decomposerEEEEE10hipError_tT0_T1_T2_jT3_P12ihipStream_tbPNSt15iterator_traitsISE_E10value_typeEPNSK_ISF_E10value_typeEPSG_NS1_7vsmem_tEENKUlT_SE_SF_SG_E_clIS8_S8_S9_S9_EESD_ST_SE_SF_SG_EUlST_E1_NS1_11comp_targetILNS1_3genE4ELNS1_11target_archE910ELNS1_3gpuE8ELNS1_3repE0EEENS1_36merge_oddeven_config_static_selectorELNS0_4arch9wavefront6targetE0EEEvSF_
	.globl	_ZN7rocprim17ROCPRIM_400000_NS6detail17trampoline_kernelINS0_14default_configENS1_38merge_sort_block_merge_config_selectorIbNS0_10empty_typeEEEZZNS1_27merge_sort_block_merge_implIS3_PbPS5_jNS1_19radix_merge_compareILb1ELb1EbNS0_19identity_decomposerEEEEE10hipError_tT0_T1_T2_jT3_P12ihipStream_tbPNSt15iterator_traitsISE_E10value_typeEPNSK_ISF_E10value_typeEPSG_NS1_7vsmem_tEENKUlT_SE_SF_SG_E_clIS8_S8_S9_S9_EESD_ST_SE_SF_SG_EUlST_E1_NS1_11comp_targetILNS1_3genE4ELNS1_11target_archE910ELNS1_3gpuE8ELNS1_3repE0EEENS1_36merge_oddeven_config_static_selectorELNS0_4arch9wavefront6targetE0EEEvSF_
	.p2align	8
	.type	_ZN7rocprim17ROCPRIM_400000_NS6detail17trampoline_kernelINS0_14default_configENS1_38merge_sort_block_merge_config_selectorIbNS0_10empty_typeEEEZZNS1_27merge_sort_block_merge_implIS3_PbPS5_jNS1_19radix_merge_compareILb1ELb1EbNS0_19identity_decomposerEEEEE10hipError_tT0_T1_T2_jT3_P12ihipStream_tbPNSt15iterator_traitsISE_E10value_typeEPNSK_ISF_E10value_typeEPSG_NS1_7vsmem_tEENKUlT_SE_SF_SG_E_clIS8_S8_S9_S9_EESD_ST_SE_SF_SG_EUlST_E1_NS1_11comp_targetILNS1_3genE4ELNS1_11target_archE910ELNS1_3gpuE8ELNS1_3repE0EEENS1_36merge_oddeven_config_static_selectorELNS0_4arch9wavefront6targetE0EEEvSF_,@function
_ZN7rocprim17ROCPRIM_400000_NS6detail17trampoline_kernelINS0_14default_configENS1_38merge_sort_block_merge_config_selectorIbNS0_10empty_typeEEEZZNS1_27merge_sort_block_merge_implIS3_PbPS5_jNS1_19radix_merge_compareILb1ELb1EbNS0_19identity_decomposerEEEEE10hipError_tT0_T1_T2_jT3_P12ihipStream_tbPNSt15iterator_traitsISE_E10value_typeEPNSK_ISF_E10value_typeEPSG_NS1_7vsmem_tEENKUlT_SE_SF_SG_E_clIS8_S8_S9_S9_EESD_ST_SE_SF_SG_EUlST_E1_NS1_11comp_targetILNS1_3genE4ELNS1_11target_archE910ELNS1_3gpuE8ELNS1_3repE0EEENS1_36merge_oddeven_config_static_selectorELNS0_4arch9wavefront6targetE0EEEvSF_: ; @_ZN7rocprim17ROCPRIM_400000_NS6detail17trampoline_kernelINS0_14default_configENS1_38merge_sort_block_merge_config_selectorIbNS0_10empty_typeEEEZZNS1_27merge_sort_block_merge_implIS3_PbPS5_jNS1_19radix_merge_compareILb1ELb1EbNS0_19identity_decomposerEEEEE10hipError_tT0_T1_T2_jT3_P12ihipStream_tbPNSt15iterator_traitsISE_E10value_typeEPNSK_ISF_E10value_typeEPSG_NS1_7vsmem_tEENKUlT_SE_SF_SG_E_clIS8_S8_S9_S9_EESD_ST_SE_SF_SG_EUlST_E1_NS1_11comp_targetILNS1_3genE4ELNS1_11target_archE910ELNS1_3gpuE8ELNS1_3repE0EEENS1_36merge_oddeven_config_static_selectorELNS0_4arch9wavefront6targetE0EEEvSF_
; %bb.0:
	.section	.rodata,"a",@progbits
	.p2align	6, 0x0
	.amdhsa_kernel _ZN7rocprim17ROCPRIM_400000_NS6detail17trampoline_kernelINS0_14default_configENS1_38merge_sort_block_merge_config_selectorIbNS0_10empty_typeEEEZZNS1_27merge_sort_block_merge_implIS3_PbPS5_jNS1_19radix_merge_compareILb1ELb1EbNS0_19identity_decomposerEEEEE10hipError_tT0_T1_T2_jT3_P12ihipStream_tbPNSt15iterator_traitsISE_E10value_typeEPNSK_ISF_E10value_typeEPSG_NS1_7vsmem_tEENKUlT_SE_SF_SG_E_clIS8_S8_S9_S9_EESD_ST_SE_SF_SG_EUlST_E1_NS1_11comp_targetILNS1_3genE4ELNS1_11target_archE910ELNS1_3gpuE8ELNS1_3repE0EEENS1_36merge_oddeven_config_static_selectorELNS0_4arch9wavefront6targetE0EEEvSF_
		.amdhsa_group_segment_fixed_size 0
		.amdhsa_private_segment_fixed_size 0
		.amdhsa_kernarg_size 48
		.amdhsa_user_sgpr_count 2
		.amdhsa_user_sgpr_dispatch_ptr 0
		.amdhsa_user_sgpr_queue_ptr 0
		.amdhsa_user_sgpr_kernarg_segment_ptr 1
		.amdhsa_user_sgpr_dispatch_id 0
		.amdhsa_user_sgpr_kernarg_preload_length 0
		.amdhsa_user_sgpr_kernarg_preload_offset 0
		.amdhsa_user_sgpr_private_segment_size 0
		.amdhsa_wavefront_size32 1
		.amdhsa_uses_dynamic_stack 0
		.amdhsa_enable_private_segment 0
		.amdhsa_system_sgpr_workgroup_id_x 1
		.amdhsa_system_sgpr_workgroup_id_y 0
		.amdhsa_system_sgpr_workgroup_id_z 0
		.amdhsa_system_sgpr_workgroup_info 0
		.amdhsa_system_vgpr_workitem_id 0
		.amdhsa_next_free_vgpr 1
		.amdhsa_next_free_sgpr 1
		.amdhsa_named_barrier_count 0
		.amdhsa_reserve_vcc 0
		.amdhsa_float_round_mode_32 0
		.amdhsa_float_round_mode_16_64 0
		.amdhsa_float_denorm_mode_32 3
		.amdhsa_float_denorm_mode_16_64 3
		.amdhsa_fp16_overflow 0
		.amdhsa_memory_ordered 1
		.amdhsa_forward_progress 1
		.amdhsa_inst_pref_size 0
		.amdhsa_round_robin_scheduling 0
		.amdhsa_exception_fp_ieee_invalid_op 0
		.amdhsa_exception_fp_denorm_src 0
		.amdhsa_exception_fp_ieee_div_zero 0
		.amdhsa_exception_fp_ieee_overflow 0
		.amdhsa_exception_fp_ieee_underflow 0
		.amdhsa_exception_fp_ieee_inexact 0
		.amdhsa_exception_int_div_zero 0
	.end_amdhsa_kernel
	.section	.text._ZN7rocprim17ROCPRIM_400000_NS6detail17trampoline_kernelINS0_14default_configENS1_38merge_sort_block_merge_config_selectorIbNS0_10empty_typeEEEZZNS1_27merge_sort_block_merge_implIS3_PbPS5_jNS1_19radix_merge_compareILb1ELb1EbNS0_19identity_decomposerEEEEE10hipError_tT0_T1_T2_jT3_P12ihipStream_tbPNSt15iterator_traitsISE_E10value_typeEPNSK_ISF_E10value_typeEPSG_NS1_7vsmem_tEENKUlT_SE_SF_SG_E_clIS8_S8_S9_S9_EESD_ST_SE_SF_SG_EUlST_E1_NS1_11comp_targetILNS1_3genE4ELNS1_11target_archE910ELNS1_3gpuE8ELNS1_3repE0EEENS1_36merge_oddeven_config_static_selectorELNS0_4arch9wavefront6targetE0EEEvSF_,"axG",@progbits,_ZN7rocprim17ROCPRIM_400000_NS6detail17trampoline_kernelINS0_14default_configENS1_38merge_sort_block_merge_config_selectorIbNS0_10empty_typeEEEZZNS1_27merge_sort_block_merge_implIS3_PbPS5_jNS1_19radix_merge_compareILb1ELb1EbNS0_19identity_decomposerEEEEE10hipError_tT0_T1_T2_jT3_P12ihipStream_tbPNSt15iterator_traitsISE_E10value_typeEPNSK_ISF_E10value_typeEPSG_NS1_7vsmem_tEENKUlT_SE_SF_SG_E_clIS8_S8_S9_S9_EESD_ST_SE_SF_SG_EUlST_E1_NS1_11comp_targetILNS1_3genE4ELNS1_11target_archE910ELNS1_3gpuE8ELNS1_3repE0EEENS1_36merge_oddeven_config_static_selectorELNS0_4arch9wavefront6targetE0EEEvSF_,comdat
.Lfunc_end1710:
	.size	_ZN7rocprim17ROCPRIM_400000_NS6detail17trampoline_kernelINS0_14default_configENS1_38merge_sort_block_merge_config_selectorIbNS0_10empty_typeEEEZZNS1_27merge_sort_block_merge_implIS3_PbPS5_jNS1_19radix_merge_compareILb1ELb1EbNS0_19identity_decomposerEEEEE10hipError_tT0_T1_T2_jT3_P12ihipStream_tbPNSt15iterator_traitsISE_E10value_typeEPNSK_ISF_E10value_typeEPSG_NS1_7vsmem_tEENKUlT_SE_SF_SG_E_clIS8_S8_S9_S9_EESD_ST_SE_SF_SG_EUlST_E1_NS1_11comp_targetILNS1_3genE4ELNS1_11target_archE910ELNS1_3gpuE8ELNS1_3repE0EEENS1_36merge_oddeven_config_static_selectorELNS0_4arch9wavefront6targetE0EEEvSF_, .Lfunc_end1710-_ZN7rocprim17ROCPRIM_400000_NS6detail17trampoline_kernelINS0_14default_configENS1_38merge_sort_block_merge_config_selectorIbNS0_10empty_typeEEEZZNS1_27merge_sort_block_merge_implIS3_PbPS5_jNS1_19radix_merge_compareILb1ELb1EbNS0_19identity_decomposerEEEEE10hipError_tT0_T1_T2_jT3_P12ihipStream_tbPNSt15iterator_traitsISE_E10value_typeEPNSK_ISF_E10value_typeEPSG_NS1_7vsmem_tEENKUlT_SE_SF_SG_E_clIS8_S8_S9_S9_EESD_ST_SE_SF_SG_EUlST_E1_NS1_11comp_targetILNS1_3genE4ELNS1_11target_archE910ELNS1_3gpuE8ELNS1_3repE0EEENS1_36merge_oddeven_config_static_selectorELNS0_4arch9wavefront6targetE0EEEvSF_
                                        ; -- End function
	.set _ZN7rocprim17ROCPRIM_400000_NS6detail17trampoline_kernelINS0_14default_configENS1_38merge_sort_block_merge_config_selectorIbNS0_10empty_typeEEEZZNS1_27merge_sort_block_merge_implIS3_PbPS5_jNS1_19radix_merge_compareILb1ELb1EbNS0_19identity_decomposerEEEEE10hipError_tT0_T1_T2_jT3_P12ihipStream_tbPNSt15iterator_traitsISE_E10value_typeEPNSK_ISF_E10value_typeEPSG_NS1_7vsmem_tEENKUlT_SE_SF_SG_E_clIS8_S8_S9_S9_EESD_ST_SE_SF_SG_EUlST_E1_NS1_11comp_targetILNS1_3genE4ELNS1_11target_archE910ELNS1_3gpuE8ELNS1_3repE0EEENS1_36merge_oddeven_config_static_selectorELNS0_4arch9wavefront6targetE0EEEvSF_.num_vgpr, 0
	.set _ZN7rocprim17ROCPRIM_400000_NS6detail17trampoline_kernelINS0_14default_configENS1_38merge_sort_block_merge_config_selectorIbNS0_10empty_typeEEEZZNS1_27merge_sort_block_merge_implIS3_PbPS5_jNS1_19radix_merge_compareILb1ELb1EbNS0_19identity_decomposerEEEEE10hipError_tT0_T1_T2_jT3_P12ihipStream_tbPNSt15iterator_traitsISE_E10value_typeEPNSK_ISF_E10value_typeEPSG_NS1_7vsmem_tEENKUlT_SE_SF_SG_E_clIS8_S8_S9_S9_EESD_ST_SE_SF_SG_EUlST_E1_NS1_11comp_targetILNS1_3genE4ELNS1_11target_archE910ELNS1_3gpuE8ELNS1_3repE0EEENS1_36merge_oddeven_config_static_selectorELNS0_4arch9wavefront6targetE0EEEvSF_.num_agpr, 0
	.set _ZN7rocprim17ROCPRIM_400000_NS6detail17trampoline_kernelINS0_14default_configENS1_38merge_sort_block_merge_config_selectorIbNS0_10empty_typeEEEZZNS1_27merge_sort_block_merge_implIS3_PbPS5_jNS1_19radix_merge_compareILb1ELb1EbNS0_19identity_decomposerEEEEE10hipError_tT0_T1_T2_jT3_P12ihipStream_tbPNSt15iterator_traitsISE_E10value_typeEPNSK_ISF_E10value_typeEPSG_NS1_7vsmem_tEENKUlT_SE_SF_SG_E_clIS8_S8_S9_S9_EESD_ST_SE_SF_SG_EUlST_E1_NS1_11comp_targetILNS1_3genE4ELNS1_11target_archE910ELNS1_3gpuE8ELNS1_3repE0EEENS1_36merge_oddeven_config_static_selectorELNS0_4arch9wavefront6targetE0EEEvSF_.numbered_sgpr, 0
	.set _ZN7rocprim17ROCPRIM_400000_NS6detail17trampoline_kernelINS0_14default_configENS1_38merge_sort_block_merge_config_selectorIbNS0_10empty_typeEEEZZNS1_27merge_sort_block_merge_implIS3_PbPS5_jNS1_19radix_merge_compareILb1ELb1EbNS0_19identity_decomposerEEEEE10hipError_tT0_T1_T2_jT3_P12ihipStream_tbPNSt15iterator_traitsISE_E10value_typeEPNSK_ISF_E10value_typeEPSG_NS1_7vsmem_tEENKUlT_SE_SF_SG_E_clIS8_S8_S9_S9_EESD_ST_SE_SF_SG_EUlST_E1_NS1_11comp_targetILNS1_3genE4ELNS1_11target_archE910ELNS1_3gpuE8ELNS1_3repE0EEENS1_36merge_oddeven_config_static_selectorELNS0_4arch9wavefront6targetE0EEEvSF_.num_named_barrier, 0
	.set _ZN7rocprim17ROCPRIM_400000_NS6detail17trampoline_kernelINS0_14default_configENS1_38merge_sort_block_merge_config_selectorIbNS0_10empty_typeEEEZZNS1_27merge_sort_block_merge_implIS3_PbPS5_jNS1_19radix_merge_compareILb1ELb1EbNS0_19identity_decomposerEEEEE10hipError_tT0_T1_T2_jT3_P12ihipStream_tbPNSt15iterator_traitsISE_E10value_typeEPNSK_ISF_E10value_typeEPSG_NS1_7vsmem_tEENKUlT_SE_SF_SG_E_clIS8_S8_S9_S9_EESD_ST_SE_SF_SG_EUlST_E1_NS1_11comp_targetILNS1_3genE4ELNS1_11target_archE910ELNS1_3gpuE8ELNS1_3repE0EEENS1_36merge_oddeven_config_static_selectorELNS0_4arch9wavefront6targetE0EEEvSF_.private_seg_size, 0
	.set _ZN7rocprim17ROCPRIM_400000_NS6detail17trampoline_kernelINS0_14default_configENS1_38merge_sort_block_merge_config_selectorIbNS0_10empty_typeEEEZZNS1_27merge_sort_block_merge_implIS3_PbPS5_jNS1_19radix_merge_compareILb1ELb1EbNS0_19identity_decomposerEEEEE10hipError_tT0_T1_T2_jT3_P12ihipStream_tbPNSt15iterator_traitsISE_E10value_typeEPNSK_ISF_E10value_typeEPSG_NS1_7vsmem_tEENKUlT_SE_SF_SG_E_clIS8_S8_S9_S9_EESD_ST_SE_SF_SG_EUlST_E1_NS1_11comp_targetILNS1_3genE4ELNS1_11target_archE910ELNS1_3gpuE8ELNS1_3repE0EEENS1_36merge_oddeven_config_static_selectorELNS0_4arch9wavefront6targetE0EEEvSF_.uses_vcc, 0
	.set _ZN7rocprim17ROCPRIM_400000_NS6detail17trampoline_kernelINS0_14default_configENS1_38merge_sort_block_merge_config_selectorIbNS0_10empty_typeEEEZZNS1_27merge_sort_block_merge_implIS3_PbPS5_jNS1_19radix_merge_compareILb1ELb1EbNS0_19identity_decomposerEEEEE10hipError_tT0_T1_T2_jT3_P12ihipStream_tbPNSt15iterator_traitsISE_E10value_typeEPNSK_ISF_E10value_typeEPSG_NS1_7vsmem_tEENKUlT_SE_SF_SG_E_clIS8_S8_S9_S9_EESD_ST_SE_SF_SG_EUlST_E1_NS1_11comp_targetILNS1_3genE4ELNS1_11target_archE910ELNS1_3gpuE8ELNS1_3repE0EEENS1_36merge_oddeven_config_static_selectorELNS0_4arch9wavefront6targetE0EEEvSF_.uses_flat_scratch, 0
	.set _ZN7rocprim17ROCPRIM_400000_NS6detail17trampoline_kernelINS0_14default_configENS1_38merge_sort_block_merge_config_selectorIbNS0_10empty_typeEEEZZNS1_27merge_sort_block_merge_implIS3_PbPS5_jNS1_19radix_merge_compareILb1ELb1EbNS0_19identity_decomposerEEEEE10hipError_tT0_T1_T2_jT3_P12ihipStream_tbPNSt15iterator_traitsISE_E10value_typeEPNSK_ISF_E10value_typeEPSG_NS1_7vsmem_tEENKUlT_SE_SF_SG_E_clIS8_S8_S9_S9_EESD_ST_SE_SF_SG_EUlST_E1_NS1_11comp_targetILNS1_3genE4ELNS1_11target_archE910ELNS1_3gpuE8ELNS1_3repE0EEENS1_36merge_oddeven_config_static_selectorELNS0_4arch9wavefront6targetE0EEEvSF_.has_dyn_sized_stack, 0
	.set _ZN7rocprim17ROCPRIM_400000_NS6detail17trampoline_kernelINS0_14default_configENS1_38merge_sort_block_merge_config_selectorIbNS0_10empty_typeEEEZZNS1_27merge_sort_block_merge_implIS3_PbPS5_jNS1_19radix_merge_compareILb1ELb1EbNS0_19identity_decomposerEEEEE10hipError_tT0_T1_T2_jT3_P12ihipStream_tbPNSt15iterator_traitsISE_E10value_typeEPNSK_ISF_E10value_typeEPSG_NS1_7vsmem_tEENKUlT_SE_SF_SG_E_clIS8_S8_S9_S9_EESD_ST_SE_SF_SG_EUlST_E1_NS1_11comp_targetILNS1_3genE4ELNS1_11target_archE910ELNS1_3gpuE8ELNS1_3repE0EEENS1_36merge_oddeven_config_static_selectorELNS0_4arch9wavefront6targetE0EEEvSF_.has_recursion, 0
	.set _ZN7rocprim17ROCPRIM_400000_NS6detail17trampoline_kernelINS0_14default_configENS1_38merge_sort_block_merge_config_selectorIbNS0_10empty_typeEEEZZNS1_27merge_sort_block_merge_implIS3_PbPS5_jNS1_19radix_merge_compareILb1ELb1EbNS0_19identity_decomposerEEEEE10hipError_tT0_T1_T2_jT3_P12ihipStream_tbPNSt15iterator_traitsISE_E10value_typeEPNSK_ISF_E10value_typeEPSG_NS1_7vsmem_tEENKUlT_SE_SF_SG_E_clIS8_S8_S9_S9_EESD_ST_SE_SF_SG_EUlST_E1_NS1_11comp_targetILNS1_3genE4ELNS1_11target_archE910ELNS1_3gpuE8ELNS1_3repE0EEENS1_36merge_oddeven_config_static_selectorELNS0_4arch9wavefront6targetE0EEEvSF_.has_indirect_call, 0
	.section	.AMDGPU.csdata,"",@progbits
; Kernel info:
; codeLenInByte = 0
; TotalNumSgprs: 0
; NumVgprs: 0
; ScratchSize: 0
; MemoryBound: 0
; FloatMode: 240
; IeeeMode: 1
; LDSByteSize: 0 bytes/workgroup (compile time only)
; SGPRBlocks: 0
; VGPRBlocks: 0
; NumSGPRsForWavesPerEU: 1
; NumVGPRsForWavesPerEU: 1
; NamedBarCnt: 0
; Occupancy: 16
; WaveLimiterHint : 0
; COMPUTE_PGM_RSRC2:SCRATCH_EN: 0
; COMPUTE_PGM_RSRC2:USER_SGPR: 2
; COMPUTE_PGM_RSRC2:TRAP_HANDLER: 0
; COMPUTE_PGM_RSRC2:TGID_X_EN: 1
; COMPUTE_PGM_RSRC2:TGID_Y_EN: 0
; COMPUTE_PGM_RSRC2:TGID_Z_EN: 0
; COMPUTE_PGM_RSRC2:TIDIG_COMP_CNT: 0
	.section	.text._ZN7rocprim17ROCPRIM_400000_NS6detail17trampoline_kernelINS0_14default_configENS1_38merge_sort_block_merge_config_selectorIbNS0_10empty_typeEEEZZNS1_27merge_sort_block_merge_implIS3_PbPS5_jNS1_19radix_merge_compareILb1ELb1EbNS0_19identity_decomposerEEEEE10hipError_tT0_T1_T2_jT3_P12ihipStream_tbPNSt15iterator_traitsISE_E10value_typeEPNSK_ISF_E10value_typeEPSG_NS1_7vsmem_tEENKUlT_SE_SF_SG_E_clIS8_S8_S9_S9_EESD_ST_SE_SF_SG_EUlST_E1_NS1_11comp_targetILNS1_3genE3ELNS1_11target_archE908ELNS1_3gpuE7ELNS1_3repE0EEENS1_36merge_oddeven_config_static_selectorELNS0_4arch9wavefront6targetE0EEEvSF_,"axG",@progbits,_ZN7rocprim17ROCPRIM_400000_NS6detail17trampoline_kernelINS0_14default_configENS1_38merge_sort_block_merge_config_selectorIbNS0_10empty_typeEEEZZNS1_27merge_sort_block_merge_implIS3_PbPS5_jNS1_19radix_merge_compareILb1ELb1EbNS0_19identity_decomposerEEEEE10hipError_tT0_T1_T2_jT3_P12ihipStream_tbPNSt15iterator_traitsISE_E10value_typeEPNSK_ISF_E10value_typeEPSG_NS1_7vsmem_tEENKUlT_SE_SF_SG_E_clIS8_S8_S9_S9_EESD_ST_SE_SF_SG_EUlST_E1_NS1_11comp_targetILNS1_3genE3ELNS1_11target_archE908ELNS1_3gpuE7ELNS1_3repE0EEENS1_36merge_oddeven_config_static_selectorELNS0_4arch9wavefront6targetE0EEEvSF_,comdat
	.protected	_ZN7rocprim17ROCPRIM_400000_NS6detail17trampoline_kernelINS0_14default_configENS1_38merge_sort_block_merge_config_selectorIbNS0_10empty_typeEEEZZNS1_27merge_sort_block_merge_implIS3_PbPS5_jNS1_19radix_merge_compareILb1ELb1EbNS0_19identity_decomposerEEEEE10hipError_tT0_T1_T2_jT3_P12ihipStream_tbPNSt15iterator_traitsISE_E10value_typeEPNSK_ISF_E10value_typeEPSG_NS1_7vsmem_tEENKUlT_SE_SF_SG_E_clIS8_S8_S9_S9_EESD_ST_SE_SF_SG_EUlST_E1_NS1_11comp_targetILNS1_3genE3ELNS1_11target_archE908ELNS1_3gpuE7ELNS1_3repE0EEENS1_36merge_oddeven_config_static_selectorELNS0_4arch9wavefront6targetE0EEEvSF_ ; -- Begin function _ZN7rocprim17ROCPRIM_400000_NS6detail17trampoline_kernelINS0_14default_configENS1_38merge_sort_block_merge_config_selectorIbNS0_10empty_typeEEEZZNS1_27merge_sort_block_merge_implIS3_PbPS5_jNS1_19radix_merge_compareILb1ELb1EbNS0_19identity_decomposerEEEEE10hipError_tT0_T1_T2_jT3_P12ihipStream_tbPNSt15iterator_traitsISE_E10value_typeEPNSK_ISF_E10value_typeEPSG_NS1_7vsmem_tEENKUlT_SE_SF_SG_E_clIS8_S8_S9_S9_EESD_ST_SE_SF_SG_EUlST_E1_NS1_11comp_targetILNS1_3genE3ELNS1_11target_archE908ELNS1_3gpuE7ELNS1_3repE0EEENS1_36merge_oddeven_config_static_selectorELNS0_4arch9wavefront6targetE0EEEvSF_
	.globl	_ZN7rocprim17ROCPRIM_400000_NS6detail17trampoline_kernelINS0_14default_configENS1_38merge_sort_block_merge_config_selectorIbNS0_10empty_typeEEEZZNS1_27merge_sort_block_merge_implIS3_PbPS5_jNS1_19radix_merge_compareILb1ELb1EbNS0_19identity_decomposerEEEEE10hipError_tT0_T1_T2_jT3_P12ihipStream_tbPNSt15iterator_traitsISE_E10value_typeEPNSK_ISF_E10value_typeEPSG_NS1_7vsmem_tEENKUlT_SE_SF_SG_E_clIS8_S8_S9_S9_EESD_ST_SE_SF_SG_EUlST_E1_NS1_11comp_targetILNS1_3genE3ELNS1_11target_archE908ELNS1_3gpuE7ELNS1_3repE0EEENS1_36merge_oddeven_config_static_selectorELNS0_4arch9wavefront6targetE0EEEvSF_
	.p2align	8
	.type	_ZN7rocprim17ROCPRIM_400000_NS6detail17trampoline_kernelINS0_14default_configENS1_38merge_sort_block_merge_config_selectorIbNS0_10empty_typeEEEZZNS1_27merge_sort_block_merge_implIS3_PbPS5_jNS1_19radix_merge_compareILb1ELb1EbNS0_19identity_decomposerEEEEE10hipError_tT0_T1_T2_jT3_P12ihipStream_tbPNSt15iterator_traitsISE_E10value_typeEPNSK_ISF_E10value_typeEPSG_NS1_7vsmem_tEENKUlT_SE_SF_SG_E_clIS8_S8_S9_S9_EESD_ST_SE_SF_SG_EUlST_E1_NS1_11comp_targetILNS1_3genE3ELNS1_11target_archE908ELNS1_3gpuE7ELNS1_3repE0EEENS1_36merge_oddeven_config_static_selectorELNS0_4arch9wavefront6targetE0EEEvSF_,@function
_ZN7rocprim17ROCPRIM_400000_NS6detail17trampoline_kernelINS0_14default_configENS1_38merge_sort_block_merge_config_selectorIbNS0_10empty_typeEEEZZNS1_27merge_sort_block_merge_implIS3_PbPS5_jNS1_19radix_merge_compareILb1ELb1EbNS0_19identity_decomposerEEEEE10hipError_tT0_T1_T2_jT3_P12ihipStream_tbPNSt15iterator_traitsISE_E10value_typeEPNSK_ISF_E10value_typeEPSG_NS1_7vsmem_tEENKUlT_SE_SF_SG_E_clIS8_S8_S9_S9_EESD_ST_SE_SF_SG_EUlST_E1_NS1_11comp_targetILNS1_3genE3ELNS1_11target_archE908ELNS1_3gpuE7ELNS1_3repE0EEENS1_36merge_oddeven_config_static_selectorELNS0_4arch9wavefront6targetE0EEEvSF_: ; @_ZN7rocprim17ROCPRIM_400000_NS6detail17trampoline_kernelINS0_14default_configENS1_38merge_sort_block_merge_config_selectorIbNS0_10empty_typeEEEZZNS1_27merge_sort_block_merge_implIS3_PbPS5_jNS1_19radix_merge_compareILb1ELb1EbNS0_19identity_decomposerEEEEE10hipError_tT0_T1_T2_jT3_P12ihipStream_tbPNSt15iterator_traitsISE_E10value_typeEPNSK_ISF_E10value_typeEPSG_NS1_7vsmem_tEENKUlT_SE_SF_SG_E_clIS8_S8_S9_S9_EESD_ST_SE_SF_SG_EUlST_E1_NS1_11comp_targetILNS1_3genE3ELNS1_11target_archE908ELNS1_3gpuE7ELNS1_3repE0EEENS1_36merge_oddeven_config_static_selectorELNS0_4arch9wavefront6targetE0EEEvSF_
; %bb.0:
	.section	.rodata,"a",@progbits
	.p2align	6, 0x0
	.amdhsa_kernel _ZN7rocprim17ROCPRIM_400000_NS6detail17trampoline_kernelINS0_14default_configENS1_38merge_sort_block_merge_config_selectorIbNS0_10empty_typeEEEZZNS1_27merge_sort_block_merge_implIS3_PbPS5_jNS1_19radix_merge_compareILb1ELb1EbNS0_19identity_decomposerEEEEE10hipError_tT0_T1_T2_jT3_P12ihipStream_tbPNSt15iterator_traitsISE_E10value_typeEPNSK_ISF_E10value_typeEPSG_NS1_7vsmem_tEENKUlT_SE_SF_SG_E_clIS8_S8_S9_S9_EESD_ST_SE_SF_SG_EUlST_E1_NS1_11comp_targetILNS1_3genE3ELNS1_11target_archE908ELNS1_3gpuE7ELNS1_3repE0EEENS1_36merge_oddeven_config_static_selectorELNS0_4arch9wavefront6targetE0EEEvSF_
		.amdhsa_group_segment_fixed_size 0
		.amdhsa_private_segment_fixed_size 0
		.amdhsa_kernarg_size 48
		.amdhsa_user_sgpr_count 2
		.amdhsa_user_sgpr_dispatch_ptr 0
		.amdhsa_user_sgpr_queue_ptr 0
		.amdhsa_user_sgpr_kernarg_segment_ptr 1
		.amdhsa_user_sgpr_dispatch_id 0
		.amdhsa_user_sgpr_kernarg_preload_length 0
		.amdhsa_user_sgpr_kernarg_preload_offset 0
		.amdhsa_user_sgpr_private_segment_size 0
		.amdhsa_wavefront_size32 1
		.amdhsa_uses_dynamic_stack 0
		.amdhsa_enable_private_segment 0
		.amdhsa_system_sgpr_workgroup_id_x 1
		.amdhsa_system_sgpr_workgroup_id_y 0
		.amdhsa_system_sgpr_workgroup_id_z 0
		.amdhsa_system_sgpr_workgroup_info 0
		.amdhsa_system_vgpr_workitem_id 0
		.amdhsa_next_free_vgpr 1
		.amdhsa_next_free_sgpr 1
		.amdhsa_named_barrier_count 0
		.amdhsa_reserve_vcc 0
		.amdhsa_float_round_mode_32 0
		.amdhsa_float_round_mode_16_64 0
		.amdhsa_float_denorm_mode_32 3
		.amdhsa_float_denorm_mode_16_64 3
		.amdhsa_fp16_overflow 0
		.amdhsa_memory_ordered 1
		.amdhsa_forward_progress 1
		.amdhsa_inst_pref_size 0
		.amdhsa_round_robin_scheduling 0
		.amdhsa_exception_fp_ieee_invalid_op 0
		.amdhsa_exception_fp_denorm_src 0
		.amdhsa_exception_fp_ieee_div_zero 0
		.amdhsa_exception_fp_ieee_overflow 0
		.amdhsa_exception_fp_ieee_underflow 0
		.amdhsa_exception_fp_ieee_inexact 0
		.amdhsa_exception_int_div_zero 0
	.end_amdhsa_kernel
	.section	.text._ZN7rocprim17ROCPRIM_400000_NS6detail17trampoline_kernelINS0_14default_configENS1_38merge_sort_block_merge_config_selectorIbNS0_10empty_typeEEEZZNS1_27merge_sort_block_merge_implIS3_PbPS5_jNS1_19radix_merge_compareILb1ELb1EbNS0_19identity_decomposerEEEEE10hipError_tT0_T1_T2_jT3_P12ihipStream_tbPNSt15iterator_traitsISE_E10value_typeEPNSK_ISF_E10value_typeEPSG_NS1_7vsmem_tEENKUlT_SE_SF_SG_E_clIS8_S8_S9_S9_EESD_ST_SE_SF_SG_EUlST_E1_NS1_11comp_targetILNS1_3genE3ELNS1_11target_archE908ELNS1_3gpuE7ELNS1_3repE0EEENS1_36merge_oddeven_config_static_selectorELNS0_4arch9wavefront6targetE0EEEvSF_,"axG",@progbits,_ZN7rocprim17ROCPRIM_400000_NS6detail17trampoline_kernelINS0_14default_configENS1_38merge_sort_block_merge_config_selectorIbNS0_10empty_typeEEEZZNS1_27merge_sort_block_merge_implIS3_PbPS5_jNS1_19radix_merge_compareILb1ELb1EbNS0_19identity_decomposerEEEEE10hipError_tT0_T1_T2_jT3_P12ihipStream_tbPNSt15iterator_traitsISE_E10value_typeEPNSK_ISF_E10value_typeEPSG_NS1_7vsmem_tEENKUlT_SE_SF_SG_E_clIS8_S8_S9_S9_EESD_ST_SE_SF_SG_EUlST_E1_NS1_11comp_targetILNS1_3genE3ELNS1_11target_archE908ELNS1_3gpuE7ELNS1_3repE0EEENS1_36merge_oddeven_config_static_selectorELNS0_4arch9wavefront6targetE0EEEvSF_,comdat
.Lfunc_end1711:
	.size	_ZN7rocprim17ROCPRIM_400000_NS6detail17trampoline_kernelINS0_14default_configENS1_38merge_sort_block_merge_config_selectorIbNS0_10empty_typeEEEZZNS1_27merge_sort_block_merge_implIS3_PbPS5_jNS1_19radix_merge_compareILb1ELb1EbNS0_19identity_decomposerEEEEE10hipError_tT0_T1_T2_jT3_P12ihipStream_tbPNSt15iterator_traitsISE_E10value_typeEPNSK_ISF_E10value_typeEPSG_NS1_7vsmem_tEENKUlT_SE_SF_SG_E_clIS8_S8_S9_S9_EESD_ST_SE_SF_SG_EUlST_E1_NS1_11comp_targetILNS1_3genE3ELNS1_11target_archE908ELNS1_3gpuE7ELNS1_3repE0EEENS1_36merge_oddeven_config_static_selectorELNS0_4arch9wavefront6targetE0EEEvSF_, .Lfunc_end1711-_ZN7rocprim17ROCPRIM_400000_NS6detail17trampoline_kernelINS0_14default_configENS1_38merge_sort_block_merge_config_selectorIbNS0_10empty_typeEEEZZNS1_27merge_sort_block_merge_implIS3_PbPS5_jNS1_19radix_merge_compareILb1ELb1EbNS0_19identity_decomposerEEEEE10hipError_tT0_T1_T2_jT3_P12ihipStream_tbPNSt15iterator_traitsISE_E10value_typeEPNSK_ISF_E10value_typeEPSG_NS1_7vsmem_tEENKUlT_SE_SF_SG_E_clIS8_S8_S9_S9_EESD_ST_SE_SF_SG_EUlST_E1_NS1_11comp_targetILNS1_3genE3ELNS1_11target_archE908ELNS1_3gpuE7ELNS1_3repE0EEENS1_36merge_oddeven_config_static_selectorELNS0_4arch9wavefront6targetE0EEEvSF_
                                        ; -- End function
	.set _ZN7rocprim17ROCPRIM_400000_NS6detail17trampoline_kernelINS0_14default_configENS1_38merge_sort_block_merge_config_selectorIbNS0_10empty_typeEEEZZNS1_27merge_sort_block_merge_implIS3_PbPS5_jNS1_19radix_merge_compareILb1ELb1EbNS0_19identity_decomposerEEEEE10hipError_tT0_T1_T2_jT3_P12ihipStream_tbPNSt15iterator_traitsISE_E10value_typeEPNSK_ISF_E10value_typeEPSG_NS1_7vsmem_tEENKUlT_SE_SF_SG_E_clIS8_S8_S9_S9_EESD_ST_SE_SF_SG_EUlST_E1_NS1_11comp_targetILNS1_3genE3ELNS1_11target_archE908ELNS1_3gpuE7ELNS1_3repE0EEENS1_36merge_oddeven_config_static_selectorELNS0_4arch9wavefront6targetE0EEEvSF_.num_vgpr, 0
	.set _ZN7rocprim17ROCPRIM_400000_NS6detail17trampoline_kernelINS0_14default_configENS1_38merge_sort_block_merge_config_selectorIbNS0_10empty_typeEEEZZNS1_27merge_sort_block_merge_implIS3_PbPS5_jNS1_19radix_merge_compareILb1ELb1EbNS0_19identity_decomposerEEEEE10hipError_tT0_T1_T2_jT3_P12ihipStream_tbPNSt15iterator_traitsISE_E10value_typeEPNSK_ISF_E10value_typeEPSG_NS1_7vsmem_tEENKUlT_SE_SF_SG_E_clIS8_S8_S9_S9_EESD_ST_SE_SF_SG_EUlST_E1_NS1_11comp_targetILNS1_3genE3ELNS1_11target_archE908ELNS1_3gpuE7ELNS1_3repE0EEENS1_36merge_oddeven_config_static_selectorELNS0_4arch9wavefront6targetE0EEEvSF_.num_agpr, 0
	.set _ZN7rocprim17ROCPRIM_400000_NS6detail17trampoline_kernelINS0_14default_configENS1_38merge_sort_block_merge_config_selectorIbNS0_10empty_typeEEEZZNS1_27merge_sort_block_merge_implIS3_PbPS5_jNS1_19radix_merge_compareILb1ELb1EbNS0_19identity_decomposerEEEEE10hipError_tT0_T1_T2_jT3_P12ihipStream_tbPNSt15iterator_traitsISE_E10value_typeEPNSK_ISF_E10value_typeEPSG_NS1_7vsmem_tEENKUlT_SE_SF_SG_E_clIS8_S8_S9_S9_EESD_ST_SE_SF_SG_EUlST_E1_NS1_11comp_targetILNS1_3genE3ELNS1_11target_archE908ELNS1_3gpuE7ELNS1_3repE0EEENS1_36merge_oddeven_config_static_selectorELNS0_4arch9wavefront6targetE0EEEvSF_.numbered_sgpr, 0
	.set _ZN7rocprim17ROCPRIM_400000_NS6detail17trampoline_kernelINS0_14default_configENS1_38merge_sort_block_merge_config_selectorIbNS0_10empty_typeEEEZZNS1_27merge_sort_block_merge_implIS3_PbPS5_jNS1_19radix_merge_compareILb1ELb1EbNS0_19identity_decomposerEEEEE10hipError_tT0_T1_T2_jT3_P12ihipStream_tbPNSt15iterator_traitsISE_E10value_typeEPNSK_ISF_E10value_typeEPSG_NS1_7vsmem_tEENKUlT_SE_SF_SG_E_clIS8_S8_S9_S9_EESD_ST_SE_SF_SG_EUlST_E1_NS1_11comp_targetILNS1_3genE3ELNS1_11target_archE908ELNS1_3gpuE7ELNS1_3repE0EEENS1_36merge_oddeven_config_static_selectorELNS0_4arch9wavefront6targetE0EEEvSF_.num_named_barrier, 0
	.set _ZN7rocprim17ROCPRIM_400000_NS6detail17trampoline_kernelINS0_14default_configENS1_38merge_sort_block_merge_config_selectorIbNS0_10empty_typeEEEZZNS1_27merge_sort_block_merge_implIS3_PbPS5_jNS1_19radix_merge_compareILb1ELb1EbNS0_19identity_decomposerEEEEE10hipError_tT0_T1_T2_jT3_P12ihipStream_tbPNSt15iterator_traitsISE_E10value_typeEPNSK_ISF_E10value_typeEPSG_NS1_7vsmem_tEENKUlT_SE_SF_SG_E_clIS8_S8_S9_S9_EESD_ST_SE_SF_SG_EUlST_E1_NS1_11comp_targetILNS1_3genE3ELNS1_11target_archE908ELNS1_3gpuE7ELNS1_3repE0EEENS1_36merge_oddeven_config_static_selectorELNS0_4arch9wavefront6targetE0EEEvSF_.private_seg_size, 0
	.set _ZN7rocprim17ROCPRIM_400000_NS6detail17trampoline_kernelINS0_14default_configENS1_38merge_sort_block_merge_config_selectorIbNS0_10empty_typeEEEZZNS1_27merge_sort_block_merge_implIS3_PbPS5_jNS1_19radix_merge_compareILb1ELb1EbNS0_19identity_decomposerEEEEE10hipError_tT0_T1_T2_jT3_P12ihipStream_tbPNSt15iterator_traitsISE_E10value_typeEPNSK_ISF_E10value_typeEPSG_NS1_7vsmem_tEENKUlT_SE_SF_SG_E_clIS8_S8_S9_S9_EESD_ST_SE_SF_SG_EUlST_E1_NS1_11comp_targetILNS1_3genE3ELNS1_11target_archE908ELNS1_3gpuE7ELNS1_3repE0EEENS1_36merge_oddeven_config_static_selectorELNS0_4arch9wavefront6targetE0EEEvSF_.uses_vcc, 0
	.set _ZN7rocprim17ROCPRIM_400000_NS6detail17trampoline_kernelINS0_14default_configENS1_38merge_sort_block_merge_config_selectorIbNS0_10empty_typeEEEZZNS1_27merge_sort_block_merge_implIS3_PbPS5_jNS1_19radix_merge_compareILb1ELb1EbNS0_19identity_decomposerEEEEE10hipError_tT0_T1_T2_jT3_P12ihipStream_tbPNSt15iterator_traitsISE_E10value_typeEPNSK_ISF_E10value_typeEPSG_NS1_7vsmem_tEENKUlT_SE_SF_SG_E_clIS8_S8_S9_S9_EESD_ST_SE_SF_SG_EUlST_E1_NS1_11comp_targetILNS1_3genE3ELNS1_11target_archE908ELNS1_3gpuE7ELNS1_3repE0EEENS1_36merge_oddeven_config_static_selectorELNS0_4arch9wavefront6targetE0EEEvSF_.uses_flat_scratch, 0
	.set _ZN7rocprim17ROCPRIM_400000_NS6detail17trampoline_kernelINS0_14default_configENS1_38merge_sort_block_merge_config_selectorIbNS0_10empty_typeEEEZZNS1_27merge_sort_block_merge_implIS3_PbPS5_jNS1_19radix_merge_compareILb1ELb1EbNS0_19identity_decomposerEEEEE10hipError_tT0_T1_T2_jT3_P12ihipStream_tbPNSt15iterator_traitsISE_E10value_typeEPNSK_ISF_E10value_typeEPSG_NS1_7vsmem_tEENKUlT_SE_SF_SG_E_clIS8_S8_S9_S9_EESD_ST_SE_SF_SG_EUlST_E1_NS1_11comp_targetILNS1_3genE3ELNS1_11target_archE908ELNS1_3gpuE7ELNS1_3repE0EEENS1_36merge_oddeven_config_static_selectorELNS0_4arch9wavefront6targetE0EEEvSF_.has_dyn_sized_stack, 0
	.set _ZN7rocprim17ROCPRIM_400000_NS6detail17trampoline_kernelINS0_14default_configENS1_38merge_sort_block_merge_config_selectorIbNS0_10empty_typeEEEZZNS1_27merge_sort_block_merge_implIS3_PbPS5_jNS1_19radix_merge_compareILb1ELb1EbNS0_19identity_decomposerEEEEE10hipError_tT0_T1_T2_jT3_P12ihipStream_tbPNSt15iterator_traitsISE_E10value_typeEPNSK_ISF_E10value_typeEPSG_NS1_7vsmem_tEENKUlT_SE_SF_SG_E_clIS8_S8_S9_S9_EESD_ST_SE_SF_SG_EUlST_E1_NS1_11comp_targetILNS1_3genE3ELNS1_11target_archE908ELNS1_3gpuE7ELNS1_3repE0EEENS1_36merge_oddeven_config_static_selectorELNS0_4arch9wavefront6targetE0EEEvSF_.has_recursion, 0
	.set _ZN7rocprim17ROCPRIM_400000_NS6detail17trampoline_kernelINS0_14default_configENS1_38merge_sort_block_merge_config_selectorIbNS0_10empty_typeEEEZZNS1_27merge_sort_block_merge_implIS3_PbPS5_jNS1_19radix_merge_compareILb1ELb1EbNS0_19identity_decomposerEEEEE10hipError_tT0_T1_T2_jT3_P12ihipStream_tbPNSt15iterator_traitsISE_E10value_typeEPNSK_ISF_E10value_typeEPSG_NS1_7vsmem_tEENKUlT_SE_SF_SG_E_clIS8_S8_S9_S9_EESD_ST_SE_SF_SG_EUlST_E1_NS1_11comp_targetILNS1_3genE3ELNS1_11target_archE908ELNS1_3gpuE7ELNS1_3repE0EEENS1_36merge_oddeven_config_static_selectorELNS0_4arch9wavefront6targetE0EEEvSF_.has_indirect_call, 0
	.section	.AMDGPU.csdata,"",@progbits
; Kernel info:
; codeLenInByte = 0
; TotalNumSgprs: 0
; NumVgprs: 0
; ScratchSize: 0
; MemoryBound: 0
; FloatMode: 240
; IeeeMode: 1
; LDSByteSize: 0 bytes/workgroup (compile time only)
; SGPRBlocks: 0
; VGPRBlocks: 0
; NumSGPRsForWavesPerEU: 1
; NumVGPRsForWavesPerEU: 1
; NamedBarCnt: 0
; Occupancy: 16
; WaveLimiterHint : 0
; COMPUTE_PGM_RSRC2:SCRATCH_EN: 0
; COMPUTE_PGM_RSRC2:USER_SGPR: 2
; COMPUTE_PGM_RSRC2:TRAP_HANDLER: 0
; COMPUTE_PGM_RSRC2:TGID_X_EN: 1
; COMPUTE_PGM_RSRC2:TGID_Y_EN: 0
; COMPUTE_PGM_RSRC2:TGID_Z_EN: 0
; COMPUTE_PGM_RSRC2:TIDIG_COMP_CNT: 0
	.section	.text._ZN7rocprim17ROCPRIM_400000_NS6detail17trampoline_kernelINS0_14default_configENS1_38merge_sort_block_merge_config_selectorIbNS0_10empty_typeEEEZZNS1_27merge_sort_block_merge_implIS3_PbPS5_jNS1_19radix_merge_compareILb1ELb1EbNS0_19identity_decomposerEEEEE10hipError_tT0_T1_T2_jT3_P12ihipStream_tbPNSt15iterator_traitsISE_E10value_typeEPNSK_ISF_E10value_typeEPSG_NS1_7vsmem_tEENKUlT_SE_SF_SG_E_clIS8_S8_S9_S9_EESD_ST_SE_SF_SG_EUlST_E1_NS1_11comp_targetILNS1_3genE2ELNS1_11target_archE906ELNS1_3gpuE6ELNS1_3repE0EEENS1_36merge_oddeven_config_static_selectorELNS0_4arch9wavefront6targetE0EEEvSF_,"axG",@progbits,_ZN7rocprim17ROCPRIM_400000_NS6detail17trampoline_kernelINS0_14default_configENS1_38merge_sort_block_merge_config_selectorIbNS0_10empty_typeEEEZZNS1_27merge_sort_block_merge_implIS3_PbPS5_jNS1_19radix_merge_compareILb1ELb1EbNS0_19identity_decomposerEEEEE10hipError_tT0_T1_T2_jT3_P12ihipStream_tbPNSt15iterator_traitsISE_E10value_typeEPNSK_ISF_E10value_typeEPSG_NS1_7vsmem_tEENKUlT_SE_SF_SG_E_clIS8_S8_S9_S9_EESD_ST_SE_SF_SG_EUlST_E1_NS1_11comp_targetILNS1_3genE2ELNS1_11target_archE906ELNS1_3gpuE6ELNS1_3repE0EEENS1_36merge_oddeven_config_static_selectorELNS0_4arch9wavefront6targetE0EEEvSF_,comdat
	.protected	_ZN7rocprim17ROCPRIM_400000_NS6detail17trampoline_kernelINS0_14default_configENS1_38merge_sort_block_merge_config_selectorIbNS0_10empty_typeEEEZZNS1_27merge_sort_block_merge_implIS3_PbPS5_jNS1_19radix_merge_compareILb1ELb1EbNS0_19identity_decomposerEEEEE10hipError_tT0_T1_T2_jT3_P12ihipStream_tbPNSt15iterator_traitsISE_E10value_typeEPNSK_ISF_E10value_typeEPSG_NS1_7vsmem_tEENKUlT_SE_SF_SG_E_clIS8_S8_S9_S9_EESD_ST_SE_SF_SG_EUlST_E1_NS1_11comp_targetILNS1_3genE2ELNS1_11target_archE906ELNS1_3gpuE6ELNS1_3repE0EEENS1_36merge_oddeven_config_static_selectorELNS0_4arch9wavefront6targetE0EEEvSF_ ; -- Begin function _ZN7rocprim17ROCPRIM_400000_NS6detail17trampoline_kernelINS0_14default_configENS1_38merge_sort_block_merge_config_selectorIbNS0_10empty_typeEEEZZNS1_27merge_sort_block_merge_implIS3_PbPS5_jNS1_19radix_merge_compareILb1ELb1EbNS0_19identity_decomposerEEEEE10hipError_tT0_T1_T2_jT3_P12ihipStream_tbPNSt15iterator_traitsISE_E10value_typeEPNSK_ISF_E10value_typeEPSG_NS1_7vsmem_tEENKUlT_SE_SF_SG_E_clIS8_S8_S9_S9_EESD_ST_SE_SF_SG_EUlST_E1_NS1_11comp_targetILNS1_3genE2ELNS1_11target_archE906ELNS1_3gpuE6ELNS1_3repE0EEENS1_36merge_oddeven_config_static_selectorELNS0_4arch9wavefront6targetE0EEEvSF_
	.globl	_ZN7rocprim17ROCPRIM_400000_NS6detail17trampoline_kernelINS0_14default_configENS1_38merge_sort_block_merge_config_selectorIbNS0_10empty_typeEEEZZNS1_27merge_sort_block_merge_implIS3_PbPS5_jNS1_19radix_merge_compareILb1ELb1EbNS0_19identity_decomposerEEEEE10hipError_tT0_T1_T2_jT3_P12ihipStream_tbPNSt15iterator_traitsISE_E10value_typeEPNSK_ISF_E10value_typeEPSG_NS1_7vsmem_tEENKUlT_SE_SF_SG_E_clIS8_S8_S9_S9_EESD_ST_SE_SF_SG_EUlST_E1_NS1_11comp_targetILNS1_3genE2ELNS1_11target_archE906ELNS1_3gpuE6ELNS1_3repE0EEENS1_36merge_oddeven_config_static_selectorELNS0_4arch9wavefront6targetE0EEEvSF_
	.p2align	8
	.type	_ZN7rocprim17ROCPRIM_400000_NS6detail17trampoline_kernelINS0_14default_configENS1_38merge_sort_block_merge_config_selectorIbNS0_10empty_typeEEEZZNS1_27merge_sort_block_merge_implIS3_PbPS5_jNS1_19radix_merge_compareILb1ELb1EbNS0_19identity_decomposerEEEEE10hipError_tT0_T1_T2_jT3_P12ihipStream_tbPNSt15iterator_traitsISE_E10value_typeEPNSK_ISF_E10value_typeEPSG_NS1_7vsmem_tEENKUlT_SE_SF_SG_E_clIS8_S8_S9_S9_EESD_ST_SE_SF_SG_EUlST_E1_NS1_11comp_targetILNS1_3genE2ELNS1_11target_archE906ELNS1_3gpuE6ELNS1_3repE0EEENS1_36merge_oddeven_config_static_selectorELNS0_4arch9wavefront6targetE0EEEvSF_,@function
_ZN7rocprim17ROCPRIM_400000_NS6detail17trampoline_kernelINS0_14default_configENS1_38merge_sort_block_merge_config_selectorIbNS0_10empty_typeEEEZZNS1_27merge_sort_block_merge_implIS3_PbPS5_jNS1_19radix_merge_compareILb1ELb1EbNS0_19identity_decomposerEEEEE10hipError_tT0_T1_T2_jT3_P12ihipStream_tbPNSt15iterator_traitsISE_E10value_typeEPNSK_ISF_E10value_typeEPSG_NS1_7vsmem_tEENKUlT_SE_SF_SG_E_clIS8_S8_S9_S9_EESD_ST_SE_SF_SG_EUlST_E1_NS1_11comp_targetILNS1_3genE2ELNS1_11target_archE906ELNS1_3gpuE6ELNS1_3repE0EEENS1_36merge_oddeven_config_static_selectorELNS0_4arch9wavefront6targetE0EEEvSF_: ; @_ZN7rocprim17ROCPRIM_400000_NS6detail17trampoline_kernelINS0_14default_configENS1_38merge_sort_block_merge_config_selectorIbNS0_10empty_typeEEEZZNS1_27merge_sort_block_merge_implIS3_PbPS5_jNS1_19radix_merge_compareILb1ELb1EbNS0_19identity_decomposerEEEEE10hipError_tT0_T1_T2_jT3_P12ihipStream_tbPNSt15iterator_traitsISE_E10value_typeEPNSK_ISF_E10value_typeEPSG_NS1_7vsmem_tEENKUlT_SE_SF_SG_E_clIS8_S8_S9_S9_EESD_ST_SE_SF_SG_EUlST_E1_NS1_11comp_targetILNS1_3genE2ELNS1_11target_archE906ELNS1_3gpuE6ELNS1_3repE0EEENS1_36merge_oddeven_config_static_selectorELNS0_4arch9wavefront6targetE0EEEvSF_
; %bb.0:
	.section	.rodata,"a",@progbits
	.p2align	6, 0x0
	.amdhsa_kernel _ZN7rocprim17ROCPRIM_400000_NS6detail17trampoline_kernelINS0_14default_configENS1_38merge_sort_block_merge_config_selectorIbNS0_10empty_typeEEEZZNS1_27merge_sort_block_merge_implIS3_PbPS5_jNS1_19radix_merge_compareILb1ELb1EbNS0_19identity_decomposerEEEEE10hipError_tT0_T1_T2_jT3_P12ihipStream_tbPNSt15iterator_traitsISE_E10value_typeEPNSK_ISF_E10value_typeEPSG_NS1_7vsmem_tEENKUlT_SE_SF_SG_E_clIS8_S8_S9_S9_EESD_ST_SE_SF_SG_EUlST_E1_NS1_11comp_targetILNS1_3genE2ELNS1_11target_archE906ELNS1_3gpuE6ELNS1_3repE0EEENS1_36merge_oddeven_config_static_selectorELNS0_4arch9wavefront6targetE0EEEvSF_
		.amdhsa_group_segment_fixed_size 0
		.amdhsa_private_segment_fixed_size 0
		.amdhsa_kernarg_size 48
		.amdhsa_user_sgpr_count 2
		.amdhsa_user_sgpr_dispatch_ptr 0
		.amdhsa_user_sgpr_queue_ptr 0
		.amdhsa_user_sgpr_kernarg_segment_ptr 1
		.amdhsa_user_sgpr_dispatch_id 0
		.amdhsa_user_sgpr_kernarg_preload_length 0
		.amdhsa_user_sgpr_kernarg_preload_offset 0
		.amdhsa_user_sgpr_private_segment_size 0
		.amdhsa_wavefront_size32 1
		.amdhsa_uses_dynamic_stack 0
		.amdhsa_enable_private_segment 0
		.amdhsa_system_sgpr_workgroup_id_x 1
		.amdhsa_system_sgpr_workgroup_id_y 0
		.amdhsa_system_sgpr_workgroup_id_z 0
		.amdhsa_system_sgpr_workgroup_info 0
		.amdhsa_system_vgpr_workitem_id 0
		.amdhsa_next_free_vgpr 1
		.amdhsa_next_free_sgpr 1
		.amdhsa_named_barrier_count 0
		.amdhsa_reserve_vcc 0
		.amdhsa_float_round_mode_32 0
		.amdhsa_float_round_mode_16_64 0
		.amdhsa_float_denorm_mode_32 3
		.amdhsa_float_denorm_mode_16_64 3
		.amdhsa_fp16_overflow 0
		.amdhsa_memory_ordered 1
		.amdhsa_forward_progress 1
		.amdhsa_inst_pref_size 0
		.amdhsa_round_robin_scheduling 0
		.amdhsa_exception_fp_ieee_invalid_op 0
		.amdhsa_exception_fp_denorm_src 0
		.amdhsa_exception_fp_ieee_div_zero 0
		.amdhsa_exception_fp_ieee_overflow 0
		.amdhsa_exception_fp_ieee_underflow 0
		.amdhsa_exception_fp_ieee_inexact 0
		.amdhsa_exception_int_div_zero 0
	.end_amdhsa_kernel
	.section	.text._ZN7rocprim17ROCPRIM_400000_NS6detail17trampoline_kernelINS0_14default_configENS1_38merge_sort_block_merge_config_selectorIbNS0_10empty_typeEEEZZNS1_27merge_sort_block_merge_implIS3_PbPS5_jNS1_19radix_merge_compareILb1ELb1EbNS0_19identity_decomposerEEEEE10hipError_tT0_T1_T2_jT3_P12ihipStream_tbPNSt15iterator_traitsISE_E10value_typeEPNSK_ISF_E10value_typeEPSG_NS1_7vsmem_tEENKUlT_SE_SF_SG_E_clIS8_S8_S9_S9_EESD_ST_SE_SF_SG_EUlST_E1_NS1_11comp_targetILNS1_3genE2ELNS1_11target_archE906ELNS1_3gpuE6ELNS1_3repE0EEENS1_36merge_oddeven_config_static_selectorELNS0_4arch9wavefront6targetE0EEEvSF_,"axG",@progbits,_ZN7rocprim17ROCPRIM_400000_NS6detail17trampoline_kernelINS0_14default_configENS1_38merge_sort_block_merge_config_selectorIbNS0_10empty_typeEEEZZNS1_27merge_sort_block_merge_implIS3_PbPS5_jNS1_19radix_merge_compareILb1ELb1EbNS0_19identity_decomposerEEEEE10hipError_tT0_T1_T2_jT3_P12ihipStream_tbPNSt15iterator_traitsISE_E10value_typeEPNSK_ISF_E10value_typeEPSG_NS1_7vsmem_tEENKUlT_SE_SF_SG_E_clIS8_S8_S9_S9_EESD_ST_SE_SF_SG_EUlST_E1_NS1_11comp_targetILNS1_3genE2ELNS1_11target_archE906ELNS1_3gpuE6ELNS1_3repE0EEENS1_36merge_oddeven_config_static_selectorELNS0_4arch9wavefront6targetE0EEEvSF_,comdat
.Lfunc_end1712:
	.size	_ZN7rocprim17ROCPRIM_400000_NS6detail17trampoline_kernelINS0_14default_configENS1_38merge_sort_block_merge_config_selectorIbNS0_10empty_typeEEEZZNS1_27merge_sort_block_merge_implIS3_PbPS5_jNS1_19radix_merge_compareILb1ELb1EbNS0_19identity_decomposerEEEEE10hipError_tT0_T1_T2_jT3_P12ihipStream_tbPNSt15iterator_traitsISE_E10value_typeEPNSK_ISF_E10value_typeEPSG_NS1_7vsmem_tEENKUlT_SE_SF_SG_E_clIS8_S8_S9_S9_EESD_ST_SE_SF_SG_EUlST_E1_NS1_11comp_targetILNS1_3genE2ELNS1_11target_archE906ELNS1_3gpuE6ELNS1_3repE0EEENS1_36merge_oddeven_config_static_selectorELNS0_4arch9wavefront6targetE0EEEvSF_, .Lfunc_end1712-_ZN7rocprim17ROCPRIM_400000_NS6detail17trampoline_kernelINS0_14default_configENS1_38merge_sort_block_merge_config_selectorIbNS0_10empty_typeEEEZZNS1_27merge_sort_block_merge_implIS3_PbPS5_jNS1_19radix_merge_compareILb1ELb1EbNS0_19identity_decomposerEEEEE10hipError_tT0_T1_T2_jT3_P12ihipStream_tbPNSt15iterator_traitsISE_E10value_typeEPNSK_ISF_E10value_typeEPSG_NS1_7vsmem_tEENKUlT_SE_SF_SG_E_clIS8_S8_S9_S9_EESD_ST_SE_SF_SG_EUlST_E1_NS1_11comp_targetILNS1_3genE2ELNS1_11target_archE906ELNS1_3gpuE6ELNS1_3repE0EEENS1_36merge_oddeven_config_static_selectorELNS0_4arch9wavefront6targetE0EEEvSF_
                                        ; -- End function
	.set _ZN7rocprim17ROCPRIM_400000_NS6detail17trampoline_kernelINS0_14default_configENS1_38merge_sort_block_merge_config_selectorIbNS0_10empty_typeEEEZZNS1_27merge_sort_block_merge_implIS3_PbPS5_jNS1_19radix_merge_compareILb1ELb1EbNS0_19identity_decomposerEEEEE10hipError_tT0_T1_T2_jT3_P12ihipStream_tbPNSt15iterator_traitsISE_E10value_typeEPNSK_ISF_E10value_typeEPSG_NS1_7vsmem_tEENKUlT_SE_SF_SG_E_clIS8_S8_S9_S9_EESD_ST_SE_SF_SG_EUlST_E1_NS1_11comp_targetILNS1_3genE2ELNS1_11target_archE906ELNS1_3gpuE6ELNS1_3repE0EEENS1_36merge_oddeven_config_static_selectorELNS0_4arch9wavefront6targetE0EEEvSF_.num_vgpr, 0
	.set _ZN7rocprim17ROCPRIM_400000_NS6detail17trampoline_kernelINS0_14default_configENS1_38merge_sort_block_merge_config_selectorIbNS0_10empty_typeEEEZZNS1_27merge_sort_block_merge_implIS3_PbPS5_jNS1_19radix_merge_compareILb1ELb1EbNS0_19identity_decomposerEEEEE10hipError_tT0_T1_T2_jT3_P12ihipStream_tbPNSt15iterator_traitsISE_E10value_typeEPNSK_ISF_E10value_typeEPSG_NS1_7vsmem_tEENKUlT_SE_SF_SG_E_clIS8_S8_S9_S9_EESD_ST_SE_SF_SG_EUlST_E1_NS1_11comp_targetILNS1_3genE2ELNS1_11target_archE906ELNS1_3gpuE6ELNS1_3repE0EEENS1_36merge_oddeven_config_static_selectorELNS0_4arch9wavefront6targetE0EEEvSF_.num_agpr, 0
	.set _ZN7rocprim17ROCPRIM_400000_NS6detail17trampoline_kernelINS0_14default_configENS1_38merge_sort_block_merge_config_selectorIbNS0_10empty_typeEEEZZNS1_27merge_sort_block_merge_implIS3_PbPS5_jNS1_19radix_merge_compareILb1ELb1EbNS0_19identity_decomposerEEEEE10hipError_tT0_T1_T2_jT3_P12ihipStream_tbPNSt15iterator_traitsISE_E10value_typeEPNSK_ISF_E10value_typeEPSG_NS1_7vsmem_tEENKUlT_SE_SF_SG_E_clIS8_S8_S9_S9_EESD_ST_SE_SF_SG_EUlST_E1_NS1_11comp_targetILNS1_3genE2ELNS1_11target_archE906ELNS1_3gpuE6ELNS1_3repE0EEENS1_36merge_oddeven_config_static_selectorELNS0_4arch9wavefront6targetE0EEEvSF_.numbered_sgpr, 0
	.set _ZN7rocprim17ROCPRIM_400000_NS6detail17trampoline_kernelINS0_14default_configENS1_38merge_sort_block_merge_config_selectorIbNS0_10empty_typeEEEZZNS1_27merge_sort_block_merge_implIS3_PbPS5_jNS1_19radix_merge_compareILb1ELb1EbNS0_19identity_decomposerEEEEE10hipError_tT0_T1_T2_jT3_P12ihipStream_tbPNSt15iterator_traitsISE_E10value_typeEPNSK_ISF_E10value_typeEPSG_NS1_7vsmem_tEENKUlT_SE_SF_SG_E_clIS8_S8_S9_S9_EESD_ST_SE_SF_SG_EUlST_E1_NS1_11comp_targetILNS1_3genE2ELNS1_11target_archE906ELNS1_3gpuE6ELNS1_3repE0EEENS1_36merge_oddeven_config_static_selectorELNS0_4arch9wavefront6targetE0EEEvSF_.num_named_barrier, 0
	.set _ZN7rocprim17ROCPRIM_400000_NS6detail17trampoline_kernelINS0_14default_configENS1_38merge_sort_block_merge_config_selectorIbNS0_10empty_typeEEEZZNS1_27merge_sort_block_merge_implIS3_PbPS5_jNS1_19radix_merge_compareILb1ELb1EbNS0_19identity_decomposerEEEEE10hipError_tT0_T1_T2_jT3_P12ihipStream_tbPNSt15iterator_traitsISE_E10value_typeEPNSK_ISF_E10value_typeEPSG_NS1_7vsmem_tEENKUlT_SE_SF_SG_E_clIS8_S8_S9_S9_EESD_ST_SE_SF_SG_EUlST_E1_NS1_11comp_targetILNS1_3genE2ELNS1_11target_archE906ELNS1_3gpuE6ELNS1_3repE0EEENS1_36merge_oddeven_config_static_selectorELNS0_4arch9wavefront6targetE0EEEvSF_.private_seg_size, 0
	.set _ZN7rocprim17ROCPRIM_400000_NS6detail17trampoline_kernelINS0_14default_configENS1_38merge_sort_block_merge_config_selectorIbNS0_10empty_typeEEEZZNS1_27merge_sort_block_merge_implIS3_PbPS5_jNS1_19radix_merge_compareILb1ELb1EbNS0_19identity_decomposerEEEEE10hipError_tT0_T1_T2_jT3_P12ihipStream_tbPNSt15iterator_traitsISE_E10value_typeEPNSK_ISF_E10value_typeEPSG_NS1_7vsmem_tEENKUlT_SE_SF_SG_E_clIS8_S8_S9_S9_EESD_ST_SE_SF_SG_EUlST_E1_NS1_11comp_targetILNS1_3genE2ELNS1_11target_archE906ELNS1_3gpuE6ELNS1_3repE0EEENS1_36merge_oddeven_config_static_selectorELNS0_4arch9wavefront6targetE0EEEvSF_.uses_vcc, 0
	.set _ZN7rocprim17ROCPRIM_400000_NS6detail17trampoline_kernelINS0_14default_configENS1_38merge_sort_block_merge_config_selectorIbNS0_10empty_typeEEEZZNS1_27merge_sort_block_merge_implIS3_PbPS5_jNS1_19radix_merge_compareILb1ELb1EbNS0_19identity_decomposerEEEEE10hipError_tT0_T1_T2_jT3_P12ihipStream_tbPNSt15iterator_traitsISE_E10value_typeEPNSK_ISF_E10value_typeEPSG_NS1_7vsmem_tEENKUlT_SE_SF_SG_E_clIS8_S8_S9_S9_EESD_ST_SE_SF_SG_EUlST_E1_NS1_11comp_targetILNS1_3genE2ELNS1_11target_archE906ELNS1_3gpuE6ELNS1_3repE0EEENS1_36merge_oddeven_config_static_selectorELNS0_4arch9wavefront6targetE0EEEvSF_.uses_flat_scratch, 0
	.set _ZN7rocprim17ROCPRIM_400000_NS6detail17trampoline_kernelINS0_14default_configENS1_38merge_sort_block_merge_config_selectorIbNS0_10empty_typeEEEZZNS1_27merge_sort_block_merge_implIS3_PbPS5_jNS1_19radix_merge_compareILb1ELb1EbNS0_19identity_decomposerEEEEE10hipError_tT0_T1_T2_jT3_P12ihipStream_tbPNSt15iterator_traitsISE_E10value_typeEPNSK_ISF_E10value_typeEPSG_NS1_7vsmem_tEENKUlT_SE_SF_SG_E_clIS8_S8_S9_S9_EESD_ST_SE_SF_SG_EUlST_E1_NS1_11comp_targetILNS1_3genE2ELNS1_11target_archE906ELNS1_3gpuE6ELNS1_3repE0EEENS1_36merge_oddeven_config_static_selectorELNS0_4arch9wavefront6targetE0EEEvSF_.has_dyn_sized_stack, 0
	.set _ZN7rocprim17ROCPRIM_400000_NS6detail17trampoline_kernelINS0_14default_configENS1_38merge_sort_block_merge_config_selectorIbNS0_10empty_typeEEEZZNS1_27merge_sort_block_merge_implIS3_PbPS5_jNS1_19radix_merge_compareILb1ELb1EbNS0_19identity_decomposerEEEEE10hipError_tT0_T1_T2_jT3_P12ihipStream_tbPNSt15iterator_traitsISE_E10value_typeEPNSK_ISF_E10value_typeEPSG_NS1_7vsmem_tEENKUlT_SE_SF_SG_E_clIS8_S8_S9_S9_EESD_ST_SE_SF_SG_EUlST_E1_NS1_11comp_targetILNS1_3genE2ELNS1_11target_archE906ELNS1_3gpuE6ELNS1_3repE0EEENS1_36merge_oddeven_config_static_selectorELNS0_4arch9wavefront6targetE0EEEvSF_.has_recursion, 0
	.set _ZN7rocprim17ROCPRIM_400000_NS6detail17trampoline_kernelINS0_14default_configENS1_38merge_sort_block_merge_config_selectorIbNS0_10empty_typeEEEZZNS1_27merge_sort_block_merge_implIS3_PbPS5_jNS1_19radix_merge_compareILb1ELb1EbNS0_19identity_decomposerEEEEE10hipError_tT0_T1_T2_jT3_P12ihipStream_tbPNSt15iterator_traitsISE_E10value_typeEPNSK_ISF_E10value_typeEPSG_NS1_7vsmem_tEENKUlT_SE_SF_SG_E_clIS8_S8_S9_S9_EESD_ST_SE_SF_SG_EUlST_E1_NS1_11comp_targetILNS1_3genE2ELNS1_11target_archE906ELNS1_3gpuE6ELNS1_3repE0EEENS1_36merge_oddeven_config_static_selectorELNS0_4arch9wavefront6targetE0EEEvSF_.has_indirect_call, 0
	.section	.AMDGPU.csdata,"",@progbits
; Kernel info:
; codeLenInByte = 0
; TotalNumSgprs: 0
; NumVgprs: 0
; ScratchSize: 0
; MemoryBound: 0
; FloatMode: 240
; IeeeMode: 1
; LDSByteSize: 0 bytes/workgroup (compile time only)
; SGPRBlocks: 0
; VGPRBlocks: 0
; NumSGPRsForWavesPerEU: 1
; NumVGPRsForWavesPerEU: 1
; NamedBarCnt: 0
; Occupancy: 16
; WaveLimiterHint : 0
; COMPUTE_PGM_RSRC2:SCRATCH_EN: 0
; COMPUTE_PGM_RSRC2:USER_SGPR: 2
; COMPUTE_PGM_RSRC2:TRAP_HANDLER: 0
; COMPUTE_PGM_RSRC2:TGID_X_EN: 1
; COMPUTE_PGM_RSRC2:TGID_Y_EN: 0
; COMPUTE_PGM_RSRC2:TGID_Z_EN: 0
; COMPUTE_PGM_RSRC2:TIDIG_COMP_CNT: 0
	.section	.text._ZN7rocprim17ROCPRIM_400000_NS6detail17trampoline_kernelINS0_14default_configENS1_38merge_sort_block_merge_config_selectorIbNS0_10empty_typeEEEZZNS1_27merge_sort_block_merge_implIS3_PbPS5_jNS1_19radix_merge_compareILb1ELb1EbNS0_19identity_decomposerEEEEE10hipError_tT0_T1_T2_jT3_P12ihipStream_tbPNSt15iterator_traitsISE_E10value_typeEPNSK_ISF_E10value_typeEPSG_NS1_7vsmem_tEENKUlT_SE_SF_SG_E_clIS8_S8_S9_S9_EESD_ST_SE_SF_SG_EUlST_E1_NS1_11comp_targetILNS1_3genE9ELNS1_11target_archE1100ELNS1_3gpuE3ELNS1_3repE0EEENS1_36merge_oddeven_config_static_selectorELNS0_4arch9wavefront6targetE0EEEvSF_,"axG",@progbits,_ZN7rocprim17ROCPRIM_400000_NS6detail17trampoline_kernelINS0_14default_configENS1_38merge_sort_block_merge_config_selectorIbNS0_10empty_typeEEEZZNS1_27merge_sort_block_merge_implIS3_PbPS5_jNS1_19radix_merge_compareILb1ELb1EbNS0_19identity_decomposerEEEEE10hipError_tT0_T1_T2_jT3_P12ihipStream_tbPNSt15iterator_traitsISE_E10value_typeEPNSK_ISF_E10value_typeEPSG_NS1_7vsmem_tEENKUlT_SE_SF_SG_E_clIS8_S8_S9_S9_EESD_ST_SE_SF_SG_EUlST_E1_NS1_11comp_targetILNS1_3genE9ELNS1_11target_archE1100ELNS1_3gpuE3ELNS1_3repE0EEENS1_36merge_oddeven_config_static_selectorELNS0_4arch9wavefront6targetE0EEEvSF_,comdat
	.protected	_ZN7rocprim17ROCPRIM_400000_NS6detail17trampoline_kernelINS0_14default_configENS1_38merge_sort_block_merge_config_selectorIbNS0_10empty_typeEEEZZNS1_27merge_sort_block_merge_implIS3_PbPS5_jNS1_19radix_merge_compareILb1ELb1EbNS0_19identity_decomposerEEEEE10hipError_tT0_T1_T2_jT3_P12ihipStream_tbPNSt15iterator_traitsISE_E10value_typeEPNSK_ISF_E10value_typeEPSG_NS1_7vsmem_tEENKUlT_SE_SF_SG_E_clIS8_S8_S9_S9_EESD_ST_SE_SF_SG_EUlST_E1_NS1_11comp_targetILNS1_3genE9ELNS1_11target_archE1100ELNS1_3gpuE3ELNS1_3repE0EEENS1_36merge_oddeven_config_static_selectorELNS0_4arch9wavefront6targetE0EEEvSF_ ; -- Begin function _ZN7rocprim17ROCPRIM_400000_NS6detail17trampoline_kernelINS0_14default_configENS1_38merge_sort_block_merge_config_selectorIbNS0_10empty_typeEEEZZNS1_27merge_sort_block_merge_implIS3_PbPS5_jNS1_19radix_merge_compareILb1ELb1EbNS0_19identity_decomposerEEEEE10hipError_tT0_T1_T2_jT3_P12ihipStream_tbPNSt15iterator_traitsISE_E10value_typeEPNSK_ISF_E10value_typeEPSG_NS1_7vsmem_tEENKUlT_SE_SF_SG_E_clIS8_S8_S9_S9_EESD_ST_SE_SF_SG_EUlST_E1_NS1_11comp_targetILNS1_3genE9ELNS1_11target_archE1100ELNS1_3gpuE3ELNS1_3repE0EEENS1_36merge_oddeven_config_static_selectorELNS0_4arch9wavefront6targetE0EEEvSF_
	.globl	_ZN7rocprim17ROCPRIM_400000_NS6detail17trampoline_kernelINS0_14default_configENS1_38merge_sort_block_merge_config_selectorIbNS0_10empty_typeEEEZZNS1_27merge_sort_block_merge_implIS3_PbPS5_jNS1_19radix_merge_compareILb1ELb1EbNS0_19identity_decomposerEEEEE10hipError_tT0_T1_T2_jT3_P12ihipStream_tbPNSt15iterator_traitsISE_E10value_typeEPNSK_ISF_E10value_typeEPSG_NS1_7vsmem_tEENKUlT_SE_SF_SG_E_clIS8_S8_S9_S9_EESD_ST_SE_SF_SG_EUlST_E1_NS1_11comp_targetILNS1_3genE9ELNS1_11target_archE1100ELNS1_3gpuE3ELNS1_3repE0EEENS1_36merge_oddeven_config_static_selectorELNS0_4arch9wavefront6targetE0EEEvSF_
	.p2align	8
	.type	_ZN7rocprim17ROCPRIM_400000_NS6detail17trampoline_kernelINS0_14default_configENS1_38merge_sort_block_merge_config_selectorIbNS0_10empty_typeEEEZZNS1_27merge_sort_block_merge_implIS3_PbPS5_jNS1_19radix_merge_compareILb1ELb1EbNS0_19identity_decomposerEEEEE10hipError_tT0_T1_T2_jT3_P12ihipStream_tbPNSt15iterator_traitsISE_E10value_typeEPNSK_ISF_E10value_typeEPSG_NS1_7vsmem_tEENKUlT_SE_SF_SG_E_clIS8_S8_S9_S9_EESD_ST_SE_SF_SG_EUlST_E1_NS1_11comp_targetILNS1_3genE9ELNS1_11target_archE1100ELNS1_3gpuE3ELNS1_3repE0EEENS1_36merge_oddeven_config_static_selectorELNS0_4arch9wavefront6targetE0EEEvSF_,@function
_ZN7rocprim17ROCPRIM_400000_NS6detail17trampoline_kernelINS0_14default_configENS1_38merge_sort_block_merge_config_selectorIbNS0_10empty_typeEEEZZNS1_27merge_sort_block_merge_implIS3_PbPS5_jNS1_19radix_merge_compareILb1ELb1EbNS0_19identity_decomposerEEEEE10hipError_tT0_T1_T2_jT3_P12ihipStream_tbPNSt15iterator_traitsISE_E10value_typeEPNSK_ISF_E10value_typeEPSG_NS1_7vsmem_tEENKUlT_SE_SF_SG_E_clIS8_S8_S9_S9_EESD_ST_SE_SF_SG_EUlST_E1_NS1_11comp_targetILNS1_3genE9ELNS1_11target_archE1100ELNS1_3gpuE3ELNS1_3repE0EEENS1_36merge_oddeven_config_static_selectorELNS0_4arch9wavefront6targetE0EEEvSF_: ; @_ZN7rocprim17ROCPRIM_400000_NS6detail17trampoline_kernelINS0_14default_configENS1_38merge_sort_block_merge_config_selectorIbNS0_10empty_typeEEEZZNS1_27merge_sort_block_merge_implIS3_PbPS5_jNS1_19radix_merge_compareILb1ELb1EbNS0_19identity_decomposerEEEEE10hipError_tT0_T1_T2_jT3_P12ihipStream_tbPNSt15iterator_traitsISE_E10value_typeEPNSK_ISF_E10value_typeEPSG_NS1_7vsmem_tEENKUlT_SE_SF_SG_E_clIS8_S8_S9_S9_EESD_ST_SE_SF_SG_EUlST_E1_NS1_11comp_targetILNS1_3genE9ELNS1_11target_archE1100ELNS1_3gpuE3ELNS1_3repE0EEENS1_36merge_oddeven_config_static_selectorELNS0_4arch9wavefront6targetE0EEEvSF_
; %bb.0:
	.section	.rodata,"a",@progbits
	.p2align	6, 0x0
	.amdhsa_kernel _ZN7rocprim17ROCPRIM_400000_NS6detail17trampoline_kernelINS0_14default_configENS1_38merge_sort_block_merge_config_selectorIbNS0_10empty_typeEEEZZNS1_27merge_sort_block_merge_implIS3_PbPS5_jNS1_19radix_merge_compareILb1ELb1EbNS0_19identity_decomposerEEEEE10hipError_tT0_T1_T2_jT3_P12ihipStream_tbPNSt15iterator_traitsISE_E10value_typeEPNSK_ISF_E10value_typeEPSG_NS1_7vsmem_tEENKUlT_SE_SF_SG_E_clIS8_S8_S9_S9_EESD_ST_SE_SF_SG_EUlST_E1_NS1_11comp_targetILNS1_3genE9ELNS1_11target_archE1100ELNS1_3gpuE3ELNS1_3repE0EEENS1_36merge_oddeven_config_static_selectorELNS0_4arch9wavefront6targetE0EEEvSF_
		.amdhsa_group_segment_fixed_size 0
		.amdhsa_private_segment_fixed_size 0
		.amdhsa_kernarg_size 48
		.amdhsa_user_sgpr_count 2
		.amdhsa_user_sgpr_dispatch_ptr 0
		.amdhsa_user_sgpr_queue_ptr 0
		.amdhsa_user_sgpr_kernarg_segment_ptr 1
		.amdhsa_user_sgpr_dispatch_id 0
		.amdhsa_user_sgpr_kernarg_preload_length 0
		.amdhsa_user_sgpr_kernarg_preload_offset 0
		.amdhsa_user_sgpr_private_segment_size 0
		.amdhsa_wavefront_size32 1
		.amdhsa_uses_dynamic_stack 0
		.amdhsa_enable_private_segment 0
		.amdhsa_system_sgpr_workgroup_id_x 1
		.amdhsa_system_sgpr_workgroup_id_y 0
		.amdhsa_system_sgpr_workgroup_id_z 0
		.amdhsa_system_sgpr_workgroup_info 0
		.amdhsa_system_vgpr_workitem_id 0
		.amdhsa_next_free_vgpr 1
		.amdhsa_next_free_sgpr 1
		.amdhsa_named_barrier_count 0
		.amdhsa_reserve_vcc 0
		.amdhsa_float_round_mode_32 0
		.amdhsa_float_round_mode_16_64 0
		.amdhsa_float_denorm_mode_32 3
		.amdhsa_float_denorm_mode_16_64 3
		.amdhsa_fp16_overflow 0
		.amdhsa_memory_ordered 1
		.amdhsa_forward_progress 1
		.amdhsa_inst_pref_size 0
		.amdhsa_round_robin_scheduling 0
		.amdhsa_exception_fp_ieee_invalid_op 0
		.amdhsa_exception_fp_denorm_src 0
		.amdhsa_exception_fp_ieee_div_zero 0
		.amdhsa_exception_fp_ieee_overflow 0
		.amdhsa_exception_fp_ieee_underflow 0
		.amdhsa_exception_fp_ieee_inexact 0
		.amdhsa_exception_int_div_zero 0
	.end_amdhsa_kernel
	.section	.text._ZN7rocprim17ROCPRIM_400000_NS6detail17trampoline_kernelINS0_14default_configENS1_38merge_sort_block_merge_config_selectorIbNS0_10empty_typeEEEZZNS1_27merge_sort_block_merge_implIS3_PbPS5_jNS1_19radix_merge_compareILb1ELb1EbNS0_19identity_decomposerEEEEE10hipError_tT0_T1_T2_jT3_P12ihipStream_tbPNSt15iterator_traitsISE_E10value_typeEPNSK_ISF_E10value_typeEPSG_NS1_7vsmem_tEENKUlT_SE_SF_SG_E_clIS8_S8_S9_S9_EESD_ST_SE_SF_SG_EUlST_E1_NS1_11comp_targetILNS1_3genE9ELNS1_11target_archE1100ELNS1_3gpuE3ELNS1_3repE0EEENS1_36merge_oddeven_config_static_selectorELNS0_4arch9wavefront6targetE0EEEvSF_,"axG",@progbits,_ZN7rocprim17ROCPRIM_400000_NS6detail17trampoline_kernelINS0_14default_configENS1_38merge_sort_block_merge_config_selectorIbNS0_10empty_typeEEEZZNS1_27merge_sort_block_merge_implIS3_PbPS5_jNS1_19radix_merge_compareILb1ELb1EbNS0_19identity_decomposerEEEEE10hipError_tT0_T1_T2_jT3_P12ihipStream_tbPNSt15iterator_traitsISE_E10value_typeEPNSK_ISF_E10value_typeEPSG_NS1_7vsmem_tEENKUlT_SE_SF_SG_E_clIS8_S8_S9_S9_EESD_ST_SE_SF_SG_EUlST_E1_NS1_11comp_targetILNS1_3genE9ELNS1_11target_archE1100ELNS1_3gpuE3ELNS1_3repE0EEENS1_36merge_oddeven_config_static_selectorELNS0_4arch9wavefront6targetE0EEEvSF_,comdat
.Lfunc_end1713:
	.size	_ZN7rocprim17ROCPRIM_400000_NS6detail17trampoline_kernelINS0_14default_configENS1_38merge_sort_block_merge_config_selectorIbNS0_10empty_typeEEEZZNS1_27merge_sort_block_merge_implIS3_PbPS5_jNS1_19radix_merge_compareILb1ELb1EbNS0_19identity_decomposerEEEEE10hipError_tT0_T1_T2_jT3_P12ihipStream_tbPNSt15iterator_traitsISE_E10value_typeEPNSK_ISF_E10value_typeEPSG_NS1_7vsmem_tEENKUlT_SE_SF_SG_E_clIS8_S8_S9_S9_EESD_ST_SE_SF_SG_EUlST_E1_NS1_11comp_targetILNS1_3genE9ELNS1_11target_archE1100ELNS1_3gpuE3ELNS1_3repE0EEENS1_36merge_oddeven_config_static_selectorELNS0_4arch9wavefront6targetE0EEEvSF_, .Lfunc_end1713-_ZN7rocprim17ROCPRIM_400000_NS6detail17trampoline_kernelINS0_14default_configENS1_38merge_sort_block_merge_config_selectorIbNS0_10empty_typeEEEZZNS1_27merge_sort_block_merge_implIS3_PbPS5_jNS1_19radix_merge_compareILb1ELb1EbNS0_19identity_decomposerEEEEE10hipError_tT0_T1_T2_jT3_P12ihipStream_tbPNSt15iterator_traitsISE_E10value_typeEPNSK_ISF_E10value_typeEPSG_NS1_7vsmem_tEENKUlT_SE_SF_SG_E_clIS8_S8_S9_S9_EESD_ST_SE_SF_SG_EUlST_E1_NS1_11comp_targetILNS1_3genE9ELNS1_11target_archE1100ELNS1_3gpuE3ELNS1_3repE0EEENS1_36merge_oddeven_config_static_selectorELNS0_4arch9wavefront6targetE0EEEvSF_
                                        ; -- End function
	.set _ZN7rocprim17ROCPRIM_400000_NS6detail17trampoline_kernelINS0_14default_configENS1_38merge_sort_block_merge_config_selectorIbNS0_10empty_typeEEEZZNS1_27merge_sort_block_merge_implIS3_PbPS5_jNS1_19radix_merge_compareILb1ELb1EbNS0_19identity_decomposerEEEEE10hipError_tT0_T1_T2_jT3_P12ihipStream_tbPNSt15iterator_traitsISE_E10value_typeEPNSK_ISF_E10value_typeEPSG_NS1_7vsmem_tEENKUlT_SE_SF_SG_E_clIS8_S8_S9_S9_EESD_ST_SE_SF_SG_EUlST_E1_NS1_11comp_targetILNS1_3genE9ELNS1_11target_archE1100ELNS1_3gpuE3ELNS1_3repE0EEENS1_36merge_oddeven_config_static_selectorELNS0_4arch9wavefront6targetE0EEEvSF_.num_vgpr, 0
	.set _ZN7rocprim17ROCPRIM_400000_NS6detail17trampoline_kernelINS0_14default_configENS1_38merge_sort_block_merge_config_selectorIbNS0_10empty_typeEEEZZNS1_27merge_sort_block_merge_implIS3_PbPS5_jNS1_19radix_merge_compareILb1ELb1EbNS0_19identity_decomposerEEEEE10hipError_tT0_T1_T2_jT3_P12ihipStream_tbPNSt15iterator_traitsISE_E10value_typeEPNSK_ISF_E10value_typeEPSG_NS1_7vsmem_tEENKUlT_SE_SF_SG_E_clIS8_S8_S9_S9_EESD_ST_SE_SF_SG_EUlST_E1_NS1_11comp_targetILNS1_3genE9ELNS1_11target_archE1100ELNS1_3gpuE3ELNS1_3repE0EEENS1_36merge_oddeven_config_static_selectorELNS0_4arch9wavefront6targetE0EEEvSF_.num_agpr, 0
	.set _ZN7rocprim17ROCPRIM_400000_NS6detail17trampoline_kernelINS0_14default_configENS1_38merge_sort_block_merge_config_selectorIbNS0_10empty_typeEEEZZNS1_27merge_sort_block_merge_implIS3_PbPS5_jNS1_19radix_merge_compareILb1ELb1EbNS0_19identity_decomposerEEEEE10hipError_tT0_T1_T2_jT3_P12ihipStream_tbPNSt15iterator_traitsISE_E10value_typeEPNSK_ISF_E10value_typeEPSG_NS1_7vsmem_tEENKUlT_SE_SF_SG_E_clIS8_S8_S9_S9_EESD_ST_SE_SF_SG_EUlST_E1_NS1_11comp_targetILNS1_3genE9ELNS1_11target_archE1100ELNS1_3gpuE3ELNS1_3repE0EEENS1_36merge_oddeven_config_static_selectorELNS0_4arch9wavefront6targetE0EEEvSF_.numbered_sgpr, 0
	.set _ZN7rocprim17ROCPRIM_400000_NS6detail17trampoline_kernelINS0_14default_configENS1_38merge_sort_block_merge_config_selectorIbNS0_10empty_typeEEEZZNS1_27merge_sort_block_merge_implIS3_PbPS5_jNS1_19radix_merge_compareILb1ELb1EbNS0_19identity_decomposerEEEEE10hipError_tT0_T1_T2_jT3_P12ihipStream_tbPNSt15iterator_traitsISE_E10value_typeEPNSK_ISF_E10value_typeEPSG_NS1_7vsmem_tEENKUlT_SE_SF_SG_E_clIS8_S8_S9_S9_EESD_ST_SE_SF_SG_EUlST_E1_NS1_11comp_targetILNS1_3genE9ELNS1_11target_archE1100ELNS1_3gpuE3ELNS1_3repE0EEENS1_36merge_oddeven_config_static_selectorELNS0_4arch9wavefront6targetE0EEEvSF_.num_named_barrier, 0
	.set _ZN7rocprim17ROCPRIM_400000_NS6detail17trampoline_kernelINS0_14default_configENS1_38merge_sort_block_merge_config_selectorIbNS0_10empty_typeEEEZZNS1_27merge_sort_block_merge_implIS3_PbPS5_jNS1_19radix_merge_compareILb1ELb1EbNS0_19identity_decomposerEEEEE10hipError_tT0_T1_T2_jT3_P12ihipStream_tbPNSt15iterator_traitsISE_E10value_typeEPNSK_ISF_E10value_typeEPSG_NS1_7vsmem_tEENKUlT_SE_SF_SG_E_clIS8_S8_S9_S9_EESD_ST_SE_SF_SG_EUlST_E1_NS1_11comp_targetILNS1_3genE9ELNS1_11target_archE1100ELNS1_3gpuE3ELNS1_3repE0EEENS1_36merge_oddeven_config_static_selectorELNS0_4arch9wavefront6targetE0EEEvSF_.private_seg_size, 0
	.set _ZN7rocprim17ROCPRIM_400000_NS6detail17trampoline_kernelINS0_14default_configENS1_38merge_sort_block_merge_config_selectorIbNS0_10empty_typeEEEZZNS1_27merge_sort_block_merge_implIS3_PbPS5_jNS1_19radix_merge_compareILb1ELb1EbNS0_19identity_decomposerEEEEE10hipError_tT0_T1_T2_jT3_P12ihipStream_tbPNSt15iterator_traitsISE_E10value_typeEPNSK_ISF_E10value_typeEPSG_NS1_7vsmem_tEENKUlT_SE_SF_SG_E_clIS8_S8_S9_S9_EESD_ST_SE_SF_SG_EUlST_E1_NS1_11comp_targetILNS1_3genE9ELNS1_11target_archE1100ELNS1_3gpuE3ELNS1_3repE0EEENS1_36merge_oddeven_config_static_selectorELNS0_4arch9wavefront6targetE0EEEvSF_.uses_vcc, 0
	.set _ZN7rocprim17ROCPRIM_400000_NS6detail17trampoline_kernelINS0_14default_configENS1_38merge_sort_block_merge_config_selectorIbNS0_10empty_typeEEEZZNS1_27merge_sort_block_merge_implIS3_PbPS5_jNS1_19radix_merge_compareILb1ELb1EbNS0_19identity_decomposerEEEEE10hipError_tT0_T1_T2_jT3_P12ihipStream_tbPNSt15iterator_traitsISE_E10value_typeEPNSK_ISF_E10value_typeEPSG_NS1_7vsmem_tEENKUlT_SE_SF_SG_E_clIS8_S8_S9_S9_EESD_ST_SE_SF_SG_EUlST_E1_NS1_11comp_targetILNS1_3genE9ELNS1_11target_archE1100ELNS1_3gpuE3ELNS1_3repE0EEENS1_36merge_oddeven_config_static_selectorELNS0_4arch9wavefront6targetE0EEEvSF_.uses_flat_scratch, 0
	.set _ZN7rocprim17ROCPRIM_400000_NS6detail17trampoline_kernelINS0_14default_configENS1_38merge_sort_block_merge_config_selectorIbNS0_10empty_typeEEEZZNS1_27merge_sort_block_merge_implIS3_PbPS5_jNS1_19radix_merge_compareILb1ELb1EbNS0_19identity_decomposerEEEEE10hipError_tT0_T1_T2_jT3_P12ihipStream_tbPNSt15iterator_traitsISE_E10value_typeEPNSK_ISF_E10value_typeEPSG_NS1_7vsmem_tEENKUlT_SE_SF_SG_E_clIS8_S8_S9_S9_EESD_ST_SE_SF_SG_EUlST_E1_NS1_11comp_targetILNS1_3genE9ELNS1_11target_archE1100ELNS1_3gpuE3ELNS1_3repE0EEENS1_36merge_oddeven_config_static_selectorELNS0_4arch9wavefront6targetE0EEEvSF_.has_dyn_sized_stack, 0
	.set _ZN7rocprim17ROCPRIM_400000_NS6detail17trampoline_kernelINS0_14default_configENS1_38merge_sort_block_merge_config_selectorIbNS0_10empty_typeEEEZZNS1_27merge_sort_block_merge_implIS3_PbPS5_jNS1_19radix_merge_compareILb1ELb1EbNS0_19identity_decomposerEEEEE10hipError_tT0_T1_T2_jT3_P12ihipStream_tbPNSt15iterator_traitsISE_E10value_typeEPNSK_ISF_E10value_typeEPSG_NS1_7vsmem_tEENKUlT_SE_SF_SG_E_clIS8_S8_S9_S9_EESD_ST_SE_SF_SG_EUlST_E1_NS1_11comp_targetILNS1_3genE9ELNS1_11target_archE1100ELNS1_3gpuE3ELNS1_3repE0EEENS1_36merge_oddeven_config_static_selectorELNS0_4arch9wavefront6targetE0EEEvSF_.has_recursion, 0
	.set _ZN7rocprim17ROCPRIM_400000_NS6detail17trampoline_kernelINS0_14default_configENS1_38merge_sort_block_merge_config_selectorIbNS0_10empty_typeEEEZZNS1_27merge_sort_block_merge_implIS3_PbPS5_jNS1_19radix_merge_compareILb1ELb1EbNS0_19identity_decomposerEEEEE10hipError_tT0_T1_T2_jT3_P12ihipStream_tbPNSt15iterator_traitsISE_E10value_typeEPNSK_ISF_E10value_typeEPSG_NS1_7vsmem_tEENKUlT_SE_SF_SG_E_clIS8_S8_S9_S9_EESD_ST_SE_SF_SG_EUlST_E1_NS1_11comp_targetILNS1_3genE9ELNS1_11target_archE1100ELNS1_3gpuE3ELNS1_3repE0EEENS1_36merge_oddeven_config_static_selectorELNS0_4arch9wavefront6targetE0EEEvSF_.has_indirect_call, 0
	.section	.AMDGPU.csdata,"",@progbits
; Kernel info:
; codeLenInByte = 0
; TotalNumSgprs: 0
; NumVgprs: 0
; ScratchSize: 0
; MemoryBound: 0
; FloatMode: 240
; IeeeMode: 1
; LDSByteSize: 0 bytes/workgroup (compile time only)
; SGPRBlocks: 0
; VGPRBlocks: 0
; NumSGPRsForWavesPerEU: 1
; NumVGPRsForWavesPerEU: 1
; NamedBarCnt: 0
; Occupancy: 16
; WaveLimiterHint : 0
; COMPUTE_PGM_RSRC2:SCRATCH_EN: 0
; COMPUTE_PGM_RSRC2:USER_SGPR: 2
; COMPUTE_PGM_RSRC2:TRAP_HANDLER: 0
; COMPUTE_PGM_RSRC2:TGID_X_EN: 1
; COMPUTE_PGM_RSRC2:TGID_Y_EN: 0
; COMPUTE_PGM_RSRC2:TGID_Z_EN: 0
; COMPUTE_PGM_RSRC2:TIDIG_COMP_CNT: 0
	.section	.text._ZN7rocprim17ROCPRIM_400000_NS6detail17trampoline_kernelINS0_14default_configENS1_38merge_sort_block_merge_config_selectorIbNS0_10empty_typeEEEZZNS1_27merge_sort_block_merge_implIS3_PbPS5_jNS1_19radix_merge_compareILb1ELb1EbNS0_19identity_decomposerEEEEE10hipError_tT0_T1_T2_jT3_P12ihipStream_tbPNSt15iterator_traitsISE_E10value_typeEPNSK_ISF_E10value_typeEPSG_NS1_7vsmem_tEENKUlT_SE_SF_SG_E_clIS8_S8_S9_S9_EESD_ST_SE_SF_SG_EUlST_E1_NS1_11comp_targetILNS1_3genE8ELNS1_11target_archE1030ELNS1_3gpuE2ELNS1_3repE0EEENS1_36merge_oddeven_config_static_selectorELNS0_4arch9wavefront6targetE0EEEvSF_,"axG",@progbits,_ZN7rocprim17ROCPRIM_400000_NS6detail17trampoline_kernelINS0_14default_configENS1_38merge_sort_block_merge_config_selectorIbNS0_10empty_typeEEEZZNS1_27merge_sort_block_merge_implIS3_PbPS5_jNS1_19radix_merge_compareILb1ELb1EbNS0_19identity_decomposerEEEEE10hipError_tT0_T1_T2_jT3_P12ihipStream_tbPNSt15iterator_traitsISE_E10value_typeEPNSK_ISF_E10value_typeEPSG_NS1_7vsmem_tEENKUlT_SE_SF_SG_E_clIS8_S8_S9_S9_EESD_ST_SE_SF_SG_EUlST_E1_NS1_11comp_targetILNS1_3genE8ELNS1_11target_archE1030ELNS1_3gpuE2ELNS1_3repE0EEENS1_36merge_oddeven_config_static_selectorELNS0_4arch9wavefront6targetE0EEEvSF_,comdat
	.protected	_ZN7rocprim17ROCPRIM_400000_NS6detail17trampoline_kernelINS0_14default_configENS1_38merge_sort_block_merge_config_selectorIbNS0_10empty_typeEEEZZNS1_27merge_sort_block_merge_implIS3_PbPS5_jNS1_19radix_merge_compareILb1ELb1EbNS0_19identity_decomposerEEEEE10hipError_tT0_T1_T2_jT3_P12ihipStream_tbPNSt15iterator_traitsISE_E10value_typeEPNSK_ISF_E10value_typeEPSG_NS1_7vsmem_tEENKUlT_SE_SF_SG_E_clIS8_S8_S9_S9_EESD_ST_SE_SF_SG_EUlST_E1_NS1_11comp_targetILNS1_3genE8ELNS1_11target_archE1030ELNS1_3gpuE2ELNS1_3repE0EEENS1_36merge_oddeven_config_static_selectorELNS0_4arch9wavefront6targetE0EEEvSF_ ; -- Begin function _ZN7rocprim17ROCPRIM_400000_NS6detail17trampoline_kernelINS0_14default_configENS1_38merge_sort_block_merge_config_selectorIbNS0_10empty_typeEEEZZNS1_27merge_sort_block_merge_implIS3_PbPS5_jNS1_19radix_merge_compareILb1ELb1EbNS0_19identity_decomposerEEEEE10hipError_tT0_T1_T2_jT3_P12ihipStream_tbPNSt15iterator_traitsISE_E10value_typeEPNSK_ISF_E10value_typeEPSG_NS1_7vsmem_tEENKUlT_SE_SF_SG_E_clIS8_S8_S9_S9_EESD_ST_SE_SF_SG_EUlST_E1_NS1_11comp_targetILNS1_3genE8ELNS1_11target_archE1030ELNS1_3gpuE2ELNS1_3repE0EEENS1_36merge_oddeven_config_static_selectorELNS0_4arch9wavefront6targetE0EEEvSF_
	.globl	_ZN7rocprim17ROCPRIM_400000_NS6detail17trampoline_kernelINS0_14default_configENS1_38merge_sort_block_merge_config_selectorIbNS0_10empty_typeEEEZZNS1_27merge_sort_block_merge_implIS3_PbPS5_jNS1_19radix_merge_compareILb1ELb1EbNS0_19identity_decomposerEEEEE10hipError_tT0_T1_T2_jT3_P12ihipStream_tbPNSt15iterator_traitsISE_E10value_typeEPNSK_ISF_E10value_typeEPSG_NS1_7vsmem_tEENKUlT_SE_SF_SG_E_clIS8_S8_S9_S9_EESD_ST_SE_SF_SG_EUlST_E1_NS1_11comp_targetILNS1_3genE8ELNS1_11target_archE1030ELNS1_3gpuE2ELNS1_3repE0EEENS1_36merge_oddeven_config_static_selectorELNS0_4arch9wavefront6targetE0EEEvSF_
	.p2align	8
	.type	_ZN7rocprim17ROCPRIM_400000_NS6detail17trampoline_kernelINS0_14default_configENS1_38merge_sort_block_merge_config_selectorIbNS0_10empty_typeEEEZZNS1_27merge_sort_block_merge_implIS3_PbPS5_jNS1_19radix_merge_compareILb1ELb1EbNS0_19identity_decomposerEEEEE10hipError_tT0_T1_T2_jT3_P12ihipStream_tbPNSt15iterator_traitsISE_E10value_typeEPNSK_ISF_E10value_typeEPSG_NS1_7vsmem_tEENKUlT_SE_SF_SG_E_clIS8_S8_S9_S9_EESD_ST_SE_SF_SG_EUlST_E1_NS1_11comp_targetILNS1_3genE8ELNS1_11target_archE1030ELNS1_3gpuE2ELNS1_3repE0EEENS1_36merge_oddeven_config_static_selectorELNS0_4arch9wavefront6targetE0EEEvSF_,@function
_ZN7rocprim17ROCPRIM_400000_NS6detail17trampoline_kernelINS0_14default_configENS1_38merge_sort_block_merge_config_selectorIbNS0_10empty_typeEEEZZNS1_27merge_sort_block_merge_implIS3_PbPS5_jNS1_19radix_merge_compareILb1ELb1EbNS0_19identity_decomposerEEEEE10hipError_tT0_T1_T2_jT3_P12ihipStream_tbPNSt15iterator_traitsISE_E10value_typeEPNSK_ISF_E10value_typeEPSG_NS1_7vsmem_tEENKUlT_SE_SF_SG_E_clIS8_S8_S9_S9_EESD_ST_SE_SF_SG_EUlST_E1_NS1_11comp_targetILNS1_3genE8ELNS1_11target_archE1030ELNS1_3gpuE2ELNS1_3repE0EEENS1_36merge_oddeven_config_static_selectorELNS0_4arch9wavefront6targetE0EEEvSF_: ; @_ZN7rocprim17ROCPRIM_400000_NS6detail17trampoline_kernelINS0_14default_configENS1_38merge_sort_block_merge_config_selectorIbNS0_10empty_typeEEEZZNS1_27merge_sort_block_merge_implIS3_PbPS5_jNS1_19radix_merge_compareILb1ELb1EbNS0_19identity_decomposerEEEEE10hipError_tT0_T1_T2_jT3_P12ihipStream_tbPNSt15iterator_traitsISE_E10value_typeEPNSK_ISF_E10value_typeEPSG_NS1_7vsmem_tEENKUlT_SE_SF_SG_E_clIS8_S8_S9_S9_EESD_ST_SE_SF_SG_EUlST_E1_NS1_11comp_targetILNS1_3genE8ELNS1_11target_archE1030ELNS1_3gpuE2ELNS1_3repE0EEENS1_36merge_oddeven_config_static_selectorELNS0_4arch9wavefront6targetE0EEEvSF_
; %bb.0:
	.section	.rodata,"a",@progbits
	.p2align	6, 0x0
	.amdhsa_kernel _ZN7rocprim17ROCPRIM_400000_NS6detail17trampoline_kernelINS0_14default_configENS1_38merge_sort_block_merge_config_selectorIbNS0_10empty_typeEEEZZNS1_27merge_sort_block_merge_implIS3_PbPS5_jNS1_19radix_merge_compareILb1ELb1EbNS0_19identity_decomposerEEEEE10hipError_tT0_T1_T2_jT3_P12ihipStream_tbPNSt15iterator_traitsISE_E10value_typeEPNSK_ISF_E10value_typeEPSG_NS1_7vsmem_tEENKUlT_SE_SF_SG_E_clIS8_S8_S9_S9_EESD_ST_SE_SF_SG_EUlST_E1_NS1_11comp_targetILNS1_3genE8ELNS1_11target_archE1030ELNS1_3gpuE2ELNS1_3repE0EEENS1_36merge_oddeven_config_static_selectorELNS0_4arch9wavefront6targetE0EEEvSF_
		.amdhsa_group_segment_fixed_size 0
		.amdhsa_private_segment_fixed_size 0
		.amdhsa_kernarg_size 48
		.amdhsa_user_sgpr_count 2
		.amdhsa_user_sgpr_dispatch_ptr 0
		.amdhsa_user_sgpr_queue_ptr 0
		.amdhsa_user_sgpr_kernarg_segment_ptr 1
		.amdhsa_user_sgpr_dispatch_id 0
		.amdhsa_user_sgpr_kernarg_preload_length 0
		.amdhsa_user_sgpr_kernarg_preload_offset 0
		.amdhsa_user_sgpr_private_segment_size 0
		.amdhsa_wavefront_size32 1
		.amdhsa_uses_dynamic_stack 0
		.amdhsa_enable_private_segment 0
		.amdhsa_system_sgpr_workgroup_id_x 1
		.amdhsa_system_sgpr_workgroup_id_y 0
		.amdhsa_system_sgpr_workgroup_id_z 0
		.amdhsa_system_sgpr_workgroup_info 0
		.amdhsa_system_vgpr_workitem_id 0
		.amdhsa_next_free_vgpr 1
		.amdhsa_next_free_sgpr 1
		.amdhsa_named_barrier_count 0
		.amdhsa_reserve_vcc 0
		.amdhsa_float_round_mode_32 0
		.amdhsa_float_round_mode_16_64 0
		.amdhsa_float_denorm_mode_32 3
		.amdhsa_float_denorm_mode_16_64 3
		.amdhsa_fp16_overflow 0
		.amdhsa_memory_ordered 1
		.amdhsa_forward_progress 1
		.amdhsa_inst_pref_size 0
		.amdhsa_round_robin_scheduling 0
		.amdhsa_exception_fp_ieee_invalid_op 0
		.amdhsa_exception_fp_denorm_src 0
		.amdhsa_exception_fp_ieee_div_zero 0
		.amdhsa_exception_fp_ieee_overflow 0
		.amdhsa_exception_fp_ieee_underflow 0
		.amdhsa_exception_fp_ieee_inexact 0
		.amdhsa_exception_int_div_zero 0
	.end_amdhsa_kernel
	.section	.text._ZN7rocprim17ROCPRIM_400000_NS6detail17trampoline_kernelINS0_14default_configENS1_38merge_sort_block_merge_config_selectorIbNS0_10empty_typeEEEZZNS1_27merge_sort_block_merge_implIS3_PbPS5_jNS1_19radix_merge_compareILb1ELb1EbNS0_19identity_decomposerEEEEE10hipError_tT0_T1_T2_jT3_P12ihipStream_tbPNSt15iterator_traitsISE_E10value_typeEPNSK_ISF_E10value_typeEPSG_NS1_7vsmem_tEENKUlT_SE_SF_SG_E_clIS8_S8_S9_S9_EESD_ST_SE_SF_SG_EUlST_E1_NS1_11comp_targetILNS1_3genE8ELNS1_11target_archE1030ELNS1_3gpuE2ELNS1_3repE0EEENS1_36merge_oddeven_config_static_selectorELNS0_4arch9wavefront6targetE0EEEvSF_,"axG",@progbits,_ZN7rocprim17ROCPRIM_400000_NS6detail17trampoline_kernelINS0_14default_configENS1_38merge_sort_block_merge_config_selectorIbNS0_10empty_typeEEEZZNS1_27merge_sort_block_merge_implIS3_PbPS5_jNS1_19radix_merge_compareILb1ELb1EbNS0_19identity_decomposerEEEEE10hipError_tT0_T1_T2_jT3_P12ihipStream_tbPNSt15iterator_traitsISE_E10value_typeEPNSK_ISF_E10value_typeEPSG_NS1_7vsmem_tEENKUlT_SE_SF_SG_E_clIS8_S8_S9_S9_EESD_ST_SE_SF_SG_EUlST_E1_NS1_11comp_targetILNS1_3genE8ELNS1_11target_archE1030ELNS1_3gpuE2ELNS1_3repE0EEENS1_36merge_oddeven_config_static_selectorELNS0_4arch9wavefront6targetE0EEEvSF_,comdat
.Lfunc_end1714:
	.size	_ZN7rocprim17ROCPRIM_400000_NS6detail17trampoline_kernelINS0_14default_configENS1_38merge_sort_block_merge_config_selectorIbNS0_10empty_typeEEEZZNS1_27merge_sort_block_merge_implIS3_PbPS5_jNS1_19radix_merge_compareILb1ELb1EbNS0_19identity_decomposerEEEEE10hipError_tT0_T1_T2_jT3_P12ihipStream_tbPNSt15iterator_traitsISE_E10value_typeEPNSK_ISF_E10value_typeEPSG_NS1_7vsmem_tEENKUlT_SE_SF_SG_E_clIS8_S8_S9_S9_EESD_ST_SE_SF_SG_EUlST_E1_NS1_11comp_targetILNS1_3genE8ELNS1_11target_archE1030ELNS1_3gpuE2ELNS1_3repE0EEENS1_36merge_oddeven_config_static_selectorELNS0_4arch9wavefront6targetE0EEEvSF_, .Lfunc_end1714-_ZN7rocprim17ROCPRIM_400000_NS6detail17trampoline_kernelINS0_14default_configENS1_38merge_sort_block_merge_config_selectorIbNS0_10empty_typeEEEZZNS1_27merge_sort_block_merge_implIS3_PbPS5_jNS1_19radix_merge_compareILb1ELb1EbNS0_19identity_decomposerEEEEE10hipError_tT0_T1_T2_jT3_P12ihipStream_tbPNSt15iterator_traitsISE_E10value_typeEPNSK_ISF_E10value_typeEPSG_NS1_7vsmem_tEENKUlT_SE_SF_SG_E_clIS8_S8_S9_S9_EESD_ST_SE_SF_SG_EUlST_E1_NS1_11comp_targetILNS1_3genE8ELNS1_11target_archE1030ELNS1_3gpuE2ELNS1_3repE0EEENS1_36merge_oddeven_config_static_selectorELNS0_4arch9wavefront6targetE0EEEvSF_
                                        ; -- End function
	.set _ZN7rocprim17ROCPRIM_400000_NS6detail17trampoline_kernelINS0_14default_configENS1_38merge_sort_block_merge_config_selectorIbNS0_10empty_typeEEEZZNS1_27merge_sort_block_merge_implIS3_PbPS5_jNS1_19radix_merge_compareILb1ELb1EbNS0_19identity_decomposerEEEEE10hipError_tT0_T1_T2_jT3_P12ihipStream_tbPNSt15iterator_traitsISE_E10value_typeEPNSK_ISF_E10value_typeEPSG_NS1_7vsmem_tEENKUlT_SE_SF_SG_E_clIS8_S8_S9_S9_EESD_ST_SE_SF_SG_EUlST_E1_NS1_11comp_targetILNS1_3genE8ELNS1_11target_archE1030ELNS1_3gpuE2ELNS1_3repE0EEENS1_36merge_oddeven_config_static_selectorELNS0_4arch9wavefront6targetE0EEEvSF_.num_vgpr, 0
	.set _ZN7rocprim17ROCPRIM_400000_NS6detail17trampoline_kernelINS0_14default_configENS1_38merge_sort_block_merge_config_selectorIbNS0_10empty_typeEEEZZNS1_27merge_sort_block_merge_implIS3_PbPS5_jNS1_19radix_merge_compareILb1ELb1EbNS0_19identity_decomposerEEEEE10hipError_tT0_T1_T2_jT3_P12ihipStream_tbPNSt15iterator_traitsISE_E10value_typeEPNSK_ISF_E10value_typeEPSG_NS1_7vsmem_tEENKUlT_SE_SF_SG_E_clIS8_S8_S9_S9_EESD_ST_SE_SF_SG_EUlST_E1_NS1_11comp_targetILNS1_3genE8ELNS1_11target_archE1030ELNS1_3gpuE2ELNS1_3repE0EEENS1_36merge_oddeven_config_static_selectorELNS0_4arch9wavefront6targetE0EEEvSF_.num_agpr, 0
	.set _ZN7rocprim17ROCPRIM_400000_NS6detail17trampoline_kernelINS0_14default_configENS1_38merge_sort_block_merge_config_selectorIbNS0_10empty_typeEEEZZNS1_27merge_sort_block_merge_implIS3_PbPS5_jNS1_19radix_merge_compareILb1ELb1EbNS0_19identity_decomposerEEEEE10hipError_tT0_T1_T2_jT3_P12ihipStream_tbPNSt15iterator_traitsISE_E10value_typeEPNSK_ISF_E10value_typeEPSG_NS1_7vsmem_tEENKUlT_SE_SF_SG_E_clIS8_S8_S9_S9_EESD_ST_SE_SF_SG_EUlST_E1_NS1_11comp_targetILNS1_3genE8ELNS1_11target_archE1030ELNS1_3gpuE2ELNS1_3repE0EEENS1_36merge_oddeven_config_static_selectorELNS0_4arch9wavefront6targetE0EEEvSF_.numbered_sgpr, 0
	.set _ZN7rocprim17ROCPRIM_400000_NS6detail17trampoline_kernelINS0_14default_configENS1_38merge_sort_block_merge_config_selectorIbNS0_10empty_typeEEEZZNS1_27merge_sort_block_merge_implIS3_PbPS5_jNS1_19radix_merge_compareILb1ELb1EbNS0_19identity_decomposerEEEEE10hipError_tT0_T1_T2_jT3_P12ihipStream_tbPNSt15iterator_traitsISE_E10value_typeEPNSK_ISF_E10value_typeEPSG_NS1_7vsmem_tEENKUlT_SE_SF_SG_E_clIS8_S8_S9_S9_EESD_ST_SE_SF_SG_EUlST_E1_NS1_11comp_targetILNS1_3genE8ELNS1_11target_archE1030ELNS1_3gpuE2ELNS1_3repE0EEENS1_36merge_oddeven_config_static_selectorELNS0_4arch9wavefront6targetE0EEEvSF_.num_named_barrier, 0
	.set _ZN7rocprim17ROCPRIM_400000_NS6detail17trampoline_kernelINS0_14default_configENS1_38merge_sort_block_merge_config_selectorIbNS0_10empty_typeEEEZZNS1_27merge_sort_block_merge_implIS3_PbPS5_jNS1_19radix_merge_compareILb1ELb1EbNS0_19identity_decomposerEEEEE10hipError_tT0_T1_T2_jT3_P12ihipStream_tbPNSt15iterator_traitsISE_E10value_typeEPNSK_ISF_E10value_typeEPSG_NS1_7vsmem_tEENKUlT_SE_SF_SG_E_clIS8_S8_S9_S9_EESD_ST_SE_SF_SG_EUlST_E1_NS1_11comp_targetILNS1_3genE8ELNS1_11target_archE1030ELNS1_3gpuE2ELNS1_3repE0EEENS1_36merge_oddeven_config_static_selectorELNS0_4arch9wavefront6targetE0EEEvSF_.private_seg_size, 0
	.set _ZN7rocprim17ROCPRIM_400000_NS6detail17trampoline_kernelINS0_14default_configENS1_38merge_sort_block_merge_config_selectorIbNS0_10empty_typeEEEZZNS1_27merge_sort_block_merge_implIS3_PbPS5_jNS1_19radix_merge_compareILb1ELb1EbNS0_19identity_decomposerEEEEE10hipError_tT0_T1_T2_jT3_P12ihipStream_tbPNSt15iterator_traitsISE_E10value_typeEPNSK_ISF_E10value_typeEPSG_NS1_7vsmem_tEENKUlT_SE_SF_SG_E_clIS8_S8_S9_S9_EESD_ST_SE_SF_SG_EUlST_E1_NS1_11comp_targetILNS1_3genE8ELNS1_11target_archE1030ELNS1_3gpuE2ELNS1_3repE0EEENS1_36merge_oddeven_config_static_selectorELNS0_4arch9wavefront6targetE0EEEvSF_.uses_vcc, 0
	.set _ZN7rocprim17ROCPRIM_400000_NS6detail17trampoline_kernelINS0_14default_configENS1_38merge_sort_block_merge_config_selectorIbNS0_10empty_typeEEEZZNS1_27merge_sort_block_merge_implIS3_PbPS5_jNS1_19radix_merge_compareILb1ELb1EbNS0_19identity_decomposerEEEEE10hipError_tT0_T1_T2_jT3_P12ihipStream_tbPNSt15iterator_traitsISE_E10value_typeEPNSK_ISF_E10value_typeEPSG_NS1_7vsmem_tEENKUlT_SE_SF_SG_E_clIS8_S8_S9_S9_EESD_ST_SE_SF_SG_EUlST_E1_NS1_11comp_targetILNS1_3genE8ELNS1_11target_archE1030ELNS1_3gpuE2ELNS1_3repE0EEENS1_36merge_oddeven_config_static_selectorELNS0_4arch9wavefront6targetE0EEEvSF_.uses_flat_scratch, 0
	.set _ZN7rocprim17ROCPRIM_400000_NS6detail17trampoline_kernelINS0_14default_configENS1_38merge_sort_block_merge_config_selectorIbNS0_10empty_typeEEEZZNS1_27merge_sort_block_merge_implIS3_PbPS5_jNS1_19radix_merge_compareILb1ELb1EbNS0_19identity_decomposerEEEEE10hipError_tT0_T1_T2_jT3_P12ihipStream_tbPNSt15iterator_traitsISE_E10value_typeEPNSK_ISF_E10value_typeEPSG_NS1_7vsmem_tEENKUlT_SE_SF_SG_E_clIS8_S8_S9_S9_EESD_ST_SE_SF_SG_EUlST_E1_NS1_11comp_targetILNS1_3genE8ELNS1_11target_archE1030ELNS1_3gpuE2ELNS1_3repE0EEENS1_36merge_oddeven_config_static_selectorELNS0_4arch9wavefront6targetE0EEEvSF_.has_dyn_sized_stack, 0
	.set _ZN7rocprim17ROCPRIM_400000_NS6detail17trampoline_kernelINS0_14default_configENS1_38merge_sort_block_merge_config_selectorIbNS0_10empty_typeEEEZZNS1_27merge_sort_block_merge_implIS3_PbPS5_jNS1_19radix_merge_compareILb1ELb1EbNS0_19identity_decomposerEEEEE10hipError_tT0_T1_T2_jT3_P12ihipStream_tbPNSt15iterator_traitsISE_E10value_typeEPNSK_ISF_E10value_typeEPSG_NS1_7vsmem_tEENKUlT_SE_SF_SG_E_clIS8_S8_S9_S9_EESD_ST_SE_SF_SG_EUlST_E1_NS1_11comp_targetILNS1_3genE8ELNS1_11target_archE1030ELNS1_3gpuE2ELNS1_3repE0EEENS1_36merge_oddeven_config_static_selectorELNS0_4arch9wavefront6targetE0EEEvSF_.has_recursion, 0
	.set _ZN7rocprim17ROCPRIM_400000_NS6detail17trampoline_kernelINS0_14default_configENS1_38merge_sort_block_merge_config_selectorIbNS0_10empty_typeEEEZZNS1_27merge_sort_block_merge_implIS3_PbPS5_jNS1_19radix_merge_compareILb1ELb1EbNS0_19identity_decomposerEEEEE10hipError_tT0_T1_T2_jT3_P12ihipStream_tbPNSt15iterator_traitsISE_E10value_typeEPNSK_ISF_E10value_typeEPSG_NS1_7vsmem_tEENKUlT_SE_SF_SG_E_clIS8_S8_S9_S9_EESD_ST_SE_SF_SG_EUlST_E1_NS1_11comp_targetILNS1_3genE8ELNS1_11target_archE1030ELNS1_3gpuE2ELNS1_3repE0EEENS1_36merge_oddeven_config_static_selectorELNS0_4arch9wavefront6targetE0EEEvSF_.has_indirect_call, 0
	.section	.AMDGPU.csdata,"",@progbits
; Kernel info:
; codeLenInByte = 0
; TotalNumSgprs: 0
; NumVgprs: 0
; ScratchSize: 0
; MemoryBound: 0
; FloatMode: 240
; IeeeMode: 1
; LDSByteSize: 0 bytes/workgroup (compile time only)
; SGPRBlocks: 0
; VGPRBlocks: 0
; NumSGPRsForWavesPerEU: 1
; NumVGPRsForWavesPerEU: 1
; NamedBarCnt: 0
; Occupancy: 16
; WaveLimiterHint : 0
; COMPUTE_PGM_RSRC2:SCRATCH_EN: 0
; COMPUTE_PGM_RSRC2:USER_SGPR: 2
; COMPUTE_PGM_RSRC2:TRAP_HANDLER: 0
; COMPUTE_PGM_RSRC2:TGID_X_EN: 1
; COMPUTE_PGM_RSRC2:TGID_Y_EN: 0
; COMPUTE_PGM_RSRC2:TGID_Z_EN: 0
; COMPUTE_PGM_RSRC2:TIDIG_COMP_CNT: 0
	.section	.text._ZN7rocprim17ROCPRIM_400000_NS6detail17trampoline_kernelINS0_14default_configENS1_35radix_sort_onesweep_config_selectorIbNS0_10empty_typeEEEZNS1_34radix_sort_onesweep_global_offsetsIS3_Lb1EPKbPS5_mNS0_19identity_decomposerEEE10hipError_tT1_T2_PT3_SF_jT4_jjP12ihipStream_tbEUlT_E_NS1_11comp_targetILNS1_3genE0ELNS1_11target_archE4294967295ELNS1_3gpuE0ELNS1_3repE0EEENS1_52radix_sort_onesweep_histogram_config_static_selectorELNS0_4arch9wavefront6targetE0EEEvSD_,"axG",@progbits,_ZN7rocprim17ROCPRIM_400000_NS6detail17trampoline_kernelINS0_14default_configENS1_35radix_sort_onesweep_config_selectorIbNS0_10empty_typeEEEZNS1_34radix_sort_onesweep_global_offsetsIS3_Lb1EPKbPS5_mNS0_19identity_decomposerEEE10hipError_tT1_T2_PT3_SF_jT4_jjP12ihipStream_tbEUlT_E_NS1_11comp_targetILNS1_3genE0ELNS1_11target_archE4294967295ELNS1_3gpuE0ELNS1_3repE0EEENS1_52radix_sort_onesweep_histogram_config_static_selectorELNS0_4arch9wavefront6targetE0EEEvSD_,comdat
	.protected	_ZN7rocprim17ROCPRIM_400000_NS6detail17trampoline_kernelINS0_14default_configENS1_35radix_sort_onesweep_config_selectorIbNS0_10empty_typeEEEZNS1_34radix_sort_onesweep_global_offsetsIS3_Lb1EPKbPS5_mNS0_19identity_decomposerEEE10hipError_tT1_T2_PT3_SF_jT4_jjP12ihipStream_tbEUlT_E_NS1_11comp_targetILNS1_3genE0ELNS1_11target_archE4294967295ELNS1_3gpuE0ELNS1_3repE0EEENS1_52radix_sort_onesweep_histogram_config_static_selectorELNS0_4arch9wavefront6targetE0EEEvSD_ ; -- Begin function _ZN7rocprim17ROCPRIM_400000_NS6detail17trampoline_kernelINS0_14default_configENS1_35radix_sort_onesweep_config_selectorIbNS0_10empty_typeEEEZNS1_34radix_sort_onesweep_global_offsetsIS3_Lb1EPKbPS5_mNS0_19identity_decomposerEEE10hipError_tT1_T2_PT3_SF_jT4_jjP12ihipStream_tbEUlT_E_NS1_11comp_targetILNS1_3genE0ELNS1_11target_archE4294967295ELNS1_3gpuE0ELNS1_3repE0EEENS1_52radix_sort_onesweep_histogram_config_static_selectorELNS0_4arch9wavefront6targetE0EEEvSD_
	.globl	_ZN7rocprim17ROCPRIM_400000_NS6detail17trampoline_kernelINS0_14default_configENS1_35radix_sort_onesweep_config_selectorIbNS0_10empty_typeEEEZNS1_34radix_sort_onesweep_global_offsetsIS3_Lb1EPKbPS5_mNS0_19identity_decomposerEEE10hipError_tT1_T2_PT3_SF_jT4_jjP12ihipStream_tbEUlT_E_NS1_11comp_targetILNS1_3genE0ELNS1_11target_archE4294967295ELNS1_3gpuE0ELNS1_3repE0EEENS1_52radix_sort_onesweep_histogram_config_static_selectorELNS0_4arch9wavefront6targetE0EEEvSD_
	.p2align	8
	.type	_ZN7rocprim17ROCPRIM_400000_NS6detail17trampoline_kernelINS0_14default_configENS1_35radix_sort_onesweep_config_selectorIbNS0_10empty_typeEEEZNS1_34radix_sort_onesweep_global_offsetsIS3_Lb1EPKbPS5_mNS0_19identity_decomposerEEE10hipError_tT1_T2_PT3_SF_jT4_jjP12ihipStream_tbEUlT_E_NS1_11comp_targetILNS1_3genE0ELNS1_11target_archE4294967295ELNS1_3gpuE0ELNS1_3repE0EEENS1_52radix_sort_onesweep_histogram_config_static_selectorELNS0_4arch9wavefront6targetE0EEEvSD_,@function
_ZN7rocprim17ROCPRIM_400000_NS6detail17trampoline_kernelINS0_14default_configENS1_35radix_sort_onesweep_config_selectorIbNS0_10empty_typeEEEZNS1_34radix_sort_onesweep_global_offsetsIS3_Lb1EPKbPS5_mNS0_19identity_decomposerEEE10hipError_tT1_T2_PT3_SF_jT4_jjP12ihipStream_tbEUlT_E_NS1_11comp_targetILNS1_3genE0ELNS1_11target_archE4294967295ELNS1_3gpuE0ELNS1_3repE0EEENS1_52radix_sort_onesweep_histogram_config_static_selectorELNS0_4arch9wavefront6targetE0EEEvSD_: ; @_ZN7rocprim17ROCPRIM_400000_NS6detail17trampoline_kernelINS0_14default_configENS1_35radix_sort_onesweep_config_selectorIbNS0_10empty_typeEEEZNS1_34radix_sort_onesweep_global_offsetsIS3_Lb1EPKbPS5_mNS0_19identity_decomposerEEE10hipError_tT1_T2_PT3_SF_jT4_jjP12ihipStream_tbEUlT_E_NS1_11comp_targetILNS1_3genE0ELNS1_11target_archE4294967295ELNS1_3gpuE0ELNS1_3repE0EEENS1_52radix_sort_onesweep_histogram_config_static_selectorELNS0_4arch9wavefront6targetE0EEEvSD_
; %bb.0:
	s_clause 0x1
	s_load_b64 s[2:3], s[0:1], 0x18
	s_load_b128 s[20:23], s[0:1], 0x0
	s_bfe_u32 s4, ttmp6, 0x4000c
	s_load_b64 s[24:25], s[0:1], 0x24
	s_add_co_i32 s4, s4, 1
	s_and_b32 s5, ttmp6, 15
	s_mul_i32 s4, ttmp9, s4
	s_getreg_b32 s6, hwreg(HW_REG_IB_STS2, 6, 4)
	s_add_co_i32 s4, s5, s4
	s_cmp_eq_u32 s6, 0
	s_mov_b32 s5, 0
	s_cselect_b32 s4, ttmp9, s4
	v_and_b32_e32 v1, 3, v0
	s_wait_kmcnt 0x0
	v_cmp_le_u64_e64 s3, s[2:3], s[4:5]
	s_mul_u64 s[4:5], s[4:5], 0x5800
	s_delay_alu instid0(SALU_CYCLE_1)
	s_add_nc_u64 s[26:27], s[20:21], s[4:5]
	s_and_b32 vcc_lo, exec_lo, s3
	s_mov_b32 s3, -1
	s_cbranch_vccz .LBB1715_207
; %bb.1:
	s_load_b32 s28, s[0:1], 0x10
	v_dual_mov_b32 v19, 0 :: v_dual_mov_b32 v3, 0
	v_dual_mov_b32 v25, 0 :: v_dual_mov_b32 v26, 0
	;; [unrolled: 1-line block ×10, first 2 shown]
	v_mov_b32_e32 v8, 0
	s_wait_xcnt 0x0
	s_mul_i32 s0, s2, 0xffffa800
	s_wait_kmcnt 0x0
	s_add_co_i32 s28, s28, s0
	s_mov_b32 s0, exec_lo
	v_cmpx_gt_u32_e64 s28, v0
	s_cbranch_execz .LBB1715_3
; %bb.2:
	global_load_u8 v3, v0, s[26:27]
	v_dual_mov_b32 v25, 0 :: v_dual_mov_b32 v26, 0
	v_dual_mov_b32 v23, 0 :: v_dual_mov_b32 v24, 0
	;; [unrolled: 1-line block ×9, first 2 shown]
	v_mov_b32_e32 v8, 0
.LBB1715_3:
	s_wait_xcnt 0x0
	s_or_b32 exec_lo, exec_lo, s0
	v_or_b32_e32 v2, 0x400, v0
	v_mov_b32_e32 v31, v19
	s_mov_b32 s0, exec_lo
	s_delay_alu instid0(VALU_DEP_2)
	v_cmpx_gt_u32_e64 s28, v2
	s_cbranch_execz .LBB1715_5
; %bb.4:
	global_load_u8 v31, v0, s[26:27] offset:1024
.LBB1715_5:
	s_wait_xcnt 0x0
	s_or_b32 exec_lo, exec_lo, s0
	v_or_b32_e32 v4, 0x800, v0
	s_mov_b32 s0, exec_lo
	s_delay_alu instid0(VALU_DEP_1)
	v_cmpx_gt_u32_e64 s28, v4
	s_cbranch_execz .LBB1715_7
; %bb.6:
	global_load_u8 v19, v0, s[26:27] offset:2048
.LBB1715_7:
	s_wait_xcnt 0x0
	s_or_b32 exec_lo, exec_lo, s0
	v_or_b32_e32 v5, 0xc00, v0
	s_mov_b32 s0, exec_lo
	s_delay_alu instid0(VALU_DEP_1)
	;; [unrolled: 10-line block ×20, first 2 shown]
	v_cmpx_gt_u32_e64 s28, v44
	s_cbranch_execz .LBB1715_45
; %bb.44:
	global_load_u8 v8, v0, s[26:27] offset:21504
.LBB1715_45:
	s_wait_xcnt 0x0
	s_or_b32 exec_lo, exec_lo, s0
	s_delay_alu instid0(SALU_CYCLE_1)
	s_mov_b32 s0, exec_lo
	v_cmpx_gt_u32_e32 0x80, v0
; %bb.46:
	v_dual_mov_b32 v46, 0 :: v_dual_lshlrev_b32 v45, 2, v0
	ds_store_b32 v45, v46
; %bb.47:
	s_or_b32 exec_lo, exec_lo, s0
	s_wait_loadcnt 0x0
	v_and_b32_e32 v3, 1, v3
	v_and_b32_e32 v19, 1, v19
	v_and_b32_e32 v25, 1, v25
	v_and_b32_e32 v26, 1, v26
	v_and_b32_e32 v22, 1, v22
	v_cmp_eq_u32_e32 vcc_lo, 1, v3
	v_cmp_eq_u32_e64 s18, 1, v19
	v_and_b32_e32 v19, 1, v23
	v_and_b32_e32 v23, 1, v24
	;; [unrolled: 1-line block ×3, first 2 shown]
	s_xor_b32 s21, vcc_lo, -1
	s_cmp_le_u32 s25, s24
	v_cmp_eq_u32_e64 s15, 1, v19
	s_cselect_b32 s29, -1, 0
	v_and_b32_e32 v19, 1, v20
	s_and_b32 s30, s29, exec_lo
	v_and_b32_e32 v20, 1, v21
	v_and_b32_e32 v18, 1, v18
	v_and_b32_e32 v16, 1, v16
	v_and_b32_e32 v14, 1, v14
	v_and_b32_e32 v15, 1, v15
	v_and_b32_e32 v12, 1, v12
	v_and_b32_e32 v13, 1, v13
	v_and_b32_e32 v11, 1, v11
	v_and_b32_e32 v6, 1, v6
	v_and_b32_e32 v7, 1, v7
	v_and_b32_e32 v9, 1, v9
	v_and_b32_e32 v3, 1, v8
	s_cselect_b32 s30, 8, 10
	v_and_b32_e32 v31, 1, v31
	v_cmp_le_u32_e64 s20, s28, v0
	v_cmp_eq_u32_e64 s17, 1, v25
	v_cmp_eq_u32_e64 s16, 1, v26
	;; [unrolled: 1-line block ×17, first 2 shown]
	v_cmp_eq_u32_e32 vcc_lo, 1, v3
	v_cndmask_b32_e64 v3, 0, 1, s21
	v_mov_b32_e32 v6, s30
	v_cmp_eq_u32_e64 s19, 1, v31
	s_nor_b32 s31, s29, s20
	s_wait_dscnt 0x0
	s_barrier_signal -1
	s_barrier_wait -1
	s_and_saveexec_b32 s21, s31
	s_cbranch_execz .LBB1715_49
; %bb.48:
	v_dual_lshrrev_b32 v6, s24, v3 :: v_dual_lshlrev_b32 v7, 2, v1
	s_sub_co_i32 s31, s25, s24
	s_delay_alu instid0(SALU_CYCLE_1)
	s_min_u32 s31, s31, 4
	s_delay_alu instid0(VALU_DEP_1) | instid1(SALU_CYCLE_1)
	v_bfe_u32 v6, v6, 0, s31
	s_delay_alu instid0(VALU_DEP_1)
	v_lshl_or_b32 v6, v6, 4, v7
	v_mov_b32_e32 v7, 1
	ds_add_u32 v6, v7
	v_mov_b32_e32 v6, 0
.LBB1715_49:
	s_or_b32 exec_lo, exec_lo, s21
	s_mov_b32 s31, -1
	s_mov_b32 s33, exec_lo
	s_delay_alu instid0(VALU_DEP_1)
	v_cmpx_gt_i32_e32 10, v6
; %bb.50:
	v_cmp_eq_u32_e64 s21, 0, v6
	s_or_not1_b32 s31, s21, exec_lo
; %bb.51:
	s_or_b32 exec_lo, exec_lo, s33
	s_and_saveexec_b32 s21, s31
	s_cbranch_execz .LBB1715_54
; %bb.52:
	s_add_co_i32 s31, s24, 4
	s_delay_alu instid0(SALU_CYCLE_1) | instskip(SKIP_2) | instid1(SALU_CYCLE_1)
	s_cmp_gt_u32 s25, s31
	s_cselect_b32 s33, -1, 0
	s_xor_b32 s20, s20, -1
	s_and_b32 s20, s33, s20
	s_delay_alu instid0(SALU_CYCLE_1)
	s_and_b32 exec_lo, exec_lo, s20
	s_cbranch_execz .LBB1715_54
; %bb.53:
	v_dual_lshrrev_b32 v3, s31, v3 :: v_dual_lshlrev_b32 v6, 2, v1
	s_sub_co_i32 s20, s25, s31
	s_delay_alu instid0(SALU_CYCLE_1)
	s_min_u32 s20, s20, 4
	s_delay_alu instid0(VALU_DEP_1) | instid1(SALU_CYCLE_1)
	v_bfe_u32 v3, v3, 0, s20
	s_delay_alu instid0(VALU_DEP_1)
	v_lshl_or_b32 v3, v3, 4, v6
	v_mov_b32_e32 v6, 1
	ds_add_u32 v3, v6 offset:256
.LBB1715_54:
	s_or_b32 exec_lo, exec_lo, s21
	v_cmp_le_u32_e64 s20, s28, v2
	s_xor_b32 s19, s19, -1
	v_mov_b32_e32 v3, s30
	v_cndmask_b32_e64 v2, 0, 1, s19
	s_nor_b32 s21, s29, s20
	s_delay_alu instid0(SALU_CYCLE_1)
	s_and_saveexec_b32 s19, s21
	s_cbranch_execz .LBB1715_56
; %bb.55:
	s_delay_alu instid0(VALU_DEP_1) | instskip(SKIP_1) | instid1(SALU_CYCLE_1)
	v_dual_lshrrev_b32 v3, s24, v2 :: v_dual_lshlrev_b32 v6, 2, v1
	s_sub_co_i32 s21, s25, s24
	s_min_u32 s21, s21, 4
	s_delay_alu instid0(VALU_DEP_1) | instid1(SALU_CYCLE_1)
	v_bfe_u32 v3, v3, 0, s21
	s_delay_alu instid0(VALU_DEP_1)
	v_lshl_or_b32 v3, v3, 4, v6
	v_mov_b32_e32 v6, 1
	ds_add_u32 v3, v6
	v_mov_b32_e32 v3, 0
.LBB1715_56:
	s_or_b32 exec_lo, exec_lo, s19
	s_mov_b32 s21, -1
	s_mov_b32 s31, exec_lo
	s_delay_alu instid0(VALU_DEP_1)
	v_cmpx_gt_i32_e32 10, v3
; %bb.57:
	v_cmp_eq_u32_e64 s19, 0, v3
	s_or_not1_b32 s21, s19, exec_lo
; %bb.58:
	s_or_b32 exec_lo, exec_lo, s31
	s_and_saveexec_b32 s19, s21
	s_cbranch_execz .LBB1715_61
; %bb.59:
	s_add_co_i32 s21, s24, 4
	s_delay_alu instid0(SALU_CYCLE_1) | instskip(SKIP_2) | instid1(SALU_CYCLE_1)
	s_cmp_gt_u32 s25, s21
	s_cselect_b32 s31, -1, 0
	s_xor_b32 s20, s20, -1
	s_and_b32 s20, s31, s20
	s_delay_alu instid0(SALU_CYCLE_1)
	s_and_b32 exec_lo, exec_lo, s20
	s_cbranch_execz .LBB1715_61
; %bb.60:
	v_dual_lshrrev_b32 v2, s21, v2 :: v_dual_lshlrev_b32 v3, 2, v1
	s_sub_co_i32 s20, s25, s21
	s_delay_alu instid0(SALU_CYCLE_1)
	s_min_u32 s20, s20, 4
	s_delay_alu instid0(VALU_DEP_1) | instid1(SALU_CYCLE_1)
	v_bfe_u32 v2, v2, 0, s20
	s_delay_alu instid0(VALU_DEP_1)
	v_lshl_or_b32 v2, v2, 4, v3
	v_mov_b32_e32 v3, 1
	ds_add_u32 v2, v3 offset:256
.LBB1715_61:
	s_or_b32 exec_lo, exec_lo, s19
	v_cmp_le_u32_e64 s19, s28, v4
	s_xor_b32 s18, s18, -1
	v_mov_b32_e32 v3, s30
	v_cndmask_b32_e64 v2, 0, 1, s18
	s_nor_b32 s20, s29, s19
	s_delay_alu instid0(SALU_CYCLE_1)
	s_and_saveexec_b32 s18, s20
	s_cbranch_execz .LBB1715_63
; %bb.62:
	s_delay_alu instid0(VALU_DEP_1) | instskip(SKIP_1) | instid1(SALU_CYCLE_1)
	v_dual_lshrrev_b32 v3, s24, v2 :: v_dual_lshlrev_b32 v4, 2, v1
	s_sub_co_i32 s20, s25, s24
	s_min_u32 s20, s20, 4
	s_delay_alu instid0(VALU_DEP_1) | instid1(SALU_CYCLE_1)
	v_bfe_u32 v3, v3, 0, s20
	s_delay_alu instid0(VALU_DEP_1)
	v_lshl_or_b32 v3, v3, 4, v4
	v_mov_b32_e32 v4, 1
	ds_add_u32 v3, v4
	v_mov_b32_e32 v3, 0
.LBB1715_63:
	;; [unrolled: 56-line block ×20, first 2 shown]
	s_or_b32 exec_lo, exec_lo, s0
	s_mov_b32 s2, -1
	s_mov_b32 s3, exec_lo
	s_delay_alu instid0(VALU_DEP_1)
	v_cmpx_gt_i32_e32 10, v3
; %bb.190:
	v_cmp_eq_u32_e64 s0, 0, v3
	s_or_not1_b32 s2, s0, exec_lo
; %bb.191:
	s_or_b32 exec_lo, exec_lo, s3
	s_and_saveexec_b32 s0, s2
	s_cbranch_execz .LBB1715_194
; %bb.192:
	s_add_co_i32 s2, s24, 4
	s_delay_alu instid0(SALU_CYCLE_1) | instskip(SKIP_2) | instid1(SALU_CYCLE_1)
	s_cmp_gt_u32 s25, s2
	s_cselect_b32 s3, -1, 0
	s_xor_b32 s1, s1, -1
	s_and_b32 s1, s3, s1
	s_delay_alu instid0(SALU_CYCLE_1)
	s_and_b32 exec_lo, exec_lo, s1
	s_cbranch_execz .LBB1715_194
; %bb.193:
	v_dual_lshrrev_b32 v2, s2, v2 :: v_dual_lshlrev_b32 v3, 2, v1
	s_sub_co_i32 s1, s25, s2
	s_delay_alu instid0(SALU_CYCLE_1)
	s_min_u32 s1, s1, 4
	s_delay_alu instid0(VALU_DEP_1) | instid1(SALU_CYCLE_1)
	v_bfe_u32 v2, v2, 0, s1
	s_delay_alu instid0(VALU_DEP_1)
	v_lshl_or_b32 v2, v2, 4, v3
	v_mov_b32_e32 v3, 1
	ds_add_u32 v2, v3 offset:256
.LBB1715_194:
	s_or_b32 exec_lo, exec_lo, s0
	v_cmp_le_u32_e64 s0, s28, v44
	s_xor_b32 s1, vcc_lo, -1
	v_mov_b32_e32 v3, s30
	v_cndmask_b32_e64 v2, 0, 1, s1
	s_nor_b32 s2, s29, s0
	s_delay_alu instid0(SALU_CYCLE_1)
	s_and_saveexec_b32 s1, s2
	s_cbranch_execz .LBB1715_196
; %bb.195:
	s_delay_alu instid0(VALU_DEP_1) | instskip(SKIP_1) | instid1(SALU_CYCLE_1)
	v_dual_lshrrev_b32 v3, s24, v2 :: v_dual_lshlrev_b32 v4, 2, v1
	s_sub_co_i32 s2, s25, s24
	s_min_u32 s2, s2, 4
	s_delay_alu instid0(VALU_DEP_1) | instid1(SALU_CYCLE_1)
	v_bfe_u32 v3, v3, 0, s2
	s_delay_alu instid0(VALU_DEP_1)
	v_lshl_or_b32 v3, v3, 4, v4
	v_mov_b32_e32 v4, 1
	ds_add_u32 v3, v4
	v_mov_b32_e32 v3, 0
.LBB1715_196:
	s_or_b32 exec_lo, exec_lo, s1
	s_mov_b32 s2, -1
	s_mov_b32 s1, exec_lo
	s_delay_alu instid0(VALU_DEP_1)
	v_cmpx_gt_i32_e32 10, v3
; %bb.197:
	v_cmp_eq_u32_e32 vcc_lo, 0, v3
	s_or_not1_b32 s2, vcc_lo, exec_lo
; %bb.198:
	s_or_b32 exec_lo, exec_lo, s1
	s_and_saveexec_b32 s1, s2
	s_cbranch_execz .LBB1715_201
; %bb.199:
	s_add_co_i32 s2, s24, 4
	s_delay_alu instid0(SALU_CYCLE_1) | instskip(SKIP_2) | instid1(SALU_CYCLE_1)
	s_cmp_gt_u32 s25, s2
	s_cselect_b32 s3, -1, 0
	s_xor_b32 s0, s0, -1
	s_and_b32 s0, s3, s0
	s_delay_alu instid0(SALU_CYCLE_1)
	s_and_b32 exec_lo, exec_lo, s0
	s_cbranch_execz .LBB1715_201
; %bb.200:
	v_dual_lshrrev_b32 v2, s2, v2 :: v_dual_lshlrev_b32 v3, 2, v1
	s_sub_co_i32 s0, s25, s2
	s_delay_alu instid0(SALU_CYCLE_1)
	s_min_u32 s0, s0, 4
	s_delay_alu instid0(VALU_DEP_1) | instid1(SALU_CYCLE_1)
	v_bfe_u32 v2, v2, 0, s0
	s_delay_alu instid0(VALU_DEP_1)
	v_lshl_or_b32 v2, v2, 4, v3
	v_mov_b32_e32 v3, 1
	ds_add_u32 v2, v3 offset:256
.LBB1715_201:
	s_or_b32 exec_lo, exec_lo, s1
	s_cmp_gt_u32 s25, s24
	s_wait_dscnt 0x0
	s_barrier_signal -1
	s_barrier_wait -1
	s_cbranch_scc0 .LBB1715_206
; %bb.202:
	v_dual_mov_b32 v3, 0 :: v_dual_lshlrev_b32 v4, 4, v0
	v_mov_b32_e32 v5, v0
	s_mov_b32 s0, s24
	v_cmp_gt_u32_e32 vcc_lo, 16, v0
	s_branch .LBB1715_204
.LBB1715_203:                           ;   in Loop: Header=BB1715_204 Depth=1
	s_wait_xcnt 0x0
	s_or_b32 exec_lo, exec_lo, s1
	v_add_nc_u32_e32 v5, 16, v5
	v_add_nc_u32_e32 v4, 0x100, v4
	s_add_co_i32 s0, s0, 4
	s_delay_alu instid0(SALU_CYCLE_1)
	s_cmp_lt_u32 s0, s25
	s_cbranch_scc0 .LBB1715_206
.LBB1715_204:                           ; =>This Inner Loop Header: Depth=1
	s_and_saveexec_b32 s1, vcc_lo
	s_cbranch_execz .LBB1715_203
; %bb.205:                              ;   in Loop: Header=BB1715_204 Depth=1
	ds_load_2addr_b32 v[6:7], v4 offset1:1
	ds_load_2addr_b32 v[8:9], v4 offset0:2 offset1:3
	s_wait_dscnt 0x1
	v_add_nc_u32_e32 v2, v7, v6
	s_wait_dscnt 0x0
	s_delay_alu instid0(VALU_DEP_1)
	v_add3_u32 v2, v2, v8, v9
	global_atomic_add_u64 v5, v[2:3], s[22:23] scale_offset scope:SCOPE_DEV
	s_branch .LBB1715_203
.LBB1715_206:
	s_mov_b32 s3, 0
.LBB1715_207:
	s_delay_alu instid0(SALU_CYCLE_1)
	s_and_b32 vcc_lo, exec_lo, s3
	s_cbranch_vccz .LBB1715_268
; %bb.208:
	s_clause 0x15
	global_load_u8 v25, v0, s[26:27]
	global_load_u8 v24, v0, s[26:27] offset:1024
	global_load_u8 v23, v0, s[26:27] offset:2048
	global_load_u8 v22, v0, s[26:27] offset:3072
	global_load_u8 v21, v0, s[26:27] offset:4096
	global_load_u8 v20, v0, s[26:27] offset:5120
	global_load_u8 v19, v0, s[26:27] offset:6144
	global_load_u8 v18, v0, s[26:27] offset:7168
	global_load_u8 v17, v0, s[26:27] offset:8192
	global_load_u8 v16, v0, s[26:27] offset:9216
	global_load_u8 v15, v0, s[26:27] offset:10240
	global_load_u8 v14, v0, s[26:27] offset:11264
	global_load_u8 v13, v0, s[26:27] offset:12288
	global_load_u8 v12, v0, s[26:27] offset:13312
	global_load_u8 v11, v0, s[26:27] offset:14336
	global_load_u8 v10, v0, s[26:27] offset:15360
	global_load_u8 v9, v0, s[26:27] offset:16384
	global_load_u8 v8, v0, s[26:27] offset:17408
	global_load_u8 v7, v0, s[26:27] offset:18432
	global_load_u8 v6, v0, s[26:27] offset:19456
	global_load_u8 v5, v0, s[26:27] offset:20480
	global_load_u8 v4, v0, s[26:27] offset:21504
	s_cmp_lg_u32 s24, 0
	s_cselect_b32 s0, -1, 0
	s_cmp_lg_u32 s25, 8
	s_cselect_b32 s1, -1, 0
	s_delay_alu instid0(SALU_CYCLE_1)
	s_or_b32 s1, s0, s1
	v_cmp_gt_u32_e64 s0, 0x80, v0
	s_and_b32 vcc_lo, exec_lo, s1
	s_mov_b32 s1, -1
	s_cbranch_vccz .LBB1715_263
; %bb.209:
	s_wait_xcnt 0x0
	s_and_saveexec_b32 s1, s0
; %bb.210:
	v_dual_mov_b32 v3, 0 :: v_dual_lshlrev_b32 v2, 2, v0
	ds_store_b32 v2, v3
; %bb.211:
	s_or_b32 exec_lo, exec_lo, s1
	s_cmp_gt_u32 s25, s24
	s_wait_storecnt 0x0
	s_wait_loadcnt_dscnt 0x0
	s_cselect_b32 s1, -1, 0
	s_barrier_signal -1
	s_and_b32 vcc_lo, exec_lo, s1
	s_barrier_wait -1
	s_cbranch_vccz .LBB1715_257
; %bb.212:
	v_xor_b32_e32 v2, 1, v25
	s_sub_co_i32 s2, s25, s24
	v_xor_b32_e32 v28, 1, v24
	s_min_u32 s2, s2, 4
	s_mov_b32 s5, -1
	v_and_b32_e32 v3, 0xff, v2
	s_lshl_b32 s3, -1, s2
	v_dual_mov_b32 v27, 1 :: v_dual_lshlrev_b32 v2, 2, v1
	s_add_co_i32 s2, s24, 4
	s_delay_alu instid0(VALU_DEP_2) | instskip(NEXT) | instid1(VALU_DEP_1)
	v_lshrrev_b32_e32 v26, s24, v3
	v_bitop3_b32 v26, v26, s3, v26 bitop3:0x30
	s_not_b32 s3, s3
	s_cmp_le_u32 s25, s2
	s_cselect_b32 s4, -1, 0
	s_delay_alu instid0(VALU_DEP_1) | instskip(SKIP_3) | instid1(VALU_DEP_1)
	v_lshl_or_b32 v26, v26, 4, v2
	s_and_b32 vcc_lo, exec_lo, s4
	ds_add_u32 v26, v27
	v_and_b32_e32 v26, 0xff, v28
                                        ; implicit-def: $vgpr28
	v_lshrrev_b32_e32 v27, s24, v26
	s_delay_alu instid0(VALU_DEP_1)
	v_and_b32_e32 v27, s3, v27
	s_cbranch_vccz .LBB1715_214
; %bb.213:
	s_delay_alu instid0(VALU_DEP_1)
	v_lshlrev_b32_e32 v28, 4, v27
	s_mov_b32 s5, 0
.LBB1715_214:
	s_delay_alu instid0(SALU_CYCLE_1)
	s_and_not1_b32 vcc_lo, exec_lo, s5
	s_cbranch_vccnz .LBB1715_216
; %bb.215:
	s_sub_co_i32 s5, s25, s2
	v_dual_mov_b32 v28, 1 :: v_dual_lshrrev_b32 v3, s2, v3
	s_min_u32 s5, s5, 4
	v_lshl_or_b32 v27, v27, 4, v2
	s_lshl_b32 s5, -1, s5
	s_delay_alu instid0(VALU_DEP_2) | instid1(SALU_CYCLE_1)
	v_bitop3_b32 v3, v3, s5, v3 bitop3:0x30
	s_delay_alu instid0(VALU_DEP_1) | instskip(SKIP_3) | instid1(VALU_DEP_1)
	v_lshl_or_b32 v3, v3, 4, v2
	ds_add_u32 v3, v28 offset:256
	ds_add_u32 v27, v28
	v_lshrrev_b32_e32 v3, s2, v26
	v_bitop3_b32 v3, v3, s5, v3 bitop3:0x30
	s_delay_alu instid0(VALU_DEP_1)
	v_lshl_add_u32 v28, v3, 4, 0x100
.LBB1715_216:
	s_delay_alu instid0(VALU_DEP_1) | instskip(SKIP_3) | instid1(VALU_DEP_3)
	v_dual_add_nc_u32 v27, v28, v2 :: v_dual_bitop2_b32 v3, 1, v23 bitop3:0x14
	v_xor_b32_e32 v29, 1, v22
	s_and_b32 vcc_lo, exec_lo, s4
	v_mov_b32_e32 v28, 1
	v_and_b32_e32 v3, 0xff, v3
	s_delay_alu instid0(VALU_DEP_1) | instskip(NEXT) | instid1(VALU_DEP_1)
	v_lshrrev_b32_e32 v26, s24, v3
	v_and_b32_e32 v26, s3, v26
	s_delay_alu instid0(VALU_DEP_1) | instskip(SKIP_3) | instid1(VALU_DEP_1)
	v_lshl_or_b32 v26, v26, 4, v2
	ds_add_u32 v27, v28
	ds_add_u32 v26, v28
	v_and_b32_e32 v26, 0xff, v29
	v_lshrrev_b32_e32 v27, s24, v26
	s_delay_alu instid0(VALU_DEP_1)
	v_and_b32_e32 v27, s3, v27
	s_cbranch_vccz .LBB1715_218
; %bb.217:
	s_delay_alu instid0(VALU_DEP_1)
	v_lshlrev_b32_e32 v28, 4, v27
	s_cbranch_execz .LBB1715_219
	s_branch .LBB1715_220
.LBB1715_218:
                                        ; implicit-def: $vgpr28
.LBB1715_219:
	s_sub_co_i32 s5, s25, s2
	v_dual_mov_b32 v28, 1 :: v_dual_lshrrev_b32 v3, s2, v3
	s_min_u32 s5, s5, 4
	v_lshl_or_b32 v27, v27, 4, v2
	s_lshl_b32 s5, -1, s5
	s_delay_alu instid0(VALU_DEP_2) | instid1(SALU_CYCLE_1)
	v_bitop3_b32 v3, v3, s5, v3 bitop3:0x30
	s_delay_alu instid0(VALU_DEP_1) | instskip(SKIP_3) | instid1(VALU_DEP_1)
	v_lshl_or_b32 v3, v3, 4, v2
	ds_add_u32 v3, v28 offset:256
	ds_add_u32 v27, v28
	v_lshrrev_b32_e32 v3, s2, v26
	v_bitop3_b32 v3, v3, s5, v3 bitop3:0x30
	s_delay_alu instid0(VALU_DEP_1)
	v_lshl_add_u32 v28, v3, 4, 0x100
.LBB1715_220:
	s_delay_alu instid0(VALU_DEP_1) | instskip(SKIP_3) | instid1(VALU_DEP_3)
	v_dual_add_nc_u32 v27, v28, v2 :: v_dual_bitop2_b32 v3, 1, v21 bitop3:0x14
	v_xor_b32_e32 v29, 1, v20
	s_and_b32 vcc_lo, exec_lo, s4
	v_mov_b32_e32 v28, 1
	v_and_b32_e32 v3, 0xff, v3
	s_delay_alu instid0(VALU_DEP_1) | instskip(NEXT) | instid1(VALU_DEP_1)
	v_lshrrev_b32_e32 v26, s24, v3
	v_and_b32_e32 v26, s3, v26
	s_delay_alu instid0(VALU_DEP_1) | instskip(SKIP_3) | instid1(VALU_DEP_1)
	v_lshl_or_b32 v26, v26, 4, v2
	ds_add_u32 v27, v28
	ds_add_u32 v26, v28
	v_and_b32_e32 v26, 0xff, v29
	v_lshrrev_b32_e32 v27, s24, v26
	s_delay_alu instid0(VALU_DEP_1)
	v_and_b32_e32 v27, s3, v27
	s_cbranch_vccz .LBB1715_222
; %bb.221:
	s_delay_alu instid0(VALU_DEP_1)
	v_lshlrev_b32_e32 v28, 4, v27
	s_cbranch_execz .LBB1715_223
	s_branch .LBB1715_224
.LBB1715_222:
                                        ; implicit-def: $vgpr28
.LBB1715_223:
	s_sub_co_i32 s5, s25, s2
	v_dual_mov_b32 v28, 1 :: v_dual_lshrrev_b32 v3, s2, v3
	s_min_u32 s5, s5, 4
	v_lshl_or_b32 v27, v27, 4, v2
	s_lshl_b32 s5, -1, s5
	s_delay_alu instid0(VALU_DEP_2) | instid1(SALU_CYCLE_1)
	v_bitop3_b32 v3, v3, s5, v3 bitop3:0x30
	s_delay_alu instid0(VALU_DEP_1) | instskip(SKIP_3) | instid1(VALU_DEP_1)
	v_lshl_or_b32 v3, v3, 4, v2
	ds_add_u32 v3, v28 offset:256
	ds_add_u32 v27, v28
	v_lshrrev_b32_e32 v3, s2, v26
	v_bitop3_b32 v3, v3, s5, v3 bitop3:0x30
	s_delay_alu instid0(VALU_DEP_1)
	v_lshl_add_u32 v28, v3, 4, 0x100
.LBB1715_224:
	;; [unrolled: 42-line block ×9, first 2 shown]
	s_delay_alu instid0(VALU_DEP_1) | instskip(SKIP_3) | instid1(VALU_DEP_3)
	v_dual_add_nc_u32 v27, v28, v2 :: v_dual_bitop2_b32 v3, 1, v5 bitop3:0x14
	v_xor_b32_e32 v29, 1, v4
	s_and_b32 vcc_lo, exec_lo, s4
	v_mov_b32_e32 v28, 1
	v_and_b32_e32 v3, 0xff, v3
	s_delay_alu instid0(VALU_DEP_1) | instskip(NEXT) | instid1(VALU_DEP_1)
	v_lshrrev_b32_e32 v26, s24, v3
	v_and_b32_e32 v26, s3, v26
	s_delay_alu instid0(VALU_DEP_1) | instskip(SKIP_3) | instid1(VALU_DEP_1)
	v_lshl_or_b32 v26, v26, 4, v2
	ds_add_u32 v27, v28
	ds_add_u32 v26, v28
	v_and_b32_e32 v26, 0xff, v29
	v_lshrrev_b32_e32 v27, s24, v26
	s_delay_alu instid0(VALU_DEP_1)
	v_and_b32_e32 v27, s3, v27
	s_cbranch_vccz .LBB1715_254
; %bb.253:
	s_delay_alu instid0(VALU_DEP_1)
	v_lshlrev_b32_e32 v28, 4, v27
	s_cbranch_execz .LBB1715_255
	s_branch .LBB1715_256
.LBB1715_254:
                                        ; implicit-def: $vgpr28
.LBB1715_255:
	s_sub_co_i32 s3, s25, s2
	v_dual_mov_b32 v28, 1 :: v_dual_lshrrev_b32 v3, s2, v3
	s_min_u32 s3, s3, 4
	s_delay_alu instid0(SALU_CYCLE_1)
	s_lshl_b32 s3, -1, s3
	s_delay_alu instid0(VALU_DEP_1) | instid1(SALU_CYCLE_1)
	v_bitop3_b32 v3, v3, s3, v3 bitop3:0x30
	s_delay_alu instid0(VALU_DEP_1) | instskip(SKIP_4) | instid1(VALU_DEP_1)
	v_lshl_or_b32 v3, v3, 4, v2
	v_lshl_or_b32 v2, v27, 4, v2
	ds_add_u32 v3, v28 offset:256
	ds_add_u32 v2, v28
	v_lshrrev_b32_e32 v2, s2, v26
	v_bitop3_b32 v2, v2, s3, v2 bitop3:0x30
	s_delay_alu instid0(VALU_DEP_1)
	v_lshl_add_u32 v28, v2, 4, 0x100
.LBB1715_256:
	s_delay_alu instid0(VALU_DEP_1)
	v_lshl_add_u32 v2, v1, 2, v28
	v_mov_b32_e32 v3, 1
	ds_add_u32 v2, v3
.LBB1715_257:
	s_and_b32 vcc_lo, exec_lo, s1
	s_wait_dscnt 0x0
	s_barrier_signal -1
	s_barrier_wait -1
	s_cbranch_vccz .LBB1715_262
; %bb.258:
	v_dual_mov_b32 v3, 0 :: v_dual_lshlrev_b32 v26, 4, v0
	v_mov_b32_e32 v27, v0
	v_cmp_gt_u32_e32 vcc_lo, 16, v0
	s_branch .LBB1715_260
.LBB1715_259:                           ;   in Loop: Header=BB1715_260 Depth=1
	s_wait_xcnt 0x0
	s_or_b32 exec_lo, exec_lo, s1
	v_add_nc_u32_e32 v27, 16, v27
	v_add_nc_u32_e32 v26, 0x100, v26
	s_add_co_i32 s24, s24, 4
	s_delay_alu instid0(SALU_CYCLE_1)
	s_cmp_ge_u32 s24, s25
	s_cbranch_scc1 .LBB1715_262
.LBB1715_260:                           ; =>This Inner Loop Header: Depth=1
	s_and_saveexec_b32 s1, vcc_lo
	s_cbranch_execz .LBB1715_259
; %bb.261:                              ;   in Loop: Header=BB1715_260 Depth=1
	ds_load_2addr_b32 v[28:29], v26 offset1:1
	ds_load_2addr_b32 v[30:31], v26 offset0:2 offset1:3
	s_wait_dscnt 0x1
	v_add_nc_u32_e32 v2, v29, v28
	s_wait_dscnt 0x0
	s_delay_alu instid0(VALU_DEP_1)
	v_add3_u32 v2, v2, v30, v31
	global_atomic_add_u64 v27, v[2:3], s[22:23] scale_offset scope:SCOPE_DEV
	s_branch .LBB1715_259
.LBB1715_262:
	s_mov_b32 s1, 0
.LBB1715_263:
	s_delay_alu instid0(SALU_CYCLE_1)
	s_and_b32 vcc_lo, exec_lo, s1
	s_cbranch_vccz .LBB1715_268
; %bb.264:
	s_wait_xcnt 0x0
	s_and_saveexec_b32 s1, s0
; %bb.265:
	v_dual_mov_b32 v3, 0 :: v_dual_lshlrev_b32 v2, 2, v0
	ds_store_b32 v2, v3
; %bb.266:
	s_or_b32 exec_lo, exec_lo, s1
	s_wait_loadcnt 0x15
	v_lshlrev_b16 v2, 4, v25
	s_wait_loadcnt 0x14
	v_lshlrev_b16 v3, 4, v24
	v_dual_mov_b32 v24, 1 :: v_dual_lshlrev_b32 v1, 2, v1
	s_wait_loadcnt 0x13
	v_lshlrev_b16 v23, 4, v23
	v_and_b32_e32 v2, 0xf0, v2
	v_and_b32_e32 v3, 0xf0, v3
	s_wait_loadcnt 0x12
	v_lshlrev_b16 v22, 4, v22
	s_wait_storecnt 0x0
	s_wait_loadcnt_dscnt 0x0
	s_barrier_signal -1
	v_bitop3_b32 v2, v1, v2, 16 bitop3:0xf6
	v_bitop3_b32 v3, v1, v3, 16 bitop3:0xf6
	s_barrier_wait -1
	v_and_b32_e32 v23, 0xf0, v23
	ds_add_u32 v2, v24
	ds_add_u32 v1, v24 offset:256
	v_lshlrev_b16 v2, 4, v21
	ds_add_u32 v3, v24
	v_and_b32_e32 v3, 0xf0, v22
	v_lshlrev_b16 v20, 4, v20
	v_bitop3_b32 v21, v1, v23, 16 bitop3:0xf6
	v_and_b32_e32 v2, 0xf0, v2
	ds_add_u32 v1, v24 offset:256
	v_bitop3_b32 v3, v1, v3, 16 bitop3:0xf6
	v_and_b32_e32 v20, 0xf0, v20
	ds_add_u32 v21, v24
	ds_add_u32 v1, v24 offset:256
	v_bitop3_b32 v2, v1, v2, 16 bitop3:0xf6
	v_lshlrev_b16 v18, 4, v18
	ds_add_u32 v3, v24
	v_lshlrev_b16 v3, 4, v19
	ds_add_u32 v1, v24 offset:256
	ds_add_u32 v2, v24
	v_bitop3_b32 v2, v1, v20, 16 bitop3:0xf6
	v_lshlrev_b16 v17, 4, v17
	ds_add_u32 v1, v24 offset:256
	v_and_b32_e32 v3, 0xf0, v3
	v_lshlrev_b16 v16, 4, v16
	ds_add_u32 v2, v24
	v_and_b32_e32 v2, 0xf0, v18
	v_and_b32_e32 v17, 0xf0, v17
	v_bitop3_b32 v3, v1, v3, 16 bitop3:0xf6
	ds_add_u32 v1, v24 offset:256
	v_and_b32_e32 v16, 0xf0, v16
	v_bitop3_b32 v2, v1, v2, 16 bitop3:0xf6
	ds_add_u32 v3, v24
	ds_add_u32 v1, v24 offset:256
	v_bitop3_b32 v3, v1, v17, 16 bitop3:0xf6
	v_lshlrev_b16 v14, 4, v14
	ds_add_u32 v2, v24
	v_lshlrev_b16 v2, 4, v15
	ds_add_u32 v1, v24 offset:256
	ds_add_u32 v3, v24
	v_bitop3_b32 v3, v1, v16, 16 bitop3:0xf6
	ds_add_u32 v1, v24 offset:256
	v_lshlrev_b16 v13, 4, v13
	v_and_b32_e32 v2, 0xf0, v2
	v_lshlrev_b16 v12, 4, v12
	ds_add_u32 v3, v24
	v_and_b32_e32 v3, 0xf0, v14
	v_and_b32_e32 v13, 0xf0, v13
	v_bitop3_b32 v2, v1, v2, 16 bitop3:0xf6
	ds_add_u32 v1, v24 offset:256
	v_and_b32_e32 v12, 0xf0, v12
	v_bitop3_b32 v3, v1, v3, 16 bitop3:0xf6
	ds_add_u32 v2, v24
	ds_add_u32 v1, v24 offset:256
	v_bitop3_b32 v2, v1, v13, 16 bitop3:0xf6
	v_lshlrev_b16 v10, 4, v10
	ds_add_u32 v3, v24
	v_lshlrev_b16 v3, 4, v11
	ds_add_u32 v1, v24 offset:256
	ds_add_u32 v2, v24
	v_bitop3_b32 v2, v1, v12, 16 bitop3:0xf6
	v_lshlrev_b16 v9, 4, v9
	ds_add_u32 v1, v24 offset:256
	v_and_b32_e32 v3, 0xf0, v3
	v_lshlrev_b16 v8, 4, v8
	ds_add_u32 v2, v24
	v_and_b32_e32 v2, 0xf0, v10
	v_and_b32_e32 v9, 0xf0, v9
	v_bitop3_b32 v3, v1, v3, 16 bitop3:0xf6
	ds_add_u32 v1, v24 offset:256
	ds_add_u32 v3, v24
	ds_add_u32 v1, v24 offset:256
	v_bitop3_b32 v2, v1, v2, 16 bitop3:0xf6
	v_bitop3_b32 v3, v1, v9, 16 bitop3:0xf6
	v_and_b32_e32 v8, 0xf0, v8
	ds_add_u32 v2, v24
	ds_add_u32 v1, v24 offset:256
	v_lshlrev_b16 v2, 4, v7
	ds_add_u32 v3, v24
	v_bitop3_b32 v3, v1, v8, 16 bitop3:0xf6
	v_lshlrev_b16 v6, 4, v6
	v_lshlrev_b16 v5, 4, v5
	v_and_b32_e32 v2, 0xf0, v2
	ds_add_u32 v1, v24 offset:256
	ds_add_u32 v3, v24
	v_lshlrev_b16 v3, 4, v4
	v_and_b32_e32 v4, 0xf0, v6
	v_bitop3_b32 v2, v1, v2, 16 bitop3:0xf6
	v_and_b32_e32 v5, 0xf0, v5
	ds_add_u32 v1, v24 offset:256
	v_and_b32_e32 v3, 0xf0, v3
	v_bitop3_b32 v4, v1, v4, 16 bitop3:0xf6
	ds_add_u32 v2, v24
	v_bitop3_b32 v2, v1, v5, 16 bitop3:0xf6
	ds_add_u32 v1, v24 offset:256
	v_bitop3_b32 v3, v1, v3, 16 bitop3:0xf6
	ds_add_u32 v4, v24
	ds_add_u32 v1, v24 offset:256
	ds_add_u32 v2, v24
	ds_add_u32 v1, v24 offset:256
	;; [unrolled: 2-line block ×3, first 2 shown]
	s_wait_dscnt 0x0
	s_barrier_signal -1
	s_barrier_wait -1
	s_mov_b32 s0, exec_lo
	v_cmpx_gt_u32_e32 16, v0
	s_cbranch_execz .LBB1715_268
; %bb.267:
	v_lshlrev_b32_e32 v1, 4, v0
	ds_load_2addr_b32 v[2:3], v1 offset1:1
	ds_load_2addr_b32 v[4:5], v1 offset0:2 offset1:3
	s_wait_dscnt 0x1
	v_dual_mov_b32 v3, 0 :: v_dual_add_nc_u32 v2, v3, v2
	s_wait_dscnt 0x0
	s_delay_alu instid0(VALU_DEP_1)
	v_add3_u32 v2, v2, v4, v5
	global_atomic_add_u64 v0, v[2:3], s[22:23] scale_offset scope:SCOPE_DEV
	ds_load_2addr_b32 v[4:5], v1 offset0:64 offset1:65
	ds_load_2addr_b32 v[6:7], v1 offset0:66 offset1:67
	s_wait_dscnt 0x1
	v_add_nc_u32_e32 v1, v5, v4
	s_wait_dscnt 0x0
	s_wait_xcnt 0x0
	s_delay_alu instid0(VALU_DEP_1)
	v_add3_u32 v2, v1, v6, v7
	global_atomic_add_u64 v0, v[2:3], s[22:23] offset:128 scale_offset scope:SCOPE_DEV
.LBB1715_268:
	s_endpgm
	.section	.rodata,"a",@progbits
	.p2align	6, 0x0
	.amdhsa_kernel _ZN7rocprim17ROCPRIM_400000_NS6detail17trampoline_kernelINS0_14default_configENS1_35radix_sort_onesweep_config_selectorIbNS0_10empty_typeEEEZNS1_34radix_sort_onesweep_global_offsetsIS3_Lb1EPKbPS5_mNS0_19identity_decomposerEEE10hipError_tT1_T2_PT3_SF_jT4_jjP12ihipStream_tbEUlT_E_NS1_11comp_targetILNS1_3genE0ELNS1_11target_archE4294967295ELNS1_3gpuE0ELNS1_3repE0EEENS1_52radix_sort_onesweep_histogram_config_static_selectorELNS0_4arch9wavefront6targetE0EEEvSD_
		.amdhsa_group_segment_fixed_size 512
		.amdhsa_private_segment_fixed_size 0
		.amdhsa_kernarg_size 48
		.amdhsa_user_sgpr_count 2
		.amdhsa_user_sgpr_dispatch_ptr 0
		.amdhsa_user_sgpr_queue_ptr 0
		.amdhsa_user_sgpr_kernarg_segment_ptr 1
		.amdhsa_user_sgpr_dispatch_id 0
		.amdhsa_user_sgpr_kernarg_preload_length 0
		.amdhsa_user_sgpr_kernarg_preload_offset 0
		.amdhsa_user_sgpr_private_segment_size 0
		.amdhsa_wavefront_size32 1
		.amdhsa_uses_dynamic_stack 0
		.amdhsa_enable_private_segment 0
		.amdhsa_system_sgpr_workgroup_id_x 1
		.amdhsa_system_sgpr_workgroup_id_y 0
		.amdhsa_system_sgpr_workgroup_id_z 0
		.amdhsa_system_sgpr_workgroup_info 0
		.amdhsa_system_vgpr_workitem_id 0
		.amdhsa_next_free_vgpr 47
		.amdhsa_next_free_sgpr 34
		.amdhsa_named_barrier_count 0
		.amdhsa_reserve_vcc 1
		.amdhsa_float_round_mode_32 0
		.amdhsa_float_round_mode_16_64 0
		.amdhsa_float_denorm_mode_32 3
		.amdhsa_float_denorm_mode_16_64 3
		.amdhsa_fp16_overflow 0
		.amdhsa_memory_ordered 1
		.amdhsa_forward_progress 1
		.amdhsa_inst_pref_size 89
		.amdhsa_round_robin_scheduling 0
		.amdhsa_exception_fp_ieee_invalid_op 0
		.amdhsa_exception_fp_denorm_src 0
		.amdhsa_exception_fp_ieee_div_zero 0
		.amdhsa_exception_fp_ieee_overflow 0
		.amdhsa_exception_fp_ieee_underflow 0
		.amdhsa_exception_fp_ieee_inexact 0
		.amdhsa_exception_int_div_zero 0
	.end_amdhsa_kernel
	.section	.text._ZN7rocprim17ROCPRIM_400000_NS6detail17trampoline_kernelINS0_14default_configENS1_35radix_sort_onesweep_config_selectorIbNS0_10empty_typeEEEZNS1_34radix_sort_onesweep_global_offsetsIS3_Lb1EPKbPS5_mNS0_19identity_decomposerEEE10hipError_tT1_T2_PT3_SF_jT4_jjP12ihipStream_tbEUlT_E_NS1_11comp_targetILNS1_3genE0ELNS1_11target_archE4294967295ELNS1_3gpuE0ELNS1_3repE0EEENS1_52radix_sort_onesweep_histogram_config_static_selectorELNS0_4arch9wavefront6targetE0EEEvSD_,"axG",@progbits,_ZN7rocprim17ROCPRIM_400000_NS6detail17trampoline_kernelINS0_14default_configENS1_35radix_sort_onesweep_config_selectorIbNS0_10empty_typeEEEZNS1_34radix_sort_onesweep_global_offsetsIS3_Lb1EPKbPS5_mNS0_19identity_decomposerEEE10hipError_tT1_T2_PT3_SF_jT4_jjP12ihipStream_tbEUlT_E_NS1_11comp_targetILNS1_3genE0ELNS1_11target_archE4294967295ELNS1_3gpuE0ELNS1_3repE0EEENS1_52radix_sort_onesweep_histogram_config_static_selectorELNS0_4arch9wavefront6targetE0EEEvSD_,comdat
.Lfunc_end1715:
	.size	_ZN7rocprim17ROCPRIM_400000_NS6detail17trampoline_kernelINS0_14default_configENS1_35radix_sort_onesweep_config_selectorIbNS0_10empty_typeEEEZNS1_34radix_sort_onesweep_global_offsetsIS3_Lb1EPKbPS5_mNS0_19identity_decomposerEEE10hipError_tT1_T2_PT3_SF_jT4_jjP12ihipStream_tbEUlT_E_NS1_11comp_targetILNS1_3genE0ELNS1_11target_archE4294967295ELNS1_3gpuE0ELNS1_3repE0EEENS1_52radix_sort_onesweep_histogram_config_static_selectorELNS0_4arch9wavefront6targetE0EEEvSD_, .Lfunc_end1715-_ZN7rocprim17ROCPRIM_400000_NS6detail17trampoline_kernelINS0_14default_configENS1_35radix_sort_onesweep_config_selectorIbNS0_10empty_typeEEEZNS1_34radix_sort_onesweep_global_offsetsIS3_Lb1EPKbPS5_mNS0_19identity_decomposerEEE10hipError_tT1_T2_PT3_SF_jT4_jjP12ihipStream_tbEUlT_E_NS1_11comp_targetILNS1_3genE0ELNS1_11target_archE4294967295ELNS1_3gpuE0ELNS1_3repE0EEENS1_52radix_sort_onesweep_histogram_config_static_selectorELNS0_4arch9wavefront6targetE0EEEvSD_
                                        ; -- End function
	.set _ZN7rocprim17ROCPRIM_400000_NS6detail17trampoline_kernelINS0_14default_configENS1_35radix_sort_onesweep_config_selectorIbNS0_10empty_typeEEEZNS1_34radix_sort_onesweep_global_offsetsIS3_Lb1EPKbPS5_mNS0_19identity_decomposerEEE10hipError_tT1_T2_PT3_SF_jT4_jjP12ihipStream_tbEUlT_E_NS1_11comp_targetILNS1_3genE0ELNS1_11target_archE4294967295ELNS1_3gpuE0ELNS1_3repE0EEENS1_52radix_sort_onesweep_histogram_config_static_selectorELNS0_4arch9wavefront6targetE0EEEvSD_.num_vgpr, 47
	.set _ZN7rocprim17ROCPRIM_400000_NS6detail17trampoline_kernelINS0_14default_configENS1_35radix_sort_onesweep_config_selectorIbNS0_10empty_typeEEEZNS1_34radix_sort_onesweep_global_offsetsIS3_Lb1EPKbPS5_mNS0_19identity_decomposerEEE10hipError_tT1_T2_PT3_SF_jT4_jjP12ihipStream_tbEUlT_E_NS1_11comp_targetILNS1_3genE0ELNS1_11target_archE4294967295ELNS1_3gpuE0ELNS1_3repE0EEENS1_52radix_sort_onesweep_histogram_config_static_selectorELNS0_4arch9wavefront6targetE0EEEvSD_.num_agpr, 0
	.set _ZN7rocprim17ROCPRIM_400000_NS6detail17trampoline_kernelINS0_14default_configENS1_35radix_sort_onesweep_config_selectorIbNS0_10empty_typeEEEZNS1_34radix_sort_onesweep_global_offsetsIS3_Lb1EPKbPS5_mNS0_19identity_decomposerEEE10hipError_tT1_T2_PT3_SF_jT4_jjP12ihipStream_tbEUlT_E_NS1_11comp_targetILNS1_3genE0ELNS1_11target_archE4294967295ELNS1_3gpuE0ELNS1_3repE0EEENS1_52radix_sort_onesweep_histogram_config_static_selectorELNS0_4arch9wavefront6targetE0EEEvSD_.numbered_sgpr, 34
	.set _ZN7rocprim17ROCPRIM_400000_NS6detail17trampoline_kernelINS0_14default_configENS1_35radix_sort_onesweep_config_selectorIbNS0_10empty_typeEEEZNS1_34radix_sort_onesweep_global_offsetsIS3_Lb1EPKbPS5_mNS0_19identity_decomposerEEE10hipError_tT1_T2_PT3_SF_jT4_jjP12ihipStream_tbEUlT_E_NS1_11comp_targetILNS1_3genE0ELNS1_11target_archE4294967295ELNS1_3gpuE0ELNS1_3repE0EEENS1_52radix_sort_onesweep_histogram_config_static_selectorELNS0_4arch9wavefront6targetE0EEEvSD_.num_named_barrier, 0
	.set _ZN7rocprim17ROCPRIM_400000_NS6detail17trampoline_kernelINS0_14default_configENS1_35radix_sort_onesweep_config_selectorIbNS0_10empty_typeEEEZNS1_34radix_sort_onesweep_global_offsetsIS3_Lb1EPKbPS5_mNS0_19identity_decomposerEEE10hipError_tT1_T2_PT3_SF_jT4_jjP12ihipStream_tbEUlT_E_NS1_11comp_targetILNS1_3genE0ELNS1_11target_archE4294967295ELNS1_3gpuE0ELNS1_3repE0EEENS1_52radix_sort_onesweep_histogram_config_static_selectorELNS0_4arch9wavefront6targetE0EEEvSD_.private_seg_size, 0
	.set _ZN7rocprim17ROCPRIM_400000_NS6detail17trampoline_kernelINS0_14default_configENS1_35radix_sort_onesweep_config_selectorIbNS0_10empty_typeEEEZNS1_34radix_sort_onesweep_global_offsetsIS3_Lb1EPKbPS5_mNS0_19identity_decomposerEEE10hipError_tT1_T2_PT3_SF_jT4_jjP12ihipStream_tbEUlT_E_NS1_11comp_targetILNS1_3genE0ELNS1_11target_archE4294967295ELNS1_3gpuE0ELNS1_3repE0EEENS1_52radix_sort_onesweep_histogram_config_static_selectorELNS0_4arch9wavefront6targetE0EEEvSD_.uses_vcc, 1
	.set _ZN7rocprim17ROCPRIM_400000_NS6detail17trampoline_kernelINS0_14default_configENS1_35radix_sort_onesweep_config_selectorIbNS0_10empty_typeEEEZNS1_34radix_sort_onesweep_global_offsetsIS3_Lb1EPKbPS5_mNS0_19identity_decomposerEEE10hipError_tT1_T2_PT3_SF_jT4_jjP12ihipStream_tbEUlT_E_NS1_11comp_targetILNS1_3genE0ELNS1_11target_archE4294967295ELNS1_3gpuE0ELNS1_3repE0EEENS1_52radix_sort_onesweep_histogram_config_static_selectorELNS0_4arch9wavefront6targetE0EEEvSD_.uses_flat_scratch, 0
	.set _ZN7rocprim17ROCPRIM_400000_NS6detail17trampoline_kernelINS0_14default_configENS1_35radix_sort_onesweep_config_selectorIbNS0_10empty_typeEEEZNS1_34radix_sort_onesweep_global_offsetsIS3_Lb1EPKbPS5_mNS0_19identity_decomposerEEE10hipError_tT1_T2_PT3_SF_jT4_jjP12ihipStream_tbEUlT_E_NS1_11comp_targetILNS1_3genE0ELNS1_11target_archE4294967295ELNS1_3gpuE0ELNS1_3repE0EEENS1_52radix_sort_onesweep_histogram_config_static_selectorELNS0_4arch9wavefront6targetE0EEEvSD_.has_dyn_sized_stack, 0
	.set _ZN7rocprim17ROCPRIM_400000_NS6detail17trampoline_kernelINS0_14default_configENS1_35radix_sort_onesweep_config_selectorIbNS0_10empty_typeEEEZNS1_34radix_sort_onesweep_global_offsetsIS3_Lb1EPKbPS5_mNS0_19identity_decomposerEEE10hipError_tT1_T2_PT3_SF_jT4_jjP12ihipStream_tbEUlT_E_NS1_11comp_targetILNS1_3genE0ELNS1_11target_archE4294967295ELNS1_3gpuE0ELNS1_3repE0EEENS1_52radix_sort_onesweep_histogram_config_static_selectorELNS0_4arch9wavefront6targetE0EEEvSD_.has_recursion, 0
	.set _ZN7rocprim17ROCPRIM_400000_NS6detail17trampoline_kernelINS0_14default_configENS1_35radix_sort_onesweep_config_selectorIbNS0_10empty_typeEEEZNS1_34radix_sort_onesweep_global_offsetsIS3_Lb1EPKbPS5_mNS0_19identity_decomposerEEE10hipError_tT1_T2_PT3_SF_jT4_jjP12ihipStream_tbEUlT_E_NS1_11comp_targetILNS1_3genE0ELNS1_11target_archE4294967295ELNS1_3gpuE0ELNS1_3repE0EEENS1_52radix_sort_onesweep_histogram_config_static_selectorELNS0_4arch9wavefront6targetE0EEEvSD_.has_indirect_call, 0
	.section	.AMDGPU.csdata,"",@progbits
; Kernel info:
; codeLenInByte = 11328
; TotalNumSgprs: 36
; NumVgprs: 47
; ScratchSize: 0
; MemoryBound: 0
; FloatMode: 240
; IeeeMode: 1
; LDSByteSize: 512 bytes/workgroup (compile time only)
; SGPRBlocks: 0
; VGPRBlocks: 2
; NumSGPRsForWavesPerEU: 36
; NumVGPRsForWavesPerEU: 47
; NamedBarCnt: 0
; Occupancy: 16
; WaveLimiterHint : 1
; COMPUTE_PGM_RSRC2:SCRATCH_EN: 0
; COMPUTE_PGM_RSRC2:USER_SGPR: 2
; COMPUTE_PGM_RSRC2:TRAP_HANDLER: 0
; COMPUTE_PGM_RSRC2:TGID_X_EN: 1
; COMPUTE_PGM_RSRC2:TGID_Y_EN: 0
; COMPUTE_PGM_RSRC2:TGID_Z_EN: 0
; COMPUTE_PGM_RSRC2:TIDIG_COMP_CNT: 0
	.section	.text._ZN7rocprim17ROCPRIM_400000_NS6detail17trampoline_kernelINS0_14default_configENS1_35radix_sort_onesweep_config_selectorIbNS0_10empty_typeEEEZNS1_34radix_sort_onesweep_global_offsetsIS3_Lb1EPKbPS5_mNS0_19identity_decomposerEEE10hipError_tT1_T2_PT3_SF_jT4_jjP12ihipStream_tbEUlT_E_NS1_11comp_targetILNS1_3genE6ELNS1_11target_archE950ELNS1_3gpuE13ELNS1_3repE0EEENS1_52radix_sort_onesweep_histogram_config_static_selectorELNS0_4arch9wavefront6targetE0EEEvSD_,"axG",@progbits,_ZN7rocprim17ROCPRIM_400000_NS6detail17trampoline_kernelINS0_14default_configENS1_35radix_sort_onesweep_config_selectorIbNS0_10empty_typeEEEZNS1_34radix_sort_onesweep_global_offsetsIS3_Lb1EPKbPS5_mNS0_19identity_decomposerEEE10hipError_tT1_T2_PT3_SF_jT4_jjP12ihipStream_tbEUlT_E_NS1_11comp_targetILNS1_3genE6ELNS1_11target_archE950ELNS1_3gpuE13ELNS1_3repE0EEENS1_52radix_sort_onesweep_histogram_config_static_selectorELNS0_4arch9wavefront6targetE0EEEvSD_,comdat
	.protected	_ZN7rocprim17ROCPRIM_400000_NS6detail17trampoline_kernelINS0_14default_configENS1_35radix_sort_onesweep_config_selectorIbNS0_10empty_typeEEEZNS1_34radix_sort_onesweep_global_offsetsIS3_Lb1EPKbPS5_mNS0_19identity_decomposerEEE10hipError_tT1_T2_PT3_SF_jT4_jjP12ihipStream_tbEUlT_E_NS1_11comp_targetILNS1_3genE6ELNS1_11target_archE950ELNS1_3gpuE13ELNS1_3repE0EEENS1_52radix_sort_onesweep_histogram_config_static_selectorELNS0_4arch9wavefront6targetE0EEEvSD_ ; -- Begin function _ZN7rocprim17ROCPRIM_400000_NS6detail17trampoline_kernelINS0_14default_configENS1_35radix_sort_onesweep_config_selectorIbNS0_10empty_typeEEEZNS1_34radix_sort_onesweep_global_offsetsIS3_Lb1EPKbPS5_mNS0_19identity_decomposerEEE10hipError_tT1_T2_PT3_SF_jT4_jjP12ihipStream_tbEUlT_E_NS1_11comp_targetILNS1_3genE6ELNS1_11target_archE950ELNS1_3gpuE13ELNS1_3repE0EEENS1_52radix_sort_onesweep_histogram_config_static_selectorELNS0_4arch9wavefront6targetE0EEEvSD_
	.globl	_ZN7rocprim17ROCPRIM_400000_NS6detail17trampoline_kernelINS0_14default_configENS1_35radix_sort_onesweep_config_selectorIbNS0_10empty_typeEEEZNS1_34radix_sort_onesweep_global_offsetsIS3_Lb1EPKbPS5_mNS0_19identity_decomposerEEE10hipError_tT1_T2_PT3_SF_jT4_jjP12ihipStream_tbEUlT_E_NS1_11comp_targetILNS1_3genE6ELNS1_11target_archE950ELNS1_3gpuE13ELNS1_3repE0EEENS1_52radix_sort_onesweep_histogram_config_static_selectorELNS0_4arch9wavefront6targetE0EEEvSD_
	.p2align	8
	.type	_ZN7rocprim17ROCPRIM_400000_NS6detail17trampoline_kernelINS0_14default_configENS1_35radix_sort_onesweep_config_selectorIbNS0_10empty_typeEEEZNS1_34radix_sort_onesweep_global_offsetsIS3_Lb1EPKbPS5_mNS0_19identity_decomposerEEE10hipError_tT1_T2_PT3_SF_jT4_jjP12ihipStream_tbEUlT_E_NS1_11comp_targetILNS1_3genE6ELNS1_11target_archE950ELNS1_3gpuE13ELNS1_3repE0EEENS1_52radix_sort_onesweep_histogram_config_static_selectorELNS0_4arch9wavefront6targetE0EEEvSD_,@function
_ZN7rocprim17ROCPRIM_400000_NS6detail17trampoline_kernelINS0_14default_configENS1_35radix_sort_onesweep_config_selectorIbNS0_10empty_typeEEEZNS1_34radix_sort_onesweep_global_offsetsIS3_Lb1EPKbPS5_mNS0_19identity_decomposerEEE10hipError_tT1_T2_PT3_SF_jT4_jjP12ihipStream_tbEUlT_E_NS1_11comp_targetILNS1_3genE6ELNS1_11target_archE950ELNS1_3gpuE13ELNS1_3repE0EEENS1_52radix_sort_onesweep_histogram_config_static_selectorELNS0_4arch9wavefront6targetE0EEEvSD_: ; @_ZN7rocprim17ROCPRIM_400000_NS6detail17trampoline_kernelINS0_14default_configENS1_35radix_sort_onesweep_config_selectorIbNS0_10empty_typeEEEZNS1_34radix_sort_onesweep_global_offsetsIS3_Lb1EPKbPS5_mNS0_19identity_decomposerEEE10hipError_tT1_T2_PT3_SF_jT4_jjP12ihipStream_tbEUlT_E_NS1_11comp_targetILNS1_3genE6ELNS1_11target_archE950ELNS1_3gpuE13ELNS1_3repE0EEENS1_52radix_sort_onesweep_histogram_config_static_selectorELNS0_4arch9wavefront6targetE0EEEvSD_
; %bb.0:
	.section	.rodata,"a",@progbits
	.p2align	6, 0x0
	.amdhsa_kernel _ZN7rocprim17ROCPRIM_400000_NS6detail17trampoline_kernelINS0_14default_configENS1_35radix_sort_onesweep_config_selectorIbNS0_10empty_typeEEEZNS1_34radix_sort_onesweep_global_offsetsIS3_Lb1EPKbPS5_mNS0_19identity_decomposerEEE10hipError_tT1_T2_PT3_SF_jT4_jjP12ihipStream_tbEUlT_E_NS1_11comp_targetILNS1_3genE6ELNS1_11target_archE950ELNS1_3gpuE13ELNS1_3repE0EEENS1_52radix_sort_onesweep_histogram_config_static_selectorELNS0_4arch9wavefront6targetE0EEEvSD_
		.amdhsa_group_segment_fixed_size 0
		.amdhsa_private_segment_fixed_size 0
		.amdhsa_kernarg_size 48
		.amdhsa_user_sgpr_count 2
		.amdhsa_user_sgpr_dispatch_ptr 0
		.amdhsa_user_sgpr_queue_ptr 0
		.amdhsa_user_sgpr_kernarg_segment_ptr 1
		.amdhsa_user_sgpr_dispatch_id 0
		.amdhsa_user_sgpr_kernarg_preload_length 0
		.amdhsa_user_sgpr_kernarg_preload_offset 0
		.amdhsa_user_sgpr_private_segment_size 0
		.amdhsa_wavefront_size32 1
		.amdhsa_uses_dynamic_stack 0
		.amdhsa_enable_private_segment 0
		.amdhsa_system_sgpr_workgroup_id_x 1
		.amdhsa_system_sgpr_workgroup_id_y 0
		.amdhsa_system_sgpr_workgroup_id_z 0
		.amdhsa_system_sgpr_workgroup_info 0
		.amdhsa_system_vgpr_workitem_id 0
		.amdhsa_next_free_vgpr 1
		.amdhsa_next_free_sgpr 1
		.amdhsa_named_barrier_count 0
		.amdhsa_reserve_vcc 0
		.amdhsa_float_round_mode_32 0
		.amdhsa_float_round_mode_16_64 0
		.amdhsa_float_denorm_mode_32 3
		.amdhsa_float_denorm_mode_16_64 3
		.amdhsa_fp16_overflow 0
		.amdhsa_memory_ordered 1
		.amdhsa_forward_progress 1
		.amdhsa_inst_pref_size 0
		.amdhsa_round_robin_scheduling 0
		.amdhsa_exception_fp_ieee_invalid_op 0
		.amdhsa_exception_fp_denorm_src 0
		.amdhsa_exception_fp_ieee_div_zero 0
		.amdhsa_exception_fp_ieee_overflow 0
		.amdhsa_exception_fp_ieee_underflow 0
		.amdhsa_exception_fp_ieee_inexact 0
		.amdhsa_exception_int_div_zero 0
	.end_amdhsa_kernel
	.section	.text._ZN7rocprim17ROCPRIM_400000_NS6detail17trampoline_kernelINS0_14default_configENS1_35radix_sort_onesweep_config_selectorIbNS0_10empty_typeEEEZNS1_34radix_sort_onesweep_global_offsetsIS3_Lb1EPKbPS5_mNS0_19identity_decomposerEEE10hipError_tT1_T2_PT3_SF_jT4_jjP12ihipStream_tbEUlT_E_NS1_11comp_targetILNS1_3genE6ELNS1_11target_archE950ELNS1_3gpuE13ELNS1_3repE0EEENS1_52radix_sort_onesweep_histogram_config_static_selectorELNS0_4arch9wavefront6targetE0EEEvSD_,"axG",@progbits,_ZN7rocprim17ROCPRIM_400000_NS6detail17trampoline_kernelINS0_14default_configENS1_35radix_sort_onesweep_config_selectorIbNS0_10empty_typeEEEZNS1_34radix_sort_onesweep_global_offsetsIS3_Lb1EPKbPS5_mNS0_19identity_decomposerEEE10hipError_tT1_T2_PT3_SF_jT4_jjP12ihipStream_tbEUlT_E_NS1_11comp_targetILNS1_3genE6ELNS1_11target_archE950ELNS1_3gpuE13ELNS1_3repE0EEENS1_52radix_sort_onesweep_histogram_config_static_selectorELNS0_4arch9wavefront6targetE0EEEvSD_,comdat
.Lfunc_end1716:
	.size	_ZN7rocprim17ROCPRIM_400000_NS6detail17trampoline_kernelINS0_14default_configENS1_35radix_sort_onesweep_config_selectorIbNS0_10empty_typeEEEZNS1_34radix_sort_onesweep_global_offsetsIS3_Lb1EPKbPS5_mNS0_19identity_decomposerEEE10hipError_tT1_T2_PT3_SF_jT4_jjP12ihipStream_tbEUlT_E_NS1_11comp_targetILNS1_3genE6ELNS1_11target_archE950ELNS1_3gpuE13ELNS1_3repE0EEENS1_52radix_sort_onesweep_histogram_config_static_selectorELNS0_4arch9wavefront6targetE0EEEvSD_, .Lfunc_end1716-_ZN7rocprim17ROCPRIM_400000_NS6detail17trampoline_kernelINS0_14default_configENS1_35radix_sort_onesweep_config_selectorIbNS0_10empty_typeEEEZNS1_34radix_sort_onesweep_global_offsetsIS3_Lb1EPKbPS5_mNS0_19identity_decomposerEEE10hipError_tT1_T2_PT3_SF_jT4_jjP12ihipStream_tbEUlT_E_NS1_11comp_targetILNS1_3genE6ELNS1_11target_archE950ELNS1_3gpuE13ELNS1_3repE0EEENS1_52radix_sort_onesweep_histogram_config_static_selectorELNS0_4arch9wavefront6targetE0EEEvSD_
                                        ; -- End function
	.set _ZN7rocprim17ROCPRIM_400000_NS6detail17trampoline_kernelINS0_14default_configENS1_35radix_sort_onesweep_config_selectorIbNS0_10empty_typeEEEZNS1_34radix_sort_onesweep_global_offsetsIS3_Lb1EPKbPS5_mNS0_19identity_decomposerEEE10hipError_tT1_T2_PT3_SF_jT4_jjP12ihipStream_tbEUlT_E_NS1_11comp_targetILNS1_3genE6ELNS1_11target_archE950ELNS1_3gpuE13ELNS1_3repE0EEENS1_52radix_sort_onesweep_histogram_config_static_selectorELNS0_4arch9wavefront6targetE0EEEvSD_.num_vgpr, 0
	.set _ZN7rocprim17ROCPRIM_400000_NS6detail17trampoline_kernelINS0_14default_configENS1_35radix_sort_onesweep_config_selectorIbNS0_10empty_typeEEEZNS1_34radix_sort_onesweep_global_offsetsIS3_Lb1EPKbPS5_mNS0_19identity_decomposerEEE10hipError_tT1_T2_PT3_SF_jT4_jjP12ihipStream_tbEUlT_E_NS1_11comp_targetILNS1_3genE6ELNS1_11target_archE950ELNS1_3gpuE13ELNS1_3repE0EEENS1_52radix_sort_onesweep_histogram_config_static_selectorELNS0_4arch9wavefront6targetE0EEEvSD_.num_agpr, 0
	.set _ZN7rocprim17ROCPRIM_400000_NS6detail17trampoline_kernelINS0_14default_configENS1_35radix_sort_onesweep_config_selectorIbNS0_10empty_typeEEEZNS1_34radix_sort_onesweep_global_offsetsIS3_Lb1EPKbPS5_mNS0_19identity_decomposerEEE10hipError_tT1_T2_PT3_SF_jT4_jjP12ihipStream_tbEUlT_E_NS1_11comp_targetILNS1_3genE6ELNS1_11target_archE950ELNS1_3gpuE13ELNS1_3repE0EEENS1_52radix_sort_onesweep_histogram_config_static_selectorELNS0_4arch9wavefront6targetE0EEEvSD_.numbered_sgpr, 0
	.set _ZN7rocprim17ROCPRIM_400000_NS6detail17trampoline_kernelINS0_14default_configENS1_35radix_sort_onesweep_config_selectorIbNS0_10empty_typeEEEZNS1_34radix_sort_onesweep_global_offsetsIS3_Lb1EPKbPS5_mNS0_19identity_decomposerEEE10hipError_tT1_T2_PT3_SF_jT4_jjP12ihipStream_tbEUlT_E_NS1_11comp_targetILNS1_3genE6ELNS1_11target_archE950ELNS1_3gpuE13ELNS1_3repE0EEENS1_52radix_sort_onesweep_histogram_config_static_selectorELNS0_4arch9wavefront6targetE0EEEvSD_.num_named_barrier, 0
	.set _ZN7rocprim17ROCPRIM_400000_NS6detail17trampoline_kernelINS0_14default_configENS1_35radix_sort_onesweep_config_selectorIbNS0_10empty_typeEEEZNS1_34radix_sort_onesweep_global_offsetsIS3_Lb1EPKbPS5_mNS0_19identity_decomposerEEE10hipError_tT1_T2_PT3_SF_jT4_jjP12ihipStream_tbEUlT_E_NS1_11comp_targetILNS1_3genE6ELNS1_11target_archE950ELNS1_3gpuE13ELNS1_3repE0EEENS1_52radix_sort_onesweep_histogram_config_static_selectorELNS0_4arch9wavefront6targetE0EEEvSD_.private_seg_size, 0
	.set _ZN7rocprim17ROCPRIM_400000_NS6detail17trampoline_kernelINS0_14default_configENS1_35radix_sort_onesweep_config_selectorIbNS0_10empty_typeEEEZNS1_34radix_sort_onesweep_global_offsetsIS3_Lb1EPKbPS5_mNS0_19identity_decomposerEEE10hipError_tT1_T2_PT3_SF_jT4_jjP12ihipStream_tbEUlT_E_NS1_11comp_targetILNS1_3genE6ELNS1_11target_archE950ELNS1_3gpuE13ELNS1_3repE0EEENS1_52radix_sort_onesweep_histogram_config_static_selectorELNS0_4arch9wavefront6targetE0EEEvSD_.uses_vcc, 0
	.set _ZN7rocprim17ROCPRIM_400000_NS6detail17trampoline_kernelINS0_14default_configENS1_35radix_sort_onesweep_config_selectorIbNS0_10empty_typeEEEZNS1_34radix_sort_onesweep_global_offsetsIS3_Lb1EPKbPS5_mNS0_19identity_decomposerEEE10hipError_tT1_T2_PT3_SF_jT4_jjP12ihipStream_tbEUlT_E_NS1_11comp_targetILNS1_3genE6ELNS1_11target_archE950ELNS1_3gpuE13ELNS1_3repE0EEENS1_52radix_sort_onesweep_histogram_config_static_selectorELNS0_4arch9wavefront6targetE0EEEvSD_.uses_flat_scratch, 0
	.set _ZN7rocprim17ROCPRIM_400000_NS6detail17trampoline_kernelINS0_14default_configENS1_35radix_sort_onesweep_config_selectorIbNS0_10empty_typeEEEZNS1_34radix_sort_onesweep_global_offsetsIS3_Lb1EPKbPS5_mNS0_19identity_decomposerEEE10hipError_tT1_T2_PT3_SF_jT4_jjP12ihipStream_tbEUlT_E_NS1_11comp_targetILNS1_3genE6ELNS1_11target_archE950ELNS1_3gpuE13ELNS1_3repE0EEENS1_52radix_sort_onesweep_histogram_config_static_selectorELNS0_4arch9wavefront6targetE0EEEvSD_.has_dyn_sized_stack, 0
	.set _ZN7rocprim17ROCPRIM_400000_NS6detail17trampoline_kernelINS0_14default_configENS1_35radix_sort_onesweep_config_selectorIbNS0_10empty_typeEEEZNS1_34radix_sort_onesweep_global_offsetsIS3_Lb1EPKbPS5_mNS0_19identity_decomposerEEE10hipError_tT1_T2_PT3_SF_jT4_jjP12ihipStream_tbEUlT_E_NS1_11comp_targetILNS1_3genE6ELNS1_11target_archE950ELNS1_3gpuE13ELNS1_3repE0EEENS1_52radix_sort_onesweep_histogram_config_static_selectorELNS0_4arch9wavefront6targetE0EEEvSD_.has_recursion, 0
	.set _ZN7rocprim17ROCPRIM_400000_NS6detail17trampoline_kernelINS0_14default_configENS1_35radix_sort_onesweep_config_selectorIbNS0_10empty_typeEEEZNS1_34radix_sort_onesweep_global_offsetsIS3_Lb1EPKbPS5_mNS0_19identity_decomposerEEE10hipError_tT1_T2_PT3_SF_jT4_jjP12ihipStream_tbEUlT_E_NS1_11comp_targetILNS1_3genE6ELNS1_11target_archE950ELNS1_3gpuE13ELNS1_3repE0EEENS1_52radix_sort_onesweep_histogram_config_static_selectorELNS0_4arch9wavefront6targetE0EEEvSD_.has_indirect_call, 0
	.section	.AMDGPU.csdata,"",@progbits
; Kernel info:
; codeLenInByte = 0
; TotalNumSgprs: 0
; NumVgprs: 0
; ScratchSize: 0
; MemoryBound: 0
; FloatMode: 240
; IeeeMode: 1
; LDSByteSize: 0 bytes/workgroup (compile time only)
; SGPRBlocks: 0
; VGPRBlocks: 0
; NumSGPRsForWavesPerEU: 1
; NumVGPRsForWavesPerEU: 1
; NamedBarCnt: 0
; Occupancy: 16
; WaveLimiterHint : 0
; COMPUTE_PGM_RSRC2:SCRATCH_EN: 0
; COMPUTE_PGM_RSRC2:USER_SGPR: 2
; COMPUTE_PGM_RSRC2:TRAP_HANDLER: 0
; COMPUTE_PGM_RSRC2:TGID_X_EN: 1
; COMPUTE_PGM_RSRC2:TGID_Y_EN: 0
; COMPUTE_PGM_RSRC2:TGID_Z_EN: 0
; COMPUTE_PGM_RSRC2:TIDIG_COMP_CNT: 0
	.section	.text._ZN7rocprim17ROCPRIM_400000_NS6detail17trampoline_kernelINS0_14default_configENS1_35radix_sort_onesweep_config_selectorIbNS0_10empty_typeEEEZNS1_34radix_sort_onesweep_global_offsetsIS3_Lb1EPKbPS5_mNS0_19identity_decomposerEEE10hipError_tT1_T2_PT3_SF_jT4_jjP12ihipStream_tbEUlT_E_NS1_11comp_targetILNS1_3genE5ELNS1_11target_archE942ELNS1_3gpuE9ELNS1_3repE0EEENS1_52radix_sort_onesweep_histogram_config_static_selectorELNS0_4arch9wavefront6targetE0EEEvSD_,"axG",@progbits,_ZN7rocprim17ROCPRIM_400000_NS6detail17trampoline_kernelINS0_14default_configENS1_35radix_sort_onesweep_config_selectorIbNS0_10empty_typeEEEZNS1_34radix_sort_onesweep_global_offsetsIS3_Lb1EPKbPS5_mNS0_19identity_decomposerEEE10hipError_tT1_T2_PT3_SF_jT4_jjP12ihipStream_tbEUlT_E_NS1_11comp_targetILNS1_3genE5ELNS1_11target_archE942ELNS1_3gpuE9ELNS1_3repE0EEENS1_52radix_sort_onesweep_histogram_config_static_selectorELNS0_4arch9wavefront6targetE0EEEvSD_,comdat
	.protected	_ZN7rocprim17ROCPRIM_400000_NS6detail17trampoline_kernelINS0_14default_configENS1_35radix_sort_onesweep_config_selectorIbNS0_10empty_typeEEEZNS1_34radix_sort_onesweep_global_offsetsIS3_Lb1EPKbPS5_mNS0_19identity_decomposerEEE10hipError_tT1_T2_PT3_SF_jT4_jjP12ihipStream_tbEUlT_E_NS1_11comp_targetILNS1_3genE5ELNS1_11target_archE942ELNS1_3gpuE9ELNS1_3repE0EEENS1_52radix_sort_onesweep_histogram_config_static_selectorELNS0_4arch9wavefront6targetE0EEEvSD_ ; -- Begin function _ZN7rocprim17ROCPRIM_400000_NS6detail17trampoline_kernelINS0_14default_configENS1_35radix_sort_onesweep_config_selectorIbNS0_10empty_typeEEEZNS1_34radix_sort_onesweep_global_offsetsIS3_Lb1EPKbPS5_mNS0_19identity_decomposerEEE10hipError_tT1_T2_PT3_SF_jT4_jjP12ihipStream_tbEUlT_E_NS1_11comp_targetILNS1_3genE5ELNS1_11target_archE942ELNS1_3gpuE9ELNS1_3repE0EEENS1_52radix_sort_onesweep_histogram_config_static_selectorELNS0_4arch9wavefront6targetE0EEEvSD_
	.globl	_ZN7rocprim17ROCPRIM_400000_NS6detail17trampoline_kernelINS0_14default_configENS1_35radix_sort_onesweep_config_selectorIbNS0_10empty_typeEEEZNS1_34radix_sort_onesweep_global_offsetsIS3_Lb1EPKbPS5_mNS0_19identity_decomposerEEE10hipError_tT1_T2_PT3_SF_jT4_jjP12ihipStream_tbEUlT_E_NS1_11comp_targetILNS1_3genE5ELNS1_11target_archE942ELNS1_3gpuE9ELNS1_3repE0EEENS1_52radix_sort_onesweep_histogram_config_static_selectorELNS0_4arch9wavefront6targetE0EEEvSD_
	.p2align	8
	.type	_ZN7rocprim17ROCPRIM_400000_NS6detail17trampoline_kernelINS0_14default_configENS1_35radix_sort_onesweep_config_selectorIbNS0_10empty_typeEEEZNS1_34radix_sort_onesweep_global_offsetsIS3_Lb1EPKbPS5_mNS0_19identity_decomposerEEE10hipError_tT1_T2_PT3_SF_jT4_jjP12ihipStream_tbEUlT_E_NS1_11comp_targetILNS1_3genE5ELNS1_11target_archE942ELNS1_3gpuE9ELNS1_3repE0EEENS1_52radix_sort_onesweep_histogram_config_static_selectorELNS0_4arch9wavefront6targetE0EEEvSD_,@function
_ZN7rocprim17ROCPRIM_400000_NS6detail17trampoline_kernelINS0_14default_configENS1_35radix_sort_onesweep_config_selectorIbNS0_10empty_typeEEEZNS1_34radix_sort_onesweep_global_offsetsIS3_Lb1EPKbPS5_mNS0_19identity_decomposerEEE10hipError_tT1_T2_PT3_SF_jT4_jjP12ihipStream_tbEUlT_E_NS1_11comp_targetILNS1_3genE5ELNS1_11target_archE942ELNS1_3gpuE9ELNS1_3repE0EEENS1_52radix_sort_onesweep_histogram_config_static_selectorELNS0_4arch9wavefront6targetE0EEEvSD_: ; @_ZN7rocprim17ROCPRIM_400000_NS6detail17trampoline_kernelINS0_14default_configENS1_35radix_sort_onesweep_config_selectorIbNS0_10empty_typeEEEZNS1_34radix_sort_onesweep_global_offsetsIS3_Lb1EPKbPS5_mNS0_19identity_decomposerEEE10hipError_tT1_T2_PT3_SF_jT4_jjP12ihipStream_tbEUlT_E_NS1_11comp_targetILNS1_3genE5ELNS1_11target_archE942ELNS1_3gpuE9ELNS1_3repE0EEENS1_52radix_sort_onesweep_histogram_config_static_selectorELNS0_4arch9wavefront6targetE0EEEvSD_
; %bb.0:
	.section	.rodata,"a",@progbits
	.p2align	6, 0x0
	.amdhsa_kernel _ZN7rocprim17ROCPRIM_400000_NS6detail17trampoline_kernelINS0_14default_configENS1_35radix_sort_onesweep_config_selectorIbNS0_10empty_typeEEEZNS1_34radix_sort_onesweep_global_offsetsIS3_Lb1EPKbPS5_mNS0_19identity_decomposerEEE10hipError_tT1_T2_PT3_SF_jT4_jjP12ihipStream_tbEUlT_E_NS1_11comp_targetILNS1_3genE5ELNS1_11target_archE942ELNS1_3gpuE9ELNS1_3repE0EEENS1_52radix_sort_onesweep_histogram_config_static_selectorELNS0_4arch9wavefront6targetE0EEEvSD_
		.amdhsa_group_segment_fixed_size 0
		.amdhsa_private_segment_fixed_size 0
		.amdhsa_kernarg_size 48
		.amdhsa_user_sgpr_count 2
		.amdhsa_user_sgpr_dispatch_ptr 0
		.amdhsa_user_sgpr_queue_ptr 0
		.amdhsa_user_sgpr_kernarg_segment_ptr 1
		.amdhsa_user_sgpr_dispatch_id 0
		.amdhsa_user_sgpr_kernarg_preload_length 0
		.amdhsa_user_sgpr_kernarg_preload_offset 0
		.amdhsa_user_sgpr_private_segment_size 0
		.amdhsa_wavefront_size32 1
		.amdhsa_uses_dynamic_stack 0
		.amdhsa_enable_private_segment 0
		.amdhsa_system_sgpr_workgroup_id_x 1
		.amdhsa_system_sgpr_workgroup_id_y 0
		.amdhsa_system_sgpr_workgroup_id_z 0
		.amdhsa_system_sgpr_workgroup_info 0
		.amdhsa_system_vgpr_workitem_id 0
		.amdhsa_next_free_vgpr 1
		.amdhsa_next_free_sgpr 1
		.amdhsa_named_barrier_count 0
		.amdhsa_reserve_vcc 0
		.amdhsa_float_round_mode_32 0
		.amdhsa_float_round_mode_16_64 0
		.amdhsa_float_denorm_mode_32 3
		.amdhsa_float_denorm_mode_16_64 3
		.amdhsa_fp16_overflow 0
		.amdhsa_memory_ordered 1
		.amdhsa_forward_progress 1
		.amdhsa_inst_pref_size 0
		.amdhsa_round_robin_scheduling 0
		.amdhsa_exception_fp_ieee_invalid_op 0
		.amdhsa_exception_fp_denorm_src 0
		.amdhsa_exception_fp_ieee_div_zero 0
		.amdhsa_exception_fp_ieee_overflow 0
		.amdhsa_exception_fp_ieee_underflow 0
		.amdhsa_exception_fp_ieee_inexact 0
		.amdhsa_exception_int_div_zero 0
	.end_amdhsa_kernel
	.section	.text._ZN7rocprim17ROCPRIM_400000_NS6detail17trampoline_kernelINS0_14default_configENS1_35radix_sort_onesweep_config_selectorIbNS0_10empty_typeEEEZNS1_34radix_sort_onesweep_global_offsetsIS3_Lb1EPKbPS5_mNS0_19identity_decomposerEEE10hipError_tT1_T2_PT3_SF_jT4_jjP12ihipStream_tbEUlT_E_NS1_11comp_targetILNS1_3genE5ELNS1_11target_archE942ELNS1_3gpuE9ELNS1_3repE0EEENS1_52radix_sort_onesweep_histogram_config_static_selectorELNS0_4arch9wavefront6targetE0EEEvSD_,"axG",@progbits,_ZN7rocprim17ROCPRIM_400000_NS6detail17trampoline_kernelINS0_14default_configENS1_35radix_sort_onesweep_config_selectorIbNS0_10empty_typeEEEZNS1_34radix_sort_onesweep_global_offsetsIS3_Lb1EPKbPS5_mNS0_19identity_decomposerEEE10hipError_tT1_T2_PT3_SF_jT4_jjP12ihipStream_tbEUlT_E_NS1_11comp_targetILNS1_3genE5ELNS1_11target_archE942ELNS1_3gpuE9ELNS1_3repE0EEENS1_52radix_sort_onesweep_histogram_config_static_selectorELNS0_4arch9wavefront6targetE0EEEvSD_,comdat
.Lfunc_end1717:
	.size	_ZN7rocprim17ROCPRIM_400000_NS6detail17trampoline_kernelINS0_14default_configENS1_35radix_sort_onesweep_config_selectorIbNS0_10empty_typeEEEZNS1_34radix_sort_onesweep_global_offsetsIS3_Lb1EPKbPS5_mNS0_19identity_decomposerEEE10hipError_tT1_T2_PT3_SF_jT4_jjP12ihipStream_tbEUlT_E_NS1_11comp_targetILNS1_3genE5ELNS1_11target_archE942ELNS1_3gpuE9ELNS1_3repE0EEENS1_52radix_sort_onesweep_histogram_config_static_selectorELNS0_4arch9wavefront6targetE0EEEvSD_, .Lfunc_end1717-_ZN7rocprim17ROCPRIM_400000_NS6detail17trampoline_kernelINS0_14default_configENS1_35radix_sort_onesweep_config_selectorIbNS0_10empty_typeEEEZNS1_34radix_sort_onesweep_global_offsetsIS3_Lb1EPKbPS5_mNS0_19identity_decomposerEEE10hipError_tT1_T2_PT3_SF_jT4_jjP12ihipStream_tbEUlT_E_NS1_11comp_targetILNS1_3genE5ELNS1_11target_archE942ELNS1_3gpuE9ELNS1_3repE0EEENS1_52radix_sort_onesweep_histogram_config_static_selectorELNS0_4arch9wavefront6targetE0EEEvSD_
                                        ; -- End function
	.set _ZN7rocprim17ROCPRIM_400000_NS6detail17trampoline_kernelINS0_14default_configENS1_35radix_sort_onesweep_config_selectorIbNS0_10empty_typeEEEZNS1_34radix_sort_onesweep_global_offsetsIS3_Lb1EPKbPS5_mNS0_19identity_decomposerEEE10hipError_tT1_T2_PT3_SF_jT4_jjP12ihipStream_tbEUlT_E_NS1_11comp_targetILNS1_3genE5ELNS1_11target_archE942ELNS1_3gpuE9ELNS1_3repE0EEENS1_52radix_sort_onesweep_histogram_config_static_selectorELNS0_4arch9wavefront6targetE0EEEvSD_.num_vgpr, 0
	.set _ZN7rocprim17ROCPRIM_400000_NS6detail17trampoline_kernelINS0_14default_configENS1_35radix_sort_onesweep_config_selectorIbNS0_10empty_typeEEEZNS1_34radix_sort_onesweep_global_offsetsIS3_Lb1EPKbPS5_mNS0_19identity_decomposerEEE10hipError_tT1_T2_PT3_SF_jT4_jjP12ihipStream_tbEUlT_E_NS1_11comp_targetILNS1_3genE5ELNS1_11target_archE942ELNS1_3gpuE9ELNS1_3repE0EEENS1_52radix_sort_onesweep_histogram_config_static_selectorELNS0_4arch9wavefront6targetE0EEEvSD_.num_agpr, 0
	.set _ZN7rocprim17ROCPRIM_400000_NS6detail17trampoline_kernelINS0_14default_configENS1_35radix_sort_onesweep_config_selectorIbNS0_10empty_typeEEEZNS1_34radix_sort_onesweep_global_offsetsIS3_Lb1EPKbPS5_mNS0_19identity_decomposerEEE10hipError_tT1_T2_PT3_SF_jT4_jjP12ihipStream_tbEUlT_E_NS1_11comp_targetILNS1_3genE5ELNS1_11target_archE942ELNS1_3gpuE9ELNS1_3repE0EEENS1_52radix_sort_onesweep_histogram_config_static_selectorELNS0_4arch9wavefront6targetE0EEEvSD_.numbered_sgpr, 0
	.set _ZN7rocprim17ROCPRIM_400000_NS6detail17trampoline_kernelINS0_14default_configENS1_35radix_sort_onesweep_config_selectorIbNS0_10empty_typeEEEZNS1_34radix_sort_onesweep_global_offsetsIS3_Lb1EPKbPS5_mNS0_19identity_decomposerEEE10hipError_tT1_T2_PT3_SF_jT4_jjP12ihipStream_tbEUlT_E_NS1_11comp_targetILNS1_3genE5ELNS1_11target_archE942ELNS1_3gpuE9ELNS1_3repE0EEENS1_52radix_sort_onesweep_histogram_config_static_selectorELNS0_4arch9wavefront6targetE0EEEvSD_.num_named_barrier, 0
	.set _ZN7rocprim17ROCPRIM_400000_NS6detail17trampoline_kernelINS0_14default_configENS1_35radix_sort_onesweep_config_selectorIbNS0_10empty_typeEEEZNS1_34radix_sort_onesweep_global_offsetsIS3_Lb1EPKbPS5_mNS0_19identity_decomposerEEE10hipError_tT1_T2_PT3_SF_jT4_jjP12ihipStream_tbEUlT_E_NS1_11comp_targetILNS1_3genE5ELNS1_11target_archE942ELNS1_3gpuE9ELNS1_3repE0EEENS1_52radix_sort_onesweep_histogram_config_static_selectorELNS0_4arch9wavefront6targetE0EEEvSD_.private_seg_size, 0
	.set _ZN7rocprim17ROCPRIM_400000_NS6detail17trampoline_kernelINS0_14default_configENS1_35radix_sort_onesweep_config_selectorIbNS0_10empty_typeEEEZNS1_34radix_sort_onesweep_global_offsetsIS3_Lb1EPKbPS5_mNS0_19identity_decomposerEEE10hipError_tT1_T2_PT3_SF_jT4_jjP12ihipStream_tbEUlT_E_NS1_11comp_targetILNS1_3genE5ELNS1_11target_archE942ELNS1_3gpuE9ELNS1_3repE0EEENS1_52radix_sort_onesweep_histogram_config_static_selectorELNS0_4arch9wavefront6targetE0EEEvSD_.uses_vcc, 0
	.set _ZN7rocprim17ROCPRIM_400000_NS6detail17trampoline_kernelINS0_14default_configENS1_35radix_sort_onesweep_config_selectorIbNS0_10empty_typeEEEZNS1_34radix_sort_onesweep_global_offsetsIS3_Lb1EPKbPS5_mNS0_19identity_decomposerEEE10hipError_tT1_T2_PT3_SF_jT4_jjP12ihipStream_tbEUlT_E_NS1_11comp_targetILNS1_3genE5ELNS1_11target_archE942ELNS1_3gpuE9ELNS1_3repE0EEENS1_52radix_sort_onesweep_histogram_config_static_selectorELNS0_4arch9wavefront6targetE0EEEvSD_.uses_flat_scratch, 0
	.set _ZN7rocprim17ROCPRIM_400000_NS6detail17trampoline_kernelINS0_14default_configENS1_35radix_sort_onesweep_config_selectorIbNS0_10empty_typeEEEZNS1_34radix_sort_onesweep_global_offsetsIS3_Lb1EPKbPS5_mNS0_19identity_decomposerEEE10hipError_tT1_T2_PT3_SF_jT4_jjP12ihipStream_tbEUlT_E_NS1_11comp_targetILNS1_3genE5ELNS1_11target_archE942ELNS1_3gpuE9ELNS1_3repE0EEENS1_52radix_sort_onesweep_histogram_config_static_selectorELNS0_4arch9wavefront6targetE0EEEvSD_.has_dyn_sized_stack, 0
	.set _ZN7rocprim17ROCPRIM_400000_NS6detail17trampoline_kernelINS0_14default_configENS1_35radix_sort_onesweep_config_selectorIbNS0_10empty_typeEEEZNS1_34radix_sort_onesweep_global_offsetsIS3_Lb1EPKbPS5_mNS0_19identity_decomposerEEE10hipError_tT1_T2_PT3_SF_jT4_jjP12ihipStream_tbEUlT_E_NS1_11comp_targetILNS1_3genE5ELNS1_11target_archE942ELNS1_3gpuE9ELNS1_3repE0EEENS1_52radix_sort_onesweep_histogram_config_static_selectorELNS0_4arch9wavefront6targetE0EEEvSD_.has_recursion, 0
	.set _ZN7rocprim17ROCPRIM_400000_NS6detail17trampoline_kernelINS0_14default_configENS1_35radix_sort_onesweep_config_selectorIbNS0_10empty_typeEEEZNS1_34radix_sort_onesweep_global_offsetsIS3_Lb1EPKbPS5_mNS0_19identity_decomposerEEE10hipError_tT1_T2_PT3_SF_jT4_jjP12ihipStream_tbEUlT_E_NS1_11comp_targetILNS1_3genE5ELNS1_11target_archE942ELNS1_3gpuE9ELNS1_3repE0EEENS1_52radix_sort_onesweep_histogram_config_static_selectorELNS0_4arch9wavefront6targetE0EEEvSD_.has_indirect_call, 0
	.section	.AMDGPU.csdata,"",@progbits
; Kernel info:
; codeLenInByte = 0
; TotalNumSgprs: 0
; NumVgprs: 0
; ScratchSize: 0
; MemoryBound: 0
; FloatMode: 240
; IeeeMode: 1
; LDSByteSize: 0 bytes/workgroup (compile time only)
; SGPRBlocks: 0
; VGPRBlocks: 0
; NumSGPRsForWavesPerEU: 1
; NumVGPRsForWavesPerEU: 1
; NamedBarCnt: 0
; Occupancy: 16
; WaveLimiterHint : 0
; COMPUTE_PGM_RSRC2:SCRATCH_EN: 0
; COMPUTE_PGM_RSRC2:USER_SGPR: 2
; COMPUTE_PGM_RSRC2:TRAP_HANDLER: 0
; COMPUTE_PGM_RSRC2:TGID_X_EN: 1
; COMPUTE_PGM_RSRC2:TGID_Y_EN: 0
; COMPUTE_PGM_RSRC2:TGID_Z_EN: 0
; COMPUTE_PGM_RSRC2:TIDIG_COMP_CNT: 0
	.section	.text._ZN7rocprim17ROCPRIM_400000_NS6detail17trampoline_kernelINS0_14default_configENS1_35radix_sort_onesweep_config_selectorIbNS0_10empty_typeEEEZNS1_34radix_sort_onesweep_global_offsetsIS3_Lb1EPKbPS5_mNS0_19identity_decomposerEEE10hipError_tT1_T2_PT3_SF_jT4_jjP12ihipStream_tbEUlT_E_NS1_11comp_targetILNS1_3genE2ELNS1_11target_archE906ELNS1_3gpuE6ELNS1_3repE0EEENS1_52radix_sort_onesweep_histogram_config_static_selectorELNS0_4arch9wavefront6targetE0EEEvSD_,"axG",@progbits,_ZN7rocprim17ROCPRIM_400000_NS6detail17trampoline_kernelINS0_14default_configENS1_35radix_sort_onesweep_config_selectorIbNS0_10empty_typeEEEZNS1_34radix_sort_onesweep_global_offsetsIS3_Lb1EPKbPS5_mNS0_19identity_decomposerEEE10hipError_tT1_T2_PT3_SF_jT4_jjP12ihipStream_tbEUlT_E_NS1_11comp_targetILNS1_3genE2ELNS1_11target_archE906ELNS1_3gpuE6ELNS1_3repE0EEENS1_52radix_sort_onesweep_histogram_config_static_selectorELNS0_4arch9wavefront6targetE0EEEvSD_,comdat
	.protected	_ZN7rocprim17ROCPRIM_400000_NS6detail17trampoline_kernelINS0_14default_configENS1_35radix_sort_onesweep_config_selectorIbNS0_10empty_typeEEEZNS1_34radix_sort_onesweep_global_offsetsIS3_Lb1EPKbPS5_mNS0_19identity_decomposerEEE10hipError_tT1_T2_PT3_SF_jT4_jjP12ihipStream_tbEUlT_E_NS1_11comp_targetILNS1_3genE2ELNS1_11target_archE906ELNS1_3gpuE6ELNS1_3repE0EEENS1_52radix_sort_onesweep_histogram_config_static_selectorELNS0_4arch9wavefront6targetE0EEEvSD_ ; -- Begin function _ZN7rocprim17ROCPRIM_400000_NS6detail17trampoline_kernelINS0_14default_configENS1_35radix_sort_onesweep_config_selectorIbNS0_10empty_typeEEEZNS1_34radix_sort_onesweep_global_offsetsIS3_Lb1EPKbPS5_mNS0_19identity_decomposerEEE10hipError_tT1_T2_PT3_SF_jT4_jjP12ihipStream_tbEUlT_E_NS1_11comp_targetILNS1_3genE2ELNS1_11target_archE906ELNS1_3gpuE6ELNS1_3repE0EEENS1_52radix_sort_onesweep_histogram_config_static_selectorELNS0_4arch9wavefront6targetE0EEEvSD_
	.globl	_ZN7rocprim17ROCPRIM_400000_NS6detail17trampoline_kernelINS0_14default_configENS1_35radix_sort_onesweep_config_selectorIbNS0_10empty_typeEEEZNS1_34radix_sort_onesweep_global_offsetsIS3_Lb1EPKbPS5_mNS0_19identity_decomposerEEE10hipError_tT1_T2_PT3_SF_jT4_jjP12ihipStream_tbEUlT_E_NS1_11comp_targetILNS1_3genE2ELNS1_11target_archE906ELNS1_3gpuE6ELNS1_3repE0EEENS1_52radix_sort_onesweep_histogram_config_static_selectorELNS0_4arch9wavefront6targetE0EEEvSD_
	.p2align	8
	.type	_ZN7rocprim17ROCPRIM_400000_NS6detail17trampoline_kernelINS0_14default_configENS1_35radix_sort_onesweep_config_selectorIbNS0_10empty_typeEEEZNS1_34radix_sort_onesweep_global_offsetsIS3_Lb1EPKbPS5_mNS0_19identity_decomposerEEE10hipError_tT1_T2_PT3_SF_jT4_jjP12ihipStream_tbEUlT_E_NS1_11comp_targetILNS1_3genE2ELNS1_11target_archE906ELNS1_3gpuE6ELNS1_3repE0EEENS1_52radix_sort_onesweep_histogram_config_static_selectorELNS0_4arch9wavefront6targetE0EEEvSD_,@function
_ZN7rocprim17ROCPRIM_400000_NS6detail17trampoline_kernelINS0_14default_configENS1_35radix_sort_onesweep_config_selectorIbNS0_10empty_typeEEEZNS1_34radix_sort_onesweep_global_offsetsIS3_Lb1EPKbPS5_mNS0_19identity_decomposerEEE10hipError_tT1_T2_PT3_SF_jT4_jjP12ihipStream_tbEUlT_E_NS1_11comp_targetILNS1_3genE2ELNS1_11target_archE906ELNS1_3gpuE6ELNS1_3repE0EEENS1_52radix_sort_onesweep_histogram_config_static_selectorELNS0_4arch9wavefront6targetE0EEEvSD_: ; @_ZN7rocprim17ROCPRIM_400000_NS6detail17trampoline_kernelINS0_14default_configENS1_35radix_sort_onesweep_config_selectorIbNS0_10empty_typeEEEZNS1_34radix_sort_onesweep_global_offsetsIS3_Lb1EPKbPS5_mNS0_19identity_decomposerEEE10hipError_tT1_T2_PT3_SF_jT4_jjP12ihipStream_tbEUlT_E_NS1_11comp_targetILNS1_3genE2ELNS1_11target_archE906ELNS1_3gpuE6ELNS1_3repE0EEENS1_52radix_sort_onesweep_histogram_config_static_selectorELNS0_4arch9wavefront6targetE0EEEvSD_
; %bb.0:
	.section	.rodata,"a",@progbits
	.p2align	6, 0x0
	.amdhsa_kernel _ZN7rocprim17ROCPRIM_400000_NS6detail17trampoline_kernelINS0_14default_configENS1_35radix_sort_onesweep_config_selectorIbNS0_10empty_typeEEEZNS1_34radix_sort_onesweep_global_offsetsIS3_Lb1EPKbPS5_mNS0_19identity_decomposerEEE10hipError_tT1_T2_PT3_SF_jT4_jjP12ihipStream_tbEUlT_E_NS1_11comp_targetILNS1_3genE2ELNS1_11target_archE906ELNS1_3gpuE6ELNS1_3repE0EEENS1_52radix_sort_onesweep_histogram_config_static_selectorELNS0_4arch9wavefront6targetE0EEEvSD_
		.amdhsa_group_segment_fixed_size 0
		.amdhsa_private_segment_fixed_size 0
		.amdhsa_kernarg_size 48
		.amdhsa_user_sgpr_count 2
		.amdhsa_user_sgpr_dispatch_ptr 0
		.amdhsa_user_sgpr_queue_ptr 0
		.amdhsa_user_sgpr_kernarg_segment_ptr 1
		.amdhsa_user_sgpr_dispatch_id 0
		.amdhsa_user_sgpr_kernarg_preload_length 0
		.amdhsa_user_sgpr_kernarg_preload_offset 0
		.amdhsa_user_sgpr_private_segment_size 0
		.amdhsa_wavefront_size32 1
		.amdhsa_uses_dynamic_stack 0
		.amdhsa_enable_private_segment 0
		.amdhsa_system_sgpr_workgroup_id_x 1
		.amdhsa_system_sgpr_workgroup_id_y 0
		.amdhsa_system_sgpr_workgroup_id_z 0
		.amdhsa_system_sgpr_workgroup_info 0
		.amdhsa_system_vgpr_workitem_id 0
		.amdhsa_next_free_vgpr 1
		.amdhsa_next_free_sgpr 1
		.amdhsa_named_barrier_count 0
		.amdhsa_reserve_vcc 0
		.amdhsa_float_round_mode_32 0
		.amdhsa_float_round_mode_16_64 0
		.amdhsa_float_denorm_mode_32 3
		.amdhsa_float_denorm_mode_16_64 3
		.amdhsa_fp16_overflow 0
		.amdhsa_memory_ordered 1
		.amdhsa_forward_progress 1
		.amdhsa_inst_pref_size 0
		.amdhsa_round_robin_scheduling 0
		.amdhsa_exception_fp_ieee_invalid_op 0
		.amdhsa_exception_fp_denorm_src 0
		.amdhsa_exception_fp_ieee_div_zero 0
		.amdhsa_exception_fp_ieee_overflow 0
		.amdhsa_exception_fp_ieee_underflow 0
		.amdhsa_exception_fp_ieee_inexact 0
		.amdhsa_exception_int_div_zero 0
	.end_amdhsa_kernel
	.section	.text._ZN7rocprim17ROCPRIM_400000_NS6detail17trampoline_kernelINS0_14default_configENS1_35radix_sort_onesweep_config_selectorIbNS0_10empty_typeEEEZNS1_34radix_sort_onesweep_global_offsetsIS3_Lb1EPKbPS5_mNS0_19identity_decomposerEEE10hipError_tT1_T2_PT3_SF_jT4_jjP12ihipStream_tbEUlT_E_NS1_11comp_targetILNS1_3genE2ELNS1_11target_archE906ELNS1_3gpuE6ELNS1_3repE0EEENS1_52radix_sort_onesweep_histogram_config_static_selectorELNS0_4arch9wavefront6targetE0EEEvSD_,"axG",@progbits,_ZN7rocprim17ROCPRIM_400000_NS6detail17trampoline_kernelINS0_14default_configENS1_35radix_sort_onesweep_config_selectorIbNS0_10empty_typeEEEZNS1_34radix_sort_onesweep_global_offsetsIS3_Lb1EPKbPS5_mNS0_19identity_decomposerEEE10hipError_tT1_T2_PT3_SF_jT4_jjP12ihipStream_tbEUlT_E_NS1_11comp_targetILNS1_3genE2ELNS1_11target_archE906ELNS1_3gpuE6ELNS1_3repE0EEENS1_52radix_sort_onesweep_histogram_config_static_selectorELNS0_4arch9wavefront6targetE0EEEvSD_,comdat
.Lfunc_end1718:
	.size	_ZN7rocprim17ROCPRIM_400000_NS6detail17trampoline_kernelINS0_14default_configENS1_35radix_sort_onesweep_config_selectorIbNS0_10empty_typeEEEZNS1_34radix_sort_onesweep_global_offsetsIS3_Lb1EPKbPS5_mNS0_19identity_decomposerEEE10hipError_tT1_T2_PT3_SF_jT4_jjP12ihipStream_tbEUlT_E_NS1_11comp_targetILNS1_3genE2ELNS1_11target_archE906ELNS1_3gpuE6ELNS1_3repE0EEENS1_52radix_sort_onesweep_histogram_config_static_selectorELNS0_4arch9wavefront6targetE0EEEvSD_, .Lfunc_end1718-_ZN7rocprim17ROCPRIM_400000_NS6detail17trampoline_kernelINS0_14default_configENS1_35radix_sort_onesweep_config_selectorIbNS0_10empty_typeEEEZNS1_34radix_sort_onesweep_global_offsetsIS3_Lb1EPKbPS5_mNS0_19identity_decomposerEEE10hipError_tT1_T2_PT3_SF_jT4_jjP12ihipStream_tbEUlT_E_NS1_11comp_targetILNS1_3genE2ELNS1_11target_archE906ELNS1_3gpuE6ELNS1_3repE0EEENS1_52radix_sort_onesweep_histogram_config_static_selectorELNS0_4arch9wavefront6targetE0EEEvSD_
                                        ; -- End function
	.set _ZN7rocprim17ROCPRIM_400000_NS6detail17trampoline_kernelINS0_14default_configENS1_35radix_sort_onesweep_config_selectorIbNS0_10empty_typeEEEZNS1_34radix_sort_onesweep_global_offsetsIS3_Lb1EPKbPS5_mNS0_19identity_decomposerEEE10hipError_tT1_T2_PT3_SF_jT4_jjP12ihipStream_tbEUlT_E_NS1_11comp_targetILNS1_3genE2ELNS1_11target_archE906ELNS1_3gpuE6ELNS1_3repE0EEENS1_52radix_sort_onesweep_histogram_config_static_selectorELNS0_4arch9wavefront6targetE0EEEvSD_.num_vgpr, 0
	.set _ZN7rocprim17ROCPRIM_400000_NS6detail17trampoline_kernelINS0_14default_configENS1_35radix_sort_onesweep_config_selectorIbNS0_10empty_typeEEEZNS1_34radix_sort_onesweep_global_offsetsIS3_Lb1EPKbPS5_mNS0_19identity_decomposerEEE10hipError_tT1_T2_PT3_SF_jT4_jjP12ihipStream_tbEUlT_E_NS1_11comp_targetILNS1_3genE2ELNS1_11target_archE906ELNS1_3gpuE6ELNS1_3repE0EEENS1_52radix_sort_onesweep_histogram_config_static_selectorELNS0_4arch9wavefront6targetE0EEEvSD_.num_agpr, 0
	.set _ZN7rocprim17ROCPRIM_400000_NS6detail17trampoline_kernelINS0_14default_configENS1_35radix_sort_onesweep_config_selectorIbNS0_10empty_typeEEEZNS1_34radix_sort_onesweep_global_offsetsIS3_Lb1EPKbPS5_mNS0_19identity_decomposerEEE10hipError_tT1_T2_PT3_SF_jT4_jjP12ihipStream_tbEUlT_E_NS1_11comp_targetILNS1_3genE2ELNS1_11target_archE906ELNS1_3gpuE6ELNS1_3repE0EEENS1_52radix_sort_onesweep_histogram_config_static_selectorELNS0_4arch9wavefront6targetE0EEEvSD_.numbered_sgpr, 0
	.set _ZN7rocprim17ROCPRIM_400000_NS6detail17trampoline_kernelINS0_14default_configENS1_35radix_sort_onesweep_config_selectorIbNS0_10empty_typeEEEZNS1_34radix_sort_onesweep_global_offsetsIS3_Lb1EPKbPS5_mNS0_19identity_decomposerEEE10hipError_tT1_T2_PT3_SF_jT4_jjP12ihipStream_tbEUlT_E_NS1_11comp_targetILNS1_3genE2ELNS1_11target_archE906ELNS1_3gpuE6ELNS1_3repE0EEENS1_52radix_sort_onesweep_histogram_config_static_selectorELNS0_4arch9wavefront6targetE0EEEvSD_.num_named_barrier, 0
	.set _ZN7rocprim17ROCPRIM_400000_NS6detail17trampoline_kernelINS0_14default_configENS1_35radix_sort_onesweep_config_selectorIbNS0_10empty_typeEEEZNS1_34radix_sort_onesweep_global_offsetsIS3_Lb1EPKbPS5_mNS0_19identity_decomposerEEE10hipError_tT1_T2_PT3_SF_jT4_jjP12ihipStream_tbEUlT_E_NS1_11comp_targetILNS1_3genE2ELNS1_11target_archE906ELNS1_3gpuE6ELNS1_3repE0EEENS1_52radix_sort_onesweep_histogram_config_static_selectorELNS0_4arch9wavefront6targetE0EEEvSD_.private_seg_size, 0
	.set _ZN7rocprim17ROCPRIM_400000_NS6detail17trampoline_kernelINS0_14default_configENS1_35radix_sort_onesweep_config_selectorIbNS0_10empty_typeEEEZNS1_34radix_sort_onesweep_global_offsetsIS3_Lb1EPKbPS5_mNS0_19identity_decomposerEEE10hipError_tT1_T2_PT3_SF_jT4_jjP12ihipStream_tbEUlT_E_NS1_11comp_targetILNS1_3genE2ELNS1_11target_archE906ELNS1_3gpuE6ELNS1_3repE0EEENS1_52radix_sort_onesweep_histogram_config_static_selectorELNS0_4arch9wavefront6targetE0EEEvSD_.uses_vcc, 0
	.set _ZN7rocprim17ROCPRIM_400000_NS6detail17trampoline_kernelINS0_14default_configENS1_35radix_sort_onesweep_config_selectorIbNS0_10empty_typeEEEZNS1_34radix_sort_onesweep_global_offsetsIS3_Lb1EPKbPS5_mNS0_19identity_decomposerEEE10hipError_tT1_T2_PT3_SF_jT4_jjP12ihipStream_tbEUlT_E_NS1_11comp_targetILNS1_3genE2ELNS1_11target_archE906ELNS1_3gpuE6ELNS1_3repE0EEENS1_52radix_sort_onesweep_histogram_config_static_selectorELNS0_4arch9wavefront6targetE0EEEvSD_.uses_flat_scratch, 0
	.set _ZN7rocprim17ROCPRIM_400000_NS6detail17trampoline_kernelINS0_14default_configENS1_35radix_sort_onesweep_config_selectorIbNS0_10empty_typeEEEZNS1_34radix_sort_onesweep_global_offsetsIS3_Lb1EPKbPS5_mNS0_19identity_decomposerEEE10hipError_tT1_T2_PT3_SF_jT4_jjP12ihipStream_tbEUlT_E_NS1_11comp_targetILNS1_3genE2ELNS1_11target_archE906ELNS1_3gpuE6ELNS1_3repE0EEENS1_52radix_sort_onesweep_histogram_config_static_selectorELNS0_4arch9wavefront6targetE0EEEvSD_.has_dyn_sized_stack, 0
	.set _ZN7rocprim17ROCPRIM_400000_NS6detail17trampoline_kernelINS0_14default_configENS1_35radix_sort_onesweep_config_selectorIbNS0_10empty_typeEEEZNS1_34radix_sort_onesweep_global_offsetsIS3_Lb1EPKbPS5_mNS0_19identity_decomposerEEE10hipError_tT1_T2_PT3_SF_jT4_jjP12ihipStream_tbEUlT_E_NS1_11comp_targetILNS1_3genE2ELNS1_11target_archE906ELNS1_3gpuE6ELNS1_3repE0EEENS1_52radix_sort_onesweep_histogram_config_static_selectorELNS0_4arch9wavefront6targetE0EEEvSD_.has_recursion, 0
	.set _ZN7rocprim17ROCPRIM_400000_NS6detail17trampoline_kernelINS0_14default_configENS1_35radix_sort_onesweep_config_selectorIbNS0_10empty_typeEEEZNS1_34radix_sort_onesweep_global_offsetsIS3_Lb1EPKbPS5_mNS0_19identity_decomposerEEE10hipError_tT1_T2_PT3_SF_jT4_jjP12ihipStream_tbEUlT_E_NS1_11comp_targetILNS1_3genE2ELNS1_11target_archE906ELNS1_3gpuE6ELNS1_3repE0EEENS1_52radix_sort_onesweep_histogram_config_static_selectorELNS0_4arch9wavefront6targetE0EEEvSD_.has_indirect_call, 0
	.section	.AMDGPU.csdata,"",@progbits
; Kernel info:
; codeLenInByte = 0
; TotalNumSgprs: 0
; NumVgprs: 0
; ScratchSize: 0
; MemoryBound: 0
; FloatMode: 240
; IeeeMode: 1
; LDSByteSize: 0 bytes/workgroup (compile time only)
; SGPRBlocks: 0
; VGPRBlocks: 0
; NumSGPRsForWavesPerEU: 1
; NumVGPRsForWavesPerEU: 1
; NamedBarCnt: 0
; Occupancy: 16
; WaveLimiterHint : 0
; COMPUTE_PGM_RSRC2:SCRATCH_EN: 0
; COMPUTE_PGM_RSRC2:USER_SGPR: 2
; COMPUTE_PGM_RSRC2:TRAP_HANDLER: 0
; COMPUTE_PGM_RSRC2:TGID_X_EN: 1
; COMPUTE_PGM_RSRC2:TGID_Y_EN: 0
; COMPUTE_PGM_RSRC2:TGID_Z_EN: 0
; COMPUTE_PGM_RSRC2:TIDIG_COMP_CNT: 0
	.section	.text._ZN7rocprim17ROCPRIM_400000_NS6detail17trampoline_kernelINS0_14default_configENS1_35radix_sort_onesweep_config_selectorIbNS0_10empty_typeEEEZNS1_34radix_sort_onesweep_global_offsetsIS3_Lb1EPKbPS5_mNS0_19identity_decomposerEEE10hipError_tT1_T2_PT3_SF_jT4_jjP12ihipStream_tbEUlT_E_NS1_11comp_targetILNS1_3genE4ELNS1_11target_archE910ELNS1_3gpuE8ELNS1_3repE0EEENS1_52radix_sort_onesweep_histogram_config_static_selectorELNS0_4arch9wavefront6targetE0EEEvSD_,"axG",@progbits,_ZN7rocprim17ROCPRIM_400000_NS6detail17trampoline_kernelINS0_14default_configENS1_35radix_sort_onesweep_config_selectorIbNS0_10empty_typeEEEZNS1_34radix_sort_onesweep_global_offsetsIS3_Lb1EPKbPS5_mNS0_19identity_decomposerEEE10hipError_tT1_T2_PT3_SF_jT4_jjP12ihipStream_tbEUlT_E_NS1_11comp_targetILNS1_3genE4ELNS1_11target_archE910ELNS1_3gpuE8ELNS1_3repE0EEENS1_52radix_sort_onesweep_histogram_config_static_selectorELNS0_4arch9wavefront6targetE0EEEvSD_,comdat
	.protected	_ZN7rocprim17ROCPRIM_400000_NS6detail17trampoline_kernelINS0_14default_configENS1_35radix_sort_onesweep_config_selectorIbNS0_10empty_typeEEEZNS1_34radix_sort_onesweep_global_offsetsIS3_Lb1EPKbPS5_mNS0_19identity_decomposerEEE10hipError_tT1_T2_PT3_SF_jT4_jjP12ihipStream_tbEUlT_E_NS1_11comp_targetILNS1_3genE4ELNS1_11target_archE910ELNS1_3gpuE8ELNS1_3repE0EEENS1_52radix_sort_onesweep_histogram_config_static_selectorELNS0_4arch9wavefront6targetE0EEEvSD_ ; -- Begin function _ZN7rocprim17ROCPRIM_400000_NS6detail17trampoline_kernelINS0_14default_configENS1_35radix_sort_onesweep_config_selectorIbNS0_10empty_typeEEEZNS1_34radix_sort_onesweep_global_offsetsIS3_Lb1EPKbPS5_mNS0_19identity_decomposerEEE10hipError_tT1_T2_PT3_SF_jT4_jjP12ihipStream_tbEUlT_E_NS1_11comp_targetILNS1_3genE4ELNS1_11target_archE910ELNS1_3gpuE8ELNS1_3repE0EEENS1_52radix_sort_onesweep_histogram_config_static_selectorELNS0_4arch9wavefront6targetE0EEEvSD_
	.globl	_ZN7rocprim17ROCPRIM_400000_NS6detail17trampoline_kernelINS0_14default_configENS1_35radix_sort_onesweep_config_selectorIbNS0_10empty_typeEEEZNS1_34radix_sort_onesweep_global_offsetsIS3_Lb1EPKbPS5_mNS0_19identity_decomposerEEE10hipError_tT1_T2_PT3_SF_jT4_jjP12ihipStream_tbEUlT_E_NS1_11comp_targetILNS1_3genE4ELNS1_11target_archE910ELNS1_3gpuE8ELNS1_3repE0EEENS1_52radix_sort_onesweep_histogram_config_static_selectorELNS0_4arch9wavefront6targetE0EEEvSD_
	.p2align	8
	.type	_ZN7rocprim17ROCPRIM_400000_NS6detail17trampoline_kernelINS0_14default_configENS1_35radix_sort_onesweep_config_selectorIbNS0_10empty_typeEEEZNS1_34radix_sort_onesweep_global_offsetsIS3_Lb1EPKbPS5_mNS0_19identity_decomposerEEE10hipError_tT1_T2_PT3_SF_jT4_jjP12ihipStream_tbEUlT_E_NS1_11comp_targetILNS1_3genE4ELNS1_11target_archE910ELNS1_3gpuE8ELNS1_3repE0EEENS1_52radix_sort_onesweep_histogram_config_static_selectorELNS0_4arch9wavefront6targetE0EEEvSD_,@function
_ZN7rocprim17ROCPRIM_400000_NS6detail17trampoline_kernelINS0_14default_configENS1_35radix_sort_onesweep_config_selectorIbNS0_10empty_typeEEEZNS1_34radix_sort_onesweep_global_offsetsIS3_Lb1EPKbPS5_mNS0_19identity_decomposerEEE10hipError_tT1_T2_PT3_SF_jT4_jjP12ihipStream_tbEUlT_E_NS1_11comp_targetILNS1_3genE4ELNS1_11target_archE910ELNS1_3gpuE8ELNS1_3repE0EEENS1_52radix_sort_onesweep_histogram_config_static_selectorELNS0_4arch9wavefront6targetE0EEEvSD_: ; @_ZN7rocprim17ROCPRIM_400000_NS6detail17trampoline_kernelINS0_14default_configENS1_35radix_sort_onesweep_config_selectorIbNS0_10empty_typeEEEZNS1_34radix_sort_onesweep_global_offsetsIS3_Lb1EPKbPS5_mNS0_19identity_decomposerEEE10hipError_tT1_T2_PT3_SF_jT4_jjP12ihipStream_tbEUlT_E_NS1_11comp_targetILNS1_3genE4ELNS1_11target_archE910ELNS1_3gpuE8ELNS1_3repE0EEENS1_52radix_sort_onesweep_histogram_config_static_selectorELNS0_4arch9wavefront6targetE0EEEvSD_
; %bb.0:
	.section	.rodata,"a",@progbits
	.p2align	6, 0x0
	.amdhsa_kernel _ZN7rocprim17ROCPRIM_400000_NS6detail17trampoline_kernelINS0_14default_configENS1_35radix_sort_onesweep_config_selectorIbNS0_10empty_typeEEEZNS1_34radix_sort_onesweep_global_offsetsIS3_Lb1EPKbPS5_mNS0_19identity_decomposerEEE10hipError_tT1_T2_PT3_SF_jT4_jjP12ihipStream_tbEUlT_E_NS1_11comp_targetILNS1_3genE4ELNS1_11target_archE910ELNS1_3gpuE8ELNS1_3repE0EEENS1_52radix_sort_onesweep_histogram_config_static_selectorELNS0_4arch9wavefront6targetE0EEEvSD_
		.amdhsa_group_segment_fixed_size 0
		.amdhsa_private_segment_fixed_size 0
		.amdhsa_kernarg_size 48
		.amdhsa_user_sgpr_count 2
		.amdhsa_user_sgpr_dispatch_ptr 0
		.amdhsa_user_sgpr_queue_ptr 0
		.amdhsa_user_sgpr_kernarg_segment_ptr 1
		.amdhsa_user_sgpr_dispatch_id 0
		.amdhsa_user_sgpr_kernarg_preload_length 0
		.amdhsa_user_sgpr_kernarg_preload_offset 0
		.amdhsa_user_sgpr_private_segment_size 0
		.amdhsa_wavefront_size32 1
		.amdhsa_uses_dynamic_stack 0
		.amdhsa_enable_private_segment 0
		.amdhsa_system_sgpr_workgroup_id_x 1
		.amdhsa_system_sgpr_workgroup_id_y 0
		.amdhsa_system_sgpr_workgroup_id_z 0
		.amdhsa_system_sgpr_workgroup_info 0
		.amdhsa_system_vgpr_workitem_id 0
		.amdhsa_next_free_vgpr 1
		.amdhsa_next_free_sgpr 1
		.amdhsa_named_barrier_count 0
		.amdhsa_reserve_vcc 0
		.amdhsa_float_round_mode_32 0
		.amdhsa_float_round_mode_16_64 0
		.amdhsa_float_denorm_mode_32 3
		.amdhsa_float_denorm_mode_16_64 3
		.amdhsa_fp16_overflow 0
		.amdhsa_memory_ordered 1
		.amdhsa_forward_progress 1
		.amdhsa_inst_pref_size 0
		.amdhsa_round_robin_scheduling 0
		.amdhsa_exception_fp_ieee_invalid_op 0
		.amdhsa_exception_fp_denorm_src 0
		.amdhsa_exception_fp_ieee_div_zero 0
		.amdhsa_exception_fp_ieee_overflow 0
		.amdhsa_exception_fp_ieee_underflow 0
		.amdhsa_exception_fp_ieee_inexact 0
		.amdhsa_exception_int_div_zero 0
	.end_amdhsa_kernel
	.section	.text._ZN7rocprim17ROCPRIM_400000_NS6detail17trampoline_kernelINS0_14default_configENS1_35radix_sort_onesweep_config_selectorIbNS0_10empty_typeEEEZNS1_34radix_sort_onesweep_global_offsetsIS3_Lb1EPKbPS5_mNS0_19identity_decomposerEEE10hipError_tT1_T2_PT3_SF_jT4_jjP12ihipStream_tbEUlT_E_NS1_11comp_targetILNS1_3genE4ELNS1_11target_archE910ELNS1_3gpuE8ELNS1_3repE0EEENS1_52radix_sort_onesweep_histogram_config_static_selectorELNS0_4arch9wavefront6targetE0EEEvSD_,"axG",@progbits,_ZN7rocprim17ROCPRIM_400000_NS6detail17trampoline_kernelINS0_14default_configENS1_35radix_sort_onesweep_config_selectorIbNS0_10empty_typeEEEZNS1_34radix_sort_onesweep_global_offsetsIS3_Lb1EPKbPS5_mNS0_19identity_decomposerEEE10hipError_tT1_T2_PT3_SF_jT4_jjP12ihipStream_tbEUlT_E_NS1_11comp_targetILNS1_3genE4ELNS1_11target_archE910ELNS1_3gpuE8ELNS1_3repE0EEENS1_52radix_sort_onesweep_histogram_config_static_selectorELNS0_4arch9wavefront6targetE0EEEvSD_,comdat
.Lfunc_end1719:
	.size	_ZN7rocprim17ROCPRIM_400000_NS6detail17trampoline_kernelINS0_14default_configENS1_35radix_sort_onesweep_config_selectorIbNS0_10empty_typeEEEZNS1_34radix_sort_onesweep_global_offsetsIS3_Lb1EPKbPS5_mNS0_19identity_decomposerEEE10hipError_tT1_T2_PT3_SF_jT4_jjP12ihipStream_tbEUlT_E_NS1_11comp_targetILNS1_3genE4ELNS1_11target_archE910ELNS1_3gpuE8ELNS1_3repE0EEENS1_52radix_sort_onesweep_histogram_config_static_selectorELNS0_4arch9wavefront6targetE0EEEvSD_, .Lfunc_end1719-_ZN7rocprim17ROCPRIM_400000_NS6detail17trampoline_kernelINS0_14default_configENS1_35radix_sort_onesweep_config_selectorIbNS0_10empty_typeEEEZNS1_34radix_sort_onesweep_global_offsetsIS3_Lb1EPKbPS5_mNS0_19identity_decomposerEEE10hipError_tT1_T2_PT3_SF_jT4_jjP12ihipStream_tbEUlT_E_NS1_11comp_targetILNS1_3genE4ELNS1_11target_archE910ELNS1_3gpuE8ELNS1_3repE0EEENS1_52radix_sort_onesweep_histogram_config_static_selectorELNS0_4arch9wavefront6targetE0EEEvSD_
                                        ; -- End function
	.set _ZN7rocprim17ROCPRIM_400000_NS6detail17trampoline_kernelINS0_14default_configENS1_35radix_sort_onesweep_config_selectorIbNS0_10empty_typeEEEZNS1_34radix_sort_onesweep_global_offsetsIS3_Lb1EPKbPS5_mNS0_19identity_decomposerEEE10hipError_tT1_T2_PT3_SF_jT4_jjP12ihipStream_tbEUlT_E_NS1_11comp_targetILNS1_3genE4ELNS1_11target_archE910ELNS1_3gpuE8ELNS1_3repE0EEENS1_52radix_sort_onesweep_histogram_config_static_selectorELNS0_4arch9wavefront6targetE0EEEvSD_.num_vgpr, 0
	.set _ZN7rocprim17ROCPRIM_400000_NS6detail17trampoline_kernelINS0_14default_configENS1_35radix_sort_onesweep_config_selectorIbNS0_10empty_typeEEEZNS1_34radix_sort_onesweep_global_offsetsIS3_Lb1EPKbPS5_mNS0_19identity_decomposerEEE10hipError_tT1_T2_PT3_SF_jT4_jjP12ihipStream_tbEUlT_E_NS1_11comp_targetILNS1_3genE4ELNS1_11target_archE910ELNS1_3gpuE8ELNS1_3repE0EEENS1_52radix_sort_onesweep_histogram_config_static_selectorELNS0_4arch9wavefront6targetE0EEEvSD_.num_agpr, 0
	.set _ZN7rocprim17ROCPRIM_400000_NS6detail17trampoline_kernelINS0_14default_configENS1_35radix_sort_onesweep_config_selectorIbNS0_10empty_typeEEEZNS1_34radix_sort_onesweep_global_offsetsIS3_Lb1EPKbPS5_mNS0_19identity_decomposerEEE10hipError_tT1_T2_PT3_SF_jT4_jjP12ihipStream_tbEUlT_E_NS1_11comp_targetILNS1_3genE4ELNS1_11target_archE910ELNS1_3gpuE8ELNS1_3repE0EEENS1_52radix_sort_onesweep_histogram_config_static_selectorELNS0_4arch9wavefront6targetE0EEEvSD_.numbered_sgpr, 0
	.set _ZN7rocprim17ROCPRIM_400000_NS6detail17trampoline_kernelINS0_14default_configENS1_35radix_sort_onesweep_config_selectorIbNS0_10empty_typeEEEZNS1_34radix_sort_onesweep_global_offsetsIS3_Lb1EPKbPS5_mNS0_19identity_decomposerEEE10hipError_tT1_T2_PT3_SF_jT4_jjP12ihipStream_tbEUlT_E_NS1_11comp_targetILNS1_3genE4ELNS1_11target_archE910ELNS1_3gpuE8ELNS1_3repE0EEENS1_52radix_sort_onesweep_histogram_config_static_selectorELNS0_4arch9wavefront6targetE0EEEvSD_.num_named_barrier, 0
	.set _ZN7rocprim17ROCPRIM_400000_NS6detail17trampoline_kernelINS0_14default_configENS1_35radix_sort_onesweep_config_selectorIbNS0_10empty_typeEEEZNS1_34radix_sort_onesweep_global_offsetsIS3_Lb1EPKbPS5_mNS0_19identity_decomposerEEE10hipError_tT1_T2_PT3_SF_jT4_jjP12ihipStream_tbEUlT_E_NS1_11comp_targetILNS1_3genE4ELNS1_11target_archE910ELNS1_3gpuE8ELNS1_3repE0EEENS1_52radix_sort_onesweep_histogram_config_static_selectorELNS0_4arch9wavefront6targetE0EEEvSD_.private_seg_size, 0
	.set _ZN7rocprim17ROCPRIM_400000_NS6detail17trampoline_kernelINS0_14default_configENS1_35radix_sort_onesweep_config_selectorIbNS0_10empty_typeEEEZNS1_34radix_sort_onesweep_global_offsetsIS3_Lb1EPKbPS5_mNS0_19identity_decomposerEEE10hipError_tT1_T2_PT3_SF_jT4_jjP12ihipStream_tbEUlT_E_NS1_11comp_targetILNS1_3genE4ELNS1_11target_archE910ELNS1_3gpuE8ELNS1_3repE0EEENS1_52radix_sort_onesweep_histogram_config_static_selectorELNS0_4arch9wavefront6targetE0EEEvSD_.uses_vcc, 0
	.set _ZN7rocprim17ROCPRIM_400000_NS6detail17trampoline_kernelINS0_14default_configENS1_35radix_sort_onesweep_config_selectorIbNS0_10empty_typeEEEZNS1_34radix_sort_onesweep_global_offsetsIS3_Lb1EPKbPS5_mNS0_19identity_decomposerEEE10hipError_tT1_T2_PT3_SF_jT4_jjP12ihipStream_tbEUlT_E_NS1_11comp_targetILNS1_3genE4ELNS1_11target_archE910ELNS1_3gpuE8ELNS1_3repE0EEENS1_52radix_sort_onesweep_histogram_config_static_selectorELNS0_4arch9wavefront6targetE0EEEvSD_.uses_flat_scratch, 0
	.set _ZN7rocprim17ROCPRIM_400000_NS6detail17trampoline_kernelINS0_14default_configENS1_35radix_sort_onesweep_config_selectorIbNS0_10empty_typeEEEZNS1_34radix_sort_onesweep_global_offsetsIS3_Lb1EPKbPS5_mNS0_19identity_decomposerEEE10hipError_tT1_T2_PT3_SF_jT4_jjP12ihipStream_tbEUlT_E_NS1_11comp_targetILNS1_3genE4ELNS1_11target_archE910ELNS1_3gpuE8ELNS1_3repE0EEENS1_52radix_sort_onesweep_histogram_config_static_selectorELNS0_4arch9wavefront6targetE0EEEvSD_.has_dyn_sized_stack, 0
	.set _ZN7rocprim17ROCPRIM_400000_NS6detail17trampoline_kernelINS0_14default_configENS1_35radix_sort_onesweep_config_selectorIbNS0_10empty_typeEEEZNS1_34radix_sort_onesweep_global_offsetsIS3_Lb1EPKbPS5_mNS0_19identity_decomposerEEE10hipError_tT1_T2_PT3_SF_jT4_jjP12ihipStream_tbEUlT_E_NS1_11comp_targetILNS1_3genE4ELNS1_11target_archE910ELNS1_3gpuE8ELNS1_3repE0EEENS1_52radix_sort_onesweep_histogram_config_static_selectorELNS0_4arch9wavefront6targetE0EEEvSD_.has_recursion, 0
	.set _ZN7rocprim17ROCPRIM_400000_NS6detail17trampoline_kernelINS0_14default_configENS1_35radix_sort_onesweep_config_selectorIbNS0_10empty_typeEEEZNS1_34radix_sort_onesweep_global_offsetsIS3_Lb1EPKbPS5_mNS0_19identity_decomposerEEE10hipError_tT1_T2_PT3_SF_jT4_jjP12ihipStream_tbEUlT_E_NS1_11comp_targetILNS1_3genE4ELNS1_11target_archE910ELNS1_3gpuE8ELNS1_3repE0EEENS1_52radix_sort_onesweep_histogram_config_static_selectorELNS0_4arch9wavefront6targetE0EEEvSD_.has_indirect_call, 0
	.section	.AMDGPU.csdata,"",@progbits
; Kernel info:
; codeLenInByte = 0
; TotalNumSgprs: 0
; NumVgprs: 0
; ScratchSize: 0
; MemoryBound: 0
; FloatMode: 240
; IeeeMode: 1
; LDSByteSize: 0 bytes/workgroup (compile time only)
; SGPRBlocks: 0
; VGPRBlocks: 0
; NumSGPRsForWavesPerEU: 1
; NumVGPRsForWavesPerEU: 1
; NamedBarCnt: 0
; Occupancy: 16
; WaveLimiterHint : 0
; COMPUTE_PGM_RSRC2:SCRATCH_EN: 0
; COMPUTE_PGM_RSRC2:USER_SGPR: 2
; COMPUTE_PGM_RSRC2:TRAP_HANDLER: 0
; COMPUTE_PGM_RSRC2:TGID_X_EN: 1
; COMPUTE_PGM_RSRC2:TGID_Y_EN: 0
; COMPUTE_PGM_RSRC2:TGID_Z_EN: 0
; COMPUTE_PGM_RSRC2:TIDIG_COMP_CNT: 0
	.section	.text._ZN7rocprim17ROCPRIM_400000_NS6detail17trampoline_kernelINS0_14default_configENS1_35radix_sort_onesweep_config_selectorIbNS0_10empty_typeEEEZNS1_34radix_sort_onesweep_global_offsetsIS3_Lb1EPKbPS5_mNS0_19identity_decomposerEEE10hipError_tT1_T2_PT3_SF_jT4_jjP12ihipStream_tbEUlT_E_NS1_11comp_targetILNS1_3genE3ELNS1_11target_archE908ELNS1_3gpuE7ELNS1_3repE0EEENS1_52radix_sort_onesweep_histogram_config_static_selectorELNS0_4arch9wavefront6targetE0EEEvSD_,"axG",@progbits,_ZN7rocprim17ROCPRIM_400000_NS6detail17trampoline_kernelINS0_14default_configENS1_35radix_sort_onesweep_config_selectorIbNS0_10empty_typeEEEZNS1_34radix_sort_onesweep_global_offsetsIS3_Lb1EPKbPS5_mNS0_19identity_decomposerEEE10hipError_tT1_T2_PT3_SF_jT4_jjP12ihipStream_tbEUlT_E_NS1_11comp_targetILNS1_3genE3ELNS1_11target_archE908ELNS1_3gpuE7ELNS1_3repE0EEENS1_52radix_sort_onesweep_histogram_config_static_selectorELNS0_4arch9wavefront6targetE0EEEvSD_,comdat
	.protected	_ZN7rocprim17ROCPRIM_400000_NS6detail17trampoline_kernelINS0_14default_configENS1_35radix_sort_onesweep_config_selectorIbNS0_10empty_typeEEEZNS1_34radix_sort_onesweep_global_offsetsIS3_Lb1EPKbPS5_mNS0_19identity_decomposerEEE10hipError_tT1_T2_PT3_SF_jT4_jjP12ihipStream_tbEUlT_E_NS1_11comp_targetILNS1_3genE3ELNS1_11target_archE908ELNS1_3gpuE7ELNS1_3repE0EEENS1_52radix_sort_onesweep_histogram_config_static_selectorELNS0_4arch9wavefront6targetE0EEEvSD_ ; -- Begin function _ZN7rocprim17ROCPRIM_400000_NS6detail17trampoline_kernelINS0_14default_configENS1_35radix_sort_onesweep_config_selectorIbNS0_10empty_typeEEEZNS1_34radix_sort_onesweep_global_offsetsIS3_Lb1EPKbPS5_mNS0_19identity_decomposerEEE10hipError_tT1_T2_PT3_SF_jT4_jjP12ihipStream_tbEUlT_E_NS1_11comp_targetILNS1_3genE3ELNS1_11target_archE908ELNS1_3gpuE7ELNS1_3repE0EEENS1_52radix_sort_onesweep_histogram_config_static_selectorELNS0_4arch9wavefront6targetE0EEEvSD_
	.globl	_ZN7rocprim17ROCPRIM_400000_NS6detail17trampoline_kernelINS0_14default_configENS1_35radix_sort_onesweep_config_selectorIbNS0_10empty_typeEEEZNS1_34radix_sort_onesweep_global_offsetsIS3_Lb1EPKbPS5_mNS0_19identity_decomposerEEE10hipError_tT1_T2_PT3_SF_jT4_jjP12ihipStream_tbEUlT_E_NS1_11comp_targetILNS1_3genE3ELNS1_11target_archE908ELNS1_3gpuE7ELNS1_3repE0EEENS1_52radix_sort_onesweep_histogram_config_static_selectorELNS0_4arch9wavefront6targetE0EEEvSD_
	.p2align	8
	.type	_ZN7rocprim17ROCPRIM_400000_NS6detail17trampoline_kernelINS0_14default_configENS1_35radix_sort_onesweep_config_selectorIbNS0_10empty_typeEEEZNS1_34radix_sort_onesweep_global_offsetsIS3_Lb1EPKbPS5_mNS0_19identity_decomposerEEE10hipError_tT1_T2_PT3_SF_jT4_jjP12ihipStream_tbEUlT_E_NS1_11comp_targetILNS1_3genE3ELNS1_11target_archE908ELNS1_3gpuE7ELNS1_3repE0EEENS1_52radix_sort_onesweep_histogram_config_static_selectorELNS0_4arch9wavefront6targetE0EEEvSD_,@function
_ZN7rocprim17ROCPRIM_400000_NS6detail17trampoline_kernelINS0_14default_configENS1_35radix_sort_onesweep_config_selectorIbNS0_10empty_typeEEEZNS1_34radix_sort_onesweep_global_offsetsIS3_Lb1EPKbPS5_mNS0_19identity_decomposerEEE10hipError_tT1_T2_PT3_SF_jT4_jjP12ihipStream_tbEUlT_E_NS1_11comp_targetILNS1_3genE3ELNS1_11target_archE908ELNS1_3gpuE7ELNS1_3repE0EEENS1_52radix_sort_onesweep_histogram_config_static_selectorELNS0_4arch9wavefront6targetE0EEEvSD_: ; @_ZN7rocprim17ROCPRIM_400000_NS6detail17trampoline_kernelINS0_14default_configENS1_35radix_sort_onesweep_config_selectorIbNS0_10empty_typeEEEZNS1_34radix_sort_onesweep_global_offsetsIS3_Lb1EPKbPS5_mNS0_19identity_decomposerEEE10hipError_tT1_T2_PT3_SF_jT4_jjP12ihipStream_tbEUlT_E_NS1_11comp_targetILNS1_3genE3ELNS1_11target_archE908ELNS1_3gpuE7ELNS1_3repE0EEENS1_52radix_sort_onesweep_histogram_config_static_selectorELNS0_4arch9wavefront6targetE0EEEvSD_
; %bb.0:
	.section	.rodata,"a",@progbits
	.p2align	6, 0x0
	.amdhsa_kernel _ZN7rocprim17ROCPRIM_400000_NS6detail17trampoline_kernelINS0_14default_configENS1_35radix_sort_onesweep_config_selectorIbNS0_10empty_typeEEEZNS1_34radix_sort_onesweep_global_offsetsIS3_Lb1EPKbPS5_mNS0_19identity_decomposerEEE10hipError_tT1_T2_PT3_SF_jT4_jjP12ihipStream_tbEUlT_E_NS1_11comp_targetILNS1_3genE3ELNS1_11target_archE908ELNS1_3gpuE7ELNS1_3repE0EEENS1_52radix_sort_onesweep_histogram_config_static_selectorELNS0_4arch9wavefront6targetE0EEEvSD_
		.amdhsa_group_segment_fixed_size 0
		.amdhsa_private_segment_fixed_size 0
		.amdhsa_kernarg_size 48
		.amdhsa_user_sgpr_count 2
		.amdhsa_user_sgpr_dispatch_ptr 0
		.amdhsa_user_sgpr_queue_ptr 0
		.amdhsa_user_sgpr_kernarg_segment_ptr 1
		.amdhsa_user_sgpr_dispatch_id 0
		.amdhsa_user_sgpr_kernarg_preload_length 0
		.amdhsa_user_sgpr_kernarg_preload_offset 0
		.amdhsa_user_sgpr_private_segment_size 0
		.amdhsa_wavefront_size32 1
		.amdhsa_uses_dynamic_stack 0
		.amdhsa_enable_private_segment 0
		.amdhsa_system_sgpr_workgroup_id_x 1
		.amdhsa_system_sgpr_workgroup_id_y 0
		.amdhsa_system_sgpr_workgroup_id_z 0
		.amdhsa_system_sgpr_workgroup_info 0
		.amdhsa_system_vgpr_workitem_id 0
		.amdhsa_next_free_vgpr 1
		.amdhsa_next_free_sgpr 1
		.amdhsa_named_barrier_count 0
		.amdhsa_reserve_vcc 0
		.amdhsa_float_round_mode_32 0
		.amdhsa_float_round_mode_16_64 0
		.amdhsa_float_denorm_mode_32 3
		.amdhsa_float_denorm_mode_16_64 3
		.amdhsa_fp16_overflow 0
		.amdhsa_memory_ordered 1
		.amdhsa_forward_progress 1
		.amdhsa_inst_pref_size 0
		.amdhsa_round_robin_scheduling 0
		.amdhsa_exception_fp_ieee_invalid_op 0
		.amdhsa_exception_fp_denorm_src 0
		.amdhsa_exception_fp_ieee_div_zero 0
		.amdhsa_exception_fp_ieee_overflow 0
		.amdhsa_exception_fp_ieee_underflow 0
		.amdhsa_exception_fp_ieee_inexact 0
		.amdhsa_exception_int_div_zero 0
	.end_amdhsa_kernel
	.section	.text._ZN7rocprim17ROCPRIM_400000_NS6detail17trampoline_kernelINS0_14default_configENS1_35radix_sort_onesweep_config_selectorIbNS0_10empty_typeEEEZNS1_34radix_sort_onesweep_global_offsetsIS3_Lb1EPKbPS5_mNS0_19identity_decomposerEEE10hipError_tT1_T2_PT3_SF_jT4_jjP12ihipStream_tbEUlT_E_NS1_11comp_targetILNS1_3genE3ELNS1_11target_archE908ELNS1_3gpuE7ELNS1_3repE0EEENS1_52radix_sort_onesweep_histogram_config_static_selectorELNS0_4arch9wavefront6targetE0EEEvSD_,"axG",@progbits,_ZN7rocprim17ROCPRIM_400000_NS6detail17trampoline_kernelINS0_14default_configENS1_35radix_sort_onesweep_config_selectorIbNS0_10empty_typeEEEZNS1_34radix_sort_onesweep_global_offsetsIS3_Lb1EPKbPS5_mNS0_19identity_decomposerEEE10hipError_tT1_T2_PT3_SF_jT4_jjP12ihipStream_tbEUlT_E_NS1_11comp_targetILNS1_3genE3ELNS1_11target_archE908ELNS1_3gpuE7ELNS1_3repE0EEENS1_52radix_sort_onesweep_histogram_config_static_selectorELNS0_4arch9wavefront6targetE0EEEvSD_,comdat
.Lfunc_end1720:
	.size	_ZN7rocprim17ROCPRIM_400000_NS6detail17trampoline_kernelINS0_14default_configENS1_35radix_sort_onesweep_config_selectorIbNS0_10empty_typeEEEZNS1_34radix_sort_onesweep_global_offsetsIS3_Lb1EPKbPS5_mNS0_19identity_decomposerEEE10hipError_tT1_T2_PT3_SF_jT4_jjP12ihipStream_tbEUlT_E_NS1_11comp_targetILNS1_3genE3ELNS1_11target_archE908ELNS1_3gpuE7ELNS1_3repE0EEENS1_52radix_sort_onesweep_histogram_config_static_selectorELNS0_4arch9wavefront6targetE0EEEvSD_, .Lfunc_end1720-_ZN7rocprim17ROCPRIM_400000_NS6detail17trampoline_kernelINS0_14default_configENS1_35radix_sort_onesweep_config_selectorIbNS0_10empty_typeEEEZNS1_34radix_sort_onesweep_global_offsetsIS3_Lb1EPKbPS5_mNS0_19identity_decomposerEEE10hipError_tT1_T2_PT3_SF_jT4_jjP12ihipStream_tbEUlT_E_NS1_11comp_targetILNS1_3genE3ELNS1_11target_archE908ELNS1_3gpuE7ELNS1_3repE0EEENS1_52radix_sort_onesweep_histogram_config_static_selectorELNS0_4arch9wavefront6targetE0EEEvSD_
                                        ; -- End function
	.set _ZN7rocprim17ROCPRIM_400000_NS6detail17trampoline_kernelINS0_14default_configENS1_35radix_sort_onesweep_config_selectorIbNS0_10empty_typeEEEZNS1_34radix_sort_onesweep_global_offsetsIS3_Lb1EPKbPS5_mNS0_19identity_decomposerEEE10hipError_tT1_T2_PT3_SF_jT4_jjP12ihipStream_tbEUlT_E_NS1_11comp_targetILNS1_3genE3ELNS1_11target_archE908ELNS1_3gpuE7ELNS1_3repE0EEENS1_52radix_sort_onesweep_histogram_config_static_selectorELNS0_4arch9wavefront6targetE0EEEvSD_.num_vgpr, 0
	.set _ZN7rocprim17ROCPRIM_400000_NS6detail17trampoline_kernelINS0_14default_configENS1_35radix_sort_onesweep_config_selectorIbNS0_10empty_typeEEEZNS1_34radix_sort_onesweep_global_offsetsIS3_Lb1EPKbPS5_mNS0_19identity_decomposerEEE10hipError_tT1_T2_PT3_SF_jT4_jjP12ihipStream_tbEUlT_E_NS1_11comp_targetILNS1_3genE3ELNS1_11target_archE908ELNS1_3gpuE7ELNS1_3repE0EEENS1_52radix_sort_onesweep_histogram_config_static_selectorELNS0_4arch9wavefront6targetE0EEEvSD_.num_agpr, 0
	.set _ZN7rocprim17ROCPRIM_400000_NS6detail17trampoline_kernelINS0_14default_configENS1_35radix_sort_onesweep_config_selectorIbNS0_10empty_typeEEEZNS1_34radix_sort_onesweep_global_offsetsIS3_Lb1EPKbPS5_mNS0_19identity_decomposerEEE10hipError_tT1_T2_PT3_SF_jT4_jjP12ihipStream_tbEUlT_E_NS1_11comp_targetILNS1_3genE3ELNS1_11target_archE908ELNS1_3gpuE7ELNS1_3repE0EEENS1_52radix_sort_onesweep_histogram_config_static_selectorELNS0_4arch9wavefront6targetE0EEEvSD_.numbered_sgpr, 0
	.set _ZN7rocprim17ROCPRIM_400000_NS6detail17trampoline_kernelINS0_14default_configENS1_35radix_sort_onesweep_config_selectorIbNS0_10empty_typeEEEZNS1_34radix_sort_onesweep_global_offsetsIS3_Lb1EPKbPS5_mNS0_19identity_decomposerEEE10hipError_tT1_T2_PT3_SF_jT4_jjP12ihipStream_tbEUlT_E_NS1_11comp_targetILNS1_3genE3ELNS1_11target_archE908ELNS1_3gpuE7ELNS1_3repE0EEENS1_52radix_sort_onesweep_histogram_config_static_selectorELNS0_4arch9wavefront6targetE0EEEvSD_.num_named_barrier, 0
	.set _ZN7rocprim17ROCPRIM_400000_NS6detail17trampoline_kernelINS0_14default_configENS1_35radix_sort_onesweep_config_selectorIbNS0_10empty_typeEEEZNS1_34radix_sort_onesweep_global_offsetsIS3_Lb1EPKbPS5_mNS0_19identity_decomposerEEE10hipError_tT1_T2_PT3_SF_jT4_jjP12ihipStream_tbEUlT_E_NS1_11comp_targetILNS1_3genE3ELNS1_11target_archE908ELNS1_3gpuE7ELNS1_3repE0EEENS1_52radix_sort_onesweep_histogram_config_static_selectorELNS0_4arch9wavefront6targetE0EEEvSD_.private_seg_size, 0
	.set _ZN7rocprim17ROCPRIM_400000_NS6detail17trampoline_kernelINS0_14default_configENS1_35radix_sort_onesweep_config_selectorIbNS0_10empty_typeEEEZNS1_34radix_sort_onesweep_global_offsetsIS3_Lb1EPKbPS5_mNS0_19identity_decomposerEEE10hipError_tT1_T2_PT3_SF_jT4_jjP12ihipStream_tbEUlT_E_NS1_11comp_targetILNS1_3genE3ELNS1_11target_archE908ELNS1_3gpuE7ELNS1_3repE0EEENS1_52radix_sort_onesweep_histogram_config_static_selectorELNS0_4arch9wavefront6targetE0EEEvSD_.uses_vcc, 0
	.set _ZN7rocprim17ROCPRIM_400000_NS6detail17trampoline_kernelINS0_14default_configENS1_35radix_sort_onesweep_config_selectorIbNS0_10empty_typeEEEZNS1_34radix_sort_onesweep_global_offsetsIS3_Lb1EPKbPS5_mNS0_19identity_decomposerEEE10hipError_tT1_T2_PT3_SF_jT4_jjP12ihipStream_tbEUlT_E_NS1_11comp_targetILNS1_3genE3ELNS1_11target_archE908ELNS1_3gpuE7ELNS1_3repE0EEENS1_52radix_sort_onesweep_histogram_config_static_selectorELNS0_4arch9wavefront6targetE0EEEvSD_.uses_flat_scratch, 0
	.set _ZN7rocprim17ROCPRIM_400000_NS6detail17trampoline_kernelINS0_14default_configENS1_35radix_sort_onesweep_config_selectorIbNS0_10empty_typeEEEZNS1_34radix_sort_onesweep_global_offsetsIS3_Lb1EPKbPS5_mNS0_19identity_decomposerEEE10hipError_tT1_T2_PT3_SF_jT4_jjP12ihipStream_tbEUlT_E_NS1_11comp_targetILNS1_3genE3ELNS1_11target_archE908ELNS1_3gpuE7ELNS1_3repE0EEENS1_52radix_sort_onesweep_histogram_config_static_selectorELNS0_4arch9wavefront6targetE0EEEvSD_.has_dyn_sized_stack, 0
	.set _ZN7rocprim17ROCPRIM_400000_NS6detail17trampoline_kernelINS0_14default_configENS1_35radix_sort_onesweep_config_selectorIbNS0_10empty_typeEEEZNS1_34radix_sort_onesweep_global_offsetsIS3_Lb1EPKbPS5_mNS0_19identity_decomposerEEE10hipError_tT1_T2_PT3_SF_jT4_jjP12ihipStream_tbEUlT_E_NS1_11comp_targetILNS1_3genE3ELNS1_11target_archE908ELNS1_3gpuE7ELNS1_3repE0EEENS1_52radix_sort_onesweep_histogram_config_static_selectorELNS0_4arch9wavefront6targetE0EEEvSD_.has_recursion, 0
	.set _ZN7rocprim17ROCPRIM_400000_NS6detail17trampoline_kernelINS0_14default_configENS1_35radix_sort_onesweep_config_selectorIbNS0_10empty_typeEEEZNS1_34radix_sort_onesweep_global_offsetsIS3_Lb1EPKbPS5_mNS0_19identity_decomposerEEE10hipError_tT1_T2_PT3_SF_jT4_jjP12ihipStream_tbEUlT_E_NS1_11comp_targetILNS1_3genE3ELNS1_11target_archE908ELNS1_3gpuE7ELNS1_3repE0EEENS1_52radix_sort_onesweep_histogram_config_static_selectorELNS0_4arch9wavefront6targetE0EEEvSD_.has_indirect_call, 0
	.section	.AMDGPU.csdata,"",@progbits
; Kernel info:
; codeLenInByte = 0
; TotalNumSgprs: 0
; NumVgprs: 0
; ScratchSize: 0
; MemoryBound: 0
; FloatMode: 240
; IeeeMode: 1
; LDSByteSize: 0 bytes/workgroup (compile time only)
; SGPRBlocks: 0
; VGPRBlocks: 0
; NumSGPRsForWavesPerEU: 1
; NumVGPRsForWavesPerEU: 1
; NamedBarCnt: 0
; Occupancy: 16
; WaveLimiterHint : 0
; COMPUTE_PGM_RSRC2:SCRATCH_EN: 0
; COMPUTE_PGM_RSRC2:USER_SGPR: 2
; COMPUTE_PGM_RSRC2:TRAP_HANDLER: 0
; COMPUTE_PGM_RSRC2:TGID_X_EN: 1
; COMPUTE_PGM_RSRC2:TGID_Y_EN: 0
; COMPUTE_PGM_RSRC2:TGID_Z_EN: 0
; COMPUTE_PGM_RSRC2:TIDIG_COMP_CNT: 0
	.section	.text._ZN7rocprim17ROCPRIM_400000_NS6detail17trampoline_kernelINS0_14default_configENS1_35radix_sort_onesweep_config_selectorIbNS0_10empty_typeEEEZNS1_34radix_sort_onesweep_global_offsetsIS3_Lb1EPKbPS5_mNS0_19identity_decomposerEEE10hipError_tT1_T2_PT3_SF_jT4_jjP12ihipStream_tbEUlT_E_NS1_11comp_targetILNS1_3genE10ELNS1_11target_archE1201ELNS1_3gpuE5ELNS1_3repE0EEENS1_52radix_sort_onesweep_histogram_config_static_selectorELNS0_4arch9wavefront6targetE0EEEvSD_,"axG",@progbits,_ZN7rocprim17ROCPRIM_400000_NS6detail17trampoline_kernelINS0_14default_configENS1_35radix_sort_onesweep_config_selectorIbNS0_10empty_typeEEEZNS1_34radix_sort_onesweep_global_offsetsIS3_Lb1EPKbPS5_mNS0_19identity_decomposerEEE10hipError_tT1_T2_PT3_SF_jT4_jjP12ihipStream_tbEUlT_E_NS1_11comp_targetILNS1_3genE10ELNS1_11target_archE1201ELNS1_3gpuE5ELNS1_3repE0EEENS1_52radix_sort_onesweep_histogram_config_static_selectorELNS0_4arch9wavefront6targetE0EEEvSD_,comdat
	.protected	_ZN7rocprim17ROCPRIM_400000_NS6detail17trampoline_kernelINS0_14default_configENS1_35radix_sort_onesweep_config_selectorIbNS0_10empty_typeEEEZNS1_34radix_sort_onesweep_global_offsetsIS3_Lb1EPKbPS5_mNS0_19identity_decomposerEEE10hipError_tT1_T2_PT3_SF_jT4_jjP12ihipStream_tbEUlT_E_NS1_11comp_targetILNS1_3genE10ELNS1_11target_archE1201ELNS1_3gpuE5ELNS1_3repE0EEENS1_52radix_sort_onesweep_histogram_config_static_selectorELNS0_4arch9wavefront6targetE0EEEvSD_ ; -- Begin function _ZN7rocprim17ROCPRIM_400000_NS6detail17trampoline_kernelINS0_14default_configENS1_35radix_sort_onesweep_config_selectorIbNS0_10empty_typeEEEZNS1_34radix_sort_onesweep_global_offsetsIS3_Lb1EPKbPS5_mNS0_19identity_decomposerEEE10hipError_tT1_T2_PT3_SF_jT4_jjP12ihipStream_tbEUlT_E_NS1_11comp_targetILNS1_3genE10ELNS1_11target_archE1201ELNS1_3gpuE5ELNS1_3repE0EEENS1_52radix_sort_onesweep_histogram_config_static_selectorELNS0_4arch9wavefront6targetE0EEEvSD_
	.globl	_ZN7rocprim17ROCPRIM_400000_NS6detail17trampoline_kernelINS0_14default_configENS1_35radix_sort_onesweep_config_selectorIbNS0_10empty_typeEEEZNS1_34radix_sort_onesweep_global_offsetsIS3_Lb1EPKbPS5_mNS0_19identity_decomposerEEE10hipError_tT1_T2_PT3_SF_jT4_jjP12ihipStream_tbEUlT_E_NS1_11comp_targetILNS1_3genE10ELNS1_11target_archE1201ELNS1_3gpuE5ELNS1_3repE0EEENS1_52radix_sort_onesweep_histogram_config_static_selectorELNS0_4arch9wavefront6targetE0EEEvSD_
	.p2align	8
	.type	_ZN7rocprim17ROCPRIM_400000_NS6detail17trampoline_kernelINS0_14default_configENS1_35radix_sort_onesweep_config_selectorIbNS0_10empty_typeEEEZNS1_34radix_sort_onesweep_global_offsetsIS3_Lb1EPKbPS5_mNS0_19identity_decomposerEEE10hipError_tT1_T2_PT3_SF_jT4_jjP12ihipStream_tbEUlT_E_NS1_11comp_targetILNS1_3genE10ELNS1_11target_archE1201ELNS1_3gpuE5ELNS1_3repE0EEENS1_52radix_sort_onesweep_histogram_config_static_selectorELNS0_4arch9wavefront6targetE0EEEvSD_,@function
_ZN7rocprim17ROCPRIM_400000_NS6detail17trampoline_kernelINS0_14default_configENS1_35radix_sort_onesweep_config_selectorIbNS0_10empty_typeEEEZNS1_34radix_sort_onesweep_global_offsetsIS3_Lb1EPKbPS5_mNS0_19identity_decomposerEEE10hipError_tT1_T2_PT3_SF_jT4_jjP12ihipStream_tbEUlT_E_NS1_11comp_targetILNS1_3genE10ELNS1_11target_archE1201ELNS1_3gpuE5ELNS1_3repE0EEENS1_52radix_sort_onesweep_histogram_config_static_selectorELNS0_4arch9wavefront6targetE0EEEvSD_: ; @_ZN7rocprim17ROCPRIM_400000_NS6detail17trampoline_kernelINS0_14default_configENS1_35radix_sort_onesweep_config_selectorIbNS0_10empty_typeEEEZNS1_34radix_sort_onesweep_global_offsetsIS3_Lb1EPKbPS5_mNS0_19identity_decomposerEEE10hipError_tT1_T2_PT3_SF_jT4_jjP12ihipStream_tbEUlT_E_NS1_11comp_targetILNS1_3genE10ELNS1_11target_archE1201ELNS1_3gpuE5ELNS1_3repE0EEENS1_52radix_sort_onesweep_histogram_config_static_selectorELNS0_4arch9wavefront6targetE0EEEvSD_
; %bb.0:
	.section	.rodata,"a",@progbits
	.p2align	6, 0x0
	.amdhsa_kernel _ZN7rocprim17ROCPRIM_400000_NS6detail17trampoline_kernelINS0_14default_configENS1_35radix_sort_onesweep_config_selectorIbNS0_10empty_typeEEEZNS1_34radix_sort_onesweep_global_offsetsIS3_Lb1EPKbPS5_mNS0_19identity_decomposerEEE10hipError_tT1_T2_PT3_SF_jT4_jjP12ihipStream_tbEUlT_E_NS1_11comp_targetILNS1_3genE10ELNS1_11target_archE1201ELNS1_3gpuE5ELNS1_3repE0EEENS1_52radix_sort_onesweep_histogram_config_static_selectorELNS0_4arch9wavefront6targetE0EEEvSD_
		.amdhsa_group_segment_fixed_size 0
		.amdhsa_private_segment_fixed_size 0
		.amdhsa_kernarg_size 48
		.amdhsa_user_sgpr_count 2
		.amdhsa_user_sgpr_dispatch_ptr 0
		.amdhsa_user_sgpr_queue_ptr 0
		.amdhsa_user_sgpr_kernarg_segment_ptr 1
		.amdhsa_user_sgpr_dispatch_id 0
		.amdhsa_user_sgpr_kernarg_preload_length 0
		.amdhsa_user_sgpr_kernarg_preload_offset 0
		.amdhsa_user_sgpr_private_segment_size 0
		.amdhsa_wavefront_size32 1
		.amdhsa_uses_dynamic_stack 0
		.amdhsa_enable_private_segment 0
		.amdhsa_system_sgpr_workgroup_id_x 1
		.amdhsa_system_sgpr_workgroup_id_y 0
		.amdhsa_system_sgpr_workgroup_id_z 0
		.amdhsa_system_sgpr_workgroup_info 0
		.amdhsa_system_vgpr_workitem_id 0
		.amdhsa_next_free_vgpr 1
		.amdhsa_next_free_sgpr 1
		.amdhsa_named_barrier_count 0
		.amdhsa_reserve_vcc 0
		.amdhsa_float_round_mode_32 0
		.amdhsa_float_round_mode_16_64 0
		.amdhsa_float_denorm_mode_32 3
		.amdhsa_float_denorm_mode_16_64 3
		.amdhsa_fp16_overflow 0
		.amdhsa_memory_ordered 1
		.amdhsa_forward_progress 1
		.amdhsa_inst_pref_size 0
		.amdhsa_round_robin_scheduling 0
		.amdhsa_exception_fp_ieee_invalid_op 0
		.amdhsa_exception_fp_denorm_src 0
		.amdhsa_exception_fp_ieee_div_zero 0
		.amdhsa_exception_fp_ieee_overflow 0
		.amdhsa_exception_fp_ieee_underflow 0
		.amdhsa_exception_fp_ieee_inexact 0
		.amdhsa_exception_int_div_zero 0
	.end_amdhsa_kernel
	.section	.text._ZN7rocprim17ROCPRIM_400000_NS6detail17trampoline_kernelINS0_14default_configENS1_35radix_sort_onesweep_config_selectorIbNS0_10empty_typeEEEZNS1_34radix_sort_onesweep_global_offsetsIS3_Lb1EPKbPS5_mNS0_19identity_decomposerEEE10hipError_tT1_T2_PT3_SF_jT4_jjP12ihipStream_tbEUlT_E_NS1_11comp_targetILNS1_3genE10ELNS1_11target_archE1201ELNS1_3gpuE5ELNS1_3repE0EEENS1_52radix_sort_onesweep_histogram_config_static_selectorELNS0_4arch9wavefront6targetE0EEEvSD_,"axG",@progbits,_ZN7rocprim17ROCPRIM_400000_NS6detail17trampoline_kernelINS0_14default_configENS1_35radix_sort_onesweep_config_selectorIbNS0_10empty_typeEEEZNS1_34radix_sort_onesweep_global_offsetsIS3_Lb1EPKbPS5_mNS0_19identity_decomposerEEE10hipError_tT1_T2_PT3_SF_jT4_jjP12ihipStream_tbEUlT_E_NS1_11comp_targetILNS1_3genE10ELNS1_11target_archE1201ELNS1_3gpuE5ELNS1_3repE0EEENS1_52radix_sort_onesweep_histogram_config_static_selectorELNS0_4arch9wavefront6targetE0EEEvSD_,comdat
.Lfunc_end1721:
	.size	_ZN7rocprim17ROCPRIM_400000_NS6detail17trampoline_kernelINS0_14default_configENS1_35radix_sort_onesweep_config_selectorIbNS0_10empty_typeEEEZNS1_34radix_sort_onesweep_global_offsetsIS3_Lb1EPKbPS5_mNS0_19identity_decomposerEEE10hipError_tT1_T2_PT3_SF_jT4_jjP12ihipStream_tbEUlT_E_NS1_11comp_targetILNS1_3genE10ELNS1_11target_archE1201ELNS1_3gpuE5ELNS1_3repE0EEENS1_52radix_sort_onesweep_histogram_config_static_selectorELNS0_4arch9wavefront6targetE0EEEvSD_, .Lfunc_end1721-_ZN7rocprim17ROCPRIM_400000_NS6detail17trampoline_kernelINS0_14default_configENS1_35radix_sort_onesweep_config_selectorIbNS0_10empty_typeEEEZNS1_34radix_sort_onesweep_global_offsetsIS3_Lb1EPKbPS5_mNS0_19identity_decomposerEEE10hipError_tT1_T2_PT3_SF_jT4_jjP12ihipStream_tbEUlT_E_NS1_11comp_targetILNS1_3genE10ELNS1_11target_archE1201ELNS1_3gpuE5ELNS1_3repE0EEENS1_52radix_sort_onesweep_histogram_config_static_selectorELNS0_4arch9wavefront6targetE0EEEvSD_
                                        ; -- End function
	.set _ZN7rocprim17ROCPRIM_400000_NS6detail17trampoline_kernelINS0_14default_configENS1_35radix_sort_onesweep_config_selectorIbNS0_10empty_typeEEEZNS1_34radix_sort_onesweep_global_offsetsIS3_Lb1EPKbPS5_mNS0_19identity_decomposerEEE10hipError_tT1_T2_PT3_SF_jT4_jjP12ihipStream_tbEUlT_E_NS1_11comp_targetILNS1_3genE10ELNS1_11target_archE1201ELNS1_3gpuE5ELNS1_3repE0EEENS1_52radix_sort_onesweep_histogram_config_static_selectorELNS0_4arch9wavefront6targetE0EEEvSD_.num_vgpr, 0
	.set _ZN7rocprim17ROCPRIM_400000_NS6detail17trampoline_kernelINS0_14default_configENS1_35radix_sort_onesweep_config_selectorIbNS0_10empty_typeEEEZNS1_34radix_sort_onesweep_global_offsetsIS3_Lb1EPKbPS5_mNS0_19identity_decomposerEEE10hipError_tT1_T2_PT3_SF_jT4_jjP12ihipStream_tbEUlT_E_NS1_11comp_targetILNS1_3genE10ELNS1_11target_archE1201ELNS1_3gpuE5ELNS1_3repE0EEENS1_52radix_sort_onesweep_histogram_config_static_selectorELNS0_4arch9wavefront6targetE0EEEvSD_.num_agpr, 0
	.set _ZN7rocprim17ROCPRIM_400000_NS6detail17trampoline_kernelINS0_14default_configENS1_35radix_sort_onesweep_config_selectorIbNS0_10empty_typeEEEZNS1_34radix_sort_onesweep_global_offsetsIS3_Lb1EPKbPS5_mNS0_19identity_decomposerEEE10hipError_tT1_T2_PT3_SF_jT4_jjP12ihipStream_tbEUlT_E_NS1_11comp_targetILNS1_3genE10ELNS1_11target_archE1201ELNS1_3gpuE5ELNS1_3repE0EEENS1_52radix_sort_onesweep_histogram_config_static_selectorELNS0_4arch9wavefront6targetE0EEEvSD_.numbered_sgpr, 0
	.set _ZN7rocprim17ROCPRIM_400000_NS6detail17trampoline_kernelINS0_14default_configENS1_35radix_sort_onesweep_config_selectorIbNS0_10empty_typeEEEZNS1_34radix_sort_onesweep_global_offsetsIS3_Lb1EPKbPS5_mNS0_19identity_decomposerEEE10hipError_tT1_T2_PT3_SF_jT4_jjP12ihipStream_tbEUlT_E_NS1_11comp_targetILNS1_3genE10ELNS1_11target_archE1201ELNS1_3gpuE5ELNS1_3repE0EEENS1_52radix_sort_onesweep_histogram_config_static_selectorELNS0_4arch9wavefront6targetE0EEEvSD_.num_named_barrier, 0
	.set _ZN7rocprim17ROCPRIM_400000_NS6detail17trampoline_kernelINS0_14default_configENS1_35radix_sort_onesweep_config_selectorIbNS0_10empty_typeEEEZNS1_34radix_sort_onesweep_global_offsetsIS3_Lb1EPKbPS5_mNS0_19identity_decomposerEEE10hipError_tT1_T2_PT3_SF_jT4_jjP12ihipStream_tbEUlT_E_NS1_11comp_targetILNS1_3genE10ELNS1_11target_archE1201ELNS1_3gpuE5ELNS1_3repE0EEENS1_52radix_sort_onesweep_histogram_config_static_selectorELNS0_4arch9wavefront6targetE0EEEvSD_.private_seg_size, 0
	.set _ZN7rocprim17ROCPRIM_400000_NS6detail17trampoline_kernelINS0_14default_configENS1_35radix_sort_onesweep_config_selectorIbNS0_10empty_typeEEEZNS1_34radix_sort_onesweep_global_offsetsIS3_Lb1EPKbPS5_mNS0_19identity_decomposerEEE10hipError_tT1_T2_PT3_SF_jT4_jjP12ihipStream_tbEUlT_E_NS1_11comp_targetILNS1_3genE10ELNS1_11target_archE1201ELNS1_3gpuE5ELNS1_3repE0EEENS1_52radix_sort_onesweep_histogram_config_static_selectorELNS0_4arch9wavefront6targetE0EEEvSD_.uses_vcc, 0
	.set _ZN7rocprim17ROCPRIM_400000_NS6detail17trampoline_kernelINS0_14default_configENS1_35radix_sort_onesweep_config_selectorIbNS0_10empty_typeEEEZNS1_34radix_sort_onesweep_global_offsetsIS3_Lb1EPKbPS5_mNS0_19identity_decomposerEEE10hipError_tT1_T2_PT3_SF_jT4_jjP12ihipStream_tbEUlT_E_NS1_11comp_targetILNS1_3genE10ELNS1_11target_archE1201ELNS1_3gpuE5ELNS1_3repE0EEENS1_52radix_sort_onesweep_histogram_config_static_selectorELNS0_4arch9wavefront6targetE0EEEvSD_.uses_flat_scratch, 0
	.set _ZN7rocprim17ROCPRIM_400000_NS6detail17trampoline_kernelINS0_14default_configENS1_35radix_sort_onesweep_config_selectorIbNS0_10empty_typeEEEZNS1_34radix_sort_onesweep_global_offsetsIS3_Lb1EPKbPS5_mNS0_19identity_decomposerEEE10hipError_tT1_T2_PT3_SF_jT4_jjP12ihipStream_tbEUlT_E_NS1_11comp_targetILNS1_3genE10ELNS1_11target_archE1201ELNS1_3gpuE5ELNS1_3repE0EEENS1_52radix_sort_onesweep_histogram_config_static_selectorELNS0_4arch9wavefront6targetE0EEEvSD_.has_dyn_sized_stack, 0
	.set _ZN7rocprim17ROCPRIM_400000_NS6detail17trampoline_kernelINS0_14default_configENS1_35radix_sort_onesweep_config_selectorIbNS0_10empty_typeEEEZNS1_34radix_sort_onesweep_global_offsetsIS3_Lb1EPKbPS5_mNS0_19identity_decomposerEEE10hipError_tT1_T2_PT3_SF_jT4_jjP12ihipStream_tbEUlT_E_NS1_11comp_targetILNS1_3genE10ELNS1_11target_archE1201ELNS1_3gpuE5ELNS1_3repE0EEENS1_52radix_sort_onesweep_histogram_config_static_selectorELNS0_4arch9wavefront6targetE0EEEvSD_.has_recursion, 0
	.set _ZN7rocprim17ROCPRIM_400000_NS6detail17trampoline_kernelINS0_14default_configENS1_35radix_sort_onesweep_config_selectorIbNS0_10empty_typeEEEZNS1_34radix_sort_onesweep_global_offsetsIS3_Lb1EPKbPS5_mNS0_19identity_decomposerEEE10hipError_tT1_T2_PT3_SF_jT4_jjP12ihipStream_tbEUlT_E_NS1_11comp_targetILNS1_3genE10ELNS1_11target_archE1201ELNS1_3gpuE5ELNS1_3repE0EEENS1_52radix_sort_onesweep_histogram_config_static_selectorELNS0_4arch9wavefront6targetE0EEEvSD_.has_indirect_call, 0
	.section	.AMDGPU.csdata,"",@progbits
; Kernel info:
; codeLenInByte = 0
; TotalNumSgprs: 0
; NumVgprs: 0
; ScratchSize: 0
; MemoryBound: 0
; FloatMode: 240
; IeeeMode: 1
; LDSByteSize: 0 bytes/workgroup (compile time only)
; SGPRBlocks: 0
; VGPRBlocks: 0
; NumSGPRsForWavesPerEU: 1
; NumVGPRsForWavesPerEU: 1
; NamedBarCnt: 0
; Occupancy: 16
; WaveLimiterHint : 0
; COMPUTE_PGM_RSRC2:SCRATCH_EN: 0
; COMPUTE_PGM_RSRC2:USER_SGPR: 2
; COMPUTE_PGM_RSRC2:TRAP_HANDLER: 0
; COMPUTE_PGM_RSRC2:TGID_X_EN: 1
; COMPUTE_PGM_RSRC2:TGID_Y_EN: 0
; COMPUTE_PGM_RSRC2:TGID_Z_EN: 0
; COMPUTE_PGM_RSRC2:TIDIG_COMP_CNT: 0
	.section	.text._ZN7rocprim17ROCPRIM_400000_NS6detail17trampoline_kernelINS0_14default_configENS1_35radix_sort_onesweep_config_selectorIbNS0_10empty_typeEEEZNS1_34radix_sort_onesweep_global_offsetsIS3_Lb1EPKbPS5_mNS0_19identity_decomposerEEE10hipError_tT1_T2_PT3_SF_jT4_jjP12ihipStream_tbEUlT_E_NS1_11comp_targetILNS1_3genE9ELNS1_11target_archE1100ELNS1_3gpuE3ELNS1_3repE0EEENS1_52radix_sort_onesweep_histogram_config_static_selectorELNS0_4arch9wavefront6targetE0EEEvSD_,"axG",@progbits,_ZN7rocprim17ROCPRIM_400000_NS6detail17trampoline_kernelINS0_14default_configENS1_35radix_sort_onesweep_config_selectorIbNS0_10empty_typeEEEZNS1_34radix_sort_onesweep_global_offsetsIS3_Lb1EPKbPS5_mNS0_19identity_decomposerEEE10hipError_tT1_T2_PT3_SF_jT4_jjP12ihipStream_tbEUlT_E_NS1_11comp_targetILNS1_3genE9ELNS1_11target_archE1100ELNS1_3gpuE3ELNS1_3repE0EEENS1_52radix_sort_onesweep_histogram_config_static_selectorELNS0_4arch9wavefront6targetE0EEEvSD_,comdat
	.protected	_ZN7rocprim17ROCPRIM_400000_NS6detail17trampoline_kernelINS0_14default_configENS1_35radix_sort_onesweep_config_selectorIbNS0_10empty_typeEEEZNS1_34radix_sort_onesweep_global_offsetsIS3_Lb1EPKbPS5_mNS0_19identity_decomposerEEE10hipError_tT1_T2_PT3_SF_jT4_jjP12ihipStream_tbEUlT_E_NS1_11comp_targetILNS1_3genE9ELNS1_11target_archE1100ELNS1_3gpuE3ELNS1_3repE0EEENS1_52radix_sort_onesweep_histogram_config_static_selectorELNS0_4arch9wavefront6targetE0EEEvSD_ ; -- Begin function _ZN7rocprim17ROCPRIM_400000_NS6detail17trampoline_kernelINS0_14default_configENS1_35radix_sort_onesweep_config_selectorIbNS0_10empty_typeEEEZNS1_34radix_sort_onesweep_global_offsetsIS3_Lb1EPKbPS5_mNS0_19identity_decomposerEEE10hipError_tT1_T2_PT3_SF_jT4_jjP12ihipStream_tbEUlT_E_NS1_11comp_targetILNS1_3genE9ELNS1_11target_archE1100ELNS1_3gpuE3ELNS1_3repE0EEENS1_52radix_sort_onesweep_histogram_config_static_selectorELNS0_4arch9wavefront6targetE0EEEvSD_
	.globl	_ZN7rocprim17ROCPRIM_400000_NS6detail17trampoline_kernelINS0_14default_configENS1_35radix_sort_onesweep_config_selectorIbNS0_10empty_typeEEEZNS1_34radix_sort_onesweep_global_offsetsIS3_Lb1EPKbPS5_mNS0_19identity_decomposerEEE10hipError_tT1_T2_PT3_SF_jT4_jjP12ihipStream_tbEUlT_E_NS1_11comp_targetILNS1_3genE9ELNS1_11target_archE1100ELNS1_3gpuE3ELNS1_3repE0EEENS1_52radix_sort_onesweep_histogram_config_static_selectorELNS0_4arch9wavefront6targetE0EEEvSD_
	.p2align	8
	.type	_ZN7rocprim17ROCPRIM_400000_NS6detail17trampoline_kernelINS0_14default_configENS1_35radix_sort_onesweep_config_selectorIbNS0_10empty_typeEEEZNS1_34radix_sort_onesweep_global_offsetsIS3_Lb1EPKbPS5_mNS0_19identity_decomposerEEE10hipError_tT1_T2_PT3_SF_jT4_jjP12ihipStream_tbEUlT_E_NS1_11comp_targetILNS1_3genE9ELNS1_11target_archE1100ELNS1_3gpuE3ELNS1_3repE0EEENS1_52radix_sort_onesweep_histogram_config_static_selectorELNS0_4arch9wavefront6targetE0EEEvSD_,@function
_ZN7rocprim17ROCPRIM_400000_NS6detail17trampoline_kernelINS0_14default_configENS1_35radix_sort_onesweep_config_selectorIbNS0_10empty_typeEEEZNS1_34radix_sort_onesweep_global_offsetsIS3_Lb1EPKbPS5_mNS0_19identity_decomposerEEE10hipError_tT1_T2_PT3_SF_jT4_jjP12ihipStream_tbEUlT_E_NS1_11comp_targetILNS1_3genE9ELNS1_11target_archE1100ELNS1_3gpuE3ELNS1_3repE0EEENS1_52radix_sort_onesweep_histogram_config_static_selectorELNS0_4arch9wavefront6targetE0EEEvSD_: ; @_ZN7rocprim17ROCPRIM_400000_NS6detail17trampoline_kernelINS0_14default_configENS1_35radix_sort_onesweep_config_selectorIbNS0_10empty_typeEEEZNS1_34radix_sort_onesweep_global_offsetsIS3_Lb1EPKbPS5_mNS0_19identity_decomposerEEE10hipError_tT1_T2_PT3_SF_jT4_jjP12ihipStream_tbEUlT_E_NS1_11comp_targetILNS1_3genE9ELNS1_11target_archE1100ELNS1_3gpuE3ELNS1_3repE0EEENS1_52radix_sort_onesweep_histogram_config_static_selectorELNS0_4arch9wavefront6targetE0EEEvSD_
; %bb.0:
	.section	.rodata,"a",@progbits
	.p2align	6, 0x0
	.amdhsa_kernel _ZN7rocprim17ROCPRIM_400000_NS6detail17trampoline_kernelINS0_14default_configENS1_35radix_sort_onesweep_config_selectorIbNS0_10empty_typeEEEZNS1_34radix_sort_onesweep_global_offsetsIS3_Lb1EPKbPS5_mNS0_19identity_decomposerEEE10hipError_tT1_T2_PT3_SF_jT4_jjP12ihipStream_tbEUlT_E_NS1_11comp_targetILNS1_3genE9ELNS1_11target_archE1100ELNS1_3gpuE3ELNS1_3repE0EEENS1_52radix_sort_onesweep_histogram_config_static_selectorELNS0_4arch9wavefront6targetE0EEEvSD_
		.amdhsa_group_segment_fixed_size 0
		.amdhsa_private_segment_fixed_size 0
		.amdhsa_kernarg_size 48
		.amdhsa_user_sgpr_count 2
		.amdhsa_user_sgpr_dispatch_ptr 0
		.amdhsa_user_sgpr_queue_ptr 0
		.amdhsa_user_sgpr_kernarg_segment_ptr 1
		.amdhsa_user_sgpr_dispatch_id 0
		.amdhsa_user_sgpr_kernarg_preload_length 0
		.amdhsa_user_sgpr_kernarg_preload_offset 0
		.amdhsa_user_sgpr_private_segment_size 0
		.amdhsa_wavefront_size32 1
		.amdhsa_uses_dynamic_stack 0
		.amdhsa_enable_private_segment 0
		.amdhsa_system_sgpr_workgroup_id_x 1
		.amdhsa_system_sgpr_workgroup_id_y 0
		.amdhsa_system_sgpr_workgroup_id_z 0
		.amdhsa_system_sgpr_workgroup_info 0
		.amdhsa_system_vgpr_workitem_id 0
		.amdhsa_next_free_vgpr 1
		.amdhsa_next_free_sgpr 1
		.amdhsa_named_barrier_count 0
		.amdhsa_reserve_vcc 0
		.amdhsa_float_round_mode_32 0
		.amdhsa_float_round_mode_16_64 0
		.amdhsa_float_denorm_mode_32 3
		.amdhsa_float_denorm_mode_16_64 3
		.amdhsa_fp16_overflow 0
		.amdhsa_memory_ordered 1
		.amdhsa_forward_progress 1
		.amdhsa_inst_pref_size 0
		.amdhsa_round_robin_scheduling 0
		.amdhsa_exception_fp_ieee_invalid_op 0
		.amdhsa_exception_fp_denorm_src 0
		.amdhsa_exception_fp_ieee_div_zero 0
		.amdhsa_exception_fp_ieee_overflow 0
		.amdhsa_exception_fp_ieee_underflow 0
		.amdhsa_exception_fp_ieee_inexact 0
		.amdhsa_exception_int_div_zero 0
	.end_amdhsa_kernel
	.section	.text._ZN7rocprim17ROCPRIM_400000_NS6detail17trampoline_kernelINS0_14default_configENS1_35radix_sort_onesweep_config_selectorIbNS0_10empty_typeEEEZNS1_34radix_sort_onesweep_global_offsetsIS3_Lb1EPKbPS5_mNS0_19identity_decomposerEEE10hipError_tT1_T2_PT3_SF_jT4_jjP12ihipStream_tbEUlT_E_NS1_11comp_targetILNS1_3genE9ELNS1_11target_archE1100ELNS1_3gpuE3ELNS1_3repE0EEENS1_52radix_sort_onesweep_histogram_config_static_selectorELNS0_4arch9wavefront6targetE0EEEvSD_,"axG",@progbits,_ZN7rocprim17ROCPRIM_400000_NS6detail17trampoline_kernelINS0_14default_configENS1_35radix_sort_onesweep_config_selectorIbNS0_10empty_typeEEEZNS1_34radix_sort_onesweep_global_offsetsIS3_Lb1EPKbPS5_mNS0_19identity_decomposerEEE10hipError_tT1_T2_PT3_SF_jT4_jjP12ihipStream_tbEUlT_E_NS1_11comp_targetILNS1_3genE9ELNS1_11target_archE1100ELNS1_3gpuE3ELNS1_3repE0EEENS1_52radix_sort_onesweep_histogram_config_static_selectorELNS0_4arch9wavefront6targetE0EEEvSD_,comdat
.Lfunc_end1722:
	.size	_ZN7rocprim17ROCPRIM_400000_NS6detail17trampoline_kernelINS0_14default_configENS1_35radix_sort_onesweep_config_selectorIbNS0_10empty_typeEEEZNS1_34radix_sort_onesweep_global_offsetsIS3_Lb1EPKbPS5_mNS0_19identity_decomposerEEE10hipError_tT1_T2_PT3_SF_jT4_jjP12ihipStream_tbEUlT_E_NS1_11comp_targetILNS1_3genE9ELNS1_11target_archE1100ELNS1_3gpuE3ELNS1_3repE0EEENS1_52radix_sort_onesweep_histogram_config_static_selectorELNS0_4arch9wavefront6targetE0EEEvSD_, .Lfunc_end1722-_ZN7rocprim17ROCPRIM_400000_NS6detail17trampoline_kernelINS0_14default_configENS1_35radix_sort_onesweep_config_selectorIbNS0_10empty_typeEEEZNS1_34radix_sort_onesweep_global_offsetsIS3_Lb1EPKbPS5_mNS0_19identity_decomposerEEE10hipError_tT1_T2_PT3_SF_jT4_jjP12ihipStream_tbEUlT_E_NS1_11comp_targetILNS1_3genE9ELNS1_11target_archE1100ELNS1_3gpuE3ELNS1_3repE0EEENS1_52radix_sort_onesweep_histogram_config_static_selectorELNS0_4arch9wavefront6targetE0EEEvSD_
                                        ; -- End function
	.set _ZN7rocprim17ROCPRIM_400000_NS6detail17trampoline_kernelINS0_14default_configENS1_35radix_sort_onesweep_config_selectorIbNS0_10empty_typeEEEZNS1_34radix_sort_onesweep_global_offsetsIS3_Lb1EPKbPS5_mNS0_19identity_decomposerEEE10hipError_tT1_T2_PT3_SF_jT4_jjP12ihipStream_tbEUlT_E_NS1_11comp_targetILNS1_3genE9ELNS1_11target_archE1100ELNS1_3gpuE3ELNS1_3repE0EEENS1_52radix_sort_onesweep_histogram_config_static_selectorELNS0_4arch9wavefront6targetE0EEEvSD_.num_vgpr, 0
	.set _ZN7rocprim17ROCPRIM_400000_NS6detail17trampoline_kernelINS0_14default_configENS1_35radix_sort_onesweep_config_selectorIbNS0_10empty_typeEEEZNS1_34radix_sort_onesweep_global_offsetsIS3_Lb1EPKbPS5_mNS0_19identity_decomposerEEE10hipError_tT1_T2_PT3_SF_jT4_jjP12ihipStream_tbEUlT_E_NS1_11comp_targetILNS1_3genE9ELNS1_11target_archE1100ELNS1_3gpuE3ELNS1_3repE0EEENS1_52radix_sort_onesweep_histogram_config_static_selectorELNS0_4arch9wavefront6targetE0EEEvSD_.num_agpr, 0
	.set _ZN7rocprim17ROCPRIM_400000_NS6detail17trampoline_kernelINS0_14default_configENS1_35radix_sort_onesweep_config_selectorIbNS0_10empty_typeEEEZNS1_34radix_sort_onesweep_global_offsetsIS3_Lb1EPKbPS5_mNS0_19identity_decomposerEEE10hipError_tT1_T2_PT3_SF_jT4_jjP12ihipStream_tbEUlT_E_NS1_11comp_targetILNS1_3genE9ELNS1_11target_archE1100ELNS1_3gpuE3ELNS1_3repE0EEENS1_52radix_sort_onesweep_histogram_config_static_selectorELNS0_4arch9wavefront6targetE0EEEvSD_.numbered_sgpr, 0
	.set _ZN7rocprim17ROCPRIM_400000_NS6detail17trampoline_kernelINS0_14default_configENS1_35radix_sort_onesweep_config_selectorIbNS0_10empty_typeEEEZNS1_34radix_sort_onesweep_global_offsetsIS3_Lb1EPKbPS5_mNS0_19identity_decomposerEEE10hipError_tT1_T2_PT3_SF_jT4_jjP12ihipStream_tbEUlT_E_NS1_11comp_targetILNS1_3genE9ELNS1_11target_archE1100ELNS1_3gpuE3ELNS1_3repE0EEENS1_52radix_sort_onesweep_histogram_config_static_selectorELNS0_4arch9wavefront6targetE0EEEvSD_.num_named_barrier, 0
	.set _ZN7rocprim17ROCPRIM_400000_NS6detail17trampoline_kernelINS0_14default_configENS1_35radix_sort_onesweep_config_selectorIbNS0_10empty_typeEEEZNS1_34radix_sort_onesweep_global_offsetsIS3_Lb1EPKbPS5_mNS0_19identity_decomposerEEE10hipError_tT1_T2_PT3_SF_jT4_jjP12ihipStream_tbEUlT_E_NS1_11comp_targetILNS1_3genE9ELNS1_11target_archE1100ELNS1_3gpuE3ELNS1_3repE0EEENS1_52radix_sort_onesweep_histogram_config_static_selectorELNS0_4arch9wavefront6targetE0EEEvSD_.private_seg_size, 0
	.set _ZN7rocprim17ROCPRIM_400000_NS6detail17trampoline_kernelINS0_14default_configENS1_35radix_sort_onesweep_config_selectorIbNS0_10empty_typeEEEZNS1_34radix_sort_onesweep_global_offsetsIS3_Lb1EPKbPS5_mNS0_19identity_decomposerEEE10hipError_tT1_T2_PT3_SF_jT4_jjP12ihipStream_tbEUlT_E_NS1_11comp_targetILNS1_3genE9ELNS1_11target_archE1100ELNS1_3gpuE3ELNS1_3repE0EEENS1_52radix_sort_onesweep_histogram_config_static_selectorELNS0_4arch9wavefront6targetE0EEEvSD_.uses_vcc, 0
	.set _ZN7rocprim17ROCPRIM_400000_NS6detail17trampoline_kernelINS0_14default_configENS1_35radix_sort_onesweep_config_selectorIbNS0_10empty_typeEEEZNS1_34radix_sort_onesweep_global_offsetsIS3_Lb1EPKbPS5_mNS0_19identity_decomposerEEE10hipError_tT1_T2_PT3_SF_jT4_jjP12ihipStream_tbEUlT_E_NS1_11comp_targetILNS1_3genE9ELNS1_11target_archE1100ELNS1_3gpuE3ELNS1_3repE0EEENS1_52radix_sort_onesweep_histogram_config_static_selectorELNS0_4arch9wavefront6targetE0EEEvSD_.uses_flat_scratch, 0
	.set _ZN7rocprim17ROCPRIM_400000_NS6detail17trampoline_kernelINS0_14default_configENS1_35radix_sort_onesweep_config_selectorIbNS0_10empty_typeEEEZNS1_34radix_sort_onesweep_global_offsetsIS3_Lb1EPKbPS5_mNS0_19identity_decomposerEEE10hipError_tT1_T2_PT3_SF_jT4_jjP12ihipStream_tbEUlT_E_NS1_11comp_targetILNS1_3genE9ELNS1_11target_archE1100ELNS1_3gpuE3ELNS1_3repE0EEENS1_52radix_sort_onesweep_histogram_config_static_selectorELNS0_4arch9wavefront6targetE0EEEvSD_.has_dyn_sized_stack, 0
	.set _ZN7rocprim17ROCPRIM_400000_NS6detail17trampoline_kernelINS0_14default_configENS1_35radix_sort_onesweep_config_selectorIbNS0_10empty_typeEEEZNS1_34radix_sort_onesweep_global_offsetsIS3_Lb1EPKbPS5_mNS0_19identity_decomposerEEE10hipError_tT1_T2_PT3_SF_jT4_jjP12ihipStream_tbEUlT_E_NS1_11comp_targetILNS1_3genE9ELNS1_11target_archE1100ELNS1_3gpuE3ELNS1_3repE0EEENS1_52radix_sort_onesweep_histogram_config_static_selectorELNS0_4arch9wavefront6targetE0EEEvSD_.has_recursion, 0
	.set _ZN7rocprim17ROCPRIM_400000_NS6detail17trampoline_kernelINS0_14default_configENS1_35radix_sort_onesweep_config_selectorIbNS0_10empty_typeEEEZNS1_34radix_sort_onesweep_global_offsetsIS3_Lb1EPKbPS5_mNS0_19identity_decomposerEEE10hipError_tT1_T2_PT3_SF_jT4_jjP12ihipStream_tbEUlT_E_NS1_11comp_targetILNS1_3genE9ELNS1_11target_archE1100ELNS1_3gpuE3ELNS1_3repE0EEENS1_52radix_sort_onesweep_histogram_config_static_selectorELNS0_4arch9wavefront6targetE0EEEvSD_.has_indirect_call, 0
	.section	.AMDGPU.csdata,"",@progbits
; Kernel info:
; codeLenInByte = 0
; TotalNumSgprs: 0
; NumVgprs: 0
; ScratchSize: 0
; MemoryBound: 0
; FloatMode: 240
; IeeeMode: 1
; LDSByteSize: 0 bytes/workgroup (compile time only)
; SGPRBlocks: 0
; VGPRBlocks: 0
; NumSGPRsForWavesPerEU: 1
; NumVGPRsForWavesPerEU: 1
; NamedBarCnt: 0
; Occupancy: 16
; WaveLimiterHint : 0
; COMPUTE_PGM_RSRC2:SCRATCH_EN: 0
; COMPUTE_PGM_RSRC2:USER_SGPR: 2
; COMPUTE_PGM_RSRC2:TRAP_HANDLER: 0
; COMPUTE_PGM_RSRC2:TGID_X_EN: 1
; COMPUTE_PGM_RSRC2:TGID_Y_EN: 0
; COMPUTE_PGM_RSRC2:TGID_Z_EN: 0
; COMPUTE_PGM_RSRC2:TIDIG_COMP_CNT: 0
	.section	.text._ZN7rocprim17ROCPRIM_400000_NS6detail17trampoline_kernelINS0_14default_configENS1_35radix_sort_onesweep_config_selectorIbNS0_10empty_typeEEEZNS1_34radix_sort_onesweep_global_offsetsIS3_Lb1EPKbPS5_mNS0_19identity_decomposerEEE10hipError_tT1_T2_PT3_SF_jT4_jjP12ihipStream_tbEUlT_E_NS1_11comp_targetILNS1_3genE8ELNS1_11target_archE1030ELNS1_3gpuE2ELNS1_3repE0EEENS1_52radix_sort_onesweep_histogram_config_static_selectorELNS0_4arch9wavefront6targetE0EEEvSD_,"axG",@progbits,_ZN7rocprim17ROCPRIM_400000_NS6detail17trampoline_kernelINS0_14default_configENS1_35radix_sort_onesweep_config_selectorIbNS0_10empty_typeEEEZNS1_34radix_sort_onesweep_global_offsetsIS3_Lb1EPKbPS5_mNS0_19identity_decomposerEEE10hipError_tT1_T2_PT3_SF_jT4_jjP12ihipStream_tbEUlT_E_NS1_11comp_targetILNS1_3genE8ELNS1_11target_archE1030ELNS1_3gpuE2ELNS1_3repE0EEENS1_52radix_sort_onesweep_histogram_config_static_selectorELNS0_4arch9wavefront6targetE0EEEvSD_,comdat
	.protected	_ZN7rocprim17ROCPRIM_400000_NS6detail17trampoline_kernelINS0_14default_configENS1_35radix_sort_onesweep_config_selectorIbNS0_10empty_typeEEEZNS1_34radix_sort_onesweep_global_offsetsIS3_Lb1EPKbPS5_mNS0_19identity_decomposerEEE10hipError_tT1_T2_PT3_SF_jT4_jjP12ihipStream_tbEUlT_E_NS1_11comp_targetILNS1_3genE8ELNS1_11target_archE1030ELNS1_3gpuE2ELNS1_3repE0EEENS1_52radix_sort_onesweep_histogram_config_static_selectorELNS0_4arch9wavefront6targetE0EEEvSD_ ; -- Begin function _ZN7rocprim17ROCPRIM_400000_NS6detail17trampoline_kernelINS0_14default_configENS1_35radix_sort_onesweep_config_selectorIbNS0_10empty_typeEEEZNS1_34radix_sort_onesweep_global_offsetsIS3_Lb1EPKbPS5_mNS0_19identity_decomposerEEE10hipError_tT1_T2_PT3_SF_jT4_jjP12ihipStream_tbEUlT_E_NS1_11comp_targetILNS1_3genE8ELNS1_11target_archE1030ELNS1_3gpuE2ELNS1_3repE0EEENS1_52radix_sort_onesweep_histogram_config_static_selectorELNS0_4arch9wavefront6targetE0EEEvSD_
	.globl	_ZN7rocprim17ROCPRIM_400000_NS6detail17trampoline_kernelINS0_14default_configENS1_35radix_sort_onesweep_config_selectorIbNS0_10empty_typeEEEZNS1_34radix_sort_onesweep_global_offsetsIS3_Lb1EPKbPS5_mNS0_19identity_decomposerEEE10hipError_tT1_T2_PT3_SF_jT4_jjP12ihipStream_tbEUlT_E_NS1_11comp_targetILNS1_3genE8ELNS1_11target_archE1030ELNS1_3gpuE2ELNS1_3repE0EEENS1_52radix_sort_onesweep_histogram_config_static_selectorELNS0_4arch9wavefront6targetE0EEEvSD_
	.p2align	8
	.type	_ZN7rocprim17ROCPRIM_400000_NS6detail17trampoline_kernelINS0_14default_configENS1_35radix_sort_onesweep_config_selectorIbNS0_10empty_typeEEEZNS1_34radix_sort_onesweep_global_offsetsIS3_Lb1EPKbPS5_mNS0_19identity_decomposerEEE10hipError_tT1_T2_PT3_SF_jT4_jjP12ihipStream_tbEUlT_E_NS1_11comp_targetILNS1_3genE8ELNS1_11target_archE1030ELNS1_3gpuE2ELNS1_3repE0EEENS1_52radix_sort_onesweep_histogram_config_static_selectorELNS0_4arch9wavefront6targetE0EEEvSD_,@function
_ZN7rocprim17ROCPRIM_400000_NS6detail17trampoline_kernelINS0_14default_configENS1_35radix_sort_onesweep_config_selectorIbNS0_10empty_typeEEEZNS1_34radix_sort_onesweep_global_offsetsIS3_Lb1EPKbPS5_mNS0_19identity_decomposerEEE10hipError_tT1_T2_PT3_SF_jT4_jjP12ihipStream_tbEUlT_E_NS1_11comp_targetILNS1_3genE8ELNS1_11target_archE1030ELNS1_3gpuE2ELNS1_3repE0EEENS1_52radix_sort_onesweep_histogram_config_static_selectorELNS0_4arch9wavefront6targetE0EEEvSD_: ; @_ZN7rocprim17ROCPRIM_400000_NS6detail17trampoline_kernelINS0_14default_configENS1_35radix_sort_onesweep_config_selectorIbNS0_10empty_typeEEEZNS1_34radix_sort_onesweep_global_offsetsIS3_Lb1EPKbPS5_mNS0_19identity_decomposerEEE10hipError_tT1_T2_PT3_SF_jT4_jjP12ihipStream_tbEUlT_E_NS1_11comp_targetILNS1_3genE8ELNS1_11target_archE1030ELNS1_3gpuE2ELNS1_3repE0EEENS1_52radix_sort_onesweep_histogram_config_static_selectorELNS0_4arch9wavefront6targetE0EEEvSD_
; %bb.0:
	.section	.rodata,"a",@progbits
	.p2align	6, 0x0
	.amdhsa_kernel _ZN7rocprim17ROCPRIM_400000_NS6detail17trampoline_kernelINS0_14default_configENS1_35radix_sort_onesweep_config_selectorIbNS0_10empty_typeEEEZNS1_34radix_sort_onesweep_global_offsetsIS3_Lb1EPKbPS5_mNS0_19identity_decomposerEEE10hipError_tT1_T2_PT3_SF_jT4_jjP12ihipStream_tbEUlT_E_NS1_11comp_targetILNS1_3genE8ELNS1_11target_archE1030ELNS1_3gpuE2ELNS1_3repE0EEENS1_52radix_sort_onesweep_histogram_config_static_selectorELNS0_4arch9wavefront6targetE0EEEvSD_
		.amdhsa_group_segment_fixed_size 0
		.amdhsa_private_segment_fixed_size 0
		.amdhsa_kernarg_size 48
		.amdhsa_user_sgpr_count 2
		.amdhsa_user_sgpr_dispatch_ptr 0
		.amdhsa_user_sgpr_queue_ptr 0
		.amdhsa_user_sgpr_kernarg_segment_ptr 1
		.amdhsa_user_sgpr_dispatch_id 0
		.amdhsa_user_sgpr_kernarg_preload_length 0
		.amdhsa_user_sgpr_kernarg_preload_offset 0
		.amdhsa_user_sgpr_private_segment_size 0
		.amdhsa_wavefront_size32 1
		.amdhsa_uses_dynamic_stack 0
		.amdhsa_enable_private_segment 0
		.amdhsa_system_sgpr_workgroup_id_x 1
		.amdhsa_system_sgpr_workgroup_id_y 0
		.amdhsa_system_sgpr_workgroup_id_z 0
		.amdhsa_system_sgpr_workgroup_info 0
		.amdhsa_system_vgpr_workitem_id 0
		.amdhsa_next_free_vgpr 1
		.amdhsa_next_free_sgpr 1
		.amdhsa_named_barrier_count 0
		.amdhsa_reserve_vcc 0
		.amdhsa_float_round_mode_32 0
		.amdhsa_float_round_mode_16_64 0
		.amdhsa_float_denorm_mode_32 3
		.amdhsa_float_denorm_mode_16_64 3
		.amdhsa_fp16_overflow 0
		.amdhsa_memory_ordered 1
		.amdhsa_forward_progress 1
		.amdhsa_inst_pref_size 0
		.amdhsa_round_robin_scheduling 0
		.amdhsa_exception_fp_ieee_invalid_op 0
		.amdhsa_exception_fp_denorm_src 0
		.amdhsa_exception_fp_ieee_div_zero 0
		.amdhsa_exception_fp_ieee_overflow 0
		.amdhsa_exception_fp_ieee_underflow 0
		.amdhsa_exception_fp_ieee_inexact 0
		.amdhsa_exception_int_div_zero 0
	.end_amdhsa_kernel
	.section	.text._ZN7rocprim17ROCPRIM_400000_NS6detail17trampoline_kernelINS0_14default_configENS1_35radix_sort_onesweep_config_selectorIbNS0_10empty_typeEEEZNS1_34radix_sort_onesweep_global_offsetsIS3_Lb1EPKbPS5_mNS0_19identity_decomposerEEE10hipError_tT1_T2_PT3_SF_jT4_jjP12ihipStream_tbEUlT_E_NS1_11comp_targetILNS1_3genE8ELNS1_11target_archE1030ELNS1_3gpuE2ELNS1_3repE0EEENS1_52radix_sort_onesweep_histogram_config_static_selectorELNS0_4arch9wavefront6targetE0EEEvSD_,"axG",@progbits,_ZN7rocprim17ROCPRIM_400000_NS6detail17trampoline_kernelINS0_14default_configENS1_35radix_sort_onesweep_config_selectorIbNS0_10empty_typeEEEZNS1_34radix_sort_onesweep_global_offsetsIS3_Lb1EPKbPS5_mNS0_19identity_decomposerEEE10hipError_tT1_T2_PT3_SF_jT4_jjP12ihipStream_tbEUlT_E_NS1_11comp_targetILNS1_3genE8ELNS1_11target_archE1030ELNS1_3gpuE2ELNS1_3repE0EEENS1_52radix_sort_onesweep_histogram_config_static_selectorELNS0_4arch9wavefront6targetE0EEEvSD_,comdat
.Lfunc_end1723:
	.size	_ZN7rocprim17ROCPRIM_400000_NS6detail17trampoline_kernelINS0_14default_configENS1_35radix_sort_onesweep_config_selectorIbNS0_10empty_typeEEEZNS1_34radix_sort_onesweep_global_offsetsIS3_Lb1EPKbPS5_mNS0_19identity_decomposerEEE10hipError_tT1_T2_PT3_SF_jT4_jjP12ihipStream_tbEUlT_E_NS1_11comp_targetILNS1_3genE8ELNS1_11target_archE1030ELNS1_3gpuE2ELNS1_3repE0EEENS1_52radix_sort_onesweep_histogram_config_static_selectorELNS0_4arch9wavefront6targetE0EEEvSD_, .Lfunc_end1723-_ZN7rocprim17ROCPRIM_400000_NS6detail17trampoline_kernelINS0_14default_configENS1_35radix_sort_onesweep_config_selectorIbNS0_10empty_typeEEEZNS1_34radix_sort_onesweep_global_offsetsIS3_Lb1EPKbPS5_mNS0_19identity_decomposerEEE10hipError_tT1_T2_PT3_SF_jT4_jjP12ihipStream_tbEUlT_E_NS1_11comp_targetILNS1_3genE8ELNS1_11target_archE1030ELNS1_3gpuE2ELNS1_3repE0EEENS1_52radix_sort_onesweep_histogram_config_static_selectorELNS0_4arch9wavefront6targetE0EEEvSD_
                                        ; -- End function
	.set _ZN7rocprim17ROCPRIM_400000_NS6detail17trampoline_kernelINS0_14default_configENS1_35radix_sort_onesweep_config_selectorIbNS0_10empty_typeEEEZNS1_34radix_sort_onesweep_global_offsetsIS3_Lb1EPKbPS5_mNS0_19identity_decomposerEEE10hipError_tT1_T2_PT3_SF_jT4_jjP12ihipStream_tbEUlT_E_NS1_11comp_targetILNS1_3genE8ELNS1_11target_archE1030ELNS1_3gpuE2ELNS1_3repE0EEENS1_52radix_sort_onesweep_histogram_config_static_selectorELNS0_4arch9wavefront6targetE0EEEvSD_.num_vgpr, 0
	.set _ZN7rocprim17ROCPRIM_400000_NS6detail17trampoline_kernelINS0_14default_configENS1_35radix_sort_onesweep_config_selectorIbNS0_10empty_typeEEEZNS1_34radix_sort_onesweep_global_offsetsIS3_Lb1EPKbPS5_mNS0_19identity_decomposerEEE10hipError_tT1_T2_PT3_SF_jT4_jjP12ihipStream_tbEUlT_E_NS1_11comp_targetILNS1_3genE8ELNS1_11target_archE1030ELNS1_3gpuE2ELNS1_3repE0EEENS1_52radix_sort_onesweep_histogram_config_static_selectorELNS0_4arch9wavefront6targetE0EEEvSD_.num_agpr, 0
	.set _ZN7rocprim17ROCPRIM_400000_NS6detail17trampoline_kernelINS0_14default_configENS1_35radix_sort_onesweep_config_selectorIbNS0_10empty_typeEEEZNS1_34radix_sort_onesweep_global_offsetsIS3_Lb1EPKbPS5_mNS0_19identity_decomposerEEE10hipError_tT1_T2_PT3_SF_jT4_jjP12ihipStream_tbEUlT_E_NS1_11comp_targetILNS1_3genE8ELNS1_11target_archE1030ELNS1_3gpuE2ELNS1_3repE0EEENS1_52radix_sort_onesweep_histogram_config_static_selectorELNS0_4arch9wavefront6targetE0EEEvSD_.numbered_sgpr, 0
	.set _ZN7rocprim17ROCPRIM_400000_NS6detail17trampoline_kernelINS0_14default_configENS1_35radix_sort_onesweep_config_selectorIbNS0_10empty_typeEEEZNS1_34radix_sort_onesweep_global_offsetsIS3_Lb1EPKbPS5_mNS0_19identity_decomposerEEE10hipError_tT1_T2_PT3_SF_jT4_jjP12ihipStream_tbEUlT_E_NS1_11comp_targetILNS1_3genE8ELNS1_11target_archE1030ELNS1_3gpuE2ELNS1_3repE0EEENS1_52radix_sort_onesweep_histogram_config_static_selectorELNS0_4arch9wavefront6targetE0EEEvSD_.num_named_barrier, 0
	.set _ZN7rocprim17ROCPRIM_400000_NS6detail17trampoline_kernelINS0_14default_configENS1_35radix_sort_onesweep_config_selectorIbNS0_10empty_typeEEEZNS1_34radix_sort_onesweep_global_offsetsIS3_Lb1EPKbPS5_mNS0_19identity_decomposerEEE10hipError_tT1_T2_PT3_SF_jT4_jjP12ihipStream_tbEUlT_E_NS1_11comp_targetILNS1_3genE8ELNS1_11target_archE1030ELNS1_3gpuE2ELNS1_3repE0EEENS1_52radix_sort_onesweep_histogram_config_static_selectorELNS0_4arch9wavefront6targetE0EEEvSD_.private_seg_size, 0
	.set _ZN7rocprim17ROCPRIM_400000_NS6detail17trampoline_kernelINS0_14default_configENS1_35radix_sort_onesweep_config_selectorIbNS0_10empty_typeEEEZNS1_34radix_sort_onesweep_global_offsetsIS3_Lb1EPKbPS5_mNS0_19identity_decomposerEEE10hipError_tT1_T2_PT3_SF_jT4_jjP12ihipStream_tbEUlT_E_NS1_11comp_targetILNS1_3genE8ELNS1_11target_archE1030ELNS1_3gpuE2ELNS1_3repE0EEENS1_52radix_sort_onesweep_histogram_config_static_selectorELNS0_4arch9wavefront6targetE0EEEvSD_.uses_vcc, 0
	.set _ZN7rocprim17ROCPRIM_400000_NS6detail17trampoline_kernelINS0_14default_configENS1_35radix_sort_onesweep_config_selectorIbNS0_10empty_typeEEEZNS1_34radix_sort_onesweep_global_offsetsIS3_Lb1EPKbPS5_mNS0_19identity_decomposerEEE10hipError_tT1_T2_PT3_SF_jT4_jjP12ihipStream_tbEUlT_E_NS1_11comp_targetILNS1_3genE8ELNS1_11target_archE1030ELNS1_3gpuE2ELNS1_3repE0EEENS1_52radix_sort_onesweep_histogram_config_static_selectorELNS0_4arch9wavefront6targetE0EEEvSD_.uses_flat_scratch, 0
	.set _ZN7rocprim17ROCPRIM_400000_NS6detail17trampoline_kernelINS0_14default_configENS1_35radix_sort_onesweep_config_selectorIbNS0_10empty_typeEEEZNS1_34radix_sort_onesweep_global_offsetsIS3_Lb1EPKbPS5_mNS0_19identity_decomposerEEE10hipError_tT1_T2_PT3_SF_jT4_jjP12ihipStream_tbEUlT_E_NS1_11comp_targetILNS1_3genE8ELNS1_11target_archE1030ELNS1_3gpuE2ELNS1_3repE0EEENS1_52radix_sort_onesweep_histogram_config_static_selectorELNS0_4arch9wavefront6targetE0EEEvSD_.has_dyn_sized_stack, 0
	.set _ZN7rocprim17ROCPRIM_400000_NS6detail17trampoline_kernelINS0_14default_configENS1_35radix_sort_onesweep_config_selectorIbNS0_10empty_typeEEEZNS1_34radix_sort_onesweep_global_offsetsIS3_Lb1EPKbPS5_mNS0_19identity_decomposerEEE10hipError_tT1_T2_PT3_SF_jT4_jjP12ihipStream_tbEUlT_E_NS1_11comp_targetILNS1_3genE8ELNS1_11target_archE1030ELNS1_3gpuE2ELNS1_3repE0EEENS1_52radix_sort_onesweep_histogram_config_static_selectorELNS0_4arch9wavefront6targetE0EEEvSD_.has_recursion, 0
	.set _ZN7rocprim17ROCPRIM_400000_NS6detail17trampoline_kernelINS0_14default_configENS1_35radix_sort_onesweep_config_selectorIbNS0_10empty_typeEEEZNS1_34radix_sort_onesweep_global_offsetsIS3_Lb1EPKbPS5_mNS0_19identity_decomposerEEE10hipError_tT1_T2_PT3_SF_jT4_jjP12ihipStream_tbEUlT_E_NS1_11comp_targetILNS1_3genE8ELNS1_11target_archE1030ELNS1_3gpuE2ELNS1_3repE0EEENS1_52radix_sort_onesweep_histogram_config_static_selectorELNS0_4arch9wavefront6targetE0EEEvSD_.has_indirect_call, 0
	.section	.AMDGPU.csdata,"",@progbits
; Kernel info:
; codeLenInByte = 0
; TotalNumSgprs: 0
; NumVgprs: 0
; ScratchSize: 0
; MemoryBound: 0
; FloatMode: 240
; IeeeMode: 1
; LDSByteSize: 0 bytes/workgroup (compile time only)
; SGPRBlocks: 0
; VGPRBlocks: 0
; NumSGPRsForWavesPerEU: 1
; NumVGPRsForWavesPerEU: 1
; NamedBarCnt: 0
; Occupancy: 16
; WaveLimiterHint : 0
; COMPUTE_PGM_RSRC2:SCRATCH_EN: 0
; COMPUTE_PGM_RSRC2:USER_SGPR: 2
; COMPUTE_PGM_RSRC2:TRAP_HANDLER: 0
; COMPUTE_PGM_RSRC2:TGID_X_EN: 1
; COMPUTE_PGM_RSRC2:TGID_Y_EN: 0
; COMPUTE_PGM_RSRC2:TGID_Z_EN: 0
; COMPUTE_PGM_RSRC2:TIDIG_COMP_CNT: 0
	.section	.text._ZN7rocprim17ROCPRIM_400000_NS6detail17trampoline_kernelINS0_14default_configENS1_35radix_sort_onesweep_config_selectorIbNS0_10empty_typeEEEZNS1_34radix_sort_onesweep_global_offsetsIS3_Lb1EPKbPS5_mNS0_19identity_decomposerEEE10hipError_tT1_T2_PT3_SF_jT4_jjP12ihipStream_tbEUlT_E0_NS1_11comp_targetILNS1_3genE0ELNS1_11target_archE4294967295ELNS1_3gpuE0ELNS1_3repE0EEENS1_52radix_sort_onesweep_histogram_config_static_selectorELNS0_4arch9wavefront6targetE0EEEvSD_,"axG",@progbits,_ZN7rocprim17ROCPRIM_400000_NS6detail17trampoline_kernelINS0_14default_configENS1_35radix_sort_onesweep_config_selectorIbNS0_10empty_typeEEEZNS1_34radix_sort_onesweep_global_offsetsIS3_Lb1EPKbPS5_mNS0_19identity_decomposerEEE10hipError_tT1_T2_PT3_SF_jT4_jjP12ihipStream_tbEUlT_E0_NS1_11comp_targetILNS1_3genE0ELNS1_11target_archE4294967295ELNS1_3gpuE0ELNS1_3repE0EEENS1_52radix_sort_onesweep_histogram_config_static_selectorELNS0_4arch9wavefront6targetE0EEEvSD_,comdat
	.protected	_ZN7rocprim17ROCPRIM_400000_NS6detail17trampoline_kernelINS0_14default_configENS1_35radix_sort_onesweep_config_selectorIbNS0_10empty_typeEEEZNS1_34radix_sort_onesweep_global_offsetsIS3_Lb1EPKbPS5_mNS0_19identity_decomposerEEE10hipError_tT1_T2_PT3_SF_jT4_jjP12ihipStream_tbEUlT_E0_NS1_11comp_targetILNS1_3genE0ELNS1_11target_archE4294967295ELNS1_3gpuE0ELNS1_3repE0EEENS1_52radix_sort_onesweep_histogram_config_static_selectorELNS0_4arch9wavefront6targetE0EEEvSD_ ; -- Begin function _ZN7rocprim17ROCPRIM_400000_NS6detail17trampoline_kernelINS0_14default_configENS1_35radix_sort_onesweep_config_selectorIbNS0_10empty_typeEEEZNS1_34radix_sort_onesweep_global_offsetsIS3_Lb1EPKbPS5_mNS0_19identity_decomposerEEE10hipError_tT1_T2_PT3_SF_jT4_jjP12ihipStream_tbEUlT_E0_NS1_11comp_targetILNS1_3genE0ELNS1_11target_archE4294967295ELNS1_3gpuE0ELNS1_3repE0EEENS1_52radix_sort_onesweep_histogram_config_static_selectorELNS0_4arch9wavefront6targetE0EEEvSD_
	.globl	_ZN7rocprim17ROCPRIM_400000_NS6detail17trampoline_kernelINS0_14default_configENS1_35radix_sort_onesweep_config_selectorIbNS0_10empty_typeEEEZNS1_34radix_sort_onesweep_global_offsetsIS3_Lb1EPKbPS5_mNS0_19identity_decomposerEEE10hipError_tT1_T2_PT3_SF_jT4_jjP12ihipStream_tbEUlT_E0_NS1_11comp_targetILNS1_3genE0ELNS1_11target_archE4294967295ELNS1_3gpuE0ELNS1_3repE0EEENS1_52radix_sort_onesweep_histogram_config_static_selectorELNS0_4arch9wavefront6targetE0EEEvSD_
	.p2align	8
	.type	_ZN7rocprim17ROCPRIM_400000_NS6detail17trampoline_kernelINS0_14default_configENS1_35radix_sort_onesweep_config_selectorIbNS0_10empty_typeEEEZNS1_34radix_sort_onesweep_global_offsetsIS3_Lb1EPKbPS5_mNS0_19identity_decomposerEEE10hipError_tT1_T2_PT3_SF_jT4_jjP12ihipStream_tbEUlT_E0_NS1_11comp_targetILNS1_3genE0ELNS1_11target_archE4294967295ELNS1_3gpuE0ELNS1_3repE0EEENS1_52radix_sort_onesweep_histogram_config_static_selectorELNS0_4arch9wavefront6targetE0EEEvSD_,@function
_ZN7rocprim17ROCPRIM_400000_NS6detail17trampoline_kernelINS0_14default_configENS1_35radix_sort_onesweep_config_selectorIbNS0_10empty_typeEEEZNS1_34radix_sort_onesweep_global_offsetsIS3_Lb1EPKbPS5_mNS0_19identity_decomposerEEE10hipError_tT1_T2_PT3_SF_jT4_jjP12ihipStream_tbEUlT_E0_NS1_11comp_targetILNS1_3genE0ELNS1_11target_archE4294967295ELNS1_3gpuE0ELNS1_3repE0EEENS1_52radix_sort_onesweep_histogram_config_static_selectorELNS0_4arch9wavefront6targetE0EEEvSD_: ; @_ZN7rocprim17ROCPRIM_400000_NS6detail17trampoline_kernelINS0_14default_configENS1_35radix_sort_onesweep_config_selectorIbNS0_10empty_typeEEEZNS1_34radix_sort_onesweep_global_offsetsIS3_Lb1EPKbPS5_mNS0_19identity_decomposerEEE10hipError_tT1_T2_PT3_SF_jT4_jjP12ihipStream_tbEUlT_E0_NS1_11comp_targetILNS1_3genE0ELNS1_11target_archE4294967295ELNS1_3gpuE0ELNS1_3repE0EEENS1_52radix_sort_onesweep_histogram_config_static_selectorELNS0_4arch9wavefront6targetE0EEEvSD_
; %bb.0:
	s_load_b64 s[0:1], s[0:1], 0x0
	s_bfe_u32 s2, ttmp6, 0x4000c
	s_and_b32 s3, ttmp6, 15
	s_add_co_i32 s2, s2, 1
	s_getreg_b32 s4, hwreg(HW_REG_IB_STS2, 6, 4)
	s_mul_i32 s2, ttmp9, s2
	v_cmp_gt_u32_e32 vcc_lo, 16, v0
	s_add_co_i32 s3, s3, s2
	s_cmp_eq_u32 s4, 0
                                        ; implicit-def: $vgpr2_vgpr3
	s_cselect_b32 s2, ttmp9, s3
	s_mov_b32 s3, 0
	s_lshl_b32 s2, s2, 4
	s_delay_alu instid0(SALU_CYCLE_1)
	s_lshl_b64 s[2:3], s[2:3], 3
	s_wait_kmcnt 0x0
	s_add_nc_u64 s[8:9], s[0:1], s[2:3]
	s_and_saveexec_b32 s0, vcc_lo
	s_cbranch_execz .LBB1724_2
; %bb.1:
	global_load_b64 v[2:3], v0, s[8:9] scale_offset
.LBB1724_2:
	s_wait_xcnt 0x0
	s_or_b32 exec_lo, exec_lo, s0
	v_mbcnt_lo_u32_b32 v1, -1, 0
	s_wait_loadcnt 0x0
	v_mov_b32_dpp v6, v2 row_shr:1 row_mask:0xf bank_mask:0xf
	v_mov_b32_dpp v9, v3 row_shr:1 row_mask:0xf bank_mask:0xf
	s_delay_alu instid0(VALU_DEP_3) | instskip(NEXT) | instid1(VALU_DEP_1)
	v_dual_mov_b32 v4, v2 :: v_dual_bitop2_b32 v10, 15, v1 bitop3:0x40
	v_cmp_ne_u32_e64 s0, 0, v10
	s_and_saveexec_b32 s1, s0
; %bb.3:
	v_mov_b32_e32 v8, 0
	s_delay_alu instid0(VALU_DEP_1) | instskip(NEXT) | instid1(VALU_DEP_1)
	v_mov_b32_e32 v7, v8
	v_add_nc_u64_e32 v[4:5], v[2:3], v[6:7]
	s_delay_alu instid0(VALU_DEP_1)
	v_add_nc_u64_e32 v[2:3], v[8:9], v[4:5]
; %bb.4:
	s_or_b32 exec_lo, exec_lo, s1
	v_mov_b32_dpp v6, v4 row_shr:2 row_mask:0xf bank_mask:0xf
	s_delay_alu instid0(VALU_DEP_2)
	v_mov_b32_dpp v9, v3 row_shr:2 row_mask:0xf bank_mask:0xf
	v_cmp_lt_u32_e64 s1, 1, v10
	s_and_saveexec_b32 s2, s1
; %bb.5:
	v_mov_b32_e32 v8, 0
	s_delay_alu instid0(VALU_DEP_1) | instskip(NEXT) | instid1(VALU_DEP_1)
	v_mov_b32_e32 v7, v8
	v_add_nc_u64_e32 v[4:5], v[2:3], v[6:7]
	s_delay_alu instid0(VALU_DEP_1)
	v_add_nc_u64_e32 v[2:3], v[8:9], v[4:5]
; %bb.6:
	s_or_b32 exec_lo, exec_lo, s2
	v_mov_b32_dpp v6, v4 row_shr:4 row_mask:0xf bank_mask:0xf
	s_delay_alu instid0(VALU_DEP_2)
	v_mov_b32_dpp v9, v3 row_shr:4 row_mask:0xf bank_mask:0xf
	v_cmp_lt_u32_e64 s2, 3, v10
	;; [unrolled: 14-line block ×3, first 2 shown]
	s_and_saveexec_b32 s4, s3
; %bb.9:
	v_mov_b32_e32 v8, 0
	s_delay_alu instid0(VALU_DEP_1) | instskip(NEXT) | instid1(VALU_DEP_1)
	v_mov_b32_e32 v7, v8
	v_add_nc_u64_e32 v[4:5], v[2:3], v[6:7]
	s_delay_alu instid0(VALU_DEP_1)
	v_add_nc_u64_e32 v[2:3], v[8:9], v[4:5]
; %bb.10:
	s_or_b32 exec_lo, exec_lo, s4
	ds_swizzle_b32 v4, v4 offset:swizzle(BROADCAST,32,15)
	ds_swizzle_b32 v7, v3 offset:swizzle(BROADCAST,32,15)
	v_and_b32_e32 v5, 16, v1
	s_delay_alu instid0(VALU_DEP_1)
	v_cmp_ne_u32_e64 s4, 0, v5
	s_and_saveexec_b32 s5, s4
	s_cbranch_execz .LBB1724_12
; %bb.11:
	v_mov_b32_e32 v6, 0
	s_delay_alu instid0(VALU_DEP_1) | instskip(SKIP_1) | instid1(VALU_DEP_1)
	v_mov_b32_e32 v5, v6
	s_wait_dscnt 0x1
	v_add_nc_u64_e32 v[2:3], v[2:3], v[4:5]
	s_wait_dscnt 0x0
	s_delay_alu instid0(VALU_DEP_1)
	v_add_nc_u64_e32 v[2:3], v[2:3], v[6:7]
.LBB1724_12:
	s_or_b32 exec_lo, exec_lo, s5
	s_wait_dscnt 0x1
	v_dual_lshrrev_b32 v12, 5, v0 :: v_dual_bitop2_b32 v4, 31, v0 bitop3:0x40
	s_mov_b32 s6, exec_lo
	s_delay_alu instid0(VALU_DEP_1)
	v_cmpx_eq_u32_e32 31, v4
; %bb.13:
	s_delay_alu instid0(VALU_DEP_2)
	v_lshlrev_b32_e32 v4, 3, v12
	ds_store_b64 v4, v[2:3]
; %bb.14:
	s_or_b32 exec_lo, exec_lo, s6
	v_cmp_lt_u32_e64 s5, 31, v0
	s_mov_b32 s7, exec_lo
	s_wait_dscnt 0x0
	s_barrier_signal -1
	s_barrier_wait -1
	v_cmpx_gt_u32_e32 32, v0
	s_cbranch_execz .LBB1724_26
; %bb.15:
	v_lshlrev_b32_e32 v13, 3, v0
	ds_load_b64 v[4:5], v13
	s_wait_dscnt 0x0
	v_mov_b32_dpp v8, v4 row_shr:1 row_mask:0xf bank_mask:0xf
	v_mov_b32_dpp v11, v5 row_shr:1 row_mask:0xf bank_mask:0xf
	v_mov_b32_e32 v6, v4
	s_and_saveexec_b32 s6, s0
; %bb.16:
	v_mov_b32_e32 v10, 0
	s_delay_alu instid0(VALU_DEP_1) | instskip(NEXT) | instid1(VALU_DEP_1)
	v_mov_b32_e32 v9, v10
	v_add_nc_u64_e32 v[6:7], v[4:5], v[8:9]
	s_delay_alu instid0(VALU_DEP_1)
	v_add_nc_u64_e32 v[4:5], v[10:11], v[6:7]
; %bb.17:
	s_or_b32 exec_lo, exec_lo, s6
	v_mov_b32_dpp v8, v6 row_shr:2 row_mask:0xf bank_mask:0xf
	s_delay_alu instid0(VALU_DEP_2)
	v_mov_b32_dpp v11, v5 row_shr:2 row_mask:0xf bank_mask:0xf
	s_and_saveexec_b32 s0, s1
; %bb.18:
	v_mov_b32_e32 v10, 0
	s_delay_alu instid0(VALU_DEP_1) | instskip(NEXT) | instid1(VALU_DEP_1)
	v_mov_b32_e32 v9, v10
	v_add_nc_u64_e32 v[6:7], v[4:5], v[8:9]
	s_delay_alu instid0(VALU_DEP_1)
	v_add_nc_u64_e32 v[4:5], v[10:11], v[6:7]
; %bb.19:
	s_or_b32 exec_lo, exec_lo, s0
	v_mov_b32_dpp v8, v6 row_shr:4 row_mask:0xf bank_mask:0xf
	s_delay_alu instid0(VALU_DEP_2)
	v_mov_b32_dpp v11, v5 row_shr:4 row_mask:0xf bank_mask:0xf
	;; [unrolled: 13-line block ×3, first 2 shown]
	s_and_saveexec_b32 s0, s3
; %bb.22:
	v_mov_b32_e32 v10, 0
	s_delay_alu instid0(VALU_DEP_1) | instskip(NEXT) | instid1(VALU_DEP_1)
	v_mov_b32_e32 v9, v10
	v_add_nc_u64_e32 v[6:7], v[4:5], v[8:9]
	s_delay_alu instid0(VALU_DEP_1)
	v_add_nc_u64_e32 v[4:5], v[10:11], v[6:7]
; %bb.23:
	s_or_b32 exec_lo, exec_lo, s0
	ds_swizzle_b32 v6, v6 offset:swizzle(BROADCAST,32,15)
	ds_swizzle_b32 v9, v5 offset:swizzle(BROADCAST,32,15)
	s_and_saveexec_b32 s0, s4
	s_cbranch_execz .LBB1724_25
; %bb.24:
	v_mov_b32_e32 v8, 0
	s_delay_alu instid0(VALU_DEP_1) | instskip(SKIP_1) | instid1(VALU_DEP_1)
	v_mov_b32_e32 v7, v8
	s_wait_dscnt 0x1
	v_add_nc_u64_e32 v[4:5], v[4:5], v[6:7]
	s_wait_dscnt 0x0
	s_delay_alu instid0(VALU_DEP_1)
	v_add_nc_u64_e32 v[4:5], v[4:5], v[8:9]
.LBB1724_25:
	s_or_b32 exec_lo, exec_lo, s0
	ds_store_b64 v13, v[4:5]
.LBB1724_26:
	s_or_b32 exec_lo, exec_lo, s7
	v_mov_b64_e32 v[4:5], 0
	s_wait_dscnt 0x0
	s_barrier_signal -1
	s_barrier_wait -1
	s_and_saveexec_b32 s0, s5
; %bb.27:
	v_lshl_add_u32 v4, v12, 3, -8
	ds_load_b64 v[4:5], v4
; %bb.28:
	s_or_b32 exec_lo, exec_lo, s0
	v_add_nc_u32_e32 v6, -1, v1
	s_wait_dscnt 0x0
	v_add_nc_u64_e32 v[2:3], v[4:5], v[2:3]
	s_delay_alu instid0(VALU_DEP_2) | instskip(NEXT) | instid1(VALU_DEP_1)
	v_cmp_gt_i32_e64 s0, 0, v6
	v_cndmask_b32_e64 v6, v6, v1, s0
	s_delay_alu instid0(VALU_DEP_1)
	v_lshlrev_b32_e32 v6, 2, v6
	ds_bpermute_b32 v2, v6, v2
	ds_bpermute_b32 v3, v6, v3
	s_and_saveexec_b32 s0, vcc_lo
	s_cbranch_execz .LBB1724_30
; %bb.29:
	v_cmp_eq_u32_e32 vcc_lo, 0, v1
	s_wait_dscnt 0x0
	v_dual_cndmask_b32 v3, v3, v5 :: v_dual_cndmask_b32 v2, v2, v4
	global_store_b64 v0, v[2:3], s[8:9] scale_offset
.LBB1724_30:
	s_endpgm
	.section	.rodata,"a",@progbits
	.p2align	6, 0x0
	.amdhsa_kernel _ZN7rocprim17ROCPRIM_400000_NS6detail17trampoline_kernelINS0_14default_configENS1_35radix_sort_onesweep_config_selectorIbNS0_10empty_typeEEEZNS1_34radix_sort_onesweep_global_offsetsIS3_Lb1EPKbPS5_mNS0_19identity_decomposerEEE10hipError_tT1_T2_PT3_SF_jT4_jjP12ihipStream_tbEUlT_E0_NS1_11comp_targetILNS1_3genE0ELNS1_11target_archE4294967295ELNS1_3gpuE0ELNS1_3repE0EEENS1_52radix_sort_onesweep_histogram_config_static_selectorELNS0_4arch9wavefront6targetE0EEEvSD_
		.amdhsa_group_segment_fixed_size 256
		.amdhsa_private_segment_fixed_size 0
		.amdhsa_kernarg_size 8
		.amdhsa_user_sgpr_count 2
		.amdhsa_user_sgpr_dispatch_ptr 0
		.amdhsa_user_sgpr_queue_ptr 0
		.amdhsa_user_sgpr_kernarg_segment_ptr 1
		.amdhsa_user_sgpr_dispatch_id 0
		.amdhsa_user_sgpr_kernarg_preload_length 0
		.amdhsa_user_sgpr_kernarg_preload_offset 0
		.amdhsa_user_sgpr_private_segment_size 0
		.amdhsa_wavefront_size32 1
		.amdhsa_uses_dynamic_stack 0
		.amdhsa_enable_private_segment 0
		.amdhsa_system_sgpr_workgroup_id_x 1
		.amdhsa_system_sgpr_workgroup_id_y 0
		.amdhsa_system_sgpr_workgroup_id_z 0
		.amdhsa_system_sgpr_workgroup_info 0
		.amdhsa_system_vgpr_workitem_id 0
		.amdhsa_next_free_vgpr 14
		.amdhsa_next_free_sgpr 10
		.amdhsa_named_barrier_count 0
		.amdhsa_reserve_vcc 1
		.amdhsa_float_round_mode_32 0
		.amdhsa_float_round_mode_16_64 0
		.amdhsa_float_denorm_mode_32 3
		.amdhsa_float_denorm_mode_16_64 3
		.amdhsa_fp16_overflow 0
		.amdhsa_memory_ordered 1
		.amdhsa_forward_progress 1
		.amdhsa_inst_pref_size 8
		.amdhsa_round_robin_scheduling 0
		.amdhsa_exception_fp_ieee_invalid_op 0
		.amdhsa_exception_fp_denorm_src 0
		.amdhsa_exception_fp_ieee_div_zero 0
		.amdhsa_exception_fp_ieee_overflow 0
		.amdhsa_exception_fp_ieee_underflow 0
		.amdhsa_exception_fp_ieee_inexact 0
		.amdhsa_exception_int_div_zero 0
	.end_amdhsa_kernel
	.section	.text._ZN7rocprim17ROCPRIM_400000_NS6detail17trampoline_kernelINS0_14default_configENS1_35radix_sort_onesweep_config_selectorIbNS0_10empty_typeEEEZNS1_34radix_sort_onesweep_global_offsetsIS3_Lb1EPKbPS5_mNS0_19identity_decomposerEEE10hipError_tT1_T2_PT3_SF_jT4_jjP12ihipStream_tbEUlT_E0_NS1_11comp_targetILNS1_3genE0ELNS1_11target_archE4294967295ELNS1_3gpuE0ELNS1_3repE0EEENS1_52radix_sort_onesweep_histogram_config_static_selectorELNS0_4arch9wavefront6targetE0EEEvSD_,"axG",@progbits,_ZN7rocprim17ROCPRIM_400000_NS6detail17trampoline_kernelINS0_14default_configENS1_35radix_sort_onesweep_config_selectorIbNS0_10empty_typeEEEZNS1_34radix_sort_onesweep_global_offsetsIS3_Lb1EPKbPS5_mNS0_19identity_decomposerEEE10hipError_tT1_T2_PT3_SF_jT4_jjP12ihipStream_tbEUlT_E0_NS1_11comp_targetILNS1_3genE0ELNS1_11target_archE4294967295ELNS1_3gpuE0ELNS1_3repE0EEENS1_52radix_sort_onesweep_histogram_config_static_selectorELNS0_4arch9wavefront6targetE0EEEvSD_,comdat
.Lfunc_end1724:
	.size	_ZN7rocprim17ROCPRIM_400000_NS6detail17trampoline_kernelINS0_14default_configENS1_35radix_sort_onesweep_config_selectorIbNS0_10empty_typeEEEZNS1_34radix_sort_onesweep_global_offsetsIS3_Lb1EPKbPS5_mNS0_19identity_decomposerEEE10hipError_tT1_T2_PT3_SF_jT4_jjP12ihipStream_tbEUlT_E0_NS1_11comp_targetILNS1_3genE0ELNS1_11target_archE4294967295ELNS1_3gpuE0ELNS1_3repE0EEENS1_52radix_sort_onesweep_histogram_config_static_selectorELNS0_4arch9wavefront6targetE0EEEvSD_, .Lfunc_end1724-_ZN7rocprim17ROCPRIM_400000_NS6detail17trampoline_kernelINS0_14default_configENS1_35radix_sort_onesweep_config_selectorIbNS0_10empty_typeEEEZNS1_34radix_sort_onesweep_global_offsetsIS3_Lb1EPKbPS5_mNS0_19identity_decomposerEEE10hipError_tT1_T2_PT3_SF_jT4_jjP12ihipStream_tbEUlT_E0_NS1_11comp_targetILNS1_3genE0ELNS1_11target_archE4294967295ELNS1_3gpuE0ELNS1_3repE0EEENS1_52radix_sort_onesweep_histogram_config_static_selectorELNS0_4arch9wavefront6targetE0EEEvSD_
                                        ; -- End function
	.set _ZN7rocprim17ROCPRIM_400000_NS6detail17trampoline_kernelINS0_14default_configENS1_35radix_sort_onesweep_config_selectorIbNS0_10empty_typeEEEZNS1_34radix_sort_onesweep_global_offsetsIS3_Lb1EPKbPS5_mNS0_19identity_decomposerEEE10hipError_tT1_T2_PT3_SF_jT4_jjP12ihipStream_tbEUlT_E0_NS1_11comp_targetILNS1_3genE0ELNS1_11target_archE4294967295ELNS1_3gpuE0ELNS1_3repE0EEENS1_52radix_sort_onesweep_histogram_config_static_selectorELNS0_4arch9wavefront6targetE0EEEvSD_.num_vgpr, 14
	.set _ZN7rocprim17ROCPRIM_400000_NS6detail17trampoline_kernelINS0_14default_configENS1_35radix_sort_onesweep_config_selectorIbNS0_10empty_typeEEEZNS1_34radix_sort_onesweep_global_offsetsIS3_Lb1EPKbPS5_mNS0_19identity_decomposerEEE10hipError_tT1_T2_PT3_SF_jT4_jjP12ihipStream_tbEUlT_E0_NS1_11comp_targetILNS1_3genE0ELNS1_11target_archE4294967295ELNS1_3gpuE0ELNS1_3repE0EEENS1_52radix_sort_onesweep_histogram_config_static_selectorELNS0_4arch9wavefront6targetE0EEEvSD_.num_agpr, 0
	.set _ZN7rocprim17ROCPRIM_400000_NS6detail17trampoline_kernelINS0_14default_configENS1_35radix_sort_onesweep_config_selectorIbNS0_10empty_typeEEEZNS1_34radix_sort_onesweep_global_offsetsIS3_Lb1EPKbPS5_mNS0_19identity_decomposerEEE10hipError_tT1_T2_PT3_SF_jT4_jjP12ihipStream_tbEUlT_E0_NS1_11comp_targetILNS1_3genE0ELNS1_11target_archE4294967295ELNS1_3gpuE0ELNS1_3repE0EEENS1_52radix_sort_onesweep_histogram_config_static_selectorELNS0_4arch9wavefront6targetE0EEEvSD_.numbered_sgpr, 10
	.set _ZN7rocprim17ROCPRIM_400000_NS6detail17trampoline_kernelINS0_14default_configENS1_35radix_sort_onesweep_config_selectorIbNS0_10empty_typeEEEZNS1_34radix_sort_onesweep_global_offsetsIS3_Lb1EPKbPS5_mNS0_19identity_decomposerEEE10hipError_tT1_T2_PT3_SF_jT4_jjP12ihipStream_tbEUlT_E0_NS1_11comp_targetILNS1_3genE0ELNS1_11target_archE4294967295ELNS1_3gpuE0ELNS1_3repE0EEENS1_52radix_sort_onesweep_histogram_config_static_selectorELNS0_4arch9wavefront6targetE0EEEvSD_.num_named_barrier, 0
	.set _ZN7rocprim17ROCPRIM_400000_NS6detail17trampoline_kernelINS0_14default_configENS1_35radix_sort_onesweep_config_selectorIbNS0_10empty_typeEEEZNS1_34radix_sort_onesweep_global_offsetsIS3_Lb1EPKbPS5_mNS0_19identity_decomposerEEE10hipError_tT1_T2_PT3_SF_jT4_jjP12ihipStream_tbEUlT_E0_NS1_11comp_targetILNS1_3genE0ELNS1_11target_archE4294967295ELNS1_3gpuE0ELNS1_3repE0EEENS1_52radix_sort_onesweep_histogram_config_static_selectorELNS0_4arch9wavefront6targetE0EEEvSD_.private_seg_size, 0
	.set _ZN7rocprim17ROCPRIM_400000_NS6detail17trampoline_kernelINS0_14default_configENS1_35radix_sort_onesweep_config_selectorIbNS0_10empty_typeEEEZNS1_34radix_sort_onesweep_global_offsetsIS3_Lb1EPKbPS5_mNS0_19identity_decomposerEEE10hipError_tT1_T2_PT3_SF_jT4_jjP12ihipStream_tbEUlT_E0_NS1_11comp_targetILNS1_3genE0ELNS1_11target_archE4294967295ELNS1_3gpuE0ELNS1_3repE0EEENS1_52radix_sort_onesweep_histogram_config_static_selectorELNS0_4arch9wavefront6targetE0EEEvSD_.uses_vcc, 1
	.set _ZN7rocprim17ROCPRIM_400000_NS6detail17trampoline_kernelINS0_14default_configENS1_35radix_sort_onesweep_config_selectorIbNS0_10empty_typeEEEZNS1_34radix_sort_onesweep_global_offsetsIS3_Lb1EPKbPS5_mNS0_19identity_decomposerEEE10hipError_tT1_T2_PT3_SF_jT4_jjP12ihipStream_tbEUlT_E0_NS1_11comp_targetILNS1_3genE0ELNS1_11target_archE4294967295ELNS1_3gpuE0ELNS1_3repE0EEENS1_52radix_sort_onesweep_histogram_config_static_selectorELNS0_4arch9wavefront6targetE0EEEvSD_.uses_flat_scratch, 0
	.set _ZN7rocprim17ROCPRIM_400000_NS6detail17trampoline_kernelINS0_14default_configENS1_35radix_sort_onesweep_config_selectorIbNS0_10empty_typeEEEZNS1_34radix_sort_onesweep_global_offsetsIS3_Lb1EPKbPS5_mNS0_19identity_decomposerEEE10hipError_tT1_T2_PT3_SF_jT4_jjP12ihipStream_tbEUlT_E0_NS1_11comp_targetILNS1_3genE0ELNS1_11target_archE4294967295ELNS1_3gpuE0ELNS1_3repE0EEENS1_52radix_sort_onesweep_histogram_config_static_selectorELNS0_4arch9wavefront6targetE0EEEvSD_.has_dyn_sized_stack, 0
	.set _ZN7rocprim17ROCPRIM_400000_NS6detail17trampoline_kernelINS0_14default_configENS1_35radix_sort_onesweep_config_selectorIbNS0_10empty_typeEEEZNS1_34radix_sort_onesweep_global_offsetsIS3_Lb1EPKbPS5_mNS0_19identity_decomposerEEE10hipError_tT1_T2_PT3_SF_jT4_jjP12ihipStream_tbEUlT_E0_NS1_11comp_targetILNS1_3genE0ELNS1_11target_archE4294967295ELNS1_3gpuE0ELNS1_3repE0EEENS1_52radix_sort_onesweep_histogram_config_static_selectorELNS0_4arch9wavefront6targetE0EEEvSD_.has_recursion, 0
	.set _ZN7rocprim17ROCPRIM_400000_NS6detail17trampoline_kernelINS0_14default_configENS1_35radix_sort_onesweep_config_selectorIbNS0_10empty_typeEEEZNS1_34radix_sort_onesweep_global_offsetsIS3_Lb1EPKbPS5_mNS0_19identity_decomposerEEE10hipError_tT1_T2_PT3_SF_jT4_jjP12ihipStream_tbEUlT_E0_NS1_11comp_targetILNS1_3genE0ELNS1_11target_archE4294967295ELNS1_3gpuE0ELNS1_3repE0EEENS1_52radix_sort_onesweep_histogram_config_static_selectorELNS0_4arch9wavefront6targetE0EEEvSD_.has_indirect_call, 0
	.section	.AMDGPU.csdata,"",@progbits
; Kernel info:
; codeLenInByte = 952
; TotalNumSgprs: 12
; NumVgprs: 14
; ScratchSize: 0
; MemoryBound: 0
; FloatMode: 240
; IeeeMode: 1
; LDSByteSize: 256 bytes/workgroup (compile time only)
; SGPRBlocks: 0
; VGPRBlocks: 0
; NumSGPRsForWavesPerEU: 12
; NumVGPRsForWavesPerEU: 14
; NamedBarCnt: 0
; Occupancy: 16
; WaveLimiterHint : 0
; COMPUTE_PGM_RSRC2:SCRATCH_EN: 0
; COMPUTE_PGM_RSRC2:USER_SGPR: 2
; COMPUTE_PGM_RSRC2:TRAP_HANDLER: 0
; COMPUTE_PGM_RSRC2:TGID_X_EN: 1
; COMPUTE_PGM_RSRC2:TGID_Y_EN: 0
; COMPUTE_PGM_RSRC2:TGID_Z_EN: 0
; COMPUTE_PGM_RSRC2:TIDIG_COMP_CNT: 0
	.section	.text._ZN7rocprim17ROCPRIM_400000_NS6detail17trampoline_kernelINS0_14default_configENS1_35radix_sort_onesweep_config_selectorIbNS0_10empty_typeEEEZNS1_34radix_sort_onesweep_global_offsetsIS3_Lb1EPKbPS5_mNS0_19identity_decomposerEEE10hipError_tT1_T2_PT3_SF_jT4_jjP12ihipStream_tbEUlT_E0_NS1_11comp_targetILNS1_3genE6ELNS1_11target_archE950ELNS1_3gpuE13ELNS1_3repE0EEENS1_52radix_sort_onesweep_histogram_config_static_selectorELNS0_4arch9wavefront6targetE0EEEvSD_,"axG",@progbits,_ZN7rocprim17ROCPRIM_400000_NS6detail17trampoline_kernelINS0_14default_configENS1_35radix_sort_onesweep_config_selectorIbNS0_10empty_typeEEEZNS1_34radix_sort_onesweep_global_offsetsIS3_Lb1EPKbPS5_mNS0_19identity_decomposerEEE10hipError_tT1_T2_PT3_SF_jT4_jjP12ihipStream_tbEUlT_E0_NS1_11comp_targetILNS1_3genE6ELNS1_11target_archE950ELNS1_3gpuE13ELNS1_3repE0EEENS1_52radix_sort_onesweep_histogram_config_static_selectorELNS0_4arch9wavefront6targetE0EEEvSD_,comdat
	.protected	_ZN7rocprim17ROCPRIM_400000_NS6detail17trampoline_kernelINS0_14default_configENS1_35radix_sort_onesweep_config_selectorIbNS0_10empty_typeEEEZNS1_34radix_sort_onesweep_global_offsetsIS3_Lb1EPKbPS5_mNS0_19identity_decomposerEEE10hipError_tT1_T2_PT3_SF_jT4_jjP12ihipStream_tbEUlT_E0_NS1_11comp_targetILNS1_3genE6ELNS1_11target_archE950ELNS1_3gpuE13ELNS1_3repE0EEENS1_52radix_sort_onesweep_histogram_config_static_selectorELNS0_4arch9wavefront6targetE0EEEvSD_ ; -- Begin function _ZN7rocprim17ROCPRIM_400000_NS6detail17trampoline_kernelINS0_14default_configENS1_35radix_sort_onesweep_config_selectorIbNS0_10empty_typeEEEZNS1_34radix_sort_onesweep_global_offsetsIS3_Lb1EPKbPS5_mNS0_19identity_decomposerEEE10hipError_tT1_T2_PT3_SF_jT4_jjP12ihipStream_tbEUlT_E0_NS1_11comp_targetILNS1_3genE6ELNS1_11target_archE950ELNS1_3gpuE13ELNS1_3repE0EEENS1_52radix_sort_onesweep_histogram_config_static_selectorELNS0_4arch9wavefront6targetE0EEEvSD_
	.globl	_ZN7rocprim17ROCPRIM_400000_NS6detail17trampoline_kernelINS0_14default_configENS1_35radix_sort_onesweep_config_selectorIbNS0_10empty_typeEEEZNS1_34radix_sort_onesweep_global_offsetsIS3_Lb1EPKbPS5_mNS0_19identity_decomposerEEE10hipError_tT1_T2_PT3_SF_jT4_jjP12ihipStream_tbEUlT_E0_NS1_11comp_targetILNS1_3genE6ELNS1_11target_archE950ELNS1_3gpuE13ELNS1_3repE0EEENS1_52radix_sort_onesweep_histogram_config_static_selectorELNS0_4arch9wavefront6targetE0EEEvSD_
	.p2align	8
	.type	_ZN7rocprim17ROCPRIM_400000_NS6detail17trampoline_kernelINS0_14default_configENS1_35radix_sort_onesweep_config_selectorIbNS0_10empty_typeEEEZNS1_34radix_sort_onesweep_global_offsetsIS3_Lb1EPKbPS5_mNS0_19identity_decomposerEEE10hipError_tT1_T2_PT3_SF_jT4_jjP12ihipStream_tbEUlT_E0_NS1_11comp_targetILNS1_3genE6ELNS1_11target_archE950ELNS1_3gpuE13ELNS1_3repE0EEENS1_52radix_sort_onesweep_histogram_config_static_selectorELNS0_4arch9wavefront6targetE0EEEvSD_,@function
_ZN7rocprim17ROCPRIM_400000_NS6detail17trampoline_kernelINS0_14default_configENS1_35radix_sort_onesweep_config_selectorIbNS0_10empty_typeEEEZNS1_34radix_sort_onesweep_global_offsetsIS3_Lb1EPKbPS5_mNS0_19identity_decomposerEEE10hipError_tT1_T2_PT3_SF_jT4_jjP12ihipStream_tbEUlT_E0_NS1_11comp_targetILNS1_3genE6ELNS1_11target_archE950ELNS1_3gpuE13ELNS1_3repE0EEENS1_52radix_sort_onesweep_histogram_config_static_selectorELNS0_4arch9wavefront6targetE0EEEvSD_: ; @_ZN7rocprim17ROCPRIM_400000_NS6detail17trampoline_kernelINS0_14default_configENS1_35radix_sort_onesweep_config_selectorIbNS0_10empty_typeEEEZNS1_34radix_sort_onesweep_global_offsetsIS3_Lb1EPKbPS5_mNS0_19identity_decomposerEEE10hipError_tT1_T2_PT3_SF_jT4_jjP12ihipStream_tbEUlT_E0_NS1_11comp_targetILNS1_3genE6ELNS1_11target_archE950ELNS1_3gpuE13ELNS1_3repE0EEENS1_52radix_sort_onesweep_histogram_config_static_selectorELNS0_4arch9wavefront6targetE0EEEvSD_
; %bb.0:
	.section	.rodata,"a",@progbits
	.p2align	6, 0x0
	.amdhsa_kernel _ZN7rocprim17ROCPRIM_400000_NS6detail17trampoline_kernelINS0_14default_configENS1_35radix_sort_onesweep_config_selectorIbNS0_10empty_typeEEEZNS1_34radix_sort_onesweep_global_offsetsIS3_Lb1EPKbPS5_mNS0_19identity_decomposerEEE10hipError_tT1_T2_PT3_SF_jT4_jjP12ihipStream_tbEUlT_E0_NS1_11comp_targetILNS1_3genE6ELNS1_11target_archE950ELNS1_3gpuE13ELNS1_3repE0EEENS1_52radix_sort_onesweep_histogram_config_static_selectorELNS0_4arch9wavefront6targetE0EEEvSD_
		.amdhsa_group_segment_fixed_size 0
		.amdhsa_private_segment_fixed_size 0
		.amdhsa_kernarg_size 8
		.amdhsa_user_sgpr_count 2
		.amdhsa_user_sgpr_dispatch_ptr 0
		.amdhsa_user_sgpr_queue_ptr 0
		.amdhsa_user_sgpr_kernarg_segment_ptr 1
		.amdhsa_user_sgpr_dispatch_id 0
		.amdhsa_user_sgpr_kernarg_preload_length 0
		.amdhsa_user_sgpr_kernarg_preload_offset 0
		.amdhsa_user_sgpr_private_segment_size 0
		.amdhsa_wavefront_size32 1
		.amdhsa_uses_dynamic_stack 0
		.amdhsa_enable_private_segment 0
		.amdhsa_system_sgpr_workgroup_id_x 1
		.amdhsa_system_sgpr_workgroup_id_y 0
		.amdhsa_system_sgpr_workgroup_id_z 0
		.amdhsa_system_sgpr_workgroup_info 0
		.amdhsa_system_vgpr_workitem_id 0
		.amdhsa_next_free_vgpr 1
		.amdhsa_next_free_sgpr 1
		.amdhsa_named_barrier_count 0
		.amdhsa_reserve_vcc 0
		.amdhsa_float_round_mode_32 0
		.amdhsa_float_round_mode_16_64 0
		.amdhsa_float_denorm_mode_32 3
		.amdhsa_float_denorm_mode_16_64 3
		.amdhsa_fp16_overflow 0
		.amdhsa_memory_ordered 1
		.amdhsa_forward_progress 1
		.amdhsa_inst_pref_size 0
		.amdhsa_round_robin_scheduling 0
		.amdhsa_exception_fp_ieee_invalid_op 0
		.amdhsa_exception_fp_denorm_src 0
		.amdhsa_exception_fp_ieee_div_zero 0
		.amdhsa_exception_fp_ieee_overflow 0
		.amdhsa_exception_fp_ieee_underflow 0
		.amdhsa_exception_fp_ieee_inexact 0
		.amdhsa_exception_int_div_zero 0
	.end_amdhsa_kernel
	.section	.text._ZN7rocprim17ROCPRIM_400000_NS6detail17trampoline_kernelINS0_14default_configENS1_35radix_sort_onesweep_config_selectorIbNS0_10empty_typeEEEZNS1_34radix_sort_onesweep_global_offsetsIS3_Lb1EPKbPS5_mNS0_19identity_decomposerEEE10hipError_tT1_T2_PT3_SF_jT4_jjP12ihipStream_tbEUlT_E0_NS1_11comp_targetILNS1_3genE6ELNS1_11target_archE950ELNS1_3gpuE13ELNS1_3repE0EEENS1_52radix_sort_onesweep_histogram_config_static_selectorELNS0_4arch9wavefront6targetE0EEEvSD_,"axG",@progbits,_ZN7rocprim17ROCPRIM_400000_NS6detail17trampoline_kernelINS0_14default_configENS1_35radix_sort_onesweep_config_selectorIbNS0_10empty_typeEEEZNS1_34radix_sort_onesweep_global_offsetsIS3_Lb1EPKbPS5_mNS0_19identity_decomposerEEE10hipError_tT1_T2_PT3_SF_jT4_jjP12ihipStream_tbEUlT_E0_NS1_11comp_targetILNS1_3genE6ELNS1_11target_archE950ELNS1_3gpuE13ELNS1_3repE0EEENS1_52radix_sort_onesweep_histogram_config_static_selectorELNS0_4arch9wavefront6targetE0EEEvSD_,comdat
.Lfunc_end1725:
	.size	_ZN7rocprim17ROCPRIM_400000_NS6detail17trampoline_kernelINS0_14default_configENS1_35radix_sort_onesweep_config_selectorIbNS0_10empty_typeEEEZNS1_34radix_sort_onesweep_global_offsetsIS3_Lb1EPKbPS5_mNS0_19identity_decomposerEEE10hipError_tT1_T2_PT3_SF_jT4_jjP12ihipStream_tbEUlT_E0_NS1_11comp_targetILNS1_3genE6ELNS1_11target_archE950ELNS1_3gpuE13ELNS1_3repE0EEENS1_52radix_sort_onesweep_histogram_config_static_selectorELNS0_4arch9wavefront6targetE0EEEvSD_, .Lfunc_end1725-_ZN7rocprim17ROCPRIM_400000_NS6detail17trampoline_kernelINS0_14default_configENS1_35radix_sort_onesweep_config_selectorIbNS0_10empty_typeEEEZNS1_34radix_sort_onesweep_global_offsetsIS3_Lb1EPKbPS5_mNS0_19identity_decomposerEEE10hipError_tT1_T2_PT3_SF_jT4_jjP12ihipStream_tbEUlT_E0_NS1_11comp_targetILNS1_3genE6ELNS1_11target_archE950ELNS1_3gpuE13ELNS1_3repE0EEENS1_52radix_sort_onesweep_histogram_config_static_selectorELNS0_4arch9wavefront6targetE0EEEvSD_
                                        ; -- End function
	.set _ZN7rocprim17ROCPRIM_400000_NS6detail17trampoline_kernelINS0_14default_configENS1_35radix_sort_onesweep_config_selectorIbNS0_10empty_typeEEEZNS1_34radix_sort_onesweep_global_offsetsIS3_Lb1EPKbPS5_mNS0_19identity_decomposerEEE10hipError_tT1_T2_PT3_SF_jT4_jjP12ihipStream_tbEUlT_E0_NS1_11comp_targetILNS1_3genE6ELNS1_11target_archE950ELNS1_3gpuE13ELNS1_3repE0EEENS1_52radix_sort_onesweep_histogram_config_static_selectorELNS0_4arch9wavefront6targetE0EEEvSD_.num_vgpr, 0
	.set _ZN7rocprim17ROCPRIM_400000_NS6detail17trampoline_kernelINS0_14default_configENS1_35radix_sort_onesweep_config_selectorIbNS0_10empty_typeEEEZNS1_34radix_sort_onesweep_global_offsetsIS3_Lb1EPKbPS5_mNS0_19identity_decomposerEEE10hipError_tT1_T2_PT3_SF_jT4_jjP12ihipStream_tbEUlT_E0_NS1_11comp_targetILNS1_3genE6ELNS1_11target_archE950ELNS1_3gpuE13ELNS1_3repE0EEENS1_52radix_sort_onesweep_histogram_config_static_selectorELNS0_4arch9wavefront6targetE0EEEvSD_.num_agpr, 0
	.set _ZN7rocprim17ROCPRIM_400000_NS6detail17trampoline_kernelINS0_14default_configENS1_35radix_sort_onesweep_config_selectorIbNS0_10empty_typeEEEZNS1_34radix_sort_onesweep_global_offsetsIS3_Lb1EPKbPS5_mNS0_19identity_decomposerEEE10hipError_tT1_T2_PT3_SF_jT4_jjP12ihipStream_tbEUlT_E0_NS1_11comp_targetILNS1_3genE6ELNS1_11target_archE950ELNS1_3gpuE13ELNS1_3repE0EEENS1_52radix_sort_onesweep_histogram_config_static_selectorELNS0_4arch9wavefront6targetE0EEEvSD_.numbered_sgpr, 0
	.set _ZN7rocprim17ROCPRIM_400000_NS6detail17trampoline_kernelINS0_14default_configENS1_35radix_sort_onesweep_config_selectorIbNS0_10empty_typeEEEZNS1_34radix_sort_onesweep_global_offsetsIS3_Lb1EPKbPS5_mNS0_19identity_decomposerEEE10hipError_tT1_T2_PT3_SF_jT4_jjP12ihipStream_tbEUlT_E0_NS1_11comp_targetILNS1_3genE6ELNS1_11target_archE950ELNS1_3gpuE13ELNS1_3repE0EEENS1_52radix_sort_onesweep_histogram_config_static_selectorELNS0_4arch9wavefront6targetE0EEEvSD_.num_named_barrier, 0
	.set _ZN7rocprim17ROCPRIM_400000_NS6detail17trampoline_kernelINS0_14default_configENS1_35radix_sort_onesweep_config_selectorIbNS0_10empty_typeEEEZNS1_34radix_sort_onesweep_global_offsetsIS3_Lb1EPKbPS5_mNS0_19identity_decomposerEEE10hipError_tT1_T2_PT3_SF_jT4_jjP12ihipStream_tbEUlT_E0_NS1_11comp_targetILNS1_3genE6ELNS1_11target_archE950ELNS1_3gpuE13ELNS1_3repE0EEENS1_52radix_sort_onesweep_histogram_config_static_selectorELNS0_4arch9wavefront6targetE0EEEvSD_.private_seg_size, 0
	.set _ZN7rocprim17ROCPRIM_400000_NS6detail17trampoline_kernelINS0_14default_configENS1_35radix_sort_onesweep_config_selectorIbNS0_10empty_typeEEEZNS1_34radix_sort_onesweep_global_offsetsIS3_Lb1EPKbPS5_mNS0_19identity_decomposerEEE10hipError_tT1_T2_PT3_SF_jT4_jjP12ihipStream_tbEUlT_E0_NS1_11comp_targetILNS1_3genE6ELNS1_11target_archE950ELNS1_3gpuE13ELNS1_3repE0EEENS1_52radix_sort_onesweep_histogram_config_static_selectorELNS0_4arch9wavefront6targetE0EEEvSD_.uses_vcc, 0
	.set _ZN7rocprim17ROCPRIM_400000_NS6detail17trampoline_kernelINS0_14default_configENS1_35radix_sort_onesweep_config_selectorIbNS0_10empty_typeEEEZNS1_34radix_sort_onesweep_global_offsetsIS3_Lb1EPKbPS5_mNS0_19identity_decomposerEEE10hipError_tT1_T2_PT3_SF_jT4_jjP12ihipStream_tbEUlT_E0_NS1_11comp_targetILNS1_3genE6ELNS1_11target_archE950ELNS1_3gpuE13ELNS1_3repE0EEENS1_52radix_sort_onesweep_histogram_config_static_selectorELNS0_4arch9wavefront6targetE0EEEvSD_.uses_flat_scratch, 0
	.set _ZN7rocprim17ROCPRIM_400000_NS6detail17trampoline_kernelINS0_14default_configENS1_35radix_sort_onesweep_config_selectorIbNS0_10empty_typeEEEZNS1_34radix_sort_onesweep_global_offsetsIS3_Lb1EPKbPS5_mNS0_19identity_decomposerEEE10hipError_tT1_T2_PT3_SF_jT4_jjP12ihipStream_tbEUlT_E0_NS1_11comp_targetILNS1_3genE6ELNS1_11target_archE950ELNS1_3gpuE13ELNS1_3repE0EEENS1_52radix_sort_onesweep_histogram_config_static_selectorELNS0_4arch9wavefront6targetE0EEEvSD_.has_dyn_sized_stack, 0
	.set _ZN7rocprim17ROCPRIM_400000_NS6detail17trampoline_kernelINS0_14default_configENS1_35radix_sort_onesweep_config_selectorIbNS0_10empty_typeEEEZNS1_34radix_sort_onesweep_global_offsetsIS3_Lb1EPKbPS5_mNS0_19identity_decomposerEEE10hipError_tT1_T2_PT3_SF_jT4_jjP12ihipStream_tbEUlT_E0_NS1_11comp_targetILNS1_3genE6ELNS1_11target_archE950ELNS1_3gpuE13ELNS1_3repE0EEENS1_52radix_sort_onesweep_histogram_config_static_selectorELNS0_4arch9wavefront6targetE0EEEvSD_.has_recursion, 0
	.set _ZN7rocprim17ROCPRIM_400000_NS6detail17trampoline_kernelINS0_14default_configENS1_35radix_sort_onesweep_config_selectorIbNS0_10empty_typeEEEZNS1_34radix_sort_onesweep_global_offsetsIS3_Lb1EPKbPS5_mNS0_19identity_decomposerEEE10hipError_tT1_T2_PT3_SF_jT4_jjP12ihipStream_tbEUlT_E0_NS1_11comp_targetILNS1_3genE6ELNS1_11target_archE950ELNS1_3gpuE13ELNS1_3repE0EEENS1_52radix_sort_onesweep_histogram_config_static_selectorELNS0_4arch9wavefront6targetE0EEEvSD_.has_indirect_call, 0
	.section	.AMDGPU.csdata,"",@progbits
; Kernel info:
; codeLenInByte = 0
; TotalNumSgprs: 0
; NumVgprs: 0
; ScratchSize: 0
; MemoryBound: 0
; FloatMode: 240
; IeeeMode: 1
; LDSByteSize: 0 bytes/workgroup (compile time only)
; SGPRBlocks: 0
; VGPRBlocks: 0
; NumSGPRsForWavesPerEU: 1
; NumVGPRsForWavesPerEU: 1
; NamedBarCnt: 0
; Occupancy: 16
; WaveLimiterHint : 0
; COMPUTE_PGM_RSRC2:SCRATCH_EN: 0
; COMPUTE_PGM_RSRC2:USER_SGPR: 2
; COMPUTE_PGM_RSRC2:TRAP_HANDLER: 0
; COMPUTE_PGM_RSRC2:TGID_X_EN: 1
; COMPUTE_PGM_RSRC2:TGID_Y_EN: 0
; COMPUTE_PGM_RSRC2:TGID_Z_EN: 0
; COMPUTE_PGM_RSRC2:TIDIG_COMP_CNT: 0
	.section	.text._ZN7rocprim17ROCPRIM_400000_NS6detail17trampoline_kernelINS0_14default_configENS1_35radix_sort_onesweep_config_selectorIbNS0_10empty_typeEEEZNS1_34radix_sort_onesweep_global_offsetsIS3_Lb1EPKbPS5_mNS0_19identity_decomposerEEE10hipError_tT1_T2_PT3_SF_jT4_jjP12ihipStream_tbEUlT_E0_NS1_11comp_targetILNS1_3genE5ELNS1_11target_archE942ELNS1_3gpuE9ELNS1_3repE0EEENS1_52radix_sort_onesweep_histogram_config_static_selectorELNS0_4arch9wavefront6targetE0EEEvSD_,"axG",@progbits,_ZN7rocprim17ROCPRIM_400000_NS6detail17trampoline_kernelINS0_14default_configENS1_35radix_sort_onesweep_config_selectorIbNS0_10empty_typeEEEZNS1_34radix_sort_onesweep_global_offsetsIS3_Lb1EPKbPS5_mNS0_19identity_decomposerEEE10hipError_tT1_T2_PT3_SF_jT4_jjP12ihipStream_tbEUlT_E0_NS1_11comp_targetILNS1_3genE5ELNS1_11target_archE942ELNS1_3gpuE9ELNS1_3repE0EEENS1_52radix_sort_onesweep_histogram_config_static_selectorELNS0_4arch9wavefront6targetE0EEEvSD_,comdat
	.protected	_ZN7rocprim17ROCPRIM_400000_NS6detail17trampoline_kernelINS0_14default_configENS1_35radix_sort_onesweep_config_selectorIbNS0_10empty_typeEEEZNS1_34radix_sort_onesweep_global_offsetsIS3_Lb1EPKbPS5_mNS0_19identity_decomposerEEE10hipError_tT1_T2_PT3_SF_jT4_jjP12ihipStream_tbEUlT_E0_NS1_11comp_targetILNS1_3genE5ELNS1_11target_archE942ELNS1_3gpuE9ELNS1_3repE0EEENS1_52radix_sort_onesweep_histogram_config_static_selectorELNS0_4arch9wavefront6targetE0EEEvSD_ ; -- Begin function _ZN7rocprim17ROCPRIM_400000_NS6detail17trampoline_kernelINS0_14default_configENS1_35radix_sort_onesweep_config_selectorIbNS0_10empty_typeEEEZNS1_34radix_sort_onesweep_global_offsetsIS3_Lb1EPKbPS5_mNS0_19identity_decomposerEEE10hipError_tT1_T2_PT3_SF_jT4_jjP12ihipStream_tbEUlT_E0_NS1_11comp_targetILNS1_3genE5ELNS1_11target_archE942ELNS1_3gpuE9ELNS1_3repE0EEENS1_52radix_sort_onesweep_histogram_config_static_selectorELNS0_4arch9wavefront6targetE0EEEvSD_
	.globl	_ZN7rocprim17ROCPRIM_400000_NS6detail17trampoline_kernelINS0_14default_configENS1_35radix_sort_onesweep_config_selectorIbNS0_10empty_typeEEEZNS1_34radix_sort_onesweep_global_offsetsIS3_Lb1EPKbPS5_mNS0_19identity_decomposerEEE10hipError_tT1_T2_PT3_SF_jT4_jjP12ihipStream_tbEUlT_E0_NS1_11comp_targetILNS1_3genE5ELNS1_11target_archE942ELNS1_3gpuE9ELNS1_3repE0EEENS1_52radix_sort_onesweep_histogram_config_static_selectorELNS0_4arch9wavefront6targetE0EEEvSD_
	.p2align	8
	.type	_ZN7rocprim17ROCPRIM_400000_NS6detail17trampoline_kernelINS0_14default_configENS1_35radix_sort_onesweep_config_selectorIbNS0_10empty_typeEEEZNS1_34radix_sort_onesweep_global_offsetsIS3_Lb1EPKbPS5_mNS0_19identity_decomposerEEE10hipError_tT1_T2_PT3_SF_jT4_jjP12ihipStream_tbEUlT_E0_NS1_11comp_targetILNS1_3genE5ELNS1_11target_archE942ELNS1_3gpuE9ELNS1_3repE0EEENS1_52radix_sort_onesweep_histogram_config_static_selectorELNS0_4arch9wavefront6targetE0EEEvSD_,@function
_ZN7rocprim17ROCPRIM_400000_NS6detail17trampoline_kernelINS0_14default_configENS1_35radix_sort_onesweep_config_selectorIbNS0_10empty_typeEEEZNS1_34radix_sort_onesweep_global_offsetsIS3_Lb1EPKbPS5_mNS0_19identity_decomposerEEE10hipError_tT1_T2_PT3_SF_jT4_jjP12ihipStream_tbEUlT_E0_NS1_11comp_targetILNS1_3genE5ELNS1_11target_archE942ELNS1_3gpuE9ELNS1_3repE0EEENS1_52radix_sort_onesweep_histogram_config_static_selectorELNS0_4arch9wavefront6targetE0EEEvSD_: ; @_ZN7rocprim17ROCPRIM_400000_NS6detail17trampoline_kernelINS0_14default_configENS1_35radix_sort_onesweep_config_selectorIbNS0_10empty_typeEEEZNS1_34radix_sort_onesweep_global_offsetsIS3_Lb1EPKbPS5_mNS0_19identity_decomposerEEE10hipError_tT1_T2_PT3_SF_jT4_jjP12ihipStream_tbEUlT_E0_NS1_11comp_targetILNS1_3genE5ELNS1_11target_archE942ELNS1_3gpuE9ELNS1_3repE0EEENS1_52radix_sort_onesweep_histogram_config_static_selectorELNS0_4arch9wavefront6targetE0EEEvSD_
; %bb.0:
	.section	.rodata,"a",@progbits
	.p2align	6, 0x0
	.amdhsa_kernel _ZN7rocprim17ROCPRIM_400000_NS6detail17trampoline_kernelINS0_14default_configENS1_35radix_sort_onesweep_config_selectorIbNS0_10empty_typeEEEZNS1_34radix_sort_onesweep_global_offsetsIS3_Lb1EPKbPS5_mNS0_19identity_decomposerEEE10hipError_tT1_T2_PT3_SF_jT4_jjP12ihipStream_tbEUlT_E0_NS1_11comp_targetILNS1_3genE5ELNS1_11target_archE942ELNS1_3gpuE9ELNS1_3repE0EEENS1_52radix_sort_onesweep_histogram_config_static_selectorELNS0_4arch9wavefront6targetE0EEEvSD_
		.amdhsa_group_segment_fixed_size 0
		.amdhsa_private_segment_fixed_size 0
		.amdhsa_kernarg_size 8
		.amdhsa_user_sgpr_count 2
		.amdhsa_user_sgpr_dispatch_ptr 0
		.amdhsa_user_sgpr_queue_ptr 0
		.amdhsa_user_sgpr_kernarg_segment_ptr 1
		.amdhsa_user_sgpr_dispatch_id 0
		.amdhsa_user_sgpr_kernarg_preload_length 0
		.amdhsa_user_sgpr_kernarg_preload_offset 0
		.amdhsa_user_sgpr_private_segment_size 0
		.amdhsa_wavefront_size32 1
		.amdhsa_uses_dynamic_stack 0
		.amdhsa_enable_private_segment 0
		.amdhsa_system_sgpr_workgroup_id_x 1
		.amdhsa_system_sgpr_workgroup_id_y 0
		.amdhsa_system_sgpr_workgroup_id_z 0
		.amdhsa_system_sgpr_workgroup_info 0
		.amdhsa_system_vgpr_workitem_id 0
		.amdhsa_next_free_vgpr 1
		.amdhsa_next_free_sgpr 1
		.amdhsa_named_barrier_count 0
		.amdhsa_reserve_vcc 0
		.amdhsa_float_round_mode_32 0
		.amdhsa_float_round_mode_16_64 0
		.amdhsa_float_denorm_mode_32 3
		.amdhsa_float_denorm_mode_16_64 3
		.amdhsa_fp16_overflow 0
		.amdhsa_memory_ordered 1
		.amdhsa_forward_progress 1
		.amdhsa_inst_pref_size 0
		.amdhsa_round_robin_scheduling 0
		.amdhsa_exception_fp_ieee_invalid_op 0
		.amdhsa_exception_fp_denorm_src 0
		.amdhsa_exception_fp_ieee_div_zero 0
		.amdhsa_exception_fp_ieee_overflow 0
		.amdhsa_exception_fp_ieee_underflow 0
		.amdhsa_exception_fp_ieee_inexact 0
		.amdhsa_exception_int_div_zero 0
	.end_amdhsa_kernel
	.section	.text._ZN7rocprim17ROCPRIM_400000_NS6detail17trampoline_kernelINS0_14default_configENS1_35radix_sort_onesweep_config_selectorIbNS0_10empty_typeEEEZNS1_34radix_sort_onesweep_global_offsetsIS3_Lb1EPKbPS5_mNS0_19identity_decomposerEEE10hipError_tT1_T2_PT3_SF_jT4_jjP12ihipStream_tbEUlT_E0_NS1_11comp_targetILNS1_3genE5ELNS1_11target_archE942ELNS1_3gpuE9ELNS1_3repE0EEENS1_52radix_sort_onesweep_histogram_config_static_selectorELNS0_4arch9wavefront6targetE0EEEvSD_,"axG",@progbits,_ZN7rocprim17ROCPRIM_400000_NS6detail17trampoline_kernelINS0_14default_configENS1_35radix_sort_onesweep_config_selectorIbNS0_10empty_typeEEEZNS1_34radix_sort_onesweep_global_offsetsIS3_Lb1EPKbPS5_mNS0_19identity_decomposerEEE10hipError_tT1_T2_PT3_SF_jT4_jjP12ihipStream_tbEUlT_E0_NS1_11comp_targetILNS1_3genE5ELNS1_11target_archE942ELNS1_3gpuE9ELNS1_3repE0EEENS1_52radix_sort_onesweep_histogram_config_static_selectorELNS0_4arch9wavefront6targetE0EEEvSD_,comdat
.Lfunc_end1726:
	.size	_ZN7rocprim17ROCPRIM_400000_NS6detail17trampoline_kernelINS0_14default_configENS1_35radix_sort_onesweep_config_selectorIbNS0_10empty_typeEEEZNS1_34radix_sort_onesweep_global_offsetsIS3_Lb1EPKbPS5_mNS0_19identity_decomposerEEE10hipError_tT1_T2_PT3_SF_jT4_jjP12ihipStream_tbEUlT_E0_NS1_11comp_targetILNS1_3genE5ELNS1_11target_archE942ELNS1_3gpuE9ELNS1_3repE0EEENS1_52radix_sort_onesweep_histogram_config_static_selectorELNS0_4arch9wavefront6targetE0EEEvSD_, .Lfunc_end1726-_ZN7rocprim17ROCPRIM_400000_NS6detail17trampoline_kernelINS0_14default_configENS1_35radix_sort_onesweep_config_selectorIbNS0_10empty_typeEEEZNS1_34radix_sort_onesweep_global_offsetsIS3_Lb1EPKbPS5_mNS0_19identity_decomposerEEE10hipError_tT1_T2_PT3_SF_jT4_jjP12ihipStream_tbEUlT_E0_NS1_11comp_targetILNS1_3genE5ELNS1_11target_archE942ELNS1_3gpuE9ELNS1_3repE0EEENS1_52radix_sort_onesweep_histogram_config_static_selectorELNS0_4arch9wavefront6targetE0EEEvSD_
                                        ; -- End function
	.set _ZN7rocprim17ROCPRIM_400000_NS6detail17trampoline_kernelINS0_14default_configENS1_35radix_sort_onesweep_config_selectorIbNS0_10empty_typeEEEZNS1_34radix_sort_onesweep_global_offsetsIS3_Lb1EPKbPS5_mNS0_19identity_decomposerEEE10hipError_tT1_T2_PT3_SF_jT4_jjP12ihipStream_tbEUlT_E0_NS1_11comp_targetILNS1_3genE5ELNS1_11target_archE942ELNS1_3gpuE9ELNS1_3repE0EEENS1_52radix_sort_onesweep_histogram_config_static_selectorELNS0_4arch9wavefront6targetE0EEEvSD_.num_vgpr, 0
	.set _ZN7rocprim17ROCPRIM_400000_NS6detail17trampoline_kernelINS0_14default_configENS1_35radix_sort_onesweep_config_selectorIbNS0_10empty_typeEEEZNS1_34radix_sort_onesweep_global_offsetsIS3_Lb1EPKbPS5_mNS0_19identity_decomposerEEE10hipError_tT1_T2_PT3_SF_jT4_jjP12ihipStream_tbEUlT_E0_NS1_11comp_targetILNS1_3genE5ELNS1_11target_archE942ELNS1_3gpuE9ELNS1_3repE0EEENS1_52radix_sort_onesweep_histogram_config_static_selectorELNS0_4arch9wavefront6targetE0EEEvSD_.num_agpr, 0
	.set _ZN7rocprim17ROCPRIM_400000_NS6detail17trampoline_kernelINS0_14default_configENS1_35radix_sort_onesweep_config_selectorIbNS0_10empty_typeEEEZNS1_34radix_sort_onesweep_global_offsetsIS3_Lb1EPKbPS5_mNS0_19identity_decomposerEEE10hipError_tT1_T2_PT3_SF_jT4_jjP12ihipStream_tbEUlT_E0_NS1_11comp_targetILNS1_3genE5ELNS1_11target_archE942ELNS1_3gpuE9ELNS1_3repE0EEENS1_52radix_sort_onesweep_histogram_config_static_selectorELNS0_4arch9wavefront6targetE0EEEvSD_.numbered_sgpr, 0
	.set _ZN7rocprim17ROCPRIM_400000_NS6detail17trampoline_kernelINS0_14default_configENS1_35radix_sort_onesweep_config_selectorIbNS0_10empty_typeEEEZNS1_34radix_sort_onesweep_global_offsetsIS3_Lb1EPKbPS5_mNS0_19identity_decomposerEEE10hipError_tT1_T2_PT3_SF_jT4_jjP12ihipStream_tbEUlT_E0_NS1_11comp_targetILNS1_3genE5ELNS1_11target_archE942ELNS1_3gpuE9ELNS1_3repE0EEENS1_52radix_sort_onesweep_histogram_config_static_selectorELNS0_4arch9wavefront6targetE0EEEvSD_.num_named_barrier, 0
	.set _ZN7rocprim17ROCPRIM_400000_NS6detail17trampoline_kernelINS0_14default_configENS1_35radix_sort_onesweep_config_selectorIbNS0_10empty_typeEEEZNS1_34radix_sort_onesweep_global_offsetsIS3_Lb1EPKbPS5_mNS0_19identity_decomposerEEE10hipError_tT1_T2_PT3_SF_jT4_jjP12ihipStream_tbEUlT_E0_NS1_11comp_targetILNS1_3genE5ELNS1_11target_archE942ELNS1_3gpuE9ELNS1_3repE0EEENS1_52radix_sort_onesweep_histogram_config_static_selectorELNS0_4arch9wavefront6targetE0EEEvSD_.private_seg_size, 0
	.set _ZN7rocprim17ROCPRIM_400000_NS6detail17trampoline_kernelINS0_14default_configENS1_35radix_sort_onesweep_config_selectorIbNS0_10empty_typeEEEZNS1_34radix_sort_onesweep_global_offsetsIS3_Lb1EPKbPS5_mNS0_19identity_decomposerEEE10hipError_tT1_T2_PT3_SF_jT4_jjP12ihipStream_tbEUlT_E0_NS1_11comp_targetILNS1_3genE5ELNS1_11target_archE942ELNS1_3gpuE9ELNS1_3repE0EEENS1_52radix_sort_onesweep_histogram_config_static_selectorELNS0_4arch9wavefront6targetE0EEEvSD_.uses_vcc, 0
	.set _ZN7rocprim17ROCPRIM_400000_NS6detail17trampoline_kernelINS0_14default_configENS1_35radix_sort_onesweep_config_selectorIbNS0_10empty_typeEEEZNS1_34radix_sort_onesweep_global_offsetsIS3_Lb1EPKbPS5_mNS0_19identity_decomposerEEE10hipError_tT1_T2_PT3_SF_jT4_jjP12ihipStream_tbEUlT_E0_NS1_11comp_targetILNS1_3genE5ELNS1_11target_archE942ELNS1_3gpuE9ELNS1_3repE0EEENS1_52radix_sort_onesweep_histogram_config_static_selectorELNS0_4arch9wavefront6targetE0EEEvSD_.uses_flat_scratch, 0
	.set _ZN7rocprim17ROCPRIM_400000_NS6detail17trampoline_kernelINS0_14default_configENS1_35radix_sort_onesweep_config_selectorIbNS0_10empty_typeEEEZNS1_34radix_sort_onesweep_global_offsetsIS3_Lb1EPKbPS5_mNS0_19identity_decomposerEEE10hipError_tT1_T2_PT3_SF_jT4_jjP12ihipStream_tbEUlT_E0_NS1_11comp_targetILNS1_3genE5ELNS1_11target_archE942ELNS1_3gpuE9ELNS1_3repE0EEENS1_52radix_sort_onesweep_histogram_config_static_selectorELNS0_4arch9wavefront6targetE0EEEvSD_.has_dyn_sized_stack, 0
	.set _ZN7rocprim17ROCPRIM_400000_NS6detail17trampoline_kernelINS0_14default_configENS1_35radix_sort_onesweep_config_selectorIbNS0_10empty_typeEEEZNS1_34radix_sort_onesweep_global_offsetsIS3_Lb1EPKbPS5_mNS0_19identity_decomposerEEE10hipError_tT1_T2_PT3_SF_jT4_jjP12ihipStream_tbEUlT_E0_NS1_11comp_targetILNS1_3genE5ELNS1_11target_archE942ELNS1_3gpuE9ELNS1_3repE0EEENS1_52radix_sort_onesweep_histogram_config_static_selectorELNS0_4arch9wavefront6targetE0EEEvSD_.has_recursion, 0
	.set _ZN7rocprim17ROCPRIM_400000_NS6detail17trampoline_kernelINS0_14default_configENS1_35radix_sort_onesweep_config_selectorIbNS0_10empty_typeEEEZNS1_34radix_sort_onesweep_global_offsetsIS3_Lb1EPKbPS5_mNS0_19identity_decomposerEEE10hipError_tT1_T2_PT3_SF_jT4_jjP12ihipStream_tbEUlT_E0_NS1_11comp_targetILNS1_3genE5ELNS1_11target_archE942ELNS1_3gpuE9ELNS1_3repE0EEENS1_52radix_sort_onesweep_histogram_config_static_selectorELNS0_4arch9wavefront6targetE0EEEvSD_.has_indirect_call, 0
	.section	.AMDGPU.csdata,"",@progbits
; Kernel info:
; codeLenInByte = 0
; TotalNumSgprs: 0
; NumVgprs: 0
; ScratchSize: 0
; MemoryBound: 0
; FloatMode: 240
; IeeeMode: 1
; LDSByteSize: 0 bytes/workgroup (compile time only)
; SGPRBlocks: 0
; VGPRBlocks: 0
; NumSGPRsForWavesPerEU: 1
; NumVGPRsForWavesPerEU: 1
; NamedBarCnt: 0
; Occupancy: 16
; WaveLimiterHint : 0
; COMPUTE_PGM_RSRC2:SCRATCH_EN: 0
; COMPUTE_PGM_RSRC2:USER_SGPR: 2
; COMPUTE_PGM_RSRC2:TRAP_HANDLER: 0
; COMPUTE_PGM_RSRC2:TGID_X_EN: 1
; COMPUTE_PGM_RSRC2:TGID_Y_EN: 0
; COMPUTE_PGM_RSRC2:TGID_Z_EN: 0
; COMPUTE_PGM_RSRC2:TIDIG_COMP_CNT: 0
	.section	.text._ZN7rocprim17ROCPRIM_400000_NS6detail17trampoline_kernelINS0_14default_configENS1_35radix_sort_onesweep_config_selectorIbNS0_10empty_typeEEEZNS1_34radix_sort_onesweep_global_offsetsIS3_Lb1EPKbPS5_mNS0_19identity_decomposerEEE10hipError_tT1_T2_PT3_SF_jT4_jjP12ihipStream_tbEUlT_E0_NS1_11comp_targetILNS1_3genE2ELNS1_11target_archE906ELNS1_3gpuE6ELNS1_3repE0EEENS1_52radix_sort_onesweep_histogram_config_static_selectorELNS0_4arch9wavefront6targetE0EEEvSD_,"axG",@progbits,_ZN7rocprim17ROCPRIM_400000_NS6detail17trampoline_kernelINS0_14default_configENS1_35radix_sort_onesweep_config_selectorIbNS0_10empty_typeEEEZNS1_34radix_sort_onesweep_global_offsetsIS3_Lb1EPKbPS5_mNS0_19identity_decomposerEEE10hipError_tT1_T2_PT3_SF_jT4_jjP12ihipStream_tbEUlT_E0_NS1_11comp_targetILNS1_3genE2ELNS1_11target_archE906ELNS1_3gpuE6ELNS1_3repE0EEENS1_52radix_sort_onesweep_histogram_config_static_selectorELNS0_4arch9wavefront6targetE0EEEvSD_,comdat
	.protected	_ZN7rocprim17ROCPRIM_400000_NS6detail17trampoline_kernelINS0_14default_configENS1_35radix_sort_onesweep_config_selectorIbNS0_10empty_typeEEEZNS1_34radix_sort_onesweep_global_offsetsIS3_Lb1EPKbPS5_mNS0_19identity_decomposerEEE10hipError_tT1_T2_PT3_SF_jT4_jjP12ihipStream_tbEUlT_E0_NS1_11comp_targetILNS1_3genE2ELNS1_11target_archE906ELNS1_3gpuE6ELNS1_3repE0EEENS1_52radix_sort_onesweep_histogram_config_static_selectorELNS0_4arch9wavefront6targetE0EEEvSD_ ; -- Begin function _ZN7rocprim17ROCPRIM_400000_NS6detail17trampoline_kernelINS0_14default_configENS1_35radix_sort_onesweep_config_selectorIbNS0_10empty_typeEEEZNS1_34radix_sort_onesweep_global_offsetsIS3_Lb1EPKbPS5_mNS0_19identity_decomposerEEE10hipError_tT1_T2_PT3_SF_jT4_jjP12ihipStream_tbEUlT_E0_NS1_11comp_targetILNS1_3genE2ELNS1_11target_archE906ELNS1_3gpuE6ELNS1_3repE0EEENS1_52radix_sort_onesweep_histogram_config_static_selectorELNS0_4arch9wavefront6targetE0EEEvSD_
	.globl	_ZN7rocprim17ROCPRIM_400000_NS6detail17trampoline_kernelINS0_14default_configENS1_35radix_sort_onesweep_config_selectorIbNS0_10empty_typeEEEZNS1_34radix_sort_onesweep_global_offsetsIS3_Lb1EPKbPS5_mNS0_19identity_decomposerEEE10hipError_tT1_T2_PT3_SF_jT4_jjP12ihipStream_tbEUlT_E0_NS1_11comp_targetILNS1_3genE2ELNS1_11target_archE906ELNS1_3gpuE6ELNS1_3repE0EEENS1_52radix_sort_onesweep_histogram_config_static_selectorELNS0_4arch9wavefront6targetE0EEEvSD_
	.p2align	8
	.type	_ZN7rocprim17ROCPRIM_400000_NS6detail17trampoline_kernelINS0_14default_configENS1_35radix_sort_onesweep_config_selectorIbNS0_10empty_typeEEEZNS1_34radix_sort_onesweep_global_offsetsIS3_Lb1EPKbPS5_mNS0_19identity_decomposerEEE10hipError_tT1_T2_PT3_SF_jT4_jjP12ihipStream_tbEUlT_E0_NS1_11comp_targetILNS1_3genE2ELNS1_11target_archE906ELNS1_3gpuE6ELNS1_3repE0EEENS1_52radix_sort_onesweep_histogram_config_static_selectorELNS0_4arch9wavefront6targetE0EEEvSD_,@function
_ZN7rocprim17ROCPRIM_400000_NS6detail17trampoline_kernelINS0_14default_configENS1_35radix_sort_onesweep_config_selectorIbNS0_10empty_typeEEEZNS1_34radix_sort_onesweep_global_offsetsIS3_Lb1EPKbPS5_mNS0_19identity_decomposerEEE10hipError_tT1_T2_PT3_SF_jT4_jjP12ihipStream_tbEUlT_E0_NS1_11comp_targetILNS1_3genE2ELNS1_11target_archE906ELNS1_3gpuE6ELNS1_3repE0EEENS1_52radix_sort_onesweep_histogram_config_static_selectorELNS0_4arch9wavefront6targetE0EEEvSD_: ; @_ZN7rocprim17ROCPRIM_400000_NS6detail17trampoline_kernelINS0_14default_configENS1_35radix_sort_onesweep_config_selectorIbNS0_10empty_typeEEEZNS1_34radix_sort_onesweep_global_offsetsIS3_Lb1EPKbPS5_mNS0_19identity_decomposerEEE10hipError_tT1_T2_PT3_SF_jT4_jjP12ihipStream_tbEUlT_E0_NS1_11comp_targetILNS1_3genE2ELNS1_11target_archE906ELNS1_3gpuE6ELNS1_3repE0EEENS1_52radix_sort_onesweep_histogram_config_static_selectorELNS0_4arch9wavefront6targetE0EEEvSD_
; %bb.0:
	.section	.rodata,"a",@progbits
	.p2align	6, 0x0
	.amdhsa_kernel _ZN7rocprim17ROCPRIM_400000_NS6detail17trampoline_kernelINS0_14default_configENS1_35radix_sort_onesweep_config_selectorIbNS0_10empty_typeEEEZNS1_34radix_sort_onesweep_global_offsetsIS3_Lb1EPKbPS5_mNS0_19identity_decomposerEEE10hipError_tT1_T2_PT3_SF_jT4_jjP12ihipStream_tbEUlT_E0_NS1_11comp_targetILNS1_3genE2ELNS1_11target_archE906ELNS1_3gpuE6ELNS1_3repE0EEENS1_52radix_sort_onesweep_histogram_config_static_selectorELNS0_4arch9wavefront6targetE0EEEvSD_
		.amdhsa_group_segment_fixed_size 0
		.amdhsa_private_segment_fixed_size 0
		.amdhsa_kernarg_size 8
		.amdhsa_user_sgpr_count 2
		.amdhsa_user_sgpr_dispatch_ptr 0
		.amdhsa_user_sgpr_queue_ptr 0
		.amdhsa_user_sgpr_kernarg_segment_ptr 1
		.amdhsa_user_sgpr_dispatch_id 0
		.amdhsa_user_sgpr_kernarg_preload_length 0
		.amdhsa_user_sgpr_kernarg_preload_offset 0
		.amdhsa_user_sgpr_private_segment_size 0
		.amdhsa_wavefront_size32 1
		.amdhsa_uses_dynamic_stack 0
		.amdhsa_enable_private_segment 0
		.amdhsa_system_sgpr_workgroup_id_x 1
		.amdhsa_system_sgpr_workgroup_id_y 0
		.amdhsa_system_sgpr_workgroup_id_z 0
		.amdhsa_system_sgpr_workgroup_info 0
		.amdhsa_system_vgpr_workitem_id 0
		.amdhsa_next_free_vgpr 1
		.amdhsa_next_free_sgpr 1
		.amdhsa_named_barrier_count 0
		.amdhsa_reserve_vcc 0
		.amdhsa_float_round_mode_32 0
		.amdhsa_float_round_mode_16_64 0
		.amdhsa_float_denorm_mode_32 3
		.amdhsa_float_denorm_mode_16_64 3
		.amdhsa_fp16_overflow 0
		.amdhsa_memory_ordered 1
		.amdhsa_forward_progress 1
		.amdhsa_inst_pref_size 0
		.amdhsa_round_robin_scheduling 0
		.amdhsa_exception_fp_ieee_invalid_op 0
		.amdhsa_exception_fp_denorm_src 0
		.amdhsa_exception_fp_ieee_div_zero 0
		.amdhsa_exception_fp_ieee_overflow 0
		.amdhsa_exception_fp_ieee_underflow 0
		.amdhsa_exception_fp_ieee_inexact 0
		.amdhsa_exception_int_div_zero 0
	.end_amdhsa_kernel
	.section	.text._ZN7rocprim17ROCPRIM_400000_NS6detail17trampoline_kernelINS0_14default_configENS1_35radix_sort_onesweep_config_selectorIbNS0_10empty_typeEEEZNS1_34radix_sort_onesweep_global_offsetsIS3_Lb1EPKbPS5_mNS0_19identity_decomposerEEE10hipError_tT1_T2_PT3_SF_jT4_jjP12ihipStream_tbEUlT_E0_NS1_11comp_targetILNS1_3genE2ELNS1_11target_archE906ELNS1_3gpuE6ELNS1_3repE0EEENS1_52radix_sort_onesweep_histogram_config_static_selectorELNS0_4arch9wavefront6targetE0EEEvSD_,"axG",@progbits,_ZN7rocprim17ROCPRIM_400000_NS6detail17trampoline_kernelINS0_14default_configENS1_35radix_sort_onesweep_config_selectorIbNS0_10empty_typeEEEZNS1_34radix_sort_onesweep_global_offsetsIS3_Lb1EPKbPS5_mNS0_19identity_decomposerEEE10hipError_tT1_T2_PT3_SF_jT4_jjP12ihipStream_tbEUlT_E0_NS1_11comp_targetILNS1_3genE2ELNS1_11target_archE906ELNS1_3gpuE6ELNS1_3repE0EEENS1_52radix_sort_onesweep_histogram_config_static_selectorELNS0_4arch9wavefront6targetE0EEEvSD_,comdat
.Lfunc_end1727:
	.size	_ZN7rocprim17ROCPRIM_400000_NS6detail17trampoline_kernelINS0_14default_configENS1_35radix_sort_onesweep_config_selectorIbNS0_10empty_typeEEEZNS1_34radix_sort_onesweep_global_offsetsIS3_Lb1EPKbPS5_mNS0_19identity_decomposerEEE10hipError_tT1_T2_PT3_SF_jT4_jjP12ihipStream_tbEUlT_E0_NS1_11comp_targetILNS1_3genE2ELNS1_11target_archE906ELNS1_3gpuE6ELNS1_3repE0EEENS1_52radix_sort_onesweep_histogram_config_static_selectorELNS0_4arch9wavefront6targetE0EEEvSD_, .Lfunc_end1727-_ZN7rocprim17ROCPRIM_400000_NS6detail17trampoline_kernelINS0_14default_configENS1_35radix_sort_onesweep_config_selectorIbNS0_10empty_typeEEEZNS1_34radix_sort_onesweep_global_offsetsIS3_Lb1EPKbPS5_mNS0_19identity_decomposerEEE10hipError_tT1_T2_PT3_SF_jT4_jjP12ihipStream_tbEUlT_E0_NS1_11comp_targetILNS1_3genE2ELNS1_11target_archE906ELNS1_3gpuE6ELNS1_3repE0EEENS1_52radix_sort_onesweep_histogram_config_static_selectorELNS0_4arch9wavefront6targetE0EEEvSD_
                                        ; -- End function
	.set _ZN7rocprim17ROCPRIM_400000_NS6detail17trampoline_kernelINS0_14default_configENS1_35radix_sort_onesweep_config_selectorIbNS0_10empty_typeEEEZNS1_34radix_sort_onesweep_global_offsetsIS3_Lb1EPKbPS5_mNS0_19identity_decomposerEEE10hipError_tT1_T2_PT3_SF_jT4_jjP12ihipStream_tbEUlT_E0_NS1_11comp_targetILNS1_3genE2ELNS1_11target_archE906ELNS1_3gpuE6ELNS1_3repE0EEENS1_52radix_sort_onesweep_histogram_config_static_selectorELNS0_4arch9wavefront6targetE0EEEvSD_.num_vgpr, 0
	.set _ZN7rocprim17ROCPRIM_400000_NS6detail17trampoline_kernelINS0_14default_configENS1_35radix_sort_onesweep_config_selectorIbNS0_10empty_typeEEEZNS1_34radix_sort_onesweep_global_offsetsIS3_Lb1EPKbPS5_mNS0_19identity_decomposerEEE10hipError_tT1_T2_PT3_SF_jT4_jjP12ihipStream_tbEUlT_E0_NS1_11comp_targetILNS1_3genE2ELNS1_11target_archE906ELNS1_3gpuE6ELNS1_3repE0EEENS1_52radix_sort_onesweep_histogram_config_static_selectorELNS0_4arch9wavefront6targetE0EEEvSD_.num_agpr, 0
	.set _ZN7rocprim17ROCPRIM_400000_NS6detail17trampoline_kernelINS0_14default_configENS1_35radix_sort_onesweep_config_selectorIbNS0_10empty_typeEEEZNS1_34radix_sort_onesweep_global_offsetsIS3_Lb1EPKbPS5_mNS0_19identity_decomposerEEE10hipError_tT1_T2_PT3_SF_jT4_jjP12ihipStream_tbEUlT_E0_NS1_11comp_targetILNS1_3genE2ELNS1_11target_archE906ELNS1_3gpuE6ELNS1_3repE0EEENS1_52radix_sort_onesweep_histogram_config_static_selectorELNS0_4arch9wavefront6targetE0EEEvSD_.numbered_sgpr, 0
	.set _ZN7rocprim17ROCPRIM_400000_NS6detail17trampoline_kernelINS0_14default_configENS1_35radix_sort_onesweep_config_selectorIbNS0_10empty_typeEEEZNS1_34radix_sort_onesweep_global_offsetsIS3_Lb1EPKbPS5_mNS0_19identity_decomposerEEE10hipError_tT1_T2_PT3_SF_jT4_jjP12ihipStream_tbEUlT_E0_NS1_11comp_targetILNS1_3genE2ELNS1_11target_archE906ELNS1_3gpuE6ELNS1_3repE0EEENS1_52radix_sort_onesweep_histogram_config_static_selectorELNS0_4arch9wavefront6targetE0EEEvSD_.num_named_barrier, 0
	.set _ZN7rocprim17ROCPRIM_400000_NS6detail17trampoline_kernelINS0_14default_configENS1_35radix_sort_onesweep_config_selectorIbNS0_10empty_typeEEEZNS1_34radix_sort_onesweep_global_offsetsIS3_Lb1EPKbPS5_mNS0_19identity_decomposerEEE10hipError_tT1_T2_PT3_SF_jT4_jjP12ihipStream_tbEUlT_E0_NS1_11comp_targetILNS1_3genE2ELNS1_11target_archE906ELNS1_3gpuE6ELNS1_3repE0EEENS1_52radix_sort_onesweep_histogram_config_static_selectorELNS0_4arch9wavefront6targetE0EEEvSD_.private_seg_size, 0
	.set _ZN7rocprim17ROCPRIM_400000_NS6detail17trampoline_kernelINS0_14default_configENS1_35radix_sort_onesweep_config_selectorIbNS0_10empty_typeEEEZNS1_34radix_sort_onesweep_global_offsetsIS3_Lb1EPKbPS5_mNS0_19identity_decomposerEEE10hipError_tT1_T2_PT3_SF_jT4_jjP12ihipStream_tbEUlT_E0_NS1_11comp_targetILNS1_3genE2ELNS1_11target_archE906ELNS1_3gpuE6ELNS1_3repE0EEENS1_52radix_sort_onesweep_histogram_config_static_selectorELNS0_4arch9wavefront6targetE0EEEvSD_.uses_vcc, 0
	.set _ZN7rocprim17ROCPRIM_400000_NS6detail17trampoline_kernelINS0_14default_configENS1_35radix_sort_onesweep_config_selectorIbNS0_10empty_typeEEEZNS1_34radix_sort_onesweep_global_offsetsIS3_Lb1EPKbPS5_mNS0_19identity_decomposerEEE10hipError_tT1_T2_PT3_SF_jT4_jjP12ihipStream_tbEUlT_E0_NS1_11comp_targetILNS1_3genE2ELNS1_11target_archE906ELNS1_3gpuE6ELNS1_3repE0EEENS1_52radix_sort_onesweep_histogram_config_static_selectorELNS0_4arch9wavefront6targetE0EEEvSD_.uses_flat_scratch, 0
	.set _ZN7rocprim17ROCPRIM_400000_NS6detail17trampoline_kernelINS0_14default_configENS1_35radix_sort_onesweep_config_selectorIbNS0_10empty_typeEEEZNS1_34radix_sort_onesweep_global_offsetsIS3_Lb1EPKbPS5_mNS0_19identity_decomposerEEE10hipError_tT1_T2_PT3_SF_jT4_jjP12ihipStream_tbEUlT_E0_NS1_11comp_targetILNS1_3genE2ELNS1_11target_archE906ELNS1_3gpuE6ELNS1_3repE0EEENS1_52radix_sort_onesweep_histogram_config_static_selectorELNS0_4arch9wavefront6targetE0EEEvSD_.has_dyn_sized_stack, 0
	.set _ZN7rocprim17ROCPRIM_400000_NS6detail17trampoline_kernelINS0_14default_configENS1_35radix_sort_onesweep_config_selectorIbNS0_10empty_typeEEEZNS1_34radix_sort_onesweep_global_offsetsIS3_Lb1EPKbPS5_mNS0_19identity_decomposerEEE10hipError_tT1_T2_PT3_SF_jT4_jjP12ihipStream_tbEUlT_E0_NS1_11comp_targetILNS1_3genE2ELNS1_11target_archE906ELNS1_3gpuE6ELNS1_3repE0EEENS1_52radix_sort_onesweep_histogram_config_static_selectorELNS0_4arch9wavefront6targetE0EEEvSD_.has_recursion, 0
	.set _ZN7rocprim17ROCPRIM_400000_NS6detail17trampoline_kernelINS0_14default_configENS1_35radix_sort_onesweep_config_selectorIbNS0_10empty_typeEEEZNS1_34radix_sort_onesweep_global_offsetsIS3_Lb1EPKbPS5_mNS0_19identity_decomposerEEE10hipError_tT1_T2_PT3_SF_jT4_jjP12ihipStream_tbEUlT_E0_NS1_11comp_targetILNS1_3genE2ELNS1_11target_archE906ELNS1_3gpuE6ELNS1_3repE0EEENS1_52radix_sort_onesweep_histogram_config_static_selectorELNS0_4arch9wavefront6targetE0EEEvSD_.has_indirect_call, 0
	.section	.AMDGPU.csdata,"",@progbits
; Kernel info:
; codeLenInByte = 0
; TotalNumSgprs: 0
; NumVgprs: 0
; ScratchSize: 0
; MemoryBound: 0
; FloatMode: 240
; IeeeMode: 1
; LDSByteSize: 0 bytes/workgroup (compile time only)
; SGPRBlocks: 0
; VGPRBlocks: 0
; NumSGPRsForWavesPerEU: 1
; NumVGPRsForWavesPerEU: 1
; NamedBarCnt: 0
; Occupancy: 16
; WaveLimiterHint : 0
; COMPUTE_PGM_RSRC2:SCRATCH_EN: 0
; COMPUTE_PGM_RSRC2:USER_SGPR: 2
; COMPUTE_PGM_RSRC2:TRAP_HANDLER: 0
; COMPUTE_PGM_RSRC2:TGID_X_EN: 1
; COMPUTE_PGM_RSRC2:TGID_Y_EN: 0
; COMPUTE_PGM_RSRC2:TGID_Z_EN: 0
; COMPUTE_PGM_RSRC2:TIDIG_COMP_CNT: 0
	.section	.text._ZN7rocprim17ROCPRIM_400000_NS6detail17trampoline_kernelINS0_14default_configENS1_35radix_sort_onesweep_config_selectorIbNS0_10empty_typeEEEZNS1_34radix_sort_onesweep_global_offsetsIS3_Lb1EPKbPS5_mNS0_19identity_decomposerEEE10hipError_tT1_T2_PT3_SF_jT4_jjP12ihipStream_tbEUlT_E0_NS1_11comp_targetILNS1_3genE4ELNS1_11target_archE910ELNS1_3gpuE8ELNS1_3repE0EEENS1_52radix_sort_onesweep_histogram_config_static_selectorELNS0_4arch9wavefront6targetE0EEEvSD_,"axG",@progbits,_ZN7rocprim17ROCPRIM_400000_NS6detail17trampoline_kernelINS0_14default_configENS1_35radix_sort_onesweep_config_selectorIbNS0_10empty_typeEEEZNS1_34radix_sort_onesweep_global_offsetsIS3_Lb1EPKbPS5_mNS0_19identity_decomposerEEE10hipError_tT1_T2_PT3_SF_jT4_jjP12ihipStream_tbEUlT_E0_NS1_11comp_targetILNS1_3genE4ELNS1_11target_archE910ELNS1_3gpuE8ELNS1_3repE0EEENS1_52radix_sort_onesweep_histogram_config_static_selectorELNS0_4arch9wavefront6targetE0EEEvSD_,comdat
	.protected	_ZN7rocprim17ROCPRIM_400000_NS6detail17trampoline_kernelINS0_14default_configENS1_35radix_sort_onesweep_config_selectorIbNS0_10empty_typeEEEZNS1_34radix_sort_onesweep_global_offsetsIS3_Lb1EPKbPS5_mNS0_19identity_decomposerEEE10hipError_tT1_T2_PT3_SF_jT4_jjP12ihipStream_tbEUlT_E0_NS1_11comp_targetILNS1_3genE4ELNS1_11target_archE910ELNS1_3gpuE8ELNS1_3repE0EEENS1_52radix_sort_onesweep_histogram_config_static_selectorELNS0_4arch9wavefront6targetE0EEEvSD_ ; -- Begin function _ZN7rocprim17ROCPRIM_400000_NS6detail17trampoline_kernelINS0_14default_configENS1_35radix_sort_onesweep_config_selectorIbNS0_10empty_typeEEEZNS1_34radix_sort_onesweep_global_offsetsIS3_Lb1EPKbPS5_mNS0_19identity_decomposerEEE10hipError_tT1_T2_PT3_SF_jT4_jjP12ihipStream_tbEUlT_E0_NS1_11comp_targetILNS1_3genE4ELNS1_11target_archE910ELNS1_3gpuE8ELNS1_3repE0EEENS1_52radix_sort_onesweep_histogram_config_static_selectorELNS0_4arch9wavefront6targetE0EEEvSD_
	.globl	_ZN7rocprim17ROCPRIM_400000_NS6detail17trampoline_kernelINS0_14default_configENS1_35radix_sort_onesweep_config_selectorIbNS0_10empty_typeEEEZNS1_34radix_sort_onesweep_global_offsetsIS3_Lb1EPKbPS5_mNS0_19identity_decomposerEEE10hipError_tT1_T2_PT3_SF_jT4_jjP12ihipStream_tbEUlT_E0_NS1_11comp_targetILNS1_3genE4ELNS1_11target_archE910ELNS1_3gpuE8ELNS1_3repE0EEENS1_52radix_sort_onesweep_histogram_config_static_selectorELNS0_4arch9wavefront6targetE0EEEvSD_
	.p2align	8
	.type	_ZN7rocprim17ROCPRIM_400000_NS6detail17trampoline_kernelINS0_14default_configENS1_35radix_sort_onesweep_config_selectorIbNS0_10empty_typeEEEZNS1_34radix_sort_onesweep_global_offsetsIS3_Lb1EPKbPS5_mNS0_19identity_decomposerEEE10hipError_tT1_T2_PT3_SF_jT4_jjP12ihipStream_tbEUlT_E0_NS1_11comp_targetILNS1_3genE4ELNS1_11target_archE910ELNS1_3gpuE8ELNS1_3repE0EEENS1_52radix_sort_onesweep_histogram_config_static_selectorELNS0_4arch9wavefront6targetE0EEEvSD_,@function
_ZN7rocprim17ROCPRIM_400000_NS6detail17trampoline_kernelINS0_14default_configENS1_35radix_sort_onesweep_config_selectorIbNS0_10empty_typeEEEZNS1_34radix_sort_onesweep_global_offsetsIS3_Lb1EPKbPS5_mNS0_19identity_decomposerEEE10hipError_tT1_T2_PT3_SF_jT4_jjP12ihipStream_tbEUlT_E0_NS1_11comp_targetILNS1_3genE4ELNS1_11target_archE910ELNS1_3gpuE8ELNS1_3repE0EEENS1_52radix_sort_onesweep_histogram_config_static_selectorELNS0_4arch9wavefront6targetE0EEEvSD_: ; @_ZN7rocprim17ROCPRIM_400000_NS6detail17trampoline_kernelINS0_14default_configENS1_35radix_sort_onesweep_config_selectorIbNS0_10empty_typeEEEZNS1_34radix_sort_onesweep_global_offsetsIS3_Lb1EPKbPS5_mNS0_19identity_decomposerEEE10hipError_tT1_T2_PT3_SF_jT4_jjP12ihipStream_tbEUlT_E0_NS1_11comp_targetILNS1_3genE4ELNS1_11target_archE910ELNS1_3gpuE8ELNS1_3repE0EEENS1_52radix_sort_onesweep_histogram_config_static_selectorELNS0_4arch9wavefront6targetE0EEEvSD_
; %bb.0:
	.section	.rodata,"a",@progbits
	.p2align	6, 0x0
	.amdhsa_kernel _ZN7rocprim17ROCPRIM_400000_NS6detail17trampoline_kernelINS0_14default_configENS1_35radix_sort_onesweep_config_selectorIbNS0_10empty_typeEEEZNS1_34radix_sort_onesweep_global_offsetsIS3_Lb1EPKbPS5_mNS0_19identity_decomposerEEE10hipError_tT1_T2_PT3_SF_jT4_jjP12ihipStream_tbEUlT_E0_NS1_11comp_targetILNS1_3genE4ELNS1_11target_archE910ELNS1_3gpuE8ELNS1_3repE0EEENS1_52radix_sort_onesweep_histogram_config_static_selectorELNS0_4arch9wavefront6targetE0EEEvSD_
		.amdhsa_group_segment_fixed_size 0
		.amdhsa_private_segment_fixed_size 0
		.amdhsa_kernarg_size 8
		.amdhsa_user_sgpr_count 2
		.amdhsa_user_sgpr_dispatch_ptr 0
		.amdhsa_user_sgpr_queue_ptr 0
		.amdhsa_user_sgpr_kernarg_segment_ptr 1
		.amdhsa_user_sgpr_dispatch_id 0
		.amdhsa_user_sgpr_kernarg_preload_length 0
		.amdhsa_user_sgpr_kernarg_preload_offset 0
		.amdhsa_user_sgpr_private_segment_size 0
		.amdhsa_wavefront_size32 1
		.amdhsa_uses_dynamic_stack 0
		.amdhsa_enable_private_segment 0
		.amdhsa_system_sgpr_workgroup_id_x 1
		.amdhsa_system_sgpr_workgroup_id_y 0
		.amdhsa_system_sgpr_workgroup_id_z 0
		.amdhsa_system_sgpr_workgroup_info 0
		.amdhsa_system_vgpr_workitem_id 0
		.amdhsa_next_free_vgpr 1
		.amdhsa_next_free_sgpr 1
		.amdhsa_named_barrier_count 0
		.amdhsa_reserve_vcc 0
		.amdhsa_float_round_mode_32 0
		.amdhsa_float_round_mode_16_64 0
		.amdhsa_float_denorm_mode_32 3
		.amdhsa_float_denorm_mode_16_64 3
		.amdhsa_fp16_overflow 0
		.amdhsa_memory_ordered 1
		.amdhsa_forward_progress 1
		.amdhsa_inst_pref_size 0
		.amdhsa_round_robin_scheduling 0
		.amdhsa_exception_fp_ieee_invalid_op 0
		.amdhsa_exception_fp_denorm_src 0
		.amdhsa_exception_fp_ieee_div_zero 0
		.amdhsa_exception_fp_ieee_overflow 0
		.amdhsa_exception_fp_ieee_underflow 0
		.amdhsa_exception_fp_ieee_inexact 0
		.amdhsa_exception_int_div_zero 0
	.end_amdhsa_kernel
	.section	.text._ZN7rocprim17ROCPRIM_400000_NS6detail17trampoline_kernelINS0_14default_configENS1_35radix_sort_onesweep_config_selectorIbNS0_10empty_typeEEEZNS1_34radix_sort_onesweep_global_offsetsIS3_Lb1EPKbPS5_mNS0_19identity_decomposerEEE10hipError_tT1_T2_PT3_SF_jT4_jjP12ihipStream_tbEUlT_E0_NS1_11comp_targetILNS1_3genE4ELNS1_11target_archE910ELNS1_3gpuE8ELNS1_3repE0EEENS1_52radix_sort_onesweep_histogram_config_static_selectorELNS0_4arch9wavefront6targetE0EEEvSD_,"axG",@progbits,_ZN7rocprim17ROCPRIM_400000_NS6detail17trampoline_kernelINS0_14default_configENS1_35radix_sort_onesweep_config_selectorIbNS0_10empty_typeEEEZNS1_34radix_sort_onesweep_global_offsetsIS3_Lb1EPKbPS5_mNS0_19identity_decomposerEEE10hipError_tT1_T2_PT3_SF_jT4_jjP12ihipStream_tbEUlT_E0_NS1_11comp_targetILNS1_3genE4ELNS1_11target_archE910ELNS1_3gpuE8ELNS1_3repE0EEENS1_52radix_sort_onesweep_histogram_config_static_selectorELNS0_4arch9wavefront6targetE0EEEvSD_,comdat
.Lfunc_end1728:
	.size	_ZN7rocprim17ROCPRIM_400000_NS6detail17trampoline_kernelINS0_14default_configENS1_35radix_sort_onesweep_config_selectorIbNS0_10empty_typeEEEZNS1_34radix_sort_onesweep_global_offsetsIS3_Lb1EPKbPS5_mNS0_19identity_decomposerEEE10hipError_tT1_T2_PT3_SF_jT4_jjP12ihipStream_tbEUlT_E0_NS1_11comp_targetILNS1_3genE4ELNS1_11target_archE910ELNS1_3gpuE8ELNS1_3repE0EEENS1_52radix_sort_onesweep_histogram_config_static_selectorELNS0_4arch9wavefront6targetE0EEEvSD_, .Lfunc_end1728-_ZN7rocprim17ROCPRIM_400000_NS6detail17trampoline_kernelINS0_14default_configENS1_35radix_sort_onesweep_config_selectorIbNS0_10empty_typeEEEZNS1_34radix_sort_onesweep_global_offsetsIS3_Lb1EPKbPS5_mNS0_19identity_decomposerEEE10hipError_tT1_T2_PT3_SF_jT4_jjP12ihipStream_tbEUlT_E0_NS1_11comp_targetILNS1_3genE4ELNS1_11target_archE910ELNS1_3gpuE8ELNS1_3repE0EEENS1_52radix_sort_onesweep_histogram_config_static_selectorELNS0_4arch9wavefront6targetE0EEEvSD_
                                        ; -- End function
	.set _ZN7rocprim17ROCPRIM_400000_NS6detail17trampoline_kernelINS0_14default_configENS1_35radix_sort_onesweep_config_selectorIbNS0_10empty_typeEEEZNS1_34radix_sort_onesweep_global_offsetsIS3_Lb1EPKbPS5_mNS0_19identity_decomposerEEE10hipError_tT1_T2_PT3_SF_jT4_jjP12ihipStream_tbEUlT_E0_NS1_11comp_targetILNS1_3genE4ELNS1_11target_archE910ELNS1_3gpuE8ELNS1_3repE0EEENS1_52radix_sort_onesweep_histogram_config_static_selectorELNS0_4arch9wavefront6targetE0EEEvSD_.num_vgpr, 0
	.set _ZN7rocprim17ROCPRIM_400000_NS6detail17trampoline_kernelINS0_14default_configENS1_35radix_sort_onesweep_config_selectorIbNS0_10empty_typeEEEZNS1_34radix_sort_onesweep_global_offsetsIS3_Lb1EPKbPS5_mNS0_19identity_decomposerEEE10hipError_tT1_T2_PT3_SF_jT4_jjP12ihipStream_tbEUlT_E0_NS1_11comp_targetILNS1_3genE4ELNS1_11target_archE910ELNS1_3gpuE8ELNS1_3repE0EEENS1_52radix_sort_onesweep_histogram_config_static_selectorELNS0_4arch9wavefront6targetE0EEEvSD_.num_agpr, 0
	.set _ZN7rocprim17ROCPRIM_400000_NS6detail17trampoline_kernelINS0_14default_configENS1_35radix_sort_onesweep_config_selectorIbNS0_10empty_typeEEEZNS1_34radix_sort_onesweep_global_offsetsIS3_Lb1EPKbPS5_mNS0_19identity_decomposerEEE10hipError_tT1_T2_PT3_SF_jT4_jjP12ihipStream_tbEUlT_E0_NS1_11comp_targetILNS1_3genE4ELNS1_11target_archE910ELNS1_3gpuE8ELNS1_3repE0EEENS1_52radix_sort_onesweep_histogram_config_static_selectorELNS0_4arch9wavefront6targetE0EEEvSD_.numbered_sgpr, 0
	.set _ZN7rocprim17ROCPRIM_400000_NS6detail17trampoline_kernelINS0_14default_configENS1_35radix_sort_onesweep_config_selectorIbNS0_10empty_typeEEEZNS1_34radix_sort_onesweep_global_offsetsIS3_Lb1EPKbPS5_mNS0_19identity_decomposerEEE10hipError_tT1_T2_PT3_SF_jT4_jjP12ihipStream_tbEUlT_E0_NS1_11comp_targetILNS1_3genE4ELNS1_11target_archE910ELNS1_3gpuE8ELNS1_3repE0EEENS1_52radix_sort_onesweep_histogram_config_static_selectorELNS0_4arch9wavefront6targetE0EEEvSD_.num_named_barrier, 0
	.set _ZN7rocprim17ROCPRIM_400000_NS6detail17trampoline_kernelINS0_14default_configENS1_35radix_sort_onesweep_config_selectorIbNS0_10empty_typeEEEZNS1_34radix_sort_onesweep_global_offsetsIS3_Lb1EPKbPS5_mNS0_19identity_decomposerEEE10hipError_tT1_T2_PT3_SF_jT4_jjP12ihipStream_tbEUlT_E0_NS1_11comp_targetILNS1_3genE4ELNS1_11target_archE910ELNS1_3gpuE8ELNS1_3repE0EEENS1_52radix_sort_onesweep_histogram_config_static_selectorELNS0_4arch9wavefront6targetE0EEEvSD_.private_seg_size, 0
	.set _ZN7rocprim17ROCPRIM_400000_NS6detail17trampoline_kernelINS0_14default_configENS1_35radix_sort_onesweep_config_selectorIbNS0_10empty_typeEEEZNS1_34radix_sort_onesweep_global_offsetsIS3_Lb1EPKbPS5_mNS0_19identity_decomposerEEE10hipError_tT1_T2_PT3_SF_jT4_jjP12ihipStream_tbEUlT_E0_NS1_11comp_targetILNS1_3genE4ELNS1_11target_archE910ELNS1_3gpuE8ELNS1_3repE0EEENS1_52radix_sort_onesweep_histogram_config_static_selectorELNS0_4arch9wavefront6targetE0EEEvSD_.uses_vcc, 0
	.set _ZN7rocprim17ROCPRIM_400000_NS6detail17trampoline_kernelINS0_14default_configENS1_35radix_sort_onesweep_config_selectorIbNS0_10empty_typeEEEZNS1_34radix_sort_onesweep_global_offsetsIS3_Lb1EPKbPS5_mNS0_19identity_decomposerEEE10hipError_tT1_T2_PT3_SF_jT4_jjP12ihipStream_tbEUlT_E0_NS1_11comp_targetILNS1_3genE4ELNS1_11target_archE910ELNS1_3gpuE8ELNS1_3repE0EEENS1_52radix_sort_onesweep_histogram_config_static_selectorELNS0_4arch9wavefront6targetE0EEEvSD_.uses_flat_scratch, 0
	.set _ZN7rocprim17ROCPRIM_400000_NS6detail17trampoline_kernelINS0_14default_configENS1_35radix_sort_onesweep_config_selectorIbNS0_10empty_typeEEEZNS1_34radix_sort_onesweep_global_offsetsIS3_Lb1EPKbPS5_mNS0_19identity_decomposerEEE10hipError_tT1_T2_PT3_SF_jT4_jjP12ihipStream_tbEUlT_E0_NS1_11comp_targetILNS1_3genE4ELNS1_11target_archE910ELNS1_3gpuE8ELNS1_3repE0EEENS1_52radix_sort_onesweep_histogram_config_static_selectorELNS0_4arch9wavefront6targetE0EEEvSD_.has_dyn_sized_stack, 0
	.set _ZN7rocprim17ROCPRIM_400000_NS6detail17trampoline_kernelINS0_14default_configENS1_35radix_sort_onesweep_config_selectorIbNS0_10empty_typeEEEZNS1_34radix_sort_onesweep_global_offsetsIS3_Lb1EPKbPS5_mNS0_19identity_decomposerEEE10hipError_tT1_T2_PT3_SF_jT4_jjP12ihipStream_tbEUlT_E0_NS1_11comp_targetILNS1_3genE4ELNS1_11target_archE910ELNS1_3gpuE8ELNS1_3repE0EEENS1_52radix_sort_onesweep_histogram_config_static_selectorELNS0_4arch9wavefront6targetE0EEEvSD_.has_recursion, 0
	.set _ZN7rocprim17ROCPRIM_400000_NS6detail17trampoline_kernelINS0_14default_configENS1_35radix_sort_onesweep_config_selectorIbNS0_10empty_typeEEEZNS1_34radix_sort_onesweep_global_offsetsIS3_Lb1EPKbPS5_mNS0_19identity_decomposerEEE10hipError_tT1_T2_PT3_SF_jT4_jjP12ihipStream_tbEUlT_E0_NS1_11comp_targetILNS1_3genE4ELNS1_11target_archE910ELNS1_3gpuE8ELNS1_3repE0EEENS1_52radix_sort_onesweep_histogram_config_static_selectorELNS0_4arch9wavefront6targetE0EEEvSD_.has_indirect_call, 0
	.section	.AMDGPU.csdata,"",@progbits
; Kernel info:
; codeLenInByte = 0
; TotalNumSgprs: 0
; NumVgprs: 0
; ScratchSize: 0
; MemoryBound: 0
; FloatMode: 240
; IeeeMode: 1
; LDSByteSize: 0 bytes/workgroup (compile time only)
; SGPRBlocks: 0
; VGPRBlocks: 0
; NumSGPRsForWavesPerEU: 1
; NumVGPRsForWavesPerEU: 1
; NamedBarCnt: 0
; Occupancy: 16
; WaveLimiterHint : 0
; COMPUTE_PGM_RSRC2:SCRATCH_EN: 0
; COMPUTE_PGM_RSRC2:USER_SGPR: 2
; COMPUTE_PGM_RSRC2:TRAP_HANDLER: 0
; COMPUTE_PGM_RSRC2:TGID_X_EN: 1
; COMPUTE_PGM_RSRC2:TGID_Y_EN: 0
; COMPUTE_PGM_RSRC2:TGID_Z_EN: 0
; COMPUTE_PGM_RSRC2:TIDIG_COMP_CNT: 0
	.section	.text._ZN7rocprim17ROCPRIM_400000_NS6detail17trampoline_kernelINS0_14default_configENS1_35radix_sort_onesweep_config_selectorIbNS0_10empty_typeEEEZNS1_34radix_sort_onesweep_global_offsetsIS3_Lb1EPKbPS5_mNS0_19identity_decomposerEEE10hipError_tT1_T2_PT3_SF_jT4_jjP12ihipStream_tbEUlT_E0_NS1_11comp_targetILNS1_3genE3ELNS1_11target_archE908ELNS1_3gpuE7ELNS1_3repE0EEENS1_52radix_sort_onesweep_histogram_config_static_selectorELNS0_4arch9wavefront6targetE0EEEvSD_,"axG",@progbits,_ZN7rocprim17ROCPRIM_400000_NS6detail17trampoline_kernelINS0_14default_configENS1_35radix_sort_onesweep_config_selectorIbNS0_10empty_typeEEEZNS1_34radix_sort_onesweep_global_offsetsIS3_Lb1EPKbPS5_mNS0_19identity_decomposerEEE10hipError_tT1_T2_PT3_SF_jT4_jjP12ihipStream_tbEUlT_E0_NS1_11comp_targetILNS1_3genE3ELNS1_11target_archE908ELNS1_3gpuE7ELNS1_3repE0EEENS1_52radix_sort_onesweep_histogram_config_static_selectorELNS0_4arch9wavefront6targetE0EEEvSD_,comdat
	.protected	_ZN7rocprim17ROCPRIM_400000_NS6detail17trampoline_kernelINS0_14default_configENS1_35radix_sort_onesweep_config_selectorIbNS0_10empty_typeEEEZNS1_34radix_sort_onesweep_global_offsetsIS3_Lb1EPKbPS5_mNS0_19identity_decomposerEEE10hipError_tT1_T2_PT3_SF_jT4_jjP12ihipStream_tbEUlT_E0_NS1_11comp_targetILNS1_3genE3ELNS1_11target_archE908ELNS1_3gpuE7ELNS1_3repE0EEENS1_52radix_sort_onesweep_histogram_config_static_selectorELNS0_4arch9wavefront6targetE0EEEvSD_ ; -- Begin function _ZN7rocprim17ROCPRIM_400000_NS6detail17trampoline_kernelINS0_14default_configENS1_35radix_sort_onesweep_config_selectorIbNS0_10empty_typeEEEZNS1_34radix_sort_onesweep_global_offsetsIS3_Lb1EPKbPS5_mNS0_19identity_decomposerEEE10hipError_tT1_T2_PT3_SF_jT4_jjP12ihipStream_tbEUlT_E0_NS1_11comp_targetILNS1_3genE3ELNS1_11target_archE908ELNS1_3gpuE7ELNS1_3repE0EEENS1_52radix_sort_onesweep_histogram_config_static_selectorELNS0_4arch9wavefront6targetE0EEEvSD_
	.globl	_ZN7rocprim17ROCPRIM_400000_NS6detail17trampoline_kernelINS0_14default_configENS1_35radix_sort_onesweep_config_selectorIbNS0_10empty_typeEEEZNS1_34radix_sort_onesweep_global_offsetsIS3_Lb1EPKbPS5_mNS0_19identity_decomposerEEE10hipError_tT1_T2_PT3_SF_jT4_jjP12ihipStream_tbEUlT_E0_NS1_11comp_targetILNS1_3genE3ELNS1_11target_archE908ELNS1_3gpuE7ELNS1_3repE0EEENS1_52radix_sort_onesweep_histogram_config_static_selectorELNS0_4arch9wavefront6targetE0EEEvSD_
	.p2align	8
	.type	_ZN7rocprim17ROCPRIM_400000_NS6detail17trampoline_kernelINS0_14default_configENS1_35radix_sort_onesweep_config_selectorIbNS0_10empty_typeEEEZNS1_34radix_sort_onesweep_global_offsetsIS3_Lb1EPKbPS5_mNS0_19identity_decomposerEEE10hipError_tT1_T2_PT3_SF_jT4_jjP12ihipStream_tbEUlT_E0_NS1_11comp_targetILNS1_3genE3ELNS1_11target_archE908ELNS1_3gpuE7ELNS1_3repE0EEENS1_52radix_sort_onesweep_histogram_config_static_selectorELNS0_4arch9wavefront6targetE0EEEvSD_,@function
_ZN7rocprim17ROCPRIM_400000_NS6detail17trampoline_kernelINS0_14default_configENS1_35radix_sort_onesweep_config_selectorIbNS0_10empty_typeEEEZNS1_34radix_sort_onesweep_global_offsetsIS3_Lb1EPKbPS5_mNS0_19identity_decomposerEEE10hipError_tT1_T2_PT3_SF_jT4_jjP12ihipStream_tbEUlT_E0_NS1_11comp_targetILNS1_3genE3ELNS1_11target_archE908ELNS1_3gpuE7ELNS1_3repE0EEENS1_52radix_sort_onesweep_histogram_config_static_selectorELNS0_4arch9wavefront6targetE0EEEvSD_: ; @_ZN7rocprim17ROCPRIM_400000_NS6detail17trampoline_kernelINS0_14default_configENS1_35radix_sort_onesweep_config_selectorIbNS0_10empty_typeEEEZNS1_34radix_sort_onesweep_global_offsetsIS3_Lb1EPKbPS5_mNS0_19identity_decomposerEEE10hipError_tT1_T2_PT3_SF_jT4_jjP12ihipStream_tbEUlT_E0_NS1_11comp_targetILNS1_3genE3ELNS1_11target_archE908ELNS1_3gpuE7ELNS1_3repE0EEENS1_52radix_sort_onesweep_histogram_config_static_selectorELNS0_4arch9wavefront6targetE0EEEvSD_
; %bb.0:
	.section	.rodata,"a",@progbits
	.p2align	6, 0x0
	.amdhsa_kernel _ZN7rocprim17ROCPRIM_400000_NS6detail17trampoline_kernelINS0_14default_configENS1_35radix_sort_onesweep_config_selectorIbNS0_10empty_typeEEEZNS1_34radix_sort_onesweep_global_offsetsIS3_Lb1EPKbPS5_mNS0_19identity_decomposerEEE10hipError_tT1_T2_PT3_SF_jT4_jjP12ihipStream_tbEUlT_E0_NS1_11comp_targetILNS1_3genE3ELNS1_11target_archE908ELNS1_3gpuE7ELNS1_3repE0EEENS1_52radix_sort_onesweep_histogram_config_static_selectorELNS0_4arch9wavefront6targetE0EEEvSD_
		.amdhsa_group_segment_fixed_size 0
		.amdhsa_private_segment_fixed_size 0
		.amdhsa_kernarg_size 8
		.amdhsa_user_sgpr_count 2
		.amdhsa_user_sgpr_dispatch_ptr 0
		.amdhsa_user_sgpr_queue_ptr 0
		.amdhsa_user_sgpr_kernarg_segment_ptr 1
		.amdhsa_user_sgpr_dispatch_id 0
		.amdhsa_user_sgpr_kernarg_preload_length 0
		.amdhsa_user_sgpr_kernarg_preload_offset 0
		.amdhsa_user_sgpr_private_segment_size 0
		.amdhsa_wavefront_size32 1
		.amdhsa_uses_dynamic_stack 0
		.amdhsa_enable_private_segment 0
		.amdhsa_system_sgpr_workgroup_id_x 1
		.amdhsa_system_sgpr_workgroup_id_y 0
		.amdhsa_system_sgpr_workgroup_id_z 0
		.amdhsa_system_sgpr_workgroup_info 0
		.amdhsa_system_vgpr_workitem_id 0
		.amdhsa_next_free_vgpr 1
		.amdhsa_next_free_sgpr 1
		.amdhsa_named_barrier_count 0
		.amdhsa_reserve_vcc 0
		.amdhsa_float_round_mode_32 0
		.amdhsa_float_round_mode_16_64 0
		.amdhsa_float_denorm_mode_32 3
		.amdhsa_float_denorm_mode_16_64 3
		.amdhsa_fp16_overflow 0
		.amdhsa_memory_ordered 1
		.amdhsa_forward_progress 1
		.amdhsa_inst_pref_size 0
		.amdhsa_round_robin_scheduling 0
		.amdhsa_exception_fp_ieee_invalid_op 0
		.amdhsa_exception_fp_denorm_src 0
		.amdhsa_exception_fp_ieee_div_zero 0
		.amdhsa_exception_fp_ieee_overflow 0
		.amdhsa_exception_fp_ieee_underflow 0
		.amdhsa_exception_fp_ieee_inexact 0
		.amdhsa_exception_int_div_zero 0
	.end_amdhsa_kernel
	.section	.text._ZN7rocprim17ROCPRIM_400000_NS6detail17trampoline_kernelINS0_14default_configENS1_35radix_sort_onesweep_config_selectorIbNS0_10empty_typeEEEZNS1_34radix_sort_onesweep_global_offsetsIS3_Lb1EPKbPS5_mNS0_19identity_decomposerEEE10hipError_tT1_T2_PT3_SF_jT4_jjP12ihipStream_tbEUlT_E0_NS1_11comp_targetILNS1_3genE3ELNS1_11target_archE908ELNS1_3gpuE7ELNS1_3repE0EEENS1_52radix_sort_onesweep_histogram_config_static_selectorELNS0_4arch9wavefront6targetE0EEEvSD_,"axG",@progbits,_ZN7rocprim17ROCPRIM_400000_NS6detail17trampoline_kernelINS0_14default_configENS1_35radix_sort_onesweep_config_selectorIbNS0_10empty_typeEEEZNS1_34radix_sort_onesweep_global_offsetsIS3_Lb1EPKbPS5_mNS0_19identity_decomposerEEE10hipError_tT1_T2_PT3_SF_jT4_jjP12ihipStream_tbEUlT_E0_NS1_11comp_targetILNS1_3genE3ELNS1_11target_archE908ELNS1_3gpuE7ELNS1_3repE0EEENS1_52radix_sort_onesweep_histogram_config_static_selectorELNS0_4arch9wavefront6targetE0EEEvSD_,comdat
.Lfunc_end1729:
	.size	_ZN7rocprim17ROCPRIM_400000_NS6detail17trampoline_kernelINS0_14default_configENS1_35radix_sort_onesweep_config_selectorIbNS0_10empty_typeEEEZNS1_34radix_sort_onesweep_global_offsetsIS3_Lb1EPKbPS5_mNS0_19identity_decomposerEEE10hipError_tT1_T2_PT3_SF_jT4_jjP12ihipStream_tbEUlT_E0_NS1_11comp_targetILNS1_3genE3ELNS1_11target_archE908ELNS1_3gpuE7ELNS1_3repE0EEENS1_52radix_sort_onesweep_histogram_config_static_selectorELNS0_4arch9wavefront6targetE0EEEvSD_, .Lfunc_end1729-_ZN7rocprim17ROCPRIM_400000_NS6detail17trampoline_kernelINS0_14default_configENS1_35radix_sort_onesweep_config_selectorIbNS0_10empty_typeEEEZNS1_34radix_sort_onesweep_global_offsetsIS3_Lb1EPKbPS5_mNS0_19identity_decomposerEEE10hipError_tT1_T2_PT3_SF_jT4_jjP12ihipStream_tbEUlT_E0_NS1_11comp_targetILNS1_3genE3ELNS1_11target_archE908ELNS1_3gpuE7ELNS1_3repE0EEENS1_52radix_sort_onesweep_histogram_config_static_selectorELNS0_4arch9wavefront6targetE0EEEvSD_
                                        ; -- End function
	.set _ZN7rocprim17ROCPRIM_400000_NS6detail17trampoline_kernelINS0_14default_configENS1_35radix_sort_onesweep_config_selectorIbNS0_10empty_typeEEEZNS1_34radix_sort_onesweep_global_offsetsIS3_Lb1EPKbPS5_mNS0_19identity_decomposerEEE10hipError_tT1_T2_PT3_SF_jT4_jjP12ihipStream_tbEUlT_E0_NS1_11comp_targetILNS1_3genE3ELNS1_11target_archE908ELNS1_3gpuE7ELNS1_3repE0EEENS1_52radix_sort_onesweep_histogram_config_static_selectorELNS0_4arch9wavefront6targetE0EEEvSD_.num_vgpr, 0
	.set _ZN7rocprim17ROCPRIM_400000_NS6detail17trampoline_kernelINS0_14default_configENS1_35radix_sort_onesweep_config_selectorIbNS0_10empty_typeEEEZNS1_34radix_sort_onesweep_global_offsetsIS3_Lb1EPKbPS5_mNS0_19identity_decomposerEEE10hipError_tT1_T2_PT3_SF_jT4_jjP12ihipStream_tbEUlT_E0_NS1_11comp_targetILNS1_3genE3ELNS1_11target_archE908ELNS1_3gpuE7ELNS1_3repE0EEENS1_52radix_sort_onesweep_histogram_config_static_selectorELNS0_4arch9wavefront6targetE0EEEvSD_.num_agpr, 0
	.set _ZN7rocprim17ROCPRIM_400000_NS6detail17trampoline_kernelINS0_14default_configENS1_35radix_sort_onesweep_config_selectorIbNS0_10empty_typeEEEZNS1_34radix_sort_onesweep_global_offsetsIS3_Lb1EPKbPS5_mNS0_19identity_decomposerEEE10hipError_tT1_T2_PT3_SF_jT4_jjP12ihipStream_tbEUlT_E0_NS1_11comp_targetILNS1_3genE3ELNS1_11target_archE908ELNS1_3gpuE7ELNS1_3repE0EEENS1_52radix_sort_onesweep_histogram_config_static_selectorELNS0_4arch9wavefront6targetE0EEEvSD_.numbered_sgpr, 0
	.set _ZN7rocprim17ROCPRIM_400000_NS6detail17trampoline_kernelINS0_14default_configENS1_35radix_sort_onesweep_config_selectorIbNS0_10empty_typeEEEZNS1_34radix_sort_onesweep_global_offsetsIS3_Lb1EPKbPS5_mNS0_19identity_decomposerEEE10hipError_tT1_T2_PT3_SF_jT4_jjP12ihipStream_tbEUlT_E0_NS1_11comp_targetILNS1_3genE3ELNS1_11target_archE908ELNS1_3gpuE7ELNS1_3repE0EEENS1_52radix_sort_onesweep_histogram_config_static_selectorELNS0_4arch9wavefront6targetE0EEEvSD_.num_named_barrier, 0
	.set _ZN7rocprim17ROCPRIM_400000_NS6detail17trampoline_kernelINS0_14default_configENS1_35radix_sort_onesweep_config_selectorIbNS0_10empty_typeEEEZNS1_34radix_sort_onesweep_global_offsetsIS3_Lb1EPKbPS5_mNS0_19identity_decomposerEEE10hipError_tT1_T2_PT3_SF_jT4_jjP12ihipStream_tbEUlT_E0_NS1_11comp_targetILNS1_3genE3ELNS1_11target_archE908ELNS1_3gpuE7ELNS1_3repE0EEENS1_52radix_sort_onesweep_histogram_config_static_selectorELNS0_4arch9wavefront6targetE0EEEvSD_.private_seg_size, 0
	.set _ZN7rocprim17ROCPRIM_400000_NS6detail17trampoline_kernelINS0_14default_configENS1_35radix_sort_onesweep_config_selectorIbNS0_10empty_typeEEEZNS1_34radix_sort_onesweep_global_offsetsIS3_Lb1EPKbPS5_mNS0_19identity_decomposerEEE10hipError_tT1_T2_PT3_SF_jT4_jjP12ihipStream_tbEUlT_E0_NS1_11comp_targetILNS1_3genE3ELNS1_11target_archE908ELNS1_3gpuE7ELNS1_3repE0EEENS1_52radix_sort_onesweep_histogram_config_static_selectorELNS0_4arch9wavefront6targetE0EEEvSD_.uses_vcc, 0
	.set _ZN7rocprim17ROCPRIM_400000_NS6detail17trampoline_kernelINS0_14default_configENS1_35radix_sort_onesweep_config_selectorIbNS0_10empty_typeEEEZNS1_34radix_sort_onesweep_global_offsetsIS3_Lb1EPKbPS5_mNS0_19identity_decomposerEEE10hipError_tT1_T2_PT3_SF_jT4_jjP12ihipStream_tbEUlT_E0_NS1_11comp_targetILNS1_3genE3ELNS1_11target_archE908ELNS1_3gpuE7ELNS1_3repE0EEENS1_52radix_sort_onesweep_histogram_config_static_selectorELNS0_4arch9wavefront6targetE0EEEvSD_.uses_flat_scratch, 0
	.set _ZN7rocprim17ROCPRIM_400000_NS6detail17trampoline_kernelINS0_14default_configENS1_35radix_sort_onesweep_config_selectorIbNS0_10empty_typeEEEZNS1_34radix_sort_onesweep_global_offsetsIS3_Lb1EPKbPS5_mNS0_19identity_decomposerEEE10hipError_tT1_T2_PT3_SF_jT4_jjP12ihipStream_tbEUlT_E0_NS1_11comp_targetILNS1_3genE3ELNS1_11target_archE908ELNS1_3gpuE7ELNS1_3repE0EEENS1_52radix_sort_onesweep_histogram_config_static_selectorELNS0_4arch9wavefront6targetE0EEEvSD_.has_dyn_sized_stack, 0
	.set _ZN7rocprim17ROCPRIM_400000_NS6detail17trampoline_kernelINS0_14default_configENS1_35radix_sort_onesweep_config_selectorIbNS0_10empty_typeEEEZNS1_34radix_sort_onesweep_global_offsetsIS3_Lb1EPKbPS5_mNS0_19identity_decomposerEEE10hipError_tT1_T2_PT3_SF_jT4_jjP12ihipStream_tbEUlT_E0_NS1_11comp_targetILNS1_3genE3ELNS1_11target_archE908ELNS1_3gpuE7ELNS1_3repE0EEENS1_52radix_sort_onesweep_histogram_config_static_selectorELNS0_4arch9wavefront6targetE0EEEvSD_.has_recursion, 0
	.set _ZN7rocprim17ROCPRIM_400000_NS6detail17trampoline_kernelINS0_14default_configENS1_35radix_sort_onesweep_config_selectorIbNS0_10empty_typeEEEZNS1_34radix_sort_onesweep_global_offsetsIS3_Lb1EPKbPS5_mNS0_19identity_decomposerEEE10hipError_tT1_T2_PT3_SF_jT4_jjP12ihipStream_tbEUlT_E0_NS1_11comp_targetILNS1_3genE3ELNS1_11target_archE908ELNS1_3gpuE7ELNS1_3repE0EEENS1_52radix_sort_onesweep_histogram_config_static_selectorELNS0_4arch9wavefront6targetE0EEEvSD_.has_indirect_call, 0
	.section	.AMDGPU.csdata,"",@progbits
; Kernel info:
; codeLenInByte = 0
; TotalNumSgprs: 0
; NumVgprs: 0
; ScratchSize: 0
; MemoryBound: 0
; FloatMode: 240
; IeeeMode: 1
; LDSByteSize: 0 bytes/workgroup (compile time only)
; SGPRBlocks: 0
; VGPRBlocks: 0
; NumSGPRsForWavesPerEU: 1
; NumVGPRsForWavesPerEU: 1
; NamedBarCnt: 0
; Occupancy: 16
; WaveLimiterHint : 0
; COMPUTE_PGM_RSRC2:SCRATCH_EN: 0
; COMPUTE_PGM_RSRC2:USER_SGPR: 2
; COMPUTE_PGM_RSRC2:TRAP_HANDLER: 0
; COMPUTE_PGM_RSRC2:TGID_X_EN: 1
; COMPUTE_PGM_RSRC2:TGID_Y_EN: 0
; COMPUTE_PGM_RSRC2:TGID_Z_EN: 0
; COMPUTE_PGM_RSRC2:TIDIG_COMP_CNT: 0
	.section	.text._ZN7rocprim17ROCPRIM_400000_NS6detail17trampoline_kernelINS0_14default_configENS1_35radix_sort_onesweep_config_selectorIbNS0_10empty_typeEEEZNS1_34radix_sort_onesweep_global_offsetsIS3_Lb1EPKbPS5_mNS0_19identity_decomposerEEE10hipError_tT1_T2_PT3_SF_jT4_jjP12ihipStream_tbEUlT_E0_NS1_11comp_targetILNS1_3genE10ELNS1_11target_archE1201ELNS1_3gpuE5ELNS1_3repE0EEENS1_52radix_sort_onesweep_histogram_config_static_selectorELNS0_4arch9wavefront6targetE0EEEvSD_,"axG",@progbits,_ZN7rocprim17ROCPRIM_400000_NS6detail17trampoline_kernelINS0_14default_configENS1_35radix_sort_onesweep_config_selectorIbNS0_10empty_typeEEEZNS1_34radix_sort_onesweep_global_offsetsIS3_Lb1EPKbPS5_mNS0_19identity_decomposerEEE10hipError_tT1_T2_PT3_SF_jT4_jjP12ihipStream_tbEUlT_E0_NS1_11comp_targetILNS1_3genE10ELNS1_11target_archE1201ELNS1_3gpuE5ELNS1_3repE0EEENS1_52radix_sort_onesweep_histogram_config_static_selectorELNS0_4arch9wavefront6targetE0EEEvSD_,comdat
	.protected	_ZN7rocprim17ROCPRIM_400000_NS6detail17trampoline_kernelINS0_14default_configENS1_35radix_sort_onesweep_config_selectorIbNS0_10empty_typeEEEZNS1_34radix_sort_onesweep_global_offsetsIS3_Lb1EPKbPS5_mNS0_19identity_decomposerEEE10hipError_tT1_T2_PT3_SF_jT4_jjP12ihipStream_tbEUlT_E0_NS1_11comp_targetILNS1_3genE10ELNS1_11target_archE1201ELNS1_3gpuE5ELNS1_3repE0EEENS1_52radix_sort_onesweep_histogram_config_static_selectorELNS0_4arch9wavefront6targetE0EEEvSD_ ; -- Begin function _ZN7rocprim17ROCPRIM_400000_NS6detail17trampoline_kernelINS0_14default_configENS1_35radix_sort_onesweep_config_selectorIbNS0_10empty_typeEEEZNS1_34radix_sort_onesweep_global_offsetsIS3_Lb1EPKbPS5_mNS0_19identity_decomposerEEE10hipError_tT1_T2_PT3_SF_jT4_jjP12ihipStream_tbEUlT_E0_NS1_11comp_targetILNS1_3genE10ELNS1_11target_archE1201ELNS1_3gpuE5ELNS1_3repE0EEENS1_52radix_sort_onesweep_histogram_config_static_selectorELNS0_4arch9wavefront6targetE0EEEvSD_
	.globl	_ZN7rocprim17ROCPRIM_400000_NS6detail17trampoline_kernelINS0_14default_configENS1_35radix_sort_onesweep_config_selectorIbNS0_10empty_typeEEEZNS1_34radix_sort_onesweep_global_offsetsIS3_Lb1EPKbPS5_mNS0_19identity_decomposerEEE10hipError_tT1_T2_PT3_SF_jT4_jjP12ihipStream_tbEUlT_E0_NS1_11comp_targetILNS1_3genE10ELNS1_11target_archE1201ELNS1_3gpuE5ELNS1_3repE0EEENS1_52radix_sort_onesweep_histogram_config_static_selectorELNS0_4arch9wavefront6targetE0EEEvSD_
	.p2align	8
	.type	_ZN7rocprim17ROCPRIM_400000_NS6detail17trampoline_kernelINS0_14default_configENS1_35radix_sort_onesweep_config_selectorIbNS0_10empty_typeEEEZNS1_34radix_sort_onesweep_global_offsetsIS3_Lb1EPKbPS5_mNS0_19identity_decomposerEEE10hipError_tT1_T2_PT3_SF_jT4_jjP12ihipStream_tbEUlT_E0_NS1_11comp_targetILNS1_3genE10ELNS1_11target_archE1201ELNS1_3gpuE5ELNS1_3repE0EEENS1_52radix_sort_onesweep_histogram_config_static_selectorELNS0_4arch9wavefront6targetE0EEEvSD_,@function
_ZN7rocprim17ROCPRIM_400000_NS6detail17trampoline_kernelINS0_14default_configENS1_35radix_sort_onesweep_config_selectorIbNS0_10empty_typeEEEZNS1_34radix_sort_onesweep_global_offsetsIS3_Lb1EPKbPS5_mNS0_19identity_decomposerEEE10hipError_tT1_T2_PT3_SF_jT4_jjP12ihipStream_tbEUlT_E0_NS1_11comp_targetILNS1_3genE10ELNS1_11target_archE1201ELNS1_3gpuE5ELNS1_3repE0EEENS1_52radix_sort_onesweep_histogram_config_static_selectorELNS0_4arch9wavefront6targetE0EEEvSD_: ; @_ZN7rocprim17ROCPRIM_400000_NS6detail17trampoline_kernelINS0_14default_configENS1_35radix_sort_onesweep_config_selectorIbNS0_10empty_typeEEEZNS1_34radix_sort_onesweep_global_offsetsIS3_Lb1EPKbPS5_mNS0_19identity_decomposerEEE10hipError_tT1_T2_PT3_SF_jT4_jjP12ihipStream_tbEUlT_E0_NS1_11comp_targetILNS1_3genE10ELNS1_11target_archE1201ELNS1_3gpuE5ELNS1_3repE0EEENS1_52radix_sort_onesweep_histogram_config_static_selectorELNS0_4arch9wavefront6targetE0EEEvSD_
; %bb.0:
	.section	.rodata,"a",@progbits
	.p2align	6, 0x0
	.amdhsa_kernel _ZN7rocprim17ROCPRIM_400000_NS6detail17trampoline_kernelINS0_14default_configENS1_35radix_sort_onesweep_config_selectorIbNS0_10empty_typeEEEZNS1_34radix_sort_onesweep_global_offsetsIS3_Lb1EPKbPS5_mNS0_19identity_decomposerEEE10hipError_tT1_T2_PT3_SF_jT4_jjP12ihipStream_tbEUlT_E0_NS1_11comp_targetILNS1_3genE10ELNS1_11target_archE1201ELNS1_3gpuE5ELNS1_3repE0EEENS1_52radix_sort_onesweep_histogram_config_static_selectorELNS0_4arch9wavefront6targetE0EEEvSD_
		.amdhsa_group_segment_fixed_size 0
		.amdhsa_private_segment_fixed_size 0
		.amdhsa_kernarg_size 8
		.amdhsa_user_sgpr_count 2
		.amdhsa_user_sgpr_dispatch_ptr 0
		.amdhsa_user_sgpr_queue_ptr 0
		.amdhsa_user_sgpr_kernarg_segment_ptr 1
		.amdhsa_user_sgpr_dispatch_id 0
		.amdhsa_user_sgpr_kernarg_preload_length 0
		.amdhsa_user_sgpr_kernarg_preload_offset 0
		.amdhsa_user_sgpr_private_segment_size 0
		.amdhsa_wavefront_size32 1
		.amdhsa_uses_dynamic_stack 0
		.amdhsa_enable_private_segment 0
		.amdhsa_system_sgpr_workgroup_id_x 1
		.amdhsa_system_sgpr_workgroup_id_y 0
		.amdhsa_system_sgpr_workgroup_id_z 0
		.amdhsa_system_sgpr_workgroup_info 0
		.amdhsa_system_vgpr_workitem_id 0
		.amdhsa_next_free_vgpr 1
		.amdhsa_next_free_sgpr 1
		.amdhsa_named_barrier_count 0
		.amdhsa_reserve_vcc 0
		.amdhsa_float_round_mode_32 0
		.amdhsa_float_round_mode_16_64 0
		.amdhsa_float_denorm_mode_32 3
		.amdhsa_float_denorm_mode_16_64 3
		.amdhsa_fp16_overflow 0
		.amdhsa_memory_ordered 1
		.amdhsa_forward_progress 1
		.amdhsa_inst_pref_size 0
		.amdhsa_round_robin_scheduling 0
		.amdhsa_exception_fp_ieee_invalid_op 0
		.amdhsa_exception_fp_denorm_src 0
		.amdhsa_exception_fp_ieee_div_zero 0
		.amdhsa_exception_fp_ieee_overflow 0
		.amdhsa_exception_fp_ieee_underflow 0
		.amdhsa_exception_fp_ieee_inexact 0
		.amdhsa_exception_int_div_zero 0
	.end_amdhsa_kernel
	.section	.text._ZN7rocprim17ROCPRIM_400000_NS6detail17trampoline_kernelINS0_14default_configENS1_35radix_sort_onesweep_config_selectorIbNS0_10empty_typeEEEZNS1_34radix_sort_onesweep_global_offsetsIS3_Lb1EPKbPS5_mNS0_19identity_decomposerEEE10hipError_tT1_T2_PT3_SF_jT4_jjP12ihipStream_tbEUlT_E0_NS1_11comp_targetILNS1_3genE10ELNS1_11target_archE1201ELNS1_3gpuE5ELNS1_3repE0EEENS1_52radix_sort_onesweep_histogram_config_static_selectorELNS0_4arch9wavefront6targetE0EEEvSD_,"axG",@progbits,_ZN7rocprim17ROCPRIM_400000_NS6detail17trampoline_kernelINS0_14default_configENS1_35radix_sort_onesweep_config_selectorIbNS0_10empty_typeEEEZNS1_34radix_sort_onesweep_global_offsetsIS3_Lb1EPKbPS5_mNS0_19identity_decomposerEEE10hipError_tT1_T2_PT3_SF_jT4_jjP12ihipStream_tbEUlT_E0_NS1_11comp_targetILNS1_3genE10ELNS1_11target_archE1201ELNS1_3gpuE5ELNS1_3repE0EEENS1_52radix_sort_onesweep_histogram_config_static_selectorELNS0_4arch9wavefront6targetE0EEEvSD_,comdat
.Lfunc_end1730:
	.size	_ZN7rocprim17ROCPRIM_400000_NS6detail17trampoline_kernelINS0_14default_configENS1_35radix_sort_onesweep_config_selectorIbNS0_10empty_typeEEEZNS1_34radix_sort_onesweep_global_offsetsIS3_Lb1EPKbPS5_mNS0_19identity_decomposerEEE10hipError_tT1_T2_PT3_SF_jT4_jjP12ihipStream_tbEUlT_E0_NS1_11comp_targetILNS1_3genE10ELNS1_11target_archE1201ELNS1_3gpuE5ELNS1_3repE0EEENS1_52radix_sort_onesweep_histogram_config_static_selectorELNS0_4arch9wavefront6targetE0EEEvSD_, .Lfunc_end1730-_ZN7rocprim17ROCPRIM_400000_NS6detail17trampoline_kernelINS0_14default_configENS1_35radix_sort_onesweep_config_selectorIbNS0_10empty_typeEEEZNS1_34radix_sort_onesweep_global_offsetsIS3_Lb1EPKbPS5_mNS0_19identity_decomposerEEE10hipError_tT1_T2_PT3_SF_jT4_jjP12ihipStream_tbEUlT_E0_NS1_11comp_targetILNS1_3genE10ELNS1_11target_archE1201ELNS1_3gpuE5ELNS1_3repE0EEENS1_52radix_sort_onesweep_histogram_config_static_selectorELNS0_4arch9wavefront6targetE0EEEvSD_
                                        ; -- End function
	.set _ZN7rocprim17ROCPRIM_400000_NS6detail17trampoline_kernelINS0_14default_configENS1_35radix_sort_onesweep_config_selectorIbNS0_10empty_typeEEEZNS1_34radix_sort_onesweep_global_offsetsIS3_Lb1EPKbPS5_mNS0_19identity_decomposerEEE10hipError_tT1_T2_PT3_SF_jT4_jjP12ihipStream_tbEUlT_E0_NS1_11comp_targetILNS1_3genE10ELNS1_11target_archE1201ELNS1_3gpuE5ELNS1_3repE0EEENS1_52radix_sort_onesweep_histogram_config_static_selectorELNS0_4arch9wavefront6targetE0EEEvSD_.num_vgpr, 0
	.set _ZN7rocprim17ROCPRIM_400000_NS6detail17trampoline_kernelINS0_14default_configENS1_35radix_sort_onesweep_config_selectorIbNS0_10empty_typeEEEZNS1_34radix_sort_onesweep_global_offsetsIS3_Lb1EPKbPS5_mNS0_19identity_decomposerEEE10hipError_tT1_T2_PT3_SF_jT4_jjP12ihipStream_tbEUlT_E0_NS1_11comp_targetILNS1_3genE10ELNS1_11target_archE1201ELNS1_3gpuE5ELNS1_3repE0EEENS1_52radix_sort_onesweep_histogram_config_static_selectorELNS0_4arch9wavefront6targetE0EEEvSD_.num_agpr, 0
	.set _ZN7rocprim17ROCPRIM_400000_NS6detail17trampoline_kernelINS0_14default_configENS1_35radix_sort_onesweep_config_selectorIbNS0_10empty_typeEEEZNS1_34radix_sort_onesweep_global_offsetsIS3_Lb1EPKbPS5_mNS0_19identity_decomposerEEE10hipError_tT1_T2_PT3_SF_jT4_jjP12ihipStream_tbEUlT_E0_NS1_11comp_targetILNS1_3genE10ELNS1_11target_archE1201ELNS1_3gpuE5ELNS1_3repE0EEENS1_52radix_sort_onesweep_histogram_config_static_selectorELNS0_4arch9wavefront6targetE0EEEvSD_.numbered_sgpr, 0
	.set _ZN7rocprim17ROCPRIM_400000_NS6detail17trampoline_kernelINS0_14default_configENS1_35radix_sort_onesweep_config_selectorIbNS0_10empty_typeEEEZNS1_34radix_sort_onesweep_global_offsetsIS3_Lb1EPKbPS5_mNS0_19identity_decomposerEEE10hipError_tT1_T2_PT3_SF_jT4_jjP12ihipStream_tbEUlT_E0_NS1_11comp_targetILNS1_3genE10ELNS1_11target_archE1201ELNS1_3gpuE5ELNS1_3repE0EEENS1_52radix_sort_onesweep_histogram_config_static_selectorELNS0_4arch9wavefront6targetE0EEEvSD_.num_named_barrier, 0
	.set _ZN7rocprim17ROCPRIM_400000_NS6detail17trampoline_kernelINS0_14default_configENS1_35radix_sort_onesweep_config_selectorIbNS0_10empty_typeEEEZNS1_34radix_sort_onesweep_global_offsetsIS3_Lb1EPKbPS5_mNS0_19identity_decomposerEEE10hipError_tT1_T2_PT3_SF_jT4_jjP12ihipStream_tbEUlT_E0_NS1_11comp_targetILNS1_3genE10ELNS1_11target_archE1201ELNS1_3gpuE5ELNS1_3repE0EEENS1_52radix_sort_onesweep_histogram_config_static_selectorELNS0_4arch9wavefront6targetE0EEEvSD_.private_seg_size, 0
	.set _ZN7rocprim17ROCPRIM_400000_NS6detail17trampoline_kernelINS0_14default_configENS1_35radix_sort_onesweep_config_selectorIbNS0_10empty_typeEEEZNS1_34radix_sort_onesweep_global_offsetsIS3_Lb1EPKbPS5_mNS0_19identity_decomposerEEE10hipError_tT1_T2_PT3_SF_jT4_jjP12ihipStream_tbEUlT_E0_NS1_11comp_targetILNS1_3genE10ELNS1_11target_archE1201ELNS1_3gpuE5ELNS1_3repE0EEENS1_52radix_sort_onesweep_histogram_config_static_selectorELNS0_4arch9wavefront6targetE0EEEvSD_.uses_vcc, 0
	.set _ZN7rocprim17ROCPRIM_400000_NS6detail17trampoline_kernelINS0_14default_configENS1_35radix_sort_onesweep_config_selectorIbNS0_10empty_typeEEEZNS1_34radix_sort_onesweep_global_offsetsIS3_Lb1EPKbPS5_mNS0_19identity_decomposerEEE10hipError_tT1_T2_PT3_SF_jT4_jjP12ihipStream_tbEUlT_E0_NS1_11comp_targetILNS1_3genE10ELNS1_11target_archE1201ELNS1_3gpuE5ELNS1_3repE0EEENS1_52radix_sort_onesweep_histogram_config_static_selectorELNS0_4arch9wavefront6targetE0EEEvSD_.uses_flat_scratch, 0
	.set _ZN7rocprim17ROCPRIM_400000_NS6detail17trampoline_kernelINS0_14default_configENS1_35radix_sort_onesweep_config_selectorIbNS0_10empty_typeEEEZNS1_34radix_sort_onesweep_global_offsetsIS3_Lb1EPKbPS5_mNS0_19identity_decomposerEEE10hipError_tT1_T2_PT3_SF_jT4_jjP12ihipStream_tbEUlT_E0_NS1_11comp_targetILNS1_3genE10ELNS1_11target_archE1201ELNS1_3gpuE5ELNS1_3repE0EEENS1_52radix_sort_onesweep_histogram_config_static_selectorELNS0_4arch9wavefront6targetE0EEEvSD_.has_dyn_sized_stack, 0
	.set _ZN7rocprim17ROCPRIM_400000_NS6detail17trampoline_kernelINS0_14default_configENS1_35radix_sort_onesweep_config_selectorIbNS0_10empty_typeEEEZNS1_34radix_sort_onesweep_global_offsetsIS3_Lb1EPKbPS5_mNS0_19identity_decomposerEEE10hipError_tT1_T2_PT3_SF_jT4_jjP12ihipStream_tbEUlT_E0_NS1_11comp_targetILNS1_3genE10ELNS1_11target_archE1201ELNS1_3gpuE5ELNS1_3repE0EEENS1_52radix_sort_onesweep_histogram_config_static_selectorELNS0_4arch9wavefront6targetE0EEEvSD_.has_recursion, 0
	.set _ZN7rocprim17ROCPRIM_400000_NS6detail17trampoline_kernelINS0_14default_configENS1_35radix_sort_onesweep_config_selectorIbNS0_10empty_typeEEEZNS1_34radix_sort_onesweep_global_offsetsIS3_Lb1EPKbPS5_mNS0_19identity_decomposerEEE10hipError_tT1_T2_PT3_SF_jT4_jjP12ihipStream_tbEUlT_E0_NS1_11comp_targetILNS1_3genE10ELNS1_11target_archE1201ELNS1_3gpuE5ELNS1_3repE0EEENS1_52radix_sort_onesweep_histogram_config_static_selectorELNS0_4arch9wavefront6targetE0EEEvSD_.has_indirect_call, 0
	.section	.AMDGPU.csdata,"",@progbits
; Kernel info:
; codeLenInByte = 0
; TotalNumSgprs: 0
; NumVgprs: 0
; ScratchSize: 0
; MemoryBound: 0
; FloatMode: 240
; IeeeMode: 1
; LDSByteSize: 0 bytes/workgroup (compile time only)
; SGPRBlocks: 0
; VGPRBlocks: 0
; NumSGPRsForWavesPerEU: 1
; NumVGPRsForWavesPerEU: 1
; NamedBarCnt: 0
; Occupancy: 16
; WaveLimiterHint : 0
; COMPUTE_PGM_RSRC2:SCRATCH_EN: 0
; COMPUTE_PGM_RSRC2:USER_SGPR: 2
; COMPUTE_PGM_RSRC2:TRAP_HANDLER: 0
; COMPUTE_PGM_RSRC2:TGID_X_EN: 1
; COMPUTE_PGM_RSRC2:TGID_Y_EN: 0
; COMPUTE_PGM_RSRC2:TGID_Z_EN: 0
; COMPUTE_PGM_RSRC2:TIDIG_COMP_CNT: 0
	.section	.text._ZN7rocprim17ROCPRIM_400000_NS6detail17trampoline_kernelINS0_14default_configENS1_35radix_sort_onesweep_config_selectorIbNS0_10empty_typeEEEZNS1_34radix_sort_onesweep_global_offsetsIS3_Lb1EPKbPS5_mNS0_19identity_decomposerEEE10hipError_tT1_T2_PT3_SF_jT4_jjP12ihipStream_tbEUlT_E0_NS1_11comp_targetILNS1_3genE9ELNS1_11target_archE1100ELNS1_3gpuE3ELNS1_3repE0EEENS1_52radix_sort_onesweep_histogram_config_static_selectorELNS0_4arch9wavefront6targetE0EEEvSD_,"axG",@progbits,_ZN7rocprim17ROCPRIM_400000_NS6detail17trampoline_kernelINS0_14default_configENS1_35radix_sort_onesweep_config_selectorIbNS0_10empty_typeEEEZNS1_34radix_sort_onesweep_global_offsetsIS3_Lb1EPKbPS5_mNS0_19identity_decomposerEEE10hipError_tT1_T2_PT3_SF_jT4_jjP12ihipStream_tbEUlT_E0_NS1_11comp_targetILNS1_3genE9ELNS1_11target_archE1100ELNS1_3gpuE3ELNS1_3repE0EEENS1_52radix_sort_onesweep_histogram_config_static_selectorELNS0_4arch9wavefront6targetE0EEEvSD_,comdat
	.protected	_ZN7rocprim17ROCPRIM_400000_NS6detail17trampoline_kernelINS0_14default_configENS1_35radix_sort_onesweep_config_selectorIbNS0_10empty_typeEEEZNS1_34radix_sort_onesweep_global_offsetsIS3_Lb1EPKbPS5_mNS0_19identity_decomposerEEE10hipError_tT1_T2_PT3_SF_jT4_jjP12ihipStream_tbEUlT_E0_NS1_11comp_targetILNS1_3genE9ELNS1_11target_archE1100ELNS1_3gpuE3ELNS1_3repE0EEENS1_52radix_sort_onesweep_histogram_config_static_selectorELNS0_4arch9wavefront6targetE0EEEvSD_ ; -- Begin function _ZN7rocprim17ROCPRIM_400000_NS6detail17trampoline_kernelINS0_14default_configENS1_35radix_sort_onesweep_config_selectorIbNS0_10empty_typeEEEZNS1_34radix_sort_onesweep_global_offsetsIS3_Lb1EPKbPS5_mNS0_19identity_decomposerEEE10hipError_tT1_T2_PT3_SF_jT4_jjP12ihipStream_tbEUlT_E0_NS1_11comp_targetILNS1_3genE9ELNS1_11target_archE1100ELNS1_3gpuE3ELNS1_3repE0EEENS1_52radix_sort_onesweep_histogram_config_static_selectorELNS0_4arch9wavefront6targetE0EEEvSD_
	.globl	_ZN7rocprim17ROCPRIM_400000_NS6detail17trampoline_kernelINS0_14default_configENS1_35radix_sort_onesweep_config_selectorIbNS0_10empty_typeEEEZNS1_34radix_sort_onesweep_global_offsetsIS3_Lb1EPKbPS5_mNS0_19identity_decomposerEEE10hipError_tT1_T2_PT3_SF_jT4_jjP12ihipStream_tbEUlT_E0_NS1_11comp_targetILNS1_3genE9ELNS1_11target_archE1100ELNS1_3gpuE3ELNS1_3repE0EEENS1_52radix_sort_onesweep_histogram_config_static_selectorELNS0_4arch9wavefront6targetE0EEEvSD_
	.p2align	8
	.type	_ZN7rocprim17ROCPRIM_400000_NS6detail17trampoline_kernelINS0_14default_configENS1_35radix_sort_onesweep_config_selectorIbNS0_10empty_typeEEEZNS1_34radix_sort_onesweep_global_offsetsIS3_Lb1EPKbPS5_mNS0_19identity_decomposerEEE10hipError_tT1_T2_PT3_SF_jT4_jjP12ihipStream_tbEUlT_E0_NS1_11comp_targetILNS1_3genE9ELNS1_11target_archE1100ELNS1_3gpuE3ELNS1_3repE0EEENS1_52radix_sort_onesweep_histogram_config_static_selectorELNS0_4arch9wavefront6targetE0EEEvSD_,@function
_ZN7rocprim17ROCPRIM_400000_NS6detail17trampoline_kernelINS0_14default_configENS1_35radix_sort_onesweep_config_selectorIbNS0_10empty_typeEEEZNS1_34radix_sort_onesweep_global_offsetsIS3_Lb1EPKbPS5_mNS0_19identity_decomposerEEE10hipError_tT1_T2_PT3_SF_jT4_jjP12ihipStream_tbEUlT_E0_NS1_11comp_targetILNS1_3genE9ELNS1_11target_archE1100ELNS1_3gpuE3ELNS1_3repE0EEENS1_52radix_sort_onesweep_histogram_config_static_selectorELNS0_4arch9wavefront6targetE0EEEvSD_: ; @_ZN7rocprim17ROCPRIM_400000_NS6detail17trampoline_kernelINS0_14default_configENS1_35radix_sort_onesweep_config_selectorIbNS0_10empty_typeEEEZNS1_34radix_sort_onesweep_global_offsetsIS3_Lb1EPKbPS5_mNS0_19identity_decomposerEEE10hipError_tT1_T2_PT3_SF_jT4_jjP12ihipStream_tbEUlT_E0_NS1_11comp_targetILNS1_3genE9ELNS1_11target_archE1100ELNS1_3gpuE3ELNS1_3repE0EEENS1_52radix_sort_onesweep_histogram_config_static_selectorELNS0_4arch9wavefront6targetE0EEEvSD_
; %bb.0:
	.section	.rodata,"a",@progbits
	.p2align	6, 0x0
	.amdhsa_kernel _ZN7rocprim17ROCPRIM_400000_NS6detail17trampoline_kernelINS0_14default_configENS1_35radix_sort_onesweep_config_selectorIbNS0_10empty_typeEEEZNS1_34radix_sort_onesweep_global_offsetsIS3_Lb1EPKbPS5_mNS0_19identity_decomposerEEE10hipError_tT1_T2_PT3_SF_jT4_jjP12ihipStream_tbEUlT_E0_NS1_11comp_targetILNS1_3genE9ELNS1_11target_archE1100ELNS1_3gpuE3ELNS1_3repE0EEENS1_52radix_sort_onesweep_histogram_config_static_selectorELNS0_4arch9wavefront6targetE0EEEvSD_
		.amdhsa_group_segment_fixed_size 0
		.amdhsa_private_segment_fixed_size 0
		.amdhsa_kernarg_size 8
		.amdhsa_user_sgpr_count 2
		.amdhsa_user_sgpr_dispatch_ptr 0
		.amdhsa_user_sgpr_queue_ptr 0
		.amdhsa_user_sgpr_kernarg_segment_ptr 1
		.amdhsa_user_sgpr_dispatch_id 0
		.amdhsa_user_sgpr_kernarg_preload_length 0
		.amdhsa_user_sgpr_kernarg_preload_offset 0
		.amdhsa_user_sgpr_private_segment_size 0
		.amdhsa_wavefront_size32 1
		.amdhsa_uses_dynamic_stack 0
		.amdhsa_enable_private_segment 0
		.amdhsa_system_sgpr_workgroup_id_x 1
		.amdhsa_system_sgpr_workgroup_id_y 0
		.amdhsa_system_sgpr_workgroup_id_z 0
		.amdhsa_system_sgpr_workgroup_info 0
		.amdhsa_system_vgpr_workitem_id 0
		.amdhsa_next_free_vgpr 1
		.amdhsa_next_free_sgpr 1
		.amdhsa_named_barrier_count 0
		.amdhsa_reserve_vcc 0
		.amdhsa_float_round_mode_32 0
		.amdhsa_float_round_mode_16_64 0
		.amdhsa_float_denorm_mode_32 3
		.amdhsa_float_denorm_mode_16_64 3
		.amdhsa_fp16_overflow 0
		.amdhsa_memory_ordered 1
		.amdhsa_forward_progress 1
		.amdhsa_inst_pref_size 0
		.amdhsa_round_robin_scheduling 0
		.amdhsa_exception_fp_ieee_invalid_op 0
		.amdhsa_exception_fp_denorm_src 0
		.amdhsa_exception_fp_ieee_div_zero 0
		.amdhsa_exception_fp_ieee_overflow 0
		.amdhsa_exception_fp_ieee_underflow 0
		.amdhsa_exception_fp_ieee_inexact 0
		.amdhsa_exception_int_div_zero 0
	.end_amdhsa_kernel
	.section	.text._ZN7rocprim17ROCPRIM_400000_NS6detail17trampoline_kernelINS0_14default_configENS1_35radix_sort_onesweep_config_selectorIbNS0_10empty_typeEEEZNS1_34radix_sort_onesweep_global_offsetsIS3_Lb1EPKbPS5_mNS0_19identity_decomposerEEE10hipError_tT1_T2_PT3_SF_jT4_jjP12ihipStream_tbEUlT_E0_NS1_11comp_targetILNS1_3genE9ELNS1_11target_archE1100ELNS1_3gpuE3ELNS1_3repE0EEENS1_52radix_sort_onesweep_histogram_config_static_selectorELNS0_4arch9wavefront6targetE0EEEvSD_,"axG",@progbits,_ZN7rocprim17ROCPRIM_400000_NS6detail17trampoline_kernelINS0_14default_configENS1_35radix_sort_onesweep_config_selectorIbNS0_10empty_typeEEEZNS1_34radix_sort_onesweep_global_offsetsIS3_Lb1EPKbPS5_mNS0_19identity_decomposerEEE10hipError_tT1_T2_PT3_SF_jT4_jjP12ihipStream_tbEUlT_E0_NS1_11comp_targetILNS1_3genE9ELNS1_11target_archE1100ELNS1_3gpuE3ELNS1_3repE0EEENS1_52radix_sort_onesweep_histogram_config_static_selectorELNS0_4arch9wavefront6targetE0EEEvSD_,comdat
.Lfunc_end1731:
	.size	_ZN7rocprim17ROCPRIM_400000_NS6detail17trampoline_kernelINS0_14default_configENS1_35radix_sort_onesweep_config_selectorIbNS0_10empty_typeEEEZNS1_34radix_sort_onesweep_global_offsetsIS3_Lb1EPKbPS5_mNS0_19identity_decomposerEEE10hipError_tT1_T2_PT3_SF_jT4_jjP12ihipStream_tbEUlT_E0_NS1_11comp_targetILNS1_3genE9ELNS1_11target_archE1100ELNS1_3gpuE3ELNS1_3repE0EEENS1_52radix_sort_onesweep_histogram_config_static_selectorELNS0_4arch9wavefront6targetE0EEEvSD_, .Lfunc_end1731-_ZN7rocprim17ROCPRIM_400000_NS6detail17trampoline_kernelINS0_14default_configENS1_35radix_sort_onesweep_config_selectorIbNS0_10empty_typeEEEZNS1_34radix_sort_onesweep_global_offsetsIS3_Lb1EPKbPS5_mNS0_19identity_decomposerEEE10hipError_tT1_T2_PT3_SF_jT4_jjP12ihipStream_tbEUlT_E0_NS1_11comp_targetILNS1_3genE9ELNS1_11target_archE1100ELNS1_3gpuE3ELNS1_3repE0EEENS1_52radix_sort_onesweep_histogram_config_static_selectorELNS0_4arch9wavefront6targetE0EEEvSD_
                                        ; -- End function
	.set _ZN7rocprim17ROCPRIM_400000_NS6detail17trampoline_kernelINS0_14default_configENS1_35radix_sort_onesweep_config_selectorIbNS0_10empty_typeEEEZNS1_34radix_sort_onesweep_global_offsetsIS3_Lb1EPKbPS5_mNS0_19identity_decomposerEEE10hipError_tT1_T2_PT3_SF_jT4_jjP12ihipStream_tbEUlT_E0_NS1_11comp_targetILNS1_3genE9ELNS1_11target_archE1100ELNS1_3gpuE3ELNS1_3repE0EEENS1_52radix_sort_onesweep_histogram_config_static_selectorELNS0_4arch9wavefront6targetE0EEEvSD_.num_vgpr, 0
	.set _ZN7rocprim17ROCPRIM_400000_NS6detail17trampoline_kernelINS0_14default_configENS1_35radix_sort_onesweep_config_selectorIbNS0_10empty_typeEEEZNS1_34radix_sort_onesweep_global_offsetsIS3_Lb1EPKbPS5_mNS0_19identity_decomposerEEE10hipError_tT1_T2_PT3_SF_jT4_jjP12ihipStream_tbEUlT_E0_NS1_11comp_targetILNS1_3genE9ELNS1_11target_archE1100ELNS1_3gpuE3ELNS1_3repE0EEENS1_52radix_sort_onesweep_histogram_config_static_selectorELNS0_4arch9wavefront6targetE0EEEvSD_.num_agpr, 0
	.set _ZN7rocprim17ROCPRIM_400000_NS6detail17trampoline_kernelINS0_14default_configENS1_35radix_sort_onesweep_config_selectorIbNS0_10empty_typeEEEZNS1_34radix_sort_onesweep_global_offsetsIS3_Lb1EPKbPS5_mNS0_19identity_decomposerEEE10hipError_tT1_T2_PT3_SF_jT4_jjP12ihipStream_tbEUlT_E0_NS1_11comp_targetILNS1_3genE9ELNS1_11target_archE1100ELNS1_3gpuE3ELNS1_3repE0EEENS1_52radix_sort_onesweep_histogram_config_static_selectorELNS0_4arch9wavefront6targetE0EEEvSD_.numbered_sgpr, 0
	.set _ZN7rocprim17ROCPRIM_400000_NS6detail17trampoline_kernelINS0_14default_configENS1_35radix_sort_onesweep_config_selectorIbNS0_10empty_typeEEEZNS1_34radix_sort_onesweep_global_offsetsIS3_Lb1EPKbPS5_mNS0_19identity_decomposerEEE10hipError_tT1_T2_PT3_SF_jT4_jjP12ihipStream_tbEUlT_E0_NS1_11comp_targetILNS1_3genE9ELNS1_11target_archE1100ELNS1_3gpuE3ELNS1_3repE0EEENS1_52radix_sort_onesweep_histogram_config_static_selectorELNS0_4arch9wavefront6targetE0EEEvSD_.num_named_barrier, 0
	.set _ZN7rocprim17ROCPRIM_400000_NS6detail17trampoline_kernelINS0_14default_configENS1_35radix_sort_onesweep_config_selectorIbNS0_10empty_typeEEEZNS1_34radix_sort_onesweep_global_offsetsIS3_Lb1EPKbPS5_mNS0_19identity_decomposerEEE10hipError_tT1_T2_PT3_SF_jT4_jjP12ihipStream_tbEUlT_E0_NS1_11comp_targetILNS1_3genE9ELNS1_11target_archE1100ELNS1_3gpuE3ELNS1_3repE0EEENS1_52radix_sort_onesweep_histogram_config_static_selectorELNS0_4arch9wavefront6targetE0EEEvSD_.private_seg_size, 0
	.set _ZN7rocprim17ROCPRIM_400000_NS6detail17trampoline_kernelINS0_14default_configENS1_35radix_sort_onesweep_config_selectorIbNS0_10empty_typeEEEZNS1_34radix_sort_onesweep_global_offsetsIS3_Lb1EPKbPS5_mNS0_19identity_decomposerEEE10hipError_tT1_T2_PT3_SF_jT4_jjP12ihipStream_tbEUlT_E0_NS1_11comp_targetILNS1_3genE9ELNS1_11target_archE1100ELNS1_3gpuE3ELNS1_3repE0EEENS1_52radix_sort_onesweep_histogram_config_static_selectorELNS0_4arch9wavefront6targetE0EEEvSD_.uses_vcc, 0
	.set _ZN7rocprim17ROCPRIM_400000_NS6detail17trampoline_kernelINS0_14default_configENS1_35radix_sort_onesweep_config_selectorIbNS0_10empty_typeEEEZNS1_34radix_sort_onesweep_global_offsetsIS3_Lb1EPKbPS5_mNS0_19identity_decomposerEEE10hipError_tT1_T2_PT3_SF_jT4_jjP12ihipStream_tbEUlT_E0_NS1_11comp_targetILNS1_3genE9ELNS1_11target_archE1100ELNS1_3gpuE3ELNS1_3repE0EEENS1_52radix_sort_onesweep_histogram_config_static_selectorELNS0_4arch9wavefront6targetE0EEEvSD_.uses_flat_scratch, 0
	.set _ZN7rocprim17ROCPRIM_400000_NS6detail17trampoline_kernelINS0_14default_configENS1_35radix_sort_onesweep_config_selectorIbNS0_10empty_typeEEEZNS1_34radix_sort_onesweep_global_offsetsIS3_Lb1EPKbPS5_mNS0_19identity_decomposerEEE10hipError_tT1_T2_PT3_SF_jT4_jjP12ihipStream_tbEUlT_E0_NS1_11comp_targetILNS1_3genE9ELNS1_11target_archE1100ELNS1_3gpuE3ELNS1_3repE0EEENS1_52radix_sort_onesweep_histogram_config_static_selectorELNS0_4arch9wavefront6targetE0EEEvSD_.has_dyn_sized_stack, 0
	.set _ZN7rocprim17ROCPRIM_400000_NS6detail17trampoline_kernelINS0_14default_configENS1_35radix_sort_onesweep_config_selectorIbNS0_10empty_typeEEEZNS1_34radix_sort_onesweep_global_offsetsIS3_Lb1EPKbPS5_mNS0_19identity_decomposerEEE10hipError_tT1_T2_PT3_SF_jT4_jjP12ihipStream_tbEUlT_E0_NS1_11comp_targetILNS1_3genE9ELNS1_11target_archE1100ELNS1_3gpuE3ELNS1_3repE0EEENS1_52radix_sort_onesweep_histogram_config_static_selectorELNS0_4arch9wavefront6targetE0EEEvSD_.has_recursion, 0
	.set _ZN7rocprim17ROCPRIM_400000_NS6detail17trampoline_kernelINS0_14default_configENS1_35radix_sort_onesweep_config_selectorIbNS0_10empty_typeEEEZNS1_34radix_sort_onesweep_global_offsetsIS3_Lb1EPKbPS5_mNS0_19identity_decomposerEEE10hipError_tT1_T2_PT3_SF_jT4_jjP12ihipStream_tbEUlT_E0_NS1_11comp_targetILNS1_3genE9ELNS1_11target_archE1100ELNS1_3gpuE3ELNS1_3repE0EEENS1_52radix_sort_onesweep_histogram_config_static_selectorELNS0_4arch9wavefront6targetE0EEEvSD_.has_indirect_call, 0
	.section	.AMDGPU.csdata,"",@progbits
; Kernel info:
; codeLenInByte = 0
; TotalNumSgprs: 0
; NumVgprs: 0
; ScratchSize: 0
; MemoryBound: 0
; FloatMode: 240
; IeeeMode: 1
; LDSByteSize: 0 bytes/workgroup (compile time only)
; SGPRBlocks: 0
; VGPRBlocks: 0
; NumSGPRsForWavesPerEU: 1
; NumVGPRsForWavesPerEU: 1
; NamedBarCnt: 0
; Occupancy: 16
; WaveLimiterHint : 0
; COMPUTE_PGM_RSRC2:SCRATCH_EN: 0
; COMPUTE_PGM_RSRC2:USER_SGPR: 2
; COMPUTE_PGM_RSRC2:TRAP_HANDLER: 0
; COMPUTE_PGM_RSRC2:TGID_X_EN: 1
; COMPUTE_PGM_RSRC2:TGID_Y_EN: 0
; COMPUTE_PGM_RSRC2:TGID_Z_EN: 0
; COMPUTE_PGM_RSRC2:TIDIG_COMP_CNT: 0
	.section	.text._ZN7rocprim17ROCPRIM_400000_NS6detail17trampoline_kernelINS0_14default_configENS1_35radix_sort_onesweep_config_selectorIbNS0_10empty_typeEEEZNS1_34radix_sort_onesweep_global_offsetsIS3_Lb1EPKbPS5_mNS0_19identity_decomposerEEE10hipError_tT1_T2_PT3_SF_jT4_jjP12ihipStream_tbEUlT_E0_NS1_11comp_targetILNS1_3genE8ELNS1_11target_archE1030ELNS1_3gpuE2ELNS1_3repE0EEENS1_52radix_sort_onesweep_histogram_config_static_selectorELNS0_4arch9wavefront6targetE0EEEvSD_,"axG",@progbits,_ZN7rocprim17ROCPRIM_400000_NS6detail17trampoline_kernelINS0_14default_configENS1_35radix_sort_onesweep_config_selectorIbNS0_10empty_typeEEEZNS1_34radix_sort_onesweep_global_offsetsIS3_Lb1EPKbPS5_mNS0_19identity_decomposerEEE10hipError_tT1_T2_PT3_SF_jT4_jjP12ihipStream_tbEUlT_E0_NS1_11comp_targetILNS1_3genE8ELNS1_11target_archE1030ELNS1_3gpuE2ELNS1_3repE0EEENS1_52radix_sort_onesweep_histogram_config_static_selectorELNS0_4arch9wavefront6targetE0EEEvSD_,comdat
	.protected	_ZN7rocprim17ROCPRIM_400000_NS6detail17trampoline_kernelINS0_14default_configENS1_35radix_sort_onesweep_config_selectorIbNS0_10empty_typeEEEZNS1_34radix_sort_onesweep_global_offsetsIS3_Lb1EPKbPS5_mNS0_19identity_decomposerEEE10hipError_tT1_T2_PT3_SF_jT4_jjP12ihipStream_tbEUlT_E0_NS1_11comp_targetILNS1_3genE8ELNS1_11target_archE1030ELNS1_3gpuE2ELNS1_3repE0EEENS1_52radix_sort_onesweep_histogram_config_static_selectorELNS0_4arch9wavefront6targetE0EEEvSD_ ; -- Begin function _ZN7rocprim17ROCPRIM_400000_NS6detail17trampoline_kernelINS0_14default_configENS1_35radix_sort_onesweep_config_selectorIbNS0_10empty_typeEEEZNS1_34radix_sort_onesweep_global_offsetsIS3_Lb1EPKbPS5_mNS0_19identity_decomposerEEE10hipError_tT1_T2_PT3_SF_jT4_jjP12ihipStream_tbEUlT_E0_NS1_11comp_targetILNS1_3genE8ELNS1_11target_archE1030ELNS1_3gpuE2ELNS1_3repE0EEENS1_52radix_sort_onesweep_histogram_config_static_selectorELNS0_4arch9wavefront6targetE0EEEvSD_
	.globl	_ZN7rocprim17ROCPRIM_400000_NS6detail17trampoline_kernelINS0_14default_configENS1_35radix_sort_onesweep_config_selectorIbNS0_10empty_typeEEEZNS1_34radix_sort_onesweep_global_offsetsIS3_Lb1EPKbPS5_mNS0_19identity_decomposerEEE10hipError_tT1_T2_PT3_SF_jT4_jjP12ihipStream_tbEUlT_E0_NS1_11comp_targetILNS1_3genE8ELNS1_11target_archE1030ELNS1_3gpuE2ELNS1_3repE0EEENS1_52radix_sort_onesweep_histogram_config_static_selectorELNS0_4arch9wavefront6targetE0EEEvSD_
	.p2align	8
	.type	_ZN7rocprim17ROCPRIM_400000_NS6detail17trampoline_kernelINS0_14default_configENS1_35radix_sort_onesweep_config_selectorIbNS0_10empty_typeEEEZNS1_34radix_sort_onesweep_global_offsetsIS3_Lb1EPKbPS5_mNS0_19identity_decomposerEEE10hipError_tT1_T2_PT3_SF_jT4_jjP12ihipStream_tbEUlT_E0_NS1_11comp_targetILNS1_3genE8ELNS1_11target_archE1030ELNS1_3gpuE2ELNS1_3repE0EEENS1_52radix_sort_onesweep_histogram_config_static_selectorELNS0_4arch9wavefront6targetE0EEEvSD_,@function
_ZN7rocprim17ROCPRIM_400000_NS6detail17trampoline_kernelINS0_14default_configENS1_35radix_sort_onesweep_config_selectorIbNS0_10empty_typeEEEZNS1_34radix_sort_onesweep_global_offsetsIS3_Lb1EPKbPS5_mNS0_19identity_decomposerEEE10hipError_tT1_T2_PT3_SF_jT4_jjP12ihipStream_tbEUlT_E0_NS1_11comp_targetILNS1_3genE8ELNS1_11target_archE1030ELNS1_3gpuE2ELNS1_3repE0EEENS1_52radix_sort_onesweep_histogram_config_static_selectorELNS0_4arch9wavefront6targetE0EEEvSD_: ; @_ZN7rocprim17ROCPRIM_400000_NS6detail17trampoline_kernelINS0_14default_configENS1_35radix_sort_onesweep_config_selectorIbNS0_10empty_typeEEEZNS1_34radix_sort_onesweep_global_offsetsIS3_Lb1EPKbPS5_mNS0_19identity_decomposerEEE10hipError_tT1_T2_PT3_SF_jT4_jjP12ihipStream_tbEUlT_E0_NS1_11comp_targetILNS1_3genE8ELNS1_11target_archE1030ELNS1_3gpuE2ELNS1_3repE0EEENS1_52radix_sort_onesweep_histogram_config_static_selectorELNS0_4arch9wavefront6targetE0EEEvSD_
; %bb.0:
	.section	.rodata,"a",@progbits
	.p2align	6, 0x0
	.amdhsa_kernel _ZN7rocprim17ROCPRIM_400000_NS6detail17trampoline_kernelINS0_14default_configENS1_35radix_sort_onesweep_config_selectorIbNS0_10empty_typeEEEZNS1_34radix_sort_onesweep_global_offsetsIS3_Lb1EPKbPS5_mNS0_19identity_decomposerEEE10hipError_tT1_T2_PT3_SF_jT4_jjP12ihipStream_tbEUlT_E0_NS1_11comp_targetILNS1_3genE8ELNS1_11target_archE1030ELNS1_3gpuE2ELNS1_3repE0EEENS1_52radix_sort_onesweep_histogram_config_static_selectorELNS0_4arch9wavefront6targetE0EEEvSD_
		.amdhsa_group_segment_fixed_size 0
		.amdhsa_private_segment_fixed_size 0
		.amdhsa_kernarg_size 8
		.amdhsa_user_sgpr_count 2
		.amdhsa_user_sgpr_dispatch_ptr 0
		.amdhsa_user_sgpr_queue_ptr 0
		.amdhsa_user_sgpr_kernarg_segment_ptr 1
		.amdhsa_user_sgpr_dispatch_id 0
		.amdhsa_user_sgpr_kernarg_preload_length 0
		.amdhsa_user_sgpr_kernarg_preload_offset 0
		.amdhsa_user_sgpr_private_segment_size 0
		.amdhsa_wavefront_size32 1
		.amdhsa_uses_dynamic_stack 0
		.amdhsa_enable_private_segment 0
		.amdhsa_system_sgpr_workgroup_id_x 1
		.amdhsa_system_sgpr_workgroup_id_y 0
		.amdhsa_system_sgpr_workgroup_id_z 0
		.amdhsa_system_sgpr_workgroup_info 0
		.amdhsa_system_vgpr_workitem_id 0
		.amdhsa_next_free_vgpr 1
		.amdhsa_next_free_sgpr 1
		.amdhsa_named_barrier_count 0
		.amdhsa_reserve_vcc 0
		.amdhsa_float_round_mode_32 0
		.amdhsa_float_round_mode_16_64 0
		.amdhsa_float_denorm_mode_32 3
		.amdhsa_float_denorm_mode_16_64 3
		.amdhsa_fp16_overflow 0
		.amdhsa_memory_ordered 1
		.amdhsa_forward_progress 1
		.amdhsa_inst_pref_size 0
		.amdhsa_round_robin_scheduling 0
		.amdhsa_exception_fp_ieee_invalid_op 0
		.amdhsa_exception_fp_denorm_src 0
		.amdhsa_exception_fp_ieee_div_zero 0
		.amdhsa_exception_fp_ieee_overflow 0
		.amdhsa_exception_fp_ieee_underflow 0
		.amdhsa_exception_fp_ieee_inexact 0
		.amdhsa_exception_int_div_zero 0
	.end_amdhsa_kernel
	.section	.text._ZN7rocprim17ROCPRIM_400000_NS6detail17trampoline_kernelINS0_14default_configENS1_35radix_sort_onesweep_config_selectorIbNS0_10empty_typeEEEZNS1_34radix_sort_onesweep_global_offsetsIS3_Lb1EPKbPS5_mNS0_19identity_decomposerEEE10hipError_tT1_T2_PT3_SF_jT4_jjP12ihipStream_tbEUlT_E0_NS1_11comp_targetILNS1_3genE8ELNS1_11target_archE1030ELNS1_3gpuE2ELNS1_3repE0EEENS1_52radix_sort_onesweep_histogram_config_static_selectorELNS0_4arch9wavefront6targetE0EEEvSD_,"axG",@progbits,_ZN7rocprim17ROCPRIM_400000_NS6detail17trampoline_kernelINS0_14default_configENS1_35radix_sort_onesweep_config_selectorIbNS0_10empty_typeEEEZNS1_34radix_sort_onesweep_global_offsetsIS3_Lb1EPKbPS5_mNS0_19identity_decomposerEEE10hipError_tT1_T2_PT3_SF_jT4_jjP12ihipStream_tbEUlT_E0_NS1_11comp_targetILNS1_3genE8ELNS1_11target_archE1030ELNS1_3gpuE2ELNS1_3repE0EEENS1_52radix_sort_onesweep_histogram_config_static_selectorELNS0_4arch9wavefront6targetE0EEEvSD_,comdat
.Lfunc_end1732:
	.size	_ZN7rocprim17ROCPRIM_400000_NS6detail17trampoline_kernelINS0_14default_configENS1_35radix_sort_onesweep_config_selectorIbNS0_10empty_typeEEEZNS1_34radix_sort_onesweep_global_offsetsIS3_Lb1EPKbPS5_mNS0_19identity_decomposerEEE10hipError_tT1_T2_PT3_SF_jT4_jjP12ihipStream_tbEUlT_E0_NS1_11comp_targetILNS1_3genE8ELNS1_11target_archE1030ELNS1_3gpuE2ELNS1_3repE0EEENS1_52radix_sort_onesweep_histogram_config_static_selectorELNS0_4arch9wavefront6targetE0EEEvSD_, .Lfunc_end1732-_ZN7rocprim17ROCPRIM_400000_NS6detail17trampoline_kernelINS0_14default_configENS1_35radix_sort_onesweep_config_selectorIbNS0_10empty_typeEEEZNS1_34radix_sort_onesweep_global_offsetsIS3_Lb1EPKbPS5_mNS0_19identity_decomposerEEE10hipError_tT1_T2_PT3_SF_jT4_jjP12ihipStream_tbEUlT_E0_NS1_11comp_targetILNS1_3genE8ELNS1_11target_archE1030ELNS1_3gpuE2ELNS1_3repE0EEENS1_52radix_sort_onesweep_histogram_config_static_selectorELNS0_4arch9wavefront6targetE0EEEvSD_
                                        ; -- End function
	.set _ZN7rocprim17ROCPRIM_400000_NS6detail17trampoline_kernelINS0_14default_configENS1_35radix_sort_onesweep_config_selectorIbNS0_10empty_typeEEEZNS1_34radix_sort_onesweep_global_offsetsIS3_Lb1EPKbPS5_mNS0_19identity_decomposerEEE10hipError_tT1_T2_PT3_SF_jT4_jjP12ihipStream_tbEUlT_E0_NS1_11comp_targetILNS1_3genE8ELNS1_11target_archE1030ELNS1_3gpuE2ELNS1_3repE0EEENS1_52radix_sort_onesweep_histogram_config_static_selectorELNS0_4arch9wavefront6targetE0EEEvSD_.num_vgpr, 0
	.set _ZN7rocprim17ROCPRIM_400000_NS6detail17trampoline_kernelINS0_14default_configENS1_35radix_sort_onesweep_config_selectorIbNS0_10empty_typeEEEZNS1_34radix_sort_onesweep_global_offsetsIS3_Lb1EPKbPS5_mNS0_19identity_decomposerEEE10hipError_tT1_T2_PT3_SF_jT4_jjP12ihipStream_tbEUlT_E0_NS1_11comp_targetILNS1_3genE8ELNS1_11target_archE1030ELNS1_3gpuE2ELNS1_3repE0EEENS1_52radix_sort_onesweep_histogram_config_static_selectorELNS0_4arch9wavefront6targetE0EEEvSD_.num_agpr, 0
	.set _ZN7rocprim17ROCPRIM_400000_NS6detail17trampoline_kernelINS0_14default_configENS1_35radix_sort_onesweep_config_selectorIbNS0_10empty_typeEEEZNS1_34radix_sort_onesweep_global_offsetsIS3_Lb1EPKbPS5_mNS0_19identity_decomposerEEE10hipError_tT1_T2_PT3_SF_jT4_jjP12ihipStream_tbEUlT_E0_NS1_11comp_targetILNS1_3genE8ELNS1_11target_archE1030ELNS1_3gpuE2ELNS1_3repE0EEENS1_52radix_sort_onesweep_histogram_config_static_selectorELNS0_4arch9wavefront6targetE0EEEvSD_.numbered_sgpr, 0
	.set _ZN7rocprim17ROCPRIM_400000_NS6detail17trampoline_kernelINS0_14default_configENS1_35radix_sort_onesweep_config_selectorIbNS0_10empty_typeEEEZNS1_34radix_sort_onesweep_global_offsetsIS3_Lb1EPKbPS5_mNS0_19identity_decomposerEEE10hipError_tT1_T2_PT3_SF_jT4_jjP12ihipStream_tbEUlT_E0_NS1_11comp_targetILNS1_3genE8ELNS1_11target_archE1030ELNS1_3gpuE2ELNS1_3repE0EEENS1_52radix_sort_onesweep_histogram_config_static_selectorELNS0_4arch9wavefront6targetE0EEEvSD_.num_named_barrier, 0
	.set _ZN7rocprim17ROCPRIM_400000_NS6detail17trampoline_kernelINS0_14default_configENS1_35radix_sort_onesweep_config_selectorIbNS0_10empty_typeEEEZNS1_34radix_sort_onesweep_global_offsetsIS3_Lb1EPKbPS5_mNS0_19identity_decomposerEEE10hipError_tT1_T2_PT3_SF_jT4_jjP12ihipStream_tbEUlT_E0_NS1_11comp_targetILNS1_3genE8ELNS1_11target_archE1030ELNS1_3gpuE2ELNS1_3repE0EEENS1_52radix_sort_onesweep_histogram_config_static_selectorELNS0_4arch9wavefront6targetE0EEEvSD_.private_seg_size, 0
	.set _ZN7rocprim17ROCPRIM_400000_NS6detail17trampoline_kernelINS0_14default_configENS1_35radix_sort_onesweep_config_selectorIbNS0_10empty_typeEEEZNS1_34radix_sort_onesweep_global_offsetsIS3_Lb1EPKbPS5_mNS0_19identity_decomposerEEE10hipError_tT1_T2_PT3_SF_jT4_jjP12ihipStream_tbEUlT_E0_NS1_11comp_targetILNS1_3genE8ELNS1_11target_archE1030ELNS1_3gpuE2ELNS1_3repE0EEENS1_52radix_sort_onesweep_histogram_config_static_selectorELNS0_4arch9wavefront6targetE0EEEvSD_.uses_vcc, 0
	.set _ZN7rocprim17ROCPRIM_400000_NS6detail17trampoline_kernelINS0_14default_configENS1_35radix_sort_onesweep_config_selectorIbNS0_10empty_typeEEEZNS1_34radix_sort_onesweep_global_offsetsIS3_Lb1EPKbPS5_mNS0_19identity_decomposerEEE10hipError_tT1_T2_PT3_SF_jT4_jjP12ihipStream_tbEUlT_E0_NS1_11comp_targetILNS1_3genE8ELNS1_11target_archE1030ELNS1_3gpuE2ELNS1_3repE0EEENS1_52radix_sort_onesweep_histogram_config_static_selectorELNS0_4arch9wavefront6targetE0EEEvSD_.uses_flat_scratch, 0
	.set _ZN7rocprim17ROCPRIM_400000_NS6detail17trampoline_kernelINS0_14default_configENS1_35radix_sort_onesweep_config_selectorIbNS0_10empty_typeEEEZNS1_34radix_sort_onesweep_global_offsetsIS3_Lb1EPKbPS5_mNS0_19identity_decomposerEEE10hipError_tT1_T2_PT3_SF_jT4_jjP12ihipStream_tbEUlT_E0_NS1_11comp_targetILNS1_3genE8ELNS1_11target_archE1030ELNS1_3gpuE2ELNS1_3repE0EEENS1_52radix_sort_onesweep_histogram_config_static_selectorELNS0_4arch9wavefront6targetE0EEEvSD_.has_dyn_sized_stack, 0
	.set _ZN7rocprim17ROCPRIM_400000_NS6detail17trampoline_kernelINS0_14default_configENS1_35radix_sort_onesweep_config_selectorIbNS0_10empty_typeEEEZNS1_34radix_sort_onesweep_global_offsetsIS3_Lb1EPKbPS5_mNS0_19identity_decomposerEEE10hipError_tT1_T2_PT3_SF_jT4_jjP12ihipStream_tbEUlT_E0_NS1_11comp_targetILNS1_3genE8ELNS1_11target_archE1030ELNS1_3gpuE2ELNS1_3repE0EEENS1_52radix_sort_onesweep_histogram_config_static_selectorELNS0_4arch9wavefront6targetE0EEEvSD_.has_recursion, 0
	.set _ZN7rocprim17ROCPRIM_400000_NS6detail17trampoline_kernelINS0_14default_configENS1_35radix_sort_onesweep_config_selectorIbNS0_10empty_typeEEEZNS1_34radix_sort_onesweep_global_offsetsIS3_Lb1EPKbPS5_mNS0_19identity_decomposerEEE10hipError_tT1_T2_PT3_SF_jT4_jjP12ihipStream_tbEUlT_E0_NS1_11comp_targetILNS1_3genE8ELNS1_11target_archE1030ELNS1_3gpuE2ELNS1_3repE0EEENS1_52radix_sort_onesweep_histogram_config_static_selectorELNS0_4arch9wavefront6targetE0EEEvSD_.has_indirect_call, 0
	.section	.AMDGPU.csdata,"",@progbits
; Kernel info:
; codeLenInByte = 0
; TotalNumSgprs: 0
; NumVgprs: 0
; ScratchSize: 0
; MemoryBound: 0
; FloatMode: 240
; IeeeMode: 1
; LDSByteSize: 0 bytes/workgroup (compile time only)
; SGPRBlocks: 0
; VGPRBlocks: 0
; NumSGPRsForWavesPerEU: 1
; NumVGPRsForWavesPerEU: 1
; NamedBarCnt: 0
; Occupancy: 16
; WaveLimiterHint : 0
; COMPUTE_PGM_RSRC2:SCRATCH_EN: 0
; COMPUTE_PGM_RSRC2:USER_SGPR: 2
; COMPUTE_PGM_RSRC2:TRAP_HANDLER: 0
; COMPUTE_PGM_RSRC2:TGID_X_EN: 1
; COMPUTE_PGM_RSRC2:TGID_Y_EN: 0
; COMPUTE_PGM_RSRC2:TGID_Z_EN: 0
; COMPUTE_PGM_RSRC2:TIDIG_COMP_CNT: 0
	.section	.text._ZN7rocprim17ROCPRIM_400000_NS6detail17trampoline_kernelINS0_14default_configENS1_25transform_config_selectorIbLb1EEEZNS1_14transform_implILb1ES3_S5_PKbPbNS0_8identityIbEEEE10hipError_tT2_T3_mT4_P12ihipStream_tbEUlT_E_NS1_11comp_targetILNS1_3genE0ELNS1_11target_archE4294967295ELNS1_3gpuE0ELNS1_3repE0EEENS1_30default_config_static_selectorELNS0_4arch9wavefront6targetE0EEEvT1_,"axG",@progbits,_ZN7rocprim17ROCPRIM_400000_NS6detail17trampoline_kernelINS0_14default_configENS1_25transform_config_selectorIbLb1EEEZNS1_14transform_implILb1ES3_S5_PKbPbNS0_8identityIbEEEE10hipError_tT2_T3_mT4_P12ihipStream_tbEUlT_E_NS1_11comp_targetILNS1_3genE0ELNS1_11target_archE4294967295ELNS1_3gpuE0ELNS1_3repE0EEENS1_30default_config_static_selectorELNS0_4arch9wavefront6targetE0EEEvT1_,comdat
	.protected	_ZN7rocprim17ROCPRIM_400000_NS6detail17trampoline_kernelINS0_14default_configENS1_25transform_config_selectorIbLb1EEEZNS1_14transform_implILb1ES3_S5_PKbPbNS0_8identityIbEEEE10hipError_tT2_T3_mT4_P12ihipStream_tbEUlT_E_NS1_11comp_targetILNS1_3genE0ELNS1_11target_archE4294967295ELNS1_3gpuE0ELNS1_3repE0EEENS1_30default_config_static_selectorELNS0_4arch9wavefront6targetE0EEEvT1_ ; -- Begin function _ZN7rocprim17ROCPRIM_400000_NS6detail17trampoline_kernelINS0_14default_configENS1_25transform_config_selectorIbLb1EEEZNS1_14transform_implILb1ES3_S5_PKbPbNS0_8identityIbEEEE10hipError_tT2_T3_mT4_P12ihipStream_tbEUlT_E_NS1_11comp_targetILNS1_3genE0ELNS1_11target_archE4294967295ELNS1_3gpuE0ELNS1_3repE0EEENS1_30default_config_static_selectorELNS0_4arch9wavefront6targetE0EEEvT1_
	.globl	_ZN7rocprim17ROCPRIM_400000_NS6detail17trampoline_kernelINS0_14default_configENS1_25transform_config_selectorIbLb1EEEZNS1_14transform_implILb1ES3_S5_PKbPbNS0_8identityIbEEEE10hipError_tT2_T3_mT4_P12ihipStream_tbEUlT_E_NS1_11comp_targetILNS1_3genE0ELNS1_11target_archE4294967295ELNS1_3gpuE0ELNS1_3repE0EEENS1_30default_config_static_selectorELNS0_4arch9wavefront6targetE0EEEvT1_
	.p2align	8
	.type	_ZN7rocprim17ROCPRIM_400000_NS6detail17trampoline_kernelINS0_14default_configENS1_25transform_config_selectorIbLb1EEEZNS1_14transform_implILb1ES3_S5_PKbPbNS0_8identityIbEEEE10hipError_tT2_T3_mT4_P12ihipStream_tbEUlT_E_NS1_11comp_targetILNS1_3genE0ELNS1_11target_archE4294967295ELNS1_3gpuE0ELNS1_3repE0EEENS1_30default_config_static_selectorELNS0_4arch9wavefront6targetE0EEEvT1_,@function
_ZN7rocprim17ROCPRIM_400000_NS6detail17trampoline_kernelINS0_14default_configENS1_25transform_config_selectorIbLb1EEEZNS1_14transform_implILb1ES3_S5_PKbPbNS0_8identityIbEEEE10hipError_tT2_T3_mT4_P12ihipStream_tbEUlT_E_NS1_11comp_targetILNS1_3genE0ELNS1_11target_archE4294967295ELNS1_3gpuE0ELNS1_3repE0EEENS1_30default_config_static_selectorELNS0_4arch9wavefront6targetE0EEEvT1_: ; @_ZN7rocprim17ROCPRIM_400000_NS6detail17trampoline_kernelINS0_14default_configENS1_25transform_config_selectorIbLb1EEEZNS1_14transform_implILb1ES3_S5_PKbPbNS0_8identityIbEEEE10hipError_tT2_T3_mT4_P12ihipStream_tbEUlT_E_NS1_11comp_targetILNS1_3genE0ELNS1_11target_archE4294967295ELNS1_3gpuE0ELNS1_3repE0EEENS1_30default_config_static_selectorELNS0_4arch9wavefront6targetE0EEEvT1_
; %bb.0:
	s_clause 0x1
	s_load_b256 s[4:11], s[0:1], 0x0
	s_load_b32 s3, s[0:1], 0x28
	s_wait_xcnt 0x0
	s_bfe_u32 s0, ttmp6, 0x4000c
	s_and_b32 s1, ttmp6, 15
	s_add_co_i32 s0, s0, 1
	s_getreg_b32 s2, hwreg(HW_REG_IB_STS2, 6, 4)
	s_mul_i32 s0, ttmp9, s0
	s_delay_alu instid0(SALU_CYCLE_1)
	s_add_co_i32 s0, s1, s0
	s_cmp_eq_u32 s2, 0
	s_mov_b32 s1, 0
	s_wait_kmcnt 0x0
	s_cselect_b32 s9, ttmp9, s0
	s_mov_b32 s2, -1
	s_lshl_b32 s0, s9, 10
	s_add_nc_u64 s[4:5], s[4:5], s[6:7]
	s_add_nc_u64 s[6:7], s[10:11], s[6:7]
	s_add_co_i32 s3, s3, -1
	s_add_nc_u64 s[12:13], s[4:5], s[0:1]
	s_cmp_lg_u32 s9, s3
	s_add_nc_u64 s[10:11], s[6:7], s[0:1]
	s_cbranch_scc0 .LBB1733_2
; %bb.1:
	global_load_b64 v[2:3], v0, s[12:13] scale_offset
	s_mov_b32 s2, 0
	s_wait_loadcnt 0x0
	v_and_b32_e32 v2, 0x1010101, v2
	v_and_b32_e32 v3, 0x1010101, v3
	global_store_b64 v0, v[2:3], s[10:11] scale_offset
.LBB1733_2:
	s_and_not1_b32 vcc_lo, exec_lo, s2
	s_cbranch_vccnz .LBB1733_28
; %bb.3:
	s_sub_co_i32 s7, s8, s0
	s_wait_xcnt 0x0
	v_dual_mov_b32 v2, 0 :: v_dual_mov_b32 v5, 0
	v_cmp_gt_u32_e32 vcc_lo, s7, v0
	v_dual_mov_b32 v3, 0 :: v_dual_mov_b32 v8, 0
	v_dual_mov_b32 v7, 0 :: v_dual_mov_b32 v6, 0
	v_mov_b32_e32 v4, 0
	s_and_saveexec_b32 s0, vcc_lo
	s_cbranch_execz .LBB1733_5
; %bb.4:
	global_load_u8 v5, v0, s[12:13]
	v_dual_mov_b32 v3, 0 :: v_dual_mov_b32 v8, 0
	v_dual_mov_b32 v7, 0 :: v_dual_mov_b32 v6, 0
	v_mov_b32_e32 v4, 0
.LBB1733_5:
	s_wait_xcnt 0x0
	s_or_b32 exec_lo, exec_lo, s0
	v_or_b32_e32 v1, 0x80, v0
	v_mov_b32_e32 v9, v2
	s_delay_alu instid0(VALU_DEP_2)
	v_cmp_gt_u32_e64 s0, s7, v1
	s_and_saveexec_b32 s1, s0
	s_cbranch_execz .LBB1733_7
; %bb.6:
	global_load_u8 v9, v0, s[12:13] offset:128
.LBB1733_7:
	s_wait_xcnt 0x0
	s_or_b32 exec_lo, exec_lo, s1
	v_or_b32_e32 v1, 0x100, v0
	s_delay_alu instid0(VALU_DEP_1)
	v_cmp_gt_u32_e64 s1, s7, v1
	s_and_saveexec_b32 s2, s1
	s_cbranch_execz .LBB1733_9
; %bb.8:
	global_load_u8 v2, v0, s[12:13] offset:256
.LBB1733_9:
	s_wait_xcnt 0x0
	s_or_b32 exec_lo, exec_lo, s2
	v_or_b32_e32 v1, 0x180, v0
	s_delay_alu instid0(VALU_DEP_1)
	;; [unrolled: 10-line block ×5, first 2 shown]
	v_cmp_gt_u32_e64 s5, s7, v1
	s_and_saveexec_b32 s6, s5
	s_cbranch_execz .LBB1733_17
; %bb.16:
	global_load_u8 v6, v0, s[12:13] offset:768
.LBB1733_17:
	s_wait_xcnt 0x0
	s_or_b32 exec_lo, exec_lo, s6
	v_or_b32_e32 v1, 0x380, v0
	s_delay_alu instid0(VALU_DEP_1) | instskip(SKIP_3) | instid1(SALU_CYCLE_1)
	v_cmp_gt_u32_e64 s6, s7, v1
	v_cmp_le_u32_e64 s7, s7, v1
	v_mov_b32_e32 v1, 0
	s_and_saveexec_b32 s8, s7
	s_xor_b32 s7, exec_lo, s8
	s_delay_alu instid0(SALU_CYCLE_1)
	s_and_not1_saveexec_b32 s7, s7
	s_cbranch_execz .LBB1733_19
; %bb.18:
	v_add_nc_u64_e32 v[10:11], s[12:13], v[0:1]
	global_load_u8 v4, v[10:11], off offset:896
.LBB1733_19:
	s_wait_xcnt 0x0
	s_or_b32 exec_lo, exec_lo, s7
	s_wait_loadcnt 0x0
	v_and_b32_e32 v5, 1, v5
	v_add_nc_u64_e32 v[0:1], s[10:11], v[0:1]
	v_and_b32_e32 v3, 1, v3
	v_and_b32_e32 v4, 1, v4
	s_delay_alu instid0(VALU_DEP_4) | instskip(SKIP_1) | instid1(VALU_DEP_4)
	v_and_b32_e32 v5, 0xffff, v5
	v_and_b32_e32 v8, 1, v8
	v_lshlrev_b16 v3, 8, v3
	s_delay_alu instid0(VALU_DEP_4) | instskip(NEXT) | instid1(VALU_DEP_4)
	v_lshlrev_b16 v4, 8, v4
	v_cndmask_b32_e32 v5, 0, v5, vcc_lo
	s_delay_alu instid0(VALU_DEP_4) | instskip(SKIP_2) | instid1(VALU_DEP_3)
	v_and_b32_e32 v8, 0xffff, v8
	v_and_b32_e32 v7, 1, v7
	;; [unrolled: 1-line block ×3, first 2 shown]
	v_dual_cndmask_b32 v8, 0, v8, s3 :: v_dual_bitop2_b32 v9, 1, v9 bitop3:0x40
	s_delay_alu instid0(VALU_DEP_3) | instskip(NEXT) | instid1(VALU_DEP_3)
	v_lshlrev_b16 v7, 8, v7
	v_lshlrev_b32_e32 v2, 16, v2
	s_delay_alu instid0(VALU_DEP_2) | instskip(NEXT) | instid1(VALU_DEP_1)
	v_bitop3_b16 v7, v8, v7, 0xff bitop3:0xec
	v_and_b32_e32 v7, 0xffff, v7
	s_delay_alu instid0(VALU_DEP_1) | instskip(SKIP_1) | instid1(VALU_DEP_1)
	v_cndmask_b32_e64 v7, v8, v7, s4
	v_lshlrev_b16 v8, 8, v9
	v_dual_lshrrev_b32 v9, 16, v7 :: v_dual_bitop2_b32 v8, v5, v8 bitop3:0x54
	s_delay_alu instid0(VALU_DEP_1) | instskip(NEXT) | instid1(VALU_DEP_2)
	v_and_b32_e32 v9, 0xffffff00, v9
	v_and_b32_e32 v8, 0xffff, v8
	s_delay_alu instid0(VALU_DEP_2) | instskip(NEXT) | instid1(VALU_DEP_1)
	v_bitop3_b16 v6, v6, v9, 1 bitop3:0xec
	v_dual_cndmask_b32 v5, v5, v8, s0 :: v_dual_lshlrev_b32 v6, 16, v6
	s_delay_alu instid0(VALU_DEP_1) | instskip(NEXT) | instid1(VALU_DEP_2)
	v_and_or_b32 v2, 0x1ff, v5, v2
	v_and_or_b32 v6, 0xffff, v7, v6
	s_delay_alu instid0(VALU_DEP_2) | instskip(NEXT) | instid1(VALU_DEP_2)
	v_cndmask_b32_e64 v2, v5, v2, s1
	v_cndmask_b32_e64 v5, v7, v6, s5
	s_delay_alu instid0(VALU_DEP_2) | instskip(NEXT) | instid1(VALU_DEP_1)
	v_lshrrev_b32_e32 v6, 16, v2
	v_bitop3_b16 v3, v6, v3, 0xff bitop3:0xec
	s_delay_alu instid0(VALU_DEP_1) | instskip(NEXT) | instid1(VALU_DEP_1)
	v_dual_lshlrev_b32 v3, 16, v3 :: v_dual_lshrrev_b32 v7, 16, v5
	v_and_or_b32 v3, 0xffff, v2, v3
	s_delay_alu instid0(VALU_DEP_2) | instskip(NEXT) | instid1(VALU_DEP_1)
	v_bitop3_b16 v4, v7, v4, 0xff bitop3:0xec
	v_dual_cndmask_b32 v3, v2, v3, s2 :: v_dual_lshlrev_b32 v4, 16, v4
	s_delay_alu instid0(VALU_DEP_1) | instskip(NEXT) | instid1(VALU_DEP_1)
	v_and_or_b32 v4, 0xffff, v5, v4
	v_cndmask_b32_e64 v2, v5, v4, s6
	s_and_saveexec_b32 s7, vcc_lo
	s_cbranch_execnz .LBB1733_29
; %bb.20:
	s_or_b32 exec_lo, exec_lo, s7
	s_and_saveexec_b32 s7, s0
	s_cbranch_execnz .LBB1733_30
.LBB1733_21:
	s_or_b32 exec_lo, exec_lo, s7
	s_and_saveexec_b32 s0, s1
	s_cbranch_execnz .LBB1733_31
.LBB1733_22:
	s_or_b32 exec_lo, exec_lo, s0
	s_and_saveexec_b32 s0, s2
	s_cbranch_execnz .LBB1733_32
.LBB1733_23:
	s_or_b32 exec_lo, exec_lo, s0
	s_and_saveexec_b32 s0, s3
	s_cbranch_execnz .LBB1733_33
.LBB1733_24:
	s_or_b32 exec_lo, exec_lo, s0
	s_and_saveexec_b32 s0, s4
	s_cbranch_execnz .LBB1733_34
.LBB1733_25:
	s_or_b32 exec_lo, exec_lo, s0
	s_and_saveexec_b32 s0, s5
	s_cbranch_execnz .LBB1733_35
.LBB1733_26:
	s_or_b32 exec_lo, exec_lo, s0
	s_and_saveexec_b32 s0, s6
	s_cbranch_execz .LBB1733_28
.LBB1733_27:
	v_lshrrev_b32_e32 v2, 24, v2
	global_store_b8 v[0:1], v2, off offset:896
.LBB1733_28:
	s_endpgm
.LBB1733_29:
	global_store_b8 v[0:1], v3, off
	s_wait_xcnt 0x0
	s_or_b32 exec_lo, exec_lo, s7
	s_and_saveexec_b32 s7, s0
	s_cbranch_execz .LBB1733_21
.LBB1733_30:
	v_lshrrev_b32_e32 v4, 8, v3
	global_store_b8 v[0:1], v4, off offset:128
	s_wait_xcnt 0x0
	s_or_b32 exec_lo, exec_lo, s7
	s_and_saveexec_b32 s0, s1
	s_cbranch_execz .LBB1733_22
.LBB1733_31:
	global_store_d16_hi_b8 v[0:1], v3, off offset:256
	s_wait_xcnt 0x0
	s_or_b32 exec_lo, exec_lo, s0
	s_and_saveexec_b32 s0, s2
	s_cbranch_execz .LBB1733_23
.LBB1733_32:
	v_lshrrev_b32_e32 v3, 24, v3
	global_store_b8 v[0:1], v3, off offset:384
	s_wait_xcnt 0x0
	s_or_b32 exec_lo, exec_lo, s0
	s_and_saveexec_b32 s0, s3
	s_cbranch_execz .LBB1733_24
.LBB1733_33:
	global_store_b8 v[0:1], v2, off offset:512
	s_wait_xcnt 0x0
	s_or_b32 exec_lo, exec_lo, s0
	s_and_saveexec_b32 s0, s4
	s_cbranch_execz .LBB1733_25
.LBB1733_34:
	v_lshrrev_b32_e32 v3, 8, v2
	global_store_b8 v[0:1], v3, off offset:640
	s_wait_xcnt 0x0
	s_or_b32 exec_lo, exec_lo, s0
	s_and_saveexec_b32 s0, s5
	s_cbranch_execz .LBB1733_26
.LBB1733_35:
	global_store_d16_hi_b8 v[0:1], v2, off offset:768
	s_wait_xcnt 0x0
	s_or_b32 exec_lo, exec_lo, s0
	s_and_saveexec_b32 s0, s6
	s_cbranch_execnz .LBB1733_27
	s_branch .LBB1733_28
	.section	.rodata,"a",@progbits
	.p2align	6, 0x0
	.amdhsa_kernel _ZN7rocprim17ROCPRIM_400000_NS6detail17trampoline_kernelINS0_14default_configENS1_25transform_config_selectorIbLb1EEEZNS1_14transform_implILb1ES3_S5_PKbPbNS0_8identityIbEEEE10hipError_tT2_T3_mT4_P12ihipStream_tbEUlT_E_NS1_11comp_targetILNS1_3genE0ELNS1_11target_archE4294967295ELNS1_3gpuE0ELNS1_3repE0EEENS1_30default_config_static_selectorELNS0_4arch9wavefront6targetE0EEEvT1_
		.amdhsa_group_segment_fixed_size 0
		.amdhsa_private_segment_fixed_size 0
		.amdhsa_kernarg_size 296
		.amdhsa_user_sgpr_count 2
		.amdhsa_user_sgpr_dispatch_ptr 0
		.amdhsa_user_sgpr_queue_ptr 0
		.amdhsa_user_sgpr_kernarg_segment_ptr 1
		.amdhsa_user_sgpr_dispatch_id 0
		.amdhsa_user_sgpr_kernarg_preload_length 0
		.amdhsa_user_sgpr_kernarg_preload_offset 0
		.amdhsa_user_sgpr_private_segment_size 0
		.amdhsa_wavefront_size32 1
		.amdhsa_uses_dynamic_stack 0
		.amdhsa_enable_private_segment 0
		.amdhsa_system_sgpr_workgroup_id_x 1
		.amdhsa_system_sgpr_workgroup_id_y 0
		.amdhsa_system_sgpr_workgroup_id_z 0
		.amdhsa_system_sgpr_workgroup_info 0
		.amdhsa_system_vgpr_workitem_id 0
		.amdhsa_next_free_vgpr 12
		.amdhsa_next_free_sgpr 14
		.amdhsa_named_barrier_count 0
		.amdhsa_reserve_vcc 1
		.amdhsa_float_round_mode_32 0
		.amdhsa_float_round_mode_16_64 0
		.amdhsa_float_denorm_mode_32 3
		.amdhsa_float_denorm_mode_16_64 3
		.amdhsa_fp16_overflow 0
		.amdhsa_memory_ordered 1
		.amdhsa_forward_progress 1
		.amdhsa_inst_pref_size 11
		.amdhsa_round_robin_scheduling 0
		.amdhsa_exception_fp_ieee_invalid_op 0
		.amdhsa_exception_fp_denorm_src 0
		.amdhsa_exception_fp_ieee_div_zero 0
		.amdhsa_exception_fp_ieee_overflow 0
		.amdhsa_exception_fp_ieee_underflow 0
		.amdhsa_exception_fp_ieee_inexact 0
		.amdhsa_exception_int_div_zero 0
	.end_amdhsa_kernel
	.section	.text._ZN7rocprim17ROCPRIM_400000_NS6detail17trampoline_kernelINS0_14default_configENS1_25transform_config_selectorIbLb1EEEZNS1_14transform_implILb1ES3_S5_PKbPbNS0_8identityIbEEEE10hipError_tT2_T3_mT4_P12ihipStream_tbEUlT_E_NS1_11comp_targetILNS1_3genE0ELNS1_11target_archE4294967295ELNS1_3gpuE0ELNS1_3repE0EEENS1_30default_config_static_selectorELNS0_4arch9wavefront6targetE0EEEvT1_,"axG",@progbits,_ZN7rocprim17ROCPRIM_400000_NS6detail17trampoline_kernelINS0_14default_configENS1_25transform_config_selectorIbLb1EEEZNS1_14transform_implILb1ES3_S5_PKbPbNS0_8identityIbEEEE10hipError_tT2_T3_mT4_P12ihipStream_tbEUlT_E_NS1_11comp_targetILNS1_3genE0ELNS1_11target_archE4294967295ELNS1_3gpuE0ELNS1_3repE0EEENS1_30default_config_static_selectorELNS0_4arch9wavefront6targetE0EEEvT1_,comdat
.Lfunc_end1733:
	.size	_ZN7rocprim17ROCPRIM_400000_NS6detail17trampoline_kernelINS0_14default_configENS1_25transform_config_selectorIbLb1EEEZNS1_14transform_implILb1ES3_S5_PKbPbNS0_8identityIbEEEE10hipError_tT2_T3_mT4_P12ihipStream_tbEUlT_E_NS1_11comp_targetILNS1_3genE0ELNS1_11target_archE4294967295ELNS1_3gpuE0ELNS1_3repE0EEENS1_30default_config_static_selectorELNS0_4arch9wavefront6targetE0EEEvT1_, .Lfunc_end1733-_ZN7rocprim17ROCPRIM_400000_NS6detail17trampoline_kernelINS0_14default_configENS1_25transform_config_selectorIbLb1EEEZNS1_14transform_implILb1ES3_S5_PKbPbNS0_8identityIbEEEE10hipError_tT2_T3_mT4_P12ihipStream_tbEUlT_E_NS1_11comp_targetILNS1_3genE0ELNS1_11target_archE4294967295ELNS1_3gpuE0ELNS1_3repE0EEENS1_30default_config_static_selectorELNS0_4arch9wavefront6targetE0EEEvT1_
                                        ; -- End function
	.set _ZN7rocprim17ROCPRIM_400000_NS6detail17trampoline_kernelINS0_14default_configENS1_25transform_config_selectorIbLb1EEEZNS1_14transform_implILb1ES3_S5_PKbPbNS0_8identityIbEEEE10hipError_tT2_T3_mT4_P12ihipStream_tbEUlT_E_NS1_11comp_targetILNS1_3genE0ELNS1_11target_archE4294967295ELNS1_3gpuE0ELNS1_3repE0EEENS1_30default_config_static_selectorELNS0_4arch9wavefront6targetE0EEEvT1_.num_vgpr, 12
	.set _ZN7rocprim17ROCPRIM_400000_NS6detail17trampoline_kernelINS0_14default_configENS1_25transform_config_selectorIbLb1EEEZNS1_14transform_implILb1ES3_S5_PKbPbNS0_8identityIbEEEE10hipError_tT2_T3_mT4_P12ihipStream_tbEUlT_E_NS1_11comp_targetILNS1_3genE0ELNS1_11target_archE4294967295ELNS1_3gpuE0ELNS1_3repE0EEENS1_30default_config_static_selectorELNS0_4arch9wavefront6targetE0EEEvT1_.num_agpr, 0
	.set _ZN7rocprim17ROCPRIM_400000_NS6detail17trampoline_kernelINS0_14default_configENS1_25transform_config_selectorIbLb1EEEZNS1_14transform_implILb1ES3_S5_PKbPbNS0_8identityIbEEEE10hipError_tT2_T3_mT4_P12ihipStream_tbEUlT_E_NS1_11comp_targetILNS1_3genE0ELNS1_11target_archE4294967295ELNS1_3gpuE0ELNS1_3repE0EEENS1_30default_config_static_selectorELNS0_4arch9wavefront6targetE0EEEvT1_.numbered_sgpr, 14
	.set _ZN7rocprim17ROCPRIM_400000_NS6detail17trampoline_kernelINS0_14default_configENS1_25transform_config_selectorIbLb1EEEZNS1_14transform_implILb1ES3_S5_PKbPbNS0_8identityIbEEEE10hipError_tT2_T3_mT4_P12ihipStream_tbEUlT_E_NS1_11comp_targetILNS1_3genE0ELNS1_11target_archE4294967295ELNS1_3gpuE0ELNS1_3repE0EEENS1_30default_config_static_selectorELNS0_4arch9wavefront6targetE0EEEvT1_.num_named_barrier, 0
	.set _ZN7rocprim17ROCPRIM_400000_NS6detail17trampoline_kernelINS0_14default_configENS1_25transform_config_selectorIbLb1EEEZNS1_14transform_implILb1ES3_S5_PKbPbNS0_8identityIbEEEE10hipError_tT2_T3_mT4_P12ihipStream_tbEUlT_E_NS1_11comp_targetILNS1_3genE0ELNS1_11target_archE4294967295ELNS1_3gpuE0ELNS1_3repE0EEENS1_30default_config_static_selectorELNS0_4arch9wavefront6targetE0EEEvT1_.private_seg_size, 0
	.set _ZN7rocprim17ROCPRIM_400000_NS6detail17trampoline_kernelINS0_14default_configENS1_25transform_config_selectorIbLb1EEEZNS1_14transform_implILb1ES3_S5_PKbPbNS0_8identityIbEEEE10hipError_tT2_T3_mT4_P12ihipStream_tbEUlT_E_NS1_11comp_targetILNS1_3genE0ELNS1_11target_archE4294967295ELNS1_3gpuE0ELNS1_3repE0EEENS1_30default_config_static_selectorELNS0_4arch9wavefront6targetE0EEEvT1_.uses_vcc, 1
	.set _ZN7rocprim17ROCPRIM_400000_NS6detail17trampoline_kernelINS0_14default_configENS1_25transform_config_selectorIbLb1EEEZNS1_14transform_implILb1ES3_S5_PKbPbNS0_8identityIbEEEE10hipError_tT2_T3_mT4_P12ihipStream_tbEUlT_E_NS1_11comp_targetILNS1_3genE0ELNS1_11target_archE4294967295ELNS1_3gpuE0ELNS1_3repE0EEENS1_30default_config_static_selectorELNS0_4arch9wavefront6targetE0EEEvT1_.uses_flat_scratch, 0
	.set _ZN7rocprim17ROCPRIM_400000_NS6detail17trampoline_kernelINS0_14default_configENS1_25transform_config_selectorIbLb1EEEZNS1_14transform_implILb1ES3_S5_PKbPbNS0_8identityIbEEEE10hipError_tT2_T3_mT4_P12ihipStream_tbEUlT_E_NS1_11comp_targetILNS1_3genE0ELNS1_11target_archE4294967295ELNS1_3gpuE0ELNS1_3repE0EEENS1_30default_config_static_selectorELNS0_4arch9wavefront6targetE0EEEvT1_.has_dyn_sized_stack, 0
	.set _ZN7rocprim17ROCPRIM_400000_NS6detail17trampoline_kernelINS0_14default_configENS1_25transform_config_selectorIbLb1EEEZNS1_14transform_implILb1ES3_S5_PKbPbNS0_8identityIbEEEE10hipError_tT2_T3_mT4_P12ihipStream_tbEUlT_E_NS1_11comp_targetILNS1_3genE0ELNS1_11target_archE4294967295ELNS1_3gpuE0ELNS1_3repE0EEENS1_30default_config_static_selectorELNS0_4arch9wavefront6targetE0EEEvT1_.has_recursion, 0
	.set _ZN7rocprim17ROCPRIM_400000_NS6detail17trampoline_kernelINS0_14default_configENS1_25transform_config_selectorIbLb1EEEZNS1_14transform_implILb1ES3_S5_PKbPbNS0_8identityIbEEEE10hipError_tT2_T3_mT4_P12ihipStream_tbEUlT_E_NS1_11comp_targetILNS1_3genE0ELNS1_11target_archE4294967295ELNS1_3gpuE0ELNS1_3repE0EEENS1_30default_config_static_selectorELNS0_4arch9wavefront6targetE0EEEvT1_.has_indirect_call, 0
	.section	.AMDGPU.csdata,"",@progbits
; Kernel info:
; codeLenInByte = 1300
; TotalNumSgprs: 16
; NumVgprs: 12
; ScratchSize: 0
; MemoryBound: 0
; FloatMode: 240
; IeeeMode: 1
; LDSByteSize: 0 bytes/workgroup (compile time only)
; SGPRBlocks: 0
; VGPRBlocks: 0
; NumSGPRsForWavesPerEU: 16
; NumVGPRsForWavesPerEU: 12
; NamedBarCnt: 0
; Occupancy: 16
; WaveLimiterHint : 0
; COMPUTE_PGM_RSRC2:SCRATCH_EN: 0
; COMPUTE_PGM_RSRC2:USER_SGPR: 2
; COMPUTE_PGM_RSRC2:TRAP_HANDLER: 0
; COMPUTE_PGM_RSRC2:TGID_X_EN: 1
; COMPUTE_PGM_RSRC2:TGID_Y_EN: 0
; COMPUTE_PGM_RSRC2:TGID_Z_EN: 0
; COMPUTE_PGM_RSRC2:TIDIG_COMP_CNT: 0
	.section	.text._ZN7rocprim17ROCPRIM_400000_NS6detail17trampoline_kernelINS0_14default_configENS1_25transform_config_selectorIbLb1EEEZNS1_14transform_implILb1ES3_S5_PKbPbNS0_8identityIbEEEE10hipError_tT2_T3_mT4_P12ihipStream_tbEUlT_E_NS1_11comp_targetILNS1_3genE10ELNS1_11target_archE1201ELNS1_3gpuE5ELNS1_3repE0EEENS1_30default_config_static_selectorELNS0_4arch9wavefront6targetE0EEEvT1_,"axG",@progbits,_ZN7rocprim17ROCPRIM_400000_NS6detail17trampoline_kernelINS0_14default_configENS1_25transform_config_selectorIbLb1EEEZNS1_14transform_implILb1ES3_S5_PKbPbNS0_8identityIbEEEE10hipError_tT2_T3_mT4_P12ihipStream_tbEUlT_E_NS1_11comp_targetILNS1_3genE10ELNS1_11target_archE1201ELNS1_3gpuE5ELNS1_3repE0EEENS1_30default_config_static_selectorELNS0_4arch9wavefront6targetE0EEEvT1_,comdat
	.protected	_ZN7rocprim17ROCPRIM_400000_NS6detail17trampoline_kernelINS0_14default_configENS1_25transform_config_selectorIbLb1EEEZNS1_14transform_implILb1ES3_S5_PKbPbNS0_8identityIbEEEE10hipError_tT2_T3_mT4_P12ihipStream_tbEUlT_E_NS1_11comp_targetILNS1_3genE10ELNS1_11target_archE1201ELNS1_3gpuE5ELNS1_3repE0EEENS1_30default_config_static_selectorELNS0_4arch9wavefront6targetE0EEEvT1_ ; -- Begin function _ZN7rocprim17ROCPRIM_400000_NS6detail17trampoline_kernelINS0_14default_configENS1_25transform_config_selectorIbLb1EEEZNS1_14transform_implILb1ES3_S5_PKbPbNS0_8identityIbEEEE10hipError_tT2_T3_mT4_P12ihipStream_tbEUlT_E_NS1_11comp_targetILNS1_3genE10ELNS1_11target_archE1201ELNS1_3gpuE5ELNS1_3repE0EEENS1_30default_config_static_selectorELNS0_4arch9wavefront6targetE0EEEvT1_
	.globl	_ZN7rocprim17ROCPRIM_400000_NS6detail17trampoline_kernelINS0_14default_configENS1_25transform_config_selectorIbLb1EEEZNS1_14transform_implILb1ES3_S5_PKbPbNS0_8identityIbEEEE10hipError_tT2_T3_mT4_P12ihipStream_tbEUlT_E_NS1_11comp_targetILNS1_3genE10ELNS1_11target_archE1201ELNS1_3gpuE5ELNS1_3repE0EEENS1_30default_config_static_selectorELNS0_4arch9wavefront6targetE0EEEvT1_
	.p2align	8
	.type	_ZN7rocprim17ROCPRIM_400000_NS6detail17trampoline_kernelINS0_14default_configENS1_25transform_config_selectorIbLb1EEEZNS1_14transform_implILb1ES3_S5_PKbPbNS0_8identityIbEEEE10hipError_tT2_T3_mT4_P12ihipStream_tbEUlT_E_NS1_11comp_targetILNS1_3genE10ELNS1_11target_archE1201ELNS1_3gpuE5ELNS1_3repE0EEENS1_30default_config_static_selectorELNS0_4arch9wavefront6targetE0EEEvT1_,@function
_ZN7rocprim17ROCPRIM_400000_NS6detail17trampoline_kernelINS0_14default_configENS1_25transform_config_selectorIbLb1EEEZNS1_14transform_implILb1ES3_S5_PKbPbNS0_8identityIbEEEE10hipError_tT2_T3_mT4_P12ihipStream_tbEUlT_E_NS1_11comp_targetILNS1_3genE10ELNS1_11target_archE1201ELNS1_3gpuE5ELNS1_3repE0EEENS1_30default_config_static_selectorELNS0_4arch9wavefront6targetE0EEEvT1_: ; @_ZN7rocprim17ROCPRIM_400000_NS6detail17trampoline_kernelINS0_14default_configENS1_25transform_config_selectorIbLb1EEEZNS1_14transform_implILb1ES3_S5_PKbPbNS0_8identityIbEEEE10hipError_tT2_T3_mT4_P12ihipStream_tbEUlT_E_NS1_11comp_targetILNS1_3genE10ELNS1_11target_archE1201ELNS1_3gpuE5ELNS1_3repE0EEENS1_30default_config_static_selectorELNS0_4arch9wavefront6targetE0EEEvT1_
; %bb.0:
	.section	.rodata,"a",@progbits
	.p2align	6, 0x0
	.amdhsa_kernel _ZN7rocprim17ROCPRIM_400000_NS6detail17trampoline_kernelINS0_14default_configENS1_25transform_config_selectorIbLb1EEEZNS1_14transform_implILb1ES3_S5_PKbPbNS0_8identityIbEEEE10hipError_tT2_T3_mT4_P12ihipStream_tbEUlT_E_NS1_11comp_targetILNS1_3genE10ELNS1_11target_archE1201ELNS1_3gpuE5ELNS1_3repE0EEENS1_30default_config_static_selectorELNS0_4arch9wavefront6targetE0EEEvT1_
		.amdhsa_group_segment_fixed_size 0
		.amdhsa_private_segment_fixed_size 0
		.amdhsa_kernarg_size 40
		.amdhsa_user_sgpr_count 2
		.amdhsa_user_sgpr_dispatch_ptr 0
		.amdhsa_user_sgpr_queue_ptr 0
		.amdhsa_user_sgpr_kernarg_segment_ptr 1
		.amdhsa_user_sgpr_dispatch_id 0
		.amdhsa_user_sgpr_kernarg_preload_length 0
		.amdhsa_user_sgpr_kernarg_preload_offset 0
		.amdhsa_user_sgpr_private_segment_size 0
		.amdhsa_wavefront_size32 1
		.amdhsa_uses_dynamic_stack 0
		.amdhsa_enable_private_segment 0
		.amdhsa_system_sgpr_workgroup_id_x 1
		.amdhsa_system_sgpr_workgroup_id_y 0
		.amdhsa_system_sgpr_workgroup_id_z 0
		.amdhsa_system_sgpr_workgroup_info 0
		.amdhsa_system_vgpr_workitem_id 0
		.amdhsa_next_free_vgpr 1
		.amdhsa_next_free_sgpr 1
		.amdhsa_named_barrier_count 0
		.amdhsa_reserve_vcc 0
		.amdhsa_float_round_mode_32 0
		.amdhsa_float_round_mode_16_64 0
		.amdhsa_float_denorm_mode_32 3
		.amdhsa_float_denorm_mode_16_64 3
		.amdhsa_fp16_overflow 0
		.amdhsa_memory_ordered 1
		.amdhsa_forward_progress 1
		.amdhsa_inst_pref_size 0
		.amdhsa_round_robin_scheduling 0
		.amdhsa_exception_fp_ieee_invalid_op 0
		.amdhsa_exception_fp_denorm_src 0
		.amdhsa_exception_fp_ieee_div_zero 0
		.amdhsa_exception_fp_ieee_overflow 0
		.amdhsa_exception_fp_ieee_underflow 0
		.amdhsa_exception_fp_ieee_inexact 0
		.amdhsa_exception_int_div_zero 0
	.end_amdhsa_kernel
	.section	.text._ZN7rocprim17ROCPRIM_400000_NS6detail17trampoline_kernelINS0_14default_configENS1_25transform_config_selectorIbLb1EEEZNS1_14transform_implILb1ES3_S5_PKbPbNS0_8identityIbEEEE10hipError_tT2_T3_mT4_P12ihipStream_tbEUlT_E_NS1_11comp_targetILNS1_3genE10ELNS1_11target_archE1201ELNS1_3gpuE5ELNS1_3repE0EEENS1_30default_config_static_selectorELNS0_4arch9wavefront6targetE0EEEvT1_,"axG",@progbits,_ZN7rocprim17ROCPRIM_400000_NS6detail17trampoline_kernelINS0_14default_configENS1_25transform_config_selectorIbLb1EEEZNS1_14transform_implILb1ES3_S5_PKbPbNS0_8identityIbEEEE10hipError_tT2_T3_mT4_P12ihipStream_tbEUlT_E_NS1_11comp_targetILNS1_3genE10ELNS1_11target_archE1201ELNS1_3gpuE5ELNS1_3repE0EEENS1_30default_config_static_selectorELNS0_4arch9wavefront6targetE0EEEvT1_,comdat
.Lfunc_end1734:
	.size	_ZN7rocprim17ROCPRIM_400000_NS6detail17trampoline_kernelINS0_14default_configENS1_25transform_config_selectorIbLb1EEEZNS1_14transform_implILb1ES3_S5_PKbPbNS0_8identityIbEEEE10hipError_tT2_T3_mT4_P12ihipStream_tbEUlT_E_NS1_11comp_targetILNS1_3genE10ELNS1_11target_archE1201ELNS1_3gpuE5ELNS1_3repE0EEENS1_30default_config_static_selectorELNS0_4arch9wavefront6targetE0EEEvT1_, .Lfunc_end1734-_ZN7rocprim17ROCPRIM_400000_NS6detail17trampoline_kernelINS0_14default_configENS1_25transform_config_selectorIbLb1EEEZNS1_14transform_implILb1ES3_S5_PKbPbNS0_8identityIbEEEE10hipError_tT2_T3_mT4_P12ihipStream_tbEUlT_E_NS1_11comp_targetILNS1_3genE10ELNS1_11target_archE1201ELNS1_3gpuE5ELNS1_3repE0EEENS1_30default_config_static_selectorELNS0_4arch9wavefront6targetE0EEEvT1_
                                        ; -- End function
	.set _ZN7rocprim17ROCPRIM_400000_NS6detail17trampoline_kernelINS0_14default_configENS1_25transform_config_selectorIbLb1EEEZNS1_14transform_implILb1ES3_S5_PKbPbNS0_8identityIbEEEE10hipError_tT2_T3_mT4_P12ihipStream_tbEUlT_E_NS1_11comp_targetILNS1_3genE10ELNS1_11target_archE1201ELNS1_3gpuE5ELNS1_3repE0EEENS1_30default_config_static_selectorELNS0_4arch9wavefront6targetE0EEEvT1_.num_vgpr, 0
	.set _ZN7rocprim17ROCPRIM_400000_NS6detail17trampoline_kernelINS0_14default_configENS1_25transform_config_selectorIbLb1EEEZNS1_14transform_implILb1ES3_S5_PKbPbNS0_8identityIbEEEE10hipError_tT2_T3_mT4_P12ihipStream_tbEUlT_E_NS1_11comp_targetILNS1_3genE10ELNS1_11target_archE1201ELNS1_3gpuE5ELNS1_3repE0EEENS1_30default_config_static_selectorELNS0_4arch9wavefront6targetE0EEEvT1_.num_agpr, 0
	.set _ZN7rocprim17ROCPRIM_400000_NS6detail17trampoline_kernelINS0_14default_configENS1_25transform_config_selectorIbLb1EEEZNS1_14transform_implILb1ES3_S5_PKbPbNS0_8identityIbEEEE10hipError_tT2_T3_mT4_P12ihipStream_tbEUlT_E_NS1_11comp_targetILNS1_3genE10ELNS1_11target_archE1201ELNS1_3gpuE5ELNS1_3repE0EEENS1_30default_config_static_selectorELNS0_4arch9wavefront6targetE0EEEvT1_.numbered_sgpr, 0
	.set _ZN7rocprim17ROCPRIM_400000_NS6detail17trampoline_kernelINS0_14default_configENS1_25transform_config_selectorIbLb1EEEZNS1_14transform_implILb1ES3_S5_PKbPbNS0_8identityIbEEEE10hipError_tT2_T3_mT4_P12ihipStream_tbEUlT_E_NS1_11comp_targetILNS1_3genE10ELNS1_11target_archE1201ELNS1_3gpuE5ELNS1_3repE0EEENS1_30default_config_static_selectorELNS0_4arch9wavefront6targetE0EEEvT1_.num_named_barrier, 0
	.set _ZN7rocprim17ROCPRIM_400000_NS6detail17trampoline_kernelINS0_14default_configENS1_25transform_config_selectorIbLb1EEEZNS1_14transform_implILb1ES3_S5_PKbPbNS0_8identityIbEEEE10hipError_tT2_T3_mT4_P12ihipStream_tbEUlT_E_NS1_11comp_targetILNS1_3genE10ELNS1_11target_archE1201ELNS1_3gpuE5ELNS1_3repE0EEENS1_30default_config_static_selectorELNS0_4arch9wavefront6targetE0EEEvT1_.private_seg_size, 0
	.set _ZN7rocprim17ROCPRIM_400000_NS6detail17trampoline_kernelINS0_14default_configENS1_25transform_config_selectorIbLb1EEEZNS1_14transform_implILb1ES3_S5_PKbPbNS0_8identityIbEEEE10hipError_tT2_T3_mT4_P12ihipStream_tbEUlT_E_NS1_11comp_targetILNS1_3genE10ELNS1_11target_archE1201ELNS1_3gpuE5ELNS1_3repE0EEENS1_30default_config_static_selectorELNS0_4arch9wavefront6targetE0EEEvT1_.uses_vcc, 0
	.set _ZN7rocprim17ROCPRIM_400000_NS6detail17trampoline_kernelINS0_14default_configENS1_25transform_config_selectorIbLb1EEEZNS1_14transform_implILb1ES3_S5_PKbPbNS0_8identityIbEEEE10hipError_tT2_T3_mT4_P12ihipStream_tbEUlT_E_NS1_11comp_targetILNS1_3genE10ELNS1_11target_archE1201ELNS1_3gpuE5ELNS1_3repE0EEENS1_30default_config_static_selectorELNS0_4arch9wavefront6targetE0EEEvT1_.uses_flat_scratch, 0
	.set _ZN7rocprim17ROCPRIM_400000_NS6detail17trampoline_kernelINS0_14default_configENS1_25transform_config_selectorIbLb1EEEZNS1_14transform_implILb1ES3_S5_PKbPbNS0_8identityIbEEEE10hipError_tT2_T3_mT4_P12ihipStream_tbEUlT_E_NS1_11comp_targetILNS1_3genE10ELNS1_11target_archE1201ELNS1_3gpuE5ELNS1_3repE0EEENS1_30default_config_static_selectorELNS0_4arch9wavefront6targetE0EEEvT1_.has_dyn_sized_stack, 0
	.set _ZN7rocprim17ROCPRIM_400000_NS6detail17trampoline_kernelINS0_14default_configENS1_25transform_config_selectorIbLb1EEEZNS1_14transform_implILb1ES3_S5_PKbPbNS0_8identityIbEEEE10hipError_tT2_T3_mT4_P12ihipStream_tbEUlT_E_NS1_11comp_targetILNS1_3genE10ELNS1_11target_archE1201ELNS1_3gpuE5ELNS1_3repE0EEENS1_30default_config_static_selectorELNS0_4arch9wavefront6targetE0EEEvT1_.has_recursion, 0
	.set _ZN7rocprim17ROCPRIM_400000_NS6detail17trampoline_kernelINS0_14default_configENS1_25transform_config_selectorIbLb1EEEZNS1_14transform_implILb1ES3_S5_PKbPbNS0_8identityIbEEEE10hipError_tT2_T3_mT4_P12ihipStream_tbEUlT_E_NS1_11comp_targetILNS1_3genE10ELNS1_11target_archE1201ELNS1_3gpuE5ELNS1_3repE0EEENS1_30default_config_static_selectorELNS0_4arch9wavefront6targetE0EEEvT1_.has_indirect_call, 0
	.section	.AMDGPU.csdata,"",@progbits
; Kernel info:
; codeLenInByte = 0
; TotalNumSgprs: 0
; NumVgprs: 0
; ScratchSize: 0
; MemoryBound: 0
; FloatMode: 240
; IeeeMode: 1
; LDSByteSize: 0 bytes/workgroup (compile time only)
; SGPRBlocks: 0
; VGPRBlocks: 0
; NumSGPRsForWavesPerEU: 1
; NumVGPRsForWavesPerEU: 1
; NamedBarCnt: 0
; Occupancy: 16
; WaveLimiterHint : 0
; COMPUTE_PGM_RSRC2:SCRATCH_EN: 0
; COMPUTE_PGM_RSRC2:USER_SGPR: 2
; COMPUTE_PGM_RSRC2:TRAP_HANDLER: 0
; COMPUTE_PGM_RSRC2:TGID_X_EN: 1
; COMPUTE_PGM_RSRC2:TGID_Y_EN: 0
; COMPUTE_PGM_RSRC2:TGID_Z_EN: 0
; COMPUTE_PGM_RSRC2:TIDIG_COMP_CNT: 0
	.section	.text._ZN7rocprim17ROCPRIM_400000_NS6detail17trampoline_kernelINS0_14default_configENS1_25transform_config_selectorIbLb1EEEZNS1_14transform_implILb1ES3_S5_PKbPbNS0_8identityIbEEEE10hipError_tT2_T3_mT4_P12ihipStream_tbEUlT_E_NS1_11comp_targetILNS1_3genE5ELNS1_11target_archE942ELNS1_3gpuE9ELNS1_3repE0EEENS1_30default_config_static_selectorELNS0_4arch9wavefront6targetE0EEEvT1_,"axG",@progbits,_ZN7rocprim17ROCPRIM_400000_NS6detail17trampoline_kernelINS0_14default_configENS1_25transform_config_selectorIbLb1EEEZNS1_14transform_implILb1ES3_S5_PKbPbNS0_8identityIbEEEE10hipError_tT2_T3_mT4_P12ihipStream_tbEUlT_E_NS1_11comp_targetILNS1_3genE5ELNS1_11target_archE942ELNS1_3gpuE9ELNS1_3repE0EEENS1_30default_config_static_selectorELNS0_4arch9wavefront6targetE0EEEvT1_,comdat
	.protected	_ZN7rocprim17ROCPRIM_400000_NS6detail17trampoline_kernelINS0_14default_configENS1_25transform_config_selectorIbLb1EEEZNS1_14transform_implILb1ES3_S5_PKbPbNS0_8identityIbEEEE10hipError_tT2_T3_mT4_P12ihipStream_tbEUlT_E_NS1_11comp_targetILNS1_3genE5ELNS1_11target_archE942ELNS1_3gpuE9ELNS1_3repE0EEENS1_30default_config_static_selectorELNS0_4arch9wavefront6targetE0EEEvT1_ ; -- Begin function _ZN7rocprim17ROCPRIM_400000_NS6detail17trampoline_kernelINS0_14default_configENS1_25transform_config_selectorIbLb1EEEZNS1_14transform_implILb1ES3_S5_PKbPbNS0_8identityIbEEEE10hipError_tT2_T3_mT4_P12ihipStream_tbEUlT_E_NS1_11comp_targetILNS1_3genE5ELNS1_11target_archE942ELNS1_3gpuE9ELNS1_3repE0EEENS1_30default_config_static_selectorELNS0_4arch9wavefront6targetE0EEEvT1_
	.globl	_ZN7rocprim17ROCPRIM_400000_NS6detail17trampoline_kernelINS0_14default_configENS1_25transform_config_selectorIbLb1EEEZNS1_14transform_implILb1ES3_S5_PKbPbNS0_8identityIbEEEE10hipError_tT2_T3_mT4_P12ihipStream_tbEUlT_E_NS1_11comp_targetILNS1_3genE5ELNS1_11target_archE942ELNS1_3gpuE9ELNS1_3repE0EEENS1_30default_config_static_selectorELNS0_4arch9wavefront6targetE0EEEvT1_
	.p2align	8
	.type	_ZN7rocprim17ROCPRIM_400000_NS6detail17trampoline_kernelINS0_14default_configENS1_25transform_config_selectorIbLb1EEEZNS1_14transform_implILb1ES3_S5_PKbPbNS0_8identityIbEEEE10hipError_tT2_T3_mT4_P12ihipStream_tbEUlT_E_NS1_11comp_targetILNS1_3genE5ELNS1_11target_archE942ELNS1_3gpuE9ELNS1_3repE0EEENS1_30default_config_static_selectorELNS0_4arch9wavefront6targetE0EEEvT1_,@function
_ZN7rocprim17ROCPRIM_400000_NS6detail17trampoline_kernelINS0_14default_configENS1_25transform_config_selectorIbLb1EEEZNS1_14transform_implILb1ES3_S5_PKbPbNS0_8identityIbEEEE10hipError_tT2_T3_mT4_P12ihipStream_tbEUlT_E_NS1_11comp_targetILNS1_3genE5ELNS1_11target_archE942ELNS1_3gpuE9ELNS1_3repE0EEENS1_30default_config_static_selectorELNS0_4arch9wavefront6targetE0EEEvT1_: ; @_ZN7rocprim17ROCPRIM_400000_NS6detail17trampoline_kernelINS0_14default_configENS1_25transform_config_selectorIbLb1EEEZNS1_14transform_implILb1ES3_S5_PKbPbNS0_8identityIbEEEE10hipError_tT2_T3_mT4_P12ihipStream_tbEUlT_E_NS1_11comp_targetILNS1_3genE5ELNS1_11target_archE942ELNS1_3gpuE9ELNS1_3repE0EEENS1_30default_config_static_selectorELNS0_4arch9wavefront6targetE0EEEvT1_
; %bb.0:
	.section	.rodata,"a",@progbits
	.p2align	6, 0x0
	.amdhsa_kernel _ZN7rocprim17ROCPRIM_400000_NS6detail17trampoline_kernelINS0_14default_configENS1_25transform_config_selectorIbLb1EEEZNS1_14transform_implILb1ES3_S5_PKbPbNS0_8identityIbEEEE10hipError_tT2_T3_mT4_P12ihipStream_tbEUlT_E_NS1_11comp_targetILNS1_3genE5ELNS1_11target_archE942ELNS1_3gpuE9ELNS1_3repE0EEENS1_30default_config_static_selectorELNS0_4arch9wavefront6targetE0EEEvT1_
		.amdhsa_group_segment_fixed_size 0
		.amdhsa_private_segment_fixed_size 0
		.amdhsa_kernarg_size 40
		.amdhsa_user_sgpr_count 2
		.amdhsa_user_sgpr_dispatch_ptr 0
		.amdhsa_user_sgpr_queue_ptr 0
		.amdhsa_user_sgpr_kernarg_segment_ptr 1
		.amdhsa_user_sgpr_dispatch_id 0
		.amdhsa_user_sgpr_kernarg_preload_length 0
		.amdhsa_user_sgpr_kernarg_preload_offset 0
		.amdhsa_user_sgpr_private_segment_size 0
		.amdhsa_wavefront_size32 1
		.amdhsa_uses_dynamic_stack 0
		.amdhsa_enable_private_segment 0
		.amdhsa_system_sgpr_workgroup_id_x 1
		.amdhsa_system_sgpr_workgroup_id_y 0
		.amdhsa_system_sgpr_workgroup_id_z 0
		.amdhsa_system_sgpr_workgroup_info 0
		.amdhsa_system_vgpr_workitem_id 0
		.amdhsa_next_free_vgpr 1
		.amdhsa_next_free_sgpr 1
		.amdhsa_named_barrier_count 0
		.amdhsa_reserve_vcc 0
		.amdhsa_float_round_mode_32 0
		.amdhsa_float_round_mode_16_64 0
		.amdhsa_float_denorm_mode_32 3
		.amdhsa_float_denorm_mode_16_64 3
		.amdhsa_fp16_overflow 0
		.amdhsa_memory_ordered 1
		.amdhsa_forward_progress 1
		.amdhsa_inst_pref_size 0
		.amdhsa_round_robin_scheduling 0
		.amdhsa_exception_fp_ieee_invalid_op 0
		.amdhsa_exception_fp_denorm_src 0
		.amdhsa_exception_fp_ieee_div_zero 0
		.amdhsa_exception_fp_ieee_overflow 0
		.amdhsa_exception_fp_ieee_underflow 0
		.amdhsa_exception_fp_ieee_inexact 0
		.amdhsa_exception_int_div_zero 0
	.end_amdhsa_kernel
	.section	.text._ZN7rocprim17ROCPRIM_400000_NS6detail17trampoline_kernelINS0_14default_configENS1_25transform_config_selectorIbLb1EEEZNS1_14transform_implILb1ES3_S5_PKbPbNS0_8identityIbEEEE10hipError_tT2_T3_mT4_P12ihipStream_tbEUlT_E_NS1_11comp_targetILNS1_3genE5ELNS1_11target_archE942ELNS1_3gpuE9ELNS1_3repE0EEENS1_30default_config_static_selectorELNS0_4arch9wavefront6targetE0EEEvT1_,"axG",@progbits,_ZN7rocprim17ROCPRIM_400000_NS6detail17trampoline_kernelINS0_14default_configENS1_25transform_config_selectorIbLb1EEEZNS1_14transform_implILb1ES3_S5_PKbPbNS0_8identityIbEEEE10hipError_tT2_T3_mT4_P12ihipStream_tbEUlT_E_NS1_11comp_targetILNS1_3genE5ELNS1_11target_archE942ELNS1_3gpuE9ELNS1_3repE0EEENS1_30default_config_static_selectorELNS0_4arch9wavefront6targetE0EEEvT1_,comdat
.Lfunc_end1735:
	.size	_ZN7rocprim17ROCPRIM_400000_NS6detail17trampoline_kernelINS0_14default_configENS1_25transform_config_selectorIbLb1EEEZNS1_14transform_implILb1ES3_S5_PKbPbNS0_8identityIbEEEE10hipError_tT2_T3_mT4_P12ihipStream_tbEUlT_E_NS1_11comp_targetILNS1_3genE5ELNS1_11target_archE942ELNS1_3gpuE9ELNS1_3repE0EEENS1_30default_config_static_selectorELNS0_4arch9wavefront6targetE0EEEvT1_, .Lfunc_end1735-_ZN7rocprim17ROCPRIM_400000_NS6detail17trampoline_kernelINS0_14default_configENS1_25transform_config_selectorIbLb1EEEZNS1_14transform_implILb1ES3_S5_PKbPbNS0_8identityIbEEEE10hipError_tT2_T3_mT4_P12ihipStream_tbEUlT_E_NS1_11comp_targetILNS1_3genE5ELNS1_11target_archE942ELNS1_3gpuE9ELNS1_3repE0EEENS1_30default_config_static_selectorELNS0_4arch9wavefront6targetE0EEEvT1_
                                        ; -- End function
	.set _ZN7rocprim17ROCPRIM_400000_NS6detail17trampoline_kernelINS0_14default_configENS1_25transform_config_selectorIbLb1EEEZNS1_14transform_implILb1ES3_S5_PKbPbNS0_8identityIbEEEE10hipError_tT2_T3_mT4_P12ihipStream_tbEUlT_E_NS1_11comp_targetILNS1_3genE5ELNS1_11target_archE942ELNS1_3gpuE9ELNS1_3repE0EEENS1_30default_config_static_selectorELNS0_4arch9wavefront6targetE0EEEvT1_.num_vgpr, 0
	.set _ZN7rocprim17ROCPRIM_400000_NS6detail17trampoline_kernelINS0_14default_configENS1_25transform_config_selectorIbLb1EEEZNS1_14transform_implILb1ES3_S5_PKbPbNS0_8identityIbEEEE10hipError_tT2_T3_mT4_P12ihipStream_tbEUlT_E_NS1_11comp_targetILNS1_3genE5ELNS1_11target_archE942ELNS1_3gpuE9ELNS1_3repE0EEENS1_30default_config_static_selectorELNS0_4arch9wavefront6targetE0EEEvT1_.num_agpr, 0
	.set _ZN7rocprim17ROCPRIM_400000_NS6detail17trampoline_kernelINS0_14default_configENS1_25transform_config_selectorIbLb1EEEZNS1_14transform_implILb1ES3_S5_PKbPbNS0_8identityIbEEEE10hipError_tT2_T3_mT4_P12ihipStream_tbEUlT_E_NS1_11comp_targetILNS1_3genE5ELNS1_11target_archE942ELNS1_3gpuE9ELNS1_3repE0EEENS1_30default_config_static_selectorELNS0_4arch9wavefront6targetE0EEEvT1_.numbered_sgpr, 0
	.set _ZN7rocprim17ROCPRIM_400000_NS6detail17trampoline_kernelINS0_14default_configENS1_25transform_config_selectorIbLb1EEEZNS1_14transform_implILb1ES3_S5_PKbPbNS0_8identityIbEEEE10hipError_tT2_T3_mT4_P12ihipStream_tbEUlT_E_NS1_11comp_targetILNS1_3genE5ELNS1_11target_archE942ELNS1_3gpuE9ELNS1_3repE0EEENS1_30default_config_static_selectorELNS0_4arch9wavefront6targetE0EEEvT1_.num_named_barrier, 0
	.set _ZN7rocprim17ROCPRIM_400000_NS6detail17trampoline_kernelINS0_14default_configENS1_25transform_config_selectorIbLb1EEEZNS1_14transform_implILb1ES3_S5_PKbPbNS0_8identityIbEEEE10hipError_tT2_T3_mT4_P12ihipStream_tbEUlT_E_NS1_11comp_targetILNS1_3genE5ELNS1_11target_archE942ELNS1_3gpuE9ELNS1_3repE0EEENS1_30default_config_static_selectorELNS0_4arch9wavefront6targetE0EEEvT1_.private_seg_size, 0
	.set _ZN7rocprim17ROCPRIM_400000_NS6detail17trampoline_kernelINS0_14default_configENS1_25transform_config_selectorIbLb1EEEZNS1_14transform_implILb1ES3_S5_PKbPbNS0_8identityIbEEEE10hipError_tT2_T3_mT4_P12ihipStream_tbEUlT_E_NS1_11comp_targetILNS1_3genE5ELNS1_11target_archE942ELNS1_3gpuE9ELNS1_3repE0EEENS1_30default_config_static_selectorELNS0_4arch9wavefront6targetE0EEEvT1_.uses_vcc, 0
	.set _ZN7rocprim17ROCPRIM_400000_NS6detail17trampoline_kernelINS0_14default_configENS1_25transform_config_selectorIbLb1EEEZNS1_14transform_implILb1ES3_S5_PKbPbNS0_8identityIbEEEE10hipError_tT2_T3_mT4_P12ihipStream_tbEUlT_E_NS1_11comp_targetILNS1_3genE5ELNS1_11target_archE942ELNS1_3gpuE9ELNS1_3repE0EEENS1_30default_config_static_selectorELNS0_4arch9wavefront6targetE0EEEvT1_.uses_flat_scratch, 0
	.set _ZN7rocprim17ROCPRIM_400000_NS6detail17trampoline_kernelINS0_14default_configENS1_25transform_config_selectorIbLb1EEEZNS1_14transform_implILb1ES3_S5_PKbPbNS0_8identityIbEEEE10hipError_tT2_T3_mT4_P12ihipStream_tbEUlT_E_NS1_11comp_targetILNS1_3genE5ELNS1_11target_archE942ELNS1_3gpuE9ELNS1_3repE0EEENS1_30default_config_static_selectorELNS0_4arch9wavefront6targetE0EEEvT1_.has_dyn_sized_stack, 0
	.set _ZN7rocprim17ROCPRIM_400000_NS6detail17trampoline_kernelINS0_14default_configENS1_25transform_config_selectorIbLb1EEEZNS1_14transform_implILb1ES3_S5_PKbPbNS0_8identityIbEEEE10hipError_tT2_T3_mT4_P12ihipStream_tbEUlT_E_NS1_11comp_targetILNS1_3genE5ELNS1_11target_archE942ELNS1_3gpuE9ELNS1_3repE0EEENS1_30default_config_static_selectorELNS0_4arch9wavefront6targetE0EEEvT1_.has_recursion, 0
	.set _ZN7rocprim17ROCPRIM_400000_NS6detail17trampoline_kernelINS0_14default_configENS1_25transform_config_selectorIbLb1EEEZNS1_14transform_implILb1ES3_S5_PKbPbNS0_8identityIbEEEE10hipError_tT2_T3_mT4_P12ihipStream_tbEUlT_E_NS1_11comp_targetILNS1_3genE5ELNS1_11target_archE942ELNS1_3gpuE9ELNS1_3repE0EEENS1_30default_config_static_selectorELNS0_4arch9wavefront6targetE0EEEvT1_.has_indirect_call, 0
	.section	.AMDGPU.csdata,"",@progbits
; Kernel info:
; codeLenInByte = 0
; TotalNumSgprs: 0
; NumVgprs: 0
; ScratchSize: 0
; MemoryBound: 0
; FloatMode: 240
; IeeeMode: 1
; LDSByteSize: 0 bytes/workgroup (compile time only)
; SGPRBlocks: 0
; VGPRBlocks: 0
; NumSGPRsForWavesPerEU: 1
; NumVGPRsForWavesPerEU: 1
; NamedBarCnt: 0
; Occupancy: 16
; WaveLimiterHint : 0
; COMPUTE_PGM_RSRC2:SCRATCH_EN: 0
; COMPUTE_PGM_RSRC2:USER_SGPR: 2
; COMPUTE_PGM_RSRC2:TRAP_HANDLER: 0
; COMPUTE_PGM_RSRC2:TGID_X_EN: 1
; COMPUTE_PGM_RSRC2:TGID_Y_EN: 0
; COMPUTE_PGM_RSRC2:TGID_Z_EN: 0
; COMPUTE_PGM_RSRC2:TIDIG_COMP_CNT: 0
	.section	.text._ZN7rocprim17ROCPRIM_400000_NS6detail17trampoline_kernelINS0_14default_configENS1_25transform_config_selectorIbLb1EEEZNS1_14transform_implILb1ES3_S5_PKbPbNS0_8identityIbEEEE10hipError_tT2_T3_mT4_P12ihipStream_tbEUlT_E_NS1_11comp_targetILNS1_3genE4ELNS1_11target_archE910ELNS1_3gpuE8ELNS1_3repE0EEENS1_30default_config_static_selectorELNS0_4arch9wavefront6targetE0EEEvT1_,"axG",@progbits,_ZN7rocprim17ROCPRIM_400000_NS6detail17trampoline_kernelINS0_14default_configENS1_25transform_config_selectorIbLb1EEEZNS1_14transform_implILb1ES3_S5_PKbPbNS0_8identityIbEEEE10hipError_tT2_T3_mT4_P12ihipStream_tbEUlT_E_NS1_11comp_targetILNS1_3genE4ELNS1_11target_archE910ELNS1_3gpuE8ELNS1_3repE0EEENS1_30default_config_static_selectorELNS0_4arch9wavefront6targetE0EEEvT1_,comdat
	.protected	_ZN7rocprim17ROCPRIM_400000_NS6detail17trampoline_kernelINS0_14default_configENS1_25transform_config_selectorIbLb1EEEZNS1_14transform_implILb1ES3_S5_PKbPbNS0_8identityIbEEEE10hipError_tT2_T3_mT4_P12ihipStream_tbEUlT_E_NS1_11comp_targetILNS1_3genE4ELNS1_11target_archE910ELNS1_3gpuE8ELNS1_3repE0EEENS1_30default_config_static_selectorELNS0_4arch9wavefront6targetE0EEEvT1_ ; -- Begin function _ZN7rocprim17ROCPRIM_400000_NS6detail17trampoline_kernelINS0_14default_configENS1_25transform_config_selectorIbLb1EEEZNS1_14transform_implILb1ES3_S5_PKbPbNS0_8identityIbEEEE10hipError_tT2_T3_mT4_P12ihipStream_tbEUlT_E_NS1_11comp_targetILNS1_3genE4ELNS1_11target_archE910ELNS1_3gpuE8ELNS1_3repE0EEENS1_30default_config_static_selectorELNS0_4arch9wavefront6targetE0EEEvT1_
	.globl	_ZN7rocprim17ROCPRIM_400000_NS6detail17trampoline_kernelINS0_14default_configENS1_25transform_config_selectorIbLb1EEEZNS1_14transform_implILb1ES3_S5_PKbPbNS0_8identityIbEEEE10hipError_tT2_T3_mT4_P12ihipStream_tbEUlT_E_NS1_11comp_targetILNS1_3genE4ELNS1_11target_archE910ELNS1_3gpuE8ELNS1_3repE0EEENS1_30default_config_static_selectorELNS0_4arch9wavefront6targetE0EEEvT1_
	.p2align	8
	.type	_ZN7rocprim17ROCPRIM_400000_NS6detail17trampoline_kernelINS0_14default_configENS1_25transform_config_selectorIbLb1EEEZNS1_14transform_implILb1ES3_S5_PKbPbNS0_8identityIbEEEE10hipError_tT2_T3_mT4_P12ihipStream_tbEUlT_E_NS1_11comp_targetILNS1_3genE4ELNS1_11target_archE910ELNS1_3gpuE8ELNS1_3repE0EEENS1_30default_config_static_selectorELNS0_4arch9wavefront6targetE0EEEvT1_,@function
_ZN7rocprim17ROCPRIM_400000_NS6detail17trampoline_kernelINS0_14default_configENS1_25transform_config_selectorIbLb1EEEZNS1_14transform_implILb1ES3_S5_PKbPbNS0_8identityIbEEEE10hipError_tT2_T3_mT4_P12ihipStream_tbEUlT_E_NS1_11comp_targetILNS1_3genE4ELNS1_11target_archE910ELNS1_3gpuE8ELNS1_3repE0EEENS1_30default_config_static_selectorELNS0_4arch9wavefront6targetE0EEEvT1_: ; @_ZN7rocprim17ROCPRIM_400000_NS6detail17trampoline_kernelINS0_14default_configENS1_25transform_config_selectorIbLb1EEEZNS1_14transform_implILb1ES3_S5_PKbPbNS0_8identityIbEEEE10hipError_tT2_T3_mT4_P12ihipStream_tbEUlT_E_NS1_11comp_targetILNS1_3genE4ELNS1_11target_archE910ELNS1_3gpuE8ELNS1_3repE0EEENS1_30default_config_static_selectorELNS0_4arch9wavefront6targetE0EEEvT1_
; %bb.0:
	.section	.rodata,"a",@progbits
	.p2align	6, 0x0
	.amdhsa_kernel _ZN7rocprim17ROCPRIM_400000_NS6detail17trampoline_kernelINS0_14default_configENS1_25transform_config_selectorIbLb1EEEZNS1_14transform_implILb1ES3_S5_PKbPbNS0_8identityIbEEEE10hipError_tT2_T3_mT4_P12ihipStream_tbEUlT_E_NS1_11comp_targetILNS1_3genE4ELNS1_11target_archE910ELNS1_3gpuE8ELNS1_3repE0EEENS1_30default_config_static_selectorELNS0_4arch9wavefront6targetE0EEEvT1_
		.amdhsa_group_segment_fixed_size 0
		.amdhsa_private_segment_fixed_size 0
		.amdhsa_kernarg_size 40
		.amdhsa_user_sgpr_count 2
		.amdhsa_user_sgpr_dispatch_ptr 0
		.amdhsa_user_sgpr_queue_ptr 0
		.amdhsa_user_sgpr_kernarg_segment_ptr 1
		.amdhsa_user_sgpr_dispatch_id 0
		.amdhsa_user_sgpr_kernarg_preload_length 0
		.amdhsa_user_sgpr_kernarg_preload_offset 0
		.amdhsa_user_sgpr_private_segment_size 0
		.amdhsa_wavefront_size32 1
		.amdhsa_uses_dynamic_stack 0
		.amdhsa_enable_private_segment 0
		.amdhsa_system_sgpr_workgroup_id_x 1
		.amdhsa_system_sgpr_workgroup_id_y 0
		.amdhsa_system_sgpr_workgroup_id_z 0
		.amdhsa_system_sgpr_workgroup_info 0
		.amdhsa_system_vgpr_workitem_id 0
		.amdhsa_next_free_vgpr 1
		.amdhsa_next_free_sgpr 1
		.amdhsa_named_barrier_count 0
		.amdhsa_reserve_vcc 0
		.amdhsa_float_round_mode_32 0
		.amdhsa_float_round_mode_16_64 0
		.amdhsa_float_denorm_mode_32 3
		.amdhsa_float_denorm_mode_16_64 3
		.amdhsa_fp16_overflow 0
		.amdhsa_memory_ordered 1
		.amdhsa_forward_progress 1
		.amdhsa_inst_pref_size 0
		.amdhsa_round_robin_scheduling 0
		.amdhsa_exception_fp_ieee_invalid_op 0
		.amdhsa_exception_fp_denorm_src 0
		.amdhsa_exception_fp_ieee_div_zero 0
		.amdhsa_exception_fp_ieee_overflow 0
		.amdhsa_exception_fp_ieee_underflow 0
		.amdhsa_exception_fp_ieee_inexact 0
		.amdhsa_exception_int_div_zero 0
	.end_amdhsa_kernel
	.section	.text._ZN7rocprim17ROCPRIM_400000_NS6detail17trampoline_kernelINS0_14default_configENS1_25transform_config_selectorIbLb1EEEZNS1_14transform_implILb1ES3_S5_PKbPbNS0_8identityIbEEEE10hipError_tT2_T3_mT4_P12ihipStream_tbEUlT_E_NS1_11comp_targetILNS1_3genE4ELNS1_11target_archE910ELNS1_3gpuE8ELNS1_3repE0EEENS1_30default_config_static_selectorELNS0_4arch9wavefront6targetE0EEEvT1_,"axG",@progbits,_ZN7rocprim17ROCPRIM_400000_NS6detail17trampoline_kernelINS0_14default_configENS1_25transform_config_selectorIbLb1EEEZNS1_14transform_implILb1ES3_S5_PKbPbNS0_8identityIbEEEE10hipError_tT2_T3_mT4_P12ihipStream_tbEUlT_E_NS1_11comp_targetILNS1_3genE4ELNS1_11target_archE910ELNS1_3gpuE8ELNS1_3repE0EEENS1_30default_config_static_selectorELNS0_4arch9wavefront6targetE0EEEvT1_,comdat
.Lfunc_end1736:
	.size	_ZN7rocprim17ROCPRIM_400000_NS6detail17trampoline_kernelINS0_14default_configENS1_25transform_config_selectorIbLb1EEEZNS1_14transform_implILb1ES3_S5_PKbPbNS0_8identityIbEEEE10hipError_tT2_T3_mT4_P12ihipStream_tbEUlT_E_NS1_11comp_targetILNS1_3genE4ELNS1_11target_archE910ELNS1_3gpuE8ELNS1_3repE0EEENS1_30default_config_static_selectorELNS0_4arch9wavefront6targetE0EEEvT1_, .Lfunc_end1736-_ZN7rocprim17ROCPRIM_400000_NS6detail17trampoline_kernelINS0_14default_configENS1_25transform_config_selectorIbLb1EEEZNS1_14transform_implILb1ES3_S5_PKbPbNS0_8identityIbEEEE10hipError_tT2_T3_mT4_P12ihipStream_tbEUlT_E_NS1_11comp_targetILNS1_3genE4ELNS1_11target_archE910ELNS1_3gpuE8ELNS1_3repE0EEENS1_30default_config_static_selectorELNS0_4arch9wavefront6targetE0EEEvT1_
                                        ; -- End function
	.set _ZN7rocprim17ROCPRIM_400000_NS6detail17trampoline_kernelINS0_14default_configENS1_25transform_config_selectorIbLb1EEEZNS1_14transform_implILb1ES3_S5_PKbPbNS0_8identityIbEEEE10hipError_tT2_T3_mT4_P12ihipStream_tbEUlT_E_NS1_11comp_targetILNS1_3genE4ELNS1_11target_archE910ELNS1_3gpuE8ELNS1_3repE0EEENS1_30default_config_static_selectorELNS0_4arch9wavefront6targetE0EEEvT1_.num_vgpr, 0
	.set _ZN7rocprim17ROCPRIM_400000_NS6detail17trampoline_kernelINS0_14default_configENS1_25transform_config_selectorIbLb1EEEZNS1_14transform_implILb1ES3_S5_PKbPbNS0_8identityIbEEEE10hipError_tT2_T3_mT4_P12ihipStream_tbEUlT_E_NS1_11comp_targetILNS1_3genE4ELNS1_11target_archE910ELNS1_3gpuE8ELNS1_3repE0EEENS1_30default_config_static_selectorELNS0_4arch9wavefront6targetE0EEEvT1_.num_agpr, 0
	.set _ZN7rocprim17ROCPRIM_400000_NS6detail17trampoline_kernelINS0_14default_configENS1_25transform_config_selectorIbLb1EEEZNS1_14transform_implILb1ES3_S5_PKbPbNS0_8identityIbEEEE10hipError_tT2_T3_mT4_P12ihipStream_tbEUlT_E_NS1_11comp_targetILNS1_3genE4ELNS1_11target_archE910ELNS1_3gpuE8ELNS1_3repE0EEENS1_30default_config_static_selectorELNS0_4arch9wavefront6targetE0EEEvT1_.numbered_sgpr, 0
	.set _ZN7rocprim17ROCPRIM_400000_NS6detail17trampoline_kernelINS0_14default_configENS1_25transform_config_selectorIbLb1EEEZNS1_14transform_implILb1ES3_S5_PKbPbNS0_8identityIbEEEE10hipError_tT2_T3_mT4_P12ihipStream_tbEUlT_E_NS1_11comp_targetILNS1_3genE4ELNS1_11target_archE910ELNS1_3gpuE8ELNS1_3repE0EEENS1_30default_config_static_selectorELNS0_4arch9wavefront6targetE0EEEvT1_.num_named_barrier, 0
	.set _ZN7rocprim17ROCPRIM_400000_NS6detail17trampoline_kernelINS0_14default_configENS1_25transform_config_selectorIbLb1EEEZNS1_14transform_implILb1ES3_S5_PKbPbNS0_8identityIbEEEE10hipError_tT2_T3_mT4_P12ihipStream_tbEUlT_E_NS1_11comp_targetILNS1_3genE4ELNS1_11target_archE910ELNS1_3gpuE8ELNS1_3repE0EEENS1_30default_config_static_selectorELNS0_4arch9wavefront6targetE0EEEvT1_.private_seg_size, 0
	.set _ZN7rocprim17ROCPRIM_400000_NS6detail17trampoline_kernelINS0_14default_configENS1_25transform_config_selectorIbLb1EEEZNS1_14transform_implILb1ES3_S5_PKbPbNS0_8identityIbEEEE10hipError_tT2_T3_mT4_P12ihipStream_tbEUlT_E_NS1_11comp_targetILNS1_3genE4ELNS1_11target_archE910ELNS1_3gpuE8ELNS1_3repE0EEENS1_30default_config_static_selectorELNS0_4arch9wavefront6targetE0EEEvT1_.uses_vcc, 0
	.set _ZN7rocprim17ROCPRIM_400000_NS6detail17trampoline_kernelINS0_14default_configENS1_25transform_config_selectorIbLb1EEEZNS1_14transform_implILb1ES3_S5_PKbPbNS0_8identityIbEEEE10hipError_tT2_T3_mT4_P12ihipStream_tbEUlT_E_NS1_11comp_targetILNS1_3genE4ELNS1_11target_archE910ELNS1_3gpuE8ELNS1_3repE0EEENS1_30default_config_static_selectorELNS0_4arch9wavefront6targetE0EEEvT1_.uses_flat_scratch, 0
	.set _ZN7rocprim17ROCPRIM_400000_NS6detail17trampoline_kernelINS0_14default_configENS1_25transform_config_selectorIbLb1EEEZNS1_14transform_implILb1ES3_S5_PKbPbNS0_8identityIbEEEE10hipError_tT2_T3_mT4_P12ihipStream_tbEUlT_E_NS1_11comp_targetILNS1_3genE4ELNS1_11target_archE910ELNS1_3gpuE8ELNS1_3repE0EEENS1_30default_config_static_selectorELNS0_4arch9wavefront6targetE0EEEvT1_.has_dyn_sized_stack, 0
	.set _ZN7rocprim17ROCPRIM_400000_NS6detail17trampoline_kernelINS0_14default_configENS1_25transform_config_selectorIbLb1EEEZNS1_14transform_implILb1ES3_S5_PKbPbNS0_8identityIbEEEE10hipError_tT2_T3_mT4_P12ihipStream_tbEUlT_E_NS1_11comp_targetILNS1_3genE4ELNS1_11target_archE910ELNS1_3gpuE8ELNS1_3repE0EEENS1_30default_config_static_selectorELNS0_4arch9wavefront6targetE0EEEvT1_.has_recursion, 0
	.set _ZN7rocprim17ROCPRIM_400000_NS6detail17trampoline_kernelINS0_14default_configENS1_25transform_config_selectorIbLb1EEEZNS1_14transform_implILb1ES3_S5_PKbPbNS0_8identityIbEEEE10hipError_tT2_T3_mT4_P12ihipStream_tbEUlT_E_NS1_11comp_targetILNS1_3genE4ELNS1_11target_archE910ELNS1_3gpuE8ELNS1_3repE0EEENS1_30default_config_static_selectorELNS0_4arch9wavefront6targetE0EEEvT1_.has_indirect_call, 0
	.section	.AMDGPU.csdata,"",@progbits
; Kernel info:
; codeLenInByte = 0
; TotalNumSgprs: 0
; NumVgprs: 0
; ScratchSize: 0
; MemoryBound: 0
; FloatMode: 240
; IeeeMode: 1
; LDSByteSize: 0 bytes/workgroup (compile time only)
; SGPRBlocks: 0
; VGPRBlocks: 0
; NumSGPRsForWavesPerEU: 1
; NumVGPRsForWavesPerEU: 1
; NamedBarCnt: 0
; Occupancy: 16
; WaveLimiterHint : 0
; COMPUTE_PGM_RSRC2:SCRATCH_EN: 0
; COMPUTE_PGM_RSRC2:USER_SGPR: 2
; COMPUTE_PGM_RSRC2:TRAP_HANDLER: 0
; COMPUTE_PGM_RSRC2:TGID_X_EN: 1
; COMPUTE_PGM_RSRC2:TGID_Y_EN: 0
; COMPUTE_PGM_RSRC2:TGID_Z_EN: 0
; COMPUTE_PGM_RSRC2:TIDIG_COMP_CNT: 0
	.section	.text._ZN7rocprim17ROCPRIM_400000_NS6detail17trampoline_kernelINS0_14default_configENS1_25transform_config_selectorIbLb1EEEZNS1_14transform_implILb1ES3_S5_PKbPbNS0_8identityIbEEEE10hipError_tT2_T3_mT4_P12ihipStream_tbEUlT_E_NS1_11comp_targetILNS1_3genE3ELNS1_11target_archE908ELNS1_3gpuE7ELNS1_3repE0EEENS1_30default_config_static_selectorELNS0_4arch9wavefront6targetE0EEEvT1_,"axG",@progbits,_ZN7rocprim17ROCPRIM_400000_NS6detail17trampoline_kernelINS0_14default_configENS1_25transform_config_selectorIbLb1EEEZNS1_14transform_implILb1ES3_S5_PKbPbNS0_8identityIbEEEE10hipError_tT2_T3_mT4_P12ihipStream_tbEUlT_E_NS1_11comp_targetILNS1_3genE3ELNS1_11target_archE908ELNS1_3gpuE7ELNS1_3repE0EEENS1_30default_config_static_selectorELNS0_4arch9wavefront6targetE0EEEvT1_,comdat
	.protected	_ZN7rocprim17ROCPRIM_400000_NS6detail17trampoline_kernelINS0_14default_configENS1_25transform_config_selectorIbLb1EEEZNS1_14transform_implILb1ES3_S5_PKbPbNS0_8identityIbEEEE10hipError_tT2_T3_mT4_P12ihipStream_tbEUlT_E_NS1_11comp_targetILNS1_3genE3ELNS1_11target_archE908ELNS1_3gpuE7ELNS1_3repE0EEENS1_30default_config_static_selectorELNS0_4arch9wavefront6targetE0EEEvT1_ ; -- Begin function _ZN7rocprim17ROCPRIM_400000_NS6detail17trampoline_kernelINS0_14default_configENS1_25transform_config_selectorIbLb1EEEZNS1_14transform_implILb1ES3_S5_PKbPbNS0_8identityIbEEEE10hipError_tT2_T3_mT4_P12ihipStream_tbEUlT_E_NS1_11comp_targetILNS1_3genE3ELNS1_11target_archE908ELNS1_3gpuE7ELNS1_3repE0EEENS1_30default_config_static_selectorELNS0_4arch9wavefront6targetE0EEEvT1_
	.globl	_ZN7rocprim17ROCPRIM_400000_NS6detail17trampoline_kernelINS0_14default_configENS1_25transform_config_selectorIbLb1EEEZNS1_14transform_implILb1ES3_S5_PKbPbNS0_8identityIbEEEE10hipError_tT2_T3_mT4_P12ihipStream_tbEUlT_E_NS1_11comp_targetILNS1_3genE3ELNS1_11target_archE908ELNS1_3gpuE7ELNS1_3repE0EEENS1_30default_config_static_selectorELNS0_4arch9wavefront6targetE0EEEvT1_
	.p2align	8
	.type	_ZN7rocprim17ROCPRIM_400000_NS6detail17trampoline_kernelINS0_14default_configENS1_25transform_config_selectorIbLb1EEEZNS1_14transform_implILb1ES3_S5_PKbPbNS0_8identityIbEEEE10hipError_tT2_T3_mT4_P12ihipStream_tbEUlT_E_NS1_11comp_targetILNS1_3genE3ELNS1_11target_archE908ELNS1_3gpuE7ELNS1_3repE0EEENS1_30default_config_static_selectorELNS0_4arch9wavefront6targetE0EEEvT1_,@function
_ZN7rocprim17ROCPRIM_400000_NS6detail17trampoline_kernelINS0_14default_configENS1_25transform_config_selectorIbLb1EEEZNS1_14transform_implILb1ES3_S5_PKbPbNS0_8identityIbEEEE10hipError_tT2_T3_mT4_P12ihipStream_tbEUlT_E_NS1_11comp_targetILNS1_3genE3ELNS1_11target_archE908ELNS1_3gpuE7ELNS1_3repE0EEENS1_30default_config_static_selectorELNS0_4arch9wavefront6targetE0EEEvT1_: ; @_ZN7rocprim17ROCPRIM_400000_NS6detail17trampoline_kernelINS0_14default_configENS1_25transform_config_selectorIbLb1EEEZNS1_14transform_implILb1ES3_S5_PKbPbNS0_8identityIbEEEE10hipError_tT2_T3_mT4_P12ihipStream_tbEUlT_E_NS1_11comp_targetILNS1_3genE3ELNS1_11target_archE908ELNS1_3gpuE7ELNS1_3repE0EEENS1_30default_config_static_selectorELNS0_4arch9wavefront6targetE0EEEvT1_
; %bb.0:
	.section	.rodata,"a",@progbits
	.p2align	6, 0x0
	.amdhsa_kernel _ZN7rocprim17ROCPRIM_400000_NS6detail17trampoline_kernelINS0_14default_configENS1_25transform_config_selectorIbLb1EEEZNS1_14transform_implILb1ES3_S5_PKbPbNS0_8identityIbEEEE10hipError_tT2_T3_mT4_P12ihipStream_tbEUlT_E_NS1_11comp_targetILNS1_3genE3ELNS1_11target_archE908ELNS1_3gpuE7ELNS1_3repE0EEENS1_30default_config_static_selectorELNS0_4arch9wavefront6targetE0EEEvT1_
		.amdhsa_group_segment_fixed_size 0
		.amdhsa_private_segment_fixed_size 0
		.amdhsa_kernarg_size 40
		.amdhsa_user_sgpr_count 2
		.amdhsa_user_sgpr_dispatch_ptr 0
		.amdhsa_user_sgpr_queue_ptr 0
		.amdhsa_user_sgpr_kernarg_segment_ptr 1
		.amdhsa_user_sgpr_dispatch_id 0
		.amdhsa_user_sgpr_kernarg_preload_length 0
		.amdhsa_user_sgpr_kernarg_preload_offset 0
		.amdhsa_user_sgpr_private_segment_size 0
		.amdhsa_wavefront_size32 1
		.amdhsa_uses_dynamic_stack 0
		.amdhsa_enable_private_segment 0
		.amdhsa_system_sgpr_workgroup_id_x 1
		.amdhsa_system_sgpr_workgroup_id_y 0
		.amdhsa_system_sgpr_workgroup_id_z 0
		.amdhsa_system_sgpr_workgroup_info 0
		.amdhsa_system_vgpr_workitem_id 0
		.amdhsa_next_free_vgpr 1
		.amdhsa_next_free_sgpr 1
		.amdhsa_named_barrier_count 0
		.amdhsa_reserve_vcc 0
		.amdhsa_float_round_mode_32 0
		.amdhsa_float_round_mode_16_64 0
		.amdhsa_float_denorm_mode_32 3
		.amdhsa_float_denorm_mode_16_64 3
		.amdhsa_fp16_overflow 0
		.amdhsa_memory_ordered 1
		.amdhsa_forward_progress 1
		.amdhsa_inst_pref_size 0
		.amdhsa_round_robin_scheduling 0
		.amdhsa_exception_fp_ieee_invalid_op 0
		.amdhsa_exception_fp_denorm_src 0
		.amdhsa_exception_fp_ieee_div_zero 0
		.amdhsa_exception_fp_ieee_overflow 0
		.amdhsa_exception_fp_ieee_underflow 0
		.amdhsa_exception_fp_ieee_inexact 0
		.amdhsa_exception_int_div_zero 0
	.end_amdhsa_kernel
	.section	.text._ZN7rocprim17ROCPRIM_400000_NS6detail17trampoline_kernelINS0_14default_configENS1_25transform_config_selectorIbLb1EEEZNS1_14transform_implILb1ES3_S5_PKbPbNS0_8identityIbEEEE10hipError_tT2_T3_mT4_P12ihipStream_tbEUlT_E_NS1_11comp_targetILNS1_3genE3ELNS1_11target_archE908ELNS1_3gpuE7ELNS1_3repE0EEENS1_30default_config_static_selectorELNS0_4arch9wavefront6targetE0EEEvT1_,"axG",@progbits,_ZN7rocprim17ROCPRIM_400000_NS6detail17trampoline_kernelINS0_14default_configENS1_25transform_config_selectorIbLb1EEEZNS1_14transform_implILb1ES3_S5_PKbPbNS0_8identityIbEEEE10hipError_tT2_T3_mT4_P12ihipStream_tbEUlT_E_NS1_11comp_targetILNS1_3genE3ELNS1_11target_archE908ELNS1_3gpuE7ELNS1_3repE0EEENS1_30default_config_static_selectorELNS0_4arch9wavefront6targetE0EEEvT1_,comdat
.Lfunc_end1737:
	.size	_ZN7rocprim17ROCPRIM_400000_NS6detail17trampoline_kernelINS0_14default_configENS1_25transform_config_selectorIbLb1EEEZNS1_14transform_implILb1ES3_S5_PKbPbNS0_8identityIbEEEE10hipError_tT2_T3_mT4_P12ihipStream_tbEUlT_E_NS1_11comp_targetILNS1_3genE3ELNS1_11target_archE908ELNS1_3gpuE7ELNS1_3repE0EEENS1_30default_config_static_selectorELNS0_4arch9wavefront6targetE0EEEvT1_, .Lfunc_end1737-_ZN7rocprim17ROCPRIM_400000_NS6detail17trampoline_kernelINS0_14default_configENS1_25transform_config_selectorIbLb1EEEZNS1_14transform_implILb1ES3_S5_PKbPbNS0_8identityIbEEEE10hipError_tT2_T3_mT4_P12ihipStream_tbEUlT_E_NS1_11comp_targetILNS1_3genE3ELNS1_11target_archE908ELNS1_3gpuE7ELNS1_3repE0EEENS1_30default_config_static_selectorELNS0_4arch9wavefront6targetE0EEEvT1_
                                        ; -- End function
	.set _ZN7rocprim17ROCPRIM_400000_NS6detail17trampoline_kernelINS0_14default_configENS1_25transform_config_selectorIbLb1EEEZNS1_14transform_implILb1ES3_S5_PKbPbNS0_8identityIbEEEE10hipError_tT2_T3_mT4_P12ihipStream_tbEUlT_E_NS1_11comp_targetILNS1_3genE3ELNS1_11target_archE908ELNS1_3gpuE7ELNS1_3repE0EEENS1_30default_config_static_selectorELNS0_4arch9wavefront6targetE0EEEvT1_.num_vgpr, 0
	.set _ZN7rocprim17ROCPRIM_400000_NS6detail17trampoline_kernelINS0_14default_configENS1_25transform_config_selectorIbLb1EEEZNS1_14transform_implILb1ES3_S5_PKbPbNS0_8identityIbEEEE10hipError_tT2_T3_mT4_P12ihipStream_tbEUlT_E_NS1_11comp_targetILNS1_3genE3ELNS1_11target_archE908ELNS1_3gpuE7ELNS1_3repE0EEENS1_30default_config_static_selectorELNS0_4arch9wavefront6targetE0EEEvT1_.num_agpr, 0
	.set _ZN7rocprim17ROCPRIM_400000_NS6detail17trampoline_kernelINS0_14default_configENS1_25transform_config_selectorIbLb1EEEZNS1_14transform_implILb1ES3_S5_PKbPbNS0_8identityIbEEEE10hipError_tT2_T3_mT4_P12ihipStream_tbEUlT_E_NS1_11comp_targetILNS1_3genE3ELNS1_11target_archE908ELNS1_3gpuE7ELNS1_3repE0EEENS1_30default_config_static_selectorELNS0_4arch9wavefront6targetE0EEEvT1_.numbered_sgpr, 0
	.set _ZN7rocprim17ROCPRIM_400000_NS6detail17trampoline_kernelINS0_14default_configENS1_25transform_config_selectorIbLb1EEEZNS1_14transform_implILb1ES3_S5_PKbPbNS0_8identityIbEEEE10hipError_tT2_T3_mT4_P12ihipStream_tbEUlT_E_NS1_11comp_targetILNS1_3genE3ELNS1_11target_archE908ELNS1_3gpuE7ELNS1_3repE0EEENS1_30default_config_static_selectorELNS0_4arch9wavefront6targetE0EEEvT1_.num_named_barrier, 0
	.set _ZN7rocprim17ROCPRIM_400000_NS6detail17trampoline_kernelINS0_14default_configENS1_25transform_config_selectorIbLb1EEEZNS1_14transform_implILb1ES3_S5_PKbPbNS0_8identityIbEEEE10hipError_tT2_T3_mT4_P12ihipStream_tbEUlT_E_NS1_11comp_targetILNS1_3genE3ELNS1_11target_archE908ELNS1_3gpuE7ELNS1_3repE0EEENS1_30default_config_static_selectorELNS0_4arch9wavefront6targetE0EEEvT1_.private_seg_size, 0
	.set _ZN7rocprim17ROCPRIM_400000_NS6detail17trampoline_kernelINS0_14default_configENS1_25transform_config_selectorIbLb1EEEZNS1_14transform_implILb1ES3_S5_PKbPbNS0_8identityIbEEEE10hipError_tT2_T3_mT4_P12ihipStream_tbEUlT_E_NS1_11comp_targetILNS1_3genE3ELNS1_11target_archE908ELNS1_3gpuE7ELNS1_3repE0EEENS1_30default_config_static_selectorELNS0_4arch9wavefront6targetE0EEEvT1_.uses_vcc, 0
	.set _ZN7rocprim17ROCPRIM_400000_NS6detail17trampoline_kernelINS0_14default_configENS1_25transform_config_selectorIbLb1EEEZNS1_14transform_implILb1ES3_S5_PKbPbNS0_8identityIbEEEE10hipError_tT2_T3_mT4_P12ihipStream_tbEUlT_E_NS1_11comp_targetILNS1_3genE3ELNS1_11target_archE908ELNS1_3gpuE7ELNS1_3repE0EEENS1_30default_config_static_selectorELNS0_4arch9wavefront6targetE0EEEvT1_.uses_flat_scratch, 0
	.set _ZN7rocprim17ROCPRIM_400000_NS6detail17trampoline_kernelINS0_14default_configENS1_25transform_config_selectorIbLb1EEEZNS1_14transform_implILb1ES3_S5_PKbPbNS0_8identityIbEEEE10hipError_tT2_T3_mT4_P12ihipStream_tbEUlT_E_NS1_11comp_targetILNS1_3genE3ELNS1_11target_archE908ELNS1_3gpuE7ELNS1_3repE0EEENS1_30default_config_static_selectorELNS0_4arch9wavefront6targetE0EEEvT1_.has_dyn_sized_stack, 0
	.set _ZN7rocprim17ROCPRIM_400000_NS6detail17trampoline_kernelINS0_14default_configENS1_25transform_config_selectorIbLb1EEEZNS1_14transform_implILb1ES3_S5_PKbPbNS0_8identityIbEEEE10hipError_tT2_T3_mT4_P12ihipStream_tbEUlT_E_NS1_11comp_targetILNS1_3genE3ELNS1_11target_archE908ELNS1_3gpuE7ELNS1_3repE0EEENS1_30default_config_static_selectorELNS0_4arch9wavefront6targetE0EEEvT1_.has_recursion, 0
	.set _ZN7rocprim17ROCPRIM_400000_NS6detail17trampoline_kernelINS0_14default_configENS1_25transform_config_selectorIbLb1EEEZNS1_14transform_implILb1ES3_S5_PKbPbNS0_8identityIbEEEE10hipError_tT2_T3_mT4_P12ihipStream_tbEUlT_E_NS1_11comp_targetILNS1_3genE3ELNS1_11target_archE908ELNS1_3gpuE7ELNS1_3repE0EEENS1_30default_config_static_selectorELNS0_4arch9wavefront6targetE0EEEvT1_.has_indirect_call, 0
	.section	.AMDGPU.csdata,"",@progbits
; Kernel info:
; codeLenInByte = 0
; TotalNumSgprs: 0
; NumVgprs: 0
; ScratchSize: 0
; MemoryBound: 0
; FloatMode: 240
; IeeeMode: 1
; LDSByteSize: 0 bytes/workgroup (compile time only)
; SGPRBlocks: 0
; VGPRBlocks: 0
; NumSGPRsForWavesPerEU: 1
; NumVGPRsForWavesPerEU: 1
; NamedBarCnt: 0
; Occupancy: 16
; WaveLimiterHint : 0
; COMPUTE_PGM_RSRC2:SCRATCH_EN: 0
; COMPUTE_PGM_RSRC2:USER_SGPR: 2
; COMPUTE_PGM_RSRC2:TRAP_HANDLER: 0
; COMPUTE_PGM_RSRC2:TGID_X_EN: 1
; COMPUTE_PGM_RSRC2:TGID_Y_EN: 0
; COMPUTE_PGM_RSRC2:TGID_Z_EN: 0
; COMPUTE_PGM_RSRC2:TIDIG_COMP_CNT: 0
	.section	.text._ZN7rocprim17ROCPRIM_400000_NS6detail17trampoline_kernelINS0_14default_configENS1_25transform_config_selectorIbLb1EEEZNS1_14transform_implILb1ES3_S5_PKbPbNS0_8identityIbEEEE10hipError_tT2_T3_mT4_P12ihipStream_tbEUlT_E_NS1_11comp_targetILNS1_3genE2ELNS1_11target_archE906ELNS1_3gpuE6ELNS1_3repE0EEENS1_30default_config_static_selectorELNS0_4arch9wavefront6targetE0EEEvT1_,"axG",@progbits,_ZN7rocprim17ROCPRIM_400000_NS6detail17trampoline_kernelINS0_14default_configENS1_25transform_config_selectorIbLb1EEEZNS1_14transform_implILb1ES3_S5_PKbPbNS0_8identityIbEEEE10hipError_tT2_T3_mT4_P12ihipStream_tbEUlT_E_NS1_11comp_targetILNS1_3genE2ELNS1_11target_archE906ELNS1_3gpuE6ELNS1_3repE0EEENS1_30default_config_static_selectorELNS0_4arch9wavefront6targetE0EEEvT1_,comdat
	.protected	_ZN7rocprim17ROCPRIM_400000_NS6detail17trampoline_kernelINS0_14default_configENS1_25transform_config_selectorIbLb1EEEZNS1_14transform_implILb1ES3_S5_PKbPbNS0_8identityIbEEEE10hipError_tT2_T3_mT4_P12ihipStream_tbEUlT_E_NS1_11comp_targetILNS1_3genE2ELNS1_11target_archE906ELNS1_3gpuE6ELNS1_3repE0EEENS1_30default_config_static_selectorELNS0_4arch9wavefront6targetE0EEEvT1_ ; -- Begin function _ZN7rocprim17ROCPRIM_400000_NS6detail17trampoline_kernelINS0_14default_configENS1_25transform_config_selectorIbLb1EEEZNS1_14transform_implILb1ES3_S5_PKbPbNS0_8identityIbEEEE10hipError_tT2_T3_mT4_P12ihipStream_tbEUlT_E_NS1_11comp_targetILNS1_3genE2ELNS1_11target_archE906ELNS1_3gpuE6ELNS1_3repE0EEENS1_30default_config_static_selectorELNS0_4arch9wavefront6targetE0EEEvT1_
	.globl	_ZN7rocprim17ROCPRIM_400000_NS6detail17trampoline_kernelINS0_14default_configENS1_25transform_config_selectorIbLb1EEEZNS1_14transform_implILb1ES3_S5_PKbPbNS0_8identityIbEEEE10hipError_tT2_T3_mT4_P12ihipStream_tbEUlT_E_NS1_11comp_targetILNS1_3genE2ELNS1_11target_archE906ELNS1_3gpuE6ELNS1_3repE0EEENS1_30default_config_static_selectorELNS0_4arch9wavefront6targetE0EEEvT1_
	.p2align	8
	.type	_ZN7rocprim17ROCPRIM_400000_NS6detail17trampoline_kernelINS0_14default_configENS1_25transform_config_selectorIbLb1EEEZNS1_14transform_implILb1ES3_S5_PKbPbNS0_8identityIbEEEE10hipError_tT2_T3_mT4_P12ihipStream_tbEUlT_E_NS1_11comp_targetILNS1_3genE2ELNS1_11target_archE906ELNS1_3gpuE6ELNS1_3repE0EEENS1_30default_config_static_selectorELNS0_4arch9wavefront6targetE0EEEvT1_,@function
_ZN7rocprim17ROCPRIM_400000_NS6detail17trampoline_kernelINS0_14default_configENS1_25transform_config_selectorIbLb1EEEZNS1_14transform_implILb1ES3_S5_PKbPbNS0_8identityIbEEEE10hipError_tT2_T3_mT4_P12ihipStream_tbEUlT_E_NS1_11comp_targetILNS1_3genE2ELNS1_11target_archE906ELNS1_3gpuE6ELNS1_3repE0EEENS1_30default_config_static_selectorELNS0_4arch9wavefront6targetE0EEEvT1_: ; @_ZN7rocprim17ROCPRIM_400000_NS6detail17trampoline_kernelINS0_14default_configENS1_25transform_config_selectorIbLb1EEEZNS1_14transform_implILb1ES3_S5_PKbPbNS0_8identityIbEEEE10hipError_tT2_T3_mT4_P12ihipStream_tbEUlT_E_NS1_11comp_targetILNS1_3genE2ELNS1_11target_archE906ELNS1_3gpuE6ELNS1_3repE0EEENS1_30default_config_static_selectorELNS0_4arch9wavefront6targetE0EEEvT1_
; %bb.0:
	.section	.rodata,"a",@progbits
	.p2align	6, 0x0
	.amdhsa_kernel _ZN7rocprim17ROCPRIM_400000_NS6detail17trampoline_kernelINS0_14default_configENS1_25transform_config_selectorIbLb1EEEZNS1_14transform_implILb1ES3_S5_PKbPbNS0_8identityIbEEEE10hipError_tT2_T3_mT4_P12ihipStream_tbEUlT_E_NS1_11comp_targetILNS1_3genE2ELNS1_11target_archE906ELNS1_3gpuE6ELNS1_3repE0EEENS1_30default_config_static_selectorELNS0_4arch9wavefront6targetE0EEEvT1_
		.amdhsa_group_segment_fixed_size 0
		.amdhsa_private_segment_fixed_size 0
		.amdhsa_kernarg_size 40
		.amdhsa_user_sgpr_count 2
		.amdhsa_user_sgpr_dispatch_ptr 0
		.amdhsa_user_sgpr_queue_ptr 0
		.amdhsa_user_sgpr_kernarg_segment_ptr 1
		.amdhsa_user_sgpr_dispatch_id 0
		.amdhsa_user_sgpr_kernarg_preload_length 0
		.amdhsa_user_sgpr_kernarg_preload_offset 0
		.amdhsa_user_sgpr_private_segment_size 0
		.amdhsa_wavefront_size32 1
		.amdhsa_uses_dynamic_stack 0
		.amdhsa_enable_private_segment 0
		.amdhsa_system_sgpr_workgroup_id_x 1
		.amdhsa_system_sgpr_workgroup_id_y 0
		.amdhsa_system_sgpr_workgroup_id_z 0
		.amdhsa_system_sgpr_workgroup_info 0
		.amdhsa_system_vgpr_workitem_id 0
		.amdhsa_next_free_vgpr 1
		.amdhsa_next_free_sgpr 1
		.amdhsa_named_barrier_count 0
		.amdhsa_reserve_vcc 0
		.amdhsa_float_round_mode_32 0
		.amdhsa_float_round_mode_16_64 0
		.amdhsa_float_denorm_mode_32 3
		.amdhsa_float_denorm_mode_16_64 3
		.amdhsa_fp16_overflow 0
		.amdhsa_memory_ordered 1
		.amdhsa_forward_progress 1
		.amdhsa_inst_pref_size 0
		.amdhsa_round_robin_scheduling 0
		.amdhsa_exception_fp_ieee_invalid_op 0
		.amdhsa_exception_fp_denorm_src 0
		.amdhsa_exception_fp_ieee_div_zero 0
		.amdhsa_exception_fp_ieee_overflow 0
		.amdhsa_exception_fp_ieee_underflow 0
		.amdhsa_exception_fp_ieee_inexact 0
		.amdhsa_exception_int_div_zero 0
	.end_amdhsa_kernel
	.section	.text._ZN7rocprim17ROCPRIM_400000_NS6detail17trampoline_kernelINS0_14default_configENS1_25transform_config_selectorIbLb1EEEZNS1_14transform_implILb1ES3_S5_PKbPbNS0_8identityIbEEEE10hipError_tT2_T3_mT4_P12ihipStream_tbEUlT_E_NS1_11comp_targetILNS1_3genE2ELNS1_11target_archE906ELNS1_3gpuE6ELNS1_3repE0EEENS1_30default_config_static_selectorELNS0_4arch9wavefront6targetE0EEEvT1_,"axG",@progbits,_ZN7rocprim17ROCPRIM_400000_NS6detail17trampoline_kernelINS0_14default_configENS1_25transform_config_selectorIbLb1EEEZNS1_14transform_implILb1ES3_S5_PKbPbNS0_8identityIbEEEE10hipError_tT2_T3_mT4_P12ihipStream_tbEUlT_E_NS1_11comp_targetILNS1_3genE2ELNS1_11target_archE906ELNS1_3gpuE6ELNS1_3repE0EEENS1_30default_config_static_selectorELNS0_4arch9wavefront6targetE0EEEvT1_,comdat
.Lfunc_end1738:
	.size	_ZN7rocprim17ROCPRIM_400000_NS6detail17trampoline_kernelINS0_14default_configENS1_25transform_config_selectorIbLb1EEEZNS1_14transform_implILb1ES3_S5_PKbPbNS0_8identityIbEEEE10hipError_tT2_T3_mT4_P12ihipStream_tbEUlT_E_NS1_11comp_targetILNS1_3genE2ELNS1_11target_archE906ELNS1_3gpuE6ELNS1_3repE0EEENS1_30default_config_static_selectorELNS0_4arch9wavefront6targetE0EEEvT1_, .Lfunc_end1738-_ZN7rocprim17ROCPRIM_400000_NS6detail17trampoline_kernelINS0_14default_configENS1_25transform_config_selectorIbLb1EEEZNS1_14transform_implILb1ES3_S5_PKbPbNS0_8identityIbEEEE10hipError_tT2_T3_mT4_P12ihipStream_tbEUlT_E_NS1_11comp_targetILNS1_3genE2ELNS1_11target_archE906ELNS1_3gpuE6ELNS1_3repE0EEENS1_30default_config_static_selectorELNS0_4arch9wavefront6targetE0EEEvT1_
                                        ; -- End function
	.set _ZN7rocprim17ROCPRIM_400000_NS6detail17trampoline_kernelINS0_14default_configENS1_25transform_config_selectorIbLb1EEEZNS1_14transform_implILb1ES3_S5_PKbPbNS0_8identityIbEEEE10hipError_tT2_T3_mT4_P12ihipStream_tbEUlT_E_NS1_11comp_targetILNS1_3genE2ELNS1_11target_archE906ELNS1_3gpuE6ELNS1_3repE0EEENS1_30default_config_static_selectorELNS0_4arch9wavefront6targetE0EEEvT1_.num_vgpr, 0
	.set _ZN7rocprim17ROCPRIM_400000_NS6detail17trampoline_kernelINS0_14default_configENS1_25transform_config_selectorIbLb1EEEZNS1_14transform_implILb1ES3_S5_PKbPbNS0_8identityIbEEEE10hipError_tT2_T3_mT4_P12ihipStream_tbEUlT_E_NS1_11comp_targetILNS1_3genE2ELNS1_11target_archE906ELNS1_3gpuE6ELNS1_3repE0EEENS1_30default_config_static_selectorELNS0_4arch9wavefront6targetE0EEEvT1_.num_agpr, 0
	.set _ZN7rocprim17ROCPRIM_400000_NS6detail17trampoline_kernelINS0_14default_configENS1_25transform_config_selectorIbLb1EEEZNS1_14transform_implILb1ES3_S5_PKbPbNS0_8identityIbEEEE10hipError_tT2_T3_mT4_P12ihipStream_tbEUlT_E_NS1_11comp_targetILNS1_3genE2ELNS1_11target_archE906ELNS1_3gpuE6ELNS1_3repE0EEENS1_30default_config_static_selectorELNS0_4arch9wavefront6targetE0EEEvT1_.numbered_sgpr, 0
	.set _ZN7rocprim17ROCPRIM_400000_NS6detail17trampoline_kernelINS0_14default_configENS1_25transform_config_selectorIbLb1EEEZNS1_14transform_implILb1ES3_S5_PKbPbNS0_8identityIbEEEE10hipError_tT2_T3_mT4_P12ihipStream_tbEUlT_E_NS1_11comp_targetILNS1_3genE2ELNS1_11target_archE906ELNS1_3gpuE6ELNS1_3repE0EEENS1_30default_config_static_selectorELNS0_4arch9wavefront6targetE0EEEvT1_.num_named_barrier, 0
	.set _ZN7rocprim17ROCPRIM_400000_NS6detail17trampoline_kernelINS0_14default_configENS1_25transform_config_selectorIbLb1EEEZNS1_14transform_implILb1ES3_S5_PKbPbNS0_8identityIbEEEE10hipError_tT2_T3_mT4_P12ihipStream_tbEUlT_E_NS1_11comp_targetILNS1_3genE2ELNS1_11target_archE906ELNS1_3gpuE6ELNS1_3repE0EEENS1_30default_config_static_selectorELNS0_4arch9wavefront6targetE0EEEvT1_.private_seg_size, 0
	.set _ZN7rocprim17ROCPRIM_400000_NS6detail17trampoline_kernelINS0_14default_configENS1_25transform_config_selectorIbLb1EEEZNS1_14transform_implILb1ES3_S5_PKbPbNS0_8identityIbEEEE10hipError_tT2_T3_mT4_P12ihipStream_tbEUlT_E_NS1_11comp_targetILNS1_3genE2ELNS1_11target_archE906ELNS1_3gpuE6ELNS1_3repE0EEENS1_30default_config_static_selectorELNS0_4arch9wavefront6targetE0EEEvT1_.uses_vcc, 0
	.set _ZN7rocprim17ROCPRIM_400000_NS6detail17trampoline_kernelINS0_14default_configENS1_25transform_config_selectorIbLb1EEEZNS1_14transform_implILb1ES3_S5_PKbPbNS0_8identityIbEEEE10hipError_tT2_T3_mT4_P12ihipStream_tbEUlT_E_NS1_11comp_targetILNS1_3genE2ELNS1_11target_archE906ELNS1_3gpuE6ELNS1_3repE0EEENS1_30default_config_static_selectorELNS0_4arch9wavefront6targetE0EEEvT1_.uses_flat_scratch, 0
	.set _ZN7rocprim17ROCPRIM_400000_NS6detail17trampoline_kernelINS0_14default_configENS1_25transform_config_selectorIbLb1EEEZNS1_14transform_implILb1ES3_S5_PKbPbNS0_8identityIbEEEE10hipError_tT2_T3_mT4_P12ihipStream_tbEUlT_E_NS1_11comp_targetILNS1_3genE2ELNS1_11target_archE906ELNS1_3gpuE6ELNS1_3repE0EEENS1_30default_config_static_selectorELNS0_4arch9wavefront6targetE0EEEvT1_.has_dyn_sized_stack, 0
	.set _ZN7rocprim17ROCPRIM_400000_NS6detail17trampoline_kernelINS0_14default_configENS1_25transform_config_selectorIbLb1EEEZNS1_14transform_implILb1ES3_S5_PKbPbNS0_8identityIbEEEE10hipError_tT2_T3_mT4_P12ihipStream_tbEUlT_E_NS1_11comp_targetILNS1_3genE2ELNS1_11target_archE906ELNS1_3gpuE6ELNS1_3repE0EEENS1_30default_config_static_selectorELNS0_4arch9wavefront6targetE0EEEvT1_.has_recursion, 0
	.set _ZN7rocprim17ROCPRIM_400000_NS6detail17trampoline_kernelINS0_14default_configENS1_25transform_config_selectorIbLb1EEEZNS1_14transform_implILb1ES3_S5_PKbPbNS0_8identityIbEEEE10hipError_tT2_T3_mT4_P12ihipStream_tbEUlT_E_NS1_11comp_targetILNS1_3genE2ELNS1_11target_archE906ELNS1_3gpuE6ELNS1_3repE0EEENS1_30default_config_static_selectorELNS0_4arch9wavefront6targetE0EEEvT1_.has_indirect_call, 0
	.section	.AMDGPU.csdata,"",@progbits
; Kernel info:
; codeLenInByte = 0
; TotalNumSgprs: 0
; NumVgprs: 0
; ScratchSize: 0
; MemoryBound: 0
; FloatMode: 240
; IeeeMode: 1
; LDSByteSize: 0 bytes/workgroup (compile time only)
; SGPRBlocks: 0
; VGPRBlocks: 0
; NumSGPRsForWavesPerEU: 1
; NumVGPRsForWavesPerEU: 1
; NamedBarCnt: 0
; Occupancy: 16
; WaveLimiterHint : 0
; COMPUTE_PGM_RSRC2:SCRATCH_EN: 0
; COMPUTE_PGM_RSRC2:USER_SGPR: 2
; COMPUTE_PGM_RSRC2:TRAP_HANDLER: 0
; COMPUTE_PGM_RSRC2:TGID_X_EN: 1
; COMPUTE_PGM_RSRC2:TGID_Y_EN: 0
; COMPUTE_PGM_RSRC2:TGID_Z_EN: 0
; COMPUTE_PGM_RSRC2:TIDIG_COMP_CNT: 0
	.section	.text._ZN7rocprim17ROCPRIM_400000_NS6detail17trampoline_kernelINS0_14default_configENS1_25transform_config_selectorIbLb1EEEZNS1_14transform_implILb1ES3_S5_PKbPbNS0_8identityIbEEEE10hipError_tT2_T3_mT4_P12ihipStream_tbEUlT_E_NS1_11comp_targetILNS1_3genE9ELNS1_11target_archE1100ELNS1_3gpuE3ELNS1_3repE0EEENS1_30default_config_static_selectorELNS0_4arch9wavefront6targetE0EEEvT1_,"axG",@progbits,_ZN7rocprim17ROCPRIM_400000_NS6detail17trampoline_kernelINS0_14default_configENS1_25transform_config_selectorIbLb1EEEZNS1_14transform_implILb1ES3_S5_PKbPbNS0_8identityIbEEEE10hipError_tT2_T3_mT4_P12ihipStream_tbEUlT_E_NS1_11comp_targetILNS1_3genE9ELNS1_11target_archE1100ELNS1_3gpuE3ELNS1_3repE0EEENS1_30default_config_static_selectorELNS0_4arch9wavefront6targetE0EEEvT1_,comdat
	.protected	_ZN7rocprim17ROCPRIM_400000_NS6detail17trampoline_kernelINS0_14default_configENS1_25transform_config_selectorIbLb1EEEZNS1_14transform_implILb1ES3_S5_PKbPbNS0_8identityIbEEEE10hipError_tT2_T3_mT4_P12ihipStream_tbEUlT_E_NS1_11comp_targetILNS1_3genE9ELNS1_11target_archE1100ELNS1_3gpuE3ELNS1_3repE0EEENS1_30default_config_static_selectorELNS0_4arch9wavefront6targetE0EEEvT1_ ; -- Begin function _ZN7rocprim17ROCPRIM_400000_NS6detail17trampoline_kernelINS0_14default_configENS1_25transform_config_selectorIbLb1EEEZNS1_14transform_implILb1ES3_S5_PKbPbNS0_8identityIbEEEE10hipError_tT2_T3_mT4_P12ihipStream_tbEUlT_E_NS1_11comp_targetILNS1_3genE9ELNS1_11target_archE1100ELNS1_3gpuE3ELNS1_3repE0EEENS1_30default_config_static_selectorELNS0_4arch9wavefront6targetE0EEEvT1_
	.globl	_ZN7rocprim17ROCPRIM_400000_NS6detail17trampoline_kernelINS0_14default_configENS1_25transform_config_selectorIbLb1EEEZNS1_14transform_implILb1ES3_S5_PKbPbNS0_8identityIbEEEE10hipError_tT2_T3_mT4_P12ihipStream_tbEUlT_E_NS1_11comp_targetILNS1_3genE9ELNS1_11target_archE1100ELNS1_3gpuE3ELNS1_3repE0EEENS1_30default_config_static_selectorELNS0_4arch9wavefront6targetE0EEEvT1_
	.p2align	8
	.type	_ZN7rocprim17ROCPRIM_400000_NS6detail17trampoline_kernelINS0_14default_configENS1_25transform_config_selectorIbLb1EEEZNS1_14transform_implILb1ES3_S5_PKbPbNS0_8identityIbEEEE10hipError_tT2_T3_mT4_P12ihipStream_tbEUlT_E_NS1_11comp_targetILNS1_3genE9ELNS1_11target_archE1100ELNS1_3gpuE3ELNS1_3repE0EEENS1_30default_config_static_selectorELNS0_4arch9wavefront6targetE0EEEvT1_,@function
_ZN7rocprim17ROCPRIM_400000_NS6detail17trampoline_kernelINS0_14default_configENS1_25transform_config_selectorIbLb1EEEZNS1_14transform_implILb1ES3_S5_PKbPbNS0_8identityIbEEEE10hipError_tT2_T3_mT4_P12ihipStream_tbEUlT_E_NS1_11comp_targetILNS1_3genE9ELNS1_11target_archE1100ELNS1_3gpuE3ELNS1_3repE0EEENS1_30default_config_static_selectorELNS0_4arch9wavefront6targetE0EEEvT1_: ; @_ZN7rocprim17ROCPRIM_400000_NS6detail17trampoline_kernelINS0_14default_configENS1_25transform_config_selectorIbLb1EEEZNS1_14transform_implILb1ES3_S5_PKbPbNS0_8identityIbEEEE10hipError_tT2_T3_mT4_P12ihipStream_tbEUlT_E_NS1_11comp_targetILNS1_3genE9ELNS1_11target_archE1100ELNS1_3gpuE3ELNS1_3repE0EEENS1_30default_config_static_selectorELNS0_4arch9wavefront6targetE0EEEvT1_
; %bb.0:
	.section	.rodata,"a",@progbits
	.p2align	6, 0x0
	.amdhsa_kernel _ZN7rocprim17ROCPRIM_400000_NS6detail17trampoline_kernelINS0_14default_configENS1_25transform_config_selectorIbLb1EEEZNS1_14transform_implILb1ES3_S5_PKbPbNS0_8identityIbEEEE10hipError_tT2_T3_mT4_P12ihipStream_tbEUlT_E_NS1_11comp_targetILNS1_3genE9ELNS1_11target_archE1100ELNS1_3gpuE3ELNS1_3repE0EEENS1_30default_config_static_selectorELNS0_4arch9wavefront6targetE0EEEvT1_
		.amdhsa_group_segment_fixed_size 0
		.amdhsa_private_segment_fixed_size 0
		.amdhsa_kernarg_size 40
		.amdhsa_user_sgpr_count 2
		.amdhsa_user_sgpr_dispatch_ptr 0
		.amdhsa_user_sgpr_queue_ptr 0
		.amdhsa_user_sgpr_kernarg_segment_ptr 1
		.amdhsa_user_sgpr_dispatch_id 0
		.amdhsa_user_sgpr_kernarg_preload_length 0
		.amdhsa_user_sgpr_kernarg_preload_offset 0
		.amdhsa_user_sgpr_private_segment_size 0
		.amdhsa_wavefront_size32 1
		.amdhsa_uses_dynamic_stack 0
		.amdhsa_enable_private_segment 0
		.amdhsa_system_sgpr_workgroup_id_x 1
		.amdhsa_system_sgpr_workgroup_id_y 0
		.amdhsa_system_sgpr_workgroup_id_z 0
		.amdhsa_system_sgpr_workgroup_info 0
		.amdhsa_system_vgpr_workitem_id 0
		.amdhsa_next_free_vgpr 1
		.amdhsa_next_free_sgpr 1
		.amdhsa_named_barrier_count 0
		.amdhsa_reserve_vcc 0
		.amdhsa_float_round_mode_32 0
		.amdhsa_float_round_mode_16_64 0
		.amdhsa_float_denorm_mode_32 3
		.amdhsa_float_denorm_mode_16_64 3
		.amdhsa_fp16_overflow 0
		.amdhsa_memory_ordered 1
		.amdhsa_forward_progress 1
		.amdhsa_inst_pref_size 0
		.amdhsa_round_robin_scheduling 0
		.amdhsa_exception_fp_ieee_invalid_op 0
		.amdhsa_exception_fp_denorm_src 0
		.amdhsa_exception_fp_ieee_div_zero 0
		.amdhsa_exception_fp_ieee_overflow 0
		.amdhsa_exception_fp_ieee_underflow 0
		.amdhsa_exception_fp_ieee_inexact 0
		.amdhsa_exception_int_div_zero 0
	.end_amdhsa_kernel
	.section	.text._ZN7rocprim17ROCPRIM_400000_NS6detail17trampoline_kernelINS0_14default_configENS1_25transform_config_selectorIbLb1EEEZNS1_14transform_implILb1ES3_S5_PKbPbNS0_8identityIbEEEE10hipError_tT2_T3_mT4_P12ihipStream_tbEUlT_E_NS1_11comp_targetILNS1_3genE9ELNS1_11target_archE1100ELNS1_3gpuE3ELNS1_3repE0EEENS1_30default_config_static_selectorELNS0_4arch9wavefront6targetE0EEEvT1_,"axG",@progbits,_ZN7rocprim17ROCPRIM_400000_NS6detail17trampoline_kernelINS0_14default_configENS1_25transform_config_selectorIbLb1EEEZNS1_14transform_implILb1ES3_S5_PKbPbNS0_8identityIbEEEE10hipError_tT2_T3_mT4_P12ihipStream_tbEUlT_E_NS1_11comp_targetILNS1_3genE9ELNS1_11target_archE1100ELNS1_3gpuE3ELNS1_3repE0EEENS1_30default_config_static_selectorELNS0_4arch9wavefront6targetE0EEEvT1_,comdat
.Lfunc_end1739:
	.size	_ZN7rocprim17ROCPRIM_400000_NS6detail17trampoline_kernelINS0_14default_configENS1_25transform_config_selectorIbLb1EEEZNS1_14transform_implILb1ES3_S5_PKbPbNS0_8identityIbEEEE10hipError_tT2_T3_mT4_P12ihipStream_tbEUlT_E_NS1_11comp_targetILNS1_3genE9ELNS1_11target_archE1100ELNS1_3gpuE3ELNS1_3repE0EEENS1_30default_config_static_selectorELNS0_4arch9wavefront6targetE0EEEvT1_, .Lfunc_end1739-_ZN7rocprim17ROCPRIM_400000_NS6detail17trampoline_kernelINS0_14default_configENS1_25transform_config_selectorIbLb1EEEZNS1_14transform_implILb1ES3_S5_PKbPbNS0_8identityIbEEEE10hipError_tT2_T3_mT4_P12ihipStream_tbEUlT_E_NS1_11comp_targetILNS1_3genE9ELNS1_11target_archE1100ELNS1_3gpuE3ELNS1_3repE0EEENS1_30default_config_static_selectorELNS0_4arch9wavefront6targetE0EEEvT1_
                                        ; -- End function
	.set _ZN7rocprim17ROCPRIM_400000_NS6detail17trampoline_kernelINS0_14default_configENS1_25transform_config_selectorIbLb1EEEZNS1_14transform_implILb1ES3_S5_PKbPbNS0_8identityIbEEEE10hipError_tT2_T3_mT4_P12ihipStream_tbEUlT_E_NS1_11comp_targetILNS1_3genE9ELNS1_11target_archE1100ELNS1_3gpuE3ELNS1_3repE0EEENS1_30default_config_static_selectorELNS0_4arch9wavefront6targetE0EEEvT1_.num_vgpr, 0
	.set _ZN7rocprim17ROCPRIM_400000_NS6detail17trampoline_kernelINS0_14default_configENS1_25transform_config_selectorIbLb1EEEZNS1_14transform_implILb1ES3_S5_PKbPbNS0_8identityIbEEEE10hipError_tT2_T3_mT4_P12ihipStream_tbEUlT_E_NS1_11comp_targetILNS1_3genE9ELNS1_11target_archE1100ELNS1_3gpuE3ELNS1_3repE0EEENS1_30default_config_static_selectorELNS0_4arch9wavefront6targetE0EEEvT1_.num_agpr, 0
	.set _ZN7rocprim17ROCPRIM_400000_NS6detail17trampoline_kernelINS0_14default_configENS1_25transform_config_selectorIbLb1EEEZNS1_14transform_implILb1ES3_S5_PKbPbNS0_8identityIbEEEE10hipError_tT2_T3_mT4_P12ihipStream_tbEUlT_E_NS1_11comp_targetILNS1_3genE9ELNS1_11target_archE1100ELNS1_3gpuE3ELNS1_3repE0EEENS1_30default_config_static_selectorELNS0_4arch9wavefront6targetE0EEEvT1_.numbered_sgpr, 0
	.set _ZN7rocprim17ROCPRIM_400000_NS6detail17trampoline_kernelINS0_14default_configENS1_25transform_config_selectorIbLb1EEEZNS1_14transform_implILb1ES3_S5_PKbPbNS0_8identityIbEEEE10hipError_tT2_T3_mT4_P12ihipStream_tbEUlT_E_NS1_11comp_targetILNS1_3genE9ELNS1_11target_archE1100ELNS1_3gpuE3ELNS1_3repE0EEENS1_30default_config_static_selectorELNS0_4arch9wavefront6targetE0EEEvT1_.num_named_barrier, 0
	.set _ZN7rocprim17ROCPRIM_400000_NS6detail17trampoline_kernelINS0_14default_configENS1_25transform_config_selectorIbLb1EEEZNS1_14transform_implILb1ES3_S5_PKbPbNS0_8identityIbEEEE10hipError_tT2_T3_mT4_P12ihipStream_tbEUlT_E_NS1_11comp_targetILNS1_3genE9ELNS1_11target_archE1100ELNS1_3gpuE3ELNS1_3repE0EEENS1_30default_config_static_selectorELNS0_4arch9wavefront6targetE0EEEvT1_.private_seg_size, 0
	.set _ZN7rocprim17ROCPRIM_400000_NS6detail17trampoline_kernelINS0_14default_configENS1_25transform_config_selectorIbLb1EEEZNS1_14transform_implILb1ES3_S5_PKbPbNS0_8identityIbEEEE10hipError_tT2_T3_mT4_P12ihipStream_tbEUlT_E_NS1_11comp_targetILNS1_3genE9ELNS1_11target_archE1100ELNS1_3gpuE3ELNS1_3repE0EEENS1_30default_config_static_selectorELNS0_4arch9wavefront6targetE0EEEvT1_.uses_vcc, 0
	.set _ZN7rocprim17ROCPRIM_400000_NS6detail17trampoline_kernelINS0_14default_configENS1_25transform_config_selectorIbLb1EEEZNS1_14transform_implILb1ES3_S5_PKbPbNS0_8identityIbEEEE10hipError_tT2_T3_mT4_P12ihipStream_tbEUlT_E_NS1_11comp_targetILNS1_3genE9ELNS1_11target_archE1100ELNS1_3gpuE3ELNS1_3repE0EEENS1_30default_config_static_selectorELNS0_4arch9wavefront6targetE0EEEvT1_.uses_flat_scratch, 0
	.set _ZN7rocprim17ROCPRIM_400000_NS6detail17trampoline_kernelINS0_14default_configENS1_25transform_config_selectorIbLb1EEEZNS1_14transform_implILb1ES3_S5_PKbPbNS0_8identityIbEEEE10hipError_tT2_T3_mT4_P12ihipStream_tbEUlT_E_NS1_11comp_targetILNS1_3genE9ELNS1_11target_archE1100ELNS1_3gpuE3ELNS1_3repE0EEENS1_30default_config_static_selectorELNS0_4arch9wavefront6targetE0EEEvT1_.has_dyn_sized_stack, 0
	.set _ZN7rocprim17ROCPRIM_400000_NS6detail17trampoline_kernelINS0_14default_configENS1_25transform_config_selectorIbLb1EEEZNS1_14transform_implILb1ES3_S5_PKbPbNS0_8identityIbEEEE10hipError_tT2_T3_mT4_P12ihipStream_tbEUlT_E_NS1_11comp_targetILNS1_3genE9ELNS1_11target_archE1100ELNS1_3gpuE3ELNS1_3repE0EEENS1_30default_config_static_selectorELNS0_4arch9wavefront6targetE0EEEvT1_.has_recursion, 0
	.set _ZN7rocprim17ROCPRIM_400000_NS6detail17trampoline_kernelINS0_14default_configENS1_25transform_config_selectorIbLb1EEEZNS1_14transform_implILb1ES3_S5_PKbPbNS0_8identityIbEEEE10hipError_tT2_T3_mT4_P12ihipStream_tbEUlT_E_NS1_11comp_targetILNS1_3genE9ELNS1_11target_archE1100ELNS1_3gpuE3ELNS1_3repE0EEENS1_30default_config_static_selectorELNS0_4arch9wavefront6targetE0EEEvT1_.has_indirect_call, 0
	.section	.AMDGPU.csdata,"",@progbits
; Kernel info:
; codeLenInByte = 0
; TotalNumSgprs: 0
; NumVgprs: 0
; ScratchSize: 0
; MemoryBound: 0
; FloatMode: 240
; IeeeMode: 1
; LDSByteSize: 0 bytes/workgroup (compile time only)
; SGPRBlocks: 0
; VGPRBlocks: 0
; NumSGPRsForWavesPerEU: 1
; NumVGPRsForWavesPerEU: 1
; NamedBarCnt: 0
; Occupancy: 16
; WaveLimiterHint : 0
; COMPUTE_PGM_RSRC2:SCRATCH_EN: 0
; COMPUTE_PGM_RSRC2:USER_SGPR: 2
; COMPUTE_PGM_RSRC2:TRAP_HANDLER: 0
; COMPUTE_PGM_RSRC2:TGID_X_EN: 1
; COMPUTE_PGM_RSRC2:TGID_Y_EN: 0
; COMPUTE_PGM_RSRC2:TGID_Z_EN: 0
; COMPUTE_PGM_RSRC2:TIDIG_COMP_CNT: 0
	.section	.text._ZN7rocprim17ROCPRIM_400000_NS6detail17trampoline_kernelINS0_14default_configENS1_25transform_config_selectorIbLb1EEEZNS1_14transform_implILb1ES3_S5_PKbPbNS0_8identityIbEEEE10hipError_tT2_T3_mT4_P12ihipStream_tbEUlT_E_NS1_11comp_targetILNS1_3genE8ELNS1_11target_archE1030ELNS1_3gpuE2ELNS1_3repE0EEENS1_30default_config_static_selectorELNS0_4arch9wavefront6targetE0EEEvT1_,"axG",@progbits,_ZN7rocprim17ROCPRIM_400000_NS6detail17trampoline_kernelINS0_14default_configENS1_25transform_config_selectorIbLb1EEEZNS1_14transform_implILb1ES3_S5_PKbPbNS0_8identityIbEEEE10hipError_tT2_T3_mT4_P12ihipStream_tbEUlT_E_NS1_11comp_targetILNS1_3genE8ELNS1_11target_archE1030ELNS1_3gpuE2ELNS1_3repE0EEENS1_30default_config_static_selectorELNS0_4arch9wavefront6targetE0EEEvT1_,comdat
	.protected	_ZN7rocprim17ROCPRIM_400000_NS6detail17trampoline_kernelINS0_14default_configENS1_25transform_config_selectorIbLb1EEEZNS1_14transform_implILb1ES3_S5_PKbPbNS0_8identityIbEEEE10hipError_tT2_T3_mT4_P12ihipStream_tbEUlT_E_NS1_11comp_targetILNS1_3genE8ELNS1_11target_archE1030ELNS1_3gpuE2ELNS1_3repE0EEENS1_30default_config_static_selectorELNS0_4arch9wavefront6targetE0EEEvT1_ ; -- Begin function _ZN7rocprim17ROCPRIM_400000_NS6detail17trampoline_kernelINS0_14default_configENS1_25transform_config_selectorIbLb1EEEZNS1_14transform_implILb1ES3_S5_PKbPbNS0_8identityIbEEEE10hipError_tT2_T3_mT4_P12ihipStream_tbEUlT_E_NS1_11comp_targetILNS1_3genE8ELNS1_11target_archE1030ELNS1_3gpuE2ELNS1_3repE0EEENS1_30default_config_static_selectorELNS0_4arch9wavefront6targetE0EEEvT1_
	.globl	_ZN7rocprim17ROCPRIM_400000_NS6detail17trampoline_kernelINS0_14default_configENS1_25transform_config_selectorIbLb1EEEZNS1_14transform_implILb1ES3_S5_PKbPbNS0_8identityIbEEEE10hipError_tT2_T3_mT4_P12ihipStream_tbEUlT_E_NS1_11comp_targetILNS1_3genE8ELNS1_11target_archE1030ELNS1_3gpuE2ELNS1_3repE0EEENS1_30default_config_static_selectorELNS0_4arch9wavefront6targetE0EEEvT1_
	.p2align	8
	.type	_ZN7rocprim17ROCPRIM_400000_NS6detail17trampoline_kernelINS0_14default_configENS1_25transform_config_selectorIbLb1EEEZNS1_14transform_implILb1ES3_S5_PKbPbNS0_8identityIbEEEE10hipError_tT2_T3_mT4_P12ihipStream_tbEUlT_E_NS1_11comp_targetILNS1_3genE8ELNS1_11target_archE1030ELNS1_3gpuE2ELNS1_3repE0EEENS1_30default_config_static_selectorELNS0_4arch9wavefront6targetE0EEEvT1_,@function
_ZN7rocprim17ROCPRIM_400000_NS6detail17trampoline_kernelINS0_14default_configENS1_25transform_config_selectorIbLb1EEEZNS1_14transform_implILb1ES3_S5_PKbPbNS0_8identityIbEEEE10hipError_tT2_T3_mT4_P12ihipStream_tbEUlT_E_NS1_11comp_targetILNS1_3genE8ELNS1_11target_archE1030ELNS1_3gpuE2ELNS1_3repE0EEENS1_30default_config_static_selectorELNS0_4arch9wavefront6targetE0EEEvT1_: ; @_ZN7rocprim17ROCPRIM_400000_NS6detail17trampoline_kernelINS0_14default_configENS1_25transform_config_selectorIbLb1EEEZNS1_14transform_implILb1ES3_S5_PKbPbNS0_8identityIbEEEE10hipError_tT2_T3_mT4_P12ihipStream_tbEUlT_E_NS1_11comp_targetILNS1_3genE8ELNS1_11target_archE1030ELNS1_3gpuE2ELNS1_3repE0EEENS1_30default_config_static_selectorELNS0_4arch9wavefront6targetE0EEEvT1_
; %bb.0:
	.section	.rodata,"a",@progbits
	.p2align	6, 0x0
	.amdhsa_kernel _ZN7rocprim17ROCPRIM_400000_NS6detail17trampoline_kernelINS0_14default_configENS1_25transform_config_selectorIbLb1EEEZNS1_14transform_implILb1ES3_S5_PKbPbNS0_8identityIbEEEE10hipError_tT2_T3_mT4_P12ihipStream_tbEUlT_E_NS1_11comp_targetILNS1_3genE8ELNS1_11target_archE1030ELNS1_3gpuE2ELNS1_3repE0EEENS1_30default_config_static_selectorELNS0_4arch9wavefront6targetE0EEEvT1_
		.amdhsa_group_segment_fixed_size 0
		.amdhsa_private_segment_fixed_size 0
		.amdhsa_kernarg_size 40
		.amdhsa_user_sgpr_count 2
		.amdhsa_user_sgpr_dispatch_ptr 0
		.amdhsa_user_sgpr_queue_ptr 0
		.amdhsa_user_sgpr_kernarg_segment_ptr 1
		.amdhsa_user_sgpr_dispatch_id 0
		.amdhsa_user_sgpr_kernarg_preload_length 0
		.amdhsa_user_sgpr_kernarg_preload_offset 0
		.amdhsa_user_sgpr_private_segment_size 0
		.amdhsa_wavefront_size32 1
		.amdhsa_uses_dynamic_stack 0
		.amdhsa_enable_private_segment 0
		.amdhsa_system_sgpr_workgroup_id_x 1
		.amdhsa_system_sgpr_workgroup_id_y 0
		.amdhsa_system_sgpr_workgroup_id_z 0
		.amdhsa_system_sgpr_workgroup_info 0
		.amdhsa_system_vgpr_workitem_id 0
		.amdhsa_next_free_vgpr 1
		.amdhsa_next_free_sgpr 1
		.amdhsa_named_barrier_count 0
		.amdhsa_reserve_vcc 0
		.amdhsa_float_round_mode_32 0
		.amdhsa_float_round_mode_16_64 0
		.amdhsa_float_denorm_mode_32 3
		.amdhsa_float_denorm_mode_16_64 3
		.amdhsa_fp16_overflow 0
		.amdhsa_memory_ordered 1
		.amdhsa_forward_progress 1
		.amdhsa_inst_pref_size 0
		.amdhsa_round_robin_scheduling 0
		.amdhsa_exception_fp_ieee_invalid_op 0
		.amdhsa_exception_fp_denorm_src 0
		.amdhsa_exception_fp_ieee_div_zero 0
		.amdhsa_exception_fp_ieee_overflow 0
		.amdhsa_exception_fp_ieee_underflow 0
		.amdhsa_exception_fp_ieee_inexact 0
		.amdhsa_exception_int_div_zero 0
	.end_amdhsa_kernel
	.section	.text._ZN7rocprim17ROCPRIM_400000_NS6detail17trampoline_kernelINS0_14default_configENS1_25transform_config_selectorIbLb1EEEZNS1_14transform_implILb1ES3_S5_PKbPbNS0_8identityIbEEEE10hipError_tT2_T3_mT4_P12ihipStream_tbEUlT_E_NS1_11comp_targetILNS1_3genE8ELNS1_11target_archE1030ELNS1_3gpuE2ELNS1_3repE0EEENS1_30default_config_static_selectorELNS0_4arch9wavefront6targetE0EEEvT1_,"axG",@progbits,_ZN7rocprim17ROCPRIM_400000_NS6detail17trampoline_kernelINS0_14default_configENS1_25transform_config_selectorIbLb1EEEZNS1_14transform_implILb1ES3_S5_PKbPbNS0_8identityIbEEEE10hipError_tT2_T3_mT4_P12ihipStream_tbEUlT_E_NS1_11comp_targetILNS1_3genE8ELNS1_11target_archE1030ELNS1_3gpuE2ELNS1_3repE0EEENS1_30default_config_static_selectorELNS0_4arch9wavefront6targetE0EEEvT1_,comdat
.Lfunc_end1740:
	.size	_ZN7rocprim17ROCPRIM_400000_NS6detail17trampoline_kernelINS0_14default_configENS1_25transform_config_selectorIbLb1EEEZNS1_14transform_implILb1ES3_S5_PKbPbNS0_8identityIbEEEE10hipError_tT2_T3_mT4_P12ihipStream_tbEUlT_E_NS1_11comp_targetILNS1_3genE8ELNS1_11target_archE1030ELNS1_3gpuE2ELNS1_3repE0EEENS1_30default_config_static_selectorELNS0_4arch9wavefront6targetE0EEEvT1_, .Lfunc_end1740-_ZN7rocprim17ROCPRIM_400000_NS6detail17trampoline_kernelINS0_14default_configENS1_25transform_config_selectorIbLb1EEEZNS1_14transform_implILb1ES3_S5_PKbPbNS0_8identityIbEEEE10hipError_tT2_T3_mT4_P12ihipStream_tbEUlT_E_NS1_11comp_targetILNS1_3genE8ELNS1_11target_archE1030ELNS1_3gpuE2ELNS1_3repE0EEENS1_30default_config_static_selectorELNS0_4arch9wavefront6targetE0EEEvT1_
                                        ; -- End function
	.set _ZN7rocprim17ROCPRIM_400000_NS6detail17trampoline_kernelINS0_14default_configENS1_25transform_config_selectorIbLb1EEEZNS1_14transform_implILb1ES3_S5_PKbPbNS0_8identityIbEEEE10hipError_tT2_T3_mT4_P12ihipStream_tbEUlT_E_NS1_11comp_targetILNS1_3genE8ELNS1_11target_archE1030ELNS1_3gpuE2ELNS1_3repE0EEENS1_30default_config_static_selectorELNS0_4arch9wavefront6targetE0EEEvT1_.num_vgpr, 0
	.set _ZN7rocprim17ROCPRIM_400000_NS6detail17trampoline_kernelINS0_14default_configENS1_25transform_config_selectorIbLb1EEEZNS1_14transform_implILb1ES3_S5_PKbPbNS0_8identityIbEEEE10hipError_tT2_T3_mT4_P12ihipStream_tbEUlT_E_NS1_11comp_targetILNS1_3genE8ELNS1_11target_archE1030ELNS1_3gpuE2ELNS1_3repE0EEENS1_30default_config_static_selectorELNS0_4arch9wavefront6targetE0EEEvT1_.num_agpr, 0
	.set _ZN7rocprim17ROCPRIM_400000_NS6detail17trampoline_kernelINS0_14default_configENS1_25transform_config_selectorIbLb1EEEZNS1_14transform_implILb1ES3_S5_PKbPbNS0_8identityIbEEEE10hipError_tT2_T3_mT4_P12ihipStream_tbEUlT_E_NS1_11comp_targetILNS1_3genE8ELNS1_11target_archE1030ELNS1_3gpuE2ELNS1_3repE0EEENS1_30default_config_static_selectorELNS0_4arch9wavefront6targetE0EEEvT1_.numbered_sgpr, 0
	.set _ZN7rocprim17ROCPRIM_400000_NS6detail17trampoline_kernelINS0_14default_configENS1_25transform_config_selectorIbLb1EEEZNS1_14transform_implILb1ES3_S5_PKbPbNS0_8identityIbEEEE10hipError_tT2_T3_mT4_P12ihipStream_tbEUlT_E_NS1_11comp_targetILNS1_3genE8ELNS1_11target_archE1030ELNS1_3gpuE2ELNS1_3repE0EEENS1_30default_config_static_selectorELNS0_4arch9wavefront6targetE0EEEvT1_.num_named_barrier, 0
	.set _ZN7rocprim17ROCPRIM_400000_NS6detail17trampoline_kernelINS0_14default_configENS1_25transform_config_selectorIbLb1EEEZNS1_14transform_implILb1ES3_S5_PKbPbNS0_8identityIbEEEE10hipError_tT2_T3_mT4_P12ihipStream_tbEUlT_E_NS1_11comp_targetILNS1_3genE8ELNS1_11target_archE1030ELNS1_3gpuE2ELNS1_3repE0EEENS1_30default_config_static_selectorELNS0_4arch9wavefront6targetE0EEEvT1_.private_seg_size, 0
	.set _ZN7rocprim17ROCPRIM_400000_NS6detail17trampoline_kernelINS0_14default_configENS1_25transform_config_selectorIbLb1EEEZNS1_14transform_implILb1ES3_S5_PKbPbNS0_8identityIbEEEE10hipError_tT2_T3_mT4_P12ihipStream_tbEUlT_E_NS1_11comp_targetILNS1_3genE8ELNS1_11target_archE1030ELNS1_3gpuE2ELNS1_3repE0EEENS1_30default_config_static_selectorELNS0_4arch9wavefront6targetE0EEEvT1_.uses_vcc, 0
	.set _ZN7rocprim17ROCPRIM_400000_NS6detail17trampoline_kernelINS0_14default_configENS1_25transform_config_selectorIbLb1EEEZNS1_14transform_implILb1ES3_S5_PKbPbNS0_8identityIbEEEE10hipError_tT2_T3_mT4_P12ihipStream_tbEUlT_E_NS1_11comp_targetILNS1_3genE8ELNS1_11target_archE1030ELNS1_3gpuE2ELNS1_3repE0EEENS1_30default_config_static_selectorELNS0_4arch9wavefront6targetE0EEEvT1_.uses_flat_scratch, 0
	.set _ZN7rocprim17ROCPRIM_400000_NS6detail17trampoline_kernelINS0_14default_configENS1_25transform_config_selectorIbLb1EEEZNS1_14transform_implILb1ES3_S5_PKbPbNS0_8identityIbEEEE10hipError_tT2_T3_mT4_P12ihipStream_tbEUlT_E_NS1_11comp_targetILNS1_3genE8ELNS1_11target_archE1030ELNS1_3gpuE2ELNS1_3repE0EEENS1_30default_config_static_selectorELNS0_4arch9wavefront6targetE0EEEvT1_.has_dyn_sized_stack, 0
	.set _ZN7rocprim17ROCPRIM_400000_NS6detail17trampoline_kernelINS0_14default_configENS1_25transform_config_selectorIbLb1EEEZNS1_14transform_implILb1ES3_S5_PKbPbNS0_8identityIbEEEE10hipError_tT2_T3_mT4_P12ihipStream_tbEUlT_E_NS1_11comp_targetILNS1_3genE8ELNS1_11target_archE1030ELNS1_3gpuE2ELNS1_3repE0EEENS1_30default_config_static_selectorELNS0_4arch9wavefront6targetE0EEEvT1_.has_recursion, 0
	.set _ZN7rocprim17ROCPRIM_400000_NS6detail17trampoline_kernelINS0_14default_configENS1_25transform_config_selectorIbLb1EEEZNS1_14transform_implILb1ES3_S5_PKbPbNS0_8identityIbEEEE10hipError_tT2_T3_mT4_P12ihipStream_tbEUlT_E_NS1_11comp_targetILNS1_3genE8ELNS1_11target_archE1030ELNS1_3gpuE2ELNS1_3repE0EEENS1_30default_config_static_selectorELNS0_4arch9wavefront6targetE0EEEvT1_.has_indirect_call, 0
	.section	.AMDGPU.csdata,"",@progbits
; Kernel info:
; codeLenInByte = 0
; TotalNumSgprs: 0
; NumVgprs: 0
; ScratchSize: 0
; MemoryBound: 0
; FloatMode: 240
; IeeeMode: 1
; LDSByteSize: 0 bytes/workgroup (compile time only)
; SGPRBlocks: 0
; VGPRBlocks: 0
; NumSGPRsForWavesPerEU: 1
; NumVGPRsForWavesPerEU: 1
; NamedBarCnt: 0
; Occupancy: 16
; WaveLimiterHint : 0
; COMPUTE_PGM_RSRC2:SCRATCH_EN: 0
; COMPUTE_PGM_RSRC2:USER_SGPR: 2
; COMPUTE_PGM_RSRC2:TRAP_HANDLER: 0
; COMPUTE_PGM_RSRC2:TGID_X_EN: 1
; COMPUTE_PGM_RSRC2:TGID_Y_EN: 0
; COMPUTE_PGM_RSRC2:TGID_Z_EN: 0
; COMPUTE_PGM_RSRC2:TIDIG_COMP_CNT: 0
	.section	.text._ZN7rocprim17ROCPRIM_400000_NS6detail17trampoline_kernelINS0_14default_configENS1_35radix_sort_onesweep_config_selectorIbNS0_10empty_typeEEEZZNS1_29radix_sort_onesweep_iterationIS3_Lb1EPKbPbPS5_SB_mNS0_19identity_decomposerENS1_16block_id_wrapperIjLb1EEEEE10hipError_tT1_PNSt15iterator_traitsISG_E10value_typeET2_T3_PNSH_ISM_E10value_typeET4_T5_PSR_SS_PNS1_23onesweep_lookback_stateEbbT6_jjT7_P12ihipStream_tbENKUlT_T0_SG_SL_E_clIS9_SA_SB_SB_EEDaSZ_S10_SG_SL_EUlSZ_E_NS1_11comp_targetILNS1_3genE0ELNS1_11target_archE4294967295ELNS1_3gpuE0ELNS1_3repE0EEENS1_47radix_sort_onesweep_sort_config_static_selectorELNS0_4arch9wavefront6targetE0EEEvSG_,"axG",@progbits,_ZN7rocprim17ROCPRIM_400000_NS6detail17trampoline_kernelINS0_14default_configENS1_35radix_sort_onesweep_config_selectorIbNS0_10empty_typeEEEZZNS1_29radix_sort_onesweep_iterationIS3_Lb1EPKbPbPS5_SB_mNS0_19identity_decomposerENS1_16block_id_wrapperIjLb1EEEEE10hipError_tT1_PNSt15iterator_traitsISG_E10value_typeET2_T3_PNSH_ISM_E10value_typeET4_T5_PSR_SS_PNS1_23onesweep_lookback_stateEbbT6_jjT7_P12ihipStream_tbENKUlT_T0_SG_SL_E_clIS9_SA_SB_SB_EEDaSZ_S10_SG_SL_EUlSZ_E_NS1_11comp_targetILNS1_3genE0ELNS1_11target_archE4294967295ELNS1_3gpuE0ELNS1_3repE0EEENS1_47radix_sort_onesweep_sort_config_static_selectorELNS0_4arch9wavefront6targetE0EEEvSG_,comdat
	.protected	_ZN7rocprim17ROCPRIM_400000_NS6detail17trampoline_kernelINS0_14default_configENS1_35radix_sort_onesweep_config_selectorIbNS0_10empty_typeEEEZZNS1_29radix_sort_onesweep_iterationIS3_Lb1EPKbPbPS5_SB_mNS0_19identity_decomposerENS1_16block_id_wrapperIjLb1EEEEE10hipError_tT1_PNSt15iterator_traitsISG_E10value_typeET2_T3_PNSH_ISM_E10value_typeET4_T5_PSR_SS_PNS1_23onesweep_lookback_stateEbbT6_jjT7_P12ihipStream_tbENKUlT_T0_SG_SL_E_clIS9_SA_SB_SB_EEDaSZ_S10_SG_SL_EUlSZ_E_NS1_11comp_targetILNS1_3genE0ELNS1_11target_archE4294967295ELNS1_3gpuE0ELNS1_3repE0EEENS1_47radix_sort_onesweep_sort_config_static_selectorELNS0_4arch9wavefront6targetE0EEEvSG_ ; -- Begin function _ZN7rocprim17ROCPRIM_400000_NS6detail17trampoline_kernelINS0_14default_configENS1_35radix_sort_onesweep_config_selectorIbNS0_10empty_typeEEEZZNS1_29radix_sort_onesweep_iterationIS3_Lb1EPKbPbPS5_SB_mNS0_19identity_decomposerENS1_16block_id_wrapperIjLb1EEEEE10hipError_tT1_PNSt15iterator_traitsISG_E10value_typeET2_T3_PNSH_ISM_E10value_typeET4_T5_PSR_SS_PNS1_23onesweep_lookback_stateEbbT6_jjT7_P12ihipStream_tbENKUlT_T0_SG_SL_E_clIS9_SA_SB_SB_EEDaSZ_S10_SG_SL_EUlSZ_E_NS1_11comp_targetILNS1_3genE0ELNS1_11target_archE4294967295ELNS1_3gpuE0ELNS1_3repE0EEENS1_47radix_sort_onesweep_sort_config_static_selectorELNS0_4arch9wavefront6targetE0EEEvSG_
	.globl	_ZN7rocprim17ROCPRIM_400000_NS6detail17trampoline_kernelINS0_14default_configENS1_35radix_sort_onesweep_config_selectorIbNS0_10empty_typeEEEZZNS1_29radix_sort_onesweep_iterationIS3_Lb1EPKbPbPS5_SB_mNS0_19identity_decomposerENS1_16block_id_wrapperIjLb1EEEEE10hipError_tT1_PNSt15iterator_traitsISG_E10value_typeET2_T3_PNSH_ISM_E10value_typeET4_T5_PSR_SS_PNS1_23onesweep_lookback_stateEbbT6_jjT7_P12ihipStream_tbENKUlT_T0_SG_SL_E_clIS9_SA_SB_SB_EEDaSZ_S10_SG_SL_EUlSZ_E_NS1_11comp_targetILNS1_3genE0ELNS1_11target_archE4294967295ELNS1_3gpuE0ELNS1_3repE0EEENS1_47radix_sort_onesweep_sort_config_static_selectorELNS0_4arch9wavefront6targetE0EEEvSG_
	.p2align	8
	.type	_ZN7rocprim17ROCPRIM_400000_NS6detail17trampoline_kernelINS0_14default_configENS1_35radix_sort_onesweep_config_selectorIbNS0_10empty_typeEEEZZNS1_29radix_sort_onesweep_iterationIS3_Lb1EPKbPbPS5_SB_mNS0_19identity_decomposerENS1_16block_id_wrapperIjLb1EEEEE10hipError_tT1_PNSt15iterator_traitsISG_E10value_typeET2_T3_PNSH_ISM_E10value_typeET4_T5_PSR_SS_PNS1_23onesweep_lookback_stateEbbT6_jjT7_P12ihipStream_tbENKUlT_T0_SG_SL_E_clIS9_SA_SB_SB_EEDaSZ_S10_SG_SL_EUlSZ_E_NS1_11comp_targetILNS1_3genE0ELNS1_11target_archE4294967295ELNS1_3gpuE0ELNS1_3repE0EEENS1_47radix_sort_onesweep_sort_config_static_selectorELNS0_4arch9wavefront6targetE0EEEvSG_,@function
_ZN7rocprim17ROCPRIM_400000_NS6detail17trampoline_kernelINS0_14default_configENS1_35radix_sort_onesweep_config_selectorIbNS0_10empty_typeEEEZZNS1_29radix_sort_onesweep_iterationIS3_Lb1EPKbPbPS5_SB_mNS0_19identity_decomposerENS1_16block_id_wrapperIjLb1EEEEE10hipError_tT1_PNSt15iterator_traitsISG_E10value_typeET2_T3_PNSH_ISM_E10value_typeET4_T5_PSR_SS_PNS1_23onesweep_lookback_stateEbbT6_jjT7_P12ihipStream_tbENKUlT_T0_SG_SL_E_clIS9_SA_SB_SB_EEDaSZ_S10_SG_SL_EUlSZ_E_NS1_11comp_targetILNS1_3genE0ELNS1_11target_archE4294967295ELNS1_3gpuE0ELNS1_3repE0EEENS1_47radix_sort_onesweep_sort_config_static_selectorELNS0_4arch9wavefront6targetE0EEEvSG_: ; @_ZN7rocprim17ROCPRIM_400000_NS6detail17trampoline_kernelINS0_14default_configENS1_35radix_sort_onesweep_config_selectorIbNS0_10empty_typeEEEZZNS1_29radix_sort_onesweep_iterationIS3_Lb1EPKbPbPS5_SB_mNS0_19identity_decomposerENS1_16block_id_wrapperIjLb1EEEEE10hipError_tT1_PNSt15iterator_traitsISG_E10value_typeET2_T3_PNSH_ISM_E10value_typeET4_T5_PSR_SS_PNS1_23onesweep_lookback_stateEbbT6_jjT7_P12ihipStream_tbENKUlT_T0_SG_SL_E_clIS9_SA_SB_SB_EEDaSZ_S10_SG_SL_EUlSZ_E_NS1_11comp_targetILNS1_3genE0ELNS1_11target_archE4294967295ELNS1_3gpuE0ELNS1_3repE0EEENS1_47radix_sort_onesweep_sort_config_static_selectorELNS0_4arch9wavefront6targetE0EEEvSG_
; %bb.0:
	s_clause 0x1
	s_load_b128 s[8:11], s[0:1], 0x28
	s_load_b64 s[20:21], s[0:1], 0x38
	s_mov_b32 s2, exec_lo
	v_cmpx_eq_u32_e32 0, v0
	s_cbranch_execz .LBB1741_4
; %bb.1:
	s_mov_b32 s4, exec_lo
	s_mov_b32 s3, exec_lo
	v_mbcnt_lo_u32_b32 v1, s4, 0
                                        ; implicit-def: $vgpr2
	s_delay_alu instid0(VALU_DEP_1)
	v_cmpx_eq_u32_e32 0, v1
	s_cbranch_execz .LBB1741_3
; %bb.2:
	s_load_b64 s[6:7], s[0:1], 0x50
	s_bcnt1_i32_b32 s4, s4
	s_delay_alu instid0(SALU_CYCLE_1)
	v_dual_mov_b32 v2, 0 :: v_dual_mov_b32 v3, s4
	s_wait_xcnt 0x0
	s_wait_kmcnt 0x0
	global_atomic_add_u32 v2, v2, v3, s[6:7] th:TH_ATOMIC_RETURN scope:SCOPE_DEV
.LBB1741_3:
	s_wait_xcnt 0x0
	s_or_b32 exec_lo, exec_lo, s3
	s_wait_loadcnt 0x0
	v_readfirstlane_b32 s3, v2
	s_delay_alu instid0(VALU_DEP_1)
	v_dual_mov_b32 v2, 0 :: v_dual_add_nc_u32 v1, s3, v1
	ds_store_b32 v2, v1 offset:32896
.LBB1741_4:
	s_or_b32 exec_lo, exec_lo, s2
	v_mov_b32_e32 v7, 0
	s_clause 0x2
	s_load_b128 s[12:15], s[0:1], 0x0
	s_load_b32 s2, s[0:1], 0x20
	s_load_b96 s[16:18], s[0:1], 0x44
	s_wait_dscnt 0x0
	s_barrier_signal -1
	s_barrier_wait -1
	ds_load_b32 v1, v7 offset:32896
	v_mul_u32_u24_e32 v6, 22, v0
	s_mov_b32 s3, -1
	s_wait_dscnt 0x0
	s_barrier_signal -1
	s_barrier_wait -1
	v_readfirstlane_b32 s19, v1
	s_wait_kmcnt 0x0
	v_cmp_le_u32_e32 vcc_lo, s18, v1
	s_mul_i32 s22, s19, 0x5800
	s_cbranch_vccz .LBB1741_116
; %bb.5:
	s_mov_b32 s23, 0
	s_mulk_i32 s18, 0xa800
	s_add_nc_u64 s[4:5], s[12:13], s[22:23]
	s_add_co_i32 s18, s18, s2
	v_add_nc_u64_e32 v[2:3], s[4:5], v[6:7]
	v_cmp_gt_u32_e32 vcc_lo, s18, v6
	v_dual_mov_b32 v24, 0 :: v_dual_mov_b32 v23, 0
	v_dual_mov_b32 v22, 0 :: v_dual_mov_b32 v21, 0
	;; [unrolled: 1-line block ×10, first 2 shown]
	s_and_saveexec_b32 s2, vcc_lo
	s_cbranch_execz .LBB1741_7
; %bb.6:
	global_load_u8 v24, v[2:3], off
	v_dual_mov_b32 v23, 0 :: v_dual_mov_b32 v22, 0
	v_dual_mov_b32 v21, 0 :: v_dual_mov_b32 v20, 0
	;; [unrolled: 1-line block ×9, first 2 shown]
	v_mov_b32_e32 v1, 0
.LBB1741_7:
	s_wait_xcnt 0x0
	s_or_b32 exec_lo, exec_lo, s2
	v_or_b32_e32 v25, 1, v6
	s_delay_alu instid0(VALU_DEP_1)
	v_cmp_gt_u32_e32 vcc_lo, s18, v25
	v_mov_b32_e32 v25, v7
	s_and_saveexec_b32 s2, vcc_lo
	s_cbranch_execz .LBB1741_9
; %bb.8:
	global_load_u8 v25, v[2:3], off offset:1
.LBB1741_9:
	s_wait_xcnt 0x0
	s_or_b32 exec_lo, exec_lo, s2
	v_add_nc_u32_e32 v26, 2, v6
	s_mov_b32 s2, exec_lo
	s_delay_alu instid0(VALU_DEP_1)
	v_cmpx_gt_u32_e64 s18, v26
	s_cbranch_execz .LBB1741_11
; %bb.10:
	global_load_u8 v7, v[2:3], off offset:2
.LBB1741_11:
	s_wait_xcnt 0x0
	s_or_b32 exec_lo, exec_lo, s2
	v_add_nc_u32_e32 v26, 3, v6
	s_mov_b32 s2, exec_lo
	s_delay_alu instid0(VALU_DEP_1)
	v_cmpx_gt_u32_e64 s18, v26
	;; [unrolled: 10-line block ×20, first 2 shown]
	s_cbranch_execz .LBB1741_49
; %bb.48:
	global_load_u8 v1, v[2:3], off offset:21
.LBB1741_49:
	s_wait_xcnt 0x0
	s_or_b32 exec_lo, exec_lo, s2
	s_wait_loadcnt 0x0
	v_dual_mov_b32 v63, 0 :: v_dual_bitop2_b32 v2, 1, v24 bitop3:0x40
	s_lshl_b32 s23, -1, s17
	v_and_b32_e32 v7, 1, v7
	v_and_b32_e32 v23, 1, v23
	s_delay_alu instid0(VALU_DEP_3)
	v_cmp_eq_u32_e32 vcc_lo, 1, v2
	v_and_b32_e32 v20, 1, v20
	v_and_b32_e32 v18, 1, v18
	v_and_b32_e32 v16, 1, v16
	v_and_b32_e32 v14, 1, v14
	s_xor_b32 s2, vcc_lo, -1
	v_and_b32_e32 v12, 1, v12
	v_cndmask_b32_e64 v24, 0, 1, s2
	v_and_b32_e32 v10, 1, v10
	v_and_b32_e32 v8, 1, v8
	;; [unrolled: 1-line block ×3, first 2 shown]
	s_delay_alu instid0(VALU_DEP_4) | instskip(SKIP_3) | instid1(VALU_DEP_4)
	v_dual_lshrrev_b32 v2, s16, v24 :: v_dual_bitop2_b32 v3, 1, v25 bitop3:0x40
	v_and_b32_e32 v22, 1, v22
	v_and_b32_e32 v21, 1, v21
	;; [unrolled: 1-line block ×3, first 2 shown]
	v_cmp_eq_u32_e32 vcc_lo, 1, v3
	v_bitop3_b32 v2, v2, s23, v2 bitop3:0x30
	v_and_b32_e32 v17, 1, v17
	v_and_b32_e32 v15, 1, v15
	;; [unrolled: 1-line block ×3, first 2 shown]
	s_xor_b32 s2, vcc_lo, -1
	v_cmp_eq_u32_e32 vcc_lo, 1, v7
	v_cndmask_b32_e64 v25, 0, 1, s2
	v_dual_lshlrev_b32 v61, 2, v0 :: v_dual_bitop2_b32 v11, 1, v11 bitop3:0x40
	v_and_b32_e32 v9, 1, v9
	s_xor_b32 s2, vcc_lo, -1
	s_delay_alu instid0(VALU_DEP_3) | instskip(NEXT) | instid1(VALU_DEP_3)
	v_lshrrev_b32_e32 v3, s16, v25
	v_lshl_or_b32 v2, v2, 12, v61
	ds_store_2addr_stride64_b32 v61, v63, v63 offset1:16
	v_cndmask_b32_e64 v7, 0, 1, s2
	v_cmp_eq_u32_e32 vcc_lo, 1, v23
	v_bitop3_b32 v3, v3, s23, v3 bitop3:0x30
	ds_load_u16 v26, v2
	v_dual_lshrrev_b32 v28, s16, v7 :: v_dual_bitop2_b32 v5, 1, v5 bitop3:0x40
	s_xor_b32 s2, vcc_lo, -1
	v_lshl_or_b32 v3, v3, 12, v61
	v_cndmask_b32_e64 v23, 0, 1, s2
	v_cmp_eq_u32_e32 vcc_lo, 1, v22
	v_bitop3_b32 v28, v28, s23, v28 bitop3:0x30
	v_and_b32_e32 v1, 1, v1
	s_xor_b32 s2, vcc_lo, -1
	s_delay_alu instid0(VALU_DEP_2)
	v_lshl_or_b32 v37, v28, 12, v61
	v_cndmask_b32_e64 v22, 0, 1, s2
	v_cmp_eq_u32_e32 vcc_lo, 1, v21
	s_xor_b32 s2, vcc_lo, -1
	s_wait_dscnt 0x0
	v_add_nc_u16 v27, v26, 1
	v_cndmask_b32_e64 v21, 0, 1, s2
	v_cmp_eq_u32_e32 vcc_lo, 1, v20
	ds_store_b16 v2, v27
	ds_load_u16 v27, v3
	s_xor_b32 s2, vcc_lo, -1
	v_cmp_eq_u32_e32 vcc_lo, 1, v19
	v_cndmask_b32_e64 v20, 0, 1, s2
	s_xor_b32 s2, vcc_lo, -1
	v_cmp_eq_u32_e32 vcc_lo, 1, v18
	v_cndmask_b32_e64 v19, 0, 1, s2
	;; [unrolled: 3-line block ×3, first 2 shown]
	s_xor_b32 s2, vcc_lo, -1
	s_wait_dscnt 0x0
	v_add_nc_u16 v29, v27, 1
	v_cndmask_b32_e64 v17, 0, 1, s2
	v_cmp_eq_u32_e32 vcc_lo, 1, v16
	ds_store_b16 v3, v29
	ds_load_u16 v28, v37
	v_lshrrev_b32_e32 v29, s16, v23
	s_xor_b32 s2, vcc_lo, -1
	v_cmp_eq_u32_e32 vcc_lo, 1, v15
	v_cndmask_b32_e64 v16, 0, 1, s2
	s_delay_alu instid0(VALU_DEP_3) | instskip(SKIP_3) | instid1(VALU_DEP_3)
	v_bitop3_b32 v29, v29, s23, v29 bitop3:0x30
	s_xor_b32 s2, vcc_lo, -1
	v_cmp_eq_u32_e32 vcc_lo, 1, v14
	v_cndmask_b32_e64 v15, 0, 1, s2
	v_lshl_or_b32 v40, v29, 12, v61
	s_xor_b32 s2, vcc_lo, -1
	v_cmp_eq_u32_e32 vcc_lo, 1, v13
	v_cndmask_b32_e64 v14, 0, 1, s2
	s_wait_dscnt 0x0
	v_add_nc_u16 v30, v28, 1
	s_xor_b32 s2, vcc_lo, -1
	v_cmp_eq_u32_e32 vcc_lo, 1, v12
	v_cndmask_b32_e64 v13, 0, 1, s2
	ds_store_b16 v37, v30
	ds_load_u16 v29, v40
	v_lshrrev_b32_e32 v30, s16, v22
	s_xor_b32 s2, vcc_lo, -1
	v_cmp_eq_u32_e32 vcc_lo, 1, v11
	v_cndmask_b32_e64 v12, 0, 1, s2
	s_delay_alu instid0(VALU_DEP_3) | instskip(SKIP_3) | instid1(VALU_DEP_3)
	v_bitop3_b32 v30, v30, s23, v30 bitop3:0x30
	s_xor_b32 s2, vcc_lo, -1
	v_cmp_eq_u32_e32 vcc_lo, 1, v10
	v_cndmask_b32_e64 v11, 0, 1, s2
	v_lshl_or_b32 v43, v30, 12, v61
	s_xor_b32 s2, vcc_lo, -1
	v_cmp_eq_u32_e32 vcc_lo, 1, v9
	v_cndmask_b32_e64 v10, 0, 1, s2
	s_wait_dscnt 0x0
	v_add_nc_u16 v31, v29, 1
	s_xor_b32 s2, vcc_lo, -1
	v_cmp_eq_u32_e32 vcc_lo, 1, v8
	v_cndmask_b32_e64 v9, 0, 1, s2
	ds_store_b16 v40, v31
	ds_load_u16 v30, v43
	v_lshrrev_b32_e32 v31, s16, v21
	s_xor_b32 s2, vcc_lo, -1
	v_cmp_eq_u32_e32 vcc_lo, 1, v5
	v_cndmask_b32_e64 v8, 0, 1, s2
	s_delay_alu instid0(VALU_DEP_3) | instskip(SKIP_2) | instid1(VALU_DEP_2)
	v_bitop3_b32 v31, v31, s23, v31 bitop3:0x30
	s_xor_b32 s2, vcc_lo, -1
	v_cmp_eq_u32_e32 vcc_lo, 1, v45
	v_lshl_or_b32 v46, v31, 12, v61
	s_wait_dscnt 0x0
	v_add_nc_u16 v32, v30, 1
	ds_store_b16 v43, v32
	ds_load_u16 v31, v46
	v_lshrrev_b32_e32 v32, s16, v20
	s_delay_alu instid0(VALU_DEP_1) | instskip(NEXT) | instid1(VALU_DEP_1)
	v_bitop3_b32 v32, v32, s23, v32 bitop3:0x30
	v_lshl_or_b32 v48, v32, 12, v61
	s_wait_dscnt 0x0
	v_add_nc_u16 v33, v31, 1
	ds_store_b16 v46, v33
	ds_load_u16 v32, v48
	v_lshrrev_b32_e32 v33, s16, v19
	s_delay_alu instid0(VALU_DEP_1) | instskip(NEXT) | instid1(VALU_DEP_1)
	v_bitop3_b32 v33, v33, s23, v33 bitop3:0x30
	;; [unrolled: 8-line block ×7, first 2 shown]
	v_lshl_or_b32 v58, v39, 12, v61
	v_lshrrev_b32_e32 v39, s16, v13
	s_delay_alu instid0(VALU_DEP_1) | instskip(SKIP_2) | instid1(VALU_DEP_2)
	v_bitop3_b32 v39, v39, s23, v39 bitop3:0x30
	s_wait_dscnt 0x0
	v_add_nc_u16 v41, v38, 1
	v_lshl_or_b32 v60, v39, 12, v61
	v_lshrrev_b32_e32 v39, s16, v12
	ds_store_b16 v57, v41
	ds_load_u16 v41, v58
	v_bitop3_b32 v39, v39, s23, v39 bitop3:0x30
	s_delay_alu instid0(VALU_DEP_1) | instskip(SKIP_1) | instid1(VALU_DEP_1)
	v_lshl_or_b32 v62, v39, 12, v61
	v_lshrrev_b32_e32 v39, s16, v11
	v_bitop3_b32 v39, v39, s23, v39 bitop3:0x30
	s_delay_alu instid0(VALU_DEP_1) | instskip(SKIP_3) | instid1(VALU_DEP_2)
	v_lshl_or_b32 v64, v39, 12, v61
	v_lshrrev_b32_e32 v39, s16, v10
	s_wait_dscnt 0x0
	v_add_nc_u16 v42, v41, 1
	v_bitop3_b32 v39, v39, s23, v39 bitop3:0x30
	ds_store_b16 v58, v42
	ds_load_u16 v44, v60
	v_lshl_or_b32 v65, v39, 12, v61
	v_lshrrev_b32_e32 v39, s16, v9
	s_delay_alu instid0(VALU_DEP_1) | instskip(NEXT) | instid1(VALU_DEP_1)
	v_bitop3_b32 v39, v39, s23, v39 bitop3:0x30
	v_lshl_or_b32 v66, v39, 12, v61
	v_lshrrev_b32_e32 v39, s16, v8
	s_wait_dscnt 0x0
	v_add_nc_u16 v42, v44, 1
	s_delay_alu instid0(VALU_DEP_2)
	v_bitop3_b32 v39, v39, s23, v39 bitop3:0x30
	ds_store_b16 v60, v42
	ds_load_u16 v47, v62
	v_lshl_or_b32 v67, v39, 12, v61
	v_cndmask_b32_e64 v39, 0, 1, s2
	s_xor_b32 s2, vcc_lo, -1
	v_cmp_eq_u32_e32 vcc_lo, 1, v1
	s_wait_dscnt 0x0
	v_add_nc_u16 v42, v47, 1
	ds_store_b16 v62, v42
	ds_load_u16 v49, v64
	s_wait_dscnt 0x0
	v_add_nc_u16 v42, v49, 1
	ds_store_b16 v64, v42
	ds_load_u16 v51, v65
	;; [unrolled: 4-line block ×4, first 2 shown]
	v_lshrrev_b32_e32 v42, s16, v39
	s_delay_alu instid0(VALU_DEP_1) | instskip(NEXT) | instid1(VALU_DEP_1)
	v_bitop3_b32 v42, v42, s23, v42 bitop3:0x30
	v_lshl_or_b32 v4, v42, 12, v61
	v_cndmask_b32_e64 v42, 0, 1, s2
	s_xor_b32 s2, vcc_lo, -1
	s_delay_alu instid0(VALU_DEP_1) | instskip(SKIP_2) | instid1(VALU_DEP_2)
	v_lshrrev_b32_e32 v45, s16, v42
	s_wait_dscnt 0x0
	v_add_nc_u16 v56, v5, 1
	v_bitop3_b32 v45, v45, s23, v45 bitop3:0x30
	ds_store_b16 v67, v56
	ds_load_u16 v56, v4
	v_lshl_or_b32 v68, v45, 12, v61
	v_cndmask_b32_e64 v45, 0, 1, s2
	s_wait_dscnt 0x0
	v_add_nc_u16 v59, v56, 1
	ds_store_b16 v4, v59
	ds_load_u16 v1, v68
	v_lshrrev_b32_e32 v59, s16, v45
	s_wait_dscnt 0x0
	v_add_nc_u16 v70, v1, 1
	ds_store_b16 v68, v70
	v_lshlrev_b32_e32 v70, 5, v0
	v_bitop3_b32 v59, v59, s23, v59 bitop3:0x30
	s_delay_alu instid0(VALU_DEP_1)
	v_lshl_or_b32 v69, v59, 12, v61
	ds_load_u16 v59, v69
	s_wait_dscnt 0x0
	v_add_nc_u16 v71, v59, 1
	ds_store_2addr_stride64_b32 v61, v63, v63 offset0:32 offset1:48
	ds_store_2addr_stride64_b32 v61, v63, v63 offset0:64 offset1:80
	;; [unrolled: 1-line block ×3, first 2 shown]
	ds_store_b16 v69, v71
	s_wait_dscnt 0x0
	s_barrier_signal -1
	s_barrier_wait -1
	ds_load_2addr_b64 v[72:75], v70 offset1:1
	ds_load_2addr_b64 v[76:79], v70 offset0:2 offset1:3
	s_wait_dscnt 0x1
	v_add_nc_u32_e32 v61, v73, v72
	s_delay_alu instid0(VALU_DEP_1) | instskip(SKIP_1) | instid1(VALU_DEP_1)
	v_add3_u32 v61, v61, v74, v75
	s_wait_dscnt 0x0
	v_add3_u32 v61, v61, v76, v77
	s_delay_alu instid0(VALU_DEP_1) | instskip(SKIP_1) | instid1(VALU_DEP_2)
	v_add3_u32 v63, v61, v78, v79
	v_mbcnt_lo_u32_b32 v61, -1, 0
	v_mov_b32_dpp v72, v63 row_shr:1 row_mask:0xf bank_mask:0xf
	s_delay_alu instid0(VALU_DEP_2) | instskip(SKIP_1) | instid1(VALU_DEP_2)
	v_and_b32_e32 v71, 15, v61
	v_bfe_i32 v73, v61, 4, 1
	v_cmp_eq_u32_e32 vcc_lo, 0, v71
	v_cmp_lt_u32_e64 s2, 1, v71
	v_cndmask_b32_e64 v72, v72, 0, vcc_lo
	s_delay_alu instid0(VALU_DEP_1) | instskip(NEXT) | instid1(VALU_DEP_1)
	v_add_nc_u32_e32 v63, v72, v63
	v_mov_b32_dpp v72, v63 row_shr:2 row_mask:0xf bank_mask:0xf
	s_delay_alu instid0(VALU_DEP_1) | instskip(NEXT) | instid1(VALU_DEP_1)
	v_cndmask_b32_e64 v72, 0, v72, s2
	v_add_nc_u32_e32 v63, v63, v72
	v_cmp_lt_u32_e64 s3, 3, v71
	v_cmp_lt_u32_e64 s4, 7, v71
	s_delay_alu instid0(VALU_DEP_3) | instskip(NEXT) | instid1(VALU_DEP_1)
	v_mov_b32_dpp v72, v63 row_shr:4 row_mask:0xf bank_mask:0xf
	v_cndmask_b32_e64 v72, 0, v72, s3
	s_delay_alu instid0(VALU_DEP_1) | instskip(NEXT) | instid1(VALU_DEP_1)
	v_add_nc_u32_e32 v63, v63, v72
	v_mov_b32_dpp v72, v63 row_shr:8 row_mask:0xf bank_mask:0xf
	s_delay_alu instid0(VALU_DEP_1) | instskip(NEXT) | instid1(VALU_DEP_1)
	v_cndmask_b32_e64 v71, 0, v72, s4
	v_dual_add_nc_u32 v63, v63, v71 :: v_dual_bitop2_b32 v72, 31, v0 bitop3:0x40
	ds_swizzle_b32 v71, v63 offset:swizzle(BROADCAST,32,15)
	s_wait_dscnt 0x0
	v_dual_lshrrev_b32 v73, 5, v0 :: v_dual_bitop2_b32 v71, v73, v71 bitop3:0x40
	v_cmp_eq_u32_e64 s6, 31, v72
	s_delay_alu instid0(VALU_DEP_2) | instskip(NEXT) | instid1(VALU_DEP_3)
	v_dual_add_nc_u32 v63, v63, v71 :: v_dual_bitop2_b32 v72, 16, v61 bitop3:0x40
	v_lshlrev_b32_e32 v71, 2, v73
	s_delay_alu instid0(VALU_DEP_2)
	v_cmp_eq_u32_e64 s5, 0, v72
	s_and_saveexec_b32 s7, s6
; %bb.50:
	ds_store_b32 v71, v63 offset:32768
; %bb.51:
	s_or_b32 exec_lo, exec_lo, s7
	v_cmp_lt_u32_e64 s6, 31, v0
	s_mov_b32 s24, exec_lo
	s_wait_dscnt 0x0
	s_barrier_signal -1
	s_barrier_wait -1
	v_cmpx_gt_u32_e32 32, v0
	s_cbranch_execz .LBB1741_53
; %bb.52:
	v_mad_i32_i24 v72, 0xffffffe4, v0, v70
	ds_load_b32 v73, v72 offset:32768
	s_wait_dscnt 0x0
	v_mov_b32_dpp v74, v73 row_shr:1 row_mask:0xf bank_mask:0xf
	s_delay_alu instid0(VALU_DEP_1) | instskip(NEXT) | instid1(VALU_DEP_1)
	v_cndmask_b32_e64 v74, v74, 0, vcc_lo
	v_add_nc_u32_e32 v73, v74, v73
	s_delay_alu instid0(VALU_DEP_1) | instskip(NEXT) | instid1(VALU_DEP_1)
	v_mov_b32_dpp v74, v73 row_shr:2 row_mask:0xf bank_mask:0xf
	v_cndmask_b32_e64 v74, 0, v74, s2
	s_delay_alu instid0(VALU_DEP_1) | instskip(NEXT) | instid1(VALU_DEP_1)
	v_add_nc_u32_e32 v73, v73, v74
	v_mov_b32_dpp v74, v73 row_shr:4 row_mask:0xf bank_mask:0xf
	s_delay_alu instid0(VALU_DEP_1) | instskip(NEXT) | instid1(VALU_DEP_1)
	v_cndmask_b32_e64 v74, 0, v74, s3
	v_add_nc_u32_e32 v73, v73, v74
	s_delay_alu instid0(VALU_DEP_1) | instskip(NEXT) | instid1(VALU_DEP_1)
	v_mov_b32_dpp v74, v73 row_shr:8 row_mask:0xf bank_mask:0xf
	v_cndmask_b32_e64 v74, 0, v74, s4
	s_delay_alu instid0(VALU_DEP_1) | instskip(SKIP_3) | instid1(VALU_DEP_1)
	v_add_nc_u32_e32 v73, v73, v74
	ds_swizzle_b32 v74, v73 offset:swizzle(BROADCAST,32,15)
	s_wait_dscnt 0x0
	v_cndmask_b32_e64 v74, v74, 0, s5
	v_add_nc_u32_e32 v73, v73, v74
	ds_store_b32 v72, v73 offset:32768
.LBB1741_53:
	s_or_b32 exec_lo, exec_lo, s24
	v_dual_mov_b32 v73, 0 :: v_dual_mov_b32 v72, 0
	s_wait_dscnt 0x0
	s_barrier_signal -1
	s_barrier_wait -1
	s_and_saveexec_b32 s2, s6
; %bb.54:
	ds_load_b32 v72, v71 offset:32764
; %bb.55:
	s_or_b32 exec_lo, exec_lo, s2
	v_sub_co_u32 v71, vcc_lo, v61, 1
	s_wait_dscnt 0x0
	v_add_nc_u32_e32 v63, v72, v63
	s_delay_alu instid0(VALU_DEP_2) | instskip(NEXT) | instid1(VALU_DEP_1)
	v_cmp_gt_i32_e64 s2, 0, v71
	v_cndmask_b32_e64 v61, v71, v61, s2
	v_cmp_gt_u32_e64 s2, 16, v0
	s_delay_alu instid0(VALU_DEP_2)
	v_lshlrev_b32_e32 v61, 2, v61
	ds_bpermute_b32 v61, v61, v63
	ds_load_b32 v63, v73 offset:32892
	ds_load_2addr_b64 v[74:77], v70 offset1:1
	ds_load_b32 v71, v70 offset:24
	ds_load_b64 v[78:79], v70 offset:16
	s_wait_dscnt 0x4
	v_cndmask_b32_e32 v61, v61, v72, vcc_lo
	v_cmp_lt_u32_e32 vcc_lo, 15, v0
	s_wait_dscnt 0x3
	s_delay_alu instid0(VALU_DEP_2) | instskip(SKIP_1) | instid1(VALU_DEP_1)
	v_lshl_add_u32 v72, v63, 16, v61
	s_wait_dscnt 0x2
	v_add_nc_u32_e32 v73, v72, v74
	s_delay_alu instid0(VALU_DEP_1) | instskip(NEXT) | instid1(VALU_DEP_1)
	v_add_nc_u32_e32 v74, v75, v73
	v_add_nc_u32_e32 v75, v76, v74
	s_delay_alu instid0(VALU_DEP_1) | instskip(SKIP_1) | instid1(VALU_DEP_1)
	v_add_nc_u32_e32 v76, v77, v75
	s_wait_dscnt 0x0
	v_add_nc_u32_e32 v77, v78, v76
	s_delay_alu instid0(VALU_DEP_1) | instskip(NEXT) | instid1(VALU_DEP_1)
	v_add_nc_u32_e32 v78, v79, v77
	v_add_nc_u32_e32 v79, v71, v78
	ds_store_2addr_b64 v70, v[72:73], v[74:75] offset1:1
	ds_store_2addr_b64 v70, v[76:77], v[78:79] offset0:2 offset1:3
	s_wait_dscnt 0x0
	s_barrier_signal -1
	s_barrier_wait -1
	ds_load_u16 v61, v2
	ds_load_u16 v63, v3
	;; [unrolled: 1-line block ×22, first 2 shown]
	v_mov_b64_e32 v[2:3], 0
                                        ; implicit-def: $vgpr4
	s_and_saveexec_b32 s4, s2
	s_cbranch_execz .LBB1741_59
; %bb.56:
	v_dual_lshlrev_b32 v2, 12, v0 :: v_dual_lshrrev_b32 v3, 2, v0
	v_add_nc_u32_e32 v4, 1, v0
	s_mov_b32 s5, exec_lo
	s_delay_alu instid0(VALU_DEP_2)
	v_bitop3_b32 v2, v2, 0x70fe, v3 bitop3:0xc8
	v_mov_b32_e32 v3, 0x5800
	ds_load_u16 v2, v2
	v_cmpx_ne_u32_e32 16, v4
; %bb.57:
	v_dual_lshlrev_b32 v3, 12, v4 :: v_dual_lshrrev_b32 v4, 2, v4
	s_delay_alu instid0(VALU_DEP_1)
	v_bitop3_b32 v3, v3, 0x71fe, v4 bitop3:0xc8
	ds_load_u16 v3, v3
; %bb.58:
	s_or_b32 exec_lo, exec_lo, s5
	s_wait_dscnt 0x0
	v_and_b32_e32 v2, 0xffff, v2
	s_mov_b32 s3, 0
	s_delay_alu instid0(VALU_DEP_1) | instid1(SALU_CYCLE_1)
	v_dual_mov_b32 v3, s3 :: v_dual_sub_nc_u32 v4, v3, v2
.LBB1741_59:
	s_or_b32 exec_lo, exec_lo, s4
	s_wait_dscnt 0x15
	v_and_b32_e32 v61, 0xffff, v61
	v_and_b32_e32 v26, 0xffff, v26
	s_wait_dscnt 0x14
	v_and_b32_e32 v63, 0xffff, v63
	v_and_b32_e32 v27, 0xffff, v27
	;; [unrolled: 3-line block ×4, first 2 shown]
	v_dual_add_nc_u32 v26, v61, v26 :: v_dual_add_nc_u32 v27, v63, v27
	s_wait_dscnt 0x11
	v_and_b32_e32 v43, 0xffff, v43
	v_and_b32_e32 v30, 0xffff, v30
	s_wait_dscnt 0x10
	v_and_b32_e32 v46, 0xffff, v46
	v_and_b32_e32 v31, 0xffff, v31
	v_add_nc_u32_e32 v28, v37, v28
	s_wait_dscnt 0xf
	v_and_b32_e32 v48, 0xffff, v48
	v_and_b32_e32 v32, 0xffff, v32
	s_wait_dscnt 0xe
	v_and_b32_e32 v50, 0xffff, v50
	v_and_b32_e32 v33, 0xffff, v33
	;; [unrolled: 3-line block ×3, first 2 shown]
	s_wait_dscnt 0x0
	s_barrier_signal -1
	s_barrier_wait -1
	ds_store_b8 v26, v24 offset:128
	ds_store_b8 v27, v25 offset:128
	;; [unrolled: 1-line block ×3, first 2 shown]
	v_add_nc_u32_e32 v7, v40, v29
	v_and_b32_e32 v54, 0xffff, v54
	v_and_b32_e32 v35, 0xffff, v35
	v_dual_add_nc_u32 v24, v43, v30 :: v_dual_add_nc_u32 v25, v46, v31
	v_and_b32_e32 v55, 0xffff, v55
	v_and_b32_e32 v36, 0xffff, v36
	;; [unrolled: 1-line block ×4, first 2 shown]
	v_dual_add_nc_u32 v26, v48, v32 :: v_dual_add_nc_u32 v27, v50, v33
	v_and_b32_e32 v58, 0xffff, v58
	v_and_b32_e32 v41, 0xffff, v41
	;; [unrolled: 1-line block ×4, first 2 shown]
	ds_store_b8 v7, v23 offset:128
	ds_store_b8 v24, v22 offset:128
	;; [unrolled: 1-line block ×5, first 2 shown]
	v_dual_add_nc_u32 v7, v52, v34 :: v_dual_add_nc_u32 v19, v54, v35
	v_and_b32_e32 v62, 0xffff, v62
	v_and_b32_e32 v47, 0xffff, v47
	;; [unrolled: 1-line block ×4, first 2 shown]
	v_dual_add_nc_u32 v20, v55, v36 :: v_dual_add_nc_u32 v21, v57, v38
	v_and_b32_e32 v65, 0xffff, v65
	v_and_b32_e32 v51, 0xffff, v51
	;; [unrolled: 1-line block ×4, first 2 shown]
	v_add_nc_u32_e32 v22, v58, v41
	ds_store_b8 v7, v18 offset:128
	ds_store_b8 v19, v17 offset:128
	;; [unrolled: 1-line block ×5, first 2 shown]
	v_dual_add_nc_u32 v7, v60, v44 :: v_dual_add_nc_u32 v14, v62, v47
	v_dual_add_nc_u32 v15, v64, v49 :: v_dual_add_nc_u32 v16, v65, v51
	v_add_nc_u32_e32 v17, v66, v53
	v_and_b32_e32 v67, 0xffff, v67
	v_and_b32_e32 v70, 0xffff, v70
	;; [unrolled: 1-line block ×8, first 2 shown]
	ds_store_b8 v7, v13 offset:128
	ds_store_b8 v14, v12 offset:128
	;; [unrolled: 1-line block ×5, first 2 shown]
	v_dual_mov_b32 v9, 0 :: v_dual_add_nc_u32 v7, v67, v5
	v_dual_add_nc_u32 v10, v70, v56 :: v_dual_add_nc_u32 v11, v68, v1
	v_dual_add_nc_u32 v12, v69, v59 :: v_dual_lshlrev_b32 v5, 3, v0
	s_delay_alu instid0(VALU_DEP_3)
	v_mov_b32_e32 v1, v9
	s_not_b32 s3, s23
	ds_store_b8 v7, v8 offset:128
	ds_store_b8 v10, v39 offset:128
	;; [unrolled: 1-line block ×4, first 2 shown]
	s_and_saveexec_b32 s4, s2
	s_cbranch_execz .LBB1741_69
; %bb.60:
	v_lshl_add_u32 v8, s19, 4, v0
	v_dual_mov_b32 v12, 0 :: v_dual_bitop2_b32 v7, 2.0, v4 bitop3:0x54
	s_mov_b32 s5, 0
	s_mov_b32 s6, s19
	s_delay_alu instid0(VALU_DEP_2)
	v_lshl_add_u64 v[10:11], v[8:9], 2, s[20:21]
	global_store_b32 v8, v7, s[20:21] scale_offset scope:SCOPE_DEV
                                        ; implicit-def: $sgpr2
	s_branch .LBB1741_63
.LBB1741_61:                            ;   in Loop: Header=BB1741_63 Depth=1
	s_or_b32 exec_lo, exec_lo, s23
.LBB1741_62:                            ;   in Loop: Header=BB1741_63 Depth=1
	s_delay_alu instid0(SALU_CYCLE_1) | instskip(SKIP_2) | instid1(VALU_DEP_2)
	s_or_b32 exec_lo, exec_lo, s7
	v_and_b32_e32 v8, 0x3fffffff, v7
	v_cmp_gt_i32_e64 s2, -2.0, v7
	v_add_nc_u32_e32 v12, v8, v12
	s_and_b32 s7, exec_lo, s2
	s_delay_alu instid0(SALU_CYCLE_1) | instskip(NEXT) | instid1(SALU_CYCLE_1)
	s_or_b32 s5, s7, s5
	s_and_not1_b32 exec_lo, exec_lo, s5
	s_cbranch_execz .LBB1741_68
.LBB1741_63:                            ; =>This Loop Header: Depth=1
                                        ;     Child Loop BB1741_66 Depth 2
	s_or_b32 s2, s2, exec_lo
	s_cmp_eq_u32 s6, 0
	s_cbranch_scc1 .LBB1741_67
; %bb.64:                               ;   in Loop: Header=BB1741_63 Depth=1
	s_add_co_i32 s6, s6, -1
	s_mov_b32 s7, exec_lo
	s_wait_xcnt 0x0
	v_lshl_or_b32 v8, s6, 4, v0
	global_load_b32 v7, v8, s[20:21] scale_offset scope:SCOPE_DEV
	s_wait_loadcnt 0x0
	v_cmpx_gt_u32_e32 2.0, v7
	s_cbranch_execz .LBB1741_62
; %bb.65:                               ;   in Loop: Header=BB1741_63 Depth=1
	v_lshl_add_u64 v[14:15], v[8:9], 2, s[20:21]
	s_mov_b32 s23, 0
.LBB1741_66:                            ;   Parent Loop BB1741_63 Depth=1
                                        ; =>  This Inner Loop Header: Depth=2
	global_load_b32 v7, v[14:15], off scope:SCOPE_DEV
	s_wait_loadcnt 0x0
	v_cmp_lt_u32_e64 s2, 0x3fffffff, v7
	s_or_b32 s23, s2, s23
	s_wait_xcnt 0x0
	s_and_not1_b32 exec_lo, exec_lo, s23
	s_cbranch_execnz .LBB1741_66
	s_branch .LBB1741_61
.LBB1741_67:                            ;   in Loop: Header=BB1741_63 Depth=1
                                        ; implicit-def: $sgpr6
	s_and_b32 s7, exec_lo, s2
	s_delay_alu instid0(SALU_CYCLE_1)
	s_or_b32 s5, s7, s5
	s_wait_xcnt 0x0
	s_and_not1_b32 exec_lo, exec_lo, s5
	s_cbranch_execnz .LBB1741_63
.LBB1741_68:
	s_or_b32 exec_lo, exec_lo, s5
	v_dual_add_nc_u32 v7, v12, v4 :: v_dual_mov_b32 v13, 0
	s_delay_alu instid0(VALU_DEP_1)
	v_or_b32_e32 v7, 0x80000000, v7
	global_store_b32 v[10:11], v7, off scope:SCOPE_DEV
	global_load_b64 v[8:9], v0, s[8:9] scale_offset
	s_wait_xcnt 0x1
	v_sub_nc_u64_e32 v[10:11], v[12:13], v[2:3]
	s_wait_loadcnt 0x0
	s_delay_alu instid0(VALU_DEP_1)
	v_add_nc_u64_e32 v[8:9], v[10:11], v[8:9]
	ds_store_b64 v5, v[8:9]
.LBB1741_69:
	s_wait_xcnt 0x0
	s_or_b32 exec_lo, exec_lo, s4
	s_delay_alu instid0(SALU_CYCLE_1)
	s_mov_b32 s4, exec_lo
	s_wait_storecnt_dscnt 0x0
	s_barrier_signal -1
	s_barrier_wait -1
	v_cmpx_gt_u32_e64 s18, v0
	s_cbranch_execz .LBB1741_71
; %bb.70:
	ds_load_u8 v7, v0 offset:128
	s_wait_dscnt 0x0
	v_and_b32_e32 v8, 1, v7
	s_delay_alu instid0(VALU_DEP_1) | instskip(NEXT) | instid1(VALU_DEP_1)
	v_dual_lshrrev_b32 v8, s16, v8 :: v_dual_bitop2_b32 v7, 1, v7 bitop3:0x14
	v_and_b32_e32 v8, s3, v8
	s_delay_alu instid0(VALU_DEP_1) | instskip(SKIP_3) | instid1(VALU_DEP_1)
	v_lshlrev_b32_e32 v8, 3, v8
	ds_load_b64 v[8:9], v8
	s_wait_dscnt 0x0
	v_add_nc_u64_e32 v[8:9], s[14:15], v[8:9]
	v_add_nc_u64_e32 v[8:9], v[8:9], v[0:1]
	global_store_b8 v[8:9], v7, off
.LBB1741_71:
	s_wait_xcnt 0x0
	s_or_b32 exec_lo, exec_lo, s4
	v_or_b32_e32 v7, 0x400, v0
	s_mov_b32 s4, exec_lo
	s_delay_alu instid0(VALU_DEP_1)
	v_cmpx_gt_u32_e64 s18, v7
	s_cbranch_execz .LBB1741_73
; %bb.72:
	ds_load_u8 v7, v0 offset:1152
	s_wait_dscnt 0x0
	v_and_b32_e32 v8, 1, v7
	s_delay_alu instid0(VALU_DEP_1) | instskip(NEXT) | instid1(VALU_DEP_1)
	v_dual_lshrrev_b32 v8, s16, v8 :: v_dual_bitop2_b32 v7, 1, v7 bitop3:0x14
	v_and_b32_e32 v8, s3, v8
	s_delay_alu instid0(VALU_DEP_1) | instskip(SKIP_3) | instid1(VALU_DEP_1)
	v_lshlrev_b32_e32 v8, 3, v8
	ds_load_b64 v[8:9], v8
	s_wait_dscnt 0x0
	v_add_nc_u64_e32 v[8:9], s[14:15], v[8:9]
	v_add_nc_u64_e32 v[8:9], v[8:9], v[0:1]
	global_store_b8 v[8:9], v7, off offset:1024
.LBB1741_73:
	s_wait_xcnt 0x0
	s_or_b32 exec_lo, exec_lo, s4
	v_or_b32_e32 v7, 0x800, v0
	s_mov_b32 s4, exec_lo
	s_delay_alu instid0(VALU_DEP_1)
	v_cmpx_gt_u32_e64 s18, v7
	s_cbranch_execz .LBB1741_75
; %bb.74:
	ds_load_u8 v7, v0 offset:2176
	s_wait_dscnt 0x0
	v_and_b32_e32 v8, 1, v7
	s_delay_alu instid0(VALU_DEP_1) | instskip(NEXT) | instid1(VALU_DEP_1)
	v_dual_lshrrev_b32 v8, s16, v8 :: v_dual_bitop2_b32 v7, 1, v7 bitop3:0x14
	v_and_b32_e32 v8, s3, v8
	s_delay_alu instid0(VALU_DEP_1) | instskip(SKIP_3) | instid1(VALU_DEP_1)
	v_lshlrev_b32_e32 v8, 3, v8
	ds_load_b64 v[8:9], v8
	s_wait_dscnt 0x0
	v_add_nc_u64_e32 v[8:9], s[14:15], v[8:9]
	v_add_nc_u64_e32 v[8:9], v[8:9], v[0:1]
	global_store_b8 v[8:9], v7, off offset:2048
.LBB1741_75:
	;; [unrolled: 22-line block ×20, first 2 shown]
	s_wait_xcnt 0x0
	s_or_b32 exec_lo, exec_lo, s4
	v_or_b32_e32 v7, 0x5400, v0
	s_mov_b32 s4, exec_lo
	s_delay_alu instid0(VALU_DEP_1)
	v_cmpx_gt_u32_e64 s18, v7
	s_cbranch_execz .LBB1741_113
; %bb.112:
	ds_load_u8 v7, v0 offset:21632
	s_wait_dscnt 0x0
	v_and_b32_e32 v8, 1, v7
	s_delay_alu instid0(VALU_DEP_1) | instskip(NEXT) | instid1(VALU_DEP_1)
	v_lshrrev_b32_e32 v8, s16, v8
	v_and_b32_e32 v8, s3, v8
	s_delay_alu instid0(VALU_DEP_1) | instskip(SKIP_3) | instid1(VALU_DEP_1)
	v_lshlrev_b32_e32 v8, 3, v8
	ds_load_b64 v[8:9], v8
	s_wait_dscnt 0x0
	v_add_nc_u64_e32 v[8:9], s[14:15], v[8:9]
	v_add_nc_u64_e32 v[8:9], v[8:9], v[0:1]
	v_xor_b32_e32 v1, 1, v7
	global_store_b8 v[8:9], v1, off offset:21504
.LBB1741_113:
	s_wait_xcnt 0x0
	s_or_b32 exec_lo, exec_lo, s4
	s_load_b32 s2, s[0:1], 0x58
	s_wait_kmcnt 0x0
	s_add_co_i32 s2, s2, -1
	s_delay_alu instid0(SALU_CYCLE_1) | instskip(SKIP_2) | instid1(SALU_CYCLE_1)
	s_cmp_eq_u32 s19, s2
	s_cselect_b32 s2, -1, 0
	s_xor_b32 s3, vcc_lo, -1
	s_and_b32 s3, s3, s2
	s_delay_alu instid0(SALU_CYCLE_1)
	s_and_saveexec_b32 s2, s3
	s_cbranch_execz .LBB1741_115
; %bb.114:
	ds_load_b64 v[8:9], v5
	v_mov_b32_e32 v5, 0
	s_delay_alu instid0(VALU_DEP_1) | instskip(SKIP_1) | instid1(VALU_DEP_1)
	v_add_nc_u64_e32 v[2:3], v[2:3], v[4:5]
	s_wait_dscnt 0x0
	v_add_nc_u64_e32 v[2:3], v[2:3], v[8:9]
	global_store_b64 v0, v[2:3], s[10:11] scale_offset
.LBB1741_115:
	s_wait_xcnt 0x0
	s_or_b32 exec_lo, exec_lo, s2
	s_mov_b32 s3, 0
.LBB1741_116:
	s_delay_alu instid0(SALU_CYCLE_1)
	s_and_b32 vcc_lo, exec_lo, s3
	s_cbranch_vccz .LBB1741_139
; %bb.117:
	s_mov_b32 s23, 0
	s_mov_b32 s7, exec_lo
	s_add_nc_u64 s[2:3], s[12:13], s[22:23]
	s_lshl_b32 s12, -1, s17
	s_clause 0x2
	global_load_b128 v[2:5], v6, s[2:3]
	global_load_b32 v14, v6, s[2:3] offset:16
	global_load_u16 v13, v6, s[2:3] offset:20
	v_dual_mov_b32 v28, 0 :: v_dual_lshlrev_b32 v17, 2, v0
	ds_store_2addr_stride64_b32 v17, v28, v28 offset1:16
	s_wait_loadcnt 0x2
	v_dual_lshrrev_b32 v7, 8, v2 :: v_dual_bitop2_b32 v1, 1, v2 bitop3:0x40
	v_dual_lshrrev_b32 v9, 16, v2 :: v_dual_lshrrev_b32 v11, 24, v2
	v_dual_lshrrev_b32 v20, 8, v3 :: v_dual_lshrrev_b32 v22, 16, v3
	s_delay_alu instid0(VALU_DEP_3)
	v_cmp_ne_u32_e32 vcc_lo, 1, v1
	v_lshrrev_b32_e32 v33, 8, v5
	s_wait_loadcnt 0x0
	v_dual_lshrrev_b32 v27, 8, v4 :: v_dual_bitop2_b32 v54, 1, v13 bitop3:0x40
	v_lshrrev_b32_e32 v40, 8, v14
	v_cndmask_b32_e64 v1, 0, 1, vcc_lo
	v_lshrrev_b32_e32 v13, 8, v13
	s_wait_xcnt 0x0
	s_delay_alu instid0(VALU_DEP_2) | instskip(NEXT) | instid1(VALU_DEP_2)
	v_lshrrev_b32_e32 v6, s16, v1
	v_and_b32_e32 v13, 1, v13
	s_delay_alu instid0(VALU_DEP_2) | instskip(NEXT) | instid1(VALU_DEP_1)
	v_bitop3_b32 v6, v6, s12, v6 bitop3:0x30
	v_lshl_or_b32 v12, v6, 12, v17
	v_and_b32_e32 v6, 1, v7
	ds_load_u16 v7, v12
	v_cmp_ne_u32_e32 vcc_lo, 1, v6
	v_cndmask_b32_e64 v6, 0, 1, vcc_lo
	s_delay_alu instid0(VALU_DEP_1) | instskip(NEXT) | instid1(VALU_DEP_1)
	v_lshrrev_b32_e32 v8, s16, v6
	v_bitop3_b32 v8, v8, s12, v8 bitop3:0x30
	s_wait_dscnt 0x0
	v_add_nc_u16 v10, v7, 1
	s_delay_alu instid0(VALU_DEP_2)
	v_lshl_or_b32 v16, v8, 12, v17
	v_and_b32_e32 v8, 1, v9
	ds_store_b16 v12, v10
	ds_load_u16 v9, v16
	v_cmp_ne_u32_e32 vcc_lo, 1, v8
	v_cndmask_b32_e64 v8, 0, 1, vcc_lo
	s_delay_alu instid0(VALU_DEP_1) | instskip(NEXT) | instid1(VALU_DEP_1)
	v_lshrrev_b32_e32 v10, s16, v8
	v_bitop3_b32 v10, v10, s12, v10 bitop3:0x30
	s_wait_dscnt 0x0
	v_add_nc_u16 v15, v9, 1
	s_delay_alu instid0(VALU_DEP_2)
	v_lshl_or_b32 v2, v10, 12, v17
	v_and_b32_e32 v10, 1, v11
	ds_store_b16 v16, v15
	;; [unrolled: 12-line block ×5, first 2 shown]
	ds_load_u16 v24, v45
	v_cmp_ne_u32_e32 vcc_lo, 1, v20
	v_lshrrev_b32_e32 v23, 24, v3
	v_cndmask_b32_e64 v20, 0, 1, vcc_lo
	s_delay_alu instid0(VALU_DEP_1) | instskip(NEXT) | instid1(VALU_DEP_1)
	v_lshrrev_b32_e32 v22, s16, v20
	v_bitop3_b32 v22, v22, s12, v22 bitop3:0x30
	s_wait_dscnt 0x0
	v_add_nc_u16 v25, v24, 1
	s_delay_alu instid0(VALU_DEP_2)
	v_lshl_or_b32 v3, v22, 12, v17
	v_and_b32_e32 v22, 1, v23
	ds_store_b16 v45, v25
	ds_load_u16 v32, v3
	v_cmp_ne_u32_e32 vcc_lo, 1, v22
	v_cndmask_b32_e64 v23, 0, 1, vcc_lo
	s_delay_alu instid0(VALU_DEP_1) | instskip(NEXT) | instid1(VALU_DEP_1)
	v_lshrrev_b32_e32 v22, s16, v23
	v_bitop3_b32 v22, v22, s12, v22 bitop3:0x30
	s_wait_dscnt 0x0
	v_add_nc_u16 v25, v32, 1
	s_delay_alu instid0(VALU_DEP_2)
	v_lshl_or_b32 v51, v22, 12, v17
	v_and_b32_e32 v22, 1, v4
	ds_store_b16 v3, v25
	ds_load_u16 v34, v51
	v_cmp_ne_u32_e32 vcc_lo, 1, v22
	v_cndmask_b32_e64 v22, 0, 1, vcc_lo
	s_delay_alu instid0(VALU_DEP_1) | instskip(NEXT) | instid1(VALU_DEP_1)
	v_lshrrev_b32_e32 v25, s16, v22
	v_bitop3_b32 v25, v25, s12, v25 bitop3:0x30
	s_wait_dscnt 0x0
	v_add_nc_u16 v29, v34, 1
	s_delay_alu instid0(VALU_DEP_2)
	v_lshl_or_b32 v53, v25, 12, v17
	v_and_b32_e32 v25, 1, v27
	ds_store_b16 v51, v29
	ds_load_u16 v35, v53
	v_lshrrev_b32_e32 v29, 16, v4
	v_cmp_ne_u32_e32 vcc_lo, 1, v25
	v_cndmask_b32_e64 v25, 0, 1, vcc_lo
	s_delay_alu instid0(VALU_DEP_1) | instskip(NEXT) | instid1(VALU_DEP_1)
	v_lshrrev_b32_e32 v27, s16, v25
	v_bitop3_b32 v27, v27, s12, v27 bitop3:0x30
	s_wait_dscnt 0x0
	v_add_nc_u16 v30, v35, 1
	s_delay_alu instid0(VALU_DEP_2)
	v_lshl_or_b32 v55, v27, 12, v17
	v_and_b32_e32 v27, 1, v29
	ds_store_b16 v53, v30
	v_lshrrev_b32_e32 v30, 24, v4
	ds_load_u16 v39, v55
	v_cmp_ne_u32_e32 vcc_lo, 1, v27
	v_cndmask_b32_e64 v27, 0, 1, vcc_lo
	s_delay_alu instid0(VALU_DEP_1) | instskip(NEXT) | instid1(VALU_DEP_1)
	v_lshrrev_b32_e32 v29, s16, v27
	v_bitop3_b32 v29, v29, s12, v29 bitop3:0x30
	s_wait_dscnt 0x0
	v_add_nc_u16 v31, v39, 1
	s_delay_alu instid0(VALU_DEP_2)
	v_lshl_or_b32 v4, v29, 12, v17
	v_and_b32_e32 v29, 1, v30
	ds_store_b16 v55, v31
	ds_load_u16 v41, v4
	v_cmp_ne_u32_e32 vcc_lo, 1, v29
	v_cndmask_b32_e64 v29, 0, 1, vcc_lo
	s_delay_alu instid0(VALU_DEP_1) | instskip(NEXT) | instid1(VALU_DEP_1)
	v_lshrrev_b32_e32 v30, s16, v29
	v_bitop3_b32 v30, v30, s12, v30 bitop3:0x30
	s_wait_dscnt 0x0
	v_add_nc_u16 v31, v41, 1
	s_delay_alu instid0(VALU_DEP_2)
	v_lshl_or_b32 v58, v30, 12, v17
	v_and_b32_e32 v30, 1, v5
	ds_store_b16 v4, v31
	ds_load_u16 v43, v58
	v_cmp_ne_u32_e32 vcc_lo, 1, v30
	v_cndmask_b32_e64 v30, 0, 1, vcc_lo
	s_delay_alu instid0(VALU_DEP_1) | instskip(NEXT) | instid1(VALU_DEP_1)
	v_lshrrev_b32_e32 v31, s16, v30
	v_bitop3_b32 v31, v31, s12, v31 bitop3:0x30
	s_wait_dscnt 0x0
	v_add_nc_u16 v36, v43, 1
	s_delay_alu instid0(VALU_DEP_2)
	v_lshl_or_b32 v59, v31, 12, v17
	ds_store_b16 v58, v36
	v_lshrrev_b32_e32 v36, 16, v5
	v_and_b32_e32 v31, 1, v33
	ds_load_u16 v44, v59
	v_lshrrev_b32_e32 v5, 24, v5
	v_cmp_ne_u32_e32 vcc_lo, 1, v31
	s_delay_alu instid0(VALU_DEP_2) | instskip(SKIP_1) | instid1(VALU_DEP_1)
	v_and_b32_e32 v5, 1, v5
	v_cndmask_b32_e64 v31, 0, 1, vcc_lo
	v_lshrrev_b32_e32 v33, s16, v31
	s_delay_alu instid0(VALU_DEP_1) | instskip(SKIP_2) | instid1(VALU_DEP_2)
	v_bitop3_b32 v33, v33, s12, v33 bitop3:0x30
	s_wait_dscnt 0x0
	v_add_nc_u16 v37, v44, 1
	v_lshl_or_b32 v60, v33, 12, v17
	v_and_b32_e32 v33, 1, v36
	ds_store_b16 v59, v37
	ds_load_u16 v46, v60
	v_cmp_ne_u32_e32 vcc_lo, 1, v33
	v_cndmask_b32_e64 v33, 0, 1, vcc_lo
	v_cmp_ne_u32_e32 vcc_lo, 1, v5
	s_delay_alu instid0(VALU_DEP_2) | instskip(SKIP_1) | instid1(VALU_DEP_2)
	v_lshrrev_b32_e32 v36, s16, v33
	v_cndmask_b32_e64 v5, 0, 1, vcc_lo
	v_bitop3_b32 v36, v36, s12, v36 bitop3:0x30
	s_wait_dscnt 0x0
	v_add_nc_u16 v37, v46, 1
	s_delay_alu instid0(VALU_DEP_2) | instskip(SKIP_4) | instid1(VALU_DEP_1)
	v_lshl_or_b32 v61, v36, 12, v17
	v_lshrrev_b32_e32 v36, s16, v5
	ds_store_b16 v60, v37
	ds_load_u16 v47, v61
	v_bitop3_b32 v36, v36, s12, v36 bitop3:0x30
	v_lshl_or_b32 v62, v36, 12, v17
	v_and_b32_e32 v36, 1, v14
	s_delay_alu instid0(VALU_DEP_1)
	v_cmp_ne_u32_e32 vcc_lo, 1, v36
	v_cndmask_b32_e64 v36, 0, 1, vcc_lo
	s_wait_dscnt 0x0
	v_add_nc_u16 v37, v47, 1
	ds_store_b16 v61, v37
	ds_load_u16 v48, v62
	v_lshrrev_b32_e32 v37, s16, v36
	s_delay_alu instid0(VALU_DEP_1) | instskip(NEXT) | instid1(VALU_DEP_1)
	v_bitop3_b32 v37, v37, s12, v37 bitop3:0x30
	v_lshl_or_b32 v63, v37, 12, v17
	v_and_b32_e32 v37, 1, v40
	s_wait_dscnt 0x0
	v_add_nc_u16 v42, v48, 1
	ds_store_b16 v62, v42
	ds_load_u16 v49, v63
	v_lshrrev_b32_e32 v42, 16, v14
	v_cmp_ne_u32_e32 vcc_lo, 1, v37
	v_lshrrev_b32_e32 v14, 24, v14
	v_cndmask_b32_e64 v40, 0, 1, vcc_lo
	s_delay_alu instid0(VALU_DEP_1) | instskip(NEXT) | instid1(VALU_DEP_1)
	v_dual_lshrrev_b32 v37, s16, v40 :: v_dual_bitop2_b32 v14, 1, v14 bitop3:0x40
	v_bitop3_b32 v37, v37, s12, v37 bitop3:0x30
	s_wait_dscnt 0x0
	v_add_nc_u16 v50, v49, 1
	s_delay_alu instid0(VALU_DEP_2)
	v_lshl_or_b32 v64, v37, 12, v17
	v_and_b32_e32 v37, 1, v42
	ds_store_b16 v63, v50
	ds_load_u16 v50, v64
	v_cmp_ne_u32_e32 vcc_lo, 1, v37
	v_cndmask_b32_e64 v37, 0, 1, vcc_lo
	v_cmp_ne_u32_e32 vcc_lo, 1, v14
	s_delay_alu instid0(VALU_DEP_2) | instskip(SKIP_2) | instid1(VALU_DEP_3)
	v_lshrrev_b32_e32 v42, s16, v37
	v_cndmask_b32_e64 v14, 0, 1, vcc_lo
	v_cmp_eq_u32_e32 vcc_lo, 1, v54
	v_bitop3_b32 v42, v42, s12, v42 bitop3:0x30
	s_xor_b32 s2, vcc_lo, -1
	v_cmp_ne_u32_e32 vcc_lo, 1, v13
	s_wait_dscnt 0x0
	v_add_nc_u16 v52, v50, 1
	v_lshl_or_b32 v65, v42, 12, v17
	v_lshrrev_b32_e32 v42, s16, v14
	v_cndmask_b32_e64 v13, 0, 1, vcc_lo
	ds_store_b16 v64, v52
	ds_load_u16 v52, v65
	v_bitop3_b32 v42, v42, s12, v42 bitop3:0x30
	s_delay_alu instid0(VALU_DEP_1)
	v_lshl_or_b32 v66, v42, 12, v17
	v_cndmask_b32_e64 v42, 0, 1, s2
	s_wait_dscnt 0x0
	v_add_nc_u16 v56, v52, 1
	ds_store_b16 v65, v56
	ds_load_u16 v54, v66
	v_lshrrev_b32_e32 v56, s16, v42
	s_delay_alu instid0(VALU_DEP_1) | instskip(NEXT) | instid1(VALU_DEP_1)
	v_bitop3_b32 v56, v56, s12, v56 bitop3:0x30
	v_lshl_or_b32 v67, v56, 12, v17
	s_wait_dscnt 0x0
	v_add_nc_u16 v57, v54, 1
	ds_store_b16 v66, v57
	ds_load_u16 v56, v67
	v_lshrrev_b32_e32 v57, s16, v13
	s_delay_alu instid0(VALU_DEP_1) | instskip(NEXT) | instid1(VALU_DEP_1)
	v_bitop3_b32 v57, v57, s12, v57 bitop3:0x30
	v_lshl_or_b32 v68, v57, 12, v17
	s_wait_dscnt 0x0
	v_add_nc_u16 v69, v56, 1
	ds_store_b16 v67, v69
	ds_load_u16 v57, v68
	v_lshlrev_b32_e32 v69, 5, v0
	s_wait_dscnt 0x0
	v_add_nc_u16 v70, v57, 1
	ds_store_2addr_stride64_b32 v17, v28, v28 offset0:32 offset1:48
	ds_store_2addr_stride64_b32 v17, v28, v28 offset0:64 offset1:80
	;; [unrolled: 1-line block ×3, first 2 shown]
	ds_store_b16 v68, v70
	s_wait_storecnt_dscnt 0x0
	s_barrier_signal -1
	s_barrier_wait -1
	ds_load_2addr_b64 v[70:73], v69 offset1:1
	ds_load_2addr_b64 v[74:77], v69 offset0:2 offset1:3
	s_wait_dscnt 0x1
	v_add_nc_u32_e32 v17, v71, v70
	s_delay_alu instid0(VALU_DEP_1) | instskip(SKIP_2) | instid1(VALU_DEP_2)
	v_add3_u32 v17, v17, v72, v73
	v_and_b32_e32 v72, 31, v0
	s_wait_dscnt 0x0
	v_add3_u32 v28, v17, v74, v75
	v_mbcnt_lo_u32_b32 v17, -1, 0
	s_delay_alu instid0(VALU_DEP_2) | instskip(NEXT) | instid1(VALU_DEP_2)
	v_add3_u32 v28, v28, v76, v77
	v_and_b32_e32 v70, 15, v17
	s_delay_alu instid0(VALU_DEP_2) | instskip(NEXT) | instid1(VALU_DEP_2)
	v_mov_b32_dpp v71, v28 row_shr:1 row_mask:0xf bank_mask:0xf
	v_cmp_eq_u32_e32 vcc_lo, 0, v70
	s_delay_alu instid0(VALU_DEP_2) | instskip(NEXT) | instid1(VALU_DEP_1)
	v_cndmask_b32_e64 v71, v71, 0, vcc_lo
	v_add_nc_u32_e32 v28, v71, v28
	v_cmp_lt_u32_e64 s2, 1, v70
	v_cmp_lt_u32_e64 s3, 3, v70
	v_cmp_lt_u32_e64 s4, 7, v70
	s_delay_alu instid0(VALU_DEP_4) | instskip(NEXT) | instid1(VALU_DEP_1)
	v_mov_b32_dpp v71, v28 row_shr:2 row_mask:0xf bank_mask:0xf
	v_cndmask_b32_e64 v71, 0, v71, s2
	s_delay_alu instid0(VALU_DEP_1) | instskip(NEXT) | instid1(VALU_DEP_1)
	v_add_nc_u32_e32 v28, v28, v71
	v_mov_b32_dpp v71, v28 row_shr:4 row_mask:0xf bank_mask:0xf
	s_delay_alu instid0(VALU_DEP_1) | instskip(NEXT) | instid1(VALU_DEP_1)
	v_cndmask_b32_e64 v71, 0, v71, s3
	v_add_nc_u32_e32 v28, v28, v71
	s_delay_alu instid0(VALU_DEP_1) | instskip(NEXT) | instid1(VALU_DEP_1)
	v_mov_b32_dpp v71, v28 row_shr:8 row_mask:0xf bank_mask:0xf
	v_cndmask_b32_e64 v70, 0, v71, s4
	v_bfe_i32 v71, v17, 4, 1
	s_delay_alu instid0(VALU_DEP_2) | instskip(SKIP_4) | instid1(VALU_DEP_2)
	v_add_nc_u32_e32 v28, v28, v70
	ds_swizzle_b32 v70, v28 offset:swizzle(BROADCAST,32,15)
	s_wait_dscnt 0x0
	v_and_b32_e32 v70, v71, v70
	v_dual_lshrrev_b32 v71, 5, v0 :: v_dual_bitop2_b32 v73, 16, v17 bitop3:0x40
	v_add_nc_u32_e32 v28, v28, v70
	s_delay_alu instid0(VALU_DEP_2) | instskip(NEXT) | instid1(VALU_DEP_3)
	v_cmp_eq_u32_e64 s5, 0, v73
	v_lshlrev_b32_e32 v70, 2, v71
	v_cmpx_eq_u32_e32 31, v72
; %bb.118:
	ds_store_b32 v70, v28 offset:32768
; %bb.119:
	s_or_b32 exec_lo, exec_lo, s7
	v_cmp_lt_u32_e64 s6, 31, v0
	s_mov_b32 s13, exec_lo
	s_wait_dscnt 0x0
	s_barrier_signal -1
	s_barrier_wait -1
	v_cmpx_gt_u32_e32 32, v0
	s_cbranch_execz .LBB1741_121
; %bb.120:
	v_mad_i32_i24 v71, 0xffffffe4, v0, v69
	ds_load_b32 v72, v71 offset:32768
	s_wait_dscnt 0x0
	v_mov_b32_dpp v73, v72 row_shr:1 row_mask:0xf bank_mask:0xf
	s_delay_alu instid0(VALU_DEP_1) | instskip(NEXT) | instid1(VALU_DEP_1)
	v_cndmask_b32_e64 v73, v73, 0, vcc_lo
	v_add_nc_u32_e32 v72, v73, v72
	s_delay_alu instid0(VALU_DEP_1) | instskip(NEXT) | instid1(VALU_DEP_1)
	v_mov_b32_dpp v73, v72 row_shr:2 row_mask:0xf bank_mask:0xf
	v_cndmask_b32_e64 v73, 0, v73, s2
	s_delay_alu instid0(VALU_DEP_1) | instskip(NEXT) | instid1(VALU_DEP_1)
	v_add_nc_u32_e32 v72, v72, v73
	v_mov_b32_dpp v73, v72 row_shr:4 row_mask:0xf bank_mask:0xf
	s_delay_alu instid0(VALU_DEP_1) | instskip(NEXT) | instid1(VALU_DEP_1)
	v_cndmask_b32_e64 v73, 0, v73, s3
	v_add_nc_u32_e32 v72, v72, v73
	s_delay_alu instid0(VALU_DEP_1) | instskip(NEXT) | instid1(VALU_DEP_1)
	v_mov_b32_dpp v73, v72 row_shr:8 row_mask:0xf bank_mask:0xf
	v_cndmask_b32_e64 v73, 0, v73, s4
	s_delay_alu instid0(VALU_DEP_1) | instskip(SKIP_3) | instid1(VALU_DEP_1)
	v_add_nc_u32_e32 v72, v72, v73
	ds_swizzle_b32 v73, v72 offset:swizzle(BROADCAST,32,15)
	s_wait_dscnt 0x0
	v_cndmask_b32_e64 v73, v73, 0, s5
	v_add_nc_u32_e32 v72, v72, v73
	ds_store_b32 v71, v72 offset:32768
.LBB1741_121:
	s_or_b32 exec_lo, exec_lo, s13
	v_dual_mov_b32 v72, 0 :: v_dual_mov_b32 v71, 0
	s_wait_dscnt 0x0
	s_barrier_signal -1
	s_barrier_wait -1
	s_and_saveexec_b32 s2, s6
; %bb.122:
	ds_load_b32 v71, v70 offset:32764
; %bb.123:
	s_or_b32 exec_lo, exec_lo, s2
	v_sub_co_u32 v70, vcc_lo, v17, 1
	s_wait_dscnt 0x0
	v_add_nc_u32_e32 v28, v71, v28
	s_delay_alu instid0(VALU_DEP_2) | instskip(NEXT) | instid1(VALU_DEP_1)
	v_cmp_gt_i32_e64 s2, 0, v70
	v_cndmask_b32_e64 v17, v70, v17, s2
	v_cmp_gt_u32_e64 s2, 16, v0
	s_delay_alu instid0(VALU_DEP_2)
	v_lshlrev_b32_e32 v17, 2, v17
	ds_bpermute_b32 v17, v17, v28
	ds_load_b32 v28, v72 offset:32892
	ds_load_2addr_b64 v[72:75], v69 offset1:1
	ds_load_b32 v78, v69 offset:24
	ds_load_b64 v[76:77], v69 offset:16
	s_wait_dscnt 0x4
	v_cndmask_b32_e32 v17, v17, v71, vcc_lo
	v_cmp_lt_u32_e32 vcc_lo, 15, v0
	s_wait_dscnt 0x3
	s_delay_alu instid0(VALU_DEP_2) | instskip(SKIP_1) | instid1(VALU_DEP_1)
	v_lshl_add_u32 v70, v28, 16, v17
	s_wait_dscnt 0x2
	v_add_nc_u32_e32 v71, v70, v72
	s_delay_alu instid0(VALU_DEP_1) | instskip(NEXT) | instid1(VALU_DEP_1)
	v_add_nc_u32_e32 v72, v73, v71
	v_add_nc_u32_e32 v73, v74, v72
	s_delay_alu instid0(VALU_DEP_1) | instskip(SKIP_1) | instid1(VALU_DEP_1)
	v_add_nc_u32_e32 v74, v75, v73
	s_wait_dscnt 0x0
	v_add_nc_u32_e32 v75, v76, v74
	s_delay_alu instid0(VALU_DEP_1) | instskip(NEXT) | instid1(VALU_DEP_1)
	v_add_nc_u32_e32 v76, v77, v75
	v_add_nc_u32_e32 v77, v78, v76
	ds_store_2addr_b64 v69, v[70:71], v[72:73] offset1:1
	ds_store_2addr_b64 v69, v[74:75], v[76:77] offset0:2 offset1:3
	s_wait_dscnt 0x0
	s_barrier_signal -1
	s_barrier_wait -1
	ds_load_u16 v12, v12
	ds_load_u16 v16, v16
	;; [unrolled: 1-line block ×22, first 2 shown]
	v_mov_b64_e32 v[2:3], 0
                                        ; implicit-def: $vgpr4
	s_and_saveexec_b32 s4, s2
	s_cbranch_execz .LBB1741_127
; %bb.124:
	v_dual_lshlrev_b32 v2, 12, v0 :: v_dual_lshrrev_b32 v3, 2, v0
	v_add_nc_u32_e32 v4, 1, v0
	s_mov_b32 s5, exec_lo
	s_delay_alu instid0(VALU_DEP_2)
	v_bitop3_b32 v2, v2, 0x70fe, v3 bitop3:0xc8
	v_mov_b32_e32 v3, 0x5800
	ds_load_u16 v2, v2
	v_cmpx_ne_u32_e32 16, v4
; %bb.125:
	v_dual_lshlrev_b32 v3, 12, v4 :: v_dual_lshrrev_b32 v4, 2, v4
	s_delay_alu instid0(VALU_DEP_1)
	v_bitop3_b32 v3, v3, 0x71fe, v4 bitop3:0xc8
	ds_load_u16 v3, v3
; %bb.126:
	s_or_b32 exec_lo, exec_lo, s5
	s_wait_dscnt 0x0
	v_and_b32_e32 v2, 0xffff, v2
	s_mov_b32 s3, 0
	s_delay_alu instid0(VALU_DEP_1) | instid1(SALU_CYCLE_1)
	v_dual_mov_b32 v3, s3 :: v_dual_sub_nc_u32 v4, v3, v2
.LBB1741_127:
	s_or_b32 exec_lo, exec_lo, s4
	s_wait_dscnt 0x15
	v_and_b32_e32 v12, 0xffff, v12
	v_and_b32_e32 v7, 0xffff, v7
	s_wait_dscnt 0x14
	v_and_b32_e32 v16, 0xffff, v16
	v_and_b32_e32 v9, 0xffff, v9
	;; [unrolled: 3-line block ×4, first 2 shown]
	v_add_nc_u32_e32 v7, v12, v7
	s_wait_dscnt 0x11
	v_and_b32_e32 v28, 0xffff, v28
	v_and_b32_e32 v21, 0xffff, v21
	v_dual_add_nc_u32 v9, v16, v9 :: v_dual_add_nc_u32 v11, v17, v11
	s_wait_dscnt 0x10
	v_and_b32_e32 v38, 0xffff, v38
	v_and_b32_e32 v24, 0xffff, v24
	s_wait_dscnt 0xf
	v_and_b32_e32 v45, 0xffff, v45
	v_and_b32_e32 v32, 0xffff, v32
	;; [unrolled: 3-line block ×4, first 2 shown]
	s_wait_dscnt 0x0
	s_barrier_signal -1
	s_barrier_wait -1
	ds_store_b8 v7, v1 offset:128
	ds_store_b8 v9, v6 offset:128
	;; [unrolled: 1-line block ×3, first 2 shown]
	v_add_nc_u32_e32 v1, v26, v18
	v_and_b32_e32 v55, 0xffff, v55
	v_and_b32_e32 v39, 0xffff, v39
	v_dual_add_nc_u32 v6, v28, v21 :: v_dual_add_nc_u32 v7, v38, v24
	v_and_b32_e32 v69, 0xffff, v69
	v_and_b32_e32 v41, 0xffff, v41
	;; [unrolled: 1-line block ×4, first 2 shown]
	v_dual_add_nc_u32 v8, v45, v32 :: v_dual_add_nc_u32 v9, v51, v34
	v_and_b32_e32 v59, 0xffff, v59
	v_and_b32_e32 v44, 0xffff, v44
	;; [unrolled: 1-line block ×4, first 2 shown]
	ds_store_b8 v1, v10 offset:128
	ds_store_b8 v6, v15 offset:128
	;; [unrolled: 1-line block ×5, first 2 shown]
	v_dual_add_nc_u32 v1, v53, v35 :: v_dual_add_nc_u32 v9, v59, v44
	v_and_b32_e32 v61, 0xffff, v61
	v_and_b32_e32 v47, 0xffff, v47
	v_dual_add_nc_u32 v6, v55, v39 :: v_dual_add_nc_u32 v7, v69, v41
	v_and_b32_e32 v62, 0xffff, v62
	v_and_b32_e32 v48, 0xffff, v48
	;; [unrolled: 1-line block ×4, first 2 shown]
	v_add_nc_u32_e32 v8, v58, v43
	v_and_b32_e32 v64, 0xffff, v64
	v_and_b32_e32 v50, 0xffff, v50
	ds_store_b8 v1, v22 offset:128
	ds_store_b8 v6, v25 offset:128
	;; [unrolled: 1-line block ×5, first 2 shown]
	v_dual_add_nc_u32 v1, v60, v46 :: v_dual_add_nc_u32 v6, v61, v47
	v_dual_add_nc_u32 v7, v62, v48 :: v_dual_add_nc_u32 v8, v63, v49
	v_add_nc_u32_e32 v9, v64, v50
	v_and_b32_e32 v65, 0xffff, v65
	v_and_b32_e32 v68, 0xffff, v68
	;; [unrolled: 1-line block ×4, first 2 shown]
	ds_store_b8 v1, v31 offset:128
	ds_store_b8 v6, v33 offset:128
	;; [unrolled: 1-line block ×5, first 2 shown]
	v_mov_b32_e32 v7, 0
	v_and_b32_e32 v66, 0xffff, v66
	v_and_b32_e32 v54, 0xffff, v54
	;; [unrolled: 1-line block ×4, first 2 shown]
	v_dual_add_nc_u32 v6, v65, v52 :: v_dual_add_nc_u32 v10, v68, v57
	v_dual_mov_b32 v1, v7 :: v_dual_lshlrev_b32 v5, 3, v0
	s_delay_alu instid0(VALU_DEP_3)
	v_dual_add_nc_u32 v8, v66, v54 :: v_dual_add_nc_u32 v9, v67, v56
	s_not_b32 s3, s12
	ds_store_b8 v6, v37 offset:128
	ds_store_b8 v8, v14 offset:128
	;; [unrolled: 1-line block ×4, first 2 shown]
	s_and_saveexec_b32 s4, s2
	s_cbranch_execz .LBB1741_137
; %bb.128:
	v_lshl_add_u32 v6, s19, 4, v0
	v_dual_mov_b32 v10, 0 :: v_dual_bitop2_b32 v11, 2.0, v4 bitop3:0x54
	s_mov_b32 s5, 0
	s_mov_b32 s6, s19
	s_delay_alu instid0(VALU_DEP_2)
	v_lshl_add_u64 v[8:9], v[6:7], 2, s[20:21]
	global_store_b32 v6, v11, s[20:21] scale_offset scope:SCOPE_DEV
                                        ; implicit-def: $sgpr2
	s_branch .LBB1741_131
.LBB1741_129:                           ;   in Loop: Header=BB1741_131 Depth=1
	s_or_b32 exec_lo, exec_lo, s12
.LBB1741_130:                           ;   in Loop: Header=BB1741_131 Depth=1
	s_delay_alu instid0(SALU_CYCLE_1) | instskip(SKIP_2) | instid1(VALU_DEP_2)
	s_or_b32 exec_lo, exec_lo, s7
	v_and_b32_e32 v6, 0x3fffffff, v11
	v_cmp_gt_i32_e64 s2, -2.0, v11
	v_add_nc_u32_e32 v10, v6, v10
	s_and_b32 s7, exec_lo, s2
	s_delay_alu instid0(SALU_CYCLE_1) | instskip(NEXT) | instid1(SALU_CYCLE_1)
	s_or_b32 s5, s7, s5
	s_and_not1_b32 exec_lo, exec_lo, s5
	s_cbranch_execz .LBB1741_136
.LBB1741_131:                           ; =>This Loop Header: Depth=1
                                        ;     Child Loop BB1741_134 Depth 2
	s_or_b32 s2, s2, exec_lo
	s_cmp_eq_u32 s6, 0
	s_cbranch_scc1 .LBB1741_135
; %bb.132:                              ;   in Loop: Header=BB1741_131 Depth=1
	s_add_co_i32 s6, s6, -1
	s_mov_b32 s7, exec_lo
	s_wait_xcnt 0x0
	v_lshl_or_b32 v6, s6, 4, v0
	global_load_b32 v11, v6, s[20:21] scale_offset scope:SCOPE_DEV
	s_wait_loadcnt 0x0
	v_cmpx_gt_u32_e32 2.0, v11
	s_cbranch_execz .LBB1741_130
; %bb.133:                              ;   in Loop: Header=BB1741_131 Depth=1
	v_lshl_add_u64 v[12:13], v[6:7], 2, s[20:21]
	s_mov_b32 s12, 0
.LBB1741_134:                           ;   Parent Loop BB1741_131 Depth=1
                                        ; =>  This Inner Loop Header: Depth=2
	global_load_b32 v11, v[12:13], off scope:SCOPE_DEV
	s_wait_loadcnt 0x0
	v_cmp_lt_u32_e64 s2, 0x3fffffff, v11
	s_or_b32 s12, s2, s12
	s_wait_xcnt 0x0
	s_and_not1_b32 exec_lo, exec_lo, s12
	s_cbranch_execnz .LBB1741_134
	s_branch .LBB1741_129
.LBB1741_135:                           ;   in Loop: Header=BB1741_131 Depth=1
                                        ; implicit-def: $sgpr6
	s_and_b32 s7, exec_lo, s2
	s_delay_alu instid0(SALU_CYCLE_1)
	s_or_b32 s5, s7, s5
	s_wait_xcnt 0x0
	s_and_not1_b32 exec_lo, exec_lo, s5
	s_cbranch_execnz .LBB1741_131
.LBB1741_136:
	s_or_b32 exec_lo, exec_lo, s5
	v_dual_mov_b32 v11, 0 :: v_dual_add_nc_u32 v6, v10, v4
	s_delay_alu instid0(VALU_DEP_1) | instskip(SKIP_4) | instid1(VALU_DEP_1)
	v_or_b32_e32 v6, 0x80000000, v6
	global_store_b32 v[8:9], v6, off scope:SCOPE_DEV
	global_load_b64 v[6:7], v0, s[8:9] scale_offset
	v_sub_nc_u64_e32 v[8:9], v[10:11], v[2:3]
	s_wait_loadcnt 0x0
	v_add_nc_u64_e32 v[6:7], v[8:9], v[6:7]
	ds_store_b64 v5, v[6:7]
.LBB1741_137:
	s_wait_xcnt 0x0
	s_or_b32 exec_lo, exec_lo, s4
	s_wait_storecnt_dscnt 0x0
	s_barrier_signal -1
	s_barrier_wait -1
	ds_load_u8 v26, v0 offset:20608
	ds_load_u8 v27, v0 offset:21632
	;; [unrolled: 1-line block ×22, first 2 shown]
	s_wait_dscnt 0xf
	v_and_b32_e32 v12, 1, v10
	v_xor_b32_e32 v45, 1, v10
	v_and_b32_e32 v13, 1, v20
	v_and_b32_e32 v11, 1, v8
	;; [unrolled: 1-line block ×4, first 2 shown]
	s_wait_dscnt 0x9
	v_dual_lshrrev_b32 v13, s16, v13 :: v_dual_bitop2_b32 v23, 1, v35 bitop3:0x40
	s_delay_alu instid0(VALU_DEP_3) | instskip(NEXT) | instid1(VALU_DEP_3)
	v_dual_lshrrev_b32 v7, s16, v7 :: v_dual_bitop2_b32 v22, 1, v34 bitop3:0x40
	v_dual_lshrrev_b32 v6, s16, v6 :: v_dual_bitop2_b32 v24, 1, v8 bitop3:0x14
	s_delay_alu instid0(VALU_DEP_3) | instskip(NEXT) | instid1(VALU_DEP_4)
	v_dual_lshrrev_b32 v11, s16, v11 :: v_dual_bitop2_b32 v13, s3, v13 bitop3:0x40
	v_dual_lshrrev_b32 v23, s16, v23 :: v_dual_bitop2_b32 v10, 1, v30 bitop3:0x40
	s_delay_alu instid0(VALU_DEP_4) | instskip(NEXT) | instid1(VALU_DEP_2)
	v_dual_lshrrev_b32 v22, s16, v22 :: v_dual_bitop2_b32 v7, s3, v7 bitop3:0x40
	v_dual_lshlrev_b32 v13, 3, v13 :: v_dual_lshrrev_b32 v10, s16, v10
	v_dual_lshrrev_b32 v12, s16, v12 :: v_dual_bitop2_b32 v6, s3, v6 bitop3:0x40
	s_wait_dscnt 0x8
	s_delay_alu instid0(VALU_DEP_3) | instskip(NEXT) | instid1(VALU_DEP_3)
	v_dual_lshlrev_b32 v9, 3, v7 :: v_dual_bitop2_b32 v25, 1, v36 bitop3:0x40
	v_and_b32_e32 v10, s3, v10
	s_delay_alu instid0(VALU_DEP_3)
	v_and_b32_e32 v12, s3, v12
	v_dual_lshlrev_b32 v6, 3, v6 :: v_dual_bitop2_b32 v18, 1, v31 bitop3:0x40
	ds_load_b64 v[6:7], v6
	ds_load_b64 v[8:9], v9
	v_dual_lshlrev_b32 v15, 3, v12 :: v_dual_bitop2_b32 v21, 1, v33 bitop3:0x40
	v_dual_lshrrev_b32 v18, s16, v18 :: v_dual_bitop2_b32 v11, s3, v11 bitop3:0x40
	v_dual_lshrrev_b32 v25, s16, v25 :: v_dual_bitop2_b32 v19, 1, v32 bitop3:0x40
	s_delay_alu instid0(VALU_DEP_3) | instskip(NEXT) | instid1(VALU_DEP_3)
	v_dual_lshlrev_b32 v16, 3, v10 :: v_dual_lshrrev_b32 v21, s16, v21
	v_lshlrev_b32_e32 v14, 3, v11
	ds_load_b64 v[10:11], v13
	ds_load_b64 v[12:13], v14
	v_and_b32_e32 v48, s3, v22
	s_wait_dscnt 0xb
	v_and_b32_e32 v46, 1, v37
	v_and_b32_e32 v21, s3, v21
	s_wait_dscnt 0xa
	v_and_b32_e32 v47, 1, v38
	ds_load_b64 v[14:15], v15
	ds_load_b64 v[16:17], v16
	v_lshrrev_b32_e32 v19, s16, v19
	v_dual_lshlrev_b32 v23, 3, v21 :: v_dual_bitop2_b32 v49, s3, v23 bitop3:0x40
	v_dual_lshrrev_b32 v47, s16, v47 :: v_dual_bitop2_b32 v18, s3, v18 bitop3:0x40
	v_xor_b32_e32 v50, 1, v20
	v_xor_b32_e32 v30, 1, v30
	s_wait_dscnt 0x5
	v_add_nc_u64_e32 v[6:7], s[14:15], v[6:7]
	v_and_b32_e32 v47, s3, v47
	v_and_b32_e32 v25, s3, v25
	v_dual_lshlrev_b32 v18, 3, v18 :: v_dual_bitop2_b32 v19, s3, v19 bitop3:0x40
	s_wait_dscnt 0x4
	v_add_nc_u64_e32 v[8:9], s[14:15], v[8:9]
	s_wait_dscnt 0x3
	v_add_nc_u64_e32 v[10:11], s[14:15], v[10:11]
	;; [unrolled: 2-line block ×3, first 2 shown]
	v_lshlrev_b32_e32 v22, 3, v19
	ds_load_b64 v[18:19], v18
	ds_load_b64 v[20:21], v22
	;; [unrolled: 1-line block ×3, first 2 shown]
	v_add_nc_u64_e32 v[10:11], v[10:11], v[0:1]
	v_add_nc_u64_e32 v[12:13], v[12:13], v[0:1]
	s_wait_dscnt 0x4
	v_add_nc_u64_e32 v[14:15], s[14:15], v[14:15]
	s_wait_dscnt 0x3
	v_add_nc_u64_e32 v[16:17], s[14:15], v[16:17]
	s_clause 0x1
	global_store_b8 v[10:11], v50, off
	global_store_b8 v[12:13], v24, off offset:1024
	s_wait_xcnt 0x1
	v_dual_lshlrev_b32 v10, 3, v48 :: v_dual_lshrrev_b32 v46, s16, v46
	v_add_nc_u64_e32 v[14:15], v[14:15], v[0:1]
	s_wait_xcnt 0x0
	v_lshlrev_b32_e32 v12, 3, v49
	v_add_nc_u64_e32 v[16:17], v[16:17], v[0:1]
	v_dual_lshlrev_b32 v24, 3, v25 :: v_dual_bitop2_b32 v46, s3, v46 bitop3:0x40
	ds_load_b64 v[10:11], v10
	ds_load_b64 v[12:13], v12
	;; [unrolled: 1-line block ×3, first 2 shown]
	global_store_b8 v[14:15], v45, off offset:2048
	s_wait_dscnt 0x5
	s_wait_xcnt 0x0
	v_add_nc_u64_e32 v[14:15], s[14:15], v[18:19]
	v_dual_lshlrev_b32 v45, 3, v46 :: v_dual_lshlrev_b32 v46, 3, v47
	global_store_b8 v[16:17], v30, off offset:3072
	s_wait_dscnt 0x4
	s_wait_xcnt 0x0
	v_add_nc_u64_e32 v[16:17], s[14:15], v[20:21]
	s_wait_dscnt 0x3
	v_add_nc_u64_e32 v[18:19], s[14:15], v[22:23]
	ds_load_b64 v[20:21], v45
	ds_load_b64 v[22:23], v46
	v_add_nc_u64_e32 v[14:15], v[14:15], v[0:1]
	v_xor_b32_e32 v30, 1, v31
	v_xor_b32_e32 v31, 1, v32
	;; [unrolled: 1-line block ×3, first 2 shown]
	v_add_nc_u64_e32 v[16:17], v[16:17], v[0:1]
	v_add_nc_u64_e32 v[18:19], v[18:19], v[0:1]
	v_xor_b32_e32 v33, 1, v42
	s_clause 0x2
	global_store_b8 v[14:15], v30, off offset:4096
	global_store_b8 v[16:17], v31, off offset:5120
	;; [unrolled: 1-line block ×3, first 2 shown]
	s_wait_dscnt 0x4
	v_add_nc_u64_e32 v[10:11], s[14:15], v[10:11]
	s_wait_dscnt 0x3
	v_add_nc_u64_e32 v[12:13], s[14:15], v[12:13]
	s_wait_dscnt 0x2
	s_wait_xcnt 0x2
	v_add_nc_u64_e32 v[14:15], s[14:15], v[24:25]
	v_xor_b32_e32 v24, 1, v34
	v_xor_b32_e32 v25, 1, v35
	s_wait_xcnt 0x0
	v_xor_b32_e32 v32, 1, v38
	s_wait_dscnt 0x1
	v_add_nc_u64_e32 v[16:17], s[14:15], v[20:21]
	v_add_nc_u64_e32 v[10:11], v[10:11], v[0:1]
	s_wait_dscnt 0x0
	v_add_nc_u64_e32 v[18:19], s[14:15], v[22:23]
	v_add_nc_u64_e32 v[12:13], v[12:13], v[0:1]
	s_clause 0x1
	global_store_b8 v[10:11], v24, off offset:7168
	global_store_b8 v[12:13], v25, off offset:8192
	s_wait_xcnt 0x0
	v_add_nc_u64_e32 v[12:13], v[18:19], v[0:1]
	v_and_b32_e32 v18, 1, v43
	v_and_b32_e32 v23, 1, v44
	v_add_nc_u64_e32 v[14:15], v[14:15], v[0:1]
	v_xor_b32_e32 v24, 1, v37
	s_delay_alu instid0(VALU_DEP_4) | instskip(NEXT) | instid1(VALU_DEP_4)
	v_dual_lshrrev_b32 v18, s16, v18 :: v_dual_bitop2_b32 v25, 1, v28 bitop3:0x40
	v_lshrrev_b32_e32 v31, s16, v23
	v_and_b32_e32 v20, 1, v39
	v_add_nc_u64_e32 v[10:11], v[16:17], v[0:1]
	v_and_b32_e32 v17, 1, v42
	v_and_b32_e32 v18, s3, v18
	v_xor_b32_e32 v30, 1, v36
	v_and_b32_e32 v31, s3, v31
	v_and_b32_e32 v16, 1, v41
	s_delay_alu instid0(VALU_DEP_4)
	v_dual_lshrrev_b32 v25, s16, v25 :: v_dual_lshlrev_b32 v22, 3, v18
	global_store_b8 v[14:15], v30, off offset:9216
	s_wait_xcnt 0x0
	v_and_b32_e32 v30, 1, v29
	v_and_b32_e32 v15, 1, v40
	v_lshrrev_b32_e32 v14, s16, v20
	v_dual_lshrrev_b32 v16, s16, v16 :: v_dual_lshrrev_b32 v17, s16, v17
	s_delay_alu instid0(VALU_DEP_3) | instskip(NEXT) | instid1(VALU_DEP_3)
	v_dual_lshrrev_b32 v30, s16, v30 :: v_dual_lshrrev_b32 v15, s16, v15
	v_and_b32_e32 v14, s3, v14
	s_delay_alu instid0(VALU_DEP_3) | instskip(NEXT) | instid1(VALU_DEP_4)
	v_and_b32_e32 v16, s3, v16
	v_and_b32_e32 v17, s3, v17
	v_add_nc_u64_e32 v[6:7], v[6:7], v[0:1]
	s_delay_alu instid0(VALU_DEP_4) | instskip(NEXT) | instid1(VALU_DEP_3)
	v_dual_lshlrev_b32 v14, 3, v14 :: v_dual_bitop2_b32 v19, s3, v15 bitop3:0x40
	v_dual_lshlrev_b32 v20, 3, v16 :: v_dual_lshlrev_b32 v21, 3, v17
	v_add_nc_u64_e32 v[8:9], v[8:9], v[0:1]
	s_delay_alu instid0(VALU_DEP_3)
	v_lshlrev_b32_e32 v19, 3, v19
	ds_load_b64 v[14:15], v14
	ds_load_b64 v[16:17], v19
	;; [unrolled: 1-line block ×4, first 2 shown]
	global_store_b8 v[10:11], v24, off offset:10240
	s_wait_xcnt 0x0
	v_and_b32_e32 v10, s3, v25
	global_store_b8 v[12:13], v32, off offset:11264
	s_wait_xcnt 0x0
	v_dual_lshlrev_b32 v13, 3, v31 :: v_dual_bitop2_b32 v12, s3, v30 bitop3:0x40
	ds_load_b64 v[22:23], v22
	v_dual_lshlrev_b32 v24, 3, v10 :: v_dual_bitop2_b32 v30, 1, v39 bitop3:0x14
	v_lshlrev_b32_e32 v25, 3, v12
	v_xor_b32_e32 v31, 1, v40
	v_xor_b32_e32 v32, 1, v41
	s_wait_dscnt 0x4
	v_add_nc_u64_e32 v[10:11], s[14:15], v[14:15]
	s_wait_dscnt 0x3
	v_add_nc_u64_e32 v[14:15], s[14:15], v[16:17]
	ds_load_b64 v[16:17], v24
	ds_load_b64 v[12:13], v13
	;; [unrolled: 1-line block ×3, first 2 shown]
	s_wait_dscnt 0x5
	v_add_nc_u64_e32 v[18:19], s[14:15], v[18:19]
	s_wait_dscnt 0x4
	v_add_nc_u64_e32 v[20:21], s[14:15], v[20:21]
	v_add_nc_u64_e32 v[10:11], v[10:11], v[0:1]
	;; [unrolled: 1-line block ×3, first 2 shown]
	s_wait_dscnt 0x3
	v_add_nc_u64_e32 v[22:23], s[14:15], v[22:23]
	v_add_nc_u64_e32 v[18:19], v[18:19], v[0:1]
	;; [unrolled: 1-line block ×3, first 2 shown]
	s_clause 0x3
	global_store_b8 v[10:11], v30, off offset:12288
	global_store_b8 v[14:15], v31, off offset:13312
	;; [unrolled: 1-line block ×4, first 2 shown]
	v_add_nc_u64_e32 v[22:23], v[22:23], v[0:1]
	s_wait_xcnt 0x3
	v_xor_b32_e32 v30, 1, v43
	s_wait_xcnt 0x1
	v_xor_b32_e32 v18, 1, v29
	v_xor_b32_e32 v19, 1, v27
	s_wait_dscnt 0x1
	v_add_nc_u64_e32 v[10:11], s[14:15], v[12:13]
	v_add_nc_u64_e32 v[12:13], s[14:15], v[16:17]
	s_wait_dscnt 0x0
	v_add_nc_u64_e32 v[14:15], s[14:15], v[24:25]
	v_xor_b32_e32 v16, 1, v44
	v_xor_b32_e32 v17, 1, v28
	global_store_b8 v[22:23], v30, off offset:16384
	v_add_nc_u64_e32 v[10:11], v[10:11], v[0:1]
	v_add_nc_u64_e32 v[12:13], v[12:13], v[0:1]
	;; [unrolled: 1-line block ×3, first 2 shown]
	v_xor_b32_e32 v1, 1, v26
	s_clause 0x4
	global_store_b8 v[10:11], v16, off offset:17408
	global_store_b8 v[12:13], v17, off offset:18432
	;; [unrolled: 1-line block ×5, first 2 shown]
	s_load_b32 s0, s[0:1], 0x58
	s_wait_kmcnt 0x0
	s_add_co_i32 s0, s0, -1
	s_delay_alu instid0(SALU_CYCLE_1) | instskip(SKIP_2) | instid1(SALU_CYCLE_1)
	s_cmp_eq_u32 s19, s0
	s_cselect_b32 s0, -1, 0
	s_xor_b32 s1, vcc_lo, -1
	s_and_b32 s0, s1, s0
	s_delay_alu instid0(SALU_CYCLE_1)
	s_and_saveexec_b32 s1, s0
	s_cbranch_execz .LBB1741_139
; %bb.138:
	ds_load_b64 v[6:7], v5
	v_mov_b32_e32 v5, 0
	s_delay_alu instid0(VALU_DEP_1) | instskip(SKIP_1) | instid1(VALU_DEP_1)
	v_add_nc_u64_e32 v[2:3], v[2:3], v[4:5]
	s_wait_dscnt 0x0
	v_add_nc_u64_e32 v[2:3], v[2:3], v[6:7]
	global_store_b64 v0, v[2:3], s[10:11] scale_offset
.LBB1741_139:
	s_sendmsg sendmsg(MSG_DEALLOC_VGPRS)
	s_endpgm
	.section	.rodata,"a",@progbits
	.p2align	6, 0x0
	.amdhsa_kernel _ZN7rocprim17ROCPRIM_400000_NS6detail17trampoline_kernelINS0_14default_configENS1_35radix_sort_onesweep_config_selectorIbNS0_10empty_typeEEEZZNS1_29radix_sort_onesweep_iterationIS3_Lb1EPKbPbPS5_SB_mNS0_19identity_decomposerENS1_16block_id_wrapperIjLb1EEEEE10hipError_tT1_PNSt15iterator_traitsISG_E10value_typeET2_T3_PNSH_ISM_E10value_typeET4_T5_PSR_SS_PNS1_23onesweep_lookback_stateEbbT6_jjT7_P12ihipStream_tbENKUlT_T0_SG_SL_E_clIS9_SA_SB_SB_EEDaSZ_S10_SG_SL_EUlSZ_E_NS1_11comp_targetILNS1_3genE0ELNS1_11target_archE4294967295ELNS1_3gpuE0ELNS1_3repE0EEENS1_47radix_sort_onesweep_sort_config_static_selectorELNS0_4arch9wavefront6targetE0EEEvSG_
		.amdhsa_group_segment_fixed_size 32904
		.amdhsa_private_segment_fixed_size 0
		.amdhsa_kernarg_size 344
		.amdhsa_user_sgpr_count 2
		.amdhsa_user_sgpr_dispatch_ptr 0
		.amdhsa_user_sgpr_queue_ptr 0
		.amdhsa_user_sgpr_kernarg_segment_ptr 1
		.amdhsa_user_sgpr_dispatch_id 0
		.amdhsa_user_sgpr_kernarg_preload_length 0
		.amdhsa_user_sgpr_kernarg_preload_offset 0
		.amdhsa_user_sgpr_private_segment_size 0
		.amdhsa_wavefront_size32 1
		.amdhsa_uses_dynamic_stack 0
		.amdhsa_enable_private_segment 0
		.amdhsa_system_sgpr_workgroup_id_x 1
		.amdhsa_system_sgpr_workgroup_id_y 0
		.amdhsa_system_sgpr_workgroup_id_z 0
		.amdhsa_system_sgpr_workgroup_info 0
		.amdhsa_system_vgpr_workitem_id 0
		.amdhsa_next_free_vgpr 80
		.amdhsa_next_free_sgpr 25
		.amdhsa_named_barrier_count 0
		.amdhsa_reserve_vcc 1
		.amdhsa_float_round_mode_32 0
		.amdhsa_float_round_mode_16_64 0
		.amdhsa_float_denorm_mode_32 3
		.amdhsa_float_denorm_mode_16_64 3
		.amdhsa_fp16_overflow 0
		.amdhsa_memory_ordered 1
		.amdhsa_forward_progress 1
		.amdhsa_inst_pref_size 104
		.amdhsa_round_robin_scheduling 0
		.amdhsa_exception_fp_ieee_invalid_op 0
		.amdhsa_exception_fp_denorm_src 0
		.amdhsa_exception_fp_ieee_div_zero 0
		.amdhsa_exception_fp_ieee_overflow 0
		.amdhsa_exception_fp_ieee_underflow 0
		.amdhsa_exception_fp_ieee_inexact 0
		.amdhsa_exception_int_div_zero 0
	.end_amdhsa_kernel
	.section	.text._ZN7rocprim17ROCPRIM_400000_NS6detail17trampoline_kernelINS0_14default_configENS1_35radix_sort_onesweep_config_selectorIbNS0_10empty_typeEEEZZNS1_29radix_sort_onesweep_iterationIS3_Lb1EPKbPbPS5_SB_mNS0_19identity_decomposerENS1_16block_id_wrapperIjLb1EEEEE10hipError_tT1_PNSt15iterator_traitsISG_E10value_typeET2_T3_PNSH_ISM_E10value_typeET4_T5_PSR_SS_PNS1_23onesweep_lookback_stateEbbT6_jjT7_P12ihipStream_tbENKUlT_T0_SG_SL_E_clIS9_SA_SB_SB_EEDaSZ_S10_SG_SL_EUlSZ_E_NS1_11comp_targetILNS1_3genE0ELNS1_11target_archE4294967295ELNS1_3gpuE0ELNS1_3repE0EEENS1_47radix_sort_onesweep_sort_config_static_selectorELNS0_4arch9wavefront6targetE0EEEvSG_,"axG",@progbits,_ZN7rocprim17ROCPRIM_400000_NS6detail17trampoline_kernelINS0_14default_configENS1_35radix_sort_onesweep_config_selectorIbNS0_10empty_typeEEEZZNS1_29radix_sort_onesweep_iterationIS3_Lb1EPKbPbPS5_SB_mNS0_19identity_decomposerENS1_16block_id_wrapperIjLb1EEEEE10hipError_tT1_PNSt15iterator_traitsISG_E10value_typeET2_T3_PNSH_ISM_E10value_typeET4_T5_PSR_SS_PNS1_23onesweep_lookback_stateEbbT6_jjT7_P12ihipStream_tbENKUlT_T0_SG_SL_E_clIS9_SA_SB_SB_EEDaSZ_S10_SG_SL_EUlSZ_E_NS1_11comp_targetILNS1_3genE0ELNS1_11target_archE4294967295ELNS1_3gpuE0ELNS1_3repE0EEENS1_47radix_sort_onesweep_sort_config_static_selectorELNS0_4arch9wavefront6targetE0EEEvSG_,comdat
.Lfunc_end1741:
	.size	_ZN7rocprim17ROCPRIM_400000_NS6detail17trampoline_kernelINS0_14default_configENS1_35radix_sort_onesweep_config_selectorIbNS0_10empty_typeEEEZZNS1_29radix_sort_onesweep_iterationIS3_Lb1EPKbPbPS5_SB_mNS0_19identity_decomposerENS1_16block_id_wrapperIjLb1EEEEE10hipError_tT1_PNSt15iterator_traitsISG_E10value_typeET2_T3_PNSH_ISM_E10value_typeET4_T5_PSR_SS_PNS1_23onesweep_lookback_stateEbbT6_jjT7_P12ihipStream_tbENKUlT_T0_SG_SL_E_clIS9_SA_SB_SB_EEDaSZ_S10_SG_SL_EUlSZ_E_NS1_11comp_targetILNS1_3genE0ELNS1_11target_archE4294967295ELNS1_3gpuE0ELNS1_3repE0EEENS1_47radix_sort_onesweep_sort_config_static_selectorELNS0_4arch9wavefront6targetE0EEEvSG_, .Lfunc_end1741-_ZN7rocprim17ROCPRIM_400000_NS6detail17trampoline_kernelINS0_14default_configENS1_35radix_sort_onesweep_config_selectorIbNS0_10empty_typeEEEZZNS1_29radix_sort_onesweep_iterationIS3_Lb1EPKbPbPS5_SB_mNS0_19identity_decomposerENS1_16block_id_wrapperIjLb1EEEEE10hipError_tT1_PNSt15iterator_traitsISG_E10value_typeET2_T3_PNSH_ISM_E10value_typeET4_T5_PSR_SS_PNS1_23onesweep_lookback_stateEbbT6_jjT7_P12ihipStream_tbENKUlT_T0_SG_SL_E_clIS9_SA_SB_SB_EEDaSZ_S10_SG_SL_EUlSZ_E_NS1_11comp_targetILNS1_3genE0ELNS1_11target_archE4294967295ELNS1_3gpuE0ELNS1_3repE0EEENS1_47radix_sort_onesweep_sort_config_static_selectorELNS0_4arch9wavefront6targetE0EEEvSG_
                                        ; -- End function
	.set _ZN7rocprim17ROCPRIM_400000_NS6detail17trampoline_kernelINS0_14default_configENS1_35radix_sort_onesweep_config_selectorIbNS0_10empty_typeEEEZZNS1_29radix_sort_onesweep_iterationIS3_Lb1EPKbPbPS5_SB_mNS0_19identity_decomposerENS1_16block_id_wrapperIjLb1EEEEE10hipError_tT1_PNSt15iterator_traitsISG_E10value_typeET2_T3_PNSH_ISM_E10value_typeET4_T5_PSR_SS_PNS1_23onesweep_lookback_stateEbbT6_jjT7_P12ihipStream_tbENKUlT_T0_SG_SL_E_clIS9_SA_SB_SB_EEDaSZ_S10_SG_SL_EUlSZ_E_NS1_11comp_targetILNS1_3genE0ELNS1_11target_archE4294967295ELNS1_3gpuE0ELNS1_3repE0EEENS1_47radix_sort_onesweep_sort_config_static_selectorELNS0_4arch9wavefront6targetE0EEEvSG_.num_vgpr, 80
	.set _ZN7rocprim17ROCPRIM_400000_NS6detail17trampoline_kernelINS0_14default_configENS1_35radix_sort_onesweep_config_selectorIbNS0_10empty_typeEEEZZNS1_29radix_sort_onesweep_iterationIS3_Lb1EPKbPbPS5_SB_mNS0_19identity_decomposerENS1_16block_id_wrapperIjLb1EEEEE10hipError_tT1_PNSt15iterator_traitsISG_E10value_typeET2_T3_PNSH_ISM_E10value_typeET4_T5_PSR_SS_PNS1_23onesweep_lookback_stateEbbT6_jjT7_P12ihipStream_tbENKUlT_T0_SG_SL_E_clIS9_SA_SB_SB_EEDaSZ_S10_SG_SL_EUlSZ_E_NS1_11comp_targetILNS1_3genE0ELNS1_11target_archE4294967295ELNS1_3gpuE0ELNS1_3repE0EEENS1_47radix_sort_onesweep_sort_config_static_selectorELNS0_4arch9wavefront6targetE0EEEvSG_.num_agpr, 0
	.set _ZN7rocprim17ROCPRIM_400000_NS6detail17trampoline_kernelINS0_14default_configENS1_35radix_sort_onesweep_config_selectorIbNS0_10empty_typeEEEZZNS1_29radix_sort_onesweep_iterationIS3_Lb1EPKbPbPS5_SB_mNS0_19identity_decomposerENS1_16block_id_wrapperIjLb1EEEEE10hipError_tT1_PNSt15iterator_traitsISG_E10value_typeET2_T3_PNSH_ISM_E10value_typeET4_T5_PSR_SS_PNS1_23onesweep_lookback_stateEbbT6_jjT7_P12ihipStream_tbENKUlT_T0_SG_SL_E_clIS9_SA_SB_SB_EEDaSZ_S10_SG_SL_EUlSZ_E_NS1_11comp_targetILNS1_3genE0ELNS1_11target_archE4294967295ELNS1_3gpuE0ELNS1_3repE0EEENS1_47radix_sort_onesweep_sort_config_static_selectorELNS0_4arch9wavefront6targetE0EEEvSG_.numbered_sgpr, 25
	.set _ZN7rocprim17ROCPRIM_400000_NS6detail17trampoline_kernelINS0_14default_configENS1_35radix_sort_onesweep_config_selectorIbNS0_10empty_typeEEEZZNS1_29radix_sort_onesweep_iterationIS3_Lb1EPKbPbPS5_SB_mNS0_19identity_decomposerENS1_16block_id_wrapperIjLb1EEEEE10hipError_tT1_PNSt15iterator_traitsISG_E10value_typeET2_T3_PNSH_ISM_E10value_typeET4_T5_PSR_SS_PNS1_23onesweep_lookback_stateEbbT6_jjT7_P12ihipStream_tbENKUlT_T0_SG_SL_E_clIS9_SA_SB_SB_EEDaSZ_S10_SG_SL_EUlSZ_E_NS1_11comp_targetILNS1_3genE0ELNS1_11target_archE4294967295ELNS1_3gpuE0ELNS1_3repE0EEENS1_47radix_sort_onesweep_sort_config_static_selectorELNS0_4arch9wavefront6targetE0EEEvSG_.num_named_barrier, 0
	.set _ZN7rocprim17ROCPRIM_400000_NS6detail17trampoline_kernelINS0_14default_configENS1_35radix_sort_onesweep_config_selectorIbNS0_10empty_typeEEEZZNS1_29radix_sort_onesweep_iterationIS3_Lb1EPKbPbPS5_SB_mNS0_19identity_decomposerENS1_16block_id_wrapperIjLb1EEEEE10hipError_tT1_PNSt15iterator_traitsISG_E10value_typeET2_T3_PNSH_ISM_E10value_typeET4_T5_PSR_SS_PNS1_23onesweep_lookback_stateEbbT6_jjT7_P12ihipStream_tbENKUlT_T0_SG_SL_E_clIS9_SA_SB_SB_EEDaSZ_S10_SG_SL_EUlSZ_E_NS1_11comp_targetILNS1_3genE0ELNS1_11target_archE4294967295ELNS1_3gpuE0ELNS1_3repE0EEENS1_47radix_sort_onesweep_sort_config_static_selectorELNS0_4arch9wavefront6targetE0EEEvSG_.private_seg_size, 0
	.set _ZN7rocprim17ROCPRIM_400000_NS6detail17trampoline_kernelINS0_14default_configENS1_35radix_sort_onesweep_config_selectorIbNS0_10empty_typeEEEZZNS1_29radix_sort_onesweep_iterationIS3_Lb1EPKbPbPS5_SB_mNS0_19identity_decomposerENS1_16block_id_wrapperIjLb1EEEEE10hipError_tT1_PNSt15iterator_traitsISG_E10value_typeET2_T3_PNSH_ISM_E10value_typeET4_T5_PSR_SS_PNS1_23onesweep_lookback_stateEbbT6_jjT7_P12ihipStream_tbENKUlT_T0_SG_SL_E_clIS9_SA_SB_SB_EEDaSZ_S10_SG_SL_EUlSZ_E_NS1_11comp_targetILNS1_3genE0ELNS1_11target_archE4294967295ELNS1_3gpuE0ELNS1_3repE0EEENS1_47radix_sort_onesweep_sort_config_static_selectorELNS0_4arch9wavefront6targetE0EEEvSG_.uses_vcc, 1
	.set _ZN7rocprim17ROCPRIM_400000_NS6detail17trampoline_kernelINS0_14default_configENS1_35radix_sort_onesweep_config_selectorIbNS0_10empty_typeEEEZZNS1_29radix_sort_onesweep_iterationIS3_Lb1EPKbPbPS5_SB_mNS0_19identity_decomposerENS1_16block_id_wrapperIjLb1EEEEE10hipError_tT1_PNSt15iterator_traitsISG_E10value_typeET2_T3_PNSH_ISM_E10value_typeET4_T5_PSR_SS_PNS1_23onesweep_lookback_stateEbbT6_jjT7_P12ihipStream_tbENKUlT_T0_SG_SL_E_clIS9_SA_SB_SB_EEDaSZ_S10_SG_SL_EUlSZ_E_NS1_11comp_targetILNS1_3genE0ELNS1_11target_archE4294967295ELNS1_3gpuE0ELNS1_3repE0EEENS1_47radix_sort_onesweep_sort_config_static_selectorELNS0_4arch9wavefront6targetE0EEEvSG_.uses_flat_scratch, 0
	.set _ZN7rocprim17ROCPRIM_400000_NS6detail17trampoline_kernelINS0_14default_configENS1_35radix_sort_onesweep_config_selectorIbNS0_10empty_typeEEEZZNS1_29radix_sort_onesweep_iterationIS3_Lb1EPKbPbPS5_SB_mNS0_19identity_decomposerENS1_16block_id_wrapperIjLb1EEEEE10hipError_tT1_PNSt15iterator_traitsISG_E10value_typeET2_T3_PNSH_ISM_E10value_typeET4_T5_PSR_SS_PNS1_23onesweep_lookback_stateEbbT6_jjT7_P12ihipStream_tbENKUlT_T0_SG_SL_E_clIS9_SA_SB_SB_EEDaSZ_S10_SG_SL_EUlSZ_E_NS1_11comp_targetILNS1_3genE0ELNS1_11target_archE4294967295ELNS1_3gpuE0ELNS1_3repE0EEENS1_47radix_sort_onesweep_sort_config_static_selectorELNS0_4arch9wavefront6targetE0EEEvSG_.has_dyn_sized_stack, 0
	.set _ZN7rocprim17ROCPRIM_400000_NS6detail17trampoline_kernelINS0_14default_configENS1_35radix_sort_onesweep_config_selectorIbNS0_10empty_typeEEEZZNS1_29radix_sort_onesweep_iterationIS3_Lb1EPKbPbPS5_SB_mNS0_19identity_decomposerENS1_16block_id_wrapperIjLb1EEEEE10hipError_tT1_PNSt15iterator_traitsISG_E10value_typeET2_T3_PNSH_ISM_E10value_typeET4_T5_PSR_SS_PNS1_23onesweep_lookback_stateEbbT6_jjT7_P12ihipStream_tbENKUlT_T0_SG_SL_E_clIS9_SA_SB_SB_EEDaSZ_S10_SG_SL_EUlSZ_E_NS1_11comp_targetILNS1_3genE0ELNS1_11target_archE4294967295ELNS1_3gpuE0ELNS1_3repE0EEENS1_47radix_sort_onesweep_sort_config_static_selectorELNS0_4arch9wavefront6targetE0EEEvSG_.has_recursion, 0
	.set _ZN7rocprim17ROCPRIM_400000_NS6detail17trampoline_kernelINS0_14default_configENS1_35radix_sort_onesweep_config_selectorIbNS0_10empty_typeEEEZZNS1_29radix_sort_onesweep_iterationIS3_Lb1EPKbPbPS5_SB_mNS0_19identity_decomposerENS1_16block_id_wrapperIjLb1EEEEE10hipError_tT1_PNSt15iterator_traitsISG_E10value_typeET2_T3_PNSH_ISM_E10value_typeET4_T5_PSR_SS_PNS1_23onesweep_lookback_stateEbbT6_jjT7_P12ihipStream_tbENKUlT_T0_SG_SL_E_clIS9_SA_SB_SB_EEDaSZ_S10_SG_SL_EUlSZ_E_NS1_11comp_targetILNS1_3genE0ELNS1_11target_archE4294967295ELNS1_3gpuE0ELNS1_3repE0EEENS1_47radix_sort_onesweep_sort_config_static_selectorELNS0_4arch9wavefront6targetE0EEEvSG_.has_indirect_call, 0
	.section	.AMDGPU.csdata,"",@progbits
; Kernel info:
; codeLenInByte = 13256
; TotalNumSgprs: 27
; NumVgprs: 80
; ScratchSize: 0
; MemoryBound: 0
; FloatMode: 240
; IeeeMode: 1
; LDSByteSize: 32904 bytes/workgroup (compile time only)
; SGPRBlocks: 0
; VGPRBlocks: 4
; NumSGPRsForWavesPerEU: 27
; NumVGPRsForWavesPerEU: 80
; NamedBarCnt: 0
; Occupancy: 12
; WaveLimiterHint : 0
; COMPUTE_PGM_RSRC2:SCRATCH_EN: 0
; COMPUTE_PGM_RSRC2:USER_SGPR: 2
; COMPUTE_PGM_RSRC2:TRAP_HANDLER: 0
; COMPUTE_PGM_RSRC2:TGID_X_EN: 1
; COMPUTE_PGM_RSRC2:TGID_Y_EN: 0
; COMPUTE_PGM_RSRC2:TGID_Z_EN: 0
; COMPUTE_PGM_RSRC2:TIDIG_COMP_CNT: 0
	.section	.text._ZN7rocprim17ROCPRIM_400000_NS6detail17trampoline_kernelINS0_14default_configENS1_35radix_sort_onesweep_config_selectorIbNS0_10empty_typeEEEZZNS1_29radix_sort_onesweep_iterationIS3_Lb1EPKbPbPS5_SB_mNS0_19identity_decomposerENS1_16block_id_wrapperIjLb1EEEEE10hipError_tT1_PNSt15iterator_traitsISG_E10value_typeET2_T3_PNSH_ISM_E10value_typeET4_T5_PSR_SS_PNS1_23onesweep_lookback_stateEbbT6_jjT7_P12ihipStream_tbENKUlT_T0_SG_SL_E_clIS9_SA_SB_SB_EEDaSZ_S10_SG_SL_EUlSZ_E_NS1_11comp_targetILNS1_3genE6ELNS1_11target_archE950ELNS1_3gpuE13ELNS1_3repE0EEENS1_47radix_sort_onesweep_sort_config_static_selectorELNS0_4arch9wavefront6targetE0EEEvSG_,"axG",@progbits,_ZN7rocprim17ROCPRIM_400000_NS6detail17trampoline_kernelINS0_14default_configENS1_35radix_sort_onesweep_config_selectorIbNS0_10empty_typeEEEZZNS1_29radix_sort_onesweep_iterationIS3_Lb1EPKbPbPS5_SB_mNS0_19identity_decomposerENS1_16block_id_wrapperIjLb1EEEEE10hipError_tT1_PNSt15iterator_traitsISG_E10value_typeET2_T3_PNSH_ISM_E10value_typeET4_T5_PSR_SS_PNS1_23onesweep_lookback_stateEbbT6_jjT7_P12ihipStream_tbENKUlT_T0_SG_SL_E_clIS9_SA_SB_SB_EEDaSZ_S10_SG_SL_EUlSZ_E_NS1_11comp_targetILNS1_3genE6ELNS1_11target_archE950ELNS1_3gpuE13ELNS1_3repE0EEENS1_47radix_sort_onesweep_sort_config_static_selectorELNS0_4arch9wavefront6targetE0EEEvSG_,comdat
	.protected	_ZN7rocprim17ROCPRIM_400000_NS6detail17trampoline_kernelINS0_14default_configENS1_35radix_sort_onesweep_config_selectorIbNS0_10empty_typeEEEZZNS1_29radix_sort_onesweep_iterationIS3_Lb1EPKbPbPS5_SB_mNS0_19identity_decomposerENS1_16block_id_wrapperIjLb1EEEEE10hipError_tT1_PNSt15iterator_traitsISG_E10value_typeET2_T3_PNSH_ISM_E10value_typeET4_T5_PSR_SS_PNS1_23onesweep_lookback_stateEbbT6_jjT7_P12ihipStream_tbENKUlT_T0_SG_SL_E_clIS9_SA_SB_SB_EEDaSZ_S10_SG_SL_EUlSZ_E_NS1_11comp_targetILNS1_3genE6ELNS1_11target_archE950ELNS1_3gpuE13ELNS1_3repE0EEENS1_47radix_sort_onesweep_sort_config_static_selectorELNS0_4arch9wavefront6targetE0EEEvSG_ ; -- Begin function _ZN7rocprim17ROCPRIM_400000_NS6detail17trampoline_kernelINS0_14default_configENS1_35radix_sort_onesweep_config_selectorIbNS0_10empty_typeEEEZZNS1_29radix_sort_onesweep_iterationIS3_Lb1EPKbPbPS5_SB_mNS0_19identity_decomposerENS1_16block_id_wrapperIjLb1EEEEE10hipError_tT1_PNSt15iterator_traitsISG_E10value_typeET2_T3_PNSH_ISM_E10value_typeET4_T5_PSR_SS_PNS1_23onesweep_lookback_stateEbbT6_jjT7_P12ihipStream_tbENKUlT_T0_SG_SL_E_clIS9_SA_SB_SB_EEDaSZ_S10_SG_SL_EUlSZ_E_NS1_11comp_targetILNS1_3genE6ELNS1_11target_archE950ELNS1_3gpuE13ELNS1_3repE0EEENS1_47radix_sort_onesweep_sort_config_static_selectorELNS0_4arch9wavefront6targetE0EEEvSG_
	.globl	_ZN7rocprim17ROCPRIM_400000_NS6detail17trampoline_kernelINS0_14default_configENS1_35radix_sort_onesweep_config_selectorIbNS0_10empty_typeEEEZZNS1_29radix_sort_onesweep_iterationIS3_Lb1EPKbPbPS5_SB_mNS0_19identity_decomposerENS1_16block_id_wrapperIjLb1EEEEE10hipError_tT1_PNSt15iterator_traitsISG_E10value_typeET2_T3_PNSH_ISM_E10value_typeET4_T5_PSR_SS_PNS1_23onesweep_lookback_stateEbbT6_jjT7_P12ihipStream_tbENKUlT_T0_SG_SL_E_clIS9_SA_SB_SB_EEDaSZ_S10_SG_SL_EUlSZ_E_NS1_11comp_targetILNS1_3genE6ELNS1_11target_archE950ELNS1_3gpuE13ELNS1_3repE0EEENS1_47radix_sort_onesweep_sort_config_static_selectorELNS0_4arch9wavefront6targetE0EEEvSG_
	.p2align	8
	.type	_ZN7rocprim17ROCPRIM_400000_NS6detail17trampoline_kernelINS0_14default_configENS1_35radix_sort_onesweep_config_selectorIbNS0_10empty_typeEEEZZNS1_29radix_sort_onesweep_iterationIS3_Lb1EPKbPbPS5_SB_mNS0_19identity_decomposerENS1_16block_id_wrapperIjLb1EEEEE10hipError_tT1_PNSt15iterator_traitsISG_E10value_typeET2_T3_PNSH_ISM_E10value_typeET4_T5_PSR_SS_PNS1_23onesweep_lookback_stateEbbT6_jjT7_P12ihipStream_tbENKUlT_T0_SG_SL_E_clIS9_SA_SB_SB_EEDaSZ_S10_SG_SL_EUlSZ_E_NS1_11comp_targetILNS1_3genE6ELNS1_11target_archE950ELNS1_3gpuE13ELNS1_3repE0EEENS1_47radix_sort_onesweep_sort_config_static_selectorELNS0_4arch9wavefront6targetE0EEEvSG_,@function
_ZN7rocprim17ROCPRIM_400000_NS6detail17trampoline_kernelINS0_14default_configENS1_35radix_sort_onesweep_config_selectorIbNS0_10empty_typeEEEZZNS1_29radix_sort_onesweep_iterationIS3_Lb1EPKbPbPS5_SB_mNS0_19identity_decomposerENS1_16block_id_wrapperIjLb1EEEEE10hipError_tT1_PNSt15iterator_traitsISG_E10value_typeET2_T3_PNSH_ISM_E10value_typeET4_T5_PSR_SS_PNS1_23onesweep_lookback_stateEbbT6_jjT7_P12ihipStream_tbENKUlT_T0_SG_SL_E_clIS9_SA_SB_SB_EEDaSZ_S10_SG_SL_EUlSZ_E_NS1_11comp_targetILNS1_3genE6ELNS1_11target_archE950ELNS1_3gpuE13ELNS1_3repE0EEENS1_47radix_sort_onesweep_sort_config_static_selectorELNS0_4arch9wavefront6targetE0EEEvSG_: ; @_ZN7rocprim17ROCPRIM_400000_NS6detail17trampoline_kernelINS0_14default_configENS1_35radix_sort_onesweep_config_selectorIbNS0_10empty_typeEEEZZNS1_29radix_sort_onesweep_iterationIS3_Lb1EPKbPbPS5_SB_mNS0_19identity_decomposerENS1_16block_id_wrapperIjLb1EEEEE10hipError_tT1_PNSt15iterator_traitsISG_E10value_typeET2_T3_PNSH_ISM_E10value_typeET4_T5_PSR_SS_PNS1_23onesweep_lookback_stateEbbT6_jjT7_P12ihipStream_tbENKUlT_T0_SG_SL_E_clIS9_SA_SB_SB_EEDaSZ_S10_SG_SL_EUlSZ_E_NS1_11comp_targetILNS1_3genE6ELNS1_11target_archE950ELNS1_3gpuE13ELNS1_3repE0EEENS1_47radix_sort_onesweep_sort_config_static_selectorELNS0_4arch9wavefront6targetE0EEEvSG_
; %bb.0:
	.section	.rodata,"a",@progbits
	.p2align	6, 0x0
	.amdhsa_kernel _ZN7rocprim17ROCPRIM_400000_NS6detail17trampoline_kernelINS0_14default_configENS1_35radix_sort_onesweep_config_selectorIbNS0_10empty_typeEEEZZNS1_29radix_sort_onesweep_iterationIS3_Lb1EPKbPbPS5_SB_mNS0_19identity_decomposerENS1_16block_id_wrapperIjLb1EEEEE10hipError_tT1_PNSt15iterator_traitsISG_E10value_typeET2_T3_PNSH_ISM_E10value_typeET4_T5_PSR_SS_PNS1_23onesweep_lookback_stateEbbT6_jjT7_P12ihipStream_tbENKUlT_T0_SG_SL_E_clIS9_SA_SB_SB_EEDaSZ_S10_SG_SL_EUlSZ_E_NS1_11comp_targetILNS1_3genE6ELNS1_11target_archE950ELNS1_3gpuE13ELNS1_3repE0EEENS1_47radix_sort_onesweep_sort_config_static_selectorELNS0_4arch9wavefront6targetE0EEEvSG_
		.amdhsa_group_segment_fixed_size 0
		.amdhsa_private_segment_fixed_size 0
		.amdhsa_kernarg_size 88
		.amdhsa_user_sgpr_count 2
		.amdhsa_user_sgpr_dispatch_ptr 0
		.amdhsa_user_sgpr_queue_ptr 0
		.amdhsa_user_sgpr_kernarg_segment_ptr 1
		.amdhsa_user_sgpr_dispatch_id 0
		.amdhsa_user_sgpr_kernarg_preload_length 0
		.amdhsa_user_sgpr_kernarg_preload_offset 0
		.amdhsa_user_sgpr_private_segment_size 0
		.amdhsa_wavefront_size32 1
		.amdhsa_uses_dynamic_stack 0
		.amdhsa_enable_private_segment 0
		.amdhsa_system_sgpr_workgroup_id_x 1
		.amdhsa_system_sgpr_workgroup_id_y 0
		.amdhsa_system_sgpr_workgroup_id_z 0
		.amdhsa_system_sgpr_workgroup_info 0
		.amdhsa_system_vgpr_workitem_id 0
		.amdhsa_next_free_vgpr 1
		.amdhsa_next_free_sgpr 1
		.amdhsa_named_barrier_count 0
		.amdhsa_reserve_vcc 0
		.amdhsa_float_round_mode_32 0
		.amdhsa_float_round_mode_16_64 0
		.amdhsa_float_denorm_mode_32 3
		.amdhsa_float_denorm_mode_16_64 3
		.amdhsa_fp16_overflow 0
		.amdhsa_memory_ordered 1
		.amdhsa_forward_progress 1
		.amdhsa_inst_pref_size 0
		.amdhsa_round_robin_scheduling 0
		.amdhsa_exception_fp_ieee_invalid_op 0
		.amdhsa_exception_fp_denorm_src 0
		.amdhsa_exception_fp_ieee_div_zero 0
		.amdhsa_exception_fp_ieee_overflow 0
		.amdhsa_exception_fp_ieee_underflow 0
		.amdhsa_exception_fp_ieee_inexact 0
		.amdhsa_exception_int_div_zero 0
	.end_amdhsa_kernel
	.section	.text._ZN7rocprim17ROCPRIM_400000_NS6detail17trampoline_kernelINS0_14default_configENS1_35radix_sort_onesweep_config_selectorIbNS0_10empty_typeEEEZZNS1_29radix_sort_onesweep_iterationIS3_Lb1EPKbPbPS5_SB_mNS0_19identity_decomposerENS1_16block_id_wrapperIjLb1EEEEE10hipError_tT1_PNSt15iterator_traitsISG_E10value_typeET2_T3_PNSH_ISM_E10value_typeET4_T5_PSR_SS_PNS1_23onesweep_lookback_stateEbbT6_jjT7_P12ihipStream_tbENKUlT_T0_SG_SL_E_clIS9_SA_SB_SB_EEDaSZ_S10_SG_SL_EUlSZ_E_NS1_11comp_targetILNS1_3genE6ELNS1_11target_archE950ELNS1_3gpuE13ELNS1_3repE0EEENS1_47radix_sort_onesweep_sort_config_static_selectorELNS0_4arch9wavefront6targetE0EEEvSG_,"axG",@progbits,_ZN7rocprim17ROCPRIM_400000_NS6detail17trampoline_kernelINS0_14default_configENS1_35radix_sort_onesweep_config_selectorIbNS0_10empty_typeEEEZZNS1_29radix_sort_onesweep_iterationIS3_Lb1EPKbPbPS5_SB_mNS0_19identity_decomposerENS1_16block_id_wrapperIjLb1EEEEE10hipError_tT1_PNSt15iterator_traitsISG_E10value_typeET2_T3_PNSH_ISM_E10value_typeET4_T5_PSR_SS_PNS1_23onesweep_lookback_stateEbbT6_jjT7_P12ihipStream_tbENKUlT_T0_SG_SL_E_clIS9_SA_SB_SB_EEDaSZ_S10_SG_SL_EUlSZ_E_NS1_11comp_targetILNS1_3genE6ELNS1_11target_archE950ELNS1_3gpuE13ELNS1_3repE0EEENS1_47radix_sort_onesweep_sort_config_static_selectorELNS0_4arch9wavefront6targetE0EEEvSG_,comdat
.Lfunc_end1742:
	.size	_ZN7rocprim17ROCPRIM_400000_NS6detail17trampoline_kernelINS0_14default_configENS1_35radix_sort_onesweep_config_selectorIbNS0_10empty_typeEEEZZNS1_29radix_sort_onesweep_iterationIS3_Lb1EPKbPbPS5_SB_mNS0_19identity_decomposerENS1_16block_id_wrapperIjLb1EEEEE10hipError_tT1_PNSt15iterator_traitsISG_E10value_typeET2_T3_PNSH_ISM_E10value_typeET4_T5_PSR_SS_PNS1_23onesweep_lookback_stateEbbT6_jjT7_P12ihipStream_tbENKUlT_T0_SG_SL_E_clIS9_SA_SB_SB_EEDaSZ_S10_SG_SL_EUlSZ_E_NS1_11comp_targetILNS1_3genE6ELNS1_11target_archE950ELNS1_3gpuE13ELNS1_3repE0EEENS1_47radix_sort_onesweep_sort_config_static_selectorELNS0_4arch9wavefront6targetE0EEEvSG_, .Lfunc_end1742-_ZN7rocprim17ROCPRIM_400000_NS6detail17trampoline_kernelINS0_14default_configENS1_35radix_sort_onesweep_config_selectorIbNS0_10empty_typeEEEZZNS1_29radix_sort_onesweep_iterationIS3_Lb1EPKbPbPS5_SB_mNS0_19identity_decomposerENS1_16block_id_wrapperIjLb1EEEEE10hipError_tT1_PNSt15iterator_traitsISG_E10value_typeET2_T3_PNSH_ISM_E10value_typeET4_T5_PSR_SS_PNS1_23onesweep_lookback_stateEbbT6_jjT7_P12ihipStream_tbENKUlT_T0_SG_SL_E_clIS9_SA_SB_SB_EEDaSZ_S10_SG_SL_EUlSZ_E_NS1_11comp_targetILNS1_3genE6ELNS1_11target_archE950ELNS1_3gpuE13ELNS1_3repE0EEENS1_47radix_sort_onesweep_sort_config_static_selectorELNS0_4arch9wavefront6targetE0EEEvSG_
                                        ; -- End function
	.set _ZN7rocprim17ROCPRIM_400000_NS6detail17trampoline_kernelINS0_14default_configENS1_35radix_sort_onesweep_config_selectorIbNS0_10empty_typeEEEZZNS1_29radix_sort_onesweep_iterationIS3_Lb1EPKbPbPS5_SB_mNS0_19identity_decomposerENS1_16block_id_wrapperIjLb1EEEEE10hipError_tT1_PNSt15iterator_traitsISG_E10value_typeET2_T3_PNSH_ISM_E10value_typeET4_T5_PSR_SS_PNS1_23onesweep_lookback_stateEbbT6_jjT7_P12ihipStream_tbENKUlT_T0_SG_SL_E_clIS9_SA_SB_SB_EEDaSZ_S10_SG_SL_EUlSZ_E_NS1_11comp_targetILNS1_3genE6ELNS1_11target_archE950ELNS1_3gpuE13ELNS1_3repE0EEENS1_47radix_sort_onesweep_sort_config_static_selectorELNS0_4arch9wavefront6targetE0EEEvSG_.num_vgpr, 0
	.set _ZN7rocprim17ROCPRIM_400000_NS6detail17trampoline_kernelINS0_14default_configENS1_35radix_sort_onesweep_config_selectorIbNS0_10empty_typeEEEZZNS1_29radix_sort_onesweep_iterationIS3_Lb1EPKbPbPS5_SB_mNS0_19identity_decomposerENS1_16block_id_wrapperIjLb1EEEEE10hipError_tT1_PNSt15iterator_traitsISG_E10value_typeET2_T3_PNSH_ISM_E10value_typeET4_T5_PSR_SS_PNS1_23onesweep_lookback_stateEbbT6_jjT7_P12ihipStream_tbENKUlT_T0_SG_SL_E_clIS9_SA_SB_SB_EEDaSZ_S10_SG_SL_EUlSZ_E_NS1_11comp_targetILNS1_3genE6ELNS1_11target_archE950ELNS1_3gpuE13ELNS1_3repE0EEENS1_47radix_sort_onesweep_sort_config_static_selectorELNS0_4arch9wavefront6targetE0EEEvSG_.num_agpr, 0
	.set _ZN7rocprim17ROCPRIM_400000_NS6detail17trampoline_kernelINS0_14default_configENS1_35radix_sort_onesweep_config_selectorIbNS0_10empty_typeEEEZZNS1_29radix_sort_onesweep_iterationIS3_Lb1EPKbPbPS5_SB_mNS0_19identity_decomposerENS1_16block_id_wrapperIjLb1EEEEE10hipError_tT1_PNSt15iterator_traitsISG_E10value_typeET2_T3_PNSH_ISM_E10value_typeET4_T5_PSR_SS_PNS1_23onesweep_lookback_stateEbbT6_jjT7_P12ihipStream_tbENKUlT_T0_SG_SL_E_clIS9_SA_SB_SB_EEDaSZ_S10_SG_SL_EUlSZ_E_NS1_11comp_targetILNS1_3genE6ELNS1_11target_archE950ELNS1_3gpuE13ELNS1_3repE0EEENS1_47radix_sort_onesweep_sort_config_static_selectorELNS0_4arch9wavefront6targetE0EEEvSG_.numbered_sgpr, 0
	.set _ZN7rocprim17ROCPRIM_400000_NS6detail17trampoline_kernelINS0_14default_configENS1_35radix_sort_onesweep_config_selectorIbNS0_10empty_typeEEEZZNS1_29radix_sort_onesweep_iterationIS3_Lb1EPKbPbPS5_SB_mNS0_19identity_decomposerENS1_16block_id_wrapperIjLb1EEEEE10hipError_tT1_PNSt15iterator_traitsISG_E10value_typeET2_T3_PNSH_ISM_E10value_typeET4_T5_PSR_SS_PNS1_23onesweep_lookback_stateEbbT6_jjT7_P12ihipStream_tbENKUlT_T0_SG_SL_E_clIS9_SA_SB_SB_EEDaSZ_S10_SG_SL_EUlSZ_E_NS1_11comp_targetILNS1_3genE6ELNS1_11target_archE950ELNS1_3gpuE13ELNS1_3repE0EEENS1_47radix_sort_onesweep_sort_config_static_selectorELNS0_4arch9wavefront6targetE0EEEvSG_.num_named_barrier, 0
	.set _ZN7rocprim17ROCPRIM_400000_NS6detail17trampoline_kernelINS0_14default_configENS1_35radix_sort_onesweep_config_selectorIbNS0_10empty_typeEEEZZNS1_29radix_sort_onesweep_iterationIS3_Lb1EPKbPbPS5_SB_mNS0_19identity_decomposerENS1_16block_id_wrapperIjLb1EEEEE10hipError_tT1_PNSt15iterator_traitsISG_E10value_typeET2_T3_PNSH_ISM_E10value_typeET4_T5_PSR_SS_PNS1_23onesweep_lookback_stateEbbT6_jjT7_P12ihipStream_tbENKUlT_T0_SG_SL_E_clIS9_SA_SB_SB_EEDaSZ_S10_SG_SL_EUlSZ_E_NS1_11comp_targetILNS1_3genE6ELNS1_11target_archE950ELNS1_3gpuE13ELNS1_3repE0EEENS1_47radix_sort_onesweep_sort_config_static_selectorELNS0_4arch9wavefront6targetE0EEEvSG_.private_seg_size, 0
	.set _ZN7rocprim17ROCPRIM_400000_NS6detail17trampoline_kernelINS0_14default_configENS1_35radix_sort_onesweep_config_selectorIbNS0_10empty_typeEEEZZNS1_29radix_sort_onesweep_iterationIS3_Lb1EPKbPbPS5_SB_mNS0_19identity_decomposerENS1_16block_id_wrapperIjLb1EEEEE10hipError_tT1_PNSt15iterator_traitsISG_E10value_typeET2_T3_PNSH_ISM_E10value_typeET4_T5_PSR_SS_PNS1_23onesweep_lookback_stateEbbT6_jjT7_P12ihipStream_tbENKUlT_T0_SG_SL_E_clIS9_SA_SB_SB_EEDaSZ_S10_SG_SL_EUlSZ_E_NS1_11comp_targetILNS1_3genE6ELNS1_11target_archE950ELNS1_3gpuE13ELNS1_3repE0EEENS1_47radix_sort_onesweep_sort_config_static_selectorELNS0_4arch9wavefront6targetE0EEEvSG_.uses_vcc, 0
	.set _ZN7rocprim17ROCPRIM_400000_NS6detail17trampoline_kernelINS0_14default_configENS1_35radix_sort_onesweep_config_selectorIbNS0_10empty_typeEEEZZNS1_29radix_sort_onesweep_iterationIS3_Lb1EPKbPbPS5_SB_mNS0_19identity_decomposerENS1_16block_id_wrapperIjLb1EEEEE10hipError_tT1_PNSt15iterator_traitsISG_E10value_typeET2_T3_PNSH_ISM_E10value_typeET4_T5_PSR_SS_PNS1_23onesweep_lookback_stateEbbT6_jjT7_P12ihipStream_tbENKUlT_T0_SG_SL_E_clIS9_SA_SB_SB_EEDaSZ_S10_SG_SL_EUlSZ_E_NS1_11comp_targetILNS1_3genE6ELNS1_11target_archE950ELNS1_3gpuE13ELNS1_3repE0EEENS1_47radix_sort_onesweep_sort_config_static_selectorELNS0_4arch9wavefront6targetE0EEEvSG_.uses_flat_scratch, 0
	.set _ZN7rocprim17ROCPRIM_400000_NS6detail17trampoline_kernelINS0_14default_configENS1_35radix_sort_onesweep_config_selectorIbNS0_10empty_typeEEEZZNS1_29radix_sort_onesweep_iterationIS3_Lb1EPKbPbPS5_SB_mNS0_19identity_decomposerENS1_16block_id_wrapperIjLb1EEEEE10hipError_tT1_PNSt15iterator_traitsISG_E10value_typeET2_T3_PNSH_ISM_E10value_typeET4_T5_PSR_SS_PNS1_23onesweep_lookback_stateEbbT6_jjT7_P12ihipStream_tbENKUlT_T0_SG_SL_E_clIS9_SA_SB_SB_EEDaSZ_S10_SG_SL_EUlSZ_E_NS1_11comp_targetILNS1_3genE6ELNS1_11target_archE950ELNS1_3gpuE13ELNS1_3repE0EEENS1_47radix_sort_onesweep_sort_config_static_selectorELNS0_4arch9wavefront6targetE0EEEvSG_.has_dyn_sized_stack, 0
	.set _ZN7rocprim17ROCPRIM_400000_NS6detail17trampoline_kernelINS0_14default_configENS1_35radix_sort_onesweep_config_selectorIbNS0_10empty_typeEEEZZNS1_29radix_sort_onesweep_iterationIS3_Lb1EPKbPbPS5_SB_mNS0_19identity_decomposerENS1_16block_id_wrapperIjLb1EEEEE10hipError_tT1_PNSt15iterator_traitsISG_E10value_typeET2_T3_PNSH_ISM_E10value_typeET4_T5_PSR_SS_PNS1_23onesweep_lookback_stateEbbT6_jjT7_P12ihipStream_tbENKUlT_T0_SG_SL_E_clIS9_SA_SB_SB_EEDaSZ_S10_SG_SL_EUlSZ_E_NS1_11comp_targetILNS1_3genE6ELNS1_11target_archE950ELNS1_3gpuE13ELNS1_3repE0EEENS1_47radix_sort_onesweep_sort_config_static_selectorELNS0_4arch9wavefront6targetE0EEEvSG_.has_recursion, 0
	.set _ZN7rocprim17ROCPRIM_400000_NS6detail17trampoline_kernelINS0_14default_configENS1_35radix_sort_onesweep_config_selectorIbNS0_10empty_typeEEEZZNS1_29radix_sort_onesweep_iterationIS3_Lb1EPKbPbPS5_SB_mNS0_19identity_decomposerENS1_16block_id_wrapperIjLb1EEEEE10hipError_tT1_PNSt15iterator_traitsISG_E10value_typeET2_T3_PNSH_ISM_E10value_typeET4_T5_PSR_SS_PNS1_23onesweep_lookback_stateEbbT6_jjT7_P12ihipStream_tbENKUlT_T0_SG_SL_E_clIS9_SA_SB_SB_EEDaSZ_S10_SG_SL_EUlSZ_E_NS1_11comp_targetILNS1_3genE6ELNS1_11target_archE950ELNS1_3gpuE13ELNS1_3repE0EEENS1_47radix_sort_onesweep_sort_config_static_selectorELNS0_4arch9wavefront6targetE0EEEvSG_.has_indirect_call, 0
	.section	.AMDGPU.csdata,"",@progbits
; Kernel info:
; codeLenInByte = 0
; TotalNumSgprs: 0
; NumVgprs: 0
; ScratchSize: 0
; MemoryBound: 0
; FloatMode: 240
; IeeeMode: 1
; LDSByteSize: 0 bytes/workgroup (compile time only)
; SGPRBlocks: 0
; VGPRBlocks: 0
; NumSGPRsForWavesPerEU: 1
; NumVGPRsForWavesPerEU: 1
; NamedBarCnt: 0
; Occupancy: 16
; WaveLimiterHint : 0
; COMPUTE_PGM_RSRC2:SCRATCH_EN: 0
; COMPUTE_PGM_RSRC2:USER_SGPR: 2
; COMPUTE_PGM_RSRC2:TRAP_HANDLER: 0
; COMPUTE_PGM_RSRC2:TGID_X_EN: 1
; COMPUTE_PGM_RSRC2:TGID_Y_EN: 0
; COMPUTE_PGM_RSRC2:TGID_Z_EN: 0
; COMPUTE_PGM_RSRC2:TIDIG_COMP_CNT: 0
	.section	.text._ZN7rocprim17ROCPRIM_400000_NS6detail17trampoline_kernelINS0_14default_configENS1_35radix_sort_onesweep_config_selectorIbNS0_10empty_typeEEEZZNS1_29radix_sort_onesweep_iterationIS3_Lb1EPKbPbPS5_SB_mNS0_19identity_decomposerENS1_16block_id_wrapperIjLb1EEEEE10hipError_tT1_PNSt15iterator_traitsISG_E10value_typeET2_T3_PNSH_ISM_E10value_typeET4_T5_PSR_SS_PNS1_23onesweep_lookback_stateEbbT6_jjT7_P12ihipStream_tbENKUlT_T0_SG_SL_E_clIS9_SA_SB_SB_EEDaSZ_S10_SG_SL_EUlSZ_E_NS1_11comp_targetILNS1_3genE5ELNS1_11target_archE942ELNS1_3gpuE9ELNS1_3repE0EEENS1_47radix_sort_onesweep_sort_config_static_selectorELNS0_4arch9wavefront6targetE0EEEvSG_,"axG",@progbits,_ZN7rocprim17ROCPRIM_400000_NS6detail17trampoline_kernelINS0_14default_configENS1_35radix_sort_onesweep_config_selectorIbNS0_10empty_typeEEEZZNS1_29radix_sort_onesweep_iterationIS3_Lb1EPKbPbPS5_SB_mNS0_19identity_decomposerENS1_16block_id_wrapperIjLb1EEEEE10hipError_tT1_PNSt15iterator_traitsISG_E10value_typeET2_T3_PNSH_ISM_E10value_typeET4_T5_PSR_SS_PNS1_23onesweep_lookback_stateEbbT6_jjT7_P12ihipStream_tbENKUlT_T0_SG_SL_E_clIS9_SA_SB_SB_EEDaSZ_S10_SG_SL_EUlSZ_E_NS1_11comp_targetILNS1_3genE5ELNS1_11target_archE942ELNS1_3gpuE9ELNS1_3repE0EEENS1_47radix_sort_onesweep_sort_config_static_selectorELNS0_4arch9wavefront6targetE0EEEvSG_,comdat
	.protected	_ZN7rocprim17ROCPRIM_400000_NS6detail17trampoline_kernelINS0_14default_configENS1_35radix_sort_onesweep_config_selectorIbNS0_10empty_typeEEEZZNS1_29radix_sort_onesweep_iterationIS3_Lb1EPKbPbPS5_SB_mNS0_19identity_decomposerENS1_16block_id_wrapperIjLb1EEEEE10hipError_tT1_PNSt15iterator_traitsISG_E10value_typeET2_T3_PNSH_ISM_E10value_typeET4_T5_PSR_SS_PNS1_23onesweep_lookback_stateEbbT6_jjT7_P12ihipStream_tbENKUlT_T0_SG_SL_E_clIS9_SA_SB_SB_EEDaSZ_S10_SG_SL_EUlSZ_E_NS1_11comp_targetILNS1_3genE5ELNS1_11target_archE942ELNS1_3gpuE9ELNS1_3repE0EEENS1_47radix_sort_onesweep_sort_config_static_selectorELNS0_4arch9wavefront6targetE0EEEvSG_ ; -- Begin function _ZN7rocprim17ROCPRIM_400000_NS6detail17trampoline_kernelINS0_14default_configENS1_35radix_sort_onesweep_config_selectorIbNS0_10empty_typeEEEZZNS1_29radix_sort_onesweep_iterationIS3_Lb1EPKbPbPS5_SB_mNS0_19identity_decomposerENS1_16block_id_wrapperIjLb1EEEEE10hipError_tT1_PNSt15iterator_traitsISG_E10value_typeET2_T3_PNSH_ISM_E10value_typeET4_T5_PSR_SS_PNS1_23onesweep_lookback_stateEbbT6_jjT7_P12ihipStream_tbENKUlT_T0_SG_SL_E_clIS9_SA_SB_SB_EEDaSZ_S10_SG_SL_EUlSZ_E_NS1_11comp_targetILNS1_3genE5ELNS1_11target_archE942ELNS1_3gpuE9ELNS1_3repE0EEENS1_47radix_sort_onesweep_sort_config_static_selectorELNS0_4arch9wavefront6targetE0EEEvSG_
	.globl	_ZN7rocprim17ROCPRIM_400000_NS6detail17trampoline_kernelINS0_14default_configENS1_35radix_sort_onesweep_config_selectorIbNS0_10empty_typeEEEZZNS1_29radix_sort_onesweep_iterationIS3_Lb1EPKbPbPS5_SB_mNS0_19identity_decomposerENS1_16block_id_wrapperIjLb1EEEEE10hipError_tT1_PNSt15iterator_traitsISG_E10value_typeET2_T3_PNSH_ISM_E10value_typeET4_T5_PSR_SS_PNS1_23onesweep_lookback_stateEbbT6_jjT7_P12ihipStream_tbENKUlT_T0_SG_SL_E_clIS9_SA_SB_SB_EEDaSZ_S10_SG_SL_EUlSZ_E_NS1_11comp_targetILNS1_3genE5ELNS1_11target_archE942ELNS1_3gpuE9ELNS1_3repE0EEENS1_47radix_sort_onesweep_sort_config_static_selectorELNS0_4arch9wavefront6targetE0EEEvSG_
	.p2align	8
	.type	_ZN7rocprim17ROCPRIM_400000_NS6detail17trampoline_kernelINS0_14default_configENS1_35radix_sort_onesweep_config_selectorIbNS0_10empty_typeEEEZZNS1_29radix_sort_onesweep_iterationIS3_Lb1EPKbPbPS5_SB_mNS0_19identity_decomposerENS1_16block_id_wrapperIjLb1EEEEE10hipError_tT1_PNSt15iterator_traitsISG_E10value_typeET2_T3_PNSH_ISM_E10value_typeET4_T5_PSR_SS_PNS1_23onesweep_lookback_stateEbbT6_jjT7_P12ihipStream_tbENKUlT_T0_SG_SL_E_clIS9_SA_SB_SB_EEDaSZ_S10_SG_SL_EUlSZ_E_NS1_11comp_targetILNS1_3genE5ELNS1_11target_archE942ELNS1_3gpuE9ELNS1_3repE0EEENS1_47radix_sort_onesweep_sort_config_static_selectorELNS0_4arch9wavefront6targetE0EEEvSG_,@function
_ZN7rocprim17ROCPRIM_400000_NS6detail17trampoline_kernelINS0_14default_configENS1_35radix_sort_onesweep_config_selectorIbNS0_10empty_typeEEEZZNS1_29radix_sort_onesweep_iterationIS3_Lb1EPKbPbPS5_SB_mNS0_19identity_decomposerENS1_16block_id_wrapperIjLb1EEEEE10hipError_tT1_PNSt15iterator_traitsISG_E10value_typeET2_T3_PNSH_ISM_E10value_typeET4_T5_PSR_SS_PNS1_23onesweep_lookback_stateEbbT6_jjT7_P12ihipStream_tbENKUlT_T0_SG_SL_E_clIS9_SA_SB_SB_EEDaSZ_S10_SG_SL_EUlSZ_E_NS1_11comp_targetILNS1_3genE5ELNS1_11target_archE942ELNS1_3gpuE9ELNS1_3repE0EEENS1_47radix_sort_onesweep_sort_config_static_selectorELNS0_4arch9wavefront6targetE0EEEvSG_: ; @_ZN7rocprim17ROCPRIM_400000_NS6detail17trampoline_kernelINS0_14default_configENS1_35radix_sort_onesweep_config_selectorIbNS0_10empty_typeEEEZZNS1_29radix_sort_onesweep_iterationIS3_Lb1EPKbPbPS5_SB_mNS0_19identity_decomposerENS1_16block_id_wrapperIjLb1EEEEE10hipError_tT1_PNSt15iterator_traitsISG_E10value_typeET2_T3_PNSH_ISM_E10value_typeET4_T5_PSR_SS_PNS1_23onesweep_lookback_stateEbbT6_jjT7_P12ihipStream_tbENKUlT_T0_SG_SL_E_clIS9_SA_SB_SB_EEDaSZ_S10_SG_SL_EUlSZ_E_NS1_11comp_targetILNS1_3genE5ELNS1_11target_archE942ELNS1_3gpuE9ELNS1_3repE0EEENS1_47radix_sort_onesweep_sort_config_static_selectorELNS0_4arch9wavefront6targetE0EEEvSG_
; %bb.0:
	.section	.rodata,"a",@progbits
	.p2align	6, 0x0
	.amdhsa_kernel _ZN7rocprim17ROCPRIM_400000_NS6detail17trampoline_kernelINS0_14default_configENS1_35radix_sort_onesweep_config_selectorIbNS0_10empty_typeEEEZZNS1_29radix_sort_onesweep_iterationIS3_Lb1EPKbPbPS5_SB_mNS0_19identity_decomposerENS1_16block_id_wrapperIjLb1EEEEE10hipError_tT1_PNSt15iterator_traitsISG_E10value_typeET2_T3_PNSH_ISM_E10value_typeET4_T5_PSR_SS_PNS1_23onesweep_lookback_stateEbbT6_jjT7_P12ihipStream_tbENKUlT_T0_SG_SL_E_clIS9_SA_SB_SB_EEDaSZ_S10_SG_SL_EUlSZ_E_NS1_11comp_targetILNS1_3genE5ELNS1_11target_archE942ELNS1_3gpuE9ELNS1_3repE0EEENS1_47radix_sort_onesweep_sort_config_static_selectorELNS0_4arch9wavefront6targetE0EEEvSG_
		.amdhsa_group_segment_fixed_size 0
		.amdhsa_private_segment_fixed_size 0
		.amdhsa_kernarg_size 88
		.amdhsa_user_sgpr_count 2
		.amdhsa_user_sgpr_dispatch_ptr 0
		.amdhsa_user_sgpr_queue_ptr 0
		.amdhsa_user_sgpr_kernarg_segment_ptr 1
		.amdhsa_user_sgpr_dispatch_id 0
		.amdhsa_user_sgpr_kernarg_preload_length 0
		.amdhsa_user_sgpr_kernarg_preload_offset 0
		.amdhsa_user_sgpr_private_segment_size 0
		.amdhsa_wavefront_size32 1
		.amdhsa_uses_dynamic_stack 0
		.amdhsa_enable_private_segment 0
		.amdhsa_system_sgpr_workgroup_id_x 1
		.amdhsa_system_sgpr_workgroup_id_y 0
		.amdhsa_system_sgpr_workgroup_id_z 0
		.amdhsa_system_sgpr_workgroup_info 0
		.amdhsa_system_vgpr_workitem_id 0
		.amdhsa_next_free_vgpr 1
		.amdhsa_next_free_sgpr 1
		.amdhsa_named_barrier_count 0
		.amdhsa_reserve_vcc 0
		.amdhsa_float_round_mode_32 0
		.amdhsa_float_round_mode_16_64 0
		.amdhsa_float_denorm_mode_32 3
		.amdhsa_float_denorm_mode_16_64 3
		.amdhsa_fp16_overflow 0
		.amdhsa_memory_ordered 1
		.amdhsa_forward_progress 1
		.amdhsa_inst_pref_size 0
		.amdhsa_round_robin_scheduling 0
		.amdhsa_exception_fp_ieee_invalid_op 0
		.amdhsa_exception_fp_denorm_src 0
		.amdhsa_exception_fp_ieee_div_zero 0
		.amdhsa_exception_fp_ieee_overflow 0
		.amdhsa_exception_fp_ieee_underflow 0
		.amdhsa_exception_fp_ieee_inexact 0
		.amdhsa_exception_int_div_zero 0
	.end_amdhsa_kernel
	.section	.text._ZN7rocprim17ROCPRIM_400000_NS6detail17trampoline_kernelINS0_14default_configENS1_35radix_sort_onesweep_config_selectorIbNS0_10empty_typeEEEZZNS1_29radix_sort_onesweep_iterationIS3_Lb1EPKbPbPS5_SB_mNS0_19identity_decomposerENS1_16block_id_wrapperIjLb1EEEEE10hipError_tT1_PNSt15iterator_traitsISG_E10value_typeET2_T3_PNSH_ISM_E10value_typeET4_T5_PSR_SS_PNS1_23onesweep_lookback_stateEbbT6_jjT7_P12ihipStream_tbENKUlT_T0_SG_SL_E_clIS9_SA_SB_SB_EEDaSZ_S10_SG_SL_EUlSZ_E_NS1_11comp_targetILNS1_3genE5ELNS1_11target_archE942ELNS1_3gpuE9ELNS1_3repE0EEENS1_47radix_sort_onesweep_sort_config_static_selectorELNS0_4arch9wavefront6targetE0EEEvSG_,"axG",@progbits,_ZN7rocprim17ROCPRIM_400000_NS6detail17trampoline_kernelINS0_14default_configENS1_35radix_sort_onesweep_config_selectorIbNS0_10empty_typeEEEZZNS1_29radix_sort_onesweep_iterationIS3_Lb1EPKbPbPS5_SB_mNS0_19identity_decomposerENS1_16block_id_wrapperIjLb1EEEEE10hipError_tT1_PNSt15iterator_traitsISG_E10value_typeET2_T3_PNSH_ISM_E10value_typeET4_T5_PSR_SS_PNS1_23onesweep_lookback_stateEbbT6_jjT7_P12ihipStream_tbENKUlT_T0_SG_SL_E_clIS9_SA_SB_SB_EEDaSZ_S10_SG_SL_EUlSZ_E_NS1_11comp_targetILNS1_3genE5ELNS1_11target_archE942ELNS1_3gpuE9ELNS1_3repE0EEENS1_47radix_sort_onesweep_sort_config_static_selectorELNS0_4arch9wavefront6targetE0EEEvSG_,comdat
.Lfunc_end1743:
	.size	_ZN7rocprim17ROCPRIM_400000_NS6detail17trampoline_kernelINS0_14default_configENS1_35radix_sort_onesweep_config_selectorIbNS0_10empty_typeEEEZZNS1_29radix_sort_onesweep_iterationIS3_Lb1EPKbPbPS5_SB_mNS0_19identity_decomposerENS1_16block_id_wrapperIjLb1EEEEE10hipError_tT1_PNSt15iterator_traitsISG_E10value_typeET2_T3_PNSH_ISM_E10value_typeET4_T5_PSR_SS_PNS1_23onesweep_lookback_stateEbbT6_jjT7_P12ihipStream_tbENKUlT_T0_SG_SL_E_clIS9_SA_SB_SB_EEDaSZ_S10_SG_SL_EUlSZ_E_NS1_11comp_targetILNS1_3genE5ELNS1_11target_archE942ELNS1_3gpuE9ELNS1_3repE0EEENS1_47radix_sort_onesweep_sort_config_static_selectorELNS0_4arch9wavefront6targetE0EEEvSG_, .Lfunc_end1743-_ZN7rocprim17ROCPRIM_400000_NS6detail17trampoline_kernelINS0_14default_configENS1_35radix_sort_onesweep_config_selectorIbNS0_10empty_typeEEEZZNS1_29radix_sort_onesweep_iterationIS3_Lb1EPKbPbPS5_SB_mNS0_19identity_decomposerENS1_16block_id_wrapperIjLb1EEEEE10hipError_tT1_PNSt15iterator_traitsISG_E10value_typeET2_T3_PNSH_ISM_E10value_typeET4_T5_PSR_SS_PNS1_23onesweep_lookback_stateEbbT6_jjT7_P12ihipStream_tbENKUlT_T0_SG_SL_E_clIS9_SA_SB_SB_EEDaSZ_S10_SG_SL_EUlSZ_E_NS1_11comp_targetILNS1_3genE5ELNS1_11target_archE942ELNS1_3gpuE9ELNS1_3repE0EEENS1_47radix_sort_onesweep_sort_config_static_selectorELNS0_4arch9wavefront6targetE0EEEvSG_
                                        ; -- End function
	.set _ZN7rocprim17ROCPRIM_400000_NS6detail17trampoline_kernelINS0_14default_configENS1_35radix_sort_onesweep_config_selectorIbNS0_10empty_typeEEEZZNS1_29radix_sort_onesweep_iterationIS3_Lb1EPKbPbPS5_SB_mNS0_19identity_decomposerENS1_16block_id_wrapperIjLb1EEEEE10hipError_tT1_PNSt15iterator_traitsISG_E10value_typeET2_T3_PNSH_ISM_E10value_typeET4_T5_PSR_SS_PNS1_23onesweep_lookback_stateEbbT6_jjT7_P12ihipStream_tbENKUlT_T0_SG_SL_E_clIS9_SA_SB_SB_EEDaSZ_S10_SG_SL_EUlSZ_E_NS1_11comp_targetILNS1_3genE5ELNS1_11target_archE942ELNS1_3gpuE9ELNS1_3repE0EEENS1_47radix_sort_onesweep_sort_config_static_selectorELNS0_4arch9wavefront6targetE0EEEvSG_.num_vgpr, 0
	.set _ZN7rocprim17ROCPRIM_400000_NS6detail17trampoline_kernelINS0_14default_configENS1_35radix_sort_onesweep_config_selectorIbNS0_10empty_typeEEEZZNS1_29radix_sort_onesweep_iterationIS3_Lb1EPKbPbPS5_SB_mNS0_19identity_decomposerENS1_16block_id_wrapperIjLb1EEEEE10hipError_tT1_PNSt15iterator_traitsISG_E10value_typeET2_T3_PNSH_ISM_E10value_typeET4_T5_PSR_SS_PNS1_23onesweep_lookback_stateEbbT6_jjT7_P12ihipStream_tbENKUlT_T0_SG_SL_E_clIS9_SA_SB_SB_EEDaSZ_S10_SG_SL_EUlSZ_E_NS1_11comp_targetILNS1_3genE5ELNS1_11target_archE942ELNS1_3gpuE9ELNS1_3repE0EEENS1_47radix_sort_onesweep_sort_config_static_selectorELNS0_4arch9wavefront6targetE0EEEvSG_.num_agpr, 0
	.set _ZN7rocprim17ROCPRIM_400000_NS6detail17trampoline_kernelINS0_14default_configENS1_35radix_sort_onesweep_config_selectorIbNS0_10empty_typeEEEZZNS1_29radix_sort_onesweep_iterationIS3_Lb1EPKbPbPS5_SB_mNS0_19identity_decomposerENS1_16block_id_wrapperIjLb1EEEEE10hipError_tT1_PNSt15iterator_traitsISG_E10value_typeET2_T3_PNSH_ISM_E10value_typeET4_T5_PSR_SS_PNS1_23onesweep_lookback_stateEbbT6_jjT7_P12ihipStream_tbENKUlT_T0_SG_SL_E_clIS9_SA_SB_SB_EEDaSZ_S10_SG_SL_EUlSZ_E_NS1_11comp_targetILNS1_3genE5ELNS1_11target_archE942ELNS1_3gpuE9ELNS1_3repE0EEENS1_47radix_sort_onesweep_sort_config_static_selectorELNS0_4arch9wavefront6targetE0EEEvSG_.numbered_sgpr, 0
	.set _ZN7rocprim17ROCPRIM_400000_NS6detail17trampoline_kernelINS0_14default_configENS1_35radix_sort_onesweep_config_selectorIbNS0_10empty_typeEEEZZNS1_29radix_sort_onesweep_iterationIS3_Lb1EPKbPbPS5_SB_mNS0_19identity_decomposerENS1_16block_id_wrapperIjLb1EEEEE10hipError_tT1_PNSt15iterator_traitsISG_E10value_typeET2_T3_PNSH_ISM_E10value_typeET4_T5_PSR_SS_PNS1_23onesweep_lookback_stateEbbT6_jjT7_P12ihipStream_tbENKUlT_T0_SG_SL_E_clIS9_SA_SB_SB_EEDaSZ_S10_SG_SL_EUlSZ_E_NS1_11comp_targetILNS1_3genE5ELNS1_11target_archE942ELNS1_3gpuE9ELNS1_3repE0EEENS1_47radix_sort_onesweep_sort_config_static_selectorELNS0_4arch9wavefront6targetE0EEEvSG_.num_named_barrier, 0
	.set _ZN7rocprim17ROCPRIM_400000_NS6detail17trampoline_kernelINS0_14default_configENS1_35radix_sort_onesweep_config_selectorIbNS0_10empty_typeEEEZZNS1_29radix_sort_onesweep_iterationIS3_Lb1EPKbPbPS5_SB_mNS0_19identity_decomposerENS1_16block_id_wrapperIjLb1EEEEE10hipError_tT1_PNSt15iterator_traitsISG_E10value_typeET2_T3_PNSH_ISM_E10value_typeET4_T5_PSR_SS_PNS1_23onesweep_lookback_stateEbbT6_jjT7_P12ihipStream_tbENKUlT_T0_SG_SL_E_clIS9_SA_SB_SB_EEDaSZ_S10_SG_SL_EUlSZ_E_NS1_11comp_targetILNS1_3genE5ELNS1_11target_archE942ELNS1_3gpuE9ELNS1_3repE0EEENS1_47radix_sort_onesweep_sort_config_static_selectorELNS0_4arch9wavefront6targetE0EEEvSG_.private_seg_size, 0
	.set _ZN7rocprim17ROCPRIM_400000_NS6detail17trampoline_kernelINS0_14default_configENS1_35radix_sort_onesweep_config_selectorIbNS0_10empty_typeEEEZZNS1_29radix_sort_onesweep_iterationIS3_Lb1EPKbPbPS5_SB_mNS0_19identity_decomposerENS1_16block_id_wrapperIjLb1EEEEE10hipError_tT1_PNSt15iterator_traitsISG_E10value_typeET2_T3_PNSH_ISM_E10value_typeET4_T5_PSR_SS_PNS1_23onesweep_lookback_stateEbbT6_jjT7_P12ihipStream_tbENKUlT_T0_SG_SL_E_clIS9_SA_SB_SB_EEDaSZ_S10_SG_SL_EUlSZ_E_NS1_11comp_targetILNS1_3genE5ELNS1_11target_archE942ELNS1_3gpuE9ELNS1_3repE0EEENS1_47radix_sort_onesweep_sort_config_static_selectorELNS0_4arch9wavefront6targetE0EEEvSG_.uses_vcc, 0
	.set _ZN7rocprim17ROCPRIM_400000_NS6detail17trampoline_kernelINS0_14default_configENS1_35radix_sort_onesweep_config_selectorIbNS0_10empty_typeEEEZZNS1_29radix_sort_onesweep_iterationIS3_Lb1EPKbPbPS5_SB_mNS0_19identity_decomposerENS1_16block_id_wrapperIjLb1EEEEE10hipError_tT1_PNSt15iterator_traitsISG_E10value_typeET2_T3_PNSH_ISM_E10value_typeET4_T5_PSR_SS_PNS1_23onesweep_lookback_stateEbbT6_jjT7_P12ihipStream_tbENKUlT_T0_SG_SL_E_clIS9_SA_SB_SB_EEDaSZ_S10_SG_SL_EUlSZ_E_NS1_11comp_targetILNS1_3genE5ELNS1_11target_archE942ELNS1_3gpuE9ELNS1_3repE0EEENS1_47radix_sort_onesweep_sort_config_static_selectorELNS0_4arch9wavefront6targetE0EEEvSG_.uses_flat_scratch, 0
	.set _ZN7rocprim17ROCPRIM_400000_NS6detail17trampoline_kernelINS0_14default_configENS1_35radix_sort_onesweep_config_selectorIbNS0_10empty_typeEEEZZNS1_29radix_sort_onesweep_iterationIS3_Lb1EPKbPbPS5_SB_mNS0_19identity_decomposerENS1_16block_id_wrapperIjLb1EEEEE10hipError_tT1_PNSt15iterator_traitsISG_E10value_typeET2_T3_PNSH_ISM_E10value_typeET4_T5_PSR_SS_PNS1_23onesweep_lookback_stateEbbT6_jjT7_P12ihipStream_tbENKUlT_T0_SG_SL_E_clIS9_SA_SB_SB_EEDaSZ_S10_SG_SL_EUlSZ_E_NS1_11comp_targetILNS1_3genE5ELNS1_11target_archE942ELNS1_3gpuE9ELNS1_3repE0EEENS1_47radix_sort_onesweep_sort_config_static_selectorELNS0_4arch9wavefront6targetE0EEEvSG_.has_dyn_sized_stack, 0
	.set _ZN7rocprim17ROCPRIM_400000_NS6detail17trampoline_kernelINS0_14default_configENS1_35radix_sort_onesweep_config_selectorIbNS0_10empty_typeEEEZZNS1_29radix_sort_onesweep_iterationIS3_Lb1EPKbPbPS5_SB_mNS0_19identity_decomposerENS1_16block_id_wrapperIjLb1EEEEE10hipError_tT1_PNSt15iterator_traitsISG_E10value_typeET2_T3_PNSH_ISM_E10value_typeET4_T5_PSR_SS_PNS1_23onesweep_lookback_stateEbbT6_jjT7_P12ihipStream_tbENKUlT_T0_SG_SL_E_clIS9_SA_SB_SB_EEDaSZ_S10_SG_SL_EUlSZ_E_NS1_11comp_targetILNS1_3genE5ELNS1_11target_archE942ELNS1_3gpuE9ELNS1_3repE0EEENS1_47radix_sort_onesweep_sort_config_static_selectorELNS0_4arch9wavefront6targetE0EEEvSG_.has_recursion, 0
	.set _ZN7rocprim17ROCPRIM_400000_NS6detail17trampoline_kernelINS0_14default_configENS1_35radix_sort_onesweep_config_selectorIbNS0_10empty_typeEEEZZNS1_29radix_sort_onesweep_iterationIS3_Lb1EPKbPbPS5_SB_mNS0_19identity_decomposerENS1_16block_id_wrapperIjLb1EEEEE10hipError_tT1_PNSt15iterator_traitsISG_E10value_typeET2_T3_PNSH_ISM_E10value_typeET4_T5_PSR_SS_PNS1_23onesweep_lookback_stateEbbT6_jjT7_P12ihipStream_tbENKUlT_T0_SG_SL_E_clIS9_SA_SB_SB_EEDaSZ_S10_SG_SL_EUlSZ_E_NS1_11comp_targetILNS1_3genE5ELNS1_11target_archE942ELNS1_3gpuE9ELNS1_3repE0EEENS1_47radix_sort_onesweep_sort_config_static_selectorELNS0_4arch9wavefront6targetE0EEEvSG_.has_indirect_call, 0
	.section	.AMDGPU.csdata,"",@progbits
; Kernel info:
; codeLenInByte = 0
; TotalNumSgprs: 0
; NumVgprs: 0
; ScratchSize: 0
; MemoryBound: 0
; FloatMode: 240
; IeeeMode: 1
; LDSByteSize: 0 bytes/workgroup (compile time only)
; SGPRBlocks: 0
; VGPRBlocks: 0
; NumSGPRsForWavesPerEU: 1
; NumVGPRsForWavesPerEU: 1
; NamedBarCnt: 0
; Occupancy: 16
; WaveLimiterHint : 0
; COMPUTE_PGM_RSRC2:SCRATCH_EN: 0
; COMPUTE_PGM_RSRC2:USER_SGPR: 2
; COMPUTE_PGM_RSRC2:TRAP_HANDLER: 0
; COMPUTE_PGM_RSRC2:TGID_X_EN: 1
; COMPUTE_PGM_RSRC2:TGID_Y_EN: 0
; COMPUTE_PGM_RSRC2:TGID_Z_EN: 0
; COMPUTE_PGM_RSRC2:TIDIG_COMP_CNT: 0
	.section	.text._ZN7rocprim17ROCPRIM_400000_NS6detail17trampoline_kernelINS0_14default_configENS1_35radix_sort_onesweep_config_selectorIbNS0_10empty_typeEEEZZNS1_29radix_sort_onesweep_iterationIS3_Lb1EPKbPbPS5_SB_mNS0_19identity_decomposerENS1_16block_id_wrapperIjLb1EEEEE10hipError_tT1_PNSt15iterator_traitsISG_E10value_typeET2_T3_PNSH_ISM_E10value_typeET4_T5_PSR_SS_PNS1_23onesweep_lookback_stateEbbT6_jjT7_P12ihipStream_tbENKUlT_T0_SG_SL_E_clIS9_SA_SB_SB_EEDaSZ_S10_SG_SL_EUlSZ_E_NS1_11comp_targetILNS1_3genE2ELNS1_11target_archE906ELNS1_3gpuE6ELNS1_3repE0EEENS1_47radix_sort_onesweep_sort_config_static_selectorELNS0_4arch9wavefront6targetE0EEEvSG_,"axG",@progbits,_ZN7rocprim17ROCPRIM_400000_NS6detail17trampoline_kernelINS0_14default_configENS1_35radix_sort_onesweep_config_selectorIbNS0_10empty_typeEEEZZNS1_29radix_sort_onesweep_iterationIS3_Lb1EPKbPbPS5_SB_mNS0_19identity_decomposerENS1_16block_id_wrapperIjLb1EEEEE10hipError_tT1_PNSt15iterator_traitsISG_E10value_typeET2_T3_PNSH_ISM_E10value_typeET4_T5_PSR_SS_PNS1_23onesweep_lookback_stateEbbT6_jjT7_P12ihipStream_tbENKUlT_T0_SG_SL_E_clIS9_SA_SB_SB_EEDaSZ_S10_SG_SL_EUlSZ_E_NS1_11comp_targetILNS1_3genE2ELNS1_11target_archE906ELNS1_3gpuE6ELNS1_3repE0EEENS1_47radix_sort_onesweep_sort_config_static_selectorELNS0_4arch9wavefront6targetE0EEEvSG_,comdat
	.protected	_ZN7rocprim17ROCPRIM_400000_NS6detail17trampoline_kernelINS0_14default_configENS1_35radix_sort_onesweep_config_selectorIbNS0_10empty_typeEEEZZNS1_29radix_sort_onesweep_iterationIS3_Lb1EPKbPbPS5_SB_mNS0_19identity_decomposerENS1_16block_id_wrapperIjLb1EEEEE10hipError_tT1_PNSt15iterator_traitsISG_E10value_typeET2_T3_PNSH_ISM_E10value_typeET4_T5_PSR_SS_PNS1_23onesweep_lookback_stateEbbT6_jjT7_P12ihipStream_tbENKUlT_T0_SG_SL_E_clIS9_SA_SB_SB_EEDaSZ_S10_SG_SL_EUlSZ_E_NS1_11comp_targetILNS1_3genE2ELNS1_11target_archE906ELNS1_3gpuE6ELNS1_3repE0EEENS1_47radix_sort_onesweep_sort_config_static_selectorELNS0_4arch9wavefront6targetE0EEEvSG_ ; -- Begin function _ZN7rocprim17ROCPRIM_400000_NS6detail17trampoline_kernelINS0_14default_configENS1_35radix_sort_onesweep_config_selectorIbNS0_10empty_typeEEEZZNS1_29radix_sort_onesweep_iterationIS3_Lb1EPKbPbPS5_SB_mNS0_19identity_decomposerENS1_16block_id_wrapperIjLb1EEEEE10hipError_tT1_PNSt15iterator_traitsISG_E10value_typeET2_T3_PNSH_ISM_E10value_typeET4_T5_PSR_SS_PNS1_23onesweep_lookback_stateEbbT6_jjT7_P12ihipStream_tbENKUlT_T0_SG_SL_E_clIS9_SA_SB_SB_EEDaSZ_S10_SG_SL_EUlSZ_E_NS1_11comp_targetILNS1_3genE2ELNS1_11target_archE906ELNS1_3gpuE6ELNS1_3repE0EEENS1_47radix_sort_onesweep_sort_config_static_selectorELNS0_4arch9wavefront6targetE0EEEvSG_
	.globl	_ZN7rocprim17ROCPRIM_400000_NS6detail17trampoline_kernelINS0_14default_configENS1_35radix_sort_onesweep_config_selectorIbNS0_10empty_typeEEEZZNS1_29radix_sort_onesweep_iterationIS3_Lb1EPKbPbPS5_SB_mNS0_19identity_decomposerENS1_16block_id_wrapperIjLb1EEEEE10hipError_tT1_PNSt15iterator_traitsISG_E10value_typeET2_T3_PNSH_ISM_E10value_typeET4_T5_PSR_SS_PNS1_23onesweep_lookback_stateEbbT6_jjT7_P12ihipStream_tbENKUlT_T0_SG_SL_E_clIS9_SA_SB_SB_EEDaSZ_S10_SG_SL_EUlSZ_E_NS1_11comp_targetILNS1_3genE2ELNS1_11target_archE906ELNS1_3gpuE6ELNS1_3repE0EEENS1_47radix_sort_onesweep_sort_config_static_selectorELNS0_4arch9wavefront6targetE0EEEvSG_
	.p2align	8
	.type	_ZN7rocprim17ROCPRIM_400000_NS6detail17trampoline_kernelINS0_14default_configENS1_35radix_sort_onesweep_config_selectorIbNS0_10empty_typeEEEZZNS1_29radix_sort_onesweep_iterationIS3_Lb1EPKbPbPS5_SB_mNS0_19identity_decomposerENS1_16block_id_wrapperIjLb1EEEEE10hipError_tT1_PNSt15iterator_traitsISG_E10value_typeET2_T3_PNSH_ISM_E10value_typeET4_T5_PSR_SS_PNS1_23onesweep_lookback_stateEbbT6_jjT7_P12ihipStream_tbENKUlT_T0_SG_SL_E_clIS9_SA_SB_SB_EEDaSZ_S10_SG_SL_EUlSZ_E_NS1_11comp_targetILNS1_3genE2ELNS1_11target_archE906ELNS1_3gpuE6ELNS1_3repE0EEENS1_47radix_sort_onesweep_sort_config_static_selectorELNS0_4arch9wavefront6targetE0EEEvSG_,@function
_ZN7rocprim17ROCPRIM_400000_NS6detail17trampoline_kernelINS0_14default_configENS1_35radix_sort_onesweep_config_selectorIbNS0_10empty_typeEEEZZNS1_29radix_sort_onesweep_iterationIS3_Lb1EPKbPbPS5_SB_mNS0_19identity_decomposerENS1_16block_id_wrapperIjLb1EEEEE10hipError_tT1_PNSt15iterator_traitsISG_E10value_typeET2_T3_PNSH_ISM_E10value_typeET4_T5_PSR_SS_PNS1_23onesweep_lookback_stateEbbT6_jjT7_P12ihipStream_tbENKUlT_T0_SG_SL_E_clIS9_SA_SB_SB_EEDaSZ_S10_SG_SL_EUlSZ_E_NS1_11comp_targetILNS1_3genE2ELNS1_11target_archE906ELNS1_3gpuE6ELNS1_3repE0EEENS1_47radix_sort_onesweep_sort_config_static_selectorELNS0_4arch9wavefront6targetE0EEEvSG_: ; @_ZN7rocprim17ROCPRIM_400000_NS6detail17trampoline_kernelINS0_14default_configENS1_35radix_sort_onesweep_config_selectorIbNS0_10empty_typeEEEZZNS1_29radix_sort_onesweep_iterationIS3_Lb1EPKbPbPS5_SB_mNS0_19identity_decomposerENS1_16block_id_wrapperIjLb1EEEEE10hipError_tT1_PNSt15iterator_traitsISG_E10value_typeET2_T3_PNSH_ISM_E10value_typeET4_T5_PSR_SS_PNS1_23onesweep_lookback_stateEbbT6_jjT7_P12ihipStream_tbENKUlT_T0_SG_SL_E_clIS9_SA_SB_SB_EEDaSZ_S10_SG_SL_EUlSZ_E_NS1_11comp_targetILNS1_3genE2ELNS1_11target_archE906ELNS1_3gpuE6ELNS1_3repE0EEENS1_47radix_sort_onesweep_sort_config_static_selectorELNS0_4arch9wavefront6targetE0EEEvSG_
; %bb.0:
	.section	.rodata,"a",@progbits
	.p2align	6, 0x0
	.amdhsa_kernel _ZN7rocprim17ROCPRIM_400000_NS6detail17trampoline_kernelINS0_14default_configENS1_35radix_sort_onesweep_config_selectorIbNS0_10empty_typeEEEZZNS1_29radix_sort_onesweep_iterationIS3_Lb1EPKbPbPS5_SB_mNS0_19identity_decomposerENS1_16block_id_wrapperIjLb1EEEEE10hipError_tT1_PNSt15iterator_traitsISG_E10value_typeET2_T3_PNSH_ISM_E10value_typeET4_T5_PSR_SS_PNS1_23onesweep_lookback_stateEbbT6_jjT7_P12ihipStream_tbENKUlT_T0_SG_SL_E_clIS9_SA_SB_SB_EEDaSZ_S10_SG_SL_EUlSZ_E_NS1_11comp_targetILNS1_3genE2ELNS1_11target_archE906ELNS1_3gpuE6ELNS1_3repE0EEENS1_47radix_sort_onesweep_sort_config_static_selectorELNS0_4arch9wavefront6targetE0EEEvSG_
		.amdhsa_group_segment_fixed_size 0
		.amdhsa_private_segment_fixed_size 0
		.amdhsa_kernarg_size 88
		.amdhsa_user_sgpr_count 2
		.amdhsa_user_sgpr_dispatch_ptr 0
		.amdhsa_user_sgpr_queue_ptr 0
		.amdhsa_user_sgpr_kernarg_segment_ptr 1
		.amdhsa_user_sgpr_dispatch_id 0
		.amdhsa_user_sgpr_kernarg_preload_length 0
		.amdhsa_user_sgpr_kernarg_preload_offset 0
		.amdhsa_user_sgpr_private_segment_size 0
		.amdhsa_wavefront_size32 1
		.amdhsa_uses_dynamic_stack 0
		.amdhsa_enable_private_segment 0
		.amdhsa_system_sgpr_workgroup_id_x 1
		.amdhsa_system_sgpr_workgroup_id_y 0
		.amdhsa_system_sgpr_workgroup_id_z 0
		.amdhsa_system_sgpr_workgroup_info 0
		.amdhsa_system_vgpr_workitem_id 0
		.amdhsa_next_free_vgpr 1
		.amdhsa_next_free_sgpr 1
		.amdhsa_named_barrier_count 0
		.amdhsa_reserve_vcc 0
		.amdhsa_float_round_mode_32 0
		.amdhsa_float_round_mode_16_64 0
		.amdhsa_float_denorm_mode_32 3
		.amdhsa_float_denorm_mode_16_64 3
		.amdhsa_fp16_overflow 0
		.amdhsa_memory_ordered 1
		.amdhsa_forward_progress 1
		.amdhsa_inst_pref_size 0
		.amdhsa_round_robin_scheduling 0
		.amdhsa_exception_fp_ieee_invalid_op 0
		.amdhsa_exception_fp_denorm_src 0
		.amdhsa_exception_fp_ieee_div_zero 0
		.amdhsa_exception_fp_ieee_overflow 0
		.amdhsa_exception_fp_ieee_underflow 0
		.amdhsa_exception_fp_ieee_inexact 0
		.amdhsa_exception_int_div_zero 0
	.end_amdhsa_kernel
	.section	.text._ZN7rocprim17ROCPRIM_400000_NS6detail17trampoline_kernelINS0_14default_configENS1_35radix_sort_onesweep_config_selectorIbNS0_10empty_typeEEEZZNS1_29radix_sort_onesweep_iterationIS3_Lb1EPKbPbPS5_SB_mNS0_19identity_decomposerENS1_16block_id_wrapperIjLb1EEEEE10hipError_tT1_PNSt15iterator_traitsISG_E10value_typeET2_T3_PNSH_ISM_E10value_typeET4_T5_PSR_SS_PNS1_23onesweep_lookback_stateEbbT6_jjT7_P12ihipStream_tbENKUlT_T0_SG_SL_E_clIS9_SA_SB_SB_EEDaSZ_S10_SG_SL_EUlSZ_E_NS1_11comp_targetILNS1_3genE2ELNS1_11target_archE906ELNS1_3gpuE6ELNS1_3repE0EEENS1_47radix_sort_onesweep_sort_config_static_selectorELNS0_4arch9wavefront6targetE0EEEvSG_,"axG",@progbits,_ZN7rocprim17ROCPRIM_400000_NS6detail17trampoline_kernelINS0_14default_configENS1_35radix_sort_onesweep_config_selectorIbNS0_10empty_typeEEEZZNS1_29radix_sort_onesweep_iterationIS3_Lb1EPKbPbPS5_SB_mNS0_19identity_decomposerENS1_16block_id_wrapperIjLb1EEEEE10hipError_tT1_PNSt15iterator_traitsISG_E10value_typeET2_T3_PNSH_ISM_E10value_typeET4_T5_PSR_SS_PNS1_23onesweep_lookback_stateEbbT6_jjT7_P12ihipStream_tbENKUlT_T0_SG_SL_E_clIS9_SA_SB_SB_EEDaSZ_S10_SG_SL_EUlSZ_E_NS1_11comp_targetILNS1_3genE2ELNS1_11target_archE906ELNS1_3gpuE6ELNS1_3repE0EEENS1_47radix_sort_onesweep_sort_config_static_selectorELNS0_4arch9wavefront6targetE0EEEvSG_,comdat
.Lfunc_end1744:
	.size	_ZN7rocprim17ROCPRIM_400000_NS6detail17trampoline_kernelINS0_14default_configENS1_35radix_sort_onesweep_config_selectorIbNS0_10empty_typeEEEZZNS1_29radix_sort_onesweep_iterationIS3_Lb1EPKbPbPS5_SB_mNS0_19identity_decomposerENS1_16block_id_wrapperIjLb1EEEEE10hipError_tT1_PNSt15iterator_traitsISG_E10value_typeET2_T3_PNSH_ISM_E10value_typeET4_T5_PSR_SS_PNS1_23onesweep_lookback_stateEbbT6_jjT7_P12ihipStream_tbENKUlT_T0_SG_SL_E_clIS9_SA_SB_SB_EEDaSZ_S10_SG_SL_EUlSZ_E_NS1_11comp_targetILNS1_3genE2ELNS1_11target_archE906ELNS1_3gpuE6ELNS1_3repE0EEENS1_47radix_sort_onesweep_sort_config_static_selectorELNS0_4arch9wavefront6targetE0EEEvSG_, .Lfunc_end1744-_ZN7rocprim17ROCPRIM_400000_NS6detail17trampoline_kernelINS0_14default_configENS1_35radix_sort_onesweep_config_selectorIbNS0_10empty_typeEEEZZNS1_29radix_sort_onesweep_iterationIS3_Lb1EPKbPbPS5_SB_mNS0_19identity_decomposerENS1_16block_id_wrapperIjLb1EEEEE10hipError_tT1_PNSt15iterator_traitsISG_E10value_typeET2_T3_PNSH_ISM_E10value_typeET4_T5_PSR_SS_PNS1_23onesweep_lookback_stateEbbT6_jjT7_P12ihipStream_tbENKUlT_T0_SG_SL_E_clIS9_SA_SB_SB_EEDaSZ_S10_SG_SL_EUlSZ_E_NS1_11comp_targetILNS1_3genE2ELNS1_11target_archE906ELNS1_3gpuE6ELNS1_3repE0EEENS1_47radix_sort_onesweep_sort_config_static_selectorELNS0_4arch9wavefront6targetE0EEEvSG_
                                        ; -- End function
	.set _ZN7rocprim17ROCPRIM_400000_NS6detail17trampoline_kernelINS0_14default_configENS1_35radix_sort_onesweep_config_selectorIbNS0_10empty_typeEEEZZNS1_29radix_sort_onesweep_iterationIS3_Lb1EPKbPbPS5_SB_mNS0_19identity_decomposerENS1_16block_id_wrapperIjLb1EEEEE10hipError_tT1_PNSt15iterator_traitsISG_E10value_typeET2_T3_PNSH_ISM_E10value_typeET4_T5_PSR_SS_PNS1_23onesweep_lookback_stateEbbT6_jjT7_P12ihipStream_tbENKUlT_T0_SG_SL_E_clIS9_SA_SB_SB_EEDaSZ_S10_SG_SL_EUlSZ_E_NS1_11comp_targetILNS1_3genE2ELNS1_11target_archE906ELNS1_3gpuE6ELNS1_3repE0EEENS1_47radix_sort_onesweep_sort_config_static_selectorELNS0_4arch9wavefront6targetE0EEEvSG_.num_vgpr, 0
	.set _ZN7rocprim17ROCPRIM_400000_NS6detail17trampoline_kernelINS0_14default_configENS1_35radix_sort_onesweep_config_selectorIbNS0_10empty_typeEEEZZNS1_29radix_sort_onesweep_iterationIS3_Lb1EPKbPbPS5_SB_mNS0_19identity_decomposerENS1_16block_id_wrapperIjLb1EEEEE10hipError_tT1_PNSt15iterator_traitsISG_E10value_typeET2_T3_PNSH_ISM_E10value_typeET4_T5_PSR_SS_PNS1_23onesweep_lookback_stateEbbT6_jjT7_P12ihipStream_tbENKUlT_T0_SG_SL_E_clIS9_SA_SB_SB_EEDaSZ_S10_SG_SL_EUlSZ_E_NS1_11comp_targetILNS1_3genE2ELNS1_11target_archE906ELNS1_3gpuE6ELNS1_3repE0EEENS1_47radix_sort_onesweep_sort_config_static_selectorELNS0_4arch9wavefront6targetE0EEEvSG_.num_agpr, 0
	.set _ZN7rocprim17ROCPRIM_400000_NS6detail17trampoline_kernelINS0_14default_configENS1_35radix_sort_onesweep_config_selectorIbNS0_10empty_typeEEEZZNS1_29radix_sort_onesweep_iterationIS3_Lb1EPKbPbPS5_SB_mNS0_19identity_decomposerENS1_16block_id_wrapperIjLb1EEEEE10hipError_tT1_PNSt15iterator_traitsISG_E10value_typeET2_T3_PNSH_ISM_E10value_typeET4_T5_PSR_SS_PNS1_23onesweep_lookback_stateEbbT6_jjT7_P12ihipStream_tbENKUlT_T0_SG_SL_E_clIS9_SA_SB_SB_EEDaSZ_S10_SG_SL_EUlSZ_E_NS1_11comp_targetILNS1_3genE2ELNS1_11target_archE906ELNS1_3gpuE6ELNS1_3repE0EEENS1_47radix_sort_onesweep_sort_config_static_selectorELNS0_4arch9wavefront6targetE0EEEvSG_.numbered_sgpr, 0
	.set _ZN7rocprim17ROCPRIM_400000_NS6detail17trampoline_kernelINS0_14default_configENS1_35radix_sort_onesweep_config_selectorIbNS0_10empty_typeEEEZZNS1_29radix_sort_onesweep_iterationIS3_Lb1EPKbPbPS5_SB_mNS0_19identity_decomposerENS1_16block_id_wrapperIjLb1EEEEE10hipError_tT1_PNSt15iterator_traitsISG_E10value_typeET2_T3_PNSH_ISM_E10value_typeET4_T5_PSR_SS_PNS1_23onesweep_lookback_stateEbbT6_jjT7_P12ihipStream_tbENKUlT_T0_SG_SL_E_clIS9_SA_SB_SB_EEDaSZ_S10_SG_SL_EUlSZ_E_NS1_11comp_targetILNS1_3genE2ELNS1_11target_archE906ELNS1_3gpuE6ELNS1_3repE0EEENS1_47radix_sort_onesweep_sort_config_static_selectorELNS0_4arch9wavefront6targetE0EEEvSG_.num_named_barrier, 0
	.set _ZN7rocprim17ROCPRIM_400000_NS6detail17trampoline_kernelINS0_14default_configENS1_35radix_sort_onesweep_config_selectorIbNS0_10empty_typeEEEZZNS1_29radix_sort_onesweep_iterationIS3_Lb1EPKbPbPS5_SB_mNS0_19identity_decomposerENS1_16block_id_wrapperIjLb1EEEEE10hipError_tT1_PNSt15iterator_traitsISG_E10value_typeET2_T3_PNSH_ISM_E10value_typeET4_T5_PSR_SS_PNS1_23onesweep_lookback_stateEbbT6_jjT7_P12ihipStream_tbENKUlT_T0_SG_SL_E_clIS9_SA_SB_SB_EEDaSZ_S10_SG_SL_EUlSZ_E_NS1_11comp_targetILNS1_3genE2ELNS1_11target_archE906ELNS1_3gpuE6ELNS1_3repE0EEENS1_47radix_sort_onesweep_sort_config_static_selectorELNS0_4arch9wavefront6targetE0EEEvSG_.private_seg_size, 0
	.set _ZN7rocprim17ROCPRIM_400000_NS6detail17trampoline_kernelINS0_14default_configENS1_35radix_sort_onesweep_config_selectorIbNS0_10empty_typeEEEZZNS1_29radix_sort_onesweep_iterationIS3_Lb1EPKbPbPS5_SB_mNS0_19identity_decomposerENS1_16block_id_wrapperIjLb1EEEEE10hipError_tT1_PNSt15iterator_traitsISG_E10value_typeET2_T3_PNSH_ISM_E10value_typeET4_T5_PSR_SS_PNS1_23onesweep_lookback_stateEbbT6_jjT7_P12ihipStream_tbENKUlT_T0_SG_SL_E_clIS9_SA_SB_SB_EEDaSZ_S10_SG_SL_EUlSZ_E_NS1_11comp_targetILNS1_3genE2ELNS1_11target_archE906ELNS1_3gpuE6ELNS1_3repE0EEENS1_47radix_sort_onesweep_sort_config_static_selectorELNS0_4arch9wavefront6targetE0EEEvSG_.uses_vcc, 0
	.set _ZN7rocprim17ROCPRIM_400000_NS6detail17trampoline_kernelINS0_14default_configENS1_35radix_sort_onesweep_config_selectorIbNS0_10empty_typeEEEZZNS1_29radix_sort_onesweep_iterationIS3_Lb1EPKbPbPS5_SB_mNS0_19identity_decomposerENS1_16block_id_wrapperIjLb1EEEEE10hipError_tT1_PNSt15iterator_traitsISG_E10value_typeET2_T3_PNSH_ISM_E10value_typeET4_T5_PSR_SS_PNS1_23onesweep_lookback_stateEbbT6_jjT7_P12ihipStream_tbENKUlT_T0_SG_SL_E_clIS9_SA_SB_SB_EEDaSZ_S10_SG_SL_EUlSZ_E_NS1_11comp_targetILNS1_3genE2ELNS1_11target_archE906ELNS1_3gpuE6ELNS1_3repE0EEENS1_47radix_sort_onesweep_sort_config_static_selectorELNS0_4arch9wavefront6targetE0EEEvSG_.uses_flat_scratch, 0
	.set _ZN7rocprim17ROCPRIM_400000_NS6detail17trampoline_kernelINS0_14default_configENS1_35radix_sort_onesweep_config_selectorIbNS0_10empty_typeEEEZZNS1_29radix_sort_onesweep_iterationIS3_Lb1EPKbPbPS5_SB_mNS0_19identity_decomposerENS1_16block_id_wrapperIjLb1EEEEE10hipError_tT1_PNSt15iterator_traitsISG_E10value_typeET2_T3_PNSH_ISM_E10value_typeET4_T5_PSR_SS_PNS1_23onesweep_lookback_stateEbbT6_jjT7_P12ihipStream_tbENKUlT_T0_SG_SL_E_clIS9_SA_SB_SB_EEDaSZ_S10_SG_SL_EUlSZ_E_NS1_11comp_targetILNS1_3genE2ELNS1_11target_archE906ELNS1_3gpuE6ELNS1_3repE0EEENS1_47radix_sort_onesweep_sort_config_static_selectorELNS0_4arch9wavefront6targetE0EEEvSG_.has_dyn_sized_stack, 0
	.set _ZN7rocprim17ROCPRIM_400000_NS6detail17trampoline_kernelINS0_14default_configENS1_35radix_sort_onesweep_config_selectorIbNS0_10empty_typeEEEZZNS1_29radix_sort_onesweep_iterationIS3_Lb1EPKbPbPS5_SB_mNS0_19identity_decomposerENS1_16block_id_wrapperIjLb1EEEEE10hipError_tT1_PNSt15iterator_traitsISG_E10value_typeET2_T3_PNSH_ISM_E10value_typeET4_T5_PSR_SS_PNS1_23onesweep_lookback_stateEbbT6_jjT7_P12ihipStream_tbENKUlT_T0_SG_SL_E_clIS9_SA_SB_SB_EEDaSZ_S10_SG_SL_EUlSZ_E_NS1_11comp_targetILNS1_3genE2ELNS1_11target_archE906ELNS1_3gpuE6ELNS1_3repE0EEENS1_47radix_sort_onesweep_sort_config_static_selectorELNS0_4arch9wavefront6targetE0EEEvSG_.has_recursion, 0
	.set _ZN7rocprim17ROCPRIM_400000_NS6detail17trampoline_kernelINS0_14default_configENS1_35radix_sort_onesweep_config_selectorIbNS0_10empty_typeEEEZZNS1_29radix_sort_onesweep_iterationIS3_Lb1EPKbPbPS5_SB_mNS0_19identity_decomposerENS1_16block_id_wrapperIjLb1EEEEE10hipError_tT1_PNSt15iterator_traitsISG_E10value_typeET2_T3_PNSH_ISM_E10value_typeET4_T5_PSR_SS_PNS1_23onesweep_lookback_stateEbbT6_jjT7_P12ihipStream_tbENKUlT_T0_SG_SL_E_clIS9_SA_SB_SB_EEDaSZ_S10_SG_SL_EUlSZ_E_NS1_11comp_targetILNS1_3genE2ELNS1_11target_archE906ELNS1_3gpuE6ELNS1_3repE0EEENS1_47radix_sort_onesweep_sort_config_static_selectorELNS0_4arch9wavefront6targetE0EEEvSG_.has_indirect_call, 0
	.section	.AMDGPU.csdata,"",@progbits
; Kernel info:
; codeLenInByte = 0
; TotalNumSgprs: 0
; NumVgprs: 0
; ScratchSize: 0
; MemoryBound: 0
; FloatMode: 240
; IeeeMode: 1
; LDSByteSize: 0 bytes/workgroup (compile time only)
; SGPRBlocks: 0
; VGPRBlocks: 0
; NumSGPRsForWavesPerEU: 1
; NumVGPRsForWavesPerEU: 1
; NamedBarCnt: 0
; Occupancy: 16
; WaveLimiterHint : 0
; COMPUTE_PGM_RSRC2:SCRATCH_EN: 0
; COMPUTE_PGM_RSRC2:USER_SGPR: 2
; COMPUTE_PGM_RSRC2:TRAP_HANDLER: 0
; COMPUTE_PGM_RSRC2:TGID_X_EN: 1
; COMPUTE_PGM_RSRC2:TGID_Y_EN: 0
; COMPUTE_PGM_RSRC2:TGID_Z_EN: 0
; COMPUTE_PGM_RSRC2:TIDIG_COMP_CNT: 0
	.section	.text._ZN7rocprim17ROCPRIM_400000_NS6detail17trampoline_kernelINS0_14default_configENS1_35radix_sort_onesweep_config_selectorIbNS0_10empty_typeEEEZZNS1_29radix_sort_onesweep_iterationIS3_Lb1EPKbPbPS5_SB_mNS0_19identity_decomposerENS1_16block_id_wrapperIjLb1EEEEE10hipError_tT1_PNSt15iterator_traitsISG_E10value_typeET2_T3_PNSH_ISM_E10value_typeET4_T5_PSR_SS_PNS1_23onesweep_lookback_stateEbbT6_jjT7_P12ihipStream_tbENKUlT_T0_SG_SL_E_clIS9_SA_SB_SB_EEDaSZ_S10_SG_SL_EUlSZ_E_NS1_11comp_targetILNS1_3genE4ELNS1_11target_archE910ELNS1_3gpuE8ELNS1_3repE0EEENS1_47radix_sort_onesweep_sort_config_static_selectorELNS0_4arch9wavefront6targetE0EEEvSG_,"axG",@progbits,_ZN7rocprim17ROCPRIM_400000_NS6detail17trampoline_kernelINS0_14default_configENS1_35radix_sort_onesweep_config_selectorIbNS0_10empty_typeEEEZZNS1_29radix_sort_onesweep_iterationIS3_Lb1EPKbPbPS5_SB_mNS0_19identity_decomposerENS1_16block_id_wrapperIjLb1EEEEE10hipError_tT1_PNSt15iterator_traitsISG_E10value_typeET2_T3_PNSH_ISM_E10value_typeET4_T5_PSR_SS_PNS1_23onesweep_lookback_stateEbbT6_jjT7_P12ihipStream_tbENKUlT_T0_SG_SL_E_clIS9_SA_SB_SB_EEDaSZ_S10_SG_SL_EUlSZ_E_NS1_11comp_targetILNS1_3genE4ELNS1_11target_archE910ELNS1_3gpuE8ELNS1_3repE0EEENS1_47radix_sort_onesweep_sort_config_static_selectorELNS0_4arch9wavefront6targetE0EEEvSG_,comdat
	.protected	_ZN7rocprim17ROCPRIM_400000_NS6detail17trampoline_kernelINS0_14default_configENS1_35radix_sort_onesweep_config_selectorIbNS0_10empty_typeEEEZZNS1_29radix_sort_onesweep_iterationIS3_Lb1EPKbPbPS5_SB_mNS0_19identity_decomposerENS1_16block_id_wrapperIjLb1EEEEE10hipError_tT1_PNSt15iterator_traitsISG_E10value_typeET2_T3_PNSH_ISM_E10value_typeET4_T5_PSR_SS_PNS1_23onesweep_lookback_stateEbbT6_jjT7_P12ihipStream_tbENKUlT_T0_SG_SL_E_clIS9_SA_SB_SB_EEDaSZ_S10_SG_SL_EUlSZ_E_NS1_11comp_targetILNS1_3genE4ELNS1_11target_archE910ELNS1_3gpuE8ELNS1_3repE0EEENS1_47radix_sort_onesweep_sort_config_static_selectorELNS0_4arch9wavefront6targetE0EEEvSG_ ; -- Begin function _ZN7rocprim17ROCPRIM_400000_NS6detail17trampoline_kernelINS0_14default_configENS1_35radix_sort_onesweep_config_selectorIbNS0_10empty_typeEEEZZNS1_29radix_sort_onesweep_iterationIS3_Lb1EPKbPbPS5_SB_mNS0_19identity_decomposerENS1_16block_id_wrapperIjLb1EEEEE10hipError_tT1_PNSt15iterator_traitsISG_E10value_typeET2_T3_PNSH_ISM_E10value_typeET4_T5_PSR_SS_PNS1_23onesweep_lookback_stateEbbT6_jjT7_P12ihipStream_tbENKUlT_T0_SG_SL_E_clIS9_SA_SB_SB_EEDaSZ_S10_SG_SL_EUlSZ_E_NS1_11comp_targetILNS1_3genE4ELNS1_11target_archE910ELNS1_3gpuE8ELNS1_3repE0EEENS1_47radix_sort_onesweep_sort_config_static_selectorELNS0_4arch9wavefront6targetE0EEEvSG_
	.globl	_ZN7rocprim17ROCPRIM_400000_NS6detail17trampoline_kernelINS0_14default_configENS1_35radix_sort_onesweep_config_selectorIbNS0_10empty_typeEEEZZNS1_29radix_sort_onesweep_iterationIS3_Lb1EPKbPbPS5_SB_mNS0_19identity_decomposerENS1_16block_id_wrapperIjLb1EEEEE10hipError_tT1_PNSt15iterator_traitsISG_E10value_typeET2_T3_PNSH_ISM_E10value_typeET4_T5_PSR_SS_PNS1_23onesweep_lookback_stateEbbT6_jjT7_P12ihipStream_tbENKUlT_T0_SG_SL_E_clIS9_SA_SB_SB_EEDaSZ_S10_SG_SL_EUlSZ_E_NS1_11comp_targetILNS1_3genE4ELNS1_11target_archE910ELNS1_3gpuE8ELNS1_3repE0EEENS1_47radix_sort_onesweep_sort_config_static_selectorELNS0_4arch9wavefront6targetE0EEEvSG_
	.p2align	8
	.type	_ZN7rocprim17ROCPRIM_400000_NS6detail17trampoline_kernelINS0_14default_configENS1_35radix_sort_onesweep_config_selectorIbNS0_10empty_typeEEEZZNS1_29radix_sort_onesweep_iterationIS3_Lb1EPKbPbPS5_SB_mNS0_19identity_decomposerENS1_16block_id_wrapperIjLb1EEEEE10hipError_tT1_PNSt15iterator_traitsISG_E10value_typeET2_T3_PNSH_ISM_E10value_typeET4_T5_PSR_SS_PNS1_23onesweep_lookback_stateEbbT6_jjT7_P12ihipStream_tbENKUlT_T0_SG_SL_E_clIS9_SA_SB_SB_EEDaSZ_S10_SG_SL_EUlSZ_E_NS1_11comp_targetILNS1_3genE4ELNS1_11target_archE910ELNS1_3gpuE8ELNS1_3repE0EEENS1_47radix_sort_onesweep_sort_config_static_selectorELNS0_4arch9wavefront6targetE0EEEvSG_,@function
_ZN7rocprim17ROCPRIM_400000_NS6detail17trampoline_kernelINS0_14default_configENS1_35radix_sort_onesweep_config_selectorIbNS0_10empty_typeEEEZZNS1_29radix_sort_onesweep_iterationIS3_Lb1EPKbPbPS5_SB_mNS0_19identity_decomposerENS1_16block_id_wrapperIjLb1EEEEE10hipError_tT1_PNSt15iterator_traitsISG_E10value_typeET2_T3_PNSH_ISM_E10value_typeET4_T5_PSR_SS_PNS1_23onesweep_lookback_stateEbbT6_jjT7_P12ihipStream_tbENKUlT_T0_SG_SL_E_clIS9_SA_SB_SB_EEDaSZ_S10_SG_SL_EUlSZ_E_NS1_11comp_targetILNS1_3genE4ELNS1_11target_archE910ELNS1_3gpuE8ELNS1_3repE0EEENS1_47radix_sort_onesweep_sort_config_static_selectorELNS0_4arch9wavefront6targetE0EEEvSG_: ; @_ZN7rocprim17ROCPRIM_400000_NS6detail17trampoline_kernelINS0_14default_configENS1_35radix_sort_onesweep_config_selectorIbNS0_10empty_typeEEEZZNS1_29radix_sort_onesweep_iterationIS3_Lb1EPKbPbPS5_SB_mNS0_19identity_decomposerENS1_16block_id_wrapperIjLb1EEEEE10hipError_tT1_PNSt15iterator_traitsISG_E10value_typeET2_T3_PNSH_ISM_E10value_typeET4_T5_PSR_SS_PNS1_23onesweep_lookback_stateEbbT6_jjT7_P12ihipStream_tbENKUlT_T0_SG_SL_E_clIS9_SA_SB_SB_EEDaSZ_S10_SG_SL_EUlSZ_E_NS1_11comp_targetILNS1_3genE4ELNS1_11target_archE910ELNS1_3gpuE8ELNS1_3repE0EEENS1_47radix_sort_onesweep_sort_config_static_selectorELNS0_4arch9wavefront6targetE0EEEvSG_
; %bb.0:
	.section	.rodata,"a",@progbits
	.p2align	6, 0x0
	.amdhsa_kernel _ZN7rocprim17ROCPRIM_400000_NS6detail17trampoline_kernelINS0_14default_configENS1_35radix_sort_onesweep_config_selectorIbNS0_10empty_typeEEEZZNS1_29radix_sort_onesweep_iterationIS3_Lb1EPKbPbPS5_SB_mNS0_19identity_decomposerENS1_16block_id_wrapperIjLb1EEEEE10hipError_tT1_PNSt15iterator_traitsISG_E10value_typeET2_T3_PNSH_ISM_E10value_typeET4_T5_PSR_SS_PNS1_23onesweep_lookback_stateEbbT6_jjT7_P12ihipStream_tbENKUlT_T0_SG_SL_E_clIS9_SA_SB_SB_EEDaSZ_S10_SG_SL_EUlSZ_E_NS1_11comp_targetILNS1_3genE4ELNS1_11target_archE910ELNS1_3gpuE8ELNS1_3repE0EEENS1_47radix_sort_onesweep_sort_config_static_selectorELNS0_4arch9wavefront6targetE0EEEvSG_
		.amdhsa_group_segment_fixed_size 0
		.amdhsa_private_segment_fixed_size 0
		.amdhsa_kernarg_size 88
		.amdhsa_user_sgpr_count 2
		.amdhsa_user_sgpr_dispatch_ptr 0
		.amdhsa_user_sgpr_queue_ptr 0
		.amdhsa_user_sgpr_kernarg_segment_ptr 1
		.amdhsa_user_sgpr_dispatch_id 0
		.amdhsa_user_sgpr_kernarg_preload_length 0
		.amdhsa_user_sgpr_kernarg_preload_offset 0
		.amdhsa_user_sgpr_private_segment_size 0
		.amdhsa_wavefront_size32 1
		.amdhsa_uses_dynamic_stack 0
		.amdhsa_enable_private_segment 0
		.amdhsa_system_sgpr_workgroup_id_x 1
		.amdhsa_system_sgpr_workgroup_id_y 0
		.amdhsa_system_sgpr_workgroup_id_z 0
		.amdhsa_system_sgpr_workgroup_info 0
		.amdhsa_system_vgpr_workitem_id 0
		.amdhsa_next_free_vgpr 1
		.amdhsa_next_free_sgpr 1
		.amdhsa_named_barrier_count 0
		.amdhsa_reserve_vcc 0
		.amdhsa_float_round_mode_32 0
		.amdhsa_float_round_mode_16_64 0
		.amdhsa_float_denorm_mode_32 3
		.amdhsa_float_denorm_mode_16_64 3
		.amdhsa_fp16_overflow 0
		.amdhsa_memory_ordered 1
		.amdhsa_forward_progress 1
		.amdhsa_inst_pref_size 0
		.amdhsa_round_robin_scheduling 0
		.amdhsa_exception_fp_ieee_invalid_op 0
		.amdhsa_exception_fp_denorm_src 0
		.amdhsa_exception_fp_ieee_div_zero 0
		.amdhsa_exception_fp_ieee_overflow 0
		.amdhsa_exception_fp_ieee_underflow 0
		.amdhsa_exception_fp_ieee_inexact 0
		.amdhsa_exception_int_div_zero 0
	.end_amdhsa_kernel
	.section	.text._ZN7rocprim17ROCPRIM_400000_NS6detail17trampoline_kernelINS0_14default_configENS1_35radix_sort_onesweep_config_selectorIbNS0_10empty_typeEEEZZNS1_29radix_sort_onesweep_iterationIS3_Lb1EPKbPbPS5_SB_mNS0_19identity_decomposerENS1_16block_id_wrapperIjLb1EEEEE10hipError_tT1_PNSt15iterator_traitsISG_E10value_typeET2_T3_PNSH_ISM_E10value_typeET4_T5_PSR_SS_PNS1_23onesweep_lookback_stateEbbT6_jjT7_P12ihipStream_tbENKUlT_T0_SG_SL_E_clIS9_SA_SB_SB_EEDaSZ_S10_SG_SL_EUlSZ_E_NS1_11comp_targetILNS1_3genE4ELNS1_11target_archE910ELNS1_3gpuE8ELNS1_3repE0EEENS1_47radix_sort_onesweep_sort_config_static_selectorELNS0_4arch9wavefront6targetE0EEEvSG_,"axG",@progbits,_ZN7rocprim17ROCPRIM_400000_NS6detail17trampoline_kernelINS0_14default_configENS1_35radix_sort_onesweep_config_selectorIbNS0_10empty_typeEEEZZNS1_29radix_sort_onesweep_iterationIS3_Lb1EPKbPbPS5_SB_mNS0_19identity_decomposerENS1_16block_id_wrapperIjLb1EEEEE10hipError_tT1_PNSt15iterator_traitsISG_E10value_typeET2_T3_PNSH_ISM_E10value_typeET4_T5_PSR_SS_PNS1_23onesweep_lookback_stateEbbT6_jjT7_P12ihipStream_tbENKUlT_T0_SG_SL_E_clIS9_SA_SB_SB_EEDaSZ_S10_SG_SL_EUlSZ_E_NS1_11comp_targetILNS1_3genE4ELNS1_11target_archE910ELNS1_3gpuE8ELNS1_3repE0EEENS1_47radix_sort_onesweep_sort_config_static_selectorELNS0_4arch9wavefront6targetE0EEEvSG_,comdat
.Lfunc_end1745:
	.size	_ZN7rocprim17ROCPRIM_400000_NS6detail17trampoline_kernelINS0_14default_configENS1_35radix_sort_onesweep_config_selectorIbNS0_10empty_typeEEEZZNS1_29radix_sort_onesweep_iterationIS3_Lb1EPKbPbPS5_SB_mNS0_19identity_decomposerENS1_16block_id_wrapperIjLb1EEEEE10hipError_tT1_PNSt15iterator_traitsISG_E10value_typeET2_T3_PNSH_ISM_E10value_typeET4_T5_PSR_SS_PNS1_23onesweep_lookback_stateEbbT6_jjT7_P12ihipStream_tbENKUlT_T0_SG_SL_E_clIS9_SA_SB_SB_EEDaSZ_S10_SG_SL_EUlSZ_E_NS1_11comp_targetILNS1_3genE4ELNS1_11target_archE910ELNS1_3gpuE8ELNS1_3repE0EEENS1_47radix_sort_onesweep_sort_config_static_selectorELNS0_4arch9wavefront6targetE0EEEvSG_, .Lfunc_end1745-_ZN7rocprim17ROCPRIM_400000_NS6detail17trampoline_kernelINS0_14default_configENS1_35radix_sort_onesweep_config_selectorIbNS0_10empty_typeEEEZZNS1_29radix_sort_onesweep_iterationIS3_Lb1EPKbPbPS5_SB_mNS0_19identity_decomposerENS1_16block_id_wrapperIjLb1EEEEE10hipError_tT1_PNSt15iterator_traitsISG_E10value_typeET2_T3_PNSH_ISM_E10value_typeET4_T5_PSR_SS_PNS1_23onesweep_lookback_stateEbbT6_jjT7_P12ihipStream_tbENKUlT_T0_SG_SL_E_clIS9_SA_SB_SB_EEDaSZ_S10_SG_SL_EUlSZ_E_NS1_11comp_targetILNS1_3genE4ELNS1_11target_archE910ELNS1_3gpuE8ELNS1_3repE0EEENS1_47radix_sort_onesweep_sort_config_static_selectorELNS0_4arch9wavefront6targetE0EEEvSG_
                                        ; -- End function
	.set _ZN7rocprim17ROCPRIM_400000_NS6detail17trampoline_kernelINS0_14default_configENS1_35radix_sort_onesweep_config_selectorIbNS0_10empty_typeEEEZZNS1_29radix_sort_onesweep_iterationIS3_Lb1EPKbPbPS5_SB_mNS0_19identity_decomposerENS1_16block_id_wrapperIjLb1EEEEE10hipError_tT1_PNSt15iterator_traitsISG_E10value_typeET2_T3_PNSH_ISM_E10value_typeET4_T5_PSR_SS_PNS1_23onesweep_lookback_stateEbbT6_jjT7_P12ihipStream_tbENKUlT_T0_SG_SL_E_clIS9_SA_SB_SB_EEDaSZ_S10_SG_SL_EUlSZ_E_NS1_11comp_targetILNS1_3genE4ELNS1_11target_archE910ELNS1_3gpuE8ELNS1_3repE0EEENS1_47radix_sort_onesweep_sort_config_static_selectorELNS0_4arch9wavefront6targetE0EEEvSG_.num_vgpr, 0
	.set _ZN7rocprim17ROCPRIM_400000_NS6detail17trampoline_kernelINS0_14default_configENS1_35radix_sort_onesweep_config_selectorIbNS0_10empty_typeEEEZZNS1_29radix_sort_onesweep_iterationIS3_Lb1EPKbPbPS5_SB_mNS0_19identity_decomposerENS1_16block_id_wrapperIjLb1EEEEE10hipError_tT1_PNSt15iterator_traitsISG_E10value_typeET2_T3_PNSH_ISM_E10value_typeET4_T5_PSR_SS_PNS1_23onesweep_lookback_stateEbbT6_jjT7_P12ihipStream_tbENKUlT_T0_SG_SL_E_clIS9_SA_SB_SB_EEDaSZ_S10_SG_SL_EUlSZ_E_NS1_11comp_targetILNS1_3genE4ELNS1_11target_archE910ELNS1_3gpuE8ELNS1_3repE0EEENS1_47radix_sort_onesweep_sort_config_static_selectorELNS0_4arch9wavefront6targetE0EEEvSG_.num_agpr, 0
	.set _ZN7rocprim17ROCPRIM_400000_NS6detail17trampoline_kernelINS0_14default_configENS1_35radix_sort_onesweep_config_selectorIbNS0_10empty_typeEEEZZNS1_29radix_sort_onesweep_iterationIS3_Lb1EPKbPbPS5_SB_mNS0_19identity_decomposerENS1_16block_id_wrapperIjLb1EEEEE10hipError_tT1_PNSt15iterator_traitsISG_E10value_typeET2_T3_PNSH_ISM_E10value_typeET4_T5_PSR_SS_PNS1_23onesweep_lookback_stateEbbT6_jjT7_P12ihipStream_tbENKUlT_T0_SG_SL_E_clIS9_SA_SB_SB_EEDaSZ_S10_SG_SL_EUlSZ_E_NS1_11comp_targetILNS1_3genE4ELNS1_11target_archE910ELNS1_3gpuE8ELNS1_3repE0EEENS1_47radix_sort_onesweep_sort_config_static_selectorELNS0_4arch9wavefront6targetE0EEEvSG_.numbered_sgpr, 0
	.set _ZN7rocprim17ROCPRIM_400000_NS6detail17trampoline_kernelINS0_14default_configENS1_35radix_sort_onesweep_config_selectorIbNS0_10empty_typeEEEZZNS1_29radix_sort_onesweep_iterationIS3_Lb1EPKbPbPS5_SB_mNS0_19identity_decomposerENS1_16block_id_wrapperIjLb1EEEEE10hipError_tT1_PNSt15iterator_traitsISG_E10value_typeET2_T3_PNSH_ISM_E10value_typeET4_T5_PSR_SS_PNS1_23onesweep_lookback_stateEbbT6_jjT7_P12ihipStream_tbENKUlT_T0_SG_SL_E_clIS9_SA_SB_SB_EEDaSZ_S10_SG_SL_EUlSZ_E_NS1_11comp_targetILNS1_3genE4ELNS1_11target_archE910ELNS1_3gpuE8ELNS1_3repE0EEENS1_47radix_sort_onesweep_sort_config_static_selectorELNS0_4arch9wavefront6targetE0EEEvSG_.num_named_barrier, 0
	.set _ZN7rocprim17ROCPRIM_400000_NS6detail17trampoline_kernelINS0_14default_configENS1_35radix_sort_onesweep_config_selectorIbNS0_10empty_typeEEEZZNS1_29radix_sort_onesweep_iterationIS3_Lb1EPKbPbPS5_SB_mNS0_19identity_decomposerENS1_16block_id_wrapperIjLb1EEEEE10hipError_tT1_PNSt15iterator_traitsISG_E10value_typeET2_T3_PNSH_ISM_E10value_typeET4_T5_PSR_SS_PNS1_23onesweep_lookback_stateEbbT6_jjT7_P12ihipStream_tbENKUlT_T0_SG_SL_E_clIS9_SA_SB_SB_EEDaSZ_S10_SG_SL_EUlSZ_E_NS1_11comp_targetILNS1_3genE4ELNS1_11target_archE910ELNS1_3gpuE8ELNS1_3repE0EEENS1_47radix_sort_onesweep_sort_config_static_selectorELNS0_4arch9wavefront6targetE0EEEvSG_.private_seg_size, 0
	.set _ZN7rocprim17ROCPRIM_400000_NS6detail17trampoline_kernelINS0_14default_configENS1_35radix_sort_onesweep_config_selectorIbNS0_10empty_typeEEEZZNS1_29radix_sort_onesweep_iterationIS3_Lb1EPKbPbPS5_SB_mNS0_19identity_decomposerENS1_16block_id_wrapperIjLb1EEEEE10hipError_tT1_PNSt15iterator_traitsISG_E10value_typeET2_T3_PNSH_ISM_E10value_typeET4_T5_PSR_SS_PNS1_23onesweep_lookback_stateEbbT6_jjT7_P12ihipStream_tbENKUlT_T0_SG_SL_E_clIS9_SA_SB_SB_EEDaSZ_S10_SG_SL_EUlSZ_E_NS1_11comp_targetILNS1_3genE4ELNS1_11target_archE910ELNS1_3gpuE8ELNS1_3repE0EEENS1_47radix_sort_onesweep_sort_config_static_selectorELNS0_4arch9wavefront6targetE0EEEvSG_.uses_vcc, 0
	.set _ZN7rocprim17ROCPRIM_400000_NS6detail17trampoline_kernelINS0_14default_configENS1_35radix_sort_onesweep_config_selectorIbNS0_10empty_typeEEEZZNS1_29radix_sort_onesweep_iterationIS3_Lb1EPKbPbPS5_SB_mNS0_19identity_decomposerENS1_16block_id_wrapperIjLb1EEEEE10hipError_tT1_PNSt15iterator_traitsISG_E10value_typeET2_T3_PNSH_ISM_E10value_typeET4_T5_PSR_SS_PNS1_23onesweep_lookback_stateEbbT6_jjT7_P12ihipStream_tbENKUlT_T0_SG_SL_E_clIS9_SA_SB_SB_EEDaSZ_S10_SG_SL_EUlSZ_E_NS1_11comp_targetILNS1_3genE4ELNS1_11target_archE910ELNS1_3gpuE8ELNS1_3repE0EEENS1_47radix_sort_onesweep_sort_config_static_selectorELNS0_4arch9wavefront6targetE0EEEvSG_.uses_flat_scratch, 0
	.set _ZN7rocprim17ROCPRIM_400000_NS6detail17trampoline_kernelINS0_14default_configENS1_35radix_sort_onesweep_config_selectorIbNS0_10empty_typeEEEZZNS1_29radix_sort_onesweep_iterationIS3_Lb1EPKbPbPS5_SB_mNS0_19identity_decomposerENS1_16block_id_wrapperIjLb1EEEEE10hipError_tT1_PNSt15iterator_traitsISG_E10value_typeET2_T3_PNSH_ISM_E10value_typeET4_T5_PSR_SS_PNS1_23onesweep_lookback_stateEbbT6_jjT7_P12ihipStream_tbENKUlT_T0_SG_SL_E_clIS9_SA_SB_SB_EEDaSZ_S10_SG_SL_EUlSZ_E_NS1_11comp_targetILNS1_3genE4ELNS1_11target_archE910ELNS1_3gpuE8ELNS1_3repE0EEENS1_47radix_sort_onesweep_sort_config_static_selectorELNS0_4arch9wavefront6targetE0EEEvSG_.has_dyn_sized_stack, 0
	.set _ZN7rocprim17ROCPRIM_400000_NS6detail17trampoline_kernelINS0_14default_configENS1_35radix_sort_onesweep_config_selectorIbNS0_10empty_typeEEEZZNS1_29radix_sort_onesweep_iterationIS3_Lb1EPKbPbPS5_SB_mNS0_19identity_decomposerENS1_16block_id_wrapperIjLb1EEEEE10hipError_tT1_PNSt15iterator_traitsISG_E10value_typeET2_T3_PNSH_ISM_E10value_typeET4_T5_PSR_SS_PNS1_23onesweep_lookback_stateEbbT6_jjT7_P12ihipStream_tbENKUlT_T0_SG_SL_E_clIS9_SA_SB_SB_EEDaSZ_S10_SG_SL_EUlSZ_E_NS1_11comp_targetILNS1_3genE4ELNS1_11target_archE910ELNS1_3gpuE8ELNS1_3repE0EEENS1_47radix_sort_onesweep_sort_config_static_selectorELNS0_4arch9wavefront6targetE0EEEvSG_.has_recursion, 0
	.set _ZN7rocprim17ROCPRIM_400000_NS6detail17trampoline_kernelINS0_14default_configENS1_35radix_sort_onesweep_config_selectorIbNS0_10empty_typeEEEZZNS1_29radix_sort_onesweep_iterationIS3_Lb1EPKbPbPS5_SB_mNS0_19identity_decomposerENS1_16block_id_wrapperIjLb1EEEEE10hipError_tT1_PNSt15iterator_traitsISG_E10value_typeET2_T3_PNSH_ISM_E10value_typeET4_T5_PSR_SS_PNS1_23onesweep_lookback_stateEbbT6_jjT7_P12ihipStream_tbENKUlT_T0_SG_SL_E_clIS9_SA_SB_SB_EEDaSZ_S10_SG_SL_EUlSZ_E_NS1_11comp_targetILNS1_3genE4ELNS1_11target_archE910ELNS1_3gpuE8ELNS1_3repE0EEENS1_47radix_sort_onesweep_sort_config_static_selectorELNS0_4arch9wavefront6targetE0EEEvSG_.has_indirect_call, 0
	.section	.AMDGPU.csdata,"",@progbits
; Kernel info:
; codeLenInByte = 0
; TotalNumSgprs: 0
; NumVgprs: 0
; ScratchSize: 0
; MemoryBound: 0
; FloatMode: 240
; IeeeMode: 1
; LDSByteSize: 0 bytes/workgroup (compile time only)
; SGPRBlocks: 0
; VGPRBlocks: 0
; NumSGPRsForWavesPerEU: 1
; NumVGPRsForWavesPerEU: 1
; NamedBarCnt: 0
; Occupancy: 16
; WaveLimiterHint : 0
; COMPUTE_PGM_RSRC2:SCRATCH_EN: 0
; COMPUTE_PGM_RSRC2:USER_SGPR: 2
; COMPUTE_PGM_RSRC2:TRAP_HANDLER: 0
; COMPUTE_PGM_RSRC2:TGID_X_EN: 1
; COMPUTE_PGM_RSRC2:TGID_Y_EN: 0
; COMPUTE_PGM_RSRC2:TGID_Z_EN: 0
; COMPUTE_PGM_RSRC2:TIDIG_COMP_CNT: 0
	.section	.text._ZN7rocprim17ROCPRIM_400000_NS6detail17trampoline_kernelINS0_14default_configENS1_35radix_sort_onesweep_config_selectorIbNS0_10empty_typeEEEZZNS1_29radix_sort_onesweep_iterationIS3_Lb1EPKbPbPS5_SB_mNS0_19identity_decomposerENS1_16block_id_wrapperIjLb1EEEEE10hipError_tT1_PNSt15iterator_traitsISG_E10value_typeET2_T3_PNSH_ISM_E10value_typeET4_T5_PSR_SS_PNS1_23onesweep_lookback_stateEbbT6_jjT7_P12ihipStream_tbENKUlT_T0_SG_SL_E_clIS9_SA_SB_SB_EEDaSZ_S10_SG_SL_EUlSZ_E_NS1_11comp_targetILNS1_3genE3ELNS1_11target_archE908ELNS1_3gpuE7ELNS1_3repE0EEENS1_47radix_sort_onesweep_sort_config_static_selectorELNS0_4arch9wavefront6targetE0EEEvSG_,"axG",@progbits,_ZN7rocprim17ROCPRIM_400000_NS6detail17trampoline_kernelINS0_14default_configENS1_35radix_sort_onesweep_config_selectorIbNS0_10empty_typeEEEZZNS1_29radix_sort_onesweep_iterationIS3_Lb1EPKbPbPS5_SB_mNS0_19identity_decomposerENS1_16block_id_wrapperIjLb1EEEEE10hipError_tT1_PNSt15iterator_traitsISG_E10value_typeET2_T3_PNSH_ISM_E10value_typeET4_T5_PSR_SS_PNS1_23onesweep_lookback_stateEbbT6_jjT7_P12ihipStream_tbENKUlT_T0_SG_SL_E_clIS9_SA_SB_SB_EEDaSZ_S10_SG_SL_EUlSZ_E_NS1_11comp_targetILNS1_3genE3ELNS1_11target_archE908ELNS1_3gpuE7ELNS1_3repE0EEENS1_47radix_sort_onesweep_sort_config_static_selectorELNS0_4arch9wavefront6targetE0EEEvSG_,comdat
	.protected	_ZN7rocprim17ROCPRIM_400000_NS6detail17trampoline_kernelINS0_14default_configENS1_35radix_sort_onesweep_config_selectorIbNS0_10empty_typeEEEZZNS1_29radix_sort_onesweep_iterationIS3_Lb1EPKbPbPS5_SB_mNS0_19identity_decomposerENS1_16block_id_wrapperIjLb1EEEEE10hipError_tT1_PNSt15iterator_traitsISG_E10value_typeET2_T3_PNSH_ISM_E10value_typeET4_T5_PSR_SS_PNS1_23onesweep_lookback_stateEbbT6_jjT7_P12ihipStream_tbENKUlT_T0_SG_SL_E_clIS9_SA_SB_SB_EEDaSZ_S10_SG_SL_EUlSZ_E_NS1_11comp_targetILNS1_3genE3ELNS1_11target_archE908ELNS1_3gpuE7ELNS1_3repE0EEENS1_47radix_sort_onesweep_sort_config_static_selectorELNS0_4arch9wavefront6targetE0EEEvSG_ ; -- Begin function _ZN7rocprim17ROCPRIM_400000_NS6detail17trampoline_kernelINS0_14default_configENS1_35radix_sort_onesweep_config_selectorIbNS0_10empty_typeEEEZZNS1_29radix_sort_onesweep_iterationIS3_Lb1EPKbPbPS5_SB_mNS0_19identity_decomposerENS1_16block_id_wrapperIjLb1EEEEE10hipError_tT1_PNSt15iterator_traitsISG_E10value_typeET2_T3_PNSH_ISM_E10value_typeET4_T5_PSR_SS_PNS1_23onesweep_lookback_stateEbbT6_jjT7_P12ihipStream_tbENKUlT_T0_SG_SL_E_clIS9_SA_SB_SB_EEDaSZ_S10_SG_SL_EUlSZ_E_NS1_11comp_targetILNS1_3genE3ELNS1_11target_archE908ELNS1_3gpuE7ELNS1_3repE0EEENS1_47radix_sort_onesweep_sort_config_static_selectorELNS0_4arch9wavefront6targetE0EEEvSG_
	.globl	_ZN7rocprim17ROCPRIM_400000_NS6detail17trampoline_kernelINS0_14default_configENS1_35radix_sort_onesweep_config_selectorIbNS0_10empty_typeEEEZZNS1_29radix_sort_onesweep_iterationIS3_Lb1EPKbPbPS5_SB_mNS0_19identity_decomposerENS1_16block_id_wrapperIjLb1EEEEE10hipError_tT1_PNSt15iterator_traitsISG_E10value_typeET2_T3_PNSH_ISM_E10value_typeET4_T5_PSR_SS_PNS1_23onesweep_lookback_stateEbbT6_jjT7_P12ihipStream_tbENKUlT_T0_SG_SL_E_clIS9_SA_SB_SB_EEDaSZ_S10_SG_SL_EUlSZ_E_NS1_11comp_targetILNS1_3genE3ELNS1_11target_archE908ELNS1_3gpuE7ELNS1_3repE0EEENS1_47radix_sort_onesweep_sort_config_static_selectorELNS0_4arch9wavefront6targetE0EEEvSG_
	.p2align	8
	.type	_ZN7rocprim17ROCPRIM_400000_NS6detail17trampoline_kernelINS0_14default_configENS1_35radix_sort_onesweep_config_selectorIbNS0_10empty_typeEEEZZNS1_29radix_sort_onesweep_iterationIS3_Lb1EPKbPbPS5_SB_mNS0_19identity_decomposerENS1_16block_id_wrapperIjLb1EEEEE10hipError_tT1_PNSt15iterator_traitsISG_E10value_typeET2_T3_PNSH_ISM_E10value_typeET4_T5_PSR_SS_PNS1_23onesweep_lookback_stateEbbT6_jjT7_P12ihipStream_tbENKUlT_T0_SG_SL_E_clIS9_SA_SB_SB_EEDaSZ_S10_SG_SL_EUlSZ_E_NS1_11comp_targetILNS1_3genE3ELNS1_11target_archE908ELNS1_3gpuE7ELNS1_3repE0EEENS1_47radix_sort_onesweep_sort_config_static_selectorELNS0_4arch9wavefront6targetE0EEEvSG_,@function
_ZN7rocprim17ROCPRIM_400000_NS6detail17trampoline_kernelINS0_14default_configENS1_35radix_sort_onesweep_config_selectorIbNS0_10empty_typeEEEZZNS1_29radix_sort_onesweep_iterationIS3_Lb1EPKbPbPS5_SB_mNS0_19identity_decomposerENS1_16block_id_wrapperIjLb1EEEEE10hipError_tT1_PNSt15iterator_traitsISG_E10value_typeET2_T3_PNSH_ISM_E10value_typeET4_T5_PSR_SS_PNS1_23onesweep_lookback_stateEbbT6_jjT7_P12ihipStream_tbENKUlT_T0_SG_SL_E_clIS9_SA_SB_SB_EEDaSZ_S10_SG_SL_EUlSZ_E_NS1_11comp_targetILNS1_3genE3ELNS1_11target_archE908ELNS1_3gpuE7ELNS1_3repE0EEENS1_47radix_sort_onesweep_sort_config_static_selectorELNS0_4arch9wavefront6targetE0EEEvSG_: ; @_ZN7rocprim17ROCPRIM_400000_NS6detail17trampoline_kernelINS0_14default_configENS1_35radix_sort_onesweep_config_selectorIbNS0_10empty_typeEEEZZNS1_29radix_sort_onesweep_iterationIS3_Lb1EPKbPbPS5_SB_mNS0_19identity_decomposerENS1_16block_id_wrapperIjLb1EEEEE10hipError_tT1_PNSt15iterator_traitsISG_E10value_typeET2_T3_PNSH_ISM_E10value_typeET4_T5_PSR_SS_PNS1_23onesweep_lookback_stateEbbT6_jjT7_P12ihipStream_tbENKUlT_T0_SG_SL_E_clIS9_SA_SB_SB_EEDaSZ_S10_SG_SL_EUlSZ_E_NS1_11comp_targetILNS1_3genE3ELNS1_11target_archE908ELNS1_3gpuE7ELNS1_3repE0EEENS1_47radix_sort_onesweep_sort_config_static_selectorELNS0_4arch9wavefront6targetE0EEEvSG_
; %bb.0:
	.section	.rodata,"a",@progbits
	.p2align	6, 0x0
	.amdhsa_kernel _ZN7rocprim17ROCPRIM_400000_NS6detail17trampoline_kernelINS0_14default_configENS1_35radix_sort_onesweep_config_selectorIbNS0_10empty_typeEEEZZNS1_29radix_sort_onesweep_iterationIS3_Lb1EPKbPbPS5_SB_mNS0_19identity_decomposerENS1_16block_id_wrapperIjLb1EEEEE10hipError_tT1_PNSt15iterator_traitsISG_E10value_typeET2_T3_PNSH_ISM_E10value_typeET4_T5_PSR_SS_PNS1_23onesweep_lookback_stateEbbT6_jjT7_P12ihipStream_tbENKUlT_T0_SG_SL_E_clIS9_SA_SB_SB_EEDaSZ_S10_SG_SL_EUlSZ_E_NS1_11comp_targetILNS1_3genE3ELNS1_11target_archE908ELNS1_3gpuE7ELNS1_3repE0EEENS1_47radix_sort_onesweep_sort_config_static_selectorELNS0_4arch9wavefront6targetE0EEEvSG_
		.amdhsa_group_segment_fixed_size 0
		.amdhsa_private_segment_fixed_size 0
		.amdhsa_kernarg_size 88
		.amdhsa_user_sgpr_count 2
		.amdhsa_user_sgpr_dispatch_ptr 0
		.amdhsa_user_sgpr_queue_ptr 0
		.amdhsa_user_sgpr_kernarg_segment_ptr 1
		.amdhsa_user_sgpr_dispatch_id 0
		.amdhsa_user_sgpr_kernarg_preload_length 0
		.amdhsa_user_sgpr_kernarg_preload_offset 0
		.amdhsa_user_sgpr_private_segment_size 0
		.amdhsa_wavefront_size32 1
		.amdhsa_uses_dynamic_stack 0
		.amdhsa_enable_private_segment 0
		.amdhsa_system_sgpr_workgroup_id_x 1
		.amdhsa_system_sgpr_workgroup_id_y 0
		.amdhsa_system_sgpr_workgroup_id_z 0
		.amdhsa_system_sgpr_workgroup_info 0
		.amdhsa_system_vgpr_workitem_id 0
		.amdhsa_next_free_vgpr 1
		.amdhsa_next_free_sgpr 1
		.amdhsa_named_barrier_count 0
		.amdhsa_reserve_vcc 0
		.amdhsa_float_round_mode_32 0
		.amdhsa_float_round_mode_16_64 0
		.amdhsa_float_denorm_mode_32 3
		.amdhsa_float_denorm_mode_16_64 3
		.amdhsa_fp16_overflow 0
		.amdhsa_memory_ordered 1
		.amdhsa_forward_progress 1
		.amdhsa_inst_pref_size 0
		.amdhsa_round_robin_scheduling 0
		.amdhsa_exception_fp_ieee_invalid_op 0
		.amdhsa_exception_fp_denorm_src 0
		.amdhsa_exception_fp_ieee_div_zero 0
		.amdhsa_exception_fp_ieee_overflow 0
		.amdhsa_exception_fp_ieee_underflow 0
		.amdhsa_exception_fp_ieee_inexact 0
		.amdhsa_exception_int_div_zero 0
	.end_amdhsa_kernel
	.section	.text._ZN7rocprim17ROCPRIM_400000_NS6detail17trampoline_kernelINS0_14default_configENS1_35radix_sort_onesweep_config_selectorIbNS0_10empty_typeEEEZZNS1_29radix_sort_onesweep_iterationIS3_Lb1EPKbPbPS5_SB_mNS0_19identity_decomposerENS1_16block_id_wrapperIjLb1EEEEE10hipError_tT1_PNSt15iterator_traitsISG_E10value_typeET2_T3_PNSH_ISM_E10value_typeET4_T5_PSR_SS_PNS1_23onesweep_lookback_stateEbbT6_jjT7_P12ihipStream_tbENKUlT_T0_SG_SL_E_clIS9_SA_SB_SB_EEDaSZ_S10_SG_SL_EUlSZ_E_NS1_11comp_targetILNS1_3genE3ELNS1_11target_archE908ELNS1_3gpuE7ELNS1_3repE0EEENS1_47radix_sort_onesweep_sort_config_static_selectorELNS0_4arch9wavefront6targetE0EEEvSG_,"axG",@progbits,_ZN7rocprim17ROCPRIM_400000_NS6detail17trampoline_kernelINS0_14default_configENS1_35radix_sort_onesweep_config_selectorIbNS0_10empty_typeEEEZZNS1_29radix_sort_onesweep_iterationIS3_Lb1EPKbPbPS5_SB_mNS0_19identity_decomposerENS1_16block_id_wrapperIjLb1EEEEE10hipError_tT1_PNSt15iterator_traitsISG_E10value_typeET2_T3_PNSH_ISM_E10value_typeET4_T5_PSR_SS_PNS1_23onesweep_lookback_stateEbbT6_jjT7_P12ihipStream_tbENKUlT_T0_SG_SL_E_clIS9_SA_SB_SB_EEDaSZ_S10_SG_SL_EUlSZ_E_NS1_11comp_targetILNS1_3genE3ELNS1_11target_archE908ELNS1_3gpuE7ELNS1_3repE0EEENS1_47radix_sort_onesweep_sort_config_static_selectorELNS0_4arch9wavefront6targetE0EEEvSG_,comdat
.Lfunc_end1746:
	.size	_ZN7rocprim17ROCPRIM_400000_NS6detail17trampoline_kernelINS0_14default_configENS1_35radix_sort_onesweep_config_selectorIbNS0_10empty_typeEEEZZNS1_29radix_sort_onesweep_iterationIS3_Lb1EPKbPbPS5_SB_mNS0_19identity_decomposerENS1_16block_id_wrapperIjLb1EEEEE10hipError_tT1_PNSt15iterator_traitsISG_E10value_typeET2_T3_PNSH_ISM_E10value_typeET4_T5_PSR_SS_PNS1_23onesweep_lookback_stateEbbT6_jjT7_P12ihipStream_tbENKUlT_T0_SG_SL_E_clIS9_SA_SB_SB_EEDaSZ_S10_SG_SL_EUlSZ_E_NS1_11comp_targetILNS1_3genE3ELNS1_11target_archE908ELNS1_3gpuE7ELNS1_3repE0EEENS1_47radix_sort_onesweep_sort_config_static_selectorELNS0_4arch9wavefront6targetE0EEEvSG_, .Lfunc_end1746-_ZN7rocprim17ROCPRIM_400000_NS6detail17trampoline_kernelINS0_14default_configENS1_35radix_sort_onesweep_config_selectorIbNS0_10empty_typeEEEZZNS1_29radix_sort_onesweep_iterationIS3_Lb1EPKbPbPS5_SB_mNS0_19identity_decomposerENS1_16block_id_wrapperIjLb1EEEEE10hipError_tT1_PNSt15iterator_traitsISG_E10value_typeET2_T3_PNSH_ISM_E10value_typeET4_T5_PSR_SS_PNS1_23onesweep_lookback_stateEbbT6_jjT7_P12ihipStream_tbENKUlT_T0_SG_SL_E_clIS9_SA_SB_SB_EEDaSZ_S10_SG_SL_EUlSZ_E_NS1_11comp_targetILNS1_3genE3ELNS1_11target_archE908ELNS1_3gpuE7ELNS1_3repE0EEENS1_47radix_sort_onesweep_sort_config_static_selectorELNS0_4arch9wavefront6targetE0EEEvSG_
                                        ; -- End function
	.set _ZN7rocprim17ROCPRIM_400000_NS6detail17trampoline_kernelINS0_14default_configENS1_35radix_sort_onesweep_config_selectorIbNS0_10empty_typeEEEZZNS1_29radix_sort_onesweep_iterationIS3_Lb1EPKbPbPS5_SB_mNS0_19identity_decomposerENS1_16block_id_wrapperIjLb1EEEEE10hipError_tT1_PNSt15iterator_traitsISG_E10value_typeET2_T3_PNSH_ISM_E10value_typeET4_T5_PSR_SS_PNS1_23onesweep_lookback_stateEbbT6_jjT7_P12ihipStream_tbENKUlT_T0_SG_SL_E_clIS9_SA_SB_SB_EEDaSZ_S10_SG_SL_EUlSZ_E_NS1_11comp_targetILNS1_3genE3ELNS1_11target_archE908ELNS1_3gpuE7ELNS1_3repE0EEENS1_47radix_sort_onesweep_sort_config_static_selectorELNS0_4arch9wavefront6targetE0EEEvSG_.num_vgpr, 0
	.set _ZN7rocprim17ROCPRIM_400000_NS6detail17trampoline_kernelINS0_14default_configENS1_35radix_sort_onesweep_config_selectorIbNS0_10empty_typeEEEZZNS1_29radix_sort_onesweep_iterationIS3_Lb1EPKbPbPS5_SB_mNS0_19identity_decomposerENS1_16block_id_wrapperIjLb1EEEEE10hipError_tT1_PNSt15iterator_traitsISG_E10value_typeET2_T3_PNSH_ISM_E10value_typeET4_T5_PSR_SS_PNS1_23onesweep_lookback_stateEbbT6_jjT7_P12ihipStream_tbENKUlT_T0_SG_SL_E_clIS9_SA_SB_SB_EEDaSZ_S10_SG_SL_EUlSZ_E_NS1_11comp_targetILNS1_3genE3ELNS1_11target_archE908ELNS1_3gpuE7ELNS1_3repE0EEENS1_47radix_sort_onesweep_sort_config_static_selectorELNS0_4arch9wavefront6targetE0EEEvSG_.num_agpr, 0
	.set _ZN7rocprim17ROCPRIM_400000_NS6detail17trampoline_kernelINS0_14default_configENS1_35radix_sort_onesweep_config_selectorIbNS0_10empty_typeEEEZZNS1_29radix_sort_onesweep_iterationIS3_Lb1EPKbPbPS5_SB_mNS0_19identity_decomposerENS1_16block_id_wrapperIjLb1EEEEE10hipError_tT1_PNSt15iterator_traitsISG_E10value_typeET2_T3_PNSH_ISM_E10value_typeET4_T5_PSR_SS_PNS1_23onesweep_lookback_stateEbbT6_jjT7_P12ihipStream_tbENKUlT_T0_SG_SL_E_clIS9_SA_SB_SB_EEDaSZ_S10_SG_SL_EUlSZ_E_NS1_11comp_targetILNS1_3genE3ELNS1_11target_archE908ELNS1_3gpuE7ELNS1_3repE0EEENS1_47radix_sort_onesweep_sort_config_static_selectorELNS0_4arch9wavefront6targetE0EEEvSG_.numbered_sgpr, 0
	.set _ZN7rocprim17ROCPRIM_400000_NS6detail17trampoline_kernelINS0_14default_configENS1_35radix_sort_onesweep_config_selectorIbNS0_10empty_typeEEEZZNS1_29radix_sort_onesweep_iterationIS3_Lb1EPKbPbPS5_SB_mNS0_19identity_decomposerENS1_16block_id_wrapperIjLb1EEEEE10hipError_tT1_PNSt15iterator_traitsISG_E10value_typeET2_T3_PNSH_ISM_E10value_typeET4_T5_PSR_SS_PNS1_23onesweep_lookback_stateEbbT6_jjT7_P12ihipStream_tbENKUlT_T0_SG_SL_E_clIS9_SA_SB_SB_EEDaSZ_S10_SG_SL_EUlSZ_E_NS1_11comp_targetILNS1_3genE3ELNS1_11target_archE908ELNS1_3gpuE7ELNS1_3repE0EEENS1_47radix_sort_onesweep_sort_config_static_selectorELNS0_4arch9wavefront6targetE0EEEvSG_.num_named_barrier, 0
	.set _ZN7rocprim17ROCPRIM_400000_NS6detail17trampoline_kernelINS0_14default_configENS1_35radix_sort_onesweep_config_selectorIbNS0_10empty_typeEEEZZNS1_29radix_sort_onesweep_iterationIS3_Lb1EPKbPbPS5_SB_mNS0_19identity_decomposerENS1_16block_id_wrapperIjLb1EEEEE10hipError_tT1_PNSt15iterator_traitsISG_E10value_typeET2_T3_PNSH_ISM_E10value_typeET4_T5_PSR_SS_PNS1_23onesweep_lookback_stateEbbT6_jjT7_P12ihipStream_tbENKUlT_T0_SG_SL_E_clIS9_SA_SB_SB_EEDaSZ_S10_SG_SL_EUlSZ_E_NS1_11comp_targetILNS1_3genE3ELNS1_11target_archE908ELNS1_3gpuE7ELNS1_3repE0EEENS1_47radix_sort_onesweep_sort_config_static_selectorELNS0_4arch9wavefront6targetE0EEEvSG_.private_seg_size, 0
	.set _ZN7rocprim17ROCPRIM_400000_NS6detail17trampoline_kernelINS0_14default_configENS1_35radix_sort_onesweep_config_selectorIbNS0_10empty_typeEEEZZNS1_29radix_sort_onesweep_iterationIS3_Lb1EPKbPbPS5_SB_mNS0_19identity_decomposerENS1_16block_id_wrapperIjLb1EEEEE10hipError_tT1_PNSt15iterator_traitsISG_E10value_typeET2_T3_PNSH_ISM_E10value_typeET4_T5_PSR_SS_PNS1_23onesweep_lookback_stateEbbT6_jjT7_P12ihipStream_tbENKUlT_T0_SG_SL_E_clIS9_SA_SB_SB_EEDaSZ_S10_SG_SL_EUlSZ_E_NS1_11comp_targetILNS1_3genE3ELNS1_11target_archE908ELNS1_3gpuE7ELNS1_3repE0EEENS1_47radix_sort_onesweep_sort_config_static_selectorELNS0_4arch9wavefront6targetE0EEEvSG_.uses_vcc, 0
	.set _ZN7rocprim17ROCPRIM_400000_NS6detail17trampoline_kernelINS0_14default_configENS1_35radix_sort_onesweep_config_selectorIbNS0_10empty_typeEEEZZNS1_29radix_sort_onesweep_iterationIS3_Lb1EPKbPbPS5_SB_mNS0_19identity_decomposerENS1_16block_id_wrapperIjLb1EEEEE10hipError_tT1_PNSt15iterator_traitsISG_E10value_typeET2_T3_PNSH_ISM_E10value_typeET4_T5_PSR_SS_PNS1_23onesweep_lookback_stateEbbT6_jjT7_P12ihipStream_tbENKUlT_T0_SG_SL_E_clIS9_SA_SB_SB_EEDaSZ_S10_SG_SL_EUlSZ_E_NS1_11comp_targetILNS1_3genE3ELNS1_11target_archE908ELNS1_3gpuE7ELNS1_3repE0EEENS1_47radix_sort_onesweep_sort_config_static_selectorELNS0_4arch9wavefront6targetE0EEEvSG_.uses_flat_scratch, 0
	.set _ZN7rocprim17ROCPRIM_400000_NS6detail17trampoline_kernelINS0_14default_configENS1_35radix_sort_onesweep_config_selectorIbNS0_10empty_typeEEEZZNS1_29radix_sort_onesweep_iterationIS3_Lb1EPKbPbPS5_SB_mNS0_19identity_decomposerENS1_16block_id_wrapperIjLb1EEEEE10hipError_tT1_PNSt15iterator_traitsISG_E10value_typeET2_T3_PNSH_ISM_E10value_typeET4_T5_PSR_SS_PNS1_23onesweep_lookback_stateEbbT6_jjT7_P12ihipStream_tbENKUlT_T0_SG_SL_E_clIS9_SA_SB_SB_EEDaSZ_S10_SG_SL_EUlSZ_E_NS1_11comp_targetILNS1_3genE3ELNS1_11target_archE908ELNS1_3gpuE7ELNS1_3repE0EEENS1_47radix_sort_onesweep_sort_config_static_selectorELNS0_4arch9wavefront6targetE0EEEvSG_.has_dyn_sized_stack, 0
	.set _ZN7rocprim17ROCPRIM_400000_NS6detail17trampoline_kernelINS0_14default_configENS1_35radix_sort_onesweep_config_selectorIbNS0_10empty_typeEEEZZNS1_29radix_sort_onesweep_iterationIS3_Lb1EPKbPbPS5_SB_mNS0_19identity_decomposerENS1_16block_id_wrapperIjLb1EEEEE10hipError_tT1_PNSt15iterator_traitsISG_E10value_typeET2_T3_PNSH_ISM_E10value_typeET4_T5_PSR_SS_PNS1_23onesweep_lookback_stateEbbT6_jjT7_P12ihipStream_tbENKUlT_T0_SG_SL_E_clIS9_SA_SB_SB_EEDaSZ_S10_SG_SL_EUlSZ_E_NS1_11comp_targetILNS1_3genE3ELNS1_11target_archE908ELNS1_3gpuE7ELNS1_3repE0EEENS1_47radix_sort_onesweep_sort_config_static_selectorELNS0_4arch9wavefront6targetE0EEEvSG_.has_recursion, 0
	.set _ZN7rocprim17ROCPRIM_400000_NS6detail17trampoline_kernelINS0_14default_configENS1_35radix_sort_onesweep_config_selectorIbNS0_10empty_typeEEEZZNS1_29radix_sort_onesweep_iterationIS3_Lb1EPKbPbPS5_SB_mNS0_19identity_decomposerENS1_16block_id_wrapperIjLb1EEEEE10hipError_tT1_PNSt15iterator_traitsISG_E10value_typeET2_T3_PNSH_ISM_E10value_typeET4_T5_PSR_SS_PNS1_23onesweep_lookback_stateEbbT6_jjT7_P12ihipStream_tbENKUlT_T0_SG_SL_E_clIS9_SA_SB_SB_EEDaSZ_S10_SG_SL_EUlSZ_E_NS1_11comp_targetILNS1_3genE3ELNS1_11target_archE908ELNS1_3gpuE7ELNS1_3repE0EEENS1_47radix_sort_onesweep_sort_config_static_selectorELNS0_4arch9wavefront6targetE0EEEvSG_.has_indirect_call, 0
	.section	.AMDGPU.csdata,"",@progbits
; Kernel info:
; codeLenInByte = 0
; TotalNumSgprs: 0
; NumVgprs: 0
; ScratchSize: 0
; MemoryBound: 0
; FloatMode: 240
; IeeeMode: 1
; LDSByteSize: 0 bytes/workgroup (compile time only)
; SGPRBlocks: 0
; VGPRBlocks: 0
; NumSGPRsForWavesPerEU: 1
; NumVGPRsForWavesPerEU: 1
; NamedBarCnt: 0
; Occupancy: 16
; WaveLimiterHint : 0
; COMPUTE_PGM_RSRC2:SCRATCH_EN: 0
; COMPUTE_PGM_RSRC2:USER_SGPR: 2
; COMPUTE_PGM_RSRC2:TRAP_HANDLER: 0
; COMPUTE_PGM_RSRC2:TGID_X_EN: 1
; COMPUTE_PGM_RSRC2:TGID_Y_EN: 0
; COMPUTE_PGM_RSRC2:TGID_Z_EN: 0
; COMPUTE_PGM_RSRC2:TIDIG_COMP_CNT: 0
	.section	.text._ZN7rocprim17ROCPRIM_400000_NS6detail17trampoline_kernelINS0_14default_configENS1_35radix_sort_onesweep_config_selectorIbNS0_10empty_typeEEEZZNS1_29radix_sort_onesweep_iterationIS3_Lb1EPKbPbPS5_SB_mNS0_19identity_decomposerENS1_16block_id_wrapperIjLb1EEEEE10hipError_tT1_PNSt15iterator_traitsISG_E10value_typeET2_T3_PNSH_ISM_E10value_typeET4_T5_PSR_SS_PNS1_23onesweep_lookback_stateEbbT6_jjT7_P12ihipStream_tbENKUlT_T0_SG_SL_E_clIS9_SA_SB_SB_EEDaSZ_S10_SG_SL_EUlSZ_E_NS1_11comp_targetILNS1_3genE10ELNS1_11target_archE1201ELNS1_3gpuE5ELNS1_3repE0EEENS1_47radix_sort_onesweep_sort_config_static_selectorELNS0_4arch9wavefront6targetE0EEEvSG_,"axG",@progbits,_ZN7rocprim17ROCPRIM_400000_NS6detail17trampoline_kernelINS0_14default_configENS1_35radix_sort_onesweep_config_selectorIbNS0_10empty_typeEEEZZNS1_29radix_sort_onesweep_iterationIS3_Lb1EPKbPbPS5_SB_mNS0_19identity_decomposerENS1_16block_id_wrapperIjLb1EEEEE10hipError_tT1_PNSt15iterator_traitsISG_E10value_typeET2_T3_PNSH_ISM_E10value_typeET4_T5_PSR_SS_PNS1_23onesweep_lookback_stateEbbT6_jjT7_P12ihipStream_tbENKUlT_T0_SG_SL_E_clIS9_SA_SB_SB_EEDaSZ_S10_SG_SL_EUlSZ_E_NS1_11comp_targetILNS1_3genE10ELNS1_11target_archE1201ELNS1_3gpuE5ELNS1_3repE0EEENS1_47radix_sort_onesweep_sort_config_static_selectorELNS0_4arch9wavefront6targetE0EEEvSG_,comdat
	.protected	_ZN7rocprim17ROCPRIM_400000_NS6detail17trampoline_kernelINS0_14default_configENS1_35radix_sort_onesweep_config_selectorIbNS0_10empty_typeEEEZZNS1_29radix_sort_onesweep_iterationIS3_Lb1EPKbPbPS5_SB_mNS0_19identity_decomposerENS1_16block_id_wrapperIjLb1EEEEE10hipError_tT1_PNSt15iterator_traitsISG_E10value_typeET2_T3_PNSH_ISM_E10value_typeET4_T5_PSR_SS_PNS1_23onesweep_lookback_stateEbbT6_jjT7_P12ihipStream_tbENKUlT_T0_SG_SL_E_clIS9_SA_SB_SB_EEDaSZ_S10_SG_SL_EUlSZ_E_NS1_11comp_targetILNS1_3genE10ELNS1_11target_archE1201ELNS1_3gpuE5ELNS1_3repE0EEENS1_47radix_sort_onesweep_sort_config_static_selectorELNS0_4arch9wavefront6targetE0EEEvSG_ ; -- Begin function _ZN7rocprim17ROCPRIM_400000_NS6detail17trampoline_kernelINS0_14default_configENS1_35radix_sort_onesweep_config_selectorIbNS0_10empty_typeEEEZZNS1_29radix_sort_onesweep_iterationIS3_Lb1EPKbPbPS5_SB_mNS0_19identity_decomposerENS1_16block_id_wrapperIjLb1EEEEE10hipError_tT1_PNSt15iterator_traitsISG_E10value_typeET2_T3_PNSH_ISM_E10value_typeET4_T5_PSR_SS_PNS1_23onesweep_lookback_stateEbbT6_jjT7_P12ihipStream_tbENKUlT_T0_SG_SL_E_clIS9_SA_SB_SB_EEDaSZ_S10_SG_SL_EUlSZ_E_NS1_11comp_targetILNS1_3genE10ELNS1_11target_archE1201ELNS1_3gpuE5ELNS1_3repE0EEENS1_47radix_sort_onesweep_sort_config_static_selectorELNS0_4arch9wavefront6targetE0EEEvSG_
	.globl	_ZN7rocprim17ROCPRIM_400000_NS6detail17trampoline_kernelINS0_14default_configENS1_35radix_sort_onesweep_config_selectorIbNS0_10empty_typeEEEZZNS1_29radix_sort_onesweep_iterationIS3_Lb1EPKbPbPS5_SB_mNS0_19identity_decomposerENS1_16block_id_wrapperIjLb1EEEEE10hipError_tT1_PNSt15iterator_traitsISG_E10value_typeET2_T3_PNSH_ISM_E10value_typeET4_T5_PSR_SS_PNS1_23onesweep_lookback_stateEbbT6_jjT7_P12ihipStream_tbENKUlT_T0_SG_SL_E_clIS9_SA_SB_SB_EEDaSZ_S10_SG_SL_EUlSZ_E_NS1_11comp_targetILNS1_3genE10ELNS1_11target_archE1201ELNS1_3gpuE5ELNS1_3repE0EEENS1_47radix_sort_onesweep_sort_config_static_selectorELNS0_4arch9wavefront6targetE0EEEvSG_
	.p2align	8
	.type	_ZN7rocprim17ROCPRIM_400000_NS6detail17trampoline_kernelINS0_14default_configENS1_35radix_sort_onesweep_config_selectorIbNS0_10empty_typeEEEZZNS1_29radix_sort_onesweep_iterationIS3_Lb1EPKbPbPS5_SB_mNS0_19identity_decomposerENS1_16block_id_wrapperIjLb1EEEEE10hipError_tT1_PNSt15iterator_traitsISG_E10value_typeET2_T3_PNSH_ISM_E10value_typeET4_T5_PSR_SS_PNS1_23onesweep_lookback_stateEbbT6_jjT7_P12ihipStream_tbENKUlT_T0_SG_SL_E_clIS9_SA_SB_SB_EEDaSZ_S10_SG_SL_EUlSZ_E_NS1_11comp_targetILNS1_3genE10ELNS1_11target_archE1201ELNS1_3gpuE5ELNS1_3repE0EEENS1_47radix_sort_onesweep_sort_config_static_selectorELNS0_4arch9wavefront6targetE0EEEvSG_,@function
_ZN7rocprim17ROCPRIM_400000_NS6detail17trampoline_kernelINS0_14default_configENS1_35radix_sort_onesweep_config_selectorIbNS0_10empty_typeEEEZZNS1_29radix_sort_onesweep_iterationIS3_Lb1EPKbPbPS5_SB_mNS0_19identity_decomposerENS1_16block_id_wrapperIjLb1EEEEE10hipError_tT1_PNSt15iterator_traitsISG_E10value_typeET2_T3_PNSH_ISM_E10value_typeET4_T5_PSR_SS_PNS1_23onesweep_lookback_stateEbbT6_jjT7_P12ihipStream_tbENKUlT_T0_SG_SL_E_clIS9_SA_SB_SB_EEDaSZ_S10_SG_SL_EUlSZ_E_NS1_11comp_targetILNS1_3genE10ELNS1_11target_archE1201ELNS1_3gpuE5ELNS1_3repE0EEENS1_47radix_sort_onesweep_sort_config_static_selectorELNS0_4arch9wavefront6targetE0EEEvSG_: ; @_ZN7rocprim17ROCPRIM_400000_NS6detail17trampoline_kernelINS0_14default_configENS1_35radix_sort_onesweep_config_selectorIbNS0_10empty_typeEEEZZNS1_29radix_sort_onesweep_iterationIS3_Lb1EPKbPbPS5_SB_mNS0_19identity_decomposerENS1_16block_id_wrapperIjLb1EEEEE10hipError_tT1_PNSt15iterator_traitsISG_E10value_typeET2_T3_PNSH_ISM_E10value_typeET4_T5_PSR_SS_PNS1_23onesweep_lookback_stateEbbT6_jjT7_P12ihipStream_tbENKUlT_T0_SG_SL_E_clIS9_SA_SB_SB_EEDaSZ_S10_SG_SL_EUlSZ_E_NS1_11comp_targetILNS1_3genE10ELNS1_11target_archE1201ELNS1_3gpuE5ELNS1_3repE0EEENS1_47radix_sort_onesweep_sort_config_static_selectorELNS0_4arch9wavefront6targetE0EEEvSG_
; %bb.0:
	.section	.rodata,"a",@progbits
	.p2align	6, 0x0
	.amdhsa_kernel _ZN7rocprim17ROCPRIM_400000_NS6detail17trampoline_kernelINS0_14default_configENS1_35radix_sort_onesweep_config_selectorIbNS0_10empty_typeEEEZZNS1_29radix_sort_onesweep_iterationIS3_Lb1EPKbPbPS5_SB_mNS0_19identity_decomposerENS1_16block_id_wrapperIjLb1EEEEE10hipError_tT1_PNSt15iterator_traitsISG_E10value_typeET2_T3_PNSH_ISM_E10value_typeET4_T5_PSR_SS_PNS1_23onesweep_lookback_stateEbbT6_jjT7_P12ihipStream_tbENKUlT_T0_SG_SL_E_clIS9_SA_SB_SB_EEDaSZ_S10_SG_SL_EUlSZ_E_NS1_11comp_targetILNS1_3genE10ELNS1_11target_archE1201ELNS1_3gpuE5ELNS1_3repE0EEENS1_47radix_sort_onesweep_sort_config_static_selectorELNS0_4arch9wavefront6targetE0EEEvSG_
		.amdhsa_group_segment_fixed_size 0
		.amdhsa_private_segment_fixed_size 0
		.amdhsa_kernarg_size 88
		.amdhsa_user_sgpr_count 2
		.amdhsa_user_sgpr_dispatch_ptr 0
		.amdhsa_user_sgpr_queue_ptr 0
		.amdhsa_user_sgpr_kernarg_segment_ptr 1
		.amdhsa_user_sgpr_dispatch_id 0
		.amdhsa_user_sgpr_kernarg_preload_length 0
		.amdhsa_user_sgpr_kernarg_preload_offset 0
		.amdhsa_user_sgpr_private_segment_size 0
		.amdhsa_wavefront_size32 1
		.amdhsa_uses_dynamic_stack 0
		.amdhsa_enable_private_segment 0
		.amdhsa_system_sgpr_workgroup_id_x 1
		.amdhsa_system_sgpr_workgroup_id_y 0
		.amdhsa_system_sgpr_workgroup_id_z 0
		.amdhsa_system_sgpr_workgroup_info 0
		.amdhsa_system_vgpr_workitem_id 0
		.amdhsa_next_free_vgpr 1
		.amdhsa_next_free_sgpr 1
		.amdhsa_named_barrier_count 0
		.amdhsa_reserve_vcc 0
		.amdhsa_float_round_mode_32 0
		.amdhsa_float_round_mode_16_64 0
		.amdhsa_float_denorm_mode_32 3
		.amdhsa_float_denorm_mode_16_64 3
		.amdhsa_fp16_overflow 0
		.amdhsa_memory_ordered 1
		.amdhsa_forward_progress 1
		.amdhsa_inst_pref_size 0
		.amdhsa_round_robin_scheduling 0
		.amdhsa_exception_fp_ieee_invalid_op 0
		.amdhsa_exception_fp_denorm_src 0
		.amdhsa_exception_fp_ieee_div_zero 0
		.amdhsa_exception_fp_ieee_overflow 0
		.amdhsa_exception_fp_ieee_underflow 0
		.amdhsa_exception_fp_ieee_inexact 0
		.amdhsa_exception_int_div_zero 0
	.end_amdhsa_kernel
	.section	.text._ZN7rocprim17ROCPRIM_400000_NS6detail17trampoline_kernelINS0_14default_configENS1_35radix_sort_onesweep_config_selectorIbNS0_10empty_typeEEEZZNS1_29radix_sort_onesweep_iterationIS3_Lb1EPKbPbPS5_SB_mNS0_19identity_decomposerENS1_16block_id_wrapperIjLb1EEEEE10hipError_tT1_PNSt15iterator_traitsISG_E10value_typeET2_T3_PNSH_ISM_E10value_typeET4_T5_PSR_SS_PNS1_23onesweep_lookback_stateEbbT6_jjT7_P12ihipStream_tbENKUlT_T0_SG_SL_E_clIS9_SA_SB_SB_EEDaSZ_S10_SG_SL_EUlSZ_E_NS1_11comp_targetILNS1_3genE10ELNS1_11target_archE1201ELNS1_3gpuE5ELNS1_3repE0EEENS1_47radix_sort_onesweep_sort_config_static_selectorELNS0_4arch9wavefront6targetE0EEEvSG_,"axG",@progbits,_ZN7rocprim17ROCPRIM_400000_NS6detail17trampoline_kernelINS0_14default_configENS1_35radix_sort_onesweep_config_selectorIbNS0_10empty_typeEEEZZNS1_29radix_sort_onesweep_iterationIS3_Lb1EPKbPbPS5_SB_mNS0_19identity_decomposerENS1_16block_id_wrapperIjLb1EEEEE10hipError_tT1_PNSt15iterator_traitsISG_E10value_typeET2_T3_PNSH_ISM_E10value_typeET4_T5_PSR_SS_PNS1_23onesweep_lookback_stateEbbT6_jjT7_P12ihipStream_tbENKUlT_T0_SG_SL_E_clIS9_SA_SB_SB_EEDaSZ_S10_SG_SL_EUlSZ_E_NS1_11comp_targetILNS1_3genE10ELNS1_11target_archE1201ELNS1_3gpuE5ELNS1_3repE0EEENS1_47radix_sort_onesweep_sort_config_static_selectorELNS0_4arch9wavefront6targetE0EEEvSG_,comdat
.Lfunc_end1747:
	.size	_ZN7rocprim17ROCPRIM_400000_NS6detail17trampoline_kernelINS0_14default_configENS1_35radix_sort_onesweep_config_selectorIbNS0_10empty_typeEEEZZNS1_29radix_sort_onesweep_iterationIS3_Lb1EPKbPbPS5_SB_mNS0_19identity_decomposerENS1_16block_id_wrapperIjLb1EEEEE10hipError_tT1_PNSt15iterator_traitsISG_E10value_typeET2_T3_PNSH_ISM_E10value_typeET4_T5_PSR_SS_PNS1_23onesweep_lookback_stateEbbT6_jjT7_P12ihipStream_tbENKUlT_T0_SG_SL_E_clIS9_SA_SB_SB_EEDaSZ_S10_SG_SL_EUlSZ_E_NS1_11comp_targetILNS1_3genE10ELNS1_11target_archE1201ELNS1_3gpuE5ELNS1_3repE0EEENS1_47radix_sort_onesweep_sort_config_static_selectorELNS0_4arch9wavefront6targetE0EEEvSG_, .Lfunc_end1747-_ZN7rocprim17ROCPRIM_400000_NS6detail17trampoline_kernelINS0_14default_configENS1_35radix_sort_onesweep_config_selectorIbNS0_10empty_typeEEEZZNS1_29radix_sort_onesweep_iterationIS3_Lb1EPKbPbPS5_SB_mNS0_19identity_decomposerENS1_16block_id_wrapperIjLb1EEEEE10hipError_tT1_PNSt15iterator_traitsISG_E10value_typeET2_T3_PNSH_ISM_E10value_typeET4_T5_PSR_SS_PNS1_23onesweep_lookback_stateEbbT6_jjT7_P12ihipStream_tbENKUlT_T0_SG_SL_E_clIS9_SA_SB_SB_EEDaSZ_S10_SG_SL_EUlSZ_E_NS1_11comp_targetILNS1_3genE10ELNS1_11target_archE1201ELNS1_3gpuE5ELNS1_3repE0EEENS1_47radix_sort_onesweep_sort_config_static_selectorELNS0_4arch9wavefront6targetE0EEEvSG_
                                        ; -- End function
	.set _ZN7rocprim17ROCPRIM_400000_NS6detail17trampoline_kernelINS0_14default_configENS1_35radix_sort_onesweep_config_selectorIbNS0_10empty_typeEEEZZNS1_29radix_sort_onesweep_iterationIS3_Lb1EPKbPbPS5_SB_mNS0_19identity_decomposerENS1_16block_id_wrapperIjLb1EEEEE10hipError_tT1_PNSt15iterator_traitsISG_E10value_typeET2_T3_PNSH_ISM_E10value_typeET4_T5_PSR_SS_PNS1_23onesweep_lookback_stateEbbT6_jjT7_P12ihipStream_tbENKUlT_T0_SG_SL_E_clIS9_SA_SB_SB_EEDaSZ_S10_SG_SL_EUlSZ_E_NS1_11comp_targetILNS1_3genE10ELNS1_11target_archE1201ELNS1_3gpuE5ELNS1_3repE0EEENS1_47radix_sort_onesweep_sort_config_static_selectorELNS0_4arch9wavefront6targetE0EEEvSG_.num_vgpr, 0
	.set _ZN7rocprim17ROCPRIM_400000_NS6detail17trampoline_kernelINS0_14default_configENS1_35radix_sort_onesweep_config_selectorIbNS0_10empty_typeEEEZZNS1_29radix_sort_onesweep_iterationIS3_Lb1EPKbPbPS5_SB_mNS0_19identity_decomposerENS1_16block_id_wrapperIjLb1EEEEE10hipError_tT1_PNSt15iterator_traitsISG_E10value_typeET2_T3_PNSH_ISM_E10value_typeET4_T5_PSR_SS_PNS1_23onesweep_lookback_stateEbbT6_jjT7_P12ihipStream_tbENKUlT_T0_SG_SL_E_clIS9_SA_SB_SB_EEDaSZ_S10_SG_SL_EUlSZ_E_NS1_11comp_targetILNS1_3genE10ELNS1_11target_archE1201ELNS1_3gpuE5ELNS1_3repE0EEENS1_47radix_sort_onesweep_sort_config_static_selectorELNS0_4arch9wavefront6targetE0EEEvSG_.num_agpr, 0
	.set _ZN7rocprim17ROCPRIM_400000_NS6detail17trampoline_kernelINS0_14default_configENS1_35radix_sort_onesweep_config_selectorIbNS0_10empty_typeEEEZZNS1_29radix_sort_onesweep_iterationIS3_Lb1EPKbPbPS5_SB_mNS0_19identity_decomposerENS1_16block_id_wrapperIjLb1EEEEE10hipError_tT1_PNSt15iterator_traitsISG_E10value_typeET2_T3_PNSH_ISM_E10value_typeET4_T5_PSR_SS_PNS1_23onesweep_lookback_stateEbbT6_jjT7_P12ihipStream_tbENKUlT_T0_SG_SL_E_clIS9_SA_SB_SB_EEDaSZ_S10_SG_SL_EUlSZ_E_NS1_11comp_targetILNS1_3genE10ELNS1_11target_archE1201ELNS1_3gpuE5ELNS1_3repE0EEENS1_47radix_sort_onesweep_sort_config_static_selectorELNS0_4arch9wavefront6targetE0EEEvSG_.numbered_sgpr, 0
	.set _ZN7rocprim17ROCPRIM_400000_NS6detail17trampoline_kernelINS0_14default_configENS1_35radix_sort_onesweep_config_selectorIbNS0_10empty_typeEEEZZNS1_29radix_sort_onesweep_iterationIS3_Lb1EPKbPbPS5_SB_mNS0_19identity_decomposerENS1_16block_id_wrapperIjLb1EEEEE10hipError_tT1_PNSt15iterator_traitsISG_E10value_typeET2_T3_PNSH_ISM_E10value_typeET4_T5_PSR_SS_PNS1_23onesweep_lookback_stateEbbT6_jjT7_P12ihipStream_tbENKUlT_T0_SG_SL_E_clIS9_SA_SB_SB_EEDaSZ_S10_SG_SL_EUlSZ_E_NS1_11comp_targetILNS1_3genE10ELNS1_11target_archE1201ELNS1_3gpuE5ELNS1_3repE0EEENS1_47radix_sort_onesweep_sort_config_static_selectorELNS0_4arch9wavefront6targetE0EEEvSG_.num_named_barrier, 0
	.set _ZN7rocprim17ROCPRIM_400000_NS6detail17trampoline_kernelINS0_14default_configENS1_35radix_sort_onesweep_config_selectorIbNS0_10empty_typeEEEZZNS1_29radix_sort_onesweep_iterationIS3_Lb1EPKbPbPS5_SB_mNS0_19identity_decomposerENS1_16block_id_wrapperIjLb1EEEEE10hipError_tT1_PNSt15iterator_traitsISG_E10value_typeET2_T3_PNSH_ISM_E10value_typeET4_T5_PSR_SS_PNS1_23onesweep_lookback_stateEbbT6_jjT7_P12ihipStream_tbENKUlT_T0_SG_SL_E_clIS9_SA_SB_SB_EEDaSZ_S10_SG_SL_EUlSZ_E_NS1_11comp_targetILNS1_3genE10ELNS1_11target_archE1201ELNS1_3gpuE5ELNS1_3repE0EEENS1_47radix_sort_onesweep_sort_config_static_selectorELNS0_4arch9wavefront6targetE0EEEvSG_.private_seg_size, 0
	.set _ZN7rocprim17ROCPRIM_400000_NS6detail17trampoline_kernelINS0_14default_configENS1_35radix_sort_onesweep_config_selectorIbNS0_10empty_typeEEEZZNS1_29radix_sort_onesweep_iterationIS3_Lb1EPKbPbPS5_SB_mNS0_19identity_decomposerENS1_16block_id_wrapperIjLb1EEEEE10hipError_tT1_PNSt15iterator_traitsISG_E10value_typeET2_T3_PNSH_ISM_E10value_typeET4_T5_PSR_SS_PNS1_23onesweep_lookback_stateEbbT6_jjT7_P12ihipStream_tbENKUlT_T0_SG_SL_E_clIS9_SA_SB_SB_EEDaSZ_S10_SG_SL_EUlSZ_E_NS1_11comp_targetILNS1_3genE10ELNS1_11target_archE1201ELNS1_3gpuE5ELNS1_3repE0EEENS1_47radix_sort_onesweep_sort_config_static_selectorELNS0_4arch9wavefront6targetE0EEEvSG_.uses_vcc, 0
	.set _ZN7rocprim17ROCPRIM_400000_NS6detail17trampoline_kernelINS0_14default_configENS1_35radix_sort_onesweep_config_selectorIbNS0_10empty_typeEEEZZNS1_29radix_sort_onesweep_iterationIS3_Lb1EPKbPbPS5_SB_mNS0_19identity_decomposerENS1_16block_id_wrapperIjLb1EEEEE10hipError_tT1_PNSt15iterator_traitsISG_E10value_typeET2_T3_PNSH_ISM_E10value_typeET4_T5_PSR_SS_PNS1_23onesweep_lookback_stateEbbT6_jjT7_P12ihipStream_tbENKUlT_T0_SG_SL_E_clIS9_SA_SB_SB_EEDaSZ_S10_SG_SL_EUlSZ_E_NS1_11comp_targetILNS1_3genE10ELNS1_11target_archE1201ELNS1_3gpuE5ELNS1_3repE0EEENS1_47radix_sort_onesweep_sort_config_static_selectorELNS0_4arch9wavefront6targetE0EEEvSG_.uses_flat_scratch, 0
	.set _ZN7rocprim17ROCPRIM_400000_NS6detail17trampoline_kernelINS0_14default_configENS1_35radix_sort_onesweep_config_selectorIbNS0_10empty_typeEEEZZNS1_29radix_sort_onesweep_iterationIS3_Lb1EPKbPbPS5_SB_mNS0_19identity_decomposerENS1_16block_id_wrapperIjLb1EEEEE10hipError_tT1_PNSt15iterator_traitsISG_E10value_typeET2_T3_PNSH_ISM_E10value_typeET4_T5_PSR_SS_PNS1_23onesweep_lookback_stateEbbT6_jjT7_P12ihipStream_tbENKUlT_T0_SG_SL_E_clIS9_SA_SB_SB_EEDaSZ_S10_SG_SL_EUlSZ_E_NS1_11comp_targetILNS1_3genE10ELNS1_11target_archE1201ELNS1_3gpuE5ELNS1_3repE0EEENS1_47radix_sort_onesweep_sort_config_static_selectorELNS0_4arch9wavefront6targetE0EEEvSG_.has_dyn_sized_stack, 0
	.set _ZN7rocprim17ROCPRIM_400000_NS6detail17trampoline_kernelINS0_14default_configENS1_35radix_sort_onesweep_config_selectorIbNS0_10empty_typeEEEZZNS1_29radix_sort_onesweep_iterationIS3_Lb1EPKbPbPS5_SB_mNS0_19identity_decomposerENS1_16block_id_wrapperIjLb1EEEEE10hipError_tT1_PNSt15iterator_traitsISG_E10value_typeET2_T3_PNSH_ISM_E10value_typeET4_T5_PSR_SS_PNS1_23onesweep_lookback_stateEbbT6_jjT7_P12ihipStream_tbENKUlT_T0_SG_SL_E_clIS9_SA_SB_SB_EEDaSZ_S10_SG_SL_EUlSZ_E_NS1_11comp_targetILNS1_3genE10ELNS1_11target_archE1201ELNS1_3gpuE5ELNS1_3repE0EEENS1_47radix_sort_onesweep_sort_config_static_selectorELNS0_4arch9wavefront6targetE0EEEvSG_.has_recursion, 0
	.set _ZN7rocprim17ROCPRIM_400000_NS6detail17trampoline_kernelINS0_14default_configENS1_35radix_sort_onesweep_config_selectorIbNS0_10empty_typeEEEZZNS1_29radix_sort_onesweep_iterationIS3_Lb1EPKbPbPS5_SB_mNS0_19identity_decomposerENS1_16block_id_wrapperIjLb1EEEEE10hipError_tT1_PNSt15iterator_traitsISG_E10value_typeET2_T3_PNSH_ISM_E10value_typeET4_T5_PSR_SS_PNS1_23onesweep_lookback_stateEbbT6_jjT7_P12ihipStream_tbENKUlT_T0_SG_SL_E_clIS9_SA_SB_SB_EEDaSZ_S10_SG_SL_EUlSZ_E_NS1_11comp_targetILNS1_3genE10ELNS1_11target_archE1201ELNS1_3gpuE5ELNS1_3repE0EEENS1_47radix_sort_onesweep_sort_config_static_selectorELNS0_4arch9wavefront6targetE0EEEvSG_.has_indirect_call, 0
	.section	.AMDGPU.csdata,"",@progbits
; Kernel info:
; codeLenInByte = 0
; TotalNumSgprs: 0
; NumVgprs: 0
; ScratchSize: 0
; MemoryBound: 0
; FloatMode: 240
; IeeeMode: 1
; LDSByteSize: 0 bytes/workgroup (compile time only)
; SGPRBlocks: 0
; VGPRBlocks: 0
; NumSGPRsForWavesPerEU: 1
; NumVGPRsForWavesPerEU: 1
; NamedBarCnt: 0
; Occupancy: 16
; WaveLimiterHint : 0
; COMPUTE_PGM_RSRC2:SCRATCH_EN: 0
; COMPUTE_PGM_RSRC2:USER_SGPR: 2
; COMPUTE_PGM_RSRC2:TRAP_HANDLER: 0
; COMPUTE_PGM_RSRC2:TGID_X_EN: 1
; COMPUTE_PGM_RSRC2:TGID_Y_EN: 0
; COMPUTE_PGM_RSRC2:TGID_Z_EN: 0
; COMPUTE_PGM_RSRC2:TIDIG_COMP_CNT: 0
	.section	.text._ZN7rocprim17ROCPRIM_400000_NS6detail17trampoline_kernelINS0_14default_configENS1_35radix_sort_onesweep_config_selectorIbNS0_10empty_typeEEEZZNS1_29radix_sort_onesweep_iterationIS3_Lb1EPKbPbPS5_SB_mNS0_19identity_decomposerENS1_16block_id_wrapperIjLb1EEEEE10hipError_tT1_PNSt15iterator_traitsISG_E10value_typeET2_T3_PNSH_ISM_E10value_typeET4_T5_PSR_SS_PNS1_23onesweep_lookback_stateEbbT6_jjT7_P12ihipStream_tbENKUlT_T0_SG_SL_E_clIS9_SA_SB_SB_EEDaSZ_S10_SG_SL_EUlSZ_E_NS1_11comp_targetILNS1_3genE9ELNS1_11target_archE1100ELNS1_3gpuE3ELNS1_3repE0EEENS1_47radix_sort_onesweep_sort_config_static_selectorELNS0_4arch9wavefront6targetE0EEEvSG_,"axG",@progbits,_ZN7rocprim17ROCPRIM_400000_NS6detail17trampoline_kernelINS0_14default_configENS1_35radix_sort_onesweep_config_selectorIbNS0_10empty_typeEEEZZNS1_29radix_sort_onesweep_iterationIS3_Lb1EPKbPbPS5_SB_mNS0_19identity_decomposerENS1_16block_id_wrapperIjLb1EEEEE10hipError_tT1_PNSt15iterator_traitsISG_E10value_typeET2_T3_PNSH_ISM_E10value_typeET4_T5_PSR_SS_PNS1_23onesweep_lookback_stateEbbT6_jjT7_P12ihipStream_tbENKUlT_T0_SG_SL_E_clIS9_SA_SB_SB_EEDaSZ_S10_SG_SL_EUlSZ_E_NS1_11comp_targetILNS1_3genE9ELNS1_11target_archE1100ELNS1_3gpuE3ELNS1_3repE0EEENS1_47radix_sort_onesweep_sort_config_static_selectorELNS0_4arch9wavefront6targetE0EEEvSG_,comdat
	.protected	_ZN7rocprim17ROCPRIM_400000_NS6detail17trampoline_kernelINS0_14default_configENS1_35radix_sort_onesweep_config_selectorIbNS0_10empty_typeEEEZZNS1_29radix_sort_onesweep_iterationIS3_Lb1EPKbPbPS5_SB_mNS0_19identity_decomposerENS1_16block_id_wrapperIjLb1EEEEE10hipError_tT1_PNSt15iterator_traitsISG_E10value_typeET2_T3_PNSH_ISM_E10value_typeET4_T5_PSR_SS_PNS1_23onesweep_lookback_stateEbbT6_jjT7_P12ihipStream_tbENKUlT_T0_SG_SL_E_clIS9_SA_SB_SB_EEDaSZ_S10_SG_SL_EUlSZ_E_NS1_11comp_targetILNS1_3genE9ELNS1_11target_archE1100ELNS1_3gpuE3ELNS1_3repE0EEENS1_47radix_sort_onesweep_sort_config_static_selectorELNS0_4arch9wavefront6targetE0EEEvSG_ ; -- Begin function _ZN7rocprim17ROCPRIM_400000_NS6detail17trampoline_kernelINS0_14default_configENS1_35radix_sort_onesweep_config_selectorIbNS0_10empty_typeEEEZZNS1_29radix_sort_onesweep_iterationIS3_Lb1EPKbPbPS5_SB_mNS0_19identity_decomposerENS1_16block_id_wrapperIjLb1EEEEE10hipError_tT1_PNSt15iterator_traitsISG_E10value_typeET2_T3_PNSH_ISM_E10value_typeET4_T5_PSR_SS_PNS1_23onesweep_lookback_stateEbbT6_jjT7_P12ihipStream_tbENKUlT_T0_SG_SL_E_clIS9_SA_SB_SB_EEDaSZ_S10_SG_SL_EUlSZ_E_NS1_11comp_targetILNS1_3genE9ELNS1_11target_archE1100ELNS1_3gpuE3ELNS1_3repE0EEENS1_47radix_sort_onesweep_sort_config_static_selectorELNS0_4arch9wavefront6targetE0EEEvSG_
	.globl	_ZN7rocprim17ROCPRIM_400000_NS6detail17trampoline_kernelINS0_14default_configENS1_35radix_sort_onesweep_config_selectorIbNS0_10empty_typeEEEZZNS1_29radix_sort_onesweep_iterationIS3_Lb1EPKbPbPS5_SB_mNS0_19identity_decomposerENS1_16block_id_wrapperIjLb1EEEEE10hipError_tT1_PNSt15iterator_traitsISG_E10value_typeET2_T3_PNSH_ISM_E10value_typeET4_T5_PSR_SS_PNS1_23onesweep_lookback_stateEbbT6_jjT7_P12ihipStream_tbENKUlT_T0_SG_SL_E_clIS9_SA_SB_SB_EEDaSZ_S10_SG_SL_EUlSZ_E_NS1_11comp_targetILNS1_3genE9ELNS1_11target_archE1100ELNS1_3gpuE3ELNS1_3repE0EEENS1_47radix_sort_onesweep_sort_config_static_selectorELNS0_4arch9wavefront6targetE0EEEvSG_
	.p2align	8
	.type	_ZN7rocprim17ROCPRIM_400000_NS6detail17trampoline_kernelINS0_14default_configENS1_35radix_sort_onesweep_config_selectorIbNS0_10empty_typeEEEZZNS1_29radix_sort_onesweep_iterationIS3_Lb1EPKbPbPS5_SB_mNS0_19identity_decomposerENS1_16block_id_wrapperIjLb1EEEEE10hipError_tT1_PNSt15iterator_traitsISG_E10value_typeET2_T3_PNSH_ISM_E10value_typeET4_T5_PSR_SS_PNS1_23onesweep_lookback_stateEbbT6_jjT7_P12ihipStream_tbENKUlT_T0_SG_SL_E_clIS9_SA_SB_SB_EEDaSZ_S10_SG_SL_EUlSZ_E_NS1_11comp_targetILNS1_3genE9ELNS1_11target_archE1100ELNS1_3gpuE3ELNS1_3repE0EEENS1_47radix_sort_onesweep_sort_config_static_selectorELNS0_4arch9wavefront6targetE0EEEvSG_,@function
_ZN7rocprim17ROCPRIM_400000_NS6detail17trampoline_kernelINS0_14default_configENS1_35radix_sort_onesweep_config_selectorIbNS0_10empty_typeEEEZZNS1_29radix_sort_onesweep_iterationIS3_Lb1EPKbPbPS5_SB_mNS0_19identity_decomposerENS1_16block_id_wrapperIjLb1EEEEE10hipError_tT1_PNSt15iterator_traitsISG_E10value_typeET2_T3_PNSH_ISM_E10value_typeET4_T5_PSR_SS_PNS1_23onesweep_lookback_stateEbbT6_jjT7_P12ihipStream_tbENKUlT_T0_SG_SL_E_clIS9_SA_SB_SB_EEDaSZ_S10_SG_SL_EUlSZ_E_NS1_11comp_targetILNS1_3genE9ELNS1_11target_archE1100ELNS1_3gpuE3ELNS1_3repE0EEENS1_47radix_sort_onesweep_sort_config_static_selectorELNS0_4arch9wavefront6targetE0EEEvSG_: ; @_ZN7rocprim17ROCPRIM_400000_NS6detail17trampoline_kernelINS0_14default_configENS1_35radix_sort_onesweep_config_selectorIbNS0_10empty_typeEEEZZNS1_29radix_sort_onesweep_iterationIS3_Lb1EPKbPbPS5_SB_mNS0_19identity_decomposerENS1_16block_id_wrapperIjLb1EEEEE10hipError_tT1_PNSt15iterator_traitsISG_E10value_typeET2_T3_PNSH_ISM_E10value_typeET4_T5_PSR_SS_PNS1_23onesweep_lookback_stateEbbT6_jjT7_P12ihipStream_tbENKUlT_T0_SG_SL_E_clIS9_SA_SB_SB_EEDaSZ_S10_SG_SL_EUlSZ_E_NS1_11comp_targetILNS1_3genE9ELNS1_11target_archE1100ELNS1_3gpuE3ELNS1_3repE0EEENS1_47radix_sort_onesweep_sort_config_static_selectorELNS0_4arch9wavefront6targetE0EEEvSG_
; %bb.0:
	.section	.rodata,"a",@progbits
	.p2align	6, 0x0
	.amdhsa_kernel _ZN7rocprim17ROCPRIM_400000_NS6detail17trampoline_kernelINS0_14default_configENS1_35radix_sort_onesweep_config_selectorIbNS0_10empty_typeEEEZZNS1_29radix_sort_onesweep_iterationIS3_Lb1EPKbPbPS5_SB_mNS0_19identity_decomposerENS1_16block_id_wrapperIjLb1EEEEE10hipError_tT1_PNSt15iterator_traitsISG_E10value_typeET2_T3_PNSH_ISM_E10value_typeET4_T5_PSR_SS_PNS1_23onesweep_lookback_stateEbbT6_jjT7_P12ihipStream_tbENKUlT_T0_SG_SL_E_clIS9_SA_SB_SB_EEDaSZ_S10_SG_SL_EUlSZ_E_NS1_11comp_targetILNS1_3genE9ELNS1_11target_archE1100ELNS1_3gpuE3ELNS1_3repE0EEENS1_47radix_sort_onesweep_sort_config_static_selectorELNS0_4arch9wavefront6targetE0EEEvSG_
		.amdhsa_group_segment_fixed_size 0
		.amdhsa_private_segment_fixed_size 0
		.amdhsa_kernarg_size 88
		.amdhsa_user_sgpr_count 2
		.amdhsa_user_sgpr_dispatch_ptr 0
		.amdhsa_user_sgpr_queue_ptr 0
		.amdhsa_user_sgpr_kernarg_segment_ptr 1
		.amdhsa_user_sgpr_dispatch_id 0
		.amdhsa_user_sgpr_kernarg_preload_length 0
		.amdhsa_user_sgpr_kernarg_preload_offset 0
		.amdhsa_user_sgpr_private_segment_size 0
		.amdhsa_wavefront_size32 1
		.amdhsa_uses_dynamic_stack 0
		.amdhsa_enable_private_segment 0
		.amdhsa_system_sgpr_workgroup_id_x 1
		.amdhsa_system_sgpr_workgroup_id_y 0
		.amdhsa_system_sgpr_workgroup_id_z 0
		.amdhsa_system_sgpr_workgroup_info 0
		.amdhsa_system_vgpr_workitem_id 0
		.amdhsa_next_free_vgpr 1
		.amdhsa_next_free_sgpr 1
		.amdhsa_named_barrier_count 0
		.amdhsa_reserve_vcc 0
		.amdhsa_float_round_mode_32 0
		.amdhsa_float_round_mode_16_64 0
		.amdhsa_float_denorm_mode_32 3
		.amdhsa_float_denorm_mode_16_64 3
		.amdhsa_fp16_overflow 0
		.amdhsa_memory_ordered 1
		.amdhsa_forward_progress 1
		.amdhsa_inst_pref_size 0
		.amdhsa_round_robin_scheduling 0
		.amdhsa_exception_fp_ieee_invalid_op 0
		.amdhsa_exception_fp_denorm_src 0
		.amdhsa_exception_fp_ieee_div_zero 0
		.amdhsa_exception_fp_ieee_overflow 0
		.amdhsa_exception_fp_ieee_underflow 0
		.amdhsa_exception_fp_ieee_inexact 0
		.amdhsa_exception_int_div_zero 0
	.end_amdhsa_kernel
	.section	.text._ZN7rocprim17ROCPRIM_400000_NS6detail17trampoline_kernelINS0_14default_configENS1_35radix_sort_onesweep_config_selectorIbNS0_10empty_typeEEEZZNS1_29radix_sort_onesweep_iterationIS3_Lb1EPKbPbPS5_SB_mNS0_19identity_decomposerENS1_16block_id_wrapperIjLb1EEEEE10hipError_tT1_PNSt15iterator_traitsISG_E10value_typeET2_T3_PNSH_ISM_E10value_typeET4_T5_PSR_SS_PNS1_23onesweep_lookback_stateEbbT6_jjT7_P12ihipStream_tbENKUlT_T0_SG_SL_E_clIS9_SA_SB_SB_EEDaSZ_S10_SG_SL_EUlSZ_E_NS1_11comp_targetILNS1_3genE9ELNS1_11target_archE1100ELNS1_3gpuE3ELNS1_3repE0EEENS1_47radix_sort_onesweep_sort_config_static_selectorELNS0_4arch9wavefront6targetE0EEEvSG_,"axG",@progbits,_ZN7rocprim17ROCPRIM_400000_NS6detail17trampoline_kernelINS0_14default_configENS1_35radix_sort_onesweep_config_selectorIbNS0_10empty_typeEEEZZNS1_29radix_sort_onesweep_iterationIS3_Lb1EPKbPbPS5_SB_mNS0_19identity_decomposerENS1_16block_id_wrapperIjLb1EEEEE10hipError_tT1_PNSt15iterator_traitsISG_E10value_typeET2_T3_PNSH_ISM_E10value_typeET4_T5_PSR_SS_PNS1_23onesweep_lookback_stateEbbT6_jjT7_P12ihipStream_tbENKUlT_T0_SG_SL_E_clIS9_SA_SB_SB_EEDaSZ_S10_SG_SL_EUlSZ_E_NS1_11comp_targetILNS1_3genE9ELNS1_11target_archE1100ELNS1_3gpuE3ELNS1_3repE0EEENS1_47radix_sort_onesweep_sort_config_static_selectorELNS0_4arch9wavefront6targetE0EEEvSG_,comdat
.Lfunc_end1748:
	.size	_ZN7rocprim17ROCPRIM_400000_NS6detail17trampoline_kernelINS0_14default_configENS1_35radix_sort_onesweep_config_selectorIbNS0_10empty_typeEEEZZNS1_29radix_sort_onesweep_iterationIS3_Lb1EPKbPbPS5_SB_mNS0_19identity_decomposerENS1_16block_id_wrapperIjLb1EEEEE10hipError_tT1_PNSt15iterator_traitsISG_E10value_typeET2_T3_PNSH_ISM_E10value_typeET4_T5_PSR_SS_PNS1_23onesweep_lookback_stateEbbT6_jjT7_P12ihipStream_tbENKUlT_T0_SG_SL_E_clIS9_SA_SB_SB_EEDaSZ_S10_SG_SL_EUlSZ_E_NS1_11comp_targetILNS1_3genE9ELNS1_11target_archE1100ELNS1_3gpuE3ELNS1_3repE0EEENS1_47radix_sort_onesweep_sort_config_static_selectorELNS0_4arch9wavefront6targetE0EEEvSG_, .Lfunc_end1748-_ZN7rocprim17ROCPRIM_400000_NS6detail17trampoline_kernelINS0_14default_configENS1_35radix_sort_onesweep_config_selectorIbNS0_10empty_typeEEEZZNS1_29radix_sort_onesweep_iterationIS3_Lb1EPKbPbPS5_SB_mNS0_19identity_decomposerENS1_16block_id_wrapperIjLb1EEEEE10hipError_tT1_PNSt15iterator_traitsISG_E10value_typeET2_T3_PNSH_ISM_E10value_typeET4_T5_PSR_SS_PNS1_23onesweep_lookback_stateEbbT6_jjT7_P12ihipStream_tbENKUlT_T0_SG_SL_E_clIS9_SA_SB_SB_EEDaSZ_S10_SG_SL_EUlSZ_E_NS1_11comp_targetILNS1_3genE9ELNS1_11target_archE1100ELNS1_3gpuE3ELNS1_3repE0EEENS1_47radix_sort_onesweep_sort_config_static_selectorELNS0_4arch9wavefront6targetE0EEEvSG_
                                        ; -- End function
	.set _ZN7rocprim17ROCPRIM_400000_NS6detail17trampoline_kernelINS0_14default_configENS1_35radix_sort_onesweep_config_selectorIbNS0_10empty_typeEEEZZNS1_29radix_sort_onesweep_iterationIS3_Lb1EPKbPbPS5_SB_mNS0_19identity_decomposerENS1_16block_id_wrapperIjLb1EEEEE10hipError_tT1_PNSt15iterator_traitsISG_E10value_typeET2_T3_PNSH_ISM_E10value_typeET4_T5_PSR_SS_PNS1_23onesweep_lookback_stateEbbT6_jjT7_P12ihipStream_tbENKUlT_T0_SG_SL_E_clIS9_SA_SB_SB_EEDaSZ_S10_SG_SL_EUlSZ_E_NS1_11comp_targetILNS1_3genE9ELNS1_11target_archE1100ELNS1_3gpuE3ELNS1_3repE0EEENS1_47radix_sort_onesweep_sort_config_static_selectorELNS0_4arch9wavefront6targetE0EEEvSG_.num_vgpr, 0
	.set _ZN7rocprim17ROCPRIM_400000_NS6detail17trampoline_kernelINS0_14default_configENS1_35radix_sort_onesweep_config_selectorIbNS0_10empty_typeEEEZZNS1_29radix_sort_onesweep_iterationIS3_Lb1EPKbPbPS5_SB_mNS0_19identity_decomposerENS1_16block_id_wrapperIjLb1EEEEE10hipError_tT1_PNSt15iterator_traitsISG_E10value_typeET2_T3_PNSH_ISM_E10value_typeET4_T5_PSR_SS_PNS1_23onesweep_lookback_stateEbbT6_jjT7_P12ihipStream_tbENKUlT_T0_SG_SL_E_clIS9_SA_SB_SB_EEDaSZ_S10_SG_SL_EUlSZ_E_NS1_11comp_targetILNS1_3genE9ELNS1_11target_archE1100ELNS1_3gpuE3ELNS1_3repE0EEENS1_47radix_sort_onesweep_sort_config_static_selectorELNS0_4arch9wavefront6targetE0EEEvSG_.num_agpr, 0
	.set _ZN7rocprim17ROCPRIM_400000_NS6detail17trampoline_kernelINS0_14default_configENS1_35radix_sort_onesweep_config_selectorIbNS0_10empty_typeEEEZZNS1_29radix_sort_onesweep_iterationIS3_Lb1EPKbPbPS5_SB_mNS0_19identity_decomposerENS1_16block_id_wrapperIjLb1EEEEE10hipError_tT1_PNSt15iterator_traitsISG_E10value_typeET2_T3_PNSH_ISM_E10value_typeET4_T5_PSR_SS_PNS1_23onesweep_lookback_stateEbbT6_jjT7_P12ihipStream_tbENKUlT_T0_SG_SL_E_clIS9_SA_SB_SB_EEDaSZ_S10_SG_SL_EUlSZ_E_NS1_11comp_targetILNS1_3genE9ELNS1_11target_archE1100ELNS1_3gpuE3ELNS1_3repE0EEENS1_47radix_sort_onesweep_sort_config_static_selectorELNS0_4arch9wavefront6targetE0EEEvSG_.numbered_sgpr, 0
	.set _ZN7rocprim17ROCPRIM_400000_NS6detail17trampoline_kernelINS0_14default_configENS1_35radix_sort_onesweep_config_selectorIbNS0_10empty_typeEEEZZNS1_29radix_sort_onesweep_iterationIS3_Lb1EPKbPbPS5_SB_mNS0_19identity_decomposerENS1_16block_id_wrapperIjLb1EEEEE10hipError_tT1_PNSt15iterator_traitsISG_E10value_typeET2_T3_PNSH_ISM_E10value_typeET4_T5_PSR_SS_PNS1_23onesweep_lookback_stateEbbT6_jjT7_P12ihipStream_tbENKUlT_T0_SG_SL_E_clIS9_SA_SB_SB_EEDaSZ_S10_SG_SL_EUlSZ_E_NS1_11comp_targetILNS1_3genE9ELNS1_11target_archE1100ELNS1_3gpuE3ELNS1_3repE0EEENS1_47radix_sort_onesweep_sort_config_static_selectorELNS0_4arch9wavefront6targetE0EEEvSG_.num_named_barrier, 0
	.set _ZN7rocprim17ROCPRIM_400000_NS6detail17trampoline_kernelINS0_14default_configENS1_35radix_sort_onesweep_config_selectorIbNS0_10empty_typeEEEZZNS1_29radix_sort_onesweep_iterationIS3_Lb1EPKbPbPS5_SB_mNS0_19identity_decomposerENS1_16block_id_wrapperIjLb1EEEEE10hipError_tT1_PNSt15iterator_traitsISG_E10value_typeET2_T3_PNSH_ISM_E10value_typeET4_T5_PSR_SS_PNS1_23onesweep_lookback_stateEbbT6_jjT7_P12ihipStream_tbENKUlT_T0_SG_SL_E_clIS9_SA_SB_SB_EEDaSZ_S10_SG_SL_EUlSZ_E_NS1_11comp_targetILNS1_3genE9ELNS1_11target_archE1100ELNS1_3gpuE3ELNS1_3repE0EEENS1_47radix_sort_onesweep_sort_config_static_selectorELNS0_4arch9wavefront6targetE0EEEvSG_.private_seg_size, 0
	.set _ZN7rocprim17ROCPRIM_400000_NS6detail17trampoline_kernelINS0_14default_configENS1_35radix_sort_onesweep_config_selectorIbNS0_10empty_typeEEEZZNS1_29radix_sort_onesweep_iterationIS3_Lb1EPKbPbPS5_SB_mNS0_19identity_decomposerENS1_16block_id_wrapperIjLb1EEEEE10hipError_tT1_PNSt15iterator_traitsISG_E10value_typeET2_T3_PNSH_ISM_E10value_typeET4_T5_PSR_SS_PNS1_23onesweep_lookback_stateEbbT6_jjT7_P12ihipStream_tbENKUlT_T0_SG_SL_E_clIS9_SA_SB_SB_EEDaSZ_S10_SG_SL_EUlSZ_E_NS1_11comp_targetILNS1_3genE9ELNS1_11target_archE1100ELNS1_3gpuE3ELNS1_3repE0EEENS1_47radix_sort_onesweep_sort_config_static_selectorELNS0_4arch9wavefront6targetE0EEEvSG_.uses_vcc, 0
	.set _ZN7rocprim17ROCPRIM_400000_NS6detail17trampoline_kernelINS0_14default_configENS1_35radix_sort_onesweep_config_selectorIbNS0_10empty_typeEEEZZNS1_29radix_sort_onesweep_iterationIS3_Lb1EPKbPbPS5_SB_mNS0_19identity_decomposerENS1_16block_id_wrapperIjLb1EEEEE10hipError_tT1_PNSt15iterator_traitsISG_E10value_typeET2_T3_PNSH_ISM_E10value_typeET4_T5_PSR_SS_PNS1_23onesweep_lookback_stateEbbT6_jjT7_P12ihipStream_tbENKUlT_T0_SG_SL_E_clIS9_SA_SB_SB_EEDaSZ_S10_SG_SL_EUlSZ_E_NS1_11comp_targetILNS1_3genE9ELNS1_11target_archE1100ELNS1_3gpuE3ELNS1_3repE0EEENS1_47radix_sort_onesweep_sort_config_static_selectorELNS0_4arch9wavefront6targetE0EEEvSG_.uses_flat_scratch, 0
	.set _ZN7rocprim17ROCPRIM_400000_NS6detail17trampoline_kernelINS0_14default_configENS1_35radix_sort_onesweep_config_selectorIbNS0_10empty_typeEEEZZNS1_29radix_sort_onesweep_iterationIS3_Lb1EPKbPbPS5_SB_mNS0_19identity_decomposerENS1_16block_id_wrapperIjLb1EEEEE10hipError_tT1_PNSt15iterator_traitsISG_E10value_typeET2_T3_PNSH_ISM_E10value_typeET4_T5_PSR_SS_PNS1_23onesweep_lookback_stateEbbT6_jjT7_P12ihipStream_tbENKUlT_T0_SG_SL_E_clIS9_SA_SB_SB_EEDaSZ_S10_SG_SL_EUlSZ_E_NS1_11comp_targetILNS1_3genE9ELNS1_11target_archE1100ELNS1_3gpuE3ELNS1_3repE0EEENS1_47radix_sort_onesweep_sort_config_static_selectorELNS0_4arch9wavefront6targetE0EEEvSG_.has_dyn_sized_stack, 0
	.set _ZN7rocprim17ROCPRIM_400000_NS6detail17trampoline_kernelINS0_14default_configENS1_35radix_sort_onesweep_config_selectorIbNS0_10empty_typeEEEZZNS1_29radix_sort_onesweep_iterationIS3_Lb1EPKbPbPS5_SB_mNS0_19identity_decomposerENS1_16block_id_wrapperIjLb1EEEEE10hipError_tT1_PNSt15iterator_traitsISG_E10value_typeET2_T3_PNSH_ISM_E10value_typeET4_T5_PSR_SS_PNS1_23onesweep_lookback_stateEbbT6_jjT7_P12ihipStream_tbENKUlT_T0_SG_SL_E_clIS9_SA_SB_SB_EEDaSZ_S10_SG_SL_EUlSZ_E_NS1_11comp_targetILNS1_3genE9ELNS1_11target_archE1100ELNS1_3gpuE3ELNS1_3repE0EEENS1_47radix_sort_onesweep_sort_config_static_selectorELNS0_4arch9wavefront6targetE0EEEvSG_.has_recursion, 0
	.set _ZN7rocprim17ROCPRIM_400000_NS6detail17trampoline_kernelINS0_14default_configENS1_35radix_sort_onesweep_config_selectorIbNS0_10empty_typeEEEZZNS1_29radix_sort_onesweep_iterationIS3_Lb1EPKbPbPS5_SB_mNS0_19identity_decomposerENS1_16block_id_wrapperIjLb1EEEEE10hipError_tT1_PNSt15iterator_traitsISG_E10value_typeET2_T3_PNSH_ISM_E10value_typeET4_T5_PSR_SS_PNS1_23onesweep_lookback_stateEbbT6_jjT7_P12ihipStream_tbENKUlT_T0_SG_SL_E_clIS9_SA_SB_SB_EEDaSZ_S10_SG_SL_EUlSZ_E_NS1_11comp_targetILNS1_3genE9ELNS1_11target_archE1100ELNS1_3gpuE3ELNS1_3repE0EEENS1_47radix_sort_onesweep_sort_config_static_selectorELNS0_4arch9wavefront6targetE0EEEvSG_.has_indirect_call, 0
	.section	.AMDGPU.csdata,"",@progbits
; Kernel info:
; codeLenInByte = 0
; TotalNumSgprs: 0
; NumVgprs: 0
; ScratchSize: 0
; MemoryBound: 0
; FloatMode: 240
; IeeeMode: 1
; LDSByteSize: 0 bytes/workgroup (compile time only)
; SGPRBlocks: 0
; VGPRBlocks: 0
; NumSGPRsForWavesPerEU: 1
; NumVGPRsForWavesPerEU: 1
; NamedBarCnt: 0
; Occupancy: 16
; WaveLimiterHint : 0
; COMPUTE_PGM_RSRC2:SCRATCH_EN: 0
; COMPUTE_PGM_RSRC2:USER_SGPR: 2
; COMPUTE_PGM_RSRC2:TRAP_HANDLER: 0
; COMPUTE_PGM_RSRC2:TGID_X_EN: 1
; COMPUTE_PGM_RSRC2:TGID_Y_EN: 0
; COMPUTE_PGM_RSRC2:TGID_Z_EN: 0
; COMPUTE_PGM_RSRC2:TIDIG_COMP_CNT: 0
	.section	.text._ZN7rocprim17ROCPRIM_400000_NS6detail17trampoline_kernelINS0_14default_configENS1_35radix_sort_onesweep_config_selectorIbNS0_10empty_typeEEEZZNS1_29radix_sort_onesweep_iterationIS3_Lb1EPKbPbPS5_SB_mNS0_19identity_decomposerENS1_16block_id_wrapperIjLb1EEEEE10hipError_tT1_PNSt15iterator_traitsISG_E10value_typeET2_T3_PNSH_ISM_E10value_typeET4_T5_PSR_SS_PNS1_23onesweep_lookback_stateEbbT6_jjT7_P12ihipStream_tbENKUlT_T0_SG_SL_E_clIS9_SA_SB_SB_EEDaSZ_S10_SG_SL_EUlSZ_E_NS1_11comp_targetILNS1_3genE8ELNS1_11target_archE1030ELNS1_3gpuE2ELNS1_3repE0EEENS1_47radix_sort_onesweep_sort_config_static_selectorELNS0_4arch9wavefront6targetE0EEEvSG_,"axG",@progbits,_ZN7rocprim17ROCPRIM_400000_NS6detail17trampoline_kernelINS0_14default_configENS1_35radix_sort_onesweep_config_selectorIbNS0_10empty_typeEEEZZNS1_29radix_sort_onesweep_iterationIS3_Lb1EPKbPbPS5_SB_mNS0_19identity_decomposerENS1_16block_id_wrapperIjLb1EEEEE10hipError_tT1_PNSt15iterator_traitsISG_E10value_typeET2_T3_PNSH_ISM_E10value_typeET4_T5_PSR_SS_PNS1_23onesweep_lookback_stateEbbT6_jjT7_P12ihipStream_tbENKUlT_T0_SG_SL_E_clIS9_SA_SB_SB_EEDaSZ_S10_SG_SL_EUlSZ_E_NS1_11comp_targetILNS1_3genE8ELNS1_11target_archE1030ELNS1_3gpuE2ELNS1_3repE0EEENS1_47radix_sort_onesweep_sort_config_static_selectorELNS0_4arch9wavefront6targetE0EEEvSG_,comdat
	.protected	_ZN7rocprim17ROCPRIM_400000_NS6detail17trampoline_kernelINS0_14default_configENS1_35radix_sort_onesweep_config_selectorIbNS0_10empty_typeEEEZZNS1_29radix_sort_onesweep_iterationIS3_Lb1EPKbPbPS5_SB_mNS0_19identity_decomposerENS1_16block_id_wrapperIjLb1EEEEE10hipError_tT1_PNSt15iterator_traitsISG_E10value_typeET2_T3_PNSH_ISM_E10value_typeET4_T5_PSR_SS_PNS1_23onesweep_lookback_stateEbbT6_jjT7_P12ihipStream_tbENKUlT_T0_SG_SL_E_clIS9_SA_SB_SB_EEDaSZ_S10_SG_SL_EUlSZ_E_NS1_11comp_targetILNS1_3genE8ELNS1_11target_archE1030ELNS1_3gpuE2ELNS1_3repE0EEENS1_47radix_sort_onesweep_sort_config_static_selectorELNS0_4arch9wavefront6targetE0EEEvSG_ ; -- Begin function _ZN7rocprim17ROCPRIM_400000_NS6detail17trampoline_kernelINS0_14default_configENS1_35radix_sort_onesweep_config_selectorIbNS0_10empty_typeEEEZZNS1_29radix_sort_onesweep_iterationIS3_Lb1EPKbPbPS5_SB_mNS0_19identity_decomposerENS1_16block_id_wrapperIjLb1EEEEE10hipError_tT1_PNSt15iterator_traitsISG_E10value_typeET2_T3_PNSH_ISM_E10value_typeET4_T5_PSR_SS_PNS1_23onesweep_lookback_stateEbbT6_jjT7_P12ihipStream_tbENKUlT_T0_SG_SL_E_clIS9_SA_SB_SB_EEDaSZ_S10_SG_SL_EUlSZ_E_NS1_11comp_targetILNS1_3genE8ELNS1_11target_archE1030ELNS1_3gpuE2ELNS1_3repE0EEENS1_47radix_sort_onesweep_sort_config_static_selectorELNS0_4arch9wavefront6targetE0EEEvSG_
	.globl	_ZN7rocprim17ROCPRIM_400000_NS6detail17trampoline_kernelINS0_14default_configENS1_35radix_sort_onesweep_config_selectorIbNS0_10empty_typeEEEZZNS1_29radix_sort_onesweep_iterationIS3_Lb1EPKbPbPS5_SB_mNS0_19identity_decomposerENS1_16block_id_wrapperIjLb1EEEEE10hipError_tT1_PNSt15iterator_traitsISG_E10value_typeET2_T3_PNSH_ISM_E10value_typeET4_T5_PSR_SS_PNS1_23onesweep_lookback_stateEbbT6_jjT7_P12ihipStream_tbENKUlT_T0_SG_SL_E_clIS9_SA_SB_SB_EEDaSZ_S10_SG_SL_EUlSZ_E_NS1_11comp_targetILNS1_3genE8ELNS1_11target_archE1030ELNS1_3gpuE2ELNS1_3repE0EEENS1_47radix_sort_onesweep_sort_config_static_selectorELNS0_4arch9wavefront6targetE0EEEvSG_
	.p2align	8
	.type	_ZN7rocprim17ROCPRIM_400000_NS6detail17trampoline_kernelINS0_14default_configENS1_35radix_sort_onesweep_config_selectorIbNS0_10empty_typeEEEZZNS1_29radix_sort_onesweep_iterationIS3_Lb1EPKbPbPS5_SB_mNS0_19identity_decomposerENS1_16block_id_wrapperIjLb1EEEEE10hipError_tT1_PNSt15iterator_traitsISG_E10value_typeET2_T3_PNSH_ISM_E10value_typeET4_T5_PSR_SS_PNS1_23onesweep_lookback_stateEbbT6_jjT7_P12ihipStream_tbENKUlT_T0_SG_SL_E_clIS9_SA_SB_SB_EEDaSZ_S10_SG_SL_EUlSZ_E_NS1_11comp_targetILNS1_3genE8ELNS1_11target_archE1030ELNS1_3gpuE2ELNS1_3repE0EEENS1_47radix_sort_onesweep_sort_config_static_selectorELNS0_4arch9wavefront6targetE0EEEvSG_,@function
_ZN7rocprim17ROCPRIM_400000_NS6detail17trampoline_kernelINS0_14default_configENS1_35radix_sort_onesweep_config_selectorIbNS0_10empty_typeEEEZZNS1_29radix_sort_onesweep_iterationIS3_Lb1EPKbPbPS5_SB_mNS0_19identity_decomposerENS1_16block_id_wrapperIjLb1EEEEE10hipError_tT1_PNSt15iterator_traitsISG_E10value_typeET2_T3_PNSH_ISM_E10value_typeET4_T5_PSR_SS_PNS1_23onesweep_lookback_stateEbbT6_jjT7_P12ihipStream_tbENKUlT_T0_SG_SL_E_clIS9_SA_SB_SB_EEDaSZ_S10_SG_SL_EUlSZ_E_NS1_11comp_targetILNS1_3genE8ELNS1_11target_archE1030ELNS1_3gpuE2ELNS1_3repE0EEENS1_47radix_sort_onesweep_sort_config_static_selectorELNS0_4arch9wavefront6targetE0EEEvSG_: ; @_ZN7rocprim17ROCPRIM_400000_NS6detail17trampoline_kernelINS0_14default_configENS1_35radix_sort_onesweep_config_selectorIbNS0_10empty_typeEEEZZNS1_29radix_sort_onesweep_iterationIS3_Lb1EPKbPbPS5_SB_mNS0_19identity_decomposerENS1_16block_id_wrapperIjLb1EEEEE10hipError_tT1_PNSt15iterator_traitsISG_E10value_typeET2_T3_PNSH_ISM_E10value_typeET4_T5_PSR_SS_PNS1_23onesweep_lookback_stateEbbT6_jjT7_P12ihipStream_tbENKUlT_T0_SG_SL_E_clIS9_SA_SB_SB_EEDaSZ_S10_SG_SL_EUlSZ_E_NS1_11comp_targetILNS1_3genE8ELNS1_11target_archE1030ELNS1_3gpuE2ELNS1_3repE0EEENS1_47radix_sort_onesweep_sort_config_static_selectorELNS0_4arch9wavefront6targetE0EEEvSG_
; %bb.0:
	.section	.rodata,"a",@progbits
	.p2align	6, 0x0
	.amdhsa_kernel _ZN7rocprim17ROCPRIM_400000_NS6detail17trampoline_kernelINS0_14default_configENS1_35radix_sort_onesweep_config_selectorIbNS0_10empty_typeEEEZZNS1_29radix_sort_onesweep_iterationIS3_Lb1EPKbPbPS5_SB_mNS0_19identity_decomposerENS1_16block_id_wrapperIjLb1EEEEE10hipError_tT1_PNSt15iterator_traitsISG_E10value_typeET2_T3_PNSH_ISM_E10value_typeET4_T5_PSR_SS_PNS1_23onesweep_lookback_stateEbbT6_jjT7_P12ihipStream_tbENKUlT_T0_SG_SL_E_clIS9_SA_SB_SB_EEDaSZ_S10_SG_SL_EUlSZ_E_NS1_11comp_targetILNS1_3genE8ELNS1_11target_archE1030ELNS1_3gpuE2ELNS1_3repE0EEENS1_47radix_sort_onesweep_sort_config_static_selectorELNS0_4arch9wavefront6targetE0EEEvSG_
		.amdhsa_group_segment_fixed_size 0
		.amdhsa_private_segment_fixed_size 0
		.amdhsa_kernarg_size 88
		.amdhsa_user_sgpr_count 2
		.amdhsa_user_sgpr_dispatch_ptr 0
		.amdhsa_user_sgpr_queue_ptr 0
		.amdhsa_user_sgpr_kernarg_segment_ptr 1
		.amdhsa_user_sgpr_dispatch_id 0
		.amdhsa_user_sgpr_kernarg_preload_length 0
		.amdhsa_user_sgpr_kernarg_preload_offset 0
		.amdhsa_user_sgpr_private_segment_size 0
		.amdhsa_wavefront_size32 1
		.amdhsa_uses_dynamic_stack 0
		.amdhsa_enable_private_segment 0
		.amdhsa_system_sgpr_workgroup_id_x 1
		.amdhsa_system_sgpr_workgroup_id_y 0
		.amdhsa_system_sgpr_workgroup_id_z 0
		.amdhsa_system_sgpr_workgroup_info 0
		.amdhsa_system_vgpr_workitem_id 0
		.amdhsa_next_free_vgpr 1
		.amdhsa_next_free_sgpr 1
		.amdhsa_named_barrier_count 0
		.amdhsa_reserve_vcc 0
		.amdhsa_float_round_mode_32 0
		.amdhsa_float_round_mode_16_64 0
		.amdhsa_float_denorm_mode_32 3
		.amdhsa_float_denorm_mode_16_64 3
		.amdhsa_fp16_overflow 0
		.amdhsa_memory_ordered 1
		.amdhsa_forward_progress 1
		.amdhsa_inst_pref_size 0
		.amdhsa_round_robin_scheduling 0
		.amdhsa_exception_fp_ieee_invalid_op 0
		.amdhsa_exception_fp_denorm_src 0
		.amdhsa_exception_fp_ieee_div_zero 0
		.amdhsa_exception_fp_ieee_overflow 0
		.amdhsa_exception_fp_ieee_underflow 0
		.amdhsa_exception_fp_ieee_inexact 0
		.amdhsa_exception_int_div_zero 0
	.end_amdhsa_kernel
	.section	.text._ZN7rocprim17ROCPRIM_400000_NS6detail17trampoline_kernelINS0_14default_configENS1_35radix_sort_onesweep_config_selectorIbNS0_10empty_typeEEEZZNS1_29radix_sort_onesweep_iterationIS3_Lb1EPKbPbPS5_SB_mNS0_19identity_decomposerENS1_16block_id_wrapperIjLb1EEEEE10hipError_tT1_PNSt15iterator_traitsISG_E10value_typeET2_T3_PNSH_ISM_E10value_typeET4_T5_PSR_SS_PNS1_23onesweep_lookback_stateEbbT6_jjT7_P12ihipStream_tbENKUlT_T0_SG_SL_E_clIS9_SA_SB_SB_EEDaSZ_S10_SG_SL_EUlSZ_E_NS1_11comp_targetILNS1_3genE8ELNS1_11target_archE1030ELNS1_3gpuE2ELNS1_3repE0EEENS1_47radix_sort_onesweep_sort_config_static_selectorELNS0_4arch9wavefront6targetE0EEEvSG_,"axG",@progbits,_ZN7rocprim17ROCPRIM_400000_NS6detail17trampoline_kernelINS0_14default_configENS1_35radix_sort_onesweep_config_selectorIbNS0_10empty_typeEEEZZNS1_29radix_sort_onesweep_iterationIS3_Lb1EPKbPbPS5_SB_mNS0_19identity_decomposerENS1_16block_id_wrapperIjLb1EEEEE10hipError_tT1_PNSt15iterator_traitsISG_E10value_typeET2_T3_PNSH_ISM_E10value_typeET4_T5_PSR_SS_PNS1_23onesweep_lookback_stateEbbT6_jjT7_P12ihipStream_tbENKUlT_T0_SG_SL_E_clIS9_SA_SB_SB_EEDaSZ_S10_SG_SL_EUlSZ_E_NS1_11comp_targetILNS1_3genE8ELNS1_11target_archE1030ELNS1_3gpuE2ELNS1_3repE0EEENS1_47radix_sort_onesweep_sort_config_static_selectorELNS0_4arch9wavefront6targetE0EEEvSG_,comdat
.Lfunc_end1749:
	.size	_ZN7rocprim17ROCPRIM_400000_NS6detail17trampoline_kernelINS0_14default_configENS1_35radix_sort_onesweep_config_selectorIbNS0_10empty_typeEEEZZNS1_29radix_sort_onesweep_iterationIS3_Lb1EPKbPbPS5_SB_mNS0_19identity_decomposerENS1_16block_id_wrapperIjLb1EEEEE10hipError_tT1_PNSt15iterator_traitsISG_E10value_typeET2_T3_PNSH_ISM_E10value_typeET4_T5_PSR_SS_PNS1_23onesweep_lookback_stateEbbT6_jjT7_P12ihipStream_tbENKUlT_T0_SG_SL_E_clIS9_SA_SB_SB_EEDaSZ_S10_SG_SL_EUlSZ_E_NS1_11comp_targetILNS1_3genE8ELNS1_11target_archE1030ELNS1_3gpuE2ELNS1_3repE0EEENS1_47radix_sort_onesweep_sort_config_static_selectorELNS0_4arch9wavefront6targetE0EEEvSG_, .Lfunc_end1749-_ZN7rocprim17ROCPRIM_400000_NS6detail17trampoline_kernelINS0_14default_configENS1_35radix_sort_onesweep_config_selectorIbNS0_10empty_typeEEEZZNS1_29radix_sort_onesweep_iterationIS3_Lb1EPKbPbPS5_SB_mNS0_19identity_decomposerENS1_16block_id_wrapperIjLb1EEEEE10hipError_tT1_PNSt15iterator_traitsISG_E10value_typeET2_T3_PNSH_ISM_E10value_typeET4_T5_PSR_SS_PNS1_23onesweep_lookback_stateEbbT6_jjT7_P12ihipStream_tbENKUlT_T0_SG_SL_E_clIS9_SA_SB_SB_EEDaSZ_S10_SG_SL_EUlSZ_E_NS1_11comp_targetILNS1_3genE8ELNS1_11target_archE1030ELNS1_3gpuE2ELNS1_3repE0EEENS1_47radix_sort_onesweep_sort_config_static_selectorELNS0_4arch9wavefront6targetE0EEEvSG_
                                        ; -- End function
	.set _ZN7rocprim17ROCPRIM_400000_NS6detail17trampoline_kernelINS0_14default_configENS1_35radix_sort_onesweep_config_selectorIbNS0_10empty_typeEEEZZNS1_29radix_sort_onesweep_iterationIS3_Lb1EPKbPbPS5_SB_mNS0_19identity_decomposerENS1_16block_id_wrapperIjLb1EEEEE10hipError_tT1_PNSt15iterator_traitsISG_E10value_typeET2_T3_PNSH_ISM_E10value_typeET4_T5_PSR_SS_PNS1_23onesweep_lookback_stateEbbT6_jjT7_P12ihipStream_tbENKUlT_T0_SG_SL_E_clIS9_SA_SB_SB_EEDaSZ_S10_SG_SL_EUlSZ_E_NS1_11comp_targetILNS1_3genE8ELNS1_11target_archE1030ELNS1_3gpuE2ELNS1_3repE0EEENS1_47radix_sort_onesweep_sort_config_static_selectorELNS0_4arch9wavefront6targetE0EEEvSG_.num_vgpr, 0
	.set _ZN7rocprim17ROCPRIM_400000_NS6detail17trampoline_kernelINS0_14default_configENS1_35radix_sort_onesweep_config_selectorIbNS0_10empty_typeEEEZZNS1_29radix_sort_onesweep_iterationIS3_Lb1EPKbPbPS5_SB_mNS0_19identity_decomposerENS1_16block_id_wrapperIjLb1EEEEE10hipError_tT1_PNSt15iterator_traitsISG_E10value_typeET2_T3_PNSH_ISM_E10value_typeET4_T5_PSR_SS_PNS1_23onesweep_lookback_stateEbbT6_jjT7_P12ihipStream_tbENKUlT_T0_SG_SL_E_clIS9_SA_SB_SB_EEDaSZ_S10_SG_SL_EUlSZ_E_NS1_11comp_targetILNS1_3genE8ELNS1_11target_archE1030ELNS1_3gpuE2ELNS1_3repE0EEENS1_47radix_sort_onesweep_sort_config_static_selectorELNS0_4arch9wavefront6targetE0EEEvSG_.num_agpr, 0
	.set _ZN7rocprim17ROCPRIM_400000_NS6detail17trampoline_kernelINS0_14default_configENS1_35radix_sort_onesweep_config_selectorIbNS0_10empty_typeEEEZZNS1_29radix_sort_onesweep_iterationIS3_Lb1EPKbPbPS5_SB_mNS0_19identity_decomposerENS1_16block_id_wrapperIjLb1EEEEE10hipError_tT1_PNSt15iterator_traitsISG_E10value_typeET2_T3_PNSH_ISM_E10value_typeET4_T5_PSR_SS_PNS1_23onesweep_lookback_stateEbbT6_jjT7_P12ihipStream_tbENKUlT_T0_SG_SL_E_clIS9_SA_SB_SB_EEDaSZ_S10_SG_SL_EUlSZ_E_NS1_11comp_targetILNS1_3genE8ELNS1_11target_archE1030ELNS1_3gpuE2ELNS1_3repE0EEENS1_47radix_sort_onesweep_sort_config_static_selectorELNS0_4arch9wavefront6targetE0EEEvSG_.numbered_sgpr, 0
	.set _ZN7rocprim17ROCPRIM_400000_NS6detail17trampoline_kernelINS0_14default_configENS1_35radix_sort_onesweep_config_selectorIbNS0_10empty_typeEEEZZNS1_29radix_sort_onesweep_iterationIS3_Lb1EPKbPbPS5_SB_mNS0_19identity_decomposerENS1_16block_id_wrapperIjLb1EEEEE10hipError_tT1_PNSt15iterator_traitsISG_E10value_typeET2_T3_PNSH_ISM_E10value_typeET4_T5_PSR_SS_PNS1_23onesweep_lookback_stateEbbT6_jjT7_P12ihipStream_tbENKUlT_T0_SG_SL_E_clIS9_SA_SB_SB_EEDaSZ_S10_SG_SL_EUlSZ_E_NS1_11comp_targetILNS1_3genE8ELNS1_11target_archE1030ELNS1_3gpuE2ELNS1_3repE0EEENS1_47radix_sort_onesweep_sort_config_static_selectorELNS0_4arch9wavefront6targetE0EEEvSG_.num_named_barrier, 0
	.set _ZN7rocprim17ROCPRIM_400000_NS6detail17trampoline_kernelINS0_14default_configENS1_35radix_sort_onesweep_config_selectorIbNS0_10empty_typeEEEZZNS1_29radix_sort_onesweep_iterationIS3_Lb1EPKbPbPS5_SB_mNS0_19identity_decomposerENS1_16block_id_wrapperIjLb1EEEEE10hipError_tT1_PNSt15iterator_traitsISG_E10value_typeET2_T3_PNSH_ISM_E10value_typeET4_T5_PSR_SS_PNS1_23onesweep_lookback_stateEbbT6_jjT7_P12ihipStream_tbENKUlT_T0_SG_SL_E_clIS9_SA_SB_SB_EEDaSZ_S10_SG_SL_EUlSZ_E_NS1_11comp_targetILNS1_3genE8ELNS1_11target_archE1030ELNS1_3gpuE2ELNS1_3repE0EEENS1_47radix_sort_onesweep_sort_config_static_selectorELNS0_4arch9wavefront6targetE0EEEvSG_.private_seg_size, 0
	.set _ZN7rocprim17ROCPRIM_400000_NS6detail17trampoline_kernelINS0_14default_configENS1_35radix_sort_onesweep_config_selectorIbNS0_10empty_typeEEEZZNS1_29radix_sort_onesweep_iterationIS3_Lb1EPKbPbPS5_SB_mNS0_19identity_decomposerENS1_16block_id_wrapperIjLb1EEEEE10hipError_tT1_PNSt15iterator_traitsISG_E10value_typeET2_T3_PNSH_ISM_E10value_typeET4_T5_PSR_SS_PNS1_23onesweep_lookback_stateEbbT6_jjT7_P12ihipStream_tbENKUlT_T0_SG_SL_E_clIS9_SA_SB_SB_EEDaSZ_S10_SG_SL_EUlSZ_E_NS1_11comp_targetILNS1_3genE8ELNS1_11target_archE1030ELNS1_3gpuE2ELNS1_3repE0EEENS1_47radix_sort_onesweep_sort_config_static_selectorELNS0_4arch9wavefront6targetE0EEEvSG_.uses_vcc, 0
	.set _ZN7rocprim17ROCPRIM_400000_NS6detail17trampoline_kernelINS0_14default_configENS1_35radix_sort_onesweep_config_selectorIbNS0_10empty_typeEEEZZNS1_29radix_sort_onesweep_iterationIS3_Lb1EPKbPbPS5_SB_mNS0_19identity_decomposerENS1_16block_id_wrapperIjLb1EEEEE10hipError_tT1_PNSt15iterator_traitsISG_E10value_typeET2_T3_PNSH_ISM_E10value_typeET4_T5_PSR_SS_PNS1_23onesweep_lookback_stateEbbT6_jjT7_P12ihipStream_tbENKUlT_T0_SG_SL_E_clIS9_SA_SB_SB_EEDaSZ_S10_SG_SL_EUlSZ_E_NS1_11comp_targetILNS1_3genE8ELNS1_11target_archE1030ELNS1_3gpuE2ELNS1_3repE0EEENS1_47radix_sort_onesweep_sort_config_static_selectorELNS0_4arch9wavefront6targetE0EEEvSG_.uses_flat_scratch, 0
	.set _ZN7rocprim17ROCPRIM_400000_NS6detail17trampoline_kernelINS0_14default_configENS1_35radix_sort_onesweep_config_selectorIbNS0_10empty_typeEEEZZNS1_29radix_sort_onesweep_iterationIS3_Lb1EPKbPbPS5_SB_mNS0_19identity_decomposerENS1_16block_id_wrapperIjLb1EEEEE10hipError_tT1_PNSt15iterator_traitsISG_E10value_typeET2_T3_PNSH_ISM_E10value_typeET4_T5_PSR_SS_PNS1_23onesweep_lookback_stateEbbT6_jjT7_P12ihipStream_tbENKUlT_T0_SG_SL_E_clIS9_SA_SB_SB_EEDaSZ_S10_SG_SL_EUlSZ_E_NS1_11comp_targetILNS1_3genE8ELNS1_11target_archE1030ELNS1_3gpuE2ELNS1_3repE0EEENS1_47radix_sort_onesweep_sort_config_static_selectorELNS0_4arch9wavefront6targetE0EEEvSG_.has_dyn_sized_stack, 0
	.set _ZN7rocprim17ROCPRIM_400000_NS6detail17trampoline_kernelINS0_14default_configENS1_35radix_sort_onesweep_config_selectorIbNS0_10empty_typeEEEZZNS1_29radix_sort_onesweep_iterationIS3_Lb1EPKbPbPS5_SB_mNS0_19identity_decomposerENS1_16block_id_wrapperIjLb1EEEEE10hipError_tT1_PNSt15iterator_traitsISG_E10value_typeET2_T3_PNSH_ISM_E10value_typeET4_T5_PSR_SS_PNS1_23onesweep_lookback_stateEbbT6_jjT7_P12ihipStream_tbENKUlT_T0_SG_SL_E_clIS9_SA_SB_SB_EEDaSZ_S10_SG_SL_EUlSZ_E_NS1_11comp_targetILNS1_3genE8ELNS1_11target_archE1030ELNS1_3gpuE2ELNS1_3repE0EEENS1_47radix_sort_onesweep_sort_config_static_selectorELNS0_4arch9wavefront6targetE0EEEvSG_.has_recursion, 0
	.set _ZN7rocprim17ROCPRIM_400000_NS6detail17trampoline_kernelINS0_14default_configENS1_35radix_sort_onesweep_config_selectorIbNS0_10empty_typeEEEZZNS1_29radix_sort_onesweep_iterationIS3_Lb1EPKbPbPS5_SB_mNS0_19identity_decomposerENS1_16block_id_wrapperIjLb1EEEEE10hipError_tT1_PNSt15iterator_traitsISG_E10value_typeET2_T3_PNSH_ISM_E10value_typeET4_T5_PSR_SS_PNS1_23onesweep_lookback_stateEbbT6_jjT7_P12ihipStream_tbENKUlT_T0_SG_SL_E_clIS9_SA_SB_SB_EEDaSZ_S10_SG_SL_EUlSZ_E_NS1_11comp_targetILNS1_3genE8ELNS1_11target_archE1030ELNS1_3gpuE2ELNS1_3repE0EEENS1_47radix_sort_onesweep_sort_config_static_selectorELNS0_4arch9wavefront6targetE0EEEvSG_.has_indirect_call, 0
	.section	.AMDGPU.csdata,"",@progbits
; Kernel info:
; codeLenInByte = 0
; TotalNumSgprs: 0
; NumVgprs: 0
; ScratchSize: 0
; MemoryBound: 0
; FloatMode: 240
; IeeeMode: 1
; LDSByteSize: 0 bytes/workgroup (compile time only)
; SGPRBlocks: 0
; VGPRBlocks: 0
; NumSGPRsForWavesPerEU: 1
; NumVGPRsForWavesPerEU: 1
; NamedBarCnt: 0
; Occupancy: 16
; WaveLimiterHint : 0
; COMPUTE_PGM_RSRC2:SCRATCH_EN: 0
; COMPUTE_PGM_RSRC2:USER_SGPR: 2
; COMPUTE_PGM_RSRC2:TRAP_HANDLER: 0
; COMPUTE_PGM_RSRC2:TGID_X_EN: 1
; COMPUTE_PGM_RSRC2:TGID_Y_EN: 0
; COMPUTE_PGM_RSRC2:TGID_Z_EN: 0
; COMPUTE_PGM_RSRC2:TIDIG_COMP_CNT: 0
	.section	.text._ZN7rocprim17ROCPRIM_400000_NS6detail17trampoline_kernelINS0_14default_configENS1_35radix_sort_onesweep_config_selectorIbNS0_10empty_typeEEEZZNS1_29radix_sort_onesweep_iterationIS3_Lb1EPKbPbPS5_SB_mNS0_19identity_decomposerENS1_16block_id_wrapperIjLb1EEEEE10hipError_tT1_PNSt15iterator_traitsISG_E10value_typeET2_T3_PNSH_ISM_E10value_typeET4_T5_PSR_SS_PNS1_23onesweep_lookback_stateEbbT6_jjT7_P12ihipStream_tbENKUlT_T0_SG_SL_E_clISA_SA_SB_SB_EEDaSZ_S10_SG_SL_EUlSZ_E_NS1_11comp_targetILNS1_3genE0ELNS1_11target_archE4294967295ELNS1_3gpuE0ELNS1_3repE0EEENS1_47radix_sort_onesweep_sort_config_static_selectorELNS0_4arch9wavefront6targetE0EEEvSG_,"axG",@progbits,_ZN7rocprim17ROCPRIM_400000_NS6detail17trampoline_kernelINS0_14default_configENS1_35radix_sort_onesweep_config_selectorIbNS0_10empty_typeEEEZZNS1_29radix_sort_onesweep_iterationIS3_Lb1EPKbPbPS5_SB_mNS0_19identity_decomposerENS1_16block_id_wrapperIjLb1EEEEE10hipError_tT1_PNSt15iterator_traitsISG_E10value_typeET2_T3_PNSH_ISM_E10value_typeET4_T5_PSR_SS_PNS1_23onesweep_lookback_stateEbbT6_jjT7_P12ihipStream_tbENKUlT_T0_SG_SL_E_clISA_SA_SB_SB_EEDaSZ_S10_SG_SL_EUlSZ_E_NS1_11comp_targetILNS1_3genE0ELNS1_11target_archE4294967295ELNS1_3gpuE0ELNS1_3repE0EEENS1_47radix_sort_onesweep_sort_config_static_selectorELNS0_4arch9wavefront6targetE0EEEvSG_,comdat
	.protected	_ZN7rocprim17ROCPRIM_400000_NS6detail17trampoline_kernelINS0_14default_configENS1_35radix_sort_onesweep_config_selectorIbNS0_10empty_typeEEEZZNS1_29radix_sort_onesweep_iterationIS3_Lb1EPKbPbPS5_SB_mNS0_19identity_decomposerENS1_16block_id_wrapperIjLb1EEEEE10hipError_tT1_PNSt15iterator_traitsISG_E10value_typeET2_T3_PNSH_ISM_E10value_typeET4_T5_PSR_SS_PNS1_23onesweep_lookback_stateEbbT6_jjT7_P12ihipStream_tbENKUlT_T0_SG_SL_E_clISA_SA_SB_SB_EEDaSZ_S10_SG_SL_EUlSZ_E_NS1_11comp_targetILNS1_3genE0ELNS1_11target_archE4294967295ELNS1_3gpuE0ELNS1_3repE0EEENS1_47radix_sort_onesweep_sort_config_static_selectorELNS0_4arch9wavefront6targetE0EEEvSG_ ; -- Begin function _ZN7rocprim17ROCPRIM_400000_NS6detail17trampoline_kernelINS0_14default_configENS1_35radix_sort_onesweep_config_selectorIbNS0_10empty_typeEEEZZNS1_29radix_sort_onesweep_iterationIS3_Lb1EPKbPbPS5_SB_mNS0_19identity_decomposerENS1_16block_id_wrapperIjLb1EEEEE10hipError_tT1_PNSt15iterator_traitsISG_E10value_typeET2_T3_PNSH_ISM_E10value_typeET4_T5_PSR_SS_PNS1_23onesweep_lookback_stateEbbT6_jjT7_P12ihipStream_tbENKUlT_T0_SG_SL_E_clISA_SA_SB_SB_EEDaSZ_S10_SG_SL_EUlSZ_E_NS1_11comp_targetILNS1_3genE0ELNS1_11target_archE4294967295ELNS1_3gpuE0ELNS1_3repE0EEENS1_47radix_sort_onesweep_sort_config_static_selectorELNS0_4arch9wavefront6targetE0EEEvSG_
	.globl	_ZN7rocprim17ROCPRIM_400000_NS6detail17trampoline_kernelINS0_14default_configENS1_35radix_sort_onesweep_config_selectorIbNS0_10empty_typeEEEZZNS1_29radix_sort_onesweep_iterationIS3_Lb1EPKbPbPS5_SB_mNS0_19identity_decomposerENS1_16block_id_wrapperIjLb1EEEEE10hipError_tT1_PNSt15iterator_traitsISG_E10value_typeET2_T3_PNSH_ISM_E10value_typeET4_T5_PSR_SS_PNS1_23onesweep_lookback_stateEbbT6_jjT7_P12ihipStream_tbENKUlT_T0_SG_SL_E_clISA_SA_SB_SB_EEDaSZ_S10_SG_SL_EUlSZ_E_NS1_11comp_targetILNS1_3genE0ELNS1_11target_archE4294967295ELNS1_3gpuE0ELNS1_3repE0EEENS1_47radix_sort_onesweep_sort_config_static_selectorELNS0_4arch9wavefront6targetE0EEEvSG_
	.p2align	8
	.type	_ZN7rocprim17ROCPRIM_400000_NS6detail17trampoline_kernelINS0_14default_configENS1_35radix_sort_onesweep_config_selectorIbNS0_10empty_typeEEEZZNS1_29radix_sort_onesweep_iterationIS3_Lb1EPKbPbPS5_SB_mNS0_19identity_decomposerENS1_16block_id_wrapperIjLb1EEEEE10hipError_tT1_PNSt15iterator_traitsISG_E10value_typeET2_T3_PNSH_ISM_E10value_typeET4_T5_PSR_SS_PNS1_23onesweep_lookback_stateEbbT6_jjT7_P12ihipStream_tbENKUlT_T0_SG_SL_E_clISA_SA_SB_SB_EEDaSZ_S10_SG_SL_EUlSZ_E_NS1_11comp_targetILNS1_3genE0ELNS1_11target_archE4294967295ELNS1_3gpuE0ELNS1_3repE0EEENS1_47radix_sort_onesweep_sort_config_static_selectorELNS0_4arch9wavefront6targetE0EEEvSG_,@function
_ZN7rocprim17ROCPRIM_400000_NS6detail17trampoline_kernelINS0_14default_configENS1_35radix_sort_onesweep_config_selectorIbNS0_10empty_typeEEEZZNS1_29radix_sort_onesweep_iterationIS3_Lb1EPKbPbPS5_SB_mNS0_19identity_decomposerENS1_16block_id_wrapperIjLb1EEEEE10hipError_tT1_PNSt15iterator_traitsISG_E10value_typeET2_T3_PNSH_ISM_E10value_typeET4_T5_PSR_SS_PNS1_23onesweep_lookback_stateEbbT6_jjT7_P12ihipStream_tbENKUlT_T0_SG_SL_E_clISA_SA_SB_SB_EEDaSZ_S10_SG_SL_EUlSZ_E_NS1_11comp_targetILNS1_3genE0ELNS1_11target_archE4294967295ELNS1_3gpuE0ELNS1_3repE0EEENS1_47radix_sort_onesweep_sort_config_static_selectorELNS0_4arch9wavefront6targetE0EEEvSG_: ; @_ZN7rocprim17ROCPRIM_400000_NS6detail17trampoline_kernelINS0_14default_configENS1_35radix_sort_onesweep_config_selectorIbNS0_10empty_typeEEEZZNS1_29radix_sort_onesweep_iterationIS3_Lb1EPKbPbPS5_SB_mNS0_19identity_decomposerENS1_16block_id_wrapperIjLb1EEEEE10hipError_tT1_PNSt15iterator_traitsISG_E10value_typeET2_T3_PNSH_ISM_E10value_typeET4_T5_PSR_SS_PNS1_23onesweep_lookback_stateEbbT6_jjT7_P12ihipStream_tbENKUlT_T0_SG_SL_E_clISA_SA_SB_SB_EEDaSZ_S10_SG_SL_EUlSZ_E_NS1_11comp_targetILNS1_3genE0ELNS1_11target_archE4294967295ELNS1_3gpuE0ELNS1_3repE0EEENS1_47radix_sort_onesweep_sort_config_static_selectorELNS0_4arch9wavefront6targetE0EEEvSG_
; %bb.0:
	s_clause 0x1
	s_load_b128 s[8:11], s[0:1], 0x28
	s_load_b64 s[20:21], s[0:1], 0x38
	s_mov_b32 s2, exec_lo
	v_cmpx_eq_u32_e32 0, v0
	s_cbranch_execz .LBB1750_4
; %bb.1:
	s_mov_b32 s4, exec_lo
	s_mov_b32 s3, exec_lo
	v_mbcnt_lo_u32_b32 v1, s4, 0
                                        ; implicit-def: $vgpr2
	s_delay_alu instid0(VALU_DEP_1)
	v_cmpx_eq_u32_e32 0, v1
	s_cbranch_execz .LBB1750_3
; %bb.2:
	s_load_b64 s[6:7], s[0:1], 0x50
	s_bcnt1_i32_b32 s4, s4
	s_delay_alu instid0(SALU_CYCLE_1)
	v_dual_mov_b32 v2, 0 :: v_dual_mov_b32 v3, s4
	s_wait_xcnt 0x0
	s_wait_kmcnt 0x0
	global_atomic_add_u32 v2, v2, v3, s[6:7] th:TH_ATOMIC_RETURN scope:SCOPE_DEV
.LBB1750_3:
	s_wait_xcnt 0x0
	s_or_b32 exec_lo, exec_lo, s3
	s_wait_loadcnt 0x0
	v_readfirstlane_b32 s3, v2
	s_delay_alu instid0(VALU_DEP_1)
	v_dual_mov_b32 v2, 0 :: v_dual_add_nc_u32 v1, s3, v1
	ds_store_b32 v2, v1 offset:32896
.LBB1750_4:
	s_or_b32 exec_lo, exec_lo, s2
	v_mov_b32_e32 v7, 0
	s_clause 0x2
	s_load_b128 s[12:15], s[0:1], 0x0
	s_load_b32 s2, s[0:1], 0x20
	s_load_b96 s[16:18], s[0:1], 0x44
	s_wait_dscnt 0x0
	s_barrier_signal -1
	s_barrier_wait -1
	ds_load_b32 v1, v7 offset:32896
	v_mul_u32_u24_e32 v6, 22, v0
	s_mov_b32 s3, -1
	s_wait_dscnt 0x0
	s_barrier_signal -1
	s_barrier_wait -1
	v_readfirstlane_b32 s19, v1
	s_wait_kmcnt 0x0
	v_cmp_le_u32_e32 vcc_lo, s18, v1
	s_mul_i32 s22, s19, 0x5800
	s_cbranch_vccz .LBB1750_116
; %bb.5:
	s_mov_b32 s23, 0
	s_mulk_i32 s18, 0xa800
	s_add_nc_u64 s[4:5], s[12:13], s[22:23]
	s_add_co_i32 s18, s18, s2
	v_add_nc_u64_e32 v[2:3], s[4:5], v[6:7]
	v_cmp_gt_u32_e32 vcc_lo, s18, v6
	v_dual_mov_b32 v24, 0 :: v_dual_mov_b32 v23, 0
	v_dual_mov_b32 v22, 0 :: v_dual_mov_b32 v21, 0
	;; [unrolled: 1-line block ×10, first 2 shown]
	s_and_saveexec_b32 s2, vcc_lo
	s_cbranch_execz .LBB1750_7
; %bb.6:
	global_load_u8 v24, v[2:3], off
	v_dual_mov_b32 v23, 0 :: v_dual_mov_b32 v22, 0
	v_dual_mov_b32 v21, 0 :: v_dual_mov_b32 v20, 0
	v_dual_mov_b32 v19, 0 :: v_dual_mov_b32 v18, 0
	v_dual_mov_b32 v17, 0 :: v_dual_mov_b32 v16, 0
	v_dual_mov_b32 v15, 0 :: v_dual_mov_b32 v14, 0
	v_dual_mov_b32 v13, 0 :: v_dual_mov_b32 v12, 0
	v_dual_mov_b32 v11, 0 :: v_dual_mov_b32 v10, 0
	v_dual_mov_b32 v9, 0 :: v_dual_mov_b32 v8, 0
	v_dual_mov_b32 v5, 0 :: v_dual_mov_b32 v4, 0
	v_mov_b32_e32 v1, 0
.LBB1750_7:
	s_wait_xcnt 0x0
	s_or_b32 exec_lo, exec_lo, s2
	v_or_b32_e32 v25, 1, v6
	s_delay_alu instid0(VALU_DEP_1)
	v_cmp_gt_u32_e32 vcc_lo, s18, v25
	v_mov_b32_e32 v25, v7
	s_and_saveexec_b32 s2, vcc_lo
	s_cbranch_execz .LBB1750_9
; %bb.8:
	global_load_u8 v25, v[2:3], off offset:1
.LBB1750_9:
	s_wait_xcnt 0x0
	s_or_b32 exec_lo, exec_lo, s2
	v_add_nc_u32_e32 v26, 2, v6
	s_mov_b32 s2, exec_lo
	s_delay_alu instid0(VALU_DEP_1)
	v_cmpx_gt_u32_e64 s18, v26
	s_cbranch_execz .LBB1750_11
; %bb.10:
	global_load_u8 v7, v[2:3], off offset:2
.LBB1750_11:
	s_wait_xcnt 0x0
	s_or_b32 exec_lo, exec_lo, s2
	v_add_nc_u32_e32 v26, 3, v6
	s_mov_b32 s2, exec_lo
	s_delay_alu instid0(VALU_DEP_1)
	v_cmpx_gt_u32_e64 s18, v26
	;; [unrolled: 10-line block ×20, first 2 shown]
	s_cbranch_execz .LBB1750_49
; %bb.48:
	global_load_u8 v1, v[2:3], off offset:21
.LBB1750_49:
	s_wait_xcnt 0x0
	s_or_b32 exec_lo, exec_lo, s2
	s_wait_loadcnt 0x0
	v_dual_mov_b32 v63, 0 :: v_dual_bitop2_b32 v2, 1, v24 bitop3:0x40
	s_lshl_b32 s23, -1, s17
	v_and_b32_e32 v7, 1, v7
	v_and_b32_e32 v23, 1, v23
	s_delay_alu instid0(VALU_DEP_3)
	v_cmp_eq_u32_e32 vcc_lo, 1, v2
	v_and_b32_e32 v20, 1, v20
	v_and_b32_e32 v18, 1, v18
	;; [unrolled: 1-line block ×4, first 2 shown]
	s_xor_b32 s2, vcc_lo, -1
	v_and_b32_e32 v12, 1, v12
	v_cndmask_b32_e64 v24, 0, 1, s2
	v_and_b32_e32 v10, 1, v10
	v_and_b32_e32 v8, 1, v8
	;; [unrolled: 1-line block ×3, first 2 shown]
	s_delay_alu instid0(VALU_DEP_4) | instskip(SKIP_3) | instid1(VALU_DEP_4)
	v_dual_lshrrev_b32 v2, s16, v24 :: v_dual_bitop2_b32 v3, 1, v25 bitop3:0x40
	v_and_b32_e32 v22, 1, v22
	v_and_b32_e32 v21, 1, v21
	;; [unrolled: 1-line block ×3, first 2 shown]
	v_cmp_eq_u32_e32 vcc_lo, 1, v3
	v_bitop3_b32 v2, v2, s23, v2 bitop3:0x30
	v_and_b32_e32 v17, 1, v17
	v_and_b32_e32 v15, 1, v15
	;; [unrolled: 1-line block ×3, first 2 shown]
	s_xor_b32 s2, vcc_lo, -1
	v_cmp_eq_u32_e32 vcc_lo, 1, v7
	v_cndmask_b32_e64 v25, 0, 1, s2
	v_dual_lshlrev_b32 v61, 2, v0 :: v_dual_bitop2_b32 v11, 1, v11 bitop3:0x40
	v_and_b32_e32 v9, 1, v9
	s_xor_b32 s2, vcc_lo, -1
	s_delay_alu instid0(VALU_DEP_3) | instskip(NEXT) | instid1(VALU_DEP_3)
	v_lshrrev_b32_e32 v3, s16, v25
	v_lshl_or_b32 v2, v2, 12, v61
	ds_store_2addr_stride64_b32 v61, v63, v63 offset1:16
	v_cndmask_b32_e64 v7, 0, 1, s2
	v_cmp_eq_u32_e32 vcc_lo, 1, v23
	v_bitop3_b32 v3, v3, s23, v3 bitop3:0x30
	ds_load_u16 v26, v2
	v_dual_lshrrev_b32 v28, s16, v7 :: v_dual_bitop2_b32 v5, 1, v5 bitop3:0x40
	s_xor_b32 s2, vcc_lo, -1
	v_lshl_or_b32 v3, v3, 12, v61
	v_cndmask_b32_e64 v23, 0, 1, s2
	v_cmp_eq_u32_e32 vcc_lo, 1, v22
	v_bitop3_b32 v28, v28, s23, v28 bitop3:0x30
	v_and_b32_e32 v1, 1, v1
	s_xor_b32 s2, vcc_lo, -1
	s_delay_alu instid0(VALU_DEP_2)
	v_lshl_or_b32 v37, v28, 12, v61
	v_cndmask_b32_e64 v22, 0, 1, s2
	v_cmp_eq_u32_e32 vcc_lo, 1, v21
	s_xor_b32 s2, vcc_lo, -1
	s_wait_dscnt 0x0
	v_add_nc_u16 v27, v26, 1
	v_cndmask_b32_e64 v21, 0, 1, s2
	v_cmp_eq_u32_e32 vcc_lo, 1, v20
	ds_store_b16 v2, v27
	ds_load_u16 v27, v3
	s_xor_b32 s2, vcc_lo, -1
	v_cmp_eq_u32_e32 vcc_lo, 1, v19
	v_cndmask_b32_e64 v20, 0, 1, s2
	s_xor_b32 s2, vcc_lo, -1
	v_cmp_eq_u32_e32 vcc_lo, 1, v18
	v_cndmask_b32_e64 v19, 0, 1, s2
	;; [unrolled: 3-line block ×3, first 2 shown]
	s_xor_b32 s2, vcc_lo, -1
	s_wait_dscnt 0x0
	v_add_nc_u16 v29, v27, 1
	v_cndmask_b32_e64 v17, 0, 1, s2
	v_cmp_eq_u32_e32 vcc_lo, 1, v16
	ds_store_b16 v3, v29
	ds_load_u16 v28, v37
	v_lshrrev_b32_e32 v29, s16, v23
	s_xor_b32 s2, vcc_lo, -1
	v_cmp_eq_u32_e32 vcc_lo, 1, v15
	v_cndmask_b32_e64 v16, 0, 1, s2
	s_delay_alu instid0(VALU_DEP_3) | instskip(SKIP_3) | instid1(VALU_DEP_3)
	v_bitop3_b32 v29, v29, s23, v29 bitop3:0x30
	s_xor_b32 s2, vcc_lo, -1
	v_cmp_eq_u32_e32 vcc_lo, 1, v14
	v_cndmask_b32_e64 v15, 0, 1, s2
	v_lshl_or_b32 v40, v29, 12, v61
	s_xor_b32 s2, vcc_lo, -1
	v_cmp_eq_u32_e32 vcc_lo, 1, v13
	v_cndmask_b32_e64 v14, 0, 1, s2
	s_wait_dscnt 0x0
	v_add_nc_u16 v30, v28, 1
	s_xor_b32 s2, vcc_lo, -1
	v_cmp_eq_u32_e32 vcc_lo, 1, v12
	v_cndmask_b32_e64 v13, 0, 1, s2
	ds_store_b16 v37, v30
	ds_load_u16 v29, v40
	v_lshrrev_b32_e32 v30, s16, v22
	s_xor_b32 s2, vcc_lo, -1
	v_cmp_eq_u32_e32 vcc_lo, 1, v11
	v_cndmask_b32_e64 v12, 0, 1, s2
	s_delay_alu instid0(VALU_DEP_3) | instskip(SKIP_3) | instid1(VALU_DEP_3)
	v_bitop3_b32 v30, v30, s23, v30 bitop3:0x30
	s_xor_b32 s2, vcc_lo, -1
	v_cmp_eq_u32_e32 vcc_lo, 1, v10
	v_cndmask_b32_e64 v11, 0, 1, s2
	v_lshl_or_b32 v43, v30, 12, v61
	s_xor_b32 s2, vcc_lo, -1
	v_cmp_eq_u32_e32 vcc_lo, 1, v9
	v_cndmask_b32_e64 v10, 0, 1, s2
	s_wait_dscnt 0x0
	v_add_nc_u16 v31, v29, 1
	s_xor_b32 s2, vcc_lo, -1
	v_cmp_eq_u32_e32 vcc_lo, 1, v8
	v_cndmask_b32_e64 v9, 0, 1, s2
	ds_store_b16 v40, v31
	ds_load_u16 v30, v43
	v_lshrrev_b32_e32 v31, s16, v21
	s_xor_b32 s2, vcc_lo, -1
	v_cmp_eq_u32_e32 vcc_lo, 1, v5
	v_cndmask_b32_e64 v8, 0, 1, s2
	s_delay_alu instid0(VALU_DEP_3) | instskip(SKIP_2) | instid1(VALU_DEP_2)
	v_bitop3_b32 v31, v31, s23, v31 bitop3:0x30
	s_xor_b32 s2, vcc_lo, -1
	v_cmp_eq_u32_e32 vcc_lo, 1, v45
	v_lshl_or_b32 v46, v31, 12, v61
	s_wait_dscnt 0x0
	v_add_nc_u16 v32, v30, 1
	ds_store_b16 v43, v32
	ds_load_u16 v31, v46
	v_lshrrev_b32_e32 v32, s16, v20
	s_delay_alu instid0(VALU_DEP_1) | instskip(NEXT) | instid1(VALU_DEP_1)
	v_bitop3_b32 v32, v32, s23, v32 bitop3:0x30
	v_lshl_or_b32 v48, v32, 12, v61
	s_wait_dscnt 0x0
	v_add_nc_u16 v33, v31, 1
	ds_store_b16 v46, v33
	ds_load_u16 v32, v48
	v_lshrrev_b32_e32 v33, s16, v19
	s_delay_alu instid0(VALU_DEP_1) | instskip(NEXT) | instid1(VALU_DEP_1)
	v_bitop3_b32 v33, v33, s23, v33 bitop3:0x30
	;; [unrolled: 8-line block ×7, first 2 shown]
	v_lshl_or_b32 v58, v39, 12, v61
	v_lshrrev_b32_e32 v39, s16, v13
	s_delay_alu instid0(VALU_DEP_1) | instskip(SKIP_2) | instid1(VALU_DEP_2)
	v_bitop3_b32 v39, v39, s23, v39 bitop3:0x30
	s_wait_dscnt 0x0
	v_add_nc_u16 v41, v38, 1
	v_lshl_or_b32 v60, v39, 12, v61
	v_lshrrev_b32_e32 v39, s16, v12
	ds_store_b16 v57, v41
	ds_load_u16 v41, v58
	v_bitop3_b32 v39, v39, s23, v39 bitop3:0x30
	s_delay_alu instid0(VALU_DEP_1) | instskip(SKIP_1) | instid1(VALU_DEP_1)
	v_lshl_or_b32 v62, v39, 12, v61
	v_lshrrev_b32_e32 v39, s16, v11
	v_bitop3_b32 v39, v39, s23, v39 bitop3:0x30
	s_delay_alu instid0(VALU_DEP_1) | instskip(SKIP_3) | instid1(VALU_DEP_2)
	v_lshl_or_b32 v64, v39, 12, v61
	v_lshrrev_b32_e32 v39, s16, v10
	s_wait_dscnt 0x0
	v_add_nc_u16 v42, v41, 1
	v_bitop3_b32 v39, v39, s23, v39 bitop3:0x30
	ds_store_b16 v58, v42
	ds_load_u16 v44, v60
	v_lshl_or_b32 v65, v39, 12, v61
	v_lshrrev_b32_e32 v39, s16, v9
	s_delay_alu instid0(VALU_DEP_1) | instskip(NEXT) | instid1(VALU_DEP_1)
	v_bitop3_b32 v39, v39, s23, v39 bitop3:0x30
	v_lshl_or_b32 v66, v39, 12, v61
	v_lshrrev_b32_e32 v39, s16, v8
	s_wait_dscnt 0x0
	v_add_nc_u16 v42, v44, 1
	s_delay_alu instid0(VALU_DEP_2)
	v_bitop3_b32 v39, v39, s23, v39 bitop3:0x30
	ds_store_b16 v60, v42
	ds_load_u16 v47, v62
	v_lshl_or_b32 v67, v39, 12, v61
	v_cndmask_b32_e64 v39, 0, 1, s2
	s_xor_b32 s2, vcc_lo, -1
	v_cmp_eq_u32_e32 vcc_lo, 1, v1
	s_wait_dscnt 0x0
	v_add_nc_u16 v42, v47, 1
	ds_store_b16 v62, v42
	ds_load_u16 v49, v64
	s_wait_dscnt 0x0
	v_add_nc_u16 v42, v49, 1
	ds_store_b16 v64, v42
	ds_load_u16 v51, v65
	;; [unrolled: 4-line block ×4, first 2 shown]
	v_lshrrev_b32_e32 v42, s16, v39
	s_delay_alu instid0(VALU_DEP_1) | instskip(NEXT) | instid1(VALU_DEP_1)
	v_bitop3_b32 v42, v42, s23, v42 bitop3:0x30
	v_lshl_or_b32 v4, v42, 12, v61
	v_cndmask_b32_e64 v42, 0, 1, s2
	s_xor_b32 s2, vcc_lo, -1
	s_delay_alu instid0(VALU_DEP_1) | instskip(SKIP_2) | instid1(VALU_DEP_2)
	v_lshrrev_b32_e32 v45, s16, v42
	s_wait_dscnt 0x0
	v_add_nc_u16 v56, v5, 1
	v_bitop3_b32 v45, v45, s23, v45 bitop3:0x30
	ds_store_b16 v67, v56
	ds_load_u16 v56, v4
	v_lshl_or_b32 v68, v45, 12, v61
	v_cndmask_b32_e64 v45, 0, 1, s2
	s_wait_dscnt 0x0
	v_add_nc_u16 v59, v56, 1
	ds_store_b16 v4, v59
	ds_load_u16 v1, v68
	v_lshrrev_b32_e32 v59, s16, v45
	s_wait_dscnt 0x0
	v_add_nc_u16 v70, v1, 1
	ds_store_b16 v68, v70
	v_lshlrev_b32_e32 v70, 5, v0
	v_bitop3_b32 v59, v59, s23, v59 bitop3:0x30
	s_delay_alu instid0(VALU_DEP_1)
	v_lshl_or_b32 v69, v59, 12, v61
	ds_load_u16 v59, v69
	s_wait_dscnt 0x0
	v_add_nc_u16 v71, v59, 1
	ds_store_2addr_stride64_b32 v61, v63, v63 offset0:32 offset1:48
	ds_store_2addr_stride64_b32 v61, v63, v63 offset0:64 offset1:80
	;; [unrolled: 1-line block ×3, first 2 shown]
	ds_store_b16 v69, v71
	s_wait_dscnt 0x0
	s_barrier_signal -1
	s_barrier_wait -1
	ds_load_2addr_b64 v[72:75], v70 offset1:1
	ds_load_2addr_b64 v[76:79], v70 offset0:2 offset1:3
	s_wait_dscnt 0x1
	v_add_nc_u32_e32 v61, v73, v72
	s_delay_alu instid0(VALU_DEP_1) | instskip(SKIP_1) | instid1(VALU_DEP_1)
	v_add3_u32 v61, v61, v74, v75
	s_wait_dscnt 0x0
	v_add3_u32 v61, v61, v76, v77
	s_delay_alu instid0(VALU_DEP_1) | instskip(SKIP_1) | instid1(VALU_DEP_2)
	v_add3_u32 v63, v61, v78, v79
	v_mbcnt_lo_u32_b32 v61, -1, 0
	v_mov_b32_dpp v72, v63 row_shr:1 row_mask:0xf bank_mask:0xf
	s_delay_alu instid0(VALU_DEP_2) | instskip(SKIP_1) | instid1(VALU_DEP_2)
	v_and_b32_e32 v71, 15, v61
	v_bfe_i32 v73, v61, 4, 1
	v_cmp_eq_u32_e32 vcc_lo, 0, v71
	v_cmp_lt_u32_e64 s2, 1, v71
	v_cndmask_b32_e64 v72, v72, 0, vcc_lo
	s_delay_alu instid0(VALU_DEP_1) | instskip(NEXT) | instid1(VALU_DEP_1)
	v_add_nc_u32_e32 v63, v72, v63
	v_mov_b32_dpp v72, v63 row_shr:2 row_mask:0xf bank_mask:0xf
	s_delay_alu instid0(VALU_DEP_1) | instskip(NEXT) | instid1(VALU_DEP_1)
	v_cndmask_b32_e64 v72, 0, v72, s2
	v_add_nc_u32_e32 v63, v63, v72
	v_cmp_lt_u32_e64 s3, 3, v71
	v_cmp_lt_u32_e64 s4, 7, v71
	s_delay_alu instid0(VALU_DEP_3) | instskip(NEXT) | instid1(VALU_DEP_1)
	v_mov_b32_dpp v72, v63 row_shr:4 row_mask:0xf bank_mask:0xf
	v_cndmask_b32_e64 v72, 0, v72, s3
	s_delay_alu instid0(VALU_DEP_1) | instskip(NEXT) | instid1(VALU_DEP_1)
	v_add_nc_u32_e32 v63, v63, v72
	v_mov_b32_dpp v72, v63 row_shr:8 row_mask:0xf bank_mask:0xf
	s_delay_alu instid0(VALU_DEP_1) | instskip(NEXT) | instid1(VALU_DEP_1)
	v_cndmask_b32_e64 v71, 0, v72, s4
	v_dual_add_nc_u32 v63, v63, v71 :: v_dual_bitop2_b32 v72, 31, v0 bitop3:0x40
	ds_swizzle_b32 v71, v63 offset:swizzle(BROADCAST,32,15)
	s_wait_dscnt 0x0
	v_dual_lshrrev_b32 v73, 5, v0 :: v_dual_bitop2_b32 v71, v73, v71 bitop3:0x40
	v_cmp_eq_u32_e64 s6, 31, v72
	s_delay_alu instid0(VALU_DEP_2) | instskip(NEXT) | instid1(VALU_DEP_3)
	v_dual_add_nc_u32 v63, v63, v71 :: v_dual_bitop2_b32 v72, 16, v61 bitop3:0x40
	v_lshlrev_b32_e32 v71, 2, v73
	s_delay_alu instid0(VALU_DEP_2)
	v_cmp_eq_u32_e64 s5, 0, v72
	s_and_saveexec_b32 s7, s6
; %bb.50:
	ds_store_b32 v71, v63 offset:32768
; %bb.51:
	s_or_b32 exec_lo, exec_lo, s7
	v_cmp_lt_u32_e64 s6, 31, v0
	s_mov_b32 s24, exec_lo
	s_wait_dscnt 0x0
	s_barrier_signal -1
	s_barrier_wait -1
	v_cmpx_gt_u32_e32 32, v0
	s_cbranch_execz .LBB1750_53
; %bb.52:
	v_mad_i32_i24 v72, 0xffffffe4, v0, v70
	ds_load_b32 v73, v72 offset:32768
	s_wait_dscnt 0x0
	v_mov_b32_dpp v74, v73 row_shr:1 row_mask:0xf bank_mask:0xf
	s_delay_alu instid0(VALU_DEP_1) | instskip(NEXT) | instid1(VALU_DEP_1)
	v_cndmask_b32_e64 v74, v74, 0, vcc_lo
	v_add_nc_u32_e32 v73, v74, v73
	s_delay_alu instid0(VALU_DEP_1) | instskip(NEXT) | instid1(VALU_DEP_1)
	v_mov_b32_dpp v74, v73 row_shr:2 row_mask:0xf bank_mask:0xf
	v_cndmask_b32_e64 v74, 0, v74, s2
	s_delay_alu instid0(VALU_DEP_1) | instskip(NEXT) | instid1(VALU_DEP_1)
	v_add_nc_u32_e32 v73, v73, v74
	v_mov_b32_dpp v74, v73 row_shr:4 row_mask:0xf bank_mask:0xf
	s_delay_alu instid0(VALU_DEP_1) | instskip(NEXT) | instid1(VALU_DEP_1)
	v_cndmask_b32_e64 v74, 0, v74, s3
	v_add_nc_u32_e32 v73, v73, v74
	s_delay_alu instid0(VALU_DEP_1) | instskip(NEXT) | instid1(VALU_DEP_1)
	v_mov_b32_dpp v74, v73 row_shr:8 row_mask:0xf bank_mask:0xf
	v_cndmask_b32_e64 v74, 0, v74, s4
	s_delay_alu instid0(VALU_DEP_1) | instskip(SKIP_3) | instid1(VALU_DEP_1)
	v_add_nc_u32_e32 v73, v73, v74
	ds_swizzle_b32 v74, v73 offset:swizzle(BROADCAST,32,15)
	s_wait_dscnt 0x0
	v_cndmask_b32_e64 v74, v74, 0, s5
	v_add_nc_u32_e32 v73, v73, v74
	ds_store_b32 v72, v73 offset:32768
.LBB1750_53:
	s_or_b32 exec_lo, exec_lo, s24
	v_dual_mov_b32 v73, 0 :: v_dual_mov_b32 v72, 0
	s_wait_dscnt 0x0
	s_barrier_signal -1
	s_barrier_wait -1
	s_and_saveexec_b32 s2, s6
; %bb.54:
	ds_load_b32 v72, v71 offset:32764
; %bb.55:
	s_or_b32 exec_lo, exec_lo, s2
	v_sub_co_u32 v71, vcc_lo, v61, 1
	s_wait_dscnt 0x0
	v_add_nc_u32_e32 v63, v72, v63
	s_delay_alu instid0(VALU_DEP_2) | instskip(NEXT) | instid1(VALU_DEP_1)
	v_cmp_gt_i32_e64 s2, 0, v71
	v_cndmask_b32_e64 v61, v71, v61, s2
	v_cmp_gt_u32_e64 s2, 16, v0
	s_delay_alu instid0(VALU_DEP_2)
	v_lshlrev_b32_e32 v61, 2, v61
	ds_bpermute_b32 v61, v61, v63
	ds_load_b32 v63, v73 offset:32892
	ds_load_2addr_b64 v[74:77], v70 offset1:1
	ds_load_b32 v71, v70 offset:24
	ds_load_b64 v[78:79], v70 offset:16
	s_wait_dscnt 0x4
	v_cndmask_b32_e32 v61, v61, v72, vcc_lo
	v_cmp_lt_u32_e32 vcc_lo, 15, v0
	s_wait_dscnt 0x3
	s_delay_alu instid0(VALU_DEP_2) | instskip(SKIP_1) | instid1(VALU_DEP_1)
	v_lshl_add_u32 v72, v63, 16, v61
	s_wait_dscnt 0x2
	v_add_nc_u32_e32 v73, v72, v74
	s_delay_alu instid0(VALU_DEP_1) | instskip(NEXT) | instid1(VALU_DEP_1)
	v_add_nc_u32_e32 v74, v75, v73
	v_add_nc_u32_e32 v75, v76, v74
	s_delay_alu instid0(VALU_DEP_1) | instskip(SKIP_1) | instid1(VALU_DEP_1)
	v_add_nc_u32_e32 v76, v77, v75
	s_wait_dscnt 0x0
	v_add_nc_u32_e32 v77, v78, v76
	s_delay_alu instid0(VALU_DEP_1) | instskip(NEXT) | instid1(VALU_DEP_1)
	v_add_nc_u32_e32 v78, v79, v77
	v_add_nc_u32_e32 v79, v71, v78
	ds_store_2addr_b64 v70, v[72:73], v[74:75] offset1:1
	ds_store_2addr_b64 v70, v[76:77], v[78:79] offset0:2 offset1:3
	s_wait_dscnt 0x0
	s_barrier_signal -1
	s_barrier_wait -1
	ds_load_u16 v61, v2
	ds_load_u16 v63, v3
	;; [unrolled: 1-line block ×22, first 2 shown]
	v_mov_b64_e32 v[2:3], 0
                                        ; implicit-def: $vgpr4
	s_and_saveexec_b32 s4, s2
	s_cbranch_execz .LBB1750_59
; %bb.56:
	v_dual_lshlrev_b32 v2, 12, v0 :: v_dual_lshrrev_b32 v3, 2, v0
	v_add_nc_u32_e32 v4, 1, v0
	s_mov_b32 s5, exec_lo
	s_delay_alu instid0(VALU_DEP_2)
	v_bitop3_b32 v2, v2, 0x70fe, v3 bitop3:0xc8
	v_mov_b32_e32 v3, 0x5800
	ds_load_u16 v2, v2
	v_cmpx_ne_u32_e32 16, v4
; %bb.57:
	v_dual_lshlrev_b32 v3, 12, v4 :: v_dual_lshrrev_b32 v4, 2, v4
	s_delay_alu instid0(VALU_DEP_1)
	v_bitop3_b32 v3, v3, 0x71fe, v4 bitop3:0xc8
	ds_load_u16 v3, v3
; %bb.58:
	s_or_b32 exec_lo, exec_lo, s5
	s_wait_dscnt 0x0
	v_and_b32_e32 v2, 0xffff, v2
	s_mov_b32 s3, 0
	s_delay_alu instid0(VALU_DEP_1) | instid1(SALU_CYCLE_1)
	v_dual_mov_b32 v3, s3 :: v_dual_sub_nc_u32 v4, v3, v2
.LBB1750_59:
	s_or_b32 exec_lo, exec_lo, s4
	s_wait_dscnt 0x15
	v_and_b32_e32 v61, 0xffff, v61
	v_and_b32_e32 v26, 0xffff, v26
	s_wait_dscnt 0x14
	v_and_b32_e32 v63, 0xffff, v63
	v_and_b32_e32 v27, 0xffff, v27
	;; [unrolled: 3-line block ×4, first 2 shown]
	v_dual_add_nc_u32 v26, v61, v26 :: v_dual_add_nc_u32 v27, v63, v27
	s_wait_dscnt 0x11
	v_and_b32_e32 v43, 0xffff, v43
	v_and_b32_e32 v30, 0xffff, v30
	s_wait_dscnt 0x10
	v_and_b32_e32 v46, 0xffff, v46
	v_and_b32_e32 v31, 0xffff, v31
	v_add_nc_u32_e32 v28, v37, v28
	s_wait_dscnt 0xf
	v_and_b32_e32 v48, 0xffff, v48
	v_and_b32_e32 v32, 0xffff, v32
	s_wait_dscnt 0xe
	v_and_b32_e32 v50, 0xffff, v50
	v_and_b32_e32 v33, 0xffff, v33
	;; [unrolled: 3-line block ×3, first 2 shown]
	s_wait_dscnt 0x0
	s_barrier_signal -1
	s_barrier_wait -1
	ds_store_b8 v26, v24 offset:128
	ds_store_b8 v27, v25 offset:128
	;; [unrolled: 1-line block ×3, first 2 shown]
	v_add_nc_u32_e32 v7, v40, v29
	v_and_b32_e32 v54, 0xffff, v54
	v_and_b32_e32 v35, 0xffff, v35
	v_dual_add_nc_u32 v24, v43, v30 :: v_dual_add_nc_u32 v25, v46, v31
	v_and_b32_e32 v55, 0xffff, v55
	v_and_b32_e32 v36, 0xffff, v36
	;; [unrolled: 1-line block ×4, first 2 shown]
	v_dual_add_nc_u32 v26, v48, v32 :: v_dual_add_nc_u32 v27, v50, v33
	v_and_b32_e32 v58, 0xffff, v58
	v_and_b32_e32 v41, 0xffff, v41
	;; [unrolled: 1-line block ×4, first 2 shown]
	ds_store_b8 v7, v23 offset:128
	ds_store_b8 v24, v22 offset:128
	ds_store_b8 v25, v21 offset:128
	ds_store_b8 v26, v20 offset:128
	ds_store_b8 v27, v19 offset:128
	v_dual_add_nc_u32 v7, v52, v34 :: v_dual_add_nc_u32 v19, v54, v35
	v_and_b32_e32 v62, 0xffff, v62
	v_and_b32_e32 v47, 0xffff, v47
	;; [unrolled: 1-line block ×4, first 2 shown]
	v_dual_add_nc_u32 v20, v55, v36 :: v_dual_add_nc_u32 v21, v57, v38
	v_and_b32_e32 v65, 0xffff, v65
	v_and_b32_e32 v51, 0xffff, v51
	;; [unrolled: 1-line block ×4, first 2 shown]
	v_add_nc_u32_e32 v22, v58, v41
	ds_store_b8 v7, v18 offset:128
	ds_store_b8 v19, v17 offset:128
	;; [unrolled: 1-line block ×5, first 2 shown]
	v_dual_add_nc_u32 v7, v60, v44 :: v_dual_add_nc_u32 v14, v62, v47
	v_dual_add_nc_u32 v15, v64, v49 :: v_dual_add_nc_u32 v16, v65, v51
	v_add_nc_u32_e32 v17, v66, v53
	v_and_b32_e32 v67, 0xffff, v67
	v_and_b32_e32 v70, 0xffff, v70
	v_and_b32_e32 v68, 0xffff, v68
	v_and_b32_e32 v69, 0xffff, v69
	v_and_b32_e32 v5, 0xffff, v5
	v_and_b32_e32 v56, 0xffff, v56
	v_and_b32_e32 v1, 0xffff, v1
	v_and_b32_e32 v59, 0xffff, v59
	ds_store_b8 v7, v13 offset:128
	ds_store_b8 v14, v12 offset:128
	;; [unrolled: 1-line block ×5, first 2 shown]
	v_dual_mov_b32 v9, 0 :: v_dual_add_nc_u32 v7, v67, v5
	v_dual_add_nc_u32 v10, v70, v56 :: v_dual_add_nc_u32 v11, v68, v1
	v_dual_add_nc_u32 v12, v69, v59 :: v_dual_lshlrev_b32 v5, 3, v0
	s_delay_alu instid0(VALU_DEP_3)
	v_mov_b32_e32 v1, v9
	s_not_b32 s3, s23
	ds_store_b8 v7, v8 offset:128
	ds_store_b8 v10, v39 offset:128
	;; [unrolled: 1-line block ×4, first 2 shown]
	s_and_saveexec_b32 s4, s2
	s_cbranch_execz .LBB1750_69
; %bb.60:
	v_lshl_add_u32 v8, s19, 4, v0
	v_dual_mov_b32 v12, 0 :: v_dual_bitop2_b32 v7, 2.0, v4 bitop3:0x54
	s_mov_b32 s5, 0
	s_mov_b32 s6, s19
	s_delay_alu instid0(VALU_DEP_2)
	v_lshl_add_u64 v[10:11], v[8:9], 2, s[20:21]
	global_store_b32 v8, v7, s[20:21] scale_offset scope:SCOPE_DEV
                                        ; implicit-def: $sgpr2
	s_branch .LBB1750_63
.LBB1750_61:                            ;   in Loop: Header=BB1750_63 Depth=1
	s_or_b32 exec_lo, exec_lo, s23
.LBB1750_62:                            ;   in Loop: Header=BB1750_63 Depth=1
	s_delay_alu instid0(SALU_CYCLE_1) | instskip(SKIP_2) | instid1(VALU_DEP_2)
	s_or_b32 exec_lo, exec_lo, s7
	v_and_b32_e32 v8, 0x3fffffff, v7
	v_cmp_gt_i32_e64 s2, -2.0, v7
	v_add_nc_u32_e32 v12, v8, v12
	s_and_b32 s7, exec_lo, s2
	s_delay_alu instid0(SALU_CYCLE_1) | instskip(NEXT) | instid1(SALU_CYCLE_1)
	s_or_b32 s5, s7, s5
	s_and_not1_b32 exec_lo, exec_lo, s5
	s_cbranch_execz .LBB1750_68
.LBB1750_63:                            ; =>This Loop Header: Depth=1
                                        ;     Child Loop BB1750_66 Depth 2
	s_or_b32 s2, s2, exec_lo
	s_cmp_eq_u32 s6, 0
	s_cbranch_scc1 .LBB1750_67
; %bb.64:                               ;   in Loop: Header=BB1750_63 Depth=1
	s_add_co_i32 s6, s6, -1
	s_mov_b32 s7, exec_lo
	s_wait_xcnt 0x0
	v_lshl_or_b32 v8, s6, 4, v0
	global_load_b32 v7, v8, s[20:21] scale_offset scope:SCOPE_DEV
	s_wait_loadcnt 0x0
	v_cmpx_gt_u32_e32 2.0, v7
	s_cbranch_execz .LBB1750_62
; %bb.65:                               ;   in Loop: Header=BB1750_63 Depth=1
	v_lshl_add_u64 v[14:15], v[8:9], 2, s[20:21]
	s_mov_b32 s23, 0
.LBB1750_66:                            ;   Parent Loop BB1750_63 Depth=1
                                        ; =>  This Inner Loop Header: Depth=2
	global_load_b32 v7, v[14:15], off scope:SCOPE_DEV
	s_wait_loadcnt 0x0
	v_cmp_lt_u32_e64 s2, 0x3fffffff, v7
	s_or_b32 s23, s2, s23
	s_wait_xcnt 0x0
	s_and_not1_b32 exec_lo, exec_lo, s23
	s_cbranch_execnz .LBB1750_66
	s_branch .LBB1750_61
.LBB1750_67:                            ;   in Loop: Header=BB1750_63 Depth=1
                                        ; implicit-def: $sgpr6
	s_and_b32 s7, exec_lo, s2
	s_delay_alu instid0(SALU_CYCLE_1)
	s_or_b32 s5, s7, s5
	s_wait_xcnt 0x0
	s_and_not1_b32 exec_lo, exec_lo, s5
	s_cbranch_execnz .LBB1750_63
.LBB1750_68:
	s_or_b32 exec_lo, exec_lo, s5
	v_dual_add_nc_u32 v7, v12, v4 :: v_dual_mov_b32 v13, 0
	s_delay_alu instid0(VALU_DEP_1)
	v_or_b32_e32 v7, 0x80000000, v7
	global_store_b32 v[10:11], v7, off scope:SCOPE_DEV
	global_load_b64 v[8:9], v0, s[8:9] scale_offset
	s_wait_xcnt 0x1
	v_sub_nc_u64_e32 v[10:11], v[12:13], v[2:3]
	s_wait_loadcnt 0x0
	s_delay_alu instid0(VALU_DEP_1)
	v_add_nc_u64_e32 v[8:9], v[10:11], v[8:9]
	ds_store_b64 v5, v[8:9]
.LBB1750_69:
	s_wait_xcnt 0x0
	s_or_b32 exec_lo, exec_lo, s4
	s_delay_alu instid0(SALU_CYCLE_1)
	s_mov_b32 s4, exec_lo
	s_wait_storecnt_dscnt 0x0
	s_barrier_signal -1
	s_barrier_wait -1
	v_cmpx_gt_u32_e64 s18, v0
	s_cbranch_execz .LBB1750_71
; %bb.70:
	ds_load_u8 v7, v0 offset:128
	s_wait_dscnt 0x0
	v_and_b32_e32 v8, 1, v7
	s_delay_alu instid0(VALU_DEP_1) | instskip(NEXT) | instid1(VALU_DEP_1)
	v_dual_lshrrev_b32 v8, s16, v8 :: v_dual_bitop2_b32 v7, 1, v7 bitop3:0x14
	v_and_b32_e32 v8, s3, v8
	s_delay_alu instid0(VALU_DEP_1) | instskip(SKIP_3) | instid1(VALU_DEP_1)
	v_lshlrev_b32_e32 v8, 3, v8
	ds_load_b64 v[8:9], v8
	s_wait_dscnt 0x0
	v_add_nc_u64_e32 v[8:9], s[14:15], v[8:9]
	v_add_nc_u64_e32 v[8:9], v[8:9], v[0:1]
	global_store_b8 v[8:9], v7, off
.LBB1750_71:
	s_wait_xcnt 0x0
	s_or_b32 exec_lo, exec_lo, s4
	v_or_b32_e32 v7, 0x400, v0
	s_mov_b32 s4, exec_lo
	s_delay_alu instid0(VALU_DEP_1)
	v_cmpx_gt_u32_e64 s18, v7
	s_cbranch_execz .LBB1750_73
; %bb.72:
	ds_load_u8 v7, v0 offset:1152
	s_wait_dscnt 0x0
	v_and_b32_e32 v8, 1, v7
	s_delay_alu instid0(VALU_DEP_1) | instskip(NEXT) | instid1(VALU_DEP_1)
	v_dual_lshrrev_b32 v8, s16, v8 :: v_dual_bitop2_b32 v7, 1, v7 bitop3:0x14
	v_and_b32_e32 v8, s3, v8
	s_delay_alu instid0(VALU_DEP_1) | instskip(SKIP_3) | instid1(VALU_DEP_1)
	v_lshlrev_b32_e32 v8, 3, v8
	ds_load_b64 v[8:9], v8
	s_wait_dscnt 0x0
	v_add_nc_u64_e32 v[8:9], s[14:15], v[8:9]
	v_add_nc_u64_e32 v[8:9], v[8:9], v[0:1]
	global_store_b8 v[8:9], v7, off offset:1024
.LBB1750_73:
	s_wait_xcnt 0x0
	s_or_b32 exec_lo, exec_lo, s4
	v_or_b32_e32 v7, 0x800, v0
	s_mov_b32 s4, exec_lo
	s_delay_alu instid0(VALU_DEP_1)
	v_cmpx_gt_u32_e64 s18, v7
	s_cbranch_execz .LBB1750_75
; %bb.74:
	ds_load_u8 v7, v0 offset:2176
	s_wait_dscnt 0x0
	v_and_b32_e32 v8, 1, v7
	s_delay_alu instid0(VALU_DEP_1) | instskip(NEXT) | instid1(VALU_DEP_1)
	v_dual_lshrrev_b32 v8, s16, v8 :: v_dual_bitop2_b32 v7, 1, v7 bitop3:0x14
	v_and_b32_e32 v8, s3, v8
	s_delay_alu instid0(VALU_DEP_1) | instskip(SKIP_3) | instid1(VALU_DEP_1)
	v_lshlrev_b32_e32 v8, 3, v8
	ds_load_b64 v[8:9], v8
	s_wait_dscnt 0x0
	v_add_nc_u64_e32 v[8:9], s[14:15], v[8:9]
	v_add_nc_u64_e32 v[8:9], v[8:9], v[0:1]
	global_store_b8 v[8:9], v7, off offset:2048
.LBB1750_75:
	;; [unrolled: 22-line block ×20, first 2 shown]
	s_wait_xcnt 0x0
	s_or_b32 exec_lo, exec_lo, s4
	v_or_b32_e32 v7, 0x5400, v0
	s_mov_b32 s4, exec_lo
	s_delay_alu instid0(VALU_DEP_1)
	v_cmpx_gt_u32_e64 s18, v7
	s_cbranch_execz .LBB1750_113
; %bb.112:
	ds_load_u8 v7, v0 offset:21632
	s_wait_dscnt 0x0
	v_and_b32_e32 v8, 1, v7
	s_delay_alu instid0(VALU_DEP_1) | instskip(NEXT) | instid1(VALU_DEP_1)
	v_lshrrev_b32_e32 v8, s16, v8
	v_and_b32_e32 v8, s3, v8
	s_delay_alu instid0(VALU_DEP_1) | instskip(SKIP_3) | instid1(VALU_DEP_1)
	v_lshlrev_b32_e32 v8, 3, v8
	ds_load_b64 v[8:9], v8
	s_wait_dscnt 0x0
	v_add_nc_u64_e32 v[8:9], s[14:15], v[8:9]
	v_add_nc_u64_e32 v[8:9], v[8:9], v[0:1]
	v_xor_b32_e32 v1, 1, v7
	global_store_b8 v[8:9], v1, off offset:21504
.LBB1750_113:
	s_wait_xcnt 0x0
	s_or_b32 exec_lo, exec_lo, s4
	s_load_b32 s2, s[0:1], 0x58
	s_wait_kmcnt 0x0
	s_add_co_i32 s2, s2, -1
	s_delay_alu instid0(SALU_CYCLE_1) | instskip(SKIP_2) | instid1(SALU_CYCLE_1)
	s_cmp_eq_u32 s19, s2
	s_cselect_b32 s2, -1, 0
	s_xor_b32 s3, vcc_lo, -1
	s_and_b32 s3, s3, s2
	s_delay_alu instid0(SALU_CYCLE_1)
	s_and_saveexec_b32 s2, s3
	s_cbranch_execz .LBB1750_115
; %bb.114:
	ds_load_b64 v[8:9], v5
	v_mov_b32_e32 v5, 0
	s_delay_alu instid0(VALU_DEP_1) | instskip(SKIP_1) | instid1(VALU_DEP_1)
	v_add_nc_u64_e32 v[2:3], v[2:3], v[4:5]
	s_wait_dscnt 0x0
	v_add_nc_u64_e32 v[2:3], v[2:3], v[8:9]
	global_store_b64 v0, v[2:3], s[10:11] scale_offset
.LBB1750_115:
	s_wait_xcnt 0x0
	s_or_b32 exec_lo, exec_lo, s2
	s_mov_b32 s3, 0
.LBB1750_116:
	s_delay_alu instid0(SALU_CYCLE_1)
	s_and_b32 vcc_lo, exec_lo, s3
	s_cbranch_vccz .LBB1750_139
; %bb.117:
	s_mov_b32 s23, 0
	s_mov_b32 s7, exec_lo
	s_add_nc_u64 s[2:3], s[12:13], s[22:23]
	s_lshl_b32 s12, -1, s17
	s_clause 0x2
	global_load_b128 v[2:5], v6, s[2:3]
	global_load_b32 v14, v6, s[2:3] offset:16
	global_load_u16 v13, v6, s[2:3] offset:20
	v_dual_mov_b32 v28, 0 :: v_dual_lshlrev_b32 v17, 2, v0
	ds_store_2addr_stride64_b32 v17, v28, v28 offset1:16
	s_wait_loadcnt 0x2
	v_dual_lshrrev_b32 v7, 8, v2 :: v_dual_bitop2_b32 v1, 1, v2 bitop3:0x40
	v_dual_lshrrev_b32 v9, 16, v2 :: v_dual_lshrrev_b32 v11, 24, v2
	v_dual_lshrrev_b32 v20, 8, v3 :: v_dual_lshrrev_b32 v22, 16, v3
	s_delay_alu instid0(VALU_DEP_3)
	v_cmp_ne_u32_e32 vcc_lo, 1, v1
	v_lshrrev_b32_e32 v33, 8, v5
	s_wait_loadcnt 0x0
	v_dual_lshrrev_b32 v27, 8, v4 :: v_dual_bitop2_b32 v54, 1, v13 bitop3:0x40
	v_lshrrev_b32_e32 v40, 8, v14
	v_cndmask_b32_e64 v1, 0, 1, vcc_lo
	v_lshrrev_b32_e32 v13, 8, v13
	s_wait_xcnt 0x0
	s_delay_alu instid0(VALU_DEP_2) | instskip(NEXT) | instid1(VALU_DEP_2)
	v_lshrrev_b32_e32 v6, s16, v1
	v_and_b32_e32 v13, 1, v13
	s_delay_alu instid0(VALU_DEP_2) | instskip(NEXT) | instid1(VALU_DEP_1)
	v_bitop3_b32 v6, v6, s12, v6 bitop3:0x30
	v_lshl_or_b32 v12, v6, 12, v17
	v_and_b32_e32 v6, 1, v7
	ds_load_u16 v7, v12
	v_cmp_ne_u32_e32 vcc_lo, 1, v6
	v_cndmask_b32_e64 v6, 0, 1, vcc_lo
	s_delay_alu instid0(VALU_DEP_1) | instskip(NEXT) | instid1(VALU_DEP_1)
	v_lshrrev_b32_e32 v8, s16, v6
	v_bitop3_b32 v8, v8, s12, v8 bitop3:0x30
	s_wait_dscnt 0x0
	v_add_nc_u16 v10, v7, 1
	s_delay_alu instid0(VALU_DEP_2)
	v_lshl_or_b32 v16, v8, 12, v17
	v_and_b32_e32 v8, 1, v9
	ds_store_b16 v12, v10
	ds_load_u16 v9, v16
	v_cmp_ne_u32_e32 vcc_lo, 1, v8
	v_cndmask_b32_e64 v8, 0, 1, vcc_lo
	s_delay_alu instid0(VALU_DEP_1) | instskip(NEXT) | instid1(VALU_DEP_1)
	v_lshrrev_b32_e32 v10, s16, v8
	v_bitop3_b32 v10, v10, s12, v10 bitop3:0x30
	s_wait_dscnt 0x0
	v_add_nc_u16 v15, v9, 1
	s_delay_alu instid0(VALU_DEP_2)
	v_lshl_or_b32 v2, v10, 12, v17
	v_and_b32_e32 v10, 1, v11
	ds_store_b16 v16, v15
	ds_load_u16 v11, v2
	v_cmp_ne_u32_e32 vcc_lo, 1, v10
	v_cndmask_b32_e64 v10, 0, 1, vcc_lo
	s_delay_alu instid0(VALU_DEP_1) | instskip(NEXT) | instid1(VALU_DEP_1)
	v_lshrrev_b32_e32 v15, s16, v10
	v_bitop3_b32 v15, v15, s12, v15 bitop3:0x30
	s_wait_dscnt 0x0
	v_add_nc_u16 v18, v11, 1
	s_delay_alu instid0(VALU_DEP_2)
	v_lshl_or_b32 v26, v15, 12, v17
	v_and_b32_e32 v15, 1, v3
	ds_store_b16 v2, v18
	ds_load_u16 v18, v26
	v_cmp_ne_u32_e32 vcc_lo, 1, v15
	v_cndmask_b32_e64 v15, 0, 1, vcc_lo
	s_delay_alu instid0(VALU_DEP_1) | instskip(NEXT) | instid1(VALU_DEP_1)
	v_lshrrev_b32_e32 v19, s16, v15
	v_bitop3_b32 v19, v19, s12, v19 bitop3:0x30
	s_wait_dscnt 0x0
	v_add_nc_u16 v21, v18, 1
	s_delay_alu instid0(VALU_DEP_2)
	v_lshl_or_b32 v38, v19, 12, v17
	v_and_b32_e32 v19, 1, v20
	ds_store_b16 v26, v21
	ds_load_u16 v21, v38
	v_cmp_ne_u32_e32 vcc_lo, 1, v19
	v_cndmask_b32_e64 v19, 0, 1, vcc_lo
	s_delay_alu instid0(VALU_DEP_1) | instskip(NEXT) | instid1(VALU_DEP_1)
	v_lshrrev_b32_e32 v20, s16, v19
	v_bitop3_b32 v20, v20, s12, v20 bitop3:0x30
	s_wait_dscnt 0x0
	v_add_nc_u16 v23, v21, 1
	s_delay_alu instid0(VALU_DEP_2)
	v_lshl_or_b32 v45, v20, 12, v17
	v_and_b32_e32 v20, 1, v22
	ds_store_b16 v38, v23
	ds_load_u16 v24, v45
	v_cmp_ne_u32_e32 vcc_lo, 1, v20
	v_lshrrev_b32_e32 v23, 24, v3
	v_cndmask_b32_e64 v20, 0, 1, vcc_lo
	s_delay_alu instid0(VALU_DEP_1) | instskip(NEXT) | instid1(VALU_DEP_1)
	v_lshrrev_b32_e32 v22, s16, v20
	v_bitop3_b32 v22, v22, s12, v22 bitop3:0x30
	s_wait_dscnt 0x0
	v_add_nc_u16 v25, v24, 1
	s_delay_alu instid0(VALU_DEP_2)
	v_lshl_or_b32 v3, v22, 12, v17
	v_and_b32_e32 v22, 1, v23
	ds_store_b16 v45, v25
	ds_load_u16 v32, v3
	v_cmp_ne_u32_e32 vcc_lo, 1, v22
	v_cndmask_b32_e64 v23, 0, 1, vcc_lo
	s_delay_alu instid0(VALU_DEP_1) | instskip(NEXT) | instid1(VALU_DEP_1)
	v_lshrrev_b32_e32 v22, s16, v23
	v_bitop3_b32 v22, v22, s12, v22 bitop3:0x30
	s_wait_dscnt 0x0
	v_add_nc_u16 v25, v32, 1
	s_delay_alu instid0(VALU_DEP_2)
	v_lshl_or_b32 v51, v22, 12, v17
	v_and_b32_e32 v22, 1, v4
	ds_store_b16 v3, v25
	ds_load_u16 v34, v51
	v_cmp_ne_u32_e32 vcc_lo, 1, v22
	v_cndmask_b32_e64 v22, 0, 1, vcc_lo
	s_delay_alu instid0(VALU_DEP_1) | instskip(NEXT) | instid1(VALU_DEP_1)
	v_lshrrev_b32_e32 v25, s16, v22
	v_bitop3_b32 v25, v25, s12, v25 bitop3:0x30
	s_wait_dscnt 0x0
	v_add_nc_u16 v29, v34, 1
	s_delay_alu instid0(VALU_DEP_2)
	v_lshl_or_b32 v53, v25, 12, v17
	v_and_b32_e32 v25, 1, v27
	ds_store_b16 v51, v29
	ds_load_u16 v35, v53
	v_lshrrev_b32_e32 v29, 16, v4
	v_cmp_ne_u32_e32 vcc_lo, 1, v25
	v_cndmask_b32_e64 v25, 0, 1, vcc_lo
	s_delay_alu instid0(VALU_DEP_1) | instskip(NEXT) | instid1(VALU_DEP_1)
	v_lshrrev_b32_e32 v27, s16, v25
	v_bitop3_b32 v27, v27, s12, v27 bitop3:0x30
	s_wait_dscnt 0x0
	v_add_nc_u16 v30, v35, 1
	s_delay_alu instid0(VALU_DEP_2)
	v_lshl_or_b32 v55, v27, 12, v17
	v_and_b32_e32 v27, 1, v29
	ds_store_b16 v53, v30
	v_lshrrev_b32_e32 v30, 24, v4
	ds_load_u16 v39, v55
	v_cmp_ne_u32_e32 vcc_lo, 1, v27
	v_cndmask_b32_e64 v27, 0, 1, vcc_lo
	s_delay_alu instid0(VALU_DEP_1) | instskip(NEXT) | instid1(VALU_DEP_1)
	v_lshrrev_b32_e32 v29, s16, v27
	v_bitop3_b32 v29, v29, s12, v29 bitop3:0x30
	s_wait_dscnt 0x0
	v_add_nc_u16 v31, v39, 1
	s_delay_alu instid0(VALU_DEP_2)
	v_lshl_or_b32 v4, v29, 12, v17
	v_and_b32_e32 v29, 1, v30
	ds_store_b16 v55, v31
	ds_load_u16 v41, v4
	v_cmp_ne_u32_e32 vcc_lo, 1, v29
	v_cndmask_b32_e64 v29, 0, 1, vcc_lo
	s_delay_alu instid0(VALU_DEP_1) | instskip(NEXT) | instid1(VALU_DEP_1)
	v_lshrrev_b32_e32 v30, s16, v29
	v_bitop3_b32 v30, v30, s12, v30 bitop3:0x30
	s_wait_dscnt 0x0
	v_add_nc_u16 v31, v41, 1
	s_delay_alu instid0(VALU_DEP_2)
	v_lshl_or_b32 v58, v30, 12, v17
	v_and_b32_e32 v30, 1, v5
	ds_store_b16 v4, v31
	ds_load_u16 v43, v58
	v_cmp_ne_u32_e32 vcc_lo, 1, v30
	v_cndmask_b32_e64 v30, 0, 1, vcc_lo
	s_delay_alu instid0(VALU_DEP_1) | instskip(NEXT) | instid1(VALU_DEP_1)
	v_lshrrev_b32_e32 v31, s16, v30
	v_bitop3_b32 v31, v31, s12, v31 bitop3:0x30
	s_wait_dscnt 0x0
	v_add_nc_u16 v36, v43, 1
	s_delay_alu instid0(VALU_DEP_2)
	v_lshl_or_b32 v59, v31, 12, v17
	ds_store_b16 v58, v36
	v_lshrrev_b32_e32 v36, 16, v5
	v_and_b32_e32 v31, 1, v33
	ds_load_u16 v44, v59
	v_lshrrev_b32_e32 v5, 24, v5
	v_cmp_ne_u32_e32 vcc_lo, 1, v31
	s_delay_alu instid0(VALU_DEP_2) | instskip(SKIP_1) | instid1(VALU_DEP_1)
	v_and_b32_e32 v5, 1, v5
	v_cndmask_b32_e64 v31, 0, 1, vcc_lo
	v_lshrrev_b32_e32 v33, s16, v31
	s_delay_alu instid0(VALU_DEP_1) | instskip(SKIP_2) | instid1(VALU_DEP_2)
	v_bitop3_b32 v33, v33, s12, v33 bitop3:0x30
	s_wait_dscnt 0x0
	v_add_nc_u16 v37, v44, 1
	v_lshl_or_b32 v60, v33, 12, v17
	v_and_b32_e32 v33, 1, v36
	ds_store_b16 v59, v37
	ds_load_u16 v46, v60
	v_cmp_ne_u32_e32 vcc_lo, 1, v33
	v_cndmask_b32_e64 v33, 0, 1, vcc_lo
	v_cmp_ne_u32_e32 vcc_lo, 1, v5
	s_delay_alu instid0(VALU_DEP_2) | instskip(SKIP_1) | instid1(VALU_DEP_2)
	v_lshrrev_b32_e32 v36, s16, v33
	v_cndmask_b32_e64 v5, 0, 1, vcc_lo
	v_bitop3_b32 v36, v36, s12, v36 bitop3:0x30
	s_wait_dscnt 0x0
	v_add_nc_u16 v37, v46, 1
	s_delay_alu instid0(VALU_DEP_2) | instskip(SKIP_4) | instid1(VALU_DEP_1)
	v_lshl_or_b32 v61, v36, 12, v17
	v_lshrrev_b32_e32 v36, s16, v5
	ds_store_b16 v60, v37
	ds_load_u16 v47, v61
	v_bitop3_b32 v36, v36, s12, v36 bitop3:0x30
	v_lshl_or_b32 v62, v36, 12, v17
	v_and_b32_e32 v36, 1, v14
	s_delay_alu instid0(VALU_DEP_1)
	v_cmp_ne_u32_e32 vcc_lo, 1, v36
	v_cndmask_b32_e64 v36, 0, 1, vcc_lo
	s_wait_dscnt 0x0
	v_add_nc_u16 v37, v47, 1
	ds_store_b16 v61, v37
	ds_load_u16 v48, v62
	v_lshrrev_b32_e32 v37, s16, v36
	s_delay_alu instid0(VALU_DEP_1) | instskip(NEXT) | instid1(VALU_DEP_1)
	v_bitop3_b32 v37, v37, s12, v37 bitop3:0x30
	v_lshl_or_b32 v63, v37, 12, v17
	v_and_b32_e32 v37, 1, v40
	s_wait_dscnt 0x0
	v_add_nc_u16 v42, v48, 1
	ds_store_b16 v62, v42
	ds_load_u16 v49, v63
	v_lshrrev_b32_e32 v42, 16, v14
	v_cmp_ne_u32_e32 vcc_lo, 1, v37
	v_lshrrev_b32_e32 v14, 24, v14
	v_cndmask_b32_e64 v40, 0, 1, vcc_lo
	s_delay_alu instid0(VALU_DEP_1) | instskip(NEXT) | instid1(VALU_DEP_1)
	v_dual_lshrrev_b32 v37, s16, v40 :: v_dual_bitop2_b32 v14, 1, v14 bitop3:0x40
	v_bitop3_b32 v37, v37, s12, v37 bitop3:0x30
	s_wait_dscnt 0x0
	v_add_nc_u16 v50, v49, 1
	s_delay_alu instid0(VALU_DEP_2)
	v_lshl_or_b32 v64, v37, 12, v17
	v_and_b32_e32 v37, 1, v42
	ds_store_b16 v63, v50
	ds_load_u16 v50, v64
	v_cmp_ne_u32_e32 vcc_lo, 1, v37
	v_cndmask_b32_e64 v37, 0, 1, vcc_lo
	v_cmp_ne_u32_e32 vcc_lo, 1, v14
	s_delay_alu instid0(VALU_DEP_2) | instskip(SKIP_2) | instid1(VALU_DEP_3)
	v_lshrrev_b32_e32 v42, s16, v37
	v_cndmask_b32_e64 v14, 0, 1, vcc_lo
	v_cmp_eq_u32_e32 vcc_lo, 1, v54
	v_bitop3_b32 v42, v42, s12, v42 bitop3:0x30
	s_xor_b32 s2, vcc_lo, -1
	v_cmp_ne_u32_e32 vcc_lo, 1, v13
	s_wait_dscnt 0x0
	v_add_nc_u16 v52, v50, 1
	v_lshl_or_b32 v65, v42, 12, v17
	v_lshrrev_b32_e32 v42, s16, v14
	v_cndmask_b32_e64 v13, 0, 1, vcc_lo
	ds_store_b16 v64, v52
	ds_load_u16 v52, v65
	v_bitop3_b32 v42, v42, s12, v42 bitop3:0x30
	s_delay_alu instid0(VALU_DEP_1)
	v_lshl_or_b32 v66, v42, 12, v17
	v_cndmask_b32_e64 v42, 0, 1, s2
	s_wait_dscnt 0x0
	v_add_nc_u16 v56, v52, 1
	ds_store_b16 v65, v56
	ds_load_u16 v54, v66
	v_lshrrev_b32_e32 v56, s16, v42
	s_delay_alu instid0(VALU_DEP_1) | instskip(NEXT) | instid1(VALU_DEP_1)
	v_bitop3_b32 v56, v56, s12, v56 bitop3:0x30
	v_lshl_or_b32 v67, v56, 12, v17
	s_wait_dscnt 0x0
	v_add_nc_u16 v57, v54, 1
	ds_store_b16 v66, v57
	ds_load_u16 v56, v67
	v_lshrrev_b32_e32 v57, s16, v13
	s_delay_alu instid0(VALU_DEP_1) | instskip(NEXT) | instid1(VALU_DEP_1)
	v_bitop3_b32 v57, v57, s12, v57 bitop3:0x30
	v_lshl_or_b32 v68, v57, 12, v17
	s_wait_dscnt 0x0
	v_add_nc_u16 v69, v56, 1
	ds_store_b16 v67, v69
	ds_load_u16 v57, v68
	v_lshlrev_b32_e32 v69, 5, v0
	s_wait_dscnt 0x0
	v_add_nc_u16 v70, v57, 1
	ds_store_2addr_stride64_b32 v17, v28, v28 offset0:32 offset1:48
	ds_store_2addr_stride64_b32 v17, v28, v28 offset0:64 offset1:80
	;; [unrolled: 1-line block ×3, first 2 shown]
	ds_store_b16 v68, v70
	s_wait_storecnt_dscnt 0x0
	s_barrier_signal -1
	s_barrier_wait -1
	ds_load_2addr_b64 v[70:73], v69 offset1:1
	ds_load_2addr_b64 v[74:77], v69 offset0:2 offset1:3
	s_wait_dscnt 0x1
	v_add_nc_u32_e32 v17, v71, v70
	s_delay_alu instid0(VALU_DEP_1) | instskip(SKIP_2) | instid1(VALU_DEP_2)
	v_add3_u32 v17, v17, v72, v73
	v_and_b32_e32 v72, 31, v0
	s_wait_dscnt 0x0
	v_add3_u32 v28, v17, v74, v75
	v_mbcnt_lo_u32_b32 v17, -1, 0
	s_delay_alu instid0(VALU_DEP_2) | instskip(NEXT) | instid1(VALU_DEP_2)
	v_add3_u32 v28, v28, v76, v77
	v_and_b32_e32 v70, 15, v17
	s_delay_alu instid0(VALU_DEP_2) | instskip(NEXT) | instid1(VALU_DEP_2)
	v_mov_b32_dpp v71, v28 row_shr:1 row_mask:0xf bank_mask:0xf
	v_cmp_eq_u32_e32 vcc_lo, 0, v70
	s_delay_alu instid0(VALU_DEP_2) | instskip(NEXT) | instid1(VALU_DEP_1)
	v_cndmask_b32_e64 v71, v71, 0, vcc_lo
	v_add_nc_u32_e32 v28, v71, v28
	v_cmp_lt_u32_e64 s2, 1, v70
	v_cmp_lt_u32_e64 s3, 3, v70
	;; [unrolled: 1-line block ×3, first 2 shown]
	s_delay_alu instid0(VALU_DEP_4) | instskip(NEXT) | instid1(VALU_DEP_1)
	v_mov_b32_dpp v71, v28 row_shr:2 row_mask:0xf bank_mask:0xf
	v_cndmask_b32_e64 v71, 0, v71, s2
	s_delay_alu instid0(VALU_DEP_1) | instskip(NEXT) | instid1(VALU_DEP_1)
	v_add_nc_u32_e32 v28, v28, v71
	v_mov_b32_dpp v71, v28 row_shr:4 row_mask:0xf bank_mask:0xf
	s_delay_alu instid0(VALU_DEP_1) | instskip(NEXT) | instid1(VALU_DEP_1)
	v_cndmask_b32_e64 v71, 0, v71, s3
	v_add_nc_u32_e32 v28, v28, v71
	s_delay_alu instid0(VALU_DEP_1) | instskip(NEXT) | instid1(VALU_DEP_1)
	v_mov_b32_dpp v71, v28 row_shr:8 row_mask:0xf bank_mask:0xf
	v_cndmask_b32_e64 v70, 0, v71, s4
	v_bfe_i32 v71, v17, 4, 1
	s_delay_alu instid0(VALU_DEP_2) | instskip(SKIP_4) | instid1(VALU_DEP_2)
	v_add_nc_u32_e32 v28, v28, v70
	ds_swizzle_b32 v70, v28 offset:swizzle(BROADCAST,32,15)
	s_wait_dscnt 0x0
	v_and_b32_e32 v70, v71, v70
	v_dual_lshrrev_b32 v71, 5, v0 :: v_dual_bitop2_b32 v73, 16, v17 bitop3:0x40
	v_add_nc_u32_e32 v28, v28, v70
	s_delay_alu instid0(VALU_DEP_2) | instskip(NEXT) | instid1(VALU_DEP_3)
	v_cmp_eq_u32_e64 s5, 0, v73
	v_lshlrev_b32_e32 v70, 2, v71
	v_cmpx_eq_u32_e32 31, v72
; %bb.118:
	ds_store_b32 v70, v28 offset:32768
; %bb.119:
	s_or_b32 exec_lo, exec_lo, s7
	v_cmp_lt_u32_e64 s6, 31, v0
	s_mov_b32 s13, exec_lo
	s_wait_dscnt 0x0
	s_barrier_signal -1
	s_barrier_wait -1
	v_cmpx_gt_u32_e32 32, v0
	s_cbranch_execz .LBB1750_121
; %bb.120:
	v_mad_i32_i24 v71, 0xffffffe4, v0, v69
	ds_load_b32 v72, v71 offset:32768
	s_wait_dscnt 0x0
	v_mov_b32_dpp v73, v72 row_shr:1 row_mask:0xf bank_mask:0xf
	s_delay_alu instid0(VALU_DEP_1) | instskip(NEXT) | instid1(VALU_DEP_1)
	v_cndmask_b32_e64 v73, v73, 0, vcc_lo
	v_add_nc_u32_e32 v72, v73, v72
	s_delay_alu instid0(VALU_DEP_1) | instskip(NEXT) | instid1(VALU_DEP_1)
	v_mov_b32_dpp v73, v72 row_shr:2 row_mask:0xf bank_mask:0xf
	v_cndmask_b32_e64 v73, 0, v73, s2
	s_delay_alu instid0(VALU_DEP_1) | instskip(NEXT) | instid1(VALU_DEP_1)
	v_add_nc_u32_e32 v72, v72, v73
	v_mov_b32_dpp v73, v72 row_shr:4 row_mask:0xf bank_mask:0xf
	s_delay_alu instid0(VALU_DEP_1) | instskip(NEXT) | instid1(VALU_DEP_1)
	v_cndmask_b32_e64 v73, 0, v73, s3
	v_add_nc_u32_e32 v72, v72, v73
	s_delay_alu instid0(VALU_DEP_1) | instskip(NEXT) | instid1(VALU_DEP_1)
	v_mov_b32_dpp v73, v72 row_shr:8 row_mask:0xf bank_mask:0xf
	v_cndmask_b32_e64 v73, 0, v73, s4
	s_delay_alu instid0(VALU_DEP_1) | instskip(SKIP_3) | instid1(VALU_DEP_1)
	v_add_nc_u32_e32 v72, v72, v73
	ds_swizzle_b32 v73, v72 offset:swizzle(BROADCAST,32,15)
	s_wait_dscnt 0x0
	v_cndmask_b32_e64 v73, v73, 0, s5
	v_add_nc_u32_e32 v72, v72, v73
	ds_store_b32 v71, v72 offset:32768
.LBB1750_121:
	s_or_b32 exec_lo, exec_lo, s13
	v_dual_mov_b32 v72, 0 :: v_dual_mov_b32 v71, 0
	s_wait_dscnt 0x0
	s_barrier_signal -1
	s_barrier_wait -1
	s_and_saveexec_b32 s2, s6
; %bb.122:
	ds_load_b32 v71, v70 offset:32764
; %bb.123:
	s_or_b32 exec_lo, exec_lo, s2
	v_sub_co_u32 v70, vcc_lo, v17, 1
	s_wait_dscnt 0x0
	v_add_nc_u32_e32 v28, v71, v28
	s_delay_alu instid0(VALU_DEP_2) | instskip(NEXT) | instid1(VALU_DEP_1)
	v_cmp_gt_i32_e64 s2, 0, v70
	v_cndmask_b32_e64 v17, v70, v17, s2
	v_cmp_gt_u32_e64 s2, 16, v0
	s_delay_alu instid0(VALU_DEP_2)
	v_lshlrev_b32_e32 v17, 2, v17
	ds_bpermute_b32 v17, v17, v28
	ds_load_b32 v28, v72 offset:32892
	ds_load_2addr_b64 v[72:75], v69 offset1:1
	ds_load_b32 v78, v69 offset:24
	ds_load_b64 v[76:77], v69 offset:16
	s_wait_dscnt 0x4
	v_cndmask_b32_e32 v17, v17, v71, vcc_lo
	v_cmp_lt_u32_e32 vcc_lo, 15, v0
	s_wait_dscnt 0x3
	s_delay_alu instid0(VALU_DEP_2) | instskip(SKIP_1) | instid1(VALU_DEP_1)
	v_lshl_add_u32 v70, v28, 16, v17
	s_wait_dscnt 0x2
	v_add_nc_u32_e32 v71, v70, v72
	s_delay_alu instid0(VALU_DEP_1) | instskip(NEXT) | instid1(VALU_DEP_1)
	v_add_nc_u32_e32 v72, v73, v71
	v_add_nc_u32_e32 v73, v74, v72
	s_delay_alu instid0(VALU_DEP_1) | instskip(SKIP_1) | instid1(VALU_DEP_1)
	v_add_nc_u32_e32 v74, v75, v73
	s_wait_dscnt 0x0
	v_add_nc_u32_e32 v75, v76, v74
	s_delay_alu instid0(VALU_DEP_1) | instskip(NEXT) | instid1(VALU_DEP_1)
	v_add_nc_u32_e32 v76, v77, v75
	v_add_nc_u32_e32 v77, v78, v76
	ds_store_2addr_b64 v69, v[70:71], v[72:73] offset1:1
	ds_store_2addr_b64 v69, v[74:75], v[76:77] offset0:2 offset1:3
	s_wait_dscnt 0x0
	s_barrier_signal -1
	s_barrier_wait -1
	ds_load_u16 v12, v12
	ds_load_u16 v16, v16
	;; [unrolled: 1-line block ×22, first 2 shown]
	v_mov_b64_e32 v[2:3], 0
                                        ; implicit-def: $vgpr4
	s_and_saveexec_b32 s4, s2
	s_cbranch_execz .LBB1750_127
; %bb.124:
	v_dual_lshlrev_b32 v2, 12, v0 :: v_dual_lshrrev_b32 v3, 2, v0
	v_add_nc_u32_e32 v4, 1, v0
	s_mov_b32 s5, exec_lo
	s_delay_alu instid0(VALU_DEP_2)
	v_bitop3_b32 v2, v2, 0x70fe, v3 bitop3:0xc8
	v_mov_b32_e32 v3, 0x5800
	ds_load_u16 v2, v2
	v_cmpx_ne_u32_e32 16, v4
; %bb.125:
	v_dual_lshlrev_b32 v3, 12, v4 :: v_dual_lshrrev_b32 v4, 2, v4
	s_delay_alu instid0(VALU_DEP_1)
	v_bitop3_b32 v3, v3, 0x71fe, v4 bitop3:0xc8
	ds_load_u16 v3, v3
; %bb.126:
	s_or_b32 exec_lo, exec_lo, s5
	s_wait_dscnt 0x0
	v_and_b32_e32 v2, 0xffff, v2
	s_mov_b32 s3, 0
	s_delay_alu instid0(VALU_DEP_1) | instid1(SALU_CYCLE_1)
	v_dual_mov_b32 v3, s3 :: v_dual_sub_nc_u32 v4, v3, v2
.LBB1750_127:
	s_or_b32 exec_lo, exec_lo, s4
	s_wait_dscnt 0x15
	v_and_b32_e32 v12, 0xffff, v12
	v_and_b32_e32 v7, 0xffff, v7
	s_wait_dscnt 0x14
	v_and_b32_e32 v16, 0xffff, v16
	v_and_b32_e32 v9, 0xffff, v9
	;; [unrolled: 3-line block ×4, first 2 shown]
	v_add_nc_u32_e32 v7, v12, v7
	s_wait_dscnt 0x11
	v_and_b32_e32 v28, 0xffff, v28
	v_and_b32_e32 v21, 0xffff, v21
	v_dual_add_nc_u32 v9, v16, v9 :: v_dual_add_nc_u32 v11, v17, v11
	s_wait_dscnt 0x10
	v_and_b32_e32 v38, 0xffff, v38
	v_and_b32_e32 v24, 0xffff, v24
	s_wait_dscnt 0xf
	v_and_b32_e32 v45, 0xffff, v45
	v_and_b32_e32 v32, 0xffff, v32
	;; [unrolled: 3-line block ×4, first 2 shown]
	s_wait_dscnt 0x0
	s_barrier_signal -1
	s_barrier_wait -1
	ds_store_b8 v7, v1 offset:128
	ds_store_b8 v9, v6 offset:128
	;; [unrolled: 1-line block ×3, first 2 shown]
	v_add_nc_u32_e32 v1, v26, v18
	v_and_b32_e32 v55, 0xffff, v55
	v_and_b32_e32 v39, 0xffff, v39
	v_dual_add_nc_u32 v6, v28, v21 :: v_dual_add_nc_u32 v7, v38, v24
	v_and_b32_e32 v69, 0xffff, v69
	v_and_b32_e32 v41, 0xffff, v41
	;; [unrolled: 1-line block ×4, first 2 shown]
	v_dual_add_nc_u32 v8, v45, v32 :: v_dual_add_nc_u32 v9, v51, v34
	v_and_b32_e32 v59, 0xffff, v59
	v_and_b32_e32 v44, 0xffff, v44
	v_and_b32_e32 v60, 0xffff, v60
	v_and_b32_e32 v46, 0xffff, v46
	ds_store_b8 v1, v10 offset:128
	ds_store_b8 v6, v15 offset:128
	;; [unrolled: 1-line block ×5, first 2 shown]
	v_dual_add_nc_u32 v1, v53, v35 :: v_dual_add_nc_u32 v9, v59, v44
	v_and_b32_e32 v61, 0xffff, v61
	v_and_b32_e32 v47, 0xffff, v47
	v_dual_add_nc_u32 v6, v55, v39 :: v_dual_add_nc_u32 v7, v69, v41
	v_and_b32_e32 v62, 0xffff, v62
	v_and_b32_e32 v48, 0xffff, v48
	;; [unrolled: 1-line block ×4, first 2 shown]
	v_add_nc_u32_e32 v8, v58, v43
	v_and_b32_e32 v64, 0xffff, v64
	v_and_b32_e32 v50, 0xffff, v50
	ds_store_b8 v1, v22 offset:128
	ds_store_b8 v6, v25 offset:128
	;; [unrolled: 1-line block ×5, first 2 shown]
	v_dual_add_nc_u32 v1, v60, v46 :: v_dual_add_nc_u32 v6, v61, v47
	v_dual_add_nc_u32 v7, v62, v48 :: v_dual_add_nc_u32 v8, v63, v49
	v_add_nc_u32_e32 v9, v64, v50
	v_and_b32_e32 v65, 0xffff, v65
	v_and_b32_e32 v68, 0xffff, v68
	;; [unrolled: 1-line block ×4, first 2 shown]
	ds_store_b8 v1, v31 offset:128
	ds_store_b8 v6, v33 offset:128
	;; [unrolled: 1-line block ×5, first 2 shown]
	v_mov_b32_e32 v7, 0
	v_and_b32_e32 v66, 0xffff, v66
	v_and_b32_e32 v54, 0xffff, v54
	v_and_b32_e32 v67, 0xffff, v67
	v_and_b32_e32 v56, 0xffff, v56
	v_dual_add_nc_u32 v6, v65, v52 :: v_dual_add_nc_u32 v10, v68, v57
	v_dual_mov_b32 v1, v7 :: v_dual_lshlrev_b32 v5, 3, v0
	s_delay_alu instid0(VALU_DEP_3)
	v_dual_add_nc_u32 v8, v66, v54 :: v_dual_add_nc_u32 v9, v67, v56
	s_not_b32 s3, s12
	ds_store_b8 v6, v37 offset:128
	ds_store_b8 v8, v14 offset:128
	;; [unrolled: 1-line block ×4, first 2 shown]
	s_and_saveexec_b32 s4, s2
	s_cbranch_execz .LBB1750_137
; %bb.128:
	v_lshl_add_u32 v6, s19, 4, v0
	v_dual_mov_b32 v10, 0 :: v_dual_bitop2_b32 v11, 2.0, v4 bitop3:0x54
	s_mov_b32 s5, 0
	s_mov_b32 s6, s19
	s_delay_alu instid0(VALU_DEP_2)
	v_lshl_add_u64 v[8:9], v[6:7], 2, s[20:21]
	global_store_b32 v6, v11, s[20:21] scale_offset scope:SCOPE_DEV
                                        ; implicit-def: $sgpr2
	s_branch .LBB1750_131
.LBB1750_129:                           ;   in Loop: Header=BB1750_131 Depth=1
	s_or_b32 exec_lo, exec_lo, s12
.LBB1750_130:                           ;   in Loop: Header=BB1750_131 Depth=1
	s_delay_alu instid0(SALU_CYCLE_1) | instskip(SKIP_2) | instid1(VALU_DEP_2)
	s_or_b32 exec_lo, exec_lo, s7
	v_and_b32_e32 v6, 0x3fffffff, v11
	v_cmp_gt_i32_e64 s2, -2.0, v11
	v_add_nc_u32_e32 v10, v6, v10
	s_and_b32 s7, exec_lo, s2
	s_delay_alu instid0(SALU_CYCLE_1) | instskip(NEXT) | instid1(SALU_CYCLE_1)
	s_or_b32 s5, s7, s5
	s_and_not1_b32 exec_lo, exec_lo, s5
	s_cbranch_execz .LBB1750_136
.LBB1750_131:                           ; =>This Loop Header: Depth=1
                                        ;     Child Loop BB1750_134 Depth 2
	s_or_b32 s2, s2, exec_lo
	s_cmp_eq_u32 s6, 0
	s_cbranch_scc1 .LBB1750_135
; %bb.132:                              ;   in Loop: Header=BB1750_131 Depth=1
	s_add_co_i32 s6, s6, -1
	s_mov_b32 s7, exec_lo
	s_wait_xcnt 0x0
	v_lshl_or_b32 v6, s6, 4, v0
	global_load_b32 v11, v6, s[20:21] scale_offset scope:SCOPE_DEV
	s_wait_loadcnt 0x0
	v_cmpx_gt_u32_e32 2.0, v11
	s_cbranch_execz .LBB1750_130
; %bb.133:                              ;   in Loop: Header=BB1750_131 Depth=1
	v_lshl_add_u64 v[12:13], v[6:7], 2, s[20:21]
	s_mov_b32 s12, 0
.LBB1750_134:                           ;   Parent Loop BB1750_131 Depth=1
                                        ; =>  This Inner Loop Header: Depth=2
	global_load_b32 v11, v[12:13], off scope:SCOPE_DEV
	s_wait_loadcnt 0x0
	v_cmp_lt_u32_e64 s2, 0x3fffffff, v11
	s_or_b32 s12, s2, s12
	s_wait_xcnt 0x0
	s_and_not1_b32 exec_lo, exec_lo, s12
	s_cbranch_execnz .LBB1750_134
	s_branch .LBB1750_129
.LBB1750_135:                           ;   in Loop: Header=BB1750_131 Depth=1
                                        ; implicit-def: $sgpr6
	s_and_b32 s7, exec_lo, s2
	s_delay_alu instid0(SALU_CYCLE_1)
	s_or_b32 s5, s7, s5
	s_wait_xcnt 0x0
	s_and_not1_b32 exec_lo, exec_lo, s5
	s_cbranch_execnz .LBB1750_131
.LBB1750_136:
	s_or_b32 exec_lo, exec_lo, s5
	v_dual_mov_b32 v11, 0 :: v_dual_add_nc_u32 v6, v10, v4
	s_delay_alu instid0(VALU_DEP_1) | instskip(SKIP_4) | instid1(VALU_DEP_1)
	v_or_b32_e32 v6, 0x80000000, v6
	global_store_b32 v[8:9], v6, off scope:SCOPE_DEV
	global_load_b64 v[6:7], v0, s[8:9] scale_offset
	v_sub_nc_u64_e32 v[8:9], v[10:11], v[2:3]
	s_wait_loadcnt 0x0
	v_add_nc_u64_e32 v[6:7], v[8:9], v[6:7]
	ds_store_b64 v5, v[6:7]
.LBB1750_137:
	s_wait_xcnt 0x0
	s_or_b32 exec_lo, exec_lo, s4
	s_wait_storecnt_dscnt 0x0
	s_barrier_signal -1
	s_barrier_wait -1
	ds_load_u8 v26, v0 offset:20608
	ds_load_u8 v27, v0 offset:21632
	;; [unrolled: 1-line block ×22, first 2 shown]
	s_wait_dscnt 0xf
	v_and_b32_e32 v12, 1, v10
	v_xor_b32_e32 v45, 1, v10
	v_and_b32_e32 v13, 1, v20
	v_and_b32_e32 v11, 1, v8
	;; [unrolled: 1-line block ×4, first 2 shown]
	s_wait_dscnt 0x9
	v_dual_lshrrev_b32 v13, s16, v13 :: v_dual_bitop2_b32 v23, 1, v35 bitop3:0x40
	s_delay_alu instid0(VALU_DEP_3) | instskip(NEXT) | instid1(VALU_DEP_3)
	v_dual_lshrrev_b32 v7, s16, v7 :: v_dual_bitop2_b32 v22, 1, v34 bitop3:0x40
	v_dual_lshrrev_b32 v6, s16, v6 :: v_dual_bitop2_b32 v24, 1, v8 bitop3:0x14
	s_delay_alu instid0(VALU_DEP_3) | instskip(NEXT) | instid1(VALU_DEP_4)
	v_dual_lshrrev_b32 v11, s16, v11 :: v_dual_bitop2_b32 v13, s3, v13 bitop3:0x40
	v_dual_lshrrev_b32 v23, s16, v23 :: v_dual_bitop2_b32 v10, 1, v30 bitop3:0x40
	s_delay_alu instid0(VALU_DEP_4) | instskip(NEXT) | instid1(VALU_DEP_2)
	v_dual_lshrrev_b32 v22, s16, v22 :: v_dual_bitop2_b32 v7, s3, v7 bitop3:0x40
	v_dual_lshlrev_b32 v13, 3, v13 :: v_dual_lshrrev_b32 v10, s16, v10
	v_dual_lshrrev_b32 v12, s16, v12 :: v_dual_bitop2_b32 v6, s3, v6 bitop3:0x40
	s_wait_dscnt 0x8
	s_delay_alu instid0(VALU_DEP_3) | instskip(NEXT) | instid1(VALU_DEP_3)
	v_dual_lshlrev_b32 v9, 3, v7 :: v_dual_bitop2_b32 v25, 1, v36 bitop3:0x40
	v_and_b32_e32 v10, s3, v10
	s_delay_alu instid0(VALU_DEP_3)
	v_and_b32_e32 v12, s3, v12
	v_dual_lshlrev_b32 v6, 3, v6 :: v_dual_bitop2_b32 v18, 1, v31 bitop3:0x40
	ds_load_b64 v[6:7], v6
	ds_load_b64 v[8:9], v9
	v_dual_lshlrev_b32 v15, 3, v12 :: v_dual_bitop2_b32 v21, 1, v33 bitop3:0x40
	v_dual_lshrrev_b32 v18, s16, v18 :: v_dual_bitop2_b32 v11, s3, v11 bitop3:0x40
	v_dual_lshrrev_b32 v25, s16, v25 :: v_dual_bitop2_b32 v19, 1, v32 bitop3:0x40
	s_delay_alu instid0(VALU_DEP_3) | instskip(NEXT) | instid1(VALU_DEP_3)
	v_dual_lshlrev_b32 v16, 3, v10 :: v_dual_lshrrev_b32 v21, s16, v21
	v_lshlrev_b32_e32 v14, 3, v11
	ds_load_b64 v[10:11], v13
	ds_load_b64 v[12:13], v14
	v_and_b32_e32 v48, s3, v22
	s_wait_dscnt 0xb
	v_and_b32_e32 v46, 1, v37
	v_and_b32_e32 v21, s3, v21
	s_wait_dscnt 0xa
	v_and_b32_e32 v47, 1, v38
	ds_load_b64 v[14:15], v15
	ds_load_b64 v[16:17], v16
	v_lshrrev_b32_e32 v19, s16, v19
	v_dual_lshlrev_b32 v23, 3, v21 :: v_dual_bitop2_b32 v49, s3, v23 bitop3:0x40
	v_dual_lshrrev_b32 v47, s16, v47 :: v_dual_bitop2_b32 v18, s3, v18 bitop3:0x40
	v_xor_b32_e32 v50, 1, v20
	v_xor_b32_e32 v30, 1, v30
	s_wait_dscnt 0x5
	v_add_nc_u64_e32 v[6:7], s[14:15], v[6:7]
	v_and_b32_e32 v47, s3, v47
	v_and_b32_e32 v25, s3, v25
	v_dual_lshlrev_b32 v18, 3, v18 :: v_dual_bitop2_b32 v19, s3, v19 bitop3:0x40
	s_wait_dscnt 0x4
	v_add_nc_u64_e32 v[8:9], s[14:15], v[8:9]
	s_wait_dscnt 0x3
	v_add_nc_u64_e32 v[10:11], s[14:15], v[10:11]
	;; [unrolled: 2-line block ×3, first 2 shown]
	v_lshlrev_b32_e32 v22, 3, v19
	ds_load_b64 v[18:19], v18
	ds_load_b64 v[20:21], v22
	;; [unrolled: 1-line block ×3, first 2 shown]
	v_add_nc_u64_e32 v[10:11], v[10:11], v[0:1]
	v_add_nc_u64_e32 v[12:13], v[12:13], v[0:1]
	s_wait_dscnt 0x4
	v_add_nc_u64_e32 v[14:15], s[14:15], v[14:15]
	s_wait_dscnt 0x3
	v_add_nc_u64_e32 v[16:17], s[14:15], v[16:17]
	s_clause 0x1
	global_store_b8 v[10:11], v50, off
	global_store_b8 v[12:13], v24, off offset:1024
	s_wait_xcnt 0x1
	v_dual_lshlrev_b32 v10, 3, v48 :: v_dual_lshrrev_b32 v46, s16, v46
	v_add_nc_u64_e32 v[14:15], v[14:15], v[0:1]
	s_wait_xcnt 0x0
	v_lshlrev_b32_e32 v12, 3, v49
	v_add_nc_u64_e32 v[16:17], v[16:17], v[0:1]
	v_dual_lshlrev_b32 v24, 3, v25 :: v_dual_bitop2_b32 v46, s3, v46 bitop3:0x40
	ds_load_b64 v[10:11], v10
	ds_load_b64 v[12:13], v12
	;; [unrolled: 1-line block ×3, first 2 shown]
	global_store_b8 v[14:15], v45, off offset:2048
	s_wait_dscnt 0x5
	s_wait_xcnt 0x0
	v_add_nc_u64_e32 v[14:15], s[14:15], v[18:19]
	v_dual_lshlrev_b32 v45, 3, v46 :: v_dual_lshlrev_b32 v46, 3, v47
	global_store_b8 v[16:17], v30, off offset:3072
	s_wait_dscnt 0x4
	s_wait_xcnt 0x0
	v_add_nc_u64_e32 v[16:17], s[14:15], v[20:21]
	s_wait_dscnt 0x3
	v_add_nc_u64_e32 v[18:19], s[14:15], v[22:23]
	ds_load_b64 v[20:21], v45
	ds_load_b64 v[22:23], v46
	v_add_nc_u64_e32 v[14:15], v[14:15], v[0:1]
	v_xor_b32_e32 v30, 1, v31
	v_xor_b32_e32 v31, 1, v32
	;; [unrolled: 1-line block ×3, first 2 shown]
	v_add_nc_u64_e32 v[16:17], v[16:17], v[0:1]
	v_add_nc_u64_e32 v[18:19], v[18:19], v[0:1]
	v_xor_b32_e32 v33, 1, v42
	s_clause 0x2
	global_store_b8 v[14:15], v30, off offset:4096
	global_store_b8 v[16:17], v31, off offset:5120
	;; [unrolled: 1-line block ×3, first 2 shown]
	s_wait_dscnt 0x4
	v_add_nc_u64_e32 v[10:11], s[14:15], v[10:11]
	s_wait_dscnt 0x3
	v_add_nc_u64_e32 v[12:13], s[14:15], v[12:13]
	s_wait_dscnt 0x2
	s_wait_xcnt 0x2
	v_add_nc_u64_e32 v[14:15], s[14:15], v[24:25]
	v_xor_b32_e32 v24, 1, v34
	v_xor_b32_e32 v25, 1, v35
	s_wait_xcnt 0x0
	v_xor_b32_e32 v32, 1, v38
	s_wait_dscnt 0x1
	v_add_nc_u64_e32 v[16:17], s[14:15], v[20:21]
	v_add_nc_u64_e32 v[10:11], v[10:11], v[0:1]
	s_wait_dscnt 0x0
	v_add_nc_u64_e32 v[18:19], s[14:15], v[22:23]
	v_add_nc_u64_e32 v[12:13], v[12:13], v[0:1]
	s_clause 0x1
	global_store_b8 v[10:11], v24, off offset:7168
	global_store_b8 v[12:13], v25, off offset:8192
	s_wait_xcnt 0x0
	v_add_nc_u64_e32 v[12:13], v[18:19], v[0:1]
	v_and_b32_e32 v18, 1, v43
	v_and_b32_e32 v23, 1, v44
	v_add_nc_u64_e32 v[14:15], v[14:15], v[0:1]
	v_xor_b32_e32 v24, 1, v37
	s_delay_alu instid0(VALU_DEP_4) | instskip(NEXT) | instid1(VALU_DEP_4)
	v_dual_lshrrev_b32 v18, s16, v18 :: v_dual_bitop2_b32 v25, 1, v28 bitop3:0x40
	v_lshrrev_b32_e32 v31, s16, v23
	v_and_b32_e32 v20, 1, v39
	v_add_nc_u64_e32 v[10:11], v[16:17], v[0:1]
	v_and_b32_e32 v17, 1, v42
	v_and_b32_e32 v18, s3, v18
	v_xor_b32_e32 v30, 1, v36
	v_and_b32_e32 v31, s3, v31
	v_and_b32_e32 v16, 1, v41
	s_delay_alu instid0(VALU_DEP_4)
	v_dual_lshrrev_b32 v25, s16, v25 :: v_dual_lshlrev_b32 v22, 3, v18
	global_store_b8 v[14:15], v30, off offset:9216
	s_wait_xcnt 0x0
	v_and_b32_e32 v30, 1, v29
	v_and_b32_e32 v15, 1, v40
	v_lshrrev_b32_e32 v14, s16, v20
	v_dual_lshrrev_b32 v16, s16, v16 :: v_dual_lshrrev_b32 v17, s16, v17
	s_delay_alu instid0(VALU_DEP_3) | instskip(NEXT) | instid1(VALU_DEP_3)
	v_dual_lshrrev_b32 v30, s16, v30 :: v_dual_lshrrev_b32 v15, s16, v15
	v_and_b32_e32 v14, s3, v14
	s_delay_alu instid0(VALU_DEP_3) | instskip(NEXT) | instid1(VALU_DEP_4)
	v_and_b32_e32 v16, s3, v16
	v_and_b32_e32 v17, s3, v17
	v_add_nc_u64_e32 v[6:7], v[6:7], v[0:1]
	s_delay_alu instid0(VALU_DEP_4) | instskip(NEXT) | instid1(VALU_DEP_3)
	v_dual_lshlrev_b32 v14, 3, v14 :: v_dual_bitop2_b32 v19, s3, v15 bitop3:0x40
	v_dual_lshlrev_b32 v20, 3, v16 :: v_dual_lshlrev_b32 v21, 3, v17
	v_add_nc_u64_e32 v[8:9], v[8:9], v[0:1]
	s_delay_alu instid0(VALU_DEP_3)
	v_lshlrev_b32_e32 v19, 3, v19
	ds_load_b64 v[14:15], v14
	ds_load_b64 v[16:17], v19
	;; [unrolled: 1-line block ×4, first 2 shown]
	global_store_b8 v[10:11], v24, off offset:10240
	s_wait_xcnt 0x0
	v_and_b32_e32 v10, s3, v25
	global_store_b8 v[12:13], v32, off offset:11264
	s_wait_xcnt 0x0
	v_dual_lshlrev_b32 v13, 3, v31 :: v_dual_bitop2_b32 v12, s3, v30 bitop3:0x40
	ds_load_b64 v[22:23], v22
	v_dual_lshlrev_b32 v24, 3, v10 :: v_dual_bitop2_b32 v30, 1, v39 bitop3:0x14
	v_lshlrev_b32_e32 v25, 3, v12
	v_xor_b32_e32 v31, 1, v40
	v_xor_b32_e32 v32, 1, v41
	s_wait_dscnt 0x4
	v_add_nc_u64_e32 v[10:11], s[14:15], v[14:15]
	s_wait_dscnt 0x3
	v_add_nc_u64_e32 v[14:15], s[14:15], v[16:17]
	ds_load_b64 v[16:17], v24
	ds_load_b64 v[12:13], v13
	;; [unrolled: 1-line block ×3, first 2 shown]
	s_wait_dscnt 0x5
	v_add_nc_u64_e32 v[18:19], s[14:15], v[18:19]
	s_wait_dscnt 0x4
	v_add_nc_u64_e32 v[20:21], s[14:15], v[20:21]
	v_add_nc_u64_e32 v[10:11], v[10:11], v[0:1]
	;; [unrolled: 1-line block ×3, first 2 shown]
	s_wait_dscnt 0x3
	v_add_nc_u64_e32 v[22:23], s[14:15], v[22:23]
	v_add_nc_u64_e32 v[18:19], v[18:19], v[0:1]
	;; [unrolled: 1-line block ×3, first 2 shown]
	s_clause 0x3
	global_store_b8 v[10:11], v30, off offset:12288
	global_store_b8 v[14:15], v31, off offset:13312
	global_store_b8 v[18:19], v32, off offset:14336
	global_store_b8 v[20:21], v33, off offset:15360
	v_add_nc_u64_e32 v[22:23], v[22:23], v[0:1]
	s_wait_xcnt 0x3
	v_xor_b32_e32 v30, 1, v43
	s_wait_xcnt 0x1
	v_xor_b32_e32 v18, 1, v29
	v_xor_b32_e32 v19, 1, v27
	s_wait_dscnt 0x1
	v_add_nc_u64_e32 v[10:11], s[14:15], v[12:13]
	v_add_nc_u64_e32 v[12:13], s[14:15], v[16:17]
	s_wait_dscnt 0x0
	v_add_nc_u64_e32 v[14:15], s[14:15], v[24:25]
	v_xor_b32_e32 v16, 1, v44
	v_xor_b32_e32 v17, 1, v28
	global_store_b8 v[22:23], v30, off offset:16384
	v_add_nc_u64_e32 v[10:11], v[10:11], v[0:1]
	v_add_nc_u64_e32 v[12:13], v[12:13], v[0:1]
	;; [unrolled: 1-line block ×3, first 2 shown]
	v_xor_b32_e32 v1, 1, v26
	s_clause 0x4
	global_store_b8 v[10:11], v16, off offset:17408
	global_store_b8 v[12:13], v17, off offset:18432
	;; [unrolled: 1-line block ×5, first 2 shown]
	s_load_b32 s0, s[0:1], 0x58
	s_wait_kmcnt 0x0
	s_add_co_i32 s0, s0, -1
	s_delay_alu instid0(SALU_CYCLE_1) | instskip(SKIP_2) | instid1(SALU_CYCLE_1)
	s_cmp_eq_u32 s19, s0
	s_cselect_b32 s0, -1, 0
	s_xor_b32 s1, vcc_lo, -1
	s_and_b32 s0, s1, s0
	s_delay_alu instid0(SALU_CYCLE_1)
	s_and_saveexec_b32 s1, s0
	s_cbranch_execz .LBB1750_139
; %bb.138:
	ds_load_b64 v[6:7], v5
	v_mov_b32_e32 v5, 0
	s_delay_alu instid0(VALU_DEP_1) | instskip(SKIP_1) | instid1(VALU_DEP_1)
	v_add_nc_u64_e32 v[2:3], v[2:3], v[4:5]
	s_wait_dscnt 0x0
	v_add_nc_u64_e32 v[2:3], v[2:3], v[6:7]
	global_store_b64 v0, v[2:3], s[10:11] scale_offset
.LBB1750_139:
	s_sendmsg sendmsg(MSG_DEALLOC_VGPRS)
	s_endpgm
	.section	.rodata,"a",@progbits
	.p2align	6, 0x0
	.amdhsa_kernel _ZN7rocprim17ROCPRIM_400000_NS6detail17trampoline_kernelINS0_14default_configENS1_35radix_sort_onesweep_config_selectorIbNS0_10empty_typeEEEZZNS1_29radix_sort_onesweep_iterationIS3_Lb1EPKbPbPS5_SB_mNS0_19identity_decomposerENS1_16block_id_wrapperIjLb1EEEEE10hipError_tT1_PNSt15iterator_traitsISG_E10value_typeET2_T3_PNSH_ISM_E10value_typeET4_T5_PSR_SS_PNS1_23onesweep_lookback_stateEbbT6_jjT7_P12ihipStream_tbENKUlT_T0_SG_SL_E_clISA_SA_SB_SB_EEDaSZ_S10_SG_SL_EUlSZ_E_NS1_11comp_targetILNS1_3genE0ELNS1_11target_archE4294967295ELNS1_3gpuE0ELNS1_3repE0EEENS1_47radix_sort_onesweep_sort_config_static_selectorELNS0_4arch9wavefront6targetE0EEEvSG_
		.amdhsa_group_segment_fixed_size 32904
		.amdhsa_private_segment_fixed_size 0
		.amdhsa_kernarg_size 344
		.amdhsa_user_sgpr_count 2
		.amdhsa_user_sgpr_dispatch_ptr 0
		.amdhsa_user_sgpr_queue_ptr 0
		.amdhsa_user_sgpr_kernarg_segment_ptr 1
		.amdhsa_user_sgpr_dispatch_id 0
		.amdhsa_user_sgpr_kernarg_preload_length 0
		.amdhsa_user_sgpr_kernarg_preload_offset 0
		.amdhsa_user_sgpr_private_segment_size 0
		.amdhsa_wavefront_size32 1
		.amdhsa_uses_dynamic_stack 0
		.amdhsa_enable_private_segment 0
		.amdhsa_system_sgpr_workgroup_id_x 1
		.amdhsa_system_sgpr_workgroup_id_y 0
		.amdhsa_system_sgpr_workgroup_id_z 0
		.amdhsa_system_sgpr_workgroup_info 0
		.amdhsa_system_vgpr_workitem_id 0
		.amdhsa_next_free_vgpr 80
		.amdhsa_next_free_sgpr 25
		.amdhsa_named_barrier_count 0
		.amdhsa_reserve_vcc 1
		.amdhsa_float_round_mode_32 0
		.amdhsa_float_round_mode_16_64 0
		.amdhsa_float_denorm_mode_32 3
		.amdhsa_float_denorm_mode_16_64 3
		.amdhsa_fp16_overflow 0
		.amdhsa_memory_ordered 1
		.amdhsa_forward_progress 1
		.amdhsa_inst_pref_size 104
		.amdhsa_round_robin_scheduling 0
		.amdhsa_exception_fp_ieee_invalid_op 0
		.amdhsa_exception_fp_denorm_src 0
		.amdhsa_exception_fp_ieee_div_zero 0
		.amdhsa_exception_fp_ieee_overflow 0
		.amdhsa_exception_fp_ieee_underflow 0
		.amdhsa_exception_fp_ieee_inexact 0
		.amdhsa_exception_int_div_zero 0
	.end_amdhsa_kernel
	.section	.text._ZN7rocprim17ROCPRIM_400000_NS6detail17trampoline_kernelINS0_14default_configENS1_35radix_sort_onesweep_config_selectorIbNS0_10empty_typeEEEZZNS1_29radix_sort_onesweep_iterationIS3_Lb1EPKbPbPS5_SB_mNS0_19identity_decomposerENS1_16block_id_wrapperIjLb1EEEEE10hipError_tT1_PNSt15iterator_traitsISG_E10value_typeET2_T3_PNSH_ISM_E10value_typeET4_T5_PSR_SS_PNS1_23onesweep_lookback_stateEbbT6_jjT7_P12ihipStream_tbENKUlT_T0_SG_SL_E_clISA_SA_SB_SB_EEDaSZ_S10_SG_SL_EUlSZ_E_NS1_11comp_targetILNS1_3genE0ELNS1_11target_archE4294967295ELNS1_3gpuE0ELNS1_3repE0EEENS1_47radix_sort_onesweep_sort_config_static_selectorELNS0_4arch9wavefront6targetE0EEEvSG_,"axG",@progbits,_ZN7rocprim17ROCPRIM_400000_NS6detail17trampoline_kernelINS0_14default_configENS1_35radix_sort_onesweep_config_selectorIbNS0_10empty_typeEEEZZNS1_29radix_sort_onesweep_iterationIS3_Lb1EPKbPbPS5_SB_mNS0_19identity_decomposerENS1_16block_id_wrapperIjLb1EEEEE10hipError_tT1_PNSt15iterator_traitsISG_E10value_typeET2_T3_PNSH_ISM_E10value_typeET4_T5_PSR_SS_PNS1_23onesweep_lookback_stateEbbT6_jjT7_P12ihipStream_tbENKUlT_T0_SG_SL_E_clISA_SA_SB_SB_EEDaSZ_S10_SG_SL_EUlSZ_E_NS1_11comp_targetILNS1_3genE0ELNS1_11target_archE4294967295ELNS1_3gpuE0ELNS1_3repE0EEENS1_47radix_sort_onesweep_sort_config_static_selectorELNS0_4arch9wavefront6targetE0EEEvSG_,comdat
.Lfunc_end1750:
	.size	_ZN7rocprim17ROCPRIM_400000_NS6detail17trampoline_kernelINS0_14default_configENS1_35radix_sort_onesweep_config_selectorIbNS0_10empty_typeEEEZZNS1_29radix_sort_onesweep_iterationIS3_Lb1EPKbPbPS5_SB_mNS0_19identity_decomposerENS1_16block_id_wrapperIjLb1EEEEE10hipError_tT1_PNSt15iterator_traitsISG_E10value_typeET2_T3_PNSH_ISM_E10value_typeET4_T5_PSR_SS_PNS1_23onesweep_lookback_stateEbbT6_jjT7_P12ihipStream_tbENKUlT_T0_SG_SL_E_clISA_SA_SB_SB_EEDaSZ_S10_SG_SL_EUlSZ_E_NS1_11comp_targetILNS1_3genE0ELNS1_11target_archE4294967295ELNS1_3gpuE0ELNS1_3repE0EEENS1_47radix_sort_onesweep_sort_config_static_selectorELNS0_4arch9wavefront6targetE0EEEvSG_, .Lfunc_end1750-_ZN7rocprim17ROCPRIM_400000_NS6detail17trampoline_kernelINS0_14default_configENS1_35radix_sort_onesweep_config_selectorIbNS0_10empty_typeEEEZZNS1_29radix_sort_onesweep_iterationIS3_Lb1EPKbPbPS5_SB_mNS0_19identity_decomposerENS1_16block_id_wrapperIjLb1EEEEE10hipError_tT1_PNSt15iterator_traitsISG_E10value_typeET2_T3_PNSH_ISM_E10value_typeET4_T5_PSR_SS_PNS1_23onesweep_lookback_stateEbbT6_jjT7_P12ihipStream_tbENKUlT_T0_SG_SL_E_clISA_SA_SB_SB_EEDaSZ_S10_SG_SL_EUlSZ_E_NS1_11comp_targetILNS1_3genE0ELNS1_11target_archE4294967295ELNS1_3gpuE0ELNS1_3repE0EEENS1_47radix_sort_onesweep_sort_config_static_selectorELNS0_4arch9wavefront6targetE0EEEvSG_
                                        ; -- End function
	.set _ZN7rocprim17ROCPRIM_400000_NS6detail17trampoline_kernelINS0_14default_configENS1_35radix_sort_onesweep_config_selectorIbNS0_10empty_typeEEEZZNS1_29radix_sort_onesweep_iterationIS3_Lb1EPKbPbPS5_SB_mNS0_19identity_decomposerENS1_16block_id_wrapperIjLb1EEEEE10hipError_tT1_PNSt15iterator_traitsISG_E10value_typeET2_T3_PNSH_ISM_E10value_typeET4_T5_PSR_SS_PNS1_23onesweep_lookback_stateEbbT6_jjT7_P12ihipStream_tbENKUlT_T0_SG_SL_E_clISA_SA_SB_SB_EEDaSZ_S10_SG_SL_EUlSZ_E_NS1_11comp_targetILNS1_3genE0ELNS1_11target_archE4294967295ELNS1_3gpuE0ELNS1_3repE0EEENS1_47radix_sort_onesweep_sort_config_static_selectorELNS0_4arch9wavefront6targetE0EEEvSG_.num_vgpr, 80
	.set _ZN7rocprim17ROCPRIM_400000_NS6detail17trampoline_kernelINS0_14default_configENS1_35radix_sort_onesweep_config_selectorIbNS0_10empty_typeEEEZZNS1_29radix_sort_onesweep_iterationIS3_Lb1EPKbPbPS5_SB_mNS0_19identity_decomposerENS1_16block_id_wrapperIjLb1EEEEE10hipError_tT1_PNSt15iterator_traitsISG_E10value_typeET2_T3_PNSH_ISM_E10value_typeET4_T5_PSR_SS_PNS1_23onesweep_lookback_stateEbbT6_jjT7_P12ihipStream_tbENKUlT_T0_SG_SL_E_clISA_SA_SB_SB_EEDaSZ_S10_SG_SL_EUlSZ_E_NS1_11comp_targetILNS1_3genE0ELNS1_11target_archE4294967295ELNS1_3gpuE0ELNS1_3repE0EEENS1_47radix_sort_onesweep_sort_config_static_selectorELNS0_4arch9wavefront6targetE0EEEvSG_.num_agpr, 0
	.set _ZN7rocprim17ROCPRIM_400000_NS6detail17trampoline_kernelINS0_14default_configENS1_35radix_sort_onesweep_config_selectorIbNS0_10empty_typeEEEZZNS1_29radix_sort_onesweep_iterationIS3_Lb1EPKbPbPS5_SB_mNS0_19identity_decomposerENS1_16block_id_wrapperIjLb1EEEEE10hipError_tT1_PNSt15iterator_traitsISG_E10value_typeET2_T3_PNSH_ISM_E10value_typeET4_T5_PSR_SS_PNS1_23onesweep_lookback_stateEbbT6_jjT7_P12ihipStream_tbENKUlT_T0_SG_SL_E_clISA_SA_SB_SB_EEDaSZ_S10_SG_SL_EUlSZ_E_NS1_11comp_targetILNS1_3genE0ELNS1_11target_archE4294967295ELNS1_3gpuE0ELNS1_3repE0EEENS1_47radix_sort_onesweep_sort_config_static_selectorELNS0_4arch9wavefront6targetE0EEEvSG_.numbered_sgpr, 25
	.set _ZN7rocprim17ROCPRIM_400000_NS6detail17trampoline_kernelINS0_14default_configENS1_35radix_sort_onesweep_config_selectorIbNS0_10empty_typeEEEZZNS1_29radix_sort_onesweep_iterationIS3_Lb1EPKbPbPS5_SB_mNS0_19identity_decomposerENS1_16block_id_wrapperIjLb1EEEEE10hipError_tT1_PNSt15iterator_traitsISG_E10value_typeET2_T3_PNSH_ISM_E10value_typeET4_T5_PSR_SS_PNS1_23onesweep_lookback_stateEbbT6_jjT7_P12ihipStream_tbENKUlT_T0_SG_SL_E_clISA_SA_SB_SB_EEDaSZ_S10_SG_SL_EUlSZ_E_NS1_11comp_targetILNS1_3genE0ELNS1_11target_archE4294967295ELNS1_3gpuE0ELNS1_3repE0EEENS1_47radix_sort_onesweep_sort_config_static_selectorELNS0_4arch9wavefront6targetE0EEEvSG_.num_named_barrier, 0
	.set _ZN7rocprim17ROCPRIM_400000_NS6detail17trampoline_kernelINS0_14default_configENS1_35radix_sort_onesweep_config_selectorIbNS0_10empty_typeEEEZZNS1_29radix_sort_onesweep_iterationIS3_Lb1EPKbPbPS5_SB_mNS0_19identity_decomposerENS1_16block_id_wrapperIjLb1EEEEE10hipError_tT1_PNSt15iterator_traitsISG_E10value_typeET2_T3_PNSH_ISM_E10value_typeET4_T5_PSR_SS_PNS1_23onesweep_lookback_stateEbbT6_jjT7_P12ihipStream_tbENKUlT_T0_SG_SL_E_clISA_SA_SB_SB_EEDaSZ_S10_SG_SL_EUlSZ_E_NS1_11comp_targetILNS1_3genE0ELNS1_11target_archE4294967295ELNS1_3gpuE0ELNS1_3repE0EEENS1_47radix_sort_onesweep_sort_config_static_selectorELNS0_4arch9wavefront6targetE0EEEvSG_.private_seg_size, 0
	.set _ZN7rocprim17ROCPRIM_400000_NS6detail17trampoline_kernelINS0_14default_configENS1_35radix_sort_onesweep_config_selectorIbNS0_10empty_typeEEEZZNS1_29radix_sort_onesweep_iterationIS3_Lb1EPKbPbPS5_SB_mNS0_19identity_decomposerENS1_16block_id_wrapperIjLb1EEEEE10hipError_tT1_PNSt15iterator_traitsISG_E10value_typeET2_T3_PNSH_ISM_E10value_typeET4_T5_PSR_SS_PNS1_23onesweep_lookback_stateEbbT6_jjT7_P12ihipStream_tbENKUlT_T0_SG_SL_E_clISA_SA_SB_SB_EEDaSZ_S10_SG_SL_EUlSZ_E_NS1_11comp_targetILNS1_3genE0ELNS1_11target_archE4294967295ELNS1_3gpuE0ELNS1_3repE0EEENS1_47radix_sort_onesweep_sort_config_static_selectorELNS0_4arch9wavefront6targetE0EEEvSG_.uses_vcc, 1
	.set _ZN7rocprim17ROCPRIM_400000_NS6detail17trampoline_kernelINS0_14default_configENS1_35radix_sort_onesweep_config_selectorIbNS0_10empty_typeEEEZZNS1_29radix_sort_onesweep_iterationIS3_Lb1EPKbPbPS5_SB_mNS0_19identity_decomposerENS1_16block_id_wrapperIjLb1EEEEE10hipError_tT1_PNSt15iterator_traitsISG_E10value_typeET2_T3_PNSH_ISM_E10value_typeET4_T5_PSR_SS_PNS1_23onesweep_lookback_stateEbbT6_jjT7_P12ihipStream_tbENKUlT_T0_SG_SL_E_clISA_SA_SB_SB_EEDaSZ_S10_SG_SL_EUlSZ_E_NS1_11comp_targetILNS1_3genE0ELNS1_11target_archE4294967295ELNS1_3gpuE0ELNS1_3repE0EEENS1_47radix_sort_onesweep_sort_config_static_selectorELNS0_4arch9wavefront6targetE0EEEvSG_.uses_flat_scratch, 0
	.set _ZN7rocprim17ROCPRIM_400000_NS6detail17trampoline_kernelINS0_14default_configENS1_35radix_sort_onesweep_config_selectorIbNS0_10empty_typeEEEZZNS1_29radix_sort_onesweep_iterationIS3_Lb1EPKbPbPS5_SB_mNS0_19identity_decomposerENS1_16block_id_wrapperIjLb1EEEEE10hipError_tT1_PNSt15iterator_traitsISG_E10value_typeET2_T3_PNSH_ISM_E10value_typeET4_T5_PSR_SS_PNS1_23onesweep_lookback_stateEbbT6_jjT7_P12ihipStream_tbENKUlT_T0_SG_SL_E_clISA_SA_SB_SB_EEDaSZ_S10_SG_SL_EUlSZ_E_NS1_11comp_targetILNS1_3genE0ELNS1_11target_archE4294967295ELNS1_3gpuE0ELNS1_3repE0EEENS1_47radix_sort_onesweep_sort_config_static_selectorELNS0_4arch9wavefront6targetE0EEEvSG_.has_dyn_sized_stack, 0
	.set _ZN7rocprim17ROCPRIM_400000_NS6detail17trampoline_kernelINS0_14default_configENS1_35radix_sort_onesweep_config_selectorIbNS0_10empty_typeEEEZZNS1_29radix_sort_onesweep_iterationIS3_Lb1EPKbPbPS5_SB_mNS0_19identity_decomposerENS1_16block_id_wrapperIjLb1EEEEE10hipError_tT1_PNSt15iterator_traitsISG_E10value_typeET2_T3_PNSH_ISM_E10value_typeET4_T5_PSR_SS_PNS1_23onesweep_lookback_stateEbbT6_jjT7_P12ihipStream_tbENKUlT_T0_SG_SL_E_clISA_SA_SB_SB_EEDaSZ_S10_SG_SL_EUlSZ_E_NS1_11comp_targetILNS1_3genE0ELNS1_11target_archE4294967295ELNS1_3gpuE0ELNS1_3repE0EEENS1_47radix_sort_onesweep_sort_config_static_selectorELNS0_4arch9wavefront6targetE0EEEvSG_.has_recursion, 0
	.set _ZN7rocprim17ROCPRIM_400000_NS6detail17trampoline_kernelINS0_14default_configENS1_35radix_sort_onesweep_config_selectorIbNS0_10empty_typeEEEZZNS1_29radix_sort_onesweep_iterationIS3_Lb1EPKbPbPS5_SB_mNS0_19identity_decomposerENS1_16block_id_wrapperIjLb1EEEEE10hipError_tT1_PNSt15iterator_traitsISG_E10value_typeET2_T3_PNSH_ISM_E10value_typeET4_T5_PSR_SS_PNS1_23onesweep_lookback_stateEbbT6_jjT7_P12ihipStream_tbENKUlT_T0_SG_SL_E_clISA_SA_SB_SB_EEDaSZ_S10_SG_SL_EUlSZ_E_NS1_11comp_targetILNS1_3genE0ELNS1_11target_archE4294967295ELNS1_3gpuE0ELNS1_3repE0EEENS1_47radix_sort_onesweep_sort_config_static_selectorELNS0_4arch9wavefront6targetE0EEEvSG_.has_indirect_call, 0
	.section	.AMDGPU.csdata,"",@progbits
; Kernel info:
; codeLenInByte = 13256
; TotalNumSgprs: 27
; NumVgprs: 80
; ScratchSize: 0
; MemoryBound: 0
; FloatMode: 240
; IeeeMode: 1
; LDSByteSize: 32904 bytes/workgroup (compile time only)
; SGPRBlocks: 0
; VGPRBlocks: 4
; NumSGPRsForWavesPerEU: 27
; NumVGPRsForWavesPerEU: 80
; NamedBarCnt: 0
; Occupancy: 12
; WaveLimiterHint : 0
; COMPUTE_PGM_RSRC2:SCRATCH_EN: 0
; COMPUTE_PGM_RSRC2:USER_SGPR: 2
; COMPUTE_PGM_RSRC2:TRAP_HANDLER: 0
; COMPUTE_PGM_RSRC2:TGID_X_EN: 1
; COMPUTE_PGM_RSRC2:TGID_Y_EN: 0
; COMPUTE_PGM_RSRC2:TGID_Z_EN: 0
; COMPUTE_PGM_RSRC2:TIDIG_COMP_CNT: 0
	.section	.text._ZN7rocprim17ROCPRIM_400000_NS6detail17trampoline_kernelINS0_14default_configENS1_35radix_sort_onesweep_config_selectorIbNS0_10empty_typeEEEZZNS1_29radix_sort_onesweep_iterationIS3_Lb1EPKbPbPS5_SB_mNS0_19identity_decomposerENS1_16block_id_wrapperIjLb1EEEEE10hipError_tT1_PNSt15iterator_traitsISG_E10value_typeET2_T3_PNSH_ISM_E10value_typeET4_T5_PSR_SS_PNS1_23onesweep_lookback_stateEbbT6_jjT7_P12ihipStream_tbENKUlT_T0_SG_SL_E_clISA_SA_SB_SB_EEDaSZ_S10_SG_SL_EUlSZ_E_NS1_11comp_targetILNS1_3genE6ELNS1_11target_archE950ELNS1_3gpuE13ELNS1_3repE0EEENS1_47radix_sort_onesweep_sort_config_static_selectorELNS0_4arch9wavefront6targetE0EEEvSG_,"axG",@progbits,_ZN7rocprim17ROCPRIM_400000_NS6detail17trampoline_kernelINS0_14default_configENS1_35radix_sort_onesweep_config_selectorIbNS0_10empty_typeEEEZZNS1_29radix_sort_onesweep_iterationIS3_Lb1EPKbPbPS5_SB_mNS0_19identity_decomposerENS1_16block_id_wrapperIjLb1EEEEE10hipError_tT1_PNSt15iterator_traitsISG_E10value_typeET2_T3_PNSH_ISM_E10value_typeET4_T5_PSR_SS_PNS1_23onesweep_lookback_stateEbbT6_jjT7_P12ihipStream_tbENKUlT_T0_SG_SL_E_clISA_SA_SB_SB_EEDaSZ_S10_SG_SL_EUlSZ_E_NS1_11comp_targetILNS1_3genE6ELNS1_11target_archE950ELNS1_3gpuE13ELNS1_3repE0EEENS1_47radix_sort_onesweep_sort_config_static_selectorELNS0_4arch9wavefront6targetE0EEEvSG_,comdat
	.protected	_ZN7rocprim17ROCPRIM_400000_NS6detail17trampoline_kernelINS0_14default_configENS1_35radix_sort_onesweep_config_selectorIbNS0_10empty_typeEEEZZNS1_29radix_sort_onesweep_iterationIS3_Lb1EPKbPbPS5_SB_mNS0_19identity_decomposerENS1_16block_id_wrapperIjLb1EEEEE10hipError_tT1_PNSt15iterator_traitsISG_E10value_typeET2_T3_PNSH_ISM_E10value_typeET4_T5_PSR_SS_PNS1_23onesweep_lookback_stateEbbT6_jjT7_P12ihipStream_tbENKUlT_T0_SG_SL_E_clISA_SA_SB_SB_EEDaSZ_S10_SG_SL_EUlSZ_E_NS1_11comp_targetILNS1_3genE6ELNS1_11target_archE950ELNS1_3gpuE13ELNS1_3repE0EEENS1_47radix_sort_onesweep_sort_config_static_selectorELNS0_4arch9wavefront6targetE0EEEvSG_ ; -- Begin function _ZN7rocprim17ROCPRIM_400000_NS6detail17trampoline_kernelINS0_14default_configENS1_35radix_sort_onesweep_config_selectorIbNS0_10empty_typeEEEZZNS1_29radix_sort_onesweep_iterationIS3_Lb1EPKbPbPS5_SB_mNS0_19identity_decomposerENS1_16block_id_wrapperIjLb1EEEEE10hipError_tT1_PNSt15iterator_traitsISG_E10value_typeET2_T3_PNSH_ISM_E10value_typeET4_T5_PSR_SS_PNS1_23onesweep_lookback_stateEbbT6_jjT7_P12ihipStream_tbENKUlT_T0_SG_SL_E_clISA_SA_SB_SB_EEDaSZ_S10_SG_SL_EUlSZ_E_NS1_11comp_targetILNS1_3genE6ELNS1_11target_archE950ELNS1_3gpuE13ELNS1_3repE0EEENS1_47radix_sort_onesweep_sort_config_static_selectorELNS0_4arch9wavefront6targetE0EEEvSG_
	.globl	_ZN7rocprim17ROCPRIM_400000_NS6detail17trampoline_kernelINS0_14default_configENS1_35radix_sort_onesweep_config_selectorIbNS0_10empty_typeEEEZZNS1_29radix_sort_onesweep_iterationIS3_Lb1EPKbPbPS5_SB_mNS0_19identity_decomposerENS1_16block_id_wrapperIjLb1EEEEE10hipError_tT1_PNSt15iterator_traitsISG_E10value_typeET2_T3_PNSH_ISM_E10value_typeET4_T5_PSR_SS_PNS1_23onesweep_lookback_stateEbbT6_jjT7_P12ihipStream_tbENKUlT_T0_SG_SL_E_clISA_SA_SB_SB_EEDaSZ_S10_SG_SL_EUlSZ_E_NS1_11comp_targetILNS1_3genE6ELNS1_11target_archE950ELNS1_3gpuE13ELNS1_3repE0EEENS1_47radix_sort_onesweep_sort_config_static_selectorELNS0_4arch9wavefront6targetE0EEEvSG_
	.p2align	8
	.type	_ZN7rocprim17ROCPRIM_400000_NS6detail17trampoline_kernelINS0_14default_configENS1_35radix_sort_onesweep_config_selectorIbNS0_10empty_typeEEEZZNS1_29radix_sort_onesweep_iterationIS3_Lb1EPKbPbPS5_SB_mNS0_19identity_decomposerENS1_16block_id_wrapperIjLb1EEEEE10hipError_tT1_PNSt15iterator_traitsISG_E10value_typeET2_T3_PNSH_ISM_E10value_typeET4_T5_PSR_SS_PNS1_23onesweep_lookback_stateEbbT6_jjT7_P12ihipStream_tbENKUlT_T0_SG_SL_E_clISA_SA_SB_SB_EEDaSZ_S10_SG_SL_EUlSZ_E_NS1_11comp_targetILNS1_3genE6ELNS1_11target_archE950ELNS1_3gpuE13ELNS1_3repE0EEENS1_47radix_sort_onesweep_sort_config_static_selectorELNS0_4arch9wavefront6targetE0EEEvSG_,@function
_ZN7rocprim17ROCPRIM_400000_NS6detail17trampoline_kernelINS0_14default_configENS1_35radix_sort_onesweep_config_selectorIbNS0_10empty_typeEEEZZNS1_29radix_sort_onesweep_iterationIS3_Lb1EPKbPbPS5_SB_mNS0_19identity_decomposerENS1_16block_id_wrapperIjLb1EEEEE10hipError_tT1_PNSt15iterator_traitsISG_E10value_typeET2_T3_PNSH_ISM_E10value_typeET4_T5_PSR_SS_PNS1_23onesweep_lookback_stateEbbT6_jjT7_P12ihipStream_tbENKUlT_T0_SG_SL_E_clISA_SA_SB_SB_EEDaSZ_S10_SG_SL_EUlSZ_E_NS1_11comp_targetILNS1_3genE6ELNS1_11target_archE950ELNS1_3gpuE13ELNS1_3repE0EEENS1_47radix_sort_onesweep_sort_config_static_selectorELNS0_4arch9wavefront6targetE0EEEvSG_: ; @_ZN7rocprim17ROCPRIM_400000_NS6detail17trampoline_kernelINS0_14default_configENS1_35radix_sort_onesweep_config_selectorIbNS0_10empty_typeEEEZZNS1_29radix_sort_onesweep_iterationIS3_Lb1EPKbPbPS5_SB_mNS0_19identity_decomposerENS1_16block_id_wrapperIjLb1EEEEE10hipError_tT1_PNSt15iterator_traitsISG_E10value_typeET2_T3_PNSH_ISM_E10value_typeET4_T5_PSR_SS_PNS1_23onesweep_lookback_stateEbbT6_jjT7_P12ihipStream_tbENKUlT_T0_SG_SL_E_clISA_SA_SB_SB_EEDaSZ_S10_SG_SL_EUlSZ_E_NS1_11comp_targetILNS1_3genE6ELNS1_11target_archE950ELNS1_3gpuE13ELNS1_3repE0EEENS1_47radix_sort_onesweep_sort_config_static_selectorELNS0_4arch9wavefront6targetE0EEEvSG_
; %bb.0:
	.section	.rodata,"a",@progbits
	.p2align	6, 0x0
	.amdhsa_kernel _ZN7rocprim17ROCPRIM_400000_NS6detail17trampoline_kernelINS0_14default_configENS1_35radix_sort_onesweep_config_selectorIbNS0_10empty_typeEEEZZNS1_29radix_sort_onesweep_iterationIS3_Lb1EPKbPbPS5_SB_mNS0_19identity_decomposerENS1_16block_id_wrapperIjLb1EEEEE10hipError_tT1_PNSt15iterator_traitsISG_E10value_typeET2_T3_PNSH_ISM_E10value_typeET4_T5_PSR_SS_PNS1_23onesweep_lookback_stateEbbT6_jjT7_P12ihipStream_tbENKUlT_T0_SG_SL_E_clISA_SA_SB_SB_EEDaSZ_S10_SG_SL_EUlSZ_E_NS1_11comp_targetILNS1_3genE6ELNS1_11target_archE950ELNS1_3gpuE13ELNS1_3repE0EEENS1_47radix_sort_onesweep_sort_config_static_selectorELNS0_4arch9wavefront6targetE0EEEvSG_
		.amdhsa_group_segment_fixed_size 0
		.amdhsa_private_segment_fixed_size 0
		.amdhsa_kernarg_size 88
		.amdhsa_user_sgpr_count 2
		.amdhsa_user_sgpr_dispatch_ptr 0
		.amdhsa_user_sgpr_queue_ptr 0
		.amdhsa_user_sgpr_kernarg_segment_ptr 1
		.amdhsa_user_sgpr_dispatch_id 0
		.amdhsa_user_sgpr_kernarg_preload_length 0
		.amdhsa_user_sgpr_kernarg_preload_offset 0
		.amdhsa_user_sgpr_private_segment_size 0
		.amdhsa_wavefront_size32 1
		.amdhsa_uses_dynamic_stack 0
		.amdhsa_enable_private_segment 0
		.amdhsa_system_sgpr_workgroup_id_x 1
		.amdhsa_system_sgpr_workgroup_id_y 0
		.amdhsa_system_sgpr_workgroup_id_z 0
		.amdhsa_system_sgpr_workgroup_info 0
		.amdhsa_system_vgpr_workitem_id 0
		.amdhsa_next_free_vgpr 1
		.amdhsa_next_free_sgpr 1
		.amdhsa_named_barrier_count 0
		.amdhsa_reserve_vcc 0
		.amdhsa_float_round_mode_32 0
		.amdhsa_float_round_mode_16_64 0
		.amdhsa_float_denorm_mode_32 3
		.amdhsa_float_denorm_mode_16_64 3
		.amdhsa_fp16_overflow 0
		.amdhsa_memory_ordered 1
		.amdhsa_forward_progress 1
		.amdhsa_inst_pref_size 0
		.amdhsa_round_robin_scheduling 0
		.amdhsa_exception_fp_ieee_invalid_op 0
		.amdhsa_exception_fp_denorm_src 0
		.amdhsa_exception_fp_ieee_div_zero 0
		.amdhsa_exception_fp_ieee_overflow 0
		.amdhsa_exception_fp_ieee_underflow 0
		.amdhsa_exception_fp_ieee_inexact 0
		.amdhsa_exception_int_div_zero 0
	.end_amdhsa_kernel
	.section	.text._ZN7rocprim17ROCPRIM_400000_NS6detail17trampoline_kernelINS0_14default_configENS1_35radix_sort_onesweep_config_selectorIbNS0_10empty_typeEEEZZNS1_29radix_sort_onesweep_iterationIS3_Lb1EPKbPbPS5_SB_mNS0_19identity_decomposerENS1_16block_id_wrapperIjLb1EEEEE10hipError_tT1_PNSt15iterator_traitsISG_E10value_typeET2_T3_PNSH_ISM_E10value_typeET4_T5_PSR_SS_PNS1_23onesweep_lookback_stateEbbT6_jjT7_P12ihipStream_tbENKUlT_T0_SG_SL_E_clISA_SA_SB_SB_EEDaSZ_S10_SG_SL_EUlSZ_E_NS1_11comp_targetILNS1_3genE6ELNS1_11target_archE950ELNS1_3gpuE13ELNS1_3repE0EEENS1_47radix_sort_onesweep_sort_config_static_selectorELNS0_4arch9wavefront6targetE0EEEvSG_,"axG",@progbits,_ZN7rocprim17ROCPRIM_400000_NS6detail17trampoline_kernelINS0_14default_configENS1_35radix_sort_onesweep_config_selectorIbNS0_10empty_typeEEEZZNS1_29radix_sort_onesweep_iterationIS3_Lb1EPKbPbPS5_SB_mNS0_19identity_decomposerENS1_16block_id_wrapperIjLb1EEEEE10hipError_tT1_PNSt15iterator_traitsISG_E10value_typeET2_T3_PNSH_ISM_E10value_typeET4_T5_PSR_SS_PNS1_23onesweep_lookback_stateEbbT6_jjT7_P12ihipStream_tbENKUlT_T0_SG_SL_E_clISA_SA_SB_SB_EEDaSZ_S10_SG_SL_EUlSZ_E_NS1_11comp_targetILNS1_3genE6ELNS1_11target_archE950ELNS1_3gpuE13ELNS1_3repE0EEENS1_47radix_sort_onesweep_sort_config_static_selectorELNS0_4arch9wavefront6targetE0EEEvSG_,comdat
.Lfunc_end1751:
	.size	_ZN7rocprim17ROCPRIM_400000_NS6detail17trampoline_kernelINS0_14default_configENS1_35radix_sort_onesweep_config_selectorIbNS0_10empty_typeEEEZZNS1_29radix_sort_onesweep_iterationIS3_Lb1EPKbPbPS5_SB_mNS0_19identity_decomposerENS1_16block_id_wrapperIjLb1EEEEE10hipError_tT1_PNSt15iterator_traitsISG_E10value_typeET2_T3_PNSH_ISM_E10value_typeET4_T5_PSR_SS_PNS1_23onesweep_lookback_stateEbbT6_jjT7_P12ihipStream_tbENKUlT_T0_SG_SL_E_clISA_SA_SB_SB_EEDaSZ_S10_SG_SL_EUlSZ_E_NS1_11comp_targetILNS1_3genE6ELNS1_11target_archE950ELNS1_3gpuE13ELNS1_3repE0EEENS1_47radix_sort_onesweep_sort_config_static_selectorELNS0_4arch9wavefront6targetE0EEEvSG_, .Lfunc_end1751-_ZN7rocprim17ROCPRIM_400000_NS6detail17trampoline_kernelINS0_14default_configENS1_35radix_sort_onesweep_config_selectorIbNS0_10empty_typeEEEZZNS1_29radix_sort_onesweep_iterationIS3_Lb1EPKbPbPS5_SB_mNS0_19identity_decomposerENS1_16block_id_wrapperIjLb1EEEEE10hipError_tT1_PNSt15iterator_traitsISG_E10value_typeET2_T3_PNSH_ISM_E10value_typeET4_T5_PSR_SS_PNS1_23onesweep_lookback_stateEbbT6_jjT7_P12ihipStream_tbENKUlT_T0_SG_SL_E_clISA_SA_SB_SB_EEDaSZ_S10_SG_SL_EUlSZ_E_NS1_11comp_targetILNS1_3genE6ELNS1_11target_archE950ELNS1_3gpuE13ELNS1_3repE0EEENS1_47radix_sort_onesweep_sort_config_static_selectorELNS0_4arch9wavefront6targetE0EEEvSG_
                                        ; -- End function
	.set _ZN7rocprim17ROCPRIM_400000_NS6detail17trampoline_kernelINS0_14default_configENS1_35radix_sort_onesweep_config_selectorIbNS0_10empty_typeEEEZZNS1_29radix_sort_onesweep_iterationIS3_Lb1EPKbPbPS5_SB_mNS0_19identity_decomposerENS1_16block_id_wrapperIjLb1EEEEE10hipError_tT1_PNSt15iterator_traitsISG_E10value_typeET2_T3_PNSH_ISM_E10value_typeET4_T5_PSR_SS_PNS1_23onesweep_lookback_stateEbbT6_jjT7_P12ihipStream_tbENKUlT_T0_SG_SL_E_clISA_SA_SB_SB_EEDaSZ_S10_SG_SL_EUlSZ_E_NS1_11comp_targetILNS1_3genE6ELNS1_11target_archE950ELNS1_3gpuE13ELNS1_3repE0EEENS1_47radix_sort_onesweep_sort_config_static_selectorELNS0_4arch9wavefront6targetE0EEEvSG_.num_vgpr, 0
	.set _ZN7rocprim17ROCPRIM_400000_NS6detail17trampoline_kernelINS0_14default_configENS1_35radix_sort_onesweep_config_selectorIbNS0_10empty_typeEEEZZNS1_29radix_sort_onesweep_iterationIS3_Lb1EPKbPbPS5_SB_mNS0_19identity_decomposerENS1_16block_id_wrapperIjLb1EEEEE10hipError_tT1_PNSt15iterator_traitsISG_E10value_typeET2_T3_PNSH_ISM_E10value_typeET4_T5_PSR_SS_PNS1_23onesweep_lookback_stateEbbT6_jjT7_P12ihipStream_tbENKUlT_T0_SG_SL_E_clISA_SA_SB_SB_EEDaSZ_S10_SG_SL_EUlSZ_E_NS1_11comp_targetILNS1_3genE6ELNS1_11target_archE950ELNS1_3gpuE13ELNS1_3repE0EEENS1_47radix_sort_onesweep_sort_config_static_selectorELNS0_4arch9wavefront6targetE0EEEvSG_.num_agpr, 0
	.set _ZN7rocprim17ROCPRIM_400000_NS6detail17trampoline_kernelINS0_14default_configENS1_35radix_sort_onesweep_config_selectorIbNS0_10empty_typeEEEZZNS1_29radix_sort_onesweep_iterationIS3_Lb1EPKbPbPS5_SB_mNS0_19identity_decomposerENS1_16block_id_wrapperIjLb1EEEEE10hipError_tT1_PNSt15iterator_traitsISG_E10value_typeET2_T3_PNSH_ISM_E10value_typeET4_T5_PSR_SS_PNS1_23onesweep_lookback_stateEbbT6_jjT7_P12ihipStream_tbENKUlT_T0_SG_SL_E_clISA_SA_SB_SB_EEDaSZ_S10_SG_SL_EUlSZ_E_NS1_11comp_targetILNS1_3genE6ELNS1_11target_archE950ELNS1_3gpuE13ELNS1_3repE0EEENS1_47radix_sort_onesweep_sort_config_static_selectorELNS0_4arch9wavefront6targetE0EEEvSG_.numbered_sgpr, 0
	.set _ZN7rocprim17ROCPRIM_400000_NS6detail17trampoline_kernelINS0_14default_configENS1_35radix_sort_onesweep_config_selectorIbNS0_10empty_typeEEEZZNS1_29radix_sort_onesweep_iterationIS3_Lb1EPKbPbPS5_SB_mNS0_19identity_decomposerENS1_16block_id_wrapperIjLb1EEEEE10hipError_tT1_PNSt15iterator_traitsISG_E10value_typeET2_T3_PNSH_ISM_E10value_typeET4_T5_PSR_SS_PNS1_23onesweep_lookback_stateEbbT6_jjT7_P12ihipStream_tbENKUlT_T0_SG_SL_E_clISA_SA_SB_SB_EEDaSZ_S10_SG_SL_EUlSZ_E_NS1_11comp_targetILNS1_3genE6ELNS1_11target_archE950ELNS1_3gpuE13ELNS1_3repE0EEENS1_47radix_sort_onesweep_sort_config_static_selectorELNS0_4arch9wavefront6targetE0EEEvSG_.num_named_barrier, 0
	.set _ZN7rocprim17ROCPRIM_400000_NS6detail17trampoline_kernelINS0_14default_configENS1_35radix_sort_onesweep_config_selectorIbNS0_10empty_typeEEEZZNS1_29radix_sort_onesweep_iterationIS3_Lb1EPKbPbPS5_SB_mNS0_19identity_decomposerENS1_16block_id_wrapperIjLb1EEEEE10hipError_tT1_PNSt15iterator_traitsISG_E10value_typeET2_T3_PNSH_ISM_E10value_typeET4_T5_PSR_SS_PNS1_23onesweep_lookback_stateEbbT6_jjT7_P12ihipStream_tbENKUlT_T0_SG_SL_E_clISA_SA_SB_SB_EEDaSZ_S10_SG_SL_EUlSZ_E_NS1_11comp_targetILNS1_3genE6ELNS1_11target_archE950ELNS1_3gpuE13ELNS1_3repE0EEENS1_47radix_sort_onesweep_sort_config_static_selectorELNS0_4arch9wavefront6targetE0EEEvSG_.private_seg_size, 0
	.set _ZN7rocprim17ROCPRIM_400000_NS6detail17trampoline_kernelINS0_14default_configENS1_35radix_sort_onesweep_config_selectorIbNS0_10empty_typeEEEZZNS1_29radix_sort_onesweep_iterationIS3_Lb1EPKbPbPS5_SB_mNS0_19identity_decomposerENS1_16block_id_wrapperIjLb1EEEEE10hipError_tT1_PNSt15iterator_traitsISG_E10value_typeET2_T3_PNSH_ISM_E10value_typeET4_T5_PSR_SS_PNS1_23onesweep_lookback_stateEbbT6_jjT7_P12ihipStream_tbENKUlT_T0_SG_SL_E_clISA_SA_SB_SB_EEDaSZ_S10_SG_SL_EUlSZ_E_NS1_11comp_targetILNS1_3genE6ELNS1_11target_archE950ELNS1_3gpuE13ELNS1_3repE0EEENS1_47radix_sort_onesweep_sort_config_static_selectorELNS0_4arch9wavefront6targetE0EEEvSG_.uses_vcc, 0
	.set _ZN7rocprim17ROCPRIM_400000_NS6detail17trampoline_kernelINS0_14default_configENS1_35radix_sort_onesweep_config_selectorIbNS0_10empty_typeEEEZZNS1_29radix_sort_onesweep_iterationIS3_Lb1EPKbPbPS5_SB_mNS0_19identity_decomposerENS1_16block_id_wrapperIjLb1EEEEE10hipError_tT1_PNSt15iterator_traitsISG_E10value_typeET2_T3_PNSH_ISM_E10value_typeET4_T5_PSR_SS_PNS1_23onesweep_lookback_stateEbbT6_jjT7_P12ihipStream_tbENKUlT_T0_SG_SL_E_clISA_SA_SB_SB_EEDaSZ_S10_SG_SL_EUlSZ_E_NS1_11comp_targetILNS1_3genE6ELNS1_11target_archE950ELNS1_3gpuE13ELNS1_3repE0EEENS1_47radix_sort_onesweep_sort_config_static_selectorELNS0_4arch9wavefront6targetE0EEEvSG_.uses_flat_scratch, 0
	.set _ZN7rocprim17ROCPRIM_400000_NS6detail17trampoline_kernelINS0_14default_configENS1_35radix_sort_onesweep_config_selectorIbNS0_10empty_typeEEEZZNS1_29radix_sort_onesweep_iterationIS3_Lb1EPKbPbPS5_SB_mNS0_19identity_decomposerENS1_16block_id_wrapperIjLb1EEEEE10hipError_tT1_PNSt15iterator_traitsISG_E10value_typeET2_T3_PNSH_ISM_E10value_typeET4_T5_PSR_SS_PNS1_23onesweep_lookback_stateEbbT6_jjT7_P12ihipStream_tbENKUlT_T0_SG_SL_E_clISA_SA_SB_SB_EEDaSZ_S10_SG_SL_EUlSZ_E_NS1_11comp_targetILNS1_3genE6ELNS1_11target_archE950ELNS1_3gpuE13ELNS1_3repE0EEENS1_47radix_sort_onesweep_sort_config_static_selectorELNS0_4arch9wavefront6targetE0EEEvSG_.has_dyn_sized_stack, 0
	.set _ZN7rocprim17ROCPRIM_400000_NS6detail17trampoline_kernelINS0_14default_configENS1_35radix_sort_onesweep_config_selectorIbNS0_10empty_typeEEEZZNS1_29radix_sort_onesweep_iterationIS3_Lb1EPKbPbPS5_SB_mNS0_19identity_decomposerENS1_16block_id_wrapperIjLb1EEEEE10hipError_tT1_PNSt15iterator_traitsISG_E10value_typeET2_T3_PNSH_ISM_E10value_typeET4_T5_PSR_SS_PNS1_23onesweep_lookback_stateEbbT6_jjT7_P12ihipStream_tbENKUlT_T0_SG_SL_E_clISA_SA_SB_SB_EEDaSZ_S10_SG_SL_EUlSZ_E_NS1_11comp_targetILNS1_3genE6ELNS1_11target_archE950ELNS1_3gpuE13ELNS1_3repE0EEENS1_47radix_sort_onesweep_sort_config_static_selectorELNS0_4arch9wavefront6targetE0EEEvSG_.has_recursion, 0
	.set _ZN7rocprim17ROCPRIM_400000_NS6detail17trampoline_kernelINS0_14default_configENS1_35radix_sort_onesweep_config_selectorIbNS0_10empty_typeEEEZZNS1_29radix_sort_onesweep_iterationIS3_Lb1EPKbPbPS5_SB_mNS0_19identity_decomposerENS1_16block_id_wrapperIjLb1EEEEE10hipError_tT1_PNSt15iterator_traitsISG_E10value_typeET2_T3_PNSH_ISM_E10value_typeET4_T5_PSR_SS_PNS1_23onesweep_lookback_stateEbbT6_jjT7_P12ihipStream_tbENKUlT_T0_SG_SL_E_clISA_SA_SB_SB_EEDaSZ_S10_SG_SL_EUlSZ_E_NS1_11comp_targetILNS1_3genE6ELNS1_11target_archE950ELNS1_3gpuE13ELNS1_3repE0EEENS1_47radix_sort_onesweep_sort_config_static_selectorELNS0_4arch9wavefront6targetE0EEEvSG_.has_indirect_call, 0
	.section	.AMDGPU.csdata,"",@progbits
; Kernel info:
; codeLenInByte = 0
; TotalNumSgprs: 0
; NumVgprs: 0
; ScratchSize: 0
; MemoryBound: 0
; FloatMode: 240
; IeeeMode: 1
; LDSByteSize: 0 bytes/workgroup (compile time only)
; SGPRBlocks: 0
; VGPRBlocks: 0
; NumSGPRsForWavesPerEU: 1
; NumVGPRsForWavesPerEU: 1
; NamedBarCnt: 0
; Occupancy: 16
; WaveLimiterHint : 0
; COMPUTE_PGM_RSRC2:SCRATCH_EN: 0
; COMPUTE_PGM_RSRC2:USER_SGPR: 2
; COMPUTE_PGM_RSRC2:TRAP_HANDLER: 0
; COMPUTE_PGM_RSRC2:TGID_X_EN: 1
; COMPUTE_PGM_RSRC2:TGID_Y_EN: 0
; COMPUTE_PGM_RSRC2:TGID_Z_EN: 0
; COMPUTE_PGM_RSRC2:TIDIG_COMP_CNT: 0
	.section	.text._ZN7rocprim17ROCPRIM_400000_NS6detail17trampoline_kernelINS0_14default_configENS1_35radix_sort_onesweep_config_selectorIbNS0_10empty_typeEEEZZNS1_29radix_sort_onesweep_iterationIS3_Lb1EPKbPbPS5_SB_mNS0_19identity_decomposerENS1_16block_id_wrapperIjLb1EEEEE10hipError_tT1_PNSt15iterator_traitsISG_E10value_typeET2_T3_PNSH_ISM_E10value_typeET4_T5_PSR_SS_PNS1_23onesweep_lookback_stateEbbT6_jjT7_P12ihipStream_tbENKUlT_T0_SG_SL_E_clISA_SA_SB_SB_EEDaSZ_S10_SG_SL_EUlSZ_E_NS1_11comp_targetILNS1_3genE5ELNS1_11target_archE942ELNS1_3gpuE9ELNS1_3repE0EEENS1_47radix_sort_onesweep_sort_config_static_selectorELNS0_4arch9wavefront6targetE0EEEvSG_,"axG",@progbits,_ZN7rocprim17ROCPRIM_400000_NS6detail17trampoline_kernelINS0_14default_configENS1_35radix_sort_onesweep_config_selectorIbNS0_10empty_typeEEEZZNS1_29radix_sort_onesweep_iterationIS3_Lb1EPKbPbPS5_SB_mNS0_19identity_decomposerENS1_16block_id_wrapperIjLb1EEEEE10hipError_tT1_PNSt15iterator_traitsISG_E10value_typeET2_T3_PNSH_ISM_E10value_typeET4_T5_PSR_SS_PNS1_23onesweep_lookback_stateEbbT6_jjT7_P12ihipStream_tbENKUlT_T0_SG_SL_E_clISA_SA_SB_SB_EEDaSZ_S10_SG_SL_EUlSZ_E_NS1_11comp_targetILNS1_3genE5ELNS1_11target_archE942ELNS1_3gpuE9ELNS1_3repE0EEENS1_47radix_sort_onesweep_sort_config_static_selectorELNS0_4arch9wavefront6targetE0EEEvSG_,comdat
	.protected	_ZN7rocprim17ROCPRIM_400000_NS6detail17trampoline_kernelINS0_14default_configENS1_35radix_sort_onesweep_config_selectorIbNS0_10empty_typeEEEZZNS1_29radix_sort_onesweep_iterationIS3_Lb1EPKbPbPS5_SB_mNS0_19identity_decomposerENS1_16block_id_wrapperIjLb1EEEEE10hipError_tT1_PNSt15iterator_traitsISG_E10value_typeET2_T3_PNSH_ISM_E10value_typeET4_T5_PSR_SS_PNS1_23onesweep_lookback_stateEbbT6_jjT7_P12ihipStream_tbENKUlT_T0_SG_SL_E_clISA_SA_SB_SB_EEDaSZ_S10_SG_SL_EUlSZ_E_NS1_11comp_targetILNS1_3genE5ELNS1_11target_archE942ELNS1_3gpuE9ELNS1_3repE0EEENS1_47radix_sort_onesweep_sort_config_static_selectorELNS0_4arch9wavefront6targetE0EEEvSG_ ; -- Begin function _ZN7rocprim17ROCPRIM_400000_NS6detail17trampoline_kernelINS0_14default_configENS1_35radix_sort_onesweep_config_selectorIbNS0_10empty_typeEEEZZNS1_29radix_sort_onesweep_iterationIS3_Lb1EPKbPbPS5_SB_mNS0_19identity_decomposerENS1_16block_id_wrapperIjLb1EEEEE10hipError_tT1_PNSt15iterator_traitsISG_E10value_typeET2_T3_PNSH_ISM_E10value_typeET4_T5_PSR_SS_PNS1_23onesweep_lookback_stateEbbT6_jjT7_P12ihipStream_tbENKUlT_T0_SG_SL_E_clISA_SA_SB_SB_EEDaSZ_S10_SG_SL_EUlSZ_E_NS1_11comp_targetILNS1_3genE5ELNS1_11target_archE942ELNS1_3gpuE9ELNS1_3repE0EEENS1_47radix_sort_onesweep_sort_config_static_selectorELNS0_4arch9wavefront6targetE0EEEvSG_
	.globl	_ZN7rocprim17ROCPRIM_400000_NS6detail17trampoline_kernelINS0_14default_configENS1_35radix_sort_onesweep_config_selectorIbNS0_10empty_typeEEEZZNS1_29radix_sort_onesweep_iterationIS3_Lb1EPKbPbPS5_SB_mNS0_19identity_decomposerENS1_16block_id_wrapperIjLb1EEEEE10hipError_tT1_PNSt15iterator_traitsISG_E10value_typeET2_T3_PNSH_ISM_E10value_typeET4_T5_PSR_SS_PNS1_23onesweep_lookback_stateEbbT6_jjT7_P12ihipStream_tbENKUlT_T0_SG_SL_E_clISA_SA_SB_SB_EEDaSZ_S10_SG_SL_EUlSZ_E_NS1_11comp_targetILNS1_3genE5ELNS1_11target_archE942ELNS1_3gpuE9ELNS1_3repE0EEENS1_47radix_sort_onesweep_sort_config_static_selectorELNS0_4arch9wavefront6targetE0EEEvSG_
	.p2align	8
	.type	_ZN7rocprim17ROCPRIM_400000_NS6detail17trampoline_kernelINS0_14default_configENS1_35radix_sort_onesweep_config_selectorIbNS0_10empty_typeEEEZZNS1_29radix_sort_onesweep_iterationIS3_Lb1EPKbPbPS5_SB_mNS0_19identity_decomposerENS1_16block_id_wrapperIjLb1EEEEE10hipError_tT1_PNSt15iterator_traitsISG_E10value_typeET2_T3_PNSH_ISM_E10value_typeET4_T5_PSR_SS_PNS1_23onesweep_lookback_stateEbbT6_jjT7_P12ihipStream_tbENKUlT_T0_SG_SL_E_clISA_SA_SB_SB_EEDaSZ_S10_SG_SL_EUlSZ_E_NS1_11comp_targetILNS1_3genE5ELNS1_11target_archE942ELNS1_3gpuE9ELNS1_3repE0EEENS1_47radix_sort_onesweep_sort_config_static_selectorELNS0_4arch9wavefront6targetE0EEEvSG_,@function
_ZN7rocprim17ROCPRIM_400000_NS6detail17trampoline_kernelINS0_14default_configENS1_35radix_sort_onesweep_config_selectorIbNS0_10empty_typeEEEZZNS1_29radix_sort_onesweep_iterationIS3_Lb1EPKbPbPS5_SB_mNS0_19identity_decomposerENS1_16block_id_wrapperIjLb1EEEEE10hipError_tT1_PNSt15iterator_traitsISG_E10value_typeET2_T3_PNSH_ISM_E10value_typeET4_T5_PSR_SS_PNS1_23onesweep_lookback_stateEbbT6_jjT7_P12ihipStream_tbENKUlT_T0_SG_SL_E_clISA_SA_SB_SB_EEDaSZ_S10_SG_SL_EUlSZ_E_NS1_11comp_targetILNS1_3genE5ELNS1_11target_archE942ELNS1_3gpuE9ELNS1_3repE0EEENS1_47radix_sort_onesweep_sort_config_static_selectorELNS0_4arch9wavefront6targetE0EEEvSG_: ; @_ZN7rocprim17ROCPRIM_400000_NS6detail17trampoline_kernelINS0_14default_configENS1_35radix_sort_onesweep_config_selectorIbNS0_10empty_typeEEEZZNS1_29radix_sort_onesweep_iterationIS3_Lb1EPKbPbPS5_SB_mNS0_19identity_decomposerENS1_16block_id_wrapperIjLb1EEEEE10hipError_tT1_PNSt15iterator_traitsISG_E10value_typeET2_T3_PNSH_ISM_E10value_typeET4_T5_PSR_SS_PNS1_23onesweep_lookback_stateEbbT6_jjT7_P12ihipStream_tbENKUlT_T0_SG_SL_E_clISA_SA_SB_SB_EEDaSZ_S10_SG_SL_EUlSZ_E_NS1_11comp_targetILNS1_3genE5ELNS1_11target_archE942ELNS1_3gpuE9ELNS1_3repE0EEENS1_47radix_sort_onesweep_sort_config_static_selectorELNS0_4arch9wavefront6targetE0EEEvSG_
; %bb.0:
	.section	.rodata,"a",@progbits
	.p2align	6, 0x0
	.amdhsa_kernel _ZN7rocprim17ROCPRIM_400000_NS6detail17trampoline_kernelINS0_14default_configENS1_35radix_sort_onesweep_config_selectorIbNS0_10empty_typeEEEZZNS1_29radix_sort_onesweep_iterationIS3_Lb1EPKbPbPS5_SB_mNS0_19identity_decomposerENS1_16block_id_wrapperIjLb1EEEEE10hipError_tT1_PNSt15iterator_traitsISG_E10value_typeET2_T3_PNSH_ISM_E10value_typeET4_T5_PSR_SS_PNS1_23onesweep_lookback_stateEbbT6_jjT7_P12ihipStream_tbENKUlT_T0_SG_SL_E_clISA_SA_SB_SB_EEDaSZ_S10_SG_SL_EUlSZ_E_NS1_11comp_targetILNS1_3genE5ELNS1_11target_archE942ELNS1_3gpuE9ELNS1_3repE0EEENS1_47radix_sort_onesweep_sort_config_static_selectorELNS0_4arch9wavefront6targetE0EEEvSG_
		.amdhsa_group_segment_fixed_size 0
		.amdhsa_private_segment_fixed_size 0
		.amdhsa_kernarg_size 88
		.amdhsa_user_sgpr_count 2
		.amdhsa_user_sgpr_dispatch_ptr 0
		.amdhsa_user_sgpr_queue_ptr 0
		.amdhsa_user_sgpr_kernarg_segment_ptr 1
		.amdhsa_user_sgpr_dispatch_id 0
		.amdhsa_user_sgpr_kernarg_preload_length 0
		.amdhsa_user_sgpr_kernarg_preload_offset 0
		.amdhsa_user_sgpr_private_segment_size 0
		.amdhsa_wavefront_size32 1
		.amdhsa_uses_dynamic_stack 0
		.amdhsa_enable_private_segment 0
		.amdhsa_system_sgpr_workgroup_id_x 1
		.amdhsa_system_sgpr_workgroup_id_y 0
		.amdhsa_system_sgpr_workgroup_id_z 0
		.amdhsa_system_sgpr_workgroup_info 0
		.amdhsa_system_vgpr_workitem_id 0
		.amdhsa_next_free_vgpr 1
		.amdhsa_next_free_sgpr 1
		.amdhsa_named_barrier_count 0
		.amdhsa_reserve_vcc 0
		.amdhsa_float_round_mode_32 0
		.amdhsa_float_round_mode_16_64 0
		.amdhsa_float_denorm_mode_32 3
		.amdhsa_float_denorm_mode_16_64 3
		.amdhsa_fp16_overflow 0
		.amdhsa_memory_ordered 1
		.amdhsa_forward_progress 1
		.amdhsa_inst_pref_size 0
		.amdhsa_round_robin_scheduling 0
		.amdhsa_exception_fp_ieee_invalid_op 0
		.amdhsa_exception_fp_denorm_src 0
		.amdhsa_exception_fp_ieee_div_zero 0
		.amdhsa_exception_fp_ieee_overflow 0
		.amdhsa_exception_fp_ieee_underflow 0
		.amdhsa_exception_fp_ieee_inexact 0
		.amdhsa_exception_int_div_zero 0
	.end_amdhsa_kernel
	.section	.text._ZN7rocprim17ROCPRIM_400000_NS6detail17trampoline_kernelINS0_14default_configENS1_35radix_sort_onesweep_config_selectorIbNS0_10empty_typeEEEZZNS1_29radix_sort_onesweep_iterationIS3_Lb1EPKbPbPS5_SB_mNS0_19identity_decomposerENS1_16block_id_wrapperIjLb1EEEEE10hipError_tT1_PNSt15iterator_traitsISG_E10value_typeET2_T3_PNSH_ISM_E10value_typeET4_T5_PSR_SS_PNS1_23onesweep_lookback_stateEbbT6_jjT7_P12ihipStream_tbENKUlT_T0_SG_SL_E_clISA_SA_SB_SB_EEDaSZ_S10_SG_SL_EUlSZ_E_NS1_11comp_targetILNS1_3genE5ELNS1_11target_archE942ELNS1_3gpuE9ELNS1_3repE0EEENS1_47radix_sort_onesweep_sort_config_static_selectorELNS0_4arch9wavefront6targetE0EEEvSG_,"axG",@progbits,_ZN7rocprim17ROCPRIM_400000_NS6detail17trampoline_kernelINS0_14default_configENS1_35radix_sort_onesweep_config_selectorIbNS0_10empty_typeEEEZZNS1_29radix_sort_onesweep_iterationIS3_Lb1EPKbPbPS5_SB_mNS0_19identity_decomposerENS1_16block_id_wrapperIjLb1EEEEE10hipError_tT1_PNSt15iterator_traitsISG_E10value_typeET2_T3_PNSH_ISM_E10value_typeET4_T5_PSR_SS_PNS1_23onesweep_lookback_stateEbbT6_jjT7_P12ihipStream_tbENKUlT_T0_SG_SL_E_clISA_SA_SB_SB_EEDaSZ_S10_SG_SL_EUlSZ_E_NS1_11comp_targetILNS1_3genE5ELNS1_11target_archE942ELNS1_3gpuE9ELNS1_3repE0EEENS1_47radix_sort_onesweep_sort_config_static_selectorELNS0_4arch9wavefront6targetE0EEEvSG_,comdat
.Lfunc_end1752:
	.size	_ZN7rocprim17ROCPRIM_400000_NS6detail17trampoline_kernelINS0_14default_configENS1_35radix_sort_onesweep_config_selectorIbNS0_10empty_typeEEEZZNS1_29radix_sort_onesweep_iterationIS3_Lb1EPKbPbPS5_SB_mNS0_19identity_decomposerENS1_16block_id_wrapperIjLb1EEEEE10hipError_tT1_PNSt15iterator_traitsISG_E10value_typeET2_T3_PNSH_ISM_E10value_typeET4_T5_PSR_SS_PNS1_23onesweep_lookback_stateEbbT6_jjT7_P12ihipStream_tbENKUlT_T0_SG_SL_E_clISA_SA_SB_SB_EEDaSZ_S10_SG_SL_EUlSZ_E_NS1_11comp_targetILNS1_3genE5ELNS1_11target_archE942ELNS1_3gpuE9ELNS1_3repE0EEENS1_47radix_sort_onesweep_sort_config_static_selectorELNS0_4arch9wavefront6targetE0EEEvSG_, .Lfunc_end1752-_ZN7rocprim17ROCPRIM_400000_NS6detail17trampoline_kernelINS0_14default_configENS1_35radix_sort_onesweep_config_selectorIbNS0_10empty_typeEEEZZNS1_29radix_sort_onesweep_iterationIS3_Lb1EPKbPbPS5_SB_mNS0_19identity_decomposerENS1_16block_id_wrapperIjLb1EEEEE10hipError_tT1_PNSt15iterator_traitsISG_E10value_typeET2_T3_PNSH_ISM_E10value_typeET4_T5_PSR_SS_PNS1_23onesweep_lookback_stateEbbT6_jjT7_P12ihipStream_tbENKUlT_T0_SG_SL_E_clISA_SA_SB_SB_EEDaSZ_S10_SG_SL_EUlSZ_E_NS1_11comp_targetILNS1_3genE5ELNS1_11target_archE942ELNS1_3gpuE9ELNS1_3repE0EEENS1_47radix_sort_onesweep_sort_config_static_selectorELNS0_4arch9wavefront6targetE0EEEvSG_
                                        ; -- End function
	.set _ZN7rocprim17ROCPRIM_400000_NS6detail17trampoline_kernelINS0_14default_configENS1_35radix_sort_onesweep_config_selectorIbNS0_10empty_typeEEEZZNS1_29radix_sort_onesweep_iterationIS3_Lb1EPKbPbPS5_SB_mNS0_19identity_decomposerENS1_16block_id_wrapperIjLb1EEEEE10hipError_tT1_PNSt15iterator_traitsISG_E10value_typeET2_T3_PNSH_ISM_E10value_typeET4_T5_PSR_SS_PNS1_23onesweep_lookback_stateEbbT6_jjT7_P12ihipStream_tbENKUlT_T0_SG_SL_E_clISA_SA_SB_SB_EEDaSZ_S10_SG_SL_EUlSZ_E_NS1_11comp_targetILNS1_3genE5ELNS1_11target_archE942ELNS1_3gpuE9ELNS1_3repE0EEENS1_47radix_sort_onesweep_sort_config_static_selectorELNS0_4arch9wavefront6targetE0EEEvSG_.num_vgpr, 0
	.set _ZN7rocprim17ROCPRIM_400000_NS6detail17trampoline_kernelINS0_14default_configENS1_35radix_sort_onesweep_config_selectorIbNS0_10empty_typeEEEZZNS1_29radix_sort_onesweep_iterationIS3_Lb1EPKbPbPS5_SB_mNS0_19identity_decomposerENS1_16block_id_wrapperIjLb1EEEEE10hipError_tT1_PNSt15iterator_traitsISG_E10value_typeET2_T3_PNSH_ISM_E10value_typeET4_T5_PSR_SS_PNS1_23onesweep_lookback_stateEbbT6_jjT7_P12ihipStream_tbENKUlT_T0_SG_SL_E_clISA_SA_SB_SB_EEDaSZ_S10_SG_SL_EUlSZ_E_NS1_11comp_targetILNS1_3genE5ELNS1_11target_archE942ELNS1_3gpuE9ELNS1_3repE0EEENS1_47radix_sort_onesweep_sort_config_static_selectorELNS0_4arch9wavefront6targetE0EEEvSG_.num_agpr, 0
	.set _ZN7rocprim17ROCPRIM_400000_NS6detail17trampoline_kernelINS0_14default_configENS1_35radix_sort_onesweep_config_selectorIbNS0_10empty_typeEEEZZNS1_29radix_sort_onesweep_iterationIS3_Lb1EPKbPbPS5_SB_mNS0_19identity_decomposerENS1_16block_id_wrapperIjLb1EEEEE10hipError_tT1_PNSt15iterator_traitsISG_E10value_typeET2_T3_PNSH_ISM_E10value_typeET4_T5_PSR_SS_PNS1_23onesweep_lookback_stateEbbT6_jjT7_P12ihipStream_tbENKUlT_T0_SG_SL_E_clISA_SA_SB_SB_EEDaSZ_S10_SG_SL_EUlSZ_E_NS1_11comp_targetILNS1_3genE5ELNS1_11target_archE942ELNS1_3gpuE9ELNS1_3repE0EEENS1_47radix_sort_onesweep_sort_config_static_selectorELNS0_4arch9wavefront6targetE0EEEvSG_.numbered_sgpr, 0
	.set _ZN7rocprim17ROCPRIM_400000_NS6detail17trampoline_kernelINS0_14default_configENS1_35radix_sort_onesweep_config_selectorIbNS0_10empty_typeEEEZZNS1_29radix_sort_onesweep_iterationIS3_Lb1EPKbPbPS5_SB_mNS0_19identity_decomposerENS1_16block_id_wrapperIjLb1EEEEE10hipError_tT1_PNSt15iterator_traitsISG_E10value_typeET2_T3_PNSH_ISM_E10value_typeET4_T5_PSR_SS_PNS1_23onesweep_lookback_stateEbbT6_jjT7_P12ihipStream_tbENKUlT_T0_SG_SL_E_clISA_SA_SB_SB_EEDaSZ_S10_SG_SL_EUlSZ_E_NS1_11comp_targetILNS1_3genE5ELNS1_11target_archE942ELNS1_3gpuE9ELNS1_3repE0EEENS1_47radix_sort_onesweep_sort_config_static_selectorELNS0_4arch9wavefront6targetE0EEEvSG_.num_named_barrier, 0
	.set _ZN7rocprim17ROCPRIM_400000_NS6detail17trampoline_kernelINS0_14default_configENS1_35radix_sort_onesweep_config_selectorIbNS0_10empty_typeEEEZZNS1_29radix_sort_onesweep_iterationIS3_Lb1EPKbPbPS5_SB_mNS0_19identity_decomposerENS1_16block_id_wrapperIjLb1EEEEE10hipError_tT1_PNSt15iterator_traitsISG_E10value_typeET2_T3_PNSH_ISM_E10value_typeET4_T5_PSR_SS_PNS1_23onesweep_lookback_stateEbbT6_jjT7_P12ihipStream_tbENKUlT_T0_SG_SL_E_clISA_SA_SB_SB_EEDaSZ_S10_SG_SL_EUlSZ_E_NS1_11comp_targetILNS1_3genE5ELNS1_11target_archE942ELNS1_3gpuE9ELNS1_3repE0EEENS1_47radix_sort_onesweep_sort_config_static_selectorELNS0_4arch9wavefront6targetE0EEEvSG_.private_seg_size, 0
	.set _ZN7rocprim17ROCPRIM_400000_NS6detail17trampoline_kernelINS0_14default_configENS1_35radix_sort_onesweep_config_selectorIbNS0_10empty_typeEEEZZNS1_29radix_sort_onesweep_iterationIS3_Lb1EPKbPbPS5_SB_mNS0_19identity_decomposerENS1_16block_id_wrapperIjLb1EEEEE10hipError_tT1_PNSt15iterator_traitsISG_E10value_typeET2_T3_PNSH_ISM_E10value_typeET4_T5_PSR_SS_PNS1_23onesweep_lookback_stateEbbT6_jjT7_P12ihipStream_tbENKUlT_T0_SG_SL_E_clISA_SA_SB_SB_EEDaSZ_S10_SG_SL_EUlSZ_E_NS1_11comp_targetILNS1_3genE5ELNS1_11target_archE942ELNS1_3gpuE9ELNS1_3repE0EEENS1_47radix_sort_onesweep_sort_config_static_selectorELNS0_4arch9wavefront6targetE0EEEvSG_.uses_vcc, 0
	.set _ZN7rocprim17ROCPRIM_400000_NS6detail17trampoline_kernelINS0_14default_configENS1_35radix_sort_onesweep_config_selectorIbNS0_10empty_typeEEEZZNS1_29radix_sort_onesweep_iterationIS3_Lb1EPKbPbPS5_SB_mNS0_19identity_decomposerENS1_16block_id_wrapperIjLb1EEEEE10hipError_tT1_PNSt15iterator_traitsISG_E10value_typeET2_T3_PNSH_ISM_E10value_typeET4_T5_PSR_SS_PNS1_23onesweep_lookback_stateEbbT6_jjT7_P12ihipStream_tbENKUlT_T0_SG_SL_E_clISA_SA_SB_SB_EEDaSZ_S10_SG_SL_EUlSZ_E_NS1_11comp_targetILNS1_3genE5ELNS1_11target_archE942ELNS1_3gpuE9ELNS1_3repE0EEENS1_47radix_sort_onesweep_sort_config_static_selectorELNS0_4arch9wavefront6targetE0EEEvSG_.uses_flat_scratch, 0
	.set _ZN7rocprim17ROCPRIM_400000_NS6detail17trampoline_kernelINS0_14default_configENS1_35radix_sort_onesweep_config_selectorIbNS0_10empty_typeEEEZZNS1_29radix_sort_onesweep_iterationIS3_Lb1EPKbPbPS5_SB_mNS0_19identity_decomposerENS1_16block_id_wrapperIjLb1EEEEE10hipError_tT1_PNSt15iterator_traitsISG_E10value_typeET2_T3_PNSH_ISM_E10value_typeET4_T5_PSR_SS_PNS1_23onesweep_lookback_stateEbbT6_jjT7_P12ihipStream_tbENKUlT_T0_SG_SL_E_clISA_SA_SB_SB_EEDaSZ_S10_SG_SL_EUlSZ_E_NS1_11comp_targetILNS1_3genE5ELNS1_11target_archE942ELNS1_3gpuE9ELNS1_3repE0EEENS1_47radix_sort_onesweep_sort_config_static_selectorELNS0_4arch9wavefront6targetE0EEEvSG_.has_dyn_sized_stack, 0
	.set _ZN7rocprim17ROCPRIM_400000_NS6detail17trampoline_kernelINS0_14default_configENS1_35radix_sort_onesweep_config_selectorIbNS0_10empty_typeEEEZZNS1_29radix_sort_onesweep_iterationIS3_Lb1EPKbPbPS5_SB_mNS0_19identity_decomposerENS1_16block_id_wrapperIjLb1EEEEE10hipError_tT1_PNSt15iterator_traitsISG_E10value_typeET2_T3_PNSH_ISM_E10value_typeET4_T5_PSR_SS_PNS1_23onesweep_lookback_stateEbbT6_jjT7_P12ihipStream_tbENKUlT_T0_SG_SL_E_clISA_SA_SB_SB_EEDaSZ_S10_SG_SL_EUlSZ_E_NS1_11comp_targetILNS1_3genE5ELNS1_11target_archE942ELNS1_3gpuE9ELNS1_3repE0EEENS1_47radix_sort_onesweep_sort_config_static_selectorELNS0_4arch9wavefront6targetE0EEEvSG_.has_recursion, 0
	.set _ZN7rocprim17ROCPRIM_400000_NS6detail17trampoline_kernelINS0_14default_configENS1_35radix_sort_onesweep_config_selectorIbNS0_10empty_typeEEEZZNS1_29radix_sort_onesweep_iterationIS3_Lb1EPKbPbPS5_SB_mNS0_19identity_decomposerENS1_16block_id_wrapperIjLb1EEEEE10hipError_tT1_PNSt15iterator_traitsISG_E10value_typeET2_T3_PNSH_ISM_E10value_typeET4_T5_PSR_SS_PNS1_23onesweep_lookback_stateEbbT6_jjT7_P12ihipStream_tbENKUlT_T0_SG_SL_E_clISA_SA_SB_SB_EEDaSZ_S10_SG_SL_EUlSZ_E_NS1_11comp_targetILNS1_3genE5ELNS1_11target_archE942ELNS1_3gpuE9ELNS1_3repE0EEENS1_47radix_sort_onesweep_sort_config_static_selectorELNS0_4arch9wavefront6targetE0EEEvSG_.has_indirect_call, 0
	.section	.AMDGPU.csdata,"",@progbits
; Kernel info:
; codeLenInByte = 0
; TotalNumSgprs: 0
; NumVgprs: 0
; ScratchSize: 0
; MemoryBound: 0
; FloatMode: 240
; IeeeMode: 1
; LDSByteSize: 0 bytes/workgroup (compile time only)
; SGPRBlocks: 0
; VGPRBlocks: 0
; NumSGPRsForWavesPerEU: 1
; NumVGPRsForWavesPerEU: 1
; NamedBarCnt: 0
; Occupancy: 16
; WaveLimiterHint : 0
; COMPUTE_PGM_RSRC2:SCRATCH_EN: 0
; COMPUTE_PGM_RSRC2:USER_SGPR: 2
; COMPUTE_PGM_RSRC2:TRAP_HANDLER: 0
; COMPUTE_PGM_RSRC2:TGID_X_EN: 1
; COMPUTE_PGM_RSRC2:TGID_Y_EN: 0
; COMPUTE_PGM_RSRC2:TGID_Z_EN: 0
; COMPUTE_PGM_RSRC2:TIDIG_COMP_CNT: 0
	.section	.text._ZN7rocprim17ROCPRIM_400000_NS6detail17trampoline_kernelINS0_14default_configENS1_35radix_sort_onesweep_config_selectorIbNS0_10empty_typeEEEZZNS1_29radix_sort_onesweep_iterationIS3_Lb1EPKbPbPS5_SB_mNS0_19identity_decomposerENS1_16block_id_wrapperIjLb1EEEEE10hipError_tT1_PNSt15iterator_traitsISG_E10value_typeET2_T3_PNSH_ISM_E10value_typeET4_T5_PSR_SS_PNS1_23onesweep_lookback_stateEbbT6_jjT7_P12ihipStream_tbENKUlT_T0_SG_SL_E_clISA_SA_SB_SB_EEDaSZ_S10_SG_SL_EUlSZ_E_NS1_11comp_targetILNS1_3genE2ELNS1_11target_archE906ELNS1_3gpuE6ELNS1_3repE0EEENS1_47radix_sort_onesweep_sort_config_static_selectorELNS0_4arch9wavefront6targetE0EEEvSG_,"axG",@progbits,_ZN7rocprim17ROCPRIM_400000_NS6detail17trampoline_kernelINS0_14default_configENS1_35radix_sort_onesweep_config_selectorIbNS0_10empty_typeEEEZZNS1_29radix_sort_onesweep_iterationIS3_Lb1EPKbPbPS5_SB_mNS0_19identity_decomposerENS1_16block_id_wrapperIjLb1EEEEE10hipError_tT1_PNSt15iterator_traitsISG_E10value_typeET2_T3_PNSH_ISM_E10value_typeET4_T5_PSR_SS_PNS1_23onesweep_lookback_stateEbbT6_jjT7_P12ihipStream_tbENKUlT_T0_SG_SL_E_clISA_SA_SB_SB_EEDaSZ_S10_SG_SL_EUlSZ_E_NS1_11comp_targetILNS1_3genE2ELNS1_11target_archE906ELNS1_3gpuE6ELNS1_3repE0EEENS1_47radix_sort_onesweep_sort_config_static_selectorELNS0_4arch9wavefront6targetE0EEEvSG_,comdat
	.protected	_ZN7rocprim17ROCPRIM_400000_NS6detail17trampoline_kernelINS0_14default_configENS1_35radix_sort_onesweep_config_selectorIbNS0_10empty_typeEEEZZNS1_29radix_sort_onesweep_iterationIS3_Lb1EPKbPbPS5_SB_mNS0_19identity_decomposerENS1_16block_id_wrapperIjLb1EEEEE10hipError_tT1_PNSt15iterator_traitsISG_E10value_typeET2_T3_PNSH_ISM_E10value_typeET4_T5_PSR_SS_PNS1_23onesweep_lookback_stateEbbT6_jjT7_P12ihipStream_tbENKUlT_T0_SG_SL_E_clISA_SA_SB_SB_EEDaSZ_S10_SG_SL_EUlSZ_E_NS1_11comp_targetILNS1_3genE2ELNS1_11target_archE906ELNS1_3gpuE6ELNS1_3repE0EEENS1_47radix_sort_onesweep_sort_config_static_selectorELNS0_4arch9wavefront6targetE0EEEvSG_ ; -- Begin function _ZN7rocprim17ROCPRIM_400000_NS6detail17trampoline_kernelINS0_14default_configENS1_35radix_sort_onesweep_config_selectorIbNS0_10empty_typeEEEZZNS1_29radix_sort_onesweep_iterationIS3_Lb1EPKbPbPS5_SB_mNS0_19identity_decomposerENS1_16block_id_wrapperIjLb1EEEEE10hipError_tT1_PNSt15iterator_traitsISG_E10value_typeET2_T3_PNSH_ISM_E10value_typeET4_T5_PSR_SS_PNS1_23onesweep_lookback_stateEbbT6_jjT7_P12ihipStream_tbENKUlT_T0_SG_SL_E_clISA_SA_SB_SB_EEDaSZ_S10_SG_SL_EUlSZ_E_NS1_11comp_targetILNS1_3genE2ELNS1_11target_archE906ELNS1_3gpuE6ELNS1_3repE0EEENS1_47radix_sort_onesweep_sort_config_static_selectorELNS0_4arch9wavefront6targetE0EEEvSG_
	.globl	_ZN7rocprim17ROCPRIM_400000_NS6detail17trampoline_kernelINS0_14default_configENS1_35radix_sort_onesweep_config_selectorIbNS0_10empty_typeEEEZZNS1_29radix_sort_onesweep_iterationIS3_Lb1EPKbPbPS5_SB_mNS0_19identity_decomposerENS1_16block_id_wrapperIjLb1EEEEE10hipError_tT1_PNSt15iterator_traitsISG_E10value_typeET2_T3_PNSH_ISM_E10value_typeET4_T5_PSR_SS_PNS1_23onesweep_lookback_stateEbbT6_jjT7_P12ihipStream_tbENKUlT_T0_SG_SL_E_clISA_SA_SB_SB_EEDaSZ_S10_SG_SL_EUlSZ_E_NS1_11comp_targetILNS1_3genE2ELNS1_11target_archE906ELNS1_3gpuE6ELNS1_3repE0EEENS1_47radix_sort_onesweep_sort_config_static_selectorELNS0_4arch9wavefront6targetE0EEEvSG_
	.p2align	8
	.type	_ZN7rocprim17ROCPRIM_400000_NS6detail17trampoline_kernelINS0_14default_configENS1_35radix_sort_onesweep_config_selectorIbNS0_10empty_typeEEEZZNS1_29radix_sort_onesweep_iterationIS3_Lb1EPKbPbPS5_SB_mNS0_19identity_decomposerENS1_16block_id_wrapperIjLb1EEEEE10hipError_tT1_PNSt15iterator_traitsISG_E10value_typeET2_T3_PNSH_ISM_E10value_typeET4_T5_PSR_SS_PNS1_23onesweep_lookback_stateEbbT6_jjT7_P12ihipStream_tbENKUlT_T0_SG_SL_E_clISA_SA_SB_SB_EEDaSZ_S10_SG_SL_EUlSZ_E_NS1_11comp_targetILNS1_3genE2ELNS1_11target_archE906ELNS1_3gpuE6ELNS1_3repE0EEENS1_47radix_sort_onesweep_sort_config_static_selectorELNS0_4arch9wavefront6targetE0EEEvSG_,@function
_ZN7rocprim17ROCPRIM_400000_NS6detail17trampoline_kernelINS0_14default_configENS1_35radix_sort_onesweep_config_selectorIbNS0_10empty_typeEEEZZNS1_29radix_sort_onesweep_iterationIS3_Lb1EPKbPbPS5_SB_mNS0_19identity_decomposerENS1_16block_id_wrapperIjLb1EEEEE10hipError_tT1_PNSt15iterator_traitsISG_E10value_typeET2_T3_PNSH_ISM_E10value_typeET4_T5_PSR_SS_PNS1_23onesweep_lookback_stateEbbT6_jjT7_P12ihipStream_tbENKUlT_T0_SG_SL_E_clISA_SA_SB_SB_EEDaSZ_S10_SG_SL_EUlSZ_E_NS1_11comp_targetILNS1_3genE2ELNS1_11target_archE906ELNS1_3gpuE6ELNS1_3repE0EEENS1_47radix_sort_onesweep_sort_config_static_selectorELNS0_4arch9wavefront6targetE0EEEvSG_: ; @_ZN7rocprim17ROCPRIM_400000_NS6detail17trampoline_kernelINS0_14default_configENS1_35radix_sort_onesweep_config_selectorIbNS0_10empty_typeEEEZZNS1_29radix_sort_onesweep_iterationIS3_Lb1EPKbPbPS5_SB_mNS0_19identity_decomposerENS1_16block_id_wrapperIjLb1EEEEE10hipError_tT1_PNSt15iterator_traitsISG_E10value_typeET2_T3_PNSH_ISM_E10value_typeET4_T5_PSR_SS_PNS1_23onesweep_lookback_stateEbbT6_jjT7_P12ihipStream_tbENKUlT_T0_SG_SL_E_clISA_SA_SB_SB_EEDaSZ_S10_SG_SL_EUlSZ_E_NS1_11comp_targetILNS1_3genE2ELNS1_11target_archE906ELNS1_3gpuE6ELNS1_3repE0EEENS1_47radix_sort_onesweep_sort_config_static_selectorELNS0_4arch9wavefront6targetE0EEEvSG_
; %bb.0:
	.section	.rodata,"a",@progbits
	.p2align	6, 0x0
	.amdhsa_kernel _ZN7rocprim17ROCPRIM_400000_NS6detail17trampoline_kernelINS0_14default_configENS1_35radix_sort_onesweep_config_selectorIbNS0_10empty_typeEEEZZNS1_29radix_sort_onesweep_iterationIS3_Lb1EPKbPbPS5_SB_mNS0_19identity_decomposerENS1_16block_id_wrapperIjLb1EEEEE10hipError_tT1_PNSt15iterator_traitsISG_E10value_typeET2_T3_PNSH_ISM_E10value_typeET4_T5_PSR_SS_PNS1_23onesweep_lookback_stateEbbT6_jjT7_P12ihipStream_tbENKUlT_T0_SG_SL_E_clISA_SA_SB_SB_EEDaSZ_S10_SG_SL_EUlSZ_E_NS1_11comp_targetILNS1_3genE2ELNS1_11target_archE906ELNS1_3gpuE6ELNS1_3repE0EEENS1_47radix_sort_onesweep_sort_config_static_selectorELNS0_4arch9wavefront6targetE0EEEvSG_
		.amdhsa_group_segment_fixed_size 0
		.amdhsa_private_segment_fixed_size 0
		.amdhsa_kernarg_size 88
		.amdhsa_user_sgpr_count 2
		.amdhsa_user_sgpr_dispatch_ptr 0
		.amdhsa_user_sgpr_queue_ptr 0
		.amdhsa_user_sgpr_kernarg_segment_ptr 1
		.amdhsa_user_sgpr_dispatch_id 0
		.amdhsa_user_sgpr_kernarg_preload_length 0
		.amdhsa_user_sgpr_kernarg_preload_offset 0
		.amdhsa_user_sgpr_private_segment_size 0
		.amdhsa_wavefront_size32 1
		.amdhsa_uses_dynamic_stack 0
		.amdhsa_enable_private_segment 0
		.amdhsa_system_sgpr_workgroup_id_x 1
		.amdhsa_system_sgpr_workgroup_id_y 0
		.amdhsa_system_sgpr_workgroup_id_z 0
		.amdhsa_system_sgpr_workgroup_info 0
		.amdhsa_system_vgpr_workitem_id 0
		.amdhsa_next_free_vgpr 1
		.amdhsa_next_free_sgpr 1
		.amdhsa_named_barrier_count 0
		.amdhsa_reserve_vcc 0
		.amdhsa_float_round_mode_32 0
		.amdhsa_float_round_mode_16_64 0
		.amdhsa_float_denorm_mode_32 3
		.amdhsa_float_denorm_mode_16_64 3
		.amdhsa_fp16_overflow 0
		.amdhsa_memory_ordered 1
		.amdhsa_forward_progress 1
		.amdhsa_inst_pref_size 0
		.amdhsa_round_robin_scheduling 0
		.amdhsa_exception_fp_ieee_invalid_op 0
		.amdhsa_exception_fp_denorm_src 0
		.amdhsa_exception_fp_ieee_div_zero 0
		.amdhsa_exception_fp_ieee_overflow 0
		.amdhsa_exception_fp_ieee_underflow 0
		.amdhsa_exception_fp_ieee_inexact 0
		.amdhsa_exception_int_div_zero 0
	.end_amdhsa_kernel
	.section	.text._ZN7rocprim17ROCPRIM_400000_NS6detail17trampoline_kernelINS0_14default_configENS1_35radix_sort_onesweep_config_selectorIbNS0_10empty_typeEEEZZNS1_29radix_sort_onesweep_iterationIS3_Lb1EPKbPbPS5_SB_mNS0_19identity_decomposerENS1_16block_id_wrapperIjLb1EEEEE10hipError_tT1_PNSt15iterator_traitsISG_E10value_typeET2_T3_PNSH_ISM_E10value_typeET4_T5_PSR_SS_PNS1_23onesweep_lookback_stateEbbT6_jjT7_P12ihipStream_tbENKUlT_T0_SG_SL_E_clISA_SA_SB_SB_EEDaSZ_S10_SG_SL_EUlSZ_E_NS1_11comp_targetILNS1_3genE2ELNS1_11target_archE906ELNS1_3gpuE6ELNS1_3repE0EEENS1_47radix_sort_onesweep_sort_config_static_selectorELNS0_4arch9wavefront6targetE0EEEvSG_,"axG",@progbits,_ZN7rocprim17ROCPRIM_400000_NS6detail17trampoline_kernelINS0_14default_configENS1_35radix_sort_onesweep_config_selectorIbNS0_10empty_typeEEEZZNS1_29radix_sort_onesweep_iterationIS3_Lb1EPKbPbPS5_SB_mNS0_19identity_decomposerENS1_16block_id_wrapperIjLb1EEEEE10hipError_tT1_PNSt15iterator_traitsISG_E10value_typeET2_T3_PNSH_ISM_E10value_typeET4_T5_PSR_SS_PNS1_23onesweep_lookback_stateEbbT6_jjT7_P12ihipStream_tbENKUlT_T0_SG_SL_E_clISA_SA_SB_SB_EEDaSZ_S10_SG_SL_EUlSZ_E_NS1_11comp_targetILNS1_3genE2ELNS1_11target_archE906ELNS1_3gpuE6ELNS1_3repE0EEENS1_47radix_sort_onesweep_sort_config_static_selectorELNS0_4arch9wavefront6targetE0EEEvSG_,comdat
.Lfunc_end1753:
	.size	_ZN7rocprim17ROCPRIM_400000_NS6detail17trampoline_kernelINS0_14default_configENS1_35radix_sort_onesweep_config_selectorIbNS0_10empty_typeEEEZZNS1_29radix_sort_onesweep_iterationIS3_Lb1EPKbPbPS5_SB_mNS0_19identity_decomposerENS1_16block_id_wrapperIjLb1EEEEE10hipError_tT1_PNSt15iterator_traitsISG_E10value_typeET2_T3_PNSH_ISM_E10value_typeET4_T5_PSR_SS_PNS1_23onesweep_lookback_stateEbbT6_jjT7_P12ihipStream_tbENKUlT_T0_SG_SL_E_clISA_SA_SB_SB_EEDaSZ_S10_SG_SL_EUlSZ_E_NS1_11comp_targetILNS1_3genE2ELNS1_11target_archE906ELNS1_3gpuE6ELNS1_3repE0EEENS1_47radix_sort_onesweep_sort_config_static_selectorELNS0_4arch9wavefront6targetE0EEEvSG_, .Lfunc_end1753-_ZN7rocprim17ROCPRIM_400000_NS6detail17trampoline_kernelINS0_14default_configENS1_35radix_sort_onesweep_config_selectorIbNS0_10empty_typeEEEZZNS1_29radix_sort_onesweep_iterationIS3_Lb1EPKbPbPS5_SB_mNS0_19identity_decomposerENS1_16block_id_wrapperIjLb1EEEEE10hipError_tT1_PNSt15iterator_traitsISG_E10value_typeET2_T3_PNSH_ISM_E10value_typeET4_T5_PSR_SS_PNS1_23onesweep_lookback_stateEbbT6_jjT7_P12ihipStream_tbENKUlT_T0_SG_SL_E_clISA_SA_SB_SB_EEDaSZ_S10_SG_SL_EUlSZ_E_NS1_11comp_targetILNS1_3genE2ELNS1_11target_archE906ELNS1_3gpuE6ELNS1_3repE0EEENS1_47radix_sort_onesweep_sort_config_static_selectorELNS0_4arch9wavefront6targetE0EEEvSG_
                                        ; -- End function
	.set _ZN7rocprim17ROCPRIM_400000_NS6detail17trampoline_kernelINS0_14default_configENS1_35radix_sort_onesweep_config_selectorIbNS0_10empty_typeEEEZZNS1_29radix_sort_onesweep_iterationIS3_Lb1EPKbPbPS5_SB_mNS0_19identity_decomposerENS1_16block_id_wrapperIjLb1EEEEE10hipError_tT1_PNSt15iterator_traitsISG_E10value_typeET2_T3_PNSH_ISM_E10value_typeET4_T5_PSR_SS_PNS1_23onesweep_lookback_stateEbbT6_jjT7_P12ihipStream_tbENKUlT_T0_SG_SL_E_clISA_SA_SB_SB_EEDaSZ_S10_SG_SL_EUlSZ_E_NS1_11comp_targetILNS1_3genE2ELNS1_11target_archE906ELNS1_3gpuE6ELNS1_3repE0EEENS1_47radix_sort_onesweep_sort_config_static_selectorELNS0_4arch9wavefront6targetE0EEEvSG_.num_vgpr, 0
	.set _ZN7rocprim17ROCPRIM_400000_NS6detail17trampoline_kernelINS0_14default_configENS1_35radix_sort_onesweep_config_selectorIbNS0_10empty_typeEEEZZNS1_29radix_sort_onesweep_iterationIS3_Lb1EPKbPbPS5_SB_mNS0_19identity_decomposerENS1_16block_id_wrapperIjLb1EEEEE10hipError_tT1_PNSt15iterator_traitsISG_E10value_typeET2_T3_PNSH_ISM_E10value_typeET4_T5_PSR_SS_PNS1_23onesweep_lookback_stateEbbT6_jjT7_P12ihipStream_tbENKUlT_T0_SG_SL_E_clISA_SA_SB_SB_EEDaSZ_S10_SG_SL_EUlSZ_E_NS1_11comp_targetILNS1_3genE2ELNS1_11target_archE906ELNS1_3gpuE6ELNS1_3repE0EEENS1_47radix_sort_onesweep_sort_config_static_selectorELNS0_4arch9wavefront6targetE0EEEvSG_.num_agpr, 0
	.set _ZN7rocprim17ROCPRIM_400000_NS6detail17trampoline_kernelINS0_14default_configENS1_35radix_sort_onesweep_config_selectorIbNS0_10empty_typeEEEZZNS1_29radix_sort_onesweep_iterationIS3_Lb1EPKbPbPS5_SB_mNS0_19identity_decomposerENS1_16block_id_wrapperIjLb1EEEEE10hipError_tT1_PNSt15iterator_traitsISG_E10value_typeET2_T3_PNSH_ISM_E10value_typeET4_T5_PSR_SS_PNS1_23onesweep_lookback_stateEbbT6_jjT7_P12ihipStream_tbENKUlT_T0_SG_SL_E_clISA_SA_SB_SB_EEDaSZ_S10_SG_SL_EUlSZ_E_NS1_11comp_targetILNS1_3genE2ELNS1_11target_archE906ELNS1_3gpuE6ELNS1_3repE0EEENS1_47radix_sort_onesweep_sort_config_static_selectorELNS0_4arch9wavefront6targetE0EEEvSG_.numbered_sgpr, 0
	.set _ZN7rocprim17ROCPRIM_400000_NS6detail17trampoline_kernelINS0_14default_configENS1_35radix_sort_onesweep_config_selectorIbNS0_10empty_typeEEEZZNS1_29radix_sort_onesweep_iterationIS3_Lb1EPKbPbPS5_SB_mNS0_19identity_decomposerENS1_16block_id_wrapperIjLb1EEEEE10hipError_tT1_PNSt15iterator_traitsISG_E10value_typeET2_T3_PNSH_ISM_E10value_typeET4_T5_PSR_SS_PNS1_23onesweep_lookback_stateEbbT6_jjT7_P12ihipStream_tbENKUlT_T0_SG_SL_E_clISA_SA_SB_SB_EEDaSZ_S10_SG_SL_EUlSZ_E_NS1_11comp_targetILNS1_3genE2ELNS1_11target_archE906ELNS1_3gpuE6ELNS1_3repE0EEENS1_47radix_sort_onesweep_sort_config_static_selectorELNS0_4arch9wavefront6targetE0EEEvSG_.num_named_barrier, 0
	.set _ZN7rocprim17ROCPRIM_400000_NS6detail17trampoline_kernelINS0_14default_configENS1_35radix_sort_onesweep_config_selectorIbNS0_10empty_typeEEEZZNS1_29radix_sort_onesweep_iterationIS3_Lb1EPKbPbPS5_SB_mNS0_19identity_decomposerENS1_16block_id_wrapperIjLb1EEEEE10hipError_tT1_PNSt15iterator_traitsISG_E10value_typeET2_T3_PNSH_ISM_E10value_typeET4_T5_PSR_SS_PNS1_23onesweep_lookback_stateEbbT6_jjT7_P12ihipStream_tbENKUlT_T0_SG_SL_E_clISA_SA_SB_SB_EEDaSZ_S10_SG_SL_EUlSZ_E_NS1_11comp_targetILNS1_3genE2ELNS1_11target_archE906ELNS1_3gpuE6ELNS1_3repE0EEENS1_47radix_sort_onesweep_sort_config_static_selectorELNS0_4arch9wavefront6targetE0EEEvSG_.private_seg_size, 0
	.set _ZN7rocprim17ROCPRIM_400000_NS6detail17trampoline_kernelINS0_14default_configENS1_35radix_sort_onesweep_config_selectorIbNS0_10empty_typeEEEZZNS1_29radix_sort_onesweep_iterationIS3_Lb1EPKbPbPS5_SB_mNS0_19identity_decomposerENS1_16block_id_wrapperIjLb1EEEEE10hipError_tT1_PNSt15iterator_traitsISG_E10value_typeET2_T3_PNSH_ISM_E10value_typeET4_T5_PSR_SS_PNS1_23onesweep_lookback_stateEbbT6_jjT7_P12ihipStream_tbENKUlT_T0_SG_SL_E_clISA_SA_SB_SB_EEDaSZ_S10_SG_SL_EUlSZ_E_NS1_11comp_targetILNS1_3genE2ELNS1_11target_archE906ELNS1_3gpuE6ELNS1_3repE0EEENS1_47radix_sort_onesweep_sort_config_static_selectorELNS0_4arch9wavefront6targetE0EEEvSG_.uses_vcc, 0
	.set _ZN7rocprim17ROCPRIM_400000_NS6detail17trampoline_kernelINS0_14default_configENS1_35radix_sort_onesweep_config_selectorIbNS0_10empty_typeEEEZZNS1_29radix_sort_onesweep_iterationIS3_Lb1EPKbPbPS5_SB_mNS0_19identity_decomposerENS1_16block_id_wrapperIjLb1EEEEE10hipError_tT1_PNSt15iterator_traitsISG_E10value_typeET2_T3_PNSH_ISM_E10value_typeET4_T5_PSR_SS_PNS1_23onesweep_lookback_stateEbbT6_jjT7_P12ihipStream_tbENKUlT_T0_SG_SL_E_clISA_SA_SB_SB_EEDaSZ_S10_SG_SL_EUlSZ_E_NS1_11comp_targetILNS1_3genE2ELNS1_11target_archE906ELNS1_3gpuE6ELNS1_3repE0EEENS1_47radix_sort_onesweep_sort_config_static_selectorELNS0_4arch9wavefront6targetE0EEEvSG_.uses_flat_scratch, 0
	.set _ZN7rocprim17ROCPRIM_400000_NS6detail17trampoline_kernelINS0_14default_configENS1_35radix_sort_onesweep_config_selectorIbNS0_10empty_typeEEEZZNS1_29radix_sort_onesweep_iterationIS3_Lb1EPKbPbPS5_SB_mNS0_19identity_decomposerENS1_16block_id_wrapperIjLb1EEEEE10hipError_tT1_PNSt15iterator_traitsISG_E10value_typeET2_T3_PNSH_ISM_E10value_typeET4_T5_PSR_SS_PNS1_23onesweep_lookback_stateEbbT6_jjT7_P12ihipStream_tbENKUlT_T0_SG_SL_E_clISA_SA_SB_SB_EEDaSZ_S10_SG_SL_EUlSZ_E_NS1_11comp_targetILNS1_3genE2ELNS1_11target_archE906ELNS1_3gpuE6ELNS1_3repE0EEENS1_47radix_sort_onesweep_sort_config_static_selectorELNS0_4arch9wavefront6targetE0EEEvSG_.has_dyn_sized_stack, 0
	.set _ZN7rocprim17ROCPRIM_400000_NS6detail17trampoline_kernelINS0_14default_configENS1_35radix_sort_onesweep_config_selectorIbNS0_10empty_typeEEEZZNS1_29radix_sort_onesweep_iterationIS3_Lb1EPKbPbPS5_SB_mNS0_19identity_decomposerENS1_16block_id_wrapperIjLb1EEEEE10hipError_tT1_PNSt15iterator_traitsISG_E10value_typeET2_T3_PNSH_ISM_E10value_typeET4_T5_PSR_SS_PNS1_23onesweep_lookback_stateEbbT6_jjT7_P12ihipStream_tbENKUlT_T0_SG_SL_E_clISA_SA_SB_SB_EEDaSZ_S10_SG_SL_EUlSZ_E_NS1_11comp_targetILNS1_3genE2ELNS1_11target_archE906ELNS1_3gpuE6ELNS1_3repE0EEENS1_47radix_sort_onesweep_sort_config_static_selectorELNS0_4arch9wavefront6targetE0EEEvSG_.has_recursion, 0
	.set _ZN7rocprim17ROCPRIM_400000_NS6detail17trampoline_kernelINS0_14default_configENS1_35radix_sort_onesweep_config_selectorIbNS0_10empty_typeEEEZZNS1_29radix_sort_onesweep_iterationIS3_Lb1EPKbPbPS5_SB_mNS0_19identity_decomposerENS1_16block_id_wrapperIjLb1EEEEE10hipError_tT1_PNSt15iterator_traitsISG_E10value_typeET2_T3_PNSH_ISM_E10value_typeET4_T5_PSR_SS_PNS1_23onesweep_lookback_stateEbbT6_jjT7_P12ihipStream_tbENKUlT_T0_SG_SL_E_clISA_SA_SB_SB_EEDaSZ_S10_SG_SL_EUlSZ_E_NS1_11comp_targetILNS1_3genE2ELNS1_11target_archE906ELNS1_3gpuE6ELNS1_3repE0EEENS1_47radix_sort_onesweep_sort_config_static_selectorELNS0_4arch9wavefront6targetE0EEEvSG_.has_indirect_call, 0
	.section	.AMDGPU.csdata,"",@progbits
; Kernel info:
; codeLenInByte = 0
; TotalNumSgprs: 0
; NumVgprs: 0
; ScratchSize: 0
; MemoryBound: 0
; FloatMode: 240
; IeeeMode: 1
; LDSByteSize: 0 bytes/workgroup (compile time only)
; SGPRBlocks: 0
; VGPRBlocks: 0
; NumSGPRsForWavesPerEU: 1
; NumVGPRsForWavesPerEU: 1
; NamedBarCnt: 0
; Occupancy: 16
; WaveLimiterHint : 0
; COMPUTE_PGM_RSRC2:SCRATCH_EN: 0
; COMPUTE_PGM_RSRC2:USER_SGPR: 2
; COMPUTE_PGM_RSRC2:TRAP_HANDLER: 0
; COMPUTE_PGM_RSRC2:TGID_X_EN: 1
; COMPUTE_PGM_RSRC2:TGID_Y_EN: 0
; COMPUTE_PGM_RSRC2:TGID_Z_EN: 0
; COMPUTE_PGM_RSRC2:TIDIG_COMP_CNT: 0
	.section	.text._ZN7rocprim17ROCPRIM_400000_NS6detail17trampoline_kernelINS0_14default_configENS1_35radix_sort_onesweep_config_selectorIbNS0_10empty_typeEEEZZNS1_29radix_sort_onesweep_iterationIS3_Lb1EPKbPbPS5_SB_mNS0_19identity_decomposerENS1_16block_id_wrapperIjLb1EEEEE10hipError_tT1_PNSt15iterator_traitsISG_E10value_typeET2_T3_PNSH_ISM_E10value_typeET4_T5_PSR_SS_PNS1_23onesweep_lookback_stateEbbT6_jjT7_P12ihipStream_tbENKUlT_T0_SG_SL_E_clISA_SA_SB_SB_EEDaSZ_S10_SG_SL_EUlSZ_E_NS1_11comp_targetILNS1_3genE4ELNS1_11target_archE910ELNS1_3gpuE8ELNS1_3repE0EEENS1_47radix_sort_onesweep_sort_config_static_selectorELNS0_4arch9wavefront6targetE0EEEvSG_,"axG",@progbits,_ZN7rocprim17ROCPRIM_400000_NS6detail17trampoline_kernelINS0_14default_configENS1_35radix_sort_onesweep_config_selectorIbNS0_10empty_typeEEEZZNS1_29radix_sort_onesweep_iterationIS3_Lb1EPKbPbPS5_SB_mNS0_19identity_decomposerENS1_16block_id_wrapperIjLb1EEEEE10hipError_tT1_PNSt15iterator_traitsISG_E10value_typeET2_T3_PNSH_ISM_E10value_typeET4_T5_PSR_SS_PNS1_23onesweep_lookback_stateEbbT6_jjT7_P12ihipStream_tbENKUlT_T0_SG_SL_E_clISA_SA_SB_SB_EEDaSZ_S10_SG_SL_EUlSZ_E_NS1_11comp_targetILNS1_3genE4ELNS1_11target_archE910ELNS1_3gpuE8ELNS1_3repE0EEENS1_47radix_sort_onesweep_sort_config_static_selectorELNS0_4arch9wavefront6targetE0EEEvSG_,comdat
	.protected	_ZN7rocprim17ROCPRIM_400000_NS6detail17trampoline_kernelINS0_14default_configENS1_35radix_sort_onesweep_config_selectorIbNS0_10empty_typeEEEZZNS1_29radix_sort_onesweep_iterationIS3_Lb1EPKbPbPS5_SB_mNS0_19identity_decomposerENS1_16block_id_wrapperIjLb1EEEEE10hipError_tT1_PNSt15iterator_traitsISG_E10value_typeET2_T3_PNSH_ISM_E10value_typeET4_T5_PSR_SS_PNS1_23onesweep_lookback_stateEbbT6_jjT7_P12ihipStream_tbENKUlT_T0_SG_SL_E_clISA_SA_SB_SB_EEDaSZ_S10_SG_SL_EUlSZ_E_NS1_11comp_targetILNS1_3genE4ELNS1_11target_archE910ELNS1_3gpuE8ELNS1_3repE0EEENS1_47radix_sort_onesweep_sort_config_static_selectorELNS0_4arch9wavefront6targetE0EEEvSG_ ; -- Begin function _ZN7rocprim17ROCPRIM_400000_NS6detail17trampoline_kernelINS0_14default_configENS1_35radix_sort_onesweep_config_selectorIbNS0_10empty_typeEEEZZNS1_29radix_sort_onesweep_iterationIS3_Lb1EPKbPbPS5_SB_mNS0_19identity_decomposerENS1_16block_id_wrapperIjLb1EEEEE10hipError_tT1_PNSt15iterator_traitsISG_E10value_typeET2_T3_PNSH_ISM_E10value_typeET4_T5_PSR_SS_PNS1_23onesweep_lookback_stateEbbT6_jjT7_P12ihipStream_tbENKUlT_T0_SG_SL_E_clISA_SA_SB_SB_EEDaSZ_S10_SG_SL_EUlSZ_E_NS1_11comp_targetILNS1_3genE4ELNS1_11target_archE910ELNS1_3gpuE8ELNS1_3repE0EEENS1_47radix_sort_onesweep_sort_config_static_selectorELNS0_4arch9wavefront6targetE0EEEvSG_
	.globl	_ZN7rocprim17ROCPRIM_400000_NS6detail17trampoline_kernelINS0_14default_configENS1_35radix_sort_onesweep_config_selectorIbNS0_10empty_typeEEEZZNS1_29radix_sort_onesweep_iterationIS3_Lb1EPKbPbPS5_SB_mNS0_19identity_decomposerENS1_16block_id_wrapperIjLb1EEEEE10hipError_tT1_PNSt15iterator_traitsISG_E10value_typeET2_T3_PNSH_ISM_E10value_typeET4_T5_PSR_SS_PNS1_23onesweep_lookback_stateEbbT6_jjT7_P12ihipStream_tbENKUlT_T0_SG_SL_E_clISA_SA_SB_SB_EEDaSZ_S10_SG_SL_EUlSZ_E_NS1_11comp_targetILNS1_3genE4ELNS1_11target_archE910ELNS1_3gpuE8ELNS1_3repE0EEENS1_47radix_sort_onesweep_sort_config_static_selectorELNS0_4arch9wavefront6targetE0EEEvSG_
	.p2align	8
	.type	_ZN7rocprim17ROCPRIM_400000_NS6detail17trampoline_kernelINS0_14default_configENS1_35radix_sort_onesweep_config_selectorIbNS0_10empty_typeEEEZZNS1_29radix_sort_onesweep_iterationIS3_Lb1EPKbPbPS5_SB_mNS0_19identity_decomposerENS1_16block_id_wrapperIjLb1EEEEE10hipError_tT1_PNSt15iterator_traitsISG_E10value_typeET2_T3_PNSH_ISM_E10value_typeET4_T5_PSR_SS_PNS1_23onesweep_lookback_stateEbbT6_jjT7_P12ihipStream_tbENKUlT_T0_SG_SL_E_clISA_SA_SB_SB_EEDaSZ_S10_SG_SL_EUlSZ_E_NS1_11comp_targetILNS1_3genE4ELNS1_11target_archE910ELNS1_3gpuE8ELNS1_3repE0EEENS1_47radix_sort_onesweep_sort_config_static_selectorELNS0_4arch9wavefront6targetE0EEEvSG_,@function
_ZN7rocprim17ROCPRIM_400000_NS6detail17trampoline_kernelINS0_14default_configENS1_35radix_sort_onesweep_config_selectorIbNS0_10empty_typeEEEZZNS1_29radix_sort_onesweep_iterationIS3_Lb1EPKbPbPS5_SB_mNS0_19identity_decomposerENS1_16block_id_wrapperIjLb1EEEEE10hipError_tT1_PNSt15iterator_traitsISG_E10value_typeET2_T3_PNSH_ISM_E10value_typeET4_T5_PSR_SS_PNS1_23onesweep_lookback_stateEbbT6_jjT7_P12ihipStream_tbENKUlT_T0_SG_SL_E_clISA_SA_SB_SB_EEDaSZ_S10_SG_SL_EUlSZ_E_NS1_11comp_targetILNS1_3genE4ELNS1_11target_archE910ELNS1_3gpuE8ELNS1_3repE0EEENS1_47radix_sort_onesweep_sort_config_static_selectorELNS0_4arch9wavefront6targetE0EEEvSG_: ; @_ZN7rocprim17ROCPRIM_400000_NS6detail17trampoline_kernelINS0_14default_configENS1_35radix_sort_onesweep_config_selectorIbNS0_10empty_typeEEEZZNS1_29radix_sort_onesweep_iterationIS3_Lb1EPKbPbPS5_SB_mNS0_19identity_decomposerENS1_16block_id_wrapperIjLb1EEEEE10hipError_tT1_PNSt15iterator_traitsISG_E10value_typeET2_T3_PNSH_ISM_E10value_typeET4_T5_PSR_SS_PNS1_23onesweep_lookback_stateEbbT6_jjT7_P12ihipStream_tbENKUlT_T0_SG_SL_E_clISA_SA_SB_SB_EEDaSZ_S10_SG_SL_EUlSZ_E_NS1_11comp_targetILNS1_3genE4ELNS1_11target_archE910ELNS1_3gpuE8ELNS1_3repE0EEENS1_47radix_sort_onesweep_sort_config_static_selectorELNS0_4arch9wavefront6targetE0EEEvSG_
; %bb.0:
	.section	.rodata,"a",@progbits
	.p2align	6, 0x0
	.amdhsa_kernel _ZN7rocprim17ROCPRIM_400000_NS6detail17trampoline_kernelINS0_14default_configENS1_35radix_sort_onesweep_config_selectorIbNS0_10empty_typeEEEZZNS1_29radix_sort_onesweep_iterationIS3_Lb1EPKbPbPS5_SB_mNS0_19identity_decomposerENS1_16block_id_wrapperIjLb1EEEEE10hipError_tT1_PNSt15iterator_traitsISG_E10value_typeET2_T3_PNSH_ISM_E10value_typeET4_T5_PSR_SS_PNS1_23onesweep_lookback_stateEbbT6_jjT7_P12ihipStream_tbENKUlT_T0_SG_SL_E_clISA_SA_SB_SB_EEDaSZ_S10_SG_SL_EUlSZ_E_NS1_11comp_targetILNS1_3genE4ELNS1_11target_archE910ELNS1_3gpuE8ELNS1_3repE0EEENS1_47radix_sort_onesweep_sort_config_static_selectorELNS0_4arch9wavefront6targetE0EEEvSG_
		.amdhsa_group_segment_fixed_size 0
		.amdhsa_private_segment_fixed_size 0
		.amdhsa_kernarg_size 88
		.amdhsa_user_sgpr_count 2
		.amdhsa_user_sgpr_dispatch_ptr 0
		.amdhsa_user_sgpr_queue_ptr 0
		.amdhsa_user_sgpr_kernarg_segment_ptr 1
		.amdhsa_user_sgpr_dispatch_id 0
		.amdhsa_user_sgpr_kernarg_preload_length 0
		.amdhsa_user_sgpr_kernarg_preload_offset 0
		.amdhsa_user_sgpr_private_segment_size 0
		.amdhsa_wavefront_size32 1
		.amdhsa_uses_dynamic_stack 0
		.amdhsa_enable_private_segment 0
		.amdhsa_system_sgpr_workgroup_id_x 1
		.amdhsa_system_sgpr_workgroup_id_y 0
		.amdhsa_system_sgpr_workgroup_id_z 0
		.amdhsa_system_sgpr_workgroup_info 0
		.amdhsa_system_vgpr_workitem_id 0
		.amdhsa_next_free_vgpr 1
		.amdhsa_next_free_sgpr 1
		.amdhsa_named_barrier_count 0
		.amdhsa_reserve_vcc 0
		.amdhsa_float_round_mode_32 0
		.amdhsa_float_round_mode_16_64 0
		.amdhsa_float_denorm_mode_32 3
		.amdhsa_float_denorm_mode_16_64 3
		.amdhsa_fp16_overflow 0
		.amdhsa_memory_ordered 1
		.amdhsa_forward_progress 1
		.amdhsa_inst_pref_size 0
		.amdhsa_round_robin_scheduling 0
		.amdhsa_exception_fp_ieee_invalid_op 0
		.amdhsa_exception_fp_denorm_src 0
		.amdhsa_exception_fp_ieee_div_zero 0
		.amdhsa_exception_fp_ieee_overflow 0
		.amdhsa_exception_fp_ieee_underflow 0
		.amdhsa_exception_fp_ieee_inexact 0
		.amdhsa_exception_int_div_zero 0
	.end_amdhsa_kernel
	.section	.text._ZN7rocprim17ROCPRIM_400000_NS6detail17trampoline_kernelINS0_14default_configENS1_35radix_sort_onesweep_config_selectorIbNS0_10empty_typeEEEZZNS1_29radix_sort_onesweep_iterationIS3_Lb1EPKbPbPS5_SB_mNS0_19identity_decomposerENS1_16block_id_wrapperIjLb1EEEEE10hipError_tT1_PNSt15iterator_traitsISG_E10value_typeET2_T3_PNSH_ISM_E10value_typeET4_T5_PSR_SS_PNS1_23onesweep_lookback_stateEbbT6_jjT7_P12ihipStream_tbENKUlT_T0_SG_SL_E_clISA_SA_SB_SB_EEDaSZ_S10_SG_SL_EUlSZ_E_NS1_11comp_targetILNS1_3genE4ELNS1_11target_archE910ELNS1_3gpuE8ELNS1_3repE0EEENS1_47radix_sort_onesweep_sort_config_static_selectorELNS0_4arch9wavefront6targetE0EEEvSG_,"axG",@progbits,_ZN7rocprim17ROCPRIM_400000_NS6detail17trampoline_kernelINS0_14default_configENS1_35radix_sort_onesweep_config_selectorIbNS0_10empty_typeEEEZZNS1_29radix_sort_onesweep_iterationIS3_Lb1EPKbPbPS5_SB_mNS0_19identity_decomposerENS1_16block_id_wrapperIjLb1EEEEE10hipError_tT1_PNSt15iterator_traitsISG_E10value_typeET2_T3_PNSH_ISM_E10value_typeET4_T5_PSR_SS_PNS1_23onesweep_lookback_stateEbbT6_jjT7_P12ihipStream_tbENKUlT_T0_SG_SL_E_clISA_SA_SB_SB_EEDaSZ_S10_SG_SL_EUlSZ_E_NS1_11comp_targetILNS1_3genE4ELNS1_11target_archE910ELNS1_3gpuE8ELNS1_3repE0EEENS1_47radix_sort_onesweep_sort_config_static_selectorELNS0_4arch9wavefront6targetE0EEEvSG_,comdat
.Lfunc_end1754:
	.size	_ZN7rocprim17ROCPRIM_400000_NS6detail17trampoline_kernelINS0_14default_configENS1_35radix_sort_onesweep_config_selectorIbNS0_10empty_typeEEEZZNS1_29radix_sort_onesweep_iterationIS3_Lb1EPKbPbPS5_SB_mNS0_19identity_decomposerENS1_16block_id_wrapperIjLb1EEEEE10hipError_tT1_PNSt15iterator_traitsISG_E10value_typeET2_T3_PNSH_ISM_E10value_typeET4_T5_PSR_SS_PNS1_23onesweep_lookback_stateEbbT6_jjT7_P12ihipStream_tbENKUlT_T0_SG_SL_E_clISA_SA_SB_SB_EEDaSZ_S10_SG_SL_EUlSZ_E_NS1_11comp_targetILNS1_3genE4ELNS1_11target_archE910ELNS1_3gpuE8ELNS1_3repE0EEENS1_47radix_sort_onesweep_sort_config_static_selectorELNS0_4arch9wavefront6targetE0EEEvSG_, .Lfunc_end1754-_ZN7rocprim17ROCPRIM_400000_NS6detail17trampoline_kernelINS0_14default_configENS1_35radix_sort_onesweep_config_selectorIbNS0_10empty_typeEEEZZNS1_29radix_sort_onesweep_iterationIS3_Lb1EPKbPbPS5_SB_mNS0_19identity_decomposerENS1_16block_id_wrapperIjLb1EEEEE10hipError_tT1_PNSt15iterator_traitsISG_E10value_typeET2_T3_PNSH_ISM_E10value_typeET4_T5_PSR_SS_PNS1_23onesweep_lookback_stateEbbT6_jjT7_P12ihipStream_tbENKUlT_T0_SG_SL_E_clISA_SA_SB_SB_EEDaSZ_S10_SG_SL_EUlSZ_E_NS1_11comp_targetILNS1_3genE4ELNS1_11target_archE910ELNS1_3gpuE8ELNS1_3repE0EEENS1_47radix_sort_onesweep_sort_config_static_selectorELNS0_4arch9wavefront6targetE0EEEvSG_
                                        ; -- End function
	.set _ZN7rocprim17ROCPRIM_400000_NS6detail17trampoline_kernelINS0_14default_configENS1_35radix_sort_onesweep_config_selectorIbNS0_10empty_typeEEEZZNS1_29radix_sort_onesweep_iterationIS3_Lb1EPKbPbPS5_SB_mNS0_19identity_decomposerENS1_16block_id_wrapperIjLb1EEEEE10hipError_tT1_PNSt15iterator_traitsISG_E10value_typeET2_T3_PNSH_ISM_E10value_typeET4_T5_PSR_SS_PNS1_23onesweep_lookback_stateEbbT6_jjT7_P12ihipStream_tbENKUlT_T0_SG_SL_E_clISA_SA_SB_SB_EEDaSZ_S10_SG_SL_EUlSZ_E_NS1_11comp_targetILNS1_3genE4ELNS1_11target_archE910ELNS1_3gpuE8ELNS1_3repE0EEENS1_47radix_sort_onesweep_sort_config_static_selectorELNS0_4arch9wavefront6targetE0EEEvSG_.num_vgpr, 0
	.set _ZN7rocprim17ROCPRIM_400000_NS6detail17trampoline_kernelINS0_14default_configENS1_35radix_sort_onesweep_config_selectorIbNS0_10empty_typeEEEZZNS1_29radix_sort_onesweep_iterationIS3_Lb1EPKbPbPS5_SB_mNS0_19identity_decomposerENS1_16block_id_wrapperIjLb1EEEEE10hipError_tT1_PNSt15iterator_traitsISG_E10value_typeET2_T3_PNSH_ISM_E10value_typeET4_T5_PSR_SS_PNS1_23onesweep_lookback_stateEbbT6_jjT7_P12ihipStream_tbENKUlT_T0_SG_SL_E_clISA_SA_SB_SB_EEDaSZ_S10_SG_SL_EUlSZ_E_NS1_11comp_targetILNS1_3genE4ELNS1_11target_archE910ELNS1_3gpuE8ELNS1_3repE0EEENS1_47radix_sort_onesweep_sort_config_static_selectorELNS0_4arch9wavefront6targetE0EEEvSG_.num_agpr, 0
	.set _ZN7rocprim17ROCPRIM_400000_NS6detail17trampoline_kernelINS0_14default_configENS1_35radix_sort_onesweep_config_selectorIbNS0_10empty_typeEEEZZNS1_29radix_sort_onesweep_iterationIS3_Lb1EPKbPbPS5_SB_mNS0_19identity_decomposerENS1_16block_id_wrapperIjLb1EEEEE10hipError_tT1_PNSt15iterator_traitsISG_E10value_typeET2_T3_PNSH_ISM_E10value_typeET4_T5_PSR_SS_PNS1_23onesweep_lookback_stateEbbT6_jjT7_P12ihipStream_tbENKUlT_T0_SG_SL_E_clISA_SA_SB_SB_EEDaSZ_S10_SG_SL_EUlSZ_E_NS1_11comp_targetILNS1_3genE4ELNS1_11target_archE910ELNS1_3gpuE8ELNS1_3repE0EEENS1_47radix_sort_onesweep_sort_config_static_selectorELNS0_4arch9wavefront6targetE0EEEvSG_.numbered_sgpr, 0
	.set _ZN7rocprim17ROCPRIM_400000_NS6detail17trampoline_kernelINS0_14default_configENS1_35radix_sort_onesweep_config_selectorIbNS0_10empty_typeEEEZZNS1_29radix_sort_onesweep_iterationIS3_Lb1EPKbPbPS5_SB_mNS0_19identity_decomposerENS1_16block_id_wrapperIjLb1EEEEE10hipError_tT1_PNSt15iterator_traitsISG_E10value_typeET2_T3_PNSH_ISM_E10value_typeET4_T5_PSR_SS_PNS1_23onesweep_lookback_stateEbbT6_jjT7_P12ihipStream_tbENKUlT_T0_SG_SL_E_clISA_SA_SB_SB_EEDaSZ_S10_SG_SL_EUlSZ_E_NS1_11comp_targetILNS1_3genE4ELNS1_11target_archE910ELNS1_3gpuE8ELNS1_3repE0EEENS1_47radix_sort_onesweep_sort_config_static_selectorELNS0_4arch9wavefront6targetE0EEEvSG_.num_named_barrier, 0
	.set _ZN7rocprim17ROCPRIM_400000_NS6detail17trampoline_kernelINS0_14default_configENS1_35radix_sort_onesweep_config_selectorIbNS0_10empty_typeEEEZZNS1_29radix_sort_onesweep_iterationIS3_Lb1EPKbPbPS5_SB_mNS0_19identity_decomposerENS1_16block_id_wrapperIjLb1EEEEE10hipError_tT1_PNSt15iterator_traitsISG_E10value_typeET2_T3_PNSH_ISM_E10value_typeET4_T5_PSR_SS_PNS1_23onesweep_lookback_stateEbbT6_jjT7_P12ihipStream_tbENKUlT_T0_SG_SL_E_clISA_SA_SB_SB_EEDaSZ_S10_SG_SL_EUlSZ_E_NS1_11comp_targetILNS1_3genE4ELNS1_11target_archE910ELNS1_3gpuE8ELNS1_3repE0EEENS1_47radix_sort_onesweep_sort_config_static_selectorELNS0_4arch9wavefront6targetE0EEEvSG_.private_seg_size, 0
	.set _ZN7rocprim17ROCPRIM_400000_NS6detail17trampoline_kernelINS0_14default_configENS1_35radix_sort_onesweep_config_selectorIbNS0_10empty_typeEEEZZNS1_29radix_sort_onesweep_iterationIS3_Lb1EPKbPbPS5_SB_mNS0_19identity_decomposerENS1_16block_id_wrapperIjLb1EEEEE10hipError_tT1_PNSt15iterator_traitsISG_E10value_typeET2_T3_PNSH_ISM_E10value_typeET4_T5_PSR_SS_PNS1_23onesweep_lookback_stateEbbT6_jjT7_P12ihipStream_tbENKUlT_T0_SG_SL_E_clISA_SA_SB_SB_EEDaSZ_S10_SG_SL_EUlSZ_E_NS1_11comp_targetILNS1_3genE4ELNS1_11target_archE910ELNS1_3gpuE8ELNS1_3repE0EEENS1_47radix_sort_onesweep_sort_config_static_selectorELNS0_4arch9wavefront6targetE0EEEvSG_.uses_vcc, 0
	.set _ZN7rocprim17ROCPRIM_400000_NS6detail17trampoline_kernelINS0_14default_configENS1_35radix_sort_onesweep_config_selectorIbNS0_10empty_typeEEEZZNS1_29radix_sort_onesweep_iterationIS3_Lb1EPKbPbPS5_SB_mNS0_19identity_decomposerENS1_16block_id_wrapperIjLb1EEEEE10hipError_tT1_PNSt15iterator_traitsISG_E10value_typeET2_T3_PNSH_ISM_E10value_typeET4_T5_PSR_SS_PNS1_23onesweep_lookback_stateEbbT6_jjT7_P12ihipStream_tbENKUlT_T0_SG_SL_E_clISA_SA_SB_SB_EEDaSZ_S10_SG_SL_EUlSZ_E_NS1_11comp_targetILNS1_3genE4ELNS1_11target_archE910ELNS1_3gpuE8ELNS1_3repE0EEENS1_47radix_sort_onesweep_sort_config_static_selectorELNS0_4arch9wavefront6targetE0EEEvSG_.uses_flat_scratch, 0
	.set _ZN7rocprim17ROCPRIM_400000_NS6detail17trampoline_kernelINS0_14default_configENS1_35radix_sort_onesweep_config_selectorIbNS0_10empty_typeEEEZZNS1_29radix_sort_onesweep_iterationIS3_Lb1EPKbPbPS5_SB_mNS0_19identity_decomposerENS1_16block_id_wrapperIjLb1EEEEE10hipError_tT1_PNSt15iterator_traitsISG_E10value_typeET2_T3_PNSH_ISM_E10value_typeET4_T5_PSR_SS_PNS1_23onesweep_lookback_stateEbbT6_jjT7_P12ihipStream_tbENKUlT_T0_SG_SL_E_clISA_SA_SB_SB_EEDaSZ_S10_SG_SL_EUlSZ_E_NS1_11comp_targetILNS1_3genE4ELNS1_11target_archE910ELNS1_3gpuE8ELNS1_3repE0EEENS1_47radix_sort_onesweep_sort_config_static_selectorELNS0_4arch9wavefront6targetE0EEEvSG_.has_dyn_sized_stack, 0
	.set _ZN7rocprim17ROCPRIM_400000_NS6detail17trampoline_kernelINS0_14default_configENS1_35radix_sort_onesweep_config_selectorIbNS0_10empty_typeEEEZZNS1_29radix_sort_onesweep_iterationIS3_Lb1EPKbPbPS5_SB_mNS0_19identity_decomposerENS1_16block_id_wrapperIjLb1EEEEE10hipError_tT1_PNSt15iterator_traitsISG_E10value_typeET2_T3_PNSH_ISM_E10value_typeET4_T5_PSR_SS_PNS1_23onesweep_lookback_stateEbbT6_jjT7_P12ihipStream_tbENKUlT_T0_SG_SL_E_clISA_SA_SB_SB_EEDaSZ_S10_SG_SL_EUlSZ_E_NS1_11comp_targetILNS1_3genE4ELNS1_11target_archE910ELNS1_3gpuE8ELNS1_3repE0EEENS1_47radix_sort_onesweep_sort_config_static_selectorELNS0_4arch9wavefront6targetE0EEEvSG_.has_recursion, 0
	.set _ZN7rocprim17ROCPRIM_400000_NS6detail17trampoline_kernelINS0_14default_configENS1_35radix_sort_onesweep_config_selectorIbNS0_10empty_typeEEEZZNS1_29radix_sort_onesweep_iterationIS3_Lb1EPKbPbPS5_SB_mNS0_19identity_decomposerENS1_16block_id_wrapperIjLb1EEEEE10hipError_tT1_PNSt15iterator_traitsISG_E10value_typeET2_T3_PNSH_ISM_E10value_typeET4_T5_PSR_SS_PNS1_23onesweep_lookback_stateEbbT6_jjT7_P12ihipStream_tbENKUlT_T0_SG_SL_E_clISA_SA_SB_SB_EEDaSZ_S10_SG_SL_EUlSZ_E_NS1_11comp_targetILNS1_3genE4ELNS1_11target_archE910ELNS1_3gpuE8ELNS1_3repE0EEENS1_47radix_sort_onesweep_sort_config_static_selectorELNS0_4arch9wavefront6targetE0EEEvSG_.has_indirect_call, 0
	.section	.AMDGPU.csdata,"",@progbits
; Kernel info:
; codeLenInByte = 0
; TotalNumSgprs: 0
; NumVgprs: 0
; ScratchSize: 0
; MemoryBound: 0
; FloatMode: 240
; IeeeMode: 1
; LDSByteSize: 0 bytes/workgroup (compile time only)
; SGPRBlocks: 0
; VGPRBlocks: 0
; NumSGPRsForWavesPerEU: 1
; NumVGPRsForWavesPerEU: 1
; NamedBarCnt: 0
; Occupancy: 16
; WaveLimiterHint : 0
; COMPUTE_PGM_RSRC2:SCRATCH_EN: 0
; COMPUTE_PGM_RSRC2:USER_SGPR: 2
; COMPUTE_PGM_RSRC2:TRAP_HANDLER: 0
; COMPUTE_PGM_RSRC2:TGID_X_EN: 1
; COMPUTE_PGM_RSRC2:TGID_Y_EN: 0
; COMPUTE_PGM_RSRC2:TGID_Z_EN: 0
; COMPUTE_PGM_RSRC2:TIDIG_COMP_CNT: 0
	.section	.text._ZN7rocprim17ROCPRIM_400000_NS6detail17trampoline_kernelINS0_14default_configENS1_35radix_sort_onesweep_config_selectorIbNS0_10empty_typeEEEZZNS1_29radix_sort_onesweep_iterationIS3_Lb1EPKbPbPS5_SB_mNS0_19identity_decomposerENS1_16block_id_wrapperIjLb1EEEEE10hipError_tT1_PNSt15iterator_traitsISG_E10value_typeET2_T3_PNSH_ISM_E10value_typeET4_T5_PSR_SS_PNS1_23onesweep_lookback_stateEbbT6_jjT7_P12ihipStream_tbENKUlT_T0_SG_SL_E_clISA_SA_SB_SB_EEDaSZ_S10_SG_SL_EUlSZ_E_NS1_11comp_targetILNS1_3genE3ELNS1_11target_archE908ELNS1_3gpuE7ELNS1_3repE0EEENS1_47radix_sort_onesweep_sort_config_static_selectorELNS0_4arch9wavefront6targetE0EEEvSG_,"axG",@progbits,_ZN7rocprim17ROCPRIM_400000_NS6detail17trampoline_kernelINS0_14default_configENS1_35radix_sort_onesweep_config_selectorIbNS0_10empty_typeEEEZZNS1_29radix_sort_onesweep_iterationIS3_Lb1EPKbPbPS5_SB_mNS0_19identity_decomposerENS1_16block_id_wrapperIjLb1EEEEE10hipError_tT1_PNSt15iterator_traitsISG_E10value_typeET2_T3_PNSH_ISM_E10value_typeET4_T5_PSR_SS_PNS1_23onesweep_lookback_stateEbbT6_jjT7_P12ihipStream_tbENKUlT_T0_SG_SL_E_clISA_SA_SB_SB_EEDaSZ_S10_SG_SL_EUlSZ_E_NS1_11comp_targetILNS1_3genE3ELNS1_11target_archE908ELNS1_3gpuE7ELNS1_3repE0EEENS1_47radix_sort_onesweep_sort_config_static_selectorELNS0_4arch9wavefront6targetE0EEEvSG_,comdat
	.protected	_ZN7rocprim17ROCPRIM_400000_NS6detail17trampoline_kernelINS0_14default_configENS1_35radix_sort_onesweep_config_selectorIbNS0_10empty_typeEEEZZNS1_29radix_sort_onesweep_iterationIS3_Lb1EPKbPbPS5_SB_mNS0_19identity_decomposerENS1_16block_id_wrapperIjLb1EEEEE10hipError_tT1_PNSt15iterator_traitsISG_E10value_typeET2_T3_PNSH_ISM_E10value_typeET4_T5_PSR_SS_PNS1_23onesweep_lookback_stateEbbT6_jjT7_P12ihipStream_tbENKUlT_T0_SG_SL_E_clISA_SA_SB_SB_EEDaSZ_S10_SG_SL_EUlSZ_E_NS1_11comp_targetILNS1_3genE3ELNS1_11target_archE908ELNS1_3gpuE7ELNS1_3repE0EEENS1_47radix_sort_onesweep_sort_config_static_selectorELNS0_4arch9wavefront6targetE0EEEvSG_ ; -- Begin function _ZN7rocprim17ROCPRIM_400000_NS6detail17trampoline_kernelINS0_14default_configENS1_35radix_sort_onesweep_config_selectorIbNS0_10empty_typeEEEZZNS1_29radix_sort_onesweep_iterationIS3_Lb1EPKbPbPS5_SB_mNS0_19identity_decomposerENS1_16block_id_wrapperIjLb1EEEEE10hipError_tT1_PNSt15iterator_traitsISG_E10value_typeET2_T3_PNSH_ISM_E10value_typeET4_T5_PSR_SS_PNS1_23onesweep_lookback_stateEbbT6_jjT7_P12ihipStream_tbENKUlT_T0_SG_SL_E_clISA_SA_SB_SB_EEDaSZ_S10_SG_SL_EUlSZ_E_NS1_11comp_targetILNS1_3genE3ELNS1_11target_archE908ELNS1_3gpuE7ELNS1_3repE0EEENS1_47radix_sort_onesweep_sort_config_static_selectorELNS0_4arch9wavefront6targetE0EEEvSG_
	.globl	_ZN7rocprim17ROCPRIM_400000_NS6detail17trampoline_kernelINS0_14default_configENS1_35radix_sort_onesweep_config_selectorIbNS0_10empty_typeEEEZZNS1_29radix_sort_onesweep_iterationIS3_Lb1EPKbPbPS5_SB_mNS0_19identity_decomposerENS1_16block_id_wrapperIjLb1EEEEE10hipError_tT1_PNSt15iterator_traitsISG_E10value_typeET2_T3_PNSH_ISM_E10value_typeET4_T5_PSR_SS_PNS1_23onesweep_lookback_stateEbbT6_jjT7_P12ihipStream_tbENKUlT_T0_SG_SL_E_clISA_SA_SB_SB_EEDaSZ_S10_SG_SL_EUlSZ_E_NS1_11comp_targetILNS1_3genE3ELNS1_11target_archE908ELNS1_3gpuE7ELNS1_3repE0EEENS1_47radix_sort_onesweep_sort_config_static_selectorELNS0_4arch9wavefront6targetE0EEEvSG_
	.p2align	8
	.type	_ZN7rocprim17ROCPRIM_400000_NS6detail17trampoline_kernelINS0_14default_configENS1_35radix_sort_onesweep_config_selectorIbNS0_10empty_typeEEEZZNS1_29radix_sort_onesweep_iterationIS3_Lb1EPKbPbPS5_SB_mNS0_19identity_decomposerENS1_16block_id_wrapperIjLb1EEEEE10hipError_tT1_PNSt15iterator_traitsISG_E10value_typeET2_T3_PNSH_ISM_E10value_typeET4_T5_PSR_SS_PNS1_23onesweep_lookback_stateEbbT6_jjT7_P12ihipStream_tbENKUlT_T0_SG_SL_E_clISA_SA_SB_SB_EEDaSZ_S10_SG_SL_EUlSZ_E_NS1_11comp_targetILNS1_3genE3ELNS1_11target_archE908ELNS1_3gpuE7ELNS1_3repE0EEENS1_47radix_sort_onesweep_sort_config_static_selectorELNS0_4arch9wavefront6targetE0EEEvSG_,@function
_ZN7rocprim17ROCPRIM_400000_NS6detail17trampoline_kernelINS0_14default_configENS1_35radix_sort_onesweep_config_selectorIbNS0_10empty_typeEEEZZNS1_29radix_sort_onesweep_iterationIS3_Lb1EPKbPbPS5_SB_mNS0_19identity_decomposerENS1_16block_id_wrapperIjLb1EEEEE10hipError_tT1_PNSt15iterator_traitsISG_E10value_typeET2_T3_PNSH_ISM_E10value_typeET4_T5_PSR_SS_PNS1_23onesweep_lookback_stateEbbT6_jjT7_P12ihipStream_tbENKUlT_T0_SG_SL_E_clISA_SA_SB_SB_EEDaSZ_S10_SG_SL_EUlSZ_E_NS1_11comp_targetILNS1_3genE3ELNS1_11target_archE908ELNS1_3gpuE7ELNS1_3repE0EEENS1_47radix_sort_onesweep_sort_config_static_selectorELNS0_4arch9wavefront6targetE0EEEvSG_: ; @_ZN7rocprim17ROCPRIM_400000_NS6detail17trampoline_kernelINS0_14default_configENS1_35radix_sort_onesweep_config_selectorIbNS0_10empty_typeEEEZZNS1_29radix_sort_onesweep_iterationIS3_Lb1EPKbPbPS5_SB_mNS0_19identity_decomposerENS1_16block_id_wrapperIjLb1EEEEE10hipError_tT1_PNSt15iterator_traitsISG_E10value_typeET2_T3_PNSH_ISM_E10value_typeET4_T5_PSR_SS_PNS1_23onesweep_lookback_stateEbbT6_jjT7_P12ihipStream_tbENKUlT_T0_SG_SL_E_clISA_SA_SB_SB_EEDaSZ_S10_SG_SL_EUlSZ_E_NS1_11comp_targetILNS1_3genE3ELNS1_11target_archE908ELNS1_3gpuE7ELNS1_3repE0EEENS1_47radix_sort_onesweep_sort_config_static_selectorELNS0_4arch9wavefront6targetE0EEEvSG_
; %bb.0:
	.section	.rodata,"a",@progbits
	.p2align	6, 0x0
	.amdhsa_kernel _ZN7rocprim17ROCPRIM_400000_NS6detail17trampoline_kernelINS0_14default_configENS1_35radix_sort_onesweep_config_selectorIbNS0_10empty_typeEEEZZNS1_29radix_sort_onesweep_iterationIS3_Lb1EPKbPbPS5_SB_mNS0_19identity_decomposerENS1_16block_id_wrapperIjLb1EEEEE10hipError_tT1_PNSt15iterator_traitsISG_E10value_typeET2_T3_PNSH_ISM_E10value_typeET4_T5_PSR_SS_PNS1_23onesweep_lookback_stateEbbT6_jjT7_P12ihipStream_tbENKUlT_T0_SG_SL_E_clISA_SA_SB_SB_EEDaSZ_S10_SG_SL_EUlSZ_E_NS1_11comp_targetILNS1_3genE3ELNS1_11target_archE908ELNS1_3gpuE7ELNS1_3repE0EEENS1_47radix_sort_onesweep_sort_config_static_selectorELNS0_4arch9wavefront6targetE0EEEvSG_
		.amdhsa_group_segment_fixed_size 0
		.amdhsa_private_segment_fixed_size 0
		.amdhsa_kernarg_size 88
		.amdhsa_user_sgpr_count 2
		.amdhsa_user_sgpr_dispatch_ptr 0
		.amdhsa_user_sgpr_queue_ptr 0
		.amdhsa_user_sgpr_kernarg_segment_ptr 1
		.amdhsa_user_sgpr_dispatch_id 0
		.amdhsa_user_sgpr_kernarg_preload_length 0
		.amdhsa_user_sgpr_kernarg_preload_offset 0
		.amdhsa_user_sgpr_private_segment_size 0
		.amdhsa_wavefront_size32 1
		.amdhsa_uses_dynamic_stack 0
		.amdhsa_enable_private_segment 0
		.amdhsa_system_sgpr_workgroup_id_x 1
		.amdhsa_system_sgpr_workgroup_id_y 0
		.amdhsa_system_sgpr_workgroup_id_z 0
		.amdhsa_system_sgpr_workgroup_info 0
		.amdhsa_system_vgpr_workitem_id 0
		.amdhsa_next_free_vgpr 1
		.amdhsa_next_free_sgpr 1
		.amdhsa_named_barrier_count 0
		.amdhsa_reserve_vcc 0
		.amdhsa_float_round_mode_32 0
		.amdhsa_float_round_mode_16_64 0
		.amdhsa_float_denorm_mode_32 3
		.amdhsa_float_denorm_mode_16_64 3
		.amdhsa_fp16_overflow 0
		.amdhsa_memory_ordered 1
		.amdhsa_forward_progress 1
		.amdhsa_inst_pref_size 0
		.amdhsa_round_robin_scheduling 0
		.amdhsa_exception_fp_ieee_invalid_op 0
		.amdhsa_exception_fp_denorm_src 0
		.amdhsa_exception_fp_ieee_div_zero 0
		.amdhsa_exception_fp_ieee_overflow 0
		.amdhsa_exception_fp_ieee_underflow 0
		.amdhsa_exception_fp_ieee_inexact 0
		.amdhsa_exception_int_div_zero 0
	.end_amdhsa_kernel
	.section	.text._ZN7rocprim17ROCPRIM_400000_NS6detail17trampoline_kernelINS0_14default_configENS1_35radix_sort_onesweep_config_selectorIbNS0_10empty_typeEEEZZNS1_29radix_sort_onesweep_iterationIS3_Lb1EPKbPbPS5_SB_mNS0_19identity_decomposerENS1_16block_id_wrapperIjLb1EEEEE10hipError_tT1_PNSt15iterator_traitsISG_E10value_typeET2_T3_PNSH_ISM_E10value_typeET4_T5_PSR_SS_PNS1_23onesweep_lookback_stateEbbT6_jjT7_P12ihipStream_tbENKUlT_T0_SG_SL_E_clISA_SA_SB_SB_EEDaSZ_S10_SG_SL_EUlSZ_E_NS1_11comp_targetILNS1_3genE3ELNS1_11target_archE908ELNS1_3gpuE7ELNS1_3repE0EEENS1_47radix_sort_onesweep_sort_config_static_selectorELNS0_4arch9wavefront6targetE0EEEvSG_,"axG",@progbits,_ZN7rocprim17ROCPRIM_400000_NS6detail17trampoline_kernelINS0_14default_configENS1_35radix_sort_onesweep_config_selectorIbNS0_10empty_typeEEEZZNS1_29radix_sort_onesweep_iterationIS3_Lb1EPKbPbPS5_SB_mNS0_19identity_decomposerENS1_16block_id_wrapperIjLb1EEEEE10hipError_tT1_PNSt15iterator_traitsISG_E10value_typeET2_T3_PNSH_ISM_E10value_typeET4_T5_PSR_SS_PNS1_23onesweep_lookback_stateEbbT6_jjT7_P12ihipStream_tbENKUlT_T0_SG_SL_E_clISA_SA_SB_SB_EEDaSZ_S10_SG_SL_EUlSZ_E_NS1_11comp_targetILNS1_3genE3ELNS1_11target_archE908ELNS1_3gpuE7ELNS1_3repE0EEENS1_47radix_sort_onesweep_sort_config_static_selectorELNS0_4arch9wavefront6targetE0EEEvSG_,comdat
.Lfunc_end1755:
	.size	_ZN7rocprim17ROCPRIM_400000_NS6detail17trampoline_kernelINS0_14default_configENS1_35radix_sort_onesweep_config_selectorIbNS0_10empty_typeEEEZZNS1_29radix_sort_onesweep_iterationIS3_Lb1EPKbPbPS5_SB_mNS0_19identity_decomposerENS1_16block_id_wrapperIjLb1EEEEE10hipError_tT1_PNSt15iterator_traitsISG_E10value_typeET2_T3_PNSH_ISM_E10value_typeET4_T5_PSR_SS_PNS1_23onesweep_lookback_stateEbbT6_jjT7_P12ihipStream_tbENKUlT_T0_SG_SL_E_clISA_SA_SB_SB_EEDaSZ_S10_SG_SL_EUlSZ_E_NS1_11comp_targetILNS1_3genE3ELNS1_11target_archE908ELNS1_3gpuE7ELNS1_3repE0EEENS1_47radix_sort_onesweep_sort_config_static_selectorELNS0_4arch9wavefront6targetE0EEEvSG_, .Lfunc_end1755-_ZN7rocprim17ROCPRIM_400000_NS6detail17trampoline_kernelINS0_14default_configENS1_35radix_sort_onesweep_config_selectorIbNS0_10empty_typeEEEZZNS1_29radix_sort_onesweep_iterationIS3_Lb1EPKbPbPS5_SB_mNS0_19identity_decomposerENS1_16block_id_wrapperIjLb1EEEEE10hipError_tT1_PNSt15iterator_traitsISG_E10value_typeET2_T3_PNSH_ISM_E10value_typeET4_T5_PSR_SS_PNS1_23onesweep_lookback_stateEbbT6_jjT7_P12ihipStream_tbENKUlT_T0_SG_SL_E_clISA_SA_SB_SB_EEDaSZ_S10_SG_SL_EUlSZ_E_NS1_11comp_targetILNS1_3genE3ELNS1_11target_archE908ELNS1_3gpuE7ELNS1_3repE0EEENS1_47radix_sort_onesweep_sort_config_static_selectorELNS0_4arch9wavefront6targetE0EEEvSG_
                                        ; -- End function
	.set _ZN7rocprim17ROCPRIM_400000_NS6detail17trampoline_kernelINS0_14default_configENS1_35radix_sort_onesweep_config_selectorIbNS0_10empty_typeEEEZZNS1_29radix_sort_onesweep_iterationIS3_Lb1EPKbPbPS5_SB_mNS0_19identity_decomposerENS1_16block_id_wrapperIjLb1EEEEE10hipError_tT1_PNSt15iterator_traitsISG_E10value_typeET2_T3_PNSH_ISM_E10value_typeET4_T5_PSR_SS_PNS1_23onesweep_lookback_stateEbbT6_jjT7_P12ihipStream_tbENKUlT_T0_SG_SL_E_clISA_SA_SB_SB_EEDaSZ_S10_SG_SL_EUlSZ_E_NS1_11comp_targetILNS1_3genE3ELNS1_11target_archE908ELNS1_3gpuE7ELNS1_3repE0EEENS1_47radix_sort_onesweep_sort_config_static_selectorELNS0_4arch9wavefront6targetE0EEEvSG_.num_vgpr, 0
	.set _ZN7rocprim17ROCPRIM_400000_NS6detail17trampoline_kernelINS0_14default_configENS1_35radix_sort_onesweep_config_selectorIbNS0_10empty_typeEEEZZNS1_29radix_sort_onesweep_iterationIS3_Lb1EPKbPbPS5_SB_mNS0_19identity_decomposerENS1_16block_id_wrapperIjLb1EEEEE10hipError_tT1_PNSt15iterator_traitsISG_E10value_typeET2_T3_PNSH_ISM_E10value_typeET4_T5_PSR_SS_PNS1_23onesweep_lookback_stateEbbT6_jjT7_P12ihipStream_tbENKUlT_T0_SG_SL_E_clISA_SA_SB_SB_EEDaSZ_S10_SG_SL_EUlSZ_E_NS1_11comp_targetILNS1_3genE3ELNS1_11target_archE908ELNS1_3gpuE7ELNS1_3repE0EEENS1_47radix_sort_onesweep_sort_config_static_selectorELNS0_4arch9wavefront6targetE0EEEvSG_.num_agpr, 0
	.set _ZN7rocprim17ROCPRIM_400000_NS6detail17trampoline_kernelINS0_14default_configENS1_35radix_sort_onesweep_config_selectorIbNS0_10empty_typeEEEZZNS1_29radix_sort_onesweep_iterationIS3_Lb1EPKbPbPS5_SB_mNS0_19identity_decomposerENS1_16block_id_wrapperIjLb1EEEEE10hipError_tT1_PNSt15iterator_traitsISG_E10value_typeET2_T3_PNSH_ISM_E10value_typeET4_T5_PSR_SS_PNS1_23onesweep_lookback_stateEbbT6_jjT7_P12ihipStream_tbENKUlT_T0_SG_SL_E_clISA_SA_SB_SB_EEDaSZ_S10_SG_SL_EUlSZ_E_NS1_11comp_targetILNS1_3genE3ELNS1_11target_archE908ELNS1_3gpuE7ELNS1_3repE0EEENS1_47radix_sort_onesweep_sort_config_static_selectorELNS0_4arch9wavefront6targetE0EEEvSG_.numbered_sgpr, 0
	.set _ZN7rocprim17ROCPRIM_400000_NS6detail17trampoline_kernelINS0_14default_configENS1_35radix_sort_onesweep_config_selectorIbNS0_10empty_typeEEEZZNS1_29radix_sort_onesweep_iterationIS3_Lb1EPKbPbPS5_SB_mNS0_19identity_decomposerENS1_16block_id_wrapperIjLb1EEEEE10hipError_tT1_PNSt15iterator_traitsISG_E10value_typeET2_T3_PNSH_ISM_E10value_typeET4_T5_PSR_SS_PNS1_23onesweep_lookback_stateEbbT6_jjT7_P12ihipStream_tbENKUlT_T0_SG_SL_E_clISA_SA_SB_SB_EEDaSZ_S10_SG_SL_EUlSZ_E_NS1_11comp_targetILNS1_3genE3ELNS1_11target_archE908ELNS1_3gpuE7ELNS1_3repE0EEENS1_47radix_sort_onesweep_sort_config_static_selectorELNS0_4arch9wavefront6targetE0EEEvSG_.num_named_barrier, 0
	.set _ZN7rocprim17ROCPRIM_400000_NS6detail17trampoline_kernelINS0_14default_configENS1_35radix_sort_onesweep_config_selectorIbNS0_10empty_typeEEEZZNS1_29radix_sort_onesweep_iterationIS3_Lb1EPKbPbPS5_SB_mNS0_19identity_decomposerENS1_16block_id_wrapperIjLb1EEEEE10hipError_tT1_PNSt15iterator_traitsISG_E10value_typeET2_T3_PNSH_ISM_E10value_typeET4_T5_PSR_SS_PNS1_23onesweep_lookback_stateEbbT6_jjT7_P12ihipStream_tbENKUlT_T0_SG_SL_E_clISA_SA_SB_SB_EEDaSZ_S10_SG_SL_EUlSZ_E_NS1_11comp_targetILNS1_3genE3ELNS1_11target_archE908ELNS1_3gpuE7ELNS1_3repE0EEENS1_47radix_sort_onesweep_sort_config_static_selectorELNS0_4arch9wavefront6targetE0EEEvSG_.private_seg_size, 0
	.set _ZN7rocprim17ROCPRIM_400000_NS6detail17trampoline_kernelINS0_14default_configENS1_35radix_sort_onesweep_config_selectorIbNS0_10empty_typeEEEZZNS1_29radix_sort_onesweep_iterationIS3_Lb1EPKbPbPS5_SB_mNS0_19identity_decomposerENS1_16block_id_wrapperIjLb1EEEEE10hipError_tT1_PNSt15iterator_traitsISG_E10value_typeET2_T3_PNSH_ISM_E10value_typeET4_T5_PSR_SS_PNS1_23onesweep_lookback_stateEbbT6_jjT7_P12ihipStream_tbENKUlT_T0_SG_SL_E_clISA_SA_SB_SB_EEDaSZ_S10_SG_SL_EUlSZ_E_NS1_11comp_targetILNS1_3genE3ELNS1_11target_archE908ELNS1_3gpuE7ELNS1_3repE0EEENS1_47radix_sort_onesweep_sort_config_static_selectorELNS0_4arch9wavefront6targetE0EEEvSG_.uses_vcc, 0
	.set _ZN7rocprim17ROCPRIM_400000_NS6detail17trampoline_kernelINS0_14default_configENS1_35radix_sort_onesweep_config_selectorIbNS0_10empty_typeEEEZZNS1_29radix_sort_onesweep_iterationIS3_Lb1EPKbPbPS5_SB_mNS0_19identity_decomposerENS1_16block_id_wrapperIjLb1EEEEE10hipError_tT1_PNSt15iterator_traitsISG_E10value_typeET2_T3_PNSH_ISM_E10value_typeET4_T5_PSR_SS_PNS1_23onesweep_lookback_stateEbbT6_jjT7_P12ihipStream_tbENKUlT_T0_SG_SL_E_clISA_SA_SB_SB_EEDaSZ_S10_SG_SL_EUlSZ_E_NS1_11comp_targetILNS1_3genE3ELNS1_11target_archE908ELNS1_3gpuE7ELNS1_3repE0EEENS1_47radix_sort_onesweep_sort_config_static_selectorELNS0_4arch9wavefront6targetE0EEEvSG_.uses_flat_scratch, 0
	.set _ZN7rocprim17ROCPRIM_400000_NS6detail17trampoline_kernelINS0_14default_configENS1_35radix_sort_onesweep_config_selectorIbNS0_10empty_typeEEEZZNS1_29radix_sort_onesweep_iterationIS3_Lb1EPKbPbPS5_SB_mNS0_19identity_decomposerENS1_16block_id_wrapperIjLb1EEEEE10hipError_tT1_PNSt15iterator_traitsISG_E10value_typeET2_T3_PNSH_ISM_E10value_typeET4_T5_PSR_SS_PNS1_23onesweep_lookback_stateEbbT6_jjT7_P12ihipStream_tbENKUlT_T0_SG_SL_E_clISA_SA_SB_SB_EEDaSZ_S10_SG_SL_EUlSZ_E_NS1_11comp_targetILNS1_3genE3ELNS1_11target_archE908ELNS1_3gpuE7ELNS1_3repE0EEENS1_47radix_sort_onesweep_sort_config_static_selectorELNS0_4arch9wavefront6targetE0EEEvSG_.has_dyn_sized_stack, 0
	.set _ZN7rocprim17ROCPRIM_400000_NS6detail17trampoline_kernelINS0_14default_configENS1_35radix_sort_onesweep_config_selectorIbNS0_10empty_typeEEEZZNS1_29radix_sort_onesweep_iterationIS3_Lb1EPKbPbPS5_SB_mNS0_19identity_decomposerENS1_16block_id_wrapperIjLb1EEEEE10hipError_tT1_PNSt15iterator_traitsISG_E10value_typeET2_T3_PNSH_ISM_E10value_typeET4_T5_PSR_SS_PNS1_23onesweep_lookback_stateEbbT6_jjT7_P12ihipStream_tbENKUlT_T0_SG_SL_E_clISA_SA_SB_SB_EEDaSZ_S10_SG_SL_EUlSZ_E_NS1_11comp_targetILNS1_3genE3ELNS1_11target_archE908ELNS1_3gpuE7ELNS1_3repE0EEENS1_47radix_sort_onesweep_sort_config_static_selectorELNS0_4arch9wavefront6targetE0EEEvSG_.has_recursion, 0
	.set _ZN7rocprim17ROCPRIM_400000_NS6detail17trampoline_kernelINS0_14default_configENS1_35radix_sort_onesweep_config_selectorIbNS0_10empty_typeEEEZZNS1_29radix_sort_onesweep_iterationIS3_Lb1EPKbPbPS5_SB_mNS0_19identity_decomposerENS1_16block_id_wrapperIjLb1EEEEE10hipError_tT1_PNSt15iterator_traitsISG_E10value_typeET2_T3_PNSH_ISM_E10value_typeET4_T5_PSR_SS_PNS1_23onesweep_lookback_stateEbbT6_jjT7_P12ihipStream_tbENKUlT_T0_SG_SL_E_clISA_SA_SB_SB_EEDaSZ_S10_SG_SL_EUlSZ_E_NS1_11comp_targetILNS1_3genE3ELNS1_11target_archE908ELNS1_3gpuE7ELNS1_3repE0EEENS1_47radix_sort_onesweep_sort_config_static_selectorELNS0_4arch9wavefront6targetE0EEEvSG_.has_indirect_call, 0
	.section	.AMDGPU.csdata,"",@progbits
; Kernel info:
; codeLenInByte = 0
; TotalNumSgprs: 0
; NumVgprs: 0
; ScratchSize: 0
; MemoryBound: 0
; FloatMode: 240
; IeeeMode: 1
; LDSByteSize: 0 bytes/workgroup (compile time only)
; SGPRBlocks: 0
; VGPRBlocks: 0
; NumSGPRsForWavesPerEU: 1
; NumVGPRsForWavesPerEU: 1
; NamedBarCnt: 0
; Occupancy: 16
; WaveLimiterHint : 0
; COMPUTE_PGM_RSRC2:SCRATCH_EN: 0
; COMPUTE_PGM_RSRC2:USER_SGPR: 2
; COMPUTE_PGM_RSRC2:TRAP_HANDLER: 0
; COMPUTE_PGM_RSRC2:TGID_X_EN: 1
; COMPUTE_PGM_RSRC2:TGID_Y_EN: 0
; COMPUTE_PGM_RSRC2:TGID_Z_EN: 0
; COMPUTE_PGM_RSRC2:TIDIG_COMP_CNT: 0
	.section	.text._ZN7rocprim17ROCPRIM_400000_NS6detail17trampoline_kernelINS0_14default_configENS1_35radix_sort_onesweep_config_selectorIbNS0_10empty_typeEEEZZNS1_29radix_sort_onesweep_iterationIS3_Lb1EPKbPbPS5_SB_mNS0_19identity_decomposerENS1_16block_id_wrapperIjLb1EEEEE10hipError_tT1_PNSt15iterator_traitsISG_E10value_typeET2_T3_PNSH_ISM_E10value_typeET4_T5_PSR_SS_PNS1_23onesweep_lookback_stateEbbT6_jjT7_P12ihipStream_tbENKUlT_T0_SG_SL_E_clISA_SA_SB_SB_EEDaSZ_S10_SG_SL_EUlSZ_E_NS1_11comp_targetILNS1_3genE10ELNS1_11target_archE1201ELNS1_3gpuE5ELNS1_3repE0EEENS1_47radix_sort_onesweep_sort_config_static_selectorELNS0_4arch9wavefront6targetE0EEEvSG_,"axG",@progbits,_ZN7rocprim17ROCPRIM_400000_NS6detail17trampoline_kernelINS0_14default_configENS1_35radix_sort_onesweep_config_selectorIbNS0_10empty_typeEEEZZNS1_29radix_sort_onesweep_iterationIS3_Lb1EPKbPbPS5_SB_mNS0_19identity_decomposerENS1_16block_id_wrapperIjLb1EEEEE10hipError_tT1_PNSt15iterator_traitsISG_E10value_typeET2_T3_PNSH_ISM_E10value_typeET4_T5_PSR_SS_PNS1_23onesweep_lookback_stateEbbT6_jjT7_P12ihipStream_tbENKUlT_T0_SG_SL_E_clISA_SA_SB_SB_EEDaSZ_S10_SG_SL_EUlSZ_E_NS1_11comp_targetILNS1_3genE10ELNS1_11target_archE1201ELNS1_3gpuE5ELNS1_3repE0EEENS1_47radix_sort_onesweep_sort_config_static_selectorELNS0_4arch9wavefront6targetE0EEEvSG_,comdat
	.protected	_ZN7rocprim17ROCPRIM_400000_NS6detail17trampoline_kernelINS0_14default_configENS1_35radix_sort_onesweep_config_selectorIbNS0_10empty_typeEEEZZNS1_29radix_sort_onesweep_iterationIS3_Lb1EPKbPbPS5_SB_mNS0_19identity_decomposerENS1_16block_id_wrapperIjLb1EEEEE10hipError_tT1_PNSt15iterator_traitsISG_E10value_typeET2_T3_PNSH_ISM_E10value_typeET4_T5_PSR_SS_PNS1_23onesweep_lookback_stateEbbT6_jjT7_P12ihipStream_tbENKUlT_T0_SG_SL_E_clISA_SA_SB_SB_EEDaSZ_S10_SG_SL_EUlSZ_E_NS1_11comp_targetILNS1_3genE10ELNS1_11target_archE1201ELNS1_3gpuE5ELNS1_3repE0EEENS1_47radix_sort_onesweep_sort_config_static_selectorELNS0_4arch9wavefront6targetE0EEEvSG_ ; -- Begin function _ZN7rocprim17ROCPRIM_400000_NS6detail17trampoline_kernelINS0_14default_configENS1_35radix_sort_onesweep_config_selectorIbNS0_10empty_typeEEEZZNS1_29radix_sort_onesweep_iterationIS3_Lb1EPKbPbPS5_SB_mNS0_19identity_decomposerENS1_16block_id_wrapperIjLb1EEEEE10hipError_tT1_PNSt15iterator_traitsISG_E10value_typeET2_T3_PNSH_ISM_E10value_typeET4_T5_PSR_SS_PNS1_23onesweep_lookback_stateEbbT6_jjT7_P12ihipStream_tbENKUlT_T0_SG_SL_E_clISA_SA_SB_SB_EEDaSZ_S10_SG_SL_EUlSZ_E_NS1_11comp_targetILNS1_3genE10ELNS1_11target_archE1201ELNS1_3gpuE5ELNS1_3repE0EEENS1_47radix_sort_onesweep_sort_config_static_selectorELNS0_4arch9wavefront6targetE0EEEvSG_
	.globl	_ZN7rocprim17ROCPRIM_400000_NS6detail17trampoline_kernelINS0_14default_configENS1_35radix_sort_onesweep_config_selectorIbNS0_10empty_typeEEEZZNS1_29radix_sort_onesweep_iterationIS3_Lb1EPKbPbPS5_SB_mNS0_19identity_decomposerENS1_16block_id_wrapperIjLb1EEEEE10hipError_tT1_PNSt15iterator_traitsISG_E10value_typeET2_T3_PNSH_ISM_E10value_typeET4_T5_PSR_SS_PNS1_23onesweep_lookback_stateEbbT6_jjT7_P12ihipStream_tbENKUlT_T0_SG_SL_E_clISA_SA_SB_SB_EEDaSZ_S10_SG_SL_EUlSZ_E_NS1_11comp_targetILNS1_3genE10ELNS1_11target_archE1201ELNS1_3gpuE5ELNS1_3repE0EEENS1_47radix_sort_onesweep_sort_config_static_selectorELNS0_4arch9wavefront6targetE0EEEvSG_
	.p2align	8
	.type	_ZN7rocprim17ROCPRIM_400000_NS6detail17trampoline_kernelINS0_14default_configENS1_35radix_sort_onesweep_config_selectorIbNS0_10empty_typeEEEZZNS1_29radix_sort_onesweep_iterationIS3_Lb1EPKbPbPS5_SB_mNS0_19identity_decomposerENS1_16block_id_wrapperIjLb1EEEEE10hipError_tT1_PNSt15iterator_traitsISG_E10value_typeET2_T3_PNSH_ISM_E10value_typeET4_T5_PSR_SS_PNS1_23onesweep_lookback_stateEbbT6_jjT7_P12ihipStream_tbENKUlT_T0_SG_SL_E_clISA_SA_SB_SB_EEDaSZ_S10_SG_SL_EUlSZ_E_NS1_11comp_targetILNS1_3genE10ELNS1_11target_archE1201ELNS1_3gpuE5ELNS1_3repE0EEENS1_47radix_sort_onesweep_sort_config_static_selectorELNS0_4arch9wavefront6targetE0EEEvSG_,@function
_ZN7rocprim17ROCPRIM_400000_NS6detail17trampoline_kernelINS0_14default_configENS1_35radix_sort_onesweep_config_selectorIbNS0_10empty_typeEEEZZNS1_29radix_sort_onesweep_iterationIS3_Lb1EPKbPbPS5_SB_mNS0_19identity_decomposerENS1_16block_id_wrapperIjLb1EEEEE10hipError_tT1_PNSt15iterator_traitsISG_E10value_typeET2_T3_PNSH_ISM_E10value_typeET4_T5_PSR_SS_PNS1_23onesweep_lookback_stateEbbT6_jjT7_P12ihipStream_tbENKUlT_T0_SG_SL_E_clISA_SA_SB_SB_EEDaSZ_S10_SG_SL_EUlSZ_E_NS1_11comp_targetILNS1_3genE10ELNS1_11target_archE1201ELNS1_3gpuE5ELNS1_3repE0EEENS1_47radix_sort_onesweep_sort_config_static_selectorELNS0_4arch9wavefront6targetE0EEEvSG_: ; @_ZN7rocprim17ROCPRIM_400000_NS6detail17trampoline_kernelINS0_14default_configENS1_35radix_sort_onesweep_config_selectorIbNS0_10empty_typeEEEZZNS1_29radix_sort_onesweep_iterationIS3_Lb1EPKbPbPS5_SB_mNS0_19identity_decomposerENS1_16block_id_wrapperIjLb1EEEEE10hipError_tT1_PNSt15iterator_traitsISG_E10value_typeET2_T3_PNSH_ISM_E10value_typeET4_T5_PSR_SS_PNS1_23onesweep_lookback_stateEbbT6_jjT7_P12ihipStream_tbENKUlT_T0_SG_SL_E_clISA_SA_SB_SB_EEDaSZ_S10_SG_SL_EUlSZ_E_NS1_11comp_targetILNS1_3genE10ELNS1_11target_archE1201ELNS1_3gpuE5ELNS1_3repE0EEENS1_47radix_sort_onesweep_sort_config_static_selectorELNS0_4arch9wavefront6targetE0EEEvSG_
; %bb.0:
	.section	.rodata,"a",@progbits
	.p2align	6, 0x0
	.amdhsa_kernel _ZN7rocprim17ROCPRIM_400000_NS6detail17trampoline_kernelINS0_14default_configENS1_35radix_sort_onesweep_config_selectorIbNS0_10empty_typeEEEZZNS1_29radix_sort_onesweep_iterationIS3_Lb1EPKbPbPS5_SB_mNS0_19identity_decomposerENS1_16block_id_wrapperIjLb1EEEEE10hipError_tT1_PNSt15iterator_traitsISG_E10value_typeET2_T3_PNSH_ISM_E10value_typeET4_T5_PSR_SS_PNS1_23onesweep_lookback_stateEbbT6_jjT7_P12ihipStream_tbENKUlT_T0_SG_SL_E_clISA_SA_SB_SB_EEDaSZ_S10_SG_SL_EUlSZ_E_NS1_11comp_targetILNS1_3genE10ELNS1_11target_archE1201ELNS1_3gpuE5ELNS1_3repE0EEENS1_47radix_sort_onesweep_sort_config_static_selectorELNS0_4arch9wavefront6targetE0EEEvSG_
		.amdhsa_group_segment_fixed_size 0
		.amdhsa_private_segment_fixed_size 0
		.amdhsa_kernarg_size 88
		.amdhsa_user_sgpr_count 2
		.amdhsa_user_sgpr_dispatch_ptr 0
		.amdhsa_user_sgpr_queue_ptr 0
		.amdhsa_user_sgpr_kernarg_segment_ptr 1
		.amdhsa_user_sgpr_dispatch_id 0
		.amdhsa_user_sgpr_kernarg_preload_length 0
		.amdhsa_user_sgpr_kernarg_preload_offset 0
		.amdhsa_user_sgpr_private_segment_size 0
		.amdhsa_wavefront_size32 1
		.amdhsa_uses_dynamic_stack 0
		.amdhsa_enable_private_segment 0
		.amdhsa_system_sgpr_workgroup_id_x 1
		.amdhsa_system_sgpr_workgroup_id_y 0
		.amdhsa_system_sgpr_workgroup_id_z 0
		.amdhsa_system_sgpr_workgroup_info 0
		.amdhsa_system_vgpr_workitem_id 0
		.amdhsa_next_free_vgpr 1
		.amdhsa_next_free_sgpr 1
		.amdhsa_named_barrier_count 0
		.amdhsa_reserve_vcc 0
		.amdhsa_float_round_mode_32 0
		.amdhsa_float_round_mode_16_64 0
		.amdhsa_float_denorm_mode_32 3
		.amdhsa_float_denorm_mode_16_64 3
		.amdhsa_fp16_overflow 0
		.amdhsa_memory_ordered 1
		.amdhsa_forward_progress 1
		.amdhsa_inst_pref_size 0
		.amdhsa_round_robin_scheduling 0
		.amdhsa_exception_fp_ieee_invalid_op 0
		.amdhsa_exception_fp_denorm_src 0
		.amdhsa_exception_fp_ieee_div_zero 0
		.amdhsa_exception_fp_ieee_overflow 0
		.amdhsa_exception_fp_ieee_underflow 0
		.amdhsa_exception_fp_ieee_inexact 0
		.amdhsa_exception_int_div_zero 0
	.end_amdhsa_kernel
	.section	.text._ZN7rocprim17ROCPRIM_400000_NS6detail17trampoline_kernelINS0_14default_configENS1_35radix_sort_onesweep_config_selectorIbNS0_10empty_typeEEEZZNS1_29radix_sort_onesweep_iterationIS3_Lb1EPKbPbPS5_SB_mNS0_19identity_decomposerENS1_16block_id_wrapperIjLb1EEEEE10hipError_tT1_PNSt15iterator_traitsISG_E10value_typeET2_T3_PNSH_ISM_E10value_typeET4_T5_PSR_SS_PNS1_23onesweep_lookback_stateEbbT6_jjT7_P12ihipStream_tbENKUlT_T0_SG_SL_E_clISA_SA_SB_SB_EEDaSZ_S10_SG_SL_EUlSZ_E_NS1_11comp_targetILNS1_3genE10ELNS1_11target_archE1201ELNS1_3gpuE5ELNS1_3repE0EEENS1_47radix_sort_onesweep_sort_config_static_selectorELNS0_4arch9wavefront6targetE0EEEvSG_,"axG",@progbits,_ZN7rocprim17ROCPRIM_400000_NS6detail17trampoline_kernelINS0_14default_configENS1_35radix_sort_onesweep_config_selectorIbNS0_10empty_typeEEEZZNS1_29radix_sort_onesweep_iterationIS3_Lb1EPKbPbPS5_SB_mNS0_19identity_decomposerENS1_16block_id_wrapperIjLb1EEEEE10hipError_tT1_PNSt15iterator_traitsISG_E10value_typeET2_T3_PNSH_ISM_E10value_typeET4_T5_PSR_SS_PNS1_23onesweep_lookback_stateEbbT6_jjT7_P12ihipStream_tbENKUlT_T0_SG_SL_E_clISA_SA_SB_SB_EEDaSZ_S10_SG_SL_EUlSZ_E_NS1_11comp_targetILNS1_3genE10ELNS1_11target_archE1201ELNS1_3gpuE5ELNS1_3repE0EEENS1_47radix_sort_onesweep_sort_config_static_selectorELNS0_4arch9wavefront6targetE0EEEvSG_,comdat
.Lfunc_end1756:
	.size	_ZN7rocprim17ROCPRIM_400000_NS6detail17trampoline_kernelINS0_14default_configENS1_35radix_sort_onesweep_config_selectorIbNS0_10empty_typeEEEZZNS1_29radix_sort_onesweep_iterationIS3_Lb1EPKbPbPS5_SB_mNS0_19identity_decomposerENS1_16block_id_wrapperIjLb1EEEEE10hipError_tT1_PNSt15iterator_traitsISG_E10value_typeET2_T3_PNSH_ISM_E10value_typeET4_T5_PSR_SS_PNS1_23onesweep_lookback_stateEbbT6_jjT7_P12ihipStream_tbENKUlT_T0_SG_SL_E_clISA_SA_SB_SB_EEDaSZ_S10_SG_SL_EUlSZ_E_NS1_11comp_targetILNS1_3genE10ELNS1_11target_archE1201ELNS1_3gpuE5ELNS1_3repE0EEENS1_47radix_sort_onesweep_sort_config_static_selectorELNS0_4arch9wavefront6targetE0EEEvSG_, .Lfunc_end1756-_ZN7rocprim17ROCPRIM_400000_NS6detail17trampoline_kernelINS0_14default_configENS1_35radix_sort_onesweep_config_selectorIbNS0_10empty_typeEEEZZNS1_29radix_sort_onesweep_iterationIS3_Lb1EPKbPbPS5_SB_mNS0_19identity_decomposerENS1_16block_id_wrapperIjLb1EEEEE10hipError_tT1_PNSt15iterator_traitsISG_E10value_typeET2_T3_PNSH_ISM_E10value_typeET4_T5_PSR_SS_PNS1_23onesweep_lookback_stateEbbT6_jjT7_P12ihipStream_tbENKUlT_T0_SG_SL_E_clISA_SA_SB_SB_EEDaSZ_S10_SG_SL_EUlSZ_E_NS1_11comp_targetILNS1_3genE10ELNS1_11target_archE1201ELNS1_3gpuE5ELNS1_3repE0EEENS1_47radix_sort_onesweep_sort_config_static_selectorELNS0_4arch9wavefront6targetE0EEEvSG_
                                        ; -- End function
	.set _ZN7rocprim17ROCPRIM_400000_NS6detail17trampoline_kernelINS0_14default_configENS1_35radix_sort_onesweep_config_selectorIbNS0_10empty_typeEEEZZNS1_29radix_sort_onesweep_iterationIS3_Lb1EPKbPbPS5_SB_mNS0_19identity_decomposerENS1_16block_id_wrapperIjLb1EEEEE10hipError_tT1_PNSt15iterator_traitsISG_E10value_typeET2_T3_PNSH_ISM_E10value_typeET4_T5_PSR_SS_PNS1_23onesweep_lookback_stateEbbT6_jjT7_P12ihipStream_tbENKUlT_T0_SG_SL_E_clISA_SA_SB_SB_EEDaSZ_S10_SG_SL_EUlSZ_E_NS1_11comp_targetILNS1_3genE10ELNS1_11target_archE1201ELNS1_3gpuE5ELNS1_3repE0EEENS1_47radix_sort_onesweep_sort_config_static_selectorELNS0_4arch9wavefront6targetE0EEEvSG_.num_vgpr, 0
	.set _ZN7rocprim17ROCPRIM_400000_NS6detail17trampoline_kernelINS0_14default_configENS1_35radix_sort_onesweep_config_selectorIbNS0_10empty_typeEEEZZNS1_29radix_sort_onesweep_iterationIS3_Lb1EPKbPbPS5_SB_mNS0_19identity_decomposerENS1_16block_id_wrapperIjLb1EEEEE10hipError_tT1_PNSt15iterator_traitsISG_E10value_typeET2_T3_PNSH_ISM_E10value_typeET4_T5_PSR_SS_PNS1_23onesweep_lookback_stateEbbT6_jjT7_P12ihipStream_tbENKUlT_T0_SG_SL_E_clISA_SA_SB_SB_EEDaSZ_S10_SG_SL_EUlSZ_E_NS1_11comp_targetILNS1_3genE10ELNS1_11target_archE1201ELNS1_3gpuE5ELNS1_3repE0EEENS1_47radix_sort_onesweep_sort_config_static_selectorELNS0_4arch9wavefront6targetE0EEEvSG_.num_agpr, 0
	.set _ZN7rocprim17ROCPRIM_400000_NS6detail17trampoline_kernelINS0_14default_configENS1_35radix_sort_onesweep_config_selectorIbNS0_10empty_typeEEEZZNS1_29radix_sort_onesweep_iterationIS3_Lb1EPKbPbPS5_SB_mNS0_19identity_decomposerENS1_16block_id_wrapperIjLb1EEEEE10hipError_tT1_PNSt15iterator_traitsISG_E10value_typeET2_T3_PNSH_ISM_E10value_typeET4_T5_PSR_SS_PNS1_23onesweep_lookback_stateEbbT6_jjT7_P12ihipStream_tbENKUlT_T0_SG_SL_E_clISA_SA_SB_SB_EEDaSZ_S10_SG_SL_EUlSZ_E_NS1_11comp_targetILNS1_3genE10ELNS1_11target_archE1201ELNS1_3gpuE5ELNS1_3repE0EEENS1_47radix_sort_onesweep_sort_config_static_selectorELNS0_4arch9wavefront6targetE0EEEvSG_.numbered_sgpr, 0
	.set _ZN7rocprim17ROCPRIM_400000_NS6detail17trampoline_kernelINS0_14default_configENS1_35radix_sort_onesweep_config_selectorIbNS0_10empty_typeEEEZZNS1_29radix_sort_onesweep_iterationIS3_Lb1EPKbPbPS5_SB_mNS0_19identity_decomposerENS1_16block_id_wrapperIjLb1EEEEE10hipError_tT1_PNSt15iterator_traitsISG_E10value_typeET2_T3_PNSH_ISM_E10value_typeET4_T5_PSR_SS_PNS1_23onesweep_lookback_stateEbbT6_jjT7_P12ihipStream_tbENKUlT_T0_SG_SL_E_clISA_SA_SB_SB_EEDaSZ_S10_SG_SL_EUlSZ_E_NS1_11comp_targetILNS1_3genE10ELNS1_11target_archE1201ELNS1_3gpuE5ELNS1_3repE0EEENS1_47radix_sort_onesweep_sort_config_static_selectorELNS0_4arch9wavefront6targetE0EEEvSG_.num_named_barrier, 0
	.set _ZN7rocprim17ROCPRIM_400000_NS6detail17trampoline_kernelINS0_14default_configENS1_35radix_sort_onesweep_config_selectorIbNS0_10empty_typeEEEZZNS1_29radix_sort_onesweep_iterationIS3_Lb1EPKbPbPS5_SB_mNS0_19identity_decomposerENS1_16block_id_wrapperIjLb1EEEEE10hipError_tT1_PNSt15iterator_traitsISG_E10value_typeET2_T3_PNSH_ISM_E10value_typeET4_T5_PSR_SS_PNS1_23onesweep_lookback_stateEbbT6_jjT7_P12ihipStream_tbENKUlT_T0_SG_SL_E_clISA_SA_SB_SB_EEDaSZ_S10_SG_SL_EUlSZ_E_NS1_11comp_targetILNS1_3genE10ELNS1_11target_archE1201ELNS1_3gpuE5ELNS1_3repE0EEENS1_47radix_sort_onesweep_sort_config_static_selectorELNS0_4arch9wavefront6targetE0EEEvSG_.private_seg_size, 0
	.set _ZN7rocprim17ROCPRIM_400000_NS6detail17trampoline_kernelINS0_14default_configENS1_35radix_sort_onesweep_config_selectorIbNS0_10empty_typeEEEZZNS1_29radix_sort_onesweep_iterationIS3_Lb1EPKbPbPS5_SB_mNS0_19identity_decomposerENS1_16block_id_wrapperIjLb1EEEEE10hipError_tT1_PNSt15iterator_traitsISG_E10value_typeET2_T3_PNSH_ISM_E10value_typeET4_T5_PSR_SS_PNS1_23onesweep_lookback_stateEbbT6_jjT7_P12ihipStream_tbENKUlT_T0_SG_SL_E_clISA_SA_SB_SB_EEDaSZ_S10_SG_SL_EUlSZ_E_NS1_11comp_targetILNS1_3genE10ELNS1_11target_archE1201ELNS1_3gpuE5ELNS1_3repE0EEENS1_47radix_sort_onesweep_sort_config_static_selectorELNS0_4arch9wavefront6targetE0EEEvSG_.uses_vcc, 0
	.set _ZN7rocprim17ROCPRIM_400000_NS6detail17trampoline_kernelINS0_14default_configENS1_35radix_sort_onesweep_config_selectorIbNS0_10empty_typeEEEZZNS1_29radix_sort_onesweep_iterationIS3_Lb1EPKbPbPS5_SB_mNS0_19identity_decomposerENS1_16block_id_wrapperIjLb1EEEEE10hipError_tT1_PNSt15iterator_traitsISG_E10value_typeET2_T3_PNSH_ISM_E10value_typeET4_T5_PSR_SS_PNS1_23onesweep_lookback_stateEbbT6_jjT7_P12ihipStream_tbENKUlT_T0_SG_SL_E_clISA_SA_SB_SB_EEDaSZ_S10_SG_SL_EUlSZ_E_NS1_11comp_targetILNS1_3genE10ELNS1_11target_archE1201ELNS1_3gpuE5ELNS1_3repE0EEENS1_47radix_sort_onesweep_sort_config_static_selectorELNS0_4arch9wavefront6targetE0EEEvSG_.uses_flat_scratch, 0
	.set _ZN7rocprim17ROCPRIM_400000_NS6detail17trampoline_kernelINS0_14default_configENS1_35radix_sort_onesweep_config_selectorIbNS0_10empty_typeEEEZZNS1_29radix_sort_onesweep_iterationIS3_Lb1EPKbPbPS5_SB_mNS0_19identity_decomposerENS1_16block_id_wrapperIjLb1EEEEE10hipError_tT1_PNSt15iterator_traitsISG_E10value_typeET2_T3_PNSH_ISM_E10value_typeET4_T5_PSR_SS_PNS1_23onesweep_lookback_stateEbbT6_jjT7_P12ihipStream_tbENKUlT_T0_SG_SL_E_clISA_SA_SB_SB_EEDaSZ_S10_SG_SL_EUlSZ_E_NS1_11comp_targetILNS1_3genE10ELNS1_11target_archE1201ELNS1_3gpuE5ELNS1_3repE0EEENS1_47radix_sort_onesweep_sort_config_static_selectorELNS0_4arch9wavefront6targetE0EEEvSG_.has_dyn_sized_stack, 0
	.set _ZN7rocprim17ROCPRIM_400000_NS6detail17trampoline_kernelINS0_14default_configENS1_35radix_sort_onesweep_config_selectorIbNS0_10empty_typeEEEZZNS1_29radix_sort_onesweep_iterationIS3_Lb1EPKbPbPS5_SB_mNS0_19identity_decomposerENS1_16block_id_wrapperIjLb1EEEEE10hipError_tT1_PNSt15iterator_traitsISG_E10value_typeET2_T3_PNSH_ISM_E10value_typeET4_T5_PSR_SS_PNS1_23onesweep_lookback_stateEbbT6_jjT7_P12ihipStream_tbENKUlT_T0_SG_SL_E_clISA_SA_SB_SB_EEDaSZ_S10_SG_SL_EUlSZ_E_NS1_11comp_targetILNS1_3genE10ELNS1_11target_archE1201ELNS1_3gpuE5ELNS1_3repE0EEENS1_47radix_sort_onesweep_sort_config_static_selectorELNS0_4arch9wavefront6targetE0EEEvSG_.has_recursion, 0
	.set _ZN7rocprim17ROCPRIM_400000_NS6detail17trampoline_kernelINS0_14default_configENS1_35radix_sort_onesweep_config_selectorIbNS0_10empty_typeEEEZZNS1_29radix_sort_onesweep_iterationIS3_Lb1EPKbPbPS5_SB_mNS0_19identity_decomposerENS1_16block_id_wrapperIjLb1EEEEE10hipError_tT1_PNSt15iterator_traitsISG_E10value_typeET2_T3_PNSH_ISM_E10value_typeET4_T5_PSR_SS_PNS1_23onesweep_lookback_stateEbbT6_jjT7_P12ihipStream_tbENKUlT_T0_SG_SL_E_clISA_SA_SB_SB_EEDaSZ_S10_SG_SL_EUlSZ_E_NS1_11comp_targetILNS1_3genE10ELNS1_11target_archE1201ELNS1_3gpuE5ELNS1_3repE0EEENS1_47radix_sort_onesweep_sort_config_static_selectorELNS0_4arch9wavefront6targetE0EEEvSG_.has_indirect_call, 0
	.section	.AMDGPU.csdata,"",@progbits
; Kernel info:
; codeLenInByte = 0
; TotalNumSgprs: 0
; NumVgprs: 0
; ScratchSize: 0
; MemoryBound: 0
; FloatMode: 240
; IeeeMode: 1
; LDSByteSize: 0 bytes/workgroup (compile time only)
; SGPRBlocks: 0
; VGPRBlocks: 0
; NumSGPRsForWavesPerEU: 1
; NumVGPRsForWavesPerEU: 1
; NamedBarCnt: 0
; Occupancy: 16
; WaveLimiterHint : 0
; COMPUTE_PGM_RSRC2:SCRATCH_EN: 0
; COMPUTE_PGM_RSRC2:USER_SGPR: 2
; COMPUTE_PGM_RSRC2:TRAP_HANDLER: 0
; COMPUTE_PGM_RSRC2:TGID_X_EN: 1
; COMPUTE_PGM_RSRC2:TGID_Y_EN: 0
; COMPUTE_PGM_RSRC2:TGID_Z_EN: 0
; COMPUTE_PGM_RSRC2:TIDIG_COMP_CNT: 0
	.section	.text._ZN7rocprim17ROCPRIM_400000_NS6detail17trampoline_kernelINS0_14default_configENS1_35radix_sort_onesweep_config_selectorIbNS0_10empty_typeEEEZZNS1_29radix_sort_onesweep_iterationIS3_Lb1EPKbPbPS5_SB_mNS0_19identity_decomposerENS1_16block_id_wrapperIjLb1EEEEE10hipError_tT1_PNSt15iterator_traitsISG_E10value_typeET2_T3_PNSH_ISM_E10value_typeET4_T5_PSR_SS_PNS1_23onesweep_lookback_stateEbbT6_jjT7_P12ihipStream_tbENKUlT_T0_SG_SL_E_clISA_SA_SB_SB_EEDaSZ_S10_SG_SL_EUlSZ_E_NS1_11comp_targetILNS1_3genE9ELNS1_11target_archE1100ELNS1_3gpuE3ELNS1_3repE0EEENS1_47radix_sort_onesweep_sort_config_static_selectorELNS0_4arch9wavefront6targetE0EEEvSG_,"axG",@progbits,_ZN7rocprim17ROCPRIM_400000_NS6detail17trampoline_kernelINS0_14default_configENS1_35radix_sort_onesweep_config_selectorIbNS0_10empty_typeEEEZZNS1_29radix_sort_onesweep_iterationIS3_Lb1EPKbPbPS5_SB_mNS0_19identity_decomposerENS1_16block_id_wrapperIjLb1EEEEE10hipError_tT1_PNSt15iterator_traitsISG_E10value_typeET2_T3_PNSH_ISM_E10value_typeET4_T5_PSR_SS_PNS1_23onesweep_lookback_stateEbbT6_jjT7_P12ihipStream_tbENKUlT_T0_SG_SL_E_clISA_SA_SB_SB_EEDaSZ_S10_SG_SL_EUlSZ_E_NS1_11comp_targetILNS1_3genE9ELNS1_11target_archE1100ELNS1_3gpuE3ELNS1_3repE0EEENS1_47radix_sort_onesweep_sort_config_static_selectorELNS0_4arch9wavefront6targetE0EEEvSG_,comdat
	.protected	_ZN7rocprim17ROCPRIM_400000_NS6detail17trampoline_kernelINS0_14default_configENS1_35radix_sort_onesweep_config_selectorIbNS0_10empty_typeEEEZZNS1_29radix_sort_onesweep_iterationIS3_Lb1EPKbPbPS5_SB_mNS0_19identity_decomposerENS1_16block_id_wrapperIjLb1EEEEE10hipError_tT1_PNSt15iterator_traitsISG_E10value_typeET2_T3_PNSH_ISM_E10value_typeET4_T5_PSR_SS_PNS1_23onesweep_lookback_stateEbbT6_jjT7_P12ihipStream_tbENKUlT_T0_SG_SL_E_clISA_SA_SB_SB_EEDaSZ_S10_SG_SL_EUlSZ_E_NS1_11comp_targetILNS1_3genE9ELNS1_11target_archE1100ELNS1_3gpuE3ELNS1_3repE0EEENS1_47radix_sort_onesweep_sort_config_static_selectorELNS0_4arch9wavefront6targetE0EEEvSG_ ; -- Begin function _ZN7rocprim17ROCPRIM_400000_NS6detail17trampoline_kernelINS0_14default_configENS1_35radix_sort_onesweep_config_selectorIbNS0_10empty_typeEEEZZNS1_29radix_sort_onesweep_iterationIS3_Lb1EPKbPbPS5_SB_mNS0_19identity_decomposerENS1_16block_id_wrapperIjLb1EEEEE10hipError_tT1_PNSt15iterator_traitsISG_E10value_typeET2_T3_PNSH_ISM_E10value_typeET4_T5_PSR_SS_PNS1_23onesweep_lookback_stateEbbT6_jjT7_P12ihipStream_tbENKUlT_T0_SG_SL_E_clISA_SA_SB_SB_EEDaSZ_S10_SG_SL_EUlSZ_E_NS1_11comp_targetILNS1_3genE9ELNS1_11target_archE1100ELNS1_3gpuE3ELNS1_3repE0EEENS1_47radix_sort_onesweep_sort_config_static_selectorELNS0_4arch9wavefront6targetE0EEEvSG_
	.globl	_ZN7rocprim17ROCPRIM_400000_NS6detail17trampoline_kernelINS0_14default_configENS1_35radix_sort_onesweep_config_selectorIbNS0_10empty_typeEEEZZNS1_29radix_sort_onesweep_iterationIS3_Lb1EPKbPbPS5_SB_mNS0_19identity_decomposerENS1_16block_id_wrapperIjLb1EEEEE10hipError_tT1_PNSt15iterator_traitsISG_E10value_typeET2_T3_PNSH_ISM_E10value_typeET4_T5_PSR_SS_PNS1_23onesweep_lookback_stateEbbT6_jjT7_P12ihipStream_tbENKUlT_T0_SG_SL_E_clISA_SA_SB_SB_EEDaSZ_S10_SG_SL_EUlSZ_E_NS1_11comp_targetILNS1_3genE9ELNS1_11target_archE1100ELNS1_3gpuE3ELNS1_3repE0EEENS1_47radix_sort_onesweep_sort_config_static_selectorELNS0_4arch9wavefront6targetE0EEEvSG_
	.p2align	8
	.type	_ZN7rocprim17ROCPRIM_400000_NS6detail17trampoline_kernelINS0_14default_configENS1_35radix_sort_onesweep_config_selectorIbNS0_10empty_typeEEEZZNS1_29radix_sort_onesweep_iterationIS3_Lb1EPKbPbPS5_SB_mNS0_19identity_decomposerENS1_16block_id_wrapperIjLb1EEEEE10hipError_tT1_PNSt15iterator_traitsISG_E10value_typeET2_T3_PNSH_ISM_E10value_typeET4_T5_PSR_SS_PNS1_23onesweep_lookback_stateEbbT6_jjT7_P12ihipStream_tbENKUlT_T0_SG_SL_E_clISA_SA_SB_SB_EEDaSZ_S10_SG_SL_EUlSZ_E_NS1_11comp_targetILNS1_3genE9ELNS1_11target_archE1100ELNS1_3gpuE3ELNS1_3repE0EEENS1_47radix_sort_onesweep_sort_config_static_selectorELNS0_4arch9wavefront6targetE0EEEvSG_,@function
_ZN7rocprim17ROCPRIM_400000_NS6detail17trampoline_kernelINS0_14default_configENS1_35radix_sort_onesweep_config_selectorIbNS0_10empty_typeEEEZZNS1_29radix_sort_onesweep_iterationIS3_Lb1EPKbPbPS5_SB_mNS0_19identity_decomposerENS1_16block_id_wrapperIjLb1EEEEE10hipError_tT1_PNSt15iterator_traitsISG_E10value_typeET2_T3_PNSH_ISM_E10value_typeET4_T5_PSR_SS_PNS1_23onesweep_lookback_stateEbbT6_jjT7_P12ihipStream_tbENKUlT_T0_SG_SL_E_clISA_SA_SB_SB_EEDaSZ_S10_SG_SL_EUlSZ_E_NS1_11comp_targetILNS1_3genE9ELNS1_11target_archE1100ELNS1_3gpuE3ELNS1_3repE0EEENS1_47radix_sort_onesweep_sort_config_static_selectorELNS0_4arch9wavefront6targetE0EEEvSG_: ; @_ZN7rocprim17ROCPRIM_400000_NS6detail17trampoline_kernelINS0_14default_configENS1_35radix_sort_onesweep_config_selectorIbNS0_10empty_typeEEEZZNS1_29radix_sort_onesweep_iterationIS3_Lb1EPKbPbPS5_SB_mNS0_19identity_decomposerENS1_16block_id_wrapperIjLb1EEEEE10hipError_tT1_PNSt15iterator_traitsISG_E10value_typeET2_T3_PNSH_ISM_E10value_typeET4_T5_PSR_SS_PNS1_23onesweep_lookback_stateEbbT6_jjT7_P12ihipStream_tbENKUlT_T0_SG_SL_E_clISA_SA_SB_SB_EEDaSZ_S10_SG_SL_EUlSZ_E_NS1_11comp_targetILNS1_3genE9ELNS1_11target_archE1100ELNS1_3gpuE3ELNS1_3repE0EEENS1_47radix_sort_onesweep_sort_config_static_selectorELNS0_4arch9wavefront6targetE0EEEvSG_
; %bb.0:
	.section	.rodata,"a",@progbits
	.p2align	6, 0x0
	.amdhsa_kernel _ZN7rocprim17ROCPRIM_400000_NS6detail17trampoline_kernelINS0_14default_configENS1_35radix_sort_onesweep_config_selectorIbNS0_10empty_typeEEEZZNS1_29radix_sort_onesweep_iterationIS3_Lb1EPKbPbPS5_SB_mNS0_19identity_decomposerENS1_16block_id_wrapperIjLb1EEEEE10hipError_tT1_PNSt15iterator_traitsISG_E10value_typeET2_T3_PNSH_ISM_E10value_typeET4_T5_PSR_SS_PNS1_23onesweep_lookback_stateEbbT6_jjT7_P12ihipStream_tbENKUlT_T0_SG_SL_E_clISA_SA_SB_SB_EEDaSZ_S10_SG_SL_EUlSZ_E_NS1_11comp_targetILNS1_3genE9ELNS1_11target_archE1100ELNS1_3gpuE3ELNS1_3repE0EEENS1_47radix_sort_onesweep_sort_config_static_selectorELNS0_4arch9wavefront6targetE0EEEvSG_
		.amdhsa_group_segment_fixed_size 0
		.amdhsa_private_segment_fixed_size 0
		.amdhsa_kernarg_size 88
		.amdhsa_user_sgpr_count 2
		.amdhsa_user_sgpr_dispatch_ptr 0
		.amdhsa_user_sgpr_queue_ptr 0
		.amdhsa_user_sgpr_kernarg_segment_ptr 1
		.amdhsa_user_sgpr_dispatch_id 0
		.amdhsa_user_sgpr_kernarg_preload_length 0
		.amdhsa_user_sgpr_kernarg_preload_offset 0
		.amdhsa_user_sgpr_private_segment_size 0
		.amdhsa_wavefront_size32 1
		.amdhsa_uses_dynamic_stack 0
		.amdhsa_enable_private_segment 0
		.amdhsa_system_sgpr_workgroup_id_x 1
		.amdhsa_system_sgpr_workgroup_id_y 0
		.amdhsa_system_sgpr_workgroup_id_z 0
		.amdhsa_system_sgpr_workgroup_info 0
		.amdhsa_system_vgpr_workitem_id 0
		.amdhsa_next_free_vgpr 1
		.amdhsa_next_free_sgpr 1
		.amdhsa_named_barrier_count 0
		.amdhsa_reserve_vcc 0
		.amdhsa_float_round_mode_32 0
		.amdhsa_float_round_mode_16_64 0
		.amdhsa_float_denorm_mode_32 3
		.amdhsa_float_denorm_mode_16_64 3
		.amdhsa_fp16_overflow 0
		.amdhsa_memory_ordered 1
		.amdhsa_forward_progress 1
		.amdhsa_inst_pref_size 0
		.amdhsa_round_robin_scheduling 0
		.amdhsa_exception_fp_ieee_invalid_op 0
		.amdhsa_exception_fp_denorm_src 0
		.amdhsa_exception_fp_ieee_div_zero 0
		.amdhsa_exception_fp_ieee_overflow 0
		.amdhsa_exception_fp_ieee_underflow 0
		.amdhsa_exception_fp_ieee_inexact 0
		.amdhsa_exception_int_div_zero 0
	.end_amdhsa_kernel
	.section	.text._ZN7rocprim17ROCPRIM_400000_NS6detail17trampoline_kernelINS0_14default_configENS1_35radix_sort_onesweep_config_selectorIbNS0_10empty_typeEEEZZNS1_29radix_sort_onesweep_iterationIS3_Lb1EPKbPbPS5_SB_mNS0_19identity_decomposerENS1_16block_id_wrapperIjLb1EEEEE10hipError_tT1_PNSt15iterator_traitsISG_E10value_typeET2_T3_PNSH_ISM_E10value_typeET4_T5_PSR_SS_PNS1_23onesweep_lookback_stateEbbT6_jjT7_P12ihipStream_tbENKUlT_T0_SG_SL_E_clISA_SA_SB_SB_EEDaSZ_S10_SG_SL_EUlSZ_E_NS1_11comp_targetILNS1_3genE9ELNS1_11target_archE1100ELNS1_3gpuE3ELNS1_3repE0EEENS1_47radix_sort_onesweep_sort_config_static_selectorELNS0_4arch9wavefront6targetE0EEEvSG_,"axG",@progbits,_ZN7rocprim17ROCPRIM_400000_NS6detail17trampoline_kernelINS0_14default_configENS1_35radix_sort_onesweep_config_selectorIbNS0_10empty_typeEEEZZNS1_29radix_sort_onesweep_iterationIS3_Lb1EPKbPbPS5_SB_mNS0_19identity_decomposerENS1_16block_id_wrapperIjLb1EEEEE10hipError_tT1_PNSt15iterator_traitsISG_E10value_typeET2_T3_PNSH_ISM_E10value_typeET4_T5_PSR_SS_PNS1_23onesweep_lookback_stateEbbT6_jjT7_P12ihipStream_tbENKUlT_T0_SG_SL_E_clISA_SA_SB_SB_EEDaSZ_S10_SG_SL_EUlSZ_E_NS1_11comp_targetILNS1_3genE9ELNS1_11target_archE1100ELNS1_3gpuE3ELNS1_3repE0EEENS1_47radix_sort_onesweep_sort_config_static_selectorELNS0_4arch9wavefront6targetE0EEEvSG_,comdat
.Lfunc_end1757:
	.size	_ZN7rocprim17ROCPRIM_400000_NS6detail17trampoline_kernelINS0_14default_configENS1_35radix_sort_onesweep_config_selectorIbNS0_10empty_typeEEEZZNS1_29radix_sort_onesweep_iterationIS3_Lb1EPKbPbPS5_SB_mNS0_19identity_decomposerENS1_16block_id_wrapperIjLb1EEEEE10hipError_tT1_PNSt15iterator_traitsISG_E10value_typeET2_T3_PNSH_ISM_E10value_typeET4_T5_PSR_SS_PNS1_23onesweep_lookback_stateEbbT6_jjT7_P12ihipStream_tbENKUlT_T0_SG_SL_E_clISA_SA_SB_SB_EEDaSZ_S10_SG_SL_EUlSZ_E_NS1_11comp_targetILNS1_3genE9ELNS1_11target_archE1100ELNS1_3gpuE3ELNS1_3repE0EEENS1_47radix_sort_onesweep_sort_config_static_selectorELNS0_4arch9wavefront6targetE0EEEvSG_, .Lfunc_end1757-_ZN7rocprim17ROCPRIM_400000_NS6detail17trampoline_kernelINS0_14default_configENS1_35radix_sort_onesweep_config_selectorIbNS0_10empty_typeEEEZZNS1_29radix_sort_onesweep_iterationIS3_Lb1EPKbPbPS5_SB_mNS0_19identity_decomposerENS1_16block_id_wrapperIjLb1EEEEE10hipError_tT1_PNSt15iterator_traitsISG_E10value_typeET2_T3_PNSH_ISM_E10value_typeET4_T5_PSR_SS_PNS1_23onesweep_lookback_stateEbbT6_jjT7_P12ihipStream_tbENKUlT_T0_SG_SL_E_clISA_SA_SB_SB_EEDaSZ_S10_SG_SL_EUlSZ_E_NS1_11comp_targetILNS1_3genE9ELNS1_11target_archE1100ELNS1_3gpuE3ELNS1_3repE0EEENS1_47radix_sort_onesweep_sort_config_static_selectorELNS0_4arch9wavefront6targetE0EEEvSG_
                                        ; -- End function
	.set _ZN7rocprim17ROCPRIM_400000_NS6detail17trampoline_kernelINS0_14default_configENS1_35radix_sort_onesweep_config_selectorIbNS0_10empty_typeEEEZZNS1_29radix_sort_onesweep_iterationIS3_Lb1EPKbPbPS5_SB_mNS0_19identity_decomposerENS1_16block_id_wrapperIjLb1EEEEE10hipError_tT1_PNSt15iterator_traitsISG_E10value_typeET2_T3_PNSH_ISM_E10value_typeET4_T5_PSR_SS_PNS1_23onesweep_lookback_stateEbbT6_jjT7_P12ihipStream_tbENKUlT_T0_SG_SL_E_clISA_SA_SB_SB_EEDaSZ_S10_SG_SL_EUlSZ_E_NS1_11comp_targetILNS1_3genE9ELNS1_11target_archE1100ELNS1_3gpuE3ELNS1_3repE0EEENS1_47radix_sort_onesweep_sort_config_static_selectorELNS0_4arch9wavefront6targetE0EEEvSG_.num_vgpr, 0
	.set _ZN7rocprim17ROCPRIM_400000_NS6detail17trampoline_kernelINS0_14default_configENS1_35radix_sort_onesweep_config_selectorIbNS0_10empty_typeEEEZZNS1_29radix_sort_onesweep_iterationIS3_Lb1EPKbPbPS5_SB_mNS0_19identity_decomposerENS1_16block_id_wrapperIjLb1EEEEE10hipError_tT1_PNSt15iterator_traitsISG_E10value_typeET2_T3_PNSH_ISM_E10value_typeET4_T5_PSR_SS_PNS1_23onesweep_lookback_stateEbbT6_jjT7_P12ihipStream_tbENKUlT_T0_SG_SL_E_clISA_SA_SB_SB_EEDaSZ_S10_SG_SL_EUlSZ_E_NS1_11comp_targetILNS1_3genE9ELNS1_11target_archE1100ELNS1_3gpuE3ELNS1_3repE0EEENS1_47radix_sort_onesweep_sort_config_static_selectorELNS0_4arch9wavefront6targetE0EEEvSG_.num_agpr, 0
	.set _ZN7rocprim17ROCPRIM_400000_NS6detail17trampoline_kernelINS0_14default_configENS1_35radix_sort_onesweep_config_selectorIbNS0_10empty_typeEEEZZNS1_29radix_sort_onesweep_iterationIS3_Lb1EPKbPbPS5_SB_mNS0_19identity_decomposerENS1_16block_id_wrapperIjLb1EEEEE10hipError_tT1_PNSt15iterator_traitsISG_E10value_typeET2_T3_PNSH_ISM_E10value_typeET4_T5_PSR_SS_PNS1_23onesweep_lookback_stateEbbT6_jjT7_P12ihipStream_tbENKUlT_T0_SG_SL_E_clISA_SA_SB_SB_EEDaSZ_S10_SG_SL_EUlSZ_E_NS1_11comp_targetILNS1_3genE9ELNS1_11target_archE1100ELNS1_3gpuE3ELNS1_3repE0EEENS1_47radix_sort_onesweep_sort_config_static_selectorELNS0_4arch9wavefront6targetE0EEEvSG_.numbered_sgpr, 0
	.set _ZN7rocprim17ROCPRIM_400000_NS6detail17trampoline_kernelINS0_14default_configENS1_35radix_sort_onesweep_config_selectorIbNS0_10empty_typeEEEZZNS1_29radix_sort_onesweep_iterationIS3_Lb1EPKbPbPS5_SB_mNS0_19identity_decomposerENS1_16block_id_wrapperIjLb1EEEEE10hipError_tT1_PNSt15iterator_traitsISG_E10value_typeET2_T3_PNSH_ISM_E10value_typeET4_T5_PSR_SS_PNS1_23onesweep_lookback_stateEbbT6_jjT7_P12ihipStream_tbENKUlT_T0_SG_SL_E_clISA_SA_SB_SB_EEDaSZ_S10_SG_SL_EUlSZ_E_NS1_11comp_targetILNS1_3genE9ELNS1_11target_archE1100ELNS1_3gpuE3ELNS1_3repE0EEENS1_47radix_sort_onesweep_sort_config_static_selectorELNS0_4arch9wavefront6targetE0EEEvSG_.num_named_barrier, 0
	.set _ZN7rocprim17ROCPRIM_400000_NS6detail17trampoline_kernelINS0_14default_configENS1_35radix_sort_onesweep_config_selectorIbNS0_10empty_typeEEEZZNS1_29radix_sort_onesweep_iterationIS3_Lb1EPKbPbPS5_SB_mNS0_19identity_decomposerENS1_16block_id_wrapperIjLb1EEEEE10hipError_tT1_PNSt15iterator_traitsISG_E10value_typeET2_T3_PNSH_ISM_E10value_typeET4_T5_PSR_SS_PNS1_23onesweep_lookback_stateEbbT6_jjT7_P12ihipStream_tbENKUlT_T0_SG_SL_E_clISA_SA_SB_SB_EEDaSZ_S10_SG_SL_EUlSZ_E_NS1_11comp_targetILNS1_3genE9ELNS1_11target_archE1100ELNS1_3gpuE3ELNS1_3repE0EEENS1_47radix_sort_onesweep_sort_config_static_selectorELNS0_4arch9wavefront6targetE0EEEvSG_.private_seg_size, 0
	.set _ZN7rocprim17ROCPRIM_400000_NS6detail17trampoline_kernelINS0_14default_configENS1_35radix_sort_onesweep_config_selectorIbNS0_10empty_typeEEEZZNS1_29radix_sort_onesweep_iterationIS3_Lb1EPKbPbPS5_SB_mNS0_19identity_decomposerENS1_16block_id_wrapperIjLb1EEEEE10hipError_tT1_PNSt15iterator_traitsISG_E10value_typeET2_T3_PNSH_ISM_E10value_typeET4_T5_PSR_SS_PNS1_23onesweep_lookback_stateEbbT6_jjT7_P12ihipStream_tbENKUlT_T0_SG_SL_E_clISA_SA_SB_SB_EEDaSZ_S10_SG_SL_EUlSZ_E_NS1_11comp_targetILNS1_3genE9ELNS1_11target_archE1100ELNS1_3gpuE3ELNS1_3repE0EEENS1_47radix_sort_onesweep_sort_config_static_selectorELNS0_4arch9wavefront6targetE0EEEvSG_.uses_vcc, 0
	.set _ZN7rocprim17ROCPRIM_400000_NS6detail17trampoline_kernelINS0_14default_configENS1_35radix_sort_onesweep_config_selectorIbNS0_10empty_typeEEEZZNS1_29radix_sort_onesweep_iterationIS3_Lb1EPKbPbPS5_SB_mNS0_19identity_decomposerENS1_16block_id_wrapperIjLb1EEEEE10hipError_tT1_PNSt15iterator_traitsISG_E10value_typeET2_T3_PNSH_ISM_E10value_typeET4_T5_PSR_SS_PNS1_23onesweep_lookback_stateEbbT6_jjT7_P12ihipStream_tbENKUlT_T0_SG_SL_E_clISA_SA_SB_SB_EEDaSZ_S10_SG_SL_EUlSZ_E_NS1_11comp_targetILNS1_3genE9ELNS1_11target_archE1100ELNS1_3gpuE3ELNS1_3repE0EEENS1_47radix_sort_onesweep_sort_config_static_selectorELNS0_4arch9wavefront6targetE0EEEvSG_.uses_flat_scratch, 0
	.set _ZN7rocprim17ROCPRIM_400000_NS6detail17trampoline_kernelINS0_14default_configENS1_35radix_sort_onesweep_config_selectorIbNS0_10empty_typeEEEZZNS1_29radix_sort_onesweep_iterationIS3_Lb1EPKbPbPS5_SB_mNS0_19identity_decomposerENS1_16block_id_wrapperIjLb1EEEEE10hipError_tT1_PNSt15iterator_traitsISG_E10value_typeET2_T3_PNSH_ISM_E10value_typeET4_T5_PSR_SS_PNS1_23onesweep_lookback_stateEbbT6_jjT7_P12ihipStream_tbENKUlT_T0_SG_SL_E_clISA_SA_SB_SB_EEDaSZ_S10_SG_SL_EUlSZ_E_NS1_11comp_targetILNS1_3genE9ELNS1_11target_archE1100ELNS1_3gpuE3ELNS1_3repE0EEENS1_47radix_sort_onesweep_sort_config_static_selectorELNS0_4arch9wavefront6targetE0EEEvSG_.has_dyn_sized_stack, 0
	.set _ZN7rocprim17ROCPRIM_400000_NS6detail17trampoline_kernelINS0_14default_configENS1_35radix_sort_onesweep_config_selectorIbNS0_10empty_typeEEEZZNS1_29radix_sort_onesweep_iterationIS3_Lb1EPKbPbPS5_SB_mNS0_19identity_decomposerENS1_16block_id_wrapperIjLb1EEEEE10hipError_tT1_PNSt15iterator_traitsISG_E10value_typeET2_T3_PNSH_ISM_E10value_typeET4_T5_PSR_SS_PNS1_23onesweep_lookback_stateEbbT6_jjT7_P12ihipStream_tbENKUlT_T0_SG_SL_E_clISA_SA_SB_SB_EEDaSZ_S10_SG_SL_EUlSZ_E_NS1_11comp_targetILNS1_3genE9ELNS1_11target_archE1100ELNS1_3gpuE3ELNS1_3repE0EEENS1_47radix_sort_onesweep_sort_config_static_selectorELNS0_4arch9wavefront6targetE0EEEvSG_.has_recursion, 0
	.set _ZN7rocprim17ROCPRIM_400000_NS6detail17trampoline_kernelINS0_14default_configENS1_35radix_sort_onesweep_config_selectorIbNS0_10empty_typeEEEZZNS1_29radix_sort_onesweep_iterationIS3_Lb1EPKbPbPS5_SB_mNS0_19identity_decomposerENS1_16block_id_wrapperIjLb1EEEEE10hipError_tT1_PNSt15iterator_traitsISG_E10value_typeET2_T3_PNSH_ISM_E10value_typeET4_T5_PSR_SS_PNS1_23onesweep_lookback_stateEbbT6_jjT7_P12ihipStream_tbENKUlT_T0_SG_SL_E_clISA_SA_SB_SB_EEDaSZ_S10_SG_SL_EUlSZ_E_NS1_11comp_targetILNS1_3genE9ELNS1_11target_archE1100ELNS1_3gpuE3ELNS1_3repE0EEENS1_47radix_sort_onesweep_sort_config_static_selectorELNS0_4arch9wavefront6targetE0EEEvSG_.has_indirect_call, 0
	.section	.AMDGPU.csdata,"",@progbits
; Kernel info:
; codeLenInByte = 0
; TotalNumSgprs: 0
; NumVgprs: 0
; ScratchSize: 0
; MemoryBound: 0
; FloatMode: 240
; IeeeMode: 1
; LDSByteSize: 0 bytes/workgroup (compile time only)
; SGPRBlocks: 0
; VGPRBlocks: 0
; NumSGPRsForWavesPerEU: 1
; NumVGPRsForWavesPerEU: 1
; NamedBarCnt: 0
; Occupancy: 16
; WaveLimiterHint : 0
; COMPUTE_PGM_RSRC2:SCRATCH_EN: 0
; COMPUTE_PGM_RSRC2:USER_SGPR: 2
; COMPUTE_PGM_RSRC2:TRAP_HANDLER: 0
; COMPUTE_PGM_RSRC2:TGID_X_EN: 1
; COMPUTE_PGM_RSRC2:TGID_Y_EN: 0
; COMPUTE_PGM_RSRC2:TGID_Z_EN: 0
; COMPUTE_PGM_RSRC2:TIDIG_COMP_CNT: 0
	.section	.text._ZN7rocprim17ROCPRIM_400000_NS6detail17trampoline_kernelINS0_14default_configENS1_35radix_sort_onesweep_config_selectorIbNS0_10empty_typeEEEZZNS1_29radix_sort_onesweep_iterationIS3_Lb1EPKbPbPS5_SB_mNS0_19identity_decomposerENS1_16block_id_wrapperIjLb1EEEEE10hipError_tT1_PNSt15iterator_traitsISG_E10value_typeET2_T3_PNSH_ISM_E10value_typeET4_T5_PSR_SS_PNS1_23onesweep_lookback_stateEbbT6_jjT7_P12ihipStream_tbENKUlT_T0_SG_SL_E_clISA_SA_SB_SB_EEDaSZ_S10_SG_SL_EUlSZ_E_NS1_11comp_targetILNS1_3genE8ELNS1_11target_archE1030ELNS1_3gpuE2ELNS1_3repE0EEENS1_47radix_sort_onesweep_sort_config_static_selectorELNS0_4arch9wavefront6targetE0EEEvSG_,"axG",@progbits,_ZN7rocprim17ROCPRIM_400000_NS6detail17trampoline_kernelINS0_14default_configENS1_35radix_sort_onesweep_config_selectorIbNS0_10empty_typeEEEZZNS1_29radix_sort_onesweep_iterationIS3_Lb1EPKbPbPS5_SB_mNS0_19identity_decomposerENS1_16block_id_wrapperIjLb1EEEEE10hipError_tT1_PNSt15iterator_traitsISG_E10value_typeET2_T3_PNSH_ISM_E10value_typeET4_T5_PSR_SS_PNS1_23onesweep_lookback_stateEbbT6_jjT7_P12ihipStream_tbENKUlT_T0_SG_SL_E_clISA_SA_SB_SB_EEDaSZ_S10_SG_SL_EUlSZ_E_NS1_11comp_targetILNS1_3genE8ELNS1_11target_archE1030ELNS1_3gpuE2ELNS1_3repE0EEENS1_47radix_sort_onesweep_sort_config_static_selectorELNS0_4arch9wavefront6targetE0EEEvSG_,comdat
	.protected	_ZN7rocprim17ROCPRIM_400000_NS6detail17trampoline_kernelINS0_14default_configENS1_35radix_sort_onesweep_config_selectorIbNS0_10empty_typeEEEZZNS1_29radix_sort_onesweep_iterationIS3_Lb1EPKbPbPS5_SB_mNS0_19identity_decomposerENS1_16block_id_wrapperIjLb1EEEEE10hipError_tT1_PNSt15iterator_traitsISG_E10value_typeET2_T3_PNSH_ISM_E10value_typeET4_T5_PSR_SS_PNS1_23onesweep_lookback_stateEbbT6_jjT7_P12ihipStream_tbENKUlT_T0_SG_SL_E_clISA_SA_SB_SB_EEDaSZ_S10_SG_SL_EUlSZ_E_NS1_11comp_targetILNS1_3genE8ELNS1_11target_archE1030ELNS1_3gpuE2ELNS1_3repE0EEENS1_47radix_sort_onesweep_sort_config_static_selectorELNS0_4arch9wavefront6targetE0EEEvSG_ ; -- Begin function _ZN7rocprim17ROCPRIM_400000_NS6detail17trampoline_kernelINS0_14default_configENS1_35radix_sort_onesweep_config_selectorIbNS0_10empty_typeEEEZZNS1_29radix_sort_onesweep_iterationIS3_Lb1EPKbPbPS5_SB_mNS0_19identity_decomposerENS1_16block_id_wrapperIjLb1EEEEE10hipError_tT1_PNSt15iterator_traitsISG_E10value_typeET2_T3_PNSH_ISM_E10value_typeET4_T5_PSR_SS_PNS1_23onesweep_lookback_stateEbbT6_jjT7_P12ihipStream_tbENKUlT_T0_SG_SL_E_clISA_SA_SB_SB_EEDaSZ_S10_SG_SL_EUlSZ_E_NS1_11comp_targetILNS1_3genE8ELNS1_11target_archE1030ELNS1_3gpuE2ELNS1_3repE0EEENS1_47radix_sort_onesweep_sort_config_static_selectorELNS0_4arch9wavefront6targetE0EEEvSG_
	.globl	_ZN7rocprim17ROCPRIM_400000_NS6detail17trampoline_kernelINS0_14default_configENS1_35radix_sort_onesweep_config_selectorIbNS0_10empty_typeEEEZZNS1_29radix_sort_onesweep_iterationIS3_Lb1EPKbPbPS5_SB_mNS0_19identity_decomposerENS1_16block_id_wrapperIjLb1EEEEE10hipError_tT1_PNSt15iterator_traitsISG_E10value_typeET2_T3_PNSH_ISM_E10value_typeET4_T5_PSR_SS_PNS1_23onesweep_lookback_stateEbbT6_jjT7_P12ihipStream_tbENKUlT_T0_SG_SL_E_clISA_SA_SB_SB_EEDaSZ_S10_SG_SL_EUlSZ_E_NS1_11comp_targetILNS1_3genE8ELNS1_11target_archE1030ELNS1_3gpuE2ELNS1_3repE0EEENS1_47radix_sort_onesweep_sort_config_static_selectorELNS0_4arch9wavefront6targetE0EEEvSG_
	.p2align	8
	.type	_ZN7rocprim17ROCPRIM_400000_NS6detail17trampoline_kernelINS0_14default_configENS1_35radix_sort_onesweep_config_selectorIbNS0_10empty_typeEEEZZNS1_29radix_sort_onesweep_iterationIS3_Lb1EPKbPbPS5_SB_mNS0_19identity_decomposerENS1_16block_id_wrapperIjLb1EEEEE10hipError_tT1_PNSt15iterator_traitsISG_E10value_typeET2_T3_PNSH_ISM_E10value_typeET4_T5_PSR_SS_PNS1_23onesweep_lookback_stateEbbT6_jjT7_P12ihipStream_tbENKUlT_T0_SG_SL_E_clISA_SA_SB_SB_EEDaSZ_S10_SG_SL_EUlSZ_E_NS1_11comp_targetILNS1_3genE8ELNS1_11target_archE1030ELNS1_3gpuE2ELNS1_3repE0EEENS1_47radix_sort_onesweep_sort_config_static_selectorELNS0_4arch9wavefront6targetE0EEEvSG_,@function
_ZN7rocprim17ROCPRIM_400000_NS6detail17trampoline_kernelINS0_14default_configENS1_35radix_sort_onesweep_config_selectorIbNS0_10empty_typeEEEZZNS1_29radix_sort_onesweep_iterationIS3_Lb1EPKbPbPS5_SB_mNS0_19identity_decomposerENS1_16block_id_wrapperIjLb1EEEEE10hipError_tT1_PNSt15iterator_traitsISG_E10value_typeET2_T3_PNSH_ISM_E10value_typeET4_T5_PSR_SS_PNS1_23onesweep_lookback_stateEbbT6_jjT7_P12ihipStream_tbENKUlT_T0_SG_SL_E_clISA_SA_SB_SB_EEDaSZ_S10_SG_SL_EUlSZ_E_NS1_11comp_targetILNS1_3genE8ELNS1_11target_archE1030ELNS1_3gpuE2ELNS1_3repE0EEENS1_47radix_sort_onesweep_sort_config_static_selectorELNS0_4arch9wavefront6targetE0EEEvSG_: ; @_ZN7rocprim17ROCPRIM_400000_NS6detail17trampoline_kernelINS0_14default_configENS1_35radix_sort_onesweep_config_selectorIbNS0_10empty_typeEEEZZNS1_29radix_sort_onesweep_iterationIS3_Lb1EPKbPbPS5_SB_mNS0_19identity_decomposerENS1_16block_id_wrapperIjLb1EEEEE10hipError_tT1_PNSt15iterator_traitsISG_E10value_typeET2_T3_PNSH_ISM_E10value_typeET4_T5_PSR_SS_PNS1_23onesweep_lookback_stateEbbT6_jjT7_P12ihipStream_tbENKUlT_T0_SG_SL_E_clISA_SA_SB_SB_EEDaSZ_S10_SG_SL_EUlSZ_E_NS1_11comp_targetILNS1_3genE8ELNS1_11target_archE1030ELNS1_3gpuE2ELNS1_3repE0EEENS1_47radix_sort_onesweep_sort_config_static_selectorELNS0_4arch9wavefront6targetE0EEEvSG_
; %bb.0:
	.section	.rodata,"a",@progbits
	.p2align	6, 0x0
	.amdhsa_kernel _ZN7rocprim17ROCPRIM_400000_NS6detail17trampoline_kernelINS0_14default_configENS1_35radix_sort_onesweep_config_selectorIbNS0_10empty_typeEEEZZNS1_29radix_sort_onesweep_iterationIS3_Lb1EPKbPbPS5_SB_mNS0_19identity_decomposerENS1_16block_id_wrapperIjLb1EEEEE10hipError_tT1_PNSt15iterator_traitsISG_E10value_typeET2_T3_PNSH_ISM_E10value_typeET4_T5_PSR_SS_PNS1_23onesweep_lookback_stateEbbT6_jjT7_P12ihipStream_tbENKUlT_T0_SG_SL_E_clISA_SA_SB_SB_EEDaSZ_S10_SG_SL_EUlSZ_E_NS1_11comp_targetILNS1_3genE8ELNS1_11target_archE1030ELNS1_3gpuE2ELNS1_3repE0EEENS1_47radix_sort_onesweep_sort_config_static_selectorELNS0_4arch9wavefront6targetE0EEEvSG_
		.amdhsa_group_segment_fixed_size 0
		.amdhsa_private_segment_fixed_size 0
		.amdhsa_kernarg_size 88
		.amdhsa_user_sgpr_count 2
		.amdhsa_user_sgpr_dispatch_ptr 0
		.amdhsa_user_sgpr_queue_ptr 0
		.amdhsa_user_sgpr_kernarg_segment_ptr 1
		.amdhsa_user_sgpr_dispatch_id 0
		.amdhsa_user_sgpr_kernarg_preload_length 0
		.amdhsa_user_sgpr_kernarg_preload_offset 0
		.amdhsa_user_sgpr_private_segment_size 0
		.amdhsa_wavefront_size32 1
		.amdhsa_uses_dynamic_stack 0
		.amdhsa_enable_private_segment 0
		.amdhsa_system_sgpr_workgroup_id_x 1
		.amdhsa_system_sgpr_workgroup_id_y 0
		.amdhsa_system_sgpr_workgroup_id_z 0
		.amdhsa_system_sgpr_workgroup_info 0
		.amdhsa_system_vgpr_workitem_id 0
		.amdhsa_next_free_vgpr 1
		.amdhsa_next_free_sgpr 1
		.amdhsa_named_barrier_count 0
		.amdhsa_reserve_vcc 0
		.amdhsa_float_round_mode_32 0
		.amdhsa_float_round_mode_16_64 0
		.amdhsa_float_denorm_mode_32 3
		.amdhsa_float_denorm_mode_16_64 3
		.amdhsa_fp16_overflow 0
		.amdhsa_memory_ordered 1
		.amdhsa_forward_progress 1
		.amdhsa_inst_pref_size 0
		.amdhsa_round_robin_scheduling 0
		.amdhsa_exception_fp_ieee_invalid_op 0
		.amdhsa_exception_fp_denorm_src 0
		.amdhsa_exception_fp_ieee_div_zero 0
		.amdhsa_exception_fp_ieee_overflow 0
		.amdhsa_exception_fp_ieee_underflow 0
		.amdhsa_exception_fp_ieee_inexact 0
		.amdhsa_exception_int_div_zero 0
	.end_amdhsa_kernel
	.section	.text._ZN7rocprim17ROCPRIM_400000_NS6detail17trampoline_kernelINS0_14default_configENS1_35radix_sort_onesweep_config_selectorIbNS0_10empty_typeEEEZZNS1_29radix_sort_onesweep_iterationIS3_Lb1EPKbPbPS5_SB_mNS0_19identity_decomposerENS1_16block_id_wrapperIjLb1EEEEE10hipError_tT1_PNSt15iterator_traitsISG_E10value_typeET2_T3_PNSH_ISM_E10value_typeET4_T5_PSR_SS_PNS1_23onesweep_lookback_stateEbbT6_jjT7_P12ihipStream_tbENKUlT_T0_SG_SL_E_clISA_SA_SB_SB_EEDaSZ_S10_SG_SL_EUlSZ_E_NS1_11comp_targetILNS1_3genE8ELNS1_11target_archE1030ELNS1_3gpuE2ELNS1_3repE0EEENS1_47radix_sort_onesweep_sort_config_static_selectorELNS0_4arch9wavefront6targetE0EEEvSG_,"axG",@progbits,_ZN7rocprim17ROCPRIM_400000_NS6detail17trampoline_kernelINS0_14default_configENS1_35radix_sort_onesweep_config_selectorIbNS0_10empty_typeEEEZZNS1_29radix_sort_onesweep_iterationIS3_Lb1EPKbPbPS5_SB_mNS0_19identity_decomposerENS1_16block_id_wrapperIjLb1EEEEE10hipError_tT1_PNSt15iterator_traitsISG_E10value_typeET2_T3_PNSH_ISM_E10value_typeET4_T5_PSR_SS_PNS1_23onesweep_lookback_stateEbbT6_jjT7_P12ihipStream_tbENKUlT_T0_SG_SL_E_clISA_SA_SB_SB_EEDaSZ_S10_SG_SL_EUlSZ_E_NS1_11comp_targetILNS1_3genE8ELNS1_11target_archE1030ELNS1_3gpuE2ELNS1_3repE0EEENS1_47radix_sort_onesweep_sort_config_static_selectorELNS0_4arch9wavefront6targetE0EEEvSG_,comdat
.Lfunc_end1758:
	.size	_ZN7rocprim17ROCPRIM_400000_NS6detail17trampoline_kernelINS0_14default_configENS1_35radix_sort_onesweep_config_selectorIbNS0_10empty_typeEEEZZNS1_29radix_sort_onesweep_iterationIS3_Lb1EPKbPbPS5_SB_mNS0_19identity_decomposerENS1_16block_id_wrapperIjLb1EEEEE10hipError_tT1_PNSt15iterator_traitsISG_E10value_typeET2_T3_PNSH_ISM_E10value_typeET4_T5_PSR_SS_PNS1_23onesweep_lookback_stateEbbT6_jjT7_P12ihipStream_tbENKUlT_T0_SG_SL_E_clISA_SA_SB_SB_EEDaSZ_S10_SG_SL_EUlSZ_E_NS1_11comp_targetILNS1_3genE8ELNS1_11target_archE1030ELNS1_3gpuE2ELNS1_3repE0EEENS1_47radix_sort_onesweep_sort_config_static_selectorELNS0_4arch9wavefront6targetE0EEEvSG_, .Lfunc_end1758-_ZN7rocprim17ROCPRIM_400000_NS6detail17trampoline_kernelINS0_14default_configENS1_35radix_sort_onesweep_config_selectorIbNS0_10empty_typeEEEZZNS1_29radix_sort_onesweep_iterationIS3_Lb1EPKbPbPS5_SB_mNS0_19identity_decomposerENS1_16block_id_wrapperIjLb1EEEEE10hipError_tT1_PNSt15iterator_traitsISG_E10value_typeET2_T3_PNSH_ISM_E10value_typeET4_T5_PSR_SS_PNS1_23onesweep_lookback_stateEbbT6_jjT7_P12ihipStream_tbENKUlT_T0_SG_SL_E_clISA_SA_SB_SB_EEDaSZ_S10_SG_SL_EUlSZ_E_NS1_11comp_targetILNS1_3genE8ELNS1_11target_archE1030ELNS1_3gpuE2ELNS1_3repE0EEENS1_47radix_sort_onesweep_sort_config_static_selectorELNS0_4arch9wavefront6targetE0EEEvSG_
                                        ; -- End function
	.set _ZN7rocprim17ROCPRIM_400000_NS6detail17trampoline_kernelINS0_14default_configENS1_35radix_sort_onesweep_config_selectorIbNS0_10empty_typeEEEZZNS1_29radix_sort_onesweep_iterationIS3_Lb1EPKbPbPS5_SB_mNS0_19identity_decomposerENS1_16block_id_wrapperIjLb1EEEEE10hipError_tT1_PNSt15iterator_traitsISG_E10value_typeET2_T3_PNSH_ISM_E10value_typeET4_T5_PSR_SS_PNS1_23onesweep_lookback_stateEbbT6_jjT7_P12ihipStream_tbENKUlT_T0_SG_SL_E_clISA_SA_SB_SB_EEDaSZ_S10_SG_SL_EUlSZ_E_NS1_11comp_targetILNS1_3genE8ELNS1_11target_archE1030ELNS1_3gpuE2ELNS1_3repE0EEENS1_47radix_sort_onesweep_sort_config_static_selectorELNS0_4arch9wavefront6targetE0EEEvSG_.num_vgpr, 0
	.set _ZN7rocprim17ROCPRIM_400000_NS6detail17trampoline_kernelINS0_14default_configENS1_35radix_sort_onesweep_config_selectorIbNS0_10empty_typeEEEZZNS1_29radix_sort_onesweep_iterationIS3_Lb1EPKbPbPS5_SB_mNS0_19identity_decomposerENS1_16block_id_wrapperIjLb1EEEEE10hipError_tT1_PNSt15iterator_traitsISG_E10value_typeET2_T3_PNSH_ISM_E10value_typeET4_T5_PSR_SS_PNS1_23onesweep_lookback_stateEbbT6_jjT7_P12ihipStream_tbENKUlT_T0_SG_SL_E_clISA_SA_SB_SB_EEDaSZ_S10_SG_SL_EUlSZ_E_NS1_11comp_targetILNS1_3genE8ELNS1_11target_archE1030ELNS1_3gpuE2ELNS1_3repE0EEENS1_47radix_sort_onesweep_sort_config_static_selectorELNS0_4arch9wavefront6targetE0EEEvSG_.num_agpr, 0
	.set _ZN7rocprim17ROCPRIM_400000_NS6detail17trampoline_kernelINS0_14default_configENS1_35radix_sort_onesweep_config_selectorIbNS0_10empty_typeEEEZZNS1_29radix_sort_onesweep_iterationIS3_Lb1EPKbPbPS5_SB_mNS0_19identity_decomposerENS1_16block_id_wrapperIjLb1EEEEE10hipError_tT1_PNSt15iterator_traitsISG_E10value_typeET2_T3_PNSH_ISM_E10value_typeET4_T5_PSR_SS_PNS1_23onesweep_lookback_stateEbbT6_jjT7_P12ihipStream_tbENKUlT_T0_SG_SL_E_clISA_SA_SB_SB_EEDaSZ_S10_SG_SL_EUlSZ_E_NS1_11comp_targetILNS1_3genE8ELNS1_11target_archE1030ELNS1_3gpuE2ELNS1_3repE0EEENS1_47radix_sort_onesweep_sort_config_static_selectorELNS0_4arch9wavefront6targetE0EEEvSG_.numbered_sgpr, 0
	.set _ZN7rocprim17ROCPRIM_400000_NS6detail17trampoline_kernelINS0_14default_configENS1_35radix_sort_onesweep_config_selectorIbNS0_10empty_typeEEEZZNS1_29radix_sort_onesweep_iterationIS3_Lb1EPKbPbPS5_SB_mNS0_19identity_decomposerENS1_16block_id_wrapperIjLb1EEEEE10hipError_tT1_PNSt15iterator_traitsISG_E10value_typeET2_T3_PNSH_ISM_E10value_typeET4_T5_PSR_SS_PNS1_23onesweep_lookback_stateEbbT6_jjT7_P12ihipStream_tbENKUlT_T0_SG_SL_E_clISA_SA_SB_SB_EEDaSZ_S10_SG_SL_EUlSZ_E_NS1_11comp_targetILNS1_3genE8ELNS1_11target_archE1030ELNS1_3gpuE2ELNS1_3repE0EEENS1_47radix_sort_onesweep_sort_config_static_selectorELNS0_4arch9wavefront6targetE0EEEvSG_.num_named_barrier, 0
	.set _ZN7rocprim17ROCPRIM_400000_NS6detail17trampoline_kernelINS0_14default_configENS1_35radix_sort_onesweep_config_selectorIbNS0_10empty_typeEEEZZNS1_29radix_sort_onesweep_iterationIS3_Lb1EPKbPbPS5_SB_mNS0_19identity_decomposerENS1_16block_id_wrapperIjLb1EEEEE10hipError_tT1_PNSt15iterator_traitsISG_E10value_typeET2_T3_PNSH_ISM_E10value_typeET4_T5_PSR_SS_PNS1_23onesweep_lookback_stateEbbT6_jjT7_P12ihipStream_tbENKUlT_T0_SG_SL_E_clISA_SA_SB_SB_EEDaSZ_S10_SG_SL_EUlSZ_E_NS1_11comp_targetILNS1_3genE8ELNS1_11target_archE1030ELNS1_3gpuE2ELNS1_3repE0EEENS1_47radix_sort_onesweep_sort_config_static_selectorELNS0_4arch9wavefront6targetE0EEEvSG_.private_seg_size, 0
	.set _ZN7rocprim17ROCPRIM_400000_NS6detail17trampoline_kernelINS0_14default_configENS1_35radix_sort_onesweep_config_selectorIbNS0_10empty_typeEEEZZNS1_29radix_sort_onesweep_iterationIS3_Lb1EPKbPbPS5_SB_mNS0_19identity_decomposerENS1_16block_id_wrapperIjLb1EEEEE10hipError_tT1_PNSt15iterator_traitsISG_E10value_typeET2_T3_PNSH_ISM_E10value_typeET4_T5_PSR_SS_PNS1_23onesweep_lookback_stateEbbT6_jjT7_P12ihipStream_tbENKUlT_T0_SG_SL_E_clISA_SA_SB_SB_EEDaSZ_S10_SG_SL_EUlSZ_E_NS1_11comp_targetILNS1_3genE8ELNS1_11target_archE1030ELNS1_3gpuE2ELNS1_3repE0EEENS1_47radix_sort_onesweep_sort_config_static_selectorELNS0_4arch9wavefront6targetE0EEEvSG_.uses_vcc, 0
	.set _ZN7rocprim17ROCPRIM_400000_NS6detail17trampoline_kernelINS0_14default_configENS1_35radix_sort_onesweep_config_selectorIbNS0_10empty_typeEEEZZNS1_29radix_sort_onesweep_iterationIS3_Lb1EPKbPbPS5_SB_mNS0_19identity_decomposerENS1_16block_id_wrapperIjLb1EEEEE10hipError_tT1_PNSt15iterator_traitsISG_E10value_typeET2_T3_PNSH_ISM_E10value_typeET4_T5_PSR_SS_PNS1_23onesweep_lookback_stateEbbT6_jjT7_P12ihipStream_tbENKUlT_T0_SG_SL_E_clISA_SA_SB_SB_EEDaSZ_S10_SG_SL_EUlSZ_E_NS1_11comp_targetILNS1_3genE8ELNS1_11target_archE1030ELNS1_3gpuE2ELNS1_3repE0EEENS1_47radix_sort_onesweep_sort_config_static_selectorELNS0_4arch9wavefront6targetE0EEEvSG_.uses_flat_scratch, 0
	.set _ZN7rocprim17ROCPRIM_400000_NS6detail17trampoline_kernelINS0_14default_configENS1_35radix_sort_onesweep_config_selectorIbNS0_10empty_typeEEEZZNS1_29radix_sort_onesweep_iterationIS3_Lb1EPKbPbPS5_SB_mNS0_19identity_decomposerENS1_16block_id_wrapperIjLb1EEEEE10hipError_tT1_PNSt15iterator_traitsISG_E10value_typeET2_T3_PNSH_ISM_E10value_typeET4_T5_PSR_SS_PNS1_23onesweep_lookback_stateEbbT6_jjT7_P12ihipStream_tbENKUlT_T0_SG_SL_E_clISA_SA_SB_SB_EEDaSZ_S10_SG_SL_EUlSZ_E_NS1_11comp_targetILNS1_3genE8ELNS1_11target_archE1030ELNS1_3gpuE2ELNS1_3repE0EEENS1_47radix_sort_onesweep_sort_config_static_selectorELNS0_4arch9wavefront6targetE0EEEvSG_.has_dyn_sized_stack, 0
	.set _ZN7rocprim17ROCPRIM_400000_NS6detail17trampoline_kernelINS0_14default_configENS1_35radix_sort_onesweep_config_selectorIbNS0_10empty_typeEEEZZNS1_29radix_sort_onesweep_iterationIS3_Lb1EPKbPbPS5_SB_mNS0_19identity_decomposerENS1_16block_id_wrapperIjLb1EEEEE10hipError_tT1_PNSt15iterator_traitsISG_E10value_typeET2_T3_PNSH_ISM_E10value_typeET4_T5_PSR_SS_PNS1_23onesweep_lookback_stateEbbT6_jjT7_P12ihipStream_tbENKUlT_T0_SG_SL_E_clISA_SA_SB_SB_EEDaSZ_S10_SG_SL_EUlSZ_E_NS1_11comp_targetILNS1_3genE8ELNS1_11target_archE1030ELNS1_3gpuE2ELNS1_3repE0EEENS1_47radix_sort_onesweep_sort_config_static_selectorELNS0_4arch9wavefront6targetE0EEEvSG_.has_recursion, 0
	.set _ZN7rocprim17ROCPRIM_400000_NS6detail17trampoline_kernelINS0_14default_configENS1_35radix_sort_onesweep_config_selectorIbNS0_10empty_typeEEEZZNS1_29radix_sort_onesweep_iterationIS3_Lb1EPKbPbPS5_SB_mNS0_19identity_decomposerENS1_16block_id_wrapperIjLb1EEEEE10hipError_tT1_PNSt15iterator_traitsISG_E10value_typeET2_T3_PNSH_ISM_E10value_typeET4_T5_PSR_SS_PNS1_23onesweep_lookback_stateEbbT6_jjT7_P12ihipStream_tbENKUlT_T0_SG_SL_E_clISA_SA_SB_SB_EEDaSZ_S10_SG_SL_EUlSZ_E_NS1_11comp_targetILNS1_3genE8ELNS1_11target_archE1030ELNS1_3gpuE2ELNS1_3repE0EEENS1_47radix_sort_onesweep_sort_config_static_selectorELNS0_4arch9wavefront6targetE0EEEvSG_.has_indirect_call, 0
	.section	.AMDGPU.csdata,"",@progbits
; Kernel info:
; codeLenInByte = 0
; TotalNumSgprs: 0
; NumVgprs: 0
; ScratchSize: 0
; MemoryBound: 0
; FloatMode: 240
; IeeeMode: 1
; LDSByteSize: 0 bytes/workgroup (compile time only)
; SGPRBlocks: 0
; VGPRBlocks: 0
; NumSGPRsForWavesPerEU: 1
; NumVGPRsForWavesPerEU: 1
; NamedBarCnt: 0
; Occupancy: 16
; WaveLimiterHint : 0
; COMPUTE_PGM_RSRC2:SCRATCH_EN: 0
; COMPUTE_PGM_RSRC2:USER_SGPR: 2
; COMPUTE_PGM_RSRC2:TRAP_HANDLER: 0
; COMPUTE_PGM_RSRC2:TGID_X_EN: 1
; COMPUTE_PGM_RSRC2:TGID_Y_EN: 0
; COMPUTE_PGM_RSRC2:TGID_Z_EN: 0
; COMPUTE_PGM_RSRC2:TIDIG_COMP_CNT: 0
	.section	.text._ZN7rocprim17ROCPRIM_400000_NS6detail17trampoline_kernelINS0_14default_configENS1_35radix_sort_onesweep_config_selectorIbNS0_10empty_typeEEEZZNS1_29radix_sort_onesweep_iterationIS3_Lb1EPKbPbPS5_SB_mNS0_19identity_decomposerENS1_16block_id_wrapperIjLb0EEEEE10hipError_tT1_PNSt15iterator_traitsISG_E10value_typeET2_T3_PNSH_ISM_E10value_typeET4_T5_PSR_SS_PNS1_23onesweep_lookback_stateEbbT6_jjT7_P12ihipStream_tbENKUlT_T0_SG_SL_E_clIS9_SA_SB_SB_EEDaSZ_S10_SG_SL_EUlSZ_E_NS1_11comp_targetILNS1_3genE0ELNS1_11target_archE4294967295ELNS1_3gpuE0ELNS1_3repE0EEENS1_47radix_sort_onesweep_sort_config_static_selectorELNS0_4arch9wavefront6targetE0EEEvSG_,"axG",@progbits,_ZN7rocprim17ROCPRIM_400000_NS6detail17trampoline_kernelINS0_14default_configENS1_35radix_sort_onesweep_config_selectorIbNS0_10empty_typeEEEZZNS1_29radix_sort_onesweep_iterationIS3_Lb1EPKbPbPS5_SB_mNS0_19identity_decomposerENS1_16block_id_wrapperIjLb0EEEEE10hipError_tT1_PNSt15iterator_traitsISG_E10value_typeET2_T3_PNSH_ISM_E10value_typeET4_T5_PSR_SS_PNS1_23onesweep_lookback_stateEbbT6_jjT7_P12ihipStream_tbENKUlT_T0_SG_SL_E_clIS9_SA_SB_SB_EEDaSZ_S10_SG_SL_EUlSZ_E_NS1_11comp_targetILNS1_3genE0ELNS1_11target_archE4294967295ELNS1_3gpuE0ELNS1_3repE0EEENS1_47radix_sort_onesweep_sort_config_static_selectorELNS0_4arch9wavefront6targetE0EEEvSG_,comdat
	.protected	_ZN7rocprim17ROCPRIM_400000_NS6detail17trampoline_kernelINS0_14default_configENS1_35radix_sort_onesweep_config_selectorIbNS0_10empty_typeEEEZZNS1_29radix_sort_onesweep_iterationIS3_Lb1EPKbPbPS5_SB_mNS0_19identity_decomposerENS1_16block_id_wrapperIjLb0EEEEE10hipError_tT1_PNSt15iterator_traitsISG_E10value_typeET2_T3_PNSH_ISM_E10value_typeET4_T5_PSR_SS_PNS1_23onesweep_lookback_stateEbbT6_jjT7_P12ihipStream_tbENKUlT_T0_SG_SL_E_clIS9_SA_SB_SB_EEDaSZ_S10_SG_SL_EUlSZ_E_NS1_11comp_targetILNS1_3genE0ELNS1_11target_archE4294967295ELNS1_3gpuE0ELNS1_3repE0EEENS1_47radix_sort_onesweep_sort_config_static_selectorELNS0_4arch9wavefront6targetE0EEEvSG_ ; -- Begin function _ZN7rocprim17ROCPRIM_400000_NS6detail17trampoline_kernelINS0_14default_configENS1_35radix_sort_onesweep_config_selectorIbNS0_10empty_typeEEEZZNS1_29radix_sort_onesweep_iterationIS3_Lb1EPKbPbPS5_SB_mNS0_19identity_decomposerENS1_16block_id_wrapperIjLb0EEEEE10hipError_tT1_PNSt15iterator_traitsISG_E10value_typeET2_T3_PNSH_ISM_E10value_typeET4_T5_PSR_SS_PNS1_23onesweep_lookback_stateEbbT6_jjT7_P12ihipStream_tbENKUlT_T0_SG_SL_E_clIS9_SA_SB_SB_EEDaSZ_S10_SG_SL_EUlSZ_E_NS1_11comp_targetILNS1_3genE0ELNS1_11target_archE4294967295ELNS1_3gpuE0ELNS1_3repE0EEENS1_47radix_sort_onesweep_sort_config_static_selectorELNS0_4arch9wavefront6targetE0EEEvSG_
	.globl	_ZN7rocprim17ROCPRIM_400000_NS6detail17trampoline_kernelINS0_14default_configENS1_35radix_sort_onesweep_config_selectorIbNS0_10empty_typeEEEZZNS1_29radix_sort_onesweep_iterationIS3_Lb1EPKbPbPS5_SB_mNS0_19identity_decomposerENS1_16block_id_wrapperIjLb0EEEEE10hipError_tT1_PNSt15iterator_traitsISG_E10value_typeET2_T3_PNSH_ISM_E10value_typeET4_T5_PSR_SS_PNS1_23onesweep_lookback_stateEbbT6_jjT7_P12ihipStream_tbENKUlT_T0_SG_SL_E_clIS9_SA_SB_SB_EEDaSZ_S10_SG_SL_EUlSZ_E_NS1_11comp_targetILNS1_3genE0ELNS1_11target_archE4294967295ELNS1_3gpuE0ELNS1_3repE0EEENS1_47radix_sort_onesweep_sort_config_static_selectorELNS0_4arch9wavefront6targetE0EEEvSG_
	.p2align	8
	.type	_ZN7rocprim17ROCPRIM_400000_NS6detail17trampoline_kernelINS0_14default_configENS1_35radix_sort_onesweep_config_selectorIbNS0_10empty_typeEEEZZNS1_29radix_sort_onesweep_iterationIS3_Lb1EPKbPbPS5_SB_mNS0_19identity_decomposerENS1_16block_id_wrapperIjLb0EEEEE10hipError_tT1_PNSt15iterator_traitsISG_E10value_typeET2_T3_PNSH_ISM_E10value_typeET4_T5_PSR_SS_PNS1_23onesweep_lookback_stateEbbT6_jjT7_P12ihipStream_tbENKUlT_T0_SG_SL_E_clIS9_SA_SB_SB_EEDaSZ_S10_SG_SL_EUlSZ_E_NS1_11comp_targetILNS1_3genE0ELNS1_11target_archE4294967295ELNS1_3gpuE0ELNS1_3repE0EEENS1_47radix_sort_onesweep_sort_config_static_selectorELNS0_4arch9wavefront6targetE0EEEvSG_,@function
_ZN7rocprim17ROCPRIM_400000_NS6detail17trampoline_kernelINS0_14default_configENS1_35radix_sort_onesweep_config_selectorIbNS0_10empty_typeEEEZZNS1_29radix_sort_onesweep_iterationIS3_Lb1EPKbPbPS5_SB_mNS0_19identity_decomposerENS1_16block_id_wrapperIjLb0EEEEE10hipError_tT1_PNSt15iterator_traitsISG_E10value_typeET2_T3_PNSH_ISM_E10value_typeET4_T5_PSR_SS_PNS1_23onesweep_lookback_stateEbbT6_jjT7_P12ihipStream_tbENKUlT_T0_SG_SL_E_clIS9_SA_SB_SB_EEDaSZ_S10_SG_SL_EUlSZ_E_NS1_11comp_targetILNS1_3genE0ELNS1_11target_archE4294967295ELNS1_3gpuE0ELNS1_3repE0EEENS1_47radix_sort_onesweep_sort_config_static_selectorELNS0_4arch9wavefront6targetE0EEEvSG_: ; @_ZN7rocprim17ROCPRIM_400000_NS6detail17trampoline_kernelINS0_14default_configENS1_35radix_sort_onesweep_config_selectorIbNS0_10empty_typeEEEZZNS1_29radix_sort_onesweep_iterationIS3_Lb1EPKbPbPS5_SB_mNS0_19identity_decomposerENS1_16block_id_wrapperIjLb0EEEEE10hipError_tT1_PNSt15iterator_traitsISG_E10value_typeET2_T3_PNSH_ISM_E10value_typeET4_T5_PSR_SS_PNS1_23onesweep_lookback_stateEbbT6_jjT7_P12ihipStream_tbENKUlT_T0_SG_SL_E_clIS9_SA_SB_SB_EEDaSZ_S10_SG_SL_EUlSZ_E_NS1_11comp_targetILNS1_3genE0ELNS1_11target_archE4294967295ELNS1_3gpuE0ELNS1_3repE0EEENS1_47radix_sort_onesweep_sort_config_static_selectorELNS0_4arch9wavefront6targetE0EEEvSG_
; %bb.0:
	s_clause 0x3
	s_load_b96 s[16:18], s[0:1], 0x44
	s_load_b64 s[20:21], s[0:1], 0x38
	s_load_b128 s[12:15], s[0:1], 0x0
	s_load_b128 s[8:11], s[0:1], 0x28
	s_bfe_u32 s2, ttmp6, 0x4000c
	s_and_b32 s3, ttmp6, 15
	s_add_co_i32 s2, s2, 1
	s_getreg_b32 s4, hwreg(HW_REG_IB_STS2, 6, 4)
	s_mul_i32 s2, ttmp9, s2
	v_mul_u32_u24_e32 v6, 22, v0
	s_add_co_i32 s3, s3, s2
	s_cmp_eq_u32 s4, 0
	s_mov_b32 s23, 0
	s_cselect_b32 s19, ttmp9, s3
	s_mov_b32 s2, -1
	s_mul_i32 s22, s19, 0x5800
	s_wait_kmcnt 0x0
	s_cmp_ge_u32 s19, s18
	s_cbranch_scc0 .LBB1759_112
; %bb.1:
	s_load_b32 s4, s[0:1], 0x20
	v_dual_mov_b32 v7, 0 :: v_dual_mov_b32 v24, 0
	s_add_nc_u64 s[2:3], s[12:13], s[22:23]
	v_dual_mov_b32 v23, 0 :: v_dual_mov_b32 v22, 0
	s_delay_alu instid0(VALU_DEP_2)
	v_add_nc_u64_e32 v[2:3], s[2:3], v[6:7]
	v_dual_mov_b32 v21, 0 :: v_dual_mov_b32 v20, 0
	v_dual_mov_b32 v19, 0 :: v_dual_mov_b32 v18, 0
	;; [unrolled: 1-line block ×8, first 2 shown]
	v_mov_b32_e32 v1, 0
	s_mul_i32 s5, s18, 0xffffa800
	s_mov_b32 s2, exec_lo
	s_wait_kmcnt 0x0
	s_add_co_i32 s18, s4, s5
	s_delay_alu instid0(SALU_CYCLE_1)
	v_cmpx_gt_u32_e64 s18, v6
	s_cbranch_execz .LBB1759_3
; %bb.2:
	global_load_u8 v24, v[2:3], off
	v_dual_mov_b32 v23, 0 :: v_dual_mov_b32 v22, 0
	v_dual_mov_b32 v21, 0 :: v_dual_mov_b32 v20, 0
	v_dual_mov_b32 v19, 0 :: v_dual_mov_b32 v18, 0
	v_dual_mov_b32 v17, 0 :: v_dual_mov_b32 v16, 0
	v_dual_mov_b32 v15, 0 :: v_dual_mov_b32 v14, 0
	v_dual_mov_b32 v13, 0 :: v_dual_mov_b32 v12, 0
	v_dual_mov_b32 v11, 0 :: v_dual_mov_b32 v10, 0
	v_dual_mov_b32 v9, 0 :: v_dual_mov_b32 v8, 0
	v_dual_mov_b32 v5, 0 :: v_dual_mov_b32 v4, 0
	v_mov_b32_e32 v1, 0
.LBB1759_3:
	s_wait_xcnt 0x0
	s_or_b32 exec_lo, exec_lo, s2
	v_or_b32_e32 v25, 1, v6
	s_delay_alu instid0(VALU_DEP_1)
	v_cmp_gt_u32_e32 vcc_lo, s18, v25
	v_mov_b32_e32 v25, v7
	s_and_saveexec_b32 s2, vcc_lo
	s_cbranch_execz .LBB1759_5
; %bb.4:
	global_load_u8 v25, v[2:3], off offset:1
.LBB1759_5:
	s_wait_xcnt 0x0
	s_or_b32 exec_lo, exec_lo, s2
	v_add_nc_u32_e32 v26, 2, v6
	s_mov_b32 s2, exec_lo
	s_delay_alu instid0(VALU_DEP_1)
	v_cmpx_gt_u32_e64 s18, v26
	s_cbranch_execz .LBB1759_7
; %bb.6:
	global_load_u8 v7, v[2:3], off offset:2
.LBB1759_7:
	s_wait_xcnt 0x0
	s_or_b32 exec_lo, exec_lo, s2
	v_add_nc_u32_e32 v26, 3, v6
	s_mov_b32 s2, exec_lo
	s_delay_alu instid0(VALU_DEP_1)
	v_cmpx_gt_u32_e64 s18, v26
	;; [unrolled: 10-line block ×20, first 2 shown]
	s_cbranch_execz .LBB1759_45
; %bb.44:
	global_load_u8 v1, v[2:3], off offset:21
.LBB1759_45:
	s_wait_xcnt 0x0
	s_or_b32 exec_lo, exec_lo, s2
	s_wait_loadcnt 0x0
	v_dual_mov_b32 v63, 0 :: v_dual_bitop2_b32 v2, 1, v24 bitop3:0x40
	s_lshl_b32 s23, -1, s17
	v_and_b32_e32 v7, 1, v7
	v_and_b32_e32 v23, 1, v23
	s_delay_alu instid0(VALU_DEP_3)
	v_cmp_eq_u32_e32 vcc_lo, 1, v2
	v_and_b32_e32 v20, 1, v20
	v_and_b32_e32 v18, 1, v18
	;; [unrolled: 1-line block ×4, first 2 shown]
	s_xor_b32 s2, vcc_lo, -1
	v_and_b32_e32 v12, 1, v12
	v_cndmask_b32_e64 v24, 0, 1, s2
	v_and_b32_e32 v10, 1, v10
	v_and_b32_e32 v8, 1, v8
	;; [unrolled: 1-line block ×3, first 2 shown]
	s_delay_alu instid0(VALU_DEP_4) | instskip(SKIP_3) | instid1(VALU_DEP_4)
	v_dual_lshrrev_b32 v2, s16, v24 :: v_dual_bitop2_b32 v3, 1, v25 bitop3:0x40
	v_and_b32_e32 v22, 1, v22
	v_and_b32_e32 v21, 1, v21
	;; [unrolled: 1-line block ×3, first 2 shown]
	v_cmp_eq_u32_e32 vcc_lo, 1, v3
	v_bitop3_b32 v2, v2, s23, v2 bitop3:0x30
	v_and_b32_e32 v17, 1, v17
	v_and_b32_e32 v15, 1, v15
	;; [unrolled: 1-line block ×3, first 2 shown]
	s_xor_b32 s2, vcc_lo, -1
	v_cmp_eq_u32_e32 vcc_lo, 1, v7
	v_cndmask_b32_e64 v25, 0, 1, s2
	v_dual_lshlrev_b32 v61, 2, v0 :: v_dual_bitop2_b32 v11, 1, v11 bitop3:0x40
	v_and_b32_e32 v9, 1, v9
	s_xor_b32 s2, vcc_lo, -1
	s_delay_alu instid0(VALU_DEP_3) | instskip(NEXT) | instid1(VALU_DEP_3)
	v_lshrrev_b32_e32 v3, s16, v25
	v_lshl_or_b32 v2, v2, 12, v61
	ds_store_2addr_stride64_b32 v61, v63, v63 offset1:16
	v_cndmask_b32_e64 v7, 0, 1, s2
	v_cmp_eq_u32_e32 vcc_lo, 1, v23
	v_bitop3_b32 v3, v3, s23, v3 bitop3:0x30
	ds_load_u16 v26, v2
	v_dual_lshrrev_b32 v28, s16, v7 :: v_dual_bitop2_b32 v5, 1, v5 bitop3:0x40
	s_xor_b32 s2, vcc_lo, -1
	v_lshl_or_b32 v3, v3, 12, v61
	v_cndmask_b32_e64 v23, 0, 1, s2
	v_cmp_eq_u32_e32 vcc_lo, 1, v22
	v_bitop3_b32 v28, v28, s23, v28 bitop3:0x30
	v_and_b32_e32 v1, 1, v1
	s_xor_b32 s2, vcc_lo, -1
	s_delay_alu instid0(VALU_DEP_2)
	v_lshl_or_b32 v37, v28, 12, v61
	v_cndmask_b32_e64 v22, 0, 1, s2
	v_cmp_eq_u32_e32 vcc_lo, 1, v21
	s_xor_b32 s2, vcc_lo, -1
	s_wait_dscnt 0x0
	v_add_nc_u16 v27, v26, 1
	v_cndmask_b32_e64 v21, 0, 1, s2
	v_cmp_eq_u32_e32 vcc_lo, 1, v20
	ds_store_b16 v2, v27
	ds_load_u16 v27, v3
	s_xor_b32 s2, vcc_lo, -1
	v_cmp_eq_u32_e32 vcc_lo, 1, v19
	v_cndmask_b32_e64 v20, 0, 1, s2
	s_xor_b32 s2, vcc_lo, -1
	v_cmp_eq_u32_e32 vcc_lo, 1, v18
	v_cndmask_b32_e64 v19, 0, 1, s2
	;; [unrolled: 3-line block ×3, first 2 shown]
	s_xor_b32 s2, vcc_lo, -1
	s_wait_dscnt 0x0
	v_add_nc_u16 v29, v27, 1
	v_cndmask_b32_e64 v17, 0, 1, s2
	v_cmp_eq_u32_e32 vcc_lo, 1, v16
	ds_store_b16 v3, v29
	ds_load_u16 v28, v37
	v_lshrrev_b32_e32 v29, s16, v23
	s_xor_b32 s2, vcc_lo, -1
	v_cmp_eq_u32_e32 vcc_lo, 1, v15
	v_cndmask_b32_e64 v16, 0, 1, s2
	s_delay_alu instid0(VALU_DEP_3) | instskip(SKIP_3) | instid1(VALU_DEP_3)
	v_bitop3_b32 v29, v29, s23, v29 bitop3:0x30
	s_xor_b32 s2, vcc_lo, -1
	v_cmp_eq_u32_e32 vcc_lo, 1, v14
	v_cndmask_b32_e64 v15, 0, 1, s2
	v_lshl_or_b32 v40, v29, 12, v61
	s_xor_b32 s2, vcc_lo, -1
	v_cmp_eq_u32_e32 vcc_lo, 1, v13
	v_cndmask_b32_e64 v14, 0, 1, s2
	s_wait_dscnt 0x0
	v_add_nc_u16 v30, v28, 1
	s_xor_b32 s2, vcc_lo, -1
	v_cmp_eq_u32_e32 vcc_lo, 1, v12
	v_cndmask_b32_e64 v13, 0, 1, s2
	ds_store_b16 v37, v30
	ds_load_u16 v29, v40
	v_lshrrev_b32_e32 v30, s16, v22
	s_xor_b32 s2, vcc_lo, -1
	v_cmp_eq_u32_e32 vcc_lo, 1, v11
	v_cndmask_b32_e64 v12, 0, 1, s2
	s_delay_alu instid0(VALU_DEP_3) | instskip(SKIP_3) | instid1(VALU_DEP_3)
	v_bitop3_b32 v30, v30, s23, v30 bitop3:0x30
	s_xor_b32 s2, vcc_lo, -1
	v_cmp_eq_u32_e32 vcc_lo, 1, v10
	v_cndmask_b32_e64 v11, 0, 1, s2
	v_lshl_or_b32 v43, v30, 12, v61
	s_xor_b32 s2, vcc_lo, -1
	v_cmp_eq_u32_e32 vcc_lo, 1, v9
	v_cndmask_b32_e64 v10, 0, 1, s2
	s_wait_dscnt 0x0
	v_add_nc_u16 v31, v29, 1
	s_xor_b32 s2, vcc_lo, -1
	v_cmp_eq_u32_e32 vcc_lo, 1, v8
	v_cndmask_b32_e64 v9, 0, 1, s2
	ds_store_b16 v40, v31
	ds_load_u16 v30, v43
	v_lshrrev_b32_e32 v31, s16, v21
	s_xor_b32 s2, vcc_lo, -1
	v_cmp_eq_u32_e32 vcc_lo, 1, v5
	v_cndmask_b32_e64 v8, 0, 1, s2
	s_delay_alu instid0(VALU_DEP_3) | instskip(SKIP_2) | instid1(VALU_DEP_2)
	v_bitop3_b32 v31, v31, s23, v31 bitop3:0x30
	s_xor_b32 s2, vcc_lo, -1
	v_cmp_eq_u32_e32 vcc_lo, 1, v45
	v_lshl_or_b32 v46, v31, 12, v61
	s_wait_dscnt 0x0
	v_add_nc_u16 v32, v30, 1
	ds_store_b16 v43, v32
	ds_load_u16 v31, v46
	v_lshrrev_b32_e32 v32, s16, v20
	s_delay_alu instid0(VALU_DEP_1) | instskip(NEXT) | instid1(VALU_DEP_1)
	v_bitop3_b32 v32, v32, s23, v32 bitop3:0x30
	v_lshl_or_b32 v48, v32, 12, v61
	s_wait_dscnt 0x0
	v_add_nc_u16 v33, v31, 1
	ds_store_b16 v46, v33
	ds_load_u16 v32, v48
	v_lshrrev_b32_e32 v33, s16, v19
	s_delay_alu instid0(VALU_DEP_1) | instskip(NEXT) | instid1(VALU_DEP_1)
	v_bitop3_b32 v33, v33, s23, v33 bitop3:0x30
	v_lshl_or_b32 v50, v33, 12, v61
	s_wait_dscnt 0x0
	v_add_nc_u16 v34, v32, 1
	ds_store_b16 v48, v34
	ds_load_u16 v33, v50
	v_lshrrev_b32_e32 v34, s16, v18
	s_delay_alu instid0(VALU_DEP_1) | instskip(NEXT) | instid1(VALU_DEP_1)
	v_bitop3_b32 v34, v34, s23, v34 bitop3:0x30
	v_lshl_or_b32 v52, v34, 12, v61
	s_wait_dscnt 0x0
	v_add_nc_u16 v35, v33, 1
	ds_store_b16 v50, v35
	ds_load_u16 v34, v52
	v_lshrrev_b32_e32 v35, s16, v17
	s_delay_alu instid0(VALU_DEP_1) | instskip(NEXT) | instid1(VALU_DEP_1)
	v_bitop3_b32 v35, v35, s23, v35 bitop3:0x30
	v_lshl_or_b32 v54, v35, 12, v61
	s_wait_dscnt 0x0
	v_add_nc_u16 v36, v34, 1
	ds_store_b16 v52, v36
	ds_load_u16 v35, v54
	v_lshrrev_b32_e32 v36, s16, v16
	s_delay_alu instid0(VALU_DEP_1) | instskip(NEXT) | instid1(VALU_DEP_1)
	v_bitop3_b32 v36, v36, s23, v36 bitop3:0x30
	v_lshl_or_b32 v55, v36, 12, v61
	s_wait_dscnt 0x0
	v_add_nc_u16 v38, v35, 1
	ds_store_b16 v54, v38
	ds_load_u16 v36, v55
	v_lshrrev_b32_e32 v38, s16, v15
	s_delay_alu instid0(VALU_DEP_1) | instskip(NEXT) | instid1(VALU_DEP_1)
	v_bitop3_b32 v38, v38, s23, v38 bitop3:0x30
	v_lshl_or_b32 v57, v38, 12, v61
	s_wait_dscnt 0x0
	v_add_nc_u16 v39, v36, 1
	ds_store_b16 v55, v39
	ds_load_u16 v38, v57
	v_lshrrev_b32_e32 v39, s16, v14
	s_delay_alu instid0(VALU_DEP_1) | instskip(NEXT) | instid1(VALU_DEP_1)
	v_bitop3_b32 v39, v39, s23, v39 bitop3:0x30
	v_lshl_or_b32 v58, v39, 12, v61
	v_lshrrev_b32_e32 v39, s16, v13
	s_delay_alu instid0(VALU_DEP_1) | instskip(SKIP_2) | instid1(VALU_DEP_2)
	v_bitop3_b32 v39, v39, s23, v39 bitop3:0x30
	s_wait_dscnt 0x0
	v_add_nc_u16 v41, v38, 1
	v_lshl_or_b32 v60, v39, 12, v61
	v_lshrrev_b32_e32 v39, s16, v12
	ds_store_b16 v57, v41
	ds_load_u16 v41, v58
	v_bitop3_b32 v39, v39, s23, v39 bitop3:0x30
	s_delay_alu instid0(VALU_DEP_1) | instskip(SKIP_1) | instid1(VALU_DEP_1)
	v_lshl_or_b32 v62, v39, 12, v61
	v_lshrrev_b32_e32 v39, s16, v11
	v_bitop3_b32 v39, v39, s23, v39 bitop3:0x30
	s_delay_alu instid0(VALU_DEP_1) | instskip(SKIP_3) | instid1(VALU_DEP_2)
	v_lshl_or_b32 v64, v39, 12, v61
	v_lshrrev_b32_e32 v39, s16, v10
	s_wait_dscnt 0x0
	v_add_nc_u16 v42, v41, 1
	v_bitop3_b32 v39, v39, s23, v39 bitop3:0x30
	ds_store_b16 v58, v42
	ds_load_u16 v44, v60
	v_lshl_or_b32 v65, v39, 12, v61
	v_lshrrev_b32_e32 v39, s16, v9
	s_delay_alu instid0(VALU_DEP_1) | instskip(NEXT) | instid1(VALU_DEP_1)
	v_bitop3_b32 v39, v39, s23, v39 bitop3:0x30
	v_lshl_or_b32 v66, v39, 12, v61
	v_lshrrev_b32_e32 v39, s16, v8
	s_wait_dscnt 0x0
	v_add_nc_u16 v42, v44, 1
	s_delay_alu instid0(VALU_DEP_2)
	v_bitop3_b32 v39, v39, s23, v39 bitop3:0x30
	ds_store_b16 v60, v42
	ds_load_u16 v47, v62
	v_lshl_or_b32 v67, v39, 12, v61
	v_cndmask_b32_e64 v39, 0, 1, s2
	s_xor_b32 s2, vcc_lo, -1
	v_cmp_eq_u32_e32 vcc_lo, 1, v1
	s_wait_dscnt 0x0
	v_add_nc_u16 v42, v47, 1
	ds_store_b16 v62, v42
	ds_load_u16 v49, v64
	s_wait_dscnt 0x0
	v_add_nc_u16 v42, v49, 1
	ds_store_b16 v64, v42
	ds_load_u16 v51, v65
	;; [unrolled: 4-line block ×4, first 2 shown]
	v_lshrrev_b32_e32 v42, s16, v39
	s_delay_alu instid0(VALU_DEP_1) | instskip(NEXT) | instid1(VALU_DEP_1)
	v_bitop3_b32 v42, v42, s23, v42 bitop3:0x30
	v_lshl_or_b32 v4, v42, 12, v61
	v_cndmask_b32_e64 v42, 0, 1, s2
	s_xor_b32 s2, vcc_lo, -1
	s_delay_alu instid0(VALU_DEP_1) | instskip(SKIP_2) | instid1(VALU_DEP_2)
	v_lshrrev_b32_e32 v45, s16, v42
	s_wait_dscnt 0x0
	v_add_nc_u16 v56, v5, 1
	v_bitop3_b32 v45, v45, s23, v45 bitop3:0x30
	ds_store_b16 v67, v56
	ds_load_u16 v56, v4
	v_lshl_or_b32 v68, v45, 12, v61
	v_cndmask_b32_e64 v45, 0, 1, s2
	s_wait_dscnt 0x0
	v_add_nc_u16 v59, v56, 1
	ds_store_b16 v4, v59
	ds_load_u16 v1, v68
	v_lshrrev_b32_e32 v59, s16, v45
	s_wait_dscnt 0x0
	v_add_nc_u16 v70, v1, 1
	ds_store_b16 v68, v70
	v_lshlrev_b32_e32 v70, 5, v0
	v_bitop3_b32 v59, v59, s23, v59 bitop3:0x30
	s_delay_alu instid0(VALU_DEP_1)
	v_lshl_or_b32 v69, v59, 12, v61
	ds_load_u16 v59, v69
	s_wait_dscnt 0x0
	v_add_nc_u16 v71, v59, 1
	ds_store_2addr_stride64_b32 v61, v63, v63 offset0:32 offset1:48
	ds_store_2addr_stride64_b32 v61, v63, v63 offset0:64 offset1:80
	;; [unrolled: 1-line block ×3, first 2 shown]
	ds_store_b16 v69, v71
	s_wait_dscnt 0x0
	s_barrier_signal -1
	s_barrier_wait -1
	ds_load_2addr_b64 v[72:75], v70 offset1:1
	ds_load_2addr_b64 v[76:79], v70 offset0:2 offset1:3
	s_wait_dscnt 0x1
	v_add_nc_u32_e32 v61, v73, v72
	s_delay_alu instid0(VALU_DEP_1) | instskip(SKIP_1) | instid1(VALU_DEP_1)
	v_add3_u32 v61, v61, v74, v75
	s_wait_dscnt 0x0
	v_add3_u32 v61, v61, v76, v77
	s_delay_alu instid0(VALU_DEP_1) | instskip(SKIP_1) | instid1(VALU_DEP_2)
	v_add3_u32 v63, v61, v78, v79
	v_mbcnt_lo_u32_b32 v61, -1, 0
	v_mov_b32_dpp v72, v63 row_shr:1 row_mask:0xf bank_mask:0xf
	s_delay_alu instid0(VALU_DEP_2) | instskip(SKIP_1) | instid1(VALU_DEP_2)
	v_and_b32_e32 v71, 15, v61
	v_bfe_i32 v73, v61, 4, 1
	v_cmp_eq_u32_e32 vcc_lo, 0, v71
	v_cmp_lt_u32_e64 s2, 1, v71
	v_cndmask_b32_e64 v72, v72, 0, vcc_lo
	s_delay_alu instid0(VALU_DEP_1) | instskip(NEXT) | instid1(VALU_DEP_1)
	v_add_nc_u32_e32 v63, v72, v63
	v_mov_b32_dpp v72, v63 row_shr:2 row_mask:0xf bank_mask:0xf
	s_delay_alu instid0(VALU_DEP_1) | instskip(NEXT) | instid1(VALU_DEP_1)
	v_cndmask_b32_e64 v72, 0, v72, s2
	v_add_nc_u32_e32 v63, v63, v72
	v_cmp_lt_u32_e64 s3, 3, v71
	v_cmp_lt_u32_e64 s4, 7, v71
	s_delay_alu instid0(VALU_DEP_3) | instskip(NEXT) | instid1(VALU_DEP_1)
	v_mov_b32_dpp v72, v63 row_shr:4 row_mask:0xf bank_mask:0xf
	v_cndmask_b32_e64 v72, 0, v72, s3
	s_delay_alu instid0(VALU_DEP_1) | instskip(NEXT) | instid1(VALU_DEP_1)
	v_add_nc_u32_e32 v63, v63, v72
	v_mov_b32_dpp v72, v63 row_shr:8 row_mask:0xf bank_mask:0xf
	s_delay_alu instid0(VALU_DEP_1) | instskip(NEXT) | instid1(VALU_DEP_1)
	v_cndmask_b32_e64 v71, 0, v72, s4
	v_dual_add_nc_u32 v63, v63, v71 :: v_dual_bitop2_b32 v72, 31, v0 bitop3:0x40
	ds_swizzle_b32 v71, v63 offset:swizzle(BROADCAST,32,15)
	s_wait_dscnt 0x0
	v_dual_lshrrev_b32 v73, 5, v0 :: v_dual_bitop2_b32 v71, v73, v71 bitop3:0x40
	v_cmp_eq_u32_e64 s6, 31, v72
	s_delay_alu instid0(VALU_DEP_2) | instskip(NEXT) | instid1(VALU_DEP_3)
	v_dual_add_nc_u32 v63, v63, v71 :: v_dual_bitop2_b32 v72, 16, v61 bitop3:0x40
	v_lshlrev_b32_e32 v71, 2, v73
	s_delay_alu instid0(VALU_DEP_2)
	v_cmp_eq_u32_e64 s5, 0, v72
	s_and_saveexec_b32 s7, s6
; %bb.46:
	ds_store_b32 v71, v63 offset:32768
; %bb.47:
	s_or_b32 exec_lo, exec_lo, s7
	v_cmp_lt_u32_e64 s6, 31, v0
	s_mov_b32 s24, exec_lo
	s_wait_dscnt 0x0
	s_barrier_signal -1
	s_barrier_wait -1
	v_cmpx_gt_u32_e32 32, v0
	s_cbranch_execz .LBB1759_49
; %bb.48:
	v_mad_i32_i24 v72, 0xffffffe4, v0, v70
	ds_load_b32 v73, v72 offset:32768
	s_wait_dscnt 0x0
	v_mov_b32_dpp v74, v73 row_shr:1 row_mask:0xf bank_mask:0xf
	s_delay_alu instid0(VALU_DEP_1) | instskip(NEXT) | instid1(VALU_DEP_1)
	v_cndmask_b32_e64 v74, v74, 0, vcc_lo
	v_add_nc_u32_e32 v73, v74, v73
	s_delay_alu instid0(VALU_DEP_1) | instskip(NEXT) | instid1(VALU_DEP_1)
	v_mov_b32_dpp v74, v73 row_shr:2 row_mask:0xf bank_mask:0xf
	v_cndmask_b32_e64 v74, 0, v74, s2
	s_delay_alu instid0(VALU_DEP_1) | instskip(NEXT) | instid1(VALU_DEP_1)
	v_add_nc_u32_e32 v73, v73, v74
	v_mov_b32_dpp v74, v73 row_shr:4 row_mask:0xf bank_mask:0xf
	s_delay_alu instid0(VALU_DEP_1) | instskip(NEXT) | instid1(VALU_DEP_1)
	v_cndmask_b32_e64 v74, 0, v74, s3
	v_add_nc_u32_e32 v73, v73, v74
	s_delay_alu instid0(VALU_DEP_1) | instskip(NEXT) | instid1(VALU_DEP_1)
	v_mov_b32_dpp v74, v73 row_shr:8 row_mask:0xf bank_mask:0xf
	v_cndmask_b32_e64 v74, 0, v74, s4
	s_delay_alu instid0(VALU_DEP_1) | instskip(SKIP_3) | instid1(VALU_DEP_1)
	v_add_nc_u32_e32 v73, v73, v74
	ds_swizzle_b32 v74, v73 offset:swizzle(BROADCAST,32,15)
	s_wait_dscnt 0x0
	v_cndmask_b32_e64 v74, v74, 0, s5
	v_add_nc_u32_e32 v73, v73, v74
	ds_store_b32 v72, v73 offset:32768
.LBB1759_49:
	s_or_b32 exec_lo, exec_lo, s24
	v_dual_mov_b32 v73, 0 :: v_dual_mov_b32 v72, 0
	s_wait_dscnt 0x0
	s_barrier_signal -1
	s_barrier_wait -1
	s_and_saveexec_b32 s2, s6
; %bb.50:
	ds_load_b32 v72, v71 offset:32764
; %bb.51:
	s_or_b32 exec_lo, exec_lo, s2
	v_sub_co_u32 v71, vcc_lo, v61, 1
	s_wait_dscnt 0x0
	v_add_nc_u32_e32 v63, v72, v63
	s_delay_alu instid0(VALU_DEP_2) | instskip(NEXT) | instid1(VALU_DEP_1)
	v_cmp_gt_i32_e64 s2, 0, v71
	v_cndmask_b32_e64 v61, v71, v61, s2
	v_cmp_gt_u32_e64 s2, 16, v0
	s_delay_alu instid0(VALU_DEP_2)
	v_lshlrev_b32_e32 v61, 2, v61
	ds_bpermute_b32 v61, v61, v63
	ds_load_b32 v63, v73 offset:32892
	ds_load_2addr_b64 v[74:77], v70 offset1:1
	ds_load_b32 v71, v70 offset:24
	ds_load_b64 v[78:79], v70 offset:16
	s_wait_dscnt 0x4
	v_cndmask_b32_e32 v61, v61, v72, vcc_lo
	v_cmp_lt_u32_e32 vcc_lo, 15, v0
	s_wait_dscnt 0x3
	s_delay_alu instid0(VALU_DEP_2) | instskip(SKIP_1) | instid1(VALU_DEP_1)
	v_lshl_add_u32 v72, v63, 16, v61
	s_wait_dscnt 0x2
	v_add_nc_u32_e32 v73, v72, v74
	s_delay_alu instid0(VALU_DEP_1) | instskip(NEXT) | instid1(VALU_DEP_1)
	v_add_nc_u32_e32 v74, v75, v73
	v_add_nc_u32_e32 v75, v76, v74
	s_delay_alu instid0(VALU_DEP_1) | instskip(SKIP_1) | instid1(VALU_DEP_1)
	v_add_nc_u32_e32 v76, v77, v75
	s_wait_dscnt 0x0
	v_add_nc_u32_e32 v77, v78, v76
	s_delay_alu instid0(VALU_DEP_1) | instskip(NEXT) | instid1(VALU_DEP_1)
	v_add_nc_u32_e32 v78, v79, v77
	v_add_nc_u32_e32 v79, v71, v78
	ds_store_2addr_b64 v70, v[72:73], v[74:75] offset1:1
	ds_store_2addr_b64 v70, v[76:77], v[78:79] offset0:2 offset1:3
	s_wait_dscnt 0x0
	s_barrier_signal -1
	s_barrier_wait -1
	ds_load_u16 v61, v2
	ds_load_u16 v63, v3
	;; [unrolled: 1-line block ×22, first 2 shown]
	v_mov_b64_e32 v[2:3], 0
                                        ; implicit-def: $vgpr4
	s_and_saveexec_b32 s4, s2
	s_cbranch_execz .LBB1759_55
; %bb.52:
	v_dual_lshlrev_b32 v2, 12, v0 :: v_dual_lshrrev_b32 v3, 2, v0
	v_add_nc_u32_e32 v4, 1, v0
	s_mov_b32 s5, exec_lo
	s_delay_alu instid0(VALU_DEP_2)
	v_bitop3_b32 v2, v2, 0x70fe, v3 bitop3:0xc8
	v_mov_b32_e32 v3, 0x5800
	ds_load_u16 v2, v2
	v_cmpx_ne_u32_e32 16, v4
; %bb.53:
	v_dual_lshlrev_b32 v3, 12, v4 :: v_dual_lshrrev_b32 v4, 2, v4
	s_delay_alu instid0(VALU_DEP_1)
	v_bitop3_b32 v3, v3, 0x71fe, v4 bitop3:0xc8
	ds_load_u16 v3, v3
; %bb.54:
	s_or_b32 exec_lo, exec_lo, s5
	s_wait_dscnt 0x0
	v_and_b32_e32 v2, 0xffff, v2
	s_mov_b32 s3, 0
	s_delay_alu instid0(VALU_DEP_1) | instid1(SALU_CYCLE_1)
	v_dual_mov_b32 v3, s3 :: v_dual_sub_nc_u32 v4, v3, v2
.LBB1759_55:
	s_or_b32 exec_lo, exec_lo, s4
	s_wait_dscnt 0x15
	v_and_b32_e32 v61, 0xffff, v61
	v_and_b32_e32 v26, 0xffff, v26
	s_wait_dscnt 0x14
	v_and_b32_e32 v63, 0xffff, v63
	v_and_b32_e32 v27, 0xffff, v27
	;; [unrolled: 3-line block ×4, first 2 shown]
	v_dual_add_nc_u32 v26, v61, v26 :: v_dual_add_nc_u32 v27, v63, v27
	s_wait_dscnt 0x11
	v_and_b32_e32 v43, 0xffff, v43
	v_and_b32_e32 v30, 0xffff, v30
	s_wait_dscnt 0x10
	v_and_b32_e32 v46, 0xffff, v46
	v_and_b32_e32 v31, 0xffff, v31
	v_add_nc_u32_e32 v28, v37, v28
	s_wait_dscnt 0xf
	v_and_b32_e32 v48, 0xffff, v48
	v_and_b32_e32 v32, 0xffff, v32
	s_wait_dscnt 0xe
	v_and_b32_e32 v50, 0xffff, v50
	v_and_b32_e32 v33, 0xffff, v33
	s_wait_dscnt 0xd
	v_and_b32_e32 v52, 0xffff, v52
	v_and_b32_e32 v34, 0xffff, v34
	s_wait_dscnt 0x0
	s_barrier_signal -1
	s_barrier_wait -1
	ds_store_b8 v26, v24 offset:128
	ds_store_b8 v27, v25 offset:128
	;; [unrolled: 1-line block ×3, first 2 shown]
	v_add_nc_u32_e32 v7, v40, v29
	v_and_b32_e32 v54, 0xffff, v54
	v_and_b32_e32 v35, 0xffff, v35
	v_dual_add_nc_u32 v24, v43, v30 :: v_dual_add_nc_u32 v25, v46, v31
	v_and_b32_e32 v55, 0xffff, v55
	v_and_b32_e32 v36, 0xffff, v36
	;; [unrolled: 1-line block ×4, first 2 shown]
	v_dual_add_nc_u32 v26, v48, v32 :: v_dual_add_nc_u32 v27, v50, v33
	v_and_b32_e32 v58, 0xffff, v58
	v_and_b32_e32 v41, 0xffff, v41
	;; [unrolled: 1-line block ×4, first 2 shown]
	ds_store_b8 v7, v23 offset:128
	ds_store_b8 v24, v22 offset:128
	;; [unrolled: 1-line block ×5, first 2 shown]
	v_dual_add_nc_u32 v7, v52, v34 :: v_dual_add_nc_u32 v19, v54, v35
	v_and_b32_e32 v62, 0xffff, v62
	v_and_b32_e32 v47, 0xffff, v47
	;; [unrolled: 1-line block ×4, first 2 shown]
	v_dual_add_nc_u32 v20, v55, v36 :: v_dual_add_nc_u32 v21, v57, v38
	v_and_b32_e32 v65, 0xffff, v65
	v_and_b32_e32 v51, 0xffff, v51
	;; [unrolled: 1-line block ×4, first 2 shown]
	v_add_nc_u32_e32 v22, v58, v41
	ds_store_b8 v7, v18 offset:128
	ds_store_b8 v19, v17 offset:128
	;; [unrolled: 1-line block ×5, first 2 shown]
	v_dual_add_nc_u32 v7, v60, v44 :: v_dual_add_nc_u32 v14, v62, v47
	v_dual_add_nc_u32 v15, v64, v49 :: v_dual_add_nc_u32 v16, v65, v51
	v_add_nc_u32_e32 v17, v66, v53
	v_and_b32_e32 v67, 0xffff, v67
	v_and_b32_e32 v70, 0xffff, v70
	v_and_b32_e32 v68, 0xffff, v68
	v_and_b32_e32 v69, 0xffff, v69
	v_and_b32_e32 v5, 0xffff, v5
	v_and_b32_e32 v56, 0xffff, v56
	v_and_b32_e32 v1, 0xffff, v1
	v_and_b32_e32 v59, 0xffff, v59
	ds_store_b8 v7, v13 offset:128
	ds_store_b8 v14, v12 offset:128
	;; [unrolled: 1-line block ×5, first 2 shown]
	v_dual_mov_b32 v9, 0 :: v_dual_add_nc_u32 v7, v67, v5
	v_dual_add_nc_u32 v10, v70, v56 :: v_dual_add_nc_u32 v11, v68, v1
	v_dual_add_nc_u32 v12, v69, v59 :: v_dual_lshlrev_b32 v5, 3, v0
	s_delay_alu instid0(VALU_DEP_3)
	v_mov_b32_e32 v1, v9
	s_not_b32 s3, s23
	ds_store_b8 v7, v8 offset:128
	ds_store_b8 v10, v39 offset:128
	;; [unrolled: 1-line block ×4, first 2 shown]
	s_and_saveexec_b32 s4, s2
	s_cbranch_execz .LBB1759_65
; %bb.56:
	v_lshl_add_u32 v8, s19, 4, v0
	v_dual_mov_b32 v12, 0 :: v_dual_bitop2_b32 v7, 2.0, v4 bitop3:0x54
	s_mov_b32 s5, 0
	s_mov_b32 s6, s19
	s_delay_alu instid0(VALU_DEP_2)
	v_lshl_add_u64 v[10:11], v[8:9], 2, s[20:21]
	global_store_b32 v8, v7, s[20:21] scale_offset scope:SCOPE_DEV
                                        ; implicit-def: $sgpr2
	s_branch .LBB1759_59
.LBB1759_57:                            ;   in Loop: Header=BB1759_59 Depth=1
	s_or_b32 exec_lo, exec_lo, s23
.LBB1759_58:                            ;   in Loop: Header=BB1759_59 Depth=1
	s_delay_alu instid0(SALU_CYCLE_1) | instskip(SKIP_2) | instid1(VALU_DEP_2)
	s_or_b32 exec_lo, exec_lo, s7
	v_and_b32_e32 v8, 0x3fffffff, v7
	v_cmp_gt_i32_e64 s2, -2.0, v7
	v_add_nc_u32_e32 v12, v8, v12
	s_and_b32 s7, exec_lo, s2
	s_delay_alu instid0(SALU_CYCLE_1) | instskip(NEXT) | instid1(SALU_CYCLE_1)
	s_or_b32 s5, s7, s5
	s_and_not1_b32 exec_lo, exec_lo, s5
	s_cbranch_execz .LBB1759_64
.LBB1759_59:                            ; =>This Loop Header: Depth=1
                                        ;     Child Loop BB1759_62 Depth 2
	s_or_b32 s2, s2, exec_lo
	s_cmp_eq_u32 s6, 0
	s_cbranch_scc1 .LBB1759_63
; %bb.60:                               ;   in Loop: Header=BB1759_59 Depth=1
	s_add_co_i32 s6, s6, -1
	s_mov_b32 s7, exec_lo
	s_wait_xcnt 0x0
	v_lshl_or_b32 v8, s6, 4, v0
	global_load_b32 v7, v8, s[20:21] scale_offset scope:SCOPE_DEV
	s_wait_loadcnt 0x0
	v_cmpx_gt_u32_e32 2.0, v7
	s_cbranch_execz .LBB1759_58
; %bb.61:                               ;   in Loop: Header=BB1759_59 Depth=1
	v_lshl_add_u64 v[14:15], v[8:9], 2, s[20:21]
	s_mov_b32 s23, 0
.LBB1759_62:                            ;   Parent Loop BB1759_59 Depth=1
                                        ; =>  This Inner Loop Header: Depth=2
	global_load_b32 v7, v[14:15], off scope:SCOPE_DEV
	s_wait_loadcnt 0x0
	v_cmp_lt_u32_e64 s2, 0x3fffffff, v7
	s_or_b32 s23, s2, s23
	s_wait_xcnt 0x0
	s_and_not1_b32 exec_lo, exec_lo, s23
	s_cbranch_execnz .LBB1759_62
	s_branch .LBB1759_57
.LBB1759_63:                            ;   in Loop: Header=BB1759_59 Depth=1
                                        ; implicit-def: $sgpr6
	s_and_b32 s7, exec_lo, s2
	s_delay_alu instid0(SALU_CYCLE_1)
	s_or_b32 s5, s7, s5
	s_wait_xcnt 0x0
	s_and_not1_b32 exec_lo, exec_lo, s5
	s_cbranch_execnz .LBB1759_59
.LBB1759_64:
	s_or_b32 exec_lo, exec_lo, s5
	v_dual_add_nc_u32 v7, v12, v4 :: v_dual_mov_b32 v13, 0
	s_delay_alu instid0(VALU_DEP_1)
	v_or_b32_e32 v7, 0x80000000, v7
	global_store_b32 v[10:11], v7, off scope:SCOPE_DEV
	global_load_b64 v[8:9], v0, s[8:9] scale_offset
	s_wait_xcnt 0x1
	v_sub_nc_u64_e32 v[10:11], v[12:13], v[2:3]
	s_wait_loadcnt 0x0
	s_delay_alu instid0(VALU_DEP_1)
	v_add_nc_u64_e32 v[8:9], v[10:11], v[8:9]
	ds_store_b64 v5, v[8:9]
.LBB1759_65:
	s_wait_xcnt 0x0
	s_or_b32 exec_lo, exec_lo, s4
	s_delay_alu instid0(SALU_CYCLE_1)
	s_mov_b32 s4, exec_lo
	s_wait_storecnt_dscnt 0x0
	s_barrier_signal -1
	s_barrier_wait -1
	v_cmpx_gt_u32_e64 s18, v0
	s_cbranch_execz .LBB1759_67
; %bb.66:
	ds_load_u8 v7, v0 offset:128
	s_wait_dscnt 0x0
	v_and_b32_e32 v8, 1, v7
	s_delay_alu instid0(VALU_DEP_1) | instskip(NEXT) | instid1(VALU_DEP_1)
	v_dual_lshrrev_b32 v8, s16, v8 :: v_dual_bitop2_b32 v7, 1, v7 bitop3:0x14
	v_and_b32_e32 v8, s3, v8
	s_delay_alu instid0(VALU_DEP_1) | instskip(SKIP_3) | instid1(VALU_DEP_1)
	v_lshlrev_b32_e32 v8, 3, v8
	ds_load_b64 v[8:9], v8
	s_wait_dscnt 0x0
	v_add_nc_u64_e32 v[8:9], s[14:15], v[8:9]
	v_add_nc_u64_e32 v[8:9], v[8:9], v[0:1]
	global_store_b8 v[8:9], v7, off
.LBB1759_67:
	s_wait_xcnt 0x0
	s_or_b32 exec_lo, exec_lo, s4
	v_or_b32_e32 v7, 0x400, v0
	s_mov_b32 s4, exec_lo
	s_delay_alu instid0(VALU_DEP_1)
	v_cmpx_gt_u32_e64 s18, v7
	s_cbranch_execz .LBB1759_69
; %bb.68:
	ds_load_u8 v7, v0 offset:1152
	s_wait_dscnt 0x0
	v_and_b32_e32 v8, 1, v7
	s_delay_alu instid0(VALU_DEP_1) | instskip(NEXT) | instid1(VALU_DEP_1)
	v_dual_lshrrev_b32 v8, s16, v8 :: v_dual_bitop2_b32 v7, 1, v7 bitop3:0x14
	v_and_b32_e32 v8, s3, v8
	s_delay_alu instid0(VALU_DEP_1) | instskip(SKIP_3) | instid1(VALU_DEP_1)
	v_lshlrev_b32_e32 v8, 3, v8
	ds_load_b64 v[8:9], v8
	s_wait_dscnt 0x0
	v_add_nc_u64_e32 v[8:9], s[14:15], v[8:9]
	v_add_nc_u64_e32 v[8:9], v[8:9], v[0:1]
	global_store_b8 v[8:9], v7, off offset:1024
.LBB1759_69:
	s_wait_xcnt 0x0
	s_or_b32 exec_lo, exec_lo, s4
	v_or_b32_e32 v7, 0x800, v0
	s_mov_b32 s4, exec_lo
	s_delay_alu instid0(VALU_DEP_1)
	v_cmpx_gt_u32_e64 s18, v7
	s_cbranch_execz .LBB1759_71
; %bb.70:
	ds_load_u8 v7, v0 offset:2176
	s_wait_dscnt 0x0
	v_and_b32_e32 v8, 1, v7
	s_delay_alu instid0(VALU_DEP_1) | instskip(NEXT) | instid1(VALU_DEP_1)
	v_dual_lshrrev_b32 v8, s16, v8 :: v_dual_bitop2_b32 v7, 1, v7 bitop3:0x14
	v_and_b32_e32 v8, s3, v8
	s_delay_alu instid0(VALU_DEP_1) | instskip(SKIP_3) | instid1(VALU_DEP_1)
	v_lshlrev_b32_e32 v8, 3, v8
	ds_load_b64 v[8:9], v8
	s_wait_dscnt 0x0
	v_add_nc_u64_e32 v[8:9], s[14:15], v[8:9]
	v_add_nc_u64_e32 v[8:9], v[8:9], v[0:1]
	global_store_b8 v[8:9], v7, off offset:2048
.LBB1759_71:
	;; [unrolled: 22-line block ×20, first 2 shown]
	s_wait_xcnt 0x0
	s_or_b32 exec_lo, exec_lo, s4
	v_or_b32_e32 v7, 0x5400, v0
	s_mov_b32 s4, exec_lo
	s_delay_alu instid0(VALU_DEP_1)
	v_cmpx_gt_u32_e64 s18, v7
	s_cbranch_execz .LBB1759_109
; %bb.108:
	ds_load_u8 v7, v0 offset:21632
	s_wait_dscnt 0x0
	v_and_b32_e32 v8, 1, v7
	s_delay_alu instid0(VALU_DEP_1) | instskip(NEXT) | instid1(VALU_DEP_1)
	v_lshrrev_b32_e32 v8, s16, v8
	v_and_b32_e32 v8, s3, v8
	s_delay_alu instid0(VALU_DEP_1) | instskip(SKIP_3) | instid1(VALU_DEP_1)
	v_lshlrev_b32_e32 v8, 3, v8
	ds_load_b64 v[8:9], v8
	s_wait_dscnt 0x0
	v_add_nc_u64_e32 v[8:9], s[14:15], v[8:9]
	v_add_nc_u64_e32 v[8:9], v[8:9], v[0:1]
	v_xor_b32_e32 v1, 1, v7
	global_store_b8 v[8:9], v1, off offset:21504
.LBB1759_109:
	s_wait_xcnt 0x0
	s_or_b32 exec_lo, exec_lo, s4
	s_load_b32 s2, s[0:1], 0x58
	s_wait_kmcnt 0x0
	s_add_co_i32 s2, s2, -1
	s_delay_alu instid0(SALU_CYCLE_1) | instskip(SKIP_2) | instid1(SALU_CYCLE_1)
	s_cmp_eq_u32 s19, s2
	s_cselect_b32 s2, -1, 0
	s_xor_b32 s3, vcc_lo, -1
	s_and_b32 s3, s3, s2
	s_delay_alu instid0(SALU_CYCLE_1)
	s_and_saveexec_b32 s2, s3
	s_cbranch_execz .LBB1759_111
; %bb.110:
	ds_load_b64 v[8:9], v5
	v_mov_b32_e32 v5, 0
	s_delay_alu instid0(VALU_DEP_1) | instskip(SKIP_1) | instid1(VALU_DEP_1)
	v_add_nc_u64_e32 v[2:3], v[2:3], v[4:5]
	s_wait_dscnt 0x0
	v_add_nc_u64_e32 v[2:3], v[2:3], v[8:9]
	global_store_b64 v0, v[2:3], s[10:11] scale_offset
.LBB1759_111:
	s_wait_xcnt 0x0
	s_or_b32 exec_lo, exec_lo, s2
	s_mov_b32 s2, 0
.LBB1759_112:
	s_delay_alu instid0(SALU_CYCLE_1)
	s_and_b32 vcc_lo, exec_lo, s2
	s_cbranch_vccz .LBB1759_135
; %bb.113:
	s_mov_b32 s23, 0
	s_mov_b32 s7, exec_lo
	s_add_nc_u64 s[2:3], s[12:13], s[22:23]
	s_lshl_b32 s12, -1, s17
	s_clause 0x2
	global_load_b128 v[2:5], v6, s[2:3]
	global_load_b32 v14, v6, s[2:3] offset:16
	global_load_u16 v13, v6, s[2:3] offset:20
	v_dual_mov_b32 v28, 0 :: v_dual_lshlrev_b32 v17, 2, v0
	ds_store_2addr_stride64_b32 v17, v28, v28 offset1:16
	s_wait_loadcnt 0x2
	v_dual_lshrrev_b32 v7, 8, v2 :: v_dual_bitop2_b32 v1, 1, v2 bitop3:0x40
	v_dual_lshrrev_b32 v9, 16, v2 :: v_dual_lshrrev_b32 v11, 24, v2
	v_dual_lshrrev_b32 v20, 8, v3 :: v_dual_lshrrev_b32 v22, 16, v3
	s_delay_alu instid0(VALU_DEP_3)
	v_cmp_ne_u32_e32 vcc_lo, 1, v1
	v_lshrrev_b32_e32 v33, 8, v5
	s_wait_loadcnt 0x0
	v_dual_lshrrev_b32 v27, 8, v4 :: v_dual_bitop2_b32 v54, 1, v13 bitop3:0x40
	v_lshrrev_b32_e32 v40, 8, v14
	v_cndmask_b32_e64 v1, 0, 1, vcc_lo
	v_lshrrev_b32_e32 v13, 8, v13
	s_wait_xcnt 0x0
	s_delay_alu instid0(VALU_DEP_2) | instskip(NEXT) | instid1(VALU_DEP_2)
	v_lshrrev_b32_e32 v6, s16, v1
	v_and_b32_e32 v13, 1, v13
	s_delay_alu instid0(VALU_DEP_2) | instskip(NEXT) | instid1(VALU_DEP_1)
	v_bitop3_b32 v6, v6, s12, v6 bitop3:0x30
	v_lshl_or_b32 v12, v6, 12, v17
	v_and_b32_e32 v6, 1, v7
	ds_load_u16 v7, v12
	v_cmp_ne_u32_e32 vcc_lo, 1, v6
	v_cndmask_b32_e64 v6, 0, 1, vcc_lo
	s_delay_alu instid0(VALU_DEP_1) | instskip(NEXT) | instid1(VALU_DEP_1)
	v_lshrrev_b32_e32 v8, s16, v6
	v_bitop3_b32 v8, v8, s12, v8 bitop3:0x30
	s_wait_dscnt 0x0
	v_add_nc_u16 v10, v7, 1
	s_delay_alu instid0(VALU_DEP_2)
	v_lshl_or_b32 v16, v8, 12, v17
	v_and_b32_e32 v8, 1, v9
	ds_store_b16 v12, v10
	ds_load_u16 v9, v16
	v_cmp_ne_u32_e32 vcc_lo, 1, v8
	v_cndmask_b32_e64 v8, 0, 1, vcc_lo
	s_delay_alu instid0(VALU_DEP_1) | instskip(NEXT) | instid1(VALU_DEP_1)
	v_lshrrev_b32_e32 v10, s16, v8
	v_bitop3_b32 v10, v10, s12, v10 bitop3:0x30
	s_wait_dscnt 0x0
	v_add_nc_u16 v15, v9, 1
	s_delay_alu instid0(VALU_DEP_2)
	v_lshl_or_b32 v2, v10, 12, v17
	v_and_b32_e32 v10, 1, v11
	ds_store_b16 v16, v15
	;; [unrolled: 12-line block ×5, first 2 shown]
	ds_load_u16 v24, v45
	v_cmp_ne_u32_e32 vcc_lo, 1, v20
	v_lshrrev_b32_e32 v23, 24, v3
	v_cndmask_b32_e64 v20, 0, 1, vcc_lo
	s_delay_alu instid0(VALU_DEP_1) | instskip(NEXT) | instid1(VALU_DEP_1)
	v_lshrrev_b32_e32 v22, s16, v20
	v_bitop3_b32 v22, v22, s12, v22 bitop3:0x30
	s_wait_dscnt 0x0
	v_add_nc_u16 v25, v24, 1
	s_delay_alu instid0(VALU_DEP_2)
	v_lshl_or_b32 v3, v22, 12, v17
	v_and_b32_e32 v22, 1, v23
	ds_store_b16 v45, v25
	ds_load_u16 v32, v3
	v_cmp_ne_u32_e32 vcc_lo, 1, v22
	v_cndmask_b32_e64 v23, 0, 1, vcc_lo
	s_delay_alu instid0(VALU_DEP_1) | instskip(NEXT) | instid1(VALU_DEP_1)
	v_lshrrev_b32_e32 v22, s16, v23
	v_bitop3_b32 v22, v22, s12, v22 bitop3:0x30
	s_wait_dscnt 0x0
	v_add_nc_u16 v25, v32, 1
	s_delay_alu instid0(VALU_DEP_2)
	v_lshl_or_b32 v51, v22, 12, v17
	v_and_b32_e32 v22, 1, v4
	ds_store_b16 v3, v25
	ds_load_u16 v34, v51
	v_cmp_ne_u32_e32 vcc_lo, 1, v22
	v_cndmask_b32_e64 v22, 0, 1, vcc_lo
	s_delay_alu instid0(VALU_DEP_1) | instskip(NEXT) | instid1(VALU_DEP_1)
	v_lshrrev_b32_e32 v25, s16, v22
	v_bitop3_b32 v25, v25, s12, v25 bitop3:0x30
	s_wait_dscnt 0x0
	v_add_nc_u16 v29, v34, 1
	s_delay_alu instid0(VALU_DEP_2)
	v_lshl_or_b32 v53, v25, 12, v17
	v_and_b32_e32 v25, 1, v27
	ds_store_b16 v51, v29
	ds_load_u16 v35, v53
	v_lshrrev_b32_e32 v29, 16, v4
	v_cmp_ne_u32_e32 vcc_lo, 1, v25
	v_cndmask_b32_e64 v25, 0, 1, vcc_lo
	s_delay_alu instid0(VALU_DEP_1) | instskip(NEXT) | instid1(VALU_DEP_1)
	v_lshrrev_b32_e32 v27, s16, v25
	v_bitop3_b32 v27, v27, s12, v27 bitop3:0x30
	s_wait_dscnt 0x0
	v_add_nc_u16 v30, v35, 1
	s_delay_alu instid0(VALU_DEP_2)
	v_lshl_or_b32 v55, v27, 12, v17
	v_and_b32_e32 v27, 1, v29
	ds_store_b16 v53, v30
	v_lshrrev_b32_e32 v30, 24, v4
	ds_load_u16 v39, v55
	v_cmp_ne_u32_e32 vcc_lo, 1, v27
	v_cndmask_b32_e64 v27, 0, 1, vcc_lo
	s_delay_alu instid0(VALU_DEP_1) | instskip(NEXT) | instid1(VALU_DEP_1)
	v_lshrrev_b32_e32 v29, s16, v27
	v_bitop3_b32 v29, v29, s12, v29 bitop3:0x30
	s_wait_dscnt 0x0
	v_add_nc_u16 v31, v39, 1
	s_delay_alu instid0(VALU_DEP_2)
	v_lshl_or_b32 v4, v29, 12, v17
	v_and_b32_e32 v29, 1, v30
	ds_store_b16 v55, v31
	ds_load_u16 v41, v4
	v_cmp_ne_u32_e32 vcc_lo, 1, v29
	v_cndmask_b32_e64 v29, 0, 1, vcc_lo
	s_delay_alu instid0(VALU_DEP_1) | instskip(NEXT) | instid1(VALU_DEP_1)
	v_lshrrev_b32_e32 v30, s16, v29
	v_bitop3_b32 v30, v30, s12, v30 bitop3:0x30
	s_wait_dscnt 0x0
	v_add_nc_u16 v31, v41, 1
	s_delay_alu instid0(VALU_DEP_2)
	v_lshl_or_b32 v58, v30, 12, v17
	v_and_b32_e32 v30, 1, v5
	ds_store_b16 v4, v31
	ds_load_u16 v43, v58
	v_cmp_ne_u32_e32 vcc_lo, 1, v30
	v_cndmask_b32_e64 v30, 0, 1, vcc_lo
	s_delay_alu instid0(VALU_DEP_1) | instskip(NEXT) | instid1(VALU_DEP_1)
	v_lshrrev_b32_e32 v31, s16, v30
	v_bitop3_b32 v31, v31, s12, v31 bitop3:0x30
	s_wait_dscnt 0x0
	v_add_nc_u16 v36, v43, 1
	s_delay_alu instid0(VALU_DEP_2)
	v_lshl_or_b32 v59, v31, 12, v17
	ds_store_b16 v58, v36
	v_lshrrev_b32_e32 v36, 16, v5
	v_and_b32_e32 v31, 1, v33
	ds_load_u16 v44, v59
	v_lshrrev_b32_e32 v5, 24, v5
	v_cmp_ne_u32_e32 vcc_lo, 1, v31
	s_delay_alu instid0(VALU_DEP_2) | instskip(SKIP_1) | instid1(VALU_DEP_1)
	v_and_b32_e32 v5, 1, v5
	v_cndmask_b32_e64 v31, 0, 1, vcc_lo
	v_lshrrev_b32_e32 v33, s16, v31
	s_delay_alu instid0(VALU_DEP_1) | instskip(SKIP_2) | instid1(VALU_DEP_2)
	v_bitop3_b32 v33, v33, s12, v33 bitop3:0x30
	s_wait_dscnt 0x0
	v_add_nc_u16 v37, v44, 1
	v_lshl_or_b32 v60, v33, 12, v17
	v_and_b32_e32 v33, 1, v36
	ds_store_b16 v59, v37
	ds_load_u16 v46, v60
	v_cmp_ne_u32_e32 vcc_lo, 1, v33
	v_cndmask_b32_e64 v33, 0, 1, vcc_lo
	v_cmp_ne_u32_e32 vcc_lo, 1, v5
	s_delay_alu instid0(VALU_DEP_2) | instskip(SKIP_1) | instid1(VALU_DEP_2)
	v_lshrrev_b32_e32 v36, s16, v33
	v_cndmask_b32_e64 v5, 0, 1, vcc_lo
	v_bitop3_b32 v36, v36, s12, v36 bitop3:0x30
	s_wait_dscnt 0x0
	v_add_nc_u16 v37, v46, 1
	s_delay_alu instid0(VALU_DEP_2) | instskip(SKIP_4) | instid1(VALU_DEP_1)
	v_lshl_or_b32 v61, v36, 12, v17
	v_lshrrev_b32_e32 v36, s16, v5
	ds_store_b16 v60, v37
	ds_load_u16 v47, v61
	v_bitop3_b32 v36, v36, s12, v36 bitop3:0x30
	v_lshl_or_b32 v62, v36, 12, v17
	v_and_b32_e32 v36, 1, v14
	s_delay_alu instid0(VALU_DEP_1)
	v_cmp_ne_u32_e32 vcc_lo, 1, v36
	v_cndmask_b32_e64 v36, 0, 1, vcc_lo
	s_wait_dscnt 0x0
	v_add_nc_u16 v37, v47, 1
	ds_store_b16 v61, v37
	ds_load_u16 v48, v62
	v_lshrrev_b32_e32 v37, s16, v36
	s_delay_alu instid0(VALU_DEP_1) | instskip(NEXT) | instid1(VALU_DEP_1)
	v_bitop3_b32 v37, v37, s12, v37 bitop3:0x30
	v_lshl_or_b32 v63, v37, 12, v17
	v_and_b32_e32 v37, 1, v40
	s_wait_dscnt 0x0
	v_add_nc_u16 v42, v48, 1
	ds_store_b16 v62, v42
	ds_load_u16 v49, v63
	v_lshrrev_b32_e32 v42, 16, v14
	v_cmp_ne_u32_e32 vcc_lo, 1, v37
	v_lshrrev_b32_e32 v14, 24, v14
	v_cndmask_b32_e64 v40, 0, 1, vcc_lo
	s_delay_alu instid0(VALU_DEP_1) | instskip(NEXT) | instid1(VALU_DEP_1)
	v_dual_lshrrev_b32 v37, s16, v40 :: v_dual_bitop2_b32 v14, 1, v14 bitop3:0x40
	v_bitop3_b32 v37, v37, s12, v37 bitop3:0x30
	s_wait_dscnt 0x0
	v_add_nc_u16 v50, v49, 1
	s_delay_alu instid0(VALU_DEP_2)
	v_lshl_or_b32 v64, v37, 12, v17
	v_and_b32_e32 v37, 1, v42
	ds_store_b16 v63, v50
	ds_load_u16 v50, v64
	v_cmp_ne_u32_e32 vcc_lo, 1, v37
	v_cndmask_b32_e64 v37, 0, 1, vcc_lo
	v_cmp_ne_u32_e32 vcc_lo, 1, v14
	s_delay_alu instid0(VALU_DEP_2) | instskip(SKIP_2) | instid1(VALU_DEP_3)
	v_lshrrev_b32_e32 v42, s16, v37
	v_cndmask_b32_e64 v14, 0, 1, vcc_lo
	v_cmp_eq_u32_e32 vcc_lo, 1, v54
	v_bitop3_b32 v42, v42, s12, v42 bitop3:0x30
	s_xor_b32 s2, vcc_lo, -1
	v_cmp_ne_u32_e32 vcc_lo, 1, v13
	s_wait_dscnt 0x0
	v_add_nc_u16 v52, v50, 1
	v_lshl_or_b32 v65, v42, 12, v17
	v_lshrrev_b32_e32 v42, s16, v14
	v_cndmask_b32_e64 v13, 0, 1, vcc_lo
	ds_store_b16 v64, v52
	ds_load_u16 v52, v65
	v_bitop3_b32 v42, v42, s12, v42 bitop3:0x30
	s_delay_alu instid0(VALU_DEP_1)
	v_lshl_or_b32 v66, v42, 12, v17
	v_cndmask_b32_e64 v42, 0, 1, s2
	s_wait_dscnt 0x0
	v_add_nc_u16 v56, v52, 1
	ds_store_b16 v65, v56
	ds_load_u16 v54, v66
	v_lshrrev_b32_e32 v56, s16, v42
	s_delay_alu instid0(VALU_DEP_1) | instskip(NEXT) | instid1(VALU_DEP_1)
	v_bitop3_b32 v56, v56, s12, v56 bitop3:0x30
	v_lshl_or_b32 v67, v56, 12, v17
	s_wait_dscnt 0x0
	v_add_nc_u16 v57, v54, 1
	ds_store_b16 v66, v57
	ds_load_u16 v56, v67
	v_lshrrev_b32_e32 v57, s16, v13
	s_delay_alu instid0(VALU_DEP_1) | instskip(NEXT) | instid1(VALU_DEP_1)
	v_bitop3_b32 v57, v57, s12, v57 bitop3:0x30
	v_lshl_or_b32 v68, v57, 12, v17
	s_wait_dscnt 0x0
	v_add_nc_u16 v69, v56, 1
	ds_store_b16 v67, v69
	ds_load_u16 v57, v68
	v_lshlrev_b32_e32 v69, 5, v0
	s_wait_dscnt 0x0
	v_add_nc_u16 v70, v57, 1
	ds_store_2addr_stride64_b32 v17, v28, v28 offset0:32 offset1:48
	ds_store_2addr_stride64_b32 v17, v28, v28 offset0:64 offset1:80
	;; [unrolled: 1-line block ×3, first 2 shown]
	ds_store_b16 v68, v70
	s_wait_storecnt_dscnt 0x0
	s_barrier_signal -1
	s_barrier_wait -1
	ds_load_2addr_b64 v[70:73], v69 offset1:1
	ds_load_2addr_b64 v[74:77], v69 offset0:2 offset1:3
	s_wait_dscnt 0x1
	v_add_nc_u32_e32 v17, v71, v70
	s_delay_alu instid0(VALU_DEP_1) | instskip(SKIP_2) | instid1(VALU_DEP_2)
	v_add3_u32 v17, v17, v72, v73
	v_and_b32_e32 v72, 31, v0
	s_wait_dscnt 0x0
	v_add3_u32 v28, v17, v74, v75
	v_mbcnt_lo_u32_b32 v17, -1, 0
	s_delay_alu instid0(VALU_DEP_2) | instskip(NEXT) | instid1(VALU_DEP_2)
	v_add3_u32 v28, v28, v76, v77
	v_and_b32_e32 v70, 15, v17
	s_delay_alu instid0(VALU_DEP_2) | instskip(NEXT) | instid1(VALU_DEP_2)
	v_mov_b32_dpp v71, v28 row_shr:1 row_mask:0xf bank_mask:0xf
	v_cmp_eq_u32_e32 vcc_lo, 0, v70
	s_delay_alu instid0(VALU_DEP_2) | instskip(NEXT) | instid1(VALU_DEP_1)
	v_cndmask_b32_e64 v71, v71, 0, vcc_lo
	v_add_nc_u32_e32 v28, v71, v28
	v_cmp_lt_u32_e64 s2, 1, v70
	v_cmp_lt_u32_e64 s3, 3, v70
	;; [unrolled: 1-line block ×3, first 2 shown]
	s_delay_alu instid0(VALU_DEP_4) | instskip(NEXT) | instid1(VALU_DEP_1)
	v_mov_b32_dpp v71, v28 row_shr:2 row_mask:0xf bank_mask:0xf
	v_cndmask_b32_e64 v71, 0, v71, s2
	s_delay_alu instid0(VALU_DEP_1) | instskip(NEXT) | instid1(VALU_DEP_1)
	v_add_nc_u32_e32 v28, v28, v71
	v_mov_b32_dpp v71, v28 row_shr:4 row_mask:0xf bank_mask:0xf
	s_delay_alu instid0(VALU_DEP_1) | instskip(NEXT) | instid1(VALU_DEP_1)
	v_cndmask_b32_e64 v71, 0, v71, s3
	v_add_nc_u32_e32 v28, v28, v71
	s_delay_alu instid0(VALU_DEP_1) | instskip(NEXT) | instid1(VALU_DEP_1)
	v_mov_b32_dpp v71, v28 row_shr:8 row_mask:0xf bank_mask:0xf
	v_cndmask_b32_e64 v70, 0, v71, s4
	v_bfe_i32 v71, v17, 4, 1
	s_delay_alu instid0(VALU_DEP_2) | instskip(SKIP_4) | instid1(VALU_DEP_2)
	v_add_nc_u32_e32 v28, v28, v70
	ds_swizzle_b32 v70, v28 offset:swizzle(BROADCAST,32,15)
	s_wait_dscnt 0x0
	v_and_b32_e32 v70, v71, v70
	v_dual_lshrrev_b32 v71, 5, v0 :: v_dual_bitop2_b32 v73, 16, v17 bitop3:0x40
	v_add_nc_u32_e32 v28, v28, v70
	s_delay_alu instid0(VALU_DEP_2) | instskip(NEXT) | instid1(VALU_DEP_3)
	v_cmp_eq_u32_e64 s5, 0, v73
	v_lshlrev_b32_e32 v70, 2, v71
	v_cmpx_eq_u32_e32 31, v72
; %bb.114:
	ds_store_b32 v70, v28 offset:32768
; %bb.115:
	s_or_b32 exec_lo, exec_lo, s7
	v_cmp_lt_u32_e64 s6, 31, v0
	s_mov_b32 s13, exec_lo
	s_wait_dscnt 0x0
	s_barrier_signal -1
	s_barrier_wait -1
	v_cmpx_gt_u32_e32 32, v0
	s_cbranch_execz .LBB1759_117
; %bb.116:
	v_mad_i32_i24 v71, 0xffffffe4, v0, v69
	ds_load_b32 v72, v71 offset:32768
	s_wait_dscnt 0x0
	v_mov_b32_dpp v73, v72 row_shr:1 row_mask:0xf bank_mask:0xf
	s_delay_alu instid0(VALU_DEP_1) | instskip(NEXT) | instid1(VALU_DEP_1)
	v_cndmask_b32_e64 v73, v73, 0, vcc_lo
	v_add_nc_u32_e32 v72, v73, v72
	s_delay_alu instid0(VALU_DEP_1) | instskip(NEXT) | instid1(VALU_DEP_1)
	v_mov_b32_dpp v73, v72 row_shr:2 row_mask:0xf bank_mask:0xf
	v_cndmask_b32_e64 v73, 0, v73, s2
	s_delay_alu instid0(VALU_DEP_1) | instskip(NEXT) | instid1(VALU_DEP_1)
	v_add_nc_u32_e32 v72, v72, v73
	v_mov_b32_dpp v73, v72 row_shr:4 row_mask:0xf bank_mask:0xf
	s_delay_alu instid0(VALU_DEP_1) | instskip(NEXT) | instid1(VALU_DEP_1)
	v_cndmask_b32_e64 v73, 0, v73, s3
	v_add_nc_u32_e32 v72, v72, v73
	s_delay_alu instid0(VALU_DEP_1) | instskip(NEXT) | instid1(VALU_DEP_1)
	v_mov_b32_dpp v73, v72 row_shr:8 row_mask:0xf bank_mask:0xf
	v_cndmask_b32_e64 v73, 0, v73, s4
	s_delay_alu instid0(VALU_DEP_1) | instskip(SKIP_3) | instid1(VALU_DEP_1)
	v_add_nc_u32_e32 v72, v72, v73
	ds_swizzle_b32 v73, v72 offset:swizzle(BROADCAST,32,15)
	s_wait_dscnt 0x0
	v_cndmask_b32_e64 v73, v73, 0, s5
	v_add_nc_u32_e32 v72, v72, v73
	ds_store_b32 v71, v72 offset:32768
.LBB1759_117:
	s_or_b32 exec_lo, exec_lo, s13
	v_dual_mov_b32 v72, 0 :: v_dual_mov_b32 v71, 0
	s_wait_dscnt 0x0
	s_barrier_signal -1
	s_barrier_wait -1
	s_and_saveexec_b32 s2, s6
; %bb.118:
	ds_load_b32 v71, v70 offset:32764
; %bb.119:
	s_or_b32 exec_lo, exec_lo, s2
	v_sub_co_u32 v70, vcc_lo, v17, 1
	s_wait_dscnt 0x0
	v_add_nc_u32_e32 v28, v71, v28
	s_delay_alu instid0(VALU_DEP_2) | instskip(NEXT) | instid1(VALU_DEP_1)
	v_cmp_gt_i32_e64 s2, 0, v70
	v_cndmask_b32_e64 v17, v70, v17, s2
	v_cmp_gt_u32_e64 s2, 16, v0
	s_delay_alu instid0(VALU_DEP_2)
	v_lshlrev_b32_e32 v17, 2, v17
	ds_bpermute_b32 v17, v17, v28
	ds_load_b32 v28, v72 offset:32892
	ds_load_2addr_b64 v[72:75], v69 offset1:1
	ds_load_b32 v78, v69 offset:24
	ds_load_b64 v[76:77], v69 offset:16
	s_wait_dscnt 0x4
	v_cndmask_b32_e32 v17, v17, v71, vcc_lo
	v_cmp_lt_u32_e32 vcc_lo, 15, v0
	s_wait_dscnt 0x3
	s_delay_alu instid0(VALU_DEP_2) | instskip(SKIP_1) | instid1(VALU_DEP_1)
	v_lshl_add_u32 v70, v28, 16, v17
	s_wait_dscnt 0x2
	v_add_nc_u32_e32 v71, v70, v72
	s_delay_alu instid0(VALU_DEP_1) | instskip(NEXT) | instid1(VALU_DEP_1)
	v_add_nc_u32_e32 v72, v73, v71
	v_add_nc_u32_e32 v73, v74, v72
	s_delay_alu instid0(VALU_DEP_1) | instskip(SKIP_1) | instid1(VALU_DEP_1)
	v_add_nc_u32_e32 v74, v75, v73
	s_wait_dscnt 0x0
	v_add_nc_u32_e32 v75, v76, v74
	s_delay_alu instid0(VALU_DEP_1) | instskip(NEXT) | instid1(VALU_DEP_1)
	v_add_nc_u32_e32 v76, v77, v75
	v_add_nc_u32_e32 v77, v78, v76
	ds_store_2addr_b64 v69, v[70:71], v[72:73] offset1:1
	ds_store_2addr_b64 v69, v[74:75], v[76:77] offset0:2 offset1:3
	s_wait_dscnt 0x0
	s_barrier_signal -1
	s_barrier_wait -1
	ds_load_u16 v12, v12
	ds_load_u16 v16, v16
	;; [unrolled: 1-line block ×22, first 2 shown]
	v_mov_b64_e32 v[2:3], 0
                                        ; implicit-def: $vgpr4
	s_and_saveexec_b32 s4, s2
	s_cbranch_execz .LBB1759_123
; %bb.120:
	v_dual_lshlrev_b32 v2, 12, v0 :: v_dual_lshrrev_b32 v3, 2, v0
	v_add_nc_u32_e32 v4, 1, v0
	s_mov_b32 s5, exec_lo
	s_delay_alu instid0(VALU_DEP_2)
	v_bitop3_b32 v2, v2, 0x70fe, v3 bitop3:0xc8
	v_mov_b32_e32 v3, 0x5800
	ds_load_u16 v2, v2
	v_cmpx_ne_u32_e32 16, v4
; %bb.121:
	v_dual_lshlrev_b32 v3, 12, v4 :: v_dual_lshrrev_b32 v4, 2, v4
	s_delay_alu instid0(VALU_DEP_1)
	v_bitop3_b32 v3, v3, 0x71fe, v4 bitop3:0xc8
	ds_load_u16 v3, v3
; %bb.122:
	s_or_b32 exec_lo, exec_lo, s5
	s_wait_dscnt 0x0
	v_and_b32_e32 v2, 0xffff, v2
	s_mov_b32 s3, 0
	s_delay_alu instid0(VALU_DEP_1) | instid1(SALU_CYCLE_1)
	v_dual_mov_b32 v3, s3 :: v_dual_sub_nc_u32 v4, v3, v2
.LBB1759_123:
	s_or_b32 exec_lo, exec_lo, s4
	s_wait_dscnt 0x15
	v_and_b32_e32 v12, 0xffff, v12
	v_and_b32_e32 v7, 0xffff, v7
	s_wait_dscnt 0x14
	v_and_b32_e32 v16, 0xffff, v16
	v_and_b32_e32 v9, 0xffff, v9
	;; [unrolled: 3-line block ×4, first 2 shown]
	v_add_nc_u32_e32 v7, v12, v7
	s_wait_dscnt 0x11
	v_and_b32_e32 v28, 0xffff, v28
	v_and_b32_e32 v21, 0xffff, v21
	v_dual_add_nc_u32 v9, v16, v9 :: v_dual_add_nc_u32 v11, v17, v11
	s_wait_dscnt 0x10
	v_and_b32_e32 v38, 0xffff, v38
	v_and_b32_e32 v24, 0xffff, v24
	s_wait_dscnt 0xf
	v_and_b32_e32 v45, 0xffff, v45
	v_and_b32_e32 v32, 0xffff, v32
	;; [unrolled: 3-line block ×4, first 2 shown]
	s_wait_dscnt 0x0
	s_barrier_signal -1
	s_barrier_wait -1
	ds_store_b8 v7, v1 offset:128
	ds_store_b8 v9, v6 offset:128
	;; [unrolled: 1-line block ×3, first 2 shown]
	v_add_nc_u32_e32 v1, v26, v18
	v_and_b32_e32 v55, 0xffff, v55
	v_and_b32_e32 v39, 0xffff, v39
	v_dual_add_nc_u32 v6, v28, v21 :: v_dual_add_nc_u32 v7, v38, v24
	v_and_b32_e32 v69, 0xffff, v69
	v_and_b32_e32 v41, 0xffff, v41
	;; [unrolled: 1-line block ×4, first 2 shown]
	v_dual_add_nc_u32 v8, v45, v32 :: v_dual_add_nc_u32 v9, v51, v34
	v_and_b32_e32 v59, 0xffff, v59
	v_and_b32_e32 v44, 0xffff, v44
	v_and_b32_e32 v60, 0xffff, v60
	v_and_b32_e32 v46, 0xffff, v46
	ds_store_b8 v1, v10 offset:128
	ds_store_b8 v6, v15 offset:128
	;; [unrolled: 1-line block ×5, first 2 shown]
	v_dual_add_nc_u32 v1, v53, v35 :: v_dual_add_nc_u32 v9, v59, v44
	v_and_b32_e32 v61, 0xffff, v61
	v_and_b32_e32 v47, 0xffff, v47
	v_dual_add_nc_u32 v6, v55, v39 :: v_dual_add_nc_u32 v7, v69, v41
	v_and_b32_e32 v62, 0xffff, v62
	v_and_b32_e32 v48, 0xffff, v48
	;; [unrolled: 1-line block ×4, first 2 shown]
	v_add_nc_u32_e32 v8, v58, v43
	v_and_b32_e32 v64, 0xffff, v64
	v_and_b32_e32 v50, 0xffff, v50
	ds_store_b8 v1, v22 offset:128
	ds_store_b8 v6, v25 offset:128
	;; [unrolled: 1-line block ×5, first 2 shown]
	v_dual_add_nc_u32 v1, v60, v46 :: v_dual_add_nc_u32 v6, v61, v47
	v_dual_add_nc_u32 v7, v62, v48 :: v_dual_add_nc_u32 v8, v63, v49
	v_add_nc_u32_e32 v9, v64, v50
	v_and_b32_e32 v65, 0xffff, v65
	v_and_b32_e32 v68, 0xffff, v68
	;; [unrolled: 1-line block ×4, first 2 shown]
	ds_store_b8 v1, v31 offset:128
	ds_store_b8 v6, v33 offset:128
	;; [unrolled: 1-line block ×5, first 2 shown]
	v_mov_b32_e32 v7, 0
	v_and_b32_e32 v66, 0xffff, v66
	v_and_b32_e32 v54, 0xffff, v54
	;; [unrolled: 1-line block ×4, first 2 shown]
	v_dual_add_nc_u32 v6, v65, v52 :: v_dual_add_nc_u32 v10, v68, v57
	v_dual_mov_b32 v1, v7 :: v_dual_lshlrev_b32 v5, 3, v0
	s_delay_alu instid0(VALU_DEP_3)
	v_dual_add_nc_u32 v8, v66, v54 :: v_dual_add_nc_u32 v9, v67, v56
	s_not_b32 s3, s12
	ds_store_b8 v6, v37 offset:128
	ds_store_b8 v8, v14 offset:128
	;; [unrolled: 1-line block ×4, first 2 shown]
	s_and_saveexec_b32 s4, s2
	s_cbranch_execz .LBB1759_133
; %bb.124:
	v_lshl_add_u32 v6, s19, 4, v0
	v_dual_mov_b32 v10, 0 :: v_dual_bitop2_b32 v11, 2.0, v4 bitop3:0x54
	s_mov_b32 s5, 0
	s_mov_b32 s6, s19
	s_delay_alu instid0(VALU_DEP_2)
	v_lshl_add_u64 v[8:9], v[6:7], 2, s[20:21]
	global_store_b32 v6, v11, s[20:21] scale_offset scope:SCOPE_DEV
                                        ; implicit-def: $sgpr2
	s_branch .LBB1759_127
.LBB1759_125:                           ;   in Loop: Header=BB1759_127 Depth=1
	s_or_b32 exec_lo, exec_lo, s12
.LBB1759_126:                           ;   in Loop: Header=BB1759_127 Depth=1
	s_delay_alu instid0(SALU_CYCLE_1) | instskip(SKIP_2) | instid1(VALU_DEP_2)
	s_or_b32 exec_lo, exec_lo, s7
	v_and_b32_e32 v6, 0x3fffffff, v11
	v_cmp_gt_i32_e64 s2, -2.0, v11
	v_add_nc_u32_e32 v10, v6, v10
	s_and_b32 s7, exec_lo, s2
	s_delay_alu instid0(SALU_CYCLE_1) | instskip(NEXT) | instid1(SALU_CYCLE_1)
	s_or_b32 s5, s7, s5
	s_and_not1_b32 exec_lo, exec_lo, s5
	s_cbranch_execz .LBB1759_132
.LBB1759_127:                           ; =>This Loop Header: Depth=1
                                        ;     Child Loop BB1759_130 Depth 2
	s_or_b32 s2, s2, exec_lo
	s_cmp_eq_u32 s6, 0
	s_cbranch_scc1 .LBB1759_131
; %bb.128:                              ;   in Loop: Header=BB1759_127 Depth=1
	s_add_co_i32 s6, s6, -1
	s_mov_b32 s7, exec_lo
	s_wait_xcnt 0x0
	v_lshl_or_b32 v6, s6, 4, v0
	global_load_b32 v11, v6, s[20:21] scale_offset scope:SCOPE_DEV
	s_wait_loadcnt 0x0
	v_cmpx_gt_u32_e32 2.0, v11
	s_cbranch_execz .LBB1759_126
; %bb.129:                              ;   in Loop: Header=BB1759_127 Depth=1
	v_lshl_add_u64 v[12:13], v[6:7], 2, s[20:21]
	s_mov_b32 s12, 0
.LBB1759_130:                           ;   Parent Loop BB1759_127 Depth=1
                                        ; =>  This Inner Loop Header: Depth=2
	global_load_b32 v11, v[12:13], off scope:SCOPE_DEV
	s_wait_loadcnt 0x0
	v_cmp_lt_u32_e64 s2, 0x3fffffff, v11
	s_or_b32 s12, s2, s12
	s_wait_xcnt 0x0
	s_and_not1_b32 exec_lo, exec_lo, s12
	s_cbranch_execnz .LBB1759_130
	s_branch .LBB1759_125
.LBB1759_131:                           ;   in Loop: Header=BB1759_127 Depth=1
                                        ; implicit-def: $sgpr6
	s_and_b32 s7, exec_lo, s2
	s_delay_alu instid0(SALU_CYCLE_1)
	s_or_b32 s5, s7, s5
	s_wait_xcnt 0x0
	s_and_not1_b32 exec_lo, exec_lo, s5
	s_cbranch_execnz .LBB1759_127
.LBB1759_132:
	s_or_b32 exec_lo, exec_lo, s5
	v_dual_mov_b32 v11, 0 :: v_dual_add_nc_u32 v6, v10, v4
	s_delay_alu instid0(VALU_DEP_1) | instskip(SKIP_4) | instid1(VALU_DEP_1)
	v_or_b32_e32 v6, 0x80000000, v6
	global_store_b32 v[8:9], v6, off scope:SCOPE_DEV
	global_load_b64 v[6:7], v0, s[8:9] scale_offset
	v_sub_nc_u64_e32 v[8:9], v[10:11], v[2:3]
	s_wait_loadcnt 0x0
	v_add_nc_u64_e32 v[6:7], v[8:9], v[6:7]
	ds_store_b64 v5, v[6:7]
.LBB1759_133:
	s_wait_xcnt 0x0
	s_or_b32 exec_lo, exec_lo, s4
	s_wait_storecnt_dscnt 0x0
	s_barrier_signal -1
	s_barrier_wait -1
	ds_load_u8 v26, v0 offset:20608
	ds_load_u8 v27, v0 offset:21632
	;; [unrolled: 1-line block ×22, first 2 shown]
	s_wait_dscnt 0xf
	v_and_b32_e32 v12, 1, v10
	v_xor_b32_e32 v45, 1, v10
	v_and_b32_e32 v13, 1, v20
	v_and_b32_e32 v11, 1, v8
	;; [unrolled: 1-line block ×4, first 2 shown]
	s_wait_dscnt 0x9
	v_dual_lshrrev_b32 v13, s16, v13 :: v_dual_bitop2_b32 v23, 1, v35 bitop3:0x40
	s_delay_alu instid0(VALU_DEP_3) | instskip(NEXT) | instid1(VALU_DEP_3)
	v_dual_lshrrev_b32 v7, s16, v7 :: v_dual_bitop2_b32 v22, 1, v34 bitop3:0x40
	v_dual_lshrrev_b32 v6, s16, v6 :: v_dual_bitop2_b32 v24, 1, v8 bitop3:0x14
	s_delay_alu instid0(VALU_DEP_3) | instskip(NEXT) | instid1(VALU_DEP_4)
	v_dual_lshrrev_b32 v11, s16, v11 :: v_dual_bitop2_b32 v13, s3, v13 bitop3:0x40
	v_dual_lshrrev_b32 v23, s16, v23 :: v_dual_bitop2_b32 v10, 1, v30 bitop3:0x40
	s_delay_alu instid0(VALU_DEP_4) | instskip(NEXT) | instid1(VALU_DEP_2)
	v_dual_lshrrev_b32 v22, s16, v22 :: v_dual_bitop2_b32 v7, s3, v7 bitop3:0x40
	v_dual_lshlrev_b32 v13, 3, v13 :: v_dual_lshrrev_b32 v10, s16, v10
	v_dual_lshrrev_b32 v12, s16, v12 :: v_dual_bitop2_b32 v6, s3, v6 bitop3:0x40
	s_wait_dscnt 0x8
	s_delay_alu instid0(VALU_DEP_3) | instskip(NEXT) | instid1(VALU_DEP_3)
	v_dual_lshlrev_b32 v9, 3, v7 :: v_dual_bitop2_b32 v25, 1, v36 bitop3:0x40
	v_and_b32_e32 v10, s3, v10
	s_delay_alu instid0(VALU_DEP_3)
	v_and_b32_e32 v12, s3, v12
	v_dual_lshlrev_b32 v6, 3, v6 :: v_dual_bitop2_b32 v18, 1, v31 bitop3:0x40
	ds_load_b64 v[6:7], v6
	ds_load_b64 v[8:9], v9
	v_dual_lshlrev_b32 v15, 3, v12 :: v_dual_bitop2_b32 v21, 1, v33 bitop3:0x40
	v_dual_lshrrev_b32 v18, s16, v18 :: v_dual_bitop2_b32 v11, s3, v11 bitop3:0x40
	v_dual_lshrrev_b32 v25, s16, v25 :: v_dual_bitop2_b32 v19, 1, v32 bitop3:0x40
	s_delay_alu instid0(VALU_DEP_3) | instskip(NEXT) | instid1(VALU_DEP_3)
	v_dual_lshlrev_b32 v16, 3, v10 :: v_dual_lshrrev_b32 v21, s16, v21
	v_lshlrev_b32_e32 v14, 3, v11
	ds_load_b64 v[10:11], v13
	ds_load_b64 v[12:13], v14
	v_and_b32_e32 v48, s3, v22
	s_wait_dscnt 0xb
	v_and_b32_e32 v46, 1, v37
	v_and_b32_e32 v21, s3, v21
	s_wait_dscnt 0xa
	v_and_b32_e32 v47, 1, v38
	ds_load_b64 v[14:15], v15
	ds_load_b64 v[16:17], v16
	v_lshrrev_b32_e32 v19, s16, v19
	v_dual_lshlrev_b32 v23, 3, v21 :: v_dual_bitop2_b32 v49, s3, v23 bitop3:0x40
	v_dual_lshrrev_b32 v47, s16, v47 :: v_dual_bitop2_b32 v18, s3, v18 bitop3:0x40
	v_xor_b32_e32 v50, 1, v20
	v_xor_b32_e32 v30, 1, v30
	s_wait_dscnt 0x5
	v_add_nc_u64_e32 v[6:7], s[14:15], v[6:7]
	v_and_b32_e32 v47, s3, v47
	v_and_b32_e32 v25, s3, v25
	v_dual_lshlrev_b32 v18, 3, v18 :: v_dual_bitop2_b32 v19, s3, v19 bitop3:0x40
	s_wait_dscnt 0x4
	v_add_nc_u64_e32 v[8:9], s[14:15], v[8:9]
	s_wait_dscnt 0x3
	v_add_nc_u64_e32 v[10:11], s[14:15], v[10:11]
	;; [unrolled: 2-line block ×3, first 2 shown]
	v_lshlrev_b32_e32 v22, 3, v19
	ds_load_b64 v[18:19], v18
	ds_load_b64 v[20:21], v22
	;; [unrolled: 1-line block ×3, first 2 shown]
	v_add_nc_u64_e32 v[10:11], v[10:11], v[0:1]
	v_add_nc_u64_e32 v[12:13], v[12:13], v[0:1]
	s_wait_dscnt 0x4
	v_add_nc_u64_e32 v[14:15], s[14:15], v[14:15]
	s_wait_dscnt 0x3
	v_add_nc_u64_e32 v[16:17], s[14:15], v[16:17]
	s_clause 0x1
	global_store_b8 v[10:11], v50, off
	global_store_b8 v[12:13], v24, off offset:1024
	s_wait_xcnt 0x1
	v_dual_lshlrev_b32 v10, 3, v48 :: v_dual_lshrrev_b32 v46, s16, v46
	v_add_nc_u64_e32 v[14:15], v[14:15], v[0:1]
	s_wait_xcnt 0x0
	v_lshlrev_b32_e32 v12, 3, v49
	v_add_nc_u64_e32 v[16:17], v[16:17], v[0:1]
	v_dual_lshlrev_b32 v24, 3, v25 :: v_dual_bitop2_b32 v46, s3, v46 bitop3:0x40
	ds_load_b64 v[10:11], v10
	ds_load_b64 v[12:13], v12
	;; [unrolled: 1-line block ×3, first 2 shown]
	global_store_b8 v[14:15], v45, off offset:2048
	s_wait_dscnt 0x5
	s_wait_xcnt 0x0
	v_add_nc_u64_e32 v[14:15], s[14:15], v[18:19]
	v_dual_lshlrev_b32 v45, 3, v46 :: v_dual_lshlrev_b32 v46, 3, v47
	global_store_b8 v[16:17], v30, off offset:3072
	s_wait_dscnt 0x4
	s_wait_xcnt 0x0
	v_add_nc_u64_e32 v[16:17], s[14:15], v[20:21]
	s_wait_dscnt 0x3
	v_add_nc_u64_e32 v[18:19], s[14:15], v[22:23]
	ds_load_b64 v[20:21], v45
	ds_load_b64 v[22:23], v46
	v_add_nc_u64_e32 v[14:15], v[14:15], v[0:1]
	v_xor_b32_e32 v30, 1, v31
	v_xor_b32_e32 v31, 1, v32
	;; [unrolled: 1-line block ×3, first 2 shown]
	v_add_nc_u64_e32 v[16:17], v[16:17], v[0:1]
	v_add_nc_u64_e32 v[18:19], v[18:19], v[0:1]
	v_xor_b32_e32 v33, 1, v42
	s_clause 0x2
	global_store_b8 v[14:15], v30, off offset:4096
	global_store_b8 v[16:17], v31, off offset:5120
	;; [unrolled: 1-line block ×3, first 2 shown]
	s_wait_dscnt 0x4
	v_add_nc_u64_e32 v[10:11], s[14:15], v[10:11]
	s_wait_dscnt 0x3
	v_add_nc_u64_e32 v[12:13], s[14:15], v[12:13]
	s_wait_dscnt 0x2
	s_wait_xcnt 0x2
	v_add_nc_u64_e32 v[14:15], s[14:15], v[24:25]
	v_xor_b32_e32 v24, 1, v34
	v_xor_b32_e32 v25, 1, v35
	s_wait_xcnt 0x0
	v_xor_b32_e32 v32, 1, v38
	s_wait_dscnt 0x1
	v_add_nc_u64_e32 v[16:17], s[14:15], v[20:21]
	v_add_nc_u64_e32 v[10:11], v[10:11], v[0:1]
	s_wait_dscnt 0x0
	v_add_nc_u64_e32 v[18:19], s[14:15], v[22:23]
	v_add_nc_u64_e32 v[12:13], v[12:13], v[0:1]
	s_clause 0x1
	global_store_b8 v[10:11], v24, off offset:7168
	global_store_b8 v[12:13], v25, off offset:8192
	s_wait_xcnt 0x0
	v_add_nc_u64_e32 v[12:13], v[18:19], v[0:1]
	v_and_b32_e32 v18, 1, v43
	v_and_b32_e32 v23, 1, v44
	v_add_nc_u64_e32 v[14:15], v[14:15], v[0:1]
	v_xor_b32_e32 v24, 1, v37
	s_delay_alu instid0(VALU_DEP_4) | instskip(NEXT) | instid1(VALU_DEP_4)
	v_dual_lshrrev_b32 v18, s16, v18 :: v_dual_bitop2_b32 v25, 1, v28 bitop3:0x40
	v_lshrrev_b32_e32 v31, s16, v23
	v_and_b32_e32 v20, 1, v39
	v_add_nc_u64_e32 v[10:11], v[16:17], v[0:1]
	v_and_b32_e32 v17, 1, v42
	v_and_b32_e32 v18, s3, v18
	v_xor_b32_e32 v30, 1, v36
	v_and_b32_e32 v31, s3, v31
	v_and_b32_e32 v16, 1, v41
	s_delay_alu instid0(VALU_DEP_4)
	v_dual_lshrrev_b32 v25, s16, v25 :: v_dual_lshlrev_b32 v22, 3, v18
	global_store_b8 v[14:15], v30, off offset:9216
	s_wait_xcnt 0x0
	v_and_b32_e32 v30, 1, v29
	v_and_b32_e32 v15, 1, v40
	v_lshrrev_b32_e32 v14, s16, v20
	v_dual_lshrrev_b32 v16, s16, v16 :: v_dual_lshrrev_b32 v17, s16, v17
	s_delay_alu instid0(VALU_DEP_3) | instskip(NEXT) | instid1(VALU_DEP_3)
	v_dual_lshrrev_b32 v30, s16, v30 :: v_dual_lshrrev_b32 v15, s16, v15
	v_and_b32_e32 v14, s3, v14
	s_delay_alu instid0(VALU_DEP_3) | instskip(NEXT) | instid1(VALU_DEP_4)
	v_and_b32_e32 v16, s3, v16
	v_and_b32_e32 v17, s3, v17
	v_add_nc_u64_e32 v[6:7], v[6:7], v[0:1]
	s_delay_alu instid0(VALU_DEP_4) | instskip(NEXT) | instid1(VALU_DEP_3)
	v_dual_lshlrev_b32 v14, 3, v14 :: v_dual_bitop2_b32 v19, s3, v15 bitop3:0x40
	v_dual_lshlrev_b32 v20, 3, v16 :: v_dual_lshlrev_b32 v21, 3, v17
	v_add_nc_u64_e32 v[8:9], v[8:9], v[0:1]
	s_delay_alu instid0(VALU_DEP_3)
	v_lshlrev_b32_e32 v19, 3, v19
	ds_load_b64 v[14:15], v14
	ds_load_b64 v[16:17], v19
	;; [unrolled: 1-line block ×4, first 2 shown]
	global_store_b8 v[10:11], v24, off offset:10240
	s_wait_xcnt 0x0
	v_and_b32_e32 v10, s3, v25
	global_store_b8 v[12:13], v32, off offset:11264
	s_wait_xcnt 0x0
	v_dual_lshlrev_b32 v13, 3, v31 :: v_dual_bitop2_b32 v12, s3, v30 bitop3:0x40
	ds_load_b64 v[22:23], v22
	v_dual_lshlrev_b32 v24, 3, v10 :: v_dual_bitop2_b32 v30, 1, v39 bitop3:0x14
	v_lshlrev_b32_e32 v25, 3, v12
	v_xor_b32_e32 v31, 1, v40
	v_xor_b32_e32 v32, 1, v41
	s_wait_dscnt 0x4
	v_add_nc_u64_e32 v[10:11], s[14:15], v[14:15]
	s_wait_dscnt 0x3
	v_add_nc_u64_e32 v[14:15], s[14:15], v[16:17]
	ds_load_b64 v[16:17], v24
	ds_load_b64 v[12:13], v13
	;; [unrolled: 1-line block ×3, first 2 shown]
	s_wait_dscnt 0x5
	v_add_nc_u64_e32 v[18:19], s[14:15], v[18:19]
	s_wait_dscnt 0x4
	v_add_nc_u64_e32 v[20:21], s[14:15], v[20:21]
	v_add_nc_u64_e32 v[10:11], v[10:11], v[0:1]
	;; [unrolled: 1-line block ×3, first 2 shown]
	s_wait_dscnt 0x3
	v_add_nc_u64_e32 v[22:23], s[14:15], v[22:23]
	v_add_nc_u64_e32 v[18:19], v[18:19], v[0:1]
	;; [unrolled: 1-line block ×3, first 2 shown]
	s_clause 0x3
	global_store_b8 v[10:11], v30, off offset:12288
	global_store_b8 v[14:15], v31, off offset:13312
	;; [unrolled: 1-line block ×4, first 2 shown]
	v_add_nc_u64_e32 v[22:23], v[22:23], v[0:1]
	s_wait_xcnt 0x3
	v_xor_b32_e32 v30, 1, v43
	s_wait_xcnt 0x1
	v_xor_b32_e32 v18, 1, v29
	v_xor_b32_e32 v19, 1, v27
	s_wait_dscnt 0x1
	v_add_nc_u64_e32 v[10:11], s[14:15], v[12:13]
	v_add_nc_u64_e32 v[12:13], s[14:15], v[16:17]
	s_wait_dscnt 0x0
	v_add_nc_u64_e32 v[14:15], s[14:15], v[24:25]
	v_xor_b32_e32 v16, 1, v44
	v_xor_b32_e32 v17, 1, v28
	global_store_b8 v[22:23], v30, off offset:16384
	v_add_nc_u64_e32 v[10:11], v[10:11], v[0:1]
	v_add_nc_u64_e32 v[12:13], v[12:13], v[0:1]
	;; [unrolled: 1-line block ×3, first 2 shown]
	v_xor_b32_e32 v1, 1, v26
	s_clause 0x4
	global_store_b8 v[10:11], v16, off offset:17408
	global_store_b8 v[12:13], v17, off offset:18432
	;; [unrolled: 1-line block ×5, first 2 shown]
	s_load_b32 s0, s[0:1], 0x58
	s_wait_kmcnt 0x0
	s_add_co_i32 s0, s0, -1
	s_delay_alu instid0(SALU_CYCLE_1) | instskip(SKIP_2) | instid1(SALU_CYCLE_1)
	s_cmp_eq_u32 s19, s0
	s_cselect_b32 s0, -1, 0
	s_xor_b32 s1, vcc_lo, -1
	s_and_b32 s0, s1, s0
	s_delay_alu instid0(SALU_CYCLE_1)
	s_and_saveexec_b32 s1, s0
	s_cbranch_execz .LBB1759_135
; %bb.134:
	ds_load_b64 v[6:7], v5
	v_mov_b32_e32 v5, 0
	s_delay_alu instid0(VALU_DEP_1) | instskip(SKIP_1) | instid1(VALU_DEP_1)
	v_add_nc_u64_e32 v[2:3], v[2:3], v[4:5]
	s_wait_dscnt 0x0
	v_add_nc_u64_e32 v[2:3], v[2:3], v[6:7]
	global_store_b64 v0, v[2:3], s[10:11] scale_offset
.LBB1759_135:
	s_sendmsg sendmsg(MSG_DEALLOC_VGPRS)
	s_endpgm
	.section	.rodata,"a",@progbits
	.p2align	6, 0x0
	.amdhsa_kernel _ZN7rocprim17ROCPRIM_400000_NS6detail17trampoline_kernelINS0_14default_configENS1_35radix_sort_onesweep_config_selectorIbNS0_10empty_typeEEEZZNS1_29radix_sort_onesweep_iterationIS3_Lb1EPKbPbPS5_SB_mNS0_19identity_decomposerENS1_16block_id_wrapperIjLb0EEEEE10hipError_tT1_PNSt15iterator_traitsISG_E10value_typeET2_T3_PNSH_ISM_E10value_typeET4_T5_PSR_SS_PNS1_23onesweep_lookback_stateEbbT6_jjT7_P12ihipStream_tbENKUlT_T0_SG_SL_E_clIS9_SA_SB_SB_EEDaSZ_S10_SG_SL_EUlSZ_E_NS1_11comp_targetILNS1_3genE0ELNS1_11target_archE4294967295ELNS1_3gpuE0ELNS1_3repE0EEENS1_47radix_sort_onesweep_sort_config_static_selectorELNS0_4arch9wavefront6targetE0EEEvSG_
		.amdhsa_group_segment_fixed_size 32904
		.amdhsa_private_segment_fixed_size 0
		.amdhsa_kernarg_size 344
		.amdhsa_user_sgpr_count 2
		.amdhsa_user_sgpr_dispatch_ptr 0
		.amdhsa_user_sgpr_queue_ptr 0
		.amdhsa_user_sgpr_kernarg_segment_ptr 1
		.amdhsa_user_sgpr_dispatch_id 0
		.amdhsa_user_sgpr_kernarg_preload_length 0
		.amdhsa_user_sgpr_kernarg_preload_offset 0
		.amdhsa_user_sgpr_private_segment_size 0
		.amdhsa_wavefront_size32 1
		.amdhsa_uses_dynamic_stack 0
		.amdhsa_enable_private_segment 0
		.amdhsa_system_sgpr_workgroup_id_x 1
		.amdhsa_system_sgpr_workgroup_id_y 0
		.amdhsa_system_sgpr_workgroup_id_z 0
		.amdhsa_system_sgpr_workgroup_info 0
		.amdhsa_system_vgpr_workitem_id 0
		.amdhsa_next_free_vgpr 80
		.amdhsa_next_free_sgpr 25
		.amdhsa_named_barrier_count 0
		.amdhsa_reserve_vcc 1
		.amdhsa_float_round_mode_32 0
		.amdhsa_float_round_mode_16_64 0
		.amdhsa_float_denorm_mode_32 3
		.amdhsa_float_denorm_mode_16_64 3
		.amdhsa_fp16_overflow 0
		.amdhsa_memory_ordered 1
		.amdhsa_forward_progress 1
		.amdhsa_inst_pref_size 103
		.amdhsa_round_robin_scheduling 0
		.amdhsa_exception_fp_ieee_invalid_op 0
		.amdhsa_exception_fp_denorm_src 0
		.amdhsa_exception_fp_ieee_div_zero 0
		.amdhsa_exception_fp_ieee_overflow 0
		.amdhsa_exception_fp_ieee_underflow 0
		.amdhsa_exception_fp_ieee_inexact 0
		.amdhsa_exception_int_div_zero 0
	.end_amdhsa_kernel
	.section	.text._ZN7rocprim17ROCPRIM_400000_NS6detail17trampoline_kernelINS0_14default_configENS1_35radix_sort_onesweep_config_selectorIbNS0_10empty_typeEEEZZNS1_29radix_sort_onesweep_iterationIS3_Lb1EPKbPbPS5_SB_mNS0_19identity_decomposerENS1_16block_id_wrapperIjLb0EEEEE10hipError_tT1_PNSt15iterator_traitsISG_E10value_typeET2_T3_PNSH_ISM_E10value_typeET4_T5_PSR_SS_PNS1_23onesweep_lookback_stateEbbT6_jjT7_P12ihipStream_tbENKUlT_T0_SG_SL_E_clIS9_SA_SB_SB_EEDaSZ_S10_SG_SL_EUlSZ_E_NS1_11comp_targetILNS1_3genE0ELNS1_11target_archE4294967295ELNS1_3gpuE0ELNS1_3repE0EEENS1_47radix_sort_onesweep_sort_config_static_selectorELNS0_4arch9wavefront6targetE0EEEvSG_,"axG",@progbits,_ZN7rocprim17ROCPRIM_400000_NS6detail17trampoline_kernelINS0_14default_configENS1_35radix_sort_onesweep_config_selectorIbNS0_10empty_typeEEEZZNS1_29radix_sort_onesweep_iterationIS3_Lb1EPKbPbPS5_SB_mNS0_19identity_decomposerENS1_16block_id_wrapperIjLb0EEEEE10hipError_tT1_PNSt15iterator_traitsISG_E10value_typeET2_T3_PNSH_ISM_E10value_typeET4_T5_PSR_SS_PNS1_23onesweep_lookback_stateEbbT6_jjT7_P12ihipStream_tbENKUlT_T0_SG_SL_E_clIS9_SA_SB_SB_EEDaSZ_S10_SG_SL_EUlSZ_E_NS1_11comp_targetILNS1_3genE0ELNS1_11target_archE4294967295ELNS1_3gpuE0ELNS1_3repE0EEENS1_47radix_sort_onesweep_sort_config_static_selectorELNS0_4arch9wavefront6targetE0EEEvSG_,comdat
.Lfunc_end1759:
	.size	_ZN7rocprim17ROCPRIM_400000_NS6detail17trampoline_kernelINS0_14default_configENS1_35radix_sort_onesweep_config_selectorIbNS0_10empty_typeEEEZZNS1_29radix_sort_onesweep_iterationIS3_Lb1EPKbPbPS5_SB_mNS0_19identity_decomposerENS1_16block_id_wrapperIjLb0EEEEE10hipError_tT1_PNSt15iterator_traitsISG_E10value_typeET2_T3_PNSH_ISM_E10value_typeET4_T5_PSR_SS_PNS1_23onesweep_lookback_stateEbbT6_jjT7_P12ihipStream_tbENKUlT_T0_SG_SL_E_clIS9_SA_SB_SB_EEDaSZ_S10_SG_SL_EUlSZ_E_NS1_11comp_targetILNS1_3genE0ELNS1_11target_archE4294967295ELNS1_3gpuE0ELNS1_3repE0EEENS1_47radix_sort_onesweep_sort_config_static_selectorELNS0_4arch9wavefront6targetE0EEEvSG_, .Lfunc_end1759-_ZN7rocprim17ROCPRIM_400000_NS6detail17trampoline_kernelINS0_14default_configENS1_35radix_sort_onesweep_config_selectorIbNS0_10empty_typeEEEZZNS1_29radix_sort_onesweep_iterationIS3_Lb1EPKbPbPS5_SB_mNS0_19identity_decomposerENS1_16block_id_wrapperIjLb0EEEEE10hipError_tT1_PNSt15iterator_traitsISG_E10value_typeET2_T3_PNSH_ISM_E10value_typeET4_T5_PSR_SS_PNS1_23onesweep_lookback_stateEbbT6_jjT7_P12ihipStream_tbENKUlT_T0_SG_SL_E_clIS9_SA_SB_SB_EEDaSZ_S10_SG_SL_EUlSZ_E_NS1_11comp_targetILNS1_3genE0ELNS1_11target_archE4294967295ELNS1_3gpuE0ELNS1_3repE0EEENS1_47radix_sort_onesweep_sort_config_static_selectorELNS0_4arch9wavefront6targetE0EEEvSG_
                                        ; -- End function
	.set _ZN7rocprim17ROCPRIM_400000_NS6detail17trampoline_kernelINS0_14default_configENS1_35radix_sort_onesweep_config_selectorIbNS0_10empty_typeEEEZZNS1_29radix_sort_onesweep_iterationIS3_Lb1EPKbPbPS5_SB_mNS0_19identity_decomposerENS1_16block_id_wrapperIjLb0EEEEE10hipError_tT1_PNSt15iterator_traitsISG_E10value_typeET2_T3_PNSH_ISM_E10value_typeET4_T5_PSR_SS_PNS1_23onesweep_lookback_stateEbbT6_jjT7_P12ihipStream_tbENKUlT_T0_SG_SL_E_clIS9_SA_SB_SB_EEDaSZ_S10_SG_SL_EUlSZ_E_NS1_11comp_targetILNS1_3genE0ELNS1_11target_archE4294967295ELNS1_3gpuE0ELNS1_3repE0EEENS1_47radix_sort_onesweep_sort_config_static_selectorELNS0_4arch9wavefront6targetE0EEEvSG_.num_vgpr, 80
	.set _ZN7rocprim17ROCPRIM_400000_NS6detail17trampoline_kernelINS0_14default_configENS1_35radix_sort_onesweep_config_selectorIbNS0_10empty_typeEEEZZNS1_29radix_sort_onesweep_iterationIS3_Lb1EPKbPbPS5_SB_mNS0_19identity_decomposerENS1_16block_id_wrapperIjLb0EEEEE10hipError_tT1_PNSt15iterator_traitsISG_E10value_typeET2_T3_PNSH_ISM_E10value_typeET4_T5_PSR_SS_PNS1_23onesweep_lookback_stateEbbT6_jjT7_P12ihipStream_tbENKUlT_T0_SG_SL_E_clIS9_SA_SB_SB_EEDaSZ_S10_SG_SL_EUlSZ_E_NS1_11comp_targetILNS1_3genE0ELNS1_11target_archE4294967295ELNS1_3gpuE0ELNS1_3repE0EEENS1_47radix_sort_onesweep_sort_config_static_selectorELNS0_4arch9wavefront6targetE0EEEvSG_.num_agpr, 0
	.set _ZN7rocprim17ROCPRIM_400000_NS6detail17trampoline_kernelINS0_14default_configENS1_35radix_sort_onesweep_config_selectorIbNS0_10empty_typeEEEZZNS1_29radix_sort_onesweep_iterationIS3_Lb1EPKbPbPS5_SB_mNS0_19identity_decomposerENS1_16block_id_wrapperIjLb0EEEEE10hipError_tT1_PNSt15iterator_traitsISG_E10value_typeET2_T3_PNSH_ISM_E10value_typeET4_T5_PSR_SS_PNS1_23onesweep_lookback_stateEbbT6_jjT7_P12ihipStream_tbENKUlT_T0_SG_SL_E_clIS9_SA_SB_SB_EEDaSZ_S10_SG_SL_EUlSZ_E_NS1_11comp_targetILNS1_3genE0ELNS1_11target_archE4294967295ELNS1_3gpuE0ELNS1_3repE0EEENS1_47radix_sort_onesweep_sort_config_static_selectorELNS0_4arch9wavefront6targetE0EEEvSG_.numbered_sgpr, 25
	.set _ZN7rocprim17ROCPRIM_400000_NS6detail17trampoline_kernelINS0_14default_configENS1_35radix_sort_onesweep_config_selectorIbNS0_10empty_typeEEEZZNS1_29radix_sort_onesweep_iterationIS3_Lb1EPKbPbPS5_SB_mNS0_19identity_decomposerENS1_16block_id_wrapperIjLb0EEEEE10hipError_tT1_PNSt15iterator_traitsISG_E10value_typeET2_T3_PNSH_ISM_E10value_typeET4_T5_PSR_SS_PNS1_23onesweep_lookback_stateEbbT6_jjT7_P12ihipStream_tbENKUlT_T0_SG_SL_E_clIS9_SA_SB_SB_EEDaSZ_S10_SG_SL_EUlSZ_E_NS1_11comp_targetILNS1_3genE0ELNS1_11target_archE4294967295ELNS1_3gpuE0ELNS1_3repE0EEENS1_47radix_sort_onesweep_sort_config_static_selectorELNS0_4arch9wavefront6targetE0EEEvSG_.num_named_barrier, 0
	.set _ZN7rocprim17ROCPRIM_400000_NS6detail17trampoline_kernelINS0_14default_configENS1_35radix_sort_onesweep_config_selectorIbNS0_10empty_typeEEEZZNS1_29radix_sort_onesweep_iterationIS3_Lb1EPKbPbPS5_SB_mNS0_19identity_decomposerENS1_16block_id_wrapperIjLb0EEEEE10hipError_tT1_PNSt15iterator_traitsISG_E10value_typeET2_T3_PNSH_ISM_E10value_typeET4_T5_PSR_SS_PNS1_23onesweep_lookback_stateEbbT6_jjT7_P12ihipStream_tbENKUlT_T0_SG_SL_E_clIS9_SA_SB_SB_EEDaSZ_S10_SG_SL_EUlSZ_E_NS1_11comp_targetILNS1_3genE0ELNS1_11target_archE4294967295ELNS1_3gpuE0ELNS1_3repE0EEENS1_47radix_sort_onesweep_sort_config_static_selectorELNS0_4arch9wavefront6targetE0EEEvSG_.private_seg_size, 0
	.set _ZN7rocprim17ROCPRIM_400000_NS6detail17trampoline_kernelINS0_14default_configENS1_35radix_sort_onesweep_config_selectorIbNS0_10empty_typeEEEZZNS1_29radix_sort_onesweep_iterationIS3_Lb1EPKbPbPS5_SB_mNS0_19identity_decomposerENS1_16block_id_wrapperIjLb0EEEEE10hipError_tT1_PNSt15iterator_traitsISG_E10value_typeET2_T3_PNSH_ISM_E10value_typeET4_T5_PSR_SS_PNS1_23onesweep_lookback_stateEbbT6_jjT7_P12ihipStream_tbENKUlT_T0_SG_SL_E_clIS9_SA_SB_SB_EEDaSZ_S10_SG_SL_EUlSZ_E_NS1_11comp_targetILNS1_3genE0ELNS1_11target_archE4294967295ELNS1_3gpuE0ELNS1_3repE0EEENS1_47radix_sort_onesweep_sort_config_static_selectorELNS0_4arch9wavefront6targetE0EEEvSG_.uses_vcc, 1
	.set _ZN7rocprim17ROCPRIM_400000_NS6detail17trampoline_kernelINS0_14default_configENS1_35radix_sort_onesweep_config_selectorIbNS0_10empty_typeEEEZZNS1_29radix_sort_onesweep_iterationIS3_Lb1EPKbPbPS5_SB_mNS0_19identity_decomposerENS1_16block_id_wrapperIjLb0EEEEE10hipError_tT1_PNSt15iterator_traitsISG_E10value_typeET2_T3_PNSH_ISM_E10value_typeET4_T5_PSR_SS_PNS1_23onesweep_lookback_stateEbbT6_jjT7_P12ihipStream_tbENKUlT_T0_SG_SL_E_clIS9_SA_SB_SB_EEDaSZ_S10_SG_SL_EUlSZ_E_NS1_11comp_targetILNS1_3genE0ELNS1_11target_archE4294967295ELNS1_3gpuE0ELNS1_3repE0EEENS1_47radix_sort_onesweep_sort_config_static_selectorELNS0_4arch9wavefront6targetE0EEEvSG_.uses_flat_scratch, 0
	.set _ZN7rocprim17ROCPRIM_400000_NS6detail17trampoline_kernelINS0_14default_configENS1_35radix_sort_onesweep_config_selectorIbNS0_10empty_typeEEEZZNS1_29radix_sort_onesweep_iterationIS3_Lb1EPKbPbPS5_SB_mNS0_19identity_decomposerENS1_16block_id_wrapperIjLb0EEEEE10hipError_tT1_PNSt15iterator_traitsISG_E10value_typeET2_T3_PNSH_ISM_E10value_typeET4_T5_PSR_SS_PNS1_23onesweep_lookback_stateEbbT6_jjT7_P12ihipStream_tbENKUlT_T0_SG_SL_E_clIS9_SA_SB_SB_EEDaSZ_S10_SG_SL_EUlSZ_E_NS1_11comp_targetILNS1_3genE0ELNS1_11target_archE4294967295ELNS1_3gpuE0ELNS1_3repE0EEENS1_47radix_sort_onesweep_sort_config_static_selectorELNS0_4arch9wavefront6targetE0EEEvSG_.has_dyn_sized_stack, 0
	.set _ZN7rocprim17ROCPRIM_400000_NS6detail17trampoline_kernelINS0_14default_configENS1_35radix_sort_onesweep_config_selectorIbNS0_10empty_typeEEEZZNS1_29radix_sort_onesweep_iterationIS3_Lb1EPKbPbPS5_SB_mNS0_19identity_decomposerENS1_16block_id_wrapperIjLb0EEEEE10hipError_tT1_PNSt15iterator_traitsISG_E10value_typeET2_T3_PNSH_ISM_E10value_typeET4_T5_PSR_SS_PNS1_23onesweep_lookback_stateEbbT6_jjT7_P12ihipStream_tbENKUlT_T0_SG_SL_E_clIS9_SA_SB_SB_EEDaSZ_S10_SG_SL_EUlSZ_E_NS1_11comp_targetILNS1_3genE0ELNS1_11target_archE4294967295ELNS1_3gpuE0ELNS1_3repE0EEENS1_47radix_sort_onesweep_sort_config_static_selectorELNS0_4arch9wavefront6targetE0EEEvSG_.has_recursion, 0
	.set _ZN7rocprim17ROCPRIM_400000_NS6detail17trampoline_kernelINS0_14default_configENS1_35radix_sort_onesweep_config_selectorIbNS0_10empty_typeEEEZZNS1_29radix_sort_onesweep_iterationIS3_Lb1EPKbPbPS5_SB_mNS0_19identity_decomposerENS1_16block_id_wrapperIjLb0EEEEE10hipError_tT1_PNSt15iterator_traitsISG_E10value_typeET2_T3_PNSH_ISM_E10value_typeET4_T5_PSR_SS_PNS1_23onesweep_lookback_stateEbbT6_jjT7_P12ihipStream_tbENKUlT_T0_SG_SL_E_clIS9_SA_SB_SB_EEDaSZ_S10_SG_SL_EUlSZ_E_NS1_11comp_targetILNS1_3genE0ELNS1_11target_archE4294967295ELNS1_3gpuE0ELNS1_3repE0EEENS1_47radix_sort_onesweep_sort_config_static_selectorELNS0_4arch9wavefront6targetE0EEEvSG_.has_indirect_call, 0
	.section	.AMDGPU.csdata,"",@progbits
; Kernel info:
; codeLenInByte = 13148
; TotalNumSgprs: 27
; NumVgprs: 80
; ScratchSize: 0
; MemoryBound: 0
; FloatMode: 240
; IeeeMode: 1
; LDSByteSize: 32904 bytes/workgroup (compile time only)
; SGPRBlocks: 0
; VGPRBlocks: 4
; NumSGPRsForWavesPerEU: 27
; NumVGPRsForWavesPerEU: 80
; NamedBarCnt: 0
; Occupancy: 12
; WaveLimiterHint : 0
; COMPUTE_PGM_RSRC2:SCRATCH_EN: 0
; COMPUTE_PGM_RSRC2:USER_SGPR: 2
; COMPUTE_PGM_RSRC2:TRAP_HANDLER: 0
; COMPUTE_PGM_RSRC2:TGID_X_EN: 1
; COMPUTE_PGM_RSRC2:TGID_Y_EN: 0
; COMPUTE_PGM_RSRC2:TGID_Z_EN: 0
; COMPUTE_PGM_RSRC2:TIDIG_COMP_CNT: 0
	.section	.text._ZN7rocprim17ROCPRIM_400000_NS6detail17trampoline_kernelINS0_14default_configENS1_35radix_sort_onesweep_config_selectorIbNS0_10empty_typeEEEZZNS1_29radix_sort_onesweep_iterationIS3_Lb1EPKbPbPS5_SB_mNS0_19identity_decomposerENS1_16block_id_wrapperIjLb0EEEEE10hipError_tT1_PNSt15iterator_traitsISG_E10value_typeET2_T3_PNSH_ISM_E10value_typeET4_T5_PSR_SS_PNS1_23onesweep_lookback_stateEbbT6_jjT7_P12ihipStream_tbENKUlT_T0_SG_SL_E_clIS9_SA_SB_SB_EEDaSZ_S10_SG_SL_EUlSZ_E_NS1_11comp_targetILNS1_3genE6ELNS1_11target_archE950ELNS1_3gpuE13ELNS1_3repE0EEENS1_47radix_sort_onesweep_sort_config_static_selectorELNS0_4arch9wavefront6targetE0EEEvSG_,"axG",@progbits,_ZN7rocprim17ROCPRIM_400000_NS6detail17trampoline_kernelINS0_14default_configENS1_35radix_sort_onesweep_config_selectorIbNS0_10empty_typeEEEZZNS1_29radix_sort_onesweep_iterationIS3_Lb1EPKbPbPS5_SB_mNS0_19identity_decomposerENS1_16block_id_wrapperIjLb0EEEEE10hipError_tT1_PNSt15iterator_traitsISG_E10value_typeET2_T3_PNSH_ISM_E10value_typeET4_T5_PSR_SS_PNS1_23onesweep_lookback_stateEbbT6_jjT7_P12ihipStream_tbENKUlT_T0_SG_SL_E_clIS9_SA_SB_SB_EEDaSZ_S10_SG_SL_EUlSZ_E_NS1_11comp_targetILNS1_3genE6ELNS1_11target_archE950ELNS1_3gpuE13ELNS1_3repE0EEENS1_47radix_sort_onesweep_sort_config_static_selectorELNS0_4arch9wavefront6targetE0EEEvSG_,comdat
	.protected	_ZN7rocprim17ROCPRIM_400000_NS6detail17trampoline_kernelINS0_14default_configENS1_35radix_sort_onesweep_config_selectorIbNS0_10empty_typeEEEZZNS1_29radix_sort_onesweep_iterationIS3_Lb1EPKbPbPS5_SB_mNS0_19identity_decomposerENS1_16block_id_wrapperIjLb0EEEEE10hipError_tT1_PNSt15iterator_traitsISG_E10value_typeET2_T3_PNSH_ISM_E10value_typeET4_T5_PSR_SS_PNS1_23onesweep_lookback_stateEbbT6_jjT7_P12ihipStream_tbENKUlT_T0_SG_SL_E_clIS9_SA_SB_SB_EEDaSZ_S10_SG_SL_EUlSZ_E_NS1_11comp_targetILNS1_3genE6ELNS1_11target_archE950ELNS1_3gpuE13ELNS1_3repE0EEENS1_47radix_sort_onesweep_sort_config_static_selectorELNS0_4arch9wavefront6targetE0EEEvSG_ ; -- Begin function _ZN7rocprim17ROCPRIM_400000_NS6detail17trampoline_kernelINS0_14default_configENS1_35radix_sort_onesweep_config_selectorIbNS0_10empty_typeEEEZZNS1_29radix_sort_onesweep_iterationIS3_Lb1EPKbPbPS5_SB_mNS0_19identity_decomposerENS1_16block_id_wrapperIjLb0EEEEE10hipError_tT1_PNSt15iterator_traitsISG_E10value_typeET2_T3_PNSH_ISM_E10value_typeET4_T5_PSR_SS_PNS1_23onesweep_lookback_stateEbbT6_jjT7_P12ihipStream_tbENKUlT_T0_SG_SL_E_clIS9_SA_SB_SB_EEDaSZ_S10_SG_SL_EUlSZ_E_NS1_11comp_targetILNS1_3genE6ELNS1_11target_archE950ELNS1_3gpuE13ELNS1_3repE0EEENS1_47radix_sort_onesweep_sort_config_static_selectorELNS0_4arch9wavefront6targetE0EEEvSG_
	.globl	_ZN7rocprim17ROCPRIM_400000_NS6detail17trampoline_kernelINS0_14default_configENS1_35radix_sort_onesweep_config_selectorIbNS0_10empty_typeEEEZZNS1_29radix_sort_onesweep_iterationIS3_Lb1EPKbPbPS5_SB_mNS0_19identity_decomposerENS1_16block_id_wrapperIjLb0EEEEE10hipError_tT1_PNSt15iterator_traitsISG_E10value_typeET2_T3_PNSH_ISM_E10value_typeET4_T5_PSR_SS_PNS1_23onesweep_lookback_stateEbbT6_jjT7_P12ihipStream_tbENKUlT_T0_SG_SL_E_clIS9_SA_SB_SB_EEDaSZ_S10_SG_SL_EUlSZ_E_NS1_11comp_targetILNS1_3genE6ELNS1_11target_archE950ELNS1_3gpuE13ELNS1_3repE0EEENS1_47radix_sort_onesweep_sort_config_static_selectorELNS0_4arch9wavefront6targetE0EEEvSG_
	.p2align	8
	.type	_ZN7rocprim17ROCPRIM_400000_NS6detail17trampoline_kernelINS0_14default_configENS1_35radix_sort_onesweep_config_selectorIbNS0_10empty_typeEEEZZNS1_29radix_sort_onesweep_iterationIS3_Lb1EPKbPbPS5_SB_mNS0_19identity_decomposerENS1_16block_id_wrapperIjLb0EEEEE10hipError_tT1_PNSt15iterator_traitsISG_E10value_typeET2_T3_PNSH_ISM_E10value_typeET4_T5_PSR_SS_PNS1_23onesweep_lookback_stateEbbT6_jjT7_P12ihipStream_tbENKUlT_T0_SG_SL_E_clIS9_SA_SB_SB_EEDaSZ_S10_SG_SL_EUlSZ_E_NS1_11comp_targetILNS1_3genE6ELNS1_11target_archE950ELNS1_3gpuE13ELNS1_3repE0EEENS1_47radix_sort_onesweep_sort_config_static_selectorELNS0_4arch9wavefront6targetE0EEEvSG_,@function
_ZN7rocprim17ROCPRIM_400000_NS6detail17trampoline_kernelINS0_14default_configENS1_35radix_sort_onesweep_config_selectorIbNS0_10empty_typeEEEZZNS1_29radix_sort_onesweep_iterationIS3_Lb1EPKbPbPS5_SB_mNS0_19identity_decomposerENS1_16block_id_wrapperIjLb0EEEEE10hipError_tT1_PNSt15iterator_traitsISG_E10value_typeET2_T3_PNSH_ISM_E10value_typeET4_T5_PSR_SS_PNS1_23onesweep_lookback_stateEbbT6_jjT7_P12ihipStream_tbENKUlT_T0_SG_SL_E_clIS9_SA_SB_SB_EEDaSZ_S10_SG_SL_EUlSZ_E_NS1_11comp_targetILNS1_3genE6ELNS1_11target_archE950ELNS1_3gpuE13ELNS1_3repE0EEENS1_47radix_sort_onesweep_sort_config_static_selectorELNS0_4arch9wavefront6targetE0EEEvSG_: ; @_ZN7rocprim17ROCPRIM_400000_NS6detail17trampoline_kernelINS0_14default_configENS1_35radix_sort_onesweep_config_selectorIbNS0_10empty_typeEEEZZNS1_29radix_sort_onesweep_iterationIS3_Lb1EPKbPbPS5_SB_mNS0_19identity_decomposerENS1_16block_id_wrapperIjLb0EEEEE10hipError_tT1_PNSt15iterator_traitsISG_E10value_typeET2_T3_PNSH_ISM_E10value_typeET4_T5_PSR_SS_PNS1_23onesweep_lookback_stateEbbT6_jjT7_P12ihipStream_tbENKUlT_T0_SG_SL_E_clIS9_SA_SB_SB_EEDaSZ_S10_SG_SL_EUlSZ_E_NS1_11comp_targetILNS1_3genE6ELNS1_11target_archE950ELNS1_3gpuE13ELNS1_3repE0EEENS1_47radix_sort_onesweep_sort_config_static_selectorELNS0_4arch9wavefront6targetE0EEEvSG_
; %bb.0:
	.section	.rodata,"a",@progbits
	.p2align	6, 0x0
	.amdhsa_kernel _ZN7rocprim17ROCPRIM_400000_NS6detail17trampoline_kernelINS0_14default_configENS1_35radix_sort_onesweep_config_selectorIbNS0_10empty_typeEEEZZNS1_29radix_sort_onesweep_iterationIS3_Lb1EPKbPbPS5_SB_mNS0_19identity_decomposerENS1_16block_id_wrapperIjLb0EEEEE10hipError_tT1_PNSt15iterator_traitsISG_E10value_typeET2_T3_PNSH_ISM_E10value_typeET4_T5_PSR_SS_PNS1_23onesweep_lookback_stateEbbT6_jjT7_P12ihipStream_tbENKUlT_T0_SG_SL_E_clIS9_SA_SB_SB_EEDaSZ_S10_SG_SL_EUlSZ_E_NS1_11comp_targetILNS1_3genE6ELNS1_11target_archE950ELNS1_3gpuE13ELNS1_3repE0EEENS1_47radix_sort_onesweep_sort_config_static_selectorELNS0_4arch9wavefront6targetE0EEEvSG_
		.amdhsa_group_segment_fixed_size 0
		.amdhsa_private_segment_fixed_size 0
		.amdhsa_kernarg_size 88
		.amdhsa_user_sgpr_count 2
		.amdhsa_user_sgpr_dispatch_ptr 0
		.amdhsa_user_sgpr_queue_ptr 0
		.amdhsa_user_sgpr_kernarg_segment_ptr 1
		.amdhsa_user_sgpr_dispatch_id 0
		.amdhsa_user_sgpr_kernarg_preload_length 0
		.amdhsa_user_sgpr_kernarg_preload_offset 0
		.amdhsa_user_sgpr_private_segment_size 0
		.amdhsa_wavefront_size32 1
		.amdhsa_uses_dynamic_stack 0
		.amdhsa_enable_private_segment 0
		.amdhsa_system_sgpr_workgroup_id_x 1
		.amdhsa_system_sgpr_workgroup_id_y 0
		.amdhsa_system_sgpr_workgroup_id_z 0
		.amdhsa_system_sgpr_workgroup_info 0
		.amdhsa_system_vgpr_workitem_id 0
		.amdhsa_next_free_vgpr 1
		.amdhsa_next_free_sgpr 1
		.amdhsa_named_barrier_count 0
		.amdhsa_reserve_vcc 0
		.amdhsa_float_round_mode_32 0
		.amdhsa_float_round_mode_16_64 0
		.amdhsa_float_denorm_mode_32 3
		.amdhsa_float_denorm_mode_16_64 3
		.amdhsa_fp16_overflow 0
		.amdhsa_memory_ordered 1
		.amdhsa_forward_progress 1
		.amdhsa_inst_pref_size 0
		.amdhsa_round_robin_scheduling 0
		.amdhsa_exception_fp_ieee_invalid_op 0
		.amdhsa_exception_fp_denorm_src 0
		.amdhsa_exception_fp_ieee_div_zero 0
		.amdhsa_exception_fp_ieee_overflow 0
		.amdhsa_exception_fp_ieee_underflow 0
		.amdhsa_exception_fp_ieee_inexact 0
		.amdhsa_exception_int_div_zero 0
	.end_amdhsa_kernel
	.section	.text._ZN7rocprim17ROCPRIM_400000_NS6detail17trampoline_kernelINS0_14default_configENS1_35radix_sort_onesweep_config_selectorIbNS0_10empty_typeEEEZZNS1_29radix_sort_onesweep_iterationIS3_Lb1EPKbPbPS5_SB_mNS0_19identity_decomposerENS1_16block_id_wrapperIjLb0EEEEE10hipError_tT1_PNSt15iterator_traitsISG_E10value_typeET2_T3_PNSH_ISM_E10value_typeET4_T5_PSR_SS_PNS1_23onesweep_lookback_stateEbbT6_jjT7_P12ihipStream_tbENKUlT_T0_SG_SL_E_clIS9_SA_SB_SB_EEDaSZ_S10_SG_SL_EUlSZ_E_NS1_11comp_targetILNS1_3genE6ELNS1_11target_archE950ELNS1_3gpuE13ELNS1_3repE0EEENS1_47radix_sort_onesweep_sort_config_static_selectorELNS0_4arch9wavefront6targetE0EEEvSG_,"axG",@progbits,_ZN7rocprim17ROCPRIM_400000_NS6detail17trampoline_kernelINS0_14default_configENS1_35radix_sort_onesweep_config_selectorIbNS0_10empty_typeEEEZZNS1_29radix_sort_onesweep_iterationIS3_Lb1EPKbPbPS5_SB_mNS0_19identity_decomposerENS1_16block_id_wrapperIjLb0EEEEE10hipError_tT1_PNSt15iterator_traitsISG_E10value_typeET2_T3_PNSH_ISM_E10value_typeET4_T5_PSR_SS_PNS1_23onesweep_lookback_stateEbbT6_jjT7_P12ihipStream_tbENKUlT_T0_SG_SL_E_clIS9_SA_SB_SB_EEDaSZ_S10_SG_SL_EUlSZ_E_NS1_11comp_targetILNS1_3genE6ELNS1_11target_archE950ELNS1_3gpuE13ELNS1_3repE0EEENS1_47radix_sort_onesweep_sort_config_static_selectorELNS0_4arch9wavefront6targetE0EEEvSG_,comdat
.Lfunc_end1760:
	.size	_ZN7rocprim17ROCPRIM_400000_NS6detail17trampoline_kernelINS0_14default_configENS1_35radix_sort_onesweep_config_selectorIbNS0_10empty_typeEEEZZNS1_29radix_sort_onesweep_iterationIS3_Lb1EPKbPbPS5_SB_mNS0_19identity_decomposerENS1_16block_id_wrapperIjLb0EEEEE10hipError_tT1_PNSt15iterator_traitsISG_E10value_typeET2_T3_PNSH_ISM_E10value_typeET4_T5_PSR_SS_PNS1_23onesweep_lookback_stateEbbT6_jjT7_P12ihipStream_tbENKUlT_T0_SG_SL_E_clIS9_SA_SB_SB_EEDaSZ_S10_SG_SL_EUlSZ_E_NS1_11comp_targetILNS1_3genE6ELNS1_11target_archE950ELNS1_3gpuE13ELNS1_3repE0EEENS1_47radix_sort_onesweep_sort_config_static_selectorELNS0_4arch9wavefront6targetE0EEEvSG_, .Lfunc_end1760-_ZN7rocprim17ROCPRIM_400000_NS6detail17trampoline_kernelINS0_14default_configENS1_35radix_sort_onesweep_config_selectorIbNS0_10empty_typeEEEZZNS1_29radix_sort_onesweep_iterationIS3_Lb1EPKbPbPS5_SB_mNS0_19identity_decomposerENS1_16block_id_wrapperIjLb0EEEEE10hipError_tT1_PNSt15iterator_traitsISG_E10value_typeET2_T3_PNSH_ISM_E10value_typeET4_T5_PSR_SS_PNS1_23onesweep_lookback_stateEbbT6_jjT7_P12ihipStream_tbENKUlT_T0_SG_SL_E_clIS9_SA_SB_SB_EEDaSZ_S10_SG_SL_EUlSZ_E_NS1_11comp_targetILNS1_3genE6ELNS1_11target_archE950ELNS1_3gpuE13ELNS1_3repE0EEENS1_47radix_sort_onesweep_sort_config_static_selectorELNS0_4arch9wavefront6targetE0EEEvSG_
                                        ; -- End function
	.set _ZN7rocprim17ROCPRIM_400000_NS6detail17trampoline_kernelINS0_14default_configENS1_35radix_sort_onesweep_config_selectorIbNS0_10empty_typeEEEZZNS1_29radix_sort_onesweep_iterationIS3_Lb1EPKbPbPS5_SB_mNS0_19identity_decomposerENS1_16block_id_wrapperIjLb0EEEEE10hipError_tT1_PNSt15iterator_traitsISG_E10value_typeET2_T3_PNSH_ISM_E10value_typeET4_T5_PSR_SS_PNS1_23onesweep_lookback_stateEbbT6_jjT7_P12ihipStream_tbENKUlT_T0_SG_SL_E_clIS9_SA_SB_SB_EEDaSZ_S10_SG_SL_EUlSZ_E_NS1_11comp_targetILNS1_3genE6ELNS1_11target_archE950ELNS1_3gpuE13ELNS1_3repE0EEENS1_47radix_sort_onesweep_sort_config_static_selectorELNS0_4arch9wavefront6targetE0EEEvSG_.num_vgpr, 0
	.set _ZN7rocprim17ROCPRIM_400000_NS6detail17trampoline_kernelINS0_14default_configENS1_35radix_sort_onesweep_config_selectorIbNS0_10empty_typeEEEZZNS1_29radix_sort_onesweep_iterationIS3_Lb1EPKbPbPS5_SB_mNS0_19identity_decomposerENS1_16block_id_wrapperIjLb0EEEEE10hipError_tT1_PNSt15iterator_traitsISG_E10value_typeET2_T3_PNSH_ISM_E10value_typeET4_T5_PSR_SS_PNS1_23onesweep_lookback_stateEbbT6_jjT7_P12ihipStream_tbENKUlT_T0_SG_SL_E_clIS9_SA_SB_SB_EEDaSZ_S10_SG_SL_EUlSZ_E_NS1_11comp_targetILNS1_3genE6ELNS1_11target_archE950ELNS1_3gpuE13ELNS1_3repE0EEENS1_47radix_sort_onesweep_sort_config_static_selectorELNS0_4arch9wavefront6targetE0EEEvSG_.num_agpr, 0
	.set _ZN7rocprim17ROCPRIM_400000_NS6detail17trampoline_kernelINS0_14default_configENS1_35radix_sort_onesweep_config_selectorIbNS0_10empty_typeEEEZZNS1_29radix_sort_onesweep_iterationIS3_Lb1EPKbPbPS5_SB_mNS0_19identity_decomposerENS1_16block_id_wrapperIjLb0EEEEE10hipError_tT1_PNSt15iterator_traitsISG_E10value_typeET2_T3_PNSH_ISM_E10value_typeET4_T5_PSR_SS_PNS1_23onesweep_lookback_stateEbbT6_jjT7_P12ihipStream_tbENKUlT_T0_SG_SL_E_clIS9_SA_SB_SB_EEDaSZ_S10_SG_SL_EUlSZ_E_NS1_11comp_targetILNS1_3genE6ELNS1_11target_archE950ELNS1_3gpuE13ELNS1_3repE0EEENS1_47radix_sort_onesweep_sort_config_static_selectorELNS0_4arch9wavefront6targetE0EEEvSG_.numbered_sgpr, 0
	.set _ZN7rocprim17ROCPRIM_400000_NS6detail17trampoline_kernelINS0_14default_configENS1_35radix_sort_onesweep_config_selectorIbNS0_10empty_typeEEEZZNS1_29radix_sort_onesweep_iterationIS3_Lb1EPKbPbPS5_SB_mNS0_19identity_decomposerENS1_16block_id_wrapperIjLb0EEEEE10hipError_tT1_PNSt15iterator_traitsISG_E10value_typeET2_T3_PNSH_ISM_E10value_typeET4_T5_PSR_SS_PNS1_23onesweep_lookback_stateEbbT6_jjT7_P12ihipStream_tbENKUlT_T0_SG_SL_E_clIS9_SA_SB_SB_EEDaSZ_S10_SG_SL_EUlSZ_E_NS1_11comp_targetILNS1_3genE6ELNS1_11target_archE950ELNS1_3gpuE13ELNS1_3repE0EEENS1_47radix_sort_onesweep_sort_config_static_selectorELNS0_4arch9wavefront6targetE0EEEvSG_.num_named_barrier, 0
	.set _ZN7rocprim17ROCPRIM_400000_NS6detail17trampoline_kernelINS0_14default_configENS1_35radix_sort_onesweep_config_selectorIbNS0_10empty_typeEEEZZNS1_29radix_sort_onesweep_iterationIS3_Lb1EPKbPbPS5_SB_mNS0_19identity_decomposerENS1_16block_id_wrapperIjLb0EEEEE10hipError_tT1_PNSt15iterator_traitsISG_E10value_typeET2_T3_PNSH_ISM_E10value_typeET4_T5_PSR_SS_PNS1_23onesweep_lookback_stateEbbT6_jjT7_P12ihipStream_tbENKUlT_T0_SG_SL_E_clIS9_SA_SB_SB_EEDaSZ_S10_SG_SL_EUlSZ_E_NS1_11comp_targetILNS1_3genE6ELNS1_11target_archE950ELNS1_3gpuE13ELNS1_3repE0EEENS1_47radix_sort_onesweep_sort_config_static_selectorELNS0_4arch9wavefront6targetE0EEEvSG_.private_seg_size, 0
	.set _ZN7rocprim17ROCPRIM_400000_NS6detail17trampoline_kernelINS0_14default_configENS1_35radix_sort_onesweep_config_selectorIbNS0_10empty_typeEEEZZNS1_29radix_sort_onesweep_iterationIS3_Lb1EPKbPbPS5_SB_mNS0_19identity_decomposerENS1_16block_id_wrapperIjLb0EEEEE10hipError_tT1_PNSt15iterator_traitsISG_E10value_typeET2_T3_PNSH_ISM_E10value_typeET4_T5_PSR_SS_PNS1_23onesweep_lookback_stateEbbT6_jjT7_P12ihipStream_tbENKUlT_T0_SG_SL_E_clIS9_SA_SB_SB_EEDaSZ_S10_SG_SL_EUlSZ_E_NS1_11comp_targetILNS1_3genE6ELNS1_11target_archE950ELNS1_3gpuE13ELNS1_3repE0EEENS1_47radix_sort_onesweep_sort_config_static_selectorELNS0_4arch9wavefront6targetE0EEEvSG_.uses_vcc, 0
	.set _ZN7rocprim17ROCPRIM_400000_NS6detail17trampoline_kernelINS0_14default_configENS1_35radix_sort_onesweep_config_selectorIbNS0_10empty_typeEEEZZNS1_29radix_sort_onesweep_iterationIS3_Lb1EPKbPbPS5_SB_mNS0_19identity_decomposerENS1_16block_id_wrapperIjLb0EEEEE10hipError_tT1_PNSt15iterator_traitsISG_E10value_typeET2_T3_PNSH_ISM_E10value_typeET4_T5_PSR_SS_PNS1_23onesweep_lookback_stateEbbT6_jjT7_P12ihipStream_tbENKUlT_T0_SG_SL_E_clIS9_SA_SB_SB_EEDaSZ_S10_SG_SL_EUlSZ_E_NS1_11comp_targetILNS1_3genE6ELNS1_11target_archE950ELNS1_3gpuE13ELNS1_3repE0EEENS1_47radix_sort_onesweep_sort_config_static_selectorELNS0_4arch9wavefront6targetE0EEEvSG_.uses_flat_scratch, 0
	.set _ZN7rocprim17ROCPRIM_400000_NS6detail17trampoline_kernelINS0_14default_configENS1_35radix_sort_onesweep_config_selectorIbNS0_10empty_typeEEEZZNS1_29radix_sort_onesweep_iterationIS3_Lb1EPKbPbPS5_SB_mNS0_19identity_decomposerENS1_16block_id_wrapperIjLb0EEEEE10hipError_tT1_PNSt15iterator_traitsISG_E10value_typeET2_T3_PNSH_ISM_E10value_typeET4_T5_PSR_SS_PNS1_23onesweep_lookback_stateEbbT6_jjT7_P12ihipStream_tbENKUlT_T0_SG_SL_E_clIS9_SA_SB_SB_EEDaSZ_S10_SG_SL_EUlSZ_E_NS1_11comp_targetILNS1_3genE6ELNS1_11target_archE950ELNS1_3gpuE13ELNS1_3repE0EEENS1_47radix_sort_onesweep_sort_config_static_selectorELNS0_4arch9wavefront6targetE0EEEvSG_.has_dyn_sized_stack, 0
	.set _ZN7rocprim17ROCPRIM_400000_NS6detail17trampoline_kernelINS0_14default_configENS1_35radix_sort_onesweep_config_selectorIbNS0_10empty_typeEEEZZNS1_29radix_sort_onesweep_iterationIS3_Lb1EPKbPbPS5_SB_mNS0_19identity_decomposerENS1_16block_id_wrapperIjLb0EEEEE10hipError_tT1_PNSt15iterator_traitsISG_E10value_typeET2_T3_PNSH_ISM_E10value_typeET4_T5_PSR_SS_PNS1_23onesweep_lookback_stateEbbT6_jjT7_P12ihipStream_tbENKUlT_T0_SG_SL_E_clIS9_SA_SB_SB_EEDaSZ_S10_SG_SL_EUlSZ_E_NS1_11comp_targetILNS1_3genE6ELNS1_11target_archE950ELNS1_3gpuE13ELNS1_3repE0EEENS1_47radix_sort_onesweep_sort_config_static_selectorELNS0_4arch9wavefront6targetE0EEEvSG_.has_recursion, 0
	.set _ZN7rocprim17ROCPRIM_400000_NS6detail17trampoline_kernelINS0_14default_configENS1_35radix_sort_onesweep_config_selectorIbNS0_10empty_typeEEEZZNS1_29radix_sort_onesweep_iterationIS3_Lb1EPKbPbPS5_SB_mNS0_19identity_decomposerENS1_16block_id_wrapperIjLb0EEEEE10hipError_tT1_PNSt15iterator_traitsISG_E10value_typeET2_T3_PNSH_ISM_E10value_typeET4_T5_PSR_SS_PNS1_23onesweep_lookback_stateEbbT6_jjT7_P12ihipStream_tbENKUlT_T0_SG_SL_E_clIS9_SA_SB_SB_EEDaSZ_S10_SG_SL_EUlSZ_E_NS1_11comp_targetILNS1_3genE6ELNS1_11target_archE950ELNS1_3gpuE13ELNS1_3repE0EEENS1_47radix_sort_onesweep_sort_config_static_selectorELNS0_4arch9wavefront6targetE0EEEvSG_.has_indirect_call, 0
	.section	.AMDGPU.csdata,"",@progbits
; Kernel info:
; codeLenInByte = 0
; TotalNumSgprs: 0
; NumVgprs: 0
; ScratchSize: 0
; MemoryBound: 0
; FloatMode: 240
; IeeeMode: 1
; LDSByteSize: 0 bytes/workgroup (compile time only)
; SGPRBlocks: 0
; VGPRBlocks: 0
; NumSGPRsForWavesPerEU: 1
; NumVGPRsForWavesPerEU: 1
; NamedBarCnt: 0
; Occupancy: 16
; WaveLimiterHint : 0
; COMPUTE_PGM_RSRC2:SCRATCH_EN: 0
; COMPUTE_PGM_RSRC2:USER_SGPR: 2
; COMPUTE_PGM_RSRC2:TRAP_HANDLER: 0
; COMPUTE_PGM_RSRC2:TGID_X_EN: 1
; COMPUTE_PGM_RSRC2:TGID_Y_EN: 0
; COMPUTE_PGM_RSRC2:TGID_Z_EN: 0
; COMPUTE_PGM_RSRC2:TIDIG_COMP_CNT: 0
	.section	.text._ZN7rocprim17ROCPRIM_400000_NS6detail17trampoline_kernelINS0_14default_configENS1_35radix_sort_onesweep_config_selectorIbNS0_10empty_typeEEEZZNS1_29radix_sort_onesweep_iterationIS3_Lb1EPKbPbPS5_SB_mNS0_19identity_decomposerENS1_16block_id_wrapperIjLb0EEEEE10hipError_tT1_PNSt15iterator_traitsISG_E10value_typeET2_T3_PNSH_ISM_E10value_typeET4_T5_PSR_SS_PNS1_23onesweep_lookback_stateEbbT6_jjT7_P12ihipStream_tbENKUlT_T0_SG_SL_E_clIS9_SA_SB_SB_EEDaSZ_S10_SG_SL_EUlSZ_E_NS1_11comp_targetILNS1_3genE5ELNS1_11target_archE942ELNS1_3gpuE9ELNS1_3repE0EEENS1_47radix_sort_onesweep_sort_config_static_selectorELNS0_4arch9wavefront6targetE0EEEvSG_,"axG",@progbits,_ZN7rocprim17ROCPRIM_400000_NS6detail17trampoline_kernelINS0_14default_configENS1_35radix_sort_onesweep_config_selectorIbNS0_10empty_typeEEEZZNS1_29radix_sort_onesweep_iterationIS3_Lb1EPKbPbPS5_SB_mNS0_19identity_decomposerENS1_16block_id_wrapperIjLb0EEEEE10hipError_tT1_PNSt15iterator_traitsISG_E10value_typeET2_T3_PNSH_ISM_E10value_typeET4_T5_PSR_SS_PNS1_23onesweep_lookback_stateEbbT6_jjT7_P12ihipStream_tbENKUlT_T0_SG_SL_E_clIS9_SA_SB_SB_EEDaSZ_S10_SG_SL_EUlSZ_E_NS1_11comp_targetILNS1_3genE5ELNS1_11target_archE942ELNS1_3gpuE9ELNS1_3repE0EEENS1_47radix_sort_onesweep_sort_config_static_selectorELNS0_4arch9wavefront6targetE0EEEvSG_,comdat
	.protected	_ZN7rocprim17ROCPRIM_400000_NS6detail17trampoline_kernelINS0_14default_configENS1_35radix_sort_onesweep_config_selectorIbNS0_10empty_typeEEEZZNS1_29radix_sort_onesweep_iterationIS3_Lb1EPKbPbPS5_SB_mNS0_19identity_decomposerENS1_16block_id_wrapperIjLb0EEEEE10hipError_tT1_PNSt15iterator_traitsISG_E10value_typeET2_T3_PNSH_ISM_E10value_typeET4_T5_PSR_SS_PNS1_23onesweep_lookback_stateEbbT6_jjT7_P12ihipStream_tbENKUlT_T0_SG_SL_E_clIS9_SA_SB_SB_EEDaSZ_S10_SG_SL_EUlSZ_E_NS1_11comp_targetILNS1_3genE5ELNS1_11target_archE942ELNS1_3gpuE9ELNS1_3repE0EEENS1_47radix_sort_onesweep_sort_config_static_selectorELNS0_4arch9wavefront6targetE0EEEvSG_ ; -- Begin function _ZN7rocprim17ROCPRIM_400000_NS6detail17trampoline_kernelINS0_14default_configENS1_35radix_sort_onesweep_config_selectorIbNS0_10empty_typeEEEZZNS1_29radix_sort_onesweep_iterationIS3_Lb1EPKbPbPS5_SB_mNS0_19identity_decomposerENS1_16block_id_wrapperIjLb0EEEEE10hipError_tT1_PNSt15iterator_traitsISG_E10value_typeET2_T3_PNSH_ISM_E10value_typeET4_T5_PSR_SS_PNS1_23onesweep_lookback_stateEbbT6_jjT7_P12ihipStream_tbENKUlT_T0_SG_SL_E_clIS9_SA_SB_SB_EEDaSZ_S10_SG_SL_EUlSZ_E_NS1_11comp_targetILNS1_3genE5ELNS1_11target_archE942ELNS1_3gpuE9ELNS1_3repE0EEENS1_47radix_sort_onesweep_sort_config_static_selectorELNS0_4arch9wavefront6targetE0EEEvSG_
	.globl	_ZN7rocprim17ROCPRIM_400000_NS6detail17trampoline_kernelINS0_14default_configENS1_35radix_sort_onesweep_config_selectorIbNS0_10empty_typeEEEZZNS1_29radix_sort_onesweep_iterationIS3_Lb1EPKbPbPS5_SB_mNS0_19identity_decomposerENS1_16block_id_wrapperIjLb0EEEEE10hipError_tT1_PNSt15iterator_traitsISG_E10value_typeET2_T3_PNSH_ISM_E10value_typeET4_T5_PSR_SS_PNS1_23onesweep_lookback_stateEbbT6_jjT7_P12ihipStream_tbENKUlT_T0_SG_SL_E_clIS9_SA_SB_SB_EEDaSZ_S10_SG_SL_EUlSZ_E_NS1_11comp_targetILNS1_3genE5ELNS1_11target_archE942ELNS1_3gpuE9ELNS1_3repE0EEENS1_47radix_sort_onesweep_sort_config_static_selectorELNS0_4arch9wavefront6targetE0EEEvSG_
	.p2align	8
	.type	_ZN7rocprim17ROCPRIM_400000_NS6detail17trampoline_kernelINS0_14default_configENS1_35radix_sort_onesweep_config_selectorIbNS0_10empty_typeEEEZZNS1_29radix_sort_onesweep_iterationIS3_Lb1EPKbPbPS5_SB_mNS0_19identity_decomposerENS1_16block_id_wrapperIjLb0EEEEE10hipError_tT1_PNSt15iterator_traitsISG_E10value_typeET2_T3_PNSH_ISM_E10value_typeET4_T5_PSR_SS_PNS1_23onesweep_lookback_stateEbbT6_jjT7_P12ihipStream_tbENKUlT_T0_SG_SL_E_clIS9_SA_SB_SB_EEDaSZ_S10_SG_SL_EUlSZ_E_NS1_11comp_targetILNS1_3genE5ELNS1_11target_archE942ELNS1_3gpuE9ELNS1_3repE0EEENS1_47radix_sort_onesweep_sort_config_static_selectorELNS0_4arch9wavefront6targetE0EEEvSG_,@function
_ZN7rocprim17ROCPRIM_400000_NS6detail17trampoline_kernelINS0_14default_configENS1_35radix_sort_onesweep_config_selectorIbNS0_10empty_typeEEEZZNS1_29radix_sort_onesweep_iterationIS3_Lb1EPKbPbPS5_SB_mNS0_19identity_decomposerENS1_16block_id_wrapperIjLb0EEEEE10hipError_tT1_PNSt15iterator_traitsISG_E10value_typeET2_T3_PNSH_ISM_E10value_typeET4_T5_PSR_SS_PNS1_23onesweep_lookback_stateEbbT6_jjT7_P12ihipStream_tbENKUlT_T0_SG_SL_E_clIS9_SA_SB_SB_EEDaSZ_S10_SG_SL_EUlSZ_E_NS1_11comp_targetILNS1_3genE5ELNS1_11target_archE942ELNS1_3gpuE9ELNS1_3repE0EEENS1_47radix_sort_onesweep_sort_config_static_selectorELNS0_4arch9wavefront6targetE0EEEvSG_: ; @_ZN7rocprim17ROCPRIM_400000_NS6detail17trampoline_kernelINS0_14default_configENS1_35radix_sort_onesweep_config_selectorIbNS0_10empty_typeEEEZZNS1_29radix_sort_onesweep_iterationIS3_Lb1EPKbPbPS5_SB_mNS0_19identity_decomposerENS1_16block_id_wrapperIjLb0EEEEE10hipError_tT1_PNSt15iterator_traitsISG_E10value_typeET2_T3_PNSH_ISM_E10value_typeET4_T5_PSR_SS_PNS1_23onesweep_lookback_stateEbbT6_jjT7_P12ihipStream_tbENKUlT_T0_SG_SL_E_clIS9_SA_SB_SB_EEDaSZ_S10_SG_SL_EUlSZ_E_NS1_11comp_targetILNS1_3genE5ELNS1_11target_archE942ELNS1_3gpuE9ELNS1_3repE0EEENS1_47radix_sort_onesweep_sort_config_static_selectorELNS0_4arch9wavefront6targetE0EEEvSG_
; %bb.0:
	.section	.rodata,"a",@progbits
	.p2align	6, 0x0
	.amdhsa_kernel _ZN7rocprim17ROCPRIM_400000_NS6detail17trampoline_kernelINS0_14default_configENS1_35radix_sort_onesweep_config_selectorIbNS0_10empty_typeEEEZZNS1_29radix_sort_onesweep_iterationIS3_Lb1EPKbPbPS5_SB_mNS0_19identity_decomposerENS1_16block_id_wrapperIjLb0EEEEE10hipError_tT1_PNSt15iterator_traitsISG_E10value_typeET2_T3_PNSH_ISM_E10value_typeET4_T5_PSR_SS_PNS1_23onesweep_lookback_stateEbbT6_jjT7_P12ihipStream_tbENKUlT_T0_SG_SL_E_clIS9_SA_SB_SB_EEDaSZ_S10_SG_SL_EUlSZ_E_NS1_11comp_targetILNS1_3genE5ELNS1_11target_archE942ELNS1_3gpuE9ELNS1_3repE0EEENS1_47radix_sort_onesweep_sort_config_static_selectorELNS0_4arch9wavefront6targetE0EEEvSG_
		.amdhsa_group_segment_fixed_size 0
		.amdhsa_private_segment_fixed_size 0
		.amdhsa_kernarg_size 88
		.amdhsa_user_sgpr_count 2
		.amdhsa_user_sgpr_dispatch_ptr 0
		.amdhsa_user_sgpr_queue_ptr 0
		.amdhsa_user_sgpr_kernarg_segment_ptr 1
		.amdhsa_user_sgpr_dispatch_id 0
		.amdhsa_user_sgpr_kernarg_preload_length 0
		.amdhsa_user_sgpr_kernarg_preload_offset 0
		.amdhsa_user_sgpr_private_segment_size 0
		.amdhsa_wavefront_size32 1
		.amdhsa_uses_dynamic_stack 0
		.amdhsa_enable_private_segment 0
		.amdhsa_system_sgpr_workgroup_id_x 1
		.amdhsa_system_sgpr_workgroup_id_y 0
		.amdhsa_system_sgpr_workgroup_id_z 0
		.amdhsa_system_sgpr_workgroup_info 0
		.amdhsa_system_vgpr_workitem_id 0
		.amdhsa_next_free_vgpr 1
		.amdhsa_next_free_sgpr 1
		.amdhsa_named_barrier_count 0
		.amdhsa_reserve_vcc 0
		.amdhsa_float_round_mode_32 0
		.amdhsa_float_round_mode_16_64 0
		.amdhsa_float_denorm_mode_32 3
		.amdhsa_float_denorm_mode_16_64 3
		.amdhsa_fp16_overflow 0
		.amdhsa_memory_ordered 1
		.amdhsa_forward_progress 1
		.amdhsa_inst_pref_size 0
		.amdhsa_round_robin_scheduling 0
		.amdhsa_exception_fp_ieee_invalid_op 0
		.amdhsa_exception_fp_denorm_src 0
		.amdhsa_exception_fp_ieee_div_zero 0
		.amdhsa_exception_fp_ieee_overflow 0
		.amdhsa_exception_fp_ieee_underflow 0
		.amdhsa_exception_fp_ieee_inexact 0
		.amdhsa_exception_int_div_zero 0
	.end_amdhsa_kernel
	.section	.text._ZN7rocprim17ROCPRIM_400000_NS6detail17trampoline_kernelINS0_14default_configENS1_35radix_sort_onesweep_config_selectorIbNS0_10empty_typeEEEZZNS1_29radix_sort_onesweep_iterationIS3_Lb1EPKbPbPS5_SB_mNS0_19identity_decomposerENS1_16block_id_wrapperIjLb0EEEEE10hipError_tT1_PNSt15iterator_traitsISG_E10value_typeET2_T3_PNSH_ISM_E10value_typeET4_T5_PSR_SS_PNS1_23onesweep_lookback_stateEbbT6_jjT7_P12ihipStream_tbENKUlT_T0_SG_SL_E_clIS9_SA_SB_SB_EEDaSZ_S10_SG_SL_EUlSZ_E_NS1_11comp_targetILNS1_3genE5ELNS1_11target_archE942ELNS1_3gpuE9ELNS1_3repE0EEENS1_47radix_sort_onesweep_sort_config_static_selectorELNS0_4arch9wavefront6targetE0EEEvSG_,"axG",@progbits,_ZN7rocprim17ROCPRIM_400000_NS6detail17trampoline_kernelINS0_14default_configENS1_35radix_sort_onesweep_config_selectorIbNS0_10empty_typeEEEZZNS1_29radix_sort_onesweep_iterationIS3_Lb1EPKbPbPS5_SB_mNS0_19identity_decomposerENS1_16block_id_wrapperIjLb0EEEEE10hipError_tT1_PNSt15iterator_traitsISG_E10value_typeET2_T3_PNSH_ISM_E10value_typeET4_T5_PSR_SS_PNS1_23onesweep_lookback_stateEbbT6_jjT7_P12ihipStream_tbENKUlT_T0_SG_SL_E_clIS9_SA_SB_SB_EEDaSZ_S10_SG_SL_EUlSZ_E_NS1_11comp_targetILNS1_3genE5ELNS1_11target_archE942ELNS1_3gpuE9ELNS1_3repE0EEENS1_47radix_sort_onesweep_sort_config_static_selectorELNS0_4arch9wavefront6targetE0EEEvSG_,comdat
.Lfunc_end1761:
	.size	_ZN7rocprim17ROCPRIM_400000_NS6detail17trampoline_kernelINS0_14default_configENS1_35radix_sort_onesweep_config_selectorIbNS0_10empty_typeEEEZZNS1_29radix_sort_onesweep_iterationIS3_Lb1EPKbPbPS5_SB_mNS0_19identity_decomposerENS1_16block_id_wrapperIjLb0EEEEE10hipError_tT1_PNSt15iterator_traitsISG_E10value_typeET2_T3_PNSH_ISM_E10value_typeET4_T5_PSR_SS_PNS1_23onesweep_lookback_stateEbbT6_jjT7_P12ihipStream_tbENKUlT_T0_SG_SL_E_clIS9_SA_SB_SB_EEDaSZ_S10_SG_SL_EUlSZ_E_NS1_11comp_targetILNS1_3genE5ELNS1_11target_archE942ELNS1_3gpuE9ELNS1_3repE0EEENS1_47radix_sort_onesweep_sort_config_static_selectorELNS0_4arch9wavefront6targetE0EEEvSG_, .Lfunc_end1761-_ZN7rocprim17ROCPRIM_400000_NS6detail17trampoline_kernelINS0_14default_configENS1_35radix_sort_onesweep_config_selectorIbNS0_10empty_typeEEEZZNS1_29radix_sort_onesweep_iterationIS3_Lb1EPKbPbPS5_SB_mNS0_19identity_decomposerENS1_16block_id_wrapperIjLb0EEEEE10hipError_tT1_PNSt15iterator_traitsISG_E10value_typeET2_T3_PNSH_ISM_E10value_typeET4_T5_PSR_SS_PNS1_23onesweep_lookback_stateEbbT6_jjT7_P12ihipStream_tbENKUlT_T0_SG_SL_E_clIS9_SA_SB_SB_EEDaSZ_S10_SG_SL_EUlSZ_E_NS1_11comp_targetILNS1_3genE5ELNS1_11target_archE942ELNS1_3gpuE9ELNS1_3repE0EEENS1_47radix_sort_onesweep_sort_config_static_selectorELNS0_4arch9wavefront6targetE0EEEvSG_
                                        ; -- End function
	.set _ZN7rocprim17ROCPRIM_400000_NS6detail17trampoline_kernelINS0_14default_configENS1_35radix_sort_onesweep_config_selectorIbNS0_10empty_typeEEEZZNS1_29radix_sort_onesweep_iterationIS3_Lb1EPKbPbPS5_SB_mNS0_19identity_decomposerENS1_16block_id_wrapperIjLb0EEEEE10hipError_tT1_PNSt15iterator_traitsISG_E10value_typeET2_T3_PNSH_ISM_E10value_typeET4_T5_PSR_SS_PNS1_23onesweep_lookback_stateEbbT6_jjT7_P12ihipStream_tbENKUlT_T0_SG_SL_E_clIS9_SA_SB_SB_EEDaSZ_S10_SG_SL_EUlSZ_E_NS1_11comp_targetILNS1_3genE5ELNS1_11target_archE942ELNS1_3gpuE9ELNS1_3repE0EEENS1_47radix_sort_onesweep_sort_config_static_selectorELNS0_4arch9wavefront6targetE0EEEvSG_.num_vgpr, 0
	.set _ZN7rocprim17ROCPRIM_400000_NS6detail17trampoline_kernelINS0_14default_configENS1_35radix_sort_onesweep_config_selectorIbNS0_10empty_typeEEEZZNS1_29radix_sort_onesweep_iterationIS3_Lb1EPKbPbPS5_SB_mNS0_19identity_decomposerENS1_16block_id_wrapperIjLb0EEEEE10hipError_tT1_PNSt15iterator_traitsISG_E10value_typeET2_T3_PNSH_ISM_E10value_typeET4_T5_PSR_SS_PNS1_23onesweep_lookback_stateEbbT6_jjT7_P12ihipStream_tbENKUlT_T0_SG_SL_E_clIS9_SA_SB_SB_EEDaSZ_S10_SG_SL_EUlSZ_E_NS1_11comp_targetILNS1_3genE5ELNS1_11target_archE942ELNS1_3gpuE9ELNS1_3repE0EEENS1_47radix_sort_onesweep_sort_config_static_selectorELNS0_4arch9wavefront6targetE0EEEvSG_.num_agpr, 0
	.set _ZN7rocprim17ROCPRIM_400000_NS6detail17trampoline_kernelINS0_14default_configENS1_35radix_sort_onesweep_config_selectorIbNS0_10empty_typeEEEZZNS1_29radix_sort_onesweep_iterationIS3_Lb1EPKbPbPS5_SB_mNS0_19identity_decomposerENS1_16block_id_wrapperIjLb0EEEEE10hipError_tT1_PNSt15iterator_traitsISG_E10value_typeET2_T3_PNSH_ISM_E10value_typeET4_T5_PSR_SS_PNS1_23onesweep_lookback_stateEbbT6_jjT7_P12ihipStream_tbENKUlT_T0_SG_SL_E_clIS9_SA_SB_SB_EEDaSZ_S10_SG_SL_EUlSZ_E_NS1_11comp_targetILNS1_3genE5ELNS1_11target_archE942ELNS1_3gpuE9ELNS1_3repE0EEENS1_47radix_sort_onesweep_sort_config_static_selectorELNS0_4arch9wavefront6targetE0EEEvSG_.numbered_sgpr, 0
	.set _ZN7rocprim17ROCPRIM_400000_NS6detail17trampoline_kernelINS0_14default_configENS1_35radix_sort_onesweep_config_selectorIbNS0_10empty_typeEEEZZNS1_29radix_sort_onesweep_iterationIS3_Lb1EPKbPbPS5_SB_mNS0_19identity_decomposerENS1_16block_id_wrapperIjLb0EEEEE10hipError_tT1_PNSt15iterator_traitsISG_E10value_typeET2_T3_PNSH_ISM_E10value_typeET4_T5_PSR_SS_PNS1_23onesweep_lookback_stateEbbT6_jjT7_P12ihipStream_tbENKUlT_T0_SG_SL_E_clIS9_SA_SB_SB_EEDaSZ_S10_SG_SL_EUlSZ_E_NS1_11comp_targetILNS1_3genE5ELNS1_11target_archE942ELNS1_3gpuE9ELNS1_3repE0EEENS1_47radix_sort_onesweep_sort_config_static_selectorELNS0_4arch9wavefront6targetE0EEEvSG_.num_named_barrier, 0
	.set _ZN7rocprim17ROCPRIM_400000_NS6detail17trampoline_kernelINS0_14default_configENS1_35radix_sort_onesweep_config_selectorIbNS0_10empty_typeEEEZZNS1_29radix_sort_onesweep_iterationIS3_Lb1EPKbPbPS5_SB_mNS0_19identity_decomposerENS1_16block_id_wrapperIjLb0EEEEE10hipError_tT1_PNSt15iterator_traitsISG_E10value_typeET2_T3_PNSH_ISM_E10value_typeET4_T5_PSR_SS_PNS1_23onesweep_lookback_stateEbbT6_jjT7_P12ihipStream_tbENKUlT_T0_SG_SL_E_clIS9_SA_SB_SB_EEDaSZ_S10_SG_SL_EUlSZ_E_NS1_11comp_targetILNS1_3genE5ELNS1_11target_archE942ELNS1_3gpuE9ELNS1_3repE0EEENS1_47radix_sort_onesweep_sort_config_static_selectorELNS0_4arch9wavefront6targetE0EEEvSG_.private_seg_size, 0
	.set _ZN7rocprim17ROCPRIM_400000_NS6detail17trampoline_kernelINS0_14default_configENS1_35radix_sort_onesweep_config_selectorIbNS0_10empty_typeEEEZZNS1_29radix_sort_onesweep_iterationIS3_Lb1EPKbPbPS5_SB_mNS0_19identity_decomposerENS1_16block_id_wrapperIjLb0EEEEE10hipError_tT1_PNSt15iterator_traitsISG_E10value_typeET2_T3_PNSH_ISM_E10value_typeET4_T5_PSR_SS_PNS1_23onesweep_lookback_stateEbbT6_jjT7_P12ihipStream_tbENKUlT_T0_SG_SL_E_clIS9_SA_SB_SB_EEDaSZ_S10_SG_SL_EUlSZ_E_NS1_11comp_targetILNS1_3genE5ELNS1_11target_archE942ELNS1_3gpuE9ELNS1_3repE0EEENS1_47radix_sort_onesweep_sort_config_static_selectorELNS0_4arch9wavefront6targetE0EEEvSG_.uses_vcc, 0
	.set _ZN7rocprim17ROCPRIM_400000_NS6detail17trampoline_kernelINS0_14default_configENS1_35radix_sort_onesweep_config_selectorIbNS0_10empty_typeEEEZZNS1_29radix_sort_onesweep_iterationIS3_Lb1EPKbPbPS5_SB_mNS0_19identity_decomposerENS1_16block_id_wrapperIjLb0EEEEE10hipError_tT1_PNSt15iterator_traitsISG_E10value_typeET2_T3_PNSH_ISM_E10value_typeET4_T5_PSR_SS_PNS1_23onesweep_lookback_stateEbbT6_jjT7_P12ihipStream_tbENKUlT_T0_SG_SL_E_clIS9_SA_SB_SB_EEDaSZ_S10_SG_SL_EUlSZ_E_NS1_11comp_targetILNS1_3genE5ELNS1_11target_archE942ELNS1_3gpuE9ELNS1_3repE0EEENS1_47radix_sort_onesweep_sort_config_static_selectorELNS0_4arch9wavefront6targetE0EEEvSG_.uses_flat_scratch, 0
	.set _ZN7rocprim17ROCPRIM_400000_NS6detail17trampoline_kernelINS0_14default_configENS1_35radix_sort_onesweep_config_selectorIbNS0_10empty_typeEEEZZNS1_29radix_sort_onesweep_iterationIS3_Lb1EPKbPbPS5_SB_mNS0_19identity_decomposerENS1_16block_id_wrapperIjLb0EEEEE10hipError_tT1_PNSt15iterator_traitsISG_E10value_typeET2_T3_PNSH_ISM_E10value_typeET4_T5_PSR_SS_PNS1_23onesweep_lookback_stateEbbT6_jjT7_P12ihipStream_tbENKUlT_T0_SG_SL_E_clIS9_SA_SB_SB_EEDaSZ_S10_SG_SL_EUlSZ_E_NS1_11comp_targetILNS1_3genE5ELNS1_11target_archE942ELNS1_3gpuE9ELNS1_3repE0EEENS1_47radix_sort_onesweep_sort_config_static_selectorELNS0_4arch9wavefront6targetE0EEEvSG_.has_dyn_sized_stack, 0
	.set _ZN7rocprim17ROCPRIM_400000_NS6detail17trampoline_kernelINS0_14default_configENS1_35radix_sort_onesweep_config_selectorIbNS0_10empty_typeEEEZZNS1_29radix_sort_onesweep_iterationIS3_Lb1EPKbPbPS5_SB_mNS0_19identity_decomposerENS1_16block_id_wrapperIjLb0EEEEE10hipError_tT1_PNSt15iterator_traitsISG_E10value_typeET2_T3_PNSH_ISM_E10value_typeET4_T5_PSR_SS_PNS1_23onesweep_lookback_stateEbbT6_jjT7_P12ihipStream_tbENKUlT_T0_SG_SL_E_clIS9_SA_SB_SB_EEDaSZ_S10_SG_SL_EUlSZ_E_NS1_11comp_targetILNS1_3genE5ELNS1_11target_archE942ELNS1_3gpuE9ELNS1_3repE0EEENS1_47radix_sort_onesweep_sort_config_static_selectorELNS0_4arch9wavefront6targetE0EEEvSG_.has_recursion, 0
	.set _ZN7rocprim17ROCPRIM_400000_NS6detail17trampoline_kernelINS0_14default_configENS1_35radix_sort_onesweep_config_selectorIbNS0_10empty_typeEEEZZNS1_29radix_sort_onesweep_iterationIS3_Lb1EPKbPbPS5_SB_mNS0_19identity_decomposerENS1_16block_id_wrapperIjLb0EEEEE10hipError_tT1_PNSt15iterator_traitsISG_E10value_typeET2_T3_PNSH_ISM_E10value_typeET4_T5_PSR_SS_PNS1_23onesweep_lookback_stateEbbT6_jjT7_P12ihipStream_tbENKUlT_T0_SG_SL_E_clIS9_SA_SB_SB_EEDaSZ_S10_SG_SL_EUlSZ_E_NS1_11comp_targetILNS1_3genE5ELNS1_11target_archE942ELNS1_3gpuE9ELNS1_3repE0EEENS1_47radix_sort_onesweep_sort_config_static_selectorELNS0_4arch9wavefront6targetE0EEEvSG_.has_indirect_call, 0
	.section	.AMDGPU.csdata,"",@progbits
; Kernel info:
; codeLenInByte = 0
; TotalNumSgprs: 0
; NumVgprs: 0
; ScratchSize: 0
; MemoryBound: 0
; FloatMode: 240
; IeeeMode: 1
; LDSByteSize: 0 bytes/workgroup (compile time only)
; SGPRBlocks: 0
; VGPRBlocks: 0
; NumSGPRsForWavesPerEU: 1
; NumVGPRsForWavesPerEU: 1
; NamedBarCnt: 0
; Occupancy: 16
; WaveLimiterHint : 0
; COMPUTE_PGM_RSRC2:SCRATCH_EN: 0
; COMPUTE_PGM_RSRC2:USER_SGPR: 2
; COMPUTE_PGM_RSRC2:TRAP_HANDLER: 0
; COMPUTE_PGM_RSRC2:TGID_X_EN: 1
; COMPUTE_PGM_RSRC2:TGID_Y_EN: 0
; COMPUTE_PGM_RSRC2:TGID_Z_EN: 0
; COMPUTE_PGM_RSRC2:TIDIG_COMP_CNT: 0
	.section	.text._ZN7rocprim17ROCPRIM_400000_NS6detail17trampoline_kernelINS0_14default_configENS1_35radix_sort_onesweep_config_selectorIbNS0_10empty_typeEEEZZNS1_29radix_sort_onesweep_iterationIS3_Lb1EPKbPbPS5_SB_mNS0_19identity_decomposerENS1_16block_id_wrapperIjLb0EEEEE10hipError_tT1_PNSt15iterator_traitsISG_E10value_typeET2_T3_PNSH_ISM_E10value_typeET4_T5_PSR_SS_PNS1_23onesweep_lookback_stateEbbT6_jjT7_P12ihipStream_tbENKUlT_T0_SG_SL_E_clIS9_SA_SB_SB_EEDaSZ_S10_SG_SL_EUlSZ_E_NS1_11comp_targetILNS1_3genE2ELNS1_11target_archE906ELNS1_3gpuE6ELNS1_3repE0EEENS1_47radix_sort_onesweep_sort_config_static_selectorELNS0_4arch9wavefront6targetE0EEEvSG_,"axG",@progbits,_ZN7rocprim17ROCPRIM_400000_NS6detail17trampoline_kernelINS0_14default_configENS1_35radix_sort_onesweep_config_selectorIbNS0_10empty_typeEEEZZNS1_29radix_sort_onesweep_iterationIS3_Lb1EPKbPbPS5_SB_mNS0_19identity_decomposerENS1_16block_id_wrapperIjLb0EEEEE10hipError_tT1_PNSt15iterator_traitsISG_E10value_typeET2_T3_PNSH_ISM_E10value_typeET4_T5_PSR_SS_PNS1_23onesweep_lookback_stateEbbT6_jjT7_P12ihipStream_tbENKUlT_T0_SG_SL_E_clIS9_SA_SB_SB_EEDaSZ_S10_SG_SL_EUlSZ_E_NS1_11comp_targetILNS1_3genE2ELNS1_11target_archE906ELNS1_3gpuE6ELNS1_3repE0EEENS1_47radix_sort_onesweep_sort_config_static_selectorELNS0_4arch9wavefront6targetE0EEEvSG_,comdat
	.protected	_ZN7rocprim17ROCPRIM_400000_NS6detail17trampoline_kernelINS0_14default_configENS1_35radix_sort_onesweep_config_selectorIbNS0_10empty_typeEEEZZNS1_29radix_sort_onesweep_iterationIS3_Lb1EPKbPbPS5_SB_mNS0_19identity_decomposerENS1_16block_id_wrapperIjLb0EEEEE10hipError_tT1_PNSt15iterator_traitsISG_E10value_typeET2_T3_PNSH_ISM_E10value_typeET4_T5_PSR_SS_PNS1_23onesweep_lookback_stateEbbT6_jjT7_P12ihipStream_tbENKUlT_T0_SG_SL_E_clIS9_SA_SB_SB_EEDaSZ_S10_SG_SL_EUlSZ_E_NS1_11comp_targetILNS1_3genE2ELNS1_11target_archE906ELNS1_3gpuE6ELNS1_3repE0EEENS1_47radix_sort_onesweep_sort_config_static_selectorELNS0_4arch9wavefront6targetE0EEEvSG_ ; -- Begin function _ZN7rocprim17ROCPRIM_400000_NS6detail17trampoline_kernelINS0_14default_configENS1_35radix_sort_onesweep_config_selectorIbNS0_10empty_typeEEEZZNS1_29radix_sort_onesweep_iterationIS3_Lb1EPKbPbPS5_SB_mNS0_19identity_decomposerENS1_16block_id_wrapperIjLb0EEEEE10hipError_tT1_PNSt15iterator_traitsISG_E10value_typeET2_T3_PNSH_ISM_E10value_typeET4_T5_PSR_SS_PNS1_23onesweep_lookback_stateEbbT6_jjT7_P12ihipStream_tbENKUlT_T0_SG_SL_E_clIS9_SA_SB_SB_EEDaSZ_S10_SG_SL_EUlSZ_E_NS1_11comp_targetILNS1_3genE2ELNS1_11target_archE906ELNS1_3gpuE6ELNS1_3repE0EEENS1_47radix_sort_onesweep_sort_config_static_selectorELNS0_4arch9wavefront6targetE0EEEvSG_
	.globl	_ZN7rocprim17ROCPRIM_400000_NS6detail17trampoline_kernelINS0_14default_configENS1_35radix_sort_onesweep_config_selectorIbNS0_10empty_typeEEEZZNS1_29radix_sort_onesweep_iterationIS3_Lb1EPKbPbPS5_SB_mNS0_19identity_decomposerENS1_16block_id_wrapperIjLb0EEEEE10hipError_tT1_PNSt15iterator_traitsISG_E10value_typeET2_T3_PNSH_ISM_E10value_typeET4_T5_PSR_SS_PNS1_23onesweep_lookback_stateEbbT6_jjT7_P12ihipStream_tbENKUlT_T0_SG_SL_E_clIS9_SA_SB_SB_EEDaSZ_S10_SG_SL_EUlSZ_E_NS1_11comp_targetILNS1_3genE2ELNS1_11target_archE906ELNS1_3gpuE6ELNS1_3repE0EEENS1_47radix_sort_onesweep_sort_config_static_selectorELNS0_4arch9wavefront6targetE0EEEvSG_
	.p2align	8
	.type	_ZN7rocprim17ROCPRIM_400000_NS6detail17trampoline_kernelINS0_14default_configENS1_35radix_sort_onesweep_config_selectorIbNS0_10empty_typeEEEZZNS1_29radix_sort_onesweep_iterationIS3_Lb1EPKbPbPS5_SB_mNS0_19identity_decomposerENS1_16block_id_wrapperIjLb0EEEEE10hipError_tT1_PNSt15iterator_traitsISG_E10value_typeET2_T3_PNSH_ISM_E10value_typeET4_T5_PSR_SS_PNS1_23onesweep_lookback_stateEbbT6_jjT7_P12ihipStream_tbENKUlT_T0_SG_SL_E_clIS9_SA_SB_SB_EEDaSZ_S10_SG_SL_EUlSZ_E_NS1_11comp_targetILNS1_3genE2ELNS1_11target_archE906ELNS1_3gpuE6ELNS1_3repE0EEENS1_47radix_sort_onesweep_sort_config_static_selectorELNS0_4arch9wavefront6targetE0EEEvSG_,@function
_ZN7rocprim17ROCPRIM_400000_NS6detail17trampoline_kernelINS0_14default_configENS1_35radix_sort_onesweep_config_selectorIbNS0_10empty_typeEEEZZNS1_29radix_sort_onesweep_iterationIS3_Lb1EPKbPbPS5_SB_mNS0_19identity_decomposerENS1_16block_id_wrapperIjLb0EEEEE10hipError_tT1_PNSt15iterator_traitsISG_E10value_typeET2_T3_PNSH_ISM_E10value_typeET4_T5_PSR_SS_PNS1_23onesweep_lookback_stateEbbT6_jjT7_P12ihipStream_tbENKUlT_T0_SG_SL_E_clIS9_SA_SB_SB_EEDaSZ_S10_SG_SL_EUlSZ_E_NS1_11comp_targetILNS1_3genE2ELNS1_11target_archE906ELNS1_3gpuE6ELNS1_3repE0EEENS1_47radix_sort_onesweep_sort_config_static_selectorELNS0_4arch9wavefront6targetE0EEEvSG_: ; @_ZN7rocprim17ROCPRIM_400000_NS6detail17trampoline_kernelINS0_14default_configENS1_35radix_sort_onesweep_config_selectorIbNS0_10empty_typeEEEZZNS1_29radix_sort_onesweep_iterationIS3_Lb1EPKbPbPS5_SB_mNS0_19identity_decomposerENS1_16block_id_wrapperIjLb0EEEEE10hipError_tT1_PNSt15iterator_traitsISG_E10value_typeET2_T3_PNSH_ISM_E10value_typeET4_T5_PSR_SS_PNS1_23onesweep_lookback_stateEbbT6_jjT7_P12ihipStream_tbENKUlT_T0_SG_SL_E_clIS9_SA_SB_SB_EEDaSZ_S10_SG_SL_EUlSZ_E_NS1_11comp_targetILNS1_3genE2ELNS1_11target_archE906ELNS1_3gpuE6ELNS1_3repE0EEENS1_47radix_sort_onesweep_sort_config_static_selectorELNS0_4arch9wavefront6targetE0EEEvSG_
; %bb.0:
	.section	.rodata,"a",@progbits
	.p2align	6, 0x0
	.amdhsa_kernel _ZN7rocprim17ROCPRIM_400000_NS6detail17trampoline_kernelINS0_14default_configENS1_35radix_sort_onesweep_config_selectorIbNS0_10empty_typeEEEZZNS1_29radix_sort_onesweep_iterationIS3_Lb1EPKbPbPS5_SB_mNS0_19identity_decomposerENS1_16block_id_wrapperIjLb0EEEEE10hipError_tT1_PNSt15iterator_traitsISG_E10value_typeET2_T3_PNSH_ISM_E10value_typeET4_T5_PSR_SS_PNS1_23onesweep_lookback_stateEbbT6_jjT7_P12ihipStream_tbENKUlT_T0_SG_SL_E_clIS9_SA_SB_SB_EEDaSZ_S10_SG_SL_EUlSZ_E_NS1_11comp_targetILNS1_3genE2ELNS1_11target_archE906ELNS1_3gpuE6ELNS1_3repE0EEENS1_47radix_sort_onesweep_sort_config_static_selectorELNS0_4arch9wavefront6targetE0EEEvSG_
		.amdhsa_group_segment_fixed_size 0
		.amdhsa_private_segment_fixed_size 0
		.amdhsa_kernarg_size 88
		.amdhsa_user_sgpr_count 2
		.amdhsa_user_sgpr_dispatch_ptr 0
		.amdhsa_user_sgpr_queue_ptr 0
		.amdhsa_user_sgpr_kernarg_segment_ptr 1
		.amdhsa_user_sgpr_dispatch_id 0
		.amdhsa_user_sgpr_kernarg_preload_length 0
		.amdhsa_user_sgpr_kernarg_preload_offset 0
		.amdhsa_user_sgpr_private_segment_size 0
		.amdhsa_wavefront_size32 1
		.amdhsa_uses_dynamic_stack 0
		.amdhsa_enable_private_segment 0
		.amdhsa_system_sgpr_workgroup_id_x 1
		.amdhsa_system_sgpr_workgroup_id_y 0
		.amdhsa_system_sgpr_workgroup_id_z 0
		.amdhsa_system_sgpr_workgroup_info 0
		.amdhsa_system_vgpr_workitem_id 0
		.amdhsa_next_free_vgpr 1
		.amdhsa_next_free_sgpr 1
		.amdhsa_named_barrier_count 0
		.amdhsa_reserve_vcc 0
		.amdhsa_float_round_mode_32 0
		.amdhsa_float_round_mode_16_64 0
		.amdhsa_float_denorm_mode_32 3
		.amdhsa_float_denorm_mode_16_64 3
		.amdhsa_fp16_overflow 0
		.amdhsa_memory_ordered 1
		.amdhsa_forward_progress 1
		.amdhsa_inst_pref_size 0
		.amdhsa_round_robin_scheduling 0
		.amdhsa_exception_fp_ieee_invalid_op 0
		.amdhsa_exception_fp_denorm_src 0
		.amdhsa_exception_fp_ieee_div_zero 0
		.amdhsa_exception_fp_ieee_overflow 0
		.amdhsa_exception_fp_ieee_underflow 0
		.amdhsa_exception_fp_ieee_inexact 0
		.amdhsa_exception_int_div_zero 0
	.end_amdhsa_kernel
	.section	.text._ZN7rocprim17ROCPRIM_400000_NS6detail17trampoline_kernelINS0_14default_configENS1_35radix_sort_onesweep_config_selectorIbNS0_10empty_typeEEEZZNS1_29radix_sort_onesweep_iterationIS3_Lb1EPKbPbPS5_SB_mNS0_19identity_decomposerENS1_16block_id_wrapperIjLb0EEEEE10hipError_tT1_PNSt15iterator_traitsISG_E10value_typeET2_T3_PNSH_ISM_E10value_typeET4_T5_PSR_SS_PNS1_23onesweep_lookback_stateEbbT6_jjT7_P12ihipStream_tbENKUlT_T0_SG_SL_E_clIS9_SA_SB_SB_EEDaSZ_S10_SG_SL_EUlSZ_E_NS1_11comp_targetILNS1_3genE2ELNS1_11target_archE906ELNS1_3gpuE6ELNS1_3repE0EEENS1_47radix_sort_onesweep_sort_config_static_selectorELNS0_4arch9wavefront6targetE0EEEvSG_,"axG",@progbits,_ZN7rocprim17ROCPRIM_400000_NS6detail17trampoline_kernelINS0_14default_configENS1_35radix_sort_onesweep_config_selectorIbNS0_10empty_typeEEEZZNS1_29radix_sort_onesweep_iterationIS3_Lb1EPKbPbPS5_SB_mNS0_19identity_decomposerENS1_16block_id_wrapperIjLb0EEEEE10hipError_tT1_PNSt15iterator_traitsISG_E10value_typeET2_T3_PNSH_ISM_E10value_typeET4_T5_PSR_SS_PNS1_23onesweep_lookback_stateEbbT6_jjT7_P12ihipStream_tbENKUlT_T0_SG_SL_E_clIS9_SA_SB_SB_EEDaSZ_S10_SG_SL_EUlSZ_E_NS1_11comp_targetILNS1_3genE2ELNS1_11target_archE906ELNS1_3gpuE6ELNS1_3repE0EEENS1_47radix_sort_onesweep_sort_config_static_selectorELNS0_4arch9wavefront6targetE0EEEvSG_,comdat
.Lfunc_end1762:
	.size	_ZN7rocprim17ROCPRIM_400000_NS6detail17trampoline_kernelINS0_14default_configENS1_35radix_sort_onesweep_config_selectorIbNS0_10empty_typeEEEZZNS1_29radix_sort_onesweep_iterationIS3_Lb1EPKbPbPS5_SB_mNS0_19identity_decomposerENS1_16block_id_wrapperIjLb0EEEEE10hipError_tT1_PNSt15iterator_traitsISG_E10value_typeET2_T3_PNSH_ISM_E10value_typeET4_T5_PSR_SS_PNS1_23onesweep_lookback_stateEbbT6_jjT7_P12ihipStream_tbENKUlT_T0_SG_SL_E_clIS9_SA_SB_SB_EEDaSZ_S10_SG_SL_EUlSZ_E_NS1_11comp_targetILNS1_3genE2ELNS1_11target_archE906ELNS1_3gpuE6ELNS1_3repE0EEENS1_47radix_sort_onesweep_sort_config_static_selectorELNS0_4arch9wavefront6targetE0EEEvSG_, .Lfunc_end1762-_ZN7rocprim17ROCPRIM_400000_NS6detail17trampoline_kernelINS0_14default_configENS1_35radix_sort_onesweep_config_selectorIbNS0_10empty_typeEEEZZNS1_29radix_sort_onesweep_iterationIS3_Lb1EPKbPbPS5_SB_mNS0_19identity_decomposerENS1_16block_id_wrapperIjLb0EEEEE10hipError_tT1_PNSt15iterator_traitsISG_E10value_typeET2_T3_PNSH_ISM_E10value_typeET4_T5_PSR_SS_PNS1_23onesweep_lookback_stateEbbT6_jjT7_P12ihipStream_tbENKUlT_T0_SG_SL_E_clIS9_SA_SB_SB_EEDaSZ_S10_SG_SL_EUlSZ_E_NS1_11comp_targetILNS1_3genE2ELNS1_11target_archE906ELNS1_3gpuE6ELNS1_3repE0EEENS1_47radix_sort_onesweep_sort_config_static_selectorELNS0_4arch9wavefront6targetE0EEEvSG_
                                        ; -- End function
	.set _ZN7rocprim17ROCPRIM_400000_NS6detail17trampoline_kernelINS0_14default_configENS1_35radix_sort_onesweep_config_selectorIbNS0_10empty_typeEEEZZNS1_29radix_sort_onesweep_iterationIS3_Lb1EPKbPbPS5_SB_mNS0_19identity_decomposerENS1_16block_id_wrapperIjLb0EEEEE10hipError_tT1_PNSt15iterator_traitsISG_E10value_typeET2_T3_PNSH_ISM_E10value_typeET4_T5_PSR_SS_PNS1_23onesweep_lookback_stateEbbT6_jjT7_P12ihipStream_tbENKUlT_T0_SG_SL_E_clIS9_SA_SB_SB_EEDaSZ_S10_SG_SL_EUlSZ_E_NS1_11comp_targetILNS1_3genE2ELNS1_11target_archE906ELNS1_3gpuE6ELNS1_3repE0EEENS1_47radix_sort_onesweep_sort_config_static_selectorELNS0_4arch9wavefront6targetE0EEEvSG_.num_vgpr, 0
	.set _ZN7rocprim17ROCPRIM_400000_NS6detail17trampoline_kernelINS0_14default_configENS1_35radix_sort_onesweep_config_selectorIbNS0_10empty_typeEEEZZNS1_29radix_sort_onesweep_iterationIS3_Lb1EPKbPbPS5_SB_mNS0_19identity_decomposerENS1_16block_id_wrapperIjLb0EEEEE10hipError_tT1_PNSt15iterator_traitsISG_E10value_typeET2_T3_PNSH_ISM_E10value_typeET4_T5_PSR_SS_PNS1_23onesweep_lookback_stateEbbT6_jjT7_P12ihipStream_tbENKUlT_T0_SG_SL_E_clIS9_SA_SB_SB_EEDaSZ_S10_SG_SL_EUlSZ_E_NS1_11comp_targetILNS1_3genE2ELNS1_11target_archE906ELNS1_3gpuE6ELNS1_3repE0EEENS1_47radix_sort_onesweep_sort_config_static_selectorELNS0_4arch9wavefront6targetE0EEEvSG_.num_agpr, 0
	.set _ZN7rocprim17ROCPRIM_400000_NS6detail17trampoline_kernelINS0_14default_configENS1_35radix_sort_onesweep_config_selectorIbNS0_10empty_typeEEEZZNS1_29radix_sort_onesweep_iterationIS3_Lb1EPKbPbPS5_SB_mNS0_19identity_decomposerENS1_16block_id_wrapperIjLb0EEEEE10hipError_tT1_PNSt15iterator_traitsISG_E10value_typeET2_T3_PNSH_ISM_E10value_typeET4_T5_PSR_SS_PNS1_23onesweep_lookback_stateEbbT6_jjT7_P12ihipStream_tbENKUlT_T0_SG_SL_E_clIS9_SA_SB_SB_EEDaSZ_S10_SG_SL_EUlSZ_E_NS1_11comp_targetILNS1_3genE2ELNS1_11target_archE906ELNS1_3gpuE6ELNS1_3repE0EEENS1_47radix_sort_onesweep_sort_config_static_selectorELNS0_4arch9wavefront6targetE0EEEvSG_.numbered_sgpr, 0
	.set _ZN7rocprim17ROCPRIM_400000_NS6detail17trampoline_kernelINS0_14default_configENS1_35radix_sort_onesweep_config_selectorIbNS0_10empty_typeEEEZZNS1_29radix_sort_onesweep_iterationIS3_Lb1EPKbPbPS5_SB_mNS0_19identity_decomposerENS1_16block_id_wrapperIjLb0EEEEE10hipError_tT1_PNSt15iterator_traitsISG_E10value_typeET2_T3_PNSH_ISM_E10value_typeET4_T5_PSR_SS_PNS1_23onesweep_lookback_stateEbbT6_jjT7_P12ihipStream_tbENKUlT_T0_SG_SL_E_clIS9_SA_SB_SB_EEDaSZ_S10_SG_SL_EUlSZ_E_NS1_11comp_targetILNS1_3genE2ELNS1_11target_archE906ELNS1_3gpuE6ELNS1_3repE0EEENS1_47radix_sort_onesweep_sort_config_static_selectorELNS0_4arch9wavefront6targetE0EEEvSG_.num_named_barrier, 0
	.set _ZN7rocprim17ROCPRIM_400000_NS6detail17trampoline_kernelINS0_14default_configENS1_35radix_sort_onesweep_config_selectorIbNS0_10empty_typeEEEZZNS1_29radix_sort_onesweep_iterationIS3_Lb1EPKbPbPS5_SB_mNS0_19identity_decomposerENS1_16block_id_wrapperIjLb0EEEEE10hipError_tT1_PNSt15iterator_traitsISG_E10value_typeET2_T3_PNSH_ISM_E10value_typeET4_T5_PSR_SS_PNS1_23onesweep_lookback_stateEbbT6_jjT7_P12ihipStream_tbENKUlT_T0_SG_SL_E_clIS9_SA_SB_SB_EEDaSZ_S10_SG_SL_EUlSZ_E_NS1_11comp_targetILNS1_3genE2ELNS1_11target_archE906ELNS1_3gpuE6ELNS1_3repE0EEENS1_47radix_sort_onesweep_sort_config_static_selectorELNS0_4arch9wavefront6targetE0EEEvSG_.private_seg_size, 0
	.set _ZN7rocprim17ROCPRIM_400000_NS6detail17trampoline_kernelINS0_14default_configENS1_35radix_sort_onesweep_config_selectorIbNS0_10empty_typeEEEZZNS1_29radix_sort_onesweep_iterationIS3_Lb1EPKbPbPS5_SB_mNS0_19identity_decomposerENS1_16block_id_wrapperIjLb0EEEEE10hipError_tT1_PNSt15iterator_traitsISG_E10value_typeET2_T3_PNSH_ISM_E10value_typeET4_T5_PSR_SS_PNS1_23onesweep_lookback_stateEbbT6_jjT7_P12ihipStream_tbENKUlT_T0_SG_SL_E_clIS9_SA_SB_SB_EEDaSZ_S10_SG_SL_EUlSZ_E_NS1_11comp_targetILNS1_3genE2ELNS1_11target_archE906ELNS1_3gpuE6ELNS1_3repE0EEENS1_47radix_sort_onesweep_sort_config_static_selectorELNS0_4arch9wavefront6targetE0EEEvSG_.uses_vcc, 0
	.set _ZN7rocprim17ROCPRIM_400000_NS6detail17trampoline_kernelINS0_14default_configENS1_35radix_sort_onesweep_config_selectorIbNS0_10empty_typeEEEZZNS1_29radix_sort_onesweep_iterationIS3_Lb1EPKbPbPS5_SB_mNS0_19identity_decomposerENS1_16block_id_wrapperIjLb0EEEEE10hipError_tT1_PNSt15iterator_traitsISG_E10value_typeET2_T3_PNSH_ISM_E10value_typeET4_T5_PSR_SS_PNS1_23onesweep_lookback_stateEbbT6_jjT7_P12ihipStream_tbENKUlT_T0_SG_SL_E_clIS9_SA_SB_SB_EEDaSZ_S10_SG_SL_EUlSZ_E_NS1_11comp_targetILNS1_3genE2ELNS1_11target_archE906ELNS1_3gpuE6ELNS1_3repE0EEENS1_47radix_sort_onesweep_sort_config_static_selectorELNS0_4arch9wavefront6targetE0EEEvSG_.uses_flat_scratch, 0
	.set _ZN7rocprim17ROCPRIM_400000_NS6detail17trampoline_kernelINS0_14default_configENS1_35radix_sort_onesweep_config_selectorIbNS0_10empty_typeEEEZZNS1_29radix_sort_onesweep_iterationIS3_Lb1EPKbPbPS5_SB_mNS0_19identity_decomposerENS1_16block_id_wrapperIjLb0EEEEE10hipError_tT1_PNSt15iterator_traitsISG_E10value_typeET2_T3_PNSH_ISM_E10value_typeET4_T5_PSR_SS_PNS1_23onesweep_lookback_stateEbbT6_jjT7_P12ihipStream_tbENKUlT_T0_SG_SL_E_clIS9_SA_SB_SB_EEDaSZ_S10_SG_SL_EUlSZ_E_NS1_11comp_targetILNS1_3genE2ELNS1_11target_archE906ELNS1_3gpuE6ELNS1_3repE0EEENS1_47radix_sort_onesweep_sort_config_static_selectorELNS0_4arch9wavefront6targetE0EEEvSG_.has_dyn_sized_stack, 0
	.set _ZN7rocprim17ROCPRIM_400000_NS6detail17trampoline_kernelINS0_14default_configENS1_35radix_sort_onesweep_config_selectorIbNS0_10empty_typeEEEZZNS1_29radix_sort_onesweep_iterationIS3_Lb1EPKbPbPS5_SB_mNS0_19identity_decomposerENS1_16block_id_wrapperIjLb0EEEEE10hipError_tT1_PNSt15iterator_traitsISG_E10value_typeET2_T3_PNSH_ISM_E10value_typeET4_T5_PSR_SS_PNS1_23onesweep_lookback_stateEbbT6_jjT7_P12ihipStream_tbENKUlT_T0_SG_SL_E_clIS9_SA_SB_SB_EEDaSZ_S10_SG_SL_EUlSZ_E_NS1_11comp_targetILNS1_3genE2ELNS1_11target_archE906ELNS1_3gpuE6ELNS1_3repE0EEENS1_47radix_sort_onesweep_sort_config_static_selectorELNS0_4arch9wavefront6targetE0EEEvSG_.has_recursion, 0
	.set _ZN7rocprim17ROCPRIM_400000_NS6detail17trampoline_kernelINS0_14default_configENS1_35radix_sort_onesweep_config_selectorIbNS0_10empty_typeEEEZZNS1_29radix_sort_onesweep_iterationIS3_Lb1EPKbPbPS5_SB_mNS0_19identity_decomposerENS1_16block_id_wrapperIjLb0EEEEE10hipError_tT1_PNSt15iterator_traitsISG_E10value_typeET2_T3_PNSH_ISM_E10value_typeET4_T5_PSR_SS_PNS1_23onesweep_lookback_stateEbbT6_jjT7_P12ihipStream_tbENKUlT_T0_SG_SL_E_clIS9_SA_SB_SB_EEDaSZ_S10_SG_SL_EUlSZ_E_NS1_11comp_targetILNS1_3genE2ELNS1_11target_archE906ELNS1_3gpuE6ELNS1_3repE0EEENS1_47radix_sort_onesweep_sort_config_static_selectorELNS0_4arch9wavefront6targetE0EEEvSG_.has_indirect_call, 0
	.section	.AMDGPU.csdata,"",@progbits
; Kernel info:
; codeLenInByte = 0
; TotalNumSgprs: 0
; NumVgprs: 0
; ScratchSize: 0
; MemoryBound: 0
; FloatMode: 240
; IeeeMode: 1
; LDSByteSize: 0 bytes/workgroup (compile time only)
; SGPRBlocks: 0
; VGPRBlocks: 0
; NumSGPRsForWavesPerEU: 1
; NumVGPRsForWavesPerEU: 1
; NamedBarCnt: 0
; Occupancy: 16
; WaveLimiterHint : 0
; COMPUTE_PGM_RSRC2:SCRATCH_EN: 0
; COMPUTE_PGM_RSRC2:USER_SGPR: 2
; COMPUTE_PGM_RSRC2:TRAP_HANDLER: 0
; COMPUTE_PGM_RSRC2:TGID_X_EN: 1
; COMPUTE_PGM_RSRC2:TGID_Y_EN: 0
; COMPUTE_PGM_RSRC2:TGID_Z_EN: 0
; COMPUTE_PGM_RSRC2:TIDIG_COMP_CNT: 0
	.section	.text._ZN7rocprim17ROCPRIM_400000_NS6detail17trampoline_kernelINS0_14default_configENS1_35radix_sort_onesweep_config_selectorIbNS0_10empty_typeEEEZZNS1_29radix_sort_onesweep_iterationIS3_Lb1EPKbPbPS5_SB_mNS0_19identity_decomposerENS1_16block_id_wrapperIjLb0EEEEE10hipError_tT1_PNSt15iterator_traitsISG_E10value_typeET2_T3_PNSH_ISM_E10value_typeET4_T5_PSR_SS_PNS1_23onesweep_lookback_stateEbbT6_jjT7_P12ihipStream_tbENKUlT_T0_SG_SL_E_clIS9_SA_SB_SB_EEDaSZ_S10_SG_SL_EUlSZ_E_NS1_11comp_targetILNS1_3genE4ELNS1_11target_archE910ELNS1_3gpuE8ELNS1_3repE0EEENS1_47radix_sort_onesweep_sort_config_static_selectorELNS0_4arch9wavefront6targetE0EEEvSG_,"axG",@progbits,_ZN7rocprim17ROCPRIM_400000_NS6detail17trampoline_kernelINS0_14default_configENS1_35radix_sort_onesweep_config_selectorIbNS0_10empty_typeEEEZZNS1_29radix_sort_onesweep_iterationIS3_Lb1EPKbPbPS5_SB_mNS0_19identity_decomposerENS1_16block_id_wrapperIjLb0EEEEE10hipError_tT1_PNSt15iterator_traitsISG_E10value_typeET2_T3_PNSH_ISM_E10value_typeET4_T5_PSR_SS_PNS1_23onesweep_lookback_stateEbbT6_jjT7_P12ihipStream_tbENKUlT_T0_SG_SL_E_clIS9_SA_SB_SB_EEDaSZ_S10_SG_SL_EUlSZ_E_NS1_11comp_targetILNS1_3genE4ELNS1_11target_archE910ELNS1_3gpuE8ELNS1_3repE0EEENS1_47radix_sort_onesweep_sort_config_static_selectorELNS0_4arch9wavefront6targetE0EEEvSG_,comdat
	.protected	_ZN7rocprim17ROCPRIM_400000_NS6detail17trampoline_kernelINS0_14default_configENS1_35radix_sort_onesweep_config_selectorIbNS0_10empty_typeEEEZZNS1_29radix_sort_onesweep_iterationIS3_Lb1EPKbPbPS5_SB_mNS0_19identity_decomposerENS1_16block_id_wrapperIjLb0EEEEE10hipError_tT1_PNSt15iterator_traitsISG_E10value_typeET2_T3_PNSH_ISM_E10value_typeET4_T5_PSR_SS_PNS1_23onesweep_lookback_stateEbbT6_jjT7_P12ihipStream_tbENKUlT_T0_SG_SL_E_clIS9_SA_SB_SB_EEDaSZ_S10_SG_SL_EUlSZ_E_NS1_11comp_targetILNS1_3genE4ELNS1_11target_archE910ELNS1_3gpuE8ELNS1_3repE0EEENS1_47radix_sort_onesweep_sort_config_static_selectorELNS0_4arch9wavefront6targetE0EEEvSG_ ; -- Begin function _ZN7rocprim17ROCPRIM_400000_NS6detail17trampoline_kernelINS0_14default_configENS1_35radix_sort_onesweep_config_selectorIbNS0_10empty_typeEEEZZNS1_29radix_sort_onesweep_iterationIS3_Lb1EPKbPbPS5_SB_mNS0_19identity_decomposerENS1_16block_id_wrapperIjLb0EEEEE10hipError_tT1_PNSt15iterator_traitsISG_E10value_typeET2_T3_PNSH_ISM_E10value_typeET4_T5_PSR_SS_PNS1_23onesweep_lookback_stateEbbT6_jjT7_P12ihipStream_tbENKUlT_T0_SG_SL_E_clIS9_SA_SB_SB_EEDaSZ_S10_SG_SL_EUlSZ_E_NS1_11comp_targetILNS1_3genE4ELNS1_11target_archE910ELNS1_3gpuE8ELNS1_3repE0EEENS1_47radix_sort_onesweep_sort_config_static_selectorELNS0_4arch9wavefront6targetE0EEEvSG_
	.globl	_ZN7rocprim17ROCPRIM_400000_NS6detail17trampoline_kernelINS0_14default_configENS1_35radix_sort_onesweep_config_selectorIbNS0_10empty_typeEEEZZNS1_29radix_sort_onesweep_iterationIS3_Lb1EPKbPbPS5_SB_mNS0_19identity_decomposerENS1_16block_id_wrapperIjLb0EEEEE10hipError_tT1_PNSt15iterator_traitsISG_E10value_typeET2_T3_PNSH_ISM_E10value_typeET4_T5_PSR_SS_PNS1_23onesweep_lookback_stateEbbT6_jjT7_P12ihipStream_tbENKUlT_T0_SG_SL_E_clIS9_SA_SB_SB_EEDaSZ_S10_SG_SL_EUlSZ_E_NS1_11comp_targetILNS1_3genE4ELNS1_11target_archE910ELNS1_3gpuE8ELNS1_3repE0EEENS1_47radix_sort_onesweep_sort_config_static_selectorELNS0_4arch9wavefront6targetE0EEEvSG_
	.p2align	8
	.type	_ZN7rocprim17ROCPRIM_400000_NS6detail17trampoline_kernelINS0_14default_configENS1_35radix_sort_onesweep_config_selectorIbNS0_10empty_typeEEEZZNS1_29radix_sort_onesweep_iterationIS3_Lb1EPKbPbPS5_SB_mNS0_19identity_decomposerENS1_16block_id_wrapperIjLb0EEEEE10hipError_tT1_PNSt15iterator_traitsISG_E10value_typeET2_T3_PNSH_ISM_E10value_typeET4_T5_PSR_SS_PNS1_23onesweep_lookback_stateEbbT6_jjT7_P12ihipStream_tbENKUlT_T0_SG_SL_E_clIS9_SA_SB_SB_EEDaSZ_S10_SG_SL_EUlSZ_E_NS1_11comp_targetILNS1_3genE4ELNS1_11target_archE910ELNS1_3gpuE8ELNS1_3repE0EEENS1_47radix_sort_onesweep_sort_config_static_selectorELNS0_4arch9wavefront6targetE0EEEvSG_,@function
_ZN7rocprim17ROCPRIM_400000_NS6detail17trampoline_kernelINS0_14default_configENS1_35radix_sort_onesweep_config_selectorIbNS0_10empty_typeEEEZZNS1_29radix_sort_onesweep_iterationIS3_Lb1EPKbPbPS5_SB_mNS0_19identity_decomposerENS1_16block_id_wrapperIjLb0EEEEE10hipError_tT1_PNSt15iterator_traitsISG_E10value_typeET2_T3_PNSH_ISM_E10value_typeET4_T5_PSR_SS_PNS1_23onesweep_lookback_stateEbbT6_jjT7_P12ihipStream_tbENKUlT_T0_SG_SL_E_clIS9_SA_SB_SB_EEDaSZ_S10_SG_SL_EUlSZ_E_NS1_11comp_targetILNS1_3genE4ELNS1_11target_archE910ELNS1_3gpuE8ELNS1_3repE0EEENS1_47radix_sort_onesweep_sort_config_static_selectorELNS0_4arch9wavefront6targetE0EEEvSG_: ; @_ZN7rocprim17ROCPRIM_400000_NS6detail17trampoline_kernelINS0_14default_configENS1_35radix_sort_onesweep_config_selectorIbNS0_10empty_typeEEEZZNS1_29radix_sort_onesweep_iterationIS3_Lb1EPKbPbPS5_SB_mNS0_19identity_decomposerENS1_16block_id_wrapperIjLb0EEEEE10hipError_tT1_PNSt15iterator_traitsISG_E10value_typeET2_T3_PNSH_ISM_E10value_typeET4_T5_PSR_SS_PNS1_23onesweep_lookback_stateEbbT6_jjT7_P12ihipStream_tbENKUlT_T0_SG_SL_E_clIS9_SA_SB_SB_EEDaSZ_S10_SG_SL_EUlSZ_E_NS1_11comp_targetILNS1_3genE4ELNS1_11target_archE910ELNS1_3gpuE8ELNS1_3repE0EEENS1_47radix_sort_onesweep_sort_config_static_selectorELNS0_4arch9wavefront6targetE0EEEvSG_
; %bb.0:
	.section	.rodata,"a",@progbits
	.p2align	6, 0x0
	.amdhsa_kernel _ZN7rocprim17ROCPRIM_400000_NS6detail17trampoline_kernelINS0_14default_configENS1_35radix_sort_onesweep_config_selectorIbNS0_10empty_typeEEEZZNS1_29radix_sort_onesweep_iterationIS3_Lb1EPKbPbPS5_SB_mNS0_19identity_decomposerENS1_16block_id_wrapperIjLb0EEEEE10hipError_tT1_PNSt15iterator_traitsISG_E10value_typeET2_T3_PNSH_ISM_E10value_typeET4_T5_PSR_SS_PNS1_23onesweep_lookback_stateEbbT6_jjT7_P12ihipStream_tbENKUlT_T0_SG_SL_E_clIS9_SA_SB_SB_EEDaSZ_S10_SG_SL_EUlSZ_E_NS1_11comp_targetILNS1_3genE4ELNS1_11target_archE910ELNS1_3gpuE8ELNS1_3repE0EEENS1_47radix_sort_onesweep_sort_config_static_selectorELNS0_4arch9wavefront6targetE0EEEvSG_
		.amdhsa_group_segment_fixed_size 0
		.amdhsa_private_segment_fixed_size 0
		.amdhsa_kernarg_size 88
		.amdhsa_user_sgpr_count 2
		.amdhsa_user_sgpr_dispatch_ptr 0
		.amdhsa_user_sgpr_queue_ptr 0
		.amdhsa_user_sgpr_kernarg_segment_ptr 1
		.amdhsa_user_sgpr_dispatch_id 0
		.amdhsa_user_sgpr_kernarg_preload_length 0
		.amdhsa_user_sgpr_kernarg_preload_offset 0
		.amdhsa_user_sgpr_private_segment_size 0
		.amdhsa_wavefront_size32 1
		.amdhsa_uses_dynamic_stack 0
		.amdhsa_enable_private_segment 0
		.amdhsa_system_sgpr_workgroup_id_x 1
		.amdhsa_system_sgpr_workgroup_id_y 0
		.amdhsa_system_sgpr_workgroup_id_z 0
		.amdhsa_system_sgpr_workgroup_info 0
		.amdhsa_system_vgpr_workitem_id 0
		.amdhsa_next_free_vgpr 1
		.amdhsa_next_free_sgpr 1
		.amdhsa_named_barrier_count 0
		.amdhsa_reserve_vcc 0
		.amdhsa_float_round_mode_32 0
		.amdhsa_float_round_mode_16_64 0
		.amdhsa_float_denorm_mode_32 3
		.amdhsa_float_denorm_mode_16_64 3
		.amdhsa_fp16_overflow 0
		.amdhsa_memory_ordered 1
		.amdhsa_forward_progress 1
		.amdhsa_inst_pref_size 0
		.amdhsa_round_robin_scheduling 0
		.amdhsa_exception_fp_ieee_invalid_op 0
		.amdhsa_exception_fp_denorm_src 0
		.amdhsa_exception_fp_ieee_div_zero 0
		.amdhsa_exception_fp_ieee_overflow 0
		.amdhsa_exception_fp_ieee_underflow 0
		.amdhsa_exception_fp_ieee_inexact 0
		.amdhsa_exception_int_div_zero 0
	.end_amdhsa_kernel
	.section	.text._ZN7rocprim17ROCPRIM_400000_NS6detail17trampoline_kernelINS0_14default_configENS1_35radix_sort_onesweep_config_selectorIbNS0_10empty_typeEEEZZNS1_29radix_sort_onesweep_iterationIS3_Lb1EPKbPbPS5_SB_mNS0_19identity_decomposerENS1_16block_id_wrapperIjLb0EEEEE10hipError_tT1_PNSt15iterator_traitsISG_E10value_typeET2_T3_PNSH_ISM_E10value_typeET4_T5_PSR_SS_PNS1_23onesweep_lookback_stateEbbT6_jjT7_P12ihipStream_tbENKUlT_T0_SG_SL_E_clIS9_SA_SB_SB_EEDaSZ_S10_SG_SL_EUlSZ_E_NS1_11comp_targetILNS1_3genE4ELNS1_11target_archE910ELNS1_3gpuE8ELNS1_3repE0EEENS1_47radix_sort_onesweep_sort_config_static_selectorELNS0_4arch9wavefront6targetE0EEEvSG_,"axG",@progbits,_ZN7rocprim17ROCPRIM_400000_NS6detail17trampoline_kernelINS0_14default_configENS1_35radix_sort_onesweep_config_selectorIbNS0_10empty_typeEEEZZNS1_29radix_sort_onesweep_iterationIS3_Lb1EPKbPbPS5_SB_mNS0_19identity_decomposerENS1_16block_id_wrapperIjLb0EEEEE10hipError_tT1_PNSt15iterator_traitsISG_E10value_typeET2_T3_PNSH_ISM_E10value_typeET4_T5_PSR_SS_PNS1_23onesweep_lookback_stateEbbT6_jjT7_P12ihipStream_tbENKUlT_T0_SG_SL_E_clIS9_SA_SB_SB_EEDaSZ_S10_SG_SL_EUlSZ_E_NS1_11comp_targetILNS1_3genE4ELNS1_11target_archE910ELNS1_3gpuE8ELNS1_3repE0EEENS1_47radix_sort_onesweep_sort_config_static_selectorELNS0_4arch9wavefront6targetE0EEEvSG_,comdat
.Lfunc_end1763:
	.size	_ZN7rocprim17ROCPRIM_400000_NS6detail17trampoline_kernelINS0_14default_configENS1_35radix_sort_onesweep_config_selectorIbNS0_10empty_typeEEEZZNS1_29radix_sort_onesweep_iterationIS3_Lb1EPKbPbPS5_SB_mNS0_19identity_decomposerENS1_16block_id_wrapperIjLb0EEEEE10hipError_tT1_PNSt15iterator_traitsISG_E10value_typeET2_T3_PNSH_ISM_E10value_typeET4_T5_PSR_SS_PNS1_23onesweep_lookback_stateEbbT6_jjT7_P12ihipStream_tbENKUlT_T0_SG_SL_E_clIS9_SA_SB_SB_EEDaSZ_S10_SG_SL_EUlSZ_E_NS1_11comp_targetILNS1_3genE4ELNS1_11target_archE910ELNS1_3gpuE8ELNS1_3repE0EEENS1_47radix_sort_onesweep_sort_config_static_selectorELNS0_4arch9wavefront6targetE0EEEvSG_, .Lfunc_end1763-_ZN7rocprim17ROCPRIM_400000_NS6detail17trampoline_kernelINS0_14default_configENS1_35radix_sort_onesweep_config_selectorIbNS0_10empty_typeEEEZZNS1_29radix_sort_onesweep_iterationIS3_Lb1EPKbPbPS5_SB_mNS0_19identity_decomposerENS1_16block_id_wrapperIjLb0EEEEE10hipError_tT1_PNSt15iterator_traitsISG_E10value_typeET2_T3_PNSH_ISM_E10value_typeET4_T5_PSR_SS_PNS1_23onesweep_lookback_stateEbbT6_jjT7_P12ihipStream_tbENKUlT_T0_SG_SL_E_clIS9_SA_SB_SB_EEDaSZ_S10_SG_SL_EUlSZ_E_NS1_11comp_targetILNS1_3genE4ELNS1_11target_archE910ELNS1_3gpuE8ELNS1_3repE0EEENS1_47radix_sort_onesweep_sort_config_static_selectorELNS0_4arch9wavefront6targetE0EEEvSG_
                                        ; -- End function
	.set _ZN7rocprim17ROCPRIM_400000_NS6detail17trampoline_kernelINS0_14default_configENS1_35radix_sort_onesweep_config_selectorIbNS0_10empty_typeEEEZZNS1_29radix_sort_onesweep_iterationIS3_Lb1EPKbPbPS5_SB_mNS0_19identity_decomposerENS1_16block_id_wrapperIjLb0EEEEE10hipError_tT1_PNSt15iterator_traitsISG_E10value_typeET2_T3_PNSH_ISM_E10value_typeET4_T5_PSR_SS_PNS1_23onesweep_lookback_stateEbbT6_jjT7_P12ihipStream_tbENKUlT_T0_SG_SL_E_clIS9_SA_SB_SB_EEDaSZ_S10_SG_SL_EUlSZ_E_NS1_11comp_targetILNS1_3genE4ELNS1_11target_archE910ELNS1_3gpuE8ELNS1_3repE0EEENS1_47radix_sort_onesweep_sort_config_static_selectorELNS0_4arch9wavefront6targetE0EEEvSG_.num_vgpr, 0
	.set _ZN7rocprim17ROCPRIM_400000_NS6detail17trampoline_kernelINS0_14default_configENS1_35radix_sort_onesweep_config_selectorIbNS0_10empty_typeEEEZZNS1_29radix_sort_onesweep_iterationIS3_Lb1EPKbPbPS5_SB_mNS0_19identity_decomposerENS1_16block_id_wrapperIjLb0EEEEE10hipError_tT1_PNSt15iterator_traitsISG_E10value_typeET2_T3_PNSH_ISM_E10value_typeET4_T5_PSR_SS_PNS1_23onesweep_lookback_stateEbbT6_jjT7_P12ihipStream_tbENKUlT_T0_SG_SL_E_clIS9_SA_SB_SB_EEDaSZ_S10_SG_SL_EUlSZ_E_NS1_11comp_targetILNS1_3genE4ELNS1_11target_archE910ELNS1_3gpuE8ELNS1_3repE0EEENS1_47radix_sort_onesweep_sort_config_static_selectorELNS0_4arch9wavefront6targetE0EEEvSG_.num_agpr, 0
	.set _ZN7rocprim17ROCPRIM_400000_NS6detail17trampoline_kernelINS0_14default_configENS1_35radix_sort_onesweep_config_selectorIbNS0_10empty_typeEEEZZNS1_29radix_sort_onesweep_iterationIS3_Lb1EPKbPbPS5_SB_mNS0_19identity_decomposerENS1_16block_id_wrapperIjLb0EEEEE10hipError_tT1_PNSt15iterator_traitsISG_E10value_typeET2_T3_PNSH_ISM_E10value_typeET4_T5_PSR_SS_PNS1_23onesweep_lookback_stateEbbT6_jjT7_P12ihipStream_tbENKUlT_T0_SG_SL_E_clIS9_SA_SB_SB_EEDaSZ_S10_SG_SL_EUlSZ_E_NS1_11comp_targetILNS1_3genE4ELNS1_11target_archE910ELNS1_3gpuE8ELNS1_3repE0EEENS1_47radix_sort_onesweep_sort_config_static_selectorELNS0_4arch9wavefront6targetE0EEEvSG_.numbered_sgpr, 0
	.set _ZN7rocprim17ROCPRIM_400000_NS6detail17trampoline_kernelINS0_14default_configENS1_35radix_sort_onesweep_config_selectorIbNS0_10empty_typeEEEZZNS1_29radix_sort_onesweep_iterationIS3_Lb1EPKbPbPS5_SB_mNS0_19identity_decomposerENS1_16block_id_wrapperIjLb0EEEEE10hipError_tT1_PNSt15iterator_traitsISG_E10value_typeET2_T3_PNSH_ISM_E10value_typeET4_T5_PSR_SS_PNS1_23onesweep_lookback_stateEbbT6_jjT7_P12ihipStream_tbENKUlT_T0_SG_SL_E_clIS9_SA_SB_SB_EEDaSZ_S10_SG_SL_EUlSZ_E_NS1_11comp_targetILNS1_3genE4ELNS1_11target_archE910ELNS1_3gpuE8ELNS1_3repE0EEENS1_47radix_sort_onesweep_sort_config_static_selectorELNS0_4arch9wavefront6targetE0EEEvSG_.num_named_barrier, 0
	.set _ZN7rocprim17ROCPRIM_400000_NS6detail17trampoline_kernelINS0_14default_configENS1_35radix_sort_onesweep_config_selectorIbNS0_10empty_typeEEEZZNS1_29radix_sort_onesweep_iterationIS3_Lb1EPKbPbPS5_SB_mNS0_19identity_decomposerENS1_16block_id_wrapperIjLb0EEEEE10hipError_tT1_PNSt15iterator_traitsISG_E10value_typeET2_T3_PNSH_ISM_E10value_typeET4_T5_PSR_SS_PNS1_23onesweep_lookback_stateEbbT6_jjT7_P12ihipStream_tbENKUlT_T0_SG_SL_E_clIS9_SA_SB_SB_EEDaSZ_S10_SG_SL_EUlSZ_E_NS1_11comp_targetILNS1_3genE4ELNS1_11target_archE910ELNS1_3gpuE8ELNS1_3repE0EEENS1_47radix_sort_onesweep_sort_config_static_selectorELNS0_4arch9wavefront6targetE0EEEvSG_.private_seg_size, 0
	.set _ZN7rocprim17ROCPRIM_400000_NS6detail17trampoline_kernelINS0_14default_configENS1_35radix_sort_onesweep_config_selectorIbNS0_10empty_typeEEEZZNS1_29radix_sort_onesweep_iterationIS3_Lb1EPKbPbPS5_SB_mNS0_19identity_decomposerENS1_16block_id_wrapperIjLb0EEEEE10hipError_tT1_PNSt15iterator_traitsISG_E10value_typeET2_T3_PNSH_ISM_E10value_typeET4_T5_PSR_SS_PNS1_23onesweep_lookback_stateEbbT6_jjT7_P12ihipStream_tbENKUlT_T0_SG_SL_E_clIS9_SA_SB_SB_EEDaSZ_S10_SG_SL_EUlSZ_E_NS1_11comp_targetILNS1_3genE4ELNS1_11target_archE910ELNS1_3gpuE8ELNS1_3repE0EEENS1_47radix_sort_onesweep_sort_config_static_selectorELNS0_4arch9wavefront6targetE0EEEvSG_.uses_vcc, 0
	.set _ZN7rocprim17ROCPRIM_400000_NS6detail17trampoline_kernelINS0_14default_configENS1_35radix_sort_onesweep_config_selectorIbNS0_10empty_typeEEEZZNS1_29radix_sort_onesweep_iterationIS3_Lb1EPKbPbPS5_SB_mNS0_19identity_decomposerENS1_16block_id_wrapperIjLb0EEEEE10hipError_tT1_PNSt15iterator_traitsISG_E10value_typeET2_T3_PNSH_ISM_E10value_typeET4_T5_PSR_SS_PNS1_23onesweep_lookback_stateEbbT6_jjT7_P12ihipStream_tbENKUlT_T0_SG_SL_E_clIS9_SA_SB_SB_EEDaSZ_S10_SG_SL_EUlSZ_E_NS1_11comp_targetILNS1_3genE4ELNS1_11target_archE910ELNS1_3gpuE8ELNS1_3repE0EEENS1_47radix_sort_onesweep_sort_config_static_selectorELNS0_4arch9wavefront6targetE0EEEvSG_.uses_flat_scratch, 0
	.set _ZN7rocprim17ROCPRIM_400000_NS6detail17trampoline_kernelINS0_14default_configENS1_35radix_sort_onesweep_config_selectorIbNS0_10empty_typeEEEZZNS1_29radix_sort_onesweep_iterationIS3_Lb1EPKbPbPS5_SB_mNS0_19identity_decomposerENS1_16block_id_wrapperIjLb0EEEEE10hipError_tT1_PNSt15iterator_traitsISG_E10value_typeET2_T3_PNSH_ISM_E10value_typeET4_T5_PSR_SS_PNS1_23onesweep_lookback_stateEbbT6_jjT7_P12ihipStream_tbENKUlT_T0_SG_SL_E_clIS9_SA_SB_SB_EEDaSZ_S10_SG_SL_EUlSZ_E_NS1_11comp_targetILNS1_3genE4ELNS1_11target_archE910ELNS1_3gpuE8ELNS1_3repE0EEENS1_47radix_sort_onesweep_sort_config_static_selectorELNS0_4arch9wavefront6targetE0EEEvSG_.has_dyn_sized_stack, 0
	.set _ZN7rocprim17ROCPRIM_400000_NS6detail17trampoline_kernelINS0_14default_configENS1_35radix_sort_onesweep_config_selectorIbNS0_10empty_typeEEEZZNS1_29radix_sort_onesweep_iterationIS3_Lb1EPKbPbPS5_SB_mNS0_19identity_decomposerENS1_16block_id_wrapperIjLb0EEEEE10hipError_tT1_PNSt15iterator_traitsISG_E10value_typeET2_T3_PNSH_ISM_E10value_typeET4_T5_PSR_SS_PNS1_23onesweep_lookback_stateEbbT6_jjT7_P12ihipStream_tbENKUlT_T0_SG_SL_E_clIS9_SA_SB_SB_EEDaSZ_S10_SG_SL_EUlSZ_E_NS1_11comp_targetILNS1_3genE4ELNS1_11target_archE910ELNS1_3gpuE8ELNS1_3repE0EEENS1_47radix_sort_onesweep_sort_config_static_selectorELNS0_4arch9wavefront6targetE0EEEvSG_.has_recursion, 0
	.set _ZN7rocprim17ROCPRIM_400000_NS6detail17trampoline_kernelINS0_14default_configENS1_35radix_sort_onesweep_config_selectorIbNS0_10empty_typeEEEZZNS1_29radix_sort_onesweep_iterationIS3_Lb1EPKbPbPS5_SB_mNS0_19identity_decomposerENS1_16block_id_wrapperIjLb0EEEEE10hipError_tT1_PNSt15iterator_traitsISG_E10value_typeET2_T3_PNSH_ISM_E10value_typeET4_T5_PSR_SS_PNS1_23onesweep_lookback_stateEbbT6_jjT7_P12ihipStream_tbENKUlT_T0_SG_SL_E_clIS9_SA_SB_SB_EEDaSZ_S10_SG_SL_EUlSZ_E_NS1_11comp_targetILNS1_3genE4ELNS1_11target_archE910ELNS1_3gpuE8ELNS1_3repE0EEENS1_47radix_sort_onesweep_sort_config_static_selectorELNS0_4arch9wavefront6targetE0EEEvSG_.has_indirect_call, 0
	.section	.AMDGPU.csdata,"",@progbits
; Kernel info:
; codeLenInByte = 0
; TotalNumSgprs: 0
; NumVgprs: 0
; ScratchSize: 0
; MemoryBound: 0
; FloatMode: 240
; IeeeMode: 1
; LDSByteSize: 0 bytes/workgroup (compile time only)
; SGPRBlocks: 0
; VGPRBlocks: 0
; NumSGPRsForWavesPerEU: 1
; NumVGPRsForWavesPerEU: 1
; NamedBarCnt: 0
; Occupancy: 16
; WaveLimiterHint : 0
; COMPUTE_PGM_RSRC2:SCRATCH_EN: 0
; COMPUTE_PGM_RSRC2:USER_SGPR: 2
; COMPUTE_PGM_RSRC2:TRAP_HANDLER: 0
; COMPUTE_PGM_RSRC2:TGID_X_EN: 1
; COMPUTE_PGM_RSRC2:TGID_Y_EN: 0
; COMPUTE_PGM_RSRC2:TGID_Z_EN: 0
; COMPUTE_PGM_RSRC2:TIDIG_COMP_CNT: 0
	.section	.text._ZN7rocprim17ROCPRIM_400000_NS6detail17trampoline_kernelINS0_14default_configENS1_35radix_sort_onesweep_config_selectorIbNS0_10empty_typeEEEZZNS1_29radix_sort_onesweep_iterationIS3_Lb1EPKbPbPS5_SB_mNS0_19identity_decomposerENS1_16block_id_wrapperIjLb0EEEEE10hipError_tT1_PNSt15iterator_traitsISG_E10value_typeET2_T3_PNSH_ISM_E10value_typeET4_T5_PSR_SS_PNS1_23onesweep_lookback_stateEbbT6_jjT7_P12ihipStream_tbENKUlT_T0_SG_SL_E_clIS9_SA_SB_SB_EEDaSZ_S10_SG_SL_EUlSZ_E_NS1_11comp_targetILNS1_3genE3ELNS1_11target_archE908ELNS1_3gpuE7ELNS1_3repE0EEENS1_47radix_sort_onesweep_sort_config_static_selectorELNS0_4arch9wavefront6targetE0EEEvSG_,"axG",@progbits,_ZN7rocprim17ROCPRIM_400000_NS6detail17trampoline_kernelINS0_14default_configENS1_35radix_sort_onesweep_config_selectorIbNS0_10empty_typeEEEZZNS1_29radix_sort_onesweep_iterationIS3_Lb1EPKbPbPS5_SB_mNS0_19identity_decomposerENS1_16block_id_wrapperIjLb0EEEEE10hipError_tT1_PNSt15iterator_traitsISG_E10value_typeET2_T3_PNSH_ISM_E10value_typeET4_T5_PSR_SS_PNS1_23onesweep_lookback_stateEbbT6_jjT7_P12ihipStream_tbENKUlT_T0_SG_SL_E_clIS9_SA_SB_SB_EEDaSZ_S10_SG_SL_EUlSZ_E_NS1_11comp_targetILNS1_3genE3ELNS1_11target_archE908ELNS1_3gpuE7ELNS1_3repE0EEENS1_47radix_sort_onesweep_sort_config_static_selectorELNS0_4arch9wavefront6targetE0EEEvSG_,comdat
	.protected	_ZN7rocprim17ROCPRIM_400000_NS6detail17trampoline_kernelINS0_14default_configENS1_35radix_sort_onesweep_config_selectorIbNS0_10empty_typeEEEZZNS1_29radix_sort_onesweep_iterationIS3_Lb1EPKbPbPS5_SB_mNS0_19identity_decomposerENS1_16block_id_wrapperIjLb0EEEEE10hipError_tT1_PNSt15iterator_traitsISG_E10value_typeET2_T3_PNSH_ISM_E10value_typeET4_T5_PSR_SS_PNS1_23onesweep_lookback_stateEbbT6_jjT7_P12ihipStream_tbENKUlT_T0_SG_SL_E_clIS9_SA_SB_SB_EEDaSZ_S10_SG_SL_EUlSZ_E_NS1_11comp_targetILNS1_3genE3ELNS1_11target_archE908ELNS1_3gpuE7ELNS1_3repE0EEENS1_47radix_sort_onesweep_sort_config_static_selectorELNS0_4arch9wavefront6targetE0EEEvSG_ ; -- Begin function _ZN7rocprim17ROCPRIM_400000_NS6detail17trampoline_kernelINS0_14default_configENS1_35radix_sort_onesweep_config_selectorIbNS0_10empty_typeEEEZZNS1_29radix_sort_onesweep_iterationIS3_Lb1EPKbPbPS5_SB_mNS0_19identity_decomposerENS1_16block_id_wrapperIjLb0EEEEE10hipError_tT1_PNSt15iterator_traitsISG_E10value_typeET2_T3_PNSH_ISM_E10value_typeET4_T5_PSR_SS_PNS1_23onesweep_lookback_stateEbbT6_jjT7_P12ihipStream_tbENKUlT_T0_SG_SL_E_clIS9_SA_SB_SB_EEDaSZ_S10_SG_SL_EUlSZ_E_NS1_11comp_targetILNS1_3genE3ELNS1_11target_archE908ELNS1_3gpuE7ELNS1_3repE0EEENS1_47radix_sort_onesweep_sort_config_static_selectorELNS0_4arch9wavefront6targetE0EEEvSG_
	.globl	_ZN7rocprim17ROCPRIM_400000_NS6detail17trampoline_kernelINS0_14default_configENS1_35radix_sort_onesweep_config_selectorIbNS0_10empty_typeEEEZZNS1_29radix_sort_onesweep_iterationIS3_Lb1EPKbPbPS5_SB_mNS0_19identity_decomposerENS1_16block_id_wrapperIjLb0EEEEE10hipError_tT1_PNSt15iterator_traitsISG_E10value_typeET2_T3_PNSH_ISM_E10value_typeET4_T5_PSR_SS_PNS1_23onesweep_lookback_stateEbbT6_jjT7_P12ihipStream_tbENKUlT_T0_SG_SL_E_clIS9_SA_SB_SB_EEDaSZ_S10_SG_SL_EUlSZ_E_NS1_11comp_targetILNS1_3genE3ELNS1_11target_archE908ELNS1_3gpuE7ELNS1_3repE0EEENS1_47radix_sort_onesweep_sort_config_static_selectorELNS0_4arch9wavefront6targetE0EEEvSG_
	.p2align	8
	.type	_ZN7rocprim17ROCPRIM_400000_NS6detail17trampoline_kernelINS0_14default_configENS1_35radix_sort_onesweep_config_selectorIbNS0_10empty_typeEEEZZNS1_29radix_sort_onesweep_iterationIS3_Lb1EPKbPbPS5_SB_mNS0_19identity_decomposerENS1_16block_id_wrapperIjLb0EEEEE10hipError_tT1_PNSt15iterator_traitsISG_E10value_typeET2_T3_PNSH_ISM_E10value_typeET4_T5_PSR_SS_PNS1_23onesweep_lookback_stateEbbT6_jjT7_P12ihipStream_tbENKUlT_T0_SG_SL_E_clIS9_SA_SB_SB_EEDaSZ_S10_SG_SL_EUlSZ_E_NS1_11comp_targetILNS1_3genE3ELNS1_11target_archE908ELNS1_3gpuE7ELNS1_3repE0EEENS1_47radix_sort_onesweep_sort_config_static_selectorELNS0_4arch9wavefront6targetE0EEEvSG_,@function
_ZN7rocprim17ROCPRIM_400000_NS6detail17trampoline_kernelINS0_14default_configENS1_35radix_sort_onesweep_config_selectorIbNS0_10empty_typeEEEZZNS1_29radix_sort_onesweep_iterationIS3_Lb1EPKbPbPS5_SB_mNS0_19identity_decomposerENS1_16block_id_wrapperIjLb0EEEEE10hipError_tT1_PNSt15iterator_traitsISG_E10value_typeET2_T3_PNSH_ISM_E10value_typeET4_T5_PSR_SS_PNS1_23onesweep_lookback_stateEbbT6_jjT7_P12ihipStream_tbENKUlT_T0_SG_SL_E_clIS9_SA_SB_SB_EEDaSZ_S10_SG_SL_EUlSZ_E_NS1_11comp_targetILNS1_3genE3ELNS1_11target_archE908ELNS1_3gpuE7ELNS1_3repE0EEENS1_47radix_sort_onesweep_sort_config_static_selectorELNS0_4arch9wavefront6targetE0EEEvSG_: ; @_ZN7rocprim17ROCPRIM_400000_NS6detail17trampoline_kernelINS0_14default_configENS1_35radix_sort_onesweep_config_selectorIbNS0_10empty_typeEEEZZNS1_29radix_sort_onesweep_iterationIS3_Lb1EPKbPbPS5_SB_mNS0_19identity_decomposerENS1_16block_id_wrapperIjLb0EEEEE10hipError_tT1_PNSt15iterator_traitsISG_E10value_typeET2_T3_PNSH_ISM_E10value_typeET4_T5_PSR_SS_PNS1_23onesweep_lookback_stateEbbT6_jjT7_P12ihipStream_tbENKUlT_T0_SG_SL_E_clIS9_SA_SB_SB_EEDaSZ_S10_SG_SL_EUlSZ_E_NS1_11comp_targetILNS1_3genE3ELNS1_11target_archE908ELNS1_3gpuE7ELNS1_3repE0EEENS1_47radix_sort_onesweep_sort_config_static_selectorELNS0_4arch9wavefront6targetE0EEEvSG_
; %bb.0:
	.section	.rodata,"a",@progbits
	.p2align	6, 0x0
	.amdhsa_kernel _ZN7rocprim17ROCPRIM_400000_NS6detail17trampoline_kernelINS0_14default_configENS1_35radix_sort_onesweep_config_selectorIbNS0_10empty_typeEEEZZNS1_29radix_sort_onesweep_iterationIS3_Lb1EPKbPbPS5_SB_mNS0_19identity_decomposerENS1_16block_id_wrapperIjLb0EEEEE10hipError_tT1_PNSt15iterator_traitsISG_E10value_typeET2_T3_PNSH_ISM_E10value_typeET4_T5_PSR_SS_PNS1_23onesweep_lookback_stateEbbT6_jjT7_P12ihipStream_tbENKUlT_T0_SG_SL_E_clIS9_SA_SB_SB_EEDaSZ_S10_SG_SL_EUlSZ_E_NS1_11comp_targetILNS1_3genE3ELNS1_11target_archE908ELNS1_3gpuE7ELNS1_3repE0EEENS1_47radix_sort_onesweep_sort_config_static_selectorELNS0_4arch9wavefront6targetE0EEEvSG_
		.amdhsa_group_segment_fixed_size 0
		.amdhsa_private_segment_fixed_size 0
		.amdhsa_kernarg_size 88
		.amdhsa_user_sgpr_count 2
		.amdhsa_user_sgpr_dispatch_ptr 0
		.amdhsa_user_sgpr_queue_ptr 0
		.amdhsa_user_sgpr_kernarg_segment_ptr 1
		.amdhsa_user_sgpr_dispatch_id 0
		.amdhsa_user_sgpr_kernarg_preload_length 0
		.amdhsa_user_sgpr_kernarg_preload_offset 0
		.amdhsa_user_sgpr_private_segment_size 0
		.amdhsa_wavefront_size32 1
		.amdhsa_uses_dynamic_stack 0
		.amdhsa_enable_private_segment 0
		.amdhsa_system_sgpr_workgroup_id_x 1
		.amdhsa_system_sgpr_workgroup_id_y 0
		.amdhsa_system_sgpr_workgroup_id_z 0
		.amdhsa_system_sgpr_workgroup_info 0
		.amdhsa_system_vgpr_workitem_id 0
		.amdhsa_next_free_vgpr 1
		.amdhsa_next_free_sgpr 1
		.amdhsa_named_barrier_count 0
		.amdhsa_reserve_vcc 0
		.amdhsa_float_round_mode_32 0
		.amdhsa_float_round_mode_16_64 0
		.amdhsa_float_denorm_mode_32 3
		.amdhsa_float_denorm_mode_16_64 3
		.amdhsa_fp16_overflow 0
		.amdhsa_memory_ordered 1
		.amdhsa_forward_progress 1
		.amdhsa_inst_pref_size 0
		.amdhsa_round_robin_scheduling 0
		.amdhsa_exception_fp_ieee_invalid_op 0
		.amdhsa_exception_fp_denorm_src 0
		.amdhsa_exception_fp_ieee_div_zero 0
		.amdhsa_exception_fp_ieee_overflow 0
		.amdhsa_exception_fp_ieee_underflow 0
		.amdhsa_exception_fp_ieee_inexact 0
		.amdhsa_exception_int_div_zero 0
	.end_amdhsa_kernel
	.section	.text._ZN7rocprim17ROCPRIM_400000_NS6detail17trampoline_kernelINS0_14default_configENS1_35radix_sort_onesweep_config_selectorIbNS0_10empty_typeEEEZZNS1_29radix_sort_onesweep_iterationIS3_Lb1EPKbPbPS5_SB_mNS0_19identity_decomposerENS1_16block_id_wrapperIjLb0EEEEE10hipError_tT1_PNSt15iterator_traitsISG_E10value_typeET2_T3_PNSH_ISM_E10value_typeET4_T5_PSR_SS_PNS1_23onesweep_lookback_stateEbbT6_jjT7_P12ihipStream_tbENKUlT_T0_SG_SL_E_clIS9_SA_SB_SB_EEDaSZ_S10_SG_SL_EUlSZ_E_NS1_11comp_targetILNS1_3genE3ELNS1_11target_archE908ELNS1_3gpuE7ELNS1_3repE0EEENS1_47radix_sort_onesweep_sort_config_static_selectorELNS0_4arch9wavefront6targetE0EEEvSG_,"axG",@progbits,_ZN7rocprim17ROCPRIM_400000_NS6detail17trampoline_kernelINS0_14default_configENS1_35radix_sort_onesweep_config_selectorIbNS0_10empty_typeEEEZZNS1_29radix_sort_onesweep_iterationIS3_Lb1EPKbPbPS5_SB_mNS0_19identity_decomposerENS1_16block_id_wrapperIjLb0EEEEE10hipError_tT1_PNSt15iterator_traitsISG_E10value_typeET2_T3_PNSH_ISM_E10value_typeET4_T5_PSR_SS_PNS1_23onesweep_lookback_stateEbbT6_jjT7_P12ihipStream_tbENKUlT_T0_SG_SL_E_clIS9_SA_SB_SB_EEDaSZ_S10_SG_SL_EUlSZ_E_NS1_11comp_targetILNS1_3genE3ELNS1_11target_archE908ELNS1_3gpuE7ELNS1_3repE0EEENS1_47radix_sort_onesweep_sort_config_static_selectorELNS0_4arch9wavefront6targetE0EEEvSG_,comdat
.Lfunc_end1764:
	.size	_ZN7rocprim17ROCPRIM_400000_NS6detail17trampoline_kernelINS0_14default_configENS1_35radix_sort_onesweep_config_selectorIbNS0_10empty_typeEEEZZNS1_29radix_sort_onesweep_iterationIS3_Lb1EPKbPbPS5_SB_mNS0_19identity_decomposerENS1_16block_id_wrapperIjLb0EEEEE10hipError_tT1_PNSt15iterator_traitsISG_E10value_typeET2_T3_PNSH_ISM_E10value_typeET4_T5_PSR_SS_PNS1_23onesweep_lookback_stateEbbT6_jjT7_P12ihipStream_tbENKUlT_T0_SG_SL_E_clIS9_SA_SB_SB_EEDaSZ_S10_SG_SL_EUlSZ_E_NS1_11comp_targetILNS1_3genE3ELNS1_11target_archE908ELNS1_3gpuE7ELNS1_3repE0EEENS1_47radix_sort_onesweep_sort_config_static_selectorELNS0_4arch9wavefront6targetE0EEEvSG_, .Lfunc_end1764-_ZN7rocprim17ROCPRIM_400000_NS6detail17trampoline_kernelINS0_14default_configENS1_35radix_sort_onesweep_config_selectorIbNS0_10empty_typeEEEZZNS1_29radix_sort_onesweep_iterationIS3_Lb1EPKbPbPS5_SB_mNS0_19identity_decomposerENS1_16block_id_wrapperIjLb0EEEEE10hipError_tT1_PNSt15iterator_traitsISG_E10value_typeET2_T3_PNSH_ISM_E10value_typeET4_T5_PSR_SS_PNS1_23onesweep_lookback_stateEbbT6_jjT7_P12ihipStream_tbENKUlT_T0_SG_SL_E_clIS9_SA_SB_SB_EEDaSZ_S10_SG_SL_EUlSZ_E_NS1_11comp_targetILNS1_3genE3ELNS1_11target_archE908ELNS1_3gpuE7ELNS1_3repE0EEENS1_47radix_sort_onesweep_sort_config_static_selectorELNS0_4arch9wavefront6targetE0EEEvSG_
                                        ; -- End function
	.set _ZN7rocprim17ROCPRIM_400000_NS6detail17trampoline_kernelINS0_14default_configENS1_35radix_sort_onesweep_config_selectorIbNS0_10empty_typeEEEZZNS1_29radix_sort_onesweep_iterationIS3_Lb1EPKbPbPS5_SB_mNS0_19identity_decomposerENS1_16block_id_wrapperIjLb0EEEEE10hipError_tT1_PNSt15iterator_traitsISG_E10value_typeET2_T3_PNSH_ISM_E10value_typeET4_T5_PSR_SS_PNS1_23onesweep_lookback_stateEbbT6_jjT7_P12ihipStream_tbENKUlT_T0_SG_SL_E_clIS9_SA_SB_SB_EEDaSZ_S10_SG_SL_EUlSZ_E_NS1_11comp_targetILNS1_3genE3ELNS1_11target_archE908ELNS1_3gpuE7ELNS1_3repE0EEENS1_47radix_sort_onesweep_sort_config_static_selectorELNS0_4arch9wavefront6targetE0EEEvSG_.num_vgpr, 0
	.set _ZN7rocprim17ROCPRIM_400000_NS6detail17trampoline_kernelINS0_14default_configENS1_35radix_sort_onesweep_config_selectorIbNS0_10empty_typeEEEZZNS1_29radix_sort_onesweep_iterationIS3_Lb1EPKbPbPS5_SB_mNS0_19identity_decomposerENS1_16block_id_wrapperIjLb0EEEEE10hipError_tT1_PNSt15iterator_traitsISG_E10value_typeET2_T3_PNSH_ISM_E10value_typeET4_T5_PSR_SS_PNS1_23onesweep_lookback_stateEbbT6_jjT7_P12ihipStream_tbENKUlT_T0_SG_SL_E_clIS9_SA_SB_SB_EEDaSZ_S10_SG_SL_EUlSZ_E_NS1_11comp_targetILNS1_3genE3ELNS1_11target_archE908ELNS1_3gpuE7ELNS1_3repE0EEENS1_47radix_sort_onesweep_sort_config_static_selectorELNS0_4arch9wavefront6targetE0EEEvSG_.num_agpr, 0
	.set _ZN7rocprim17ROCPRIM_400000_NS6detail17trampoline_kernelINS0_14default_configENS1_35radix_sort_onesweep_config_selectorIbNS0_10empty_typeEEEZZNS1_29radix_sort_onesweep_iterationIS3_Lb1EPKbPbPS5_SB_mNS0_19identity_decomposerENS1_16block_id_wrapperIjLb0EEEEE10hipError_tT1_PNSt15iterator_traitsISG_E10value_typeET2_T3_PNSH_ISM_E10value_typeET4_T5_PSR_SS_PNS1_23onesweep_lookback_stateEbbT6_jjT7_P12ihipStream_tbENKUlT_T0_SG_SL_E_clIS9_SA_SB_SB_EEDaSZ_S10_SG_SL_EUlSZ_E_NS1_11comp_targetILNS1_3genE3ELNS1_11target_archE908ELNS1_3gpuE7ELNS1_3repE0EEENS1_47radix_sort_onesweep_sort_config_static_selectorELNS0_4arch9wavefront6targetE0EEEvSG_.numbered_sgpr, 0
	.set _ZN7rocprim17ROCPRIM_400000_NS6detail17trampoline_kernelINS0_14default_configENS1_35radix_sort_onesweep_config_selectorIbNS0_10empty_typeEEEZZNS1_29radix_sort_onesweep_iterationIS3_Lb1EPKbPbPS5_SB_mNS0_19identity_decomposerENS1_16block_id_wrapperIjLb0EEEEE10hipError_tT1_PNSt15iterator_traitsISG_E10value_typeET2_T3_PNSH_ISM_E10value_typeET4_T5_PSR_SS_PNS1_23onesweep_lookback_stateEbbT6_jjT7_P12ihipStream_tbENKUlT_T0_SG_SL_E_clIS9_SA_SB_SB_EEDaSZ_S10_SG_SL_EUlSZ_E_NS1_11comp_targetILNS1_3genE3ELNS1_11target_archE908ELNS1_3gpuE7ELNS1_3repE0EEENS1_47radix_sort_onesweep_sort_config_static_selectorELNS0_4arch9wavefront6targetE0EEEvSG_.num_named_barrier, 0
	.set _ZN7rocprim17ROCPRIM_400000_NS6detail17trampoline_kernelINS0_14default_configENS1_35radix_sort_onesweep_config_selectorIbNS0_10empty_typeEEEZZNS1_29radix_sort_onesweep_iterationIS3_Lb1EPKbPbPS5_SB_mNS0_19identity_decomposerENS1_16block_id_wrapperIjLb0EEEEE10hipError_tT1_PNSt15iterator_traitsISG_E10value_typeET2_T3_PNSH_ISM_E10value_typeET4_T5_PSR_SS_PNS1_23onesweep_lookback_stateEbbT6_jjT7_P12ihipStream_tbENKUlT_T0_SG_SL_E_clIS9_SA_SB_SB_EEDaSZ_S10_SG_SL_EUlSZ_E_NS1_11comp_targetILNS1_3genE3ELNS1_11target_archE908ELNS1_3gpuE7ELNS1_3repE0EEENS1_47radix_sort_onesweep_sort_config_static_selectorELNS0_4arch9wavefront6targetE0EEEvSG_.private_seg_size, 0
	.set _ZN7rocprim17ROCPRIM_400000_NS6detail17trampoline_kernelINS0_14default_configENS1_35radix_sort_onesweep_config_selectorIbNS0_10empty_typeEEEZZNS1_29radix_sort_onesweep_iterationIS3_Lb1EPKbPbPS5_SB_mNS0_19identity_decomposerENS1_16block_id_wrapperIjLb0EEEEE10hipError_tT1_PNSt15iterator_traitsISG_E10value_typeET2_T3_PNSH_ISM_E10value_typeET4_T5_PSR_SS_PNS1_23onesweep_lookback_stateEbbT6_jjT7_P12ihipStream_tbENKUlT_T0_SG_SL_E_clIS9_SA_SB_SB_EEDaSZ_S10_SG_SL_EUlSZ_E_NS1_11comp_targetILNS1_3genE3ELNS1_11target_archE908ELNS1_3gpuE7ELNS1_3repE0EEENS1_47radix_sort_onesweep_sort_config_static_selectorELNS0_4arch9wavefront6targetE0EEEvSG_.uses_vcc, 0
	.set _ZN7rocprim17ROCPRIM_400000_NS6detail17trampoline_kernelINS0_14default_configENS1_35radix_sort_onesweep_config_selectorIbNS0_10empty_typeEEEZZNS1_29radix_sort_onesweep_iterationIS3_Lb1EPKbPbPS5_SB_mNS0_19identity_decomposerENS1_16block_id_wrapperIjLb0EEEEE10hipError_tT1_PNSt15iterator_traitsISG_E10value_typeET2_T3_PNSH_ISM_E10value_typeET4_T5_PSR_SS_PNS1_23onesweep_lookback_stateEbbT6_jjT7_P12ihipStream_tbENKUlT_T0_SG_SL_E_clIS9_SA_SB_SB_EEDaSZ_S10_SG_SL_EUlSZ_E_NS1_11comp_targetILNS1_3genE3ELNS1_11target_archE908ELNS1_3gpuE7ELNS1_3repE0EEENS1_47radix_sort_onesweep_sort_config_static_selectorELNS0_4arch9wavefront6targetE0EEEvSG_.uses_flat_scratch, 0
	.set _ZN7rocprim17ROCPRIM_400000_NS6detail17trampoline_kernelINS0_14default_configENS1_35radix_sort_onesweep_config_selectorIbNS0_10empty_typeEEEZZNS1_29radix_sort_onesweep_iterationIS3_Lb1EPKbPbPS5_SB_mNS0_19identity_decomposerENS1_16block_id_wrapperIjLb0EEEEE10hipError_tT1_PNSt15iterator_traitsISG_E10value_typeET2_T3_PNSH_ISM_E10value_typeET4_T5_PSR_SS_PNS1_23onesweep_lookback_stateEbbT6_jjT7_P12ihipStream_tbENKUlT_T0_SG_SL_E_clIS9_SA_SB_SB_EEDaSZ_S10_SG_SL_EUlSZ_E_NS1_11comp_targetILNS1_3genE3ELNS1_11target_archE908ELNS1_3gpuE7ELNS1_3repE0EEENS1_47radix_sort_onesweep_sort_config_static_selectorELNS0_4arch9wavefront6targetE0EEEvSG_.has_dyn_sized_stack, 0
	.set _ZN7rocprim17ROCPRIM_400000_NS6detail17trampoline_kernelINS0_14default_configENS1_35radix_sort_onesweep_config_selectorIbNS0_10empty_typeEEEZZNS1_29radix_sort_onesweep_iterationIS3_Lb1EPKbPbPS5_SB_mNS0_19identity_decomposerENS1_16block_id_wrapperIjLb0EEEEE10hipError_tT1_PNSt15iterator_traitsISG_E10value_typeET2_T3_PNSH_ISM_E10value_typeET4_T5_PSR_SS_PNS1_23onesweep_lookback_stateEbbT6_jjT7_P12ihipStream_tbENKUlT_T0_SG_SL_E_clIS9_SA_SB_SB_EEDaSZ_S10_SG_SL_EUlSZ_E_NS1_11comp_targetILNS1_3genE3ELNS1_11target_archE908ELNS1_3gpuE7ELNS1_3repE0EEENS1_47radix_sort_onesweep_sort_config_static_selectorELNS0_4arch9wavefront6targetE0EEEvSG_.has_recursion, 0
	.set _ZN7rocprim17ROCPRIM_400000_NS6detail17trampoline_kernelINS0_14default_configENS1_35radix_sort_onesweep_config_selectorIbNS0_10empty_typeEEEZZNS1_29radix_sort_onesweep_iterationIS3_Lb1EPKbPbPS5_SB_mNS0_19identity_decomposerENS1_16block_id_wrapperIjLb0EEEEE10hipError_tT1_PNSt15iterator_traitsISG_E10value_typeET2_T3_PNSH_ISM_E10value_typeET4_T5_PSR_SS_PNS1_23onesweep_lookback_stateEbbT6_jjT7_P12ihipStream_tbENKUlT_T0_SG_SL_E_clIS9_SA_SB_SB_EEDaSZ_S10_SG_SL_EUlSZ_E_NS1_11comp_targetILNS1_3genE3ELNS1_11target_archE908ELNS1_3gpuE7ELNS1_3repE0EEENS1_47radix_sort_onesweep_sort_config_static_selectorELNS0_4arch9wavefront6targetE0EEEvSG_.has_indirect_call, 0
	.section	.AMDGPU.csdata,"",@progbits
; Kernel info:
; codeLenInByte = 0
; TotalNumSgprs: 0
; NumVgprs: 0
; ScratchSize: 0
; MemoryBound: 0
; FloatMode: 240
; IeeeMode: 1
; LDSByteSize: 0 bytes/workgroup (compile time only)
; SGPRBlocks: 0
; VGPRBlocks: 0
; NumSGPRsForWavesPerEU: 1
; NumVGPRsForWavesPerEU: 1
; NamedBarCnt: 0
; Occupancy: 16
; WaveLimiterHint : 0
; COMPUTE_PGM_RSRC2:SCRATCH_EN: 0
; COMPUTE_PGM_RSRC2:USER_SGPR: 2
; COMPUTE_PGM_RSRC2:TRAP_HANDLER: 0
; COMPUTE_PGM_RSRC2:TGID_X_EN: 1
; COMPUTE_PGM_RSRC2:TGID_Y_EN: 0
; COMPUTE_PGM_RSRC2:TGID_Z_EN: 0
; COMPUTE_PGM_RSRC2:TIDIG_COMP_CNT: 0
	.section	.text._ZN7rocprim17ROCPRIM_400000_NS6detail17trampoline_kernelINS0_14default_configENS1_35radix_sort_onesweep_config_selectorIbNS0_10empty_typeEEEZZNS1_29radix_sort_onesweep_iterationIS3_Lb1EPKbPbPS5_SB_mNS0_19identity_decomposerENS1_16block_id_wrapperIjLb0EEEEE10hipError_tT1_PNSt15iterator_traitsISG_E10value_typeET2_T3_PNSH_ISM_E10value_typeET4_T5_PSR_SS_PNS1_23onesweep_lookback_stateEbbT6_jjT7_P12ihipStream_tbENKUlT_T0_SG_SL_E_clIS9_SA_SB_SB_EEDaSZ_S10_SG_SL_EUlSZ_E_NS1_11comp_targetILNS1_3genE10ELNS1_11target_archE1201ELNS1_3gpuE5ELNS1_3repE0EEENS1_47radix_sort_onesweep_sort_config_static_selectorELNS0_4arch9wavefront6targetE0EEEvSG_,"axG",@progbits,_ZN7rocprim17ROCPRIM_400000_NS6detail17trampoline_kernelINS0_14default_configENS1_35radix_sort_onesweep_config_selectorIbNS0_10empty_typeEEEZZNS1_29radix_sort_onesweep_iterationIS3_Lb1EPKbPbPS5_SB_mNS0_19identity_decomposerENS1_16block_id_wrapperIjLb0EEEEE10hipError_tT1_PNSt15iterator_traitsISG_E10value_typeET2_T3_PNSH_ISM_E10value_typeET4_T5_PSR_SS_PNS1_23onesweep_lookback_stateEbbT6_jjT7_P12ihipStream_tbENKUlT_T0_SG_SL_E_clIS9_SA_SB_SB_EEDaSZ_S10_SG_SL_EUlSZ_E_NS1_11comp_targetILNS1_3genE10ELNS1_11target_archE1201ELNS1_3gpuE5ELNS1_3repE0EEENS1_47radix_sort_onesweep_sort_config_static_selectorELNS0_4arch9wavefront6targetE0EEEvSG_,comdat
	.protected	_ZN7rocprim17ROCPRIM_400000_NS6detail17trampoline_kernelINS0_14default_configENS1_35radix_sort_onesweep_config_selectorIbNS0_10empty_typeEEEZZNS1_29radix_sort_onesweep_iterationIS3_Lb1EPKbPbPS5_SB_mNS0_19identity_decomposerENS1_16block_id_wrapperIjLb0EEEEE10hipError_tT1_PNSt15iterator_traitsISG_E10value_typeET2_T3_PNSH_ISM_E10value_typeET4_T5_PSR_SS_PNS1_23onesweep_lookback_stateEbbT6_jjT7_P12ihipStream_tbENKUlT_T0_SG_SL_E_clIS9_SA_SB_SB_EEDaSZ_S10_SG_SL_EUlSZ_E_NS1_11comp_targetILNS1_3genE10ELNS1_11target_archE1201ELNS1_3gpuE5ELNS1_3repE0EEENS1_47radix_sort_onesweep_sort_config_static_selectorELNS0_4arch9wavefront6targetE0EEEvSG_ ; -- Begin function _ZN7rocprim17ROCPRIM_400000_NS6detail17trampoline_kernelINS0_14default_configENS1_35radix_sort_onesweep_config_selectorIbNS0_10empty_typeEEEZZNS1_29radix_sort_onesweep_iterationIS3_Lb1EPKbPbPS5_SB_mNS0_19identity_decomposerENS1_16block_id_wrapperIjLb0EEEEE10hipError_tT1_PNSt15iterator_traitsISG_E10value_typeET2_T3_PNSH_ISM_E10value_typeET4_T5_PSR_SS_PNS1_23onesweep_lookback_stateEbbT6_jjT7_P12ihipStream_tbENKUlT_T0_SG_SL_E_clIS9_SA_SB_SB_EEDaSZ_S10_SG_SL_EUlSZ_E_NS1_11comp_targetILNS1_3genE10ELNS1_11target_archE1201ELNS1_3gpuE5ELNS1_3repE0EEENS1_47radix_sort_onesweep_sort_config_static_selectorELNS0_4arch9wavefront6targetE0EEEvSG_
	.globl	_ZN7rocprim17ROCPRIM_400000_NS6detail17trampoline_kernelINS0_14default_configENS1_35radix_sort_onesweep_config_selectorIbNS0_10empty_typeEEEZZNS1_29radix_sort_onesweep_iterationIS3_Lb1EPKbPbPS5_SB_mNS0_19identity_decomposerENS1_16block_id_wrapperIjLb0EEEEE10hipError_tT1_PNSt15iterator_traitsISG_E10value_typeET2_T3_PNSH_ISM_E10value_typeET4_T5_PSR_SS_PNS1_23onesweep_lookback_stateEbbT6_jjT7_P12ihipStream_tbENKUlT_T0_SG_SL_E_clIS9_SA_SB_SB_EEDaSZ_S10_SG_SL_EUlSZ_E_NS1_11comp_targetILNS1_3genE10ELNS1_11target_archE1201ELNS1_3gpuE5ELNS1_3repE0EEENS1_47radix_sort_onesweep_sort_config_static_selectorELNS0_4arch9wavefront6targetE0EEEvSG_
	.p2align	8
	.type	_ZN7rocprim17ROCPRIM_400000_NS6detail17trampoline_kernelINS0_14default_configENS1_35radix_sort_onesweep_config_selectorIbNS0_10empty_typeEEEZZNS1_29radix_sort_onesweep_iterationIS3_Lb1EPKbPbPS5_SB_mNS0_19identity_decomposerENS1_16block_id_wrapperIjLb0EEEEE10hipError_tT1_PNSt15iterator_traitsISG_E10value_typeET2_T3_PNSH_ISM_E10value_typeET4_T5_PSR_SS_PNS1_23onesweep_lookback_stateEbbT6_jjT7_P12ihipStream_tbENKUlT_T0_SG_SL_E_clIS9_SA_SB_SB_EEDaSZ_S10_SG_SL_EUlSZ_E_NS1_11comp_targetILNS1_3genE10ELNS1_11target_archE1201ELNS1_3gpuE5ELNS1_3repE0EEENS1_47radix_sort_onesweep_sort_config_static_selectorELNS0_4arch9wavefront6targetE0EEEvSG_,@function
_ZN7rocprim17ROCPRIM_400000_NS6detail17trampoline_kernelINS0_14default_configENS1_35radix_sort_onesweep_config_selectorIbNS0_10empty_typeEEEZZNS1_29radix_sort_onesweep_iterationIS3_Lb1EPKbPbPS5_SB_mNS0_19identity_decomposerENS1_16block_id_wrapperIjLb0EEEEE10hipError_tT1_PNSt15iterator_traitsISG_E10value_typeET2_T3_PNSH_ISM_E10value_typeET4_T5_PSR_SS_PNS1_23onesweep_lookback_stateEbbT6_jjT7_P12ihipStream_tbENKUlT_T0_SG_SL_E_clIS9_SA_SB_SB_EEDaSZ_S10_SG_SL_EUlSZ_E_NS1_11comp_targetILNS1_3genE10ELNS1_11target_archE1201ELNS1_3gpuE5ELNS1_3repE0EEENS1_47radix_sort_onesweep_sort_config_static_selectorELNS0_4arch9wavefront6targetE0EEEvSG_: ; @_ZN7rocprim17ROCPRIM_400000_NS6detail17trampoline_kernelINS0_14default_configENS1_35radix_sort_onesweep_config_selectorIbNS0_10empty_typeEEEZZNS1_29radix_sort_onesweep_iterationIS3_Lb1EPKbPbPS5_SB_mNS0_19identity_decomposerENS1_16block_id_wrapperIjLb0EEEEE10hipError_tT1_PNSt15iterator_traitsISG_E10value_typeET2_T3_PNSH_ISM_E10value_typeET4_T5_PSR_SS_PNS1_23onesweep_lookback_stateEbbT6_jjT7_P12ihipStream_tbENKUlT_T0_SG_SL_E_clIS9_SA_SB_SB_EEDaSZ_S10_SG_SL_EUlSZ_E_NS1_11comp_targetILNS1_3genE10ELNS1_11target_archE1201ELNS1_3gpuE5ELNS1_3repE0EEENS1_47radix_sort_onesweep_sort_config_static_selectorELNS0_4arch9wavefront6targetE0EEEvSG_
; %bb.0:
	.section	.rodata,"a",@progbits
	.p2align	6, 0x0
	.amdhsa_kernel _ZN7rocprim17ROCPRIM_400000_NS6detail17trampoline_kernelINS0_14default_configENS1_35radix_sort_onesweep_config_selectorIbNS0_10empty_typeEEEZZNS1_29radix_sort_onesweep_iterationIS3_Lb1EPKbPbPS5_SB_mNS0_19identity_decomposerENS1_16block_id_wrapperIjLb0EEEEE10hipError_tT1_PNSt15iterator_traitsISG_E10value_typeET2_T3_PNSH_ISM_E10value_typeET4_T5_PSR_SS_PNS1_23onesweep_lookback_stateEbbT6_jjT7_P12ihipStream_tbENKUlT_T0_SG_SL_E_clIS9_SA_SB_SB_EEDaSZ_S10_SG_SL_EUlSZ_E_NS1_11comp_targetILNS1_3genE10ELNS1_11target_archE1201ELNS1_3gpuE5ELNS1_3repE0EEENS1_47radix_sort_onesweep_sort_config_static_selectorELNS0_4arch9wavefront6targetE0EEEvSG_
		.amdhsa_group_segment_fixed_size 0
		.amdhsa_private_segment_fixed_size 0
		.amdhsa_kernarg_size 88
		.amdhsa_user_sgpr_count 2
		.amdhsa_user_sgpr_dispatch_ptr 0
		.amdhsa_user_sgpr_queue_ptr 0
		.amdhsa_user_sgpr_kernarg_segment_ptr 1
		.amdhsa_user_sgpr_dispatch_id 0
		.amdhsa_user_sgpr_kernarg_preload_length 0
		.amdhsa_user_sgpr_kernarg_preload_offset 0
		.amdhsa_user_sgpr_private_segment_size 0
		.amdhsa_wavefront_size32 1
		.amdhsa_uses_dynamic_stack 0
		.amdhsa_enable_private_segment 0
		.amdhsa_system_sgpr_workgroup_id_x 1
		.amdhsa_system_sgpr_workgroup_id_y 0
		.amdhsa_system_sgpr_workgroup_id_z 0
		.amdhsa_system_sgpr_workgroup_info 0
		.amdhsa_system_vgpr_workitem_id 0
		.amdhsa_next_free_vgpr 1
		.amdhsa_next_free_sgpr 1
		.amdhsa_named_barrier_count 0
		.amdhsa_reserve_vcc 0
		.amdhsa_float_round_mode_32 0
		.amdhsa_float_round_mode_16_64 0
		.amdhsa_float_denorm_mode_32 3
		.amdhsa_float_denorm_mode_16_64 3
		.amdhsa_fp16_overflow 0
		.amdhsa_memory_ordered 1
		.amdhsa_forward_progress 1
		.amdhsa_inst_pref_size 0
		.amdhsa_round_robin_scheduling 0
		.amdhsa_exception_fp_ieee_invalid_op 0
		.amdhsa_exception_fp_denorm_src 0
		.amdhsa_exception_fp_ieee_div_zero 0
		.amdhsa_exception_fp_ieee_overflow 0
		.amdhsa_exception_fp_ieee_underflow 0
		.amdhsa_exception_fp_ieee_inexact 0
		.amdhsa_exception_int_div_zero 0
	.end_amdhsa_kernel
	.section	.text._ZN7rocprim17ROCPRIM_400000_NS6detail17trampoline_kernelINS0_14default_configENS1_35radix_sort_onesweep_config_selectorIbNS0_10empty_typeEEEZZNS1_29radix_sort_onesweep_iterationIS3_Lb1EPKbPbPS5_SB_mNS0_19identity_decomposerENS1_16block_id_wrapperIjLb0EEEEE10hipError_tT1_PNSt15iterator_traitsISG_E10value_typeET2_T3_PNSH_ISM_E10value_typeET4_T5_PSR_SS_PNS1_23onesweep_lookback_stateEbbT6_jjT7_P12ihipStream_tbENKUlT_T0_SG_SL_E_clIS9_SA_SB_SB_EEDaSZ_S10_SG_SL_EUlSZ_E_NS1_11comp_targetILNS1_3genE10ELNS1_11target_archE1201ELNS1_3gpuE5ELNS1_3repE0EEENS1_47radix_sort_onesweep_sort_config_static_selectorELNS0_4arch9wavefront6targetE0EEEvSG_,"axG",@progbits,_ZN7rocprim17ROCPRIM_400000_NS6detail17trampoline_kernelINS0_14default_configENS1_35radix_sort_onesweep_config_selectorIbNS0_10empty_typeEEEZZNS1_29radix_sort_onesweep_iterationIS3_Lb1EPKbPbPS5_SB_mNS0_19identity_decomposerENS1_16block_id_wrapperIjLb0EEEEE10hipError_tT1_PNSt15iterator_traitsISG_E10value_typeET2_T3_PNSH_ISM_E10value_typeET4_T5_PSR_SS_PNS1_23onesweep_lookback_stateEbbT6_jjT7_P12ihipStream_tbENKUlT_T0_SG_SL_E_clIS9_SA_SB_SB_EEDaSZ_S10_SG_SL_EUlSZ_E_NS1_11comp_targetILNS1_3genE10ELNS1_11target_archE1201ELNS1_3gpuE5ELNS1_3repE0EEENS1_47radix_sort_onesweep_sort_config_static_selectorELNS0_4arch9wavefront6targetE0EEEvSG_,comdat
.Lfunc_end1765:
	.size	_ZN7rocprim17ROCPRIM_400000_NS6detail17trampoline_kernelINS0_14default_configENS1_35radix_sort_onesweep_config_selectorIbNS0_10empty_typeEEEZZNS1_29radix_sort_onesweep_iterationIS3_Lb1EPKbPbPS5_SB_mNS0_19identity_decomposerENS1_16block_id_wrapperIjLb0EEEEE10hipError_tT1_PNSt15iterator_traitsISG_E10value_typeET2_T3_PNSH_ISM_E10value_typeET4_T5_PSR_SS_PNS1_23onesweep_lookback_stateEbbT6_jjT7_P12ihipStream_tbENKUlT_T0_SG_SL_E_clIS9_SA_SB_SB_EEDaSZ_S10_SG_SL_EUlSZ_E_NS1_11comp_targetILNS1_3genE10ELNS1_11target_archE1201ELNS1_3gpuE5ELNS1_3repE0EEENS1_47radix_sort_onesweep_sort_config_static_selectorELNS0_4arch9wavefront6targetE0EEEvSG_, .Lfunc_end1765-_ZN7rocprim17ROCPRIM_400000_NS6detail17trampoline_kernelINS0_14default_configENS1_35radix_sort_onesweep_config_selectorIbNS0_10empty_typeEEEZZNS1_29radix_sort_onesweep_iterationIS3_Lb1EPKbPbPS5_SB_mNS0_19identity_decomposerENS1_16block_id_wrapperIjLb0EEEEE10hipError_tT1_PNSt15iterator_traitsISG_E10value_typeET2_T3_PNSH_ISM_E10value_typeET4_T5_PSR_SS_PNS1_23onesweep_lookback_stateEbbT6_jjT7_P12ihipStream_tbENKUlT_T0_SG_SL_E_clIS9_SA_SB_SB_EEDaSZ_S10_SG_SL_EUlSZ_E_NS1_11comp_targetILNS1_3genE10ELNS1_11target_archE1201ELNS1_3gpuE5ELNS1_3repE0EEENS1_47radix_sort_onesweep_sort_config_static_selectorELNS0_4arch9wavefront6targetE0EEEvSG_
                                        ; -- End function
	.set _ZN7rocprim17ROCPRIM_400000_NS6detail17trampoline_kernelINS0_14default_configENS1_35radix_sort_onesweep_config_selectorIbNS0_10empty_typeEEEZZNS1_29radix_sort_onesweep_iterationIS3_Lb1EPKbPbPS5_SB_mNS0_19identity_decomposerENS1_16block_id_wrapperIjLb0EEEEE10hipError_tT1_PNSt15iterator_traitsISG_E10value_typeET2_T3_PNSH_ISM_E10value_typeET4_T5_PSR_SS_PNS1_23onesweep_lookback_stateEbbT6_jjT7_P12ihipStream_tbENKUlT_T0_SG_SL_E_clIS9_SA_SB_SB_EEDaSZ_S10_SG_SL_EUlSZ_E_NS1_11comp_targetILNS1_3genE10ELNS1_11target_archE1201ELNS1_3gpuE5ELNS1_3repE0EEENS1_47radix_sort_onesweep_sort_config_static_selectorELNS0_4arch9wavefront6targetE0EEEvSG_.num_vgpr, 0
	.set _ZN7rocprim17ROCPRIM_400000_NS6detail17trampoline_kernelINS0_14default_configENS1_35radix_sort_onesweep_config_selectorIbNS0_10empty_typeEEEZZNS1_29radix_sort_onesweep_iterationIS3_Lb1EPKbPbPS5_SB_mNS0_19identity_decomposerENS1_16block_id_wrapperIjLb0EEEEE10hipError_tT1_PNSt15iterator_traitsISG_E10value_typeET2_T3_PNSH_ISM_E10value_typeET4_T5_PSR_SS_PNS1_23onesweep_lookback_stateEbbT6_jjT7_P12ihipStream_tbENKUlT_T0_SG_SL_E_clIS9_SA_SB_SB_EEDaSZ_S10_SG_SL_EUlSZ_E_NS1_11comp_targetILNS1_3genE10ELNS1_11target_archE1201ELNS1_3gpuE5ELNS1_3repE0EEENS1_47radix_sort_onesweep_sort_config_static_selectorELNS0_4arch9wavefront6targetE0EEEvSG_.num_agpr, 0
	.set _ZN7rocprim17ROCPRIM_400000_NS6detail17trampoline_kernelINS0_14default_configENS1_35radix_sort_onesweep_config_selectorIbNS0_10empty_typeEEEZZNS1_29radix_sort_onesweep_iterationIS3_Lb1EPKbPbPS5_SB_mNS0_19identity_decomposerENS1_16block_id_wrapperIjLb0EEEEE10hipError_tT1_PNSt15iterator_traitsISG_E10value_typeET2_T3_PNSH_ISM_E10value_typeET4_T5_PSR_SS_PNS1_23onesweep_lookback_stateEbbT6_jjT7_P12ihipStream_tbENKUlT_T0_SG_SL_E_clIS9_SA_SB_SB_EEDaSZ_S10_SG_SL_EUlSZ_E_NS1_11comp_targetILNS1_3genE10ELNS1_11target_archE1201ELNS1_3gpuE5ELNS1_3repE0EEENS1_47radix_sort_onesweep_sort_config_static_selectorELNS0_4arch9wavefront6targetE0EEEvSG_.numbered_sgpr, 0
	.set _ZN7rocprim17ROCPRIM_400000_NS6detail17trampoline_kernelINS0_14default_configENS1_35radix_sort_onesweep_config_selectorIbNS0_10empty_typeEEEZZNS1_29radix_sort_onesweep_iterationIS3_Lb1EPKbPbPS5_SB_mNS0_19identity_decomposerENS1_16block_id_wrapperIjLb0EEEEE10hipError_tT1_PNSt15iterator_traitsISG_E10value_typeET2_T3_PNSH_ISM_E10value_typeET4_T5_PSR_SS_PNS1_23onesweep_lookback_stateEbbT6_jjT7_P12ihipStream_tbENKUlT_T0_SG_SL_E_clIS9_SA_SB_SB_EEDaSZ_S10_SG_SL_EUlSZ_E_NS1_11comp_targetILNS1_3genE10ELNS1_11target_archE1201ELNS1_3gpuE5ELNS1_3repE0EEENS1_47radix_sort_onesweep_sort_config_static_selectorELNS0_4arch9wavefront6targetE0EEEvSG_.num_named_barrier, 0
	.set _ZN7rocprim17ROCPRIM_400000_NS6detail17trampoline_kernelINS0_14default_configENS1_35radix_sort_onesweep_config_selectorIbNS0_10empty_typeEEEZZNS1_29radix_sort_onesweep_iterationIS3_Lb1EPKbPbPS5_SB_mNS0_19identity_decomposerENS1_16block_id_wrapperIjLb0EEEEE10hipError_tT1_PNSt15iterator_traitsISG_E10value_typeET2_T3_PNSH_ISM_E10value_typeET4_T5_PSR_SS_PNS1_23onesweep_lookback_stateEbbT6_jjT7_P12ihipStream_tbENKUlT_T0_SG_SL_E_clIS9_SA_SB_SB_EEDaSZ_S10_SG_SL_EUlSZ_E_NS1_11comp_targetILNS1_3genE10ELNS1_11target_archE1201ELNS1_3gpuE5ELNS1_3repE0EEENS1_47radix_sort_onesweep_sort_config_static_selectorELNS0_4arch9wavefront6targetE0EEEvSG_.private_seg_size, 0
	.set _ZN7rocprim17ROCPRIM_400000_NS6detail17trampoline_kernelINS0_14default_configENS1_35radix_sort_onesweep_config_selectorIbNS0_10empty_typeEEEZZNS1_29radix_sort_onesweep_iterationIS3_Lb1EPKbPbPS5_SB_mNS0_19identity_decomposerENS1_16block_id_wrapperIjLb0EEEEE10hipError_tT1_PNSt15iterator_traitsISG_E10value_typeET2_T3_PNSH_ISM_E10value_typeET4_T5_PSR_SS_PNS1_23onesweep_lookback_stateEbbT6_jjT7_P12ihipStream_tbENKUlT_T0_SG_SL_E_clIS9_SA_SB_SB_EEDaSZ_S10_SG_SL_EUlSZ_E_NS1_11comp_targetILNS1_3genE10ELNS1_11target_archE1201ELNS1_3gpuE5ELNS1_3repE0EEENS1_47radix_sort_onesweep_sort_config_static_selectorELNS0_4arch9wavefront6targetE0EEEvSG_.uses_vcc, 0
	.set _ZN7rocprim17ROCPRIM_400000_NS6detail17trampoline_kernelINS0_14default_configENS1_35radix_sort_onesweep_config_selectorIbNS0_10empty_typeEEEZZNS1_29radix_sort_onesweep_iterationIS3_Lb1EPKbPbPS5_SB_mNS0_19identity_decomposerENS1_16block_id_wrapperIjLb0EEEEE10hipError_tT1_PNSt15iterator_traitsISG_E10value_typeET2_T3_PNSH_ISM_E10value_typeET4_T5_PSR_SS_PNS1_23onesweep_lookback_stateEbbT6_jjT7_P12ihipStream_tbENKUlT_T0_SG_SL_E_clIS9_SA_SB_SB_EEDaSZ_S10_SG_SL_EUlSZ_E_NS1_11comp_targetILNS1_3genE10ELNS1_11target_archE1201ELNS1_3gpuE5ELNS1_3repE0EEENS1_47radix_sort_onesweep_sort_config_static_selectorELNS0_4arch9wavefront6targetE0EEEvSG_.uses_flat_scratch, 0
	.set _ZN7rocprim17ROCPRIM_400000_NS6detail17trampoline_kernelINS0_14default_configENS1_35radix_sort_onesweep_config_selectorIbNS0_10empty_typeEEEZZNS1_29radix_sort_onesweep_iterationIS3_Lb1EPKbPbPS5_SB_mNS0_19identity_decomposerENS1_16block_id_wrapperIjLb0EEEEE10hipError_tT1_PNSt15iterator_traitsISG_E10value_typeET2_T3_PNSH_ISM_E10value_typeET4_T5_PSR_SS_PNS1_23onesweep_lookback_stateEbbT6_jjT7_P12ihipStream_tbENKUlT_T0_SG_SL_E_clIS9_SA_SB_SB_EEDaSZ_S10_SG_SL_EUlSZ_E_NS1_11comp_targetILNS1_3genE10ELNS1_11target_archE1201ELNS1_3gpuE5ELNS1_3repE0EEENS1_47radix_sort_onesweep_sort_config_static_selectorELNS0_4arch9wavefront6targetE0EEEvSG_.has_dyn_sized_stack, 0
	.set _ZN7rocprim17ROCPRIM_400000_NS6detail17trampoline_kernelINS0_14default_configENS1_35radix_sort_onesweep_config_selectorIbNS0_10empty_typeEEEZZNS1_29radix_sort_onesweep_iterationIS3_Lb1EPKbPbPS5_SB_mNS0_19identity_decomposerENS1_16block_id_wrapperIjLb0EEEEE10hipError_tT1_PNSt15iterator_traitsISG_E10value_typeET2_T3_PNSH_ISM_E10value_typeET4_T5_PSR_SS_PNS1_23onesweep_lookback_stateEbbT6_jjT7_P12ihipStream_tbENKUlT_T0_SG_SL_E_clIS9_SA_SB_SB_EEDaSZ_S10_SG_SL_EUlSZ_E_NS1_11comp_targetILNS1_3genE10ELNS1_11target_archE1201ELNS1_3gpuE5ELNS1_3repE0EEENS1_47radix_sort_onesweep_sort_config_static_selectorELNS0_4arch9wavefront6targetE0EEEvSG_.has_recursion, 0
	.set _ZN7rocprim17ROCPRIM_400000_NS6detail17trampoline_kernelINS0_14default_configENS1_35radix_sort_onesweep_config_selectorIbNS0_10empty_typeEEEZZNS1_29radix_sort_onesweep_iterationIS3_Lb1EPKbPbPS5_SB_mNS0_19identity_decomposerENS1_16block_id_wrapperIjLb0EEEEE10hipError_tT1_PNSt15iterator_traitsISG_E10value_typeET2_T3_PNSH_ISM_E10value_typeET4_T5_PSR_SS_PNS1_23onesweep_lookback_stateEbbT6_jjT7_P12ihipStream_tbENKUlT_T0_SG_SL_E_clIS9_SA_SB_SB_EEDaSZ_S10_SG_SL_EUlSZ_E_NS1_11comp_targetILNS1_3genE10ELNS1_11target_archE1201ELNS1_3gpuE5ELNS1_3repE0EEENS1_47radix_sort_onesweep_sort_config_static_selectorELNS0_4arch9wavefront6targetE0EEEvSG_.has_indirect_call, 0
	.section	.AMDGPU.csdata,"",@progbits
; Kernel info:
; codeLenInByte = 0
; TotalNumSgprs: 0
; NumVgprs: 0
; ScratchSize: 0
; MemoryBound: 0
; FloatMode: 240
; IeeeMode: 1
; LDSByteSize: 0 bytes/workgroup (compile time only)
; SGPRBlocks: 0
; VGPRBlocks: 0
; NumSGPRsForWavesPerEU: 1
; NumVGPRsForWavesPerEU: 1
; NamedBarCnt: 0
; Occupancy: 16
; WaveLimiterHint : 0
; COMPUTE_PGM_RSRC2:SCRATCH_EN: 0
; COMPUTE_PGM_RSRC2:USER_SGPR: 2
; COMPUTE_PGM_RSRC2:TRAP_HANDLER: 0
; COMPUTE_PGM_RSRC2:TGID_X_EN: 1
; COMPUTE_PGM_RSRC2:TGID_Y_EN: 0
; COMPUTE_PGM_RSRC2:TGID_Z_EN: 0
; COMPUTE_PGM_RSRC2:TIDIG_COMP_CNT: 0
	.section	.text._ZN7rocprim17ROCPRIM_400000_NS6detail17trampoline_kernelINS0_14default_configENS1_35radix_sort_onesweep_config_selectorIbNS0_10empty_typeEEEZZNS1_29radix_sort_onesweep_iterationIS3_Lb1EPKbPbPS5_SB_mNS0_19identity_decomposerENS1_16block_id_wrapperIjLb0EEEEE10hipError_tT1_PNSt15iterator_traitsISG_E10value_typeET2_T3_PNSH_ISM_E10value_typeET4_T5_PSR_SS_PNS1_23onesweep_lookback_stateEbbT6_jjT7_P12ihipStream_tbENKUlT_T0_SG_SL_E_clIS9_SA_SB_SB_EEDaSZ_S10_SG_SL_EUlSZ_E_NS1_11comp_targetILNS1_3genE9ELNS1_11target_archE1100ELNS1_3gpuE3ELNS1_3repE0EEENS1_47radix_sort_onesweep_sort_config_static_selectorELNS0_4arch9wavefront6targetE0EEEvSG_,"axG",@progbits,_ZN7rocprim17ROCPRIM_400000_NS6detail17trampoline_kernelINS0_14default_configENS1_35radix_sort_onesweep_config_selectorIbNS0_10empty_typeEEEZZNS1_29radix_sort_onesweep_iterationIS3_Lb1EPKbPbPS5_SB_mNS0_19identity_decomposerENS1_16block_id_wrapperIjLb0EEEEE10hipError_tT1_PNSt15iterator_traitsISG_E10value_typeET2_T3_PNSH_ISM_E10value_typeET4_T5_PSR_SS_PNS1_23onesweep_lookback_stateEbbT6_jjT7_P12ihipStream_tbENKUlT_T0_SG_SL_E_clIS9_SA_SB_SB_EEDaSZ_S10_SG_SL_EUlSZ_E_NS1_11comp_targetILNS1_3genE9ELNS1_11target_archE1100ELNS1_3gpuE3ELNS1_3repE0EEENS1_47radix_sort_onesweep_sort_config_static_selectorELNS0_4arch9wavefront6targetE0EEEvSG_,comdat
	.protected	_ZN7rocprim17ROCPRIM_400000_NS6detail17trampoline_kernelINS0_14default_configENS1_35radix_sort_onesweep_config_selectorIbNS0_10empty_typeEEEZZNS1_29radix_sort_onesweep_iterationIS3_Lb1EPKbPbPS5_SB_mNS0_19identity_decomposerENS1_16block_id_wrapperIjLb0EEEEE10hipError_tT1_PNSt15iterator_traitsISG_E10value_typeET2_T3_PNSH_ISM_E10value_typeET4_T5_PSR_SS_PNS1_23onesweep_lookback_stateEbbT6_jjT7_P12ihipStream_tbENKUlT_T0_SG_SL_E_clIS9_SA_SB_SB_EEDaSZ_S10_SG_SL_EUlSZ_E_NS1_11comp_targetILNS1_3genE9ELNS1_11target_archE1100ELNS1_3gpuE3ELNS1_3repE0EEENS1_47radix_sort_onesweep_sort_config_static_selectorELNS0_4arch9wavefront6targetE0EEEvSG_ ; -- Begin function _ZN7rocprim17ROCPRIM_400000_NS6detail17trampoline_kernelINS0_14default_configENS1_35radix_sort_onesweep_config_selectorIbNS0_10empty_typeEEEZZNS1_29radix_sort_onesweep_iterationIS3_Lb1EPKbPbPS5_SB_mNS0_19identity_decomposerENS1_16block_id_wrapperIjLb0EEEEE10hipError_tT1_PNSt15iterator_traitsISG_E10value_typeET2_T3_PNSH_ISM_E10value_typeET4_T5_PSR_SS_PNS1_23onesweep_lookback_stateEbbT6_jjT7_P12ihipStream_tbENKUlT_T0_SG_SL_E_clIS9_SA_SB_SB_EEDaSZ_S10_SG_SL_EUlSZ_E_NS1_11comp_targetILNS1_3genE9ELNS1_11target_archE1100ELNS1_3gpuE3ELNS1_3repE0EEENS1_47radix_sort_onesweep_sort_config_static_selectorELNS0_4arch9wavefront6targetE0EEEvSG_
	.globl	_ZN7rocprim17ROCPRIM_400000_NS6detail17trampoline_kernelINS0_14default_configENS1_35radix_sort_onesweep_config_selectorIbNS0_10empty_typeEEEZZNS1_29radix_sort_onesweep_iterationIS3_Lb1EPKbPbPS5_SB_mNS0_19identity_decomposerENS1_16block_id_wrapperIjLb0EEEEE10hipError_tT1_PNSt15iterator_traitsISG_E10value_typeET2_T3_PNSH_ISM_E10value_typeET4_T5_PSR_SS_PNS1_23onesweep_lookback_stateEbbT6_jjT7_P12ihipStream_tbENKUlT_T0_SG_SL_E_clIS9_SA_SB_SB_EEDaSZ_S10_SG_SL_EUlSZ_E_NS1_11comp_targetILNS1_3genE9ELNS1_11target_archE1100ELNS1_3gpuE3ELNS1_3repE0EEENS1_47radix_sort_onesweep_sort_config_static_selectorELNS0_4arch9wavefront6targetE0EEEvSG_
	.p2align	8
	.type	_ZN7rocprim17ROCPRIM_400000_NS6detail17trampoline_kernelINS0_14default_configENS1_35radix_sort_onesweep_config_selectorIbNS0_10empty_typeEEEZZNS1_29radix_sort_onesweep_iterationIS3_Lb1EPKbPbPS5_SB_mNS0_19identity_decomposerENS1_16block_id_wrapperIjLb0EEEEE10hipError_tT1_PNSt15iterator_traitsISG_E10value_typeET2_T3_PNSH_ISM_E10value_typeET4_T5_PSR_SS_PNS1_23onesweep_lookback_stateEbbT6_jjT7_P12ihipStream_tbENKUlT_T0_SG_SL_E_clIS9_SA_SB_SB_EEDaSZ_S10_SG_SL_EUlSZ_E_NS1_11comp_targetILNS1_3genE9ELNS1_11target_archE1100ELNS1_3gpuE3ELNS1_3repE0EEENS1_47radix_sort_onesweep_sort_config_static_selectorELNS0_4arch9wavefront6targetE0EEEvSG_,@function
_ZN7rocprim17ROCPRIM_400000_NS6detail17trampoline_kernelINS0_14default_configENS1_35radix_sort_onesweep_config_selectorIbNS0_10empty_typeEEEZZNS1_29radix_sort_onesweep_iterationIS3_Lb1EPKbPbPS5_SB_mNS0_19identity_decomposerENS1_16block_id_wrapperIjLb0EEEEE10hipError_tT1_PNSt15iterator_traitsISG_E10value_typeET2_T3_PNSH_ISM_E10value_typeET4_T5_PSR_SS_PNS1_23onesweep_lookback_stateEbbT6_jjT7_P12ihipStream_tbENKUlT_T0_SG_SL_E_clIS9_SA_SB_SB_EEDaSZ_S10_SG_SL_EUlSZ_E_NS1_11comp_targetILNS1_3genE9ELNS1_11target_archE1100ELNS1_3gpuE3ELNS1_3repE0EEENS1_47radix_sort_onesweep_sort_config_static_selectorELNS0_4arch9wavefront6targetE0EEEvSG_: ; @_ZN7rocprim17ROCPRIM_400000_NS6detail17trampoline_kernelINS0_14default_configENS1_35radix_sort_onesweep_config_selectorIbNS0_10empty_typeEEEZZNS1_29radix_sort_onesweep_iterationIS3_Lb1EPKbPbPS5_SB_mNS0_19identity_decomposerENS1_16block_id_wrapperIjLb0EEEEE10hipError_tT1_PNSt15iterator_traitsISG_E10value_typeET2_T3_PNSH_ISM_E10value_typeET4_T5_PSR_SS_PNS1_23onesweep_lookback_stateEbbT6_jjT7_P12ihipStream_tbENKUlT_T0_SG_SL_E_clIS9_SA_SB_SB_EEDaSZ_S10_SG_SL_EUlSZ_E_NS1_11comp_targetILNS1_3genE9ELNS1_11target_archE1100ELNS1_3gpuE3ELNS1_3repE0EEENS1_47radix_sort_onesweep_sort_config_static_selectorELNS0_4arch9wavefront6targetE0EEEvSG_
; %bb.0:
	.section	.rodata,"a",@progbits
	.p2align	6, 0x0
	.amdhsa_kernel _ZN7rocprim17ROCPRIM_400000_NS6detail17trampoline_kernelINS0_14default_configENS1_35radix_sort_onesweep_config_selectorIbNS0_10empty_typeEEEZZNS1_29radix_sort_onesweep_iterationIS3_Lb1EPKbPbPS5_SB_mNS0_19identity_decomposerENS1_16block_id_wrapperIjLb0EEEEE10hipError_tT1_PNSt15iterator_traitsISG_E10value_typeET2_T3_PNSH_ISM_E10value_typeET4_T5_PSR_SS_PNS1_23onesweep_lookback_stateEbbT6_jjT7_P12ihipStream_tbENKUlT_T0_SG_SL_E_clIS9_SA_SB_SB_EEDaSZ_S10_SG_SL_EUlSZ_E_NS1_11comp_targetILNS1_3genE9ELNS1_11target_archE1100ELNS1_3gpuE3ELNS1_3repE0EEENS1_47radix_sort_onesweep_sort_config_static_selectorELNS0_4arch9wavefront6targetE0EEEvSG_
		.amdhsa_group_segment_fixed_size 0
		.amdhsa_private_segment_fixed_size 0
		.amdhsa_kernarg_size 88
		.amdhsa_user_sgpr_count 2
		.amdhsa_user_sgpr_dispatch_ptr 0
		.amdhsa_user_sgpr_queue_ptr 0
		.amdhsa_user_sgpr_kernarg_segment_ptr 1
		.amdhsa_user_sgpr_dispatch_id 0
		.amdhsa_user_sgpr_kernarg_preload_length 0
		.amdhsa_user_sgpr_kernarg_preload_offset 0
		.amdhsa_user_sgpr_private_segment_size 0
		.amdhsa_wavefront_size32 1
		.amdhsa_uses_dynamic_stack 0
		.amdhsa_enable_private_segment 0
		.amdhsa_system_sgpr_workgroup_id_x 1
		.amdhsa_system_sgpr_workgroup_id_y 0
		.amdhsa_system_sgpr_workgroup_id_z 0
		.amdhsa_system_sgpr_workgroup_info 0
		.amdhsa_system_vgpr_workitem_id 0
		.amdhsa_next_free_vgpr 1
		.amdhsa_next_free_sgpr 1
		.amdhsa_named_barrier_count 0
		.amdhsa_reserve_vcc 0
		.amdhsa_float_round_mode_32 0
		.amdhsa_float_round_mode_16_64 0
		.amdhsa_float_denorm_mode_32 3
		.amdhsa_float_denorm_mode_16_64 3
		.amdhsa_fp16_overflow 0
		.amdhsa_memory_ordered 1
		.amdhsa_forward_progress 1
		.amdhsa_inst_pref_size 0
		.amdhsa_round_robin_scheduling 0
		.amdhsa_exception_fp_ieee_invalid_op 0
		.amdhsa_exception_fp_denorm_src 0
		.amdhsa_exception_fp_ieee_div_zero 0
		.amdhsa_exception_fp_ieee_overflow 0
		.amdhsa_exception_fp_ieee_underflow 0
		.amdhsa_exception_fp_ieee_inexact 0
		.amdhsa_exception_int_div_zero 0
	.end_amdhsa_kernel
	.section	.text._ZN7rocprim17ROCPRIM_400000_NS6detail17trampoline_kernelINS0_14default_configENS1_35radix_sort_onesweep_config_selectorIbNS0_10empty_typeEEEZZNS1_29radix_sort_onesweep_iterationIS3_Lb1EPKbPbPS5_SB_mNS0_19identity_decomposerENS1_16block_id_wrapperIjLb0EEEEE10hipError_tT1_PNSt15iterator_traitsISG_E10value_typeET2_T3_PNSH_ISM_E10value_typeET4_T5_PSR_SS_PNS1_23onesweep_lookback_stateEbbT6_jjT7_P12ihipStream_tbENKUlT_T0_SG_SL_E_clIS9_SA_SB_SB_EEDaSZ_S10_SG_SL_EUlSZ_E_NS1_11comp_targetILNS1_3genE9ELNS1_11target_archE1100ELNS1_3gpuE3ELNS1_3repE0EEENS1_47radix_sort_onesweep_sort_config_static_selectorELNS0_4arch9wavefront6targetE0EEEvSG_,"axG",@progbits,_ZN7rocprim17ROCPRIM_400000_NS6detail17trampoline_kernelINS0_14default_configENS1_35radix_sort_onesweep_config_selectorIbNS0_10empty_typeEEEZZNS1_29radix_sort_onesweep_iterationIS3_Lb1EPKbPbPS5_SB_mNS0_19identity_decomposerENS1_16block_id_wrapperIjLb0EEEEE10hipError_tT1_PNSt15iterator_traitsISG_E10value_typeET2_T3_PNSH_ISM_E10value_typeET4_T5_PSR_SS_PNS1_23onesweep_lookback_stateEbbT6_jjT7_P12ihipStream_tbENKUlT_T0_SG_SL_E_clIS9_SA_SB_SB_EEDaSZ_S10_SG_SL_EUlSZ_E_NS1_11comp_targetILNS1_3genE9ELNS1_11target_archE1100ELNS1_3gpuE3ELNS1_3repE0EEENS1_47radix_sort_onesweep_sort_config_static_selectorELNS0_4arch9wavefront6targetE0EEEvSG_,comdat
.Lfunc_end1766:
	.size	_ZN7rocprim17ROCPRIM_400000_NS6detail17trampoline_kernelINS0_14default_configENS1_35radix_sort_onesweep_config_selectorIbNS0_10empty_typeEEEZZNS1_29radix_sort_onesweep_iterationIS3_Lb1EPKbPbPS5_SB_mNS0_19identity_decomposerENS1_16block_id_wrapperIjLb0EEEEE10hipError_tT1_PNSt15iterator_traitsISG_E10value_typeET2_T3_PNSH_ISM_E10value_typeET4_T5_PSR_SS_PNS1_23onesweep_lookback_stateEbbT6_jjT7_P12ihipStream_tbENKUlT_T0_SG_SL_E_clIS9_SA_SB_SB_EEDaSZ_S10_SG_SL_EUlSZ_E_NS1_11comp_targetILNS1_3genE9ELNS1_11target_archE1100ELNS1_3gpuE3ELNS1_3repE0EEENS1_47radix_sort_onesweep_sort_config_static_selectorELNS0_4arch9wavefront6targetE0EEEvSG_, .Lfunc_end1766-_ZN7rocprim17ROCPRIM_400000_NS6detail17trampoline_kernelINS0_14default_configENS1_35radix_sort_onesweep_config_selectorIbNS0_10empty_typeEEEZZNS1_29radix_sort_onesweep_iterationIS3_Lb1EPKbPbPS5_SB_mNS0_19identity_decomposerENS1_16block_id_wrapperIjLb0EEEEE10hipError_tT1_PNSt15iterator_traitsISG_E10value_typeET2_T3_PNSH_ISM_E10value_typeET4_T5_PSR_SS_PNS1_23onesweep_lookback_stateEbbT6_jjT7_P12ihipStream_tbENKUlT_T0_SG_SL_E_clIS9_SA_SB_SB_EEDaSZ_S10_SG_SL_EUlSZ_E_NS1_11comp_targetILNS1_3genE9ELNS1_11target_archE1100ELNS1_3gpuE3ELNS1_3repE0EEENS1_47radix_sort_onesweep_sort_config_static_selectorELNS0_4arch9wavefront6targetE0EEEvSG_
                                        ; -- End function
	.set _ZN7rocprim17ROCPRIM_400000_NS6detail17trampoline_kernelINS0_14default_configENS1_35radix_sort_onesweep_config_selectorIbNS0_10empty_typeEEEZZNS1_29radix_sort_onesweep_iterationIS3_Lb1EPKbPbPS5_SB_mNS0_19identity_decomposerENS1_16block_id_wrapperIjLb0EEEEE10hipError_tT1_PNSt15iterator_traitsISG_E10value_typeET2_T3_PNSH_ISM_E10value_typeET4_T5_PSR_SS_PNS1_23onesweep_lookback_stateEbbT6_jjT7_P12ihipStream_tbENKUlT_T0_SG_SL_E_clIS9_SA_SB_SB_EEDaSZ_S10_SG_SL_EUlSZ_E_NS1_11comp_targetILNS1_3genE9ELNS1_11target_archE1100ELNS1_3gpuE3ELNS1_3repE0EEENS1_47radix_sort_onesweep_sort_config_static_selectorELNS0_4arch9wavefront6targetE0EEEvSG_.num_vgpr, 0
	.set _ZN7rocprim17ROCPRIM_400000_NS6detail17trampoline_kernelINS0_14default_configENS1_35radix_sort_onesweep_config_selectorIbNS0_10empty_typeEEEZZNS1_29radix_sort_onesweep_iterationIS3_Lb1EPKbPbPS5_SB_mNS0_19identity_decomposerENS1_16block_id_wrapperIjLb0EEEEE10hipError_tT1_PNSt15iterator_traitsISG_E10value_typeET2_T3_PNSH_ISM_E10value_typeET4_T5_PSR_SS_PNS1_23onesweep_lookback_stateEbbT6_jjT7_P12ihipStream_tbENKUlT_T0_SG_SL_E_clIS9_SA_SB_SB_EEDaSZ_S10_SG_SL_EUlSZ_E_NS1_11comp_targetILNS1_3genE9ELNS1_11target_archE1100ELNS1_3gpuE3ELNS1_3repE0EEENS1_47radix_sort_onesweep_sort_config_static_selectorELNS0_4arch9wavefront6targetE0EEEvSG_.num_agpr, 0
	.set _ZN7rocprim17ROCPRIM_400000_NS6detail17trampoline_kernelINS0_14default_configENS1_35radix_sort_onesweep_config_selectorIbNS0_10empty_typeEEEZZNS1_29radix_sort_onesweep_iterationIS3_Lb1EPKbPbPS5_SB_mNS0_19identity_decomposerENS1_16block_id_wrapperIjLb0EEEEE10hipError_tT1_PNSt15iterator_traitsISG_E10value_typeET2_T3_PNSH_ISM_E10value_typeET4_T5_PSR_SS_PNS1_23onesweep_lookback_stateEbbT6_jjT7_P12ihipStream_tbENKUlT_T0_SG_SL_E_clIS9_SA_SB_SB_EEDaSZ_S10_SG_SL_EUlSZ_E_NS1_11comp_targetILNS1_3genE9ELNS1_11target_archE1100ELNS1_3gpuE3ELNS1_3repE0EEENS1_47radix_sort_onesweep_sort_config_static_selectorELNS0_4arch9wavefront6targetE0EEEvSG_.numbered_sgpr, 0
	.set _ZN7rocprim17ROCPRIM_400000_NS6detail17trampoline_kernelINS0_14default_configENS1_35radix_sort_onesweep_config_selectorIbNS0_10empty_typeEEEZZNS1_29radix_sort_onesweep_iterationIS3_Lb1EPKbPbPS5_SB_mNS0_19identity_decomposerENS1_16block_id_wrapperIjLb0EEEEE10hipError_tT1_PNSt15iterator_traitsISG_E10value_typeET2_T3_PNSH_ISM_E10value_typeET4_T5_PSR_SS_PNS1_23onesweep_lookback_stateEbbT6_jjT7_P12ihipStream_tbENKUlT_T0_SG_SL_E_clIS9_SA_SB_SB_EEDaSZ_S10_SG_SL_EUlSZ_E_NS1_11comp_targetILNS1_3genE9ELNS1_11target_archE1100ELNS1_3gpuE3ELNS1_3repE0EEENS1_47radix_sort_onesweep_sort_config_static_selectorELNS0_4arch9wavefront6targetE0EEEvSG_.num_named_barrier, 0
	.set _ZN7rocprim17ROCPRIM_400000_NS6detail17trampoline_kernelINS0_14default_configENS1_35radix_sort_onesweep_config_selectorIbNS0_10empty_typeEEEZZNS1_29radix_sort_onesweep_iterationIS3_Lb1EPKbPbPS5_SB_mNS0_19identity_decomposerENS1_16block_id_wrapperIjLb0EEEEE10hipError_tT1_PNSt15iterator_traitsISG_E10value_typeET2_T3_PNSH_ISM_E10value_typeET4_T5_PSR_SS_PNS1_23onesweep_lookback_stateEbbT6_jjT7_P12ihipStream_tbENKUlT_T0_SG_SL_E_clIS9_SA_SB_SB_EEDaSZ_S10_SG_SL_EUlSZ_E_NS1_11comp_targetILNS1_3genE9ELNS1_11target_archE1100ELNS1_3gpuE3ELNS1_3repE0EEENS1_47radix_sort_onesweep_sort_config_static_selectorELNS0_4arch9wavefront6targetE0EEEvSG_.private_seg_size, 0
	.set _ZN7rocprim17ROCPRIM_400000_NS6detail17trampoline_kernelINS0_14default_configENS1_35radix_sort_onesweep_config_selectorIbNS0_10empty_typeEEEZZNS1_29radix_sort_onesweep_iterationIS3_Lb1EPKbPbPS5_SB_mNS0_19identity_decomposerENS1_16block_id_wrapperIjLb0EEEEE10hipError_tT1_PNSt15iterator_traitsISG_E10value_typeET2_T3_PNSH_ISM_E10value_typeET4_T5_PSR_SS_PNS1_23onesweep_lookback_stateEbbT6_jjT7_P12ihipStream_tbENKUlT_T0_SG_SL_E_clIS9_SA_SB_SB_EEDaSZ_S10_SG_SL_EUlSZ_E_NS1_11comp_targetILNS1_3genE9ELNS1_11target_archE1100ELNS1_3gpuE3ELNS1_3repE0EEENS1_47radix_sort_onesweep_sort_config_static_selectorELNS0_4arch9wavefront6targetE0EEEvSG_.uses_vcc, 0
	.set _ZN7rocprim17ROCPRIM_400000_NS6detail17trampoline_kernelINS0_14default_configENS1_35radix_sort_onesweep_config_selectorIbNS0_10empty_typeEEEZZNS1_29radix_sort_onesweep_iterationIS3_Lb1EPKbPbPS5_SB_mNS0_19identity_decomposerENS1_16block_id_wrapperIjLb0EEEEE10hipError_tT1_PNSt15iterator_traitsISG_E10value_typeET2_T3_PNSH_ISM_E10value_typeET4_T5_PSR_SS_PNS1_23onesweep_lookback_stateEbbT6_jjT7_P12ihipStream_tbENKUlT_T0_SG_SL_E_clIS9_SA_SB_SB_EEDaSZ_S10_SG_SL_EUlSZ_E_NS1_11comp_targetILNS1_3genE9ELNS1_11target_archE1100ELNS1_3gpuE3ELNS1_3repE0EEENS1_47radix_sort_onesweep_sort_config_static_selectorELNS0_4arch9wavefront6targetE0EEEvSG_.uses_flat_scratch, 0
	.set _ZN7rocprim17ROCPRIM_400000_NS6detail17trampoline_kernelINS0_14default_configENS1_35radix_sort_onesweep_config_selectorIbNS0_10empty_typeEEEZZNS1_29radix_sort_onesweep_iterationIS3_Lb1EPKbPbPS5_SB_mNS0_19identity_decomposerENS1_16block_id_wrapperIjLb0EEEEE10hipError_tT1_PNSt15iterator_traitsISG_E10value_typeET2_T3_PNSH_ISM_E10value_typeET4_T5_PSR_SS_PNS1_23onesweep_lookback_stateEbbT6_jjT7_P12ihipStream_tbENKUlT_T0_SG_SL_E_clIS9_SA_SB_SB_EEDaSZ_S10_SG_SL_EUlSZ_E_NS1_11comp_targetILNS1_3genE9ELNS1_11target_archE1100ELNS1_3gpuE3ELNS1_3repE0EEENS1_47radix_sort_onesweep_sort_config_static_selectorELNS0_4arch9wavefront6targetE0EEEvSG_.has_dyn_sized_stack, 0
	.set _ZN7rocprim17ROCPRIM_400000_NS6detail17trampoline_kernelINS0_14default_configENS1_35radix_sort_onesweep_config_selectorIbNS0_10empty_typeEEEZZNS1_29radix_sort_onesweep_iterationIS3_Lb1EPKbPbPS5_SB_mNS0_19identity_decomposerENS1_16block_id_wrapperIjLb0EEEEE10hipError_tT1_PNSt15iterator_traitsISG_E10value_typeET2_T3_PNSH_ISM_E10value_typeET4_T5_PSR_SS_PNS1_23onesweep_lookback_stateEbbT6_jjT7_P12ihipStream_tbENKUlT_T0_SG_SL_E_clIS9_SA_SB_SB_EEDaSZ_S10_SG_SL_EUlSZ_E_NS1_11comp_targetILNS1_3genE9ELNS1_11target_archE1100ELNS1_3gpuE3ELNS1_3repE0EEENS1_47radix_sort_onesweep_sort_config_static_selectorELNS0_4arch9wavefront6targetE0EEEvSG_.has_recursion, 0
	.set _ZN7rocprim17ROCPRIM_400000_NS6detail17trampoline_kernelINS0_14default_configENS1_35radix_sort_onesweep_config_selectorIbNS0_10empty_typeEEEZZNS1_29radix_sort_onesweep_iterationIS3_Lb1EPKbPbPS5_SB_mNS0_19identity_decomposerENS1_16block_id_wrapperIjLb0EEEEE10hipError_tT1_PNSt15iterator_traitsISG_E10value_typeET2_T3_PNSH_ISM_E10value_typeET4_T5_PSR_SS_PNS1_23onesweep_lookback_stateEbbT6_jjT7_P12ihipStream_tbENKUlT_T0_SG_SL_E_clIS9_SA_SB_SB_EEDaSZ_S10_SG_SL_EUlSZ_E_NS1_11comp_targetILNS1_3genE9ELNS1_11target_archE1100ELNS1_3gpuE3ELNS1_3repE0EEENS1_47radix_sort_onesweep_sort_config_static_selectorELNS0_4arch9wavefront6targetE0EEEvSG_.has_indirect_call, 0
	.section	.AMDGPU.csdata,"",@progbits
; Kernel info:
; codeLenInByte = 0
; TotalNumSgprs: 0
; NumVgprs: 0
; ScratchSize: 0
; MemoryBound: 0
; FloatMode: 240
; IeeeMode: 1
; LDSByteSize: 0 bytes/workgroup (compile time only)
; SGPRBlocks: 0
; VGPRBlocks: 0
; NumSGPRsForWavesPerEU: 1
; NumVGPRsForWavesPerEU: 1
; NamedBarCnt: 0
; Occupancy: 16
; WaveLimiterHint : 0
; COMPUTE_PGM_RSRC2:SCRATCH_EN: 0
; COMPUTE_PGM_RSRC2:USER_SGPR: 2
; COMPUTE_PGM_RSRC2:TRAP_HANDLER: 0
; COMPUTE_PGM_RSRC2:TGID_X_EN: 1
; COMPUTE_PGM_RSRC2:TGID_Y_EN: 0
; COMPUTE_PGM_RSRC2:TGID_Z_EN: 0
; COMPUTE_PGM_RSRC2:TIDIG_COMP_CNT: 0
	.section	.text._ZN7rocprim17ROCPRIM_400000_NS6detail17trampoline_kernelINS0_14default_configENS1_35radix_sort_onesweep_config_selectorIbNS0_10empty_typeEEEZZNS1_29radix_sort_onesweep_iterationIS3_Lb1EPKbPbPS5_SB_mNS0_19identity_decomposerENS1_16block_id_wrapperIjLb0EEEEE10hipError_tT1_PNSt15iterator_traitsISG_E10value_typeET2_T3_PNSH_ISM_E10value_typeET4_T5_PSR_SS_PNS1_23onesweep_lookback_stateEbbT6_jjT7_P12ihipStream_tbENKUlT_T0_SG_SL_E_clIS9_SA_SB_SB_EEDaSZ_S10_SG_SL_EUlSZ_E_NS1_11comp_targetILNS1_3genE8ELNS1_11target_archE1030ELNS1_3gpuE2ELNS1_3repE0EEENS1_47radix_sort_onesweep_sort_config_static_selectorELNS0_4arch9wavefront6targetE0EEEvSG_,"axG",@progbits,_ZN7rocprim17ROCPRIM_400000_NS6detail17trampoline_kernelINS0_14default_configENS1_35radix_sort_onesweep_config_selectorIbNS0_10empty_typeEEEZZNS1_29radix_sort_onesweep_iterationIS3_Lb1EPKbPbPS5_SB_mNS0_19identity_decomposerENS1_16block_id_wrapperIjLb0EEEEE10hipError_tT1_PNSt15iterator_traitsISG_E10value_typeET2_T3_PNSH_ISM_E10value_typeET4_T5_PSR_SS_PNS1_23onesweep_lookback_stateEbbT6_jjT7_P12ihipStream_tbENKUlT_T0_SG_SL_E_clIS9_SA_SB_SB_EEDaSZ_S10_SG_SL_EUlSZ_E_NS1_11comp_targetILNS1_3genE8ELNS1_11target_archE1030ELNS1_3gpuE2ELNS1_3repE0EEENS1_47radix_sort_onesweep_sort_config_static_selectorELNS0_4arch9wavefront6targetE0EEEvSG_,comdat
	.protected	_ZN7rocprim17ROCPRIM_400000_NS6detail17trampoline_kernelINS0_14default_configENS1_35radix_sort_onesweep_config_selectorIbNS0_10empty_typeEEEZZNS1_29radix_sort_onesweep_iterationIS3_Lb1EPKbPbPS5_SB_mNS0_19identity_decomposerENS1_16block_id_wrapperIjLb0EEEEE10hipError_tT1_PNSt15iterator_traitsISG_E10value_typeET2_T3_PNSH_ISM_E10value_typeET4_T5_PSR_SS_PNS1_23onesweep_lookback_stateEbbT6_jjT7_P12ihipStream_tbENKUlT_T0_SG_SL_E_clIS9_SA_SB_SB_EEDaSZ_S10_SG_SL_EUlSZ_E_NS1_11comp_targetILNS1_3genE8ELNS1_11target_archE1030ELNS1_3gpuE2ELNS1_3repE0EEENS1_47radix_sort_onesweep_sort_config_static_selectorELNS0_4arch9wavefront6targetE0EEEvSG_ ; -- Begin function _ZN7rocprim17ROCPRIM_400000_NS6detail17trampoline_kernelINS0_14default_configENS1_35radix_sort_onesweep_config_selectorIbNS0_10empty_typeEEEZZNS1_29radix_sort_onesweep_iterationIS3_Lb1EPKbPbPS5_SB_mNS0_19identity_decomposerENS1_16block_id_wrapperIjLb0EEEEE10hipError_tT1_PNSt15iterator_traitsISG_E10value_typeET2_T3_PNSH_ISM_E10value_typeET4_T5_PSR_SS_PNS1_23onesweep_lookback_stateEbbT6_jjT7_P12ihipStream_tbENKUlT_T0_SG_SL_E_clIS9_SA_SB_SB_EEDaSZ_S10_SG_SL_EUlSZ_E_NS1_11comp_targetILNS1_3genE8ELNS1_11target_archE1030ELNS1_3gpuE2ELNS1_3repE0EEENS1_47radix_sort_onesweep_sort_config_static_selectorELNS0_4arch9wavefront6targetE0EEEvSG_
	.globl	_ZN7rocprim17ROCPRIM_400000_NS6detail17trampoline_kernelINS0_14default_configENS1_35radix_sort_onesweep_config_selectorIbNS0_10empty_typeEEEZZNS1_29radix_sort_onesweep_iterationIS3_Lb1EPKbPbPS5_SB_mNS0_19identity_decomposerENS1_16block_id_wrapperIjLb0EEEEE10hipError_tT1_PNSt15iterator_traitsISG_E10value_typeET2_T3_PNSH_ISM_E10value_typeET4_T5_PSR_SS_PNS1_23onesweep_lookback_stateEbbT6_jjT7_P12ihipStream_tbENKUlT_T0_SG_SL_E_clIS9_SA_SB_SB_EEDaSZ_S10_SG_SL_EUlSZ_E_NS1_11comp_targetILNS1_3genE8ELNS1_11target_archE1030ELNS1_3gpuE2ELNS1_3repE0EEENS1_47radix_sort_onesweep_sort_config_static_selectorELNS0_4arch9wavefront6targetE0EEEvSG_
	.p2align	8
	.type	_ZN7rocprim17ROCPRIM_400000_NS6detail17trampoline_kernelINS0_14default_configENS1_35radix_sort_onesweep_config_selectorIbNS0_10empty_typeEEEZZNS1_29radix_sort_onesweep_iterationIS3_Lb1EPKbPbPS5_SB_mNS0_19identity_decomposerENS1_16block_id_wrapperIjLb0EEEEE10hipError_tT1_PNSt15iterator_traitsISG_E10value_typeET2_T3_PNSH_ISM_E10value_typeET4_T5_PSR_SS_PNS1_23onesweep_lookback_stateEbbT6_jjT7_P12ihipStream_tbENKUlT_T0_SG_SL_E_clIS9_SA_SB_SB_EEDaSZ_S10_SG_SL_EUlSZ_E_NS1_11comp_targetILNS1_3genE8ELNS1_11target_archE1030ELNS1_3gpuE2ELNS1_3repE0EEENS1_47radix_sort_onesweep_sort_config_static_selectorELNS0_4arch9wavefront6targetE0EEEvSG_,@function
_ZN7rocprim17ROCPRIM_400000_NS6detail17trampoline_kernelINS0_14default_configENS1_35radix_sort_onesweep_config_selectorIbNS0_10empty_typeEEEZZNS1_29radix_sort_onesweep_iterationIS3_Lb1EPKbPbPS5_SB_mNS0_19identity_decomposerENS1_16block_id_wrapperIjLb0EEEEE10hipError_tT1_PNSt15iterator_traitsISG_E10value_typeET2_T3_PNSH_ISM_E10value_typeET4_T5_PSR_SS_PNS1_23onesweep_lookback_stateEbbT6_jjT7_P12ihipStream_tbENKUlT_T0_SG_SL_E_clIS9_SA_SB_SB_EEDaSZ_S10_SG_SL_EUlSZ_E_NS1_11comp_targetILNS1_3genE8ELNS1_11target_archE1030ELNS1_3gpuE2ELNS1_3repE0EEENS1_47radix_sort_onesweep_sort_config_static_selectorELNS0_4arch9wavefront6targetE0EEEvSG_: ; @_ZN7rocprim17ROCPRIM_400000_NS6detail17trampoline_kernelINS0_14default_configENS1_35radix_sort_onesweep_config_selectorIbNS0_10empty_typeEEEZZNS1_29radix_sort_onesweep_iterationIS3_Lb1EPKbPbPS5_SB_mNS0_19identity_decomposerENS1_16block_id_wrapperIjLb0EEEEE10hipError_tT1_PNSt15iterator_traitsISG_E10value_typeET2_T3_PNSH_ISM_E10value_typeET4_T5_PSR_SS_PNS1_23onesweep_lookback_stateEbbT6_jjT7_P12ihipStream_tbENKUlT_T0_SG_SL_E_clIS9_SA_SB_SB_EEDaSZ_S10_SG_SL_EUlSZ_E_NS1_11comp_targetILNS1_3genE8ELNS1_11target_archE1030ELNS1_3gpuE2ELNS1_3repE0EEENS1_47radix_sort_onesweep_sort_config_static_selectorELNS0_4arch9wavefront6targetE0EEEvSG_
; %bb.0:
	.section	.rodata,"a",@progbits
	.p2align	6, 0x0
	.amdhsa_kernel _ZN7rocprim17ROCPRIM_400000_NS6detail17trampoline_kernelINS0_14default_configENS1_35radix_sort_onesweep_config_selectorIbNS0_10empty_typeEEEZZNS1_29radix_sort_onesweep_iterationIS3_Lb1EPKbPbPS5_SB_mNS0_19identity_decomposerENS1_16block_id_wrapperIjLb0EEEEE10hipError_tT1_PNSt15iterator_traitsISG_E10value_typeET2_T3_PNSH_ISM_E10value_typeET4_T5_PSR_SS_PNS1_23onesweep_lookback_stateEbbT6_jjT7_P12ihipStream_tbENKUlT_T0_SG_SL_E_clIS9_SA_SB_SB_EEDaSZ_S10_SG_SL_EUlSZ_E_NS1_11comp_targetILNS1_3genE8ELNS1_11target_archE1030ELNS1_3gpuE2ELNS1_3repE0EEENS1_47radix_sort_onesweep_sort_config_static_selectorELNS0_4arch9wavefront6targetE0EEEvSG_
		.amdhsa_group_segment_fixed_size 0
		.amdhsa_private_segment_fixed_size 0
		.amdhsa_kernarg_size 88
		.amdhsa_user_sgpr_count 2
		.amdhsa_user_sgpr_dispatch_ptr 0
		.amdhsa_user_sgpr_queue_ptr 0
		.amdhsa_user_sgpr_kernarg_segment_ptr 1
		.amdhsa_user_sgpr_dispatch_id 0
		.amdhsa_user_sgpr_kernarg_preload_length 0
		.amdhsa_user_sgpr_kernarg_preload_offset 0
		.amdhsa_user_sgpr_private_segment_size 0
		.amdhsa_wavefront_size32 1
		.amdhsa_uses_dynamic_stack 0
		.amdhsa_enable_private_segment 0
		.amdhsa_system_sgpr_workgroup_id_x 1
		.amdhsa_system_sgpr_workgroup_id_y 0
		.amdhsa_system_sgpr_workgroup_id_z 0
		.amdhsa_system_sgpr_workgroup_info 0
		.amdhsa_system_vgpr_workitem_id 0
		.amdhsa_next_free_vgpr 1
		.amdhsa_next_free_sgpr 1
		.amdhsa_named_barrier_count 0
		.amdhsa_reserve_vcc 0
		.amdhsa_float_round_mode_32 0
		.amdhsa_float_round_mode_16_64 0
		.amdhsa_float_denorm_mode_32 3
		.amdhsa_float_denorm_mode_16_64 3
		.amdhsa_fp16_overflow 0
		.amdhsa_memory_ordered 1
		.amdhsa_forward_progress 1
		.amdhsa_inst_pref_size 0
		.amdhsa_round_robin_scheduling 0
		.amdhsa_exception_fp_ieee_invalid_op 0
		.amdhsa_exception_fp_denorm_src 0
		.amdhsa_exception_fp_ieee_div_zero 0
		.amdhsa_exception_fp_ieee_overflow 0
		.amdhsa_exception_fp_ieee_underflow 0
		.amdhsa_exception_fp_ieee_inexact 0
		.amdhsa_exception_int_div_zero 0
	.end_amdhsa_kernel
	.section	.text._ZN7rocprim17ROCPRIM_400000_NS6detail17trampoline_kernelINS0_14default_configENS1_35radix_sort_onesweep_config_selectorIbNS0_10empty_typeEEEZZNS1_29radix_sort_onesweep_iterationIS3_Lb1EPKbPbPS5_SB_mNS0_19identity_decomposerENS1_16block_id_wrapperIjLb0EEEEE10hipError_tT1_PNSt15iterator_traitsISG_E10value_typeET2_T3_PNSH_ISM_E10value_typeET4_T5_PSR_SS_PNS1_23onesweep_lookback_stateEbbT6_jjT7_P12ihipStream_tbENKUlT_T0_SG_SL_E_clIS9_SA_SB_SB_EEDaSZ_S10_SG_SL_EUlSZ_E_NS1_11comp_targetILNS1_3genE8ELNS1_11target_archE1030ELNS1_3gpuE2ELNS1_3repE0EEENS1_47radix_sort_onesweep_sort_config_static_selectorELNS0_4arch9wavefront6targetE0EEEvSG_,"axG",@progbits,_ZN7rocprim17ROCPRIM_400000_NS6detail17trampoline_kernelINS0_14default_configENS1_35radix_sort_onesweep_config_selectorIbNS0_10empty_typeEEEZZNS1_29radix_sort_onesweep_iterationIS3_Lb1EPKbPbPS5_SB_mNS0_19identity_decomposerENS1_16block_id_wrapperIjLb0EEEEE10hipError_tT1_PNSt15iterator_traitsISG_E10value_typeET2_T3_PNSH_ISM_E10value_typeET4_T5_PSR_SS_PNS1_23onesweep_lookback_stateEbbT6_jjT7_P12ihipStream_tbENKUlT_T0_SG_SL_E_clIS9_SA_SB_SB_EEDaSZ_S10_SG_SL_EUlSZ_E_NS1_11comp_targetILNS1_3genE8ELNS1_11target_archE1030ELNS1_3gpuE2ELNS1_3repE0EEENS1_47radix_sort_onesweep_sort_config_static_selectorELNS0_4arch9wavefront6targetE0EEEvSG_,comdat
.Lfunc_end1767:
	.size	_ZN7rocprim17ROCPRIM_400000_NS6detail17trampoline_kernelINS0_14default_configENS1_35radix_sort_onesweep_config_selectorIbNS0_10empty_typeEEEZZNS1_29radix_sort_onesweep_iterationIS3_Lb1EPKbPbPS5_SB_mNS0_19identity_decomposerENS1_16block_id_wrapperIjLb0EEEEE10hipError_tT1_PNSt15iterator_traitsISG_E10value_typeET2_T3_PNSH_ISM_E10value_typeET4_T5_PSR_SS_PNS1_23onesweep_lookback_stateEbbT6_jjT7_P12ihipStream_tbENKUlT_T0_SG_SL_E_clIS9_SA_SB_SB_EEDaSZ_S10_SG_SL_EUlSZ_E_NS1_11comp_targetILNS1_3genE8ELNS1_11target_archE1030ELNS1_3gpuE2ELNS1_3repE0EEENS1_47radix_sort_onesweep_sort_config_static_selectorELNS0_4arch9wavefront6targetE0EEEvSG_, .Lfunc_end1767-_ZN7rocprim17ROCPRIM_400000_NS6detail17trampoline_kernelINS0_14default_configENS1_35radix_sort_onesweep_config_selectorIbNS0_10empty_typeEEEZZNS1_29radix_sort_onesweep_iterationIS3_Lb1EPKbPbPS5_SB_mNS0_19identity_decomposerENS1_16block_id_wrapperIjLb0EEEEE10hipError_tT1_PNSt15iterator_traitsISG_E10value_typeET2_T3_PNSH_ISM_E10value_typeET4_T5_PSR_SS_PNS1_23onesweep_lookback_stateEbbT6_jjT7_P12ihipStream_tbENKUlT_T0_SG_SL_E_clIS9_SA_SB_SB_EEDaSZ_S10_SG_SL_EUlSZ_E_NS1_11comp_targetILNS1_3genE8ELNS1_11target_archE1030ELNS1_3gpuE2ELNS1_3repE0EEENS1_47radix_sort_onesweep_sort_config_static_selectorELNS0_4arch9wavefront6targetE0EEEvSG_
                                        ; -- End function
	.set _ZN7rocprim17ROCPRIM_400000_NS6detail17trampoline_kernelINS0_14default_configENS1_35radix_sort_onesweep_config_selectorIbNS0_10empty_typeEEEZZNS1_29radix_sort_onesweep_iterationIS3_Lb1EPKbPbPS5_SB_mNS0_19identity_decomposerENS1_16block_id_wrapperIjLb0EEEEE10hipError_tT1_PNSt15iterator_traitsISG_E10value_typeET2_T3_PNSH_ISM_E10value_typeET4_T5_PSR_SS_PNS1_23onesweep_lookback_stateEbbT6_jjT7_P12ihipStream_tbENKUlT_T0_SG_SL_E_clIS9_SA_SB_SB_EEDaSZ_S10_SG_SL_EUlSZ_E_NS1_11comp_targetILNS1_3genE8ELNS1_11target_archE1030ELNS1_3gpuE2ELNS1_3repE0EEENS1_47radix_sort_onesweep_sort_config_static_selectorELNS0_4arch9wavefront6targetE0EEEvSG_.num_vgpr, 0
	.set _ZN7rocprim17ROCPRIM_400000_NS6detail17trampoline_kernelINS0_14default_configENS1_35radix_sort_onesweep_config_selectorIbNS0_10empty_typeEEEZZNS1_29radix_sort_onesweep_iterationIS3_Lb1EPKbPbPS5_SB_mNS0_19identity_decomposerENS1_16block_id_wrapperIjLb0EEEEE10hipError_tT1_PNSt15iterator_traitsISG_E10value_typeET2_T3_PNSH_ISM_E10value_typeET4_T5_PSR_SS_PNS1_23onesweep_lookback_stateEbbT6_jjT7_P12ihipStream_tbENKUlT_T0_SG_SL_E_clIS9_SA_SB_SB_EEDaSZ_S10_SG_SL_EUlSZ_E_NS1_11comp_targetILNS1_3genE8ELNS1_11target_archE1030ELNS1_3gpuE2ELNS1_3repE0EEENS1_47radix_sort_onesweep_sort_config_static_selectorELNS0_4arch9wavefront6targetE0EEEvSG_.num_agpr, 0
	.set _ZN7rocprim17ROCPRIM_400000_NS6detail17trampoline_kernelINS0_14default_configENS1_35radix_sort_onesweep_config_selectorIbNS0_10empty_typeEEEZZNS1_29radix_sort_onesweep_iterationIS3_Lb1EPKbPbPS5_SB_mNS0_19identity_decomposerENS1_16block_id_wrapperIjLb0EEEEE10hipError_tT1_PNSt15iterator_traitsISG_E10value_typeET2_T3_PNSH_ISM_E10value_typeET4_T5_PSR_SS_PNS1_23onesweep_lookback_stateEbbT6_jjT7_P12ihipStream_tbENKUlT_T0_SG_SL_E_clIS9_SA_SB_SB_EEDaSZ_S10_SG_SL_EUlSZ_E_NS1_11comp_targetILNS1_3genE8ELNS1_11target_archE1030ELNS1_3gpuE2ELNS1_3repE0EEENS1_47radix_sort_onesweep_sort_config_static_selectorELNS0_4arch9wavefront6targetE0EEEvSG_.numbered_sgpr, 0
	.set _ZN7rocprim17ROCPRIM_400000_NS6detail17trampoline_kernelINS0_14default_configENS1_35radix_sort_onesweep_config_selectorIbNS0_10empty_typeEEEZZNS1_29radix_sort_onesweep_iterationIS3_Lb1EPKbPbPS5_SB_mNS0_19identity_decomposerENS1_16block_id_wrapperIjLb0EEEEE10hipError_tT1_PNSt15iterator_traitsISG_E10value_typeET2_T3_PNSH_ISM_E10value_typeET4_T5_PSR_SS_PNS1_23onesweep_lookback_stateEbbT6_jjT7_P12ihipStream_tbENKUlT_T0_SG_SL_E_clIS9_SA_SB_SB_EEDaSZ_S10_SG_SL_EUlSZ_E_NS1_11comp_targetILNS1_3genE8ELNS1_11target_archE1030ELNS1_3gpuE2ELNS1_3repE0EEENS1_47radix_sort_onesweep_sort_config_static_selectorELNS0_4arch9wavefront6targetE0EEEvSG_.num_named_barrier, 0
	.set _ZN7rocprim17ROCPRIM_400000_NS6detail17trampoline_kernelINS0_14default_configENS1_35radix_sort_onesweep_config_selectorIbNS0_10empty_typeEEEZZNS1_29radix_sort_onesweep_iterationIS3_Lb1EPKbPbPS5_SB_mNS0_19identity_decomposerENS1_16block_id_wrapperIjLb0EEEEE10hipError_tT1_PNSt15iterator_traitsISG_E10value_typeET2_T3_PNSH_ISM_E10value_typeET4_T5_PSR_SS_PNS1_23onesweep_lookback_stateEbbT6_jjT7_P12ihipStream_tbENKUlT_T0_SG_SL_E_clIS9_SA_SB_SB_EEDaSZ_S10_SG_SL_EUlSZ_E_NS1_11comp_targetILNS1_3genE8ELNS1_11target_archE1030ELNS1_3gpuE2ELNS1_3repE0EEENS1_47radix_sort_onesweep_sort_config_static_selectorELNS0_4arch9wavefront6targetE0EEEvSG_.private_seg_size, 0
	.set _ZN7rocprim17ROCPRIM_400000_NS6detail17trampoline_kernelINS0_14default_configENS1_35radix_sort_onesweep_config_selectorIbNS0_10empty_typeEEEZZNS1_29radix_sort_onesweep_iterationIS3_Lb1EPKbPbPS5_SB_mNS0_19identity_decomposerENS1_16block_id_wrapperIjLb0EEEEE10hipError_tT1_PNSt15iterator_traitsISG_E10value_typeET2_T3_PNSH_ISM_E10value_typeET4_T5_PSR_SS_PNS1_23onesweep_lookback_stateEbbT6_jjT7_P12ihipStream_tbENKUlT_T0_SG_SL_E_clIS9_SA_SB_SB_EEDaSZ_S10_SG_SL_EUlSZ_E_NS1_11comp_targetILNS1_3genE8ELNS1_11target_archE1030ELNS1_3gpuE2ELNS1_3repE0EEENS1_47radix_sort_onesweep_sort_config_static_selectorELNS0_4arch9wavefront6targetE0EEEvSG_.uses_vcc, 0
	.set _ZN7rocprim17ROCPRIM_400000_NS6detail17trampoline_kernelINS0_14default_configENS1_35radix_sort_onesweep_config_selectorIbNS0_10empty_typeEEEZZNS1_29radix_sort_onesweep_iterationIS3_Lb1EPKbPbPS5_SB_mNS0_19identity_decomposerENS1_16block_id_wrapperIjLb0EEEEE10hipError_tT1_PNSt15iterator_traitsISG_E10value_typeET2_T3_PNSH_ISM_E10value_typeET4_T5_PSR_SS_PNS1_23onesweep_lookback_stateEbbT6_jjT7_P12ihipStream_tbENKUlT_T0_SG_SL_E_clIS9_SA_SB_SB_EEDaSZ_S10_SG_SL_EUlSZ_E_NS1_11comp_targetILNS1_3genE8ELNS1_11target_archE1030ELNS1_3gpuE2ELNS1_3repE0EEENS1_47radix_sort_onesweep_sort_config_static_selectorELNS0_4arch9wavefront6targetE0EEEvSG_.uses_flat_scratch, 0
	.set _ZN7rocprim17ROCPRIM_400000_NS6detail17trampoline_kernelINS0_14default_configENS1_35radix_sort_onesweep_config_selectorIbNS0_10empty_typeEEEZZNS1_29radix_sort_onesweep_iterationIS3_Lb1EPKbPbPS5_SB_mNS0_19identity_decomposerENS1_16block_id_wrapperIjLb0EEEEE10hipError_tT1_PNSt15iterator_traitsISG_E10value_typeET2_T3_PNSH_ISM_E10value_typeET4_T5_PSR_SS_PNS1_23onesweep_lookback_stateEbbT6_jjT7_P12ihipStream_tbENKUlT_T0_SG_SL_E_clIS9_SA_SB_SB_EEDaSZ_S10_SG_SL_EUlSZ_E_NS1_11comp_targetILNS1_3genE8ELNS1_11target_archE1030ELNS1_3gpuE2ELNS1_3repE0EEENS1_47radix_sort_onesweep_sort_config_static_selectorELNS0_4arch9wavefront6targetE0EEEvSG_.has_dyn_sized_stack, 0
	.set _ZN7rocprim17ROCPRIM_400000_NS6detail17trampoline_kernelINS0_14default_configENS1_35radix_sort_onesweep_config_selectorIbNS0_10empty_typeEEEZZNS1_29radix_sort_onesweep_iterationIS3_Lb1EPKbPbPS5_SB_mNS0_19identity_decomposerENS1_16block_id_wrapperIjLb0EEEEE10hipError_tT1_PNSt15iterator_traitsISG_E10value_typeET2_T3_PNSH_ISM_E10value_typeET4_T5_PSR_SS_PNS1_23onesweep_lookback_stateEbbT6_jjT7_P12ihipStream_tbENKUlT_T0_SG_SL_E_clIS9_SA_SB_SB_EEDaSZ_S10_SG_SL_EUlSZ_E_NS1_11comp_targetILNS1_3genE8ELNS1_11target_archE1030ELNS1_3gpuE2ELNS1_3repE0EEENS1_47radix_sort_onesweep_sort_config_static_selectorELNS0_4arch9wavefront6targetE0EEEvSG_.has_recursion, 0
	.set _ZN7rocprim17ROCPRIM_400000_NS6detail17trampoline_kernelINS0_14default_configENS1_35radix_sort_onesweep_config_selectorIbNS0_10empty_typeEEEZZNS1_29radix_sort_onesweep_iterationIS3_Lb1EPKbPbPS5_SB_mNS0_19identity_decomposerENS1_16block_id_wrapperIjLb0EEEEE10hipError_tT1_PNSt15iterator_traitsISG_E10value_typeET2_T3_PNSH_ISM_E10value_typeET4_T5_PSR_SS_PNS1_23onesweep_lookback_stateEbbT6_jjT7_P12ihipStream_tbENKUlT_T0_SG_SL_E_clIS9_SA_SB_SB_EEDaSZ_S10_SG_SL_EUlSZ_E_NS1_11comp_targetILNS1_3genE8ELNS1_11target_archE1030ELNS1_3gpuE2ELNS1_3repE0EEENS1_47radix_sort_onesweep_sort_config_static_selectorELNS0_4arch9wavefront6targetE0EEEvSG_.has_indirect_call, 0
	.section	.AMDGPU.csdata,"",@progbits
; Kernel info:
; codeLenInByte = 0
; TotalNumSgprs: 0
; NumVgprs: 0
; ScratchSize: 0
; MemoryBound: 0
; FloatMode: 240
; IeeeMode: 1
; LDSByteSize: 0 bytes/workgroup (compile time only)
; SGPRBlocks: 0
; VGPRBlocks: 0
; NumSGPRsForWavesPerEU: 1
; NumVGPRsForWavesPerEU: 1
; NamedBarCnt: 0
; Occupancy: 16
; WaveLimiterHint : 0
; COMPUTE_PGM_RSRC2:SCRATCH_EN: 0
; COMPUTE_PGM_RSRC2:USER_SGPR: 2
; COMPUTE_PGM_RSRC2:TRAP_HANDLER: 0
; COMPUTE_PGM_RSRC2:TGID_X_EN: 1
; COMPUTE_PGM_RSRC2:TGID_Y_EN: 0
; COMPUTE_PGM_RSRC2:TGID_Z_EN: 0
; COMPUTE_PGM_RSRC2:TIDIG_COMP_CNT: 0
	.section	.text._ZN7rocprim17ROCPRIM_400000_NS6detail17trampoline_kernelINS0_14default_configENS1_35radix_sort_onesweep_config_selectorIbNS0_10empty_typeEEEZZNS1_29radix_sort_onesweep_iterationIS3_Lb1EPKbPbPS5_SB_mNS0_19identity_decomposerENS1_16block_id_wrapperIjLb0EEEEE10hipError_tT1_PNSt15iterator_traitsISG_E10value_typeET2_T3_PNSH_ISM_E10value_typeET4_T5_PSR_SS_PNS1_23onesweep_lookback_stateEbbT6_jjT7_P12ihipStream_tbENKUlT_T0_SG_SL_E_clISA_SA_SB_SB_EEDaSZ_S10_SG_SL_EUlSZ_E_NS1_11comp_targetILNS1_3genE0ELNS1_11target_archE4294967295ELNS1_3gpuE0ELNS1_3repE0EEENS1_47radix_sort_onesweep_sort_config_static_selectorELNS0_4arch9wavefront6targetE0EEEvSG_,"axG",@progbits,_ZN7rocprim17ROCPRIM_400000_NS6detail17trampoline_kernelINS0_14default_configENS1_35radix_sort_onesweep_config_selectorIbNS0_10empty_typeEEEZZNS1_29radix_sort_onesweep_iterationIS3_Lb1EPKbPbPS5_SB_mNS0_19identity_decomposerENS1_16block_id_wrapperIjLb0EEEEE10hipError_tT1_PNSt15iterator_traitsISG_E10value_typeET2_T3_PNSH_ISM_E10value_typeET4_T5_PSR_SS_PNS1_23onesweep_lookback_stateEbbT6_jjT7_P12ihipStream_tbENKUlT_T0_SG_SL_E_clISA_SA_SB_SB_EEDaSZ_S10_SG_SL_EUlSZ_E_NS1_11comp_targetILNS1_3genE0ELNS1_11target_archE4294967295ELNS1_3gpuE0ELNS1_3repE0EEENS1_47radix_sort_onesweep_sort_config_static_selectorELNS0_4arch9wavefront6targetE0EEEvSG_,comdat
	.protected	_ZN7rocprim17ROCPRIM_400000_NS6detail17trampoline_kernelINS0_14default_configENS1_35radix_sort_onesweep_config_selectorIbNS0_10empty_typeEEEZZNS1_29radix_sort_onesweep_iterationIS3_Lb1EPKbPbPS5_SB_mNS0_19identity_decomposerENS1_16block_id_wrapperIjLb0EEEEE10hipError_tT1_PNSt15iterator_traitsISG_E10value_typeET2_T3_PNSH_ISM_E10value_typeET4_T5_PSR_SS_PNS1_23onesweep_lookback_stateEbbT6_jjT7_P12ihipStream_tbENKUlT_T0_SG_SL_E_clISA_SA_SB_SB_EEDaSZ_S10_SG_SL_EUlSZ_E_NS1_11comp_targetILNS1_3genE0ELNS1_11target_archE4294967295ELNS1_3gpuE0ELNS1_3repE0EEENS1_47radix_sort_onesweep_sort_config_static_selectorELNS0_4arch9wavefront6targetE0EEEvSG_ ; -- Begin function _ZN7rocprim17ROCPRIM_400000_NS6detail17trampoline_kernelINS0_14default_configENS1_35radix_sort_onesweep_config_selectorIbNS0_10empty_typeEEEZZNS1_29radix_sort_onesweep_iterationIS3_Lb1EPKbPbPS5_SB_mNS0_19identity_decomposerENS1_16block_id_wrapperIjLb0EEEEE10hipError_tT1_PNSt15iterator_traitsISG_E10value_typeET2_T3_PNSH_ISM_E10value_typeET4_T5_PSR_SS_PNS1_23onesweep_lookback_stateEbbT6_jjT7_P12ihipStream_tbENKUlT_T0_SG_SL_E_clISA_SA_SB_SB_EEDaSZ_S10_SG_SL_EUlSZ_E_NS1_11comp_targetILNS1_3genE0ELNS1_11target_archE4294967295ELNS1_3gpuE0ELNS1_3repE0EEENS1_47radix_sort_onesweep_sort_config_static_selectorELNS0_4arch9wavefront6targetE0EEEvSG_
	.globl	_ZN7rocprim17ROCPRIM_400000_NS6detail17trampoline_kernelINS0_14default_configENS1_35radix_sort_onesweep_config_selectorIbNS0_10empty_typeEEEZZNS1_29radix_sort_onesweep_iterationIS3_Lb1EPKbPbPS5_SB_mNS0_19identity_decomposerENS1_16block_id_wrapperIjLb0EEEEE10hipError_tT1_PNSt15iterator_traitsISG_E10value_typeET2_T3_PNSH_ISM_E10value_typeET4_T5_PSR_SS_PNS1_23onesweep_lookback_stateEbbT6_jjT7_P12ihipStream_tbENKUlT_T0_SG_SL_E_clISA_SA_SB_SB_EEDaSZ_S10_SG_SL_EUlSZ_E_NS1_11comp_targetILNS1_3genE0ELNS1_11target_archE4294967295ELNS1_3gpuE0ELNS1_3repE0EEENS1_47radix_sort_onesweep_sort_config_static_selectorELNS0_4arch9wavefront6targetE0EEEvSG_
	.p2align	8
	.type	_ZN7rocprim17ROCPRIM_400000_NS6detail17trampoline_kernelINS0_14default_configENS1_35radix_sort_onesweep_config_selectorIbNS0_10empty_typeEEEZZNS1_29radix_sort_onesweep_iterationIS3_Lb1EPKbPbPS5_SB_mNS0_19identity_decomposerENS1_16block_id_wrapperIjLb0EEEEE10hipError_tT1_PNSt15iterator_traitsISG_E10value_typeET2_T3_PNSH_ISM_E10value_typeET4_T5_PSR_SS_PNS1_23onesweep_lookback_stateEbbT6_jjT7_P12ihipStream_tbENKUlT_T0_SG_SL_E_clISA_SA_SB_SB_EEDaSZ_S10_SG_SL_EUlSZ_E_NS1_11comp_targetILNS1_3genE0ELNS1_11target_archE4294967295ELNS1_3gpuE0ELNS1_3repE0EEENS1_47radix_sort_onesweep_sort_config_static_selectorELNS0_4arch9wavefront6targetE0EEEvSG_,@function
_ZN7rocprim17ROCPRIM_400000_NS6detail17trampoline_kernelINS0_14default_configENS1_35radix_sort_onesweep_config_selectorIbNS0_10empty_typeEEEZZNS1_29radix_sort_onesweep_iterationIS3_Lb1EPKbPbPS5_SB_mNS0_19identity_decomposerENS1_16block_id_wrapperIjLb0EEEEE10hipError_tT1_PNSt15iterator_traitsISG_E10value_typeET2_T3_PNSH_ISM_E10value_typeET4_T5_PSR_SS_PNS1_23onesweep_lookback_stateEbbT6_jjT7_P12ihipStream_tbENKUlT_T0_SG_SL_E_clISA_SA_SB_SB_EEDaSZ_S10_SG_SL_EUlSZ_E_NS1_11comp_targetILNS1_3genE0ELNS1_11target_archE4294967295ELNS1_3gpuE0ELNS1_3repE0EEENS1_47radix_sort_onesweep_sort_config_static_selectorELNS0_4arch9wavefront6targetE0EEEvSG_: ; @_ZN7rocprim17ROCPRIM_400000_NS6detail17trampoline_kernelINS0_14default_configENS1_35radix_sort_onesweep_config_selectorIbNS0_10empty_typeEEEZZNS1_29radix_sort_onesweep_iterationIS3_Lb1EPKbPbPS5_SB_mNS0_19identity_decomposerENS1_16block_id_wrapperIjLb0EEEEE10hipError_tT1_PNSt15iterator_traitsISG_E10value_typeET2_T3_PNSH_ISM_E10value_typeET4_T5_PSR_SS_PNS1_23onesweep_lookback_stateEbbT6_jjT7_P12ihipStream_tbENKUlT_T0_SG_SL_E_clISA_SA_SB_SB_EEDaSZ_S10_SG_SL_EUlSZ_E_NS1_11comp_targetILNS1_3genE0ELNS1_11target_archE4294967295ELNS1_3gpuE0ELNS1_3repE0EEENS1_47radix_sort_onesweep_sort_config_static_selectorELNS0_4arch9wavefront6targetE0EEEvSG_
; %bb.0:
	s_clause 0x3
	s_load_b96 s[16:18], s[0:1], 0x44
	s_load_b64 s[20:21], s[0:1], 0x38
	s_load_b128 s[12:15], s[0:1], 0x0
	s_load_b128 s[8:11], s[0:1], 0x28
	s_bfe_u32 s2, ttmp6, 0x4000c
	s_and_b32 s3, ttmp6, 15
	s_add_co_i32 s2, s2, 1
	s_getreg_b32 s4, hwreg(HW_REG_IB_STS2, 6, 4)
	s_mul_i32 s2, ttmp9, s2
	v_mul_u32_u24_e32 v6, 22, v0
	s_add_co_i32 s3, s3, s2
	s_cmp_eq_u32 s4, 0
	s_mov_b32 s23, 0
	s_cselect_b32 s19, ttmp9, s3
	s_mov_b32 s2, -1
	s_mul_i32 s22, s19, 0x5800
	s_wait_kmcnt 0x0
	s_cmp_ge_u32 s19, s18
	s_cbranch_scc0 .LBB1768_112
; %bb.1:
	s_load_b32 s4, s[0:1], 0x20
	v_dual_mov_b32 v7, 0 :: v_dual_mov_b32 v24, 0
	s_add_nc_u64 s[2:3], s[12:13], s[22:23]
	v_dual_mov_b32 v23, 0 :: v_dual_mov_b32 v22, 0
	s_delay_alu instid0(VALU_DEP_2)
	v_add_nc_u64_e32 v[2:3], s[2:3], v[6:7]
	v_dual_mov_b32 v21, 0 :: v_dual_mov_b32 v20, 0
	v_dual_mov_b32 v19, 0 :: v_dual_mov_b32 v18, 0
	;; [unrolled: 1-line block ×8, first 2 shown]
	v_mov_b32_e32 v1, 0
	s_mul_i32 s5, s18, 0xffffa800
	s_mov_b32 s2, exec_lo
	s_wait_kmcnt 0x0
	s_add_co_i32 s18, s4, s5
	s_delay_alu instid0(SALU_CYCLE_1)
	v_cmpx_gt_u32_e64 s18, v6
	s_cbranch_execz .LBB1768_3
; %bb.2:
	global_load_u8 v24, v[2:3], off
	v_dual_mov_b32 v23, 0 :: v_dual_mov_b32 v22, 0
	v_dual_mov_b32 v21, 0 :: v_dual_mov_b32 v20, 0
	;; [unrolled: 1-line block ×9, first 2 shown]
	v_mov_b32_e32 v1, 0
.LBB1768_3:
	s_wait_xcnt 0x0
	s_or_b32 exec_lo, exec_lo, s2
	v_or_b32_e32 v25, 1, v6
	s_delay_alu instid0(VALU_DEP_1)
	v_cmp_gt_u32_e32 vcc_lo, s18, v25
	v_mov_b32_e32 v25, v7
	s_and_saveexec_b32 s2, vcc_lo
	s_cbranch_execz .LBB1768_5
; %bb.4:
	global_load_u8 v25, v[2:3], off offset:1
.LBB1768_5:
	s_wait_xcnt 0x0
	s_or_b32 exec_lo, exec_lo, s2
	v_add_nc_u32_e32 v26, 2, v6
	s_mov_b32 s2, exec_lo
	s_delay_alu instid0(VALU_DEP_1)
	v_cmpx_gt_u32_e64 s18, v26
	s_cbranch_execz .LBB1768_7
; %bb.6:
	global_load_u8 v7, v[2:3], off offset:2
.LBB1768_7:
	s_wait_xcnt 0x0
	s_or_b32 exec_lo, exec_lo, s2
	v_add_nc_u32_e32 v26, 3, v6
	s_mov_b32 s2, exec_lo
	s_delay_alu instid0(VALU_DEP_1)
	v_cmpx_gt_u32_e64 s18, v26
	;; [unrolled: 10-line block ×20, first 2 shown]
	s_cbranch_execz .LBB1768_45
; %bb.44:
	global_load_u8 v1, v[2:3], off offset:21
.LBB1768_45:
	s_wait_xcnt 0x0
	s_or_b32 exec_lo, exec_lo, s2
	s_wait_loadcnt 0x0
	v_dual_mov_b32 v63, 0 :: v_dual_bitop2_b32 v2, 1, v24 bitop3:0x40
	s_lshl_b32 s23, -1, s17
	v_and_b32_e32 v7, 1, v7
	v_and_b32_e32 v23, 1, v23
	s_delay_alu instid0(VALU_DEP_3)
	v_cmp_eq_u32_e32 vcc_lo, 1, v2
	v_and_b32_e32 v20, 1, v20
	v_and_b32_e32 v18, 1, v18
	;; [unrolled: 1-line block ×4, first 2 shown]
	s_xor_b32 s2, vcc_lo, -1
	v_and_b32_e32 v12, 1, v12
	v_cndmask_b32_e64 v24, 0, 1, s2
	v_and_b32_e32 v10, 1, v10
	v_and_b32_e32 v8, 1, v8
	;; [unrolled: 1-line block ×3, first 2 shown]
	s_delay_alu instid0(VALU_DEP_4) | instskip(SKIP_3) | instid1(VALU_DEP_4)
	v_dual_lshrrev_b32 v2, s16, v24 :: v_dual_bitop2_b32 v3, 1, v25 bitop3:0x40
	v_and_b32_e32 v22, 1, v22
	v_and_b32_e32 v21, 1, v21
	;; [unrolled: 1-line block ×3, first 2 shown]
	v_cmp_eq_u32_e32 vcc_lo, 1, v3
	v_bitop3_b32 v2, v2, s23, v2 bitop3:0x30
	v_and_b32_e32 v17, 1, v17
	v_and_b32_e32 v15, 1, v15
	;; [unrolled: 1-line block ×3, first 2 shown]
	s_xor_b32 s2, vcc_lo, -1
	v_cmp_eq_u32_e32 vcc_lo, 1, v7
	v_cndmask_b32_e64 v25, 0, 1, s2
	v_dual_lshlrev_b32 v61, 2, v0 :: v_dual_bitop2_b32 v11, 1, v11 bitop3:0x40
	v_and_b32_e32 v9, 1, v9
	s_xor_b32 s2, vcc_lo, -1
	s_delay_alu instid0(VALU_DEP_3) | instskip(NEXT) | instid1(VALU_DEP_3)
	v_lshrrev_b32_e32 v3, s16, v25
	v_lshl_or_b32 v2, v2, 12, v61
	ds_store_2addr_stride64_b32 v61, v63, v63 offset1:16
	v_cndmask_b32_e64 v7, 0, 1, s2
	v_cmp_eq_u32_e32 vcc_lo, 1, v23
	v_bitop3_b32 v3, v3, s23, v3 bitop3:0x30
	ds_load_u16 v26, v2
	v_dual_lshrrev_b32 v28, s16, v7 :: v_dual_bitop2_b32 v5, 1, v5 bitop3:0x40
	s_xor_b32 s2, vcc_lo, -1
	v_lshl_or_b32 v3, v3, 12, v61
	v_cndmask_b32_e64 v23, 0, 1, s2
	v_cmp_eq_u32_e32 vcc_lo, 1, v22
	v_bitop3_b32 v28, v28, s23, v28 bitop3:0x30
	v_and_b32_e32 v1, 1, v1
	s_xor_b32 s2, vcc_lo, -1
	s_delay_alu instid0(VALU_DEP_2)
	v_lshl_or_b32 v37, v28, 12, v61
	v_cndmask_b32_e64 v22, 0, 1, s2
	v_cmp_eq_u32_e32 vcc_lo, 1, v21
	s_xor_b32 s2, vcc_lo, -1
	s_wait_dscnt 0x0
	v_add_nc_u16 v27, v26, 1
	v_cndmask_b32_e64 v21, 0, 1, s2
	v_cmp_eq_u32_e32 vcc_lo, 1, v20
	ds_store_b16 v2, v27
	ds_load_u16 v27, v3
	s_xor_b32 s2, vcc_lo, -1
	v_cmp_eq_u32_e32 vcc_lo, 1, v19
	v_cndmask_b32_e64 v20, 0, 1, s2
	s_xor_b32 s2, vcc_lo, -1
	v_cmp_eq_u32_e32 vcc_lo, 1, v18
	v_cndmask_b32_e64 v19, 0, 1, s2
	;; [unrolled: 3-line block ×3, first 2 shown]
	s_xor_b32 s2, vcc_lo, -1
	s_wait_dscnt 0x0
	v_add_nc_u16 v29, v27, 1
	v_cndmask_b32_e64 v17, 0, 1, s2
	v_cmp_eq_u32_e32 vcc_lo, 1, v16
	ds_store_b16 v3, v29
	ds_load_u16 v28, v37
	v_lshrrev_b32_e32 v29, s16, v23
	s_xor_b32 s2, vcc_lo, -1
	v_cmp_eq_u32_e32 vcc_lo, 1, v15
	v_cndmask_b32_e64 v16, 0, 1, s2
	s_delay_alu instid0(VALU_DEP_3) | instskip(SKIP_3) | instid1(VALU_DEP_3)
	v_bitop3_b32 v29, v29, s23, v29 bitop3:0x30
	s_xor_b32 s2, vcc_lo, -1
	v_cmp_eq_u32_e32 vcc_lo, 1, v14
	v_cndmask_b32_e64 v15, 0, 1, s2
	v_lshl_or_b32 v40, v29, 12, v61
	s_xor_b32 s2, vcc_lo, -1
	v_cmp_eq_u32_e32 vcc_lo, 1, v13
	v_cndmask_b32_e64 v14, 0, 1, s2
	s_wait_dscnt 0x0
	v_add_nc_u16 v30, v28, 1
	s_xor_b32 s2, vcc_lo, -1
	v_cmp_eq_u32_e32 vcc_lo, 1, v12
	v_cndmask_b32_e64 v13, 0, 1, s2
	ds_store_b16 v37, v30
	ds_load_u16 v29, v40
	v_lshrrev_b32_e32 v30, s16, v22
	s_xor_b32 s2, vcc_lo, -1
	v_cmp_eq_u32_e32 vcc_lo, 1, v11
	v_cndmask_b32_e64 v12, 0, 1, s2
	s_delay_alu instid0(VALU_DEP_3) | instskip(SKIP_3) | instid1(VALU_DEP_3)
	v_bitop3_b32 v30, v30, s23, v30 bitop3:0x30
	s_xor_b32 s2, vcc_lo, -1
	v_cmp_eq_u32_e32 vcc_lo, 1, v10
	v_cndmask_b32_e64 v11, 0, 1, s2
	v_lshl_or_b32 v43, v30, 12, v61
	s_xor_b32 s2, vcc_lo, -1
	v_cmp_eq_u32_e32 vcc_lo, 1, v9
	v_cndmask_b32_e64 v10, 0, 1, s2
	s_wait_dscnt 0x0
	v_add_nc_u16 v31, v29, 1
	s_xor_b32 s2, vcc_lo, -1
	v_cmp_eq_u32_e32 vcc_lo, 1, v8
	v_cndmask_b32_e64 v9, 0, 1, s2
	ds_store_b16 v40, v31
	ds_load_u16 v30, v43
	v_lshrrev_b32_e32 v31, s16, v21
	s_xor_b32 s2, vcc_lo, -1
	v_cmp_eq_u32_e32 vcc_lo, 1, v5
	v_cndmask_b32_e64 v8, 0, 1, s2
	s_delay_alu instid0(VALU_DEP_3) | instskip(SKIP_2) | instid1(VALU_DEP_2)
	v_bitop3_b32 v31, v31, s23, v31 bitop3:0x30
	s_xor_b32 s2, vcc_lo, -1
	v_cmp_eq_u32_e32 vcc_lo, 1, v45
	v_lshl_or_b32 v46, v31, 12, v61
	s_wait_dscnt 0x0
	v_add_nc_u16 v32, v30, 1
	ds_store_b16 v43, v32
	ds_load_u16 v31, v46
	v_lshrrev_b32_e32 v32, s16, v20
	s_delay_alu instid0(VALU_DEP_1) | instskip(NEXT) | instid1(VALU_DEP_1)
	v_bitop3_b32 v32, v32, s23, v32 bitop3:0x30
	v_lshl_or_b32 v48, v32, 12, v61
	s_wait_dscnt 0x0
	v_add_nc_u16 v33, v31, 1
	ds_store_b16 v46, v33
	ds_load_u16 v32, v48
	v_lshrrev_b32_e32 v33, s16, v19
	s_delay_alu instid0(VALU_DEP_1) | instskip(NEXT) | instid1(VALU_DEP_1)
	v_bitop3_b32 v33, v33, s23, v33 bitop3:0x30
	;; [unrolled: 8-line block ×7, first 2 shown]
	v_lshl_or_b32 v58, v39, 12, v61
	v_lshrrev_b32_e32 v39, s16, v13
	s_delay_alu instid0(VALU_DEP_1) | instskip(SKIP_2) | instid1(VALU_DEP_2)
	v_bitop3_b32 v39, v39, s23, v39 bitop3:0x30
	s_wait_dscnt 0x0
	v_add_nc_u16 v41, v38, 1
	v_lshl_or_b32 v60, v39, 12, v61
	v_lshrrev_b32_e32 v39, s16, v12
	ds_store_b16 v57, v41
	ds_load_u16 v41, v58
	v_bitop3_b32 v39, v39, s23, v39 bitop3:0x30
	s_delay_alu instid0(VALU_DEP_1) | instskip(SKIP_1) | instid1(VALU_DEP_1)
	v_lshl_or_b32 v62, v39, 12, v61
	v_lshrrev_b32_e32 v39, s16, v11
	v_bitop3_b32 v39, v39, s23, v39 bitop3:0x30
	s_delay_alu instid0(VALU_DEP_1) | instskip(SKIP_3) | instid1(VALU_DEP_2)
	v_lshl_or_b32 v64, v39, 12, v61
	v_lshrrev_b32_e32 v39, s16, v10
	s_wait_dscnt 0x0
	v_add_nc_u16 v42, v41, 1
	v_bitop3_b32 v39, v39, s23, v39 bitop3:0x30
	ds_store_b16 v58, v42
	ds_load_u16 v44, v60
	v_lshl_or_b32 v65, v39, 12, v61
	v_lshrrev_b32_e32 v39, s16, v9
	s_delay_alu instid0(VALU_DEP_1) | instskip(NEXT) | instid1(VALU_DEP_1)
	v_bitop3_b32 v39, v39, s23, v39 bitop3:0x30
	v_lshl_or_b32 v66, v39, 12, v61
	v_lshrrev_b32_e32 v39, s16, v8
	s_wait_dscnt 0x0
	v_add_nc_u16 v42, v44, 1
	s_delay_alu instid0(VALU_DEP_2)
	v_bitop3_b32 v39, v39, s23, v39 bitop3:0x30
	ds_store_b16 v60, v42
	ds_load_u16 v47, v62
	v_lshl_or_b32 v67, v39, 12, v61
	v_cndmask_b32_e64 v39, 0, 1, s2
	s_xor_b32 s2, vcc_lo, -1
	v_cmp_eq_u32_e32 vcc_lo, 1, v1
	s_wait_dscnt 0x0
	v_add_nc_u16 v42, v47, 1
	ds_store_b16 v62, v42
	ds_load_u16 v49, v64
	s_wait_dscnt 0x0
	v_add_nc_u16 v42, v49, 1
	ds_store_b16 v64, v42
	ds_load_u16 v51, v65
	;; [unrolled: 4-line block ×4, first 2 shown]
	v_lshrrev_b32_e32 v42, s16, v39
	s_delay_alu instid0(VALU_DEP_1) | instskip(NEXT) | instid1(VALU_DEP_1)
	v_bitop3_b32 v42, v42, s23, v42 bitop3:0x30
	v_lshl_or_b32 v4, v42, 12, v61
	v_cndmask_b32_e64 v42, 0, 1, s2
	s_xor_b32 s2, vcc_lo, -1
	s_delay_alu instid0(VALU_DEP_1) | instskip(SKIP_2) | instid1(VALU_DEP_2)
	v_lshrrev_b32_e32 v45, s16, v42
	s_wait_dscnt 0x0
	v_add_nc_u16 v56, v5, 1
	v_bitop3_b32 v45, v45, s23, v45 bitop3:0x30
	ds_store_b16 v67, v56
	ds_load_u16 v56, v4
	v_lshl_or_b32 v68, v45, 12, v61
	v_cndmask_b32_e64 v45, 0, 1, s2
	s_wait_dscnt 0x0
	v_add_nc_u16 v59, v56, 1
	ds_store_b16 v4, v59
	ds_load_u16 v1, v68
	v_lshrrev_b32_e32 v59, s16, v45
	s_wait_dscnt 0x0
	v_add_nc_u16 v70, v1, 1
	ds_store_b16 v68, v70
	v_lshlrev_b32_e32 v70, 5, v0
	v_bitop3_b32 v59, v59, s23, v59 bitop3:0x30
	s_delay_alu instid0(VALU_DEP_1)
	v_lshl_or_b32 v69, v59, 12, v61
	ds_load_u16 v59, v69
	s_wait_dscnt 0x0
	v_add_nc_u16 v71, v59, 1
	ds_store_2addr_stride64_b32 v61, v63, v63 offset0:32 offset1:48
	ds_store_2addr_stride64_b32 v61, v63, v63 offset0:64 offset1:80
	;; [unrolled: 1-line block ×3, first 2 shown]
	ds_store_b16 v69, v71
	s_wait_dscnt 0x0
	s_barrier_signal -1
	s_barrier_wait -1
	ds_load_2addr_b64 v[72:75], v70 offset1:1
	ds_load_2addr_b64 v[76:79], v70 offset0:2 offset1:3
	s_wait_dscnt 0x1
	v_add_nc_u32_e32 v61, v73, v72
	s_delay_alu instid0(VALU_DEP_1) | instskip(SKIP_1) | instid1(VALU_DEP_1)
	v_add3_u32 v61, v61, v74, v75
	s_wait_dscnt 0x0
	v_add3_u32 v61, v61, v76, v77
	s_delay_alu instid0(VALU_DEP_1) | instskip(SKIP_1) | instid1(VALU_DEP_2)
	v_add3_u32 v63, v61, v78, v79
	v_mbcnt_lo_u32_b32 v61, -1, 0
	v_mov_b32_dpp v72, v63 row_shr:1 row_mask:0xf bank_mask:0xf
	s_delay_alu instid0(VALU_DEP_2) | instskip(SKIP_1) | instid1(VALU_DEP_2)
	v_and_b32_e32 v71, 15, v61
	v_bfe_i32 v73, v61, 4, 1
	v_cmp_eq_u32_e32 vcc_lo, 0, v71
	v_cmp_lt_u32_e64 s2, 1, v71
	v_cndmask_b32_e64 v72, v72, 0, vcc_lo
	s_delay_alu instid0(VALU_DEP_1) | instskip(NEXT) | instid1(VALU_DEP_1)
	v_add_nc_u32_e32 v63, v72, v63
	v_mov_b32_dpp v72, v63 row_shr:2 row_mask:0xf bank_mask:0xf
	s_delay_alu instid0(VALU_DEP_1) | instskip(NEXT) | instid1(VALU_DEP_1)
	v_cndmask_b32_e64 v72, 0, v72, s2
	v_add_nc_u32_e32 v63, v63, v72
	v_cmp_lt_u32_e64 s3, 3, v71
	v_cmp_lt_u32_e64 s4, 7, v71
	s_delay_alu instid0(VALU_DEP_3) | instskip(NEXT) | instid1(VALU_DEP_1)
	v_mov_b32_dpp v72, v63 row_shr:4 row_mask:0xf bank_mask:0xf
	v_cndmask_b32_e64 v72, 0, v72, s3
	s_delay_alu instid0(VALU_DEP_1) | instskip(NEXT) | instid1(VALU_DEP_1)
	v_add_nc_u32_e32 v63, v63, v72
	v_mov_b32_dpp v72, v63 row_shr:8 row_mask:0xf bank_mask:0xf
	s_delay_alu instid0(VALU_DEP_1) | instskip(NEXT) | instid1(VALU_DEP_1)
	v_cndmask_b32_e64 v71, 0, v72, s4
	v_dual_add_nc_u32 v63, v63, v71 :: v_dual_bitop2_b32 v72, 31, v0 bitop3:0x40
	ds_swizzle_b32 v71, v63 offset:swizzle(BROADCAST,32,15)
	s_wait_dscnt 0x0
	v_dual_lshrrev_b32 v73, 5, v0 :: v_dual_bitop2_b32 v71, v73, v71 bitop3:0x40
	v_cmp_eq_u32_e64 s6, 31, v72
	s_delay_alu instid0(VALU_DEP_2) | instskip(NEXT) | instid1(VALU_DEP_3)
	v_dual_add_nc_u32 v63, v63, v71 :: v_dual_bitop2_b32 v72, 16, v61 bitop3:0x40
	v_lshlrev_b32_e32 v71, 2, v73
	s_delay_alu instid0(VALU_DEP_2)
	v_cmp_eq_u32_e64 s5, 0, v72
	s_and_saveexec_b32 s7, s6
; %bb.46:
	ds_store_b32 v71, v63 offset:32768
; %bb.47:
	s_or_b32 exec_lo, exec_lo, s7
	v_cmp_lt_u32_e64 s6, 31, v0
	s_mov_b32 s24, exec_lo
	s_wait_dscnt 0x0
	s_barrier_signal -1
	s_barrier_wait -1
	v_cmpx_gt_u32_e32 32, v0
	s_cbranch_execz .LBB1768_49
; %bb.48:
	v_mad_i32_i24 v72, 0xffffffe4, v0, v70
	ds_load_b32 v73, v72 offset:32768
	s_wait_dscnt 0x0
	v_mov_b32_dpp v74, v73 row_shr:1 row_mask:0xf bank_mask:0xf
	s_delay_alu instid0(VALU_DEP_1) | instskip(NEXT) | instid1(VALU_DEP_1)
	v_cndmask_b32_e64 v74, v74, 0, vcc_lo
	v_add_nc_u32_e32 v73, v74, v73
	s_delay_alu instid0(VALU_DEP_1) | instskip(NEXT) | instid1(VALU_DEP_1)
	v_mov_b32_dpp v74, v73 row_shr:2 row_mask:0xf bank_mask:0xf
	v_cndmask_b32_e64 v74, 0, v74, s2
	s_delay_alu instid0(VALU_DEP_1) | instskip(NEXT) | instid1(VALU_DEP_1)
	v_add_nc_u32_e32 v73, v73, v74
	v_mov_b32_dpp v74, v73 row_shr:4 row_mask:0xf bank_mask:0xf
	s_delay_alu instid0(VALU_DEP_1) | instskip(NEXT) | instid1(VALU_DEP_1)
	v_cndmask_b32_e64 v74, 0, v74, s3
	v_add_nc_u32_e32 v73, v73, v74
	s_delay_alu instid0(VALU_DEP_1) | instskip(NEXT) | instid1(VALU_DEP_1)
	v_mov_b32_dpp v74, v73 row_shr:8 row_mask:0xf bank_mask:0xf
	v_cndmask_b32_e64 v74, 0, v74, s4
	s_delay_alu instid0(VALU_DEP_1) | instskip(SKIP_3) | instid1(VALU_DEP_1)
	v_add_nc_u32_e32 v73, v73, v74
	ds_swizzle_b32 v74, v73 offset:swizzle(BROADCAST,32,15)
	s_wait_dscnt 0x0
	v_cndmask_b32_e64 v74, v74, 0, s5
	v_add_nc_u32_e32 v73, v73, v74
	ds_store_b32 v72, v73 offset:32768
.LBB1768_49:
	s_or_b32 exec_lo, exec_lo, s24
	v_dual_mov_b32 v73, 0 :: v_dual_mov_b32 v72, 0
	s_wait_dscnt 0x0
	s_barrier_signal -1
	s_barrier_wait -1
	s_and_saveexec_b32 s2, s6
; %bb.50:
	ds_load_b32 v72, v71 offset:32764
; %bb.51:
	s_or_b32 exec_lo, exec_lo, s2
	v_sub_co_u32 v71, vcc_lo, v61, 1
	s_wait_dscnt 0x0
	v_add_nc_u32_e32 v63, v72, v63
	s_delay_alu instid0(VALU_DEP_2) | instskip(NEXT) | instid1(VALU_DEP_1)
	v_cmp_gt_i32_e64 s2, 0, v71
	v_cndmask_b32_e64 v61, v71, v61, s2
	v_cmp_gt_u32_e64 s2, 16, v0
	s_delay_alu instid0(VALU_DEP_2)
	v_lshlrev_b32_e32 v61, 2, v61
	ds_bpermute_b32 v61, v61, v63
	ds_load_b32 v63, v73 offset:32892
	ds_load_2addr_b64 v[74:77], v70 offset1:1
	ds_load_b32 v71, v70 offset:24
	ds_load_b64 v[78:79], v70 offset:16
	s_wait_dscnt 0x4
	v_cndmask_b32_e32 v61, v61, v72, vcc_lo
	v_cmp_lt_u32_e32 vcc_lo, 15, v0
	s_wait_dscnt 0x3
	s_delay_alu instid0(VALU_DEP_2) | instskip(SKIP_1) | instid1(VALU_DEP_1)
	v_lshl_add_u32 v72, v63, 16, v61
	s_wait_dscnt 0x2
	v_add_nc_u32_e32 v73, v72, v74
	s_delay_alu instid0(VALU_DEP_1) | instskip(NEXT) | instid1(VALU_DEP_1)
	v_add_nc_u32_e32 v74, v75, v73
	v_add_nc_u32_e32 v75, v76, v74
	s_delay_alu instid0(VALU_DEP_1) | instskip(SKIP_1) | instid1(VALU_DEP_1)
	v_add_nc_u32_e32 v76, v77, v75
	s_wait_dscnt 0x0
	v_add_nc_u32_e32 v77, v78, v76
	s_delay_alu instid0(VALU_DEP_1) | instskip(NEXT) | instid1(VALU_DEP_1)
	v_add_nc_u32_e32 v78, v79, v77
	v_add_nc_u32_e32 v79, v71, v78
	ds_store_2addr_b64 v70, v[72:73], v[74:75] offset1:1
	ds_store_2addr_b64 v70, v[76:77], v[78:79] offset0:2 offset1:3
	s_wait_dscnt 0x0
	s_barrier_signal -1
	s_barrier_wait -1
	ds_load_u16 v61, v2
	ds_load_u16 v63, v3
	;; [unrolled: 1-line block ×22, first 2 shown]
	v_mov_b64_e32 v[2:3], 0
                                        ; implicit-def: $vgpr4
	s_and_saveexec_b32 s4, s2
	s_cbranch_execz .LBB1768_55
; %bb.52:
	v_dual_lshlrev_b32 v2, 12, v0 :: v_dual_lshrrev_b32 v3, 2, v0
	v_add_nc_u32_e32 v4, 1, v0
	s_mov_b32 s5, exec_lo
	s_delay_alu instid0(VALU_DEP_2)
	v_bitop3_b32 v2, v2, 0x70fe, v3 bitop3:0xc8
	v_mov_b32_e32 v3, 0x5800
	ds_load_u16 v2, v2
	v_cmpx_ne_u32_e32 16, v4
; %bb.53:
	v_dual_lshlrev_b32 v3, 12, v4 :: v_dual_lshrrev_b32 v4, 2, v4
	s_delay_alu instid0(VALU_DEP_1)
	v_bitop3_b32 v3, v3, 0x71fe, v4 bitop3:0xc8
	ds_load_u16 v3, v3
; %bb.54:
	s_or_b32 exec_lo, exec_lo, s5
	s_wait_dscnt 0x0
	v_and_b32_e32 v2, 0xffff, v2
	s_mov_b32 s3, 0
	s_delay_alu instid0(VALU_DEP_1) | instid1(SALU_CYCLE_1)
	v_dual_mov_b32 v3, s3 :: v_dual_sub_nc_u32 v4, v3, v2
.LBB1768_55:
	s_or_b32 exec_lo, exec_lo, s4
	s_wait_dscnt 0x15
	v_and_b32_e32 v61, 0xffff, v61
	v_and_b32_e32 v26, 0xffff, v26
	s_wait_dscnt 0x14
	v_and_b32_e32 v63, 0xffff, v63
	v_and_b32_e32 v27, 0xffff, v27
	;; [unrolled: 3-line block ×4, first 2 shown]
	v_dual_add_nc_u32 v26, v61, v26 :: v_dual_add_nc_u32 v27, v63, v27
	s_wait_dscnt 0x11
	v_and_b32_e32 v43, 0xffff, v43
	v_and_b32_e32 v30, 0xffff, v30
	s_wait_dscnt 0x10
	v_and_b32_e32 v46, 0xffff, v46
	v_and_b32_e32 v31, 0xffff, v31
	v_add_nc_u32_e32 v28, v37, v28
	s_wait_dscnt 0xf
	v_and_b32_e32 v48, 0xffff, v48
	v_and_b32_e32 v32, 0xffff, v32
	s_wait_dscnt 0xe
	v_and_b32_e32 v50, 0xffff, v50
	v_and_b32_e32 v33, 0xffff, v33
	;; [unrolled: 3-line block ×3, first 2 shown]
	s_wait_dscnt 0x0
	s_barrier_signal -1
	s_barrier_wait -1
	ds_store_b8 v26, v24 offset:128
	ds_store_b8 v27, v25 offset:128
	;; [unrolled: 1-line block ×3, first 2 shown]
	v_add_nc_u32_e32 v7, v40, v29
	v_and_b32_e32 v54, 0xffff, v54
	v_and_b32_e32 v35, 0xffff, v35
	v_dual_add_nc_u32 v24, v43, v30 :: v_dual_add_nc_u32 v25, v46, v31
	v_and_b32_e32 v55, 0xffff, v55
	v_and_b32_e32 v36, 0xffff, v36
	;; [unrolled: 1-line block ×4, first 2 shown]
	v_dual_add_nc_u32 v26, v48, v32 :: v_dual_add_nc_u32 v27, v50, v33
	v_and_b32_e32 v58, 0xffff, v58
	v_and_b32_e32 v41, 0xffff, v41
	;; [unrolled: 1-line block ×4, first 2 shown]
	ds_store_b8 v7, v23 offset:128
	ds_store_b8 v24, v22 offset:128
	;; [unrolled: 1-line block ×5, first 2 shown]
	v_dual_add_nc_u32 v7, v52, v34 :: v_dual_add_nc_u32 v19, v54, v35
	v_and_b32_e32 v62, 0xffff, v62
	v_and_b32_e32 v47, 0xffff, v47
	;; [unrolled: 1-line block ×4, first 2 shown]
	v_dual_add_nc_u32 v20, v55, v36 :: v_dual_add_nc_u32 v21, v57, v38
	v_and_b32_e32 v65, 0xffff, v65
	v_and_b32_e32 v51, 0xffff, v51
	;; [unrolled: 1-line block ×4, first 2 shown]
	v_add_nc_u32_e32 v22, v58, v41
	ds_store_b8 v7, v18 offset:128
	ds_store_b8 v19, v17 offset:128
	;; [unrolled: 1-line block ×5, first 2 shown]
	v_dual_add_nc_u32 v7, v60, v44 :: v_dual_add_nc_u32 v14, v62, v47
	v_dual_add_nc_u32 v15, v64, v49 :: v_dual_add_nc_u32 v16, v65, v51
	v_add_nc_u32_e32 v17, v66, v53
	v_and_b32_e32 v67, 0xffff, v67
	v_and_b32_e32 v70, 0xffff, v70
	;; [unrolled: 1-line block ×8, first 2 shown]
	ds_store_b8 v7, v13 offset:128
	ds_store_b8 v14, v12 offset:128
	ds_store_b8 v15, v11 offset:128
	ds_store_b8 v16, v10 offset:128
	ds_store_b8 v17, v9 offset:128
	v_dual_mov_b32 v9, 0 :: v_dual_add_nc_u32 v7, v67, v5
	v_dual_add_nc_u32 v10, v70, v56 :: v_dual_add_nc_u32 v11, v68, v1
	v_dual_add_nc_u32 v12, v69, v59 :: v_dual_lshlrev_b32 v5, 3, v0
	s_delay_alu instid0(VALU_DEP_3)
	v_mov_b32_e32 v1, v9
	s_not_b32 s3, s23
	ds_store_b8 v7, v8 offset:128
	ds_store_b8 v10, v39 offset:128
	;; [unrolled: 1-line block ×4, first 2 shown]
	s_and_saveexec_b32 s4, s2
	s_cbranch_execz .LBB1768_65
; %bb.56:
	v_lshl_add_u32 v8, s19, 4, v0
	v_dual_mov_b32 v12, 0 :: v_dual_bitop2_b32 v7, 2.0, v4 bitop3:0x54
	s_mov_b32 s5, 0
	s_mov_b32 s6, s19
	s_delay_alu instid0(VALU_DEP_2)
	v_lshl_add_u64 v[10:11], v[8:9], 2, s[20:21]
	global_store_b32 v8, v7, s[20:21] scale_offset scope:SCOPE_DEV
                                        ; implicit-def: $sgpr2
	s_branch .LBB1768_59
.LBB1768_57:                            ;   in Loop: Header=BB1768_59 Depth=1
	s_or_b32 exec_lo, exec_lo, s23
.LBB1768_58:                            ;   in Loop: Header=BB1768_59 Depth=1
	s_delay_alu instid0(SALU_CYCLE_1) | instskip(SKIP_2) | instid1(VALU_DEP_2)
	s_or_b32 exec_lo, exec_lo, s7
	v_and_b32_e32 v8, 0x3fffffff, v7
	v_cmp_gt_i32_e64 s2, -2.0, v7
	v_add_nc_u32_e32 v12, v8, v12
	s_and_b32 s7, exec_lo, s2
	s_delay_alu instid0(SALU_CYCLE_1) | instskip(NEXT) | instid1(SALU_CYCLE_1)
	s_or_b32 s5, s7, s5
	s_and_not1_b32 exec_lo, exec_lo, s5
	s_cbranch_execz .LBB1768_64
.LBB1768_59:                            ; =>This Loop Header: Depth=1
                                        ;     Child Loop BB1768_62 Depth 2
	s_or_b32 s2, s2, exec_lo
	s_cmp_eq_u32 s6, 0
	s_cbranch_scc1 .LBB1768_63
; %bb.60:                               ;   in Loop: Header=BB1768_59 Depth=1
	s_add_co_i32 s6, s6, -1
	s_mov_b32 s7, exec_lo
	s_wait_xcnt 0x0
	v_lshl_or_b32 v8, s6, 4, v0
	global_load_b32 v7, v8, s[20:21] scale_offset scope:SCOPE_DEV
	s_wait_loadcnt 0x0
	v_cmpx_gt_u32_e32 2.0, v7
	s_cbranch_execz .LBB1768_58
; %bb.61:                               ;   in Loop: Header=BB1768_59 Depth=1
	v_lshl_add_u64 v[14:15], v[8:9], 2, s[20:21]
	s_mov_b32 s23, 0
.LBB1768_62:                            ;   Parent Loop BB1768_59 Depth=1
                                        ; =>  This Inner Loop Header: Depth=2
	global_load_b32 v7, v[14:15], off scope:SCOPE_DEV
	s_wait_loadcnt 0x0
	v_cmp_lt_u32_e64 s2, 0x3fffffff, v7
	s_or_b32 s23, s2, s23
	s_wait_xcnt 0x0
	s_and_not1_b32 exec_lo, exec_lo, s23
	s_cbranch_execnz .LBB1768_62
	s_branch .LBB1768_57
.LBB1768_63:                            ;   in Loop: Header=BB1768_59 Depth=1
                                        ; implicit-def: $sgpr6
	s_and_b32 s7, exec_lo, s2
	s_delay_alu instid0(SALU_CYCLE_1)
	s_or_b32 s5, s7, s5
	s_wait_xcnt 0x0
	s_and_not1_b32 exec_lo, exec_lo, s5
	s_cbranch_execnz .LBB1768_59
.LBB1768_64:
	s_or_b32 exec_lo, exec_lo, s5
	v_dual_add_nc_u32 v7, v12, v4 :: v_dual_mov_b32 v13, 0
	s_delay_alu instid0(VALU_DEP_1)
	v_or_b32_e32 v7, 0x80000000, v7
	global_store_b32 v[10:11], v7, off scope:SCOPE_DEV
	global_load_b64 v[8:9], v0, s[8:9] scale_offset
	s_wait_xcnt 0x1
	v_sub_nc_u64_e32 v[10:11], v[12:13], v[2:3]
	s_wait_loadcnt 0x0
	s_delay_alu instid0(VALU_DEP_1)
	v_add_nc_u64_e32 v[8:9], v[10:11], v[8:9]
	ds_store_b64 v5, v[8:9]
.LBB1768_65:
	s_wait_xcnt 0x0
	s_or_b32 exec_lo, exec_lo, s4
	s_delay_alu instid0(SALU_CYCLE_1)
	s_mov_b32 s4, exec_lo
	s_wait_storecnt_dscnt 0x0
	s_barrier_signal -1
	s_barrier_wait -1
	v_cmpx_gt_u32_e64 s18, v0
	s_cbranch_execz .LBB1768_67
; %bb.66:
	ds_load_u8 v7, v0 offset:128
	s_wait_dscnt 0x0
	v_and_b32_e32 v8, 1, v7
	s_delay_alu instid0(VALU_DEP_1) | instskip(NEXT) | instid1(VALU_DEP_1)
	v_dual_lshrrev_b32 v8, s16, v8 :: v_dual_bitop2_b32 v7, 1, v7 bitop3:0x14
	v_and_b32_e32 v8, s3, v8
	s_delay_alu instid0(VALU_DEP_1) | instskip(SKIP_3) | instid1(VALU_DEP_1)
	v_lshlrev_b32_e32 v8, 3, v8
	ds_load_b64 v[8:9], v8
	s_wait_dscnt 0x0
	v_add_nc_u64_e32 v[8:9], s[14:15], v[8:9]
	v_add_nc_u64_e32 v[8:9], v[8:9], v[0:1]
	global_store_b8 v[8:9], v7, off
.LBB1768_67:
	s_wait_xcnt 0x0
	s_or_b32 exec_lo, exec_lo, s4
	v_or_b32_e32 v7, 0x400, v0
	s_mov_b32 s4, exec_lo
	s_delay_alu instid0(VALU_DEP_1)
	v_cmpx_gt_u32_e64 s18, v7
	s_cbranch_execz .LBB1768_69
; %bb.68:
	ds_load_u8 v7, v0 offset:1152
	s_wait_dscnt 0x0
	v_and_b32_e32 v8, 1, v7
	s_delay_alu instid0(VALU_DEP_1) | instskip(NEXT) | instid1(VALU_DEP_1)
	v_dual_lshrrev_b32 v8, s16, v8 :: v_dual_bitop2_b32 v7, 1, v7 bitop3:0x14
	v_and_b32_e32 v8, s3, v8
	s_delay_alu instid0(VALU_DEP_1) | instskip(SKIP_3) | instid1(VALU_DEP_1)
	v_lshlrev_b32_e32 v8, 3, v8
	ds_load_b64 v[8:9], v8
	s_wait_dscnt 0x0
	v_add_nc_u64_e32 v[8:9], s[14:15], v[8:9]
	v_add_nc_u64_e32 v[8:9], v[8:9], v[0:1]
	global_store_b8 v[8:9], v7, off offset:1024
.LBB1768_69:
	s_wait_xcnt 0x0
	s_or_b32 exec_lo, exec_lo, s4
	v_or_b32_e32 v7, 0x800, v0
	s_mov_b32 s4, exec_lo
	s_delay_alu instid0(VALU_DEP_1)
	v_cmpx_gt_u32_e64 s18, v7
	s_cbranch_execz .LBB1768_71
; %bb.70:
	ds_load_u8 v7, v0 offset:2176
	s_wait_dscnt 0x0
	v_and_b32_e32 v8, 1, v7
	s_delay_alu instid0(VALU_DEP_1) | instskip(NEXT) | instid1(VALU_DEP_1)
	v_dual_lshrrev_b32 v8, s16, v8 :: v_dual_bitop2_b32 v7, 1, v7 bitop3:0x14
	v_and_b32_e32 v8, s3, v8
	s_delay_alu instid0(VALU_DEP_1) | instskip(SKIP_3) | instid1(VALU_DEP_1)
	v_lshlrev_b32_e32 v8, 3, v8
	ds_load_b64 v[8:9], v8
	s_wait_dscnt 0x0
	v_add_nc_u64_e32 v[8:9], s[14:15], v[8:9]
	v_add_nc_u64_e32 v[8:9], v[8:9], v[0:1]
	global_store_b8 v[8:9], v7, off offset:2048
.LBB1768_71:
	;; [unrolled: 22-line block ×20, first 2 shown]
	s_wait_xcnt 0x0
	s_or_b32 exec_lo, exec_lo, s4
	v_or_b32_e32 v7, 0x5400, v0
	s_mov_b32 s4, exec_lo
	s_delay_alu instid0(VALU_DEP_1)
	v_cmpx_gt_u32_e64 s18, v7
	s_cbranch_execz .LBB1768_109
; %bb.108:
	ds_load_u8 v7, v0 offset:21632
	s_wait_dscnt 0x0
	v_and_b32_e32 v8, 1, v7
	s_delay_alu instid0(VALU_DEP_1) | instskip(NEXT) | instid1(VALU_DEP_1)
	v_lshrrev_b32_e32 v8, s16, v8
	v_and_b32_e32 v8, s3, v8
	s_delay_alu instid0(VALU_DEP_1) | instskip(SKIP_3) | instid1(VALU_DEP_1)
	v_lshlrev_b32_e32 v8, 3, v8
	ds_load_b64 v[8:9], v8
	s_wait_dscnt 0x0
	v_add_nc_u64_e32 v[8:9], s[14:15], v[8:9]
	v_add_nc_u64_e32 v[8:9], v[8:9], v[0:1]
	v_xor_b32_e32 v1, 1, v7
	global_store_b8 v[8:9], v1, off offset:21504
.LBB1768_109:
	s_wait_xcnt 0x0
	s_or_b32 exec_lo, exec_lo, s4
	s_load_b32 s2, s[0:1], 0x58
	s_wait_kmcnt 0x0
	s_add_co_i32 s2, s2, -1
	s_delay_alu instid0(SALU_CYCLE_1) | instskip(SKIP_2) | instid1(SALU_CYCLE_1)
	s_cmp_eq_u32 s19, s2
	s_cselect_b32 s2, -1, 0
	s_xor_b32 s3, vcc_lo, -1
	s_and_b32 s3, s3, s2
	s_delay_alu instid0(SALU_CYCLE_1)
	s_and_saveexec_b32 s2, s3
	s_cbranch_execz .LBB1768_111
; %bb.110:
	ds_load_b64 v[8:9], v5
	v_mov_b32_e32 v5, 0
	s_delay_alu instid0(VALU_DEP_1) | instskip(SKIP_1) | instid1(VALU_DEP_1)
	v_add_nc_u64_e32 v[2:3], v[2:3], v[4:5]
	s_wait_dscnt 0x0
	v_add_nc_u64_e32 v[2:3], v[2:3], v[8:9]
	global_store_b64 v0, v[2:3], s[10:11] scale_offset
.LBB1768_111:
	s_wait_xcnt 0x0
	s_or_b32 exec_lo, exec_lo, s2
	s_mov_b32 s2, 0
.LBB1768_112:
	s_delay_alu instid0(SALU_CYCLE_1)
	s_and_b32 vcc_lo, exec_lo, s2
	s_cbranch_vccz .LBB1768_135
; %bb.113:
	s_mov_b32 s23, 0
	s_mov_b32 s7, exec_lo
	s_add_nc_u64 s[2:3], s[12:13], s[22:23]
	s_lshl_b32 s12, -1, s17
	s_clause 0x2
	global_load_b128 v[2:5], v6, s[2:3]
	global_load_b32 v14, v6, s[2:3] offset:16
	global_load_u16 v13, v6, s[2:3] offset:20
	v_dual_mov_b32 v28, 0 :: v_dual_lshlrev_b32 v17, 2, v0
	ds_store_2addr_stride64_b32 v17, v28, v28 offset1:16
	s_wait_loadcnt 0x2
	v_dual_lshrrev_b32 v7, 8, v2 :: v_dual_bitop2_b32 v1, 1, v2 bitop3:0x40
	v_dual_lshrrev_b32 v9, 16, v2 :: v_dual_lshrrev_b32 v11, 24, v2
	v_dual_lshrrev_b32 v20, 8, v3 :: v_dual_lshrrev_b32 v22, 16, v3
	s_delay_alu instid0(VALU_DEP_3)
	v_cmp_ne_u32_e32 vcc_lo, 1, v1
	v_lshrrev_b32_e32 v33, 8, v5
	s_wait_loadcnt 0x0
	v_dual_lshrrev_b32 v27, 8, v4 :: v_dual_bitop2_b32 v54, 1, v13 bitop3:0x40
	v_lshrrev_b32_e32 v40, 8, v14
	v_cndmask_b32_e64 v1, 0, 1, vcc_lo
	v_lshrrev_b32_e32 v13, 8, v13
	s_wait_xcnt 0x0
	s_delay_alu instid0(VALU_DEP_2) | instskip(NEXT) | instid1(VALU_DEP_2)
	v_lshrrev_b32_e32 v6, s16, v1
	v_and_b32_e32 v13, 1, v13
	s_delay_alu instid0(VALU_DEP_2) | instskip(NEXT) | instid1(VALU_DEP_1)
	v_bitop3_b32 v6, v6, s12, v6 bitop3:0x30
	v_lshl_or_b32 v12, v6, 12, v17
	v_and_b32_e32 v6, 1, v7
	ds_load_u16 v7, v12
	v_cmp_ne_u32_e32 vcc_lo, 1, v6
	v_cndmask_b32_e64 v6, 0, 1, vcc_lo
	s_delay_alu instid0(VALU_DEP_1) | instskip(NEXT) | instid1(VALU_DEP_1)
	v_lshrrev_b32_e32 v8, s16, v6
	v_bitop3_b32 v8, v8, s12, v8 bitop3:0x30
	s_wait_dscnt 0x0
	v_add_nc_u16 v10, v7, 1
	s_delay_alu instid0(VALU_DEP_2)
	v_lshl_or_b32 v16, v8, 12, v17
	v_and_b32_e32 v8, 1, v9
	ds_store_b16 v12, v10
	ds_load_u16 v9, v16
	v_cmp_ne_u32_e32 vcc_lo, 1, v8
	v_cndmask_b32_e64 v8, 0, 1, vcc_lo
	s_delay_alu instid0(VALU_DEP_1) | instskip(NEXT) | instid1(VALU_DEP_1)
	v_lshrrev_b32_e32 v10, s16, v8
	v_bitop3_b32 v10, v10, s12, v10 bitop3:0x30
	s_wait_dscnt 0x0
	v_add_nc_u16 v15, v9, 1
	s_delay_alu instid0(VALU_DEP_2)
	v_lshl_or_b32 v2, v10, 12, v17
	v_and_b32_e32 v10, 1, v11
	ds_store_b16 v16, v15
	;; [unrolled: 12-line block ×5, first 2 shown]
	ds_load_u16 v24, v45
	v_cmp_ne_u32_e32 vcc_lo, 1, v20
	v_lshrrev_b32_e32 v23, 24, v3
	v_cndmask_b32_e64 v20, 0, 1, vcc_lo
	s_delay_alu instid0(VALU_DEP_1) | instskip(NEXT) | instid1(VALU_DEP_1)
	v_lshrrev_b32_e32 v22, s16, v20
	v_bitop3_b32 v22, v22, s12, v22 bitop3:0x30
	s_wait_dscnt 0x0
	v_add_nc_u16 v25, v24, 1
	s_delay_alu instid0(VALU_DEP_2)
	v_lshl_or_b32 v3, v22, 12, v17
	v_and_b32_e32 v22, 1, v23
	ds_store_b16 v45, v25
	ds_load_u16 v32, v3
	v_cmp_ne_u32_e32 vcc_lo, 1, v22
	v_cndmask_b32_e64 v23, 0, 1, vcc_lo
	s_delay_alu instid0(VALU_DEP_1) | instskip(NEXT) | instid1(VALU_DEP_1)
	v_lshrrev_b32_e32 v22, s16, v23
	v_bitop3_b32 v22, v22, s12, v22 bitop3:0x30
	s_wait_dscnt 0x0
	v_add_nc_u16 v25, v32, 1
	s_delay_alu instid0(VALU_DEP_2)
	v_lshl_or_b32 v51, v22, 12, v17
	v_and_b32_e32 v22, 1, v4
	ds_store_b16 v3, v25
	ds_load_u16 v34, v51
	v_cmp_ne_u32_e32 vcc_lo, 1, v22
	v_cndmask_b32_e64 v22, 0, 1, vcc_lo
	s_delay_alu instid0(VALU_DEP_1) | instskip(NEXT) | instid1(VALU_DEP_1)
	v_lshrrev_b32_e32 v25, s16, v22
	v_bitop3_b32 v25, v25, s12, v25 bitop3:0x30
	s_wait_dscnt 0x0
	v_add_nc_u16 v29, v34, 1
	s_delay_alu instid0(VALU_DEP_2)
	v_lshl_or_b32 v53, v25, 12, v17
	v_and_b32_e32 v25, 1, v27
	ds_store_b16 v51, v29
	ds_load_u16 v35, v53
	v_lshrrev_b32_e32 v29, 16, v4
	v_cmp_ne_u32_e32 vcc_lo, 1, v25
	v_cndmask_b32_e64 v25, 0, 1, vcc_lo
	s_delay_alu instid0(VALU_DEP_1) | instskip(NEXT) | instid1(VALU_DEP_1)
	v_lshrrev_b32_e32 v27, s16, v25
	v_bitop3_b32 v27, v27, s12, v27 bitop3:0x30
	s_wait_dscnt 0x0
	v_add_nc_u16 v30, v35, 1
	s_delay_alu instid0(VALU_DEP_2)
	v_lshl_or_b32 v55, v27, 12, v17
	v_and_b32_e32 v27, 1, v29
	ds_store_b16 v53, v30
	v_lshrrev_b32_e32 v30, 24, v4
	ds_load_u16 v39, v55
	v_cmp_ne_u32_e32 vcc_lo, 1, v27
	v_cndmask_b32_e64 v27, 0, 1, vcc_lo
	s_delay_alu instid0(VALU_DEP_1) | instskip(NEXT) | instid1(VALU_DEP_1)
	v_lshrrev_b32_e32 v29, s16, v27
	v_bitop3_b32 v29, v29, s12, v29 bitop3:0x30
	s_wait_dscnt 0x0
	v_add_nc_u16 v31, v39, 1
	s_delay_alu instid0(VALU_DEP_2)
	v_lshl_or_b32 v4, v29, 12, v17
	v_and_b32_e32 v29, 1, v30
	ds_store_b16 v55, v31
	ds_load_u16 v41, v4
	v_cmp_ne_u32_e32 vcc_lo, 1, v29
	v_cndmask_b32_e64 v29, 0, 1, vcc_lo
	s_delay_alu instid0(VALU_DEP_1) | instskip(NEXT) | instid1(VALU_DEP_1)
	v_lshrrev_b32_e32 v30, s16, v29
	v_bitop3_b32 v30, v30, s12, v30 bitop3:0x30
	s_wait_dscnt 0x0
	v_add_nc_u16 v31, v41, 1
	s_delay_alu instid0(VALU_DEP_2)
	v_lshl_or_b32 v58, v30, 12, v17
	v_and_b32_e32 v30, 1, v5
	ds_store_b16 v4, v31
	ds_load_u16 v43, v58
	v_cmp_ne_u32_e32 vcc_lo, 1, v30
	v_cndmask_b32_e64 v30, 0, 1, vcc_lo
	s_delay_alu instid0(VALU_DEP_1) | instskip(NEXT) | instid1(VALU_DEP_1)
	v_lshrrev_b32_e32 v31, s16, v30
	v_bitop3_b32 v31, v31, s12, v31 bitop3:0x30
	s_wait_dscnt 0x0
	v_add_nc_u16 v36, v43, 1
	s_delay_alu instid0(VALU_DEP_2)
	v_lshl_or_b32 v59, v31, 12, v17
	ds_store_b16 v58, v36
	v_lshrrev_b32_e32 v36, 16, v5
	v_and_b32_e32 v31, 1, v33
	ds_load_u16 v44, v59
	v_lshrrev_b32_e32 v5, 24, v5
	v_cmp_ne_u32_e32 vcc_lo, 1, v31
	s_delay_alu instid0(VALU_DEP_2) | instskip(SKIP_1) | instid1(VALU_DEP_1)
	v_and_b32_e32 v5, 1, v5
	v_cndmask_b32_e64 v31, 0, 1, vcc_lo
	v_lshrrev_b32_e32 v33, s16, v31
	s_delay_alu instid0(VALU_DEP_1) | instskip(SKIP_2) | instid1(VALU_DEP_2)
	v_bitop3_b32 v33, v33, s12, v33 bitop3:0x30
	s_wait_dscnt 0x0
	v_add_nc_u16 v37, v44, 1
	v_lshl_or_b32 v60, v33, 12, v17
	v_and_b32_e32 v33, 1, v36
	ds_store_b16 v59, v37
	ds_load_u16 v46, v60
	v_cmp_ne_u32_e32 vcc_lo, 1, v33
	v_cndmask_b32_e64 v33, 0, 1, vcc_lo
	v_cmp_ne_u32_e32 vcc_lo, 1, v5
	s_delay_alu instid0(VALU_DEP_2) | instskip(SKIP_1) | instid1(VALU_DEP_2)
	v_lshrrev_b32_e32 v36, s16, v33
	v_cndmask_b32_e64 v5, 0, 1, vcc_lo
	v_bitop3_b32 v36, v36, s12, v36 bitop3:0x30
	s_wait_dscnt 0x0
	v_add_nc_u16 v37, v46, 1
	s_delay_alu instid0(VALU_DEP_2) | instskip(SKIP_4) | instid1(VALU_DEP_1)
	v_lshl_or_b32 v61, v36, 12, v17
	v_lshrrev_b32_e32 v36, s16, v5
	ds_store_b16 v60, v37
	ds_load_u16 v47, v61
	v_bitop3_b32 v36, v36, s12, v36 bitop3:0x30
	v_lshl_or_b32 v62, v36, 12, v17
	v_and_b32_e32 v36, 1, v14
	s_delay_alu instid0(VALU_DEP_1)
	v_cmp_ne_u32_e32 vcc_lo, 1, v36
	v_cndmask_b32_e64 v36, 0, 1, vcc_lo
	s_wait_dscnt 0x0
	v_add_nc_u16 v37, v47, 1
	ds_store_b16 v61, v37
	ds_load_u16 v48, v62
	v_lshrrev_b32_e32 v37, s16, v36
	s_delay_alu instid0(VALU_DEP_1) | instskip(NEXT) | instid1(VALU_DEP_1)
	v_bitop3_b32 v37, v37, s12, v37 bitop3:0x30
	v_lshl_or_b32 v63, v37, 12, v17
	v_and_b32_e32 v37, 1, v40
	s_wait_dscnt 0x0
	v_add_nc_u16 v42, v48, 1
	ds_store_b16 v62, v42
	ds_load_u16 v49, v63
	v_lshrrev_b32_e32 v42, 16, v14
	v_cmp_ne_u32_e32 vcc_lo, 1, v37
	v_lshrrev_b32_e32 v14, 24, v14
	v_cndmask_b32_e64 v40, 0, 1, vcc_lo
	s_delay_alu instid0(VALU_DEP_1) | instskip(NEXT) | instid1(VALU_DEP_1)
	v_dual_lshrrev_b32 v37, s16, v40 :: v_dual_bitop2_b32 v14, 1, v14 bitop3:0x40
	v_bitop3_b32 v37, v37, s12, v37 bitop3:0x30
	s_wait_dscnt 0x0
	v_add_nc_u16 v50, v49, 1
	s_delay_alu instid0(VALU_DEP_2)
	v_lshl_or_b32 v64, v37, 12, v17
	v_and_b32_e32 v37, 1, v42
	ds_store_b16 v63, v50
	ds_load_u16 v50, v64
	v_cmp_ne_u32_e32 vcc_lo, 1, v37
	v_cndmask_b32_e64 v37, 0, 1, vcc_lo
	v_cmp_ne_u32_e32 vcc_lo, 1, v14
	s_delay_alu instid0(VALU_DEP_2) | instskip(SKIP_2) | instid1(VALU_DEP_3)
	v_lshrrev_b32_e32 v42, s16, v37
	v_cndmask_b32_e64 v14, 0, 1, vcc_lo
	v_cmp_eq_u32_e32 vcc_lo, 1, v54
	v_bitop3_b32 v42, v42, s12, v42 bitop3:0x30
	s_xor_b32 s2, vcc_lo, -1
	v_cmp_ne_u32_e32 vcc_lo, 1, v13
	s_wait_dscnt 0x0
	v_add_nc_u16 v52, v50, 1
	v_lshl_or_b32 v65, v42, 12, v17
	v_lshrrev_b32_e32 v42, s16, v14
	v_cndmask_b32_e64 v13, 0, 1, vcc_lo
	ds_store_b16 v64, v52
	ds_load_u16 v52, v65
	v_bitop3_b32 v42, v42, s12, v42 bitop3:0x30
	s_delay_alu instid0(VALU_DEP_1)
	v_lshl_or_b32 v66, v42, 12, v17
	v_cndmask_b32_e64 v42, 0, 1, s2
	s_wait_dscnt 0x0
	v_add_nc_u16 v56, v52, 1
	ds_store_b16 v65, v56
	ds_load_u16 v54, v66
	v_lshrrev_b32_e32 v56, s16, v42
	s_delay_alu instid0(VALU_DEP_1) | instskip(NEXT) | instid1(VALU_DEP_1)
	v_bitop3_b32 v56, v56, s12, v56 bitop3:0x30
	v_lshl_or_b32 v67, v56, 12, v17
	s_wait_dscnt 0x0
	v_add_nc_u16 v57, v54, 1
	ds_store_b16 v66, v57
	ds_load_u16 v56, v67
	v_lshrrev_b32_e32 v57, s16, v13
	s_delay_alu instid0(VALU_DEP_1) | instskip(NEXT) | instid1(VALU_DEP_1)
	v_bitop3_b32 v57, v57, s12, v57 bitop3:0x30
	v_lshl_or_b32 v68, v57, 12, v17
	s_wait_dscnt 0x0
	v_add_nc_u16 v69, v56, 1
	ds_store_b16 v67, v69
	ds_load_u16 v57, v68
	v_lshlrev_b32_e32 v69, 5, v0
	s_wait_dscnt 0x0
	v_add_nc_u16 v70, v57, 1
	ds_store_2addr_stride64_b32 v17, v28, v28 offset0:32 offset1:48
	ds_store_2addr_stride64_b32 v17, v28, v28 offset0:64 offset1:80
	;; [unrolled: 1-line block ×3, first 2 shown]
	ds_store_b16 v68, v70
	s_wait_storecnt_dscnt 0x0
	s_barrier_signal -1
	s_barrier_wait -1
	ds_load_2addr_b64 v[70:73], v69 offset1:1
	ds_load_2addr_b64 v[74:77], v69 offset0:2 offset1:3
	s_wait_dscnt 0x1
	v_add_nc_u32_e32 v17, v71, v70
	s_delay_alu instid0(VALU_DEP_1) | instskip(SKIP_2) | instid1(VALU_DEP_2)
	v_add3_u32 v17, v17, v72, v73
	v_and_b32_e32 v72, 31, v0
	s_wait_dscnt 0x0
	v_add3_u32 v28, v17, v74, v75
	v_mbcnt_lo_u32_b32 v17, -1, 0
	s_delay_alu instid0(VALU_DEP_2) | instskip(NEXT) | instid1(VALU_DEP_2)
	v_add3_u32 v28, v28, v76, v77
	v_and_b32_e32 v70, 15, v17
	s_delay_alu instid0(VALU_DEP_2) | instskip(NEXT) | instid1(VALU_DEP_2)
	v_mov_b32_dpp v71, v28 row_shr:1 row_mask:0xf bank_mask:0xf
	v_cmp_eq_u32_e32 vcc_lo, 0, v70
	s_delay_alu instid0(VALU_DEP_2) | instskip(NEXT) | instid1(VALU_DEP_1)
	v_cndmask_b32_e64 v71, v71, 0, vcc_lo
	v_add_nc_u32_e32 v28, v71, v28
	v_cmp_lt_u32_e64 s2, 1, v70
	v_cmp_lt_u32_e64 s3, 3, v70
	;; [unrolled: 1-line block ×3, first 2 shown]
	s_delay_alu instid0(VALU_DEP_4) | instskip(NEXT) | instid1(VALU_DEP_1)
	v_mov_b32_dpp v71, v28 row_shr:2 row_mask:0xf bank_mask:0xf
	v_cndmask_b32_e64 v71, 0, v71, s2
	s_delay_alu instid0(VALU_DEP_1) | instskip(NEXT) | instid1(VALU_DEP_1)
	v_add_nc_u32_e32 v28, v28, v71
	v_mov_b32_dpp v71, v28 row_shr:4 row_mask:0xf bank_mask:0xf
	s_delay_alu instid0(VALU_DEP_1) | instskip(NEXT) | instid1(VALU_DEP_1)
	v_cndmask_b32_e64 v71, 0, v71, s3
	v_add_nc_u32_e32 v28, v28, v71
	s_delay_alu instid0(VALU_DEP_1) | instskip(NEXT) | instid1(VALU_DEP_1)
	v_mov_b32_dpp v71, v28 row_shr:8 row_mask:0xf bank_mask:0xf
	v_cndmask_b32_e64 v70, 0, v71, s4
	v_bfe_i32 v71, v17, 4, 1
	s_delay_alu instid0(VALU_DEP_2) | instskip(SKIP_4) | instid1(VALU_DEP_2)
	v_add_nc_u32_e32 v28, v28, v70
	ds_swizzle_b32 v70, v28 offset:swizzle(BROADCAST,32,15)
	s_wait_dscnt 0x0
	v_and_b32_e32 v70, v71, v70
	v_dual_lshrrev_b32 v71, 5, v0 :: v_dual_bitop2_b32 v73, 16, v17 bitop3:0x40
	v_add_nc_u32_e32 v28, v28, v70
	s_delay_alu instid0(VALU_DEP_2) | instskip(NEXT) | instid1(VALU_DEP_3)
	v_cmp_eq_u32_e64 s5, 0, v73
	v_lshlrev_b32_e32 v70, 2, v71
	v_cmpx_eq_u32_e32 31, v72
; %bb.114:
	ds_store_b32 v70, v28 offset:32768
; %bb.115:
	s_or_b32 exec_lo, exec_lo, s7
	v_cmp_lt_u32_e64 s6, 31, v0
	s_mov_b32 s13, exec_lo
	s_wait_dscnt 0x0
	s_barrier_signal -1
	s_barrier_wait -1
	v_cmpx_gt_u32_e32 32, v0
	s_cbranch_execz .LBB1768_117
; %bb.116:
	v_mad_i32_i24 v71, 0xffffffe4, v0, v69
	ds_load_b32 v72, v71 offset:32768
	s_wait_dscnt 0x0
	v_mov_b32_dpp v73, v72 row_shr:1 row_mask:0xf bank_mask:0xf
	s_delay_alu instid0(VALU_DEP_1) | instskip(NEXT) | instid1(VALU_DEP_1)
	v_cndmask_b32_e64 v73, v73, 0, vcc_lo
	v_add_nc_u32_e32 v72, v73, v72
	s_delay_alu instid0(VALU_DEP_1) | instskip(NEXT) | instid1(VALU_DEP_1)
	v_mov_b32_dpp v73, v72 row_shr:2 row_mask:0xf bank_mask:0xf
	v_cndmask_b32_e64 v73, 0, v73, s2
	s_delay_alu instid0(VALU_DEP_1) | instskip(NEXT) | instid1(VALU_DEP_1)
	v_add_nc_u32_e32 v72, v72, v73
	v_mov_b32_dpp v73, v72 row_shr:4 row_mask:0xf bank_mask:0xf
	s_delay_alu instid0(VALU_DEP_1) | instskip(NEXT) | instid1(VALU_DEP_1)
	v_cndmask_b32_e64 v73, 0, v73, s3
	v_add_nc_u32_e32 v72, v72, v73
	s_delay_alu instid0(VALU_DEP_1) | instskip(NEXT) | instid1(VALU_DEP_1)
	v_mov_b32_dpp v73, v72 row_shr:8 row_mask:0xf bank_mask:0xf
	v_cndmask_b32_e64 v73, 0, v73, s4
	s_delay_alu instid0(VALU_DEP_1) | instskip(SKIP_3) | instid1(VALU_DEP_1)
	v_add_nc_u32_e32 v72, v72, v73
	ds_swizzle_b32 v73, v72 offset:swizzle(BROADCAST,32,15)
	s_wait_dscnt 0x0
	v_cndmask_b32_e64 v73, v73, 0, s5
	v_add_nc_u32_e32 v72, v72, v73
	ds_store_b32 v71, v72 offset:32768
.LBB1768_117:
	s_or_b32 exec_lo, exec_lo, s13
	v_dual_mov_b32 v72, 0 :: v_dual_mov_b32 v71, 0
	s_wait_dscnt 0x0
	s_barrier_signal -1
	s_barrier_wait -1
	s_and_saveexec_b32 s2, s6
; %bb.118:
	ds_load_b32 v71, v70 offset:32764
; %bb.119:
	s_or_b32 exec_lo, exec_lo, s2
	v_sub_co_u32 v70, vcc_lo, v17, 1
	s_wait_dscnt 0x0
	v_add_nc_u32_e32 v28, v71, v28
	s_delay_alu instid0(VALU_DEP_2) | instskip(NEXT) | instid1(VALU_DEP_1)
	v_cmp_gt_i32_e64 s2, 0, v70
	v_cndmask_b32_e64 v17, v70, v17, s2
	v_cmp_gt_u32_e64 s2, 16, v0
	s_delay_alu instid0(VALU_DEP_2)
	v_lshlrev_b32_e32 v17, 2, v17
	ds_bpermute_b32 v17, v17, v28
	ds_load_b32 v28, v72 offset:32892
	ds_load_2addr_b64 v[72:75], v69 offset1:1
	ds_load_b32 v78, v69 offset:24
	ds_load_b64 v[76:77], v69 offset:16
	s_wait_dscnt 0x4
	v_cndmask_b32_e32 v17, v17, v71, vcc_lo
	v_cmp_lt_u32_e32 vcc_lo, 15, v0
	s_wait_dscnt 0x3
	s_delay_alu instid0(VALU_DEP_2) | instskip(SKIP_1) | instid1(VALU_DEP_1)
	v_lshl_add_u32 v70, v28, 16, v17
	s_wait_dscnt 0x2
	v_add_nc_u32_e32 v71, v70, v72
	s_delay_alu instid0(VALU_DEP_1) | instskip(NEXT) | instid1(VALU_DEP_1)
	v_add_nc_u32_e32 v72, v73, v71
	v_add_nc_u32_e32 v73, v74, v72
	s_delay_alu instid0(VALU_DEP_1) | instskip(SKIP_1) | instid1(VALU_DEP_1)
	v_add_nc_u32_e32 v74, v75, v73
	s_wait_dscnt 0x0
	v_add_nc_u32_e32 v75, v76, v74
	s_delay_alu instid0(VALU_DEP_1) | instskip(NEXT) | instid1(VALU_DEP_1)
	v_add_nc_u32_e32 v76, v77, v75
	v_add_nc_u32_e32 v77, v78, v76
	ds_store_2addr_b64 v69, v[70:71], v[72:73] offset1:1
	ds_store_2addr_b64 v69, v[74:75], v[76:77] offset0:2 offset1:3
	s_wait_dscnt 0x0
	s_barrier_signal -1
	s_barrier_wait -1
	ds_load_u16 v12, v12
	ds_load_u16 v16, v16
	;; [unrolled: 1-line block ×22, first 2 shown]
	v_mov_b64_e32 v[2:3], 0
                                        ; implicit-def: $vgpr4
	s_and_saveexec_b32 s4, s2
	s_cbranch_execz .LBB1768_123
; %bb.120:
	v_dual_lshlrev_b32 v2, 12, v0 :: v_dual_lshrrev_b32 v3, 2, v0
	v_add_nc_u32_e32 v4, 1, v0
	s_mov_b32 s5, exec_lo
	s_delay_alu instid0(VALU_DEP_2)
	v_bitop3_b32 v2, v2, 0x70fe, v3 bitop3:0xc8
	v_mov_b32_e32 v3, 0x5800
	ds_load_u16 v2, v2
	v_cmpx_ne_u32_e32 16, v4
; %bb.121:
	v_dual_lshlrev_b32 v3, 12, v4 :: v_dual_lshrrev_b32 v4, 2, v4
	s_delay_alu instid0(VALU_DEP_1)
	v_bitop3_b32 v3, v3, 0x71fe, v4 bitop3:0xc8
	ds_load_u16 v3, v3
; %bb.122:
	s_or_b32 exec_lo, exec_lo, s5
	s_wait_dscnt 0x0
	v_and_b32_e32 v2, 0xffff, v2
	s_mov_b32 s3, 0
	s_delay_alu instid0(VALU_DEP_1) | instid1(SALU_CYCLE_1)
	v_dual_mov_b32 v3, s3 :: v_dual_sub_nc_u32 v4, v3, v2
.LBB1768_123:
	s_or_b32 exec_lo, exec_lo, s4
	s_wait_dscnt 0x15
	v_and_b32_e32 v12, 0xffff, v12
	v_and_b32_e32 v7, 0xffff, v7
	s_wait_dscnt 0x14
	v_and_b32_e32 v16, 0xffff, v16
	v_and_b32_e32 v9, 0xffff, v9
	;; [unrolled: 3-line block ×4, first 2 shown]
	v_add_nc_u32_e32 v7, v12, v7
	s_wait_dscnt 0x11
	v_and_b32_e32 v28, 0xffff, v28
	v_and_b32_e32 v21, 0xffff, v21
	v_dual_add_nc_u32 v9, v16, v9 :: v_dual_add_nc_u32 v11, v17, v11
	s_wait_dscnt 0x10
	v_and_b32_e32 v38, 0xffff, v38
	v_and_b32_e32 v24, 0xffff, v24
	s_wait_dscnt 0xf
	v_and_b32_e32 v45, 0xffff, v45
	v_and_b32_e32 v32, 0xffff, v32
	;; [unrolled: 3-line block ×4, first 2 shown]
	s_wait_dscnt 0x0
	s_barrier_signal -1
	s_barrier_wait -1
	ds_store_b8 v7, v1 offset:128
	ds_store_b8 v9, v6 offset:128
	;; [unrolled: 1-line block ×3, first 2 shown]
	v_add_nc_u32_e32 v1, v26, v18
	v_and_b32_e32 v55, 0xffff, v55
	v_and_b32_e32 v39, 0xffff, v39
	v_dual_add_nc_u32 v6, v28, v21 :: v_dual_add_nc_u32 v7, v38, v24
	v_and_b32_e32 v69, 0xffff, v69
	v_and_b32_e32 v41, 0xffff, v41
	v_and_b32_e32 v58, 0xffff, v58
	v_and_b32_e32 v43, 0xffff, v43
	v_dual_add_nc_u32 v8, v45, v32 :: v_dual_add_nc_u32 v9, v51, v34
	v_and_b32_e32 v59, 0xffff, v59
	v_and_b32_e32 v44, 0xffff, v44
	;; [unrolled: 1-line block ×4, first 2 shown]
	ds_store_b8 v1, v10 offset:128
	ds_store_b8 v6, v15 offset:128
	;; [unrolled: 1-line block ×5, first 2 shown]
	v_dual_add_nc_u32 v1, v53, v35 :: v_dual_add_nc_u32 v9, v59, v44
	v_and_b32_e32 v61, 0xffff, v61
	v_and_b32_e32 v47, 0xffff, v47
	v_dual_add_nc_u32 v6, v55, v39 :: v_dual_add_nc_u32 v7, v69, v41
	v_and_b32_e32 v62, 0xffff, v62
	v_and_b32_e32 v48, 0xffff, v48
	;; [unrolled: 1-line block ×4, first 2 shown]
	v_add_nc_u32_e32 v8, v58, v43
	v_and_b32_e32 v64, 0xffff, v64
	v_and_b32_e32 v50, 0xffff, v50
	ds_store_b8 v1, v22 offset:128
	ds_store_b8 v6, v25 offset:128
	;; [unrolled: 1-line block ×5, first 2 shown]
	v_dual_add_nc_u32 v1, v60, v46 :: v_dual_add_nc_u32 v6, v61, v47
	v_dual_add_nc_u32 v7, v62, v48 :: v_dual_add_nc_u32 v8, v63, v49
	v_add_nc_u32_e32 v9, v64, v50
	v_and_b32_e32 v65, 0xffff, v65
	v_and_b32_e32 v68, 0xffff, v68
	;; [unrolled: 1-line block ×4, first 2 shown]
	ds_store_b8 v1, v31 offset:128
	ds_store_b8 v6, v33 offset:128
	;; [unrolled: 1-line block ×5, first 2 shown]
	v_mov_b32_e32 v7, 0
	v_and_b32_e32 v66, 0xffff, v66
	v_and_b32_e32 v54, 0xffff, v54
	v_and_b32_e32 v67, 0xffff, v67
	v_and_b32_e32 v56, 0xffff, v56
	v_dual_add_nc_u32 v6, v65, v52 :: v_dual_add_nc_u32 v10, v68, v57
	v_dual_mov_b32 v1, v7 :: v_dual_lshlrev_b32 v5, 3, v0
	s_delay_alu instid0(VALU_DEP_3)
	v_dual_add_nc_u32 v8, v66, v54 :: v_dual_add_nc_u32 v9, v67, v56
	s_not_b32 s3, s12
	ds_store_b8 v6, v37 offset:128
	ds_store_b8 v8, v14 offset:128
	;; [unrolled: 1-line block ×4, first 2 shown]
	s_and_saveexec_b32 s4, s2
	s_cbranch_execz .LBB1768_133
; %bb.124:
	v_lshl_add_u32 v6, s19, 4, v0
	v_dual_mov_b32 v10, 0 :: v_dual_bitop2_b32 v11, 2.0, v4 bitop3:0x54
	s_mov_b32 s5, 0
	s_mov_b32 s6, s19
	s_delay_alu instid0(VALU_DEP_2)
	v_lshl_add_u64 v[8:9], v[6:7], 2, s[20:21]
	global_store_b32 v6, v11, s[20:21] scale_offset scope:SCOPE_DEV
                                        ; implicit-def: $sgpr2
	s_branch .LBB1768_127
.LBB1768_125:                           ;   in Loop: Header=BB1768_127 Depth=1
	s_or_b32 exec_lo, exec_lo, s12
.LBB1768_126:                           ;   in Loop: Header=BB1768_127 Depth=1
	s_delay_alu instid0(SALU_CYCLE_1) | instskip(SKIP_2) | instid1(VALU_DEP_2)
	s_or_b32 exec_lo, exec_lo, s7
	v_and_b32_e32 v6, 0x3fffffff, v11
	v_cmp_gt_i32_e64 s2, -2.0, v11
	v_add_nc_u32_e32 v10, v6, v10
	s_and_b32 s7, exec_lo, s2
	s_delay_alu instid0(SALU_CYCLE_1) | instskip(NEXT) | instid1(SALU_CYCLE_1)
	s_or_b32 s5, s7, s5
	s_and_not1_b32 exec_lo, exec_lo, s5
	s_cbranch_execz .LBB1768_132
.LBB1768_127:                           ; =>This Loop Header: Depth=1
                                        ;     Child Loop BB1768_130 Depth 2
	s_or_b32 s2, s2, exec_lo
	s_cmp_eq_u32 s6, 0
	s_cbranch_scc1 .LBB1768_131
; %bb.128:                              ;   in Loop: Header=BB1768_127 Depth=1
	s_add_co_i32 s6, s6, -1
	s_mov_b32 s7, exec_lo
	s_wait_xcnt 0x0
	v_lshl_or_b32 v6, s6, 4, v0
	global_load_b32 v11, v6, s[20:21] scale_offset scope:SCOPE_DEV
	s_wait_loadcnt 0x0
	v_cmpx_gt_u32_e32 2.0, v11
	s_cbranch_execz .LBB1768_126
; %bb.129:                              ;   in Loop: Header=BB1768_127 Depth=1
	v_lshl_add_u64 v[12:13], v[6:7], 2, s[20:21]
	s_mov_b32 s12, 0
.LBB1768_130:                           ;   Parent Loop BB1768_127 Depth=1
                                        ; =>  This Inner Loop Header: Depth=2
	global_load_b32 v11, v[12:13], off scope:SCOPE_DEV
	s_wait_loadcnt 0x0
	v_cmp_lt_u32_e64 s2, 0x3fffffff, v11
	s_or_b32 s12, s2, s12
	s_wait_xcnt 0x0
	s_and_not1_b32 exec_lo, exec_lo, s12
	s_cbranch_execnz .LBB1768_130
	s_branch .LBB1768_125
.LBB1768_131:                           ;   in Loop: Header=BB1768_127 Depth=1
                                        ; implicit-def: $sgpr6
	s_and_b32 s7, exec_lo, s2
	s_delay_alu instid0(SALU_CYCLE_1)
	s_or_b32 s5, s7, s5
	s_wait_xcnt 0x0
	s_and_not1_b32 exec_lo, exec_lo, s5
	s_cbranch_execnz .LBB1768_127
.LBB1768_132:
	s_or_b32 exec_lo, exec_lo, s5
	v_dual_mov_b32 v11, 0 :: v_dual_add_nc_u32 v6, v10, v4
	s_delay_alu instid0(VALU_DEP_1) | instskip(SKIP_4) | instid1(VALU_DEP_1)
	v_or_b32_e32 v6, 0x80000000, v6
	global_store_b32 v[8:9], v6, off scope:SCOPE_DEV
	global_load_b64 v[6:7], v0, s[8:9] scale_offset
	v_sub_nc_u64_e32 v[8:9], v[10:11], v[2:3]
	s_wait_loadcnt 0x0
	v_add_nc_u64_e32 v[6:7], v[8:9], v[6:7]
	ds_store_b64 v5, v[6:7]
.LBB1768_133:
	s_wait_xcnt 0x0
	s_or_b32 exec_lo, exec_lo, s4
	s_wait_storecnt_dscnt 0x0
	s_barrier_signal -1
	s_barrier_wait -1
	ds_load_u8 v26, v0 offset:20608
	ds_load_u8 v27, v0 offset:21632
	;; [unrolled: 1-line block ×22, first 2 shown]
	s_wait_dscnt 0xf
	v_and_b32_e32 v12, 1, v10
	v_xor_b32_e32 v45, 1, v10
	v_and_b32_e32 v13, 1, v20
	v_and_b32_e32 v11, 1, v8
	v_and_b32_e32 v7, 1, v27
	v_and_b32_e32 v6, 1, v26
	s_wait_dscnt 0x9
	v_dual_lshrrev_b32 v13, s16, v13 :: v_dual_bitop2_b32 v23, 1, v35 bitop3:0x40
	s_delay_alu instid0(VALU_DEP_3) | instskip(NEXT) | instid1(VALU_DEP_3)
	v_dual_lshrrev_b32 v7, s16, v7 :: v_dual_bitop2_b32 v22, 1, v34 bitop3:0x40
	v_dual_lshrrev_b32 v6, s16, v6 :: v_dual_bitop2_b32 v24, 1, v8 bitop3:0x14
	s_delay_alu instid0(VALU_DEP_3) | instskip(NEXT) | instid1(VALU_DEP_4)
	v_dual_lshrrev_b32 v11, s16, v11 :: v_dual_bitop2_b32 v13, s3, v13 bitop3:0x40
	v_dual_lshrrev_b32 v23, s16, v23 :: v_dual_bitop2_b32 v10, 1, v30 bitop3:0x40
	s_delay_alu instid0(VALU_DEP_4) | instskip(NEXT) | instid1(VALU_DEP_2)
	v_dual_lshrrev_b32 v22, s16, v22 :: v_dual_bitop2_b32 v7, s3, v7 bitop3:0x40
	v_dual_lshlrev_b32 v13, 3, v13 :: v_dual_lshrrev_b32 v10, s16, v10
	v_dual_lshrrev_b32 v12, s16, v12 :: v_dual_bitop2_b32 v6, s3, v6 bitop3:0x40
	s_wait_dscnt 0x8
	s_delay_alu instid0(VALU_DEP_3) | instskip(NEXT) | instid1(VALU_DEP_3)
	v_dual_lshlrev_b32 v9, 3, v7 :: v_dual_bitop2_b32 v25, 1, v36 bitop3:0x40
	v_and_b32_e32 v10, s3, v10
	s_delay_alu instid0(VALU_DEP_3)
	v_and_b32_e32 v12, s3, v12
	v_dual_lshlrev_b32 v6, 3, v6 :: v_dual_bitop2_b32 v18, 1, v31 bitop3:0x40
	ds_load_b64 v[6:7], v6
	ds_load_b64 v[8:9], v9
	v_dual_lshlrev_b32 v15, 3, v12 :: v_dual_bitop2_b32 v21, 1, v33 bitop3:0x40
	v_dual_lshrrev_b32 v18, s16, v18 :: v_dual_bitop2_b32 v11, s3, v11 bitop3:0x40
	v_dual_lshrrev_b32 v25, s16, v25 :: v_dual_bitop2_b32 v19, 1, v32 bitop3:0x40
	s_delay_alu instid0(VALU_DEP_3) | instskip(NEXT) | instid1(VALU_DEP_3)
	v_dual_lshlrev_b32 v16, 3, v10 :: v_dual_lshrrev_b32 v21, s16, v21
	v_lshlrev_b32_e32 v14, 3, v11
	ds_load_b64 v[10:11], v13
	ds_load_b64 v[12:13], v14
	v_and_b32_e32 v48, s3, v22
	s_wait_dscnt 0xb
	v_and_b32_e32 v46, 1, v37
	v_and_b32_e32 v21, s3, v21
	s_wait_dscnt 0xa
	v_and_b32_e32 v47, 1, v38
	ds_load_b64 v[14:15], v15
	ds_load_b64 v[16:17], v16
	v_lshrrev_b32_e32 v19, s16, v19
	v_dual_lshlrev_b32 v23, 3, v21 :: v_dual_bitop2_b32 v49, s3, v23 bitop3:0x40
	v_dual_lshrrev_b32 v47, s16, v47 :: v_dual_bitop2_b32 v18, s3, v18 bitop3:0x40
	v_xor_b32_e32 v50, 1, v20
	v_xor_b32_e32 v30, 1, v30
	s_wait_dscnt 0x5
	v_add_nc_u64_e32 v[6:7], s[14:15], v[6:7]
	v_and_b32_e32 v47, s3, v47
	v_and_b32_e32 v25, s3, v25
	v_dual_lshlrev_b32 v18, 3, v18 :: v_dual_bitop2_b32 v19, s3, v19 bitop3:0x40
	s_wait_dscnt 0x4
	v_add_nc_u64_e32 v[8:9], s[14:15], v[8:9]
	s_wait_dscnt 0x3
	v_add_nc_u64_e32 v[10:11], s[14:15], v[10:11]
	;; [unrolled: 2-line block ×3, first 2 shown]
	v_lshlrev_b32_e32 v22, 3, v19
	ds_load_b64 v[18:19], v18
	ds_load_b64 v[20:21], v22
	;; [unrolled: 1-line block ×3, first 2 shown]
	v_add_nc_u64_e32 v[10:11], v[10:11], v[0:1]
	v_add_nc_u64_e32 v[12:13], v[12:13], v[0:1]
	s_wait_dscnt 0x4
	v_add_nc_u64_e32 v[14:15], s[14:15], v[14:15]
	s_wait_dscnt 0x3
	v_add_nc_u64_e32 v[16:17], s[14:15], v[16:17]
	s_clause 0x1
	global_store_b8 v[10:11], v50, off
	global_store_b8 v[12:13], v24, off offset:1024
	s_wait_xcnt 0x1
	v_dual_lshlrev_b32 v10, 3, v48 :: v_dual_lshrrev_b32 v46, s16, v46
	v_add_nc_u64_e32 v[14:15], v[14:15], v[0:1]
	s_wait_xcnt 0x0
	v_lshlrev_b32_e32 v12, 3, v49
	v_add_nc_u64_e32 v[16:17], v[16:17], v[0:1]
	v_dual_lshlrev_b32 v24, 3, v25 :: v_dual_bitop2_b32 v46, s3, v46 bitop3:0x40
	ds_load_b64 v[10:11], v10
	ds_load_b64 v[12:13], v12
	;; [unrolled: 1-line block ×3, first 2 shown]
	global_store_b8 v[14:15], v45, off offset:2048
	s_wait_dscnt 0x5
	s_wait_xcnt 0x0
	v_add_nc_u64_e32 v[14:15], s[14:15], v[18:19]
	v_dual_lshlrev_b32 v45, 3, v46 :: v_dual_lshlrev_b32 v46, 3, v47
	global_store_b8 v[16:17], v30, off offset:3072
	s_wait_dscnt 0x4
	s_wait_xcnt 0x0
	v_add_nc_u64_e32 v[16:17], s[14:15], v[20:21]
	s_wait_dscnt 0x3
	v_add_nc_u64_e32 v[18:19], s[14:15], v[22:23]
	ds_load_b64 v[20:21], v45
	ds_load_b64 v[22:23], v46
	v_add_nc_u64_e32 v[14:15], v[14:15], v[0:1]
	v_xor_b32_e32 v30, 1, v31
	v_xor_b32_e32 v31, 1, v32
	;; [unrolled: 1-line block ×3, first 2 shown]
	v_add_nc_u64_e32 v[16:17], v[16:17], v[0:1]
	v_add_nc_u64_e32 v[18:19], v[18:19], v[0:1]
	v_xor_b32_e32 v33, 1, v42
	s_clause 0x2
	global_store_b8 v[14:15], v30, off offset:4096
	global_store_b8 v[16:17], v31, off offset:5120
	;; [unrolled: 1-line block ×3, first 2 shown]
	s_wait_dscnt 0x4
	v_add_nc_u64_e32 v[10:11], s[14:15], v[10:11]
	s_wait_dscnt 0x3
	v_add_nc_u64_e32 v[12:13], s[14:15], v[12:13]
	s_wait_dscnt 0x2
	s_wait_xcnt 0x2
	v_add_nc_u64_e32 v[14:15], s[14:15], v[24:25]
	v_xor_b32_e32 v24, 1, v34
	v_xor_b32_e32 v25, 1, v35
	s_wait_xcnt 0x0
	v_xor_b32_e32 v32, 1, v38
	s_wait_dscnt 0x1
	v_add_nc_u64_e32 v[16:17], s[14:15], v[20:21]
	v_add_nc_u64_e32 v[10:11], v[10:11], v[0:1]
	s_wait_dscnt 0x0
	v_add_nc_u64_e32 v[18:19], s[14:15], v[22:23]
	v_add_nc_u64_e32 v[12:13], v[12:13], v[0:1]
	s_clause 0x1
	global_store_b8 v[10:11], v24, off offset:7168
	global_store_b8 v[12:13], v25, off offset:8192
	s_wait_xcnt 0x0
	v_add_nc_u64_e32 v[12:13], v[18:19], v[0:1]
	v_and_b32_e32 v18, 1, v43
	v_and_b32_e32 v23, 1, v44
	v_add_nc_u64_e32 v[14:15], v[14:15], v[0:1]
	v_xor_b32_e32 v24, 1, v37
	s_delay_alu instid0(VALU_DEP_4) | instskip(NEXT) | instid1(VALU_DEP_4)
	v_dual_lshrrev_b32 v18, s16, v18 :: v_dual_bitop2_b32 v25, 1, v28 bitop3:0x40
	v_lshrrev_b32_e32 v31, s16, v23
	v_and_b32_e32 v20, 1, v39
	v_add_nc_u64_e32 v[10:11], v[16:17], v[0:1]
	v_and_b32_e32 v17, 1, v42
	v_and_b32_e32 v18, s3, v18
	v_xor_b32_e32 v30, 1, v36
	v_and_b32_e32 v31, s3, v31
	v_and_b32_e32 v16, 1, v41
	s_delay_alu instid0(VALU_DEP_4)
	v_dual_lshrrev_b32 v25, s16, v25 :: v_dual_lshlrev_b32 v22, 3, v18
	global_store_b8 v[14:15], v30, off offset:9216
	s_wait_xcnt 0x0
	v_and_b32_e32 v30, 1, v29
	v_and_b32_e32 v15, 1, v40
	v_lshrrev_b32_e32 v14, s16, v20
	v_dual_lshrrev_b32 v16, s16, v16 :: v_dual_lshrrev_b32 v17, s16, v17
	s_delay_alu instid0(VALU_DEP_3) | instskip(NEXT) | instid1(VALU_DEP_3)
	v_dual_lshrrev_b32 v30, s16, v30 :: v_dual_lshrrev_b32 v15, s16, v15
	v_and_b32_e32 v14, s3, v14
	s_delay_alu instid0(VALU_DEP_3) | instskip(NEXT) | instid1(VALU_DEP_4)
	v_and_b32_e32 v16, s3, v16
	v_and_b32_e32 v17, s3, v17
	v_add_nc_u64_e32 v[6:7], v[6:7], v[0:1]
	s_delay_alu instid0(VALU_DEP_4) | instskip(NEXT) | instid1(VALU_DEP_3)
	v_dual_lshlrev_b32 v14, 3, v14 :: v_dual_bitop2_b32 v19, s3, v15 bitop3:0x40
	v_dual_lshlrev_b32 v20, 3, v16 :: v_dual_lshlrev_b32 v21, 3, v17
	v_add_nc_u64_e32 v[8:9], v[8:9], v[0:1]
	s_delay_alu instid0(VALU_DEP_3)
	v_lshlrev_b32_e32 v19, 3, v19
	ds_load_b64 v[14:15], v14
	ds_load_b64 v[16:17], v19
	;; [unrolled: 1-line block ×4, first 2 shown]
	global_store_b8 v[10:11], v24, off offset:10240
	s_wait_xcnt 0x0
	v_and_b32_e32 v10, s3, v25
	global_store_b8 v[12:13], v32, off offset:11264
	s_wait_xcnt 0x0
	v_dual_lshlrev_b32 v13, 3, v31 :: v_dual_bitop2_b32 v12, s3, v30 bitop3:0x40
	ds_load_b64 v[22:23], v22
	v_dual_lshlrev_b32 v24, 3, v10 :: v_dual_bitop2_b32 v30, 1, v39 bitop3:0x14
	v_lshlrev_b32_e32 v25, 3, v12
	v_xor_b32_e32 v31, 1, v40
	v_xor_b32_e32 v32, 1, v41
	s_wait_dscnt 0x4
	v_add_nc_u64_e32 v[10:11], s[14:15], v[14:15]
	s_wait_dscnt 0x3
	v_add_nc_u64_e32 v[14:15], s[14:15], v[16:17]
	ds_load_b64 v[16:17], v24
	ds_load_b64 v[12:13], v13
	;; [unrolled: 1-line block ×3, first 2 shown]
	s_wait_dscnt 0x5
	v_add_nc_u64_e32 v[18:19], s[14:15], v[18:19]
	s_wait_dscnt 0x4
	v_add_nc_u64_e32 v[20:21], s[14:15], v[20:21]
	v_add_nc_u64_e32 v[10:11], v[10:11], v[0:1]
	v_add_nc_u64_e32 v[14:15], v[14:15], v[0:1]
	s_wait_dscnt 0x3
	v_add_nc_u64_e32 v[22:23], s[14:15], v[22:23]
	v_add_nc_u64_e32 v[18:19], v[18:19], v[0:1]
	;; [unrolled: 1-line block ×3, first 2 shown]
	s_clause 0x3
	global_store_b8 v[10:11], v30, off offset:12288
	global_store_b8 v[14:15], v31, off offset:13312
	global_store_b8 v[18:19], v32, off offset:14336
	global_store_b8 v[20:21], v33, off offset:15360
	v_add_nc_u64_e32 v[22:23], v[22:23], v[0:1]
	s_wait_xcnt 0x3
	v_xor_b32_e32 v30, 1, v43
	s_wait_xcnt 0x1
	v_xor_b32_e32 v18, 1, v29
	v_xor_b32_e32 v19, 1, v27
	s_wait_dscnt 0x1
	v_add_nc_u64_e32 v[10:11], s[14:15], v[12:13]
	v_add_nc_u64_e32 v[12:13], s[14:15], v[16:17]
	s_wait_dscnt 0x0
	v_add_nc_u64_e32 v[14:15], s[14:15], v[24:25]
	v_xor_b32_e32 v16, 1, v44
	v_xor_b32_e32 v17, 1, v28
	global_store_b8 v[22:23], v30, off offset:16384
	v_add_nc_u64_e32 v[10:11], v[10:11], v[0:1]
	v_add_nc_u64_e32 v[12:13], v[12:13], v[0:1]
	v_add_nc_u64_e32 v[14:15], v[14:15], v[0:1]
	v_xor_b32_e32 v1, 1, v26
	s_clause 0x4
	global_store_b8 v[10:11], v16, off offset:17408
	global_store_b8 v[12:13], v17, off offset:18432
	global_store_b8 v[14:15], v18, off offset:19456
	global_store_b8 v[6:7], v1, off offset:20480
	global_store_b8 v[8:9], v19, off offset:21504
	s_load_b32 s0, s[0:1], 0x58
	s_wait_kmcnt 0x0
	s_add_co_i32 s0, s0, -1
	s_delay_alu instid0(SALU_CYCLE_1) | instskip(SKIP_2) | instid1(SALU_CYCLE_1)
	s_cmp_eq_u32 s19, s0
	s_cselect_b32 s0, -1, 0
	s_xor_b32 s1, vcc_lo, -1
	s_and_b32 s0, s1, s0
	s_delay_alu instid0(SALU_CYCLE_1)
	s_and_saveexec_b32 s1, s0
	s_cbranch_execz .LBB1768_135
; %bb.134:
	ds_load_b64 v[6:7], v5
	v_mov_b32_e32 v5, 0
	s_delay_alu instid0(VALU_DEP_1) | instskip(SKIP_1) | instid1(VALU_DEP_1)
	v_add_nc_u64_e32 v[2:3], v[2:3], v[4:5]
	s_wait_dscnt 0x0
	v_add_nc_u64_e32 v[2:3], v[2:3], v[6:7]
	global_store_b64 v0, v[2:3], s[10:11] scale_offset
.LBB1768_135:
	s_sendmsg sendmsg(MSG_DEALLOC_VGPRS)
	s_endpgm
	.section	.rodata,"a",@progbits
	.p2align	6, 0x0
	.amdhsa_kernel _ZN7rocprim17ROCPRIM_400000_NS6detail17trampoline_kernelINS0_14default_configENS1_35radix_sort_onesweep_config_selectorIbNS0_10empty_typeEEEZZNS1_29radix_sort_onesweep_iterationIS3_Lb1EPKbPbPS5_SB_mNS0_19identity_decomposerENS1_16block_id_wrapperIjLb0EEEEE10hipError_tT1_PNSt15iterator_traitsISG_E10value_typeET2_T3_PNSH_ISM_E10value_typeET4_T5_PSR_SS_PNS1_23onesweep_lookback_stateEbbT6_jjT7_P12ihipStream_tbENKUlT_T0_SG_SL_E_clISA_SA_SB_SB_EEDaSZ_S10_SG_SL_EUlSZ_E_NS1_11comp_targetILNS1_3genE0ELNS1_11target_archE4294967295ELNS1_3gpuE0ELNS1_3repE0EEENS1_47radix_sort_onesweep_sort_config_static_selectorELNS0_4arch9wavefront6targetE0EEEvSG_
		.amdhsa_group_segment_fixed_size 32904
		.amdhsa_private_segment_fixed_size 0
		.amdhsa_kernarg_size 344
		.amdhsa_user_sgpr_count 2
		.amdhsa_user_sgpr_dispatch_ptr 0
		.amdhsa_user_sgpr_queue_ptr 0
		.amdhsa_user_sgpr_kernarg_segment_ptr 1
		.amdhsa_user_sgpr_dispatch_id 0
		.amdhsa_user_sgpr_kernarg_preload_length 0
		.amdhsa_user_sgpr_kernarg_preload_offset 0
		.amdhsa_user_sgpr_private_segment_size 0
		.amdhsa_wavefront_size32 1
		.amdhsa_uses_dynamic_stack 0
		.amdhsa_enable_private_segment 0
		.amdhsa_system_sgpr_workgroup_id_x 1
		.amdhsa_system_sgpr_workgroup_id_y 0
		.amdhsa_system_sgpr_workgroup_id_z 0
		.amdhsa_system_sgpr_workgroup_info 0
		.amdhsa_system_vgpr_workitem_id 0
		.amdhsa_next_free_vgpr 80
		.amdhsa_next_free_sgpr 25
		.amdhsa_named_barrier_count 0
		.amdhsa_reserve_vcc 1
		.amdhsa_float_round_mode_32 0
		.amdhsa_float_round_mode_16_64 0
		.amdhsa_float_denorm_mode_32 3
		.amdhsa_float_denorm_mode_16_64 3
		.amdhsa_fp16_overflow 0
		.amdhsa_memory_ordered 1
		.amdhsa_forward_progress 1
		.amdhsa_inst_pref_size 103
		.amdhsa_round_robin_scheduling 0
		.amdhsa_exception_fp_ieee_invalid_op 0
		.amdhsa_exception_fp_denorm_src 0
		.amdhsa_exception_fp_ieee_div_zero 0
		.amdhsa_exception_fp_ieee_overflow 0
		.amdhsa_exception_fp_ieee_underflow 0
		.amdhsa_exception_fp_ieee_inexact 0
		.amdhsa_exception_int_div_zero 0
	.end_amdhsa_kernel
	.section	.text._ZN7rocprim17ROCPRIM_400000_NS6detail17trampoline_kernelINS0_14default_configENS1_35radix_sort_onesweep_config_selectorIbNS0_10empty_typeEEEZZNS1_29radix_sort_onesweep_iterationIS3_Lb1EPKbPbPS5_SB_mNS0_19identity_decomposerENS1_16block_id_wrapperIjLb0EEEEE10hipError_tT1_PNSt15iterator_traitsISG_E10value_typeET2_T3_PNSH_ISM_E10value_typeET4_T5_PSR_SS_PNS1_23onesweep_lookback_stateEbbT6_jjT7_P12ihipStream_tbENKUlT_T0_SG_SL_E_clISA_SA_SB_SB_EEDaSZ_S10_SG_SL_EUlSZ_E_NS1_11comp_targetILNS1_3genE0ELNS1_11target_archE4294967295ELNS1_3gpuE0ELNS1_3repE0EEENS1_47radix_sort_onesweep_sort_config_static_selectorELNS0_4arch9wavefront6targetE0EEEvSG_,"axG",@progbits,_ZN7rocprim17ROCPRIM_400000_NS6detail17trampoline_kernelINS0_14default_configENS1_35radix_sort_onesweep_config_selectorIbNS0_10empty_typeEEEZZNS1_29radix_sort_onesweep_iterationIS3_Lb1EPKbPbPS5_SB_mNS0_19identity_decomposerENS1_16block_id_wrapperIjLb0EEEEE10hipError_tT1_PNSt15iterator_traitsISG_E10value_typeET2_T3_PNSH_ISM_E10value_typeET4_T5_PSR_SS_PNS1_23onesweep_lookback_stateEbbT6_jjT7_P12ihipStream_tbENKUlT_T0_SG_SL_E_clISA_SA_SB_SB_EEDaSZ_S10_SG_SL_EUlSZ_E_NS1_11comp_targetILNS1_3genE0ELNS1_11target_archE4294967295ELNS1_3gpuE0ELNS1_3repE0EEENS1_47radix_sort_onesweep_sort_config_static_selectorELNS0_4arch9wavefront6targetE0EEEvSG_,comdat
.Lfunc_end1768:
	.size	_ZN7rocprim17ROCPRIM_400000_NS6detail17trampoline_kernelINS0_14default_configENS1_35radix_sort_onesweep_config_selectorIbNS0_10empty_typeEEEZZNS1_29radix_sort_onesweep_iterationIS3_Lb1EPKbPbPS5_SB_mNS0_19identity_decomposerENS1_16block_id_wrapperIjLb0EEEEE10hipError_tT1_PNSt15iterator_traitsISG_E10value_typeET2_T3_PNSH_ISM_E10value_typeET4_T5_PSR_SS_PNS1_23onesweep_lookback_stateEbbT6_jjT7_P12ihipStream_tbENKUlT_T0_SG_SL_E_clISA_SA_SB_SB_EEDaSZ_S10_SG_SL_EUlSZ_E_NS1_11comp_targetILNS1_3genE0ELNS1_11target_archE4294967295ELNS1_3gpuE0ELNS1_3repE0EEENS1_47radix_sort_onesweep_sort_config_static_selectorELNS0_4arch9wavefront6targetE0EEEvSG_, .Lfunc_end1768-_ZN7rocprim17ROCPRIM_400000_NS6detail17trampoline_kernelINS0_14default_configENS1_35radix_sort_onesweep_config_selectorIbNS0_10empty_typeEEEZZNS1_29radix_sort_onesweep_iterationIS3_Lb1EPKbPbPS5_SB_mNS0_19identity_decomposerENS1_16block_id_wrapperIjLb0EEEEE10hipError_tT1_PNSt15iterator_traitsISG_E10value_typeET2_T3_PNSH_ISM_E10value_typeET4_T5_PSR_SS_PNS1_23onesweep_lookback_stateEbbT6_jjT7_P12ihipStream_tbENKUlT_T0_SG_SL_E_clISA_SA_SB_SB_EEDaSZ_S10_SG_SL_EUlSZ_E_NS1_11comp_targetILNS1_3genE0ELNS1_11target_archE4294967295ELNS1_3gpuE0ELNS1_3repE0EEENS1_47radix_sort_onesweep_sort_config_static_selectorELNS0_4arch9wavefront6targetE0EEEvSG_
                                        ; -- End function
	.set _ZN7rocprim17ROCPRIM_400000_NS6detail17trampoline_kernelINS0_14default_configENS1_35radix_sort_onesweep_config_selectorIbNS0_10empty_typeEEEZZNS1_29radix_sort_onesweep_iterationIS3_Lb1EPKbPbPS5_SB_mNS0_19identity_decomposerENS1_16block_id_wrapperIjLb0EEEEE10hipError_tT1_PNSt15iterator_traitsISG_E10value_typeET2_T3_PNSH_ISM_E10value_typeET4_T5_PSR_SS_PNS1_23onesweep_lookback_stateEbbT6_jjT7_P12ihipStream_tbENKUlT_T0_SG_SL_E_clISA_SA_SB_SB_EEDaSZ_S10_SG_SL_EUlSZ_E_NS1_11comp_targetILNS1_3genE0ELNS1_11target_archE4294967295ELNS1_3gpuE0ELNS1_3repE0EEENS1_47radix_sort_onesweep_sort_config_static_selectorELNS0_4arch9wavefront6targetE0EEEvSG_.num_vgpr, 80
	.set _ZN7rocprim17ROCPRIM_400000_NS6detail17trampoline_kernelINS0_14default_configENS1_35radix_sort_onesweep_config_selectorIbNS0_10empty_typeEEEZZNS1_29radix_sort_onesweep_iterationIS3_Lb1EPKbPbPS5_SB_mNS0_19identity_decomposerENS1_16block_id_wrapperIjLb0EEEEE10hipError_tT1_PNSt15iterator_traitsISG_E10value_typeET2_T3_PNSH_ISM_E10value_typeET4_T5_PSR_SS_PNS1_23onesweep_lookback_stateEbbT6_jjT7_P12ihipStream_tbENKUlT_T0_SG_SL_E_clISA_SA_SB_SB_EEDaSZ_S10_SG_SL_EUlSZ_E_NS1_11comp_targetILNS1_3genE0ELNS1_11target_archE4294967295ELNS1_3gpuE0ELNS1_3repE0EEENS1_47radix_sort_onesweep_sort_config_static_selectorELNS0_4arch9wavefront6targetE0EEEvSG_.num_agpr, 0
	.set _ZN7rocprim17ROCPRIM_400000_NS6detail17trampoline_kernelINS0_14default_configENS1_35radix_sort_onesweep_config_selectorIbNS0_10empty_typeEEEZZNS1_29radix_sort_onesweep_iterationIS3_Lb1EPKbPbPS5_SB_mNS0_19identity_decomposerENS1_16block_id_wrapperIjLb0EEEEE10hipError_tT1_PNSt15iterator_traitsISG_E10value_typeET2_T3_PNSH_ISM_E10value_typeET4_T5_PSR_SS_PNS1_23onesweep_lookback_stateEbbT6_jjT7_P12ihipStream_tbENKUlT_T0_SG_SL_E_clISA_SA_SB_SB_EEDaSZ_S10_SG_SL_EUlSZ_E_NS1_11comp_targetILNS1_3genE0ELNS1_11target_archE4294967295ELNS1_3gpuE0ELNS1_3repE0EEENS1_47radix_sort_onesweep_sort_config_static_selectorELNS0_4arch9wavefront6targetE0EEEvSG_.numbered_sgpr, 25
	.set _ZN7rocprim17ROCPRIM_400000_NS6detail17trampoline_kernelINS0_14default_configENS1_35radix_sort_onesweep_config_selectorIbNS0_10empty_typeEEEZZNS1_29radix_sort_onesweep_iterationIS3_Lb1EPKbPbPS5_SB_mNS0_19identity_decomposerENS1_16block_id_wrapperIjLb0EEEEE10hipError_tT1_PNSt15iterator_traitsISG_E10value_typeET2_T3_PNSH_ISM_E10value_typeET4_T5_PSR_SS_PNS1_23onesweep_lookback_stateEbbT6_jjT7_P12ihipStream_tbENKUlT_T0_SG_SL_E_clISA_SA_SB_SB_EEDaSZ_S10_SG_SL_EUlSZ_E_NS1_11comp_targetILNS1_3genE0ELNS1_11target_archE4294967295ELNS1_3gpuE0ELNS1_3repE0EEENS1_47radix_sort_onesweep_sort_config_static_selectorELNS0_4arch9wavefront6targetE0EEEvSG_.num_named_barrier, 0
	.set _ZN7rocprim17ROCPRIM_400000_NS6detail17trampoline_kernelINS0_14default_configENS1_35radix_sort_onesweep_config_selectorIbNS0_10empty_typeEEEZZNS1_29radix_sort_onesweep_iterationIS3_Lb1EPKbPbPS5_SB_mNS0_19identity_decomposerENS1_16block_id_wrapperIjLb0EEEEE10hipError_tT1_PNSt15iterator_traitsISG_E10value_typeET2_T3_PNSH_ISM_E10value_typeET4_T5_PSR_SS_PNS1_23onesweep_lookback_stateEbbT6_jjT7_P12ihipStream_tbENKUlT_T0_SG_SL_E_clISA_SA_SB_SB_EEDaSZ_S10_SG_SL_EUlSZ_E_NS1_11comp_targetILNS1_3genE0ELNS1_11target_archE4294967295ELNS1_3gpuE0ELNS1_3repE0EEENS1_47radix_sort_onesweep_sort_config_static_selectorELNS0_4arch9wavefront6targetE0EEEvSG_.private_seg_size, 0
	.set _ZN7rocprim17ROCPRIM_400000_NS6detail17trampoline_kernelINS0_14default_configENS1_35radix_sort_onesweep_config_selectorIbNS0_10empty_typeEEEZZNS1_29radix_sort_onesweep_iterationIS3_Lb1EPKbPbPS5_SB_mNS0_19identity_decomposerENS1_16block_id_wrapperIjLb0EEEEE10hipError_tT1_PNSt15iterator_traitsISG_E10value_typeET2_T3_PNSH_ISM_E10value_typeET4_T5_PSR_SS_PNS1_23onesweep_lookback_stateEbbT6_jjT7_P12ihipStream_tbENKUlT_T0_SG_SL_E_clISA_SA_SB_SB_EEDaSZ_S10_SG_SL_EUlSZ_E_NS1_11comp_targetILNS1_3genE0ELNS1_11target_archE4294967295ELNS1_3gpuE0ELNS1_3repE0EEENS1_47radix_sort_onesweep_sort_config_static_selectorELNS0_4arch9wavefront6targetE0EEEvSG_.uses_vcc, 1
	.set _ZN7rocprim17ROCPRIM_400000_NS6detail17trampoline_kernelINS0_14default_configENS1_35radix_sort_onesweep_config_selectorIbNS0_10empty_typeEEEZZNS1_29radix_sort_onesweep_iterationIS3_Lb1EPKbPbPS5_SB_mNS0_19identity_decomposerENS1_16block_id_wrapperIjLb0EEEEE10hipError_tT1_PNSt15iterator_traitsISG_E10value_typeET2_T3_PNSH_ISM_E10value_typeET4_T5_PSR_SS_PNS1_23onesweep_lookback_stateEbbT6_jjT7_P12ihipStream_tbENKUlT_T0_SG_SL_E_clISA_SA_SB_SB_EEDaSZ_S10_SG_SL_EUlSZ_E_NS1_11comp_targetILNS1_3genE0ELNS1_11target_archE4294967295ELNS1_3gpuE0ELNS1_3repE0EEENS1_47radix_sort_onesweep_sort_config_static_selectorELNS0_4arch9wavefront6targetE0EEEvSG_.uses_flat_scratch, 0
	.set _ZN7rocprim17ROCPRIM_400000_NS6detail17trampoline_kernelINS0_14default_configENS1_35radix_sort_onesweep_config_selectorIbNS0_10empty_typeEEEZZNS1_29radix_sort_onesweep_iterationIS3_Lb1EPKbPbPS5_SB_mNS0_19identity_decomposerENS1_16block_id_wrapperIjLb0EEEEE10hipError_tT1_PNSt15iterator_traitsISG_E10value_typeET2_T3_PNSH_ISM_E10value_typeET4_T5_PSR_SS_PNS1_23onesweep_lookback_stateEbbT6_jjT7_P12ihipStream_tbENKUlT_T0_SG_SL_E_clISA_SA_SB_SB_EEDaSZ_S10_SG_SL_EUlSZ_E_NS1_11comp_targetILNS1_3genE0ELNS1_11target_archE4294967295ELNS1_3gpuE0ELNS1_3repE0EEENS1_47radix_sort_onesweep_sort_config_static_selectorELNS0_4arch9wavefront6targetE0EEEvSG_.has_dyn_sized_stack, 0
	.set _ZN7rocprim17ROCPRIM_400000_NS6detail17trampoline_kernelINS0_14default_configENS1_35radix_sort_onesweep_config_selectorIbNS0_10empty_typeEEEZZNS1_29radix_sort_onesweep_iterationIS3_Lb1EPKbPbPS5_SB_mNS0_19identity_decomposerENS1_16block_id_wrapperIjLb0EEEEE10hipError_tT1_PNSt15iterator_traitsISG_E10value_typeET2_T3_PNSH_ISM_E10value_typeET4_T5_PSR_SS_PNS1_23onesweep_lookback_stateEbbT6_jjT7_P12ihipStream_tbENKUlT_T0_SG_SL_E_clISA_SA_SB_SB_EEDaSZ_S10_SG_SL_EUlSZ_E_NS1_11comp_targetILNS1_3genE0ELNS1_11target_archE4294967295ELNS1_3gpuE0ELNS1_3repE0EEENS1_47radix_sort_onesweep_sort_config_static_selectorELNS0_4arch9wavefront6targetE0EEEvSG_.has_recursion, 0
	.set _ZN7rocprim17ROCPRIM_400000_NS6detail17trampoline_kernelINS0_14default_configENS1_35radix_sort_onesweep_config_selectorIbNS0_10empty_typeEEEZZNS1_29radix_sort_onesweep_iterationIS3_Lb1EPKbPbPS5_SB_mNS0_19identity_decomposerENS1_16block_id_wrapperIjLb0EEEEE10hipError_tT1_PNSt15iterator_traitsISG_E10value_typeET2_T3_PNSH_ISM_E10value_typeET4_T5_PSR_SS_PNS1_23onesweep_lookback_stateEbbT6_jjT7_P12ihipStream_tbENKUlT_T0_SG_SL_E_clISA_SA_SB_SB_EEDaSZ_S10_SG_SL_EUlSZ_E_NS1_11comp_targetILNS1_3genE0ELNS1_11target_archE4294967295ELNS1_3gpuE0ELNS1_3repE0EEENS1_47radix_sort_onesweep_sort_config_static_selectorELNS0_4arch9wavefront6targetE0EEEvSG_.has_indirect_call, 0
	.section	.AMDGPU.csdata,"",@progbits
; Kernel info:
; codeLenInByte = 13148
; TotalNumSgprs: 27
; NumVgprs: 80
; ScratchSize: 0
; MemoryBound: 0
; FloatMode: 240
; IeeeMode: 1
; LDSByteSize: 32904 bytes/workgroup (compile time only)
; SGPRBlocks: 0
; VGPRBlocks: 4
; NumSGPRsForWavesPerEU: 27
; NumVGPRsForWavesPerEU: 80
; NamedBarCnt: 0
; Occupancy: 12
; WaveLimiterHint : 0
; COMPUTE_PGM_RSRC2:SCRATCH_EN: 0
; COMPUTE_PGM_RSRC2:USER_SGPR: 2
; COMPUTE_PGM_RSRC2:TRAP_HANDLER: 0
; COMPUTE_PGM_RSRC2:TGID_X_EN: 1
; COMPUTE_PGM_RSRC2:TGID_Y_EN: 0
; COMPUTE_PGM_RSRC2:TGID_Z_EN: 0
; COMPUTE_PGM_RSRC2:TIDIG_COMP_CNT: 0
	.section	.text._ZN7rocprim17ROCPRIM_400000_NS6detail17trampoline_kernelINS0_14default_configENS1_35radix_sort_onesweep_config_selectorIbNS0_10empty_typeEEEZZNS1_29radix_sort_onesweep_iterationIS3_Lb1EPKbPbPS5_SB_mNS0_19identity_decomposerENS1_16block_id_wrapperIjLb0EEEEE10hipError_tT1_PNSt15iterator_traitsISG_E10value_typeET2_T3_PNSH_ISM_E10value_typeET4_T5_PSR_SS_PNS1_23onesweep_lookback_stateEbbT6_jjT7_P12ihipStream_tbENKUlT_T0_SG_SL_E_clISA_SA_SB_SB_EEDaSZ_S10_SG_SL_EUlSZ_E_NS1_11comp_targetILNS1_3genE6ELNS1_11target_archE950ELNS1_3gpuE13ELNS1_3repE0EEENS1_47radix_sort_onesweep_sort_config_static_selectorELNS0_4arch9wavefront6targetE0EEEvSG_,"axG",@progbits,_ZN7rocprim17ROCPRIM_400000_NS6detail17trampoline_kernelINS0_14default_configENS1_35radix_sort_onesweep_config_selectorIbNS0_10empty_typeEEEZZNS1_29radix_sort_onesweep_iterationIS3_Lb1EPKbPbPS5_SB_mNS0_19identity_decomposerENS1_16block_id_wrapperIjLb0EEEEE10hipError_tT1_PNSt15iterator_traitsISG_E10value_typeET2_T3_PNSH_ISM_E10value_typeET4_T5_PSR_SS_PNS1_23onesweep_lookback_stateEbbT6_jjT7_P12ihipStream_tbENKUlT_T0_SG_SL_E_clISA_SA_SB_SB_EEDaSZ_S10_SG_SL_EUlSZ_E_NS1_11comp_targetILNS1_3genE6ELNS1_11target_archE950ELNS1_3gpuE13ELNS1_3repE0EEENS1_47radix_sort_onesweep_sort_config_static_selectorELNS0_4arch9wavefront6targetE0EEEvSG_,comdat
	.protected	_ZN7rocprim17ROCPRIM_400000_NS6detail17trampoline_kernelINS0_14default_configENS1_35radix_sort_onesweep_config_selectorIbNS0_10empty_typeEEEZZNS1_29radix_sort_onesweep_iterationIS3_Lb1EPKbPbPS5_SB_mNS0_19identity_decomposerENS1_16block_id_wrapperIjLb0EEEEE10hipError_tT1_PNSt15iterator_traitsISG_E10value_typeET2_T3_PNSH_ISM_E10value_typeET4_T5_PSR_SS_PNS1_23onesweep_lookback_stateEbbT6_jjT7_P12ihipStream_tbENKUlT_T0_SG_SL_E_clISA_SA_SB_SB_EEDaSZ_S10_SG_SL_EUlSZ_E_NS1_11comp_targetILNS1_3genE6ELNS1_11target_archE950ELNS1_3gpuE13ELNS1_3repE0EEENS1_47radix_sort_onesweep_sort_config_static_selectorELNS0_4arch9wavefront6targetE0EEEvSG_ ; -- Begin function _ZN7rocprim17ROCPRIM_400000_NS6detail17trampoline_kernelINS0_14default_configENS1_35radix_sort_onesweep_config_selectorIbNS0_10empty_typeEEEZZNS1_29radix_sort_onesweep_iterationIS3_Lb1EPKbPbPS5_SB_mNS0_19identity_decomposerENS1_16block_id_wrapperIjLb0EEEEE10hipError_tT1_PNSt15iterator_traitsISG_E10value_typeET2_T3_PNSH_ISM_E10value_typeET4_T5_PSR_SS_PNS1_23onesweep_lookback_stateEbbT6_jjT7_P12ihipStream_tbENKUlT_T0_SG_SL_E_clISA_SA_SB_SB_EEDaSZ_S10_SG_SL_EUlSZ_E_NS1_11comp_targetILNS1_3genE6ELNS1_11target_archE950ELNS1_3gpuE13ELNS1_3repE0EEENS1_47radix_sort_onesweep_sort_config_static_selectorELNS0_4arch9wavefront6targetE0EEEvSG_
	.globl	_ZN7rocprim17ROCPRIM_400000_NS6detail17trampoline_kernelINS0_14default_configENS1_35radix_sort_onesweep_config_selectorIbNS0_10empty_typeEEEZZNS1_29radix_sort_onesweep_iterationIS3_Lb1EPKbPbPS5_SB_mNS0_19identity_decomposerENS1_16block_id_wrapperIjLb0EEEEE10hipError_tT1_PNSt15iterator_traitsISG_E10value_typeET2_T3_PNSH_ISM_E10value_typeET4_T5_PSR_SS_PNS1_23onesweep_lookback_stateEbbT6_jjT7_P12ihipStream_tbENKUlT_T0_SG_SL_E_clISA_SA_SB_SB_EEDaSZ_S10_SG_SL_EUlSZ_E_NS1_11comp_targetILNS1_3genE6ELNS1_11target_archE950ELNS1_3gpuE13ELNS1_3repE0EEENS1_47radix_sort_onesweep_sort_config_static_selectorELNS0_4arch9wavefront6targetE0EEEvSG_
	.p2align	8
	.type	_ZN7rocprim17ROCPRIM_400000_NS6detail17trampoline_kernelINS0_14default_configENS1_35radix_sort_onesweep_config_selectorIbNS0_10empty_typeEEEZZNS1_29radix_sort_onesweep_iterationIS3_Lb1EPKbPbPS5_SB_mNS0_19identity_decomposerENS1_16block_id_wrapperIjLb0EEEEE10hipError_tT1_PNSt15iterator_traitsISG_E10value_typeET2_T3_PNSH_ISM_E10value_typeET4_T5_PSR_SS_PNS1_23onesweep_lookback_stateEbbT6_jjT7_P12ihipStream_tbENKUlT_T0_SG_SL_E_clISA_SA_SB_SB_EEDaSZ_S10_SG_SL_EUlSZ_E_NS1_11comp_targetILNS1_3genE6ELNS1_11target_archE950ELNS1_3gpuE13ELNS1_3repE0EEENS1_47radix_sort_onesweep_sort_config_static_selectorELNS0_4arch9wavefront6targetE0EEEvSG_,@function
_ZN7rocprim17ROCPRIM_400000_NS6detail17trampoline_kernelINS0_14default_configENS1_35radix_sort_onesweep_config_selectorIbNS0_10empty_typeEEEZZNS1_29radix_sort_onesweep_iterationIS3_Lb1EPKbPbPS5_SB_mNS0_19identity_decomposerENS1_16block_id_wrapperIjLb0EEEEE10hipError_tT1_PNSt15iterator_traitsISG_E10value_typeET2_T3_PNSH_ISM_E10value_typeET4_T5_PSR_SS_PNS1_23onesweep_lookback_stateEbbT6_jjT7_P12ihipStream_tbENKUlT_T0_SG_SL_E_clISA_SA_SB_SB_EEDaSZ_S10_SG_SL_EUlSZ_E_NS1_11comp_targetILNS1_3genE6ELNS1_11target_archE950ELNS1_3gpuE13ELNS1_3repE0EEENS1_47radix_sort_onesweep_sort_config_static_selectorELNS0_4arch9wavefront6targetE0EEEvSG_: ; @_ZN7rocprim17ROCPRIM_400000_NS6detail17trampoline_kernelINS0_14default_configENS1_35radix_sort_onesweep_config_selectorIbNS0_10empty_typeEEEZZNS1_29radix_sort_onesweep_iterationIS3_Lb1EPKbPbPS5_SB_mNS0_19identity_decomposerENS1_16block_id_wrapperIjLb0EEEEE10hipError_tT1_PNSt15iterator_traitsISG_E10value_typeET2_T3_PNSH_ISM_E10value_typeET4_T5_PSR_SS_PNS1_23onesweep_lookback_stateEbbT6_jjT7_P12ihipStream_tbENKUlT_T0_SG_SL_E_clISA_SA_SB_SB_EEDaSZ_S10_SG_SL_EUlSZ_E_NS1_11comp_targetILNS1_3genE6ELNS1_11target_archE950ELNS1_3gpuE13ELNS1_3repE0EEENS1_47radix_sort_onesweep_sort_config_static_selectorELNS0_4arch9wavefront6targetE0EEEvSG_
; %bb.0:
	.section	.rodata,"a",@progbits
	.p2align	6, 0x0
	.amdhsa_kernel _ZN7rocprim17ROCPRIM_400000_NS6detail17trampoline_kernelINS0_14default_configENS1_35radix_sort_onesweep_config_selectorIbNS0_10empty_typeEEEZZNS1_29radix_sort_onesweep_iterationIS3_Lb1EPKbPbPS5_SB_mNS0_19identity_decomposerENS1_16block_id_wrapperIjLb0EEEEE10hipError_tT1_PNSt15iterator_traitsISG_E10value_typeET2_T3_PNSH_ISM_E10value_typeET4_T5_PSR_SS_PNS1_23onesweep_lookback_stateEbbT6_jjT7_P12ihipStream_tbENKUlT_T0_SG_SL_E_clISA_SA_SB_SB_EEDaSZ_S10_SG_SL_EUlSZ_E_NS1_11comp_targetILNS1_3genE6ELNS1_11target_archE950ELNS1_3gpuE13ELNS1_3repE0EEENS1_47radix_sort_onesweep_sort_config_static_selectorELNS0_4arch9wavefront6targetE0EEEvSG_
		.amdhsa_group_segment_fixed_size 0
		.amdhsa_private_segment_fixed_size 0
		.amdhsa_kernarg_size 88
		.amdhsa_user_sgpr_count 2
		.amdhsa_user_sgpr_dispatch_ptr 0
		.amdhsa_user_sgpr_queue_ptr 0
		.amdhsa_user_sgpr_kernarg_segment_ptr 1
		.amdhsa_user_sgpr_dispatch_id 0
		.amdhsa_user_sgpr_kernarg_preload_length 0
		.amdhsa_user_sgpr_kernarg_preload_offset 0
		.amdhsa_user_sgpr_private_segment_size 0
		.amdhsa_wavefront_size32 1
		.amdhsa_uses_dynamic_stack 0
		.amdhsa_enable_private_segment 0
		.amdhsa_system_sgpr_workgroup_id_x 1
		.amdhsa_system_sgpr_workgroup_id_y 0
		.amdhsa_system_sgpr_workgroup_id_z 0
		.amdhsa_system_sgpr_workgroup_info 0
		.amdhsa_system_vgpr_workitem_id 0
		.amdhsa_next_free_vgpr 1
		.amdhsa_next_free_sgpr 1
		.amdhsa_named_barrier_count 0
		.amdhsa_reserve_vcc 0
		.amdhsa_float_round_mode_32 0
		.amdhsa_float_round_mode_16_64 0
		.amdhsa_float_denorm_mode_32 3
		.amdhsa_float_denorm_mode_16_64 3
		.amdhsa_fp16_overflow 0
		.amdhsa_memory_ordered 1
		.amdhsa_forward_progress 1
		.amdhsa_inst_pref_size 0
		.amdhsa_round_robin_scheduling 0
		.amdhsa_exception_fp_ieee_invalid_op 0
		.amdhsa_exception_fp_denorm_src 0
		.amdhsa_exception_fp_ieee_div_zero 0
		.amdhsa_exception_fp_ieee_overflow 0
		.amdhsa_exception_fp_ieee_underflow 0
		.amdhsa_exception_fp_ieee_inexact 0
		.amdhsa_exception_int_div_zero 0
	.end_amdhsa_kernel
	.section	.text._ZN7rocprim17ROCPRIM_400000_NS6detail17trampoline_kernelINS0_14default_configENS1_35radix_sort_onesweep_config_selectorIbNS0_10empty_typeEEEZZNS1_29radix_sort_onesweep_iterationIS3_Lb1EPKbPbPS5_SB_mNS0_19identity_decomposerENS1_16block_id_wrapperIjLb0EEEEE10hipError_tT1_PNSt15iterator_traitsISG_E10value_typeET2_T3_PNSH_ISM_E10value_typeET4_T5_PSR_SS_PNS1_23onesweep_lookback_stateEbbT6_jjT7_P12ihipStream_tbENKUlT_T0_SG_SL_E_clISA_SA_SB_SB_EEDaSZ_S10_SG_SL_EUlSZ_E_NS1_11comp_targetILNS1_3genE6ELNS1_11target_archE950ELNS1_3gpuE13ELNS1_3repE0EEENS1_47radix_sort_onesweep_sort_config_static_selectorELNS0_4arch9wavefront6targetE0EEEvSG_,"axG",@progbits,_ZN7rocprim17ROCPRIM_400000_NS6detail17trampoline_kernelINS0_14default_configENS1_35radix_sort_onesweep_config_selectorIbNS0_10empty_typeEEEZZNS1_29radix_sort_onesweep_iterationIS3_Lb1EPKbPbPS5_SB_mNS0_19identity_decomposerENS1_16block_id_wrapperIjLb0EEEEE10hipError_tT1_PNSt15iterator_traitsISG_E10value_typeET2_T3_PNSH_ISM_E10value_typeET4_T5_PSR_SS_PNS1_23onesweep_lookback_stateEbbT6_jjT7_P12ihipStream_tbENKUlT_T0_SG_SL_E_clISA_SA_SB_SB_EEDaSZ_S10_SG_SL_EUlSZ_E_NS1_11comp_targetILNS1_3genE6ELNS1_11target_archE950ELNS1_3gpuE13ELNS1_3repE0EEENS1_47radix_sort_onesweep_sort_config_static_selectorELNS0_4arch9wavefront6targetE0EEEvSG_,comdat
.Lfunc_end1769:
	.size	_ZN7rocprim17ROCPRIM_400000_NS6detail17trampoline_kernelINS0_14default_configENS1_35radix_sort_onesweep_config_selectorIbNS0_10empty_typeEEEZZNS1_29radix_sort_onesweep_iterationIS3_Lb1EPKbPbPS5_SB_mNS0_19identity_decomposerENS1_16block_id_wrapperIjLb0EEEEE10hipError_tT1_PNSt15iterator_traitsISG_E10value_typeET2_T3_PNSH_ISM_E10value_typeET4_T5_PSR_SS_PNS1_23onesweep_lookback_stateEbbT6_jjT7_P12ihipStream_tbENKUlT_T0_SG_SL_E_clISA_SA_SB_SB_EEDaSZ_S10_SG_SL_EUlSZ_E_NS1_11comp_targetILNS1_3genE6ELNS1_11target_archE950ELNS1_3gpuE13ELNS1_3repE0EEENS1_47radix_sort_onesweep_sort_config_static_selectorELNS0_4arch9wavefront6targetE0EEEvSG_, .Lfunc_end1769-_ZN7rocprim17ROCPRIM_400000_NS6detail17trampoline_kernelINS0_14default_configENS1_35radix_sort_onesweep_config_selectorIbNS0_10empty_typeEEEZZNS1_29radix_sort_onesweep_iterationIS3_Lb1EPKbPbPS5_SB_mNS0_19identity_decomposerENS1_16block_id_wrapperIjLb0EEEEE10hipError_tT1_PNSt15iterator_traitsISG_E10value_typeET2_T3_PNSH_ISM_E10value_typeET4_T5_PSR_SS_PNS1_23onesweep_lookback_stateEbbT6_jjT7_P12ihipStream_tbENKUlT_T0_SG_SL_E_clISA_SA_SB_SB_EEDaSZ_S10_SG_SL_EUlSZ_E_NS1_11comp_targetILNS1_3genE6ELNS1_11target_archE950ELNS1_3gpuE13ELNS1_3repE0EEENS1_47radix_sort_onesweep_sort_config_static_selectorELNS0_4arch9wavefront6targetE0EEEvSG_
                                        ; -- End function
	.set _ZN7rocprim17ROCPRIM_400000_NS6detail17trampoline_kernelINS0_14default_configENS1_35radix_sort_onesweep_config_selectorIbNS0_10empty_typeEEEZZNS1_29radix_sort_onesweep_iterationIS3_Lb1EPKbPbPS5_SB_mNS0_19identity_decomposerENS1_16block_id_wrapperIjLb0EEEEE10hipError_tT1_PNSt15iterator_traitsISG_E10value_typeET2_T3_PNSH_ISM_E10value_typeET4_T5_PSR_SS_PNS1_23onesweep_lookback_stateEbbT6_jjT7_P12ihipStream_tbENKUlT_T0_SG_SL_E_clISA_SA_SB_SB_EEDaSZ_S10_SG_SL_EUlSZ_E_NS1_11comp_targetILNS1_3genE6ELNS1_11target_archE950ELNS1_3gpuE13ELNS1_3repE0EEENS1_47radix_sort_onesweep_sort_config_static_selectorELNS0_4arch9wavefront6targetE0EEEvSG_.num_vgpr, 0
	.set _ZN7rocprim17ROCPRIM_400000_NS6detail17trampoline_kernelINS0_14default_configENS1_35radix_sort_onesweep_config_selectorIbNS0_10empty_typeEEEZZNS1_29radix_sort_onesweep_iterationIS3_Lb1EPKbPbPS5_SB_mNS0_19identity_decomposerENS1_16block_id_wrapperIjLb0EEEEE10hipError_tT1_PNSt15iterator_traitsISG_E10value_typeET2_T3_PNSH_ISM_E10value_typeET4_T5_PSR_SS_PNS1_23onesweep_lookback_stateEbbT6_jjT7_P12ihipStream_tbENKUlT_T0_SG_SL_E_clISA_SA_SB_SB_EEDaSZ_S10_SG_SL_EUlSZ_E_NS1_11comp_targetILNS1_3genE6ELNS1_11target_archE950ELNS1_3gpuE13ELNS1_3repE0EEENS1_47radix_sort_onesweep_sort_config_static_selectorELNS0_4arch9wavefront6targetE0EEEvSG_.num_agpr, 0
	.set _ZN7rocprim17ROCPRIM_400000_NS6detail17trampoline_kernelINS0_14default_configENS1_35radix_sort_onesweep_config_selectorIbNS0_10empty_typeEEEZZNS1_29radix_sort_onesweep_iterationIS3_Lb1EPKbPbPS5_SB_mNS0_19identity_decomposerENS1_16block_id_wrapperIjLb0EEEEE10hipError_tT1_PNSt15iterator_traitsISG_E10value_typeET2_T3_PNSH_ISM_E10value_typeET4_T5_PSR_SS_PNS1_23onesweep_lookback_stateEbbT6_jjT7_P12ihipStream_tbENKUlT_T0_SG_SL_E_clISA_SA_SB_SB_EEDaSZ_S10_SG_SL_EUlSZ_E_NS1_11comp_targetILNS1_3genE6ELNS1_11target_archE950ELNS1_3gpuE13ELNS1_3repE0EEENS1_47radix_sort_onesweep_sort_config_static_selectorELNS0_4arch9wavefront6targetE0EEEvSG_.numbered_sgpr, 0
	.set _ZN7rocprim17ROCPRIM_400000_NS6detail17trampoline_kernelINS0_14default_configENS1_35radix_sort_onesweep_config_selectorIbNS0_10empty_typeEEEZZNS1_29radix_sort_onesweep_iterationIS3_Lb1EPKbPbPS5_SB_mNS0_19identity_decomposerENS1_16block_id_wrapperIjLb0EEEEE10hipError_tT1_PNSt15iterator_traitsISG_E10value_typeET2_T3_PNSH_ISM_E10value_typeET4_T5_PSR_SS_PNS1_23onesweep_lookback_stateEbbT6_jjT7_P12ihipStream_tbENKUlT_T0_SG_SL_E_clISA_SA_SB_SB_EEDaSZ_S10_SG_SL_EUlSZ_E_NS1_11comp_targetILNS1_3genE6ELNS1_11target_archE950ELNS1_3gpuE13ELNS1_3repE0EEENS1_47radix_sort_onesweep_sort_config_static_selectorELNS0_4arch9wavefront6targetE0EEEvSG_.num_named_barrier, 0
	.set _ZN7rocprim17ROCPRIM_400000_NS6detail17trampoline_kernelINS0_14default_configENS1_35radix_sort_onesweep_config_selectorIbNS0_10empty_typeEEEZZNS1_29radix_sort_onesweep_iterationIS3_Lb1EPKbPbPS5_SB_mNS0_19identity_decomposerENS1_16block_id_wrapperIjLb0EEEEE10hipError_tT1_PNSt15iterator_traitsISG_E10value_typeET2_T3_PNSH_ISM_E10value_typeET4_T5_PSR_SS_PNS1_23onesweep_lookback_stateEbbT6_jjT7_P12ihipStream_tbENKUlT_T0_SG_SL_E_clISA_SA_SB_SB_EEDaSZ_S10_SG_SL_EUlSZ_E_NS1_11comp_targetILNS1_3genE6ELNS1_11target_archE950ELNS1_3gpuE13ELNS1_3repE0EEENS1_47radix_sort_onesweep_sort_config_static_selectorELNS0_4arch9wavefront6targetE0EEEvSG_.private_seg_size, 0
	.set _ZN7rocprim17ROCPRIM_400000_NS6detail17trampoline_kernelINS0_14default_configENS1_35radix_sort_onesweep_config_selectorIbNS0_10empty_typeEEEZZNS1_29radix_sort_onesweep_iterationIS3_Lb1EPKbPbPS5_SB_mNS0_19identity_decomposerENS1_16block_id_wrapperIjLb0EEEEE10hipError_tT1_PNSt15iterator_traitsISG_E10value_typeET2_T3_PNSH_ISM_E10value_typeET4_T5_PSR_SS_PNS1_23onesweep_lookback_stateEbbT6_jjT7_P12ihipStream_tbENKUlT_T0_SG_SL_E_clISA_SA_SB_SB_EEDaSZ_S10_SG_SL_EUlSZ_E_NS1_11comp_targetILNS1_3genE6ELNS1_11target_archE950ELNS1_3gpuE13ELNS1_3repE0EEENS1_47radix_sort_onesweep_sort_config_static_selectorELNS0_4arch9wavefront6targetE0EEEvSG_.uses_vcc, 0
	.set _ZN7rocprim17ROCPRIM_400000_NS6detail17trampoline_kernelINS0_14default_configENS1_35radix_sort_onesweep_config_selectorIbNS0_10empty_typeEEEZZNS1_29radix_sort_onesweep_iterationIS3_Lb1EPKbPbPS5_SB_mNS0_19identity_decomposerENS1_16block_id_wrapperIjLb0EEEEE10hipError_tT1_PNSt15iterator_traitsISG_E10value_typeET2_T3_PNSH_ISM_E10value_typeET4_T5_PSR_SS_PNS1_23onesweep_lookback_stateEbbT6_jjT7_P12ihipStream_tbENKUlT_T0_SG_SL_E_clISA_SA_SB_SB_EEDaSZ_S10_SG_SL_EUlSZ_E_NS1_11comp_targetILNS1_3genE6ELNS1_11target_archE950ELNS1_3gpuE13ELNS1_3repE0EEENS1_47radix_sort_onesweep_sort_config_static_selectorELNS0_4arch9wavefront6targetE0EEEvSG_.uses_flat_scratch, 0
	.set _ZN7rocprim17ROCPRIM_400000_NS6detail17trampoline_kernelINS0_14default_configENS1_35radix_sort_onesweep_config_selectorIbNS0_10empty_typeEEEZZNS1_29radix_sort_onesweep_iterationIS3_Lb1EPKbPbPS5_SB_mNS0_19identity_decomposerENS1_16block_id_wrapperIjLb0EEEEE10hipError_tT1_PNSt15iterator_traitsISG_E10value_typeET2_T3_PNSH_ISM_E10value_typeET4_T5_PSR_SS_PNS1_23onesweep_lookback_stateEbbT6_jjT7_P12ihipStream_tbENKUlT_T0_SG_SL_E_clISA_SA_SB_SB_EEDaSZ_S10_SG_SL_EUlSZ_E_NS1_11comp_targetILNS1_3genE6ELNS1_11target_archE950ELNS1_3gpuE13ELNS1_3repE0EEENS1_47radix_sort_onesweep_sort_config_static_selectorELNS0_4arch9wavefront6targetE0EEEvSG_.has_dyn_sized_stack, 0
	.set _ZN7rocprim17ROCPRIM_400000_NS6detail17trampoline_kernelINS0_14default_configENS1_35radix_sort_onesweep_config_selectorIbNS0_10empty_typeEEEZZNS1_29radix_sort_onesweep_iterationIS3_Lb1EPKbPbPS5_SB_mNS0_19identity_decomposerENS1_16block_id_wrapperIjLb0EEEEE10hipError_tT1_PNSt15iterator_traitsISG_E10value_typeET2_T3_PNSH_ISM_E10value_typeET4_T5_PSR_SS_PNS1_23onesweep_lookback_stateEbbT6_jjT7_P12ihipStream_tbENKUlT_T0_SG_SL_E_clISA_SA_SB_SB_EEDaSZ_S10_SG_SL_EUlSZ_E_NS1_11comp_targetILNS1_3genE6ELNS1_11target_archE950ELNS1_3gpuE13ELNS1_3repE0EEENS1_47radix_sort_onesweep_sort_config_static_selectorELNS0_4arch9wavefront6targetE0EEEvSG_.has_recursion, 0
	.set _ZN7rocprim17ROCPRIM_400000_NS6detail17trampoline_kernelINS0_14default_configENS1_35radix_sort_onesweep_config_selectorIbNS0_10empty_typeEEEZZNS1_29radix_sort_onesweep_iterationIS3_Lb1EPKbPbPS5_SB_mNS0_19identity_decomposerENS1_16block_id_wrapperIjLb0EEEEE10hipError_tT1_PNSt15iterator_traitsISG_E10value_typeET2_T3_PNSH_ISM_E10value_typeET4_T5_PSR_SS_PNS1_23onesweep_lookback_stateEbbT6_jjT7_P12ihipStream_tbENKUlT_T0_SG_SL_E_clISA_SA_SB_SB_EEDaSZ_S10_SG_SL_EUlSZ_E_NS1_11comp_targetILNS1_3genE6ELNS1_11target_archE950ELNS1_3gpuE13ELNS1_3repE0EEENS1_47radix_sort_onesweep_sort_config_static_selectorELNS0_4arch9wavefront6targetE0EEEvSG_.has_indirect_call, 0
	.section	.AMDGPU.csdata,"",@progbits
; Kernel info:
; codeLenInByte = 0
; TotalNumSgprs: 0
; NumVgprs: 0
; ScratchSize: 0
; MemoryBound: 0
; FloatMode: 240
; IeeeMode: 1
; LDSByteSize: 0 bytes/workgroup (compile time only)
; SGPRBlocks: 0
; VGPRBlocks: 0
; NumSGPRsForWavesPerEU: 1
; NumVGPRsForWavesPerEU: 1
; NamedBarCnt: 0
; Occupancy: 16
; WaveLimiterHint : 0
; COMPUTE_PGM_RSRC2:SCRATCH_EN: 0
; COMPUTE_PGM_RSRC2:USER_SGPR: 2
; COMPUTE_PGM_RSRC2:TRAP_HANDLER: 0
; COMPUTE_PGM_RSRC2:TGID_X_EN: 1
; COMPUTE_PGM_RSRC2:TGID_Y_EN: 0
; COMPUTE_PGM_RSRC2:TGID_Z_EN: 0
; COMPUTE_PGM_RSRC2:TIDIG_COMP_CNT: 0
	.section	.text._ZN7rocprim17ROCPRIM_400000_NS6detail17trampoline_kernelINS0_14default_configENS1_35radix_sort_onesweep_config_selectorIbNS0_10empty_typeEEEZZNS1_29radix_sort_onesweep_iterationIS3_Lb1EPKbPbPS5_SB_mNS0_19identity_decomposerENS1_16block_id_wrapperIjLb0EEEEE10hipError_tT1_PNSt15iterator_traitsISG_E10value_typeET2_T3_PNSH_ISM_E10value_typeET4_T5_PSR_SS_PNS1_23onesweep_lookback_stateEbbT6_jjT7_P12ihipStream_tbENKUlT_T0_SG_SL_E_clISA_SA_SB_SB_EEDaSZ_S10_SG_SL_EUlSZ_E_NS1_11comp_targetILNS1_3genE5ELNS1_11target_archE942ELNS1_3gpuE9ELNS1_3repE0EEENS1_47radix_sort_onesweep_sort_config_static_selectorELNS0_4arch9wavefront6targetE0EEEvSG_,"axG",@progbits,_ZN7rocprim17ROCPRIM_400000_NS6detail17trampoline_kernelINS0_14default_configENS1_35radix_sort_onesweep_config_selectorIbNS0_10empty_typeEEEZZNS1_29radix_sort_onesweep_iterationIS3_Lb1EPKbPbPS5_SB_mNS0_19identity_decomposerENS1_16block_id_wrapperIjLb0EEEEE10hipError_tT1_PNSt15iterator_traitsISG_E10value_typeET2_T3_PNSH_ISM_E10value_typeET4_T5_PSR_SS_PNS1_23onesweep_lookback_stateEbbT6_jjT7_P12ihipStream_tbENKUlT_T0_SG_SL_E_clISA_SA_SB_SB_EEDaSZ_S10_SG_SL_EUlSZ_E_NS1_11comp_targetILNS1_3genE5ELNS1_11target_archE942ELNS1_3gpuE9ELNS1_3repE0EEENS1_47radix_sort_onesweep_sort_config_static_selectorELNS0_4arch9wavefront6targetE0EEEvSG_,comdat
	.protected	_ZN7rocprim17ROCPRIM_400000_NS6detail17trampoline_kernelINS0_14default_configENS1_35radix_sort_onesweep_config_selectorIbNS0_10empty_typeEEEZZNS1_29radix_sort_onesweep_iterationIS3_Lb1EPKbPbPS5_SB_mNS0_19identity_decomposerENS1_16block_id_wrapperIjLb0EEEEE10hipError_tT1_PNSt15iterator_traitsISG_E10value_typeET2_T3_PNSH_ISM_E10value_typeET4_T5_PSR_SS_PNS1_23onesweep_lookback_stateEbbT6_jjT7_P12ihipStream_tbENKUlT_T0_SG_SL_E_clISA_SA_SB_SB_EEDaSZ_S10_SG_SL_EUlSZ_E_NS1_11comp_targetILNS1_3genE5ELNS1_11target_archE942ELNS1_3gpuE9ELNS1_3repE0EEENS1_47radix_sort_onesweep_sort_config_static_selectorELNS0_4arch9wavefront6targetE0EEEvSG_ ; -- Begin function _ZN7rocprim17ROCPRIM_400000_NS6detail17trampoline_kernelINS0_14default_configENS1_35radix_sort_onesweep_config_selectorIbNS0_10empty_typeEEEZZNS1_29radix_sort_onesweep_iterationIS3_Lb1EPKbPbPS5_SB_mNS0_19identity_decomposerENS1_16block_id_wrapperIjLb0EEEEE10hipError_tT1_PNSt15iterator_traitsISG_E10value_typeET2_T3_PNSH_ISM_E10value_typeET4_T5_PSR_SS_PNS1_23onesweep_lookback_stateEbbT6_jjT7_P12ihipStream_tbENKUlT_T0_SG_SL_E_clISA_SA_SB_SB_EEDaSZ_S10_SG_SL_EUlSZ_E_NS1_11comp_targetILNS1_3genE5ELNS1_11target_archE942ELNS1_3gpuE9ELNS1_3repE0EEENS1_47radix_sort_onesweep_sort_config_static_selectorELNS0_4arch9wavefront6targetE0EEEvSG_
	.globl	_ZN7rocprim17ROCPRIM_400000_NS6detail17trampoline_kernelINS0_14default_configENS1_35radix_sort_onesweep_config_selectorIbNS0_10empty_typeEEEZZNS1_29radix_sort_onesweep_iterationIS3_Lb1EPKbPbPS5_SB_mNS0_19identity_decomposerENS1_16block_id_wrapperIjLb0EEEEE10hipError_tT1_PNSt15iterator_traitsISG_E10value_typeET2_T3_PNSH_ISM_E10value_typeET4_T5_PSR_SS_PNS1_23onesweep_lookback_stateEbbT6_jjT7_P12ihipStream_tbENKUlT_T0_SG_SL_E_clISA_SA_SB_SB_EEDaSZ_S10_SG_SL_EUlSZ_E_NS1_11comp_targetILNS1_3genE5ELNS1_11target_archE942ELNS1_3gpuE9ELNS1_3repE0EEENS1_47radix_sort_onesweep_sort_config_static_selectorELNS0_4arch9wavefront6targetE0EEEvSG_
	.p2align	8
	.type	_ZN7rocprim17ROCPRIM_400000_NS6detail17trampoline_kernelINS0_14default_configENS1_35radix_sort_onesweep_config_selectorIbNS0_10empty_typeEEEZZNS1_29radix_sort_onesweep_iterationIS3_Lb1EPKbPbPS5_SB_mNS0_19identity_decomposerENS1_16block_id_wrapperIjLb0EEEEE10hipError_tT1_PNSt15iterator_traitsISG_E10value_typeET2_T3_PNSH_ISM_E10value_typeET4_T5_PSR_SS_PNS1_23onesweep_lookback_stateEbbT6_jjT7_P12ihipStream_tbENKUlT_T0_SG_SL_E_clISA_SA_SB_SB_EEDaSZ_S10_SG_SL_EUlSZ_E_NS1_11comp_targetILNS1_3genE5ELNS1_11target_archE942ELNS1_3gpuE9ELNS1_3repE0EEENS1_47radix_sort_onesweep_sort_config_static_selectorELNS0_4arch9wavefront6targetE0EEEvSG_,@function
_ZN7rocprim17ROCPRIM_400000_NS6detail17trampoline_kernelINS0_14default_configENS1_35radix_sort_onesweep_config_selectorIbNS0_10empty_typeEEEZZNS1_29radix_sort_onesweep_iterationIS3_Lb1EPKbPbPS5_SB_mNS0_19identity_decomposerENS1_16block_id_wrapperIjLb0EEEEE10hipError_tT1_PNSt15iterator_traitsISG_E10value_typeET2_T3_PNSH_ISM_E10value_typeET4_T5_PSR_SS_PNS1_23onesweep_lookback_stateEbbT6_jjT7_P12ihipStream_tbENKUlT_T0_SG_SL_E_clISA_SA_SB_SB_EEDaSZ_S10_SG_SL_EUlSZ_E_NS1_11comp_targetILNS1_3genE5ELNS1_11target_archE942ELNS1_3gpuE9ELNS1_3repE0EEENS1_47radix_sort_onesweep_sort_config_static_selectorELNS0_4arch9wavefront6targetE0EEEvSG_: ; @_ZN7rocprim17ROCPRIM_400000_NS6detail17trampoline_kernelINS0_14default_configENS1_35radix_sort_onesweep_config_selectorIbNS0_10empty_typeEEEZZNS1_29radix_sort_onesweep_iterationIS3_Lb1EPKbPbPS5_SB_mNS0_19identity_decomposerENS1_16block_id_wrapperIjLb0EEEEE10hipError_tT1_PNSt15iterator_traitsISG_E10value_typeET2_T3_PNSH_ISM_E10value_typeET4_T5_PSR_SS_PNS1_23onesweep_lookback_stateEbbT6_jjT7_P12ihipStream_tbENKUlT_T0_SG_SL_E_clISA_SA_SB_SB_EEDaSZ_S10_SG_SL_EUlSZ_E_NS1_11comp_targetILNS1_3genE5ELNS1_11target_archE942ELNS1_3gpuE9ELNS1_3repE0EEENS1_47radix_sort_onesweep_sort_config_static_selectorELNS0_4arch9wavefront6targetE0EEEvSG_
; %bb.0:
	.section	.rodata,"a",@progbits
	.p2align	6, 0x0
	.amdhsa_kernel _ZN7rocprim17ROCPRIM_400000_NS6detail17trampoline_kernelINS0_14default_configENS1_35radix_sort_onesweep_config_selectorIbNS0_10empty_typeEEEZZNS1_29radix_sort_onesweep_iterationIS3_Lb1EPKbPbPS5_SB_mNS0_19identity_decomposerENS1_16block_id_wrapperIjLb0EEEEE10hipError_tT1_PNSt15iterator_traitsISG_E10value_typeET2_T3_PNSH_ISM_E10value_typeET4_T5_PSR_SS_PNS1_23onesweep_lookback_stateEbbT6_jjT7_P12ihipStream_tbENKUlT_T0_SG_SL_E_clISA_SA_SB_SB_EEDaSZ_S10_SG_SL_EUlSZ_E_NS1_11comp_targetILNS1_3genE5ELNS1_11target_archE942ELNS1_3gpuE9ELNS1_3repE0EEENS1_47radix_sort_onesweep_sort_config_static_selectorELNS0_4arch9wavefront6targetE0EEEvSG_
		.amdhsa_group_segment_fixed_size 0
		.amdhsa_private_segment_fixed_size 0
		.amdhsa_kernarg_size 88
		.amdhsa_user_sgpr_count 2
		.amdhsa_user_sgpr_dispatch_ptr 0
		.amdhsa_user_sgpr_queue_ptr 0
		.amdhsa_user_sgpr_kernarg_segment_ptr 1
		.amdhsa_user_sgpr_dispatch_id 0
		.amdhsa_user_sgpr_kernarg_preload_length 0
		.amdhsa_user_sgpr_kernarg_preload_offset 0
		.amdhsa_user_sgpr_private_segment_size 0
		.amdhsa_wavefront_size32 1
		.amdhsa_uses_dynamic_stack 0
		.amdhsa_enable_private_segment 0
		.amdhsa_system_sgpr_workgroup_id_x 1
		.amdhsa_system_sgpr_workgroup_id_y 0
		.amdhsa_system_sgpr_workgroup_id_z 0
		.amdhsa_system_sgpr_workgroup_info 0
		.amdhsa_system_vgpr_workitem_id 0
		.amdhsa_next_free_vgpr 1
		.amdhsa_next_free_sgpr 1
		.amdhsa_named_barrier_count 0
		.amdhsa_reserve_vcc 0
		.amdhsa_float_round_mode_32 0
		.amdhsa_float_round_mode_16_64 0
		.amdhsa_float_denorm_mode_32 3
		.amdhsa_float_denorm_mode_16_64 3
		.amdhsa_fp16_overflow 0
		.amdhsa_memory_ordered 1
		.amdhsa_forward_progress 1
		.amdhsa_inst_pref_size 0
		.amdhsa_round_robin_scheduling 0
		.amdhsa_exception_fp_ieee_invalid_op 0
		.amdhsa_exception_fp_denorm_src 0
		.amdhsa_exception_fp_ieee_div_zero 0
		.amdhsa_exception_fp_ieee_overflow 0
		.amdhsa_exception_fp_ieee_underflow 0
		.amdhsa_exception_fp_ieee_inexact 0
		.amdhsa_exception_int_div_zero 0
	.end_amdhsa_kernel
	.section	.text._ZN7rocprim17ROCPRIM_400000_NS6detail17trampoline_kernelINS0_14default_configENS1_35radix_sort_onesweep_config_selectorIbNS0_10empty_typeEEEZZNS1_29radix_sort_onesweep_iterationIS3_Lb1EPKbPbPS5_SB_mNS0_19identity_decomposerENS1_16block_id_wrapperIjLb0EEEEE10hipError_tT1_PNSt15iterator_traitsISG_E10value_typeET2_T3_PNSH_ISM_E10value_typeET4_T5_PSR_SS_PNS1_23onesweep_lookback_stateEbbT6_jjT7_P12ihipStream_tbENKUlT_T0_SG_SL_E_clISA_SA_SB_SB_EEDaSZ_S10_SG_SL_EUlSZ_E_NS1_11comp_targetILNS1_3genE5ELNS1_11target_archE942ELNS1_3gpuE9ELNS1_3repE0EEENS1_47radix_sort_onesweep_sort_config_static_selectorELNS0_4arch9wavefront6targetE0EEEvSG_,"axG",@progbits,_ZN7rocprim17ROCPRIM_400000_NS6detail17trampoline_kernelINS0_14default_configENS1_35radix_sort_onesweep_config_selectorIbNS0_10empty_typeEEEZZNS1_29radix_sort_onesweep_iterationIS3_Lb1EPKbPbPS5_SB_mNS0_19identity_decomposerENS1_16block_id_wrapperIjLb0EEEEE10hipError_tT1_PNSt15iterator_traitsISG_E10value_typeET2_T3_PNSH_ISM_E10value_typeET4_T5_PSR_SS_PNS1_23onesweep_lookback_stateEbbT6_jjT7_P12ihipStream_tbENKUlT_T0_SG_SL_E_clISA_SA_SB_SB_EEDaSZ_S10_SG_SL_EUlSZ_E_NS1_11comp_targetILNS1_3genE5ELNS1_11target_archE942ELNS1_3gpuE9ELNS1_3repE0EEENS1_47radix_sort_onesweep_sort_config_static_selectorELNS0_4arch9wavefront6targetE0EEEvSG_,comdat
.Lfunc_end1770:
	.size	_ZN7rocprim17ROCPRIM_400000_NS6detail17trampoline_kernelINS0_14default_configENS1_35radix_sort_onesweep_config_selectorIbNS0_10empty_typeEEEZZNS1_29radix_sort_onesweep_iterationIS3_Lb1EPKbPbPS5_SB_mNS0_19identity_decomposerENS1_16block_id_wrapperIjLb0EEEEE10hipError_tT1_PNSt15iterator_traitsISG_E10value_typeET2_T3_PNSH_ISM_E10value_typeET4_T5_PSR_SS_PNS1_23onesweep_lookback_stateEbbT6_jjT7_P12ihipStream_tbENKUlT_T0_SG_SL_E_clISA_SA_SB_SB_EEDaSZ_S10_SG_SL_EUlSZ_E_NS1_11comp_targetILNS1_3genE5ELNS1_11target_archE942ELNS1_3gpuE9ELNS1_3repE0EEENS1_47radix_sort_onesweep_sort_config_static_selectorELNS0_4arch9wavefront6targetE0EEEvSG_, .Lfunc_end1770-_ZN7rocprim17ROCPRIM_400000_NS6detail17trampoline_kernelINS0_14default_configENS1_35radix_sort_onesweep_config_selectorIbNS0_10empty_typeEEEZZNS1_29radix_sort_onesweep_iterationIS3_Lb1EPKbPbPS5_SB_mNS0_19identity_decomposerENS1_16block_id_wrapperIjLb0EEEEE10hipError_tT1_PNSt15iterator_traitsISG_E10value_typeET2_T3_PNSH_ISM_E10value_typeET4_T5_PSR_SS_PNS1_23onesweep_lookback_stateEbbT6_jjT7_P12ihipStream_tbENKUlT_T0_SG_SL_E_clISA_SA_SB_SB_EEDaSZ_S10_SG_SL_EUlSZ_E_NS1_11comp_targetILNS1_3genE5ELNS1_11target_archE942ELNS1_3gpuE9ELNS1_3repE0EEENS1_47radix_sort_onesweep_sort_config_static_selectorELNS0_4arch9wavefront6targetE0EEEvSG_
                                        ; -- End function
	.set _ZN7rocprim17ROCPRIM_400000_NS6detail17trampoline_kernelINS0_14default_configENS1_35radix_sort_onesweep_config_selectorIbNS0_10empty_typeEEEZZNS1_29radix_sort_onesweep_iterationIS3_Lb1EPKbPbPS5_SB_mNS0_19identity_decomposerENS1_16block_id_wrapperIjLb0EEEEE10hipError_tT1_PNSt15iterator_traitsISG_E10value_typeET2_T3_PNSH_ISM_E10value_typeET4_T5_PSR_SS_PNS1_23onesweep_lookback_stateEbbT6_jjT7_P12ihipStream_tbENKUlT_T0_SG_SL_E_clISA_SA_SB_SB_EEDaSZ_S10_SG_SL_EUlSZ_E_NS1_11comp_targetILNS1_3genE5ELNS1_11target_archE942ELNS1_3gpuE9ELNS1_3repE0EEENS1_47radix_sort_onesweep_sort_config_static_selectorELNS0_4arch9wavefront6targetE0EEEvSG_.num_vgpr, 0
	.set _ZN7rocprim17ROCPRIM_400000_NS6detail17trampoline_kernelINS0_14default_configENS1_35radix_sort_onesweep_config_selectorIbNS0_10empty_typeEEEZZNS1_29radix_sort_onesweep_iterationIS3_Lb1EPKbPbPS5_SB_mNS0_19identity_decomposerENS1_16block_id_wrapperIjLb0EEEEE10hipError_tT1_PNSt15iterator_traitsISG_E10value_typeET2_T3_PNSH_ISM_E10value_typeET4_T5_PSR_SS_PNS1_23onesweep_lookback_stateEbbT6_jjT7_P12ihipStream_tbENKUlT_T0_SG_SL_E_clISA_SA_SB_SB_EEDaSZ_S10_SG_SL_EUlSZ_E_NS1_11comp_targetILNS1_3genE5ELNS1_11target_archE942ELNS1_3gpuE9ELNS1_3repE0EEENS1_47radix_sort_onesweep_sort_config_static_selectorELNS0_4arch9wavefront6targetE0EEEvSG_.num_agpr, 0
	.set _ZN7rocprim17ROCPRIM_400000_NS6detail17trampoline_kernelINS0_14default_configENS1_35radix_sort_onesweep_config_selectorIbNS0_10empty_typeEEEZZNS1_29radix_sort_onesweep_iterationIS3_Lb1EPKbPbPS5_SB_mNS0_19identity_decomposerENS1_16block_id_wrapperIjLb0EEEEE10hipError_tT1_PNSt15iterator_traitsISG_E10value_typeET2_T3_PNSH_ISM_E10value_typeET4_T5_PSR_SS_PNS1_23onesweep_lookback_stateEbbT6_jjT7_P12ihipStream_tbENKUlT_T0_SG_SL_E_clISA_SA_SB_SB_EEDaSZ_S10_SG_SL_EUlSZ_E_NS1_11comp_targetILNS1_3genE5ELNS1_11target_archE942ELNS1_3gpuE9ELNS1_3repE0EEENS1_47radix_sort_onesweep_sort_config_static_selectorELNS0_4arch9wavefront6targetE0EEEvSG_.numbered_sgpr, 0
	.set _ZN7rocprim17ROCPRIM_400000_NS6detail17trampoline_kernelINS0_14default_configENS1_35radix_sort_onesweep_config_selectorIbNS0_10empty_typeEEEZZNS1_29radix_sort_onesweep_iterationIS3_Lb1EPKbPbPS5_SB_mNS0_19identity_decomposerENS1_16block_id_wrapperIjLb0EEEEE10hipError_tT1_PNSt15iterator_traitsISG_E10value_typeET2_T3_PNSH_ISM_E10value_typeET4_T5_PSR_SS_PNS1_23onesweep_lookback_stateEbbT6_jjT7_P12ihipStream_tbENKUlT_T0_SG_SL_E_clISA_SA_SB_SB_EEDaSZ_S10_SG_SL_EUlSZ_E_NS1_11comp_targetILNS1_3genE5ELNS1_11target_archE942ELNS1_3gpuE9ELNS1_3repE0EEENS1_47radix_sort_onesweep_sort_config_static_selectorELNS0_4arch9wavefront6targetE0EEEvSG_.num_named_barrier, 0
	.set _ZN7rocprim17ROCPRIM_400000_NS6detail17trampoline_kernelINS0_14default_configENS1_35radix_sort_onesweep_config_selectorIbNS0_10empty_typeEEEZZNS1_29radix_sort_onesweep_iterationIS3_Lb1EPKbPbPS5_SB_mNS0_19identity_decomposerENS1_16block_id_wrapperIjLb0EEEEE10hipError_tT1_PNSt15iterator_traitsISG_E10value_typeET2_T3_PNSH_ISM_E10value_typeET4_T5_PSR_SS_PNS1_23onesweep_lookback_stateEbbT6_jjT7_P12ihipStream_tbENKUlT_T0_SG_SL_E_clISA_SA_SB_SB_EEDaSZ_S10_SG_SL_EUlSZ_E_NS1_11comp_targetILNS1_3genE5ELNS1_11target_archE942ELNS1_3gpuE9ELNS1_3repE0EEENS1_47radix_sort_onesweep_sort_config_static_selectorELNS0_4arch9wavefront6targetE0EEEvSG_.private_seg_size, 0
	.set _ZN7rocprim17ROCPRIM_400000_NS6detail17trampoline_kernelINS0_14default_configENS1_35radix_sort_onesweep_config_selectorIbNS0_10empty_typeEEEZZNS1_29radix_sort_onesweep_iterationIS3_Lb1EPKbPbPS5_SB_mNS0_19identity_decomposerENS1_16block_id_wrapperIjLb0EEEEE10hipError_tT1_PNSt15iterator_traitsISG_E10value_typeET2_T3_PNSH_ISM_E10value_typeET4_T5_PSR_SS_PNS1_23onesweep_lookback_stateEbbT6_jjT7_P12ihipStream_tbENKUlT_T0_SG_SL_E_clISA_SA_SB_SB_EEDaSZ_S10_SG_SL_EUlSZ_E_NS1_11comp_targetILNS1_3genE5ELNS1_11target_archE942ELNS1_3gpuE9ELNS1_3repE0EEENS1_47radix_sort_onesweep_sort_config_static_selectorELNS0_4arch9wavefront6targetE0EEEvSG_.uses_vcc, 0
	.set _ZN7rocprim17ROCPRIM_400000_NS6detail17trampoline_kernelINS0_14default_configENS1_35radix_sort_onesweep_config_selectorIbNS0_10empty_typeEEEZZNS1_29radix_sort_onesweep_iterationIS3_Lb1EPKbPbPS5_SB_mNS0_19identity_decomposerENS1_16block_id_wrapperIjLb0EEEEE10hipError_tT1_PNSt15iterator_traitsISG_E10value_typeET2_T3_PNSH_ISM_E10value_typeET4_T5_PSR_SS_PNS1_23onesweep_lookback_stateEbbT6_jjT7_P12ihipStream_tbENKUlT_T0_SG_SL_E_clISA_SA_SB_SB_EEDaSZ_S10_SG_SL_EUlSZ_E_NS1_11comp_targetILNS1_3genE5ELNS1_11target_archE942ELNS1_3gpuE9ELNS1_3repE0EEENS1_47radix_sort_onesweep_sort_config_static_selectorELNS0_4arch9wavefront6targetE0EEEvSG_.uses_flat_scratch, 0
	.set _ZN7rocprim17ROCPRIM_400000_NS6detail17trampoline_kernelINS0_14default_configENS1_35radix_sort_onesweep_config_selectorIbNS0_10empty_typeEEEZZNS1_29radix_sort_onesweep_iterationIS3_Lb1EPKbPbPS5_SB_mNS0_19identity_decomposerENS1_16block_id_wrapperIjLb0EEEEE10hipError_tT1_PNSt15iterator_traitsISG_E10value_typeET2_T3_PNSH_ISM_E10value_typeET4_T5_PSR_SS_PNS1_23onesweep_lookback_stateEbbT6_jjT7_P12ihipStream_tbENKUlT_T0_SG_SL_E_clISA_SA_SB_SB_EEDaSZ_S10_SG_SL_EUlSZ_E_NS1_11comp_targetILNS1_3genE5ELNS1_11target_archE942ELNS1_3gpuE9ELNS1_3repE0EEENS1_47radix_sort_onesweep_sort_config_static_selectorELNS0_4arch9wavefront6targetE0EEEvSG_.has_dyn_sized_stack, 0
	.set _ZN7rocprim17ROCPRIM_400000_NS6detail17trampoline_kernelINS0_14default_configENS1_35radix_sort_onesweep_config_selectorIbNS0_10empty_typeEEEZZNS1_29radix_sort_onesweep_iterationIS3_Lb1EPKbPbPS5_SB_mNS0_19identity_decomposerENS1_16block_id_wrapperIjLb0EEEEE10hipError_tT1_PNSt15iterator_traitsISG_E10value_typeET2_T3_PNSH_ISM_E10value_typeET4_T5_PSR_SS_PNS1_23onesweep_lookback_stateEbbT6_jjT7_P12ihipStream_tbENKUlT_T0_SG_SL_E_clISA_SA_SB_SB_EEDaSZ_S10_SG_SL_EUlSZ_E_NS1_11comp_targetILNS1_3genE5ELNS1_11target_archE942ELNS1_3gpuE9ELNS1_3repE0EEENS1_47radix_sort_onesweep_sort_config_static_selectorELNS0_4arch9wavefront6targetE0EEEvSG_.has_recursion, 0
	.set _ZN7rocprim17ROCPRIM_400000_NS6detail17trampoline_kernelINS0_14default_configENS1_35radix_sort_onesweep_config_selectorIbNS0_10empty_typeEEEZZNS1_29radix_sort_onesweep_iterationIS3_Lb1EPKbPbPS5_SB_mNS0_19identity_decomposerENS1_16block_id_wrapperIjLb0EEEEE10hipError_tT1_PNSt15iterator_traitsISG_E10value_typeET2_T3_PNSH_ISM_E10value_typeET4_T5_PSR_SS_PNS1_23onesweep_lookback_stateEbbT6_jjT7_P12ihipStream_tbENKUlT_T0_SG_SL_E_clISA_SA_SB_SB_EEDaSZ_S10_SG_SL_EUlSZ_E_NS1_11comp_targetILNS1_3genE5ELNS1_11target_archE942ELNS1_3gpuE9ELNS1_3repE0EEENS1_47radix_sort_onesweep_sort_config_static_selectorELNS0_4arch9wavefront6targetE0EEEvSG_.has_indirect_call, 0
	.section	.AMDGPU.csdata,"",@progbits
; Kernel info:
; codeLenInByte = 0
; TotalNumSgprs: 0
; NumVgprs: 0
; ScratchSize: 0
; MemoryBound: 0
; FloatMode: 240
; IeeeMode: 1
; LDSByteSize: 0 bytes/workgroup (compile time only)
; SGPRBlocks: 0
; VGPRBlocks: 0
; NumSGPRsForWavesPerEU: 1
; NumVGPRsForWavesPerEU: 1
; NamedBarCnt: 0
; Occupancy: 16
; WaveLimiterHint : 0
; COMPUTE_PGM_RSRC2:SCRATCH_EN: 0
; COMPUTE_PGM_RSRC2:USER_SGPR: 2
; COMPUTE_PGM_RSRC2:TRAP_HANDLER: 0
; COMPUTE_PGM_RSRC2:TGID_X_EN: 1
; COMPUTE_PGM_RSRC2:TGID_Y_EN: 0
; COMPUTE_PGM_RSRC2:TGID_Z_EN: 0
; COMPUTE_PGM_RSRC2:TIDIG_COMP_CNT: 0
	.section	.text._ZN7rocprim17ROCPRIM_400000_NS6detail17trampoline_kernelINS0_14default_configENS1_35radix_sort_onesweep_config_selectorIbNS0_10empty_typeEEEZZNS1_29radix_sort_onesweep_iterationIS3_Lb1EPKbPbPS5_SB_mNS0_19identity_decomposerENS1_16block_id_wrapperIjLb0EEEEE10hipError_tT1_PNSt15iterator_traitsISG_E10value_typeET2_T3_PNSH_ISM_E10value_typeET4_T5_PSR_SS_PNS1_23onesweep_lookback_stateEbbT6_jjT7_P12ihipStream_tbENKUlT_T0_SG_SL_E_clISA_SA_SB_SB_EEDaSZ_S10_SG_SL_EUlSZ_E_NS1_11comp_targetILNS1_3genE2ELNS1_11target_archE906ELNS1_3gpuE6ELNS1_3repE0EEENS1_47radix_sort_onesweep_sort_config_static_selectorELNS0_4arch9wavefront6targetE0EEEvSG_,"axG",@progbits,_ZN7rocprim17ROCPRIM_400000_NS6detail17trampoline_kernelINS0_14default_configENS1_35radix_sort_onesweep_config_selectorIbNS0_10empty_typeEEEZZNS1_29radix_sort_onesweep_iterationIS3_Lb1EPKbPbPS5_SB_mNS0_19identity_decomposerENS1_16block_id_wrapperIjLb0EEEEE10hipError_tT1_PNSt15iterator_traitsISG_E10value_typeET2_T3_PNSH_ISM_E10value_typeET4_T5_PSR_SS_PNS1_23onesweep_lookback_stateEbbT6_jjT7_P12ihipStream_tbENKUlT_T0_SG_SL_E_clISA_SA_SB_SB_EEDaSZ_S10_SG_SL_EUlSZ_E_NS1_11comp_targetILNS1_3genE2ELNS1_11target_archE906ELNS1_3gpuE6ELNS1_3repE0EEENS1_47radix_sort_onesweep_sort_config_static_selectorELNS0_4arch9wavefront6targetE0EEEvSG_,comdat
	.protected	_ZN7rocprim17ROCPRIM_400000_NS6detail17trampoline_kernelINS0_14default_configENS1_35radix_sort_onesweep_config_selectorIbNS0_10empty_typeEEEZZNS1_29radix_sort_onesweep_iterationIS3_Lb1EPKbPbPS5_SB_mNS0_19identity_decomposerENS1_16block_id_wrapperIjLb0EEEEE10hipError_tT1_PNSt15iterator_traitsISG_E10value_typeET2_T3_PNSH_ISM_E10value_typeET4_T5_PSR_SS_PNS1_23onesweep_lookback_stateEbbT6_jjT7_P12ihipStream_tbENKUlT_T0_SG_SL_E_clISA_SA_SB_SB_EEDaSZ_S10_SG_SL_EUlSZ_E_NS1_11comp_targetILNS1_3genE2ELNS1_11target_archE906ELNS1_3gpuE6ELNS1_3repE0EEENS1_47radix_sort_onesweep_sort_config_static_selectorELNS0_4arch9wavefront6targetE0EEEvSG_ ; -- Begin function _ZN7rocprim17ROCPRIM_400000_NS6detail17trampoline_kernelINS0_14default_configENS1_35radix_sort_onesweep_config_selectorIbNS0_10empty_typeEEEZZNS1_29radix_sort_onesweep_iterationIS3_Lb1EPKbPbPS5_SB_mNS0_19identity_decomposerENS1_16block_id_wrapperIjLb0EEEEE10hipError_tT1_PNSt15iterator_traitsISG_E10value_typeET2_T3_PNSH_ISM_E10value_typeET4_T5_PSR_SS_PNS1_23onesweep_lookback_stateEbbT6_jjT7_P12ihipStream_tbENKUlT_T0_SG_SL_E_clISA_SA_SB_SB_EEDaSZ_S10_SG_SL_EUlSZ_E_NS1_11comp_targetILNS1_3genE2ELNS1_11target_archE906ELNS1_3gpuE6ELNS1_3repE0EEENS1_47radix_sort_onesweep_sort_config_static_selectorELNS0_4arch9wavefront6targetE0EEEvSG_
	.globl	_ZN7rocprim17ROCPRIM_400000_NS6detail17trampoline_kernelINS0_14default_configENS1_35radix_sort_onesweep_config_selectorIbNS0_10empty_typeEEEZZNS1_29radix_sort_onesweep_iterationIS3_Lb1EPKbPbPS5_SB_mNS0_19identity_decomposerENS1_16block_id_wrapperIjLb0EEEEE10hipError_tT1_PNSt15iterator_traitsISG_E10value_typeET2_T3_PNSH_ISM_E10value_typeET4_T5_PSR_SS_PNS1_23onesweep_lookback_stateEbbT6_jjT7_P12ihipStream_tbENKUlT_T0_SG_SL_E_clISA_SA_SB_SB_EEDaSZ_S10_SG_SL_EUlSZ_E_NS1_11comp_targetILNS1_3genE2ELNS1_11target_archE906ELNS1_3gpuE6ELNS1_3repE0EEENS1_47radix_sort_onesweep_sort_config_static_selectorELNS0_4arch9wavefront6targetE0EEEvSG_
	.p2align	8
	.type	_ZN7rocprim17ROCPRIM_400000_NS6detail17trampoline_kernelINS0_14default_configENS1_35radix_sort_onesweep_config_selectorIbNS0_10empty_typeEEEZZNS1_29radix_sort_onesweep_iterationIS3_Lb1EPKbPbPS5_SB_mNS0_19identity_decomposerENS1_16block_id_wrapperIjLb0EEEEE10hipError_tT1_PNSt15iterator_traitsISG_E10value_typeET2_T3_PNSH_ISM_E10value_typeET4_T5_PSR_SS_PNS1_23onesweep_lookback_stateEbbT6_jjT7_P12ihipStream_tbENKUlT_T0_SG_SL_E_clISA_SA_SB_SB_EEDaSZ_S10_SG_SL_EUlSZ_E_NS1_11comp_targetILNS1_3genE2ELNS1_11target_archE906ELNS1_3gpuE6ELNS1_3repE0EEENS1_47radix_sort_onesweep_sort_config_static_selectorELNS0_4arch9wavefront6targetE0EEEvSG_,@function
_ZN7rocprim17ROCPRIM_400000_NS6detail17trampoline_kernelINS0_14default_configENS1_35radix_sort_onesweep_config_selectorIbNS0_10empty_typeEEEZZNS1_29radix_sort_onesweep_iterationIS3_Lb1EPKbPbPS5_SB_mNS0_19identity_decomposerENS1_16block_id_wrapperIjLb0EEEEE10hipError_tT1_PNSt15iterator_traitsISG_E10value_typeET2_T3_PNSH_ISM_E10value_typeET4_T5_PSR_SS_PNS1_23onesweep_lookback_stateEbbT6_jjT7_P12ihipStream_tbENKUlT_T0_SG_SL_E_clISA_SA_SB_SB_EEDaSZ_S10_SG_SL_EUlSZ_E_NS1_11comp_targetILNS1_3genE2ELNS1_11target_archE906ELNS1_3gpuE6ELNS1_3repE0EEENS1_47radix_sort_onesweep_sort_config_static_selectorELNS0_4arch9wavefront6targetE0EEEvSG_: ; @_ZN7rocprim17ROCPRIM_400000_NS6detail17trampoline_kernelINS0_14default_configENS1_35radix_sort_onesweep_config_selectorIbNS0_10empty_typeEEEZZNS1_29radix_sort_onesweep_iterationIS3_Lb1EPKbPbPS5_SB_mNS0_19identity_decomposerENS1_16block_id_wrapperIjLb0EEEEE10hipError_tT1_PNSt15iterator_traitsISG_E10value_typeET2_T3_PNSH_ISM_E10value_typeET4_T5_PSR_SS_PNS1_23onesweep_lookback_stateEbbT6_jjT7_P12ihipStream_tbENKUlT_T0_SG_SL_E_clISA_SA_SB_SB_EEDaSZ_S10_SG_SL_EUlSZ_E_NS1_11comp_targetILNS1_3genE2ELNS1_11target_archE906ELNS1_3gpuE6ELNS1_3repE0EEENS1_47radix_sort_onesweep_sort_config_static_selectorELNS0_4arch9wavefront6targetE0EEEvSG_
; %bb.0:
	.section	.rodata,"a",@progbits
	.p2align	6, 0x0
	.amdhsa_kernel _ZN7rocprim17ROCPRIM_400000_NS6detail17trampoline_kernelINS0_14default_configENS1_35radix_sort_onesweep_config_selectorIbNS0_10empty_typeEEEZZNS1_29radix_sort_onesweep_iterationIS3_Lb1EPKbPbPS5_SB_mNS0_19identity_decomposerENS1_16block_id_wrapperIjLb0EEEEE10hipError_tT1_PNSt15iterator_traitsISG_E10value_typeET2_T3_PNSH_ISM_E10value_typeET4_T5_PSR_SS_PNS1_23onesweep_lookback_stateEbbT6_jjT7_P12ihipStream_tbENKUlT_T0_SG_SL_E_clISA_SA_SB_SB_EEDaSZ_S10_SG_SL_EUlSZ_E_NS1_11comp_targetILNS1_3genE2ELNS1_11target_archE906ELNS1_3gpuE6ELNS1_3repE0EEENS1_47radix_sort_onesweep_sort_config_static_selectorELNS0_4arch9wavefront6targetE0EEEvSG_
		.amdhsa_group_segment_fixed_size 0
		.amdhsa_private_segment_fixed_size 0
		.amdhsa_kernarg_size 88
		.amdhsa_user_sgpr_count 2
		.amdhsa_user_sgpr_dispatch_ptr 0
		.amdhsa_user_sgpr_queue_ptr 0
		.amdhsa_user_sgpr_kernarg_segment_ptr 1
		.amdhsa_user_sgpr_dispatch_id 0
		.amdhsa_user_sgpr_kernarg_preload_length 0
		.amdhsa_user_sgpr_kernarg_preload_offset 0
		.amdhsa_user_sgpr_private_segment_size 0
		.amdhsa_wavefront_size32 1
		.amdhsa_uses_dynamic_stack 0
		.amdhsa_enable_private_segment 0
		.amdhsa_system_sgpr_workgroup_id_x 1
		.amdhsa_system_sgpr_workgroup_id_y 0
		.amdhsa_system_sgpr_workgroup_id_z 0
		.amdhsa_system_sgpr_workgroup_info 0
		.amdhsa_system_vgpr_workitem_id 0
		.amdhsa_next_free_vgpr 1
		.amdhsa_next_free_sgpr 1
		.amdhsa_named_barrier_count 0
		.amdhsa_reserve_vcc 0
		.amdhsa_float_round_mode_32 0
		.amdhsa_float_round_mode_16_64 0
		.amdhsa_float_denorm_mode_32 3
		.amdhsa_float_denorm_mode_16_64 3
		.amdhsa_fp16_overflow 0
		.amdhsa_memory_ordered 1
		.amdhsa_forward_progress 1
		.amdhsa_inst_pref_size 0
		.amdhsa_round_robin_scheduling 0
		.amdhsa_exception_fp_ieee_invalid_op 0
		.amdhsa_exception_fp_denorm_src 0
		.amdhsa_exception_fp_ieee_div_zero 0
		.amdhsa_exception_fp_ieee_overflow 0
		.amdhsa_exception_fp_ieee_underflow 0
		.amdhsa_exception_fp_ieee_inexact 0
		.amdhsa_exception_int_div_zero 0
	.end_amdhsa_kernel
	.section	.text._ZN7rocprim17ROCPRIM_400000_NS6detail17trampoline_kernelINS0_14default_configENS1_35radix_sort_onesweep_config_selectorIbNS0_10empty_typeEEEZZNS1_29radix_sort_onesweep_iterationIS3_Lb1EPKbPbPS5_SB_mNS0_19identity_decomposerENS1_16block_id_wrapperIjLb0EEEEE10hipError_tT1_PNSt15iterator_traitsISG_E10value_typeET2_T3_PNSH_ISM_E10value_typeET4_T5_PSR_SS_PNS1_23onesweep_lookback_stateEbbT6_jjT7_P12ihipStream_tbENKUlT_T0_SG_SL_E_clISA_SA_SB_SB_EEDaSZ_S10_SG_SL_EUlSZ_E_NS1_11comp_targetILNS1_3genE2ELNS1_11target_archE906ELNS1_3gpuE6ELNS1_3repE0EEENS1_47radix_sort_onesweep_sort_config_static_selectorELNS0_4arch9wavefront6targetE0EEEvSG_,"axG",@progbits,_ZN7rocprim17ROCPRIM_400000_NS6detail17trampoline_kernelINS0_14default_configENS1_35radix_sort_onesweep_config_selectorIbNS0_10empty_typeEEEZZNS1_29radix_sort_onesweep_iterationIS3_Lb1EPKbPbPS5_SB_mNS0_19identity_decomposerENS1_16block_id_wrapperIjLb0EEEEE10hipError_tT1_PNSt15iterator_traitsISG_E10value_typeET2_T3_PNSH_ISM_E10value_typeET4_T5_PSR_SS_PNS1_23onesweep_lookback_stateEbbT6_jjT7_P12ihipStream_tbENKUlT_T0_SG_SL_E_clISA_SA_SB_SB_EEDaSZ_S10_SG_SL_EUlSZ_E_NS1_11comp_targetILNS1_3genE2ELNS1_11target_archE906ELNS1_3gpuE6ELNS1_3repE0EEENS1_47radix_sort_onesweep_sort_config_static_selectorELNS0_4arch9wavefront6targetE0EEEvSG_,comdat
.Lfunc_end1771:
	.size	_ZN7rocprim17ROCPRIM_400000_NS6detail17trampoline_kernelINS0_14default_configENS1_35radix_sort_onesweep_config_selectorIbNS0_10empty_typeEEEZZNS1_29radix_sort_onesweep_iterationIS3_Lb1EPKbPbPS5_SB_mNS0_19identity_decomposerENS1_16block_id_wrapperIjLb0EEEEE10hipError_tT1_PNSt15iterator_traitsISG_E10value_typeET2_T3_PNSH_ISM_E10value_typeET4_T5_PSR_SS_PNS1_23onesweep_lookback_stateEbbT6_jjT7_P12ihipStream_tbENKUlT_T0_SG_SL_E_clISA_SA_SB_SB_EEDaSZ_S10_SG_SL_EUlSZ_E_NS1_11comp_targetILNS1_3genE2ELNS1_11target_archE906ELNS1_3gpuE6ELNS1_3repE0EEENS1_47radix_sort_onesweep_sort_config_static_selectorELNS0_4arch9wavefront6targetE0EEEvSG_, .Lfunc_end1771-_ZN7rocprim17ROCPRIM_400000_NS6detail17trampoline_kernelINS0_14default_configENS1_35radix_sort_onesweep_config_selectorIbNS0_10empty_typeEEEZZNS1_29radix_sort_onesweep_iterationIS3_Lb1EPKbPbPS5_SB_mNS0_19identity_decomposerENS1_16block_id_wrapperIjLb0EEEEE10hipError_tT1_PNSt15iterator_traitsISG_E10value_typeET2_T3_PNSH_ISM_E10value_typeET4_T5_PSR_SS_PNS1_23onesweep_lookback_stateEbbT6_jjT7_P12ihipStream_tbENKUlT_T0_SG_SL_E_clISA_SA_SB_SB_EEDaSZ_S10_SG_SL_EUlSZ_E_NS1_11comp_targetILNS1_3genE2ELNS1_11target_archE906ELNS1_3gpuE6ELNS1_3repE0EEENS1_47radix_sort_onesweep_sort_config_static_selectorELNS0_4arch9wavefront6targetE0EEEvSG_
                                        ; -- End function
	.set _ZN7rocprim17ROCPRIM_400000_NS6detail17trampoline_kernelINS0_14default_configENS1_35radix_sort_onesweep_config_selectorIbNS0_10empty_typeEEEZZNS1_29radix_sort_onesweep_iterationIS3_Lb1EPKbPbPS5_SB_mNS0_19identity_decomposerENS1_16block_id_wrapperIjLb0EEEEE10hipError_tT1_PNSt15iterator_traitsISG_E10value_typeET2_T3_PNSH_ISM_E10value_typeET4_T5_PSR_SS_PNS1_23onesweep_lookback_stateEbbT6_jjT7_P12ihipStream_tbENKUlT_T0_SG_SL_E_clISA_SA_SB_SB_EEDaSZ_S10_SG_SL_EUlSZ_E_NS1_11comp_targetILNS1_3genE2ELNS1_11target_archE906ELNS1_3gpuE6ELNS1_3repE0EEENS1_47radix_sort_onesweep_sort_config_static_selectorELNS0_4arch9wavefront6targetE0EEEvSG_.num_vgpr, 0
	.set _ZN7rocprim17ROCPRIM_400000_NS6detail17trampoline_kernelINS0_14default_configENS1_35radix_sort_onesweep_config_selectorIbNS0_10empty_typeEEEZZNS1_29radix_sort_onesweep_iterationIS3_Lb1EPKbPbPS5_SB_mNS0_19identity_decomposerENS1_16block_id_wrapperIjLb0EEEEE10hipError_tT1_PNSt15iterator_traitsISG_E10value_typeET2_T3_PNSH_ISM_E10value_typeET4_T5_PSR_SS_PNS1_23onesweep_lookback_stateEbbT6_jjT7_P12ihipStream_tbENKUlT_T0_SG_SL_E_clISA_SA_SB_SB_EEDaSZ_S10_SG_SL_EUlSZ_E_NS1_11comp_targetILNS1_3genE2ELNS1_11target_archE906ELNS1_3gpuE6ELNS1_3repE0EEENS1_47radix_sort_onesweep_sort_config_static_selectorELNS0_4arch9wavefront6targetE0EEEvSG_.num_agpr, 0
	.set _ZN7rocprim17ROCPRIM_400000_NS6detail17trampoline_kernelINS0_14default_configENS1_35radix_sort_onesweep_config_selectorIbNS0_10empty_typeEEEZZNS1_29radix_sort_onesweep_iterationIS3_Lb1EPKbPbPS5_SB_mNS0_19identity_decomposerENS1_16block_id_wrapperIjLb0EEEEE10hipError_tT1_PNSt15iterator_traitsISG_E10value_typeET2_T3_PNSH_ISM_E10value_typeET4_T5_PSR_SS_PNS1_23onesweep_lookback_stateEbbT6_jjT7_P12ihipStream_tbENKUlT_T0_SG_SL_E_clISA_SA_SB_SB_EEDaSZ_S10_SG_SL_EUlSZ_E_NS1_11comp_targetILNS1_3genE2ELNS1_11target_archE906ELNS1_3gpuE6ELNS1_3repE0EEENS1_47radix_sort_onesweep_sort_config_static_selectorELNS0_4arch9wavefront6targetE0EEEvSG_.numbered_sgpr, 0
	.set _ZN7rocprim17ROCPRIM_400000_NS6detail17trampoline_kernelINS0_14default_configENS1_35radix_sort_onesweep_config_selectorIbNS0_10empty_typeEEEZZNS1_29radix_sort_onesweep_iterationIS3_Lb1EPKbPbPS5_SB_mNS0_19identity_decomposerENS1_16block_id_wrapperIjLb0EEEEE10hipError_tT1_PNSt15iterator_traitsISG_E10value_typeET2_T3_PNSH_ISM_E10value_typeET4_T5_PSR_SS_PNS1_23onesweep_lookback_stateEbbT6_jjT7_P12ihipStream_tbENKUlT_T0_SG_SL_E_clISA_SA_SB_SB_EEDaSZ_S10_SG_SL_EUlSZ_E_NS1_11comp_targetILNS1_3genE2ELNS1_11target_archE906ELNS1_3gpuE6ELNS1_3repE0EEENS1_47radix_sort_onesweep_sort_config_static_selectorELNS0_4arch9wavefront6targetE0EEEvSG_.num_named_barrier, 0
	.set _ZN7rocprim17ROCPRIM_400000_NS6detail17trampoline_kernelINS0_14default_configENS1_35radix_sort_onesweep_config_selectorIbNS0_10empty_typeEEEZZNS1_29radix_sort_onesweep_iterationIS3_Lb1EPKbPbPS5_SB_mNS0_19identity_decomposerENS1_16block_id_wrapperIjLb0EEEEE10hipError_tT1_PNSt15iterator_traitsISG_E10value_typeET2_T3_PNSH_ISM_E10value_typeET4_T5_PSR_SS_PNS1_23onesweep_lookback_stateEbbT6_jjT7_P12ihipStream_tbENKUlT_T0_SG_SL_E_clISA_SA_SB_SB_EEDaSZ_S10_SG_SL_EUlSZ_E_NS1_11comp_targetILNS1_3genE2ELNS1_11target_archE906ELNS1_3gpuE6ELNS1_3repE0EEENS1_47radix_sort_onesweep_sort_config_static_selectorELNS0_4arch9wavefront6targetE0EEEvSG_.private_seg_size, 0
	.set _ZN7rocprim17ROCPRIM_400000_NS6detail17trampoline_kernelINS0_14default_configENS1_35radix_sort_onesweep_config_selectorIbNS0_10empty_typeEEEZZNS1_29radix_sort_onesweep_iterationIS3_Lb1EPKbPbPS5_SB_mNS0_19identity_decomposerENS1_16block_id_wrapperIjLb0EEEEE10hipError_tT1_PNSt15iterator_traitsISG_E10value_typeET2_T3_PNSH_ISM_E10value_typeET4_T5_PSR_SS_PNS1_23onesweep_lookback_stateEbbT6_jjT7_P12ihipStream_tbENKUlT_T0_SG_SL_E_clISA_SA_SB_SB_EEDaSZ_S10_SG_SL_EUlSZ_E_NS1_11comp_targetILNS1_3genE2ELNS1_11target_archE906ELNS1_3gpuE6ELNS1_3repE0EEENS1_47radix_sort_onesweep_sort_config_static_selectorELNS0_4arch9wavefront6targetE0EEEvSG_.uses_vcc, 0
	.set _ZN7rocprim17ROCPRIM_400000_NS6detail17trampoline_kernelINS0_14default_configENS1_35radix_sort_onesweep_config_selectorIbNS0_10empty_typeEEEZZNS1_29radix_sort_onesweep_iterationIS3_Lb1EPKbPbPS5_SB_mNS0_19identity_decomposerENS1_16block_id_wrapperIjLb0EEEEE10hipError_tT1_PNSt15iterator_traitsISG_E10value_typeET2_T3_PNSH_ISM_E10value_typeET4_T5_PSR_SS_PNS1_23onesweep_lookback_stateEbbT6_jjT7_P12ihipStream_tbENKUlT_T0_SG_SL_E_clISA_SA_SB_SB_EEDaSZ_S10_SG_SL_EUlSZ_E_NS1_11comp_targetILNS1_3genE2ELNS1_11target_archE906ELNS1_3gpuE6ELNS1_3repE0EEENS1_47radix_sort_onesweep_sort_config_static_selectorELNS0_4arch9wavefront6targetE0EEEvSG_.uses_flat_scratch, 0
	.set _ZN7rocprim17ROCPRIM_400000_NS6detail17trampoline_kernelINS0_14default_configENS1_35radix_sort_onesweep_config_selectorIbNS0_10empty_typeEEEZZNS1_29radix_sort_onesweep_iterationIS3_Lb1EPKbPbPS5_SB_mNS0_19identity_decomposerENS1_16block_id_wrapperIjLb0EEEEE10hipError_tT1_PNSt15iterator_traitsISG_E10value_typeET2_T3_PNSH_ISM_E10value_typeET4_T5_PSR_SS_PNS1_23onesweep_lookback_stateEbbT6_jjT7_P12ihipStream_tbENKUlT_T0_SG_SL_E_clISA_SA_SB_SB_EEDaSZ_S10_SG_SL_EUlSZ_E_NS1_11comp_targetILNS1_3genE2ELNS1_11target_archE906ELNS1_3gpuE6ELNS1_3repE0EEENS1_47radix_sort_onesweep_sort_config_static_selectorELNS0_4arch9wavefront6targetE0EEEvSG_.has_dyn_sized_stack, 0
	.set _ZN7rocprim17ROCPRIM_400000_NS6detail17trampoline_kernelINS0_14default_configENS1_35radix_sort_onesweep_config_selectorIbNS0_10empty_typeEEEZZNS1_29radix_sort_onesweep_iterationIS3_Lb1EPKbPbPS5_SB_mNS0_19identity_decomposerENS1_16block_id_wrapperIjLb0EEEEE10hipError_tT1_PNSt15iterator_traitsISG_E10value_typeET2_T3_PNSH_ISM_E10value_typeET4_T5_PSR_SS_PNS1_23onesweep_lookback_stateEbbT6_jjT7_P12ihipStream_tbENKUlT_T0_SG_SL_E_clISA_SA_SB_SB_EEDaSZ_S10_SG_SL_EUlSZ_E_NS1_11comp_targetILNS1_3genE2ELNS1_11target_archE906ELNS1_3gpuE6ELNS1_3repE0EEENS1_47radix_sort_onesweep_sort_config_static_selectorELNS0_4arch9wavefront6targetE0EEEvSG_.has_recursion, 0
	.set _ZN7rocprim17ROCPRIM_400000_NS6detail17trampoline_kernelINS0_14default_configENS1_35radix_sort_onesweep_config_selectorIbNS0_10empty_typeEEEZZNS1_29radix_sort_onesweep_iterationIS3_Lb1EPKbPbPS5_SB_mNS0_19identity_decomposerENS1_16block_id_wrapperIjLb0EEEEE10hipError_tT1_PNSt15iterator_traitsISG_E10value_typeET2_T3_PNSH_ISM_E10value_typeET4_T5_PSR_SS_PNS1_23onesweep_lookback_stateEbbT6_jjT7_P12ihipStream_tbENKUlT_T0_SG_SL_E_clISA_SA_SB_SB_EEDaSZ_S10_SG_SL_EUlSZ_E_NS1_11comp_targetILNS1_3genE2ELNS1_11target_archE906ELNS1_3gpuE6ELNS1_3repE0EEENS1_47radix_sort_onesweep_sort_config_static_selectorELNS0_4arch9wavefront6targetE0EEEvSG_.has_indirect_call, 0
	.section	.AMDGPU.csdata,"",@progbits
; Kernel info:
; codeLenInByte = 0
; TotalNumSgprs: 0
; NumVgprs: 0
; ScratchSize: 0
; MemoryBound: 0
; FloatMode: 240
; IeeeMode: 1
; LDSByteSize: 0 bytes/workgroup (compile time only)
; SGPRBlocks: 0
; VGPRBlocks: 0
; NumSGPRsForWavesPerEU: 1
; NumVGPRsForWavesPerEU: 1
; NamedBarCnt: 0
; Occupancy: 16
; WaveLimiterHint : 0
; COMPUTE_PGM_RSRC2:SCRATCH_EN: 0
; COMPUTE_PGM_RSRC2:USER_SGPR: 2
; COMPUTE_PGM_RSRC2:TRAP_HANDLER: 0
; COMPUTE_PGM_RSRC2:TGID_X_EN: 1
; COMPUTE_PGM_RSRC2:TGID_Y_EN: 0
; COMPUTE_PGM_RSRC2:TGID_Z_EN: 0
; COMPUTE_PGM_RSRC2:TIDIG_COMP_CNT: 0
	.section	.text._ZN7rocprim17ROCPRIM_400000_NS6detail17trampoline_kernelINS0_14default_configENS1_35radix_sort_onesweep_config_selectorIbNS0_10empty_typeEEEZZNS1_29radix_sort_onesweep_iterationIS3_Lb1EPKbPbPS5_SB_mNS0_19identity_decomposerENS1_16block_id_wrapperIjLb0EEEEE10hipError_tT1_PNSt15iterator_traitsISG_E10value_typeET2_T3_PNSH_ISM_E10value_typeET4_T5_PSR_SS_PNS1_23onesweep_lookback_stateEbbT6_jjT7_P12ihipStream_tbENKUlT_T0_SG_SL_E_clISA_SA_SB_SB_EEDaSZ_S10_SG_SL_EUlSZ_E_NS1_11comp_targetILNS1_3genE4ELNS1_11target_archE910ELNS1_3gpuE8ELNS1_3repE0EEENS1_47radix_sort_onesweep_sort_config_static_selectorELNS0_4arch9wavefront6targetE0EEEvSG_,"axG",@progbits,_ZN7rocprim17ROCPRIM_400000_NS6detail17trampoline_kernelINS0_14default_configENS1_35radix_sort_onesweep_config_selectorIbNS0_10empty_typeEEEZZNS1_29radix_sort_onesweep_iterationIS3_Lb1EPKbPbPS5_SB_mNS0_19identity_decomposerENS1_16block_id_wrapperIjLb0EEEEE10hipError_tT1_PNSt15iterator_traitsISG_E10value_typeET2_T3_PNSH_ISM_E10value_typeET4_T5_PSR_SS_PNS1_23onesweep_lookback_stateEbbT6_jjT7_P12ihipStream_tbENKUlT_T0_SG_SL_E_clISA_SA_SB_SB_EEDaSZ_S10_SG_SL_EUlSZ_E_NS1_11comp_targetILNS1_3genE4ELNS1_11target_archE910ELNS1_3gpuE8ELNS1_3repE0EEENS1_47radix_sort_onesweep_sort_config_static_selectorELNS0_4arch9wavefront6targetE0EEEvSG_,comdat
	.protected	_ZN7rocprim17ROCPRIM_400000_NS6detail17trampoline_kernelINS0_14default_configENS1_35radix_sort_onesweep_config_selectorIbNS0_10empty_typeEEEZZNS1_29radix_sort_onesweep_iterationIS3_Lb1EPKbPbPS5_SB_mNS0_19identity_decomposerENS1_16block_id_wrapperIjLb0EEEEE10hipError_tT1_PNSt15iterator_traitsISG_E10value_typeET2_T3_PNSH_ISM_E10value_typeET4_T5_PSR_SS_PNS1_23onesweep_lookback_stateEbbT6_jjT7_P12ihipStream_tbENKUlT_T0_SG_SL_E_clISA_SA_SB_SB_EEDaSZ_S10_SG_SL_EUlSZ_E_NS1_11comp_targetILNS1_3genE4ELNS1_11target_archE910ELNS1_3gpuE8ELNS1_3repE0EEENS1_47radix_sort_onesweep_sort_config_static_selectorELNS0_4arch9wavefront6targetE0EEEvSG_ ; -- Begin function _ZN7rocprim17ROCPRIM_400000_NS6detail17trampoline_kernelINS0_14default_configENS1_35radix_sort_onesweep_config_selectorIbNS0_10empty_typeEEEZZNS1_29radix_sort_onesweep_iterationIS3_Lb1EPKbPbPS5_SB_mNS0_19identity_decomposerENS1_16block_id_wrapperIjLb0EEEEE10hipError_tT1_PNSt15iterator_traitsISG_E10value_typeET2_T3_PNSH_ISM_E10value_typeET4_T5_PSR_SS_PNS1_23onesweep_lookback_stateEbbT6_jjT7_P12ihipStream_tbENKUlT_T0_SG_SL_E_clISA_SA_SB_SB_EEDaSZ_S10_SG_SL_EUlSZ_E_NS1_11comp_targetILNS1_3genE4ELNS1_11target_archE910ELNS1_3gpuE8ELNS1_3repE0EEENS1_47radix_sort_onesweep_sort_config_static_selectorELNS0_4arch9wavefront6targetE0EEEvSG_
	.globl	_ZN7rocprim17ROCPRIM_400000_NS6detail17trampoline_kernelINS0_14default_configENS1_35radix_sort_onesweep_config_selectorIbNS0_10empty_typeEEEZZNS1_29radix_sort_onesweep_iterationIS3_Lb1EPKbPbPS5_SB_mNS0_19identity_decomposerENS1_16block_id_wrapperIjLb0EEEEE10hipError_tT1_PNSt15iterator_traitsISG_E10value_typeET2_T3_PNSH_ISM_E10value_typeET4_T5_PSR_SS_PNS1_23onesweep_lookback_stateEbbT6_jjT7_P12ihipStream_tbENKUlT_T0_SG_SL_E_clISA_SA_SB_SB_EEDaSZ_S10_SG_SL_EUlSZ_E_NS1_11comp_targetILNS1_3genE4ELNS1_11target_archE910ELNS1_3gpuE8ELNS1_3repE0EEENS1_47radix_sort_onesweep_sort_config_static_selectorELNS0_4arch9wavefront6targetE0EEEvSG_
	.p2align	8
	.type	_ZN7rocprim17ROCPRIM_400000_NS6detail17trampoline_kernelINS0_14default_configENS1_35radix_sort_onesweep_config_selectorIbNS0_10empty_typeEEEZZNS1_29radix_sort_onesweep_iterationIS3_Lb1EPKbPbPS5_SB_mNS0_19identity_decomposerENS1_16block_id_wrapperIjLb0EEEEE10hipError_tT1_PNSt15iterator_traitsISG_E10value_typeET2_T3_PNSH_ISM_E10value_typeET4_T5_PSR_SS_PNS1_23onesweep_lookback_stateEbbT6_jjT7_P12ihipStream_tbENKUlT_T0_SG_SL_E_clISA_SA_SB_SB_EEDaSZ_S10_SG_SL_EUlSZ_E_NS1_11comp_targetILNS1_3genE4ELNS1_11target_archE910ELNS1_3gpuE8ELNS1_3repE0EEENS1_47radix_sort_onesweep_sort_config_static_selectorELNS0_4arch9wavefront6targetE0EEEvSG_,@function
_ZN7rocprim17ROCPRIM_400000_NS6detail17trampoline_kernelINS0_14default_configENS1_35radix_sort_onesweep_config_selectorIbNS0_10empty_typeEEEZZNS1_29radix_sort_onesweep_iterationIS3_Lb1EPKbPbPS5_SB_mNS0_19identity_decomposerENS1_16block_id_wrapperIjLb0EEEEE10hipError_tT1_PNSt15iterator_traitsISG_E10value_typeET2_T3_PNSH_ISM_E10value_typeET4_T5_PSR_SS_PNS1_23onesweep_lookback_stateEbbT6_jjT7_P12ihipStream_tbENKUlT_T0_SG_SL_E_clISA_SA_SB_SB_EEDaSZ_S10_SG_SL_EUlSZ_E_NS1_11comp_targetILNS1_3genE4ELNS1_11target_archE910ELNS1_3gpuE8ELNS1_3repE0EEENS1_47radix_sort_onesweep_sort_config_static_selectorELNS0_4arch9wavefront6targetE0EEEvSG_: ; @_ZN7rocprim17ROCPRIM_400000_NS6detail17trampoline_kernelINS0_14default_configENS1_35radix_sort_onesweep_config_selectorIbNS0_10empty_typeEEEZZNS1_29radix_sort_onesweep_iterationIS3_Lb1EPKbPbPS5_SB_mNS0_19identity_decomposerENS1_16block_id_wrapperIjLb0EEEEE10hipError_tT1_PNSt15iterator_traitsISG_E10value_typeET2_T3_PNSH_ISM_E10value_typeET4_T5_PSR_SS_PNS1_23onesweep_lookback_stateEbbT6_jjT7_P12ihipStream_tbENKUlT_T0_SG_SL_E_clISA_SA_SB_SB_EEDaSZ_S10_SG_SL_EUlSZ_E_NS1_11comp_targetILNS1_3genE4ELNS1_11target_archE910ELNS1_3gpuE8ELNS1_3repE0EEENS1_47radix_sort_onesweep_sort_config_static_selectorELNS0_4arch9wavefront6targetE0EEEvSG_
; %bb.0:
	.section	.rodata,"a",@progbits
	.p2align	6, 0x0
	.amdhsa_kernel _ZN7rocprim17ROCPRIM_400000_NS6detail17trampoline_kernelINS0_14default_configENS1_35radix_sort_onesweep_config_selectorIbNS0_10empty_typeEEEZZNS1_29radix_sort_onesweep_iterationIS3_Lb1EPKbPbPS5_SB_mNS0_19identity_decomposerENS1_16block_id_wrapperIjLb0EEEEE10hipError_tT1_PNSt15iterator_traitsISG_E10value_typeET2_T3_PNSH_ISM_E10value_typeET4_T5_PSR_SS_PNS1_23onesweep_lookback_stateEbbT6_jjT7_P12ihipStream_tbENKUlT_T0_SG_SL_E_clISA_SA_SB_SB_EEDaSZ_S10_SG_SL_EUlSZ_E_NS1_11comp_targetILNS1_3genE4ELNS1_11target_archE910ELNS1_3gpuE8ELNS1_3repE0EEENS1_47radix_sort_onesweep_sort_config_static_selectorELNS0_4arch9wavefront6targetE0EEEvSG_
		.amdhsa_group_segment_fixed_size 0
		.amdhsa_private_segment_fixed_size 0
		.amdhsa_kernarg_size 88
		.amdhsa_user_sgpr_count 2
		.amdhsa_user_sgpr_dispatch_ptr 0
		.amdhsa_user_sgpr_queue_ptr 0
		.amdhsa_user_sgpr_kernarg_segment_ptr 1
		.amdhsa_user_sgpr_dispatch_id 0
		.amdhsa_user_sgpr_kernarg_preload_length 0
		.amdhsa_user_sgpr_kernarg_preload_offset 0
		.amdhsa_user_sgpr_private_segment_size 0
		.amdhsa_wavefront_size32 1
		.amdhsa_uses_dynamic_stack 0
		.amdhsa_enable_private_segment 0
		.amdhsa_system_sgpr_workgroup_id_x 1
		.amdhsa_system_sgpr_workgroup_id_y 0
		.amdhsa_system_sgpr_workgroup_id_z 0
		.amdhsa_system_sgpr_workgroup_info 0
		.amdhsa_system_vgpr_workitem_id 0
		.amdhsa_next_free_vgpr 1
		.amdhsa_next_free_sgpr 1
		.amdhsa_named_barrier_count 0
		.amdhsa_reserve_vcc 0
		.amdhsa_float_round_mode_32 0
		.amdhsa_float_round_mode_16_64 0
		.amdhsa_float_denorm_mode_32 3
		.amdhsa_float_denorm_mode_16_64 3
		.amdhsa_fp16_overflow 0
		.amdhsa_memory_ordered 1
		.amdhsa_forward_progress 1
		.amdhsa_inst_pref_size 0
		.amdhsa_round_robin_scheduling 0
		.amdhsa_exception_fp_ieee_invalid_op 0
		.amdhsa_exception_fp_denorm_src 0
		.amdhsa_exception_fp_ieee_div_zero 0
		.amdhsa_exception_fp_ieee_overflow 0
		.amdhsa_exception_fp_ieee_underflow 0
		.amdhsa_exception_fp_ieee_inexact 0
		.amdhsa_exception_int_div_zero 0
	.end_amdhsa_kernel
	.section	.text._ZN7rocprim17ROCPRIM_400000_NS6detail17trampoline_kernelINS0_14default_configENS1_35radix_sort_onesweep_config_selectorIbNS0_10empty_typeEEEZZNS1_29radix_sort_onesweep_iterationIS3_Lb1EPKbPbPS5_SB_mNS0_19identity_decomposerENS1_16block_id_wrapperIjLb0EEEEE10hipError_tT1_PNSt15iterator_traitsISG_E10value_typeET2_T3_PNSH_ISM_E10value_typeET4_T5_PSR_SS_PNS1_23onesweep_lookback_stateEbbT6_jjT7_P12ihipStream_tbENKUlT_T0_SG_SL_E_clISA_SA_SB_SB_EEDaSZ_S10_SG_SL_EUlSZ_E_NS1_11comp_targetILNS1_3genE4ELNS1_11target_archE910ELNS1_3gpuE8ELNS1_3repE0EEENS1_47radix_sort_onesweep_sort_config_static_selectorELNS0_4arch9wavefront6targetE0EEEvSG_,"axG",@progbits,_ZN7rocprim17ROCPRIM_400000_NS6detail17trampoline_kernelINS0_14default_configENS1_35radix_sort_onesweep_config_selectorIbNS0_10empty_typeEEEZZNS1_29radix_sort_onesweep_iterationIS3_Lb1EPKbPbPS5_SB_mNS0_19identity_decomposerENS1_16block_id_wrapperIjLb0EEEEE10hipError_tT1_PNSt15iterator_traitsISG_E10value_typeET2_T3_PNSH_ISM_E10value_typeET4_T5_PSR_SS_PNS1_23onesweep_lookback_stateEbbT6_jjT7_P12ihipStream_tbENKUlT_T0_SG_SL_E_clISA_SA_SB_SB_EEDaSZ_S10_SG_SL_EUlSZ_E_NS1_11comp_targetILNS1_3genE4ELNS1_11target_archE910ELNS1_3gpuE8ELNS1_3repE0EEENS1_47radix_sort_onesweep_sort_config_static_selectorELNS0_4arch9wavefront6targetE0EEEvSG_,comdat
.Lfunc_end1772:
	.size	_ZN7rocprim17ROCPRIM_400000_NS6detail17trampoline_kernelINS0_14default_configENS1_35radix_sort_onesweep_config_selectorIbNS0_10empty_typeEEEZZNS1_29radix_sort_onesweep_iterationIS3_Lb1EPKbPbPS5_SB_mNS0_19identity_decomposerENS1_16block_id_wrapperIjLb0EEEEE10hipError_tT1_PNSt15iterator_traitsISG_E10value_typeET2_T3_PNSH_ISM_E10value_typeET4_T5_PSR_SS_PNS1_23onesweep_lookback_stateEbbT6_jjT7_P12ihipStream_tbENKUlT_T0_SG_SL_E_clISA_SA_SB_SB_EEDaSZ_S10_SG_SL_EUlSZ_E_NS1_11comp_targetILNS1_3genE4ELNS1_11target_archE910ELNS1_3gpuE8ELNS1_3repE0EEENS1_47radix_sort_onesweep_sort_config_static_selectorELNS0_4arch9wavefront6targetE0EEEvSG_, .Lfunc_end1772-_ZN7rocprim17ROCPRIM_400000_NS6detail17trampoline_kernelINS0_14default_configENS1_35radix_sort_onesweep_config_selectorIbNS0_10empty_typeEEEZZNS1_29radix_sort_onesweep_iterationIS3_Lb1EPKbPbPS5_SB_mNS0_19identity_decomposerENS1_16block_id_wrapperIjLb0EEEEE10hipError_tT1_PNSt15iterator_traitsISG_E10value_typeET2_T3_PNSH_ISM_E10value_typeET4_T5_PSR_SS_PNS1_23onesweep_lookback_stateEbbT6_jjT7_P12ihipStream_tbENKUlT_T0_SG_SL_E_clISA_SA_SB_SB_EEDaSZ_S10_SG_SL_EUlSZ_E_NS1_11comp_targetILNS1_3genE4ELNS1_11target_archE910ELNS1_3gpuE8ELNS1_3repE0EEENS1_47radix_sort_onesweep_sort_config_static_selectorELNS0_4arch9wavefront6targetE0EEEvSG_
                                        ; -- End function
	.set _ZN7rocprim17ROCPRIM_400000_NS6detail17trampoline_kernelINS0_14default_configENS1_35radix_sort_onesweep_config_selectorIbNS0_10empty_typeEEEZZNS1_29radix_sort_onesweep_iterationIS3_Lb1EPKbPbPS5_SB_mNS0_19identity_decomposerENS1_16block_id_wrapperIjLb0EEEEE10hipError_tT1_PNSt15iterator_traitsISG_E10value_typeET2_T3_PNSH_ISM_E10value_typeET4_T5_PSR_SS_PNS1_23onesweep_lookback_stateEbbT6_jjT7_P12ihipStream_tbENKUlT_T0_SG_SL_E_clISA_SA_SB_SB_EEDaSZ_S10_SG_SL_EUlSZ_E_NS1_11comp_targetILNS1_3genE4ELNS1_11target_archE910ELNS1_3gpuE8ELNS1_3repE0EEENS1_47radix_sort_onesweep_sort_config_static_selectorELNS0_4arch9wavefront6targetE0EEEvSG_.num_vgpr, 0
	.set _ZN7rocprim17ROCPRIM_400000_NS6detail17trampoline_kernelINS0_14default_configENS1_35radix_sort_onesweep_config_selectorIbNS0_10empty_typeEEEZZNS1_29radix_sort_onesweep_iterationIS3_Lb1EPKbPbPS5_SB_mNS0_19identity_decomposerENS1_16block_id_wrapperIjLb0EEEEE10hipError_tT1_PNSt15iterator_traitsISG_E10value_typeET2_T3_PNSH_ISM_E10value_typeET4_T5_PSR_SS_PNS1_23onesweep_lookback_stateEbbT6_jjT7_P12ihipStream_tbENKUlT_T0_SG_SL_E_clISA_SA_SB_SB_EEDaSZ_S10_SG_SL_EUlSZ_E_NS1_11comp_targetILNS1_3genE4ELNS1_11target_archE910ELNS1_3gpuE8ELNS1_3repE0EEENS1_47radix_sort_onesweep_sort_config_static_selectorELNS0_4arch9wavefront6targetE0EEEvSG_.num_agpr, 0
	.set _ZN7rocprim17ROCPRIM_400000_NS6detail17trampoline_kernelINS0_14default_configENS1_35radix_sort_onesweep_config_selectorIbNS0_10empty_typeEEEZZNS1_29radix_sort_onesweep_iterationIS3_Lb1EPKbPbPS5_SB_mNS0_19identity_decomposerENS1_16block_id_wrapperIjLb0EEEEE10hipError_tT1_PNSt15iterator_traitsISG_E10value_typeET2_T3_PNSH_ISM_E10value_typeET4_T5_PSR_SS_PNS1_23onesweep_lookback_stateEbbT6_jjT7_P12ihipStream_tbENKUlT_T0_SG_SL_E_clISA_SA_SB_SB_EEDaSZ_S10_SG_SL_EUlSZ_E_NS1_11comp_targetILNS1_3genE4ELNS1_11target_archE910ELNS1_3gpuE8ELNS1_3repE0EEENS1_47radix_sort_onesweep_sort_config_static_selectorELNS0_4arch9wavefront6targetE0EEEvSG_.numbered_sgpr, 0
	.set _ZN7rocprim17ROCPRIM_400000_NS6detail17trampoline_kernelINS0_14default_configENS1_35radix_sort_onesweep_config_selectorIbNS0_10empty_typeEEEZZNS1_29radix_sort_onesweep_iterationIS3_Lb1EPKbPbPS5_SB_mNS0_19identity_decomposerENS1_16block_id_wrapperIjLb0EEEEE10hipError_tT1_PNSt15iterator_traitsISG_E10value_typeET2_T3_PNSH_ISM_E10value_typeET4_T5_PSR_SS_PNS1_23onesweep_lookback_stateEbbT6_jjT7_P12ihipStream_tbENKUlT_T0_SG_SL_E_clISA_SA_SB_SB_EEDaSZ_S10_SG_SL_EUlSZ_E_NS1_11comp_targetILNS1_3genE4ELNS1_11target_archE910ELNS1_3gpuE8ELNS1_3repE0EEENS1_47radix_sort_onesweep_sort_config_static_selectorELNS0_4arch9wavefront6targetE0EEEvSG_.num_named_barrier, 0
	.set _ZN7rocprim17ROCPRIM_400000_NS6detail17trampoline_kernelINS0_14default_configENS1_35radix_sort_onesweep_config_selectorIbNS0_10empty_typeEEEZZNS1_29radix_sort_onesweep_iterationIS3_Lb1EPKbPbPS5_SB_mNS0_19identity_decomposerENS1_16block_id_wrapperIjLb0EEEEE10hipError_tT1_PNSt15iterator_traitsISG_E10value_typeET2_T3_PNSH_ISM_E10value_typeET4_T5_PSR_SS_PNS1_23onesweep_lookback_stateEbbT6_jjT7_P12ihipStream_tbENKUlT_T0_SG_SL_E_clISA_SA_SB_SB_EEDaSZ_S10_SG_SL_EUlSZ_E_NS1_11comp_targetILNS1_3genE4ELNS1_11target_archE910ELNS1_3gpuE8ELNS1_3repE0EEENS1_47radix_sort_onesweep_sort_config_static_selectorELNS0_4arch9wavefront6targetE0EEEvSG_.private_seg_size, 0
	.set _ZN7rocprim17ROCPRIM_400000_NS6detail17trampoline_kernelINS0_14default_configENS1_35radix_sort_onesweep_config_selectorIbNS0_10empty_typeEEEZZNS1_29radix_sort_onesweep_iterationIS3_Lb1EPKbPbPS5_SB_mNS0_19identity_decomposerENS1_16block_id_wrapperIjLb0EEEEE10hipError_tT1_PNSt15iterator_traitsISG_E10value_typeET2_T3_PNSH_ISM_E10value_typeET4_T5_PSR_SS_PNS1_23onesweep_lookback_stateEbbT6_jjT7_P12ihipStream_tbENKUlT_T0_SG_SL_E_clISA_SA_SB_SB_EEDaSZ_S10_SG_SL_EUlSZ_E_NS1_11comp_targetILNS1_3genE4ELNS1_11target_archE910ELNS1_3gpuE8ELNS1_3repE0EEENS1_47radix_sort_onesweep_sort_config_static_selectorELNS0_4arch9wavefront6targetE0EEEvSG_.uses_vcc, 0
	.set _ZN7rocprim17ROCPRIM_400000_NS6detail17trampoline_kernelINS0_14default_configENS1_35radix_sort_onesweep_config_selectorIbNS0_10empty_typeEEEZZNS1_29radix_sort_onesweep_iterationIS3_Lb1EPKbPbPS5_SB_mNS0_19identity_decomposerENS1_16block_id_wrapperIjLb0EEEEE10hipError_tT1_PNSt15iterator_traitsISG_E10value_typeET2_T3_PNSH_ISM_E10value_typeET4_T5_PSR_SS_PNS1_23onesweep_lookback_stateEbbT6_jjT7_P12ihipStream_tbENKUlT_T0_SG_SL_E_clISA_SA_SB_SB_EEDaSZ_S10_SG_SL_EUlSZ_E_NS1_11comp_targetILNS1_3genE4ELNS1_11target_archE910ELNS1_3gpuE8ELNS1_3repE0EEENS1_47radix_sort_onesweep_sort_config_static_selectorELNS0_4arch9wavefront6targetE0EEEvSG_.uses_flat_scratch, 0
	.set _ZN7rocprim17ROCPRIM_400000_NS6detail17trampoline_kernelINS0_14default_configENS1_35radix_sort_onesweep_config_selectorIbNS0_10empty_typeEEEZZNS1_29radix_sort_onesweep_iterationIS3_Lb1EPKbPbPS5_SB_mNS0_19identity_decomposerENS1_16block_id_wrapperIjLb0EEEEE10hipError_tT1_PNSt15iterator_traitsISG_E10value_typeET2_T3_PNSH_ISM_E10value_typeET4_T5_PSR_SS_PNS1_23onesweep_lookback_stateEbbT6_jjT7_P12ihipStream_tbENKUlT_T0_SG_SL_E_clISA_SA_SB_SB_EEDaSZ_S10_SG_SL_EUlSZ_E_NS1_11comp_targetILNS1_3genE4ELNS1_11target_archE910ELNS1_3gpuE8ELNS1_3repE0EEENS1_47radix_sort_onesweep_sort_config_static_selectorELNS0_4arch9wavefront6targetE0EEEvSG_.has_dyn_sized_stack, 0
	.set _ZN7rocprim17ROCPRIM_400000_NS6detail17trampoline_kernelINS0_14default_configENS1_35radix_sort_onesweep_config_selectorIbNS0_10empty_typeEEEZZNS1_29radix_sort_onesweep_iterationIS3_Lb1EPKbPbPS5_SB_mNS0_19identity_decomposerENS1_16block_id_wrapperIjLb0EEEEE10hipError_tT1_PNSt15iterator_traitsISG_E10value_typeET2_T3_PNSH_ISM_E10value_typeET4_T5_PSR_SS_PNS1_23onesweep_lookback_stateEbbT6_jjT7_P12ihipStream_tbENKUlT_T0_SG_SL_E_clISA_SA_SB_SB_EEDaSZ_S10_SG_SL_EUlSZ_E_NS1_11comp_targetILNS1_3genE4ELNS1_11target_archE910ELNS1_3gpuE8ELNS1_3repE0EEENS1_47radix_sort_onesweep_sort_config_static_selectorELNS0_4arch9wavefront6targetE0EEEvSG_.has_recursion, 0
	.set _ZN7rocprim17ROCPRIM_400000_NS6detail17trampoline_kernelINS0_14default_configENS1_35radix_sort_onesweep_config_selectorIbNS0_10empty_typeEEEZZNS1_29radix_sort_onesweep_iterationIS3_Lb1EPKbPbPS5_SB_mNS0_19identity_decomposerENS1_16block_id_wrapperIjLb0EEEEE10hipError_tT1_PNSt15iterator_traitsISG_E10value_typeET2_T3_PNSH_ISM_E10value_typeET4_T5_PSR_SS_PNS1_23onesweep_lookback_stateEbbT6_jjT7_P12ihipStream_tbENKUlT_T0_SG_SL_E_clISA_SA_SB_SB_EEDaSZ_S10_SG_SL_EUlSZ_E_NS1_11comp_targetILNS1_3genE4ELNS1_11target_archE910ELNS1_3gpuE8ELNS1_3repE0EEENS1_47radix_sort_onesweep_sort_config_static_selectorELNS0_4arch9wavefront6targetE0EEEvSG_.has_indirect_call, 0
	.section	.AMDGPU.csdata,"",@progbits
; Kernel info:
; codeLenInByte = 0
; TotalNumSgprs: 0
; NumVgprs: 0
; ScratchSize: 0
; MemoryBound: 0
; FloatMode: 240
; IeeeMode: 1
; LDSByteSize: 0 bytes/workgroup (compile time only)
; SGPRBlocks: 0
; VGPRBlocks: 0
; NumSGPRsForWavesPerEU: 1
; NumVGPRsForWavesPerEU: 1
; NamedBarCnt: 0
; Occupancy: 16
; WaveLimiterHint : 0
; COMPUTE_PGM_RSRC2:SCRATCH_EN: 0
; COMPUTE_PGM_RSRC2:USER_SGPR: 2
; COMPUTE_PGM_RSRC2:TRAP_HANDLER: 0
; COMPUTE_PGM_RSRC2:TGID_X_EN: 1
; COMPUTE_PGM_RSRC2:TGID_Y_EN: 0
; COMPUTE_PGM_RSRC2:TGID_Z_EN: 0
; COMPUTE_PGM_RSRC2:TIDIG_COMP_CNT: 0
	.section	.text._ZN7rocprim17ROCPRIM_400000_NS6detail17trampoline_kernelINS0_14default_configENS1_35radix_sort_onesweep_config_selectorIbNS0_10empty_typeEEEZZNS1_29radix_sort_onesweep_iterationIS3_Lb1EPKbPbPS5_SB_mNS0_19identity_decomposerENS1_16block_id_wrapperIjLb0EEEEE10hipError_tT1_PNSt15iterator_traitsISG_E10value_typeET2_T3_PNSH_ISM_E10value_typeET4_T5_PSR_SS_PNS1_23onesweep_lookback_stateEbbT6_jjT7_P12ihipStream_tbENKUlT_T0_SG_SL_E_clISA_SA_SB_SB_EEDaSZ_S10_SG_SL_EUlSZ_E_NS1_11comp_targetILNS1_3genE3ELNS1_11target_archE908ELNS1_3gpuE7ELNS1_3repE0EEENS1_47radix_sort_onesweep_sort_config_static_selectorELNS0_4arch9wavefront6targetE0EEEvSG_,"axG",@progbits,_ZN7rocprim17ROCPRIM_400000_NS6detail17trampoline_kernelINS0_14default_configENS1_35radix_sort_onesweep_config_selectorIbNS0_10empty_typeEEEZZNS1_29radix_sort_onesweep_iterationIS3_Lb1EPKbPbPS5_SB_mNS0_19identity_decomposerENS1_16block_id_wrapperIjLb0EEEEE10hipError_tT1_PNSt15iterator_traitsISG_E10value_typeET2_T3_PNSH_ISM_E10value_typeET4_T5_PSR_SS_PNS1_23onesweep_lookback_stateEbbT6_jjT7_P12ihipStream_tbENKUlT_T0_SG_SL_E_clISA_SA_SB_SB_EEDaSZ_S10_SG_SL_EUlSZ_E_NS1_11comp_targetILNS1_3genE3ELNS1_11target_archE908ELNS1_3gpuE7ELNS1_3repE0EEENS1_47radix_sort_onesweep_sort_config_static_selectorELNS0_4arch9wavefront6targetE0EEEvSG_,comdat
	.protected	_ZN7rocprim17ROCPRIM_400000_NS6detail17trampoline_kernelINS0_14default_configENS1_35radix_sort_onesweep_config_selectorIbNS0_10empty_typeEEEZZNS1_29radix_sort_onesweep_iterationIS3_Lb1EPKbPbPS5_SB_mNS0_19identity_decomposerENS1_16block_id_wrapperIjLb0EEEEE10hipError_tT1_PNSt15iterator_traitsISG_E10value_typeET2_T3_PNSH_ISM_E10value_typeET4_T5_PSR_SS_PNS1_23onesweep_lookback_stateEbbT6_jjT7_P12ihipStream_tbENKUlT_T0_SG_SL_E_clISA_SA_SB_SB_EEDaSZ_S10_SG_SL_EUlSZ_E_NS1_11comp_targetILNS1_3genE3ELNS1_11target_archE908ELNS1_3gpuE7ELNS1_3repE0EEENS1_47radix_sort_onesweep_sort_config_static_selectorELNS0_4arch9wavefront6targetE0EEEvSG_ ; -- Begin function _ZN7rocprim17ROCPRIM_400000_NS6detail17trampoline_kernelINS0_14default_configENS1_35radix_sort_onesweep_config_selectorIbNS0_10empty_typeEEEZZNS1_29radix_sort_onesweep_iterationIS3_Lb1EPKbPbPS5_SB_mNS0_19identity_decomposerENS1_16block_id_wrapperIjLb0EEEEE10hipError_tT1_PNSt15iterator_traitsISG_E10value_typeET2_T3_PNSH_ISM_E10value_typeET4_T5_PSR_SS_PNS1_23onesweep_lookback_stateEbbT6_jjT7_P12ihipStream_tbENKUlT_T0_SG_SL_E_clISA_SA_SB_SB_EEDaSZ_S10_SG_SL_EUlSZ_E_NS1_11comp_targetILNS1_3genE3ELNS1_11target_archE908ELNS1_3gpuE7ELNS1_3repE0EEENS1_47radix_sort_onesweep_sort_config_static_selectorELNS0_4arch9wavefront6targetE0EEEvSG_
	.globl	_ZN7rocprim17ROCPRIM_400000_NS6detail17trampoline_kernelINS0_14default_configENS1_35radix_sort_onesweep_config_selectorIbNS0_10empty_typeEEEZZNS1_29radix_sort_onesweep_iterationIS3_Lb1EPKbPbPS5_SB_mNS0_19identity_decomposerENS1_16block_id_wrapperIjLb0EEEEE10hipError_tT1_PNSt15iterator_traitsISG_E10value_typeET2_T3_PNSH_ISM_E10value_typeET4_T5_PSR_SS_PNS1_23onesweep_lookback_stateEbbT6_jjT7_P12ihipStream_tbENKUlT_T0_SG_SL_E_clISA_SA_SB_SB_EEDaSZ_S10_SG_SL_EUlSZ_E_NS1_11comp_targetILNS1_3genE3ELNS1_11target_archE908ELNS1_3gpuE7ELNS1_3repE0EEENS1_47radix_sort_onesweep_sort_config_static_selectorELNS0_4arch9wavefront6targetE0EEEvSG_
	.p2align	8
	.type	_ZN7rocprim17ROCPRIM_400000_NS6detail17trampoline_kernelINS0_14default_configENS1_35radix_sort_onesweep_config_selectorIbNS0_10empty_typeEEEZZNS1_29radix_sort_onesweep_iterationIS3_Lb1EPKbPbPS5_SB_mNS0_19identity_decomposerENS1_16block_id_wrapperIjLb0EEEEE10hipError_tT1_PNSt15iterator_traitsISG_E10value_typeET2_T3_PNSH_ISM_E10value_typeET4_T5_PSR_SS_PNS1_23onesweep_lookback_stateEbbT6_jjT7_P12ihipStream_tbENKUlT_T0_SG_SL_E_clISA_SA_SB_SB_EEDaSZ_S10_SG_SL_EUlSZ_E_NS1_11comp_targetILNS1_3genE3ELNS1_11target_archE908ELNS1_3gpuE7ELNS1_3repE0EEENS1_47radix_sort_onesweep_sort_config_static_selectorELNS0_4arch9wavefront6targetE0EEEvSG_,@function
_ZN7rocprim17ROCPRIM_400000_NS6detail17trampoline_kernelINS0_14default_configENS1_35radix_sort_onesweep_config_selectorIbNS0_10empty_typeEEEZZNS1_29radix_sort_onesweep_iterationIS3_Lb1EPKbPbPS5_SB_mNS0_19identity_decomposerENS1_16block_id_wrapperIjLb0EEEEE10hipError_tT1_PNSt15iterator_traitsISG_E10value_typeET2_T3_PNSH_ISM_E10value_typeET4_T5_PSR_SS_PNS1_23onesweep_lookback_stateEbbT6_jjT7_P12ihipStream_tbENKUlT_T0_SG_SL_E_clISA_SA_SB_SB_EEDaSZ_S10_SG_SL_EUlSZ_E_NS1_11comp_targetILNS1_3genE3ELNS1_11target_archE908ELNS1_3gpuE7ELNS1_3repE0EEENS1_47radix_sort_onesweep_sort_config_static_selectorELNS0_4arch9wavefront6targetE0EEEvSG_: ; @_ZN7rocprim17ROCPRIM_400000_NS6detail17trampoline_kernelINS0_14default_configENS1_35radix_sort_onesweep_config_selectorIbNS0_10empty_typeEEEZZNS1_29radix_sort_onesweep_iterationIS3_Lb1EPKbPbPS5_SB_mNS0_19identity_decomposerENS1_16block_id_wrapperIjLb0EEEEE10hipError_tT1_PNSt15iterator_traitsISG_E10value_typeET2_T3_PNSH_ISM_E10value_typeET4_T5_PSR_SS_PNS1_23onesweep_lookback_stateEbbT6_jjT7_P12ihipStream_tbENKUlT_T0_SG_SL_E_clISA_SA_SB_SB_EEDaSZ_S10_SG_SL_EUlSZ_E_NS1_11comp_targetILNS1_3genE3ELNS1_11target_archE908ELNS1_3gpuE7ELNS1_3repE0EEENS1_47radix_sort_onesweep_sort_config_static_selectorELNS0_4arch9wavefront6targetE0EEEvSG_
; %bb.0:
	.section	.rodata,"a",@progbits
	.p2align	6, 0x0
	.amdhsa_kernel _ZN7rocprim17ROCPRIM_400000_NS6detail17trampoline_kernelINS0_14default_configENS1_35radix_sort_onesweep_config_selectorIbNS0_10empty_typeEEEZZNS1_29radix_sort_onesweep_iterationIS3_Lb1EPKbPbPS5_SB_mNS0_19identity_decomposerENS1_16block_id_wrapperIjLb0EEEEE10hipError_tT1_PNSt15iterator_traitsISG_E10value_typeET2_T3_PNSH_ISM_E10value_typeET4_T5_PSR_SS_PNS1_23onesweep_lookback_stateEbbT6_jjT7_P12ihipStream_tbENKUlT_T0_SG_SL_E_clISA_SA_SB_SB_EEDaSZ_S10_SG_SL_EUlSZ_E_NS1_11comp_targetILNS1_3genE3ELNS1_11target_archE908ELNS1_3gpuE7ELNS1_3repE0EEENS1_47radix_sort_onesweep_sort_config_static_selectorELNS0_4arch9wavefront6targetE0EEEvSG_
		.amdhsa_group_segment_fixed_size 0
		.amdhsa_private_segment_fixed_size 0
		.amdhsa_kernarg_size 88
		.amdhsa_user_sgpr_count 2
		.amdhsa_user_sgpr_dispatch_ptr 0
		.amdhsa_user_sgpr_queue_ptr 0
		.amdhsa_user_sgpr_kernarg_segment_ptr 1
		.amdhsa_user_sgpr_dispatch_id 0
		.amdhsa_user_sgpr_kernarg_preload_length 0
		.amdhsa_user_sgpr_kernarg_preload_offset 0
		.amdhsa_user_sgpr_private_segment_size 0
		.amdhsa_wavefront_size32 1
		.amdhsa_uses_dynamic_stack 0
		.amdhsa_enable_private_segment 0
		.amdhsa_system_sgpr_workgroup_id_x 1
		.amdhsa_system_sgpr_workgroup_id_y 0
		.amdhsa_system_sgpr_workgroup_id_z 0
		.amdhsa_system_sgpr_workgroup_info 0
		.amdhsa_system_vgpr_workitem_id 0
		.amdhsa_next_free_vgpr 1
		.amdhsa_next_free_sgpr 1
		.amdhsa_named_barrier_count 0
		.amdhsa_reserve_vcc 0
		.amdhsa_float_round_mode_32 0
		.amdhsa_float_round_mode_16_64 0
		.amdhsa_float_denorm_mode_32 3
		.amdhsa_float_denorm_mode_16_64 3
		.amdhsa_fp16_overflow 0
		.amdhsa_memory_ordered 1
		.amdhsa_forward_progress 1
		.amdhsa_inst_pref_size 0
		.amdhsa_round_robin_scheduling 0
		.amdhsa_exception_fp_ieee_invalid_op 0
		.amdhsa_exception_fp_denorm_src 0
		.amdhsa_exception_fp_ieee_div_zero 0
		.amdhsa_exception_fp_ieee_overflow 0
		.amdhsa_exception_fp_ieee_underflow 0
		.amdhsa_exception_fp_ieee_inexact 0
		.amdhsa_exception_int_div_zero 0
	.end_amdhsa_kernel
	.section	.text._ZN7rocprim17ROCPRIM_400000_NS6detail17trampoline_kernelINS0_14default_configENS1_35radix_sort_onesweep_config_selectorIbNS0_10empty_typeEEEZZNS1_29radix_sort_onesweep_iterationIS3_Lb1EPKbPbPS5_SB_mNS0_19identity_decomposerENS1_16block_id_wrapperIjLb0EEEEE10hipError_tT1_PNSt15iterator_traitsISG_E10value_typeET2_T3_PNSH_ISM_E10value_typeET4_T5_PSR_SS_PNS1_23onesweep_lookback_stateEbbT6_jjT7_P12ihipStream_tbENKUlT_T0_SG_SL_E_clISA_SA_SB_SB_EEDaSZ_S10_SG_SL_EUlSZ_E_NS1_11comp_targetILNS1_3genE3ELNS1_11target_archE908ELNS1_3gpuE7ELNS1_3repE0EEENS1_47radix_sort_onesweep_sort_config_static_selectorELNS0_4arch9wavefront6targetE0EEEvSG_,"axG",@progbits,_ZN7rocprim17ROCPRIM_400000_NS6detail17trampoline_kernelINS0_14default_configENS1_35radix_sort_onesweep_config_selectorIbNS0_10empty_typeEEEZZNS1_29radix_sort_onesweep_iterationIS3_Lb1EPKbPbPS5_SB_mNS0_19identity_decomposerENS1_16block_id_wrapperIjLb0EEEEE10hipError_tT1_PNSt15iterator_traitsISG_E10value_typeET2_T3_PNSH_ISM_E10value_typeET4_T5_PSR_SS_PNS1_23onesweep_lookback_stateEbbT6_jjT7_P12ihipStream_tbENKUlT_T0_SG_SL_E_clISA_SA_SB_SB_EEDaSZ_S10_SG_SL_EUlSZ_E_NS1_11comp_targetILNS1_3genE3ELNS1_11target_archE908ELNS1_3gpuE7ELNS1_3repE0EEENS1_47radix_sort_onesweep_sort_config_static_selectorELNS0_4arch9wavefront6targetE0EEEvSG_,comdat
.Lfunc_end1773:
	.size	_ZN7rocprim17ROCPRIM_400000_NS6detail17trampoline_kernelINS0_14default_configENS1_35radix_sort_onesweep_config_selectorIbNS0_10empty_typeEEEZZNS1_29radix_sort_onesweep_iterationIS3_Lb1EPKbPbPS5_SB_mNS0_19identity_decomposerENS1_16block_id_wrapperIjLb0EEEEE10hipError_tT1_PNSt15iterator_traitsISG_E10value_typeET2_T3_PNSH_ISM_E10value_typeET4_T5_PSR_SS_PNS1_23onesweep_lookback_stateEbbT6_jjT7_P12ihipStream_tbENKUlT_T0_SG_SL_E_clISA_SA_SB_SB_EEDaSZ_S10_SG_SL_EUlSZ_E_NS1_11comp_targetILNS1_3genE3ELNS1_11target_archE908ELNS1_3gpuE7ELNS1_3repE0EEENS1_47radix_sort_onesweep_sort_config_static_selectorELNS0_4arch9wavefront6targetE0EEEvSG_, .Lfunc_end1773-_ZN7rocprim17ROCPRIM_400000_NS6detail17trampoline_kernelINS0_14default_configENS1_35radix_sort_onesweep_config_selectorIbNS0_10empty_typeEEEZZNS1_29radix_sort_onesweep_iterationIS3_Lb1EPKbPbPS5_SB_mNS0_19identity_decomposerENS1_16block_id_wrapperIjLb0EEEEE10hipError_tT1_PNSt15iterator_traitsISG_E10value_typeET2_T3_PNSH_ISM_E10value_typeET4_T5_PSR_SS_PNS1_23onesweep_lookback_stateEbbT6_jjT7_P12ihipStream_tbENKUlT_T0_SG_SL_E_clISA_SA_SB_SB_EEDaSZ_S10_SG_SL_EUlSZ_E_NS1_11comp_targetILNS1_3genE3ELNS1_11target_archE908ELNS1_3gpuE7ELNS1_3repE0EEENS1_47radix_sort_onesweep_sort_config_static_selectorELNS0_4arch9wavefront6targetE0EEEvSG_
                                        ; -- End function
	.set _ZN7rocprim17ROCPRIM_400000_NS6detail17trampoline_kernelINS0_14default_configENS1_35radix_sort_onesweep_config_selectorIbNS0_10empty_typeEEEZZNS1_29radix_sort_onesweep_iterationIS3_Lb1EPKbPbPS5_SB_mNS0_19identity_decomposerENS1_16block_id_wrapperIjLb0EEEEE10hipError_tT1_PNSt15iterator_traitsISG_E10value_typeET2_T3_PNSH_ISM_E10value_typeET4_T5_PSR_SS_PNS1_23onesweep_lookback_stateEbbT6_jjT7_P12ihipStream_tbENKUlT_T0_SG_SL_E_clISA_SA_SB_SB_EEDaSZ_S10_SG_SL_EUlSZ_E_NS1_11comp_targetILNS1_3genE3ELNS1_11target_archE908ELNS1_3gpuE7ELNS1_3repE0EEENS1_47radix_sort_onesweep_sort_config_static_selectorELNS0_4arch9wavefront6targetE0EEEvSG_.num_vgpr, 0
	.set _ZN7rocprim17ROCPRIM_400000_NS6detail17trampoline_kernelINS0_14default_configENS1_35radix_sort_onesweep_config_selectorIbNS0_10empty_typeEEEZZNS1_29radix_sort_onesweep_iterationIS3_Lb1EPKbPbPS5_SB_mNS0_19identity_decomposerENS1_16block_id_wrapperIjLb0EEEEE10hipError_tT1_PNSt15iterator_traitsISG_E10value_typeET2_T3_PNSH_ISM_E10value_typeET4_T5_PSR_SS_PNS1_23onesweep_lookback_stateEbbT6_jjT7_P12ihipStream_tbENKUlT_T0_SG_SL_E_clISA_SA_SB_SB_EEDaSZ_S10_SG_SL_EUlSZ_E_NS1_11comp_targetILNS1_3genE3ELNS1_11target_archE908ELNS1_3gpuE7ELNS1_3repE0EEENS1_47radix_sort_onesweep_sort_config_static_selectorELNS0_4arch9wavefront6targetE0EEEvSG_.num_agpr, 0
	.set _ZN7rocprim17ROCPRIM_400000_NS6detail17trampoline_kernelINS0_14default_configENS1_35radix_sort_onesweep_config_selectorIbNS0_10empty_typeEEEZZNS1_29radix_sort_onesweep_iterationIS3_Lb1EPKbPbPS5_SB_mNS0_19identity_decomposerENS1_16block_id_wrapperIjLb0EEEEE10hipError_tT1_PNSt15iterator_traitsISG_E10value_typeET2_T3_PNSH_ISM_E10value_typeET4_T5_PSR_SS_PNS1_23onesweep_lookback_stateEbbT6_jjT7_P12ihipStream_tbENKUlT_T0_SG_SL_E_clISA_SA_SB_SB_EEDaSZ_S10_SG_SL_EUlSZ_E_NS1_11comp_targetILNS1_3genE3ELNS1_11target_archE908ELNS1_3gpuE7ELNS1_3repE0EEENS1_47radix_sort_onesweep_sort_config_static_selectorELNS0_4arch9wavefront6targetE0EEEvSG_.numbered_sgpr, 0
	.set _ZN7rocprim17ROCPRIM_400000_NS6detail17trampoline_kernelINS0_14default_configENS1_35radix_sort_onesweep_config_selectorIbNS0_10empty_typeEEEZZNS1_29radix_sort_onesweep_iterationIS3_Lb1EPKbPbPS5_SB_mNS0_19identity_decomposerENS1_16block_id_wrapperIjLb0EEEEE10hipError_tT1_PNSt15iterator_traitsISG_E10value_typeET2_T3_PNSH_ISM_E10value_typeET4_T5_PSR_SS_PNS1_23onesweep_lookback_stateEbbT6_jjT7_P12ihipStream_tbENKUlT_T0_SG_SL_E_clISA_SA_SB_SB_EEDaSZ_S10_SG_SL_EUlSZ_E_NS1_11comp_targetILNS1_3genE3ELNS1_11target_archE908ELNS1_3gpuE7ELNS1_3repE0EEENS1_47radix_sort_onesweep_sort_config_static_selectorELNS0_4arch9wavefront6targetE0EEEvSG_.num_named_barrier, 0
	.set _ZN7rocprim17ROCPRIM_400000_NS6detail17trampoline_kernelINS0_14default_configENS1_35radix_sort_onesweep_config_selectorIbNS0_10empty_typeEEEZZNS1_29radix_sort_onesweep_iterationIS3_Lb1EPKbPbPS5_SB_mNS0_19identity_decomposerENS1_16block_id_wrapperIjLb0EEEEE10hipError_tT1_PNSt15iterator_traitsISG_E10value_typeET2_T3_PNSH_ISM_E10value_typeET4_T5_PSR_SS_PNS1_23onesweep_lookback_stateEbbT6_jjT7_P12ihipStream_tbENKUlT_T0_SG_SL_E_clISA_SA_SB_SB_EEDaSZ_S10_SG_SL_EUlSZ_E_NS1_11comp_targetILNS1_3genE3ELNS1_11target_archE908ELNS1_3gpuE7ELNS1_3repE0EEENS1_47radix_sort_onesweep_sort_config_static_selectorELNS0_4arch9wavefront6targetE0EEEvSG_.private_seg_size, 0
	.set _ZN7rocprim17ROCPRIM_400000_NS6detail17trampoline_kernelINS0_14default_configENS1_35radix_sort_onesweep_config_selectorIbNS0_10empty_typeEEEZZNS1_29radix_sort_onesweep_iterationIS3_Lb1EPKbPbPS5_SB_mNS0_19identity_decomposerENS1_16block_id_wrapperIjLb0EEEEE10hipError_tT1_PNSt15iterator_traitsISG_E10value_typeET2_T3_PNSH_ISM_E10value_typeET4_T5_PSR_SS_PNS1_23onesweep_lookback_stateEbbT6_jjT7_P12ihipStream_tbENKUlT_T0_SG_SL_E_clISA_SA_SB_SB_EEDaSZ_S10_SG_SL_EUlSZ_E_NS1_11comp_targetILNS1_3genE3ELNS1_11target_archE908ELNS1_3gpuE7ELNS1_3repE0EEENS1_47radix_sort_onesweep_sort_config_static_selectorELNS0_4arch9wavefront6targetE0EEEvSG_.uses_vcc, 0
	.set _ZN7rocprim17ROCPRIM_400000_NS6detail17trampoline_kernelINS0_14default_configENS1_35radix_sort_onesweep_config_selectorIbNS0_10empty_typeEEEZZNS1_29radix_sort_onesweep_iterationIS3_Lb1EPKbPbPS5_SB_mNS0_19identity_decomposerENS1_16block_id_wrapperIjLb0EEEEE10hipError_tT1_PNSt15iterator_traitsISG_E10value_typeET2_T3_PNSH_ISM_E10value_typeET4_T5_PSR_SS_PNS1_23onesweep_lookback_stateEbbT6_jjT7_P12ihipStream_tbENKUlT_T0_SG_SL_E_clISA_SA_SB_SB_EEDaSZ_S10_SG_SL_EUlSZ_E_NS1_11comp_targetILNS1_3genE3ELNS1_11target_archE908ELNS1_3gpuE7ELNS1_3repE0EEENS1_47radix_sort_onesweep_sort_config_static_selectorELNS0_4arch9wavefront6targetE0EEEvSG_.uses_flat_scratch, 0
	.set _ZN7rocprim17ROCPRIM_400000_NS6detail17trampoline_kernelINS0_14default_configENS1_35radix_sort_onesweep_config_selectorIbNS0_10empty_typeEEEZZNS1_29radix_sort_onesweep_iterationIS3_Lb1EPKbPbPS5_SB_mNS0_19identity_decomposerENS1_16block_id_wrapperIjLb0EEEEE10hipError_tT1_PNSt15iterator_traitsISG_E10value_typeET2_T3_PNSH_ISM_E10value_typeET4_T5_PSR_SS_PNS1_23onesweep_lookback_stateEbbT6_jjT7_P12ihipStream_tbENKUlT_T0_SG_SL_E_clISA_SA_SB_SB_EEDaSZ_S10_SG_SL_EUlSZ_E_NS1_11comp_targetILNS1_3genE3ELNS1_11target_archE908ELNS1_3gpuE7ELNS1_3repE0EEENS1_47radix_sort_onesweep_sort_config_static_selectorELNS0_4arch9wavefront6targetE0EEEvSG_.has_dyn_sized_stack, 0
	.set _ZN7rocprim17ROCPRIM_400000_NS6detail17trampoline_kernelINS0_14default_configENS1_35radix_sort_onesweep_config_selectorIbNS0_10empty_typeEEEZZNS1_29radix_sort_onesweep_iterationIS3_Lb1EPKbPbPS5_SB_mNS0_19identity_decomposerENS1_16block_id_wrapperIjLb0EEEEE10hipError_tT1_PNSt15iterator_traitsISG_E10value_typeET2_T3_PNSH_ISM_E10value_typeET4_T5_PSR_SS_PNS1_23onesweep_lookback_stateEbbT6_jjT7_P12ihipStream_tbENKUlT_T0_SG_SL_E_clISA_SA_SB_SB_EEDaSZ_S10_SG_SL_EUlSZ_E_NS1_11comp_targetILNS1_3genE3ELNS1_11target_archE908ELNS1_3gpuE7ELNS1_3repE0EEENS1_47radix_sort_onesweep_sort_config_static_selectorELNS0_4arch9wavefront6targetE0EEEvSG_.has_recursion, 0
	.set _ZN7rocprim17ROCPRIM_400000_NS6detail17trampoline_kernelINS0_14default_configENS1_35radix_sort_onesweep_config_selectorIbNS0_10empty_typeEEEZZNS1_29radix_sort_onesweep_iterationIS3_Lb1EPKbPbPS5_SB_mNS0_19identity_decomposerENS1_16block_id_wrapperIjLb0EEEEE10hipError_tT1_PNSt15iterator_traitsISG_E10value_typeET2_T3_PNSH_ISM_E10value_typeET4_T5_PSR_SS_PNS1_23onesweep_lookback_stateEbbT6_jjT7_P12ihipStream_tbENKUlT_T0_SG_SL_E_clISA_SA_SB_SB_EEDaSZ_S10_SG_SL_EUlSZ_E_NS1_11comp_targetILNS1_3genE3ELNS1_11target_archE908ELNS1_3gpuE7ELNS1_3repE0EEENS1_47radix_sort_onesweep_sort_config_static_selectorELNS0_4arch9wavefront6targetE0EEEvSG_.has_indirect_call, 0
	.section	.AMDGPU.csdata,"",@progbits
; Kernel info:
; codeLenInByte = 0
; TotalNumSgprs: 0
; NumVgprs: 0
; ScratchSize: 0
; MemoryBound: 0
; FloatMode: 240
; IeeeMode: 1
; LDSByteSize: 0 bytes/workgroup (compile time only)
; SGPRBlocks: 0
; VGPRBlocks: 0
; NumSGPRsForWavesPerEU: 1
; NumVGPRsForWavesPerEU: 1
; NamedBarCnt: 0
; Occupancy: 16
; WaveLimiterHint : 0
; COMPUTE_PGM_RSRC2:SCRATCH_EN: 0
; COMPUTE_PGM_RSRC2:USER_SGPR: 2
; COMPUTE_PGM_RSRC2:TRAP_HANDLER: 0
; COMPUTE_PGM_RSRC2:TGID_X_EN: 1
; COMPUTE_PGM_RSRC2:TGID_Y_EN: 0
; COMPUTE_PGM_RSRC2:TGID_Z_EN: 0
; COMPUTE_PGM_RSRC2:TIDIG_COMP_CNT: 0
	.section	.text._ZN7rocprim17ROCPRIM_400000_NS6detail17trampoline_kernelINS0_14default_configENS1_35radix_sort_onesweep_config_selectorIbNS0_10empty_typeEEEZZNS1_29radix_sort_onesweep_iterationIS3_Lb1EPKbPbPS5_SB_mNS0_19identity_decomposerENS1_16block_id_wrapperIjLb0EEEEE10hipError_tT1_PNSt15iterator_traitsISG_E10value_typeET2_T3_PNSH_ISM_E10value_typeET4_T5_PSR_SS_PNS1_23onesweep_lookback_stateEbbT6_jjT7_P12ihipStream_tbENKUlT_T0_SG_SL_E_clISA_SA_SB_SB_EEDaSZ_S10_SG_SL_EUlSZ_E_NS1_11comp_targetILNS1_3genE10ELNS1_11target_archE1201ELNS1_3gpuE5ELNS1_3repE0EEENS1_47radix_sort_onesweep_sort_config_static_selectorELNS0_4arch9wavefront6targetE0EEEvSG_,"axG",@progbits,_ZN7rocprim17ROCPRIM_400000_NS6detail17trampoline_kernelINS0_14default_configENS1_35radix_sort_onesweep_config_selectorIbNS0_10empty_typeEEEZZNS1_29radix_sort_onesweep_iterationIS3_Lb1EPKbPbPS5_SB_mNS0_19identity_decomposerENS1_16block_id_wrapperIjLb0EEEEE10hipError_tT1_PNSt15iterator_traitsISG_E10value_typeET2_T3_PNSH_ISM_E10value_typeET4_T5_PSR_SS_PNS1_23onesweep_lookback_stateEbbT6_jjT7_P12ihipStream_tbENKUlT_T0_SG_SL_E_clISA_SA_SB_SB_EEDaSZ_S10_SG_SL_EUlSZ_E_NS1_11comp_targetILNS1_3genE10ELNS1_11target_archE1201ELNS1_3gpuE5ELNS1_3repE0EEENS1_47radix_sort_onesweep_sort_config_static_selectorELNS0_4arch9wavefront6targetE0EEEvSG_,comdat
	.protected	_ZN7rocprim17ROCPRIM_400000_NS6detail17trampoline_kernelINS0_14default_configENS1_35radix_sort_onesweep_config_selectorIbNS0_10empty_typeEEEZZNS1_29radix_sort_onesweep_iterationIS3_Lb1EPKbPbPS5_SB_mNS0_19identity_decomposerENS1_16block_id_wrapperIjLb0EEEEE10hipError_tT1_PNSt15iterator_traitsISG_E10value_typeET2_T3_PNSH_ISM_E10value_typeET4_T5_PSR_SS_PNS1_23onesweep_lookback_stateEbbT6_jjT7_P12ihipStream_tbENKUlT_T0_SG_SL_E_clISA_SA_SB_SB_EEDaSZ_S10_SG_SL_EUlSZ_E_NS1_11comp_targetILNS1_3genE10ELNS1_11target_archE1201ELNS1_3gpuE5ELNS1_3repE0EEENS1_47radix_sort_onesweep_sort_config_static_selectorELNS0_4arch9wavefront6targetE0EEEvSG_ ; -- Begin function _ZN7rocprim17ROCPRIM_400000_NS6detail17trampoline_kernelINS0_14default_configENS1_35radix_sort_onesweep_config_selectorIbNS0_10empty_typeEEEZZNS1_29radix_sort_onesweep_iterationIS3_Lb1EPKbPbPS5_SB_mNS0_19identity_decomposerENS1_16block_id_wrapperIjLb0EEEEE10hipError_tT1_PNSt15iterator_traitsISG_E10value_typeET2_T3_PNSH_ISM_E10value_typeET4_T5_PSR_SS_PNS1_23onesweep_lookback_stateEbbT6_jjT7_P12ihipStream_tbENKUlT_T0_SG_SL_E_clISA_SA_SB_SB_EEDaSZ_S10_SG_SL_EUlSZ_E_NS1_11comp_targetILNS1_3genE10ELNS1_11target_archE1201ELNS1_3gpuE5ELNS1_3repE0EEENS1_47radix_sort_onesweep_sort_config_static_selectorELNS0_4arch9wavefront6targetE0EEEvSG_
	.globl	_ZN7rocprim17ROCPRIM_400000_NS6detail17trampoline_kernelINS0_14default_configENS1_35radix_sort_onesweep_config_selectorIbNS0_10empty_typeEEEZZNS1_29radix_sort_onesweep_iterationIS3_Lb1EPKbPbPS5_SB_mNS0_19identity_decomposerENS1_16block_id_wrapperIjLb0EEEEE10hipError_tT1_PNSt15iterator_traitsISG_E10value_typeET2_T3_PNSH_ISM_E10value_typeET4_T5_PSR_SS_PNS1_23onesweep_lookback_stateEbbT6_jjT7_P12ihipStream_tbENKUlT_T0_SG_SL_E_clISA_SA_SB_SB_EEDaSZ_S10_SG_SL_EUlSZ_E_NS1_11comp_targetILNS1_3genE10ELNS1_11target_archE1201ELNS1_3gpuE5ELNS1_3repE0EEENS1_47radix_sort_onesweep_sort_config_static_selectorELNS0_4arch9wavefront6targetE0EEEvSG_
	.p2align	8
	.type	_ZN7rocprim17ROCPRIM_400000_NS6detail17trampoline_kernelINS0_14default_configENS1_35radix_sort_onesweep_config_selectorIbNS0_10empty_typeEEEZZNS1_29radix_sort_onesweep_iterationIS3_Lb1EPKbPbPS5_SB_mNS0_19identity_decomposerENS1_16block_id_wrapperIjLb0EEEEE10hipError_tT1_PNSt15iterator_traitsISG_E10value_typeET2_T3_PNSH_ISM_E10value_typeET4_T5_PSR_SS_PNS1_23onesweep_lookback_stateEbbT6_jjT7_P12ihipStream_tbENKUlT_T0_SG_SL_E_clISA_SA_SB_SB_EEDaSZ_S10_SG_SL_EUlSZ_E_NS1_11comp_targetILNS1_3genE10ELNS1_11target_archE1201ELNS1_3gpuE5ELNS1_3repE0EEENS1_47radix_sort_onesweep_sort_config_static_selectorELNS0_4arch9wavefront6targetE0EEEvSG_,@function
_ZN7rocprim17ROCPRIM_400000_NS6detail17trampoline_kernelINS0_14default_configENS1_35radix_sort_onesweep_config_selectorIbNS0_10empty_typeEEEZZNS1_29radix_sort_onesweep_iterationIS3_Lb1EPKbPbPS5_SB_mNS0_19identity_decomposerENS1_16block_id_wrapperIjLb0EEEEE10hipError_tT1_PNSt15iterator_traitsISG_E10value_typeET2_T3_PNSH_ISM_E10value_typeET4_T5_PSR_SS_PNS1_23onesweep_lookback_stateEbbT6_jjT7_P12ihipStream_tbENKUlT_T0_SG_SL_E_clISA_SA_SB_SB_EEDaSZ_S10_SG_SL_EUlSZ_E_NS1_11comp_targetILNS1_3genE10ELNS1_11target_archE1201ELNS1_3gpuE5ELNS1_3repE0EEENS1_47radix_sort_onesweep_sort_config_static_selectorELNS0_4arch9wavefront6targetE0EEEvSG_: ; @_ZN7rocprim17ROCPRIM_400000_NS6detail17trampoline_kernelINS0_14default_configENS1_35radix_sort_onesweep_config_selectorIbNS0_10empty_typeEEEZZNS1_29radix_sort_onesweep_iterationIS3_Lb1EPKbPbPS5_SB_mNS0_19identity_decomposerENS1_16block_id_wrapperIjLb0EEEEE10hipError_tT1_PNSt15iterator_traitsISG_E10value_typeET2_T3_PNSH_ISM_E10value_typeET4_T5_PSR_SS_PNS1_23onesweep_lookback_stateEbbT6_jjT7_P12ihipStream_tbENKUlT_T0_SG_SL_E_clISA_SA_SB_SB_EEDaSZ_S10_SG_SL_EUlSZ_E_NS1_11comp_targetILNS1_3genE10ELNS1_11target_archE1201ELNS1_3gpuE5ELNS1_3repE0EEENS1_47radix_sort_onesweep_sort_config_static_selectorELNS0_4arch9wavefront6targetE0EEEvSG_
; %bb.0:
	.section	.rodata,"a",@progbits
	.p2align	6, 0x0
	.amdhsa_kernel _ZN7rocprim17ROCPRIM_400000_NS6detail17trampoline_kernelINS0_14default_configENS1_35radix_sort_onesweep_config_selectorIbNS0_10empty_typeEEEZZNS1_29radix_sort_onesweep_iterationIS3_Lb1EPKbPbPS5_SB_mNS0_19identity_decomposerENS1_16block_id_wrapperIjLb0EEEEE10hipError_tT1_PNSt15iterator_traitsISG_E10value_typeET2_T3_PNSH_ISM_E10value_typeET4_T5_PSR_SS_PNS1_23onesweep_lookback_stateEbbT6_jjT7_P12ihipStream_tbENKUlT_T0_SG_SL_E_clISA_SA_SB_SB_EEDaSZ_S10_SG_SL_EUlSZ_E_NS1_11comp_targetILNS1_3genE10ELNS1_11target_archE1201ELNS1_3gpuE5ELNS1_3repE0EEENS1_47radix_sort_onesweep_sort_config_static_selectorELNS0_4arch9wavefront6targetE0EEEvSG_
		.amdhsa_group_segment_fixed_size 0
		.amdhsa_private_segment_fixed_size 0
		.amdhsa_kernarg_size 88
		.amdhsa_user_sgpr_count 2
		.amdhsa_user_sgpr_dispatch_ptr 0
		.amdhsa_user_sgpr_queue_ptr 0
		.amdhsa_user_sgpr_kernarg_segment_ptr 1
		.amdhsa_user_sgpr_dispatch_id 0
		.amdhsa_user_sgpr_kernarg_preload_length 0
		.amdhsa_user_sgpr_kernarg_preload_offset 0
		.amdhsa_user_sgpr_private_segment_size 0
		.amdhsa_wavefront_size32 1
		.amdhsa_uses_dynamic_stack 0
		.amdhsa_enable_private_segment 0
		.amdhsa_system_sgpr_workgroup_id_x 1
		.amdhsa_system_sgpr_workgroup_id_y 0
		.amdhsa_system_sgpr_workgroup_id_z 0
		.amdhsa_system_sgpr_workgroup_info 0
		.amdhsa_system_vgpr_workitem_id 0
		.amdhsa_next_free_vgpr 1
		.amdhsa_next_free_sgpr 1
		.amdhsa_named_barrier_count 0
		.amdhsa_reserve_vcc 0
		.amdhsa_float_round_mode_32 0
		.amdhsa_float_round_mode_16_64 0
		.amdhsa_float_denorm_mode_32 3
		.amdhsa_float_denorm_mode_16_64 3
		.amdhsa_fp16_overflow 0
		.amdhsa_memory_ordered 1
		.amdhsa_forward_progress 1
		.amdhsa_inst_pref_size 0
		.amdhsa_round_robin_scheduling 0
		.amdhsa_exception_fp_ieee_invalid_op 0
		.amdhsa_exception_fp_denorm_src 0
		.amdhsa_exception_fp_ieee_div_zero 0
		.amdhsa_exception_fp_ieee_overflow 0
		.amdhsa_exception_fp_ieee_underflow 0
		.amdhsa_exception_fp_ieee_inexact 0
		.amdhsa_exception_int_div_zero 0
	.end_amdhsa_kernel
	.section	.text._ZN7rocprim17ROCPRIM_400000_NS6detail17trampoline_kernelINS0_14default_configENS1_35radix_sort_onesweep_config_selectorIbNS0_10empty_typeEEEZZNS1_29radix_sort_onesweep_iterationIS3_Lb1EPKbPbPS5_SB_mNS0_19identity_decomposerENS1_16block_id_wrapperIjLb0EEEEE10hipError_tT1_PNSt15iterator_traitsISG_E10value_typeET2_T3_PNSH_ISM_E10value_typeET4_T5_PSR_SS_PNS1_23onesweep_lookback_stateEbbT6_jjT7_P12ihipStream_tbENKUlT_T0_SG_SL_E_clISA_SA_SB_SB_EEDaSZ_S10_SG_SL_EUlSZ_E_NS1_11comp_targetILNS1_3genE10ELNS1_11target_archE1201ELNS1_3gpuE5ELNS1_3repE0EEENS1_47radix_sort_onesweep_sort_config_static_selectorELNS0_4arch9wavefront6targetE0EEEvSG_,"axG",@progbits,_ZN7rocprim17ROCPRIM_400000_NS6detail17trampoline_kernelINS0_14default_configENS1_35radix_sort_onesweep_config_selectorIbNS0_10empty_typeEEEZZNS1_29radix_sort_onesweep_iterationIS3_Lb1EPKbPbPS5_SB_mNS0_19identity_decomposerENS1_16block_id_wrapperIjLb0EEEEE10hipError_tT1_PNSt15iterator_traitsISG_E10value_typeET2_T3_PNSH_ISM_E10value_typeET4_T5_PSR_SS_PNS1_23onesweep_lookback_stateEbbT6_jjT7_P12ihipStream_tbENKUlT_T0_SG_SL_E_clISA_SA_SB_SB_EEDaSZ_S10_SG_SL_EUlSZ_E_NS1_11comp_targetILNS1_3genE10ELNS1_11target_archE1201ELNS1_3gpuE5ELNS1_3repE0EEENS1_47radix_sort_onesweep_sort_config_static_selectorELNS0_4arch9wavefront6targetE0EEEvSG_,comdat
.Lfunc_end1774:
	.size	_ZN7rocprim17ROCPRIM_400000_NS6detail17trampoline_kernelINS0_14default_configENS1_35radix_sort_onesweep_config_selectorIbNS0_10empty_typeEEEZZNS1_29radix_sort_onesweep_iterationIS3_Lb1EPKbPbPS5_SB_mNS0_19identity_decomposerENS1_16block_id_wrapperIjLb0EEEEE10hipError_tT1_PNSt15iterator_traitsISG_E10value_typeET2_T3_PNSH_ISM_E10value_typeET4_T5_PSR_SS_PNS1_23onesweep_lookback_stateEbbT6_jjT7_P12ihipStream_tbENKUlT_T0_SG_SL_E_clISA_SA_SB_SB_EEDaSZ_S10_SG_SL_EUlSZ_E_NS1_11comp_targetILNS1_3genE10ELNS1_11target_archE1201ELNS1_3gpuE5ELNS1_3repE0EEENS1_47radix_sort_onesweep_sort_config_static_selectorELNS0_4arch9wavefront6targetE0EEEvSG_, .Lfunc_end1774-_ZN7rocprim17ROCPRIM_400000_NS6detail17trampoline_kernelINS0_14default_configENS1_35radix_sort_onesweep_config_selectorIbNS0_10empty_typeEEEZZNS1_29radix_sort_onesweep_iterationIS3_Lb1EPKbPbPS5_SB_mNS0_19identity_decomposerENS1_16block_id_wrapperIjLb0EEEEE10hipError_tT1_PNSt15iterator_traitsISG_E10value_typeET2_T3_PNSH_ISM_E10value_typeET4_T5_PSR_SS_PNS1_23onesweep_lookback_stateEbbT6_jjT7_P12ihipStream_tbENKUlT_T0_SG_SL_E_clISA_SA_SB_SB_EEDaSZ_S10_SG_SL_EUlSZ_E_NS1_11comp_targetILNS1_3genE10ELNS1_11target_archE1201ELNS1_3gpuE5ELNS1_3repE0EEENS1_47radix_sort_onesweep_sort_config_static_selectorELNS0_4arch9wavefront6targetE0EEEvSG_
                                        ; -- End function
	.set _ZN7rocprim17ROCPRIM_400000_NS6detail17trampoline_kernelINS0_14default_configENS1_35radix_sort_onesweep_config_selectorIbNS0_10empty_typeEEEZZNS1_29radix_sort_onesweep_iterationIS3_Lb1EPKbPbPS5_SB_mNS0_19identity_decomposerENS1_16block_id_wrapperIjLb0EEEEE10hipError_tT1_PNSt15iterator_traitsISG_E10value_typeET2_T3_PNSH_ISM_E10value_typeET4_T5_PSR_SS_PNS1_23onesweep_lookback_stateEbbT6_jjT7_P12ihipStream_tbENKUlT_T0_SG_SL_E_clISA_SA_SB_SB_EEDaSZ_S10_SG_SL_EUlSZ_E_NS1_11comp_targetILNS1_3genE10ELNS1_11target_archE1201ELNS1_3gpuE5ELNS1_3repE0EEENS1_47radix_sort_onesweep_sort_config_static_selectorELNS0_4arch9wavefront6targetE0EEEvSG_.num_vgpr, 0
	.set _ZN7rocprim17ROCPRIM_400000_NS6detail17trampoline_kernelINS0_14default_configENS1_35radix_sort_onesweep_config_selectorIbNS0_10empty_typeEEEZZNS1_29radix_sort_onesweep_iterationIS3_Lb1EPKbPbPS5_SB_mNS0_19identity_decomposerENS1_16block_id_wrapperIjLb0EEEEE10hipError_tT1_PNSt15iterator_traitsISG_E10value_typeET2_T3_PNSH_ISM_E10value_typeET4_T5_PSR_SS_PNS1_23onesweep_lookback_stateEbbT6_jjT7_P12ihipStream_tbENKUlT_T0_SG_SL_E_clISA_SA_SB_SB_EEDaSZ_S10_SG_SL_EUlSZ_E_NS1_11comp_targetILNS1_3genE10ELNS1_11target_archE1201ELNS1_3gpuE5ELNS1_3repE0EEENS1_47radix_sort_onesweep_sort_config_static_selectorELNS0_4arch9wavefront6targetE0EEEvSG_.num_agpr, 0
	.set _ZN7rocprim17ROCPRIM_400000_NS6detail17trampoline_kernelINS0_14default_configENS1_35radix_sort_onesweep_config_selectorIbNS0_10empty_typeEEEZZNS1_29radix_sort_onesweep_iterationIS3_Lb1EPKbPbPS5_SB_mNS0_19identity_decomposerENS1_16block_id_wrapperIjLb0EEEEE10hipError_tT1_PNSt15iterator_traitsISG_E10value_typeET2_T3_PNSH_ISM_E10value_typeET4_T5_PSR_SS_PNS1_23onesweep_lookback_stateEbbT6_jjT7_P12ihipStream_tbENKUlT_T0_SG_SL_E_clISA_SA_SB_SB_EEDaSZ_S10_SG_SL_EUlSZ_E_NS1_11comp_targetILNS1_3genE10ELNS1_11target_archE1201ELNS1_3gpuE5ELNS1_3repE0EEENS1_47radix_sort_onesweep_sort_config_static_selectorELNS0_4arch9wavefront6targetE0EEEvSG_.numbered_sgpr, 0
	.set _ZN7rocprim17ROCPRIM_400000_NS6detail17trampoline_kernelINS0_14default_configENS1_35radix_sort_onesweep_config_selectorIbNS0_10empty_typeEEEZZNS1_29radix_sort_onesweep_iterationIS3_Lb1EPKbPbPS5_SB_mNS0_19identity_decomposerENS1_16block_id_wrapperIjLb0EEEEE10hipError_tT1_PNSt15iterator_traitsISG_E10value_typeET2_T3_PNSH_ISM_E10value_typeET4_T5_PSR_SS_PNS1_23onesweep_lookback_stateEbbT6_jjT7_P12ihipStream_tbENKUlT_T0_SG_SL_E_clISA_SA_SB_SB_EEDaSZ_S10_SG_SL_EUlSZ_E_NS1_11comp_targetILNS1_3genE10ELNS1_11target_archE1201ELNS1_3gpuE5ELNS1_3repE0EEENS1_47radix_sort_onesweep_sort_config_static_selectorELNS0_4arch9wavefront6targetE0EEEvSG_.num_named_barrier, 0
	.set _ZN7rocprim17ROCPRIM_400000_NS6detail17trampoline_kernelINS0_14default_configENS1_35radix_sort_onesweep_config_selectorIbNS0_10empty_typeEEEZZNS1_29radix_sort_onesweep_iterationIS3_Lb1EPKbPbPS5_SB_mNS0_19identity_decomposerENS1_16block_id_wrapperIjLb0EEEEE10hipError_tT1_PNSt15iterator_traitsISG_E10value_typeET2_T3_PNSH_ISM_E10value_typeET4_T5_PSR_SS_PNS1_23onesweep_lookback_stateEbbT6_jjT7_P12ihipStream_tbENKUlT_T0_SG_SL_E_clISA_SA_SB_SB_EEDaSZ_S10_SG_SL_EUlSZ_E_NS1_11comp_targetILNS1_3genE10ELNS1_11target_archE1201ELNS1_3gpuE5ELNS1_3repE0EEENS1_47radix_sort_onesweep_sort_config_static_selectorELNS0_4arch9wavefront6targetE0EEEvSG_.private_seg_size, 0
	.set _ZN7rocprim17ROCPRIM_400000_NS6detail17trampoline_kernelINS0_14default_configENS1_35radix_sort_onesweep_config_selectorIbNS0_10empty_typeEEEZZNS1_29radix_sort_onesweep_iterationIS3_Lb1EPKbPbPS5_SB_mNS0_19identity_decomposerENS1_16block_id_wrapperIjLb0EEEEE10hipError_tT1_PNSt15iterator_traitsISG_E10value_typeET2_T3_PNSH_ISM_E10value_typeET4_T5_PSR_SS_PNS1_23onesweep_lookback_stateEbbT6_jjT7_P12ihipStream_tbENKUlT_T0_SG_SL_E_clISA_SA_SB_SB_EEDaSZ_S10_SG_SL_EUlSZ_E_NS1_11comp_targetILNS1_3genE10ELNS1_11target_archE1201ELNS1_3gpuE5ELNS1_3repE0EEENS1_47radix_sort_onesweep_sort_config_static_selectorELNS0_4arch9wavefront6targetE0EEEvSG_.uses_vcc, 0
	.set _ZN7rocprim17ROCPRIM_400000_NS6detail17trampoline_kernelINS0_14default_configENS1_35radix_sort_onesweep_config_selectorIbNS0_10empty_typeEEEZZNS1_29radix_sort_onesweep_iterationIS3_Lb1EPKbPbPS5_SB_mNS0_19identity_decomposerENS1_16block_id_wrapperIjLb0EEEEE10hipError_tT1_PNSt15iterator_traitsISG_E10value_typeET2_T3_PNSH_ISM_E10value_typeET4_T5_PSR_SS_PNS1_23onesweep_lookback_stateEbbT6_jjT7_P12ihipStream_tbENKUlT_T0_SG_SL_E_clISA_SA_SB_SB_EEDaSZ_S10_SG_SL_EUlSZ_E_NS1_11comp_targetILNS1_3genE10ELNS1_11target_archE1201ELNS1_3gpuE5ELNS1_3repE0EEENS1_47radix_sort_onesweep_sort_config_static_selectorELNS0_4arch9wavefront6targetE0EEEvSG_.uses_flat_scratch, 0
	.set _ZN7rocprim17ROCPRIM_400000_NS6detail17trampoline_kernelINS0_14default_configENS1_35radix_sort_onesweep_config_selectorIbNS0_10empty_typeEEEZZNS1_29radix_sort_onesweep_iterationIS3_Lb1EPKbPbPS5_SB_mNS0_19identity_decomposerENS1_16block_id_wrapperIjLb0EEEEE10hipError_tT1_PNSt15iterator_traitsISG_E10value_typeET2_T3_PNSH_ISM_E10value_typeET4_T5_PSR_SS_PNS1_23onesweep_lookback_stateEbbT6_jjT7_P12ihipStream_tbENKUlT_T0_SG_SL_E_clISA_SA_SB_SB_EEDaSZ_S10_SG_SL_EUlSZ_E_NS1_11comp_targetILNS1_3genE10ELNS1_11target_archE1201ELNS1_3gpuE5ELNS1_3repE0EEENS1_47radix_sort_onesweep_sort_config_static_selectorELNS0_4arch9wavefront6targetE0EEEvSG_.has_dyn_sized_stack, 0
	.set _ZN7rocprim17ROCPRIM_400000_NS6detail17trampoline_kernelINS0_14default_configENS1_35radix_sort_onesweep_config_selectorIbNS0_10empty_typeEEEZZNS1_29radix_sort_onesweep_iterationIS3_Lb1EPKbPbPS5_SB_mNS0_19identity_decomposerENS1_16block_id_wrapperIjLb0EEEEE10hipError_tT1_PNSt15iterator_traitsISG_E10value_typeET2_T3_PNSH_ISM_E10value_typeET4_T5_PSR_SS_PNS1_23onesweep_lookback_stateEbbT6_jjT7_P12ihipStream_tbENKUlT_T0_SG_SL_E_clISA_SA_SB_SB_EEDaSZ_S10_SG_SL_EUlSZ_E_NS1_11comp_targetILNS1_3genE10ELNS1_11target_archE1201ELNS1_3gpuE5ELNS1_3repE0EEENS1_47radix_sort_onesweep_sort_config_static_selectorELNS0_4arch9wavefront6targetE0EEEvSG_.has_recursion, 0
	.set _ZN7rocprim17ROCPRIM_400000_NS6detail17trampoline_kernelINS0_14default_configENS1_35radix_sort_onesweep_config_selectorIbNS0_10empty_typeEEEZZNS1_29radix_sort_onesweep_iterationIS3_Lb1EPKbPbPS5_SB_mNS0_19identity_decomposerENS1_16block_id_wrapperIjLb0EEEEE10hipError_tT1_PNSt15iterator_traitsISG_E10value_typeET2_T3_PNSH_ISM_E10value_typeET4_T5_PSR_SS_PNS1_23onesweep_lookback_stateEbbT6_jjT7_P12ihipStream_tbENKUlT_T0_SG_SL_E_clISA_SA_SB_SB_EEDaSZ_S10_SG_SL_EUlSZ_E_NS1_11comp_targetILNS1_3genE10ELNS1_11target_archE1201ELNS1_3gpuE5ELNS1_3repE0EEENS1_47radix_sort_onesweep_sort_config_static_selectorELNS0_4arch9wavefront6targetE0EEEvSG_.has_indirect_call, 0
	.section	.AMDGPU.csdata,"",@progbits
; Kernel info:
; codeLenInByte = 0
; TotalNumSgprs: 0
; NumVgprs: 0
; ScratchSize: 0
; MemoryBound: 0
; FloatMode: 240
; IeeeMode: 1
; LDSByteSize: 0 bytes/workgroup (compile time only)
; SGPRBlocks: 0
; VGPRBlocks: 0
; NumSGPRsForWavesPerEU: 1
; NumVGPRsForWavesPerEU: 1
; NamedBarCnt: 0
; Occupancy: 16
; WaveLimiterHint : 0
; COMPUTE_PGM_RSRC2:SCRATCH_EN: 0
; COMPUTE_PGM_RSRC2:USER_SGPR: 2
; COMPUTE_PGM_RSRC2:TRAP_HANDLER: 0
; COMPUTE_PGM_RSRC2:TGID_X_EN: 1
; COMPUTE_PGM_RSRC2:TGID_Y_EN: 0
; COMPUTE_PGM_RSRC2:TGID_Z_EN: 0
; COMPUTE_PGM_RSRC2:TIDIG_COMP_CNT: 0
	.section	.text._ZN7rocprim17ROCPRIM_400000_NS6detail17trampoline_kernelINS0_14default_configENS1_35radix_sort_onesweep_config_selectorIbNS0_10empty_typeEEEZZNS1_29radix_sort_onesweep_iterationIS3_Lb1EPKbPbPS5_SB_mNS0_19identity_decomposerENS1_16block_id_wrapperIjLb0EEEEE10hipError_tT1_PNSt15iterator_traitsISG_E10value_typeET2_T3_PNSH_ISM_E10value_typeET4_T5_PSR_SS_PNS1_23onesweep_lookback_stateEbbT6_jjT7_P12ihipStream_tbENKUlT_T0_SG_SL_E_clISA_SA_SB_SB_EEDaSZ_S10_SG_SL_EUlSZ_E_NS1_11comp_targetILNS1_3genE9ELNS1_11target_archE1100ELNS1_3gpuE3ELNS1_3repE0EEENS1_47radix_sort_onesweep_sort_config_static_selectorELNS0_4arch9wavefront6targetE0EEEvSG_,"axG",@progbits,_ZN7rocprim17ROCPRIM_400000_NS6detail17trampoline_kernelINS0_14default_configENS1_35radix_sort_onesweep_config_selectorIbNS0_10empty_typeEEEZZNS1_29radix_sort_onesweep_iterationIS3_Lb1EPKbPbPS5_SB_mNS0_19identity_decomposerENS1_16block_id_wrapperIjLb0EEEEE10hipError_tT1_PNSt15iterator_traitsISG_E10value_typeET2_T3_PNSH_ISM_E10value_typeET4_T5_PSR_SS_PNS1_23onesweep_lookback_stateEbbT6_jjT7_P12ihipStream_tbENKUlT_T0_SG_SL_E_clISA_SA_SB_SB_EEDaSZ_S10_SG_SL_EUlSZ_E_NS1_11comp_targetILNS1_3genE9ELNS1_11target_archE1100ELNS1_3gpuE3ELNS1_3repE0EEENS1_47radix_sort_onesweep_sort_config_static_selectorELNS0_4arch9wavefront6targetE0EEEvSG_,comdat
	.protected	_ZN7rocprim17ROCPRIM_400000_NS6detail17trampoline_kernelINS0_14default_configENS1_35radix_sort_onesweep_config_selectorIbNS0_10empty_typeEEEZZNS1_29radix_sort_onesweep_iterationIS3_Lb1EPKbPbPS5_SB_mNS0_19identity_decomposerENS1_16block_id_wrapperIjLb0EEEEE10hipError_tT1_PNSt15iterator_traitsISG_E10value_typeET2_T3_PNSH_ISM_E10value_typeET4_T5_PSR_SS_PNS1_23onesweep_lookback_stateEbbT6_jjT7_P12ihipStream_tbENKUlT_T0_SG_SL_E_clISA_SA_SB_SB_EEDaSZ_S10_SG_SL_EUlSZ_E_NS1_11comp_targetILNS1_3genE9ELNS1_11target_archE1100ELNS1_3gpuE3ELNS1_3repE0EEENS1_47radix_sort_onesweep_sort_config_static_selectorELNS0_4arch9wavefront6targetE0EEEvSG_ ; -- Begin function _ZN7rocprim17ROCPRIM_400000_NS6detail17trampoline_kernelINS0_14default_configENS1_35radix_sort_onesweep_config_selectorIbNS0_10empty_typeEEEZZNS1_29radix_sort_onesweep_iterationIS3_Lb1EPKbPbPS5_SB_mNS0_19identity_decomposerENS1_16block_id_wrapperIjLb0EEEEE10hipError_tT1_PNSt15iterator_traitsISG_E10value_typeET2_T3_PNSH_ISM_E10value_typeET4_T5_PSR_SS_PNS1_23onesweep_lookback_stateEbbT6_jjT7_P12ihipStream_tbENKUlT_T0_SG_SL_E_clISA_SA_SB_SB_EEDaSZ_S10_SG_SL_EUlSZ_E_NS1_11comp_targetILNS1_3genE9ELNS1_11target_archE1100ELNS1_3gpuE3ELNS1_3repE0EEENS1_47radix_sort_onesweep_sort_config_static_selectorELNS0_4arch9wavefront6targetE0EEEvSG_
	.globl	_ZN7rocprim17ROCPRIM_400000_NS6detail17trampoline_kernelINS0_14default_configENS1_35radix_sort_onesweep_config_selectorIbNS0_10empty_typeEEEZZNS1_29radix_sort_onesweep_iterationIS3_Lb1EPKbPbPS5_SB_mNS0_19identity_decomposerENS1_16block_id_wrapperIjLb0EEEEE10hipError_tT1_PNSt15iterator_traitsISG_E10value_typeET2_T3_PNSH_ISM_E10value_typeET4_T5_PSR_SS_PNS1_23onesweep_lookback_stateEbbT6_jjT7_P12ihipStream_tbENKUlT_T0_SG_SL_E_clISA_SA_SB_SB_EEDaSZ_S10_SG_SL_EUlSZ_E_NS1_11comp_targetILNS1_3genE9ELNS1_11target_archE1100ELNS1_3gpuE3ELNS1_3repE0EEENS1_47radix_sort_onesweep_sort_config_static_selectorELNS0_4arch9wavefront6targetE0EEEvSG_
	.p2align	8
	.type	_ZN7rocprim17ROCPRIM_400000_NS6detail17trampoline_kernelINS0_14default_configENS1_35radix_sort_onesweep_config_selectorIbNS0_10empty_typeEEEZZNS1_29radix_sort_onesweep_iterationIS3_Lb1EPKbPbPS5_SB_mNS0_19identity_decomposerENS1_16block_id_wrapperIjLb0EEEEE10hipError_tT1_PNSt15iterator_traitsISG_E10value_typeET2_T3_PNSH_ISM_E10value_typeET4_T5_PSR_SS_PNS1_23onesweep_lookback_stateEbbT6_jjT7_P12ihipStream_tbENKUlT_T0_SG_SL_E_clISA_SA_SB_SB_EEDaSZ_S10_SG_SL_EUlSZ_E_NS1_11comp_targetILNS1_3genE9ELNS1_11target_archE1100ELNS1_3gpuE3ELNS1_3repE0EEENS1_47radix_sort_onesweep_sort_config_static_selectorELNS0_4arch9wavefront6targetE0EEEvSG_,@function
_ZN7rocprim17ROCPRIM_400000_NS6detail17trampoline_kernelINS0_14default_configENS1_35radix_sort_onesweep_config_selectorIbNS0_10empty_typeEEEZZNS1_29radix_sort_onesweep_iterationIS3_Lb1EPKbPbPS5_SB_mNS0_19identity_decomposerENS1_16block_id_wrapperIjLb0EEEEE10hipError_tT1_PNSt15iterator_traitsISG_E10value_typeET2_T3_PNSH_ISM_E10value_typeET4_T5_PSR_SS_PNS1_23onesweep_lookback_stateEbbT6_jjT7_P12ihipStream_tbENKUlT_T0_SG_SL_E_clISA_SA_SB_SB_EEDaSZ_S10_SG_SL_EUlSZ_E_NS1_11comp_targetILNS1_3genE9ELNS1_11target_archE1100ELNS1_3gpuE3ELNS1_3repE0EEENS1_47radix_sort_onesweep_sort_config_static_selectorELNS0_4arch9wavefront6targetE0EEEvSG_: ; @_ZN7rocprim17ROCPRIM_400000_NS6detail17trampoline_kernelINS0_14default_configENS1_35radix_sort_onesweep_config_selectorIbNS0_10empty_typeEEEZZNS1_29radix_sort_onesweep_iterationIS3_Lb1EPKbPbPS5_SB_mNS0_19identity_decomposerENS1_16block_id_wrapperIjLb0EEEEE10hipError_tT1_PNSt15iterator_traitsISG_E10value_typeET2_T3_PNSH_ISM_E10value_typeET4_T5_PSR_SS_PNS1_23onesweep_lookback_stateEbbT6_jjT7_P12ihipStream_tbENKUlT_T0_SG_SL_E_clISA_SA_SB_SB_EEDaSZ_S10_SG_SL_EUlSZ_E_NS1_11comp_targetILNS1_3genE9ELNS1_11target_archE1100ELNS1_3gpuE3ELNS1_3repE0EEENS1_47radix_sort_onesweep_sort_config_static_selectorELNS0_4arch9wavefront6targetE0EEEvSG_
; %bb.0:
	.section	.rodata,"a",@progbits
	.p2align	6, 0x0
	.amdhsa_kernel _ZN7rocprim17ROCPRIM_400000_NS6detail17trampoline_kernelINS0_14default_configENS1_35radix_sort_onesweep_config_selectorIbNS0_10empty_typeEEEZZNS1_29radix_sort_onesweep_iterationIS3_Lb1EPKbPbPS5_SB_mNS0_19identity_decomposerENS1_16block_id_wrapperIjLb0EEEEE10hipError_tT1_PNSt15iterator_traitsISG_E10value_typeET2_T3_PNSH_ISM_E10value_typeET4_T5_PSR_SS_PNS1_23onesweep_lookback_stateEbbT6_jjT7_P12ihipStream_tbENKUlT_T0_SG_SL_E_clISA_SA_SB_SB_EEDaSZ_S10_SG_SL_EUlSZ_E_NS1_11comp_targetILNS1_3genE9ELNS1_11target_archE1100ELNS1_3gpuE3ELNS1_3repE0EEENS1_47radix_sort_onesweep_sort_config_static_selectorELNS0_4arch9wavefront6targetE0EEEvSG_
		.amdhsa_group_segment_fixed_size 0
		.amdhsa_private_segment_fixed_size 0
		.amdhsa_kernarg_size 88
		.amdhsa_user_sgpr_count 2
		.amdhsa_user_sgpr_dispatch_ptr 0
		.amdhsa_user_sgpr_queue_ptr 0
		.amdhsa_user_sgpr_kernarg_segment_ptr 1
		.amdhsa_user_sgpr_dispatch_id 0
		.amdhsa_user_sgpr_kernarg_preload_length 0
		.amdhsa_user_sgpr_kernarg_preload_offset 0
		.amdhsa_user_sgpr_private_segment_size 0
		.amdhsa_wavefront_size32 1
		.amdhsa_uses_dynamic_stack 0
		.amdhsa_enable_private_segment 0
		.amdhsa_system_sgpr_workgroup_id_x 1
		.amdhsa_system_sgpr_workgroup_id_y 0
		.amdhsa_system_sgpr_workgroup_id_z 0
		.amdhsa_system_sgpr_workgroup_info 0
		.amdhsa_system_vgpr_workitem_id 0
		.amdhsa_next_free_vgpr 1
		.amdhsa_next_free_sgpr 1
		.amdhsa_named_barrier_count 0
		.amdhsa_reserve_vcc 0
		.amdhsa_float_round_mode_32 0
		.amdhsa_float_round_mode_16_64 0
		.amdhsa_float_denorm_mode_32 3
		.amdhsa_float_denorm_mode_16_64 3
		.amdhsa_fp16_overflow 0
		.amdhsa_memory_ordered 1
		.amdhsa_forward_progress 1
		.amdhsa_inst_pref_size 0
		.amdhsa_round_robin_scheduling 0
		.amdhsa_exception_fp_ieee_invalid_op 0
		.amdhsa_exception_fp_denorm_src 0
		.amdhsa_exception_fp_ieee_div_zero 0
		.amdhsa_exception_fp_ieee_overflow 0
		.amdhsa_exception_fp_ieee_underflow 0
		.amdhsa_exception_fp_ieee_inexact 0
		.amdhsa_exception_int_div_zero 0
	.end_amdhsa_kernel
	.section	.text._ZN7rocprim17ROCPRIM_400000_NS6detail17trampoline_kernelINS0_14default_configENS1_35radix_sort_onesweep_config_selectorIbNS0_10empty_typeEEEZZNS1_29radix_sort_onesweep_iterationIS3_Lb1EPKbPbPS5_SB_mNS0_19identity_decomposerENS1_16block_id_wrapperIjLb0EEEEE10hipError_tT1_PNSt15iterator_traitsISG_E10value_typeET2_T3_PNSH_ISM_E10value_typeET4_T5_PSR_SS_PNS1_23onesweep_lookback_stateEbbT6_jjT7_P12ihipStream_tbENKUlT_T0_SG_SL_E_clISA_SA_SB_SB_EEDaSZ_S10_SG_SL_EUlSZ_E_NS1_11comp_targetILNS1_3genE9ELNS1_11target_archE1100ELNS1_3gpuE3ELNS1_3repE0EEENS1_47radix_sort_onesweep_sort_config_static_selectorELNS0_4arch9wavefront6targetE0EEEvSG_,"axG",@progbits,_ZN7rocprim17ROCPRIM_400000_NS6detail17trampoline_kernelINS0_14default_configENS1_35radix_sort_onesweep_config_selectorIbNS0_10empty_typeEEEZZNS1_29radix_sort_onesweep_iterationIS3_Lb1EPKbPbPS5_SB_mNS0_19identity_decomposerENS1_16block_id_wrapperIjLb0EEEEE10hipError_tT1_PNSt15iterator_traitsISG_E10value_typeET2_T3_PNSH_ISM_E10value_typeET4_T5_PSR_SS_PNS1_23onesweep_lookback_stateEbbT6_jjT7_P12ihipStream_tbENKUlT_T0_SG_SL_E_clISA_SA_SB_SB_EEDaSZ_S10_SG_SL_EUlSZ_E_NS1_11comp_targetILNS1_3genE9ELNS1_11target_archE1100ELNS1_3gpuE3ELNS1_3repE0EEENS1_47radix_sort_onesweep_sort_config_static_selectorELNS0_4arch9wavefront6targetE0EEEvSG_,comdat
.Lfunc_end1775:
	.size	_ZN7rocprim17ROCPRIM_400000_NS6detail17trampoline_kernelINS0_14default_configENS1_35radix_sort_onesweep_config_selectorIbNS0_10empty_typeEEEZZNS1_29radix_sort_onesweep_iterationIS3_Lb1EPKbPbPS5_SB_mNS0_19identity_decomposerENS1_16block_id_wrapperIjLb0EEEEE10hipError_tT1_PNSt15iterator_traitsISG_E10value_typeET2_T3_PNSH_ISM_E10value_typeET4_T5_PSR_SS_PNS1_23onesweep_lookback_stateEbbT6_jjT7_P12ihipStream_tbENKUlT_T0_SG_SL_E_clISA_SA_SB_SB_EEDaSZ_S10_SG_SL_EUlSZ_E_NS1_11comp_targetILNS1_3genE9ELNS1_11target_archE1100ELNS1_3gpuE3ELNS1_3repE0EEENS1_47radix_sort_onesweep_sort_config_static_selectorELNS0_4arch9wavefront6targetE0EEEvSG_, .Lfunc_end1775-_ZN7rocprim17ROCPRIM_400000_NS6detail17trampoline_kernelINS0_14default_configENS1_35radix_sort_onesweep_config_selectorIbNS0_10empty_typeEEEZZNS1_29radix_sort_onesweep_iterationIS3_Lb1EPKbPbPS5_SB_mNS0_19identity_decomposerENS1_16block_id_wrapperIjLb0EEEEE10hipError_tT1_PNSt15iterator_traitsISG_E10value_typeET2_T3_PNSH_ISM_E10value_typeET4_T5_PSR_SS_PNS1_23onesweep_lookback_stateEbbT6_jjT7_P12ihipStream_tbENKUlT_T0_SG_SL_E_clISA_SA_SB_SB_EEDaSZ_S10_SG_SL_EUlSZ_E_NS1_11comp_targetILNS1_3genE9ELNS1_11target_archE1100ELNS1_3gpuE3ELNS1_3repE0EEENS1_47radix_sort_onesweep_sort_config_static_selectorELNS0_4arch9wavefront6targetE0EEEvSG_
                                        ; -- End function
	.set _ZN7rocprim17ROCPRIM_400000_NS6detail17trampoline_kernelINS0_14default_configENS1_35radix_sort_onesweep_config_selectorIbNS0_10empty_typeEEEZZNS1_29radix_sort_onesweep_iterationIS3_Lb1EPKbPbPS5_SB_mNS0_19identity_decomposerENS1_16block_id_wrapperIjLb0EEEEE10hipError_tT1_PNSt15iterator_traitsISG_E10value_typeET2_T3_PNSH_ISM_E10value_typeET4_T5_PSR_SS_PNS1_23onesweep_lookback_stateEbbT6_jjT7_P12ihipStream_tbENKUlT_T0_SG_SL_E_clISA_SA_SB_SB_EEDaSZ_S10_SG_SL_EUlSZ_E_NS1_11comp_targetILNS1_3genE9ELNS1_11target_archE1100ELNS1_3gpuE3ELNS1_3repE0EEENS1_47radix_sort_onesweep_sort_config_static_selectorELNS0_4arch9wavefront6targetE0EEEvSG_.num_vgpr, 0
	.set _ZN7rocprim17ROCPRIM_400000_NS6detail17trampoline_kernelINS0_14default_configENS1_35radix_sort_onesweep_config_selectorIbNS0_10empty_typeEEEZZNS1_29radix_sort_onesweep_iterationIS3_Lb1EPKbPbPS5_SB_mNS0_19identity_decomposerENS1_16block_id_wrapperIjLb0EEEEE10hipError_tT1_PNSt15iterator_traitsISG_E10value_typeET2_T3_PNSH_ISM_E10value_typeET4_T5_PSR_SS_PNS1_23onesweep_lookback_stateEbbT6_jjT7_P12ihipStream_tbENKUlT_T0_SG_SL_E_clISA_SA_SB_SB_EEDaSZ_S10_SG_SL_EUlSZ_E_NS1_11comp_targetILNS1_3genE9ELNS1_11target_archE1100ELNS1_3gpuE3ELNS1_3repE0EEENS1_47radix_sort_onesweep_sort_config_static_selectorELNS0_4arch9wavefront6targetE0EEEvSG_.num_agpr, 0
	.set _ZN7rocprim17ROCPRIM_400000_NS6detail17trampoline_kernelINS0_14default_configENS1_35radix_sort_onesweep_config_selectorIbNS0_10empty_typeEEEZZNS1_29radix_sort_onesweep_iterationIS3_Lb1EPKbPbPS5_SB_mNS0_19identity_decomposerENS1_16block_id_wrapperIjLb0EEEEE10hipError_tT1_PNSt15iterator_traitsISG_E10value_typeET2_T3_PNSH_ISM_E10value_typeET4_T5_PSR_SS_PNS1_23onesweep_lookback_stateEbbT6_jjT7_P12ihipStream_tbENKUlT_T0_SG_SL_E_clISA_SA_SB_SB_EEDaSZ_S10_SG_SL_EUlSZ_E_NS1_11comp_targetILNS1_3genE9ELNS1_11target_archE1100ELNS1_3gpuE3ELNS1_3repE0EEENS1_47radix_sort_onesweep_sort_config_static_selectorELNS0_4arch9wavefront6targetE0EEEvSG_.numbered_sgpr, 0
	.set _ZN7rocprim17ROCPRIM_400000_NS6detail17trampoline_kernelINS0_14default_configENS1_35radix_sort_onesweep_config_selectorIbNS0_10empty_typeEEEZZNS1_29radix_sort_onesweep_iterationIS3_Lb1EPKbPbPS5_SB_mNS0_19identity_decomposerENS1_16block_id_wrapperIjLb0EEEEE10hipError_tT1_PNSt15iterator_traitsISG_E10value_typeET2_T3_PNSH_ISM_E10value_typeET4_T5_PSR_SS_PNS1_23onesweep_lookback_stateEbbT6_jjT7_P12ihipStream_tbENKUlT_T0_SG_SL_E_clISA_SA_SB_SB_EEDaSZ_S10_SG_SL_EUlSZ_E_NS1_11comp_targetILNS1_3genE9ELNS1_11target_archE1100ELNS1_3gpuE3ELNS1_3repE0EEENS1_47radix_sort_onesweep_sort_config_static_selectorELNS0_4arch9wavefront6targetE0EEEvSG_.num_named_barrier, 0
	.set _ZN7rocprim17ROCPRIM_400000_NS6detail17trampoline_kernelINS0_14default_configENS1_35radix_sort_onesweep_config_selectorIbNS0_10empty_typeEEEZZNS1_29radix_sort_onesweep_iterationIS3_Lb1EPKbPbPS5_SB_mNS0_19identity_decomposerENS1_16block_id_wrapperIjLb0EEEEE10hipError_tT1_PNSt15iterator_traitsISG_E10value_typeET2_T3_PNSH_ISM_E10value_typeET4_T5_PSR_SS_PNS1_23onesweep_lookback_stateEbbT6_jjT7_P12ihipStream_tbENKUlT_T0_SG_SL_E_clISA_SA_SB_SB_EEDaSZ_S10_SG_SL_EUlSZ_E_NS1_11comp_targetILNS1_3genE9ELNS1_11target_archE1100ELNS1_3gpuE3ELNS1_3repE0EEENS1_47radix_sort_onesweep_sort_config_static_selectorELNS0_4arch9wavefront6targetE0EEEvSG_.private_seg_size, 0
	.set _ZN7rocprim17ROCPRIM_400000_NS6detail17trampoline_kernelINS0_14default_configENS1_35radix_sort_onesweep_config_selectorIbNS0_10empty_typeEEEZZNS1_29radix_sort_onesweep_iterationIS3_Lb1EPKbPbPS5_SB_mNS0_19identity_decomposerENS1_16block_id_wrapperIjLb0EEEEE10hipError_tT1_PNSt15iterator_traitsISG_E10value_typeET2_T3_PNSH_ISM_E10value_typeET4_T5_PSR_SS_PNS1_23onesweep_lookback_stateEbbT6_jjT7_P12ihipStream_tbENKUlT_T0_SG_SL_E_clISA_SA_SB_SB_EEDaSZ_S10_SG_SL_EUlSZ_E_NS1_11comp_targetILNS1_3genE9ELNS1_11target_archE1100ELNS1_3gpuE3ELNS1_3repE0EEENS1_47radix_sort_onesweep_sort_config_static_selectorELNS0_4arch9wavefront6targetE0EEEvSG_.uses_vcc, 0
	.set _ZN7rocprim17ROCPRIM_400000_NS6detail17trampoline_kernelINS0_14default_configENS1_35radix_sort_onesweep_config_selectorIbNS0_10empty_typeEEEZZNS1_29radix_sort_onesweep_iterationIS3_Lb1EPKbPbPS5_SB_mNS0_19identity_decomposerENS1_16block_id_wrapperIjLb0EEEEE10hipError_tT1_PNSt15iterator_traitsISG_E10value_typeET2_T3_PNSH_ISM_E10value_typeET4_T5_PSR_SS_PNS1_23onesweep_lookback_stateEbbT6_jjT7_P12ihipStream_tbENKUlT_T0_SG_SL_E_clISA_SA_SB_SB_EEDaSZ_S10_SG_SL_EUlSZ_E_NS1_11comp_targetILNS1_3genE9ELNS1_11target_archE1100ELNS1_3gpuE3ELNS1_3repE0EEENS1_47radix_sort_onesweep_sort_config_static_selectorELNS0_4arch9wavefront6targetE0EEEvSG_.uses_flat_scratch, 0
	.set _ZN7rocprim17ROCPRIM_400000_NS6detail17trampoline_kernelINS0_14default_configENS1_35radix_sort_onesweep_config_selectorIbNS0_10empty_typeEEEZZNS1_29radix_sort_onesweep_iterationIS3_Lb1EPKbPbPS5_SB_mNS0_19identity_decomposerENS1_16block_id_wrapperIjLb0EEEEE10hipError_tT1_PNSt15iterator_traitsISG_E10value_typeET2_T3_PNSH_ISM_E10value_typeET4_T5_PSR_SS_PNS1_23onesweep_lookback_stateEbbT6_jjT7_P12ihipStream_tbENKUlT_T0_SG_SL_E_clISA_SA_SB_SB_EEDaSZ_S10_SG_SL_EUlSZ_E_NS1_11comp_targetILNS1_3genE9ELNS1_11target_archE1100ELNS1_3gpuE3ELNS1_3repE0EEENS1_47radix_sort_onesweep_sort_config_static_selectorELNS0_4arch9wavefront6targetE0EEEvSG_.has_dyn_sized_stack, 0
	.set _ZN7rocprim17ROCPRIM_400000_NS6detail17trampoline_kernelINS0_14default_configENS1_35radix_sort_onesweep_config_selectorIbNS0_10empty_typeEEEZZNS1_29radix_sort_onesweep_iterationIS3_Lb1EPKbPbPS5_SB_mNS0_19identity_decomposerENS1_16block_id_wrapperIjLb0EEEEE10hipError_tT1_PNSt15iterator_traitsISG_E10value_typeET2_T3_PNSH_ISM_E10value_typeET4_T5_PSR_SS_PNS1_23onesweep_lookback_stateEbbT6_jjT7_P12ihipStream_tbENKUlT_T0_SG_SL_E_clISA_SA_SB_SB_EEDaSZ_S10_SG_SL_EUlSZ_E_NS1_11comp_targetILNS1_3genE9ELNS1_11target_archE1100ELNS1_3gpuE3ELNS1_3repE0EEENS1_47radix_sort_onesweep_sort_config_static_selectorELNS0_4arch9wavefront6targetE0EEEvSG_.has_recursion, 0
	.set _ZN7rocprim17ROCPRIM_400000_NS6detail17trampoline_kernelINS0_14default_configENS1_35radix_sort_onesweep_config_selectorIbNS0_10empty_typeEEEZZNS1_29radix_sort_onesweep_iterationIS3_Lb1EPKbPbPS5_SB_mNS0_19identity_decomposerENS1_16block_id_wrapperIjLb0EEEEE10hipError_tT1_PNSt15iterator_traitsISG_E10value_typeET2_T3_PNSH_ISM_E10value_typeET4_T5_PSR_SS_PNS1_23onesweep_lookback_stateEbbT6_jjT7_P12ihipStream_tbENKUlT_T0_SG_SL_E_clISA_SA_SB_SB_EEDaSZ_S10_SG_SL_EUlSZ_E_NS1_11comp_targetILNS1_3genE9ELNS1_11target_archE1100ELNS1_3gpuE3ELNS1_3repE0EEENS1_47radix_sort_onesweep_sort_config_static_selectorELNS0_4arch9wavefront6targetE0EEEvSG_.has_indirect_call, 0
	.section	.AMDGPU.csdata,"",@progbits
; Kernel info:
; codeLenInByte = 0
; TotalNumSgprs: 0
; NumVgprs: 0
; ScratchSize: 0
; MemoryBound: 0
; FloatMode: 240
; IeeeMode: 1
; LDSByteSize: 0 bytes/workgroup (compile time only)
; SGPRBlocks: 0
; VGPRBlocks: 0
; NumSGPRsForWavesPerEU: 1
; NumVGPRsForWavesPerEU: 1
; NamedBarCnt: 0
; Occupancy: 16
; WaveLimiterHint : 0
; COMPUTE_PGM_RSRC2:SCRATCH_EN: 0
; COMPUTE_PGM_RSRC2:USER_SGPR: 2
; COMPUTE_PGM_RSRC2:TRAP_HANDLER: 0
; COMPUTE_PGM_RSRC2:TGID_X_EN: 1
; COMPUTE_PGM_RSRC2:TGID_Y_EN: 0
; COMPUTE_PGM_RSRC2:TGID_Z_EN: 0
; COMPUTE_PGM_RSRC2:TIDIG_COMP_CNT: 0
	.section	.text._ZN7rocprim17ROCPRIM_400000_NS6detail17trampoline_kernelINS0_14default_configENS1_35radix_sort_onesweep_config_selectorIbNS0_10empty_typeEEEZZNS1_29radix_sort_onesweep_iterationIS3_Lb1EPKbPbPS5_SB_mNS0_19identity_decomposerENS1_16block_id_wrapperIjLb0EEEEE10hipError_tT1_PNSt15iterator_traitsISG_E10value_typeET2_T3_PNSH_ISM_E10value_typeET4_T5_PSR_SS_PNS1_23onesweep_lookback_stateEbbT6_jjT7_P12ihipStream_tbENKUlT_T0_SG_SL_E_clISA_SA_SB_SB_EEDaSZ_S10_SG_SL_EUlSZ_E_NS1_11comp_targetILNS1_3genE8ELNS1_11target_archE1030ELNS1_3gpuE2ELNS1_3repE0EEENS1_47radix_sort_onesweep_sort_config_static_selectorELNS0_4arch9wavefront6targetE0EEEvSG_,"axG",@progbits,_ZN7rocprim17ROCPRIM_400000_NS6detail17trampoline_kernelINS0_14default_configENS1_35radix_sort_onesweep_config_selectorIbNS0_10empty_typeEEEZZNS1_29radix_sort_onesweep_iterationIS3_Lb1EPKbPbPS5_SB_mNS0_19identity_decomposerENS1_16block_id_wrapperIjLb0EEEEE10hipError_tT1_PNSt15iterator_traitsISG_E10value_typeET2_T3_PNSH_ISM_E10value_typeET4_T5_PSR_SS_PNS1_23onesweep_lookback_stateEbbT6_jjT7_P12ihipStream_tbENKUlT_T0_SG_SL_E_clISA_SA_SB_SB_EEDaSZ_S10_SG_SL_EUlSZ_E_NS1_11comp_targetILNS1_3genE8ELNS1_11target_archE1030ELNS1_3gpuE2ELNS1_3repE0EEENS1_47radix_sort_onesweep_sort_config_static_selectorELNS0_4arch9wavefront6targetE0EEEvSG_,comdat
	.protected	_ZN7rocprim17ROCPRIM_400000_NS6detail17trampoline_kernelINS0_14default_configENS1_35radix_sort_onesweep_config_selectorIbNS0_10empty_typeEEEZZNS1_29radix_sort_onesweep_iterationIS3_Lb1EPKbPbPS5_SB_mNS0_19identity_decomposerENS1_16block_id_wrapperIjLb0EEEEE10hipError_tT1_PNSt15iterator_traitsISG_E10value_typeET2_T3_PNSH_ISM_E10value_typeET4_T5_PSR_SS_PNS1_23onesweep_lookback_stateEbbT6_jjT7_P12ihipStream_tbENKUlT_T0_SG_SL_E_clISA_SA_SB_SB_EEDaSZ_S10_SG_SL_EUlSZ_E_NS1_11comp_targetILNS1_3genE8ELNS1_11target_archE1030ELNS1_3gpuE2ELNS1_3repE0EEENS1_47radix_sort_onesweep_sort_config_static_selectorELNS0_4arch9wavefront6targetE0EEEvSG_ ; -- Begin function _ZN7rocprim17ROCPRIM_400000_NS6detail17trampoline_kernelINS0_14default_configENS1_35radix_sort_onesweep_config_selectorIbNS0_10empty_typeEEEZZNS1_29radix_sort_onesweep_iterationIS3_Lb1EPKbPbPS5_SB_mNS0_19identity_decomposerENS1_16block_id_wrapperIjLb0EEEEE10hipError_tT1_PNSt15iterator_traitsISG_E10value_typeET2_T3_PNSH_ISM_E10value_typeET4_T5_PSR_SS_PNS1_23onesweep_lookback_stateEbbT6_jjT7_P12ihipStream_tbENKUlT_T0_SG_SL_E_clISA_SA_SB_SB_EEDaSZ_S10_SG_SL_EUlSZ_E_NS1_11comp_targetILNS1_3genE8ELNS1_11target_archE1030ELNS1_3gpuE2ELNS1_3repE0EEENS1_47radix_sort_onesweep_sort_config_static_selectorELNS0_4arch9wavefront6targetE0EEEvSG_
	.globl	_ZN7rocprim17ROCPRIM_400000_NS6detail17trampoline_kernelINS0_14default_configENS1_35radix_sort_onesweep_config_selectorIbNS0_10empty_typeEEEZZNS1_29radix_sort_onesweep_iterationIS3_Lb1EPKbPbPS5_SB_mNS0_19identity_decomposerENS1_16block_id_wrapperIjLb0EEEEE10hipError_tT1_PNSt15iterator_traitsISG_E10value_typeET2_T3_PNSH_ISM_E10value_typeET4_T5_PSR_SS_PNS1_23onesweep_lookback_stateEbbT6_jjT7_P12ihipStream_tbENKUlT_T0_SG_SL_E_clISA_SA_SB_SB_EEDaSZ_S10_SG_SL_EUlSZ_E_NS1_11comp_targetILNS1_3genE8ELNS1_11target_archE1030ELNS1_3gpuE2ELNS1_3repE0EEENS1_47radix_sort_onesweep_sort_config_static_selectorELNS0_4arch9wavefront6targetE0EEEvSG_
	.p2align	8
	.type	_ZN7rocprim17ROCPRIM_400000_NS6detail17trampoline_kernelINS0_14default_configENS1_35radix_sort_onesweep_config_selectorIbNS0_10empty_typeEEEZZNS1_29radix_sort_onesweep_iterationIS3_Lb1EPKbPbPS5_SB_mNS0_19identity_decomposerENS1_16block_id_wrapperIjLb0EEEEE10hipError_tT1_PNSt15iterator_traitsISG_E10value_typeET2_T3_PNSH_ISM_E10value_typeET4_T5_PSR_SS_PNS1_23onesweep_lookback_stateEbbT6_jjT7_P12ihipStream_tbENKUlT_T0_SG_SL_E_clISA_SA_SB_SB_EEDaSZ_S10_SG_SL_EUlSZ_E_NS1_11comp_targetILNS1_3genE8ELNS1_11target_archE1030ELNS1_3gpuE2ELNS1_3repE0EEENS1_47radix_sort_onesweep_sort_config_static_selectorELNS0_4arch9wavefront6targetE0EEEvSG_,@function
_ZN7rocprim17ROCPRIM_400000_NS6detail17trampoline_kernelINS0_14default_configENS1_35radix_sort_onesweep_config_selectorIbNS0_10empty_typeEEEZZNS1_29radix_sort_onesweep_iterationIS3_Lb1EPKbPbPS5_SB_mNS0_19identity_decomposerENS1_16block_id_wrapperIjLb0EEEEE10hipError_tT1_PNSt15iterator_traitsISG_E10value_typeET2_T3_PNSH_ISM_E10value_typeET4_T5_PSR_SS_PNS1_23onesweep_lookback_stateEbbT6_jjT7_P12ihipStream_tbENKUlT_T0_SG_SL_E_clISA_SA_SB_SB_EEDaSZ_S10_SG_SL_EUlSZ_E_NS1_11comp_targetILNS1_3genE8ELNS1_11target_archE1030ELNS1_3gpuE2ELNS1_3repE0EEENS1_47radix_sort_onesweep_sort_config_static_selectorELNS0_4arch9wavefront6targetE0EEEvSG_: ; @_ZN7rocprim17ROCPRIM_400000_NS6detail17trampoline_kernelINS0_14default_configENS1_35radix_sort_onesweep_config_selectorIbNS0_10empty_typeEEEZZNS1_29radix_sort_onesweep_iterationIS3_Lb1EPKbPbPS5_SB_mNS0_19identity_decomposerENS1_16block_id_wrapperIjLb0EEEEE10hipError_tT1_PNSt15iterator_traitsISG_E10value_typeET2_T3_PNSH_ISM_E10value_typeET4_T5_PSR_SS_PNS1_23onesweep_lookback_stateEbbT6_jjT7_P12ihipStream_tbENKUlT_T0_SG_SL_E_clISA_SA_SB_SB_EEDaSZ_S10_SG_SL_EUlSZ_E_NS1_11comp_targetILNS1_3genE8ELNS1_11target_archE1030ELNS1_3gpuE2ELNS1_3repE0EEENS1_47radix_sort_onesweep_sort_config_static_selectorELNS0_4arch9wavefront6targetE0EEEvSG_
; %bb.0:
	.section	.rodata,"a",@progbits
	.p2align	6, 0x0
	.amdhsa_kernel _ZN7rocprim17ROCPRIM_400000_NS6detail17trampoline_kernelINS0_14default_configENS1_35radix_sort_onesweep_config_selectorIbNS0_10empty_typeEEEZZNS1_29radix_sort_onesweep_iterationIS3_Lb1EPKbPbPS5_SB_mNS0_19identity_decomposerENS1_16block_id_wrapperIjLb0EEEEE10hipError_tT1_PNSt15iterator_traitsISG_E10value_typeET2_T3_PNSH_ISM_E10value_typeET4_T5_PSR_SS_PNS1_23onesweep_lookback_stateEbbT6_jjT7_P12ihipStream_tbENKUlT_T0_SG_SL_E_clISA_SA_SB_SB_EEDaSZ_S10_SG_SL_EUlSZ_E_NS1_11comp_targetILNS1_3genE8ELNS1_11target_archE1030ELNS1_3gpuE2ELNS1_3repE0EEENS1_47radix_sort_onesweep_sort_config_static_selectorELNS0_4arch9wavefront6targetE0EEEvSG_
		.amdhsa_group_segment_fixed_size 0
		.amdhsa_private_segment_fixed_size 0
		.amdhsa_kernarg_size 88
		.amdhsa_user_sgpr_count 2
		.amdhsa_user_sgpr_dispatch_ptr 0
		.amdhsa_user_sgpr_queue_ptr 0
		.amdhsa_user_sgpr_kernarg_segment_ptr 1
		.amdhsa_user_sgpr_dispatch_id 0
		.amdhsa_user_sgpr_kernarg_preload_length 0
		.amdhsa_user_sgpr_kernarg_preload_offset 0
		.amdhsa_user_sgpr_private_segment_size 0
		.amdhsa_wavefront_size32 1
		.amdhsa_uses_dynamic_stack 0
		.amdhsa_enable_private_segment 0
		.amdhsa_system_sgpr_workgroup_id_x 1
		.amdhsa_system_sgpr_workgroup_id_y 0
		.amdhsa_system_sgpr_workgroup_id_z 0
		.amdhsa_system_sgpr_workgroup_info 0
		.amdhsa_system_vgpr_workitem_id 0
		.amdhsa_next_free_vgpr 1
		.amdhsa_next_free_sgpr 1
		.amdhsa_named_barrier_count 0
		.amdhsa_reserve_vcc 0
		.amdhsa_float_round_mode_32 0
		.amdhsa_float_round_mode_16_64 0
		.amdhsa_float_denorm_mode_32 3
		.amdhsa_float_denorm_mode_16_64 3
		.amdhsa_fp16_overflow 0
		.amdhsa_memory_ordered 1
		.amdhsa_forward_progress 1
		.amdhsa_inst_pref_size 0
		.amdhsa_round_robin_scheduling 0
		.amdhsa_exception_fp_ieee_invalid_op 0
		.amdhsa_exception_fp_denorm_src 0
		.amdhsa_exception_fp_ieee_div_zero 0
		.amdhsa_exception_fp_ieee_overflow 0
		.amdhsa_exception_fp_ieee_underflow 0
		.amdhsa_exception_fp_ieee_inexact 0
		.amdhsa_exception_int_div_zero 0
	.end_amdhsa_kernel
	.section	.text._ZN7rocprim17ROCPRIM_400000_NS6detail17trampoline_kernelINS0_14default_configENS1_35radix_sort_onesweep_config_selectorIbNS0_10empty_typeEEEZZNS1_29radix_sort_onesweep_iterationIS3_Lb1EPKbPbPS5_SB_mNS0_19identity_decomposerENS1_16block_id_wrapperIjLb0EEEEE10hipError_tT1_PNSt15iterator_traitsISG_E10value_typeET2_T3_PNSH_ISM_E10value_typeET4_T5_PSR_SS_PNS1_23onesweep_lookback_stateEbbT6_jjT7_P12ihipStream_tbENKUlT_T0_SG_SL_E_clISA_SA_SB_SB_EEDaSZ_S10_SG_SL_EUlSZ_E_NS1_11comp_targetILNS1_3genE8ELNS1_11target_archE1030ELNS1_3gpuE2ELNS1_3repE0EEENS1_47radix_sort_onesweep_sort_config_static_selectorELNS0_4arch9wavefront6targetE0EEEvSG_,"axG",@progbits,_ZN7rocprim17ROCPRIM_400000_NS6detail17trampoline_kernelINS0_14default_configENS1_35radix_sort_onesweep_config_selectorIbNS0_10empty_typeEEEZZNS1_29radix_sort_onesweep_iterationIS3_Lb1EPKbPbPS5_SB_mNS0_19identity_decomposerENS1_16block_id_wrapperIjLb0EEEEE10hipError_tT1_PNSt15iterator_traitsISG_E10value_typeET2_T3_PNSH_ISM_E10value_typeET4_T5_PSR_SS_PNS1_23onesweep_lookback_stateEbbT6_jjT7_P12ihipStream_tbENKUlT_T0_SG_SL_E_clISA_SA_SB_SB_EEDaSZ_S10_SG_SL_EUlSZ_E_NS1_11comp_targetILNS1_3genE8ELNS1_11target_archE1030ELNS1_3gpuE2ELNS1_3repE0EEENS1_47radix_sort_onesweep_sort_config_static_selectorELNS0_4arch9wavefront6targetE0EEEvSG_,comdat
.Lfunc_end1776:
	.size	_ZN7rocprim17ROCPRIM_400000_NS6detail17trampoline_kernelINS0_14default_configENS1_35radix_sort_onesweep_config_selectorIbNS0_10empty_typeEEEZZNS1_29radix_sort_onesweep_iterationIS3_Lb1EPKbPbPS5_SB_mNS0_19identity_decomposerENS1_16block_id_wrapperIjLb0EEEEE10hipError_tT1_PNSt15iterator_traitsISG_E10value_typeET2_T3_PNSH_ISM_E10value_typeET4_T5_PSR_SS_PNS1_23onesweep_lookback_stateEbbT6_jjT7_P12ihipStream_tbENKUlT_T0_SG_SL_E_clISA_SA_SB_SB_EEDaSZ_S10_SG_SL_EUlSZ_E_NS1_11comp_targetILNS1_3genE8ELNS1_11target_archE1030ELNS1_3gpuE2ELNS1_3repE0EEENS1_47radix_sort_onesweep_sort_config_static_selectorELNS0_4arch9wavefront6targetE0EEEvSG_, .Lfunc_end1776-_ZN7rocprim17ROCPRIM_400000_NS6detail17trampoline_kernelINS0_14default_configENS1_35radix_sort_onesweep_config_selectorIbNS0_10empty_typeEEEZZNS1_29radix_sort_onesweep_iterationIS3_Lb1EPKbPbPS5_SB_mNS0_19identity_decomposerENS1_16block_id_wrapperIjLb0EEEEE10hipError_tT1_PNSt15iterator_traitsISG_E10value_typeET2_T3_PNSH_ISM_E10value_typeET4_T5_PSR_SS_PNS1_23onesweep_lookback_stateEbbT6_jjT7_P12ihipStream_tbENKUlT_T0_SG_SL_E_clISA_SA_SB_SB_EEDaSZ_S10_SG_SL_EUlSZ_E_NS1_11comp_targetILNS1_3genE8ELNS1_11target_archE1030ELNS1_3gpuE2ELNS1_3repE0EEENS1_47radix_sort_onesweep_sort_config_static_selectorELNS0_4arch9wavefront6targetE0EEEvSG_
                                        ; -- End function
	.set _ZN7rocprim17ROCPRIM_400000_NS6detail17trampoline_kernelINS0_14default_configENS1_35radix_sort_onesweep_config_selectorIbNS0_10empty_typeEEEZZNS1_29radix_sort_onesweep_iterationIS3_Lb1EPKbPbPS5_SB_mNS0_19identity_decomposerENS1_16block_id_wrapperIjLb0EEEEE10hipError_tT1_PNSt15iterator_traitsISG_E10value_typeET2_T3_PNSH_ISM_E10value_typeET4_T5_PSR_SS_PNS1_23onesweep_lookback_stateEbbT6_jjT7_P12ihipStream_tbENKUlT_T0_SG_SL_E_clISA_SA_SB_SB_EEDaSZ_S10_SG_SL_EUlSZ_E_NS1_11comp_targetILNS1_3genE8ELNS1_11target_archE1030ELNS1_3gpuE2ELNS1_3repE0EEENS1_47radix_sort_onesweep_sort_config_static_selectorELNS0_4arch9wavefront6targetE0EEEvSG_.num_vgpr, 0
	.set _ZN7rocprim17ROCPRIM_400000_NS6detail17trampoline_kernelINS0_14default_configENS1_35radix_sort_onesweep_config_selectorIbNS0_10empty_typeEEEZZNS1_29radix_sort_onesweep_iterationIS3_Lb1EPKbPbPS5_SB_mNS0_19identity_decomposerENS1_16block_id_wrapperIjLb0EEEEE10hipError_tT1_PNSt15iterator_traitsISG_E10value_typeET2_T3_PNSH_ISM_E10value_typeET4_T5_PSR_SS_PNS1_23onesweep_lookback_stateEbbT6_jjT7_P12ihipStream_tbENKUlT_T0_SG_SL_E_clISA_SA_SB_SB_EEDaSZ_S10_SG_SL_EUlSZ_E_NS1_11comp_targetILNS1_3genE8ELNS1_11target_archE1030ELNS1_3gpuE2ELNS1_3repE0EEENS1_47radix_sort_onesweep_sort_config_static_selectorELNS0_4arch9wavefront6targetE0EEEvSG_.num_agpr, 0
	.set _ZN7rocprim17ROCPRIM_400000_NS6detail17trampoline_kernelINS0_14default_configENS1_35radix_sort_onesweep_config_selectorIbNS0_10empty_typeEEEZZNS1_29radix_sort_onesweep_iterationIS3_Lb1EPKbPbPS5_SB_mNS0_19identity_decomposerENS1_16block_id_wrapperIjLb0EEEEE10hipError_tT1_PNSt15iterator_traitsISG_E10value_typeET2_T3_PNSH_ISM_E10value_typeET4_T5_PSR_SS_PNS1_23onesweep_lookback_stateEbbT6_jjT7_P12ihipStream_tbENKUlT_T0_SG_SL_E_clISA_SA_SB_SB_EEDaSZ_S10_SG_SL_EUlSZ_E_NS1_11comp_targetILNS1_3genE8ELNS1_11target_archE1030ELNS1_3gpuE2ELNS1_3repE0EEENS1_47radix_sort_onesweep_sort_config_static_selectorELNS0_4arch9wavefront6targetE0EEEvSG_.numbered_sgpr, 0
	.set _ZN7rocprim17ROCPRIM_400000_NS6detail17trampoline_kernelINS0_14default_configENS1_35radix_sort_onesweep_config_selectorIbNS0_10empty_typeEEEZZNS1_29radix_sort_onesweep_iterationIS3_Lb1EPKbPbPS5_SB_mNS0_19identity_decomposerENS1_16block_id_wrapperIjLb0EEEEE10hipError_tT1_PNSt15iterator_traitsISG_E10value_typeET2_T3_PNSH_ISM_E10value_typeET4_T5_PSR_SS_PNS1_23onesweep_lookback_stateEbbT6_jjT7_P12ihipStream_tbENKUlT_T0_SG_SL_E_clISA_SA_SB_SB_EEDaSZ_S10_SG_SL_EUlSZ_E_NS1_11comp_targetILNS1_3genE8ELNS1_11target_archE1030ELNS1_3gpuE2ELNS1_3repE0EEENS1_47radix_sort_onesweep_sort_config_static_selectorELNS0_4arch9wavefront6targetE0EEEvSG_.num_named_barrier, 0
	.set _ZN7rocprim17ROCPRIM_400000_NS6detail17trampoline_kernelINS0_14default_configENS1_35radix_sort_onesweep_config_selectorIbNS0_10empty_typeEEEZZNS1_29radix_sort_onesweep_iterationIS3_Lb1EPKbPbPS5_SB_mNS0_19identity_decomposerENS1_16block_id_wrapperIjLb0EEEEE10hipError_tT1_PNSt15iterator_traitsISG_E10value_typeET2_T3_PNSH_ISM_E10value_typeET4_T5_PSR_SS_PNS1_23onesweep_lookback_stateEbbT6_jjT7_P12ihipStream_tbENKUlT_T0_SG_SL_E_clISA_SA_SB_SB_EEDaSZ_S10_SG_SL_EUlSZ_E_NS1_11comp_targetILNS1_3genE8ELNS1_11target_archE1030ELNS1_3gpuE2ELNS1_3repE0EEENS1_47radix_sort_onesweep_sort_config_static_selectorELNS0_4arch9wavefront6targetE0EEEvSG_.private_seg_size, 0
	.set _ZN7rocprim17ROCPRIM_400000_NS6detail17trampoline_kernelINS0_14default_configENS1_35radix_sort_onesweep_config_selectorIbNS0_10empty_typeEEEZZNS1_29radix_sort_onesweep_iterationIS3_Lb1EPKbPbPS5_SB_mNS0_19identity_decomposerENS1_16block_id_wrapperIjLb0EEEEE10hipError_tT1_PNSt15iterator_traitsISG_E10value_typeET2_T3_PNSH_ISM_E10value_typeET4_T5_PSR_SS_PNS1_23onesweep_lookback_stateEbbT6_jjT7_P12ihipStream_tbENKUlT_T0_SG_SL_E_clISA_SA_SB_SB_EEDaSZ_S10_SG_SL_EUlSZ_E_NS1_11comp_targetILNS1_3genE8ELNS1_11target_archE1030ELNS1_3gpuE2ELNS1_3repE0EEENS1_47radix_sort_onesweep_sort_config_static_selectorELNS0_4arch9wavefront6targetE0EEEvSG_.uses_vcc, 0
	.set _ZN7rocprim17ROCPRIM_400000_NS6detail17trampoline_kernelINS0_14default_configENS1_35radix_sort_onesweep_config_selectorIbNS0_10empty_typeEEEZZNS1_29radix_sort_onesweep_iterationIS3_Lb1EPKbPbPS5_SB_mNS0_19identity_decomposerENS1_16block_id_wrapperIjLb0EEEEE10hipError_tT1_PNSt15iterator_traitsISG_E10value_typeET2_T3_PNSH_ISM_E10value_typeET4_T5_PSR_SS_PNS1_23onesweep_lookback_stateEbbT6_jjT7_P12ihipStream_tbENKUlT_T0_SG_SL_E_clISA_SA_SB_SB_EEDaSZ_S10_SG_SL_EUlSZ_E_NS1_11comp_targetILNS1_3genE8ELNS1_11target_archE1030ELNS1_3gpuE2ELNS1_3repE0EEENS1_47radix_sort_onesweep_sort_config_static_selectorELNS0_4arch9wavefront6targetE0EEEvSG_.uses_flat_scratch, 0
	.set _ZN7rocprim17ROCPRIM_400000_NS6detail17trampoline_kernelINS0_14default_configENS1_35radix_sort_onesweep_config_selectorIbNS0_10empty_typeEEEZZNS1_29radix_sort_onesweep_iterationIS3_Lb1EPKbPbPS5_SB_mNS0_19identity_decomposerENS1_16block_id_wrapperIjLb0EEEEE10hipError_tT1_PNSt15iterator_traitsISG_E10value_typeET2_T3_PNSH_ISM_E10value_typeET4_T5_PSR_SS_PNS1_23onesweep_lookback_stateEbbT6_jjT7_P12ihipStream_tbENKUlT_T0_SG_SL_E_clISA_SA_SB_SB_EEDaSZ_S10_SG_SL_EUlSZ_E_NS1_11comp_targetILNS1_3genE8ELNS1_11target_archE1030ELNS1_3gpuE2ELNS1_3repE0EEENS1_47radix_sort_onesweep_sort_config_static_selectorELNS0_4arch9wavefront6targetE0EEEvSG_.has_dyn_sized_stack, 0
	.set _ZN7rocprim17ROCPRIM_400000_NS6detail17trampoline_kernelINS0_14default_configENS1_35radix_sort_onesweep_config_selectorIbNS0_10empty_typeEEEZZNS1_29radix_sort_onesweep_iterationIS3_Lb1EPKbPbPS5_SB_mNS0_19identity_decomposerENS1_16block_id_wrapperIjLb0EEEEE10hipError_tT1_PNSt15iterator_traitsISG_E10value_typeET2_T3_PNSH_ISM_E10value_typeET4_T5_PSR_SS_PNS1_23onesweep_lookback_stateEbbT6_jjT7_P12ihipStream_tbENKUlT_T0_SG_SL_E_clISA_SA_SB_SB_EEDaSZ_S10_SG_SL_EUlSZ_E_NS1_11comp_targetILNS1_3genE8ELNS1_11target_archE1030ELNS1_3gpuE2ELNS1_3repE0EEENS1_47radix_sort_onesweep_sort_config_static_selectorELNS0_4arch9wavefront6targetE0EEEvSG_.has_recursion, 0
	.set _ZN7rocprim17ROCPRIM_400000_NS6detail17trampoline_kernelINS0_14default_configENS1_35radix_sort_onesweep_config_selectorIbNS0_10empty_typeEEEZZNS1_29radix_sort_onesweep_iterationIS3_Lb1EPKbPbPS5_SB_mNS0_19identity_decomposerENS1_16block_id_wrapperIjLb0EEEEE10hipError_tT1_PNSt15iterator_traitsISG_E10value_typeET2_T3_PNSH_ISM_E10value_typeET4_T5_PSR_SS_PNS1_23onesweep_lookback_stateEbbT6_jjT7_P12ihipStream_tbENKUlT_T0_SG_SL_E_clISA_SA_SB_SB_EEDaSZ_S10_SG_SL_EUlSZ_E_NS1_11comp_targetILNS1_3genE8ELNS1_11target_archE1030ELNS1_3gpuE2ELNS1_3repE0EEENS1_47radix_sort_onesweep_sort_config_static_selectorELNS0_4arch9wavefront6targetE0EEEvSG_.has_indirect_call, 0
	.section	.AMDGPU.csdata,"",@progbits
; Kernel info:
; codeLenInByte = 0
; TotalNumSgprs: 0
; NumVgprs: 0
; ScratchSize: 0
; MemoryBound: 0
; FloatMode: 240
; IeeeMode: 1
; LDSByteSize: 0 bytes/workgroup (compile time only)
; SGPRBlocks: 0
; VGPRBlocks: 0
; NumSGPRsForWavesPerEU: 1
; NumVGPRsForWavesPerEU: 1
; NamedBarCnt: 0
; Occupancy: 16
; WaveLimiterHint : 0
; COMPUTE_PGM_RSRC2:SCRATCH_EN: 0
; COMPUTE_PGM_RSRC2:USER_SGPR: 2
; COMPUTE_PGM_RSRC2:TRAP_HANDLER: 0
; COMPUTE_PGM_RSRC2:TGID_X_EN: 1
; COMPUTE_PGM_RSRC2:TGID_Y_EN: 0
; COMPUTE_PGM_RSRC2:TGID_Z_EN: 0
; COMPUTE_PGM_RSRC2:TIDIG_COMP_CNT: 0
	.section	.text._ZN7rocprim17ROCPRIM_400000_NS6detail17trampoline_kernelINS0_13kernel_configILj256ELj4ELj4294967295EEENS1_37radix_sort_block_sort_config_selectorIbNS0_10empty_typeEEEZNS1_21radix_sort_block_sortIS4_Lb0EPKbPbPS6_SC_NS0_19identity_decomposerEEE10hipError_tT1_T2_T3_T4_jRjT5_jjP12ihipStream_tbEUlT_E_NS1_11comp_targetILNS1_3genE0ELNS1_11target_archE4294967295ELNS1_3gpuE0ELNS1_3repE0EEENS1_44radix_sort_block_sort_config_static_selectorELNS0_4arch9wavefront6targetE0EEEvSF_,"axG",@progbits,_ZN7rocprim17ROCPRIM_400000_NS6detail17trampoline_kernelINS0_13kernel_configILj256ELj4ELj4294967295EEENS1_37radix_sort_block_sort_config_selectorIbNS0_10empty_typeEEEZNS1_21radix_sort_block_sortIS4_Lb0EPKbPbPS6_SC_NS0_19identity_decomposerEEE10hipError_tT1_T2_T3_T4_jRjT5_jjP12ihipStream_tbEUlT_E_NS1_11comp_targetILNS1_3genE0ELNS1_11target_archE4294967295ELNS1_3gpuE0ELNS1_3repE0EEENS1_44radix_sort_block_sort_config_static_selectorELNS0_4arch9wavefront6targetE0EEEvSF_,comdat
	.protected	_ZN7rocprim17ROCPRIM_400000_NS6detail17trampoline_kernelINS0_13kernel_configILj256ELj4ELj4294967295EEENS1_37radix_sort_block_sort_config_selectorIbNS0_10empty_typeEEEZNS1_21radix_sort_block_sortIS4_Lb0EPKbPbPS6_SC_NS0_19identity_decomposerEEE10hipError_tT1_T2_T3_T4_jRjT5_jjP12ihipStream_tbEUlT_E_NS1_11comp_targetILNS1_3genE0ELNS1_11target_archE4294967295ELNS1_3gpuE0ELNS1_3repE0EEENS1_44radix_sort_block_sort_config_static_selectorELNS0_4arch9wavefront6targetE0EEEvSF_ ; -- Begin function _ZN7rocprim17ROCPRIM_400000_NS6detail17trampoline_kernelINS0_13kernel_configILj256ELj4ELj4294967295EEENS1_37radix_sort_block_sort_config_selectorIbNS0_10empty_typeEEEZNS1_21radix_sort_block_sortIS4_Lb0EPKbPbPS6_SC_NS0_19identity_decomposerEEE10hipError_tT1_T2_T3_T4_jRjT5_jjP12ihipStream_tbEUlT_E_NS1_11comp_targetILNS1_3genE0ELNS1_11target_archE4294967295ELNS1_3gpuE0ELNS1_3repE0EEENS1_44radix_sort_block_sort_config_static_selectorELNS0_4arch9wavefront6targetE0EEEvSF_
	.globl	_ZN7rocprim17ROCPRIM_400000_NS6detail17trampoline_kernelINS0_13kernel_configILj256ELj4ELj4294967295EEENS1_37radix_sort_block_sort_config_selectorIbNS0_10empty_typeEEEZNS1_21radix_sort_block_sortIS4_Lb0EPKbPbPS6_SC_NS0_19identity_decomposerEEE10hipError_tT1_T2_T3_T4_jRjT5_jjP12ihipStream_tbEUlT_E_NS1_11comp_targetILNS1_3genE0ELNS1_11target_archE4294967295ELNS1_3gpuE0ELNS1_3repE0EEENS1_44radix_sort_block_sort_config_static_selectorELNS0_4arch9wavefront6targetE0EEEvSF_
	.p2align	8
	.type	_ZN7rocprim17ROCPRIM_400000_NS6detail17trampoline_kernelINS0_13kernel_configILj256ELj4ELj4294967295EEENS1_37radix_sort_block_sort_config_selectorIbNS0_10empty_typeEEEZNS1_21radix_sort_block_sortIS4_Lb0EPKbPbPS6_SC_NS0_19identity_decomposerEEE10hipError_tT1_T2_T3_T4_jRjT5_jjP12ihipStream_tbEUlT_E_NS1_11comp_targetILNS1_3genE0ELNS1_11target_archE4294967295ELNS1_3gpuE0ELNS1_3repE0EEENS1_44radix_sort_block_sort_config_static_selectorELNS0_4arch9wavefront6targetE0EEEvSF_,@function
_ZN7rocprim17ROCPRIM_400000_NS6detail17trampoline_kernelINS0_13kernel_configILj256ELj4ELj4294967295EEENS1_37radix_sort_block_sort_config_selectorIbNS0_10empty_typeEEEZNS1_21radix_sort_block_sortIS4_Lb0EPKbPbPS6_SC_NS0_19identity_decomposerEEE10hipError_tT1_T2_T3_T4_jRjT5_jjP12ihipStream_tbEUlT_E_NS1_11comp_targetILNS1_3genE0ELNS1_11target_archE4294967295ELNS1_3gpuE0ELNS1_3repE0EEENS1_44radix_sort_block_sort_config_static_selectorELNS0_4arch9wavefront6targetE0EEEvSF_: ; @_ZN7rocprim17ROCPRIM_400000_NS6detail17trampoline_kernelINS0_13kernel_configILj256ELj4ELj4294967295EEENS1_37radix_sort_block_sort_config_selectorIbNS0_10empty_typeEEEZNS1_21radix_sort_block_sortIS4_Lb0EPKbPbPS6_SC_NS0_19identity_decomposerEEE10hipError_tT1_T2_T3_T4_jRjT5_jjP12ihipStream_tbEUlT_E_NS1_11comp_targetILNS1_3genE0ELNS1_11target_archE4294967295ELNS1_3gpuE0ELNS1_3repE0EEENS1_44radix_sort_block_sort_config_static_selectorELNS0_4arch9wavefront6targetE0EEEvSF_
; %bb.0:
	s_clause 0x1
	s_load_b128 s[12:15], s[0:1], 0x0
	s_load_b32 s2, s[0:1], 0x20
	s_bfe_u32 s3, ttmp6, 0x4000c
	s_and_b32 s4, ttmp6, 15
	s_add_co_i32 s3, s3, 1
	s_getreg_b32 s5, hwreg(HW_REG_IB_STS2, 6, 4)
	s_mul_i32 s3, ttmp9, s3
	v_and_b32_e32 v8, 0x3ff, v0
	s_add_co_i32 s4, s4, s3
	s_cmp_eq_u32 s5, 0
	v_mbcnt_lo_u32_b32 v2, -1, 0
	s_cselect_b32 s3, ttmp9, s4
	v_dual_mov_b32 v3, 0 :: v_dual_lshlrev_b32 v1, 2, v8
	s_mov_b32 s17, 0
	s_lshl_b32 s16, s3, 10
	s_delay_alu instid0(VALU_DEP_1) | instskip(NEXT) | instid1(VALU_DEP_2)
	v_mov_b32_e32 v5, v3
	v_and_b32_e32 v4, 0x380, v1
	s_wait_kmcnt 0x0
	s_add_nc_u64 s[4:5], s[12:13], s[16:17]
	s_delay_alu instid0(SALU_CYCLE_1) | instskip(SKIP_1) | instid1(SALU_CYCLE_1)
	v_add_nc_u64_e32 v[6:7], s[4:5], v[2:3]
	s_lshr_b32 s4, s2, 10
	s_cmp_lg_u32 s3, s4
	s_cselect_b32 s21, -1, 0
	s_cmp_eq_u32 s3, s4
	s_delay_alu instid0(VALU_DEP_1)
	v_add_nc_u64_e32 v[6:7], v[6:7], v[4:5]
	s_mov_b32 s4, -1
	s_cbranch_scc1 .LBB1777_2
; %bb.1:
	s_clause 0x2
	global_load_u8 v9, v[6:7], off offset:64
	global_load_u8 v15, v[6:7], off offset:32
	global_load_u8 v14, v[6:7], off
	s_mov_b32 s3, -1
	s_load_b64 s[18:19], s[0:1], 0x28
	s_sub_co_i32 s20, s2, s16
                                        ; implicit-def: $vgpr16
	s_cbranch_execnz .LBB1777_10
	s_branch .LBB1777_3
.LBB1777_2:
	s_mov_b32 s3, s17
                                        ; implicit-def: $vgpr14
                                        ; implicit-def: $vgpr15
                                        ; implicit-def: $vgpr9
	s_load_b64 s[18:19], s[0:1], 0x28
	s_and_not1_b32 vcc_lo, exec_lo, s4
	s_sub_co_i32 s20, s2, s16
                                        ; implicit-def: $vgpr16
	s_cbranch_vccnz .LBB1777_10
.LBB1777_3:
	s_wait_loadcnt 0x2
	v_dual_mov_b32 v9, 1 :: v_dual_bitop2_b32 v1, v2, v4 bitop3:0x54
	s_wait_loadcnt 0x0
	v_dual_mov_b32 v14, 1 :: v_dual_mov_b32 v16, 1
	s_mov_b32 s2, exec_lo
	s_delay_alu instid0(VALU_DEP_2)
	v_cmpx_gt_u32_e64 s20, v1
	s_cbranch_execz .LBB1777_5
; %bb.4:
	global_load_u8 v14, v[6:7], off
	v_mov_b32_e32 v16, 1
.LBB1777_5:
	s_wait_xcnt 0x0
	s_or_b32 exec_lo, exec_lo, s2
	v_dual_mov_b32 v15, v9 :: v_dual_bitop2_b32 v3, 32, v1 bitop3:0x54
	s_mov_b32 s2, exec_lo
	s_delay_alu instid0(VALU_DEP_1)
	v_cmpx_gt_u32_e64 s20, v3
	s_cbranch_execz .LBB1777_7
; %bb.6:
	global_load_u8 v15, v[6:7], off offset:32
.LBB1777_7:
	s_wait_xcnt 0x0
	s_or_b32 exec_lo, exec_lo, s2
	v_or_b32_e32 v3, 64, v1
	s_mov_b32 s2, exec_lo
	s_delay_alu instid0(VALU_DEP_1)
	v_cmpx_gt_u32_e64 s20, v3
	s_cbranch_execz .LBB1777_9
; %bb.8:
	global_load_u8 v9, v[6:7], off offset:64
.LBB1777_9:
	s_wait_xcnt 0x0
	s_or_b32 exec_lo, exec_lo, s2
	v_or_b32_e32 v1, 0x60, v1
	s_delay_alu instid0(VALU_DEP_1)
	v_cmp_gt_u32_e64 s3, s20, v1
.LBB1777_10:
	s_delay_alu instid0(VALU_DEP_1)
	s_and_saveexec_b32 s2, s3
	s_cbranch_execz .LBB1777_12
; %bb.11:
	global_load_u8 v16, v[6:7], off offset:96
.LBB1777_12:
	s_wait_xcnt 0x0
	s_or_b32 exec_lo, exec_lo, s2
	s_load_b32 s8, s[0:1], 0x3c
	v_bfe_u32 v1, v0, 10, 10
	v_bfe_u32 v0, v0, 20, 10
	s_mov_b32 s6, 0
	s_get_pc_i64 s[4:5]
	s_add_nc_u64 s[4:5], s[4:5], _ZN7rocprim17ROCPRIM_400000_NS16block_radix_sortIbLj256ELj4ENS0_10empty_typeELj1ELj1ELj0ELNS0_26block_radix_rank_algorithmE1ELNS0_18block_padding_hintE2ELNS0_4arch9wavefront6targetE0EE19radix_bits_per_passE@rel64+4
	s_mov_b32 s7, s6
	s_mov_b32 s24, s6
	;; [unrolled: 1-line block ×3, first 2 shown]
	v_mov_b64_e32 v[10:11], s[6:7]
	v_and_b32_e32 v6, 0x3e0, v8
	v_sub_co_u32 v7, s2, v2, 1
	s_load_b32 s22, s[4:5], 0x0
	v_dual_lshlrev_b32 v17, 5, v8 :: v_dual_bitop2_b32 v3, 15, v2 bitop3:0x40
	v_dual_lshrrev_b32 v12, 3, v8 :: v_dual_bitop2_b32 v5, 16, v2 bitop3:0x40
	v_cmp_gt_i32_e32 vcc_lo, 0, v7
	v_and_b32_e32 v13, 7, v2
	v_mul_i32_i24_e32 v22, 0xffffffe4, v8
	s_wait_kmcnt 0x0
	s_lshr_b32 s9, s8, 16
	s_and_b32 s6, s8, 0xffff
	v_mad_u32_u24 v0, v0, s9, v1
	v_min_u32_e32 v1, 0xe0, v6
	v_cmp_eq_u32_e64 s4, 0, v3
	v_cmp_lt_u32_e64 s5, 1, v3
	v_cmp_lt_u32_e64 s7, 7, v3
	v_mad_u32 v0, v0, s6, v8
	v_cmp_lt_u32_e64 s6, 3, v3
	v_cndmask_b32_e32 v3, v7, v2, vcc_lo
	v_and_b32_e32 v18, 0x7c, v12
	v_or_b32_e32 v1, 31, v1
	v_cmp_eq_u32_e64 s9, 0, v13
	v_cmp_lt_u32_e64 s10, 1, v13
	v_cmp_lt_u32_e64 s11, 3, v13
	v_mov_b64_e32 v[12:13], s[24:25]
	v_cmp_gt_u32_e64 s0, 8, v8
	v_cmp_lt_u32_e64 s1, 31, v8
	v_lshrrev_b32_e32 v0, 3, v0
	v_cmp_eq_u32_e64 s3, 0, v8
	v_cmp_eq_u32_e64 s8, 0, v5
	v_dual_lshlrev_b32 v19, 2, v3 :: v_dual_add_nc_u32 v20, -4, v18
	v_cmp_eq_u32_e64 s12, v8, v1
	v_and_b32_e32 v21, 0x1ffffffc, v0
	v_dual_add_nc_u32 v22, v17, v22 :: v_dual_add_nc_u32 v23, v2, v4
	s_add_co_i32 s23, s19, s18
	s_branch .LBB1777_14
.LBB1777_13:                            ;   in Loop: Header=BB1777_14 Depth=1
	s_and_not1_b32 vcc_lo, exec_lo, s13
	s_cbranch_vccz .LBB1777_30
.LBB1777_14:                            ; =>This Inner Loop Header: Depth=1
	s_wait_loadcnt 0x0
	v_and_b32_e32 v0, 0xff, v14
	s_min_u32 s13, s22, s19
	ds_store_2addr_b64 v17, v[10:11], v[12:13] offset0:4 offset1:5
	ds_store_2addr_b64 v17, v[10:11], v[12:13] offset0:6 offset1:7
	s_lshl_b32 s24, -1, s13
	s_wait_dscnt 0x0
	v_lshrrev_b32_e32 v0, s18, v0
	s_barrier_signal -1
	s_barrier_wait -1
	s_delay_alu instid0(VALU_DEP_1) | instskip(NEXT) | instid1(VALU_DEP_1)
	v_bitop3_b32 v1, v0, s24, v0 bitop3:0x30
	; wave barrier
	v_add_co_u32 v0, s13, v1, -1
	s_delay_alu instid0(VALU_DEP_1) | instskip(SKIP_1) | instid1(VALU_DEP_2)
	v_cndmask_b32_e64 v2, 0, 1, s13
	v_lshlrev_b32_e32 v1, 5, v1
	v_cmp_ne_u32_e32 vcc_lo, 0, v2
	s_delay_alu instid0(VALU_DEP_2) | instskip(SKIP_1) | instid1(VALU_DEP_1)
	v_add_nc_u32_e32 v25, v21, v1
	v_bitop3_b32 v0, vcc_lo, exec_lo, v0 bitop3:0x48
	v_mbcnt_lo_u32_b32 v24, v0, 0
	v_cmp_ne_u32_e64 s13, 0, v0
	s_delay_alu instid0(VALU_DEP_2) | instskip(SKIP_1) | instid1(SALU_CYCLE_1)
	v_cmp_eq_u32_e32 vcc_lo, 0, v24
	s_and_b32 s25, s13, vcc_lo
	s_and_saveexec_b32 s13, s25
; %bb.15:                               ;   in Loop: Header=BB1777_14 Depth=1
	v_bcnt_u32_b32 v0, v0, 0
	ds_store_b32 v25, v0 offset:32
; %bb.16:                               ;   in Loop: Header=BB1777_14 Depth=1
	s_or_b32 exec_lo, exec_lo, s13
	v_and_b32_e32 v0, 0xff, v15
	s_not_b32 s24, s24
	; wave barrier
	s_delay_alu instid0(VALU_DEP_1) | instskip(NEXT) | instid1(VALU_DEP_1)
	v_lshrrev_b32_e32 v0, s18, v0
	v_and_b32_e32 v0, s24, v0
	s_delay_alu instid0(VALU_DEP_1) | instskip(SKIP_1) | instid1(VALU_DEP_1)
	v_lshlrev_b32_e32 v1, 5, v0
	v_add_co_u32 v0, s13, v0, -1
	v_cndmask_b32_e64 v2, 0, 1, s13
	s_delay_alu instid0(VALU_DEP_3) | instskip(NEXT) | instid1(VALU_DEP_2)
	v_add_nc_u32_e32 v28, v21, v1
	v_cmp_ne_u32_e32 vcc_lo, 0, v2
	ds_load_b32 v26, v28 offset:32
	; wave barrier
	v_bitop3_b32 v0, vcc_lo, exec_lo, v0 bitop3:0x48
	s_delay_alu instid0(VALU_DEP_1) | instskip(SKIP_1) | instid1(VALU_DEP_2)
	v_mbcnt_lo_u32_b32 v27, v0, 0
	v_cmp_ne_u32_e64 s13, 0, v0
	v_cmp_eq_u32_e32 vcc_lo, 0, v27
	s_and_b32 s25, s13, vcc_lo
	s_delay_alu instid0(SALU_CYCLE_1)
	s_and_saveexec_b32 s13, s25
	s_cbranch_execz .LBB1777_18
; %bb.17:                               ;   in Loop: Header=BB1777_14 Depth=1
	s_wait_dscnt 0x0
	v_bcnt_u32_b32 v0, v0, v26
	ds_store_b32 v28, v0 offset:32
.LBB1777_18:                            ;   in Loop: Header=BB1777_14 Depth=1
	s_or_b32 exec_lo, exec_lo, s13
	v_and_b32_e32 v0, 0xff, v9
	; wave barrier
	s_delay_alu instid0(VALU_DEP_1) | instskip(NEXT) | instid1(VALU_DEP_1)
	v_lshrrev_b32_e32 v0, s18, v0
	v_and_b32_e32 v0, s24, v0
	s_delay_alu instid0(VALU_DEP_1) | instskip(SKIP_1) | instid1(VALU_DEP_1)
	v_lshlrev_b32_e32 v1, 5, v0
	v_add_co_u32 v0, s13, v0, -1
	v_cndmask_b32_e64 v2, 0, 1, s13
	s_delay_alu instid0(VALU_DEP_3) | instskip(NEXT) | instid1(VALU_DEP_2)
	v_add_nc_u32_e32 v31, v21, v1
	v_cmp_ne_u32_e32 vcc_lo, 0, v2
	ds_load_b32 v29, v31 offset:32
	; wave barrier
	v_bitop3_b32 v0, vcc_lo, exec_lo, v0 bitop3:0x48
	s_delay_alu instid0(VALU_DEP_1) | instskip(SKIP_1) | instid1(VALU_DEP_2)
	v_mbcnt_lo_u32_b32 v30, v0, 0
	v_cmp_ne_u32_e64 s13, 0, v0
	v_cmp_eq_u32_e32 vcc_lo, 0, v30
	s_and_b32 s25, s13, vcc_lo
	s_delay_alu instid0(SALU_CYCLE_1)
	s_and_saveexec_b32 s13, s25
	s_cbranch_execz .LBB1777_20
; %bb.19:                               ;   in Loop: Header=BB1777_14 Depth=1
	s_wait_dscnt 0x0
	v_bcnt_u32_b32 v0, v0, v29
	ds_store_b32 v31, v0 offset:32
.LBB1777_20:                            ;   in Loop: Header=BB1777_14 Depth=1
	s_or_b32 exec_lo, exec_lo, s13
	v_and_b32_e32 v0, 0xff, v16
	; wave barrier
	s_delay_alu instid0(VALU_DEP_1) | instskip(NEXT) | instid1(VALU_DEP_1)
	v_lshrrev_b32_e32 v0, s18, v0
	v_and_b32_e32 v0, s24, v0
	s_delay_alu instid0(VALU_DEP_1) | instskip(SKIP_1) | instid1(VALU_DEP_1)
	v_lshlrev_b32_e32 v1, 5, v0
	v_add_co_u32 v0, s13, v0, -1
	v_cndmask_b32_e64 v2, 0, 1, s13
	s_delay_alu instid0(VALU_DEP_3) | instskip(NEXT) | instid1(VALU_DEP_2)
	v_add_nc_u32_e32 v34, v21, v1
	v_cmp_ne_u32_e32 vcc_lo, 0, v2
	ds_load_b32 v32, v34 offset:32
	; wave barrier
	v_bitop3_b32 v0, vcc_lo, exec_lo, v0 bitop3:0x48
	s_delay_alu instid0(VALU_DEP_1) | instskip(SKIP_1) | instid1(VALU_DEP_2)
	v_mbcnt_lo_u32_b32 v33, v0, 0
	v_cmp_ne_u32_e64 s13, 0, v0
	v_cmp_eq_u32_e32 vcc_lo, 0, v33
	s_and_b32 s24, s13, vcc_lo
	s_delay_alu instid0(SALU_CYCLE_1)
	s_and_saveexec_b32 s13, s24
	s_cbranch_execz .LBB1777_22
; %bb.21:                               ;   in Loop: Header=BB1777_14 Depth=1
	s_wait_dscnt 0x0
	v_bcnt_u32_b32 v0, v0, v32
	ds_store_b32 v34, v0 offset:32
.LBB1777_22:                            ;   in Loop: Header=BB1777_14 Depth=1
	s_or_b32 exec_lo, exec_lo, s13
	; wave barrier
	s_wait_dscnt 0x0
	s_barrier_signal -1
	s_barrier_wait -1
	ds_load_2addr_b64 v[4:7], v17 offset0:4 offset1:5
	ds_load_2addr_b64 v[0:3], v17 offset0:6 offset1:7
	s_wait_dscnt 0x1
	v_add_nc_u32_e32 v35, v5, v4
	s_delay_alu instid0(VALU_DEP_1) | instskip(SKIP_1) | instid1(VALU_DEP_1)
	v_add3_u32 v35, v35, v6, v7
	s_wait_dscnt 0x0
	v_add3_u32 v35, v35, v0, v1
	s_delay_alu instid0(VALU_DEP_1) | instskip(NEXT) | instid1(VALU_DEP_1)
	v_add3_u32 v3, v35, v2, v3
	v_mov_b32_dpp v35, v3 row_shr:1 row_mask:0xf bank_mask:0xf
	s_delay_alu instid0(VALU_DEP_1) | instskip(NEXT) | instid1(VALU_DEP_1)
	v_cndmask_b32_e64 v35, v35, 0, s4
	v_add_nc_u32_e32 v3, v35, v3
	s_delay_alu instid0(VALU_DEP_1) | instskip(NEXT) | instid1(VALU_DEP_1)
	v_mov_b32_dpp v35, v3 row_shr:2 row_mask:0xf bank_mask:0xf
	v_cndmask_b32_e64 v35, 0, v35, s5
	s_delay_alu instid0(VALU_DEP_1) | instskip(NEXT) | instid1(VALU_DEP_1)
	v_add_nc_u32_e32 v3, v3, v35
	v_mov_b32_dpp v35, v3 row_shr:4 row_mask:0xf bank_mask:0xf
	s_delay_alu instid0(VALU_DEP_1) | instskip(NEXT) | instid1(VALU_DEP_1)
	v_cndmask_b32_e64 v35, 0, v35, s6
	v_add_nc_u32_e32 v3, v3, v35
	s_delay_alu instid0(VALU_DEP_1) | instskip(NEXT) | instid1(VALU_DEP_1)
	v_mov_b32_dpp v35, v3 row_shr:8 row_mask:0xf bank_mask:0xf
	v_cndmask_b32_e64 v35, 0, v35, s7
	s_delay_alu instid0(VALU_DEP_1) | instskip(SKIP_3) | instid1(VALU_DEP_1)
	v_add_nc_u32_e32 v3, v3, v35
	ds_swizzle_b32 v35, v3 offset:swizzle(BROADCAST,32,15)
	s_wait_dscnt 0x0
	v_cndmask_b32_e64 v35, v35, 0, s8
	v_add_nc_u32_e32 v3, v3, v35
	s_and_saveexec_b32 s13, s12
; %bb.23:                               ;   in Loop: Header=BB1777_14 Depth=1
	ds_store_b32 v18, v3
; %bb.24:                               ;   in Loop: Header=BB1777_14 Depth=1
	s_or_b32 exec_lo, exec_lo, s13
	s_wait_dscnt 0x0
	s_barrier_signal -1
	s_barrier_wait -1
	s_and_saveexec_b32 s13, s0
	s_cbranch_execz .LBB1777_26
; %bb.25:                               ;   in Loop: Header=BB1777_14 Depth=1
	ds_load_b32 v35, v22
	s_wait_dscnt 0x0
	v_mov_b32_dpp v36, v35 row_shr:1 row_mask:0xf bank_mask:0xf
	s_delay_alu instid0(VALU_DEP_1) | instskip(NEXT) | instid1(VALU_DEP_1)
	v_cndmask_b32_e64 v36, v36, 0, s9
	v_add_nc_u32_e32 v35, v36, v35
	s_delay_alu instid0(VALU_DEP_1) | instskip(NEXT) | instid1(VALU_DEP_1)
	v_mov_b32_dpp v36, v35 row_shr:2 row_mask:0xf bank_mask:0xf
	v_cndmask_b32_e64 v36, 0, v36, s10
	s_delay_alu instid0(VALU_DEP_1) | instskip(NEXT) | instid1(VALU_DEP_1)
	v_add_nc_u32_e32 v35, v35, v36
	v_mov_b32_dpp v36, v35 row_shr:4 row_mask:0xf bank_mask:0xf
	s_delay_alu instid0(VALU_DEP_1) | instskip(NEXT) | instid1(VALU_DEP_1)
	v_cndmask_b32_e64 v36, 0, v36, s11
	v_add_nc_u32_e32 v35, v35, v36
	ds_store_b32 v22, v35
.LBB1777_26:                            ;   in Loop: Header=BB1777_14 Depth=1
	s_or_b32 exec_lo, exec_lo, s13
	v_mov_b32_e32 v35, 0
	s_wait_dscnt 0x0
	s_barrier_signal -1
	s_barrier_wait -1
	s_and_saveexec_b32 s13, s1
; %bb.27:                               ;   in Loop: Header=BB1777_14 Depth=1
	ds_load_b32 v35, v20
; %bb.28:                               ;   in Loop: Header=BB1777_14 Depth=1
	s_or_b32 exec_lo, exec_lo, s13
	s_wait_dscnt 0x0
	v_add_nc_u32_e32 v3, v35, v3
	s_add_co_i32 s18, s18, 8
	s_mov_b32 s13, -1
	s_cmp_ge_u32 s18, s23
	v_add_nc_u32_e32 v27, v27, v26
	ds_bpermute_b32 v3, v19, v3
	s_wait_dscnt 0x0
	v_dual_add_nc_u32 v26, v30, v29 :: v_dual_cndmask_b32 v3, v3, v35, s2
	s_delay_alu instid0(VALU_DEP_1) | instskip(SKIP_1) | instid1(VALU_DEP_2)
	v_cndmask_b32_e64 v36, v3, 0, s3
	v_mov_b32_e32 v3, v16
	v_add_nc_u32_e32 v37, v36, v4
	s_delay_alu instid0(VALU_DEP_1) | instskip(NEXT) | instid1(VALU_DEP_1)
	v_add_nc_u32_e32 v4, v37, v5
	v_add_nc_u32_e32 v5, v4, v6
	s_delay_alu instid0(VALU_DEP_1) | instskip(NEXT) | instid1(VALU_DEP_1)
	v_add_nc_u32_e32 v6, v5, v7
	;; [unrolled: 3-line block ×3, first 2 shown]
	v_add_nc_u32_e32 v1, v0, v2
	ds_store_2addr_b64 v17, v[36:37], v[4:5] offset0:4 offset1:5
	ds_store_2addr_b64 v17, v[6:7], v[0:1] offset0:6 offset1:7
	s_wait_dscnt 0x0
	s_barrier_signal -1
	s_barrier_wait -1
	ds_load_b32 v7, v25 offset:32
	ds_load_b32 v6, v28 offset:32
	;; [unrolled: 1-line block ×4, first 2 shown]
	v_dual_mov_b32 v0, v14 :: v_dual_mov_b32 v1, v15
	v_mov_b32_e32 v2, v9
	v_add_nc_u32_e32 v25, v33, v32
	s_wait_dscnt 0x0
	s_cbranch_scc1 .LBB1777_13
; %bb.29:                               ;   in Loop: Header=BB1777_14 Depth=1
	v_dual_add_nc_u32 v28, v7, v24 :: v_dual_add_nc_u32 v30, v26, v5
	s_delay_alu instid0(VALU_DEP_2)
	v_dual_add_nc_u32 v29, v27, v6 :: v_dual_add_nc_u32 v31, v25, v4
	s_barrier_signal -1
	s_barrier_wait -1
	ds_store_b8 v28, v14
	ds_store_b8 v29, v15
	;; [unrolled: 1-line block ×4, first 2 shown]
	s_wait_dscnt 0x0
	s_barrier_signal -1
	s_barrier_wait -1
	ds_load_u8 v16, v23 offset:96
	ds_load_u8 v9, v23 offset:64
	ds_load_u8 v14, v23
	ds_load_u8 v15, v23 offset:32
	s_add_co_i32 s19, s19, -8
	s_mov_b32 s13, 0
	s_wait_dscnt 0x0
	s_barrier_signal -1
	s_barrier_wait -1
	s_branch .LBB1777_13
.LBB1777_30:
	v_dual_add_nc_u32 v7, v7, v24 :: v_dual_add_nc_u32 v5, v26, v5
	v_dual_add_nc_u32 v6, v27, v6 :: v_dual_add_nc_u32 v4, v25, v4
	s_barrier_signal -1
	s_barrier_wait -1
	ds_store_b8 v7, v0
	ds_store_b8 v6, v1
	;; [unrolled: 1-line block ×4, first 2 shown]
	s_wait_dscnt 0x0
	s_barrier_signal -1
	s_barrier_wait -1
	ds_load_u8 v5, v8
	ds_load_u8 v4, v8 offset:256
	ds_load_u8 v3, v8 offset:512
	ds_load_u8 v2, v8 offset:768
	v_mov_b32_e32 v9, 0
	s_add_nc_u64 s[0:1], s[14:15], s[16:17]
	s_and_not1_b32 vcc_lo, exec_lo, s21
	s_delay_alu instid0(VALU_DEP_1)
	v_add_nc_u64_e32 v[0:1], s[0:1], v[8:9]
	s_cbranch_vccnz .LBB1777_34
; %bb.31:
	s_mov_b32 s0, -1
	s_wait_dscnt 0x3
	global_store_b8 v[0:1], v5, off
	s_wait_dscnt 0x2
	global_store_b8 v[0:1], v4, off offset:256
	s_wait_dscnt 0x1
	global_store_b8 v[0:1], v3, off offset:512
	s_cbranch_execz .LBB1777_35
; %bb.32:
	s_wait_xcnt 0x0
	s_and_saveexec_b32 s1, s0
	s_cbranch_execz .LBB1777_42
.LBB1777_33:
	s_wait_dscnt 0x0
	global_store_b8 v[0:1], v2, off offset:768
	s_endpgm
.LBB1777_34:
	s_mov_b32 s0, 0
.LBB1777_35:
	s_mov_b32 s0, exec_lo
	s_wait_xcnt 0x0
	v_cmpx_gt_u32_e64 s20, v8
	s_cbranch_execz .LBB1777_37
; %bb.36:
	s_wait_dscnt 0x3
	global_store_b8 v[0:1], v5, off
.LBB1777_37:
	s_wait_xcnt 0x0
	s_or_b32 exec_lo, exec_lo, s0
	s_wait_dscnt 0x3
	v_add_nc_u32_e32 v5, 0x100, v8
	s_mov_b32 s0, exec_lo
	s_delay_alu instid0(VALU_DEP_1)
	v_cmpx_gt_u32_e64 s20, v5
	s_cbranch_execz .LBB1777_39
; %bb.38:
	s_wait_dscnt 0x2
	global_store_b8 v[0:1], v4, off offset:256
.LBB1777_39:
	s_wait_xcnt 0x0
	s_or_b32 exec_lo, exec_lo, s0
	s_wait_dscnt 0x2
	v_add_nc_u32_e32 v4, 0x200, v8
	s_mov_b32 s0, exec_lo
	s_delay_alu instid0(VALU_DEP_1)
	v_cmpx_gt_u32_e64 s20, v4
	s_cbranch_execz .LBB1777_41
; %bb.40:
	s_wait_dscnt 0x1
	global_store_b8 v[0:1], v3, off offset:512
.LBB1777_41:
	s_wait_xcnt 0x0
	s_or_b32 exec_lo, exec_lo, s0
	s_wait_dscnt 0x1
	v_add_nc_u32_e32 v3, 0x300, v8
	s_delay_alu instid0(VALU_DEP_1)
	v_cmp_gt_u32_e64 s0, s20, v3
	s_and_saveexec_b32 s1, s0
	s_cbranch_execnz .LBB1777_33
.LBB1777_42:
	s_endpgm
	.section	.rodata,"a",@progbits
	.p2align	6, 0x0
	.amdhsa_kernel _ZN7rocprim17ROCPRIM_400000_NS6detail17trampoline_kernelINS0_13kernel_configILj256ELj4ELj4294967295EEENS1_37radix_sort_block_sort_config_selectorIbNS0_10empty_typeEEEZNS1_21radix_sort_block_sortIS4_Lb0EPKbPbPS6_SC_NS0_19identity_decomposerEEE10hipError_tT1_T2_T3_T4_jRjT5_jjP12ihipStream_tbEUlT_E_NS1_11comp_targetILNS1_3genE0ELNS1_11target_archE4294967295ELNS1_3gpuE0ELNS1_3repE0EEENS1_44radix_sort_block_sort_config_static_selectorELNS0_4arch9wavefront6targetE0EEEvSF_
		.amdhsa_group_segment_fixed_size 8224
		.amdhsa_private_segment_fixed_size 0
		.amdhsa_kernarg_size 304
		.amdhsa_user_sgpr_count 2
		.amdhsa_user_sgpr_dispatch_ptr 0
		.amdhsa_user_sgpr_queue_ptr 0
		.amdhsa_user_sgpr_kernarg_segment_ptr 1
		.amdhsa_user_sgpr_dispatch_id 0
		.amdhsa_user_sgpr_kernarg_preload_length 0
		.amdhsa_user_sgpr_kernarg_preload_offset 0
		.amdhsa_user_sgpr_private_segment_size 0
		.amdhsa_wavefront_size32 1
		.amdhsa_uses_dynamic_stack 0
		.amdhsa_enable_private_segment 0
		.amdhsa_system_sgpr_workgroup_id_x 1
		.amdhsa_system_sgpr_workgroup_id_y 0
		.amdhsa_system_sgpr_workgroup_id_z 0
		.amdhsa_system_sgpr_workgroup_info 0
		.amdhsa_system_vgpr_workitem_id 2
		.amdhsa_next_free_vgpr 38
		.amdhsa_next_free_sgpr 26
		.amdhsa_named_barrier_count 0
		.amdhsa_reserve_vcc 1
		.amdhsa_float_round_mode_32 0
		.amdhsa_float_round_mode_16_64 0
		.amdhsa_float_denorm_mode_32 3
		.amdhsa_float_denorm_mode_16_64 3
		.amdhsa_fp16_overflow 0
		.amdhsa_memory_ordered 1
		.amdhsa_forward_progress 1
		.amdhsa_inst_pref_size 20
		.amdhsa_round_robin_scheduling 0
		.amdhsa_exception_fp_ieee_invalid_op 0
		.amdhsa_exception_fp_denorm_src 0
		.amdhsa_exception_fp_ieee_div_zero 0
		.amdhsa_exception_fp_ieee_overflow 0
		.amdhsa_exception_fp_ieee_underflow 0
		.amdhsa_exception_fp_ieee_inexact 0
		.amdhsa_exception_int_div_zero 0
	.end_amdhsa_kernel
	.section	.text._ZN7rocprim17ROCPRIM_400000_NS6detail17trampoline_kernelINS0_13kernel_configILj256ELj4ELj4294967295EEENS1_37radix_sort_block_sort_config_selectorIbNS0_10empty_typeEEEZNS1_21radix_sort_block_sortIS4_Lb0EPKbPbPS6_SC_NS0_19identity_decomposerEEE10hipError_tT1_T2_T3_T4_jRjT5_jjP12ihipStream_tbEUlT_E_NS1_11comp_targetILNS1_3genE0ELNS1_11target_archE4294967295ELNS1_3gpuE0ELNS1_3repE0EEENS1_44radix_sort_block_sort_config_static_selectorELNS0_4arch9wavefront6targetE0EEEvSF_,"axG",@progbits,_ZN7rocprim17ROCPRIM_400000_NS6detail17trampoline_kernelINS0_13kernel_configILj256ELj4ELj4294967295EEENS1_37radix_sort_block_sort_config_selectorIbNS0_10empty_typeEEEZNS1_21radix_sort_block_sortIS4_Lb0EPKbPbPS6_SC_NS0_19identity_decomposerEEE10hipError_tT1_T2_T3_T4_jRjT5_jjP12ihipStream_tbEUlT_E_NS1_11comp_targetILNS1_3genE0ELNS1_11target_archE4294967295ELNS1_3gpuE0ELNS1_3repE0EEENS1_44radix_sort_block_sort_config_static_selectorELNS0_4arch9wavefront6targetE0EEEvSF_,comdat
.Lfunc_end1777:
	.size	_ZN7rocprim17ROCPRIM_400000_NS6detail17trampoline_kernelINS0_13kernel_configILj256ELj4ELj4294967295EEENS1_37radix_sort_block_sort_config_selectorIbNS0_10empty_typeEEEZNS1_21radix_sort_block_sortIS4_Lb0EPKbPbPS6_SC_NS0_19identity_decomposerEEE10hipError_tT1_T2_T3_T4_jRjT5_jjP12ihipStream_tbEUlT_E_NS1_11comp_targetILNS1_3genE0ELNS1_11target_archE4294967295ELNS1_3gpuE0ELNS1_3repE0EEENS1_44radix_sort_block_sort_config_static_selectorELNS0_4arch9wavefront6targetE0EEEvSF_, .Lfunc_end1777-_ZN7rocprim17ROCPRIM_400000_NS6detail17trampoline_kernelINS0_13kernel_configILj256ELj4ELj4294967295EEENS1_37radix_sort_block_sort_config_selectorIbNS0_10empty_typeEEEZNS1_21radix_sort_block_sortIS4_Lb0EPKbPbPS6_SC_NS0_19identity_decomposerEEE10hipError_tT1_T2_T3_T4_jRjT5_jjP12ihipStream_tbEUlT_E_NS1_11comp_targetILNS1_3genE0ELNS1_11target_archE4294967295ELNS1_3gpuE0ELNS1_3repE0EEENS1_44radix_sort_block_sort_config_static_selectorELNS0_4arch9wavefront6targetE0EEEvSF_
                                        ; -- End function
	.set _ZN7rocprim17ROCPRIM_400000_NS6detail17trampoline_kernelINS0_13kernel_configILj256ELj4ELj4294967295EEENS1_37radix_sort_block_sort_config_selectorIbNS0_10empty_typeEEEZNS1_21radix_sort_block_sortIS4_Lb0EPKbPbPS6_SC_NS0_19identity_decomposerEEE10hipError_tT1_T2_T3_T4_jRjT5_jjP12ihipStream_tbEUlT_E_NS1_11comp_targetILNS1_3genE0ELNS1_11target_archE4294967295ELNS1_3gpuE0ELNS1_3repE0EEENS1_44radix_sort_block_sort_config_static_selectorELNS0_4arch9wavefront6targetE0EEEvSF_.num_vgpr, 38
	.set _ZN7rocprim17ROCPRIM_400000_NS6detail17trampoline_kernelINS0_13kernel_configILj256ELj4ELj4294967295EEENS1_37radix_sort_block_sort_config_selectorIbNS0_10empty_typeEEEZNS1_21radix_sort_block_sortIS4_Lb0EPKbPbPS6_SC_NS0_19identity_decomposerEEE10hipError_tT1_T2_T3_T4_jRjT5_jjP12ihipStream_tbEUlT_E_NS1_11comp_targetILNS1_3genE0ELNS1_11target_archE4294967295ELNS1_3gpuE0ELNS1_3repE0EEENS1_44radix_sort_block_sort_config_static_selectorELNS0_4arch9wavefront6targetE0EEEvSF_.num_agpr, 0
	.set _ZN7rocprim17ROCPRIM_400000_NS6detail17trampoline_kernelINS0_13kernel_configILj256ELj4ELj4294967295EEENS1_37radix_sort_block_sort_config_selectorIbNS0_10empty_typeEEEZNS1_21radix_sort_block_sortIS4_Lb0EPKbPbPS6_SC_NS0_19identity_decomposerEEE10hipError_tT1_T2_T3_T4_jRjT5_jjP12ihipStream_tbEUlT_E_NS1_11comp_targetILNS1_3genE0ELNS1_11target_archE4294967295ELNS1_3gpuE0ELNS1_3repE0EEENS1_44radix_sort_block_sort_config_static_selectorELNS0_4arch9wavefront6targetE0EEEvSF_.numbered_sgpr, 26
	.set _ZN7rocprim17ROCPRIM_400000_NS6detail17trampoline_kernelINS0_13kernel_configILj256ELj4ELj4294967295EEENS1_37radix_sort_block_sort_config_selectorIbNS0_10empty_typeEEEZNS1_21radix_sort_block_sortIS4_Lb0EPKbPbPS6_SC_NS0_19identity_decomposerEEE10hipError_tT1_T2_T3_T4_jRjT5_jjP12ihipStream_tbEUlT_E_NS1_11comp_targetILNS1_3genE0ELNS1_11target_archE4294967295ELNS1_3gpuE0ELNS1_3repE0EEENS1_44radix_sort_block_sort_config_static_selectorELNS0_4arch9wavefront6targetE0EEEvSF_.num_named_barrier, 0
	.set _ZN7rocprim17ROCPRIM_400000_NS6detail17trampoline_kernelINS0_13kernel_configILj256ELj4ELj4294967295EEENS1_37radix_sort_block_sort_config_selectorIbNS0_10empty_typeEEEZNS1_21radix_sort_block_sortIS4_Lb0EPKbPbPS6_SC_NS0_19identity_decomposerEEE10hipError_tT1_T2_T3_T4_jRjT5_jjP12ihipStream_tbEUlT_E_NS1_11comp_targetILNS1_3genE0ELNS1_11target_archE4294967295ELNS1_3gpuE0ELNS1_3repE0EEENS1_44radix_sort_block_sort_config_static_selectorELNS0_4arch9wavefront6targetE0EEEvSF_.private_seg_size, 0
	.set _ZN7rocprim17ROCPRIM_400000_NS6detail17trampoline_kernelINS0_13kernel_configILj256ELj4ELj4294967295EEENS1_37radix_sort_block_sort_config_selectorIbNS0_10empty_typeEEEZNS1_21radix_sort_block_sortIS4_Lb0EPKbPbPS6_SC_NS0_19identity_decomposerEEE10hipError_tT1_T2_T3_T4_jRjT5_jjP12ihipStream_tbEUlT_E_NS1_11comp_targetILNS1_3genE0ELNS1_11target_archE4294967295ELNS1_3gpuE0ELNS1_3repE0EEENS1_44radix_sort_block_sort_config_static_selectorELNS0_4arch9wavefront6targetE0EEEvSF_.uses_vcc, 1
	.set _ZN7rocprim17ROCPRIM_400000_NS6detail17trampoline_kernelINS0_13kernel_configILj256ELj4ELj4294967295EEENS1_37radix_sort_block_sort_config_selectorIbNS0_10empty_typeEEEZNS1_21radix_sort_block_sortIS4_Lb0EPKbPbPS6_SC_NS0_19identity_decomposerEEE10hipError_tT1_T2_T3_T4_jRjT5_jjP12ihipStream_tbEUlT_E_NS1_11comp_targetILNS1_3genE0ELNS1_11target_archE4294967295ELNS1_3gpuE0ELNS1_3repE0EEENS1_44radix_sort_block_sort_config_static_selectorELNS0_4arch9wavefront6targetE0EEEvSF_.uses_flat_scratch, 0
	.set _ZN7rocprim17ROCPRIM_400000_NS6detail17trampoline_kernelINS0_13kernel_configILj256ELj4ELj4294967295EEENS1_37radix_sort_block_sort_config_selectorIbNS0_10empty_typeEEEZNS1_21radix_sort_block_sortIS4_Lb0EPKbPbPS6_SC_NS0_19identity_decomposerEEE10hipError_tT1_T2_T3_T4_jRjT5_jjP12ihipStream_tbEUlT_E_NS1_11comp_targetILNS1_3genE0ELNS1_11target_archE4294967295ELNS1_3gpuE0ELNS1_3repE0EEENS1_44radix_sort_block_sort_config_static_selectorELNS0_4arch9wavefront6targetE0EEEvSF_.has_dyn_sized_stack, 0
	.set _ZN7rocprim17ROCPRIM_400000_NS6detail17trampoline_kernelINS0_13kernel_configILj256ELj4ELj4294967295EEENS1_37radix_sort_block_sort_config_selectorIbNS0_10empty_typeEEEZNS1_21radix_sort_block_sortIS4_Lb0EPKbPbPS6_SC_NS0_19identity_decomposerEEE10hipError_tT1_T2_T3_T4_jRjT5_jjP12ihipStream_tbEUlT_E_NS1_11comp_targetILNS1_3genE0ELNS1_11target_archE4294967295ELNS1_3gpuE0ELNS1_3repE0EEENS1_44radix_sort_block_sort_config_static_selectorELNS0_4arch9wavefront6targetE0EEEvSF_.has_recursion, 0
	.set _ZN7rocprim17ROCPRIM_400000_NS6detail17trampoline_kernelINS0_13kernel_configILj256ELj4ELj4294967295EEENS1_37radix_sort_block_sort_config_selectorIbNS0_10empty_typeEEEZNS1_21radix_sort_block_sortIS4_Lb0EPKbPbPS6_SC_NS0_19identity_decomposerEEE10hipError_tT1_T2_T3_T4_jRjT5_jjP12ihipStream_tbEUlT_E_NS1_11comp_targetILNS1_3genE0ELNS1_11target_archE4294967295ELNS1_3gpuE0ELNS1_3repE0EEENS1_44radix_sort_block_sort_config_static_selectorELNS0_4arch9wavefront6targetE0EEEvSF_.has_indirect_call, 0
	.section	.AMDGPU.csdata,"",@progbits
; Kernel info:
; codeLenInByte = 2480
; TotalNumSgprs: 28
; NumVgprs: 38
; ScratchSize: 0
; MemoryBound: 0
; FloatMode: 240
; IeeeMode: 1
; LDSByteSize: 8224 bytes/workgroup (compile time only)
; SGPRBlocks: 0
; VGPRBlocks: 2
; NumSGPRsForWavesPerEU: 28
; NumVGPRsForWavesPerEU: 38
; NamedBarCnt: 0
; Occupancy: 16
; WaveLimiterHint : 1
; COMPUTE_PGM_RSRC2:SCRATCH_EN: 0
; COMPUTE_PGM_RSRC2:USER_SGPR: 2
; COMPUTE_PGM_RSRC2:TRAP_HANDLER: 0
; COMPUTE_PGM_RSRC2:TGID_X_EN: 1
; COMPUTE_PGM_RSRC2:TGID_Y_EN: 0
; COMPUTE_PGM_RSRC2:TGID_Z_EN: 0
; COMPUTE_PGM_RSRC2:TIDIG_COMP_CNT: 2
	.section	.text._ZN7rocprim17ROCPRIM_400000_NS6detail17trampoline_kernelINS0_13kernel_configILj256ELj4ELj4294967295EEENS1_37radix_sort_block_sort_config_selectorIbNS0_10empty_typeEEEZNS1_21radix_sort_block_sortIS4_Lb0EPKbPbPS6_SC_NS0_19identity_decomposerEEE10hipError_tT1_T2_T3_T4_jRjT5_jjP12ihipStream_tbEUlT_E_NS1_11comp_targetILNS1_3genE5ELNS1_11target_archE942ELNS1_3gpuE9ELNS1_3repE0EEENS1_44radix_sort_block_sort_config_static_selectorELNS0_4arch9wavefront6targetE0EEEvSF_,"axG",@progbits,_ZN7rocprim17ROCPRIM_400000_NS6detail17trampoline_kernelINS0_13kernel_configILj256ELj4ELj4294967295EEENS1_37radix_sort_block_sort_config_selectorIbNS0_10empty_typeEEEZNS1_21radix_sort_block_sortIS4_Lb0EPKbPbPS6_SC_NS0_19identity_decomposerEEE10hipError_tT1_T2_T3_T4_jRjT5_jjP12ihipStream_tbEUlT_E_NS1_11comp_targetILNS1_3genE5ELNS1_11target_archE942ELNS1_3gpuE9ELNS1_3repE0EEENS1_44radix_sort_block_sort_config_static_selectorELNS0_4arch9wavefront6targetE0EEEvSF_,comdat
	.protected	_ZN7rocprim17ROCPRIM_400000_NS6detail17trampoline_kernelINS0_13kernel_configILj256ELj4ELj4294967295EEENS1_37radix_sort_block_sort_config_selectorIbNS0_10empty_typeEEEZNS1_21radix_sort_block_sortIS4_Lb0EPKbPbPS6_SC_NS0_19identity_decomposerEEE10hipError_tT1_T2_T3_T4_jRjT5_jjP12ihipStream_tbEUlT_E_NS1_11comp_targetILNS1_3genE5ELNS1_11target_archE942ELNS1_3gpuE9ELNS1_3repE0EEENS1_44radix_sort_block_sort_config_static_selectorELNS0_4arch9wavefront6targetE0EEEvSF_ ; -- Begin function _ZN7rocprim17ROCPRIM_400000_NS6detail17trampoline_kernelINS0_13kernel_configILj256ELj4ELj4294967295EEENS1_37radix_sort_block_sort_config_selectorIbNS0_10empty_typeEEEZNS1_21radix_sort_block_sortIS4_Lb0EPKbPbPS6_SC_NS0_19identity_decomposerEEE10hipError_tT1_T2_T3_T4_jRjT5_jjP12ihipStream_tbEUlT_E_NS1_11comp_targetILNS1_3genE5ELNS1_11target_archE942ELNS1_3gpuE9ELNS1_3repE0EEENS1_44radix_sort_block_sort_config_static_selectorELNS0_4arch9wavefront6targetE0EEEvSF_
	.globl	_ZN7rocprim17ROCPRIM_400000_NS6detail17trampoline_kernelINS0_13kernel_configILj256ELj4ELj4294967295EEENS1_37radix_sort_block_sort_config_selectorIbNS0_10empty_typeEEEZNS1_21radix_sort_block_sortIS4_Lb0EPKbPbPS6_SC_NS0_19identity_decomposerEEE10hipError_tT1_T2_T3_T4_jRjT5_jjP12ihipStream_tbEUlT_E_NS1_11comp_targetILNS1_3genE5ELNS1_11target_archE942ELNS1_3gpuE9ELNS1_3repE0EEENS1_44radix_sort_block_sort_config_static_selectorELNS0_4arch9wavefront6targetE0EEEvSF_
	.p2align	8
	.type	_ZN7rocprim17ROCPRIM_400000_NS6detail17trampoline_kernelINS0_13kernel_configILj256ELj4ELj4294967295EEENS1_37radix_sort_block_sort_config_selectorIbNS0_10empty_typeEEEZNS1_21radix_sort_block_sortIS4_Lb0EPKbPbPS6_SC_NS0_19identity_decomposerEEE10hipError_tT1_T2_T3_T4_jRjT5_jjP12ihipStream_tbEUlT_E_NS1_11comp_targetILNS1_3genE5ELNS1_11target_archE942ELNS1_3gpuE9ELNS1_3repE0EEENS1_44radix_sort_block_sort_config_static_selectorELNS0_4arch9wavefront6targetE0EEEvSF_,@function
_ZN7rocprim17ROCPRIM_400000_NS6detail17trampoline_kernelINS0_13kernel_configILj256ELj4ELj4294967295EEENS1_37radix_sort_block_sort_config_selectorIbNS0_10empty_typeEEEZNS1_21radix_sort_block_sortIS4_Lb0EPKbPbPS6_SC_NS0_19identity_decomposerEEE10hipError_tT1_T2_T3_T4_jRjT5_jjP12ihipStream_tbEUlT_E_NS1_11comp_targetILNS1_3genE5ELNS1_11target_archE942ELNS1_3gpuE9ELNS1_3repE0EEENS1_44radix_sort_block_sort_config_static_selectorELNS0_4arch9wavefront6targetE0EEEvSF_: ; @_ZN7rocprim17ROCPRIM_400000_NS6detail17trampoline_kernelINS0_13kernel_configILj256ELj4ELj4294967295EEENS1_37radix_sort_block_sort_config_selectorIbNS0_10empty_typeEEEZNS1_21radix_sort_block_sortIS4_Lb0EPKbPbPS6_SC_NS0_19identity_decomposerEEE10hipError_tT1_T2_T3_T4_jRjT5_jjP12ihipStream_tbEUlT_E_NS1_11comp_targetILNS1_3genE5ELNS1_11target_archE942ELNS1_3gpuE9ELNS1_3repE0EEENS1_44radix_sort_block_sort_config_static_selectorELNS0_4arch9wavefront6targetE0EEEvSF_
; %bb.0:
	.section	.rodata,"a",@progbits
	.p2align	6, 0x0
	.amdhsa_kernel _ZN7rocprim17ROCPRIM_400000_NS6detail17trampoline_kernelINS0_13kernel_configILj256ELj4ELj4294967295EEENS1_37radix_sort_block_sort_config_selectorIbNS0_10empty_typeEEEZNS1_21radix_sort_block_sortIS4_Lb0EPKbPbPS6_SC_NS0_19identity_decomposerEEE10hipError_tT1_T2_T3_T4_jRjT5_jjP12ihipStream_tbEUlT_E_NS1_11comp_targetILNS1_3genE5ELNS1_11target_archE942ELNS1_3gpuE9ELNS1_3repE0EEENS1_44radix_sort_block_sort_config_static_selectorELNS0_4arch9wavefront6targetE0EEEvSF_
		.amdhsa_group_segment_fixed_size 0
		.amdhsa_private_segment_fixed_size 0
		.amdhsa_kernarg_size 48
		.amdhsa_user_sgpr_count 2
		.amdhsa_user_sgpr_dispatch_ptr 0
		.amdhsa_user_sgpr_queue_ptr 0
		.amdhsa_user_sgpr_kernarg_segment_ptr 1
		.amdhsa_user_sgpr_dispatch_id 0
		.amdhsa_user_sgpr_kernarg_preload_length 0
		.amdhsa_user_sgpr_kernarg_preload_offset 0
		.amdhsa_user_sgpr_private_segment_size 0
		.amdhsa_wavefront_size32 1
		.amdhsa_uses_dynamic_stack 0
		.amdhsa_enable_private_segment 0
		.amdhsa_system_sgpr_workgroup_id_x 1
		.amdhsa_system_sgpr_workgroup_id_y 0
		.amdhsa_system_sgpr_workgroup_id_z 0
		.amdhsa_system_sgpr_workgroup_info 0
		.amdhsa_system_vgpr_workitem_id 0
		.amdhsa_next_free_vgpr 1
		.amdhsa_next_free_sgpr 1
		.amdhsa_named_barrier_count 0
		.amdhsa_reserve_vcc 0
		.amdhsa_float_round_mode_32 0
		.amdhsa_float_round_mode_16_64 0
		.amdhsa_float_denorm_mode_32 3
		.amdhsa_float_denorm_mode_16_64 3
		.amdhsa_fp16_overflow 0
		.amdhsa_memory_ordered 1
		.amdhsa_forward_progress 1
		.amdhsa_inst_pref_size 0
		.amdhsa_round_robin_scheduling 0
		.amdhsa_exception_fp_ieee_invalid_op 0
		.amdhsa_exception_fp_denorm_src 0
		.amdhsa_exception_fp_ieee_div_zero 0
		.amdhsa_exception_fp_ieee_overflow 0
		.amdhsa_exception_fp_ieee_underflow 0
		.amdhsa_exception_fp_ieee_inexact 0
		.amdhsa_exception_int_div_zero 0
	.end_amdhsa_kernel
	.section	.text._ZN7rocprim17ROCPRIM_400000_NS6detail17trampoline_kernelINS0_13kernel_configILj256ELj4ELj4294967295EEENS1_37radix_sort_block_sort_config_selectorIbNS0_10empty_typeEEEZNS1_21radix_sort_block_sortIS4_Lb0EPKbPbPS6_SC_NS0_19identity_decomposerEEE10hipError_tT1_T2_T3_T4_jRjT5_jjP12ihipStream_tbEUlT_E_NS1_11comp_targetILNS1_3genE5ELNS1_11target_archE942ELNS1_3gpuE9ELNS1_3repE0EEENS1_44radix_sort_block_sort_config_static_selectorELNS0_4arch9wavefront6targetE0EEEvSF_,"axG",@progbits,_ZN7rocprim17ROCPRIM_400000_NS6detail17trampoline_kernelINS0_13kernel_configILj256ELj4ELj4294967295EEENS1_37radix_sort_block_sort_config_selectorIbNS0_10empty_typeEEEZNS1_21radix_sort_block_sortIS4_Lb0EPKbPbPS6_SC_NS0_19identity_decomposerEEE10hipError_tT1_T2_T3_T4_jRjT5_jjP12ihipStream_tbEUlT_E_NS1_11comp_targetILNS1_3genE5ELNS1_11target_archE942ELNS1_3gpuE9ELNS1_3repE0EEENS1_44radix_sort_block_sort_config_static_selectorELNS0_4arch9wavefront6targetE0EEEvSF_,comdat
.Lfunc_end1778:
	.size	_ZN7rocprim17ROCPRIM_400000_NS6detail17trampoline_kernelINS0_13kernel_configILj256ELj4ELj4294967295EEENS1_37radix_sort_block_sort_config_selectorIbNS0_10empty_typeEEEZNS1_21radix_sort_block_sortIS4_Lb0EPKbPbPS6_SC_NS0_19identity_decomposerEEE10hipError_tT1_T2_T3_T4_jRjT5_jjP12ihipStream_tbEUlT_E_NS1_11comp_targetILNS1_3genE5ELNS1_11target_archE942ELNS1_3gpuE9ELNS1_3repE0EEENS1_44radix_sort_block_sort_config_static_selectorELNS0_4arch9wavefront6targetE0EEEvSF_, .Lfunc_end1778-_ZN7rocprim17ROCPRIM_400000_NS6detail17trampoline_kernelINS0_13kernel_configILj256ELj4ELj4294967295EEENS1_37radix_sort_block_sort_config_selectorIbNS0_10empty_typeEEEZNS1_21radix_sort_block_sortIS4_Lb0EPKbPbPS6_SC_NS0_19identity_decomposerEEE10hipError_tT1_T2_T3_T4_jRjT5_jjP12ihipStream_tbEUlT_E_NS1_11comp_targetILNS1_3genE5ELNS1_11target_archE942ELNS1_3gpuE9ELNS1_3repE0EEENS1_44radix_sort_block_sort_config_static_selectorELNS0_4arch9wavefront6targetE0EEEvSF_
                                        ; -- End function
	.set _ZN7rocprim17ROCPRIM_400000_NS6detail17trampoline_kernelINS0_13kernel_configILj256ELj4ELj4294967295EEENS1_37radix_sort_block_sort_config_selectorIbNS0_10empty_typeEEEZNS1_21radix_sort_block_sortIS4_Lb0EPKbPbPS6_SC_NS0_19identity_decomposerEEE10hipError_tT1_T2_T3_T4_jRjT5_jjP12ihipStream_tbEUlT_E_NS1_11comp_targetILNS1_3genE5ELNS1_11target_archE942ELNS1_3gpuE9ELNS1_3repE0EEENS1_44radix_sort_block_sort_config_static_selectorELNS0_4arch9wavefront6targetE0EEEvSF_.num_vgpr, 0
	.set _ZN7rocprim17ROCPRIM_400000_NS6detail17trampoline_kernelINS0_13kernel_configILj256ELj4ELj4294967295EEENS1_37radix_sort_block_sort_config_selectorIbNS0_10empty_typeEEEZNS1_21radix_sort_block_sortIS4_Lb0EPKbPbPS6_SC_NS0_19identity_decomposerEEE10hipError_tT1_T2_T3_T4_jRjT5_jjP12ihipStream_tbEUlT_E_NS1_11comp_targetILNS1_3genE5ELNS1_11target_archE942ELNS1_3gpuE9ELNS1_3repE0EEENS1_44radix_sort_block_sort_config_static_selectorELNS0_4arch9wavefront6targetE0EEEvSF_.num_agpr, 0
	.set _ZN7rocprim17ROCPRIM_400000_NS6detail17trampoline_kernelINS0_13kernel_configILj256ELj4ELj4294967295EEENS1_37radix_sort_block_sort_config_selectorIbNS0_10empty_typeEEEZNS1_21radix_sort_block_sortIS4_Lb0EPKbPbPS6_SC_NS0_19identity_decomposerEEE10hipError_tT1_T2_T3_T4_jRjT5_jjP12ihipStream_tbEUlT_E_NS1_11comp_targetILNS1_3genE5ELNS1_11target_archE942ELNS1_3gpuE9ELNS1_3repE0EEENS1_44radix_sort_block_sort_config_static_selectorELNS0_4arch9wavefront6targetE0EEEvSF_.numbered_sgpr, 0
	.set _ZN7rocprim17ROCPRIM_400000_NS6detail17trampoline_kernelINS0_13kernel_configILj256ELj4ELj4294967295EEENS1_37radix_sort_block_sort_config_selectorIbNS0_10empty_typeEEEZNS1_21radix_sort_block_sortIS4_Lb0EPKbPbPS6_SC_NS0_19identity_decomposerEEE10hipError_tT1_T2_T3_T4_jRjT5_jjP12ihipStream_tbEUlT_E_NS1_11comp_targetILNS1_3genE5ELNS1_11target_archE942ELNS1_3gpuE9ELNS1_3repE0EEENS1_44radix_sort_block_sort_config_static_selectorELNS0_4arch9wavefront6targetE0EEEvSF_.num_named_barrier, 0
	.set _ZN7rocprim17ROCPRIM_400000_NS6detail17trampoline_kernelINS0_13kernel_configILj256ELj4ELj4294967295EEENS1_37radix_sort_block_sort_config_selectorIbNS0_10empty_typeEEEZNS1_21radix_sort_block_sortIS4_Lb0EPKbPbPS6_SC_NS0_19identity_decomposerEEE10hipError_tT1_T2_T3_T4_jRjT5_jjP12ihipStream_tbEUlT_E_NS1_11comp_targetILNS1_3genE5ELNS1_11target_archE942ELNS1_3gpuE9ELNS1_3repE0EEENS1_44radix_sort_block_sort_config_static_selectorELNS0_4arch9wavefront6targetE0EEEvSF_.private_seg_size, 0
	.set _ZN7rocprim17ROCPRIM_400000_NS6detail17trampoline_kernelINS0_13kernel_configILj256ELj4ELj4294967295EEENS1_37radix_sort_block_sort_config_selectorIbNS0_10empty_typeEEEZNS1_21radix_sort_block_sortIS4_Lb0EPKbPbPS6_SC_NS0_19identity_decomposerEEE10hipError_tT1_T2_T3_T4_jRjT5_jjP12ihipStream_tbEUlT_E_NS1_11comp_targetILNS1_3genE5ELNS1_11target_archE942ELNS1_3gpuE9ELNS1_3repE0EEENS1_44radix_sort_block_sort_config_static_selectorELNS0_4arch9wavefront6targetE0EEEvSF_.uses_vcc, 0
	.set _ZN7rocprim17ROCPRIM_400000_NS6detail17trampoline_kernelINS0_13kernel_configILj256ELj4ELj4294967295EEENS1_37radix_sort_block_sort_config_selectorIbNS0_10empty_typeEEEZNS1_21radix_sort_block_sortIS4_Lb0EPKbPbPS6_SC_NS0_19identity_decomposerEEE10hipError_tT1_T2_T3_T4_jRjT5_jjP12ihipStream_tbEUlT_E_NS1_11comp_targetILNS1_3genE5ELNS1_11target_archE942ELNS1_3gpuE9ELNS1_3repE0EEENS1_44radix_sort_block_sort_config_static_selectorELNS0_4arch9wavefront6targetE0EEEvSF_.uses_flat_scratch, 0
	.set _ZN7rocprim17ROCPRIM_400000_NS6detail17trampoline_kernelINS0_13kernel_configILj256ELj4ELj4294967295EEENS1_37radix_sort_block_sort_config_selectorIbNS0_10empty_typeEEEZNS1_21radix_sort_block_sortIS4_Lb0EPKbPbPS6_SC_NS0_19identity_decomposerEEE10hipError_tT1_T2_T3_T4_jRjT5_jjP12ihipStream_tbEUlT_E_NS1_11comp_targetILNS1_3genE5ELNS1_11target_archE942ELNS1_3gpuE9ELNS1_3repE0EEENS1_44radix_sort_block_sort_config_static_selectorELNS0_4arch9wavefront6targetE0EEEvSF_.has_dyn_sized_stack, 0
	.set _ZN7rocprim17ROCPRIM_400000_NS6detail17trampoline_kernelINS0_13kernel_configILj256ELj4ELj4294967295EEENS1_37radix_sort_block_sort_config_selectorIbNS0_10empty_typeEEEZNS1_21radix_sort_block_sortIS4_Lb0EPKbPbPS6_SC_NS0_19identity_decomposerEEE10hipError_tT1_T2_T3_T4_jRjT5_jjP12ihipStream_tbEUlT_E_NS1_11comp_targetILNS1_3genE5ELNS1_11target_archE942ELNS1_3gpuE9ELNS1_3repE0EEENS1_44radix_sort_block_sort_config_static_selectorELNS0_4arch9wavefront6targetE0EEEvSF_.has_recursion, 0
	.set _ZN7rocprim17ROCPRIM_400000_NS6detail17trampoline_kernelINS0_13kernel_configILj256ELj4ELj4294967295EEENS1_37radix_sort_block_sort_config_selectorIbNS0_10empty_typeEEEZNS1_21radix_sort_block_sortIS4_Lb0EPKbPbPS6_SC_NS0_19identity_decomposerEEE10hipError_tT1_T2_T3_T4_jRjT5_jjP12ihipStream_tbEUlT_E_NS1_11comp_targetILNS1_3genE5ELNS1_11target_archE942ELNS1_3gpuE9ELNS1_3repE0EEENS1_44radix_sort_block_sort_config_static_selectorELNS0_4arch9wavefront6targetE0EEEvSF_.has_indirect_call, 0
	.section	.AMDGPU.csdata,"",@progbits
; Kernel info:
; codeLenInByte = 0
; TotalNumSgprs: 0
; NumVgprs: 0
; ScratchSize: 0
; MemoryBound: 0
; FloatMode: 240
; IeeeMode: 1
; LDSByteSize: 0 bytes/workgroup (compile time only)
; SGPRBlocks: 0
; VGPRBlocks: 0
; NumSGPRsForWavesPerEU: 1
; NumVGPRsForWavesPerEU: 1
; NamedBarCnt: 0
; Occupancy: 16
; WaveLimiterHint : 0
; COMPUTE_PGM_RSRC2:SCRATCH_EN: 0
; COMPUTE_PGM_RSRC2:USER_SGPR: 2
; COMPUTE_PGM_RSRC2:TRAP_HANDLER: 0
; COMPUTE_PGM_RSRC2:TGID_X_EN: 1
; COMPUTE_PGM_RSRC2:TGID_Y_EN: 0
; COMPUTE_PGM_RSRC2:TGID_Z_EN: 0
; COMPUTE_PGM_RSRC2:TIDIG_COMP_CNT: 0
	.section	.text._ZN7rocprim17ROCPRIM_400000_NS6detail17trampoline_kernelINS0_13kernel_configILj256ELj4ELj4294967295EEENS1_37radix_sort_block_sort_config_selectorIbNS0_10empty_typeEEEZNS1_21radix_sort_block_sortIS4_Lb0EPKbPbPS6_SC_NS0_19identity_decomposerEEE10hipError_tT1_T2_T3_T4_jRjT5_jjP12ihipStream_tbEUlT_E_NS1_11comp_targetILNS1_3genE4ELNS1_11target_archE910ELNS1_3gpuE8ELNS1_3repE0EEENS1_44radix_sort_block_sort_config_static_selectorELNS0_4arch9wavefront6targetE0EEEvSF_,"axG",@progbits,_ZN7rocprim17ROCPRIM_400000_NS6detail17trampoline_kernelINS0_13kernel_configILj256ELj4ELj4294967295EEENS1_37radix_sort_block_sort_config_selectorIbNS0_10empty_typeEEEZNS1_21radix_sort_block_sortIS4_Lb0EPKbPbPS6_SC_NS0_19identity_decomposerEEE10hipError_tT1_T2_T3_T4_jRjT5_jjP12ihipStream_tbEUlT_E_NS1_11comp_targetILNS1_3genE4ELNS1_11target_archE910ELNS1_3gpuE8ELNS1_3repE0EEENS1_44radix_sort_block_sort_config_static_selectorELNS0_4arch9wavefront6targetE0EEEvSF_,comdat
	.protected	_ZN7rocprim17ROCPRIM_400000_NS6detail17trampoline_kernelINS0_13kernel_configILj256ELj4ELj4294967295EEENS1_37radix_sort_block_sort_config_selectorIbNS0_10empty_typeEEEZNS1_21radix_sort_block_sortIS4_Lb0EPKbPbPS6_SC_NS0_19identity_decomposerEEE10hipError_tT1_T2_T3_T4_jRjT5_jjP12ihipStream_tbEUlT_E_NS1_11comp_targetILNS1_3genE4ELNS1_11target_archE910ELNS1_3gpuE8ELNS1_3repE0EEENS1_44radix_sort_block_sort_config_static_selectorELNS0_4arch9wavefront6targetE0EEEvSF_ ; -- Begin function _ZN7rocprim17ROCPRIM_400000_NS6detail17trampoline_kernelINS0_13kernel_configILj256ELj4ELj4294967295EEENS1_37radix_sort_block_sort_config_selectorIbNS0_10empty_typeEEEZNS1_21radix_sort_block_sortIS4_Lb0EPKbPbPS6_SC_NS0_19identity_decomposerEEE10hipError_tT1_T2_T3_T4_jRjT5_jjP12ihipStream_tbEUlT_E_NS1_11comp_targetILNS1_3genE4ELNS1_11target_archE910ELNS1_3gpuE8ELNS1_3repE0EEENS1_44radix_sort_block_sort_config_static_selectorELNS0_4arch9wavefront6targetE0EEEvSF_
	.globl	_ZN7rocprim17ROCPRIM_400000_NS6detail17trampoline_kernelINS0_13kernel_configILj256ELj4ELj4294967295EEENS1_37radix_sort_block_sort_config_selectorIbNS0_10empty_typeEEEZNS1_21radix_sort_block_sortIS4_Lb0EPKbPbPS6_SC_NS0_19identity_decomposerEEE10hipError_tT1_T2_T3_T4_jRjT5_jjP12ihipStream_tbEUlT_E_NS1_11comp_targetILNS1_3genE4ELNS1_11target_archE910ELNS1_3gpuE8ELNS1_3repE0EEENS1_44radix_sort_block_sort_config_static_selectorELNS0_4arch9wavefront6targetE0EEEvSF_
	.p2align	8
	.type	_ZN7rocprim17ROCPRIM_400000_NS6detail17trampoline_kernelINS0_13kernel_configILj256ELj4ELj4294967295EEENS1_37radix_sort_block_sort_config_selectorIbNS0_10empty_typeEEEZNS1_21radix_sort_block_sortIS4_Lb0EPKbPbPS6_SC_NS0_19identity_decomposerEEE10hipError_tT1_T2_T3_T4_jRjT5_jjP12ihipStream_tbEUlT_E_NS1_11comp_targetILNS1_3genE4ELNS1_11target_archE910ELNS1_3gpuE8ELNS1_3repE0EEENS1_44radix_sort_block_sort_config_static_selectorELNS0_4arch9wavefront6targetE0EEEvSF_,@function
_ZN7rocprim17ROCPRIM_400000_NS6detail17trampoline_kernelINS0_13kernel_configILj256ELj4ELj4294967295EEENS1_37radix_sort_block_sort_config_selectorIbNS0_10empty_typeEEEZNS1_21radix_sort_block_sortIS4_Lb0EPKbPbPS6_SC_NS0_19identity_decomposerEEE10hipError_tT1_T2_T3_T4_jRjT5_jjP12ihipStream_tbEUlT_E_NS1_11comp_targetILNS1_3genE4ELNS1_11target_archE910ELNS1_3gpuE8ELNS1_3repE0EEENS1_44radix_sort_block_sort_config_static_selectorELNS0_4arch9wavefront6targetE0EEEvSF_: ; @_ZN7rocprim17ROCPRIM_400000_NS6detail17trampoline_kernelINS0_13kernel_configILj256ELj4ELj4294967295EEENS1_37radix_sort_block_sort_config_selectorIbNS0_10empty_typeEEEZNS1_21radix_sort_block_sortIS4_Lb0EPKbPbPS6_SC_NS0_19identity_decomposerEEE10hipError_tT1_T2_T3_T4_jRjT5_jjP12ihipStream_tbEUlT_E_NS1_11comp_targetILNS1_3genE4ELNS1_11target_archE910ELNS1_3gpuE8ELNS1_3repE0EEENS1_44radix_sort_block_sort_config_static_selectorELNS0_4arch9wavefront6targetE0EEEvSF_
; %bb.0:
	.section	.rodata,"a",@progbits
	.p2align	6, 0x0
	.amdhsa_kernel _ZN7rocprim17ROCPRIM_400000_NS6detail17trampoline_kernelINS0_13kernel_configILj256ELj4ELj4294967295EEENS1_37radix_sort_block_sort_config_selectorIbNS0_10empty_typeEEEZNS1_21radix_sort_block_sortIS4_Lb0EPKbPbPS6_SC_NS0_19identity_decomposerEEE10hipError_tT1_T2_T3_T4_jRjT5_jjP12ihipStream_tbEUlT_E_NS1_11comp_targetILNS1_3genE4ELNS1_11target_archE910ELNS1_3gpuE8ELNS1_3repE0EEENS1_44radix_sort_block_sort_config_static_selectorELNS0_4arch9wavefront6targetE0EEEvSF_
		.amdhsa_group_segment_fixed_size 0
		.amdhsa_private_segment_fixed_size 0
		.amdhsa_kernarg_size 48
		.amdhsa_user_sgpr_count 2
		.amdhsa_user_sgpr_dispatch_ptr 0
		.amdhsa_user_sgpr_queue_ptr 0
		.amdhsa_user_sgpr_kernarg_segment_ptr 1
		.amdhsa_user_sgpr_dispatch_id 0
		.amdhsa_user_sgpr_kernarg_preload_length 0
		.amdhsa_user_sgpr_kernarg_preload_offset 0
		.amdhsa_user_sgpr_private_segment_size 0
		.amdhsa_wavefront_size32 1
		.amdhsa_uses_dynamic_stack 0
		.amdhsa_enable_private_segment 0
		.amdhsa_system_sgpr_workgroup_id_x 1
		.amdhsa_system_sgpr_workgroup_id_y 0
		.amdhsa_system_sgpr_workgroup_id_z 0
		.amdhsa_system_sgpr_workgroup_info 0
		.amdhsa_system_vgpr_workitem_id 0
		.amdhsa_next_free_vgpr 1
		.amdhsa_next_free_sgpr 1
		.amdhsa_named_barrier_count 0
		.amdhsa_reserve_vcc 0
		.amdhsa_float_round_mode_32 0
		.amdhsa_float_round_mode_16_64 0
		.amdhsa_float_denorm_mode_32 3
		.amdhsa_float_denorm_mode_16_64 3
		.amdhsa_fp16_overflow 0
		.amdhsa_memory_ordered 1
		.amdhsa_forward_progress 1
		.amdhsa_inst_pref_size 0
		.amdhsa_round_robin_scheduling 0
		.amdhsa_exception_fp_ieee_invalid_op 0
		.amdhsa_exception_fp_denorm_src 0
		.amdhsa_exception_fp_ieee_div_zero 0
		.amdhsa_exception_fp_ieee_overflow 0
		.amdhsa_exception_fp_ieee_underflow 0
		.amdhsa_exception_fp_ieee_inexact 0
		.amdhsa_exception_int_div_zero 0
	.end_amdhsa_kernel
	.section	.text._ZN7rocprim17ROCPRIM_400000_NS6detail17trampoline_kernelINS0_13kernel_configILj256ELj4ELj4294967295EEENS1_37radix_sort_block_sort_config_selectorIbNS0_10empty_typeEEEZNS1_21radix_sort_block_sortIS4_Lb0EPKbPbPS6_SC_NS0_19identity_decomposerEEE10hipError_tT1_T2_T3_T4_jRjT5_jjP12ihipStream_tbEUlT_E_NS1_11comp_targetILNS1_3genE4ELNS1_11target_archE910ELNS1_3gpuE8ELNS1_3repE0EEENS1_44radix_sort_block_sort_config_static_selectorELNS0_4arch9wavefront6targetE0EEEvSF_,"axG",@progbits,_ZN7rocprim17ROCPRIM_400000_NS6detail17trampoline_kernelINS0_13kernel_configILj256ELj4ELj4294967295EEENS1_37radix_sort_block_sort_config_selectorIbNS0_10empty_typeEEEZNS1_21radix_sort_block_sortIS4_Lb0EPKbPbPS6_SC_NS0_19identity_decomposerEEE10hipError_tT1_T2_T3_T4_jRjT5_jjP12ihipStream_tbEUlT_E_NS1_11comp_targetILNS1_3genE4ELNS1_11target_archE910ELNS1_3gpuE8ELNS1_3repE0EEENS1_44radix_sort_block_sort_config_static_selectorELNS0_4arch9wavefront6targetE0EEEvSF_,comdat
.Lfunc_end1779:
	.size	_ZN7rocprim17ROCPRIM_400000_NS6detail17trampoline_kernelINS0_13kernel_configILj256ELj4ELj4294967295EEENS1_37radix_sort_block_sort_config_selectorIbNS0_10empty_typeEEEZNS1_21radix_sort_block_sortIS4_Lb0EPKbPbPS6_SC_NS0_19identity_decomposerEEE10hipError_tT1_T2_T3_T4_jRjT5_jjP12ihipStream_tbEUlT_E_NS1_11comp_targetILNS1_3genE4ELNS1_11target_archE910ELNS1_3gpuE8ELNS1_3repE0EEENS1_44radix_sort_block_sort_config_static_selectorELNS0_4arch9wavefront6targetE0EEEvSF_, .Lfunc_end1779-_ZN7rocprim17ROCPRIM_400000_NS6detail17trampoline_kernelINS0_13kernel_configILj256ELj4ELj4294967295EEENS1_37radix_sort_block_sort_config_selectorIbNS0_10empty_typeEEEZNS1_21radix_sort_block_sortIS4_Lb0EPKbPbPS6_SC_NS0_19identity_decomposerEEE10hipError_tT1_T2_T3_T4_jRjT5_jjP12ihipStream_tbEUlT_E_NS1_11comp_targetILNS1_3genE4ELNS1_11target_archE910ELNS1_3gpuE8ELNS1_3repE0EEENS1_44radix_sort_block_sort_config_static_selectorELNS0_4arch9wavefront6targetE0EEEvSF_
                                        ; -- End function
	.set _ZN7rocprim17ROCPRIM_400000_NS6detail17trampoline_kernelINS0_13kernel_configILj256ELj4ELj4294967295EEENS1_37radix_sort_block_sort_config_selectorIbNS0_10empty_typeEEEZNS1_21radix_sort_block_sortIS4_Lb0EPKbPbPS6_SC_NS0_19identity_decomposerEEE10hipError_tT1_T2_T3_T4_jRjT5_jjP12ihipStream_tbEUlT_E_NS1_11comp_targetILNS1_3genE4ELNS1_11target_archE910ELNS1_3gpuE8ELNS1_3repE0EEENS1_44radix_sort_block_sort_config_static_selectorELNS0_4arch9wavefront6targetE0EEEvSF_.num_vgpr, 0
	.set _ZN7rocprim17ROCPRIM_400000_NS6detail17trampoline_kernelINS0_13kernel_configILj256ELj4ELj4294967295EEENS1_37radix_sort_block_sort_config_selectorIbNS0_10empty_typeEEEZNS1_21radix_sort_block_sortIS4_Lb0EPKbPbPS6_SC_NS0_19identity_decomposerEEE10hipError_tT1_T2_T3_T4_jRjT5_jjP12ihipStream_tbEUlT_E_NS1_11comp_targetILNS1_3genE4ELNS1_11target_archE910ELNS1_3gpuE8ELNS1_3repE0EEENS1_44radix_sort_block_sort_config_static_selectorELNS0_4arch9wavefront6targetE0EEEvSF_.num_agpr, 0
	.set _ZN7rocprim17ROCPRIM_400000_NS6detail17trampoline_kernelINS0_13kernel_configILj256ELj4ELj4294967295EEENS1_37radix_sort_block_sort_config_selectorIbNS0_10empty_typeEEEZNS1_21radix_sort_block_sortIS4_Lb0EPKbPbPS6_SC_NS0_19identity_decomposerEEE10hipError_tT1_T2_T3_T4_jRjT5_jjP12ihipStream_tbEUlT_E_NS1_11comp_targetILNS1_3genE4ELNS1_11target_archE910ELNS1_3gpuE8ELNS1_3repE0EEENS1_44radix_sort_block_sort_config_static_selectorELNS0_4arch9wavefront6targetE0EEEvSF_.numbered_sgpr, 0
	.set _ZN7rocprim17ROCPRIM_400000_NS6detail17trampoline_kernelINS0_13kernel_configILj256ELj4ELj4294967295EEENS1_37radix_sort_block_sort_config_selectorIbNS0_10empty_typeEEEZNS1_21radix_sort_block_sortIS4_Lb0EPKbPbPS6_SC_NS0_19identity_decomposerEEE10hipError_tT1_T2_T3_T4_jRjT5_jjP12ihipStream_tbEUlT_E_NS1_11comp_targetILNS1_3genE4ELNS1_11target_archE910ELNS1_3gpuE8ELNS1_3repE0EEENS1_44radix_sort_block_sort_config_static_selectorELNS0_4arch9wavefront6targetE0EEEvSF_.num_named_barrier, 0
	.set _ZN7rocprim17ROCPRIM_400000_NS6detail17trampoline_kernelINS0_13kernel_configILj256ELj4ELj4294967295EEENS1_37radix_sort_block_sort_config_selectorIbNS0_10empty_typeEEEZNS1_21radix_sort_block_sortIS4_Lb0EPKbPbPS6_SC_NS0_19identity_decomposerEEE10hipError_tT1_T2_T3_T4_jRjT5_jjP12ihipStream_tbEUlT_E_NS1_11comp_targetILNS1_3genE4ELNS1_11target_archE910ELNS1_3gpuE8ELNS1_3repE0EEENS1_44radix_sort_block_sort_config_static_selectorELNS0_4arch9wavefront6targetE0EEEvSF_.private_seg_size, 0
	.set _ZN7rocprim17ROCPRIM_400000_NS6detail17trampoline_kernelINS0_13kernel_configILj256ELj4ELj4294967295EEENS1_37radix_sort_block_sort_config_selectorIbNS0_10empty_typeEEEZNS1_21radix_sort_block_sortIS4_Lb0EPKbPbPS6_SC_NS0_19identity_decomposerEEE10hipError_tT1_T2_T3_T4_jRjT5_jjP12ihipStream_tbEUlT_E_NS1_11comp_targetILNS1_3genE4ELNS1_11target_archE910ELNS1_3gpuE8ELNS1_3repE0EEENS1_44radix_sort_block_sort_config_static_selectorELNS0_4arch9wavefront6targetE0EEEvSF_.uses_vcc, 0
	.set _ZN7rocprim17ROCPRIM_400000_NS6detail17trampoline_kernelINS0_13kernel_configILj256ELj4ELj4294967295EEENS1_37radix_sort_block_sort_config_selectorIbNS0_10empty_typeEEEZNS1_21radix_sort_block_sortIS4_Lb0EPKbPbPS6_SC_NS0_19identity_decomposerEEE10hipError_tT1_T2_T3_T4_jRjT5_jjP12ihipStream_tbEUlT_E_NS1_11comp_targetILNS1_3genE4ELNS1_11target_archE910ELNS1_3gpuE8ELNS1_3repE0EEENS1_44radix_sort_block_sort_config_static_selectorELNS0_4arch9wavefront6targetE0EEEvSF_.uses_flat_scratch, 0
	.set _ZN7rocprim17ROCPRIM_400000_NS6detail17trampoline_kernelINS0_13kernel_configILj256ELj4ELj4294967295EEENS1_37radix_sort_block_sort_config_selectorIbNS0_10empty_typeEEEZNS1_21radix_sort_block_sortIS4_Lb0EPKbPbPS6_SC_NS0_19identity_decomposerEEE10hipError_tT1_T2_T3_T4_jRjT5_jjP12ihipStream_tbEUlT_E_NS1_11comp_targetILNS1_3genE4ELNS1_11target_archE910ELNS1_3gpuE8ELNS1_3repE0EEENS1_44radix_sort_block_sort_config_static_selectorELNS0_4arch9wavefront6targetE0EEEvSF_.has_dyn_sized_stack, 0
	.set _ZN7rocprim17ROCPRIM_400000_NS6detail17trampoline_kernelINS0_13kernel_configILj256ELj4ELj4294967295EEENS1_37radix_sort_block_sort_config_selectorIbNS0_10empty_typeEEEZNS1_21radix_sort_block_sortIS4_Lb0EPKbPbPS6_SC_NS0_19identity_decomposerEEE10hipError_tT1_T2_T3_T4_jRjT5_jjP12ihipStream_tbEUlT_E_NS1_11comp_targetILNS1_3genE4ELNS1_11target_archE910ELNS1_3gpuE8ELNS1_3repE0EEENS1_44radix_sort_block_sort_config_static_selectorELNS0_4arch9wavefront6targetE0EEEvSF_.has_recursion, 0
	.set _ZN7rocprim17ROCPRIM_400000_NS6detail17trampoline_kernelINS0_13kernel_configILj256ELj4ELj4294967295EEENS1_37radix_sort_block_sort_config_selectorIbNS0_10empty_typeEEEZNS1_21radix_sort_block_sortIS4_Lb0EPKbPbPS6_SC_NS0_19identity_decomposerEEE10hipError_tT1_T2_T3_T4_jRjT5_jjP12ihipStream_tbEUlT_E_NS1_11comp_targetILNS1_3genE4ELNS1_11target_archE910ELNS1_3gpuE8ELNS1_3repE0EEENS1_44radix_sort_block_sort_config_static_selectorELNS0_4arch9wavefront6targetE0EEEvSF_.has_indirect_call, 0
	.section	.AMDGPU.csdata,"",@progbits
; Kernel info:
; codeLenInByte = 0
; TotalNumSgprs: 0
; NumVgprs: 0
; ScratchSize: 0
; MemoryBound: 0
; FloatMode: 240
; IeeeMode: 1
; LDSByteSize: 0 bytes/workgroup (compile time only)
; SGPRBlocks: 0
; VGPRBlocks: 0
; NumSGPRsForWavesPerEU: 1
; NumVGPRsForWavesPerEU: 1
; NamedBarCnt: 0
; Occupancy: 16
; WaveLimiterHint : 0
; COMPUTE_PGM_RSRC2:SCRATCH_EN: 0
; COMPUTE_PGM_RSRC2:USER_SGPR: 2
; COMPUTE_PGM_RSRC2:TRAP_HANDLER: 0
; COMPUTE_PGM_RSRC2:TGID_X_EN: 1
; COMPUTE_PGM_RSRC2:TGID_Y_EN: 0
; COMPUTE_PGM_RSRC2:TGID_Z_EN: 0
; COMPUTE_PGM_RSRC2:TIDIG_COMP_CNT: 0
	.section	.text._ZN7rocprim17ROCPRIM_400000_NS6detail17trampoline_kernelINS0_13kernel_configILj256ELj4ELj4294967295EEENS1_37radix_sort_block_sort_config_selectorIbNS0_10empty_typeEEEZNS1_21radix_sort_block_sortIS4_Lb0EPKbPbPS6_SC_NS0_19identity_decomposerEEE10hipError_tT1_T2_T3_T4_jRjT5_jjP12ihipStream_tbEUlT_E_NS1_11comp_targetILNS1_3genE3ELNS1_11target_archE908ELNS1_3gpuE7ELNS1_3repE0EEENS1_44radix_sort_block_sort_config_static_selectorELNS0_4arch9wavefront6targetE0EEEvSF_,"axG",@progbits,_ZN7rocprim17ROCPRIM_400000_NS6detail17trampoline_kernelINS0_13kernel_configILj256ELj4ELj4294967295EEENS1_37radix_sort_block_sort_config_selectorIbNS0_10empty_typeEEEZNS1_21radix_sort_block_sortIS4_Lb0EPKbPbPS6_SC_NS0_19identity_decomposerEEE10hipError_tT1_T2_T3_T4_jRjT5_jjP12ihipStream_tbEUlT_E_NS1_11comp_targetILNS1_3genE3ELNS1_11target_archE908ELNS1_3gpuE7ELNS1_3repE0EEENS1_44radix_sort_block_sort_config_static_selectorELNS0_4arch9wavefront6targetE0EEEvSF_,comdat
	.protected	_ZN7rocprim17ROCPRIM_400000_NS6detail17trampoline_kernelINS0_13kernel_configILj256ELj4ELj4294967295EEENS1_37radix_sort_block_sort_config_selectorIbNS0_10empty_typeEEEZNS1_21radix_sort_block_sortIS4_Lb0EPKbPbPS6_SC_NS0_19identity_decomposerEEE10hipError_tT1_T2_T3_T4_jRjT5_jjP12ihipStream_tbEUlT_E_NS1_11comp_targetILNS1_3genE3ELNS1_11target_archE908ELNS1_3gpuE7ELNS1_3repE0EEENS1_44radix_sort_block_sort_config_static_selectorELNS0_4arch9wavefront6targetE0EEEvSF_ ; -- Begin function _ZN7rocprim17ROCPRIM_400000_NS6detail17trampoline_kernelINS0_13kernel_configILj256ELj4ELj4294967295EEENS1_37radix_sort_block_sort_config_selectorIbNS0_10empty_typeEEEZNS1_21radix_sort_block_sortIS4_Lb0EPKbPbPS6_SC_NS0_19identity_decomposerEEE10hipError_tT1_T2_T3_T4_jRjT5_jjP12ihipStream_tbEUlT_E_NS1_11comp_targetILNS1_3genE3ELNS1_11target_archE908ELNS1_3gpuE7ELNS1_3repE0EEENS1_44radix_sort_block_sort_config_static_selectorELNS0_4arch9wavefront6targetE0EEEvSF_
	.globl	_ZN7rocprim17ROCPRIM_400000_NS6detail17trampoline_kernelINS0_13kernel_configILj256ELj4ELj4294967295EEENS1_37radix_sort_block_sort_config_selectorIbNS0_10empty_typeEEEZNS1_21radix_sort_block_sortIS4_Lb0EPKbPbPS6_SC_NS0_19identity_decomposerEEE10hipError_tT1_T2_T3_T4_jRjT5_jjP12ihipStream_tbEUlT_E_NS1_11comp_targetILNS1_3genE3ELNS1_11target_archE908ELNS1_3gpuE7ELNS1_3repE0EEENS1_44radix_sort_block_sort_config_static_selectorELNS0_4arch9wavefront6targetE0EEEvSF_
	.p2align	8
	.type	_ZN7rocprim17ROCPRIM_400000_NS6detail17trampoline_kernelINS0_13kernel_configILj256ELj4ELj4294967295EEENS1_37radix_sort_block_sort_config_selectorIbNS0_10empty_typeEEEZNS1_21radix_sort_block_sortIS4_Lb0EPKbPbPS6_SC_NS0_19identity_decomposerEEE10hipError_tT1_T2_T3_T4_jRjT5_jjP12ihipStream_tbEUlT_E_NS1_11comp_targetILNS1_3genE3ELNS1_11target_archE908ELNS1_3gpuE7ELNS1_3repE0EEENS1_44radix_sort_block_sort_config_static_selectorELNS0_4arch9wavefront6targetE0EEEvSF_,@function
_ZN7rocprim17ROCPRIM_400000_NS6detail17trampoline_kernelINS0_13kernel_configILj256ELj4ELj4294967295EEENS1_37radix_sort_block_sort_config_selectorIbNS0_10empty_typeEEEZNS1_21radix_sort_block_sortIS4_Lb0EPKbPbPS6_SC_NS0_19identity_decomposerEEE10hipError_tT1_T2_T3_T4_jRjT5_jjP12ihipStream_tbEUlT_E_NS1_11comp_targetILNS1_3genE3ELNS1_11target_archE908ELNS1_3gpuE7ELNS1_3repE0EEENS1_44radix_sort_block_sort_config_static_selectorELNS0_4arch9wavefront6targetE0EEEvSF_: ; @_ZN7rocprim17ROCPRIM_400000_NS6detail17trampoline_kernelINS0_13kernel_configILj256ELj4ELj4294967295EEENS1_37radix_sort_block_sort_config_selectorIbNS0_10empty_typeEEEZNS1_21radix_sort_block_sortIS4_Lb0EPKbPbPS6_SC_NS0_19identity_decomposerEEE10hipError_tT1_T2_T3_T4_jRjT5_jjP12ihipStream_tbEUlT_E_NS1_11comp_targetILNS1_3genE3ELNS1_11target_archE908ELNS1_3gpuE7ELNS1_3repE0EEENS1_44radix_sort_block_sort_config_static_selectorELNS0_4arch9wavefront6targetE0EEEvSF_
; %bb.0:
	.section	.rodata,"a",@progbits
	.p2align	6, 0x0
	.amdhsa_kernel _ZN7rocprim17ROCPRIM_400000_NS6detail17trampoline_kernelINS0_13kernel_configILj256ELj4ELj4294967295EEENS1_37radix_sort_block_sort_config_selectorIbNS0_10empty_typeEEEZNS1_21radix_sort_block_sortIS4_Lb0EPKbPbPS6_SC_NS0_19identity_decomposerEEE10hipError_tT1_T2_T3_T4_jRjT5_jjP12ihipStream_tbEUlT_E_NS1_11comp_targetILNS1_3genE3ELNS1_11target_archE908ELNS1_3gpuE7ELNS1_3repE0EEENS1_44radix_sort_block_sort_config_static_selectorELNS0_4arch9wavefront6targetE0EEEvSF_
		.amdhsa_group_segment_fixed_size 0
		.amdhsa_private_segment_fixed_size 0
		.amdhsa_kernarg_size 48
		.amdhsa_user_sgpr_count 2
		.amdhsa_user_sgpr_dispatch_ptr 0
		.amdhsa_user_sgpr_queue_ptr 0
		.amdhsa_user_sgpr_kernarg_segment_ptr 1
		.amdhsa_user_sgpr_dispatch_id 0
		.amdhsa_user_sgpr_kernarg_preload_length 0
		.amdhsa_user_sgpr_kernarg_preload_offset 0
		.amdhsa_user_sgpr_private_segment_size 0
		.amdhsa_wavefront_size32 1
		.amdhsa_uses_dynamic_stack 0
		.amdhsa_enable_private_segment 0
		.amdhsa_system_sgpr_workgroup_id_x 1
		.amdhsa_system_sgpr_workgroup_id_y 0
		.amdhsa_system_sgpr_workgroup_id_z 0
		.amdhsa_system_sgpr_workgroup_info 0
		.amdhsa_system_vgpr_workitem_id 0
		.amdhsa_next_free_vgpr 1
		.amdhsa_next_free_sgpr 1
		.amdhsa_named_barrier_count 0
		.amdhsa_reserve_vcc 0
		.amdhsa_float_round_mode_32 0
		.amdhsa_float_round_mode_16_64 0
		.amdhsa_float_denorm_mode_32 3
		.amdhsa_float_denorm_mode_16_64 3
		.amdhsa_fp16_overflow 0
		.amdhsa_memory_ordered 1
		.amdhsa_forward_progress 1
		.amdhsa_inst_pref_size 0
		.amdhsa_round_robin_scheduling 0
		.amdhsa_exception_fp_ieee_invalid_op 0
		.amdhsa_exception_fp_denorm_src 0
		.amdhsa_exception_fp_ieee_div_zero 0
		.amdhsa_exception_fp_ieee_overflow 0
		.amdhsa_exception_fp_ieee_underflow 0
		.amdhsa_exception_fp_ieee_inexact 0
		.amdhsa_exception_int_div_zero 0
	.end_amdhsa_kernel
	.section	.text._ZN7rocprim17ROCPRIM_400000_NS6detail17trampoline_kernelINS0_13kernel_configILj256ELj4ELj4294967295EEENS1_37radix_sort_block_sort_config_selectorIbNS0_10empty_typeEEEZNS1_21radix_sort_block_sortIS4_Lb0EPKbPbPS6_SC_NS0_19identity_decomposerEEE10hipError_tT1_T2_T3_T4_jRjT5_jjP12ihipStream_tbEUlT_E_NS1_11comp_targetILNS1_3genE3ELNS1_11target_archE908ELNS1_3gpuE7ELNS1_3repE0EEENS1_44radix_sort_block_sort_config_static_selectorELNS0_4arch9wavefront6targetE0EEEvSF_,"axG",@progbits,_ZN7rocprim17ROCPRIM_400000_NS6detail17trampoline_kernelINS0_13kernel_configILj256ELj4ELj4294967295EEENS1_37radix_sort_block_sort_config_selectorIbNS0_10empty_typeEEEZNS1_21radix_sort_block_sortIS4_Lb0EPKbPbPS6_SC_NS0_19identity_decomposerEEE10hipError_tT1_T2_T3_T4_jRjT5_jjP12ihipStream_tbEUlT_E_NS1_11comp_targetILNS1_3genE3ELNS1_11target_archE908ELNS1_3gpuE7ELNS1_3repE0EEENS1_44radix_sort_block_sort_config_static_selectorELNS0_4arch9wavefront6targetE0EEEvSF_,comdat
.Lfunc_end1780:
	.size	_ZN7rocprim17ROCPRIM_400000_NS6detail17trampoline_kernelINS0_13kernel_configILj256ELj4ELj4294967295EEENS1_37radix_sort_block_sort_config_selectorIbNS0_10empty_typeEEEZNS1_21radix_sort_block_sortIS4_Lb0EPKbPbPS6_SC_NS0_19identity_decomposerEEE10hipError_tT1_T2_T3_T4_jRjT5_jjP12ihipStream_tbEUlT_E_NS1_11comp_targetILNS1_3genE3ELNS1_11target_archE908ELNS1_3gpuE7ELNS1_3repE0EEENS1_44radix_sort_block_sort_config_static_selectorELNS0_4arch9wavefront6targetE0EEEvSF_, .Lfunc_end1780-_ZN7rocprim17ROCPRIM_400000_NS6detail17trampoline_kernelINS0_13kernel_configILj256ELj4ELj4294967295EEENS1_37radix_sort_block_sort_config_selectorIbNS0_10empty_typeEEEZNS1_21radix_sort_block_sortIS4_Lb0EPKbPbPS6_SC_NS0_19identity_decomposerEEE10hipError_tT1_T2_T3_T4_jRjT5_jjP12ihipStream_tbEUlT_E_NS1_11comp_targetILNS1_3genE3ELNS1_11target_archE908ELNS1_3gpuE7ELNS1_3repE0EEENS1_44radix_sort_block_sort_config_static_selectorELNS0_4arch9wavefront6targetE0EEEvSF_
                                        ; -- End function
	.set _ZN7rocprim17ROCPRIM_400000_NS6detail17trampoline_kernelINS0_13kernel_configILj256ELj4ELj4294967295EEENS1_37radix_sort_block_sort_config_selectorIbNS0_10empty_typeEEEZNS1_21radix_sort_block_sortIS4_Lb0EPKbPbPS6_SC_NS0_19identity_decomposerEEE10hipError_tT1_T2_T3_T4_jRjT5_jjP12ihipStream_tbEUlT_E_NS1_11comp_targetILNS1_3genE3ELNS1_11target_archE908ELNS1_3gpuE7ELNS1_3repE0EEENS1_44radix_sort_block_sort_config_static_selectorELNS0_4arch9wavefront6targetE0EEEvSF_.num_vgpr, 0
	.set _ZN7rocprim17ROCPRIM_400000_NS6detail17trampoline_kernelINS0_13kernel_configILj256ELj4ELj4294967295EEENS1_37radix_sort_block_sort_config_selectorIbNS0_10empty_typeEEEZNS1_21radix_sort_block_sortIS4_Lb0EPKbPbPS6_SC_NS0_19identity_decomposerEEE10hipError_tT1_T2_T3_T4_jRjT5_jjP12ihipStream_tbEUlT_E_NS1_11comp_targetILNS1_3genE3ELNS1_11target_archE908ELNS1_3gpuE7ELNS1_3repE0EEENS1_44radix_sort_block_sort_config_static_selectorELNS0_4arch9wavefront6targetE0EEEvSF_.num_agpr, 0
	.set _ZN7rocprim17ROCPRIM_400000_NS6detail17trampoline_kernelINS0_13kernel_configILj256ELj4ELj4294967295EEENS1_37radix_sort_block_sort_config_selectorIbNS0_10empty_typeEEEZNS1_21radix_sort_block_sortIS4_Lb0EPKbPbPS6_SC_NS0_19identity_decomposerEEE10hipError_tT1_T2_T3_T4_jRjT5_jjP12ihipStream_tbEUlT_E_NS1_11comp_targetILNS1_3genE3ELNS1_11target_archE908ELNS1_3gpuE7ELNS1_3repE0EEENS1_44radix_sort_block_sort_config_static_selectorELNS0_4arch9wavefront6targetE0EEEvSF_.numbered_sgpr, 0
	.set _ZN7rocprim17ROCPRIM_400000_NS6detail17trampoline_kernelINS0_13kernel_configILj256ELj4ELj4294967295EEENS1_37radix_sort_block_sort_config_selectorIbNS0_10empty_typeEEEZNS1_21radix_sort_block_sortIS4_Lb0EPKbPbPS6_SC_NS0_19identity_decomposerEEE10hipError_tT1_T2_T3_T4_jRjT5_jjP12ihipStream_tbEUlT_E_NS1_11comp_targetILNS1_3genE3ELNS1_11target_archE908ELNS1_3gpuE7ELNS1_3repE0EEENS1_44radix_sort_block_sort_config_static_selectorELNS0_4arch9wavefront6targetE0EEEvSF_.num_named_barrier, 0
	.set _ZN7rocprim17ROCPRIM_400000_NS6detail17trampoline_kernelINS0_13kernel_configILj256ELj4ELj4294967295EEENS1_37radix_sort_block_sort_config_selectorIbNS0_10empty_typeEEEZNS1_21radix_sort_block_sortIS4_Lb0EPKbPbPS6_SC_NS0_19identity_decomposerEEE10hipError_tT1_T2_T3_T4_jRjT5_jjP12ihipStream_tbEUlT_E_NS1_11comp_targetILNS1_3genE3ELNS1_11target_archE908ELNS1_3gpuE7ELNS1_3repE0EEENS1_44radix_sort_block_sort_config_static_selectorELNS0_4arch9wavefront6targetE0EEEvSF_.private_seg_size, 0
	.set _ZN7rocprim17ROCPRIM_400000_NS6detail17trampoline_kernelINS0_13kernel_configILj256ELj4ELj4294967295EEENS1_37radix_sort_block_sort_config_selectorIbNS0_10empty_typeEEEZNS1_21radix_sort_block_sortIS4_Lb0EPKbPbPS6_SC_NS0_19identity_decomposerEEE10hipError_tT1_T2_T3_T4_jRjT5_jjP12ihipStream_tbEUlT_E_NS1_11comp_targetILNS1_3genE3ELNS1_11target_archE908ELNS1_3gpuE7ELNS1_3repE0EEENS1_44radix_sort_block_sort_config_static_selectorELNS0_4arch9wavefront6targetE0EEEvSF_.uses_vcc, 0
	.set _ZN7rocprim17ROCPRIM_400000_NS6detail17trampoline_kernelINS0_13kernel_configILj256ELj4ELj4294967295EEENS1_37radix_sort_block_sort_config_selectorIbNS0_10empty_typeEEEZNS1_21radix_sort_block_sortIS4_Lb0EPKbPbPS6_SC_NS0_19identity_decomposerEEE10hipError_tT1_T2_T3_T4_jRjT5_jjP12ihipStream_tbEUlT_E_NS1_11comp_targetILNS1_3genE3ELNS1_11target_archE908ELNS1_3gpuE7ELNS1_3repE0EEENS1_44radix_sort_block_sort_config_static_selectorELNS0_4arch9wavefront6targetE0EEEvSF_.uses_flat_scratch, 0
	.set _ZN7rocprim17ROCPRIM_400000_NS6detail17trampoline_kernelINS0_13kernel_configILj256ELj4ELj4294967295EEENS1_37radix_sort_block_sort_config_selectorIbNS0_10empty_typeEEEZNS1_21radix_sort_block_sortIS4_Lb0EPKbPbPS6_SC_NS0_19identity_decomposerEEE10hipError_tT1_T2_T3_T4_jRjT5_jjP12ihipStream_tbEUlT_E_NS1_11comp_targetILNS1_3genE3ELNS1_11target_archE908ELNS1_3gpuE7ELNS1_3repE0EEENS1_44radix_sort_block_sort_config_static_selectorELNS0_4arch9wavefront6targetE0EEEvSF_.has_dyn_sized_stack, 0
	.set _ZN7rocprim17ROCPRIM_400000_NS6detail17trampoline_kernelINS0_13kernel_configILj256ELj4ELj4294967295EEENS1_37radix_sort_block_sort_config_selectorIbNS0_10empty_typeEEEZNS1_21radix_sort_block_sortIS4_Lb0EPKbPbPS6_SC_NS0_19identity_decomposerEEE10hipError_tT1_T2_T3_T4_jRjT5_jjP12ihipStream_tbEUlT_E_NS1_11comp_targetILNS1_3genE3ELNS1_11target_archE908ELNS1_3gpuE7ELNS1_3repE0EEENS1_44radix_sort_block_sort_config_static_selectorELNS0_4arch9wavefront6targetE0EEEvSF_.has_recursion, 0
	.set _ZN7rocprim17ROCPRIM_400000_NS6detail17trampoline_kernelINS0_13kernel_configILj256ELj4ELj4294967295EEENS1_37radix_sort_block_sort_config_selectorIbNS0_10empty_typeEEEZNS1_21radix_sort_block_sortIS4_Lb0EPKbPbPS6_SC_NS0_19identity_decomposerEEE10hipError_tT1_T2_T3_T4_jRjT5_jjP12ihipStream_tbEUlT_E_NS1_11comp_targetILNS1_3genE3ELNS1_11target_archE908ELNS1_3gpuE7ELNS1_3repE0EEENS1_44radix_sort_block_sort_config_static_selectorELNS0_4arch9wavefront6targetE0EEEvSF_.has_indirect_call, 0
	.section	.AMDGPU.csdata,"",@progbits
; Kernel info:
; codeLenInByte = 0
; TotalNumSgprs: 0
; NumVgprs: 0
; ScratchSize: 0
; MemoryBound: 0
; FloatMode: 240
; IeeeMode: 1
; LDSByteSize: 0 bytes/workgroup (compile time only)
; SGPRBlocks: 0
; VGPRBlocks: 0
; NumSGPRsForWavesPerEU: 1
; NumVGPRsForWavesPerEU: 1
; NamedBarCnt: 0
; Occupancy: 16
; WaveLimiterHint : 0
; COMPUTE_PGM_RSRC2:SCRATCH_EN: 0
; COMPUTE_PGM_RSRC2:USER_SGPR: 2
; COMPUTE_PGM_RSRC2:TRAP_HANDLER: 0
; COMPUTE_PGM_RSRC2:TGID_X_EN: 1
; COMPUTE_PGM_RSRC2:TGID_Y_EN: 0
; COMPUTE_PGM_RSRC2:TGID_Z_EN: 0
; COMPUTE_PGM_RSRC2:TIDIG_COMP_CNT: 0
	.section	.text._ZN7rocprim17ROCPRIM_400000_NS6detail17trampoline_kernelINS0_13kernel_configILj256ELj4ELj4294967295EEENS1_37radix_sort_block_sort_config_selectorIbNS0_10empty_typeEEEZNS1_21radix_sort_block_sortIS4_Lb0EPKbPbPS6_SC_NS0_19identity_decomposerEEE10hipError_tT1_T2_T3_T4_jRjT5_jjP12ihipStream_tbEUlT_E_NS1_11comp_targetILNS1_3genE2ELNS1_11target_archE906ELNS1_3gpuE6ELNS1_3repE0EEENS1_44radix_sort_block_sort_config_static_selectorELNS0_4arch9wavefront6targetE0EEEvSF_,"axG",@progbits,_ZN7rocprim17ROCPRIM_400000_NS6detail17trampoline_kernelINS0_13kernel_configILj256ELj4ELj4294967295EEENS1_37radix_sort_block_sort_config_selectorIbNS0_10empty_typeEEEZNS1_21radix_sort_block_sortIS4_Lb0EPKbPbPS6_SC_NS0_19identity_decomposerEEE10hipError_tT1_T2_T3_T4_jRjT5_jjP12ihipStream_tbEUlT_E_NS1_11comp_targetILNS1_3genE2ELNS1_11target_archE906ELNS1_3gpuE6ELNS1_3repE0EEENS1_44radix_sort_block_sort_config_static_selectorELNS0_4arch9wavefront6targetE0EEEvSF_,comdat
	.protected	_ZN7rocprim17ROCPRIM_400000_NS6detail17trampoline_kernelINS0_13kernel_configILj256ELj4ELj4294967295EEENS1_37radix_sort_block_sort_config_selectorIbNS0_10empty_typeEEEZNS1_21radix_sort_block_sortIS4_Lb0EPKbPbPS6_SC_NS0_19identity_decomposerEEE10hipError_tT1_T2_T3_T4_jRjT5_jjP12ihipStream_tbEUlT_E_NS1_11comp_targetILNS1_3genE2ELNS1_11target_archE906ELNS1_3gpuE6ELNS1_3repE0EEENS1_44radix_sort_block_sort_config_static_selectorELNS0_4arch9wavefront6targetE0EEEvSF_ ; -- Begin function _ZN7rocprim17ROCPRIM_400000_NS6detail17trampoline_kernelINS0_13kernel_configILj256ELj4ELj4294967295EEENS1_37radix_sort_block_sort_config_selectorIbNS0_10empty_typeEEEZNS1_21radix_sort_block_sortIS4_Lb0EPKbPbPS6_SC_NS0_19identity_decomposerEEE10hipError_tT1_T2_T3_T4_jRjT5_jjP12ihipStream_tbEUlT_E_NS1_11comp_targetILNS1_3genE2ELNS1_11target_archE906ELNS1_3gpuE6ELNS1_3repE0EEENS1_44radix_sort_block_sort_config_static_selectorELNS0_4arch9wavefront6targetE0EEEvSF_
	.globl	_ZN7rocprim17ROCPRIM_400000_NS6detail17trampoline_kernelINS0_13kernel_configILj256ELj4ELj4294967295EEENS1_37radix_sort_block_sort_config_selectorIbNS0_10empty_typeEEEZNS1_21radix_sort_block_sortIS4_Lb0EPKbPbPS6_SC_NS0_19identity_decomposerEEE10hipError_tT1_T2_T3_T4_jRjT5_jjP12ihipStream_tbEUlT_E_NS1_11comp_targetILNS1_3genE2ELNS1_11target_archE906ELNS1_3gpuE6ELNS1_3repE0EEENS1_44radix_sort_block_sort_config_static_selectorELNS0_4arch9wavefront6targetE0EEEvSF_
	.p2align	8
	.type	_ZN7rocprim17ROCPRIM_400000_NS6detail17trampoline_kernelINS0_13kernel_configILj256ELj4ELj4294967295EEENS1_37radix_sort_block_sort_config_selectorIbNS0_10empty_typeEEEZNS1_21radix_sort_block_sortIS4_Lb0EPKbPbPS6_SC_NS0_19identity_decomposerEEE10hipError_tT1_T2_T3_T4_jRjT5_jjP12ihipStream_tbEUlT_E_NS1_11comp_targetILNS1_3genE2ELNS1_11target_archE906ELNS1_3gpuE6ELNS1_3repE0EEENS1_44radix_sort_block_sort_config_static_selectorELNS0_4arch9wavefront6targetE0EEEvSF_,@function
_ZN7rocprim17ROCPRIM_400000_NS6detail17trampoline_kernelINS0_13kernel_configILj256ELj4ELj4294967295EEENS1_37radix_sort_block_sort_config_selectorIbNS0_10empty_typeEEEZNS1_21radix_sort_block_sortIS4_Lb0EPKbPbPS6_SC_NS0_19identity_decomposerEEE10hipError_tT1_T2_T3_T4_jRjT5_jjP12ihipStream_tbEUlT_E_NS1_11comp_targetILNS1_3genE2ELNS1_11target_archE906ELNS1_3gpuE6ELNS1_3repE0EEENS1_44radix_sort_block_sort_config_static_selectorELNS0_4arch9wavefront6targetE0EEEvSF_: ; @_ZN7rocprim17ROCPRIM_400000_NS6detail17trampoline_kernelINS0_13kernel_configILj256ELj4ELj4294967295EEENS1_37radix_sort_block_sort_config_selectorIbNS0_10empty_typeEEEZNS1_21radix_sort_block_sortIS4_Lb0EPKbPbPS6_SC_NS0_19identity_decomposerEEE10hipError_tT1_T2_T3_T4_jRjT5_jjP12ihipStream_tbEUlT_E_NS1_11comp_targetILNS1_3genE2ELNS1_11target_archE906ELNS1_3gpuE6ELNS1_3repE0EEENS1_44radix_sort_block_sort_config_static_selectorELNS0_4arch9wavefront6targetE0EEEvSF_
; %bb.0:
	.section	.rodata,"a",@progbits
	.p2align	6, 0x0
	.amdhsa_kernel _ZN7rocprim17ROCPRIM_400000_NS6detail17trampoline_kernelINS0_13kernel_configILj256ELj4ELj4294967295EEENS1_37radix_sort_block_sort_config_selectorIbNS0_10empty_typeEEEZNS1_21radix_sort_block_sortIS4_Lb0EPKbPbPS6_SC_NS0_19identity_decomposerEEE10hipError_tT1_T2_T3_T4_jRjT5_jjP12ihipStream_tbEUlT_E_NS1_11comp_targetILNS1_3genE2ELNS1_11target_archE906ELNS1_3gpuE6ELNS1_3repE0EEENS1_44radix_sort_block_sort_config_static_selectorELNS0_4arch9wavefront6targetE0EEEvSF_
		.amdhsa_group_segment_fixed_size 0
		.amdhsa_private_segment_fixed_size 0
		.amdhsa_kernarg_size 48
		.amdhsa_user_sgpr_count 2
		.amdhsa_user_sgpr_dispatch_ptr 0
		.amdhsa_user_sgpr_queue_ptr 0
		.amdhsa_user_sgpr_kernarg_segment_ptr 1
		.amdhsa_user_sgpr_dispatch_id 0
		.amdhsa_user_sgpr_kernarg_preload_length 0
		.amdhsa_user_sgpr_kernarg_preload_offset 0
		.amdhsa_user_sgpr_private_segment_size 0
		.amdhsa_wavefront_size32 1
		.amdhsa_uses_dynamic_stack 0
		.amdhsa_enable_private_segment 0
		.amdhsa_system_sgpr_workgroup_id_x 1
		.amdhsa_system_sgpr_workgroup_id_y 0
		.amdhsa_system_sgpr_workgroup_id_z 0
		.amdhsa_system_sgpr_workgroup_info 0
		.amdhsa_system_vgpr_workitem_id 0
		.amdhsa_next_free_vgpr 1
		.amdhsa_next_free_sgpr 1
		.amdhsa_named_barrier_count 0
		.amdhsa_reserve_vcc 0
		.amdhsa_float_round_mode_32 0
		.amdhsa_float_round_mode_16_64 0
		.amdhsa_float_denorm_mode_32 3
		.amdhsa_float_denorm_mode_16_64 3
		.amdhsa_fp16_overflow 0
		.amdhsa_memory_ordered 1
		.amdhsa_forward_progress 1
		.amdhsa_inst_pref_size 0
		.amdhsa_round_robin_scheduling 0
		.amdhsa_exception_fp_ieee_invalid_op 0
		.amdhsa_exception_fp_denorm_src 0
		.amdhsa_exception_fp_ieee_div_zero 0
		.amdhsa_exception_fp_ieee_overflow 0
		.amdhsa_exception_fp_ieee_underflow 0
		.amdhsa_exception_fp_ieee_inexact 0
		.amdhsa_exception_int_div_zero 0
	.end_amdhsa_kernel
	.section	.text._ZN7rocprim17ROCPRIM_400000_NS6detail17trampoline_kernelINS0_13kernel_configILj256ELj4ELj4294967295EEENS1_37radix_sort_block_sort_config_selectorIbNS0_10empty_typeEEEZNS1_21radix_sort_block_sortIS4_Lb0EPKbPbPS6_SC_NS0_19identity_decomposerEEE10hipError_tT1_T2_T3_T4_jRjT5_jjP12ihipStream_tbEUlT_E_NS1_11comp_targetILNS1_3genE2ELNS1_11target_archE906ELNS1_3gpuE6ELNS1_3repE0EEENS1_44radix_sort_block_sort_config_static_selectorELNS0_4arch9wavefront6targetE0EEEvSF_,"axG",@progbits,_ZN7rocprim17ROCPRIM_400000_NS6detail17trampoline_kernelINS0_13kernel_configILj256ELj4ELj4294967295EEENS1_37radix_sort_block_sort_config_selectorIbNS0_10empty_typeEEEZNS1_21radix_sort_block_sortIS4_Lb0EPKbPbPS6_SC_NS0_19identity_decomposerEEE10hipError_tT1_T2_T3_T4_jRjT5_jjP12ihipStream_tbEUlT_E_NS1_11comp_targetILNS1_3genE2ELNS1_11target_archE906ELNS1_3gpuE6ELNS1_3repE0EEENS1_44radix_sort_block_sort_config_static_selectorELNS0_4arch9wavefront6targetE0EEEvSF_,comdat
.Lfunc_end1781:
	.size	_ZN7rocprim17ROCPRIM_400000_NS6detail17trampoline_kernelINS0_13kernel_configILj256ELj4ELj4294967295EEENS1_37radix_sort_block_sort_config_selectorIbNS0_10empty_typeEEEZNS1_21radix_sort_block_sortIS4_Lb0EPKbPbPS6_SC_NS0_19identity_decomposerEEE10hipError_tT1_T2_T3_T4_jRjT5_jjP12ihipStream_tbEUlT_E_NS1_11comp_targetILNS1_3genE2ELNS1_11target_archE906ELNS1_3gpuE6ELNS1_3repE0EEENS1_44radix_sort_block_sort_config_static_selectorELNS0_4arch9wavefront6targetE0EEEvSF_, .Lfunc_end1781-_ZN7rocprim17ROCPRIM_400000_NS6detail17trampoline_kernelINS0_13kernel_configILj256ELj4ELj4294967295EEENS1_37radix_sort_block_sort_config_selectorIbNS0_10empty_typeEEEZNS1_21radix_sort_block_sortIS4_Lb0EPKbPbPS6_SC_NS0_19identity_decomposerEEE10hipError_tT1_T2_T3_T4_jRjT5_jjP12ihipStream_tbEUlT_E_NS1_11comp_targetILNS1_3genE2ELNS1_11target_archE906ELNS1_3gpuE6ELNS1_3repE0EEENS1_44radix_sort_block_sort_config_static_selectorELNS0_4arch9wavefront6targetE0EEEvSF_
                                        ; -- End function
	.set _ZN7rocprim17ROCPRIM_400000_NS6detail17trampoline_kernelINS0_13kernel_configILj256ELj4ELj4294967295EEENS1_37radix_sort_block_sort_config_selectorIbNS0_10empty_typeEEEZNS1_21radix_sort_block_sortIS4_Lb0EPKbPbPS6_SC_NS0_19identity_decomposerEEE10hipError_tT1_T2_T3_T4_jRjT5_jjP12ihipStream_tbEUlT_E_NS1_11comp_targetILNS1_3genE2ELNS1_11target_archE906ELNS1_3gpuE6ELNS1_3repE0EEENS1_44radix_sort_block_sort_config_static_selectorELNS0_4arch9wavefront6targetE0EEEvSF_.num_vgpr, 0
	.set _ZN7rocprim17ROCPRIM_400000_NS6detail17trampoline_kernelINS0_13kernel_configILj256ELj4ELj4294967295EEENS1_37radix_sort_block_sort_config_selectorIbNS0_10empty_typeEEEZNS1_21radix_sort_block_sortIS4_Lb0EPKbPbPS6_SC_NS0_19identity_decomposerEEE10hipError_tT1_T2_T3_T4_jRjT5_jjP12ihipStream_tbEUlT_E_NS1_11comp_targetILNS1_3genE2ELNS1_11target_archE906ELNS1_3gpuE6ELNS1_3repE0EEENS1_44radix_sort_block_sort_config_static_selectorELNS0_4arch9wavefront6targetE0EEEvSF_.num_agpr, 0
	.set _ZN7rocprim17ROCPRIM_400000_NS6detail17trampoline_kernelINS0_13kernel_configILj256ELj4ELj4294967295EEENS1_37radix_sort_block_sort_config_selectorIbNS0_10empty_typeEEEZNS1_21radix_sort_block_sortIS4_Lb0EPKbPbPS6_SC_NS0_19identity_decomposerEEE10hipError_tT1_T2_T3_T4_jRjT5_jjP12ihipStream_tbEUlT_E_NS1_11comp_targetILNS1_3genE2ELNS1_11target_archE906ELNS1_3gpuE6ELNS1_3repE0EEENS1_44radix_sort_block_sort_config_static_selectorELNS0_4arch9wavefront6targetE0EEEvSF_.numbered_sgpr, 0
	.set _ZN7rocprim17ROCPRIM_400000_NS6detail17trampoline_kernelINS0_13kernel_configILj256ELj4ELj4294967295EEENS1_37radix_sort_block_sort_config_selectorIbNS0_10empty_typeEEEZNS1_21radix_sort_block_sortIS4_Lb0EPKbPbPS6_SC_NS0_19identity_decomposerEEE10hipError_tT1_T2_T3_T4_jRjT5_jjP12ihipStream_tbEUlT_E_NS1_11comp_targetILNS1_3genE2ELNS1_11target_archE906ELNS1_3gpuE6ELNS1_3repE0EEENS1_44radix_sort_block_sort_config_static_selectorELNS0_4arch9wavefront6targetE0EEEvSF_.num_named_barrier, 0
	.set _ZN7rocprim17ROCPRIM_400000_NS6detail17trampoline_kernelINS0_13kernel_configILj256ELj4ELj4294967295EEENS1_37radix_sort_block_sort_config_selectorIbNS0_10empty_typeEEEZNS1_21radix_sort_block_sortIS4_Lb0EPKbPbPS6_SC_NS0_19identity_decomposerEEE10hipError_tT1_T2_T3_T4_jRjT5_jjP12ihipStream_tbEUlT_E_NS1_11comp_targetILNS1_3genE2ELNS1_11target_archE906ELNS1_3gpuE6ELNS1_3repE0EEENS1_44radix_sort_block_sort_config_static_selectorELNS0_4arch9wavefront6targetE0EEEvSF_.private_seg_size, 0
	.set _ZN7rocprim17ROCPRIM_400000_NS6detail17trampoline_kernelINS0_13kernel_configILj256ELj4ELj4294967295EEENS1_37radix_sort_block_sort_config_selectorIbNS0_10empty_typeEEEZNS1_21radix_sort_block_sortIS4_Lb0EPKbPbPS6_SC_NS0_19identity_decomposerEEE10hipError_tT1_T2_T3_T4_jRjT5_jjP12ihipStream_tbEUlT_E_NS1_11comp_targetILNS1_3genE2ELNS1_11target_archE906ELNS1_3gpuE6ELNS1_3repE0EEENS1_44radix_sort_block_sort_config_static_selectorELNS0_4arch9wavefront6targetE0EEEvSF_.uses_vcc, 0
	.set _ZN7rocprim17ROCPRIM_400000_NS6detail17trampoline_kernelINS0_13kernel_configILj256ELj4ELj4294967295EEENS1_37radix_sort_block_sort_config_selectorIbNS0_10empty_typeEEEZNS1_21radix_sort_block_sortIS4_Lb0EPKbPbPS6_SC_NS0_19identity_decomposerEEE10hipError_tT1_T2_T3_T4_jRjT5_jjP12ihipStream_tbEUlT_E_NS1_11comp_targetILNS1_3genE2ELNS1_11target_archE906ELNS1_3gpuE6ELNS1_3repE0EEENS1_44radix_sort_block_sort_config_static_selectorELNS0_4arch9wavefront6targetE0EEEvSF_.uses_flat_scratch, 0
	.set _ZN7rocprim17ROCPRIM_400000_NS6detail17trampoline_kernelINS0_13kernel_configILj256ELj4ELj4294967295EEENS1_37radix_sort_block_sort_config_selectorIbNS0_10empty_typeEEEZNS1_21radix_sort_block_sortIS4_Lb0EPKbPbPS6_SC_NS0_19identity_decomposerEEE10hipError_tT1_T2_T3_T4_jRjT5_jjP12ihipStream_tbEUlT_E_NS1_11comp_targetILNS1_3genE2ELNS1_11target_archE906ELNS1_3gpuE6ELNS1_3repE0EEENS1_44radix_sort_block_sort_config_static_selectorELNS0_4arch9wavefront6targetE0EEEvSF_.has_dyn_sized_stack, 0
	.set _ZN7rocprim17ROCPRIM_400000_NS6detail17trampoline_kernelINS0_13kernel_configILj256ELj4ELj4294967295EEENS1_37radix_sort_block_sort_config_selectorIbNS0_10empty_typeEEEZNS1_21radix_sort_block_sortIS4_Lb0EPKbPbPS6_SC_NS0_19identity_decomposerEEE10hipError_tT1_T2_T3_T4_jRjT5_jjP12ihipStream_tbEUlT_E_NS1_11comp_targetILNS1_3genE2ELNS1_11target_archE906ELNS1_3gpuE6ELNS1_3repE0EEENS1_44radix_sort_block_sort_config_static_selectorELNS0_4arch9wavefront6targetE0EEEvSF_.has_recursion, 0
	.set _ZN7rocprim17ROCPRIM_400000_NS6detail17trampoline_kernelINS0_13kernel_configILj256ELj4ELj4294967295EEENS1_37radix_sort_block_sort_config_selectorIbNS0_10empty_typeEEEZNS1_21radix_sort_block_sortIS4_Lb0EPKbPbPS6_SC_NS0_19identity_decomposerEEE10hipError_tT1_T2_T3_T4_jRjT5_jjP12ihipStream_tbEUlT_E_NS1_11comp_targetILNS1_3genE2ELNS1_11target_archE906ELNS1_3gpuE6ELNS1_3repE0EEENS1_44radix_sort_block_sort_config_static_selectorELNS0_4arch9wavefront6targetE0EEEvSF_.has_indirect_call, 0
	.section	.AMDGPU.csdata,"",@progbits
; Kernel info:
; codeLenInByte = 0
; TotalNumSgprs: 0
; NumVgprs: 0
; ScratchSize: 0
; MemoryBound: 0
; FloatMode: 240
; IeeeMode: 1
; LDSByteSize: 0 bytes/workgroup (compile time only)
; SGPRBlocks: 0
; VGPRBlocks: 0
; NumSGPRsForWavesPerEU: 1
; NumVGPRsForWavesPerEU: 1
; NamedBarCnt: 0
; Occupancy: 16
; WaveLimiterHint : 0
; COMPUTE_PGM_RSRC2:SCRATCH_EN: 0
; COMPUTE_PGM_RSRC2:USER_SGPR: 2
; COMPUTE_PGM_RSRC2:TRAP_HANDLER: 0
; COMPUTE_PGM_RSRC2:TGID_X_EN: 1
; COMPUTE_PGM_RSRC2:TGID_Y_EN: 0
; COMPUTE_PGM_RSRC2:TGID_Z_EN: 0
; COMPUTE_PGM_RSRC2:TIDIG_COMP_CNT: 0
	.section	.text._ZN7rocprim17ROCPRIM_400000_NS6detail17trampoline_kernelINS0_13kernel_configILj256ELj4ELj4294967295EEENS1_37radix_sort_block_sort_config_selectorIbNS0_10empty_typeEEEZNS1_21radix_sort_block_sortIS4_Lb0EPKbPbPS6_SC_NS0_19identity_decomposerEEE10hipError_tT1_T2_T3_T4_jRjT5_jjP12ihipStream_tbEUlT_E_NS1_11comp_targetILNS1_3genE10ELNS1_11target_archE1201ELNS1_3gpuE5ELNS1_3repE0EEENS1_44radix_sort_block_sort_config_static_selectorELNS0_4arch9wavefront6targetE0EEEvSF_,"axG",@progbits,_ZN7rocprim17ROCPRIM_400000_NS6detail17trampoline_kernelINS0_13kernel_configILj256ELj4ELj4294967295EEENS1_37radix_sort_block_sort_config_selectorIbNS0_10empty_typeEEEZNS1_21radix_sort_block_sortIS4_Lb0EPKbPbPS6_SC_NS0_19identity_decomposerEEE10hipError_tT1_T2_T3_T4_jRjT5_jjP12ihipStream_tbEUlT_E_NS1_11comp_targetILNS1_3genE10ELNS1_11target_archE1201ELNS1_3gpuE5ELNS1_3repE0EEENS1_44radix_sort_block_sort_config_static_selectorELNS0_4arch9wavefront6targetE0EEEvSF_,comdat
	.protected	_ZN7rocprim17ROCPRIM_400000_NS6detail17trampoline_kernelINS0_13kernel_configILj256ELj4ELj4294967295EEENS1_37radix_sort_block_sort_config_selectorIbNS0_10empty_typeEEEZNS1_21radix_sort_block_sortIS4_Lb0EPKbPbPS6_SC_NS0_19identity_decomposerEEE10hipError_tT1_T2_T3_T4_jRjT5_jjP12ihipStream_tbEUlT_E_NS1_11comp_targetILNS1_3genE10ELNS1_11target_archE1201ELNS1_3gpuE5ELNS1_3repE0EEENS1_44radix_sort_block_sort_config_static_selectorELNS0_4arch9wavefront6targetE0EEEvSF_ ; -- Begin function _ZN7rocprim17ROCPRIM_400000_NS6detail17trampoline_kernelINS0_13kernel_configILj256ELj4ELj4294967295EEENS1_37radix_sort_block_sort_config_selectorIbNS0_10empty_typeEEEZNS1_21radix_sort_block_sortIS4_Lb0EPKbPbPS6_SC_NS0_19identity_decomposerEEE10hipError_tT1_T2_T3_T4_jRjT5_jjP12ihipStream_tbEUlT_E_NS1_11comp_targetILNS1_3genE10ELNS1_11target_archE1201ELNS1_3gpuE5ELNS1_3repE0EEENS1_44radix_sort_block_sort_config_static_selectorELNS0_4arch9wavefront6targetE0EEEvSF_
	.globl	_ZN7rocprim17ROCPRIM_400000_NS6detail17trampoline_kernelINS0_13kernel_configILj256ELj4ELj4294967295EEENS1_37radix_sort_block_sort_config_selectorIbNS0_10empty_typeEEEZNS1_21radix_sort_block_sortIS4_Lb0EPKbPbPS6_SC_NS0_19identity_decomposerEEE10hipError_tT1_T2_T3_T4_jRjT5_jjP12ihipStream_tbEUlT_E_NS1_11comp_targetILNS1_3genE10ELNS1_11target_archE1201ELNS1_3gpuE5ELNS1_3repE0EEENS1_44radix_sort_block_sort_config_static_selectorELNS0_4arch9wavefront6targetE0EEEvSF_
	.p2align	8
	.type	_ZN7rocprim17ROCPRIM_400000_NS6detail17trampoline_kernelINS0_13kernel_configILj256ELj4ELj4294967295EEENS1_37radix_sort_block_sort_config_selectorIbNS0_10empty_typeEEEZNS1_21radix_sort_block_sortIS4_Lb0EPKbPbPS6_SC_NS0_19identity_decomposerEEE10hipError_tT1_T2_T3_T4_jRjT5_jjP12ihipStream_tbEUlT_E_NS1_11comp_targetILNS1_3genE10ELNS1_11target_archE1201ELNS1_3gpuE5ELNS1_3repE0EEENS1_44radix_sort_block_sort_config_static_selectorELNS0_4arch9wavefront6targetE0EEEvSF_,@function
_ZN7rocprim17ROCPRIM_400000_NS6detail17trampoline_kernelINS0_13kernel_configILj256ELj4ELj4294967295EEENS1_37radix_sort_block_sort_config_selectorIbNS0_10empty_typeEEEZNS1_21radix_sort_block_sortIS4_Lb0EPKbPbPS6_SC_NS0_19identity_decomposerEEE10hipError_tT1_T2_T3_T4_jRjT5_jjP12ihipStream_tbEUlT_E_NS1_11comp_targetILNS1_3genE10ELNS1_11target_archE1201ELNS1_3gpuE5ELNS1_3repE0EEENS1_44radix_sort_block_sort_config_static_selectorELNS0_4arch9wavefront6targetE0EEEvSF_: ; @_ZN7rocprim17ROCPRIM_400000_NS6detail17trampoline_kernelINS0_13kernel_configILj256ELj4ELj4294967295EEENS1_37radix_sort_block_sort_config_selectorIbNS0_10empty_typeEEEZNS1_21radix_sort_block_sortIS4_Lb0EPKbPbPS6_SC_NS0_19identity_decomposerEEE10hipError_tT1_T2_T3_T4_jRjT5_jjP12ihipStream_tbEUlT_E_NS1_11comp_targetILNS1_3genE10ELNS1_11target_archE1201ELNS1_3gpuE5ELNS1_3repE0EEENS1_44radix_sort_block_sort_config_static_selectorELNS0_4arch9wavefront6targetE0EEEvSF_
; %bb.0:
	.section	.rodata,"a",@progbits
	.p2align	6, 0x0
	.amdhsa_kernel _ZN7rocprim17ROCPRIM_400000_NS6detail17trampoline_kernelINS0_13kernel_configILj256ELj4ELj4294967295EEENS1_37radix_sort_block_sort_config_selectorIbNS0_10empty_typeEEEZNS1_21radix_sort_block_sortIS4_Lb0EPKbPbPS6_SC_NS0_19identity_decomposerEEE10hipError_tT1_T2_T3_T4_jRjT5_jjP12ihipStream_tbEUlT_E_NS1_11comp_targetILNS1_3genE10ELNS1_11target_archE1201ELNS1_3gpuE5ELNS1_3repE0EEENS1_44radix_sort_block_sort_config_static_selectorELNS0_4arch9wavefront6targetE0EEEvSF_
		.amdhsa_group_segment_fixed_size 0
		.amdhsa_private_segment_fixed_size 0
		.amdhsa_kernarg_size 48
		.amdhsa_user_sgpr_count 2
		.amdhsa_user_sgpr_dispatch_ptr 0
		.amdhsa_user_sgpr_queue_ptr 0
		.amdhsa_user_sgpr_kernarg_segment_ptr 1
		.amdhsa_user_sgpr_dispatch_id 0
		.amdhsa_user_sgpr_kernarg_preload_length 0
		.amdhsa_user_sgpr_kernarg_preload_offset 0
		.amdhsa_user_sgpr_private_segment_size 0
		.amdhsa_wavefront_size32 1
		.amdhsa_uses_dynamic_stack 0
		.amdhsa_enable_private_segment 0
		.amdhsa_system_sgpr_workgroup_id_x 1
		.amdhsa_system_sgpr_workgroup_id_y 0
		.amdhsa_system_sgpr_workgroup_id_z 0
		.amdhsa_system_sgpr_workgroup_info 0
		.amdhsa_system_vgpr_workitem_id 0
		.amdhsa_next_free_vgpr 1
		.amdhsa_next_free_sgpr 1
		.amdhsa_named_barrier_count 0
		.amdhsa_reserve_vcc 0
		.amdhsa_float_round_mode_32 0
		.amdhsa_float_round_mode_16_64 0
		.amdhsa_float_denorm_mode_32 3
		.amdhsa_float_denorm_mode_16_64 3
		.amdhsa_fp16_overflow 0
		.amdhsa_memory_ordered 1
		.amdhsa_forward_progress 1
		.amdhsa_inst_pref_size 0
		.amdhsa_round_robin_scheduling 0
		.amdhsa_exception_fp_ieee_invalid_op 0
		.amdhsa_exception_fp_denorm_src 0
		.amdhsa_exception_fp_ieee_div_zero 0
		.amdhsa_exception_fp_ieee_overflow 0
		.amdhsa_exception_fp_ieee_underflow 0
		.amdhsa_exception_fp_ieee_inexact 0
		.amdhsa_exception_int_div_zero 0
	.end_amdhsa_kernel
	.section	.text._ZN7rocprim17ROCPRIM_400000_NS6detail17trampoline_kernelINS0_13kernel_configILj256ELj4ELj4294967295EEENS1_37radix_sort_block_sort_config_selectorIbNS0_10empty_typeEEEZNS1_21radix_sort_block_sortIS4_Lb0EPKbPbPS6_SC_NS0_19identity_decomposerEEE10hipError_tT1_T2_T3_T4_jRjT5_jjP12ihipStream_tbEUlT_E_NS1_11comp_targetILNS1_3genE10ELNS1_11target_archE1201ELNS1_3gpuE5ELNS1_3repE0EEENS1_44radix_sort_block_sort_config_static_selectorELNS0_4arch9wavefront6targetE0EEEvSF_,"axG",@progbits,_ZN7rocprim17ROCPRIM_400000_NS6detail17trampoline_kernelINS0_13kernel_configILj256ELj4ELj4294967295EEENS1_37radix_sort_block_sort_config_selectorIbNS0_10empty_typeEEEZNS1_21radix_sort_block_sortIS4_Lb0EPKbPbPS6_SC_NS0_19identity_decomposerEEE10hipError_tT1_T2_T3_T4_jRjT5_jjP12ihipStream_tbEUlT_E_NS1_11comp_targetILNS1_3genE10ELNS1_11target_archE1201ELNS1_3gpuE5ELNS1_3repE0EEENS1_44radix_sort_block_sort_config_static_selectorELNS0_4arch9wavefront6targetE0EEEvSF_,comdat
.Lfunc_end1782:
	.size	_ZN7rocprim17ROCPRIM_400000_NS6detail17trampoline_kernelINS0_13kernel_configILj256ELj4ELj4294967295EEENS1_37radix_sort_block_sort_config_selectorIbNS0_10empty_typeEEEZNS1_21radix_sort_block_sortIS4_Lb0EPKbPbPS6_SC_NS0_19identity_decomposerEEE10hipError_tT1_T2_T3_T4_jRjT5_jjP12ihipStream_tbEUlT_E_NS1_11comp_targetILNS1_3genE10ELNS1_11target_archE1201ELNS1_3gpuE5ELNS1_3repE0EEENS1_44radix_sort_block_sort_config_static_selectorELNS0_4arch9wavefront6targetE0EEEvSF_, .Lfunc_end1782-_ZN7rocprim17ROCPRIM_400000_NS6detail17trampoline_kernelINS0_13kernel_configILj256ELj4ELj4294967295EEENS1_37radix_sort_block_sort_config_selectorIbNS0_10empty_typeEEEZNS1_21radix_sort_block_sortIS4_Lb0EPKbPbPS6_SC_NS0_19identity_decomposerEEE10hipError_tT1_T2_T3_T4_jRjT5_jjP12ihipStream_tbEUlT_E_NS1_11comp_targetILNS1_3genE10ELNS1_11target_archE1201ELNS1_3gpuE5ELNS1_3repE0EEENS1_44radix_sort_block_sort_config_static_selectorELNS0_4arch9wavefront6targetE0EEEvSF_
                                        ; -- End function
	.set _ZN7rocprim17ROCPRIM_400000_NS6detail17trampoline_kernelINS0_13kernel_configILj256ELj4ELj4294967295EEENS1_37radix_sort_block_sort_config_selectorIbNS0_10empty_typeEEEZNS1_21radix_sort_block_sortIS4_Lb0EPKbPbPS6_SC_NS0_19identity_decomposerEEE10hipError_tT1_T2_T3_T4_jRjT5_jjP12ihipStream_tbEUlT_E_NS1_11comp_targetILNS1_3genE10ELNS1_11target_archE1201ELNS1_3gpuE5ELNS1_3repE0EEENS1_44radix_sort_block_sort_config_static_selectorELNS0_4arch9wavefront6targetE0EEEvSF_.num_vgpr, 0
	.set _ZN7rocprim17ROCPRIM_400000_NS6detail17trampoline_kernelINS0_13kernel_configILj256ELj4ELj4294967295EEENS1_37radix_sort_block_sort_config_selectorIbNS0_10empty_typeEEEZNS1_21radix_sort_block_sortIS4_Lb0EPKbPbPS6_SC_NS0_19identity_decomposerEEE10hipError_tT1_T2_T3_T4_jRjT5_jjP12ihipStream_tbEUlT_E_NS1_11comp_targetILNS1_3genE10ELNS1_11target_archE1201ELNS1_3gpuE5ELNS1_3repE0EEENS1_44radix_sort_block_sort_config_static_selectorELNS0_4arch9wavefront6targetE0EEEvSF_.num_agpr, 0
	.set _ZN7rocprim17ROCPRIM_400000_NS6detail17trampoline_kernelINS0_13kernel_configILj256ELj4ELj4294967295EEENS1_37radix_sort_block_sort_config_selectorIbNS0_10empty_typeEEEZNS1_21radix_sort_block_sortIS4_Lb0EPKbPbPS6_SC_NS0_19identity_decomposerEEE10hipError_tT1_T2_T3_T4_jRjT5_jjP12ihipStream_tbEUlT_E_NS1_11comp_targetILNS1_3genE10ELNS1_11target_archE1201ELNS1_3gpuE5ELNS1_3repE0EEENS1_44radix_sort_block_sort_config_static_selectorELNS0_4arch9wavefront6targetE0EEEvSF_.numbered_sgpr, 0
	.set _ZN7rocprim17ROCPRIM_400000_NS6detail17trampoline_kernelINS0_13kernel_configILj256ELj4ELj4294967295EEENS1_37radix_sort_block_sort_config_selectorIbNS0_10empty_typeEEEZNS1_21radix_sort_block_sortIS4_Lb0EPKbPbPS6_SC_NS0_19identity_decomposerEEE10hipError_tT1_T2_T3_T4_jRjT5_jjP12ihipStream_tbEUlT_E_NS1_11comp_targetILNS1_3genE10ELNS1_11target_archE1201ELNS1_3gpuE5ELNS1_3repE0EEENS1_44radix_sort_block_sort_config_static_selectorELNS0_4arch9wavefront6targetE0EEEvSF_.num_named_barrier, 0
	.set _ZN7rocprim17ROCPRIM_400000_NS6detail17trampoline_kernelINS0_13kernel_configILj256ELj4ELj4294967295EEENS1_37radix_sort_block_sort_config_selectorIbNS0_10empty_typeEEEZNS1_21radix_sort_block_sortIS4_Lb0EPKbPbPS6_SC_NS0_19identity_decomposerEEE10hipError_tT1_T2_T3_T4_jRjT5_jjP12ihipStream_tbEUlT_E_NS1_11comp_targetILNS1_3genE10ELNS1_11target_archE1201ELNS1_3gpuE5ELNS1_3repE0EEENS1_44radix_sort_block_sort_config_static_selectorELNS0_4arch9wavefront6targetE0EEEvSF_.private_seg_size, 0
	.set _ZN7rocprim17ROCPRIM_400000_NS6detail17trampoline_kernelINS0_13kernel_configILj256ELj4ELj4294967295EEENS1_37radix_sort_block_sort_config_selectorIbNS0_10empty_typeEEEZNS1_21radix_sort_block_sortIS4_Lb0EPKbPbPS6_SC_NS0_19identity_decomposerEEE10hipError_tT1_T2_T3_T4_jRjT5_jjP12ihipStream_tbEUlT_E_NS1_11comp_targetILNS1_3genE10ELNS1_11target_archE1201ELNS1_3gpuE5ELNS1_3repE0EEENS1_44radix_sort_block_sort_config_static_selectorELNS0_4arch9wavefront6targetE0EEEvSF_.uses_vcc, 0
	.set _ZN7rocprim17ROCPRIM_400000_NS6detail17trampoline_kernelINS0_13kernel_configILj256ELj4ELj4294967295EEENS1_37radix_sort_block_sort_config_selectorIbNS0_10empty_typeEEEZNS1_21radix_sort_block_sortIS4_Lb0EPKbPbPS6_SC_NS0_19identity_decomposerEEE10hipError_tT1_T2_T3_T4_jRjT5_jjP12ihipStream_tbEUlT_E_NS1_11comp_targetILNS1_3genE10ELNS1_11target_archE1201ELNS1_3gpuE5ELNS1_3repE0EEENS1_44radix_sort_block_sort_config_static_selectorELNS0_4arch9wavefront6targetE0EEEvSF_.uses_flat_scratch, 0
	.set _ZN7rocprim17ROCPRIM_400000_NS6detail17trampoline_kernelINS0_13kernel_configILj256ELj4ELj4294967295EEENS1_37radix_sort_block_sort_config_selectorIbNS0_10empty_typeEEEZNS1_21radix_sort_block_sortIS4_Lb0EPKbPbPS6_SC_NS0_19identity_decomposerEEE10hipError_tT1_T2_T3_T4_jRjT5_jjP12ihipStream_tbEUlT_E_NS1_11comp_targetILNS1_3genE10ELNS1_11target_archE1201ELNS1_3gpuE5ELNS1_3repE0EEENS1_44radix_sort_block_sort_config_static_selectorELNS0_4arch9wavefront6targetE0EEEvSF_.has_dyn_sized_stack, 0
	.set _ZN7rocprim17ROCPRIM_400000_NS6detail17trampoline_kernelINS0_13kernel_configILj256ELj4ELj4294967295EEENS1_37radix_sort_block_sort_config_selectorIbNS0_10empty_typeEEEZNS1_21radix_sort_block_sortIS4_Lb0EPKbPbPS6_SC_NS0_19identity_decomposerEEE10hipError_tT1_T2_T3_T4_jRjT5_jjP12ihipStream_tbEUlT_E_NS1_11comp_targetILNS1_3genE10ELNS1_11target_archE1201ELNS1_3gpuE5ELNS1_3repE0EEENS1_44radix_sort_block_sort_config_static_selectorELNS0_4arch9wavefront6targetE0EEEvSF_.has_recursion, 0
	.set _ZN7rocprim17ROCPRIM_400000_NS6detail17trampoline_kernelINS0_13kernel_configILj256ELj4ELj4294967295EEENS1_37radix_sort_block_sort_config_selectorIbNS0_10empty_typeEEEZNS1_21radix_sort_block_sortIS4_Lb0EPKbPbPS6_SC_NS0_19identity_decomposerEEE10hipError_tT1_T2_T3_T4_jRjT5_jjP12ihipStream_tbEUlT_E_NS1_11comp_targetILNS1_3genE10ELNS1_11target_archE1201ELNS1_3gpuE5ELNS1_3repE0EEENS1_44radix_sort_block_sort_config_static_selectorELNS0_4arch9wavefront6targetE0EEEvSF_.has_indirect_call, 0
	.section	.AMDGPU.csdata,"",@progbits
; Kernel info:
; codeLenInByte = 0
; TotalNumSgprs: 0
; NumVgprs: 0
; ScratchSize: 0
; MemoryBound: 0
; FloatMode: 240
; IeeeMode: 1
; LDSByteSize: 0 bytes/workgroup (compile time only)
; SGPRBlocks: 0
; VGPRBlocks: 0
; NumSGPRsForWavesPerEU: 1
; NumVGPRsForWavesPerEU: 1
; NamedBarCnt: 0
; Occupancy: 16
; WaveLimiterHint : 0
; COMPUTE_PGM_RSRC2:SCRATCH_EN: 0
; COMPUTE_PGM_RSRC2:USER_SGPR: 2
; COMPUTE_PGM_RSRC2:TRAP_HANDLER: 0
; COMPUTE_PGM_RSRC2:TGID_X_EN: 1
; COMPUTE_PGM_RSRC2:TGID_Y_EN: 0
; COMPUTE_PGM_RSRC2:TGID_Z_EN: 0
; COMPUTE_PGM_RSRC2:TIDIG_COMP_CNT: 0
	.section	.text._ZN7rocprim17ROCPRIM_400000_NS6detail17trampoline_kernelINS0_13kernel_configILj256ELj4ELj4294967295EEENS1_37radix_sort_block_sort_config_selectorIbNS0_10empty_typeEEEZNS1_21radix_sort_block_sortIS4_Lb0EPKbPbPS6_SC_NS0_19identity_decomposerEEE10hipError_tT1_T2_T3_T4_jRjT5_jjP12ihipStream_tbEUlT_E_NS1_11comp_targetILNS1_3genE10ELNS1_11target_archE1200ELNS1_3gpuE4ELNS1_3repE0EEENS1_44radix_sort_block_sort_config_static_selectorELNS0_4arch9wavefront6targetE0EEEvSF_,"axG",@progbits,_ZN7rocprim17ROCPRIM_400000_NS6detail17trampoline_kernelINS0_13kernel_configILj256ELj4ELj4294967295EEENS1_37radix_sort_block_sort_config_selectorIbNS0_10empty_typeEEEZNS1_21radix_sort_block_sortIS4_Lb0EPKbPbPS6_SC_NS0_19identity_decomposerEEE10hipError_tT1_T2_T3_T4_jRjT5_jjP12ihipStream_tbEUlT_E_NS1_11comp_targetILNS1_3genE10ELNS1_11target_archE1200ELNS1_3gpuE4ELNS1_3repE0EEENS1_44radix_sort_block_sort_config_static_selectorELNS0_4arch9wavefront6targetE0EEEvSF_,comdat
	.protected	_ZN7rocprim17ROCPRIM_400000_NS6detail17trampoline_kernelINS0_13kernel_configILj256ELj4ELj4294967295EEENS1_37radix_sort_block_sort_config_selectorIbNS0_10empty_typeEEEZNS1_21radix_sort_block_sortIS4_Lb0EPKbPbPS6_SC_NS0_19identity_decomposerEEE10hipError_tT1_T2_T3_T4_jRjT5_jjP12ihipStream_tbEUlT_E_NS1_11comp_targetILNS1_3genE10ELNS1_11target_archE1200ELNS1_3gpuE4ELNS1_3repE0EEENS1_44radix_sort_block_sort_config_static_selectorELNS0_4arch9wavefront6targetE0EEEvSF_ ; -- Begin function _ZN7rocprim17ROCPRIM_400000_NS6detail17trampoline_kernelINS0_13kernel_configILj256ELj4ELj4294967295EEENS1_37radix_sort_block_sort_config_selectorIbNS0_10empty_typeEEEZNS1_21radix_sort_block_sortIS4_Lb0EPKbPbPS6_SC_NS0_19identity_decomposerEEE10hipError_tT1_T2_T3_T4_jRjT5_jjP12ihipStream_tbEUlT_E_NS1_11comp_targetILNS1_3genE10ELNS1_11target_archE1200ELNS1_3gpuE4ELNS1_3repE0EEENS1_44radix_sort_block_sort_config_static_selectorELNS0_4arch9wavefront6targetE0EEEvSF_
	.globl	_ZN7rocprim17ROCPRIM_400000_NS6detail17trampoline_kernelINS0_13kernel_configILj256ELj4ELj4294967295EEENS1_37radix_sort_block_sort_config_selectorIbNS0_10empty_typeEEEZNS1_21radix_sort_block_sortIS4_Lb0EPKbPbPS6_SC_NS0_19identity_decomposerEEE10hipError_tT1_T2_T3_T4_jRjT5_jjP12ihipStream_tbEUlT_E_NS1_11comp_targetILNS1_3genE10ELNS1_11target_archE1200ELNS1_3gpuE4ELNS1_3repE0EEENS1_44radix_sort_block_sort_config_static_selectorELNS0_4arch9wavefront6targetE0EEEvSF_
	.p2align	8
	.type	_ZN7rocprim17ROCPRIM_400000_NS6detail17trampoline_kernelINS0_13kernel_configILj256ELj4ELj4294967295EEENS1_37radix_sort_block_sort_config_selectorIbNS0_10empty_typeEEEZNS1_21radix_sort_block_sortIS4_Lb0EPKbPbPS6_SC_NS0_19identity_decomposerEEE10hipError_tT1_T2_T3_T4_jRjT5_jjP12ihipStream_tbEUlT_E_NS1_11comp_targetILNS1_3genE10ELNS1_11target_archE1200ELNS1_3gpuE4ELNS1_3repE0EEENS1_44radix_sort_block_sort_config_static_selectorELNS0_4arch9wavefront6targetE0EEEvSF_,@function
_ZN7rocprim17ROCPRIM_400000_NS6detail17trampoline_kernelINS0_13kernel_configILj256ELj4ELj4294967295EEENS1_37radix_sort_block_sort_config_selectorIbNS0_10empty_typeEEEZNS1_21radix_sort_block_sortIS4_Lb0EPKbPbPS6_SC_NS0_19identity_decomposerEEE10hipError_tT1_T2_T3_T4_jRjT5_jjP12ihipStream_tbEUlT_E_NS1_11comp_targetILNS1_3genE10ELNS1_11target_archE1200ELNS1_3gpuE4ELNS1_3repE0EEENS1_44radix_sort_block_sort_config_static_selectorELNS0_4arch9wavefront6targetE0EEEvSF_: ; @_ZN7rocprim17ROCPRIM_400000_NS6detail17trampoline_kernelINS0_13kernel_configILj256ELj4ELj4294967295EEENS1_37radix_sort_block_sort_config_selectorIbNS0_10empty_typeEEEZNS1_21radix_sort_block_sortIS4_Lb0EPKbPbPS6_SC_NS0_19identity_decomposerEEE10hipError_tT1_T2_T3_T4_jRjT5_jjP12ihipStream_tbEUlT_E_NS1_11comp_targetILNS1_3genE10ELNS1_11target_archE1200ELNS1_3gpuE4ELNS1_3repE0EEENS1_44radix_sort_block_sort_config_static_selectorELNS0_4arch9wavefront6targetE0EEEvSF_
; %bb.0:
	.section	.rodata,"a",@progbits
	.p2align	6, 0x0
	.amdhsa_kernel _ZN7rocprim17ROCPRIM_400000_NS6detail17trampoline_kernelINS0_13kernel_configILj256ELj4ELj4294967295EEENS1_37radix_sort_block_sort_config_selectorIbNS0_10empty_typeEEEZNS1_21radix_sort_block_sortIS4_Lb0EPKbPbPS6_SC_NS0_19identity_decomposerEEE10hipError_tT1_T2_T3_T4_jRjT5_jjP12ihipStream_tbEUlT_E_NS1_11comp_targetILNS1_3genE10ELNS1_11target_archE1200ELNS1_3gpuE4ELNS1_3repE0EEENS1_44radix_sort_block_sort_config_static_selectorELNS0_4arch9wavefront6targetE0EEEvSF_
		.amdhsa_group_segment_fixed_size 0
		.amdhsa_private_segment_fixed_size 0
		.amdhsa_kernarg_size 48
		.amdhsa_user_sgpr_count 2
		.amdhsa_user_sgpr_dispatch_ptr 0
		.amdhsa_user_sgpr_queue_ptr 0
		.amdhsa_user_sgpr_kernarg_segment_ptr 1
		.amdhsa_user_sgpr_dispatch_id 0
		.amdhsa_user_sgpr_kernarg_preload_length 0
		.amdhsa_user_sgpr_kernarg_preload_offset 0
		.amdhsa_user_sgpr_private_segment_size 0
		.amdhsa_wavefront_size32 1
		.amdhsa_uses_dynamic_stack 0
		.amdhsa_enable_private_segment 0
		.amdhsa_system_sgpr_workgroup_id_x 1
		.amdhsa_system_sgpr_workgroup_id_y 0
		.amdhsa_system_sgpr_workgroup_id_z 0
		.amdhsa_system_sgpr_workgroup_info 0
		.amdhsa_system_vgpr_workitem_id 0
		.amdhsa_next_free_vgpr 1
		.amdhsa_next_free_sgpr 1
		.amdhsa_named_barrier_count 0
		.amdhsa_reserve_vcc 0
		.amdhsa_float_round_mode_32 0
		.amdhsa_float_round_mode_16_64 0
		.amdhsa_float_denorm_mode_32 3
		.amdhsa_float_denorm_mode_16_64 3
		.amdhsa_fp16_overflow 0
		.amdhsa_memory_ordered 1
		.amdhsa_forward_progress 1
		.amdhsa_inst_pref_size 0
		.amdhsa_round_robin_scheduling 0
		.amdhsa_exception_fp_ieee_invalid_op 0
		.amdhsa_exception_fp_denorm_src 0
		.amdhsa_exception_fp_ieee_div_zero 0
		.amdhsa_exception_fp_ieee_overflow 0
		.amdhsa_exception_fp_ieee_underflow 0
		.amdhsa_exception_fp_ieee_inexact 0
		.amdhsa_exception_int_div_zero 0
	.end_amdhsa_kernel
	.section	.text._ZN7rocprim17ROCPRIM_400000_NS6detail17trampoline_kernelINS0_13kernel_configILj256ELj4ELj4294967295EEENS1_37radix_sort_block_sort_config_selectorIbNS0_10empty_typeEEEZNS1_21radix_sort_block_sortIS4_Lb0EPKbPbPS6_SC_NS0_19identity_decomposerEEE10hipError_tT1_T2_T3_T4_jRjT5_jjP12ihipStream_tbEUlT_E_NS1_11comp_targetILNS1_3genE10ELNS1_11target_archE1200ELNS1_3gpuE4ELNS1_3repE0EEENS1_44radix_sort_block_sort_config_static_selectorELNS0_4arch9wavefront6targetE0EEEvSF_,"axG",@progbits,_ZN7rocprim17ROCPRIM_400000_NS6detail17trampoline_kernelINS0_13kernel_configILj256ELj4ELj4294967295EEENS1_37radix_sort_block_sort_config_selectorIbNS0_10empty_typeEEEZNS1_21radix_sort_block_sortIS4_Lb0EPKbPbPS6_SC_NS0_19identity_decomposerEEE10hipError_tT1_T2_T3_T4_jRjT5_jjP12ihipStream_tbEUlT_E_NS1_11comp_targetILNS1_3genE10ELNS1_11target_archE1200ELNS1_3gpuE4ELNS1_3repE0EEENS1_44radix_sort_block_sort_config_static_selectorELNS0_4arch9wavefront6targetE0EEEvSF_,comdat
.Lfunc_end1783:
	.size	_ZN7rocprim17ROCPRIM_400000_NS6detail17trampoline_kernelINS0_13kernel_configILj256ELj4ELj4294967295EEENS1_37radix_sort_block_sort_config_selectorIbNS0_10empty_typeEEEZNS1_21radix_sort_block_sortIS4_Lb0EPKbPbPS6_SC_NS0_19identity_decomposerEEE10hipError_tT1_T2_T3_T4_jRjT5_jjP12ihipStream_tbEUlT_E_NS1_11comp_targetILNS1_3genE10ELNS1_11target_archE1200ELNS1_3gpuE4ELNS1_3repE0EEENS1_44radix_sort_block_sort_config_static_selectorELNS0_4arch9wavefront6targetE0EEEvSF_, .Lfunc_end1783-_ZN7rocprim17ROCPRIM_400000_NS6detail17trampoline_kernelINS0_13kernel_configILj256ELj4ELj4294967295EEENS1_37radix_sort_block_sort_config_selectorIbNS0_10empty_typeEEEZNS1_21radix_sort_block_sortIS4_Lb0EPKbPbPS6_SC_NS0_19identity_decomposerEEE10hipError_tT1_T2_T3_T4_jRjT5_jjP12ihipStream_tbEUlT_E_NS1_11comp_targetILNS1_3genE10ELNS1_11target_archE1200ELNS1_3gpuE4ELNS1_3repE0EEENS1_44radix_sort_block_sort_config_static_selectorELNS0_4arch9wavefront6targetE0EEEvSF_
                                        ; -- End function
	.set _ZN7rocprim17ROCPRIM_400000_NS6detail17trampoline_kernelINS0_13kernel_configILj256ELj4ELj4294967295EEENS1_37radix_sort_block_sort_config_selectorIbNS0_10empty_typeEEEZNS1_21radix_sort_block_sortIS4_Lb0EPKbPbPS6_SC_NS0_19identity_decomposerEEE10hipError_tT1_T2_T3_T4_jRjT5_jjP12ihipStream_tbEUlT_E_NS1_11comp_targetILNS1_3genE10ELNS1_11target_archE1200ELNS1_3gpuE4ELNS1_3repE0EEENS1_44radix_sort_block_sort_config_static_selectorELNS0_4arch9wavefront6targetE0EEEvSF_.num_vgpr, 0
	.set _ZN7rocprim17ROCPRIM_400000_NS6detail17trampoline_kernelINS0_13kernel_configILj256ELj4ELj4294967295EEENS1_37radix_sort_block_sort_config_selectorIbNS0_10empty_typeEEEZNS1_21radix_sort_block_sortIS4_Lb0EPKbPbPS6_SC_NS0_19identity_decomposerEEE10hipError_tT1_T2_T3_T4_jRjT5_jjP12ihipStream_tbEUlT_E_NS1_11comp_targetILNS1_3genE10ELNS1_11target_archE1200ELNS1_3gpuE4ELNS1_3repE0EEENS1_44radix_sort_block_sort_config_static_selectorELNS0_4arch9wavefront6targetE0EEEvSF_.num_agpr, 0
	.set _ZN7rocprim17ROCPRIM_400000_NS6detail17trampoline_kernelINS0_13kernel_configILj256ELj4ELj4294967295EEENS1_37radix_sort_block_sort_config_selectorIbNS0_10empty_typeEEEZNS1_21radix_sort_block_sortIS4_Lb0EPKbPbPS6_SC_NS0_19identity_decomposerEEE10hipError_tT1_T2_T3_T4_jRjT5_jjP12ihipStream_tbEUlT_E_NS1_11comp_targetILNS1_3genE10ELNS1_11target_archE1200ELNS1_3gpuE4ELNS1_3repE0EEENS1_44radix_sort_block_sort_config_static_selectorELNS0_4arch9wavefront6targetE0EEEvSF_.numbered_sgpr, 0
	.set _ZN7rocprim17ROCPRIM_400000_NS6detail17trampoline_kernelINS0_13kernel_configILj256ELj4ELj4294967295EEENS1_37radix_sort_block_sort_config_selectorIbNS0_10empty_typeEEEZNS1_21radix_sort_block_sortIS4_Lb0EPKbPbPS6_SC_NS0_19identity_decomposerEEE10hipError_tT1_T2_T3_T4_jRjT5_jjP12ihipStream_tbEUlT_E_NS1_11comp_targetILNS1_3genE10ELNS1_11target_archE1200ELNS1_3gpuE4ELNS1_3repE0EEENS1_44radix_sort_block_sort_config_static_selectorELNS0_4arch9wavefront6targetE0EEEvSF_.num_named_barrier, 0
	.set _ZN7rocprim17ROCPRIM_400000_NS6detail17trampoline_kernelINS0_13kernel_configILj256ELj4ELj4294967295EEENS1_37radix_sort_block_sort_config_selectorIbNS0_10empty_typeEEEZNS1_21radix_sort_block_sortIS4_Lb0EPKbPbPS6_SC_NS0_19identity_decomposerEEE10hipError_tT1_T2_T3_T4_jRjT5_jjP12ihipStream_tbEUlT_E_NS1_11comp_targetILNS1_3genE10ELNS1_11target_archE1200ELNS1_3gpuE4ELNS1_3repE0EEENS1_44radix_sort_block_sort_config_static_selectorELNS0_4arch9wavefront6targetE0EEEvSF_.private_seg_size, 0
	.set _ZN7rocprim17ROCPRIM_400000_NS6detail17trampoline_kernelINS0_13kernel_configILj256ELj4ELj4294967295EEENS1_37radix_sort_block_sort_config_selectorIbNS0_10empty_typeEEEZNS1_21radix_sort_block_sortIS4_Lb0EPKbPbPS6_SC_NS0_19identity_decomposerEEE10hipError_tT1_T2_T3_T4_jRjT5_jjP12ihipStream_tbEUlT_E_NS1_11comp_targetILNS1_3genE10ELNS1_11target_archE1200ELNS1_3gpuE4ELNS1_3repE0EEENS1_44radix_sort_block_sort_config_static_selectorELNS0_4arch9wavefront6targetE0EEEvSF_.uses_vcc, 0
	.set _ZN7rocprim17ROCPRIM_400000_NS6detail17trampoline_kernelINS0_13kernel_configILj256ELj4ELj4294967295EEENS1_37radix_sort_block_sort_config_selectorIbNS0_10empty_typeEEEZNS1_21radix_sort_block_sortIS4_Lb0EPKbPbPS6_SC_NS0_19identity_decomposerEEE10hipError_tT1_T2_T3_T4_jRjT5_jjP12ihipStream_tbEUlT_E_NS1_11comp_targetILNS1_3genE10ELNS1_11target_archE1200ELNS1_3gpuE4ELNS1_3repE0EEENS1_44radix_sort_block_sort_config_static_selectorELNS0_4arch9wavefront6targetE0EEEvSF_.uses_flat_scratch, 0
	.set _ZN7rocprim17ROCPRIM_400000_NS6detail17trampoline_kernelINS0_13kernel_configILj256ELj4ELj4294967295EEENS1_37radix_sort_block_sort_config_selectorIbNS0_10empty_typeEEEZNS1_21radix_sort_block_sortIS4_Lb0EPKbPbPS6_SC_NS0_19identity_decomposerEEE10hipError_tT1_T2_T3_T4_jRjT5_jjP12ihipStream_tbEUlT_E_NS1_11comp_targetILNS1_3genE10ELNS1_11target_archE1200ELNS1_3gpuE4ELNS1_3repE0EEENS1_44radix_sort_block_sort_config_static_selectorELNS0_4arch9wavefront6targetE0EEEvSF_.has_dyn_sized_stack, 0
	.set _ZN7rocprim17ROCPRIM_400000_NS6detail17trampoline_kernelINS0_13kernel_configILj256ELj4ELj4294967295EEENS1_37radix_sort_block_sort_config_selectorIbNS0_10empty_typeEEEZNS1_21radix_sort_block_sortIS4_Lb0EPKbPbPS6_SC_NS0_19identity_decomposerEEE10hipError_tT1_T2_T3_T4_jRjT5_jjP12ihipStream_tbEUlT_E_NS1_11comp_targetILNS1_3genE10ELNS1_11target_archE1200ELNS1_3gpuE4ELNS1_3repE0EEENS1_44radix_sort_block_sort_config_static_selectorELNS0_4arch9wavefront6targetE0EEEvSF_.has_recursion, 0
	.set _ZN7rocprim17ROCPRIM_400000_NS6detail17trampoline_kernelINS0_13kernel_configILj256ELj4ELj4294967295EEENS1_37radix_sort_block_sort_config_selectorIbNS0_10empty_typeEEEZNS1_21radix_sort_block_sortIS4_Lb0EPKbPbPS6_SC_NS0_19identity_decomposerEEE10hipError_tT1_T2_T3_T4_jRjT5_jjP12ihipStream_tbEUlT_E_NS1_11comp_targetILNS1_3genE10ELNS1_11target_archE1200ELNS1_3gpuE4ELNS1_3repE0EEENS1_44radix_sort_block_sort_config_static_selectorELNS0_4arch9wavefront6targetE0EEEvSF_.has_indirect_call, 0
	.section	.AMDGPU.csdata,"",@progbits
; Kernel info:
; codeLenInByte = 0
; TotalNumSgprs: 0
; NumVgprs: 0
; ScratchSize: 0
; MemoryBound: 0
; FloatMode: 240
; IeeeMode: 1
; LDSByteSize: 0 bytes/workgroup (compile time only)
; SGPRBlocks: 0
; VGPRBlocks: 0
; NumSGPRsForWavesPerEU: 1
; NumVGPRsForWavesPerEU: 1
; NamedBarCnt: 0
; Occupancy: 16
; WaveLimiterHint : 0
; COMPUTE_PGM_RSRC2:SCRATCH_EN: 0
; COMPUTE_PGM_RSRC2:USER_SGPR: 2
; COMPUTE_PGM_RSRC2:TRAP_HANDLER: 0
; COMPUTE_PGM_RSRC2:TGID_X_EN: 1
; COMPUTE_PGM_RSRC2:TGID_Y_EN: 0
; COMPUTE_PGM_RSRC2:TGID_Z_EN: 0
; COMPUTE_PGM_RSRC2:TIDIG_COMP_CNT: 0
	.section	.text._ZN7rocprim17ROCPRIM_400000_NS6detail17trampoline_kernelINS0_13kernel_configILj256ELj4ELj4294967295EEENS1_37radix_sort_block_sort_config_selectorIbNS0_10empty_typeEEEZNS1_21radix_sort_block_sortIS4_Lb0EPKbPbPS6_SC_NS0_19identity_decomposerEEE10hipError_tT1_T2_T3_T4_jRjT5_jjP12ihipStream_tbEUlT_E_NS1_11comp_targetILNS1_3genE9ELNS1_11target_archE1100ELNS1_3gpuE3ELNS1_3repE0EEENS1_44radix_sort_block_sort_config_static_selectorELNS0_4arch9wavefront6targetE0EEEvSF_,"axG",@progbits,_ZN7rocprim17ROCPRIM_400000_NS6detail17trampoline_kernelINS0_13kernel_configILj256ELj4ELj4294967295EEENS1_37radix_sort_block_sort_config_selectorIbNS0_10empty_typeEEEZNS1_21radix_sort_block_sortIS4_Lb0EPKbPbPS6_SC_NS0_19identity_decomposerEEE10hipError_tT1_T2_T3_T4_jRjT5_jjP12ihipStream_tbEUlT_E_NS1_11comp_targetILNS1_3genE9ELNS1_11target_archE1100ELNS1_3gpuE3ELNS1_3repE0EEENS1_44radix_sort_block_sort_config_static_selectorELNS0_4arch9wavefront6targetE0EEEvSF_,comdat
	.protected	_ZN7rocprim17ROCPRIM_400000_NS6detail17trampoline_kernelINS0_13kernel_configILj256ELj4ELj4294967295EEENS1_37radix_sort_block_sort_config_selectorIbNS0_10empty_typeEEEZNS1_21radix_sort_block_sortIS4_Lb0EPKbPbPS6_SC_NS0_19identity_decomposerEEE10hipError_tT1_T2_T3_T4_jRjT5_jjP12ihipStream_tbEUlT_E_NS1_11comp_targetILNS1_3genE9ELNS1_11target_archE1100ELNS1_3gpuE3ELNS1_3repE0EEENS1_44radix_sort_block_sort_config_static_selectorELNS0_4arch9wavefront6targetE0EEEvSF_ ; -- Begin function _ZN7rocprim17ROCPRIM_400000_NS6detail17trampoline_kernelINS0_13kernel_configILj256ELj4ELj4294967295EEENS1_37radix_sort_block_sort_config_selectorIbNS0_10empty_typeEEEZNS1_21radix_sort_block_sortIS4_Lb0EPKbPbPS6_SC_NS0_19identity_decomposerEEE10hipError_tT1_T2_T3_T4_jRjT5_jjP12ihipStream_tbEUlT_E_NS1_11comp_targetILNS1_3genE9ELNS1_11target_archE1100ELNS1_3gpuE3ELNS1_3repE0EEENS1_44radix_sort_block_sort_config_static_selectorELNS0_4arch9wavefront6targetE0EEEvSF_
	.globl	_ZN7rocprim17ROCPRIM_400000_NS6detail17trampoline_kernelINS0_13kernel_configILj256ELj4ELj4294967295EEENS1_37radix_sort_block_sort_config_selectorIbNS0_10empty_typeEEEZNS1_21radix_sort_block_sortIS4_Lb0EPKbPbPS6_SC_NS0_19identity_decomposerEEE10hipError_tT1_T2_T3_T4_jRjT5_jjP12ihipStream_tbEUlT_E_NS1_11comp_targetILNS1_3genE9ELNS1_11target_archE1100ELNS1_3gpuE3ELNS1_3repE0EEENS1_44radix_sort_block_sort_config_static_selectorELNS0_4arch9wavefront6targetE0EEEvSF_
	.p2align	8
	.type	_ZN7rocprim17ROCPRIM_400000_NS6detail17trampoline_kernelINS0_13kernel_configILj256ELj4ELj4294967295EEENS1_37radix_sort_block_sort_config_selectorIbNS0_10empty_typeEEEZNS1_21radix_sort_block_sortIS4_Lb0EPKbPbPS6_SC_NS0_19identity_decomposerEEE10hipError_tT1_T2_T3_T4_jRjT5_jjP12ihipStream_tbEUlT_E_NS1_11comp_targetILNS1_3genE9ELNS1_11target_archE1100ELNS1_3gpuE3ELNS1_3repE0EEENS1_44radix_sort_block_sort_config_static_selectorELNS0_4arch9wavefront6targetE0EEEvSF_,@function
_ZN7rocprim17ROCPRIM_400000_NS6detail17trampoline_kernelINS0_13kernel_configILj256ELj4ELj4294967295EEENS1_37radix_sort_block_sort_config_selectorIbNS0_10empty_typeEEEZNS1_21radix_sort_block_sortIS4_Lb0EPKbPbPS6_SC_NS0_19identity_decomposerEEE10hipError_tT1_T2_T3_T4_jRjT5_jjP12ihipStream_tbEUlT_E_NS1_11comp_targetILNS1_3genE9ELNS1_11target_archE1100ELNS1_3gpuE3ELNS1_3repE0EEENS1_44radix_sort_block_sort_config_static_selectorELNS0_4arch9wavefront6targetE0EEEvSF_: ; @_ZN7rocprim17ROCPRIM_400000_NS6detail17trampoline_kernelINS0_13kernel_configILj256ELj4ELj4294967295EEENS1_37radix_sort_block_sort_config_selectorIbNS0_10empty_typeEEEZNS1_21radix_sort_block_sortIS4_Lb0EPKbPbPS6_SC_NS0_19identity_decomposerEEE10hipError_tT1_T2_T3_T4_jRjT5_jjP12ihipStream_tbEUlT_E_NS1_11comp_targetILNS1_3genE9ELNS1_11target_archE1100ELNS1_3gpuE3ELNS1_3repE0EEENS1_44radix_sort_block_sort_config_static_selectorELNS0_4arch9wavefront6targetE0EEEvSF_
; %bb.0:
	.section	.rodata,"a",@progbits
	.p2align	6, 0x0
	.amdhsa_kernel _ZN7rocprim17ROCPRIM_400000_NS6detail17trampoline_kernelINS0_13kernel_configILj256ELj4ELj4294967295EEENS1_37radix_sort_block_sort_config_selectorIbNS0_10empty_typeEEEZNS1_21radix_sort_block_sortIS4_Lb0EPKbPbPS6_SC_NS0_19identity_decomposerEEE10hipError_tT1_T2_T3_T4_jRjT5_jjP12ihipStream_tbEUlT_E_NS1_11comp_targetILNS1_3genE9ELNS1_11target_archE1100ELNS1_3gpuE3ELNS1_3repE0EEENS1_44radix_sort_block_sort_config_static_selectorELNS0_4arch9wavefront6targetE0EEEvSF_
		.amdhsa_group_segment_fixed_size 0
		.amdhsa_private_segment_fixed_size 0
		.amdhsa_kernarg_size 48
		.amdhsa_user_sgpr_count 2
		.amdhsa_user_sgpr_dispatch_ptr 0
		.amdhsa_user_sgpr_queue_ptr 0
		.amdhsa_user_sgpr_kernarg_segment_ptr 1
		.amdhsa_user_sgpr_dispatch_id 0
		.amdhsa_user_sgpr_kernarg_preload_length 0
		.amdhsa_user_sgpr_kernarg_preload_offset 0
		.amdhsa_user_sgpr_private_segment_size 0
		.amdhsa_wavefront_size32 1
		.amdhsa_uses_dynamic_stack 0
		.amdhsa_enable_private_segment 0
		.amdhsa_system_sgpr_workgroup_id_x 1
		.amdhsa_system_sgpr_workgroup_id_y 0
		.amdhsa_system_sgpr_workgroup_id_z 0
		.amdhsa_system_sgpr_workgroup_info 0
		.amdhsa_system_vgpr_workitem_id 0
		.amdhsa_next_free_vgpr 1
		.amdhsa_next_free_sgpr 1
		.amdhsa_named_barrier_count 0
		.amdhsa_reserve_vcc 0
		.amdhsa_float_round_mode_32 0
		.amdhsa_float_round_mode_16_64 0
		.amdhsa_float_denorm_mode_32 3
		.amdhsa_float_denorm_mode_16_64 3
		.amdhsa_fp16_overflow 0
		.amdhsa_memory_ordered 1
		.amdhsa_forward_progress 1
		.amdhsa_inst_pref_size 0
		.amdhsa_round_robin_scheduling 0
		.amdhsa_exception_fp_ieee_invalid_op 0
		.amdhsa_exception_fp_denorm_src 0
		.amdhsa_exception_fp_ieee_div_zero 0
		.amdhsa_exception_fp_ieee_overflow 0
		.amdhsa_exception_fp_ieee_underflow 0
		.amdhsa_exception_fp_ieee_inexact 0
		.amdhsa_exception_int_div_zero 0
	.end_amdhsa_kernel
	.section	.text._ZN7rocprim17ROCPRIM_400000_NS6detail17trampoline_kernelINS0_13kernel_configILj256ELj4ELj4294967295EEENS1_37radix_sort_block_sort_config_selectorIbNS0_10empty_typeEEEZNS1_21radix_sort_block_sortIS4_Lb0EPKbPbPS6_SC_NS0_19identity_decomposerEEE10hipError_tT1_T2_T3_T4_jRjT5_jjP12ihipStream_tbEUlT_E_NS1_11comp_targetILNS1_3genE9ELNS1_11target_archE1100ELNS1_3gpuE3ELNS1_3repE0EEENS1_44radix_sort_block_sort_config_static_selectorELNS0_4arch9wavefront6targetE0EEEvSF_,"axG",@progbits,_ZN7rocprim17ROCPRIM_400000_NS6detail17trampoline_kernelINS0_13kernel_configILj256ELj4ELj4294967295EEENS1_37radix_sort_block_sort_config_selectorIbNS0_10empty_typeEEEZNS1_21radix_sort_block_sortIS4_Lb0EPKbPbPS6_SC_NS0_19identity_decomposerEEE10hipError_tT1_T2_T3_T4_jRjT5_jjP12ihipStream_tbEUlT_E_NS1_11comp_targetILNS1_3genE9ELNS1_11target_archE1100ELNS1_3gpuE3ELNS1_3repE0EEENS1_44radix_sort_block_sort_config_static_selectorELNS0_4arch9wavefront6targetE0EEEvSF_,comdat
.Lfunc_end1784:
	.size	_ZN7rocprim17ROCPRIM_400000_NS6detail17trampoline_kernelINS0_13kernel_configILj256ELj4ELj4294967295EEENS1_37radix_sort_block_sort_config_selectorIbNS0_10empty_typeEEEZNS1_21radix_sort_block_sortIS4_Lb0EPKbPbPS6_SC_NS0_19identity_decomposerEEE10hipError_tT1_T2_T3_T4_jRjT5_jjP12ihipStream_tbEUlT_E_NS1_11comp_targetILNS1_3genE9ELNS1_11target_archE1100ELNS1_3gpuE3ELNS1_3repE0EEENS1_44radix_sort_block_sort_config_static_selectorELNS0_4arch9wavefront6targetE0EEEvSF_, .Lfunc_end1784-_ZN7rocprim17ROCPRIM_400000_NS6detail17trampoline_kernelINS0_13kernel_configILj256ELj4ELj4294967295EEENS1_37radix_sort_block_sort_config_selectorIbNS0_10empty_typeEEEZNS1_21radix_sort_block_sortIS4_Lb0EPKbPbPS6_SC_NS0_19identity_decomposerEEE10hipError_tT1_T2_T3_T4_jRjT5_jjP12ihipStream_tbEUlT_E_NS1_11comp_targetILNS1_3genE9ELNS1_11target_archE1100ELNS1_3gpuE3ELNS1_3repE0EEENS1_44radix_sort_block_sort_config_static_selectorELNS0_4arch9wavefront6targetE0EEEvSF_
                                        ; -- End function
	.set _ZN7rocprim17ROCPRIM_400000_NS6detail17trampoline_kernelINS0_13kernel_configILj256ELj4ELj4294967295EEENS1_37radix_sort_block_sort_config_selectorIbNS0_10empty_typeEEEZNS1_21radix_sort_block_sortIS4_Lb0EPKbPbPS6_SC_NS0_19identity_decomposerEEE10hipError_tT1_T2_T3_T4_jRjT5_jjP12ihipStream_tbEUlT_E_NS1_11comp_targetILNS1_3genE9ELNS1_11target_archE1100ELNS1_3gpuE3ELNS1_3repE0EEENS1_44radix_sort_block_sort_config_static_selectorELNS0_4arch9wavefront6targetE0EEEvSF_.num_vgpr, 0
	.set _ZN7rocprim17ROCPRIM_400000_NS6detail17trampoline_kernelINS0_13kernel_configILj256ELj4ELj4294967295EEENS1_37radix_sort_block_sort_config_selectorIbNS0_10empty_typeEEEZNS1_21radix_sort_block_sortIS4_Lb0EPKbPbPS6_SC_NS0_19identity_decomposerEEE10hipError_tT1_T2_T3_T4_jRjT5_jjP12ihipStream_tbEUlT_E_NS1_11comp_targetILNS1_3genE9ELNS1_11target_archE1100ELNS1_3gpuE3ELNS1_3repE0EEENS1_44radix_sort_block_sort_config_static_selectorELNS0_4arch9wavefront6targetE0EEEvSF_.num_agpr, 0
	.set _ZN7rocprim17ROCPRIM_400000_NS6detail17trampoline_kernelINS0_13kernel_configILj256ELj4ELj4294967295EEENS1_37radix_sort_block_sort_config_selectorIbNS0_10empty_typeEEEZNS1_21radix_sort_block_sortIS4_Lb0EPKbPbPS6_SC_NS0_19identity_decomposerEEE10hipError_tT1_T2_T3_T4_jRjT5_jjP12ihipStream_tbEUlT_E_NS1_11comp_targetILNS1_3genE9ELNS1_11target_archE1100ELNS1_3gpuE3ELNS1_3repE0EEENS1_44radix_sort_block_sort_config_static_selectorELNS0_4arch9wavefront6targetE0EEEvSF_.numbered_sgpr, 0
	.set _ZN7rocprim17ROCPRIM_400000_NS6detail17trampoline_kernelINS0_13kernel_configILj256ELj4ELj4294967295EEENS1_37radix_sort_block_sort_config_selectorIbNS0_10empty_typeEEEZNS1_21radix_sort_block_sortIS4_Lb0EPKbPbPS6_SC_NS0_19identity_decomposerEEE10hipError_tT1_T2_T3_T4_jRjT5_jjP12ihipStream_tbEUlT_E_NS1_11comp_targetILNS1_3genE9ELNS1_11target_archE1100ELNS1_3gpuE3ELNS1_3repE0EEENS1_44radix_sort_block_sort_config_static_selectorELNS0_4arch9wavefront6targetE0EEEvSF_.num_named_barrier, 0
	.set _ZN7rocprim17ROCPRIM_400000_NS6detail17trampoline_kernelINS0_13kernel_configILj256ELj4ELj4294967295EEENS1_37radix_sort_block_sort_config_selectorIbNS0_10empty_typeEEEZNS1_21radix_sort_block_sortIS4_Lb0EPKbPbPS6_SC_NS0_19identity_decomposerEEE10hipError_tT1_T2_T3_T4_jRjT5_jjP12ihipStream_tbEUlT_E_NS1_11comp_targetILNS1_3genE9ELNS1_11target_archE1100ELNS1_3gpuE3ELNS1_3repE0EEENS1_44radix_sort_block_sort_config_static_selectorELNS0_4arch9wavefront6targetE0EEEvSF_.private_seg_size, 0
	.set _ZN7rocprim17ROCPRIM_400000_NS6detail17trampoline_kernelINS0_13kernel_configILj256ELj4ELj4294967295EEENS1_37radix_sort_block_sort_config_selectorIbNS0_10empty_typeEEEZNS1_21radix_sort_block_sortIS4_Lb0EPKbPbPS6_SC_NS0_19identity_decomposerEEE10hipError_tT1_T2_T3_T4_jRjT5_jjP12ihipStream_tbEUlT_E_NS1_11comp_targetILNS1_3genE9ELNS1_11target_archE1100ELNS1_3gpuE3ELNS1_3repE0EEENS1_44radix_sort_block_sort_config_static_selectorELNS0_4arch9wavefront6targetE0EEEvSF_.uses_vcc, 0
	.set _ZN7rocprim17ROCPRIM_400000_NS6detail17trampoline_kernelINS0_13kernel_configILj256ELj4ELj4294967295EEENS1_37radix_sort_block_sort_config_selectorIbNS0_10empty_typeEEEZNS1_21radix_sort_block_sortIS4_Lb0EPKbPbPS6_SC_NS0_19identity_decomposerEEE10hipError_tT1_T2_T3_T4_jRjT5_jjP12ihipStream_tbEUlT_E_NS1_11comp_targetILNS1_3genE9ELNS1_11target_archE1100ELNS1_3gpuE3ELNS1_3repE0EEENS1_44radix_sort_block_sort_config_static_selectorELNS0_4arch9wavefront6targetE0EEEvSF_.uses_flat_scratch, 0
	.set _ZN7rocprim17ROCPRIM_400000_NS6detail17trampoline_kernelINS0_13kernel_configILj256ELj4ELj4294967295EEENS1_37radix_sort_block_sort_config_selectorIbNS0_10empty_typeEEEZNS1_21radix_sort_block_sortIS4_Lb0EPKbPbPS6_SC_NS0_19identity_decomposerEEE10hipError_tT1_T2_T3_T4_jRjT5_jjP12ihipStream_tbEUlT_E_NS1_11comp_targetILNS1_3genE9ELNS1_11target_archE1100ELNS1_3gpuE3ELNS1_3repE0EEENS1_44radix_sort_block_sort_config_static_selectorELNS0_4arch9wavefront6targetE0EEEvSF_.has_dyn_sized_stack, 0
	.set _ZN7rocprim17ROCPRIM_400000_NS6detail17trampoline_kernelINS0_13kernel_configILj256ELj4ELj4294967295EEENS1_37radix_sort_block_sort_config_selectorIbNS0_10empty_typeEEEZNS1_21radix_sort_block_sortIS4_Lb0EPKbPbPS6_SC_NS0_19identity_decomposerEEE10hipError_tT1_T2_T3_T4_jRjT5_jjP12ihipStream_tbEUlT_E_NS1_11comp_targetILNS1_3genE9ELNS1_11target_archE1100ELNS1_3gpuE3ELNS1_3repE0EEENS1_44radix_sort_block_sort_config_static_selectorELNS0_4arch9wavefront6targetE0EEEvSF_.has_recursion, 0
	.set _ZN7rocprim17ROCPRIM_400000_NS6detail17trampoline_kernelINS0_13kernel_configILj256ELj4ELj4294967295EEENS1_37radix_sort_block_sort_config_selectorIbNS0_10empty_typeEEEZNS1_21radix_sort_block_sortIS4_Lb0EPKbPbPS6_SC_NS0_19identity_decomposerEEE10hipError_tT1_T2_T3_T4_jRjT5_jjP12ihipStream_tbEUlT_E_NS1_11comp_targetILNS1_3genE9ELNS1_11target_archE1100ELNS1_3gpuE3ELNS1_3repE0EEENS1_44radix_sort_block_sort_config_static_selectorELNS0_4arch9wavefront6targetE0EEEvSF_.has_indirect_call, 0
	.section	.AMDGPU.csdata,"",@progbits
; Kernel info:
; codeLenInByte = 0
; TotalNumSgprs: 0
; NumVgprs: 0
; ScratchSize: 0
; MemoryBound: 0
; FloatMode: 240
; IeeeMode: 1
; LDSByteSize: 0 bytes/workgroup (compile time only)
; SGPRBlocks: 0
; VGPRBlocks: 0
; NumSGPRsForWavesPerEU: 1
; NumVGPRsForWavesPerEU: 1
; NamedBarCnt: 0
; Occupancy: 16
; WaveLimiterHint : 0
; COMPUTE_PGM_RSRC2:SCRATCH_EN: 0
; COMPUTE_PGM_RSRC2:USER_SGPR: 2
; COMPUTE_PGM_RSRC2:TRAP_HANDLER: 0
; COMPUTE_PGM_RSRC2:TGID_X_EN: 1
; COMPUTE_PGM_RSRC2:TGID_Y_EN: 0
; COMPUTE_PGM_RSRC2:TGID_Z_EN: 0
; COMPUTE_PGM_RSRC2:TIDIG_COMP_CNT: 0
	.section	.text._ZN7rocprim17ROCPRIM_400000_NS6detail17trampoline_kernelINS0_13kernel_configILj256ELj4ELj4294967295EEENS1_37radix_sort_block_sort_config_selectorIbNS0_10empty_typeEEEZNS1_21radix_sort_block_sortIS4_Lb0EPKbPbPS6_SC_NS0_19identity_decomposerEEE10hipError_tT1_T2_T3_T4_jRjT5_jjP12ihipStream_tbEUlT_E_NS1_11comp_targetILNS1_3genE8ELNS1_11target_archE1030ELNS1_3gpuE2ELNS1_3repE0EEENS1_44radix_sort_block_sort_config_static_selectorELNS0_4arch9wavefront6targetE0EEEvSF_,"axG",@progbits,_ZN7rocprim17ROCPRIM_400000_NS6detail17trampoline_kernelINS0_13kernel_configILj256ELj4ELj4294967295EEENS1_37radix_sort_block_sort_config_selectorIbNS0_10empty_typeEEEZNS1_21radix_sort_block_sortIS4_Lb0EPKbPbPS6_SC_NS0_19identity_decomposerEEE10hipError_tT1_T2_T3_T4_jRjT5_jjP12ihipStream_tbEUlT_E_NS1_11comp_targetILNS1_3genE8ELNS1_11target_archE1030ELNS1_3gpuE2ELNS1_3repE0EEENS1_44radix_sort_block_sort_config_static_selectorELNS0_4arch9wavefront6targetE0EEEvSF_,comdat
	.protected	_ZN7rocprim17ROCPRIM_400000_NS6detail17trampoline_kernelINS0_13kernel_configILj256ELj4ELj4294967295EEENS1_37radix_sort_block_sort_config_selectorIbNS0_10empty_typeEEEZNS1_21radix_sort_block_sortIS4_Lb0EPKbPbPS6_SC_NS0_19identity_decomposerEEE10hipError_tT1_T2_T3_T4_jRjT5_jjP12ihipStream_tbEUlT_E_NS1_11comp_targetILNS1_3genE8ELNS1_11target_archE1030ELNS1_3gpuE2ELNS1_3repE0EEENS1_44radix_sort_block_sort_config_static_selectorELNS0_4arch9wavefront6targetE0EEEvSF_ ; -- Begin function _ZN7rocprim17ROCPRIM_400000_NS6detail17trampoline_kernelINS0_13kernel_configILj256ELj4ELj4294967295EEENS1_37radix_sort_block_sort_config_selectorIbNS0_10empty_typeEEEZNS1_21radix_sort_block_sortIS4_Lb0EPKbPbPS6_SC_NS0_19identity_decomposerEEE10hipError_tT1_T2_T3_T4_jRjT5_jjP12ihipStream_tbEUlT_E_NS1_11comp_targetILNS1_3genE8ELNS1_11target_archE1030ELNS1_3gpuE2ELNS1_3repE0EEENS1_44radix_sort_block_sort_config_static_selectorELNS0_4arch9wavefront6targetE0EEEvSF_
	.globl	_ZN7rocprim17ROCPRIM_400000_NS6detail17trampoline_kernelINS0_13kernel_configILj256ELj4ELj4294967295EEENS1_37radix_sort_block_sort_config_selectorIbNS0_10empty_typeEEEZNS1_21radix_sort_block_sortIS4_Lb0EPKbPbPS6_SC_NS0_19identity_decomposerEEE10hipError_tT1_T2_T3_T4_jRjT5_jjP12ihipStream_tbEUlT_E_NS1_11comp_targetILNS1_3genE8ELNS1_11target_archE1030ELNS1_3gpuE2ELNS1_3repE0EEENS1_44radix_sort_block_sort_config_static_selectorELNS0_4arch9wavefront6targetE0EEEvSF_
	.p2align	8
	.type	_ZN7rocprim17ROCPRIM_400000_NS6detail17trampoline_kernelINS0_13kernel_configILj256ELj4ELj4294967295EEENS1_37radix_sort_block_sort_config_selectorIbNS0_10empty_typeEEEZNS1_21radix_sort_block_sortIS4_Lb0EPKbPbPS6_SC_NS0_19identity_decomposerEEE10hipError_tT1_T2_T3_T4_jRjT5_jjP12ihipStream_tbEUlT_E_NS1_11comp_targetILNS1_3genE8ELNS1_11target_archE1030ELNS1_3gpuE2ELNS1_3repE0EEENS1_44radix_sort_block_sort_config_static_selectorELNS0_4arch9wavefront6targetE0EEEvSF_,@function
_ZN7rocprim17ROCPRIM_400000_NS6detail17trampoline_kernelINS0_13kernel_configILj256ELj4ELj4294967295EEENS1_37radix_sort_block_sort_config_selectorIbNS0_10empty_typeEEEZNS1_21radix_sort_block_sortIS4_Lb0EPKbPbPS6_SC_NS0_19identity_decomposerEEE10hipError_tT1_T2_T3_T4_jRjT5_jjP12ihipStream_tbEUlT_E_NS1_11comp_targetILNS1_3genE8ELNS1_11target_archE1030ELNS1_3gpuE2ELNS1_3repE0EEENS1_44radix_sort_block_sort_config_static_selectorELNS0_4arch9wavefront6targetE0EEEvSF_: ; @_ZN7rocprim17ROCPRIM_400000_NS6detail17trampoline_kernelINS0_13kernel_configILj256ELj4ELj4294967295EEENS1_37radix_sort_block_sort_config_selectorIbNS0_10empty_typeEEEZNS1_21radix_sort_block_sortIS4_Lb0EPKbPbPS6_SC_NS0_19identity_decomposerEEE10hipError_tT1_T2_T3_T4_jRjT5_jjP12ihipStream_tbEUlT_E_NS1_11comp_targetILNS1_3genE8ELNS1_11target_archE1030ELNS1_3gpuE2ELNS1_3repE0EEENS1_44radix_sort_block_sort_config_static_selectorELNS0_4arch9wavefront6targetE0EEEvSF_
; %bb.0:
	.section	.rodata,"a",@progbits
	.p2align	6, 0x0
	.amdhsa_kernel _ZN7rocprim17ROCPRIM_400000_NS6detail17trampoline_kernelINS0_13kernel_configILj256ELj4ELj4294967295EEENS1_37radix_sort_block_sort_config_selectorIbNS0_10empty_typeEEEZNS1_21radix_sort_block_sortIS4_Lb0EPKbPbPS6_SC_NS0_19identity_decomposerEEE10hipError_tT1_T2_T3_T4_jRjT5_jjP12ihipStream_tbEUlT_E_NS1_11comp_targetILNS1_3genE8ELNS1_11target_archE1030ELNS1_3gpuE2ELNS1_3repE0EEENS1_44radix_sort_block_sort_config_static_selectorELNS0_4arch9wavefront6targetE0EEEvSF_
		.amdhsa_group_segment_fixed_size 0
		.amdhsa_private_segment_fixed_size 0
		.amdhsa_kernarg_size 48
		.amdhsa_user_sgpr_count 2
		.amdhsa_user_sgpr_dispatch_ptr 0
		.amdhsa_user_sgpr_queue_ptr 0
		.amdhsa_user_sgpr_kernarg_segment_ptr 1
		.amdhsa_user_sgpr_dispatch_id 0
		.amdhsa_user_sgpr_kernarg_preload_length 0
		.amdhsa_user_sgpr_kernarg_preload_offset 0
		.amdhsa_user_sgpr_private_segment_size 0
		.amdhsa_wavefront_size32 1
		.amdhsa_uses_dynamic_stack 0
		.amdhsa_enable_private_segment 0
		.amdhsa_system_sgpr_workgroup_id_x 1
		.amdhsa_system_sgpr_workgroup_id_y 0
		.amdhsa_system_sgpr_workgroup_id_z 0
		.amdhsa_system_sgpr_workgroup_info 0
		.amdhsa_system_vgpr_workitem_id 0
		.amdhsa_next_free_vgpr 1
		.amdhsa_next_free_sgpr 1
		.amdhsa_named_barrier_count 0
		.amdhsa_reserve_vcc 0
		.amdhsa_float_round_mode_32 0
		.amdhsa_float_round_mode_16_64 0
		.amdhsa_float_denorm_mode_32 3
		.amdhsa_float_denorm_mode_16_64 3
		.amdhsa_fp16_overflow 0
		.amdhsa_memory_ordered 1
		.amdhsa_forward_progress 1
		.amdhsa_inst_pref_size 0
		.amdhsa_round_robin_scheduling 0
		.amdhsa_exception_fp_ieee_invalid_op 0
		.amdhsa_exception_fp_denorm_src 0
		.amdhsa_exception_fp_ieee_div_zero 0
		.amdhsa_exception_fp_ieee_overflow 0
		.amdhsa_exception_fp_ieee_underflow 0
		.amdhsa_exception_fp_ieee_inexact 0
		.amdhsa_exception_int_div_zero 0
	.end_amdhsa_kernel
	.section	.text._ZN7rocprim17ROCPRIM_400000_NS6detail17trampoline_kernelINS0_13kernel_configILj256ELj4ELj4294967295EEENS1_37radix_sort_block_sort_config_selectorIbNS0_10empty_typeEEEZNS1_21radix_sort_block_sortIS4_Lb0EPKbPbPS6_SC_NS0_19identity_decomposerEEE10hipError_tT1_T2_T3_T4_jRjT5_jjP12ihipStream_tbEUlT_E_NS1_11comp_targetILNS1_3genE8ELNS1_11target_archE1030ELNS1_3gpuE2ELNS1_3repE0EEENS1_44radix_sort_block_sort_config_static_selectorELNS0_4arch9wavefront6targetE0EEEvSF_,"axG",@progbits,_ZN7rocprim17ROCPRIM_400000_NS6detail17trampoline_kernelINS0_13kernel_configILj256ELj4ELj4294967295EEENS1_37radix_sort_block_sort_config_selectorIbNS0_10empty_typeEEEZNS1_21radix_sort_block_sortIS4_Lb0EPKbPbPS6_SC_NS0_19identity_decomposerEEE10hipError_tT1_T2_T3_T4_jRjT5_jjP12ihipStream_tbEUlT_E_NS1_11comp_targetILNS1_3genE8ELNS1_11target_archE1030ELNS1_3gpuE2ELNS1_3repE0EEENS1_44radix_sort_block_sort_config_static_selectorELNS0_4arch9wavefront6targetE0EEEvSF_,comdat
.Lfunc_end1785:
	.size	_ZN7rocprim17ROCPRIM_400000_NS6detail17trampoline_kernelINS0_13kernel_configILj256ELj4ELj4294967295EEENS1_37radix_sort_block_sort_config_selectorIbNS0_10empty_typeEEEZNS1_21radix_sort_block_sortIS4_Lb0EPKbPbPS6_SC_NS0_19identity_decomposerEEE10hipError_tT1_T2_T3_T4_jRjT5_jjP12ihipStream_tbEUlT_E_NS1_11comp_targetILNS1_3genE8ELNS1_11target_archE1030ELNS1_3gpuE2ELNS1_3repE0EEENS1_44radix_sort_block_sort_config_static_selectorELNS0_4arch9wavefront6targetE0EEEvSF_, .Lfunc_end1785-_ZN7rocprim17ROCPRIM_400000_NS6detail17trampoline_kernelINS0_13kernel_configILj256ELj4ELj4294967295EEENS1_37radix_sort_block_sort_config_selectorIbNS0_10empty_typeEEEZNS1_21radix_sort_block_sortIS4_Lb0EPKbPbPS6_SC_NS0_19identity_decomposerEEE10hipError_tT1_T2_T3_T4_jRjT5_jjP12ihipStream_tbEUlT_E_NS1_11comp_targetILNS1_3genE8ELNS1_11target_archE1030ELNS1_3gpuE2ELNS1_3repE0EEENS1_44radix_sort_block_sort_config_static_selectorELNS0_4arch9wavefront6targetE0EEEvSF_
                                        ; -- End function
	.set _ZN7rocprim17ROCPRIM_400000_NS6detail17trampoline_kernelINS0_13kernel_configILj256ELj4ELj4294967295EEENS1_37radix_sort_block_sort_config_selectorIbNS0_10empty_typeEEEZNS1_21radix_sort_block_sortIS4_Lb0EPKbPbPS6_SC_NS0_19identity_decomposerEEE10hipError_tT1_T2_T3_T4_jRjT5_jjP12ihipStream_tbEUlT_E_NS1_11comp_targetILNS1_3genE8ELNS1_11target_archE1030ELNS1_3gpuE2ELNS1_3repE0EEENS1_44radix_sort_block_sort_config_static_selectorELNS0_4arch9wavefront6targetE0EEEvSF_.num_vgpr, 0
	.set _ZN7rocprim17ROCPRIM_400000_NS6detail17trampoline_kernelINS0_13kernel_configILj256ELj4ELj4294967295EEENS1_37radix_sort_block_sort_config_selectorIbNS0_10empty_typeEEEZNS1_21radix_sort_block_sortIS4_Lb0EPKbPbPS6_SC_NS0_19identity_decomposerEEE10hipError_tT1_T2_T3_T4_jRjT5_jjP12ihipStream_tbEUlT_E_NS1_11comp_targetILNS1_3genE8ELNS1_11target_archE1030ELNS1_3gpuE2ELNS1_3repE0EEENS1_44radix_sort_block_sort_config_static_selectorELNS0_4arch9wavefront6targetE0EEEvSF_.num_agpr, 0
	.set _ZN7rocprim17ROCPRIM_400000_NS6detail17trampoline_kernelINS0_13kernel_configILj256ELj4ELj4294967295EEENS1_37radix_sort_block_sort_config_selectorIbNS0_10empty_typeEEEZNS1_21radix_sort_block_sortIS4_Lb0EPKbPbPS6_SC_NS0_19identity_decomposerEEE10hipError_tT1_T2_T3_T4_jRjT5_jjP12ihipStream_tbEUlT_E_NS1_11comp_targetILNS1_3genE8ELNS1_11target_archE1030ELNS1_3gpuE2ELNS1_3repE0EEENS1_44radix_sort_block_sort_config_static_selectorELNS0_4arch9wavefront6targetE0EEEvSF_.numbered_sgpr, 0
	.set _ZN7rocprim17ROCPRIM_400000_NS6detail17trampoline_kernelINS0_13kernel_configILj256ELj4ELj4294967295EEENS1_37radix_sort_block_sort_config_selectorIbNS0_10empty_typeEEEZNS1_21radix_sort_block_sortIS4_Lb0EPKbPbPS6_SC_NS0_19identity_decomposerEEE10hipError_tT1_T2_T3_T4_jRjT5_jjP12ihipStream_tbEUlT_E_NS1_11comp_targetILNS1_3genE8ELNS1_11target_archE1030ELNS1_3gpuE2ELNS1_3repE0EEENS1_44radix_sort_block_sort_config_static_selectorELNS0_4arch9wavefront6targetE0EEEvSF_.num_named_barrier, 0
	.set _ZN7rocprim17ROCPRIM_400000_NS6detail17trampoline_kernelINS0_13kernel_configILj256ELj4ELj4294967295EEENS1_37radix_sort_block_sort_config_selectorIbNS0_10empty_typeEEEZNS1_21radix_sort_block_sortIS4_Lb0EPKbPbPS6_SC_NS0_19identity_decomposerEEE10hipError_tT1_T2_T3_T4_jRjT5_jjP12ihipStream_tbEUlT_E_NS1_11comp_targetILNS1_3genE8ELNS1_11target_archE1030ELNS1_3gpuE2ELNS1_3repE0EEENS1_44radix_sort_block_sort_config_static_selectorELNS0_4arch9wavefront6targetE0EEEvSF_.private_seg_size, 0
	.set _ZN7rocprim17ROCPRIM_400000_NS6detail17trampoline_kernelINS0_13kernel_configILj256ELj4ELj4294967295EEENS1_37radix_sort_block_sort_config_selectorIbNS0_10empty_typeEEEZNS1_21radix_sort_block_sortIS4_Lb0EPKbPbPS6_SC_NS0_19identity_decomposerEEE10hipError_tT1_T2_T3_T4_jRjT5_jjP12ihipStream_tbEUlT_E_NS1_11comp_targetILNS1_3genE8ELNS1_11target_archE1030ELNS1_3gpuE2ELNS1_3repE0EEENS1_44radix_sort_block_sort_config_static_selectorELNS0_4arch9wavefront6targetE0EEEvSF_.uses_vcc, 0
	.set _ZN7rocprim17ROCPRIM_400000_NS6detail17trampoline_kernelINS0_13kernel_configILj256ELj4ELj4294967295EEENS1_37radix_sort_block_sort_config_selectorIbNS0_10empty_typeEEEZNS1_21radix_sort_block_sortIS4_Lb0EPKbPbPS6_SC_NS0_19identity_decomposerEEE10hipError_tT1_T2_T3_T4_jRjT5_jjP12ihipStream_tbEUlT_E_NS1_11comp_targetILNS1_3genE8ELNS1_11target_archE1030ELNS1_3gpuE2ELNS1_3repE0EEENS1_44radix_sort_block_sort_config_static_selectorELNS0_4arch9wavefront6targetE0EEEvSF_.uses_flat_scratch, 0
	.set _ZN7rocprim17ROCPRIM_400000_NS6detail17trampoline_kernelINS0_13kernel_configILj256ELj4ELj4294967295EEENS1_37radix_sort_block_sort_config_selectorIbNS0_10empty_typeEEEZNS1_21radix_sort_block_sortIS4_Lb0EPKbPbPS6_SC_NS0_19identity_decomposerEEE10hipError_tT1_T2_T3_T4_jRjT5_jjP12ihipStream_tbEUlT_E_NS1_11comp_targetILNS1_3genE8ELNS1_11target_archE1030ELNS1_3gpuE2ELNS1_3repE0EEENS1_44radix_sort_block_sort_config_static_selectorELNS0_4arch9wavefront6targetE0EEEvSF_.has_dyn_sized_stack, 0
	.set _ZN7rocprim17ROCPRIM_400000_NS6detail17trampoline_kernelINS0_13kernel_configILj256ELj4ELj4294967295EEENS1_37radix_sort_block_sort_config_selectorIbNS0_10empty_typeEEEZNS1_21radix_sort_block_sortIS4_Lb0EPKbPbPS6_SC_NS0_19identity_decomposerEEE10hipError_tT1_T2_T3_T4_jRjT5_jjP12ihipStream_tbEUlT_E_NS1_11comp_targetILNS1_3genE8ELNS1_11target_archE1030ELNS1_3gpuE2ELNS1_3repE0EEENS1_44radix_sort_block_sort_config_static_selectorELNS0_4arch9wavefront6targetE0EEEvSF_.has_recursion, 0
	.set _ZN7rocprim17ROCPRIM_400000_NS6detail17trampoline_kernelINS0_13kernel_configILj256ELj4ELj4294967295EEENS1_37radix_sort_block_sort_config_selectorIbNS0_10empty_typeEEEZNS1_21radix_sort_block_sortIS4_Lb0EPKbPbPS6_SC_NS0_19identity_decomposerEEE10hipError_tT1_T2_T3_T4_jRjT5_jjP12ihipStream_tbEUlT_E_NS1_11comp_targetILNS1_3genE8ELNS1_11target_archE1030ELNS1_3gpuE2ELNS1_3repE0EEENS1_44radix_sort_block_sort_config_static_selectorELNS0_4arch9wavefront6targetE0EEEvSF_.has_indirect_call, 0
	.section	.AMDGPU.csdata,"",@progbits
; Kernel info:
; codeLenInByte = 0
; TotalNumSgprs: 0
; NumVgprs: 0
; ScratchSize: 0
; MemoryBound: 0
; FloatMode: 240
; IeeeMode: 1
; LDSByteSize: 0 bytes/workgroup (compile time only)
; SGPRBlocks: 0
; VGPRBlocks: 0
; NumSGPRsForWavesPerEU: 1
; NumVGPRsForWavesPerEU: 1
; NamedBarCnt: 0
; Occupancy: 16
; WaveLimiterHint : 0
; COMPUTE_PGM_RSRC2:SCRATCH_EN: 0
; COMPUTE_PGM_RSRC2:USER_SGPR: 2
; COMPUTE_PGM_RSRC2:TRAP_HANDLER: 0
; COMPUTE_PGM_RSRC2:TGID_X_EN: 1
; COMPUTE_PGM_RSRC2:TGID_Y_EN: 0
; COMPUTE_PGM_RSRC2:TGID_Z_EN: 0
; COMPUTE_PGM_RSRC2:TIDIG_COMP_CNT: 0
	.section	.text._ZN7rocprim17ROCPRIM_400000_NS6detail17trampoline_kernelINS0_14default_configENS1_38merge_sort_block_merge_config_selectorIbNS0_10empty_typeEEEZZNS1_27merge_sort_block_merge_implIS3_PbPS5_jNS1_19radix_merge_compareILb0ELb0EbNS0_19identity_decomposerEEEEE10hipError_tT0_T1_T2_jT3_P12ihipStream_tbPNSt15iterator_traitsISE_E10value_typeEPNSK_ISF_E10value_typeEPSG_NS1_7vsmem_tEENKUlT_SE_SF_SG_E_clIS8_S8_S9_S9_EESD_ST_SE_SF_SG_EUlST_E_NS1_11comp_targetILNS1_3genE0ELNS1_11target_archE4294967295ELNS1_3gpuE0ELNS1_3repE0EEENS1_48merge_mergepath_partition_config_static_selectorELNS0_4arch9wavefront6targetE0EEEvSF_,"axG",@progbits,_ZN7rocprim17ROCPRIM_400000_NS6detail17trampoline_kernelINS0_14default_configENS1_38merge_sort_block_merge_config_selectorIbNS0_10empty_typeEEEZZNS1_27merge_sort_block_merge_implIS3_PbPS5_jNS1_19radix_merge_compareILb0ELb0EbNS0_19identity_decomposerEEEEE10hipError_tT0_T1_T2_jT3_P12ihipStream_tbPNSt15iterator_traitsISE_E10value_typeEPNSK_ISF_E10value_typeEPSG_NS1_7vsmem_tEENKUlT_SE_SF_SG_E_clIS8_S8_S9_S9_EESD_ST_SE_SF_SG_EUlST_E_NS1_11comp_targetILNS1_3genE0ELNS1_11target_archE4294967295ELNS1_3gpuE0ELNS1_3repE0EEENS1_48merge_mergepath_partition_config_static_selectorELNS0_4arch9wavefront6targetE0EEEvSF_,comdat
	.protected	_ZN7rocprim17ROCPRIM_400000_NS6detail17trampoline_kernelINS0_14default_configENS1_38merge_sort_block_merge_config_selectorIbNS0_10empty_typeEEEZZNS1_27merge_sort_block_merge_implIS3_PbPS5_jNS1_19radix_merge_compareILb0ELb0EbNS0_19identity_decomposerEEEEE10hipError_tT0_T1_T2_jT3_P12ihipStream_tbPNSt15iterator_traitsISE_E10value_typeEPNSK_ISF_E10value_typeEPSG_NS1_7vsmem_tEENKUlT_SE_SF_SG_E_clIS8_S8_S9_S9_EESD_ST_SE_SF_SG_EUlST_E_NS1_11comp_targetILNS1_3genE0ELNS1_11target_archE4294967295ELNS1_3gpuE0ELNS1_3repE0EEENS1_48merge_mergepath_partition_config_static_selectorELNS0_4arch9wavefront6targetE0EEEvSF_ ; -- Begin function _ZN7rocprim17ROCPRIM_400000_NS6detail17trampoline_kernelINS0_14default_configENS1_38merge_sort_block_merge_config_selectorIbNS0_10empty_typeEEEZZNS1_27merge_sort_block_merge_implIS3_PbPS5_jNS1_19radix_merge_compareILb0ELb0EbNS0_19identity_decomposerEEEEE10hipError_tT0_T1_T2_jT3_P12ihipStream_tbPNSt15iterator_traitsISE_E10value_typeEPNSK_ISF_E10value_typeEPSG_NS1_7vsmem_tEENKUlT_SE_SF_SG_E_clIS8_S8_S9_S9_EESD_ST_SE_SF_SG_EUlST_E_NS1_11comp_targetILNS1_3genE0ELNS1_11target_archE4294967295ELNS1_3gpuE0ELNS1_3repE0EEENS1_48merge_mergepath_partition_config_static_selectorELNS0_4arch9wavefront6targetE0EEEvSF_
	.globl	_ZN7rocprim17ROCPRIM_400000_NS6detail17trampoline_kernelINS0_14default_configENS1_38merge_sort_block_merge_config_selectorIbNS0_10empty_typeEEEZZNS1_27merge_sort_block_merge_implIS3_PbPS5_jNS1_19radix_merge_compareILb0ELb0EbNS0_19identity_decomposerEEEEE10hipError_tT0_T1_T2_jT3_P12ihipStream_tbPNSt15iterator_traitsISE_E10value_typeEPNSK_ISF_E10value_typeEPSG_NS1_7vsmem_tEENKUlT_SE_SF_SG_E_clIS8_S8_S9_S9_EESD_ST_SE_SF_SG_EUlST_E_NS1_11comp_targetILNS1_3genE0ELNS1_11target_archE4294967295ELNS1_3gpuE0ELNS1_3repE0EEENS1_48merge_mergepath_partition_config_static_selectorELNS0_4arch9wavefront6targetE0EEEvSF_
	.p2align	8
	.type	_ZN7rocprim17ROCPRIM_400000_NS6detail17trampoline_kernelINS0_14default_configENS1_38merge_sort_block_merge_config_selectorIbNS0_10empty_typeEEEZZNS1_27merge_sort_block_merge_implIS3_PbPS5_jNS1_19radix_merge_compareILb0ELb0EbNS0_19identity_decomposerEEEEE10hipError_tT0_T1_T2_jT3_P12ihipStream_tbPNSt15iterator_traitsISE_E10value_typeEPNSK_ISF_E10value_typeEPSG_NS1_7vsmem_tEENKUlT_SE_SF_SG_E_clIS8_S8_S9_S9_EESD_ST_SE_SF_SG_EUlST_E_NS1_11comp_targetILNS1_3genE0ELNS1_11target_archE4294967295ELNS1_3gpuE0ELNS1_3repE0EEENS1_48merge_mergepath_partition_config_static_selectorELNS0_4arch9wavefront6targetE0EEEvSF_,@function
_ZN7rocprim17ROCPRIM_400000_NS6detail17trampoline_kernelINS0_14default_configENS1_38merge_sort_block_merge_config_selectorIbNS0_10empty_typeEEEZZNS1_27merge_sort_block_merge_implIS3_PbPS5_jNS1_19radix_merge_compareILb0ELb0EbNS0_19identity_decomposerEEEEE10hipError_tT0_T1_T2_jT3_P12ihipStream_tbPNSt15iterator_traitsISE_E10value_typeEPNSK_ISF_E10value_typeEPSG_NS1_7vsmem_tEENKUlT_SE_SF_SG_E_clIS8_S8_S9_S9_EESD_ST_SE_SF_SG_EUlST_E_NS1_11comp_targetILNS1_3genE0ELNS1_11target_archE4294967295ELNS1_3gpuE0ELNS1_3repE0EEENS1_48merge_mergepath_partition_config_static_selectorELNS0_4arch9wavefront6targetE0EEEvSF_: ; @_ZN7rocprim17ROCPRIM_400000_NS6detail17trampoline_kernelINS0_14default_configENS1_38merge_sort_block_merge_config_selectorIbNS0_10empty_typeEEEZZNS1_27merge_sort_block_merge_implIS3_PbPS5_jNS1_19radix_merge_compareILb0ELb0EbNS0_19identity_decomposerEEEEE10hipError_tT0_T1_T2_jT3_P12ihipStream_tbPNSt15iterator_traitsISE_E10value_typeEPNSK_ISF_E10value_typeEPSG_NS1_7vsmem_tEENKUlT_SE_SF_SG_E_clIS8_S8_S9_S9_EESD_ST_SE_SF_SG_EUlST_E_NS1_11comp_targetILNS1_3genE0ELNS1_11target_archE4294967295ELNS1_3gpuE0ELNS1_3repE0EEENS1_48merge_mergepath_partition_config_static_selectorELNS0_4arch9wavefront6targetE0EEEvSF_
; %bb.0:
	s_load_b32 s2, s[0:1], 0x0
	s_bfe_u32 s3, ttmp6, 0x4000c
	s_and_b32 s4, ttmp6, 15
	s_add_co_i32 s3, s3, 1
	s_getreg_b32 s5, hwreg(HW_REG_IB_STS2, 6, 4)
	s_mul_i32 s3, ttmp9, s3
	s_delay_alu instid0(SALU_CYCLE_1) | instskip(SKIP_2) | instid1(SALU_CYCLE_1)
	s_add_co_i32 s4, s4, s3
	s_cmp_eq_u32 s5, 0
	s_cselect_b32 s3, ttmp9, s4
	v_lshl_or_b32 v8, s3, 7, v0
	s_wait_kmcnt 0x0
	s_delay_alu instid0(VALU_DEP_1)
	v_cmp_gt_u32_e32 vcc_lo, s2, v8
	s_and_saveexec_b32 s2, vcc_lo
	s_cbranch_execz .LBB1786_6
; %bb.1:
	s_load_b64 s[2:3], s[0:1], 0x4
	s_wait_kmcnt 0x0
	s_lshr_b32 s4, s2, 9
	s_delay_alu instid0(SALU_CYCLE_1) | instskip(NEXT) | instid1(SALU_CYCLE_1)
	s_and_b32 s4, s4, 0x7ffffe
	s_sub_co_i32 s5, 0, s4
	s_add_co_i32 s4, s4, -1
	s_delay_alu instid0(SALU_CYCLE_1) | instskip(SKIP_2) | instid1(VALU_DEP_1)
	v_and_b32_e32 v1, s4, v8
	v_and_b32_e32 v0, s5, v8
	s_mov_b32 s4, exec_lo
	v_dual_lshlrev_b32 v1, 10, v1 :: v_dual_lshlrev_b32 v0, 10, v0
	s_delay_alu instid0(VALU_DEP_1) | instskip(SKIP_1) | instid1(VALU_DEP_2)
	v_add_min_u32_e64 v2, v0, s2, s3
	v_min_u32_e32 v0, s3, v0
	v_add_min_u32_e64 v3, v2, s2, s3
	s_load_b64 s[2:3], s[0:1], 0x20
	s_delay_alu instid0(VALU_DEP_1) | instskip(NEXT) | instid1(VALU_DEP_1)
	v_dual_sub_nc_u32 v4, v3, v0 :: v_dual_sub_nc_u32 v3, v3, v2
	v_min_u32_e32 v10, v4, v1
	v_sub_nc_u32_e32 v1, v2, v0
	s_delay_alu instid0(VALU_DEP_2) | instskip(NEXT) | instid1(VALU_DEP_2)
	v_sub_nc_u32_e64 v9, v10, v3 clamp
	v_min_u32_e32 v11, v10, v1
	s_delay_alu instid0(VALU_DEP_1)
	v_cmpx_lt_u32_e64 v9, v11
	s_cbranch_execz .LBB1786_5
; %bb.2:
	s_wait_xcnt 0x0
	s_load_b64 s[0:1], s[0:1], 0x10
	v_mov_b32_e32 v3, 0
	s_delay_alu instid0(VALU_DEP_1) | instskip(SKIP_1) | instid1(VALU_DEP_1)
	v_mov_b32_e32 v1, v3
	s_wait_kmcnt 0x0
	v_add_nc_u64_e32 v[4:5], s[0:1], v[0:1]
	v_add_nc_u64_e32 v[6:7], s[0:1], v[2:3]
	s_mov_b32 s0, 0
.LBB1786_3:                             ; =>This Inner Loop Header: Depth=1
	v_add_nc_u32_e32 v1, v11, v9
	s_delay_alu instid0(VALU_DEP_1) | instskip(NEXT) | instid1(VALU_DEP_1)
	v_dual_mov_b32 v13, v3 :: v_dual_lshrrev_b32 v2, 1, v1
	v_xad_u32 v12, v2, -1, v10
	v_add_nc_u64_e32 v[14:15], v[4:5], v[2:3]
	s_delay_alu instid0(VALU_DEP_2)
	v_add_nc_u64_e32 v[12:13], v[6:7], v[12:13]
	s_clause 0x1
	global_load_u8 v1, v[14:15], off
	global_load_u8 v16, v[12:13], off
	s_wait_xcnt 0x0
	v_add_nc_u32_e32 v12, 1, v2
	s_wait_loadcnt 0x0
	v_cmp_gt_u16_e32 vcc_lo, v1, v16
	s_delay_alu instid0(VALU_DEP_2) | instskip(NEXT) | instid1(VALU_DEP_1)
	v_dual_cndmask_b32 v11, v11, v2, vcc_lo :: v_dual_cndmask_b32 v9, v12, v9, vcc_lo
	v_cmp_ge_u32_e32 vcc_lo, v9, v11
	s_or_b32 s0, vcc_lo, s0
	s_delay_alu instid0(SALU_CYCLE_1)
	s_and_not1_b32 exec_lo, exec_lo, s0
	s_cbranch_execnz .LBB1786_3
; %bb.4:
	s_or_b32 exec_lo, exec_lo, s0
.LBB1786_5:
	s_delay_alu instid0(SALU_CYCLE_1)
	s_or_b32 exec_lo, exec_lo, s4
	v_add_nc_u32_e32 v0, v9, v0
	s_wait_kmcnt 0x0
	global_store_b32 v8, v0, s[2:3] scale_offset
.LBB1786_6:
	s_endpgm
	.section	.rodata,"a",@progbits
	.p2align	6, 0x0
	.amdhsa_kernel _ZN7rocprim17ROCPRIM_400000_NS6detail17trampoline_kernelINS0_14default_configENS1_38merge_sort_block_merge_config_selectorIbNS0_10empty_typeEEEZZNS1_27merge_sort_block_merge_implIS3_PbPS5_jNS1_19radix_merge_compareILb0ELb0EbNS0_19identity_decomposerEEEEE10hipError_tT0_T1_T2_jT3_P12ihipStream_tbPNSt15iterator_traitsISE_E10value_typeEPNSK_ISF_E10value_typeEPSG_NS1_7vsmem_tEENKUlT_SE_SF_SG_E_clIS8_S8_S9_S9_EESD_ST_SE_SF_SG_EUlST_E_NS1_11comp_targetILNS1_3genE0ELNS1_11target_archE4294967295ELNS1_3gpuE0ELNS1_3repE0EEENS1_48merge_mergepath_partition_config_static_selectorELNS0_4arch9wavefront6targetE0EEEvSF_
		.amdhsa_group_segment_fixed_size 0
		.amdhsa_private_segment_fixed_size 0
		.amdhsa_kernarg_size 40
		.amdhsa_user_sgpr_count 2
		.amdhsa_user_sgpr_dispatch_ptr 0
		.amdhsa_user_sgpr_queue_ptr 0
		.amdhsa_user_sgpr_kernarg_segment_ptr 1
		.amdhsa_user_sgpr_dispatch_id 0
		.amdhsa_user_sgpr_kernarg_preload_length 0
		.amdhsa_user_sgpr_kernarg_preload_offset 0
		.amdhsa_user_sgpr_private_segment_size 0
		.amdhsa_wavefront_size32 1
		.amdhsa_uses_dynamic_stack 0
		.amdhsa_enable_private_segment 0
		.amdhsa_system_sgpr_workgroup_id_x 1
		.amdhsa_system_sgpr_workgroup_id_y 0
		.amdhsa_system_sgpr_workgroup_id_z 0
		.amdhsa_system_sgpr_workgroup_info 0
		.amdhsa_system_vgpr_workitem_id 0
		.amdhsa_next_free_vgpr 17
		.amdhsa_next_free_sgpr 6
		.amdhsa_named_barrier_count 0
		.amdhsa_reserve_vcc 1
		.amdhsa_float_round_mode_32 0
		.amdhsa_float_round_mode_16_64 0
		.amdhsa_float_denorm_mode_32 3
		.amdhsa_float_denorm_mode_16_64 3
		.amdhsa_fp16_overflow 0
		.amdhsa_memory_ordered 1
		.amdhsa_forward_progress 1
		.amdhsa_inst_pref_size 4
		.amdhsa_round_robin_scheduling 0
		.amdhsa_exception_fp_ieee_invalid_op 0
		.amdhsa_exception_fp_denorm_src 0
		.amdhsa_exception_fp_ieee_div_zero 0
		.amdhsa_exception_fp_ieee_overflow 0
		.amdhsa_exception_fp_ieee_underflow 0
		.amdhsa_exception_fp_ieee_inexact 0
		.amdhsa_exception_int_div_zero 0
	.end_amdhsa_kernel
	.section	.text._ZN7rocprim17ROCPRIM_400000_NS6detail17trampoline_kernelINS0_14default_configENS1_38merge_sort_block_merge_config_selectorIbNS0_10empty_typeEEEZZNS1_27merge_sort_block_merge_implIS3_PbPS5_jNS1_19radix_merge_compareILb0ELb0EbNS0_19identity_decomposerEEEEE10hipError_tT0_T1_T2_jT3_P12ihipStream_tbPNSt15iterator_traitsISE_E10value_typeEPNSK_ISF_E10value_typeEPSG_NS1_7vsmem_tEENKUlT_SE_SF_SG_E_clIS8_S8_S9_S9_EESD_ST_SE_SF_SG_EUlST_E_NS1_11comp_targetILNS1_3genE0ELNS1_11target_archE4294967295ELNS1_3gpuE0ELNS1_3repE0EEENS1_48merge_mergepath_partition_config_static_selectorELNS0_4arch9wavefront6targetE0EEEvSF_,"axG",@progbits,_ZN7rocprim17ROCPRIM_400000_NS6detail17trampoline_kernelINS0_14default_configENS1_38merge_sort_block_merge_config_selectorIbNS0_10empty_typeEEEZZNS1_27merge_sort_block_merge_implIS3_PbPS5_jNS1_19radix_merge_compareILb0ELb0EbNS0_19identity_decomposerEEEEE10hipError_tT0_T1_T2_jT3_P12ihipStream_tbPNSt15iterator_traitsISE_E10value_typeEPNSK_ISF_E10value_typeEPSG_NS1_7vsmem_tEENKUlT_SE_SF_SG_E_clIS8_S8_S9_S9_EESD_ST_SE_SF_SG_EUlST_E_NS1_11comp_targetILNS1_3genE0ELNS1_11target_archE4294967295ELNS1_3gpuE0ELNS1_3repE0EEENS1_48merge_mergepath_partition_config_static_selectorELNS0_4arch9wavefront6targetE0EEEvSF_,comdat
.Lfunc_end1786:
	.size	_ZN7rocprim17ROCPRIM_400000_NS6detail17trampoline_kernelINS0_14default_configENS1_38merge_sort_block_merge_config_selectorIbNS0_10empty_typeEEEZZNS1_27merge_sort_block_merge_implIS3_PbPS5_jNS1_19radix_merge_compareILb0ELb0EbNS0_19identity_decomposerEEEEE10hipError_tT0_T1_T2_jT3_P12ihipStream_tbPNSt15iterator_traitsISE_E10value_typeEPNSK_ISF_E10value_typeEPSG_NS1_7vsmem_tEENKUlT_SE_SF_SG_E_clIS8_S8_S9_S9_EESD_ST_SE_SF_SG_EUlST_E_NS1_11comp_targetILNS1_3genE0ELNS1_11target_archE4294967295ELNS1_3gpuE0ELNS1_3repE0EEENS1_48merge_mergepath_partition_config_static_selectorELNS0_4arch9wavefront6targetE0EEEvSF_, .Lfunc_end1786-_ZN7rocprim17ROCPRIM_400000_NS6detail17trampoline_kernelINS0_14default_configENS1_38merge_sort_block_merge_config_selectorIbNS0_10empty_typeEEEZZNS1_27merge_sort_block_merge_implIS3_PbPS5_jNS1_19radix_merge_compareILb0ELb0EbNS0_19identity_decomposerEEEEE10hipError_tT0_T1_T2_jT3_P12ihipStream_tbPNSt15iterator_traitsISE_E10value_typeEPNSK_ISF_E10value_typeEPSG_NS1_7vsmem_tEENKUlT_SE_SF_SG_E_clIS8_S8_S9_S9_EESD_ST_SE_SF_SG_EUlST_E_NS1_11comp_targetILNS1_3genE0ELNS1_11target_archE4294967295ELNS1_3gpuE0ELNS1_3repE0EEENS1_48merge_mergepath_partition_config_static_selectorELNS0_4arch9wavefront6targetE0EEEvSF_
                                        ; -- End function
	.set _ZN7rocprim17ROCPRIM_400000_NS6detail17trampoline_kernelINS0_14default_configENS1_38merge_sort_block_merge_config_selectorIbNS0_10empty_typeEEEZZNS1_27merge_sort_block_merge_implIS3_PbPS5_jNS1_19radix_merge_compareILb0ELb0EbNS0_19identity_decomposerEEEEE10hipError_tT0_T1_T2_jT3_P12ihipStream_tbPNSt15iterator_traitsISE_E10value_typeEPNSK_ISF_E10value_typeEPSG_NS1_7vsmem_tEENKUlT_SE_SF_SG_E_clIS8_S8_S9_S9_EESD_ST_SE_SF_SG_EUlST_E_NS1_11comp_targetILNS1_3genE0ELNS1_11target_archE4294967295ELNS1_3gpuE0ELNS1_3repE0EEENS1_48merge_mergepath_partition_config_static_selectorELNS0_4arch9wavefront6targetE0EEEvSF_.num_vgpr, 17
	.set _ZN7rocprim17ROCPRIM_400000_NS6detail17trampoline_kernelINS0_14default_configENS1_38merge_sort_block_merge_config_selectorIbNS0_10empty_typeEEEZZNS1_27merge_sort_block_merge_implIS3_PbPS5_jNS1_19radix_merge_compareILb0ELb0EbNS0_19identity_decomposerEEEEE10hipError_tT0_T1_T2_jT3_P12ihipStream_tbPNSt15iterator_traitsISE_E10value_typeEPNSK_ISF_E10value_typeEPSG_NS1_7vsmem_tEENKUlT_SE_SF_SG_E_clIS8_S8_S9_S9_EESD_ST_SE_SF_SG_EUlST_E_NS1_11comp_targetILNS1_3genE0ELNS1_11target_archE4294967295ELNS1_3gpuE0ELNS1_3repE0EEENS1_48merge_mergepath_partition_config_static_selectorELNS0_4arch9wavefront6targetE0EEEvSF_.num_agpr, 0
	.set _ZN7rocprim17ROCPRIM_400000_NS6detail17trampoline_kernelINS0_14default_configENS1_38merge_sort_block_merge_config_selectorIbNS0_10empty_typeEEEZZNS1_27merge_sort_block_merge_implIS3_PbPS5_jNS1_19radix_merge_compareILb0ELb0EbNS0_19identity_decomposerEEEEE10hipError_tT0_T1_T2_jT3_P12ihipStream_tbPNSt15iterator_traitsISE_E10value_typeEPNSK_ISF_E10value_typeEPSG_NS1_7vsmem_tEENKUlT_SE_SF_SG_E_clIS8_S8_S9_S9_EESD_ST_SE_SF_SG_EUlST_E_NS1_11comp_targetILNS1_3genE0ELNS1_11target_archE4294967295ELNS1_3gpuE0ELNS1_3repE0EEENS1_48merge_mergepath_partition_config_static_selectorELNS0_4arch9wavefront6targetE0EEEvSF_.numbered_sgpr, 6
	.set _ZN7rocprim17ROCPRIM_400000_NS6detail17trampoline_kernelINS0_14default_configENS1_38merge_sort_block_merge_config_selectorIbNS0_10empty_typeEEEZZNS1_27merge_sort_block_merge_implIS3_PbPS5_jNS1_19radix_merge_compareILb0ELb0EbNS0_19identity_decomposerEEEEE10hipError_tT0_T1_T2_jT3_P12ihipStream_tbPNSt15iterator_traitsISE_E10value_typeEPNSK_ISF_E10value_typeEPSG_NS1_7vsmem_tEENKUlT_SE_SF_SG_E_clIS8_S8_S9_S9_EESD_ST_SE_SF_SG_EUlST_E_NS1_11comp_targetILNS1_3genE0ELNS1_11target_archE4294967295ELNS1_3gpuE0ELNS1_3repE0EEENS1_48merge_mergepath_partition_config_static_selectorELNS0_4arch9wavefront6targetE0EEEvSF_.num_named_barrier, 0
	.set _ZN7rocprim17ROCPRIM_400000_NS6detail17trampoline_kernelINS0_14default_configENS1_38merge_sort_block_merge_config_selectorIbNS0_10empty_typeEEEZZNS1_27merge_sort_block_merge_implIS3_PbPS5_jNS1_19radix_merge_compareILb0ELb0EbNS0_19identity_decomposerEEEEE10hipError_tT0_T1_T2_jT3_P12ihipStream_tbPNSt15iterator_traitsISE_E10value_typeEPNSK_ISF_E10value_typeEPSG_NS1_7vsmem_tEENKUlT_SE_SF_SG_E_clIS8_S8_S9_S9_EESD_ST_SE_SF_SG_EUlST_E_NS1_11comp_targetILNS1_3genE0ELNS1_11target_archE4294967295ELNS1_3gpuE0ELNS1_3repE0EEENS1_48merge_mergepath_partition_config_static_selectorELNS0_4arch9wavefront6targetE0EEEvSF_.private_seg_size, 0
	.set _ZN7rocprim17ROCPRIM_400000_NS6detail17trampoline_kernelINS0_14default_configENS1_38merge_sort_block_merge_config_selectorIbNS0_10empty_typeEEEZZNS1_27merge_sort_block_merge_implIS3_PbPS5_jNS1_19radix_merge_compareILb0ELb0EbNS0_19identity_decomposerEEEEE10hipError_tT0_T1_T2_jT3_P12ihipStream_tbPNSt15iterator_traitsISE_E10value_typeEPNSK_ISF_E10value_typeEPSG_NS1_7vsmem_tEENKUlT_SE_SF_SG_E_clIS8_S8_S9_S9_EESD_ST_SE_SF_SG_EUlST_E_NS1_11comp_targetILNS1_3genE0ELNS1_11target_archE4294967295ELNS1_3gpuE0ELNS1_3repE0EEENS1_48merge_mergepath_partition_config_static_selectorELNS0_4arch9wavefront6targetE0EEEvSF_.uses_vcc, 1
	.set _ZN7rocprim17ROCPRIM_400000_NS6detail17trampoline_kernelINS0_14default_configENS1_38merge_sort_block_merge_config_selectorIbNS0_10empty_typeEEEZZNS1_27merge_sort_block_merge_implIS3_PbPS5_jNS1_19radix_merge_compareILb0ELb0EbNS0_19identity_decomposerEEEEE10hipError_tT0_T1_T2_jT3_P12ihipStream_tbPNSt15iterator_traitsISE_E10value_typeEPNSK_ISF_E10value_typeEPSG_NS1_7vsmem_tEENKUlT_SE_SF_SG_E_clIS8_S8_S9_S9_EESD_ST_SE_SF_SG_EUlST_E_NS1_11comp_targetILNS1_3genE0ELNS1_11target_archE4294967295ELNS1_3gpuE0ELNS1_3repE0EEENS1_48merge_mergepath_partition_config_static_selectorELNS0_4arch9wavefront6targetE0EEEvSF_.uses_flat_scratch, 0
	.set _ZN7rocprim17ROCPRIM_400000_NS6detail17trampoline_kernelINS0_14default_configENS1_38merge_sort_block_merge_config_selectorIbNS0_10empty_typeEEEZZNS1_27merge_sort_block_merge_implIS3_PbPS5_jNS1_19radix_merge_compareILb0ELb0EbNS0_19identity_decomposerEEEEE10hipError_tT0_T1_T2_jT3_P12ihipStream_tbPNSt15iterator_traitsISE_E10value_typeEPNSK_ISF_E10value_typeEPSG_NS1_7vsmem_tEENKUlT_SE_SF_SG_E_clIS8_S8_S9_S9_EESD_ST_SE_SF_SG_EUlST_E_NS1_11comp_targetILNS1_3genE0ELNS1_11target_archE4294967295ELNS1_3gpuE0ELNS1_3repE0EEENS1_48merge_mergepath_partition_config_static_selectorELNS0_4arch9wavefront6targetE0EEEvSF_.has_dyn_sized_stack, 0
	.set _ZN7rocprim17ROCPRIM_400000_NS6detail17trampoline_kernelINS0_14default_configENS1_38merge_sort_block_merge_config_selectorIbNS0_10empty_typeEEEZZNS1_27merge_sort_block_merge_implIS3_PbPS5_jNS1_19radix_merge_compareILb0ELb0EbNS0_19identity_decomposerEEEEE10hipError_tT0_T1_T2_jT3_P12ihipStream_tbPNSt15iterator_traitsISE_E10value_typeEPNSK_ISF_E10value_typeEPSG_NS1_7vsmem_tEENKUlT_SE_SF_SG_E_clIS8_S8_S9_S9_EESD_ST_SE_SF_SG_EUlST_E_NS1_11comp_targetILNS1_3genE0ELNS1_11target_archE4294967295ELNS1_3gpuE0ELNS1_3repE0EEENS1_48merge_mergepath_partition_config_static_selectorELNS0_4arch9wavefront6targetE0EEEvSF_.has_recursion, 0
	.set _ZN7rocprim17ROCPRIM_400000_NS6detail17trampoline_kernelINS0_14default_configENS1_38merge_sort_block_merge_config_selectorIbNS0_10empty_typeEEEZZNS1_27merge_sort_block_merge_implIS3_PbPS5_jNS1_19radix_merge_compareILb0ELb0EbNS0_19identity_decomposerEEEEE10hipError_tT0_T1_T2_jT3_P12ihipStream_tbPNSt15iterator_traitsISE_E10value_typeEPNSK_ISF_E10value_typeEPSG_NS1_7vsmem_tEENKUlT_SE_SF_SG_E_clIS8_S8_S9_S9_EESD_ST_SE_SF_SG_EUlST_E_NS1_11comp_targetILNS1_3genE0ELNS1_11target_archE4294967295ELNS1_3gpuE0ELNS1_3repE0EEENS1_48merge_mergepath_partition_config_static_selectorELNS0_4arch9wavefront6targetE0EEEvSF_.has_indirect_call, 0
	.section	.AMDGPU.csdata,"",@progbits
; Kernel info:
; codeLenInByte = 420
; TotalNumSgprs: 8
; NumVgprs: 17
; ScratchSize: 0
; MemoryBound: 0
; FloatMode: 240
; IeeeMode: 1
; LDSByteSize: 0 bytes/workgroup (compile time only)
; SGPRBlocks: 0
; VGPRBlocks: 1
; NumSGPRsForWavesPerEU: 8
; NumVGPRsForWavesPerEU: 17
; NamedBarCnt: 0
; Occupancy: 16
; WaveLimiterHint : 0
; COMPUTE_PGM_RSRC2:SCRATCH_EN: 0
; COMPUTE_PGM_RSRC2:USER_SGPR: 2
; COMPUTE_PGM_RSRC2:TRAP_HANDLER: 0
; COMPUTE_PGM_RSRC2:TGID_X_EN: 1
; COMPUTE_PGM_RSRC2:TGID_Y_EN: 0
; COMPUTE_PGM_RSRC2:TGID_Z_EN: 0
; COMPUTE_PGM_RSRC2:TIDIG_COMP_CNT: 0
	.section	.text._ZN7rocprim17ROCPRIM_400000_NS6detail17trampoline_kernelINS0_14default_configENS1_38merge_sort_block_merge_config_selectorIbNS0_10empty_typeEEEZZNS1_27merge_sort_block_merge_implIS3_PbPS5_jNS1_19radix_merge_compareILb0ELb0EbNS0_19identity_decomposerEEEEE10hipError_tT0_T1_T2_jT3_P12ihipStream_tbPNSt15iterator_traitsISE_E10value_typeEPNSK_ISF_E10value_typeEPSG_NS1_7vsmem_tEENKUlT_SE_SF_SG_E_clIS8_S8_S9_S9_EESD_ST_SE_SF_SG_EUlST_E_NS1_11comp_targetILNS1_3genE10ELNS1_11target_archE1201ELNS1_3gpuE5ELNS1_3repE0EEENS1_48merge_mergepath_partition_config_static_selectorELNS0_4arch9wavefront6targetE0EEEvSF_,"axG",@progbits,_ZN7rocprim17ROCPRIM_400000_NS6detail17trampoline_kernelINS0_14default_configENS1_38merge_sort_block_merge_config_selectorIbNS0_10empty_typeEEEZZNS1_27merge_sort_block_merge_implIS3_PbPS5_jNS1_19radix_merge_compareILb0ELb0EbNS0_19identity_decomposerEEEEE10hipError_tT0_T1_T2_jT3_P12ihipStream_tbPNSt15iterator_traitsISE_E10value_typeEPNSK_ISF_E10value_typeEPSG_NS1_7vsmem_tEENKUlT_SE_SF_SG_E_clIS8_S8_S9_S9_EESD_ST_SE_SF_SG_EUlST_E_NS1_11comp_targetILNS1_3genE10ELNS1_11target_archE1201ELNS1_3gpuE5ELNS1_3repE0EEENS1_48merge_mergepath_partition_config_static_selectorELNS0_4arch9wavefront6targetE0EEEvSF_,comdat
	.protected	_ZN7rocprim17ROCPRIM_400000_NS6detail17trampoline_kernelINS0_14default_configENS1_38merge_sort_block_merge_config_selectorIbNS0_10empty_typeEEEZZNS1_27merge_sort_block_merge_implIS3_PbPS5_jNS1_19radix_merge_compareILb0ELb0EbNS0_19identity_decomposerEEEEE10hipError_tT0_T1_T2_jT3_P12ihipStream_tbPNSt15iterator_traitsISE_E10value_typeEPNSK_ISF_E10value_typeEPSG_NS1_7vsmem_tEENKUlT_SE_SF_SG_E_clIS8_S8_S9_S9_EESD_ST_SE_SF_SG_EUlST_E_NS1_11comp_targetILNS1_3genE10ELNS1_11target_archE1201ELNS1_3gpuE5ELNS1_3repE0EEENS1_48merge_mergepath_partition_config_static_selectorELNS0_4arch9wavefront6targetE0EEEvSF_ ; -- Begin function _ZN7rocprim17ROCPRIM_400000_NS6detail17trampoline_kernelINS0_14default_configENS1_38merge_sort_block_merge_config_selectorIbNS0_10empty_typeEEEZZNS1_27merge_sort_block_merge_implIS3_PbPS5_jNS1_19radix_merge_compareILb0ELb0EbNS0_19identity_decomposerEEEEE10hipError_tT0_T1_T2_jT3_P12ihipStream_tbPNSt15iterator_traitsISE_E10value_typeEPNSK_ISF_E10value_typeEPSG_NS1_7vsmem_tEENKUlT_SE_SF_SG_E_clIS8_S8_S9_S9_EESD_ST_SE_SF_SG_EUlST_E_NS1_11comp_targetILNS1_3genE10ELNS1_11target_archE1201ELNS1_3gpuE5ELNS1_3repE0EEENS1_48merge_mergepath_partition_config_static_selectorELNS0_4arch9wavefront6targetE0EEEvSF_
	.globl	_ZN7rocprim17ROCPRIM_400000_NS6detail17trampoline_kernelINS0_14default_configENS1_38merge_sort_block_merge_config_selectorIbNS0_10empty_typeEEEZZNS1_27merge_sort_block_merge_implIS3_PbPS5_jNS1_19radix_merge_compareILb0ELb0EbNS0_19identity_decomposerEEEEE10hipError_tT0_T1_T2_jT3_P12ihipStream_tbPNSt15iterator_traitsISE_E10value_typeEPNSK_ISF_E10value_typeEPSG_NS1_7vsmem_tEENKUlT_SE_SF_SG_E_clIS8_S8_S9_S9_EESD_ST_SE_SF_SG_EUlST_E_NS1_11comp_targetILNS1_3genE10ELNS1_11target_archE1201ELNS1_3gpuE5ELNS1_3repE0EEENS1_48merge_mergepath_partition_config_static_selectorELNS0_4arch9wavefront6targetE0EEEvSF_
	.p2align	8
	.type	_ZN7rocprim17ROCPRIM_400000_NS6detail17trampoline_kernelINS0_14default_configENS1_38merge_sort_block_merge_config_selectorIbNS0_10empty_typeEEEZZNS1_27merge_sort_block_merge_implIS3_PbPS5_jNS1_19radix_merge_compareILb0ELb0EbNS0_19identity_decomposerEEEEE10hipError_tT0_T1_T2_jT3_P12ihipStream_tbPNSt15iterator_traitsISE_E10value_typeEPNSK_ISF_E10value_typeEPSG_NS1_7vsmem_tEENKUlT_SE_SF_SG_E_clIS8_S8_S9_S9_EESD_ST_SE_SF_SG_EUlST_E_NS1_11comp_targetILNS1_3genE10ELNS1_11target_archE1201ELNS1_3gpuE5ELNS1_3repE0EEENS1_48merge_mergepath_partition_config_static_selectorELNS0_4arch9wavefront6targetE0EEEvSF_,@function
_ZN7rocprim17ROCPRIM_400000_NS6detail17trampoline_kernelINS0_14default_configENS1_38merge_sort_block_merge_config_selectorIbNS0_10empty_typeEEEZZNS1_27merge_sort_block_merge_implIS3_PbPS5_jNS1_19radix_merge_compareILb0ELb0EbNS0_19identity_decomposerEEEEE10hipError_tT0_T1_T2_jT3_P12ihipStream_tbPNSt15iterator_traitsISE_E10value_typeEPNSK_ISF_E10value_typeEPSG_NS1_7vsmem_tEENKUlT_SE_SF_SG_E_clIS8_S8_S9_S9_EESD_ST_SE_SF_SG_EUlST_E_NS1_11comp_targetILNS1_3genE10ELNS1_11target_archE1201ELNS1_3gpuE5ELNS1_3repE0EEENS1_48merge_mergepath_partition_config_static_selectorELNS0_4arch9wavefront6targetE0EEEvSF_: ; @_ZN7rocprim17ROCPRIM_400000_NS6detail17trampoline_kernelINS0_14default_configENS1_38merge_sort_block_merge_config_selectorIbNS0_10empty_typeEEEZZNS1_27merge_sort_block_merge_implIS3_PbPS5_jNS1_19radix_merge_compareILb0ELb0EbNS0_19identity_decomposerEEEEE10hipError_tT0_T1_T2_jT3_P12ihipStream_tbPNSt15iterator_traitsISE_E10value_typeEPNSK_ISF_E10value_typeEPSG_NS1_7vsmem_tEENKUlT_SE_SF_SG_E_clIS8_S8_S9_S9_EESD_ST_SE_SF_SG_EUlST_E_NS1_11comp_targetILNS1_3genE10ELNS1_11target_archE1201ELNS1_3gpuE5ELNS1_3repE0EEENS1_48merge_mergepath_partition_config_static_selectorELNS0_4arch9wavefront6targetE0EEEvSF_
; %bb.0:
	.section	.rodata,"a",@progbits
	.p2align	6, 0x0
	.amdhsa_kernel _ZN7rocprim17ROCPRIM_400000_NS6detail17trampoline_kernelINS0_14default_configENS1_38merge_sort_block_merge_config_selectorIbNS0_10empty_typeEEEZZNS1_27merge_sort_block_merge_implIS3_PbPS5_jNS1_19radix_merge_compareILb0ELb0EbNS0_19identity_decomposerEEEEE10hipError_tT0_T1_T2_jT3_P12ihipStream_tbPNSt15iterator_traitsISE_E10value_typeEPNSK_ISF_E10value_typeEPSG_NS1_7vsmem_tEENKUlT_SE_SF_SG_E_clIS8_S8_S9_S9_EESD_ST_SE_SF_SG_EUlST_E_NS1_11comp_targetILNS1_3genE10ELNS1_11target_archE1201ELNS1_3gpuE5ELNS1_3repE0EEENS1_48merge_mergepath_partition_config_static_selectorELNS0_4arch9wavefront6targetE0EEEvSF_
		.amdhsa_group_segment_fixed_size 0
		.amdhsa_private_segment_fixed_size 0
		.amdhsa_kernarg_size 40
		.amdhsa_user_sgpr_count 2
		.amdhsa_user_sgpr_dispatch_ptr 0
		.amdhsa_user_sgpr_queue_ptr 0
		.amdhsa_user_sgpr_kernarg_segment_ptr 1
		.amdhsa_user_sgpr_dispatch_id 0
		.amdhsa_user_sgpr_kernarg_preload_length 0
		.amdhsa_user_sgpr_kernarg_preload_offset 0
		.amdhsa_user_sgpr_private_segment_size 0
		.amdhsa_wavefront_size32 1
		.amdhsa_uses_dynamic_stack 0
		.amdhsa_enable_private_segment 0
		.amdhsa_system_sgpr_workgroup_id_x 1
		.amdhsa_system_sgpr_workgroup_id_y 0
		.amdhsa_system_sgpr_workgroup_id_z 0
		.amdhsa_system_sgpr_workgroup_info 0
		.amdhsa_system_vgpr_workitem_id 0
		.amdhsa_next_free_vgpr 1
		.amdhsa_next_free_sgpr 1
		.amdhsa_named_barrier_count 0
		.amdhsa_reserve_vcc 0
		.amdhsa_float_round_mode_32 0
		.amdhsa_float_round_mode_16_64 0
		.amdhsa_float_denorm_mode_32 3
		.amdhsa_float_denorm_mode_16_64 3
		.amdhsa_fp16_overflow 0
		.amdhsa_memory_ordered 1
		.amdhsa_forward_progress 1
		.amdhsa_inst_pref_size 0
		.amdhsa_round_robin_scheduling 0
		.amdhsa_exception_fp_ieee_invalid_op 0
		.amdhsa_exception_fp_denorm_src 0
		.amdhsa_exception_fp_ieee_div_zero 0
		.amdhsa_exception_fp_ieee_overflow 0
		.amdhsa_exception_fp_ieee_underflow 0
		.amdhsa_exception_fp_ieee_inexact 0
		.amdhsa_exception_int_div_zero 0
	.end_amdhsa_kernel
	.section	.text._ZN7rocprim17ROCPRIM_400000_NS6detail17trampoline_kernelINS0_14default_configENS1_38merge_sort_block_merge_config_selectorIbNS0_10empty_typeEEEZZNS1_27merge_sort_block_merge_implIS3_PbPS5_jNS1_19radix_merge_compareILb0ELb0EbNS0_19identity_decomposerEEEEE10hipError_tT0_T1_T2_jT3_P12ihipStream_tbPNSt15iterator_traitsISE_E10value_typeEPNSK_ISF_E10value_typeEPSG_NS1_7vsmem_tEENKUlT_SE_SF_SG_E_clIS8_S8_S9_S9_EESD_ST_SE_SF_SG_EUlST_E_NS1_11comp_targetILNS1_3genE10ELNS1_11target_archE1201ELNS1_3gpuE5ELNS1_3repE0EEENS1_48merge_mergepath_partition_config_static_selectorELNS0_4arch9wavefront6targetE0EEEvSF_,"axG",@progbits,_ZN7rocprim17ROCPRIM_400000_NS6detail17trampoline_kernelINS0_14default_configENS1_38merge_sort_block_merge_config_selectorIbNS0_10empty_typeEEEZZNS1_27merge_sort_block_merge_implIS3_PbPS5_jNS1_19radix_merge_compareILb0ELb0EbNS0_19identity_decomposerEEEEE10hipError_tT0_T1_T2_jT3_P12ihipStream_tbPNSt15iterator_traitsISE_E10value_typeEPNSK_ISF_E10value_typeEPSG_NS1_7vsmem_tEENKUlT_SE_SF_SG_E_clIS8_S8_S9_S9_EESD_ST_SE_SF_SG_EUlST_E_NS1_11comp_targetILNS1_3genE10ELNS1_11target_archE1201ELNS1_3gpuE5ELNS1_3repE0EEENS1_48merge_mergepath_partition_config_static_selectorELNS0_4arch9wavefront6targetE0EEEvSF_,comdat
.Lfunc_end1787:
	.size	_ZN7rocprim17ROCPRIM_400000_NS6detail17trampoline_kernelINS0_14default_configENS1_38merge_sort_block_merge_config_selectorIbNS0_10empty_typeEEEZZNS1_27merge_sort_block_merge_implIS3_PbPS5_jNS1_19radix_merge_compareILb0ELb0EbNS0_19identity_decomposerEEEEE10hipError_tT0_T1_T2_jT3_P12ihipStream_tbPNSt15iterator_traitsISE_E10value_typeEPNSK_ISF_E10value_typeEPSG_NS1_7vsmem_tEENKUlT_SE_SF_SG_E_clIS8_S8_S9_S9_EESD_ST_SE_SF_SG_EUlST_E_NS1_11comp_targetILNS1_3genE10ELNS1_11target_archE1201ELNS1_3gpuE5ELNS1_3repE0EEENS1_48merge_mergepath_partition_config_static_selectorELNS0_4arch9wavefront6targetE0EEEvSF_, .Lfunc_end1787-_ZN7rocprim17ROCPRIM_400000_NS6detail17trampoline_kernelINS0_14default_configENS1_38merge_sort_block_merge_config_selectorIbNS0_10empty_typeEEEZZNS1_27merge_sort_block_merge_implIS3_PbPS5_jNS1_19radix_merge_compareILb0ELb0EbNS0_19identity_decomposerEEEEE10hipError_tT0_T1_T2_jT3_P12ihipStream_tbPNSt15iterator_traitsISE_E10value_typeEPNSK_ISF_E10value_typeEPSG_NS1_7vsmem_tEENKUlT_SE_SF_SG_E_clIS8_S8_S9_S9_EESD_ST_SE_SF_SG_EUlST_E_NS1_11comp_targetILNS1_3genE10ELNS1_11target_archE1201ELNS1_3gpuE5ELNS1_3repE0EEENS1_48merge_mergepath_partition_config_static_selectorELNS0_4arch9wavefront6targetE0EEEvSF_
                                        ; -- End function
	.set _ZN7rocprim17ROCPRIM_400000_NS6detail17trampoline_kernelINS0_14default_configENS1_38merge_sort_block_merge_config_selectorIbNS0_10empty_typeEEEZZNS1_27merge_sort_block_merge_implIS3_PbPS5_jNS1_19radix_merge_compareILb0ELb0EbNS0_19identity_decomposerEEEEE10hipError_tT0_T1_T2_jT3_P12ihipStream_tbPNSt15iterator_traitsISE_E10value_typeEPNSK_ISF_E10value_typeEPSG_NS1_7vsmem_tEENKUlT_SE_SF_SG_E_clIS8_S8_S9_S9_EESD_ST_SE_SF_SG_EUlST_E_NS1_11comp_targetILNS1_3genE10ELNS1_11target_archE1201ELNS1_3gpuE5ELNS1_3repE0EEENS1_48merge_mergepath_partition_config_static_selectorELNS0_4arch9wavefront6targetE0EEEvSF_.num_vgpr, 0
	.set _ZN7rocprim17ROCPRIM_400000_NS6detail17trampoline_kernelINS0_14default_configENS1_38merge_sort_block_merge_config_selectorIbNS0_10empty_typeEEEZZNS1_27merge_sort_block_merge_implIS3_PbPS5_jNS1_19radix_merge_compareILb0ELb0EbNS0_19identity_decomposerEEEEE10hipError_tT0_T1_T2_jT3_P12ihipStream_tbPNSt15iterator_traitsISE_E10value_typeEPNSK_ISF_E10value_typeEPSG_NS1_7vsmem_tEENKUlT_SE_SF_SG_E_clIS8_S8_S9_S9_EESD_ST_SE_SF_SG_EUlST_E_NS1_11comp_targetILNS1_3genE10ELNS1_11target_archE1201ELNS1_3gpuE5ELNS1_3repE0EEENS1_48merge_mergepath_partition_config_static_selectorELNS0_4arch9wavefront6targetE0EEEvSF_.num_agpr, 0
	.set _ZN7rocprim17ROCPRIM_400000_NS6detail17trampoline_kernelINS0_14default_configENS1_38merge_sort_block_merge_config_selectorIbNS0_10empty_typeEEEZZNS1_27merge_sort_block_merge_implIS3_PbPS5_jNS1_19radix_merge_compareILb0ELb0EbNS0_19identity_decomposerEEEEE10hipError_tT0_T1_T2_jT3_P12ihipStream_tbPNSt15iterator_traitsISE_E10value_typeEPNSK_ISF_E10value_typeEPSG_NS1_7vsmem_tEENKUlT_SE_SF_SG_E_clIS8_S8_S9_S9_EESD_ST_SE_SF_SG_EUlST_E_NS1_11comp_targetILNS1_3genE10ELNS1_11target_archE1201ELNS1_3gpuE5ELNS1_3repE0EEENS1_48merge_mergepath_partition_config_static_selectorELNS0_4arch9wavefront6targetE0EEEvSF_.numbered_sgpr, 0
	.set _ZN7rocprim17ROCPRIM_400000_NS6detail17trampoline_kernelINS0_14default_configENS1_38merge_sort_block_merge_config_selectorIbNS0_10empty_typeEEEZZNS1_27merge_sort_block_merge_implIS3_PbPS5_jNS1_19radix_merge_compareILb0ELb0EbNS0_19identity_decomposerEEEEE10hipError_tT0_T1_T2_jT3_P12ihipStream_tbPNSt15iterator_traitsISE_E10value_typeEPNSK_ISF_E10value_typeEPSG_NS1_7vsmem_tEENKUlT_SE_SF_SG_E_clIS8_S8_S9_S9_EESD_ST_SE_SF_SG_EUlST_E_NS1_11comp_targetILNS1_3genE10ELNS1_11target_archE1201ELNS1_3gpuE5ELNS1_3repE0EEENS1_48merge_mergepath_partition_config_static_selectorELNS0_4arch9wavefront6targetE0EEEvSF_.num_named_barrier, 0
	.set _ZN7rocprim17ROCPRIM_400000_NS6detail17trampoline_kernelINS0_14default_configENS1_38merge_sort_block_merge_config_selectorIbNS0_10empty_typeEEEZZNS1_27merge_sort_block_merge_implIS3_PbPS5_jNS1_19radix_merge_compareILb0ELb0EbNS0_19identity_decomposerEEEEE10hipError_tT0_T1_T2_jT3_P12ihipStream_tbPNSt15iterator_traitsISE_E10value_typeEPNSK_ISF_E10value_typeEPSG_NS1_7vsmem_tEENKUlT_SE_SF_SG_E_clIS8_S8_S9_S9_EESD_ST_SE_SF_SG_EUlST_E_NS1_11comp_targetILNS1_3genE10ELNS1_11target_archE1201ELNS1_3gpuE5ELNS1_3repE0EEENS1_48merge_mergepath_partition_config_static_selectorELNS0_4arch9wavefront6targetE0EEEvSF_.private_seg_size, 0
	.set _ZN7rocprim17ROCPRIM_400000_NS6detail17trampoline_kernelINS0_14default_configENS1_38merge_sort_block_merge_config_selectorIbNS0_10empty_typeEEEZZNS1_27merge_sort_block_merge_implIS3_PbPS5_jNS1_19radix_merge_compareILb0ELb0EbNS0_19identity_decomposerEEEEE10hipError_tT0_T1_T2_jT3_P12ihipStream_tbPNSt15iterator_traitsISE_E10value_typeEPNSK_ISF_E10value_typeEPSG_NS1_7vsmem_tEENKUlT_SE_SF_SG_E_clIS8_S8_S9_S9_EESD_ST_SE_SF_SG_EUlST_E_NS1_11comp_targetILNS1_3genE10ELNS1_11target_archE1201ELNS1_3gpuE5ELNS1_3repE0EEENS1_48merge_mergepath_partition_config_static_selectorELNS0_4arch9wavefront6targetE0EEEvSF_.uses_vcc, 0
	.set _ZN7rocprim17ROCPRIM_400000_NS6detail17trampoline_kernelINS0_14default_configENS1_38merge_sort_block_merge_config_selectorIbNS0_10empty_typeEEEZZNS1_27merge_sort_block_merge_implIS3_PbPS5_jNS1_19radix_merge_compareILb0ELb0EbNS0_19identity_decomposerEEEEE10hipError_tT0_T1_T2_jT3_P12ihipStream_tbPNSt15iterator_traitsISE_E10value_typeEPNSK_ISF_E10value_typeEPSG_NS1_7vsmem_tEENKUlT_SE_SF_SG_E_clIS8_S8_S9_S9_EESD_ST_SE_SF_SG_EUlST_E_NS1_11comp_targetILNS1_3genE10ELNS1_11target_archE1201ELNS1_3gpuE5ELNS1_3repE0EEENS1_48merge_mergepath_partition_config_static_selectorELNS0_4arch9wavefront6targetE0EEEvSF_.uses_flat_scratch, 0
	.set _ZN7rocprim17ROCPRIM_400000_NS6detail17trampoline_kernelINS0_14default_configENS1_38merge_sort_block_merge_config_selectorIbNS0_10empty_typeEEEZZNS1_27merge_sort_block_merge_implIS3_PbPS5_jNS1_19radix_merge_compareILb0ELb0EbNS0_19identity_decomposerEEEEE10hipError_tT0_T1_T2_jT3_P12ihipStream_tbPNSt15iterator_traitsISE_E10value_typeEPNSK_ISF_E10value_typeEPSG_NS1_7vsmem_tEENKUlT_SE_SF_SG_E_clIS8_S8_S9_S9_EESD_ST_SE_SF_SG_EUlST_E_NS1_11comp_targetILNS1_3genE10ELNS1_11target_archE1201ELNS1_3gpuE5ELNS1_3repE0EEENS1_48merge_mergepath_partition_config_static_selectorELNS0_4arch9wavefront6targetE0EEEvSF_.has_dyn_sized_stack, 0
	.set _ZN7rocprim17ROCPRIM_400000_NS6detail17trampoline_kernelINS0_14default_configENS1_38merge_sort_block_merge_config_selectorIbNS0_10empty_typeEEEZZNS1_27merge_sort_block_merge_implIS3_PbPS5_jNS1_19radix_merge_compareILb0ELb0EbNS0_19identity_decomposerEEEEE10hipError_tT0_T1_T2_jT3_P12ihipStream_tbPNSt15iterator_traitsISE_E10value_typeEPNSK_ISF_E10value_typeEPSG_NS1_7vsmem_tEENKUlT_SE_SF_SG_E_clIS8_S8_S9_S9_EESD_ST_SE_SF_SG_EUlST_E_NS1_11comp_targetILNS1_3genE10ELNS1_11target_archE1201ELNS1_3gpuE5ELNS1_3repE0EEENS1_48merge_mergepath_partition_config_static_selectorELNS0_4arch9wavefront6targetE0EEEvSF_.has_recursion, 0
	.set _ZN7rocprim17ROCPRIM_400000_NS6detail17trampoline_kernelINS0_14default_configENS1_38merge_sort_block_merge_config_selectorIbNS0_10empty_typeEEEZZNS1_27merge_sort_block_merge_implIS3_PbPS5_jNS1_19radix_merge_compareILb0ELb0EbNS0_19identity_decomposerEEEEE10hipError_tT0_T1_T2_jT3_P12ihipStream_tbPNSt15iterator_traitsISE_E10value_typeEPNSK_ISF_E10value_typeEPSG_NS1_7vsmem_tEENKUlT_SE_SF_SG_E_clIS8_S8_S9_S9_EESD_ST_SE_SF_SG_EUlST_E_NS1_11comp_targetILNS1_3genE10ELNS1_11target_archE1201ELNS1_3gpuE5ELNS1_3repE0EEENS1_48merge_mergepath_partition_config_static_selectorELNS0_4arch9wavefront6targetE0EEEvSF_.has_indirect_call, 0
	.section	.AMDGPU.csdata,"",@progbits
; Kernel info:
; codeLenInByte = 0
; TotalNumSgprs: 0
; NumVgprs: 0
; ScratchSize: 0
; MemoryBound: 0
; FloatMode: 240
; IeeeMode: 1
; LDSByteSize: 0 bytes/workgroup (compile time only)
; SGPRBlocks: 0
; VGPRBlocks: 0
; NumSGPRsForWavesPerEU: 1
; NumVGPRsForWavesPerEU: 1
; NamedBarCnt: 0
; Occupancy: 16
; WaveLimiterHint : 0
; COMPUTE_PGM_RSRC2:SCRATCH_EN: 0
; COMPUTE_PGM_RSRC2:USER_SGPR: 2
; COMPUTE_PGM_RSRC2:TRAP_HANDLER: 0
; COMPUTE_PGM_RSRC2:TGID_X_EN: 1
; COMPUTE_PGM_RSRC2:TGID_Y_EN: 0
; COMPUTE_PGM_RSRC2:TGID_Z_EN: 0
; COMPUTE_PGM_RSRC2:TIDIG_COMP_CNT: 0
	.section	.text._ZN7rocprim17ROCPRIM_400000_NS6detail17trampoline_kernelINS0_14default_configENS1_38merge_sort_block_merge_config_selectorIbNS0_10empty_typeEEEZZNS1_27merge_sort_block_merge_implIS3_PbPS5_jNS1_19radix_merge_compareILb0ELb0EbNS0_19identity_decomposerEEEEE10hipError_tT0_T1_T2_jT3_P12ihipStream_tbPNSt15iterator_traitsISE_E10value_typeEPNSK_ISF_E10value_typeEPSG_NS1_7vsmem_tEENKUlT_SE_SF_SG_E_clIS8_S8_S9_S9_EESD_ST_SE_SF_SG_EUlST_E_NS1_11comp_targetILNS1_3genE5ELNS1_11target_archE942ELNS1_3gpuE9ELNS1_3repE0EEENS1_48merge_mergepath_partition_config_static_selectorELNS0_4arch9wavefront6targetE0EEEvSF_,"axG",@progbits,_ZN7rocprim17ROCPRIM_400000_NS6detail17trampoline_kernelINS0_14default_configENS1_38merge_sort_block_merge_config_selectorIbNS0_10empty_typeEEEZZNS1_27merge_sort_block_merge_implIS3_PbPS5_jNS1_19radix_merge_compareILb0ELb0EbNS0_19identity_decomposerEEEEE10hipError_tT0_T1_T2_jT3_P12ihipStream_tbPNSt15iterator_traitsISE_E10value_typeEPNSK_ISF_E10value_typeEPSG_NS1_7vsmem_tEENKUlT_SE_SF_SG_E_clIS8_S8_S9_S9_EESD_ST_SE_SF_SG_EUlST_E_NS1_11comp_targetILNS1_3genE5ELNS1_11target_archE942ELNS1_3gpuE9ELNS1_3repE0EEENS1_48merge_mergepath_partition_config_static_selectorELNS0_4arch9wavefront6targetE0EEEvSF_,comdat
	.protected	_ZN7rocprim17ROCPRIM_400000_NS6detail17trampoline_kernelINS0_14default_configENS1_38merge_sort_block_merge_config_selectorIbNS0_10empty_typeEEEZZNS1_27merge_sort_block_merge_implIS3_PbPS5_jNS1_19radix_merge_compareILb0ELb0EbNS0_19identity_decomposerEEEEE10hipError_tT0_T1_T2_jT3_P12ihipStream_tbPNSt15iterator_traitsISE_E10value_typeEPNSK_ISF_E10value_typeEPSG_NS1_7vsmem_tEENKUlT_SE_SF_SG_E_clIS8_S8_S9_S9_EESD_ST_SE_SF_SG_EUlST_E_NS1_11comp_targetILNS1_3genE5ELNS1_11target_archE942ELNS1_3gpuE9ELNS1_3repE0EEENS1_48merge_mergepath_partition_config_static_selectorELNS0_4arch9wavefront6targetE0EEEvSF_ ; -- Begin function _ZN7rocprim17ROCPRIM_400000_NS6detail17trampoline_kernelINS0_14default_configENS1_38merge_sort_block_merge_config_selectorIbNS0_10empty_typeEEEZZNS1_27merge_sort_block_merge_implIS3_PbPS5_jNS1_19radix_merge_compareILb0ELb0EbNS0_19identity_decomposerEEEEE10hipError_tT0_T1_T2_jT3_P12ihipStream_tbPNSt15iterator_traitsISE_E10value_typeEPNSK_ISF_E10value_typeEPSG_NS1_7vsmem_tEENKUlT_SE_SF_SG_E_clIS8_S8_S9_S9_EESD_ST_SE_SF_SG_EUlST_E_NS1_11comp_targetILNS1_3genE5ELNS1_11target_archE942ELNS1_3gpuE9ELNS1_3repE0EEENS1_48merge_mergepath_partition_config_static_selectorELNS0_4arch9wavefront6targetE0EEEvSF_
	.globl	_ZN7rocprim17ROCPRIM_400000_NS6detail17trampoline_kernelINS0_14default_configENS1_38merge_sort_block_merge_config_selectorIbNS0_10empty_typeEEEZZNS1_27merge_sort_block_merge_implIS3_PbPS5_jNS1_19radix_merge_compareILb0ELb0EbNS0_19identity_decomposerEEEEE10hipError_tT0_T1_T2_jT3_P12ihipStream_tbPNSt15iterator_traitsISE_E10value_typeEPNSK_ISF_E10value_typeEPSG_NS1_7vsmem_tEENKUlT_SE_SF_SG_E_clIS8_S8_S9_S9_EESD_ST_SE_SF_SG_EUlST_E_NS1_11comp_targetILNS1_3genE5ELNS1_11target_archE942ELNS1_3gpuE9ELNS1_3repE0EEENS1_48merge_mergepath_partition_config_static_selectorELNS0_4arch9wavefront6targetE0EEEvSF_
	.p2align	8
	.type	_ZN7rocprim17ROCPRIM_400000_NS6detail17trampoline_kernelINS0_14default_configENS1_38merge_sort_block_merge_config_selectorIbNS0_10empty_typeEEEZZNS1_27merge_sort_block_merge_implIS3_PbPS5_jNS1_19radix_merge_compareILb0ELb0EbNS0_19identity_decomposerEEEEE10hipError_tT0_T1_T2_jT3_P12ihipStream_tbPNSt15iterator_traitsISE_E10value_typeEPNSK_ISF_E10value_typeEPSG_NS1_7vsmem_tEENKUlT_SE_SF_SG_E_clIS8_S8_S9_S9_EESD_ST_SE_SF_SG_EUlST_E_NS1_11comp_targetILNS1_3genE5ELNS1_11target_archE942ELNS1_3gpuE9ELNS1_3repE0EEENS1_48merge_mergepath_partition_config_static_selectorELNS0_4arch9wavefront6targetE0EEEvSF_,@function
_ZN7rocprim17ROCPRIM_400000_NS6detail17trampoline_kernelINS0_14default_configENS1_38merge_sort_block_merge_config_selectorIbNS0_10empty_typeEEEZZNS1_27merge_sort_block_merge_implIS3_PbPS5_jNS1_19radix_merge_compareILb0ELb0EbNS0_19identity_decomposerEEEEE10hipError_tT0_T1_T2_jT3_P12ihipStream_tbPNSt15iterator_traitsISE_E10value_typeEPNSK_ISF_E10value_typeEPSG_NS1_7vsmem_tEENKUlT_SE_SF_SG_E_clIS8_S8_S9_S9_EESD_ST_SE_SF_SG_EUlST_E_NS1_11comp_targetILNS1_3genE5ELNS1_11target_archE942ELNS1_3gpuE9ELNS1_3repE0EEENS1_48merge_mergepath_partition_config_static_selectorELNS0_4arch9wavefront6targetE0EEEvSF_: ; @_ZN7rocprim17ROCPRIM_400000_NS6detail17trampoline_kernelINS0_14default_configENS1_38merge_sort_block_merge_config_selectorIbNS0_10empty_typeEEEZZNS1_27merge_sort_block_merge_implIS3_PbPS5_jNS1_19radix_merge_compareILb0ELb0EbNS0_19identity_decomposerEEEEE10hipError_tT0_T1_T2_jT3_P12ihipStream_tbPNSt15iterator_traitsISE_E10value_typeEPNSK_ISF_E10value_typeEPSG_NS1_7vsmem_tEENKUlT_SE_SF_SG_E_clIS8_S8_S9_S9_EESD_ST_SE_SF_SG_EUlST_E_NS1_11comp_targetILNS1_3genE5ELNS1_11target_archE942ELNS1_3gpuE9ELNS1_3repE0EEENS1_48merge_mergepath_partition_config_static_selectorELNS0_4arch9wavefront6targetE0EEEvSF_
; %bb.0:
	.section	.rodata,"a",@progbits
	.p2align	6, 0x0
	.amdhsa_kernel _ZN7rocprim17ROCPRIM_400000_NS6detail17trampoline_kernelINS0_14default_configENS1_38merge_sort_block_merge_config_selectorIbNS0_10empty_typeEEEZZNS1_27merge_sort_block_merge_implIS3_PbPS5_jNS1_19radix_merge_compareILb0ELb0EbNS0_19identity_decomposerEEEEE10hipError_tT0_T1_T2_jT3_P12ihipStream_tbPNSt15iterator_traitsISE_E10value_typeEPNSK_ISF_E10value_typeEPSG_NS1_7vsmem_tEENKUlT_SE_SF_SG_E_clIS8_S8_S9_S9_EESD_ST_SE_SF_SG_EUlST_E_NS1_11comp_targetILNS1_3genE5ELNS1_11target_archE942ELNS1_3gpuE9ELNS1_3repE0EEENS1_48merge_mergepath_partition_config_static_selectorELNS0_4arch9wavefront6targetE0EEEvSF_
		.amdhsa_group_segment_fixed_size 0
		.amdhsa_private_segment_fixed_size 0
		.amdhsa_kernarg_size 40
		.amdhsa_user_sgpr_count 2
		.amdhsa_user_sgpr_dispatch_ptr 0
		.amdhsa_user_sgpr_queue_ptr 0
		.amdhsa_user_sgpr_kernarg_segment_ptr 1
		.amdhsa_user_sgpr_dispatch_id 0
		.amdhsa_user_sgpr_kernarg_preload_length 0
		.amdhsa_user_sgpr_kernarg_preload_offset 0
		.amdhsa_user_sgpr_private_segment_size 0
		.amdhsa_wavefront_size32 1
		.amdhsa_uses_dynamic_stack 0
		.amdhsa_enable_private_segment 0
		.amdhsa_system_sgpr_workgroup_id_x 1
		.amdhsa_system_sgpr_workgroup_id_y 0
		.amdhsa_system_sgpr_workgroup_id_z 0
		.amdhsa_system_sgpr_workgroup_info 0
		.amdhsa_system_vgpr_workitem_id 0
		.amdhsa_next_free_vgpr 1
		.amdhsa_next_free_sgpr 1
		.amdhsa_named_barrier_count 0
		.amdhsa_reserve_vcc 0
		.amdhsa_float_round_mode_32 0
		.amdhsa_float_round_mode_16_64 0
		.amdhsa_float_denorm_mode_32 3
		.amdhsa_float_denorm_mode_16_64 3
		.amdhsa_fp16_overflow 0
		.amdhsa_memory_ordered 1
		.amdhsa_forward_progress 1
		.amdhsa_inst_pref_size 0
		.amdhsa_round_robin_scheduling 0
		.amdhsa_exception_fp_ieee_invalid_op 0
		.amdhsa_exception_fp_denorm_src 0
		.amdhsa_exception_fp_ieee_div_zero 0
		.amdhsa_exception_fp_ieee_overflow 0
		.amdhsa_exception_fp_ieee_underflow 0
		.amdhsa_exception_fp_ieee_inexact 0
		.amdhsa_exception_int_div_zero 0
	.end_amdhsa_kernel
	.section	.text._ZN7rocprim17ROCPRIM_400000_NS6detail17trampoline_kernelINS0_14default_configENS1_38merge_sort_block_merge_config_selectorIbNS0_10empty_typeEEEZZNS1_27merge_sort_block_merge_implIS3_PbPS5_jNS1_19radix_merge_compareILb0ELb0EbNS0_19identity_decomposerEEEEE10hipError_tT0_T1_T2_jT3_P12ihipStream_tbPNSt15iterator_traitsISE_E10value_typeEPNSK_ISF_E10value_typeEPSG_NS1_7vsmem_tEENKUlT_SE_SF_SG_E_clIS8_S8_S9_S9_EESD_ST_SE_SF_SG_EUlST_E_NS1_11comp_targetILNS1_3genE5ELNS1_11target_archE942ELNS1_3gpuE9ELNS1_3repE0EEENS1_48merge_mergepath_partition_config_static_selectorELNS0_4arch9wavefront6targetE0EEEvSF_,"axG",@progbits,_ZN7rocprim17ROCPRIM_400000_NS6detail17trampoline_kernelINS0_14default_configENS1_38merge_sort_block_merge_config_selectorIbNS0_10empty_typeEEEZZNS1_27merge_sort_block_merge_implIS3_PbPS5_jNS1_19radix_merge_compareILb0ELb0EbNS0_19identity_decomposerEEEEE10hipError_tT0_T1_T2_jT3_P12ihipStream_tbPNSt15iterator_traitsISE_E10value_typeEPNSK_ISF_E10value_typeEPSG_NS1_7vsmem_tEENKUlT_SE_SF_SG_E_clIS8_S8_S9_S9_EESD_ST_SE_SF_SG_EUlST_E_NS1_11comp_targetILNS1_3genE5ELNS1_11target_archE942ELNS1_3gpuE9ELNS1_3repE0EEENS1_48merge_mergepath_partition_config_static_selectorELNS0_4arch9wavefront6targetE0EEEvSF_,comdat
.Lfunc_end1788:
	.size	_ZN7rocprim17ROCPRIM_400000_NS6detail17trampoline_kernelINS0_14default_configENS1_38merge_sort_block_merge_config_selectorIbNS0_10empty_typeEEEZZNS1_27merge_sort_block_merge_implIS3_PbPS5_jNS1_19radix_merge_compareILb0ELb0EbNS0_19identity_decomposerEEEEE10hipError_tT0_T1_T2_jT3_P12ihipStream_tbPNSt15iterator_traitsISE_E10value_typeEPNSK_ISF_E10value_typeEPSG_NS1_7vsmem_tEENKUlT_SE_SF_SG_E_clIS8_S8_S9_S9_EESD_ST_SE_SF_SG_EUlST_E_NS1_11comp_targetILNS1_3genE5ELNS1_11target_archE942ELNS1_3gpuE9ELNS1_3repE0EEENS1_48merge_mergepath_partition_config_static_selectorELNS0_4arch9wavefront6targetE0EEEvSF_, .Lfunc_end1788-_ZN7rocprim17ROCPRIM_400000_NS6detail17trampoline_kernelINS0_14default_configENS1_38merge_sort_block_merge_config_selectorIbNS0_10empty_typeEEEZZNS1_27merge_sort_block_merge_implIS3_PbPS5_jNS1_19radix_merge_compareILb0ELb0EbNS0_19identity_decomposerEEEEE10hipError_tT0_T1_T2_jT3_P12ihipStream_tbPNSt15iterator_traitsISE_E10value_typeEPNSK_ISF_E10value_typeEPSG_NS1_7vsmem_tEENKUlT_SE_SF_SG_E_clIS8_S8_S9_S9_EESD_ST_SE_SF_SG_EUlST_E_NS1_11comp_targetILNS1_3genE5ELNS1_11target_archE942ELNS1_3gpuE9ELNS1_3repE0EEENS1_48merge_mergepath_partition_config_static_selectorELNS0_4arch9wavefront6targetE0EEEvSF_
                                        ; -- End function
	.set _ZN7rocprim17ROCPRIM_400000_NS6detail17trampoline_kernelINS0_14default_configENS1_38merge_sort_block_merge_config_selectorIbNS0_10empty_typeEEEZZNS1_27merge_sort_block_merge_implIS3_PbPS5_jNS1_19radix_merge_compareILb0ELb0EbNS0_19identity_decomposerEEEEE10hipError_tT0_T1_T2_jT3_P12ihipStream_tbPNSt15iterator_traitsISE_E10value_typeEPNSK_ISF_E10value_typeEPSG_NS1_7vsmem_tEENKUlT_SE_SF_SG_E_clIS8_S8_S9_S9_EESD_ST_SE_SF_SG_EUlST_E_NS1_11comp_targetILNS1_3genE5ELNS1_11target_archE942ELNS1_3gpuE9ELNS1_3repE0EEENS1_48merge_mergepath_partition_config_static_selectorELNS0_4arch9wavefront6targetE0EEEvSF_.num_vgpr, 0
	.set _ZN7rocprim17ROCPRIM_400000_NS6detail17trampoline_kernelINS0_14default_configENS1_38merge_sort_block_merge_config_selectorIbNS0_10empty_typeEEEZZNS1_27merge_sort_block_merge_implIS3_PbPS5_jNS1_19radix_merge_compareILb0ELb0EbNS0_19identity_decomposerEEEEE10hipError_tT0_T1_T2_jT3_P12ihipStream_tbPNSt15iterator_traitsISE_E10value_typeEPNSK_ISF_E10value_typeEPSG_NS1_7vsmem_tEENKUlT_SE_SF_SG_E_clIS8_S8_S9_S9_EESD_ST_SE_SF_SG_EUlST_E_NS1_11comp_targetILNS1_3genE5ELNS1_11target_archE942ELNS1_3gpuE9ELNS1_3repE0EEENS1_48merge_mergepath_partition_config_static_selectorELNS0_4arch9wavefront6targetE0EEEvSF_.num_agpr, 0
	.set _ZN7rocprim17ROCPRIM_400000_NS6detail17trampoline_kernelINS0_14default_configENS1_38merge_sort_block_merge_config_selectorIbNS0_10empty_typeEEEZZNS1_27merge_sort_block_merge_implIS3_PbPS5_jNS1_19radix_merge_compareILb0ELb0EbNS0_19identity_decomposerEEEEE10hipError_tT0_T1_T2_jT3_P12ihipStream_tbPNSt15iterator_traitsISE_E10value_typeEPNSK_ISF_E10value_typeEPSG_NS1_7vsmem_tEENKUlT_SE_SF_SG_E_clIS8_S8_S9_S9_EESD_ST_SE_SF_SG_EUlST_E_NS1_11comp_targetILNS1_3genE5ELNS1_11target_archE942ELNS1_3gpuE9ELNS1_3repE0EEENS1_48merge_mergepath_partition_config_static_selectorELNS0_4arch9wavefront6targetE0EEEvSF_.numbered_sgpr, 0
	.set _ZN7rocprim17ROCPRIM_400000_NS6detail17trampoline_kernelINS0_14default_configENS1_38merge_sort_block_merge_config_selectorIbNS0_10empty_typeEEEZZNS1_27merge_sort_block_merge_implIS3_PbPS5_jNS1_19radix_merge_compareILb0ELb0EbNS0_19identity_decomposerEEEEE10hipError_tT0_T1_T2_jT3_P12ihipStream_tbPNSt15iterator_traitsISE_E10value_typeEPNSK_ISF_E10value_typeEPSG_NS1_7vsmem_tEENKUlT_SE_SF_SG_E_clIS8_S8_S9_S9_EESD_ST_SE_SF_SG_EUlST_E_NS1_11comp_targetILNS1_3genE5ELNS1_11target_archE942ELNS1_3gpuE9ELNS1_3repE0EEENS1_48merge_mergepath_partition_config_static_selectorELNS0_4arch9wavefront6targetE0EEEvSF_.num_named_barrier, 0
	.set _ZN7rocprim17ROCPRIM_400000_NS6detail17trampoline_kernelINS0_14default_configENS1_38merge_sort_block_merge_config_selectorIbNS0_10empty_typeEEEZZNS1_27merge_sort_block_merge_implIS3_PbPS5_jNS1_19radix_merge_compareILb0ELb0EbNS0_19identity_decomposerEEEEE10hipError_tT0_T1_T2_jT3_P12ihipStream_tbPNSt15iterator_traitsISE_E10value_typeEPNSK_ISF_E10value_typeEPSG_NS1_7vsmem_tEENKUlT_SE_SF_SG_E_clIS8_S8_S9_S9_EESD_ST_SE_SF_SG_EUlST_E_NS1_11comp_targetILNS1_3genE5ELNS1_11target_archE942ELNS1_3gpuE9ELNS1_3repE0EEENS1_48merge_mergepath_partition_config_static_selectorELNS0_4arch9wavefront6targetE0EEEvSF_.private_seg_size, 0
	.set _ZN7rocprim17ROCPRIM_400000_NS6detail17trampoline_kernelINS0_14default_configENS1_38merge_sort_block_merge_config_selectorIbNS0_10empty_typeEEEZZNS1_27merge_sort_block_merge_implIS3_PbPS5_jNS1_19radix_merge_compareILb0ELb0EbNS0_19identity_decomposerEEEEE10hipError_tT0_T1_T2_jT3_P12ihipStream_tbPNSt15iterator_traitsISE_E10value_typeEPNSK_ISF_E10value_typeEPSG_NS1_7vsmem_tEENKUlT_SE_SF_SG_E_clIS8_S8_S9_S9_EESD_ST_SE_SF_SG_EUlST_E_NS1_11comp_targetILNS1_3genE5ELNS1_11target_archE942ELNS1_3gpuE9ELNS1_3repE0EEENS1_48merge_mergepath_partition_config_static_selectorELNS0_4arch9wavefront6targetE0EEEvSF_.uses_vcc, 0
	.set _ZN7rocprim17ROCPRIM_400000_NS6detail17trampoline_kernelINS0_14default_configENS1_38merge_sort_block_merge_config_selectorIbNS0_10empty_typeEEEZZNS1_27merge_sort_block_merge_implIS3_PbPS5_jNS1_19radix_merge_compareILb0ELb0EbNS0_19identity_decomposerEEEEE10hipError_tT0_T1_T2_jT3_P12ihipStream_tbPNSt15iterator_traitsISE_E10value_typeEPNSK_ISF_E10value_typeEPSG_NS1_7vsmem_tEENKUlT_SE_SF_SG_E_clIS8_S8_S9_S9_EESD_ST_SE_SF_SG_EUlST_E_NS1_11comp_targetILNS1_3genE5ELNS1_11target_archE942ELNS1_3gpuE9ELNS1_3repE0EEENS1_48merge_mergepath_partition_config_static_selectorELNS0_4arch9wavefront6targetE0EEEvSF_.uses_flat_scratch, 0
	.set _ZN7rocprim17ROCPRIM_400000_NS6detail17trampoline_kernelINS0_14default_configENS1_38merge_sort_block_merge_config_selectorIbNS0_10empty_typeEEEZZNS1_27merge_sort_block_merge_implIS3_PbPS5_jNS1_19radix_merge_compareILb0ELb0EbNS0_19identity_decomposerEEEEE10hipError_tT0_T1_T2_jT3_P12ihipStream_tbPNSt15iterator_traitsISE_E10value_typeEPNSK_ISF_E10value_typeEPSG_NS1_7vsmem_tEENKUlT_SE_SF_SG_E_clIS8_S8_S9_S9_EESD_ST_SE_SF_SG_EUlST_E_NS1_11comp_targetILNS1_3genE5ELNS1_11target_archE942ELNS1_3gpuE9ELNS1_3repE0EEENS1_48merge_mergepath_partition_config_static_selectorELNS0_4arch9wavefront6targetE0EEEvSF_.has_dyn_sized_stack, 0
	.set _ZN7rocprim17ROCPRIM_400000_NS6detail17trampoline_kernelINS0_14default_configENS1_38merge_sort_block_merge_config_selectorIbNS0_10empty_typeEEEZZNS1_27merge_sort_block_merge_implIS3_PbPS5_jNS1_19radix_merge_compareILb0ELb0EbNS0_19identity_decomposerEEEEE10hipError_tT0_T1_T2_jT3_P12ihipStream_tbPNSt15iterator_traitsISE_E10value_typeEPNSK_ISF_E10value_typeEPSG_NS1_7vsmem_tEENKUlT_SE_SF_SG_E_clIS8_S8_S9_S9_EESD_ST_SE_SF_SG_EUlST_E_NS1_11comp_targetILNS1_3genE5ELNS1_11target_archE942ELNS1_3gpuE9ELNS1_3repE0EEENS1_48merge_mergepath_partition_config_static_selectorELNS0_4arch9wavefront6targetE0EEEvSF_.has_recursion, 0
	.set _ZN7rocprim17ROCPRIM_400000_NS6detail17trampoline_kernelINS0_14default_configENS1_38merge_sort_block_merge_config_selectorIbNS0_10empty_typeEEEZZNS1_27merge_sort_block_merge_implIS3_PbPS5_jNS1_19radix_merge_compareILb0ELb0EbNS0_19identity_decomposerEEEEE10hipError_tT0_T1_T2_jT3_P12ihipStream_tbPNSt15iterator_traitsISE_E10value_typeEPNSK_ISF_E10value_typeEPSG_NS1_7vsmem_tEENKUlT_SE_SF_SG_E_clIS8_S8_S9_S9_EESD_ST_SE_SF_SG_EUlST_E_NS1_11comp_targetILNS1_3genE5ELNS1_11target_archE942ELNS1_3gpuE9ELNS1_3repE0EEENS1_48merge_mergepath_partition_config_static_selectorELNS0_4arch9wavefront6targetE0EEEvSF_.has_indirect_call, 0
	.section	.AMDGPU.csdata,"",@progbits
; Kernel info:
; codeLenInByte = 0
; TotalNumSgprs: 0
; NumVgprs: 0
; ScratchSize: 0
; MemoryBound: 0
; FloatMode: 240
; IeeeMode: 1
; LDSByteSize: 0 bytes/workgroup (compile time only)
; SGPRBlocks: 0
; VGPRBlocks: 0
; NumSGPRsForWavesPerEU: 1
; NumVGPRsForWavesPerEU: 1
; NamedBarCnt: 0
; Occupancy: 16
; WaveLimiterHint : 0
; COMPUTE_PGM_RSRC2:SCRATCH_EN: 0
; COMPUTE_PGM_RSRC2:USER_SGPR: 2
; COMPUTE_PGM_RSRC2:TRAP_HANDLER: 0
; COMPUTE_PGM_RSRC2:TGID_X_EN: 1
; COMPUTE_PGM_RSRC2:TGID_Y_EN: 0
; COMPUTE_PGM_RSRC2:TGID_Z_EN: 0
; COMPUTE_PGM_RSRC2:TIDIG_COMP_CNT: 0
	.section	.text._ZN7rocprim17ROCPRIM_400000_NS6detail17trampoline_kernelINS0_14default_configENS1_38merge_sort_block_merge_config_selectorIbNS0_10empty_typeEEEZZNS1_27merge_sort_block_merge_implIS3_PbPS5_jNS1_19radix_merge_compareILb0ELb0EbNS0_19identity_decomposerEEEEE10hipError_tT0_T1_T2_jT3_P12ihipStream_tbPNSt15iterator_traitsISE_E10value_typeEPNSK_ISF_E10value_typeEPSG_NS1_7vsmem_tEENKUlT_SE_SF_SG_E_clIS8_S8_S9_S9_EESD_ST_SE_SF_SG_EUlST_E_NS1_11comp_targetILNS1_3genE4ELNS1_11target_archE910ELNS1_3gpuE8ELNS1_3repE0EEENS1_48merge_mergepath_partition_config_static_selectorELNS0_4arch9wavefront6targetE0EEEvSF_,"axG",@progbits,_ZN7rocprim17ROCPRIM_400000_NS6detail17trampoline_kernelINS0_14default_configENS1_38merge_sort_block_merge_config_selectorIbNS0_10empty_typeEEEZZNS1_27merge_sort_block_merge_implIS3_PbPS5_jNS1_19radix_merge_compareILb0ELb0EbNS0_19identity_decomposerEEEEE10hipError_tT0_T1_T2_jT3_P12ihipStream_tbPNSt15iterator_traitsISE_E10value_typeEPNSK_ISF_E10value_typeEPSG_NS1_7vsmem_tEENKUlT_SE_SF_SG_E_clIS8_S8_S9_S9_EESD_ST_SE_SF_SG_EUlST_E_NS1_11comp_targetILNS1_3genE4ELNS1_11target_archE910ELNS1_3gpuE8ELNS1_3repE0EEENS1_48merge_mergepath_partition_config_static_selectorELNS0_4arch9wavefront6targetE0EEEvSF_,comdat
	.protected	_ZN7rocprim17ROCPRIM_400000_NS6detail17trampoline_kernelINS0_14default_configENS1_38merge_sort_block_merge_config_selectorIbNS0_10empty_typeEEEZZNS1_27merge_sort_block_merge_implIS3_PbPS5_jNS1_19radix_merge_compareILb0ELb0EbNS0_19identity_decomposerEEEEE10hipError_tT0_T1_T2_jT3_P12ihipStream_tbPNSt15iterator_traitsISE_E10value_typeEPNSK_ISF_E10value_typeEPSG_NS1_7vsmem_tEENKUlT_SE_SF_SG_E_clIS8_S8_S9_S9_EESD_ST_SE_SF_SG_EUlST_E_NS1_11comp_targetILNS1_3genE4ELNS1_11target_archE910ELNS1_3gpuE8ELNS1_3repE0EEENS1_48merge_mergepath_partition_config_static_selectorELNS0_4arch9wavefront6targetE0EEEvSF_ ; -- Begin function _ZN7rocprim17ROCPRIM_400000_NS6detail17trampoline_kernelINS0_14default_configENS1_38merge_sort_block_merge_config_selectorIbNS0_10empty_typeEEEZZNS1_27merge_sort_block_merge_implIS3_PbPS5_jNS1_19radix_merge_compareILb0ELb0EbNS0_19identity_decomposerEEEEE10hipError_tT0_T1_T2_jT3_P12ihipStream_tbPNSt15iterator_traitsISE_E10value_typeEPNSK_ISF_E10value_typeEPSG_NS1_7vsmem_tEENKUlT_SE_SF_SG_E_clIS8_S8_S9_S9_EESD_ST_SE_SF_SG_EUlST_E_NS1_11comp_targetILNS1_3genE4ELNS1_11target_archE910ELNS1_3gpuE8ELNS1_3repE0EEENS1_48merge_mergepath_partition_config_static_selectorELNS0_4arch9wavefront6targetE0EEEvSF_
	.globl	_ZN7rocprim17ROCPRIM_400000_NS6detail17trampoline_kernelINS0_14default_configENS1_38merge_sort_block_merge_config_selectorIbNS0_10empty_typeEEEZZNS1_27merge_sort_block_merge_implIS3_PbPS5_jNS1_19radix_merge_compareILb0ELb0EbNS0_19identity_decomposerEEEEE10hipError_tT0_T1_T2_jT3_P12ihipStream_tbPNSt15iterator_traitsISE_E10value_typeEPNSK_ISF_E10value_typeEPSG_NS1_7vsmem_tEENKUlT_SE_SF_SG_E_clIS8_S8_S9_S9_EESD_ST_SE_SF_SG_EUlST_E_NS1_11comp_targetILNS1_3genE4ELNS1_11target_archE910ELNS1_3gpuE8ELNS1_3repE0EEENS1_48merge_mergepath_partition_config_static_selectorELNS0_4arch9wavefront6targetE0EEEvSF_
	.p2align	8
	.type	_ZN7rocprim17ROCPRIM_400000_NS6detail17trampoline_kernelINS0_14default_configENS1_38merge_sort_block_merge_config_selectorIbNS0_10empty_typeEEEZZNS1_27merge_sort_block_merge_implIS3_PbPS5_jNS1_19radix_merge_compareILb0ELb0EbNS0_19identity_decomposerEEEEE10hipError_tT0_T1_T2_jT3_P12ihipStream_tbPNSt15iterator_traitsISE_E10value_typeEPNSK_ISF_E10value_typeEPSG_NS1_7vsmem_tEENKUlT_SE_SF_SG_E_clIS8_S8_S9_S9_EESD_ST_SE_SF_SG_EUlST_E_NS1_11comp_targetILNS1_3genE4ELNS1_11target_archE910ELNS1_3gpuE8ELNS1_3repE0EEENS1_48merge_mergepath_partition_config_static_selectorELNS0_4arch9wavefront6targetE0EEEvSF_,@function
_ZN7rocprim17ROCPRIM_400000_NS6detail17trampoline_kernelINS0_14default_configENS1_38merge_sort_block_merge_config_selectorIbNS0_10empty_typeEEEZZNS1_27merge_sort_block_merge_implIS3_PbPS5_jNS1_19radix_merge_compareILb0ELb0EbNS0_19identity_decomposerEEEEE10hipError_tT0_T1_T2_jT3_P12ihipStream_tbPNSt15iterator_traitsISE_E10value_typeEPNSK_ISF_E10value_typeEPSG_NS1_7vsmem_tEENKUlT_SE_SF_SG_E_clIS8_S8_S9_S9_EESD_ST_SE_SF_SG_EUlST_E_NS1_11comp_targetILNS1_3genE4ELNS1_11target_archE910ELNS1_3gpuE8ELNS1_3repE0EEENS1_48merge_mergepath_partition_config_static_selectorELNS0_4arch9wavefront6targetE0EEEvSF_: ; @_ZN7rocprim17ROCPRIM_400000_NS6detail17trampoline_kernelINS0_14default_configENS1_38merge_sort_block_merge_config_selectorIbNS0_10empty_typeEEEZZNS1_27merge_sort_block_merge_implIS3_PbPS5_jNS1_19radix_merge_compareILb0ELb0EbNS0_19identity_decomposerEEEEE10hipError_tT0_T1_T2_jT3_P12ihipStream_tbPNSt15iterator_traitsISE_E10value_typeEPNSK_ISF_E10value_typeEPSG_NS1_7vsmem_tEENKUlT_SE_SF_SG_E_clIS8_S8_S9_S9_EESD_ST_SE_SF_SG_EUlST_E_NS1_11comp_targetILNS1_3genE4ELNS1_11target_archE910ELNS1_3gpuE8ELNS1_3repE0EEENS1_48merge_mergepath_partition_config_static_selectorELNS0_4arch9wavefront6targetE0EEEvSF_
; %bb.0:
	.section	.rodata,"a",@progbits
	.p2align	6, 0x0
	.amdhsa_kernel _ZN7rocprim17ROCPRIM_400000_NS6detail17trampoline_kernelINS0_14default_configENS1_38merge_sort_block_merge_config_selectorIbNS0_10empty_typeEEEZZNS1_27merge_sort_block_merge_implIS3_PbPS5_jNS1_19radix_merge_compareILb0ELb0EbNS0_19identity_decomposerEEEEE10hipError_tT0_T1_T2_jT3_P12ihipStream_tbPNSt15iterator_traitsISE_E10value_typeEPNSK_ISF_E10value_typeEPSG_NS1_7vsmem_tEENKUlT_SE_SF_SG_E_clIS8_S8_S9_S9_EESD_ST_SE_SF_SG_EUlST_E_NS1_11comp_targetILNS1_3genE4ELNS1_11target_archE910ELNS1_3gpuE8ELNS1_3repE0EEENS1_48merge_mergepath_partition_config_static_selectorELNS0_4arch9wavefront6targetE0EEEvSF_
		.amdhsa_group_segment_fixed_size 0
		.amdhsa_private_segment_fixed_size 0
		.amdhsa_kernarg_size 40
		.amdhsa_user_sgpr_count 2
		.amdhsa_user_sgpr_dispatch_ptr 0
		.amdhsa_user_sgpr_queue_ptr 0
		.amdhsa_user_sgpr_kernarg_segment_ptr 1
		.amdhsa_user_sgpr_dispatch_id 0
		.amdhsa_user_sgpr_kernarg_preload_length 0
		.amdhsa_user_sgpr_kernarg_preload_offset 0
		.amdhsa_user_sgpr_private_segment_size 0
		.amdhsa_wavefront_size32 1
		.amdhsa_uses_dynamic_stack 0
		.amdhsa_enable_private_segment 0
		.amdhsa_system_sgpr_workgroup_id_x 1
		.amdhsa_system_sgpr_workgroup_id_y 0
		.amdhsa_system_sgpr_workgroup_id_z 0
		.amdhsa_system_sgpr_workgroup_info 0
		.amdhsa_system_vgpr_workitem_id 0
		.amdhsa_next_free_vgpr 1
		.amdhsa_next_free_sgpr 1
		.amdhsa_named_barrier_count 0
		.amdhsa_reserve_vcc 0
		.amdhsa_float_round_mode_32 0
		.amdhsa_float_round_mode_16_64 0
		.amdhsa_float_denorm_mode_32 3
		.amdhsa_float_denorm_mode_16_64 3
		.amdhsa_fp16_overflow 0
		.amdhsa_memory_ordered 1
		.amdhsa_forward_progress 1
		.amdhsa_inst_pref_size 0
		.amdhsa_round_robin_scheduling 0
		.amdhsa_exception_fp_ieee_invalid_op 0
		.amdhsa_exception_fp_denorm_src 0
		.amdhsa_exception_fp_ieee_div_zero 0
		.amdhsa_exception_fp_ieee_overflow 0
		.amdhsa_exception_fp_ieee_underflow 0
		.amdhsa_exception_fp_ieee_inexact 0
		.amdhsa_exception_int_div_zero 0
	.end_amdhsa_kernel
	.section	.text._ZN7rocprim17ROCPRIM_400000_NS6detail17trampoline_kernelINS0_14default_configENS1_38merge_sort_block_merge_config_selectorIbNS0_10empty_typeEEEZZNS1_27merge_sort_block_merge_implIS3_PbPS5_jNS1_19radix_merge_compareILb0ELb0EbNS0_19identity_decomposerEEEEE10hipError_tT0_T1_T2_jT3_P12ihipStream_tbPNSt15iterator_traitsISE_E10value_typeEPNSK_ISF_E10value_typeEPSG_NS1_7vsmem_tEENKUlT_SE_SF_SG_E_clIS8_S8_S9_S9_EESD_ST_SE_SF_SG_EUlST_E_NS1_11comp_targetILNS1_3genE4ELNS1_11target_archE910ELNS1_3gpuE8ELNS1_3repE0EEENS1_48merge_mergepath_partition_config_static_selectorELNS0_4arch9wavefront6targetE0EEEvSF_,"axG",@progbits,_ZN7rocprim17ROCPRIM_400000_NS6detail17trampoline_kernelINS0_14default_configENS1_38merge_sort_block_merge_config_selectorIbNS0_10empty_typeEEEZZNS1_27merge_sort_block_merge_implIS3_PbPS5_jNS1_19radix_merge_compareILb0ELb0EbNS0_19identity_decomposerEEEEE10hipError_tT0_T1_T2_jT3_P12ihipStream_tbPNSt15iterator_traitsISE_E10value_typeEPNSK_ISF_E10value_typeEPSG_NS1_7vsmem_tEENKUlT_SE_SF_SG_E_clIS8_S8_S9_S9_EESD_ST_SE_SF_SG_EUlST_E_NS1_11comp_targetILNS1_3genE4ELNS1_11target_archE910ELNS1_3gpuE8ELNS1_3repE0EEENS1_48merge_mergepath_partition_config_static_selectorELNS0_4arch9wavefront6targetE0EEEvSF_,comdat
.Lfunc_end1789:
	.size	_ZN7rocprim17ROCPRIM_400000_NS6detail17trampoline_kernelINS0_14default_configENS1_38merge_sort_block_merge_config_selectorIbNS0_10empty_typeEEEZZNS1_27merge_sort_block_merge_implIS3_PbPS5_jNS1_19radix_merge_compareILb0ELb0EbNS0_19identity_decomposerEEEEE10hipError_tT0_T1_T2_jT3_P12ihipStream_tbPNSt15iterator_traitsISE_E10value_typeEPNSK_ISF_E10value_typeEPSG_NS1_7vsmem_tEENKUlT_SE_SF_SG_E_clIS8_S8_S9_S9_EESD_ST_SE_SF_SG_EUlST_E_NS1_11comp_targetILNS1_3genE4ELNS1_11target_archE910ELNS1_3gpuE8ELNS1_3repE0EEENS1_48merge_mergepath_partition_config_static_selectorELNS0_4arch9wavefront6targetE0EEEvSF_, .Lfunc_end1789-_ZN7rocprim17ROCPRIM_400000_NS6detail17trampoline_kernelINS0_14default_configENS1_38merge_sort_block_merge_config_selectorIbNS0_10empty_typeEEEZZNS1_27merge_sort_block_merge_implIS3_PbPS5_jNS1_19radix_merge_compareILb0ELb0EbNS0_19identity_decomposerEEEEE10hipError_tT0_T1_T2_jT3_P12ihipStream_tbPNSt15iterator_traitsISE_E10value_typeEPNSK_ISF_E10value_typeEPSG_NS1_7vsmem_tEENKUlT_SE_SF_SG_E_clIS8_S8_S9_S9_EESD_ST_SE_SF_SG_EUlST_E_NS1_11comp_targetILNS1_3genE4ELNS1_11target_archE910ELNS1_3gpuE8ELNS1_3repE0EEENS1_48merge_mergepath_partition_config_static_selectorELNS0_4arch9wavefront6targetE0EEEvSF_
                                        ; -- End function
	.set _ZN7rocprim17ROCPRIM_400000_NS6detail17trampoline_kernelINS0_14default_configENS1_38merge_sort_block_merge_config_selectorIbNS0_10empty_typeEEEZZNS1_27merge_sort_block_merge_implIS3_PbPS5_jNS1_19radix_merge_compareILb0ELb0EbNS0_19identity_decomposerEEEEE10hipError_tT0_T1_T2_jT3_P12ihipStream_tbPNSt15iterator_traitsISE_E10value_typeEPNSK_ISF_E10value_typeEPSG_NS1_7vsmem_tEENKUlT_SE_SF_SG_E_clIS8_S8_S9_S9_EESD_ST_SE_SF_SG_EUlST_E_NS1_11comp_targetILNS1_3genE4ELNS1_11target_archE910ELNS1_3gpuE8ELNS1_3repE0EEENS1_48merge_mergepath_partition_config_static_selectorELNS0_4arch9wavefront6targetE0EEEvSF_.num_vgpr, 0
	.set _ZN7rocprim17ROCPRIM_400000_NS6detail17trampoline_kernelINS0_14default_configENS1_38merge_sort_block_merge_config_selectorIbNS0_10empty_typeEEEZZNS1_27merge_sort_block_merge_implIS3_PbPS5_jNS1_19radix_merge_compareILb0ELb0EbNS0_19identity_decomposerEEEEE10hipError_tT0_T1_T2_jT3_P12ihipStream_tbPNSt15iterator_traitsISE_E10value_typeEPNSK_ISF_E10value_typeEPSG_NS1_7vsmem_tEENKUlT_SE_SF_SG_E_clIS8_S8_S9_S9_EESD_ST_SE_SF_SG_EUlST_E_NS1_11comp_targetILNS1_3genE4ELNS1_11target_archE910ELNS1_3gpuE8ELNS1_3repE0EEENS1_48merge_mergepath_partition_config_static_selectorELNS0_4arch9wavefront6targetE0EEEvSF_.num_agpr, 0
	.set _ZN7rocprim17ROCPRIM_400000_NS6detail17trampoline_kernelINS0_14default_configENS1_38merge_sort_block_merge_config_selectorIbNS0_10empty_typeEEEZZNS1_27merge_sort_block_merge_implIS3_PbPS5_jNS1_19radix_merge_compareILb0ELb0EbNS0_19identity_decomposerEEEEE10hipError_tT0_T1_T2_jT3_P12ihipStream_tbPNSt15iterator_traitsISE_E10value_typeEPNSK_ISF_E10value_typeEPSG_NS1_7vsmem_tEENKUlT_SE_SF_SG_E_clIS8_S8_S9_S9_EESD_ST_SE_SF_SG_EUlST_E_NS1_11comp_targetILNS1_3genE4ELNS1_11target_archE910ELNS1_3gpuE8ELNS1_3repE0EEENS1_48merge_mergepath_partition_config_static_selectorELNS0_4arch9wavefront6targetE0EEEvSF_.numbered_sgpr, 0
	.set _ZN7rocprim17ROCPRIM_400000_NS6detail17trampoline_kernelINS0_14default_configENS1_38merge_sort_block_merge_config_selectorIbNS0_10empty_typeEEEZZNS1_27merge_sort_block_merge_implIS3_PbPS5_jNS1_19radix_merge_compareILb0ELb0EbNS0_19identity_decomposerEEEEE10hipError_tT0_T1_T2_jT3_P12ihipStream_tbPNSt15iterator_traitsISE_E10value_typeEPNSK_ISF_E10value_typeEPSG_NS1_7vsmem_tEENKUlT_SE_SF_SG_E_clIS8_S8_S9_S9_EESD_ST_SE_SF_SG_EUlST_E_NS1_11comp_targetILNS1_3genE4ELNS1_11target_archE910ELNS1_3gpuE8ELNS1_3repE0EEENS1_48merge_mergepath_partition_config_static_selectorELNS0_4arch9wavefront6targetE0EEEvSF_.num_named_barrier, 0
	.set _ZN7rocprim17ROCPRIM_400000_NS6detail17trampoline_kernelINS0_14default_configENS1_38merge_sort_block_merge_config_selectorIbNS0_10empty_typeEEEZZNS1_27merge_sort_block_merge_implIS3_PbPS5_jNS1_19radix_merge_compareILb0ELb0EbNS0_19identity_decomposerEEEEE10hipError_tT0_T1_T2_jT3_P12ihipStream_tbPNSt15iterator_traitsISE_E10value_typeEPNSK_ISF_E10value_typeEPSG_NS1_7vsmem_tEENKUlT_SE_SF_SG_E_clIS8_S8_S9_S9_EESD_ST_SE_SF_SG_EUlST_E_NS1_11comp_targetILNS1_3genE4ELNS1_11target_archE910ELNS1_3gpuE8ELNS1_3repE0EEENS1_48merge_mergepath_partition_config_static_selectorELNS0_4arch9wavefront6targetE0EEEvSF_.private_seg_size, 0
	.set _ZN7rocprim17ROCPRIM_400000_NS6detail17trampoline_kernelINS0_14default_configENS1_38merge_sort_block_merge_config_selectorIbNS0_10empty_typeEEEZZNS1_27merge_sort_block_merge_implIS3_PbPS5_jNS1_19radix_merge_compareILb0ELb0EbNS0_19identity_decomposerEEEEE10hipError_tT0_T1_T2_jT3_P12ihipStream_tbPNSt15iterator_traitsISE_E10value_typeEPNSK_ISF_E10value_typeEPSG_NS1_7vsmem_tEENKUlT_SE_SF_SG_E_clIS8_S8_S9_S9_EESD_ST_SE_SF_SG_EUlST_E_NS1_11comp_targetILNS1_3genE4ELNS1_11target_archE910ELNS1_3gpuE8ELNS1_3repE0EEENS1_48merge_mergepath_partition_config_static_selectorELNS0_4arch9wavefront6targetE0EEEvSF_.uses_vcc, 0
	.set _ZN7rocprim17ROCPRIM_400000_NS6detail17trampoline_kernelINS0_14default_configENS1_38merge_sort_block_merge_config_selectorIbNS0_10empty_typeEEEZZNS1_27merge_sort_block_merge_implIS3_PbPS5_jNS1_19radix_merge_compareILb0ELb0EbNS0_19identity_decomposerEEEEE10hipError_tT0_T1_T2_jT3_P12ihipStream_tbPNSt15iterator_traitsISE_E10value_typeEPNSK_ISF_E10value_typeEPSG_NS1_7vsmem_tEENKUlT_SE_SF_SG_E_clIS8_S8_S9_S9_EESD_ST_SE_SF_SG_EUlST_E_NS1_11comp_targetILNS1_3genE4ELNS1_11target_archE910ELNS1_3gpuE8ELNS1_3repE0EEENS1_48merge_mergepath_partition_config_static_selectorELNS0_4arch9wavefront6targetE0EEEvSF_.uses_flat_scratch, 0
	.set _ZN7rocprim17ROCPRIM_400000_NS6detail17trampoline_kernelINS0_14default_configENS1_38merge_sort_block_merge_config_selectorIbNS0_10empty_typeEEEZZNS1_27merge_sort_block_merge_implIS3_PbPS5_jNS1_19radix_merge_compareILb0ELb0EbNS0_19identity_decomposerEEEEE10hipError_tT0_T1_T2_jT3_P12ihipStream_tbPNSt15iterator_traitsISE_E10value_typeEPNSK_ISF_E10value_typeEPSG_NS1_7vsmem_tEENKUlT_SE_SF_SG_E_clIS8_S8_S9_S9_EESD_ST_SE_SF_SG_EUlST_E_NS1_11comp_targetILNS1_3genE4ELNS1_11target_archE910ELNS1_3gpuE8ELNS1_3repE0EEENS1_48merge_mergepath_partition_config_static_selectorELNS0_4arch9wavefront6targetE0EEEvSF_.has_dyn_sized_stack, 0
	.set _ZN7rocprim17ROCPRIM_400000_NS6detail17trampoline_kernelINS0_14default_configENS1_38merge_sort_block_merge_config_selectorIbNS0_10empty_typeEEEZZNS1_27merge_sort_block_merge_implIS3_PbPS5_jNS1_19radix_merge_compareILb0ELb0EbNS0_19identity_decomposerEEEEE10hipError_tT0_T1_T2_jT3_P12ihipStream_tbPNSt15iterator_traitsISE_E10value_typeEPNSK_ISF_E10value_typeEPSG_NS1_7vsmem_tEENKUlT_SE_SF_SG_E_clIS8_S8_S9_S9_EESD_ST_SE_SF_SG_EUlST_E_NS1_11comp_targetILNS1_3genE4ELNS1_11target_archE910ELNS1_3gpuE8ELNS1_3repE0EEENS1_48merge_mergepath_partition_config_static_selectorELNS0_4arch9wavefront6targetE0EEEvSF_.has_recursion, 0
	.set _ZN7rocprim17ROCPRIM_400000_NS6detail17trampoline_kernelINS0_14default_configENS1_38merge_sort_block_merge_config_selectorIbNS0_10empty_typeEEEZZNS1_27merge_sort_block_merge_implIS3_PbPS5_jNS1_19radix_merge_compareILb0ELb0EbNS0_19identity_decomposerEEEEE10hipError_tT0_T1_T2_jT3_P12ihipStream_tbPNSt15iterator_traitsISE_E10value_typeEPNSK_ISF_E10value_typeEPSG_NS1_7vsmem_tEENKUlT_SE_SF_SG_E_clIS8_S8_S9_S9_EESD_ST_SE_SF_SG_EUlST_E_NS1_11comp_targetILNS1_3genE4ELNS1_11target_archE910ELNS1_3gpuE8ELNS1_3repE0EEENS1_48merge_mergepath_partition_config_static_selectorELNS0_4arch9wavefront6targetE0EEEvSF_.has_indirect_call, 0
	.section	.AMDGPU.csdata,"",@progbits
; Kernel info:
; codeLenInByte = 0
; TotalNumSgprs: 0
; NumVgprs: 0
; ScratchSize: 0
; MemoryBound: 0
; FloatMode: 240
; IeeeMode: 1
; LDSByteSize: 0 bytes/workgroup (compile time only)
; SGPRBlocks: 0
; VGPRBlocks: 0
; NumSGPRsForWavesPerEU: 1
; NumVGPRsForWavesPerEU: 1
; NamedBarCnt: 0
; Occupancy: 16
; WaveLimiterHint : 0
; COMPUTE_PGM_RSRC2:SCRATCH_EN: 0
; COMPUTE_PGM_RSRC2:USER_SGPR: 2
; COMPUTE_PGM_RSRC2:TRAP_HANDLER: 0
; COMPUTE_PGM_RSRC2:TGID_X_EN: 1
; COMPUTE_PGM_RSRC2:TGID_Y_EN: 0
; COMPUTE_PGM_RSRC2:TGID_Z_EN: 0
; COMPUTE_PGM_RSRC2:TIDIG_COMP_CNT: 0
	.section	.text._ZN7rocprim17ROCPRIM_400000_NS6detail17trampoline_kernelINS0_14default_configENS1_38merge_sort_block_merge_config_selectorIbNS0_10empty_typeEEEZZNS1_27merge_sort_block_merge_implIS3_PbPS5_jNS1_19radix_merge_compareILb0ELb0EbNS0_19identity_decomposerEEEEE10hipError_tT0_T1_T2_jT3_P12ihipStream_tbPNSt15iterator_traitsISE_E10value_typeEPNSK_ISF_E10value_typeEPSG_NS1_7vsmem_tEENKUlT_SE_SF_SG_E_clIS8_S8_S9_S9_EESD_ST_SE_SF_SG_EUlST_E_NS1_11comp_targetILNS1_3genE3ELNS1_11target_archE908ELNS1_3gpuE7ELNS1_3repE0EEENS1_48merge_mergepath_partition_config_static_selectorELNS0_4arch9wavefront6targetE0EEEvSF_,"axG",@progbits,_ZN7rocprim17ROCPRIM_400000_NS6detail17trampoline_kernelINS0_14default_configENS1_38merge_sort_block_merge_config_selectorIbNS0_10empty_typeEEEZZNS1_27merge_sort_block_merge_implIS3_PbPS5_jNS1_19radix_merge_compareILb0ELb0EbNS0_19identity_decomposerEEEEE10hipError_tT0_T1_T2_jT3_P12ihipStream_tbPNSt15iterator_traitsISE_E10value_typeEPNSK_ISF_E10value_typeEPSG_NS1_7vsmem_tEENKUlT_SE_SF_SG_E_clIS8_S8_S9_S9_EESD_ST_SE_SF_SG_EUlST_E_NS1_11comp_targetILNS1_3genE3ELNS1_11target_archE908ELNS1_3gpuE7ELNS1_3repE0EEENS1_48merge_mergepath_partition_config_static_selectorELNS0_4arch9wavefront6targetE0EEEvSF_,comdat
	.protected	_ZN7rocprim17ROCPRIM_400000_NS6detail17trampoline_kernelINS0_14default_configENS1_38merge_sort_block_merge_config_selectorIbNS0_10empty_typeEEEZZNS1_27merge_sort_block_merge_implIS3_PbPS5_jNS1_19radix_merge_compareILb0ELb0EbNS0_19identity_decomposerEEEEE10hipError_tT0_T1_T2_jT3_P12ihipStream_tbPNSt15iterator_traitsISE_E10value_typeEPNSK_ISF_E10value_typeEPSG_NS1_7vsmem_tEENKUlT_SE_SF_SG_E_clIS8_S8_S9_S9_EESD_ST_SE_SF_SG_EUlST_E_NS1_11comp_targetILNS1_3genE3ELNS1_11target_archE908ELNS1_3gpuE7ELNS1_3repE0EEENS1_48merge_mergepath_partition_config_static_selectorELNS0_4arch9wavefront6targetE0EEEvSF_ ; -- Begin function _ZN7rocprim17ROCPRIM_400000_NS6detail17trampoline_kernelINS0_14default_configENS1_38merge_sort_block_merge_config_selectorIbNS0_10empty_typeEEEZZNS1_27merge_sort_block_merge_implIS3_PbPS5_jNS1_19radix_merge_compareILb0ELb0EbNS0_19identity_decomposerEEEEE10hipError_tT0_T1_T2_jT3_P12ihipStream_tbPNSt15iterator_traitsISE_E10value_typeEPNSK_ISF_E10value_typeEPSG_NS1_7vsmem_tEENKUlT_SE_SF_SG_E_clIS8_S8_S9_S9_EESD_ST_SE_SF_SG_EUlST_E_NS1_11comp_targetILNS1_3genE3ELNS1_11target_archE908ELNS1_3gpuE7ELNS1_3repE0EEENS1_48merge_mergepath_partition_config_static_selectorELNS0_4arch9wavefront6targetE0EEEvSF_
	.globl	_ZN7rocprim17ROCPRIM_400000_NS6detail17trampoline_kernelINS0_14default_configENS1_38merge_sort_block_merge_config_selectorIbNS0_10empty_typeEEEZZNS1_27merge_sort_block_merge_implIS3_PbPS5_jNS1_19radix_merge_compareILb0ELb0EbNS0_19identity_decomposerEEEEE10hipError_tT0_T1_T2_jT3_P12ihipStream_tbPNSt15iterator_traitsISE_E10value_typeEPNSK_ISF_E10value_typeEPSG_NS1_7vsmem_tEENKUlT_SE_SF_SG_E_clIS8_S8_S9_S9_EESD_ST_SE_SF_SG_EUlST_E_NS1_11comp_targetILNS1_3genE3ELNS1_11target_archE908ELNS1_3gpuE7ELNS1_3repE0EEENS1_48merge_mergepath_partition_config_static_selectorELNS0_4arch9wavefront6targetE0EEEvSF_
	.p2align	8
	.type	_ZN7rocprim17ROCPRIM_400000_NS6detail17trampoline_kernelINS0_14default_configENS1_38merge_sort_block_merge_config_selectorIbNS0_10empty_typeEEEZZNS1_27merge_sort_block_merge_implIS3_PbPS5_jNS1_19radix_merge_compareILb0ELb0EbNS0_19identity_decomposerEEEEE10hipError_tT0_T1_T2_jT3_P12ihipStream_tbPNSt15iterator_traitsISE_E10value_typeEPNSK_ISF_E10value_typeEPSG_NS1_7vsmem_tEENKUlT_SE_SF_SG_E_clIS8_S8_S9_S9_EESD_ST_SE_SF_SG_EUlST_E_NS1_11comp_targetILNS1_3genE3ELNS1_11target_archE908ELNS1_3gpuE7ELNS1_3repE0EEENS1_48merge_mergepath_partition_config_static_selectorELNS0_4arch9wavefront6targetE0EEEvSF_,@function
_ZN7rocprim17ROCPRIM_400000_NS6detail17trampoline_kernelINS0_14default_configENS1_38merge_sort_block_merge_config_selectorIbNS0_10empty_typeEEEZZNS1_27merge_sort_block_merge_implIS3_PbPS5_jNS1_19radix_merge_compareILb0ELb0EbNS0_19identity_decomposerEEEEE10hipError_tT0_T1_T2_jT3_P12ihipStream_tbPNSt15iterator_traitsISE_E10value_typeEPNSK_ISF_E10value_typeEPSG_NS1_7vsmem_tEENKUlT_SE_SF_SG_E_clIS8_S8_S9_S9_EESD_ST_SE_SF_SG_EUlST_E_NS1_11comp_targetILNS1_3genE3ELNS1_11target_archE908ELNS1_3gpuE7ELNS1_3repE0EEENS1_48merge_mergepath_partition_config_static_selectorELNS0_4arch9wavefront6targetE0EEEvSF_: ; @_ZN7rocprim17ROCPRIM_400000_NS6detail17trampoline_kernelINS0_14default_configENS1_38merge_sort_block_merge_config_selectorIbNS0_10empty_typeEEEZZNS1_27merge_sort_block_merge_implIS3_PbPS5_jNS1_19radix_merge_compareILb0ELb0EbNS0_19identity_decomposerEEEEE10hipError_tT0_T1_T2_jT3_P12ihipStream_tbPNSt15iterator_traitsISE_E10value_typeEPNSK_ISF_E10value_typeEPSG_NS1_7vsmem_tEENKUlT_SE_SF_SG_E_clIS8_S8_S9_S9_EESD_ST_SE_SF_SG_EUlST_E_NS1_11comp_targetILNS1_3genE3ELNS1_11target_archE908ELNS1_3gpuE7ELNS1_3repE0EEENS1_48merge_mergepath_partition_config_static_selectorELNS0_4arch9wavefront6targetE0EEEvSF_
; %bb.0:
	.section	.rodata,"a",@progbits
	.p2align	6, 0x0
	.amdhsa_kernel _ZN7rocprim17ROCPRIM_400000_NS6detail17trampoline_kernelINS0_14default_configENS1_38merge_sort_block_merge_config_selectorIbNS0_10empty_typeEEEZZNS1_27merge_sort_block_merge_implIS3_PbPS5_jNS1_19radix_merge_compareILb0ELb0EbNS0_19identity_decomposerEEEEE10hipError_tT0_T1_T2_jT3_P12ihipStream_tbPNSt15iterator_traitsISE_E10value_typeEPNSK_ISF_E10value_typeEPSG_NS1_7vsmem_tEENKUlT_SE_SF_SG_E_clIS8_S8_S9_S9_EESD_ST_SE_SF_SG_EUlST_E_NS1_11comp_targetILNS1_3genE3ELNS1_11target_archE908ELNS1_3gpuE7ELNS1_3repE0EEENS1_48merge_mergepath_partition_config_static_selectorELNS0_4arch9wavefront6targetE0EEEvSF_
		.amdhsa_group_segment_fixed_size 0
		.amdhsa_private_segment_fixed_size 0
		.amdhsa_kernarg_size 40
		.amdhsa_user_sgpr_count 2
		.amdhsa_user_sgpr_dispatch_ptr 0
		.amdhsa_user_sgpr_queue_ptr 0
		.amdhsa_user_sgpr_kernarg_segment_ptr 1
		.amdhsa_user_sgpr_dispatch_id 0
		.amdhsa_user_sgpr_kernarg_preload_length 0
		.amdhsa_user_sgpr_kernarg_preload_offset 0
		.amdhsa_user_sgpr_private_segment_size 0
		.amdhsa_wavefront_size32 1
		.amdhsa_uses_dynamic_stack 0
		.amdhsa_enable_private_segment 0
		.amdhsa_system_sgpr_workgroup_id_x 1
		.amdhsa_system_sgpr_workgroup_id_y 0
		.amdhsa_system_sgpr_workgroup_id_z 0
		.amdhsa_system_sgpr_workgroup_info 0
		.amdhsa_system_vgpr_workitem_id 0
		.amdhsa_next_free_vgpr 1
		.amdhsa_next_free_sgpr 1
		.amdhsa_named_barrier_count 0
		.amdhsa_reserve_vcc 0
		.amdhsa_float_round_mode_32 0
		.amdhsa_float_round_mode_16_64 0
		.amdhsa_float_denorm_mode_32 3
		.amdhsa_float_denorm_mode_16_64 3
		.amdhsa_fp16_overflow 0
		.amdhsa_memory_ordered 1
		.amdhsa_forward_progress 1
		.amdhsa_inst_pref_size 0
		.amdhsa_round_robin_scheduling 0
		.amdhsa_exception_fp_ieee_invalid_op 0
		.amdhsa_exception_fp_denorm_src 0
		.amdhsa_exception_fp_ieee_div_zero 0
		.amdhsa_exception_fp_ieee_overflow 0
		.amdhsa_exception_fp_ieee_underflow 0
		.amdhsa_exception_fp_ieee_inexact 0
		.amdhsa_exception_int_div_zero 0
	.end_amdhsa_kernel
	.section	.text._ZN7rocprim17ROCPRIM_400000_NS6detail17trampoline_kernelINS0_14default_configENS1_38merge_sort_block_merge_config_selectorIbNS0_10empty_typeEEEZZNS1_27merge_sort_block_merge_implIS3_PbPS5_jNS1_19radix_merge_compareILb0ELb0EbNS0_19identity_decomposerEEEEE10hipError_tT0_T1_T2_jT3_P12ihipStream_tbPNSt15iterator_traitsISE_E10value_typeEPNSK_ISF_E10value_typeEPSG_NS1_7vsmem_tEENKUlT_SE_SF_SG_E_clIS8_S8_S9_S9_EESD_ST_SE_SF_SG_EUlST_E_NS1_11comp_targetILNS1_3genE3ELNS1_11target_archE908ELNS1_3gpuE7ELNS1_3repE0EEENS1_48merge_mergepath_partition_config_static_selectorELNS0_4arch9wavefront6targetE0EEEvSF_,"axG",@progbits,_ZN7rocprim17ROCPRIM_400000_NS6detail17trampoline_kernelINS0_14default_configENS1_38merge_sort_block_merge_config_selectorIbNS0_10empty_typeEEEZZNS1_27merge_sort_block_merge_implIS3_PbPS5_jNS1_19radix_merge_compareILb0ELb0EbNS0_19identity_decomposerEEEEE10hipError_tT0_T1_T2_jT3_P12ihipStream_tbPNSt15iterator_traitsISE_E10value_typeEPNSK_ISF_E10value_typeEPSG_NS1_7vsmem_tEENKUlT_SE_SF_SG_E_clIS8_S8_S9_S9_EESD_ST_SE_SF_SG_EUlST_E_NS1_11comp_targetILNS1_3genE3ELNS1_11target_archE908ELNS1_3gpuE7ELNS1_3repE0EEENS1_48merge_mergepath_partition_config_static_selectorELNS0_4arch9wavefront6targetE0EEEvSF_,comdat
.Lfunc_end1790:
	.size	_ZN7rocprim17ROCPRIM_400000_NS6detail17trampoline_kernelINS0_14default_configENS1_38merge_sort_block_merge_config_selectorIbNS0_10empty_typeEEEZZNS1_27merge_sort_block_merge_implIS3_PbPS5_jNS1_19radix_merge_compareILb0ELb0EbNS0_19identity_decomposerEEEEE10hipError_tT0_T1_T2_jT3_P12ihipStream_tbPNSt15iterator_traitsISE_E10value_typeEPNSK_ISF_E10value_typeEPSG_NS1_7vsmem_tEENKUlT_SE_SF_SG_E_clIS8_S8_S9_S9_EESD_ST_SE_SF_SG_EUlST_E_NS1_11comp_targetILNS1_3genE3ELNS1_11target_archE908ELNS1_3gpuE7ELNS1_3repE0EEENS1_48merge_mergepath_partition_config_static_selectorELNS0_4arch9wavefront6targetE0EEEvSF_, .Lfunc_end1790-_ZN7rocprim17ROCPRIM_400000_NS6detail17trampoline_kernelINS0_14default_configENS1_38merge_sort_block_merge_config_selectorIbNS0_10empty_typeEEEZZNS1_27merge_sort_block_merge_implIS3_PbPS5_jNS1_19radix_merge_compareILb0ELb0EbNS0_19identity_decomposerEEEEE10hipError_tT0_T1_T2_jT3_P12ihipStream_tbPNSt15iterator_traitsISE_E10value_typeEPNSK_ISF_E10value_typeEPSG_NS1_7vsmem_tEENKUlT_SE_SF_SG_E_clIS8_S8_S9_S9_EESD_ST_SE_SF_SG_EUlST_E_NS1_11comp_targetILNS1_3genE3ELNS1_11target_archE908ELNS1_3gpuE7ELNS1_3repE0EEENS1_48merge_mergepath_partition_config_static_selectorELNS0_4arch9wavefront6targetE0EEEvSF_
                                        ; -- End function
	.set _ZN7rocprim17ROCPRIM_400000_NS6detail17trampoline_kernelINS0_14default_configENS1_38merge_sort_block_merge_config_selectorIbNS0_10empty_typeEEEZZNS1_27merge_sort_block_merge_implIS3_PbPS5_jNS1_19radix_merge_compareILb0ELb0EbNS0_19identity_decomposerEEEEE10hipError_tT0_T1_T2_jT3_P12ihipStream_tbPNSt15iterator_traitsISE_E10value_typeEPNSK_ISF_E10value_typeEPSG_NS1_7vsmem_tEENKUlT_SE_SF_SG_E_clIS8_S8_S9_S9_EESD_ST_SE_SF_SG_EUlST_E_NS1_11comp_targetILNS1_3genE3ELNS1_11target_archE908ELNS1_3gpuE7ELNS1_3repE0EEENS1_48merge_mergepath_partition_config_static_selectorELNS0_4arch9wavefront6targetE0EEEvSF_.num_vgpr, 0
	.set _ZN7rocprim17ROCPRIM_400000_NS6detail17trampoline_kernelINS0_14default_configENS1_38merge_sort_block_merge_config_selectorIbNS0_10empty_typeEEEZZNS1_27merge_sort_block_merge_implIS3_PbPS5_jNS1_19radix_merge_compareILb0ELb0EbNS0_19identity_decomposerEEEEE10hipError_tT0_T1_T2_jT3_P12ihipStream_tbPNSt15iterator_traitsISE_E10value_typeEPNSK_ISF_E10value_typeEPSG_NS1_7vsmem_tEENKUlT_SE_SF_SG_E_clIS8_S8_S9_S9_EESD_ST_SE_SF_SG_EUlST_E_NS1_11comp_targetILNS1_3genE3ELNS1_11target_archE908ELNS1_3gpuE7ELNS1_3repE0EEENS1_48merge_mergepath_partition_config_static_selectorELNS0_4arch9wavefront6targetE0EEEvSF_.num_agpr, 0
	.set _ZN7rocprim17ROCPRIM_400000_NS6detail17trampoline_kernelINS0_14default_configENS1_38merge_sort_block_merge_config_selectorIbNS0_10empty_typeEEEZZNS1_27merge_sort_block_merge_implIS3_PbPS5_jNS1_19radix_merge_compareILb0ELb0EbNS0_19identity_decomposerEEEEE10hipError_tT0_T1_T2_jT3_P12ihipStream_tbPNSt15iterator_traitsISE_E10value_typeEPNSK_ISF_E10value_typeEPSG_NS1_7vsmem_tEENKUlT_SE_SF_SG_E_clIS8_S8_S9_S9_EESD_ST_SE_SF_SG_EUlST_E_NS1_11comp_targetILNS1_3genE3ELNS1_11target_archE908ELNS1_3gpuE7ELNS1_3repE0EEENS1_48merge_mergepath_partition_config_static_selectorELNS0_4arch9wavefront6targetE0EEEvSF_.numbered_sgpr, 0
	.set _ZN7rocprim17ROCPRIM_400000_NS6detail17trampoline_kernelINS0_14default_configENS1_38merge_sort_block_merge_config_selectorIbNS0_10empty_typeEEEZZNS1_27merge_sort_block_merge_implIS3_PbPS5_jNS1_19radix_merge_compareILb0ELb0EbNS0_19identity_decomposerEEEEE10hipError_tT0_T1_T2_jT3_P12ihipStream_tbPNSt15iterator_traitsISE_E10value_typeEPNSK_ISF_E10value_typeEPSG_NS1_7vsmem_tEENKUlT_SE_SF_SG_E_clIS8_S8_S9_S9_EESD_ST_SE_SF_SG_EUlST_E_NS1_11comp_targetILNS1_3genE3ELNS1_11target_archE908ELNS1_3gpuE7ELNS1_3repE0EEENS1_48merge_mergepath_partition_config_static_selectorELNS0_4arch9wavefront6targetE0EEEvSF_.num_named_barrier, 0
	.set _ZN7rocprim17ROCPRIM_400000_NS6detail17trampoline_kernelINS0_14default_configENS1_38merge_sort_block_merge_config_selectorIbNS0_10empty_typeEEEZZNS1_27merge_sort_block_merge_implIS3_PbPS5_jNS1_19radix_merge_compareILb0ELb0EbNS0_19identity_decomposerEEEEE10hipError_tT0_T1_T2_jT3_P12ihipStream_tbPNSt15iterator_traitsISE_E10value_typeEPNSK_ISF_E10value_typeEPSG_NS1_7vsmem_tEENKUlT_SE_SF_SG_E_clIS8_S8_S9_S9_EESD_ST_SE_SF_SG_EUlST_E_NS1_11comp_targetILNS1_3genE3ELNS1_11target_archE908ELNS1_3gpuE7ELNS1_3repE0EEENS1_48merge_mergepath_partition_config_static_selectorELNS0_4arch9wavefront6targetE0EEEvSF_.private_seg_size, 0
	.set _ZN7rocprim17ROCPRIM_400000_NS6detail17trampoline_kernelINS0_14default_configENS1_38merge_sort_block_merge_config_selectorIbNS0_10empty_typeEEEZZNS1_27merge_sort_block_merge_implIS3_PbPS5_jNS1_19radix_merge_compareILb0ELb0EbNS0_19identity_decomposerEEEEE10hipError_tT0_T1_T2_jT3_P12ihipStream_tbPNSt15iterator_traitsISE_E10value_typeEPNSK_ISF_E10value_typeEPSG_NS1_7vsmem_tEENKUlT_SE_SF_SG_E_clIS8_S8_S9_S9_EESD_ST_SE_SF_SG_EUlST_E_NS1_11comp_targetILNS1_3genE3ELNS1_11target_archE908ELNS1_3gpuE7ELNS1_3repE0EEENS1_48merge_mergepath_partition_config_static_selectorELNS0_4arch9wavefront6targetE0EEEvSF_.uses_vcc, 0
	.set _ZN7rocprim17ROCPRIM_400000_NS6detail17trampoline_kernelINS0_14default_configENS1_38merge_sort_block_merge_config_selectorIbNS0_10empty_typeEEEZZNS1_27merge_sort_block_merge_implIS3_PbPS5_jNS1_19radix_merge_compareILb0ELb0EbNS0_19identity_decomposerEEEEE10hipError_tT0_T1_T2_jT3_P12ihipStream_tbPNSt15iterator_traitsISE_E10value_typeEPNSK_ISF_E10value_typeEPSG_NS1_7vsmem_tEENKUlT_SE_SF_SG_E_clIS8_S8_S9_S9_EESD_ST_SE_SF_SG_EUlST_E_NS1_11comp_targetILNS1_3genE3ELNS1_11target_archE908ELNS1_3gpuE7ELNS1_3repE0EEENS1_48merge_mergepath_partition_config_static_selectorELNS0_4arch9wavefront6targetE0EEEvSF_.uses_flat_scratch, 0
	.set _ZN7rocprim17ROCPRIM_400000_NS6detail17trampoline_kernelINS0_14default_configENS1_38merge_sort_block_merge_config_selectorIbNS0_10empty_typeEEEZZNS1_27merge_sort_block_merge_implIS3_PbPS5_jNS1_19radix_merge_compareILb0ELb0EbNS0_19identity_decomposerEEEEE10hipError_tT0_T1_T2_jT3_P12ihipStream_tbPNSt15iterator_traitsISE_E10value_typeEPNSK_ISF_E10value_typeEPSG_NS1_7vsmem_tEENKUlT_SE_SF_SG_E_clIS8_S8_S9_S9_EESD_ST_SE_SF_SG_EUlST_E_NS1_11comp_targetILNS1_3genE3ELNS1_11target_archE908ELNS1_3gpuE7ELNS1_3repE0EEENS1_48merge_mergepath_partition_config_static_selectorELNS0_4arch9wavefront6targetE0EEEvSF_.has_dyn_sized_stack, 0
	.set _ZN7rocprim17ROCPRIM_400000_NS6detail17trampoline_kernelINS0_14default_configENS1_38merge_sort_block_merge_config_selectorIbNS0_10empty_typeEEEZZNS1_27merge_sort_block_merge_implIS3_PbPS5_jNS1_19radix_merge_compareILb0ELb0EbNS0_19identity_decomposerEEEEE10hipError_tT0_T1_T2_jT3_P12ihipStream_tbPNSt15iterator_traitsISE_E10value_typeEPNSK_ISF_E10value_typeEPSG_NS1_7vsmem_tEENKUlT_SE_SF_SG_E_clIS8_S8_S9_S9_EESD_ST_SE_SF_SG_EUlST_E_NS1_11comp_targetILNS1_3genE3ELNS1_11target_archE908ELNS1_3gpuE7ELNS1_3repE0EEENS1_48merge_mergepath_partition_config_static_selectorELNS0_4arch9wavefront6targetE0EEEvSF_.has_recursion, 0
	.set _ZN7rocprim17ROCPRIM_400000_NS6detail17trampoline_kernelINS0_14default_configENS1_38merge_sort_block_merge_config_selectorIbNS0_10empty_typeEEEZZNS1_27merge_sort_block_merge_implIS3_PbPS5_jNS1_19radix_merge_compareILb0ELb0EbNS0_19identity_decomposerEEEEE10hipError_tT0_T1_T2_jT3_P12ihipStream_tbPNSt15iterator_traitsISE_E10value_typeEPNSK_ISF_E10value_typeEPSG_NS1_7vsmem_tEENKUlT_SE_SF_SG_E_clIS8_S8_S9_S9_EESD_ST_SE_SF_SG_EUlST_E_NS1_11comp_targetILNS1_3genE3ELNS1_11target_archE908ELNS1_3gpuE7ELNS1_3repE0EEENS1_48merge_mergepath_partition_config_static_selectorELNS0_4arch9wavefront6targetE0EEEvSF_.has_indirect_call, 0
	.section	.AMDGPU.csdata,"",@progbits
; Kernel info:
; codeLenInByte = 0
; TotalNumSgprs: 0
; NumVgprs: 0
; ScratchSize: 0
; MemoryBound: 0
; FloatMode: 240
; IeeeMode: 1
; LDSByteSize: 0 bytes/workgroup (compile time only)
; SGPRBlocks: 0
; VGPRBlocks: 0
; NumSGPRsForWavesPerEU: 1
; NumVGPRsForWavesPerEU: 1
; NamedBarCnt: 0
; Occupancy: 16
; WaveLimiterHint : 0
; COMPUTE_PGM_RSRC2:SCRATCH_EN: 0
; COMPUTE_PGM_RSRC2:USER_SGPR: 2
; COMPUTE_PGM_RSRC2:TRAP_HANDLER: 0
; COMPUTE_PGM_RSRC2:TGID_X_EN: 1
; COMPUTE_PGM_RSRC2:TGID_Y_EN: 0
; COMPUTE_PGM_RSRC2:TGID_Z_EN: 0
; COMPUTE_PGM_RSRC2:TIDIG_COMP_CNT: 0
	.section	.text._ZN7rocprim17ROCPRIM_400000_NS6detail17trampoline_kernelINS0_14default_configENS1_38merge_sort_block_merge_config_selectorIbNS0_10empty_typeEEEZZNS1_27merge_sort_block_merge_implIS3_PbPS5_jNS1_19radix_merge_compareILb0ELb0EbNS0_19identity_decomposerEEEEE10hipError_tT0_T1_T2_jT3_P12ihipStream_tbPNSt15iterator_traitsISE_E10value_typeEPNSK_ISF_E10value_typeEPSG_NS1_7vsmem_tEENKUlT_SE_SF_SG_E_clIS8_S8_S9_S9_EESD_ST_SE_SF_SG_EUlST_E_NS1_11comp_targetILNS1_3genE2ELNS1_11target_archE906ELNS1_3gpuE6ELNS1_3repE0EEENS1_48merge_mergepath_partition_config_static_selectorELNS0_4arch9wavefront6targetE0EEEvSF_,"axG",@progbits,_ZN7rocprim17ROCPRIM_400000_NS6detail17trampoline_kernelINS0_14default_configENS1_38merge_sort_block_merge_config_selectorIbNS0_10empty_typeEEEZZNS1_27merge_sort_block_merge_implIS3_PbPS5_jNS1_19radix_merge_compareILb0ELb0EbNS0_19identity_decomposerEEEEE10hipError_tT0_T1_T2_jT3_P12ihipStream_tbPNSt15iterator_traitsISE_E10value_typeEPNSK_ISF_E10value_typeEPSG_NS1_7vsmem_tEENKUlT_SE_SF_SG_E_clIS8_S8_S9_S9_EESD_ST_SE_SF_SG_EUlST_E_NS1_11comp_targetILNS1_3genE2ELNS1_11target_archE906ELNS1_3gpuE6ELNS1_3repE0EEENS1_48merge_mergepath_partition_config_static_selectorELNS0_4arch9wavefront6targetE0EEEvSF_,comdat
	.protected	_ZN7rocprim17ROCPRIM_400000_NS6detail17trampoline_kernelINS0_14default_configENS1_38merge_sort_block_merge_config_selectorIbNS0_10empty_typeEEEZZNS1_27merge_sort_block_merge_implIS3_PbPS5_jNS1_19radix_merge_compareILb0ELb0EbNS0_19identity_decomposerEEEEE10hipError_tT0_T1_T2_jT3_P12ihipStream_tbPNSt15iterator_traitsISE_E10value_typeEPNSK_ISF_E10value_typeEPSG_NS1_7vsmem_tEENKUlT_SE_SF_SG_E_clIS8_S8_S9_S9_EESD_ST_SE_SF_SG_EUlST_E_NS1_11comp_targetILNS1_3genE2ELNS1_11target_archE906ELNS1_3gpuE6ELNS1_3repE0EEENS1_48merge_mergepath_partition_config_static_selectorELNS0_4arch9wavefront6targetE0EEEvSF_ ; -- Begin function _ZN7rocprim17ROCPRIM_400000_NS6detail17trampoline_kernelINS0_14default_configENS1_38merge_sort_block_merge_config_selectorIbNS0_10empty_typeEEEZZNS1_27merge_sort_block_merge_implIS3_PbPS5_jNS1_19radix_merge_compareILb0ELb0EbNS0_19identity_decomposerEEEEE10hipError_tT0_T1_T2_jT3_P12ihipStream_tbPNSt15iterator_traitsISE_E10value_typeEPNSK_ISF_E10value_typeEPSG_NS1_7vsmem_tEENKUlT_SE_SF_SG_E_clIS8_S8_S9_S9_EESD_ST_SE_SF_SG_EUlST_E_NS1_11comp_targetILNS1_3genE2ELNS1_11target_archE906ELNS1_3gpuE6ELNS1_3repE0EEENS1_48merge_mergepath_partition_config_static_selectorELNS0_4arch9wavefront6targetE0EEEvSF_
	.globl	_ZN7rocprim17ROCPRIM_400000_NS6detail17trampoline_kernelINS0_14default_configENS1_38merge_sort_block_merge_config_selectorIbNS0_10empty_typeEEEZZNS1_27merge_sort_block_merge_implIS3_PbPS5_jNS1_19radix_merge_compareILb0ELb0EbNS0_19identity_decomposerEEEEE10hipError_tT0_T1_T2_jT3_P12ihipStream_tbPNSt15iterator_traitsISE_E10value_typeEPNSK_ISF_E10value_typeEPSG_NS1_7vsmem_tEENKUlT_SE_SF_SG_E_clIS8_S8_S9_S9_EESD_ST_SE_SF_SG_EUlST_E_NS1_11comp_targetILNS1_3genE2ELNS1_11target_archE906ELNS1_3gpuE6ELNS1_3repE0EEENS1_48merge_mergepath_partition_config_static_selectorELNS0_4arch9wavefront6targetE0EEEvSF_
	.p2align	8
	.type	_ZN7rocprim17ROCPRIM_400000_NS6detail17trampoline_kernelINS0_14default_configENS1_38merge_sort_block_merge_config_selectorIbNS0_10empty_typeEEEZZNS1_27merge_sort_block_merge_implIS3_PbPS5_jNS1_19radix_merge_compareILb0ELb0EbNS0_19identity_decomposerEEEEE10hipError_tT0_T1_T2_jT3_P12ihipStream_tbPNSt15iterator_traitsISE_E10value_typeEPNSK_ISF_E10value_typeEPSG_NS1_7vsmem_tEENKUlT_SE_SF_SG_E_clIS8_S8_S9_S9_EESD_ST_SE_SF_SG_EUlST_E_NS1_11comp_targetILNS1_3genE2ELNS1_11target_archE906ELNS1_3gpuE6ELNS1_3repE0EEENS1_48merge_mergepath_partition_config_static_selectorELNS0_4arch9wavefront6targetE0EEEvSF_,@function
_ZN7rocprim17ROCPRIM_400000_NS6detail17trampoline_kernelINS0_14default_configENS1_38merge_sort_block_merge_config_selectorIbNS0_10empty_typeEEEZZNS1_27merge_sort_block_merge_implIS3_PbPS5_jNS1_19radix_merge_compareILb0ELb0EbNS0_19identity_decomposerEEEEE10hipError_tT0_T1_T2_jT3_P12ihipStream_tbPNSt15iterator_traitsISE_E10value_typeEPNSK_ISF_E10value_typeEPSG_NS1_7vsmem_tEENKUlT_SE_SF_SG_E_clIS8_S8_S9_S9_EESD_ST_SE_SF_SG_EUlST_E_NS1_11comp_targetILNS1_3genE2ELNS1_11target_archE906ELNS1_3gpuE6ELNS1_3repE0EEENS1_48merge_mergepath_partition_config_static_selectorELNS0_4arch9wavefront6targetE0EEEvSF_: ; @_ZN7rocprim17ROCPRIM_400000_NS6detail17trampoline_kernelINS0_14default_configENS1_38merge_sort_block_merge_config_selectorIbNS0_10empty_typeEEEZZNS1_27merge_sort_block_merge_implIS3_PbPS5_jNS1_19radix_merge_compareILb0ELb0EbNS0_19identity_decomposerEEEEE10hipError_tT0_T1_T2_jT3_P12ihipStream_tbPNSt15iterator_traitsISE_E10value_typeEPNSK_ISF_E10value_typeEPSG_NS1_7vsmem_tEENKUlT_SE_SF_SG_E_clIS8_S8_S9_S9_EESD_ST_SE_SF_SG_EUlST_E_NS1_11comp_targetILNS1_3genE2ELNS1_11target_archE906ELNS1_3gpuE6ELNS1_3repE0EEENS1_48merge_mergepath_partition_config_static_selectorELNS0_4arch9wavefront6targetE0EEEvSF_
; %bb.0:
	.section	.rodata,"a",@progbits
	.p2align	6, 0x0
	.amdhsa_kernel _ZN7rocprim17ROCPRIM_400000_NS6detail17trampoline_kernelINS0_14default_configENS1_38merge_sort_block_merge_config_selectorIbNS0_10empty_typeEEEZZNS1_27merge_sort_block_merge_implIS3_PbPS5_jNS1_19radix_merge_compareILb0ELb0EbNS0_19identity_decomposerEEEEE10hipError_tT0_T1_T2_jT3_P12ihipStream_tbPNSt15iterator_traitsISE_E10value_typeEPNSK_ISF_E10value_typeEPSG_NS1_7vsmem_tEENKUlT_SE_SF_SG_E_clIS8_S8_S9_S9_EESD_ST_SE_SF_SG_EUlST_E_NS1_11comp_targetILNS1_3genE2ELNS1_11target_archE906ELNS1_3gpuE6ELNS1_3repE0EEENS1_48merge_mergepath_partition_config_static_selectorELNS0_4arch9wavefront6targetE0EEEvSF_
		.amdhsa_group_segment_fixed_size 0
		.amdhsa_private_segment_fixed_size 0
		.amdhsa_kernarg_size 40
		.amdhsa_user_sgpr_count 2
		.amdhsa_user_sgpr_dispatch_ptr 0
		.amdhsa_user_sgpr_queue_ptr 0
		.amdhsa_user_sgpr_kernarg_segment_ptr 1
		.amdhsa_user_sgpr_dispatch_id 0
		.amdhsa_user_sgpr_kernarg_preload_length 0
		.amdhsa_user_sgpr_kernarg_preload_offset 0
		.amdhsa_user_sgpr_private_segment_size 0
		.amdhsa_wavefront_size32 1
		.amdhsa_uses_dynamic_stack 0
		.amdhsa_enable_private_segment 0
		.amdhsa_system_sgpr_workgroup_id_x 1
		.amdhsa_system_sgpr_workgroup_id_y 0
		.amdhsa_system_sgpr_workgroup_id_z 0
		.amdhsa_system_sgpr_workgroup_info 0
		.amdhsa_system_vgpr_workitem_id 0
		.amdhsa_next_free_vgpr 1
		.amdhsa_next_free_sgpr 1
		.amdhsa_named_barrier_count 0
		.amdhsa_reserve_vcc 0
		.amdhsa_float_round_mode_32 0
		.amdhsa_float_round_mode_16_64 0
		.amdhsa_float_denorm_mode_32 3
		.amdhsa_float_denorm_mode_16_64 3
		.amdhsa_fp16_overflow 0
		.amdhsa_memory_ordered 1
		.amdhsa_forward_progress 1
		.amdhsa_inst_pref_size 0
		.amdhsa_round_robin_scheduling 0
		.amdhsa_exception_fp_ieee_invalid_op 0
		.amdhsa_exception_fp_denorm_src 0
		.amdhsa_exception_fp_ieee_div_zero 0
		.amdhsa_exception_fp_ieee_overflow 0
		.amdhsa_exception_fp_ieee_underflow 0
		.amdhsa_exception_fp_ieee_inexact 0
		.amdhsa_exception_int_div_zero 0
	.end_amdhsa_kernel
	.section	.text._ZN7rocprim17ROCPRIM_400000_NS6detail17trampoline_kernelINS0_14default_configENS1_38merge_sort_block_merge_config_selectorIbNS0_10empty_typeEEEZZNS1_27merge_sort_block_merge_implIS3_PbPS5_jNS1_19radix_merge_compareILb0ELb0EbNS0_19identity_decomposerEEEEE10hipError_tT0_T1_T2_jT3_P12ihipStream_tbPNSt15iterator_traitsISE_E10value_typeEPNSK_ISF_E10value_typeEPSG_NS1_7vsmem_tEENKUlT_SE_SF_SG_E_clIS8_S8_S9_S9_EESD_ST_SE_SF_SG_EUlST_E_NS1_11comp_targetILNS1_3genE2ELNS1_11target_archE906ELNS1_3gpuE6ELNS1_3repE0EEENS1_48merge_mergepath_partition_config_static_selectorELNS0_4arch9wavefront6targetE0EEEvSF_,"axG",@progbits,_ZN7rocprim17ROCPRIM_400000_NS6detail17trampoline_kernelINS0_14default_configENS1_38merge_sort_block_merge_config_selectorIbNS0_10empty_typeEEEZZNS1_27merge_sort_block_merge_implIS3_PbPS5_jNS1_19radix_merge_compareILb0ELb0EbNS0_19identity_decomposerEEEEE10hipError_tT0_T1_T2_jT3_P12ihipStream_tbPNSt15iterator_traitsISE_E10value_typeEPNSK_ISF_E10value_typeEPSG_NS1_7vsmem_tEENKUlT_SE_SF_SG_E_clIS8_S8_S9_S9_EESD_ST_SE_SF_SG_EUlST_E_NS1_11comp_targetILNS1_3genE2ELNS1_11target_archE906ELNS1_3gpuE6ELNS1_3repE0EEENS1_48merge_mergepath_partition_config_static_selectorELNS0_4arch9wavefront6targetE0EEEvSF_,comdat
.Lfunc_end1791:
	.size	_ZN7rocprim17ROCPRIM_400000_NS6detail17trampoline_kernelINS0_14default_configENS1_38merge_sort_block_merge_config_selectorIbNS0_10empty_typeEEEZZNS1_27merge_sort_block_merge_implIS3_PbPS5_jNS1_19radix_merge_compareILb0ELb0EbNS0_19identity_decomposerEEEEE10hipError_tT0_T1_T2_jT3_P12ihipStream_tbPNSt15iterator_traitsISE_E10value_typeEPNSK_ISF_E10value_typeEPSG_NS1_7vsmem_tEENKUlT_SE_SF_SG_E_clIS8_S8_S9_S9_EESD_ST_SE_SF_SG_EUlST_E_NS1_11comp_targetILNS1_3genE2ELNS1_11target_archE906ELNS1_3gpuE6ELNS1_3repE0EEENS1_48merge_mergepath_partition_config_static_selectorELNS0_4arch9wavefront6targetE0EEEvSF_, .Lfunc_end1791-_ZN7rocprim17ROCPRIM_400000_NS6detail17trampoline_kernelINS0_14default_configENS1_38merge_sort_block_merge_config_selectorIbNS0_10empty_typeEEEZZNS1_27merge_sort_block_merge_implIS3_PbPS5_jNS1_19radix_merge_compareILb0ELb0EbNS0_19identity_decomposerEEEEE10hipError_tT0_T1_T2_jT3_P12ihipStream_tbPNSt15iterator_traitsISE_E10value_typeEPNSK_ISF_E10value_typeEPSG_NS1_7vsmem_tEENKUlT_SE_SF_SG_E_clIS8_S8_S9_S9_EESD_ST_SE_SF_SG_EUlST_E_NS1_11comp_targetILNS1_3genE2ELNS1_11target_archE906ELNS1_3gpuE6ELNS1_3repE0EEENS1_48merge_mergepath_partition_config_static_selectorELNS0_4arch9wavefront6targetE0EEEvSF_
                                        ; -- End function
	.set _ZN7rocprim17ROCPRIM_400000_NS6detail17trampoline_kernelINS0_14default_configENS1_38merge_sort_block_merge_config_selectorIbNS0_10empty_typeEEEZZNS1_27merge_sort_block_merge_implIS3_PbPS5_jNS1_19radix_merge_compareILb0ELb0EbNS0_19identity_decomposerEEEEE10hipError_tT0_T1_T2_jT3_P12ihipStream_tbPNSt15iterator_traitsISE_E10value_typeEPNSK_ISF_E10value_typeEPSG_NS1_7vsmem_tEENKUlT_SE_SF_SG_E_clIS8_S8_S9_S9_EESD_ST_SE_SF_SG_EUlST_E_NS1_11comp_targetILNS1_3genE2ELNS1_11target_archE906ELNS1_3gpuE6ELNS1_3repE0EEENS1_48merge_mergepath_partition_config_static_selectorELNS0_4arch9wavefront6targetE0EEEvSF_.num_vgpr, 0
	.set _ZN7rocprim17ROCPRIM_400000_NS6detail17trampoline_kernelINS0_14default_configENS1_38merge_sort_block_merge_config_selectorIbNS0_10empty_typeEEEZZNS1_27merge_sort_block_merge_implIS3_PbPS5_jNS1_19radix_merge_compareILb0ELb0EbNS0_19identity_decomposerEEEEE10hipError_tT0_T1_T2_jT3_P12ihipStream_tbPNSt15iterator_traitsISE_E10value_typeEPNSK_ISF_E10value_typeEPSG_NS1_7vsmem_tEENKUlT_SE_SF_SG_E_clIS8_S8_S9_S9_EESD_ST_SE_SF_SG_EUlST_E_NS1_11comp_targetILNS1_3genE2ELNS1_11target_archE906ELNS1_3gpuE6ELNS1_3repE0EEENS1_48merge_mergepath_partition_config_static_selectorELNS0_4arch9wavefront6targetE0EEEvSF_.num_agpr, 0
	.set _ZN7rocprim17ROCPRIM_400000_NS6detail17trampoline_kernelINS0_14default_configENS1_38merge_sort_block_merge_config_selectorIbNS0_10empty_typeEEEZZNS1_27merge_sort_block_merge_implIS3_PbPS5_jNS1_19radix_merge_compareILb0ELb0EbNS0_19identity_decomposerEEEEE10hipError_tT0_T1_T2_jT3_P12ihipStream_tbPNSt15iterator_traitsISE_E10value_typeEPNSK_ISF_E10value_typeEPSG_NS1_7vsmem_tEENKUlT_SE_SF_SG_E_clIS8_S8_S9_S9_EESD_ST_SE_SF_SG_EUlST_E_NS1_11comp_targetILNS1_3genE2ELNS1_11target_archE906ELNS1_3gpuE6ELNS1_3repE0EEENS1_48merge_mergepath_partition_config_static_selectorELNS0_4arch9wavefront6targetE0EEEvSF_.numbered_sgpr, 0
	.set _ZN7rocprim17ROCPRIM_400000_NS6detail17trampoline_kernelINS0_14default_configENS1_38merge_sort_block_merge_config_selectorIbNS0_10empty_typeEEEZZNS1_27merge_sort_block_merge_implIS3_PbPS5_jNS1_19radix_merge_compareILb0ELb0EbNS0_19identity_decomposerEEEEE10hipError_tT0_T1_T2_jT3_P12ihipStream_tbPNSt15iterator_traitsISE_E10value_typeEPNSK_ISF_E10value_typeEPSG_NS1_7vsmem_tEENKUlT_SE_SF_SG_E_clIS8_S8_S9_S9_EESD_ST_SE_SF_SG_EUlST_E_NS1_11comp_targetILNS1_3genE2ELNS1_11target_archE906ELNS1_3gpuE6ELNS1_3repE0EEENS1_48merge_mergepath_partition_config_static_selectorELNS0_4arch9wavefront6targetE0EEEvSF_.num_named_barrier, 0
	.set _ZN7rocprim17ROCPRIM_400000_NS6detail17trampoline_kernelINS0_14default_configENS1_38merge_sort_block_merge_config_selectorIbNS0_10empty_typeEEEZZNS1_27merge_sort_block_merge_implIS3_PbPS5_jNS1_19radix_merge_compareILb0ELb0EbNS0_19identity_decomposerEEEEE10hipError_tT0_T1_T2_jT3_P12ihipStream_tbPNSt15iterator_traitsISE_E10value_typeEPNSK_ISF_E10value_typeEPSG_NS1_7vsmem_tEENKUlT_SE_SF_SG_E_clIS8_S8_S9_S9_EESD_ST_SE_SF_SG_EUlST_E_NS1_11comp_targetILNS1_3genE2ELNS1_11target_archE906ELNS1_3gpuE6ELNS1_3repE0EEENS1_48merge_mergepath_partition_config_static_selectorELNS0_4arch9wavefront6targetE0EEEvSF_.private_seg_size, 0
	.set _ZN7rocprim17ROCPRIM_400000_NS6detail17trampoline_kernelINS0_14default_configENS1_38merge_sort_block_merge_config_selectorIbNS0_10empty_typeEEEZZNS1_27merge_sort_block_merge_implIS3_PbPS5_jNS1_19radix_merge_compareILb0ELb0EbNS0_19identity_decomposerEEEEE10hipError_tT0_T1_T2_jT3_P12ihipStream_tbPNSt15iterator_traitsISE_E10value_typeEPNSK_ISF_E10value_typeEPSG_NS1_7vsmem_tEENKUlT_SE_SF_SG_E_clIS8_S8_S9_S9_EESD_ST_SE_SF_SG_EUlST_E_NS1_11comp_targetILNS1_3genE2ELNS1_11target_archE906ELNS1_3gpuE6ELNS1_3repE0EEENS1_48merge_mergepath_partition_config_static_selectorELNS0_4arch9wavefront6targetE0EEEvSF_.uses_vcc, 0
	.set _ZN7rocprim17ROCPRIM_400000_NS6detail17trampoline_kernelINS0_14default_configENS1_38merge_sort_block_merge_config_selectorIbNS0_10empty_typeEEEZZNS1_27merge_sort_block_merge_implIS3_PbPS5_jNS1_19radix_merge_compareILb0ELb0EbNS0_19identity_decomposerEEEEE10hipError_tT0_T1_T2_jT3_P12ihipStream_tbPNSt15iterator_traitsISE_E10value_typeEPNSK_ISF_E10value_typeEPSG_NS1_7vsmem_tEENKUlT_SE_SF_SG_E_clIS8_S8_S9_S9_EESD_ST_SE_SF_SG_EUlST_E_NS1_11comp_targetILNS1_3genE2ELNS1_11target_archE906ELNS1_3gpuE6ELNS1_3repE0EEENS1_48merge_mergepath_partition_config_static_selectorELNS0_4arch9wavefront6targetE0EEEvSF_.uses_flat_scratch, 0
	.set _ZN7rocprim17ROCPRIM_400000_NS6detail17trampoline_kernelINS0_14default_configENS1_38merge_sort_block_merge_config_selectorIbNS0_10empty_typeEEEZZNS1_27merge_sort_block_merge_implIS3_PbPS5_jNS1_19radix_merge_compareILb0ELb0EbNS0_19identity_decomposerEEEEE10hipError_tT0_T1_T2_jT3_P12ihipStream_tbPNSt15iterator_traitsISE_E10value_typeEPNSK_ISF_E10value_typeEPSG_NS1_7vsmem_tEENKUlT_SE_SF_SG_E_clIS8_S8_S9_S9_EESD_ST_SE_SF_SG_EUlST_E_NS1_11comp_targetILNS1_3genE2ELNS1_11target_archE906ELNS1_3gpuE6ELNS1_3repE0EEENS1_48merge_mergepath_partition_config_static_selectorELNS0_4arch9wavefront6targetE0EEEvSF_.has_dyn_sized_stack, 0
	.set _ZN7rocprim17ROCPRIM_400000_NS6detail17trampoline_kernelINS0_14default_configENS1_38merge_sort_block_merge_config_selectorIbNS0_10empty_typeEEEZZNS1_27merge_sort_block_merge_implIS3_PbPS5_jNS1_19radix_merge_compareILb0ELb0EbNS0_19identity_decomposerEEEEE10hipError_tT0_T1_T2_jT3_P12ihipStream_tbPNSt15iterator_traitsISE_E10value_typeEPNSK_ISF_E10value_typeEPSG_NS1_7vsmem_tEENKUlT_SE_SF_SG_E_clIS8_S8_S9_S9_EESD_ST_SE_SF_SG_EUlST_E_NS1_11comp_targetILNS1_3genE2ELNS1_11target_archE906ELNS1_3gpuE6ELNS1_3repE0EEENS1_48merge_mergepath_partition_config_static_selectorELNS0_4arch9wavefront6targetE0EEEvSF_.has_recursion, 0
	.set _ZN7rocprim17ROCPRIM_400000_NS6detail17trampoline_kernelINS0_14default_configENS1_38merge_sort_block_merge_config_selectorIbNS0_10empty_typeEEEZZNS1_27merge_sort_block_merge_implIS3_PbPS5_jNS1_19radix_merge_compareILb0ELb0EbNS0_19identity_decomposerEEEEE10hipError_tT0_T1_T2_jT3_P12ihipStream_tbPNSt15iterator_traitsISE_E10value_typeEPNSK_ISF_E10value_typeEPSG_NS1_7vsmem_tEENKUlT_SE_SF_SG_E_clIS8_S8_S9_S9_EESD_ST_SE_SF_SG_EUlST_E_NS1_11comp_targetILNS1_3genE2ELNS1_11target_archE906ELNS1_3gpuE6ELNS1_3repE0EEENS1_48merge_mergepath_partition_config_static_selectorELNS0_4arch9wavefront6targetE0EEEvSF_.has_indirect_call, 0
	.section	.AMDGPU.csdata,"",@progbits
; Kernel info:
; codeLenInByte = 0
; TotalNumSgprs: 0
; NumVgprs: 0
; ScratchSize: 0
; MemoryBound: 0
; FloatMode: 240
; IeeeMode: 1
; LDSByteSize: 0 bytes/workgroup (compile time only)
; SGPRBlocks: 0
; VGPRBlocks: 0
; NumSGPRsForWavesPerEU: 1
; NumVGPRsForWavesPerEU: 1
; NamedBarCnt: 0
; Occupancy: 16
; WaveLimiterHint : 0
; COMPUTE_PGM_RSRC2:SCRATCH_EN: 0
; COMPUTE_PGM_RSRC2:USER_SGPR: 2
; COMPUTE_PGM_RSRC2:TRAP_HANDLER: 0
; COMPUTE_PGM_RSRC2:TGID_X_EN: 1
; COMPUTE_PGM_RSRC2:TGID_Y_EN: 0
; COMPUTE_PGM_RSRC2:TGID_Z_EN: 0
; COMPUTE_PGM_RSRC2:TIDIG_COMP_CNT: 0
	.section	.text._ZN7rocprim17ROCPRIM_400000_NS6detail17trampoline_kernelINS0_14default_configENS1_38merge_sort_block_merge_config_selectorIbNS0_10empty_typeEEEZZNS1_27merge_sort_block_merge_implIS3_PbPS5_jNS1_19radix_merge_compareILb0ELb0EbNS0_19identity_decomposerEEEEE10hipError_tT0_T1_T2_jT3_P12ihipStream_tbPNSt15iterator_traitsISE_E10value_typeEPNSK_ISF_E10value_typeEPSG_NS1_7vsmem_tEENKUlT_SE_SF_SG_E_clIS8_S8_S9_S9_EESD_ST_SE_SF_SG_EUlST_E_NS1_11comp_targetILNS1_3genE9ELNS1_11target_archE1100ELNS1_3gpuE3ELNS1_3repE0EEENS1_48merge_mergepath_partition_config_static_selectorELNS0_4arch9wavefront6targetE0EEEvSF_,"axG",@progbits,_ZN7rocprim17ROCPRIM_400000_NS6detail17trampoline_kernelINS0_14default_configENS1_38merge_sort_block_merge_config_selectorIbNS0_10empty_typeEEEZZNS1_27merge_sort_block_merge_implIS3_PbPS5_jNS1_19radix_merge_compareILb0ELb0EbNS0_19identity_decomposerEEEEE10hipError_tT0_T1_T2_jT3_P12ihipStream_tbPNSt15iterator_traitsISE_E10value_typeEPNSK_ISF_E10value_typeEPSG_NS1_7vsmem_tEENKUlT_SE_SF_SG_E_clIS8_S8_S9_S9_EESD_ST_SE_SF_SG_EUlST_E_NS1_11comp_targetILNS1_3genE9ELNS1_11target_archE1100ELNS1_3gpuE3ELNS1_3repE0EEENS1_48merge_mergepath_partition_config_static_selectorELNS0_4arch9wavefront6targetE0EEEvSF_,comdat
	.protected	_ZN7rocprim17ROCPRIM_400000_NS6detail17trampoline_kernelINS0_14default_configENS1_38merge_sort_block_merge_config_selectorIbNS0_10empty_typeEEEZZNS1_27merge_sort_block_merge_implIS3_PbPS5_jNS1_19radix_merge_compareILb0ELb0EbNS0_19identity_decomposerEEEEE10hipError_tT0_T1_T2_jT3_P12ihipStream_tbPNSt15iterator_traitsISE_E10value_typeEPNSK_ISF_E10value_typeEPSG_NS1_7vsmem_tEENKUlT_SE_SF_SG_E_clIS8_S8_S9_S9_EESD_ST_SE_SF_SG_EUlST_E_NS1_11comp_targetILNS1_3genE9ELNS1_11target_archE1100ELNS1_3gpuE3ELNS1_3repE0EEENS1_48merge_mergepath_partition_config_static_selectorELNS0_4arch9wavefront6targetE0EEEvSF_ ; -- Begin function _ZN7rocprim17ROCPRIM_400000_NS6detail17trampoline_kernelINS0_14default_configENS1_38merge_sort_block_merge_config_selectorIbNS0_10empty_typeEEEZZNS1_27merge_sort_block_merge_implIS3_PbPS5_jNS1_19radix_merge_compareILb0ELb0EbNS0_19identity_decomposerEEEEE10hipError_tT0_T1_T2_jT3_P12ihipStream_tbPNSt15iterator_traitsISE_E10value_typeEPNSK_ISF_E10value_typeEPSG_NS1_7vsmem_tEENKUlT_SE_SF_SG_E_clIS8_S8_S9_S9_EESD_ST_SE_SF_SG_EUlST_E_NS1_11comp_targetILNS1_3genE9ELNS1_11target_archE1100ELNS1_3gpuE3ELNS1_3repE0EEENS1_48merge_mergepath_partition_config_static_selectorELNS0_4arch9wavefront6targetE0EEEvSF_
	.globl	_ZN7rocprim17ROCPRIM_400000_NS6detail17trampoline_kernelINS0_14default_configENS1_38merge_sort_block_merge_config_selectorIbNS0_10empty_typeEEEZZNS1_27merge_sort_block_merge_implIS3_PbPS5_jNS1_19radix_merge_compareILb0ELb0EbNS0_19identity_decomposerEEEEE10hipError_tT0_T1_T2_jT3_P12ihipStream_tbPNSt15iterator_traitsISE_E10value_typeEPNSK_ISF_E10value_typeEPSG_NS1_7vsmem_tEENKUlT_SE_SF_SG_E_clIS8_S8_S9_S9_EESD_ST_SE_SF_SG_EUlST_E_NS1_11comp_targetILNS1_3genE9ELNS1_11target_archE1100ELNS1_3gpuE3ELNS1_3repE0EEENS1_48merge_mergepath_partition_config_static_selectorELNS0_4arch9wavefront6targetE0EEEvSF_
	.p2align	8
	.type	_ZN7rocprim17ROCPRIM_400000_NS6detail17trampoline_kernelINS0_14default_configENS1_38merge_sort_block_merge_config_selectorIbNS0_10empty_typeEEEZZNS1_27merge_sort_block_merge_implIS3_PbPS5_jNS1_19radix_merge_compareILb0ELb0EbNS0_19identity_decomposerEEEEE10hipError_tT0_T1_T2_jT3_P12ihipStream_tbPNSt15iterator_traitsISE_E10value_typeEPNSK_ISF_E10value_typeEPSG_NS1_7vsmem_tEENKUlT_SE_SF_SG_E_clIS8_S8_S9_S9_EESD_ST_SE_SF_SG_EUlST_E_NS1_11comp_targetILNS1_3genE9ELNS1_11target_archE1100ELNS1_3gpuE3ELNS1_3repE0EEENS1_48merge_mergepath_partition_config_static_selectorELNS0_4arch9wavefront6targetE0EEEvSF_,@function
_ZN7rocprim17ROCPRIM_400000_NS6detail17trampoline_kernelINS0_14default_configENS1_38merge_sort_block_merge_config_selectorIbNS0_10empty_typeEEEZZNS1_27merge_sort_block_merge_implIS3_PbPS5_jNS1_19radix_merge_compareILb0ELb0EbNS0_19identity_decomposerEEEEE10hipError_tT0_T1_T2_jT3_P12ihipStream_tbPNSt15iterator_traitsISE_E10value_typeEPNSK_ISF_E10value_typeEPSG_NS1_7vsmem_tEENKUlT_SE_SF_SG_E_clIS8_S8_S9_S9_EESD_ST_SE_SF_SG_EUlST_E_NS1_11comp_targetILNS1_3genE9ELNS1_11target_archE1100ELNS1_3gpuE3ELNS1_3repE0EEENS1_48merge_mergepath_partition_config_static_selectorELNS0_4arch9wavefront6targetE0EEEvSF_: ; @_ZN7rocprim17ROCPRIM_400000_NS6detail17trampoline_kernelINS0_14default_configENS1_38merge_sort_block_merge_config_selectorIbNS0_10empty_typeEEEZZNS1_27merge_sort_block_merge_implIS3_PbPS5_jNS1_19radix_merge_compareILb0ELb0EbNS0_19identity_decomposerEEEEE10hipError_tT0_T1_T2_jT3_P12ihipStream_tbPNSt15iterator_traitsISE_E10value_typeEPNSK_ISF_E10value_typeEPSG_NS1_7vsmem_tEENKUlT_SE_SF_SG_E_clIS8_S8_S9_S9_EESD_ST_SE_SF_SG_EUlST_E_NS1_11comp_targetILNS1_3genE9ELNS1_11target_archE1100ELNS1_3gpuE3ELNS1_3repE0EEENS1_48merge_mergepath_partition_config_static_selectorELNS0_4arch9wavefront6targetE0EEEvSF_
; %bb.0:
	.section	.rodata,"a",@progbits
	.p2align	6, 0x0
	.amdhsa_kernel _ZN7rocprim17ROCPRIM_400000_NS6detail17trampoline_kernelINS0_14default_configENS1_38merge_sort_block_merge_config_selectorIbNS0_10empty_typeEEEZZNS1_27merge_sort_block_merge_implIS3_PbPS5_jNS1_19radix_merge_compareILb0ELb0EbNS0_19identity_decomposerEEEEE10hipError_tT0_T1_T2_jT3_P12ihipStream_tbPNSt15iterator_traitsISE_E10value_typeEPNSK_ISF_E10value_typeEPSG_NS1_7vsmem_tEENKUlT_SE_SF_SG_E_clIS8_S8_S9_S9_EESD_ST_SE_SF_SG_EUlST_E_NS1_11comp_targetILNS1_3genE9ELNS1_11target_archE1100ELNS1_3gpuE3ELNS1_3repE0EEENS1_48merge_mergepath_partition_config_static_selectorELNS0_4arch9wavefront6targetE0EEEvSF_
		.amdhsa_group_segment_fixed_size 0
		.amdhsa_private_segment_fixed_size 0
		.amdhsa_kernarg_size 40
		.amdhsa_user_sgpr_count 2
		.amdhsa_user_sgpr_dispatch_ptr 0
		.amdhsa_user_sgpr_queue_ptr 0
		.amdhsa_user_sgpr_kernarg_segment_ptr 1
		.amdhsa_user_sgpr_dispatch_id 0
		.amdhsa_user_sgpr_kernarg_preload_length 0
		.amdhsa_user_sgpr_kernarg_preload_offset 0
		.amdhsa_user_sgpr_private_segment_size 0
		.amdhsa_wavefront_size32 1
		.amdhsa_uses_dynamic_stack 0
		.amdhsa_enable_private_segment 0
		.amdhsa_system_sgpr_workgroup_id_x 1
		.amdhsa_system_sgpr_workgroup_id_y 0
		.amdhsa_system_sgpr_workgroup_id_z 0
		.amdhsa_system_sgpr_workgroup_info 0
		.amdhsa_system_vgpr_workitem_id 0
		.amdhsa_next_free_vgpr 1
		.amdhsa_next_free_sgpr 1
		.amdhsa_named_barrier_count 0
		.amdhsa_reserve_vcc 0
		.amdhsa_float_round_mode_32 0
		.amdhsa_float_round_mode_16_64 0
		.amdhsa_float_denorm_mode_32 3
		.amdhsa_float_denorm_mode_16_64 3
		.amdhsa_fp16_overflow 0
		.amdhsa_memory_ordered 1
		.amdhsa_forward_progress 1
		.amdhsa_inst_pref_size 0
		.amdhsa_round_robin_scheduling 0
		.amdhsa_exception_fp_ieee_invalid_op 0
		.amdhsa_exception_fp_denorm_src 0
		.amdhsa_exception_fp_ieee_div_zero 0
		.amdhsa_exception_fp_ieee_overflow 0
		.amdhsa_exception_fp_ieee_underflow 0
		.amdhsa_exception_fp_ieee_inexact 0
		.amdhsa_exception_int_div_zero 0
	.end_amdhsa_kernel
	.section	.text._ZN7rocprim17ROCPRIM_400000_NS6detail17trampoline_kernelINS0_14default_configENS1_38merge_sort_block_merge_config_selectorIbNS0_10empty_typeEEEZZNS1_27merge_sort_block_merge_implIS3_PbPS5_jNS1_19radix_merge_compareILb0ELb0EbNS0_19identity_decomposerEEEEE10hipError_tT0_T1_T2_jT3_P12ihipStream_tbPNSt15iterator_traitsISE_E10value_typeEPNSK_ISF_E10value_typeEPSG_NS1_7vsmem_tEENKUlT_SE_SF_SG_E_clIS8_S8_S9_S9_EESD_ST_SE_SF_SG_EUlST_E_NS1_11comp_targetILNS1_3genE9ELNS1_11target_archE1100ELNS1_3gpuE3ELNS1_3repE0EEENS1_48merge_mergepath_partition_config_static_selectorELNS0_4arch9wavefront6targetE0EEEvSF_,"axG",@progbits,_ZN7rocprim17ROCPRIM_400000_NS6detail17trampoline_kernelINS0_14default_configENS1_38merge_sort_block_merge_config_selectorIbNS0_10empty_typeEEEZZNS1_27merge_sort_block_merge_implIS3_PbPS5_jNS1_19radix_merge_compareILb0ELb0EbNS0_19identity_decomposerEEEEE10hipError_tT0_T1_T2_jT3_P12ihipStream_tbPNSt15iterator_traitsISE_E10value_typeEPNSK_ISF_E10value_typeEPSG_NS1_7vsmem_tEENKUlT_SE_SF_SG_E_clIS8_S8_S9_S9_EESD_ST_SE_SF_SG_EUlST_E_NS1_11comp_targetILNS1_3genE9ELNS1_11target_archE1100ELNS1_3gpuE3ELNS1_3repE0EEENS1_48merge_mergepath_partition_config_static_selectorELNS0_4arch9wavefront6targetE0EEEvSF_,comdat
.Lfunc_end1792:
	.size	_ZN7rocprim17ROCPRIM_400000_NS6detail17trampoline_kernelINS0_14default_configENS1_38merge_sort_block_merge_config_selectorIbNS0_10empty_typeEEEZZNS1_27merge_sort_block_merge_implIS3_PbPS5_jNS1_19radix_merge_compareILb0ELb0EbNS0_19identity_decomposerEEEEE10hipError_tT0_T1_T2_jT3_P12ihipStream_tbPNSt15iterator_traitsISE_E10value_typeEPNSK_ISF_E10value_typeEPSG_NS1_7vsmem_tEENKUlT_SE_SF_SG_E_clIS8_S8_S9_S9_EESD_ST_SE_SF_SG_EUlST_E_NS1_11comp_targetILNS1_3genE9ELNS1_11target_archE1100ELNS1_3gpuE3ELNS1_3repE0EEENS1_48merge_mergepath_partition_config_static_selectorELNS0_4arch9wavefront6targetE0EEEvSF_, .Lfunc_end1792-_ZN7rocprim17ROCPRIM_400000_NS6detail17trampoline_kernelINS0_14default_configENS1_38merge_sort_block_merge_config_selectorIbNS0_10empty_typeEEEZZNS1_27merge_sort_block_merge_implIS3_PbPS5_jNS1_19radix_merge_compareILb0ELb0EbNS0_19identity_decomposerEEEEE10hipError_tT0_T1_T2_jT3_P12ihipStream_tbPNSt15iterator_traitsISE_E10value_typeEPNSK_ISF_E10value_typeEPSG_NS1_7vsmem_tEENKUlT_SE_SF_SG_E_clIS8_S8_S9_S9_EESD_ST_SE_SF_SG_EUlST_E_NS1_11comp_targetILNS1_3genE9ELNS1_11target_archE1100ELNS1_3gpuE3ELNS1_3repE0EEENS1_48merge_mergepath_partition_config_static_selectorELNS0_4arch9wavefront6targetE0EEEvSF_
                                        ; -- End function
	.set _ZN7rocprim17ROCPRIM_400000_NS6detail17trampoline_kernelINS0_14default_configENS1_38merge_sort_block_merge_config_selectorIbNS0_10empty_typeEEEZZNS1_27merge_sort_block_merge_implIS3_PbPS5_jNS1_19radix_merge_compareILb0ELb0EbNS0_19identity_decomposerEEEEE10hipError_tT0_T1_T2_jT3_P12ihipStream_tbPNSt15iterator_traitsISE_E10value_typeEPNSK_ISF_E10value_typeEPSG_NS1_7vsmem_tEENKUlT_SE_SF_SG_E_clIS8_S8_S9_S9_EESD_ST_SE_SF_SG_EUlST_E_NS1_11comp_targetILNS1_3genE9ELNS1_11target_archE1100ELNS1_3gpuE3ELNS1_3repE0EEENS1_48merge_mergepath_partition_config_static_selectorELNS0_4arch9wavefront6targetE0EEEvSF_.num_vgpr, 0
	.set _ZN7rocprim17ROCPRIM_400000_NS6detail17trampoline_kernelINS0_14default_configENS1_38merge_sort_block_merge_config_selectorIbNS0_10empty_typeEEEZZNS1_27merge_sort_block_merge_implIS3_PbPS5_jNS1_19radix_merge_compareILb0ELb0EbNS0_19identity_decomposerEEEEE10hipError_tT0_T1_T2_jT3_P12ihipStream_tbPNSt15iterator_traitsISE_E10value_typeEPNSK_ISF_E10value_typeEPSG_NS1_7vsmem_tEENKUlT_SE_SF_SG_E_clIS8_S8_S9_S9_EESD_ST_SE_SF_SG_EUlST_E_NS1_11comp_targetILNS1_3genE9ELNS1_11target_archE1100ELNS1_3gpuE3ELNS1_3repE0EEENS1_48merge_mergepath_partition_config_static_selectorELNS0_4arch9wavefront6targetE0EEEvSF_.num_agpr, 0
	.set _ZN7rocprim17ROCPRIM_400000_NS6detail17trampoline_kernelINS0_14default_configENS1_38merge_sort_block_merge_config_selectorIbNS0_10empty_typeEEEZZNS1_27merge_sort_block_merge_implIS3_PbPS5_jNS1_19radix_merge_compareILb0ELb0EbNS0_19identity_decomposerEEEEE10hipError_tT0_T1_T2_jT3_P12ihipStream_tbPNSt15iterator_traitsISE_E10value_typeEPNSK_ISF_E10value_typeEPSG_NS1_7vsmem_tEENKUlT_SE_SF_SG_E_clIS8_S8_S9_S9_EESD_ST_SE_SF_SG_EUlST_E_NS1_11comp_targetILNS1_3genE9ELNS1_11target_archE1100ELNS1_3gpuE3ELNS1_3repE0EEENS1_48merge_mergepath_partition_config_static_selectorELNS0_4arch9wavefront6targetE0EEEvSF_.numbered_sgpr, 0
	.set _ZN7rocprim17ROCPRIM_400000_NS6detail17trampoline_kernelINS0_14default_configENS1_38merge_sort_block_merge_config_selectorIbNS0_10empty_typeEEEZZNS1_27merge_sort_block_merge_implIS3_PbPS5_jNS1_19radix_merge_compareILb0ELb0EbNS0_19identity_decomposerEEEEE10hipError_tT0_T1_T2_jT3_P12ihipStream_tbPNSt15iterator_traitsISE_E10value_typeEPNSK_ISF_E10value_typeEPSG_NS1_7vsmem_tEENKUlT_SE_SF_SG_E_clIS8_S8_S9_S9_EESD_ST_SE_SF_SG_EUlST_E_NS1_11comp_targetILNS1_3genE9ELNS1_11target_archE1100ELNS1_3gpuE3ELNS1_3repE0EEENS1_48merge_mergepath_partition_config_static_selectorELNS0_4arch9wavefront6targetE0EEEvSF_.num_named_barrier, 0
	.set _ZN7rocprim17ROCPRIM_400000_NS6detail17trampoline_kernelINS0_14default_configENS1_38merge_sort_block_merge_config_selectorIbNS0_10empty_typeEEEZZNS1_27merge_sort_block_merge_implIS3_PbPS5_jNS1_19radix_merge_compareILb0ELb0EbNS0_19identity_decomposerEEEEE10hipError_tT0_T1_T2_jT3_P12ihipStream_tbPNSt15iterator_traitsISE_E10value_typeEPNSK_ISF_E10value_typeEPSG_NS1_7vsmem_tEENKUlT_SE_SF_SG_E_clIS8_S8_S9_S9_EESD_ST_SE_SF_SG_EUlST_E_NS1_11comp_targetILNS1_3genE9ELNS1_11target_archE1100ELNS1_3gpuE3ELNS1_3repE0EEENS1_48merge_mergepath_partition_config_static_selectorELNS0_4arch9wavefront6targetE0EEEvSF_.private_seg_size, 0
	.set _ZN7rocprim17ROCPRIM_400000_NS6detail17trampoline_kernelINS0_14default_configENS1_38merge_sort_block_merge_config_selectorIbNS0_10empty_typeEEEZZNS1_27merge_sort_block_merge_implIS3_PbPS5_jNS1_19radix_merge_compareILb0ELb0EbNS0_19identity_decomposerEEEEE10hipError_tT0_T1_T2_jT3_P12ihipStream_tbPNSt15iterator_traitsISE_E10value_typeEPNSK_ISF_E10value_typeEPSG_NS1_7vsmem_tEENKUlT_SE_SF_SG_E_clIS8_S8_S9_S9_EESD_ST_SE_SF_SG_EUlST_E_NS1_11comp_targetILNS1_3genE9ELNS1_11target_archE1100ELNS1_3gpuE3ELNS1_3repE0EEENS1_48merge_mergepath_partition_config_static_selectorELNS0_4arch9wavefront6targetE0EEEvSF_.uses_vcc, 0
	.set _ZN7rocprim17ROCPRIM_400000_NS6detail17trampoline_kernelINS0_14default_configENS1_38merge_sort_block_merge_config_selectorIbNS0_10empty_typeEEEZZNS1_27merge_sort_block_merge_implIS3_PbPS5_jNS1_19radix_merge_compareILb0ELb0EbNS0_19identity_decomposerEEEEE10hipError_tT0_T1_T2_jT3_P12ihipStream_tbPNSt15iterator_traitsISE_E10value_typeEPNSK_ISF_E10value_typeEPSG_NS1_7vsmem_tEENKUlT_SE_SF_SG_E_clIS8_S8_S9_S9_EESD_ST_SE_SF_SG_EUlST_E_NS1_11comp_targetILNS1_3genE9ELNS1_11target_archE1100ELNS1_3gpuE3ELNS1_3repE0EEENS1_48merge_mergepath_partition_config_static_selectorELNS0_4arch9wavefront6targetE0EEEvSF_.uses_flat_scratch, 0
	.set _ZN7rocprim17ROCPRIM_400000_NS6detail17trampoline_kernelINS0_14default_configENS1_38merge_sort_block_merge_config_selectorIbNS0_10empty_typeEEEZZNS1_27merge_sort_block_merge_implIS3_PbPS5_jNS1_19radix_merge_compareILb0ELb0EbNS0_19identity_decomposerEEEEE10hipError_tT0_T1_T2_jT3_P12ihipStream_tbPNSt15iterator_traitsISE_E10value_typeEPNSK_ISF_E10value_typeEPSG_NS1_7vsmem_tEENKUlT_SE_SF_SG_E_clIS8_S8_S9_S9_EESD_ST_SE_SF_SG_EUlST_E_NS1_11comp_targetILNS1_3genE9ELNS1_11target_archE1100ELNS1_3gpuE3ELNS1_3repE0EEENS1_48merge_mergepath_partition_config_static_selectorELNS0_4arch9wavefront6targetE0EEEvSF_.has_dyn_sized_stack, 0
	.set _ZN7rocprim17ROCPRIM_400000_NS6detail17trampoline_kernelINS0_14default_configENS1_38merge_sort_block_merge_config_selectorIbNS0_10empty_typeEEEZZNS1_27merge_sort_block_merge_implIS3_PbPS5_jNS1_19radix_merge_compareILb0ELb0EbNS0_19identity_decomposerEEEEE10hipError_tT0_T1_T2_jT3_P12ihipStream_tbPNSt15iterator_traitsISE_E10value_typeEPNSK_ISF_E10value_typeEPSG_NS1_7vsmem_tEENKUlT_SE_SF_SG_E_clIS8_S8_S9_S9_EESD_ST_SE_SF_SG_EUlST_E_NS1_11comp_targetILNS1_3genE9ELNS1_11target_archE1100ELNS1_3gpuE3ELNS1_3repE0EEENS1_48merge_mergepath_partition_config_static_selectorELNS0_4arch9wavefront6targetE0EEEvSF_.has_recursion, 0
	.set _ZN7rocprim17ROCPRIM_400000_NS6detail17trampoline_kernelINS0_14default_configENS1_38merge_sort_block_merge_config_selectorIbNS0_10empty_typeEEEZZNS1_27merge_sort_block_merge_implIS3_PbPS5_jNS1_19radix_merge_compareILb0ELb0EbNS0_19identity_decomposerEEEEE10hipError_tT0_T1_T2_jT3_P12ihipStream_tbPNSt15iterator_traitsISE_E10value_typeEPNSK_ISF_E10value_typeEPSG_NS1_7vsmem_tEENKUlT_SE_SF_SG_E_clIS8_S8_S9_S9_EESD_ST_SE_SF_SG_EUlST_E_NS1_11comp_targetILNS1_3genE9ELNS1_11target_archE1100ELNS1_3gpuE3ELNS1_3repE0EEENS1_48merge_mergepath_partition_config_static_selectorELNS0_4arch9wavefront6targetE0EEEvSF_.has_indirect_call, 0
	.section	.AMDGPU.csdata,"",@progbits
; Kernel info:
; codeLenInByte = 0
; TotalNumSgprs: 0
; NumVgprs: 0
; ScratchSize: 0
; MemoryBound: 0
; FloatMode: 240
; IeeeMode: 1
; LDSByteSize: 0 bytes/workgroup (compile time only)
; SGPRBlocks: 0
; VGPRBlocks: 0
; NumSGPRsForWavesPerEU: 1
; NumVGPRsForWavesPerEU: 1
; NamedBarCnt: 0
; Occupancy: 16
; WaveLimiterHint : 0
; COMPUTE_PGM_RSRC2:SCRATCH_EN: 0
; COMPUTE_PGM_RSRC2:USER_SGPR: 2
; COMPUTE_PGM_RSRC2:TRAP_HANDLER: 0
; COMPUTE_PGM_RSRC2:TGID_X_EN: 1
; COMPUTE_PGM_RSRC2:TGID_Y_EN: 0
; COMPUTE_PGM_RSRC2:TGID_Z_EN: 0
; COMPUTE_PGM_RSRC2:TIDIG_COMP_CNT: 0
	.section	.text._ZN7rocprim17ROCPRIM_400000_NS6detail17trampoline_kernelINS0_14default_configENS1_38merge_sort_block_merge_config_selectorIbNS0_10empty_typeEEEZZNS1_27merge_sort_block_merge_implIS3_PbPS5_jNS1_19radix_merge_compareILb0ELb0EbNS0_19identity_decomposerEEEEE10hipError_tT0_T1_T2_jT3_P12ihipStream_tbPNSt15iterator_traitsISE_E10value_typeEPNSK_ISF_E10value_typeEPSG_NS1_7vsmem_tEENKUlT_SE_SF_SG_E_clIS8_S8_S9_S9_EESD_ST_SE_SF_SG_EUlST_E_NS1_11comp_targetILNS1_3genE8ELNS1_11target_archE1030ELNS1_3gpuE2ELNS1_3repE0EEENS1_48merge_mergepath_partition_config_static_selectorELNS0_4arch9wavefront6targetE0EEEvSF_,"axG",@progbits,_ZN7rocprim17ROCPRIM_400000_NS6detail17trampoline_kernelINS0_14default_configENS1_38merge_sort_block_merge_config_selectorIbNS0_10empty_typeEEEZZNS1_27merge_sort_block_merge_implIS3_PbPS5_jNS1_19radix_merge_compareILb0ELb0EbNS0_19identity_decomposerEEEEE10hipError_tT0_T1_T2_jT3_P12ihipStream_tbPNSt15iterator_traitsISE_E10value_typeEPNSK_ISF_E10value_typeEPSG_NS1_7vsmem_tEENKUlT_SE_SF_SG_E_clIS8_S8_S9_S9_EESD_ST_SE_SF_SG_EUlST_E_NS1_11comp_targetILNS1_3genE8ELNS1_11target_archE1030ELNS1_3gpuE2ELNS1_3repE0EEENS1_48merge_mergepath_partition_config_static_selectorELNS0_4arch9wavefront6targetE0EEEvSF_,comdat
	.protected	_ZN7rocprim17ROCPRIM_400000_NS6detail17trampoline_kernelINS0_14default_configENS1_38merge_sort_block_merge_config_selectorIbNS0_10empty_typeEEEZZNS1_27merge_sort_block_merge_implIS3_PbPS5_jNS1_19radix_merge_compareILb0ELb0EbNS0_19identity_decomposerEEEEE10hipError_tT0_T1_T2_jT3_P12ihipStream_tbPNSt15iterator_traitsISE_E10value_typeEPNSK_ISF_E10value_typeEPSG_NS1_7vsmem_tEENKUlT_SE_SF_SG_E_clIS8_S8_S9_S9_EESD_ST_SE_SF_SG_EUlST_E_NS1_11comp_targetILNS1_3genE8ELNS1_11target_archE1030ELNS1_3gpuE2ELNS1_3repE0EEENS1_48merge_mergepath_partition_config_static_selectorELNS0_4arch9wavefront6targetE0EEEvSF_ ; -- Begin function _ZN7rocprim17ROCPRIM_400000_NS6detail17trampoline_kernelINS0_14default_configENS1_38merge_sort_block_merge_config_selectorIbNS0_10empty_typeEEEZZNS1_27merge_sort_block_merge_implIS3_PbPS5_jNS1_19radix_merge_compareILb0ELb0EbNS0_19identity_decomposerEEEEE10hipError_tT0_T1_T2_jT3_P12ihipStream_tbPNSt15iterator_traitsISE_E10value_typeEPNSK_ISF_E10value_typeEPSG_NS1_7vsmem_tEENKUlT_SE_SF_SG_E_clIS8_S8_S9_S9_EESD_ST_SE_SF_SG_EUlST_E_NS1_11comp_targetILNS1_3genE8ELNS1_11target_archE1030ELNS1_3gpuE2ELNS1_3repE0EEENS1_48merge_mergepath_partition_config_static_selectorELNS0_4arch9wavefront6targetE0EEEvSF_
	.globl	_ZN7rocprim17ROCPRIM_400000_NS6detail17trampoline_kernelINS0_14default_configENS1_38merge_sort_block_merge_config_selectorIbNS0_10empty_typeEEEZZNS1_27merge_sort_block_merge_implIS3_PbPS5_jNS1_19radix_merge_compareILb0ELb0EbNS0_19identity_decomposerEEEEE10hipError_tT0_T1_T2_jT3_P12ihipStream_tbPNSt15iterator_traitsISE_E10value_typeEPNSK_ISF_E10value_typeEPSG_NS1_7vsmem_tEENKUlT_SE_SF_SG_E_clIS8_S8_S9_S9_EESD_ST_SE_SF_SG_EUlST_E_NS1_11comp_targetILNS1_3genE8ELNS1_11target_archE1030ELNS1_3gpuE2ELNS1_3repE0EEENS1_48merge_mergepath_partition_config_static_selectorELNS0_4arch9wavefront6targetE0EEEvSF_
	.p2align	8
	.type	_ZN7rocprim17ROCPRIM_400000_NS6detail17trampoline_kernelINS0_14default_configENS1_38merge_sort_block_merge_config_selectorIbNS0_10empty_typeEEEZZNS1_27merge_sort_block_merge_implIS3_PbPS5_jNS1_19radix_merge_compareILb0ELb0EbNS0_19identity_decomposerEEEEE10hipError_tT0_T1_T2_jT3_P12ihipStream_tbPNSt15iterator_traitsISE_E10value_typeEPNSK_ISF_E10value_typeEPSG_NS1_7vsmem_tEENKUlT_SE_SF_SG_E_clIS8_S8_S9_S9_EESD_ST_SE_SF_SG_EUlST_E_NS1_11comp_targetILNS1_3genE8ELNS1_11target_archE1030ELNS1_3gpuE2ELNS1_3repE0EEENS1_48merge_mergepath_partition_config_static_selectorELNS0_4arch9wavefront6targetE0EEEvSF_,@function
_ZN7rocprim17ROCPRIM_400000_NS6detail17trampoline_kernelINS0_14default_configENS1_38merge_sort_block_merge_config_selectorIbNS0_10empty_typeEEEZZNS1_27merge_sort_block_merge_implIS3_PbPS5_jNS1_19radix_merge_compareILb0ELb0EbNS0_19identity_decomposerEEEEE10hipError_tT0_T1_T2_jT3_P12ihipStream_tbPNSt15iterator_traitsISE_E10value_typeEPNSK_ISF_E10value_typeEPSG_NS1_7vsmem_tEENKUlT_SE_SF_SG_E_clIS8_S8_S9_S9_EESD_ST_SE_SF_SG_EUlST_E_NS1_11comp_targetILNS1_3genE8ELNS1_11target_archE1030ELNS1_3gpuE2ELNS1_3repE0EEENS1_48merge_mergepath_partition_config_static_selectorELNS0_4arch9wavefront6targetE0EEEvSF_: ; @_ZN7rocprim17ROCPRIM_400000_NS6detail17trampoline_kernelINS0_14default_configENS1_38merge_sort_block_merge_config_selectorIbNS0_10empty_typeEEEZZNS1_27merge_sort_block_merge_implIS3_PbPS5_jNS1_19radix_merge_compareILb0ELb0EbNS0_19identity_decomposerEEEEE10hipError_tT0_T1_T2_jT3_P12ihipStream_tbPNSt15iterator_traitsISE_E10value_typeEPNSK_ISF_E10value_typeEPSG_NS1_7vsmem_tEENKUlT_SE_SF_SG_E_clIS8_S8_S9_S9_EESD_ST_SE_SF_SG_EUlST_E_NS1_11comp_targetILNS1_3genE8ELNS1_11target_archE1030ELNS1_3gpuE2ELNS1_3repE0EEENS1_48merge_mergepath_partition_config_static_selectorELNS0_4arch9wavefront6targetE0EEEvSF_
; %bb.0:
	.section	.rodata,"a",@progbits
	.p2align	6, 0x0
	.amdhsa_kernel _ZN7rocprim17ROCPRIM_400000_NS6detail17trampoline_kernelINS0_14default_configENS1_38merge_sort_block_merge_config_selectorIbNS0_10empty_typeEEEZZNS1_27merge_sort_block_merge_implIS3_PbPS5_jNS1_19radix_merge_compareILb0ELb0EbNS0_19identity_decomposerEEEEE10hipError_tT0_T1_T2_jT3_P12ihipStream_tbPNSt15iterator_traitsISE_E10value_typeEPNSK_ISF_E10value_typeEPSG_NS1_7vsmem_tEENKUlT_SE_SF_SG_E_clIS8_S8_S9_S9_EESD_ST_SE_SF_SG_EUlST_E_NS1_11comp_targetILNS1_3genE8ELNS1_11target_archE1030ELNS1_3gpuE2ELNS1_3repE0EEENS1_48merge_mergepath_partition_config_static_selectorELNS0_4arch9wavefront6targetE0EEEvSF_
		.amdhsa_group_segment_fixed_size 0
		.amdhsa_private_segment_fixed_size 0
		.amdhsa_kernarg_size 40
		.amdhsa_user_sgpr_count 2
		.amdhsa_user_sgpr_dispatch_ptr 0
		.amdhsa_user_sgpr_queue_ptr 0
		.amdhsa_user_sgpr_kernarg_segment_ptr 1
		.amdhsa_user_sgpr_dispatch_id 0
		.amdhsa_user_sgpr_kernarg_preload_length 0
		.amdhsa_user_sgpr_kernarg_preload_offset 0
		.amdhsa_user_sgpr_private_segment_size 0
		.amdhsa_wavefront_size32 1
		.amdhsa_uses_dynamic_stack 0
		.amdhsa_enable_private_segment 0
		.amdhsa_system_sgpr_workgroup_id_x 1
		.amdhsa_system_sgpr_workgroup_id_y 0
		.amdhsa_system_sgpr_workgroup_id_z 0
		.amdhsa_system_sgpr_workgroup_info 0
		.amdhsa_system_vgpr_workitem_id 0
		.amdhsa_next_free_vgpr 1
		.amdhsa_next_free_sgpr 1
		.amdhsa_named_barrier_count 0
		.amdhsa_reserve_vcc 0
		.amdhsa_float_round_mode_32 0
		.amdhsa_float_round_mode_16_64 0
		.amdhsa_float_denorm_mode_32 3
		.amdhsa_float_denorm_mode_16_64 3
		.amdhsa_fp16_overflow 0
		.amdhsa_memory_ordered 1
		.amdhsa_forward_progress 1
		.amdhsa_inst_pref_size 0
		.amdhsa_round_robin_scheduling 0
		.amdhsa_exception_fp_ieee_invalid_op 0
		.amdhsa_exception_fp_denorm_src 0
		.amdhsa_exception_fp_ieee_div_zero 0
		.amdhsa_exception_fp_ieee_overflow 0
		.amdhsa_exception_fp_ieee_underflow 0
		.amdhsa_exception_fp_ieee_inexact 0
		.amdhsa_exception_int_div_zero 0
	.end_amdhsa_kernel
	.section	.text._ZN7rocprim17ROCPRIM_400000_NS6detail17trampoline_kernelINS0_14default_configENS1_38merge_sort_block_merge_config_selectorIbNS0_10empty_typeEEEZZNS1_27merge_sort_block_merge_implIS3_PbPS5_jNS1_19radix_merge_compareILb0ELb0EbNS0_19identity_decomposerEEEEE10hipError_tT0_T1_T2_jT3_P12ihipStream_tbPNSt15iterator_traitsISE_E10value_typeEPNSK_ISF_E10value_typeEPSG_NS1_7vsmem_tEENKUlT_SE_SF_SG_E_clIS8_S8_S9_S9_EESD_ST_SE_SF_SG_EUlST_E_NS1_11comp_targetILNS1_3genE8ELNS1_11target_archE1030ELNS1_3gpuE2ELNS1_3repE0EEENS1_48merge_mergepath_partition_config_static_selectorELNS0_4arch9wavefront6targetE0EEEvSF_,"axG",@progbits,_ZN7rocprim17ROCPRIM_400000_NS6detail17trampoline_kernelINS0_14default_configENS1_38merge_sort_block_merge_config_selectorIbNS0_10empty_typeEEEZZNS1_27merge_sort_block_merge_implIS3_PbPS5_jNS1_19radix_merge_compareILb0ELb0EbNS0_19identity_decomposerEEEEE10hipError_tT0_T1_T2_jT3_P12ihipStream_tbPNSt15iterator_traitsISE_E10value_typeEPNSK_ISF_E10value_typeEPSG_NS1_7vsmem_tEENKUlT_SE_SF_SG_E_clIS8_S8_S9_S9_EESD_ST_SE_SF_SG_EUlST_E_NS1_11comp_targetILNS1_3genE8ELNS1_11target_archE1030ELNS1_3gpuE2ELNS1_3repE0EEENS1_48merge_mergepath_partition_config_static_selectorELNS0_4arch9wavefront6targetE0EEEvSF_,comdat
.Lfunc_end1793:
	.size	_ZN7rocprim17ROCPRIM_400000_NS6detail17trampoline_kernelINS0_14default_configENS1_38merge_sort_block_merge_config_selectorIbNS0_10empty_typeEEEZZNS1_27merge_sort_block_merge_implIS3_PbPS5_jNS1_19radix_merge_compareILb0ELb0EbNS0_19identity_decomposerEEEEE10hipError_tT0_T1_T2_jT3_P12ihipStream_tbPNSt15iterator_traitsISE_E10value_typeEPNSK_ISF_E10value_typeEPSG_NS1_7vsmem_tEENKUlT_SE_SF_SG_E_clIS8_S8_S9_S9_EESD_ST_SE_SF_SG_EUlST_E_NS1_11comp_targetILNS1_3genE8ELNS1_11target_archE1030ELNS1_3gpuE2ELNS1_3repE0EEENS1_48merge_mergepath_partition_config_static_selectorELNS0_4arch9wavefront6targetE0EEEvSF_, .Lfunc_end1793-_ZN7rocprim17ROCPRIM_400000_NS6detail17trampoline_kernelINS0_14default_configENS1_38merge_sort_block_merge_config_selectorIbNS0_10empty_typeEEEZZNS1_27merge_sort_block_merge_implIS3_PbPS5_jNS1_19radix_merge_compareILb0ELb0EbNS0_19identity_decomposerEEEEE10hipError_tT0_T1_T2_jT3_P12ihipStream_tbPNSt15iterator_traitsISE_E10value_typeEPNSK_ISF_E10value_typeEPSG_NS1_7vsmem_tEENKUlT_SE_SF_SG_E_clIS8_S8_S9_S9_EESD_ST_SE_SF_SG_EUlST_E_NS1_11comp_targetILNS1_3genE8ELNS1_11target_archE1030ELNS1_3gpuE2ELNS1_3repE0EEENS1_48merge_mergepath_partition_config_static_selectorELNS0_4arch9wavefront6targetE0EEEvSF_
                                        ; -- End function
	.set _ZN7rocprim17ROCPRIM_400000_NS6detail17trampoline_kernelINS0_14default_configENS1_38merge_sort_block_merge_config_selectorIbNS0_10empty_typeEEEZZNS1_27merge_sort_block_merge_implIS3_PbPS5_jNS1_19radix_merge_compareILb0ELb0EbNS0_19identity_decomposerEEEEE10hipError_tT0_T1_T2_jT3_P12ihipStream_tbPNSt15iterator_traitsISE_E10value_typeEPNSK_ISF_E10value_typeEPSG_NS1_7vsmem_tEENKUlT_SE_SF_SG_E_clIS8_S8_S9_S9_EESD_ST_SE_SF_SG_EUlST_E_NS1_11comp_targetILNS1_3genE8ELNS1_11target_archE1030ELNS1_3gpuE2ELNS1_3repE0EEENS1_48merge_mergepath_partition_config_static_selectorELNS0_4arch9wavefront6targetE0EEEvSF_.num_vgpr, 0
	.set _ZN7rocprim17ROCPRIM_400000_NS6detail17trampoline_kernelINS0_14default_configENS1_38merge_sort_block_merge_config_selectorIbNS0_10empty_typeEEEZZNS1_27merge_sort_block_merge_implIS3_PbPS5_jNS1_19radix_merge_compareILb0ELb0EbNS0_19identity_decomposerEEEEE10hipError_tT0_T1_T2_jT3_P12ihipStream_tbPNSt15iterator_traitsISE_E10value_typeEPNSK_ISF_E10value_typeEPSG_NS1_7vsmem_tEENKUlT_SE_SF_SG_E_clIS8_S8_S9_S9_EESD_ST_SE_SF_SG_EUlST_E_NS1_11comp_targetILNS1_3genE8ELNS1_11target_archE1030ELNS1_3gpuE2ELNS1_3repE0EEENS1_48merge_mergepath_partition_config_static_selectorELNS0_4arch9wavefront6targetE0EEEvSF_.num_agpr, 0
	.set _ZN7rocprim17ROCPRIM_400000_NS6detail17trampoline_kernelINS0_14default_configENS1_38merge_sort_block_merge_config_selectorIbNS0_10empty_typeEEEZZNS1_27merge_sort_block_merge_implIS3_PbPS5_jNS1_19radix_merge_compareILb0ELb0EbNS0_19identity_decomposerEEEEE10hipError_tT0_T1_T2_jT3_P12ihipStream_tbPNSt15iterator_traitsISE_E10value_typeEPNSK_ISF_E10value_typeEPSG_NS1_7vsmem_tEENKUlT_SE_SF_SG_E_clIS8_S8_S9_S9_EESD_ST_SE_SF_SG_EUlST_E_NS1_11comp_targetILNS1_3genE8ELNS1_11target_archE1030ELNS1_3gpuE2ELNS1_3repE0EEENS1_48merge_mergepath_partition_config_static_selectorELNS0_4arch9wavefront6targetE0EEEvSF_.numbered_sgpr, 0
	.set _ZN7rocprim17ROCPRIM_400000_NS6detail17trampoline_kernelINS0_14default_configENS1_38merge_sort_block_merge_config_selectorIbNS0_10empty_typeEEEZZNS1_27merge_sort_block_merge_implIS3_PbPS5_jNS1_19radix_merge_compareILb0ELb0EbNS0_19identity_decomposerEEEEE10hipError_tT0_T1_T2_jT3_P12ihipStream_tbPNSt15iterator_traitsISE_E10value_typeEPNSK_ISF_E10value_typeEPSG_NS1_7vsmem_tEENKUlT_SE_SF_SG_E_clIS8_S8_S9_S9_EESD_ST_SE_SF_SG_EUlST_E_NS1_11comp_targetILNS1_3genE8ELNS1_11target_archE1030ELNS1_3gpuE2ELNS1_3repE0EEENS1_48merge_mergepath_partition_config_static_selectorELNS0_4arch9wavefront6targetE0EEEvSF_.num_named_barrier, 0
	.set _ZN7rocprim17ROCPRIM_400000_NS6detail17trampoline_kernelINS0_14default_configENS1_38merge_sort_block_merge_config_selectorIbNS0_10empty_typeEEEZZNS1_27merge_sort_block_merge_implIS3_PbPS5_jNS1_19radix_merge_compareILb0ELb0EbNS0_19identity_decomposerEEEEE10hipError_tT0_T1_T2_jT3_P12ihipStream_tbPNSt15iterator_traitsISE_E10value_typeEPNSK_ISF_E10value_typeEPSG_NS1_7vsmem_tEENKUlT_SE_SF_SG_E_clIS8_S8_S9_S9_EESD_ST_SE_SF_SG_EUlST_E_NS1_11comp_targetILNS1_3genE8ELNS1_11target_archE1030ELNS1_3gpuE2ELNS1_3repE0EEENS1_48merge_mergepath_partition_config_static_selectorELNS0_4arch9wavefront6targetE0EEEvSF_.private_seg_size, 0
	.set _ZN7rocprim17ROCPRIM_400000_NS6detail17trampoline_kernelINS0_14default_configENS1_38merge_sort_block_merge_config_selectorIbNS0_10empty_typeEEEZZNS1_27merge_sort_block_merge_implIS3_PbPS5_jNS1_19radix_merge_compareILb0ELb0EbNS0_19identity_decomposerEEEEE10hipError_tT0_T1_T2_jT3_P12ihipStream_tbPNSt15iterator_traitsISE_E10value_typeEPNSK_ISF_E10value_typeEPSG_NS1_7vsmem_tEENKUlT_SE_SF_SG_E_clIS8_S8_S9_S9_EESD_ST_SE_SF_SG_EUlST_E_NS1_11comp_targetILNS1_3genE8ELNS1_11target_archE1030ELNS1_3gpuE2ELNS1_3repE0EEENS1_48merge_mergepath_partition_config_static_selectorELNS0_4arch9wavefront6targetE0EEEvSF_.uses_vcc, 0
	.set _ZN7rocprim17ROCPRIM_400000_NS6detail17trampoline_kernelINS0_14default_configENS1_38merge_sort_block_merge_config_selectorIbNS0_10empty_typeEEEZZNS1_27merge_sort_block_merge_implIS3_PbPS5_jNS1_19radix_merge_compareILb0ELb0EbNS0_19identity_decomposerEEEEE10hipError_tT0_T1_T2_jT3_P12ihipStream_tbPNSt15iterator_traitsISE_E10value_typeEPNSK_ISF_E10value_typeEPSG_NS1_7vsmem_tEENKUlT_SE_SF_SG_E_clIS8_S8_S9_S9_EESD_ST_SE_SF_SG_EUlST_E_NS1_11comp_targetILNS1_3genE8ELNS1_11target_archE1030ELNS1_3gpuE2ELNS1_3repE0EEENS1_48merge_mergepath_partition_config_static_selectorELNS0_4arch9wavefront6targetE0EEEvSF_.uses_flat_scratch, 0
	.set _ZN7rocprim17ROCPRIM_400000_NS6detail17trampoline_kernelINS0_14default_configENS1_38merge_sort_block_merge_config_selectorIbNS0_10empty_typeEEEZZNS1_27merge_sort_block_merge_implIS3_PbPS5_jNS1_19radix_merge_compareILb0ELb0EbNS0_19identity_decomposerEEEEE10hipError_tT0_T1_T2_jT3_P12ihipStream_tbPNSt15iterator_traitsISE_E10value_typeEPNSK_ISF_E10value_typeEPSG_NS1_7vsmem_tEENKUlT_SE_SF_SG_E_clIS8_S8_S9_S9_EESD_ST_SE_SF_SG_EUlST_E_NS1_11comp_targetILNS1_3genE8ELNS1_11target_archE1030ELNS1_3gpuE2ELNS1_3repE0EEENS1_48merge_mergepath_partition_config_static_selectorELNS0_4arch9wavefront6targetE0EEEvSF_.has_dyn_sized_stack, 0
	.set _ZN7rocprim17ROCPRIM_400000_NS6detail17trampoline_kernelINS0_14default_configENS1_38merge_sort_block_merge_config_selectorIbNS0_10empty_typeEEEZZNS1_27merge_sort_block_merge_implIS3_PbPS5_jNS1_19radix_merge_compareILb0ELb0EbNS0_19identity_decomposerEEEEE10hipError_tT0_T1_T2_jT3_P12ihipStream_tbPNSt15iterator_traitsISE_E10value_typeEPNSK_ISF_E10value_typeEPSG_NS1_7vsmem_tEENKUlT_SE_SF_SG_E_clIS8_S8_S9_S9_EESD_ST_SE_SF_SG_EUlST_E_NS1_11comp_targetILNS1_3genE8ELNS1_11target_archE1030ELNS1_3gpuE2ELNS1_3repE0EEENS1_48merge_mergepath_partition_config_static_selectorELNS0_4arch9wavefront6targetE0EEEvSF_.has_recursion, 0
	.set _ZN7rocprim17ROCPRIM_400000_NS6detail17trampoline_kernelINS0_14default_configENS1_38merge_sort_block_merge_config_selectorIbNS0_10empty_typeEEEZZNS1_27merge_sort_block_merge_implIS3_PbPS5_jNS1_19radix_merge_compareILb0ELb0EbNS0_19identity_decomposerEEEEE10hipError_tT0_T1_T2_jT3_P12ihipStream_tbPNSt15iterator_traitsISE_E10value_typeEPNSK_ISF_E10value_typeEPSG_NS1_7vsmem_tEENKUlT_SE_SF_SG_E_clIS8_S8_S9_S9_EESD_ST_SE_SF_SG_EUlST_E_NS1_11comp_targetILNS1_3genE8ELNS1_11target_archE1030ELNS1_3gpuE2ELNS1_3repE0EEENS1_48merge_mergepath_partition_config_static_selectorELNS0_4arch9wavefront6targetE0EEEvSF_.has_indirect_call, 0
	.section	.AMDGPU.csdata,"",@progbits
; Kernel info:
; codeLenInByte = 0
; TotalNumSgprs: 0
; NumVgprs: 0
; ScratchSize: 0
; MemoryBound: 0
; FloatMode: 240
; IeeeMode: 1
; LDSByteSize: 0 bytes/workgroup (compile time only)
; SGPRBlocks: 0
; VGPRBlocks: 0
; NumSGPRsForWavesPerEU: 1
; NumVGPRsForWavesPerEU: 1
; NamedBarCnt: 0
; Occupancy: 16
; WaveLimiterHint : 0
; COMPUTE_PGM_RSRC2:SCRATCH_EN: 0
; COMPUTE_PGM_RSRC2:USER_SGPR: 2
; COMPUTE_PGM_RSRC2:TRAP_HANDLER: 0
; COMPUTE_PGM_RSRC2:TGID_X_EN: 1
; COMPUTE_PGM_RSRC2:TGID_Y_EN: 0
; COMPUTE_PGM_RSRC2:TGID_Z_EN: 0
; COMPUTE_PGM_RSRC2:TIDIG_COMP_CNT: 0
	.section	.text._ZN7rocprim17ROCPRIM_400000_NS6detail17trampoline_kernelINS0_14default_configENS1_38merge_sort_block_merge_config_selectorIbNS0_10empty_typeEEEZZNS1_27merge_sort_block_merge_implIS3_PbPS5_jNS1_19radix_merge_compareILb0ELb0EbNS0_19identity_decomposerEEEEE10hipError_tT0_T1_T2_jT3_P12ihipStream_tbPNSt15iterator_traitsISE_E10value_typeEPNSK_ISF_E10value_typeEPSG_NS1_7vsmem_tEENKUlT_SE_SF_SG_E_clIS8_S8_S9_S9_EESD_ST_SE_SF_SG_EUlST_E0_NS1_11comp_targetILNS1_3genE0ELNS1_11target_archE4294967295ELNS1_3gpuE0ELNS1_3repE0EEENS1_38merge_mergepath_config_static_selectorELNS0_4arch9wavefront6targetE0EEEvSF_,"axG",@progbits,_ZN7rocprim17ROCPRIM_400000_NS6detail17trampoline_kernelINS0_14default_configENS1_38merge_sort_block_merge_config_selectorIbNS0_10empty_typeEEEZZNS1_27merge_sort_block_merge_implIS3_PbPS5_jNS1_19radix_merge_compareILb0ELb0EbNS0_19identity_decomposerEEEEE10hipError_tT0_T1_T2_jT3_P12ihipStream_tbPNSt15iterator_traitsISE_E10value_typeEPNSK_ISF_E10value_typeEPSG_NS1_7vsmem_tEENKUlT_SE_SF_SG_E_clIS8_S8_S9_S9_EESD_ST_SE_SF_SG_EUlST_E0_NS1_11comp_targetILNS1_3genE0ELNS1_11target_archE4294967295ELNS1_3gpuE0ELNS1_3repE0EEENS1_38merge_mergepath_config_static_selectorELNS0_4arch9wavefront6targetE0EEEvSF_,comdat
	.protected	_ZN7rocprim17ROCPRIM_400000_NS6detail17trampoline_kernelINS0_14default_configENS1_38merge_sort_block_merge_config_selectorIbNS0_10empty_typeEEEZZNS1_27merge_sort_block_merge_implIS3_PbPS5_jNS1_19radix_merge_compareILb0ELb0EbNS0_19identity_decomposerEEEEE10hipError_tT0_T1_T2_jT3_P12ihipStream_tbPNSt15iterator_traitsISE_E10value_typeEPNSK_ISF_E10value_typeEPSG_NS1_7vsmem_tEENKUlT_SE_SF_SG_E_clIS8_S8_S9_S9_EESD_ST_SE_SF_SG_EUlST_E0_NS1_11comp_targetILNS1_3genE0ELNS1_11target_archE4294967295ELNS1_3gpuE0ELNS1_3repE0EEENS1_38merge_mergepath_config_static_selectorELNS0_4arch9wavefront6targetE0EEEvSF_ ; -- Begin function _ZN7rocprim17ROCPRIM_400000_NS6detail17trampoline_kernelINS0_14default_configENS1_38merge_sort_block_merge_config_selectorIbNS0_10empty_typeEEEZZNS1_27merge_sort_block_merge_implIS3_PbPS5_jNS1_19radix_merge_compareILb0ELb0EbNS0_19identity_decomposerEEEEE10hipError_tT0_T1_T2_jT3_P12ihipStream_tbPNSt15iterator_traitsISE_E10value_typeEPNSK_ISF_E10value_typeEPSG_NS1_7vsmem_tEENKUlT_SE_SF_SG_E_clIS8_S8_S9_S9_EESD_ST_SE_SF_SG_EUlST_E0_NS1_11comp_targetILNS1_3genE0ELNS1_11target_archE4294967295ELNS1_3gpuE0ELNS1_3repE0EEENS1_38merge_mergepath_config_static_selectorELNS0_4arch9wavefront6targetE0EEEvSF_
	.globl	_ZN7rocprim17ROCPRIM_400000_NS6detail17trampoline_kernelINS0_14default_configENS1_38merge_sort_block_merge_config_selectorIbNS0_10empty_typeEEEZZNS1_27merge_sort_block_merge_implIS3_PbPS5_jNS1_19radix_merge_compareILb0ELb0EbNS0_19identity_decomposerEEEEE10hipError_tT0_T1_T2_jT3_P12ihipStream_tbPNSt15iterator_traitsISE_E10value_typeEPNSK_ISF_E10value_typeEPSG_NS1_7vsmem_tEENKUlT_SE_SF_SG_E_clIS8_S8_S9_S9_EESD_ST_SE_SF_SG_EUlST_E0_NS1_11comp_targetILNS1_3genE0ELNS1_11target_archE4294967295ELNS1_3gpuE0ELNS1_3repE0EEENS1_38merge_mergepath_config_static_selectorELNS0_4arch9wavefront6targetE0EEEvSF_
	.p2align	8
	.type	_ZN7rocprim17ROCPRIM_400000_NS6detail17trampoline_kernelINS0_14default_configENS1_38merge_sort_block_merge_config_selectorIbNS0_10empty_typeEEEZZNS1_27merge_sort_block_merge_implIS3_PbPS5_jNS1_19radix_merge_compareILb0ELb0EbNS0_19identity_decomposerEEEEE10hipError_tT0_T1_T2_jT3_P12ihipStream_tbPNSt15iterator_traitsISE_E10value_typeEPNSK_ISF_E10value_typeEPSG_NS1_7vsmem_tEENKUlT_SE_SF_SG_E_clIS8_S8_S9_S9_EESD_ST_SE_SF_SG_EUlST_E0_NS1_11comp_targetILNS1_3genE0ELNS1_11target_archE4294967295ELNS1_3gpuE0ELNS1_3repE0EEENS1_38merge_mergepath_config_static_selectorELNS0_4arch9wavefront6targetE0EEEvSF_,@function
_ZN7rocprim17ROCPRIM_400000_NS6detail17trampoline_kernelINS0_14default_configENS1_38merge_sort_block_merge_config_selectorIbNS0_10empty_typeEEEZZNS1_27merge_sort_block_merge_implIS3_PbPS5_jNS1_19radix_merge_compareILb0ELb0EbNS0_19identity_decomposerEEEEE10hipError_tT0_T1_T2_jT3_P12ihipStream_tbPNSt15iterator_traitsISE_E10value_typeEPNSK_ISF_E10value_typeEPSG_NS1_7vsmem_tEENKUlT_SE_SF_SG_E_clIS8_S8_S9_S9_EESD_ST_SE_SF_SG_EUlST_E0_NS1_11comp_targetILNS1_3genE0ELNS1_11target_archE4294967295ELNS1_3gpuE0ELNS1_3repE0EEENS1_38merge_mergepath_config_static_selectorELNS0_4arch9wavefront6targetE0EEEvSF_: ; @_ZN7rocprim17ROCPRIM_400000_NS6detail17trampoline_kernelINS0_14default_configENS1_38merge_sort_block_merge_config_selectorIbNS0_10empty_typeEEEZZNS1_27merge_sort_block_merge_implIS3_PbPS5_jNS1_19radix_merge_compareILb0ELb0EbNS0_19identity_decomposerEEEEE10hipError_tT0_T1_T2_jT3_P12ihipStream_tbPNSt15iterator_traitsISE_E10value_typeEPNSK_ISF_E10value_typeEPSG_NS1_7vsmem_tEENKUlT_SE_SF_SG_E_clIS8_S8_S9_S9_EESD_ST_SE_SF_SG_EUlST_E0_NS1_11comp_targetILNS1_3genE0ELNS1_11target_archE4294967295ELNS1_3gpuE0ELNS1_3repE0EEENS1_38merge_mergepath_config_static_selectorELNS0_4arch9wavefront6targetE0EEEvSF_
; %bb.0:
	s_bfe_u32 s2, ttmp6, 0x40010
	s_and_b32 s4, ttmp7, 0xffff
	s_add_co_i32 s5, s2, 1
	s_clause 0x1
	s_load_b32 s7, s[0:1], 0x30
	s_load_b64 s[2:3], s[0:1], 0x40
	s_bfe_u32 s8, ttmp6, 0x4000c
	s_mul_i32 s5, s4, s5
	s_bfe_u32 s6, ttmp6, 0x40004
	s_add_co_i32 s8, s8, 1
	s_bfe_u32 s9, ttmp6, 0x40014
	s_add_co_i32 s6, s6, s5
	s_and_b32 s5, ttmp6, 15
	s_mul_i32 s8, ttmp9, s8
	s_lshr_b32 s10, ttmp7, 16
	s_add_co_i32 s9, s9, 1
	s_add_co_i32 s5, s5, s8
	s_mul_i32 s8, s10, s9
	s_bfe_u32 s9, ttmp6, 0x40008
	s_getreg_b32 s11, hwreg(HW_REG_IB_STS2, 6, 4)
	s_add_co_i32 s9, s9, s8
	s_cmp_eq_u32 s11, 0
	s_cselect_b32 s8, s10, s9
	s_cselect_b32 s4, s4, s6
	s_wait_kmcnt 0x0
	s_mul_i32 s8, s3, s8
	s_cselect_b32 s3, ttmp9, s5
	s_add_co_i32 s4, s8, s4
	s_delay_alu instid0(SALU_CYCLE_1) | instskip(NEXT) | instid1(SALU_CYCLE_1)
	s_mul_i32 s4, s4, s2
	s_add_co_i32 s6, s4, s3
	s_delay_alu instid0(SALU_CYCLE_1)
	s_cmp_ge_u32 s6, s7
	s_mov_b32 s7, 0
	s_cbranch_scc1 .LBB1794_51
; %bb.1:
	v_mov_b32_e32 v3, 0
	s_add_nc_u64 s[4:5], s[0:1], 64
	global_load_b32 v1, v3, s[4:5] offset:14
	s_clause 0x2
	s_load_b64 s[8:9], s[0:1], 0x28
	s_load_b64 s[10:11], s[0:1], 0x38
	;; [unrolled: 1-line block ×3, first 2 shown]
	s_wait_kmcnt 0x0
	s_lshr_b32 s15, s8, 10
	s_delay_alu instid0(SALU_CYCLE_1) | instskip(SKIP_2) | instid1(SALU_CYCLE_1)
	s_cmp_lg_u32 s6, s15
	s_cselect_b32 s14, -1, 0
	s_lshl_b64 s[12:13], s[6:7], 2
	s_add_nc_u64 s[10:11], s[10:11], s[12:13]
	s_load_b64 s[18:19], s[10:11], 0x0
	s_wait_xcnt 0x0
	s_lshr_b32 s10, s9, 9
	s_delay_alu instid0(SALU_CYCLE_1) | instskip(NEXT) | instid1(SALU_CYCLE_1)
	s_and_b32 s10, s10, 0x7ffffe
	s_sub_co_i32 s11, 0, s10
	s_lshl_b32 s10, s6, 10
	s_and_b32 s12, s6, s11
	s_or_b32 s11, s6, s11
	s_lshl_b32 s13, s12, 11
	s_lshl_b32 s12, s12, 10
	s_add_co_i32 s13, s13, s9
	s_sub_co_i32 s20, s10, s12
	s_sub_co_i32 s12, s13, s12
	s_add_co_i32 s13, s13, s20
	s_min_u32 s21, s8, s12
	s_add_co_i32 s12, s12, s9
	s_wait_kmcnt 0x0
	s_sub_co_i32 s9, s13, s18
	s_sub_co_i32 s13, s13, s19
	s_min_u32 s20, s8, s9
	s_addk_co_i32 s13, 0x400
	s_cmp_eq_u32 s11, -1
	s_cselect_b32 s9, s12, s13
	s_cselect_b32 s11, s21, s19
	s_min_u32 s12, s9, s8
	s_sub_co_i32 s9, s11, s18
	s_sub_co_i32 s11, s12, s20
	s_cmp_lt_u32 s3, s2
	s_mov_b32 s3, s7
	s_cselect_b32 s2, 12, 18
	s_mov_b32 s19, s7
	s_add_nc_u64 s[2:3], s[4:5], s[2:3]
	s_mov_b32 s21, s7
	s_load_u16 s2, s[2:3], 0x0
	s_mov_b32 s12, -1
	s_cmp_eq_u32 s6, s15
	s_add_nc_u64 s[4:5], s[16:17], s[20:21]
	s_wait_loadcnt 0x0
	v_lshrrev_b32_e32 v2, 16, v1
	v_and_b32_e32 v1, 0xffff, v1
	s_delay_alu instid0(VALU_DEP_1) | instskip(SKIP_1) | instid1(VALU_DEP_1)
	v_mul_lo_u32 v1, v1, v2
	s_wait_kmcnt 0x0
	v_mul_lo_u32 v1, v1, s2
	s_add_nc_u64 s[2:3], s[16:17], s[18:19]
	s_delay_alu instid0(VALU_DEP_1)
	v_add_nc_u32_e32 v4, v1, v0
	s_cbranch_scc1 .LBB1794_3
; %bb.2:
	v_subrev_nc_u32_e32 v2, s9, v0
	v_dual_mov_b32 v5, s3 :: v_dual_mov_b32 v18, s2
	v_cmp_gt_u32_e32 vcc_lo, s9, v0
	v_subrev_nc_u32_e32 v8, s9, v4
	s_delay_alu instid0(VALU_DEP_4)
	v_min_u32_e32 v2, v0, v2
	v_add_nc_u32_e32 v10, v4, v1
	s_add_co_i32 s6, s11, s9
	v_cndmask_b32_e32 v7, s5, v5, vcc_lo
	v_cndmask_b32_e32 v6, s4, v18, vcc_lo
	v_cmp_gt_u32_e32 vcc_lo, s9, v4
	v_subrev_nc_u32_e32 v11, s9, v10
	v_add_nc_u32_e32 v12, v10, v1
	s_delay_alu instid0(VALU_DEP_4)
	v_add_nc_u64_e32 v[6:7], v[6:7], v[2:3]
	v_min_u32_e32 v2, v4, v8
	v_cndmask_b32_e32 v9, s5, v5, vcc_lo
	v_cndmask_b32_e32 v8, s4, v18, vcc_lo
	v_cmp_gt_u32_e32 vcc_lo, s9, v10
	v_subrev_nc_u32_e32 v13, s9, v12
	v_add_nc_u32_e32 v14, v12, v1
	s_mov_b32 s7, -1
	v_add_nc_u64_e32 v[8:9], v[8:9], v[2:3]
	v_min_u32_e32 v2, v10, v11
	v_cndmask_b32_e32 v11, s5, v5, vcc_lo
	v_cndmask_b32_e32 v10, s4, v18, vcc_lo
	v_cmp_gt_u32_e32 vcc_lo, s9, v12
	v_subrev_nc_u32_e32 v15, s9, v14
	v_add_nc_u32_e32 v16, v14, v1
	s_delay_alu instid0(VALU_DEP_4)
	v_add_nc_u64_e32 v[10:11], v[10:11], v[2:3]
	v_min_u32_e32 v2, v12, v13
	v_cndmask_b32_e32 v13, s5, v5, vcc_lo
	v_cndmask_b32_e32 v12, s4, v18, vcc_lo
	v_cmp_gt_u32_e32 vcc_lo, s9, v14
	v_subrev_nc_u32_e32 v17, s9, v16
	v_add_nc_u32_e32 v20, v16, v1
	s_delay_alu instid0(VALU_DEP_4)
	v_add_nc_u64_e32 v[12:13], v[12:13], v[2:3]
	v_min_u32_e32 v2, v14, v15
	v_cndmask_b32_e32 v15, s5, v5, vcc_lo
	v_cndmask_b32_e32 v14, s4, v18, vcc_lo
	v_cmp_gt_u32_e32 vcc_lo, s9, v16
	v_subrev_nc_u32_e32 v19, s9, v20
	s_delay_alu instid0(VALU_DEP_3) | instskip(SKIP_4) | instid1(VALU_DEP_2)
	v_add_nc_u64_e32 v[14:15], v[14:15], v[2:3]
	v_min_u32_e32 v2, v16, v17
	v_cndmask_b32_e32 v17, s5, v5, vcc_lo
	v_cndmask_b32_e32 v16, s4, v18, vcc_lo
	v_cmp_gt_u32_e32 vcc_lo, s9, v20
	v_add_nc_u64_e32 v[16:17], v[16:17], v[2:3]
	v_min_u32_e32 v2, v20, v19
	v_cndmask_b32_e32 v19, s5, v5, vcc_lo
	v_cndmask_b32_e32 v18, s4, v18, vcc_lo
	s_delay_alu instid0(VALU_DEP_1)
	v_add_nc_u64_e32 v[2:3], v[18:19], v[2:3]
	global_load_u8 v5, v[10:11], off
	global_load_u8 v18, v[12:13], off
	;; [unrolled: 1-line block ×7, first 2 shown]
	s_wait_loadcnt 0x5
	s_wait_xcnt 0x0
	v_perm_b32 v3, v5, v18, 0xc0c0004
	v_add_nc_u32_e32 v5, v20, v1
	s_wait_loadcnt 0x3
	v_perm_b32 v2, v21, v19, 0xc0c0004
	s_wait_loadcnt 0x1
	v_perm_b32 v6, v22, v23, 0xc0c0004
	s_delay_alu instid0(VALU_DEP_2) | instskip(SKIP_1) | instid1(VALU_DEP_2)
	v_lshl_or_b32 v2, v3, 16, v2
	s_wait_loadcnt 0x0
	v_lshl_or_b32 v3, v24, 16, v6
	v_mov_b32_e32 v6, s6
	s_cbranch_execz .LBB1794_4
	s_branch .LBB1794_19
.LBB1794_3:
                                        ; implicit-def: $vgpr5
                                        ; implicit-def: $vgpr2_vgpr3
                                        ; implicit-def: $vgpr6
	s_and_not1_b32 vcc_lo, exec_lo, s12
	s_cbranch_vccnz .LBB1794_19
.LBB1794_4:
	v_mov_b64_e32 v[2:3], 0
	s_add_co_i32 s6, s11, s9
	s_mov_b32 s7, exec_lo
	v_cmpx_gt_u32_e64 s6, v0
	s_cbranch_execz .LBB1794_6
; %bb.5:
	v_dual_mov_b32 v2, s3 :: v_dual_mov_b32 v5, s2
	v_cmp_gt_u32_e32 vcc_lo, s9, v0
	v_subrev_nc_u32_e32 v6, s9, v0
	s_mov_b32 s12, 0
	s_delay_alu instid0(VALU_DEP_3) | instskip(SKIP_1) | instid1(VALU_DEP_3)
	v_dual_mov_b32 v7, 0 :: v_dual_cndmask_b32 v3, s5, v2, vcc_lo
	v_cndmask_b32_e32 v2, s4, v5, vcc_lo
	v_min_u32_e32 v6, v0, v6
	s_delay_alu instid0(VALU_DEP_1)
	v_add_nc_u64_e32 v[2:3], v[2:3], v[6:7]
	global_load_u8 v2, v[2:3], off
	s_wait_xcnt 0x0
	v_mov_b32_e32 v3, s12
	s_wait_loadcnt 0x0
	v_and_b32_e32 v2, 0xffff, v2
.LBB1794_6:
	s_or_b32 exec_lo, exec_lo, s7
	s_delay_alu instid0(SALU_CYCLE_1)
	s_mov_b32 s7, exec_lo
	v_cmpx_gt_u32_e64 s6, v4
	s_cbranch_execz .LBB1794_8
; %bb.7:
	v_dual_mov_b32 v5, s3 :: v_dual_mov_b32 v6, s2
	v_cmp_gt_u32_e32 vcc_lo, s9, v4
	v_subrev_nc_u32_e32 v8, s9, v4
	s_delay_alu instid0(VALU_DEP_3) | instskip(NEXT) | instid1(VALU_DEP_4)
	v_dual_mov_b32 v9, 0 :: v_dual_cndmask_b32 v7, s5, v5, vcc_lo
	v_cndmask_b32_e32 v6, s4, v6, vcc_lo
	s_delay_alu instid0(VALU_DEP_3) | instskip(NEXT) | instid1(VALU_DEP_1)
	v_min_u32_e32 v8, v4, v8
	v_add_nc_u64_e32 v[6:7], v[6:7], v[8:9]
	global_load_u8 v5, v[6:7], off
	s_wait_loadcnt 0x0
	v_perm_b32 v2, v2, v5, 0x7060004
.LBB1794_8:
	s_or_b32 exec_lo, exec_lo, s7
	v_add_nc_u32_e32 v4, v4, v1
	s_mov_b32 s7, exec_lo
	s_delay_alu instid0(VALU_DEP_1)
	v_cmpx_gt_u32_e64 s6, v4
	s_cbranch_execz .LBB1794_10
; %bb.9:
	v_dual_mov_b32 v5, s3 :: v_dual_mov_b32 v6, s2
	v_cmp_gt_u32_e32 vcc_lo, s9, v4
	v_subrev_nc_u32_e32 v8, s9, v4
	s_delay_alu instid0(VALU_DEP_3) | instskip(NEXT) | instid1(VALU_DEP_4)
	v_dual_mov_b32 v9, 0 :: v_dual_cndmask_b32 v7, s5, v5, vcc_lo
	v_cndmask_b32_e32 v6, s4, v6, vcc_lo
	s_delay_alu instid0(VALU_DEP_3) | instskip(NEXT) | instid1(VALU_DEP_1)
	v_min_u32_e32 v8, v4, v8
	v_add_nc_u64_e32 v[6:7], v[6:7], v[8:9]
	global_load_u8 v5, v[6:7], off
	s_wait_loadcnt 0x0
	v_perm_b32 v5, v5, v2, 0xc0c0304
	s_delay_alu instid0(VALU_DEP_1) | instskip(NEXT) | instid1(VALU_DEP_1)
	v_lshlrev_b32_e32 v5, 16, v5
	v_and_or_b32 v2, 0xffff, v2, v5
.LBB1794_10:
	s_or_b32 exec_lo, exec_lo, s7
	v_add_nc_u32_e32 v4, v4, v1
	s_mov_b32 s7, exec_lo
	s_delay_alu instid0(VALU_DEP_1)
	v_cmpx_gt_u32_e64 s6, v4
	s_cbranch_execz .LBB1794_12
; %bb.11:
	v_dual_mov_b32 v5, s3 :: v_dual_mov_b32 v6, s2
	v_cmp_gt_u32_e32 vcc_lo, s9, v4
	v_subrev_nc_u32_e32 v8, s9, v4
	s_delay_alu instid0(VALU_DEP_3) | instskip(NEXT) | instid1(VALU_DEP_4)
	v_dual_mov_b32 v9, 0 :: v_dual_cndmask_b32 v7, s5, v5, vcc_lo
	v_cndmask_b32_e32 v6, s4, v6, vcc_lo
	s_delay_alu instid0(VALU_DEP_3) | instskip(NEXT) | instid1(VALU_DEP_1)
	v_min_u32_e32 v8, v4, v8
	v_add_nc_u64_e32 v[6:7], v[6:7], v[8:9]
	global_load_u8 v5, v[6:7], off
	s_wait_loadcnt 0x0
	v_perm_b32 v5, v2, v5, 0xc0c0006
	s_delay_alu instid0(VALU_DEP_1) | instskip(NEXT) | instid1(VALU_DEP_1)
	v_lshlrev_b32_e32 v5, 16, v5
	v_and_or_b32 v2, 0xffff, v2, v5
.LBB1794_12:
	s_or_b32 exec_lo, exec_lo, s7
	v_add_nc_u32_e32 v4, v4, v1
	s_mov_b32 s7, exec_lo
	s_delay_alu instid0(VALU_DEP_1)
	v_cmpx_gt_u32_e64 s6, v4
	s_cbranch_execz .LBB1794_14
; %bb.13:
	v_dual_mov_b32 v5, s3 :: v_dual_mov_b32 v6, s2
	v_cmp_gt_u32_e32 vcc_lo, s9, v4
	v_subrev_nc_u32_e32 v8, s9, v4
	s_delay_alu instid0(VALU_DEP_3) | instskip(NEXT) | instid1(VALU_DEP_4)
	v_dual_mov_b32 v9, 0 :: v_dual_cndmask_b32 v7, s5, v5, vcc_lo
	v_cndmask_b32_e32 v6, s4, v6, vcc_lo
	s_delay_alu instid0(VALU_DEP_3) | instskip(NEXT) | instid1(VALU_DEP_1)
	v_min_u32_e32 v8, v4, v8
	v_add_nc_u64_e32 v[6:7], v[6:7], v[8:9]
	global_load_u8 v5, v[6:7], off
	s_wait_loadcnt 0x0
	v_perm_b32 v3, v5, v3, 0x3020104
.LBB1794_14:
	s_or_b32 exec_lo, exec_lo, s7
	v_add_nc_u32_e32 v4, v4, v1
	s_mov_b32 s7, exec_lo
	s_delay_alu instid0(VALU_DEP_1)
	v_cmpx_gt_u32_e64 s6, v4
	s_cbranch_execz .LBB1794_16
; %bb.15:
	v_dual_mov_b32 v5, s3 :: v_dual_mov_b32 v6, s2
	v_cmp_gt_u32_e32 vcc_lo, s9, v4
	v_subrev_nc_u32_e32 v8, s9, v4
	s_delay_alu instid0(VALU_DEP_3) | instskip(NEXT) | instid1(VALU_DEP_4)
	v_dual_mov_b32 v9, 0 :: v_dual_cndmask_b32 v7, s5, v5, vcc_lo
	v_cndmask_b32_e32 v6, s4, v6, vcc_lo
	s_delay_alu instid0(VALU_DEP_3) | instskip(NEXT) | instid1(VALU_DEP_1)
	v_min_u32_e32 v8, v4, v8
	v_add_nc_u64_e32 v[6:7], v[6:7], v[8:9]
	global_load_u8 v5, v[6:7], off
	s_wait_loadcnt 0x0
	v_perm_b32 v3, v3, v5, 0x7060004
.LBB1794_16:
	s_or_b32 exec_lo, exec_lo, s7
	v_add_nc_u32_e32 v4, v4, v1
	s_mov_b32 s7, exec_lo
	s_delay_alu instid0(VALU_DEP_1)
	v_cmpx_gt_u32_e64 s6, v4
	s_cbranch_execz .LBB1794_18
; %bb.17:
	v_dual_mov_b32 v5, s3 :: v_dual_mov_b32 v6, s2
	v_cmp_gt_u32_e32 vcc_lo, s9, v4
	v_subrev_nc_u32_e32 v10, s9, v4
	s_delay_alu instid0(VALU_DEP_3) | instskip(NEXT) | instid1(VALU_DEP_4)
	v_dual_mov_b32 v7, 0 :: v_dual_cndmask_b32 v9, s5, v5, vcc_lo
	v_cndmask_b32_e32 v8, s4, v6, vcc_lo
	s_delay_alu instid0(VALU_DEP_3) | instskip(NEXT) | instid1(VALU_DEP_1)
	v_min_u32_e32 v6, v4, v10
	v_add_nc_u64_e32 v[6:7], v[8:9], v[6:7]
	global_load_u8 v5, v[6:7], off
	s_wait_loadcnt 0x0
	v_perm_b32 v3, v3, v5, 0x7000504
.LBB1794_18:
	s_or_b32 exec_lo, exec_lo, s7
	v_dual_mov_b32 v6, s6 :: v_dual_add_nc_u32 v5, v4, v1
	s_delay_alu instid0(VALU_DEP_1)
	v_cmp_gt_u32_e64 s7, s6, v5
.LBB1794_19:
	s_delay_alu instid0(VALU_DEP_1)
	s_and_saveexec_b32 s6, s7
	s_cbranch_execz .LBB1794_21
; %bb.20:
	v_subrev_nc_u32_e32 v1, s9, v5
	v_dual_mov_b32 v4, s3 :: v_dual_mov_b32 v7, s2
	v_cmp_gt_u32_e32 vcc_lo, s9, v5
	v_mov_b32_e32 v9, 0
	s_delay_alu instid0(VALU_DEP_4) | instskip(NEXT) | instid1(VALU_DEP_4)
	v_min_u32_e32 v8, v5, v1
	v_cndmask_b32_e32 v5, s5, v4, vcc_lo
	v_cndmask_b32_e32 v4, s4, v7, vcc_lo
	s_delay_alu instid0(VALU_DEP_1)
	v_add_nc_u64_e32 v[4:5], v[4:5], v[8:9]
	global_load_u8 v1, v[4:5], off
	s_wait_loadcnt 0x0
	v_perm_b32 v3, v3, v1, 0x60504
.LBB1794_21:
	s_or_b32 exec_lo, exec_lo, s6
	v_dual_lshlrev_b32 v7, 3, v0 :: v_dual_lshrrev_b32 v8, 8, v2
	s_delay_alu instid0(VALU_DEP_2) | instskip(SKIP_1) | instid1(VALU_DEP_3)
	v_lshrrev_b64 v[4:5], 24, v[2:3]
	v_dual_lshrrev_b32 v9, 16, v2 :: v_dual_lshrrev_b32 v5, 8, v3
	v_min_u32_e32 v1, v6, v7
	v_dual_lshrrev_b32 v10, 16, v3 :: v_dual_lshrrev_b32 v11, 24, v3
	s_mov_b32 s2, exec_lo
	ds_store_b8 v0, v2
	ds_store_b8 v0, v8 offset:128
	ds_store_b8 v0, v9 offset:256
	;; [unrolled: 1-line block ×7, first 2 shown]
	v_sub_nc_u32_e64 v12, v1, s11 clamp
	v_min_u32_e32 v13, s9, v1
	s_wait_dscnt 0x0
	s_barrier_signal -1
	s_barrier_wait -1
	s_delay_alu instid0(VALU_DEP_1)
	v_cmpx_lt_u32_e64 v12, v13
	s_cbranch_execz .LBB1794_25
; %bb.22:
	v_add_nc_u32_e32 v14, s9, v1
	s_mov_b32 s3, 0
.LBB1794_23:                            ; =>This Inner Loop Header: Depth=1
	v_add_nc_u32_e32 v15, v13, v12
	s_delay_alu instid0(VALU_DEP_1) | instskip(NEXT) | instid1(VALU_DEP_1)
	v_lshrrev_b32_e32 v15, 1, v15
	v_xad_u32 v16, v15, -1, v14
	ds_load_u8 v17, v15
	ds_load_u8 v16, v16
	s_wait_dscnt 0x0
	v_cmp_gt_u16_e32 vcc_lo, v17, v16
	v_dual_cndmask_b32 v13, v13, v15 :: v_dual_add_nc_u32 v18, 1, v15
	s_delay_alu instid0(VALU_DEP_1) | instskip(NEXT) | instid1(VALU_DEP_1)
	v_cndmask_b32_e32 v12, v18, v12, vcc_lo
	v_cmp_ge_u32_e32 vcc_lo, v12, v13
	s_or_b32 s3, vcc_lo, s3
	s_delay_alu instid0(SALU_CYCLE_1)
	s_and_not1_b32 exec_lo, exec_lo, s3
	s_cbranch_execnz .LBB1794_23
; %bb.24:
	s_or_b32 exec_lo, exec_lo, s3
.LBB1794_25:
	s_delay_alu instid0(SALU_CYCLE_1) | instskip(SKIP_3) | instid1(VALU_DEP_2)
	s_or_b32 exec_lo, exec_lo, s2
	s_load_b64 s[12:13], s[0:1], 0x10
	v_sub_nc_u32_e32 v1, v1, v12
	v_cmp_ge_u32_e32 vcc_lo, s9, v12
	v_add_nc_u32_e32 v13, s9, v1
	s_wait_xcnt 0x0
	s_delay_alu instid0(VALU_DEP_1) | instskip(SKIP_1) | instid1(SALU_CYCLE_1)
	v_cmp_le_u32_e64 s0, v13, v6
	s_or_b32 s0, vcc_lo, s0
	s_and_saveexec_b32 s11, s0
	s_cbranch_execz .LBB1794_31
; %bb.26:
	v_cmp_gt_u32_e32 vcc_lo, s9, v12
                                        ; implicit-def: $vgpr1
	s_and_saveexec_b32 s0, vcc_lo
; %bb.27:
	ds_load_u8 v1, v12
; %bb.28:
	s_or_b32 exec_lo, exec_lo, s0
	v_cmp_ge_u32_e64 s0, v13, v6
	s_mov_b32 s2, exec_lo
                                        ; implicit-def: $vgpr2
	v_cmpx_lt_u32_e64 v13, v6
; %bb.29:
	ds_load_u8 v2, v13
; %bb.30:
	s_or_b32 exec_lo, exec_lo, s2
	s_wait_dscnt 0x0
	v_and_b32_e32 v3, 0xff, v2
	v_and_b32_e32 v4, 0xff, v1
	s_delay_alu instid0(VALU_DEP_1) | instskip(SKIP_1) | instid1(SALU_CYCLE_1)
	v_cmp_le_u16_e64 s1, v4, v3
	s_and_b32 s1, vcc_lo, s1
	s_or_b32 vcc_lo, s0, s1
	v_cndmask_b32_e32 v3, v13, v12, vcc_lo
	v_cndmask_b32_e64 v4, v6, s9, vcc_lo
	s_delay_alu instid0(VALU_DEP_2) | instskip(NEXT) | instid1(VALU_DEP_1)
	v_add_nc_u32_e32 v3, 1, v3
	v_add_min_u32_e64 v4, v4, -1, v3
	ds_load_u8 v4, v4
	s_wait_dscnt 0x0
	v_dual_cndmask_b32 v5, v4, v2 :: v_dual_cndmask_b32 v4, v1, v4
	v_dual_cndmask_b32 v8, v12, v3 :: v_dual_cndmask_b32 v3, v3, v13
	s_delay_alu instid0(VALU_DEP_2) | instskip(NEXT) | instid1(VALU_DEP_3)
	v_and_b32_e32 v9, 0xff, v5
	v_and_b32_e32 v10, 0xff, v4
	s_delay_alu instid0(VALU_DEP_3) | instskip(NEXT) | instid1(VALU_DEP_4)
	v_cmp_gt_u32_e64 s0, s9, v8
	v_cmp_ge_u32_e64 s2, v3, v6
	s_delay_alu instid0(VALU_DEP_3) | instskip(SKIP_1) | instid1(SALU_CYCLE_1)
	v_cmp_le_u16_e64 s1, v10, v9
	s_and_b32 s0, s0, s1
	s_or_b32 s0, s2, s0
	s_delay_alu instid0(SALU_CYCLE_1) | instskip(SKIP_1) | instid1(VALU_DEP_2)
	v_dual_cndmask_b32 v2, v2, v1, vcc_lo :: v_dual_cndmask_b32 v9, v3, v8, s0
	v_cndmask_b32_e64 v10, v6, s9, s0
	v_add_nc_u32_e32 v9, 1, v9
	s_delay_alu instid0(VALU_DEP_1) | instskip(SKIP_4) | instid1(VALU_DEP_2)
	v_add_min_u32_e64 v10, v10, -1, v9
	ds_load_u8 v10, v10
	s_wait_dscnt 0x0
	v_dual_cndmask_b32 v11, v10, v5, s0 :: v_dual_cndmask_b32 v10, v4, v10, s0
	v_dual_cndmask_b32 v8, v8, v9, s0 :: v_dual_cndmask_b32 v3, v9, v3, s0
	v_and_b32_e32 v12, 0xff, v11
	s_delay_alu instid0(VALU_DEP_3) | instskip(NEXT) | instid1(VALU_DEP_3)
	v_and_b32_e32 v13, 0xff, v10
	v_cmp_gt_u32_e64 s1, s9, v8
	s_delay_alu instid0(VALU_DEP_4) | instskip(NEXT) | instid1(VALU_DEP_3)
	v_cmp_ge_u32_e64 s3, v3, v6
	v_cmp_le_u16_e64 s2, v13, v12
	s_and_b32 s1, s1, s2
	s_delay_alu instid0(SALU_CYCLE_1) | instskip(NEXT) | instid1(SALU_CYCLE_1)
	s_or_b32 s1, s3, s1
	v_cndmask_b32_e64 v9, v3, v8, s1
	v_cndmask_b32_e64 v12, v6, s9, s1
	s_delay_alu instid0(VALU_DEP_2) | instskip(NEXT) | instid1(VALU_DEP_1)
	v_add_nc_u32_e32 v9, 1, v9
	v_add_min_u32_e64 v12, v12, -1, v9
	ds_load_u8 v12, v12
	s_wait_dscnt 0x0
	v_dual_cndmask_b32 v13, v12, v11, s1 :: v_dual_cndmask_b32 v12, v10, v12, s1
	v_dual_cndmask_b32 v8, v8, v9, s1 :: v_dual_cndmask_b32 v3, v9, v3, s1
	s_delay_alu instid0(VALU_DEP_2) | instskip(NEXT) | instid1(VALU_DEP_3)
	v_and_b32_e32 v14, 0xff, v13
	v_and_b32_e32 v15, 0xff, v12
	s_delay_alu instid0(VALU_DEP_3) | instskip(NEXT) | instid1(VALU_DEP_4)
	v_cmp_gt_u32_e64 s2, s9, v8
	v_cmp_ge_u32_e64 s4, v3, v6
	s_delay_alu instid0(VALU_DEP_3) | instskip(SKIP_1) | instid1(SALU_CYCLE_1)
	v_cmp_le_u16_e64 s3, v15, v14
	s_and_b32 s2, s2, s3
	s_or_b32 s2, s4, s2
	s_delay_alu instid0(SALU_CYCLE_1) | instskip(SKIP_1) | instid1(VALU_DEP_2)
	v_cndmask_b32_e64 v9, v3, v8, s2
	v_cndmask_b32_e64 v14, v6, s9, s2
	v_add_nc_u32_e32 v9, 1, v9
	s_delay_alu instid0(VALU_DEP_1) | instskip(SKIP_4) | instid1(VALU_DEP_2)
	v_add_min_u32_e64 v14, v14, -1, v9
	ds_load_u8 v14, v14
	s_wait_dscnt 0x0
	v_dual_cndmask_b32 v15, v14, v13, s2 :: v_dual_cndmask_b32 v14, v12, v14, s2
	v_dual_cndmask_b32 v8, v8, v9, s2 :: v_dual_cndmask_b32 v3, v9, v3, s2
	v_and_b32_e32 v16, 0xff, v15
	s_delay_alu instid0(VALU_DEP_3) | instskip(NEXT) | instid1(VALU_DEP_3)
	v_and_b32_e32 v17, 0xff, v14
	v_cmp_gt_u32_e64 s3, s9, v8
	s_delay_alu instid0(VALU_DEP_4) | instskip(NEXT) | instid1(VALU_DEP_3)
	v_cmp_ge_u32_e64 s5, v3, v6
	v_cmp_le_u16_e64 s4, v17, v16
	s_and_b32 s3, s3, s4
	s_delay_alu instid0(SALU_CYCLE_1) | instskip(NEXT) | instid1(SALU_CYCLE_1)
	s_or_b32 s3, s5, s3
	v_cndmask_b32_e64 v9, v3, v8, s3
	v_cndmask_b32_e64 v16, v6, s9, s3
	s_delay_alu instid0(VALU_DEP_2) | instskip(NEXT) | instid1(VALU_DEP_1)
	v_add_nc_u32_e32 v9, 1, v9
	v_add_min_u32_e64 v16, v16, -1, v9
	ds_load_u8 v16, v16
	s_wait_dscnt 0x0
	v_dual_cndmask_b32 v17, v16, v15, s3 :: v_dual_cndmask_b32 v16, v14, v16, s3
	v_dual_cndmask_b32 v8, v8, v9, s3 :: v_dual_cndmask_b32 v3, v9, v3, s3
	s_delay_alu instid0(VALU_DEP_2) | instskip(NEXT) | instid1(VALU_DEP_3)
	v_and_b32_e32 v18, 0xff, v17
	v_and_b32_e32 v19, 0xff, v16
	s_delay_alu instid0(VALU_DEP_3) | instskip(NEXT) | instid1(VALU_DEP_4)
	v_cmp_gt_u32_e64 s4, s9, v8
	v_cmp_ge_u32_e64 s6, v3, v6
	s_delay_alu instid0(VALU_DEP_3) | instskip(SKIP_1) | instid1(SALU_CYCLE_1)
	v_cmp_le_u16_e64 s5, v19, v18
	s_and_b32 s4, s4, s5
	s_or_b32 s4, s6, s4
	s_delay_alu instid0(SALU_CYCLE_1) | instskip(SKIP_1) | instid1(VALU_DEP_2)
	v_cndmask_b32_e64 v9, v3, v8, s4
	v_cndmask_b32_e64 v18, v6, s9, s4
	v_add_nc_u32_e32 v9, 1, v9
	s_delay_alu instid0(VALU_DEP_1) | instskip(SKIP_4) | instid1(VALU_DEP_2)
	v_add_min_u32_e64 v18, v18, -1, v9
	ds_load_u8 v18, v18
	s_wait_dscnt 0x0
	v_dual_cndmask_b32 v19, v18, v17, s4 :: v_dual_cndmask_b32 v18, v16, v18, s4
	v_dual_cndmask_b32 v8, v8, v9, s4 :: v_dual_cndmask_b32 v3, v9, v3, s4
	v_and_b32_e32 v20, 0xff, v19
	s_delay_alu instid0(VALU_DEP_3) | instskip(NEXT) | instid1(VALU_DEP_3)
	v_and_b32_e32 v21, 0xff, v18
	v_cmp_gt_u32_e64 s5, s9, v8
	s_delay_alu instid0(VALU_DEP_4) | instskip(NEXT) | instid1(VALU_DEP_3)
	v_cmp_ge_u32_e64 s7, v3, v6
	v_cmp_le_u16_e64 s6, v21, v20
	s_and_b32 s5, s5, s6
	s_delay_alu instid0(SALU_CYCLE_1) | instskip(NEXT) | instid1(SALU_CYCLE_1)
	s_or_b32 s5, s7, s5
	v_cndmask_b32_e64 v9, v3, v8, s5
	v_cndmask_b32_e64 v20, v6, s9, s5
	s_delay_alu instid0(VALU_DEP_2) | instskip(NEXT) | instid1(VALU_DEP_1)
	v_add_nc_u32_e32 v9, 1, v9
	v_add_min_u32_e64 v20, v20, -1, v9
	ds_load_u8 v20, v20
	s_wait_dscnt 0x0
	v_dual_cndmask_b32 v21, v20, v19, s5 :: v_dual_cndmask_b32 v20, v18, v20, s5
	v_dual_cndmask_b32 v1, v8, v9, s5 :: v_dual_cndmask_b32 v3, v9, v3, s5
	v_cndmask_b32_e64 v8, v5, v4, s0
	s_delay_alu instid0(VALU_DEP_3) | instskip(NEXT) | instid1(VALU_DEP_4)
	v_and_b32_e32 v22, 0xff, v21
	v_and_b32_e32 v23, 0xff, v20
	s_delay_alu instid0(VALU_DEP_4) | instskip(SKIP_2) | instid1(VALU_DEP_4)
	v_cmp_gt_u32_e32 vcc_lo, s9, v1
	v_dual_cndmask_b32 v9, v11, v10, s1 :: v_dual_cndmask_b32 v4, v13, v12, s2
	v_cmp_ge_u32_e64 s1, v3, v6
	v_cmp_le_u16_e64 s0, v23, v22
	v_dual_cndmask_b32 v3, v15, v14, s3 :: v_dual_cndmask_b32 v5, v17, v16, s4
	s_and_b32 s0, vcc_lo, s0
	s_delay_alu instid0(SALU_CYCLE_1) | instskip(NEXT) | instid1(SALU_CYCLE_1)
	s_or_b32 vcc_lo, s1, s0
	v_dual_cndmask_b32 v10, v19, v18, s5 :: v_dual_cndmask_b32 v11, v21, v20, vcc_lo
.LBB1794_31:
	s_or_b32 exec_lo, exec_lo, s11
	v_dual_mov_b32 v1, 0 :: v_dual_lshrrev_b32 v6, 2, v0
	v_perm_b32 v3, v3, v5, 0xc0c0004
	s_delay_alu instid0(VALU_DEP_3) | instskip(SKIP_1) | instid1(VALU_DEP_4)
	v_perm_b32 v5, v10, v11, 0xc0c0004
	v_perm_b32 v2, v2, v8, 0xc0c0004
	v_and_b32_e32 v6, 28, v6
	v_perm_b32 v4, v9, v4, 0xc0c0004
	s_mov_b32 s11, 0
	v_lshl_or_b32 v3, v5, 16, v3
	s_wait_kmcnt 0x0
	s_add_nc_u64 s[0:1], s[12:13], s[10:11]
	v_lshl_or_b32 v2, v4, 16, v2
	v_dual_add_nc_u32 v4, 4, v0 :: v_dual_add_nc_u32 v6, v6, v7
	v_add_nc_u32_e32 v5, 8, v0
	s_barrier_signal -1
	s_barrier_wait -1
	s_barrier_signal -1
	s_barrier_wait -1
	ds_store_2addr_b32 v6, v2, v3 offset1:1
	v_add_nc_u64_e32 v[2:3], s[0:1], v[0:1]
	v_dual_add_nc_u32 v6, 12, v0 :: v_dual_add_nc_u32 v7, 16, v0
	v_dual_add_nc_u32 v8, 20, v0 :: v_dual_add_nc_u32 v9, 24, v0
	v_add_nc_u32_e32 v10, 28, v0
	s_and_b32 vcc_lo, exec_lo, s14
	s_wait_dscnt 0x0
	s_cbranch_vccz .LBB1794_33
; %bb.32:
	s_barrier_signal -1
	s_barrier_wait -1
	ds_load_u8 v11, v0
	ds_load_u8 v12, v4 offset:128
	ds_load_u8 v13, v5 offset:256
	;; [unrolled: 1-line block ×7, first 2 shown]
	s_mov_b32 s11, -1
	s_wait_dscnt 0x7
	global_store_b8 v[2:3], v11, off
	s_wait_dscnt 0x6
	global_store_b8 v[2:3], v12, off offset:128
	s_wait_dscnt 0x5
	global_store_b8 v[2:3], v13, off offset:256
	;; [unrolled: 2-line block ×6, first 2 shown]
	s_cbranch_execz .LBB1794_34
	s_branch .LBB1794_49
.LBB1794_33:
                                        ; implicit-def: $vgpr1
.LBB1794_34:
	s_barrier_signal -1
	s_barrier_wait -1
	s_wait_storecnt_dscnt 0x0
	s_wait_xcnt 0x4
	ds_load_u8 v13, v4 offset:128
	ds_load_u8 v12, v5 offset:256
	;; [unrolled: 1-line block ×7, first 2 shown]
	v_or_b32_e32 v7, 0x80, v0
	s_sub_co_i32 s0, s8, s10
	s_mov_b32 s1, exec_lo
	s_wait_xcnt 0x0
	v_cmpx_gt_u32_e64 s0, v0
	s_cbranch_execz .LBB1794_36
; %bb.35:
	ds_load_u8 v8, v0
	s_wait_dscnt 0x0
	global_store_b8 v[2:3], v8, off
.LBB1794_36:
	s_wait_xcnt 0x0
	s_or_b32 exec_lo, exec_lo, s1
	v_or_b32_e32 v8, 0x100, v0
	s_mov_b32 s1, exec_lo
	v_cmpx_gt_u32_e64 s0, v7
	s_cbranch_execz .LBB1794_38
; %bb.37:
	s_wait_dscnt 0x6
	global_store_b8 v[2:3], v13, off offset:128
.LBB1794_38:
	s_wait_xcnt 0x0
	s_or_b32 exec_lo, exec_lo, s1
	v_or_b32_e32 v7, 0x180, v0
	s_mov_b32 s1, exec_lo
	v_cmpx_gt_u32_e64 s0, v8
	s_cbranch_execz .LBB1794_40
; %bb.39:
	s_wait_dscnt 0x5
	global_store_b8 v[2:3], v12, off offset:256
.LBB1794_40:
	;; [unrolled: 10-line block ×4, first 2 shown]
	s_wait_xcnt 0x0
	s_or_b32 exec_lo, exec_lo, s1
	s_wait_dscnt 0x3
	v_or_b32_e32 v6, 0x300, v0
	s_mov_b32 s1, exec_lo
	v_cmpx_gt_u32_e64 s0, v7
	s_cbranch_execz .LBB1794_46
; %bb.45:
	s_wait_dscnt 0x2
	global_store_b8 v[2:3], v5, off offset:640
.LBB1794_46:
	s_wait_xcnt 0x0
	s_or_b32 exec_lo, exec_lo, s1
	v_or_b32_e32 v0, 0x380, v0
	s_mov_b32 s1, exec_lo
	v_cmpx_gt_u32_e64 s0, v6
	s_cbranch_execz .LBB1794_48
; %bb.47:
	s_wait_dscnt 0x1
	global_store_b8 v[2:3], v4, off offset:768
.LBB1794_48:
	s_wait_xcnt 0x0
	s_or_b32 exec_lo, exec_lo, s1
	v_cmp_gt_u32_e64 s11, s0, v0
.LBB1794_49:
	s_wait_xcnt 0x0
	s_delay_alu instid0(VALU_DEP_1)
	s_and_saveexec_b32 s0, s11
	s_cbranch_execz .LBB1794_51
; %bb.50:
	s_wait_dscnt 0x0
	global_store_b8 v[2:3], v1, off offset:896
.LBB1794_51:
	s_endpgm
	.section	.rodata,"a",@progbits
	.p2align	6, 0x0
	.amdhsa_kernel _ZN7rocprim17ROCPRIM_400000_NS6detail17trampoline_kernelINS0_14default_configENS1_38merge_sort_block_merge_config_selectorIbNS0_10empty_typeEEEZZNS1_27merge_sort_block_merge_implIS3_PbPS5_jNS1_19radix_merge_compareILb0ELb0EbNS0_19identity_decomposerEEEEE10hipError_tT0_T1_T2_jT3_P12ihipStream_tbPNSt15iterator_traitsISE_E10value_typeEPNSK_ISF_E10value_typeEPSG_NS1_7vsmem_tEENKUlT_SE_SF_SG_E_clIS8_S8_S9_S9_EESD_ST_SE_SF_SG_EUlST_E0_NS1_11comp_targetILNS1_3genE0ELNS1_11target_archE4294967295ELNS1_3gpuE0ELNS1_3repE0EEENS1_38merge_mergepath_config_static_selectorELNS0_4arch9wavefront6targetE0EEEvSF_
		.amdhsa_group_segment_fixed_size 1056
		.amdhsa_private_segment_fixed_size 0
		.amdhsa_kernarg_size 320
		.amdhsa_user_sgpr_count 2
		.amdhsa_user_sgpr_dispatch_ptr 0
		.amdhsa_user_sgpr_queue_ptr 0
		.amdhsa_user_sgpr_kernarg_segment_ptr 1
		.amdhsa_user_sgpr_dispatch_id 0
		.amdhsa_user_sgpr_kernarg_preload_length 0
		.amdhsa_user_sgpr_kernarg_preload_offset 0
		.amdhsa_user_sgpr_private_segment_size 0
		.amdhsa_wavefront_size32 1
		.amdhsa_uses_dynamic_stack 0
		.amdhsa_enable_private_segment 0
		.amdhsa_system_sgpr_workgroup_id_x 1
		.amdhsa_system_sgpr_workgroup_id_y 1
		.amdhsa_system_sgpr_workgroup_id_z 1
		.amdhsa_system_sgpr_workgroup_info 0
		.amdhsa_system_vgpr_workitem_id 0
		.amdhsa_next_free_vgpr 25
		.amdhsa_next_free_sgpr 22
		.amdhsa_named_barrier_count 0
		.amdhsa_reserve_vcc 1
		.amdhsa_float_round_mode_32 0
		.amdhsa_float_round_mode_16_64 0
		.amdhsa_float_denorm_mode_32 3
		.amdhsa_float_denorm_mode_16_64 3
		.amdhsa_fp16_overflow 0
		.amdhsa_memory_ordered 1
		.amdhsa_forward_progress 1
		.amdhsa_inst_pref_size 31
		.amdhsa_round_robin_scheduling 0
		.amdhsa_exception_fp_ieee_invalid_op 0
		.amdhsa_exception_fp_denorm_src 0
		.amdhsa_exception_fp_ieee_div_zero 0
		.amdhsa_exception_fp_ieee_overflow 0
		.amdhsa_exception_fp_ieee_underflow 0
		.amdhsa_exception_fp_ieee_inexact 0
		.amdhsa_exception_int_div_zero 0
	.end_amdhsa_kernel
	.section	.text._ZN7rocprim17ROCPRIM_400000_NS6detail17trampoline_kernelINS0_14default_configENS1_38merge_sort_block_merge_config_selectorIbNS0_10empty_typeEEEZZNS1_27merge_sort_block_merge_implIS3_PbPS5_jNS1_19radix_merge_compareILb0ELb0EbNS0_19identity_decomposerEEEEE10hipError_tT0_T1_T2_jT3_P12ihipStream_tbPNSt15iterator_traitsISE_E10value_typeEPNSK_ISF_E10value_typeEPSG_NS1_7vsmem_tEENKUlT_SE_SF_SG_E_clIS8_S8_S9_S9_EESD_ST_SE_SF_SG_EUlST_E0_NS1_11comp_targetILNS1_3genE0ELNS1_11target_archE4294967295ELNS1_3gpuE0ELNS1_3repE0EEENS1_38merge_mergepath_config_static_selectorELNS0_4arch9wavefront6targetE0EEEvSF_,"axG",@progbits,_ZN7rocprim17ROCPRIM_400000_NS6detail17trampoline_kernelINS0_14default_configENS1_38merge_sort_block_merge_config_selectorIbNS0_10empty_typeEEEZZNS1_27merge_sort_block_merge_implIS3_PbPS5_jNS1_19radix_merge_compareILb0ELb0EbNS0_19identity_decomposerEEEEE10hipError_tT0_T1_T2_jT3_P12ihipStream_tbPNSt15iterator_traitsISE_E10value_typeEPNSK_ISF_E10value_typeEPSG_NS1_7vsmem_tEENKUlT_SE_SF_SG_E_clIS8_S8_S9_S9_EESD_ST_SE_SF_SG_EUlST_E0_NS1_11comp_targetILNS1_3genE0ELNS1_11target_archE4294967295ELNS1_3gpuE0ELNS1_3repE0EEENS1_38merge_mergepath_config_static_selectorELNS0_4arch9wavefront6targetE0EEEvSF_,comdat
.Lfunc_end1794:
	.size	_ZN7rocprim17ROCPRIM_400000_NS6detail17trampoline_kernelINS0_14default_configENS1_38merge_sort_block_merge_config_selectorIbNS0_10empty_typeEEEZZNS1_27merge_sort_block_merge_implIS3_PbPS5_jNS1_19radix_merge_compareILb0ELb0EbNS0_19identity_decomposerEEEEE10hipError_tT0_T1_T2_jT3_P12ihipStream_tbPNSt15iterator_traitsISE_E10value_typeEPNSK_ISF_E10value_typeEPSG_NS1_7vsmem_tEENKUlT_SE_SF_SG_E_clIS8_S8_S9_S9_EESD_ST_SE_SF_SG_EUlST_E0_NS1_11comp_targetILNS1_3genE0ELNS1_11target_archE4294967295ELNS1_3gpuE0ELNS1_3repE0EEENS1_38merge_mergepath_config_static_selectorELNS0_4arch9wavefront6targetE0EEEvSF_, .Lfunc_end1794-_ZN7rocprim17ROCPRIM_400000_NS6detail17trampoline_kernelINS0_14default_configENS1_38merge_sort_block_merge_config_selectorIbNS0_10empty_typeEEEZZNS1_27merge_sort_block_merge_implIS3_PbPS5_jNS1_19radix_merge_compareILb0ELb0EbNS0_19identity_decomposerEEEEE10hipError_tT0_T1_T2_jT3_P12ihipStream_tbPNSt15iterator_traitsISE_E10value_typeEPNSK_ISF_E10value_typeEPSG_NS1_7vsmem_tEENKUlT_SE_SF_SG_E_clIS8_S8_S9_S9_EESD_ST_SE_SF_SG_EUlST_E0_NS1_11comp_targetILNS1_3genE0ELNS1_11target_archE4294967295ELNS1_3gpuE0ELNS1_3repE0EEENS1_38merge_mergepath_config_static_selectorELNS0_4arch9wavefront6targetE0EEEvSF_
                                        ; -- End function
	.set _ZN7rocprim17ROCPRIM_400000_NS6detail17trampoline_kernelINS0_14default_configENS1_38merge_sort_block_merge_config_selectorIbNS0_10empty_typeEEEZZNS1_27merge_sort_block_merge_implIS3_PbPS5_jNS1_19radix_merge_compareILb0ELb0EbNS0_19identity_decomposerEEEEE10hipError_tT0_T1_T2_jT3_P12ihipStream_tbPNSt15iterator_traitsISE_E10value_typeEPNSK_ISF_E10value_typeEPSG_NS1_7vsmem_tEENKUlT_SE_SF_SG_E_clIS8_S8_S9_S9_EESD_ST_SE_SF_SG_EUlST_E0_NS1_11comp_targetILNS1_3genE0ELNS1_11target_archE4294967295ELNS1_3gpuE0ELNS1_3repE0EEENS1_38merge_mergepath_config_static_selectorELNS0_4arch9wavefront6targetE0EEEvSF_.num_vgpr, 25
	.set _ZN7rocprim17ROCPRIM_400000_NS6detail17trampoline_kernelINS0_14default_configENS1_38merge_sort_block_merge_config_selectorIbNS0_10empty_typeEEEZZNS1_27merge_sort_block_merge_implIS3_PbPS5_jNS1_19radix_merge_compareILb0ELb0EbNS0_19identity_decomposerEEEEE10hipError_tT0_T1_T2_jT3_P12ihipStream_tbPNSt15iterator_traitsISE_E10value_typeEPNSK_ISF_E10value_typeEPSG_NS1_7vsmem_tEENKUlT_SE_SF_SG_E_clIS8_S8_S9_S9_EESD_ST_SE_SF_SG_EUlST_E0_NS1_11comp_targetILNS1_3genE0ELNS1_11target_archE4294967295ELNS1_3gpuE0ELNS1_3repE0EEENS1_38merge_mergepath_config_static_selectorELNS0_4arch9wavefront6targetE0EEEvSF_.num_agpr, 0
	.set _ZN7rocprim17ROCPRIM_400000_NS6detail17trampoline_kernelINS0_14default_configENS1_38merge_sort_block_merge_config_selectorIbNS0_10empty_typeEEEZZNS1_27merge_sort_block_merge_implIS3_PbPS5_jNS1_19radix_merge_compareILb0ELb0EbNS0_19identity_decomposerEEEEE10hipError_tT0_T1_T2_jT3_P12ihipStream_tbPNSt15iterator_traitsISE_E10value_typeEPNSK_ISF_E10value_typeEPSG_NS1_7vsmem_tEENKUlT_SE_SF_SG_E_clIS8_S8_S9_S9_EESD_ST_SE_SF_SG_EUlST_E0_NS1_11comp_targetILNS1_3genE0ELNS1_11target_archE4294967295ELNS1_3gpuE0ELNS1_3repE0EEENS1_38merge_mergepath_config_static_selectorELNS0_4arch9wavefront6targetE0EEEvSF_.numbered_sgpr, 22
	.set _ZN7rocprim17ROCPRIM_400000_NS6detail17trampoline_kernelINS0_14default_configENS1_38merge_sort_block_merge_config_selectorIbNS0_10empty_typeEEEZZNS1_27merge_sort_block_merge_implIS3_PbPS5_jNS1_19radix_merge_compareILb0ELb0EbNS0_19identity_decomposerEEEEE10hipError_tT0_T1_T2_jT3_P12ihipStream_tbPNSt15iterator_traitsISE_E10value_typeEPNSK_ISF_E10value_typeEPSG_NS1_7vsmem_tEENKUlT_SE_SF_SG_E_clIS8_S8_S9_S9_EESD_ST_SE_SF_SG_EUlST_E0_NS1_11comp_targetILNS1_3genE0ELNS1_11target_archE4294967295ELNS1_3gpuE0ELNS1_3repE0EEENS1_38merge_mergepath_config_static_selectorELNS0_4arch9wavefront6targetE0EEEvSF_.num_named_barrier, 0
	.set _ZN7rocprim17ROCPRIM_400000_NS6detail17trampoline_kernelINS0_14default_configENS1_38merge_sort_block_merge_config_selectorIbNS0_10empty_typeEEEZZNS1_27merge_sort_block_merge_implIS3_PbPS5_jNS1_19radix_merge_compareILb0ELb0EbNS0_19identity_decomposerEEEEE10hipError_tT0_T1_T2_jT3_P12ihipStream_tbPNSt15iterator_traitsISE_E10value_typeEPNSK_ISF_E10value_typeEPSG_NS1_7vsmem_tEENKUlT_SE_SF_SG_E_clIS8_S8_S9_S9_EESD_ST_SE_SF_SG_EUlST_E0_NS1_11comp_targetILNS1_3genE0ELNS1_11target_archE4294967295ELNS1_3gpuE0ELNS1_3repE0EEENS1_38merge_mergepath_config_static_selectorELNS0_4arch9wavefront6targetE0EEEvSF_.private_seg_size, 0
	.set _ZN7rocprim17ROCPRIM_400000_NS6detail17trampoline_kernelINS0_14default_configENS1_38merge_sort_block_merge_config_selectorIbNS0_10empty_typeEEEZZNS1_27merge_sort_block_merge_implIS3_PbPS5_jNS1_19radix_merge_compareILb0ELb0EbNS0_19identity_decomposerEEEEE10hipError_tT0_T1_T2_jT3_P12ihipStream_tbPNSt15iterator_traitsISE_E10value_typeEPNSK_ISF_E10value_typeEPSG_NS1_7vsmem_tEENKUlT_SE_SF_SG_E_clIS8_S8_S9_S9_EESD_ST_SE_SF_SG_EUlST_E0_NS1_11comp_targetILNS1_3genE0ELNS1_11target_archE4294967295ELNS1_3gpuE0ELNS1_3repE0EEENS1_38merge_mergepath_config_static_selectorELNS0_4arch9wavefront6targetE0EEEvSF_.uses_vcc, 1
	.set _ZN7rocprim17ROCPRIM_400000_NS6detail17trampoline_kernelINS0_14default_configENS1_38merge_sort_block_merge_config_selectorIbNS0_10empty_typeEEEZZNS1_27merge_sort_block_merge_implIS3_PbPS5_jNS1_19radix_merge_compareILb0ELb0EbNS0_19identity_decomposerEEEEE10hipError_tT0_T1_T2_jT3_P12ihipStream_tbPNSt15iterator_traitsISE_E10value_typeEPNSK_ISF_E10value_typeEPSG_NS1_7vsmem_tEENKUlT_SE_SF_SG_E_clIS8_S8_S9_S9_EESD_ST_SE_SF_SG_EUlST_E0_NS1_11comp_targetILNS1_3genE0ELNS1_11target_archE4294967295ELNS1_3gpuE0ELNS1_3repE0EEENS1_38merge_mergepath_config_static_selectorELNS0_4arch9wavefront6targetE0EEEvSF_.uses_flat_scratch, 0
	.set _ZN7rocprim17ROCPRIM_400000_NS6detail17trampoline_kernelINS0_14default_configENS1_38merge_sort_block_merge_config_selectorIbNS0_10empty_typeEEEZZNS1_27merge_sort_block_merge_implIS3_PbPS5_jNS1_19radix_merge_compareILb0ELb0EbNS0_19identity_decomposerEEEEE10hipError_tT0_T1_T2_jT3_P12ihipStream_tbPNSt15iterator_traitsISE_E10value_typeEPNSK_ISF_E10value_typeEPSG_NS1_7vsmem_tEENKUlT_SE_SF_SG_E_clIS8_S8_S9_S9_EESD_ST_SE_SF_SG_EUlST_E0_NS1_11comp_targetILNS1_3genE0ELNS1_11target_archE4294967295ELNS1_3gpuE0ELNS1_3repE0EEENS1_38merge_mergepath_config_static_selectorELNS0_4arch9wavefront6targetE0EEEvSF_.has_dyn_sized_stack, 0
	.set _ZN7rocprim17ROCPRIM_400000_NS6detail17trampoline_kernelINS0_14default_configENS1_38merge_sort_block_merge_config_selectorIbNS0_10empty_typeEEEZZNS1_27merge_sort_block_merge_implIS3_PbPS5_jNS1_19radix_merge_compareILb0ELb0EbNS0_19identity_decomposerEEEEE10hipError_tT0_T1_T2_jT3_P12ihipStream_tbPNSt15iterator_traitsISE_E10value_typeEPNSK_ISF_E10value_typeEPSG_NS1_7vsmem_tEENKUlT_SE_SF_SG_E_clIS8_S8_S9_S9_EESD_ST_SE_SF_SG_EUlST_E0_NS1_11comp_targetILNS1_3genE0ELNS1_11target_archE4294967295ELNS1_3gpuE0ELNS1_3repE0EEENS1_38merge_mergepath_config_static_selectorELNS0_4arch9wavefront6targetE0EEEvSF_.has_recursion, 0
	.set _ZN7rocprim17ROCPRIM_400000_NS6detail17trampoline_kernelINS0_14default_configENS1_38merge_sort_block_merge_config_selectorIbNS0_10empty_typeEEEZZNS1_27merge_sort_block_merge_implIS3_PbPS5_jNS1_19radix_merge_compareILb0ELb0EbNS0_19identity_decomposerEEEEE10hipError_tT0_T1_T2_jT3_P12ihipStream_tbPNSt15iterator_traitsISE_E10value_typeEPNSK_ISF_E10value_typeEPSG_NS1_7vsmem_tEENKUlT_SE_SF_SG_E_clIS8_S8_S9_S9_EESD_ST_SE_SF_SG_EUlST_E0_NS1_11comp_targetILNS1_3genE0ELNS1_11target_archE4294967295ELNS1_3gpuE0ELNS1_3repE0EEENS1_38merge_mergepath_config_static_selectorELNS0_4arch9wavefront6targetE0EEEvSF_.has_indirect_call, 0
	.section	.AMDGPU.csdata,"",@progbits
; Kernel info:
; codeLenInByte = 3948
; TotalNumSgprs: 24
; NumVgprs: 25
; ScratchSize: 0
; MemoryBound: 0
; FloatMode: 240
; IeeeMode: 1
; LDSByteSize: 1056 bytes/workgroup (compile time only)
; SGPRBlocks: 0
; VGPRBlocks: 1
; NumSGPRsForWavesPerEU: 24
; NumVGPRsForWavesPerEU: 25
; NamedBarCnt: 0
; Occupancy: 16
; WaveLimiterHint : 1
; COMPUTE_PGM_RSRC2:SCRATCH_EN: 0
; COMPUTE_PGM_RSRC2:USER_SGPR: 2
; COMPUTE_PGM_RSRC2:TRAP_HANDLER: 0
; COMPUTE_PGM_RSRC2:TGID_X_EN: 1
; COMPUTE_PGM_RSRC2:TGID_Y_EN: 1
; COMPUTE_PGM_RSRC2:TGID_Z_EN: 1
; COMPUTE_PGM_RSRC2:TIDIG_COMP_CNT: 0
	.section	.text._ZN7rocprim17ROCPRIM_400000_NS6detail17trampoline_kernelINS0_14default_configENS1_38merge_sort_block_merge_config_selectorIbNS0_10empty_typeEEEZZNS1_27merge_sort_block_merge_implIS3_PbPS5_jNS1_19radix_merge_compareILb0ELb0EbNS0_19identity_decomposerEEEEE10hipError_tT0_T1_T2_jT3_P12ihipStream_tbPNSt15iterator_traitsISE_E10value_typeEPNSK_ISF_E10value_typeEPSG_NS1_7vsmem_tEENKUlT_SE_SF_SG_E_clIS8_S8_S9_S9_EESD_ST_SE_SF_SG_EUlST_E0_NS1_11comp_targetILNS1_3genE10ELNS1_11target_archE1201ELNS1_3gpuE5ELNS1_3repE0EEENS1_38merge_mergepath_config_static_selectorELNS0_4arch9wavefront6targetE0EEEvSF_,"axG",@progbits,_ZN7rocprim17ROCPRIM_400000_NS6detail17trampoline_kernelINS0_14default_configENS1_38merge_sort_block_merge_config_selectorIbNS0_10empty_typeEEEZZNS1_27merge_sort_block_merge_implIS3_PbPS5_jNS1_19radix_merge_compareILb0ELb0EbNS0_19identity_decomposerEEEEE10hipError_tT0_T1_T2_jT3_P12ihipStream_tbPNSt15iterator_traitsISE_E10value_typeEPNSK_ISF_E10value_typeEPSG_NS1_7vsmem_tEENKUlT_SE_SF_SG_E_clIS8_S8_S9_S9_EESD_ST_SE_SF_SG_EUlST_E0_NS1_11comp_targetILNS1_3genE10ELNS1_11target_archE1201ELNS1_3gpuE5ELNS1_3repE0EEENS1_38merge_mergepath_config_static_selectorELNS0_4arch9wavefront6targetE0EEEvSF_,comdat
	.protected	_ZN7rocprim17ROCPRIM_400000_NS6detail17trampoline_kernelINS0_14default_configENS1_38merge_sort_block_merge_config_selectorIbNS0_10empty_typeEEEZZNS1_27merge_sort_block_merge_implIS3_PbPS5_jNS1_19radix_merge_compareILb0ELb0EbNS0_19identity_decomposerEEEEE10hipError_tT0_T1_T2_jT3_P12ihipStream_tbPNSt15iterator_traitsISE_E10value_typeEPNSK_ISF_E10value_typeEPSG_NS1_7vsmem_tEENKUlT_SE_SF_SG_E_clIS8_S8_S9_S9_EESD_ST_SE_SF_SG_EUlST_E0_NS1_11comp_targetILNS1_3genE10ELNS1_11target_archE1201ELNS1_3gpuE5ELNS1_3repE0EEENS1_38merge_mergepath_config_static_selectorELNS0_4arch9wavefront6targetE0EEEvSF_ ; -- Begin function _ZN7rocprim17ROCPRIM_400000_NS6detail17trampoline_kernelINS0_14default_configENS1_38merge_sort_block_merge_config_selectorIbNS0_10empty_typeEEEZZNS1_27merge_sort_block_merge_implIS3_PbPS5_jNS1_19radix_merge_compareILb0ELb0EbNS0_19identity_decomposerEEEEE10hipError_tT0_T1_T2_jT3_P12ihipStream_tbPNSt15iterator_traitsISE_E10value_typeEPNSK_ISF_E10value_typeEPSG_NS1_7vsmem_tEENKUlT_SE_SF_SG_E_clIS8_S8_S9_S9_EESD_ST_SE_SF_SG_EUlST_E0_NS1_11comp_targetILNS1_3genE10ELNS1_11target_archE1201ELNS1_3gpuE5ELNS1_3repE0EEENS1_38merge_mergepath_config_static_selectorELNS0_4arch9wavefront6targetE0EEEvSF_
	.globl	_ZN7rocprim17ROCPRIM_400000_NS6detail17trampoline_kernelINS0_14default_configENS1_38merge_sort_block_merge_config_selectorIbNS0_10empty_typeEEEZZNS1_27merge_sort_block_merge_implIS3_PbPS5_jNS1_19radix_merge_compareILb0ELb0EbNS0_19identity_decomposerEEEEE10hipError_tT0_T1_T2_jT3_P12ihipStream_tbPNSt15iterator_traitsISE_E10value_typeEPNSK_ISF_E10value_typeEPSG_NS1_7vsmem_tEENKUlT_SE_SF_SG_E_clIS8_S8_S9_S9_EESD_ST_SE_SF_SG_EUlST_E0_NS1_11comp_targetILNS1_3genE10ELNS1_11target_archE1201ELNS1_3gpuE5ELNS1_3repE0EEENS1_38merge_mergepath_config_static_selectorELNS0_4arch9wavefront6targetE0EEEvSF_
	.p2align	8
	.type	_ZN7rocprim17ROCPRIM_400000_NS6detail17trampoline_kernelINS0_14default_configENS1_38merge_sort_block_merge_config_selectorIbNS0_10empty_typeEEEZZNS1_27merge_sort_block_merge_implIS3_PbPS5_jNS1_19radix_merge_compareILb0ELb0EbNS0_19identity_decomposerEEEEE10hipError_tT0_T1_T2_jT3_P12ihipStream_tbPNSt15iterator_traitsISE_E10value_typeEPNSK_ISF_E10value_typeEPSG_NS1_7vsmem_tEENKUlT_SE_SF_SG_E_clIS8_S8_S9_S9_EESD_ST_SE_SF_SG_EUlST_E0_NS1_11comp_targetILNS1_3genE10ELNS1_11target_archE1201ELNS1_3gpuE5ELNS1_3repE0EEENS1_38merge_mergepath_config_static_selectorELNS0_4arch9wavefront6targetE0EEEvSF_,@function
_ZN7rocprim17ROCPRIM_400000_NS6detail17trampoline_kernelINS0_14default_configENS1_38merge_sort_block_merge_config_selectorIbNS0_10empty_typeEEEZZNS1_27merge_sort_block_merge_implIS3_PbPS5_jNS1_19radix_merge_compareILb0ELb0EbNS0_19identity_decomposerEEEEE10hipError_tT0_T1_T2_jT3_P12ihipStream_tbPNSt15iterator_traitsISE_E10value_typeEPNSK_ISF_E10value_typeEPSG_NS1_7vsmem_tEENKUlT_SE_SF_SG_E_clIS8_S8_S9_S9_EESD_ST_SE_SF_SG_EUlST_E0_NS1_11comp_targetILNS1_3genE10ELNS1_11target_archE1201ELNS1_3gpuE5ELNS1_3repE0EEENS1_38merge_mergepath_config_static_selectorELNS0_4arch9wavefront6targetE0EEEvSF_: ; @_ZN7rocprim17ROCPRIM_400000_NS6detail17trampoline_kernelINS0_14default_configENS1_38merge_sort_block_merge_config_selectorIbNS0_10empty_typeEEEZZNS1_27merge_sort_block_merge_implIS3_PbPS5_jNS1_19radix_merge_compareILb0ELb0EbNS0_19identity_decomposerEEEEE10hipError_tT0_T1_T2_jT3_P12ihipStream_tbPNSt15iterator_traitsISE_E10value_typeEPNSK_ISF_E10value_typeEPSG_NS1_7vsmem_tEENKUlT_SE_SF_SG_E_clIS8_S8_S9_S9_EESD_ST_SE_SF_SG_EUlST_E0_NS1_11comp_targetILNS1_3genE10ELNS1_11target_archE1201ELNS1_3gpuE5ELNS1_3repE0EEENS1_38merge_mergepath_config_static_selectorELNS0_4arch9wavefront6targetE0EEEvSF_
; %bb.0:
	.section	.rodata,"a",@progbits
	.p2align	6, 0x0
	.amdhsa_kernel _ZN7rocprim17ROCPRIM_400000_NS6detail17trampoline_kernelINS0_14default_configENS1_38merge_sort_block_merge_config_selectorIbNS0_10empty_typeEEEZZNS1_27merge_sort_block_merge_implIS3_PbPS5_jNS1_19radix_merge_compareILb0ELb0EbNS0_19identity_decomposerEEEEE10hipError_tT0_T1_T2_jT3_P12ihipStream_tbPNSt15iterator_traitsISE_E10value_typeEPNSK_ISF_E10value_typeEPSG_NS1_7vsmem_tEENKUlT_SE_SF_SG_E_clIS8_S8_S9_S9_EESD_ST_SE_SF_SG_EUlST_E0_NS1_11comp_targetILNS1_3genE10ELNS1_11target_archE1201ELNS1_3gpuE5ELNS1_3repE0EEENS1_38merge_mergepath_config_static_selectorELNS0_4arch9wavefront6targetE0EEEvSF_
		.amdhsa_group_segment_fixed_size 0
		.amdhsa_private_segment_fixed_size 0
		.amdhsa_kernarg_size 64
		.amdhsa_user_sgpr_count 2
		.amdhsa_user_sgpr_dispatch_ptr 0
		.amdhsa_user_sgpr_queue_ptr 0
		.amdhsa_user_sgpr_kernarg_segment_ptr 1
		.amdhsa_user_sgpr_dispatch_id 0
		.amdhsa_user_sgpr_kernarg_preload_length 0
		.amdhsa_user_sgpr_kernarg_preload_offset 0
		.amdhsa_user_sgpr_private_segment_size 0
		.amdhsa_wavefront_size32 1
		.amdhsa_uses_dynamic_stack 0
		.amdhsa_enable_private_segment 0
		.amdhsa_system_sgpr_workgroup_id_x 1
		.amdhsa_system_sgpr_workgroup_id_y 0
		.amdhsa_system_sgpr_workgroup_id_z 0
		.amdhsa_system_sgpr_workgroup_info 0
		.amdhsa_system_vgpr_workitem_id 0
		.amdhsa_next_free_vgpr 1
		.amdhsa_next_free_sgpr 1
		.amdhsa_named_barrier_count 0
		.amdhsa_reserve_vcc 0
		.amdhsa_float_round_mode_32 0
		.amdhsa_float_round_mode_16_64 0
		.amdhsa_float_denorm_mode_32 3
		.amdhsa_float_denorm_mode_16_64 3
		.amdhsa_fp16_overflow 0
		.amdhsa_memory_ordered 1
		.amdhsa_forward_progress 1
		.amdhsa_inst_pref_size 0
		.amdhsa_round_robin_scheduling 0
		.amdhsa_exception_fp_ieee_invalid_op 0
		.amdhsa_exception_fp_denorm_src 0
		.amdhsa_exception_fp_ieee_div_zero 0
		.amdhsa_exception_fp_ieee_overflow 0
		.amdhsa_exception_fp_ieee_underflow 0
		.amdhsa_exception_fp_ieee_inexact 0
		.amdhsa_exception_int_div_zero 0
	.end_amdhsa_kernel
	.section	.text._ZN7rocprim17ROCPRIM_400000_NS6detail17trampoline_kernelINS0_14default_configENS1_38merge_sort_block_merge_config_selectorIbNS0_10empty_typeEEEZZNS1_27merge_sort_block_merge_implIS3_PbPS5_jNS1_19radix_merge_compareILb0ELb0EbNS0_19identity_decomposerEEEEE10hipError_tT0_T1_T2_jT3_P12ihipStream_tbPNSt15iterator_traitsISE_E10value_typeEPNSK_ISF_E10value_typeEPSG_NS1_7vsmem_tEENKUlT_SE_SF_SG_E_clIS8_S8_S9_S9_EESD_ST_SE_SF_SG_EUlST_E0_NS1_11comp_targetILNS1_3genE10ELNS1_11target_archE1201ELNS1_3gpuE5ELNS1_3repE0EEENS1_38merge_mergepath_config_static_selectorELNS0_4arch9wavefront6targetE0EEEvSF_,"axG",@progbits,_ZN7rocprim17ROCPRIM_400000_NS6detail17trampoline_kernelINS0_14default_configENS1_38merge_sort_block_merge_config_selectorIbNS0_10empty_typeEEEZZNS1_27merge_sort_block_merge_implIS3_PbPS5_jNS1_19radix_merge_compareILb0ELb0EbNS0_19identity_decomposerEEEEE10hipError_tT0_T1_T2_jT3_P12ihipStream_tbPNSt15iterator_traitsISE_E10value_typeEPNSK_ISF_E10value_typeEPSG_NS1_7vsmem_tEENKUlT_SE_SF_SG_E_clIS8_S8_S9_S9_EESD_ST_SE_SF_SG_EUlST_E0_NS1_11comp_targetILNS1_3genE10ELNS1_11target_archE1201ELNS1_3gpuE5ELNS1_3repE0EEENS1_38merge_mergepath_config_static_selectorELNS0_4arch9wavefront6targetE0EEEvSF_,comdat
.Lfunc_end1795:
	.size	_ZN7rocprim17ROCPRIM_400000_NS6detail17trampoline_kernelINS0_14default_configENS1_38merge_sort_block_merge_config_selectorIbNS0_10empty_typeEEEZZNS1_27merge_sort_block_merge_implIS3_PbPS5_jNS1_19radix_merge_compareILb0ELb0EbNS0_19identity_decomposerEEEEE10hipError_tT0_T1_T2_jT3_P12ihipStream_tbPNSt15iterator_traitsISE_E10value_typeEPNSK_ISF_E10value_typeEPSG_NS1_7vsmem_tEENKUlT_SE_SF_SG_E_clIS8_S8_S9_S9_EESD_ST_SE_SF_SG_EUlST_E0_NS1_11comp_targetILNS1_3genE10ELNS1_11target_archE1201ELNS1_3gpuE5ELNS1_3repE0EEENS1_38merge_mergepath_config_static_selectorELNS0_4arch9wavefront6targetE0EEEvSF_, .Lfunc_end1795-_ZN7rocprim17ROCPRIM_400000_NS6detail17trampoline_kernelINS0_14default_configENS1_38merge_sort_block_merge_config_selectorIbNS0_10empty_typeEEEZZNS1_27merge_sort_block_merge_implIS3_PbPS5_jNS1_19radix_merge_compareILb0ELb0EbNS0_19identity_decomposerEEEEE10hipError_tT0_T1_T2_jT3_P12ihipStream_tbPNSt15iterator_traitsISE_E10value_typeEPNSK_ISF_E10value_typeEPSG_NS1_7vsmem_tEENKUlT_SE_SF_SG_E_clIS8_S8_S9_S9_EESD_ST_SE_SF_SG_EUlST_E0_NS1_11comp_targetILNS1_3genE10ELNS1_11target_archE1201ELNS1_3gpuE5ELNS1_3repE0EEENS1_38merge_mergepath_config_static_selectorELNS0_4arch9wavefront6targetE0EEEvSF_
                                        ; -- End function
	.set _ZN7rocprim17ROCPRIM_400000_NS6detail17trampoline_kernelINS0_14default_configENS1_38merge_sort_block_merge_config_selectorIbNS0_10empty_typeEEEZZNS1_27merge_sort_block_merge_implIS3_PbPS5_jNS1_19radix_merge_compareILb0ELb0EbNS0_19identity_decomposerEEEEE10hipError_tT0_T1_T2_jT3_P12ihipStream_tbPNSt15iterator_traitsISE_E10value_typeEPNSK_ISF_E10value_typeEPSG_NS1_7vsmem_tEENKUlT_SE_SF_SG_E_clIS8_S8_S9_S9_EESD_ST_SE_SF_SG_EUlST_E0_NS1_11comp_targetILNS1_3genE10ELNS1_11target_archE1201ELNS1_3gpuE5ELNS1_3repE0EEENS1_38merge_mergepath_config_static_selectorELNS0_4arch9wavefront6targetE0EEEvSF_.num_vgpr, 0
	.set _ZN7rocprim17ROCPRIM_400000_NS6detail17trampoline_kernelINS0_14default_configENS1_38merge_sort_block_merge_config_selectorIbNS0_10empty_typeEEEZZNS1_27merge_sort_block_merge_implIS3_PbPS5_jNS1_19radix_merge_compareILb0ELb0EbNS0_19identity_decomposerEEEEE10hipError_tT0_T1_T2_jT3_P12ihipStream_tbPNSt15iterator_traitsISE_E10value_typeEPNSK_ISF_E10value_typeEPSG_NS1_7vsmem_tEENKUlT_SE_SF_SG_E_clIS8_S8_S9_S9_EESD_ST_SE_SF_SG_EUlST_E0_NS1_11comp_targetILNS1_3genE10ELNS1_11target_archE1201ELNS1_3gpuE5ELNS1_3repE0EEENS1_38merge_mergepath_config_static_selectorELNS0_4arch9wavefront6targetE0EEEvSF_.num_agpr, 0
	.set _ZN7rocprim17ROCPRIM_400000_NS6detail17trampoline_kernelINS0_14default_configENS1_38merge_sort_block_merge_config_selectorIbNS0_10empty_typeEEEZZNS1_27merge_sort_block_merge_implIS3_PbPS5_jNS1_19radix_merge_compareILb0ELb0EbNS0_19identity_decomposerEEEEE10hipError_tT0_T1_T2_jT3_P12ihipStream_tbPNSt15iterator_traitsISE_E10value_typeEPNSK_ISF_E10value_typeEPSG_NS1_7vsmem_tEENKUlT_SE_SF_SG_E_clIS8_S8_S9_S9_EESD_ST_SE_SF_SG_EUlST_E0_NS1_11comp_targetILNS1_3genE10ELNS1_11target_archE1201ELNS1_3gpuE5ELNS1_3repE0EEENS1_38merge_mergepath_config_static_selectorELNS0_4arch9wavefront6targetE0EEEvSF_.numbered_sgpr, 0
	.set _ZN7rocprim17ROCPRIM_400000_NS6detail17trampoline_kernelINS0_14default_configENS1_38merge_sort_block_merge_config_selectorIbNS0_10empty_typeEEEZZNS1_27merge_sort_block_merge_implIS3_PbPS5_jNS1_19radix_merge_compareILb0ELb0EbNS0_19identity_decomposerEEEEE10hipError_tT0_T1_T2_jT3_P12ihipStream_tbPNSt15iterator_traitsISE_E10value_typeEPNSK_ISF_E10value_typeEPSG_NS1_7vsmem_tEENKUlT_SE_SF_SG_E_clIS8_S8_S9_S9_EESD_ST_SE_SF_SG_EUlST_E0_NS1_11comp_targetILNS1_3genE10ELNS1_11target_archE1201ELNS1_3gpuE5ELNS1_3repE0EEENS1_38merge_mergepath_config_static_selectorELNS0_4arch9wavefront6targetE0EEEvSF_.num_named_barrier, 0
	.set _ZN7rocprim17ROCPRIM_400000_NS6detail17trampoline_kernelINS0_14default_configENS1_38merge_sort_block_merge_config_selectorIbNS0_10empty_typeEEEZZNS1_27merge_sort_block_merge_implIS3_PbPS5_jNS1_19radix_merge_compareILb0ELb0EbNS0_19identity_decomposerEEEEE10hipError_tT0_T1_T2_jT3_P12ihipStream_tbPNSt15iterator_traitsISE_E10value_typeEPNSK_ISF_E10value_typeEPSG_NS1_7vsmem_tEENKUlT_SE_SF_SG_E_clIS8_S8_S9_S9_EESD_ST_SE_SF_SG_EUlST_E0_NS1_11comp_targetILNS1_3genE10ELNS1_11target_archE1201ELNS1_3gpuE5ELNS1_3repE0EEENS1_38merge_mergepath_config_static_selectorELNS0_4arch9wavefront6targetE0EEEvSF_.private_seg_size, 0
	.set _ZN7rocprim17ROCPRIM_400000_NS6detail17trampoline_kernelINS0_14default_configENS1_38merge_sort_block_merge_config_selectorIbNS0_10empty_typeEEEZZNS1_27merge_sort_block_merge_implIS3_PbPS5_jNS1_19radix_merge_compareILb0ELb0EbNS0_19identity_decomposerEEEEE10hipError_tT0_T1_T2_jT3_P12ihipStream_tbPNSt15iterator_traitsISE_E10value_typeEPNSK_ISF_E10value_typeEPSG_NS1_7vsmem_tEENKUlT_SE_SF_SG_E_clIS8_S8_S9_S9_EESD_ST_SE_SF_SG_EUlST_E0_NS1_11comp_targetILNS1_3genE10ELNS1_11target_archE1201ELNS1_3gpuE5ELNS1_3repE0EEENS1_38merge_mergepath_config_static_selectorELNS0_4arch9wavefront6targetE0EEEvSF_.uses_vcc, 0
	.set _ZN7rocprim17ROCPRIM_400000_NS6detail17trampoline_kernelINS0_14default_configENS1_38merge_sort_block_merge_config_selectorIbNS0_10empty_typeEEEZZNS1_27merge_sort_block_merge_implIS3_PbPS5_jNS1_19radix_merge_compareILb0ELb0EbNS0_19identity_decomposerEEEEE10hipError_tT0_T1_T2_jT3_P12ihipStream_tbPNSt15iterator_traitsISE_E10value_typeEPNSK_ISF_E10value_typeEPSG_NS1_7vsmem_tEENKUlT_SE_SF_SG_E_clIS8_S8_S9_S9_EESD_ST_SE_SF_SG_EUlST_E0_NS1_11comp_targetILNS1_3genE10ELNS1_11target_archE1201ELNS1_3gpuE5ELNS1_3repE0EEENS1_38merge_mergepath_config_static_selectorELNS0_4arch9wavefront6targetE0EEEvSF_.uses_flat_scratch, 0
	.set _ZN7rocprim17ROCPRIM_400000_NS6detail17trampoline_kernelINS0_14default_configENS1_38merge_sort_block_merge_config_selectorIbNS0_10empty_typeEEEZZNS1_27merge_sort_block_merge_implIS3_PbPS5_jNS1_19radix_merge_compareILb0ELb0EbNS0_19identity_decomposerEEEEE10hipError_tT0_T1_T2_jT3_P12ihipStream_tbPNSt15iterator_traitsISE_E10value_typeEPNSK_ISF_E10value_typeEPSG_NS1_7vsmem_tEENKUlT_SE_SF_SG_E_clIS8_S8_S9_S9_EESD_ST_SE_SF_SG_EUlST_E0_NS1_11comp_targetILNS1_3genE10ELNS1_11target_archE1201ELNS1_3gpuE5ELNS1_3repE0EEENS1_38merge_mergepath_config_static_selectorELNS0_4arch9wavefront6targetE0EEEvSF_.has_dyn_sized_stack, 0
	.set _ZN7rocprim17ROCPRIM_400000_NS6detail17trampoline_kernelINS0_14default_configENS1_38merge_sort_block_merge_config_selectorIbNS0_10empty_typeEEEZZNS1_27merge_sort_block_merge_implIS3_PbPS5_jNS1_19radix_merge_compareILb0ELb0EbNS0_19identity_decomposerEEEEE10hipError_tT0_T1_T2_jT3_P12ihipStream_tbPNSt15iterator_traitsISE_E10value_typeEPNSK_ISF_E10value_typeEPSG_NS1_7vsmem_tEENKUlT_SE_SF_SG_E_clIS8_S8_S9_S9_EESD_ST_SE_SF_SG_EUlST_E0_NS1_11comp_targetILNS1_3genE10ELNS1_11target_archE1201ELNS1_3gpuE5ELNS1_3repE0EEENS1_38merge_mergepath_config_static_selectorELNS0_4arch9wavefront6targetE0EEEvSF_.has_recursion, 0
	.set _ZN7rocprim17ROCPRIM_400000_NS6detail17trampoline_kernelINS0_14default_configENS1_38merge_sort_block_merge_config_selectorIbNS0_10empty_typeEEEZZNS1_27merge_sort_block_merge_implIS3_PbPS5_jNS1_19radix_merge_compareILb0ELb0EbNS0_19identity_decomposerEEEEE10hipError_tT0_T1_T2_jT3_P12ihipStream_tbPNSt15iterator_traitsISE_E10value_typeEPNSK_ISF_E10value_typeEPSG_NS1_7vsmem_tEENKUlT_SE_SF_SG_E_clIS8_S8_S9_S9_EESD_ST_SE_SF_SG_EUlST_E0_NS1_11comp_targetILNS1_3genE10ELNS1_11target_archE1201ELNS1_3gpuE5ELNS1_3repE0EEENS1_38merge_mergepath_config_static_selectorELNS0_4arch9wavefront6targetE0EEEvSF_.has_indirect_call, 0
	.section	.AMDGPU.csdata,"",@progbits
; Kernel info:
; codeLenInByte = 0
; TotalNumSgprs: 0
; NumVgprs: 0
; ScratchSize: 0
; MemoryBound: 0
; FloatMode: 240
; IeeeMode: 1
; LDSByteSize: 0 bytes/workgroup (compile time only)
; SGPRBlocks: 0
; VGPRBlocks: 0
; NumSGPRsForWavesPerEU: 1
; NumVGPRsForWavesPerEU: 1
; NamedBarCnt: 0
; Occupancy: 16
; WaveLimiterHint : 0
; COMPUTE_PGM_RSRC2:SCRATCH_EN: 0
; COMPUTE_PGM_RSRC2:USER_SGPR: 2
; COMPUTE_PGM_RSRC2:TRAP_HANDLER: 0
; COMPUTE_PGM_RSRC2:TGID_X_EN: 1
; COMPUTE_PGM_RSRC2:TGID_Y_EN: 0
; COMPUTE_PGM_RSRC2:TGID_Z_EN: 0
; COMPUTE_PGM_RSRC2:TIDIG_COMP_CNT: 0
	.section	.text._ZN7rocprim17ROCPRIM_400000_NS6detail17trampoline_kernelINS0_14default_configENS1_38merge_sort_block_merge_config_selectorIbNS0_10empty_typeEEEZZNS1_27merge_sort_block_merge_implIS3_PbPS5_jNS1_19radix_merge_compareILb0ELb0EbNS0_19identity_decomposerEEEEE10hipError_tT0_T1_T2_jT3_P12ihipStream_tbPNSt15iterator_traitsISE_E10value_typeEPNSK_ISF_E10value_typeEPSG_NS1_7vsmem_tEENKUlT_SE_SF_SG_E_clIS8_S8_S9_S9_EESD_ST_SE_SF_SG_EUlST_E0_NS1_11comp_targetILNS1_3genE5ELNS1_11target_archE942ELNS1_3gpuE9ELNS1_3repE0EEENS1_38merge_mergepath_config_static_selectorELNS0_4arch9wavefront6targetE0EEEvSF_,"axG",@progbits,_ZN7rocprim17ROCPRIM_400000_NS6detail17trampoline_kernelINS0_14default_configENS1_38merge_sort_block_merge_config_selectorIbNS0_10empty_typeEEEZZNS1_27merge_sort_block_merge_implIS3_PbPS5_jNS1_19radix_merge_compareILb0ELb0EbNS0_19identity_decomposerEEEEE10hipError_tT0_T1_T2_jT3_P12ihipStream_tbPNSt15iterator_traitsISE_E10value_typeEPNSK_ISF_E10value_typeEPSG_NS1_7vsmem_tEENKUlT_SE_SF_SG_E_clIS8_S8_S9_S9_EESD_ST_SE_SF_SG_EUlST_E0_NS1_11comp_targetILNS1_3genE5ELNS1_11target_archE942ELNS1_3gpuE9ELNS1_3repE0EEENS1_38merge_mergepath_config_static_selectorELNS0_4arch9wavefront6targetE0EEEvSF_,comdat
	.protected	_ZN7rocprim17ROCPRIM_400000_NS6detail17trampoline_kernelINS0_14default_configENS1_38merge_sort_block_merge_config_selectorIbNS0_10empty_typeEEEZZNS1_27merge_sort_block_merge_implIS3_PbPS5_jNS1_19radix_merge_compareILb0ELb0EbNS0_19identity_decomposerEEEEE10hipError_tT0_T1_T2_jT3_P12ihipStream_tbPNSt15iterator_traitsISE_E10value_typeEPNSK_ISF_E10value_typeEPSG_NS1_7vsmem_tEENKUlT_SE_SF_SG_E_clIS8_S8_S9_S9_EESD_ST_SE_SF_SG_EUlST_E0_NS1_11comp_targetILNS1_3genE5ELNS1_11target_archE942ELNS1_3gpuE9ELNS1_3repE0EEENS1_38merge_mergepath_config_static_selectorELNS0_4arch9wavefront6targetE0EEEvSF_ ; -- Begin function _ZN7rocprim17ROCPRIM_400000_NS6detail17trampoline_kernelINS0_14default_configENS1_38merge_sort_block_merge_config_selectorIbNS0_10empty_typeEEEZZNS1_27merge_sort_block_merge_implIS3_PbPS5_jNS1_19radix_merge_compareILb0ELb0EbNS0_19identity_decomposerEEEEE10hipError_tT0_T1_T2_jT3_P12ihipStream_tbPNSt15iterator_traitsISE_E10value_typeEPNSK_ISF_E10value_typeEPSG_NS1_7vsmem_tEENKUlT_SE_SF_SG_E_clIS8_S8_S9_S9_EESD_ST_SE_SF_SG_EUlST_E0_NS1_11comp_targetILNS1_3genE5ELNS1_11target_archE942ELNS1_3gpuE9ELNS1_3repE0EEENS1_38merge_mergepath_config_static_selectorELNS0_4arch9wavefront6targetE0EEEvSF_
	.globl	_ZN7rocprim17ROCPRIM_400000_NS6detail17trampoline_kernelINS0_14default_configENS1_38merge_sort_block_merge_config_selectorIbNS0_10empty_typeEEEZZNS1_27merge_sort_block_merge_implIS3_PbPS5_jNS1_19radix_merge_compareILb0ELb0EbNS0_19identity_decomposerEEEEE10hipError_tT0_T1_T2_jT3_P12ihipStream_tbPNSt15iterator_traitsISE_E10value_typeEPNSK_ISF_E10value_typeEPSG_NS1_7vsmem_tEENKUlT_SE_SF_SG_E_clIS8_S8_S9_S9_EESD_ST_SE_SF_SG_EUlST_E0_NS1_11comp_targetILNS1_3genE5ELNS1_11target_archE942ELNS1_3gpuE9ELNS1_3repE0EEENS1_38merge_mergepath_config_static_selectorELNS0_4arch9wavefront6targetE0EEEvSF_
	.p2align	8
	.type	_ZN7rocprim17ROCPRIM_400000_NS6detail17trampoline_kernelINS0_14default_configENS1_38merge_sort_block_merge_config_selectorIbNS0_10empty_typeEEEZZNS1_27merge_sort_block_merge_implIS3_PbPS5_jNS1_19radix_merge_compareILb0ELb0EbNS0_19identity_decomposerEEEEE10hipError_tT0_T1_T2_jT3_P12ihipStream_tbPNSt15iterator_traitsISE_E10value_typeEPNSK_ISF_E10value_typeEPSG_NS1_7vsmem_tEENKUlT_SE_SF_SG_E_clIS8_S8_S9_S9_EESD_ST_SE_SF_SG_EUlST_E0_NS1_11comp_targetILNS1_3genE5ELNS1_11target_archE942ELNS1_3gpuE9ELNS1_3repE0EEENS1_38merge_mergepath_config_static_selectorELNS0_4arch9wavefront6targetE0EEEvSF_,@function
_ZN7rocprim17ROCPRIM_400000_NS6detail17trampoline_kernelINS0_14default_configENS1_38merge_sort_block_merge_config_selectorIbNS0_10empty_typeEEEZZNS1_27merge_sort_block_merge_implIS3_PbPS5_jNS1_19radix_merge_compareILb0ELb0EbNS0_19identity_decomposerEEEEE10hipError_tT0_T1_T2_jT3_P12ihipStream_tbPNSt15iterator_traitsISE_E10value_typeEPNSK_ISF_E10value_typeEPSG_NS1_7vsmem_tEENKUlT_SE_SF_SG_E_clIS8_S8_S9_S9_EESD_ST_SE_SF_SG_EUlST_E0_NS1_11comp_targetILNS1_3genE5ELNS1_11target_archE942ELNS1_3gpuE9ELNS1_3repE0EEENS1_38merge_mergepath_config_static_selectorELNS0_4arch9wavefront6targetE0EEEvSF_: ; @_ZN7rocprim17ROCPRIM_400000_NS6detail17trampoline_kernelINS0_14default_configENS1_38merge_sort_block_merge_config_selectorIbNS0_10empty_typeEEEZZNS1_27merge_sort_block_merge_implIS3_PbPS5_jNS1_19radix_merge_compareILb0ELb0EbNS0_19identity_decomposerEEEEE10hipError_tT0_T1_T2_jT3_P12ihipStream_tbPNSt15iterator_traitsISE_E10value_typeEPNSK_ISF_E10value_typeEPSG_NS1_7vsmem_tEENKUlT_SE_SF_SG_E_clIS8_S8_S9_S9_EESD_ST_SE_SF_SG_EUlST_E0_NS1_11comp_targetILNS1_3genE5ELNS1_11target_archE942ELNS1_3gpuE9ELNS1_3repE0EEENS1_38merge_mergepath_config_static_selectorELNS0_4arch9wavefront6targetE0EEEvSF_
; %bb.0:
	.section	.rodata,"a",@progbits
	.p2align	6, 0x0
	.amdhsa_kernel _ZN7rocprim17ROCPRIM_400000_NS6detail17trampoline_kernelINS0_14default_configENS1_38merge_sort_block_merge_config_selectorIbNS0_10empty_typeEEEZZNS1_27merge_sort_block_merge_implIS3_PbPS5_jNS1_19radix_merge_compareILb0ELb0EbNS0_19identity_decomposerEEEEE10hipError_tT0_T1_T2_jT3_P12ihipStream_tbPNSt15iterator_traitsISE_E10value_typeEPNSK_ISF_E10value_typeEPSG_NS1_7vsmem_tEENKUlT_SE_SF_SG_E_clIS8_S8_S9_S9_EESD_ST_SE_SF_SG_EUlST_E0_NS1_11comp_targetILNS1_3genE5ELNS1_11target_archE942ELNS1_3gpuE9ELNS1_3repE0EEENS1_38merge_mergepath_config_static_selectorELNS0_4arch9wavefront6targetE0EEEvSF_
		.amdhsa_group_segment_fixed_size 0
		.amdhsa_private_segment_fixed_size 0
		.amdhsa_kernarg_size 64
		.amdhsa_user_sgpr_count 2
		.amdhsa_user_sgpr_dispatch_ptr 0
		.amdhsa_user_sgpr_queue_ptr 0
		.amdhsa_user_sgpr_kernarg_segment_ptr 1
		.amdhsa_user_sgpr_dispatch_id 0
		.amdhsa_user_sgpr_kernarg_preload_length 0
		.amdhsa_user_sgpr_kernarg_preload_offset 0
		.amdhsa_user_sgpr_private_segment_size 0
		.amdhsa_wavefront_size32 1
		.amdhsa_uses_dynamic_stack 0
		.amdhsa_enable_private_segment 0
		.amdhsa_system_sgpr_workgroup_id_x 1
		.amdhsa_system_sgpr_workgroup_id_y 0
		.amdhsa_system_sgpr_workgroup_id_z 0
		.amdhsa_system_sgpr_workgroup_info 0
		.amdhsa_system_vgpr_workitem_id 0
		.amdhsa_next_free_vgpr 1
		.amdhsa_next_free_sgpr 1
		.amdhsa_named_barrier_count 0
		.amdhsa_reserve_vcc 0
		.amdhsa_float_round_mode_32 0
		.amdhsa_float_round_mode_16_64 0
		.amdhsa_float_denorm_mode_32 3
		.amdhsa_float_denorm_mode_16_64 3
		.amdhsa_fp16_overflow 0
		.amdhsa_memory_ordered 1
		.amdhsa_forward_progress 1
		.amdhsa_inst_pref_size 0
		.amdhsa_round_robin_scheduling 0
		.amdhsa_exception_fp_ieee_invalid_op 0
		.amdhsa_exception_fp_denorm_src 0
		.amdhsa_exception_fp_ieee_div_zero 0
		.amdhsa_exception_fp_ieee_overflow 0
		.amdhsa_exception_fp_ieee_underflow 0
		.amdhsa_exception_fp_ieee_inexact 0
		.amdhsa_exception_int_div_zero 0
	.end_amdhsa_kernel
	.section	.text._ZN7rocprim17ROCPRIM_400000_NS6detail17trampoline_kernelINS0_14default_configENS1_38merge_sort_block_merge_config_selectorIbNS0_10empty_typeEEEZZNS1_27merge_sort_block_merge_implIS3_PbPS5_jNS1_19radix_merge_compareILb0ELb0EbNS0_19identity_decomposerEEEEE10hipError_tT0_T1_T2_jT3_P12ihipStream_tbPNSt15iterator_traitsISE_E10value_typeEPNSK_ISF_E10value_typeEPSG_NS1_7vsmem_tEENKUlT_SE_SF_SG_E_clIS8_S8_S9_S9_EESD_ST_SE_SF_SG_EUlST_E0_NS1_11comp_targetILNS1_3genE5ELNS1_11target_archE942ELNS1_3gpuE9ELNS1_3repE0EEENS1_38merge_mergepath_config_static_selectorELNS0_4arch9wavefront6targetE0EEEvSF_,"axG",@progbits,_ZN7rocprim17ROCPRIM_400000_NS6detail17trampoline_kernelINS0_14default_configENS1_38merge_sort_block_merge_config_selectorIbNS0_10empty_typeEEEZZNS1_27merge_sort_block_merge_implIS3_PbPS5_jNS1_19radix_merge_compareILb0ELb0EbNS0_19identity_decomposerEEEEE10hipError_tT0_T1_T2_jT3_P12ihipStream_tbPNSt15iterator_traitsISE_E10value_typeEPNSK_ISF_E10value_typeEPSG_NS1_7vsmem_tEENKUlT_SE_SF_SG_E_clIS8_S8_S9_S9_EESD_ST_SE_SF_SG_EUlST_E0_NS1_11comp_targetILNS1_3genE5ELNS1_11target_archE942ELNS1_3gpuE9ELNS1_3repE0EEENS1_38merge_mergepath_config_static_selectorELNS0_4arch9wavefront6targetE0EEEvSF_,comdat
.Lfunc_end1796:
	.size	_ZN7rocprim17ROCPRIM_400000_NS6detail17trampoline_kernelINS0_14default_configENS1_38merge_sort_block_merge_config_selectorIbNS0_10empty_typeEEEZZNS1_27merge_sort_block_merge_implIS3_PbPS5_jNS1_19radix_merge_compareILb0ELb0EbNS0_19identity_decomposerEEEEE10hipError_tT0_T1_T2_jT3_P12ihipStream_tbPNSt15iterator_traitsISE_E10value_typeEPNSK_ISF_E10value_typeEPSG_NS1_7vsmem_tEENKUlT_SE_SF_SG_E_clIS8_S8_S9_S9_EESD_ST_SE_SF_SG_EUlST_E0_NS1_11comp_targetILNS1_3genE5ELNS1_11target_archE942ELNS1_3gpuE9ELNS1_3repE0EEENS1_38merge_mergepath_config_static_selectorELNS0_4arch9wavefront6targetE0EEEvSF_, .Lfunc_end1796-_ZN7rocprim17ROCPRIM_400000_NS6detail17trampoline_kernelINS0_14default_configENS1_38merge_sort_block_merge_config_selectorIbNS0_10empty_typeEEEZZNS1_27merge_sort_block_merge_implIS3_PbPS5_jNS1_19radix_merge_compareILb0ELb0EbNS0_19identity_decomposerEEEEE10hipError_tT0_T1_T2_jT3_P12ihipStream_tbPNSt15iterator_traitsISE_E10value_typeEPNSK_ISF_E10value_typeEPSG_NS1_7vsmem_tEENKUlT_SE_SF_SG_E_clIS8_S8_S9_S9_EESD_ST_SE_SF_SG_EUlST_E0_NS1_11comp_targetILNS1_3genE5ELNS1_11target_archE942ELNS1_3gpuE9ELNS1_3repE0EEENS1_38merge_mergepath_config_static_selectorELNS0_4arch9wavefront6targetE0EEEvSF_
                                        ; -- End function
	.set _ZN7rocprim17ROCPRIM_400000_NS6detail17trampoline_kernelINS0_14default_configENS1_38merge_sort_block_merge_config_selectorIbNS0_10empty_typeEEEZZNS1_27merge_sort_block_merge_implIS3_PbPS5_jNS1_19radix_merge_compareILb0ELb0EbNS0_19identity_decomposerEEEEE10hipError_tT0_T1_T2_jT3_P12ihipStream_tbPNSt15iterator_traitsISE_E10value_typeEPNSK_ISF_E10value_typeEPSG_NS1_7vsmem_tEENKUlT_SE_SF_SG_E_clIS8_S8_S9_S9_EESD_ST_SE_SF_SG_EUlST_E0_NS1_11comp_targetILNS1_3genE5ELNS1_11target_archE942ELNS1_3gpuE9ELNS1_3repE0EEENS1_38merge_mergepath_config_static_selectorELNS0_4arch9wavefront6targetE0EEEvSF_.num_vgpr, 0
	.set _ZN7rocprim17ROCPRIM_400000_NS6detail17trampoline_kernelINS0_14default_configENS1_38merge_sort_block_merge_config_selectorIbNS0_10empty_typeEEEZZNS1_27merge_sort_block_merge_implIS3_PbPS5_jNS1_19radix_merge_compareILb0ELb0EbNS0_19identity_decomposerEEEEE10hipError_tT0_T1_T2_jT3_P12ihipStream_tbPNSt15iterator_traitsISE_E10value_typeEPNSK_ISF_E10value_typeEPSG_NS1_7vsmem_tEENKUlT_SE_SF_SG_E_clIS8_S8_S9_S9_EESD_ST_SE_SF_SG_EUlST_E0_NS1_11comp_targetILNS1_3genE5ELNS1_11target_archE942ELNS1_3gpuE9ELNS1_3repE0EEENS1_38merge_mergepath_config_static_selectorELNS0_4arch9wavefront6targetE0EEEvSF_.num_agpr, 0
	.set _ZN7rocprim17ROCPRIM_400000_NS6detail17trampoline_kernelINS0_14default_configENS1_38merge_sort_block_merge_config_selectorIbNS0_10empty_typeEEEZZNS1_27merge_sort_block_merge_implIS3_PbPS5_jNS1_19radix_merge_compareILb0ELb0EbNS0_19identity_decomposerEEEEE10hipError_tT0_T1_T2_jT3_P12ihipStream_tbPNSt15iterator_traitsISE_E10value_typeEPNSK_ISF_E10value_typeEPSG_NS1_7vsmem_tEENKUlT_SE_SF_SG_E_clIS8_S8_S9_S9_EESD_ST_SE_SF_SG_EUlST_E0_NS1_11comp_targetILNS1_3genE5ELNS1_11target_archE942ELNS1_3gpuE9ELNS1_3repE0EEENS1_38merge_mergepath_config_static_selectorELNS0_4arch9wavefront6targetE0EEEvSF_.numbered_sgpr, 0
	.set _ZN7rocprim17ROCPRIM_400000_NS6detail17trampoline_kernelINS0_14default_configENS1_38merge_sort_block_merge_config_selectorIbNS0_10empty_typeEEEZZNS1_27merge_sort_block_merge_implIS3_PbPS5_jNS1_19radix_merge_compareILb0ELb0EbNS0_19identity_decomposerEEEEE10hipError_tT0_T1_T2_jT3_P12ihipStream_tbPNSt15iterator_traitsISE_E10value_typeEPNSK_ISF_E10value_typeEPSG_NS1_7vsmem_tEENKUlT_SE_SF_SG_E_clIS8_S8_S9_S9_EESD_ST_SE_SF_SG_EUlST_E0_NS1_11comp_targetILNS1_3genE5ELNS1_11target_archE942ELNS1_3gpuE9ELNS1_3repE0EEENS1_38merge_mergepath_config_static_selectorELNS0_4arch9wavefront6targetE0EEEvSF_.num_named_barrier, 0
	.set _ZN7rocprim17ROCPRIM_400000_NS6detail17trampoline_kernelINS0_14default_configENS1_38merge_sort_block_merge_config_selectorIbNS0_10empty_typeEEEZZNS1_27merge_sort_block_merge_implIS3_PbPS5_jNS1_19radix_merge_compareILb0ELb0EbNS0_19identity_decomposerEEEEE10hipError_tT0_T1_T2_jT3_P12ihipStream_tbPNSt15iterator_traitsISE_E10value_typeEPNSK_ISF_E10value_typeEPSG_NS1_7vsmem_tEENKUlT_SE_SF_SG_E_clIS8_S8_S9_S9_EESD_ST_SE_SF_SG_EUlST_E0_NS1_11comp_targetILNS1_3genE5ELNS1_11target_archE942ELNS1_3gpuE9ELNS1_3repE0EEENS1_38merge_mergepath_config_static_selectorELNS0_4arch9wavefront6targetE0EEEvSF_.private_seg_size, 0
	.set _ZN7rocprim17ROCPRIM_400000_NS6detail17trampoline_kernelINS0_14default_configENS1_38merge_sort_block_merge_config_selectorIbNS0_10empty_typeEEEZZNS1_27merge_sort_block_merge_implIS3_PbPS5_jNS1_19radix_merge_compareILb0ELb0EbNS0_19identity_decomposerEEEEE10hipError_tT0_T1_T2_jT3_P12ihipStream_tbPNSt15iterator_traitsISE_E10value_typeEPNSK_ISF_E10value_typeEPSG_NS1_7vsmem_tEENKUlT_SE_SF_SG_E_clIS8_S8_S9_S9_EESD_ST_SE_SF_SG_EUlST_E0_NS1_11comp_targetILNS1_3genE5ELNS1_11target_archE942ELNS1_3gpuE9ELNS1_3repE0EEENS1_38merge_mergepath_config_static_selectorELNS0_4arch9wavefront6targetE0EEEvSF_.uses_vcc, 0
	.set _ZN7rocprim17ROCPRIM_400000_NS6detail17trampoline_kernelINS0_14default_configENS1_38merge_sort_block_merge_config_selectorIbNS0_10empty_typeEEEZZNS1_27merge_sort_block_merge_implIS3_PbPS5_jNS1_19radix_merge_compareILb0ELb0EbNS0_19identity_decomposerEEEEE10hipError_tT0_T1_T2_jT3_P12ihipStream_tbPNSt15iterator_traitsISE_E10value_typeEPNSK_ISF_E10value_typeEPSG_NS1_7vsmem_tEENKUlT_SE_SF_SG_E_clIS8_S8_S9_S9_EESD_ST_SE_SF_SG_EUlST_E0_NS1_11comp_targetILNS1_3genE5ELNS1_11target_archE942ELNS1_3gpuE9ELNS1_3repE0EEENS1_38merge_mergepath_config_static_selectorELNS0_4arch9wavefront6targetE0EEEvSF_.uses_flat_scratch, 0
	.set _ZN7rocprim17ROCPRIM_400000_NS6detail17trampoline_kernelINS0_14default_configENS1_38merge_sort_block_merge_config_selectorIbNS0_10empty_typeEEEZZNS1_27merge_sort_block_merge_implIS3_PbPS5_jNS1_19radix_merge_compareILb0ELb0EbNS0_19identity_decomposerEEEEE10hipError_tT0_T1_T2_jT3_P12ihipStream_tbPNSt15iterator_traitsISE_E10value_typeEPNSK_ISF_E10value_typeEPSG_NS1_7vsmem_tEENKUlT_SE_SF_SG_E_clIS8_S8_S9_S9_EESD_ST_SE_SF_SG_EUlST_E0_NS1_11comp_targetILNS1_3genE5ELNS1_11target_archE942ELNS1_3gpuE9ELNS1_3repE0EEENS1_38merge_mergepath_config_static_selectorELNS0_4arch9wavefront6targetE0EEEvSF_.has_dyn_sized_stack, 0
	.set _ZN7rocprim17ROCPRIM_400000_NS6detail17trampoline_kernelINS0_14default_configENS1_38merge_sort_block_merge_config_selectorIbNS0_10empty_typeEEEZZNS1_27merge_sort_block_merge_implIS3_PbPS5_jNS1_19radix_merge_compareILb0ELb0EbNS0_19identity_decomposerEEEEE10hipError_tT0_T1_T2_jT3_P12ihipStream_tbPNSt15iterator_traitsISE_E10value_typeEPNSK_ISF_E10value_typeEPSG_NS1_7vsmem_tEENKUlT_SE_SF_SG_E_clIS8_S8_S9_S9_EESD_ST_SE_SF_SG_EUlST_E0_NS1_11comp_targetILNS1_3genE5ELNS1_11target_archE942ELNS1_3gpuE9ELNS1_3repE0EEENS1_38merge_mergepath_config_static_selectorELNS0_4arch9wavefront6targetE0EEEvSF_.has_recursion, 0
	.set _ZN7rocprim17ROCPRIM_400000_NS6detail17trampoline_kernelINS0_14default_configENS1_38merge_sort_block_merge_config_selectorIbNS0_10empty_typeEEEZZNS1_27merge_sort_block_merge_implIS3_PbPS5_jNS1_19radix_merge_compareILb0ELb0EbNS0_19identity_decomposerEEEEE10hipError_tT0_T1_T2_jT3_P12ihipStream_tbPNSt15iterator_traitsISE_E10value_typeEPNSK_ISF_E10value_typeEPSG_NS1_7vsmem_tEENKUlT_SE_SF_SG_E_clIS8_S8_S9_S9_EESD_ST_SE_SF_SG_EUlST_E0_NS1_11comp_targetILNS1_3genE5ELNS1_11target_archE942ELNS1_3gpuE9ELNS1_3repE0EEENS1_38merge_mergepath_config_static_selectorELNS0_4arch9wavefront6targetE0EEEvSF_.has_indirect_call, 0
	.section	.AMDGPU.csdata,"",@progbits
; Kernel info:
; codeLenInByte = 0
; TotalNumSgprs: 0
; NumVgprs: 0
; ScratchSize: 0
; MemoryBound: 0
; FloatMode: 240
; IeeeMode: 1
; LDSByteSize: 0 bytes/workgroup (compile time only)
; SGPRBlocks: 0
; VGPRBlocks: 0
; NumSGPRsForWavesPerEU: 1
; NumVGPRsForWavesPerEU: 1
; NamedBarCnt: 0
; Occupancy: 16
; WaveLimiterHint : 0
; COMPUTE_PGM_RSRC2:SCRATCH_EN: 0
; COMPUTE_PGM_RSRC2:USER_SGPR: 2
; COMPUTE_PGM_RSRC2:TRAP_HANDLER: 0
; COMPUTE_PGM_RSRC2:TGID_X_EN: 1
; COMPUTE_PGM_RSRC2:TGID_Y_EN: 0
; COMPUTE_PGM_RSRC2:TGID_Z_EN: 0
; COMPUTE_PGM_RSRC2:TIDIG_COMP_CNT: 0
	.section	.text._ZN7rocprim17ROCPRIM_400000_NS6detail17trampoline_kernelINS0_14default_configENS1_38merge_sort_block_merge_config_selectorIbNS0_10empty_typeEEEZZNS1_27merge_sort_block_merge_implIS3_PbPS5_jNS1_19radix_merge_compareILb0ELb0EbNS0_19identity_decomposerEEEEE10hipError_tT0_T1_T2_jT3_P12ihipStream_tbPNSt15iterator_traitsISE_E10value_typeEPNSK_ISF_E10value_typeEPSG_NS1_7vsmem_tEENKUlT_SE_SF_SG_E_clIS8_S8_S9_S9_EESD_ST_SE_SF_SG_EUlST_E0_NS1_11comp_targetILNS1_3genE4ELNS1_11target_archE910ELNS1_3gpuE8ELNS1_3repE0EEENS1_38merge_mergepath_config_static_selectorELNS0_4arch9wavefront6targetE0EEEvSF_,"axG",@progbits,_ZN7rocprim17ROCPRIM_400000_NS6detail17trampoline_kernelINS0_14default_configENS1_38merge_sort_block_merge_config_selectorIbNS0_10empty_typeEEEZZNS1_27merge_sort_block_merge_implIS3_PbPS5_jNS1_19radix_merge_compareILb0ELb0EbNS0_19identity_decomposerEEEEE10hipError_tT0_T1_T2_jT3_P12ihipStream_tbPNSt15iterator_traitsISE_E10value_typeEPNSK_ISF_E10value_typeEPSG_NS1_7vsmem_tEENKUlT_SE_SF_SG_E_clIS8_S8_S9_S9_EESD_ST_SE_SF_SG_EUlST_E0_NS1_11comp_targetILNS1_3genE4ELNS1_11target_archE910ELNS1_3gpuE8ELNS1_3repE0EEENS1_38merge_mergepath_config_static_selectorELNS0_4arch9wavefront6targetE0EEEvSF_,comdat
	.protected	_ZN7rocprim17ROCPRIM_400000_NS6detail17trampoline_kernelINS0_14default_configENS1_38merge_sort_block_merge_config_selectorIbNS0_10empty_typeEEEZZNS1_27merge_sort_block_merge_implIS3_PbPS5_jNS1_19radix_merge_compareILb0ELb0EbNS0_19identity_decomposerEEEEE10hipError_tT0_T1_T2_jT3_P12ihipStream_tbPNSt15iterator_traitsISE_E10value_typeEPNSK_ISF_E10value_typeEPSG_NS1_7vsmem_tEENKUlT_SE_SF_SG_E_clIS8_S8_S9_S9_EESD_ST_SE_SF_SG_EUlST_E0_NS1_11comp_targetILNS1_3genE4ELNS1_11target_archE910ELNS1_3gpuE8ELNS1_3repE0EEENS1_38merge_mergepath_config_static_selectorELNS0_4arch9wavefront6targetE0EEEvSF_ ; -- Begin function _ZN7rocprim17ROCPRIM_400000_NS6detail17trampoline_kernelINS0_14default_configENS1_38merge_sort_block_merge_config_selectorIbNS0_10empty_typeEEEZZNS1_27merge_sort_block_merge_implIS3_PbPS5_jNS1_19radix_merge_compareILb0ELb0EbNS0_19identity_decomposerEEEEE10hipError_tT0_T1_T2_jT3_P12ihipStream_tbPNSt15iterator_traitsISE_E10value_typeEPNSK_ISF_E10value_typeEPSG_NS1_7vsmem_tEENKUlT_SE_SF_SG_E_clIS8_S8_S9_S9_EESD_ST_SE_SF_SG_EUlST_E0_NS1_11comp_targetILNS1_3genE4ELNS1_11target_archE910ELNS1_3gpuE8ELNS1_3repE0EEENS1_38merge_mergepath_config_static_selectorELNS0_4arch9wavefront6targetE0EEEvSF_
	.globl	_ZN7rocprim17ROCPRIM_400000_NS6detail17trampoline_kernelINS0_14default_configENS1_38merge_sort_block_merge_config_selectorIbNS0_10empty_typeEEEZZNS1_27merge_sort_block_merge_implIS3_PbPS5_jNS1_19radix_merge_compareILb0ELb0EbNS0_19identity_decomposerEEEEE10hipError_tT0_T1_T2_jT3_P12ihipStream_tbPNSt15iterator_traitsISE_E10value_typeEPNSK_ISF_E10value_typeEPSG_NS1_7vsmem_tEENKUlT_SE_SF_SG_E_clIS8_S8_S9_S9_EESD_ST_SE_SF_SG_EUlST_E0_NS1_11comp_targetILNS1_3genE4ELNS1_11target_archE910ELNS1_3gpuE8ELNS1_3repE0EEENS1_38merge_mergepath_config_static_selectorELNS0_4arch9wavefront6targetE0EEEvSF_
	.p2align	8
	.type	_ZN7rocprim17ROCPRIM_400000_NS6detail17trampoline_kernelINS0_14default_configENS1_38merge_sort_block_merge_config_selectorIbNS0_10empty_typeEEEZZNS1_27merge_sort_block_merge_implIS3_PbPS5_jNS1_19radix_merge_compareILb0ELb0EbNS0_19identity_decomposerEEEEE10hipError_tT0_T1_T2_jT3_P12ihipStream_tbPNSt15iterator_traitsISE_E10value_typeEPNSK_ISF_E10value_typeEPSG_NS1_7vsmem_tEENKUlT_SE_SF_SG_E_clIS8_S8_S9_S9_EESD_ST_SE_SF_SG_EUlST_E0_NS1_11comp_targetILNS1_3genE4ELNS1_11target_archE910ELNS1_3gpuE8ELNS1_3repE0EEENS1_38merge_mergepath_config_static_selectorELNS0_4arch9wavefront6targetE0EEEvSF_,@function
_ZN7rocprim17ROCPRIM_400000_NS6detail17trampoline_kernelINS0_14default_configENS1_38merge_sort_block_merge_config_selectorIbNS0_10empty_typeEEEZZNS1_27merge_sort_block_merge_implIS3_PbPS5_jNS1_19radix_merge_compareILb0ELb0EbNS0_19identity_decomposerEEEEE10hipError_tT0_T1_T2_jT3_P12ihipStream_tbPNSt15iterator_traitsISE_E10value_typeEPNSK_ISF_E10value_typeEPSG_NS1_7vsmem_tEENKUlT_SE_SF_SG_E_clIS8_S8_S9_S9_EESD_ST_SE_SF_SG_EUlST_E0_NS1_11comp_targetILNS1_3genE4ELNS1_11target_archE910ELNS1_3gpuE8ELNS1_3repE0EEENS1_38merge_mergepath_config_static_selectorELNS0_4arch9wavefront6targetE0EEEvSF_: ; @_ZN7rocprim17ROCPRIM_400000_NS6detail17trampoline_kernelINS0_14default_configENS1_38merge_sort_block_merge_config_selectorIbNS0_10empty_typeEEEZZNS1_27merge_sort_block_merge_implIS3_PbPS5_jNS1_19radix_merge_compareILb0ELb0EbNS0_19identity_decomposerEEEEE10hipError_tT0_T1_T2_jT3_P12ihipStream_tbPNSt15iterator_traitsISE_E10value_typeEPNSK_ISF_E10value_typeEPSG_NS1_7vsmem_tEENKUlT_SE_SF_SG_E_clIS8_S8_S9_S9_EESD_ST_SE_SF_SG_EUlST_E0_NS1_11comp_targetILNS1_3genE4ELNS1_11target_archE910ELNS1_3gpuE8ELNS1_3repE0EEENS1_38merge_mergepath_config_static_selectorELNS0_4arch9wavefront6targetE0EEEvSF_
; %bb.0:
	.section	.rodata,"a",@progbits
	.p2align	6, 0x0
	.amdhsa_kernel _ZN7rocprim17ROCPRIM_400000_NS6detail17trampoline_kernelINS0_14default_configENS1_38merge_sort_block_merge_config_selectorIbNS0_10empty_typeEEEZZNS1_27merge_sort_block_merge_implIS3_PbPS5_jNS1_19radix_merge_compareILb0ELb0EbNS0_19identity_decomposerEEEEE10hipError_tT0_T1_T2_jT3_P12ihipStream_tbPNSt15iterator_traitsISE_E10value_typeEPNSK_ISF_E10value_typeEPSG_NS1_7vsmem_tEENKUlT_SE_SF_SG_E_clIS8_S8_S9_S9_EESD_ST_SE_SF_SG_EUlST_E0_NS1_11comp_targetILNS1_3genE4ELNS1_11target_archE910ELNS1_3gpuE8ELNS1_3repE0EEENS1_38merge_mergepath_config_static_selectorELNS0_4arch9wavefront6targetE0EEEvSF_
		.amdhsa_group_segment_fixed_size 0
		.amdhsa_private_segment_fixed_size 0
		.amdhsa_kernarg_size 64
		.amdhsa_user_sgpr_count 2
		.amdhsa_user_sgpr_dispatch_ptr 0
		.amdhsa_user_sgpr_queue_ptr 0
		.amdhsa_user_sgpr_kernarg_segment_ptr 1
		.amdhsa_user_sgpr_dispatch_id 0
		.amdhsa_user_sgpr_kernarg_preload_length 0
		.amdhsa_user_sgpr_kernarg_preload_offset 0
		.amdhsa_user_sgpr_private_segment_size 0
		.amdhsa_wavefront_size32 1
		.amdhsa_uses_dynamic_stack 0
		.amdhsa_enable_private_segment 0
		.amdhsa_system_sgpr_workgroup_id_x 1
		.amdhsa_system_sgpr_workgroup_id_y 0
		.amdhsa_system_sgpr_workgroup_id_z 0
		.amdhsa_system_sgpr_workgroup_info 0
		.amdhsa_system_vgpr_workitem_id 0
		.amdhsa_next_free_vgpr 1
		.amdhsa_next_free_sgpr 1
		.amdhsa_named_barrier_count 0
		.amdhsa_reserve_vcc 0
		.amdhsa_float_round_mode_32 0
		.amdhsa_float_round_mode_16_64 0
		.amdhsa_float_denorm_mode_32 3
		.amdhsa_float_denorm_mode_16_64 3
		.amdhsa_fp16_overflow 0
		.amdhsa_memory_ordered 1
		.amdhsa_forward_progress 1
		.amdhsa_inst_pref_size 0
		.amdhsa_round_robin_scheduling 0
		.amdhsa_exception_fp_ieee_invalid_op 0
		.amdhsa_exception_fp_denorm_src 0
		.amdhsa_exception_fp_ieee_div_zero 0
		.amdhsa_exception_fp_ieee_overflow 0
		.amdhsa_exception_fp_ieee_underflow 0
		.amdhsa_exception_fp_ieee_inexact 0
		.amdhsa_exception_int_div_zero 0
	.end_amdhsa_kernel
	.section	.text._ZN7rocprim17ROCPRIM_400000_NS6detail17trampoline_kernelINS0_14default_configENS1_38merge_sort_block_merge_config_selectorIbNS0_10empty_typeEEEZZNS1_27merge_sort_block_merge_implIS3_PbPS5_jNS1_19radix_merge_compareILb0ELb0EbNS0_19identity_decomposerEEEEE10hipError_tT0_T1_T2_jT3_P12ihipStream_tbPNSt15iterator_traitsISE_E10value_typeEPNSK_ISF_E10value_typeEPSG_NS1_7vsmem_tEENKUlT_SE_SF_SG_E_clIS8_S8_S9_S9_EESD_ST_SE_SF_SG_EUlST_E0_NS1_11comp_targetILNS1_3genE4ELNS1_11target_archE910ELNS1_3gpuE8ELNS1_3repE0EEENS1_38merge_mergepath_config_static_selectorELNS0_4arch9wavefront6targetE0EEEvSF_,"axG",@progbits,_ZN7rocprim17ROCPRIM_400000_NS6detail17trampoline_kernelINS0_14default_configENS1_38merge_sort_block_merge_config_selectorIbNS0_10empty_typeEEEZZNS1_27merge_sort_block_merge_implIS3_PbPS5_jNS1_19radix_merge_compareILb0ELb0EbNS0_19identity_decomposerEEEEE10hipError_tT0_T1_T2_jT3_P12ihipStream_tbPNSt15iterator_traitsISE_E10value_typeEPNSK_ISF_E10value_typeEPSG_NS1_7vsmem_tEENKUlT_SE_SF_SG_E_clIS8_S8_S9_S9_EESD_ST_SE_SF_SG_EUlST_E0_NS1_11comp_targetILNS1_3genE4ELNS1_11target_archE910ELNS1_3gpuE8ELNS1_3repE0EEENS1_38merge_mergepath_config_static_selectorELNS0_4arch9wavefront6targetE0EEEvSF_,comdat
.Lfunc_end1797:
	.size	_ZN7rocprim17ROCPRIM_400000_NS6detail17trampoline_kernelINS0_14default_configENS1_38merge_sort_block_merge_config_selectorIbNS0_10empty_typeEEEZZNS1_27merge_sort_block_merge_implIS3_PbPS5_jNS1_19radix_merge_compareILb0ELb0EbNS0_19identity_decomposerEEEEE10hipError_tT0_T1_T2_jT3_P12ihipStream_tbPNSt15iterator_traitsISE_E10value_typeEPNSK_ISF_E10value_typeEPSG_NS1_7vsmem_tEENKUlT_SE_SF_SG_E_clIS8_S8_S9_S9_EESD_ST_SE_SF_SG_EUlST_E0_NS1_11comp_targetILNS1_3genE4ELNS1_11target_archE910ELNS1_3gpuE8ELNS1_3repE0EEENS1_38merge_mergepath_config_static_selectorELNS0_4arch9wavefront6targetE0EEEvSF_, .Lfunc_end1797-_ZN7rocprim17ROCPRIM_400000_NS6detail17trampoline_kernelINS0_14default_configENS1_38merge_sort_block_merge_config_selectorIbNS0_10empty_typeEEEZZNS1_27merge_sort_block_merge_implIS3_PbPS5_jNS1_19radix_merge_compareILb0ELb0EbNS0_19identity_decomposerEEEEE10hipError_tT0_T1_T2_jT3_P12ihipStream_tbPNSt15iterator_traitsISE_E10value_typeEPNSK_ISF_E10value_typeEPSG_NS1_7vsmem_tEENKUlT_SE_SF_SG_E_clIS8_S8_S9_S9_EESD_ST_SE_SF_SG_EUlST_E0_NS1_11comp_targetILNS1_3genE4ELNS1_11target_archE910ELNS1_3gpuE8ELNS1_3repE0EEENS1_38merge_mergepath_config_static_selectorELNS0_4arch9wavefront6targetE0EEEvSF_
                                        ; -- End function
	.set _ZN7rocprim17ROCPRIM_400000_NS6detail17trampoline_kernelINS0_14default_configENS1_38merge_sort_block_merge_config_selectorIbNS0_10empty_typeEEEZZNS1_27merge_sort_block_merge_implIS3_PbPS5_jNS1_19radix_merge_compareILb0ELb0EbNS0_19identity_decomposerEEEEE10hipError_tT0_T1_T2_jT3_P12ihipStream_tbPNSt15iterator_traitsISE_E10value_typeEPNSK_ISF_E10value_typeEPSG_NS1_7vsmem_tEENKUlT_SE_SF_SG_E_clIS8_S8_S9_S9_EESD_ST_SE_SF_SG_EUlST_E0_NS1_11comp_targetILNS1_3genE4ELNS1_11target_archE910ELNS1_3gpuE8ELNS1_3repE0EEENS1_38merge_mergepath_config_static_selectorELNS0_4arch9wavefront6targetE0EEEvSF_.num_vgpr, 0
	.set _ZN7rocprim17ROCPRIM_400000_NS6detail17trampoline_kernelINS0_14default_configENS1_38merge_sort_block_merge_config_selectorIbNS0_10empty_typeEEEZZNS1_27merge_sort_block_merge_implIS3_PbPS5_jNS1_19radix_merge_compareILb0ELb0EbNS0_19identity_decomposerEEEEE10hipError_tT0_T1_T2_jT3_P12ihipStream_tbPNSt15iterator_traitsISE_E10value_typeEPNSK_ISF_E10value_typeEPSG_NS1_7vsmem_tEENKUlT_SE_SF_SG_E_clIS8_S8_S9_S9_EESD_ST_SE_SF_SG_EUlST_E0_NS1_11comp_targetILNS1_3genE4ELNS1_11target_archE910ELNS1_3gpuE8ELNS1_3repE0EEENS1_38merge_mergepath_config_static_selectorELNS0_4arch9wavefront6targetE0EEEvSF_.num_agpr, 0
	.set _ZN7rocprim17ROCPRIM_400000_NS6detail17trampoline_kernelINS0_14default_configENS1_38merge_sort_block_merge_config_selectorIbNS0_10empty_typeEEEZZNS1_27merge_sort_block_merge_implIS3_PbPS5_jNS1_19radix_merge_compareILb0ELb0EbNS0_19identity_decomposerEEEEE10hipError_tT0_T1_T2_jT3_P12ihipStream_tbPNSt15iterator_traitsISE_E10value_typeEPNSK_ISF_E10value_typeEPSG_NS1_7vsmem_tEENKUlT_SE_SF_SG_E_clIS8_S8_S9_S9_EESD_ST_SE_SF_SG_EUlST_E0_NS1_11comp_targetILNS1_3genE4ELNS1_11target_archE910ELNS1_3gpuE8ELNS1_3repE0EEENS1_38merge_mergepath_config_static_selectorELNS0_4arch9wavefront6targetE0EEEvSF_.numbered_sgpr, 0
	.set _ZN7rocprim17ROCPRIM_400000_NS6detail17trampoline_kernelINS0_14default_configENS1_38merge_sort_block_merge_config_selectorIbNS0_10empty_typeEEEZZNS1_27merge_sort_block_merge_implIS3_PbPS5_jNS1_19radix_merge_compareILb0ELb0EbNS0_19identity_decomposerEEEEE10hipError_tT0_T1_T2_jT3_P12ihipStream_tbPNSt15iterator_traitsISE_E10value_typeEPNSK_ISF_E10value_typeEPSG_NS1_7vsmem_tEENKUlT_SE_SF_SG_E_clIS8_S8_S9_S9_EESD_ST_SE_SF_SG_EUlST_E0_NS1_11comp_targetILNS1_3genE4ELNS1_11target_archE910ELNS1_3gpuE8ELNS1_3repE0EEENS1_38merge_mergepath_config_static_selectorELNS0_4arch9wavefront6targetE0EEEvSF_.num_named_barrier, 0
	.set _ZN7rocprim17ROCPRIM_400000_NS6detail17trampoline_kernelINS0_14default_configENS1_38merge_sort_block_merge_config_selectorIbNS0_10empty_typeEEEZZNS1_27merge_sort_block_merge_implIS3_PbPS5_jNS1_19radix_merge_compareILb0ELb0EbNS0_19identity_decomposerEEEEE10hipError_tT0_T1_T2_jT3_P12ihipStream_tbPNSt15iterator_traitsISE_E10value_typeEPNSK_ISF_E10value_typeEPSG_NS1_7vsmem_tEENKUlT_SE_SF_SG_E_clIS8_S8_S9_S9_EESD_ST_SE_SF_SG_EUlST_E0_NS1_11comp_targetILNS1_3genE4ELNS1_11target_archE910ELNS1_3gpuE8ELNS1_3repE0EEENS1_38merge_mergepath_config_static_selectorELNS0_4arch9wavefront6targetE0EEEvSF_.private_seg_size, 0
	.set _ZN7rocprim17ROCPRIM_400000_NS6detail17trampoline_kernelINS0_14default_configENS1_38merge_sort_block_merge_config_selectorIbNS0_10empty_typeEEEZZNS1_27merge_sort_block_merge_implIS3_PbPS5_jNS1_19radix_merge_compareILb0ELb0EbNS0_19identity_decomposerEEEEE10hipError_tT0_T1_T2_jT3_P12ihipStream_tbPNSt15iterator_traitsISE_E10value_typeEPNSK_ISF_E10value_typeEPSG_NS1_7vsmem_tEENKUlT_SE_SF_SG_E_clIS8_S8_S9_S9_EESD_ST_SE_SF_SG_EUlST_E0_NS1_11comp_targetILNS1_3genE4ELNS1_11target_archE910ELNS1_3gpuE8ELNS1_3repE0EEENS1_38merge_mergepath_config_static_selectorELNS0_4arch9wavefront6targetE0EEEvSF_.uses_vcc, 0
	.set _ZN7rocprim17ROCPRIM_400000_NS6detail17trampoline_kernelINS0_14default_configENS1_38merge_sort_block_merge_config_selectorIbNS0_10empty_typeEEEZZNS1_27merge_sort_block_merge_implIS3_PbPS5_jNS1_19radix_merge_compareILb0ELb0EbNS0_19identity_decomposerEEEEE10hipError_tT0_T1_T2_jT3_P12ihipStream_tbPNSt15iterator_traitsISE_E10value_typeEPNSK_ISF_E10value_typeEPSG_NS1_7vsmem_tEENKUlT_SE_SF_SG_E_clIS8_S8_S9_S9_EESD_ST_SE_SF_SG_EUlST_E0_NS1_11comp_targetILNS1_3genE4ELNS1_11target_archE910ELNS1_3gpuE8ELNS1_3repE0EEENS1_38merge_mergepath_config_static_selectorELNS0_4arch9wavefront6targetE0EEEvSF_.uses_flat_scratch, 0
	.set _ZN7rocprim17ROCPRIM_400000_NS6detail17trampoline_kernelINS0_14default_configENS1_38merge_sort_block_merge_config_selectorIbNS0_10empty_typeEEEZZNS1_27merge_sort_block_merge_implIS3_PbPS5_jNS1_19radix_merge_compareILb0ELb0EbNS0_19identity_decomposerEEEEE10hipError_tT0_T1_T2_jT3_P12ihipStream_tbPNSt15iterator_traitsISE_E10value_typeEPNSK_ISF_E10value_typeEPSG_NS1_7vsmem_tEENKUlT_SE_SF_SG_E_clIS8_S8_S9_S9_EESD_ST_SE_SF_SG_EUlST_E0_NS1_11comp_targetILNS1_3genE4ELNS1_11target_archE910ELNS1_3gpuE8ELNS1_3repE0EEENS1_38merge_mergepath_config_static_selectorELNS0_4arch9wavefront6targetE0EEEvSF_.has_dyn_sized_stack, 0
	.set _ZN7rocprim17ROCPRIM_400000_NS6detail17trampoline_kernelINS0_14default_configENS1_38merge_sort_block_merge_config_selectorIbNS0_10empty_typeEEEZZNS1_27merge_sort_block_merge_implIS3_PbPS5_jNS1_19radix_merge_compareILb0ELb0EbNS0_19identity_decomposerEEEEE10hipError_tT0_T1_T2_jT3_P12ihipStream_tbPNSt15iterator_traitsISE_E10value_typeEPNSK_ISF_E10value_typeEPSG_NS1_7vsmem_tEENKUlT_SE_SF_SG_E_clIS8_S8_S9_S9_EESD_ST_SE_SF_SG_EUlST_E0_NS1_11comp_targetILNS1_3genE4ELNS1_11target_archE910ELNS1_3gpuE8ELNS1_3repE0EEENS1_38merge_mergepath_config_static_selectorELNS0_4arch9wavefront6targetE0EEEvSF_.has_recursion, 0
	.set _ZN7rocprim17ROCPRIM_400000_NS6detail17trampoline_kernelINS0_14default_configENS1_38merge_sort_block_merge_config_selectorIbNS0_10empty_typeEEEZZNS1_27merge_sort_block_merge_implIS3_PbPS5_jNS1_19radix_merge_compareILb0ELb0EbNS0_19identity_decomposerEEEEE10hipError_tT0_T1_T2_jT3_P12ihipStream_tbPNSt15iterator_traitsISE_E10value_typeEPNSK_ISF_E10value_typeEPSG_NS1_7vsmem_tEENKUlT_SE_SF_SG_E_clIS8_S8_S9_S9_EESD_ST_SE_SF_SG_EUlST_E0_NS1_11comp_targetILNS1_3genE4ELNS1_11target_archE910ELNS1_3gpuE8ELNS1_3repE0EEENS1_38merge_mergepath_config_static_selectorELNS0_4arch9wavefront6targetE0EEEvSF_.has_indirect_call, 0
	.section	.AMDGPU.csdata,"",@progbits
; Kernel info:
; codeLenInByte = 0
; TotalNumSgprs: 0
; NumVgprs: 0
; ScratchSize: 0
; MemoryBound: 0
; FloatMode: 240
; IeeeMode: 1
; LDSByteSize: 0 bytes/workgroup (compile time only)
; SGPRBlocks: 0
; VGPRBlocks: 0
; NumSGPRsForWavesPerEU: 1
; NumVGPRsForWavesPerEU: 1
; NamedBarCnt: 0
; Occupancy: 16
; WaveLimiterHint : 0
; COMPUTE_PGM_RSRC2:SCRATCH_EN: 0
; COMPUTE_PGM_RSRC2:USER_SGPR: 2
; COMPUTE_PGM_RSRC2:TRAP_HANDLER: 0
; COMPUTE_PGM_RSRC2:TGID_X_EN: 1
; COMPUTE_PGM_RSRC2:TGID_Y_EN: 0
; COMPUTE_PGM_RSRC2:TGID_Z_EN: 0
; COMPUTE_PGM_RSRC2:TIDIG_COMP_CNT: 0
	.section	.text._ZN7rocprim17ROCPRIM_400000_NS6detail17trampoline_kernelINS0_14default_configENS1_38merge_sort_block_merge_config_selectorIbNS0_10empty_typeEEEZZNS1_27merge_sort_block_merge_implIS3_PbPS5_jNS1_19radix_merge_compareILb0ELb0EbNS0_19identity_decomposerEEEEE10hipError_tT0_T1_T2_jT3_P12ihipStream_tbPNSt15iterator_traitsISE_E10value_typeEPNSK_ISF_E10value_typeEPSG_NS1_7vsmem_tEENKUlT_SE_SF_SG_E_clIS8_S8_S9_S9_EESD_ST_SE_SF_SG_EUlST_E0_NS1_11comp_targetILNS1_3genE3ELNS1_11target_archE908ELNS1_3gpuE7ELNS1_3repE0EEENS1_38merge_mergepath_config_static_selectorELNS0_4arch9wavefront6targetE0EEEvSF_,"axG",@progbits,_ZN7rocprim17ROCPRIM_400000_NS6detail17trampoline_kernelINS0_14default_configENS1_38merge_sort_block_merge_config_selectorIbNS0_10empty_typeEEEZZNS1_27merge_sort_block_merge_implIS3_PbPS5_jNS1_19radix_merge_compareILb0ELb0EbNS0_19identity_decomposerEEEEE10hipError_tT0_T1_T2_jT3_P12ihipStream_tbPNSt15iterator_traitsISE_E10value_typeEPNSK_ISF_E10value_typeEPSG_NS1_7vsmem_tEENKUlT_SE_SF_SG_E_clIS8_S8_S9_S9_EESD_ST_SE_SF_SG_EUlST_E0_NS1_11comp_targetILNS1_3genE3ELNS1_11target_archE908ELNS1_3gpuE7ELNS1_3repE0EEENS1_38merge_mergepath_config_static_selectorELNS0_4arch9wavefront6targetE0EEEvSF_,comdat
	.protected	_ZN7rocprim17ROCPRIM_400000_NS6detail17trampoline_kernelINS0_14default_configENS1_38merge_sort_block_merge_config_selectorIbNS0_10empty_typeEEEZZNS1_27merge_sort_block_merge_implIS3_PbPS5_jNS1_19radix_merge_compareILb0ELb0EbNS0_19identity_decomposerEEEEE10hipError_tT0_T1_T2_jT3_P12ihipStream_tbPNSt15iterator_traitsISE_E10value_typeEPNSK_ISF_E10value_typeEPSG_NS1_7vsmem_tEENKUlT_SE_SF_SG_E_clIS8_S8_S9_S9_EESD_ST_SE_SF_SG_EUlST_E0_NS1_11comp_targetILNS1_3genE3ELNS1_11target_archE908ELNS1_3gpuE7ELNS1_3repE0EEENS1_38merge_mergepath_config_static_selectorELNS0_4arch9wavefront6targetE0EEEvSF_ ; -- Begin function _ZN7rocprim17ROCPRIM_400000_NS6detail17trampoline_kernelINS0_14default_configENS1_38merge_sort_block_merge_config_selectorIbNS0_10empty_typeEEEZZNS1_27merge_sort_block_merge_implIS3_PbPS5_jNS1_19radix_merge_compareILb0ELb0EbNS0_19identity_decomposerEEEEE10hipError_tT0_T1_T2_jT3_P12ihipStream_tbPNSt15iterator_traitsISE_E10value_typeEPNSK_ISF_E10value_typeEPSG_NS1_7vsmem_tEENKUlT_SE_SF_SG_E_clIS8_S8_S9_S9_EESD_ST_SE_SF_SG_EUlST_E0_NS1_11comp_targetILNS1_3genE3ELNS1_11target_archE908ELNS1_3gpuE7ELNS1_3repE0EEENS1_38merge_mergepath_config_static_selectorELNS0_4arch9wavefront6targetE0EEEvSF_
	.globl	_ZN7rocprim17ROCPRIM_400000_NS6detail17trampoline_kernelINS0_14default_configENS1_38merge_sort_block_merge_config_selectorIbNS0_10empty_typeEEEZZNS1_27merge_sort_block_merge_implIS3_PbPS5_jNS1_19radix_merge_compareILb0ELb0EbNS0_19identity_decomposerEEEEE10hipError_tT0_T1_T2_jT3_P12ihipStream_tbPNSt15iterator_traitsISE_E10value_typeEPNSK_ISF_E10value_typeEPSG_NS1_7vsmem_tEENKUlT_SE_SF_SG_E_clIS8_S8_S9_S9_EESD_ST_SE_SF_SG_EUlST_E0_NS1_11comp_targetILNS1_3genE3ELNS1_11target_archE908ELNS1_3gpuE7ELNS1_3repE0EEENS1_38merge_mergepath_config_static_selectorELNS0_4arch9wavefront6targetE0EEEvSF_
	.p2align	8
	.type	_ZN7rocprim17ROCPRIM_400000_NS6detail17trampoline_kernelINS0_14default_configENS1_38merge_sort_block_merge_config_selectorIbNS0_10empty_typeEEEZZNS1_27merge_sort_block_merge_implIS3_PbPS5_jNS1_19radix_merge_compareILb0ELb0EbNS0_19identity_decomposerEEEEE10hipError_tT0_T1_T2_jT3_P12ihipStream_tbPNSt15iterator_traitsISE_E10value_typeEPNSK_ISF_E10value_typeEPSG_NS1_7vsmem_tEENKUlT_SE_SF_SG_E_clIS8_S8_S9_S9_EESD_ST_SE_SF_SG_EUlST_E0_NS1_11comp_targetILNS1_3genE3ELNS1_11target_archE908ELNS1_3gpuE7ELNS1_3repE0EEENS1_38merge_mergepath_config_static_selectorELNS0_4arch9wavefront6targetE0EEEvSF_,@function
_ZN7rocprim17ROCPRIM_400000_NS6detail17trampoline_kernelINS0_14default_configENS1_38merge_sort_block_merge_config_selectorIbNS0_10empty_typeEEEZZNS1_27merge_sort_block_merge_implIS3_PbPS5_jNS1_19radix_merge_compareILb0ELb0EbNS0_19identity_decomposerEEEEE10hipError_tT0_T1_T2_jT3_P12ihipStream_tbPNSt15iterator_traitsISE_E10value_typeEPNSK_ISF_E10value_typeEPSG_NS1_7vsmem_tEENKUlT_SE_SF_SG_E_clIS8_S8_S9_S9_EESD_ST_SE_SF_SG_EUlST_E0_NS1_11comp_targetILNS1_3genE3ELNS1_11target_archE908ELNS1_3gpuE7ELNS1_3repE0EEENS1_38merge_mergepath_config_static_selectorELNS0_4arch9wavefront6targetE0EEEvSF_: ; @_ZN7rocprim17ROCPRIM_400000_NS6detail17trampoline_kernelINS0_14default_configENS1_38merge_sort_block_merge_config_selectorIbNS0_10empty_typeEEEZZNS1_27merge_sort_block_merge_implIS3_PbPS5_jNS1_19radix_merge_compareILb0ELb0EbNS0_19identity_decomposerEEEEE10hipError_tT0_T1_T2_jT3_P12ihipStream_tbPNSt15iterator_traitsISE_E10value_typeEPNSK_ISF_E10value_typeEPSG_NS1_7vsmem_tEENKUlT_SE_SF_SG_E_clIS8_S8_S9_S9_EESD_ST_SE_SF_SG_EUlST_E0_NS1_11comp_targetILNS1_3genE3ELNS1_11target_archE908ELNS1_3gpuE7ELNS1_3repE0EEENS1_38merge_mergepath_config_static_selectorELNS0_4arch9wavefront6targetE0EEEvSF_
; %bb.0:
	.section	.rodata,"a",@progbits
	.p2align	6, 0x0
	.amdhsa_kernel _ZN7rocprim17ROCPRIM_400000_NS6detail17trampoline_kernelINS0_14default_configENS1_38merge_sort_block_merge_config_selectorIbNS0_10empty_typeEEEZZNS1_27merge_sort_block_merge_implIS3_PbPS5_jNS1_19radix_merge_compareILb0ELb0EbNS0_19identity_decomposerEEEEE10hipError_tT0_T1_T2_jT3_P12ihipStream_tbPNSt15iterator_traitsISE_E10value_typeEPNSK_ISF_E10value_typeEPSG_NS1_7vsmem_tEENKUlT_SE_SF_SG_E_clIS8_S8_S9_S9_EESD_ST_SE_SF_SG_EUlST_E0_NS1_11comp_targetILNS1_3genE3ELNS1_11target_archE908ELNS1_3gpuE7ELNS1_3repE0EEENS1_38merge_mergepath_config_static_selectorELNS0_4arch9wavefront6targetE0EEEvSF_
		.amdhsa_group_segment_fixed_size 0
		.amdhsa_private_segment_fixed_size 0
		.amdhsa_kernarg_size 64
		.amdhsa_user_sgpr_count 2
		.amdhsa_user_sgpr_dispatch_ptr 0
		.amdhsa_user_sgpr_queue_ptr 0
		.amdhsa_user_sgpr_kernarg_segment_ptr 1
		.amdhsa_user_sgpr_dispatch_id 0
		.amdhsa_user_sgpr_kernarg_preload_length 0
		.amdhsa_user_sgpr_kernarg_preload_offset 0
		.amdhsa_user_sgpr_private_segment_size 0
		.amdhsa_wavefront_size32 1
		.amdhsa_uses_dynamic_stack 0
		.amdhsa_enable_private_segment 0
		.amdhsa_system_sgpr_workgroup_id_x 1
		.amdhsa_system_sgpr_workgroup_id_y 0
		.amdhsa_system_sgpr_workgroup_id_z 0
		.amdhsa_system_sgpr_workgroup_info 0
		.amdhsa_system_vgpr_workitem_id 0
		.amdhsa_next_free_vgpr 1
		.amdhsa_next_free_sgpr 1
		.amdhsa_named_barrier_count 0
		.amdhsa_reserve_vcc 0
		.amdhsa_float_round_mode_32 0
		.amdhsa_float_round_mode_16_64 0
		.amdhsa_float_denorm_mode_32 3
		.amdhsa_float_denorm_mode_16_64 3
		.amdhsa_fp16_overflow 0
		.amdhsa_memory_ordered 1
		.amdhsa_forward_progress 1
		.amdhsa_inst_pref_size 0
		.amdhsa_round_robin_scheduling 0
		.amdhsa_exception_fp_ieee_invalid_op 0
		.amdhsa_exception_fp_denorm_src 0
		.amdhsa_exception_fp_ieee_div_zero 0
		.amdhsa_exception_fp_ieee_overflow 0
		.amdhsa_exception_fp_ieee_underflow 0
		.amdhsa_exception_fp_ieee_inexact 0
		.amdhsa_exception_int_div_zero 0
	.end_amdhsa_kernel
	.section	.text._ZN7rocprim17ROCPRIM_400000_NS6detail17trampoline_kernelINS0_14default_configENS1_38merge_sort_block_merge_config_selectorIbNS0_10empty_typeEEEZZNS1_27merge_sort_block_merge_implIS3_PbPS5_jNS1_19radix_merge_compareILb0ELb0EbNS0_19identity_decomposerEEEEE10hipError_tT0_T1_T2_jT3_P12ihipStream_tbPNSt15iterator_traitsISE_E10value_typeEPNSK_ISF_E10value_typeEPSG_NS1_7vsmem_tEENKUlT_SE_SF_SG_E_clIS8_S8_S9_S9_EESD_ST_SE_SF_SG_EUlST_E0_NS1_11comp_targetILNS1_3genE3ELNS1_11target_archE908ELNS1_3gpuE7ELNS1_3repE0EEENS1_38merge_mergepath_config_static_selectorELNS0_4arch9wavefront6targetE0EEEvSF_,"axG",@progbits,_ZN7rocprim17ROCPRIM_400000_NS6detail17trampoline_kernelINS0_14default_configENS1_38merge_sort_block_merge_config_selectorIbNS0_10empty_typeEEEZZNS1_27merge_sort_block_merge_implIS3_PbPS5_jNS1_19radix_merge_compareILb0ELb0EbNS0_19identity_decomposerEEEEE10hipError_tT0_T1_T2_jT3_P12ihipStream_tbPNSt15iterator_traitsISE_E10value_typeEPNSK_ISF_E10value_typeEPSG_NS1_7vsmem_tEENKUlT_SE_SF_SG_E_clIS8_S8_S9_S9_EESD_ST_SE_SF_SG_EUlST_E0_NS1_11comp_targetILNS1_3genE3ELNS1_11target_archE908ELNS1_3gpuE7ELNS1_3repE0EEENS1_38merge_mergepath_config_static_selectorELNS0_4arch9wavefront6targetE0EEEvSF_,comdat
.Lfunc_end1798:
	.size	_ZN7rocprim17ROCPRIM_400000_NS6detail17trampoline_kernelINS0_14default_configENS1_38merge_sort_block_merge_config_selectorIbNS0_10empty_typeEEEZZNS1_27merge_sort_block_merge_implIS3_PbPS5_jNS1_19radix_merge_compareILb0ELb0EbNS0_19identity_decomposerEEEEE10hipError_tT0_T1_T2_jT3_P12ihipStream_tbPNSt15iterator_traitsISE_E10value_typeEPNSK_ISF_E10value_typeEPSG_NS1_7vsmem_tEENKUlT_SE_SF_SG_E_clIS8_S8_S9_S9_EESD_ST_SE_SF_SG_EUlST_E0_NS1_11comp_targetILNS1_3genE3ELNS1_11target_archE908ELNS1_3gpuE7ELNS1_3repE0EEENS1_38merge_mergepath_config_static_selectorELNS0_4arch9wavefront6targetE0EEEvSF_, .Lfunc_end1798-_ZN7rocprim17ROCPRIM_400000_NS6detail17trampoline_kernelINS0_14default_configENS1_38merge_sort_block_merge_config_selectorIbNS0_10empty_typeEEEZZNS1_27merge_sort_block_merge_implIS3_PbPS5_jNS1_19radix_merge_compareILb0ELb0EbNS0_19identity_decomposerEEEEE10hipError_tT0_T1_T2_jT3_P12ihipStream_tbPNSt15iterator_traitsISE_E10value_typeEPNSK_ISF_E10value_typeEPSG_NS1_7vsmem_tEENKUlT_SE_SF_SG_E_clIS8_S8_S9_S9_EESD_ST_SE_SF_SG_EUlST_E0_NS1_11comp_targetILNS1_3genE3ELNS1_11target_archE908ELNS1_3gpuE7ELNS1_3repE0EEENS1_38merge_mergepath_config_static_selectorELNS0_4arch9wavefront6targetE0EEEvSF_
                                        ; -- End function
	.set _ZN7rocprim17ROCPRIM_400000_NS6detail17trampoline_kernelINS0_14default_configENS1_38merge_sort_block_merge_config_selectorIbNS0_10empty_typeEEEZZNS1_27merge_sort_block_merge_implIS3_PbPS5_jNS1_19radix_merge_compareILb0ELb0EbNS0_19identity_decomposerEEEEE10hipError_tT0_T1_T2_jT3_P12ihipStream_tbPNSt15iterator_traitsISE_E10value_typeEPNSK_ISF_E10value_typeEPSG_NS1_7vsmem_tEENKUlT_SE_SF_SG_E_clIS8_S8_S9_S9_EESD_ST_SE_SF_SG_EUlST_E0_NS1_11comp_targetILNS1_3genE3ELNS1_11target_archE908ELNS1_3gpuE7ELNS1_3repE0EEENS1_38merge_mergepath_config_static_selectorELNS0_4arch9wavefront6targetE0EEEvSF_.num_vgpr, 0
	.set _ZN7rocprim17ROCPRIM_400000_NS6detail17trampoline_kernelINS0_14default_configENS1_38merge_sort_block_merge_config_selectorIbNS0_10empty_typeEEEZZNS1_27merge_sort_block_merge_implIS3_PbPS5_jNS1_19radix_merge_compareILb0ELb0EbNS0_19identity_decomposerEEEEE10hipError_tT0_T1_T2_jT3_P12ihipStream_tbPNSt15iterator_traitsISE_E10value_typeEPNSK_ISF_E10value_typeEPSG_NS1_7vsmem_tEENKUlT_SE_SF_SG_E_clIS8_S8_S9_S9_EESD_ST_SE_SF_SG_EUlST_E0_NS1_11comp_targetILNS1_3genE3ELNS1_11target_archE908ELNS1_3gpuE7ELNS1_3repE0EEENS1_38merge_mergepath_config_static_selectorELNS0_4arch9wavefront6targetE0EEEvSF_.num_agpr, 0
	.set _ZN7rocprim17ROCPRIM_400000_NS6detail17trampoline_kernelINS0_14default_configENS1_38merge_sort_block_merge_config_selectorIbNS0_10empty_typeEEEZZNS1_27merge_sort_block_merge_implIS3_PbPS5_jNS1_19radix_merge_compareILb0ELb0EbNS0_19identity_decomposerEEEEE10hipError_tT0_T1_T2_jT3_P12ihipStream_tbPNSt15iterator_traitsISE_E10value_typeEPNSK_ISF_E10value_typeEPSG_NS1_7vsmem_tEENKUlT_SE_SF_SG_E_clIS8_S8_S9_S9_EESD_ST_SE_SF_SG_EUlST_E0_NS1_11comp_targetILNS1_3genE3ELNS1_11target_archE908ELNS1_3gpuE7ELNS1_3repE0EEENS1_38merge_mergepath_config_static_selectorELNS0_4arch9wavefront6targetE0EEEvSF_.numbered_sgpr, 0
	.set _ZN7rocprim17ROCPRIM_400000_NS6detail17trampoline_kernelINS0_14default_configENS1_38merge_sort_block_merge_config_selectorIbNS0_10empty_typeEEEZZNS1_27merge_sort_block_merge_implIS3_PbPS5_jNS1_19radix_merge_compareILb0ELb0EbNS0_19identity_decomposerEEEEE10hipError_tT0_T1_T2_jT3_P12ihipStream_tbPNSt15iterator_traitsISE_E10value_typeEPNSK_ISF_E10value_typeEPSG_NS1_7vsmem_tEENKUlT_SE_SF_SG_E_clIS8_S8_S9_S9_EESD_ST_SE_SF_SG_EUlST_E0_NS1_11comp_targetILNS1_3genE3ELNS1_11target_archE908ELNS1_3gpuE7ELNS1_3repE0EEENS1_38merge_mergepath_config_static_selectorELNS0_4arch9wavefront6targetE0EEEvSF_.num_named_barrier, 0
	.set _ZN7rocprim17ROCPRIM_400000_NS6detail17trampoline_kernelINS0_14default_configENS1_38merge_sort_block_merge_config_selectorIbNS0_10empty_typeEEEZZNS1_27merge_sort_block_merge_implIS3_PbPS5_jNS1_19radix_merge_compareILb0ELb0EbNS0_19identity_decomposerEEEEE10hipError_tT0_T1_T2_jT3_P12ihipStream_tbPNSt15iterator_traitsISE_E10value_typeEPNSK_ISF_E10value_typeEPSG_NS1_7vsmem_tEENKUlT_SE_SF_SG_E_clIS8_S8_S9_S9_EESD_ST_SE_SF_SG_EUlST_E0_NS1_11comp_targetILNS1_3genE3ELNS1_11target_archE908ELNS1_3gpuE7ELNS1_3repE0EEENS1_38merge_mergepath_config_static_selectorELNS0_4arch9wavefront6targetE0EEEvSF_.private_seg_size, 0
	.set _ZN7rocprim17ROCPRIM_400000_NS6detail17trampoline_kernelINS0_14default_configENS1_38merge_sort_block_merge_config_selectorIbNS0_10empty_typeEEEZZNS1_27merge_sort_block_merge_implIS3_PbPS5_jNS1_19radix_merge_compareILb0ELb0EbNS0_19identity_decomposerEEEEE10hipError_tT0_T1_T2_jT3_P12ihipStream_tbPNSt15iterator_traitsISE_E10value_typeEPNSK_ISF_E10value_typeEPSG_NS1_7vsmem_tEENKUlT_SE_SF_SG_E_clIS8_S8_S9_S9_EESD_ST_SE_SF_SG_EUlST_E0_NS1_11comp_targetILNS1_3genE3ELNS1_11target_archE908ELNS1_3gpuE7ELNS1_3repE0EEENS1_38merge_mergepath_config_static_selectorELNS0_4arch9wavefront6targetE0EEEvSF_.uses_vcc, 0
	.set _ZN7rocprim17ROCPRIM_400000_NS6detail17trampoline_kernelINS0_14default_configENS1_38merge_sort_block_merge_config_selectorIbNS0_10empty_typeEEEZZNS1_27merge_sort_block_merge_implIS3_PbPS5_jNS1_19radix_merge_compareILb0ELb0EbNS0_19identity_decomposerEEEEE10hipError_tT0_T1_T2_jT3_P12ihipStream_tbPNSt15iterator_traitsISE_E10value_typeEPNSK_ISF_E10value_typeEPSG_NS1_7vsmem_tEENKUlT_SE_SF_SG_E_clIS8_S8_S9_S9_EESD_ST_SE_SF_SG_EUlST_E0_NS1_11comp_targetILNS1_3genE3ELNS1_11target_archE908ELNS1_3gpuE7ELNS1_3repE0EEENS1_38merge_mergepath_config_static_selectorELNS0_4arch9wavefront6targetE0EEEvSF_.uses_flat_scratch, 0
	.set _ZN7rocprim17ROCPRIM_400000_NS6detail17trampoline_kernelINS0_14default_configENS1_38merge_sort_block_merge_config_selectorIbNS0_10empty_typeEEEZZNS1_27merge_sort_block_merge_implIS3_PbPS5_jNS1_19radix_merge_compareILb0ELb0EbNS0_19identity_decomposerEEEEE10hipError_tT0_T1_T2_jT3_P12ihipStream_tbPNSt15iterator_traitsISE_E10value_typeEPNSK_ISF_E10value_typeEPSG_NS1_7vsmem_tEENKUlT_SE_SF_SG_E_clIS8_S8_S9_S9_EESD_ST_SE_SF_SG_EUlST_E0_NS1_11comp_targetILNS1_3genE3ELNS1_11target_archE908ELNS1_3gpuE7ELNS1_3repE0EEENS1_38merge_mergepath_config_static_selectorELNS0_4arch9wavefront6targetE0EEEvSF_.has_dyn_sized_stack, 0
	.set _ZN7rocprim17ROCPRIM_400000_NS6detail17trampoline_kernelINS0_14default_configENS1_38merge_sort_block_merge_config_selectorIbNS0_10empty_typeEEEZZNS1_27merge_sort_block_merge_implIS3_PbPS5_jNS1_19radix_merge_compareILb0ELb0EbNS0_19identity_decomposerEEEEE10hipError_tT0_T1_T2_jT3_P12ihipStream_tbPNSt15iterator_traitsISE_E10value_typeEPNSK_ISF_E10value_typeEPSG_NS1_7vsmem_tEENKUlT_SE_SF_SG_E_clIS8_S8_S9_S9_EESD_ST_SE_SF_SG_EUlST_E0_NS1_11comp_targetILNS1_3genE3ELNS1_11target_archE908ELNS1_3gpuE7ELNS1_3repE0EEENS1_38merge_mergepath_config_static_selectorELNS0_4arch9wavefront6targetE0EEEvSF_.has_recursion, 0
	.set _ZN7rocprim17ROCPRIM_400000_NS6detail17trampoline_kernelINS0_14default_configENS1_38merge_sort_block_merge_config_selectorIbNS0_10empty_typeEEEZZNS1_27merge_sort_block_merge_implIS3_PbPS5_jNS1_19radix_merge_compareILb0ELb0EbNS0_19identity_decomposerEEEEE10hipError_tT0_T1_T2_jT3_P12ihipStream_tbPNSt15iterator_traitsISE_E10value_typeEPNSK_ISF_E10value_typeEPSG_NS1_7vsmem_tEENKUlT_SE_SF_SG_E_clIS8_S8_S9_S9_EESD_ST_SE_SF_SG_EUlST_E0_NS1_11comp_targetILNS1_3genE3ELNS1_11target_archE908ELNS1_3gpuE7ELNS1_3repE0EEENS1_38merge_mergepath_config_static_selectorELNS0_4arch9wavefront6targetE0EEEvSF_.has_indirect_call, 0
	.section	.AMDGPU.csdata,"",@progbits
; Kernel info:
; codeLenInByte = 0
; TotalNumSgprs: 0
; NumVgprs: 0
; ScratchSize: 0
; MemoryBound: 0
; FloatMode: 240
; IeeeMode: 1
; LDSByteSize: 0 bytes/workgroup (compile time only)
; SGPRBlocks: 0
; VGPRBlocks: 0
; NumSGPRsForWavesPerEU: 1
; NumVGPRsForWavesPerEU: 1
; NamedBarCnt: 0
; Occupancy: 16
; WaveLimiterHint : 0
; COMPUTE_PGM_RSRC2:SCRATCH_EN: 0
; COMPUTE_PGM_RSRC2:USER_SGPR: 2
; COMPUTE_PGM_RSRC2:TRAP_HANDLER: 0
; COMPUTE_PGM_RSRC2:TGID_X_EN: 1
; COMPUTE_PGM_RSRC2:TGID_Y_EN: 0
; COMPUTE_PGM_RSRC2:TGID_Z_EN: 0
; COMPUTE_PGM_RSRC2:TIDIG_COMP_CNT: 0
	.section	.text._ZN7rocprim17ROCPRIM_400000_NS6detail17trampoline_kernelINS0_14default_configENS1_38merge_sort_block_merge_config_selectorIbNS0_10empty_typeEEEZZNS1_27merge_sort_block_merge_implIS3_PbPS5_jNS1_19radix_merge_compareILb0ELb0EbNS0_19identity_decomposerEEEEE10hipError_tT0_T1_T2_jT3_P12ihipStream_tbPNSt15iterator_traitsISE_E10value_typeEPNSK_ISF_E10value_typeEPSG_NS1_7vsmem_tEENKUlT_SE_SF_SG_E_clIS8_S8_S9_S9_EESD_ST_SE_SF_SG_EUlST_E0_NS1_11comp_targetILNS1_3genE2ELNS1_11target_archE906ELNS1_3gpuE6ELNS1_3repE0EEENS1_38merge_mergepath_config_static_selectorELNS0_4arch9wavefront6targetE0EEEvSF_,"axG",@progbits,_ZN7rocprim17ROCPRIM_400000_NS6detail17trampoline_kernelINS0_14default_configENS1_38merge_sort_block_merge_config_selectorIbNS0_10empty_typeEEEZZNS1_27merge_sort_block_merge_implIS3_PbPS5_jNS1_19radix_merge_compareILb0ELb0EbNS0_19identity_decomposerEEEEE10hipError_tT0_T1_T2_jT3_P12ihipStream_tbPNSt15iterator_traitsISE_E10value_typeEPNSK_ISF_E10value_typeEPSG_NS1_7vsmem_tEENKUlT_SE_SF_SG_E_clIS8_S8_S9_S9_EESD_ST_SE_SF_SG_EUlST_E0_NS1_11comp_targetILNS1_3genE2ELNS1_11target_archE906ELNS1_3gpuE6ELNS1_3repE0EEENS1_38merge_mergepath_config_static_selectorELNS0_4arch9wavefront6targetE0EEEvSF_,comdat
	.protected	_ZN7rocprim17ROCPRIM_400000_NS6detail17trampoline_kernelINS0_14default_configENS1_38merge_sort_block_merge_config_selectorIbNS0_10empty_typeEEEZZNS1_27merge_sort_block_merge_implIS3_PbPS5_jNS1_19radix_merge_compareILb0ELb0EbNS0_19identity_decomposerEEEEE10hipError_tT0_T1_T2_jT3_P12ihipStream_tbPNSt15iterator_traitsISE_E10value_typeEPNSK_ISF_E10value_typeEPSG_NS1_7vsmem_tEENKUlT_SE_SF_SG_E_clIS8_S8_S9_S9_EESD_ST_SE_SF_SG_EUlST_E0_NS1_11comp_targetILNS1_3genE2ELNS1_11target_archE906ELNS1_3gpuE6ELNS1_3repE0EEENS1_38merge_mergepath_config_static_selectorELNS0_4arch9wavefront6targetE0EEEvSF_ ; -- Begin function _ZN7rocprim17ROCPRIM_400000_NS6detail17trampoline_kernelINS0_14default_configENS1_38merge_sort_block_merge_config_selectorIbNS0_10empty_typeEEEZZNS1_27merge_sort_block_merge_implIS3_PbPS5_jNS1_19radix_merge_compareILb0ELb0EbNS0_19identity_decomposerEEEEE10hipError_tT0_T1_T2_jT3_P12ihipStream_tbPNSt15iterator_traitsISE_E10value_typeEPNSK_ISF_E10value_typeEPSG_NS1_7vsmem_tEENKUlT_SE_SF_SG_E_clIS8_S8_S9_S9_EESD_ST_SE_SF_SG_EUlST_E0_NS1_11comp_targetILNS1_3genE2ELNS1_11target_archE906ELNS1_3gpuE6ELNS1_3repE0EEENS1_38merge_mergepath_config_static_selectorELNS0_4arch9wavefront6targetE0EEEvSF_
	.globl	_ZN7rocprim17ROCPRIM_400000_NS6detail17trampoline_kernelINS0_14default_configENS1_38merge_sort_block_merge_config_selectorIbNS0_10empty_typeEEEZZNS1_27merge_sort_block_merge_implIS3_PbPS5_jNS1_19radix_merge_compareILb0ELb0EbNS0_19identity_decomposerEEEEE10hipError_tT0_T1_T2_jT3_P12ihipStream_tbPNSt15iterator_traitsISE_E10value_typeEPNSK_ISF_E10value_typeEPSG_NS1_7vsmem_tEENKUlT_SE_SF_SG_E_clIS8_S8_S9_S9_EESD_ST_SE_SF_SG_EUlST_E0_NS1_11comp_targetILNS1_3genE2ELNS1_11target_archE906ELNS1_3gpuE6ELNS1_3repE0EEENS1_38merge_mergepath_config_static_selectorELNS0_4arch9wavefront6targetE0EEEvSF_
	.p2align	8
	.type	_ZN7rocprim17ROCPRIM_400000_NS6detail17trampoline_kernelINS0_14default_configENS1_38merge_sort_block_merge_config_selectorIbNS0_10empty_typeEEEZZNS1_27merge_sort_block_merge_implIS3_PbPS5_jNS1_19radix_merge_compareILb0ELb0EbNS0_19identity_decomposerEEEEE10hipError_tT0_T1_T2_jT3_P12ihipStream_tbPNSt15iterator_traitsISE_E10value_typeEPNSK_ISF_E10value_typeEPSG_NS1_7vsmem_tEENKUlT_SE_SF_SG_E_clIS8_S8_S9_S9_EESD_ST_SE_SF_SG_EUlST_E0_NS1_11comp_targetILNS1_3genE2ELNS1_11target_archE906ELNS1_3gpuE6ELNS1_3repE0EEENS1_38merge_mergepath_config_static_selectorELNS0_4arch9wavefront6targetE0EEEvSF_,@function
_ZN7rocprim17ROCPRIM_400000_NS6detail17trampoline_kernelINS0_14default_configENS1_38merge_sort_block_merge_config_selectorIbNS0_10empty_typeEEEZZNS1_27merge_sort_block_merge_implIS3_PbPS5_jNS1_19radix_merge_compareILb0ELb0EbNS0_19identity_decomposerEEEEE10hipError_tT0_T1_T2_jT3_P12ihipStream_tbPNSt15iterator_traitsISE_E10value_typeEPNSK_ISF_E10value_typeEPSG_NS1_7vsmem_tEENKUlT_SE_SF_SG_E_clIS8_S8_S9_S9_EESD_ST_SE_SF_SG_EUlST_E0_NS1_11comp_targetILNS1_3genE2ELNS1_11target_archE906ELNS1_3gpuE6ELNS1_3repE0EEENS1_38merge_mergepath_config_static_selectorELNS0_4arch9wavefront6targetE0EEEvSF_: ; @_ZN7rocprim17ROCPRIM_400000_NS6detail17trampoline_kernelINS0_14default_configENS1_38merge_sort_block_merge_config_selectorIbNS0_10empty_typeEEEZZNS1_27merge_sort_block_merge_implIS3_PbPS5_jNS1_19radix_merge_compareILb0ELb0EbNS0_19identity_decomposerEEEEE10hipError_tT0_T1_T2_jT3_P12ihipStream_tbPNSt15iterator_traitsISE_E10value_typeEPNSK_ISF_E10value_typeEPSG_NS1_7vsmem_tEENKUlT_SE_SF_SG_E_clIS8_S8_S9_S9_EESD_ST_SE_SF_SG_EUlST_E0_NS1_11comp_targetILNS1_3genE2ELNS1_11target_archE906ELNS1_3gpuE6ELNS1_3repE0EEENS1_38merge_mergepath_config_static_selectorELNS0_4arch9wavefront6targetE0EEEvSF_
; %bb.0:
	.section	.rodata,"a",@progbits
	.p2align	6, 0x0
	.amdhsa_kernel _ZN7rocprim17ROCPRIM_400000_NS6detail17trampoline_kernelINS0_14default_configENS1_38merge_sort_block_merge_config_selectorIbNS0_10empty_typeEEEZZNS1_27merge_sort_block_merge_implIS3_PbPS5_jNS1_19radix_merge_compareILb0ELb0EbNS0_19identity_decomposerEEEEE10hipError_tT0_T1_T2_jT3_P12ihipStream_tbPNSt15iterator_traitsISE_E10value_typeEPNSK_ISF_E10value_typeEPSG_NS1_7vsmem_tEENKUlT_SE_SF_SG_E_clIS8_S8_S9_S9_EESD_ST_SE_SF_SG_EUlST_E0_NS1_11comp_targetILNS1_3genE2ELNS1_11target_archE906ELNS1_3gpuE6ELNS1_3repE0EEENS1_38merge_mergepath_config_static_selectorELNS0_4arch9wavefront6targetE0EEEvSF_
		.amdhsa_group_segment_fixed_size 0
		.amdhsa_private_segment_fixed_size 0
		.amdhsa_kernarg_size 64
		.amdhsa_user_sgpr_count 2
		.amdhsa_user_sgpr_dispatch_ptr 0
		.amdhsa_user_sgpr_queue_ptr 0
		.amdhsa_user_sgpr_kernarg_segment_ptr 1
		.amdhsa_user_sgpr_dispatch_id 0
		.amdhsa_user_sgpr_kernarg_preload_length 0
		.amdhsa_user_sgpr_kernarg_preload_offset 0
		.amdhsa_user_sgpr_private_segment_size 0
		.amdhsa_wavefront_size32 1
		.amdhsa_uses_dynamic_stack 0
		.amdhsa_enable_private_segment 0
		.amdhsa_system_sgpr_workgroup_id_x 1
		.amdhsa_system_sgpr_workgroup_id_y 0
		.amdhsa_system_sgpr_workgroup_id_z 0
		.amdhsa_system_sgpr_workgroup_info 0
		.amdhsa_system_vgpr_workitem_id 0
		.amdhsa_next_free_vgpr 1
		.amdhsa_next_free_sgpr 1
		.amdhsa_named_barrier_count 0
		.amdhsa_reserve_vcc 0
		.amdhsa_float_round_mode_32 0
		.amdhsa_float_round_mode_16_64 0
		.amdhsa_float_denorm_mode_32 3
		.amdhsa_float_denorm_mode_16_64 3
		.amdhsa_fp16_overflow 0
		.amdhsa_memory_ordered 1
		.amdhsa_forward_progress 1
		.amdhsa_inst_pref_size 0
		.amdhsa_round_robin_scheduling 0
		.amdhsa_exception_fp_ieee_invalid_op 0
		.amdhsa_exception_fp_denorm_src 0
		.amdhsa_exception_fp_ieee_div_zero 0
		.amdhsa_exception_fp_ieee_overflow 0
		.amdhsa_exception_fp_ieee_underflow 0
		.amdhsa_exception_fp_ieee_inexact 0
		.amdhsa_exception_int_div_zero 0
	.end_amdhsa_kernel
	.section	.text._ZN7rocprim17ROCPRIM_400000_NS6detail17trampoline_kernelINS0_14default_configENS1_38merge_sort_block_merge_config_selectorIbNS0_10empty_typeEEEZZNS1_27merge_sort_block_merge_implIS3_PbPS5_jNS1_19radix_merge_compareILb0ELb0EbNS0_19identity_decomposerEEEEE10hipError_tT0_T1_T2_jT3_P12ihipStream_tbPNSt15iterator_traitsISE_E10value_typeEPNSK_ISF_E10value_typeEPSG_NS1_7vsmem_tEENKUlT_SE_SF_SG_E_clIS8_S8_S9_S9_EESD_ST_SE_SF_SG_EUlST_E0_NS1_11comp_targetILNS1_3genE2ELNS1_11target_archE906ELNS1_3gpuE6ELNS1_3repE0EEENS1_38merge_mergepath_config_static_selectorELNS0_4arch9wavefront6targetE0EEEvSF_,"axG",@progbits,_ZN7rocprim17ROCPRIM_400000_NS6detail17trampoline_kernelINS0_14default_configENS1_38merge_sort_block_merge_config_selectorIbNS0_10empty_typeEEEZZNS1_27merge_sort_block_merge_implIS3_PbPS5_jNS1_19radix_merge_compareILb0ELb0EbNS0_19identity_decomposerEEEEE10hipError_tT0_T1_T2_jT3_P12ihipStream_tbPNSt15iterator_traitsISE_E10value_typeEPNSK_ISF_E10value_typeEPSG_NS1_7vsmem_tEENKUlT_SE_SF_SG_E_clIS8_S8_S9_S9_EESD_ST_SE_SF_SG_EUlST_E0_NS1_11comp_targetILNS1_3genE2ELNS1_11target_archE906ELNS1_3gpuE6ELNS1_3repE0EEENS1_38merge_mergepath_config_static_selectorELNS0_4arch9wavefront6targetE0EEEvSF_,comdat
.Lfunc_end1799:
	.size	_ZN7rocprim17ROCPRIM_400000_NS6detail17trampoline_kernelINS0_14default_configENS1_38merge_sort_block_merge_config_selectorIbNS0_10empty_typeEEEZZNS1_27merge_sort_block_merge_implIS3_PbPS5_jNS1_19radix_merge_compareILb0ELb0EbNS0_19identity_decomposerEEEEE10hipError_tT0_T1_T2_jT3_P12ihipStream_tbPNSt15iterator_traitsISE_E10value_typeEPNSK_ISF_E10value_typeEPSG_NS1_7vsmem_tEENKUlT_SE_SF_SG_E_clIS8_S8_S9_S9_EESD_ST_SE_SF_SG_EUlST_E0_NS1_11comp_targetILNS1_3genE2ELNS1_11target_archE906ELNS1_3gpuE6ELNS1_3repE0EEENS1_38merge_mergepath_config_static_selectorELNS0_4arch9wavefront6targetE0EEEvSF_, .Lfunc_end1799-_ZN7rocprim17ROCPRIM_400000_NS6detail17trampoline_kernelINS0_14default_configENS1_38merge_sort_block_merge_config_selectorIbNS0_10empty_typeEEEZZNS1_27merge_sort_block_merge_implIS3_PbPS5_jNS1_19radix_merge_compareILb0ELb0EbNS0_19identity_decomposerEEEEE10hipError_tT0_T1_T2_jT3_P12ihipStream_tbPNSt15iterator_traitsISE_E10value_typeEPNSK_ISF_E10value_typeEPSG_NS1_7vsmem_tEENKUlT_SE_SF_SG_E_clIS8_S8_S9_S9_EESD_ST_SE_SF_SG_EUlST_E0_NS1_11comp_targetILNS1_3genE2ELNS1_11target_archE906ELNS1_3gpuE6ELNS1_3repE0EEENS1_38merge_mergepath_config_static_selectorELNS0_4arch9wavefront6targetE0EEEvSF_
                                        ; -- End function
	.set _ZN7rocprim17ROCPRIM_400000_NS6detail17trampoline_kernelINS0_14default_configENS1_38merge_sort_block_merge_config_selectorIbNS0_10empty_typeEEEZZNS1_27merge_sort_block_merge_implIS3_PbPS5_jNS1_19radix_merge_compareILb0ELb0EbNS0_19identity_decomposerEEEEE10hipError_tT0_T1_T2_jT3_P12ihipStream_tbPNSt15iterator_traitsISE_E10value_typeEPNSK_ISF_E10value_typeEPSG_NS1_7vsmem_tEENKUlT_SE_SF_SG_E_clIS8_S8_S9_S9_EESD_ST_SE_SF_SG_EUlST_E0_NS1_11comp_targetILNS1_3genE2ELNS1_11target_archE906ELNS1_3gpuE6ELNS1_3repE0EEENS1_38merge_mergepath_config_static_selectorELNS0_4arch9wavefront6targetE0EEEvSF_.num_vgpr, 0
	.set _ZN7rocprim17ROCPRIM_400000_NS6detail17trampoline_kernelINS0_14default_configENS1_38merge_sort_block_merge_config_selectorIbNS0_10empty_typeEEEZZNS1_27merge_sort_block_merge_implIS3_PbPS5_jNS1_19radix_merge_compareILb0ELb0EbNS0_19identity_decomposerEEEEE10hipError_tT0_T1_T2_jT3_P12ihipStream_tbPNSt15iterator_traitsISE_E10value_typeEPNSK_ISF_E10value_typeEPSG_NS1_7vsmem_tEENKUlT_SE_SF_SG_E_clIS8_S8_S9_S9_EESD_ST_SE_SF_SG_EUlST_E0_NS1_11comp_targetILNS1_3genE2ELNS1_11target_archE906ELNS1_3gpuE6ELNS1_3repE0EEENS1_38merge_mergepath_config_static_selectorELNS0_4arch9wavefront6targetE0EEEvSF_.num_agpr, 0
	.set _ZN7rocprim17ROCPRIM_400000_NS6detail17trampoline_kernelINS0_14default_configENS1_38merge_sort_block_merge_config_selectorIbNS0_10empty_typeEEEZZNS1_27merge_sort_block_merge_implIS3_PbPS5_jNS1_19radix_merge_compareILb0ELb0EbNS0_19identity_decomposerEEEEE10hipError_tT0_T1_T2_jT3_P12ihipStream_tbPNSt15iterator_traitsISE_E10value_typeEPNSK_ISF_E10value_typeEPSG_NS1_7vsmem_tEENKUlT_SE_SF_SG_E_clIS8_S8_S9_S9_EESD_ST_SE_SF_SG_EUlST_E0_NS1_11comp_targetILNS1_3genE2ELNS1_11target_archE906ELNS1_3gpuE6ELNS1_3repE0EEENS1_38merge_mergepath_config_static_selectorELNS0_4arch9wavefront6targetE0EEEvSF_.numbered_sgpr, 0
	.set _ZN7rocprim17ROCPRIM_400000_NS6detail17trampoline_kernelINS0_14default_configENS1_38merge_sort_block_merge_config_selectorIbNS0_10empty_typeEEEZZNS1_27merge_sort_block_merge_implIS3_PbPS5_jNS1_19radix_merge_compareILb0ELb0EbNS0_19identity_decomposerEEEEE10hipError_tT0_T1_T2_jT3_P12ihipStream_tbPNSt15iterator_traitsISE_E10value_typeEPNSK_ISF_E10value_typeEPSG_NS1_7vsmem_tEENKUlT_SE_SF_SG_E_clIS8_S8_S9_S9_EESD_ST_SE_SF_SG_EUlST_E0_NS1_11comp_targetILNS1_3genE2ELNS1_11target_archE906ELNS1_3gpuE6ELNS1_3repE0EEENS1_38merge_mergepath_config_static_selectorELNS0_4arch9wavefront6targetE0EEEvSF_.num_named_barrier, 0
	.set _ZN7rocprim17ROCPRIM_400000_NS6detail17trampoline_kernelINS0_14default_configENS1_38merge_sort_block_merge_config_selectorIbNS0_10empty_typeEEEZZNS1_27merge_sort_block_merge_implIS3_PbPS5_jNS1_19radix_merge_compareILb0ELb0EbNS0_19identity_decomposerEEEEE10hipError_tT0_T1_T2_jT3_P12ihipStream_tbPNSt15iterator_traitsISE_E10value_typeEPNSK_ISF_E10value_typeEPSG_NS1_7vsmem_tEENKUlT_SE_SF_SG_E_clIS8_S8_S9_S9_EESD_ST_SE_SF_SG_EUlST_E0_NS1_11comp_targetILNS1_3genE2ELNS1_11target_archE906ELNS1_3gpuE6ELNS1_3repE0EEENS1_38merge_mergepath_config_static_selectorELNS0_4arch9wavefront6targetE0EEEvSF_.private_seg_size, 0
	.set _ZN7rocprim17ROCPRIM_400000_NS6detail17trampoline_kernelINS0_14default_configENS1_38merge_sort_block_merge_config_selectorIbNS0_10empty_typeEEEZZNS1_27merge_sort_block_merge_implIS3_PbPS5_jNS1_19radix_merge_compareILb0ELb0EbNS0_19identity_decomposerEEEEE10hipError_tT0_T1_T2_jT3_P12ihipStream_tbPNSt15iterator_traitsISE_E10value_typeEPNSK_ISF_E10value_typeEPSG_NS1_7vsmem_tEENKUlT_SE_SF_SG_E_clIS8_S8_S9_S9_EESD_ST_SE_SF_SG_EUlST_E0_NS1_11comp_targetILNS1_3genE2ELNS1_11target_archE906ELNS1_3gpuE6ELNS1_3repE0EEENS1_38merge_mergepath_config_static_selectorELNS0_4arch9wavefront6targetE0EEEvSF_.uses_vcc, 0
	.set _ZN7rocprim17ROCPRIM_400000_NS6detail17trampoline_kernelINS0_14default_configENS1_38merge_sort_block_merge_config_selectorIbNS0_10empty_typeEEEZZNS1_27merge_sort_block_merge_implIS3_PbPS5_jNS1_19radix_merge_compareILb0ELb0EbNS0_19identity_decomposerEEEEE10hipError_tT0_T1_T2_jT3_P12ihipStream_tbPNSt15iterator_traitsISE_E10value_typeEPNSK_ISF_E10value_typeEPSG_NS1_7vsmem_tEENKUlT_SE_SF_SG_E_clIS8_S8_S9_S9_EESD_ST_SE_SF_SG_EUlST_E0_NS1_11comp_targetILNS1_3genE2ELNS1_11target_archE906ELNS1_3gpuE6ELNS1_3repE0EEENS1_38merge_mergepath_config_static_selectorELNS0_4arch9wavefront6targetE0EEEvSF_.uses_flat_scratch, 0
	.set _ZN7rocprim17ROCPRIM_400000_NS6detail17trampoline_kernelINS0_14default_configENS1_38merge_sort_block_merge_config_selectorIbNS0_10empty_typeEEEZZNS1_27merge_sort_block_merge_implIS3_PbPS5_jNS1_19radix_merge_compareILb0ELb0EbNS0_19identity_decomposerEEEEE10hipError_tT0_T1_T2_jT3_P12ihipStream_tbPNSt15iterator_traitsISE_E10value_typeEPNSK_ISF_E10value_typeEPSG_NS1_7vsmem_tEENKUlT_SE_SF_SG_E_clIS8_S8_S9_S9_EESD_ST_SE_SF_SG_EUlST_E0_NS1_11comp_targetILNS1_3genE2ELNS1_11target_archE906ELNS1_3gpuE6ELNS1_3repE0EEENS1_38merge_mergepath_config_static_selectorELNS0_4arch9wavefront6targetE0EEEvSF_.has_dyn_sized_stack, 0
	.set _ZN7rocprim17ROCPRIM_400000_NS6detail17trampoline_kernelINS0_14default_configENS1_38merge_sort_block_merge_config_selectorIbNS0_10empty_typeEEEZZNS1_27merge_sort_block_merge_implIS3_PbPS5_jNS1_19radix_merge_compareILb0ELb0EbNS0_19identity_decomposerEEEEE10hipError_tT0_T1_T2_jT3_P12ihipStream_tbPNSt15iterator_traitsISE_E10value_typeEPNSK_ISF_E10value_typeEPSG_NS1_7vsmem_tEENKUlT_SE_SF_SG_E_clIS8_S8_S9_S9_EESD_ST_SE_SF_SG_EUlST_E0_NS1_11comp_targetILNS1_3genE2ELNS1_11target_archE906ELNS1_3gpuE6ELNS1_3repE0EEENS1_38merge_mergepath_config_static_selectorELNS0_4arch9wavefront6targetE0EEEvSF_.has_recursion, 0
	.set _ZN7rocprim17ROCPRIM_400000_NS6detail17trampoline_kernelINS0_14default_configENS1_38merge_sort_block_merge_config_selectorIbNS0_10empty_typeEEEZZNS1_27merge_sort_block_merge_implIS3_PbPS5_jNS1_19radix_merge_compareILb0ELb0EbNS0_19identity_decomposerEEEEE10hipError_tT0_T1_T2_jT3_P12ihipStream_tbPNSt15iterator_traitsISE_E10value_typeEPNSK_ISF_E10value_typeEPSG_NS1_7vsmem_tEENKUlT_SE_SF_SG_E_clIS8_S8_S9_S9_EESD_ST_SE_SF_SG_EUlST_E0_NS1_11comp_targetILNS1_3genE2ELNS1_11target_archE906ELNS1_3gpuE6ELNS1_3repE0EEENS1_38merge_mergepath_config_static_selectorELNS0_4arch9wavefront6targetE0EEEvSF_.has_indirect_call, 0
	.section	.AMDGPU.csdata,"",@progbits
; Kernel info:
; codeLenInByte = 0
; TotalNumSgprs: 0
; NumVgprs: 0
; ScratchSize: 0
; MemoryBound: 0
; FloatMode: 240
; IeeeMode: 1
; LDSByteSize: 0 bytes/workgroup (compile time only)
; SGPRBlocks: 0
; VGPRBlocks: 0
; NumSGPRsForWavesPerEU: 1
; NumVGPRsForWavesPerEU: 1
; NamedBarCnt: 0
; Occupancy: 16
; WaveLimiterHint : 0
; COMPUTE_PGM_RSRC2:SCRATCH_EN: 0
; COMPUTE_PGM_RSRC2:USER_SGPR: 2
; COMPUTE_PGM_RSRC2:TRAP_HANDLER: 0
; COMPUTE_PGM_RSRC2:TGID_X_EN: 1
; COMPUTE_PGM_RSRC2:TGID_Y_EN: 0
; COMPUTE_PGM_RSRC2:TGID_Z_EN: 0
; COMPUTE_PGM_RSRC2:TIDIG_COMP_CNT: 0
	.section	.text._ZN7rocprim17ROCPRIM_400000_NS6detail17trampoline_kernelINS0_14default_configENS1_38merge_sort_block_merge_config_selectorIbNS0_10empty_typeEEEZZNS1_27merge_sort_block_merge_implIS3_PbPS5_jNS1_19radix_merge_compareILb0ELb0EbNS0_19identity_decomposerEEEEE10hipError_tT0_T1_T2_jT3_P12ihipStream_tbPNSt15iterator_traitsISE_E10value_typeEPNSK_ISF_E10value_typeEPSG_NS1_7vsmem_tEENKUlT_SE_SF_SG_E_clIS8_S8_S9_S9_EESD_ST_SE_SF_SG_EUlST_E0_NS1_11comp_targetILNS1_3genE9ELNS1_11target_archE1100ELNS1_3gpuE3ELNS1_3repE0EEENS1_38merge_mergepath_config_static_selectorELNS0_4arch9wavefront6targetE0EEEvSF_,"axG",@progbits,_ZN7rocprim17ROCPRIM_400000_NS6detail17trampoline_kernelINS0_14default_configENS1_38merge_sort_block_merge_config_selectorIbNS0_10empty_typeEEEZZNS1_27merge_sort_block_merge_implIS3_PbPS5_jNS1_19radix_merge_compareILb0ELb0EbNS0_19identity_decomposerEEEEE10hipError_tT0_T1_T2_jT3_P12ihipStream_tbPNSt15iterator_traitsISE_E10value_typeEPNSK_ISF_E10value_typeEPSG_NS1_7vsmem_tEENKUlT_SE_SF_SG_E_clIS8_S8_S9_S9_EESD_ST_SE_SF_SG_EUlST_E0_NS1_11comp_targetILNS1_3genE9ELNS1_11target_archE1100ELNS1_3gpuE3ELNS1_3repE0EEENS1_38merge_mergepath_config_static_selectorELNS0_4arch9wavefront6targetE0EEEvSF_,comdat
	.protected	_ZN7rocprim17ROCPRIM_400000_NS6detail17trampoline_kernelINS0_14default_configENS1_38merge_sort_block_merge_config_selectorIbNS0_10empty_typeEEEZZNS1_27merge_sort_block_merge_implIS3_PbPS5_jNS1_19radix_merge_compareILb0ELb0EbNS0_19identity_decomposerEEEEE10hipError_tT0_T1_T2_jT3_P12ihipStream_tbPNSt15iterator_traitsISE_E10value_typeEPNSK_ISF_E10value_typeEPSG_NS1_7vsmem_tEENKUlT_SE_SF_SG_E_clIS8_S8_S9_S9_EESD_ST_SE_SF_SG_EUlST_E0_NS1_11comp_targetILNS1_3genE9ELNS1_11target_archE1100ELNS1_3gpuE3ELNS1_3repE0EEENS1_38merge_mergepath_config_static_selectorELNS0_4arch9wavefront6targetE0EEEvSF_ ; -- Begin function _ZN7rocprim17ROCPRIM_400000_NS6detail17trampoline_kernelINS0_14default_configENS1_38merge_sort_block_merge_config_selectorIbNS0_10empty_typeEEEZZNS1_27merge_sort_block_merge_implIS3_PbPS5_jNS1_19radix_merge_compareILb0ELb0EbNS0_19identity_decomposerEEEEE10hipError_tT0_T1_T2_jT3_P12ihipStream_tbPNSt15iterator_traitsISE_E10value_typeEPNSK_ISF_E10value_typeEPSG_NS1_7vsmem_tEENKUlT_SE_SF_SG_E_clIS8_S8_S9_S9_EESD_ST_SE_SF_SG_EUlST_E0_NS1_11comp_targetILNS1_3genE9ELNS1_11target_archE1100ELNS1_3gpuE3ELNS1_3repE0EEENS1_38merge_mergepath_config_static_selectorELNS0_4arch9wavefront6targetE0EEEvSF_
	.globl	_ZN7rocprim17ROCPRIM_400000_NS6detail17trampoline_kernelINS0_14default_configENS1_38merge_sort_block_merge_config_selectorIbNS0_10empty_typeEEEZZNS1_27merge_sort_block_merge_implIS3_PbPS5_jNS1_19radix_merge_compareILb0ELb0EbNS0_19identity_decomposerEEEEE10hipError_tT0_T1_T2_jT3_P12ihipStream_tbPNSt15iterator_traitsISE_E10value_typeEPNSK_ISF_E10value_typeEPSG_NS1_7vsmem_tEENKUlT_SE_SF_SG_E_clIS8_S8_S9_S9_EESD_ST_SE_SF_SG_EUlST_E0_NS1_11comp_targetILNS1_3genE9ELNS1_11target_archE1100ELNS1_3gpuE3ELNS1_3repE0EEENS1_38merge_mergepath_config_static_selectorELNS0_4arch9wavefront6targetE0EEEvSF_
	.p2align	8
	.type	_ZN7rocprim17ROCPRIM_400000_NS6detail17trampoline_kernelINS0_14default_configENS1_38merge_sort_block_merge_config_selectorIbNS0_10empty_typeEEEZZNS1_27merge_sort_block_merge_implIS3_PbPS5_jNS1_19radix_merge_compareILb0ELb0EbNS0_19identity_decomposerEEEEE10hipError_tT0_T1_T2_jT3_P12ihipStream_tbPNSt15iterator_traitsISE_E10value_typeEPNSK_ISF_E10value_typeEPSG_NS1_7vsmem_tEENKUlT_SE_SF_SG_E_clIS8_S8_S9_S9_EESD_ST_SE_SF_SG_EUlST_E0_NS1_11comp_targetILNS1_3genE9ELNS1_11target_archE1100ELNS1_3gpuE3ELNS1_3repE0EEENS1_38merge_mergepath_config_static_selectorELNS0_4arch9wavefront6targetE0EEEvSF_,@function
_ZN7rocprim17ROCPRIM_400000_NS6detail17trampoline_kernelINS0_14default_configENS1_38merge_sort_block_merge_config_selectorIbNS0_10empty_typeEEEZZNS1_27merge_sort_block_merge_implIS3_PbPS5_jNS1_19radix_merge_compareILb0ELb0EbNS0_19identity_decomposerEEEEE10hipError_tT0_T1_T2_jT3_P12ihipStream_tbPNSt15iterator_traitsISE_E10value_typeEPNSK_ISF_E10value_typeEPSG_NS1_7vsmem_tEENKUlT_SE_SF_SG_E_clIS8_S8_S9_S9_EESD_ST_SE_SF_SG_EUlST_E0_NS1_11comp_targetILNS1_3genE9ELNS1_11target_archE1100ELNS1_3gpuE3ELNS1_3repE0EEENS1_38merge_mergepath_config_static_selectorELNS0_4arch9wavefront6targetE0EEEvSF_: ; @_ZN7rocprim17ROCPRIM_400000_NS6detail17trampoline_kernelINS0_14default_configENS1_38merge_sort_block_merge_config_selectorIbNS0_10empty_typeEEEZZNS1_27merge_sort_block_merge_implIS3_PbPS5_jNS1_19radix_merge_compareILb0ELb0EbNS0_19identity_decomposerEEEEE10hipError_tT0_T1_T2_jT3_P12ihipStream_tbPNSt15iterator_traitsISE_E10value_typeEPNSK_ISF_E10value_typeEPSG_NS1_7vsmem_tEENKUlT_SE_SF_SG_E_clIS8_S8_S9_S9_EESD_ST_SE_SF_SG_EUlST_E0_NS1_11comp_targetILNS1_3genE9ELNS1_11target_archE1100ELNS1_3gpuE3ELNS1_3repE0EEENS1_38merge_mergepath_config_static_selectorELNS0_4arch9wavefront6targetE0EEEvSF_
; %bb.0:
	.section	.rodata,"a",@progbits
	.p2align	6, 0x0
	.amdhsa_kernel _ZN7rocprim17ROCPRIM_400000_NS6detail17trampoline_kernelINS0_14default_configENS1_38merge_sort_block_merge_config_selectorIbNS0_10empty_typeEEEZZNS1_27merge_sort_block_merge_implIS3_PbPS5_jNS1_19radix_merge_compareILb0ELb0EbNS0_19identity_decomposerEEEEE10hipError_tT0_T1_T2_jT3_P12ihipStream_tbPNSt15iterator_traitsISE_E10value_typeEPNSK_ISF_E10value_typeEPSG_NS1_7vsmem_tEENKUlT_SE_SF_SG_E_clIS8_S8_S9_S9_EESD_ST_SE_SF_SG_EUlST_E0_NS1_11comp_targetILNS1_3genE9ELNS1_11target_archE1100ELNS1_3gpuE3ELNS1_3repE0EEENS1_38merge_mergepath_config_static_selectorELNS0_4arch9wavefront6targetE0EEEvSF_
		.amdhsa_group_segment_fixed_size 0
		.amdhsa_private_segment_fixed_size 0
		.amdhsa_kernarg_size 64
		.amdhsa_user_sgpr_count 2
		.amdhsa_user_sgpr_dispatch_ptr 0
		.amdhsa_user_sgpr_queue_ptr 0
		.amdhsa_user_sgpr_kernarg_segment_ptr 1
		.amdhsa_user_sgpr_dispatch_id 0
		.amdhsa_user_sgpr_kernarg_preload_length 0
		.amdhsa_user_sgpr_kernarg_preload_offset 0
		.amdhsa_user_sgpr_private_segment_size 0
		.amdhsa_wavefront_size32 1
		.amdhsa_uses_dynamic_stack 0
		.amdhsa_enable_private_segment 0
		.amdhsa_system_sgpr_workgroup_id_x 1
		.amdhsa_system_sgpr_workgroup_id_y 0
		.amdhsa_system_sgpr_workgroup_id_z 0
		.amdhsa_system_sgpr_workgroup_info 0
		.amdhsa_system_vgpr_workitem_id 0
		.amdhsa_next_free_vgpr 1
		.amdhsa_next_free_sgpr 1
		.amdhsa_named_barrier_count 0
		.amdhsa_reserve_vcc 0
		.amdhsa_float_round_mode_32 0
		.amdhsa_float_round_mode_16_64 0
		.amdhsa_float_denorm_mode_32 3
		.amdhsa_float_denorm_mode_16_64 3
		.amdhsa_fp16_overflow 0
		.amdhsa_memory_ordered 1
		.amdhsa_forward_progress 1
		.amdhsa_inst_pref_size 0
		.amdhsa_round_robin_scheduling 0
		.amdhsa_exception_fp_ieee_invalid_op 0
		.amdhsa_exception_fp_denorm_src 0
		.amdhsa_exception_fp_ieee_div_zero 0
		.amdhsa_exception_fp_ieee_overflow 0
		.amdhsa_exception_fp_ieee_underflow 0
		.amdhsa_exception_fp_ieee_inexact 0
		.amdhsa_exception_int_div_zero 0
	.end_amdhsa_kernel
	.section	.text._ZN7rocprim17ROCPRIM_400000_NS6detail17trampoline_kernelINS0_14default_configENS1_38merge_sort_block_merge_config_selectorIbNS0_10empty_typeEEEZZNS1_27merge_sort_block_merge_implIS3_PbPS5_jNS1_19radix_merge_compareILb0ELb0EbNS0_19identity_decomposerEEEEE10hipError_tT0_T1_T2_jT3_P12ihipStream_tbPNSt15iterator_traitsISE_E10value_typeEPNSK_ISF_E10value_typeEPSG_NS1_7vsmem_tEENKUlT_SE_SF_SG_E_clIS8_S8_S9_S9_EESD_ST_SE_SF_SG_EUlST_E0_NS1_11comp_targetILNS1_3genE9ELNS1_11target_archE1100ELNS1_3gpuE3ELNS1_3repE0EEENS1_38merge_mergepath_config_static_selectorELNS0_4arch9wavefront6targetE0EEEvSF_,"axG",@progbits,_ZN7rocprim17ROCPRIM_400000_NS6detail17trampoline_kernelINS0_14default_configENS1_38merge_sort_block_merge_config_selectorIbNS0_10empty_typeEEEZZNS1_27merge_sort_block_merge_implIS3_PbPS5_jNS1_19radix_merge_compareILb0ELb0EbNS0_19identity_decomposerEEEEE10hipError_tT0_T1_T2_jT3_P12ihipStream_tbPNSt15iterator_traitsISE_E10value_typeEPNSK_ISF_E10value_typeEPSG_NS1_7vsmem_tEENKUlT_SE_SF_SG_E_clIS8_S8_S9_S9_EESD_ST_SE_SF_SG_EUlST_E0_NS1_11comp_targetILNS1_3genE9ELNS1_11target_archE1100ELNS1_3gpuE3ELNS1_3repE0EEENS1_38merge_mergepath_config_static_selectorELNS0_4arch9wavefront6targetE0EEEvSF_,comdat
.Lfunc_end1800:
	.size	_ZN7rocprim17ROCPRIM_400000_NS6detail17trampoline_kernelINS0_14default_configENS1_38merge_sort_block_merge_config_selectorIbNS0_10empty_typeEEEZZNS1_27merge_sort_block_merge_implIS3_PbPS5_jNS1_19radix_merge_compareILb0ELb0EbNS0_19identity_decomposerEEEEE10hipError_tT0_T1_T2_jT3_P12ihipStream_tbPNSt15iterator_traitsISE_E10value_typeEPNSK_ISF_E10value_typeEPSG_NS1_7vsmem_tEENKUlT_SE_SF_SG_E_clIS8_S8_S9_S9_EESD_ST_SE_SF_SG_EUlST_E0_NS1_11comp_targetILNS1_3genE9ELNS1_11target_archE1100ELNS1_3gpuE3ELNS1_3repE0EEENS1_38merge_mergepath_config_static_selectorELNS0_4arch9wavefront6targetE0EEEvSF_, .Lfunc_end1800-_ZN7rocprim17ROCPRIM_400000_NS6detail17trampoline_kernelINS0_14default_configENS1_38merge_sort_block_merge_config_selectorIbNS0_10empty_typeEEEZZNS1_27merge_sort_block_merge_implIS3_PbPS5_jNS1_19radix_merge_compareILb0ELb0EbNS0_19identity_decomposerEEEEE10hipError_tT0_T1_T2_jT3_P12ihipStream_tbPNSt15iterator_traitsISE_E10value_typeEPNSK_ISF_E10value_typeEPSG_NS1_7vsmem_tEENKUlT_SE_SF_SG_E_clIS8_S8_S9_S9_EESD_ST_SE_SF_SG_EUlST_E0_NS1_11comp_targetILNS1_3genE9ELNS1_11target_archE1100ELNS1_3gpuE3ELNS1_3repE0EEENS1_38merge_mergepath_config_static_selectorELNS0_4arch9wavefront6targetE0EEEvSF_
                                        ; -- End function
	.set _ZN7rocprim17ROCPRIM_400000_NS6detail17trampoline_kernelINS0_14default_configENS1_38merge_sort_block_merge_config_selectorIbNS0_10empty_typeEEEZZNS1_27merge_sort_block_merge_implIS3_PbPS5_jNS1_19radix_merge_compareILb0ELb0EbNS0_19identity_decomposerEEEEE10hipError_tT0_T1_T2_jT3_P12ihipStream_tbPNSt15iterator_traitsISE_E10value_typeEPNSK_ISF_E10value_typeEPSG_NS1_7vsmem_tEENKUlT_SE_SF_SG_E_clIS8_S8_S9_S9_EESD_ST_SE_SF_SG_EUlST_E0_NS1_11comp_targetILNS1_3genE9ELNS1_11target_archE1100ELNS1_3gpuE3ELNS1_3repE0EEENS1_38merge_mergepath_config_static_selectorELNS0_4arch9wavefront6targetE0EEEvSF_.num_vgpr, 0
	.set _ZN7rocprim17ROCPRIM_400000_NS6detail17trampoline_kernelINS0_14default_configENS1_38merge_sort_block_merge_config_selectorIbNS0_10empty_typeEEEZZNS1_27merge_sort_block_merge_implIS3_PbPS5_jNS1_19radix_merge_compareILb0ELb0EbNS0_19identity_decomposerEEEEE10hipError_tT0_T1_T2_jT3_P12ihipStream_tbPNSt15iterator_traitsISE_E10value_typeEPNSK_ISF_E10value_typeEPSG_NS1_7vsmem_tEENKUlT_SE_SF_SG_E_clIS8_S8_S9_S9_EESD_ST_SE_SF_SG_EUlST_E0_NS1_11comp_targetILNS1_3genE9ELNS1_11target_archE1100ELNS1_3gpuE3ELNS1_3repE0EEENS1_38merge_mergepath_config_static_selectorELNS0_4arch9wavefront6targetE0EEEvSF_.num_agpr, 0
	.set _ZN7rocprim17ROCPRIM_400000_NS6detail17trampoline_kernelINS0_14default_configENS1_38merge_sort_block_merge_config_selectorIbNS0_10empty_typeEEEZZNS1_27merge_sort_block_merge_implIS3_PbPS5_jNS1_19radix_merge_compareILb0ELb0EbNS0_19identity_decomposerEEEEE10hipError_tT0_T1_T2_jT3_P12ihipStream_tbPNSt15iterator_traitsISE_E10value_typeEPNSK_ISF_E10value_typeEPSG_NS1_7vsmem_tEENKUlT_SE_SF_SG_E_clIS8_S8_S9_S9_EESD_ST_SE_SF_SG_EUlST_E0_NS1_11comp_targetILNS1_3genE9ELNS1_11target_archE1100ELNS1_3gpuE3ELNS1_3repE0EEENS1_38merge_mergepath_config_static_selectorELNS0_4arch9wavefront6targetE0EEEvSF_.numbered_sgpr, 0
	.set _ZN7rocprim17ROCPRIM_400000_NS6detail17trampoline_kernelINS0_14default_configENS1_38merge_sort_block_merge_config_selectorIbNS0_10empty_typeEEEZZNS1_27merge_sort_block_merge_implIS3_PbPS5_jNS1_19radix_merge_compareILb0ELb0EbNS0_19identity_decomposerEEEEE10hipError_tT0_T1_T2_jT3_P12ihipStream_tbPNSt15iterator_traitsISE_E10value_typeEPNSK_ISF_E10value_typeEPSG_NS1_7vsmem_tEENKUlT_SE_SF_SG_E_clIS8_S8_S9_S9_EESD_ST_SE_SF_SG_EUlST_E0_NS1_11comp_targetILNS1_3genE9ELNS1_11target_archE1100ELNS1_3gpuE3ELNS1_3repE0EEENS1_38merge_mergepath_config_static_selectorELNS0_4arch9wavefront6targetE0EEEvSF_.num_named_barrier, 0
	.set _ZN7rocprim17ROCPRIM_400000_NS6detail17trampoline_kernelINS0_14default_configENS1_38merge_sort_block_merge_config_selectorIbNS0_10empty_typeEEEZZNS1_27merge_sort_block_merge_implIS3_PbPS5_jNS1_19radix_merge_compareILb0ELb0EbNS0_19identity_decomposerEEEEE10hipError_tT0_T1_T2_jT3_P12ihipStream_tbPNSt15iterator_traitsISE_E10value_typeEPNSK_ISF_E10value_typeEPSG_NS1_7vsmem_tEENKUlT_SE_SF_SG_E_clIS8_S8_S9_S9_EESD_ST_SE_SF_SG_EUlST_E0_NS1_11comp_targetILNS1_3genE9ELNS1_11target_archE1100ELNS1_3gpuE3ELNS1_3repE0EEENS1_38merge_mergepath_config_static_selectorELNS0_4arch9wavefront6targetE0EEEvSF_.private_seg_size, 0
	.set _ZN7rocprim17ROCPRIM_400000_NS6detail17trampoline_kernelINS0_14default_configENS1_38merge_sort_block_merge_config_selectorIbNS0_10empty_typeEEEZZNS1_27merge_sort_block_merge_implIS3_PbPS5_jNS1_19radix_merge_compareILb0ELb0EbNS0_19identity_decomposerEEEEE10hipError_tT0_T1_T2_jT3_P12ihipStream_tbPNSt15iterator_traitsISE_E10value_typeEPNSK_ISF_E10value_typeEPSG_NS1_7vsmem_tEENKUlT_SE_SF_SG_E_clIS8_S8_S9_S9_EESD_ST_SE_SF_SG_EUlST_E0_NS1_11comp_targetILNS1_3genE9ELNS1_11target_archE1100ELNS1_3gpuE3ELNS1_3repE0EEENS1_38merge_mergepath_config_static_selectorELNS0_4arch9wavefront6targetE0EEEvSF_.uses_vcc, 0
	.set _ZN7rocprim17ROCPRIM_400000_NS6detail17trampoline_kernelINS0_14default_configENS1_38merge_sort_block_merge_config_selectorIbNS0_10empty_typeEEEZZNS1_27merge_sort_block_merge_implIS3_PbPS5_jNS1_19radix_merge_compareILb0ELb0EbNS0_19identity_decomposerEEEEE10hipError_tT0_T1_T2_jT3_P12ihipStream_tbPNSt15iterator_traitsISE_E10value_typeEPNSK_ISF_E10value_typeEPSG_NS1_7vsmem_tEENKUlT_SE_SF_SG_E_clIS8_S8_S9_S9_EESD_ST_SE_SF_SG_EUlST_E0_NS1_11comp_targetILNS1_3genE9ELNS1_11target_archE1100ELNS1_3gpuE3ELNS1_3repE0EEENS1_38merge_mergepath_config_static_selectorELNS0_4arch9wavefront6targetE0EEEvSF_.uses_flat_scratch, 0
	.set _ZN7rocprim17ROCPRIM_400000_NS6detail17trampoline_kernelINS0_14default_configENS1_38merge_sort_block_merge_config_selectorIbNS0_10empty_typeEEEZZNS1_27merge_sort_block_merge_implIS3_PbPS5_jNS1_19radix_merge_compareILb0ELb0EbNS0_19identity_decomposerEEEEE10hipError_tT0_T1_T2_jT3_P12ihipStream_tbPNSt15iterator_traitsISE_E10value_typeEPNSK_ISF_E10value_typeEPSG_NS1_7vsmem_tEENKUlT_SE_SF_SG_E_clIS8_S8_S9_S9_EESD_ST_SE_SF_SG_EUlST_E0_NS1_11comp_targetILNS1_3genE9ELNS1_11target_archE1100ELNS1_3gpuE3ELNS1_3repE0EEENS1_38merge_mergepath_config_static_selectorELNS0_4arch9wavefront6targetE0EEEvSF_.has_dyn_sized_stack, 0
	.set _ZN7rocprim17ROCPRIM_400000_NS6detail17trampoline_kernelINS0_14default_configENS1_38merge_sort_block_merge_config_selectorIbNS0_10empty_typeEEEZZNS1_27merge_sort_block_merge_implIS3_PbPS5_jNS1_19radix_merge_compareILb0ELb0EbNS0_19identity_decomposerEEEEE10hipError_tT0_T1_T2_jT3_P12ihipStream_tbPNSt15iterator_traitsISE_E10value_typeEPNSK_ISF_E10value_typeEPSG_NS1_7vsmem_tEENKUlT_SE_SF_SG_E_clIS8_S8_S9_S9_EESD_ST_SE_SF_SG_EUlST_E0_NS1_11comp_targetILNS1_3genE9ELNS1_11target_archE1100ELNS1_3gpuE3ELNS1_3repE0EEENS1_38merge_mergepath_config_static_selectorELNS0_4arch9wavefront6targetE0EEEvSF_.has_recursion, 0
	.set _ZN7rocprim17ROCPRIM_400000_NS6detail17trampoline_kernelINS0_14default_configENS1_38merge_sort_block_merge_config_selectorIbNS0_10empty_typeEEEZZNS1_27merge_sort_block_merge_implIS3_PbPS5_jNS1_19radix_merge_compareILb0ELb0EbNS0_19identity_decomposerEEEEE10hipError_tT0_T1_T2_jT3_P12ihipStream_tbPNSt15iterator_traitsISE_E10value_typeEPNSK_ISF_E10value_typeEPSG_NS1_7vsmem_tEENKUlT_SE_SF_SG_E_clIS8_S8_S9_S9_EESD_ST_SE_SF_SG_EUlST_E0_NS1_11comp_targetILNS1_3genE9ELNS1_11target_archE1100ELNS1_3gpuE3ELNS1_3repE0EEENS1_38merge_mergepath_config_static_selectorELNS0_4arch9wavefront6targetE0EEEvSF_.has_indirect_call, 0
	.section	.AMDGPU.csdata,"",@progbits
; Kernel info:
; codeLenInByte = 0
; TotalNumSgprs: 0
; NumVgprs: 0
; ScratchSize: 0
; MemoryBound: 0
; FloatMode: 240
; IeeeMode: 1
; LDSByteSize: 0 bytes/workgroup (compile time only)
; SGPRBlocks: 0
; VGPRBlocks: 0
; NumSGPRsForWavesPerEU: 1
; NumVGPRsForWavesPerEU: 1
; NamedBarCnt: 0
; Occupancy: 16
; WaveLimiterHint : 0
; COMPUTE_PGM_RSRC2:SCRATCH_EN: 0
; COMPUTE_PGM_RSRC2:USER_SGPR: 2
; COMPUTE_PGM_RSRC2:TRAP_HANDLER: 0
; COMPUTE_PGM_RSRC2:TGID_X_EN: 1
; COMPUTE_PGM_RSRC2:TGID_Y_EN: 0
; COMPUTE_PGM_RSRC2:TGID_Z_EN: 0
; COMPUTE_PGM_RSRC2:TIDIG_COMP_CNT: 0
	.section	.text._ZN7rocprim17ROCPRIM_400000_NS6detail17trampoline_kernelINS0_14default_configENS1_38merge_sort_block_merge_config_selectorIbNS0_10empty_typeEEEZZNS1_27merge_sort_block_merge_implIS3_PbPS5_jNS1_19radix_merge_compareILb0ELb0EbNS0_19identity_decomposerEEEEE10hipError_tT0_T1_T2_jT3_P12ihipStream_tbPNSt15iterator_traitsISE_E10value_typeEPNSK_ISF_E10value_typeEPSG_NS1_7vsmem_tEENKUlT_SE_SF_SG_E_clIS8_S8_S9_S9_EESD_ST_SE_SF_SG_EUlST_E0_NS1_11comp_targetILNS1_3genE8ELNS1_11target_archE1030ELNS1_3gpuE2ELNS1_3repE0EEENS1_38merge_mergepath_config_static_selectorELNS0_4arch9wavefront6targetE0EEEvSF_,"axG",@progbits,_ZN7rocprim17ROCPRIM_400000_NS6detail17trampoline_kernelINS0_14default_configENS1_38merge_sort_block_merge_config_selectorIbNS0_10empty_typeEEEZZNS1_27merge_sort_block_merge_implIS3_PbPS5_jNS1_19radix_merge_compareILb0ELb0EbNS0_19identity_decomposerEEEEE10hipError_tT0_T1_T2_jT3_P12ihipStream_tbPNSt15iterator_traitsISE_E10value_typeEPNSK_ISF_E10value_typeEPSG_NS1_7vsmem_tEENKUlT_SE_SF_SG_E_clIS8_S8_S9_S9_EESD_ST_SE_SF_SG_EUlST_E0_NS1_11comp_targetILNS1_3genE8ELNS1_11target_archE1030ELNS1_3gpuE2ELNS1_3repE0EEENS1_38merge_mergepath_config_static_selectorELNS0_4arch9wavefront6targetE0EEEvSF_,comdat
	.protected	_ZN7rocprim17ROCPRIM_400000_NS6detail17trampoline_kernelINS0_14default_configENS1_38merge_sort_block_merge_config_selectorIbNS0_10empty_typeEEEZZNS1_27merge_sort_block_merge_implIS3_PbPS5_jNS1_19radix_merge_compareILb0ELb0EbNS0_19identity_decomposerEEEEE10hipError_tT0_T1_T2_jT3_P12ihipStream_tbPNSt15iterator_traitsISE_E10value_typeEPNSK_ISF_E10value_typeEPSG_NS1_7vsmem_tEENKUlT_SE_SF_SG_E_clIS8_S8_S9_S9_EESD_ST_SE_SF_SG_EUlST_E0_NS1_11comp_targetILNS1_3genE8ELNS1_11target_archE1030ELNS1_3gpuE2ELNS1_3repE0EEENS1_38merge_mergepath_config_static_selectorELNS0_4arch9wavefront6targetE0EEEvSF_ ; -- Begin function _ZN7rocprim17ROCPRIM_400000_NS6detail17trampoline_kernelINS0_14default_configENS1_38merge_sort_block_merge_config_selectorIbNS0_10empty_typeEEEZZNS1_27merge_sort_block_merge_implIS3_PbPS5_jNS1_19radix_merge_compareILb0ELb0EbNS0_19identity_decomposerEEEEE10hipError_tT0_T1_T2_jT3_P12ihipStream_tbPNSt15iterator_traitsISE_E10value_typeEPNSK_ISF_E10value_typeEPSG_NS1_7vsmem_tEENKUlT_SE_SF_SG_E_clIS8_S8_S9_S9_EESD_ST_SE_SF_SG_EUlST_E0_NS1_11comp_targetILNS1_3genE8ELNS1_11target_archE1030ELNS1_3gpuE2ELNS1_3repE0EEENS1_38merge_mergepath_config_static_selectorELNS0_4arch9wavefront6targetE0EEEvSF_
	.globl	_ZN7rocprim17ROCPRIM_400000_NS6detail17trampoline_kernelINS0_14default_configENS1_38merge_sort_block_merge_config_selectorIbNS0_10empty_typeEEEZZNS1_27merge_sort_block_merge_implIS3_PbPS5_jNS1_19radix_merge_compareILb0ELb0EbNS0_19identity_decomposerEEEEE10hipError_tT0_T1_T2_jT3_P12ihipStream_tbPNSt15iterator_traitsISE_E10value_typeEPNSK_ISF_E10value_typeEPSG_NS1_7vsmem_tEENKUlT_SE_SF_SG_E_clIS8_S8_S9_S9_EESD_ST_SE_SF_SG_EUlST_E0_NS1_11comp_targetILNS1_3genE8ELNS1_11target_archE1030ELNS1_3gpuE2ELNS1_3repE0EEENS1_38merge_mergepath_config_static_selectorELNS0_4arch9wavefront6targetE0EEEvSF_
	.p2align	8
	.type	_ZN7rocprim17ROCPRIM_400000_NS6detail17trampoline_kernelINS0_14default_configENS1_38merge_sort_block_merge_config_selectorIbNS0_10empty_typeEEEZZNS1_27merge_sort_block_merge_implIS3_PbPS5_jNS1_19radix_merge_compareILb0ELb0EbNS0_19identity_decomposerEEEEE10hipError_tT0_T1_T2_jT3_P12ihipStream_tbPNSt15iterator_traitsISE_E10value_typeEPNSK_ISF_E10value_typeEPSG_NS1_7vsmem_tEENKUlT_SE_SF_SG_E_clIS8_S8_S9_S9_EESD_ST_SE_SF_SG_EUlST_E0_NS1_11comp_targetILNS1_3genE8ELNS1_11target_archE1030ELNS1_3gpuE2ELNS1_3repE0EEENS1_38merge_mergepath_config_static_selectorELNS0_4arch9wavefront6targetE0EEEvSF_,@function
_ZN7rocprim17ROCPRIM_400000_NS6detail17trampoline_kernelINS0_14default_configENS1_38merge_sort_block_merge_config_selectorIbNS0_10empty_typeEEEZZNS1_27merge_sort_block_merge_implIS3_PbPS5_jNS1_19radix_merge_compareILb0ELb0EbNS0_19identity_decomposerEEEEE10hipError_tT0_T1_T2_jT3_P12ihipStream_tbPNSt15iterator_traitsISE_E10value_typeEPNSK_ISF_E10value_typeEPSG_NS1_7vsmem_tEENKUlT_SE_SF_SG_E_clIS8_S8_S9_S9_EESD_ST_SE_SF_SG_EUlST_E0_NS1_11comp_targetILNS1_3genE8ELNS1_11target_archE1030ELNS1_3gpuE2ELNS1_3repE0EEENS1_38merge_mergepath_config_static_selectorELNS0_4arch9wavefront6targetE0EEEvSF_: ; @_ZN7rocprim17ROCPRIM_400000_NS6detail17trampoline_kernelINS0_14default_configENS1_38merge_sort_block_merge_config_selectorIbNS0_10empty_typeEEEZZNS1_27merge_sort_block_merge_implIS3_PbPS5_jNS1_19radix_merge_compareILb0ELb0EbNS0_19identity_decomposerEEEEE10hipError_tT0_T1_T2_jT3_P12ihipStream_tbPNSt15iterator_traitsISE_E10value_typeEPNSK_ISF_E10value_typeEPSG_NS1_7vsmem_tEENKUlT_SE_SF_SG_E_clIS8_S8_S9_S9_EESD_ST_SE_SF_SG_EUlST_E0_NS1_11comp_targetILNS1_3genE8ELNS1_11target_archE1030ELNS1_3gpuE2ELNS1_3repE0EEENS1_38merge_mergepath_config_static_selectorELNS0_4arch9wavefront6targetE0EEEvSF_
; %bb.0:
	.section	.rodata,"a",@progbits
	.p2align	6, 0x0
	.amdhsa_kernel _ZN7rocprim17ROCPRIM_400000_NS6detail17trampoline_kernelINS0_14default_configENS1_38merge_sort_block_merge_config_selectorIbNS0_10empty_typeEEEZZNS1_27merge_sort_block_merge_implIS3_PbPS5_jNS1_19radix_merge_compareILb0ELb0EbNS0_19identity_decomposerEEEEE10hipError_tT0_T1_T2_jT3_P12ihipStream_tbPNSt15iterator_traitsISE_E10value_typeEPNSK_ISF_E10value_typeEPSG_NS1_7vsmem_tEENKUlT_SE_SF_SG_E_clIS8_S8_S9_S9_EESD_ST_SE_SF_SG_EUlST_E0_NS1_11comp_targetILNS1_3genE8ELNS1_11target_archE1030ELNS1_3gpuE2ELNS1_3repE0EEENS1_38merge_mergepath_config_static_selectorELNS0_4arch9wavefront6targetE0EEEvSF_
		.amdhsa_group_segment_fixed_size 0
		.amdhsa_private_segment_fixed_size 0
		.amdhsa_kernarg_size 64
		.amdhsa_user_sgpr_count 2
		.amdhsa_user_sgpr_dispatch_ptr 0
		.amdhsa_user_sgpr_queue_ptr 0
		.amdhsa_user_sgpr_kernarg_segment_ptr 1
		.amdhsa_user_sgpr_dispatch_id 0
		.amdhsa_user_sgpr_kernarg_preload_length 0
		.amdhsa_user_sgpr_kernarg_preload_offset 0
		.amdhsa_user_sgpr_private_segment_size 0
		.amdhsa_wavefront_size32 1
		.amdhsa_uses_dynamic_stack 0
		.amdhsa_enable_private_segment 0
		.amdhsa_system_sgpr_workgroup_id_x 1
		.amdhsa_system_sgpr_workgroup_id_y 0
		.amdhsa_system_sgpr_workgroup_id_z 0
		.amdhsa_system_sgpr_workgroup_info 0
		.amdhsa_system_vgpr_workitem_id 0
		.amdhsa_next_free_vgpr 1
		.amdhsa_next_free_sgpr 1
		.amdhsa_named_barrier_count 0
		.amdhsa_reserve_vcc 0
		.amdhsa_float_round_mode_32 0
		.amdhsa_float_round_mode_16_64 0
		.amdhsa_float_denorm_mode_32 3
		.amdhsa_float_denorm_mode_16_64 3
		.amdhsa_fp16_overflow 0
		.amdhsa_memory_ordered 1
		.amdhsa_forward_progress 1
		.amdhsa_inst_pref_size 0
		.amdhsa_round_robin_scheduling 0
		.amdhsa_exception_fp_ieee_invalid_op 0
		.amdhsa_exception_fp_denorm_src 0
		.amdhsa_exception_fp_ieee_div_zero 0
		.amdhsa_exception_fp_ieee_overflow 0
		.amdhsa_exception_fp_ieee_underflow 0
		.amdhsa_exception_fp_ieee_inexact 0
		.amdhsa_exception_int_div_zero 0
	.end_amdhsa_kernel
	.section	.text._ZN7rocprim17ROCPRIM_400000_NS6detail17trampoline_kernelINS0_14default_configENS1_38merge_sort_block_merge_config_selectorIbNS0_10empty_typeEEEZZNS1_27merge_sort_block_merge_implIS3_PbPS5_jNS1_19radix_merge_compareILb0ELb0EbNS0_19identity_decomposerEEEEE10hipError_tT0_T1_T2_jT3_P12ihipStream_tbPNSt15iterator_traitsISE_E10value_typeEPNSK_ISF_E10value_typeEPSG_NS1_7vsmem_tEENKUlT_SE_SF_SG_E_clIS8_S8_S9_S9_EESD_ST_SE_SF_SG_EUlST_E0_NS1_11comp_targetILNS1_3genE8ELNS1_11target_archE1030ELNS1_3gpuE2ELNS1_3repE0EEENS1_38merge_mergepath_config_static_selectorELNS0_4arch9wavefront6targetE0EEEvSF_,"axG",@progbits,_ZN7rocprim17ROCPRIM_400000_NS6detail17trampoline_kernelINS0_14default_configENS1_38merge_sort_block_merge_config_selectorIbNS0_10empty_typeEEEZZNS1_27merge_sort_block_merge_implIS3_PbPS5_jNS1_19radix_merge_compareILb0ELb0EbNS0_19identity_decomposerEEEEE10hipError_tT0_T1_T2_jT3_P12ihipStream_tbPNSt15iterator_traitsISE_E10value_typeEPNSK_ISF_E10value_typeEPSG_NS1_7vsmem_tEENKUlT_SE_SF_SG_E_clIS8_S8_S9_S9_EESD_ST_SE_SF_SG_EUlST_E0_NS1_11comp_targetILNS1_3genE8ELNS1_11target_archE1030ELNS1_3gpuE2ELNS1_3repE0EEENS1_38merge_mergepath_config_static_selectorELNS0_4arch9wavefront6targetE0EEEvSF_,comdat
.Lfunc_end1801:
	.size	_ZN7rocprim17ROCPRIM_400000_NS6detail17trampoline_kernelINS0_14default_configENS1_38merge_sort_block_merge_config_selectorIbNS0_10empty_typeEEEZZNS1_27merge_sort_block_merge_implIS3_PbPS5_jNS1_19radix_merge_compareILb0ELb0EbNS0_19identity_decomposerEEEEE10hipError_tT0_T1_T2_jT3_P12ihipStream_tbPNSt15iterator_traitsISE_E10value_typeEPNSK_ISF_E10value_typeEPSG_NS1_7vsmem_tEENKUlT_SE_SF_SG_E_clIS8_S8_S9_S9_EESD_ST_SE_SF_SG_EUlST_E0_NS1_11comp_targetILNS1_3genE8ELNS1_11target_archE1030ELNS1_3gpuE2ELNS1_3repE0EEENS1_38merge_mergepath_config_static_selectorELNS0_4arch9wavefront6targetE0EEEvSF_, .Lfunc_end1801-_ZN7rocprim17ROCPRIM_400000_NS6detail17trampoline_kernelINS0_14default_configENS1_38merge_sort_block_merge_config_selectorIbNS0_10empty_typeEEEZZNS1_27merge_sort_block_merge_implIS3_PbPS5_jNS1_19radix_merge_compareILb0ELb0EbNS0_19identity_decomposerEEEEE10hipError_tT0_T1_T2_jT3_P12ihipStream_tbPNSt15iterator_traitsISE_E10value_typeEPNSK_ISF_E10value_typeEPSG_NS1_7vsmem_tEENKUlT_SE_SF_SG_E_clIS8_S8_S9_S9_EESD_ST_SE_SF_SG_EUlST_E0_NS1_11comp_targetILNS1_3genE8ELNS1_11target_archE1030ELNS1_3gpuE2ELNS1_3repE0EEENS1_38merge_mergepath_config_static_selectorELNS0_4arch9wavefront6targetE0EEEvSF_
                                        ; -- End function
	.set _ZN7rocprim17ROCPRIM_400000_NS6detail17trampoline_kernelINS0_14default_configENS1_38merge_sort_block_merge_config_selectorIbNS0_10empty_typeEEEZZNS1_27merge_sort_block_merge_implIS3_PbPS5_jNS1_19radix_merge_compareILb0ELb0EbNS0_19identity_decomposerEEEEE10hipError_tT0_T1_T2_jT3_P12ihipStream_tbPNSt15iterator_traitsISE_E10value_typeEPNSK_ISF_E10value_typeEPSG_NS1_7vsmem_tEENKUlT_SE_SF_SG_E_clIS8_S8_S9_S9_EESD_ST_SE_SF_SG_EUlST_E0_NS1_11comp_targetILNS1_3genE8ELNS1_11target_archE1030ELNS1_3gpuE2ELNS1_3repE0EEENS1_38merge_mergepath_config_static_selectorELNS0_4arch9wavefront6targetE0EEEvSF_.num_vgpr, 0
	.set _ZN7rocprim17ROCPRIM_400000_NS6detail17trampoline_kernelINS0_14default_configENS1_38merge_sort_block_merge_config_selectorIbNS0_10empty_typeEEEZZNS1_27merge_sort_block_merge_implIS3_PbPS5_jNS1_19radix_merge_compareILb0ELb0EbNS0_19identity_decomposerEEEEE10hipError_tT0_T1_T2_jT3_P12ihipStream_tbPNSt15iterator_traitsISE_E10value_typeEPNSK_ISF_E10value_typeEPSG_NS1_7vsmem_tEENKUlT_SE_SF_SG_E_clIS8_S8_S9_S9_EESD_ST_SE_SF_SG_EUlST_E0_NS1_11comp_targetILNS1_3genE8ELNS1_11target_archE1030ELNS1_3gpuE2ELNS1_3repE0EEENS1_38merge_mergepath_config_static_selectorELNS0_4arch9wavefront6targetE0EEEvSF_.num_agpr, 0
	.set _ZN7rocprim17ROCPRIM_400000_NS6detail17trampoline_kernelINS0_14default_configENS1_38merge_sort_block_merge_config_selectorIbNS0_10empty_typeEEEZZNS1_27merge_sort_block_merge_implIS3_PbPS5_jNS1_19radix_merge_compareILb0ELb0EbNS0_19identity_decomposerEEEEE10hipError_tT0_T1_T2_jT3_P12ihipStream_tbPNSt15iterator_traitsISE_E10value_typeEPNSK_ISF_E10value_typeEPSG_NS1_7vsmem_tEENKUlT_SE_SF_SG_E_clIS8_S8_S9_S9_EESD_ST_SE_SF_SG_EUlST_E0_NS1_11comp_targetILNS1_3genE8ELNS1_11target_archE1030ELNS1_3gpuE2ELNS1_3repE0EEENS1_38merge_mergepath_config_static_selectorELNS0_4arch9wavefront6targetE0EEEvSF_.numbered_sgpr, 0
	.set _ZN7rocprim17ROCPRIM_400000_NS6detail17trampoline_kernelINS0_14default_configENS1_38merge_sort_block_merge_config_selectorIbNS0_10empty_typeEEEZZNS1_27merge_sort_block_merge_implIS3_PbPS5_jNS1_19radix_merge_compareILb0ELb0EbNS0_19identity_decomposerEEEEE10hipError_tT0_T1_T2_jT3_P12ihipStream_tbPNSt15iterator_traitsISE_E10value_typeEPNSK_ISF_E10value_typeEPSG_NS1_7vsmem_tEENKUlT_SE_SF_SG_E_clIS8_S8_S9_S9_EESD_ST_SE_SF_SG_EUlST_E0_NS1_11comp_targetILNS1_3genE8ELNS1_11target_archE1030ELNS1_3gpuE2ELNS1_3repE0EEENS1_38merge_mergepath_config_static_selectorELNS0_4arch9wavefront6targetE0EEEvSF_.num_named_barrier, 0
	.set _ZN7rocprim17ROCPRIM_400000_NS6detail17trampoline_kernelINS0_14default_configENS1_38merge_sort_block_merge_config_selectorIbNS0_10empty_typeEEEZZNS1_27merge_sort_block_merge_implIS3_PbPS5_jNS1_19radix_merge_compareILb0ELb0EbNS0_19identity_decomposerEEEEE10hipError_tT0_T1_T2_jT3_P12ihipStream_tbPNSt15iterator_traitsISE_E10value_typeEPNSK_ISF_E10value_typeEPSG_NS1_7vsmem_tEENKUlT_SE_SF_SG_E_clIS8_S8_S9_S9_EESD_ST_SE_SF_SG_EUlST_E0_NS1_11comp_targetILNS1_3genE8ELNS1_11target_archE1030ELNS1_3gpuE2ELNS1_3repE0EEENS1_38merge_mergepath_config_static_selectorELNS0_4arch9wavefront6targetE0EEEvSF_.private_seg_size, 0
	.set _ZN7rocprim17ROCPRIM_400000_NS6detail17trampoline_kernelINS0_14default_configENS1_38merge_sort_block_merge_config_selectorIbNS0_10empty_typeEEEZZNS1_27merge_sort_block_merge_implIS3_PbPS5_jNS1_19radix_merge_compareILb0ELb0EbNS0_19identity_decomposerEEEEE10hipError_tT0_T1_T2_jT3_P12ihipStream_tbPNSt15iterator_traitsISE_E10value_typeEPNSK_ISF_E10value_typeEPSG_NS1_7vsmem_tEENKUlT_SE_SF_SG_E_clIS8_S8_S9_S9_EESD_ST_SE_SF_SG_EUlST_E0_NS1_11comp_targetILNS1_3genE8ELNS1_11target_archE1030ELNS1_3gpuE2ELNS1_3repE0EEENS1_38merge_mergepath_config_static_selectorELNS0_4arch9wavefront6targetE0EEEvSF_.uses_vcc, 0
	.set _ZN7rocprim17ROCPRIM_400000_NS6detail17trampoline_kernelINS0_14default_configENS1_38merge_sort_block_merge_config_selectorIbNS0_10empty_typeEEEZZNS1_27merge_sort_block_merge_implIS3_PbPS5_jNS1_19radix_merge_compareILb0ELb0EbNS0_19identity_decomposerEEEEE10hipError_tT0_T1_T2_jT3_P12ihipStream_tbPNSt15iterator_traitsISE_E10value_typeEPNSK_ISF_E10value_typeEPSG_NS1_7vsmem_tEENKUlT_SE_SF_SG_E_clIS8_S8_S9_S9_EESD_ST_SE_SF_SG_EUlST_E0_NS1_11comp_targetILNS1_3genE8ELNS1_11target_archE1030ELNS1_3gpuE2ELNS1_3repE0EEENS1_38merge_mergepath_config_static_selectorELNS0_4arch9wavefront6targetE0EEEvSF_.uses_flat_scratch, 0
	.set _ZN7rocprim17ROCPRIM_400000_NS6detail17trampoline_kernelINS0_14default_configENS1_38merge_sort_block_merge_config_selectorIbNS0_10empty_typeEEEZZNS1_27merge_sort_block_merge_implIS3_PbPS5_jNS1_19radix_merge_compareILb0ELb0EbNS0_19identity_decomposerEEEEE10hipError_tT0_T1_T2_jT3_P12ihipStream_tbPNSt15iterator_traitsISE_E10value_typeEPNSK_ISF_E10value_typeEPSG_NS1_7vsmem_tEENKUlT_SE_SF_SG_E_clIS8_S8_S9_S9_EESD_ST_SE_SF_SG_EUlST_E0_NS1_11comp_targetILNS1_3genE8ELNS1_11target_archE1030ELNS1_3gpuE2ELNS1_3repE0EEENS1_38merge_mergepath_config_static_selectorELNS0_4arch9wavefront6targetE0EEEvSF_.has_dyn_sized_stack, 0
	.set _ZN7rocprim17ROCPRIM_400000_NS6detail17trampoline_kernelINS0_14default_configENS1_38merge_sort_block_merge_config_selectorIbNS0_10empty_typeEEEZZNS1_27merge_sort_block_merge_implIS3_PbPS5_jNS1_19radix_merge_compareILb0ELb0EbNS0_19identity_decomposerEEEEE10hipError_tT0_T1_T2_jT3_P12ihipStream_tbPNSt15iterator_traitsISE_E10value_typeEPNSK_ISF_E10value_typeEPSG_NS1_7vsmem_tEENKUlT_SE_SF_SG_E_clIS8_S8_S9_S9_EESD_ST_SE_SF_SG_EUlST_E0_NS1_11comp_targetILNS1_3genE8ELNS1_11target_archE1030ELNS1_3gpuE2ELNS1_3repE0EEENS1_38merge_mergepath_config_static_selectorELNS0_4arch9wavefront6targetE0EEEvSF_.has_recursion, 0
	.set _ZN7rocprim17ROCPRIM_400000_NS6detail17trampoline_kernelINS0_14default_configENS1_38merge_sort_block_merge_config_selectorIbNS0_10empty_typeEEEZZNS1_27merge_sort_block_merge_implIS3_PbPS5_jNS1_19radix_merge_compareILb0ELb0EbNS0_19identity_decomposerEEEEE10hipError_tT0_T1_T2_jT3_P12ihipStream_tbPNSt15iterator_traitsISE_E10value_typeEPNSK_ISF_E10value_typeEPSG_NS1_7vsmem_tEENKUlT_SE_SF_SG_E_clIS8_S8_S9_S9_EESD_ST_SE_SF_SG_EUlST_E0_NS1_11comp_targetILNS1_3genE8ELNS1_11target_archE1030ELNS1_3gpuE2ELNS1_3repE0EEENS1_38merge_mergepath_config_static_selectorELNS0_4arch9wavefront6targetE0EEEvSF_.has_indirect_call, 0
	.section	.AMDGPU.csdata,"",@progbits
; Kernel info:
; codeLenInByte = 0
; TotalNumSgprs: 0
; NumVgprs: 0
; ScratchSize: 0
; MemoryBound: 0
; FloatMode: 240
; IeeeMode: 1
; LDSByteSize: 0 bytes/workgroup (compile time only)
; SGPRBlocks: 0
; VGPRBlocks: 0
; NumSGPRsForWavesPerEU: 1
; NumVGPRsForWavesPerEU: 1
; NamedBarCnt: 0
; Occupancy: 16
; WaveLimiterHint : 0
; COMPUTE_PGM_RSRC2:SCRATCH_EN: 0
; COMPUTE_PGM_RSRC2:USER_SGPR: 2
; COMPUTE_PGM_RSRC2:TRAP_HANDLER: 0
; COMPUTE_PGM_RSRC2:TGID_X_EN: 1
; COMPUTE_PGM_RSRC2:TGID_Y_EN: 0
; COMPUTE_PGM_RSRC2:TGID_Z_EN: 0
; COMPUTE_PGM_RSRC2:TIDIG_COMP_CNT: 0
	.section	.text._ZN7rocprim17ROCPRIM_400000_NS6detail17trampoline_kernelINS0_14default_configENS1_38merge_sort_block_merge_config_selectorIbNS0_10empty_typeEEEZZNS1_27merge_sort_block_merge_implIS3_PbPS5_jNS1_19radix_merge_compareILb0ELb0EbNS0_19identity_decomposerEEEEE10hipError_tT0_T1_T2_jT3_P12ihipStream_tbPNSt15iterator_traitsISE_E10value_typeEPNSK_ISF_E10value_typeEPSG_NS1_7vsmem_tEENKUlT_SE_SF_SG_E_clIS8_S8_S9_S9_EESD_ST_SE_SF_SG_EUlST_E1_NS1_11comp_targetILNS1_3genE0ELNS1_11target_archE4294967295ELNS1_3gpuE0ELNS1_3repE0EEENS1_36merge_oddeven_config_static_selectorELNS0_4arch9wavefront6targetE0EEEvSF_,"axG",@progbits,_ZN7rocprim17ROCPRIM_400000_NS6detail17trampoline_kernelINS0_14default_configENS1_38merge_sort_block_merge_config_selectorIbNS0_10empty_typeEEEZZNS1_27merge_sort_block_merge_implIS3_PbPS5_jNS1_19radix_merge_compareILb0ELb0EbNS0_19identity_decomposerEEEEE10hipError_tT0_T1_T2_jT3_P12ihipStream_tbPNSt15iterator_traitsISE_E10value_typeEPNSK_ISF_E10value_typeEPSG_NS1_7vsmem_tEENKUlT_SE_SF_SG_E_clIS8_S8_S9_S9_EESD_ST_SE_SF_SG_EUlST_E1_NS1_11comp_targetILNS1_3genE0ELNS1_11target_archE4294967295ELNS1_3gpuE0ELNS1_3repE0EEENS1_36merge_oddeven_config_static_selectorELNS0_4arch9wavefront6targetE0EEEvSF_,comdat
	.protected	_ZN7rocprim17ROCPRIM_400000_NS6detail17trampoline_kernelINS0_14default_configENS1_38merge_sort_block_merge_config_selectorIbNS0_10empty_typeEEEZZNS1_27merge_sort_block_merge_implIS3_PbPS5_jNS1_19radix_merge_compareILb0ELb0EbNS0_19identity_decomposerEEEEE10hipError_tT0_T1_T2_jT3_P12ihipStream_tbPNSt15iterator_traitsISE_E10value_typeEPNSK_ISF_E10value_typeEPSG_NS1_7vsmem_tEENKUlT_SE_SF_SG_E_clIS8_S8_S9_S9_EESD_ST_SE_SF_SG_EUlST_E1_NS1_11comp_targetILNS1_3genE0ELNS1_11target_archE4294967295ELNS1_3gpuE0ELNS1_3repE0EEENS1_36merge_oddeven_config_static_selectorELNS0_4arch9wavefront6targetE0EEEvSF_ ; -- Begin function _ZN7rocprim17ROCPRIM_400000_NS6detail17trampoline_kernelINS0_14default_configENS1_38merge_sort_block_merge_config_selectorIbNS0_10empty_typeEEEZZNS1_27merge_sort_block_merge_implIS3_PbPS5_jNS1_19radix_merge_compareILb0ELb0EbNS0_19identity_decomposerEEEEE10hipError_tT0_T1_T2_jT3_P12ihipStream_tbPNSt15iterator_traitsISE_E10value_typeEPNSK_ISF_E10value_typeEPSG_NS1_7vsmem_tEENKUlT_SE_SF_SG_E_clIS8_S8_S9_S9_EESD_ST_SE_SF_SG_EUlST_E1_NS1_11comp_targetILNS1_3genE0ELNS1_11target_archE4294967295ELNS1_3gpuE0ELNS1_3repE0EEENS1_36merge_oddeven_config_static_selectorELNS0_4arch9wavefront6targetE0EEEvSF_
	.globl	_ZN7rocprim17ROCPRIM_400000_NS6detail17trampoline_kernelINS0_14default_configENS1_38merge_sort_block_merge_config_selectorIbNS0_10empty_typeEEEZZNS1_27merge_sort_block_merge_implIS3_PbPS5_jNS1_19radix_merge_compareILb0ELb0EbNS0_19identity_decomposerEEEEE10hipError_tT0_T1_T2_jT3_P12ihipStream_tbPNSt15iterator_traitsISE_E10value_typeEPNSK_ISF_E10value_typeEPSG_NS1_7vsmem_tEENKUlT_SE_SF_SG_E_clIS8_S8_S9_S9_EESD_ST_SE_SF_SG_EUlST_E1_NS1_11comp_targetILNS1_3genE0ELNS1_11target_archE4294967295ELNS1_3gpuE0ELNS1_3repE0EEENS1_36merge_oddeven_config_static_selectorELNS0_4arch9wavefront6targetE0EEEvSF_
	.p2align	8
	.type	_ZN7rocprim17ROCPRIM_400000_NS6detail17trampoline_kernelINS0_14default_configENS1_38merge_sort_block_merge_config_selectorIbNS0_10empty_typeEEEZZNS1_27merge_sort_block_merge_implIS3_PbPS5_jNS1_19radix_merge_compareILb0ELb0EbNS0_19identity_decomposerEEEEE10hipError_tT0_T1_T2_jT3_P12ihipStream_tbPNSt15iterator_traitsISE_E10value_typeEPNSK_ISF_E10value_typeEPSG_NS1_7vsmem_tEENKUlT_SE_SF_SG_E_clIS8_S8_S9_S9_EESD_ST_SE_SF_SG_EUlST_E1_NS1_11comp_targetILNS1_3genE0ELNS1_11target_archE4294967295ELNS1_3gpuE0ELNS1_3repE0EEENS1_36merge_oddeven_config_static_selectorELNS0_4arch9wavefront6targetE0EEEvSF_,@function
_ZN7rocprim17ROCPRIM_400000_NS6detail17trampoline_kernelINS0_14default_configENS1_38merge_sort_block_merge_config_selectorIbNS0_10empty_typeEEEZZNS1_27merge_sort_block_merge_implIS3_PbPS5_jNS1_19radix_merge_compareILb0ELb0EbNS0_19identity_decomposerEEEEE10hipError_tT0_T1_T2_jT3_P12ihipStream_tbPNSt15iterator_traitsISE_E10value_typeEPNSK_ISF_E10value_typeEPSG_NS1_7vsmem_tEENKUlT_SE_SF_SG_E_clIS8_S8_S9_S9_EESD_ST_SE_SF_SG_EUlST_E1_NS1_11comp_targetILNS1_3genE0ELNS1_11target_archE4294967295ELNS1_3gpuE0ELNS1_3repE0EEENS1_36merge_oddeven_config_static_selectorELNS0_4arch9wavefront6targetE0EEEvSF_: ; @_ZN7rocprim17ROCPRIM_400000_NS6detail17trampoline_kernelINS0_14default_configENS1_38merge_sort_block_merge_config_selectorIbNS0_10empty_typeEEEZZNS1_27merge_sort_block_merge_implIS3_PbPS5_jNS1_19radix_merge_compareILb0ELb0EbNS0_19identity_decomposerEEEEE10hipError_tT0_T1_T2_jT3_P12ihipStream_tbPNSt15iterator_traitsISE_E10value_typeEPNSK_ISF_E10value_typeEPSG_NS1_7vsmem_tEENKUlT_SE_SF_SG_E_clIS8_S8_S9_S9_EESD_ST_SE_SF_SG_EUlST_E1_NS1_11comp_targetILNS1_3genE0ELNS1_11target_archE4294967295ELNS1_3gpuE0ELNS1_3repE0EEENS1_36merge_oddeven_config_static_selectorELNS0_4arch9wavefront6targetE0EEEvSF_
; %bb.0:
	s_load_b32 s10, s[0:1], 0x20
	s_bfe_u32 s2, ttmp6, 0x4000c
	s_and_b32 s3, ttmp6, 15
	s_add_co_i32 s2, s2, 1
	s_getreg_b32 s4, hwreg(HW_REG_IB_STS2, 6, 4)
	s_mul_i32 s2, ttmp9, s2
	s_mov_b32 s9, 0
	s_add_co_i32 s3, s3, s2
	s_cmp_eq_u32 s4, 0
	s_cselect_b32 s13, ttmp9, s3
	s_wait_kmcnt 0x0
	s_lshr_b32 s2, s10, 8
	s_delay_alu instid0(SALU_CYCLE_1) | instskip(SKIP_4) | instid1(SALU_CYCLE_1)
	s_cmp_lg_u32 s13, s2
	s_cselect_b32 s3, -1, 0
	s_cmp_eq_u32 s13, s2
	s_cselect_b32 s11, -1, 0
	s_lshl_b32 s8, s13, 8
	s_sub_co_i32 s2, s10, s8
	s_delay_alu instid0(SALU_CYCLE_1) | instskip(SKIP_1) | instid1(SALU_CYCLE_1)
	v_cmp_gt_u32_e64 s2, s2, v0
	s_or_b32 s4, s3, s2
	s_and_saveexec_b32 s5, s4
	s_cbranch_execz .LBB1802_20
; %bb.1:
	s_clause 0x1
	s_load_b128 s[4:7], s[0:1], 0x0
	s_load_b32 s12, s[0:1], 0x24
	v_add_nc_u32_e32 v2, s8, v0
	s_wait_kmcnt 0x0
	s_add_nc_u64 s[0:1], s[4:5], s[8:9]
	global_load_u8 v1, v0, s[0:1]
	s_wait_xcnt 0x0
	s_lshr_b32 s0, s12, 8
	s_delay_alu instid0(SALU_CYCLE_1) | instskip(NEXT) | instid1(SALU_CYCLE_1)
	s_sub_co_i32 s1, 0, s0
	s_and_b32 s1, s13, s1
	s_delay_alu instid0(SALU_CYCLE_1) | instskip(SKIP_4) | instid1(SALU_CYCLE_1)
	s_and_b32 s0, s1, s0
	s_lshl_b32 s13, s1, 8
	s_sub_co_i32 s1, 0, s12
	s_cmp_eq_u32 s0, 0
	s_cselect_b32 s0, -1, 0
	s_and_b32 s14, s0, exec_lo
	s_cselect_b32 s1, s12, s1
	s_delay_alu instid0(SALU_CYCLE_1) | instskip(NEXT) | instid1(SALU_CYCLE_1)
	s_add_co_i32 s1, s1, s13
	s_cmp_gt_u32 s10, s1
	s_cbranch_scc1 .LBB1802_3
; %bb.2:
	v_cmp_gt_u32_e32 vcc_lo, s10, v2
	s_or_b32 s8, vcc_lo, s3
	s_delay_alu instid0(SALU_CYCLE_1)
	s_and_b32 s9, s8, exec_lo
	s_cbranch_execz .LBB1802_4
	s_branch .LBB1802_18
.LBB1802_3:
.LBB1802_4:
	s_min_u32 s3, s1, s10
	s_and_b32 vcc_lo, exec_lo, s11
	s_add_co_i32 s8, s13, s3
	s_add_co_i32 s12, s3, s12
	v_subrev_nc_u32_e32 v0, s8, v2
	s_min_u32 s8, s13, s3
	s_delay_alu instid0(VALU_DEP_1) | instid1(SALU_CYCLE_1)
	v_add_nc_u32_e32 v0, s8, v0
	s_min_u32 s8, s12, s10
	s_cbranch_vccz .LBB1802_12
; %bb.5:
                                        ; implicit-def: $vgpr2
	s_and_saveexec_b32 s10, s2
	s_cbranch_execz .LBB1802_11
; %bb.6:
	v_mov_b32_e32 v2, s3
	s_cmp_ge_u32 s1, s8
	s_cbranch_scc1 .LBB1802_10
; %bb.7:
	v_dual_mov_b32 v3, s8 :: v_dual_mov_b32 v2, s3
	s_wait_loadcnt 0x0
	v_and_b32_e32 v4, 0xff, v1
	s_mov_b32 s2, 0
.LBB1802_8:                             ; =>This Inner Loop Header: Depth=1
	s_delay_alu instid0(VALU_DEP_2) | instskip(NEXT) | instid1(VALU_DEP_1)
	v_add_nc_u32_e32 v5, v2, v3
	v_lshrrev_b32_e32 v5, 1, v5
	global_load_u8 v6, v5, s[4:5]
	s_wait_loadcnt 0x0
	v_cmp_gt_u16_e32 vcc_lo, v4, v6
	v_cndmask_b32_e64 v7, 0, 1, vcc_lo
	v_cmp_le_u16_e32 vcc_lo, v6, v4
	v_cndmask_b32_e64 v6, 0, 1, vcc_lo
	s_delay_alu instid0(VALU_DEP_1) | instskip(NEXT) | instid1(VALU_DEP_1)
	v_cndmask_b32_e64 v6, v6, v7, s0
	v_and_b32_e32 v6, 1, v6
	s_delay_alu instid0(VALU_DEP_1) | instskip(SKIP_1) | instid1(VALU_DEP_1)
	v_cmp_eq_u32_e32 vcc_lo, 1, v6
	v_dual_add_nc_u32 v7, 1, v5 :: v_dual_cndmask_b32 v3, v5, v3, vcc_lo
	v_cndmask_b32_e32 v2, v2, v7, vcc_lo
	s_delay_alu instid0(VALU_DEP_1) | instskip(SKIP_1) | instid1(SALU_CYCLE_1)
	v_cmp_ge_u32_e32 vcc_lo, v2, v3
	s_or_b32 s2, vcc_lo, s2
	s_and_not1_b32 exec_lo, exec_lo, s2
	s_cbranch_execnz .LBB1802_8
; %bb.9:
	s_or_b32 exec_lo, exec_lo, s2
.LBB1802_10:
	s_delay_alu instid0(VALU_DEP_1)
	v_add_nc_u32_e32 v2, v2, v0
	s_or_b32 s9, s9, exec_lo
.LBB1802_11:
	s_or_b32 exec_lo, exec_lo, s10
	s_branch .LBB1802_18
.LBB1802_12:
                                        ; implicit-def: $vgpr2
	s_cbranch_execz .LBB1802_18
; %bb.13:
	v_mov_b32_e32 v2, s3
	s_cmp_ge_u32 s1, s8
	s_cbranch_scc1 .LBB1802_17
; %bb.14:
	v_dual_mov_b32 v3, s8 :: v_dual_mov_b32 v2, s3
	s_wait_loadcnt 0x0
	v_and_b32_e32 v4, 0xff, v1
	s_mov_b32 s1, 0
.LBB1802_15:                            ; =>This Inner Loop Header: Depth=1
	s_delay_alu instid0(VALU_DEP_2) | instskip(NEXT) | instid1(VALU_DEP_1)
	v_add_nc_u32_e32 v5, v2, v3
	v_lshrrev_b32_e32 v5, 1, v5
	global_load_u8 v6, v5, s[4:5]
	s_wait_loadcnt 0x0
	v_cmp_gt_u16_e32 vcc_lo, v4, v6
	v_cndmask_b32_e64 v7, 0, 1, vcc_lo
	v_cmp_le_u16_e32 vcc_lo, v6, v4
	v_cndmask_b32_e64 v6, 0, 1, vcc_lo
	s_delay_alu instid0(VALU_DEP_1) | instskip(NEXT) | instid1(VALU_DEP_1)
	v_cndmask_b32_e64 v6, v6, v7, s0
	v_and_b32_e32 v6, 1, v6
	s_delay_alu instid0(VALU_DEP_1) | instskip(SKIP_1) | instid1(VALU_DEP_1)
	v_cmp_eq_u32_e32 vcc_lo, 1, v6
	v_dual_add_nc_u32 v7, 1, v5 :: v_dual_cndmask_b32 v3, v5, v3, vcc_lo
	v_cndmask_b32_e32 v2, v2, v7, vcc_lo
	s_delay_alu instid0(VALU_DEP_1) | instskip(SKIP_1) | instid1(SALU_CYCLE_1)
	v_cmp_ge_u32_e32 vcc_lo, v2, v3
	s_or_b32 s1, vcc_lo, s1
	s_and_not1_b32 exec_lo, exec_lo, s1
	s_cbranch_execnz .LBB1802_15
; %bb.16:
	s_or_b32 exec_lo, exec_lo, s1
.LBB1802_17:
	s_delay_alu instid0(VALU_DEP_1)
	v_add_nc_u32_e32 v2, v2, v0
	s_mov_b32 s9, -1
.LBB1802_18:
	s_delay_alu instid0(SALU_CYCLE_1)
	s_and_b32 exec_lo, exec_lo, s9
	s_cbranch_execz .LBB1802_20
; %bb.19:
	s_wait_loadcnt 0x0
	global_store_b8 v2, v1, s[6:7]
.LBB1802_20:
	s_endpgm
	.section	.rodata,"a",@progbits
	.p2align	6, 0x0
	.amdhsa_kernel _ZN7rocprim17ROCPRIM_400000_NS6detail17trampoline_kernelINS0_14default_configENS1_38merge_sort_block_merge_config_selectorIbNS0_10empty_typeEEEZZNS1_27merge_sort_block_merge_implIS3_PbPS5_jNS1_19radix_merge_compareILb0ELb0EbNS0_19identity_decomposerEEEEE10hipError_tT0_T1_T2_jT3_P12ihipStream_tbPNSt15iterator_traitsISE_E10value_typeEPNSK_ISF_E10value_typeEPSG_NS1_7vsmem_tEENKUlT_SE_SF_SG_E_clIS8_S8_S9_S9_EESD_ST_SE_SF_SG_EUlST_E1_NS1_11comp_targetILNS1_3genE0ELNS1_11target_archE4294967295ELNS1_3gpuE0ELNS1_3repE0EEENS1_36merge_oddeven_config_static_selectorELNS0_4arch9wavefront6targetE0EEEvSF_
		.amdhsa_group_segment_fixed_size 0
		.amdhsa_private_segment_fixed_size 0
		.amdhsa_kernarg_size 48
		.amdhsa_user_sgpr_count 2
		.amdhsa_user_sgpr_dispatch_ptr 0
		.amdhsa_user_sgpr_queue_ptr 0
		.amdhsa_user_sgpr_kernarg_segment_ptr 1
		.amdhsa_user_sgpr_dispatch_id 0
		.amdhsa_user_sgpr_kernarg_preload_length 0
		.amdhsa_user_sgpr_kernarg_preload_offset 0
		.amdhsa_user_sgpr_private_segment_size 0
		.amdhsa_wavefront_size32 1
		.amdhsa_uses_dynamic_stack 0
		.amdhsa_enable_private_segment 0
		.amdhsa_system_sgpr_workgroup_id_x 1
		.amdhsa_system_sgpr_workgroup_id_y 0
		.amdhsa_system_sgpr_workgroup_id_z 0
		.amdhsa_system_sgpr_workgroup_info 0
		.amdhsa_system_vgpr_workitem_id 0
		.amdhsa_next_free_vgpr 8
		.amdhsa_next_free_sgpr 15
		.amdhsa_named_barrier_count 0
		.amdhsa_reserve_vcc 1
		.amdhsa_float_round_mode_32 0
		.amdhsa_float_round_mode_16_64 0
		.amdhsa_float_denorm_mode_32 3
		.amdhsa_float_denorm_mode_16_64 3
		.amdhsa_fp16_overflow 0
		.amdhsa_memory_ordered 1
		.amdhsa_forward_progress 1
		.amdhsa_inst_pref_size 6
		.amdhsa_round_robin_scheduling 0
		.amdhsa_exception_fp_ieee_invalid_op 0
		.amdhsa_exception_fp_denorm_src 0
		.amdhsa_exception_fp_ieee_div_zero 0
		.amdhsa_exception_fp_ieee_overflow 0
		.amdhsa_exception_fp_ieee_underflow 0
		.amdhsa_exception_fp_ieee_inexact 0
		.amdhsa_exception_int_div_zero 0
	.end_amdhsa_kernel
	.section	.text._ZN7rocprim17ROCPRIM_400000_NS6detail17trampoline_kernelINS0_14default_configENS1_38merge_sort_block_merge_config_selectorIbNS0_10empty_typeEEEZZNS1_27merge_sort_block_merge_implIS3_PbPS5_jNS1_19radix_merge_compareILb0ELb0EbNS0_19identity_decomposerEEEEE10hipError_tT0_T1_T2_jT3_P12ihipStream_tbPNSt15iterator_traitsISE_E10value_typeEPNSK_ISF_E10value_typeEPSG_NS1_7vsmem_tEENKUlT_SE_SF_SG_E_clIS8_S8_S9_S9_EESD_ST_SE_SF_SG_EUlST_E1_NS1_11comp_targetILNS1_3genE0ELNS1_11target_archE4294967295ELNS1_3gpuE0ELNS1_3repE0EEENS1_36merge_oddeven_config_static_selectorELNS0_4arch9wavefront6targetE0EEEvSF_,"axG",@progbits,_ZN7rocprim17ROCPRIM_400000_NS6detail17trampoline_kernelINS0_14default_configENS1_38merge_sort_block_merge_config_selectorIbNS0_10empty_typeEEEZZNS1_27merge_sort_block_merge_implIS3_PbPS5_jNS1_19radix_merge_compareILb0ELb0EbNS0_19identity_decomposerEEEEE10hipError_tT0_T1_T2_jT3_P12ihipStream_tbPNSt15iterator_traitsISE_E10value_typeEPNSK_ISF_E10value_typeEPSG_NS1_7vsmem_tEENKUlT_SE_SF_SG_E_clIS8_S8_S9_S9_EESD_ST_SE_SF_SG_EUlST_E1_NS1_11comp_targetILNS1_3genE0ELNS1_11target_archE4294967295ELNS1_3gpuE0ELNS1_3repE0EEENS1_36merge_oddeven_config_static_selectorELNS0_4arch9wavefront6targetE0EEEvSF_,comdat
.Lfunc_end1802:
	.size	_ZN7rocprim17ROCPRIM_400000_NS6detail17trampoline_kernelINS0_14default_configENS1_38merge_sort_block_merge_config_selectorIbNS0_10empty_typeEEEZZNS1_27merge_sort_block_merge_implIS3_PbPS5_jNS1_19radix_merge_compareILb0ELb0EbNS0_19identity_decomposerEEEEE10hipError_tT0_T1_T2_jT3_P12ihipStream_tbPNSt15iterator_traitsISE_E10value_typeEPNSK_ISF_E10value_typeEPSG_NS1_7vsmem_tEENKUlT_SE_SF_SG_E_clIS8_S8_S9_S9_EESD_ST_SE_SF_SG_EUlST_E1_NS1_11comp_targetILNS1_3genE0ELNS1_11target_archE4294967295ELNS1_3gpuE0ELNS1_3repE0EEENS1_36merge_oddeven_config_static_selectorELNS0_4arch9wavefront6targetE0EEEvSF_, .Lfunc_end1802-_ZN7rocprim17ROCPRIM_400000_NS6detail17trampoline_kernelINS0_14default_configENS1_38merge_sort_block_merge_config_selectorIbNS0_10empty_typeEEEZZNS1_27merge_sort_block_merge_implIS3_PbPS5_jNS1_19radix_merge_compareILb0ELb0EbNS0_19identity_decomposerEEEEE10hipError_tT0_T1_T2_jT3_P12ihipStream_tbPNSt15iterator_traitsISE_E10value_typeEPNSK_ISF_E10value_typeEPSG_NS1_7vsmem_tEENKUlT_SE_SF_SG_E_clIS8_S8_S9_S9_EESD_ST_SE_SF_SG_EUlST_E1_NS1_11comp_targetILNS1_3genE0ELNS1_11target_archE4294967295ELNS1_3gpuE0ELNS1_3repE0EEENS1_36merge_oddeven_config_static_selectorELNS0_4arch9wavefront6targetE0EEEvSF_
                                        ; -- End function
	.set _ZN7rocprim17ROCPRIM_400000_NS6detail17trampoline_kernelINS0_14default_configENS1_38merge_sort_block_merge_config_selectorIbNS0_10empty_typeEEEZZNS1_27merge_sort_block_merge_implIS3_PbPS5_jNS1_19radix_merge_compareILb0ELb0EbNS0_19identity_decomposerEEEEE10hipError_tT0_T1_T2_jT3_P12ihipStream_tbPNSt15iterator_traitsISE_E10value_typeEPNSK_ISF_E10value_typeEPSG_NS1_7vsmem_tEENKUlT_SE_SF_SG_E_clIS8_S8_S9_S9_EESD_ST_SE_SF_SG_EUlST_E1_NS1_11comp_targetILNS1_3genE0ELNS1_11target_archE4294967295ELNS1_3gpuE0ELNS1_3repE0EEENS1_36merge_oddeven_config_static_selectorELNS0_4arch9wavefront6targetE0EEEvSF_.num_vgpr, 8
	.set _ZN7rocprim17ROCPRIM_400000_NS6detail17trampoline_kernelINS0_14default_configENS1_38merge_sort_block_merge_config_selectorIbNS0_10empty_typeEEEZZNS1_27merge_sort_block_merge_implIS3_PbPS5_jNS1_19radix_merge_compareILb0ELb0EbNS0_19identity_decomposerEEEEE10hipError_tT0_T1_T2_jT3_P12ihipStream_tbPNSt15iterator_traitsISE_E10value_typeEPNSK_ISF_E10value_typeEPSG_NS1_7vsmem_tEENKUlT_SE_SF_SG_E_clIS8_S8_S9_S9_EESD_ST_SE_SF_SG_EUlST_E1_NS1_11comp_targetILNS1_3genE0ELNS1_11target_archE4294967295ELNS1_3gpuE0ELNS1_3repE0EEENS1_36merge_oddeven_config_static_selectorELNS0_4arch9wavefront6targetE0EEEvSF_.num_agpr, 0
	.set _ZN7rocprim17ROCPRIM_400000_NS6detail17trampoline_kernelINS0_14default_configENS1_38merge_sort_block_merge_config_selectorIbNS0_10empty_typeEEEZZNS1_27merge_sort_block_merge_implIS3_PbPS5_jNS1_19radix_merge_compareILb0ELb0EbNS0_19identity_decomposerEEEEE10hipError_tT0_T1_T2_jT3_P12ihipStream_tbPNSt15iterator_traitsISE_E10value_typeEPNSK_ISF_E10value_typeEPSG_NS1_7vsmem_tEENKUlT_SE_SF_SG_E_clIS8_S8_S9_S9_EESD_ST_SE_SF_SG_EUlST_E1_NS1_11comp_targetILNS1_3genE0ELNS1_11target_archE4294967295ELNS1_3gpuE0ELNS1_3repE0EEENS1_36merge_oddeven_config_static_selectorELNS0_4arch9wavefront6targetE0EEEvSF_.numbered_sgpr, 15
	.set _ZN7rocprim17ROCPRIM_400000_NS6detail17trampoline_kernelINS0_14default_configENS1_38merge_sort_block_merge_config_selectorIbNS0_10empty_typeEEEZZNS1_27merge_sort_block_merge_implIS3_PbPS5_jNS1_19radix_merge_compareILb0ELb0EbNS0_19identity_decomposerEEEEE10hipError_tT0_T1_T2_jT3_P12ihipStream_tbPNSt15iterator_traitsISE_E10value_typeEPNSK_ISF_E10value_typeEPSG_NS1_7vsmem_tEENKUlT_SE_SF_SG_E_clIS8_S8_S9_S9_EESD_ST_SE_SF_SG_EUlST_E1_NS1_11comp_targetILNS1_3genE0ELNS1_11target_archE4294967295ELNS1_3gpuE0ELNS1_3repE0EEENS1_36merge_oddeven_config_static_selectorELNS0_4arch9wavefront6targetE0EEEvSF_.num_named_barrier, 0
	.set _ZN7rocprim17ROCPRIM_400000_NS6detail17trampoline_kernelINS0_14default_configENS1_38merge_sort_block_merge_config_selectorIbNS0_10empty_typeEEEZZNS1_27merge_sort_block_merge_implIS3_PbPS5_jNS1_19radix_merge_compareILb0ELb0EbNS0_19identity_decomposerEEEEE10hipError_tT0_T1_T2_jT3_P12ihipStream_tbPNSt15iterator_traitsISE_E10value_typeEPNSK_ISF_E10value_typeEPSG_NS1_7vsmem_tEENKUlT_SE_SF_SG_E_clIS8_S8_S9_S9_EESD_ST_SE_SF_SG_EUlST_E1_NS1_11comp_targetILNS1_3genE0ELNS1_11target_archE4294967295ELNS1_3gpuE0ELNS1_3repE0EEENS1_36merge_oddeven_config_static_selectorELNS0_4arch9wavefront6targetE0EEEvSF_.private_seg_size, 0
	.set _ZN7rocprim17ROCPRIM_400000_NS6detail17trampoline_kernelINS0_14default_configENS1_38merge_sort_block_merge_config_selectorIbNS0_10empty_typeEEEZZNS1_27merge_sort_block_merge_implIS3_PbPS5_jNS1_19radix_merge_compareILb0ELb0EbNS0_19identity_decomposerEEEEE10hipError_tT0_T1_T2_jT3_P12ihipStream_tbPNSt15iterator_traitsISE_E10value_typeEPNSK_ISF_E10value_typeEPSG_NS1_7vsmem_tEENKUlT_SE_SF_SG_E_clIS8_S8_S9_S9_EESD_ST_SE_SF_SG_EUlST_E1_NS1_11comp_targetILNS1_3genE0ELNS1_11target_archE4294967295ELNS1_3gpuE0ELNS1_3repE0EEENS1_36merge_oddeven_config_static_selectorELNS0_4arch9wavefront6targetE0EEEvSF_.uses_vcc, 1
	.set _ZN7rocprim17ROCPRIM_400000_NS6detail17trampoline_kernelINS0_14default_configENS1_38merge_sort_block_merge_config_selectorIbNS0_10empty_typeEEEZZNS1_27merge_sort_block_merge_implIS3_PbPS5_jNS1_19radix_merge_compareILb0ELb0EbNS0_19identity_decomposerEEEEE10hipError_tT0_T1_T2_jT3_P12ihipStream_tbPNSt15iterator_traitsISE_E10value_typeEPNSK_ISF_E10value_typeEPSG_NS1_7vsmem_tEENKUlT_SE_SF_SG_E_clIS8_S8_S9_S9_EESD_ST_SE_SF_SG_EUlST_E1_NS1_11comp_targetILNS1_3genE0ELNS1_11target_archE4294967295ELNS1_3gpuE0ELNS1_3repE0EEENS1_36merge_oddeven_config_static_selectorELNS0_4arch9wavefront6targetE0EEEvSF_.uses_flat_scratch, 0
	.set _ZN7rocprim17ROCPRIM_400000_NS6detail17trampoline_kernelINS0_14default_configENS1_38merge_sort_block_merge_config_selectorIbNS0_10empty_typeEEEZZNS1_27merge_sort_block_merge_implIS3_PbPS5_jNS1_19radix_merge_compareILb0ELb0EbNS0_19identity_decomposerEEEEE10hipError_tT0_T1_T2_jT3_P12ihipStream_tbPNSt15iterator_traitsISE_E10value_typeEPNSK_ISF_E10value_typeEPSG_NS1_7vsmem_tEENKUlT_SE_SF_SG_E_clIS8_S8_S9_S9_EESD_ST_SE_SF_SG_EUlST_E1_NS1_11comp_targetILNS1_3genE0ELNS1_11target_archE4294967295ELNS1_3gpuE0ELNS1_3repE0EEENS1_36merge_oddeven_config_static_selectorELNS0_4arch9wavefront6targetE0EEEvSF_.has_dyn_sized_stack, 0
	.set _ZN7rocprim17ROCPRIM_400000_NS6detail17trampoline_kernelINS0_14default_configENS1_38merge_sort_block_merge_config_selectorIbNS0_10empty_typeEEEZZNS1_27merge_sort_block_merge_implIS3_PbPS5_jNS1_19radix_merge_compareILb0ELb0EbNS0_19identity_decomposerEEEEE10hipError_tT0_T1_T2_jT3_P12ihipStream_tbPNSt15iterator_traitsISE_E10value_typeEPNSK_ISF_E10value_typeEPSG_NS1_7vsmem_tEENKUlT_SE_SF_SG_E_clIS8_S8_S9_S9_EESD_ST_SE_SF_SG_EUlST_E1_NS1_11comp_targetILNS1_3genE0ELNS1_11target_archE4294967295ELNS1_3gpuE0ELNS1_3repE0EEENS1_36merge_oddeven_config_static_selectorELNS0_4arch9wavefront6targetE0EEEvSF_.has_recursion, 0
	.set _ZN7rocprim17ROCPRIM_400000_NS6detail17trampoline_kernelINS0_14default_configENS1_38merge_sort_block_merge_config_selectorIbNS0_10empty_typeEEEZZNS1_27merge_sort_block_merge_implIS3_PbPS5_jNS1_19radix_merge_compareILb0ELb0EbNS0_19identity_decomposerEEEEE10hipError_tT0_T1_T2_jT3_P12ihipStream_tbPNSt15iterator_traitsISE_E10value_typeEPNSK_ISF_E10value_typeEPSG_NS1_7vsmem_tEENKUlT_SE_SF_SG_E_clIS8_S8_S9_S9_EESD_ST_SE_SF_SG_EUlST_E1_NS1_11comp_targetILNS1_3genE0ELNS1_11target_archE4294967295ELNS1_3gpuE0ELNS1_3repE0EEENS1_36merge_oddeven_config_static_selectorELNS0_4arch9wavefront6targetE0EEEvSF_.has_indirect_call, 0
	.section	.AMDGPU.csdata,"",@progbits
; Kernel info:
; codeLenInByte = 664
; TotalNumSgprs: 17
; NumVgprs: 8
; ScratchSize: 0
; MemoryBound: 0
; FloatMode: 240
; IeeeMode: 1
; LDSByteSize: 0 bytes/workgroup (compile time only)
; SGPRBlocks: 0
; VGPRBlocks: 0
; NumSGPRsForWavesPerEU: 17
; NumVGPRsForWavesPerEU: 8
; NamedBarCnt: 0
; Occupancy: 16
; WaveLimiterHint : 0
; COMPUTE_PGM_RSRC2:SCRATCH_EN: 0
; COMPUTE_PGM_RSRC2:USER_SGPR: 2
; COMPUTE_PGM_RSRC2:TRAP_HANDLER: 0
; COMPUTE_PGM_RSRC2:TGID_X_EN: 1
; COMPUTE_PGM_RSRC2:TGID_Y_EN: 0
; COMPUTE_PGM_RSRC2:TGID_Z_EN: 0
; COMPUTE_PGM_RSRC2:TIDIG_COMP_CNT: 0
	.section	.text._ZN7rocprim17ROCPRIM_400000_NS6detail17trampoline_kernelINS0_14default_configENS1_38merge_sort_block_merge_config_selectorIbNS0_10empty_typeEEEZZNS1_27merge_sort_block_merge_implIS3_PbPS5_jNS1_19radix_merge_compareILb0ELb0EbNS0_19identity_decomposerEEEEE10hipError_tT0_T1_T2_jT3_P12ihipStream_tbPNSt15iterator_traitsISE_E10value_typeEPNSK_ISF_E10value_typeEPSG_NS1_7vsmem_tEENKUlT_SE_SF_SG_E_clIS8_S8_S9_S9_EESD_ST_SE_SF_SG_EUlST_E1_NS1_11comp_targetILNS1_3genE10ELNS1_11target_archE1201ELNS1_3gpuE5ELNS1_3repE0EEENS1_36merge_oddeven_config_static_selectorELNS0_4arch9wavefront6targetE0EEEvSF_,"axG",@progbits,_ZN7rocprim17ROCPRIM_400000_NS6detail17trampoline_kernelINS0_14default_configENS1_38merge_sort_block_merge_config_selectorIbNS0_10empty_typeEEEZZNS1_27merge_sort_block_merge_implIS3_PbPS5_jNS1_19radix_merge_compareILb0ELb0EbNS0_19identity_decomposerEEEEE10hipError_tT0_T1_T2_jT3_P12ihipStream_tbPNSt15iterator_traitsISE_E10value_typeEPNSK_ISF_E10value_typeEPSG_NS1_7vsmem_tEENKUlT_SE_SF_SG_E_clIS8_S8_S9_S9_EESD_ST_SE_SF_SG_EUlST_E1_NS1_11comp_targetILNS1_3genE10ELNS1_11target_archE1201ELNS1_3gpuE5ELNS1_3repE0EEENS1_36merge_oddeven_config_static_selectorELNS0_4arch9wavefront6targetE0EEEvSF_,comdat
	.protected	_ZN7rocprim17ROCPRIM_400000_NS6detail17trampoline_kernelINS0_14default_configENS1_38merge_sort_block_merge_config_selectorIbNS0_10empty_typeEEEZZNS1_27merge_sort_block_merge_implIS3_PbPS5_jNS1_19radix_merge_compareILb0ELb0EbNS0_19identity_decomposerEEEEE10hipError_tT0_T1_T2_jT3_P12ihipStream_tbPNSt15iterator_traitsISE_E10value_typeEPNSK_ISF_E10value_typeEPSG_NS1_7vsmem_tEENKUlT_SE_SF_SG_E_clIS8_S8_S9_S9_EESD_ST_SE_SF_SG_EUlST_E1_NS1_11comp_targetILNS1_3genE10ELNS1_11target_archE1201ELNS1_3gpuE5ELNS1_3repE0EEENS1_36merge_oddeven_config_static_selectorELNS0_4arch9wavefront6targetE0EEEvSF_ ; -- Begin function _ZN7rocprim17ROCPRIM_400000_NS6detail17trampoline_kernelINS0_14default_configENS1_38merge_sort_block_merge_config_selectorIbNS0_10empty_typeEEEZZNS1_27merge_sort_block_merge_implIS3_PbPS5_jNS1_19radix_merge_compareILb0ELb0EbNS0_19identity_decomposerEEEEE10hipError_tT0_T1_T2_jT3_P12ihipStream_tbPNSt15iterator_traitsISE_E10value_typeEPNSK_ISF_E10value_typeEPSG_NS1_7vsmem_tEENKUlT_SE_SF_SG_E_clIS8_S8_S9_S9_EESD_ST_SE_SF_SG_EUlST_E1_NS1_11comp_targetILNS1_3genE10ELNS1_11target_archE1201ELNS1_3gpuE5ELNS1_3repE0EEENS1_36merge_oddeven_config_static_selectorELNS0_4arch9wavefront6targetE0EEEvSF_
	.globl	_ZN7rocprim17ROCPRIM_400000_NS6detail17trampoline_kernelINS0_14default_configENS1_38merge_sort_block_merge_config_selectorIbNS0_10empty_typeEEEZZNS1_27merge_sort_block_merge_implIS3_PbPS5_jNS1_19radix_merge_compareILb0ELb0EbNS0_19identity_decomposerEEEEE10hipError_tT0_T1_T2_jT3_P12ihipStream_tbPNSt15iterator_traitsISE_E10value_typeEPNSK_ISF_E10value_typeEPSG_NS1_7vsmem_tEENKUlT_SE_SF_SG_E_clIS8_S8_S9_S9_EESD_ST_SE_SF_SG_EUlST_E1_NS1_11comp_targetILNS1_3genE10ELNS1_11target_archE1201ELNS1_3gpuE5ELNS1_3repE0EEENS1_36merge_oddeven_config_static_selectorELNS0_4arch9wavefront6targetE0EEEvSF_
	.p2align	8
	.type	_ZN7rocprim17ROCPRIM_400000_NS6detail17trampoline_kernelINS0_14default_configENS1_38merge_sort_block_merge_config_selectorIbNS0_10empty_typeEEEZZNS1_27merge_sort_block_merge_implIS3_PbPS5_jNS1_19radix_merge_compareILb0ELb0EbNS0_19identity_decomposerEEEEE10hipError_tT0_T1_T2_jT3_P12ihipStream_tbPNSt15iterator_traitsISE_E10value_typeEPNSK_ISF_E10value_typeEPSG_NS1_7vsmem_tEENKUlT_SE_SF_SG_E_clIS8_S8_S9_S9_EESD_ST_SE_SF_SG_EUlST_E1_NS1_11comp_targetILNS1_3genE10ELNS1_11target_archE1201ELNS1_3gpuE5ELNS1_3repE0EEENS1_36merge_oddeven_config_static_selectorELNS0_4arch9wavefront6targetE0EEEvSF_,@function
_ZN7rocprim17ROCPRIM_400000_NS6detail17trampoline_kernelINS0_14default_configENS1_38merge_sort_block_merge_config_selectorIbNS0_10empty_typeEEEZZNS1_27merge_sort_block_merge_implIS3_PbPS5_jNS1_19radix_merge_compareILb0ELb0EbNS0_19identity_decomposerEEEEE10hipError_tT0_T1_T2_jT3_P12ihipStream_tbPNSt15iterator_traitsISE_E10value_typeEPNSK_ISF_E10value_typeEPSG_NS1_7vsmem_tEENKUlT_SE_SF_SG_E_clIS8_S8_S9_S9_EESD_ST_SE_SF_SG_EUlST_E1_NS1_11comp_targetILNS1_3genE10ELNS1_11target_archE1201ELNS1_3gpuE5ELNS1_3repE0EEENS1_36merge_oddeven_config_static_selectorELNS0_4arch9wavefront6targetE0EEEvSF_: ; @_ZN7rocprim17ROCPRIM_400000_NS6detail17trampoline_kernelINS0_14default_configENS1_38merge_sort_block_merge_config_selectorIbNS0_10empty_typeEEEZZNS1_27merge_sort_block_merge_implIS3_PbPS5_jNS1_19radix_merge_compareILb0ELb0EbNS0_19identity_decomposerEEEEE10hipError_tT0_T1_T2_jT3_P12ihipStream_tbPNSt15iterator_traitsISE_E10value_typeEPNSK_ISF_E10value_typeEPSG_NS1_7vsmem_tEENKUlT_SE_SF_SG_E_clIS8_S8_S9_S9_EESD_ST_SE_SF_SG_EUlST_E1_NS1_11comp_targetILNS1_3genE10ELNS1_11target_archE1201ELNS1_3gpuE5ELNS1_3repE0EEENS1_36merge_oddeven_config_static_selectorELNS0_4arch9wavefront6targetE0EEEvSF_
; %bb.0:
	.section	.rodata,"a",@progbits
	.p2align	6, 0x0
	.amdhsa_kernel _ZN7rocprim17ROCPRIM_400000_NS6detail17trampoline_kernelINS0_14default_configENS1_38merge_sort_block_merge_config_selectorIbNS0_10empty_typeEEEZZNS1_27merge_sort_block_merge_implIS3_PbPS5_jNS1_19radix_merge_compareILb0ELb0EbNS0_19identity_decomposerEEEEE10hipError_tT0_T1_T2_jT3_P12ihipStream_tbPNSt15iterator_traitsISE_E10value_typeEPNSK_ISF_E10value_typeEPSG_NS1_7vsmem_tEENKUlT_SE_SF_SG_E_clIS8_S8_S9_S9_EESD_ST_SE_SF_SG_EUlST_E1_NS1_11comp_targetILNS1_3genE10ELNS1_11target_archE1201ELNS1_3gpuE5ELNS1_3repE0EEENS1_36merge_oddeven_config_static_selectorELNS0_4arch9wavefront6targetE0EEEvSF_
		.amdhsa_group_segment_fixed_size 0
		.amdhsa_private_segment_fixed_size 0
		.amdhsa_kernarg_size 48
		.amdhsa_user_sgpr_count 2
		.amdhsa_user_sgpr_dispatch_ptr 0
		.amdhsa_user_sgpr_queue_ptr 0
		.amdhsa_user_sgpr_kernarg_segment_ptr 1
		.amdhsa_user_sgpr_dispatch_id 0
		.amdhsa_user_sgpr_kernarg_preload_length 0
		.amdhsa_user_sgpr_kernarg_preload_offset 0
		.amdhsa_user_sgpr_private_segment_size 0
		.amdhsa_wavefront_size32 1
		.amdhsa_uses_dynamic_stack 0
		.amdhsa_enable_private_segment 0
		.amdhsa_system_sgpr_workgroup_id_x 1
		.amdhsa_system_sgpr_workgroup_id_y 0
		.amdhsa_system_sgpr_workgroup_id_z 0
		.amdhsa_system_sgpr_workgroup_info 0
		.amdhsa_system_vgpr_workitem_id 0
		.amdhsa_next_free_vgpr 1
		.amdhsa_next_free_sgpr 1
		.amdhsa_named_barrier_count 0
		.amdhsa_reserve_vcc 0
		.amdhsa_float_round_mode_32 0
		.amdhsa_float_round_mode_16_64 0
		.amdhsa_float_denorm_mode_32 3
		.amdhsa_float_denorm_mode_16_64 3
		.amdhsa_fp16_overflow 0
		.amdhsa_memory_ordered 1
		.amdhsa_forward_progress 1
		.amdhsa_inst_pref_size 0
		.amdhsa_round_robin_scheduling 0
		.amdhsa_exception_fp_ieee_invalid_op 0
		.amdhsa_exception_fp_denorm_src 0
		.amdhsa_exception_fp_ieee_div_zero 0
		.amdhsa_exception_fp_ieee_overflow 0
		.amdhsa_exception_fp_ieee_underflow 0
		.amdhsa_exception_fp_ieee_inexact 0
		.amdhsa_exception_int_div_zero 0
	.end_amdhsa_kernel
	.section	.text._ZN7rocprim17ROCPRIM_400000_NS6detail17trampoline_kernelINS0_14default_configENS1_38merge_sort_block_merge_config_selectorIbNS0_10empty_typeEEEZZNS1_27merge_sort_block_merge_implIS3_PbPS5_jNS1_19radix_merge_compareILb0ELb0EbNS0_19identity_decomposerEEEEE10hipError_tT0_T1_T2_jT3_P12ihipStream_tbPNSt15iterator_traitsISE_E10value_typeEPNSK_ISF_E10value_typeEPSG_NS1_7vsmem_tEENKUlT_SE_SF_SG_E_clIS8_S8_S9_S9_EESD_ST_SE_SF_SG_EUlST_E1_NS1_11comp_targetILNS1_3genE10ELNS1_11target_archE1201ELNS1_3gpuE5ELNS1_3repE0EEENS1_36merge_oddeven_config_static_selectorELNS0_4arch9wavefront6targetE0EEEvSF_,"axG",@progbits,_ZN7rocprim17ROCPRIM_400000_NS6detail17trampoline_kernelINS0_14default_configENS1_38merge_sort_block_merge_config_selectorIbNS0_10empty_typeEEEZZNS1_27merge_sort_block_merge_implIS3_PbPS5_jNS1_19radix_merge_compareILb0ELb0EbNS0_19identity_decomposerEEEEE10hipError_tT0_T1_T2_jT3_P12ihipStream_tbPNSt15iterator_traitsISE_E10value_typeEPNSK_ISF_E10value_typeEPSG_NS1_7vsmem_tEENKUlT_SE_SF_SG_E_clIS8_S8_S9_S9_EESD_ST_SE_SF_SG_EUlST_E1_NS1_11comp_targetILNS1_3genE10ELNS1_11target_archE1201ELNS1_3gpuE5ELNS1_3repE0EEENS1_36merge_oddeven_config_static_selectorELNS0_4arch9wavefront6targetE0EEEvSF_,comdat
.Lfunc_end1803:
	.size	_ZN7rocprim17ROCPRIM_400000_NS6detail17trampoline_kernelINS0_14default_configENS1_38merge_sort_block_merge_config_selectorIbNS0_10empty_typeEEEZZNS1_27merge_sort_block_merge_implIS3_PbPS5_jNS1_19radix_merge_compareILb0ELb0EbNS0_19identity_decomposerEEEEE10hipError_tT0_T1_T2_jT3_P12ihipStream_tbPNSt15iterator_traitsISE_E10value_typeEPNSK_ISF_E10value_typeEPSG_NS1_7vsmem_tEENKUlT_SE_SF_SG_E_clIS8_S8_S9_S9_EESD_ST_SE_SF_SG_EUlST_E1_NS1_11comp_targetILNS1_3genE10ELNS1_11target_archE1201ELNS1_3gpuE5ELNS1_3repE0EEENS1_36merge_oddeven_config_static_selectorELNS0_4arch9wavefront6targetE0EEEvSF_, .Lfunc_end1803-_ZN7rocprim17ROCPRIM_400000_NS6detail17trampoline_kernelINS0_14default_configENS1_38merge_sort_block_merge_config_selectorIbNS0_10empty_typeEEEZZNS1_27merge_sort_block_merge_implIS3_PbPS5_jNS1_19radix_merge_compareILb0ELb0EbNS0_19identity_decomposerEEEEE10hipError_tT0_T1_T2_jT3_P12ihipStream_tbPNSt15iterator_traitsISE_E10value_typeEPNSK_ISF_E10value_typeEPSG_NS1_7vsmem_tEENKUlT_SE_SF_SG_E_clIS8_S8_S9_S9_EESD_ST_SE_SF_SG_EUlST_E1_NS1_11comp_targetILNS1_3genE10ELNS1_11target_archE1201ELNS1_3gpuE5ELNS1_3repE0EEENS1_36merge_oddeven_config_static_selectorELNS0_4arch9wavefront6targetE0EEEvSF_
                                        ; -- End function
	.set _ZN7rocprim17ROCPRIM_400000_NS6detail17trampoline_kernelINS0_14default_configENS1_38merge_sort_block_merge_config_selectorIbNS0_10empty_typeEEEZZNS1_27merge_sort_block_merge_implIS3_PbPS5_jNS1_19radix_merge_compareILb0ELb0EbNS0_19identity_decomposerEEEEE10hipError_tT0_T1_T2_jT3_P12ihipStream_tbPNSt15iterator_traitsISE_E10value_typeEPNSK_ISF_E10value_typeEPSG_NS1_7vsmem_tEENKUlT_SE_SF_SG_E_clIS8_S8_S9_S9_EESD_ST_SE_SF_SG_EUlST_E1_NS1_11comp_targetILNS1_3genE10ELNS1_11target_archE1201ELNS1_3gpuE5ELNS1_3repE0EEENS1_36merge_oddeven_config_static_selectorELNS0_4arch9wavefront6targetE0EEEvSF_.num_vgpr, 0
	.set _ZN7rocprim17ROCPRIM_400000_NS6detail17trampoline_kernelINS0_14default_configENS1_38merge_sort_block_merge_config_selectorIbNS0_10empty_typeEEEZZNS1_27merge_sort_block_merge_implIS3_PbPS5_jNS1_19radix_merge_compareILb0ELb0EbNS0_19identity_decomposerEEEEE10hipError_tT0_T1_T2_jT3_P12ihipStream_tbPNSt15iterator_traitsISE_E10value_typeEPNSK_ISF_E10value_typeEPSG_NS1_7vsmem_tEENKUlT_SE_SF_SG_E_clIS8_S8_S9_S9_EESD_ST_SE_SF_SG_EUlST_E1_NS1_11comp_targetILNS1_3genE10ELNS1_11target_archE1201ELNS1_3gpuE5ELNS1_3repE0EEENS1_36merge_oddeven_config_static_selectorELNS0_4arch9wavefront6targetE0EEEvSF_.num_agpr, 0
	.set _ZN7rocprim17ROCPRIM_400000_NS6detail17trampoline_kernelINS0_14default_configENS1_38merge_sort_block_merge_config_selectorIbNS0_10empty_typeEEEZZNS1_27merge_sort_block_merge_implIS3_PbPS5_jNS1_19radix_merge_compareILb0ELb0EbNS0_19identity_decomposerEEEEE10hipError_tT0_T1_T2_jT3_P12ihipStream_tbPNSt15iterator_traitsISE_E10value_typeEPNSK_ISF_E10value_typeEPSG_NS1_7vsmem_tEENKUlT_SE_SF_SG_E_clIS8_S8_S9_S9_EESD_ST_SE_SF_SG_EUlST_E1_NS1_11comp_targetILNS1_3genE10ELNS1_11target_archE1201ELNS1_3gpuE5ELNS1_3repE0EEENS1_36merge_oddeven_config_static_selectorELNS0_4arch9wavefront6targetE0EEEvSF_.numbered_sgpr, 0
	.set _ZN7rocprim17ROCPRIM_400000_NS6detail17trampoline_kernelINS0_14default_configENS1_38merge_sort_block_merge_config_selectorIbNS0_10empty_typeEEEZZNS1_27merge_sort_block_merge_implIS3_PbPS5_jNS1_19radix_merge_compareILb0ELb0EbNS0_19identity_decomposerEEEEE10hipError_tT0_T1_T2_jT3_P12ihipStream_tbPNSt15iterator_traitsISE_E10value_typeEPNSK_ISF_E10value_typeEPSG_NS1_7vsmem_tEENKUlT_SE_SF_SG_E_clIS8_S8_S9_S9_EESD_ST_SE_SF_SG_EUlST_E1_NS1_11comp_targetILNS1_3genE10ELNS1_11target_archE1201ELNS1_3gpuE5ELNS1_3repE0EEENS1_36merge_oddeven_config_static_selectorELNS0_4arch9wavefront6targetE0EEEvSF_.num_named_barrier, 0
	.set _ZN7rocprim17ROCPRIM_400000_NS6detail17trampoline_kernelINS0_14default_configENS1_38merge_sort_block_merge_config_selectorIbNS0_10empty_typeEEEZZNS1_27merge_sort_block_merge_implIS3_PbPS5_jNS1_19radix_merge_compareILb0ELb0EbNS0_19identity_decomposerEEEEE10hipError_tT0_T1_T2_jT3_P12ihipStream_tbPNSt15iterator_traitsISE_E10value_typeEPNSK_ISF_E10value_typeEPSG_NS1_7vsmem_tEENKUlT_SE_SF_SG_E_clIS8_S8_S9_S9_EESD_ST_SE_SF_SG_EUlST_E1_NS1_11comp_targetILNS1_3genE10ELNS1_11target_archE1201ELNS1_3gpuE5ELNS1_3repE0EEENS1_36merge_oddeven_config_static_selectorELNS0_4arch9wavefront6targetE0EEEvSF_.private_seg_size, 0
	.set _ZN7rocprim17ROCPRIM_400000_NS6detail17trampoline_kernelINS0_14default_configENS1_38merge_sort_block_merge_config_selectorIbNS0_10empty_typeEEEZZNS1_27merge_sort_block_merge_implIS3_PbPS5_jNS1_19radix_merge_compareILb0ELb0EbNS0_19identity_decomposerEEEEE10hipError_tT0_T1_T2_jT3_P12ihipStream_tbPNSt15iterator_traitsISE_E10value_typeEPNSK_ISF_E10value_typeEPSG_NS1_7vsmem_tEENKUlT_SE_SF_SG_E_clIS8_S8_S9_S9_EESD_ST_SE_SF_SG_EUlST_E1_NS1_11comp_targetILNS1_3genE10ELNS1_11target_archE1201ELNS1_3gpuE5ELNS1_3repE0EEENS1_36merge_oddeven_config_static_selectorELNS0_4arch9wavefront6targetE0EEEvSF_.uses_vcc, 0
	.set _ZN7rocprim17ROCPRIM_400000_NS6detail17trampoline_kernelINS0_14default_configENS1_38merge_sort_block_merge_config_selectorIbNS0_10empty_typeEEEZZNS1_27merge_sort_block_merge_implIS3_PbPS5_jNS1_19radix_merge_compareILb0ELb0EbNS0_19identity_decomposerEEEEE10hipError_tT0_T1_T2_jT3_P12ihipStream_tbPNSt15iterator_traitsISE_E10value_typeEPNSK_ISF_E10value_typeEPSG_NS1_7vsmem_tEENKUlT_SE_SF_SG_E_clIS8_S8_S9_S9_EESD_ST_SE_SF_SG_EUlST_E1_NS1_11comp_targetILNS1_3genE10ELNS1_11target_archE1201ELNS1_3gpuE5ELNS1_3repE0EEENS1_36merge_oddeven_config_static_selectorELNS0_4arch9wavefront6targetE0EEEvSF_.uses_flat_scratch, 0
	.set _ZN7rocprim17ROCPRIM_400000_NS6detail17trampoline_kernelINS0_14default_configENS1_38merge_sort_block_merge_config_selectorIbNS0_10empty_typeEEEZZNS1_27merge_sort_block_merge_implIS3_PbPS5_jNS1_19radix_merge_compareILb0ELb0EbNS0_19identity_decomposerEEEEE10hipError_tT0_T1_T2_jT3_P12ihipStream_tbPNSt15iterator_traitsISE_E10value_typeEPNSK_ISF_E10value_typeEPSG_NS1_7vsmem_tEENKUlT_SE_SF_SG_E_clIS8_S8_S9_S9_EESD_ST_SE_SF_SG_EUlST_E1_NS1_11comp_targetILNS1_3genE10ELNS1_11target_archE1201ELNS1_3gpuE5ELNS1_3repE0EEENS1_36merge_oddeven_config_static_selectorELNS0_4arch9wavefront6targetE0EEEvSF_.has_dyn_sized_stack, 0
	.set _ZN7rocprim17ROCPRIM_400000_NS6detail17trampoline_kernelINS0_14default_configENS1_38merge_sort_block_merge_config_selectorIbNS0_10empty_typeEEEZZNS1_27merge_sort_block_merge_implIS3_PbPS5_jNS1_19radix_merge_compareILb0ELb0EbNS0_19identity_decomposerEEEEE10hipError_tT0_T1_T2_jT3_P12ihipStream_tbPNSt15iterator_traitsISE_E10value_typeEPNSK_ISF_E10value_typeEPSG_NS1_7vsmem_tEENKUlT_SE_SF_SG_E_clIS8_S8_S9_S9_EESD_ST_SE_SF_SG_EUlST_E1_NS1_11comp_targetILNS1_3genE10ELNS1_11target_archE1201ELNS1_3gpuE5ELNS1_3repE0EEENS1_36merge_oddeven_config_static_selectorELNS0_4arch9wavefront6targetE0EEEvSF_.has_recursion, 0
	.set _ZN7rocprim17ROCPRIM_400000_NS6detail17trampoline_kernelINS0_14default_configENS1_38merge_sort_block_merge_config_selectorIbNS0_10empty_typeEEEZZNS1_27merge_sort_block_merge_implIS3_PbPS5_jNS1_19radix_merge_compareILb0ELb0EbNS0_19identity_decomposerEEEEE10hipError_tT0_T1_T2_jT3_P12ihipStream_tbPNSt15iterator_traitsISE_E10value_typeEPNSK_ISF_E10value_typeEPSG_NS1_7vsmem_tEENKUlT_SE_SF_SG_E_clIS8_S8_S9_S9_EESD_ST_SE_SF_SG_EUlST_E1_NS1_11comp_targetILNS1_3genE10ELNS1_11target_archE1201ELNS1_3gpuE5ELNS1_3repE0EEENS1_36merge_oddeven_config_static_selectorELNS0_4arch9wavefront6targetE0EEEvSF_.has_indirect_call, 0
	.section	.AMDGPU.csdata,"",@progbits
; Kernel info:
; codeLenInByte = 0
; TotalNumSgprs: 0
; NumVgprs: 0
; ScratchSize: 0
; MemoryBound: 0
; FloatMode: 240
; IeeeMode: 1
; LDSByteSize: 0 bytes/workgroup (compile time only)
; SGPRBlocks: 0
; VGPRBlocks: 0
; NumSGPRsForWavesPerEU: 1
; NumVGPRsForWavesPerEU: 1
; NamedBarCnt: 0
; Occupancy: 16
; WaveLimiterHint : 0
; COMPUTE_PGM_RSRC2:SCRATCH_EN: 0
; COMPUTE_PGM_RSRC2:USER_SGPR: 2
; COMPUTE_PGM_RSRC2:TRAP_HANDLER: 0
; COMPUTE_PGM_RSRC2:TGID_X_EN: 1
; COMPUTE_PGM_RSRC2:TGID_Y_EN: 0
; COMPUTE_PGM_RSRC2:TGID_Z_EN: 0
; COMPUTE_PGM_RSRC2:TIDIG_COMP_CNT: 0
	.section	.text._ZN7rocprim17ROCPRIM_400000_NS6detail17trampoline_kernelINS0_14default_configENS1_38merge_sort_block_merge_config_selectorIbNS0_10empty_typeEEEZZNS1_27merge_sort_block_merge_implIS3_PbPS5_jNS1_19radix_merge_compareILb0ELb0EbNS0_19identity_decomposerEEEEE10hipError_tT0_T1_T2_jT3_P12ihipStream_tbPNSt15iterator_traitsISE_E10value_typeEPNSK_ISF_E10value_typeEPSG_NS1_7vsmem_tEENKUlT_SE_SF_SG_E_clIS8_S8_S9_S9_EESD_ST_SE_SF_SG_EUlST_E1_NS1_11comp_targetILNS1_3genE5ELNS1_11target_archE942ELNS1_3gpuE9ELNS1_3repE0EEENS1_36merge_oddeven_config_static_selectorELNS0_4arch9wavefront6targetE0EEEvSF_,"axG",@progbits,_ZN7rocprim17ROCPRIM_400000_NS6detail17trampoline_kernelINS0_14default_configENS1_38merge_sort_block_merge_config_selectorIbNS0_10empty_typeEEEZZNS1_27merge_sort_block_merge_implIS3_PbPS5_jNS1_19radix_merge_compareILb0ELb0EbNS0_19identity_decomposerEEEEE10hipError_tT0_T1_T2_jT3_P12ihipStream_tbPNSt15iterator_traitsISE_E10value_typeEPNSK_ISF_E10value_typeEPSG_NS1_7vsmem_tEENKUlT_SE_SF_SG_E_clIS8_S8_S9_S9_EESD_ST_SE_SF_SG_EUlST_E1_NS1_11comp_targetILNS1_3genE5ELNS1_11target_archE942ELNS1_3gpuE9ELNS1_3repE0EEENS1_36merge_oddeven_config_static_selectorELNS0_4arch9wavefront6targetE0EEEvSF_,comdat
	.protected	_ZN7rocprim17ROCPRIM_400000_NS6detail17trampoline_kernelINS0_14default_configENS1_38merge_sort_block_merge_config_selectorIbNS0_10empty_typeEEEZZNS1_27merge_sort_block_merge_implIS3_PbPS5_jNS1_19radix_merge_compareILb0ELb0EbNS0_19identity_decomposerEEEEE10hipError_tT0_T1_T2_jT3_P12ihipStream_tbPNSt15iterator_traitsISE_E10value_typeEPNSK_ISF_E10value_typeEPSG_NS1_7vsmem_tEENKUlT_SE_SF_SG_E_clIS8_S8_S9_S9_EESD_ST_SE_SF_SG_EUlST_E1_NS1_11comp_targetILNS1_3genE5ELNS1_11target_archE942ELNS1_3gpuE9ELNS1_3repE0EEENS1_36merge_oddeven_config_static_selectorELNS0_4arch9wavefront6targetE0EEEvSF_ ; -- Begin function _ZN7rocprim17ROCPRIM_400000_NS6detail17trampoline_kernelINS0_14default_configENS1_38merge_sort_block_merge_config_selectorIbNS0_10empty_typeEEEZZNS1_27merge_sort_block_merge_implIS3_PbPS5_jNS1_19radix_merge_compareILb0ELb0EbNS0_19identity_decomposerEEEEE10hipError_tT0_T1_T2_jT3_P12ihipStream_tbPNSt15iterator_traitsISE_E10value_typeEPNSK_ISF_E10value_typeEPSG_NS1_7vsmem_tEENKUlT_SE_SF_SG_E_clIS8_S8_S9_S9_EESD_ST_SE_SF_SG_EUlST_E1_NS1_11comp_targetILNS1_3genE5ELNS1_11target_archE942ELNS1_3gpuE9ELNS1_3repE0EEENS1_36merge_oddeven_config_static_selectorELNS0_4arch9wavefront6targetE0EEEvSF_
	.globl	_ZN7rocprim17ROCPRIM_400000_NS6detail17trampoline_kernelINS0_14default_configENS1_38merge_sort_block_merge_config_selectorIbNS0_10empty_typeEEEZZNS1_27merge_sort_block_merge_implIS3_PbPS5_jNS1_19radix_merge_compareILb0ELb0EbNS0_19identity_decomposerEEEEE10hipError_tT0_T1_T2_jT3_P12ihipStream_tbPNSt15iterator_traitsISE_E10value_typeEPNSK_ISF_E10value_typeEPSG_NS1_7vsmem_tEENKUlT_SE_SF_SG_E_clIS8_S8_S9_S9_EESD_ST_SE_SF_SG_EUlST_E1_NS1_11comp_targetILNS1_3genE5ELNS1_11target_archE942ELNS1_3gpuE9ELNS1_3repE0EEENS1_36merge_oddeven_config_static_selectorELNS0_4arch9wavefront6targetE0EEEvSF_
	.p2align	8
	.type	_ZN7rocprim17ROCPRIM_400000_NS6detail17trampoline_kernelINS0_14default_configENS1_38merge_sort_block_merge_config_selectorIbNS0_10empty_typeEEEZZNS1_27merge_sort_block_merge_implIS3_PbPS5_jNS1_19radix_merge_compareILb0ELb0EbNS0_19identity_decomposerEEEEE10hipError_tT0_T1_T2_jT3_P12ihipStream_tbPNSt15iterator_traitsISE_E10value_typeEPNSK_ISF_E10value_typeEPSG_NS1_7vsmem_tEENKUlT_SE_SF_SG_E_clIS8_S8_S9_S9_EESD_ST_SE_SF_SG_EUlST_E1_NS1_11comp_targetILNS1_3genE5ELNS1_11target_archE942ELNS1_3gpuE9ELNS1_3repE0EEENS1_36merge_oddeven_config_static_selectorELNS0_4arch9wavefront6targetE0EEEvSF_,@function
_ZN7rocprim17ROCPRIM_400000_NS6detail17trampoline_kernelINS0_14default_configENS1_38merge_sort_block_merge_config_selectorIbNS0_10empty_typeEEEZZNS1_27merge_sort_block_merge_implIS3_PbPS5_jNS1_19radix_merge_compareILb0ELb0EbNS0_19identity_decomposerEEEEE10hipError_tT0_T1_T2_jT3_P12ihipStream_tbPNSt15iterator_traitsISE_E10value_typeEPNSK_ISF_E10value_typeEPSG_NS1_7vsmem_tEENKUlT_SE_SF_SG_E_clIS8_S8_S9_S9_EESD_ST_SE_SF_SG_EUlST_E1_NS1_11comp_targetILNS1_3genE5ELNS1_11target_archE942ELNS1_3gpuE9ELNS1_3repE0EEENS1_36merge_oddeven_config_static_selectorELNS0_4arch9wavefront6targetE0EEEvSF_: ; @_ZN7rocprim17ROCPRIM_400000_NS6detail17trampoline_kernelINS0_14default_configENS1_38merge_sort_block_merge_config_selectorIbNS0_10empty_typeEEEZZNS1_27merge_sort_block_merge_implIS3_PbPS5_jNS1_19radix_merge_compareILb0ELb0EbNS0_19identity_decomposerEEEEE10hipError_tT0_T1_T2_jT3_P12ihipStream_tbPNSt15iterator_traitsISE_E10value_typeEPNSK_ISF_E10value_typeEPSG_NS1_7vsmem_tEENKUlT_SE_SF_SG_E_clIS8_S8_S9_S9_EESD_ST_SE_SF_SG_EUlST_E1_NS1_11comp_targetILNS1_3genE5ELNS1_11target_archE942ELNS1_3gpuE9ELNS1_3repE0EEENS1_36merge_oddeven_config_static_selectorELNS0_4arch9wavefront6targetE0EEEvSF_
; %bb.0:
	.section	.rodata,"a",@progbits
	.p2align	6, 0x0
	.amdhsa_kernel _ZN7rocprim17ROCPRIM_400000_NS6detail17trampoline_kernelINS0_14default_configENS1_38merge_sort_block_merge_config_selectorIbNS0_10empty_typeEEEZZNS1_27merge_sort_block_merge_implIS3_PbPS5_jNS1_19radix_merge_compareILb0ELb0EbNS0_19identity_decomposerEEEEE10hipError_tT0_T1_T2_jT3_P12ihipStream_tbPNSt15iterator_traitsISE_E10value_typeEPNSK_ISF_E10value_typeEPSG_NS1_7vsmem_tEENKUlT_SE_SF_SG_E_clIS8_S8_S9_S9_EESD_ST_SE_SF_SG_EUlST_E1_NS1_11comp_targetILNS1_3genE5ELNS1_11target_archE942ELNS1_3gpuE9ELNS1_3repE0EEENS1_36merge_oddeven_config_static_selectorELNS0_4arch9wavefront6targetE0EEEvSF_
		.amdhsa_group_segment_fixed_size 0
		.amdhsa_private_segment_fixed_size 0
		.amdhsa_kernarg_size 48
		.amdhsa_user_sgpr_count 2
		.amdhsa_user_sgpr_dispatch_ptr 0
		.amdhsa_user_sgpr_queue_ptr 0
		.amdhsa_user_sgpr_kernarg_segment_ptr 1
		.amdhsa_user_sgpr_dispatch_id 0
		.amdhsa_user_sgpr_kernarg_preload_length 0
		.amdhsa_user_sgpr_kernarg_preload_offset 0
		.amdhsa_user_sgpr_private_segment_size 0
		.amdhsa_wavefront_size32 1
		.amdhsa_uses_dynamic_stack 0
		.amdhsa_enable_private_segment 0
		.amdhsa_system_sgpr_workgroup_id_x 1
		.amdhsa_system_sgpr_workgroup_id_y 0
		.amdhsa_system_sgpr_workgroup_id_z 0
		.amdhsa_system_sgpr_workgroup_info 0
		.amdhsa_system_vgpr_workitem_id 0
		.amdhsa_next_free_vgpr 1
		.amdhsa_next_free_sgpr 1
		.amdhsa_named_barrier_count 0
		.amdhsa_reserve_vcc 0
		.amdhsa_float_round_mode_32 0
		.amdhsa_float_round_mode_16_64 0
		.amdhsa_float_denorm_mode_32 3
		.amdhsa_float_denorm_mode_16_64 3
		.amdhsa_fp16_overflow 0
		.amdhsa_memory_ordered 1
		.amdhsa_forward_progress 1
		.amdhsa_inst_pref_size 0
		.amdhsa_round_robin_scheduling 0
		.amdhsa_exception_fp_ieee_invalid_op 0
		.amdhsa_exception_fp_denorm_src 0
		.amdhsa_exception_fp_ieee_div_zero 0
		.amdhsa_exception_fp_ieee_overflow 0
		.amdhsa_exception_fp_ieee_underflow 0
		.amdhsa_exception_fp_ieee_inexact 0
		.amdhsa_exception_int_div_zero 0
	.end_amdhsa_kernel
	.section	.text._ZN7rocprim17ROCPRIM_400000_NS6detail17trampoline_kernelINS0_14default_configENS1_38merge_sort_block_merge_config_selectorIbNS0_10empty_typeEEEZZNS1_27merge_sort_block_merge_implIS3_PbPS5_jNS1_19radix_merge_compareILb0ELb0EbNS0_19identity_decomposerEEEEE10hipError_tT0_T1_T2_jT3_P12ihipStream_tbPNSt15iterator_traitsISE_E10value_typeEPNSK_ISF_E10value_typeEPSG_NS1_7vsmem_tEENKUlT_SE_SF_SG_E_clIS8_S8_S9_S9_EESD_ST_SE_SF_SG_EUlST_E1_NS1_11comp_targetILNS1_3genE5ELNS1_11target_archE942ELNS1_3gpuE9ELNS1_3repE0EEENS1_36merge_oddeven_config_static_selectorELNS0_4arch9wavefront6targetE0EEEvSF_,"axG",@progbits,_ZN7rocprim17ROCPRIM_400000_NS6detail17trampoline_kernelINS0_14default_configENS1_38merge_sort_block_merge_config_selectorIbNS0_10empty_typeEEEZZNS1_27merge_sort_block_merge_implIS3_PbPS5_jNS1_19radix_merge_compareILb0ELb0EbNS0_19identity_decomposerEEEEE10hipError_tT0_T1_T2_jT3_P12ihipStream_tbPNSt15iterator_traitsISE_E10value_typeEPNSK_ISF_E10value_typeEPSG_NS1_7vsmem_tEENKUlT_SE_SF_SG_E_clIS8_S8_S9_S9_EESD_ST_SE_SF_SG_EUlST_E1_NS1_11comp_targetILNS1_3genE5ELNS1_11target_archE942ELNS1_3gpuE9ELNS1_3repE0EEENS1_36merge_oddeven_config_static_selectorELNS0_4arch9wavefront6targetE0EEEvSF_,comdat
.Lfunc_end1804:
	.size	_ZN7rocprim17ROCPRIM_400000_NS6detail17trampoline_kernelINS0_14default_configENS1_38merge_sort_block_merge_config_selectorIbNS0_10empty_typeEEEZZNS1_27merge_sort_block_merge_implIS3_PbPS5_jNS1_19radix_merge_compareILb0ELb0EbNS0_19identity_decomposerEEEEE10hipError_tT0_T1_T2_jT3_P12ihipStream_tbPNSt15iterator_traitsISE_E10value_typeEPNSK_ISF_E10value_typeEPSG_NS1_7vsmem_tEENKUlT_SE_SF_SG_E_clIS8_S8_S9_S9_EESD_ST_SE_SF_SG_EUlST_E1_NS1_11comp_targetILNS1_3genE5ELNS1_11target_archE942ELNS1_3gpuE9ELNS1_3repE0EEENS1_36merge_oddeven_config_static_selectorELNS0_4arch9wavefront6targetE0EEEvSF_, .Lfunc_end1804-_ZN7rocprim17ROCPRIM_400000_NS6detail17trampoline_kernelINS0_14default_configENS1_38merge_sort_block_merge_config_selectorIbNS0_10empty_typeEEEZZNS1_27merge_sort_block_merge_implIS3_PbPS5_jNS1_19radix_merge_compareILb0ELb0EbNS0_19identity_decomposerEEEEE10hipError_tT0_T1_T2_jT3_P12ihipStream_tbPNSt15iterator_traitsISE_E10value_typeEPNSK_ISF_E10value_typeEPSG_NS1_7vsmem_tEENKUlT_SE_SF_SG_E_clIS8_S8_S9_S9_EESD_ST_SE_SF_SG_EUlST_E1_NS1_11comp_targetILNS1_3genE5ELNS1_11target_archE942ELNS1_3gpuE9ELNS1_3repE0EEENS1_36merge_oddeven_config_static_selectorELNS0_4arch9wavefront6targetE0EEEvSF_
                                        ; -- End function
	.set _ZN7rocprim17ROCPRIM_400000_NS6detail17trampoline_kernelINS0_14default_configENS1_38merge_sort_block_merge_config_selectorIbNS0_10empty_typeEEEZZNS1_27merge_sort_block_merge_implIS3_PbPS5_jNS1_19radix_merge_compareILb0ELb0EbNS0_19identity_decomposerEEEEE10hipError_tT0_T1_T2_jT3_P12ihipStream_tbPNSt15iterator_traitsISE_E10value_typeEPNSK_ISF_E10value_typeEPSG_NS1_7vsmem_tEENKUlT_SE_SF_SG_E_clIS8_S8_S9_S9_EESD_ST_SE_SF_SG_EUlST_E1_NS1_11comp_targetILNS1_3genE5ELNS1_11target_archE942ELNS1_3gpuE9ELNS1_3repE0EEENS1_36merge_oddeven_config_static_selectorELNS0_4arch9wavefront6targetE0EEEvSF_.num_vgpr, 0
	.set _ZN7rocprim17ROCPRIM_400000_NS6detail17trampoline_kernelINS0_14default_configENS1_38merge_sort_block_merge_config_selectorIbNS0_10empty_typeEEEZZNS1_27merge_sort_block_merge_implIS3_PbPS5_jNS1_19radix_merge_compareILb0ELb0EbNS0_19identity_decomposerEEEEE10hipError_tT0_T1_T2_jT3_P12ihipStream_tbPNSt15iterator_traitsISE_E10value_typeEPNSK_ISF_E10value_typeEPSG_NS1_7vsmem_tEENKUlT_SE_SF_SG_E_clIS8_S8_S9_S9_EESD_ST_SE_SF_SG_EUlST_E1_NS1_11comp_targetILNS1_3genE5ELNS1_11target_archE942ELNS1_3gpuE9ELNS1_3repE0EEENS1_36merge_oddeven_config_static_selectorELNS0_4arch9wavefront6targetE0EEEvSF_.num_agpr, 0
	.set _ZN7rocprim17ROCPRIM_400000_NS6detail17trampoline_kernelINS0_14default_configENS1_38merge_sort_block_merge_config_selectorIbNS0_10empty_typeEEEZZNS1_27merge_sort_block_merge_implIS3_PbPS5_jNS1_19radix_merge_compareILb0ELb0EbNS0_19identity_decomposerEEEEE10hipError_tT0_T1_T2_jT3_P12ihipStream_tbPNSt15iterator_traitsISE_E10value_typeEPNSK_ISF_E10value_typeEPSG_NS1_7vsmem_tEENKUlT_SE_SF_SG_E_clIS8_S8_S9_S9_EESD_ST_SE_SF_SG_EUlST_E1_NS1_11comp_targetILNS1_3genE5ELNS1_11target_archE942ELNS1_3gpuE9ELNS1_3repE0EEENS1_36merge_oddeven_config_static_selectorELNS0_4arch9wavefront6targetE0EEEvSF_.numbered_sgpr, 0
	.set _ZN7rocprim17ROCPRIM_400000_NS6detail17trampoline_kernelINS0_14default_configENS1_38merge_sort_block_merge_config_selectorIbNS0_10empty_typeEEEZZNS1_27merge_sort_block_merge_implIS3_PbPS5_jNS1_19radix_merge_compareILb0ELb0EbNS0_19identity_decomposerEEEEE10hipError_tT0_T1_T2_jT3_P12ihipStream_tbPNSt15iterator_traitsISE_E10value_typeEPNSK_ISF_E10value_typeEPSG_NS1_7vsmem_tEENKUlT_SE_SF_SG_E_clIS8_S8_S9_S9_EESD_ST_SE_SF_SG_EUlST_E1_NS1_11comp_targetILNS1_3genE5ELNS1_11target_archE942ELNS1_3gpuE9ELNS1_3repE0EEENS1_36merge_oddeven_config_static_selectorELNS0_4arch9wavefront6targetE0EEEvSF_.num_named_barrier, 0
	.set _ZN7rocprim17ROCPRIM_400000_NS6detail17trampoline_kernelINS0_14default_configENS1_38merge_sort_block_merge_config_selectorIbNS0_10empty_typeEEEZZNS1_27merge_sort_block_merge_implIS3_PbPS5_jNS1_19radix_merge_compareILb0ELb0EbNS0_19identity_decomposerEEEEE10hipError_tT0_T1_T2_jT3_P12ihipStream_tbPNSt15iterator_traitsISE_E10value_typeEPNSK_ISF_E10value_typeEPSG_NS1_7vsmem_tEENKUlT_SE_SF_SG_E_clIS8_S8_S9_S9_EESD_ST_SE_SF_SG_EUlST_E1_NS1_11comp_targetILNS1_3genE5ELNS1_11target_archE942ELNS1_3gpuE9ELNS1_3repE0EEENS1_36merge_oddeven_config_static_selectorELNS0_4arch9wavefront6targetE0EEEvSF_.private_seg_size, 0
	.set _ZN7rocprim17ROCPRIM_400000_NS6detail17trampoline_kernelINS0_14default_configENS1_38merge_sort_block_merge_config_selectorIbNS0_10empty_typeEEEZZNS1_27merge_sort_block_merge_implIS3_PbPS5_jNS1_19radix_merge_compareILb0ELb0EbNS0_19identity_decomposerEEEEE10hipError_tT0_T1_T2_jT3_P12ihipStream_tbPNSt15iterator_traitsISE_E10value_typeEPNSK_ISF_E10value_typeEPSG_NS1_7vsmem_tEENKUlT_SE_SF_SG_E_clIS8_S8_S9_S9_EESD_ST_SE_SF_SG_EUlST_E1_NS1_11comp_targetILNS1_3genE5ELNS1_11target_archE942ELNS1_3gpuE9ELNS1_3repE0EEENS1_36merge_oddeven_config_static_selectorELNS0_4arch9wavefront6targetE0EEEvSF_.uses_vcc, 0
	.set _ZN7rocprim17ROCPRIM_400000_NS6detail17trampoline_kernelINS0_14default_configENS1_38merge_sort_block_merge_config_selectorIbNS0_10empty_typeEEEZZNS1_27merge_sort_block_merge_implIS3_PbPS5_jNS1_19radix_merge_compareILb0ELb0EbNS0_19identity_decomposerEEEEE10hipError_tT0_T1_T2_jT3_P12ihipStream_tbPNSt15iterator_traitsISE_E10value_typeEPNSK_ISF_E10value_typeEPSG_NS1_7vsmem_tEENKUlT_SE_SF_SG_E_clIS8_S8_S9_S9_EESD_ST_SE_SF_SG_EUlST_E1_NS1_11comp_targetILNS1_3genE5ELNS1_11target_archE942ELNS1_3gpuE9ELNS1_3repE0EEENS1_36merge_oddeven_config_static_selectorELNS0_4arch9wavefront6targetE0EEEvSF_.uses_flat_scratch, 0
	.set _ZN7rocprim17ROCPRIM_400000_NS6detail17trampoline_kernelINS0_14default_configENS1_38merge_sort_block_merge_config_selectorIbNS0_10empty_typeEEEZZNS1_27merge_sort_block_merge_implIS3_PbPS5_jNS1_19radix_merge_compareILb0ELb0EbNS0_19identity_decomposerEEEEE10hipError_tT0_T1_T2_jT3_P12ihipStream_tbPNSt15iterator_traitsISE_E10value_typeEPNSK_ISF_E10value_typeEPSG_NS1_7vsmem_tEENKUlT_SE_SF_SG_E_clIS8_S8_S9_S9_EESD_ST_SE_SF_SG_EUlST_E1_NS1_11comp_targetILNS1_3genE5ELNS1_11target_archE942ELNS1_3gpuE9ELNS1_3repE0EEENS1_36merge_oddeven_config_static_selectorELNS0_4arch9wavefront6targetE0EEEvSF_.has_dyn_sized_stack, 0
	.set _ZN7rocprim17ROCPRIM_400000_NS6detail17trampoline_kernelINS0_14default_configENS1_38merge_sort_block_merge_config_selectorIbNS0_10empty_typeEEEZZNS1_27merge_sort_block_merge_implIS3_PbPS5_jNS1_19radix_merge_compareILb0ELb0EbNS0_19identity_decomposerEEEEE10hipError_tT0_T1_T2_jT3_P12ihipStream_tbPNSt15iterator_traitsISE_E10value_typeEPNSK_ISF_E10value_typeEPSG_NS1_7vsmem_tEENKUlT_SE_SF_SG_E_clIS8_S8_S9_S9_EESD_ST_SE_SF_SG_EUlST_E1_NS1_11comp_targetILNS1_3genE5ELNS1_11target_archE942ELNS1_3gpuE9ELNS1_3repE0EEENS1_36merge_oddeven_config_static_selectorELNS0_4arch9wavefront6targetE0EEEvSF_.has_recursion, 0
	.set _ZN7rocprim17ROCPRIM_400000_NS6detail17trampoline_kernelINS0_14default_configENS1_38merge_sort_block_merge_config_selectorIbNS0_10empty_typeEEEZZNS1_27merge_sort_block_merge_implIS3_PbPS5_jNS1_19radix_merge_compareILb0ELb0EbNS0_19identity_decomposerEEEEE10hipError_tT0_T1_T2_jT3_P12ihipStream_tbPNSt15iterator_traitsISE_E10value_typeEPNSK_ISF_E10value_typeEPSG_NS1_7vsmem_tEENKUlT_SE_SF_SG_E_clIS8_S8_S9_S9_EESD_ST_SE_SF_SG_EUlST_E1_NS1_11comp_targetILNS1_3genE5ELNS1_11target_archE942ELNS1_3gpuE9ELNS1_3repE0EEENS1_36merge_oddeven_config_static_selectorELNS0_4arch9wavefront6targetE0EEEvSF_.has_indirect_call, 0
	.section	.AMDGPU.csdata,"",@progbits
; Kernel info:
; codeLenInByte = 0
; TotalNumSgprs: 0
; NumVgprs: 0
; ScratchSize: 0
; MemoryBound: 0
; FloatMode: 240
; IeeeMode: 1
; LDSByteSize: 0 bytes/workgroup (compile time only)
; SGPRBlocks: 0
; VGPRBlocks: 0
; NumSGPRsForWavesPerEU: 1
; NumVGPRsForWavesPerEU: 1
; NamedBarCnt: 0
; Occupancy: 16
; WaveLimiterHint : 0
; COMPUTE_PGM_RSRC2:SCRATCH_EN: 0
; COMPUTE_PGM_RSRC2:USER_SGPR: 2
; COMPUTE_PGM_RSRC2:TRAP_HANDLER: 0
; COMPUTE_PGM_RSRC2:TGID_X_EN: 1
; COMPUTE_PGM_RSRC2:TGID_Y_EN: 0
; COMPUTE_PGM_RSRC2:TGID_Z_EN: 0
; COMPUTE_PGM_RSRC2:TIDIG_COMP_CNT: 0
	.section	.text._ZN7rocprim17ROCPRIM_400000_NS6detail17trampoline_kernelINS0_14default_configENS1_38merge_sort_block_merge_config_selectorIbNS0_10empty_typeEEEZZNS1_27merge_sort_block_merge_implIS3_PbPS5_jNS1_19radix_merge_compareILb0ELb0EbNS0_19identity_decomposerEEEEE10hipError_tT0_T1_T2_jT3_P12ihipStream_tbPNSt15iterator_traitsISE_E10value_typeEPNSK_ISF_E10value_typeEPSG_NS1_7vsmem_tEENKUlT_SE_SF_SG_E_clIS8_S8_S9_S9_EESD_ST_SE_SF_SG_EUlST_E1_NS1_11comp_targetILNS1_3genE4ELNS1_11target_archE910ELNS1_3gpuE8ELNS1_3repE0EEENS1_36merge_oddeven_config_static_selectorELNS0_4arch9wavefront6targetE0EEEvSF_,"axG",@progbits,_ZN7rocprim17ROCPRIM_400000_NS6detail17trampoline_kernelINS0_14default_configENS1_38merge_sort_block_merge_config_selectorIbNS0_10empty_typeEEEZZNS1_27merge_sort_block_merge_implIS3_PbPS5_jNS1_19radix_merge_compareILb0ELb0EbNS0_19identity_decomposerEEEEE10hipError_tT0_T1_T2_jT3_P12ihipStream_tbPNSt15iterator_traitsISE_E10value_typeEPNSK_ISF_E10value_typeEPSG_NS1_7vsmem_tEENKUlT_SE_SF_SG_E_clIS8_S8_S9_S9_EESD_ST_SE_SF_SG_EUlST_E1_NS1_11comp_targetILNS1_3genE4ELNS1_11target_archE910ELNS1_3gpuE8ELNS1_3repE0EEENS1_36merge_oddeven_config_static_selectorELNS0_4arch9wavefront6targetE0EEEvSF_,comdat
	.protected	_ZN7rocprim17ROCPRIM_400000_NS6detail17trampoline_kernelINS0_14default_configENS1_38merge_sort_block_merge_config_selectorIbNS0_10empty_typeEEEZZNS1_27merge_sort_block_merge_implIS3_PbPS5_jNS1_19radix_merge_compareILb0ELb0EbNS0_19identity_decomposerEEEEE10hipError_tT0_T1_T2_jT3_P12ihipStream_tbPNSt15iterator_traitsISE_E10value_typeEPNSK_ISF_E10value_typeEPSG_NS1_7vsmem_tEENKUlT_SE_SF_SG_E_clIS8_S8_S9_S9_EESD_ST_SE_SF_SG_EUlST_E1_NS1_11comp_targetILNS1_3genE4ELNS1_11target_archE910ELNS1_3gpuE8ELNS1_3repE0EEENS1_36merge_oddeven_config_static_selectorELNS0_4arch9wavefront6targetE0EEEvSF_ ; -- Begin function _ZN7rocprim17ROCPRIM_400000_NS6detail17trampoline_kernelINS0_14default_configENS1_38merge_sort_block_merge_config_selectorIbNS0_10empty_typeEEEZZNS1_27merge_sort_block_merge_implIS3_PbPS5_jNS1_19radix_merge_compareILb0ELb0EbNS0_19identity_decomposerEEEEE10hipError_tT0_T1_T2_jT3_P12ihipStream_tbPNSt15iterator_traitsISE_E10value_typeEPNSK_ISF_E10value_typeEPSG_NS1_7vsmem_tEENKUlT_SE_SF_SG_E_clIS8_S8_S9_S9_EESD_ST_SE_SF_SG_EUlST_E1_NS1_11comp_targetILNS1_3genE4ELNS1_11target_archE910ELNS1_3gpuE8ELNS1_3repE0EEENS1_36merge_oddeven_config_static_selectorELNS0_4arch9wavefront6targetE0EEEvSF_
	.globl	_ZN7rocprim17ROCPRIM_400000_NS6detail17trampoline_kernelINS0_14default_configENS1_38merge_sort_block_merge_config_selectorIbNS0_10empty_typeEEEZZNS1_27merge_sort_block_merge_implIS3_PbPS5_jNS1_19radix_merge_compareILb0ELb0EbNS0_19identity_decomposerEEEEE10hipError_tT0_T1_T2_jT3_P12ihipStream_tbPNSt15iterator_traitsISE_E10value_typeEPNSK_ISF_E10value_typeEPSG_NS1_7vsmem_tEENKUlT_SE_SF_SG_E_clIS8_S8_S9_S9_EESD_ST_SE_SF_SG_EUlST_E1_NS1_11comp_targetILNS1_3genE4ELNS1_11target_archE910ELNS1_3gpuE8ELNS1_3repE0EEENS1_36merge_oddeven_config_static_selectorELNS0_4arch9wavefront6targetE0EEEvSF_
	.p2align	8
	.type	_ZN7rocprim17ROCPRIM_400000_NS6detail17trampoline_kernelINS0_14default_configENS1_38merge_sort_block_merge_config_selectorIbNS0_10empty_typeEEEZZNS1_27merge_sort_block_merge_implIS3_PbPS5_jNS1_19radix_merge_compareILb0ELb0EbNS0_19identity_decomposerEEEEE10hipError_tT0_T1_T2_jT3_P12ihipStream_tbPNSt15iterator_traitsISE_E10value_typeEPNSK_ISF_E10value_typeEPSG_NS1_7vsmem_tEENKUlT_SE_SF_SG_E_clIS8_S8_S9_S9_EESD_ST_SE_SF_SG_EUlST_E1_NS1_11comp_targetILNS1_3genE4ELNS1_11target_archE910ELNS1_3gpuE8ELNS1_3repE0EEENS1_36merge_oddeven_config_static_selectorELNS0_4arch9wavefront6targetE0EEEvSF_,@function
_ZN7rocprim17ROCPRIM_400000_NS6detail17trampoline_kernelINS0_14default_configENS1_38merge_sort_block_merge_config_selectorIbNS0_10empty_typeEEEZZNS1_27merge_sort_block_merge_implIS3_PbPS5_jNS1_19radix_merge_compareILb0ELb0EbNS0_19identity_decomposerEEEEE10hipError_tT0_T1_T2_jT3_P12ihipStream_tbPNSt15iterator_traitsISE_E10value_typeEPNSK_ISF_E10value_typeEPSG_NS1_7vsmem_tEENKUlT_SE_SF_SG_E_clIS8_S8_S9_S9_EESD_ST_SE_SF_SG_EUlST_E1_NS1_11comp_targetILNS1_3genE4ELNS1_11target_archE910ELNS1_3gpuE8ELNS1_3repE0EEENS1_36merge_oddeven_config_static_selectorELNS0_4arch9wavefront6targetE0EEEvSF_: ; @_ZN7rocprim17ROCPRIM_400000_NS6detail17trampoline_kernelINS0_14default_configENS1_38merge_sort_block_merge_config_selectorIbNS0_10empty_typeEEEZZNS1_27merge_sort_block_merge_implIS3_PbPS5_jNS1_19radix_merge_compareILb0ELb0EbNS0_19identity_decomposerEEEEE10hipError_tT0_T1_T2_jT3_P12ihipStream_tbPNSt15iterator_traitsISE_E10value_typeEPNSK_ISF_E10value_typeEPSG_NS1_7vsmem_tEENKUlT_SE_SF_SG_E_clIS8_S8_S9_S9_EESD_ST_SE_SF_SG_EUlST_E1_NS1_11comp_targetILNS1_3genE4ELNS1_11target_archE910ELNS1_3gpuE8ELNS1_3repE0EEENS1_36merge_oddeven_config_static_selectorELNS0_4arch9wavefront6targetE0EEEvSF_
; %bb.0:
	.section	.rodata,"a",@progbits
	.p2align	6, 0x0
	.amdhsa_kernel _ZN7rocprim17ROCPRIM_400000_NS6detail17trampoline_kernelINS0_14default_configENS1_38merge_sort_block_merge_config_selectorIbNS0_10empty_typeEEEZZNS1_27merge_sort_block_merge_implIS3_PbPS5_jNS1_19radix_merge_compareILb0ELb0EbNS0_19identity_decomposerEEEEE10hipError_tT0_T1_T2_jT3_P12ihipStream_tbPNSt15iterator_traitsISE_E10value_typeEPNSK_ISF_E10value_typeEPSG_NS1_7vsmem_tEENKUlT_SE_SF_SG_E_clIS8_S8_S9_S9_EESD_ST_SE_SF_SG_EUlST_E1_NS1_11comp_targetILNS1_3genE4ELNS1_11target_archE910ELNS1_3gpuE8ELNS1_3repE0EEENS1_36merge_oddeven_config_static_selectorELNS0_4arch9wavefront6targetE0EEEvSF_
		.amdhsa_group_segment_fixed_size 0
		.amdhsa_private_segment_fixed_size 0
		.amdhsa_kernarg_size 48
		.amdhsa_user_sgpr_count 2
		.amdhsa_user_sgpr_dispatch_ptr 0
		.amdhsa_user_sgpr_queue_ptr 0
		.amdhsa_user_sgpr_kernarg_segment_ptr 1
		.amdhsa_user_sgpr_dispatch_id 0
		.amdhsa_user_sgpr_kernarg_preload_length 0
		.amdhsa_user_sgpr_kernarg_preload_offset 0
		.amdhsa_user_sgpr_private_segment_size 0
		.amdhsa_wavefront_size32 1
		.amdhsa_uses_dynamic_stack 0
		.amdhsa_enable_private_segment 0
		.amdhsa_system_sgpr_workgroup_id_x 1
		.amdhsa_system_sgpr_workgroup_id_y 0
		.amdhsa_system_sgpr_workgroup_id_z 0
		.amdhsa_system_sgpr_workgroup_info 0
		.amdhsa_system_vgpr_workitem_id 0
		.amdhsa_next_free_vgpr 1
		.amdhsa_next_free_sgpr 1
		.amdhsa_named_barrier_count 0
		.amdhsa_reserve_vcc 0
		.amdhsa_float_round_mode_32 0
		.amdhsa_float_round_mode_16_64 0
		.amdhsa_float_denorm_mode_32 3
		.amdhsa_float_denorm_mode_16_64 3
		.amdhsa_fp16_overflow 0
		.amdhsa_memory_ordered 1
		.amdhsa_forward_progress 1
		.amdhsa_inst_pref_size 0
		.amdhsa_round_robin_scheduling 0
		.amdhsa_exception_fp_ieee_invalid_op 0
		.amdhsa_exception_fp_denorm_src 0
		.amdhsa_exception_fp_ieee_div_zero 0
		.amdhsa_exception_fp_ieee_overflow 0
		.amdhsa_exception_fp_ieee_underflow 0
		.amdhsa_exception_fp_ieee_inexact 0
		.amdhsa_exception_int_div_zero 0
	.end_amdhsa_kernel
	.section	.text._ZN7rocprim17ROCPRIM_400000_NS6detail17trampoline_kernelINS0_14default_configENS1_38merge_sort_block_merge_config_selectorIbNS0_10empty_typeEEEZZNS1_27merge_sort_block_merge_implIS3_PbPS5_jNS1_19radix_merge_compareILb0ELb0EbNS0_19identity_decomposerEEEEE10hipError_tT0_T1_T2_jT3_P12ihipStream_tbPNSt15iterator_traitsISE_E10value_typeEPNSK_ISF_E10value_typeEPSG_NS1_7vsmem_tEENKUlT_SE_SF_SG_E_clIS8_S8_S9_S9_EESD_ST_SE_SF_SG_EUlST_E1_NS1_11comp_targetILNS1_3genE4ELNS1_11target_archE910ELNS1_3gpuE8ELNS1_3repE0EEENS1_36merge_oddeven_config_static_selectorELNS0_4arch9wavefront6targetE0EEEvSF_,"axG",@progbits,_ZN7rocprim17ROCPRIM_400000_NS6detail17trampoline_kernelINS0_14default_configENS1_38merge_sort_block_merge_config_selectorIbNS0_10empty_typeEEEZZNS1_27merge_sort_block_merge_implIS3_PbPS5_jNS1_19radix_merge_compareILb0ELb0EbNS0_19identity_decomposerEEEEE10hipError_tT0_T1_T2_jT3_P12ihipStream_tbPNSt15iterator_traitsISE_E10value_typeEPNSK_ISF_E10value_typeEPSG_NS1_7vsmem_tEENKUlT_SE_SF_SG_E_clIS8_S8_S9_S9_EESD_ST_SE_SF_SG_EUlST_E1_NS1_11comp_targetILNS1_3genE4ELNS1_11target_archE910ELNS1_3gpuE8ELNS1_3repE0EEENS1_36merge_oddeven_config_static_selectorELNS0_4arch9wavefront6targetE0EEEvSF_,comdat
.Lfunc_end1805:
	.size	_ZN7rocprim17ROCPRIM_400000_NS6detail17trampoline_kernelINS0_14default_configENS1_38merge_sort_block_merge_config_selectorIbNS0_10empty_typeEEEZZNS1_27merge_sort_block_merge_implIS3_PbPS5_jNS1_19radix_merge_compareILb0ELb0EbNS0_19identity_decomposerEEEEE10hipError_tT0_T1_T2_jT3_P12ihipStream_tbPNSt15iterator_traitsISE_E10value_typeEPNSK_ISF_E10value_typeEPSG_NS1_7vsmem_tEENKUlT_SE_SF_SG_E_clIS8_S8_S9_S9_EESD_ST_SE_SF_SG_EUlST_E1_NS1_11comp_targetILNS1_3genE4ELNS1_11target_archE910ELNS1_3gpuE8ELNS1_3repE0EEENS1_36merge_oddeven_config_static_selectorELNS0_4arch9wavefront6targetE0EEEvSF_, .Lfunc_end1805-_ZN7rocprim17ROCPRIM_400000_NS6detail17trampoline_kernelINS0_14default_configENS1_38merge_sort_block_merge_config_selectorIbNS0_10empty_typeEEEZZNS1_27merge_sort_block_merge_implIS3_PbPS5_jNS1_19radix_merge_compareILb0ELb0EbNS0_19identity_decomposerEEEEE10hipError_tT0_T1_T2_jT3_P12ihipStream_tbPNSt15iterator_traitsISE_E10value_typeEPNSK_ISF_E10value_typeEPSG_NS1_7vsmem_tEENKUlT_SE_SF_SG_E_clIS8_S8_S9_S9_EESD_ST_SE_SF_SG_EUlST_E1_NS1_11comp_targetILNS1_3genE4ELNS1_11target_archE910ELNS1_3gpuE8ELNS1_3repE0EEENS1_36merge_oddeven_config_static_selectorELNS0_4arch9wavefront6targetE0EEEvSF_
                                        ; -- End function
	.set _ZN7rocprim17ROCPRIM_400000_NS6detail17trampoline_kernelINS0_14default_configENS1_38merge_sort_block_merge_config_selectorIbNS0_10empty_typeEEEZZNS1_27merge_sort_block_merge_implIS3_PbPS5_jNS1_19radix_merge_compareILb0ELb0EbNS0_19identity_decomposerEEEEE10hipError_tT0_T1_T2_jT3_P12ihipStream_tbPNSt15iterator_traitsISE_E10value_typeEPNSK_ISF_E10value_typeEPSG_NS1_7vsmem_tEENKUlT_SE_SF_SG_E_clIS8_S8_S9_S9_EESD_ST_SE_SF_SG_EUlST_E1_NS1_11comp_targetILNS1_3genE4ELNS1_11target_archE910ELNS1_3gpuE8ELNS1_3repE0EEENS1_36merge_oddeven_config_static_selectorELNS0_4arch9wavefront6targetE0EEEvSF_.num_vgpr, 0
	.set _ZN7rocprim17ROCPRIM_400000_NS6detail17trampoline_kernelINS0_14default_configENS1_38merge_sort_block_merge_config_selectorIbNS0_10empty_typeEEEZZNS1_27merge_sort_block_merge_implIS3_PbPS5_jNS1_19radix_merge_compareILb0ELb0EbNS0_19identity_decomposerEEEEE10hipError_tT0_T1_T2_jT3_P12ihipStream_tbPNSt15iterator_traitsISE_E10value_typeEPNSK_ISF_E10value_typeEPSG_NS1_7vsmem_tEENKUlT_SE_SF_SG_E_clIS8_S8_S9_S9_EESD_ST_SE_SF_SG_EUlST_E1_NS1_11comp_targetILNS1_3genE4ELNS1_11target_archE910ELNS1_3gpuE8ELNS1_3repE0EEENS1_36merge_oddeven_config_static_selectorELNS0_4arch9wavefront6targetE0EEEvSF_.num_agpr, 0
	.set _ZN7rocprim17ROCPRIM_400000_NS6detail17trampoline_kernelINS0_14default_configENS1_38merge_sort_block_merge_config_selectorIbNS0_10empty_typeEEEZZNS1_27merge_sort_block_merge_implIS3_PbPS5_jNS1_19radix_merge_compareILb0ELb0EbNS0_19identity_decomposerEEEEE10hipError_tT0_T1_T2_jT3_P12ihipStream_tbPNSt15iterator_traitsISE_E10value_typeEPNSK_ISF_E10value_typeEPSG_NS1_7vsmem_tEENKUlT_SE_SF_SG_E_clIS8_S8_S9_S9_EESD_ST_SE_SF_SG_EUlST_E1_NS1_11comp_targetILNS1_3genE4ELNS1_11target_archE910ELNS1_3gpuE8ELNS1_3repE0EEENS1_36merge_oddeven_config_static_selectorELNS0_4arch9wavefront6targetE0EEEvSF_.numbered_sgpr, 0
	.set _ZN7rocprim17ROCPRIM_400000_NS6detail17trampoline_kernelINS0_14default_configENS1_38merge_sort_block_merge_config_selectorIbNS0_10empty_typeEEEZZNS1_27merge_sort_block_merge_implIS3_PbPS5_jNS1_19radix_merge_compareILb0ELb0EbNS0_19identity_decomposerEEEEE10hipError_tT0_T1_T2_jT3_P12ihipStream_tbPNSt15iterator_traitsISE_E10value_typeEPNSK_ISF_E10value_typeEPSG_NS1_7vsmem_tEENKUlT_SE_SF_SG_E_clIS8_S8_S9_S9_EESD_ST_SE_SF_SG_EUlST_E1_NS1_11comp_targetILNS1_3genE4ELNS1_11target_archE910ELNS1_3gpuE8ELNS1_3repE0EEENS1_36merge_oddeven_config_static_selectorELNS0_4arch9wavefront6targetE0EEEvSF_.num_named_barrier, 0
	.set _ZN7rocprim17ROCPRIM_400000_NS6detail17trampoline_kernelINS0_14default_configENS1_38merge_sort_block_merge_config_selectorIbNS0_10empty_typeEEEZZNS1_27merge_sort_block_merge_implIS3_PbPS5_jNS1_19radix_merge_compareILb0ELb0EbNS0_19identity_decomposerEEEEE10hipError_tT0_T1_T2_jT3_P12ihipStream_tbPNSt15iterator_traitsISE_E10value_typeEPNSK_ISF_E10value_typeEPSG_NS1_7vsmem_tEENKUlT_SE_SF_SG_E_clIS8_S8_S9_S9_EESD_ST_SE_SF_SG_EUlST_E1_NS1_11comp_targetILNS1_3genE4ELNS1_11target_archE910ELNS1_3gpuE8ELNS1_3repE0EEENS1_36merge_oddeven_config_static_selectorELNS0_4arch9wavefront6targetE0EEEvSF_.private_seg_size, 0
	.set _ZN7rocprim17ROCPRIM_400000_NS6detail17trampoline_kernelINS0_14default_configENS1_38merge_sort_block_merge_config_selectorIbNS0_10empty_typeEEEZZNS1_27merge_sort_block_merge_implIS3_PbPS5_jNS1_19radix_merge_compareILb0ELb0EbNS0_19identity_decomposerEEEEE10hipError_tT0_T1_T2_jT3_P12ihipStream_tbPNSt15iterator_traitsISE_E10value_typeEPNSK_ISF_E10value_typeEPSG_NS1_7vsmem_tEENKUlT_SE_SF_SG_E_clIS8_S8_S9_S9_EESD_ST_SE_SF_SG_EUlST_E1_NS1_11comp_targetILNS1_3genE4ELNS1_11target_archE910ELNS1_3gpuE8ELNS1_3repE0EEENS1_36merge_oddeven_config_static_selectorELNS0_4arch9wavefront6targetE0EEEvSF_.uses_vcc, 0
	.set _ZN7rocprim17ROCPRIM_400000_NS6detail17trampoline_kernelINS0_14default_configENS1_38merge_sort_block_merge_config_selectorIbNS0_10empty_typeEEEZZNS1_27merge_sort_block_merge_implIS3_PbPS5_jNS1_19radix_merge_compareILb0ELb0EbNS0_19identity_decomposerEEEEE10hipError_tT0_T1_T2_jT3_P12ihipStream_tbPNSt15iterator_traitsISE_E10value_typeEPNSK_ISF_E10value_typeEPSG_NS1_7vsmem_tEENKUlT_SE_SF_SG_E_clIS8_S8_S9_S9_EESD_ST_SE_SF_SG_EUlST_E1_NS1_11comp_targetILNS1_3genE4ELNS1_11target_archE910ELNS1_3gpuE8ELNS1_3repE0EEENS1_36merge_oddeven_config_static_selectorELNS0_4arch9wavefront6targetE0EEEvSF_.uses_flat_scratch, 0
	.set _ZN7rocprim17ROCPRIM_400000_NS6detail17trampoline_kernelINS0_14default_configENS1_38merge_sort_block_merge_config_selectorIbNS0_10empty_typeEEEZZNS1_27merge_sort_block_merge_implIS3_PbPS5_jNS1_19radix_merge_compareILb0ELb0EbNS0_19identity_decomposerEEEEE10hipError_tT0_T1_T2_jT3_P12ihipStream_tbPNSt15iterator_traitsISE_E10value_typeEPNSK_ISF_E10value_typeEPSG_NS1_7vsmem_tEENKUlT_SE_SF_SG_E_clIS8_S8_S9_S9_EESD_ST_SE_SF_SG_EUlST_E1_NS1_11comp_targetILNS1_3genE4ELNS1_11target_archE910ELNS1_3gpuE8ELNS1_3repE0EEENS1_36merge_oddeven_config_static_selectorELNS0_4arch9wavefront6targetE0EEEvSF_.has_dyn_sized_stack, 0
	.set _ZN7rocprim17ROCPRIM_400000_NS6detail17trampoline_kernelINS0_14default_configENS1_38merge_sort_block_merge_config_selectorIbNS0_10empty_typeEEEZZNS1_27merge_sort_block_merge_implIS3_PbPS5_jNS1_19radix_merge_compareILb0ELb0EbNS0_19identity_decomposerEEEEE10hipError_tT0_T1_T2_jT3_P12ihipStream_tbPNSt15iterator_traitsISE_E10value_typeEPNSK_ISF_E10value_typeEPSG_NS1_7vsmem_tEENKUlT_SE_SF_SG_E_clIS8_S8_S9_S9_EESD_ST_SE_SF_SG_EUlST_E1_NS1_11comp_targetILNS1_3genE4ELNS1_11target_archE910ELNS1_3gpuE8ELNS1_3repE0EEENS1_36merge_oddeven_config_static_selectorELNS0_4arch9wavefront6targetE0EEEvSF_.has_recursion, 0
	.set _ZN7rocprim17ROCPRIM_400000_NS6detail17trampoline_kernelINS0_14default_configENS1_38merge_sort_block_merge_config_selectorIbNS0_10empty_typeEEEZZNS1_27merge_sort_block_merge_implIS3_PbPS5_jNS1_19radix_merge_compareILb0ELb0EbNS0_19identity_decomposerEEEEE10hipError_tT0_T1_T2_jT3_P12ihipStream_tbPNSt15iterator_traitsISE_E10value_typeEPNSK_ISF_E10value_typeEPSG_NS1_7vsmem_tEENKUlT_SE_SF_SG_E_clIS8_S8_S9_S9_EESD_ST_SE_SF_SG_EUlST_E1_NS1_11comp_targetILNS1_3genE4ELNS1_11target_archE910ELNS1_3gpuE8ELNS1_3repE0EEENS1_36merge_oddeven_config_static_selectorELNS0_4arch9wavefront6targetE0EEEvSF_.has_indirect_call, 0
	.section	.AMDGPU.csdata,"",@progbits
; Kernel info:
; codeLenInByte = 0
; TotalNumSgprs: 0
; NumVgprs: 0
; ScratchSize: 0
; MemoryBound: 0
; FloatMode: 240
; IeeeMode: 1
; LDSByteSize: 0 bytes/workgroup (compile time only)
; SGPRBlocks: 0
; VGPRBlocks: 0
; NumSGPRsForWavesPerEU: 1
; NumVGPRsForWavesPerEU: 1
; NamedBarCnt: 0
; Occupancy: 16
; WaveLimiterHint : 0
; COMPUTE_PGM_RSRC2:SCRATCH_EN: 0
; COMPUTE_PGM_RSRC2:USER_SGPR: 2
; COMPUTE_PGM_RSRC2:TRAP_HANDLER: 0
; COMPUTE_PGM_RSRC2:TGID_X_EN: 1
; COMPUTE_PGM_RSRC2:TGID_Y_EN: 0
; COMPUTE_PGM_RSRC2:TGID_Z_EN: 0
; COMPUTE_PGM_RSRC2:TIDIG_COMP_CNT: 0
	.section	.text._ZN7rocprim17ROCPRIM_400000_NS6detail17trampoline_kernelINS0_14default_configENS1_38merge_sort_block_merge_config_selectorIbNS0_10empty_typeEEEZZNS1_27merge_sort_block_merge_implIS3_PbPS5_jNS1_19radix_merge_compareILb0ELb0EbNS0_19identity_decomposerEEEEE10hipError_tT0_T1_T2_jT3_P12ihipStream_tbPNSt15iterator_traitsISE_E10value_typeEPNSK_ISF_E10value_typeEPSG_NS1_7vsmem_tEENKUlT_SE_SF_SG_E_clIS8_S8_S9_S9_EESD_ST_SE_SF_SG_EUlST_E1_NS1_11comp_targetILNS1_3genE3ELNS1_11target_archE908ELNS1_3gpuE7ELNS1_3repE0EEENS1_36merge_oddeven_config_static_selectorELNS0_4arch9wavefront6targetE0EEEvSF_,"axG",@progbits,_ZN7rocprim17ROCPRIM_400000_NS6detail17trampoline_kernelINS0_14default_configENS1_38merge_sort_block_merge_config_selectorIbNS0_10empty_typeEEEZZNS1_27merge_sort_block_merge_implIS3_PbPS5_jNS1_19radix_merge_compareILb0ELb0EbNS0_19identity_decomposerEEEEE10hipError_tT0_T1_T2_jT3_P12ihipStream_tbPNSt15iterator_traitsISE_E10value_typeEPNSK_ISF_E10value_typeEPSG_NS1_7vsmem_tEENKUlT_SE_SF_SG_E_clIS8_S8_S9_S9_EESD_ST_SE_SF_SG_EUlST_E1_NS1_11comp_targetILNS1_3genE3ELNS1_11target_archE908ELNS1_3gpuE7ELNS1_3repE0EEENS1_36merge_oddeven_config_static_selectorELNS0_4arch9wavefront6targetE0EEEvSF_,comdat
	.protected	_ZN7rocprim17ROCPRIM_400000_NS6detail17trampoline_kernelINS0_14default_configENS1_38merge_sort_block_merge_config_selectorIbNS0_10empty_typeEEEZZNS1_27merge_sort_block_merge_implIS3_PbPS5_jNS1_19radix_merge_compareILb0ELb0EbNS0_19identity_decomposerEEEEE10hipError_tT0_T1_T2_jT3_P12ihipStream_tbPNSt15iterator_traitsISE_E10value_typeEPNSK_ISF_E10value_typeEPSG_NS1_7vsmem_tEENKUlT_SE_SF_SG_E_clIS8_S8_S9_S9_EESD_ST_SE_SF_SG_EUlST_E1_NS1_11comp_targetILNS1_3genE3ELNS1_11target_archE908ELNS1_3gpuE7ELNS1_3repE0EEENS1_36merge_oddeven_config_static_selectorELNS0_4arch9wavefront6targetE0EEEvSF_ ; -- Begin function _ZN7rocprim17ROCPRIM_400000_NS6detail17trampoline_kernelINS0_14default_configENS1_38merge_sort_block_merge_config_selectorIbNS0_10empty_typeEEEZZNS1_27merge_sort_block_merge_implIS3_PbPS5_jNS1_19radix_merge_compareILb0ELb0EbNS0_19identity_decomposerEEEEE10hipError_tT0_T1_T2_jT3_P12ihipStream_tbPNSt15iterator_traitsISE_E10value_typeEPNSK_ISF_E10value_typeEPSG_NS1_7vsmem_tEENKUlT_SE_SF_SG_E_clIS8_S8_S9_S9_EESD_ST_SE_SF_SG_EUlST_E1_NS1_11comp_targetILNS1_3genE3ELNS1_11target_archE908ELNS1_3gpuE7ELNS1_3repE0EEENS1_36merge_oddeven_config_static_selectorELNS0_4arch9wavefront6targetE0EEEvSF_
	.globl	_ZN7rocprim17ROCPRIM_400000_NS6detail17trampoline_kernelINS0_14default_configENS1_38merge_sort_block_merge_config_selectorIbNS0_10empty_typeEEEZZNS1_27merge_sort_block_merge_implIS3_PbPS5_jNS1_19radix_merge_compareILb0ELb0EbNS0_19identity_decomposerEEEEE10hipError_tT0_T1_T2_jT3_P12ihipStream_tbPNSt15iterator_traitsISE_E10value_typeEPNSK_ISF_E10value_typeEPSG_NS1_7vsmem_tEENKUlT_SE_SF_SG_E_clIS8_S8_S9_S9_EESD_ST_SE_SF_SG_EUlST_E1_NS1_11comp_targetILNS1_3genE3ELNS1_11target_archE908ELNS1_3gpuE7ELNS1_3repE0EEENS1_36merge_oddeven_config_static_selectorELNS0_4arch9wavefront6targetE0EEEvSF_
	.p2align	8
	.type	_ZN7rocprim17ROCPRIM_400000_NS6detail17trampoline_kernelINS0_14default_configENS1_38merge_sort_block_merge_config_selectorIbNS0_10empty_typeEEEZZNS1_27merge_sort_block_merge_implIS3_PbPS5_jNS1_19radix_merge_compareILb0ELb0EbNS0_19identity_decomposerEEEEE10hipError_tT0_T1_T2_jT3_P12ihipStream_tbPNSt15iterator_traitsISE_E10value_typeEPNSK_ISF_E10value_typeEPSG_NS1_7vsmem_tEENKUlT_SE_SF_SG_E_clIS8_S8_S9_S9_EESD_ST_SE_SF_SG_EUlST_E1_NS1_11comp_targetILNS1_3genE3ELNS1_11target_archE908ELNS1_3gpuE7ELNS1_3repE0EEENS1_36merge_oddeven_config_static_selectorELNS0_4arch9wavefront6targetE0EEEvSF_,@function
_ZN7rocprim17ROCPRIM_400000_NS6detail17trampoline_kernelINS0_14default_configENS1_38merge_sort_block_merge_config_selectorIbNS0_10empty_typeEEEZZNS1_27merge_sort_block_merge_implIS3_PbPS5_jNS1_19radix_merge_compareILb0ELb0EbNS0_19identity_decomposerEEEEE10hipError_tT0_T1_T2_jT3_P12ihipStream_tbPNSt15iterator_traitsISE_E10value_typeEPNSK_ISF_E10value_typeEPSG_NS1_7vsmem_tEENKUlT_SE_SF_SG_E_clIS8_S8_S9_S9_EESD_ST_SE_SF_SG_EUlST_E1_NS1_11comp_targetILNS1_3genE3ELNS1_11target_archE908ELNS1_3gpuE7ELNS1_3repE0EEENS1_36merge_oddeven_config_static_selectorELNS0_4arch9wavefront6targetE0EEEvSF_: ; @_ZN7rocprim17ROCPRIM_400000_NS6detail17trampoline_kernelINS0_14default_configENS1_38merge_sort_block_merge_config_selectorIbNS0_10empty_typeEEEZZNS1_27merge_sort_block_merge_implIS3_PbPS5_jNS1_19radix_merge_compareILb0ELb0EbNS0_19identity_decomposerEEEEE10hipError_tT0_T1_T2_jT3_P12ihipStream_tbPNSt15iterator_traitsISE_E10value_typeEPNSK_ISF_E10value_typeEPSG_NS1_7vsmem_tEENKUlT_SE_SF_SG_E_clIS8_S8_S9_S9_EESD_ST_SE_SF_SG_EUlST_E1_NS1_11comp_targetILNS1_3genE3ELNS1_11target_archE908ELNS1_3gpuE7ELNS1_3repE0EEENS1_36merge_oddeven_config_static_selectorELNS0_4arch9wavefront6targetE0EEEvSF_
; %bb.0:
	.section	.rodata,"a",@progbits
	.p2align	6, 0x0
	.amdhsa_kernel _ZN7rocprim17ROCPRIM_400000_NS6detail17trampoline_kernelINS0_14default_configENS1_38merge_sort_block_merge_config_selectorIbNS0_10empty_typeEEEZZNS1_27merge_sort_block_merge_implIS3_PbPS5_jNS1_19radix_merge_compareILb0ELb0EbNS0_19identity_decomposerEEEEE10hipError_tT0_T1_T2_jT3_P12ihipStream_tbPNSt15iterator_traitsISE_E10value_typeEPNSK_ISF_E10value_typeEPSG_NS1_7vsmem_tEENKUlT_SE_SF_SG_E_clIS8_S8_S9_S9_EESD_ST_SE_SF_SG_EUlST_E1_NS1_11comp_targetILNS1_3genE3ELNS1_11target_archE908ELNS1_3gpuE7ELNS1_3repE0EEENS1_36merge_oddeven_config_static_selectorELNS0_4arch9wavefront6targetE0EEEvSF_
		.amdhsa_group_segment_fixed_size 0
		.amdhsa_private_segment_fixed_size 0
		.amdhsa_kernarg_size 48
		.amdhsa_user_sgpr_count 2
		.amdhsa_user_sgpr_dispatch_ptr 0
		.amdhsa_user_sgpr_queue_ptr 0
		.amdhsa_user_sgpr_kernarg_segment_ptr 1
		.amdhsa_user_sgpr_dispatch_id 0
		.amdhsa_user_sgpr_kernarg_preload_length 0
		.amdhsa_user_sgpr_kernarg_preload_offset 0
		.amdhsa_user_sgpr_private_segment_size 0
		.amdhsa_wavefront_size32 1
		.amdhsa_uses_dynamic_stack 0
		.amdhsa_enable_private_segment 0
		.amdhsa_system_sgpr_workgroup_id_x 1
		.amdhsa_system_sgpr_workgroup_id_y 0
		.amdhsa_system_sgpr_workgroup_id_z 0
		.amdhsa_system_sgpr_workgroup_info 0
		.amdhsa_system_vgpr_workitem_id 0
		.amdhsa_next_free_vgpr 1
		.amdhsa_next_free_sgpr 1
		.amdhsa_named_barrier_count 0
		.amdhsa_reserve_vcc 0
		.amdhsa_float_round_mode_32 0
		.amdhsa_float_round_mode_16_64 0
		.amdhsa_float_denorm_mode_32 3
		.amdhsa_float_denorm_mode_16_64 3
		.amdhsa_fp16_overflow 0
		.amdhsa_memory_ordered 1
		.amdhsa_forward_progress 1
		.amdhsa_inst_pref_size 0
		.amdhsa_round_robin_scheduling 0
		.amdhsa_exception_fp_ieee_invalid_op 0
		.amdhsa_exception_fp_denorm_src 0
		.amdhsa_exception_fp_ieee_div_zero 0
		.amdhsa_exception_fp_ieee_overflow 0
		.amdhsa_exception_fp_ieee_underflow 0
		.amdhsa_exception_fp_ieee_inexact 0
		.amdhsa_exception_int_div_zero 0
	.end_amdhsa_kernel
	.section	.text._ZN7rocprim17ROCPRIM_400000_NS6detail17trampoline_kernelINS0_14default_configENS1_38merge_sort_block_merge_config_selectorIbNS0_10empty_typeEEEZZNS1_27merge_sort_block_merge_implIS3_PbPS5_jNS1_19radix_merge_compareILb0ELb0EbNS0_19identity_decomposerEEEEE10hipError_tT0_T1_T2_jT3_P12ihipStream_tbPNSt15iterator_traitsISE_E10value_typeEPNSK_ISF_E10value_typeEPSG_NS1_7vsmem_tEENKUlT_SE_SF_SG_E_clIS8_S8_S9_S9_EESD_ST_SE_SF_SG_EUlST_E1_NS1_11comp_targetILNS1_3genE3ELNS1_11target_archE908ELNS1_3gpuE7ELNS1_3repE0EEENS1_36merge_oddeven_config_static_selectorELNS0_4arch9wavefront6targetE0EEEvSF_,"axG",@progbits,_ZN7rocprim17ROCPRIM_400000_NS6detail17trampoline_kernelINS0_14default_configENS1_38merge_sort_block_merge_config_selectorIbNS0_10empty_typeEEEZZNS1_27merge_sort_block_merge_implIS3_PbPS5_jNS1_19radix_merge_compareILb0ELb0EbNS0_19identity_decomposerEEEEE10hipError_tT0_T1_T2_jT3_P12ihipStream_tbPNSt15iterator_traitsISE_E10value_typeEPNSK_ISF_E10value_typeEPSG_NS1_7vsmem_tEENKUlT_SE_SF_SG_E_clIS8_S8_S9_S9_EESD_ST_SE_SF_SG_EUlST_E1_NS1_11comp_targetILNS1_3genE3ELNS1_11target_archE908ELNS1_3gpuE7ELNS1_3repE0EEENS1_36merge_oddeven_config_static_selectorELNS0_4arch9wavefront6targetE0EEEvSF_,comdat
.Lfunc_end1806:
	.size	_ZN7rocprim17ROCPRIM_400000_NS6detail17trampoline_kernelINS0_14default_configENS1_38merge_sort_block_merge_config_selectorIbNS0_10empty_typeEEEZZNS1_27merge_sort_block_merge_implIS3_PbPS5_jNS1_19radix_merge_compareILb0ELb0EbNS0_19identity_decomposerEEEEE10hipError_tT0_T1_T2_jT3_P12ihipStream_tbPNSt15iterator_traitsISE_E10value_typeEPNSK_ISF_E10value_typeEPSG_NS1_7vsmem_tEENKUlT_SE_SF_SG_E_clIS8_S8_S9_S9_EESD_ST_SE_SF_SG_EUlST_E1_NS1_11comp_targetILNS1_3genE3ELNS1_11target_archE908ELNS1_3gpuE7ELNS1_3repE0EEENS1_36merge_oddeven_config_static_selectorELNS0_4arch9wavefront6targetE0EEEvSF_, .Lfunc_end1806-_ZN7rocprim17ROCPRIM_400000_NS6detail17trampoline_kernelINS0_14default_configENS1_38merge_sort_block_merge_config_selectorIbNS0_10empty_typeEEEZZNS1_27merge_sort_block_merge_implIS3_PbPS5_jNS1_19radix_merge_compareILb0ELb0EbNS0_19identity_decomposerEEEEE10hipError_tT0_T1_T2_jT3_P12ihipStream_tbPNSt15iterator_traitsISE_E10value_typeEPNSK_ISF_E10value_typeEPSG_NS1_7vsmem_tEENKUlT_SE_SF_SG_E_clIS8_S8_S9_S9_EESD_ST_SE_SF_SG_EUlST_E1_NS1_11comp_targetILNS1_3genE3ELNS1_11target_archE908ELNS1_3gpuE7ELNS1_3repE0EEENS1_36merge_oddeven_config_static_selectorELNS0_4arch9wavefront6targetE0EEEvSF_
                                        ; -- End function
	.set _ZN7rocprim17ROCPRIM_400000_NS6detail17trampoline_kernelINS0_14default_configENS1_38merge_sort_block_merge_config_selectorIbNS0_10empty_typeEEEZZNS1_27merge_sort_block_merge_implIS3_PbPS5_jNS1_19radix_merge_compareILb0ELb0EbNS0_19identity_decomposerEEEEE10hipError_tT0_T1_T2_jT3_P12ihipStream_tbPNSt15iterator_traitsISE_E10value_typeEPNSK_ISF_E10value_typeEPSG_NS1_7vsmem_tEENKUlT_SE_SF_SG_E_clIS8_S8_S9_S9_EESD_ST_SE_SF_SG_EUlST_E1_NS1_11comp_targetILNS1_3genE3ELNS1_11target_archE908ELNS1_3gpuE7ELNS1_3repE0EEENS1_36merge_oddeven_config_static_selectorELNS0_4arch9wavefront6targetE0EEEvSF_.num_vgpr, 0
	.set _ZN7rocprim17ROCPRIM_400000_NS6detail17trampoline_kernelINS0_14default_configENS1_38merge_sort_block_merge_config_selectorIbNS0_10empty_typeEEEZZNS1_27merge_sort_block_merge_implIS3_PbPS5_jNS1_19radix_merge_compareILb0ELb0EbNS0_19identity_decomposerEEEEE10hipError_tT0_T1_T2_jT3_P12ihipStream_tbPNSt15iterator_traitsISE_E10value_typeEPNSK_ISF_E10value_typeEPSG_NS1_7vsmem_tEENKUlT_SE_SF_SG_E_clIS8_S8_S9_S9_EESD_ST_SE_SF_SG_EUlST_E1_NS1_11comp_targetILNS1_3genE3ELNS1_11target_archE908ELNS1_3gpuE7ELNS1_3repE0EEENS1_36merge_oddeven_config_static_selectorELNS0_4arch9wavefront6targetE0EEEvSF_.num_agpr, 0
	.set _ZN7rocprim17ROCPRIM_400000_NS6detail17trampoline_kernelINS0_14default_configENS1_38merge_sort_block_merge_config_selectorIbNS0_10empty_typeEEEZZNS1_27merge_sort_block_merge_implIS3_PbPS5_jNS1_19radix_merge_compareILb0ELb0EbNS0_19identity_decomposerEEEEE10hipError_tT0_T1_T2_jT3_P12ihipStream_tbPNSt15iterator_traitsISE_E10value_typeEPNSK_ISF_E10value_typeEPSG_NS1_7vsmem_tEENKUlT_SE_SF_SG_E_clIS8_S8_S9_S9_EESD_ST_SE_SF_SG_EUlST_E1_NS1_11comp_targetILNS1_3genE3ELNS1_11target_archE908ELNS1_3gpuE7ELNS1_3repE0EEENS1_36merge_oddeven_config_static_selectorELNS0_4arch9wavefront6targetE0EEEvSF_.numbered_sgpr, 0
	.set _ZN7rocprim17ROCPRIM_400000_NS6detail17trampoline_kernelINS0_14default_configENS1_38merge_sort_block_merge_config_selectorIbNS0_10empty_typeEEEZZNS1_27merge_sort_block_merge_implIS3_PbPS5_jNS1_19radix_merge_compareILb0ELb0EbNS0_19identity_decomposerEEEEE10hipError_tT0_T1_T2_jT3_P12ihipStream_tbPNSt15iterator_traitsISE_E10value_typeEPNSK_ISF_E10value_typeEPSG_NS1_7vsmem_tEENKUlT_SE_SF_SG_E_clIS8_S8_S9_S9_EESD_ST_SE_SF_SG_EUlST_E1_NS1_11comp_targetILNS1_3genE3ELNS1_11target_archE908ELNS1_3gpuE7ELNS1_3repE0EEENS1_36merge_oddeven_config_static_selectorELNS0_4arch9wavefront6targetE0EEEvSF_.num_named_barrier, 0
	.set _ZN7rocprim17ROCPRIM_400000_NS6detail17trampoline_kernelINS0_14default_configENS1_38merge_sort_block_merge_config_selectorIbNS0_10empty_typeEEEZZNS1_27merge_sort_block_merge_implIS3_PbPS5_jNS1_19radix_merge_compareILb0ELb0EbNS0_19identity_decomposerEEEEE10hipError_tT0_T1_T2_jT3_P12ihipStream_tbPNSt15iterator_traitsISE_E10value_typeEPNSK_ISF_E10value_typeEPSG_NS1_7vsmem_tEENKUlT_SE_SF_SG_E_clIS8_S8_S9_S9_EESD_ST_SE_SF_SG_EUlST_E1_NS1_11comp_targetILNS1_3genE3ELNS1_11target_archE908ELNS1_3gpuE7ELNS1_3repE0EEENS1_36merge_oddeven_config_static_selectorELNS0_4arch9wavefront6targetE0EEEvSF_.private_seg_size, 0
	.set _ZN7rocprim17ROCPRIM_400000_NS6detail17trampoline_kernelINS0_14default_configENS1_38merge_sort_block_merge_config_selectorIbNS0_10empty_typeEEEZZNS1_27merge_sort_block_merge_implIS3_PbPS5_jNS1_19radix_merge_compareILb0ELb0EbNS0_19identity_decomposerEEEEE10hipError_tT0_T1_T2_jT3_P12ihipStream_tbPNSt15iterator_traitsISE_E10value_typeEPNSK_ISF_E10value_typeEPSG_NS1_7vsmem_tEENKUlT_SE_SF_SG_E_clIS8_S8_S9_S9_EESD_ST_SE_SF_SG_EUlST_E1_NS1_11comp_targetILNS1_3genE3ELNS1_11target_archE908ELNS1_3gpuE7ELNS1_3repE0EEENS1_36merge_oddeven_config_static_selectorELNS0_4arch9wavefront6targetE0EEEvSF_.uses_vcc, 0
	.set _ZN7rocprim17ROCPRIM_400000_NS6detail17trampoline_kernelINS0_14default_configENS1_38merge_sort_block_merge_config_selectorIbNS0_10empty_typeEEEZZNS1_27merge_sort_block_merge_implIS3_PbPS5_jNS1_19radix_merge_compareILb0ELb0EbNS0_19identity_decomposerEEEEE10hipError_tT0_T1_T2_jT3_P12ihipStream_tbPNSt15iterator_traitsISE_E10value_typeEPNSK_ISF_E10value_typeEPSG_NS1_7vsmem_tEENKUlT_SE_SF_SG_E_clIS8_S8_S9_S9_EESD_ST_SE_SF_SG_EUlST_E1_NS1_11comp_targetILNS1_3genE3ELNS1_11target_archE908ELNS1_3gpuE7ELNS1_3repE0EEENS1_36merge_oddeven_config_static_selectorELNS0_4arch9wavefront6targetE0EEEvSF_.uses_flat_scratch, 0
	.set _ZN7rocprim17ROCPRIM_400000_NS6detail17trampoline_kernelINS0_14default_configENS1_38merge_sort_block_merge_config_selectorIbNS0_10empty_typeEEEZZNS1_27merge_sort_block_merge_implIS3_PbPS5_jNS1_19radix_merge_compareILb0ELb0EbNS0_19identity_decomposerEEEEE10hipError_tT0_T1_T2_jT3_P12ihipStream_tbPNSt15iterator_traitsISE_E10value_typeEPNSK_ISF_E10value_typeEPSG_NS1_7vsmem_tEENKUlT_SE_SF_SG_E_clIS8_S8_S9_S9_EESD_ST_SE_SF_SG_EUlST_E1_NS1_11comp_targetILNS1_3genE3ELNS1_11target_archE908ELNS1_3gpuE7ELNS1_3repE0EEENS1_36merge_oddeven_config_static_selectorELNS0_4arch9wavefront6targetE0EEEvSF_.has_dyn_sized_stack, 0
	.set _ZN7rocprim17ROCPRIM_400000_NS6detail17trampoline_kernelINS0_14default_configENS1_38merge_sort_block_merge_config_selectorIbNS0_10empty_typeEEEZZNS1_27merge_sort_block_merge_implIS3_PbPS5_jNS1_19radix_merge_compareILb0ELb0EbNS0_19identity_decomposerEEEEE10hipError_tT0_T1_T2_jT3_P12ihipStream_tbPNSt15iterator_traitsISE_E10value_typeEPNSK_ISF_E10value_typeEPSG_NS1_7vsmem_tEENKUlT_SE_SF_SG_E_clIS8_S8_S9_S9_EESD_ST_SE_SF_SG_EUlST_E1_NS1_11comp_targetILNS1_3genE3ELNS1_11target_archE908ELNS1_3gpuE7ELNS1_3repE0EEENS1_36merge_oddeven_config_static_selectorELNS0_4arch9wavefront6targetE0EEEvSF_.has_recursion, 0
	.set _ZN7rocprim17ROCPRIM_400000_NS6detail17trampoline_kernelINS0_14default_configENS1_38merge_sort_block_merge_config_selectorIbNS0_10empty_typeEEEZZNS1_27merge_sort_block_merge_implIS3_PbPS5_jNS1_19radix_merge_compareILb0ELb0EbNS0_19identity_decomposerEEEEE10hipError_tT0_T1_T2_jT3_P12ihipStream_tbPNSt15iterator_traitsISE_E10value_typeEPNSK_ISF_E10value_typeEPSG_NS1_7vsmem_tEENKUlT_SE_SF_SG_E_clIS8_S8_S9_S9_EESD_ST_SE_SF_SG_EUlST_E1_NS1_11comp_targetILNS1_3genE3ELNS1_11target_archE908ELNS1_3gpuE7ELNS1_3repE0EEENS1_36merge_oddeven_config_static_selectorELNS0_4arch9wavefront6targetE0EEEvSF_.has_indirect_call, 0
	.section	.AMDGPU.csdata,"",@progbits
; Kernel info:
; codeLenInByte = 0
; TotalNumSgprs: 0
; NumVgprs: 0
; ScratchSize: 0
; MemoryBound: 0
; FloatMode: 240
; IeeeMode: 1
; LDSByteSize: 0 bytes/workgroup (compile time only)
; SGPRBlocks: 0
; VGPRBlocks: 0
; NumSGPRsForWavesPerEU: 1
; NumVGPRsForWavesPerEU: 1
; NamedBarCnt: 0
; Occupancy: 16
; WaveLimiterHint : 0
; COMPUTE_PGM_RSRC2:SCRATCH_EN: 0
; COMPUTE_PGM_RSRC2:USER_SGPR: 2
; COMPUTE_PGM_RSRC2:TRAP_HANDLER: 0
; COMPUTE_PGM_RSRC2:TGID_X_EN: 1
; COMPUTE_PGM_RSRC2:TGID_Y_EN: 0
; COMPUTE_PGM_RSRC2:TGID_Z_EN: 0
; COMPUTE_PGM_RSRC2:TIDIG_COMP_CNT: 0
	.section	.text._ZN7rocprim17ROCPRIM_400000_NS6detail17trampoline_kernelINS0_14default_configENS1_38merge_sort_block_merge_config_selectorIbNS0_10empty_typeEEEZZNS1_27merge_sort_block_merge_implIS3_PbPS5_jNS1_19radix_merge_compareILb0ELb0EbNS0_19identity_decomposerEEEEE10hipError_tT0_T1_T2_jT3_P12ihipStream_tbPNSt15iterator_traitsISE_E10value_typeEPNSK_ISF_E10value_typeEPSG_NS1_7vsmem_tEENKUlT_SE_SF_SG_E_clIS8_S8_S9_S9_EESD_ST_SE_SF_SG_EUlST_E1_NS1_11comp_targetILNS1_3genE2ELNS1_11target_archE906ELNS1_3gpuE6ELNS1_3repE0EEENS1_36merge_oddeven_config_static_selectorELNS0_4arch9wavefront6targetE0EEEvSF_,"axG",@progbits,_ZN7rocprim17ROCPRIM_400000_NS6detail17trampoline_kernelINS0_14default_configENS1_38merge_sort_block_merge_config_selectorIbNS0_10empty_typeEEEZZNS1_27merge_sort_block_merge_implIS3_PbPS5_jNS1_19radix_merge_compareILb0ELb0EbNS0_19identity_decomposerEEEEE10hipError_tT0_T1_T2_jT3_P12ihipStream_tbPNSt15iterator_traitsISE_E10value_typeEPNSK_ISF_E10value_typeEPSG_NS1_7vsmem_tEENKUlT_SE_SF_SG_E_clIS8_S8_S9_S9_EESD_ST_SE_SF_SG_EUlST_E1_NS1_11comp_targetILNS1_3genE2ELNS1_11target_archE906ELNS1_3gpuE6ELNS1_3repE0EEENS1_36merge_oddeven_config_static_selectorELNS0_4arch9wavefront6targetE0EEEvSF_,comdat
	.protected	_ZN7rocprim17ROCPRIM_400000_NS6detail17trampoline_kernelINS0_14default_configENS1_38merge_sort_block_merge_config_selectorIbNS0_10empty_typeEEEZZNS1_27merge_sort_block_merge_implIS3_PbPS5_jNS1_19radix_merge_compareILb0ELb0EbNS0_19identity_decomposerEEEEE10hipError_tT0_T1_T2_jT3_P12ihipStream_tbPNSt15iterator_traitsISE_E10value_typeEPNSK_ISF_E10value_typeEPSG_NS1_7vsmem_tEENKUlT_SE_SF_SG_E_clIS8_S8_S9_S9_EESD_ST_SE_SF_SG_EUlST_E1_NS1_11comp_targetILNS1_3genE2ELNS1_11target_archE906ELNS1_3gpuE6ELNS1_3repE0EEENS1_36merge_oddeven_config_static_selectorELNS0_4arch9wavefront6targetE0EEEvSF_ ; -- Begin function _ZN7rocprim17ROCPRIM_400000_NS6detail17trampoline_kernelINS0_14default_configENS1_38merge_sort_block_merge_config_selectorIbNS0_10empty_typeEEEZZNS1_27merge_sort_block_merge_implIS3_PbPS5_jNS1_19radix_merge_compareILb0ELb0EbNS0_19identity_decomposerEEEEE10hipError_tT0_T1_T2_jT3_P12ihipStream_tbPNSt15iterator_traitsISE_E10value_typeEPNSK_ISF_E10value_typeEPSG_NS1_7vsmem_tEENKUlT_SE_SF_SG_E_clIS8_S8_S9_S9_EESD_ST_SE_SF_SG_EUlST_E1_NS1_11comp_targetILNS1_3genE2ELNS1_11target_archE906ELNS1_3gpuE6ELNS1_3repE0EEENS1_36merge_oddeven_config_static_selectorELNS0_4arch9wavefront6targetE0EEEvSF_
	.globl	_ZN7rocprim17ROCPRIM_400000_NS6detail17trampoline_kernelINS0_14default_configENS1_38merge_sort_block_merge_config_selectorIbNS0_10empty_typeEEEZZNS1_27merge_sort_block_merge_implIS3_PbPS5_jNS1_19radix_merge_compareILb0ELb0EbNS0_19identity_decomposerEEEEE10hipError_tT0_T1_T2_jT3_P12ihipStream_tbPNSt15iterator_traitsISE_E10value_typeEPNSK_ISF_E10value_typeEPSG_NS1_7vsmem_tEENKUlT_SE_SF_SG_E_clIS8_S8_S9_S9_EESD_ST_SE_SF_SG_EUlST_E1_NS1_11comp_targetILNS1_3genE2ELNS1_11target_archE906ELNS1_3gpuE6ELNS1_3repE0EEENS1_36merge_oddeven_config_static_selectorELNS0_4arch9wavefront6targetE0EEEvSF_
	.p2align	8
	.type	_ZN7rocprim17ROCPRIM_400000_NS6detail17trampoline_kernelINS0_14default_configENS1_38merge_sort_block_merge_config_selectorIbNS0_10empty_typeEEEZZNS1_27merge_sort_block_merge_implIS3_PbPS5_jNS1_19radix_merge_compareILb0ELb0EbNS0_19identity_decomposerEEEEE10hipError_tT0_T1_T2_jT3_P12ihipStream_tbPNSt15iterator_traitsISE_E10value_typeEPNSK_ISF_E10value_typeEPSG_NS1_7vsmem_tEENKUlT_SE_SF_SG_E_clIS8_S8_S9_S9_EESD_ST_SE_SF_SG_EUlST_E1_NS1_11comp_targetILNS1_3genE2ELNS1_11target_archE906ELNS1_3gpuE6ELNS1_3repE0EEENS1_36merge_oddeven_config_static_selectorELNS0_4arch9wavefront6targetE0EEEvSF_,@function
_ZN7rocprim17ROCPRIM_400000_NS6detail17trampoline_kernelINS0_14default_configENS1_38merge_sort_block_merge_config_selectorIbNS0_10empty_typeEEEZZNS1_27merge_sort_block_merge_implIS3_PbPS5_jNS1_19radix_merge_compareILb0ELb0EbNS0_19identity_decomposerEEEEE10hipError_tT0_T1_T2_jT3_P12ihipStream_tbPNSt15iterator_traitsISE_E10value_typeEPNSK_ISF_E10value_typeEPSG_NS1_7vsmem_tEENKUlT_SE_SF_SG_E_clIS8_S8_S9_S9_EESD_ST_SE_SF_SG_EUlST_E1_NS1_11comp_targetILNS1_3genE2ELNS1_11target_archE906ELNS1_3gpuE6ELNS1_3repE0EEENS1_36merge_oddeven_config_static_selectorELNS0_4arch9wavefront6targetE0EEEvSF_: ; @_ZN7rocprim17ROCPRIM_400000_NS6detail17trampoline_kernelINS0_14default_configENS1_38merge_sort_block_merge_config_selectorIbNS0_10empty_typeEEEZZNS1_27merge_sort_block_merge_implIS3_PbPS5_jNS1_19radix_merge_compareILb0ELb0EbNS0_19identity_decomposerEEEEE10hipError_tT0_T1_T2_jT3_P12ihipStream_tbPNSt15iterator_traitsISE_E10value_typeEPNSK_ISF_E10value_typeEPSG_NS1_7vsmem_tEENKUlT_SE_SF_SG_E_clIS8_S8_S9_S9_EESD_ST_SE_SF_SG_EUlST_E1_NS1_11comp_targetILNS1_3genE2ELNS1_11target_archE906ELNS1_3gpuE6ELNS1_3repE0EEENS1_36merge_oddeven_config_static_selectorELNS0_4arch9wavefront6targetE0EEEvSF_
; %bb.0:
	.section	.rodata,"a",@progbits
	.p2align	6, 0x0
	.amdhsa_kernel _ZN7rocprim17ROCPRIM_400000_NS6detail17trampoline_kernelINS0_14default_configENS1_38merge_sort_block_merge_config_selectorIbNS0_10empty_typeEEEZZNS1_27merge_sort_block_merge_implIS3_PbPS5_jNS1_19radix_merge_compareILb0ELb0EbNS0_19identity_decomposerEEEEE10hipError_tT0_T1_T2_jT3_P12ihipStream_tbPNSt15iterator_traitsISE_E10value_typeEPNSK_ISF_E10value_typeEPSG_NS1_7vsmem_tEENKUlT_SE_SF_SG_E_clIS8_S8_S9_S9_EESD_ST_SE_SF_SG_EUlST_E1_NS1_11comp_targetILNS1_3genE2ELNS1_11target_archE906ELNS1_3gpuE6ELNS1_3repE0EEENS1_36merge_oddeven_config_static_selectorELNS0_4arch9wavefront6targetE0EEEvSF_
		.amdhsa_group_segment_fixed_size 0
		.amdhsa_private_segment_fixed_size 0
		.amdhsa_kernarg_size 48
		.amdhsa_user_sgpr_count 2
		.amdhsa_user_sgpr_dispatch_ptr 0
		.amdhsa_user_sgpr_queue_ptr 0
		.amdhsa_user_sgpr_kernarg_segment_ptr 1
		.amdhsa_user_sgpr_dispatch_id 0
		.amdhsa_user_sgpr_kernarg_preload_length 0
		.amdhsa_user_sgpr_kernarg_preload_offset 0
		.amdhsa_user_sgpr_private_segment_size 0
		.amdhsa_wavefront_size32 1
		.amdhsa_uses_dynamic_stack 0
		.amdhsa_enable_private_segment 0
		.amdhsa_system_sgpr_workgroup_id_x 1
		.amdhsa_system_sgpr_workgroup_id_y 0
		.amdhsa_system_sgpr_workgroup_id_z 0
		.amdhsa_system_sgpr_workgroup_info 0
		.amdhsa_system_vgpr_workitem_id 0
		.amdhsa_next_free_vgpr 1
		.amdhsa_next_free_sgpr 1
		.amdhsa_named_barrier_count 0
		.amdhsa_reserve_vcc 0
		.amdhsa_float_round_mode_32 0
		.amdhsa_float_round_mode_16_64 0
		.amdhsa_float_denorm_mode_32 3
		.amdhsa_float_denorm_mode_16_64 3
		.amdhsa_fp16_overflow 0
		.amdhsa_memory_ordered 1
		.amdhsa_forward_progress 1
		.amdhsa_inst_pref_size 0
		.amdhsa_round_robin_scheduling 0
		.amdhsa_exception_fp_ieee_invalid_op 0
		.amdhsa_exception_fp_denorm_src 0
		.amdhsa_exception_fp_ieee_div_zero 0
		.amdhsa_exception_fp_ieee_overflow 0
		.amdhsa_exception_fp_ieee_underflow 0
		.amdhsa_exception_fp_ieee_inexact 0
		.amdhsa_exception_int_div_zero 0
	.end_amdhsa_kernel
	.section	.text._ZN7rocprim17ROCPRIM_400000_NS6detail17trampoline_kernelINS0_14default_configENS1_38merge_sort_block_merge_config_selectorIbNS0_10empty_typeEEEZZNS1_27merge_sort_block_merge_implIS3_PbPS5_jNS1_19radix_merge_compareILb0ELb0EbNS0_19identity_decomposerEEEEE10hipError_tT0_T1_T2_jT3_P12ihipStream_tbPNSt15iterator_traitsISE_E10value_typeEPNSK_ISF_E10value_typeEPSG_NS1_7vsmem_tEENKUlT_SE_SF_SG_E_clIS8_S8_S9_S9_EESD_ST_SE_SF_SG_EUlST_E1_NS1_11comp_targetILNS1_3genE2ELNS1_11target_archE906ELNS1_3gpuE6ELNS1_3repE0EEENS1_36merge_oddeven_config_static_selectorELNS0_4arch9wavefront6targetE0EEEvSF_,"axG",@progbits,_ZN7rocprim17ROCPRIM_400000_NS6detail17trampoline_kernelINS0_14default_configENS1_38merge_sort_block_merge_config_selectorIbNS0_10empty_typeEEEZZNS1_27merge_sort_block_merge_implIS3_PbPS5_jNS1_19radix_merge_compareILb0ELb0EbNS0_19identity_decomposerEEEEE10hipError_tT0_T1_T2_jT3_P12ihipStream_tbPNSt15iterator_traitsISE_E10value_typeEPNSK_ISF_E10value_typeEPSG_NS1_7vsmem_tEENKUlT_SE_SF_SG_E_clIS8_S8_S9_S9_EESD_ST_SE_SF_SG_EUlST_E1_NS1_11comp_targetILNS1_3genE2ELNS1_11target_archE906ELNS1_3gpuE6ELNS1_3repE0EEENS1_36merge_oddeven_config_static_selectorELNS0_4arch9wavefront6targetE0EEEvSF_,comdat
.Lfunc_end1807:
	.size	_ZN7rocprim17ROCPRIM_400000_NS6detail17trampoline_kernelINS0_14default_configENS1_38merge_sort_block_merge_config_selectorIbNS0_10empty_typeEEEZZNS1_27merge_sort_block_merge_implIS3_PbPS5_jNS1_19radix_merge_compareILb0ELb0EbNS0_19identity_decomposerEEEEE10hipError_tT0_T1_T2_jT3_P12ihipStream_tbPNSt15iterator_traitsISE_E10value_typeEPNSK_ISF_E10value_typeEPSG_NS1_7vsmem_tEENKUlT_SE_SF_SG_E_clIS8_S8_S9_S9_EESD_ST_SE_SF_SG_EUlST_E1_NS1_11comp_targetILNS1_3genE2ELNS1_11target_archE906ELNS1_3gpuE6ELNS1_3repE0EEENS1_36merge_oddeven_config_static_selectorELNS0_4arch9wavefront6targetE0EEEvSF_, .Lfunc_end1807-_ZN7rocprim17ROCPRIM_400000_NS6detail17trampoline_kernelINS0_14default_configENS1_38merge_sort_block_merge_config_selectorIbNS0_10empty_typeEEEZZNS1_27merge_sort_block_merge_implIS3_PbPS5_jNS1_19radix_merge_compareILb0ELb0EbNS0_19identity_decomposerEEEEE10hipError_tT0_T1_T2_jT3_P12ihipStream_tbPNSt15iterator_traitsISE_E10value_typeEPNSK_ISF_E10value_typeEPSG_NS1_7vsmem_tEENKUlT_SE_SF_SG_E_clIS8_S8_S9_S9_EESD_ST_SE_SF_SG_EUlST_E1_NS1_11comp_targetILNS1_3genE2ELNS1_11target_archE906ELNS1_3gpuE6ELNS1_3repE0EEENS1_36merge_oddeven_config_static_selectorELNS0_4arch9wavefront6targetE0EEEvSF_
                                        ; -- End function
	.set _ZN7rocprim17ROCPRIM_400000_NS6detail17trampoline_kernelINS0_14default_configENS1_38merge_sort_block_merge_config_selectorIbNS0_10empty_typeEEEZZNS1_27merge_sort_block_merge_implIS3_PbPS5_jNS1_19radix_merge_compareILb0ELb0EbNS0_19identity_decomposerEEEEE10hipError_tT0_T1_T2_jT3_P12ihipStream_tbPNSt15iterator_traitsISE_E10value_typeEPNSK_ISF_E10value_typeEPSG_NS1_7vsmem_tEENKUlT_SE_SF_SG_E_clIS8_S8_S9_S9_EESD_ST_SE_SF_SG_EUlST_E1_NS1_11comp_targetILNS1_3genE2ELNS1_11target_archE906ELNS1_3gpuE6ELNS1_3repE0EEENS1_36merge_oddeven_config_static_selectorELNS0_4arch9wavefront6targetE0EEEvSF_.num_vgpr, 0
	.set _ZN7rocprim17ROCPRIM_400000_NS6detail17trampoline_kernelINS0_14default_configENS1_38merge_sort_block_merge_config_selectorIbNS0_10empty_typeEEEZZNS1_27merge_sort_block_merge_implIS3_PbPS5_jNS1_19radix_merge_compareILb0ELb0EbNS0_19identity_decomposerEEEEE10hipError_tT0_T1_T2_jT3_P12ihipStream_tbPNSt15iterator_traitsISE_E10value_typeEPNSK_ISF_E10value_typeEPSG_NS1_7vsmem_tEENKUlT_SE_SF_SG_E_clIS8_S8_S9_S9_EESD_ST_SE_SF_SG_EUlST_E1_NS1_11comp_targetILNS1_3genE2ELNS1_11target_archE906ELNS1_3gpuE6ELNS1_3repE0EEENS1_36merge_oddeven_config_static_selectorELNS0_4arch9wavefront6targetE0EEEvSF_.num_agpr, 0
	.set _ZN7rocprim17ROCPRIM_400000_NS6detail17trampoline_kernelINS0_14default_configENS1_38merge_sort_block_merge_config_selectorIbNS0_10empty_typeEEEZZNS1_27merge_sort_block_merge_implIS3_PbPS5_jNS1_19radix_merge_compareILb0ELb0EbNS0_19identity_decomposerEEEEE10hipError_tT0_T1_T2_jT3_P12ihipStream_tbPNSt15iterator_traitsISE_E10value_typeEPNSK_ISF_E10value_typeEPSG_NS1_7vsmem_tEENKUlT_SE_SF_SG_E_clIS8_S8_S9_S9_EESD_ST_SE_SF_SG_EUlST_E1_NS1_11comp_targetILNS1_3genE2ELNS1_11target_archE906ELNS1_3gpuE6ELNS1_3repE0EEENS1_36merge_oddeven_config_static_selectorELNS0_4arch9wavefront6targetE0EEEvSF_.numbered_sgpr, 0
	.set _ZN7rocprim17ROCPRIM_400000_NS6detail17trampoline_kernelINS0_14default_configENS1_38merge_sort_block_merge_config_selectorIbNS0_10empty_typeEEEZZNS1_27merge_sort_block_merge_implIS3_PbPS5_jNS1_19radix_merge_compareILb0ELb0EbNS0_19identity_decomposerEEEEE10hipError_tT0_T1_T2_jT3_P12ihipStream_tbPNSt15iterator_traitsISE_E10value_typeEPNSK_ISF_E10value_typeEPSG_NS1_7vsmem_tEENKUlT_SE_SF_SG_E_clIS8_S8_S9_S9_EESD_ST_SE_SF_SG_EUlST_E1_NS1_11comp_targetILNS1_3genE2ELNS1_11target_archE906ELNS1_3gpuE6ELNS1_3repE0EEENS1_36merge_oddeven_config_static_selectorELNS0_4arch9wavefront6targetE0EEEvSF_.num_named_barrier, 0
	.set _ZN7rocprim17ROCPRIM_400000_NS6detail17trampoline_kernelINS0_14default_configENS1_38merge_sort_block_merge_config_selectorIbNS0_10empty_typeEEEZZNS1_27merge_sort_block_merge_implIS3_PbPS5_jNS1_19radix_merge_compareILb0ELb0EbNS0_19identity_decomposerEEEEE10hipError_tT0_T1_T2_jT3_P12ihipStream_tbPNSt15iterator_traitsISE_E10value_typeEPNSK_ISF_E10value_typeEPSG_NS1_7vsmem_tEENKUlT_SE_SF_SG_E_clIS8_S8_S9_S9_EESD_ST_SE_SF_SG_EUlST_E1_NS1_11comp_targetILNS1_3genE2ELNS1_11target_archE906ELNS1_3gpuE6ELNS1_3repE0EEENS1_36merge_oddeven_config_static_selectorELNS0_4arch9wavefront6targetE0EEEvSF_.private_seg_size, 0
	.set _ZN7rocprim17ROCPRIM_400000_NS6detail17trampoline_kernelINS0_14default_configENS1_38merge_sort_block_merge_config_selectorIbNS0_10empty_typeEEEZZNS1_27merge_sort_block_merge_implIS3_PbPS5_jNS1_19radix_merge_compareILb0ELb0EbNS0_19identity_decomposerEEEEE10hipError_tT0_T1_T2_jT3_P12ihipStream_tbPNSt15iterator_traitsISE_E10value_typeEPNSK_ISF_E10value_typeEPSG_NS1_7vsmem_tEENKUlT_SE_SF_SG_E_clIS8_S8_S9_S9_EESD_ST_SE_SF_SG_EUlST_E1_NS1_11comp_targetILNS1_3genE2ELNS1_11target_archE906ELNS1_3gpuE6ELNS1_3repE0EEENS1_36merge_oddeven_config_static_selectorELNS0_4arch9wavefront6targetE0EEEvSF_.uses_vcc, 0
	.set _ZN7rocprim17ROCPRIM_400000_NS6detail17trampoline_kernelINS0_14default_configENS1_38merge_sort_block_merge_config_selectorIbNS0_10empty_typeEEEZZNS1_27merge_sort_block_merge_implIS3_PbPS5_jNS1_19radix_merge_compareILb0ELb0EbNS0_19identity_decomposerEEEEE10hipError_tT0_T1_T2_jT3_P12ihipStream_tbPNSt15iterator_traitsISE_E10value_typeEPNSK_ISF_E10value_typeEPSG_NS1_7vsmem_tEENKUlT_SE_SF_SG_E_clIS8_S8_S9_S9_EESD_ST_SE_SF_SG_EUlST_E1_NS1_11comp_targetILNS1_3genE2ELNS1_11target_archE906ELNS1_3gpuE6ELNS1_3repE0EEENS1_36merge_oddeven_config_static_selectorELNS0_4arch9wavefront6targetE0EEEvSF_.uses_flat_scratch, 0
	.set _ZN7rocprim17ROCPRIM_400000_NS6detail17trampoline_kernelINS0_14default_configENS1_38merge_sort_block_merge_config_selectorIbNS0_10empty_typeEEEZZNS1_27merge_sort_block_merge_implIS3_PbPS5_jNS1_19radix_merge_compareILb0ELb0EbNS0_19identity_decomposerEEEEE10hipError_tT0_T1_T2_jT3_P12ihipStream_tbPNSt15iterator_traitsISE_E10value_typeEPNSK_ISF_E10value_typeEPSG_NS1_7vsmem_tEENKUlT_SE_SF_SG_E_clIS8_S8_S9_S9_EESD_ST_SE_SF_SG_EUlST_E1_NS1_11comp_targetILNS1_3genE2ELNS1_11target_archE906ELNS1_3gpuE6ELNS1_3repE0EEENS1_36merge_oddeven_config_static_selectorELNS0_4arch9wavefront6targetE0EEEvSF_.has_dyn_sized_stack, 0
	.set _ZN7rocprim17ROCPRIM_400000_NS6detail17trampoline_kernelINS0_14default_configENS1_38merge_sort_block_merge_config_selectorIbNS0_10empty_typeEEEZZNS1_27merge_sort_block_merge_implIS3_PbPS5_jNS1_19radix_merge_compareILb0ELb0EbNS0_19identity_decomposerEEEEE10hipError_tT0_T1_T2_jT3_P12ihipStream_tbPNSt15iterator_traitsISE_E10value_typeEPNSK_ISF_E10value_typeEPSG_NS1_7vsmem_tEENKUlT_SE_SF_SG_E_clIS8_S8_S9_S9_EESD_ST_SE_SF_SG_EUlST_E1_NS1_11comp_targetILNS1_3genE2ELNS1_11target_archE906ELNS1_3gpuE6ELNS1_3repE0EEENS1_36merge_oddeven_config_static_selectorELNS0_4arch9wavefront6targetE0EEEvSF_.has_recursion, 0
	.set _ZN7rocprim17ROCPRIM_400000_NS6detail17trampoline_kernelINS0_14default_configENS1_38merge_sort_block_merge_config_selectorIbNS0_10empty_typeEEEZZNS1_27merge_sort_block_merge_implIS3_PbPS5_jNS1_19radix_merge_compareILb0ELb0EbNS0_19identity_decomposerEEEEE10hipError_tT0_T1_T2_jT3_P12ihipStream_tbPNSt15iterator_traitsISE_E10value_typeEPNSK_ISF_E10value_typeEPSG_NS1_7vsmem_tEENKUlT_SE_SF_SG_E_clIS8_S8_S9_S9_EESD_ST_SE_SF_SG_EUlST_E1_NS1_11comp_targetILNS1_3genE2ELNS1_11target_archE906ELNS1_3gpuE6ELNS1_3repE0EEENS1_36merge_oddeven_config_static_selectorELNS0_4arch9wavefront6targetE0EEEvSF_.has_indirect_call, 0
	.section	.AMDGPU.csdata,"",@progbits
; Kernel info:
; codeLenInByte = 0
; TotalNumSgprs: 0
; NumVgprs: 0
; ScratchSize: 0
; MemoryBound: 0
; FloatMode: 240
; IeeeMode: 1
; LDSByteSize: 0 bytes/workgroup (compile time only)
; SGPRBlocks: 0
; VGPRBlocks: 0
; NumSGPRsForWavesPerEU: 1
; NumVGPRsForWavesPerEU: 1
; NamedBarCnt: 0
; Occupancy: 16
; WaveLimiterHint : 0
; COMPUTE_PGM_RSRC2:SCRATCH_EN: 0
; COMPUTE_PGM_RSRC2:USER_SGPR: 2
; COMPUTE_PGM_RSRC2:TRAP_HANDLER: 0
; COMPUTE_PGM_RSRC2:TGID_X_EN: 1
; COMPUTE_PGM_RSRC2:TGID_Y_EN: 0
; COMPUTE_PGM_RSRC2:TGID_Z_EN: 0
; COMPUTE_PGM_RSRC2:TIDIG_COMP_CNT: 0
	.section	.text._ZN7rocprim17ROCPRIM_400000_NS6detail17trampoline_kernelINS0_14default_configENS1_38merge_sort_block_merge_config_selectorIbNS0_10empty_typeEEEZZNS1_27merge_sort_block_merge_implIS3_PbPS5_jNS1_19radix_merge_compareILb0ELb0EbNS0_19identity_decomposerEEEEE10hipError_tT0_T1_T2_jT3_P12ihipStream_tbPNSt15iterator_traitsISE_E10value_typeEPNSK_ISF_E10value_typeEPSG_NS1_7vsmem_tEENKUlT_SE_SF_SG_E_clIS8_S8_S9_S9_EESD_ST_SE_SF_SG_EUlST_E1_NS1_11comp_targetILNS1_3genE9ELNS1_11target_archE1100ELNS1_3gpuE3ELNS1_3repE0EEENS1_36merge_oddeven_config_static_selectorELNS0_4arch9wavefront6targetE0EEEvSF_,"axG",@progbits,_ZN7rocprim17ROCPRIM_400000_NS6detail17trampoline_kernelINS0_14default_configENS1_38merge_sort_block_merge_config_selectorIbNS0_10empty_typeEEEZZNS1_27merge_sort_block_merge_implIS3_PbPS5_jNS1_19radix_merge_compareILb0ELb0EbNS0_19identity_decomposerEEEEE10hipError_tT0_T1_T2_jT3_P12ihipStream_tbPNSt15iterator_traitsISE_E10value_typeEPNSK_ISF_E10value_typeEPSG_NS1_7vsmem_tEENKUlT_SE_SF_SG_E_clIS8_S8_S9_S9_EESD_ST_SE_SF_SG_EUlST_E1_NS1_11comp_targetILNS1_3genE9ELNS1_11target_archE1100ELNS1_3gpuE3ELNS1_3repE0EEENS1_36merge_oddeven_config_static_selectorELNS0_4arch9wavefront6targetE0EEEvSF_,comdat
	.protected	_ZN7rocprim17ROCPRIM_400000_NS6detail17trampoline_kernelINS0_14default_configENS1_38merge_sort_block_merge_config_selectorIbNS0_10empty_typeEEEZZNS1_27merge_sort_block_merge_implIS3_PbPS5_jNS1_19radix_merge_compareILb0ELb0EbNS0_19identity_decomposerEEEEE10hipError_tT0_T1_T2_jT3_P12ihipStream_tbPNSt15iterator_traitsISE_E10value_typeEPNSK_ISF_E10value_typeEPSG_NS1_7vsmem_tEENKUlT_SE_SF_SG_E_clIS8_S8_S9_S9_EESD_ST_SE_SF_SG_EUlST_E1_NS1_11comp_targetILNS1_3genE9ELNS1_11target_archE1100ELNS1_3gpuE3ELNS1_3repE0EEENS1_36merge_oddeven_config_static_selectorELNS0_4arch9wavefront6targetE0EEEvSF_ ; -- Begin function _ZN7rocprim17ROCPRIM_400000_NS6detail17trampoline_kernelINS0_14default_configENS1_38merge_sort_block_merge_config_selectorIbNS0_10empty_typeEEEZZNS1_27merge_sort_block_merge_implIS3_PbPS5_jNS1_19radix_merge_compareILb0ELb0EbNS0_19identity_decomposerEEEEE10hipError_tT0_T1_T2_jT3_P12ihipStream_tbPNSt15iterator_traitsISE_E10value_typeEPNSK_ISF_E10value_typeEPSG_NS1_7vsmem_tEENKUlT_SE_SF_SG_E_clIS8_S8_S9_S9_EESD_ST_SE_SF_SG_EUlST_E1_NS1_11comp_targetILNS1_3genE9ELNS1_11target_archE1100ELNS1_3gpuE3ELNS1_3repE0EEENS1_36merge_oddeven_config_static_selectorELNS0_4arch9wavefront6targetE0EEEvSF_
	.globl	_ZN7rocprim17ROCPRIM_400000_NS6detail17trampoline_kernelINS0_14default_configENS1_38merge_sort_block_merge_config_selectorIbNS0_10empty_typeEEEZZNS1_27merge_sort_block_merge_implIS3_PbPS5_jNS1_19radix_merge_compareILb0ELb0EbNS0_19identity_decomposerEEEEE10hipError_tT0_T1_T2_jT3_P12ihipStream_tbPNSt15iterator_traitsISE_E10value_typeEPNSK_ISF_E10value_typeEPSG_NS1_7vsmem_tEENKUlT_SE_SF_SG_E_clIS8_S8_S9_S9_EESD_ST_SE_SF_SG_EUlST_E1_NS1_11comp_targetILNS1_3genE9ELNS1_11target_archE1100ELNS1_3gpuE3ELNS1_3repE0EEENS1_36merge_oddeven_config_static_selectorELNS0_4arch9wavefront6targetE0EEEvSF_
	.p2align	8
	.type	_ZN7rocprim17ROCPRIM_400000_NS6detail17trampoline_kernelINS0_14default_configENS1_38merge_sort_block_merge_config_selectorIbNS0_10empty_typeEEEZZNS1_27merge_sort_block_merge_implIS3_PbPS5_jNS1_19radix_merge_compareILb0ELb0EbNS0_19identity_decomposerEEEEE10hipError_tT0_T1_T2_jT3_P12ihipStream_tbPNSt15iterator_traitsISE_E10value_typeEPNSK_ISF_E10value_typeEPSG_NS1_7vsmem_tEENKUlT_SE_SF_SG_E_clIS8_S8_S9_S9_EESD_ST_SE_SF_SG_EUlST_E1_NS1_11comp_targetILNS1_3genE9ELNS1_11target_archE1100ELNS1_3gpuE3ELNS1_3repE0EEENS1_36merge_oddeven_config_static_selectorELNS0_4arch9wavefront6targetE0EEEvSF_,@function
_ZN7rocprim17ROCPRIM_400000_NS6detail17trampoline_kernelINS0_14default_configENS1_38merge_sort_block_merge_config_selectorIbNS0_10empty_typeEEEZZNS1_27merge_sort_block_merge_implIS3_PbPS5_jNS1_19radix_merge_compareILb0ELb0EbNS0_19identity_decomposerEEEEE10hipError_tT0_T1_T2_jT3_P12ihipStream_tbPNSt15iterator_traitsISE_E10value_typeEPNSK_ISF_E10value_typeEPSG_NS1_7vsmem_tEENKUlT_SE_SF_SG_E_clIS8_S8_S9_S9_EESD_ST_SE_SF_SG_EUlST_E1_NS1_11comp_targetILNS1_3genE9ELNS1_11target_archE1100ELNS1_3gpuE3ELNS1_3repE0EEENS1_36merge_oddeven_config_static_selectorELNS0_4arch9wavefront6targetE0EEEvSF_: ; @_ZN7rocprim17ROCPRIM_400000_NS6detail17trampoline_kernelINS0_14default_configENS1_38merge_sort_block_merge_config_selectorIbNS0_10empty_typeEEEZZNS1_27merge_sort_block_merge_implIS3_PbPS5_jNS1_19radix_merge_compareILb0ELb0EbNS0_19identity_decomposerEEEEE10hipError_tT0_T1_T2_jT3_P12ihipStream_tbPNSt15iterator_traitsISE_E10value_typeEPNSK_ISF_E10value_typeEPSG_NS1_7vsmem_tEENKUlT_SE_SF_SG_E_clIS8_S8_S9_S9_EESD_ST_SE_SF_SG_EUlST_E1_NS1_11comp_targetILNS1_3genE9ELNS1_11target_archE1100ELNS1_3gpuE3ELNS1_3repE0EEENS1_36merge_oddeven_config_static_selectorELNS0_4arch9wavefront6targetE0EEEvSF_
; %bb.0:
	.section	.rodata,"a",@progbits
	.p2align	6, 0x0
	.amdhsa_kernel _ZN7rocprim17ROCPRIM_400000_NS6detail17trampoline_kernelINS0_14default_configENS1_38merge_sort_block_merge_config_selectorIbNS0_10empty_typeEEEZZNS1_27merge_sort_block_merge_implIS3_PbPS5_jNS1_19radix_merge_compareILb0ELb0EbNS0_19identity_decomposerEEEEE10hipError_tT0_T1_T2_jT3_P12ihipStream_tbPNSt15iterator_traitsISE_E10value_typeEPNSK_ISF_E10value_typeEPSG_NS1_7vsmem_tEENKUlT_SE_SF_SG_E_clIS8_S8_S9_S9_EESD_ST_SE_SF_SG_EUlST_E1_NS1_11comp_targetILNS1_3genE9ELNS1_11target_archE1100ELNS1_3gpuE3ELNS1_3repE0EEENS1_36merge_oddeven_config_static_selectorELNS0_4arch9wavefront6targetE0EEEvSF_
		.amdhsa_group_segment_fixed_size 0
		.amdhsa_private_segment_fixed_size 0
		.amdhsa_kernarg_size 48
		.amdhsa_user_sgpr_count 2
		.amdhsa_user_sgpr_dispatch_ptr 0
		.amdhsa_user_sgpr_queue_ptr 0
		.amdhsa_user_sgpr_kernarg_segment_ptr 1
		.amdhsa_user_sgpr_dispatch_id 0
		.amdhsa_user_sgpr_kernarg_preload_length 0
		.amdhsa_user_sgpr_kernarg_preload_offset 0
		.amdhsa_user_sgpr_private_segment_size 0
		.amdhsa_wavefront_size32 1
		.amdhsa_uses_dynamic_stack 0
		.amdhsa_enable_private_segment 0
		.amdhsa_system_sgpr_workgroup_id_x 1
		.amdhsa_system_sgpr_workgroup_id_y 0
		.amdhsa_system_sgpr_workgroup_id_z 0
		.amdhsa_system_sgpr_workgroup_info 0
		.amdhsa_system_vgpr_workitem_id 0
		.amdhsa_next_free_vgpr 1
		.amdhsa_next_free_sgpr 1
		.amdhsa_named_barrier_count 0
		.amdhsa_reserve_vcc 0
		.amdhsa_float_round_mode_32 0
		.amdhsa_float_round_mode_16_64 0
		.amdhsa_float_denorm_mode_32 3
		.amdhsa_float_denorm_mode_16_64 3
		.amdhsa_fp16_overflow 0
		.amdhsa_memory_ordered 1
		.amdhsa_forward_progress 1
		.amdhsa_inst_pref_size 0
		.amdhsa_round_robin_scheduling 0
		.amdhsa_exception_fp_ieee_invalid_op 0
		.amdhsa_exception_fp_denorm_src 0
		.amdhsa_exception_fp_ieee_div_zero 0
		.amdhsa_exception_fp_ieee_overflow 0
		.amdhsa_exception_fp_ieee_underflow 0
		.amdhsa_exception_fp_ieee_inexact 0
		.amdhsa_exception_int_div_zero 0
	.end_amdhsa_kernel
	.section	.text._ZN7rocprim17ROCPRIM_400000_NS6detail17trampoline_kernelINS0_14default_configENS1_38merge_sort_block_merge_config_selectorIbNS0_10empty_typeEEEZZNS1_27merge_sort_block_merge_implIS3_PbPS5_jNS1_19radix_merge_compareILb0ELb0EbNS0_19identity_decomposerEEEEE10hipError_tT0_T1_T2_jT3_P12ihipStream_tbPNSt15iterator_traitsISE_E10value_typeEPNSK_ISF_E10value_typeEPSG_NS1_7vsmem_tEENKUlT_SE_SF_SG_E_clIS8_S8_S9_S9_EESD_ST_SE_SF_SG_EUlST_E1_NS1_11comp_targetILNS1_3genE9ELNS1_11target_archE1100ELNS1_3gpuE3ELNS1_3repE0EEENS1_36merge_oddeven_config_static_selectorELNS0_4arch9wavefront6targetE0EEEvSF_,"axG",@progbits,_ZN7rocprim17ROCPRIM_400000_NS6detail17trampoline_kernelINS0_14default_configENS1_38merge_sort_block_merge_config_selectorIbNS0_10empty_typeEEEZZNS1_27merge_sort_block_merge_implIS3_PbPS5_jNS1_19radix_merge_compareILb0ELb0EbNS0_19identity_decomposerEEEEE10hipError_tT0_T1_T2_jT3_P12ihipStream_tbPNSt15iterator_traitsISE_E10value_typeEPNSK_ISF_E10value_typeEPSG_NS1_7vsmem_tEENKUlT_SE_SF_SG_E_clIS8_S8_S9_S9_EESD_ST_SE_SF_SG_EUlST_E1_NS1_11comp_targetILNS1_3genE9ELNS1_11target_archE1100ELNS1_3gpuE3ELNS1_3repE0EEENS1_36merge_oddeven_config_static_selectorELNS0_4arch9wavefront6targetE0EEEvSF_,comdat
.Lfunc_end1808:
	.size	_ZN7rocprim17ROCPRIM_400000_NS6detail17trampoline_kernelINS0_14default_configENS1_38merge_sort_block_merge_config_selectorIbNS0_10empty_typeEEEZZNS1_27merge_sort_block_merge_implIS3_PbPS5_jNS1_19radix_merge_compareILb0ELb0EbNS0_19identity_decomposerEEEEE10hipError_tT0_T1_T2_jT3_P12ihipStream_tbPNSt15iterator_traitsISE_E10value_typeEPNSK_ISF_E10value_typeEPSG_NS1_7vsmem_tEENKUlT_SE_SF_SG_E_clIS8_S8_S9_S9_EESD_ST_SE_SF_SG_EUlST_E1_NS1_11comp_targetILNS1_3genE9ELNS1_11target_archE1100ELNS1_3gpuE3ELNS1_3repE0EEENS1_36merge_oddeven_config_static_selectorELNS0_4arch9wavefront6targetE0EEEvSF_, .Lfunc_end1808-_ZN7rocprim17ROCPRIM_400000_NS6detail17trampoline_kernelINS0_14default_configENS1_38merge_sort_block_merge_config_selectorIbNS0_10empty_typeEEEZZNS1_27merge_sort_block_merge_implIS3_PbPS5_jNS1_19radix_merge_compareILb0ELb0EbNS0_19identity_decomposerEEEEE10hipError_tT0_T1_T2_jT3_P12ihipStream_tbPNSt15iterator_traitsISE_E10value_typeEPNSK_ISF_E10value_typeEPSG_NS1_7vsmem_tEENKUlT_SE_SF_SG_E_clIS8_S8_S9_S9_EESD_ST_SE_SF_SG_EUlST_E1_NS1_11comp_targetILNS1_3genE9ELNS1_11target_archE1100ELNS1_3gpuE3ELNS1_3repE0EEENS1_36merge_oddeven_config_static_selectorELNS0_4arch9wavefront6targetE0EEEvSF_
                                        ; -- End function
	.set _ZN7rocprim17ROCPRIM_400000_NS6detail17trampoline_kernelINS0_14default_configENS1_38merge_sort_block_merge_config_selectorIbNS0_10empty_typeEEEZZNS1_27merge_sort_block_merge_implIS3_PbPS5_jNS1_19radix_merge_compareILb0ELb0EbNS0_19identity_decomposerEEEEE10hipError_tT0_T1_T2_jT3_P12ihipStream_tbPNSt15iterator_traitsISE_E10value_typeEPNSK_ISF_E10value_typeEPSG_NS1_7vsmem_tEENKUlT_SE_SF_SG_E_clIS8_S8_S9_S9_EESD_ST_SE_SF_SG_EUlST_E1_NS1_11comp_targetILNS1_3genE9ELNS1_11target_archE1100ELNS1_3gpuE3ELNS1_3repE0EEENS1_36merge_oddeven_config_static_selectorELNS0_4arch9wavefront6targetE0EEEvSF_.num_vgpr, 0
	.set _ZN7rocprim17ROCPRIM_400000_NS6detail17trampoline_kernelINS0_14default_configENS1_38merge_sort_block_merge_config_selectorIbNS0_10empty_typeEEEZZNS1_27merge_sort_block_merge_implIS3_PbPS5_jNS1_19radix_merge_compareILb0ELb0EbNS0_19identity_decomposerEEEEE10hipError_tT0_T1_T2_jT3_P12ihipStream_tbPNSt15iterator_traitsISE_E10value_typeEPNSK_ISF_E10value_typeEPSG_NS1_7vsmem_tEENKUlT_SE_SF_SG_E_clIS8_S8_S9_S9_EESD_ST_SE_SF_SG_EUlST_E1_NS1_11comp_targetILNS1_3genE9ELNS1_11target_archE1100ELNS1_3gpuE3ELNS1_3repE0EEENS1_36merge_oddeven_config_static_selectorELNS0_4arch9wavefront6targetE0EEEvSF_.num_agpr, 0
	.set _ZN7rocprim17ROCPRIM_400000_NS6detail17trampoline_kernelINS0_14default_configENS1_38merge_sort_block_merge_config_selectorIbNS0_10empty_typeEEEZZNS1_27merge_sort_block_merge_implIS3_PbPS5_jNS1_19radix_merge_compareILb0ELb0EbNS0_19identity_decomposerEEEEE10hipError_tT0_T1_T2_jT3_P12ihipStream_tbPNSt15iterator_traitsISE_E10value_typeEPNSK_ISF_E10value_typeEPSG_NS1_7vsmem_tEENKUlT_SE_SF_SG_E_clIS8_S8_S9_S9_EESD_ST_SE_SF_SG_EUlST_E1_NS1_11comp_targetILNS1_3genE9ELNS1_11target_archE1100ELNS1_3gpuE3ELNS1_3repE0EEENS1_36merge_oddeven_config_static_selectorELNS0_4arch9wavefront6targetE0EEEvSF_.numbered_sgpr, 0
	.set _ZN7rocprim17ROCPRIM_400000_NS6detail17trampoline_kernelINS0_14default_configENS1_38merge_sort_block_merge_config_selectorIbNS0_10empty_typeEEEZZNS1_27merge_sort_block_merge_implIS3_PbPS5_jNS1_19radix_merge_compareILb0ELb0EbNS0_19identity_decomposerEEEEE10hipError_tT0_T1_T2_jT3_P12ihipStream_tbPNSt15iterator_traitsISE_E10value_typeEPNSK_ISF_E10value_typeEPSG_NS1_7vsmem_tEENKUlT_SE_SF_SG_E_clIS8_S8_S9_S9_EESD_ST_SE_SF_SG_EUlST_E1_NS1_11comp_targetILNS1_3genE9ELNS1_11target_archE1100ELNS1_3gpuE3ELNS1_3repE0EEENS1_36merge_oddeven_config_static_selectorELNS0_4arch9wavefront6targetE0EEEvSF_.num_named_barrier, 0
	.set _ZN7rocprim17ROCPRIM_400000_NS6detail17trampoline_kernelINS0_14default_configENS1_38merge_sort_block_merge_config_selectorIbNS0_10empty_typeEEEZZNS1_27merge_sort_block_merge_implIS3_PbPS5_jNS1_19radix_merge_compareILb0ELb0EbNS0_19identity_decomposerEEEEE10hipError_tT0_T1_T2_jT3_P12ihipStream_tbPNSt15iterator_traitsISE_E10value_typeEPNSK_ISF_E10value_typeEPSG_NS1_7vsmem_tEENKUlT_SE_SF_SG_E_clIS8_S8_S9_S9_EESD_ST_SE_SF_SG_EUlST_E1_NS1_11comp_targetILNS1_3genE9ELNS1_11target_archE1100ELNS1_3gpuE3ELNS1_3repE0EEENS1_36merge_oddeven_config_static_selectorELNS0_4arch9wavefront6targetE0EEEvSF_.private_seg_size, 0
	.set _ZN7rocprim17ROCPRIM_400000_NS6detail17trampoline_kernelINS0_14default_configENS1_38merge_sort_block_merge_config_selectorIbNS0_10empty_typeEEEZZNS1_27merge_sort_block_merge_implIS3_PbPS5_jNS1_19radix_merge_compareILb0ELb0EbNS0_19identity_decomposerEEEEE10hipError_tT0_T1_T2_jT3_P12ihipStream_tbPNSt15iterator_traitsISE_E10value_typeEPNSK_ISF_E10value_typeEPSG_NS1_7vsmem_tEENKUlT_SE_SF_SG_E_clIS8_S8_S9_S9_EESD_ST_SE_SF_SG_EUlST_E1_NS1_11comp_targetILNS1_3genE9ELNS1_11target_archE1100ELNS1_3gpuE3ELNS1_3repE0EEENS1_36merge_oddeven_config_static_selectorELNS0_4arch9wavefront6targetE0EEEvSF_.uses_vcc, 0
	.set _ZN7rocprim17ROCPRIM_400000_NS6detail17trampoline_kernelINS0_14default_configENS1_38merge_sort_block_merge_config_selectorIbNS0_10empty_typeEEEZZNS1_27merge_sort_block_merge_implIS3_PbPS5_jNS1_19radix_merge_compareILb0ELb0EbNS0_19identity_decomposerEEEEE10hipError_tT0_T1_T2_jT3_P12ihipStream_tbPNSt15iterator_traitsISE_E10value_typeEPNSK_ISF_E10value_typeEPSG_NS1_7vsmem_tEENKUlT_SE_SF_SG_E_clIS8_S8_S9_S9_EESD_ST_SE_SF_SG_EUlST_E1_NS1_11comp_targetILNS1_3genE9ELNS1_11target_archE1100ELNS1_3gpuE3ELNS1_3repE0EEENS1_36merge_oddeven_config_static_selectorELNS0_4arch9wavefront6targetE0EEEvSF_.uses_flat_scratch, 0
	.set _ZN7rocprim17ROCPRIM_400000_NS6detail17trampoline_kernelINS0_14default_configENS1_38merge_sort_block_merge_config_selectorIbNS0_10empty_typeEEEZZNS1_27merge_sort_block_merge_implIS3_PbPS5_jNS1_19radix_merge_compareILb0ELb0EbNS0_19identity_decomposerEEEEE10hipError_tT0_T1_T2_jT3_P12ihipStream_tbPNSt15iterator_traitsISE_E10value_typeEPNSK_ISF_E10value_typeEPSG_NS1_7vsmem_tEENKUlT_SE_SF_SG_E_clIS8_S8_S9_S9_EESD_ST_SE_SF_SG_EUlST_E1_NS1_11comp_targetILNS1_3genE9ELNS1_11target_archE1100ELNS1_3gpuE3ELNS1_3repE0EEENS1_36merge_oddeven_config_static_selectorELNS0_4arch9wavefront6targetE0EEEvSF_.has_dyn_sized_stack, 0
	.set _ZN7rocprim17ROCPRIM_400000_NS6detail17trampoline_kernelINS0_14default_configENS1_38merge_sort_block_merge_config_selectorIbNS0_10empty_typeEEEZZNS1_27merge_sort_block_merge_implIS3_PbPS5_jNS1_19radix_merge_compareILb0ELb0EbNS0_19identity_decomposerEEEEE10hipError_tT0_T1_T2_jT3_P12ihipStream_tbPNSt15iterator_traitsISE_E10value_typeEPNSK_ISF_E10value_typeEPSG_NS1_7vsmem_tEENKUlT_SE_SF_SG_E_clIS8_S8_S9_S9_EESD_ST_SE_SF_SG_EUlST_E1_NS1_11comp_targetILNS1_3genE9ELNS1_11target_archE1100ELNS1_3gpuE3ELNS1_3repE0EEENS1_36merge_oddeven_config_static_selectorELNS0_4arch9wavefront6targetE0EEEvSF_.has_recursion, 0
	.set _ZN7rocprim17ROCPRIM_400000_NS6detail17trampoline_kernelINS0_14default_configENS1_38merge_sort_block_merge_config_selectorIbNS0_10empty_typeEEEZZNS1_27merge_sort_block_merge_implIS3_PbPS5_jNS1_19radix_merge_compareILb0ELb0EbNS0_19identity_decomposerEEEEE10hipError_tT0_T1_T2_jT3_P12ihipStream_tbPNSt15iterator_traitsISE_E10value_typeEPNSK_ISF_E10value_typeEPSG_NS1_7vsmem_tEENKUlT_SE_SF_SG_E_clIS8_S8_S9_S9_EESD_ST_SE_SF_SG_EUlST_E1_NS1_11comp_targetILNS1_3genE9ELNS1_11target_archE1100ELNS1_3gpuE3ELNS1_3repE0EEENS1_36merge_oddeven_config_static_selectorELNS0_4arch9wavefront6targetE0EEEvSF_.has_indirect_call, 0
	.section	.AMDGPU.csdata,"",@progbits
; Kernel info:
; codeLenInByte = 0
; TotalNumSgprs: 0
; NumVgprs: 0
; ScratchSize: 0
; MemoryBound: 0
; FloatMode: 240
; IeeeMode: 1
; LDSByteSize: 0 bytes/workgroup (compile time only)
; SGPRBlocks: 0
; VGPRBlocks: 0
; NumSGPRsForWavesPerEU: 1
; NumVGPRsForWavesPerEU: 1
; NamedBarCnt: 0
; Occupancy: 16
; WaveLimiterHint : 0
; COMPUTE_PGM_RSRC2:SCRATCH_EN: 0
; COMPUTE_PGM_RSRC2:USER_SGPR: 2
; COMPUTE_PGM_RSRC2:TRAP_HANDLER: 0
; COMPUTE_PGM_RSRC2:TGID_X_EN: 1
; COMPUTE_PGM_RSRC2:TGID_Y_EN: 0
; COMPUTE_PGM_RSRC2:TGID_Z_EN: 0
; COMPUTE_PGM_RSRC2:TIDIG_COMP_CNT: 0
	.section	.text._ZN7rocprim17ROCPRIM_400000_NS6detail17trampoline_kernelINS0_14default_configENS1_38merge_sort_block_merge_config_selectorIbNS0_10empty_typeEEEZZNS1_27merge_sort_block_merge_implIS3_PbPS5_jNS1_19radix_merge_compareILb0ELb0EbNS0_19identity_decomposerEEEEE10hipError_tT0_T1_T2_jT3_P12ihipStream_tbPNSt15iterator_traitsISE_E10value_typeEPNSK_ISF_E10value_typeEPSG_NS1_7vsmem_tEENKUlT_SE_SF_SG_E_clIS8_S8_S9_S9_EESD_ST_SE_SF_SG_EUlST_E1_NS1_11comp_targetILNS1_3genE8ELNS1_11target_archE1030ELNS1_3gpuE2ELNS1_3repE0EEENS1_36merge_oddeven_config_static_selectorELNS0_4arch9wavefront6targetE0EEEvSF_,"axG",@progbits,_ZN7rocprim17ROCPRIM_400000_NS6detail17trampoline_kernelINS0_14default_configENS1_38merge_sort_block_merge_config_selectorIbNS0_10empty_typeEEEZZNS1_27merge_sort_block_merge_implIS3_PbPS5_jNS1_19radix_merge_compareILb0ELb0EbNS0_19identity_decomposerEEEEE10hipError_tT0_T1_T2_jT3_P12ihipStream_tbPNSt15iterator_traitsISE_E10value_typeEPNSK_ISF_E10value_typeEPSG_NS1_7vsmem_tEENKUlT_SE_SF_SG_E_clIS8_S8_S9_S9_EESD_ST_SE_SF_SG_EUlST_E1_NS1_11comp_targetILNS1_3genE8ELNS1_11target_archE1030ELNS1_3gpuE2ELNS1_3repE0EEENS1_36merge_oddeven_config_static_selectorELNS0_4arch9wavefront6targetE0EEEvSF_,comdat
	.protected	_ZN7rocprim17ROCPRIM_400000_NS6detail17trampoline_kernelINS0_14default_configENS1_38merge_sort_block_merge_config_selectorIbNS0_10empty_typeEEEZZNS1_27merge_sort_block_merge_implIS3_PbPS5_jNS1_19radix_merge_compareILb0ELb0EbNS0_19identity_decomposerEEEEE10hipError_tT0_T1_T2_jT3_P12ihipStream_tbPNSt15iterator_traitsISE_E10value_typeEPNSK_ISF_E10value_typeEPSG_NS1_7vsmem_tEENKUlT_SE_SF_SG_E_clIS8_S8_S9_S9_EESD_ST_SE_SF_SG_EUlST_E1_NS1_11comp_targetILNS1_3genE8ELNS1_11target_archE1030ELNS1_3gpuE2ELNS1_3repE0EEENS1_36merge_oddeven_config_static_selectorELNS0_4arch9wavefront6targetE0EEEvSF_ ; -- Begin function _ZN7rocprim17ROCPRIM_400000_NS6detail17trampoline_kernelINS0_14default_configENS1_38merge_sort_block_merge_config_selectorIbNS0_10empty_typeEEEZZNS1_27merge_sort_block_merge_implIS3_PbPS5_jNS1_19radix_merge_compareILb0ELb0EbNS0_19identity_decomposerEEEEE10hipError_tT0_T1_T2_jT3_P12ihipStream_tbPNSt15iterator_traitsISE_E10value_typeEPNSK_ISF_E10value_typeEPSG_NS1_7vsmem_tEENKUlT_SE_SF_SG_E_clIS8_S8_S9_S9_EESD_ST_SE_SF_SG_EUlST_E1_NS1_11comp_targetILNS1_3genE8ELNS1_11target_archE1030ELNS1_3gpuE2ELNS1_3repE0EEENS1_36merge_oddeven_config_static_selectorELNS0_4arch9wavefront6targetE0EEEvSF_
	.globl	_ZN7rocprim17ROCPRIM_400000_NS6detail17trampoline_kernelINS0_14default_configENS1_38merge_sort_block_merge_config_selectorIbNS0_10empty_typeEEEZZNS1_27merge_sort_block_merge_implIS3_PbPS5_jNS1_19radix_merge_compareILb0ELb0EbNS0_19identity_decomposerEEEEE10hipError_tT0_T1_T2_jT3_P12ihipStream_tbPNSt15iterator_traitsISE_E10value_typeEPNSK_ISF_E10value_typeEPSG_NS1_7vsmem_tEENKUlT_SE_SF_SG_E_clIS8_S8_S9_S9_EESD_ST_SE_SF_SG_EUlST_E1_NS1_11comp_targetILNS1_3genE8ELNS1_11target_archE1030ELNS1_3gpuE2ELNS1_3repE0EEENS1_36merge_oddeven_config_static_selectorELNS0_4arch9wavefront6targetE0EEEvSF_
	.p2align	8
	.type	_ZN7rocprim17ROCPRIM_400000_NS6detail17trampoline_kernelINS0_14default_configENS1_38merge_sort_block_merge_config_selectorIbNS0_10empty_typeEEEZZNS1_27merge_sort_block_merge_implIS3_PbPS5_jNS1_19radix_merge_compareILb0ELb0EbNS0_19identity_decomposerEEEEE10hipError_tT0_T1_T2_jT3_P12ihipStream_tbPNSt15iterator_traitsISE_E10value_typeEPNSK_ISF_E10value_typeEPSG_NS1_7vsmem_tEENKUlT_SE_SF_SG_E_clIS8_S8_S9_S9_EESD_ST_SE_SF_SG_EUlST_E1_NS1_11comp_targetILNS1_3genE8ELNS1_11target_archE1030ELNS1_3gpuE2ELNS1_3repE0EEENS1_36merge_oddeven_config_static_selectorELNS0_4arch9wavefront6targetE0EEEvSF_,@function
_ZN7rocprim17ROCPRIM_400000_NS6detail17trampoline_kernelINS0_14default_configENS1_38merge_sort_block_merge_config_selectorIbNS0_10empty_typeEEEZZNS1_27merge_sort_block_merge_implIS3_PbPS5_jNS1_19radix_merge_compareILb0ELb0EbNS0_19identity_decomposerEEEEE10hipError_tT0_T1_T2_jT3_P12ihipStream_tbPNSt15iterator_traitsISE_E10value_typeEPNSK_ISF_E10value_typeEPSG_NS1_7vsmem_tEENKUlT_SE_SF_SG_E_clIS8_S8_S9_S9_EESD_ST_SE_SF_SG_EUlST_E1_NS1_11comp_targetILNS1_3genE8ELNS1_11target_archE1030ELNS1_3gpuE2ELNS1_3repE0EEENS1_36merge_oddeven_config_static_selectorELNS0_4arch9wavefront6targetE0EEEvSF_: ; @_ZN7rocprim17ROCPRIM_400000_NS6detail17trampoline_kernelINS0_14default_configENS1_38merge_sort_block_merge_config_selectorIbNS0_10empty_typeEEEZZNS1_27merge_sort_block_merge_implIS3_PbPS5_jNS1_19radix_merge_compareILb0ELb0EbNS0_19identity_decomposerEEEEE10hipError_tT0_T1_T2_jT3_P12ihipStream_tbPNSt15iterator_traitsISE_E10value_typeEPNSK_ISF_E10value_typeEPSG_NS1_7vsmem_tEENKUlT_SE_SF_SG_E_clIS8_S8_S9_S9_EESD_ST_SE_SF_SG_EUlST_E1_NS1_11comp_targetILNS1_3genE8ELNS1_11target_archE1030ELNS1_3gpuE2ELNS1_3repE0EEENS1_36merge_oddeven_config_static_selectorELNS0_4arch9wavefront6targetE0EEEvSF_
; %bb.0:
	.section	.rodata,"a",@progbits
	.p2align	6, 0x0
	.amdhsa_kernel _ZN7rocprim17ROCPRIM_400000_NS6detail17trampoline_kernelINS0_14default_configENS1_38merge_sort_block_merge_config_selectorIbNS0_10empty_typeEEEZZNS1_27merge_sort_block_merge_implIS3_PbPS5_jNS1_19radix_merge_compareILb0ELb0EbNS0_19identity_decomposerEEEEE10hipError_tT0_T1_T2_jT3_P12ihipStream_tbPNSt15iterator_traitsISE_E10value_typeEPNSK_ISF_E10value_typeEPSG_NS1_7vsmem_tEENKUlT_SE_SF_SG_E_clIS8_S8_S9_S9_EESD_ST_SE_SF_SG_EUlST_E1_NS1_11comp_targetILNS1_3genE8ELNS1_11target_archE1030ELNS1_3gpuE2ELNS1_3repE0EEENS1_36merge_oddeven_config_static_selectorELNS0_4arch9wavefront6targetE0EEEvSF_
		.amdhsa_group_segment_fixed_size 0
		.amdhsa_private_segment_fixed_size 0
		.amdhsa_kernarg_size 48
		.amdhsa_user_sgpr_count 2
		.amdhsa_user_sgpr_dispatch_ptr 0
		.amdhsa_user_sgpr_queue_ptr 0
		.amdhsa_user_sgpr_kernarg_segment_ptr 1
		.amdhsa_user_sgpr_dispatch_id 0
		.amdhsa_user_sgpr_kernarg_preload_length 0
		.amdhsa_user_sgpr_kernarg_preload_offset 0
		.amdhsa_user_sgpr_private_segment_size 0
		.amdhsa_wavefront_size32 1
		.amdhsa_uses_dynamic_stack 0
		.amdhsa_enable_private_segment 0
		.amdhsa_system_sgpr_workgroup_id_x 1
		.amdhsa_system_sgpr_workgroup_id_y 0
		.amdhsa_system_sgpr_workgroup_id_z 0
		.amdhsa_system_sgpr_workgroup_info 0
		.amdhsa_system_vgpr_workitem_id 0
		.amdhsa_next_free_vgpr 1
		.amdhsa_next_free_sgpr 1
		.amdhsa_named_barrier_count 0
		.amdhsa_reserve_vcc 0
		.amdhsa_float_round_mode_32 0
		.amdhsa_float_round_mode_16_64 0
		.amdhsa_float_denorm_mode_32 3
		.amdhsa_float_denorm_mode_16_64 3
		.amdhsa_fp16_overflow 0
		.amdhsa_memory_ordered 1
		.amdhsa_forward_progress 1
		.amdhsa_inst_pref_size 0
		.amdhsa_round_robin_scheduling 0
		.amdhsa_exception_fp_ieee_invalid_op 0
		.amdhsa_exception_fp_denorm_src 0
		.amdhsa_exception_fp_ieee_div_zero 0
		.amdhsa_exception_fp_ieee_overflow 0
		.amdhsa_exception_fp_ieee_underflow 0
		.amdhsa_exception_fp_ieee_inexact 0
		.amdhsa_exception_int_div_zero 0
	.end_amdhsa_kernel
	.section	.text._ZN7rocprim17ROCPRIM_400000_NS6detail17trampoline_kernelINS0_14default_configENS1_38merge_sort_block_merge_config_selectorIbNS0_10empty_typeEEEZZNS1_27merge_sort_block_merge_implIS3_PbPS5_jNS1_19radix_merge_compareILb0ELb0EbNS0_19identity_decomposerEEEEE10hipError_tT0_T1_T2_jT3_P12ihipStream_tbPNSt15iterator_traitsISE_E10value_typeEPNSK_ISF_E10value_typeEPSG_NS1_7vsmem_tEENKUlT_SE_SF_SG_E_clIS8_S8_S9_S9_EESD_ST_SE_SF_SG_EUlST_E1_NS1_11comp_targetILNS1_3genE8ELNS1_11target_archE1030ELNS1_3gpuE2ELNS1_3repE0EEENS1_36merge_oddeven_config_static_selectorELNS0_4arch9wavefront6targetE0EEEvSF_,"axG",@progbits,_ZN7rocprim17ROCPRIM_400000_NS6detail17trampoline_kernelINS0_14default_configENS1_38merge_sort_block_merge_config_selectorIbNS0_10empty_typeEEEZZNS1_27merge_sort_block_merge_implIS3_PbPS5_jNS1_19radix_merge_compareILb0ELb0EbNS0_19identity_decomposerEEEEE10hipError_tT0_T1_T2_jT3_P12ihipStream_tbPNSt15iterator_traitsISE_E10value_typeEPNSK_ISF_E10value_typeEPSG_NS1_7vsmem_tEENKUlT_SE_SF_SG_E_clIS8_S8_S9_S9_EESD_ST_SE_SF_SG_EUlST_E1_NS1_11comp_targetILNS1_3genE8ELNS1_11target_archE1030ELNS1_3gpuE2ELNS1_3repE0EEENS1_36merge_oddeven_config_static_selectorELNS0_4arch9wavefront6targetE0EEEvSF_,comdat
.Lfunc_end1809:
	.size	_ZN7rocprim17ROCPRIM_400000_NS6detail17trampoline_kernelINS0_14default_configENS1_38merge_sort_block_merge_config_selectorIbNS0_10empty_typeEEEZZNS1_27merge_sort_block_merge_implIS3_PbPS5_jNS1_19radix_merge_compareILb0ELb0EbNS0_19identity_decomposerEEEEE10hipError_tT0_T1_T2_jT3_P12ihipStream_tbPNSt15iterator_traitsISE_E10value_typeEPNSK_ISF_E10value_typeEPSG_NS1_7vsmem_tEENKUlT_SE_SF_SG_E_clIS8_S8_S9_S9_EESD_ST_SE_SF_SG_EUlST_E1_NS1_11comp_targetILNS1_3genE8ELNS1_11target_archE1030ELNS1_3gpuE2ELNS1_3repE0EEENS1_36merge_oddeven_config_static_selectorELNS0_4arch9wavefront6targetE0EEEvSF_, .Lfunc_end1809-_ZN7rocprim17ROCPRIM_400000_NS6detail17trampoline_kernelINS0_14default_configENS1_38merge_sort_block_merge_config_selectorIbNS0_10empty_typeEEEZZNS1_27merge_sort_block_merge_implIS3_PbPS5_jNS1_19radix_merge_compareILb0ELb0EbNS0_19identity_decomposerEEEEE10hipError_tT0_T1_T2_jT3_P12ihipStream_tbPNSt15iterator_traitsISE_E10value_typeEPNSK_ISF_E10value_typeEPSG_NS1_7vsmem_tEENKUlT_SE_SF_SG_E_clIS8_S8_S9_S9_EESD_ST_SE_SF_SG_EUlST_E1_NS1_11comp_targetILNS1_3genE8ELNS1_11target_archE1030ELNS1_3gpuE2ELNS1_3repE0EEENS1_36merge_oddeven_config_static_selectorELNS0_4arch9wavefront6targetE0EEEvSF_
                                        ; -- End function
	.set _ZN7rocprim17ROCPRIM_400000_NS6detail17trampoline_kernelINS0_14default_configENS1_38merge_sort_block_merge_config_selectorIbNS0_10empty_typeEEEZZNS1_27merge_sort_block_merge_implIS3_PbPS5_jNS1_19radix_merge_compareILb0ELb0EbNS0_19identity_decomposerEEEEE10hipError_tT0_T1_T2_jT3_P12ihipStream_tbPNSt15iterator_traitsISE_E10value_typeEPNSK_ISF_E10value_typeEPSG_NS1_7vsmem_tEENKUlT_SE_SF_SG_E_clIS8_S8_S9_S9_EESD_ST_SE_SF_SG_EUlST_E1_NS1_11comp_targetILNS1_3genE8ELNS1_11target_archE1030ELNS1_3gpuE2ELNS1_3repE0EEENS1_36merge_oddeven_config_static_selectorELNS0_4arch9wavefront6targetE0EEEvSF_.num_vgpr, 0
	.set _ZN7rocprim17ROCPRIM_400000_NS6detail17trampoline_kernelINS0_14default_configENS1_38merge_sort_block_merge_config_selectorIbNS0_10empty_typeEEEZZNS1_27merge_sort_block_merge_implIS3_PbPS5_jNS1_19radix_merge_compareILb0ELb0EbNS0_19identity_decomposerEEEEE10hipError_tT0_T1_T2_jT3_P12ihipStream_tbPNSt15iterator_traitsISE_E10value_typeEPNSK_ISF_E10value_typeEPSG_NS1_7vsmem_tEENKUlT_SE_SF_SG_E_clIS8_S8_S9_S9_EESD_ST_SE_SF_SG_EUlST_E1_NS1_11comp_targetILNS1_3genE8ELNS1_11target_archE1030ELNS1_3gpuE2ELNS1_3repE0EEENS1_36merge_oddeven_config_static_selectorELNS0_4arch9wavefront6targetE0EEEvSF_.num_agpr, 0
	.set _ZN7rocprim17ROCPRIM_400000_NS6detail17trampoline_kernelINS0_14default_configENS1_38merge_sort_block_merge_config_selectorIbNS0_10empty_typeEEEZZNS1_27merge_sort_block_merge_implIS3_PbPS5_jNS1_19radix_merge_compareILb0ELb0EbNS0_19identity_decomposerEEEEE10hipError_tT0_T1_T2_jT3_P12ihipStream_tbPNSt15iterator_traitsISE_E10value_typeEPNSK_ISF_E10value_typeEPSG_NS1_7vsmem_tEENKUlT_SE_SF_SG_E_clIS8_S8_S9_S9_EESD_ST_SE_SF_SG_EUlST_E1_NS1_11comp_targetILNS1_3genE8ELNS1_11target_archE1030ELNS1_3gpuE2ELNS1_3repE0EEENS1_36merge_oddeven_config_static_selectorELNS0_4arch9wavefront6targetE0EEEvSF_.numbered_sgpr, 0
	.set _ZN7rocprim17ROCPRIM_400000_NS6detail17trampoline_kernelINS0_14default_configENS1_38merge_sort_block_merge_config_selectorIbNS0_10empty_typeEEEZZNS1_27merge_sort_block_merge_implIS3_PbPS5_jNS1_19radix_merge_compareILb0ELb0EbNS0_19identity_decomposerEEEEE10hipError_tT0_T1_T2_jT3_P12ihipStream_tbPNSt15iterator_traitsISE_E10value_typeEPNSK_ISF_E10value_typeEPSG_NS1_7vsmem_tEENKUlT_SE_SF_SG_E_clIS8_S8_S9_S9_EESD_ST_SE_SF_SG_EUlST_E1_NS1_11comp_targetILNS1_3genE8ELNS1_11target_archE1030ELNS1_3gpuE2ELNS1_3repE0EEENS1_36merge_oddeven_config_static_selectorELNS0_4arch9wavefront6targetE0EEEvSF_.num_named_barrier, 0
	.set _ZN7rocprim17ROCPRIM_400000_NS6detail17trampoline_kernelINS0_14default_configENS1_38merge_sort_block_merge_config_selectorIbNS0_10empty_typeEEEZZNS1_27merge_sort_block_merge_implIS3_PbPS5_jNS1_19radix_merge_compareILb0ELb0EbNS0_19identity_decomposerEEEEE10hipError_tT0_T1_T2_jT3_P12ihipStream_tbPNSt15iterator_traitsISE_E10value_typeEPNSK_ISF_E10value_typeEPSG_NS1_7vsmem_tEENKUlT_SE_SF_SG_E_clIS8_S8_S9_S9_EESD_ST_SE_SF_SG_EUlST_E1_NS1_11comp_targetILNS1_3genE8ELNS1_11target_archE1030ELNS1_3gpuE2ELNS1_3repE0EEENS1_36merge_oddeven_config_static_selectorELNS0_4arch9wavefront6targetE0EEEvSF_.private_seg_size, 0
	.set _ZN7rocprim17ROCPRIM_400000_NS6detail17trampoline_kernelINS0_14default_configENS1_38merge_sort_block_merge_config_selectorIbNS0_10empty_typeEEEZZNS1_27merge_sort_block_merge_implIS3_PbPS5_jNS1_19radix_merge_compareILb0ELb0EbNS0_19identity_decomposerEEEEE10hipError_tT0_T1_T2_jT3_P12ihipStream_tbPNSt15iterator_traitsISE_E10value_typeEPNSK_ISF_E10value_typeEPSG_NS1_7vsmem_tEENKUlT_SE_SF_SG_E_clIS8_S8_S9_S9_EESD_ST_SE_SF_SG_EUlST_E1_NS1_11comp_targetILNS1_3genE8ELNS1_11target_archE1030ELNS1_3gpuE2ELNS1_3repE0EEENS1_36merge_oddeven_config_static_selectorELNS0_4arch9wavefront6targetE0EEEvSF_.uses_vcc, 0
	.set _ZN7rocprim17ROCPRIM_400000_NS6detail17trampoline_kernelINS0_14default_configENS1_38merge_sort_block_merge_config_selectorIbNS0_10empty_typeEEEZZNS1_27merge_sort_block_merge_implIS3_PbPS5_jNS1_19radix_merge_compareILb0ELb0EbNS0_19identity_decomposerEEEEE10hipError_tT0_T1_T2_jT3_P12ihipStream_tbPNSt15iterator_traitsISE_E10value_typeEPNSK_ISF_E10value_typeEPSG_NS1_7vsmem_tEENKUlT_SE_SF_SG_E_clIS8_S8_S9_S9_EESD_ST_SE_SF_SG_EUlST_E1_NS1_11comp_targetILNS1_3genE8ELNS1_11target_archE1030ELNS1_3gpuE2ELNS1_3repE0EEENS1_36merge_oddeven_config_static_selectorELNS0_4arch9wavefront6targetE0EEEvSF_.uses_flat_scratch, 0
	.set _ZN7rocprim17ROCPRIM_400000_NS6detail17trampoline_kernelINS0_14default_configENS1_38merge_sort_block_merge_config_selectorIbNS0_10empty_typeEEEZZNS1_27merge_sort_block_merge_implIS3_PbPS5_jNS1_19radix_merge_compareILb0ELb0EbNS0_19identity_decomposerEEEEE10hipError_tT0_T1_T2_jT3_P12ihipStream_tbPNSt15iterator_traitsISE_E10value_typeEPNSK_ISF_E10value_typeEPSG_NS1_7vsmem_tEENKUlT_SE_SF_SG_E_clIS8_S8_S9_S9_EESD_ST_SE_SF_SG_EUlST_E1_NS1_11comp_targetILNS1_3genE8ELNS1_11target_archE1030ELNS1_3gpuE2ELNS1_3repE0EEENS1_36merge_oddeven_config_static_selectorELNS0_4arch9wavefront6targetE0EEEvSF_.has_dyn_sized_stack, 0
	.set _ZN7rocprim17ROCPRIM_400000_NS6detail17trampoline_kernelINS0_14default_configENS1_38merge_sort_block_merge_config_selectorIbNS0_10empty_typeEEEZZNS1_27merge_sort_block_merge_implIS3_PbPS5_jNS1_19radix_merge_compareILb0ELb0EbNS0_19identity_decomposerEEEEE10hipError_tT0_T1_T2_jT3_P12ihipStream_tbPNSt15iterator_traitsISE_E10value_typeEPNSK_ISF_E10value_typeEPSG_NS1_7vsmem_tEENKUlT_SE_SF_SG_E_clIS8_S8_S9_S9_EESD_ST_SE_SF_SG_EUlST_E1_NS1_11comp_targetILNS1_3genE8ELNS1_11target_archE1030ELNS1_3gpuE2ELNS1_3repE0EEENS1_36merge_oddeven_config_static_selectorELNS0_4arch9wavefront6targetE0EEEvSF_.has_recursion, 0
	.set _ZN7rocprim17ROCPRIM_400000_NS6detail17trampoline_kernelINS0_14default_configENS1_38merge_sort_block_merge_config_selectorIbNS0_10empty_typeEEEZZNS1_27merge_sort_block_merge_implIS3_PbPS5_jNS1_19radix_merge_compareILb0ELb0EbNS0_19identity_decomposerEEEEE10hipError_tT0_T1_T2_jT3_P12ihipStream_tbPNSt15iterator_traitsISE_E10value_typeEPNSK_ISF_E10value_typeEPSG_NS1_7vsmem_tEENKUlT_SE_SF_SG_E_clIS8_S8_S9_S9_EESD_ST_SE_SF_SG_EUlST_E1_NS1_11comp_targetILNS1_3genE8ELNS1_11target_archE1030ELNS1_3gpuE2ELNS1_3repE0EEENS1_36merge_oddeven_config_static_selectorELNS0_4arch9wavefront6targetE0EEEvSF_.has_indirect_call, 0
	.section	.AMDGPU.csdata,"",@progbits
; Kernel info:
; codeLenInByte = 0
; TotalNumSgprs: 0
; NumVgprs: 0
; ScratchSize: 0
; MemoryBound: 0
; FloatMode: 240
; IeeeMode: 1
; LDSByteSize: 0 bytes/workgroup (compile time only)
; SGPRBlocks: 0
; VGPRBlocks: 0
; NumSGPRsForWavesPerEU: 1
; NumVGPRsForWavesPerEU: 1
; NamedBarCnt: 0
; Occupancy: 16
; WaveLimiterHint : 0
; COMPUTE_PGM_RSRC2:SCRATCH_EN: 0
; COMPUTE_PGM_RSRC2:USER_SGPR: 2
; COMPUTE_PGM_RSRC2:TRAP_HANDLER: 0
; COMPUTE_PGM_RSRC2:TGID_X_EN: 1
; COMPUTE_PGM_RSRC2:TGID_Y_EN: 0
; COMPUTE_PGM_RSRC2:TGID_Z_EN: 0
; COMPUTE_PGM_RSRC2:TIDIG_COMP_CNT: 0
	.section	.text._ZN7rocprim17ROCPRIM_400000_NS6detail17trampoline_kernelINS0_14default_configENS1_38merge_sort_block_merge_config_selectorIbNS0_10empty_typeEEEZZNS1_27merge_sort_block_merge_implIS3_PbPS5_jNS1_19radix_merge_compareILb0ELb1EbNS0_19identity_decomposerEEEEE10hipError_tT0_T1_T2_jT3_P12ihipStream_tbPNSt15iterator_traitsISE_E10value_typeEPNSK_ISF_E10value_typeEPSG_NS1_7vsmem_tEENKUlT_SE_SF_SG_E_clIS8_S8_S9_S9_EESD_ST_SE_SF_SG_EUlST_E_NS1_11comp_targetILNS1_3genE0ELNS1_11target_archE4294967295ELNS1_3gpuE0ELNS1_3repE0EEENS1_48merge_mergepath_partition_config_static_selectorELNS0_4arch9wavefront6targetE0EEEvSF_,"axG",@progbits,_ZN7rocprim17ROCPRIM_400000_NS6detail17trampoline_kernelINS0_14default_configENS1_38merge_sort_block_merge_config_selectorIbNS0_10empty_typeEEEZZNS1_27merge_sort_block_merge_implIS3_PbPS5_jNS1_19radix_merge_compareILb0ELb1EbNS0_19identity_decomposerEEEEE10hipError_tT0_T1_T2_jT3_P12ihipStream_tbPNSt15iterator_traitsISE_E10value_typeEPNSK_ISF_E10value_typeEPSG_NS1_7vsmem_tEENKUlT_SE_SF_SG_E_clIS8_S8_S9_S9_EESD_ST_SE_SF_SG_EUlST_E_NS1_11comp_targetILNS1_3genE0ELNS1_11target_archE4294967295ELNS1_3gpuE0ELNS1_3repE0EEENS1_48merge_mergepath_partition_config_static_selectorELNS0_4arch9wavefront6targetE0EEEvSF_,comdat
	.protected	_ZN7rocprim17ROCPRIM_400000_NS6detail17trampoline_kernelINS0_14default_configENS1_38merge_sort_block_merge_config_selectorIbNS0_10empty_typeEEEZZNS1_27merge_sort_block_merge_implIS3_PbPS5_jNS1_19radix_merge_compareILb0ELb1EbNS0_19identity_decomposerEEEEE10hipError_tT0_T1_T2_jT3_P12ihipStream_tbPNSt15iterator_traitsISE_E10value_typeEPNSK_ISF_E10value_typeEPSG_NS1_7vsmem_tEENKUlT_SE_SF_SG_E_clIS8_S8_S9_S9_EESD_ST_SE_SF_SG_EUlST_E_NS1_11comp_targetILNS1_3genE0ELNS1_11target_archE4294967295ELNS1_3gpuE0ELNS1_3repE0EEENS1_48merge_mergepath_partition_config_static_selectorELNS0_4arch9wavefront6targetE0EEEvSF_ ; -- Begin function _ZN7rocprim17ROCPRIM_400000_NS6detail17trampoline_kernelINS0_14default_configENS1_38merge_sort_block_merge_config_selectorIbNS0_10empty_typeEEEZZNS1_27merge_sort_block_merge_implIS3_PbPS5_jNS1_19radix_merge_compareILb0ELb1EbNS0_19identity_decomposerEEEEE10hipError_tT0_T1_T2_jT3_P12ihipStream_tbPNSt15iterator_traitsISE_E10value_typeEPNSK_ISF_E10value_typeEPSG_NS1_7vsmem_tEENKUlT_SE_SF_SG_E_clIS8_S8_S9_S9_EESD_ST_SE_SF_SG_EUlST_E_NS1_11comp_targetILNS1_3genE0ELNS1_11target_archE4294967295ELNS1_3gpuE0ELNS1_3repE0EEENS1_48merge_mergepath_partition_config_static_selectorELNS0_4arch9wavefront6targetE0EEEvSF_
	.globl	_ZN7rocprim17ROCPRIM_400000_NS6detail17trampoline_kernelINS0_14default_configENS1_38merge_sort_block_merge_config_selectorIbNS0_10empty_typeEEEZZNS1_27merge_sort_block_merge_implIS3_PbPS5_jNS1_19radix_merge_compareILb0ELb1EbNS0_19identity_decomposerEEEEE10hipError_tT0_T1_T2_jT3_P12ihipStream_tbPNSt15iterator_traitsISE_E10value_typeEPNSK_ISF_E10value_typeEPSG_NS1_7vsmem_tEENKUlT_SE_SF_SG_E_clIS8_S8_S9_S9_EESD_ST_SE_SF_SG_EUlST_E_NS1_11comp_targetILNS1_3genE0ELNS1_11target_archE4294967295ELNS1_3gpuE0ELNS1_3repE0EEENS1_48merge_mergepath_partition_config_static_selectorELNS0_4arch9wavefront6targetE0EEEvSF_
	.p2align	8
	.type	_ZN7rocprim17ROCPRIM_400000_NS6detail17trampoline_kernelINS0_14default_configENS1_38merge_sort_block_merge_config_selectorIbNS0_10empty_typeEEEZZNS1_27merge_sort_block_merge_implIS3_PbPS5_jNS1_19radix_merge_compareILb0ELb1EbNS0_19identity_decomposerEEEEE10hipError_tT0_T1_T2_jT3_P12ihipStream_tbPNSt15iterator_traitsISE_E10value_typeEPNSK_ISF_E10value_typeEPSG_NS1_7vsmem_tEENKUlT_SE_SF_SG_E_clIS8_S8_S9_S9_EESD_ST_SE_SF_SG_EUlST_E_NS1_11comp_targetILNS1_3genE0ELNS1_11target_archE4294967295ELNS1_3gpuE0ELNS1_3repE0EEENS1_48merge_mergepath_partition_config_static_selectorELNS0_4arch9wavefront6targetE0EEEvSF_,@function
_ZN7rocprim17ROCPRIM_400000_NS6detail17trampoline_kernelINS0_14default_configENS1_38merge_sort_block_merge_config_selectorIbNS0_10empty_typeEEEZZNS1_27merge_sort_block_merge_implIS3_PbPS5_jNS1_19radix_merge_compareILb0ELb1EbNS0_19identity_decomposerEEEEE10hipError_tT0_T1_T2_jT3_P12ihipStream_tbPNSt15iterator_traitsISE_E10value_typeEPNSK_ISF_E10value_typeEPSG_NS1_7vsmem_tEENKUlT_SE_SF_SG_E_clIS8_S8_S9_S9_EESD_ST_SE_SF_SG_EUlST_E_NS1_11comp_targetILNS1_3genE0ELNS1_11target_archE4294967295ELNS1_3gpuE0ELNS1_3repE0EEENS1_48merge_mergepath_partition_config_static_selectorELNS0_4arch9wavefront6targetE0EEEvSF_: ; @_ZN7rocprim17ROCPRIM_400000_NS6detail17trampoline_kernelINS0_14default_configENS1_38merge_sort_block_merge_config_selectorIbNS0_10empty_typeEEEZZNS1_27merge_sort_block_merge_implIS3_PbPS5_jNS1_19radix_merge_compareILb0ELb1EbNS0_19identity_decomposerEEEEE10hipError_tT0_T1_T2_jT3_P12ihipStream_tbPNSt15iterator_traitsISE_E10value_typeEPNSK_ISF_E10value_typeEPSG_NS1_7vsmem_tEENKUlT_SE_SF_SG_E_clIS8_S8_S9_S9_EESD_ST_SE_SF_SG_EUlST_E_NS1_11comp_targetILNS1_3genE0ELNS1_11target_archE4294967295ELNS1_3gpuE0ELNS1_3repE0EEENS1_48merge_mergepath_partition_config_static_selectorELNS0_4arch9wavefront6targetE0EEEvSF_
; %bb.0:
	s_load_b32 s4, s[2:3], 0x0
	s_bfe_u32 s5, ttmp6, 0x4000c
	s_and_b32 s6, ttmp6, 15
	s_add_co_i32 s5, s5, 1
	s_getreg_b32 s7, hwreg(HW_REG_IB_STS2, 6, 4)
	s_mul_i32 s5, ttmp9, s5
	v_and_b32_e32 v1, 0x3ff, v0
	s_add_co_i32 s6, s6, s5
	s_cmp_eq_u32 s7, 0
	s_cselect_b32 s5, ttmp9, s6
	s_delay_alu instid0(VALU_DEP_1) | instid1(SALU_CYCLE_1)
	v_lshl_or_b32 v8, s5, 7, v1
	s_wait_kmcnt 0x0
	s_delay_alu instid0(VALU_DEP_1)
	v_cmp_gt_u32_e32 vcc_lo, s4, v8
	s_and_saveexec_b32 s4, vcc_lo
	s_cbranch_execz .LBB1810_6
; %bb.1:
	s_clause 0x1
	s_load_b64 s[4:5], s[2:3], 0x4
	s_load_b32 s8, s[2:3], 0x18
	v_bfe_u32 v7, v0, 10, 10
	v_bfe_u32 v0, v0, 20, 10
	s_wait_kmcnt 0x0
	s_lshr_b32 s6, s4, 9
	s_delay_alu instid0(SALU_CYCLE_1) | instskip(NEXT) | instid1(SALU_CYCLE_1)
	s_and_b32 s9, s6, 0x7ffffe
	s_sub_co_i32 s6, 0, s9
	s_add_co_i32 s9, s9, -1
	s_delay_alu instid0(SALU_CYCLE_1) | instskip(SKIP_2) | instid1(VALU_DEP_1)
	v_and_b32_e32 v3, s9, v8
	v_and_b32_e32 v2, s6, v8
	s_load_b64 s[6:7], s[0:1], 0x4
	v_dual_lshlrev_b32 v3, 10, v3 :: v_dual_lshlrev_b32 v2, 10, v2
	s_wait_xcnt 0x0
	s_load_b64 s[0:1], s[2:3], 0x20
	s_delay_alu instid0(VALU_DEP_1) | instskip(SKIP_1) | instid1(VALU_DEP_2)
	v_add_min_u32_e64 v4, v2, s4, s5
	v_min_u32_e32 v2, s5, v2
	v_add_min_u32_e64 v5, v4, s4, s5
	s_delay_alu instid0(VALU_DEP_1)
	v_sub_nc_u32_e32 v6, v5, v2
	s_wait_kmcnt 0x0
	s_lshr_b32 s4, s6, 16
	v_sub_nc_u32_e32 v5, v5, v4
	s_mul_i32 s4, s4, s7
	v_min_u32_e32 v10, v6, v3
	v_mul_u32_u24_e32 v6, s7, v7
	v_mul_u32_u24_e32 v1, s4, v1
	s_and_b32 s4, s8, 1
	v_sub_nc_u32_e32 v3, v4, v2
	v_sub_nc_u32_e64 v9, v10, v5 clamp
	s_delay_alu instid0(VALU_DEP_3) | instskip(SKIP_1) | instid1(VALU_DEP_4)
	v_add3_u32 v0, v1, v6, v0
	v_mov_b32_e32 v1, s4
	v_min_u32_e32 v11, v10, v3
	s_mov_b32 s4, exec_lo
	ds_store_b8 v0, v1
	v_cmpx_lt_u32_e64 v9, v11
	s_cbranch_execz .LBB1810_5
; %bb.2:
	s_load_b64 s[2:3], s[2:3], 0x10
	ds_load_u8 v12, v0
	v_mov_b32_e32 v5, 0
	s_delay_alu instid0(VALU_DEP_1) | instskip(SKIP_1) | instid1(VALU_DEP_1)
	v_mov_b32_e32 v3, v5
	s_wait_kmcnt 0x0
	v_add_nc_u64_e32 v[0:1], s[2:3], v[2:3]
	v_add_nc_u64_e32 v[6:7], s[2:3], v[4:5]
	s_mov_b32 s2, 0
.LBB1810_3:                             ; =>This Inner Loop Header: Depth=1
	v_dual_add_nc_u32 v3, v11, v9 :: v_dual_mov_b32 v15, v5
	s_delay_alu instid0(VALU_DEP_1) | instskip(NEXT) | instid1(VALU_DEP_1)
	v_lshrrev_b32_e32 v4, 1, v3
	v_xad_u32 v14, v4, -1, v10
	v_add_nc_u64_e32 v[16:17], v[0:1], v[4:5]
	s_delay_alu instid0(VALU_DEP_2)
	v_add_nc_u64_e32 v[14:15], v[6:7], v[14:15]
	s_clause 0x1
	global_load_u8 v3, v[16:17], off
	global_load_u8 v13, v[14:15], off
	s_wait_loadcnt_dscnt 0x100
	v_bitop3_b16 v3, v3, 1, v12 bitop3:0x80
	s_wait_loadcnt 0x0
	v_bitop3_b16 v13, v13, 1, v12 bitop3:0x80
	s_delay_alu instid0(VALU_DEP_1) | instskip(SKIP_1) | instid1(VALU_DEP_1)
	v_cmp_gt_u16_e32 vcc_lo, v3, v13
	v_add_nc_u32_e32 v14, 1, v4
	v_dual_cndmask_b32 v9, v14, v9, vcc_lo :: v_dual_cndmask_b32 v11, v11, v4, vcc_lo
	s_delay_alu instid0(VALU_DEP_1) | instskip(SKIP_1) | instid1(SALU_CYCLE_1)
	v_cmp_ge_u32_e32 vcc_lo, v9, v11
	s_or_b32 s2, vcc_lo, s2
	s_and_not1_b32 exec_lo, exec_lo, s2
	s_cbranch_execnz .LBB1810_3
; %bb.4:
	s_or_b32 exec_lo, exec_lo, s2
.LBB1810_5:
	s_delay_alu instid0(SALU_CYCLE_1)
	s_or_b32 exec_lo, exec_lo, s4
	v_add_nc_u32_e32 v0, v9, v2
	global_store_b32 v8, v0, s[0:1] scale_offset
.LBB1810_6:
	s_endpgm
	.section	.rodata,"a",@progbits
	.p2align	6, 0x0
	.amdhsa_kernel _ZN7rocprim17ROCPRIM_400000_NS6detail17trampoline_kernelINS0_14default_configENS1_38merge_sort_block_merge_config_selectorIbNS0_10empty_typeEEEZZNS1_27merge_sort_block_merge_implIS3_PbPS5_jNS1_19radix_merge_compareILb0ELb1EbNS0_19identity_decomposerEEEEE10hipError_tT0_T1_T2_jT3_P12ihipStream_tbPNSt15iterator_traitsISE_E10value_typeEPNSK_ISF_E10value_typeEPSG_NS1_7vsmem_tEENKUlT_SE_SF_SG_E_clIS8_S8_S9_S9_EESD_ST_SE_SF_SG_EUlST_E_NS1_11comp_targetILNS1_3genE0ELNS1_11target_archE4294967295ELNS1_3gpuE0ELNS1_3repE0EEENS1_48merge_mergepath_partition_config_static_selectorELNS0_4arch9wavefront6targetE0EEEvSF_
		.amdhsa_group_segment_fixed_size 128
		.amdhsa_private_segment_fixed_size 0
		.amdhsa_kernarg_size 40
		.amdhsa_user_sgpr_count 4
		.amdhsa_user_sgpr_dispatch_ptr 1
		.amdhsa_user_sgpr_queue_ptr 0
		.amdhsa_user_sgpr_kernarg_segment_ptr 1
		.amdhsa_user_sgpr_dispatch_id 0
		.amdhsa_user_sgpr_kernarg_preload_length 0
		.amdhsa_user_sgpr_kernarg_preload_offset 0
		.amdhsa_user_sgpr_private_segment_size 0
		.amdhsa_wavefront_size32 1
		.amdhsa_uses_dynamic_stack 0
		.amdhsa_enable_private_segment 0
		.amdhsa_system_sgpr_workgroup_id_x 1
		.amdhsa_system_sgpr_workgroup_id_y 0
		.amdhsa_system_sgpr_workgroup_id_z 0
		.amdhsa_system_sgpr_workgroup_info 0
		.amdhsa_system_vgpr_workitem_id 2
		.amdhsa_next_free_vgpr 18
		.amdhsa_next_free_sgpr 10
		.amdhsa_named_barrier_count 0
		.amdhsa_reserve_vcc 1
		.amdhsa_float_round_mode_32 0
		.amdhsa_float_round_mode_16_64 0
		.amdhsa_float_denorm_mode_32 3
		.amdhsa_float_denorm_mode_16_64 3
		.amdhsa_fp16_overflow 0
		.amdhsa_memory_ordered 1
		.amdhsa_forward_progress 1
		.amdhsa_inst_pref_size 5
		.amdhsa_round_robin_scheduling 0
		.amdhsa_exception_fp_ieee_invalid_op 0
		.amdhsa_exception_fp_denorm_src 0
		.amdhsa_exception_fp_ieee_div_zero 0
		.amdhsa_exception_fp_ieee_overflow 0
		.amdhsa_exception_fp_ieee_underflow 0
		.amdhsa_exception_fp_ieee_inexact 0
		.amdhsa_exception_int_div_zero 0
	.end_amdhsa_kernel
	.section	.text._ZN7rocprim17ROCPRIM_400000_NS6detail17trampoline_kernelINS0_14default_configENS1_38merge_sort_block_merge_config_selectorIbNS0_10empty_typeEEEZZNS1_27merge_sort_block_merge_implIS3_PbPS5_jNS1_19radix_merge_compareILb0ELb1EbNS0_19identity_decomposerEEEEE10hipError_tT0_T1_T2_jT3_P12ihipStream_tbPNSt15iterator_traitsISE_E10value_typeEPNSK_ISF_E10value_typeEPSG_NS1_7vsmem_tEENKUlT_SE_SF_SG_E_clIS8_S8_S9_S9_EESD_ST_SE_SF_SG_EUlST_E_NS1_11comp_targetILNS1_3genE0ELNS1_11target_archE4294967295ELNS1_3gpuE0ELNS1_3repE0EEENS1_48merge_mergepath_partition_config_static_selectorELNS0_4arch9wavefront6targetE0EEEvSF_,"axG",@progbits,_ZN7rocprim17ROCPRIM_400000_NS6detail17trampoline_kernelINS0_14default_configENS1_38merge_sort_block_merge_config_selectorIbNS0_10empty_typeEEEZZNS1_27merge_sort_block_merge_implIS3_PbPS5_jNS1_19radix_merge_compareILb0ELb1EbNS0_19identity_decomposerEEEEE10hipError_tT0_T1_T2_jT3_P12ihipStream_tbPNSt15iterator_traitsISE_E10value_typeEPNSK_ISF_E10value_typeEPSG_NS1_7vsmem_tEENKUlT_SE_SF_SG_E_clIS8_S8_S9_S9_EESD_ST_SE_SF_SG_EUlST_E_NS1_11comp_targetILNS1_3genE0ELNS1_11target_archE4294967295ELNS1_3gpuE0ELNS1_3repE0EEENS1_48merge_mergepath_partition_config_static_selectorELNS0_4arch9wavefront6targetE0EEEvSF_,comdat
.Lfunc_end1810:
	.size	_ZN7rocprim17ROCPRIM_400000_NS6detail17trampoline_kernelINS0_14default_configENS1_38merge_sort_block_merge_config_selectorIbNS0_10empty_typeEEEZZNS1_27merge_sort_block_merge_implIS3_PbPS5_jNS1_19radix_merge_compareILb0ELb1EbNS0_19identity_decomposerEEEEE10hipError_tT0_T1_T2_jT3_P12ihipStream_tbPNSt15iterator_traitsISE_E10value_typeEPNSK_ISF_E10value_typeEPSG_NS1_7vsmem_tEENKUlT_SE_SF_SG_E_clIS8_S8_S9_S9_EESD_ST_SE_SF_SG_EUlST_E_NS1_11comp_targetILNS1_3genE0ELNS1_11target_archE4294967295ELNS1_3gpuE0ELNS1_3repE0EEENS1_48merge_mergepath_partition_config_static_selectorELNS0_4arch9wavefront6targetE0EEEvSF_, .Lfunc_end1810-_ZN7rocprim17ROCPRIM_400000_NS6detail17trampoline_kernelINS0_14default_configENS1_38merge_sort_block_merge_config_selectorIbNS0_10empty_typeEEEZZNS1_27merge_sort_block_merge_implIS3_PbPS5_jNS1_19radix_merge_compareILb0ELb1EbNS0_19identity_decomposerEEEEE10hipError_tT0_T1_T2_jT3_P12ihipStream_tbPNSt15iterator_traitsISE_E10value_typeEPNSK_ISF_E10value_typeEPSG_NS1_7vsmem_tEENKUlT_SE_SF_SG_E_clIS8_S8_S9_S9_EESD_ST_SE_SF_SG_EUlST_E_NS1_11comp_targetILNS1_3genE0ELNS1_11target_archE4294967295ELNS1_3gpuE0ELNS1_3repE0EEENS1_48merge_mergepath_partition_config_static_selectorELNS0_4arch9wavefront6targetE0EEEvSF_
                                        ; -- End function
	.set _ZN7rocprim17ROCPRIM_400000_NS6detail17trampoline_kernelINS0_14default_configENS1_38merge_sort_block_merge_config_selectorIbNS0_10empty_typeEEEZZNS1_27merge_sort_block_merge_implIS3_PbPS5_jNS1_19radix_merge_compareILb0ELb1EbNS0_19identity_decomposerEEEEE10hipError_tT0_T1_T2_jT3_P12ihipStream_tbPNSt15iterator_traitsISE_E10value_typeEPNSK_ISF_E10value_typeEPSG_NS1_7vsmem_tEENKUlT_SE_SF_SG_E_clIS8_S8_S9_S9_EESD_ST_SE_SF_SG_EUlST_E_NS1_11comp_targetILNS1_3genE0ELNS1_11target_archE4294967295ELNS1_3gpuE0ELNS1_3repE0EEENS1_48merge_mergepath_partition_config_static_selectorELNS0_4arch9wavefront6targetE0EEEvSF_.num_vgpr, 18
	.set _ZN7rocprim17ROCPRIM_400000_NS6detail17trampoline_kernelINS0_14default_configENS1_38merge_sort_block_merge_config_selectorIbNS0_10empty_typeEEEZZNS1_27merge_sort_block_merge_implIS3_PbPS5_jNS1_19radix_merge_compareILb0ELb1EbNS0_19identity_decomposerEEEEE10hipError_tT0_T1_T2_jT3_P12ihipStream_tbPNSt15iterator_traitsISE_E10value_typeEPNSK_ISF_E10value_typeEPSG_NS1_7vsmem_tEENKUlT_SE_SF_SG_E_clIS8_S8_S9_S9_EESD_ST_SE_SF_SG_EUlST_E_NS1_11comp_targetILNS1_3genE0ELNS1_11target_archE4294967295ELNS1_3gpuE0ELNS1_3repE0EEENS1_48merge_mergepath_partition_config_static_selectorELNS0_4arch9wavefront6targetE0EEEvSF_.num_agpr, 0
	.set _ZN7rocprim17ROCPRIM_400000_NS6detail17trampoline_kernelINS0_14default_configENS1_38merge_sort_block_merge_config_selectorIbNS0_10empty_typeEEEZZNS1_27merge_sort_block_merge_implIS3_PbPS5_jNS1_19radix_merge_compareILb0ELb1EbNS0_19identity_decomposerEEEEE10hipError_tT0_T1_T2_jT3_P12ihipStream_tbPNSt15iterator_traitsISE_E10value_typeEPNSK_ISF_E10value_typeEPSG_NS1_7vsmem_tEENKUlT_SE_SF_SG_E_clIS8_S8_S9_S9_EESD_ST_SE_SF_SG_EUlST_E_NS1_11comp_targetILNS1_3genE0ELNS1_11target_archE4294967295ELNS1_3gpuE0ELNS1_3repE0EEENS1_48merge_mergepath_partition_config_static_selectorELNS0_4arch9wavefront6targetE0EEEvSF_.numbered_sgpr, 10
	.set _ZN7rocprim17ROCPRIM_400000_NS6detail17trampoline_kernelINS0_14default_configENS1_38merge_sort_block_merge_config_selectorIbNS0_10empty_typeEEEZZNS1_27merge_sort_block_merge_implIS3_PbPS5_jNS1_19radix_merge_compareILb0ELb1EbNS0_19identity_decomposerEEEEE10hipError_tT0_T1_T2_jT3_P12ihipStream_tbPNSt15iterator_traitsISE_E10value_typeEPNSK_ISF_E10value_typeEPSG_NS1_7vsmem_tEENKUlT_SE_SF_SG_E_clIS8_S8_S9_S9_EESD_ST_SE_SF_SG_EUlST_E_NS1_11comp_targetILNS1_3genE0ELNS1_11target_archE4294967295ELNS1_3gpuE0ELNS1_3repE0EEENS1_48merge_mergepath_partition_config_static_selectorELNS0_4arch9wavefront6targetE0EEEvSF_.num_named_barrier, 0
	.set _ZN7rocprim17ROCPRIM_400000_NS6detail17trampoline_kernelINS0_14default_configENS1_38merge_sort_block_merge_config_selectorIbNS0_10empty_typeEEEZZNS1_27merge_sort_block_merge_implIS3_PbPS5_jNS1_19radix_merge_compareILb0ELb1EbNS0_19identity_decomposerEEEEE10hipError_tT0_T1_T2_jT3_P12ihipStream_tbPNSt15iterator_traitsISE_E10value_typeEPNSK_ISF_E10value_typeEPSG_NS1_7vsmem_tEENKUlT_SE_SF_SG_E_clIS8_S8_S9_S9_EESD_ST_SE_SF_SG_EUlST_E_NS1_11comp_targetILNS1_3genE0ELNS1_11target_archE4294967295ELNS1_3gpuE0ELNS1_3repE0EEENS1_48merge_mergepath_partition_config_static_selectorELNS0_4arch9wavefront6targetE0EEEvSF_.private_seg_size, 0
	.set _ZN7rocprim17ROCPRIM_400000_NS6detail17trampoline_kernelINS0_14default_configENS1_38merge_sort_block_merge_config_selectorIbNS0_10empty_typeEEEZZNS1_27merge_sort_block_merge_implIS3_PbPS5_jNS1_19radix_merge_compareILb0ELb1EbNS0_19identity_decomposerEEEEE10hipError_tT0_T1_T2_jT3_P12ihipStream_tbPNSt15iterator_traitsISE_E10value_typeEPNSK_ISF_E10value_typeEPSG_NS1_7vsmem_tEENKUlT_SE_SF_SG_E_clIS8_S8_S9_S9_EESD_ST_SE_SF_SG_EUlST_E_NS1_11comp_targetILNS1_3genE0ELNS1_11target_archE4294967295ELNS1_3gpuE0ELNS1_3repE0EEENS1_48merge_mergepath_partition_config_static_selectorELNS0_4arch9wavefront6targetE0EEEvSF_.uses_vcc, 1
	.set _ZN7rocprim17ROCPRIM_400000_NS6detail17trampoline_kernelINS0_14default_configENS1_38merge_sort_block_merge_config_selectorIbNS0_10empty_typeEEEZZNS1_27merge_sort_block_merge_implIS3_PbPS5_jNS1_19radix_merge_compareILb0ELb1EbNS0_19identity_decomposerEEEEE10hipError_tT0_T1_T2_jT3_P12ihipStream_tbPNSt15iterator_traitsISE_E10value_typeEPNSK_ISF_E10value_typeEPSG_NS1_7vsmem_tEENKUlT_SE_SF_SG_E_clIS8_S8_S9_S9_EESD_ST_SE_SF_SG_EUlST_E_NS1_11comp_targetILNS1_3genE0ELNS1_11target_archE4294967295ELNS1_3gpuE0ELNS1_3repE0EEENS1_48merge_mergepath_partition_config_static_selectorELNS0_4arch9wavefront6targetE0EEEvSF_.uses_flat_scratch, 0
	.set _ZN7rocprim17ROCPRIM_400000_NS6detail17trampoline_kernelINS0_14default_configENS1_38merge_sort_block_merge_config_selectorIbNS0_10empty_typeEEEZZNS1_27merge_sort_block_merge_implIS3_PbPS5_jNS1_19radix_merge_compareILb0ELb1EbNS0_19identity_decomposerEEEEE10hipError_tT0_T1_T2_jT3_P12ihipStream_tbPNSt15iterator_traitsISE_E10value_typeEPNSK_ISF_E10value_typeEPSG_NS1_7vsmem_tEENKUlT_SE_SF_SG_E_clIS8_S8_S9_S9_EESD_ST_SE_SF_SG_EUlST_E_NS1_11comp_targetILNS1_3genE0ELNS1_11target_archE4294967295ELNS1_3gpuE0ELNS1_3repE0EEENS1_48merge_mergepath_partition_config_static_selectorELNS0_4arch9wavefront6targetE0EEEvSF_.has_dyn_sized_stack, 0
	.set _ZN7rocprim17ROCPRIM_400000_NS6detail17trampoline_kernelINS0_14default_configENS1_38merge_sort_block_merge_config_selectorIbNS0_10empty_typeEEEZZNS1_27merge_sort_block_merge_implIS3_PbPS5_jNS1_19radix_merge_compareILb0ELb1EbNS0_19identity_decomposerEEEEE10hipError_tT0_T1_T2_jT3_P12ihipStream_tbPNSt15iterator_traitsISE_E10value_typeEPNSK_ISF_E10value_typeEPSG_NS1_7vsmem_tEENKUlT_SE_SF_SG_E_clIS8_S8_S9_S9_EESD_ST_SE_SF_SG_EUlST_E_NS1_11comp_targetILNS1_3genE0ELNS1_11target_archE4294967295ELNS1_3gpuE0ELNS1_3repE0EEENS1_48merge_mergepath_partition_config_static_selectorELNS0_4arch9wavefront6targetE0EEEvSF_.has_recursion, 0
	.set _ZN7rocprim17ROCPRIM_400000_NS6detail17trampoline_kernelINS0_14default_configENS1_38merge_sort_block_merge_config_selectorIbNS0_10empty_typeEEEZZNS1_27merge_sort_block_merge_implIS3_PbPS5_jNS1_19radix_merge_compareILb0ELb1EbNS0_19identity_decomposerEEEEE10hipError_tT0_T1_T2_jT3_P12ihipStream_tbPNSt15iterator_traitsISE_E10value_typeEPNSK_ISF_E10value_typeEPSG_NS1_7vsmem_tEENKUlT_SE_SF_SG_E_clIS8_S8_S9_S9_EESD_ST_SE_SF_SG_EUlST_E_NS1_11comp_targetILNS1_3genE0ELNS1_11target_archE4294967295ELNS1_3gpuE0ELNS1_3repE0EEENS1_48merge_mergepath_partition_config_static_selectorELNS0_4arch9wavefront6targetE0EEEvSF_.has_indirect_call, 0
	.section	.AMDGPU.csdata,"",@progbits
; Kernel info:
; codeLenInByte = 524
; TotalNumSgprs: 12
; NumVgprs: 18
; ScratchSize: 0
; MemoryBound: 0
; FloatMode: 240
; IeeeMode: 1
; LDSByteSize: 128 bytes/workgroup (compile time only)
; SGPRBlocks: 0
; VGPRBlocks: 1
; NumSGPRsForWavesPerEU: 12
; NumVGPRsForWavesPerEU: 18
; NamedBarCnt: 0
; Occupancy: 16
; WaveLimiterHint : 0
; COMPUTE_PGM_RSRC2:SCRATCH_EN: 0
; COMPUTE_PGM_RSRC2:USER_SGPR: 4
; COMPUTE_PGM_RSRC2:TRAP_HANDLER: 0
; COMPUTE_PGM_RSRC2:TGID_X_EN: 1
; COMPUTE_PGM_RSRC2:TGID_Y_EN: 0
; COMPUTE_PGM_RSRC2:TGID_Z_EN: 0
; COMPUTE_PGM_RSRC2:TIDIG_COMP_CNT: 2
	.section	.text._ZN7rocprim17ROCPRIM_400000_NS6detail17trampoline_kernelINS0_14default_configENS1_38merge_sort_block_merge_config_selectorIbNS0_10empty_typeEEEZZNS1_27merge_sort_block_merge_implIS3_PbPS5_jNS1_19radix_merge_compareILb0ELb1EbNS0_19identity_decomposerEEEEE10hipError_tT0_T1_T2_jT3_P12ihipStream_tbPNSt15iterator_traitsISE_E10value_typeEPNSK_ISF_E10value_typeEPSG_NS1_7vsmem_tEENKUlT_SE_SF_SG_E_clIS8_S8_S9_S9_EESD_ST_SE_SF_SG_EUlST_E_NS1_11comp_targetILNS1_3genE10ELNS1_11target_archE1201ELNS1_3gpuE5ELNS1_3repE0EEENS1_48merge_mergepath_partition_config_static_selectorELNS0_4arch9wavefront6targetE0EEEvSF_,"axG",@progbits,_ZN7rocprim17ROCPRIM_400000_NS6detail17trampoline_kernelINS0_14default_configENS1_38merge_sort_block_merge_config_selectorIbNS0_10empty_typeEEEZZNS1_27merge_sort_block_merge_implIS3_PbPS5_jNS1_19radix_merge_compareILb0ELb1EbNS0_19identity_decomposerEEEEE10hipError_tT0_T1_T2_jT3_P12ihipStream_tbPNSt15iterator_traitsISE_E10value_typeEPNSK_ISF_E10value_typeEPSG_NS1_7vsmem_tEENKUlT_SE_SF_SG_E_clIS8_S8_S9_S9_EESD_ST_SE_SF_SG_EUlST_E_NS1_11comp_targetILNS1_3genE10ELNS1_11target_archE1201ELNS1_3gpuE5ELNS1_3repE0EEENS1_48merge_mergepath_partition_config_static_selectorELNS0_4arch9wavefront6targetE0EEEvSF_,comdat
	.protected	_ZN7rocprim17ROCPRIM_400000_NS6detail17trampoline_kernelINS0_14default_configENS1_38merge_sort_block_merge_config_selectorIbNS0_10empty_typeEEEZZNS1_27merge_sort_block_merge_implIS3_PbPS5_jNS1_19radix_merge_compareILb0ELb1EbNS0_19identity_decomposerEEEEE10hipError_tT0_T1_T2_jT3_P12ihipStream_tbPNSt15iterator_traitsISE_E10value_typeEPNSK_ISF_E10value_typeEPSG_NS1_7vsmem_tEENKUlT_SE_SF_SG_E_clIS8_S8_S9_S9_EESD_ST_SE_SF_SG_EUlST_E_NS1_11comp_targetILNS1_3genE10ELNS1_11target_archE1201ELNS1_3gpuE5ELNS1_3repE0EEENS1_48merge_mergepath_partition_config_static_selectorELNS0_4arch9wavefront6targetE0EEEvSF_ ; -- Begin function _ZN7rocprim17ROCPRIM_400000_NS6detail17trampoline_kernelINS0_14default_configENS1_38merge_sort_block_merge_config_selectorIbNS0_10empty_typeEEEZZNS1_27merge_sort_block_merge_implIS3_PbPS5_jNS1_19radix_merge_compareILb0ELb1EbNS0_19identity_decomposerEEEEE10hipError_tT0_T1_T2_jT3_P12ihipStream_tbPNSt15iterator_traitsISE_E10value_typeEPNSK_ISF_E10value_typeEPSG_NS1_7vsmem_tEENKUlT_SE_SF_SG_E_clIS8_S8_S9_S9_EESD_ST_SE_SF_SG_EUlST_E_NS1_11comp_targetILNS1_3genE10ELNS1_11target_archE1201ELNS1_3gpuE5ELNS1_3repE0EEENS1_48merge_mergepath_partition_config_static_selectorELNS0_4arch9wavefront6targetE0EEEvSF_
	.globl	_ZN7rocprim17ROCPRIM_400000_NS6detail17trampoline_kernelINS0_14default_configENS1_38merge_sort_block_merge_config_selectorIbNS0_10empty_typeEEEZZNS1_27merge_sort_block_merge_implIS3_PbPS5_jNS1_19radix_merge_compareILb0ELb1EbNS0_19identity_decomposerEEEEE10hipError_tT0_T1_T2_jT3_P12ihipStream_tbPNSt15iterator_traitsISE_E10value_typeEPNSK_ISF_E10value_typeEPSG_NS1_7vsmem_tEENKUlT_SE_SF_SG_E_clIS8_S8_S9_S9_EESD_ST_SE_SF_SG_EUlST_E_NS1_11comp_targetILNS1_3genE10ELNS1_11target_archE1201ELNS1_3gpuE5ELNS1_3repE0EEENS1_48merge_mergepath_partition_config_static_selectorELNS0_4arch9wavefront6targetE0EEEvSF_
	.p2align	8
	.type	_ZN7rocprim17ROCPRIM_400000_NS6detail17trampoline_kernelINS0_14default_configENS1_38merge_sort_block_merge_config_selectorIbNS0_10empty_typeEEEZZNS1_27merge_sort_block_merge_implIS3_PbPS5_jNS1_19radix_merge_compareILb0ELb1EbNS0_19identity_decomposerEEEEE10hipError_tT0_T1_T2_jT3_P12ihipStream_tbPNSt15iterator_traitsISE_E10value_typeEPNSK_ISF_E10value_typeEPSG_NS1_7vsmem_tEENKUlT_SE_SF_SG_E_clIS8_S8_S9_S9_EESD_ST_SE_SF_SG_EUlST_E_NS1_11comp_targetILNS1_3genE10ELNS1_11target_archE1201ELNS1_3gpuE5ELNS1_3repE0EEENS1_48merge_mergepath_partition_config_static_selectorELNS0_4arch9wavefront6targetE0EEEvSF_,@function
_ZN7rocprim17ROCPRIM_400000_NS6detail17trampoline_kernelINS0_14default_configENS1_38merge_sort_block_merge_config_selectorIbNS0_10empty_typeEEEZZNS1_27merge_sort_block_merge_implIS3_PbPS5_jNS1_19radix_merge_compareILb0ELb1EbNS0_19identity_decomposerEEEEE10hipError_tT0_T1_T2_jT3_P12ihipStream_tbPNSt15iterator_traitsISE_E10value_typeEPNSK_ISF_E10value_typeEPSG_NS1_7vsmem_tEENKUlT_SE_SF_SG_E_clIS8_S8_S9_S9_EESD_ST_SE_SF_SG_EUlST_E_NS1_11comp_targetILNS1_3genE10ELNS1_11target_archE1201ELNS1_3gpuE5ELNS1_3repE0EEENS1_48merge_mergepath_partition_config_static_selectorELNS0_4arch9wavefront6targetE0EEEvSF_: ; @_ZN7rocprim17ROCPRIM_400000_NS6detail17trampoline_kernelINS0_14default_configENS1_38merge_sort_block_merge_config_selectorIbNS0_10empty_typeEEEZZNS1_27merge_sort_block_merge_implIS3_PbPS5_jNS1_19radix_merge_compareILb0ELb1EbNS0_19identity_decomposerEEEEE10hipError_tT0_T1_T2_jT3_P12ihipStream_tbPNSt15iterator_traitsISE_E10value_typeEPNSK_ISF_E10value_typeEPSG_NS1_7vsmem_tEENKUlT_SE_SF_SG_E_clIS8_S8_S9_S9_EESD_ST_SE_SF_SG_EUlST_E_NS1_11comp_targetILNS1_3genE10ELNS1_11target_archE1201ELNS1_3gpuE5ELNS1_3repE0EEENS1_48merge_mergepath_partition_config_static_selectorELNS0_4arch9wavefront6targetE0EEEvSF_
; %bb.0:
	.section	.rodata,"a",@progbits
	.p2align	6, 0x0
	.amdhsa_kernel _ZN7rocprim17ROCPRIM_400000_NS6detail17trampoline_kernelINS0_14default_configENS1_38merge_sort_block_merge_config_selectorIbNS0_10empty_typeEEEZZNS1_27merge_sort_block_merge_implIS3_PbPS5_jNS1_19radix_merge_compareILb0ELb1EbNS0_19identity_decomposerEEEEE10hipError_tT0_T1_T2_jT3_P12ihipStream_tbPNSt15iterator_traitsISE_E10value_typeEPNSK_ISF_E10value_typeEPSG_NS1_7vsmem_tEENKUlT_SE_SF_SG_E_clIS8_S8_S9_S9_EESD_ST_SE_SF_SG_EUlST_E_NS1_11comp_targetILNS1_3genE10ELNS1_11target_archE1201ELNS1_3gpuE5ELNS1_3repE0EEENS1_48merge_mergepath_partition_config_static_selectorELNS0_4arch9wavefront6targetE0EEEvSF_
		.amdhsa_group_segment_fixed_size 0
		.amdhsa_private_segment_fixed_size 0
		.amdhsa_kernarg_size 40
		.amdhsa_user_sgpr_count 2
		.amdhsa_user_sgpr_dispatch_ptr 0
		.amdhsa_user_sgpr_queue_ptr 0
		.amdhsa_user_sgpr_kernarg_segment_ptr 1
		.amdhsa_user_sgpr_dispatch_id 0
		.amdhsa_user_sgpr_kernarg_preload_length 0
		.amdhsa_user_sgpr_kernarg_preload_offset 0
		.amdhsa_user_sgpr_private_segment_size 0
		.amdhsa_wavefront_size32 1
		.amdhsa_uses_dynamic_stack 0
		.amdhsa_enable_private_segment 0
		.amdhsa_system_sgpr_workgroup_id_x 1
		.amdhsa_system_sgpr_workgroup_id_y 0
		.amdhsa_system_sgpr_workgroup_id_z 0
		.amdhsa_system_sgpr_workgroup_info 0
		.amdhsa_system_vgpr_workitem_id 0
		.amdhsa_next_free_vgpr 1
		.amdhsa_next_free_sgpr 1
		.amdhsa_named_barrier_count 0
		.amdhsa_reserve_vcc 0
		.amdhsa_float_round_mode_32 0
		.amdhsa_float_round_mode_16_64 0
		.amdhsa_float_denorm_mode_32 3
		.amdhsa_float_denorm_mode_16_64 3
		.amdhsa_fp16_overflow 0
		.amdhsa_memory_ordered 1
		.amdhsa_forward_progress 1
		.amdhsa_inst_pref_size 0
		.amdhsa_round_robin_scheduling 0
		.amdhsa_exception_fp_ieee_invalid_op 0
		.amdhsa_exception_fp_denorm_src 0
		.amdhsa_exception_fp_ieee_div_zero 0
		.amdhsa_exception_fp_ieee_overflow 0
		.amdhsa_exception_fp_ieee_underflow 0
		.amdhsa_exception_fp_ieee_inexact 0
		.amdhsa_exception_int_div_zero 0
	.end_amdhsa_kernel
	.section	.text._ZN7rocprim17ROCPRIM_400000_NS6detail17trampoline_kernelINS0_14default_configENS1_38merge_sort_block_merge_config_selectorIbNS0_10empty_typeEEEZZNS1_27merge_sort_block_merge_implIS3_PbPS5_jNS1_19radix_merge_compareILb0ELb1EbNS0_19identity_decomposerEEEEE10hipError_tT0_T1_T2_jT3_P12ihipStream_tbPNSt15iterator_traitsISE_E10value_typeEPNSK_ISF_E10value_typeEPSG_NS1_7vsmem_tEENKUlT_SE_SF_SG_E_clIS8_S8_S9_S9_EESD_ST_SE_SF_SG_EUlST_E_NS1_11comp_targetILNS1_3genE10ELNS1_11target_archE1201ELNS1_3gpuE5ELNS1_3repE0EEENS1_48merge_mergepath_partition_config_static_selectorELNS0_4arch9wavefront6targetE0EEEvSF_,"axG",@progbits,_ZN7rocprim17ROCPRIM_400000_NS6detail17trampoline_kernelINS0_14default_configENS1_38merge_sort_block_merge_config_selectorIbNS0_10empty_typeEEEZZNS1_27merge_sort_block_merge_implIS3_PbPS5_jNS1_19radix_merge_compareILb0ELb1EbNS0_19identity_decomposerEEEEE10hipError_tT0_T1_T2_jT3_P12ihipStream_tbPNSt15iterator_traitsISE_E10value_typeEPNSK_ISF_E10value_typeEPSG_NS1_7vsmem_tEENKUlT_SE_SF_SG_E_clIS8_S8_S9_S9_EESD_ST_SE_SF_SG_EUlST_E_NS1_11comp_targetILNS1_3genE10ELNS1_11target_archE1201ELNS1_3gpuE5ELNS1_3repE0EEENS1_48merge_mergepath_partition_config_static_selectorELNS0_4arch9wavefront6targetE0EEEvSF_,comdat
.Lfunc_end1811:
	.size	_ZN7rocprim17ROCPRIM_400000_NS6detail17trampoline_kernelINS0_14default_configENS1_38merge_sort_block_merge_config_selectorIbNS0_10empty_typeEEEZZNS1_27merge_sort_block_merge_implIS3_PbPS5_jNS1_19radix_merge_compareILb0ELb1EbNS0_19identity_decomposerEEEEE10hipError_tT0_T1_T2_jT3_P12ihipStream_tbPNSt15iterator_traitsISE_E10value_typeEPNSK_ISF_E10value_typeEPSG_NS1_7vsmem_tEENKUlT_SE_SF_SG_E_clIS8_S8_S9_S9_EESD_ST_SE_SF_SG_EUlST_E_NS1_11comp_targetILNS1_3genE10ELNS1_11target_archE1201ELNS1_3gpuE5ELNS1_3repE0EEENS1_48merge_mergepath_partition_config_static_selectorELNS0_4arch9wavefront6targetE0EEEvSF_, .Lfunc_end1811-_ZN7rocprim17ROCPRIM_400000_NS6detail17trampoline_kernelINS0_14default_configENS1_38merge_sort_block_merge_config_selectorIbNS0_10empty_typeEEEZZNS1_27merge_sort_block_merge_implIS3_PbPS5_jNS1_19radix_merge_compareILb0ELb1EbNS0_19identity_decomposerEEEEE10hipError_tT0_T1_T2_jT3_P12ihipStream_tbPNSt15iterator_traitsISE_E10value_typeEPNSK_ISF_E10value_typeEPSG_NS1_7vsmem_tEENKUlT_SE_SF_SG_E_clIS8_S8_S9_S9_EESD_ST_SE_SF_SG_EUlST_E_NS1_11comp_targetILNS1_3genE10ELNS1_11target_archE1201ELNS1_3gpuE5ELNS1_3repE0EEENS1_48merge_mergepath_partition_config_static_selectorELNS0_4arch9wavefront6targetE0EEEvSF_
                                        ; -- End function
	.set _ZN7rocprim17ROCPRIM_400000_NS6detail17trampoline_kernelINS0_14default_configENS1_38merge_sort_block_merge_config_selectorIbNS0_10empty_typeEEEZZNS1_27merge_sort_block_merge_implIS3_PbPS5_jNS1_19radix_merge_compareILb0ELb1EbNS0_19identity_decomposerEEEEE10hipError_tT0_T1_T2_jT3_P12ihipStream_tbPNSt15iterator_traitsISE_E10value_typeEPNSK_ISF_E10value_typeEPSG_NS1_7vsmem_tEENKUlT_SE_SF_SG_E_clIS8_S8_S9_S9_EESD_ST_SE_SF_SG_EUlST_E_NS1_11comp_targetILNS1_3genE10ELNS1_11target_archE1201ELNS1_3gpuE5ELNS1_3repE0EEENS1_48merge_mergepath_partition_config_static_selectorELNS0_4arch9wavefront6targetE0EEEvSF_.num_vgpr, 0
	.set _ZN7rocprim17ROCPRIM_400000_NS6detail17trampoline_kernelINS0_14default_configENS1_38merge_sort_block_merge_config_selectorIbNS0_10empty_typeEEEZZNS1_27merge_sort_block_merge_implIS3_PbPS5_jNS1_19radix_merge_compareILb0ELb1EbNS0_19identity_decomposerEEEEE10hipError_tT0_T1_T2_jT3_P12ihipStream_tbPNSt15iterator_traitsISE_E10value_typeEPNSK_ISF_E10value_typeEPSG_NS1_7vsmem_tEENKUlT_SE_SF_SG_E_clIS8_S8_S9_S9_EESD_ST_SE_SF_SG_EUlST_E_NS1_11comp_targetILNS1_3genE10ELNS1_11target_archE1201ELNS1_3gpuE5ELNS1_3repE0EEENS1_48merge_mergepath_partition_config_static_selectorELNS0_4arch9wavefront6targetE0EEEvSF_.num_agpr, 0
	.set _ZN7rocprim17ROCPRIM_400000_NS6detail17trampoline_kernelINS0_14default_configENS1_38merge_sort_block_merge_config_selectorIbNS0_10empty_typeEEEZZNS1_27merge_sort_block_merge_implIS3_PbPS5_jNS1_19radix_merge_compareILb0ELb1EbNS0_19identity_decomposerEEEEE10hipError_tT0_T1_T2_jT3_P12ihipStream_tbPNSt15iterator_traitsISE_E10value_typeEPNSK_ISF_E10value_typeEPSG_NS1_7vsmem_tEENKUlT_SE_SF_SG_E_clIS8_S8_S9_S9_EESD_ST_SE_SF_SG_EUlST_E_NS1_11comp_targetILNS1_3genE10ELNS1_11target_archE1201ELNS1_3gpuE5ELNS1_3repE0EEENS1_48merge_mergepath_partition_config_static_selectorELNS0_4arch9wavefront6targetE0EEEvSF_.numbered_sgpr, 0
	.set _ZN7rocprim17ROCPRIM_400000_NS6detail17trampoline_kernelINS0_14default_configENS1_38merge_sort_block_merge_config_selectorIbNS0_10empty_typeEEEZZNS1_27merge_sort_block_merge_implIS3_PbPS5_jNS1_19radix_merge_compareILb0ELb1EbNS0_19identity_decomposerEEEEE10hipError_tT0_T1_T2_jT3_P12ihipStream_tbPNSt15iterator_traitsISE_E10value_typeEPNSK_ISF_E10value_typeEPSG_NS1_7vsmem_tEENKUlT_SE_SF_SG_E_clIS8_S8_S9_S9_EESD_ST_SE_SF_SG_EUlST_E_NS1_11comp_targetILNS1_3genE10ELNS1_11target_archE1201ELNS1_3gpuE5ELNS1_3repE0EEENS1_48merge_mergepath_partition_config_static_selectorELNS0_4arch9wavefront6targetE0EEEvSF_.num_named_barrier, 0
	.set _ZN7rocprim17ROCPRIM_400000_NS6detail17trampoline_kernelINS0_14default_configENS1_38merge_sort_block_merge_config_selectorIbNS0_10empty_typeEEEZZNS1_27merge_sort_block_merge_implIS3_PbPS5_jNS1_19radix_merge_compareILb0ELb1EbNS0_19identity_decomposerEEEEE10hipError_tT0_T1_T2_jT3_P12ihipStream_tbPNSt15iterator_traitsISE_E10value_typeEPNSK_ISF_E10value_typeEPSG_NS1_7vsmem_tEENKUlT_SE_SF_SG_E_clIS8_S8_S9_S9_EESD_ST_SE_SF_SG_EUlST_E_NS1_11comp_targetILNS1_3genE10ELNS1_11target_archE1201ELNS1_3gpuE5ELNS1_3repE0EEENS1_48merge_mergepath_partition_config_static_selectorELNS0_4arch9wavefront6targetE0EEEvSF_.private_seg_size, 0
	.set _ZN7rocprim17ROCPRIM_400000_NS6detail17trampoline_kernelINS0_14default_configENS1_38merge_sort_block_merge_config_selectorIbNS0_10empty_typeEEEZZNS1_27merge_sort_block_merge_implIS3_PbPS5_jNS1_19radix_merge_compareILb0ELb1EbNS0_19identity_decomposerEEEEE10hipError_tT0_T1_T2_jT3_P12ihipStream_tbPNSt15iterator_traitsISE_E10value_typeEPNSK_ISF_E10value_typeEPSG_NS1_7vsmem_tEENKUlT_SE_SF_SG_E_clIS8_S8_S9_S9_EESD_ST_SE_SF_SG_EUlST_E_NS1_11comp_targetILNS1_3genE10ELNS1_11target_archE1201ELNS1_3gpuE5ELNS1_3repE0EEENS1_48merge_mergepath_partition_config_static_selectorELNS0_4arch9wavefront6targetE0EEEvSF_.uses_vcc, 0
	.set _ZN7rocprim17ROCPRIM_400000_NS6detail17trampoline_kernelINS0_14default_configENS1_38merge_sort_block_merge_config_selectorIbNS0_10empty_typeEEEZZNS1_27merge_sort_block_merge_implIS3_PbPS5_jNS1_19radix_merge_compareILb0ELb1EbNS0_19identity_decomposerEEEEE10hipError_tT0_T1_T2_jT3_P12ihipStream_tbPNSt15iterator_traitsISE_E10value_typeEPNSK_ISF_E10value_typeEPSG_NS1_7vsmem_tEENKUlT_SE_SF_SG_E_clIS8_S8_S9_S9_EESD_ST_SE_SF_SG_EUlST_E_NS1_11comp_targetILNS1_3genE10ELNS1_11target_archE1201ELNS1_3gpuE5ELNS1_3repE0EEENS1_48merge_mergepath_partition_config_static_selectorELNS0_4arch9wavefront6targetE0EEEvSF_.uses_flat_scratch, 0
	.set _ZN7rocprim17ROCPRIM_400000_NS6detail17trampoline_kernelINS0_14default_configENS1_38merge_sort_block_merge_config_selectorIbNS0_10empty_typeEEEZZNS1_27merge_sort_block_merge_implIS3_PbPS5_jNS1_19radix_merge_compareILb0ELb1EbNS0_19identity_decomposerEEEEE10hipError_tT0_T1_T2_jT3_P12ihipStream_tbPNSt15iterator_traitsISE_E10value_typeEPNSK_ISF_E10value_typeEPSG_NS1_7vsmem_tEENKUlT_SE_SF_SG_E_clIS8_S8_S9_S9_EESD_ST_SE_SF_SG_EUlST_E_NS1_11comp_targetILNS1_3genE10ELNS1_11target_archE1201ELNS1_3gpuE5ELNS1_3repE0EEENS1_48merge_mergepath_partition_config_static_selectorELNS0_4arch9wavefront6targetE0EEEvSF_.has_dyn_sized_stack, 0
	.set _ZN7rocprim17ROCPRIM_400000_NS6detail17trampoline_kernelINS0_14default_configENS1_38merge_sort_block_merge_config_selectorIbNS0_10empty_typeEEEZZNS1_27merge_sort_block_merge_implIS3_PbPS5_jNS1_19radix_merge_compareILb0ELb1EbNS0_19identity_decomposerEEEEE10hipError_tT0_T1_T2_jT3_P12ihipStream_tbPNSt15iterator_traitsISE_E10value_typeEPNSK_ISF_E10value_typeEPSG_NS1_7vsmem_tEENKUlT_SE_SF_SG_E_clIS8_S8_S9_S9_EESD_ST_SE_SF_SG_EUlST_E_NS1_11comp_targetILNS1_3genE10ELNS1_11target_archE1201ELNS1_3gpuE5ELNS1_3repE0EEENS1_48merge_mergepath_partition_config_static_selectorELNS0_4arch9wavefront6targetE0EEEvSF_.has_recursion, 0
	.set _ZN7rocprim17ROCPRIM_400000_NS6detail17trampoline_kernelINS0_14default_configENS1_38merge_sort_block_merge_config_selectorIbNS0_10empty_typeEEEZZNS1_27merge_sort_block_merge_implIS3_PbPS5_jNS1_19radix_merge_compareILb0ELb1EbNS0_19identity_decomposerEEEEE10hipError_tT0_T1_T2_jT3_P12ihipStream_tbPNSt15iterator_traitsISE_E10value_typeEPNSK_ISF_E10value_typeEPSG_NS1_7vsmem_tEENKUlT_SE_SF_SG_E_clIS8_S8_S9_S9_EESD_ST_SE_SF_SG_EUlST_E_NS1_11comp_targetILNS1_3genE10ELNS1_11target_archE1201ELNS1_3gpuE5ELNS1_3repE0EEENS1_48merge_mergepath_partition_config_static_selectorELNS0_4arch9wavefront6targetE0EEEvSF_.has_indirect_call, 0
	.section	.AMDGPU.csdata,"",@progbits
; Kernel info:
; codeLenInByte = 0
; TotalNumSgprs: 0
; NumVgprs: 0
; ScratchSize: 0
; MemoryBound: 0
; FloatMode: 240
; IeeeMode: 1
; LDSByteSize: 0 bytes/workgroup (compile time only)
; SGPRBlocks: 0
; VGPRBlocks: 0
; NumSGPRsForWavesPerEU: 1
; NumVGPRsForWavesPerEU: 1
; NamedBarCnt: 0
; Occupancy: 16
; WaveLimiterHint : 0
; COMPUTE_PGM_RSRC2:SCRATCH_EN: 0
; COMPUTE_PGM_RSRC2:USER_SGPR: 2
; COMPUTE_PGM_RSRC2:TRAP_HANDLER: 0
; COMPUTE_PGM_RSRC2:TGID_X_EN: 1
; COMPUTE_PGM_RSRC2:TGID_Y_EN: 0
; COMPUTE_PGM_RSRC2:TGID_Z_EN: 0
; COMPUTE_PGM_RSRC2:TIDIG_COMP_CNT: 0
	.section	.text._ZN7rocprim17ROCPRIM_400000_NS6detail17trampoline_kernelINS0_14default_configENS1_38merge_sort_block_merge_config_selectorIbNS0_10empty_typeEEEZZNS1_27merge_sort_block_merge_implIS3_PbPS5_jNS1_19radix_merge_compareILb0ELb1EbNS0_19identity_decomposerEEEEE10hipError_tT0_T1_T2_jT3_P12ihipStream_tbPNSt15iterator_traitsISE_E10value_typeEPNSK_ISF_E10value_typeEPSG_NS1_7vsmem_tEENKUlT_SE_SF_SG_E_clIS8_S8_S9_S9_EESD_ST_SE_SF_SG_EUlST_E_NS1_11comp_targetILNS1_3genE5ELNS1_11target_archE942ELNS1_3gpuE9ELNS1_3repE0EEENS1_48merge_mergepath_partition_config_static_selectorELNS0_4arch9wavefront6targetE0EEEvSF_,"axG",@progbits,_ZN7rocprim17ROCPRIM_400000_NS6detail17trampoline_kernelINS0_14default_configENS1_38merge_sort_block_merge_config_selectorIbNS0_10empty_typeEEEZZNS1_27merge_sort_block_merge_implIS3_PbPS5_jNS1_19radix_merge_compareILb0ELb1EbNS0_19identity_decomposerEEEEE10hipError_tT0_T1_T2_jT3_P12ihipStream_tbPNSt15iterator_traitsISE_E10value_typeEPNSK_ISF_E10value_typeEPSG_NS1_7vsmem_tEENKUlT_SE_SF_SG_E_clIS8_S8_S9_S9_EESD_ST_SE_SF_SG_EUlST_E_NS1_11comp_targetILNS1_3genE5ELNS1_11target_archE942ELNS1_3gpuE9ELNS1_3repE0EEENS1_48merge_mergepath_partition_config_static_selectorELNS0_4arch9wavefront6targetE0EEEvSF_,comdat
	.protected	_ZN7rocprim17ROCPRIM_400000_NS6detail17trampoline_kernelINS0_14default_configENS1_38merge_sort_block_merge_config_selectorIbNS0_10empty_typeEEEZZNS1_27merge_sort_block_merge_implIS3_PbPS5_jNS1_19radix_merge_compareILb0ELb1EbNS0_19identity_decomposerEEEEE10hipError_tT0_T1_T2_jT3_P12ihipStream_tbPNSt15iterator_traitsISE_E10value_typeEPNSK_ISF_E10value_typeEPSG_NS1_7vsmem_tEENKUlT_SE_SF_SG_E_clIS8_S8_S9_S9_EESD_ST_SE_SF_SG_EUlST_E_NS1_11comp_targetILNS1_3genE5ELNS1_11target_archE942ELNS1_3gpuE9ELNS1_3repE0EEENS1_48merge_mergepath_partition_config_static_selectorELNS0_4arch9wavefront6targetE0EEEvSF_ ; -- Begin function _ZN7rocprim17ROCPRIM_400000_NS6detail17trampoline_kernelINS0_14default_configENS1_38merge_sort_block_merge_config_selectorIbNS0_10empty_typeEEEZZNS1_27merge_sort_block_merge_implIS3_PbPS5_jNS1_19radix_merge_compareILb0ELb1EbNS0_19identity_decomposerEEEEE10hipError_tT0_T1_T2_jT3_P12ihipStream_tbPNSt15iterator_traitsISE_E10value_typeEPNSK_ISF_E10value_typeEPSG_NS1_7vsmem_tEENKUlT_SE_SF_SG_E_clIS8_S8_S9_S9_EESD_ST_SE_SF_SG_EUlST_E_NS1_11comp_targetILNS1_3genE5ELNS1_11target_archE942ELNS1_3gpuE9ELNS1_3repE0EEENS1_48merge_mergepath_partition_config_static_selectorELNS0_4arch9wavefront6targetE0EEEvSF_
	.globl	_ZN7rocprim17ROCPRIM_400000_NS6detail17trampoline_kernelINS0_14default_configENS1_38merge_sort_block_merge_config_selectorIbNS0_10empty_typeEEEZZNS1_27merge_sort_block_merge_implIS3_PbPS5_jNS1_19radix_merge_compareILb0ELb1EbNS0_19identity_decomposerEEEEE10hipError_tT0_T1_T2_jT3_P12ihipStream_tbPNSt15iterator_traitsISE_E10value_typeEPNSK_ISF_E10value_typeEPSG_NS1_7vsmem_tEENKUlT_SE_SF_SG_E_clIS8_S8_S9_S9_EESD_ST_SE_SF_SG_EUlST_E_NS1_11comp_targetILNS1_3genE5ELNS1_11target_archE942ELNS1_3gpuE9ELNS1_3repE0EEENS1_48merge_mergepath_partition_config_static_selectorELNS0_4arch9wavefront6targetE0EEEvSF_
	.p2align	8
	.type	_ZN7rocprim17ROCPRIM_400000_NS6detail17trampoline_kernelINS0_14default_configENS1_38merge_sort_block_merge_config_selectorIbNS0_10empty_typeEEEZZNS1_27merge_sort_block_merge_implIS3_PbPS5_jNS1_19radix_merge_compareILb0ELb1EbNS0_19identity_decomposerEEEEE10hipError_tT0_T1_T2_jT3_P12ihipStream_tbPNSt15iterator_traitsISE_E10value_typeEPNSK_ISF_E10value_typeEPSG_NS1_7vsmem_tEENKUlT_SE_SF_SG_E_clIS8_S8_S9_S9_EESD_ST_SE_SF_SG_EUlST_E_NS1_11comp_targetILNS1_3genE5ELNS1_11target_archE942ELNS1_3gpuE9ELNS1_3repE0EEENS1_48merge_mergepath_partition_config_static_selectorELNS0_4arch9wavefront6targetE0EEEvSF_,@function
_ZN7rocprim17ROCPRIM_400000_NS6detail17trampoline_kernelINS0_14default_configENS1_38merge_sort_block_merge_config_selectorIbNS0_10empty_typeEEEZZNS1_27merge_sort_block_merge_implIS3_PbPS5_jNS1_19radix_merge_compareILb0ELb1EbNS0_19identity_decomposerEEEEE10hipError_tT0_T1_T2_jT3_P12ihipStream_tbPNSt15iterator_traitsISE_E10value_typeEPNSK_ISF_E10value_typeEPSG_NS1_7vsmem_tEENKUlT_SE_SF_SG_E_clIS8_S8_S9_S9_EESD_ST_SE_SF_SG_EUlST_E_NS1_11comp_targetILNS1_3genE5ELNS1_11target_archE942ELNS1_3gpuE9ELNS1_3repE0EEENS1_48merge_mergepath_partition_config_static_selectorELNS0_4arch9wavefront6targetE0EEEvSF_: ; @_ZN7rocprim17ROCPRIM_400000_NS6detail17trampoline_kernelINS0_14default_configENS1_38merge_sort_block_merge_config_selectorIbNS0_10empty_typeEEEZZNS1_27merge_sort_block_merge_implIS3_PbPS5_jNS1_19radix_merge_compareILb0ELb1EbNS0_19identity_decomposerEEEEE10hipError_tT0_T1_T2_jT3_P12ihipStream_tbPNSt15iterator_traitsISE_E10value_typeEPNSK_ISF_E10value_typeEPSG_NS1_7vsmem_tEENKUlT_SE_SF_SG_E_clIS8_S8_S9_S9_EESD_ST_SE_SF_SG_EUlST_E_NS1_11comp_targetILNS1_3genE5ELNS1_11target_archE942ELNS1_3gpuE9ELNS1_3repE0EEENS1_48merge_mergepath_partition_config_static_selectorELNS0_4arch9wavefront6targetE0EEEvSF_
; %bb.0:
	.section	.rodata,"a",@progbits
	.p2align	6, 0x0
	.amdhsa_kernel _ZN7rocprim17ROCPRIM_400000_NS6detail17trampoline_kernelINS0_14default_configENS1_38merge_sort_block_merge_config_selectorIbNS0_10empty_typeEEEZZNS1_27merge_sort_block_merge_implIS3_PbPS5_jNS1_19radix_merge_compareILb0ELb1EbNS0_19identity_decomposerEEEEE10hipError_tT0_T1_T2_jT3_P12ihipStream_tbPNSt15iterator_traitsISE_E10value_typeEPNSK_ISF_E10value_typeEPSG_NS1_7vsmem_tEENKUlT_SE_SF_SG_E_clIS8_S8_S9_S9_EESD_ST_SE_SF_SG_EUlST_E_NS1_11comp_targetILNS1_3genE5ELNS1_11target_archE942ELNS1_3gpuE9ELNS1_3repE0EEENS1_48merge_mergepath_partition_config_static_selectorELNS0_4arch9wavefront6targetE0EEEvSF_
		.amdhsa_group_segment_fixed_size 0
		.amdhsa_private_segment_fixed_size 0
		.amdhsa_kernarg_size 40
		.amdhsa_user_sgpr_count 2
		.amdhsa_user_sgpr_dispatch_ptr 0
		.amdhsa_user_sgpr_queue_ptr 0
		.amdhsa_user_sgpr_kernarg_segment_ptr 1
		.amdhsa_user_sgpr_dispatch_id 0
		.amdhsa_user_sgpr_kernarg_preload_length 0
		.amdhsa_user_sgpr_kernarg_preload_offset 0
		.amdhsa_user_sgpr_private_segment_size 0
		.amdhsa_wavefront_size32 1
		.amdhsa_uses_dynamic_stack 0
		.amdhsa_enable_private_segment 0
		.amdhsa_system_sgpr_workgroup_id_x 1
		.amdhsa_system_sgpr_workgroup_id_y 0
		.amdhsa_system_sgpr_workgroup_id_z 0
		.amdhsa_system_sgpr_workgroup_info 0
		.amdhsa_system_vgpr_workitem_id 0
		.amdhsa_next_free_vgpr 1
		.amdhsa_next_free_sgpr 1
		.amdhsa_named_barrier_count 0
		.amdhsa_reserve_vcc 0
		.amdhsa_float_round_mode_32 0
		.amdhsa_float_round_mode_16_64 0
		.amdhsa_float_denorm_mode_32 3
		.amdhsa_float_denorm_mode_16_64 3
		.amdhsa_fp16_overflow 0
		.amdhsa_memory_ordered 1
		.amdhsa_forward_progress 1
		.amdhsa_inst_pref_size 0
		.amdhsa_round_robin_scheduling 0
		.amdhsa_exception_fp_ieee_invalid_op 0
		.amdhsa_exception_fp_denorm_src 0
		.amdhsa_exception_fp_ieee_div_zero 0
		.amdhsa_exception_fp_ieee_overflow 0
		.amdhsa_exception_fp_ieee_underflow 0
		.amdhsa_exception_fp_ieee_inexact 0
		.amdhsa_exception_int_div_zero 0
	.end_amdhsa_kernel
	.section	.text._ZN7rocprim17ROCPRIM_400000_NS6detail17trampoline_kernelINS0_14default_configENS1_38merge_sort_block_merge_config_selectorIbNS0_10empty_typeEEEZZNS1_27merge_sort_block_merge_implIS3_PbPS5_jNS1_19radix_merge_compareILb0ELb1EbNS0_19identity_decomposerEEEEE10hipError_tT0_T1_T2_jT3_P12ihipStream_tbPNSt15iterator_traitsISE_E10value_typeEPNSK_ISF_E10value_typeEPSG_NS1_7vsmem_tEENKUlT_SE_SF_SG_E_clIS8_S8_S9_S9_EESD_ST_SE_SF_SG_EUlST_E_NS1_11comp_targetILNS1_3genE5ELNS1_11target_archE942ELNS1_3gpuE9ELNS1_3repE0EEENS1_48merge_mergepath_partition_config_static_selectorELNS0_4arch9wavefront6targetE0EEEvSF_,"axG",@progbits,_ZN7rocprim17ROCPRIM_400000_NS6detail17trampoline_kernelINS0_14default_configENS1_38merge_sort_block_merge_config_selectorIbNS0_10empty_typeEEEZZNS1_27merge_sort_block_merge_implIS3_PbPS5_jNS1_19radix_merge_compareILb0ELb1EbNS0_19identity_decomposerEEEEE10hipError_tT0_T1_T2_jT3_P12ihipStream_tbPNSt15iterator_traitsISE_E10value_typeEPNSK_ISF_E10value_typeEPSG_NS1_7vsmem_tEENKUlT_SE_SF_SG_E_clIS8_S8_S9_S9_EESD_ST_SE_SF_SG_EUlST_E_NS1_11comp_targetILNS1_3genE5ELNS1_11target_archE942ELNS1_3gpuE9ELNS1_3repE0EEENS1_48merge_mergepath_partition_config_static_selectorELNS0_4arch9wavefront6targetE0EEEvSF_,comdat
.Lfunc_end1812:
	.size	_ZN7rocprim17ROCPRIM_400000_NS6detail17trampoline_kernelINS0_14default_configENS1_38merge_sort_block_merge_config_selectorIbNS0_10empty_typeEEEZZNS1_27merge_sort_block_merge_implIS3_PbPS5_jNS1_19radix_merge_compareILb0ELb1EbNS0_19identity_decomposerEEEEE10hipError_tT0_T1_T2_jT3_P12ihipStream_tbPNSt15iterator_traitsISE_E10value_typeEPNSK_ISF_E10value_typeEPSG_NS1_7vsmem_tEENKUlT_SE_SF_SG_E_clIS8_S8_S9_S9_EESD_ST_SE_SF_SG_EUlST_E_NS1_11comp_targetILNS1_3genE5ELNS1_11target_archE942ELNS1_3gpuE9ELNS1_3repE0EEENS1_48merge_mergepath_partition_config_static_selectorELNS0_4arch9wavefront6targetE0EEEvSF_, .Lfunc_end1812-_ZN7rocprim17ROCPRIM_400000_NS6detail17trampoline_kernelINS0_14default_configENS1_38merge_sort_block_merge_config_selectorIbNS0_10empty_typeEEEZZNS1_27merge_sort_block_merge_implIS3_PbPS5_jNS1_19radix_merge_compareILb0ELb1EbNS0_19identity_decomposerEEEEE10hipError_tT0_T1_T2_jT3_P12ihipStream_tbPNSt15iterator_traitsISE_E10value_typeEPNSK_ISF_E10value_typeEPSG_NS1_7vsmem_tEENKUlT_SE_SF_SG_E_clIS8_S8_S9_S9_EESD_ST_SE_SF_SG_EUlST_E_NS1_11comp_targetILNS1_3genE5ELNS1_11target_archE942ELNS1_3gpuE9ELNS1_3repE0EEENS1_48merge_mergepath_partition_config_static_selectorELNS0_4arch9wavefront6targetE0EEEvSF_
                                        ; -- End function
	.set _ZN7rocprim17ROCPRIM_400000_NS6detail17trampoline_kernelINS0_14default_configENS1_38merge_sort_block_merge_config_selectorIbNS0_10empty_typeEEEZZNS1_27merge_sort_block_merge_implIS3_PbPS5_jNS1_19radix_merge_compareILb0ELb1EbNS0_19identity_decomposerEEEEE10hipError_tT0_T1_T2_jT3_P12ihipStream_tbPNSt15iterator_traitsISE_E10value_typeEPNSK_ISF_E10value_typeEPSG_NS1_7vsmem_tEENKUlT_SE_SF_SG_E_clIS8_S8_S9_S9_EESD_ST_SE_SF_SG_EUlST_E_NS1_11comp_targetILNS1_3genE5ELNS1_11target_archE942ELNS1_3gpuE9ELNS1_3repE0EEENS1_48merge_mergepath_partition_config_static_selectorELNS0_4arch9wavefront6targetE0EEEvSF_.num_vgpr, 0
	.set _ZN7rocprim17ROCPRIM_400000_NS6detail17trampoline_kernelINS0_14default_configENS1_38merge_sort_block_merge_config_selectorIbNS0_10empty_typeEEEZZNS1_27merge_sort_block_merge_implIS3_PbPS5_jNS1_19radix_merge_compareILb0ELb1EbNS0_19identity_decomposerEEEEE10hipError_tT0_T1_T2_jT3_P12ihipStream_tbPNSt15iterator_traitsISE_E10value_typeEPNSK_ISF_E10value_typeEPSG_NS1_7vsmem_tEENKUlT_SE_SF_SG_E_clIS8_S8_S9_S9_EESD_ST_SE_SF_SG_EUlST_E_NS1_11comp_targetILNS1_3genE5ELNS1_11target_archE942ELNS1_3gpuE9ELNS1_3repE0EEENS1_48merge_mergepath_partition_config_static_selectorELNS0_4arch9wavefront6targetE0EEEvSF_.num_agpr, 0
	.set _ZN7rocprim17ROCPRIM_400000_NS6detail17trampoline_kernelINS0_14default_configENS1_38merge_sort_block_merge_config_selectorIbNS0_10empty_typeEEEZZNS1_27merge_sort_block_merge_implIS3_PbPS5_jNS1_19radix_merge_compareILb0ELb1EbNS0_19identity_decomposerEEEEE10hipError_tT0_T1_T2_jT3_P12ihipStream_tbPNSt15iterator_traitsISE_E10value_typeEPNSK_ISF_E10value_typeEPSG_NS1_7vsmem_tEENKUlT_SE_SF_SG_E_clIS8_S8_S9_S9_EESD_ST_SE_SF_SG_EUlST_E_NS1_11comp_targetILNS1_3genE5ELNS1_11target_archE942ELNS1_3gpuE9ELNS1_3repE0EEENS1_48merge_mergepath_partition_config_static_selectorELNS0_4arch9wavefront6targetE0EEEvSF_.numbered_sgpr, 0
	.set _ZN7rocprim17ROCPRIM_400000_NS6detail17trampoline_kernelINS0_14default_configENS1_38merge_sort_block_merge_config_selectorIbNS0_10empty_typeEEEZZNS1_27merge_sort_block_merge_implIS3_PbPS5_jNS1_19radix_merge_compareILb0ELb1EbNS0_19identity_decomposerEEEEE10hipError_tT0_T1_T2_jT3_P12ihipStream_tbPNSt15iterator_traitsISE_E10value_typeEPNSK_ISF_E10value_typeEPSG_NS1_7vsmem_tEENKUlT_SE_SF_SG_E_clIS8_S8_S9_S9_EESD_ST_SE_SF_SG_EUlST_E_NS1_11comp_targetILNS1_3genE5ELNS1_11target_archE942ELNS1_3gpuE9ELNS1_3repE0EEENS1_48merge_mergepath_partition_config_static_selectorELNS0_4arch9wavefront6targetE0EEEvSF_.num_named_barrier, 0
	.set _ZN7rocprim17ROCPRIM_400000_NS6detail17trampoline_kernelINS0_14default_configENS1_38merge_sort_block_merge_config_selectorIbNS0_10empty_typeEEEZZNS1_27merge_sort_block_merge_implIS3_PbPS5_jNS1_19radix_merge_compareILb0ELb1EbNS0_19identity_decomposerEEEEE10hipError_tT0_T1_T2_jT3_P12ihipStream_tbPNSt15iterator_traitsISE_E10value_typeEPNSK_ISF_E10value_typeEPSG_NS1_7vsmem_tEENKUlT_SE_SF_SG_E_clIS8_S8_S9_S9_EESD_ST_SE_SF_SG_EUlST_E_NS1_11comp_targetILNS1_3genE5ELNS1_11target_archE942ELNS1_3gpuE9ELNS1_3repE0EEENS1_48merge_mergepath_partition_config_static_selectorELNS0_4arch9wavefront6targetE0EEEvSF_.private_seg_size, 0
	.set _ZN7rocprim17ROCPRIM_400000_NS6detail17trampoline_kernelINS0_14default_configENS1_38merge_sort_block_merge_config_selectorIbNS0_10empty_typeEEEZZNS1_27merge_sort_block_merge_implIS3_PbPS5_jNS1_19radix_merge_compareILb0ELb1EbNS0_19identity_decomposerEEEEE10hipError_tT0_T1_T2_jT3_P12ihipStream_tbPNSt15iterator_traitsISE_E10value_typeEPNSK_ISF_E10value_typeEPSG_NS1_7vsmem_tEENKUlT_SE_SF_SG_E_clIS8_S8_S9_S9_EESD_ST_SE_SF_SG_EUlST_E_NS1_11comp_targetILNS1_3genE5ELNS1_11target_archE942ELNS1_3gpuE9ELNS1_3repE0EEENS1_48merge_mergepath_partition_config_static_selectorELNS0_4arch9wavefront6targetE0EEEvSF_.uses_vcc, 0
	.set _ZN7rocprim17ROCPRIM_400000_NS6detail17trampoline_kernelINS0_14default_configENS1_38merge_sort_block_merge_config_selectorIbNS0_10empty_typeEEEZZNS1_27merge_sort_block_merge_implIS3_PbPS5_jNS1_19radix_merge_compareILb0ELb1EbNS0_19identity_decomposerEEEEE10hipError_tT0_T1_T2_jT3_P12ihipStream_tbPNSt15iterator_traitsISE_E10value_typeEPNSK_ISF_E10value_typeEPSG_NS1_7vsmem_tEENKUlT_SE_SF_SG_E_clIS8_S8_S9_S9_EESD_ST_SE_SF_SG_EUlST_E_NS1_11comp_targetILNS1_3genE5ELNS1_11target_archE942ELNS1_3gpuE9ELNS1_3repE0EEENS1_48merge_mergepath_partition_config_static_selectorELNS0_4arch9wavefront6targetE0EEEvSF_.uses_flat_scratch, 0
	.set _ZN7rocprim17ROCPRIM_400000_NS6detail17trampoline_kernelINS0_14default_configENS1_38merge_sort_block_merge_config_selectorIbNS0_10empty_typeEEEZZNS1_27merge_sort_block_merge_implIS3_PbPS5_jNS1_19radix_merge_compareILb0ELb1EbNS0_19identity_decomposerEEEEE10hipError_tT0_T1_T2_jT3_P12ihipStream_tbPNSt15iterator_traitsISE_E10value_typeEPNSK_ISF_E10value_typeEPSG_NS1_7vsmem_tEENKUlT_SE_SF_SG_E_clIS8_S8_S9_S9_EESD_ST_SE_SF_SG_EUlST_E_NS1_11comp_targetILNS1_3genE5ELNS1_11target_archE942ELNS1_3gpuE9ELNS1_3repE0EEENS1_48merge_mergepath_partition_config_static_selectorELNS0_4arch9wavefront6targetE0EEEvSF_.has_dyn_sized_stack, 0
	.set _ZN7rocprim17ROCPRIM_400000_NS6detail17trampoline_kernelINS0_14default_configENS1_38merge_sort_block_merge_config_selectorIbNS0_10empty_typeEEEZZNS1_27merge_sort_block_merge_implIS3_PbPS5_jNS1_19radix_merge_compareILb0ELb1EbNS0_19identity_decomposerEEEEE10hipError_tT0_T1_T2_jT3_P12ihipStream_tbPNSt15iterator_traitsISE_E10value_typeEPNSK_ISF_E10value_typeEPSG_NS1_7vsmem_tEENKUlT_SE_SF_SG_E_clIS8_S8_S9_S9_EESD_ST_SE_SF_SG_EUlST_E_NS1_11comp_targetILNS1_3genE5ELNS1_11target_archE942ELNS1_3gpuE9ELNS1_3repE0EEENS1_48merge_mergepath_partition_config_static_selectorELNS0_4arch9wavefront6targetE0EEEvSF_.has_recursion, 0
	.set _ZN7rocprim17ROCPRIM_400000_NS6detail17trampoline_kernelINS0_14default_configENS1_38merge_sort_block_merge_config_selectorIbNS0_10empty_typeEEEZZNS1_27merge_sort_block_merge_implIS3_PbPS5_jNS1_19radix_merge_compareILb0ELb1EbNS0_19identity_decomposerEEEEE10hipError_tT0_T1_T2_jT3_P12ihipStream_tbPNSt15iterator_traitsISE_E10value_typeEPNSK_ISF_E10value_typeEPSG_NS1_7vsmem_tEENKUlT_SE_SF_SG_E_clIS8_S8_S9_S9_EESD_ST_SE_SF_SG_EUlST_E_NS1_11comp_targetILNS1_3genE5ELNS1_11target_archE942ELNS1_3gpuE9ELNS1_3repE0EEENS1_48merge_mergepath_partition_config_static_selectorELNS0_4arch9wavefront6targetE0EEEvSF_.has_indirect_call, 0
	.section	.AMDGPU.csdata,"",@progbits
; Kernel info:
; codeLenInByte = 0
; TotalNumSgprs: 0
; NumVgprs: 0
; ScratchSize: 0
; MemoryBound: 0
; FloatMode: 240
; IeeeMode: 1
; LDSByteSize: 0 bytes/workgroup (compile time only)
; SGPRBlocks: 0
; VGPRBlocks: 0
; NumSGPRsForWavesPerEU: 1
; NumVGPRsForWavesPerEU: 1
; NamedBarCnt: 0
; Occupancy: 16
; WaveLimiterHint : 0
; COMPUTE_PGM_RSRC2:SCRATCH_EN: 0
; COMPUTE_PGM_RSRC2:USER_SGPR: 2
; COMPUTE_PGM_RSRC2:TRAP_HANDLER: 0
; COMPUTE_PGM_RSRC2:TGID_X_EN: 1
; COMPUTE_PGM_RSRC2:TGID_Y_EN: 0
; COMPUTE_PGM_RSRC2:TGID_Z_EN: 0
; COMPUTE_PGM_RSRC2:TIDIG_COMP_CNT: 0
	.section	.text._ZN7rocprim17ROCPRIM_400000_NS6detail17trampoline_kernelINS0_14default_configENS1_38merge_sort_block_merge_config_selectorIbNS0_10empty_typeEEEZZNS1_27merge_sort_block_merge_implIS3_PbPS5_jNS1_19radix_merge_compareILb0ELb1EbNS0_19identity_decomposerEEEEE10hipError_tT0_T1_T2_jT3_P12ihipStream_tbPNSt15iterator_traitsISE_E10value_typeEPNSK_ISF_E10value_typeEPSG_NS1_7vsmem_tEENKUlT_SE_SF_SG_E_clIS8_S8_S9_S9_EESD_ST_SE_SF_SG_EUlST_E_NS1_11comp_targetILNS1_3genE4ELNS1_11target_archE910ELNS1_3gpuE8ELNS1_3repE0EEENS1_48merge_mergepath_partition_config_static_selectorELNS0_4arch9wavefront6targetE0EEEvSF_,"axG",@progbits,_ZN7rocprim17ROCPRIM_400000_NS6detail17trampoline_kernelINS0_14default_configENS1_38merge_sort_block_merge_config_selectorIbNS0_10empty_typeEEEZZNS1_27merge_sort_block_merge_implIS3_PbPS5_jNS1_19radix_merge_compareILb0ELb1EbNS0_19identity_decomposerEEEEE10hipError_tT0_T1_T2_jT3_P12ihipStream_tbPNSt15iterator_traitsISE_E10value_typeEPNSK_ISF_E10value_typeEPSG_NS1_7vsmem_tEENKUlT_SE_SF_SG_E_clIS8_S8_S9_S9_EESD_ST_SE_SF_SG_EUlST_E_NS1_11comp_targetILNS1_3genE4ELNS1_11target_archE910ELNS1_3gpuE8ELNS1_3repE0EEENS1_48merge_mergepath_partition_config_static_selectorELNS0_4arch9wavefront6targetE0EEEvSF_,comdat
	.protected	_ZN7rocprim17ROCPRIM_400000_NS6detail17trampoline_kernelINS0_14default_configENS1_38merge_sort_block_merge_config_selectorIbNS0_10empty_typeEEEZZNS1_27merge_sort_block_merge_implIS3_PbPS5_jNS1_19radix_merge_compareILb0ELb1EbNS0_19identity_decomposerEEEEE10hipError_tT0_T1_T2_jT3_P12ihipStream_tbPNSt15iterator_traitsISE_E10value_typeEPNSK_ISF_E10value_typeEPSG_NS1_7vsmem_tEENKUlT_SE_SF_SG_E_clIS8_S8_S9_S9_EESD_ST_SE_SF_SG_EUlST_E_NS1_11comp_targetILNS1_3genE4ELNS1_11target_archE910ELNS1_3gpuE8ELNS1_3repE0EEENS1_48merge_mergepath_partition_config_static_selectorELNS0_4arch9wavefront6targetE0EEEvSF_ ; -- Begin function _ZN7rocprim17ROCPRIM_400000_NS6detail17trampoline_kernelINS0_14default_configENS1_38merge_sort_block_merge_config_selectorIbNS0_10empty_typeEEEZZNS1_27merge_sort_block_merge_implIS3_PbPS5_jNS1_19radix_merge_compareILb0ELb1EbNS0_19identity_decomposerEEEEE10hipError_tT0_T1_T2_jT3_P12ihipStream_tbPNSt15iterator_traitsISE_E10value_typeEPNSK_ISF_E10value_typeEPSG_NS1_7vsmem_tEENKUlT_SE_SF_SG_E_clIS8_S8_S9_S9_EESD_ST_SE_SF_SG_EUlST_E_NS1_11comp_targetILNS1_3genE4ELNS1_11target_archE910ELNS1_3gpuE8ELNS1_3repE0EEENS1_48merge_mergepath_partition_config_static_selectorELNS0_4arch9wavefront6targetE0EEEvSF_
	.globl	_ZN7rocprim17ROCPRIM_400000_NS6detail17trampoline_kernelINS0_14default_configENS1_38merge_sort_block_merge_config_selectorIbNS0_10empty_typeEEEZZNS1_27merge_sort_block_merge_implIS3_PbPS5_jNS1_19radix_merge_compareILb0ELb1EbNS0_19identity_decomposerEEEEE10hipError_tT0_T1_T2_jT3_P12ihipStream_tbPNSt15iterator_traitsISE_E10value_typeEPNSK_ISF_E10value_typeEPSG_NS1_7vsmem_tEENKUlT_SE_SF_SG_E_clIS8_S8_S9_S9_EESD_ST_SE_SF_SG_EUlST_E_NS1_11comp_targetILNS1_3genE4ELNS1_11target_archE910ELNS1_3gpuE8ELNS1_3repE0EEENS1_48merge_mergepath_partition_config_static_selectorELNS0_4arch9wavefront6targetE0EEEvSF_
	.p2align	8
	.type	_ZN7rocprim17ROCPRIM_400000_NS6detail17trampoline_kernelINS0_14default_configENS1_38merge_sort_block_merge_config_selectorIbNS0_10empty_typeEEEZZNS1_27merge_sort_block_merge_implIS3_PbPS5_jNS1_19radix_merge_compareILb0ELb1EbNS0_19identity_decomposerEEEEE10hipError_tT0_T1_T2_jT3_P12ihipStream_tbPNSt15iterator_traitsISE_E10value_typeEPNSK_ISF_E10value_typeEPSG_NS1_7vsmem_tEENKUlT_SE_SF_SG_E_clIS8_S8_S9_S9_EESD_ST_SE_SF_SG_EUlST_E_NS1_11comp_targetILNS1_3genE4ELNS1_11target_archE910ELNS1_3gpuE8ELNS1_3repE0EEENS1_48merge_mergepath_partition_config_static_selectorELNS0_4arch9wavefront6targetE0EEEvSF_,@function
_ZN7rocprim17ROCPRIM_400000_NS6detail17trampoline_kernelINS0_14default_configENS1_38merge_sort_block_merge_config_selectorIbNS0_10empty_typeEEEZZNS1_27merge_sort_block_merge_implIS3_PbPS5_jNS1_19radix_merge_compareILb0ELb1EbNS0_19identity_decomposerEEEEE10hipError_tT0_T1_T2_jT3_P12ihipStream_tbPNSt15iterator_traitsISE_E10value_typeEPNSK_ISF_E10value_typeEPSG_NS1_7vsmem_tEENKUlT_SE_SF_SG_E_clIS8_S8_S9_S9_EESD_ST_SE_SF_SG_EUlST_E_NS1_11comp_targetILNS1_3genE4ELNS1_11target_archE910ELNS1_3gpuE8ELNS1_3repE0EEENS1_48merge_mergepath_partition_config_static_selectorELNS0_4arch9wavefront6targetE0EEEvSF_: ; @_ZN7rocprim17ROCPRIM_400000_NS6detail17trampoline_kernelINS0_14default_configENS1_38merge_sort_block_merge_config_selectorIbNS0_10empty_typeEEEZZNS1_27merge_sort_block_merge_implIS3_PbPS5_jNS1_19radix_merge_compareILb0ELb1EbNS0_19identity_decomposerEEEEE10hipError_tT0_T1_T2_jT3_P12ihipStream_tbPNSt15iterator_traitsISE_E10value_typeEPNSK_ISF_E10value_typeEPSG_NS1_7vsmem_tEENKUlT_SE_SF_SG_E_clIS8_S8_S9_S9_EESD_ST_SE_SF_SG_EUlST_E_NS1_11comp_targetILNS1_3genE4ELNS1_11target_archE910ELNS1_3gpuE8ELNS1_3repE0EEENS1_48merge_mergepath_partition_config_static_selectorELNS0_4arch9wavefront6targetE0EEEvSF_
; %bb.0:
	.section	.rodata,"a",@progbits
	.p2align	6, 0x0
	.amdhsa_kernel _ZN7rocprim17ROCPRIM_400000_NS6detail17trampoline_kernelINS0_14default_configENS1_38merge_sort_block_merge_config_selectorIbNS0_10empty_typeEEEZZNS1_27merge_sort_block_merge_implIS3_PbPS5_jNS1_19radix_merge_compareILb0ELb1EbNS0_19identity_decomposerEEEEE10hipError_tT0_T1_T2_jT3_P12ihipStream_tbPNSt15iterator_traitsISE_E10value_typeEPNSK_ISF_E10value_typeEPSG_NS1_7vsmem_tEENKUlT_SE_SF_SG_E_clIS8_S8_S9_S9_EESD_ST_SE_SF_SG_EUlST_E_NS1_11comp_targetILNS1_3genE4ELNS1_11target_archE910ELNS1_3gpuE8ELNS1_3repE0EEENS1_48merge_mergepath_partition_config_static_selectorELNS0_4arch9wavefront6targetE0EEEvSF_
		.amdhsa_group_segment_fixed_size 0
		.amdhsa_private_segment_fixed_size 0
		.amdhsa_kernarg_size 40
		.amdhsa_user_sgpr_count 2
		.amdhsa_user_sgpr_dispatch_ptr 0
		.amdhsa_user_sgpr_queue_ptr 0
		.amdhsa_user_sgpr_kernarg_segment_ptr 1
		.amdhsa_user_sgpr_dispatch_id 0
		.amdhsa_user_sgpr_kernarg_preload_length 0
		.amdhsa_user_sgpr_kernarg_preload_offset 0
		.amdhsa_user_sgpr_private_segment_size 0
		.amdhsa_wavefront_size32 1
		.amdhsa_uses_dynamic_stack 0
		.amdhsa_enable_private_segment 0
		.amdhsa_system_sgpr_workgroup_id_x 1
		.amdhsa_system_sgpr_workgroup_id_y 0
		.amdhsa_system_sgpr_workgroup_id_z 0
		.amdhsa_system_sgpr_workgroup_info 0
		.amdhsa_system_vgpr_workitem_id 0
		.amdhsa_next_free_vgpr 1
		.amdhsa_next_free_sgpr 1
		.amdhsa_named_barrier_count 0
		.amdhsa_reserve_vcc 0
		.amdhsa_float_round_mode_32 0
		.amdhsa_float_round_mode_16_64 0
		.amdhsa_float_denorm_mode_32 3
		.amdhsa_float_denorm_mode_16_64 3
		.amdhsa_fp16_overflow 0
		.amdhsa_memory_ordered 1
		.amdhsa_forward_progress 1
		.amdhsa_inst_pref_size 0
		.amdhsa_round_robin_scheduling 0
		.amdhsa_exception_fp_ieee_invalid_op 0
		.amdhsa_exception_fp_denorm_src 0
		.amdhsa_exception_fp_ieee_div_zero 0
		.amdhsa_exception_fp_ieee_overflow 0
		.amdhsa_exception_fp_ieee_underflow 0
		.amdhsa_exception_fp_ieee_inexact 0
		.amdhsa_exception_int_div_zero 0
	.end_amdhsa_kernel
	.section	.text._ZN7rocprim17ROCPRIM_400000_NS6detail17trampoline_kernelINS0_14default_configENS1_38merge_sort_block_merge_config_selectorIbNS0_10empty_typeEEEZZNS1_27merge_sort_block_merge_implIS3_PbPS5_jNS1_19radix_merge_compareILb0ELb1EbNS0_19identity_decomposerEEEEE10hipError_tT0_T1_T2_jT3_P12ihipStream_tbPNSt15iterator_traitsISE_E10value_typeEPNSK_ISF_E10value_typeEPSG_NS1_7vsmem_tEENKUlT_SE_SF_SG_E_clIS8_S8_S9_S9_EESD_ST_SE_SF_SG_EUlST_E_NS1_11comp_targetILNS1_3genE4ELNS1_11target_archE910ELNS1_3gpuE8ELNS1_3repE0EEENS1_48merge_mergepath_partition_config_static_selectorELNS0_4arch9wavefront6targetE0EEEvSF_,"axG",@progbits,_ZN7rocprim17ROCPRIM_400000_NS6detail17trampoline_kernelINS0_14default_configENS1_38merge_sort_block_merge_config_selectorIbNS0_10empty_typeEEEZZNS1_27merge_sort_block_merge_implIS3_PbPS5_jNS1_19radix_merge_compareILb0ELb1EbNS0_19identity_decomposerEEEEE10hipError_tT0_T1_T2_jT3_P12ihipStream_tbPNSt15iterator_traitsISE_E10value_typeEPNSK_ISF_E10value_typeEPSG_NS1_7vsmem_tEENKUlT_SE_SF_SG_E_clIS8_S8_S9_S9_EESD_ST_SE_SF_SG_EUlST_E_NS1_11comp_targetILNS1_3genE4ELNS1_11target_archE910ELNS1_3gpuE8ELNS1_3repE0EEENS1_48merge_mergepath_partition_config_static_selectorELNS0_4arch9wavefront6targetE0EEEvSF_,comdat
.Lfunc_end1813:
	.size	_ZN7rocprim17ROCPRIM_400000_NS6detail17trampoline_kernelINS0_14default_configENS1_38merge_sort_block_merge_config_selectorIbNS0_10empty_typeEEEZZNS1_27merge_sort_block_merge_implIS3_PbPS5_jNS1_19radix_merge_compareILb0ELb1EbNS0_19identity_decomposerEEEEE10hipError_tT0_T1_T2_jT3_P12ihipStream_tbPNSt15iterator_traitsISE_E10value_typeEPNSK_ISF_E10value_typeEPSG_NS1_7vsmem_tEENKUlT_SE_SF_SG_E_clIS8_S8_S9_S9_EESD_ST_SE_SF_SG_EUlST_E_NS1_11comp_targetILNS1_3genE4ELNS1_11target_archE910ELNS1_3gpuE8ELNS1_3repE0EEENS1_48merge_mergepath_partition_config_static_selectorELNS0_4arch9wavefront6targetE0EEEvSF_, .Lfunc_end1813-_ZN7rocprim17ROCPRIM_400000_NS6detail17trampoline_kernelINS0_14default_configENS1_38merge_sort_block_merge_config_selectorIbNS0_10empty_typeEEEZZNS1_27merge_sort_block_merge_implIS3_PbPS5_jNS1_19radix_merge_compareILb0ELb1EbNS0_19identity_decomposerEEEEE10hipError_tT0_T1_T2_jT3_P12ihipStream_tbPNSt15iterator_traitsISE_E10value_typeEPNSK_ISF_E10value_typeEPSG_NS1_7vsmem_tEENKUlT_SE_SF_SG_E_clIS8_S8_S9_S9_EESD_ST_SE_SF_SG_EUlST_E_NS1_11comp_targetILNS1_3genE4ELNS1_11target_archE910ELNS1_3gpuE8ELNS1_3repE0EEENS1_48merge_mergepath_partition_config_static_selectorELNS0_4arch9wavefront6targetE0EEEvSF_
                                        ; -- End function
	.set _ZN7rocprim17ROCPRIM_400000_NS6detail17trampoline_kernelINS0_14default_configENS1_38merge_sort_block_merge_config_selectorIbNS0_10empty_typeEEEZZNS1_27merge_sort_block_merge_implIS3_PbPS5_jNS1_19radix_merge_compareILb0ELb1EbNS0_19identity_decomposerEEEEE10hipError_tT0_T1_T2_jT3_P12ihipStream_tbPNSt15iterator_traitsISE_E10value_typeEPNSK_ISF_E10value_typeEPSG_NS1_7vsmem_tEENKUlT_SE_SF_SG_E_clIS8_S8_S9_S9_EESD_ST_SE_SF_SG_EUlST_E_NS1_11comp_targetILNS1_3genE4ELNS1_11target_archE910ELNS1_3gpuE8ELNS1_3repE0EEENS1_48merge_mergepath_partition_config_static_selectorELNS0_4arch9wavefront6targetE0EEEvSF_.num_vgpr, 0
	.set _ZN7rocprim17ROCPRIM_400000_NS6detail17trampoline_kernelINS0_14default_configENS1_38merge_sort_block_merge_config_selectorIbNS0_10empty_typeEEEZZNS1_27merge_sort_block_merge_implIS3_PbPS5_jNS1_19radix_merge_compareILb0ELb1EbNS0_19identity_decomposerEEEEE10hipError_tT0_T1_T2_jT3_P12ihipStream_tbPNSt15iterator_traitsISE_E10value_typeEPNSK_ISF_E10value_typeEPSG_NS1_7vsmem_tEENKUlT_SE_SF_SG_E_clIS8_S8_S9_S9_EESD_ST_SE_SF_SG_EUlST_E_NS1_11comp_targetILNS1_3genE4ELNS1_11target_archE910ELNS1_3gpuE8ELNS1_3repE0EEENS1_48merge_mergepath_partition_config_static_selectorELNS0_4arch9wavefront6targetE0EEEvSF_.num_agpr, 0
	.set _ZN7rocprim17ROCPRIM_400000_NS6detail17trampoline_kernelINS0_14default_configENS1_38merge_sort_block_merge_config_selectorIbNS0_10empty_typeEEEZZNS1_27merge_sort_block_merge_implIS3_PbPS5_jNS1_19radix_merge_compareILb0ELb1EbNS0_19identity_decomposerEEEEE10hipError_tT0_T1_T2_jT3_P12ihipStream_tbPNSt15iterator_traitsISE_E10value_typeEPNSK_ISF_E10value_typeEPSG_NS1_7vsmem_tEENKUlT_SE_SF_SG_E_clIS8_S8_S9_S9_EESD_ST_SE_SF_SG_EUlST_E_NS1_11comp_targetILNS1_3genE4ELNS1_11target_archE910ELNS1_3gpuE8ELNS1_3repE0EEENS1_48merge_mergepath_partition_config_static_selectorELNS0_4arch9wavefront6targetE0EEEvSF_.numbered_sgpr, 0
	.set _ZN7rocprim17ROCPRIM_400000_NS6detail17trampoline_kernelINS0_14default_configENS1_38merge_sort_block_merge_config_selectorIbNS0_10empty_typeEEEZZNS1_27merge_sort_block_merge_implIS3_PbPS5_jNS1_19radix_merge_compareILb0ELb1EbNS0_19identity_decomposerEEEEE10hipError_tT0_T1_T2_jT3_P12ihipStream_tbPNSt15iterator_traitsISE_E10value_typeEPNSK_ISF_E10value_typeEPSG_NS1_7vsmem_tEENKUlT_SE_SF_SG_E_clIS8_S8_S9_S9_EESD_ST_SE_SF_SG_EUlST_E_NS1_11comp_targetILNS1_3genE4ELNS1_11target_archE910ELNS1_3gpuE8ELNS1_3repE0EEENS1_48merge_mergepath_partition_config_static_selectorELNS0_4arch9wavefront6targetE0EEEvSF_.num_named_barrier, 0
	.set _ZN7rocprim17ROCPRIM_400000_NS6detail17trampoline_kernelINS0_14default_configENS1_38merge_sort_block_merge_config_selectorIbNS0_10empty_typeEEEZZNS1_27merge_sort_block_merge_implIS3_PbPS5_jNS1_19radix_merge_compareILb0ELb1EbNS0_19identity_decomposerEEEEE10hipError_tT0_T1_T2_jT3_P12ihipStream_tbPNSt15iterator_traitsISE_E10value_typeEPNSK_ISF_E10value_typeEPSG_NS1_7vsmem_tEENKUlT_SE_SF_SG_E_clIS8_S8_S9_S9_EESD_ST_SE_SF_SG_EUlST_E_NS1_11comp_targetILNS1_3genE4ELNS1_11target_archE910ELNS1_3gpuE8ELNS1_3repE0EEENS1_48merge_mergepath_partition_config_static_selectorELNS0_4arch9wavefront6targetE0EEEvSF_.private_seg_size, 0
	.set _ZN7rocprim17ROCPRIM_400000_NS6detail17trampoline_kernelINS0_14default_configENS1_38merge_sort_block_merge_config_selectorIbNS0_10empty_typeEEEZZNS1_27merge_sort_block_merge_implIS3_PbPS5_jNS1_19radix_merge_compareILb0ELb1EbNS0_19identity_decomposerEEEEE10hipError_tT0_T1_T2_jT3_P12ihipStream_tbPNSt15iterator_traitsISE_E10value_typeEPNSK_ISF_E10value_typeEPSG_NS1_7vsmem_tEENKUlT_SE_SF_SG_E_clIS8_S8_S9_S9_EESD_ST_SE_SF_SG_EUlST_E_NS1_11comp_targetILNS1_3genE4ELNS1_11target_archE910ELNS1_3gpuE8ELNS1_3repE0EEENS1_48merge_mergepath_partition_config_static_selectorELNS0_4arch9wavefront6targetE0EEEvSF_.uses_vcc, 0
	.set _ZN7rocprim17ROCPRIM_400000_NS6detail17trampoline_kernelINS0_14default_configENS1_38merge_sort_block_merge_config_selectorIbNS0_10empty_typeEEEZZNS1_27merge_sort_block_merge_implIS3_PbPS5_jNS1_19radix_merge_compareILb0ELb1EbNS0_19identity_decomposerEEEEE10hipError_tT0_T1_T2_jT3_P12ihipStream_tbPNSt15iterator_traitsISE_E10value_typeEPNSK_ISF_E10value_typeEPSG_NS1_7vsmem_tEENKUlT_SE_SF_SG_E_clIS8_S8_S9_S9_EESD_ST_SE_SF_SG_EUlST_E_NS1_11comp_targetILNS1_3genE4ELNS1_11target_archE910ELNS1_3gpuE8ELNS1_3repE0EEENS1_48merge_mergepath_partition_config_static_selectorELNS0_4arch9wavefront6targetE0EEEvSF_.uses_flat_scratch, 0
	.set _ZN7rocprim17ROCPRIM_400000_NS6detail17trampoline_kernelINS0_14default_configENS1_38merge_sort_block_merge_config_selectorIbNS0_10empty_typeEEEZZNS1_27merge_sort_block_merge_implIS3_PbPS5_jNS1_19radix_merge_compareILb0ELb1EbNS0_19identity_decomposerEEEEE10hipError_tT0_T1_T2_jT3_P12ihipStream_tbPNSt15iterator_traitsISE_E10value_typeEPNSK_ISF_E10value_typeEPSG_NS1_7vsmem_tEENKUlT_SE_SF_SG_E_clIS8_S8_S9_S9_EESD_ST_SE_SF_SG_EUlST_E_NS1_11comp_targetILNS1_3genE4ELNS1_11target_archE910ELNS1_3gpuE8ELNS1_3repE0EEENS1_48merge_mergepath_partition_config_static_selectorELNS0_4arch9wavefront6targetE0EEEvSF_.has_dyn_sized_stack, 0
	.set _ZN7rocprim17ROCPRIM_400000_NS6detail17trampoline_kernelINS0_14default_configENS1_38merge_sort_block_merge_config_selectorIbNS0_10empty_typeEEEZZNS1_27merge_sort_block_merge_implIS3_PbPS5_jNS1_19radix_merge_compareILb0ELb1EbNS0_19identity_decomposerEEEEE10hipError_tT0_T1_T2_jT3_P12ihipStream_tbPNSt15iterator_traitsISE_E10value_typeEPNSK_ISF_E10value_typeEPSG_NS1_7vsmem_tEENKUlT_SE_SF_SG_E_clIS8_S8_S9_S9_EESD_ST_SE_SF_SG_EUlST_E_NS1_11comp_targetILNS1_3genE4ELNS1_11target_archE910ELNS1_3gpuE8ELNS1_3repE0EEENS1_48merge_mergepath_partition_config_static_selectorELNS0_4arch9wavefront6targetE0EEEvSF_.has_recursion, 0
	.set _ZN7rocprim17ROCPRIM_400000_NS6detail17trampoline_kernelINS0_14default_configENS1_38merge_sort_block_merge_config_selectorIbNS0_10empty_typeEEEZZNS1_27merge_sort_block_merge_implIS3_PbPS5_jNS1_19radix_merge_compareILb0ELb1EbNS0_19identity_decomposerEEEEE10hipError_tT0_T1_T2_jT3_P12ihipStream_tbPNSt15iterator_traitsISE_E10value_typeEPNSK_ISF_E10value_typeEPSG_NS1_7vsmem_tEENKUlT_SE_SF_SG_E_clIS8_S8_S9_S9_EESD_ST_SE_SF_SG_EUlST_E_NS1_11comp_targetILNS1_3genE4ELNS1_11target_archE910ELNS1_3gpuE8ELNS1_3repE0EEENS1_48merge_mergepath_partition_config_static_selectorELNS0_4arch9wavefront6targetE0EEEvSF_.has_indirect_call, 0
	.section	.AMDGPU.csdata,"",@progbits
; Kernel info:
; codeLenInByte = 0
; TotalNumSgprs: 0
; NumVgprs: 0
; ScratchSize: 0
; MemoryBound: 0
; FloatMode: 240
; IeeeMode: 1
; LDSByteSize: 0 bytes/workgroup (compile time only)
; SGPRBlocks: 0
; VGPRBlocks: 0
; NumSGPRsForWavesPerEU: 1
; NumVGPRsForWavesPerEU: 1
; NamedBarCnt: 0
; Occupancy: 16
; WaveLimiterHint : 0
; COMPUTE_PGM_RSRC2:SCRATCH_EN: 0
; COMPUTE_PGM_RSRC2:USER_SGPR: 2
; COMPUTE_PGM_RSRC2:TRAP_HANDLER: 0
; COMPUTE_PGM_RSRC2:TGID_X_EN: 1
; COMPUTE_PGM_RSRC2:TGID_Y_EN: 0
; COMPUTE_PGM_RSRC2:TGID_Z_EN: 0
; COMPUTE_PGM_RSRC2:TIDIG_COMP_CNT: 0
	.section	.text._ZN7rocprim17ROCPRIM_400000_NS6detail17trampoline_kernelINS0_14default_configENS1_38merge_sort_block_merge_config_selectorIbNS0_10empty_typeEEEZZNS1_27merge_sort_block_merge_implIS3_PbPS5_jNS1_19radix_merge_compareILb0ELb1EbNS0_19identity_decomposerEEEEE10hipError_tT0_T1_T2_jT3_P12ihipStream_tbPNSt15iterator_traitsISE_E10value_typeEPNSK_ISF_E10value_typeEPSG_NS1_7vsmem_tEENKUlT_SE_SF_SG_E_clIS8_S8_S9_S9_EESD_ST_SE_SF_SG_EUlST_E_NS1_11comp_targetILNS1_3genE3ELNS1_11target_archE908ELNS1_3gpuE7ELNS1_3repE0EEENS1_48merge_mergepath_partition_config_static_selectorELNS0_4arch9wavefront6targetE0EEEvSF_,"axG",@progbits,_ZN7rocprim17ROCPRIM_400000_NS6detail17trampoline_kernelINS0_14default_configENS1_38merge_sort_block_merge_config_selectorIbNS0_10empty_typeEEEZZNS1_27merge_sort_block_merge_implIS3_PbPS5_jNS1_19radix_merge_compareILb0ELb1EbNS0_19identity_decomposerEEEEE10hipError_tT0_T1_T2_jT3_P12ihipStream_tbPNSt15iterator_traitsISE_E10value_typeEPNSK_ISF_E10value_typeEPSG_NS1_7vsmem_tEENKUlT_SE_SF_SG_E_clIS8_S8_S9_S9_EESD_ST_SE_SF_SG_EUlST_E_NS1_11comp_targetILNS1_3genE3ELNS1_11target_archE908ELNS1_3gpuE7ELNS1_3repE0EEENS1_48merge_mergepath_partition_config_static_selectorELNS0_4arch9wavefront6targetE0EEEvSF_,comdat
	.protected	_ZN7rocprim17ROCPRIM_400000_NS6detail17trampoline_kernelINS0_14default_configENS1_38merge_sort_block_merge_config_selectorIbNS0_10empty_typeEEEZZNS1_27merge_sort_block_merge_implIS3_PbPS5_jNS1_19radix_merge_compareILb0ELb1EbNS0_19identity_decomposerEEEEE10hipError_tT0_T1_T2_jT3_P12ihipStream_tbPNSt15iterator_traitsISE_E10value_typeEPNSK_ISF_E10value_typeEPSG_NS1_7vsmem_tEENKUlT_SE_SF_SG_E_clIS8_S8_S9_S9_EESD_ST_SE_SF_SG_EUlST_E_NS1_11comp_targetILNS1_3genE3ELNS1_11target_archE908ELNS1_3gpuE7ELNS1_3repE0EEENS1_48merge_mergepath_partition_config_static_selectorELNS0_4arch9wavefront6targetE0EEEvSF_ ; -- Begin function _ZN7rocprim17ROCPRIM_400000_NS6detail17trampoline_kernelINS0_14default_configENS1_38merge_sort_block_merge_config_selectorIbNS0_10empty_typeEEEZZNS1_27merge_sort_block_merge_implIS3_PbPS5_jNS1_19radix_merge_compareILb0ELb1EbNS0_19identity_decomposerEEEEE10hipError_tT0_T1_T2_jT3_P12ihipStream_tbPNSt15iterator_traitsISE_E10value_typeEPNSK_ISF_E10value_typeEPSG_NS1_7vsmem_tEENKUlT_SE_SF_SG_E_clIS8_S8_S9_S9_EESD_ST_SE_SF_SG_EUlST_E_NS1_11comp_targetILNS1_3genE3ELNS1_11target_archE908ELNS1_3gpuE7ELNS1_3repE0EEENS1_48merge_mergepath_partition_config_static_selectorELNS0_4arch9wavefront6targetE0EEEvSF_
	.globl	_ZN7rocprim17ROCPRIM_400000_NS6detail17trampoline_kernelINS0_14default_configENS1_38merge_sort_block_merge_config_selectorIbNS0_10empty_typeEEEZZNS1_27merge_sort_block_merge_implIS3_PbPS5_jNS1_19radix_merge_compareILb0ELb1EbNS0_19identity_decomposerEEEEE10hipError_tT0_T1_T2_jT3_P12ihipStream_tbPNSt15iterator_traitsISE_E10value_typeEPNSK_ISF_E10value_typeEPSG_NS1_7vsmem_tEENKUlT_SE_SF_SG_E_clIS8_S8_S9_S9_EESD_ST_SE_SF_SG_EUlST_E_NS1_11comp_targetILNS1_3genE3ELNS1_11target_archE908ELNS1_3gpuE7ELNS1_3repE0EEENS1_48merge_mergepath_partition_config_static_selectorELNS0_4arch9wavefront6targetE0EEEvSF_
	.p2align	8
	.type	_ZN7rocprim17ROCPRIM_400000_NS6detail17trampoline_kernelINS0_14default_configENS1_38merge_sort_block_merge_config_selectorIbNS0_10empty_typeEEEZZNS1_27merge_sort_block_merge_implIS3_PbPS5_jNS1_19radix_merge_compareILb0ELb1EbNS0_19identity_decomposerEEEEE10hipError_tT0_T1_T2_jT3_P12ihipStream_tbPNSt15iterator_traitsISE_E10value_typeEPNSK_ISF_E10value_typeEPSG_NS1_7vsmem_tEENKUlT_SE_SF_SG_E_clIS8_S8_S9_S9_EESD_ST_SE_SF_SG_EUlST_E_NS1_11comp_targetILNS1_3genE3ELNS1_11target_archE908ELNS1_3gpuE7ELNS1_3repE0EEENS1_48merge_mergepath_partition_config_static_selectorELNS0_4arch9wavefront6targetE0EEEvSF_,@function
_ZN7rocprim17ROCPRIM_400000_NS6detail17trampoline_kernelINS0_14default_configENS1_38merge_sort_block_merge_config_selectorIbNS0_10empty_typeEEEZZNS1_27merge_sort_block_merge_implIS3_PbPS5_jNS1_19radix_merge_compareILb0ELb1EbNS0_19identity_decomposerEEEEE10hipError_tT0_T1_T2_jT3_P12ihipStream_tbPNSt15iterator_traitsISE_E10value_typeEPNSK_ISF_E10value_typeEPSG_NS1_7vsmem_tEENKUlT_SE_SF_SG_E_clIS8_S8_S9_S9_EESD_ST_SE_SF_SG_EUlST_E_NS1_11comp_targetILNS1_3genE3ELNS1_11target_archE908ELNS1_3gpuE7ELNS1_3repE0EEENS1_48merge_mergepath_partition_config_static_selectorELNS0_4arch9wavefront6targetE0EEEvSF_: ; @_ZN7rocprim17ROCPRIM_400000_NS6detail17trampoline_kernelINS0_14default_configENS1_38merge_sort_block_merge_config_selectorIbNS0_10empty_typeEEEZZNS1_27merge_sort_block_merge_implIS3_PbPS5_jNS1_19radix_merge_compareILb0ELb1EbNS0_19identity_decomposerEEEEE10hipError_tT0_T1_T2_jT3_P12ihipStream_tbPNSt15iterator_traitsISE_E10value_typeEPNSK_ISF_E10value_typeEPSG_NS1_7vsmem_tEENKUlT_SE_SF_SG_E_clIS8_S8_S9_S9_EESD_ST_SE_SF_SG_EUlST_E_NS1_11comp_targetILNS1_3genE3ELNS1_11target_archE908ELNS1_3gpuE7ELNS1_3repE0EEENS1_48merge_mergepath_partition_config_static_selectorELNS0_4arch9wavefront6targetE0EEEvSF_
; %bb.0:
	.section	.rodata,"a",@progbits
	.p2align	6, 0x0
	.amdhsa_kernel _ZN7rocprim17ROCPRIM_400000_NS6detail17trampoline_kernelINS0_14default_configENS1_38merge_sort_block_merge_config_selectorIbNS0_10empty_typeEEEZZNS1_27merge_sort_block_merge_implIS3_PbPS5_jNS1_19radix_merge_compareILb0ELb1EbNS0_19identity_decomposerEEEEE10hipError_tT0_T1_T2_jT3_P12ihipStream_tbPNSt15iterator_traitsISE_E10value_typeEPNSK_ISF_E10value_typeEPSG_NS1_7vsmem_tEENKUlT_SE_SF_SG_E_clIS8_S8_S9_S9_EESD_ST_SE_SF_SG_EUlST_E_NS1_11comp_targetILNS1_3genE3ELNS1_11target_archE908ELNS1_3gpuE7ELNS1_3repE0EEENS1_48merge_mergepath_partition_config_static_selectorELNS0_4arch9wavefront6targetE0EEEvSF_
		.amdhsa_group_segment_fixed_size 0
		.amdhsa_private_segment_fixed_size 0
		.amdhsa_kernarg_size 40
		.amdhsa_user_sgpr_count 2
		.amdhsa_user_sgpr_dispatch_ptr 0
		.amdhsa_user_sgpr_queue_ptr 0
		.amdhsa_user_sgpr_kernarg_segment_ptr 1
		.amdhsa_user_sgpr_dispatch_id 0
		.amdhsa_user_sgpr_kernarg_preload_length 0
		.amdhsa_user_sgpr_kernarg_preload_offset 0
		.amdhsa_user_sgpr_private_segment_size 0
		.amdhsa_wavefront_size32 1
		.amdhsa_uses_dynamic_stack 0
		.amdhsa_enable_private_segment 0
		.amdhsa_system_sgpr_workgroup_id_x 1
		.amdhsa_system_sgpr_workgroup_id_y 0
		.amdhsa_system_sgpr_workgroup_id_z 0
		.amdhsa_system_sgpr_workgroup_info 0
		.amdhsa_system_vgpr_workitem_id 0
		.amdhsa_next_free_vgpr 1
		.amdhsa_next_free_sgpr 1
		.amdhsa_named_barrier_count 0
		.amdhsa_reserve_vcc 0
		.amdhsa_float_round_mode_32 0
		.amdhsa_float_round_mode_16_64 0
		.amdhsa_float_denorm_mode_32 3
		.amdhsa_float_denorm_mode_16_64 3
		.amdhsa_fp16_overflow 0
		.amdhsa_memory_ordered 1
		.amdhsa_forward_progress 1
		.amdhsa_inst_pref_size 0
		.amdhsa_round_robin_scheduling 0
		.amdhsa_exception_fp_ieee_invalid_op 0
		.amdhsa_exception_fp_denorm_src 0
		.amdhsa_exception_fp_ieee_div_zero 0
		.amdhsa_exception_fp_ieee_overflow 0
		.amdhsa_exception_fp_ieee_underflow 0
		.amdhsa_exception_fp_ieee_inexact 0
		.amdhsa_exception_int_div_zero 0
	.end_amdhsa_kernel
	.section	.text._ZN7rocprim17ROCPRIM_400000_NS6detail17trampoline_kernelINS0_14default_configENS1_38merge_sort_block_merge_config_selectorIbNS0_10empty_typeEEEZZNS1_27merge_sort_block_merge_implIS3_PbPS5_jNS1_19radix_merge_compareILb0ELb1EbNS0_19identity_decomposerEEEEE10hipError_tT0_T1_T2_jT3_P12ihipStream_tbPNSt15iterator_traitsISE_E10value_typeEPNSK_ISF_E10value_typeEPSG_NS1_7vsmem_tEENKUlT_SE_SF_SG_E_clIS8_S8_S9_S9_EESD_ST_SE_SF_SG_EUlST_E_NS1_11comp_targetILNS1_3genE3ELNS1_11target_archE908ELNS1_3gpuE7ELNS1_3repE0EEENS1_48merge_mergepath_partition_config_static_selectorELNS0_4arch9wavefront6targetE0EEEvSF_,"axG",@progbits,_ZN7rocprim17ROCPRIM_400000_NS6detail17trampoline_kernelINS0_14default_configENS1_38merge_sort_block_merge_config_selectorIbNS0_10empty_typeEEEZZNS1_27merge_sort_block_merge_implIS3_PbPS5_jNS1_19radix_merge_compareILb0ELb1EbNS0_19identity_decomposerEEEEE10hipError_tT0_T1_T2_jT3_P12ihipStream_tbPNSt15iterator_traitsISE_E10value_typeEPNSK_ISF_E10value_typeEPSG_NS1_7vsmem_tEENKUlT_SE_SF_SG_E_clIS8_S8_S9_S9_EESD_ST_SE_SF_SG_EUlST_E_NS1_11comp_targetILNS1_3genE3ELNS1_11target_archE908ELNS1_3gpuE7ELNS1_3repE0EEENS1_48merge_mergepath_partition_config_static_selectorELNS0_4arch9wavefront6targetE0EEEvSF_,comdat
.Lfunc_end1814:
	.size	_ZN7rocprim17ROCPRIM_400000_NS6detail17trampoline_kernelINS0_14default_configENS1_38merge_sort_block_merge_config_selectorIbNS0_10empty_typeEEEZZNS1_27merge_sort_block_merge_implIS3_PbPS5_jNS1_19radix_merge_compareILb0ELb1EbNS0_19identity_decomposerEEEEE10hipError_tT0_T1_T2_jT3_P12ihipStream_tbPNSt15iterator_traitsISE_E10value_typeEPNSK_ISF_E10value_typeEPSG_NS1_7vsmem_tEENKUlT_SE_SF_SG_E_clIS8_S8_S9_S9_EESD_ST_SE_SF_SG_EUlST_E_NS1_11comp_targetILNS1_3genE3ELNS1_11target_archE908ELNS1_3gpuE7ELNS1_3repE0EEENS1_48merge_mergepath_partition_config_static_selectorELNS0_4arch9wavefront6targetE0EEEvSF_, .Lfunc_end1814-_ZN7rocprim17ROCPRIM_400000_NS6detail17trampoline_kernelINS0_14default_configENS1_38merge_sort_block_merge_config_selectorIbNS0_10empty_typeEEEZZNS1_27merge_sort_block_merge_implIS3_PbPS5_jNS1_19radix_merge_compareILb0ELb1EbNS0_19identity_decomposerEEEEE10hipError_tT0_T1_T2_jT3_P12ihipStream_tbPNSt15iterator_traitsISE_E10value_typeEPNSK_ISF_E10value_typeEPSG_NS1_7vsmem_tEENKUlT_SE_SF_SG_E_clIS8_S8_S9_S9_EESD_ST_SE_SF_SG_EUlST_E_NS1_11comp_targetILNS1_3genE3ELNS1_11target_archE908ELNS1_3gpuE7ELNS1_3repE0EEENS1_48merge_mergepath_partition_config_static_selectorELNS0_4arch9wavefront6targetE0EEEvSF_
                                        ; -- End function
	.set _ZN7rocprim17ROCPRIM_400000_NS6detail17trampoline_kernelINS0_14default_configENS1_38merge_sort_block_merge_config_selectorIbNS0_10empty_typeEEEZZNS1_27merge_sort_block_merge_implIS3_PbPS5_jNS1_19radix_merge_compareILb0ELb1EbNS0_19identity_decomposerEEEEE10hipError_tT0_T1_T2_jT3_P12ihipStream_tbPNSt15iterator_traitsISE_E10value_typeEPNSK_ISF_E10value_typeEPSG_NS1_7vsmem_tEENKUlT_SE_SF_SG_E_clIS8_S8_S9_S9_EESD_ST_SE_SF_SG_EUlST_E_NS1_11comp_targetILNS1_3genE3ELNS1_11target_archE908ELNS1_3gpuE7ELNS1_3repE0EEENS1_48merge_mergepath_partition_config_static_selectorELNS0_4arch9wavefront6targetE0EEEvSF_.num_vgpr, 0
	.set _ZN7rocprim17ROCPRIM_400000_NS6detail17trampoline_kernelINS0_14default_configENS1_38merge_sort_block_merge_config_selectorIbNS0_10empty_typeEEEZZNS1_27merge_sort_block_merge_implIS3_PbPS5_jNS1_19radix_merge_compareILb0ELb1EbNS0_19identity_decomposerEEEEE10hipError_tT0_T1_T2_jT3_P12ihipStream_tbPNSt15iterator_traitsISE_E10value_typeEPNSK_ISF_E10value_typeEPSG_NS1_7vsmem_tEENKUlT_SE_SF_SG_E_clIS8_S8_S9_S9_EESD_ST_SE_SF_SG_EUlST_E_NS1_11comp_targetILNS1_3genE3ELNS1_11target_archE908ELNS1_3gpuE7ELNS1_3repE0EEENS1_48merge_mergepath_partition_config_static_selectorELNS0_4arch9wavefront6targetE0EEEvSF_.num_agpr, 0
	.set _ZN7rocprim17ROCPRIM_400000_NS6detail17trampoline_kernelINS0_14default_configENS1_38merge_sort_block_merge_config_selectorIbNS0_10empty_typeEEEZZNS1_27merge_sort_block_merge_implIS3_PbPS5_jNS1_19radix_merge_compareILb0ELb1EbNS0_19identity_decomposerEEEEE10hipError_tT0_T1_T2_jT3_P12ihipStream_tbPNSt15iterator_traitsISE_E10value_typeEPNSK_ISF_E10value_typeEPSG_NS1_7vsmem_tEENKUlT_SE_SF_SG_E_clIS8_S8_S9_S9_EESD_ST_SE_SF_SG_EUlST_E_NS1_11comp_targetILNS1_3genE3ELNS1_11target_archE908ELNS1_3gpuE7ELNS1_3repE0EEENS1_48merge_mergepath_partition_config_static_selectorELNS0_4arch9wavefront6targetE0EEEvSF_.numbered_sgpr, 0
	.set _ZN7rocprim17ROCPRIM_400000_NS6detail17trampoline_kernelINS0_14default_configENS1_38merge_sort_block_merge_config_selectorIbNS0_10empty_typeEEEZZNS1_27merge_sort_block_merge_implIS3_PbPS5_jNS1_19radix_merge_compareILb0ELb1EbNS0_19identity_decomposerEEEEE10hipError_tT0_T1_T2_jT3_P12ihipStream_tbPNSt15iterator_traitsISE_E10value_typeEPNSK_ISF_E10value_typeEPSG_NS1_7vsmem_tEENKUlT_SE_SF_SG_E_clIS8_S8_S9_S9_EESD_ST_SE_SF_SG_EUlST_E_NS1_11comp_targetILNS1_3genE3ELNS1_11target_archE908ELNS1_3gpuE7ELNS1_3repE0EEENS1_48merge_mergepath_partition_config_static_selectorELNS0_4arch9wavefront6targetE0EEEvSF_.num_named_barrier, 0
	.set _ZN7rocprim17ROCPRIM_400000_NS6detail17trampoline_kernelINS0_14default_configENS1_38merge_sort_block_merge_config_selectorIbNS0_10empty_typeEEEZZNS1_27merge_sort_block_merge_implIS3_PbPS5_jNS1_19radix_merge_compareILb0ELb1EbNS0_19identity_decomposerEEEEE10hipError_tT0_T1_T2_jT3_P12ihipStream_tbPNSt15iterator_traitsISE_E10value_typeEPNSK_ISF_E10value_typeEPSG_NS1_7vsmem_tEENKUlT_SE_SF_SG_E_clIS8_S8_S9_S9_EESD_ST_SE_SF_SG_EUlST_E_NS1_11comp_targetILNS1_3genE3ELNS1_11target_archE908ELNS1_3gpuE7ELNS1_3repE0EEENS1_48merge_mergepath_partition_config_static_selectorELNS0_4arch9wavefront6targetE0EEEvSF_.private_seg_size, 0
	.set _ZN7rocprim17ROCPRIM_400000_NS6detail17trampoline_kernelINS0_14default_configENS1_38merge_sort_block_merge_config_selectorIbNS0_10empty_typeEEEZZNS1_27merge_sort_block_merge_implIS3_PbPS5_jNS1_19radix_merge_compareILb0ELb1EbNS0_19identity_decomposerEEEEE10hipError_tT0_T1_T2_jT3_P12ihipStream_tbPNSt15iterator_traitsISE_E10value_typeEPNSK_ISF_E10value_typeEPSG_NS1_7vsmem_tEENKUlT_SE_SF_SG_E_clIS8_S8_S9_S9_EESD_ST_SE_SF_SG_EUlST_E_NS1_11comp_targetILNS1_3genE3ELNS1_11target_archE908ELNS1_3gpuE7ELNS1_3repE0EEENS1_48merge_mergepath_partition_config_static_selectorELNS0_4arch9wavefront6targetE0EEEvSF_.uses_vcc, 0
	.set _ZN7rocprim17ROCPRIM_400000_NS6detail17trampoline_kernelINS0_14default_configENS1_38merge_sort_block_merge_config_selectorIbNS0_10empty_typeEEEZZNS1_27merge_sort_block_merge_implIS3_PbPS5_jNS1_19radix_merge_compareILb0ELb1EbNS0_19identity_decomposerEEEEE10hipError_tT0_T1_T2_jT3_P12ihipStream_tbPNSt15iterator_traitsISE_E10value_typeEPNSK_ISF_E10value_typeEPSG_NS1_7vsmem_tEENKUlT_SE_SF_SG_E_clIS8_S8_S9_S9_EESD_ST_SE_SF_SG_EUlST_E_NS1_11comp_targetILNS1_3genE3ELNS1_11target_archE908ELNS1_3gpuE7ELNS1_3repE0EEENS1_48merge_mergepath_partition_config_static_selectorELNS0_4arch9wavefront6targetE0EEEvSF_.uses_flat_scratch, 0
	.set _ZN7rocprim17ROCPRIM_400000_NS6detail17trampoline_kernelINS0_14default_configENS1_38merge_sort_block_merge_config_selectorIbNS0_10empty_typeEEEZZNS1_27merge_sort_block_merge_implIS3_PbPS5_jNS1_19radix_merge_compareILb0ELb1EbNS0_19identity_decomposerEEEEE10hipError_tT0_T1_T2_jT3_P12ihipStream_tbPNSt15iterator_traitsISE_E10value_typeEPNSK_ISF_E10value_typeEPSG_NS1_7vsmem_tEENKUlT_SE_SF_SG_E_clIS8_S8_S9_S9_EESD_ST_SE_SF_SG_EUlST_E_NS1_11comp_targetILNS1_3genE3ELNS1_11target_archE908ELNS1_3gpuE7ELNS1_3repE0EEENS1_48merge_mergepath_partition_config_static_selectorELNS0_4arch9wavefront6targetE0EEEvSF_.has_dyn_sized_stack, 0
	.set _ZN7rocprim17ROCPRIM_400000_NS6detail17trampoline_kernelINS0_14default_configENS1_38merge_sort_block_merge_config_selectorIbNS0_10empty_typeEEEZZNS1_27merge_sort_block_merge_implIS3_PbPS5_jNS1_19radix_merge_compareILb0ELb1EbNS0_19identity_decomposerEEEEE10hipError_tT0_T1_T2_jT3_P12ihipStream_tbPNSt15iterator_traitsISE_E10value_typeEPNSK_ISF_E10value_typeEPSG_NS1_7vsmem_tEENKUlT_SE_SF_SG_E_clIS8_S8_S9_S9_EESD_ST_SE_SF_SG_EUlST_E_NS1_11comp_targetILNS1_3genE3ELNS1_11target_archE908ELNS1_3gpuE7ELNS1_3repE0EEENS1_48merge_mergepath_partition_config_static_selectorELNS0_4arch9wavefront6targetE0EEEvSF_.has_recursion, 0
	.set _ZN7rocprim17ROCPRIM_400000_NS6detail17trampoline_kernelINS0_14default_configENS1_38merge_sort_block_merge_config_selectorIbNS0_10empty_typeEEEZZNS1_27merge_sort_block_merge_implIS3_PbPS5_jNS1_19radix_merge_compareILb0ELb1EbNS0_19identity_decomposerEEEEE10hipError_tT0_T1_T2_jT3_P12ihipStream_tbPNSt15iterator_traitsISE_E10value_typeEPNSK_ISF_E10value_typeEPSG_NS1_7vsmem_tEENKUlT_SE_SF_SG_E_clIS8_S8_S9_S9_EESD_ST_SE_SF_SG_EUlST_E_NS1_11comp_targetILNS1_3genE3ELNS1_11target_archE908ELNS1_3gpuE7ELNS1_3repE0EEENS1_48merge_mergepath_partition_config_static_selectorELNS0_4arch9wavefront6targetE0EEEvSF_.has_indirect_call, 0
	.section	.AMDGPU.csdata,"",@progbits
; Kernel info:
; codeLenInByte = 0
; TotalNumSgprs: 0
; NumVgprs: 0
; ScratchSize: 0
; MemoryBound: 0
; FloatMode: 240
; IeeeMode: 1
; LDSByteSize: 0 bytes/workgroup (compile time only)
; SGPRBlocks: 0
; VGPRBlocks: 0
; NumSGPRsForWavesPerEU: 1
; NumVGPRsForWavesPerEU: 1
; NamedBarCnt: 0
; Occupancy: 16
; WaveLimiterHint : 0
; COMPUTE_PGM_RSRC2:SCRATCH_EN: 0
; COMPUTE_PGM_RSRC2:USER_SGPR: 2
; COMPUTE_PGM_RSRC2:TRAP_HANDLER: 0
; COMPUTE_PGM_RSRC2:TGID_X_EN: 1
; COMPUTE_PGM_RSRC2:TGID_Y_EN: 0
; COMPUTE_PGM_RSRC2:TGID_Z_EN: 0
; COMPUTE_PGM_RSRC2:TIDIG_COMP_CNT: 0
	.section	.text._ZN7rocprim17ROCPRIM_400000_NS6detail17trampoline_kernelINS0_14default_configENS1_38merge_sort_block_merge_config_selectorIbNS0_10empty_typeEEEZZNS1_27merge_sort_block_merge_implIS3_PbPS5_jNS1_19radix_merge_compareILb0ELb1EbNS0_19identity_decomposerEEEEE10hipError_tT0_T1_T2_jT3_P12ihipStream_tbPNSt15iterator_traitsISE_E10value_typeEPNSK_ISF_E10value_typeEPSG_NS1_7vsmem_tEENKUlT_SE_SF_SG_E_clIS8_S8_S9_S9_EESD_ST_SE_SF_SG_EUlST_E_NS1_11comp_targetILNS1_3genE2ELNS1_11target_archE906ELNS1_3gpuE6ELNS1_3repE0EEENS1_48merge_mergepath_partition_config_static_selectorELNS0_4arch9wavefront6targetE0EEEvSF_,"axG",@progbits,_ZN7rocprim17ROCPRIM_400000_NS6detail17trampoline_kernelINS0_14default_configENS1_38merge_sort_block_merge_config_selectorIbNS0_10empty_typeEEEZZNS1_27merge_sort_block_merge_implIS3_PbPS5_jNS1_19radix_merge_compareILb0ELb1EbNS0_19identity_decomposerEEEEE10hipError_tT0_T1_T2_jT3_P12ihipStream_tbPNSt15iterator_traitsISE_E10value_typeEPNSK_ISF_E10value_typeEPSG_NS1_7vsmem_tEENKUlT_SE_SF_SG_E_clIS8_S8_S9_S9_EESD_ST_SE_SF_SG_EUlST_E_NS1_11comp_targetILNS1_3genE2ELNS1_11target_archE906ELNS1_3gpuE6ELNS1_3repE0EEENS1_48merge_mergepath_partition_config_static_selectorELNS0_4arch9wavefront6targetE0EEEvSF_,comdat
	.protected	_ZN7rocprim17ROCPRIM_400000_NS6detail17trampoline_kernelINS0_14default_configENS1_38merge_sort_block_merge_config_selectorIbNS0_10empty_typeEEEZZNS1_27merge_sort_block_merge_implIS3_PbPS5_jNS1_19radix_merge_compareILb0ELb1EbNS0_19identity_decomposerEEEEE10hipError_tT0_T1_T2_jT3_P12ihipStream_tbPNSt15iterator_traitsISE_E10value_typeEPNSK_ISF_E10value_typeEPSG_NS1_7vsmem_tEENKUlT_SE_SF_SG_E_clIS8_S8_S9_S9_EESD_ST_SE_SF_SG_EUlST_E_NS1_11comp_targetILNS1_3genE2ELNS1_11target_archE906ELNS1_3gpuE6ELNS1_3repE0EEENS1_48merge_mergepath_partition_config_static_selectorELNS0_4arch9wavefront6targetE0EEEvSF_ ; -- Begin function _ZN7rocprim17ROCPRIM_400000_NS6detail17trampoline_kernelINS0_14default_configENS1_38merge_sort_block_merge_config_selectorIbNS0_10empty_typeEEEZZNS1_27merge_sort_block_merge_implIS3_PbPS5_jNS1_19radix_merge_compareILb0ELb1EbNS0_19identity_decomposerEEEEE10hipError_tT0_T1_T2_jT3_P12ihipStream_tbPNSt15iterator_traitsISE_E10value_typeEPNSK_ISF_E10value_typeEPSG_NS1_7vsmem_tEENKUlT_SE_SF_SG_E_clIS8_S8_S9_S9_EESD_ST_SE_SF_SG_EUlST_E_NS1_11comp_targetILNS1_3genE2ELNS1_11target_archE906ELNS1_3gpuE6ELNS1_3repE0EEENS1_48merge_mergepath_partition_config_static_selectorELNS0_4arch9wavefront6targetE0EEEvSF_
	.globl	_ZN7rocprim17ROCPRIM_400000_NS6detail17trampoline_kernelINS0_14default_configENS1_38merge_sort_block_merge_config_selectorIbNS0_10empty_typeEEEZZNS1_27merge_sort_block_merge_implIS3_PbPS5_jNS1_19radix_merge_compareILb0ELb1EbNS0_19identity_decomposerEEEEE10hipError_tT0_T1_T2_jT3_P12ihipStream_tbPNSt15iterator_traitsISE_E10value_typeEPNSK_ISF_E10value_typeEPSG_NS1_7vsmem_tEENKUlT_SE_SF_SG_E_clIS8_S8_S9_S9_EESD_ST_SE_SF_SG_EUlST_E_NS1_11comp_targetILNS1_3genE2ELNS1_11target_archE906ELNS1_3gpuE6ELNS1_3repE0EEENS1_48merge_mergepath_partition_config_static_selectorELNS0_4arch9wavefront6targetE0EEEvSF_
	.p2align	8
	.type	_ZN7rocprim17ROCPRIM_400000_NS6detail17trampoline_kernelINS0_14default_configENS1_38merge_sort_block_merge_config_selectorIbNS0_10empty_typeEEEZZNS1_27merge_sort_block_merge_implIS3_PbPS5_jNS1_19radix_merge_compareILb0ELb1EbNS0_19identity_decomposerEEEEE10hipError_tT0_T1_T2_jT3_P12ihipStream_tbPNSt15iterator_traitsISE_E10value_typeEPNSK_ISF_E10value_typeEPSG_NS1_7vsmem_tEENKUlT_SE_SF_SG_E_clIS8_S8_S9_S9_EESD_ST_SE_SF_SG_EUlST_E_NS1_11comp_targetILNS1_3genE2ELNS1_11target_archE906ELNS1_3gpuE6ELNS1_3repE0EEENS1_48merge_mergepath_partition_config_static_selectorELNS0_4arch9wavefront6targetE0EEEvSF_,@function
_ZN7rocprim17ROCPRIM_400000_NS6detail17trampoline_kernelINS0_14default_configENS1_38merge_sort_block_merge_config_selectorIbNS0_10empty_typeEEEZZNS1_27merge_sort_block_merge_implIS3_PbPS5_jNS1_19radix_merge_compareILb0ELb1EbNS0_19identity_decomposerEEEEE10hipError_tT0_T1_T2_jT3_P12ihipStream_tbPNSt15iterator_traitsISE_E10value_typeEPNSK_ISF_E10value_typeEPSG_NS1_7vsmem_tEENKUlT_SE_SF_SG_E_clIS8_S8_S9_S9_EESD_ST_SE_SF_SG_EUlST_E_NS1_11comp_targetILNS1_3genE2ELNS1_11target_archE906ELNS1_3gpuE6ELNS1_3repE0EEENS1_48merge_mergepath_partition_config_static_selectorELNS0_4arch9wavefront6targetE0EEEvSF_: ; @_ZN7rocprim17ROCPRIM_400000_NS6detail17trampoline_kernelINS0_14default_configENS1_38merge_sort_block_merge_config_selectorIbNS0_10empty_typeEEEZZNS1_27merge_sort_block_merge_implIS3_PbPS5_jNS1_19radix_merge_compareILb0ELb1EbNS0_19identity_decomposerEEEEE10hipError_tT0_T1_T2_jT3_P12ihipStream_tbPNSt15iterator_traitsISE_E10value_typeEPNSK_ISF_E10value_typeEPSG_NS1_7vsmem_tEENKUlT_SE_SF_SG_E_clIS8_S8_S9_S9_EESD_ST_SE_SF_SG_EUlST_E_NS1_11comp_targetILNS1_3genE2ELNS1_11target_archE906ELNS1_3gpuE6ELNS1_3repE0EEENS1_48merge_mergepath_partition_config_static_selectorELNS0_4arch9wavefront6targetE0EEEvSF_
; %bb.0:
	.section	.rodata,"a",@progbits
	.p2align	6, 0x0
	.amdhsa_kernel _ZN7rocprim17ROCPRIM_400000_NS6detail17trampoline_kernelINS0_14default_configENS1_38merge_sort_block_merge_config_selectorIbNS0_10empty_typeEEEZZNS1_27merge_sort_block_merge_implIS3_PbPS5_jNS1_19radix_merge_compareILb0ELb1EbNS0_19identity_decomposerEEEEE10hipError_tT0_T1_T2_jT3_P12ihipStream_tbPNSt15iterator_traitsISE_E10value_typeEPNSK_ISF_E10value_typeEPSG_NS1_7vsmem_tEENKUlT_SE_SF_SG_E_clIS8_S8_S9_S9_EESD_ST_SE_SF_SG_EUlST_E_NS1_11comp_targetILNS1_3genE2ELNS1_11target_archE906ELNS1_3gpuE6ELNS1_3repE0EEENS1_48merge_mergepath_partition_config_static_selectorELNS0_4arch9wavefront6targetE0EEEvSF_
		.amdhsa_group_segment_fixed_size 0
		.amdhsa_private_segment_fixed_size 0
		.amdhsa_kernarg_size 40
		.amdhsa_user_sgpr_count 2
		.amdhsa_user_sgpr_dispatch_ptr 0
		.amdhsa_user_sgpr_queue_ptr 0
		.amdhsa_user_sgpr_kernarg_segment_ptr 1
		.amdhsa_user_sgpr_dispatch_id 0
		.amdhsa_user_sgpr_kernarg_preload_length 0
		.amdhsa_user_sgpr_kernarg_preload_offset 0
		.amdhsa_user_sgpr_private_segment_size 0
		.amdhsa_wavefront_size32 1
		.amdhsa_uses_dynamic_stack 0
		.amdhsa_enable_private_segment 0
		.amdhsa_system_sgpr_workgroup_id_x 1
		.amdhsa_system_sgpr_workgroup_id_y 0
		.amdhsa_system_sgpr_workgroup_id_z 0
		.amdhsa_system_sgpr_workgroup_info 0
		.amdhsa_system_vgpr_workitem_id 0
		.amdhsa_next_free_vgpr 1
		.amdhsa_next_free_sgpr 1
		.amdhsa_named_barrier_count 0
		.amdhsa_reserve_vcc 0
		.amdhsa_float_round_mode_32 0
		.amdhsa_float_round_mode_16_64 0
		.amdhsa_float_denorm_mode_32 3
		.amdhsa_float_denorm_mode_16_64 3
		.amdhsa_fp16_overflow 0
		.amdhsa_memory_ordered 1
		.amdhsa_forward_progress 1
		.amdhsa_inst_pref_size 0
		.amdhsa_round_robin_scheduling 0
		.amdhsa_exception_fp_ieee_invalid_op 0
		.amdhsa_exception_fp_denorm_src 0
		.amdhsa_exception_fp_ieee_div_zero 0
		.amdhsa_exception_fp_ieee_overflow 0
		.amdhsa_exception_fp_ieee_underflow 0
		.amdhsa_exception_fp_ieee_inexact 0
		.amdhsa_exception_int_div_zero 0
	.end_amdhsa_kernel
	.section	.text._ZN7rocprim17ROCPRIM_400000_NS6detail17trampoline_kernelINS0_14default_configENS1_38merge_sort_block_merge_config_selectorIbNS0_10empty_typeEEEZZNS1_27merge_sort_block_merge_implIS3_PbPS5_jNS1_19radix_merge_compareILb0ELb1EbNS0_19identity_decomposerEEEEE10hipError_tT0_T1_T2_jT3_P12ihipStream_tbPNSt15iterator_traitsISE_E10value_typeEPNSK_ISF_E10value_typeEPSG_NS1_7vsmem_tEENKUlT_SE_SF_SG_E_clIS8_S8_S9_S9_EESD_ST_SE_SF_SG_EUlST_E_NS1_11comp_targetILNS1_3genE2ELNS1_11target_archE906ELNS1_3gpuE6ELNS1_3repE0EEENS1_48merge_mergepath_partition_config_static_selectorELNS0_4arch9wavefront6targetE0EEEvSF_,"axG",@progbits,_ZN7rocprim17ROCPRIM_400000_NS6detail17trampoline_kernelINS0_14default_configENS1_38merge_sort_block_merge_config_selectorIbNS0_10empty_typeEEEZZNS1_27merge_sort_block_merge_implIS3_PbPS5_jNS1_19radix_merge_compareILb0ELb1EbNS0_19identity_decomposerEEEEE10hipError_tT0_T1_T2_jT3_P12ihipStream_tbPNSt15iterator_traitsISE_E10value_typeEPNSK_ISF_E10value_typeEPSG_NS1_7vsmem_tEENKUlT_SE_SF_SG_E_clIS8_S8_S9_S9_EESD_ST_SE_SF_SG_EUlST_E_NS1_11comp_targetILNS1_3genE2ELNS1_11target_archE906ELNS1_3gpuE6ELNS1_3repE0EEENS1_48merge_mergepath_partition_config_static_selectorELNS0_4arch9wavefront6targetE0EEEvSF_,comdat
.Lfunc_end1815:
	.size	_ZN7rocprim17ROCPRIM_400000_NS6detail17trampoline_kernelINS0_14default_configENS1_38merge_sort_block_merge_config_selectorIbNS0_10empty_typeEEEZZNS1_27merge_sort_block_merge_implIS3_PbPS5_jNS1_19radix_merge_compareILb0ELb1EbNS0_19identity_decomposerEEEEE10hipError_tT0_T1_T2_jT3_P12ihipStream_tbPNSt15iterator_traitsISE_E10value_typeEPNSK_ISF_E10value_typeEPSG_NS1_7vsmem_tEENKUlT_SE_SF_SG_E_clIS8_S8_S9_S9_EESD_ST_SE_SF_SG_EUlST_E_NS1_11comp_targetILNS1_3genE2ELNS1_11target_archE906ELNS1_3gpuE6ELNS1_3repE0EEENS1_48merge_mergepath_partition_config_static_selectorELNS0_4arch9wavefront6targetE0EEEvSF_, .Lfunc_end1815-_ZN7rocprim17ROCPRIM_400000_NS6detail17trampoline_kernelINS0_14default_configENS1_38merge_sort_block_merge_config_selectorIbNS0_10empty_typeEEEZZNS1_27merge_sort_block_merge_implIS3_PbPS5_jNS1_19radix_merge_compareILb0ELb1EbNS0_19identity_decomposerEEEEE10hipError_tT0_T1_T2_jT3_P12ihipStream_tbPNSt15iterator_traitsISE_E10value_typeEPNSK_ISF_E10value_typeEPSG_NS1_7vsmem_tEENKUlT_SE_SF_SG_E_clIS8_S8_S9_S9_EESD_ST_SE_SF_SG_EUlST_E_NS1_11comp_targetILNS1_3genE2ELNS1_11target_archE906ELNS1_3gpuE6ELNS1_3repE0EEENS1_48merge_mergepath_partition_config_static_selectorELNS0_4arch9wavefront6targetE0EEEvSF_
                                        ; -- End function
	.set _ZN7rocprim17ROCPRIM_400000_NS6detail17trampoline_kernelINS0_14default_configENS1_38merge_sort_block_merge_config_selectorIbNS0_10empty_typeEEEZZNS1_27merge_sort_block_merge_implIS3_PbPS5_jNS1_19radix_merge_compareILb0ELb1EbNS0_19identity_decomposerEEEEE10hipError_tT0_T1_T2_jT3_P12ihipStream_tbPNSt15iterator_traitsISE_E10value_typeEPNSK_ISF_E10value_typeEPSG_NS1_7vsmem_tEENKUlT_SE_SF_SG_E_clIS8_S8_S9_S9_EESD_ST_SE_SF_SG_EUlST_E_NS1_11comp_targetILNS1_3genE2ELNS1_11target_archE906ELNS1_3gpuE6ELNS1_3repE0EEENS1_48merge_mergepath_partition_config_static_selectorELNS0_4arch9wavefront6targetE0EEEvSF_.num_vgpr, 0
	.set _ZN7rocprim17ROCPRIM_400000_NS6detail17trampoline_kernelINS0_14default_configENS1_38merge_sort_block_merge_config_selectorIbNS0_10empty_typeEEEZZNS1_27merge_sort_block_merge_implIS3_PbPS5_jNS1_19radix_merge_compareILb0ELb1EbNS0_19identity_decomposerEEEEE10hipError_tT0_T1_T2_jT3_P12ihipStream_tbPNSt15iterator_traitsISE_E10value_typeEPNSK_ISF_E10value_typeEPSG_NS1_7vsmem_tEENKUlT_SE_SF_SG_E_clIS8_S8_S9_S9_EESD_ST_SE_SF_SG_EUlST_E_NS1_11comp_targetILNS1_3genE2ELNS1_11target_archE906ELNS1_3gpuE6ELNS1_3repE0EEENS1_48merge_mergepath_partition_config_static_selectorELNS0_4arch9wavefront6targetE0EEEvSF_.num_agpr, 0
	.set _ZN7rocprim17ROCPRIM_400000_NS6detail17trampoline_kernelINS0_14default_configENS1_38merge_sort_block_merge_config_selectorIbNS0_10empty_typeEEEZZNS1_27merge_sort_block_merge_implIS3_PbPS5_jNS1_19radix_merge_compareILb0ELb1EbNS0_19identity_decomposerEEEEE10hipError_tT0_T1_T2_jT3_P12ihipStream_tbPNSt15iterator_traitsISE_E10value_typeEPNSK_ISF_E10value_typeEPSG_NS1_7vsmem_tEENKUlT_SE_SF_SG_E_clIS8_S8_S9_S9_EESD_ST_SE_SF_SG_EUlST_E_NS1_11comp_targetILNS1_3genE2ELNS1_11target_archE906ELNS1_3gpuE6ELNS1_3repE0EEENS1_48merge_mergepath_partition_config_static_selectorELNS0_4arch9wavefront6targetE0EEEvSF_.numbered_sgpr, 0
	.set _ZN7rocprim17ROCPRIM_400000_NS6detail17trampoline_kernelINS0_14default_configENS1_38merge_sort_block_merge_config_selectorIbNS0_10empty_typeEEEZZNS1_27merge_sort_block_merge_implIS3_PbPS5_jNS1_19radix_merge_compareILb0ELb1EbNS0_19identity_decomposerEEEEE10hipError_tT0_T1_T2_jT3_P12ihipStream_tbPNSt15iterator_traitsISE_E10value_typeEPNSK_ISF_E10value_typeEPSG_NS1_7vsmem_tEENKUlT_SE_SF_SG_E_clIS8_S8_S9_S9_EESD_ST_SE_SF_SG_EUlST_E_NS1_11comp_targetILNS1_3genE2ELNS1_11target_archE906ELNS1_3gpuE6ELNS1_3repE0EEENS1_48merge_mergepath_partition_config_static_selectorELNS0_4arch9wavefront6targetE0EEEvSF_.num_named_barrier, 0
	.set _ZN7rocprim17ROCPRIM_400000_NS6detail17trampoline_kernelINS0_14default_configENS1_38merge_sort_block_merge_config_selectorIbNS0_10empty_typeEEEZZNS1_27merge_sort_block_merge_implIS3_PbPS5_jNS1_19radix_merge_compareILb0ELb1EbNS0_19identity_decomposerEEEEE10hipError_tT0_T1_T2_jT3_P12ihipStream_tbPNSt15iterator_traitsISE_E10value_typeEPNSK_ISF_E10value_typeEPSG_NS1_7vsmem_tEENKUlT_SE_SF_SG_E_clIS8_S8_S9_S9_EESD_ST_SE_SF_SG_EUlST_E_NS1_11comp_targetILNS1_3genE2ELNS1_11target_archE906ELNS1_3gpuE6ELNS1_3repE0EEENS1_48merge_mergepath_partition_config_static_selectorELNS0_4arch9wavefront6targetE0EEEvSF_.private_seg_size, 0
	.set _ZN7rocprim17ROCPRIM_400000_NS6detail17trampoline_kernelINS0_14default_configENS1_38merge_sort_block_merge_config_selectorIbNS0_10empty_typeEEEZZNS1_27merge_sort_block_merge_implIS3_PbPS5_jNS1_19radix_merge_compareILb0ELb1EbNS0_19identity_decomposerEEEEE10hipError_tT0_T1_T2_jT3_P12ihipStream_tbPNSt15iterator_traitsISE_E10value_typeEPNSK_ISF_E10value_typeEPSG_NS1_7vsmem_tEENKUlT_SE_SF_SG_E_clIS8_S8_S9_S9_EESD_ST_SE_SF_SG_EUlST_E_NS1_11comp_targetILNS1_3genE2ELNS1_11target_archE906ELNS1_3gpuE6ELNS1_3repE0EEENS1_48merge_mergepath_partition_config_static_selectorELNS0_4arch9wavefront6targetE0EEEvSF_.uses_vcc, 0
	.set _ZN7rocprim17ROCPRIM_400000_NS6detail17trampoline_kernelINS0_14default_configENS1_38merge_sort_block_merge_config_selectorIbNS0_10empty_typeEEEZZNS1_27merge_sort_block_merge_implIS3_PbPS5_jNS1_19radix_merge_compareILb0ELb1EbNS0_19identity_decomposerEEEEE10hipError_tT0_T1_T2_jT3_P12ihipStream_tbPNSt15iterator_traitsISE_E10value_typeEPNSK_ISF_E10value_typeEPSG_NS1_7vsmem_tEENKUlT_SE_SF_SG_E_clIS8_S8_S9_S9_EESD_ST_SE_SF_SG_EUlST_E_NS1_11comp_targetILNS1_3genE2ELNS1_11target_archE906ELNS1_3gpuE6ELNS1_3repE0EEENS1_48merge_mergepath_partition_config_static_selectorELNS0_4arch9wavefront6targetE0EEEvSF_.uses_flat_scratch, 0
	.set _ZN7rocprim17ROCPRIM_400000_NS6detail17trampoline_kernelINS0_14default_configENS1_38merge_sort_block_merge_config_selectorIbNS0_10empty_typeEEEZZNS1_27merge_sort_block_merge_implIS3_PbPS5_jNS1_19radix_merge_compareILb0ELb1EbNS0_19identity_decomposerEEEEE10hipError_tT0_T1_T2_jT3_P12ihipStream_tbPNSt15iterator_traitsISE_E10value_typeEPNSK_ISF_E10value_typeEPSG_NS1_7vsmem_tEENKUlT_SE_SF_SG_E_clIS8_S8_S9_S9_EESD_ST_SE_SF_SG_EUlST_E_NS1_11comp_targetILNS1_3genE2ELNS1_11target_archE906ELNS1_3gpuE6ELNS1_3repE0EEENS1_48merge_mergepath_partition_config_static_selectorELNS0_4arch9wavefront6targetE0EEEvSF_.has_dyn_sized_stack, 0
	.set _ZN7rocprim17ROCPRIM_400000_NS6detail17trampoline_kernelINS0_14default_configENS1_38merge_sort_block_merge_config_selectorIbNS0_10empty_typeEEEZZNS1_27merge_sort_block_merge_implIS3_PbPS5_jNS1_19radix_merge_compareILb0ELb1EbNS0_19identity_decomposerEEEEE10hipError_tT0_T1_T2_jT3_P12ihipStream_tbPNSt15iterator_traitsISE_E10value_typeEPNSK_ISF_E10value_typeEPSG_NS1_7vsmem_tEENKUlT_SE_SF_SG_E_clIS8_S8_S9_S9_EESD_ST_SE_SF_SG_EUlST_E_NS1_11comp_targetILNS1_3genE2ELNS1_11target_archE906ELNS1_3gpuE6ELNS1_3repE0EEENS1_48merge_mergepath_partition_config_static_selectorELNS0_4arch9wavefront6targetE0EEEvSF_.has_recursion, 0
	.set _ZN7rocprim17ROCPRIM_400000_NS6detail17trampoline_kernelINS0_14default_configENS1_38merge_sort_block_merge_config_selectorIbNS0_10empty_typeEEEZZNS1_27merge_sort_block_merge_implIS3_PbPS5_jNS1_19radix_merge_compareILb0ELb1EbNS0_19identity_decomposerEEEEE10hipError_tT0_T1_T2_jT3_P12ihipStream_tbPNSt15iterator_traitsISE_E10value_typeEPNSK_ISF_E10value_typeEPSG_NS1_7vsmem_tEENKUlT_SE_SF_SG_E_clIS8_S8_S9_S9_EESD_ST_SE_SF_SG_EUlST_E_NS1_11comp_targetILNS1_3genE2ELNS1_11target_archE906ELNS1_3gpuE6ELNS1_3repE0EEENS1_48merge_mergepath_partition_config_static_selectorELNS0_4arch9wavefront6targetE0EEEvSF_.has_indirect_call, 0
	.section	.AMDGPU.csdata,"",@progbits
; Kernel info:
; codeLenInByte = 0
; TotalNumSgprs: 0
; NumVgprs: 0
; ScratchSize: 0
; MemoryBound: 0
; FloatMode: 240
; IeeeMode: 1
; LDSByteSize: 0 bytes/workgroup (compile time only)
; SGPRBlocks: 0
; VGPRBlocks: 0
; NumSGPRsForWavesPerEU: 1
; NumVGPRsForWavesPerEU: 1
; NamedBarCnt: 0
; Occupancy: 16
; WaveLimiterHint : 0
; COMPUTE_PGM_RSRC2:SCRATCH_EN: 0
; COMPUTE_PGM_RSRC2:USER_SGPR: 2
; COMPUTE_PGM_RSRC2:TRAP_HANDLER: 0
; COMPUTE_PGM_RSRC2:TGID_X_EN: 1
; COMPUTE_PGM_RSRC2:TGID_Y_EN: 0
; COMPUTE_PGM_RSRC2:TGID_Z_EN: 0
; COMPUTE_PGM_RSRC2:TIDIG_COMP_CNT: 0
	.section	.text._ZN7rocprim17ROCPRIM_400000_NS6detail17trampoline_kernelINS0_14default_configENS1_38merge_sort_block_merge_config_selectorIbNS0_10empty_typeEEEZZNS1_27merge_sort_block_merge_implIS3_PbPS5_jNS1_19radix_merge_compareILb0ELb1EbNS0_19identity_decomposerEEEEE10hipError_tT0_T1_T2_jT3_P12ihipStream_tbPNSt15iterator_traitsISE_E10value_typeEPNSK_ISF_E10value_typeEPSG_NS1_7vsmem_tEENKUlT_SE_SF_SG_E_clIS8_S8_S9_S9_EESD_ST_SE_SF_SG_EUlST_E_NS1_11comp_targetILNS1_3genE9ELNS1_11target_archE1100ELNS1_3gpuE3ELNS1_3repE0EEENS1_48merge_mergepath_partition_config_static_selectorELNS0_4arch9wavefront6targetE0EEEvSF_,"axG",@progbits,_ZN7rocprim17ROCPRIM_400000_NS6detail17trampoline_kernelINS0_14default_configENS1_38merge_sort_block_merge_config_selectorIbNS0_10empty_typeEEEZZNS1_27merge_sort_block_merge_implIS3_PbPS5_jNS1_19radix_merge_compareILb0ELb1EbNS0_19identity_decomposerEEEEE10hipError_tT0_T1_T2_jT3_P12ihipStream_tbPNSt15iterator_traitsISE_E10value_typeEPNSK_ISF_E10value_typeEPSG_NS1_7vsmem_tEENKUlT_SE_SF_SG_E_clIS8_S8_S9_S9_EESD_ST_SE_SF_SG_EUlST_E_NS1_11comp_targetILNS1_3genE9ELNS1_11target_archE1100ELNS1_3gpuE3ELNS1_3repE0EEENS1_48merge_mergepath_partition_config_static_selectorELNS0_4arch9wavefront6targetE0EEEvSF_,comdat
	.protected	_ZN7rocprim17ROCPRIM_400000_NS6detail17trampoline_kernelINS0_14default_configENS1_38merge_sort_block_merge_config_selectorIbNS0_10empty_typeEEEZZNS1_27merge_sort_block_merge_implIS3_PbPS5_jNS1_19radix_merge_compareILb0ELb1EbNS0_19identity_decomposerEEEEE10hipError_tT0_T1_T2_jT3_P12ihipStream_tbPNSt15iterator_traitsISE_E10value_typeEPNSK_ISF_E10value_typeEPSG_NS1_7vsmem_tEENKUlT_SE_SF_SG_E_clIS8_S8_S9_S9_EESD_ST_SE_SF_SG_EUlST_E_NS1_11comp_targetILNS1_3genE9ELNS1_11target_archE1100ELNS1_3gpuE3ELNS1_3repE0EEENS1_48merge_mergepath_partition_config_static_selectorELNS0_4arch9wavefront6targetE0EEEvSF_ ; -- Begin function _ZN7rocprim17ROCPRIM_400000_NS6detail17trampoline_kernelINS0_14default_configENS1_38merge_sort_block_merge_config_selectorIbNS0_10empty_typeEEEZZNS1_27merge_sort_block_merge_implIS3_PbPS5_jNS1_19radix_merge_compareILb0ELb1EbNS0_19identity_decomposerEEEEE10hipError_tT0_T1_T2_jT3_P12ihipStream_tbPNSt15iterator_traitsISE_E10value_typeEPNSK_ISF_E10value_typeEPSG_NS1_7vsmem_tEENKUlT_SE_SF_SG_E_clIS8_S8_S9_S9_EESD_ST_SE_SF_SG_EUlST_E_NS1_11comp_targetILNS1_3genE9ELNS1_11target_archE1100ELNS1_3gpuE3ELNS1_3repE0EEENS1_48merge_mergepath_partition_config_static_selectorELNS0_4arch9wavefront6targetE0EEEvSF_
	.globl	_ZN7rocprim17ROCPRIM_400000_NS6detail17trampoline_kernelINS0_14default_configENS1_38merge_sort_block_merge_config_selectorIbNS0_10empty_typeEEEZZNS1_27merge_sort_block_merge_implIS3_PbPS5_jNS1_19radix_merge_compareILb0ELb1EbNS0_19identity_decomposerEEEEE10hipError_tT0_T1_T2_jT3_P12ihipStream_tbPNSt15iterator_traitsISE_E10value_typeEPNSK_ISF_E10value_typeEPSG_NS1_7vsmem_tEENKUlT_SE_SF_SG_E_clIS8_S8_S9_S9_EESD_ST_SE_SF_SG_EUlST_E_NS1_11comp_targetILNS1_3genE9ELNS1_11target_archE1100ELNS1_3gpuE3ELNS1_3repE0EEENS1_48merge_mergepath_partition_config_static_selectorELNS0_4arch9wavefront6targetE0EEEvSF_
	.p2align	8
	.type	_ZN7rocprim17ROCPRIM_400000_NS6detail17trampoline_kernelINS0_14default_configENS1_38merge_sort_block_merge_config_selectorIbNS0_10empty_typeEEEZZNS1_27merge_sort_block_merge_implIS3_PbPS5_jNS1_19radix_merge_compareILb0ELb1EbNS0_19identity_decomposerEEEEE10hipError_tT0_T1_T2_jT3_P12ihipStream_tbPNSt15iterator_traitsISE_E10value_typeEPNSK_ISF_E10value_typeEPSG_NS1_7vsmem_tEENKUlT_SE_SF_SG_E_clIS8_S8_S9_S9_EESD_ST_SE_SF_SG_EUlST_E_NS1_11comp_targetILNS1_3genE9ELNS1_11target_archE1100ELNS1_3gpuE3ELNS1_3repE0EEENS1_48merge_mergepath_partition_config_static_selectorELNS0_4arch9wavefront6targetE0EEEvSF_,@function
_ZN7rocprim17ROCPRIM_400000_NS6detail17trampoline_kernelINS0_14default_configENS1_38merge_sort_block_merge_config_selectorIbNS0_10empty_typeEEEZZNS1_27merge_sort_block_merge_implIS3_PbPS5_jNS1_19radix_merge_compareILb0ELb1EbNS0_19identity_decomposerEEEEE10hipError_tT0_T1_T2_jT3_P12ihipStream_tbPNSt15iterator_traitsISE_E10value_typeEPNSK_ISF_E10value_typeEPSG_NS1_7vsmem_tEENKUlT_SE_SF_SG_E_clIS8_S8_S9_S9_EESD_ST_SE_SF_SG_EUlST_E_NS1_11comp_targetILNS1_3genE9ELNS1_11target_archE1100ELNS1_3gpuE3ELNS1_3repE0EEENS1_48merge_mergepath_partition_config_static_selectorELNS0_4arch9wavefront6targetE0EEEvSF_: ; @_ZN7rocprim17ROCPRIM_400000_NS6detail17trampoline_kernelINS0_14default_configENS1_38merge_sort_block_merge_config_selectorIbNS0_10empty_typeEEEZZNS1_27merge_sort_block_merge_implIS3_PbPS5_jNS1_19radix_merge_compareILb0ELb1EbNS0_19identity_decomposerEEEEE10hipError_tT0_T1_T2_jT3_P12ihipStream_tbPNSt15iterator_traitsISE_E10value_typeEPNSK_ISF_E10value_typeEPSG_NS1_7vsmem_tEENKUlT_SE_SF_SG_E_clIS8_S8_S9_S9_EESD_ST_SE_SF_SG_EUlST_E_NS1_11comp_targetILNS1_3genE9ELNS1_11target_archE1100ELNS1_3gpuE3ELNS1_3repE0EEENS1_48merge_mergepath_partition_config_static_selectorELNS0_4arch9wavefront6targetE0EEEvSF_
; %bb.0:
	.section	.rodata,"a",@progbits
	.p2align	6, 0x0
	.amdhsa_kernel _ZN7rocprim17ROCPRIM_400000_NS6detail17trampoline_kernelINS0_14default_configENS1_38merge_sort_block_merge_config_selectorIbNS0_10empty_typeEEEZZNS1_27merge_sort_block_merge_implIS3_PbPS5_jNS1_19radix_merge_compareILb0ELb1EbNS0_19identity_decomposerEEEEE10hipError_tT0_T1_T2_jT3_P12ihipStream_tbPNSt15iterator_traitsISE_E10value_typeEPNSK_ISF_E10value_typeEPSG_NS1_7vsmem_tEENKUlT_SE_SF_SG_E_clIS8_S8_S9_S9_EESD_ST_SE_SF_SG_EUlST_E_NS1_11comp_targetILNS1_3genE9ELNS1_11target_archE1100ELNS1_3gpuE3ELNS1_3repE0EEENS1_48merge_mergepath_partition_config_static_selectorELNS0_4arch9wavefront6targetE0EEEvSF_
		.amdhsa_group_segment_fixed_size 0
		.amdhsa_private_segment_fixed_size 0
		.amdhsa_kernarg_size 40
		.amdhsa_user_sgpr_count 2
		.amdhsa_user_sgpr_dispatch_ptr 0
		.amdhsa_user_sgpr_queue_ptr 0
		.amdhsa_user_sgpr_kernarg_segment_ptr 1
		.amdhsa_user_sgpr_dispatch_id 0
		.amdhsa_user_sgpr_kernarg_preload_length 0
		.amdhsa_user_sgpr_kernarg_preload_offset 0
		.amdhsa_user_sgpr_private_segment_size 0
		.amdhsa_wavefront_size32 1
		.amdhsa_uses_dynamic_stack 0
		.amdhsa_enable_private_segment 0
		.amdhsa_system_sgpr_workgroup_id_x 1
		.amdhsa_system_sgpr_workgroup_id_y 0
		.amdhsa_system_sgpr_workgroup_id_z 0
		.amdhsa_system_sgpr_workgroup_info 0
		.amdhsa_system_vgpr_workitem_id 0
		.amdhsa_next_free_vgpr 1
		.amdhsa_next_free_sgpr 1
		.amdhsa_named_barrier_count 0
		.amdhsa_reserve_vcc 0
		.amdhsa_float_round_mode_32 0
		.amdhsa_float_round_mode_16_64 0
		.amdhsa_float_denorm_mode_32 3
		.amdhsa_float_denorm_mode_16_64 3
		.amdhsa_fp16_overflow 0
		.amdhsa_memory_ordered 1
		.amdhsa_forward_progress 1
		.amdhsa_inst_pref_size 0
		.amdhsa_round_robin_scheduling 0
		.amdhsa_exception_fp_ieee_invalid_op 0
		.amdhsa_exception_fp_denorm_src 0
		.amdhsa_exception_fp_ieee_div_zero 0
		.amdhsa_exception_fp_ieee_overflow 0
		.amdhsa_exception_fp_ieee_underflow 0
		.amdhsa_exception_fp_ieee_inexact 0
		.amdhsa_exception_int_div_zero 0
	.end_amdhsa_kernel
	.section	.text._ZN7rocprim17ROCPRIM_400000_NS6detail17trampoline_kernelINS0_14default_configENS1_38merge_sort_block_merge_config_selectorIbNS0_10empty_typeEEEZZNS1_27merge_sort_block_merge_implIS3_PbPS5_jNS1_19radix_merge_compareILb0ELb1EbNS0_19identity_decomposerEEEEE10hipError_tT0_T1_T2_jT3_P12ihipStream_tbPNSt15iterator_traitsISE_E10value_typeEPNSK_ISF_E10value_typeEPSG_NS1_7vsmem_tEENKUlT_SE_SF_SG_E_clIS8_S8_S9_S9_EESD_ST_SE_SF_SG_EUlST_E_NS1_11comp_targetILNS1_3genE9ELNS1_11target_archE1100ELNS1_3gpuE3ELNS1_3repE0EEENS1_48merge_mergepath_partition_config_static_selectorELNS0_4arch9wavefront6targetE0EEEvSF_,"axG",@progbits,_ZN7rocprim17ROCPRIM_400000_NS6detail17trampoline_kernelINS0_14default_configENS1_38merge_sort_block_merge_config_selectorIbNS0_10empty_typeEEEZZNS1_27merge_sort_block_merge_implIS3_PbPS5_jNS1_19radix_merge_compareILb0ELb1EbNS0_19identity_decomposerEEEEE10hipError_tT0_T1_T2_jT3_P12ihipStream_tbPNSt15iterator_traitsISE_E10value_typeEPNSK_ISF_E10value_typeEPSG_NS1_7vsmem_tEENKUlT_SE_SF_SG_E_clIS8_S8_S9_S9_EESD_ST_SE_SF_SG_EUlST_E_NS1_11comp_targetILNS1_3genE9ELNS1_11target_archE1100ELNS1_3gpuE3ELNS1_3repE0EEENS1_48merge_mergepath_partition_config_static_selectorELNS0_4arch9wavefront6targetE0EEEvSF_,comdat
.Lfunc_end1816:
	.size	_ZN7rocprim17ROCPRIM_400000_NS6detail17trampoline_kernelINS0_14default_configENS1_38merge_sort_block_merge_config_selectorIbNS0_10empty_typeEEEZZNS1_27merge_sort_block_merge_implIS3_PbPS5_jNS1_19radix_merge_compareILb0ELb1EbNS0_19identity_decomposerEEEEE10hipError_tT0_T1_T2_jT3_P12ihipStream_tbPNSt15iterator_traitsISE_E10value_typeEPNSK_ISF_E10value_typeEPSG_NS1_7vsmem_tEENKUlT_SE_SF_SG_E_clIS8_S8_S9_S9_EESD_ST_SE_SF_SG_EUlST_E_NS1_11comp_targetILNS1_3genE9ELNS1_11target_archE1100ELNS1_3gpuE3ELNS1_3repE0EEENS1_48merge_mergepath_partition_config_static_selectorELNS0_4arch9wavefront6targetE0EEEvSF_, .Lfunc_end1816-_ZN7rocprim17ROCPRIM_400000_NS6detail17trampoline_kernelINS0_14default_configENS1_38merge_sort_block_merge_config_selectorIbNS0_10empty_typeEEEZZNS1_27merge_sort_block_merge_implIS3_PbPS5_jNS1_19radix_merge_compareILb0ELb1EbNS0_19identity_decomposerEEEEE10hipError_tT0_T1_T2_jT3_P12ihipStream_tbPNSt15iterator_traitsISE_E10value_typeEPNSK_ISF_E10value_typeEPSG_NS1_7vsmem_tEENKUlT_SE_SF_SG_E_clIS8_S8_S9_S9_EESD_ST_SE_SF_SG_EUlST_E_NS1_11comp_targetILNS1_3genE9ELNS1_11target_archE1100ELNS1_3gpuE3ELNS1_3repE0EEENS1_48merge_mergepath_partition_config_static_selectorELNS0_4arch9wavefront6targetE0EEEvSF_
                                        ; -- End function
	.set _ZN7rocprim17ROCPRIM_400000_NS6detail17trampoline_kernelINS0_14default_configENS1_38merge_sort_block_merge_config_selectorIbNS0_10empty_typeEEEZZNS1_27merge_sort_block_merge_implIS3_PbPS5_jNS1_19radix_merge_compareILb0ELb1EbNS0_19identity_decomposerEEEEE10hipError_tT0_T1_T2_jT3_P12ihipStream_tbPNSt15iterator_traitsISE_E10value_typeEPNSK_ISF_E10value_typeEPSG_NS1_7vsmem_tEENKUlT_SE_SF_SG_E_clIS8_S8_S9_S9_EESD_ST_SE_SF_SG_EUlST_E_NS1_11comp_targetILNS1_3genE9ELNS1_11target_archE1100ELNS1_3gpuE3ELNS1_3repE0EEENS1_48merge_mergepath_partition_config_static_selectorELNS0_4arch9wavefront6targetE0EEEvSF_.num_vgpr, 0
	.set _ZN7rocprim17ROCPRIM_400000_NS6detail17trampoline_kernelINS0_14default_configENS1_38merge_sort_block_merge_config_selectorIbNS0_10empty_typeEEEZZNS1_27merge_sort_block_merge_implIS3_PbPS5_jNS1_19radix_merge_compareILb0ELb1EbNS0_19identity_decomposerEEEEE10hipError_tT0_T1_T2_jT3_P12ihipStream_tbPNSt15iterator_traitsISE_E10value_typeEPNSK_ISF_E10value_typeEPSG_NS1_7vsmem_tEENKUlT_SE_SF_SG_E_clIS8_S8_S9_S9_EESD_ST_SE_SF_SG_EUlST_E_NS1_11comp_targetILNS1_3genE9ELNS1_11target_archE1100ELNS1_3gpuE3ELNS1_3repE0EEENS1_48merge_mergepath_partition_config_static_selectorELNS0_4arch9wavefront6targetE0EEEvSF_.num_agpr, 0
	.set _ZN7rocprim17ROCPRIM_400000_NS6detail17trampoline_kernelINS0_14default_configENS1_38merge_sort_block_merge_config_selectorIbNS0_10empty_typeEEEZZNS1_27merge_sort_block_merge_implIS3_PbPS5_jNS1_19radix_merge_compareILb0ELb1EbNS0_19identity_decomposerEEEEE10hipError_tT0_T1_T2_jT3_P12ihipStream_tbPNSt15iterator_traitsISE_E10value_typeEPNSK_ISF_E10value_typeEPSG_NS1_7vsmem_tEENKUlT_SE_SF_SG_E_clIS8_S8_S9_S9_EESD_ST_SE_SF_SG_EUlST_E_NS1_11comp_targetILNS1_3genE9ELNS1_11target_archE1100ELNS1_3gpuE3ELNS1_3repE0EEENS1_48merge_mergepath_partition_config_static_selectorELNS0_4arch9wavefront6targetE0EEEvSF_.numbered_sgpr, 0
	.set _ZN7rocprim17ROCPRIM_400000_NS6detail17trampoline_kernelINS0_14default_configENS1_38merge_sort_block_merge_config_selectorIbNS0_10empty_typeEEEZZNS1_27merge_sort_block_merge_implIS3_PbPS5_jNS1_19radix_merge_compareILb0ELb1EbNS0_19identity_decomposerEEEEE10hipError_tT0_T1_T2_jT3_P12ihipStream_tbPNSt15iterator_traitsISE_E10value_typeEPNSK_ISF_E10value_typeEPSG_NS1_7vsmem_tEENKUlT_SE_SF_SG_E_clIS8_S8_S9_S9_EESD_ST_SE_SF_SG_EUlST_E_NS1_11comp_targetILNS1_3genE9ELNS1_11target_archE1100ELNS1_3gpuE3ELNS1_3repE0EEENS1_48merge_mergepath_partition_config_static_selectorELNS0_4arch9wavefront6targetE0EEEvSF_.num_named_barrier, 0
	.set _ZN7rocprim17ROCPRIM_400000_NS6detail17trampoline_kernelINS0_14default_configENS1_38merge_sort_block_merge_config_selectorIbNS0_10empty_typeEEEZZNS1_27merge_sort_block_merge_implIS3_PbPS5_jNS1_19radix_merge_compareILb0ELb1EbNS0_19identity_decomposerEEEEE10hipError_tT0_T1_T2_jT3_P12ihipStream_tbPNSt15iterator_traitsISE_E10value_typeEPNSK_ISF_E10value_typeEPSG_NS1_7vsmem_tEENKUlT_SE_SF_SG_E_clIS8_S8_S9_S9_EESD_ST_SE_SF_SG_EUlST_E_NS1_11comp_targetILNS1_3genE9ELNS1_11target_archE1100ELNS1_3gpuE3ELNS1_3repE0EEENS1_48merge_mergepath_partition_config_static_selectorELNS0_4arch9wavefront6targetE0EEEvSF_.private_seg_size, 0
	.set _ZN7rocprim17ROCPRIM_400000_NS6detail17trampoline_kernelINS0_14default_configENS1_38merge_sort_block_merge_config_selectorIbNS0_10empty_typeEEEZZNS1_27merge_sort_block_merge_implIS3_PbPS5_jNS1_19radix_merge_compareILb0ELb1EbNS0_19identity_decomposerEEEEE10hipError_tT0_T1_T2_jT3_P12ihipStream_tbPNSt15iterator_traitsISE_E10value_typeEPNSK_ISF_E10value_typeEPSG_NS1_7vsmem_tEENKUlT_SE_SF_SG_E_clIS8_S8_S9_S9_EESD_ST_SE_SF_SG_EUlST_E_NS1_11comp_targetILNS1_3genE9ELNS1_11target_archE1100ELNS1_3gpuE3ELNS1_3repE0EEENS1_48merge_mergepath_partition_config_static_selectorELNS0_4arch9wavefront6targetE0EEEvSF_.uses_vcc, 0
	.set _ZN7rocprim17ROCPRIM_400000_NS6detail17trampoline_kernelINS0_14default_configENS1_38merge_sort_block_merge_config_selectorIbNS0_10empty_typeEEEZZNS1_27merge_sort_block_merge_implIS3_PbPS5_jNS1_19radix_merge_compareILb0ELb1EbNS0_19identity_decomposerEEEEE10hipError_tT0_T1_T2_jT3_P12ihipStream_tbPNSt15iterator_traitsISE_E10value_typeEPNSK_ISF_E10value_typeEPSG_NS1_7vsmem_tEENKUlT_SE_SF_SG_E_clIS8_S8_S9_S9_EESD_ST_SE_SF_SG_EUlST_E_NS1_11comp_targetILNS1_3genE9ELNS1_11target_archE1100ELNS1_3gpuE3ELNS1_3repE0EEENS1_48merge_mergepath_partition_config_static_selectorELNS0_4arch9wavefront6targetE0EEEvSF_.uses_flat_scratch, 0
	.set _ZN7rocprim17ROCPRIM_400000_NS6detail17trampoline_kernelINS0_14default_configENS1_38merge_sort_block_merge_config_selectorIbNS0_10empty_typeEEEZZNS1_27merge_sort_block_merge_implIS3_PbPS5_jNS1_19radix_merge_compareILb0ELb1EbNS0_19identity_decomposerEEEEE10hipError_tT0_T1_T2_jT3_P12ihipStream_tbPNSt15iterator_traitsISE_E10value_typeEPNSK_ISF_E10value_typeEPSG_NS1_7vsmem_tEENKUlT_SE_SF_SG_E_clIS8_S8_S9_S9_EESD_ST_SE_SF_SG_EUlST_E_NS1_11comp_targetILNS1_3genE9ELNS1_11target_archE1100ELNS1_3gpuE3ELNS1_3repE0EEENS1_48merge_mergepath_partition_config_static_selectorELNS0_4arch9wavefront6targetE0EEEvSF_.has_dyn_sized_stack, 0
	.set _ZN7rocprim17ROCPRIM_400000_NS6detail17trampoline_kernelINS0_14default_configENS1_38merge_sort_block_merge_config_selectorIbNS0_10empty_typeEEEZZNS1_27merge_sort_block_merge_implIS3_PbPS5_jNS1_19radix_merge_compareILb0ELb1EbNS0_19identity_decomposerEEEEE10hipError_tT0_T1_T2_jT3_P12ihipStream_tbPNSt15iterator_traitsISE_E10value_typeEPNSK_ISF_E10value_typeEPSG_NS1_7vsmem_tEENKUlT_SE_SF_SG_E_clIS8_S8_S9_S9_EESD_ST_SE_SF_SG_EUlST_E_NS1_11comp_targetILNS1_3genE9ELNS1_11target_archE1100ELNS1_3gpuE3ELNS1_3repE0EEENS1_48merge_mergepath_partition_config_static_selectorELNS0_4arch9wavefront6targetE0EEEvSF_.has_recursion, 0
	.set _ZN7rocprim17ROCPRIM_400000_NS6detail17trampoline_kernelINS0_14default_configENS1_38merge_sort_block_merge_config_selectorIbNS0_10empty_typeEEEZZNS1_27merge_sort_block_merge_implIS3_PbPS5_jNS1_19radix_merge_compareILb0ELb1EbNS0_19identity_decomposerEEEEE10hipError_tT0_T1_T2_jT3_P12ihipStream_tbPNSt15iterator_traitsISE_E10value_typeEPNSK_ISF_E10value_typeEPSG_NS1_7vsmem_tEENKUlT_SE_SF_SG_E_clIS8_S8_S9_S9_EESD_ST_SE_SF_SG_EUlST_E_NS1_11comp_targetILNS1_3genE9ELNS1_11target_archE1100ELNS1_3gpuE3ELNS1_3repE0EEENS1_48merge_mergepath_partition_config_static_selectorELNS0_4arch9wavefront6targetE0EEEvSF_.has_indirect_call, 0
	.section	.AMDGPU.csdata,"",@progbits
; Kernel info:
; codeLenInByte = 0
; TotalNumSgprs: 0
; NumVgprs: 0
; ScratchSize: 0
; MemoryBound: 0
; FloatMode: 240
; IeeeMode: 1
; LDSByteSize: 0 bytes/workgroup (compile time only)
; SGPRBlocks: 0
; VGPRBlocks: 0
; NumSGPRsForWavesPerEU: 1
; NumVGPRsForWavesPerEU: 1
; NamedBarCnt: 0
; Occupancy: 16
; WaveLimiterHint : 0
; COMPUTE_PGM_RSRC2:SCRATCH_EN: 0
; COMPUTE_PGM_RSRC2:USER_SGPR: 2
; COMPUTE_PGM_RSRC2:TRAP_HANDLER: 0
; COMPUTE_PGM_RSRC2:TGID_X_EN: 1
; COMPUTE_PGM_RSRC2:TGID_Y_EN: 0
; COMPUTE_PGM_RSRC2:TGID_Z_EN: 0
; COMPUTE_PGM_RSRC2:TIDIG_COMP_CNT: 0
	.section	.text._ZN7rocprim17ROCPRIM_400000_NS6detail17trampoline_kernelINS0_14default_configENS1_38merge_sort_block_merge_config_selectorIbNS0_10empty_typeEEEZZNS1_27merge_sort_block_merge_implIS3_PbPS5_jNS1_19radix_merge_compareILb0ELb1EbNS0_19identity_decomposerEEEEE10hipError_tT0_T1_T2_jT3_P12ihipStream_tbPNSt15iterator_traitsISE_E10value_typeEPNSK_ISF_E10value_typeEPSG_NS1_7vsmem_tEENKUlT_SE_SF_SG_E_clIS8_S8_S9_S9_EESD_ST_SE_SF_SG_EUlST_E_NS1_11comp_targetILNS1_3genE8ELNS1_11target_archE1030ELNS1_3gpuE2ELNS1_3repE0EEENS1_48merge_mergepath_partition_config_static_selectorELNS0_4arch9wavefront6targetE0EEEvSF_,"axG",@progbits,_ZN7rocprim17ROCPRIM_400000_NS6detail17trampoline_kernelINS0_14default_configENS1_38merge_sort_block_merge_config_selectorIbNS0_10empty_typeEEEZZNS1_27merge_sort_block_merge_implIS3_PbPS5_jNS1_19radix_merge_compareILb0ELb1EbNS0_19identity_decomposerEEEEE10hipError_tT0_T1_T2_jT3_P12ihipStream_tbPNSt15iterator_traitsISE_E10value_typeEPNSK_ISF_E10value_typeEPSG_NS1_7vsmem_tEENKUlT_SE_SF_SG_E_clIS8_S8_S9_S9_EESD_ST_SE_SF_SG_EUlST_E_NS1_11comp_targetILNS1_3genE8ELNS1_11target_archE1030ELNS1_3gpuE2ELNS1_3repE0EEENS1_48merge_mergepath_partition_config_static_selectorELNS0_4arch9wavefront6targetE0EEEvSF_,comdat
	.protected	_ZN7rocprim17ROCPRIM_400000_NS6detail17trampoline_kernelINS0_14default_configENS1_38merge_sort_block_merge_config_selectorIbNS0_10empty_typeEEEZZNS1_27merge_sort_block_merge_implIS3_PbPS5_jNS1_19radix_merge_compareILb0ELb1EbNS0_19identity_decomposerEEEEE10hipError_tT0_T1_T2_jT3_P12ihipStream_tbPNSt15iterator_traitsISE_E10value_typeEPNSK_ISF_E10value_typeEPSG_NS1_7vsmem_tEENKUlT_SE_SF_SG_E_clIS8_S8_S9_S9_EESD_ST_SE_SF_SG_EUlST_E_NS1_11comp_targetILNS1_3genE8ELNS1_11target_archE1030ELNS1_3gpuE2ELNS1_3repE0EEENS1_48merge_mergepath_partition_config_static_selectorELNS0_4arch9wavefront6targetE0EEEvSF_ ; -- Begin function _ZN7rocprim17ROCPRIM_400000_NS6detail17trampoline_kernelINS0_14default_configENS1_38merge_sort_block_merge_config_selectorIbNS0_10empty_typeEEEZZNS1_27merge_sort_block_merge_implIS3_PbPS5_jNS1_19radix_merge_compareILb0ELb1EbNS0_19identity_decomposerEEEEE10hipError_tT0_T1_T2_jT3_P12ihipStream_tbPNSt15iterator_traitsISE_E10value_typeEPNSK_ISF_E10value_typeEPSG_NS1_7vsmem_tEENKUlT_SE_SF_SG_E_clIS8_S8_S9_S9_EESD_ST_SE_SF_SG_EUlST_E_NS1_11comp_targetILNS1_3genE8ELNS1_11target_archE1030ELNS1_3gpuE2ELNS1_3repE0EEENS1_48merge_mergepath_partition_config_static_selectorELNS0_4arch9wavefront6targetE0EEEvSF_
	.globl	_ZN7rocprim17ROCPRIM_400000_NS6detail17trampoline_kernelINS0_14default_configENS1_38merge_sort_block_merge_config_selectorIbNS0_10empty_typeEEEZZNS1_27merge_sort_block_merge_implIS3_PbPS5_jNS1_19radix_merge_compareILb0ELb1EbNS0_19identity_decomposerEEEEE10hipError_tT0_T1_T2_jT3_P12ihipStream_tbPNSt15iterator_traitsISE_E10value_typeEPNSK_ISF_E10value_typeEPSG_NS1_7vsmem_tEENKUlT_SE_SF_SG_E_clIS8_S8_S9_S9_EESD_ST_SE_SF_SG_EUlST_E_NS1_11comp_targetILNS1_3genE8ELNS1_11target_archE1030ELNS1_3gpuE2ELNS1_3repE0EEENS1_48merge_mergepath_partition_config_static_selectorELNS0_4arch9wavefront6targetE0EEEvSF_
	.p2align	8
	.type	_ZN7rocprim17ROCPRIM_400000_NS6detail17trampoline_kernelINS0_14default_configENS1_38merge_sort_block_merge_config_selectorIbNS0_10empty_typeEEEZZNS1_27merge_sort_block_merge_implIS3_PbPS5_jNS1_19radix_merge_compareILb0ELb1EbNS0_19identity_decomposerEEEEE10hipError_tT0_T1_T2_jT3_P12ihipStream_tbPNSt15iterator_traitsISE_E10value_typeEPNSK_ISF_E10value_typeEPSG_NS1_7vsmem_tEENKUlT_SE_SF_SG_E_clIS8_S8_S9_S9_EESD_ST_SE_SF_SG_EUlST_E_NS1_11comp_targetILNS1_3genE8ELNS1_11target_archE1030ELNS1_3gpuE2ELNS1_3repE0EEENS1_48merge_mergepath_partition_config_static_selectorELNS0_4arch9wavefront6targetE0EEEvSF_,@function
_ZN7rocprim17ROCPRIM_400000_NS6detail17trampoline_kernelINS0_14default_configENS1_38merge_sort_block_merge_config_selectorIbNS0_10empty_typeEEEZZNS1_27merge_sort_block_merge_implIS3_PbPS5_jNS1_19radix_merge_compareILb0ELb1EbNS0_19identity_decomposerEEEEE10hipError_tT0_T1_T2_jT3_P12ihipStream_tbPNSt15iterator_traitsISE_E10value_typeEPNSK_ISF_E10value_typeEPSG_NS1_7vsmem_tEENKUlT_SE_SF_SG_E_clIS8_S8_S9_S9_EESD_ST_SE_SF_SG_EUlST_E_NS1_11comp_targetILNS1_3genE8ELNS1_11target_archE1030ELNS1_3gpuE2ELNS1_3repE0EEENS1_48merge_mergepath_partition_config_static_selectorELNS0_4arch9wavefront6targetE0EEEvSF_: ; @_ZN7rocprim17ROCPRIM_400000_NS6detail17trampoline_kernelINS0_14default_configENS1_38merge_sort_block_merge_config_selectorIbNS0_10empty_typeEEEZZNS1_27merge_sort_block_merge_implIS3_PbPS5_jNS1_19radix_merge_compareILb0ELb1EbNS0_19identity_decomposerEEEEE10hipError_tT0_T1_T2_jT3_P12ihipStream_tbPNSt15iterator_traitsISE_E10value_typeEPNSK_ISF_E10value_typeEPSG_NS1_7vsmem_tEENKUlT_SE_SF_SG_E_clIS8_S8_S9_S9_EESD_ST_SE_SF_SG_EUlST_E_NS1_11comp_targetILNS1_3genE8ELNS1_11target_archE1030ELNS1_3gpuE2ELNS1_3repE0EEENS1_48merge_mergepath_partition_config_static_selectorELNS0_4arch9wavefront6targetE0EEEvSF_
; %bb.0:
	.section	.rodata,"a",@progbits
	.p2align	6, 0x0
	.amdhsa_kernel _ZN7rocprim17ROCPRIM_400000_NS6detail17trampoline_kernelINS0_14default_configENS1_38merge_sort_block_merge_config_selectorIbNS0_10empty_typeEEEZZNS1_27merge_sort_block_merge_implIS3_PbPS5_jNS1_19radix_merge_compareILb0ELb1EbNS0_19identity_decomposerEEEEE10hipError_tT0_T1_T2_jT3_P12ihipStream_tbPNSt15iterator_traitsISE_E10value_typeEPNSK_ISF_E10value_typeEPSG_NS1_7vsmem_tEENKUlT_SE_SF_SG_E_clIS8_S8_S9_S9_EESD_ST_SE_SF_SG_EUlST_E_NS1_11comp_targetILNS1_3genE8ELNS1_11target_archE1030ELNS1_3gpuE2ELNS1_3repE0EEENS1_48merge_mergepath_partition_config_static_selectorELNS0_4arch9wavefront6targetE0EEEvSF_
		.amdhsa_group_segment_fixed_size 0
		.amdhsa_private_segment_fixed_size 0
		.amdhsa_kernarg_size 40
		.amdhsa_user_sgpr_count 2
		.amdhsa_user_sgpr_dispatch_ptr 0
		.amdhsa_user_sgpr_queue_ptr 0
		.amdhsa_user_sgpr_kernarg_segment_ptr 1
		.amdhsa_user_sgpr_dispatch_id 0
		.amdhsa_user_sgpr_kernarg_preload_length 0
		.amdhsa_user_sgpr_kernarg_preload_offset 0
		.amdhsa_user_sgpr_private_segment_size 0
		.amdhsa_wavefront_size32 1
		.amdhsa_uses_dynamic_stack 0
		.amdhsa_enable_private_segment 0
		.amdhsa_system_sgpr_workgroup_id_x 1
		.amdhsa_system_sgpr_workgroup_id_y 0
		.amdhsa_system_sgpr_workgroup_id_z 0
		.amdhsa_system_sgpr_workgroup_info 0
		.amdhsa_system_vgpr_workitem_id 0
		.amdhsa_next_free_vgpr 1
		.amdhsa_next_free_sgpr 1
		.amdhsa_named_barrier_count 0
		.amdhsa_reserve_vcc 0
		.amdhsa_float_round_mode_32 0
		.amdhsa_float_round_mode_16_64 0
		.amdhsa_float_denorm_mode_32 3
		.amdhsa_float_denorm_mode_16_64 3
		.amdhsa_fp16_overflow 0
		.amdhsa_memory_ordered 1
		.amdhsa_forward_progress 1
		.amdhsa_inst_pref_size 0
		.amdhsa_round_robin_scheduling 0
		.amdhsa_exception_fp_ieee_invalid_op 0
		.amdhsa_exception_fp_denorm_src 0
		.amdhsa_exception_fp_ieee_div_zero 0
		.amdhsa_exception_fp_ieee_overflow 0
		.amdhsa_exception_fp_ieee_underflow 0
		.amdhsa_exception_fp_ieee_inexact 0
		.amdhsa_exception_int_div_zero 0
	.end_amdhsa_kernel
	.section	.text._ZN7rocprim17ROCPRIM_400000_NS6detail17trampoline_kernelINS0_14default_configENS1_38merge_sort_block_merge_config_selectorIbNS0_10empty_typeEEEZZNS1_27merge_sort_block_merge_implIS3_PbPS5_jNS1_19radix_merge_compareILb0ELb1EbNS0_19identity_decomposerEEEEE10hipError_tT0_T1_T2_jT3_P12ihipStream_tbPNSt15iterator_traitsISE_E10value_typeEPNSK_ISF_E10value_typeEPSG_NS1_7vsmem_tEENKUlT_SE_SF_SG_E_clIS8_S8_S9_S9_EESD_ST_SE_SF_SG_EUlST_E_NS1_11comp_targetILNS1_3genE8ELNS1_11target_archE1030ELNS1_3gpuE2ELNS1_3repE0EEENS1_48merge_mergepath_partition_config_static_selectorELNS0_4arch9wavefront6targetE0EEEvSF_,"axG",@progbits,_ZN7rocprim17ROCPRIM_400000_NS6detail17trampoline_kernelINS0_14default_configENS1_38merge_sort_block_merge_config_selectorIbNS0_10empty_typeEEEZZNS1_27merge_sort_block_merge_implIS3_PbPS5_jNS1_19radix_merge_compareILb0ELb1EbNS0_19identity_decomposerEEEEE10hipError_tT0_T1_T2_jT3_P12ihipStream_tbPNSt15iterator_traitsISE_E10value_typeEPNSK_ISF_E10value_typeEPSG_NS1_7vsmem_tEENKUlT_SE_SF_SG_E_clIS8_S8_S9_S9_EESD_ST_SE_SF_SG_EUlST_E_NS1_11comp_targetILNS1_3genE8ELNS1_11target_archE1030ELNS1_3gpuE2ELNS1_3repE0EEENS1_48merge_mergepath_partition_config_static_selectorELNS0_4arch9wavefront6targetE0EEEvSF_,comdat
.Lfunc_end1817:
	.size	_ZN7rocprim17ROCPRIM_400000_NS6detail17trampoline_kernelINS0_14default_configENS1_38merge_sort_block_merge_config_selectorIbNS0_10empty_typeEEEZZNS1_27merge_sort_block_merge_implIS3_PbPS5_jNS1_19radix_merge_compareILb0ELb1EbNS0_19identity_decomposerEEEEE10hipError_tT0_T1_T2_jT3_P12ihipStream_tbPNSt15iterator_traitsISE_E10value_typeEPNSK_ISF_E10value_typeEPSG_NS1_7vsmem_tEENKUlT_SE_SF_SG_E_clIS8_S8_S9_S9_EESD_ST_SE_SF_SG_EUlST_E_NS1_11comp_targetILNS1_3genE8ELNS1_11target_archE1030ELNS1_3gpuE2ELNS1_3repE0EEENS1_48merge_mergepath_partition_config_static_selectorELNS0_4arch9wavefront6targetE0EEEvSF_, .Lfunc_end1817-_ZN7rocprim17ROCPRIM_400000_NS6detail17trampoline_kernelINS0_14default_configENS1_38merge_sort_block_merge_config_selectorIbNS0_10empty_typeEEEZZNS1_27merge_sort_block_merge_implIS3_PbPS5_jNS1_19radix_merge_compareILb0ELb1EbNS0_19identity_decomposerEEEEE10hipError_tT0_T1_T2_jT3_P12ihipStream_tbPNSt15iterator_traitsISE_E10value_typeEPNSK_ISF_E10value_typeEPSG_NS1_7vsmem_tEENKUlT_SE_SF_SG_E_clIS8_S8_S9_S9_EESD_ST_SE_SF_SG_EUlST_E_NS1_11comp_targetILNS1_3genE8ELNS1_11target_archE1030ELNS1_3gpuE2ELNS1_3repE0EEENS1_48merge_mergepath_partition_config_static_selectorELNS0_4arch9wavefront6targetE0EEEvSF_
                                        ; -- End function
	.set _ZN7rocprim17ROCPRIM_400000_NS6detail17trampoline_kernelINS0_14default_configENS1_38merge_sort_block_merge_config_selectorIbNS0_10empty_typeEEEZZNS1_27merge_sort_block_merge_implIS3_PbPS5_jNS1_19radix_merge_compareILb0ELb1EbNS0_19identity_decomposerEEEEE10hipError_tT0_T1_T2_jT3_P12ihipStream_tbPNSt15iterator_traitsISE_E10value_typeEPNSK_ISF_E10value_typeEPSG_NS1_7vsmem_tEENKUlT_SE_SF_SG_E_clIS8_S8_S9_S9_EESD_ST_SE_SF_SG_EUlST_E_NS1_11comp_targetILNS1_3genE8ELNS1_11target_archE1030ELNS1_3gpuE2ELNS1_3repE0EEENS1_48merge_mergepath_partition_config_static_selectorELNS0_4arch9wavefront6targetE0EEEvSF_.num_vgpr, 0
	.set _ZN7rocprim17ROCPRIM_400000_NS6detail17trampoline_kernelINS0_14default_configENS1_38merge_sort_block_merge_config_selectorIbNS0_10empty_typeEEEZZNS1_27merge_sort_block_merge_implIS3_PbPS5_jNS1_19radix_merge_compareILb0ELb1EbNS0_19identity_decomposerEEEEE10hipError_tT0_T1_T2_jT3_P12ihipStream_tbPNSt15iterator_traitsISE_E10value_typeEPNSK_ISF_E10value_typeEPSG_NS1_7vsmem_tEENKUlT_SE_SF_SG_E_clIS8_S8_S9_S9_EESD_ST_SE_SF_SG_EUlST_E_NS1_11comp_targetILNS1_3genE8ELNS1_11target_archE1030ELNS1_3gpuE2ELNS1_3repE0EEENS1_48merge_mergepath_partition_config_static_selectorELNS0_4arch9wavefront6targetE0EEEvSF_.num_agpr, 0
	.set _ZN7rocprim17ROCPRIM_400000_NS6detail17trampoline_kernelINS0_14default_configENS1_38merge_sort_block_merge_config_selectorIbNS0_10empty_typeEEEZZNS1_27merge_sort_block_merge_implIS3_PbPS5_jNS1_19radix_merge_compareILb0ELb1EbNS0_19identity_decomposerEEEEE10hipError_tT0_T1_T2_jT3_P12ihipStream_tbPNSt15iterator_traitsISE_E10value_typeEPNSK_ISF_E10value_typeEPSG_NS1_7vsmem_tEENKUlT_SE_SF_SG_E_clIS8_S8_S9_S9_EESD_ST_SE_SF_SG_EUlST_E_NS1_11comp_targetILNS1_3genE8ELNS1_11target_archE1030ELNS1_3gpuE2ELNS1_3repE0EEENS1_48merge_mergepath_partition_config_static_selectorELNS0_4arch9wavefront6targetE0EEEvSF_.numbered_sgpr, 0
	.set _ZN7rocprim17ROCPRIM_400000_NS6detail17trampoline_kernelINS0_14default_configENS1_38merge_sort_block_merge_config_selectorIbNS0_10empty_typeEEEZZNS1_27merge_sort_block_merge_implIS3_PbPS5_jNS1_19radix_merge_compareILb0ELb1EbNS0_19identity_decomposerEEEEE10hipError_tT0_T1_T2_jT3_P12ihipStream_tbPNSt15iterator_traitsISE_E10value_typeEPNSK_ISF_E10value_typeEPSG_NS1_7vsmem_tEENKUlT_SE_SF_SG_E_clIS8_S8_S9_S9_EESD_ST_SE_SF_SG_EUlST_E_NS1_11comp_targetILNS1_3genE8ELNS1_11target_archE1030ELNS1_3gpuE2ELNS1_3repE0EEENS1_48merge_mergepath_partition_config_static_selectorELNS0_4arch9wavefront6targetE0EEEvSF_.num_named_barrier, 0
	.set _ZN7rocprim17ROCPRIM_400000_NS6detail17trampoline_kernelINS0_14default_configENS1_38merge_sort_block_merge_config_selectorIbNS0_10empty_typeEEEZZNS1_27merge_sort_block_merge_implIS3_PbPS5_jNS1_19radix_merge_compareILb0ELb1EbNS0_19identity_decomposerEEEEE10hipError_tT0_T1_T2_jT3_P12ihipStream_tbPNSt15iterator_traitsISE_E10value_typeEPNSK_ISF_E10value_typeEPSG_NS1_7vsmem_tEENKUlT_SE_SF_SG_E_clIS8_S8_S9_S9_EESD_ST_SE_SF_SG_EUlST_E_NS1_11comp_targetILNS1_3genE8ELNS1_11target_archE1030ELNS1_3gpuE2ELNS1_3repE0EEENS1_48merge_mergepath_partition_config_static_selectorELNS0_4arch9wavefront6targetE0EEEvSF_.private_seg_size, 0
	.set _ZN7rocprim17ROCPRIM_400000_NS6detail17trampoline_kernelINS0_14default_configENS1_38merge_sort_block_merge_config_selectorIbNS0_10empty_typeEEEZZNS1_27merge_sort_block_merge_implIS3_PbPS5_jNS1_19radix_merge_compareILb0ELb1EbNS0_19identity_decomposerEEEEE10hipError_tT0_T1_T2_jT3_P12ihipStream_tbPNSt15iterator_traitsISE_E10value_typeEPNSK_ISF_E10value_typeEPSG_NS1_7vsmem_tEENKUlT_SE_SF_SG_E_clIS8_S8_S9_S9_EESD_ST_SE_SF_SG_EUlST_E_NS1_11comp_targetILNS1_3genE8ELNS1_11target_archE1030ELNS1_3gpuE2ELNS1_3repE0EEENS1_48merge_mergepath_partition_config_static_selectorELNS0_4arch9wavefront6targetE0EEEvSF_.uses_vcc, 0
	.set _ZN7rocprim17ROCPRIM_400000_NS6detail17trampoline_kernelINS0_14default_configENS1_38merge_sort_block_merge_config_selectorIbNS0_10empty_typeEEEZZNS1_27merge_sort_block_merge_implIS3_PbPS5_jNS1_19radix_merge_compareILb0ELb1EbNS0_19identity_decomposerEEEEE10hipError_tT0_T1_T2_jT3_P12ihipStream_tbPNSt15iterator_traitsISE_E10value_typeEPNSK_ISF_E10value_typeEPSG_NS1_7vsmem_tEENKUlT_SE_SF_SG_E_clIS8_S8_S9_S9_EESD_ST_SE_SF_SG_EUlST_E_NS1_11comp_targetILNS1_3genE8ELNS1_11target_archE1030ELNS1_3gpuE2ELNS1_3repE0EEENS1_48merge_mergepath_partition_config_static_selectorELNS0_4arch9wavefront6targetE0EEEvSF_.uses_flat_scratch, 0
	.set _ZN7rocprim17ROCPRIM_400000_NS6detail17trampoline_kernelINS0_14default_configENS1_38merge_sort_block_merge_config_selectorIbNS0_10empty_typeEEEZZNS1_27merge_sort_block_merge_implIS3_PbPS5_jNS1_19radix_merge_compareILb0ELb1EbNS0_19identity_decomposerEEEEE10hipError_tT0_T1_T2_jT3_P12ihipStream_tbPNSt15iterator_traitsISE_E10value_typeEPNSK_ISF_E10value_typeEPSG_NS1_7vsmem_tEENKUlT_SE_SF_SG_E_clIS8_S8_S9_S9_EESD_ST_SE_SF_SG_EUlST_E_NS1_11comp_targetILNS1_3genE8ELNS1_11target_archE1030ELNS1_3gpuE2ELNS1_3repE0EEENS1_48merge_mergepath_partition_config_static_selectorELNS0_4arch9wavefront6targetE0EEEvSF_.has_dyn_sized_stack, 0
	.set _ZN7rocprim17ROCPRIM_400000_NS6detail17trampoline_kernelINS0_14default_configENS1_38merge_sort_block_merge_config_selectorIbNS0_10empty_typeEEEZZNS1_27merge_sort_block_merge_implIS3_PbPS5_jNS1_19radix_merge_compareILb0ELb1EbNS0_19identity_decomposerEEEEE10hipError_tT0_T1_T2_jT3_P12ihipStream_tbPNSt15iterator_traitsISE_E10value_typeEPNSK_ISF_E10value_typeEPSG_NS1_7vsmem_tEENKUlT_SE_SF_SG_E_clIS8_S8_S9_S9_EESD_ST_SE_SF_SG_EUlST_E_NS1_11comp_targetILNS1_3genE8ELNS1_11target_archE1030ELNS1_3gpuE2ELNS1_3repE0EEENS1_48merge_mergepath_partition_config_static_selectorELNS0_4arch9wavefront6targetE0EEEvSF_.has_recursion, 0
	.set _ZN7rocprim17ROCPRIM_400000_NS6detail17trampoline_kernelINS0_14default_configENS1_38merge_sort_block_merge_config_selectorIbNS0_10empty_typeEEEZZNS1_27merge_sort_block_merge_implIS3_PbPS5_jNS1_19radix_merge_compareILb0ELb1EbNS0_19identity_decomposerEEEEE10hipError_tT0_T1_T2_jT3_P12ihipStream_tbPNSt15iterator_traitsISE_E10value_typeEPNSK_ISF_E10value_typeEPSG_NS1_7vsmem_tEENKUlT_SE_SF_SG_E_clIS8_S8_S9_S9_EESD_ST_SE_SF_SG_EUlST_E_NS1_11comp_targetILNS1_3genE8ELNS1_11target_archE1030ELNS1_3gpuE2ELNS1_3repE0EEENS1_48merge_mergepath_partition_config_static_selectorELNS0_4arch9wavefront6targetE0EEEvSF_.has_indirect_call, 0
	.section	.AMDGPU.csdata,"",@progbits
; Kernel info:
; codeLenInByte = 0
; TotalNumSgprs: 0
; NumVgprs: 0
; ScratchSize: 0
; MemoryBound: 0
; FloatMode: 240
; IeeeMode: 1
; LDSByteSize: 0 bytes/workgroup (compile time only)
; SGPRBlocks: 0
; VGPRBlocks: 0
; NumSGPRsForWavesPerEU: 1
; NumVGPRsForWavesPerEU: 1
; NamedBarCnt: 0
; Occupancy: 16
; WaveLimiterHint : 0
; COMPUTE_PGM_RSRC2:SCRATCH_EN: 0
; COMPUTE_PGM_RSRC2:USER_SGPR: 2
; COMPUTE_PGM_RSRC2:TRAP_HANDLER: 0
; COMPUTE_PGM_RSRC2:TGID_X_EN: 1
; COMPUTE_PGM_RSRC2:TGID_Y_EN: 0
; COMPUTE_PGM_RSRC2:TGID_Z_EN: 0
; COMPUTE_PGM_RSRC2:TIDIG_COMP_CNT: 0
	.section	.text._ZN7rocprim17ROCPRIM_400000_NS6detail17trampoline_kernelINS0_14default_configENS1_38merge_sort_block_merge_config_selectorIbNS0_10empty_typeEEEZZNS1_27merge_sort_block_merge_implIS3_PbPS5_jNS1_19radix_merge_compareILb0ELb1EbNS0_19identity_decomposerEEEEE10hipError_tT0_T1_T2_jT3_P12ihipStream_tbPNSt15iterator_traitsISE_E10value_typeEPNSK_ISF_E10value_typeEPSG_NS1_7vsmem_tEENKUlT_SE_SF_SG_E_clIS8_S8_S9_S9_EESD_ST_SE_SF_SG_EUlST_E0_NS1_11comp_targetILNS1_3genE0ELNS1_11target_archE4294967295ELNS1_3gpuE0ELNS1_3repE0EEENS1_38merge_mergepath_config_static_selectorELNS0_4arch9wavefront6targetE0EEEvSF_,"axG",@progbits,_ZN7rocprim17ROCPRIM_400000_NS6detail17trampoline_kernelINS0_14default_configENS1_38merge_sort_block_merge_config_selectorIbNS0_10empty_typeEEEZZNS1_27merge_sort_block_merge_implIS3_PbPS5_jNS1_19radix_merge_compareILb0ELb1EbNS0_19identity_decomposerEEEEE10hipError_tT0_T1_T2_jT3_P12ihipStream_tbPNSt15iterator_traitsISE_E10value_typeEPNSK_ISF_E10value_typeEPSG_NS1_7vsmem_tEENKUlT_SE_SF_SG_E_clIS8_S8_S9_S9_EESD_ST_SE_SF_SG_EUlST_E0_NS1_11comp_targetILNS1_3genE0ELNS1_11target_archE4294967295ELNS1_3gpuE0ELNS1_3repE0EEENS1_38merge_mergepath_config_static_selectorELNS0_4arch9wavefront6targetE0EEEvSF_,comdat
	.protected	_ZN7rocprim17ROCPRIM_400000_NS6detail17trampoline_kernelINS0_14default_configENS1_38merge_sort_block_merge_config_selectorIbNS0_10empty_typeEEEZZNS1_27merge_sort_block_merge_implIS3_PbPS5_jNS1_19radix_merge_compareILb0ELb1EbNS0_19identity_decomposerEEEEE10hipError_tT0_T1_T2_jT3_P12ihipStream_tbPNSt15iterator_traitsISE_E10value_typeEPNSK_ISF_E10value_typeEPSG_NS1_7vsmem_tEENKUlT_SE_SF_SG_E_clIS8_S8_S9_S9_EESD_ST_SE_SF_SG_EUlST_E0_NS1_11comp_targetILNS1_3genE0ELNS1_11target_archE4294967295ELNS1_3gpuE0ELNS1_3repE0EEENS1_38merge_mergepath_config_static_selectorELNS0_4arch9wavefront6targetE0EEEvSF_ ; -- Begin function _ZN7rocprim17ROCPRIM_400000_NS6detail17trampoline_kernelINS0_14default_configENS1_38merge_sort_block_merge_config_selectorIbNS0_10empty_typeEEEZZNS1_27merge_sort_block_merge_implIS3_PbPS5_jNS1_19radix_merge_compareILb0ELb1EbNS0_19identity_decomposerEEEEE10hipError_tT0_T1_T2_jT3_P12ihipStream_tbPNSt15iterator_traitsISE_E10value_typeEPNSK_ISF_E10value_typeEPSG_NS1_7vsmem_tEENKUlT_SE_SF_SG_E_clIS8_S8_S9_S9_EESD_ST_SE_SF_SG_EUlST_E0_NS1_11comp_targetILNS1_3genE0ELNS1_11target_archE4294967295ELNS1_3gpuE0ELNS1_3repE0EEENS1_38merge_mergepath_config_static_selectorELNS0_4arch9wavefront6targetE0EEEvSF_
	.globl	_ZN7rocprim17ROCPRIM_400000_NS6detail17trampoline_kernelINS0_14default_configENS1_38merge_sort_block_merge_config_selectorIbNS0_10empty_typeEEEZZNS1_27merge_sort_block_merge_implIS3_PbPS5_jNS1_19radix_merge_compareILb0ELb1EbNS0_19identity_decomposerEEEEE10hipError_tT0_T1_T2_jT3_P12ihipStream_tbPNSt15iterator_traitsISE_E10value_typeEPNSK_ISF_E10value_typeEPSG_NS1_7vsmem_tEENKUlT_SE_SF_SG_E_clIS8_S8_S9_S9_EESD_ST_SE_SF_SG_EUlST_E0_NS1_11comp_targetILNS1_3genE0ELNS1_11target_archE4294967295ELNS1_3gpuE0ELNS1_3repE0EEENS1_38merge_mergepath_config_static_selectorELNS0_4arch9wavefront6targetE0EEEvSF_
	.p2align	8
	.type	_ZN7rocprim17ROCPRIM_400000_NS6detail17trampoline_kernelINS0_14default_configENS1_38merge_sort_block_merge_config_selectorIbNS0_10empty_typeEEEZZNS1_27merge_sort_block_merge_implIS3_PbPS5_jNS1_19radix_merge_compareILb0ELb1EbNS0_19identity_decomposerEEEEE10hipError_tT0_T1_T2_jT3_P12ihipStream_tbPNSt15iterator_traitsISE_E10value_typeEPNSK_ISF_E10value_typeEPSG_NS1_7vsmem_tEENKUlT_SE_SF_SG_E_clIS8_S8_S9_S9_EESD_ST_SE_SF_SG_EUlST_E0_NS1_11comp_targetILNS1_3genE0ELNS1_11target_archE4294967295ELNS1_3gpuE0ELNS1_3repE0EEENS1_38merge_mergepath_config_static_selectorELNS0_4arch9wavefront6targetE0EEEvSF_,@function
_ZN7rocprim17ROCPRIM_400000_NS6detail17trampoline_kernelINS0_14default_configENS1_38merge_sort_block_merge_config_selectorIbNS0_10empty_typeEEEZZNS1_27merge_sort_block_merge_implIS3_PbPS5_jNS1_19radix_merge_compareILb0ELb1EbNS0_19identity_decomposerEEEEE10hipError_tT0_T1_T2_jT3_P12ihipStream_tbPNSt15iterator_traitsISE_E10value_typeEPNSK_ISF_E10value_typeEPSG_NS1_7vsmem_tEENKUlT_SE_SF_SG_E_clIS8_S8_S9_S9_EESD_ST_SE_SF_SG_EUlST_E0_NS1_11comp_targetILNS1_3genE0ELNS1_11target_archE4294967295ELNS1_3gpuE0ELNS1_3repE0EEENS1_38merge_mergepath_config_static_selectorELNS0_4arch9wavefront6targetE0EEEvSF_: ; @_ZN7rocprim17ROCPRIM_400000_NS6detail17trampoline_kernelINS0_14default_configENS1_38merge_sort_block_merge_config_selectorIbNS0_10empty_typeEEEZZNS1_27merge_sort_block_merge_implIS3_PbPS5_jNS1_19radix_merge_compareILb0ELb1EbNS0_19identity_decomposerEEEEE10hipError_tT0_T1_T2_jT3_P12ihipStream_tbPNSt15iterator_traitsISE_E10value_typeEPNSK_ISF_E10value_typeEPSG_NS1_7vsmem_tEENKUlT_SE_SF_SG_E_clIS8_S8_S9_S9_EESD_ST_SE_SF_SG_EUlST_E0_NS1_11comp_targetILNS1_3genE0ELNS1_11target_archE4294967295ELNS1_3gpuE0ELNS1_3repE0EEENS1_38merge_mergepath_config_static_selectorELNS0_4arch9wavefront6targetE0EEEvSF_
; %bb.0:
	s_load_b64 s[4:5], s[0:1], 0x4
	s_load_b128 s[8:11], s[2:3], 0x28
	s_bfe_u32 s7, ttmp6, 0x40010
	s_wait_xcnt 0x0
	s_load_b64 s[0:1], s[2:3], 0x40
	v_and_b32_e32 v2, 0x3ff, v0
	s_bfe_u32 s14, ttmp6, 0x4000c
	s_bfe_u32 s16, ttmp6, 0x40014
	s_and_b32 s6, ttmp7, 0xffff
	s_add_co_i32 s7, s7, 1
	s_lshr_b32 s15, ttmp7, 16
	s_add_co_i32 s14, s14, 1
	s_add_co_i32 s16, s16, 1
	s_bfe_u32 s12, ttmp6, 0x40004
	s_mul_i32 s7, s6, s7
	s_and_b32 s13, ttmp6, 15
	s_mul_i32 s14, ttmp9, s14
	s_mul_i32 s16, s15, s16
	s_add_co_i32 s12, s12, s7
	v_bfe_u32 v1, v0, 10, 10
	s_add_co_i32 s13, s13, s14
	s_wait_kmcnt 0x0
	s_lshr_b32 s4, s4, 16
	s_and_b32 s7, s11, 1
	s_mul_i32 s4, s4, s5
	s_getreg_b32 s11, hwreg(HW_REG_IB_STS2, 6, 4)
	v_mul_u32_u24_e32 v3, s4, v2
	s_bfe_u32 s4, ttmp6, 0x40008
	v_mul_u32_u24_e32 v1, s5, v1
	s_add_co_i32 s4, s4, s16
	s_cmp_eq_u32 s11, 0
	v_bfe_u32 v0, v0, 20, 10
	s_cselect_b32 s4, s15, s4
	s_cselect_b32 s5, s6, s12
	s_mul_i32 s4, s1, s4
	s_cselect_b32 s1, ttmp9, s13
	s_add_co_i32 s4, s4, s5
	v_add3_u32 v3, v3, v1, v0
	s_mul_i32 s4, s4, s0
	v_mov_b32_e32 v0, s7
	s_add_co_i32 s4, s4, s1
	s_mov_b32 s5, 0
	s_cmp_ge_u32 s4, s10
	ds_store_b8 v3, v0 offset:1056
	s_cbranch_scc1 .LBB1818_45
; %bb.1:
	v_mov_b32_e32 v1, 0
	s_add_nc_u64 s[12:13], s[2:3], 64
	s_load_b64 s[6:7], s[2:3], 0x38
	s_lshr_b32 s17, s8, 10
	s_mov_b32 s21, s5
	global_load_b32 v0, v1, s[12:13] offset:14
	s_cmp_lg_u32 s4, s17
	s_cselect_b32 s16, -1, 0
	s_lshl_b64 s[10:11], s[4:5], 2
	s_wait_kmcnt 0x0
	s_add_nc_u64 s[6:7], s[6:7], s[10:11]
	s_lshl_b32 s10, s4, 10
	s_load_b64 s[18:19], s[6:7], 0x0
	s_wait_xcnt 0x0
	s_lshr_b32 s6, s9, 9
	s_delay_alu instid0(SALU_CYCLE_1) | instskip(NEXT) | instid1(SALU_CYCLE_1)
	s_and_b32 s6, s6, 0x7ffffe
	s_sub_co_i32 s6, 0, s6
	s_delay_alu instid0(SALU_CYCLE_1)
	s_and_b32 s7, s4, s6
	s_or_b32 s6, s4, s6
	s_lshl_b32 s11, s7, 11
	s_lshl_b32 s7, s7, 10
	s_add_co_i32 s11, s11, s9
	s_sub_co_i32 s14, s10, s7
	s_sub_co_i32 s7, s11, s7
	s_add_co_i32 s11, s11, s14
	s_min_u32 s14, s8, s7
	s_add_co_i32 s7, s7, s9
	s_wait_kmcnt 0x0
	s_sub_co_i32 s9, s11, s18
	s_sub_co_i32 s11, s11, s19
	s_min_u32 s20, s8, s9
	s_addk_co_i32 s11, 0x400
	s_cmp_eq_u32 s6, -1
	s_cselect_b32 s6, s7, s11
	s_cselect_b32 s7, s14, s19
	s_min_u32 s6, s6, s8
	s_sub_co_i32 s9, s7, s18
	s_sub_co_i32 s6, s6, s20
	s_cmp_lt_u32 s1, s0
	s_mov_b32 s1, s5
	s_cselect_b32 s0, 12, 18
	s_mov_b32 s19, s5
	s_add_nc_u64 s[0:1], s[12:13], s[0:1]
	s_mov_b32 s7, -1
	s_load_u16 s0, s[0:1], 0x0
	s_cmp_eq_u32 s4, s17
	s_load_b128 s[12:15], s[2:3], 0x8
	s_wait_kmcnt 0x0
	s_add_nc_u64 s[2:3], s[12:13], s[20:21]
	s_wait_loadcnt 0x0
	v_lshrrev_b32_e32 v4, 16, v0
	v_and_b32_e32 v0, 0xffff, v0
	s_delay_alu instid0(VALU_DEP_1) | instskip(NEXT) | instid1(VALU_DEP_1)
	v_mul_lo_u32 v0, v0, v4
	v_mul_lo_u32 v4, v0, s0
	s_add_nc_u64 s[0:1], s[12:13], s[18:19]
	s_delay_alu instid0(VALU_DEP_1)
	v_add_nc_u32_e32 v5, v4, v2
	s_cbranch_scc1 .LBB1818_3
; %bb.2:
	v_subrev_nc_u32_e32 v0, s9, v2
	v_dual_mov_b32 v18, s1 :: v_dual_mov_b32 v20, s0
	v_cmp_gt_u32_e32 vcc_lo, s9, v2
	v_subrev_nc_u32_e32 v8, s9, v5
	s_delay_alu instid0(VALU_DEP_4)
	v_min_u32_e32 v0, v2, v0
	v_add_nc_u32_e32 v10, v5, v4
	s_add_co_i32 s4, s6, s9
	v_cndmask_b32_e32 v7, s3, v18, vcc_lo
	v_cndmask_b32_e32 v6, s2, v20, vcc_lo
	v_cmp_gt_u32_e32 vcc_lo, s9, v5
	v_subrev_nc_u32_e32 v11, s9, v10
	v_add_nc_u32_e32 v12, v10, v4
	s_delay_alu instid0(VALU_DEP_4)
	v_add_nc_u64_e32 v[6:7], v[6:7], v[0:1]
	v_min_u32_e32 v0, v5, v8
	v_cndmask_b32_e32 v9, s3, v18, vcc_lo
	v_cndmask_b32_e32 v8, s2, v20, vcc_lo
	v_cmp_gt_u32_e32 vcc_lo, s9, v10
	v_subrev_nc_u32_e32 v13, s9, v12
	v_add_nc_u32_e32 v14, v12, v4
	s_mov_b32 s5, -1
	v_add_nc_u64_e32 v[8:9], v[8:9], v[0:1]
	v_min_u32_e32 v0, v10, v11
	v_cndmask_b32_e32 v11, s3, v18, vcc_lo
	v_cndmask_b32_e32 v10, s2, v20, vcc_lo
	v_cmp_gt_u32_e32 vcc_lo, s9, v12
	v_subrev_nc_u32_e32 v15, s9, v14
	v_add_nc_u32_e32 v16, v14, v4
	s_delay_alu instid0(VALU_DEP_4)
	v_add_nc_u64_e32 v[10:11], v[10:11], v[0:1]
	v_min_u32_e32 v0, v12, v13
	v_cndmask_b32_e32 v13, s3, v18, vcc_lo
	v_cndmask_b32_e32 v12, s2, v20, vcc_lo
	v_cmp_gt_u32_e32 vcc_lo, s9, v14
	v_subrev_nc_u32_e32 v17, s9, v16
	v_add_nc_u32_e32 v21, v16, v4
	s_delay_alu instid0(VALU_DEP_4)
	v_add_nc_u64_e32 v[12:13], v[12:13], v[0:1]
	v_min_u32_e32 v0, v14, v15
	v_cndmask_b32_e32 v15, s3, v18, vcc_lo
	v_cndmask_b32_e32 v14, s2, v20, vcc_lo
	v_cmp_gt_u32_e32 vcc_lo, s9, v16
	v_subrev_nc_u32_e32 v19, s9, v21
	s_delay_alu instid0(VALU_DEP_3) | instskip(SKIP_4) | instid1(VALU_DEP_2)
	v_add_nc_u64_e32 v[14:15], v[14:15], v[0:1]
	v_min_u32_e32 v0, v16, v17
	v_cndmask_b32_e32 v17, s3, v18, vcc_lo
	v_cndmask_b32_e32 v16, s2, v20, vcc_lo
	v_cmp_gt_u32_e32 vcc_lo, s9, v21
	v_add_nc_u64_e32 v[16:17], v[16:17], v[0:1]
	v_min_u32_e32 v0, v21, v19
	v_cndmask_b32_e32 v19, s3, v18, vcc_lo
	v_cndmask_b32_e32 v18, s2, v20, vcc_lo
	s_delay_alu instid0(VALU_DEP_1)
	v_add_nc_u64_e32 v[0:1], v[18:19], v[0:1]
	global_load_u8 v18, v[10:11], off
	global_load_u8 v19, v[12:13], off
	;; [unrolled: 1-line block ×7, first 2 shown]
	s_wait_xcnt 0x3
	v_add_nc_u32_e32 v7, v21, v4
	s_wait_loadcnt 0x5
	s_wait_xcnt 0x0
	v_perm_b32 v1, v18, v19, 0xc0c0004
	s_wait_loadcnt 0x3
	v_perm_b32 v0, v22, v20, 0xc0c0004
	s_wait_loadcnt 0x1
	v_perm_b32 v6, v23, v24, 0xc0c0004
	s_delay_alu instid0(VALU_DEP_2) | instskip(SKIP_1) | instid1(VALU_DEP_2)
	v_lshl_or_b32 v0, v1, 16, v0
	s_wait_loadcnt 0x0
	v_lshl_or_b32 v1, v25, 16, v6
	v_mov_b32_e32 v6, s4
	s_cbranch_execz .LBB1818_4
	s_branch .LBB1818_19
.LBB1818_3:
                                        ; implicit-def: $vgpr7
                                        ; implicit-def: $vgpr0_vgpr1
                                        ; implicit-def: $vgpr6
	s_and_not1_b32 vcc_lo, exec_lo, s7
	s_cbranch_vccnz .LBB1818_19
.LBB1818_4:
	v_mov_b64_e32 v[0:1], 0
	s_add_co_i32 s4, s6, s9
	s_mov_b32 s5, exec_lo
	v_cmpx_gt_u32_e64 s4, v2
	s_cbranch_execz .LBB1818_6
; %bb.5:
	v_dual_mov_b32 v0, s1 :: v_dual_mov_b32 v6, s0
	v_cmp_gt_u32_e32 vcc_lo, s9, v2
	v_subrev_nc_u32_e32 v8, s9, v2
	s_mov_b32 s7, 0
	s_delay_alu instid0(VALU_DEP_3) | instskip(SKIP_1) | instid1(VALU_DEP_3)
	v_dual_mov_b32 v7, 0 :: v_dual_cndmask_b32 v1, s3, v0, vcc_lo
	v_cndmask_b32_e32 v0, s2, v6, vcc_lo
	v_min_u32_e32 v6, v2, v8
	s_delay_alu instid0(VALU_DEP_1)
	v_add_nc_u64_e32 v[0:1], v[0:1], v[6:7]
	global_load_u8 v0, v[0:1], off
	s_wait_xcnt 0x0
	v_mov_b32_e32 v1, s7
	s_wait_loadcnt 0x0
	v_and_b32_e32 v0, 0xffff, v0
.LBB1818_6:
	s_or_b32 exec_lo, exec_lo, s5
	s_delay_alu instid0(SALU_CYCLE_1)
	s_mov_b32 s5, exec_lo
	v_cmpx_gt_u32_e64 s4, v5
	s_cbranch_execz .LBB1818_8
; %bb.7:
	v_dual_mov_b32 v6, s1 :: v_dual_mov_b32 v8, s0
	v_cmp_gt_u32_e32 vcc_lo, s9, v5
	v_subrev_nc_u32_e32 v9, s9, v5
	s_delay_alu instid0(VALU_DEP_3) | instskip(NEXT) | instid1(VALU_DEP_4)
	v_cndmask_b32_e32 v7, s3, v6, vcc_lo
	v_cndmask_b32_e32 v6, s2, v8, vcc_lo
	s_delay_alu instid0(VALU_DEP_3) | instskip(SKIP_1) | instid1(VALU_DEP_1)
	v_min_u32_e32 v8, v5, v9
	v_mov_b32_e32 v9, 0
	v_add_nc_u64_e32 v[6:7], v[6:7], v[8:9]
	global_load_u8 v6, v[6:7], off
	s_wait_loadcnt 0x0
	v_perm_b32 v0, v0, v6, 0x7060004
.LBB1818_8:
	s_or_b32 exec_lo, exec_lo, s5
	v_add_nc_u32_e32 v5, v5, v4
	s_mov_b32 s5, exec_lo
	s_delay_alu instid0(VALU_DEP_1)
	v_cmpx_gt_u32_e64 s4, v5
	s_cbranch_execz .LBB1818_10
; %bb.9:
	v_dual_mov_b32 v6, s1 :: v_dual_mov_b32 v8, s0
	v_cmp_gt_u32_e32 vcc_lo, s9, v5
	v_subrev_nc_u32_e32 v9, s9, v5
	s_delay_alu instid0(VALU_DEP_3) | instskip(NEXT) | instid1(VALU_DEP_4)
	v_cndmask_b32_e32 v7, s3, v6, vcc_lo
	v_cndmask_b32_e32 v6, s2, v8, vcc_lo
	s_delay_alu instid0(VALU_DEP_3) | instskip(SKIP_1) | instid1(VALU_DEP_1)
	v_min_u32_e32 v8, v5, v9
	v_mov_b32_e32 v9, 0
	v_add_nc_u64_e32 v[6:7], v[6:7], v[8:9]
	global_load_u8 v6, v[6:7], off
	s_wait_loadcnt 0x0
	v_perm_b32 v6, v6, v0, 0xc0c0304
	s_delay_alu instid0(VALU_DEP_1) | instskip(NEXT) | instid1(VALU_DEP_1)
	v_lshlrev_b32_e32 v6, 16, v6
	v_and_or_b32 v0, 0xffff, v0, v6
.LBB1818_10:
	s_or_b32 exec_lo, exec_lo, s5
	v_add_nc_u32_e32 v5, v5, v4
	s_mov_b32 s5, exec_lo
	s_delay_alu instid0(VALU_DEP_1)
	v_cmpx_gt_u32_e64 s4, v5
	s_cbranch_execz .LBB1818_12
; %bb.11:
	v_dual_mov_b32 v6, s1 :: v_dual_mov_b32 v8, s0
	v_cmp_gt_u32_e32 vcc_lo, s9, v5
	v_subrev_nc_u32_e32 v9, s9, v5
	s_delay_alu instid0(VALU_DEP_3) | instskip(NEXT) | instid1(VALU_DEP_4)
	v_cndmask_b32_e32 v7, s3, v6, vcc_lo
	v_cndmask_b32_e32 v6, s2, v8, vcc_lo
	s_delay_alu instid0(VALU_DEP_3) | instskip(SKIP_1) | instid1(VALU_DEP_1)
	v_min_u32_e32 v8, v5, v9
	v_mov_b32_e32 v9, 0
	v_add_nc_u64_e32 v[6:7], v[6:7], v[8:9]
	global_load_u8 v6, v[6:7], off
	s_wait_loadcnt 0x0
	v_perm_b32 v6, v0, v6, 0xc0c0006
	s_delay_alu instid0(VALU_DEP_1) | instskip(NEXT) | instid1(VALU_DEP_1)
	v_lshlrev_b32_e32 v6, 16, v6
	v_and_or_b32 v0, 0xffff, v0, v6
.LBB1818_12:
	s_or_b32 exec_lo, exec_lo, s5
	v_add_nc_u32_e32 v5, v5, v4
	s_mov_b32 s5, exec_lo
	s_delay_alu instid0(VALU_DEP_1)
	v_cmpx_gt_u32_e64 s4, v5
	s_cbranch_execz .LBB1818_14
; %bb.13:
	v_dual_mov_b32 v6, s1 :: v_dual_mov_b32 v8, s0
	v_cmp_gt_u32_e32 vcc_lo, s9, v5
	v_subrev_nc_u32_e32 v9, s9, v5
	s_delay_alu instid0(VALU_DEP_3) | instskip(NEXT) | instid1(VALU_DEP_4)
	v_cndmask_b32_e32 v7, s3, v6, vcc_lo
	v_cndmask_b32_e32 v6, s2, v8, vcc_lo
	s_delay_alu instid0(VALU_DEP_3) | instskip(SKIP_1) | instid1(VALU_DEP_1)
	v_min_u32_e32 v8, v5, v9
	v_mov_b32_e32 v9, 0
	v_add_nc_u64_e32 v[6:7], v[6:7], v[8:9]
	global_load_u8 v6, v[6:7], off
	s_wait_loadcnt 0x0
	v_perm_b32 v1, v6, v1, 0x3020104
.LBB1818_14:
	s_or_b32 exec_lo, exec_lo, s5
	v_add_nc_u32_e32 v5, v5, v4
	s_mov_b32 s5, exec_lo
	s_delay_alu instid0(VALU_DEP_1)
	v_cmpx_gt_u32_e64 s4, v5
	s_cbranch_execz .LBB1818_16
; %bb.15:
	v_dual_mov_b32 v6, s1 :: v_dual_mov_b32 v8, s0
	v_cmp_gt_u32_e32 vcc_lo, s9, v5
	v_subrev_nc_u32_e32 v9, s9, v5
	s_delay_alu instid0(VALU_DEP_3) | instskip(NEXT) | instid1(VALU_DEP_4)
	v_cndmask_b32_e32 v7, s3, v6, vcc_lo
	v_cndmask_b32_e32 v6, s2, v8, vcc_lo
	s_delay_alu instid0(VALU_DEP_3) | instskip(SKIP_1) | instid1(VALU_DEP_1)
	v_min_u32_e32 v8, v5, v9
	v_mov_b32_e32 v9, 0
	v_add_nc_u64_e32 v[6:7], v[6:7], v[8:9]
	global_load_u8 v6, v[6:7], off
	s_wait_loadcnt 0x0
	v_perm_b32 v1, v1, v6, 0x7060004
.LBB1818_16:
	s_or_b32 exec_lo, exec_lo, s5
	v_add_nc_u32_e32 v5, v5, v4
	s_mov_b32 s5, exec_lo
	s_delay_alu instid0(VALU_DEP_1)
	v_cmpx_gt_u32_e64 s4, v5
	s_cbranch_execz .LBB1818_18
; %bb.17:
	v_dual_mov_b32 v6, s1 :: v_dual_mov_b32 v8, s0
	v_cmp_gt_u32_e32 vcc_lo, s9, v5
	v_subrev_nc_u32_e32 v10, s9, v5
	s_delay_alu instid0(VALU_DEP_3) | instskip(NEXT) | instid1(VALU_DEP_4)
	v_dual_mov_b32 v7, 0 :: v_dual_cndmask_b32 v9, s3, v6, vcc_lo
	v_cndmask_b32_e32 v8, s2, v8, vcc_lo
	s_delay_alu instid0(VALU_DEP_3) | instskip(NEXT) | instid1(VALU_DEP_1)
	v_min_u32_e32 v6, v5, v10
	v_add_nc_u64_e32 v[6:7], v[8:9], v[6:7]
	global_load_u8 v6, v[6:7], off
	s_wait_loadcnt 0x0
	v_perm_b32 v1, v1, v6, 0x7000504
.LBB1818_18:
	s_or_b32 exec_lo, exec_lo, s5
	v_dual_mov_b32 v6, s4 :: v_dual_add_nc_u32 v7, v5, v4
	s_delay_alu instid0(VALU_DEP_1)
	v_cmp_gt_u32_e64 s5, s4, v7
.LBB1818_19:
	s_delay_alu instid0(VALU_DEP_1)
	s_and_saveexec_b32 s4, s5
	s_cbranch_execz .LBB1818_21
; %bb.20:
	v_subrev_nc_u32_e32 v4, s9, v7
	v_dual_mov_b32 v8, s1 :: v_dual_mov_b32 v10, s0
	v_cmp_gt_u32_e32 vcc_lo, s9, v7
	v_mov_b32_e32 v5, 0
	s_delay_alu instid0(VALU_DEP_4) | instskip(NEXT) | instid1(VALU_DEP_4)
	v_min_u32_e32 v4, v7, v4
	v_cndmask_b32_e32 v9, s3, v8, vcc_lo
	v_cndmask_b32_e32 v8, s2, v10, vcc_lo
	s_delay_alu instid0(VALU_DEP_1)
	v_add_nc_u64_e32 v[4:5], v[8:9], v[4:5]
	global_load_u8 v4, v[4:5], off
	s_wait_loadcnt 0x0
	v_perm_b32 v1, v1, v4, 0x60504
.LBB1818_21:
	s_or_b32 exec_lo, exec_lo, s4
	v_dual_lshrrev_b32 v7, 8, v0 :: v_dual_lshrrev_b32 v8, 16, v0
	s_delay_alu instid0(VALU_DEP_2)
	v_lshrrev_b64 v[4:5], 24, v[0:1]
	v_dual_lshrrev_b32 v9, 8, v1 :: v_dual_lshrrev_b32 v10, 16, v1
	v_dual_lshrrev_b32 v11, 24, v1 :: v_dual_lshlrev_b32 v5, 3, v2
	ds_store_b8 v2, v0
	ds_store_b8 v2, v7 offset:128
	ds_store_b8 v2, v8 offset:256
	ds_store_b8 v2, v4 offset:384
	ds_store_b8 v2, v1 offset:512
	ds_store_b8 v2, v9 offset:640
	ds_store_b8 v2, v10 offset:768
	ds_store_b8 v2, v11 offset:896
	s_wait_dscnt 0x0
	s_barrier_signal -1
	s_barrier_wait -1
	ds_load_u8 v14, v3 offset:1056
	v_min_u32_e32 v13, v6, v5
	s_mov_b32 s1, exec_lo
	s_delay_alu instid0(VALU_DEP_1) | instskip(SKIP_3) | instid1(VALU_DEP_2)
	v_sub_nc_u32_e64 v12, v13, s6 clamp
	s_wait_dscnt 0x0
	v_and_b32_e32 v15, 1, v14
	v_min_u32_e32 v14, s9, v13
	v_cmp_eq_u32_e32 vcc_lo, 1, v15
	ds_store_b8 v3, v15 offset:1184
	v_cmpx_lt_u32_e64 v12, v14
	s_cbranch_execz .LBB1818_25
; %bb.22:
	ds_load_u8 v15, v3 offset:1184
	v_add_nc_u32_e32 v16, s9, v13
	s_mov_b32 s2, 0
.LBB1818_23:                            ; =>This Inner Loop Header: Depth=1
	v_add_nc_u32_e32 v17, v14, v12
	s_delay_alu instid0(VALU_DEP_1) | instskip(NEXT) | instid1(VALU_DEP_1)
	v_lshrrev_b32_e32 v17, 1, v17
	v_xad_u32 v18, v17, -1, v16
	ds_load_u8 v19, v17
	ds_load_u8 v18, v18
	s_wait_dscnt 0x1
	v_bitop3_b16 v19, v19, 1, v15 bitop3:0x80
	s_wait_dscnt 0x0
	v_bitop3_b16 v18, v18, 1, v15 bitop3:0x80
	s_delay_alu instid0(VALU_DEP_1) | instskip(NEXT) | instid1(VALU_DEP_1)
	v_cmp_gt_u16_e64 s0, v19, v18
	v_dual_add_nc_u32 v20, 1, v17 :: v_dual_cndmask_b32 v14, v14, v17, s0
	s_delay_alu instid0(VALU_DEP_1) | instskip(NEXT) | instid1(VALU_DEP_1)
	v_cndmask_b32_e64 v12, v20, v12, s0
	v_cmp_ge_u32_e64 s0, v12, v14
	s_or_b32 s2, s0, s2
	s_delay_alu instid0(SALU_CYCLE_1)
	s_and_not1_b32 exec_lo, exec_lo, s2
	s_cbranch_execnz .LBB1818_23
; %bb.24:
	s_or_b32 exec_lo, exec_lo, s2
.LBB1818_25:
	s_delay_alu instid0(SALU_CYCLE_1)
	s_or_b32 exec_lo, exec_lo, s1
	v_cndmask_b32_e64 v14, 0, 1, vcc_lo
	v_cmp_ge_u32_e32 vcc_lo, s9, v12
	ds_store_b8 v3, v14 offset:1440
	ds_load_u8 v14, v3 offset:1440
	s_wait_dscnt 0x0
	v_dual_sub_nc_u32 v13, v13, v12 :: v_dual_bitop2_b32 v14, 1, v14 bitop3:0x40
	s_delay_alu instid0(VALU_DEP_1) | instskip(SKIP_3) | instid1(SALU_CYCLE_1)
	v_add_nc_u32_e32 v13, s9, v13
	ds_store_b8 v3, v14 offset:1312
	v_cmp_le_u32_e64 s0, v13, v6
	s_or_b32 s0, vcc_lo, s0
	s_and_saveexec_b32 s11, s0
	s_cbranch_execz .LBB1818_31
; %bb.26:
	s_mov_b32 s1, exec_lo
	v_cmp_le_u32_e32 vcc_lo, s9, v12
                                        ; implicit-def: $vgpr0
	v_cmpx_gt_u32_e64 s9, v12
; %bb.27:
	ds_load_u8 v0, v12
; %bb.28:
	s_or_b32 exec_lo, exec_lo, s1
	v_cmp_ge_u32_e64 s0, v13, v6
	s_mov_b32 s2, exec_lo
                                        ; implicit-def: $vgpr1
	v_cmpx_lt_u32_e64 v13, v6
; %bb.29:
	ds_load_u8 v1, v13
; %bb.30:
	s_or_b32 exec_lo, exec_lo, s2
	ds_load_u8 v3, v3 offset:1312
	v_cndmask_b32_e64 v8, 0, 1, s0
	s_or_b32 vcc_lo, vcc_lo, s0
	s_wait_dscnt 0x0
	v_bitop3_b16 v4, v3, 1, v1 bitop3:0x80
	v_bitop3_b16 v7, v3, 1, v0 bitop3:0x80
	s_delay_alu instid0(VALU_DEP_1) | instskip(NEXT) | instid1(VALU_DEP_1)
	v_cmp_le_u16_e64 s1, v7, v4
	v_cndmask_b32_e64 v4, 0, 1, s1
	s_delay_alu instid0(VALU_DEP_1) | instskip(NEXT) | instid1(VALU_DEP_1)
	v_cndmask_b32_e32 v4, v4, v8, vcc_lo
	v_and_b32_e32 v4, 1, v4
	s_delay_alu instid0(VALU_DEP_1) | instskip(SKIP_2) | instid1(VALU_DEP_2)
	v_cmp_eq_u32_e32 vcc_lo, 1, v4
	v_cndmask_b32_e32 v4, v13, v12, vcc_lo
	v_cndmask_b32_e64 v7, v6, s9, vcc_lo
	v_add_nc_u32_e32 v4, 1, v4
	s_delay_alu instid0(VALU_DEP_1) | instskip(SKIP_3) | instid1(VALU_DEP_1)
	v_add_min_u32_e64 v7, v7, -1, v4
	ds_load_u8 v7, v7
	s_wait_dscnt 0x0
	v_dual_cndmask_b32 v8, v7, v1 :: v_dual_cndmask_b32 v7, v0, v7
	v_dual_cndmask_b32 v0, v1, v0, vcc_lo :: v_dual_bitop2_b32 v9, v8, v3 bitop3:0x40
	s_delay_alu instid0(VALU_DEP_2) | instskip(SKIP_1) | instid1(VALU_DEP_3)
	v_dual_cndmask_b32 v11, v12, v4, vcc_lo :: v_dual_bitop2_b32 v10, v7, v3 bitop3:0x40
	v_cndmask_b32_e32 v4, v4, v13, vcc_lo
	v_and_b32_e32 v9, 0xff, v9
	s_delay_alu instid0(VALU_DEP_3) | instskip(NEXT) | instid1(VALU_DEP_4)
	v_and_b32_e32 v10, 0xff, v10
	v_cmp_gt_u32_e64 s0, s9, v11
	s_delay_alu instid0(VALU_DEP_4) | instskip(NEXT) | instid1(VALU_DEP_3)
	v_cmp_ge_u32_e64 s2, v4, v6
	v_cmp_le_u16_e64 s1, v10, v9
	s_and_b32 s0, s0, s1
	s_delay_alu instid0(SALU_CYCLE_1) | instskip(NEXT) | instid1(SALU_CYCLE_1)
	s_or_b32 s0, s2, s0
	v_cndmask_b32_e64 v9, v4, v11, s0
	v_cndmask_b32_e64 v10, v6, s9, s0
	s_delay_alu instid0(VALU_DEP_2) | instskip(NEXT) | instid1(VALU_DEP_1)
	v_add_nc_u32_e32 v9, 1, v9
	v_add_min_u32_e64 v10, v10, -1, v9
	v_cndmask_b32_e64 v11, v11, v9, s0
	ds_load_u8 v10, v10
	v_cmp_gt_u32_e64 s1, s9, v11
	s_wait_dscnt 0x0
	v_dual_cndmask_b32 v12, v10, v8, s0 :: v_dual_cndmask_b32 v10, v7, v10, s0
	s_delay_alu instid0(VALU_DEP_1) | instskip(NEXT) | instid1(VALU_DEP_2)
	v_dual_cndmask_b32 v4, v9, v4, s0 :: v_dual_bitop2_b32 v13, v12, v3 bitop3:0x40
	v_and_b32_e32 v14, v10, v3
	s_delay_alu instid0(VALU_DEP_2) | instskip(NEXT) | instid1(VALU_DEP_3)
	v_cmp_ge_u32_e64 s3, v4, v6
	v_and_b32_e32 v13, 0xff, v13
	s_delay_alu instid0(VALU_DEP_3) | instskip(NEXT) | instid1(VALU_DEP_1)
	v_and_b32_e32 v14, 0xff, v14
	v_cmp_le_u16_e64 s2, v14, v13
	s_and_b32 s1, s1, s2
	s_delay_alu instid0(SALU_CYCLE_1) | instskip(NEXT) | instid1(SALU_CYCLE_1)
	s_or_b32 s1, s3, s1
	v_cndmask_b32_e64 v9, v4, v11, s1
	v_cndmask_b32_e64 v13, v6, s9, s1
	s_delay_alu instid0(VALU_DEP_2) | instskip(NEXT) | instid1(VALU_DEP_1)
	v_add_nc_u32_e32 v9, 1, v9
	v_add_min_u32_e64 v13, v13, -1, v9
	ds_load_u8 v13, v13
	s_wait_dscnt 0x0
	v_cndmask_b32_e64 v14, v13, v12, s1
	s_delay_alu instid0(VALU_DEP_1) | instskip(SKIP_2) | instid1(VALU_DEP_3)
	v_and_b32_e32 v15, v14, v3
	v_dual_cndmask_b32 v13, v10, v13, s1 :: v_dual_cndmask_b32 v4, v9, v4, s1
	v_cndmask_b32_e64 v11, v11, v9, s1
	v_and_b32_e32 v15, 0xff, v15
	s_delay_alu instid0(VALU_DEP_3) | instskip(NEXT) | instid1(VALU_DEP_4)
	v_and_b32_e32 v16, v13, v3
	v_cmp_ge_u32_e64 s4, v4, v6
	s_delay_alu instid0(VALU_DEP_4) | instskip(NEXT) | instid1(VALU_DEP_3)
	v_cmp_gt_u32_e64 s2, s9, v11
	v_and_b32_e32 v16, 0xff, v16
	s_delay_alu instid0(VALU_DEP_1) | instskip(SKIP_1) | instid1(SALU_CYCLE_1)
	v_cmp_le_u16_e64 s3, v16, v15
	s_and_b32 s2, s2, s3
	s_or_b32 s2, s4, s2
	s_delay_alu instid0(SALU_CYCLE_1) | instskip(SKIP_1) | instid1(VALU_DEP_2)
	v_cndmask_b32_e64 v9, v4, v11, s2
	v_cndmask_b32_e64 v15, v6, s9, s2
	v_add_nc_u32_e32 v9, 1, v9
	s_delay_alu instid0(VALU_DEP_1) | instskip(SKIP_4) | instid1(VALU_DEP_2)
	v_add_min_u32_e64 v15, v15, -1, v9
	ds_load_u8 v15, v15
	s_wait_dscnt 0x0
	v_dual_cndmask_b32 v16, v15, v14, s2 :: v_dual_cndmask_b32 v15, v13, v15, s2
	v_dual_cndmask_b32 v11, v11, v9, s2 :: v_dual_cndmask_b32 v4, v9, v4, s2
	v_and_b32_e32 v17, v16, v3
	s_delay_alu instid0(VALU_DEP_3) | instskip(NEXT) | instid1(VALU_DEP_3)
	v_and_b32_e32 v18, v15, v3
	v_cmp_gt_u32_e64 s3, s9, v11
	s_delay_alu instid0(VALU_DEP_4) | instskip(NEXT) | instid1(VALU_DEP_4)
	v_cmp_ge_u32_e64 s5, v4, v6
	v_and_b32_e32 v17, 0xff, v17
	s_delay_alu instid0(VALU_DEP_4) | instskip(NEXT) | instid1(VALU_DEP_1)
	v_and_b32_e32 v18, 0xff, v18
	v_cmp_le_u16_e64 s4, v18, v17
	s_and_b32 s3, s3, s4
	s_delay_alu instid0(SALU_CYCLE_1) | instskip(NEXT) | instid1(SALU_CYCLE_1)
	s_or_b32 s3, s5, s3
	v_cndmask_b32_e64 v9, v4, v11, s3
	v_cndmask_b32_e64 v17, v6, s9, s3
	s_delay_alu instid0(VALU_DEP_2) | instskip(NEXT) | instid1(VALU_DEP_1)
	v_add_nc_u32_e32 v9, 1, v9
	v_add_min_u32_e64 v17, v17, -1, v9
	ds_load_u8 v17, v17
	s_wait_dscnt 0x0
	v_cndmask_b32_e64 v18, v17, v16, s3
	s_delay_alu instid0(VALU_DEP_1) | instskip(SKIP_1) | instid1(VALU_DEP_2)
	v_dual_cndmask_b32 v17, v15, v17, s3 :: v_dual_bitop2_b32 v19, v18, v3 bitop3:0x40
	v_dual_cndmask_b32 v4, v9, v4, s3 :: v_dual_cndmask_b32 v11, v11, v9, s3
	v_and_b32_e32 v19, 0xff, v19
	s_delay_alu instid0(VALU_DEP_3) | instskip(NEXT) | instid1(VALU_DEP_3)
	v_and_b32_e32 v20, v17, v3
	v_cmp_ge_u32_e64 s6, v4, v6
	s_delay_alu instid0(VALU_DEP_4) | instskip(NEXT) | instid1(VALU_DEP_3)
	v_cmp_gt_u32_e64 s4, s9, v11
	v_and_b32_e32 v20, 0xff, v20
	s_delay_alu instid0(VALU_DEP_1) | instskip(SKIP_1) | instid1(SALU_CYCLE_1)
	v_cmp_le_u16_e64 s5, v20, v19
	s_and_b32 s4, s4, s5
	s_or_b32 s4, s6, s4
	s_delay_alu instid0(SALU_CYCLE_1) | instskip(SKIP_1) | instid1(VALU_DEP_2)
	v_cndmask_b32_e64 v9, v4, v11, s4
	v_cndmask_b32_e64 v19, v6, s9, s4
	v_add_nc_u32_e32 v9, 1, v9
	s_delay_alu instid0(VALU_DEP_1) | instskip(SKIP_4) | instid1(VALU_DEP_2)
	v_add_min_u32_e64 v19, v19, -1, v9
	ds_load_u8 v19, v19
	s_wait_dscnt 0x0
	v_dual_cndmask_b32 v20, v19, v18, s4 :: v_dual_cndmask_b32 v19, v17, v19, s4
	v_dual_cndmask_b32 v11, v11, v9, s4 :: v_dual_cndmask_b32 v4, v9, v4, s4
	v_and_b32_e32 v21, v20, v3
	s_delay_alu instid0(VALU_DEP_3) | instskip(NEXT) | instid1(VALU_DEP_3)
	v_and_b32_e32 v22, v19, v3
	v_cmp_gt_u32_e64 s5, s9, v11
	s_delay_alu instid0(VALU_DEP_4) | instskip(NEXT) | instid1(VALU_DEP_4)
	v_cmp_ge_u32_e64 s7, v4, v6
	v_and_b32_e32 v21, 0xff, v21
	s_delay_alu instid0(VALU_DEP_4) | instskip(NEXT) | instid1(VALU_DEP_1)
	v_and_b32_e32 v22, 0xff, v22
	v_cmp_le_u16_e64 s6, v22, v21
	s_and_b32 s5, s5, s6
	s_delay_alu instid0(SALU_CYCLE_1) | instskip(NEXT) | instid1(SALU_CYCLE_1)
	s_or_b32 s5, s7, s5
	v_cndmask_b32_e64 v9, v4, v11, s5
	v_cndmask_b32_e64 v21, v6, s9, s5
	s_delay_alu instid0(VALU_DEP_2) | instskip(NEXT) | instid1(VALU_DEP_1)
	v_add_nc_u32_e32 v9, 1, v9
	v_add_min_u32_e64 v21, v21, -1, v9
	ds_load_u8 v21, v21
	s_wait_dscnt 0x0
	v_dual_cndmask_b32 v22, v21, v20, s5 :: v_dual_cndmask_b32 v21, v19, v21, s5
	s_delay_alu instid0(VALU_DEP_1) | instskip(NEXT) | instid1(VALU_DEP_2)
	v_and_b32_e32 v23, v22, v3
	v_dual_cndmask_b32 v1, v11, v9, s5 :: v_dual_bitop2_b32 v3, v21, v3 bitop3:0x40
	v_dual_cndmask_b32 v7, v8, v7, s0 :: v_dual_cndmask_b32 v9, v9, v4, s5
	s_delay_alu instid0(VALU_DEP_3) | instskip(NEXT) | instid1(VALU_DEP_3)
	v_and_b32_e32 v11, 0xff, v23
	v_and_b32_e32 v3, 0xff, v3
	s_delay_alu instid0(VALU_DEP_4) | instskip(SKIP_2) | instid1(VALU_DEP_4)
	v_cmp_gt_u32_e32 vcc_lo, s9, v1
	v_dual_cndmask_b32 v8, v12, v10, s1 :: v_dual_cndmask_b32 v4, v14, v13, s2
	v_cmp_ge_u32_e64 s1, v9, v6
	v_cmp_le_u16_e64 s0, v3, v11
	v_dual_cndmask_b32 v1, v16, v15, s3 :: v_dual_cndmask_b32 v9, v18, v17, s4
	s_and_b32 s0, vcc_lo, s0
	s_delay_alu instid0(SALU_CYCLE_1) | instskip(NEXT) | instid1(SALU_CYCLE_1)
	s_or_b32 vcc_lo, s1, s0
	v_dual_cndmask_b32 v10, v20, v19, s5 :: v_dual_cndmask_b32 v11, v22, v21, vcc_lo
.LBB1818_31:
	s_or_b32 exec_lo, exec_lo, s11
	v_dual_mov_b32 v3, 0 :: v_dual_lshrrev_b32 v6, 2, v2
	v_perm_b32 v1, v1, v9, 0xc0c0004
	s_delay_alu instid0(VALU_DEP_3)
	v_perm_b32 v9, v10, v11, 0xc0c0004
	v_perm_b32 v0, v0, v7, 0xc0c0004
	;; [unrolled: 1-line block ×3, first 2 shown]
	v_and_b32_e32 v6, 0xfc, v6
	v_add_nc_u32_e32 v10, 0x80, v2
	v_add_nc_u32_e32 v8, 0x100, v2
	v_lshl_or_b32 v1, v9, 16, v1
	v_lshl_or_b32 v0, v4, 16, v0
	v_dual_add_nc_u32 v5, v6, v5 :: v_dual_lshrrev_b32 v4, 5, v2
	s_delay_alu instid0(VALU_DEP_4)
	v_dual_lshrrev_b32 v6, 5, v10 :: v_dual_lshrrev_b32 v7, 5, v8
	s_wait_dscnt 0x0
	s_barrier_signal -1
	s_barrier_wait -1
	s_barrier_signal -1
	s_barrier_wait -1
	ds_store_2addr_b32 v5, v0, v1 offset1:1
	v_and_b32_e32 v13, 60, v7
	v_add_nc_u32_e32 v9, 0x180, v2
	v_and_b32_e32 v11, 28, v4
	v_add_nc_u32_e32 v7, 0x200, v2
	;; [unrolled: 2-line block ×3, first 2 shown]
	v_add_nc_u32_e32 v5, 0x300, v2
	v_add_nc_u32_e32 v4, 0x380, v2
	v_dual_lshrrev_b32 v0, 5, v9 :: v_dual_lshrrev_b32 v1, 5, v7
	s_delay_alu instid0(VALU_DEP_3) | instskip(NEXT) | instid1(VALU_DEP_3)
	v_dual_lshrrev_b32 v14, 5, v6 :: v_dual_lshrrev_b32 v15, 5, v5
	v_lshrrev_b32_e32 v16, 5, v4
	s_mov_b32 s11, 0
	s_delay_alu instid0(VALU_DEP_3) | instskip(SKIP_2) | instid1(VALU_DEP_3)
	v_dual_add_nc_u32 v12, v12, v2 :: v_dual_bitop2_b32 v17, 60, v0 bitop3:0x40
	v_dual_add_nc_u32 v13, v13, v2 :: v_dual_bitop2_b32 v18, 60, v1 bitop3:0x40
	v_and_b32_e32 v19, 60, v14
	v_dual_add_nc_u32 v14, v17, v2 :: v_dual_bitop2_b32 v20, 60, v15 bitop3:0x40
	s_delay_alu instid0(VALU_DEP_3) | instskip(SKIP_1) | instid1(VALU_DEP_2)
	v_dual_add_nc_u32 v15, v18, v2 :: v_dual_bitop2_b32 v21, 60, v16 bitop3:0x40
	s_add_nc_u64 s[0:1], s[14:15], s[10:11]
	v_dual_add_nc_u32 v16, v19, v2 :: v_dual_add_nc_u32 v17, v20, v2
	v_add_nc_u64_e32 v[0:1], s[0:1], v[2:3]
	s_delay_alu instid0(VALU_DEP_3)
	v_add_nc_u32_e32 v18, v21, v2
	s_and_b32 vcc_lo, exec_lo, s16
	s_wait_dscnt 0x0
	s_cbranch_vccz .LBB1818_33
; %bb.32:
	v_add_nc_u32_e32 v3, v11, v2
	s_barrier_signal -1
	s_barrier_wait -1
	ds_load_u8 v19, v3
	ds_load_u8 v20, v12 offset:128
	ds_load_u8 v21, v13 offset:256
	;; [unrolled: 1-line block ×7, first 2 shown]
	s_mov_b32 s11, -1
	s_wait_dscnt 0x7
	global_store_b8 v[0:1], v19, off
	s_wait_dscnt 0x6
	global_store_b8 v[0:1], v20, off offset:128
	s_wait_dscnt 0x5
	global_store_b8 v[0:1], v21, off offset:256
	;; [unrolled: 2-line block ×6, first 2 shown]
	s_cbranch_execz .LBB1818_34
	s_branch .LBB1818_43
.LBB1818_33:
                                        ; implicit-def: $vgpr3
.LBB1818_34:
	s_barrier_signal -1
	s_barrier_wait -1
	s_wait_storecnt_dscnt 0x0
	s_wait_xcnt 0x4
	ds_load_u8 v21, v12 offset:128
	ds_load_u8 v20, v13 offset:256
	;; [unrolled: 1-line block ×7, first 2 shown]
	s_sub_co_i32 s0, s8, s10
	s_mov_b32 s1, exec_lo
	s_wait_xcnt 0x0
	v_cmpx_gt_u32_e64 s0, v2
	s_cbranch_execnz .LBB1818_46
; %bb.35:
	s_or_b32 exec_lo, exec_lo, s1
	s_delay_alu instid0(SALU_CYCLE_1)
	s_mov_b32 s1, exec_lo
	v_cmpx_gt_u32_e64 s0, v10
	s_cbranch_execnz .LBB1818_47
.LBB1818_36:
	s_or_b32 exec_lo, exec_lo, s1
	s_delay_alu instid0(SALU_CYCLE_1)
	s_mov_b32 s1, exec_lo
	v_cmpx_gt_u32_e64 s0, v8
	s_cbranch_execnz .LBB1818_48
.LBB1818_37:
	s_or_b32 exec_lo, exec_lo, s1
	s_delay_alu instid0(SALU_CYCLE_1)
	s_mov_b32 s1, exec_lo
	v_cmpx_gt_u32_e64 s0, v9
	s_cbranch_execnz .LBB1818_49
.LBB1818_38:
	s_or_b32 exec_lo, exec_lo, s1
	s_delay_alu instid0(SALU_CYCLE_1)
	s_mov_b32 s1, exec_lo
	v_cmpx_gt_u32_e64 s0, v7
	s_cbranch_execnz .LBB1818_50
.LBB1818_39:
	s_or_b32 exec_lo, exec_lo, s1
	s_delay_alu instid0(SALU_CYCLE_1)
	s_mov_b32 s1, exec_lo
	v_cmpx_gt_u32_e64 s0, v6
	s_cbranch_execnz .LBB1818_51
.LBB1818_40:
	s_or_b32 exec_lo, exec_lo, s1
	s_delay_alu instid0(SALU_CYCLE_1)
	s_mov_b32 s1, exec_lo
	v_cmpx_gt_u32_e64 s0, v5
	s_cbranch_execz .LBB1818_42
.LBB1818_41:
	s_wait_dscnt 0x1
	global_store_b8 v[0:1], v12, off offset:768
.LBB1818_42:
	s_wait_xcnt 0x0
	s_or_b32 exec_lo, exec_lo, s1
	v_cmp_gt_u32_e64 s11, s0, v4
.LBB1818_43:
	s_wait_xcnt 0x0
	s_delay_alu instid0(VALU_DEP_1)
	s_and_saveexec_b32 s0, s11
	s_cbranch_execz .LBB1818_45
; %bb.44:
	s_wait_dscnt 0x0
	global_store_b8 v[0:1], v3, off offset:896
.LBB1818_45:
	s_endpgm
.LBB1818_46:
	v_add_nc_u32_e32 v2, v11, v2
	ds_load_u8 v2, v2
	s_wait_dscnt 0x0
	global_store_b8 v[0:1], v2, off
	s_wait_xcnt 0x0
	s_or_b32 exec_lo, exec_lo, s1
	s_delay_alu instid0(SALU_CYCLE_1)
	s_mov_b32 s1, exec_lo
	v_cmpx_gt_u32_e64 s0, v10
	s_cbranch_execz .LBB1818_36
.LBB1818_47:
	s_wait_dscnt 0x6
	global_store_b8 v[0:1], v21, off offset:128
	s_wait_xcnt 0x0
	s_or_b32 exec_lo, exec_lo, s1
	s_delay_alu instid0(SALU_CYCLE_1)
	s_mov_b32 s1, exec_lo
	v_cmpx_gt_u32_e64 s0, v8
	s_cbranch_execz .LBB1818_37
.LBB1818_48:
	s_wait_dscnt 0x5
	global_store_b8 v[0:1], v20, off offset:256
	s_wait_xcnt 0x0
	s_or_b32 exec_lo, exec_lo, s1
	s_delay_alu instid0(SALU_CYCLE_1)
	s_mov_b32 s1, exec_lo
	v_cmpx_gt_u32_e64 s0, v9
	s_cbranch_execz .LBB1818_38
.LBB1818_49:
	s_wait_dscnt 0x4
	global_store_b8 v[0:1], v19, off offset:384
	s_wait_xcnt 0x0
	s_or_b32 exec_lo, exec_lo, s1
	s_delay_alu instid0(SALU_CYCLE_1)
	s_mov_b32 s1, exec_lo
	v_cmpx_gt_u32_e64 s0, v7
	s_cbranch_execz .LBB1818_39
.LBB1818_50:
	s_wait_dscnt 0x3
	global_store_b8 v[0:1], v14, off offset:512
	s_wait_xcnt 0x0
	s_or_b32 exec_lo, exec_lo, s1
	s_delay_alu instid0(SALU_CYCLE_1)
	s_mov_b32 s1, exec_lo
	v_cmpx_gt_u32_e64 s0, v6
	s_cbranch_execz .LBB1818_40
.LBB1818_51:
	s_wait_dscnt 0x2
	global_store_b8 v[0:1], v13, off offset:640
	s_wait_xcnt 0x0
	s_or_b32 exec_lo, exec_lo, s1
	s_delay_alu instid0(SALU_CYCLE_1)
	s_mov_b32 s1, exec_lo
	v_cmpx_gt_u32_e64 s0, v5
	s_cbranch_execnz .LBB1818_41
	s_branch .LBB1818_42
	.section	.rodata,"a",@progbits
	.p2align	6, 0x0
	.amdhsa_kernel _ZN7rocprim17ROCPRIM_400000_NS6detail17trampoline_kernelINS0_14default_configENS1_38merge_sort_block_merge_config_selectorIbNS0_10empty_typeEEEZZNS1_27merge_sort_block_merge_implIS3_PbPS5_jNS1_19radix_merge_compareILb0ELb1EbNS0_19identity_decomposerEEEEE10hipError_tT0_T1_T2_jT3_P12ihipStream_tbPNSt15iterator_traitsISE_E10value_typeEPNSK_ISF_E10value_typeEPSG_NS1_7vsmem_tEENKUlT_SE_SF_SG_E_clIS8_S8_S9_S9_EESD_ST_SE_SF_SG_EUlST_E0_NS1_11comp_targetILNS1_3genE0ELNS1_11target_archE4294967295ELNS1_3gpuE0ELNS1_3repE0EEENS1_38merge_mergepath_config_static_selectorELNS0_4arch9wavefront6targetE0EEEvSF_
		.amdhsa_group_segment_fixed_size 1568
		.amdhsa_private_segment_fixed_size 0
		.amdhsa_kernarg_size 320
		.amdhsa_user_sgpr_count 4
		.amdhsa_user_sgpr_dispatch_ptr 1
		.amdhsa_user_sgpr_queue_ptr 0
		.amdhsa_user_sgpr_kernarg_segment_ptr 1
		.amdhsa_user_sgpr_dispatch_id 0
		.amdhsa_user_sgpr_kernarg_preload_length 0
		.amdhsa_user_sgpr_kernarg_preload_offset 0
		.amdhsa_user_sgpr_private_segment_size 0
		.amdhsa_wavefront_size32 1
		.amdhsa_uses_dynamic_stack 0
		.amdhsa_enable_private_segment 0
		.amdhsa_system_sgpr_workgroup_id_x 1
		.amdhsa_system_sgpr_workgroup_id_y 1
		.amdhsa_system_sgpr_workgroup_id_z 1
		.amdhsa_system_sgpr_workgroup_info 0
		.amdhsa_system_vgpr_workitem_id 2
		.amdhsa_next_free_vgpr 26
		.amdhsa_next_free_sgpr 22
		.amdhsa_named_barrier_count 0
		.amdhsa_reserve_vcc 1
		.amdhsa_float_round_mode_32 0
		.amdhsa_float_round_mode_16_64 0
		.amdhsa_float_denorm_mode_32 3
		.amdhsa_float_denorm_mode_16_64 3
		.amdhsa_fp16_overflow 0
		.amdhsa_memory_ordered 1
		.amdhsa_forward_progress 1
		.amdhsa_inst_pref_size 36
		.amdhsa_round_robin_scheduling 0
		.amdhsa_exception_fp_ieee_invalid_op 0
		.amdhsa_exception_fp_denorm_src 0
		.amdhsa_exception_fp_ieee_div_zero 0
		.amdhsa_exception_fp_ieee_overflow 0
		.amdhsa_exception_fp_ieee_underflow 0
		.amdhsa_exception_fp_ieee_inexact 0
		.amdhsa_exception_int_div_zero 0
	.end_amdhsa_kernel
	.section	.text._ZN7rocprim17ROCPRIM_400000_NS6detail17trampoline_kernelINS0_14default_configENS1_38merge_sort_block_merge_config_selectorIbNS0_10empty_typeEEEZZNS1_27merge_sort_block_merge_implIS3_PbPS5_jNS1_19radix_merge_compareILb0ELb1EbNS0_19identity_decomposerEEEEE10hipError_tT0_T1_T2_jT3_P12ihipStream_tbPNSt15iterator_traitsISE_E10value_typeEPNSK_ISF_E10value_typeEPSG_NS1_7vsmem_tEENKUlT_SE_SF_SG_E_clIS8_S8_S9_S9_EESD_ST_SE_SF_SG_EUlST_E0_NS1_11comp_targetILNS1_3genE0ELNS1_11target_archE4294967295ELNS1_3gpuE0ELNS1_3repE0EEENS1_38merge_mergepath_config_static_selectorELNS0_4arch9wavefront6targetE0EEEvSF_,"axG",@progbits,_ZN7rocprim17ROCPRIM_400000_NS6detail17trampoline_kernelINS0_14default_configENS1_38merge_sort_block_merge_config_selectorIbNS0_10empty_typeEEEZZNS1_27merge_sort_block_merge_implIS3_PbPS5_jNS1_19radix_merge_compareILb0ELb1EbNS0_19identity_decomposerEEEEE10hipError_tT0_T1_T2_jT3_P12ihipStream_tbPNSt15iterator_traitsISE_E10value_typeEPNSK_ISF_E10value_typeEPSG_NS1_7vsmem_tEENKUlT_SE_SF_SG_E_clIS8_S8_S9_S9_EESD_ST_SE_SF_SG_EUlST_E0_NS1_11comp_targetILNS1_3genE0ELNS1_11target_archE4294967295ELNS1_3gpuE0ELNS1_3repE0EEENS1_38merge_mergepath_config_static_selectorELNS0_4arch9wavefront6targetE0EEEvSF_,comdat
.Lfunc_end1818:
	.size	_ZN7rocprim17ROCPRIM_400000_NS6detail17trampoline_kernelINS0_14default_configENS1_38merge_sort_block_merge_config_selectorIbNS0_10empty_typeEEEZZNS1_27merge_sort_block_merge_implIS3_PbPS5_jNS1_19radix_merge_compareILb0ELb1EbNS0_19identity_decomposerEEEEE10hipError_tT0_T1_T2_jT3_P12ihipStream_tbPNSt15iterator_traitsISE_E10value_typeEPNSK_ISF_E10value_typeEPSG_NS1_7vsmem_tEENKUlT_SE_SF_SG_E_clIS8_S8_S9_S9_EESD_ST_SE_SF_SG_EUlST_E0_NS1_11comp_targetILNS1_3genE0ELNS1_11target_archE4294967295ELNS1_3gpuE0ELNS1_3repE0EEENS1_38merge_mergepath_config_static_selectorELNS0_4arch9wavefront6targetE0EEEvSF_, .Lfunc_end1818-_ZN7rocprim17ROCPRIM_400000_NS6detail17trampoline_kernelINS0_14default_configENS1_38merge_sort_block_merge_config_selectorIbNS0_10empty_typeEEEZZNS1_27merge_sort_block_merge_implIS3_PbPS5_jNS1_19radix_merge_compareILb0ELb1EbNS0_19identity_decomposerEEEEE10hipError_tT0_T1_T2_jT3_P12ihipStream_tbPNSt15iterator_traitsISE_E10value_typeEPNSK_ISF_E10value_typeEPSG_NS1_7vsmem_tEENKUlT_SE_SF_SG_E_clIS8_S8_S9_S9_EESD_ST_SE_SF_SG_EUlST_E0_NS1_11comp_targetILNS1_3genE0ELNS1_11target_archE4294967295ELNS1_3gpuE0ELNS1_3repE0EEENS1_38merge_mergepath_config_static_selectorELNS0_4arch9wavefront6targetE0EEEvSF_
                                        ; -- End function
	.set _ZN7rocprim17ROCPRIM_400000_NS6detail17trampoline_kernelINS0_14default_configENS1_38merge_sort_block_merge_config_selectorIbNS0_10empty_typeEEEZZNS1_27merge_sort_block_merge_implIS3_PbPS5_jNS1_19radix_merge_compareILb0ELb1EbNS0_19identity_decomposerEEEEE10hipError_tT0_T1_T2_jT3_P12ihipStream_tbPNSt15iterator_traitsISE_E10value_typeEPNSK_ISF_E10value_typeEPSG_NS1_7vsmem_tEENKUlT_SE_SF_SG_E_clIS8_S8_S9_S9_EESD_ST_SE_SF_SG_EUlST_E0_NS1_11comp_targetILNS1_3genE0ELNS1_11target_archE4294967295ELNS1_3gpuE0ELNS1_3repE0EEENS1_38merge_mergepath_config_static_selectorELNS0_4arch9wavefront6targetE0EEEvSF_.num_vgpr, 26
	.set _ZN7rocprim17ROCPRIM_400000_NS6detail17trampoline_kernelINS0_14default_configENS1_38merge_sort_block_merge_config_selectorIbNS0_10empty_typeEEEZZNS1_27merge_sort_block_merge_implIS3_PbPS5_jNS1_19radix_merge_compareILb0ELb1EbNS0_19identity_decomposerEEEEE10hipError_tT0_T1_T2_jT3_P12ihipStream_tbPNSt15iterator_traitsISE_E10value_typeEPNSK_ISF_E10value_typeEPSG_NS1_7vsmem_tEENKUlT_SE_SF_SG_E_clIS8_S8_S9_S9_EESD_ST_SE_SF_SG_EUlST_E0_NS1_11comp_targetILNS1_3genE0ELNS1_11target_archE4294967295ELNS1_3gpuE0ELNS1_3repE0EEENS1_38merge_mergepath_config_static_selectorELNS0_4arch9wavefront6targetE0EEEvSF_.num_agpr, 0
	.set _ZN7rocprim17ROCPRIM_400000_NS6detail17trampoline_kernelINS0_14default_configENS1_38merge_sort_block_merge_config_selectorIbNS0_10empty_typeEEEZZNS1_27merge_sort_block_merge_implIS3_PbPS5_jNS1_19radix_merge_compareILb0ELb1EbNS0_19identity_decomposerEEEEE10hipError_tT0_T1_T2_jT3_P12ihipStream_tbPNSt15iterator_traitsISE_E10value_typeEPNSK_ISF_E10value_typeEPSG_NS1_7vsmem_tEENKUlT_SE_SF_SG_E_clIS8_S8_S9_S9_EESD_ST_SE_SF_SG_EUlST_E0_NS1_11comp_targetILNS1_3genE0ELNS1_11target_archE4294967295ELNS1_3gpuE0ELNS1_3repE0EEENS1_38merge_mergepath_config_static_selectorELNS0_4arch9wavefront6targetE0EEEvSF_.numbered_sgpr, 22
	.set _ZN7rocprim17ROCPRIM_400000_NS6detail17trampoline_kernelINS0_14default_configENS1_38merge_sort_block_merge_config_selectorIbNS0_10empty_typeEEEZZNS1_27merge_sort_block_merge_implIS3_PbPS5_jNS1_19radix_merge_compareILb0ELb1EbNS0_19identity_decomposerEEEEE10hipError_tT0_T1_T2_jT3_P12ihipStream_tbPNSt15iterator_traitsISE_E10value_typeEPNSK_ISF_E10value_typeEPSG_NS1_7vsmem_tEENKUlT_SE_SF_SG_E_clIS8_S8_S9_S9_EESD_ST_SE_SF_SG_EUlST_E0_NS1_11comp_targetILNS1_3genE0ELNS1_11target_archE4294967295ELNS1_3gpuE0ELNS1_3repE0EEENS1_38merge_mergepath_config_static_selectorELNS0_4arch9wavefront6targetE0EEEvSF_.num_named_barrier, 0
	.set _ZN7rocprim17ROCPRIM_400000_NS6detail17trampoline_kernelINS0_14default_configENS1_38merge_sort_block_merge_config_selectorIbNS0_10empty_typeEEEZZNS1_27merge_sort_block_merge_implIS3_PbPS5_jNS1_19radix_merge_compareILb0ELb1EbNS0_19identity_decomposerEEEEE10hipError_tT0_T1_T2_jT3_P12ihipStream_tbPNSt15iterator_traitsISE_E10value_typeEPNSK_ISF_E10value_typeEPSG_NS1_7vsmem_tEENKUlT_SE_SF_SG_E_clIS8_S8_S9_S9_EESD_ST_SE_SF_SG_EUlST_E0_NS1_11comp_targetILNS1_3genE0ELNS1_11target_archE4294967295ELNS1_3gpuE0ELNS1_3repE0EEENS1_38merge_mergepath_config_static_selectorELNS0_4arch9wavefront6targetE0EEEvSF_.private_seg_size, 0
	.set _ZN7rocprim17ROCPRIM_400000_NS6detail17trampoline_kernelINS0_14default_configENS1_38merge_sort_block_merge_config_selectorIbNS0_10empty_typeEEEZZNS1_27merge_sort_block_merge_implIS3_PbPS5_jNS1_19radix_merge_compareILb0ELb1EbNS0_19identity_decomposerEEEEE10hipError_tT0_T1_T2_jT3_P12ihipStream_tbPNSt15iterator_traitsISE_E10value_typeEPNSK_ISF_E10value_typeEPSG_NS1_7vsmem_tEENKUlT_SE_SF_SG_E_clIS8_S8_S9_S9_EESD_ST_SE_SF_SG_EUlST_E0_NS1_11comp_targetILNS1_3genE0ELNS1_11target_archE4294967295ELNS1_3gpuE0ELNS1_3repE0EEENS1_38merge_mergepath_config_static_selectorELNS0_4arch9wavefront6targetE0EEEvSF_.uses_vcc, 1
	.set _ZN7rocprim17ROCPRIM_400000_NS6detail17trampoline_kernelINS0_14default_configENS1_38merge_sort_block_merge_config_selectorIbNS0_10empty_typeEEEZZNS1_27merge_sort_block_merge_implIS3_PbPS5_jNS1_19radix_merge_compareILb0ELb1EbNS0_19identity_decomposerEEEEE10hipError_tT0_T1_T2_jT3_P12ihipStream_tbPNSt15iterator_traitsISE_E10value_typeEPNSK_ISF_E10value_typeEPSG_NS1_7vsmem_tEENKUlT_SE_SF_SG_E_clIS8_S8_S9_S9_EESD_ST_SE_SF_SG_EUlST_E0_NS1_11comp_targetILNS1_3genE0ELNS1_11target_archE4294967295ELNS1_3gpuE0ELNS1_3repE0EEENS1_38merge_mergepath_config_static_selectorELNS0_4arch9wavefront6targetE0EEEvSF_.uses_flat_scratch, 0
	.set _ZN7rocprim17ROCPRIM_400000_NS6detail17trampoline_kernelINS0_14default_configENS1_38merge_sort_block_merge_config_selectorIbNS0_10empty_typeEEEZZNS1_27merge_sort_block_merge_implIS3_PbPS5_jNS1_19radix_merge_compareILb0ELb1EbNS0_19identity_decomposerEEEEE10hipError_tT0_T1_T2_jT3_P12ihipStream_tbPNSt15iterator_traitsISE_E10value_typeEPNSK_ISF_E10value_typeEPSG_NS1_7vsmem_tEENKUlT_SE_SF_SG_E_clIS8_S8_S9_S9_EESD_ST_SE_SF_SG_EUlST_E0_NS1_11comp_targetILNS1_3genE0ELNS1_11target_archE4294967295ELNS1_3gpuE0ELNS1_3repE0EEENS1_38merge_mergepath_config_static_selectorELNS0_4arch9wavefront6targetE0EEEvSF_.has_dyn_sized_stack, 0
	.set _ZN7rocprim17ROCPRIM_400000_NS6detail17trampoline_kernelINS0_14default_configENS1_38merge_sort_block_merge_config_selectorIbNS0_10empty_typeEEEZZNS1_27merge_sort_block_merge_implIS3_PbPS5_jNS1_19radix_merge_compareILb0ELb1EbNS0_19identity_decomposerEEEEE10hipError_tT0_T1_T2_jT3_P12ihipStream_tbPNSt15iterator_traitsISE_E10value_typeEPNSK_ISF_E10value_typeEPSG_NS1_7vsmem_tEENKUlT_SE_SF_SG_E_clIS8_S8_S9_S9_EESD_ST_SE_SF_SG_EUlST_E0_NS1_11comp_targetILNS1_3genE0ELNS1_11target_archE4294967295ELNS1_3gpuE0ELNS1_3repE0EEENS1_38merge_mergepath_config_static_selectorELNS0_4arch9wavefront6targetE0EEEvSF_.has_recursion, 0
	.set _ZN7rocprim17ROCPRIM_400000_NS6detail17trampoline_kernelINS0_14default_configENS1_38merge_sort_block_merge_config_selectorIbNS0_10empty_typeEEEZZNS1_27merge_sort_block_merge_implIS3_PbPS5_jNS1_19radix_merge_compareILb0ELb1EbNS0_19identity_decomposerEEEEE10hipError_tT0_T1_T2_jT3_P12ihipStream_tbPNSt15iterator_traitsISE_E10value_typeEPNSK_ISF_E10value_typeEPSG_NS1_7vsmem_tEENKUlT_SE_SF_SG_E_clIS8_S8_S9_S9_EESD_ST_SE_SF_SG_EUlST_E0_NS1_11comp_targetILNS1_3genE0ELNS1_11target_archE4294967295ELNS1_3gpuE0ELNS1_3repE0EEENS1_38merge_mergepath_config_static_selectorELNS0_4arch9wavefront6targetE0EEEvSF_.has_indirect_call, 0
	.section	.AMDGPU.csdata,"",@progbits
; Kernel info:
; codeLenInByte = 4564
; TotalNumSgprs: 24
; NumVgprs: 26
; ScratchSize: 0
; MemoryBound: 0
; FloatMode: 240
; IeeeMode: 1
; LDSByteSize: 1568 bytes/workgroup (compile time only)
; SGPRBlocks: 0
; VGPRBlocks: 1
; NumSGPRsForWavesPerEU: 24
; NumVGPRsForWavesPerEU: 26
; NamedBarCnt: 0
; Occupancy: 16
; WaveLimiterHint : 1
; COMPUTE_PGM_RSRC2:SCRATCH_EN: 0
; COMPUTE_PGM_RSRC2:USER_SGPR: 4
; COMPUTE_PGM_RSRC2:TRAP_HANDLER: 0
; COMPUTE_PGM_RSRC2:TGID_X_EN: 1
; COMPUTE_PGM_RSRC2:TGID_Y_EN: 1
; COMPUTE_PGM_RSRC2:TGID_Z_EN: 1
; COMPUTE_PGM_RSRC2:TIDIG_COMP_CNT: 2
	.section	.text._ZN7rocprim17ROCPRIM_400000_NS6detail17trampoline_kernelINS0_14default_configENS1_38merge_sort_block_merge_config_selectorIbNS0_10empty_typeEEEZZNS1_27merge_sort_block_merge_implIS3_PbPS5_jNS1_19radix_merge_compareILb0ELb1EbNS0_19identity_decomposerEEEEE10hipError_tT0_T1_T2_jT3_P12ihipStream_tbPNSt15iterator_traitsISE_E10value_typeEPNSK_ISF_E10value_typeEPSG_NS1_7vsmem_tEENKUlT_SE_SF_SG_E_clIS8_S8_S9_S9_EESD_ST_SE_SF_SG_EUlST_E0_NS1_11comp_targetILNS1_3genE10ELNS1_11target_archE1201ELNS1_3gpuE5ELNS1_3repE0EEENS1_38merge_mergepath_config_static_selectorELNS0_4arch9wavefront6targetE0EEEvSF_,"axG",@progbits,_ZN7rocprim17ROCPRIM_400000_NS6detail17trampoline_kernelINS0_14default_configENS1_38merge_sort_block_merge_config_selectorIbNS0_10empty_typeEEEZZNS1_27merge_sort_block_merge_implIS3_PbPS5_jNS1_19radix_merge_compareILb0ELb1EbNS0_19identity_decomposerEEEEE10hipError_tT0_T1_T2_jT3_P12ihipStream_tbPNSt15iterator_traitsISE_E10value_typeEPNSK_ISF_E10value_typeEPSG_NS1_7vsmem_tEENKUlT_SE_SF_SG_E_clIS8_S8_S9_S9_EESD_ST_SE_SF_SG_EUlST_E0_NS1_11comp_targetILNS1_3genE10ELNS1_11target_archE1201ELNS1_3gpuE5ELNS1_3repE0EEENS1_38merge_mergepath_config_static_selectorELNS0_4arch9wavefront6targetE0EEEvSF_,comdat
	.protected	_ZN7rocprim17ROCPRIM_400000_NS6detail17trampoline_kernelINS0_14default_configENS1_38merge_sort_block_merge_config_selectorIbNS0_10empty_typeEEEZZNS1_27merge_sort_block_merge_implIS3_PbPS5_jNS1_19radix_merge_compareILb0ELb1EbNS0_19identity_decomposerEEEEE10hipError_tT0_T1_T2_jT3_P12ihipStream_tbPNSt15iterator_traitsISE_E10value_typeEPNSK_ISF_E10value_typeEPSG_NS1_7vsmem_tEENKUlT_SE_SF_SG_E_clIS8_S8_S9_S9_EESD_ST_SE_SF_SG_EUlST_E0_NS1_11comp_targetILNS1_3genE10ELNS1_11target_archE1201ELNS1_3gpuE5ELNS1_3repE0EEENS1_38merge_mergepath_config_static_selectorELNS0_4arch9wavefront6targetE0EEEvSF_ ; -- Begin function _ZN7rocprim17ROCPRIM_400000_NS6detail17trampoline_kernelINS0_14default_configENS1_38merge_sort_block_merge_config_selectorIbNS0_10empty_typeEEEZZNS1_27merge_sort_block_merge_implIS3_PbPS5_jNS1_19radix_merge_compareILb0ELb1EbNS0_19identity_decomposerEEEEE10hipError_tT0_T1_T2_jT3_P12ihipStream_tbPNSt15iterator_traitsISE_E10value_typeEPNSK_ISF_E10value_typeEPSG_NS1_7vsmem_tEENKUlT_SE_SF_SG_E_clIS8_S8_S9_S9_EESD_ST_SE_SF_SG_EUlST_E0_NS1_11comp_targetILNS1_3genE10ELNS1_11target_archE1201ELNS1_3gpuE5ELNS1_3repE0EEENS1_38merge_mergepath_config_static_selectorELNS0_4arch9wavefront6targetE0EEEvSF_
	.globl	_ZN7rocprim17ROCPRIM_400000_NS6detail17trampoline_kernelINS0_14default_configENS1_38merge_sort_block_merge_config_selectorIbNS0_10empty_typeEEEZZNS1_27merge_sort_block_merge_implIS3_PbPS5_jNS1_19radix_merge_compareILb0ELb1EbNS0_19identity_decomposerEEEEE10hipError_tT0_T1_T2_jT3_P12ihipStream_tbPNSt15iterator_traitsISE_E10value_typeEPNSK_ISF_E10value_typeEPSG_NS1_7vsmem_tEENKUlT_SE_SF_SG_E_clIS8_S8_S9_S9_EESD_ST_SE_SF_SG_EUlST_E0_NS1_11comp_targetILNS1_3genE10ELNS1_11target_archE1201ELNS1_3gpuE5ELNS1_3repE0EEENS1_38merge_mergepath_config_static_selectorELNS0_4arch9wavefront6targetE0EEEvSF_
	.p2align	8
	.type	_ZN7rocprim17ROCPRIM_400000_NS6detail17trampoline_kernelINS0_14default_configENS1_38merge_sort_block_merge_config_selectorIbNS0_10empty_typeEEEZZNS1_27merge_sort_block_merge_implIS3_PbPS5_jNS1_19radix_merge_compareILb0ELb1EbNS0_19identity_decomposerEEEEE10hipError_tT0_T1_T2_jT3_P12ihipStream_tbPNSt15iterator_traitsISE_E10value_typeEPNSK_ISF_E10value_typeEPSG_NS1_7vsmem_tEENKUlT_SE_SF_SG_E_clIS8_S8_S9_S9_EESD_ST_SE_SF_SG_EUlST_E0_NS1_11comp_targetILNS1_3genE10ELNS1_11target_archE1201ELNS1_3gpuE5ELNS1_3repE0EEENS1_38merge_mergepath_config_static_selectorELNS0_4arch9wavefront6targetE0EEEvSF_,@function
_ZN7rocprim17ROCPRIM_400000_NS6detail17trampoline_kernelINS0_14default_configENS1_38merge_sort_block_merge_config_selectorIbNS0_10empty_typeEEEZZNS1_27merge_sort_block_merge_implIS3_PbPS5_jNS1_19radix_merge_compareILb0ELb1EbNS0_19identity_decomposerEEEEE10hipError_tT0_T1_T2_jT3_P12ihipStream_tbPNSt15iterator_traitsISE_E10value_typeEPNSK_ISF_E10value_typeEPSG_NS1_7vsmem_tEENKUlT_SE_SF_SG_E_clIS8_S8_S9_S9_EESD_ST_SE_SF_SG_EUlST_E0_NS1_11comp_targetILNS1_3genE10ELNS1_11target_archE1201ELNS1_3gpuE5ELNS1_3repE0EEENS1_38merge_mergepath_config_static_selectorELNS0_4arch9wavefront6targetE0EEEvSF_: ; @_ZN7rocprim17ROCPRIM_400000_NS6detail17trampoline_kernelINS0_14default_configENS1_38merge_sort_block_merge_config_selectorIbNS0_10empty_typeEEEZZNS1_27merge_sort_block_merge_implIS3_PbPS5_jNS1_19radix_merge_compareILb0ELb1EbNS0_19identity_decomposerEEEEE10hipError_tT0_T1_T2_jT3_P12ihipStream_tbPNSt15iterator_traitsISE_E10value_typeEPNSK_ISF_E10value_typeEPSG_NS1_7vsmem_tEENKUlT_SE_SF_SG_E_clIS8_S8_S9_S9_EESD_ST_SE_SF_SG_EUlST_E0_NS1_11comp_targetILNS1_3genE10ELNS1_11target_archE1201ELNS1_3gpuE5ELNS1_3repE0EEENS1_38merge_mergepath_config_static_selectorELNS0_4arch9wavefront6targetE0EEEvSF_
; %bb.0:
	.section	.rodata,"a",@progbits
	.p2align	6, 0x0
	.amdhsa_kernel _ZN7rocprim17ROCPRIM_400000_NS6detail17trampoline_kernelINS0_14default_configENS1_38merge_sort_block_merge_config_selectorIbNS0_10empty_typeEEEZZNS1_27merge_sort_block_merge_implIS3_PbPS5_jNS1_19radix_merge_compareILb0ELb1EbNS0_19identity_decomposerEEEEE10hipError_tT0_T1_T2_jT3_P12ihipStream_tbPNSt15iterator_traitsISE_E10value_typeEPNSK_ISF_E10value_typeEPSG_NS1_7vsmem_tEENKUlT_SE_SF_SG_E_clIS8_S8_S9_S9_EESD_ST_SE_SF_SG_EUlST_E0_NS1_11comp_targetILNS1_3genE10ELNS1_11target_archE1201ELNS1_3gpuE5ELNS1_3repE0EEENS1_38merge_mergepath_config_static_selectorELNS0_4arch9wavefront6targetE0EEEvSF_
		.amdhsa_group_segment_fixed_size 0
		.amdhsa_private_segment_fixed_size 0
		.amdhsa_kernarg_size 64
		.amdhsa_user_sgpr_count 2
		.amdhsa_user_sgpr_dispatch_ptr 0
		.amdhsa_user_sgpr_queue_ptr 0
		.amdhsa_user_sgpr_kernarg_segment_ptr 1
		.amdhsa_user_sgpr_dispatch_id 0
		.amdhsa_user_sgpr_kernarg_preload_length 0
		.amdhsa_user_sgpr_kernarg_preload_offset 0
		.amdhsa_user_sgpr_private_segment_size 0
		.amdhsa_wavefront_size32 1
		.amdhsa_uses_dynamic_stack 0
		.amdhsa_enable_private_segment 0
		.amdhsa_system_sgpr_workgroup_id_x 1
		.amdhsa_system_sgpr_workgroup_id_y 0
		.amdhsa_system_sgpr_workgroup_id_z 0
		.amdhsa_system_sgpr_workgroup_info 0
		.amdhsa_system_vgpr_workitem_id 0
		.amdhsa_next_free_vgpr 1
		.amdhsa_next_free_sgpr 1
		.amdhsa_named_barrier_count 0
		.amdhsa_reserve_vcc 0
		.amdhsa_float_round_mode_32 0
		.amdhsa_float_round_mode_16_64 0
		.amdhsa_float_denorm_mode_32 3
		.amdhsa_float_denorm_mode_16_64 3
		.amdhsa_fp16_overflow 0
		.amdhsa_memory_ordered 1
		.amdhsa_forward_progress 1
		.amdhsa_inst_pref_size 0
		.amdhsa_round_robin_scheduling 0
		.amdhsa_exception_fp_ieee_invalid_op 0
		.amdhsa_exception_fp_denorm_src 0
		.amdhsa_exception_fp_ieee_div_zero 0
		.amdhsa_exception_fp_ieee_overflow 0
		.amdhsa_exception_fp_ieee_underflow 0
		.amdhsa_exception_fp_ieee_inexact 0
		.amdhsa_exception_int_div_zero 0
	.end_amdhsa_kernel
	.section	.text._ZN7rocprim17ROCPRIM_400000_NS6detail17trampoline_kernelINS0_14default_configENS1_38merge_sort_block_merge_config_selectorIbNS0_10empty_typeEEEZZNS1_27merge_sort_block_merge_implIS3_PbPS5_jNS1_19radix_merge_compareILb0ELb1EbNS0_19identity_decomposerEEEEE10hipError_tT0_T1_T2_jT3_P12ihipStream_tbPNSt15iterator_traitsISE_E10value_typeEPNSK_ISF_E10value_typeEPSG_NS1_7vsmem_tEENKUlT_SE_SF_SG_E_clIS8_S8_S9_S9_EESD_ST_SE_SF_SG_EUlST_E0_NS1_11comp_targetILNS1_3genE10ELNS1_11target_archE1201ELNS1_3gpuE5ELNS1_3repE0EEENS1_38merge_mergepath_config_static_selectorELNS0_4arch9wavefront6targetE0EEEvSF_,"axG",@progbits,_ZN7rocprim17ROCPRIM_400000_NS6detail17trampoline_kernelINS0_14default_configENS1_38merge_sort_block_merge_config_selectorIbNS0_10empty_typeEEEZZNS1_27merge_sort_block_merge_implIS3_PbPS5_jNS1_19radix_merge_compareILb0ELb1EbNS0_19identity_decomposerEEEEE10hipError_tT0_T1_T2_jT3_P12ihipStream_tbPNSt15iterator_traitsISE_E10value_typeEPNSK_ISF_E10value_typeEPSG_NS1_7vsmem_tEENKUlT_SE_SF_SG_E_clIS8_S8_S9_S9_EESD_ST_SE_SF_SG_EUlST_E0_NS1_11comp_targetILNS1_3genE10ELNS1_11target_archE1201ELNS1_3gpuE5ELNS1_3repE0EEENS1_38merge_mergepath_config_static_selectorELNS0_4arch9wavefront6targetE0EEEvSF_,comdat
.Lfunc_end1819:
	.size	_ZN7rocprim17ROCPRIM_400000_NS6detail17trampoline_kernelINS0_14default_configENS1_38merge_sort_block_merge_config_selectorIbNS0_10empty_typeEEEZZNS1_27merge_sort_block_merge_implIS3_PbPS5_jNS1_19radix_merge_compareILb0ELb1EbNS0_19identity_decomposerEEEEE10hipError_tT0_T1_T2_jT3_P12ihipStream_tbPNSt15iterator_traitsISE_E10value_typeEPNSK_ISF_E10value_typeEPSG_NS1_7vsmem_tEENKUlT_SE_SF_SG_E_clIS8_S8_S9_S9_EESD_ST_SE_SF_SG_EUlST_E0_NS1_11comp_targetILNS1_3genE10ELNS1_11target_archE1201ELNS1_3gpuE5ELNS1_3repE0EEENS1_38merge_mergepath_config_static_selectorELNS0_4arch9wavefront6targetE0EEEvSF_, .Lfunc_end1819-_ZN7rocprim17ROCPRIM_400000_NS6detail17trampoline_kernelINS0_14default_configENS1_38merge_sort_block_merge_config_selectorIbNS0_10empty_typeEEEZZNS1_27merge_sort_block_merge_implIS3_PbPS5_jNS1_19radix_merge_compareILb0ELb1EbNS0_19identity_decomposerEEEEE10hipError_tT0_T1_T2_jT3_P12ihipStream_tbPNSt15iterator_traitsISE_E10value_typeEPNSK_ISF_E10value_typeEPSG_NS1_7vsmem_tEENKUlT_SE_SF_SG_E_clIS8_S8_S9_S9_EESD_ST_SE_SF_SG_EUlST_E0_NS1_11comp_targetILNS1_3genE10ELNS1_11target_archE1201ELNS1_3gpuE5ELNS1_3repE0EEENS1_38merge_mergepath_config_static_selectorELNS0_4arch9wavefront6targetE0EEEvSF_
                                        ; -- End function
	.set _ZN7rocprim17ROCPRIM_400000_NS6detail17trampoline_kernelINS0_14default_configENS1_38merge_sort_block_merge_config_selectorIbNS0_10empty_typeEEEZZNS1_27merge_sort_block_merge_implIS3_PbPS5_jNS1_19radix_merge_compareILb0ELb1EbNS0_19identity_decomposerEEEEE10hipError_tT0_T1_T2_jT3_P12ihipStream_tbPNSt15iterator_traitsISE_E10value_typeEPNSK_ISF_E10value_typeEPSG_NS1_7vsmem_tEENKUlT_SE_SF_SG_E_clIS8_S8_S9_S9_EESD_ST_SE_SF_SG_EUlST_E0_NS1_11comp_targetILNS1_3genE10ELNS1_11target_archE1201ELNS1_3gpuE5ELNS1_3repE0EEENS1_38merge_mergepath_config_static_selectorELNS0_4arch9wavefront6targetE0EEEvSF_.num_vgpr, 0
	.set _ZN7rocprim17ROCPRIM_400000_NS6detail17trampoline_kernelINS0_14default_configENS1_38merge_sort_block_merge_config_selectorIbNS0_10empty_typeEEEZZNS1_27merge_sort_block_merge_implIS3_PbPS5_jNS1_19radix_merge_compareILb0ELb1EbNS0_19identity_decomposerEEEEE10hipError_tT0_T1_T2_jT3_P12ihipStream_tbPNSt15iterator_traitsISE_E10value_typeEPNSK_ISF_E10value_typeEPSG_NS1_7vsmem_tEENKUlT_SE_SF_SG_E_clIS8_S8_S9_S9_EESD_ST_SE_SF_SG_EUlST_E0_NS1_11comp_targetILNS1_3genE10ELNS1_11target_archE1201ELNS1_3gpuE5ELNS1_3repE0EEENS1_38merge_mergepath_config_static_selectorELNS0_4arch9wavefront6targetE0EEEvSF_.num_agpr, 0
	.set _ZN7rocprim17ROCPRIM_400000_NS6detail17trampoline_kernelINS0_14default_configENS1_38merge_sort_block_merge_config_selectorIbNS0_10empty_typeEEEZZNS1_27merge_sort_block_merge_implIS3_PbPS5_jNS1_19radix_merge_compareILb0ELb1EbNS0_19identity_decomposerEEEEE10hipError_tT0_T1_T2_jT3_P12ihipStream_tbPNSt15iterator_traitsISE_E10value_typeEPNSK_ISF_E10value_typeEPSG_NS1_7vsmem_tEENKUlT_SE_SF_SG_E_clIS8_S8_S9_S9_EESD_ST_SE_SF_SG_EUlST_E0_NS1_11comp_targetILNS1_3genE10ELNS1_11target_archE1201ELNS1_3gpuE5ELNS1_3repE0EEENS1_38merge_mergepath_config_static_selectorELNS0_4arch9wavefront6targetE0EEEvSF_.numbered_sgpr, 0
	.set _ZN7rocprim17ROCPRIM_400000_NS6detail17trampoline_kernelINS0_14default_configENS1_38merge_sort_block_merge_config_selectorIbNS0_10empty_typeEEEZZNS1_27merge_sort_block_merge_implIS3_PbPS5_jNS1_19radix_merge_compareILb0ELb1EbNS0_19identity_decomposerEEEEE10hipError_tT0_T1_T2_jT3_P12ihipStream_tbPNSt15iterator_traitsISE_E10value_typeEPNSK_ISF_E10value_typeEPSG_NS1_7vsmem_tEENKUlT_SE_SF_SG_E_clIS8_S8_S9_S9_EESD_ST_SE_SF_SG_EUlST_E0_NS1_11comp_targetILNS1_3genE10ELNS1_11target_archE1201ELNS1_3gpuE5ELNS1_3repE0EEENS1_38merge_mergepath_config_static_selectorELNS0_4arch9wavefront6targetE0EEEvSF_.num_named_barrier, 0
	.set _ZN7rocprim17ROCPRIM_400000_NS6detail17trampoline_kernelINS0_14default_configENS1_38merge_sort_block_merge_config_selectorIbNS0_10empty_typeEEEZZNS1_27merge_sort_block_merge_implIS3_PbPS5_jNS1_19radix_merge_compareILb0ELb1EbNS0_19identity_decomposerEEEEE10hipError_tT0_T1_T2_jT3_P12ihipStream_tbPNSt15iterator_traitsISE_E10value_typeEPNSK_ISF_E10value_typeEPSG_NS1_7vsmem_tEENKUlT_SE_SF_SG_E_clIS8_S8_S9_S9_EESD_ST_SE_SF_SG_EUlST_E0_NS1_11comp_targetILNS1_3genE10ELNS1_11target_archE1201ELNS1_3gpuE5ELNS1_3repE0EEENS1_38merge_mergepath_config_static_selectorELNS0_4arch9wavefront6targetE0EEEvSF_.private_seg_size, 0
	.set _ZN7rocprim17ROCPRIM_400000_NS6detail17trampoline_kernelINS0_14default_configENS1_38merge_sort_block_merge_config_selectorIbNS0_10empty_typeEEEZZNS1_27merge_sort_block_merge_implIS3_PbPS5_jNS1_19radix_merge_compareILb0ELb1EbNS0_19identity_decomposerEEEEE10hipError_tT0_T1_T2_jT3_P12ihipStream_tbPNSt15iterator_traitsISE_E10value_typeEPNSK_ISF_E10value_typeEPSG_NS1_7vsmem_tEENKUlT_SE_SF_SG_E_clIS8_S8_S9_S9_EESD_ST_SE_SF_SG_EUlST_E0_NS1_11comp_targetILNS1_3genE10ELNS1_11target_archE1201ELNS1_3gpuE5ELNS1_3repE0EEENS1_38merge_mergepath_config_static_selectorELNS0_4arch9wavefront6targetE0EEEvSF_.uses_vcc, 0
	.set _ZN7rocprim17ROCPRIM_400000_NS6detail17trampoline_kernelINS0_14default_configENS1_38merge_sort_block_merge_config_selectorIbNS0_10empty_typeEEEZZNS1_27merge_sort_block_merge_implIS3_PbPS5_jNS1_19radix_merge_compareILb0ELb1EbNS0_19identity_decomposerEEEEE10hipError_tT0_T1_T2_jT3_P12ihipStream_tbPNSt15iterator_traitsISE_E10value_typeEPNSK_ISF_E10value_typeEPSG_NS1_7vsmem_tEENKUlT_SE_SF_SG_E_clIS8_S8_S9_S9_EESD_ST_SE_SF_SG_EUlST_E0_NS1_11comp_targetILNS1_3genE10ELNS1_11target_archE1201ELNS1_3gpuE5ELNS1_3repE0EEENS1_38merge_mergepath_config_static_selectorELNS0_4arch9wavefront6targetE0EEEvSF_.uses_flat_scratch, 0
	.set _ZN7rocprim17ROCPRIM_400000_NS6detail17trampoline_kernelINS0_14default_configENS1_38merge_sort_block_merge_config_selectorIbNS0_10empty_typeEEEZZNS1_27merge_sort_block_merge_implIS3_PbPS5_jNS1_19radix_merge_compareILb0ELb1EbNS0_19identity_decomposerEEEEE10hipError_tT0_T1_T2_jT3_P12ihipStream_tbPNSt15iterator_traitsISE_E10value_typeEPNSK_ISF_E10value_typeEPSG_NS1_7vsmem_tEENKUlT_SE_SF_SG_E_clIS8_S8_S9_S9_EESD_ST_SE_SF_SG_EUlST_E0_NS1_11comp_targetILNS1_3genE10ELNS1_11target_archE1201ELNS1_3gpuE5ELNS1_3repE0EEENS1_38merge_mergepath_config_static_selectorELNS0_4arch9wavefront6targetE0EEEvSF_.has_dyn_sized_stack, 0
	.set _ZN7rocprim17ROCPRIM_400000_NS6detail17trampoline_kernelINS0_14default_configENS1_38merge_sort_block_merge_config_selectorIbNS0_10empty_typeEEEZZNS1_27merge_sort_block_merge_implIS3_PbPS5_jNS1_19radix_merge_compareILb0ELb1EbNS0_19identity_decomposerEEEEE10hipError_tT0_T1_T2_jT3_P12ihipStream_tbPNSt15iterator_traitsISE_E10value_typeEPNSK_ISF_E10value_typeEPSG_NS1_7vsmem_tEENKUlT_SE_SF_SG_E_clIS8_S8_S9_S9_EESD_ST_SE_SF_SG_EUlST_E0_NS1_11comp_targetILNS1_3genE10ELNS1_11target_archE1201ELNS1_3gpuE5ELNS1_3repE0EEENS1_38merge_mergepath_config_static_selectorELNS0_4arch9wavefront6targetE0EEEvSF_.has_recursion, 0
	.set _ZN7rocprim17ROCPRIM_400000_NS6detail17trampoline_kernelINS0_14default_configENS1_38merge_sort_block_merge_config_selectorIbNS0_10empty_typeEEEZZNS1_27merge_sort_block_merge_implIS3_PbPS5_jNS1_19radix_merge_compareILb0ELb1EbNS0_19identity_decomposerEEEEE10hipError_tT0_T1_T2_jT3_P12ihipStream_tbPNSt15iterator_traitsISE_E10value_typeEPNSK_ISF_E10value_typeEPSG_NS1_7vsmem_tEENKUlT_SE_SF_SG_E_clIS8_S8_S9_S9_EESD_ST_SE_SF_SG_EUlST_E0_NS1_11comp_targetILNS1_3genE10ELNS1_11target_archE1201ELNS1_3gpuE5ELNS1_3repE0EEENS1_38merge_mergepath_config_static_selectorELNS0_4arch9wavefront6targetE0EEEvSF_.has_indirect_call, 0
	.section	.AMDGPU.csdata,"",@progbits
; Kernel info:
; codeLenInByte = 0
; TotalNumSgprs: 0
; NumVgprs: 0
; ScratchSize: 0
; MemoryBound: 0
; FloatMode: 240
; IeeeMode: 1
; LDSByteSize: 0 bytes/workgroup (compile time only)
; SGPRBlocks: 0
; VGPRBlocks: 0
; NumSGPRsForWavesPerEU: 1
; NumVGPRsForWavesPerEU: 1
; NamedBarCnt: 0
; Occupancy: 16
; WaveLimiterHint : 0
; COMPUTE_PGM_RSRC2:SCRATCH_EN: 0
; COMPUTE_PGM_RSRC2:USER_SGPR: 2
; COMPUTE_PGM_RSRC2:TRAP_HANDLER: 0
; COMPUTE_PGM_RSRC2:TGID_X_EN: 1
; COMPUTE_PGM_RSRC2:TGID_Y_EN: 0
; COMPUTE_PGM_RSRC2:TGID_Z_EN: 0
; COMPUTE_PGM_RSRC2:TIDIG_COMP_CNT: 0
	.section	.text._ZN7rocprim17ROCPRIM_400000_NS6detail17trampoline_kernelINS0_14default_configENS1_38merge_sort_block_merge_config_selectorIbNS0_10empty_typeEEEZZNS1_27merge_sort_block_merge_implIS3_PbPS5_jNS1_19radix_merge_compareILb0ELb1EbNS0_19identity_decomposerEEEEE10hipError_tT0_T1_T2_jT3_P12ihipStream_tbPNSt15iterator_traitsISE_E10value_typeEPNSK_ISF_E10value_typeEPSG_NS1_7vsmem_tEENKUlT_SE_SF_SG_E_clIS8_S8_S9_S9_EESD_ST_SE_SF_SG_EUlST_E0_NS1_11comp_targetILNS1_3genE5ELNS1_11target_archE942ELNS1_3gpuE9ELNS1_3repE0EEENS1_38merge_mergepath_config_static_selectorELNS0_4arch9wavefront6targetE0EEEvSF_,"axG",@progbits,_ZN7rocprim17ROCPRIM_400000_NS6detail17trampoline_kernelINS0_14default_configENS1_38merge_sort_block_merge_config_selectorIbNS0_10empty_typeEEEZZNS1_27merge_sort_block_merge_implIS3_PbPS5_jNS1_19radix_merge_compareILb0ELb1EbNS0_19identity_decomposerEEEEE10hipError_tT0_T1_T2_jT3_P12ihipStream_tbPNSt15iterator_traitsISE_E10value_typeEPNSK_ISF_E10value_typeEPSG_NS1_7vsmem_tEENKUlT_SE_SF_SG_E_clIS8_S8_S9_S9_EESD_ST_SE_SF_SG_EUlST_E0_NS1_11comp_targetILNS1_3genE5ELNS1_11target_archE942ELNS1_3gpuE9ELNS1_3repE0EEENS1_38merge_mergepath_config_static_selectorELNS0_4arch9wavefront6targetE0EEEvSF_,comdat
	.protected	_ZN7rocprim17ROCPRIM_400000_NS6detail17trampoline_kernelINS0_14default_configENS1_38merge_sort_block_merge_config_selectorIbNS0_10empty_typeEEEZZNS1_27merge_sort_block_merge_implIS3_PbPS5_jNS1_19radix_merge_compareILb0ELb1EbNS0_19identity_decomposerEEEEE10hipError_tT0_T1_T2_jT3_P12ihipStream_tbPNSt15iterator_traitsISE_E10value_typeEPNSK_ISF_E10value_typeEPSG_NS1_7vsmem_tEENKUlT_SE_SF_SG_E_clIS8_S8_S9_S9_EESD_ST_SE_SF_SG_EUlST_E0_NS1_11comp_targetILNS1_3genE5ELNS1_11target_archE942ELNS1_3gpuE9ELNS1_3repE0EEENS1_38merge_mergepath_config_static_selectorELNS0_4arch9wavefront6targetE0EEEvSF_ ; -- Begin function _ZN7rocprim17ROCPRIM_400000_NS6detail17trampoline_kernelINS0_14default_configENS1_38merge_sort_block_merge_config_selectorIbNS0_10empty_typeEEEZZNS1_27merge_sort_block_merge_implIS3_PbPS5_jNS1_19radix_merge_compareILb0ELb1EbNS0_19identity_decomposerEEEEE10hipError_tT0_T1_T2_jT3_P12ihipStream_tbPNSt15iterator_traitsISE_E10value_typeEPNSK_ISF_E10value_typeEPSG_NS1_7vsmem_tEENKUlT_SE_SF_SG_E_clIS8_S8_S9_S9_EESD_ST_SE_SF_SG_EUlST_E0_NS1_11comp_targetILNS1_3genE5ELNS1_11target_archE942ELNS1_3gpuE9ELNS1_3repE0EEENS1_38merge_mergepath_config_static_selectorELNS0_4arch9wavefront6targetE0EEEvSF_
	.globl	_ZN7rocprim17ROCPRIM_400000_NS6detail17trampoline_kernelINS0_14default_configENS1_38merge_sort_block_merge_config_selectorIbNS0_10empty_typeEEEZZNS1_27merge_sort_block_merge_implIS3_PbPS5_jNS1_19radix_merge_compareILb0ELb1EbNS0_19identity_decomposerEEEEE10hipError_tT0_T1_T2_jT3_P12ihipStream_tbPNSt15iterator_traitsISE_E10value_typeEPNSK_ISF_E10value_typeEPSG_NS1_7vsmem_tEENKUlT_SE_SF_SG_E_clIS8_S8_S9_S9_EESD_ST_SE_SF_SG_EUlST_E0_NS1_11comp_targetILNS1_3genE5ELNS1_11target_archE942ELNS1_3gpuE9ELNS1_3repE0EEENS1_38merge_mergepath_config_static_selectorELNS0_4arch9wavefront6targetE0EEEvSF_
	.p2align	8
	.type	_ZN7rocprim17ROCPRIM_400000_NS6detail17trampoline_kernelINS0_14default_configENS1_38merge_sort_block_merge_config_selectorIbNS0_10empty_typeEEEZZNS1_27merge_sort_block_merge_implIS3_PbPS5_jNS1_19radix_merge_compareILb0ELb1EbNS0_19identity_decomposerEEEEE10hipError_tT0_T1_T2_jT3_P12ihipStream_tbPNSt15iterator_traitsISE_E10value_typeEPNSK_ISF_E10value_typeEPSG_NS1_7vsmem_tEENKUlT_SE_SF_SG_E_clIS8_S8_S9_S9_EESD_ST_SE_SF_SG_EUlST_E0_NS1_11comp_targetILNS1_3genE5ELNS1_11target_archE942ELNS1_3gpuE9ELNS1_3repE0EEENS1_38merge_mergepath_config_static_selectorELNS0_4arch9wavefront6targetE0EEEvSF_,@function
_ZN7rocprim17ROCPRIM_400000_NS6detail17trampoline_kernelINS0_14default_configENS1_38merge_sort_block_merge_config_selectorIbNS0_10empty_typeEEEZZNS1_27merge_sort_block_merge_implIS3_PbPS5_jNS1_19radix_merge_compareILb0ELb1EbNS0_19identity_decomposerEEEEE10hipError_tT0_T1_T2_jT3_P12ihipStream_tbPNSt15iterator_traitsISE_E10value_typeEPNSK_ISF_E10value_typeEPSG_NS1_7vsmem_tEENKUlT_SE_SF_SG_E_clIS8_S8_S9_S9_EESD_ST_SE_SF_SG_EUlST_E0_NS1_11comp_targetILNS1_3genE5ELNS1_11target_archE942ELNS1_3gpuE9ELNS1_3repE0EEENS1_38merge_mergepath_config_static_selectorELNS0_4arch9wavefront6targetE0EEEvSF_: ; @_ZN7rocprim17ROCPRIM_400000_NS6detail17trampoline_kernelINS0_14default_configENS1_38merge_sort_block_merge_config_selectorIbNS0_10empty_typeEEEZZNS1_27merge_sort_block_merge_implIS3_PbPS5_jNS1_19radix_merge_compareILb0ELb1EbNS0_19identity_decomposerEEEEE10hipError_tT0_T1_T2_jT3_P12ihipStream_tbPNSt15iterator_traitsISE_E10value_typeEPNSK_ISF_E10value_typeEPSG_NS1_7vsmem_tEENKUlT_SE_SF_SG_E_clIS8_S8_S9_S9_EESD_ST_SE_SF_SG_EUlST_E0_NS1_11comp_targetILNS1_3genE5ELNS1_11target_archE942ELNS1_3gpuE9ELNS1_3repE0EEENS1_38merge_mergepath_config_static_selectorELNS0_4arch9wavefront6targetE0EEEvSF_
; %bb.0:
	.section	.rodata,"a",@progbits
	.p2align	6, 0x0
	.amdhsa_kernel _ZN7rocprim17ROCPRIM_400000_NS6detail17trampoline_kernelINS0_14default_configENS1_38merge_sort_block_merge_config_selectorIbNS0_10empty_typeEEEZZNS1_27merge_sort_block_merge_implIS3_PbPS5_jNS1_19radix_merge_compareILb0ELb1EbNS0_19identity_decomposerEEEEE10hipError_tT0_T1_T2_jT3_P12ihipStream_tbPNSt15iterator_traitsISE_E10value_typeEPNSK_ISF_E10value_typeEPSG_NS1_7vsmem_tEENKUlT_SE_SF_SG_E_clIS8_S8_S9_S9_EESD_ST_SE_SF_SG_EUlST_E0_NS1_11comp_targetILNS1_3genE5ELNS1_11target_archE942ELNS1_3gpuE9ELNS1_3repE0EEENS1_38merge_mergepath_config_static_selectorELNS0_4arch9wavefront6targetE0EEEvSF_
		.amdhsa_group_segment_fixed_size 0
		.amdhsa_private_segment_fixed_size 0
		.amdhsa_kernarg_size 64
		.amdhsa_user_sgpr_count 2
		.amdhsa_user_sgpr_dispatch_ptr 0
		.amdhsa_user_sgpr_queue_ptr 0
		.amdhsa_user_sgpr_kernarg_segment_ptr 1
		.amdhsa_user_sgpr_dispatch_id 0
		.amdhsa_user_sgpr_kernarg_preload_length 0
		.amdhsa_user_sgpr_kernarg_preload_offset 0
		.amdhsa_user_sgpr_private_segment_size 0
		.amdhsa_wavefront_size32 1
		.amdhsa_uses_dynamic_stack 0
		.amdhsa_enable_private_segment 0
		.amdhsa_system_sgpr_workgroup_id_x 1
		.amdhsa_system_sgpr_workgroup_id_y 0
		.amdhsa_system_sgpr_workgroup_id_z 0
		.amdhsa_system_sgpr_workgroup_info 0
		.amdhsa_system_vgpr_workitem_id 0
		.amdhsa_next_free_vgpr 1
		.amdhsa_next_free_sgpr 1
		.amdhsa_named_barrier_count 0
		.amdhsa_reserve_vcc 0
		.amdhsa_float_round_mode_32 0
		.amdhsa_float_round_mode_16_64 0
		.amdhsa_float_denorm_mode_32 3
		.amdhsa_float_denorm_mode_16_64 3
		.amdhsa_fp16_overflow 0
		.amdhsa_memory_ordered 1
		.amdhsa_forward_progress 1
		.amdhsa_inst_pref_size 0
		.amdhsa_round_robin_scheduling 0
		.amdhsa_exception_fp_ieee_invalid_op 0
		.amdhsa_exception_fp_denorm_src 0
		.amdhsa_exception_fp_ieee_div_zero 0
		.amdhsa_exception_fp_ieee_overflow 0
		.amdhsa_exception_fp_ieee_underflow 0
		.amdhsa_exception_fp_ieee_inexact 0
		.amdhsa_exception_int_div_zero 0
	.end_amdhsa_kernel
	.section	.text._ZN7rocprim17ROCPRIM_400000_NS6detail17trampoline_kernelINS0_14default_configENS1_38merge_sort_block_merge_config_selectorIbNS0_10empty_typeEEEZZNS1_27merge_sort_block_merge_implIS3_PbPS5_jNS1_19radix_merge_compareILb0ELb1EbNS0_19identity_decomposerEEEEE10hipError_tT0_T1_T2_jT3_P12ihipStream_tbPNSt15iterator_traitsISE_E10value_typeEPNSK_ISF_E10value_typeEPSG_NS1_7vsmem_tEENKUlT_SE_SF_SG_E_clIS8_S8_S9_S9_EESD_ST_SE_SF_SG_EUlST_E0_NS1_11comp_targetILNS1_3genE5ELNS1_11target_archE942ELNS1_3gpuE9ELNS1_3repE0EEENS1_38merge_mergepath_config_static_selectorELNS0_4arch9wavefront6targetE0EEEvSF_,"axG",@progbits,_ZN7rocprim17ROCPRIM_400000_NS6detail17trampoline_kernelINS0_14default_configENS1_38merge_sort_block_merge_config_selectorIbNS0_10empty_typeEEEZZNS1_27merge_sort_block_merge_implIS3_PbPS5_jNS1_19radix_merge_compareILb0ELb1EbNS0_19identity_decomposerEEEEE10hipError_tT0_T1_T2_jT3_P12ihipStream_tbPNSt15iterator_traitsISE_E10value_typeEPNSK_ISF_E10value_typeEPSG_NS1_7vsmem_tEENKUlT_SE_SF_SG_E_clIS8_S8_S9_S9_EESD_ST_SE_SF_SG_EUlST_E0_NS1_11comp_targetILNS1_3genE5ELNS1_11target_archE942ELNS1_3gpuE9ELNS1_3repE0EEENS1_38merge_mergepath_config_static_selectorELNS0_4arch9wavefront6targetE0EEEvSF_,comdat
.Lfunc_end1820:
	.size	_ZN7rocprim17ROCPRIM_400000_NS6detail17trampoline_kernelINS0_14default_configENS1_38merge_sort_block_merge_config_selectorIbNS0_10empty_typeEEEZZNS1_27merge_sort_block_merge_implIS3_PbPS5_jNS1_19radix_merge_compareILb0ELb1EbNS0_19identity_decomposerEEEEE10hipError_tT0_T1_T2_jT3_P12ihipStream_tbPNSt15iterator_traitsISE_E10value_typeEPNSK_ISF_E10value_typeEPSG_NS1_7vsmem_tEENKUlT_SE_SF_SG_E_clIS8_S8_S9_S9_EESD_ST_SE_SF_SG_EUlST_E0_NS1_11comp_targetILNS1_3genE5ELNS1_11target_archE942ELNS1_3gpuE9ELNS1_3repE0EEENS1_38merge_mergepath_config_static_selectorELNS0_4arch9wavefront6targetE0EEEvSF_, .Lfunc_end1820-_ZN7rocprim17ROCPRIM_400000_NS6detail17trampoline_kernelINS0_14default_configENS1_38merge_sort_block_merge_config_selectorIbNS0_10empty_typeEEEZZNS1_27merge_sort_block_merge_implIS3_PbPS5_jNS1_19radix_merge_compareILb0ELb1EbNS0_19identity_decomposerEEEEE10hipError_tT0_T1_T2_jT3_P12ihipStream_tbPNSt15iterator_traitsISE_E10value_typeEPNSK_ISF_E10value_typeEPSG_NS1_7vsmem_tEENKUlT_SE_SF_SG_E_clIS8_S8_S9_S9_EESD_ST_SE_SF_SG_EUlST_E0_NS1_11comp_targetILNS1_3genE5ELNS1_11target_archE942ELNS1_3gpuE9ELNS1_3repE0EEENS1_38merge_mergepath_config_static_selectorELNS0_4arch9wavefront6targetE0EEEvSF_
                                        ; -- End function
	.set _ZN7rocprim17ROCPRIM_400000_NS6detail17trampoline_kernelINS0_14default_configENS1_38merge_sort_block_merge_config_selectorIbNS0_10empty_typeEEEZZNS1_27merge_sort_block_merge_implIS3_PbPS5_jNS1_19radix_merge_compareILb0ELb1EbNS0_19identity_decomposerEEEEE10hipError_tT0_T1_T2_jT3_P12ihipStream_tbPNSt15iterator_traitsISE_E10value_typeEPNSK_ISF_E10value_typeEPSG_NS1_7vsmem_tEENKUlT_SE_SF_SG_E_clIS8_S8_S9_S9_EESD_ST_SE_SF_SG_EUlST_E0_NS1_11comp_targetILNS1_3genE5ELNS1_11target_archE942ELNS1_3gpuE9ELNS1_3repE0EEENS1_38merge_mergepath_config_static_selectorELNS0_4arch9wavefront6targetE0EEEvSF_.num_vgpr, 0
	.set _ZN7rocprim17ROCPRIM_400000_NS6detail17trampoline_kernelINS0_14default_configENS1_38merge_sort_block_merge_config_selectorIbNS0_10empty_typeEEEZZNS1_27merge_sort_block_merge_implIS3_PbPS5_jNS1_19radix_merge_compareILb0ELb1EbNS0_19identity_decomposerEEEEE10hipError_tT0_T1_T2_jT3_P12ihipStream_tbPNSt15iterator_traitsISE_E10value_typeEPNSK_ISF_E10value_typeEPSG_NS1_7vsmem_tEENKUlT_SE_SF_SG_E_clIS8_S8_S9_S9_EESD_ST_SE_SF_SG_EUlST_E0_NS1_11comp_targetILNS1_3genE5ELNS1_11target_archE942ELNS1_3gpuE9ELNS1_3repE0EEENS1_38merge_mergepath_config_static_selectorELNS0_4arch9wavefront6targetE0EEEvSF_.num_agpr, 0
	.set _ZN7rocprim17ROCPRIM_400000_NS6detail17trampoline_kernelINS0_14default_configENS1_38merge_sort_block_merge_config_selectorIbNS0_10empty_typeEEEZZNS1_27merge_sort_block_merge_implIS3_PbPS5_jNS1_19radix_merge_compareILb0ELb1EbNS0_19identity_decomposerEEEEE10hipError_tT0_T1_T2_jT3_P12ihipStream_tbPNSt15iterator_traitsISE_E10value_typeEPNSK_ISF_E10value_typeEPSG_NS1_7vsmem_tEENKUlT_SE_SF_SG_E_clIS8_S8_S9_S9_EESD_ST_SE_SF_SG_EUlST_E0_NS1_11comp_targetILNS1_3genE5ELNS1_11target_archE942ELNS1_3gpuE9ELNS1_3repE0EEENS1_38merge_mergepath_config_static_selectorELNS0_4arch9wavefront6targetE0EEEvSF_.numbered_sgpr, 0
	.set _ZN7rocprim17ROCPRIM_400000_NS6detail17trampoline_kernelINS0_14default_configENS1_38merge_sort_block_merge_config_selectorIbNS0_10empty_typeEEEZZNS1_27merge_sort_block_merge_implIS3_PbPS5_jNS1_19radix_merge_compareILb0ELb1EbNS0_19identity_decomposerEEEEE10hipError_tT0_T1_T2_jT3_P12ihipStream_tbPNSt15iterator_traitsISE_E10value_typeEPNSK_ISF_E10value_typeEPSG_NS1_7vsmem_tEENKUlT_SE_SF_SG_E_clIS8_S8_S9_S9_EESD_ST_SE_SF_SG_EUlST_E0_NS1_11comp_targetILNS1_3genE5ELNS1_11target_archE942ELNS1_3gpuE9ELNS1_3repE0EEENS1_38merge_mergepath_config_static_selectorELNS0_4arch9wavefront6targetE0EEEvSF_.num_named_barrier, 0
	.set _ZN7rocprim17ROCPRIM_400000_NS6detail17trampoline_kernelINS0_14default_configENS1_38merge_sort_block_merge_config_selectorIbNS0_10empty_typeEEEZZNS1_27merge_sort_block_merge_implIS3_PbPS5_jNS1_19radix_merge_compareILb0ELb1EbNS0_19identity_decomposerEEEEE10hipError_tT0_T1_T2_jT3_P12ihipStream_tbPNSt15iterator_traitsISE_E10value_typeEPNSK_ISF_E10value_typeEPSG_NS1_7vsmem_tEENKUlT_SE_SF_SG_E_clIS8_S8_S9_S9_EESD_ST_SE_SF_SG_EUlST_E0_NS1_11comp_targetILNS1_3genE5ELNS1_11target_archE942ELNS1_3gpuE9ELNS1_3repE0EEENS1_38merge_mergepath_config_static_selectorELNS0_4arch9wavefront6targetE0EEEvSF_.private_seg_size, 0
	.set _ZN7rocprim17ROCPRIM_400000_NS6detail17trampoline_kernelINS0_14default_configENS1_38merge_sort_block_merge_config_selectorIbNS0_10empty_typeEEEZZNS1_27merge_sort_block_merge_implIS3_PbPS5_jNS1_19radix_merge_compareILb0ELb1EbNS0_19identity_decomposerEEEEE10hipError_tT0_T1_T2_jT3_P12ihipStream_tbPNSt15iterator_traitsISE_E10value_typeEPNSK_ISF_E10value_typeEPSG_NS1_7vsmem_tEENKUlT_SE_SF_SG_E_clIS8_S8_S9_S9_EESD_ST_SE_SF_SG_EUlST_E0_NS1_11comp_targetILNS1_3genE5ELNS1_11target_archE942ELNS1_3gpuE9ELNS1_3repE0EEENS1_38merge_mergepath_config_static_selectorELNS0_4arch9wavefront6targetE0EEEvSF_.uses_vcc, 0
	.set _ZN7rocprim17ROCPRIM_400000_NS6detail17trampoline_kernelINS0_14default_configENS1_38merge_sort_block_merge_config_selectorIbNS0_10empty_typeEEEZZNS1_27merge_sort_block_merge_implIS3_PbPS5_jNS1_19radix_merge_compareILb0ELb1EbNS0_19identity_decomposerEEEEE10hipError_tT0_T1_T2_jT3_P12ihipStream_tbPNSt15iterator_traitsISE_E10value_typeEPNSK_ISF_E10value_typeEPSG_NS1_7vsmem_tEENKUlT_SE_SF_SG_E_clIS8_S8_S9_S9_EESD_ST_SE_SF_SG_EUlST_E0_NS1_11comp_targetILNS1_3genE5ELNS1_11target_archE942ELNS1_3gpuE9ELNS1_3repE0EEENS1_38merge_mergepath_config_static_selectorELNS0_4arch9wavefront6targetE0EEEvSF_.uses_flat_scratch, 0
	.set _ZN7rocprim17ROCPRIM_400000_NS6detail17trampoline_kernelINS0_14default_configENS1_38merge_sort_block_merge_config_selectorIbNS0_10empty_typeEEEZZNS1_27merge_sort_block_merge_implIS3_PbPS5_jNS1_19radix_merge_compareILb0ELb1EbNS0_19identity_decomposerEEEEE10hipError_tT0_T1_T2_jT3_P12ihipStream_tbPNSt15iterator_traitsISE_E10value_typeEPNSK_ISF_E10value_typeEPSG_NS1_7vsmem_tEENKUlT_SE_SF_SG_E_clIS8_S8_S9_S9_EESD_ST_SE_SF_SG_EUlST_E0_NS1_11comp_targetILNS1_3genE5ELNS1_11target_archE942ELNS1_3gpuE9ELNS1_3repE0EEENS1_38merge_mergepath_config_static_selectorELNS0_4arch9wavefront6targetE0EEEvSF_.has_dyn_sized_stack, 0
	.set _ZN7rocprim17ROCPRIM_400000_NS6detail17trampoline_kernelINS0_14default_configENS1_38merge_sort_block_merge_config_selectorIbNS0_10empty_typeEEEZZNS1_27merge_sort_block_merge_implIS3_PbPS5_jNS1_19radix_merge_compareILb0ELb1EbNS0_19identity_decomposerEEEEE10hipError_tT0_T1_T2_jT3_P12ihipStream_tbPNSt15iterator_traitsISE_E10value_typeEPNSK_ISF_E10value_typeEPSG_NS1_7vsmem_tEENKUlT_SE_SF_SG_E_clIS8_S8_S9_S9_EESD_ST_SE_SF_SG_EUlST_E0_NS1_11comp_targetILNS1_3genE5ELNS1_11target_archE942ELNS1_3gpuE9ELNS1_3repE0EEENS1_38merge_mergepath_config_static_selectorELNS0_4arch9wavefront6targetE0EEEvSF_.has_recursion, 0
	.set _ZN7rocprim17ROCPRIM_400000_NS6detail17trampoline_kernelINS0_14default_configENS1_38merge_sort_block_merge_config_selectorIbNS0_10empty_typeEEEZZNS1_27merge_sort_block_merge_implIS3_PbPS5_jNS1_19radix_merge_compareILb0ELb1EbNS0_19identity_decomposerEEEEE10hipError_tT0_T1_T2_jT3_P12ihipStream_tbPNSt15iterator_traitsISE_E10value_typeEPNSK_ISF_E10value_typeEPSG_NS1_7vsmem_tEENKUlT_SE_SF_SG_E_clIS8_S8_S9_S9_EESD_ST_SE_SF_SG_EUlST_E0_NS1_11comp_targetILNS1_3genE5ELNS1_11target_archE942ELNS1_3gpuE9ELNS1_3repE0EEENS1_38merge_mergepath_config_static_selectorELNS0_4arch9wavefront6targetE0EEEvSF_.has_indirect_call, 0
	.section	.AMDGPU.csdata,"",@progbits
; Kernel info:
; codeLenInByte = 0
; TotalNumSgprs: 0
; NumVgprs: 0
; ScratchSize: 0
; MemoryBound: 0
; FloatMode: 240
; IeeeMode: 1
; LDSByteSize: 0 bytes/workgroup (compile time only)
; SGPRBlocks: 0
; VGPRBlocks: 0
; NumSGPRsForWavesPerEU: 1
; NumVGPRsForWavesPerEU: 1
; NamedBarCnt: 0
; Occupancy: 16
; WaveLimiterHint : 0
; COMPUTE_PGM_RSRC2:SCRATCH_EN: 0
; COMPUTE_PGM_RSRC2:USER_SGPR: 2
; COMPUTE_PGM_RSRC2:TRAP_HANDLER: 0
; COMPUTE_PGM_RSRC2:TGID_X_EN: 1
; COMPUTE_PGM_RSRC2:TGID_Y_EN: 0
; COMPUTE_PGM_RSRC2:TGID_Z_EN: 0
; COMPUTE_PGM_RSRC2:TIDIG_COMP_CNT: 0
	.section	.text._ZN7rocprim17ROCPRIM_400000_NS6detail17trampoline_kernelINS0_14default_configENS1_38merge_sort_block_merge_config_selectorIbNS0_10empty_typeEEEZZNS1_27merge_sort_block_merge_implIS3_PbPS5_jNS1_19radix_merge_compareILb0ELb1EbNS0_19identity_decomposerEEEEE10hipError_tT0_T1_T2_jT3_P12ihipStream_tbPNSt15iterator_traitsISE_E10value_typeEPNSK_ISF_E10value_typeEPSG_NS1_7vsmem_tEENKUlT_SE_SF_SG_E_clIS8_S8_S9_S9_EESD_ST_SE_SF_SG_EUlST_E0_NS1_11comp_targetILNS1_3genE4ELNS1_11target_archE910ELNS1_3gpuE8ELNS1_3repE0EEENS1_38merge_mergepath_config_static_selectorELNS0_4arch9wavefront6targetE0EEEvSF_,"axG",@progbits,_ZN7rocprim17ROCPRIM_400000_NS6detail17trampoline_kernelINS0_14default_configENS1_38merge_sort_block_merge_config_selectorIbNS0_10empty_typeEEEZZNS1_27merge_sort_block_merge_implIS3_PbPS5_jNS1_19radix_merge_compareILb0ELb1EbNS0_19identity_decomposerEEEEE10hipError_tT0_T1_T2_jT3_P12ihipStream_tbPNSt15iterator_traitsISE_E10value_typeEPNSK_ISF_E10value_typeEPSG_NS1_7vsmem_tEENKUlT_SE_SF_SG_E_clIS8_S8_S9_S9_EESD_ST_SE_SF_SG_EUlST_E0_NS1_11comp_targetILNS1_3genE4ELNS1_11target_archE910ELNS1_3gpuE8ELNS1_3repE0EEENS1_38merge_mergepath_config_static_selectorELNS0_4arch9wavefront6targetE0EEEvSF_,comdat
	.protected	_ZN7rocprim17ROCPRIM_400000_NS6detail17trampoline_kernelINS0_14default_configENS1_38merge_sort_block_merge_config_selectorIbNS0_10empty_typeEEEZZNS1_27merge_sort_block_merge_implIS3_PbPS5_jNS1_19radix_merge_compareILb0ELb1EbNS0_19identity_decomposerEEEEE10hipError_tT0_T1_T2_jT3_P12ihipStream_tbPNSt15iterator_traitsISE_E10value_typeEPNSK_ISF_E10value_typeEPSG_NS1_7vsmem_tEENKUlT_SE_SF_SG_E_clIS8_S8_S9_S9_EESD_ST_SE_SF_SG_EUlST_E0_NS1_11comp_targetILNS1_3genE4ELNS1_11target_archE910ELNS1_3gpuE8ELNS1_3repE0EEENS1_38merge_mergepath_config_static_selectorELNS0_4arch9wavefront6targetE0EEEvSF_ ; -- Begin function _ZN7rocprim17ROCPRIM_400000_NS6detail17trampoline_kernelINS0_14default_configENS1_38merge_sort_block_merge_config_selectorIbNS0_10empty_typeEEEZZNS1_27merge_sort_block_merge_implIS3_PbPS5_jNS1_19radix_merge_compareILb0ELb1EbNS0_19identity_decomposerEEEEE10hipError_tT0_T1_T2_jT3_P12ihipStream_tbPNSt15iterator_traitsISE_E10value_typeEPNSK_ISF_E10value_typeEPSG_NS1_7vsmem_tEENKUlT_SE_SF_SG_E_clIS8_S8_S9_S9_EESD_ST_SE_SF_SG_EUlST_E0_NS1_11comp_targetILNS1_3genE4ELNS1_11target_archE910ELNS1_3gpuE8ELNS1_3repE0EEENS1_38merge_mergepath_config_static_selectorELNS0_4arch9wavefront6targetE0EEEvSF_
	.globl	_ZN7rocprim17ROCPRIM_400000_NS6detail17trampoline_kernelINS0_14default_configENS1_38merge_sort_block_merge_config_selectorIbNS0_10empty_typeEEEZZNS1_27merge_sort_block_merge_implIS3_PbPS5_jNS1_19radix_merge_compareILb0ELb1EbNS0_19identity_decomposerEEEEE10hipError_tT0_T1_T2_jT3_P12ihipStream_tbPNSt15iterator_traitsISE_E10value_typeEPNSK_ISF_E10value_typeEPSG_NS1_7vsmem_tEENKUlT_SE_SF_SG_E_clIS8_S8_S9_S9_EESD_ST_SE_SF_SG_EUlST_E0_NS1_11comp_targetILNS1_3genE4ELNS1_11target_archE910ELNS1_3gpuE8ELNS1_3repE0EEENS1_38merge_mergepath_config_static_selectorELNS0_4arch9wavefront6targetE0EEEvSF_
	.p2align	8
	.type	_ZN7rocprim17ROCPRIM_400000_NS6detail17trampoline_kernelINS0_14default_configENS1_38merge_sort_block_merge_config_selectorIbNS0_10empty_typeEEEZZNS1_27merge_sort_block_merge_implIS3_PbPS5_jNS1_19radix_merge_compareILb0ELb1EbNS0_19identity_decomposerEEEEE10hipError_tT0_T1_T2_jT3_P12ihipStream_tbPNSt15iterator_traitsISE_E10value_typeEPNSK_ISF_E10value_typeEPSG_NS1_7vsmem_tEENKUlT_SE_SF_SG_E_clIS8_S8_S9_S9_EESD_ST_SE_SF_SG_EUlST_E0_NS1_11comp_targetILNS1_3genE4ELNS1_11target_archE910ELNS1_3gpuE8ELNS1_3repE0EEENS1_38merge_mergepath_config_static_selectorELNS0_4arch9wavefront6targetE0EEEvSF_,@function
_ZN7rocprim17ROCPRIM_400000_NS6detail17trampoline_kernelINS0_14default_configENS1_38merge_sort_block_merge_config_selectorIbNS0_10empty_typeEEEZZNS1_27merge_sort_block_merge_implIS3_PbPS5_jNS1_19radix_merge_compareILb0ELb1EbNS0_19identity_decomposerEEEEE10hipError_tT0_T1_T2_jT3_P12ihipStream_tbPNSt15iterator_traitsISE_E10value_typeEPNSK_ISF_E10value_typeEPSG_NS1_7vsmem_tEENKUlT_SE_SF_SG_E_clIS8_S8_S9_S9_EESD_ST_SE_SF_SG_EUlST_E0_NS1_11comp_targetILNS1_3genE4ELNS1_11target_archE910ELNS1_3gpuE8ELNS1_3repE0EEENS1_38merge_mergepath_config_static_selectorELNS0_4arch9wavefront6targetE0EEEvSF_: ; @_ZN7rocprim17ROCPRIM_400000_NS6detail17trampoline_kernelINS0_14default_configENS1_38merge_sort_block_merge_config_selectorIbNS0_10empty_typeEEEZZNS1_27merge_sort_block_merge_implIS3_PbPS5_jNS1_19radix_merge_compareILb0ELb1EbNS0_19identity_decomposerEEEEE10hipError_tT0_T1_T2_jT3_P12ihipStream_tbPNSt15iterator_traitsISE_E10value_typeEPNSK_ISF_E10value_typeEPSG_NS1_7vsmem_tEENKUlT_SE_SF_SG_E_clIS8_S8_S9_S9_EESD_ST_SE_SF_SG_EUlST_E0_NS1_11comp_targetILNS1_3genE4ELNS1_11target_archE910ELNS1_3gpuE8ELNS1_3repE0EEENS1_38merge_mergepath_config_static_selectorELNS0_4arch9wavefront6targetE0EEEvSF_
; %bb.0:
	.section	.rodata,"a",@progbits
	.p2align	6, 0x0
	.amdhsa_kernel _ZN7rocprim17ROCPRIM_400000_NS6detail17trampoline_kernelINS0_14default_configENS1_38merge_sort_block_merge_config_selectorIbNS0_10empty_typeEEEZZNS1_27merge_sort_block_merge_implIS3_PbPS5_jNS1_19radix_merge_compareILb0ELb1EbNS0_19identity_decomposerEEEEE10hipError_tT0_T1_T2_jT3_P12ihipStream_tbPNSt15iterator_traitsISE_E10value_typeEPNSK_ISF_E10value_typeEPSG_NS1_7vsmem_tEENKUlT_SE_SF_SG_E_clIS8_S8_S9_S9_EESD_ST_SE_SF_SG_EUlST_E0_NS1_11comp_targetILNS1_3genE4ELNS1_11target_archE910ELNS1_3gpuE8ELNS1_3repE0EEENS1_38merge_mergepath_config_static_selectorELNS0_4arch9wavefront6targetE0EEEvSF_
		.amdhsa_group_segment_fixed_size 0
		.amdhsa_private_segment_fixed_size 0
		.amdhsa_kernarg_size 64
		.amdhsa_user_sgpr_count 2
		.amdhsa_user_sgpr_dispatch_ptr 0
		.amdhsa_user_sgpr_queue_ptr 0
		.amdhsa_user_sgpr_kernarg_segment_ptr 1
		.amdhsa_user_sgpr_dispatch_id 0
		.amdhsa_user_sgpr_kernarg_preload_length 0
		.amdhsa_user_sgpr_kernarg_preload_offset 0
		.amdhsa_user_sgpr_private_segment_size 0
		.amdhsa_wavefront_size32 1
		.amdhsa_uses_dynamic_stack 0
		.amdhsa_enable_private_segment 0
		.amdhsa_system_sgpr_workgroup_id_x 1
		.amdhsa_system_sgpr_workgroup_id_y 0
		.amdhsa_system_sgpr_workgroup_id_z 0
		.amdhsa_system_sgpr_workgroup_info 0
		.amdhsa_system_vgpr_workitem_id 0
		.amdhsa_next_free_vgpr 1
		.amdhsa_next_free_sgpr 1
		.amdhsa_named_barrier_count 0
		.amdhsa_reserve_vcc 0
		.amdhsa_float_round_mode_32 0
		.amdhsa_float_round_mode_16_64 0
		.amdhsa_float_denorm_mode_32 3
		.amdhsa_float_denorm_mode_16_64 3
		.amdhsa_fp16_overflow 0
		.amdhsa_memory_ordered 1
		.amdhsa_forward_progress 1
		.amdhsa_inst_pref_size 0
		.amdhsa_round_robin_scheduling 0
		.amdhsa_exception_fp_ieee_invalid_op 0
		.amdhsa_exception_fp_denorm_src 0
		.amdhsa_exception_fp_ieee_div_zero 0
		.amdhsa_exception_fp_ieee_overflow 0
		.amdhsa_exception_fp_ieee_underflow 0
		.amdhsa_exception_fp_ieee_inexact 0
		.amdhsa_exception_int_div_zero 0
	.end_amdhsa_kernel
	.section	.text._ZN7rocprim17ROCPRIM_400000_NS6detail17trampoline_kernelINS0_14default_configENS1_38merge_sort_block_merge_config_selectorIbNS0_10empty_typeEEEZZNS1_27merge_sort_block_merge_implIS3_PbPS5_jNS1_19radix_merge_compareILb0ELb1EbNS0_19identity_decomposerEEEEE10hipError_tT0_T1_T2_jT3_P12ihipStream_tbPNSt15iterator_traitsISE_E10value_typeEPNSK_ISF_E10value_typeEPSG_NS1_7vsmem_tEENKUlT_SE_SF_SG_E_clIS8_S8_S9_S9_EESD_ST_SE_SF_SG_EUlST_E0_NS1_11comp_targetILNS1_3genE4ELNS1_11target_archE910ELNS1_3gpuE8ELNS1_3repE0EEENS1_38merge_mergepath_config_static_selectorELNS0_4arch9wavefront6targetE0EEEvSF_,"axG",@progbits,_ZN7rocprim17ROCPRIM_400000_NS6detail17trampoline_kernelINS0_14default_configENS1_38merge_sort_block_merge_config_selectorIbNS0_10empty_typeEEEZZNS1_27merge_sort_block_merge_implIS3_PbPS5_jNS1_19radix_merge_compareILb0ELb1EbNS0_19identity_decomposerEEEEE10hipError_tT0_T1_T2_jT3_P12ihipStream_tbPNSt15iterator_traitsISE_E10value_typeEPNSK_ISF_E10value_typeEPSG_NS1_7vsmem_tEENKUlT_SE_SF_SG_E_clIS8_S8_S9_S9_EESD_ST_SE_SF_SG_EUlST_E0_NS1_11comp_targetILNS1_3genE4ELNS1_11target_archE910ELNS1_3gpuE8ELNS1_3repE0EEENS1_38merge_mergepath_config_static_selectorELNS0_4arch9wavefront6targetE0EEEvSF_,comdat
.Lfunc_end1821:
	.size	_ZN7rocprim17ROCPRIM_400000_NS6detail17trampoline_kernelINS0_14default_configENS1_38merge_sort_block_merge_config_selectorIbNS0_10empty_typeEEEZZNS1_27merge_sort_block_merge_implIS3_PbPS5_jNS1_19radix_merge_compareILb0ELb1EbNS0_19identity_decomposerEEEEE10hipError_tT0_T1_T2_jT3_P12ihipStream_tbPNSt15iterator_traitsISE_E10value_typeEPNSK_ISF_E10value_typeEPSG_NS1_7vsmem_tEENKUlT_SE_SF_SG_E_clIS8_S8_S9_S9_EESD_ST_SE_SF_SG_EUlST_E0_NS1_11comp_targetILNS1_3genE4ELNS1_11target_archE910ELNS1_3gpuE8ELNS1_3repE0EEENS1_38merge_mergepath_config_static_selectorELNS0_4arch9wavefront6targetE0EEEvSF_, .Lfunc_end1821-_ZN7rocprim17ROCPRIM_400000_NS6detail17trampoline_kernelINS0_14default_configENS1_38merge_sort_block_merge_config_selectorIbNS0_10empty_typeEEEZZNS1_27merge_sort_block_merge_implIS3_PbPS5_jNS1_19radix_merge_compareILb0ELb1EbNS0_19identity_decomposerEEEEE10hipError_tT0_T1_T2_jT3_P12ihipStream_tbPNSt15iterator_traitsISE_E10value_typeEPNSK_ISF_E10value_typeEPSG_NS1_7vsmem_tEENKUlT_SE_SF_SG_E_clIS8_S8_S9_S9_EESD_ST_SE_SF_SG_EUlST_E0_NS1_11comp_targetILNS1_3genE4ELNS1_11target_archE910ELNS1_3gpuE8ELNS1_3repE0EEENS1_38merge_mergepath_config_static_selectorELNS0_4arch9wavefront6targetE0EEEvSF_
                                        ; -- End function
	.set _ZN7rocprim17ROCPRIM_400000_NS6detail17trampoline_kernelINS0_14default_configENS1_38merge_sort_block_merge_config_selectorIbNS0_10empty_typeEEEZZNS1_27merge_sort_block_merge_implIS3_PbPS5_jNS1_19radix_merge_compareILb0ELb1EbNS0_19identity_decomposerEEEEE10hipError_tT0_T1_T2_jT3_P12ihipStream_tbPNSt15iterator_traitsISE_E10value_typeEPNSK_ISF_E10value_typeEPSG_NS1_7vsmem_tEENKUlT_SE_SF_SG_E_clIS8_S8_S9_S9_EESD_ST_SE_SF_SG_EUlST_E0_NS1_11comp_targetILNS1_3genE4ELNS1_11target_archE910ELNS1_3gpuE8ELNS1_3repE0EEENS1_38merge_mergepath_config_static_selectorELNS0_4arch9wavefront6targetE0EEEvSF_.num_vgpr, 0
	.set _ZN7rocprim17ROCPRIM_400000_NS6detail17trampoline_kernelINS0_14default_configENS1_38merge_sort_block_merge_config_selectorIbNS0_10empty_typeEEEZZNS1_27merge_sort_block_merge_implIS3_PbPS5_jNS1_19radix_merge_compareILb0ELb1EbNS0_19identity_decomposerEEEEE10hipError_tT0_T1_T2_jT3_P12ihipStream_tbPNSt15iterator_traitsISE_E10value_typeEPNSK_ISF_E10value_typeEPSG_NS1_7vsmem_tEENKUlT_SE_SF_SG_E_clIS8_S8_S9_S9_EESD_ST_SE_SF_SG_EUlST_E0_NS1_11comp_targetILNS1_3genE4ELNS1_11target_archE910ELNS1_3gpuE8ELNS1_3repE0EEENS1_38merge_mergepath_config_static_selectorELNS0_4arch9wavefront6targetE0EEEvSF_.num_agpr, 0
	.set _ZN7rocprim17ROCPRIM_400000_NS6detail17trampoline_kernelINS0_14default_configENS1_38merge_sort_block_merge_config_selectorIbNS0_10empty_typeEEEZZNS1_27merge_sort_block_merge_implIS3_PbPS5_jNS1_19radix_merge_compareILb0ELb1EbNS0_19identity_decomposerEEEEE10hipError_tT0_T1_T2_jT3_P12ihipStream_tbPNSt15iterator_traitsISE_E10value_typeEPNSK_ISF_E10value_typeEPSG_NS1_7vsmem_tEENKUlT_SE_SF_SG_E_clIS8_S8_S9_S9_EESD_ST_SE_SF_SG_EUlST_E0_NS1_11comp_targetILNS1_3genE4ELNS1_11target_archE910ELNS1_3gpuE8ELNS1_3repE0EEENS1_38merge_mergepath_config_static_selectorELNS0_4arch9wavefront6targetE0EEEvSF_.numbered_sgpr, 0
	.set _ZN7rocprim17ROCPRIM_400000_NS6detail17trampoline_kernelINS0_14default_configENS1_38merge_sort_block_merge_config_selectorIbNS0_10empty_typeEEEZZNS1_27merge_sort_block_merge_implIS3_PbPS5_jNS1_19radix_merge_compareILb0ELb1EbNS0_19identity_decomposerEEEEE10hipError_tT0_T1_T2_jT3_P12ihipStream_tbPNSt15iterator_traitsISE_E10value_typeEPNSK_ISF_E10value_typeEPSG_NS1_7vsmem_tEENKUlT_SE_SF_SG_E_clIS8_S8_S9_S9_EESD_ST_SE_SF_SG_EUlST_E0_NS1_11comp_targetILNS1_3genE4ELNS1_11target_archE910ELNS1_3gpuE8ELNS1_3repE0EEENS1_38merge_mergepath_config_static_selectorELNS0_4arch9wavefront6targetE0EEEvSF_.num_named_barrier, 0
	.set _ZN7rocprim17ROCPRIM_400000_NS6detail17trampoline_kernelINS0_14default_configENS1_38merge_sort_block_merge_config_selectorIbNS0_10empty_typeEEEZZNS1_27merge_sort_block_merge_implIS3_PbPS5_jNS1_19radix_merge_compareILb0ELb1EbNS0_19identity_decomposerEEEEE10hipError_tT0_T1_T2_jT3_P12ihipStream_tbPNSt15iterator_traitsISE_E10value_typeEPNSK_ISF_E10value_typeEPSG_NS1_7vsmem_tEENKUlT_SE_SF_SG_E_clIS8_S8_S9_S9_EESD_ST_SE_SF_SG_EUlST_E0_NS1_11comp_targetILNS1_3genE4ELNS1_11target_archE910ELNS1_3gpuE8ELNS1_3repE0EEENS1_38merge_mergepath_config_static_selectorELNS0_4arch9wavefront6targetE0EEEvSF_.private_seg_size, 0
	.set _ZN7rocprim17ROCPRIM_400000_NS6detail17trampoline_kernelINS0_14default_configENS1_38merge_sort_block_merge_config_selectorIbNS0_10empty_typeEEEZZNS1_27merge_sort_block_merge_implIS3_PbPS5_jNS1_19radix_merge_compareILb0ELb1EbNS0_19identity_decomposerEEEEE10hipError_tT0_T1_T2_jT3_P12ihipStream_tbPNSt15iterator_traitsISE_E10value_typeEPNSK_ISF_E10value_typeEPSG_NS1_7vsmem_tEENKUlT_SE_SF_SG_E_clIS8_S8_S9_S9_EESD_ST_SE_SF_SG_EUlST_E0_NS1_11comp_targetILNS1_3genE4ELNS1_11target_archE910ELNS1_3gpuE8ELNS1_3repE0EEENS1_38merge_mergepath_config_static_selectorELNS0_4arch9wavefront6targetE0EEEvSF_.uses_vcc, 0
	.set _ZN7rocprim17ROCPRIM_400000_NS6detail17trampoline_kernelINS0_14default_configENS1_38merge_sort_block_merge_config_selectorIbNS0_10empty_typeEEEZZNS1_27merge_sort_block_merge_implIS3_PbPS5_jNS1_19radix_merge_compareILb0ELb1EbNS0_19identity_decomposerEEEEE10hipError_tT0_T1_T2_jT3_P12ihipStream_tbPNSt15iterator_traitsISE_E10value_typeEPNSK_ISF_E10value_typeEPSG_NS1_7vsmem_tEENKUlT_SE_SF_SG_E_clIS8_S8_S9_S9_EESD_ST_SE_SF_SG_EUlST_E0_NS1_11comp_targetILNS1_3genE4ELNS1_11target_archE910ELNS1_3gpuE8ELNS1_3repE0EEENS1_38merge_mergepath_config_static_selectorELNS0_4arch9wavefront6targetE0EEEvSF_.uses_flat_scratch, 0
	.set _ZN7rocprim17ROCPRIM_400000_NS6detail17trampoline_kernelINS0_14default_configENS1_38merge_sort_block_merge_config_selectorIbNS0_10empty_typeEEEZZNS1_27merge_sort_block_merge_implIS3_PbPS5_jNS1_19radix_merge_compareILb0ELb1EbNS0_19identity_decomposerEEEEE10hipError_tT0_T1_T2_jT3_P12ihipStream_tbPNSt15iterator_traitsISE_E10value_typeEPNSK_ISF_E10value_typeEPSG_NS1_7vsmem_tEENKUlT_SE_SF_SG_E_clIS8_S8_S9_S9_EESD_ST_SE_SF_SG_EUlST_E0_NS1_11comp_targetILNS1_3genE4ELNS1_11target_archE910ELNS1_3gpuE8ELNS1_3repE0EEENS1_38merge_mergepath_config_static_selectorELNS0_4arch9wavefront6targetE0EEEvSF_.has_dyn_sized_stack, 0
	.set _ZN7rocprim17ROCPRIM_400000_NS6detail17trampoline_kernelINS0_14default_configENS1_38merge_sort_block_merge_config_selectorIbNS0_10empty_typeEEEZZNS1_27merge_sort_block_merge_implIS3_PbPS5_jNS1_19radix_merge_compareILb0ELb1EbNS0_19identity_decomposerEEEEE10hipError_tT0_T1_T2_jT3_P12ihipStream_tbPNSt15iterator_traitsISE_E10value_typeEPNSK_ISF_E10value_typeEPSG_NS1_7vsmem_tEENKUlT_SE_SF_SG_E_clIS8_S8_S9_S9_EESD_ST_SE_SF_SG_EUlST_E0_NS1_11comp_targetILNS1_3genE4ELNS1_11target_archE910ELNS1_3gpuE8ELNS1_3repE0EEENS1_38merge_mergepath_config_static_selectorELNS0_4arch9wavefront6targetE0EEEvSF_.has_recursion, 0
	.set _ZN7rocprim17ROCPRIM_400000_NS6detail17trampoline_kernelINS0_14default_configENS1_38merge_sort_block_merge_config_selectorIbNS0_10empty_typeEEEZZNS1_27merge_sort_block_merge_implIS3_PbPS5_jNS1_19radix_merge_compareILb0ELb1EbNS0_19identity_decomposerEEEEE10hipError_tT0_T1_T2_jT3_P12ihipStream_tbPNSt15iterator_traitsISE_E10value_typeEPNSK_ISF_E10value_typeEPSG_NS1_7vsmem_tEENKUlT_SE_SF_SG_E_clIS8_S8_S9_S9_EESD_ST_SE_SF_SG_EUlST_E0_NS1_11comp_targetILNS1_3genE4ELNS1_11target_archE910ELNS1_3gpuE8ELNS1_3repE0EEENS1_38merge_mergepath_config_static_selectorELNS0_4arch9wavefront6targetE0EEEvSF_.has_indirect_call, 0
	.section	.AMDGPU.csdata,"",@progbits
; Kernel info:
; codeLenInByte = 0
; TotalNumSgprs: 0
; NumVgprs: 0
; ScratchSize: 0
; MemoryBound: 0
; FloatMode: 240
; IeeeMode: 1
; LDSByteSize: 0 bytes/workgroup (compile time only)
; SGPRBlocks: 0
; VGPRBlocks: 0
; NumSGPRsForWavesPerEU: 1
; NumVGPRsForWavesPerEU: 1
; NamedBarCnt: 0
; Occupancy: 16
; WaveLimiterHint : 0
; COMPUTE_PGM_RSRC2:SCRATCH_EN: 0
; COMPUTE_PGM_RSRC2:USER_SGPR: 2
; COMPUTE_PGM_RSRC2:TRAP_HANDLER: 0
; COMPUTE_PGM_RSRC2:TGID_X_EN: 1
; COMPUTE_PGM_RSRC2:TGID_Y_EN: 0
; COMPUTE_PGM_RSRC2:TGID_Z_EN: 0
; COMPUTE_PGM_RSRC2:TIDIG_COMP_CNT: 0
	.section	.text._ZN7rocprim17ROCPRIM_400000_NS6detail17trampoline_kernelINS0_14default_configENS1_38merge_sort_block_merge_config_selectorIbNS0_10empty_typeEEEZZNS1_27merge_sort_block_merge_implIS3_PbPS5_jNS1_19radix_merge_compareILb0ELb1EbNS0_19identity_decomposerEEEEE10hipError_tT0_T1_T2_jT3_P12ihipStream_tbPNSt15iterator_traitsISE_E10value_typeEPNSK_ISF_E10value_typeEPSG_NS1_7vsmem_tEENKUlT_SE_SF_SG_E_clIS8_S8_S9_S9_EESD_ST_SE_SF_SG_EUlST_E0_NS1_11comp_targetILNS1_3genE3ELNS1_11target_archE908ELNS1_3gpuE7ELNS1_3repE0EEENS1_38merge_mergepath_config_static_selectorELNS0_4arch9wavefront6targetE0EEEvSF_,"axG",@progbits,_ZN7rocprim17ROCPRIM_400000_NS6detail17trampoline_kernelINS0_14default_configENS1_38merge_sort_block_merge_config_selectorIbNS0_10empty_typeEEEZZNS1_27merge_sort_block_merge_implIS3_PbPS5_jNS1_19radix_merge_compareILb0ELb1EbNS0_19identity_decomposerEEEEE10hipError_tT0_T1_T2_jT3_P12ihipStream_tbPNSt15iterator_traitsISE_E10value_typeEPNSK_ISF_E10value_typeEPSG_NS1_7vsmem_tEENKUlT_SE_SF_SG_E_clIS8_S8_S9_S9_EESD_ST_SE_SF_SG_EUlST_E0_NS1_11comp_targetILNS1_3genE3ELNS1_11target_archE908ELNS1_3gpuE7ELNS1_3repE0EEENS1_38merge_mergepath_config_static_selectorELNS0_4arch9wavefront6targetE0EEEvSF_,comdat
	.protected	_ZN7rocprim17ROCPRIM_400000_NS6detail17trampoline_kernelINS0_14default_configENS1_38merge_sort_block_merge_config_selectorIbNS0_10empty_typeEEEZZNS1_27merge_sort_block_merge_implIS3_PbPS5_jNS1_19radix_merge_compareILb0ELb1EbNS0_19identity_decomposerEEEEE10hipError_tT0_T1_T2_jT3_P12ihipStream_tbPNSt15iterator_traitsISE_E10value_typeEPNSK_ISF_E10value_typeEPSG_NS1_7vsmem_tEENKUlT_SE_SF_SG_E_clIS8_S8_S9_S9_EESD_ST_SE_SF_SG_EUlST_E0_NS1_11comp_targetILNS1_3genE3ELNS1_11target_archE908ELNS1_3gpuE7ELNS1_3repE0EEENS1_38merge_mergepath_config_static_selectorELNS0_4arch9wavefront6targetE0EEEvSF_ ; -- Begin function _ZN7rocprim17ROCPRIM_400000_NS6detail17trampoline_kernelINS0_14default_configENS1_38merge_sort_block_merge_config_selectorIbNS0_10empty_typeEEEZZNS1_27merge_sort_block_merge_implIS3_PbPS5_jNS1_19radix_merge_compareILb0ELb1EbNS0_19identity_decomposerEEEEE10hipError_tT0_T1_T2_jT3_P12ihipStream_tbPNSt15iterator_traitsISE_E10value_typeEPNSK_ISF_E10value_typeEPSG_NS1_7vsmem_tEENKUlT_SE_SF_SG_E_clIS8_S8_S9_S9_EESD_ST_SE_SF_SG_EUlST_E0_NS1_11comp_targetILNS1_3genE3ELNS1_11target_archE908ELNS1_3gpuE7ELNS1_3repE0EEENS1_38merge_mergepath_config_static_selectorELNS0_4arch9wavefront6targetE0EEEvSF_
	.globl	_ZN7rocprim17ROCPRIM_400000_NS6detail17trampoline_kernelINS0_14default_configENS1_38merge_sort_block_merge_config_selectorIbNS0_10empty_typeEEEZZNS1_27merge_sort_block_merge_implIS3_PbPS5_jNS1_19radix_merge_compareILb0ELb1EbNS0_19identity_decomposerEEEEE10hipError_tT0_T1_T2_jT3_P12ihipStream_tbPNSt15iterator_traitsISE_E10value_typeEPNSK_ISF_E10value_typeEPSG_NS1_7vsmem_tEENKUlT_SE_SF_SG_E_clIS8_S8_S9_S9_EESD_ST_SE_SF_SG_EUlST_E0_NS1_11comp_targetILNS1_3genE3ELNS1_11target_archE908ELNS1_3gpuE7ELNS1_3repE0EEENS1_38merge_mergepath_config_static_selectorELNS0_4arch9wavefront6targetE0EEEvSF_
	.p2align	8
	.type	_ZN7rocprim17ROCPRIM_400000_NS6detail17trampoline_kernelINS0_14default_configENS1_38merge_sort_block_merge_config_selectorIbNS0_10empty_typeEEEZZNS1_27merge_sort_block_merge_implIS3_PbPS5_jNS1_19radix_merge_compareILb0ELb1EbNS0_19identity_decomposerEEEEE10hipError_tT0_T1_T2_jT3_P12ihipStream_tbPNSt15iterator_traitsISE_E10value_typeEPNSK_ISF_E10value_typeEPSG_NS1_7vsmem_tEENKUlT_SE_SF_SG_E_clIS8_S8_S9_S9_EESD_ST_SE_SF_SG_EUlST_E0_NS1_11comp_targetILNS1_3genE3ELNS1_11target_archE908ELNS1_3gpuE7ELNS1_3repE0EEENS1_38merge_mergepath_config_static_selectorELNS0_4arch9wavefront6targetE0EEEvSF_,@function
_ZN7rocprim17ROCPRIM_400000_NS6detail17trampoline_kernelINS0_14default_configENS1_38merge_sort_block_merge_config_selectorIbNS0_10empty_typeEEEZZNS1_27merge_sort_block_merge_implIS3_PbPS5_jNS1_19radix_merge_compareILb0ELb1EbNS0_19identity_decomposerEEEEE10hipError_tT0_T1_T2_jT3_P12ihipStream_tbPNSt15iterator_traitsISE_E10value_typeEPNSK_ISF_E10value_typeEPSG_NS1_7vsmem_tEENKUlT_SE_SF_SG_E_clIS8_S8_S9_S9_EESD_ST_SE_SF_SG_EUlST_E0_NS1_11comp_targetILNS1_3genE3ELNS1_11target_archE908ELNS1_3gpuE7ELNS1_3repE0EEENS1_38merge_mergepath_config_static_selectorELNS0_4arch9wavefront6targetE0EEEvSF_: ; @_ZN7rocprim17ROCPRIM_400000_NS6detail17trampoline_kernelINS0_14default_configENS1_38merge_sort_block_merge_config_selectorIbNS0_10empty_typeEEEZZNS1_27merge_sort_block_merge_implIS3_PbPS5_jNS1_19radix_merge_compareILb0ELb1EbNS0_19identity_decomposerEEEEE10hipError_tT0_T1_T2_jT3_P12ihipStream_tbPNSt15iterator_traitsISE_E10value_typeEPNSK_ISF_E10value_typeEPSG_NS1_7vsmem_tEENKUlT_SE_SF_SG_E_clIS8_S8_S9_S9_EESD_ST_SE_SF_SG_EUlST_E0_NS1_11comp_targetILNS1_3genE3ELNS1_11target_archE908ELNS1_3gpuE7ELNS1_3repE0EEENS1_38merge_mergepath_config_static_selectorELNS0_4arch9wavefront6targetE0EEEvSF_
; %bb.0:
	.section	.rodata,"a",@progbits
	.p2align	6, 0x0
	.amdhsa_kernel _ZN7rocprim17ROCPRIM_400000_NS6detail17trampoline_kernelINS0_14default_configENS1_38merge_sort_block_merge_config_selectorIbNS0_10empty_typeEEEZZNS1_27merge_sort_block_merge_implIS3_PbPS5_jNS1_19radix_merge_compareILb0ELb1EbNS0_19identity_decomposerEEEEE10hipError_tT0_T1_T2_jT3_P12ihipStream_tbPNSt15iterator_traitsISE_E10value_typeEPNSK_ISF_E10value_typeEPSG_NS1_7vsmem_tEENKUlT_SE_SF_SG_E_clIS8_S8_S9_S9_EESD_ST_SE_SF_SG_EUlST_E0_NS1_11comp_targetILNS1_3genE3ELNS1_11target_archE908ELNS1_3gpuE7ELNS1_3repE0EEENS1_38merge_mergepath_config_static_selectorELNS0_4arch9wavefront6targetE0EEEvSF_
		.amdhsa_group_segment_fixed_size 0
		.amdhsa_private_segment_fixed_size 0
		.amdhsa_kernarg_size 64
		.amdhsa_user_sgpr_count 2
		.amdhsa_user_sgpr_dispatch_ptr 0
		.amdhsa_user_sgpr_queue_ptr 0
		.amdhsa_user_sgpr_kernarg_segment_ptr 1
		.amdhsa_user_sgpr_dispatch_id 0
		.amdhsa_user_sgpr_kernarg_preload_length 0
		.amdhsa_user_sgpr_kernarg_preload_offset 0
		.amdhsa_user_sgpr_private_segment_size 0
		.amdhsa_wavefront_size32 1
		.amdhsa_uses_dynamic_stack 0
		.amdhsa_enable_private_segment 0
		.amdhsa_system_sgpr_workgroup_id_x 1
		.amdhsa_system_sgpr_workgroup_id_y 0
		.amdhsa_system_sgpr_workgroup_id_z 0
		.amdhsa_system_sgpr_workgroup_info 0
		.amdhsa_system_vgpr_workitem_id 0
		.amdhsa_next_free_vgpr 1
		.amdhsa_next_free_sgpr 1
		.amdhsa_named_barrier_count 0
		.amdhsa_reserve_vcc 0
		.amdhsa_float_round_mode_32 0
		.amdhsa_float_round_mode_16_64 0
		.amdhsa_float_denorm_mode_32 3
		.amdhsa_float_denorm_mode_16_64 3
		.amdhsa_fp16_overflow 0
		.amdhsa_memory_ordered 1
		.amdhsa_forward_progress 1
		.amdhsa_inst_pref_size 0
		.amdhsa_round_robin_scheduling 0
		.amdhsa_exception_fp_ieee_invalid_op 0
		.amdhsa_exception_fp_denorm_src 0
		.amdhsa_exception_fp_ieee_div_zero 0
		.amdhsa_exception_fp_ieee_overflow 0
		.amdhsa_exception_fp_ieee_underflow 0
		.amdhsa_exception_fp_ieee_inexact 0
		.amdhsa_exception_int_div_zero 0
	.end_amdhsa_kernel
	.section	.text._ZN7rocprim17ROCPRIM_400000_NS6detail17trampoline_kernelINS0_14default_configENS1_38merge_sort_block_merge_config_selectorIbNS0_10empty_typeEEEZZNS1_27merge_sort_block_merge_implIS3_PbPS5_jNS1_19radix_merge_compareILb0ELb1EbNS0_19identity_decomposerEEEEE10hipError_tT0_T1_T2_jT3_P12ihipStream_tbPNSt15iterator_traitsISE_E10value_typeEPNSK_ISF_E10value_typeEPSG_NS1_7vsmem_tEENKUlT_SE_SF_SG_E_clIS8_S8_S9_S9_EESD_ST_SE_SF_SG_EUlST_E0_NS1_11comp_targetILNS1_3genE3ELNS1_11target_archE908ELNS1_3gpuE7ELNS1_3repE0EEENS1_38merge_mergepath_config_static_selectorELNS0_4arch9wavefront6targetE0EEEvSF_,"axG",@progbits,_ZN7rocprim17ROCPRIM_400000_NS6detail17trampoline_kernelINS0_14default_configENS1_38merge_sort_block_merge_config_selectorIbNS0_10empty_typeEEEZZNS1_27merge_sort_block_merge_implIS3_PbPS5_jNS1_19radix_merge_compareILb0ELb1EbNS0_19identity_decomposerEEEEE10hipError_tT0_T1_T2_jT3_P12ihipStream_tbPNSt15iterator_traitsISE_E10value_typeEPNSK_ISF_E10value_typeEPSG_NS1_7vsmem_tEENKUlT_SE_SF_SG_E_clIS8_S8_S9_S9_EESD_ST_SE_SF_SG_EUlST_E0_NS1_11comp_targetILNS1_3genE3ELNS1_11target_archE908ELNS1_3gpuE7ELNS1_3repE0EEENS1_38merge_mergepath_config_static_selectorELNS0_4arch9wavefront6targetE0EEEvSF_,comdat
.Lfunc_end1822:
	.size	_ZN7rocprim17ROCPRIM_400000_NS6detail17trampoline_kernelINS0_14default_configENS1_38merge_sort_block_merge_config_selectorIbNS0_10empty_typeEEEZZNS1_27merge_sort_block_merge_implIS3_PbPS5_jNS1_19radix_merge_compareILb0ELb1EbNS0_19identity_decomposerEEEEE10hipError_tT0_T1_T2_jT3_P12ihipStream_tbPNSt15iterator_traitsISE_E10value_typeEPNSK_ISF_E10value_typeEPSG_NS1_7vsmem_tEENKUlT_SE_SF_SG_E_clIS8_S8_S9_S9_EESD_ST_SE_SF_SG_EUlST_E0_NS1_11comp_targetILNS1_3genE3ELNS1_11target_archE908ELNS1_3gpuE7ELNS1_3repE0EEENS1_38merge_mergepath_config_static_selectorELNS0_4arch9wavefront6targetE0EEEvSF_, .Lfunc_end1822-_ZN7rocprim17ROCPRIM_400000_NS6detail17trampoline_kernelINS0_14default_configENS1_38merge_sort_block_merge_config_selectorIbNS0_10empty_typeEEEZZNS1_27merge_sort_block_merge_implIS3_PbPS5_jNS1_19radix_merge_compareILb0ELb1EbNS0_19identity_decomposerEEEEE10hipError_tT0_T1_T2_jT3_P12ihipStream_tbPNSt15iterator_traitsISE_E10value_typeEPNSK_ISF_E10value_typeEPSG_NS1_7vsmem_tEENKUlT_SE_SF_SG_E_clIS8_S8_S9_S9_EESD_ST_SE_SF_SG_EUlST_E0_NS1_11comp_targetILNS1_3genE3ELNS1_11target_archE908ELNS1_3gpuE7ELNS1_3repE0EEENS1_38merge_mergepath_config_static_selectorELNS0_4arch9wavefront6targetE0EEEvSF_
                                        ; -- End function
	.set _ZN7rocprim17ROCPRIM_400000_NS6detail17trampoline_kernelINS0_14default_configENS1_38merge_sort_block_merge_config_selectorIbNS0_10empty_typeEEEZZNS1_27merge_sort_block_merge_implIS3_PbPS5_jNS1_19radix_merge_compareILb0ELb1EbNS0_19identity_decomposerEEEEE10hipError_tT0_T1_T2_jT3_P12ihipStream_tbPNSt15iterator_traitsISE_E10value_typeEPNSK_ISF_E10value_typeEPSG_NS1_7vsmem_tEENKUlT_SE_SF_SG_E_clIS8_S8_S9_S9_EESD_ST_SE_SF_SG_EUlST_E0_NS1_11comp_targetILNS1_3genE3ELNS1_11target_archE908ELNS1_3gpuE7ELNS1_3repE0EEENS1_38merge_mergepath_config_static_selectorELNS0_4arch9wavefront6targetE0EEEvSF_.num_vgpr, 0
	.set _ZN7rocprim17ROCPRIM_400000_NS6detail17trampoline_kernelINS0_14default_configENS1_38merge_sort_block_merge_config_selectorIbNS0_10empty_typeEEEZZNS1_27merge_sort_block_merge_implIS3_PbPS5_jNS1_19radix_merge_compareILb0ELb1EbNS0_19identity_decomposerEEEEE10hipError_tT0_T1_T2_jT3_P12ihipStream_tbPNSt15iterator_traitsISE_E10value_typeEPNSK_ISF_E10value_typeEPSG_NS1_7vsmem_tEENKUlT_SE_SF_SG_E_clIS8_S8_S9_S9_EESD_ST_SE_SF_SG_EUlST_E0_NS1_11comp_targetILNS1_3genE3ELNS1_11target_archE908ELNS1_3gpuE7ELNS1_3repE0EEENS1_38merge_mergepath_config_static_selectorELNS0_4arch9wavefront6targetE0EEEvSF_.num_agpr, 0
	.set _ZN7rocprim17ROCPRIM_400000_NS6detail17trampoline_kernelINS0_14default_configENS1_38merge_sort_block_merge_config_selectorIbNS0_10empty_typeEEEZZNS1_27merge_sort_block_merge_implIS3_PbPS5_jNS1_19radix_merge_compareILb0ELb1EbNS0_19identity_decomposerEEEEE10hipError_tT0_T1_T2_jT3_P12ihipStream_tbPNSt15iterator_traitsISE_E10value_typeEPNSK_ISF_E10value_typeEPSG_NS1_7vsmem_tEENKUlT_SE_SF_SG_E_clIS8_S8_S9_S9_EESD_ST_SE_SF_SG_EUlST_E0_NS1_11comp_targetILNS1_3genE3ELNS1_11target_archE908ELNS1_3gpuE7ELNS1_3repE0EEENS1_38merge_mergepath_config_static_selectorELNS0_4arch9wavefront6targetE0EEEvSF_.numbered_sgpr, 0
	.set _ZN7rocprim17ROCPRIM_400000_NS6detail17trampoline_kernelINS0_14default_configENS1_38merge_sort_block_merge_config_selectorIbNS0_10empty_typeEEEZZNS1_27merge_sort_block_merge_implIS3_PbPS5_jNS1_19radix_merge_compareILb0ELb1EbNS0_19identity_decomposerEEEEE10hipError_tT0_T1_T2_jT3_P12ihipStream_tbPNSt15iterator_traitsISE_E10value_typeEPNSK_ISF_E10value_typeEPSG_NS1_7vsmem_tEENKUlT_SE_SF_SG_E_clIS8_S8_S9_S9_EESD_ST_SE_SF_SG_EUlST_E0_NS1_11comp_targetILNS1_3genE3ELNS1_11target_archE908ELNS1_3gpuE7ELNS1_3repE0EEENS1_38merge_mergepath_config_static_selectorELNS0_4arch9wavefront6targetE0EEEvSF_.num_named_barrier, 0
	.set _ZN7rocprim17ROCPRIM_400000_NS6detail17trampoline_kernelINS0_14default_configENS1_38merge_sort_block_merge_config_selectorIbNS0_10empty_typeEEEZZNS1_27merge_sort_block_merge_implIS3_PbPS5_jNS1_19radix_merge_compareILb0ELb1EbNS0_19identity_decomposerEEEEE10hipError_tT0_T1_T2_jT3_P12ihipStream_tbPNSt15iterator_traitsISE_E10value_typeEPNSK_ISF_E10value_typeEPSG_NS1_7vsmem_tEENKUlT_SE_SF_SG_E_clIS8_S8_S9_S9_EESD_ST_SE_SF_SG_EUlST_E0_NS1_11comp_targetILNS1_3genE3ELNS1_11target_archE908ELNS1_3gpuE7ELNS1_3repE0EEENS1_38merge_mergepath_config_static_selectorELNS0_4arch9wavefront6targetE0EEEvSF_.private_seg_size, 0
	.set _ZN7rocprim17ROCPRIM_400000_NS6detail17trampoline_kernelINS0_14default_configENS1_38merge_sort_block_merge_config_selectorIbNS0_10empty_typeEEEZZNS1_27merge_sort_block_merge_implIS3_PbPS5_jNS1_19radix_merge_compareILb0ELb1EbNS0_19identity_decomposerEEEEE10hipError_tT0_T1_T2_jT3_P12ihipStream_tbPNSt15iterator_traitsISE_E10value_typeEPNSK_ISF_E10value_typeEPSG_NS1_7vsmem_tEENKUlT_SE_SF_SG_E_clIS8_S8_S9_S9_EESD_ST_SE_SF_SG_EUlST_E0_NS1_11comp_targetILNS1_3genE3ELNS1_11target_archE908ELNS1_3gpuE7ELNS1_3repE0EEENS1_38merge_mergepath_config_static_selectorELNS0_4arch9wavefront6targetE0EEEvSF_.uses_vcc, 0
	.set _ZN7rocprim17ROCPRIM_400000_NS6detail17trampoline_kernelINS0_14default_configENS1_38merge_sort_block_merge_config_selectorIbNS0_10empty_typeEEEZZNS1_27merge_sort_block_merge_implIS3_PbPS5_jNS1_19radix_merge_compareILb0ELb1EbNS0_19identity_decomposerEEEEE10hipError_tT0_T1_T2_jT3_P12ihipStream_tbPNSt15iterator_traitsISE_E10value_typeEPNSK_ISF_E10value_typeEPSG_NS1_7vsmem_tEENKUlT_SE_SF_SG_E_clIS8_S8_S9_S9_EESD_ST_SE_SF_SG_EUlST_E0_NS1_11comp_targetILNS1_3genE3ELNS1_11target_archE908ELNS1_3gpuE7ELNS1_3repE0EEENS1_38merge_mergepath_config_static_selectorELNS0_4arch9wavefront6targetE0EEEvSF_.uses_flat_scratch, 0
	.set _ZN7rocprim17ROCPRIM_400000_NS6detail17trampoline_kernelINS0_14default_configENS1_38merge_sort_block_merge_config_selectorIbNS0_10empty_typeEEEZZNS1_27merge_sort_block_merge_implIS3_PbPS5_jNS1_19radix_merge_compareILb0ELb1EbNS0_19identity_decomposerEEEEE10hipError_tT0_T1_T2_jT3_P12ihipStream_tbPNSt15iterator_traitsISE_E10value_typeEPNSK_ISF_E10value_typeEPSG_NS1_7vsmem_tEENKUlT_SE_SF_SG_E_clIS8_S8_S9_S9_EESD_ST_SE_SF_SG_EUlST_E0_NS1_11comp_targetILNS1_3genE3ELNS1_11target_archE908ELNS1_3gpuE7ELNS1_3repE0EEENS1_38merge_mergepath_config_static_selectorELNS0_4arch9wavefront6targetE0EEEvSF_.has_dyn_sized_stack, 0
	.set _ZN7rocprim17ROCPRIM_400000_NS6detail17trampoline_kernelINS0_14default_configENS1_38merge_sort_block_merge_config_selectorIbNS0_10empty_typeEEEZZNS1_27merge_sort_block_merge_implIS3_PbPS5_jNS1_19radix_merge_compareILb0ELb1EbNS0_19identity_decomposerEEEEE10hipError_tT0_T1_T2_jT3_P12ihipStream_tbPNSt15iterator_traitsISE_E10value_typeEPNSK_ISF_E10value_typeEPSG_NS1_7vsmem_tEENKUlT_SE_SF_SG_E_clIS8_S8_S9_S9_EESD_ST_SE_SF_SG_EUlST_E0_NS1_11comp_targetILNS1_3genE3ELNS1_11target_archE908ELNS1_3gpuE7ELNS1_3repE0EEENS1_38merge_mergepath_config_static_selectorELNS0_4arch9wavefront6targetE0EEEvSF_.has_recursion, 0
	.set _ZN7rocprim17ROCPRIM_400000_NS6detail17trampoline_kernelINS0_14default_configENS1_38merge_sort_block_merge_config_selectorIbNS0_10empty_typeEEEZZNS1_27merge_sort_block_merge_implIS3_PbPS5_jNS1_19radix_merge_compareILb0ELb1EbNS0_19identity_decomposerEEEEE10hipError_tT0_T1_T2_jT3_P12ihipStream_tbPNSt15iterator_traitsISE_E10value_typeEPNSK_ISF_E10value_typeEPSG_NS1_7vsmem_tEENKUlT_SE_SF_SG_E_clIS8_S8_S9_S9_EESD_ST_SE_SF_SG_EUlST_E0_NS1_11comp_targetILNS1_3genE3ELNS1_11target_archE908ELNS1_3gpuE7ELNS1_3repE0EEENS1_38merge_mergepath_config_static_selectorELNS0_4arch9wavefront6targetE0EEEvSF_.has_indirect_call, 0
	.section	.AMDGPU.csdata,"",@progbits
; Kernel info:
; codeLenInByte = 0
; TotalNumSgprs: 0
; NumVgprs: 0
; ScratchSize: 0
; MemoryBound: 0
; FloatMode: 240
; IeeeMode: 1
; LDSByteSize: 0 bytes/workgroup (compile time only)
; SGPRBlocks: 0
; VGPRBlocks: 0
; NumSGPRsForWavesPerEU: 1
; NumVGPRsForWavesPerEU: 1
; NamedBarCnt: 0
; Occupancy: 16
; WaveLimiterHint : 0
; COMPUTE_PGM_RSRC2:SCRATCH_EN: 0
; COMPUTE_PGM_RSRC2:USER_SGPR: 2
; COMPUTE_PGM_RSRC2:TRAP_HANDLER: 0
; COMPUTE_PGM_RSRC2:TGID_X_EN: 1
; COMPUTE_PGM_RSRC2:TGID_Y_EN: 0
; COMPUTE_PGM_RSRC2:TGID_Z_EN: 0
; COMPUTE_PGM_RSRC2:TIDIG_COMP_CNT: 0
	.section	.text._ZN7rocprim17ROCPRIM_400000_NS6detail17trampoline_kernelINS0_14default_configENS1_38merge_sort_block_merge_config_selectorIbNS0_10empty_typeEEEZZNS1_27merge_sort_block_merge_implIS3_PbPS5_jNS1_19radix_merge_compareILb0ELb1EbNS0_19identity_decomposerEEEEE10hipError_tT0_T1_T2_jT3_P12ihipStream_tbPNSt15iterator_traitsISE_E10value_typeEPNSK_ISF_E10value_typeEPSG_NS1_7vsmem_tEENKUlT_SE_SF_SG_E_clIS8_S8_S9_S9_EESD_ST_SE_SF_SG_EUlST_E0_NS1_11comp_targetILNS1_3genE2ELNS1_11target_archE906ELNS1_3gpuE6ELNS1_3repE0EEENS1_38merge_mergepath_config_static_selectorELNS0_4arch9wavefront6targetE0EEEvSF_,"axG",@progbits,_ZN7rocprim17ROCPRIM_400000_NS6detail17trampoline_kernelINS0_14default_configENS1_38merge_sort_block_merge_config_selectorIbNS0_10empty_typeEEEZZNS1_27merge_sort_block_merge_implIS3_PbPS5_jNS1_19radix_merge_compareILb0ELb1EbNS0_19identity_decomposerEEEEE10hipError_tT0_T1_T2_jT3_P12ihipStream_tbPNSt15iterator_traitsISE_E10value_typeEPNSK_ISF_E10value_typeEPSG_NS1_7vsmem_tEENKUlT_SE_SF_SG_E_clIS8_S8_S9_S9_EESD_ST_SE_SF_SG_EUlST_E0_NS1_11comp_targetILNS1_3genE2ELNS1_11target_archE906ELNS1_3gpuE6ELNS1_3repE0EEENS1_38merge_mergepath_config_static_selectorELNS0_4arch9wavefront6targetE0EEEvSF_,comdat
	.protected	_ZN7rocprim17ROCPRIM_400000_NS6detail17trampoline_kernelINS0_14default_configENS1_38merge_sort_block_merge_config_selectorIbNS0_10empty_typeEEEZZNS1_27merge_sort_block_merge_implIS3_PbPS5_jNS1_19radix_merge_compareILb0ELb1EbNS0_19identity_decomposerEEEEE10hipError_tT0_T1_T2_jT3_P12ihipStream_tbPNSt15iterator_traitsISE_E10value_typeEPNSK_ISF_E10value_typeEPSG_NS1_7vsmem_tEENKUlT_SE_SF_SG_E_clIS8_S8_S9_S9_EESD_ST_SE_SF_SG_EUlST_E0_NS1_11comp_targetILNS1_3genE2ELNS1_11target_archE906ELNS1_3gpuE6ELNS1_3repE0EEENS1_38merge_mergepath_config_static_selectorELNS0_4arch9wavefront6targetE0EEEvSF_ ; -- Begin function _ZN7rocprim17ROCPRIM_400000_NS6detail17trampoline_kernelINS0_14default_configENS1_38merge_sort_block_merge_config_selectorIbNS0_10empty_typeEEEZZNS1_27merge_sort_block_merge_implIS3_PbPS5_jNS1_19radix_merge_compareILb0ELb1EbNS0_19identity_decomposerEEEEE10hipError_tT0_T1_T2_jT3_P12ihipStream_tbPNSt15iterator_traitsISE_E10value_typeEPNSK_ISF_E10value_typeEPSG_NS1_7vsmem_tEENKUlT_SE_SF_SG_E_clIS8_S8_S9_S9_EESD_ST_SE_SF_SG_EUlST_E0_NS1_11comp_targetILNS1_3genE2ELNS1_11target_archE906ELNS1_3gpuE6ELNS1_3repE0EEENS1_38merge_mergepath_config_static_selectorELNS0_4arch9wavefront6targetE0EEEvSF_
	.globl	_ZN7rocprim17ROCPRIM_400000_NS6detail17trampoline_kernelINS0_14default_configENS1_38merge_sort_block_merge_config_selectorIbNS0_10empty_typeEEEZZNS1_27merge_sort_block_merge_implIS3_PbPS5_jNS1_19radix_merge_compareILb0ELb1EbNS0_19identity_decomposerEEEEE10hipError_tT0_T1_T2_jT3_P12ihipStream_tbPNSt15iterator_traitsISE_E10value_typeEPNSK_ISF_E10value_typeEPSG_NS1_7vsmem_tEENKUlT_SE_SF_SG_E_clIS8_S8_S9_S9_EESD_ST_SE_SF_SG_EUlST_E0_NS1_11comp_targetILNS1_3genE2ELNS1_11target_archE906ELNS1_3gpuE6ELNS1_3repE0EEENS1_38merge_mergepath_config_static_selectorELNS0_4arch9wavefront6targetE0EEEvSF_
	.p2align	8
	.type	_ZN7rocprim17ROCPRIM_400000_NS6detail17trampoline_kernelINS0_14default_configENS1_38merge_sort_block_merge_config_selectorIbNS0_10empty_typeEEEZZNS1_27merge_sort_block_merge_implIS3_PbPS5_jNS1_19radix_merge_compareILb0ELb1EbNS0_19identity_decomposerEEEEE10hipError_tT0_T1_T2_jT3_P12ihipStream_tbPNSt15iterator_traitsISE_E10value_typeEPNSK_ISF_E10value_typeEPSG_NS1_7vsmem_tEENKUlT_SE_SF_SG_E_clIS8_S8_S9_S9_EESD_ST_SE_SF_SG_EUlST_E0_NS1_11comp_targetILNS1_3genE2ELNS1_11target_archE906ELNS1_3gpuE6ELNS1_3repE0EEENS1_38merge_mergepath_config_static_selectorELNS0_4arch9wavefront6targetE0EEEvSF_,@function
_ZN7rocprim17ROCPRIM_400000_NS6detail17trampoline_kernelINS0_14default_configENS1_38merge_sort_block_merge_config_selectorIbNS0_10empty_typeEEEZZNS1_27merge_sort_block_merge_implIS3_PbPS5_jNS1_19radix_merge_compareILb0ELb1EbNS0_19identity_decomposerEEEEE10hipError_tT0_T1_T2_jT3_P12ihipStream_tbPNSt15iterator_traitsISE_E10value_typeEPNSK_ISF_E10value_typeEPSG_NS1_7vsmem_tEENKUlT_SE_SF_SG_E_clIS8_S8_S9_S9_EESD_ST_SE_SF_SG_EUlST_E0_NS1_11comp_targetILNS1_3genE2ELNS1_11target_archE906ELNS1_3gpuE6ELNS1_3repE0EEENS1_38merge_mergepath_config_static_selectorELNS0_4arch9wavefront6targetE0EEEvSF_: ; @_ZN7rocprim17ROCPRIM_400000_NS6detail17trampoline_kernelINS0_14default_configENS1_38merge_sort_block_merge_config_selectorIbNS0_10empty_typeEEEZZNS1_27merge_sort_block_merge_implIS3_PbPS5_jNS1_19radix_merge_compareILb0ELb1EbNS0_19identity_decomposerEEEEE10hipError_tT0_T1_T2_jT3_P12ihipStream_tbPNSt15iterator_traitsISE_E10value_typeEPNSK_ISF_E10value_typeEPSG_NS1_7vsmem_tEENKUlT_SE_SF_SG_E_clIS8_S8_S9_S9_EESD_ST_SE_SF_SG_EUlST_E0_NS1_11comp_targetILNS1_3genE2ELNS1_11target_archE906ELNS1_3gpuE6ELNS1_3repE0EEENS1_38merge_mergepath_config_static_selectorELNS0_4arch9wavefront6targetE0EEEvSF_
; %bb.0:
	.section	.rodata,"a",@progbits
	.p2align	6, 0x0
	.amdhsa_kernel _ZN7rocprim17ROCPRIM_400000_NS6detail17trampoline_kernelINS0_14default_configENS1_38merge_sort_block_merge_config_selectorIbNS0_10empty_typeEEEZZNS1_27merge_sort_block_merge_implIS3_PbPS5_jNS1_19radix_merge_compareILb0ELb1EbNS0_19identity_decomposerEEEEE10hipError_tT0_T1_T2_jT3_P12ihipStream_tbPNSt15iterator_traitsISE_E10value_typeEPNSK_ISF_E10value_typeEPSG_NS1_7vsmem_tEENKUlT_SE_SF_SG_E_clIS8_S8_S9_S9_EESD_ST_SE_SF_SG_EUlST_E0_NS1_11comp_targetILNS1_3genE2ELNS1_11target_archE906ELNS1_3gpuE6ELNS1_3repE0EEENS1_38merge_mergepath_config_static_selectorELNS0_4arch9wavefront6targetE0EEEvSF_
		.amdhsa_group_segment_fixed_size 0
		.amdhsa_private_segment_fixed_size 0
		.amdhsa_kernarg_size 64
		.amdhsa_user_sgpr_count 2
		.amdhsa_user_sgpr_dispatch_ptr 0
		.amdhsa_user_sgpr_queue_ptr 0
		.amdhsa_user_sgpr_kernarg_segment_ptr 1
		.amdhsa_user_sgpr_dispatch_id 0
		.amdhsa_user_sgpr_kernarg_preload_length 0
		.amdhsa_user_sgpr_kernarg_preload_offset 0
		.amdhsa_user_sgpr_private_segment_size 0
		.amdhsa_wavefront_size32 1
		.amdhsa_uses_dynamic_stack 0
		.amdhsa_enable_private_segment 0
		.amdhsa_system_sgpr_workgroup_id_x 1
		.amdhsa_system_sgpr_workgroup_id_y 0
		.amdhsa_system_sgpr_workgroup_id_z 0
		.amdhsa_system_sgpr_workgroup_info 0
		.amdhsa_system_vgpr_workitem_id 0
		.amdhsa_next_free_vgpr 1
		.amdhsa_next_free_sgpr 1
		.amdhsa_named_barrier_count 0
		.amdhsa_reserve_vcc 0
		.amdhsa_float_round_mode_32 0
		.amdhsa_float_round_mode_16_64 0
		.amdhsa_float_denorm_mode_32 3
		.amdhsa_float_denorm_mode_16_64 3
		.amdhsa_fp16_overflow 0
		.amdhsa_memory_ordered 1
		.amdhsa_forward_progress 1
		.amdhsa_inst_pref_size 0
		.amdhsa_round_robin_scheduling 0
		.amdhsa_exception_fp_ieee_invalid_op 0
		.amdhsa_exception_fp_denorm_src 0
		.amdhsa_exception_fp_ieee_div_zero 0
		.amdhsa_exception_fp_ieee_overflow 0
		.amdhsa_exception_fp_ieee_underflow 0
		.amdhsa_exception_fp_ieee_inexact 0
		.amdhsa_exception_int_div_zero 0
	.end_amdhsa_kernel
	.section	.text._ZN7rocprim17ROCPRIM_400000_NS6detail17trampoline_kernelINS0_14default_configENS1_38merge_sort_block_merge_config_selectorIbNS0_10empty_typeEEEZZNS1_27merge_sort_block_merge_implIS3_PbPS5_jNS1_19radix_merge_compareILb0ELb1EbNS0_19identity_decomposerEEEEE10hipError_tT0_T1_T2_jT3_P12ihipStream_tbPNSt15iterator_traitsISE_E10value_typeEPNSK_ISF_E10value_typeEPSG_NS1_7vsmem_tEENKUlT_SE_SF_SG_E_clIS8_S8_S9_S9_EESD_ST_SE_SF_SG_EUlST_E0_NS1_11comp_targetILNS1_3genE2ELNS1_11target_archE906ELNS1_3gpuE6ELNS1_3repE0EEENS1_38merge_mergepath_config_static_selectorELNS0_4arch9wavefront6targetE0EEEvSF_,"axG",@progbits,_ZN7rocprim17ROCPRIM_400000_NS6detail17trampoline_kernelINS0_14default_configENS1_38merge_sort_block_merge_config_selectorIbNS0_10empty_typeEEEZZNS1_27merge_sort_block_merge_implIS3_PbPS5_jNS1_19radix_merge_compareILb0ELb1EbNS0_19identity_decomposerEEEEE10hipError_tT0_T1_T2_jT3_P12ihipStream_tbPNSt15iterator_traitsISE_E10value_typeEPNSK_ISF_E10value_typeEPSG_NS1_7vsmem_tEENKUlT_SE_SF_SG_E_clIS8_S8_S9_S9_EESD_ST_SE_SF_SG_EUlST_E0_NS1_11comp_targetILNS1_3genE2ELNS1_11target_archE906ELNS1_3gpuE6ELNS1_3repE0EEENS1_38merge_mergepath_config_static_selectorELNS0_4arch9wavefront6targetE0EEEvSF_,comdat
.Lfunc_end1823:
	.size	_ZN7rocprim17ROCPRIM_400000_NS6detail17trampoline_kernelINS0_14default_configENS1_38merge_sort_block_merge_config_selectorIbNS0_10empty_typeEEEZZNS1_27merge_sort_block_merge_implIS3_PbPS5_jNS1_19radix_merge_compareILb0ELb1EbNS0_19identity_decomposerEEEEE10hipError_tT0_T1_T2_jT3_P12ihipStream_tbPNSt15iterator_traitsISE_E10value_typeEPNSK_ISF_E10value_typeEPSG_NS1_7vsmem_tEENKUlT_SE_SF_SG_E_clIS8_S8_S9_S9_EESD_ST_SE_SF_SG_EUlST_E0_NS1_11comp_targetILNS1_3genE2ELNS1_11target_archE906ELNS1_3gpuE6ELNS1_3repE0EEENS1_38merge_mergepath_config_static_selectorELNS0_4arch9wavefront6targetE0EEEvSF_, .Lfunc_end1823-_ZN7rocprim17ROCPRIM_400000_NS6detail17trampoline_kernelINS0_14default_configENS1_38merge_sort_block_merge_config_selectorIbNS0_10empty_typeEEEZZNS1_27merge_sort_block_merge_implIS3_PbPS5_jNS1_19radix_merge_compareILb0ELb1EbNS0_19identity_decomposerEEEEE10hipError_tT0_T1_T2_jT3_P12ihipStream_tbPNSt15iterator_traitsISE_E10value_typeEPNSK_ISF_E10value_typeEPSG_NS1_7vsmem_tEENKUlT_SE_SF_SG_E_clIS8_S8_S9_S9_EESD_ST_SE_SF_SG_EUlST_E0_NS1_11comp_targetILNS1_3genE2ELNS1_11target_archE906ELNS1_3gpuE6ELNS1_3repE0EEENS1_38merge_mergepath_config_static_selectorELNS0_4arch9wavefront6targetE0EEEvSF_
                                        ; -- End function
	.set _ZN7rocprim17ROCPRIM_400000_NS6detail17trampoline_kernelINS0_14default_configENS1_38merge_sort_block_merge_config_selectorIbNS0_10empty_typeEEEZZNS1_27merge_sort_block_merge_implIS3_PbPS5_jNS1_19radix_merge_compareILb0ELb1EbNS0_19identity_decomposerEEEEE10hipError_tT0_T1_T2_jT3_P12ihipStream_tbPNSt15iterator_traitsISE_E10value_typeEPNSK_ISF_E10value_typeEPSG_NS1_7vsmem_tEENKUlT_SE_SF_SG_E_clIS8_S8_S9_S9_EESD_ST_SE_SF_SG_EUlST_E0_NS1_11comp_targetILNS1_3genE2ELNS1_11target_archE906ELNS1_3gpuE6ELNS1_3repE0EEENS1_38merge_mergepath_config_static_selectorELNS0_4arch9wavefront6targetE0EEEvSF_.num_vgpr, 0
	.set _ZN7rocprim17ROCPRIM_400000_NS6detail17trampoline_kernelINS0_14default_configENS1_38merge_sort_block_merge_config_selectorIbNS0_10empty_typeEEEZZNS1_27merge_sort_block_merge_implIS3_PbPS5_jNS1_19radix_merge_compareILb0ELb1EbNS0_19identity_decomposerEEEEE10hipError_tT0_T1_T2_jT3_P12ihipStream_tbPNSt15iterator_traitsISE_E10value_typeEPNSK_ISF_E10value_typeEPSG_NS1_7vsmem_tEENKUlT_SE_SF_SG_E_clIS8_S8_S9_S9_EESD_ST_SE_SF_SG_EUlST_E0_NS1_11comp_targetILNS1_3genE2ELNS1_11target_archE906ELNS1_3gpuE6ELNS1_3repE0EEENS1_38merge_mergepath_config_static_selectorELNS0_4arch9wavefront6targetE0EEEvSF_.num_agpr, 0
	.set _ZN7rocprim17ROCPRIM_400000_NS6detail17trampoline_kernelINS0_14default_configENS1_38merge_sort_block_merge_config_selectorIbNS0_10empty_typeEEEZZNS1_27merge_sort_block_merge_implIS3_PbPS5_jNS1_19radix_merge_compareILb0ELb1EbNS0_19identity_decomposerEEEEE10hipError_tT0_T1_T2_jT3_P12ihipStream_tbPNSt15iterator_traitsISE_E10value_typeEPNSK_ISF_E10value_typeEPSG_NS1_7vsmem_tEENKUlT_SE_SF_SG_E_clIS8_S8_S9_S9_EESD_ST_SE_SF_SG_EUlST_E0_NS1_11comp_targetILNS1_3genE2ELNS1_11target_archE906ELNS1_3gpuE6ELNS1_3repE0EEENS1_38merge_mergepath_config_static_selectorELNS0_4arch9wavefront6targetE0EEEvSF_.numbered_sgpr, 0
	.set _ZN7rocprim17ROCPRIM_400000_NS6detail17trampoline_kernelINS0_14default_configENS1_38merge_sort_block_merge_config_selectorIbNS0_10empty_typeEEEZZNS1_27merge_sort_block_merge_implIS3_PbPS5_jNS1_19radix_merge_compareILb0ELb1EbNS0_19identity_decomposerEEEEE10hipError_tT0_T1_T2_jT3_P12ihipStream_tbPNSt15iterator_traitsISE_E10value_typeEPNSK_ISF_E10value_typeEPSG_NS1_7vsmem_tEENKUlT_SE_SF_SG_E_clIS8_S8_S9_S9_EESD_ST_SE_SF_SG_EUlST_E0_NS1_11comp_targetILNS1_3genE2ELNS1_11target_archE906ELNS1_3gpuE6ELNS1_3repE0EEENS1_38merge_mergepath_config_static_selectorELNS0_4arch9wavefront6targetE0EEEvSF_.num_named_barrier, 0
	.set _ZN7rocprim17ROCPRIM_400000_NS6detail17trampoline_kernelINS0_14default_configENS1_38merge_sort_block_merge_config_selectorIbNS0_10empty_typeEEEZZNS1_27merge_sort_block_merge_implIS3_PbPS5_jNS1_19radix_merge_compareILb0ELb1EbNS0_19identity_decomposerEEEEE10hipError_tT0_T1_T2_jT3_P12ihipStream_tbPNSt15iterator_traitsISE_E10value_typeEPNSK_ISF_E10value_typeEPSG_NS1_7vsmem_tEENKUlT_SE_SF_SG_E_clIS8_S8_S9_S9_EESD_ST_SE_SF_SG_EUlST_E0_NS1_11comp_targetILNS1_3genE2ELNS1_11target_archE906ELNS1_3gpuE6ELNS1_3repE0EEENS1_38merge_mergepath_config_static_selectorELNS0_4arch9wavefront6targetE0EEEvSF_.private_seg_size, 0
	.set _ZN7rocprim17ROCPRIM_400000_NS6detail17trampoline_kernelINS0_14default_configENS1_38merge_sort_block_merge_config_selectorIbNS0_10empty_typeEEEZZNS1_27merge_sort_block_merge_implIS3_PbPS5_jNS1_19radix_merge_compareILb0ELb1EbNS0_19identity_decomposerEEEEE10hipError_tT0_T1_T2_jT3_P12ihipStream_tbPNSt15iterator_traitsISE_E10value_typeEPNSK_ISF_E10value_typeEPSG_NS1_7vsmem_tEENKUlT_SE_SF_SG_E_clIS8_S8_S9_S9_EESD_ST_SE_SF_SG_EUlST_E0_NS1_11comp_targetILNS1_3genE2ELNS1_11target_archE906ELNS1_3gpuE6ELNS1_3repE0EEENS1_38merge_mergepath_config_static_selectorELNS0_4arch9wavefront6targetE0EEEvSF_.uses_vcc, 0
	.set _ZN7rocprim17ROCPRIM_400000_NS6detail17trampoline_kernelINS0_14default_configENS1_38merge_sort_block_merge_config_selectorIbNS0_10empty_typeEEEZZNS1_27merge_sort_block_merge_implIS3_PbPS5_jNS1_19radix_merge_compareILb0ELb1EbNS0_19identity_decomposerEEEEE10hipError_tT0_T1_T2_jT3_P12ihipStream_tbPNSt15iterator_traitsISE_E10value_typeEPNSK_ISF_E10value_typeEPSG_NS1_7vsmem_tEENKUlT_SE_SF_SG_E_clIS8_S8_S9_S9_EESD_ST_SE_SF_SG_EUlST_E0_NS1_11comp_targetILNS1_3genE2ELNS1_11target_archE906ELNS1_3gpuE6ELNS1_3repE0EEENS1_38merge_mergepath_config_static_selectorELNS0_4arch9wavefront6targetE0EEEvSF_.uses_flat_scratch, 0
	.set _ZN7rocprim17ROCPRIM_400000_NS6detail17trampoline_kernelINS0_14default_configENS1_38merge_sort_block_merge_config_selectorIbNS0_10empty_typeEEEZZNS1_27merge_sort_block_merge_implIS3_PbPS5_jNS1_19radix_merge_compareILb0ELb1EbNS0_19identity_decomposerEEEEE10hipError_tT0_T1_T2_jT3_P12ihipStream_tbPNSt15iterator_traitsISE_E10value_typeEPNSK_ISF_E10value_typeEPSG_NS1_7vsmem_tEENKUlT_SE_SF_SG_E_clIS8_S8_S9_S9_EESD_ST_SE_SF_SG_EUlST_E0_NS1_11comp_targetILNS1_3genE2ELNS1_11target_archE906ELNS1_3gpuE6ELNS1_3repE0EEENS1_38merge_mergepath_config_static_selectorELNS0_4arch9wavefront6targetE0EEEvSF_.has_dyn_sized_stack, 0
	.set _ZN7rocprim17ROCPRIM_400000_NS6detail17trampoline_kernelINS0_14default_configENS1_38merge_sort_block_merge_config_selectorIbNS0_10empty_typeEEEZZNS1_27merge_sort_block_merge_implIS3_PbPS5_jNS1_19radix_merge_compareILb0ELb1EbNS0_19identity_decomposerEEEEE10hipError_tT0_T1_T2_jT3_P12ihipStream_tbPNSt15iterator_traitsISE_E10value_typeEPNSK_ISF_E10value_typeEPSG_NS1_7vsmem_tEENKUlT_SE_SF_SG_E_clIS8_S8_S9_S9_EESD_ST_SE_SF_SG_EUlST_E0_NS1_11comp_targetILNS1_3genE2ELNS1_11target_archE906ELNS1_3gpuE6ELNS1_3repE0EEENS1_38merge_mergepath_config_static_selectorELNS0_4arch9wavefront6targetE0EEEvSF_.has_recursion, 0
	.set _ZN7rocprim17ROCPRIM_400000_NS6detail17trampoline_kernelINS0_14default_configENS1_38merge_sort_block_merge_config_selectorIbNS0_10empty_typeEEEZZNS1_27merge_sort_block_merge_implIS3_PbPS5_jNS1_19radix_merge_compareILb0ELb1EbNS0_19identity_decomposerEEEEE10hipError_tT0_T1_T2_jT3_P12ihipStream_tbPNSt15iterator_traitsISE_E10value_typeEPNSK_ISF_E10value_typeEPSG_NS1_7vsmem_tEENKUlT_SE_SF_SG_E_clIS8_S8_S9_S9_EESD_ST_SE_SF_SG_EUlST_E0_NS1_11comp_targetILNS1_3genE2ELNS1_11target_archE906ELNS1_3gpuE6ELNS1_3repE0EEENS1_38merge_mergepath_config_static_selectorELNS0_4arch9wavefront6targetE0EEEvSF_.has_indirect_call, 0
	.section	.AMDGPU.csdata,"",@progbits
; Kernel info:
; codeLenInByte = 0
; TotalNumSgprs: 0
; NumVgprs: 0
; ScratchSize: 0
; MemoryBound: 0
; FloatMode: 240
; IeeeMode: 1
; LDSByteSize: 0 bytes/workgroup (compile time only)
; SGPRBlocks: 0
; VGPRBlocks: 0
; NumSGPRsForWavesPerEU: 1
; NumVGPRsForWavesPerEU: 1
; NamedBarCnt: 0
; Occupancy: 16
; WaveLimiterHint : 0
; COMPUTE_PGM_RSRC2:SCRATCH_EN: 0
; COMPUTE_PGM_RSRC2:USER_SGPR: 2
; COMPUTE_PGM_RSRC2:TRAP_HANDLER: 0
; COMPUTE_PGM_RSRC2:TGID_X_EN: 1
; COMPUTE_PGM_RSRC2:TGID_Y_EN: 0
; COMPUTE_PGM_RSRC2:TGID_Z_EN: 0
; COMPUTE_PGM_RSRC2:TIDIG_COMP_CNT: 0
	.section	.text._ZN7rocprim17ROCPRIM_400000_NS6detail17trampoline_kernelINS0_14default_configENS1_38merge_sort_block_merge_config_selectorIbNS0_10empty_typeEEEZZNS1_27merge_sort_block_merge_implIS3_PbPS5_jNS1_19radix_merge_compareILb0ELb1EbNS0_19identity_decomposerEEEEE10hipError_tT0_T1_T2_jT3_P12ihipStream_tbPNSt15iterator_traitsISE_E10value_typeEPNSK_ISF_E10value_typeEPSG_NS1_7vsmem_tEENKUlT_SE_SF_SG_E_clIS8_S8_S9_S9_EESD_ST_SE_SF_SG_EUlST_E0_NS1_11comp_targetILNS1_3genE9ELNS1_11target_archE1100ELNS1_3gpuE3ELNS1_3repE0EEENS1_38merge_mergepath_config_static_selectorELNS0_4arch9wavefront6targetE0EEEvSF_,"axG",@progbits,_ZN7rocprim17ROCPRIM_400000_NS6detail17trampoline_kernelINS0_14default_configENS1_38merge_sort_block_merge_config_selectorIbNS0_10empty_typeEEEZZNS1_27merge_sort_block_merge_implIS3_PbPS5_jNS1_19radix_merge_compareILb0ELb1EbNS0_19identity_decomposerEEEEE10hipError_tT0_T1_T2_jT3_P12ihipStream_tbPNSt15iterator_traitsISE_E10value_typeEPNSK_ISF_E10value_typeEPSG_NS1_7vsmem_tEENKUlT_SE_SF_SG_E_clIS8_S8_S9_S9_EESD_ST_SE_SF_SG_EUlST_E0_NS1_11comp_targetILNS1_3genE9ELNS1_11target_archE1100ELNS1_3gpuE3ELNS1_3repE0EEENS1_38merge_mergepath_config_static_selectorELNS0_4arch9wavefront6targetE0EEEvSF_,comdat
	.protected	_ZN7rocprim17ROCPRIM_400000_NS6detail17trampoline_kernelINS0_14default_configENS1_38merge_sort_block_merge_config_selectorIbNS0_10empty_typeEEEZZNS1_27merge_sort_block_merge_implIS3_PbPS5_jNS1_19radix_merge_compareILb0ELb1EbNS0_19identity_decomposerEEEEE10hipError_tT0_T1_T2_jT3_P12ihipStream_tbPNSt15iterator_traitsISE_E10value_typeEPNSK_ISF_E10value_typeEPSG_NS1_7vsmem_tEENKUlT_SE_SF_SG_E_clIS8_S8_S9_S9_EESD_ST_SE_SF_SG_EUlST_E0_NS1_11comp_targetILNS1_3genE9ELNS1_11target_archE1100ELNS1_3gpuE3ELNS1_3repE0EEENS1_38merge_mergepath_config_static_selectorELNS0_4arch9wavefront6targetE0EEEvSF_ ; -- Begin function _ZN7rocprim17ROCPRIM_400000_NS6detail17trampoline_kernelINS0_14default_configENS1_38merge_sort_block_merge_config_selectorIbNS0_10empty_typeEEEZZNS1_27merge_sort_block_merge_implIS3_PbPS5_jNS1_19radix_merge_compareILb0ELb1EbNS0_19identity_decomposerEEEEE10hipError_tT0_T1_T2_jT3_P12ihipStream_tbPNSt15iterator_traitsISE_E10value_typeEPNSK_ISF_E10value_typeEPSG_NS1_7vsmem_tEENKUlT_SE_SF_SG_E_clIS8_S8_S9_S9_EESD_ST_SE_SF_SG_EUlST_E0_NS1_11comp_targetILNS1_3genE9ELNS1_11target_archE1100ELNS1_3gpuE3ELNS1_3repE0EEENS1_38merge_mergepath_config_static_selectorELNS0_4arch9wavefront6targetE0EEEvSF_
	.globl	_ZN7rocprim17ROCPRIM_400000_NS6detail17trampoline_kernelINS0_14default_configENS1_38merge_sort_block_merge_config_selectorIbNS0_10empty_typeEEEZZNS1_27merge_sort_block_merge_implIS3_PbPS5_jNS1_19radix_merge_compareILb0ELb1EbNS0_19identity_decomposerEEEEE10hipError_tT0_T1_T2_jT3_P12ihipStream_tbPNSt15iterator_traitsISE_E10value_typeEPNSK_ISF_E10value_typeEPSG_NS1_7vsmem_tEENKUlT_SE_SF_SG_E_clIS8_S8_S9_S9_EESD_ST_SE_SF_SG_EUlST_E0_NS1_11comp_targetILNS1_3genE9ELNS1_11target_archE1100ELNS1_3gpuE3ELNS1_3repE0EEENS1_38merge_mergepath_config_static_selectorELNS0_4arch9wavefront6targetE0EEEvSF_
	.p2align	8
	.type	_ZN7rocprim17ROCPRIM_400000_NS6detail17trampoline_kernelINS0_14default_configENS1_38merge_sort_block_merge_config_selectorIbNS0_10empty_typeEEEZZNS1_27merge_sort_block_merge_implIS3_PbPS5_jNS1_19radix_merge_compareILb0ELb1EbNS0_19identity_decomposerEEEEE10hipError_tT0_T1_T2_jT3_P12ihipStream_tbPNSt15iterator_traitsISE_E10value_typeEPNSK_ISF_E10value_typeEPSG_NS1_7vsmem_tEENKUlT_SE_SF_SG_E_clIS8_S8_S9_S9_EESD_ST_SE_SF_SG_EUlST_E0_NS1_11comp_targetILNS1_3genE9ELNS1_11target_archE1100ELNS1_3gpuE3ELNS1_3repE0EEENS1_38merge_mergepath_config_static_selectorELNS0_4arch9wavefront6targetE0EEEvSF_,@function
_ZN7rocprim17ROCPRIM_400000_NS6detail17trampoline_kernelINS0_14default_configENS1_38merge_sort_block_merge_config_selectorIbNS0_10empty_typeEEEZZNS1_27merge_sort_block_merge_implIS3_PbPS5_jNS1_19radix_merge_compareILb0ELb1EbNS0_19identity_decomposerEEEEE10hipError_tT0_T1_T2_jT3_P12ihipStream_tbPNSt15iterator_traitsISE_E10value_typeEPNSK_ISF_E10value_typeEPSG_NS1_7vsmem_tEENKUlT_SE_SF_SG_E_clIS8_S8_S9_S9_EESD_ST_SE_SF_SG_EUlST_E0_NS1_11comp_targetILNS1_3genE9ELNS1_11target_archE1100ELNS1_3gpuE3ELNS1_3repE0EEENS1_38merge_mergepath_config_static_selectorELNS0_4arch9wavefront6targetE0EEEvSF_: ; @_ZN7rocprim17ROCPRIM_400000_NS6detail17trampoline_kernelINS0_14default_configENS1_38merge_sort_block_merge_config_selectorIbNS0_10empty_typeEEEZZNS1_27merge_sort_block_merge_implIS3_PbPS5_jNS1_19radix_merge_compareILb0ELb1EbNS0_19identity_decomposerEEEEE10hipError_tT0_T1_T2_jT3_P12ihipStream_tbPNSt15iterator_traitsISE_E10value_typeEPNSK_ISF_E10value_typeEPSG_NS1_7vsmem_tEENKUlT_SE_SF_SG_E_clIS8_S8_S9_S9_EESD_ST_SE_SF_SG_EUlST_E0_NS1_11comp_targetILNS1_3genE9ELNS1_11target_archE1100ELNS1_3gpuE3ELNS1_3repE0EEENS1_38merge_mergepath_config_static_selectorELNS0_4arch9wavefront6targetE0EEEvSF_
; %bb.0:
	.section	.rodata,"a",@progbits
	.p2align	6, 0x0
	.amdhsa_kernel _ZN7rocprim17ROCPRIM_400000_NS6detail17trampoline_kernelINS0_14default_configENS1_38merge_sort_block_merge_config_selectorIbNS0_10empty_typeEEEZZNS1_27merge_sort_block_merge_implIS3_PbPS5_jNS1_19radix_merge_compareILb0ELb1EbNS0_19identity_decomposerEEEEE10hipError_tT0_T1_T2_jT3_P12ihipStream_tbPNSt15iterator_traitsISE_E10value_typeEPNSK_ISF_E10value_typeEPSG_NS1_7vsmem_tEENKUlT_SE_SF_SG_E_clIS8_S8_S9_S9_EESD_ST_SE_SF_SG_EUlST_E0_NS1_11comp_targetILNS1_3genE9ELNS1_11target_archE1100ELNS1_3gpuE3ELNS1_3repE0EEENS1_38merge_mergepath_config_static_selectorELNS0_4arch9wavefront6targetE0EEEvSF_
		.amdhsa_group_segment_fixed_size 0
		.amdhsa_private_segment_fixed_size 0
		.amdhsa_kernarg_size 64
		.amdhsa_user_sgpr_count 2
		.amdhsa_user_sgpr_dispatch_ptr 0
		.amdhsa_user_sgpr_queue_ptr 0
		.amdhsa_user_sgpr_kernarg_segment_ptr 1
		.amdhsa_user_sgpr_dispatch_id 0
		.amdhsa_user_sgpr_kernarg_preload_length 0
		.amdhsa_user_sgpr_kernarg_preload_offset 0
		.amdhsa_user_sgpr_private_segment_size 0
		.amdhsa_wavefront_size32 1
		.amdhsa_uses_dynamic_stack 0
		.amdhsa_enable_private_segment 0
		.amdhsa_system_sgpr_workgroup_id_x 1
		.amdhsa_system_sgpr_workgroup_id_y 0
		.amdhsa_system_sgpr_workgroup_id_z 0
		.amdhsa_system_sgpr_workgroup_info 0
		.amdhsa_system_vgpr_workitem_id 0
		.amdhsa_next_free_vgpr 1
		.amdhsa_next_free_sgpr 1
		.amdhsa_named_barrier_count 0
		.amdhsa_reserve_vcc 0
		.amdhsa_float_round_mode_32 0
		.amdhsa_float_round_mode_16_64 0
		.amdhsa_float_denorm_mode_32 3
		.amdhsa_float_denorm_mode_16_64 3
		.amdhsa_fp16_overflow 0
		.amdhsa_memory_ordered 1
		.amdhsa_forward_progress 1
		.amdhsa_inst_pref_size 0
		.amdhsa_round_robin_scheduling 0
		.amdhsa_exception_fp_ieee_invalid_op 0
		.amdhsa_exception_fp_denorm_src 0
		.amdhsa_exception_fp_ieee_div_zero 0
		.amdhsa_exception_fp_ieee_overflow 0
		.amdhsa_exception_fp_ieee_underflow 0
		.amdhsa_exception_fp_ieee_inexact 0
		.amdhsa_exception_int_div_zero 0
	.end_amdhsa_kernel
	.section	.text._ZN7rocprim17ROCPRIM_400000_NS6detail17trampoline_kernelINS0_14default_configENS1_38merge_sort_block_merge_config_selectorIbNS0_10empty_typeEEEZZNS1_27merge_sort_block_merge_implIS3_PbPS5_jNS1_19radix_merge_compareILb0ELb1EbNS0_19identity_decomposerEEEEE10hipError_tT0_T1_T2_jT3_P12ihipStream_tbPNSt15iterator_traitsISE_E10value_typeEPNSK_ISF_E10value_typeEPSG_NS1_7vsmem_tEENKUlT_SE_SF_SG_E_clIS8_S8_S9_S9_EESD_ST_SE_SF_SG_EUlST_E0_NS1_11comp_targetILNS1_3genE9ELNS1_11target_archE1100ELNS1_3gpuE3ELNS1_3repE0EEENS1_38merge_mergepath_config_static_selectorELNS0_4arch9wavefront6targetE0EEEvSF_,"axG",@progbits,_ZN7rocprim17ROCPRIM_400000_NS6detail17trampoline_kernelINS0_14default_configENS1_38merge_sort_block_merge_config_selectorIbNS0_10empty_typeEEEZZNS1_27merge_sort_block_merge_implIS3_PbPS5_jNS1_19radix_merge_compareILb0ELb1EbNS0_19identity_decomposerEEEEE10hipError_tT0_T1_T2_jT3_P12ihipStream_tbPNSt15iterator_traitsISE_E10value_typeEPNSK_ISF_E10value_typeEPSG_NS1_7vsmem_tEENKUlT_SE_SF_SG_E_clIS8_S8_S9_S9_EESD_ST_SE_SF_SG_EUlST_E0_NS1_11comp_targetILNS1_3genE9ELNS1_11target_archE1100ELNS1_3gpuE3ELNS1_3repE0EEENS1_38merge_mergepath_config_static_selectorELNS0_4arch9wavefront6targetE0EEEvSF_,comdat
.Lfunc_end1824:
	.size	_ZN7rocprim17ROCPRIM_400000_NS6detail17trampoline_kernelINS0_14default_configENS1_38merge_sort_block_merge_config_selectorIbNS0_10empty_typeEEEZZNS1_27merge_sort_block_merge_implIS3_PbPS5_jNS1_19radix_merge_compareILb0ELb1EbNS0_19identity_decomposerEEEEE10hipError_tT0_T1_T2_jT3_P12ihipStream_tbPNSt15iterator_traitsISE_E10value_typeEPNSK_ISF_E10value_typeEPSG_NS1_7vsmem_tEENKUlT_SE_SF_SG_E_clIS8_S8_S9_S9_EESD_ST_SE_SF_SG_EUlST_E0_NS1_11comp_targetILNS1_3genE9ELNS1_11target_archE1100ELNS1_3gpuE3ELNS1_3repE0EEENS1_38merge_mergepath_config_static_selectorELNS0_4arch9wavefront6targetE0EEEvSF_, .Lfunc_end1824-_ZN7rocprim17ROCPRIM_400000_NS6detail17trampoline_kernelINS0_14default_configENS1_38merge_sort_block_merge_config_selectorIbNS0_10empty_typeEEEZZNS1_27merge_sort_block_merge_implIS3_PbPS5_jNS1_19radix_merge_compareILb0ELb1EbNS0_19identity_decomposerEEEEE10hipError_tT0_T1_T2_jT3_P12ihipStream_tbPNSt15iterator_traitsISE_E10value_typeEPNSK_ISF_E10value_typeEPSG_NS1_7vsmem_tEENKUlT_SE_SF_SG_E_clIS8_S8_S9_S9_EESD_ST_SE_SF_SG_EUlST_E0_NS1_11comp_targetILNS1_3genE9ELNS1_11target_archE1100ELNS1_3gpuE3ELNS1_3repE0EEENS1_38merge_mergepath_config_static_selectorELNS0_4arch9wavefront6targetE0EEEvSF_
                                        ; -- End function
	.set _ZN7rocprim17ROCPRIM_400000_NS6detail17trampoline_kernelINS0_14default_configENS1_38merge_sort_block_merge_config_selectorIbNS0_10empty_typeEEEZZNS1_27merge_sort_block_merge_implIS3_PbPS5_jNS1_19radix_merge_compareILb0ELb1EbNS0_19identity_decomposerEEEEE10hipError_tT0_T1_T2_jT3_P12ihipStream_tbPNSt15iterator_traitsISE_E10value_typeEPNSK_ISF_E10value_typeEPSG_NS1_7vsmem_tEENKUlT_SE_SF_SG_E_clIS8_S8_S9_S9_EESD_ST_SE_SF_SG_EUlST_E0_NS1_11comp_targetILNS1_3genE9ELNS1_11target_archE1100ELNS1_3gpuE3ELNS1_3repE0EEENS1_38merge_mergepath_config_static_selectorELNS0_4arch9wavefront6targetE0EEEvSF_.num_vgpr, 0
	.set _ZN7rocprim17ROCPRIM_400000_NS6detail17trampoline_kernelINS0_14default_configENS1_38merge_sort_block_merge_config_selectorIbNS0_10empty_typeEEEZZNS1_27merge_sort_block_merge_implIS3_PbPS5_jNS1_19radix_merge_compareILb0ELb1EbNS0_19identity_decomposerEEEEE10hipError_tT0_T1_T2_jT3_P12ihipStream_tbPNSt15iterator_traitsISE_E10value_typeEPNSK_ISF_E10value_typeEPSG_NS1_7vsmem_tEENKUlT_SE_SF_SG_E_clIS8_S8_S9_S9_EESD_ST_SE_SF_SG_EUlST_E0_NS1_11comp_targetILNS1_3genE9ELNS1_11target_archE1100ELNS1_3gpuE3ELNS1_3repE0EEENS1_38merge_mergepath_config_static_selectorELNS0_4arch9wavefront6targetE0EEEvSF_.num_agpr, 0
	.set _ZN7rocprim17ROCPRIM_400000_NS6detail17trampoline_kernelINS0_14default_configENS1_38merge_sort_block_merge_config_selectorIbNS0_10empty_typeEEEZZNS1_27merge_sort_block_merge_implIS3_PbPS5_jNS1_19radix_merge_compareILb0ELb1EbNS0_19identity_decomposerEEEEE10hipError_tT0_T1_T2_jT3_P12ihipStream_tbPNSt15iterator_traitsISE_E10value_typeEPNSK_ISF_E10value_typeEPSG_NS1_7vsmem_tEENKUlT_SE_SF_SG_E_clIS8_S8_S9_S9_EESD_ST_SE_SF_SG_EUlST_E0_NS1_11comp_targetILNS1_3genE9ELNS1_11target_archE1100ELNS1_3gpuE3ELNS1_3repE0EEENS1_38merge_mergepath_config_static_selectorELNS0_4arch9wavefront6targetE0EEEvSF_.numbered_sgpr, 0
	.set _ZN7rocprim17ROCPRIM_400000_NS6detail17trampoline_kernelINS0_14default_configENS1_38merge_sort_block_merge_config_selectorIbNS0_10empty_typeEEEZZNS1_27merge_sort_block_merge_implIS3_PbPS5_jNS1_19radix_merge_compareILb0ELb1EbNS0_19identity_decomposerEEEEE10hipError_tT0_T1_T2_jT3_P12ihipStream_tbPNSt15iterator_traitsISE_E10value_typeEPNSK_ISF_E10value_typeEPSG_NS1_7vsmem_tEENKUlT_SE_SF_SG_E_clIS8_S8_S9_S9_EESD_ST_SE_SF_SG_EUlST_E0_NS1_11comp_targetILNS1_3genE9ELNS1_11target_archE1100ELNS1_3gpuE3ELNS1_3repE0EEENS1_38merge_mergepath_config_static_selectorELNS0_4arch9wavefront6targetE0EEEvSF_.num_named_barrier, 0
	.set _ZN7rocprim17ROCPRIM_400000_NS6detail17trampoline_kernelINS0_14default_configENS1_38merge_sort_block_merge_config_selectorIbNS0_10empty_typeEEEZZNS1_27merge_sort_block_merge_implIS3_PbPS5_jNS1_19radix_merge_compareILb0ELb1EbNS0_19identity_decomposerEEEEE10hipError_tT0_T1_T2_jT3_P12ihipStream_tbPNSt15iterator_traitsISE_E10value_typeEPNSK_ISF_E10value_typeEPSG_NS1_7vsmem_tEENKUlT_SE_SF_SG_E_clIS8_S8_S9_S9_EESD_ST_SE_SF_SG_EUlST_E0_NS1_11comp_targetILNS1_3genE9ELNS1_11target_archE1100ELNS1_3gpuE3ELNS1_3repE0EEENS1_38merge_mergepath_config_static_selectorELNS0_4arch9wavefront6targetE0EEEvSF_.private_seg_size, 0
	.set _ZN7rocprim17ROCPRIM_400000_NS6detail17trampoline_kernelINS0_14default_configENS1_38merge_sort_block_merge_config_selectorIbNS0_10empty_typeEEEZZNS1_27merge_sort_block_merge_implIS3_PbPS5_jNS1_19radix_merge_compareILb0ELb1EbNS0_19identity_decomposerEEEEE10hipError_tT0_T1_T2_jT3_P12ihipStream_tbPNSt15iterator_traitsISE_E10value_typeEPNSK_ISF_E10value_typeEPSG_NS1_7vsmem_tEENKUlT_SE_SF_SG_E_clIS8_S8_S9_S9_EESD_ST_SE_SF_SG_EUlST_E0_NS1_11comp_targetILNS1_3genE9ELNS1_11target_archE1100ELNS1_3gpuE3ELNS1_3repE0EEENS1_38merge_mergepath_config_static_selectorELNS0_4arch9wavefront6targetE0EEEvSF_.uses_vcc, 0
	.set _ZN7rocprim17ROCPRIM_400000_NS6detail17trampoline_kernelINS0_14default_configENS1_38merge_sort_block_merge_config_selectorIbNS0_10empty_typeEEEZZNS1_27merge_sort_block_merge_implIS3_PbPS5_jNS1_19radix_merge_compareILb0ELb1EbNS0_19identity_decomposerEEEEE10hipError_tT0_T1_T2_jT3_P12ihipStream_tbPNSt15iterator_traitsISE_E10value_typeEPNSK_ISF_E10value_typeEPSG_NS1_7vsmem_tEENKUlT_SE_SF_SG_E_clIS8_S8_S9_S9_EESD_ST_SE_SF_SG_EUlST_E0_NS1_11comp_targetILNS1_3genE9ELNS1_11target_archE1100ELNS1_3gpuE3ELNS1_3repE0EEENS1_38merge_mergepath_config_static_selectorELNS0_4arch9wavefront6targetE0EEEvSF_.uses_flat_scratch, 0
	.set _ZN7rocprim17ROCPRIM_400000_NS6detail17trampoline_kernelINS0_14default_configENS1_38merge_sort_block_merge_config_selectorIbNS0_10empty_typeEEEZZNS1_27merge_sort_block_merge_implIS3_PbPS5_jNS1_19radix_merge_compareILb0ELb1EbNS0_19identity_decomposerEEEEE10hipError_tT0_T1_T2_jT3_P12ihipStream_tbPNSt15iterator_traitsISE_E10value_typeEPNSK_ISF_E10value_typeEPSG_NS1_7vsmem_tEENKUlT_SE_SF_SG_E_clIS8_S8_S9_S9_EESD_ST_SE_SF_SG_EUlST_E0_NS1_11comp_targetILNS1_3genE9ELNS1_11target_archE1100ELNS1_3gpuE3ELNS1_3repE0EEENS1_38merge_mergepath_config_static_selectorELNS0_4arch9wavefront6targetE0EEEvSF_.has_dyn_sized_stack, 0
	.set _ZN7rocprim17ROCPRIM_400000_NS6detail17trampoline_kernelINS0_14default_configENS1_38merge_sort_block_merge_config_selectorIbNS0_10empty_typeEEEZZNS1_27merge_sort_block_merge_implIS3_PbPS5_jNS1_19radix_merge_compareILb0ELb1EbNS0_19identity_decomposerEEEEE10hipError_tT0_T1_T2_jT3_P12ihipStream_tbPNSt15iterator_traitsISE_E10value_typeEPNSK_ISF_E10value_typeEPSG_NS1_7vsmem_tEENKUlT_SE_SF_SG_E_clIS8_S8_S9_S9_EESD_ST_SE_SF_SG_EUlST_E0_NS1_11comp_targetILNS1_3genE9ELNS1_11target_archE1100ELNS1_3gpuE3ELNS1_3repE0EEENS1_38merge_mergepath_config_static_selectorELNS0_4arch9wavefront6targetE0EEEvSF_.has_recursion, 0
	.set _ZN7rocprim17ROCPRIM_400000_NS6detail17trampoline_kernelINS0_14default_configENS1_38merge_sort_block_merge_config_selectorIbNS0_10empty_typeEEEZZNS1_27merge_sort_block_merge_implIS3_PbPS5_jNS1_19radix_merge_compareILb0ELb1EbNS0_19identity_decomposerEEEEE10hipError_tT0_T1_T2_jT3_P12ihipStream_tbPNSt15iterator_traitsISE_E10value_typeEPNSK_ISF_E10value_typeEPSG_NS1_7vsmem_tEENKUlT_SE_SF_SG_E_clIS8_S8_S9_S9_EESD_ST_SE_SF_SG_EUlST_E0_NS1_11comp_targetILNS1_3genE9ELNS1_11target_archE1100ELNS1_3gpuE3ELNS1_3repE0EEENS1_38merge_mergepath_config_static_selectorELNS0_4arch9wavefront6targetE0EEEvSF_.has_indirect_call, 0
	.section	.AMDGPU.csdata,"",@progbits
; Kernel info:
; codeLenInByte = 0
; TotalNumSgprs: 0
; NumVgprs: 0
; ScratchSize: 0
; MemoryBound: 0
; FloatMode: 240
; IeeeMode: 1
; LDSByteSize: 0 bytes/workgroup (compile time only)
; SGPRBlocks: 0
; VGPRBlocks: 0
; NumSGPRsForWavesPerEU: 1
; NumVGPRsForWavesPerEU: 1
; NamedBarCnt: 0
; Occupancy: 16
; WaveLimiterHint : 0
; COMPUTE_PGM_RSRC2:SCRATCH_EN: 0
; COMPUTE_PGM_RSRC2:USER_SGPR: 2
; COMPUTE_PGM_RSRC2:TRAP_HANDLER: 0
; COMPUTE_PGM_RSRC2:TGID_X_EN: 1
; COMPUTE_PGM_RSRC2:TGID_Y_EN: 0
; COMPUTE_PGM_RSRC2:TGID_Z_EN: 0
; COMPUTE_PGM_RSRC2:TIDIG_COMP_CNT: 0
	.section	.text._ZN7rocprim17ROCPRIM_400000_NS6detail17trampoline_kernelINS0_14default_configENS1_38merge_sort_block_merge_config_selectorIbNS0_10empty_typeEEEZZNS1_27merge_sort_block_merge_implIS3_PbPS5_jNS1_19radix_merge_compareILb0ELb1EbNS0_19identity_decomposerEEEEE10hipError_tT0_T1_T2_jT3_P12ihipStream_tbPNSt15iterator_traitsISE_E10value_typeEPNSK_ISF_E10value_typeEPSG_NS1_7vsmem_tEENKUlT_SE_SF_SG_E_clIS8_S8_S9_S9_EESD_ST_SE_SF_SG_EUlST_E0_NS1_11comp_targetILNS1_3genE8ELNS1_11target_archE1030ELNS1_3gpuE2ELNS1_3repE0EEENS1_38merge_mergepath_config_static_selectorELNS0_4arch9wavefront6targetE0EEEvSF_,"axG",@progbits,_ZN7rocprim17ROCPRIM_400000_NS6detail17trampoline_kernelINS0_14default_configENS1_38merge_sort_block_merge_config_selectorIbNS0_10empty_typeEEEZZNS1_27merge_sort_block_merge_implIS3_PbPS5_jNS1_19radix_merge_compareILb0ELb1EbNS0_19identity_decomposerEEEEE10hipError_tT0_T1_T2_jT3_P12ihipStream_tbPNSt15iterator_traitsISE_E10value_typeEPNSK_ISF_E10value_typeEPSG_NS1_7vsmem_tEENKUlT_SE_SF_SG_E_clIS8_S8_S9_S9_EESD_ST_SE_SF_SG_EUlST_E0_NS1_11comp_targetILNS1_3genE8ELNS1_11target_archE1030ELNS1_3gpuE2ELNS1_3repE0EEENS1_38merge_mergepath_config_static_selectorELNS0_4arch9wavefront6targetE0EEEvSF_,comdat
	.protected	_ZN7rocprim17ROCPRIM_400000_NS6detail17trampoline_kernelINS0_14default_configENS1_38merge_sort_block_merge_config_selectorIbNS0_10empty_typeEEEZZNS1_27merge_sort_block_merge_implIS3_PbPS5_jNS1_19radix_merge_compareILb0ELb1EbNS0_19identity_decomposerEEEEE10hipError_tT0_T1_T2_jT3_P12ihipStream_tbPNSt15iterator_traitsISE_E10value_typeEPNSK_ISF_E10value_typeEPSG_NS1_7vsmem_tEENKUlT_SE_SF_SG_E_clIS8_S8_S9_S9_EESD_ST_SE_SF_SG_EUlST_E0_NS1_11comp_targetILNS1_3genE8ELNS1_11target_archE1030ELNS1_3gpuE2ELNS1_3repE0EEENS1_38merge_mergepath_config_static_selectorELNS0_4arch9wavefront6targetE0EEEvSF_ ; -- Begin function _ZN7rocprim17ROCPRIM_400000_NS6detail17trampoline_kernelINS0_14default_configENS1_38merge_sort_block_merge_config_selectorIbNS0_10empty_typeEEEZZNS1_27merge_sort_block_merge_implIS3_PbPS5_jNS1_19radix_merge_compareILb0ELb1EbNS0_19identity_decomposerEEEEE10hipError_tT0_T1_T2_jT3_P12ihipStream_tbPNSt15iterator_traitsISE_E10value_typeEPNSK_ISF_E10value_typeEPSG_NS1_7vsmem_tEENKUlT_SE_SF_SG_E_clIS8_S8_S9_S9_EESD_ST_SE_SF_SG_EUlST_E0_NS1_11comp_targetILNS1_3genE8ELNS1_11target_archE1030ELNS1_3gpuE2ELNS1_3repE0EEENS1_38merge_mergepath_config_static_selectorELNS0_4arch9wavefront6targetE0EEEvSF_
	.globl	_ZN7rocprim17ROCPRIM_400000_NS6detail17trampoline_kernelINS0_14default_configENS1_38merge_sort_block_merge_config_selectorIbNS0_10empty_typeEEEZZNS1_27merge_sort_block_merge_implIS3_PbPS5_jNS1_19radix_merge_compareILb0ELb1EbNS0_19identity_decomposerEEEEE10hipError_tT0_T1_T2_jT3_P12ihipStream_tbPNSt15iterator_traitsISE_E10value_typeEPNSK_ISF_E10value_typeEPSG_NS1_7vsmem_tEENKUlT_SE_SF_SG_E_clIS8_S8_S9_S9_EESD_ST_SE_SF_SG_EUlST_E0_NS1_11comp_targetILNS1_3genE8ELNS1_11target_archE1030ELNS1_3gpuE2ELNS1_3repE0EEENS1_38merge_mergepath_config_static_selectorELNS0_4arch9wavefront6targetE0EEEvSF_
	.p2align	8
	.type	_ZN7rocprim17ROCPRIM_400000_NS6detail17trampoline_kernelINS0_14default_configENS1_38merge_sort_block_merge_config_selectorIbNS0_10empty_typeEEEZZNS1_27merge_sort_block_merge_implIS3_PbPS5_jNS1_19radix_merge_compareILb0ELb1EbNS0_19identity_decomposerEEEEE10hipError_tT0_T1_T2_jT3_P12ihipStream_tbPNSt15iterator_traitsISE_E10value_typeEPNSK_ISF_E10value_typeEPSG_NS1_7vsmem_tEENKUlT_SE_SF_SG_E_clIS8_S8_S9_S9_EESD_ST_SE_SF_SG_EUlST_E0_NS1_11comp_targetILNS1_3genE8ELNS1_11target_archE1030ELNS1_3gpuE2ELNS1_3repE0EEENS1_38merge_mergepath_config_static_selectorELNS0_4arch9wavefront6targetE0EEEvSF_,@function
_ZN7rocprim17ROCPRIM_400000_NS6detail17trampoline_kernelINS0_14default_configENS1_38merge_sort_block_merge_config_selectorIbNS0_10empty_typeEEEZZNS1_27merge_sort_block_merge_implIS3_PbPS5_jNS1_19radix_merge_compareILb0ELb1EbNS0_19identity_decomposerEEEEE10hipError_tT0_T1_T2_jT3_P12ihipStream_tbPNSt15iterator_traitsISE_E10value_typeEPNSK_ISF_E10value_typeEPSG_NS1_7vsmem_tEENKUlT_SE_SF_SG_E_clIS8_S8_S9_S9_EESD_ST_SE_SF_SG_EUlST_E0_NS1_11comp_targetILNS1_3genE8ELNS1_11target_archE1030ELNS1_3gpuE2ELNS1_3repE0EEENS1_38merge_mergepath_config_static_selectorELNS0_4arch9wavefront6targetE0EEEvSF_: ; @_ZN7rocprim17ROCPRIM_400000_NS6detail17trampoline_kernelINS0_14default_configENS1_38merge_sort_block_merge_config_selectorIbNS0_10empty_typeEEEZZNS1_27merge_sort_block_merge_implIS3_PbPS5_jNS1_19radix_merge_compareILb0ELb1EbNS0_19identity_decomposerEEEEE10hipError_tT0_T1_T2_jT3_P12ihipStream_tbPNSt15iterator_traitsISE_E10value_typeEPNSK_ISF_E10value_typeEPSG_NS1_7vsmem_tEENKUlT_SE_SF_SG_E_clIS8_S8_S9_S9_EESD_ST_SE_SF_SG_EUlST_E0_NS1_11comp_targetILNS1_3genE8ELNS1_11target_archE1030ELNS1_3gpuE2ELNS1_3repE0EEENS1_38merge_mergepath_config_static_selectorELNS0_4arch9wavefront6targetE0EEEvSF_
; %bb.0:
	.section	.rodata,"a",@progbits
	.p2align	6, 0x0
	.amdhsa_kernel _ZN7rocprim17ROCPRIM_400000_NS6detail17trampoline_kernelINS0_14default_configENS1_38merge_sort_block_merge_config_selectorIbNS0_10empty_typeEEEZZNS1_27merge_sort_block_merge_implIS3_PbPS5_jNS1_19radix_merge_compareILb0ELb1EbNS0_19identity_decomposerEEEEE10hipError_tT0_T1_T2_jT3_P12ihipStream_tbPNSt15iterator_traitsISE_E10value_typeEPNSK_ISF_E10value_typeEPSG_NS1_7vsmem_tEENKUlT_SE_SF_SG_E_clIS8_S8_S9_S9_EESD_ST_SE_SF_SG_EUlST_E0_NS1_11comp_targetILNS1_3genE8ELNS1_11target_archE1030ELNS1_3gpuE2ELNS1_3repE0EEENS1_38merge_mergepath_config_static_selectorELNS0_4arch9wavefront6targetE0EEEvSF_
		.amdhsa_group_segment_fixed_size 0
		.amdhsa_private_segment_fixed_size 0
		.amdhsa_kernarg_size 64
		.amdhsa_user_sgpr_count 2
		.amdhsa_user_sgpr_dispatch_ptr 0
		.amdhsa_user_sgpr_queue_ptr 0
		.amdhsa_user_sgpr_kernarg_segment_ptr 1
		.amdhsa_user_sgpr_dispatch_id 0
		.amdhsa_user_sgpr_kernarg_preload_length 0
		.amdhsa_user_sgpr_kernarg_preload_offset 0
		.amdhsa_user_sgpr_private_segment_size 0
		.amdhsa_wavefront_size32 1
		.amdhsa_uses_dynamic_stack 0
		.amdhsa_enable_private_segment 0
		.amdhsa_system_sgpr_workgroup_id_x 1
		.amdhsa_system_sgpr_workgroup_id_y 0
		.amdhsa_system_sgpr_workgroup_id_z 0
		.amdhsa_system_sgpr_workgroup_info 0
		.amdhsa_system_vgpr_workitem_id 0
		.amdhsa_next_free_vgpr 1
		.amdhsa_next_free_sgpr 1
		.amdhsa_named_barrier_count 0
		.amdhsa_reserve_vcc 0
		.amdhsa_float_round_mode_32 0
		.amdhsa_float_round_mode_16_64 0
		.amdhsa_float_denorm_mode_32 3
		.amdhsa_float_denorm_mode_16_64 3
		.amdhsa_fp16_overflow 0
		.amdhsa_memory_ordered 1
		.amdhsa_forward_progress 1
		.amdhsa_inst_pref_size 0
		.amdhsa_round_robin_scheduling 0
		.amdhsa_exception_fp_ieee_invalid_op 0
		.amdhsa_exception_fp_denorm_src 0
		.amdhsa_exception_fp_ieee_div_zero 0
		.amdhsa_exception_fp_ieee_overflow 0
		.amdhsa_exception_fp_ieee_underflow 0
		.amdhsa_exception_fp_ieee_inexact 0
		.amdhsa_exception_int_div_zero 0
	.end_amdhsa_kernel
	.section	.text._ZN7rocprim17ROCPRIM_400000_NS6detail17trampoline_kernelINS0_14default_configENS1_38merge_sort_block_merge_config_selectorIbNS0_10empty_typeEEEZZNS1_27merge_sort_block_merge_implIS3_PbPS5_jNS1_19radix_merge_compareILb0ELb1EbNS0_19identity_decomposerEEEEE10hipError_tT0_T1_T2_jT3_P12ihipStream_tbPNSt15iterator_traitsISE_E10value_typeEPNSK_ISF_E10value_typeEPSG_NS1_7vsmem_tEENKUlT_SE_SF_SG_E_clIS8_S8_S9_S9_EESD_ST_SE_SF_SG_EUlST_E0_NS1_11comp_targetILNS1_3genE8ELNS1_11target_archE1030ELNS1_3gpuE2ELNS1_3repE0EEENS1_38merge_mergepath_config_static_selectorELNS0_4arch9wavefront6targetE0EEEvSF_,"axG",@progbits,_ZN7rocprim17ROCPRIM_400000_NS6detail17trampoline_kernelINS0_14default_configENS1_38merge_sort_block_merge_config_selectorIbNS0_10empty_typeEEEZZNS1_27merge_sort_block_merge_implIS3_PbPS5_jNS1_19radix_merge_compareILb0ELb1EbNS0_19identity_decomposerEEEEE10hipError_tT0_T1_T2_jT3_P12ihipStream_tbPNSt15iterator_traitsISE_E10value_typeEPNSK_ISF_E10value_typeEPSG_NS1_7vsmem_tEENKUlT_SE_SF_SG_E_clIS8_S8_S9_S9_EESD_ST_SE_SF_SG_EUlST_E0_NS1_11comp_targetILNS1_3genE8ELNS1_11target_archE1030ELNS1_3gpuE2ELNS1_3repE0EEENS1_38merge_mergepath_config_static_selectorELNS0_4arch9wavefront6targetE0EEEvSF_,comdat
.Lfunc_end1825:
	.size	_ZN7rocprim17ROCPRIM_400000_NS6detail17trampoline_kernelINS0_14default_configENS1_38merge_sort_block_merge_config_selectorIbNS0_10empty_typeEEEZZNS1_27merge_sort_block_merge_implIS3_PbPS5_jNS1_19radix_merge_compareILb0ELb1EbNS0_19identity_decomposerEEEEE10hipError_tT0_T1_T2_jT3_P12ihipStream_tbPNSt15iterator_traitsISE_E10value_typeEPNSK_ISF_E10value_typeEPSG_NS1_7vsmem_tEENKUlT_SE_SF_SG_E_clIS8_S8_S9_S9_EESD_ST_SE_SF_SG_EUlST_E0_NS1_11comp_targetILNS1_3genE8ELNS1_11target_archE1030ELNS1_3gpuE2ELNS1_3repE0EEENS1_38merge_mergepath_config_static_selectorELNS0_4arch9wavefront6targetE0EEEvSF_, .Lfunc_end1825-_ZN7rocprim17ROCPRIM_400000_NS6detail17trampoline_kernelINS0_14default_configENS1_38merge_sort_block_merge_config_selectorIbNS0_10empty_typeEEEZZNS1_27merge_sort_block_merge_implIS3_PbPS5_jNS1_19radix_merge_compareILb0ELb1EbNS0_19identity_decomposerEEEEE10hipError_tT0_T1_T2_jT3_P12ihipStream_tbPNSt15iterator_traitsISE_E10value_typeEPNSK_ISF_E10value_typeEPSG_NS1_7vsmem_tEENKUlT_SE_SF_SG_E_clIS8_S8_S9_S9_EESD_ST_SE_SF_SG_EUlST_E0_NS1_11comp_targetILNS1_3genE8ELNS1_11target_archE1030ELNS1_3gpuE2ELNS1_3repE0EEENS1_38merge_mergepath_config_static_selectorELNS0_4arch9wavefront6targetE0EEEvSF_
                                        ; -- End function
	.set _ZN7rocprim17ROCPRIM_400000_NS6detail17trampoline_kernelINS0_14default_configENS1_38merge_sort_block_merge_config_selectorIbNS0_10empty_typeEEEZZNS1_27merge_sort_block_merge_implIS3_PbPS5_jNS1_19radix_merge_compareILb0ELb1EbNS0_19identity_decomposerEEEEE10hipError_tT0_T1_T2_jT3_P12ihipStream_tbPNSt15iterator_traitsISE_E10value_typeEPNSK_ISF_E10value_typeEPSG_NS1_7vsmem_tEENKUlT_SE_SF_SG_E_clIS8_S8_S9_S9_EESD_ST_SE_SF_SG_EUlST_E0_NS1_11comp_targetILNS1_3genE8ELNS1_11target_archE1030ELNS1_3gpuE2ELNS1_3repE0EEENS1_38merge_mergepath_config_static_selectorELNS0_4arch9wavefront6targetE0EEEvSF_.num_vgpr, 0
	.set _ZN7rocprim17ROCPRIM_400000_NS6detail17trampoline_kernelINS0_14default_configENS1_38merge_sort_block_merge_config_selectorIbNS0_10empty_typeEEEZZNS1_27merge_sort_block_merge_implIS3_PbPS5_jNS1_19radix_merge_compareILb0ELb1EbNS0_19identity_decomposerEEEEE10hipError_tT0_T1_T2_jT3_P12ihipStream_tbPNSt15iterator_traitsISE_E10value_typeEPNSK_ISF_E10value_typeEPSG_NS1_7vsmem_tEENKUlT_SE_SF_SG_E_clIS8_S8_S9_S9_EESD_ST_SE_SF_SG_EUlST_E0_NS1_11comp_targetILNS1_3genE8ELNS1_11target_archE1030ELNS1_3gpuE2ELNS1_3repE0EEENS1_38merge_mergepath_config_static_selectorELNS0_4arch9wavefront6targetE0EEEvSF_.num_agpr, 0
	.set _ZN7rocprim17ROCPRIM_400000_NS6detail17trampoline_kernelINS0_14default_configENS1_38merge_sort_block_merge_config_selectorIbNS0_10empty_typeEEEZZNS1_27merge_sort_block_merge_implIS3_PbPS5_jNS1_19radix_merge_compareILb0ELb1EbNS0_19identity_decomposerEEEEE10hipError_tT0_T1_T2_jT3_P12ihipStream_tbPNSt15iterator_traitsISE_E10value_typeEPNSK_ISF_E10value_typeEPSG_NS1_7vsmem_tEENKUlT_SE_SF_SG_E_clIS8_S8_S9_S9_EESD_ST_SE_SF_SG_EUlST_E0_NS1_11comp_targetILNS1_3genE8ELNS1_11target_archE1030ELNS1_3gpuE2ELNS1_3repE0EEENS1_38merge_mergepath_config_static_selectorELNS0_4arch9wavefront6targetE0EEEvSF_.numbered_sgpr, 0
	.set _ZN7rocprim17ROCPRIM_400000_NS6detail17trampoline_kernelINS0_14default_configENS1_38merge_sort_block_merge_config_selectorIbNS0_10empty_typeEEEZZNS1_27merge_sort_block_merge_implIS3_PbPS5_jNS1_19radix_merge_compareILb0ELb1EbNS0_19identity_decomposerEEEEE10hipError_tT0_T1_T2_jT3_P12ihipStream_tbPNSt15iterator_traitsISE_E10value_typeEPNSK_ISF_E10value_typeEPSG_NS1_7vsmem_tEENKUlT_SE_SF_SG_E_clIS8_S8_S9_S9_EESD_ST_SE_SF_SG_EUlST_E0_NS1_11comp_targetILNS1_3genE8ELNS1_11target_archE1030ELNS1_3gpuE2ELNS1_3repE0EEENS1_38merge_mergepath_config_static_selectorELNS0_4arch9wavefront6targetE0EEEvSF_.num_named_barrier, 0
	.set _ZN7rocprim17ROCPRIM_400000_NS6detail17trampoline_kernelINS0_14default_configENS1_38merge_sort_block_merge_config_selectorIbNS0_10empty_typeEEEZZNS1_27merge_sort_block_merge_implIS3_PbPS5_jNS1_19radix_merge_compareILb0ELb1EbNS0_19identity_decomposerEEEEE10hipError_tT0_T1_T2_jT3_P12ihipStream_tbPNSt15iterator_traitsISE_E10value_typeEPNSK_ISF_E10value_typeEPSG_NS1_7vsmem_tEENKUlT_SE_SF_SG_E_clIS8_S8_S9_S9_EESD_ST_SE_SF_SG_EUlST_E0_NS1_11comp_targetILNS1_3genE8ELNS1_11target_archE1030ELNS1_3gpuE2ELNS1_3repE0EEENS1_38merge_mergepath_config_static_selectorELNS0_4arch9wavefront6targetE0EEEvSF_.private_seg_size, 0
	.set _ZN7rocprim17ROCPRIM_400000_NS6detail17trampoline_kernelINS0_14default_configENS1_38merge_sort_block_merge_config_selectorIbNS0_10empty_typeEEEZZNS1_27merge_sort_block_merge_implIS3_PbPS5_jNS1_19radix_merge_compareILb0ELb1EbNS0_19identity_decomposerEEEEE10hipError_tT0_T1_T2_jT3_P12ihipStream_tbPNSt15iterator_traitsISE_E10value_typeEPNSK_ISF_E10value_typeEPSG_NS1_7vsmem_tEENKUlT_SE_SF_SG_E_clIS8_S8_S9_S9_EESD_ST_SE_SF_SG_EUlST_E0_NS1_11comp_targetILNS1_3genE8ELNS1_11target_archE1030ELNS1_3gpuE2ELNS1_3repE0EEENS1_38merge_mergepath_config_static_selectorELNS0_4arch9wavefront6targetE0EEEvSF_.uses_vcc, 0
	.set _ZN7rocprim17ROCPRIM_400000_NS6detail17trampoline_kernelINS0_14default_configENS1_38merge_sort_block_merge_config_selectorIbNS0_10empty_typeEEEZZNS1_27merge_sort_block_merge_implIS3_PbPS5_jNS1_19radix_merge_compareILb0ELb1EbNS0_19identity_decomposerEEEEE10hipError_tT0_T1_T2_jT3_P12ihipStream_tbPNSt15iterator_traitsISE_E10value_typeEPNSK_ISF_E10value_typeEPSG_NS1_7vsmem_tEENKUlT_SE_SF_SG_E_clIS8_S8_S9_S9_EESD_ST_SE_SF_SG_EUlST_E0_NS1_11comp_targetILNS1_3genE8ELNS1_11target_archE1030ELNS1_3gpuE2ELNS1_3repE0EEENS1_38merge_mergepath_config_static_selectorELNS0_4arch9wavefront6targetE0EEEvSF_.uses_flat_scratch, 0
	.set _ZN7rocprim17ROCPRIM_400000_NS6detail17trampoline_kernelINS0_14default_configENS1_38merge_sort_block_merge_config_selectorIbNS0_10empty_typeEEEZZNS1_27merge_sort_block_merge_implIS3_PbPS5_jNS1_19radix_merge_compareILb0ELb1EbNS0_19identity_decomposerEEEEE10hipError_tT0_T1_T2_jT3_P12ihipStream_tbPNSt15iterator_traitsISE_E10value_typeEPNSK_ISF_E10value_typeEPSG_NS1_7vsmem_tEENKUlT_SE_SF_SG_E_clIS8_S8_S9_S9_EESD_ST_SE_SF_SG_EUlST_E0_NS1_11comp_targetILNS1_3genE8ELNS1_11target_archE1030ELNS1_3gpuE2ELNS1_3repE0EEENS1_38merge_mergepath_config_static_selectorELNS0_4arch9wavefront6targetE0EEEvSF_.has_dyn_sized_stack, 0
	.set _ZN7rocprim17ROCPRIM_400000_NS6detail17trampoline_kernelINS0_14default_configENS1_38merge_sort_block_merge_config_selectorIbNS0_10empty_typeEEEZZNS1_27merge_sort_block_merge_implIS3_PbPS5_jNS1_19radix_merge_compareILb0ELb1EbNS0_19identity_decomposerEEEEE10hipError_tT0_T1_T2_jT3_P12ihipStream_tbPNSt15iterator_traitsISE_E10value_typeEPNSK_ISF_E10value_typeEPSG_NS1_7vsmem_tEENKUlT_SE_SF_SG_E_clIS8_S8_S9_S9_EESD_ST_SE_SF_SG_EUlST_E0_NS1_11comp_targetILNS1_3genE8ELNS1_11target_archE1030ELNS1_3gpuE2ELNS1_3repE0EEENS1_38merge_mergepath_config_static_selectorELNS0_4arch9wavefront6targetE0EEEvSF_.has_recursion, 0
	.set _ZN7rocprim17ROCPRIM_400000_NS6detail17trampoline_kernelINS0_14default_configENS1_38merge_sort_block_merge_config_selectorIbNS0_10empty_typeEEEZZNS1_27merge_sort_block_merge_implIS3_PbPS5_jNS1_19radix_merge_compareILb0ELb1EbNS0_19identity_decomposerEEEEE10hipError_tT0_T1_T2_jT3_P12ihipStream_tbPNSt15iterator_traitsISE_E10value_typeEPNSK_ISF_E10value_typeEPSG_NS1_7vsmem_tEENKUlT_SE_SF_SG_E_clIS8_S8_S9_S9_EESD_ST_SE_SF_SG_EUlST_E0_NS1_11comp_targetILNS1_3genE8ELNS1_11target_archE1030ELNS1_3gpuE2ELNS1_3repE0EEENS1_38merge_mergepath_config_static_selectorELNS0_4arch9wavefront6targetE0EEEvSF_.has_indirect_call, 0
	.section	.AMDGPU.csdata,"",@progbits
; Kernel info:
; codeLenInByte = 0
; TotalNumSgprs: 0
; NumVgprs: 0
; ScratchSize: 0
; MemoryBound: 0
; FloatMode: 240
; IeeeMode: 1
; LDSByteSize: 0 bytes/workgroup (compile time only)
; SGPRBlocks: 0
; VGPRBlocks: 0
; NumSGPRsForWavesPerEU: 1
; NumVGPRsForWavesPerEU: 1
; NamedBarCnt: 0
; Occupancy: 16
; WaveLimiterHint : 0
; COMPUTE_PGM_RSRC2:SCRATCH_EN: 0
; COMPUTE_PGM_RSRC2:USER_SGPR: 2
; COMPUTE_PGM_RSRC2:TRAP_HANDLER: 0
; COMPUTE_PGM_RSRC2:TGID_X_EN: 1
; COMPUTE_PGM_RSRC2:TGID_Y_EN: 0
; COMPUTE_PGM_RSRC2:TGID_Z_EN: 0
; COMPUTE_PGM_RSRC2:TIDIG_COMP_CNT: 0
	.section	.text._ZN7rocprim17ROCPRIM_400000_NS6detail17trampoline_kernelINS0_14default_configENS1_38merge_sort_block_merge_config_selectorIbNS0_10empty_typeEEEZZNS1_27merge_sort_block_merge_implIS3_PbPS5_jNS1_19radix_merge_compareILb0ELb1EbNS0_19identity_decomposerEEEEE10hipError_tT0_T1_T2_jT3_P12ihipStream_tbPNSt15iterator_traitsISE_E10value_typeEPNSK_ISF_E10value_typeEPSG_NS1_7vsmem_tEENKUlT_SE_SF_SG_E_clIS8_S8_S9_S9_EESD_ST_SE_SF_SG_EUlST_E1_NS1_11comp_targetILNS1_3genE0ELNS1_11target_archE4294967295ELNS1_3gpuE0ELNS1_3repE0EEENS1_36merge_oddeven_config_static_selectorELNS0_4arch9wavefront6targetE0EEEvSF_,"axG",@progbits,_ZN7rocprim17ROCPRIM_400000_NS6detail17trampoline_kernelINS0_14default_configENS1_38merge_sort_block_merge_config_selectorIbNS0_10empty_typeEEEZZNS1_27merge_sort_block_merge_implIS3_PbPS5_jNS1_19radix_merge_compareILb0ELb1EbNS0_19identity_decomposerEEEEE10hipError_tT0_T1_T2_jT3_P12ihipStream_tbPNSt15iterator_traitsISE_E10value_typeEPNSK_ISF_E10value_typeEPSG_NS1_7vsmem_tEENKUlT_SE_SF_SG_E_clIS8_S8_S9_S9_EESD_ST_SE_SF_SG_EUlST_E1_NS1_11comp_targetILNS1_3genE0ELNS1_11target_archE4294967295ELNS1_3gpuE0ELNS1_3repE0EEENS1_36merge_oddeven_config_static_selectorELNS0_4arch9wavefront6targetE0EEEvSF_,comdat
	.protected	_ZN7rocprim17ROCPRIM_400000_NS6detail17trampoline_kernelINS0_14default_configENS1_38merge_sort_block_merge_config_selectorIbNS0_10empty_typeEEEZZNS1_27merge_sort_block_merge_implIS3_PbPS5_jNS1_19radix_merge_compareILb0ELb1EbNS0_19identity_decomposerEEEEE10hipError_tT0_T1_T2_jT3_P12ihipStream_tbPNSt15iterator_traitsISE_E10value_typeEPNSK_ISF_E10value_typeEPSG_NS1_7vsmem_tEENKUlT_SE_SF_SG_E_clIS8_S8_S9_S9_EESD_ST_SE_SF_SG_EUlST_E1_NS1_11comp_targetILNS1_3genE0ELNS1_11target_archE4294967295ELNS1_3gpuE0ELNS1_3repE0EEENS1_36merge_oddeven_config_static_selectorELNS0_4arch9wavefront6targetE0EEEvSF_ ; -- Begin function _ZN7rocprim17ROCPRIM_400000_NS6detail17trampoline_kernelINS0_14default_configENS1_38merge_sort_block_merge_config_selectorIbNS0_10empty_typeEEEZZNS1_27merge_sort_block_merge_implIS3_PbPS5_jNS1_19radix_merge_compareILb0ELb1EbNS0_19identity_decomposerEEEEE10hipError_tT0_T1_T2_jT3_P12ihipStream_tbPNSt15iterator_traitsISE_E10value_typeEPNSK_ISF_E10value_typeEPSG_NS1_7vsmem_tEENKUlT_SE_SF_SG_E_clIS8_S8_S9_S9_EESD_ST_SE_SF_SG_EUlST_E1_NS1_11comp_targetILNS1_3genE0ELNS1_11target_archE4294967295ELNS1_3gpuE0ELNS1_3repE0EEENS1_36merge_oddeven_config_static_selectorELNS0_4arch9wavefront6targetE0EEEvSF_
	.globl	_ZN7rocprim17ROCPRIM_400000_NS6detail17trampoline_kernelINS0_14default_configENS1_38merge_sort_block_merge_config_selectorIbNS0_10empty_typeEEEZZNS1_27merge_sort_block_merge_implIS3_PbPS5_jNS1_19radix_merge_compareILb0ELb1EbNS0_19identity_decomposerEEEEE10hipError_tT0_T1_T2_jT3_P12ihipStream_tbPNSt15iterator_traitsISE_E10value_typeEPNSK_ISF_E10value_typeEPSG_NS1_7vsmem_tEENKUlT_SE_SF_SG_E_clIS8_S8_S9_S9_EESD_ST_SE_SF_SG_EUlST_E1_NS1_11comp_targetILNS1_3genE0ELNS1_11target_archE4294967295ELNS1_3gpuE0ELNS1_3repE0EEENS1_36merge_oddeven_config_static_selectorELNS0_4arch9wavefront6targetE0EEEvSF_
	.p2align	8
	.type	_ZN7rocprim17ROCPRIM_400000_NS6detail17trampoline_kernelINS0_14default_configENS1_38merge_sort_block_merge_config_selectorIbNS0_10empty_typeEEEZZNS1_27merge_sort_block_merge_implIS3_PbPS5_jNS1_19radix_merge_compareILb0ELb1EbNS0_19identity_decomposerEEEEE10hipError_tT0_T1_T2_jT3_P12ihipStream_tbPNSt15iterator_traitsISE_E10value_typeEPNSK_ISF_E10value_typeEPSG_NS1_7vsmem_tEENKUlT_SE_SF_SG_E_clIS8_S8_S9_S9_EESD_ST_SE_SF_SG_EUlST_E1_NS1_11comp_targetILNS1_3genE0ELNS1_11target_archE4294967295ELNS1_3gpuE0ELNS1_3repE0EEENS1_36merge_oddeven_config_static_selectorELNS0_4arch9wavefront6targetE0EEEvSF_,@function
_ZN7rocprim17ROCPRIM_400000_NS6detail17trampoline_kernelINS0_14default_configENS1_38merge_sort_block_merge_config_selectorIbNS0_10empty_typeEEEZZNS1_27merge_sort_block_merge_implIS3_PbPS5_jNS1_19radix_merge_compareILb0ELb1EbNS0_19identity_decomposerEEEEE10hipError_tT0_T1_T2_jT3_P12ihipStream_tbPNSt15iterator_traitsISE_E10value_typeEPNSK_ISF_E10value_typeEPSG_NS1_7vsmem_tEENKUlT_SE_SF_SG_E_clIS8_S8_S9_S9_EESD_ST_SE_SF_SG_EUlST_E1_NS1_11comp_targetILNS1_3genE0ELNS1_11target_archE4294967295ELNS1_3gpuE0ELNS1_3repE0EEENS1_36merge_oddeven_config_static_selectorELNS0_4arch9wavefront6targetE0EEEvSF_: ; @_ZN7rocprim17ROCPRIM_400000_NS6detail17trampoline_kernelINS0_14default_configENS1_38merge_sort_block_merge_config_selectorIbNS0_10empty_typeEEEZZNS1_27merge_sort_block_merge_implIS3_PbPS5_jNS1_19radix_merge_compareILb0ELb1EbNS0_19identity_decomposerEEEEE10hipError_tT0_T1_T2_jT3_P12ihipStream_tbPNSt15iterator_traitsISE_E10value_typeEPNSK_ISF_E10value_typeEPSG_NS1_7vsmem_tEENKUlT_SE_SF_SG_E_clIS8_S8_S9_S9_EESD_ST_SE_SF_SG_EUlST_E1_NS1_11comp_targetILNS1_3genE0ELNS1_11target_archE4294967295ELNS1_3gpuE0ELNS1_3repE0EEENS1_36merge_oddeven_config_static_selectorELNS0_4arch9wavefront6targetE0EEEvSF_
; %bb.0:
	s_load_b64 s[4:5], s[0:1], 0x4
	s_load_b96 s[8:10], s[2:3], 0x20
	s_wait_xcnt 0x0
	s_bfe_u32 s0, ttmp6, 0x4000c
	s_and_b32 s1, ttmp6, 15
	s_add_co_i32 s0, s0, 1
	s_getreg_b32 s6, hwreg(HW_REG_IB_STS2, 6, 4)
	s_mul_i32 s0, ttmp9, s0
	v_and_b32_e32 v2, 0x3ff, v0
	s_add_co_i32 s1, s1, s0
	v_bfe_u32 v1, v0, 10, 10
	v_bfe_u32 v0, v0, 20, 10
	s_mov_b32 s11, 0
	s_wait_kmcnt 0x0
	s_lshr_b32 s0, s4, 16
	s_and_b32 s4, s10, 1
	s_cmp_eq_u32 s6, 0
	s_mul_i32 s6, s0, s5
	s_cselect_b32 s0, ttmp9, s1
	s_lshr_b32 s1, s8, 8
	v_mul_lo_u32 v3, s6, v2
	s_cmp_lg_u32 s0, s1
	v_mul_u32_u24_e32 v1, s5, v1
	s_cselect_b32 s14, -1, 0
	s_cmp_eq_u32 s0, s1
	s_cselect_b32 s12, -1, 0
	s_lshl_b32 s10, s0, 8
	s_delay_alu instid0(SALU_CYCLE_1) | instskip(NEXT) | instid1(SALU_CYCLE_1)
	s_sub_co_i32 s1, s8, s10
	v_cmp_gt_u32_e64 s1, s1, v2
	s_delay_alu instid0(VALU_DEP_3)
	v_add3_u32 v1, v3, v1, v0
	v_mov_b32_e32 v0, s4
	s_or_b32 s4, s14, s1
	ds_store_b8 v1, v0
	s_and_saveexec_b32 s5, s4
	s_cbranch_execz .LBB1826_20
; %bb.1:
	s_load_b128 s[4:7], s[2:3], 0x0
	v_add_nc_u32_e32 v4, s10, v2
	s_wait_kmcnt 0x0
	s_add_nc_u64 s[2:3], s[4:5], s[10:11]
	global_load_u8 v0, v2, s[2:3]
	s_wait_xcnt 0x0
	s_lshr_b32 s2, s9, 8
	s_delay_alu instid0(SALU_CYCLE_1) | instskip(NEXT) | instid1(SALU_CYCLE_1)
	s_sub_co_i32 s3, 0, s2
	s_and_b32 s0, s0, s3
	s_sub_co_i32 s3, 0, s9
	s_and_b32 s2, s0, s2
	s_lshl_b32 s13, s0, 8
	s_cmp_eq_u32 s2, 0
	s_cselect_b32 s0, -1, 0
	s_delay_alu instid0(SALU_CYCLE_1) | instskip(SKIP_1) | instid1(SALU_CYCLE_1)
	s_and_b32 s2, s0, exec_lo
	s_cselect_b32 s2, s9, s3
	s_add_co_i32 s2, s2, s13
	s_delay_alu instid0(SALU_CYCLE_1)
	s_cmp_gt_u32 s8, s2
	s_cbranch_scc1 .LBB1826_3
; %bb.2:
	v_cmp_gt_u32_e32 vcc_lo, s8, v4
	s_or_b32 s10, vcc_lo, s14
	s_delay_alu instid0(SALU_CYCLE_1)
	s_and_b32 s11, s10, exec_lo
	s_cbranch_execz .LBB1826_4
	s_branch .LBB1826_18
.LBB1826_3:
.LBB1826_4:
	ds_load_u8 v2, v1
	s_min_u32 s3, s2, s8
	s_and_b32 vcc_lo, exec_lo, s12
	s_add_co_i32 s10, s13, s3
	s_add_co_i32 s9, s3, s9
	v_subrev_nc_u32_e32 v1, s10, v4
	s_min_u32 s10, s13, s3
	s_min_u32 s8, s9, s8
	s_wait_loadcnt_dscnt 0x0
	s_delay_alu instid0(VALU_DEP_1)
	v_dual_add_nc_u32 v1, s10, v1 :: v_dual_bitop2_b32 v3, v2, v0 bitop3:0x40
	s_cbranch_vccz .LBB1826_12
; %bb.5:
                                        ; implicit-def: $vgpr4
	s_and_saveexec_b32 s9, s1
	s_cbranch_execz .LBB1826_11
; %bb.6:
	v_mov_b32_e32 v4, s3
	s_cmp_ge_u32 s2, s8
	s_cbranch_scc1 .LBB1826_10
; %bb.7:
	v_dual_mov_b32 v5, s8 :: v_dual_mov_b32 v4, s3
	v_and_b32_e32 v6, 0xff, v3
	s_mov_b32 s1, 0
.LBB1826_8:                             ; =>This Inner Loop Header: Depth=1
	s_delay_alu instid0(VALU_DEP_2) | instskip(NEXT) | instid1(VALU_DEP_1)
	v_add_nc_u32_e32 v7, v4, v5
	v_lshrrev_b32_e32 v7, 1, v7
	global_load_u8 v8, v7, s[4:5]
	s_wait_loadcnt 0x0
	v_and_b32_e32 v8, v2, v8
	s_delay_alu instid0(VALU_DEP_1) | instskip(SKIP_3) | instid1(VALU_DEP_1)
	v_cmp_gt_u16_e32 vcc_lo, v6, v8
	v_cndmask_b32_e64 v9, 0, 1, vcc_lo
	v_cmp_le_u16_e32 vcc_lo, v8, v6
	v_cndmask_b32_e64 v8, 0, 1, vcc_lo
	v_dual_cndmask_b32 v8, v8, v9, s0 :: v_dual_add_nc_u32 v9, 1, v7
	s_delay_alu instid0(VALU_DEP_1) | instskip(NEXT) | instid1(VALU_DEP_1)
	v_and_b32_e32 v8, 1, v8
	v_cmp_eq_u32_e32 vcc_lo, 1, v8
	v_cndmask_b32_e32 v5, v7, v5, vcc_lo
	s_delay_alu instid0(VALU_DEP_4) | instskip(NEXT) | instid1(VALU_DEP_1)
	v_cndmask_b32_e32 v4, v4, v9, vcc_lo
	v_cmp_ge_u32_e32 vcc_lo, v4, v5
	s_or_b32 s1, vcc_lo, s1
	s_delay_alu instid0(SALU_CYCLE_1)
	s_and_not1_b32 exec_lo, exec_lo, s1
	s_cbranch_execnz .LBB1826_8
; %bb.9:
	s_or_b32 exec_lo, exec_lo, s1
.LBB1826_10:
	s_delay_alu instid0(VALU_DEP_1)
	v_add_nc_u32_e32 v4, v4, v1
	s_or_b32 s11, s11, exec_lo
.LBB1826_11:
	s_or_b32 exec_lo, exec_lo, s9
	s_branch .LBB1826_18
.LBB1826_12:
                                        ; implicit-def: $vgpr4
	s_cbranch_execz .LBB1826_18
; %bb.13:
	v_mov_b32_e32 v4, s3
	s_cmp_ge_u32 s2, s8
	s_cbranch_scc1 .LBB1826_17
; %bb.14:
	v_dual_mov_b32 v5, s8 :: v_dual_mov_b32 v4, s3
	v_and_b32_e32 v3, 0xff, v3
	s_mov_b32 s1, 0
.LBB1826_15:                            ; =>This Inner Loop Header: Depth=1
	s_delay_alu instid0(VALU_DEP_2) | instskip(NEXT) | instid1(VALU_DEP_1)
	v_add_nc_u32_e32 v6, v4, v5
	v_lshrrev_b32_e32 v6, 1, v6
	global_load_u8 v7, v6, s[4:5]
	s_wait_loadcnt 0x0
	v_and_b32_e32 v7, v2, v7
	s_delay_alu instid0(VALU_DEP_1) | instskip(SKIP_3) | instid1(VALU_DEP_1)
	v_cmp_gt_u16_e32 vcc_lo, v3, v7
	v_cndmask_b32_e64 v8, 0, 1, vcc_lo
	v_cmp_le_u16_e32 vcc_lo, v7, v3
	v_cndmask_b32_e64 v7, 0, 1, vcc_lo
	v_dual_cndmask_b32 v7, v7, v8, s0 :: v_dual_add_nc_u32 v8, 1, v6
	s_delay_alu instid0(VALU_DEP_1) | instskip(NEXT) | instid1(VALU_DEP_1)
	v_and_b32_e32 v7, 1, v7
	v_cmp_eq_u32_e32 vcc_lo, 1, v7
	s_delay_alu instid0(VALU_DEP_3) | instskip(NEXT) | instid1(VALU_DEP_1)
	v_dual_cndmask_b32 v5, v6, v5 :: v_dual_cndmask_b32 v4, v4, v8
	v_cmp_ge_u32_e32 vcc_lo, v4, v5
	s_or_b32 s1, vcc_lo, s1
	s_delay_alu instid0(SALU_CYCLE_1)
	s_and_not1_b32 exec_lo, exec_lo, s1
	s_cbranch_execnz .LBB1826_15
; %bb.16:
	s_or_b32 exec_lo, exec_lo, s1
.LBB1826_17:
	s_delay_alu instid0(VALU_DEP_1)
	v_add_nc_u32_e32 v4, v4, v1
	s_mov_b32 s11, -1
.LBB1826_18:
	s_delay_alu instid0(SALU_CYCLE_1)
	s_and_b32 exec_lo, exec_lo, s11
	s_cbranch_execz .LBB1826_20
; %bb.19:
	s_wait_loadcnt 0x0
	global_store_b8 v4, v0, s[6:7]
.LBB1826_20:
	s_endpgm
	.section	.rodata,"a",@progbits
	.p2align	6, 0x0
	.amdhsa_kernel _ZN7rocprim17ROCPRIM_400000_NS6detail17trampoline_kernelINS0_14default_configENS1_38merge_sort_block_merge_config_selectorIbNS0_10empty_typeEEEZZNS1_27merge_sort_block_merge_implIS3_PbPS5_jNS1_19radix_merge_compareILb0ELb1EbNS0_19identity_decomposerEEEEE10hipError_tT0_T1_T2_jT3_P12ihipStream_tbPNSt15iterator_traitsISE_E10value_typeEPNSK_ISF_E10value_typeEPSG_NS1_7vsmem_tEENKUlT_SE_SF_SG_E_clIS8_S8_S9_S9_EESD_ST_SE_SF_SG_EUlST_E1_NS1_11comp_targetILNS1_3genE0ELNS1_11target_archE4294967295ELNS1_3gpuE0ELNS1_3repE0EEENS1_36merge_oddeven_config_static_selectorELNS0_4arch9wavefront6targetE0EEEvSF_
		.amdhsa_group_segment_fixed_size 256
		.amdhsa_private_segment_fixed_size 0
		.amdhsa_kernarg_size 48
		.amdhsa_user_sgpr_count 4
		.amdhsa_user_sgpr_dispatch_ptr 1
		.amdhsa_user_sgpr_queue_ptr 0
		.amdhsa_user_sgpr_kernarg_segment_ptr 1
		.amdhsa_user_sgpr_dispatch_id 0
		.amdhsa_user_sgpr_kernarg_preload_length 0
		.amdhsa_user_sgpr_kernarg_preload_offset 0
		.amdhsa_user_sgpr_private_segment_size 0
		.amdhsa_wavefront_size32 1
		.amdhsa_uses_dynamic_stack 0
		.amdhsa_enable_private_segment 0
		.amdhsa_system_sgpr_workgroup_id_x 1
		.amdhsa_system_sgpr_workgroup_id_y 0
		.amdhsa_system_sgpr_workgroup_id_z 0
		.amdhsa_system_sgpr_workgroup_info 0
		.amdhsa_system_vgpr_workitem_id 2
		.amdhsa_next_free_vgpr 10
		.amdhsa_next_free_sgpr 15
		.amdhsa_named_barrier_count 0
		.amdhsa_reserve_vcc 1
		.amdhsa_float_round_mode_32 0
		.amdhsa_float_round_mode_16_64 0
		.amdhsa_float_denorm_mode_32 3
		.amdhsa_float_denorm_mode_16_64 3
		.amdhsa_fp16_overflow 0
		.amdhsa_memory_ordered 1
		.amdhsa_forward_progress 1
		.amdhsa_inst_pref_size 6
		.amdhsa_round_robin_scheduling 0
		.amdhsa_exception_fp_ieee_invalid_op 0
		.amdhsa_exception_fp_denorm_src 0
		.amdhsa_exception_fp_ieee_div_zero 0
		.amdhsa_exception_fp_ieee_overflow 0
		.amdhsa_exception_fp_ieee_underflow 0
		.amdhsa_exception_fp_ieee_inexact 0
		.amdhsa_exception_int_div_zero 0
	.end_amdhsa_kernel
	.section	.text._ZN7rocprim17ROCPRIM_400000_NS6detail17trampoline_kernelINS0_14default_configENS1_38merge_sort_block_merge_config_selectorIbNS0_10empty_typeEEEZZNS1_27merge_sort_block_merge_implIS3_PbPS5_jNS1_19radix_merge_compareILb0ELb1EbNS0_19identity_decomposerEEEEE10hipError_tT0_T1_T2_jT3_P12ihipStream_tbPNSt15iterator_traitsISE_E10value_typeEPNSK_ISF_E10value_typeEPSG_NS1_7vsmem_tEENKUlT_SE_SF_SG_E_clIS8_S8_S9_S9_EESD_ST_SE_SF_SG_EUlST_E1_NS1_11comp_targetILNS1_3genE0ELNS1_11target_archE4294967295ELNS1_3gpuE0ELNS1_3repE0EEENS1_36merge_oddeven_config_static_selectorELNS0_4arch9wavefront6targetE0EEEvSF_,"axG",@progbits,_ZN7rocprim17ROCPRIM_400000_NS6detail17trampoline_kernelINS0_14default_configENS1_38merge_sort_block_merge_config_selectorIbNS0_10empty_typeEEEZZNS1_27merge_sort_block_merge_implIS3_PbPS5_jNS1_19radix_merge_compareILb0ELb1EbNS0_19identity_decomposerEEEEE10hipError_tT0_T1_T2_jT3_P12ihipStream_tbPNSt15iterator_traitsISE_E10value_typeEPNSK_ISF_E10value_typeEPSG_NS1_7vsmem_tEENKUlT_SE_SF_SG_E_clIS8_S8_S9_S9_EESD_ST_SE_SF_SG_EUlST_E1_NS1_11comp_targetILNS1_3genE0ELNS1_11target_archE4294967295ELNS1_3gpuE0ELNS1_3repE0EEENS1_36merge_oddeven_config_static_selectorELNS0_4arch9wavefront6targetE0EEEvSF_,comdat
.Lfunc_end1826:
	.size	_ZN7rocprim17ROCPRIM_400000_NS6detail17trampoline_kernelINS0_14default_configENS1_38merge_sort_block_merge_config_selectorIbNS0_10empty_typeEEEZZNS1_27merge_sort_block_merge_implIS3_PbPS5_jNS1_19radix_merge_compareILb0ELb1EbNS0_19identity_decomposerEEEEE10hipError_tT0_T1_T2_jT3_P12ihipStream_tbPNSt15iterator_traitsISE_E10value_typeEPNSK_ISF_E10value_typeEPSG_NS1_7vsmem_tEENKUlT_SE_SF_SG_E_clIS8_S8_S9_S9_EESD_ST_SE_SF_SG_EUlST_E1_NS1_11comp_targetILNS1_3genE0ELNS1_11target_archE4294967295ELNS1_3gpuE0ELNS1_3repE0EEENS1_36merge_oddeven_config_static_selectorELNS0_4arch9wavefront6targetE0EEEvSF_, .Lfunc_end1826-_ZN7rocprim17ROCPRIM_400000_NS6detail17trampoline_kernelINS0_14default_configENS1_38merge_sort_block_merge_config_selectorIbNS0_10empty_typeEEEZZNS1_27merge_sort_block_merge_implIS3_PbPS5_jNS1_19radix_merge_compareILb0ELb1EbNS0_19identity_decomposerEEEEE10hipError_tT0_T1_T2_jT3_P12ihipStream_tbPNSt15iterator_traitsISE_E10value_typeEPNSK_ISF_E10value_typeEPSG_NS1_7vsmem_tEENKUlT_SE_SF_SG_E_clIS8_S8_S9_S9_EESD_ST_SE_SF_SG_EUlST_E1_NS1_11comp_targetILNS1_3genE0ELNS1_11target_archE4294967295ELNS1_3gpuE0ELNS1_3repE0EEENS1_36merge_oddeven_config_static_selectorELNS0_4arch9wavefront6targetE0EEEvSF_
                                        ; -- End function
	.set _ZN7rocprim17ROCPRIM_400000_NS6detail17trampoline_kernelINS0_14default_configENS1_38merge_sort_block_merge_config_selectorIbNS0_10empty_typeEEEZZNS1_27merge_sort_block_merge_implIS3_PbPS5_jNS1_19radix_merge_compareILb0ELb1EbNS0_19identity_decomposerEEEEE10hipError_tT0_T1_T2_jT3_P12ihipStream_tbPNSt15iterator_traitsISE_E10value_typeEPNSK_ISF_E10value_typeEPSG_NS1_7vsmem_tEENKUlT_SE_SF_SG_E_clIS8_S8_S9_S9_EESD_ST_SE_SF_SG_EUlST_E1_NS1_11comp_targetILNS1_3genE0ELNS1_11target_archE4294967295ELNS1_3gpuE0ELNS1_3repE0EEENS1_36merge_oddeven_config_static_selectorELNS0_4arch9wavefront6targetE0EEEvSF_.num_vgpr, 10
	.set _ZN7rocprim17ROCPRIM_400000_NS6detail17trampoline_kernelINS0_14default_configENS1_38merge_sort_block_merge_config_selectorIbNS0_10empty_typeEEEZZNS1_27merge_sort_block_merge_implIS3_PbPS5_jNS1_19radix_merge_compareILb0ELb1EbNS0_19identity_decomposerEEEEE10hipError_tT0_T1_T2_jT3_P12ihipStream_tbPNSt15iterator_traitsISE_E10value_typeEPNSK_ISF_E10value_typeEPSG_NS1_7vsmem_tEENKUlT_SE_SF_SG_E_clIS8_S8_S9_S9_EESD_ST_SE_SF_SG_EUlST_E1_NS1_11comp_targetILNS1_3genE0ELNS1_11target_archE4294967295ELNS1_3gpuE0ELNS1_3repE0EEENS1_36merge_oddeven_config_static_selectorELNS0_4arch9wavefront6targetE0EEEvSF_.num_agpr, 0
	.set _ZN7rocprim17ROCPRIM_400000_NS6detail17trampoline_kernelINS0_14default_configENS1_38merge_sort_block_merge_config_selectorIbNS0_10empty_typeEEEZZNS1_27merge_sort_block_merge_implIS3_PbPS5_jNS1_19radix_merge_compareILb0ELb1EbNS0_19identity_decomposerEEEEE10hipError_tT0_T1_T2_jT3_P12ihipStream_tbPNSt15iterator_traitsISE_E10value_typeEPNSK_ISF_E10value_typeEPSG_NS1_7vsmem_tEENKUlT_SE_SF_SG_E_clIS8_S8_S9_S9_EESD_ST_SE_SF_SG_EUlST_E1_NS1_11comp_targetILNS1_3genE0ELNS1_11target_archE4294967295ELNS1_3gpuE0ELNS1_3repE0EEENS1_36merge_oddeven_config_static_selectorELNS0_4arch9wavefront6targetE0EEEvSF_.numbered_sgpr, 15
	.set _ZN7rocprim17ROCPRIM_400000_NS6detail17trampoline_kernelINS0_14default_configENS1_38merge_sort_block_merge_config_selectorIbNS0_10empty_typeEEEZZNS1_27merge_sort_block_merge_implIS3_PbPS5_jNS1_19radix_merge_compareILb0ELb1EbNS0_19identity_decomposerEEEEE10hipError_tT0_T1_T2_jT3_P12ihipStream_tbPNSt15iterator_traitsISE_E10value_typeEPNSK_ISF_E10value_typeEPSG_NS1_7vsmem_tEENKUlT_SE_SF_SG_E_clIS8_S8_S9_S9_EESD_ST_SE_SF_SG_EUlST_E1_NS1_11comp_targetILNS1_3genE0ELNS1_11target_archE4294967295ELNS1_3gpuE0ELNS1_3repE0EEENS1_36merge_oddeven_config_static_selectorELNS0_4arch9wavefront6targetE0EEEvSF_.num_named_barrier, 0
	.set _ZN7rocprim17ROCPRIM_400000_NS6detail17trampoline_kernelINS0_14default_configENS1_38merge_sort_block_merge_config_selectorIbNS0_10empty_typeEEEZZNS1_27merge_sort_block_merge_implIS3_PbPS5_jNS1_19radix_merge_compareILb0ELb1EbNS0_19identity_decomposerEEEEE10hipError_tT0_T1_T2_jT3_P12ihipStream_tbPNSt15iterator_traitsISE_E10value_typeEPNSK_ISF_E10value_typeEPSG_NS1_7vsmem_tEENKUlT_SE_SF_SG_E_clIS8_S8_S9_S9_EESD_ST_SE_SF_SG_EUlST_E1_NS1_11comp_targetILNS1_3genE0ELNS1_11target_archE4294967295ELNS1_3gpuE0ELNS1_3repE0EEENS1_36merge_oddeven_config_static_selectorELNS0_4arch9wavefront6targetE0EEEvSF_.private_seg_size, 0
	.set _ZN7rocprim17ROCPRIM_400000_NS6detail17trampoline_kernelINS0_14default_configENS1_38merge_sort_block_merge_config_selectorIbNS0_10empty_typeEEEZZNS1_27merge_sort_block_merge_implIS3_PbPS5_jNS1_19radix_merge_compareILb0ELb1EbNS0_19identity_decomposerEEEEE10hipError_tT0_T1_T2_jT3_P12ihipStream_tbPNSt15iterator_traitsISE_E10value_typeEPNSK_ISF_E10value_typeEPSG_NS1_7vsmem_tEENKUlT_SE_SF_SG_E_clIS8_S8_S9_S9_EESD_ST_SE_SF_SG_EUlST_E1_NS1_11comp_targetILNS1_3genE0ELNS1_11target_archE4294967295ELNS1_3gpuE0ELNS1_3repE0EEENS1_36merge_oddeven_config_static_selectorELNS0_4arch9wavefront6targetE0EEEvSF_.uses_vcc, 1
	.set _ZN7rocprim17ROCPRIM_400000_NS6detail17trampoline_kernelINS0_14default_configENS1_38merge_sort_block_merge_config_selectorIbNS0_10empty_typeEEEZZNS1_27merge_sort_block_merge_implIS3_PbPS5_jNS1_19radix_merge_compareILb0ELb1EbNS0_19identity_decomposerEEEEE10hipError_tT0_T1_T2_jT3_P12ihipStream_tbPNSt15iterator_traitsISE_E10value_typeEPNSK_ISF_E10value_typeEPSG_NS1_7vsmem_tEENKUlT_SE_SF_SG_E_clIS8_S8_S9_S9_EESD_ST_SE_SF_SG_EUlST_E1_NS1_11comp_targetILNS1_3genE0ELNS1_11target_archE4294967295ELNS1_3gpuE0ELNS1_3repE0EEENS1_36merge_oddeven_config_static_selectorELNS0_4arch9wavefront6targetE0EEEvSF_.uses_flat_scratch, 0
	.set _ZN7rocprim17ROCPRIM_400000_NS6detail17trampoline_kernelINS0_14default_configENS1_38merge_sort_block_merge_config_selectorIbNS0_10empty_typeEEEZZNS1_27merge_sort_block_merge_implIS3_PbPS5_jNS1_19radix_merge_compareILb0ELb1EbNS0_19identity_decomposerEEEEE10hipError_tT0_T1_T2_jT3_P12ihipStream_tbPNSt15iterator_traitsISE_E10value_typeEPNSK_ISF_E10value_typeEPSG_NS1_7vsmem_tEENKUlT_SE_SF_SG_E_clIS8_S8_S9_S9_EESD_ST_SE_SF_SG_EUlST_E1_NS1_11comp_targetILNS1_3genE0ELNS1_11target_archE4294967295ELNS1_3gpuE0ELNS1_3repE0EEENS1_36merge_oddeven_config_static_selectorELNS0_4arch9wavefront6targetE0EEEvSF_.has_dyn_sized_stack, 0
	.set _ZN7rocprim17ROCPRIM_400000_NS6detail17trampoline_kernelINS0_14default_configENS1_38merge_sort_block_merge_config_selectorIbNS0_10empty_typeEEEZZNS1_27merge_sort_block_merge_implIS3_PbPS5_jNS1_19radix_merge_compareILb0ELb1EbNS0_19identity_decomposerEEEEE10hipError_tT0_T1_T2_jT3_P12ihipStream_tbPNSt15iterator_traitsISE_E10value_typeEPNSK_ISF_E10value_typeEPSG_NS1_7vsmem_tEENKUlT_SE_SF_SG_E_clIS8_S8_S9_S9_EESD_ST_SE_SF_SG_EUlST_E1_NS1_11comp_targetILNS1_3genE0ELNS1_11target_archE4294967295ELNS1_3gpuE0ELNS1_3repE0EEENS1_36merge_oddeven_config_static_selectorELNS0_4arch9wavefront6targetE0EEEvSF_.has_recursion, 0
	.set _ZN7rocprim17ROCPRIM_400000_NS6detail17trampoline_kernelINS0_14default_configENS1_38merge_sort_block_merge_config_selectorIbNS0_10empty_typeEEEZZNS1_27merge_sort_block_merge_implIS3_PbPS5_jNS1_19radix_merge_compareILb0ELb1EbNS0_19identity_decomposerEEEEE10hipError_tT0_T1_T2_jT3_P12ihipStream_tbPNSt15iterator_traitsISE_E10value_typeEPNSK_ISF_E10value_typeEPSG_NS1_7vsmem_tEENKUlT_SE_SF_SG_E_clIS8_S8_S9_S9_EESD_ST_SE_SF_SG_EUlST_E1_NS1_11comp_targetILNS1_3genE0ELNS1_11target_archE4294967295ELNS1_3gpuE0ELNS1_3repE0EEENS1_36merge_oddeven_config_static_selectorELNS0_4arch9wavefront6targetE0EEEvSF_.has_indirect_call, 0
	.section	.AMDGPU.csdata,"",@progbits
; Kernel info:
; codeLenInByte = 752
; TotalNumSgprs: 17
; NumVgprs: 10
; ScratchSize: 0
; MemoryBound: 0
; FloatMode: 240
; IeeeMode: 1
; LDSByteSize: 256 bytes/workgroup (compile time only)
; SGPRBlocks: 0
; VGPRBlocks: 0
; NumSGPRsForWavesPerEU: 17
; NumVGPRsForWavesPerEU: 10
; NamedBarCnt: 0
; Occupancy: 16
; WaveLimiterHint : 0
; COMPUTE_PGM_RSRC2:SCRATCH_EN: 0
; COMPUTE_PGM_RSRC2:USER_SGPR: 4
; COMPUTE_PGM_RSRC2:TRAP_HANDLER: 0
; COMPUTE_PGM_RSRC2:TGID_X_EN: 1
; COMPUTE_PGM_RSRC2:TGID_Y_EN: 0
; COMPUTE_PGM_RSRC2:TGID_Z_EN: 0
; COMPUTE_PGM_RSRC2:TIDIG_COMP_CNT: 2
	.section	.text._ZN7rocprim17ROCPRIM_400000_NS6detail17trampoline_kernelINS0_14default_configENS1_38merge_sort_block_merge_config_selectorIbNS0_10empty_typeEEEZZNS1_27merge_sort_block_merge_implIS3_PbPS5_jNS1_19radix_merge_compareILb0ELb1EbNS0_19identity_decomposerEEEEE10hipError_tT0_T1_T2_jT3_P12ihipStream_tbPNSt15iterator_traitsISE_E10value_typeEPNSK_ISF_E10value_typeEPSG_NS1_7vsmem_tEENKUlT_SE_SF_SG_E_clIS8_S8_S9_S9_EESD_ST_SE_SF_SG_EUlST_E1_NS1_11comp_targetILNS1_3genE10ELNS1_11target_archE1201ELNS1_3gpuE5ELNS1_3repE0EEENS1_36merge_oddeven_config_static_selectorELNS0_4arch9wavefront6targetE0EEEvSF_,"axG",@progbits,_ZN7rocprim17ROCPRIM_400000_NS6detail17trampoline_kernelINS0_14default_configENS1_38merge_sort_block_merge_config_selectorIbNS0_10empty_typeEEEZZNS1_27merge_sort_block_merge_implIS3_PbPS5_jNS1_19radix_merge_compareILb0ELb1EbNS0_19identity_decomposerEEEEE10hipError_tT0_T1_T2_jT3_P12ihipStream_tbPNSt15iterator_traitsISE_E10value_typeEPNSK_ISF_E10value_typeEPSG_NS1_7vsmem_tEENKUlT_SE_SF_SG_E_clIS8_S8_S9_S9_EESD_ST_SE_SF_SG_EUlST_E1_NS1_11comp_targetILNS1_3genE10ELNS1_11target_archE1201ELNS1_3gpuE5ELNS1_3repE0EEENS1_36merge_oddeven_config_static_selectorELNS0_4arch9wavefront6targetE0EEEvSF_,comdat
	.protected	_ZN7rocprim17ROCPRIM_400000_NS6detail17trampoline_kernelINS0_14default_configENS1_38merge_sort_block_merge_config_selectorIbNS0_10empty_typeEEEZZNS1_27merge_sort_block_merge_implIS3_PbPS5_jNS1_19radix_merge_compareILb0ELb1EbNS0_19identity_decomposerEEEEE10hipError_tT0_T1_T2_jT3_P12ihipStream_tbPNSt15iterator_traitsISE_E10value_typeEPNSK_ISF_E10value_typeEPSG_NS1_7vsmem_tEENKUlT_SE_SF_SG_E_clIS8_S8_S9_S9_EESD_ST_SE_SF_SG_EUlST_E1_NS1_11comp_targetILNS1_3genE10ELNS1_11target_archE1201ELNS1_3gpuE5ELNS1_3repE0EEENS1_36merge_oddeven_config_static_selectorELNS0_4arch9wavefront6targetE0EEEvSF_ ; -- Begin function _ZN7rocprim17ROCPRIM_400000_NS6detail17trampoline_kernelINS0_14default_configENS1_38merge_sort_block_merge_config_selectorIbNS0_10empty_typeEEEZZNS1_27merge_sort_block_merge_implIS3_PbPS5_jNS1_19radix_merge_compareILb0ELb1EbNS0_19identity_decomposerEEEEE10hipError_tT0_T1_T2_jT3_P12ihipStream_tbPNSt15iterator_traitsISE_E10value_typeEPNSK_ISF_E10value_typeEPSG_NS1_7vsmem_tEENKUlT_SE_SF_SG_E_clIS8_S8_S9_S9_EESD_ST_SE_SF_SG_EUlST_E1_NS1_11comp_targetILNS1_3genE10ELNS1_11target_archE1201ELNS1_3gpuE5ELNS1_3repE0EEENS1_36merge_oddeven_config_static_selectorELNS0_4arch9wavefront6targetE0EEEvSF_
	.globl	_ZN7rocprim17ROCPRIM_400000_NS6detail17trampoline_kernelINS0_14default_configENS1_38merge_sort_block_merge_config_selectorIbNS0_10empty_typeEEEZZNS1_27merge_sort_block_merge_implIS3_PbPS5_jNS1_19radix_merge_compareILb0ELb1EbNS0_19identity_decomposerEEEEE10hipError_tT0_T1_T2_jT3_P12ihipStream_tbPNSt15iterator_traitsISE_E10value_typeEPNSK_ISF_E10value_typeEPSG_NS1_7vsmem_tEENKUlT_SE_SF_SG_E_clIS8_S8_S9_S9_EESD_ST_SE_SF_SG_EUlST_E1_NS1_11comp_targetILNS1_3genE10ELNS1_11target_archE1201ELNS1_3gpuE5ELNS1_3repE0EEENS1_36merge_oddeven_config_static_selectorELNS0_4arch9wavefront6targetE0EEEvSF_
	.p2align	8
	.type	_ZN7rocprim17ROCPRIM_400000_NS6detail17trampoline_kernelINS0_14default_configENS1_38merge_sort_block_merge_config_selectorIbNS0_10empty_typeEEEZZNS1_27merge_sort_block_merge_implIS3_PbPS5_jNS1_19radix_merge_compareILb0ELb1EbNS0_19identity_decomposerEEEEE10hipError_tT0_T1_T2_jT3_P12ihipStream_tbPNSt15iterator_traitsISE_E10value_typeEPNSK_ISF_E10value_typeEPSG_NS1_7vsmem_tEENKUlT_SE_SF_SG_E_clIS8_S8_S9_S9_EESD_ST_SE_SF_SG_EUlST_E1_NS1_11comp_targetILNS1_3genE10ELNS1_11target_archE1201ELNS1_3gpuE5ELNS1_3repE0EEENS1_36merge_oddeven_config_static_selectorELNS0_4arch9wavefront6targetE0EEEvSF_,@function
_ZN7rocprim17ROCPRIM_400000_NS6detail17trampoline_kernelINS0_14default_configENS1_38merge_sort_block_merge_config_selectorIbNS0_10empty_typeEEEZZNS1_27merge_sort_block_merge_implIS3_PbPS5_jNS1_19radix_merge_compareILb0ELb1EbNS0_19identity_decomposerEEEEE10hipError_tT0_T1_T2_jT3_P12ihipStream_tbPNSt15iterator_traitsISE_E10value_typeEPNSK_ISF_E10value_typeEPSG_NS1_7vsmem_tEENKUlT_SE_SF_SG_E_clIS8_S8_S9_S9_EESD_ST_SE_SF_SG_EUlST_E1_NS1_11comp_targetILNS1_3genE10ELNS1_11target_archE1201ELNS1_3gpuE5ELNS1_3repE0EEENS1_36merge_oddeven_config_static_selectorELNS0_4arch9wavefront6targetE0EEEvSF_: ; @_ZN7rocprim17ROCPRIM_400000_NS6detail17trampoline_kernelINS0_14default_configENS1_38merge_sort_block_merge_config_selectorIbNS0_10empty_typeEEEZZNS1_27merge_sort_block_merge_implIS3_PbPS5_jNS1_19radix_merge_compareILb0ELb1EbNS0_19identity_decomposerEEEEE10hipError_tT0_T1_T2_jT3_P12ihipStream_tbPNSt15iterator_traitsISE_E10value_typeEPNSK_ISF_E10value_typeEPSG_NS1_7vsmem_tEENKUlT_SE_SF_SG_E_clIS8_S8_S9_S9_EESD_ST_SE_SF_SG_EUlST_E1_NS1_11comp_targetILNS1_3genE10ELNS1_11target_archE1201ELNS1_3gpuE5ELNS1_3repE0EEENS1_36merge_oddeven_config_static_selectorELNS0_4arch9wavefront6targetE0EEEvSF_
; %bb.0:
	.section	.rodata,"a",@progbits
	.p2align	6, 0x0
	.amdhsa_kernel _ZN7rocprim17ROCPRIM_400000_NS6detail17trampoline_kernelINS0_14default_configENS1_38merge_sort_block_merge_config_selectorIbNS0_10empty_typeEEEZZNS1_27merge_sort_block_merge_implIS3_PbPS5_jNS1_19radix_merge_compareILb0ELb1EbNS0_19identity_decomposerEEEEE10hipError_tT0_T1_T2_jT3_P12ihipStream_tbPNSt15iterator_traitsISE_E10value_typeEPNSK_ISF_E10value_typeEPSG_NS1_7vsmem_tEENKUlT_SE_SF_SG_E_clIS8_S8_S9_S9_EESD_ST_SE_SF_SG_EUlST_E1_NS1_11comp_targetILNS1_3genE10ELNS1_11target_archE1201ELNS1_3gpuE5ELNS1_3repE0EEENS1_36merge_oddeven_config_static_selectorELNS0_4arch9wavefront6targetE0EEEvSF_
		.amdhsa_group_segment_fixed_size 0
		.amdhsa_private_segment_fixed_size 0
		.amdhsa_kernarg_size 48
		.amdhsa_user_sgpr_count 2
		.amdhsa_user_sgpr_dispatch_ptr 0
		.amdhsa_user_sgpr_queue_ptr 0
		.amdhsa_user_sgpr_kernarg_segment_ptr 1
		.amdhsa_user_sgpr_dispatch_id 0
		.amdhsa_user_sgpr_kernarg_preload_length 0
		.amdhsa_user_sgpr_kernarg_preload_offset 0
		.amdhsa_user_sgpr_private_segment_size 0
		.amdhsa_wavefront_size32 1
		.amdhsa_uses_dynamic_stack 0
		.amdhsa_enable_private_segment 0
		.amdhsa_system_sgpr_workgroup_id_x 1
		.amdhsa_system_sgpr_workgroup_id_y 0
		.amdhsa_system_sgpr_workgroup_id_z 0
		.amdhsa_system_sgpr_workgroup_info 0
		.amdhsa_system_vgpr_workitem_id 0
		.amdhsa_next_free_vgpr 1
		.amdhsa_next_free_sgpr 1
		.amdhsa_named_barrier_count 0
		.amdhsa_reserve_vcc 0
		.amdhsa_float_round_mode_32 0
		.amdhsa_float_round_mode_16_64 0
		.amdhsa_float_denorm_mode_32 3
		.amdhsa_float_denorm_mode_16_64 3
		.amdhsa_fp16_overflow 0
		.amdhsa_memory_ordered 1
		.amdhsa_forward_progress 1
		.amdhsa_inst_pref_size 0
		.amdhsa_round_robin_scheduling 0
		.amdhsa_exception_fp_ieee_invalid_op 0
		.amdhsa_exception_fp_denorm_src 0
		.amdhsa_exception_fp_ieee_div_zero 0
		.amdhsa_exception_fp_ieee_overflow 0
		.amdhsa_exception_fp_ieee_underflow 0
		.amdhsa_exception_fp_ieee_inexact 0
		.amdhsa_exception_int_div_zero 0
	.end_amdhsa_kernel
	.section	.text._ZN7rocprim17ROCPRIM_400000_NS6detail17trampoline_kernelINS0_14default_configENS1_38merge_sort_block_merge_config_selectorIbNS0_10empty_typeEEEZZNS1_27merge_sort_block_merge_implIS3_PbPS5_jNS1_19radix_merge_compareILb0ELb1EbNS0_19identity_decomposerEEEEE10hipError_tT0_T1_T2_jT3_P12ihipStream_tbPNSt15iterator_traitsISE_E10value_typeEPNSK_ISF_E10value_typeEPSG_NS1_7vsmem_tEENKUlT_SE_SF_SG_E_clIS8_S8_S9_S9_EESD_ST_SE_SF_SG_EUlST_E1_NS1_11comp_targetILNS1_3genE10ELNS1_11target_archE1201ELNS1_3gpuE5ELNS1_3repE0EEENS1_36merge_oddeven_config_static_selectorELNS0_4arch9wavefront6targetE0EEEvSF_,"axG",@progbits,_ZN7rocprim17ROCPRIM_400000_NS6detail17trampoline_kernelINS0_14default_configENS1_38merge_sort_block_merge_config_selectorIbNS0_10empty_typeEEEZZNS1_27merge_sort_block_merge_implIS3_PbPS5_jNS1_19radix_merge_compareILb0ELb1EbNS0_19identity_decomposerEEEEE10hipError_tT0_T1_T2_jT3_P12ihipStream_tbPNSt15iterator_traitsISE_E10value_typeEPNSK_ISF_E10value_typeEPSG_NS1_7vsmem_tEENKUlT_SE_SF_SG_E_clIS8_S8_S9_S9_EESD_ST_SE_SF_SG_EUlST_E1_NS1_11comp_targetILNS1_3genE10ELNS1_11target_archE1201ELNS1_3gpuE5ELNS1_3repE0EEENS1_36merge_oddeven_config_static_selectorELNS0_4arch9wavefront6targetE0EEEvSF_,comdat
.Lfunc_end1827:
	.size	_ZN7rocprim17ROCPRIM_400000_NS6detail17trampoline_kernelINS0_14default_configENS1_38merge_sort_block_merge_config_selectorIbNS0_10empty_typeEEEZZNS1_27merge_sort_block_merge_implIS3_PbPS5_jNS1_19radix_merge_compareILb0ELb1EbNS0_19identity_decomposerEEEEE10hipError_tT0_T1_T2_jT3_P12ihipStream_tbPNSt15iterator_traitsISE_E10value_typeEPNSK_ISF_E10value_typeEPSG_NS1_7vsmem_tEENKUlT_SE_SF_SG_E_clIS8_S8_S9_S9_EESD_ST_SE_SF_SG_EUlST_E1_NS1_11comp_targetILNS1_3genE10ELNS1_11target_archE1201ELNS1_3gpuE5ELNS1_3repE0EEENS1_36merge_oddeven_config_static_selectorELNS0_4arch9wavefront6targetE0EEEvSF_, .Lfunc_end1827-_ZN7rocprim17ROCPRIM_400000_NS6detail17trampoline_kernelINS0_14default_configENS1_38merge_sort_block_merge_config_selectorIbNS0_10empty_typeEEEZZNS1_27merge_sort_block_merge_implIS3_PbPS5_jNS1_19radix_merge_compareILb0ELb1EbNS0_19identity_decomposerEEEEE10hipError_tT0_T1_T2_jT3_P12ihipStream_tbPNSt15iterator_traitsISE_E10value_typeEPNSK_ISF_E10value_typeEPSG_NS1_7vsmem_tEENKUlT_SE_SF_SG_E_clIS8_S8_S9_S9_EESD_ST_SE_SF_SG_EUlST_E1_NS1_11comp_targetILNS1_3genE10ELNS1_11target_archE1201ELNS1_3gpuE5ELNS1_3repE0EEENS1_36merge_oddeven_config_static_selectorELNS0_4arch9wavefront6targetE0EEEvSF_
                                        ; -- End function
	.set _ZN7rocprim17ROCPRIM_400000_NS6detail17trampoline_kernelINS0_14default_configENS1_38merge_sort_block_merge_config_selectorIbNS0_10empty_typeEEEZZNS1_27merge_sort_block_merge_implIS3_PbPS5_jNS1_19radix_merge_compareILb0ELb1EbNS0_19identity_decomposerEEEEE10hipError_tT0_T1_T2_jT3_P12ihipStream_tbPNSt15iterator_traitsISE_E10value_typeEPNSK_ISF_E10value_typeEPSG_NS1_7vsmem_tEENKUlT_SE_SF_SG_E_clIS8_S8_S9_S9_EESD_ST_SE_SF_SG_EUlST_E1_NS1_11comp_targetILNS1_3genE10ELNS1_11target_archE1201ELNS1_3gpuE5ELNS1_3repE0EEENS1_36merge_oddeven_config_static_selectorELNS0_4arch9wavefront6targetE0EEEvSF_.num_vgpr, 0
	.set _ZN7rocprim17ROCPRIM_400000_NS6detail17trampoline_kernelINS0_14default_configENS1_38merge_sort_block_merge_config_selectorIbNS0_10empty_typeEEEZZNS1_27merge_sort_block_merge_implIS3_PbPS5_jNS1_19radix_merge_compareILb0ELb1EbNS0_19identity_decomposerEEEEE10hipError_tT0_T1_T2_jT3_P12ihipStream_tbPNSt15iterator_traitsISE_E10value_typeEPNSK_ISF_E10value_typeEPSG_NS1_7vsmem_tEENKUlT_SE_SF_SG_E_clIS8_S8_S9_S9_EESD_ST_SE_SF_SG_EUlST_E1_NS1_11comp_targetILNS1_3genE10ELNS1_11target_archE1201ELNS1_3gpuE5ELNS1_3repE0EEENS1_36merge_oddeven_config_static_selectorELNS0_4arch9wavefront6targetE0EEEvSF_.num_agpr, 0
	.set _ZN7rocprim17ROCPRIM_400000_NS6detail17trampoline_kernelINS0_14default_configENS1_38merge_sort_block_merge_config_selectorIbNS0_10empty_typeEEEZZNS1_27merge_sort_block_merge_implIS3_PbPS5_jNS1_19radix_merge_compareILb0ELb1EbNS0_19identity_decomposerEEEEE10hipError_tT0_T1_T2_jT3_P12ihipStream_tbPNSt15iterator_traitsISE_E10value_typeEPNSK_ISF_E10value_typeEPSG_NS1_7vsmem_tEENKUlT_SE_SF_SG_E_clIS8_S8_S9_S9_EESD_ST_SE_SF_SG_EUlST_E1_NS1_11comp_targetILNS1_3genE10ELNS1_11target_archE1201ELNS1_3gpuE5ELNS1_3repE0EEENS1_36merge_oddeven_config_static_selectorELNS0_4arch9wavefront6targetE0EEEvSF_.numbered_sgpr, 0
	.set _ZN7rocprim17ROCPRIM_400000_NS6detail17trampoline_kernelINS0_14default_configENS1_38merge_sort_block_merge_config_selectorIbNS0_10empty_typeEEEZZNS1_27merge_sort_block_merge_implIS3_PbPS5_jNS1_19radix_merge_compareILb0ELb1EbNS0_19identity_decomposerEEEEE10hipError_tT0_T1_T2_jT3_P12ihipStream_tbPNSt15iterator_traitsISE_E10value_typeEPNSK_ISF_E10value_typeEPSG_NS1_7vsmem_tEENKUlT_SE_SF_SG_E_clIS8_S8_S9_S9_EESD_ST_SE_SF_SG_EUlST_E1_NS1_11comp_targetILNS1_3genE10ELNS1_11target_archE1201ELNS1_3gpuE5ELNS1_3repE0EEENS1_36merge_oddeven_config_static_selectorELNS0_4arch9wavefront6targetE0EEEvSF_.num_named_barrier, 0
	.set _ZN7rocprim17ROCPRIM_400000_NS6detail17trampoline_kernelINS0_14default_configENS1_38merge_sort_block_merge_config_selectorIbNS0_10empty_typeEEEZZNS1_27merge_sort_block_merge_implIS3_PbPS5_jNS1_19radix_merge_compareILb0ELb1EbNS0_19identity_decomposerEEEEE10hipError_tT0_T1_T2_jT3_P12ihipStream_tbPNSt15iterator_traitsISE_E10value_typeEPNSK_ISF_E10value_typeEPSG_NS1_7vsmem_tEENKUlT_SE_SF_SG_E_clIS8_S8_S9_S9_EESD_ST_SE_SF_SG_EUlST_E1_NS1_11comp_targetILNS1_3genE10ELNS1_11target_archE1201ELNS1_3gpuE5ELNS1_3repE0EEENS1_36merge_oddeven_config_static_selectorELNS0_4arch9wavefront6targetE0EEEvSF_.private_seg_size, 0
	.set _ZN7rocprim17ROCPRIM_400000_NS6detail17trampoline_kernelINS0_14default_configENS1_38merge_sort_block_merge_config_selectorIbNS0_10empty_typeEEEZZNS1_27merge_sort_block_merge_implIS3_PbPS5_jNS1_19radix_merge_compareILb0ELb1EbNS0_19identity_decomposerEEEEE10hipError_tT0_T1_T2_jT3_P12ihipStream_tbPNSt15iterator_traitsISE_E10value_typeEPNSK_ISF_E10value_typeEPSG_NS1_7vsmem_tEENKUlT_SE_SF_SG_E_clIS8_S8_S9_S9_EESD_ST_SE_SF_SG_EUlST_E1_NS1_11comp_targetILNS1_3genE10ELNS1_11target_archE1201ELNS1_3gpuE5ELNS1_3repE0EEENS1_36merge_oddeven_config_static_selectorELNS0_4arch9wavefront6targetE0EEEvSF_.uses_vcc, 0
	.set _ZN7rocprim17ROCPRIM_400000_NS6detail17trampoline_kernelINS0_14default_configENS1_38merge_sort_block_merge_config_selectorIbNS0_10empty_typeEEEZZNS1_27merge_sort_block_merge_implIS3_PbPS5_jNS1_19radix_merge_compareILb0ELb1EbNS0_19identity_decomposerEEEEE10hipError_tT0_T1_T2_jT3_P12ihipStream_tbPNSt15iterator_traitsISE_E10value_typeEPNSK_ISF_E10value_typeEPSG_NS1_7vsmem_tEENKUlT_SE_SF_SG_E_clIS8_S8_S9_S9_EESD_ST_SE_SF_SG_EUlST_E1_NS1_11comp_targetILNS1_3genE10ELNS1_11target_archE1201ELNS1_3gpuE5ELNS1_3repE0EEENS1_36merge_oddeven_config_static_selectorELNS0_4arch9wavefront6targetE0EEEvSF_.uses_flat_scratch, 0
	.set _ZN7rocprim17ROCPRIM_400000_NS6detail17trampoline_kernelINS0_14default_configENS1_38merge_sort_block_merge_config_selectorIbNS0_10empty_typeEEEZZNS1_27merge_sort_block_merge_implIS3_PbPS5_jNS1_19radix_merge_compareILb0ELb1EbNS0_19identity_decomposerEEEEE10hipError_tT0_T1_T2_jT3_P12ihipStream_tbPNSt15iterator_traitsISE_E10value_typeEPNSK_ISF_E10value_typeEPSG_NS1_7vsmem_tEENKUlT_SE_SF_SG_E_clIS8_S8_S9_S9_EESD_ST_SE_SF_SG_EUlST_E1_NS1_11comp_targetILNS1_3genE10ELNS1_11target_archE1201ELNS1_3gpuE5ELNS1_3repE0EEENS1_36merge_oddeven_config_static_selectorELNS0_4arch9wavefront6targetE0EEEvSF_.has_dyn_sized_stack, 0
	.set _ZN7rocprim17ROCPRIM_400000_NS6detail17trampoline_kernelINS0_14default_configENS1_38merge_sort_block_merge_config_selectorIbNS0_10empty_typeEEEZZNS1_27merge_sort_block_merge_implIS3_PbPS5_jNS1_19radix_merge_compareILb0ELb1EbNS0_19identity_decomposerEEEEE10hipError_tT0_T1_T2_jT3_P12ihipStream_tbPNSt15iterator_traitsISE_E10value_typeEPNSK_ISF_E10value_typeEPSG_NS1_7vsmem_tEENKUlT_SE_SF_SG_E_clIS8_S8_S9_S9_EESD_ST_SE_SF_SG_EUlST_E1_NS1_11comp_targetILNS1_3genE10ELNS1_11target_archE1201ELNS1_3gpuE5ELNS1_3repE0EEENS1_36merge_oddeven_config_static_selectorELNS0_4arch9wavefront6targetE0EEEvSF_.has_recursion, 0
	.set _ZN7rocprim17ROCPRIM_400000_NS6detail17trampoline_kernelINS0_14default_configENS1_38merge_sort_block_merge_config_selectorIbNS0_10empty_typeEEEZZNS1_27merge_sort_block_merge_implIS3_PbPS5_jNS1_19radix_merge_compareILb0ELb1EbNS0_19identity_decomposerEEEEE10hipError_tT0_T1_T2_jT3_P12ihipStream_tbPNSt15iterator_traitsISE_E10value_typeEPNSK_ISF_E10value_typeEPSG_NS1_7vsmem_tEENKUlT_SE_SF_SG_E_clIS8_S8_S9_S9_EESD_ST_SE_SF_SG_EUlST_E1_NS1_11comp_targetILNS1_3genE10ELNS1_11target_archE1201ELNS1_3gpuE5ELNS1_3repE0EEENS1_36merge_oddeven_config_static_selectorELNS0_4arch9wavefront6targetE0EEEvSF_.has_indirect_call, 0
	.section	.AMDGPU.csdata,"",@progbits
; Kernel info:
; codeLenInByte = 0
; TotalNumSgprs: 0
; NumVgprs: 0
; ScratchSize: 0
; MemoryBound: 0
; FloatMode: 240
; IeeeMode: 1
; LDSByteSize: 0 bytes/workgroup (compile time only)
; SGPRBlocks: 0
; VGPRBlocks: 0
; NumSGPRsForWavesPerEU: 1
; NumVGPRsForWavesPerEU: 1
; NamedBarCnt: 0
; Occupancy: 16
; WaveLimiterHint : 0
; COMPUTE_PGM_RSRC2:SCRATCH_EN: 0
; COMPUTE_PGM_RSRC2:USER_SGPR: 2
; COMPUTE_PGM_RSRC2:TRAP_HANDLER: 0
; COMPUTE_PGM_RSRC2:TGID_X_EN: 1
; COMPUTE_PGM_RSRC2:TGID_Y_EN: 0
; COMPUTE_PGM_RSRC2:TGID_Z_EN: 0
; COMPUTE_PGM_RSRC2:TIDIG_COMP_CNT: 0
	.section	.text._ZN7rocprim17ROCPRIM_400000_NS6detail17trampoline_kernelINS0_14default_configENS1_38merge_sort_block_merge_config_selectorIbNS0_10empty_typeEEEZZNS1_27merge_sort_block_merge_implIS3_PbPS5_jNS1_19radix_merge_compareILb0ELb1EbNS0_19identity_decomposerEEEEE10hipError_tT0_T1_T2_jT3_P12ihipStream_tbPNSt15iterator_traitsISE_E10value_typeEPNSK_ISF_E10value_typeEPSG_NS1_7vsmem_tEENKUlT_SE_SF_SG_E_clIS8_S8_S9_S9_EESD_ST_SE_SF_SG_EUlST_E1_NS1_11comp_targetILNS1_3genE5ELNS1_11target_archE942ELNS1_3gpuE9ELNS1_3repE0EEENS1_36merge_oddeven_config_static_selectorELNS0_4arch9wavefront6targetE0EEEvSF_,"axG",@progbits,_ZN7rocprim17ROCPRIM_400000_NS6detail17trampoline_kernelINS0_14default_configENS1_38merge_sort_block_merge_config_selectorIbNS0_10empty_typeEEEZZNS1_27merge_sort_block_merge_implIS3_PbPS5_jNS1_19radix_merge_compareILb0ELb1EbNS0_19identity_decomposerEEEEE10hipError_tT0_T1_T2_jT3_P12ihipStream_tbPNSt15iterator_traitsISE_E10value_typeEPNSK_ISF_E10value_typeEPSG_NS1_7vsmem_tEENKUlT_SE_SF_SG_E_clIS8_S8_S9_S9_EESD_ST_SE_SF_SG_EUlST_E1_NS1_11comp_targetILNS1_3genE5ELNS1_11target_archE942ELNS1_3gpuE9ELNS1_3repE0EEENS1_36merge_oddeven_config_static_selectorELNS0_4arch9wavefront6targetE0EEEvSF_,comdat
	.protected	_ZN7rocprim17ROCPRIM_400000_NS6detail17trampoline_kernelINS0_14default_configENS1_38merge_sort_block_merge_config_selectorIbNS0_10empty_typeEEEZZNS1_27merge_sort_block_merge_implIS3_PbPS5_jNS1_19radix_merge_compareILb0ELb1EbNS0_19identity_decomposerEEEEE10hipError_tT0_T1_T2_jT3_P12ihipStream_tbPNSt15iterator_traitsISE_E10value_typeEPNSK_ISF_E10value_typeEPSG_NS1_7vsmem_tEENKUlT_SE_SF_SG_E_clIS8_S8_S9_S9_EESD_ST_SE_SF_SG_EUlST_E1_NS1_11comp_targetILNS1_3genE5ELNS1_11target_archE942ELNS1_3gpuE9ELNS1_3repE0EEENS1_36merge_oddeven_config_static_selectorELNS0_4arch9wavefront6targetE0EEEvSF_ ; -- Begin function _ZN7rocprim17ROCPRIM_400000_NS6detail17trampoline_kernelINS0_14default_configENS1_38merge_sort_block_merge_config_selectorIbNS0_10empty_typeEEEZZNS1_27merge_sort_block_merge_implIS3_PbPS5_jNS1_19radix_merge_compareILb0ELb1EbNS0_19identity_decomposerEEEEE10hipError_tT0_T1_T2_jT3_P12ihipStream_tbPNSt15iterator_traitsISE_E10value_typeEPNSK_ISF_E10value_typeEPSG_NS1_7vsmem_tEENKUlT_SE_SF_SG_E_clIS8_S8_S9_S9_EESD_ST_SE_SF_SG_EUlST_E1_NS1_11comp_targetILNS1_3genE5ELNS1_11target_archE942ELNS1_3gpuE9ELNS1_3repE0EEENS1_36merge_oddeven_config_static_selectorELNS0_4arch9wavefront6targetE0EEEvSF_
	.globl	_ZN7rocprim17ROCPRIM_400000_NS6detail17trampoline_kernelINS0_14default_configENS1_38merge_sort_block_merge_config_selectorIbNS0_10empty_typeEEEZZNS1_27merge_sort_block_merge_implIS3_PbPS5_jNS1_19radix_merge_compareILb0ELb1EbNS0_19identity_decomposerEEEEE10hipError_tT0_T1_T2_jT3_P12ihipStream_tbPNSt15iterator_traitsISE_E10value_typeEPNSK_ISF_E10value_typeEPSG_NS1_7vsmem_tEENKUlT_SE_SF_SG_E_clIS8_S8_S9_S9_EESD_ST_SE_SF_SG_EUlST_E1_NS1_11comp_targetILNS1_3genE5ELNS1_11target_archE942ELNS1_3gpuE9ELNS1_3repE0EEENS1_36merge_oddeven_config_static_selectorELNS0_4arch9wavefront6targetE0EEEvSF_
	.p2align	8
	.type	_ZN7rocprim17ROCPRIM_400000_NS6detail17trampoline_kernelINS0_14default_configENS1_38merge_sort_block_merge_config_selectorIbNS0_10empty_typeEEEZZNS1_27merge_sort_block_merge_implIS3_PbPS5_jNS1_19radix_merge_compareILb0ELb1EbNS0_19identity_decomposerEEEEE10hipError_tT0_T1_T2_jT3_P12ihipStream_tbPNSt15iterator_traitsISE_E10value_typeEPNSK_ISF_E10value_typeEPSG_NS1_7vsmem_tEENKUlT_SE_SF_SG_E_clIS8_S8_S9_S9_EESD_ST_SE_SF_SG_EUlST_E1_NS1_11comp_targetILNS1_3genE5ELNS1_11target_archE942ELNS1_3gpuE9ELNS1_3repE0EEENS1_36merge_oddeven_config_static_selectorELNS0_4arch9wavefront6targetE0EEEvSF_,@function
_ZN7rocprim17ROCPRIM_400000_NS6detail17trampoline_kernelINS0_14default_configENS1_38merge_sort_block_merge_config_selectorIbNS0_10empty_typeEEEZZNS1_27merge_sort_block_merge_implIS3_PbPS5_jNS1_19radix_merge_compareILb0ELb1EbNS0_19identity_decomposerEEEEE10hipError_tT0_T1_T2_jT3_P12ihipStream_tbPNSt15iterator_traitsISE_E10value_typeEPNSK_ISF_E10value_typeEPSG_NS1_7vsmem_tEENKUlT_SE_SF_SG_E_clIS8_S8_S9_S9_EESD_ST_SE_SF_SG_EUlST_E1_NS1_11comp_targetILNS1_3genE5ELNS1_11target_archE942ELNS1_3gpuE9ELNS1_3repE0EEENS1_36merge_oddeven_config_static_selectorELNS0_4arch9wavefront6targetE0EEEvSF_: ; @_ZN7rocprim17ROCPRIM_400000_NS6detail17trampoline_kernelINS0_14default_configENS1_38merge_sort_block_merge_config_selectorIbNS0_10empty_typeEEEZZNS1_27merge_sort_block_merge_implIS3_PbPS5_jNS1_19radix_merge_compareILb0ELb1EbNS0_19identity_decomposerEEEEE10hipError_tT0_T1_T2_jT3_P12ihipStream_tbPNSt15iterator_traitsISE_E10value_typeEPNSK_ISF_E10value_typeEPSG_NS1_7vsmem_tEENKUlT_SE_SF_SG_E_clIS8_S8_S9_S9_EESD_ST_SE_SF_SG_EUlST_E1_NS1_11comp_targetILNS1_3genE5ELNS1_11target_archE942ELNS1_3gpuE9ELNS1_3repE0EEENS1_36merge_oddeven_config_static_selectorELNS0_4arch9wavefront6targetE0EEEvSF_
; %bb.0:
	.section	.rodata,"a",@progbits
	.p2align	6, 0x0
	.amdhsa_kernel _ZN7rocprim17ROCPRIM_400000_NS6detail17trampoline_kernelINS0_14default_configENS1_38merge_sort_block_merge_config_selectorIbNS0_10empty_typeEEEZZNS1_27merge_sort_block_merge_implIS3_PbPS5_jNS1_19radix_merge_compareILb0ELb1EbNS0_19identity_decomposerEEEEE10hipError_tT0_T1_T2_jT3_P12ihipStream_tbPNSt15iterator_traitsISE_E10value_typeEPNSK_ISF_E10value_typeEPSG_NS1_7vsmem_tEENKUlT_SE_SF_SG_E_clIS8_S8_S9_S9_EESD_ST_SE_SF_SG_EUlST_E1_NS1_11comp_targetILNS1_3genE5ELNS1_11target_archE942ELNS1_3gpuE9ELNS1_3repE0EEENS1_36merge_oddeven_config_static_selectorELNS0_4arch9wavefront6targetE0EEEvSF_
		.amdhsa_group_segment_fixed_size 0
		.amdhsa_private_segment_fixed_size 0
		.amdhsa_kernarg_size 48
		.amdhsa_user_sgpr_count 2
		.amdhsa_user_sgpr_dispatch_ptr 0
		.amdhsa_user_sgpr_queue_ptr 0
		.amdhsa_user_sgpr_kernarg_segment_ptr 1
		.amdhsa_user_sgpr_dispatch_id 0
		.amdhsa_user_sgpr_kernarg_preload_length 0
		.amdhsa_user_sgpr_kernarg_preload_offset 0
		.amdhsa_user_sgpr_private_segment_size 0
		.amdhsa_wavefront_size32 1
		.amdhsa_uses_dynamic_stack 0
		.amdhsa_enable_private_segment 0
		.amdhsa_system_sgpr_workgroup_id_x 1
		.amdhsa_system_sgpr_workgroup_id_y 0
		.amdhsa_system_sgpr_workgroup_id_z 0
		.amdhsa_system_sgpr_workgroup_info 0
		.amdhsa_system_vgpr_workitem_id 0
		.amdhsa_next_free_vgpr 1
		.amdhsa_next_free_sgpr 1
		.amdhsa_named_barrier_count 0
		.amdhsa_reserve_vcc 0
		.amdhsa_float_round_mode_32 0
		.amdhsa_float_round_mode_16_64 0
		.amdhsa_float_denorm_mode_32 3
		.amdhsa_float_denorm_mode_16_64 3
		.amdhsa_fp16_overflow 0
		.amdhsa_memory_ordered 1
		.amdhsa_forward_progress 1
		.amdhsa_inst_pref_size 0
		.amdhsa_round_robin_scheduling 0
		.amdhsa_exception_fp_ieee_invalid_op 0
		.amdhsa_exception_fp_denorm_src 0
		.amdhsa_exception_fp_ieee_div_zero 0
		.amdhsa_exception_fp_ieee_overflow 0
		.amdhsa_exception_fp_ieee_underflow 0
		.amdhsa_exception_fp_ieee_inexact 0
		.amdhsa_exception_int_div_zero 0
	.end_amdhsa_kernel
	.section	.text._ZN7rocprim17ROCPRIM_400000_NS6detail17trampoline_kernelINS0_14default_configENS1_38merge_sort_block_merge_config_selectorIbNS0_10empty_typeEEEZZNS1_27merge_sort_block_merge_implIS3_PbPS5_jNS1_19radix_merge_compareILb0ELb1EbNS0_19identity_decomposerEEEEE10hipError_tT0_T1_T2_jT3_P12ihipStream_tbPNSt15iterator_traitsISE_E10value_typeEPNSK_ISF_E10value_typeEPSG_NS1_7vsmem_tEENKUlT_SE_SF_SG_E_clIS8_S8_S9_S9_EESD_ST_SE_SF_SG_EUlST_E1_NS1_11comp_targetILNS1_3genE5ELNS1_11target_archE942ELNS1_3gpuE9ELNS1_3repE0EEENS1_36merge_oddeven_config_static_selectorELNS0_4arch9wavefront6targetE0EEEvSF_,"axG",@progbits,_ZN7rocprim17ROCPRIM_400000_NS6detail17trampoline_kernelINS0_14default_configENS1_38merge_sort_block_merge_config_selectorIbNS0_10empty_typeEEEZZNS1_27merge_sort_block_merge_implIS3_PbPS5_jNS1_19radix_merge_compareILb0ELb1EbNS0_19identity_decomposerEEEEE10hipError_tT0_T1_T2_jT3_P12ihipStream_tbPNSt15iterator_traitsISE_E10value_typeEPNSK_ISF_E10value_typeEPSG_NS1_7vsmem_tEENKUlT_SE_SF_SG_E_clIS8_S8_S9_S9_EESD_ST_SE_SF_SG_EUlST_E1_NS1_11comp_targetILNS1_3genE5ELNS1_11target_archE942ELNS1_3gpuE9ELNS1_3repE0EEENS1_36merge_oddeven_config_static_selectorELNS0_4arch9wavefront6targetE0EEEvSF_,comdat
.Lfunc_end1828:
	.size	_ZN7rocprim17ROCPRIM_400000_NS6detail17trampoline_kernelINS0_14default_configENS1_38merge_sort_block_merge_config_selectorIbNS0_10empty_typeEEEZZNS1_27merge_sort_block_merge_implIS3_PbPS5_jNS1_19radix_merge_compareILb0ELb1EbNS0_19identity_decomposerEEEEE10hipError_tT0_T1_T2_jT3_P12ihipStream_tbPNSt15iterator_traitsISE_E10value_typeEPNSK_ISF_E10value_typeEPSG_NS1_7vsmem_tEENKUlT_SE_SF_SG_E_clIS8_S8_S9_S9_EESD_ST_SE_SF_SG_EUlST_E1_NS1_11comp_targetILNS1_3genE5ELNS1_11target_archE942ELNS1_3gpuE9ELNS1_3repE0EEENS1_36merge_oddeven_config_static_selectorELNS0_4arch9wavefront6targetE0EEEvSF_, .Lfunc_end1828-_ZN7rocprim17ROCPRIM_400000_NS6detail17trampoline_kernelINS0_14default_configENS1_38merge_sort_block_merge_config_selectorIbNS0_10empty_typeEEEZZNS1_27merge_sort_block_merge_implIS3_PbPS5_jNS1_19radix_merge_compareILb0ELb1EbNS0_19identity_decomposerEEEEE10hipError_tT0_T1_T2_jT3_P12ihipStream_tbPNSt15iterator_traitsISE_E10value_typeEPNSK_ISF_E10value_typeEPSG_NS1_7vsmem_tEENKUlT_SE_SF_SG_E_clIS8_S8_S9_S9_EESD_ST_SE_SF_SG_EUlST_E1_NS1_11comp_targetILNS1_3genE5ELNS1_11target_archE942ELNS1_3gpuE9ELNS1_3repE0EEENS1_36merge_oddeven_config_static_selectorELNS0_4arch9wavefront6targetE0EEEvSF_
                                        ; -- End function
	.set _ZN7rocprim17ROCPRIM_400000_NS6detail17trampoline_kernelINS0_14default_configENS1_38merge_sort_block_merge_config_selectorIbNS0_10empty_typeEEEZZNS1_27merge_sort_block_merge_implIS3_PbPS5_jNS1_19radix_merge_compareILb0ELb1EbNS0_19identity_decomposerEEEEE10hipError_tT0_T1_T2_jT3_P12ihipStream_tbPNSt15iterator_traitsISE_E10value_typeEPNSK_ISF_E10value_typeEPSG_NS1_7vsmem_tEENKUlT_SE_SF_SG_E_clIS8_S8_S9_S9_EESD_ST_SE_SF_SG_EUlST_E1_NS1_11comp_targetILNS1_3genE5ELNS1_11target_archE942ELNS1_3gpuE9ELNS1_3repE0EEENS1_36merge_oddeven_config_static_selectorELNS0_4arch9wavefront6targetE0EEEvSF_.num_vgpr, 0
	.set _ZN7rocprim17ROCPRIM_400000_NS6detail17trampoline_kernelINS0_14default_configENS1_38merge_sort_block_merge_config_selectorIbNS0_10empty_typeEEEZZNS1_27merge_sort_block_merge_implIS3_PbPS5_jNS1_19radix_merge_compareILb0ELb1EbNS0_19identity_decomposerEEEEE10hipError_tT0_T1_T2_jT3_P12ihipStream_tbPNSt15iterator_traitsISE_E10value_typeEPNSK_ISF_E10value_typeEPSG_NS1_7vsmem_tEENKUlT_SE_SF_SG_E_clIS8_S8_S9_S9_EESD_ST_SE_SF_SG_EUlST_E1_NS1_11comp_targetILNS1_3genE5ELNS1_11target_archE942ELNS1_3gpuE9ELNS1_3repE0EEENS1_36merge_oddeven_config_static_selectorELNS0_4arch9wavefront6targetE0EEEvSF_.num_agpr, 0
	.set _ZN7rocprim17ROCPRIM_400000_NS6detail17trampoline_kernelINS0_14default_configENS1_38merge_sort_block_merge_config_selectorIbNS0_10empty_typeEEEZZNS1_27merge_sort_block_merge_implIS3_PbPS5_jNS1_19radix_merge_compareILb0ELb1EbNS0_19identity_decomposerEEEEE10hipError_tT0_T1_T2_jT3_P12ihipStream_tbPNSt15iterator_traitsISE_E10value_typeEPNSK_ISF_E10value_typeEPSG_NS1_7vsmem_tEENKUlT_SE_SF_SG_E_clIS8_S8_S9_S9_EESD_ST_SE_SF_SG_EUlST_E1_NS1_11comp_targetILNS1_3genE5ELNS1_11target_archE942ELNS1_3gpuE9ELNS1_3repE0EEENS1_36merge_oddeven_config_static_selectorELNS0_4arch9wavefront6targetE0EEEvSF_.numbered_sgpr, 0
	.set _ZN7rocprim17ROCPRIM_400000_NS6detail17trampoline_kernelINS0_14default_configENS1_38merge_sort_block_merge_config_selectorIbNS0_10empty_typeEEEZZNS1_27merge_sort_block_merge_implIS3_PbPS5_jNS1_19radix_merge_compareILb0ELb1EbNS0_19identity_decomposerEEEEE10hipError_tT0_T1_T2_jT3_P12ihipStream_tbPNSt15iterator_traitsISE_E10value_typeEPNSK_ISF_E10value_typeEPSG_NS1_7vsmem_tEENKUlT_SE_SF_SG_E_clIS8_S8_S9_S9_EESD_ST_SE_SF_SG_EUlST_E1_NS1_11comp_targetILNS1_3genE5ELNS1_11target_archE942ELNS1_3gpuE9ELNS1_3repE0EEENS1_36merge_oddeven_config_static_selectorELNS0_4arch9wavefront6targetE0EEEvSF_.num_named_barrier, 0
	.set _ZN7rocprim17ROCPRIM_400000_NS6detail17trampoline_kernelINS0_14default_configENS1_38merge_sort_block_merge_config_selectorIbNS0_10empty_typeEEEZZNS1_27merge_sort_block_merge_implIS3_PbPS5_jNS1_19radix_merge_compareILb0ELb1EbNS0_19identity_decomposerEEEEE10hipError_tT0_T1_T2_jT3_P12ihipStream_tbPNSt15iterator_traitsISE_E10value_typeEPNSK_ISF_E10value_typeEPSG_NS1_7vsmem_tEENKUlT_SE_SF_SG_E_clIS8_S8_S9_S9_EESD_ST_SE_SF_SG_EUlST_E1_NS1_11comp_targetILNS1_3genE5ELNS1_11target_archE942ELNS1_3gpuE9ELNS1_3repE0EEENS1_36merge_oddeven_config_static_selectorELNS0_4arch9wavefront6targetE0EEEvSF_.private_seg_size, 0
	.set _ZN7rocprim17ROCPRIM_400000_NS6detail17trampoline_kernelINS0_14default_configENS1_38merge_sort_block_merge_config_selectorIbNS0_10empty_typeEEEZZNS1_27merge_sort_block_merge_implIS3_PbPS5_jNS1_19radix_merge_compareILb0ELb1EbNS0_19identity_decomposerEEEEE10hipError_tT0_T1_T2_jT3_P12ihipStream_tbPNSt15iterator_traitsISE_E10value_typeEPNSK_ISF_E10value_typeEPSG_NS1_7vsmem_tEENKUlT_SE_SF_SG_E_clIS8_S8_S9_S9_EESD_ST_SE_SF_SG_EUlST_E1_NS1_11comp_targetILNS1_3genE5ELNS1_11target_archE942ELNS1_3gpuE9ELNS1_3repE0EEENS1_36merge_oddeven_config_static_selectorELNS0_4arch9wavefront6targetE0EEEvSF_.uses_vcc, 0
	.set _ZN7rocprim17ROCPRIM_400000_NS6detail17trampoline_kernelINS0_14default_configENS1_38merge_sort_block_merge_config_selectorIbNS0_10empty_typeEEEZZNS1_27merge_sort_block_merge_implIS3_PbPS5_jNS1_19radix_merge_compareILb0ELb1EbNS0_19identity_decomposerEEEEE10hipError_tT0_T1_T2_jT3_P12ihipStream_tbPNSt15iterator_traitsISE_E10value_typeEPNSK_ISF_E10value_typeEPSG_NS1_7vsmem_tEENKUlT_SE_SF_SG_E_clIS8_S8_S9_S9_EESD_ST_SE_SF_SG_EUlST_E1_NS1_11comp_targetILNS1_3genE5ELNS1_11target_archE942ELNS1_3gpuE9ELNS1_3repE0EEENS1_36merge_oddeven_config_static_selectorELNS0_4arch9wavefront6targetE0EEEvSF_.uses_flat_scratch, 0
	.set _ZN7rocprim17ROCPRIM_400000_NS6detail17trampoline_kernelINS0_14default_configENS1_38merge_sort_block_merge_config_selectorIbNS0_10empty_typeEEEZZNS1_27merge_sort_block_merge_implIS3_PbPS5_jNS1_19radix_merge_compareILb0ELb1EbNS0_19identity_decomposerEEEEE10hipError_tT0_T1_T2_jT3_P12ihipStream_tbPNSt15iterator_traitsISE_E10value_typeEPNSK_ISF_E10value_typeEPSG_NS1_7vsmem_tEENKUlT_SE_SF_SG_E_clIS8_S8_S9_S9_EESD_ST_SE_SF_SG_EUlST_E1_NS1_11comp_targetILNS1_3genE5ELNS1_11target_archE942ELNS1_3gpuE9ELNS1_3repE0EEENS1_36merge_oddeven_config_static_selectorELNS0_4arch9wavefront6targetE0EEEvSF_.has_dyn_sized_stack, 0
	.set _ZN7rocprim17ROCPRIM_400000_NS6detail17trampoline_kernelINS0_14default_configENS1_38merge_sort_block_merge_config_selectorIbNS0_10empty_typeEEEZZNS1_27merge_sort_block_merge_implIS3_PbPS5_jNS1_19radix_merge_compareILb0ELb1EbNS0_19identity_decomposerEEEEE10hipError_tT0_T1_T2_jT3_P12ihipStream_tbPNSt15iterator_traitsISE_E10value_typeEPNSK_ISF_E10value_typeEPSG_NS1_7vsmem_tEENKUlT_SE_SF_SG_E_clIS8_S8_S9_S9_EESD_ST_SE_SF_SG_EUlST_E1_NS1_11comp_targetILNS1_3genE5ELNS1_11target_archE942ELNS1_3gpuE9ELNS1_3repE0EEENS1_36merge_oddeven_config_static_selectorELNS0_4arch9wavefront6targetE0EEEvSF_.has_recursion, 0
	.set _ZN7rocprim17ROCPRIM_400000_NS6detail17trampoline_kernelINS0_14default_configENS1_38merge_sort_block_merge_config_selectorIbNS0_10empty_typeEEEZZNS1_27merge_sort_block_merge_implIS3_PbPS5_jNS1_19radix_merge_compareILb0ELb1EbNS0_19identity_decomposerEEEEE10hipError_tT0_T1_T2_jT3_P12ihipStream_tbPNSt15iterator_traitsISE_E10value_typeEPNSK_ISF_E10value_typeEPSG_NS1_7vsmem_tEENKUlT_SE_SF_SG_E_clIS8_S8_S9_S9_EESD_ST_SE_SF_SG_EUlST_E1_NS1_11comp_targetILNS1_3genE5ELNS1_11target_archE942ELNS1_3gpuE9ELNS1_3repE0EEENS1_36merge_oddeven_config_static_selectorELNS0_4arch9wavefront6targetE0EEEvSF_.has_indirect_call, 0
	.section	.AMDGPU.csdata,"",@progbits
; Kernel info:
; codeLenInByte = 0
; TotalNumSgprs: 0
; NumVgprs: 0
; ScratchSize: 0
; MemoryBound: 0
; FloatMode: 240
; IeeeMode: 1
; LDSByteSize: 0 bytes/workgroup (compile time only)
; SGPRBlocks: 0
; VGPRBlocks: 0
; NumSGPRsForWavesPerEU: 1
; NumVGPRsForWavesPerEU: 1
; NamedBarCnt: 0
; Occupancy: 16
; WaveLimiterHint : 0
; COMPUTE_PGM_RSRC2:SCRATCH_EN: 0
; COMPUTE_PGM_RSRC2:USER_SGPR: 2
; COMPUTE_PGM_RSRC2:TRAP_HANDLER: 0
; COMPUTE_PGM_RSRC2:TGID_X_EN: 1
; COMPUTE_PGM_RSRC2:TGID_Y_EN: 0
; COMPUTE_PGM_RSRC2:TGID_Z_EN: 0
; COMPUTE_PGM_RSRC2:TIDIG_COMP_CNT: 0
	.section	.text._ZN7rocprim17ROCPRIM_400000_NS6detail17trampoline_kernelINS0_14default_configENS1_38merge_sort_block_merge_config_selectorIbNS0_10empty_typeEEEZZNS1_27merge_sort_block_merge_implIS3_PbPS5_jNS1_19radix_merge_compareILb0ELb1EbNS0_19identity_decomposerEEEEE10hipError_tT0_T1_T2_jT3_P12ihipStream_tbPNSt15iterator_traitsISE_E10value_typeEPNSK_ISF_E10value_typeEPSG_NS1_7vsmem_tEENKUlT_SE_SF_SG_E_clIS8_S8_S9_S9_EESD_ST_SE_SF_SG_EUlST_E1_NS1_11comp_targetILNS1_3genE4ELNS1_11target_archE910ELNS1_3gpuE8ELNS1_3repE0EEENS1_36merge_oddeven_config_static_selectorELNS0_4arch9wavefront6targetE0EEEvSF_,"axG",@progbits,_ZN7rocprim17ROCPRIM_400000_NS6detail17trampoline_kernelINS0_14default_configENS1_38merge_sort_block_merge_config_selectorIbNS0_10empty_typeEEEZZNS1_27merge_sort_block_merge_implIS3_PbPS5_jNS1_19radix_merge_compareILb0ELb1EbNS0_19identity_decomposerEEEEE10hipError_tT0_T1_T2_jT3_P12ihipStream_tbPNSt15iterator_traitsISE_E10value_typeEPNSK_ISF_E10value_typeEPSG_NS1_7vsmem_tEENKUlT_SE_SF_SG_E_clIS8_S8_S9_S9_EESD_ST_SE_SF_SG_EUlST_E1_NS1_11comp_targetILNS1_3genE4ELNS1_11target_archE910ELNS1_3gpuE8ELNS1_3repE0EEENS1_36merge_oddeven_config_static_selectorELNS0_4arch9wavefront6targetE0EEEvSF_,comdat
	.protected	_ZN7rocprim17ROCPRIM_400000_NS6detail17trampoline_kernelINS0_14default_configENS1_38merge_sort_block_merge_config_selectorIbNS0_10empty_typeEEEZZNS1_27merge_sort_block_merge_implIS3_PbPS5_jNS1_19radix_merge_compareILb0ELb1EbNS0_19identity_decomposerEEEEE10hipError_tT0_T1_T2_jT3_P12ihipStream_tbPNSt15iterator_traitsISE_E10value_typeEPNSK_ISF_E10value_typeEPSG_NS1_7vsmem_tEENKUlT_SE_SF_SG_E_clIS8_S8_S9_S9_EESD_ST_SE_SF_SG_EUlST_E1_NS1_11comp_targetILNS1_3genE4ELNS1_11target_archE910ELNS1_3gpuE8ELNS1_3repE0EEENS1_36merge_oddeven_config_static_selectorELNS0_4arch9wavefront6targetE0EEEvSF_ ; -- Begin function _ZN7rocprim17ROCPRIM_400000_NS6detail17trampoline_kernelINS0_14default_configENS1_38merge_sort_block_merge_config_selectorIbNS0_10empty_typeEEEZZNS1_27merge_sort_block_merge_implIS3_PbPS5_jNS1_19radix_merge_compareILb0ELb1EbNS0_19identity_decomposerEEEEE10hipError_tT0_T1_T2_jT3_P12ihipStream_tbPNSt15iterator_traitsISE_E10value_typeEPNSK_ISF_E10value_typeEPSG_NS1_7vsmem_tEENKUlT_SE_SF_SG_E_clIS8_S8_S9_S9_EESD_ST_SE_SF_SG_EUlST_E1_NS1_11comp_targetILNS1_3genE4ELNS1_11target_archE910ELNS1_3gpuE8ELNS1_3repE0EEENS1_36merge_oddeven_config_static_selectorELNS0_4arch9wavefront6targetE0EEEvSF_
	.globl	_ZN7rocprim17ROCPRIM_400000_NS6detail17trampoline_kernelINS0_14default_configENS1_38merge_sort_block_merge_config_selectorIbNS0_10empty_typeEEEZZNS1_27merge_sort_block_merge_implIS3_PbPS5_jNS1_19radix_merge_compareILb0ELb1EbNS0_19identity_decomposerEEEEE10hipError_tT0_T1_T2_jT3_P12ihipStream_tbPNSt15iterator_traitsISE_E10value_typeEPNSK_ISF_E10value_typeEPSG_NS1_7vsmem_tEENKUlT_SE_SF_SG_E_clIS8_S8_S9_S9_EESD_ST_SE_SF_SG_EUlST_E1_NS1_11comp_targetILNS1_3genE4ELNS1_11target_archE910ELNS1_3gpuE8ELNS1_3repE0EEENS1_36merge_oddeven_config_static_selectorELNS0_4arch9wavefront6targetE0EEEvSF_
	.p2align	8
	.type	_ZN7rocprim17ROCPRIM_400000_NS6detail17trampoline_kernelINS0_14default_configENS1_38merge_sort_block_merge_config_selectorIbNS0_10empty_typeEEEZZNS1_27merge_sort_block_merge_implIS3_PbPS5_jNS1_19radix_merge_compareILb0ELb1EbNS0_19identity_decomposerEEEEE10hipError_tT0_T1_T2_jT3_P12ihipStream_tbPNSt15iterator_traitsISE_E10value_typeEPNSK_ISF_E10value_typeEPSG_NS1_7vsmem_tEENKUlT_SE_SF_SG_E_clIS8_S8_S9_S9_EESD_ST_SE_SF_SG_EUlST_E1_NS1_11comp_targetILNS1_3genE4ELNS1_11target_archE910ELNS1_3gpuE8ELNS1_3repE0EEENS1_36merge_oddeven_config_static_selectorELNS0_4arch9wavefront6targetE0EEEvSF_,@function
_ZN7rocprim17ROCPRIM_400000_NS6detail17trampoline_kernelINS0_14default_configENS1_38merge_sort_block_merge_config_selectorIbNS0_10empty_typeEEEZZNS1_27merge_sort_block_merge_implIS3_PbPS5_jNS1_19radix_merge_compareILb0ELb1EbNS0_19identity_decomposerEEEEE10hipError_tT0_T1_T2_jT3_P12ihipStream_tbPNSt15iterator_traitsISE_E10value_typeEPNSK_ISF_E10value_typeEPSG_NS1_7vsmem_tEENKUlT_SE_SF_SG_E_clIS8_S8_S9_S9_EESD_ST_SE_SF_SG_EUlST_E1_NS1_11comp_targetILNS1_3genE4ELNS1_11target_archE910ELNS1_3gpuE8ELNS1_3repE0EEENS1_36merge_oddeven_config_static_selectorELNS0_4arch9wavefront6targetE0EEEvSF_: ; @_ZN7rocprim17ROCPRIM_400000_NS6detail17trampoline_kernelINS0_14default_configENS1_38merge_sort_block_merge_config_selectorIbNS0_10empty_typeEEEZZNS1_27merge_sort_block_merge_implIS3_PbPS5_jNS1_19radix_merge_compareILb0ELb1EbNS0_19identity_decomposerEEEEE10hipError_tT0_T1_T2_jT3_P12ihipStream_tbPNSt15iterator_traitsISE_E10value_typeEPNSK_ISF_E10value_typeEPSG_NS1_7vsmem_tEENKUlT_SE_SF_SG_E_clIS8_S8_S9_S9_EESD_ST_SE_SF_SG_EUlST_E1_NS1_11comp_targetILNS1_3genE4ELNS1_11target_archE910ELNS1_3gpuE8ELNS1_3repE0EEENS1_36merge_oddeven_config_static_selectorELNS0_4arch9wavefront6targetE0EEEvSF_
; %bb.0:
	.section	.rodata,"a",@progbits
	.p2align	6, 0x0
	.amdhsa_kernel _ZN7rocprim17ROCPRIM_400000_NS6detail17trampoline_kernelINS0_14default_configENS1_38merge_sort_block_merge_config_selectorIbNS0_10empty_typeEEEZZNS1_27merge_sort_block_merge_implIS3_PbPS5_jNS1_19radix_merge_compareILb0ELb1EbNS0_19identity_decomposerEEEEE10hipError_tT0_T1_T2_jT3_P12ihipStream_tbPNSt15iterator_traitsISE_E10value_typeEPNSK_ISF_E10value_typeEPSG_NS1_7vsmem_tEENKUlT_SE_SF_SG_E_clIS8_S8_S9_S9_EESD_ST_SE_SF_SG_EUlST_E1_NS1_11comp_targetILNS1_3genE4ELNS1_11target_archE910ELNS1_3gpuE8ELNS1_3repE0EEENS1_36merge_oddeven_config_static_selectorELNS0_4arch9wavefront6targetE0EEEvSF_
		.amdhsa_group_segment_fixed_size 0
		.amdhsa_private_segment_fixed_size 0
		.amdhsa_kernarg_size 48
		.amdhsa_user_sgpr_count 2
		.amdhsa_user_sgpr_dispatch_ptr 0
		.amdhsa_user_sgpr_queue_ptr 0
		.amdhsa_user_sgpr_kernarg_segment_ptr 1
		.amdhsa_user_sgpr_dispatch_id 0
		.amdhsa_user_sgpr_kernarg_preload_length 0
		.amdhsa_user_sgpr_kernarg_preload_offset 0
		.amdhsa_user_sgpr_private_segment_size 0
		.amdhsa_wavefront_size32 1
		.amdhsa_uses_dynamic_stack 0
		.amdhsa_enable_private_segment 0
		.amdhsa_system_sgpr_workgroup_id_x 1
		.amdhsa_system_sgpr_workgroup_id_y 0
		.amdhsa_system_sgpr_workgroup_id_z 0
		.amdhsa_system_sgpr_workgroup_info 0
		.amdhsa_system_vgpr_workitem_id 0
		.amdhsa_next_free_vgpr 1
		.amdhsa_next_free_sgpr 1
		.amdhsa_named_barrier_count 0
		.amdhsa_reserve_vcc 0
		.amdhsa_float_round_mode_32 0
		.amdhsa_float_round_mode_16_64 0
		.amdhsa_float_denorm_mode_32 3
		.amdhsa_float_denorm_mode_16_64 3
		.amdhsa_fp16_overflow 0
		.amdhsa_memory_ordered 1
		.amdhsa_forward_progress 1
		.amdhsa_inst_pref_size 0
		.amdhsa_round_robin_scheduling 0
		.amdhsa_exception_fp_ieee_invalid_op 0
		.amdhsa_exception_fp_denorm_src 0
		.amdhsa_exception_fp_ieee_div_zero 0
		.amdhsa_exception_fp_ieee_overflow 0
		.amdhsa_exception_fp_ieee_underflow 0
		.amdhsa_exception_fp_ieee_inexact 0
		.amdhsa_exception_int_div_zero 0
	.end_amdhsa_kernel
	.section	.text._ZN7rocprim17ROCPRIM_400000_NS6detail17trampoline_kernelINS0_14default_configENS1_38merge_sort_block_merge_config_selectorIbNS0_10empty_typeEEEZZNS1_27merge_sort_block_merge_implIS3_PbPS5_jNS1_19radix_merge_compareILb0ELb1EbNS0_19identity_decomposerEEEEE10hipError_tT0_T1_T2_jT3_P12ihipStream_tbPNSt15iterator_traitsISE_E10value_typeEPNSK_ISF_E10value_typeEPSG_NS1_7vsmem_tEENKUlT_SE_SF_SG_E_clIS8_S8_S9_S9_EESD_ST_SE_SF_SG_EUlST_E1_NS1_11comp_targetILNS1_3genE4ELNS1_11target_archE910ELNS1_3gpuE8ELNS1_3repE0EEENS1_36merge_oddeven_config_static_selectorELNS0_4arch9wavefront6targetE0EEEvSF_,"axG",@progbits,_ZN7rocprim17ROCPRIM_400000_NS6detail17trampoline_kernelINS0_14default_configENS1_38merge_sort_block_merge_config_selectorIbNS0_10empty_typeEEEZZNS1_27merge_sort_block_merge_implIS3_PbPS5_jNS1_19radix_merge_compareILb0ELb1EbNS0_19identity_decomposerEEEEE10hipError_tT0_T1_T2_jT3_P12ihipStream_tbPNSt15iterator_traitsISE_E10value_typeEPNSK_ISF_E10value_typeEPSG_NS1_7vsmem_tEENKUlT_SE_SF_SG_E_clIS8_S8_S9_S9_EESD_ST_SE_SF_SG_EUlST_E1_NS1_11comp_targetILNS1_3genE4ELNS1_11target_archE910ELNS1_3gpuE8ELNS1_3repE0EEENS1_36merge_oddeven_config_static_selectorELNS0_4arch9wavefront6targetE0EEEvSF_,comdat
.Lfunc_end1829:
	.size	_ZN7rocprim17ROCPRIM_400000_NS6detail17trampoline_kernelINS0_14default_configENS1_38merge_sort_block_merge_config_selectorIbNS0_10empty_typeEEEZZNS1_27merge_sort_block_merge_implIS3_PbPS5_jNS1_19radix_merge_compareILb0ELb1EbNS0_19identity_decomposerEEEEE10hipError_tT0_T1_T2_jT3_P12ihipStream_tbPNSt15iterator_traitsISE_E10value_typeEPNSK_ISF_E10value_typeEPSG_NS1_7vsmem_tEENKUlT_SE_SF_SG_E_clIS8_S8_S9_S9_EESD_ST_SE_SF_SG_EUlST_E1_NS1_11comp_targetILNS1_3genE4ELNS1_11target_archE910ELNS1_3gpuE8ELNS1_3repE0EEENS1_36merge_oddeven_config_static_selectorELNS0_4arch9wavefront6targetE0EEEvSF_, .Lfunc_end1829-_ZN7rocprim17ROCPRIM_400000_NS6detail17trampoline_kernelINS0_14default_configENS1_38merge_sort_block_merge_config_selectorIbNS0_10empty_typeEEEZZNS1_27merge_sort_block_merge_implIS3_PbPS5_jNS1_19radix_merge_compareILb0ELb1EbNS0_19identity_decomposerEEEEE10hipError_tT0_T1_T2_jT3_P12ihipStream_tbPNSt15iterator_traitsISE_E10value_typeEPNSK_ISF_E10value_typeEPSG_NS1_7vsmem_tEENKUlT_SE_SF_SG_E_clIS8_S8_S9_S9_EESD_ST_SE_SF_SG_EUlST_E1_NS1_11comp_targetILNS1_3genE4ELNS1_11target_archE910ELNS1_3gpuE8ELNS1_3repE0EEENS1_36merge_oddeven_config_static_selectorELNS0_4arch9wavefront6targetE0EEEvSF_
                                        ; -- End function
	.set _ZN7rocprim17ROCPRIM_400000_NS6detail17trampoline_kernelINS0_14default_configENS1_38merge_sort_block_merge_config_selectorIbNS0_10empty_typeEEEZZNS1_27merge_sort_block_merge_implIS3_PbPS5_jNS1_19radix_merge_compareILb0ELb1EbNS0_19identity_decomposerEEEEE10hipError_tT0_T1_T2_jT3_P12ihipStream_tbPNSt15iterator_traitsISE_E10value_typeEPNSK_ISF_E10value_typeEPSG_NS1_7vsmem_tEENKUlT_SE_SF_SG_E_clIS8_S8_S9_S9_EESD_ST_SE_SF_SG_EUlST_E1_NS1_11comp_targetILNS1_3genE4ELNS1_11target_archE910ELNS1_3gpuE8ELNS1_3repE0EEENS1_36merge_oddeven_config_static_selectorELNS0_4arch9wavefront6targetE0EEEvSF_.num_vgpr, 0
	.set _ZN7rocprim17ROCPRIM_400000_NS6detail17trampoline_kernelINS0_14default_configENS1_38merge_sort_block_merge_config_selectorIbNS0_10empty_typeEEEZZNS1_27merge_sort_block_merge_implIS3_PbPS5_jNS1_19radix_merge_compareILb0ELb1EbNS0_19identity_decomposerEEEEE10hipError_tT0_T1_T2_jT3_P12ihipStream_tbPNSt15iterator_traitsISE_E10value_typeEPNSK_ISF_E10value_typeEPSG_NS1_7vsmem_tEENKUlT_SE_SF_SG_E_clIS8_S8_S9_S9_EESD_ST_SE_SF_SG_EUlST_E1_NS1_11comp_targetILNS1_3genE4ELNS1_11target_archE910ELNS1_3gpuE8ELNS1_3repE0EEENS1_36merge_oddeven_config_static_selectorELNS0_4arch9wavefront6targetE0EEEvSF_.num_agpr, 0
	.set _ZN7rocprim17ROCPRIM_400000_NS6detail17trampoline_kernelINS0_14default_configENS1_38merge_sort_block_merge_config_selectorIbNS0_10empty_typeEEEZZNS1_27merge_sort_block_merge_implIS3_PbPS5_jNS1_19radix_merge_compareILb0ELb1EbNS0_19identity_decomposerEEEEE10hipError_tT0_T1_T2_jT3_P12ihipStream_tbPNSt15iterator_traitsISE_E10value_typeEPNSK_ISF_E10value_typeEPSG_NS1_7vsmem_tEENKUlT_SE_SF_SG_E_clIS8_S8_S9_S9_EESD_ST_SE_SF_SG_EUlST_E1_NS1_11comp_targetILNS1_3genE4ELNS1_11target_archE910ELNS1_3gpuE8ELNS1_3repE0EEENS1_36merge_oddeven_config_static_selectorELNS0_4arch9wavefront6targetE0EEEvSF_.numbered_sgpr, 0
	.set _ZN7rocprim17ROCPRIM_400000_NS6detail17trampoline_kernelINS0_14default_configENS1_38merge_sort_block_merge_config_selectorIbNS0_10empty_typeEEEZZNS1_27merge_sort_block_merge_implIS3_PbPS5_jNS1_19radix_merge_compareILb0ELb1EbNS0_19identity_decomposerEEEEE10hipError_tT0_T1_T2_jT3_P12ihipStream_tbPNSt15iterator_traitsISE_E10value_typeEPNSK_ISF_E10value_typeEPSG_NS1_7vsmem_tEENKUlT_SE_SF_SG_E_clIS8_S8_S9_S9_EESD_ST_SE_SF_SG_EUlST_E1_NS1_11comp_targetILNS1_3genE4ELNS1_11target_archE910ELNS1_3gpuE8ELNS1_3repE0EEENS1_36merge_oddeven_config_static_selectorELNS0_4arch9wavefront6targetE0EEEvSF_.num_named_barrier, 0
	.set _ZN7rocprim17ROCPRIM_400000_NS6detail17trampoline_kernelINS0_14default_configENS1_38merge_sort_block_merge_config_selectorIbNS0_10empty_typeEEEZZNS1_27merge_sort_block_merge_implIS3_PbPS5_jNS1_19radix_merge_compareILb0ELb1EbNS0_19identity_decomposerEEEEE10hipError_tT0_T1_T2_jT3_P12ihipStream_tbPNSt15iterator_traitsISE_E10value_typeEPNSK_ISF_E10value_typeEPSG_NS1_7vsmem_tEENKUlT_SE_SF_SG_E_clIS8_S8_S9_S9_EESD_ST_SE_SF_SG_EUlST_E1_NS1_11comp_targetILNS1_3genE4ELNS1_11target_archE910ELNS1_3gpuE8ELNS1_3repE0EEENS1_36merge_oddeven_config_static_selectorELNS0_4arch9wavefront6targetE0EEEvSF_.private_seg_size, 0
	.set _ZN7rocprim17ROCPRIM_400000_NS6detail17trampoline_kernelINS0_14default_configENS1_38merge_sort_block_merge_config_selectorIbNS0_10empty_typeEEEZZNS1_27merge_sort_block_merge_implIS3_PbPS5_jNS1_19radix_merge_compareILb0ELb1EbNS0_19identity_decomposerEEEEE10hipError_tT0_T1_T2_jT3_P12ihipStream_tbPNSt15iterator_traitsISE_E10value_typeEPNSK_ISF_E10value_typeEPSG_NS1_7vsmem_tEENKUlT_SE_SF_SG_E_clIS8_S8_S9_S9_EESD_ST_SE_SF_SG_EUlST_E1_NS1_11comp_targetILNS1_3genE4ELNS1_11target_archE910ELNS1_3gpuE8ELNS1_3repE0EEENS1_36merge_oddeven_config_static_selectorELNS0_4arch9wavefront6targetE0EEEvSF_.uses_vcc, 0
	.set _ZN7rocprim17ROCPRIM_400000_NS6detail17trampoline_kernelINS0_14default_configENS1_38merge_sort_block_merge_config_selectorIbNS0_10empty_typeEEEZZNS1_27merge_sort_block_merge_implIS3_PbPS5_jNS1_19radix_merge_compareILb0ELb1EbNS0_19identity_decomposerEEEEE10hipError_tT0_T1_T2_jT3_P12ihipStream_tbPNSt15iterator_traitsISE_E10value_typeEPNSK_ISF_E10value_typeEPSG_NS1_7vsmem_tEENKUlT_SE_SF_SG_E_clIS8_S8_S9_S9_EESD_ST_SE_SF_SG_EUlST_E1_NS1_11comp_targetILNS1_3genE4ELNS1_11target_archE910ELNS1_3gpuE8ELNS1_3repE0EEENS1_36merge_oddeven_config_static_selectorELNS0_4arch9wavefront6targetE0EEEvSF_.uses_flat_scratch, 0
	.set _ZN7rocprim17ROCPRIM_400000_NS6detail17trampoline_kernelINS0_14default_configENS1_38merge_sort_block_merge_config_selectorIbNS0_10empty_typeEEEZZNS1_27merge_sort_block_merge_implIS3_PbPS5_jNS1_19radix_merge_compareILb0ELb1EbNS0_19identity_decomposerEEEEE10hipError_tT0_T1_T2_jT3_P12ihipStream_tbPNSt15iterator_traitsISE_E10value_typeEPNSK_ISF_E10value_typeEPSG_NS1_7vsmem_tEENKUlT_SE_SF_SG_E_clIS8_S8_S9_S9_EESD_ST_SE_SF_SG_EUlST_E1_NS1_11comp_targetILNS1_3genE4ELNS1_11target_archE910ELNS1_3gpuE8ELNS1_3repE0EEENS1_36merge_oddeven_config_static_selectorELNS0_4arch9wavefront6targetE0EEEvSF_.has_dyn_sized_stack, 0
	.set _ZN7rocprim17ROCPRIM_400000_NS6detail17trampoline_kernelINS0_14default_configENS1_38merge_sort_block_merge_config_selectorIbNS0_10empty_typeEEEZZNS1_27merge_sort_block_merge_implIS3_PbPS5_jNS1_19radix_merge_compareILb0ELb1EbNS0_19identity_decomposerEEEEE10hipError_tT0_T1_T2_jT3_P12ihipStream_tbPNSt15iterator_traitsISE_E10value_typeEPNSK_ISF_E10value_typeEPSG_NS1_7vsmem_tEENKUlT_SE_SF_SG_E_clIS8_S8_S9_S9_EESD_ST_SE_SF_SG_EUlST_E1_NS1_11comp_targetILNS1_3genE4ELNS1_11target_archE910ELNS1_3gpuE8ELNS1_3repE0EEENS1_36merge_oddeven_config_static_selectorELNS0_4arch9wavefront6targetE0EEEvSF_.has_recursion, 0
	.set _ZN7rocprim17ROCPRIM_400000_NS6detail17trampoline_kernelINS0_14default_configENS1_38merge_sort_block_merge_config_selectorIbNS0_10empty_typeEEEZZNS1_27merge_sort_block_merge_implIS3_PbPS5_jNS1_19radix_merge_compareILb0ELb1EbNS0_19identity_decomposerEEEEE10hipError_tT0_T1_T2_jT3_P12ihipStream_tbPNSt15iterator_traitsISE_E10value_typeEPNSK_ISF_E10value_typeEPSG_NS1_7vsmem_tEENKUlT_SE_SF_SG_E_clIS8_S8_S9_S9_EESD_ST_SE_SF_SG_EUlST_E1_NS1_11comp_targetILNS1_3genE4ELNS1_11target_archE910ELNS1_3gpuE8ELNS1_3repE0EEENS1_36merge_oddeven_config_static_selectorELNS0_4arch9wavefront6targetE0EEEvSF_.has_indirect_call, 0
	.section	.AMDGPU.csdata,"",@progbits
; Kernel info:
; codeLenInByte = 0
; TotalNumSgprs: 0
; NumVgprs: 0
; ScratchSize: 0
; MemoryBound: 0
; FloatMode: 240
; IeeeMode: 1
; LDSByteSize: 0 bytes/workgroup (compile time only)
; SGPRBlocks: 0
; VGPRBlocks: 0
; NumSGPRsForWavesPerEU: 1
; NumVGPRsForWavesPerEU: 1
; NamedBarCnt: 0
; Occupancy: 16
; WaveLimiterHint : 0
; COMPUTE_PGM_RSRC2:SCRATCH_EN: 0
; COMPUTE_PGM_RSRC2:USER_SGPR: 2
; COMPUTE_PGM_RSRC2:TRAP_HANDLER: 0
; COMPUTE_PGM_RSRC2:TGID_X_EN: 1
; COMPUTE_PGM_RSRC2:TGID_Y_EN: 0
; COMPUTE_PGM_RSRC2:TGID_Z_EN: 0
; COMPUTE_PGM_RSRC2:TIDIG_COMP_CNT: 0
	.section	.text._ZN7rocprim17ROCPRIM_400000_NS6detail17trampoline_kernelINS0_14default_configENS1_38merge_sort_block_merge_config_selectorIbNS0_10empty_typeEEEZZNS1_27merge_sort_block_merge_implIS3_PbPS5_jNS1_19radix_merge_compareILb0ELb1EbNS0_19identity_decomposerEEEEE10hipError_tT0_T1_T2_jT3_P12ihipStream_tbPNSt15iterator_traitsISE_E10value_typeEPNSK_ISF_E10value_typeEPSG_NS1_7vsmem_tEENKUlT_SE_SF_SG_E_clIS8_S8_S9_S9_EESD_ST_SE_SF_SG_EUlST_E1_NS1_11comp_targetILNS1_3genE3ELNS1_11target_archE908ELNS1_3gpuE7ELNS1_3repE0EEENS1_36merge_oddeven_config_static_selectorELNS0_4arch9wavefront6targetE0EEEvSF_,"axG",@progbits,_ZN7rocprim17ROCPRIM_400000_NS6detail17trampoline_kernelINS0_14default_configENS1_38merge_sort_block_merge_config_selectorIbNS0_10empty_typeEEEZZNS1_27merge_sort_block_merge_implIS3_PbPS5_jNS1_19radix_merge_compareILb0ELb1EbNS0_19identity_decomposerEEEEE10hipError_tT0_T1_T2_jT3_P12ihipStream_tbPNSt15iterator_traitsISE_E10value_typeEPNSK_ISF_E10value_typeEPSG_NS1_7vsmem_tEENKUlT_SE_SF_SG_E_clIS8_S8_S9_S9_EESD_ST_SE_SF_SG_EUlST_E1_NS1_11comp_targetILNS1_3genE3ELNS1_11target_archE908ELNS1_3gpuE7ELNS1_3repE0EEENS1_36merge_oddeven_config_static_selectorELNS0_4arch9wavefront6targetE0EEEvSF_,comdat
	.protected	_ZN7rocprim17ROCPRIM_400000_NS6detail17trampoline_kernelINS0_14default_configENS1_38merge_sort_block_merge_config_selectorIbNS0_10empty_typeEEEZZNS1_27merge_sort_block_merge_implIS3_PbPS5_jNS1_19radix_merge_compareILb0ELb1EbNS0_19identity_decomposerEEEEE10hipError_tT0_T1_T2_jT3_P12ihipStream_tbPNSt15iterator_traitsISE_E10value_typeEPNSK_ISF_E10value_typeEPSG_NS1_7vsmem_tEENKUlT_SE_SF_SG_E_clIS8_S8_S9_S9_EESD_ST_SE_SF_SG_EUlST_E1_NS1_11comp_targetILNS1_3genE3ELNS1_11target_archE908ELNS1_3gpuE7ELNS1_3repE0EEENS1_36merge_oddeven_config_static_selectorELNS0_4arch9wavefront6targetE0EEEvSF_ ; -- Begin function _ZN7rocprim17ROCPRIM_400000_NS6detail17trampoline_kernelINS0_14default_configENS1_38merge_sort_block_merge_config_selectorIbNS0_10empty_typeEEEZZNS1_27merge_sort_block_merge_implIS3_PbPS5_jNS1_19radix_merge_compareILb0ELb1EbNS0_19identity_decomposerEEEEE10hipError_tT0_T1_T2_jT3_P12ihipStream_tbPNSt15iterator_traitsISE_E10value_typeEPNSK_ISF_E10value_typeEPSG_NS1_7vsmem_tEENKUlT_SE_SF_SG_E_clIS8_S8_S9_S9_EESD_ST_SE_SF_SG_EUlST_E1_NS1_11comp_targetILNS1_3genE3ELNS1_11target_archE908ELNS1_3gpuE7ELNS1_3repE0EEENS1_36merge_oddeven_config_static_selectorELNS0_4arch9wavefront6targetE0EEEvSF_
	.globl	_ZN7rocprim17ROCPRIM_400000_NS6detail17trampoline_kernelINS0_14default_configENS1_38merge_sort_block_merge_config_selectorIbNS0_10empty_typeEEEZZNS1_27merge_sort_block_merge_implIS3_PbPS5_jNS1_19radix_merge_compareILb0ELb1EbNS0_19identity_decomposerEEEEE10hipError_tT0_T1_T2_jT3_P12ihipStream_tbPNSt15iterator_traitsISE_E10value_typeEPNSK_ISF_E10value_typeEPSG_NS1_7vsmem_tEENKUlT_SE_SF_SG_E_clIS8_S8_S9_S9_EESD_ST_SE_SF_SG_EUlST_E1_NS1_11comp_targetILNS1_3genE3ELNS1_11target_archE908ELNS1_3gpuE7ELNS1_3repE0EEENS1_36merge_oddeven_config_static_selectorELNS0_4arch9wavefront6targetE0EEEvSF_
	.p2align	8
	.type	_ZN7rocprim17ROCPRIM_400000_NS6detail17trampoline_kernelINS0_14default_configENS1_38merge_sort_block_merge_config_selectorIbNS0_10empty_typeEEEZZNS1_27merge_sort_block_merge_implIS3_PbPS5_jNS1_19radix_merge_compareILb0ELb1EbNS0_19identity_decomposerEEEEE10hipError_tT0_T1_T2_jT3_P12ihipStream_tbPNSt15iterator_traitsISE_E10value_typeEPNSK_ISF_E10value_typeEPSG_NS1_7vsmem_tEENKUlT_SE_SF_SG_E_clIS8_S8_S9_S9_EESD_ST_SE_SF_SG_EUlST_E1_NS1_11comp_targetILNS1_3genE3ELNS1_11target_archE908ELNS1_3gpuE7ELNS1_3repE0EEENS1_36merge_oddeven_config_static_selectorELNS0_4arch9wavefront6targetE0EEEvSF_,@function
_ZN7rocprim17ROCPRIM_400000_NS6detail17trampoline_kernelINS0_14default_configENS1_38merge_sort_block_merge_config_selectorIbNS0_10empty_typeEEEZZNS1_27merge_sort_block_merge_implIS3_PbPS5_jNS1_19radix_merge_compareILb0ELb1EbNS0_19identity_decomposerEEEEE10hipError_tT0_T1_T2_jT3_P12ihipStream_tbPNSt15iterator_traitsISE_E10value_typeEPNSK_ISF_E10value_typeEPSG_NS1_7vsmem_tEENKUlT_SE_SF_SG_E_clIS8_S8_S9_S9_EESD_ST_SE_SF_SG_EUlST_E1_NS1_11comp_targetILNS1_3genE3ELNS1_11target_archE908ELNS1_3gpuE7ELNS1_3repE0EEENS1_36merge_oddeven_config_static_selectorELNS0_4arch9wavefront6targetE0EEEvSF_: ; @_ZN7rocprim17ROCPRIM_400000_NS6detail17trampoline_kernelINS0_14default_configENS1_38merge_sort_block_merge_config_selectorIbNS0_10empty_typeEEEZZNS1_27merge_sort_block_merge_implIS3_PbPS5_jNS1_19radix_merge_compareILb0ELb1EbNS0_19identity_decomposerEEEEE10hipError_tT0_T1_T2_jT3_P12ihipStream_tbPNSt15iterator_traitsISE_E10value_typeEPNSK_ISF_E10value_typeEPSG_NS1_7vsmem_tEENKUlT_SE_SF_SG_E_clIS8_S8_S9_S9_EESD_ST_SE_SF_SG_EUlST_E1_NS1_11comp_targetILNS1_3genE3ELNS1_11target_archE908ELNS1_3gpuE7ELNS1_3repE0EEENS1_36merge_oddeven_config_static_selectorELNS0_4arch9wavefront6targetE0EEEvSF_
; %bb.0:
	.section	.rodata,"a",@progbits
	.p2align	6, 0x0
	.amdhsa_kernel _ZN7rocprim17ROCPRIM_400000_NS6detail17trampoline_kernelINS0_14default_configENS1_38merge_sort_block_merge_config_selectorIbNS0_10empty_typeEEEZZNS1_27merge_sort_block_merge_implIS3_PbPS5_jNS1_19radix_merge_compareILb0ELb1EbNS0_19identity_decomposerEEEEE10hipError_tT0_T1_T2_jT3_P12ihipStream_tbPNSt15iterator_traitsISE_E10value_typeEPNSK_ISF_E10value_typeEPSG_NS1_7vsmem_tEENKUlT_SE_SF_SG_E_clIS8_S8_S9_S9_EESD_ST_SE_SF_SG_EUlST_E1_NS1_11comp_targetILNS1_3genE3ELNS1_11target_archE908ELNS1_3gpuE7ELNS1_3repE0EEENS1_36merge_oddeven_config_static_selectorELNS0_4arch9wavefront6targetE0EEEvSF_
		.amdhsa_group_segment_fixed_size 0
		.amdhsa_private_segment_fixed_size 0
		.amdhsa_kernarg_size 48
		.amdhsa_user_sgpr_count 2
		.amdhsa_user_sgpr_dispatch_ptr 0
		.amdhsa_user_sgpr_queue_ptr 0
		.amdhsa_user_sgpr_kernarg_segment_ptr 1
		.amdhsa_user_sgpr_dispatch_id 0
		.amdhsa_user_sgpr_kernarg_preload_length 0
		.amdhsa_user_sgpr_kernarg_preload_offset 0
		.amdhsa_user_sgpr_private_segment_size 0
		.amdhsa_wavefront_size32 1
		.amdhsa_uses_dynamic_stack 0
		.amdhsa_enable_private_segment 0
		.amdhsa_system_sgpr_workgroup_id_x 1
		.amdhsa_system_sgpr_workgroup_id_y 0
		.amdhsa_system_sgpr_workgroup_id_z 0
		.amdhsa_system_sgpr_workgroup_info 0
		.amdhsa_system_vgpr_workitem_id 0
		.amdhsa_next_free_vgpr 1
		.amdhsa_next_free_sgpr 1
		.amdhsa_named_barrier_count 0
		.amdhsa_reserve_vcc 0
		.amdhsa_float_round_mode_32 0
		.amdhsa_float_round_mode_16_64 0
		.amdhsa_float_denorm_mode_32 3
		.amdhsa_float_denorm_mode_16_64 3
		.amdhsa_fp16_overflow 0
		.amdhsa_memory_ordered 1
		.amdhsa_forward_progress 1
		.amdhsa_inst_pref_size 0
		.amdhsa_round_robin_scheduling 0
		.amdhsa_exception_fp_ieee_invalid_op 0
		.amdhsa_exception_fp_denorm_src 0
		.amdhsa_exception_fp_ieee_div_zero 0
		.amdhsa_exception_fp_ieee_overflow 0
		.amdhsa_exception_fp_ieee_underflow 0
		.amdhsa_exception_fp_ieee_inexact 0
		.amdhsa_exception_int_div_zero 0
	.end_amdhsa_kernel
	.section	.text._ZN7rocprim17ROCPRIM_400000_NS6detail17trampoline_kernelINS0_14default_configENS1_38merge_sort_block_merge_config_selectorIbNS0_10empty_typeEEEZZNS1_27merge_sort_block_merge_implIS3_PbPS5_jNS1_19radix_merge_compareILb0ELb1EbNS0_19identity_decomposerEEEEE10hipError_tT0_T1_T2_jT3_P12ihipStream_tbPNSt15iterator_traitsISE_E10value_typeEPNSK_ISF_E10value_typeEPSG_NS1_7vsmem_tEENKUlT_SE_SF_SG_E_clIS8_S8_S9_S9_EESD_ST_SE_SF_SG_EUlST_E1_NS1_11comp_targetILNS1_3genE3ELNS1_11target_archE908ELNS1_3gpuE7ELNS1_3repE0EEENS1_36merge_oddeven_config_static_selectorELNS0_4arch9wavefront6targetE0EEEvSF_,"axG",@progbits,_ZN7rocprim17ROCPRIM_400000_NS6detail17trampoline_kernelINS0_14default_configENS1_38merge_sort_block_merge_config_selectorIbNS0_10empty_typeEEEZZNS1_27merge_sort_block_merge_implIS3_PbPS5_jNS1_19radix_merge_compareILb0ELb1EbNS0_19identity_decomposerEEEEE10hipError_tT0_T1_T2_jT3_P12ihipStream_tbPNSt15iterator_traitsISE_E10value_typeEPNSK_ISF_E10value_typeEPSG_NS1_7vsmem_tEENKUlT_SE_SF_SG_E_clIS8_S8_S9_S9_EESD_ST_SE_SF_SG_EUlST_E1_NS1_11comp_targetILNS1_3genE3ELNS1_11target_archE908ELNS1_3gpuE7ELNS1_3repE0EEENS1_36merge_oddeven_config_static_selectorELNS0_4arch9wavefront6targetE0EEEvSF_,comdat
.Lfunc_end1830:
	.size	_ZN7rocprim17ROCPRIM_400000_NS6detail17trampoline_kernelINS0_14default_configENS1_38merge_sort_block_merge_config_selectorIbNS0_10empty_typeEEEZZNS1_27merge_sort_block_merge_implIS3_PbPS5_jNS1_19radix_merge_compareILb0ELb1EbNS0_19identity_decomposerEEEEE10hipError_tT0_T1_T2_jT3_P12ihipStream_tbPNSt15iterator_traitsISE_E10value_typeEPNSK_ISF_E10value_typeEPSG_NS1_7vsmem_tEENKUlT_SE_SF_SG_E_clIS8_S8_S9_S9_EESD_ST_SE_SF_SG_EUlST_E1_NS1_11comp_targetILNS1_3genE3ELNS1_11target_archE908ELNS1_3gpuE7ELNS1_3repE0EEENS1_36merge_oddeven_config_static_selectorELNS0_4arch9wavefront6targetE0EEEvSF_, .Lfunc_end1830-_ZN7rocprim17ROCPRIM_400000_NS6detail17trampoline_kernelINS0_14default_configENS1_38merge_sort_block_merge_config_selectorIbNS0_10empty_typeEEEZZNS1_27merge_sort_block_merge_implIS3_PbPS5_jNS1_19radix_merge_compareILb0ELb1EbNS0_19identity_decomposerEEEEE10hipError_tT0_T1_T2_jT3_P12ihipStream_tbPNSt15iterator_traitsISE_E10value_typeEPNSK_ISF_E10value_typeEPSG_NS1_7vsmem_tEENKUlT_SE_SF_SG_E_clIS8_S8_S9_S9_EESD_ST_SE_SF_SG_EUlST_E1_NS1_11comp_targetILNS1_3genE3ELNS1_11target_archE908ELNS1_3gpuE7ELNS1_3repE0EEENS1_36merge_oddeven_config_static_selectorELNS0_4arch9wavefront6targetE0EEEvSF_
                                        ; -- End function
	.set _ZN7rocprim17ROCPRIM_400000_NS6detail17trampoline_kernelINS0_14default_configENS1_38merge_sort_block_merge_config_selectorIbNS0_10empty_typeEEEZZNS1_27merge_sort_block_merge_implIS3_PbPS5_jNS1_19radix_merge_compareILb0ELb1EbNS0_19identity_decomposerEEEEE10hipError_tT0_T1_T2_jT3_P12ihipStream_tbPNSt15iterator_traitsISE_E10value_typeEPNSK_ISF_E10value_typeEPSG_NS1_7vsmem_tEENKUlT_SE_SF_SG_E_clIS8_S8_S9_S9_EESD_ST_SE_SF_SG_EUlST_E1_NS1_11comp_targetILNS1_3genE3ELNS1_11target_archE908ELNS1_3gpuE7ELNS1_3repE0EEENS1_36merge_oddeven_config_static_selectorELNS0_4arch9wavefront6targetE0EEEvSF_.num_vgpr, 0
	.set _ZN7rocprim17ROCPRIM_400000_NS6detail17trampoline_kernelINS0_14default_configENS1_38merge_sort_block_merge_config_selectorIbNS0_10empty_typeEEEZZNS1_27merge_sort_block_merge_implIS3_PbPS5_jNS1_19radix_merge_compareILb0ELb1EbNS0_19identity_decomposerEEEEE10hipError_tT0_T1_T2_jT3_P12ihipStream_tbPNSt15iterator_traitsISE_E10value_typeEPNSK_ISF_E10value_typeEPSG_NS1_7vsmem_tEENKUlT_SE_SF_SG_E_clIS8_S8_S9_S9_EESD_ST_SE_SF_SG_EUlST_E1_NS1_11comp_targetILNS1_3genE3ELNS1_11target_archE908ELNS1_3gpuE7ELNS1_3repE0EEENS1_36merge_oddeven_config_static_selectorELNS0_4arch9wavefront6targetE0EEEvSF_.num_agpr, 0
	.set _ZN7rocprim17ROCPRIM_400000_NS6detail17trampoline_kernelINS0_14default_configENS1_38merge_sort_block_merge_config_selectorIbNS0_10empty_typeEEEZZNS1_27merge_sort_block_merge_implIS3_PbPS5_jNS1_19radix_merge_compareILb0ELb1EbNS0_19identity_decomposerEEEEE10hipError_tT0_T1_T2_jT3_P12ihipStream_tbPNSt15iterator_traitsISE_E10value_typeEPNSK_ISF_E10value_typeEPSG_NS1_7vsmem_tEENKUlT_SE_SF_SG_E_clIS8_S8_S9_S9_EESD_ST_SE_SF_SG_EUlST_E1_NS1_11comp_targetILNS1_3genE3ELNS1_11target_archE908ELNS1_3gpuE7ELNS1_3repE0EEENS1_36merge_oddeven_config_static_selectorELNS0_4arch9wavefront6targetE0EEEvSF_.numbered_sgpr, 0
	.set _ZN7rocprim17ROCPRIM_400000_NS6detail17trampoline_kernelINS0_14default_configENS1_38merge_sort_block_merge_config_selectorIbNS0_10empty_typeEEEZZNS1_27merge_sort_block_merge_implIS3_PbPS5_jNS1_19radix_merge_compareILb0ELb1EbNS0_19identity_decomposerEEEEE10hipError_tT0_T1_T2_jT3_P12ihipStream_tbPNSt15iterator_traitsISE_E10value_typeEPNSK_ISF_E10value_typeEPSG_NS1_7vsmem_tEENKUlT_SE_SF_SG_E_clIS8_S8_S9_S9_EESD_ST_SE_SF_SG_EUlST_E1_NS1_11comp_targetILNS1_3genE3ELNS1_11target_archE908ELNS1_3gpuE7ELNS1_3repE0EEENS1_36merge_oddeven_config_static_selectorELNS0_4arch9wavefront6targetE0EEEvSF_.num_named_barrier, 0
	.set _ZN7rocprim17ROCPRIM_400000_NS6detail17trampoline_kernelINS0_14default_configENS1_38merge_sort_block_merge_config_selectorIbNS0_10empty_typeEEEZZNS1_27merge_sort_block_merge_implIS3_PbPS5_jNS1_19radix_merge_compareILb0ELb1EbNS0_19identity_decomposerEEEEE10hipError_tT0_T1_T2_jT3_P12ihipStream_tbPNSt15iterator_traitsISE_E10value_typeEPNSK_ISF_E10value_typeEPSG_NS1_7vsmem_tEENKUlT_SE_SF_SG_E_clIS8_S8_S9_S9_EESD_ST_SE_SF_SG_EUlST_E1_NS1_11comp_targetILNS1_3genE3ELNS1_11target_archE908ELNS1_3gpuE7ELNS1_3repE0EEENS1_36merge_oddeven_config_static_selectorELNS0_4arch9wavefront6targetE0EEEvSF_.private_seg_size, 0
	.set _ZN7rocprim17ROCPRIM_400000_NS6detail17trampoline_kernelINS0_14default_configENS1_38merge_sort_block_merge_config_selectorIbNS0_10empty_typeEEEZZNS1_27merge_sort_block_merge_implIS3_PbPS5_jNS1_19radix_merge_compareILb0ELb1EbNS0_19identity_decomposerEEEEE10hipError_tT0_T1_T2_jT3_P12ihipStream_tbPNSt15iterator_traitsISE_E10value_typeEPNSK_ISF_E10value_typeEPSG_NS1_7vsmem_tEENKUlT_SE_SF_SG_E_clIS8_S8_S9_S9_EESD_ST_SE_SF_SG_EUlST_E1_NS1_11comp_targetILNS1_3genE3ELNS1_11target_archE908ELNS1_3gpuE7ELNS1_3repE0EEENS1_36merge_oddeven_config_static_selectorELNS0_4arch9wavefront6targetE0EEEvSF_.uses_vcc, 0
	.set _ZN7rocprim17ROCPRIM_400000_NS6detail17trampoline_kernelINS0_14default_configENS1_38merge_sort_block_merge_config_selectorIbNS0_10empty_typeEEEZZNS1_27merge_sort_block_merge_implIS3_PbPS5_jNS1_19radix_merge_compareILb0ELb1EbNS0_19identity_decomposerEEEEE10hipError_tT0_T1_T2_jT3_P12ihipStream_tbPNSt15iterator_traitsISE_E10value_typeEPNSK_ISF_E10value_typeEPSG_NS1_7vsmem_tEENKUlT_SE_SF_SG_E_clIS8_S8_S9_S9_EESD_ST_SE_SF_SG_EUlST_E1_NS1_11comp_targetILNS1_3genE3ELNS1_11target_archE908ELNS1_3gpuE7ELNS1_3repE0EEENS1_36merge_oddeven_config_static_selectorELNS0_4arch9wavefront6targetE0EEEvSF_.uses_flat_scratch, 0
	.set _ZN7rocprim17ROCPRIM_400000_NS6detail17trampoline_kernelINS0_14default_configENS1_38merge_sort_block_merge_config_selectorIbNS0_10empty_typeEEEZZNS1_27merge_sort_block_merge_implIS3_PbPS5_jNS1_19radix_merge_compareILb0ELb1EbNS0_19identity_decomposerEEEEE10hipError_tT0_T1_T2_jT3_P12ihipStream_tbPNSt15iterator_traitsISE_E10value_typeEPNSK_ISF_E10value_typeEPSG_NS1_7vsmem_tEENKUlT_SE_SF_SG_E_clIS8_S8_S9_S9_EESD_ST_SE_SF_SG_EUlST_E1_NS1_11comp_targetILNS1_3genE3ELNS1_11target_archE908ELNS1_3gpuE7ELNS1_3repE0EEENS1_36merge_oddeven_config_static_selectorELNS0_4arch9wavefront6targetE0EEEvSF_.has_dyn_sized_stack, 0
	.set _ZN7rocprim17ROCPRIM_400000_NS6detail17trampoline_kernelINS0_14default_configENS1_38merge_sort_block_merge_config_selectorIbNS0_10empty_typeEEEZZNS1_27merge_sort_block_merge_implIS3_PbPS5_jNS1_19radix_merge_compareILb0ELb1EbNS0_19identity_decomposerEEEEE10hipError_tT0_T1_T2_jT3_P12ihipStream_tbPNSt15iterator_traitsISE_E10value_typeEPNSK_ISF_E10value_typeEPSG_NS1_7vsmem_tEENKUlT_SE_SF_SG_E_clIS8_S8_S9_S9_EESD_ST_SE_SF_SG_EUlST_E1_NS1_11comp_targetILNS1_3genE3ELNS1_11target_archE908ELNS1_3gpuE7ELNS1_3repE0EEENS1_36merge_oddeven_config_static_selectorELNS0_4arch9wavefront6targetE0EEEvSF_.has_recursion, 0
	.set _ZN7rocprim17ROCPRIM_400000_NS6detail17trampoline_kernelINS0_14default_configENS1_38merge_sort_block_merge_config_selectorIbNS0_10empty_typeEEEZZNS1_27merge_sort_block_merge_implIS3_PbPS5_jNS1_19radix_merge_compareILb0ELb1EbNS0_19identity_decomposerEEEEE10hipError_tT0_T1_T2_jT3_P12ihipStream_tbPNSt15iterator_traitsISE_E10value_typeEPNSK_ISF_E10value_typeEPSG_NS1_7vsmem_tEENKUlT_SE_SF_SG_E_clIS8_S8_S9_S9_EESD_ST_SE_SF_SG_EUlST_E1_NS1_11comp_targetILNS1_3genE3ELNS1_11target_archE908ELNS1_3gpuE7ELNS1_3repE0EEENS1_36merge_oddeven_config_static_selectorELNS0_4arch9wavefront6targetE0EEEvSF_.has_indirect_call, 0
	.section	.AMDGPU.csdata,"",@progbits
; Kernel info:
; codeLenInByte = 0
; TotalNumSgprs: 0
; NumVgprs: 0
; ScratchSize: 0
; MemoryBound: 0
; FloatMode: 240
; IeeeMode: 1
; LDSByteSize: 0 bytes/workgroup (compile time only)
; SGPRBlocks: 0
; VGPRBlocks: 0
; NumSGPRsForWavesPerEU: 1
; NumVGPRsForWavesPerEU: 1
; NamedBarCnt: 0
; Occupancy: 16
; WaveLimiterHint : 0
; COMPUTE_PGM_RSRC2:SCRATCH_EN: 0
; COMPUTE_PGM_RSRC2:USER_SGPR: 2
; COMPUTE_PGM_RSRC2:TRAP_HANDLER: 0
; COMPUTE_PGM_RSRC2:TGID_X_EN: 1
; COMPUTE_PGM_RSRC2:TGID_Y_EN: 0
; COMPUTE_PGM_RSRC2:TGID_Z_EN: 0
; COMPUTE_PGM_RSRC2:TIDIG_COMP_CNT: 0
	.section	.text._ZN7rocprim17ROCPRIM_400000_NS6detail17trampoline_kernelINS0_14default_configENS1_38merge_sort_block_merge_config_selectorIbNS0_10empty_typeEEEZZNS1_27merge_sort_block_merge_implIS3_PbPS5_jNS1_19radix_merge_compareILb0ELb1EbNS0_19identity_decomposerEEEEE10hipError_tT0_T1_T2_jT3_P12ihipStream_tbPNSt15iterator_traitsISE_E10value_typeEPNSK_ISF_E10value_typeEPSG_NS1_7vsmem_tEENKUlT_SE_SF_SG_E_clIS8_S8_S9_S9_EESD_ST_SE_SF_SG_EUlST_E1_NS1_11comp_targetILNS1_3genE2ELNS1_11target_archE906ELNS1_3gpuE6ELNS1_3repE0EEENS1_36merge_oddeven_config_static_selectorELNS0_4arch9wavefront6targetE0EEEvSF_,"axG",@progbits,_ZN7rocprim17ROCPRIM_400000_NS6detail17trampoline_kernelINS0_14default_configENS1_38merge_sort_block_merge_config_selectorIbNS0_10empty_typeEEEZZNS1_27merge_sort_block_merge_implIS3_PbPS5_jNS1_19radix_merge_compareILb0ELb1EbNS0_19identity_decomposerEEEEE10hipError_tT0_T1_T2_jT3_P12ihipStream_tbPNSt15iterator_traitsISE_E10value_typeEPNSK_ISF_E10value_typeEPSG_NS1_7vsmem_tEENKUlT_SE_SF_SG_E_clIS8_S8_S9_S9_EESD_ST_SE_SF_SG_EUlST_E1_NS1_11comp_targetILNS1_3genE2ELNS1_11target_archE906ELNS1_3gpuE6ELNS1_3repE0EEENS1_36merge_oddeven_config_static_selectorELNS0_4arch9wavefront6targetE0EEEvSF_,comdat
	.protected	_ZN7rocprim17ROCPRIM_400000_NS6detail17trampoline_kernelINS0_14default_configENS1_38merge_sort_block_merge_config_selectorIbNS0_10empty_typeEEEZZNS1_27merge_sort_block_merge_implIS3_PbPS5_jNS1_19radix_merge_compareILb0ELb1EbNS0_19identity_decomposerEEEEE10hipError_tT0_T1_T2_jT3_P12ihipStream_tbPNSt15iterator_traitsISE_E10value_typeEPNSK_ISF_E10value_typeEPSG_NS1_7vsmem_tEENKUlT_SE_SF_SG_E_clIS8_S8_S9_S9_EESD_ST_SE_SF_SG_EUlST_E1_NS1_11comp_targetILNS1_3genE2ELNS1_11target_archE906ELNS1_3gpuE6ELNS1_3repE0EEENS1_36merge_oddeven_config_static_selectorELNS0_4arch9wavefront6targetE0EEEvSF_ ; -- Begin function _ZN7rocprim17ROCPRIM_400000_NS6detail17trampoline_kernelINS0_14default_configENS1_38merge_sort_block_merge_config_selectorIbNS0_10empty_typeEEEZZNS1_27merge_sort_block_merge_implIS3_PbPS5_jNS1_19radix_merge_compareILb0ELb1EbNS0_19identity_decomposerEEEEE10hipError_tT0_T1_T2_jT3_P12ihipStream_tbPNSt15iterator_traitsISE_E10value_typeEPNSK_ISF_E10value_typeEPSG_NS1_7vsmem_tEENKUlT_SE_SF_SG_E_clIS8_S8_S9_S9_EESD_ST_SE_SF_SG_EUlST_E1_NS1_11comp_targetILNS1_3genE2ELNS1_11target_archE906ELNS1_3gpuE6ELNS1_3repE0EEENS1_36merge_oddeven_config_static_selectorELNS0_4arch9wavefront6targetE0EEEvSF_
	.globl	_ZN7rocprim17ROCPRIM_400000_NS6detail17trampoline_kernelINS0_14default_configENS1_38merge_sort_block_merge_config_selectorIbNS0_10empty_typeEEEZZNS1_27merge_sort_block_merge_implIS3_PbPS5_jNS1_19radix_merge_compareILb0ELb1EbNS0_19identity_decomposerEEEEE10hipError_tT0_T1_T2_jT3_P12ihipStream_tbPNSt15iterator_traitsISE_E10value_typeEPNSK_ISF_E10value_typeEPSG_NS1_7vsmem_tEENKUlT_SE_SF_SG_E_clIS8_S8_S9_S9_EESD_ST_SE_SF_SG_EUlST_E1_NS1_11comp_targetILNS1_3genE2ELNS1_11target_archE906ELNS1_3gpuE6ELNS1_3repE0EEENS1_36merge_oddeven_config_static_selectorELNS0_4arch9wavefront6targetE0EEEvSF_
	.p2align	8
	.type	_ZN7rocprim17ROCPRIM_400000_NS6detail17trampoline_kernelINS0_14default_configENS1_38merge_sort_block_merge_config_selectorIbNS0_10empty_typeEEEZZNS1_27merge_sort_block_merge_implIS3_PbPS5_jNS1_19radix_merge_compareILb0ELb1EbNS0_19identity_decomposerEEEEE10hipError_tT0_T1_T2_jT3_P12ihipStream_tbPNSt15iterator_traitsISE_E10value_typeEPNSK_ISF_E10value_typeEPSG_NS1_7vsmem_tEENKUlT_SE_SF_SG_E_clIS8_S8_S9_S9_EESD_ST_SE_SF_SG_EUlST_E1_NS1_11comp_targetILNS1_3genE2ELNS1_11target_archE906ELNS1_3gpuE6ELNS1_3repE0EEENS1_36merge_oddeven_config_static_selectorELNS0_4arch9wavefront6targetE0EEEvSF_,@function
_ZN7rocprim17ROCPRIM_400000_NS6detail17trampoline_kernelINS0_14default_configENS1_38merge_sort_block_merge_config_selectorIbNS0_10empty_typeEEEZZNS1_27merge_sort_block_merge_implIS3_PbPS5_jNS1_19radix_merge_compareILb0ELb1EbNS0_19identity_decomposerEEEEE10hipError_tT0_T1_T2_jT3_P12ihipStream_tbPNSt15iterator_traitsISE_E10value_typeEPNSK_ISF_E10value_typeEPSG_NS1_7vsmem_tEENKUlT_SE_SF_SG_E_clIS8_S8_S9_S9_EESD_ST_SE_SF_SG_EUlST_E1_NS1_11comp_targetILNS1_3genE2ELNS1_11target_archE906ELNS1_3gpuE6ELNS1_3repE0EEENS1_36merge_oddeven_config_static_selectorELNS0_4arch9wavefront6targetE0EEEvSF_: ; @_ZN7rocprim17ROCPRIM_400000_NS6detail17trampoline_kernelINS0_14default_configENS1_38merge_sort_block_merge_config_selectorIbNS0_10empty_typeEEEZZNS1_27merge_sort_block_merge_implIS3_PbPS5_jNS1_19radix_merge_compareILb0ELb1EbNS0_19identity_decomposerEEEEE10hipError_tT0_T1_T2_jT3_P12ihipStream_tbPNSt15iterator_traitsISE_E10value_typeEPNSK_ISF_E10value_typeEPSG_NS1_7vsmem_tEENKUlT_SE_SF_SG_E_clIS8_S8_S9_S9_EESD_ST_SE_SF_SG_EUlST_E1_NS1_11comp_targetILNS1_3genE2ELNS1_11target_archE906ELNS1_3gpuE6ELNS1_3repE0EEENS1_36merge_oddeven_config_static_selectorELNS0_4arch9wavefront6targetE0EEEvSF_
; %bb.0:
	.section	.rodata,"a",@progbits
	.p2align	6, 0x0
	.amdhsa_kernel _ZN7rocprim17ROCPRIM_400000_NS6detail17trampoline_kernelINS0_14default_configENS1_38merge_sort_block_merge_config_selectorIbNS0_10empty_typeEEEZZNS1_27merge_sort_block_merge_implIS3_PbPS5_jNS1_19radix_merge_compareILb0ELb1EbNS0_19identity_decomposerEEEEE10hipError_tT0_T1_T2_jT3_P12ihipStream_tbPNSt15iterator_traitsISE_E10value_typeEPNSK_ISF_E10value_typeEPSG_NS1_7vsmem_tEENKUlT_SE_SF_SG_E_clIS8_S8_S9_S9_EESD_ST_SE_SF_SG_EUlST_E1_NS1_11comp_targetILNS1_3genE2ELNS1_11target_archE906ELNS1_3gpuE6ELNS1_3repE0EEENS1_36merge_oddeven_config_static_selectorELNS0_4arch9wavefront6targetE0EEEvSF_
		.amdhsa_group_segment_fixed_size 0
		.amdhsa_private_segment_fixed_size 0
		.amdhsa_kernarg_size 48
		.amdhsa_user_sgpr_count 2
		.amdhsa_user_sgpr_dispatch_ptr 0
		.amdhsa_user_sgpr_queue_ptr 0
		.amdhsa_user_sgpr_kernarg_segment_ptr 1
		.amdhsa_user_sgpr_dispatch_id 0
		.amdhsa_user_sgpr_kernarg_preload_length 0
		.amdhsa_user_sgpr_kernarg_preload_offset 0
		.amdhsa_user_sgpr_private_segment_size 0
		.amdhsa_wavefront_size32 1
		.amdhsa_uses_dynamic_stack 0
		.amdhsa_enable_private_segment 0
		.amdhsa_system_sgpr_workgroup_id_x 1
		.amdhsa_system_sgpr_workgroup_id_y 0
		.amdhsa_system_sgpr_workgroup_id_z 0
		.amdhsa_system_sgpr_workgroup_info 0
		.amdhsa_system_vgpr_workitem_id 0
		.amdhsa_next_free_vgpr 1
		.amdhsa_next_free_sgpr 1
		.amdhsa_named_barrier_count 0
		.amdhsa_reserve_vcc 0
		.amdhsa_float_round_mode_32 0
		.amdhsa_float_round_mode_16_64 0
		.amdhsa_float_denorm_mode_32 3
		.amdhsa_float_denorm_mode_16_64 3
		.amdhsa_fp16_overflow 0
		.amdhsa_memory_ordered 1
		.amdhsa_forward_progress 1
		.amdhsa_inst_pref_size 0
		.amdhsa_round_robin_scheduling 0
		.amdhsa_exception_fp_ieee_invalid_op 0
		.amdhsa_exception_fp_denorm_src 0
		.amdhsa_exception_fp_ieee_div_zero 0
		.amdhsa_exception_fp_ieee_overflow 0
		.amdhsa_exception_fp_ieee_underflow 0
		.amdhsa_exception_fp_ieee_inexact 0
		.amdhsa_exception_int_div_zero 0
	.end_amdhsa_kernel
	.section	.text._ZN7rocprim17ROCPRIM_400000_NS6detail17trampoline_kernelINS0_14default_configENS1_38merge_sort_block_merge_config_selectorIbNS0_10empty_typeEEEZZNS1_27merge_sort_block_merge_implIS3_PbPS5_jNS1_19radix_merge_compareILb0ELb1EbNS0_19identity_decomposerEEEEE10hipError_tT0_T1_T2_jT3_P12ihipStream_tbPNSt15iterator_traitsISE_E10value_typeEPNSK_ISF_E10value_typeEPSG_NS1_7vsmem_tEENKUlT_SE_SF_SG_E_clIS8_S8_S9_S9_EESD_ST_SE_SF_SG_EUlST_E1_NS1_11comp_targetILNS1_3genE2ELNS1_11target_archE906ELNS1_3gpuE6ELNS1_3repE0EEENS1_36merge_oddeven_config_static_selectorELNS0_4arch9wavefront6targetE0EEEvSF_,"axG",@progbits,_ZN7rocprim17ROCPRIM_400000_NS6detail17trampoline_kernelINS0_14default_configENS1_38merge_sort_block_merge_config_selectorIbNS0_10empty_typeEEEZZNS1_27merge_sort_block_merge_implIS3_PbPS5_jNS1_19radix_merge_compareILb0ELb1EbNS0_19identity_decomposerEEEEE10hipError_tT0_T1_T2_jT3_P12ihipStream_tbPNSt15iterator_traitsISE_E10value_typeEPNSK_ISF_E10value_typeEPSG_NS1_7vsmem_tEENKUlT_SE_SF_SG_E_clIS8_S8_S9_S9_EESD_ST_SE_SF_SG_EUlST_E1_NS1_11comp_targetILNS1_3genE2ELNS1_11target_archE906ELNS1_3gpuE6ELNS1_3repE0EEENS1_36merge_oddeven_config_static_selectorELNS0_4arch9wavefront6targetE0EEEvSF_,comdat
.Lfunc_end1831:
	.size	_ZN7rocprim17ROCPRIM_400000_NS6detail17trampoline_kernelINS0_14default_configENS1_38merge_sort_block_merge_config_selectorIbNS0_10empty_typeEEEZZNS1_27merge_sort_block_merge_implIS3_PbPS5_jNS1_19radix_merge_compareILb0ELb1EbNS0_19identity_decomposerEEEEE10hipError_tT0_T1_T2_jT3_P12ihipStream_tbPNSt15iterator_traitsISE_E10value_typeEPNSK_ISF_E10value_typeEPSG_NS1_7vsmem_tEENKUlT_SE_SF_SG_E_clIS8_S8_S9_S9_EESD_ST_SE_SF_SG_EUlST_E1_NS1_11comp_targetILNS1_3genE2ELNS1_11target_archE906ELNS1_3gpuE6ELNS1_3repE0EEENS1_36merge_oddeven_config_static_selectorELNS0_4arch9wavefront6targetE0EEEvSF_, .Lfunc_end1831-_ZN7rocprim17ROCPRIM_400000_NS6detail17trampoline_kernelINS0_14default_configENS1_38merge_sort_block_merge_config_selectorIbNS0_10empty_typeEEEZZNS1_27merge_sort_block_merge_implIS3_PbPS5_jNS1_19radix_merge_compareILb0ELb1EbNS0_19identity_decomposerEEEEE10hipError_tT0_T1_T2_jT3_P12ihipStream_tbPNSt15iterator_traitsISE_E10value_typeEPNSK_ISF_E10value_typeEPSG_NS1_7vsmem_tEENKUlT_SE_SF_SG_E_clIS8_S8_S9_S9_EESD_ST_SE_SF_SG_EUlST_E1_NS1_11comp_targetILNS1_3genE2ELNS1_11target_archE906ELNS1_3gpuE6ELNS1_3repE0EEENS1_36merge_oddeven_config_static_selectorELNS0_4arch9wavefront6targetE0EEEvSF_
                                        ; -- End function
	.set _ZN7rocprim17ROCPRIM_400000_NS6detail17trampoline_kernelINS0_14default_configENS1_38merge_sort_block_merge_config_selectorIbNS0_10empty_typeEEEZZNS1_27merge_sort_block_merge_implIS3_PbPS5_jNS1_19radix_merge_compareILb0ELb1EbNS0_19identity_decomposerEEEEE10hipError_tT0_T1_T2_jT3_P12ihipStream_tbPNSt15iterator_traitsISE_E10value_typeEPNSK_ISF_E10value_typeEPSG_NS1_7vsmem_tEENKUlT_SE_SF_SG_E_clIS8_S8_S9_S9_EESD_ST_SE_SF_SG_EUlST_E1_NS1_11comp_targetILNS1_3genE2ELNS1_11target_archE906ELNS1_3gpuE6ELNS1_3repE0EEENS1_36merge_oddeven_config_static_selectorELNS0_4arch9wavefront6targetE0EEEvSF_.num_vgpr, 0
	.set _ZN7rocprim17ROCPRIM_400000_NS6detail17trampoline_kernelINS0_14default_configENS1_38merge_sort_block_merge_config_selectorIbNS0_10empty_typeEEEZZNS1_27merge_sort_block_merge_implIS3_PbPS5_jNS1_19radix_merge_compareILb0ELb1EbNS0_19identity_decomposerEEEEE10hipError_tT0_T1_T2_jT3_P12ihipStream_tbPNSt15iterator_traitsISE_E10value_typeEPNSK_ISF_E10value_typeEPSG_NS1_7vsmem_tEENKUlT_SE_SF_SG_E_clIS8_S8_S9_S9_EESD_ST_SE_SF_SG_EUlST_E1_NS1_11comp_targetILNS1_3genE2ELNS1_11target_archE906ELNS1_3gpuE6ELNS1_3repE0EEENS1_36merge_oddeven_config_static_selectorELNS0_4arch9wavefront6targetE0EEEvSF_.num_agpr, 0
	.set _ZN7rocprim17ROCPRIM_400000_NS6detail17trampoline_kernelINS0_14default_configENS1_38merge_sort_block_merge_config_selectorIbNS0_10empty_typeEEEZZNS1_27merge_sort_block_merge_implIS3_PbPS5_jNS1_19radix_merge_compareILb0ELb1EbNS0_19identity_decomposerEEEEE10hipError_tT0_T1_T2_jT3_P12ihipStream_tbPNSt15iterator_traitsISE_E10value_typeEPNSK_ISF_E10value_typeEPSG_NS1_7vsmem_tEENKUlT_SE_SF_SG_E_clIS8_S8_S9_S9_EESD_ST_SE_SF_SG_EUlST_E1_NS1_11comp_targetILNS1_3genE2ELNS1_11target_archE906ELNS1_3gpuE6ELNS1_3repE0EEENS1_36merge_oddeven_config_static_selectorELNS0_4arch9wavefront6targetE0EEEvSF_.numbered_sgpr, 0
	.set _ZN7rocprim17ROCPRIM_400000_NS6detail17trampoline_kernelINS0_14default_configENS1_38merge_sort_block_merge_config_selectorIbNS0_10empty_typeEEEZZNS1_27merge_sort_block_merge_implIS3_PbPS5_jNS1_19radix_merge_compareILb0ELb1EbNS0_19identity_decomposerEEEEE10hipError_tT0_T1_T2_jT3_P12ihipStream_tbPNSt15iterator_traitsISE_E10value_typeEPNSK_ISF_E10value_typeEPSG_NS1_7vsmem_tEENKUlT_SE_SF_SG_E_clIS8_S8_S9_S9_EESD_ST_SE_SF_SG_EUlST_E1_NS1_11comp_targetILNS1_3genE2ELNS1_11target_archE906ELNS1_3gpuE6ELNS1_3repE0EEENS1_36merge_oddeven_config_static_selectorELNS0_4arch9wavefront6targetE0EEEvSF_.num_named_barrier, 0
	.set _ZN7rocprim17ROCPRIM_400000_NS6detail17trampoline_kernelINS0_14default_configENS1_38merge_sort_block_merge_config_selectorIbNS0_10empty_typeEEEZZNS1_27merge_sort_block_merge_implIS3_PbPS5_jNS1_19radix_merge_compareILb0ELb1EbNS0_19identity_decomposerEEEEE10hipError_tT0_T1_T2_jT3_P12ihipStream_tbPNSt15iterator_traitsISE_E10value_typeEPNSK_ISF_E10value_typeEPSG_NS1_7vsmem_tEENKUlT_SE_SF_SG_E_clIS8_S8_S9_S9_EESD_ST_SE_SF_SG_EUlST_E1_NS1_11comp_targetILNS1_3genE2ELNS1_11target_archE906ELNS1_3gpuE6ELNS1_3repE0EEENS1_36merge_oddeven_config_static_selectorELNS0_4arch9wavefront6targetE0EEEvSF_.private_seg_size, 0
	.set _ZN7rocprim17ROCPRIM_400000_NS6detail17trampoline_kernelINS0_14default_configENS1_38merge_sort_block_merge_config_selectorIbNS0_10empty_typeEEEZZNS1_27merge_sort_block_merge_implIS3_PbPS5_jNS1_19radix_merge_compareILb0ELb1EbNS0_19identity_decomposerEEEEE10hipError_tT0_T1_T2_jT3_P12ihipStream_tbPNSt15iterator_traitsISE_E10value_typeEPNSK_ISF_E10value_typeEPSG_NS1_7vsmem_tEENKUlT_SE_SF_SG_E_clIS8_S8_S9_S9_EESD_ST_SE_SF_SG_EUlST_E1_NS1_11comp_targetILNS1_3genE2ELNS1_11target_archE906ELNS1_3gpuE6ELNS1_3repE0EEENS1_36merge_oddeven_config_static_selectorELNS0_4arch9wavefront6targetE0EEEvSF_.uses_vcc, 0
	.set _ZN7rocprim17ROCPRIM_400000_NS6detail17trampoline_kernelINS0_14default_configENS1_38merge_sort_block_merge_config_selectorIbNS0_10empty_typeEEEZZNS1_27merge_sort_block_merge_implIS3_PbPS5_jNS1_19radix_merge_compareILb0ELb1EbNS0_19identity_decomposerEEEEE10hipError_tT0_T1_T2_jT3_P12ihipStream_tbPNSt15iterator_traitsISE_E10value_typeEPNSK_ISF_E10value_typeEPSG_NS1_7vsmem_tEENKUlT_SE_SF_SG_E_clIS8_S8_S9_S9_EESD_ST_SE_SF_SG_EUlST_E1_NS1_11comp_targetILNS1_3genE2ELNS1_11target_archE906ELNS1_3gpuE6ELNS1_3repE0EEENS1_36merge_oddeven_config_static_selectorELNS0_4arch9wavefront6targetE0EEEvSF_.uses_flat_scratch, 0
	.set _ZN7rocprim17ROCPRIM_400000_NS6detail17trampoline_kernelINS0_14default_configENS1_38merge_sort_block_merge_config_selectorIbNS0_10empty_typeEEEZZNS1_27merge_sort_block_merge_implIS3_PbPS5_jNS1_19radix_merge_compareILb0ELb1EbNS0_19identity_decomposerEEEEE10hipError_tT0_T1_T2_jT3_P12ihipStream_tbPNSt15iterator_traitsISE_E10value_typeEPNSK_ISF_E10value_typeEPSG_NS1_7vsmem_tEENKUlT_SE_SF_SG_E_clIS8_S8_S9_S9_EESD_ST_SE_SF_SG_EUlST_E1_NS1_11comp_targetILNS1_3genE2ELNS1_11target_archE906ELNS1_3gpuE6ELNS1_3repE0EEENS1_36merge_oddeven_config_static_selectorELNS0_4arch9wavefront6targetE0EEEvSF_.has_dyn_sized_stack, 0
	.set _ZN7rocprim17ROCPRIM_400000_NS6detail17trampoline_kernelINS0_14default_configENS1_38merge_sort_block_merge_config_selectorIbNS0_10empty_typeEEEZZNS1_27merge_sort_block_merge_implIS3_PbPS5_jNS1_19radix_merge_compareILb0ELb1EbNS0_19identity_decomposerEEEEE10hipError_tT0_T1_T2_jT3_P12ihipStream_tbPNSt15iterator_traitsISE_E10value_typeEPNSK_ISF_E10value_typeEPSG_NS1_7vsmem_tEENKUlT_SE_SF_SG_E_clIS8_S8_S9_S9_EESD_ST_SE_SF_SG_EUlST_E1_NS1_11comp_targetILNS1_3genE2ELNS1_11target_archE906ELNS1_3gpuE6ELNS1_3repE0EEENS1_36merge_oddeven_config_static_selectorELNS0_4arch9wavefront6targetE0EEEvSF_.has_recursion, 0
	.set _ZN7rocprim17ROCPRIM_400000_NS6detail17trampoline_kernelINS0_14default_configENS1_38merge_sort_block_merge_config_selectorIbNS0_10empty_typeEEEZZNS1_27merge_sort_block_merge_implIS3_PbPS5_jNS1_19radix_merge_compareILb0ELb1EbNS0_19identity_decomposerEEEEE10hipError_tT0_T1_T2_jT3_P12ihipStream_tbPNSt15iterator_traitsISE_E10value_typeEPNSK_ISF_E10value_typeEPSG_NS1_7vsmem_tEENKUlT_SE_SF_SG_E_clIS8_S8_S9_S9_EESD_ST_SE_SF_SG_EUlST_E1_NS1_11comp_targetILNS1_3genE2ELNS1_11target_archE906ELNS1_3gpuE6ELNS1_3repE0EEENS1_36merge_oddeven_config_static_selectorELNS0_4arch9wavefront6targetE0EEEvSF_.has_indirect_call, 0
	.section	.AMDGPU.csdata,"",@progbits
; Kernel info:
; codeLenInByte = 0
; TotalNumSgprs: 0
; NumVgprs: 0
; ScratchSize: 0
; MemoryBound: 0
; FloatMode: 240
; IeeeMode: 1
; LDSByteSize: 0 bytes/workgroup (compile time only)
; SGPRBlocks: 0
; VGPRBlocks: 0
; NumSGPRsForWavesPerEU: 1
; NumVGPRsForWavesPerEU: 1
; NamedBarCnt: 0
; Occupancy: 16
; WaveLimiterHint : 0
; COMPUTE_PGM_RSRC2:SCRATCH_EN: 0
; COMPUTE_PGM_RSRC2:USER_SGPR: 2
; COMPUTE_PGM_RSRC2:TRAP_HANDLER: 0
; COMPUTE_PGM_RSRC2:TGID_X_EN: 1
; COMPUTE_PGM_RSRC2:TGID_Y_EN: 0
; COMPUTE_PGM_RSRC2:TGID_Z_EN: 0
; COMPUTE_PGM_RSRC2:TIDIG_COMP_CNT: 0
	.section	.text._ZN7rocprim17ROCPRIM_400000_NS6detail17trampoline_kernelINS0_14default_configENS1_38merge_sort_block_merge_config_selectorIbNS0_10empty_typeEEEZZNS1_27merge_sort_block_merge_implIS3_PbPS5_jNS1_19radix_merge_compareILb0ELb1EbNS0_19identity_decomposerEEEEE10hipError_tT0_T1_T2_jT3_P12ihipStream_tbPNSt15iterator_traitsISE_E10value_typeEPNSK_ISF_E10value_typeEPSG_NS1_7vsmem_tEENKUlT_SE_SF_SG_E_clIS8_S8_S9_S9_EESD_ST_SE_SF_SG_EUlST_E1_NS1_11comp_targetILNS1_3genE9ELNS1_11target_archE1100ELNS1_3gpuE3ELNS1_3repE0EEENS1_36merge_oddeven_config_static_selectorELNS0_4arch9wavefront6targetE0EEEvSF_,"axG",@progbits,_ZN7rocprim17ROCPRIM_400000_NS6detail17trampoline_kernelINS0_14default_configENS1_38merge_sort_block_merge_config_selectorIbNS0_10empty_typeEEEZZNS1_27merge_sort_block_merge_implIS3_PbPS5_jNS1_19radix_merge_compareILb0ELb1EbNS0_19identity_decomposerEEEEE10hipError_tT0_T1_T2_jT3_P12ihipStream_tbPNSt15iterator_traitsISE_E10value_typeEPNSK_ISF_E10value_typeEPSG_NS1_7vsmem_tEENKUlT_SE_SF_SG_E_clIS8_S8_S9_S9_EESD_ST_SE_SF_SG_EUlST_E1_NS1_11comp_targetILNS1_3genE9ELNS1_11target_archE1100ELNS1_3gpuE3ELNS1_3repE0EEENS1_36merge_oddeven_config_static_selectorELNS0_4arch9wavefront6targetE0EEEvSF_,comdat
	.protected	_ZN7rocprim17ROCPRIM_400000_NS6detail17trampoline_kernelINS0_14default_configENS1_38merge_sort_block_merge_config_selectorIbNS0_10empty_typeEEEZZNS1_27merge_sort_block_merge_implIS3_PbPS5_jNS1_19radix_merge_compareILb0ELb1EbNS0_19identity_decomposerEEEEE10hipError_tT0_T1_T2_jT3_P12ihipStream_tbPNSt15iterator_traitsISE_E10value_typeEPNSK_ISF_E10value_typeEPSG_NS1_7vsmem_tEENKUlT_SE_SF_SG_E_clIS8_S8_S9_S9_EESD_ST_SE_SF_SG_EUlST_E1_NS1_11comp_targetILNS1_3genE9ELNS1_11target_archE1100ELNS1_3gpuE3ELNS1_3repE0EEENS1_36merge_oddeven_config_static_selectorELNS0_4arch9wavefront6targetE0EEEvSF_ ; -- Begin function _ZN7rocprim17ROCPRIM_400000_NS6detail17trampoline_kernelINS0_14default_configENS1_38merge_sort_block_merge_config_selectorIbNS0_10empty_typeEEEZZNS1_27merge_sort_block_merge_implIS3_PbPS5_jNS1_19radix_merge_compareILb0ELb1EbNS0_19identity_decomposerEEEEE10hipError_tT0_T1_T2_jT3_P12ihipStream_tbPNSt15iterator_traitsISE_E10value_typeEPNSK_ISF_E10value_typeEPSG_NS1_7vsmem_tEENKUlT_SE_SF_SG_E_clIS8_S8_S9_S9_EESD_ST_SE_SF_SG_EUlST_E1_NS1_11comp_targetILNS1_3genE9ELNS1_11target_archE1100ELNS1_3gpuE3ELNS1_3repE0EEENS1_36merge_oddeven_config_static_selectorELNS0_4arch9wavefront6targetE0EEEvSF_
	.globl	_ZN7rocprim17ROCPRIM_400000_NS6detail17trampoline_kernelINS0_14default_configENS1_38merge_sort_block_merge_config_selectorIbNS0_10empty_typeEEEZZNS1_27merge_sort_block_merge_implIS3_PbPS5_jNS1_19radix_merge_compareILb0ELb1EbNS0_19identity_decomposerEEEEE10hipError_tT0_T1_T2_jT3_P12ihipStream_tbPNSt15iterator_traitsISE_E10value_typeEPNSK_ISF_E10value_typeEPSG_NS1_7vsmem_tEENKUlT_SE_SF_SG_E_clIS8_S8_S9_S9_EESD_ST_SE_SF_SG_EUlST_E1_NS1_11comp_targetILNS1_3genE9ELNS1_11target_archE1100ELNS1_3gpuE3ELNS1_3repE0EEENS1_36merge_oddeven_config_static_selectorELNS0_4arch9wavefront6targetE0EEEvSF_
	.p2align	8
	.type	_ZN7rocprim17ROCPRIM_400000_NS6detail17trampoline_kernelINS0_14default_configENS1_38merge_sort_block_merge_config_selectorIbNS0_10empty_typeEEEZZNS1_27merge_sort_block_merge_implIS3_PbPS5_jNS1_19radix_merge_compareILb0ELb1EbNS0_19identity_decomposerEEEEE10hipError_tT0_T1_T2_jT3_P12ihipStream_tbPNSt15iterator_traitsISE_E10value_typeEPNSK_ISF_E10value_typeEPSG_NS1_7vsmem_tEENKUlT_SE_SF_SG_E_clIS8_S8_S9_S9_EESD_ST_SE_SF_SG_EUlST_E1_NS1_11comp_targetILNS1_3genE9ELNS1_11target_archE1100ELNS1_3gpuE3ELNS1_3repE0EEENS1_36merge_oddeven_config_static_selectorELNS0_4arch9wavefront6targetE0EEEvSF_,@function
_ZN7rocprim17ROCPRIM_400000_NS6detail17trampoline_kernelINS0_14default_configENS1_38merge_sort_block_merge_config_selectorIbNS0_10empty_typeEEEZZNS1_27merge_sort_block_merge_implIS3_PbPS5_jNS1_19radix_merge_compareILb0ELb1EbNS0_19identity_decomposerEEEEE10hipError_tT0_T1_T2_jT3_P12ihipStream_tbPNSt15iterator_traitsISE_E10value_typeEPNSK_ISF_E10value_typeEPSG_NS1_7vsmem_tEENKUlT_SE_SF_SG_E_clIS8_S8_S9_S9_EESD_ST_SE_SF_SG_EUlST_E1_NS1_11comp_targetILNS1_3genE9ELNS1_11target_archE1100ELNS1_3gpuE3ELNS1_3repE0EEENS1_36merge_oddeven_config_static_selectorELNS0_4arch9wavefront6targetE0EEEvSF_: ; @_ZN7rocprim17ROCPRIM_400000_NS6detail17trampoline_kernelINS0_14default_configENS1_38merge_sort_block_merge_config_selectorIbNS0_10empty_typeEEEZZNS1_27merge_sort_block_merge_implIS3_PbPS5_jNS1_19radix_merge_compareILb0ELb1EbNS0_19identity_decomposerEEEEE10hipError_tT0_T1_T2_jT3_P12ihipStream_tbPNSt15iterator_traitsISE_E10value_typeEPNSK_ISF_E10value_typeEPSG_NS1_7vsmem_tEENKUlT_SE_SF_SG_E_clIS8_S8_S9_S9_EESD_ST_SE_SF_SG_EUlST_E1_NS1_11comp_targetILNS1_3genE9ELNS1_11target_archE1100ELNS1_3gpuE3ELNS1_3repE0EEENS1_36merge_oddeven_config_static_selectorELNS0_4arch9wavefront6targetE0EEEvSF_
; %bb.0:
	.section	.rodata,"a",@progbits
	.p2align	6, 0x0
	.amdhsa_kernel _ZN7rocprim17ROCPRIM_400000_NS6detail17trampoline_kernelINS0_14default_configENS1_38merge_sort_block_merge_config_selectorIbNS0_10empty_typeEEEZZNS1_27merge_sort_block_merge_implIS3_PbPS5_jNS1_19radix_merge_compareILb0ELb1EbNS0_19identity_decomposerEEEEE10hipError_tT0_T1_T2_jT3_P12ihipStream_tbPNSt15iterator_traitsISE_E10value_typeEPNSK_ISF_E10value_typeEPSG_NS1_7vsmem_tEENKUlT_SE_SF_SG_E_clIS8_S8_S9_S9_EESD_ST_SE_SF_SG_EUlST_E1_NS1_11comp_targetILNS1_3genE9ELNS1_11target_archE1100ELNS1_3gpuE3ELNS1_3repE0EEENS1_36merge_oddeven_config_static_selectorELNS0_4arch9wavefront6targetE0EEEvSF_
		.amdhsa_group_segment_fixed_size 0
		.amdhsa_private_segment_fixed_size 0
		.amdhsa_kernarg_size 48
		.amdhsa_user_sgpr_count 2
		.amdhsa_user_sgpr_dispatch_ptr 0
		.amdhsa_user_sgpr_queue_ptr 0
		.amdhsa_user_sgpr_kernarg_segment_ptr 1
		.amdhsa_user_sgpr_dispatch_id 0
		.amdhsa_user_sgpr_kernarg_preload_length 0
		.amdhsa_user_sgpr_kernarg_preload_offset 0
		.amdhsa_user_sgpr_private_segment_size 0
		.amdhsa_wavefront_size32 1
		.amdhsa_uses_dynamic_stack 0
		.amdhsa_enable_private_segment 0
		.amdhsa_system_sgpr_workgroup_id_x 1
		.amdhsa_system_sgpr_workgroup_id_y 0
		.amdhsa_system_sgpr_workgroup_id_z 0
		.amdhsa_system_sgpr_workgroup_info 0
		.amdhsa_system_vgpr_workitem_id 0
		.amdhsa_next_free_vgpr 1
		.amdhsa_next_free_sgpr 1
		.amdhsa_named_barrier_count 0
		.amdhsa_reserve_vcc 0
		.amdhsa_float_round_mode_32 0
		.amdhsa_float_round_mode_16_64 0
		.amdhsa_float_denorm_mode_32 3
		.amdhsa_float_denorm_mode_16_64 3
		.amdhsa_fp16_overflow 0
		.amdhsa_memory_ordered 1
		.amdhsa_forward_progress 1
		.amdhsa_inst_pref_size 0
		.amdhsa_round_robin_scheduling 0
		.amdhsa_exception_fp_ieee_invalid_op 0
		.amdhsa_exception_fp_denorm_src 0
		.amdhsa_exception_fp_ieee_div_zero 0
		.amdhsa_exception_fp_ieee_overflow 0
		.amdhsa_exception_fp_ieee_underflow 0
		.amdhsa_exception_fp_ieee_inexact 0
		.amdhsa_exception_int_div_zero 0
	.end_amdhsa_kernel
	.section	.text._ZN7rocprim17ROCPRIM_400000_NS6detail17trampoline_kernelINS0_14default_configENS1_38merge_sort_block_merge_config_selectorIbNS0_10empty_typeEEEZZNS1_27merge_sort_block_merge_implIS3_PbPS5_jNS1_19radix_merge_compareILb0ELb1EbNS0_19identity_decomposerEEEEE10hipError_tT0_T1_T2_jT3_P12ihipStream_tbPNSt15iterator_traitsISE_E10value_typeEPNSK_ISF_E10value_typeEPSG_NS1_7vsmem_tEENKUlT_SE_SF_SG_E_clIS8_S8_S9_S9_EESD_ST_SE_SF_SG_EUlST_E1_NS1_11comp_targetILNS1_3genE9ELNS1_11target_archE1100ELNS1_3gpuE3ELNS1_3repE0EEENS1_36merge_oddeven_config_static_selectorELNS0_4arch9wavefront6targetE0EEEvSF_,"axG",@progbits,_ZN7rocprim17ROCPRIM_400000_NS6detail17trampoline_kernelINS0_14default_configENS1_38merge_sort_block_merge_config_selectorIbNS0_10empty_typeEEEZZNS1_27merge_sort_block_merge_implIS3_PbPS5_jNS1_19radix_merge_compareILb0ELb1EbNS0_19identity_decomposerEEEEE10hipError_tT0_T1_T2_jT3_P12ihipStream_tbPNSt15iterator_traitsISE_E10value_typeEPNSK_ISF_E10value_typeEPSG_NS1_7vsmem_tEENKUlT_SE_SF_SG_E_clIS8_S8_S9_S9_EESD_ST_SE_SF_SG_EUlST_E1_NS1_11comp_targetILNS1_3genE9ELNS1_11target_archE1100ELNS1_3gpuE3ELNS1_3repE0EEENS1_36merge_oddeven_config_static_selectorELNS0_4arch9wavefront6targetE0EEEvSF_,comdat
.Lfunc_end1832:
	.size	_ZN7rocprim17ROCPRIM_400000_NS6detail17trampoline_kernelINS0_14default_configENS1_38merge_sort_block_merge_config_selectorIbNS0_10empty_typeEEEZZNS1_27merge_sort_block_merge_implIS3_PbPS5_jNS1_19radix_merge_compareILb0ELb1EbNS0_19identity_decomposerEEEEE10hipError_tT0_T1_T2_jT3_P12ihipStream_tbPNSt15iterator_traitsISE_E10value_typeEPNSK_ISF_E10value_typeEPSG_NS1_7vsmem_tEENKUlT_SE_SF_SG_E_clIS8_S8_S9_S9_EESD_ST_SE_SF_SG_EUlST_E1_NS1_11comp_targetILNS1_3genE9ELNS1_11target_archE1100ELNS1_3gpuE3ELNS1_3repE0EEENS1_36merge_oddeven_config_static_selectorELNS0_4arch9wavefront6targetE0EEEvSF_, .Lfunc_end1832-_ZN7rocprim17ROCPRIM_400000_NS6detail17trampoline_kernelINS0_14default_configENS1_38merge_sort_block_merge_config_selectorIbNS0_10empty_typeEEEZZNS1_27merge_sort_block_merge_implIS3_PbPS5_jNS1_19radix_merge_compareILb0ELb1EbNS0_19identity_decomposerEEEEE10hipError_tT0_T1_T2_jT3_P12ihipStream_tbPNSt15iterator_traitsISE_E10value_typeEPNSK_ISF_E10value_typeEPSG_NS1_7vsmem_tEENKUlT_SE_SF_SG_E_clIS8_S8_S9_S9_EESD_ST_SE_SF_SG_EUlST_E1_NS1_11comp_targetILNS1_3genE9ELNS1_11target_archE1100ELNS1_3gpuE3ELNS1_3repE0EEENS1_36merge_oddeven_config_static_selectorELNS0_4arch9wavefront6targetE0EEEvSF_
                                        ; -- End function
	.set _ZN7rocprim17ROCPRIM_400000_NS6detail17trampoline_kernelINS0_14default_configENS1_38merge_sort_block_merge_config_selectorIbNS0_10empty_typeEEEZZNS1_27merge_sort_block_merge_implIS3_PbPS5_jNS1_19radix_merge_compareILb0ELb1EbNS0_19identity_decomposerEEEEE10hipError_tT0_T1_T2_jT3_P12ihipStream_tbPNSt15iterator_traitsISE_E10value_typeEPNSK_ISF_E10value_typeEPSG_NS1_7vsmem_tEENKUlT_SE_SF_SG_E_clIS8_S8_S9_S9_EESD_ST_SE_SF_SG_EUlST_E1_NS1_11comp_targetILNS1_3genE9ELNS1_11target_archE1100ELNS1_3gpuE3ELNS1_3repE0EEENS1_36merge_oddeven_config_static_selectorELNS0_4arch9wavefront6targetE0EEEvSF_.num_vgpr, 0
	.set _ZN7rocprim17ROCPRIM_400000_NS6detail17trampoline_kernelINS0_14default_configENS1_38merge_sort_block_merge_config_selectorIbNS0_10empty_typeEEEZZNS1_27merge_sort_block_merge_implIS3_PbPS5_jNS1_19radix_merge_compareILb0ELb1EbNS0_19identity_decomposerEEEEE10hipError_tT0_T1_T2_jT3_P12ihipStream_tbPNSt15iterator_traitsISE_E10value_typeEPNSK_ISF_E10value_typeEPSG_NS1_7vsmem_tEENKUlT_SE_SF_SG_E_clIS8_S8_S9_S9_EESD_ST_SE_SF_SG_EUlST_E1_NS1_11comp_targetILNS1_3genE9ELNS1_11target_archE1100ELNS1_3gpuE3ELNS1_3repE0EEENS1_36merge_oddeven_config_static_selectorELNS0_4arch9wavefront6targetE0EEEvSF_.num_agpr, 0
	.set _ZN7rocprim17ROCPRIM_400000_NS6detail17trampoline_kernelINS0_14default_configENS1_38merge_sort_block_merge_config_selectorIbNS0_10empty_typeEEEZZNS1_27merge_sort_block_merge_implIS3_PbPS5_jNS1_19radix_merge_compareILb0ELb1EbNS0_19identity_decomposerEEEEE10hipError_tT0_T1_T2_jT3_P12ihipStream_tbPNSt15iterator_traitsISE_E10value_typeEPNSK_ISF_E10value_typeEPSG_NS1_7vsmem_tEENKUlT_SE_SF_SG_E_clIS8_S8_S9_S9_EESD_ST_SE_SF_SG_EUlST_E1_NS1_11comp_targetILNS1_3genE9ELNS1_11target_archE1100ELNS1_3gpuE3ELNS1_3repE0EEENS1_36merge_oddeven_config_static_selectorELNS0_4arch9wavefront6targetE0EEEvSF_.numbered_sgpr, 0
	.set _ZN7rocprim17ROCPRIM_400000_NS6detail17trampoline_kernelINS0_14default_configENS1_38merge_sort_block_merge_config_selectorIbNS0_10empty_typeEEEZZNS1_27merge_sort_block_merge_implIS3_PbPS5_jNS1_19radix_merge_compareILb0ELb1EbNS0_19identity_decomposerEEEEE10hipError_tT0_T1_T2_jT3_P12ihipStream_tbPNSt15iterator_traitsISE_E10value_typeEPNSK_ISF_E10value_typeEPSG_NS1_7vsmem_tEENKUlT_SE_SF_SG_E_clIS8_S8_S9_S9_EESD_ST_SE_SF_SG_EUlST_E1_NS1_11comp_targetILNS1_3genE9ELNS1_11target_archE1100ELNS1_3gpuE3ELNS1_3repE0EEENS1_36merge_oddeven_config_static_selectorELNS0_4arch9wavefront6targetE0EEEvSF_.num_named_barrier, 0
	.set _ZN7rocprim17ROCPRIM_400000_NS6detail17trampoline_kernelINS0_14default_configENS1_38merge_sort_block_merge_config_selectorIbNS0_10empty_typeEEEZZNS1_27merge_sort_block_merge_implIS3_PbPS5_jNS1_19radix_merge_compareILb0ELb1EbNS0_19identity_decomposerEEEEE10hipError_tT0_T1_T2_jT3_P12ihipStream_tbPNSt15iterator_traitsISE_E10value_typeEPNSK_ISF_E10value_typeEPSG_NS1_7vsmem_tEENKUlT_SE_SF_SG_E_clIS8_S8_S9_S9_EESD_ST_SE_SF_SG_EUlST_E1_NS1_11comp_targetILNS1_3genE9ELNS1_11target_archE1100ELNS1_3gpuE3ELNS1_3repE0EEENS1_36merge_oddeven_config_static_selectorELNS0_4arch9wavefront6targetE0EEEvSF_.private_seg_size, 0
	.set _ZN7rocprim17ROCPRIM_400000_NS6detail17trampoline_kernelINS0_14default_configENS1_38merge_sort_block_merge_config_selectorIbNS0_10empty_typeEEEZZNS1_27merge_sort_block_merge_implIS3_PbPS5_jNS1_19radix_merge_compareILb0ELb1EbNS0_19identity_decomposerEEEEE10hipError_tT0_T1_T2_jT3_P12ihipStream_tbPNSt15iterator_traitsISE_E10value_typeEPNSK_ISF_E10value_typeEPSG_NS1_7vsmem_tEENKUlT_SE_SF_SG_E_clIS8_S8_S9_S9_EESD_ST_SE_SF_SG_EUlST_E1_NS1_11comp_targetILNS1_3genE9ELNS1_11target_archE1100ELNS1_3gpuE3ELNS1_3repE0EEENS1_36merge_oddeven_config_static_selectorELNS0_4arch9wavefront6targetE0EEEvSF_.uses_vcc, 0
	.set _ZN7rocprim17ROCPRIM_400000_NS6detail17trampoline_kernelINS0_14default_configENS1_38merge_sort_block_merge_config_selectorIbNS0_10empty_typeEEEZZNS1_27merge_sort_block_merge_implIS3_PbPS5_jNS1_19radix_merge_compareILb0ELb1EbNS0_19identity_decomposerEEEEE10hipError_tT0_T1_T2_jT3_P12ihipStream_tbPNSt15iterator_traitsISE_E10value_typeEPNSK_ISF_E10value_typeEPSG_NS1_7vsmem_tEENKUlT_SE_SF_SG_E_clIS8_S8_S9_S9_EESD_ST_SE_SF_SG_EUlST_E1_NS1_11comp_targetILNS1_3genE9ELNS1_11target_archE1100ELNS1_3gpuE3ELNS1_3repE0EEENS1_36merge_oddeven_config_static_selectorELNS0_4arch9wavefront6targetE0EEEvSF_.uses_flat_scratch, 0
	.set _ZN7rocprim17ROCPRIM_400000_NS6detail17trampoline_kernelINS0_14default_configENS1_38merge_sort_block_merge_config_selectorIbNS0_10empty_typeEEEZZNS1_27merge_sort_block_merge_implIS3_PbPS5_jNS1_19radix_merge_compareILb0ELb1EbNS0_19identity_decomposerEEEEE10hipError_tT0_T1_T2_jT3_P12ihipStream_tbPNSt15iterator_traitsISE_E10value_typeEPNSK_ISF_E10value_typeEPSG_NS1_7vsmem_tEENKUlT_SE_SF_SG_E_clIS8_S8_S9_S9_EESD_ST_SE_SF_SG_EUlST_E1_NS1_11comp_targetILNS1_3genE9ELNS1_11target_archE1100ELNS1_3gpuE3ELNS1_3repE0EEENS1_36merge_oddeven_config_static_selectorELNS0_4arch9wavefront6targetE0EEEvSF_.has_dyn_sized_stack, 0
	.set _ZN7rocprim17ROCPRIM_400000_NS6detail17trampoline_kernelINS0_14default_configENS1_38merge_sort_block_merge_config_selectorIbNS0_10empty_typeEEEZZNS1_27merge_sort_block_merge_implIS3_PbPS5_jNS1_19radix_merge_compareILb0ELb1EbNS0_19identity_decomposerEEEEE10hipError_tT0_T1_T2_jT3_P12ihipStream_tbPNSt15iterator_traitsISE_E10value_typeEPNSK_ISF_E10value_typeEPSG_NS1_7vsmem_tEENKUlT_SE_SF_SG_E_clIS8_S8_S9_S9_EESD_ST_SE_SF_SG_EUlST_E1_NS1_11comp_targetILNS1_3genE9ELNS1_11target_archE1100ELNS1_3gpuE3ELNS1_3repE0EEENS1_36merge_oddeven_config_static_selectorELNS0_4arch9wavefront6targetE0EEEvSF_.has_recursion, 0
	.set _ZN7rocprim17ROCPRIM_400000_NS6detail17trampoline_kernelINS0_14default_configENS1_38merge_sort_block_merge_config_selectorIbNS0_10empty_typeEEEZZNS1_27merge_sort_block_merge_implIS3_PbPS5_jNS1_19radix_merge_compareILb0ELb1EbNS0_19identity_decomposerEEEEE10hipError_tT0_T1_T2_jT3_P12ihipStream_tbPNSt15iterator_traitsISE_E10value_typeEPNSK_ISF_E10value_typeEPSG_NS1_7vsmem_tEENKUlT_SE_SF_SG_E_clIS8_S8_S9_S9_EESD_ST_SE_SF_SG_EUlST_E1_NS1_11comp_targetILNS1_3genE9ELNS1_11target_archE1100ELNS1_3gpuE3ELNS1_3repE0EEENS1_36merge_oddeven_config_static_selectorELNS0_4arch9wavefront6targetE0EEEvSF_.has_indirect_call, 0
	.section	.AMDGPU.csdata,"",@progbits
; Kernel info:
; codeLenInByte = 0
; TotalNumSgprs: 0
; NumVgprs: 0
; ScratchSize: 0
; MemoryBound: 0
; FloatMode: 240
; IeeeMode: 1
; LDSByteSize: 0 bytes/workgroup (compile time only)
; SGPRBlocks: 0
; VGPRBlocks: 0
; NumSGPRsForWavesPerEU: 1
; NumVGPRsForWavesPerEU: 1
; NamedBarCnt: 0
; Occupancy: 16
; WaveLimiterHint : 0
; COMPUTE_PGM_RSRC2:SCRATCH_EN: 0
; COMPUTE_PGM_RSRC2:USER_SGPR: 2
; COMPUTE_PGM_RSRC2:TRAP_HANDLER: 0
; COMPUTE_PGM_RSRC2:TGID_X_EN: 1
; COMPUTE_PGM_RSRC2:TGID_Y_EN: 0
; COMPUTE_PGM_RSRC2:TGID_Z_EN: 0
; COMPUTE_PGM_RSRC2:TIDIG_COMP_CNT: 0
	.section	.text._ZN7rocprim17ROCPRIM_400000_NS6detail17trampoline_kernelINS0_14default_configENS1_38merge_sort_block_merge_config_selectorIbNS0_10empty_typeEEEZZNS1_27merge_sort_block_merge_implIS3_PbPS5_jNS1_19radix_merge_compareILb0ELb1EbNS0_19identity_decomposerEEEEE10hipError_tT0_T1_T2_jT3_P12ihipStream_tbPNSt15iterator_traitsISE_E10value_typeEPNSK_ISF_E10value_typeEPSG_NS1_7vsmem_tEENKUlT_SE_SF_SG_E_clIS8_S8_S9_S9_EESD_ST_SE_SF_SG_EUlST_E1_NS1_11comp_targetILNS1_3genE8ELNS1_11target_archE1030ELNS1_3gpuE2ELNS1_3repE0EEENS1_36merge_oddeven_config_static_selectorELNS0_4arch9wavefront6targetE0EEEvSF_,"axG",@progbits,_ZN7rocprim17ROCPRIM_400000_NS6detail17trampoline_kernelINS0_14default_configENS1_38merge_sort_block_merge_config_selectorIbNS0_10empty_typeEEEZZNS1_27merge_sort_block_merge_implIS3_PbPS5_jNS1_19radix_merge_compareILb0ELb1EbNS0_19identity_decomposerEEEEE10hipError_tT0_T1_T2_jT3_P12ihipStream_tbPNSt15iterator_traitsISE_E10value_typeEPNSK_ISF_E10value_typeEPSG_NS1_7vsmem_tEENKUlT_SE_SF_SG_E_clIS8_S8_S9_S9_EESD_ST_SE_SF_SG_EUlST_E1_NS1_11comp_targetILNS1_3genE8ELNS1_11target_archE1030ELNS1_3gpuE2ELNS1_3repE0EEENS1_36merge_oddeven_config_static_selectorELNS0_4arch9wavefront6targetE0EEEvSF_,comdat
	.protected	_ZN7rocprim17ROCPRIM_400000_NS6detail17trampoline_kernelINS0_14default_configENS1_38merge_sort_block_merge_config_selectorIbNS0_10empty_typeEEEZZNS1_27merge_sort_block_merge_implIS3_PbPS5_jNS1_19radix_merge_compareILb0ELb1EbNS0_19identity_decomposerEEEEE10hipError_tT0_T1_T2_jT3_P12ihipStream_tbPNSt15iterator_traitsISE_E10value_typeEPNSK_ISF_E10value_typeEPSG_NS1_7vsmem_tEENKUlT_SE_SF_SG_E_clIS8_S8_S9_S9_EESD_ST_SE_SF_SG_EUlST_E1_NS1_11comp_targetILNS1_3genE8ELNS1_11target_archE1030ELNS1_3gpuE2ELNS1_3repE0EEENS1_36merge_oddeven_config_static_selectorELNS0_4arch9wavefront6targetE0EEEvSF_ ; -- Begin function _ZN7rocprim17ROCPRIM_400000_NS6detail17trampoline_kernelINS0_14default_configENS1_38merge_sort_block_merge_config_selectorIbNS0_10empty_typeEEEZZNS1_27merge_sort_block_merge_implIS3_PbPS5_jNS1_19radix_merge_compareILb0ELb1EbNS0_19identity_decomposerEEEEE10hipError_tT0_T1_T2_jT3_P12ihipStream_tbPNSt15iterator_traitsISE_E10value_typeEPNSK_ISF_E10value_typeEPSG_NS1_7vsmem_tEENKUlT_SE_SF_SG_E_clIS8_S8_S9_S9_EESD_ST_SE_SF_SG_EUlST_E1_NS1_11comp_targetILNS1_3genE8ELNS1_11target_archE1030ELNS1_3gpuE2ELNS1_3repE0EEENS1_36merge_oddeven_config_static_selectorELNS0_4arch9wavefront6targetE0EEEvSF_
	.globl	_ZN7rocprim17ROCPRIM_400000_NS6detail17trampoline_kernelINS0_14default_configENS1_38merge_sort_block_merge_config_selectorIbNS0_10empty_typeEEEZZNS1_27merge_sort_block_merge_implIS3_PbPS5_jNS1_19radix_merge_compareILb0ELb1EbNS0_19identity_decomposerEEEEE10hipError_tT0_T1_T2_jT3_P12ihipStream_tbPNSt15iterator_traitsISE_E10value_typeEPNSK_ISF_E10value_typeEPSG_NS1_7vsmem_tEENKUlT_SE_SF_SG_E_clIS8_S8_S9_S9_EESD_ST_SE_SF_SG_EUlST_E1_NS1_11comp_targetILNS1_3genE8ELNS1_11target_archE1030ELNS1_3gpuE2ELNS1_3repE0EEENS1_36merge_oddeven_config_static_selectorELNS0_4arch9wavefront6targetE0EEEvSF_
	.p2align	8
	.type	_ZN7rocprim17ROCPRIM_400000_NS6detail17trampoline_kernelINS0_14default_configENS1_38merge_sort_block_merge_config_selectorIbNS0_10empty_typeEEEZZNS1_27merge_sort_block_merge_implIS3_PbPS5_jNS1_19radix_merge_compareILb0ELb1EbNS0_19identity_decomposerEEEEE10hipError_tT0_T1_T2_jT3_P12ihipStream_tbPNSt15iterator_traitsISE_E10value_typeEPNSK_ISF_E10value_typeEPSG_NS1_7vsmem_tEENKUlT_SE_SF_SG_E_clIS8_S8_S9_S9_EESD_ST_SE_SF_SG_EUlST_E1_NS1_11comp_targetILNS1_3genE8ELNS1_11target_archE1030ELNS1_3gpuE2ELNS1_3repE0EEENS1_36merge_oddeven_config_static_selectorELNS0_4arch9wavefront6targetE0EEEvSF_,@function
_ZN7rocprim17ROCPRIM_400000_NS6detail17trampoline_kernelINS0_14default_configENS1_38merge_sort_block_merge_config_selectorIbNS0_10empty_typeEEEZZNS1_27merge_sort_block_merge_implIS3_PbPS5_jNS1_19radix_merge_compareILb0ELb1EbNS0_19identity_decomposerEEEEE10hipError_tT0_T1_T2_jT3_P12ihipStream_tbPNSt15iterator_traitsISE_E10value_typeEPNSK_ISF_E10value_typeEPSG_NS1_7vsmem_tEENKUlT_SE_SF_SG_E_clIS8_S8_S9_S9_EESD_ST_SE_SF_SG_EUlST_E1_NS1_11comp_targetILNS1_3genE8ELNS1_11target_archE1030ELNS1_3gpuE2ELNS1_3repE0EEENS1_36merge_oddeven_config_static_selectorELNS0_4arch9wavefront6targetE0EEEvSF_: ; @_ZN7rocprim17ROCPRIM_400000_NS6detail17trampoline_kernelINS0_14default_configENS1_38merge_sort_block_merge_config_selectorIbNS0_10empty_typeEEEZZNS1_27merge_sort_block_merge_implIS3_PbPS5_jNS1_19radix_merge_compareILb0ELb1EbNS0_19identity_decomposerEEEEE10hipError_tT0_T1_T2_jT3_P12ihipStream_tbPNSt15iterator_traitsISE_E10value_typeEPNSK_ISF_E10value_typeEPSG_NS1_7vsmem_tEENKUlT_SE_SF_SG_E_clIS8_S8_S9_S9_EESD_ST_SE_SF_SG_EUlST_E1_NS1_11comp_targetILNS1_3genE8ELNS1_11target_archE1030ELNS1_3gpuE2ELNS1_3repE0EEENS1_36merge_oddeven_config_static_selectorELNS0_4arch9wavefront6targetE0EEEvSF_
; %bb.0:
	.section	.rodata,"a",@progbits
	.p2align	6, 0x0
	.amdhsa_kernel _ZN7rocprim17ROCPRIM_400000_NS6detail17trampoline_kernelINS0_14default_configENS1_38merge_sort_block_merge_config_selectorIbNS0_10empty_typeEEEZZNS1_27merge_sort_block_merge_implIS3_PbPS5_jNS1_19radix_merge_compareILb0ELb1EbNS0_19identity_decomposerEEEEE10hipError_tT0_T1_T2_jT3_P12ihipStream_tbPNSt15iterator_traitsISE_E10value_typeEPNSK_ISF_E10value_typeEPSG_NS1_7vsmem_tEENKUlT_SE_SF_SG_E_clIS8_S8_S9_S9_EESD_ST_SE_SF_SG_EUlST_E1_NS1_11comp_targetILNS1_3genE8ELNS1_11target_archE1030ELNS1_3gpuE2ELNS1_3repE0EEENS1_36merge_oddeven_config_static_selectorELNS0_4arch9wavefront6targetE0EEEvSF_
		.amdhsa_group_segment_fixed_size 0
		.amdhsa_private_segment_fixed_size 0
		.amdhsa_kernarg_size 48
		.amdhsa_user_sgpr_count 2
		.amdhsa_user_sgpr_dispatch_ptr 0
		.amdhsa_user_sgpr_queue_ptr 0
		.amdhsa_user_sgpr_kernarg_segment_ptr 1
		.amdhsa_user_sgpr_dispatch_id 0
		.amdhsa_user_sgpr_kernarg_preload_length 0
		.amdhsa_user_sgpr_kernarg_preload_offset 0
		.amdhsa_user_sgpr_private_segment_size 0
		.amdhsa_wavefront_size32 1
		.amdhsa_uses_dynamic_stack 0
		.amdhsa_enable_private_segment 0
		.amdhsa_system_sgpr_workgroup_id_x 1
		.amdhsa_system_sgpr_workgroup_id_y 0
		.amdhsa_system_sgpr_workgroup_id_z 0
		.amdhsa_system_sgpr_workgroup_info 0
		.amdhsa_system_vgpr_workitem_id 0
		.amdhsa_next_free_vgpr 1
		.amdhsa_next_free_sgpr 1
		.amdhsa_named_barrier_count 0
		.amdhsa_reserve_vcc 0
		.amdhsa_float_round_mode_32 0
		.amdhsa_float_round_mode_16_64 0
		.amdhsa_float_denorm_mode_32 3
		.amdhsa_float_denorm_mode_16_64 3
		.amdhsa_fp16_overflow 0
		.amdhsa_memory_ordered 1
		.amdhsa_forward_progress 1
		.amdhsa_inst_pref_size 0
		.amdhsa_round_robin_scheduling 0
		.amdhsa_exception_fp_ieee_invalid_op 0
		.amdhsa_exception_fp_denorm_src 0
		.amdhsa_exception_fp_ieee_div_zero 0
		.amdhsa_exception_fp_ieee_overflow 0
		.amdhsa_exception_fp_ieee_underflow 0
		.amdhsa_exception_fp_ieee_inexact 0
		.amdhsa_exception_int_div_zero 0
	.end_amdhsa_kernel
	.section	.text._ZN7rocprim17ROCPRIM_400000_NS6detail17trampoline_kernelINS0_14default_configENS1_38merge_sort_block_merge_config_selectorIbNS0_10empty_typeEEEZZNS1_27merge_sort_block_merge_implIS3_PbPS5_jNS1_19radix_merge_compareILb0ELb1EbNS0_19identity_decomposerEEEEE10hipError_tT0_T1_T2_jT3_P12ihipStream_tbPNSt15iterator_traitsISE_E10value_typeEPNSK_ISF_E10value_typeEPSG_NS1_7vsmem_tEENKUlT_SE_SF_SG_E_clIS8_S8_S9_S9_EESD_ST_SE_SF_SG_EUlST_E1_NS1_11comp_targetILNS1_3genE8ELNS1_11target_archE1030ELNS1_3gpuE2ELNS1_3repE0EEENS1_36merge_oddeven_config_static_selectorELNS0_4arch9wavefront6targetE0EEEvSF_,"axG",@progbits,_ZN7rocprim17ROCPRIM_400000_NS6detail17trampoline_kernelINS0_14default_configENS1_38merge_sort_block_merge_config_selectorIbNS0_10empty_typeEEEZZNS1_27merge_sort_block_merge_implIS3_PbPS5_jNS1_19radix_merge_compareILb0ELb1EbNS0_19identity_decomposerEEEEE10hipError_tT0_T1_T2_jT3_P12ihipStream_tbPNSt15iterator_traitsISE_E10value_typeEPNSK_ISF_E10value_typeEPSG_NS1_7vsmem_tEENKUlT_SE_SF_SG_E_clIS8_S8_S9_S9_EESD_ST_SE_SF_SG_EUlST_E1_NS1_11comp_targetILNS1_3genE8ELNS1_11target_archE1030ELNS1_3gpuE2ELNS1_3repE0EEENS1_36merge_oddeven_config_static_selectorELNS0_4arch9wavefront6targetE0EEEvSF_,comdat
.Lfunc_end1833:
	.size	_ZN7rocprim17ROCPRIM_400000_NS6detail17trampoline_kernelINS0_14default_configENS1_38merge_sort_block_merge_config_selectorIbNS0_10empty_typeEEEZZNS1_27merge_sort_block_merge_implIS3_PbPS5_jNS1_19radix_merge_compareILb0ELb1EbNS0_19identity_decomposerEEEEE10hipError_tT0_T1_T2_jT3_P12ihipStream_tbPNSt15iterator_traitsISE_E10value_typeEPNSK_ISF_E10value_typeEPSG_NS1_7vsmem_tEENKUlT_SE_SF_SG_E_clIS8_S8_S9_S9_EESD_ST_SE_SF_SG_EUlST_E1_NS1_11comp_targetILNS1_3genE8ELNS1_11target_archE1030ELNS1_3gpuE2ELNS1_3repE0EEENS1_36merge_oddeven_config_static_selectorELNS0_4arch9wavefront6targetE0EEEvSF_, .Lfunc_end1833-_ZN7rocprim17ROCPRIM_400000_NS6detail17trampoline_kernelINS0_14default_configENS1_38merge_sort_block_merge_config_selectorIbNS0_10empty_typeEEEZZNS1_27merge_sort_block_merge_implIS3_PbPS5_jNS1_19radix_merge_compareILb0ELb1EbNS0_19identity_decomposerEEEEE10hipError_tT0_T1_T2_jT3_P12ihipStream_tbPNSt15iterator_traitsISE_E10value_typeEPNSK_ISF_E10value_typeEPSG_NS1_7vsmem_tEENKUlT_SE_SF_SG_E_clIS8_S8_S9_S9_EESD_ST_SE_SF_SG_EUlST_E1_NS1_11comp_targetILNS1_3genE8ELNS1_11target_archE1030ELNS1_3gpuE2ELNS1_3repE0EEENS1_36merge_oddeven_config_static_selectorELNS0_4arch9wavefront6targetE0EEEvSF_
                                        ; -- End function
	.set _ZN7rocprim17ROCPRIM_400000_NS6detail17trampoline_kernelINS0_14default_configENS1_38merge_sort_block_merge_config_selectorIbNS0_10empty_typeEEEZZNS1_27merge_sort_block_merge_implIS3_PbPS5_jNS1_19radix_merge_compareILb0ELb1EbNS0_19identity_decomposerEEEEE10hipError_tT0_T1_T2_jT3_P12ihipStream_tbPNSt15iterator_traitsISE_E10value_typeEPNSK_ISF_E10value_typeEPSG_NS1_7vsmem_tEENKUlT_SE_SF_SG_E_clIS8_S8_S9_S9_EESD_ST_SE_SF_SG_EUlST_E1_NS1_11comp_targetILNS1_3genE8ELNS1_11target_archE1030ELNS1_3gpuE2ELNS1_3repE0EEENS1_36merge_oddeven_config_static_selectorELNS0_4arch9wavefront6targetE0EEEvSF_.num_vgpr, 0
	.set _ZN7rocprim17ROCPRIM_400000_NS6detail17trampoline_kernelINS0_14default_configENS1_38merge_sort_block_merge_config_selectorIbNS0_10empty_typeEEEZZNS1_27merge_sort_block_merge_implIS3_PbPS5_jNS1_19radix_merge_compareILb0ELb1EbNS0_19identity_decomposerEEEEE10hipError_tT0_T1_T2_jT3_P12ihipStream_tbPNSt15iterator_traitsISE_E10value_typeEPNSK_ISF_E10value_typeEPSG_NS1_7vsmem_tEENKUlT_SE_SF_SG_E_clIS8_S8_S9_S9_EESD_ST_SE_SF_SG_EUlST_E1_NS1_11comp_targetILNS1_3genE8ELNS1_11target_archE1030ELNS1_3gpuE2ELNS1_3repE0EEENS1_36merge_oddeven_config_static_selectorELNS0_4arch9wavefront6targetE0EEEvSF_.num_agpr, 0
	.set _ZN7rocprim17ROCPRIM_400000_NS6detail17trampoline_kernelINS0_14default_configENS1_38merge_sort_block_merge_config_selectorIbNS0_10empty_typeEEEZZNS1_27merge_sort_block_merge_implIS3_PbPS5_jNS1_19radix_merge_compareILb0ELb1EbNS0_19identity_decomposerEEEEE10hipError_tT0_T1_T2_jT3_P12ihipStream_tbPNSt15iterator_traitsISE_E10value_typeEPNSK_ISF_E10value_typeEPSG_NS1_7vsmem_tEENKUlT_SE_SF_SG_E_clIS8_S8_S9_S9_EESD_ST_SE_SF_SG_EUlST_E1_NS1_11comp_targetILNS1_3genE8ELNS1_11target_archE1030ELNS1_3gpuE2ELNS1_3repE0EEENS1_36merge_oddeven_config_static_selectorELNS0_4arch9wavefront6targetE0EEEvSF_.numbered_sgpr, 0
	.set _ZN7rocprim17ROCPRIM_400000_NS6detail17trampoline_kernelINS0_14default_configENS1_38merge_sort_block_merge_config_selectorIbNS0_10empty_typeEEEZZNS1_27merge_sort_block_merge_implIS3_PbPS5_jNS1_19radix_merge_compareILb0ELb1EbNS0_19identity_decomposerEEEEE10hipError_tT0_T1_T2_jT3_P12ihipStream_tbPNSt15iterator_traitsISE_E10value_typeEPNSK_ISF_E10value_typeEPSG_NS1_7vsmem_tEENKUlT_SE_SF_SG_E_clIS8_S8_S9_S9_EESD_ST_SE_SF_SG_EUlST_E1_NS1_11comp_targetILNS1_3genE8ELNS1_11target_archE1030ELNS1_3gpuE2ELNS1_3repE0EEENS1_36merge_oddeven_config_static_selectorELNS0_4arch9wavefront6targetE0EEEvSF_.num_named_barrier, 0
	.set _ZN7rocprim17ROCPRIM_400000_NS6detail17trampoline_kernelINS0_14default_configENS1_38merge_sort_block_merge_config_selectorIbNS0_10empty_typeEEEZZNS1_27merge_sort_block_merge_implIS3_PbPS5_jNS1_19radix_merge_compareILb0ELb1EbNS0_19identity_decomposerEEEEE10hipError_tT0_T1_T2_jT3_P12ihipStream_tbPNSt15iterator_traitsISE_E10value_typeEPNSK_ISF_E10value_typeEPSG_NS1_7vsmem_tEENKUlT_SE_SF_SG_E_clIS8_S8_S9_S9_EESD_ST_SE_SF_SG_EUlST_E1_NS1_11comp_targetILNS1_3genE8ELNS1_11target_archE1030ELNS1_3gpuE2ELNS1_3repE0EEENS1_36merge_oddeven_config_static_selectorELNS0_4arch9wavefront6targetE0EEEvSF_.private_seg_size, 0
	.set _ZN7rocprim17ROCPRIM_400000_NS6detail17trampoline_kernelINS0_14default_configENS1_38merge_sort_block_merge_config_selectorIbNS0_10empty_typeEEEZZNS1_27merge_sort_block_merge_implIS3_PbPS5_jNS1_19radix_merge_compareILb0ELb1EbNS0_19identity_decomposerEEEEE10hipError_tT0_T1_T2_jT3_P12ihipStream_tbPNSt15iterator_traitsISE_E10value_typeEPNSK_ISF_E10value_typeEPSG_NS1_7vsmem_tEENKUlT_SE_SF_SG_E_clIS8_S8_S9_S9_EESD_ST_SE_SF_SG_EUlST_E1_NS1_11comp_targetILNS1_3genE8ELNS1_11target_archE1030ELNS1_3gpuE2ELNS1_3repE0EEENS1_36merge_oddeven_config_static_selectorELNS0_4arch9wavefront6targetE0EEEvSF_.uses_vcc, 0
	.set _ZN7rocprim17ROCPRIM_400000_NS6detail17trampoline_kernelINS0_14default_configENS1_38merge_sort_block_merge_config_selectorIbNS0_10empty_typeEEEZZNS1_27merge_sort_block_merge_implIS3_PbPS5_jNS1_19radix_merge_compareILb0ELb1EbNS0_19identity_decomposerEEEEE10hipError_tT0_T1_T2_jT3_P12ihipStream_tbPNSt15iterator_traitsISE_E10value_typeEPNSK_ISF_E10value_typeEPSG_NS1_7vsmem_tEENKUlT_SE_SF_SG_E_clIS8_S8_S9_S9_EESD_ST_SE_SF_SG_EUlST_E1_NS1_11comp_targetILNS1_3genE8ELNS1_11target_archE1030ELNS1_3gpuE2ELNS1_3repE0EEENS1_36merge_oddeven_config_static_selectorELNS0_4arch9wavefront6targetE0EEEvSF_.uses_flat_scratch, 0
	.set _ZN7rocprim17ROCPRIM_400000_NS6detail17trampoline_kernelINS0_14default_configENS1_38merge_sort_block_merge_config_selectorIbNS0_10empty_typeEEEZZNS1_27merge_sort_block_merge_implIS3_PbPS5_jNS1_19radix_merge_compareILb0ELb1EbNS0_19identity_decomposerEEEEE10hipError_tT0_T1_T2_jT3_P12ihipStream_tbPNSt15iterator_traitsISE_E10value_typeEPNSK_ISF_E10value_typeEPSG_NS1_7vsmem_tEENKUlT_SE_SF_SG_E_clIS8_S8_S9_S9_EESD_ST_SE_SF_SG_EUlST_E1_NS1_11comp_targetILNS1_3genE8ELNS1_11target_archE1030ELNS1_3gpuE2ELNS1_3repE0EEENS1_36merge_oddeven_config_static_selectorELNS0_4arch9wavefront6targetE0EEEvSF_.has_dyn_sized_stack, 0
	.set _ZN7rocprim17ROCPRIM_400000_NS6detail17trampoline_kernelINS0_14default_configENS1_38merge_sort_block_merge_config_selectorIbNS0_10empty_typeEEEZZNS1_27merge_sort_block_merge_implIS3_PbPS5_jNS1_19radix_merge_compareILb0ELb1EbNS0_19identity_decomposerEEEEE10hipError_tT0_T1_T2_jT3_P12ihipStream_tbPNSt15iterator_traitsISE_E10value_typeEPNSK_ISF_E10value_typeEPSG_NS1_7vsmem_tEENKUlT_SE_SF_SG_E_clIS8_S8_S9_S9_EESD_ST_SE_SF_SG_EUlST_E1_NS1_11comp_targetILNS1_3genE8ELNS1_11target_archE1030ELNS1_3gpuE2ELNS1_3repE0EEENS1_36merge_oddeven_config_static_selectorELNS0_4arch9wavefront6targetE0EEEvSF_.has_recursion, 0
	.set _ZN7rocprim17ROCPRIM_400000_NS6detail17trampoline_kernelINS0_14default_configENS1_38merge_sort_block_merge_config_selectorIbNS0_10empty_typeEEEZZNS1_27merge_sort_block_merge_implIS3_PbPS5_jNS1_19radix_merge_compareILb0ELb1EbNS0_19identity_decomposerEEEEE10hipError_tT0_T1_T2_jT3_P12ihipStream_tbPNSt15iterator_traitsISE_E10value_typeEPNSK_ISF_E10value_typeEPSG_NS1_7vsmem_tEENKUlT_SE_SF_SG_E_clIS8_S8_S9_S9_EESD_ST_SE_SF_SG_EUlST_E1_NS1_11comp_targetILNS1_3genE8ELNS1_11target_archE1030ELNS1_3gpuE2ELNS1_3repE0EEENS1_36merge_oddeven_config_static_selectorELNS0_4arch9wavefront6targetE0EEEvSF_.has_indirect_call, 0
	.section	.AMDGPU.csdata,"",@progbits
; Kernel info:
; codeLenInByte = 0
; TotalNumSgprs: 0
; NumVgprs: 0
; ScratchSize: 0
; MemoryBound: 0
; FloatMode: 240
; IeeeMode: 1
; LDSByteSize: 0 bytes/workgroup (compile time only)
; SGPRBlocks: 0
; VGPRBlocks: 0
; NumSGPRsForWavesPerEU: 1
; NumVGPRsForWavesPerEU: 1
; NamedBarCnt: 0
; Occupancy: 16
; WaveLimiterHint : 0
; COMPUTE_PGM_RSRC2:SCRATCH_EN: 0
; COMPUTE_PGM_RSRC2:USER_SGPR: 2
; COMPUTE_PGM_RSRC2:TRAP_HANDLER: 0
; COMPUTE_PGM_RSRC2:TGID_X_EN: 1
; COMPUTE_PGM_RSRC2:TGID_Y_EN: 0
; COMPUTE_PGM_RSRC2:TGID_Z_EN: 0
; COMPUTE_PGM_RSRC2:TIDIG_COMP_CNT: 0
	.section	.text._ZN7rocprim17ROCPRIM_400000_NS6detail17trampoline_kernelINS0_14default_configENS1_35radix_sort_onesweep_config_selectorIbNS0_10empty_typeEEEZNS1_34radix_sort_onesweep_global_offsetsIS3_Lb0EPKbPS5_mNS0_19identity_decomposerEEE10hipError_tT1_T2_PT3_SF_jT4_jjP12ihipStream_tbEUlT_E_NS1_11comp_targetILNS1_3genE0ELNS1_11target_archE4294967295ELNS1_3gpuE0ELNS1_3repE0EEENS1_52radix_sort_onesweep_histogram_config_static_selectorELNS0_4arch9wavefront6targetE0EEEvSD_,"axG",@progbits,_ZN7rocprim17ROCPRIM_400000_NS6detail17trampoline_kernelINS0_14default_configENS1_35radix_sort_onesweep_config_selectorIbNS0_10empty_typeEEEZNS1_34radix_sort_onesweep_global_offsetsIS3_Lb0EPKbPS5_mNS0_19identity_decomposerEEE10hipError_tT1_T2_PT3_SF_jT4_jjP12ihipStream_tbEUlT_E_NS1_11comp_targetILNS1_3genE0ELNS1_11target_archE4294967295ELNS1_3gpuE0ELNS1_3repE0EEENS1_52radix_sort_onesweep_histogram_config_static_selectorELNS0_4arch9wavefront6targetE0EEEvSD_,comdat
	.protected	_ZN7rocprim17ROCPRIM_400000_NS6detail17trampoline_kernelINS0_14default_configENS1_35radix_sort_onesweep_config_selectorIbNS0_10empty_typeEEEZNS1_34radix_sort_onesweep_global_offsetsIS3_Lb0EPKbPS5_mNS0_19identity_decomposerEEE10hipError_tT1_T2_PT3_SF_jT4_jjP12ihipStream_tbEUlT_E_NS1_11comp_targetILNS1_3genE0ELNS1_11target_archE4294967295ELNS1_3gpuE0ELNS1_3repE0EEENS1_52radix_sort_onesweep_histogram_config_static_selectorELNS0_4arch9wavefront6targetE0EEEvSD_ ; -- Begin function _ZN7rocprim17ROCPRIM_400000_NS6detail17trampoline_kernelINS0_14default_configENS1_35radix_sort_onesweep_config_selectorIbNS0_10empty_typeEEEZNS1_34radix_sort_onesweep_global_offsetsIS3_Lb0EPKbPS5_mNS0_19identity_decomposerEEE10hipError_tT1_T2_PT3_SF_jT4_jjP12ihipStream_tbEUlT_E_NS1_11comp_targetILNS1_3genE0ELNS1_11target_archE4294967295ELNS1_3gpuE0ELNS1_3repE0EEENS1_52radix_sort_onesweep_histogram_config_static_selectorELNS0_4arch9wavefront6targetE0EEEvSD_
	.globl	_ZN7rocprim17ROCPRIM_400000_NS6detail17trampoline_kernelINS0_14default_configENS1_35radix_sort_onesweep_config_selectorIbNS0_10empty_typeEEEZNS1_34radix_sort_onesweep_global_offsetsIS3_Lb0EPKbPS5_mNS0_19identity_decomposerEEE10hipError_tT1_T2_PT3_SF_jT4_jjP12ihipStream_tbEUlT_E_NS1_11comp_targetILNS1_3genE0ELNS1_11target_archE4294967295ELNS1_3gpuE0ELNS1_3repE0EEENS1_52radix_sort_onesweep_histogram_config_static_selectorELNS0_4arch9wavefront6targetE0EEEvSD_
	.p2align	8
	.type	_ZN7rocprim17ROCPRIM_400000_NS6detail17trampoline_kernelINS0_14default_configENS1_35radix_sort_onesweep_config_selectorIbNS0_10empty_typeEEEZNS1_34radix_sort_onesweep_global_offsetsIS3_Lb0EPKbPS5_mNS0_19identity_decomposerEEE10hipError_tT1_T2_PT3_SF_jT4_jjP12ihipStream_tbEUlT_E_NS1_11comp_targetILNS1_3genE0ELNS1_11target_archE4294967295ELNS1_3gpuE0ELNS1_3repE0EEENS1_52radix_sort_onesweep_histogram_config_static_selectorELNS0_4arch9wavefront6targetE0EEEvSD_,@function
_ZN7rocprim17ROCPRIM_400000_NS6detail17trampoline_kernelINS0_14default_configENS1_35radix_sort_onesweep_config_selectorIbNS0_10empty_typeEEEZNS1_34radix_sort_onesweep_global_offsetsIS3_Lb0EPKbPS5_mNS0_19identity_decomposerEEE10hipError_tT1_T2_PT3_SF_jT4_jjP12ihipStream_tbEUlT_E_NS1_11comp_targetILNS1_3genE0ELNS1_11target_archE4294967295ELNS1_3gpuE0ELNS1_3repE0EEENS1_52radix_sort_onesweep_histogram_config_static_selectorELNS0_4arch9wavefront6targetE0EEEvSD_: ; @_ZN7rocprim17ROCPRIM_400000_NS6detail17trampoline_kernelINS0_14default_configENS1_35radix_sort_onesweep_config_selectorIbNS0_10empty_typeEEEZNS1_34radix_sort_onesweep_global_offsetsIS3_Lb0EPKbPS5_mNS0_19identity_decomposerEEE10hipError_tT1_T2_PT3_SF_jT4_jjP12ihipStream_tbEUlT_E_NS1_11comp_targetILNS1_3genE0ELNS1_11target_archE4294967295ELNS1_3gpuE0ELNS1_3repE0EEENS1_52radix_sort_onesweep_histogram_config_static_selectorELNS0_4arch9wavefront6targetE0EEEvSD_
; %bb.0:
	s_clause 0x1
	s_load_b64 s[8:9], s[0:1], 0x18
	s_load_b128 s[4:7], s[0:1], 0x0
	s_bfe_u32 s10, ttmp6, 0x4000c
	s_load_b64 s[2:3], s[0:1], 0x24
	s_add_co_i32 s10, s10, 1
	s_and_b32 s11, ttmp6, 15
	s_mul_i32 s10, ttmp9, s10
	s_getreg_b32 s12, hwreg(HW_REG_IB_STS2, 6, 4)
	s_add_co_i32 s10, s11, s10
	s_cmp_eq_u32 s12, 0
	s_mov_b32 s11, 0
	s_cselect_b32 s10, ttmp9, s10
	v_and_b32_e32 v1, 3, v0
	s_wait_kmcnt 0x0
	v_cmp_le_u64_e64 s9, s[8:9], s[10:11]
	s_mul_u64 s[10:11], s[10:11], 0x5800
	s_delay_alu instid0(SALU_CYCLE_1)
	s_add_nc_u64 s[4:5], s[4:5], s[10:11]
	s_and_b32 vcc_lo, exec_lo, s9
	s_mov_b32 s9, -1
	s_cbranch_vccz .LBB1834_207
; %bb.1:
	s_load_b32 s1, s[0:1], 0x10
	v_dual_mov_b32 v41, 0 :: v_dual_mov_b32 v43, 0
	s_wait_xcnt 0x0
	s_mul_i32 s0, s8, 0xffffa800
	s_wait_kmcnt 0x0
	s_add_co_i32 s1, s1, s0
	s_mov_b32 s0, exec_lo
	v_cmpx_gt_u32_e64 s1, v0
	s_cbranch_execz .LBB1834_3
; %bb.2:
	global_load_u8 v43, v0, s[4:5]
.LBB1834_3:
	s_wait_xcnt 0x0
	s_or_b32 exec_lo, exec_lo, s0
	v_or_b32_e32 v44, 0x400, v0
	s_mov_b32 s0, exec_lo
	s_delay_alu instid0(VALU_DEP_1)
	v_cmpx_gt_u32_e64 s1, v44
	s_cbranch_execz .LBB1834_5
; %bb.4:
	global_load_u8 v41, v0, s[4:5] offset:1024
.LBB1834_5:
	s_wait_xcnt 0x0
	s_or_b32 exec_lo, exec_lo, s0
	v_or_b32_e32 v42, 0x800, v0
	v_dual_mov_b32 v37, 0 :: v_dual_mov_b32 v40, 0
	s_mov_b32 s0, exec_lo
	s_delay_alu instid0(VALU_DEP_2)
	v_cmpx_gt_u32_e64 s1, v42
	s_cbranch_execz .LBB1834_7
; %bb.6:
	global_load_u8 v40, v0, s[4:5] offset:2048
.LBB1834_7:
	s_wait_xcnt 0x0
	s_or_b32 exec_lo, exec_lo, s0
	v_or_b32_e32 v39, 0xc00, v0
	s_mov_b32 s0, exec_lo
	s_delay_alu instid0(VALU_DEP_1)
	v_cmpx_gt_u32_e64 s1, v39
	s_cbranch_execz .LBB1834_9
; %bb.8:
	global_load_u8 v37, v0, s[4:5] offset:3072
.LBB1834_9:
	s_wait_xcnt 0x0
	s_or_b32 exec_lo, exec_lo, s0
	v_or_b32_e32 v38, 0x1000, v0
	v_dual_mov_b32 v33, 0 :: v_dual_mov_b32 v36, 0
	s_mov_b32 s0, exec_lo
	s_delay_alu instid0(VALU_DEP_2)
	v_cmpx_gt_u32_e64 s1, v38
	s_cbranch_execz .LBB1834_11
; %bb.10:
	global_load_u8 v36, v0, s[4:5] offset:4096
.LBB1834_11:
	;; [unrolled: 21-line block ×10, first 2 shown]
	s_wait_xcnt 0x0
	s_or_b32 exec_lo, exec_lo, s0
	v_or_b32_e32 v3, 0x5400, v0
	s_mov_b32 s0, exec_lo
	s_delay_alu instid0(VALU_DEP_1)
	v_cmpx_gt_u32_e64 s1, v3
	s_cbranch_execz .LBB1834_45
; %bb.44:
	global_load_u8 v2, v0, s[4:5] offset:21504
.LBB1834_45:
	s_wait_xcnt 0x0
	s_or_b32 exec_lo, exec_lo, s0
	s_delay_alu instid0(SALU_CYCLE_1)
	s_mov_b32 s0, exec_lo
	v_cmpx_gt_u32_e32 0x80, v0
; %bb.46:
	v_dual_mov_b32 v46, 0 :: v_dual_lshlrev_b32 v45, 2, v0
	ds_store_b32 v45, v46
; %bb.47:
	s_or_b32 exec_lo, exec_lo, s0
	s_cmp_le_u32 s3, s2
	v_cmp_le_u32_e32 vcc_lo, s1, v0
	s_cselect_b32 s8, -1, 0
	s_wait_loadcnt_dscnt 0x0
	s_and_b32 s0, s8, exec_lo
	s_cselect_b32 s9, 8, 10
	s_nor_b32 s10, s8, vcc_lo
	v_mov_b32_e32 v45, s9
	s_barrier_signal -1
	s_barrier_wait -1
	s_and_saveexec_b32 s0, s10
	s_cbranch_execz .LBB1834_49
; %bb.48:
	v_dual_lshrrev_b32 v45, s2, v43 :: v_dual_lshlrev_b32 v46, 2, v1
	s_sub_co_i32 s10, s3, s2
	s_delay_alu instid0(SALU_CYCLE_1)
	s_min_u32 s10, s10, 4
	s_delay_alu instid0(VALU_DEP_1) | instid1(SALU_CYCLE_1)
	v_bfe_u32 v45, v45, 0, s10
	s_delay_alu instid0(VALU_DEP_1)
	v_lshl_or_b32 v45, v45, 4, v46
	v_mov_b32_e32 v46, 1
	ds_add_u32 v45, v46
	v_mov_b32_e32 v45, 0
.LBB1834_49:
	s_or_b32 exec_lo, exec_lo, s0
	s_mov_b32 s10, -1
	s_mov_b32 s11, exec_lo
	s_delay_alu instid0(VALU_DEP_1)
	v_cmpx_gt_i32_e32 10, v45
; %bb.50:
	v_cmp_eq_u32_e64 s0, 0, v45
	s_or_not1_b32 s10, s0, exec_lo
; %bb.51:
	s_or_b32 exec_lo, exec_lo, s11
	s_and_saveexec_b32 s0, s10
	s_cbranch_execz .LBB1834_54
; %bb.52:
	s_add_co_i32 s10, s2, 4
	s_delay_alu instid0(SALU_CYCLE_1) | instskip(SKIP_2) | instid1(SALU_CYCLE_1)
	s_cmp_gt_u32 s3, s10
	s_cselect_b32 s11, -1, 0
	s_xor_b32 s12, vcc_lo, -1
	s_and_b32 s11, s11, s12
	s_delay_alu instid0(SALU_CYCLE_1)
	s_and_b32 exec_lo, exec_lo, s11
	s_cbranch_execz .LBB1834_54
; %bb.53:
	v_dual_lshrrev_b32 v43, s10, v43 :: v_dual_lshlrev_b32 v45, 2, v1
	s_sub_co_i32 s10, s3, s10
	s_delay_alu instid0(SALU_CYCLE_1)
	s_min_u32 s10, s10, 4
	s_delay_alu instid0(VALU_DEP_1) | instid1(SALU_CYCLE_1)
	v_bfe_u32 v43, v43, 0, s10
	s_delay_alu instid0(VALU_DEP_1)
	v_lshl_or_b32 v43, v43, 4, v45
	v_mov_b32_e32 v45, 1
	ds_add_u32 v43, v45 offset:256
.LBB1834_54:
	s_or_b32 exec_lo, exec_lo, s0
	v_cmp_le_u32_e32 vcc_lo, s1, v44
	v_mov_b32_e32 v43, s9
	s_nor_b32 s10, s8, vcc_lo
	s_delay_alu instid0(SALU_CYCLE_1)
	s_and_saveexec_b32 s0, s10
	s_cbranch_execz .LBB1834_56
; %bb.55:
	v_lshrrev_b32_e32 v43, s2, v41
	s_sub_co_i32 s10, s3, s2
	v_lshlrev_b32_e32 v44, 2, v1
	s_min_u32 s10, s10, 4
	s_delay_alu instid0(VALU_DEP_2) | instid1(SALU_CYCLE_1)
	v_bfe_u32 v43, v43, 0, s10
	s_delay_alu instid0(VALU_DEP_1)
	v_lshl_or_b32 v43, v43, 4, v44
	v_mov_b32_e32 v44, 1
	ds_add_u32 v43, v44
	v_mov_b32_e32 v43, 0
.LBB1834_56:
	s_or_b32 exec_lo, exec_lo, s0
	s_mov_b32 s10, -1
	s_mov_b32 s11, exec_lo
	s_delay_alu instid0(VALU_DEP_1)
	v_cmpx_gt_i32_e32 10, v43
; %bb.57:
	v_cmp_eq_u32_e64 s0, 0, v43
	s_or_not1_b32 s10, s0, exec_lo
; %bb.58:
	s_or_b32 exec_lo, exec_lo, s11
	s_and_saveexec_b32 s0, s10
	s_cbranch_execz .LBB1834_61
; %bb.59:
	s_add_co_i32 s10, s2, 4
	s_delay_alu instid0(SALU_CYCLE_1) | instskip(SKIP_2) | instid1(SALU_CYCLE_1)
	s_cmp_gt_u32 s3, s10
	s_cselect_b32 s11, -1, 0
	s_xor_b32 s12, vcc_lo, -1
	s_and_b32 s11, s11, s12
	s_delay_alu instid0(SALU_CYCLE_1)
	s_and_b32 exec_lo, exec_lo, s11
	s_cbranch_execz .LBB1834_61
; %bb.60:
	v_lshrrev_b32_e32 v41, s10, v41
	s_sub_co_i32 s10, s3, s10
	v_lshlrev_b32_e32 v43, 2, v1
	s_min_u32 s10, s10, 4
	s_delay_alu instid0(VALU_DEP_2) | instid1(SALU_CYCLE_1)
	v_bfe_u32 v41, v41, 0, s10
	s_delay_alu instid0(VALU_DEP_1)
	v_lshl_or_b32 v41, v41, 4, v43
	v_mov_b32_e32 v43, 1
	ds_add_u32 v41, v43 offset:256
.LBB1834_61:
	s_or_b32 exec_lo, exec_lo, s0
	v_cmp_le_u32_e32 vcc_lo, s1, v42
	v_mov_b32_e32 v41, s9
	s_nor_b32 s10, s8, vcc_lo
	s_delay_alu instid0(SALU_CYCLE_1)
	s_and_saveexec_b32 s0, s10
	s_cbranch_execz .LBB1834_63
; %bb.62:
	v_dual_lshrrev_b32 v41, s2, v40 :: v_dual_lshlrev_b32 v42, 2, v1
	s_sub_co_i32 s10, s3, s2
	s_delay_alu instid0(SALU_CYCLE_1)
	s_min_u32 s10, s10, 4
	s_delay_alu instid0(VALU_DEP_1) | instid1(SALU_CYCLE_1)
	v_bfe_u32 v41, v41, 0, s10
	s_delay_alu instid0(VALU_DEP_1)
	v_lshl_or_b32 v41, v41, 4, v42
	v_mov_b32_e32 v42, 1
	ds_add_u32 v41, v42
	v_mov_b32_e32 v41, 0
.LBB1834_63:
	s_or_b32 exec_lo, exec_lo, s0
	s_mov_b32 s10, -1
	s_mov_b32 s11, exec_lo
	s_delay_alu instid0(VALU_DEP_1)
	v_cmpx_gt_i32_e32 10, v41
; %bb.64:
	v_cmp_eq_u32_e64 s0, 0, v41
	s_or_not1_b32 s10, s0, exec_lo
; %bb.65:
	s_or_b32 exec_lo, exec_lo, s11
	s_and_saveexec_b32 s0, s10
	s_cbranch_execz .LBB1834_68
; %bb.66:
	s_add_co_i32 s10, s2, 4
	s_delay_alu instid0(SALU_CYCLE_1) | instskip(SKIP_2) | instid1(SALU_CYCLE_1)
	s_cmp_gt_u32 s3, s10
	s_cselect_b32 s11, -1, 0
	s_xor_b32 s12, vcc_lo, -1
	s_and_b32 s11, s11, s12
	s_delay_alu instid0(SALU_CYCLE_1)
	s_and_b32 exec_lo, exec_lo, s11
	s_cbranch_execz .LBB1834_68
; %bb.67:
	v_dual_lshrrev_b32 v40, s10, v40 :: v_dual_lshlrev_b32 v41, 2, v1
	s_sub_co_i32 s10, s3, s10
	s_delay_alu instid0(SALU_CYCLE_1)
	s_min_u32 s10, s10, 4
	s_delay_alu instid0(VALU_DEP_1) | instid1(SALU_CYCLE_1)
	v_bfe_u32 v40, v40, 0, s10
	s_delay_alu instid0(VALU_DEP_1)
	v_lshl_or_b32 v40, v40, 4, v41
	v_mov_b32_e32 v41, 1
	ds_add_u32 v40, v41 offset:256
.LBB1834_68:
	s_or_b32 exec_lo, exec_lo, s0
	v_cmp_le_u32_e32 vcc_lo, s1, v39
	v_mov_b32_e32 v39, s9
	s_nor_b32 s10, s8, vcc_lo
	s_delay_alu instid0(SALU_CYCLE_1)
	s_and_saveexec_b32 s0, s10
	s_cbranch_execz .LBB1834_70
; %bb.69:
	v_lshrrev_b32_e32 v39, s2, v37
	s_sub_co_i32 s10, s3, s2
	v_lshlrev_b32_e32 v40, 2, v1
	s_min_u32 s10, s10, 4
	s_delay_alu instid0(VALU_DEP_2) | instid1(SALU_CYCLE_1)
	v_bfe_u32 v39, v39, 0, s10
	s_delay_alu instid0(VALU_DEP_1)
	v_lshl_or_b32 v39, v39, 4, v40
	v_mov_b32_e32 v40, 1
	ds_add_u32 v39, v40
	v_mov_b32_e32 v39, 0
.LBB1834_70:
	s_or_b32 exec_lo, exec_lo, s0
	s_mov_b32 s10, -1
	s_mov_b32 s11, exec_lo
	s_delay_alu instid0(VALU_DEP_1)
	v_cmpx_gt_i32_e32 10, v39
; %bb.71:
	v_cmp_eq_u32_e64 s0, 0, v39
	s_or_not1_b32 s10, s0, exec_lo
; %bb.72:
	s_or_b32 exec_lo, exec_lo, s11
	s_and_saveexec_b32 s0, s10
	s_cbranch_execz .LBB1834_75
; %bb.73:
	s_add_co_i32 s10, s2, 4
	s_delay_alu instid0(SALU_CYCLE_1) | instskip(SKIP_2) | instid1(SALU_CYCLE_1)
	s_cmp_gt_u32 s3, s10
	s_cselect_b32 s11, -1, 0
	s_xor_b32 s12, vcc_lo, -1
	s_and_b32 s11, s11, s12
	s_delay_alu instid0(SALU_CYCLE_1)
	s_and_b32 exec_lo, exec_lo, s11
	s_cbranch_execz .LBB1834_75
; %bb.74:
	v_lshrrev_b32_e32 v37, s10, v37
	s_sub_co_i32 s10, s3, s10
	v_lshlrev_b32_e32 v39, 2, v1
	s_min_u32 s10, s10, 4
	s_delay_alu instid0(VALU_DEP_2) | instid1(SALU_CYCLE_1)
	v_bfe_u32 v37, v37, 0, s10
	s_delay_alu instid0(VALU_DEP_1)
	v_lshl_or_b32 v37, v37, 4, v39
	v_mov_b32_e32 v39, 1
	ds_add_u32 v37, v39 offset:256
.LBB1834_75:
	s_or_b32 exec_lo, exec_lo, s0
	v_cmp_le_u32_e32 vcc_lo, s1, v38
	v_mov_b32_e32 v37, s9
	s_nor_b32 s10, s8, vcc_lo
	s_delay_alu instid0(SALU_CYCLE_1)
	s_and_saveexec_b32 s0, s10
	s_cbranch_execz .LBB1834_77
; %bb.76:
	v_dual_lshrrev_b32 v37, s2, v36 :: v_dual_lshlrev_b32 v38, 2, v1
	s_sub_co_i32 s10, s3, s2
	s_delay_alu instid0(SALU_CYCLE_1)
	s_min_u32 s10, s10, 4
	s_delay_alu instid0(VALU_DEP_1) | instid1(SALU_CYCLE_1)
	v_bfe_u32 v37, v37, 0, s10
	s_delay_alu instid0(VALU_DEP_1)
	v_lshl_or_b32 v37, v37, 4, v38
	v_mov_b32_e32 v38, 1
	ds_add_u32 v37, v38
	v_mov_b32_e32 v37, 0
.LBB1834_77:
	s_or_b32 exec_lo, exec_lo, s0
	s_mov_b32 s10, -1
	s_mov_b32 s11, exec_lo
	s_delay_alu instid0(VALU_DEP_1)
	v_cmpx_gt_i32_e32 10, v37
; %bb.78:
	v_cmp_eq_u32_e64 s0, 0, v37
	s_or_not1_b32 s10, s0, exec_lo
; %bb.79:
	s_or_b32 exec_lo, exec_lo, s11
	s_and_saveexec_b32 s0, s10
	s_cbranch_execz .LBB1834_82
; %bb.80:
	s_add_co_i32 s10, s2, 4
	s_delay_alu instid0(SALU_CYCLE_1) | instskip(SKIP_2) | instid1(SALU_CYCLE_1)
	s_cmp_gt_u32 s3, s10
	s_cselect_b32 s11, -1, 0
	s_xor_b32 s12, vcc_lo, -1
	s_and_b32 s11, s11, s12
	s_delay_alu instid0(SALU_CYCLE_1)
	s_and_b32 exec_lo, exec_lo, s11
	s_cbranch_execz .LBB1834_82
; %bb.81:
	v_dual_lshrrev_b32 v36, s10, v36 :: v_dual_lshlrev_b32 v37, 2, v1
	s_sub_co_i32 s10, s3, s10
	s_delay_alu instid0(SALU_CYCLE_1)
	s_min_u32 s10, s10, 4
	s_delay_alu instid0(VALU_DEP_1) | instid1(SALU_CYCLE_1)
	v_bfe_u32 v36, v36, 0, s10
	s_delay_alu instid0(VALU_DEP_1)
	v_lshl_or_b32 v36, v36, 4, v37
	v_mov_b32_e32 v37, 1
	ds_add_u32 v36, v37 offset:256
.LBB1834_82:
	s_or_b32 exec_lo, exec_lo, s0
	v_cmp_le_u32_e32 vcc_lo, s1, v35
	v_mov_b32_e32 v35, s9
	s_nor_b32 s10, s8, vcc_lo
	s_delay_alu instid0(SALU_CYCLE_1)
	s_and_saveexec_b32 s0, s10
	s_cbranch_execz .LBB1834_84
; %bb.83:
	v_lshrrev_b32_e32 v35, s2, v33
	s_sub_co_i32 s10, s3, s2
	v_lshlrev_b32_e32 v36, 2, v1
	s_min_u32 s10, s10, 4
	s_delay_alu instid0(VALU_DEP_2) | instid1(SALU_CYCLE_1)
	v_bfe_u32 v35, v35, 0, s10
	s_delay_alu instid0(VALU_DEP_1)
	v_lshl_or_b32 v35, v35, 4, v36
	v_mov_b32_e32 v36, 1
	ds_add_u32 v35, v36
	v_mov_b32_e32 v35, 0
.LBB1834_84:
	s_or_b32 exec_lo, exec_lo, s0
	s_mov_b32 s10, -1
	s_mov_b32 s11, exec_lo
	s_delay_alu instid0(VALU_DEP_1)
	v_cmpx_gt_i32_e32 10, v35
; %bb.85:
	v_cmp_eq_u32_e64 s0, 0, v35
	s_or_not1_b32 s10, s0, exec_lo
; %bb.86:
	s_or_b32 exec_lo, exec_lo, s11
	s_and_saveexec_b32 s0, s10
	s_cbranch_execz .LBB1834_89
; %bb.87:
	s_add_co_i32 s10, s2, 4
	s_delay_alu instid0(SALU_CYCLE_1) | instskip(SKIP_2) | instid1(SALU_CYCLE_1)
	s_cmp_gt_u32 s3, s10
	s_cselect_b32 s11, -1, 0
	s_xor_b32 s12, vcc_lo, -1
	s_and_b32 s11, s11, s12
	s_delay_alu instid0(SALU_CYCLE_1)
	s_and_b32 exec_lo, exec_lo, s11
	s_cbranch_execz .LBB1834_89
; %bb.88:
	v_lshrrev_b32_e32 v33, s10, v33
	s_sub_co_i32 s10, s3, s10
	v_lshlrev_b32_e32 v35, 2, v1
	s_min_u32 s10, s10, 4
	s_delay_alu instid0(VALU_DEP_2) | instid1(SALU_CYCLE_1)
	v_bfe_u32 v33, v33, 0, s10
	s_delay_alu instid0(VALU_DEP_1)
	v_lshl_or_b32 v33, v33, 4, v35
	v_mov_b32_e32 v35, 1
	ds_add_u32 v33, v35 offset:256
.LBB1834_89:
	s_or_b32 exec_lo, exec_lo, s0
	v_cmp_le_u32_e32 vcc_lo, s1, v34
	v_mov_b32_e32 v33, s9
	s_nor_b32 s10, s8, vcc_lo
	s_delay_alu instid0(SALU_CYCLE_1)
	s_and_saveexec_b32 s0, s10
	s_cbranch_execz .LBB1834_91
; %bb.90:
	v_dual_lshrrev_b32 v33, s2, v32 :: v_dual_lshlrev_b32 v34, 2, v1
	s_sub_co_i32 s10, s3, s2
	s_delay_alu instid0(SALU_CYCLE_1)
	s_min_u32 s10, s10, 4
	s_delay_alu instid0(VALU_DEP_1) | instid1(SALU_CYCLE_1)
	v_bfe_u32 v33, v33, 0, s10
	s_delay_alu instid0(VALU_DEP_1)
	v_lshl_or_b32 v33, v33, 4, v34
	v_mov_b32_e32 v34, 1
	ds_add_u32 v33, v34
	v_mov_b32_e32 v33, 0
.LBB1834_91:
	s_or_b32 exec_lo, exec_lo, s0
	s_mov_b32 s10, -1
	s_mov_b32 s11, exec_lo
	s_delay_alu instid0(VALU_DEP_1)
	v_cmpx_gt_i32_e32 10, v33
; %bb.92:
	v_cmp_eq_u32_e64 s0, 0, v33
	s_or_not1_b32 s10, s0, exec_lo
; %bb.93:
	s_or_b32 exec_lo, exec_lo, s11
	s_and_saveexec_b32 s0, s10
	s_cbranch_execz .LBB1834_96
; %bb.94:
	s_add_co_i32 s10, s2, 4
	s_delay_alu instid0(SALU_CYCLE_1) | instskip(SKIP_2) | instid1(SALU_CYCLE_1)
	s_cmp_gt_u32 s3, s10
	s_cselect_b32 s11, -1, 0
	s_xor_b32 s12, vcc_lo, -1
	s_and_b32 s11, s11, s12
	s_delay_alu instid0(SALU_CYCLE_1)
	s_and_b32 exec_lo, exec_lo, s11
	s_cbranch_execz .LBB1834_96
; %bb.95:
	v_dual_lshrrev_b32 v32, s10, v32 :: v_dual_lshlrev_b32 v33, 2, v1
	s_sub_co_i32 s10, s3, s10
	s_delay_alu instid0(SALU_CYCLE_1)
	s_min_u32 s10, s10, 4
	s_delay_alu instid0(VALU_DEP_1) | instid1(SALU_CYCLE_1)
	v_bfe_u32 v32, v32, 0, s10
	s_delay_alu instid0(VALU_DEP_1)
	v_lshl_or_b32 v32, v32, 4, v33
	v_mov_b32_e32 v33, 1
	ds_add_u32 v32, v33 offset:256
.LBB1834_96:
	s_or_b32 exec_lo, exec_lo, s0
	v_cmp_le_u32_e32 vcc_lo, s1, v31
	v_mov_b32_e32 v31, s9
	s_nor_b32 s10, s8, vcc_lo
	s_delay_alu instid0(SALU_CYCLE_1)
	s_and_saveexec_b32 s0, s10
	s_cbranch_execz .LBB1834_98
; %bb.97:
	v_lshrrev_b32_e32 v31, s2, v29
	s_sub_co_i32 s10, s3, s2
	v_lshlrev_b32_e32 v32, 2, v1
	s_min_u32 s10, s10, 4
	s_delay_alu instid0(VALU_DEP_2) | instid1(SALU_CYCLE_1)
	v_bfe_u32 v31, v31, 0, s10
	s_delay_alu instid0(VALU_DEP_1)
	v_lshl_or_b32 v31, v31, 4, v32
	v_mov_b32_e32 v32, 1
	ds_add_u32 v31, v32
	v_mov_b32_e32 v31, 0
.LBB1834_98:
	s_or_b32 exec_lo, exec_lo, s0
	s_mov_b32 s10, -1
	s_mov_b32 s11, exec_lo
	s_delay_alu instid0(VALU_DEP_1)
	v_cmpx_gt_i32_e32 10, v31
; %bb.99:
	v_cmp_eq_u32_e64 s0, 0, v31
	s_or_not1_b32 s10, s0, exec_lo
; %bb.100:
	s_or_b32 exec_lo, exec_lo, s11
	s_and_saveexec_b32 s0, s10
	s_cbranch_execz .LBB1834_103
; %bb.101:
	s_add_co_i32 s10, s2, 4
	s_delay_alu instid0(SALU_CYCLE_1) | instskip(SKIP_2) | instid1(SALU_CYCLE_1)
	s_cmp_gt_u32 s3, s10
	s_cselect_b32 s11, -1, 0
	s_xor_b32 s12, vcc_lo, -1
	s_and_b32 s11, s11, s12
	s_delay_alu instid0(SALU_CYCLE_1)
	s_and_b32 exec_lo, exec_lo, s11
	s_cbranch_execz .LBB1834_103
; %bb.102:
	v_lshrrev_b32_e32 v29, s10, v29
	s_sub_co_i32 s10, s3, s10
	v_lshlrev_b32_e32 v31, 2, v1
	s_min_u32 s10, s10, 4
	s_delay_alu instid0(VALU_DEP_2) | instid1(SALU_CYCLE_1)
	v_bfe_u32 v29, v29, 0, s10
	s_delay_alu instid0(VALU_DEP_1)
	v_lshl_or_b32 v29, v29, 4, v31
	v_mov_b32_e32 v31, 1
	ds_add_u32 v29, v31 offset:256
.LBB1834_103:
	s_or_b32 exec_lo, exec_lo, s0
	v_cmp_le_u32_e32 vcc_lo, s1, v30
	v_mov_b32_e32 v29, s9
	s_nor_b32 s10, s8, vcc_lo
	s_delay_alu instid0(SALU_CYCLE_1)
	s_and_saveexec_b32 s0, s10
	s_cbranch_execz .LBB1834_105
; %bb.104:
	v_dual_lshrrev_b32 v29, s2, v28 :: v_dual_lshlrev_b32 v30, 2, v1
	s_sub_co_i32 s10, s3, s2
	s_delay_alu instid0(SALU_CYCLE_1)
	s_min_u32 s10, s10, 4
	s_delay_alu instid0(VALU_DEP_1) | instid1(SALU_CYCLE_1)
	v_bfe_u32 v29, v29, 0, s10
	s_delay_alu instid0(VALU_DEP_1)
	v_lshl_or_b32 v29, v29, 4, v30
	v_mov_b32_e32 v30, 1
	ds_add_u32 v29, v30
	v_mov_b32_e32 v29, 0
.LBB1834_105:
	s_or_b32 exec_lo, exec_lo, s0
	s_mov_b32 s10, -1
	s_mov_b32 s11, exec_lo
	s_delay_alu instid0(VALU_DEP_1)
	v_cmpx_gt_i32_e32 10, v29
; %bb.106:
	v_cmp_eq_u32_e64 s0, 0, v29
	s_or_not1_b32 s10, s0, exec_lo
; %bb.107:
	s_or_b32 exec_lo, exec_lo, s11
	s_and_saveexec_b32 s0, s10
	s_cbranch_execz .LBB1834_110
; %bb.108:
	s_add_co_i32 s10, s2, 4
	s_delay_alu instid0(SALU_CYCLE_1) | instskip(SKIP_2) | instid1(SALU_CYCLE_1)
	s_cmp_gt_u32 s3, s10
	s_cselect_b32 s11, -1, 0
	s_xor_b32 s12, vcc_lo, -1
	s_and_b32 s11, s11, s12
	s_delay_alu instid0(SALU_CYCLE_1)
	s_and_b32 exec_lo, exec_lo, s11
	s_cbranch_execz .LBB1834_110
; %bb.109:
	v_dual_lshrrev_b32 v28, s10, v28 :: v_dual_lshlrev_b32 v29, 2, v1
	s_sub_co_i32 s10, s3, s10
	s_delay_alu instid0(SALU_CYCLE_1)
	s_min_u32 s10, s10, 4
	s_delay_alu instid0(VALU_DEP_1) | instid1(SALU_CYCLE_1)
	v_bfe_u32 v28, v28, 0, s10
	s_delay_alu instid0(VALU_DEP_1)
	v_lshl_or_b32 v28, v28, 4, v29
	v_mov_b32_e32 v29, 1
	ds_add_u32 v28, v29 offset:256
.LBB1834_110:
	s_or_b32 exec_lo, exec_lo, s0
	v_cmp_le_u32_e32 vcc_lo, s1, v27
	v_mov_b32_e32 v27, s9
	s_nor_b32 s10, s8, vcc_lo
	s_delay_alu instid0(SALU_CYCLE_1)
	s_and_saveexec_b32 s0, s10
	s_cbranch_execz .LBB1834_112
; %bb.111:
	v_lshrrev_b32_e32 v27, s2, v25
	s_sub_co_i32 s10, s3, s2
	v_lshlrev_b32_e32 v28, 2, v1
	s_min_u32 s10, s10, 4
	s_delay_alu instid0(VALU_DEP_2) | instid1(SALU_CYCLE_1)
	v_bfe_u32 v27, v27, 0, s10
	s_delay_alu instid0(VALU_DEP_1)
	v_lshl_or_b32 v27, v27, 4, v28
	v_mov_b32_e32 v28, 1
	ds_add_u32 v27, v28
	v_mov_b32_e32 v27, 0
.LBB1834_112:
	s_or_b32 exec_lo, exec_lo, s0
	s_mov_b32 s10, -1
	s_mov_b32 s11, exec_lo
	s_delay_alu instid0(VALU_DEP_1)
	v_cmpx_gt_i32_e32 10, v27
; %bb.113:
	v_cmp_eq_u32_e64 s0, 0, v27
	s_or_not1_b32 s10, s0, exec_lo
; %bb.114:
	s_or_b32 exec_lo, exec_lo, s11
	s_and_saveexec_b32 s0, s10
	s_cbranch_execz .LBB1834_117
; %bb.115:
	s_add_co_i32 s10, s2, 4
	s_delay_alu instid0(SALU_CYCLE_1) | instskip(SKIP_2) | instid1(SALU_CYCLE_1)
	s_cmp_gt_u32 s3, s10
	s_cselect_b32 s11, -1, 0
	s_xor_b32 s12, vcc_lo, -1
	s_and_b32 s11, s11, s12
	s_delay_alu instid0(SALU_CYCLE_1)
	s_and_b32 exec_lo, exec_lo, s11
	s_cbranch_execz .LBB1834_117
; %bb.116:
	v_lshrrev_b32_e32 v25, s10, v25
	s_sub_co_i32 s10, s3, s10
	v_lshlrev_b32_e32 v27, 2, v1
	s_min_u32 s10, s10, 4
	s_delay_alu instid0(VALU_DEP_2) | instid1(SALU_CYCLE_1)
	v_bfe_u32 v25, v25, 0, s10
	s_delay_alu instid0(VALU_DEP_1)
	v_lshl_or_b32 v25, v25, 4, v27
	v_mov_b32_e32 v27, 1
	ds_add_u32 v25, v27 offset:256
.LBB1834_117:
	s_or_b32 exec_lo, exec_lo, s0
	v_cmp_le_u32_e32 vcc_lo, s1, v26
	v_mov_b32_e32 v25, s9
	s_nor_b32 s10, s8, vcc_lo
	s_delay_alu instid0(SALU_CYCLE_1)
	s_and_saveexec_b32 s0, s10
	s_cbranch_execz .LBB1834_119
; %bb.118:
	v_dual_lshrrev_b32 v25, s2, v24 :: v_dual_lshlrev_b32 v26, 2, v1
	s_sub_co_i32 s10, s3, s2
	s_delay_alu instid0(SALU_CYCLE_1)
	s_min_u32 s10, s10, 4
	s_delay_alu instid0(VALU_DEP_1) | instid1(SALU_CYCLE_1)
	v_bfe_u32 v25, v25, 0, s10
	s_delay_alu instid0(VALU_DEP_1)
	v_lshl_or_b32 v25, v25, 4, v26
	v_mov_b32_e32 v26, 1
	ds_add_u32 v25, v26
	v_mov_b32_e32 v25, 0
.LBB1834_119:
	s_or_b32 exec_lo, exec_lo, s0
	s_mov_b32 s10, -1
	s_mov_b32 s11, exec_lo
	s_delay_alu instid0(VALU_DEP_1)
	v_cmpx_gt_i32_e32 10, v25
; %bb.120:
	v_cmp_eq_u32_e64 s0, 0, v25
	s_or_not1_b32 s10, s0, exec_lo
; %bb.121:
	s_or_b32 exec_lo, exec_lo, s11
	s_and_saveexec_b32 s0, s10
	s_cbranch_execz .LBB1834_124
; %bb.122:
	s_add_co_i32 s10, s2, 4
	s_delay_alu instid0(SALU_CYCLE_1) | instskip(SKIP_2) | instid1(SALU_CYCLE_1)
	s_cmp_gt_u32 s3, s10
	s_cselect_b32 s11, -1, 0
	s_xor_b32 s12, vcc_lo, -1
	s_and_b32 s11, s11, s12
	s_delay_alu instid0(SALU_CYCLE_1)
	s_and_b32 exec_lo, exec_lo, s11
	s_cbranch_execz .LBB1834_124
; %bb.123:
	v_dual_lshrrev_b32 v24, s10, v24 :: v_dual_lshlrev_b32 v25, 2, v1
	s_sub_co_i32 s10, s3, s10
	s_delay_alu instid0(SALU_CYCLE_1)
	s_min_u32 s10, s10, 4
	s_delay_alu instid0(VALU_DEP_1) | instid1(SALU_CYCLE_1)
	v_bfe_u32 v24, v24, 0, s10
	s_delay_alu instid0(VALU_DEP_1)
	v_lshl_or_b32 v24, v24, 4, v25
	v_mov_b32_e32 v25, 1
	ds_add_u32 v24, v25 offset:256
.LBB1834_124:
	s_or_b32 exec_lo, exec_lo, s0
	v_cmp_le_u32_e32 vcc_lo, s1, v23
	v_mov_b32_e32 v23, s9
	s_nor_b32 s10, s8, vcc_lo
	s_delay_alu instid0(SALU_CYCLE_1)
	s_and_saveexec_b32 s0, s10
	s_cbranch_execz .LBB1834_126
; %bb.125:
	v_lshrrev_b32_e32 v23, s2, v21
	s_sub_co_i32 s10, s3, s2
	v_lshlrev_b32_e32 v24, 2, v1
	s_min_u32 s10, s10, 4
	s_delay_alu instid0(VALU_DEP_2) | instid1(SALU_CYCLE_1)
	v_bfe_u32 v23, v23, 0, s10
	s_delay_alu instid0(VALU_DEP_1)
	v_lshl_or_b32 v23, v23, 4, v24
	v_mov_b32_e32 v24, 1
	ds_add_u32 v23, v24
	v_mov_b32_e32 v23, 0
.LBB1834_126:
	s_or_b32 exec_lo, exec_lo, s0
	s_mov_b32 s10, -1
	s_mov_b32 s11, exec_lo
	s_delay_alu instid0(VALU_DEP_1)
	v_cmpx_gt_i32_e32 10, v23
; %bb.127:
	v_cmp_eq_u32_e64 s0, 0, v23
	s_or_not1_b32 s10, s0, exec_lo
; %bb.128:
	s_or_b32 exec_lo, exec_lo, s11
	s_and_saveexec_b32 s0, s10
	s_cbranch_execz .LBB1834_131
; %bb.129:
	s_add_co_i32 s10, s2, 4
	s_delay_alu instid0(SALU_CYCLE_1) | instskip(SKIP_2) | instid1(SALU_CYCLE_1)
	s_cmp_gt_u32 s3, s10
	s_cselect_b32 s11, -1, 0
	s_xor_b32 s12, vcc_lo, -1
	s_and_b32 s11, s11, s12
	s_delay_alu instid0(SALU_CYCLE_1)
	s_and_b32 exec_lo, exec_lo, s11
	s_cbranch_execz .LBB1834_131
; %bb.130:
	v_lshrrev_b32_e32 v21, s10, v21
	s_sub_co_i32 s10, s3, s10
	v_lshlrev_b32_e32 v23, 2, v1
	s_min_u32 s10, s10, 4
	s_delay_alu instid0(VALU_DEP_2) | instid1(SALU_CYCLE_1)
	v_bfe_u32 v21, v21, 0, s10
	s_delay_alu instid0(VALU_DEP_1)
	v_lshl_or_b32 v21, v21, 4, v23
	v_mov_b32_e32 v23, 1
	ds_add_u32 v21, v23 offset:256
.LBB1834_131:
	s_or_b32 exec_lo, exec_lo, s0
	v_cmp_le_u32_e32 vcc_lo, s1, v22
	v_mov_b32_e32 v21, s9
	s_nor_b32 s10, s8, vcc_lo
	s_delay_alu instid0(SALU_CYCLE_1)
	s_and_saveexec_b32 s0, s10
	s_cbranch_execz .LBB1834_133
; %bb.132:
	v_dual_lshrrev_b32 v21, s2, v20 :: v_dual_lshlrev_b32 v22, 2, v1
	s_sub_co_i32 s10, s3, s2
	s_delay_alu instid0(SALU_CYCLE_1)
	s_min_u32 s10, s10, 4
	s_delay_alu instid0(VALU_DEP_1) | instid1(SALU_CYCLE_1)
	v_bfe_u32 v21, v21, 0, s10
	s_delay_alu instid0(VALU_DEP_1)
	v_lshl_or_b32 v21, v21, 4, v22
	v_mov_b32_e32 v22, 1
	ds_add_u32 v21, v22
	v_mov_b32_e32 v21, 0
.LBB1834_133:
	s_or_b32 exec_lo, exec_lo, s0
	s_mov_b32 s10, -1
	s_mov_b32 s11, exec_lo
	s_delay_alu instid0(VALU_DEP_1)
	v_cmpx_gt_i32_e32 10, v21
; %bb.134:
	v_cmp_eq_u32_e64 s0, 0, v21
	s_or_not1_b32 s10, s0, exec_lo
; %bb.135:
	s_or_b32 exec_lo, exec_lo, s11
	s_and_saveexec_b32 s0, s10
	s_cbranch_execz .LBB1834_138
; %bb.136:
	s_add_co_i32 s10, s2, 4
	s_delay_alu instid0(SALU_CYCLE_1) | instskip(SKIP_2) | instid1(SALU_CYCLE_1)
	s_cmp_gt_u32 s3, s10
	s_cselect_b32 s11, -1, 0
	s_xor_b32 s12, vcc_lo, -1
	s_and_b32 s11, s11, s12
	s_delay_alu instid0(SALU_CYCLE_1)
	s_and_b32 exec_lo, exec_lo, s11
	s_cbranch_execz .LBB1834_138
; %bb.137:
	v_dual_lshrrev_b32 v20, s10, v20 :: v_dual_lshlrev_b32 v21, 2, v1
	s_sub_co_i32 s10, s3, s10
	s_delay_alu instid0(SALU_CYCLE_1)
	s_min_u32 s10, s10, 4
	s_delay_alu instid0(VALU_DEP_1) | instid1(SALU_CYCLE_1)
	v_bfe_u32 v20, v20, 0, s10
	s_delay_alu instid0(VALU_DEP_1)
	v_lshl_or_b32 v20, v20, 4, v21
	v_mov_b32_e32 v21, 1
	ds_add_u32 v20, v21 offset:256
.LBB1834_138:
	s_or_b32 exec_lo, exec_lo, s0
	v_cmp_le_u32_e32 vcc_lo, s1, v19
	v_mov_b32_e32 v19, s9
	s_nor_b32 s10, s8, vcc_lo
	s_delay_alu instid0(SALU_CYCLE_1)
	s_and_saveexec_b32 s0, s10
	s_cbranch_execz .LBB1834_140
; %bb.139:
	v_lshrrev_b32_e32 v19, s2, v17
	s_sub_co_i32 s10, s3, s2
	v_lshlrev_b32_e32 v20, 2, v1
	s_min_u32 s10, s10, 4
	s_delay_alu instid0(VALU_DEP_2) | instid1(SALU_CYCLE_1)
	v_bfe_u32 v19, v19, 0, s10
	s_delay_alu instid0(VALU_DEP_1)
	v_lshl_or_b32 v19, v19, 4, v20
	v_mov_b32_e32 v20, 1
	ds_add_u32 v19, v20
	v_mov_b32_e32 v19, 0
.LBB1834_140:
	s_or_b32 exec_lo, exec_lo, s0
	s_mov_b32 s10, -1
	s_mov_b32 s11, exec_lo
	s_delay_alu instid0(VALU_DEP_1)
	v_cmpx_gt_i32_e32 10, v19
; %bb.141:
	v_cmp_eq_u32_e64 s0, 0, v19
	s_or_not1_b32 s10, s0, exec_lo
; %bb.142:
	s_or_b32 exec_lo, exec_lo, s11
	s_and_saveexec_b32 s0, s10
	s_cbranch_execz .LBB1834_145
; %bb.143:
	s_add_co_i32 s10, s2, 4
	s_delay_alu instid0(SALU_CYCLE_1) | instskip(SKIP_2) | instid1(SALU_CYCLE_1)
	s_cmp_gt_u32 s3, s10
	s_cselect_b32 s11, -1, 0
	s_xor_b32 s12, vcc_lo, -1
	s_and_b32 s11, s11, s12
	s_delay_alu instid0(SALU_CYCLE_1)
	s_and_b32 exec_lo, exec_lo, s11
	s_cbranch_execz .LBB1834_145
; %bb.144:
	v_lshrrev_b32_e32 v17, s10, v17
	s_sub_co_i32 s10, s3, s10
	v_lshlrev_b32_e32 v19, 2, v1
	s_min_u32 s10, s10, 4
	s_delay_alu instid0(VALU_DEP_2) | instid1(SALU_CYCLE_1)
	v_bfe_u32 v17, v17, 0, s10
	s_delay_alu instid0(VALU_DEP_1)
	v_lshl_or_b32 v17, v17, 4, v19
	v_mov_b32_e32 v19, 1
	ds_add_u32 v17, v19 offset:256
.LBB1834_145:
	s_or_b32 exec_lo, exec_lo, s0
	v_cmp_le_u32_e32 vcc_lo, s1, v18
	v_mov_b32_e32 v17, s9
	s_nor_b32 s10, s8, vcc_lo
	s_delay_alu instid0(SALU_CYCLE_1)
	s_and_saveexec_b32 s0, s10
	s_cbranch_execz .LBB1834_147
; %bb.146:
	v_dual_lshrrev_b32 v17, s2, v16 :: v_dual_lshlrev_b32 v18, 2, v1
	s_sub_co_i32 s10, s3, s2
	s_delay_alu instid0(SALU_CYCLE_1)
	s_min_u32 s10, s10, 4
	s_delay_alu instid0(VALU_DEP_1) | instid1(SALU_CYCLE_1)
	v_bfe_u32 v17, v17, 0, s10
	s_delay_alu instid0(VALU_DEP_1)
	v_lshl_or_b32 v17, v17, 4, v18
	v_mov_b32_e32 v18, 1
	ds_add_u32 v17, v18
	v_mov_b32_e32 v17, 0
.LBB1834_147:
	s_or_b32 exec_lo, exec_lo, s0
	s_mov_b32 s10, -1
	s_mov_b32 s11, exec_lo
	s_delay_alu instid0(VALU_DEP_1)
	v_cmpx_gt_i32_e32 10, v17
; %bb.148:
	v_cmp_eq_u32_e64 s0, 0, v17
	s_or_not1_b32 s10, s0, exec_lo
; %bb.149:
	s_or_b32 exec_lo, exec_lo, s11
	s_and_saveexec_b32 s0, s10
	s_cbranch_execz .LBB1834_152
; %bb.150:
	s_add_co_i32 s10, s2, 4
	s_delay_alu instid0(SALU_CYCLE_1) | instskip(SKIP_2) | instid1(SALU_CYCLE_1)
	s_cmp_gt_u32 s3, s10
	s_cselect_b32 s11, -1, 0
	s_xor_b32 s12, vcc_lo, -1
	s_and_b32 s11, s11, s12
	s_delay_alu instid0(SALU_CYCLE_1)
	s_and_b32 exec_lo, exec_lo, s11
	s_cbranch_execz .LBB1834_152
; %bb.151:
	v_dual_lshrrev_b32 v16, s10, v16 :: v_dual_lshlrev_b32 v17, 2, v1
	s_sub_co_i32 s10, s3, s10
	s_delay_alu instid0(SALU_CYCLE_1)
	s_min_u32 s10, s10, 4
	s_delay_alu instid0(VALU_DEP_1) | instid1(SALU_CYCLE_1)
	v_bfe_u32 v16, v16, 0, s10
	s_delay_alu instid0(VALU_DEP_1)
	v_lshl_or_b32 v16, v16, 4, v17
	v_mov_b32_e32 v17, 1
	ds_add_u32 v16, v17 offset:256
.LBB1834_152:
	s_or_b32 exec_lo, exec_lo, s0
	v_cmp_le_u32_e32 vcc_lo, s1, v15
	v_mov_b32_e32 v15, s9
	s_nor_b32 s10, s8, vcc_lo
	s_delay_alu instid0(SALU_CYCLE_1)
	s_and_saveexec_b32 s0, s10
	s_cbranch_execz .LBB1834_154
; %bb.153:
	v_lshrrev_b32_e32 v15, s2, v13
	s_sub_co_i32 s10, s3, s2
	v_lshlrev_b32_e32 v16, 2, v1
	s_min_u32 s10, s10, 4
	s_delay_alu instid0(VALU_DEP_2) | instid1(SALU_CYCLE_1)
	v_bfe_u32 v15, v15, 0, s10
	s_delay_alu instid0(VALU_DEP_1)
	v_lshl_or_b32 v15, v15, 4, v16
	v_mov_b32_e32 v16, 1
	ds_add_u32 v15, v16
	v_mov_b32_e32 v15, 0
.LBB1834_154:
	s_or_b32 exec_lo, exec_lo, s0
	s_mov_b32 s10, -1
	s_mov_b32 s11, exec_lo
	s_delay_alu instid0(VALU_DEP_1)
	v_cmpx_gt_i32_e32 10, v15
; %bb.155:
	v_cmp_eq_u32_e64 s0, 0, v15
	s_or_not1_b32 s10, s0, exec_lo
; %bb.156:
	s_or_b32 exec_lo, exec_lo, s11
	s_and_saveexec_b32 s0, s10
	s_cbranch_execz .LBB1834_159
; %bb.157:
	s_add_co_i32 s10, s2, 4
	s_delay_alu instid0(SALU_CYCLE_1) | instskip(SKIP_2) | instid1(SALU_CYCLE_1)
	s_cmp_gt_u32 s3, s10
	s_cselect_b32 s11, -1, 0
	s_xor_b32 s12, vcc_lo, -1
	s_and_b32 s11, s11, s12
	s_delay_alu instid0(SALU_CYCLE_1)
	s_and_b32 exec_lo, exec_lo, s11
	s_cbranch_execz .LBB1834_159
; %bb.158:
	v_lshrrev_b32_e32 v13, s10, v13
	s_sub_co_i32 s10, s3, s10
	v_lshlrev_b32_e32 v15, 2, v1
	s_min_u32 s10, s10, 4
	s_delay_alu instid0(VALU_DEP_2) | instid1(SALU_CYCLE_1)
	v_bfe_u32 v13, v13, 0, s10
	s_delay_alu instid0(VALU_DEP_1)
	v_lshl_or_b32 v13, v13, 4, v15
	v_mov_b32_e32 v15, 1
	ds_add_u32 v13, v15 offset:256
.LBB1834_159:
	s_or_b32 exec_lo, exec_lo, s0
	v_cmp_le_u32_e32 vcc_lo, s1, v14
	v_mov_b32_e32 v13, s9
	s_nor_b32 s10, s8, vcc_lo
	s_delay_alu instid0(SALU_CYCLE_1)
	s_and_saveexec_b32 s0, s10
	s_cbranch_execz .LBB1834_161
; %bb.160:
	v_dual_lshrrev_b32 v13, s2, v12 :: v_dual_lshlrev_b32 v14, 2, v1
	s_sub_co_i32 s10, s3, s2
	s_delay_alu instid0(SALU_CYCLE_1)
	s_min_u32 s10, s10, 4
	s_delay_alu instid0(VALU_DEP_1) | instid1(SALU_CYCLE_1)
	v_bfe_u32 v13, v13, 0, s10
	s_delay_alu instid0(VALU_DEP_1)
	v_lshl_or_b32 v13, v13, 4, v14
	v_mov_b32_e32 v14, 1
	ds_add_u32 v13, v14
	v_mov_b32_e32 v13, 0
.LBB1834_161:
	s_or_b32 exec_lo, exec_lo, s0
	s_mov_b32 s10, -1
	s_mov_b32 s11, exec_lo
	s_delay_alu instid0(VALU_DEP_1)
	v_cmpx_gt_i32_e32 10, v13
; %bb.162:
	v_cmp_eq_u32_e64 s0, 0, v13
	s_or_not1_b32 s10, s0, exec_lo
; %bb.163:
	s_or_b32 exec_lo, exec_lo, s11
	s_and_saveexec_b32 s0, s10
	s_cbranch_execz .LBB1834_166
; %bb.164:
	s_add_co_i32 s10, s2, 4
	s_delay_alu instid0(SALU_CYCLE_1) | instskip(SKIP_2) | instid1(SALU_CYCLE_1)
	s_cmp_gt_u32 s3, s10
	s_cselect_b32 s11, -1, 0
	s_xor_b32 s12, vcc_lo, -1
	s_and_b32 s11, s11, s12
	s_delay_alu instid0(SALU_CYCLE_1)
	s_and_b32 exec_lo, exec_lo, s11
	s_cbranch_execz .LBB1834_166
; %bb.165:
	v_dual_lshrrev_b32 v12, s10, v12 :: v_dual_lshlrev_b32 v13, 2, v1
	s_sub_co_i32 s10, s3, s10
	s_delay_alu instid0(SALU_CYCLE_1)
	s_min_u32 s10, s10, 4
	s_delay_alu instid0(VALU_DEP_1) | instid1(SALU_CYCLE_1)
	v_bfe_u32 v12, v12, 0, s10
	s_delay_alu instid0(VALU_DEP_1)
	v_lshl_or_b32 v12, v12, 4, v13
	v_mov_b32_e32 v13, 1
	ds_add_u32 v12, v13 offset:256
.LBB1834_166:
	s_or_b32 exec_lo, exec_lo, s0
	v_cmp_le_u32_e32 vcc_lo, s1, v11
	v_mov_b32_e32 v11, s9
	s_nor_b32 s10, s8, vcc_lo
	s_delay_alu instid0(SALU_CYCLE_1)
	s_and_saveexec_b32 s0, s10
	s_cbranch_execz .LBB1834_168
; %bb.167:
	v_lshrrev_b32_e32 v11, s2, v9
	s_sub_co_i32 s10, s3, s2
	v_lshlrev_b32_e32 v12, 2, v1
	s_min_u32 s10, s10, 4
	s_delay_alu instid0(VALU_DEP_2) | instid1(SALU_CYCLE_1)
	v_bfe_u32 v11, v11, 0, s10
	s_delay_alu instid0(VALU_DEP_1)
	v_lshl_or_b32 v11, v11, 4, v12
	v_mov_b32_e32 v12, 1
	ds_add_u32 v11, v12
	v_mov_b32_e32 v11, 0
.LBB1834_168:
	s_or_b32 exec_lo, exec_lo, s0
	s_mov_b32 s10, -1
	s_mov_b32 s11, exec_lo
	s_delay_alu instid0(VALU_DEP_1)
	v_cmpx_gt_i32_e32 10, v11
; %bb.169:
	v_cmp_eq_u32_e64 s0, 0, v11
	s_or_not1_b32 s10, s0, exec_lo
; %bb.170:
	s_or_b32 exec_lo, exec_lo, s11
	s_and_saveexec_b32 s0, s10
	s_cbranch_execz .LBB1834_173
; %bb.171:
	s_add_co_i32 s10, s2, 4
	s_delay_alu instid0(SALU_CYCLE_1) | instskip(SKIP_2) | instid1(SALU_CYCLE_1)
	s_cmp_gt_u32 s3, s10
	s_cselect_b32 s11, -1, 0
	s_xor_b32 s12, vcc_lo, -1
	s_and_b32 s11, s11, s12
	s_delay_alu instid0(SALU_CYCLE_1)
	s_and_b32 exec_lo, exec_lo, s11
	s_cbranch_execz .LBB1834_173
; %bb.172:
	v_lshrrev_b32_e32 v9, s10, v9
	s_sub_co_i32 s10, s3, s10
	v_lshlrev_b32_e32 v11, 2, v1
	s_min_u32 s10, s10, 4
	s_delay_alu instid0(VALU_DEP_2) | instid1(SALU_CYCLE_1)
	v_bfe_u32 v9, v9, 0, s10
	s_delay_alu instid0(VALU_DEP_1)
	v_lshl_or_b32 v9, v9, 4, v11
	v_mov_b32_e32 v11, 1
	ds_add_u32 v9, v11 offset:256
.LBB1834_173:
	s_or_b32 exec_lo, exec_lo, s0
	v_cmp_le_u32_e32 vcc_lo, s1, v10
	v_mov_b32_e32 v9, s9
	s_nor_b32 s10, s8, vcc_lo
	s_delay_alu instid0(SALU_CYCLE_1)
	s_and_saveexec_b32 s0, s10
	s_cbranch_execz .LBB1834_175
; %bb.174:
	v_dual_lshrrev_b32 v9, s2, v8 :: v_dual_lshlrev_b32 v10, 2, v1
	s_sub_co_i32 s10, s3, s2
	s_delay_alu instid0(SALU_CYCLE_1)
	s_min_u32 s10, s10, 4
	s_delay_alu instid0(VALU_DEP_1) | instid1(SALU_CYCLE_1)
	v_bfe_u32 v9, v9, 0, s10
	s_delay_alu instid0(VALU_DEP_1)
	v_lshl_or_b32 v9, v9, 4, v10
	v_mov_b32_e32 v10, 1
	ds_add_u32 v9, v10
	v_mov_b32_e32 v9, 0
.LBB1834_175:
	s_or_b32 exec_lo, exec_lo, s0
	s_mov_b32 s10, -1
	s_mov_b32 s11, exec_lo
	s_delay_alu instid0(VALU_DEP_1)
	v_cmpx_gt_i32_e32 10, v9
; %bb.176:
	v_cmp_eq_u32_e64 s0, 0, v9
	s_or_not1_b32 s10, s0, exec_lo
; %bb.177:
	s_or_b32 exec_lo, exec_lo, s11
	s_and_saveexec_b32 s0, s10
	s_cbranch_execz .LBB1834_180
; %bb.178:
	s_add_co_i32 s10, s2, 4
	s_delay_alu instid0(SALU_CYCLE_1) | instskip(SKIP_2) | instid1(SALU_CYCLE_1)
	s_cmp_gt_u32 s3, s10
	s_cselect_b32 s11, -1, 0
	s_xor_b32 s12, vcc_lo, -1
	s_and_b32 s11, s11, s12
	s_delay_alu instid0(SALU_CYCLE_1)
	s_and_b32 exec_lo, exec_lo, s11
	s_cbranch_execz .LBB1834_180
; %bb.179:
	v_dual_lshrrev_b32 v8, s10, v8 :: v_dual_lshlrev_b32 v9, 2, v1
	s_sub_co_i32 s10, s3, s10
	s_delay_alu instid0(SALU_CYCLE_1)
	s_min_u32 s10, s10, 4
	s_delay_alu instid0(VALU_DEP_1) | instid1(SALU_CYCLE_1)
	v_bfe_u32 v8, v8, 0, s10
	s_delay_alu instid0(VALU_DEP_1)
	v_lshl_or_b32 v8, v8, 4, v9
	v_mov_b32_e32 v9, 1
	ds_add_u32 v8, v9 offset:256
.LBB1834_180:
	s_or_b32 exec_lo, exec_lo, s0
	v_cmp_le_u32_e32 vcc_lo, s1, v7
	v_mov_b32_e32 v7, s9
	s_nor_b32 s10, s8, vcc_lo
	s_delay_alu instid0(SALU_CYCLE_1)
	s_and_saveexec_b32 s0, s10
	s_cbranch_execz .LBB1834_182
; %bb.181:
	v_lshrrev_b32_e32 v7, s2, v5
	s_sub_co_i32 s10, s3, s2
	v_lshlrev_b32_e32 v8, 2, v1
	s_min_u32 s10, s10, 4
	s_delay_alu instid0(VALU_DEP_2) | instid1(SALU_CYCLE_1)
	v_bfe_u32 v7, v7, 0, s10
	s_delay_alu instid0(VALU_DEP_1)
	v_lshl_or_b32 v7, v7, 4, v8
	v_mov_b32_e32 v8, 1
	ds_add_u32 v7, v8
	v_mov_b32_e32 v7, 0
.LBB1834_182:
	s_or_b32 exec_lo, exec_lo, s0
	s_mov_b32 s10, -1
	s_mov_b32 s11, exec_lo
	s_delay_alu instid0(VALU_DEP_1)
	v_cmpx_gt_i32_e32 10, v7
; %bb.183:
	v_cmp_eq_u32_e64 s0, 0, v7
	s_or_not1_b32 s10, s0, exec_lo
; %bb.184:
	s_or_b32 exec_lo, exec_lo, s11
	s_and_saveexec_b32 s0, s10
	s_cbranch_execz .LBB1834_187
; %bb.185:
	s_add_co_i32 s10, s2, 4
	s_delay_alu instid0(SALU_CYCLE_1) | instskip(SKIP_2) | instid1(SALU_CYCLE_1)
	s_cmp_gt_u32 s3, s10
	s_cselect_b32 s11, -1, 0
	s_xor_b32 s12, vcc_lo, -1
	s_and_b32 s11, s11, s12
	s_delay_alu instid0(SALU_CYCLE_1)
	s_and_b32 exec_lo, exec_lo, s11
	s_cbranch_execz .LBB1834_187
; %bb.186:
	v_lshrrev_b32_e32 v5, s10, v5
	s_sub_co_i32 s10, s3, s10
	v_lshlrev_b32_e32 v7, 2, v1
	s_min_u32 s10, s10, 4
	s_delay_alu instid0(VALU_DEP_2) | instid1(SALU_CYCLE_1)
	v_bfe_u32 v5, v5, 0, s10
	s_delay_alu instid0(VALU_DEP_1)
	v_lshl_or_b32 v5, v5, 4, v7
	v_mov_b32_e32 v7, 1
	ds_add_u32 v5, v7 offset:256
.LBB1834_187:
	s_or_b32 exec_lo, exec_lo, s0
	v_cmp_le_u32_e32 vcc_lo, s1, v6
	v_mov_b32_e32 v5, s9
	s_nor_b32 s10, s8, vcc_lo
	s_delay_alu instid0(SALU_CYCLE_1)
	s_and_saveexec_b32 s0, s10
	s_cbranch_execz .LBB1834_189
; %bb.188:
	v_dual_lshrrev_b32 v5, s2, v4 :: v_dual_lshlrev_b32 v6, 2, v1
	s_sub_co_i32 s10, s3, s2
	s_delay_alu instid0(SALU_CYCLE_1)
	s_min_u32 s10, s10, 4
	s_delay_alu instid0(VALU_DEP_1) | instid1(SALU_CYCLE_1)
	v_bfe_u32 v5, v5, 0, s10
	s_delay_alu instid0(VALU_DEP_1)
	v_lshl_or_b32 v5, v5, 4, v6
	v_mov_b32_e32 v6, 1
	ds_add_u32 v5, v6
	v_mov_b32_e32 v5, 0
.LBB1834_189:
	s_or_b32 exec_lo, exec_lo, s0
	s_mov_b32 s10, -1
	s_mov_b32 s11, exec_lo
	s_delay_alu instid0(VALU_DEP_1)
	v_cmpx_gt_i32_e32 10, v5
; %bb.190:
	v_cmp_eq_u32_e64 s0, 0, v5
	s_or_not1_b32 s10, s0, exec_lo
; %bb.191:
	s_or_b32 exec_lo, exec_lo, s11
	s_and_saveexec_b32 s0, s10
	s_cbranch_execz .LBB1834_194
; %bb.192:
	s_add_co_i32 s10, s2, 4
	s_delay_alu instid0(SALU_CYCLE_1) | instskip(SKIP_2) | instid1(SALU_CYCLE_1)
	s_cmp_gt_u32 s3, s10
	s_cselect_b32 s11, -1, 0
	s_xor_b32 s12, vcc_lo, -1
	s_and_b32 s11, s11, s12
	s_delay_alu instid0(SALU_CYCLE_1)
	s_and_b32 exec_lo, exec_lo, s11
	s_cbranch_execz .LBB1834_194
; %bb.193:
	v_dual_lshrrev_b32 v4, s10, v4 :: v_dual_lshlrev_b32 v5, 2, v1
	s_sub_co_i32 s10, s3, s10
	s_delay_alu instid0(SALU_CYCLE_1)
	s_min_u32 s10, s10, 4
	s_delay_alu instid0(VALU_DEP_1) | instid1(SALU_CYCLE_1)
	v_bfe_u32 v4, v4, 0, s10
	s_delay_alu instid0(VALU_DEP_1)
	v_lshl_or_b32 v4, v4, 4, v5
	v_mov_b32_e32 v5, 1
	ds_add_u32 v4, v5 offset:256
.LBB1834_194:
	s_or_b32 exec_lo, exec_lo, s0
	v_cmp_le_u32_e32 vcc_lo, s1, v3
	v_mov_b32_e32 v3, s9
	s_nor_b32 s1, s8, vcc_lo
	s_delay_alu instid0(SALU_CYCLE_1)
	s_and_saveexec_b32 s0, s1
	s_cbranch_execz .LBB1834_196
; %bb.195:
	v_dual_lshrrev_b32 v3, s2, v2 :: v_dual_lshlrev_b32 v4, 2, v1
	s_sub_co_i32 s1, s3, s2
	s_delay_alu instid0(SALU_CYCLE_1)
	s_min_u32 s1, s1, 4
	s_delay_alu instid0(VALU_DEP_1) | instid1(SALU_CYCLE_1)
	v_bfe_u32 v3, v3, 0, s1
	s_delay_alu instid0(VALU_DEP_1)
	v_lshl_or_b32 v3, v3, 4, v4
	v_mov_b32_e32 v4, 1
	ds_add_u32 v3, v4
	v_mov_b32_e32 v3, 0
.LBB1834_196:
	s_or_b32 exec_lo, exec_lo, s0
	s_mov_b32 s1, -1
	s_mov_b32 s8, exec_lo
	s_delay_alu instid0(VALU_DEP_1)
	v_cmpx_gt_i32_e32 10, v3
; %bb.197:
	v_cmp_eq_u32_e64 s0, 0, v3
	s_or_not1_b32 s1, s0, exec_lo
; %bb.198:
	s_or_b32 exec_lo, exec_lo, s8
	s_and_saveexec_b32 s0, s1
	s_cbranch_execz .LBB1834_201
; %bb.199:
	s_add_co_i32 s1, s2, 4
	s_delay_alu instid0(SALU_CYCLE_1) | instskip(SKIP_2) | instid1(SALU_CYCLE_1)
	s_cmp_gt_u32 s3, s1
	s_cselect_b32 s8, -1, 0
	s_xor_b32 s9, vcc_lo, -1
	s_and_b32 s8, s8, s9
	s_delay_alu instid0(SALU_CYCLE_1)
	s_and_b32 exec_lo, exec_lo, s8
	s_cbranch_execz .LBB1834_201
; %bb.200:
	v_dual_lshrrev_b32 v2, s1, v2 :: v_dual_lshlrev_b32 v3, 2, v1
	s_sub_co_i32 s1, s3, s1
	s_delay_alu instid0(SALU_CYCLE_1)
	s_min_u32 s1, s1, 4
	s_delay_alu instid0(VALU_DEP_1) | instid1(SALU_CYCLE_1)
	v_bfe_u32 v2, v2, 0, s1
	s_delay_alu instid0(VALU_DEP_1)
	v_lshl_or_b32 v2, v2, 4, v3
	v_mov_b32_e32 v3, 1
	ds_add_u32 v2, v3 offset:256
.LBB1834_201:
	s_or_b32 exec_lo, exec_lo, s0
	s_cmp_gt_u32 s3, s2
	s_wait_dscnt 0x0
	s_barrier_signal -1
	s_barrier_wait -1
	s_cbranch_scc0 .LBB1834_206
; %bb.202:
	v_dual_mov_b32 v3, 0 :: v_dual_lshlrev_b32 v4, 4, v0
	v_mov_b32_e32 v5, v0
	s_mov_b32 s0, s2
	v_cmp_gt_u32_e32 vcc_lo, 16, v0
	s_branch .LBB1834_204
.LBB1834_203:                           ;   in Loop: Header=BB1834_204 Depth=1
	s_wait_xcnt 0x0
	s_or_b32 exec_lo, exec_lo, s1
	v_add_nc_u32_e32 v5, 16, v5
	v_add_nc_u32_e32 v4, 0x100, v4
	s_add_co_i32 s0, s0, 4
	s_delay_alu instid0(SALU_CYCLE_1)
	s_cmp_lt_u32 s0, s3
	s_cbranch_scc0 .LBB1834_206
.LBB1834_204:                           ; =>This Inner Loop Header: Depth=1
	s_and_saveexec_b32 s1, vcc_lo
	s_cbranch_execz .LBB1834_203
; %bb.205:                              ;   in Loop: Header=BB1834_204 Depth=1
	ds_load_2addr_b32 v[6:7], v4 offset1:1
	ds_load_2addr_b32 v[8:9], v4 offset0:2 offset1:3
	s_wait_dscnt 0x1
	v_add_nc_u32_e32 v2, v7, v6
	s_wait_dscnt 0x0
	s_delay_alu instid0(VALU_DEP_1)
	v_add3_u32 v2, v2, v8, v9
	global_atomic_add_u64 v5, v[2:3], s[6:7] scale_offset scope:SCOPE_DEV
	s_branch .LBB1834_203
.LBB1834_206:
	s_mov_b32 s9, 0
.LBB1834_207:
	s_delay_alu instid0(SALU_CYCLE_1)
	s_and_b32 vcc_lo, exec_lo, s9
	s_cbranch_vccz .LBB1834_268
; %bb.208:
	s_clause 0x15
	global_load_u8 v7, v0, s[4:5]
	global_load_u8 v8, v0, s[4:5] offset:1024
	global_load_u8 v9, v0, s[4:5] offset:2048
	global_load_u8 v10, v0, s[4:5] offset:3072
	global_load_u8 v11, v0, s[4:5] offset:4096
	global_load_u8 v12, v0, s[4:5] offset:5120
	global_load_u8 v13, v0, s[4:5] offset:6144
	global_load_u8 v14, v0, s[4:5] offset:7168
	global_load_u8 v15, v0, s[4:5] offset:8192
	global_load_u8 v16, v0, s[4:5] offset:9216
	global_load_u8 v17, v0, s[4:5] offset:10240
	global_load_u8 v18, v0, s[4:5] offset:11264
	global_load_u8 v19, v0, s[4:5] offset:12288
	global_load_u8 v20, v0, s[4:5] offset:13312
	global_load_u8 v21, v0, s[4:5] offset:14336
	global_load_u8 v22, v0, s[4:5] offset:15360
	global_load_u8 v23, v0, s[4:5] offset:16384
	global_load_u8 v24, v0, s[4:5] offset:17408
	global_load_u8 v25, v0, s[4:5] offset:18432
	global_load_u8 v4, v0, s[4:5] offset:19456
	global_load_u8 v5, v0, s[4:5] offset:20480
	global_load_u8 v6, v0, s[4:5] offset:21504
	s_cmp_lg_u32 s2, 0
	s_cselect_b32 s0, -1, 0
	s_cmp_lg_u32 s3, 8
	s_cselect_b32 s1, -1, 0
	s_delay_alu instid0(SALU_CYCLE_1)
	s_or_b32 s1, s0, s1
	v_cmp_gt_u32_e64 s0, 0x80, v0
	s_and_b32 vcc_lo, exec_lo, s1
	s_mov_b32 s1, -1
	s_cbranch_vccz .LBB1834_263
; %bb.209:
	s_wait_xcnt 0x0
	s_and_saveexec_b32 s1, s0
; %bb.210:
	v_dual_mov_b32 v3, 0 :: v_dual_lshlrev_b32 v2, 2, v0
	ds_store_b32 v2, v3
; %bb.211:
	s_or_b32 exec_lo, exec_lo, s1
	s_cmp_gt_u32 s3, s2
	s_wait_storecnt 0x0
	s_wait_loadcnt_dscnt 0x0
	s_cselect_b32 s1, -1, 0
	s_barrier_signal -1
	s_and_b32 vcc_lo, exec_lo, s1
	s_barrier_wait -1
	s_cbranch_vccz .LBB1834_257
; %bb.212:
	v_and_b32_e32 v3, 0xff, v7
	s_sub_co_i32 s4, s3, s2
	v_mov_b32_e32 v27, 1
	s_min_u32 s4, s4, 4
	s_mov_b32 s9, -1
	v_dual_lshrrev_b32 v26, s2, v3 :: v_dual_lshlrev_b32 v2, 2, v1
	s_lshl_b32 s5, -1, s4
	s_add_co_i32 s4, s2, 4
	s_delay_alu instid0(VALU_DEP_1) | instskip(SKIP_3) | instid1(VALU_DEP_1)
	v_bitop3_b32 v26, v26, s5, v26 bitop3:0x30
	s_not_b32 s5, s5
	s_cmp_le_u32 s3, s4
	s_cselect_b32 s8, -1, 0
	v_lshl_or_b32 v26, v26, 4, v2
	s_and_b32 vcc_lo, exec_lo, s8
	ds_add_u32 v26, v27
                                        ; implicit-def: $vgpr26
	s_cbranch_vccz .LBB1834_214
; %bb.213:
	v_and_b32_e32 v26, 0xff, v8
	s_mov_b32 s9, 0
	s_delay_alu instid0(VALU_DEP_1) | instskip(NEXT) | instid1(VALU_DEP_1)
	v_lshrrev_b32_e32 v26, s2, v26
	v_and_b32_e32 v26, s5, v26
	s_delay_alu instid0(VALU_DEP_1)
	v_lshlrev_b32_e32 v26, 4, v26
.LBB1834_214:
	s_and_not1_b32 vcc_lo, exec_lo, s9
	s_cbranch_vccnz .LBB1834_216
; %bb.215:
	v_and_b32_e32 v26, 0xff, v8
	s_sub_co_i32 s9, s3, s4
	v_lshrrev_b32_e32 v3, s4, v3
	s_min_u32 s9, s9, 4
	s_delay_alu instid0(VALU_DEP_2)
	v_dual_mov_b32 v28, 1 :: v_dual_lshrrev_b32 v27, s2, v26
	s_lshl_b32 s9, -1, s9
	s_delay_alu instid0(VALU_DEP_2) | instid1(SALU_CYCLE_1)
	v_bitop3_b32 v3, v3, s9, v3 bitop3:0x30
	s_delay_alu instid0(VALU_DEP_2) | instskip(NEXT) | instid1(VALU_DEP_2)
	v_and_b32_e32 v27, s5, v27
	v_lshl_or_b32 v3, v3, 4, v2
	s_delay_alu instid0(VALU_DEP_2) | instskip(SKIP_3) | instid1(VALU_DEP_1)
	v_lshl_or_b32 v27, v27, 4, v2
	ds_add_u32 v3, v28 offset:256
	ds_add_u32 v27, v28
	v_lshrrev_b32_e32 v3, s4, v26
	v_bitop3_b32 v3, v3, s9, v3 bitop3:0x30
	s_delay_alu instid0(VALU_DEP_1)
	v_lshl_add_u32 v26, v3, 4, 0x100
.LBB1834_216:
	v_and_b32_e32 v3, 0xff, v9
	s_and_b32 vcc_lo, exec_lo, s8
	s_delay_alu instid0(VALU_DEP_2) | instskip(NEXT) | instid1(VALU_DEP_2)
	v_dual_add_nc_u32 v26, v26, v2 :: v_dual_mov_b32 v28, 1
	v_lshrrev_b32_e32 v27, s2, v3
	s_delay_alu instid0(VALU_DEP_1) | instskip(NEXT) | instid1(VALU_DEP_1)
	v_and_b32_e32 v27, s5, v27
	v_lshl_or_b32 v27, v27, 4, v2
	ds_add_u32 v26, v28
	ds_add_u32 v27, v28
	s_cbranch_vccz .LBB1834_218
; %bb.217:
	v_and_b32_e32 v26, 0xff, v10
	s_delay_alu instid0(VALU_DEP_1) | instskip(NEXT) | instid1(VALU_DEP_1)
	v_lshrrev_b32_e32 v26, s2, v26
	v_and_b32_e32 v26, s5, v26
	s_delay_alu instid0(VALU_DEP_1)
	v_lshlrev_b32_e32 v26, 4, v26
	s_cbranch_execz .LBB1834_219
	s_branch .LBB1834_220
.LBB1834_218:
                                        ; implicit-def: $vgpr26
.LBB1834_219:
	v_and_b32_e32 v26, 0xff, v10
	s_sub_co_i32 s9, s3, s4
	v_lshrrev_b32_e32 v3, s4, v3
	s_min_u32 s9, s9, 4
	s_delay_alu instid0(VALU_DEP_2)
	v_dual_mov_b32 v28, 1 :: v_dual_lshrrev_b32 v27, s2, v26
	s_lshl_b32 s9, -1, s9
	s_delay_alu instid0(VALU_DEP_2) | instid1(SALU_CYCLE_1)
	v_bitop3_b32 v3, v3, s9, v3 bitop3:0x30
	s_delay_alu instid0(VALU_DEP_2) | instskip(NEXT) | instid1(VALU_DEP_2)
	v_and_b32_e32 v27, s5, v27
	v_lshl_or_b32 v3, v3, 4, v2
	s_delay_alu instid0(VALU_DEP_2) | instskip(SKIP_3) | instid1(VALU_DEP_1)
	v_lshl_or_b32 v27, v27, 4, v2
	ds_add_u32 v3, v28 offset:256
	ds_add_u32 v27, v28
	v_lshrrev_b32_e32 v3, s4, v26
	v_bitop3_b32 v3, v3, s9, v3 bitop3:0x30
	s_delay_alu instid0(VALU_DEP_1)
	v_lshl_add_u32 v26, v3, 4, 0x100
.LBB1834_220:
	v_and_b32_e32 v3, 0xff, v11
	s_and_b32 vcc_lo, exec_lo, s8
	s_delay_alu instid0(VALU_DEP_2) | instskip(NEXT) | instid1(VALU_DEP_2)
	v_dual_add_nc_u32 v26, v26, v2 :: v_dual_mov_b32 v28, 1
	v_lshrrev_b32_e32 v27, s2, v3
	s_delay_alu instid0(VALU_DEP_1) | instskip(NEXT) | instid1(VALU_DEP_1)
	v_and_b32_e32 v27, s5, v27
	v_lshl_or_b32 v27, v27, 4, v2
	ds_add_u32 v26, v28
	ds_add_u32 v27, v28
	s_cbranch_vccz .LBB1834_222
; %bb.221:
	v_and_b32_e32 v26, 0xff, v12
	s_delay_alu instid0(VALU_DEP_1) | instskip(NEXT) | instid1(VALU_DEP_1)
	v_lshrrev_b32_e32 v26, s2, v26
	v_and_b32_e32 v26, s5, v26
	s_delay_alu instid0(VALU_DEP_1)
	v_lshlrev_b32_e32 v26, 4, v26
	s_cbranch_execz .LBB1834_223
	s_branch .LBB1834_224
.LBB1834_222:
                                        ; implicit-def: $vgpr26
.LBB1834_223:
	v_and_b32_e32 v26, 0xff, v12
	s_sub_co_i32 s9, s3, s4
	v_lshrrev_b32_e32 v3, s4, v3
	s_min_u32 s9, s9, 4
	s_delay_alu instid0(VALU_DEP_2)
	v_dual_mov_b32 v28, 1 :: v_dual_lshrrev_b32 v27, s2, v26
	s_lshl_b32 s9, -1, s9
	s_delay_alu instid0(VALU_DEP_2) | instid1(SALU_CYCLE_1)
	v_bitop3_b32 v3, v3, s9, v3 bitop3:0x30
	s_delay_alu instid0(VALU_DEP_2) | instskip(NEXT) | instid1(VALU_DEP_2)
	v_and_b32_e32 v27, s5, v27
	v_lshl_or_b32 v3, v3, 4, v2
	s_delay_alu instid0(VALU_DEP_2) | instskip(SKIP_3) | instid1(VALU_DEP_1)
	v_lshl_or_b32 v27, v27, 4, v2
	ds_add_u32 v3, v28 offset:256
	ds_add_u32 v27, v28
	v_lshrrev_b32_e32 v3, s4, v26
	v_bitop3_b32 v3, v3, s9, v3 bitop3:0x30
	s_delay_alu instid0(VALU_DEP_1)
	v_lshl_add_u32 v26, v3, 4, 0x100
.LBB1834_224:
	;; [unrolled: 44-line block ×10, first 2 shown]
	s_delay_alu instid0(VALU_DEP_1)
	v_lshl_add_u32 v2, v1, 2, v26
	v_mov_b32_e32 v3, 1
	ds_add_u32 v2, v3
.LBB1834_257:
	s_and_b32 vcc_lo, exec_lo, s1
	s_wait_dscnt 0x0
	s_barrier_signal -1
	s_barrier_wait -1
	s_cbranch_vccz .LBB1834_262
; %bb.258:
	v_dual_mov_b32 v3, 0 :: v_dual_lshlrev_b32 v26, 4, v0
	v_mov_b32_e32 v27, v0
	v_cmp_gt_u32_e32 vcc_lo, 16, v0
	s_branch .LBB1834_260
.LBB1834_259:                           ;   in Loop: Header=BB1834_260 Depth=1
	s_wait_xcnt 0x0
	s_or_b32 exec_lo, exec_lo, s1
	v_add_nc_u32_e32 v27, 16, v27
	v_add_nc_u32_e32 v26, 0x100, v26
	s_add_co_i32 s2, s2, 4
	s_delay_alu instid0(SALU_CYCLE_1)
	s_cmp_ge_u32 s2, s3
	s_cbranch_scc1 .LBB1834_262
.LBB1834_260:                           ; =>This Inner Loop Header: Depth=1
	s_and_saveexec_b32 s1, vcc_lo
	s_cbranch_execz .LBB1834_259
; %bb.261:                              ;   in Loop: Header=BB1834_260 Depth=1
	ds_load_2addr_b32 v[28:29], v26 offset1:1
	ds_load_2addr_b32 v[30:31], v26 offset0:2 offset1:3
	s_wait_dscnt 0x1
	v_add_nc_u32_e32 v2, v29, v28
	s_wait_dscnt 0x0
	s_delay_alu instid0(VALU_DEP_1)
	v_add3_u32 v2, v2, v30, v31
	global_atomic_add_u64 v27, v[2:3], s[6:7] scale_offset scope:SCOPE_DEV
	s_branch .LBB1834_259
.LBB1834_262:
	s_mov_b32 s1, 0
.LBB1834_263:
	s_delay_alu instid0(SALU_CYCLE_1)
	s_and_b32 vcc_lo, exec_lo, s1
	s_cbranch_vccz .LBB1834_268
; %bb.264:
	s_wait_xcnt 0x0
	s_and_saveexec_b32 s1, s0
; %bb.265:
	v_dual_mov_b32 v3, 0 :: v_dual_lshlrev_b32 v2, 2, v0
	ds_store_b32 v2, v3
; %bb.266:
	s_or_b32 exec_lo, exec_lo, s1
	s_wait_loadcnt 0x15
	v_and_b32_e32 v2, 0xff, v7
	v_lshlrev_b32_e32 v1, 2, v1
	s_wait_loadcnt 0x14
	v_and_b32_e32 v3, 0xff, v8
	s_wait_loadcnt 0x13
	v_and_b32_e32 v7, 0xff, v9
	;; [unrolled: 2-line block ×10, first 2 shown]
	v_mov_b32_e32 v24, 1
	v_lshl_or_b32 v2, v2, 4, v1
	v_and_b32_e32 v9, 0xff, v11
	v_lshl_or_b32 v3, v3, 4, v1
	s_wait_storecnt 0x0
	s_wait_loadcnt_dscnt 0x0
	s_barrier_signal -1
	s_barrier_wait -1
	ds_add_u32 v2, v24
	v_lshl_or_b32 v2, v7, 4, v1
	v_and_b32_e32 v11, 0xff, v13
	ds_add_u32 v1, v24 offset:256
	ds_add_u32 v3, v24
	v_lshl_or_b32 v3, v8, 4, v1
	ds_add_u32 v1, v24 offset:256
	ds_add_u32 v2, v24
	v_lshl_or_b32 v2, v9, 4, v1
	v_and_b32_e32 v13, 0xff, v15
	ds_add_u32 v1, v24 offset:256
	ds_add_u32 v3, v24
	v_lshl_or_b32 v3, v10, 4, v1
	ds_add_u32 v1, v24 offset:256
	;; [unrolled: 7-line block ×7, first 2 shown]
	ds_add_u32 v2, v24
	v_lshl_or_b32 v2, v21, 4, v1
	v_and_b32_e32 v4, 0xff, v4
	ds_add_u32 v1, v24 offset:256
	ds_add_u32 v3, v24
	v_lshl_or_b32 v3, v22, 4, v1
	v_and_b32_e32 v5, 0xff, v5
	ds_add_u32 v1, v24 offset:256
	;; [unrolled: 4-line block ×3, first 2 shown]
	ds_add_u32 v3, v24
	ds_add_u32 v1, v24 offset:256
	v_lshl_or_b32 v3, v4, 4, v1
	s_mov_b32 s0, exec_lo
	ds_add_u32 v2, v24
	v_lshl_or_b32 v2, v5, 4, v1
	ds_add_u32 v1, v24 offset:256
	v_lshl_or_b32 v4, v6, 4, v1
	ds_add_u32 v3, v24
	ds_add_u32 v1, v24 offset:256
	ds_add_u32 v2, v24
	ds_add_u32 v1, v24 offset:256
	;; [unrolled: 2-line block ×3, first 2 shown]
	s_wait_dscnt 0x0
	s_barrier_signal -1
	s_barrier_wait -1
	v_cmpx_gt_u32_e32 16, v0
	s_cbranch_execz .LBB1834_268
; %bb.267:
	v_lshlrev_b32_e32 v1, 4, v0
	ds_load_2addr_b32 v[2:3], v1 offset1:1
	ds_load_2addr_b32 v[4:5], v1 offset0:2 offset1:3
	s_wait_dscnt 0x1
	v_dual_mov_b32 v3, 0 :: v_dual_add_nc_u32 v2, v3, v2
	s_wait_dscnt 0x0
	s_delay_alu instid0(VALU_DEP_1)
	v_add3_u32 v2, v2, v4, v5
	global_atomic_add_u64 v0, v[2:3], s[6:7] scale_offset scope:SCOPE_DEV
	ds_load_2addr_b32 v[4:5], v1 offset0:64 offset1:65
	ds_load_2addr_b32 v[6:7], v1 offset0:66 offset1:67
	s_wait_dscnt 0x1
	v_add_nc_u32_e32 v1, v5, v4
	s_wait_dscnt 0x0
	s_wait_xcnt 0x0
	s_delay_alu instid0(VALU_DEP_1)
	v_add3_u32 v2, v1, v6, v7
	global_atomic_add_u64 v0, v[2:3], s[6:7] offset:128 scale_offset scope:SCOPE_DEV
.LBB1834_268:
	s_endpgm
	.section	.rodata,"a",@progbits
	.p2align	6, 0x0
	.amdhsa_kernel _ZN7rocprim17ROCPRIM_400000_NS6detail17trampoline_kernelINS0_14default_configENS1_35radix_sort_onesweep_config_selectorIbNS0_10empty_typeEEEZNS1_34radix_sort_onesweep_global_offsetsIS3_Lb0EPKbPS5_mNS0_19identity_decomposerEEE10hipError_tT1_T2_PT3_SF_jT4_jjP12ihipStream_tbEUlT_E_NS1_11comp_targetILNS1_3genE0ELNS1_11target_archE4294967295ELNS1_3gpuE0ELNS1_3repE0EEENS1_52radix_sort_onesweep_histogram_config_static_selectorELNS0_4arch9wavefront6targetE0EEEvSD_
		.amdhsa_group_segment_fixed_size 512
		.amdhsa_private_segment_fixed_size 0
		.amdhsa_kernarg_size 48
		.amdhsa_user_sgpr_count 2
		.amdhsa_user_sgpr_dispatch_ptr 0
		.amdhsa_user_sgpr_queue_ptr 0
		.amdhsa_user_sgpr_kernarg_segment_ptr 1
		.amdhsa_user_sgpr_dispatch_id 0
		.amdhsa_user_sgpr_kernarg_preload_length 0
		.amdhsa_user_sgpr_kernarg_preload_offset 0
		.amdhsa_user_sgpr_private_segment_size 0
		.amdhsa_wavefront_size32 1
		.amdhsa_uses_dynamic_stack 0
		.amdhsa_enable_private_segment 0
		.amdhsa_system_sgpr_workgroup_id_x 1
		.amdhsa_system_sgpr_workgroup_id_y 0
		.amdhsa_system_sgpr_workgroup_id_z 0
		.amdhsa_system_sgpr_workgroup_info 0
		.amdhsa_system_vgpr_workitem_id 0
		.amdhsa_next_free_vgpr 47
		.amdhsa_next_free_sgpr 13
		.amdhsa_named_barrier_count 0
		.amdhsa_reserve_vcc 1
		.amdhsa_float_round_mode_32 0
		.amdhsa_float_round_mode_16_64 0
		.amdhsa_float_denorm_mode_32 3
		.amdhsa_float_denorm_mode_16_64 3
		.amdhsa_fp16_overflow 0
		.amdhsa_memory_ordered 1
		.amdhsa_forward_progress 1
		.amdhsa_inst_pref_size 82
		.amdhsa_round_robin_scheduling 0
		.amdhsa_exception_fp_ieee_invalid_op 0
		.amdhsa_exception_fp_denorm_src 0
		.amdhsa_exception_fp_ieee_div_zero 0
		.amdhsa_exception_fp_ieee_overflow 0
		.amdhsa_exception_fp_ieee_underflow 0
		.amdhsa_exception_fp_ieee_inexact 0
		.amdhsa_exception_int_div_zero 0
	.end_amdhsa_kernel
	.section	.text._ZN7rocprim17ROCPRIM_400000_NS6detail17trampoline_kernelINS0_14default_configENS1_35radix_sort_onesweep_config_selectorIbNS0_10empty_typeEEEZNS1_34radix_sort_onesweep_global_offsetsIS3_Lb0EPKbPS5_mNS0_19identity_decomposerEEE10hipError_tT1_T2_PT3_SF_jT4_jjP12ihipStream_tbEUlT_E_NS1_11comp_targetILNS1_3genE0ELNS1_11target_archE4294967295ELNS1_3gpuE0ELNS1_3repE0EEENS1_52radix_sort_onesweep_histogram_config_static_selectorELNS0_4arch9wavefront6targetE0EEEvSD_,"axG",@progbits,_ZN7rocprim17ROCPRIM_400000_NS6detail17trampoline_kernelINS0_14default_configENS1_35radix_sort_onesweep_config_selectorIbNS0_10empty_typeEEEZNS1_34radix_sort_onesweep_global_offsetsIS3_Lb0EPKbPS5_mNS0_19identity_decomposerEEE10hipError_tT1_T2_PT3_SF_jT4_jjP12ihipStream_tbEUlT_E_NS1_11comp_targetILNS1_3genE0ELNS1_11target_archE4294967295ELNS1_3gpuE0ELNS1_3repE0EEENS1_52radix_sort_onesweep_histogram_config_static_selectorELNS0_4arch9wavefront6targetE0EEEvSD_,comdat
.Lfunc_end1834:
	.size	_ZN7rocprim17ROCPRIM_400000_NS6detail17trampoline_kernelINS0_14default_configENS1_35radix_sort_onesweep_config_selectorIbNS0_10empty_typeEEEZNS1_34radix_sort_onesweep_global_offsetsIS3_Lb0EPKbPS5_mNS0_19identity_decomposerEEE10hipError_tT1_T2_PT3_SF_jT4_jjP12ihipStream_tbEUlT_E_NS1_11comp_targetILNS1_3genE0ELNS1_11target_archE4294967295ELNS1_3gpuE0ELNS1_3repE0EEENS1_52radix_sort_onesweep_histogram_config_static_selectorELNS0_4arch9wavefront6targetE0EEEvSD_, .Lfunc_end1834-_ZN7rocprim17ROCPRIM_400000_NS6detail17trampoline_kernelINS0_14default_configENS1_35radix_sort_onesweep_config_selectorIbNS0_10empty_typeEEEZNS1_34radix_sort_onesweep_global_offsetsIS3_Lb0EPKbPS5_mNS0_19identity_decomposerEEE10hipError_tT1_T2_PT3_SF_jT4_jjP12ihipStream_tbEUlT_E_NS1_11comp_targetILNS1_3genE0ELNS1_11target_archE4294967295ELNS1_3gpuE0ELNS1_3repE0EEENS1_52radix_sort_onesweep_histogram_config_static_selectorELNS0_4arch9wavefront6targetE0EEEvSD_
                                        ; -- End function
	.set _ZN7rocprim17ROCPRIM_400000_NS6detail17trampoline_kernelINS0_14default_configENS1_35radix_sort_onesweep_config_selectorIbNS0_10empty_typeEEEZNS1_34radix_sort_onesweep_global_offsetsIS3_Lb0EPKbPS5_mNS0_19identity_decomposerEEE10hipError_tT1_T2_PT3_SF_jT4_jjP12ihipStream_tbEUlT_E_NS1_11comp_targetILNS1_3genE0ELNS1_11target_archE4294967295ELNS1_3gpuE0ELNS1_3repE0EEENS1_52radix_sort_onesweep_histogram_config_static_selectorELNS0_4arch9wavefront6targetE0EEEvSD_.num_vgpr, 47
	.set _ZN7rocprim17ROCPRIM_400000_NS6detail17trampoline_kernelINS0_14default_configENS1_35radix_sort_onesweep_config_selectorIbNS0_10empty_typeEEEZNS1_34radix_sort_onesweep_global_offsetsIS3_Lb0EPKbPS5_mNS0_19identity_decomposerEEE10hipError_tT1_T2_PT3_SF_jT4_jjP12ihipStream_tbEUlT_E_NS1_11comp_targetILNS1_3genE0ELNS1_11target_archE4294967295ELNS1_3gpuE0ELNS1_3repE0EEENS1_52radix_sort_onesweep_histogram_config_static_selectorELNS0_4arch9wavefront6targetE0EEEvSD_.num_agpr, 0
	.set _ZN7rocprim17ROCPRIM_400000_NS6detail17trampoline_kernelINS0_14default_configENS1_35radix_sort_onesweep_config_selectorIbNS0_10empty_typeEEEZNS1_34radix_sort_onesweep_global_offsetsIS3_Lb0EPKbPS5_mNS0_19identity_decomposerEEE10hipError_tT1_T2_PT3_SF_jT4_jjP12ihipStream_tbEUlT_E_NS1_11comp_targetILNS1_3genE0ELNS1_11target_archE4294967295ELNS1_3gpuE0ELNS1_3repE0EEENS1_52radix_sort_onesweep_histogram_config_static_selectorELNS0_4arch9wavefront6targetE0EEEvSD_.numbered_sgpr, 13
	.set _ZN7rocprim17ROCPRIM_400000_NS6detail17trampoline_kernelINS0_14default_configENS1_35radix_sort_onesweep_config_selectorIbNS0_10empty_typeEEEZNS1_34radix_sort_onesweep_global_offsetsIS3_Lb0EPKbPS5_mNS0_19identity_decomposerEEE10hipError_tT1_T2_PT3_SF_jT4_jjP12ihipStream_tbEUlT_E_NS1_11comp_targetILNS1_3genE0ELNS1_11target_archE4294967295ELNS1_3gpuE0ELNS1_3repE0EEENS1_52radix_sort_onesweep_histogram_config_static_selectorELNS0_4arch9wavefront6targetE0EEEvSD_.num_named_barrier, 0
	.set _ZN7rocprim17ROCPRIM_400000_NS6detail17trampoline_kernelINS0_14default_configENS1_35radix_sort_onesweep_config_selectorIbNS0_10empty_typeEEEZNS1_34radix_sort_onesweep_global_offsetsIS3_Lb0EPKbPS5_mNS0_19identity_decomposerEEE10hipError_tT1_T2_PT3_SF_jT4_jjP12ihipStream_tbEUlT_E_NS1_11comp_targetILNS1_3genE0ELNS1_11target_archE4294967295ELNS1_3gpuE0ELNS1_3repE0EEENS1_52radix_sort_onesweep_histogram_config_static_selectorELNS0_4arch9wavefront6targetE0EEEvSD_.private_seg_size, 0
	.set _ZN7rocprim17ROCPRIM_400000_NS6detail17trampoline_kernelINS0_14default_configENS1_35radix_sort_onesweep_config_selectorIbNS0_10empty_typeEEEZNS1_34radix_sort_onesweep_global_offsetsIS3_Lb0EPKbPS5_mNS0_19identity_decomposerEEE10hipError_tT1_T2_PT3_SF_jT4_jjP12ihipStream_tbEUlT_E_NS1_11comp_targetILNS1_3genE0ELNS1_11target_archE4294967295ELNS1_3gpuE0ELNS1_3repE0EEENS1_52radix_sort_onesweep_histogram_config_static_selectorELNS0_4arch9wavefront6targetE0EEEvSD_.uses_vcc, 1
	.set _ZN7rocprim17ROCPRIM_400000_NS6detail17trampoline_kernelINS0_14default_configENS1_35radix_sort_onesweep_config_selectorIbNS0_10empty_typeEEEZNS1_34radix_sort_onesweep_global_offsetsIS3_Lb0EPKbPS5_mNS0_19identity_decomposerEEE10hipError_tT1_T2_PT3_SF_jT4_jjP12ihipStream_tbEUlT_E_NS1_11comp_targetILNS1_3genE0ELNS1_11target_archE4294967295ELNS1_3gpuE0ELNS1_3repE0EEENS1_52radix_sort_onesweep_histogram_config_static_selectorELNS0_4arch9wavefront6targetE0EEEvSD_.uses_flat_scratch, 0
	.set _ZN7rocprim17ROCPRIM_400000_NS6detail17trampoline_kernelINS0_14default_configENS1_35radix_sort_onesweep_config_selectorIbNS0_10empty_typeEEEZNS1_34radix_sort_onesweep_global_offsetsIS3_Lb0EPKbPS5_mNS0_19identity_decomposerEEE10hipError_tT1_T2_PT3_SF_jT4_jjP12ihipStream_tbEUlT_E_NS1_11comp_targetILNS1_3genE0ELNS1_11target_archE4294967295ELNS1_3gpuE0ELNS1_3repE0EEENS1_52radix_sort_onesweep_histogram_config_static_selectorELNS0_4arch9wavefront6targetE0EEEvSD_.has_dyn_sized_stack, 0
	.set _ZN7rocprim17ROCPRIM_400000_NS6detail17trampoline_kernelINS0_14default_configENS1_35radix_sort_onesweep_config_selectorIbNS0_10empty_typeEEEZNS1_34radix_sort_onesweep_global_offsetsIS3_Lb0EPKbPS5_mNS0_19identity_decomposerEEE10hipError_tT1_T2_PT3_SF_jT4_jjP12ihipStream_tbEUlT_E_NS1_11comp_targetILNS1_3genE0ELNS1_11target_archE4294967295ELNS1_3gpuE0ELNS1_3repE0EEENS1_52radix_sort_onesweep_histogram_config_static_selectorELNS0_4arch9wavefront6targetE0EEEvSD_.has_recursion, 0
	.set _ZN7rocprim17ROCPRIM_400000_NS6detail17trampoline_kernelINS0_14default_configENS1_35radix_sort_onesweep_config_selectorIbNS0_10empty_typeEEEZNS1_34radix_sort_onesweep_global_offsetsIS3_Lb0EPKbPS5_mNS0_19identity_decomposerEEE10hipError_tT1_T2_PT3_SF_jT4_jjP12ihipStream_tbEUlT_E_NS1_11comp_targetILNS1_3genE0ELNS1_11target_archE4294967295ELNS1_3gpuE0ELNS1_3repE0EEENS1_52radix_sort_onesweep_histogram_config_static_selectorELNS0_4arch9wavefront6targetE0EEEvSD_.has_indirect_call, 0
	.section	.AMDGPU.csdata,"",@progbits
; Kernel info:
; codeLenInByte = 10436
; TotalNumSgprs: 15
; NumVgprs: 47
; ScratchSize: 0
; MemoryBound: 0
; FloatMode: 240
; IeeeMode: 1
; LDSByteSize: 512 bytes/workgroup (compile time only)
; SGPRBlocks: 0
; VGPRBlocks: 2
; NumSGPRsForWavesPerEU: 15
; NumVGPRsForWavesPerEU: 47
; NamedBarCnt: 0
; Occupancy: 16
; WaveLimiterHint : 1
; COMPUTE_PGM_RSRC2:SCRATCH_EN: 0
; COMPUTE_PGM_RSRC2:USER_SGPR: 2
; COMPUTE_PGM_RSRC2:TRAP_HANDLER: 0
; COMPUTE_PGM_RSRC2:TGID_X_EN: 1
; COMPUTE_PGM_RSRC2:TGID_Y_EN: 0
; COMPUTE_PGM_RSRC2:TGID_Z_EN: 0
; COMPUTE_PGM_RSRC2:TIDIG_COMP_CNT: 0
	.section	.text._ZN7rocprim17ROCPRIM_400000_NS6detail17trampoline_kernelINS0_14default_configENS1_35radix_sort_onesweep_config_selectorIbNS0_10empty_typeEEEZNS1_34radix_sort_onesweep_global_offsetsIS3_Lb0EPKbPS5_mNS0_19identity_decomposerEEE10hipError_tT1_T2_PT3_SF_jT4_jjP12ihipStream_tbEUlT_E_NS1_11comp_targetILNS1_3genE6ELNS1_11target_archE950ELNS1_3gpuE13ELNS1_3repE0EEENS1_52radix_sort_onesweep_histogram_config_static_selectorELNS0_4arch9wavefront6targetE0EEEvSD_,"axG",@progbits,_ZN7rocprim17ROCPRIM_400000_NS6detail17trampoline_kernelINS0_14default_configENS1_35radix_sort_onesweep_config_selectorIbNS0_10empty_typeEEEZNS1_34radix_sort_onesweep_global_offsetsIS3_Lb0EPKbPS5_mNS0_19identity_decomposerEEE10hipError_tT1_T2_PT3_SF_jT4_jjP12ihipStream_tbEUlT_E_NS1_11comp_targetILNS1_3genE6ELNS1_11target_archE950ELNS1_3gpuE13ELNS1_3repE0EEENS1_52radix_sort_onesweep_histogram_config_static_selectorELNS0_4arch9wavefront6targetE0EEEvSD_,comdat
	.protected	_ZN7rocprim17ROCPRIM_400000_NS6detail17trampoline_kernelINS0_14default_configENS1_35radix_sort_onesweep_config_selectorIbNS0_10empty_typeEEEZNS1_34radix_sort_onesweep_global_offsetsIS3_Lb0EPKbPS5_mNS0_19identity_decomposerEEE10hipError_tT1_T2_PT3_SF_jT4_jjP12ihipStream_tbEUlT_E_NS1_11comp_targetILNS1_3genE6ELNS1_11target_archE950ELNS1_3gpuE13ELNS1_3repE0EEENS1_52radix_sort_onesweep_histogram_config_static_selectorELNS0_4arch9wavefront6targetE0EEEvSD_ ; -- Begin function _ZN7rocprim17ROCPRIM_400000_NS6detail17trampoline_kernelINS0_14default_configENS1_35radix_sort_onesweep_config_selectorIbNS0_10empty_typeEEEZNS1_34radix_sort_onesweep_global_offsetsIS3_Lb0EPKbPS5_mNS0_19identity_decomposerEEE10hipError_tT1_T2_PT3_SF_jT4_jjP12ihipStream_tbEUlT_E_NS1_11comp_targetILNS1_3genE6ELNS1_11target_archE950ELNS1_3gpuE13ELNS1_3repE0EEENS1_52radix_sort_onesweep_histogram_config_static_selectorELNS0_4arch9wavefront6targetE0EEEvSD_
	.globl	_ZN7rocprim17ROCPRIM_400000_NS6detail17trampoline_kernelINS0_14default_configENS1_35radix_sort_onesweep_config_selectorIbNS0_10empty_typeEEEZNS1_34radix_sort_onesweep_global_offsetsIS3_Lb0EPKbPS5_mNS0_19identity_decomposerEEE10hipError_tT1_T2_PT3_SF_jT4_jjP12ihipStream_tbEUlT_E_NS1_11comp_targetILNS1_3genE6ELNS1_11target_archE950ELNS1_3gpuE13ELNS1_3repE0EEENS1_52radix_sort_onesweep_histogram_config_static_selectorELNS0_4arch9wavefront6targetE0EEEvSD_
	.p2align	8
	.type	_ZN7rocprim17ROCPRIM_400000_NS6detail17trampoline_kernelINS0_14default_configENS1_35radix_sort_onesweep_config_selectorIbNS0_10empty_typeEEEZNS1_34radix_sort_onesweep_global_offsetsIS3_Lb0EPKbPS5_mNS0_19identity_decomposerEEE10hipError_tT1_T2_PT3_SF_jT4_jjP12ihipStream_tbEUlT_E_NS1_11comp_targetILNS1_3genE6ELNS1_11target_archE950ELNS1_3gpuE13ELNS1_3repE0EEENS1_52radix_sort_onesweep_histogram_config_static_selectorELNS0_4arch9wavefront6targetE0EEEvSD_,@function
_ZN7rocprim17ROCPRIM_400000_NS6detail17trampoline_kernelINS0_14default_configENS1_35radix_sort_onesweep_config_selectorIbNS0_10empty_typeEEEZNS1_34radix_sort_onesweep_global_offsetsIS3_Lb0EPKbPS5_mNS0_19identity_decomposerEEE10hipError_tT1_T2_PT3_SF_jT4_jjP12ihipStream_tbEUlT_E_NS1_11comp_targetILNS1_3genE6ELNS1_11target_archE950ELNS1_3gpuE13ELNS1_3repE0EEENS1_52radix_sort_onesweep_histogram_config_static_selectorELNS0_4arch9wavefront6targetE0EEEvSD_: ; @_ZN7rocprim17ROCPRIM_400000_NS6detail17trampoline_kernelINS0_14default_configENS1_35radix_sort_onesweep_config_selectorIbNS0_10empty_typeEEEZNS1_34radix_sort_onesweep_global_offsetsIS3_Lb0EPKbPS5_mNS0_19identity_decomposerEEE10hipError_tT1_T2_PT3_SF_jT4_jjP12ihipStream_tbEUlT_E_NS1_11comp_targetILNS1_3genE6ELNS1_11target_archE950ELNS1_3gpuE13ELNS1_3repE0EEENS1_52radix_sort_onesweep_histogram_config_static_selectorELNS0_4arch9wavefront6targetE0EEEvSD_
; %bb.0:
	.section	.rodata,"a",@progbits
	.p2align	6, 0x0
	.amdhsa_kernel _ZN7rocprim17ROCPRIM_400000_NS6detail17trampoline_kernelINS0_14default_configENS1_35radix_sort_onesweep_config_selectorIbNS0_10empty_typeEEEZNS1_34radix_sort_onesweep_global_offsetsIS3_Lb0EPKbPS5_mNS0_19identity_decomposerEEE10hipError_tT1_T2_PT3_SF_jT4_jjP12ihipStream_tbEUlT_E_NS1_11comp_targetILNS1_3genE6ELNS1_11target_archE950ELNS1_3gpuE13ELNS1_3repE0EEENS1_52radix_sort_onesweep_histogram_config_static_selectorELNS0_4arch9wavefront6targetE0EEEvSD_
		.amdhsa_group_segment_fixed_size 0
		.amdhsa_private_segment_fixed_size 0
		.amdhsa_kernarg_size 48
		.amdhsa_user_sgpr_count 2
		.amdhsa_user_sgpr_dispatch_ptr 0
		.amdhsa_user_sgpr_queue_ptr 0
		.amdhsa_user_sgpr_kernarg_segment_ptr 1
		.amdhsa_user_sgpr_dispatch_id 0
		.amdhsa_user_sgpr_kernarg_preload_length 0
		.amdhsa_user_sgpr_kernarg_preload_offset 0
		.amdhsa_user_sgpr_private_segment_size 0
		.amdhsa_wavefront_size32 1
		.amdhsa_uses_dynamic_stack 0
		.amdhsa_enable_private_segment 0
		.amdhsa_system_sgpr_workgroup_id_x 1
		.amdhsa_system_sgpr_workgroup_id_y 0
		.amdhsa_system_sgpr_workgroup_id_z 0
		.amdhsa_system_sgpr_workgroup_info 0
		.amdhsa_system_vgpr_workitem_id 0
		.amdhsa_next_free_vgpr 1
		.amdhsa_next_free_sgpr 1
		.amdhsa_named_barrier_count 0
		.amdhsa_reserve_vcc 0
		.amdhsa_float_round_mode_32 0
		.amdhsa_float_round_mode_16_64 0
		.amdhsa_float_denorm_mode_32 3
		.amdhsa_float_denorm_mode_16_64 3
		.amdhsa_fp16_overflow 0
		.amdhsa_memory_ordered 1
		.amdhsa_forward_progress 1
		.amdhsa_inst_pref_size 0
		.amdhsa_round_robin_scheduling 0
		.amdhsa_exception_fp_ieee_invalid_op 0
		.amdhsa_exception_fp_denorm_src 0
		.amdhsa_exception_fp_ieee_div_zero 0
		.amdhsa_exception_fp_ieee_overflow 0
		.amdhsa_exception_fp_ieee_underflow 0
		.amdhsa_exception_fp_ieee_inexact 0
		.amdhsa_exception_int_div_zero 0
	.end_amdhsa_kernel
	.section	.text._ZN7rocprim17ROCPRIM_400000_NS6detail17trampoline_kernelINS0_14default_configENS1_35radix_sort_onesweep_config_selectorIbNS0_10empty_typeEEEZNS1_34radix_sort_onesweep_global_offsetsIS3_Lb0EPKbPS5_mNS0_19identity_decomposerEEE10hipError_tT1_T2_PT3_SF_jT4_jjP12ihipStream_tbEUlT_E_NS1_11comp_targetILNS1_3genE6ELNS1_11target_archE950ELNS1_3gpuE13ELNS1_3repE0EEENS1_52radix_sort_onesweep_histogram_config_static_selectorELNS0_4arch9wavefront6targetE0EEEvSD_,"axG",@progbits,_ZN7rocprim17ROCPRIM_400000_NS6detail17trampoline_kernelINS0_14default_configENS1_35radix_sort_onesweep_config_selectorIbNS0_10empty_typeEEEZNS1_34radix_sort_onesweep_global_offsetsIS3_Lb0EPKbPS5_mNS0_19identity_decomposerEEE10hipError_tT1_T2_PT3_SF_jT4_jjP12ihipStream_tbEUlT_E_NS1_11comp_targetILNS1_3genE6ELNS1_11target_archE950ELNS1_3gpuE13ELNS1_3repE0EEENS1_52radix_sort_onesweep_histogram_config_static_selectorELNS0_4arch9wavefront6targetE0EEEvSD_,comdat
.Lfunc_end1835:
	.size	_ZN7rocprim17ROCPRIM_400000_NS6detail17trampoline_kernelINS0_14default_configENS1_35radix_sort_onesweep_config_selectorIbNS0_10empty_typeEEEZNS1_34radix_sort_onesweep_global_offsetsIS3_Lb0EPKbPS5_mNS0_19identity_decomposerEEE10hipError_tT1_T2_PT3_SF_jT4_jjP12ihipStream_tbEUlT_E_NS1_11comp_targetILNS1_3genE6ELNS1_11target_archE950ELNS1_3gpuE13ELNS1_3repE0EEENS1_52radix_sort_onesweep_histogram_config_static_selectorELNS0_4arch9wavefront6targetE0EEEvSD_, .Lfunc_end1835-_ZN7rocprim17ROCPRIM_400000_NS6detail17trampoline_kernelINS0_14default_configENS1_35radix_sort_onesweep_config_selectorIbNS0_10empty_typeEEEZNS1_34radix_sort_onesweep_global_offsetsIS3_Lb0EPKbPS5_mNS0_19identity_decomposerEEE10hipError_tT1_T2_PT3_SF_jT4_jjP12ihipStream_tbEUlT_E_NS1_11comp_targetILNS1_3genE6ELNS1_11target_archE950ELNS1_3gpuE13ELNS1_3repE0EEENS1_52radix_sort_onesweep_histogram_config_static_selectorELNS0_4arch9wavefront6targetE0EEEvSD_
                                        ; -- End function
	.set _ZN7rocprim17ROCPRIM_400000_NS6detail17trampoline_kernelINS0_14default_configENS1_35radix_sort_onesweep_config_selectorIbNS0_10empty_typeEEEZNS1_34radix_sort_onesweep_global_offsetsIS3_Lb0EPKbPS5_mNS0_19identity_decomposerEEE10hipError_tT1_T2_PT3_SF_jT4_jjP12ihipStream_tbEUlT_E_NS1_11comp_targetILNS1_3genE6ELNS1_11target_archE950ELNS1_3gpuE13ELNS1_3repE0EEENS1_52radix_sort_onesweep_histogram_config_static_selectorELNS0_4arch9wavefront6targetE0EEEvSD_.num_vgpr, 0
	.set _ZN7rocprim17ROCPRIM_400000_NS6detail17trampoline_kernelINS0_14default_configENS1_35radix_sort_onesweep_config_selectorIbNS0_10empty_typeEEEZNS1_34radix_sort_onesweep_global_offsetsIS3_Lb0EPKbPS5_mNS0_19identity_decomposerEEE10hipError_tT1_T2_PT3_SF_jT4_jjP12ihipStream_tbEUlT_E_NS1_11comp_targetILNS1_3genE6ELNS1_11target_archE950ELNS1_3gpuE13ELNS1_3repE0EEENS1_52radix_sort_onesweep_histogram_config_static_selectorELNS0_4arch9wavefront6targetE0EEEvSD_.num_agpr, 0
	.set _ZN7rocprim17ROCPRIM_400000_NS6detail17trampoline_kernelINS0_14default_configENS1_35radix_sort_onesweep_config_selectorIbNS0_10empty_typeEEEZNS1_34radix_sort_onesweep_global_offsetsIS3_Lb0EPKbPS5_mNS0_19identity_decomposerEEE10hipError_tT1_T2_PT3_SF_jT4_jjP12ihipStream_tbEUlT_E_NS1_11comp_targetILNS1_3genE6ELNS1_11target_archE950ELNS1_3gpuE13ELNS1_3repE0EEENS1_52radix_sort_onesweep_histogram_config_static_selectorELNS0_4arch9wavefront6targetE0EEEvSD_.numbered_sgpr, 0
	.set _ZN7rocprim17ROCPRIM_400000_NS6detail17trampoline_kernelINS0_14default_configENS1_35radix_sort_onesweep_config_selectorIbNS0_10empty_typeEEEZNS1_34radix_sort_onesweep_global_offsetsIS3_Lb0EPKbPS5_mNS0_19identity_decomposerEEE10hipError_tT1_T2_PT3_SF_jT4_jjP12ihipStream_tbEUlT_E_NS1_11comp_targetILNS1_3genE6ELNS1_11target_archE950ELNS1_3gpuE13ELNS1_3repE0EEENS1_52radix_sort_onesweep_histogram_config_static_selectorELNS0_4arch9wavefront6targetE0EEEvSD_.num_named_barrier, 0
	.set _ZN7rocprim17ROCPRIM_400000_NS6detail17trampoline_kernelINS0_14default_configENS1_35radix_sort_onesweep_config_selectorIbNS0_10empty_typeEEEZNS1_34radix_sort_onesweep_global_offsetsIS3_Lb0EPKbPS5_mNS0_19identity_decomposerEEE10hipError_tT1_T2_PT3_SF_jT4_jjP12ihipStream_tbEUlT_E_NS1_11comp_targetILNS1_3genE6ELNS1_11target_archE950ELNS1_3gpuE13ELNS1_3repE0EEENS1_52radix_sort_onesweep_histogram_config_static_selectorELNS0_4arch9wavefront6targetE0EEEvSD_.private_seg_size, 0
	.set _ZN7rocprim17ROCPRIM_400000_NS6detail17trampoline_kernelINS0_14default_configENS1_35radix_sort_onesweep_config_selectorIbNS0_10empty_typeEEEZNS1_34radix_sort_onesweep_global_offsetsIS3_Lb0EPKbPS5_mNS0_19identity_decomposerEEE10hipError_tT1_T2_PT3_SF_jT4_jjP12ihipStream_tbEUlT_E_NS1_11comp_targetILNS1_3genE6ELNS1_11target_archE950ELNS1_3gpuE13ELNS1_3repE0EEENS1_52radix_sort_onesweep_histogram_config_static_selectorELNS0_4arch9wavefront6targetE0EEEvSD_.uses_vcc, 0
	.set _ZN7rocprim17ROCPRIM_400000_NS6detail17trampoline_kernelINS0_14default_configENS1_35radix_sort_onesweep_config_selectorIbNS0_10empty_typeEEEZNS1_34radix_sort_onesweep_global_offsetsIS3_Lb0EPKbPS5_mNS0_19identity_decomposerEEE10hipError_tT1_T2_PT3_SF_jT4_jjP12ihipStream_tbEUlT_E_NS1_11comp_targetILNS1_3genE6ELNS1_11target_archE950ELNS1_3gpuE13ELNS1_3repE0EEENS1_52radix_sort_onesweep_histogram_config_static_selectorELNS0_4arch9wavefront6targetE0EEEvSD_.uses_flat_scratch, 0
	.set _ZN7rocprim17ROCPRIM_400000_NS6detail17trampoline_kernelINS0_14default_configENS1_35radix_sort_onesweep_config_selectorIbNS0_10empty_typeEEEZNS1_34radix_sort_onesweep_global_offsetsIS3_Lb0EPKbPS5_mNS0_19identity_decomposerEEE10hipError_tT1_T2_PT3_SF_jT4_jjP12ihipStream_tbEUlT_E_NS1_11comp_targetILNS1_3genE6ELNS1_11target_archE950ELNS1_3gpuE13ELNS1_3repE0EEENS1_52radix_sort_onesweep_histogram_config_static_selectorELNS0_4arch9wavefront6targetE0EEEvSD_.has_dyn_sized_stack, 0
	.set _ZN7rocprim17ROCPRIM_400000_NS6detail17trampoline_kernelINS0_14default_configENS1_35radix_sort_onesweep_config_selectorIbNS0_10empty_typeEEEZNS1_34radix_sort_onesweep_global_offsetsIS3_Lb0EPKbPS5_mNS0_19identity_decomposerEEE10hipError_tT1_T2_PT3_SF_jT4_jjP12ihipStream_tbEUlT_E_NS1_11comp_targetILNS1_3genE6ELNS1_11target_archE950ELNS1_3gpuE13ELNS1_3repE0EEENS1_52radix_sort_onesweep_histogram_config_static_selectorELNS0_4arch9wavefront6targetE0EEEvSD_.has_recursion, 0
	.set _ZN7rocprim17ROCPRIM_400000_NS6detail17trampoline_kernelINS0_14default_configENS1_35radix_sort_onesweep_config_selectorIbNS0_10empty_typeEEEZNS1_34radix_sort_onesweep_global_offsetsIS3_Lb0EPKbPS5_mNS0_19identity_decomposerEEE10hipError_tT1_T2_PT3_SF_jT4_jjP12ihipStream_tbEUlT_E_NS1_11comp_targetILNS1_3genE6ELNS1_11target_archE950ELNS1_3gpuE13ELNS1_3repE0EEENS1_52radix_sort_onesweep_histogram_config_static_selectorELNS0_4arch9wavefront6targetE0EEEvSD_.has_indirect_call, 0
	.section	.AMDGPU.csdata,"",@progbits
; Kernel info:
; codeLenInByte = 0
; TotalNumSgprs: 0
; NumVgprs: 0
; ScratchSize: 0
; MemoryBound: 0
; FloatMode: 240
; IeeeMode: 1
; LDSByteSize: 0 bytes/workgroup (compile time only)
; SGPRBlocks: 0
; VGPRBlocks: 0
; NumSGPRsForWavesPerEU: 1
; NumVGPRsForWavesPerEU: 1
; NamedBarCnt: 0
; Occupancy: 16
; WaveLimiterHint : 0
; COMPUTE_PGM_RSRC2:SCRATCH_EN: 0
; COMPUTE_PGM_RSRC2:USER_SGPR: 2
; COMPUTE_PGM_RSRC2:TRAP_HANDLER: 0
; COMPUTE_PGM_RSRC2:TGID_X_EN: 1
; COMPUTE_PGM_RSRC2:TGID_Y_EN: 0
; COMPUTE_PGM_RSRC2:TGID_Z_EN: 0
; COMPUTE_PGM_RSRC2:TIDIG_COMP_CNT: 0
	.section	.text._ZN7rocprim17ROCPRIM_400000_NS6detail17trampoline_kernelINS0_14default_configENS1_35radix_sort_onesweep_config_selectorIbNS0_10empty_typeEEEZNS1_34radix_sort_onesweep_global_offsetsIS3_Lb0EPKbPS5_mNS0_19identity_decomposerEEE10hipError_tT1_T2_PT3_SF_jT4_jjP12ihipStream_tbEUlT_E_NS1_11comp_targetILNS1_3genE5ELNS1_11target_archE942ELNS1_3gpuE9ELNS1_3repE0EEENS1_52radix_sort_onesweep_histogram_config_static_selectorELNS0_4arch9wavefront6targetE0EEEvSD_,"axG",@progbits,_ZN7rocprim17ROCPRIM_400000_NS6detail17trampoline_kernelINS0_14default_configENS1_35radix_sort_onesweep_config_selectorIbNS0_10empty_typeEEEZNS1_34radix_sort_onesweep_global_offsetsIS3_Lb0EPKbPS5_mNS0_19identity_decomposerEEE10hipError_tT1_T2_PT3_SF_jT4_jjP12ihipStream_tbEUlT_E_NS1_11comp_targetILNS1_3genE5ELNS1_11target_archE942ELNS1_3gpuE9ELNS1_3repE0EEENS1_52radix_sort_onesweep_histogram_config_static_selectorELNS0_4arch9wavefront6targetE0EEEvSD_,comdat
	.protected	_ZN7rocprim17ROCPRIM_400000_NS6detail17trampoline_kernelINS0_14default_configENS1_35radix_sort_onesweep_config_selectorIbNS0_10empty_typeEEEZNS1_34radix_sort_onesweep_global_offsetsIS3_Lb0EPKbPS5_mNS0_19identity_decomposerEEE10hipError_tT1_T2_PT3_SF_jT4_jjP12ihipStream_tbEUlT_E_NS1_11comp_targetILNS1_3genE5ELNS1_11target_archE942ELNS1_3gpuE9ELNS1_3repE0EEENS1_52radix_sort_onesweep_histogram_config_static_selectorELNS0_4arch9wavefront6targetE0EEEvSD_ ; -- Begin function _ZN7rocprim17ROCPRIM_400000_NS6detail17trampoline_kernelINS0_14default_configENS1_35radix_sort_onesweep_config_selectorIbNS0_10empty_typeEEEZNS1_34radix_sort_onesweep_global_offsetsIS3_Lb0EPKbPS5_mNS0_19identity_decomposerEEE10hipError_tT1_T2_PT3_SF_jT4_jjP12ihipStream_tbEUlT_E_NS1_11comp_targetILNS1_3genE5ELNS1_11target_archE942ELNS1_3gpuE9ELNS1_3repE0EEENS1_52radix_sort_onesweep_histogram_config_static_selectorELNS0_4arch9wavefront6targetE0EEEvSD_
	.globl	_ZN7rocprim17ROCPRIM_400000_NS6detail17trampoline_kernelINS0_14default_configENS1_35radix_sort_onesweep_config_selectorIbNS0_10empty_typeEEEZNS1_34radix_sort_onesweep_global_offsetsIS3_Lb0EPKbPS5_mNS0_19identity_decomposerEEE10hipError_tT1_T2_PT3_SF_jT4_jjP12ihipStream_tbEUlT_E_NS1_11comp_targetILNS1_3genE5ELNS1_11target_archE942ELNS1_3gpuE9ELNS1_3repE0EEENS1_52radix_sort_onesweep_histogram_config_static_selectorELNS0_4arch9wavefront6targetE0EEEvSD_
	.p2align	8
	.type	_ZN7rocprim17ROCPRIM_400000_NS6detail17trampoline_kernelINS0_14default_configENS1_35radix_sort_onesweep_config_selectorIbNS0_10empty_typeEEEZNS1_34radix_sort_onesweep_global_offsetsIS3_Lb0EPKbPS5_mNS0_19identity_decomposerEEE10hipError_tT1_T2_PT3_SF_jT4_jjP12ihipStream_tbEUlT_E_NS1_11comp_targetILNS1_3genE5ELNS1_11target_archE942ELNS1_3gpuE9ELNS1_3repE0EEENS1_52radix_sort_onesweep_histogram_config_static_selectorELNS0_4arch9wavefront6targetE0EEEvSD_,@function
_ZN7rocprim17ROCPRIM_400000_NS6detail17trampoline_kernelINS0_14default_configENS1_35radix_sort_onesweep_config_selectorIbNS0_10empty_typeEEEZNS1_34radix_sort_onesweep_global_offsetsIS3_Lb0EPKbPS5_mNS0_19identity_decomposerEEE10hipError_tT1_T2_PT3_SF_jT4_jjP12ihipStream_tbEUlT_E_NS1_11comp_targetILNS1_3genE5ELNS1_11target_archE942ELNS1_3gpuE9ELNS1_3repE0EEENS1_52radix_sort_onesweep_histogram_config_static_selectorELNS0_4arch9wavefront6targetE0EEEvSD_: ; @_ZN7rocprim17ROCPRIM_400000_NS6detail17trampoline_kernelINS0_14default_configENS1_35radix_sort_onesweep_config_selectorIbNS0_10empty_typeEEEZNS1_34radix_sort_onesweep_global_offsetsIS3_Lb0EPKbPS5_mNS0_19identity_decomposerEEE10hipError_tT1_T2_PT3_SF_jT4_jjP12ihipStream_tbEUlT_E_NS1_11comp_targetILNS1_3genE5ELNS1_11target_archE942ELNS1_3gpuE9ELNS1_3repE0EEENS1_52radix_sort_onesweep_histogram_config_static_selectorELNS0_4arch9wavefront6targetE0EEEvSD_
; %bb.0:
	.section	.rodata,"a",@progbits
	.p2align	6, 0x0
	.amdhsa_kernel _ZN7rocprim17ROCPRIM_400000_NS6detail17trampoline_kernelINS0_14default_configENS1_35radix_sort_onesweep_config_selectorIbNS0_10empty_typeEEEZNS1_34radix_sort_onesweep_global_offsetsIS3_Lb0EPKbPS5_mNS0_19identity_decomposerEEE10hipError_tT1_T2_PT3_SF_jT4_jjP12ihipStream_tbEUlT_E_NS1_11comp_targetILNS1_3genE5ELNS1_11target_archE942ELNS1_3gpuE9ELNS1_3repE0EEENS1_52radix_sort_onesweep_histogram_config_static_selectorELNS0_4arch9wavefront6targetE0EEEvSD_
		.amdhsa_group_segment_fixed_size 0
		.amdhsa_private_segment_fixed_size 0
		.amdhsa_kernarg_size 48
		.amdhsa_user_sgpr_count 2
		.amdhsa_user_sgpr_dispatch_ptr 0
		.amdhsa_user_sgpr_queue_ptr 0
		.amdhsa_user_sgpr_kernarg_segment_ptr 1
		.amdhsa_user_sgpr_dispatch_id 0
		.amdhsa_user_sgpr_kernarg_preload_length 0
		.amdhsa_user_sgpr_kernarg_preload_offset 0
		.amdhsa_user_sgpr_private_segment_size 0
		.amdhsa_wavefront_size32 1
		.amdhsa_uses_dynamic_stack 0
		.amdhsa_enable_private_segment 0
		.amdhsa_system_sgpr_workgroup_id_x 1
		.amdhsa_system_sgpr_workgroup_id_y 0
		.amdhsa_system_sgpr_workgroup_id_z 0
		.amdhsa_system_sgpr_workgroup_info 0
		.amdhsa_system_vgpr_workitem_id 0
		.amdhsa_next_free_vgpr 1
		.amdhsa_next_free_sgpr 1
		.amdhsa_named_barrier_count 0
		.amdhsa_reserve_vcc 0
		.amdhsa_float_round_mode_32 0
		.amdhsa_float_round_mode_16_64 0
		.amdhsa_float_denorm_mode_32 3
		.amdhsa_float_denorm_mode_16_64 3
		.amdhsa_fp16_overflow 0
		.amdhsa_memory_ordered 1
		.amdhsa_forward_progress 1
		.amdhsa_inst_pref_size 0
		.amdhsa_round_robin_scheduling 0
		.amdhsa_exception_fp_ieee_invalid_op 0
		.amdhsa_exception_fp_denorm_src 0
		.amdhsa_exception_fp_ieee_div_zero 0
		.amdhsa_exception_fp_ieee_overflow 0
		.amdhsa_exception_fp_ieee_underflow 0
		.amdhsa_exception_fp_ieee_inexact 0
		.amdhsa_exception_int_div_zero 0
	.end_amdhsa_kernel
	.section	.text._ZN7rocprim17ROCPRIM_400000_NS6detail17trampoline_kernelINS0_14default_configENS1_35radix_sort_onesweep_config_selectorIbNS0_10empty_typeEEEZNS1_34radix_sort_onesweep_global_offsetsIS3_Lb0EPKbPS5_mNS0_19identity_decomposerEEE10hipError_tT1_T2_PT3_SF_jT4_jjP12ihipStream_tbEUlT_E_NS1_11comp_targetILNS1_3genE5ELNS1_11target_archE942ELNS1_3gpuE9ELNS1_3repE0EEENS1_52radix_sort_onesweep_histogram_config_static_selectorELNS0_4arch9wavefront6targetE0EEEvSD_,"axG",@progbits,_ZN7rocprim17ROCPRIM_400000_NS6detail17trampoline_kernelINS0_14default_configENS1_35radix_sort_onesweep_config_selectorIbNS0_10empty_typeEEEZNS1_34radix_sort_onesweep_global_offsetsIS3_Lb0EPKbPS5_mNS0_19identity_decomposerEEE10hipError_tT1_T2_PT3_SF_jT4_jjP12ihipStream_tbEUlT_E_NS1_11comp_targetILNS1_3genE5ELNS1_11target_archE942ELNS1_3gpuE9ELNS1_3repE0EEENS1_52radix_sort_onesweep_histogram_config_static_selectorELNS0_4arch9wavefront6targetE0EEEvSD_,comdat
.Lfunc_end1836:
	.size	_ZN7rocprim17ROCPRIM_400000_NS6detail17trampoline_kernelINS0_14default_configENS1_35radix_sort_onesweep_config_selectorIbNS0_10empty_typeEEEZNS1_34radix_sort_onesweep_global_offsetsIS3_Lb0EPKbPS5_mNS0_19identity_decomposerEEE10hipError_tT1_T2_PT3_SF_jT4_jjP12ihipStream_tbEUlT_E_NS1_11comp_targetILNS1_3genE5ELNS1_11target_archE942ELNS1_3gpuE9ELNS1_3repE0EEENS1_52radix_sort_onesweep_histogram_config_static_selectorELNS0_4arch9wavefront6targetE0EEEvSD_, .Lfunc_end1836-_ZN7rocprim17ROCPRIM_400000_NS6detail17trampoline_kernelINS0_14default_configENS1_35radix_sort_onesweep_config_selectorIbNS0_10empty_typeEEEZNS1_34radix_sort_onesweep_global_offsetsIS3_Lb0EPKbPS5_mNS0_19identity_decomposerEEE10hipError_tT1_T2_PT3_SF_jT4_jjP12ihipStream_tbEUlT_E_NS1_11comp_targetILNS1_3genE5ELNS1_11target_archE942ELNS1_3gpuE9ELNS1_3repE0EEENS1_52radix_sort_onesweep_histogram_config_static_selectorELNS0_4arch9wavefront6targetE0EEEvSD_
                                        ; -- End function
	.set _ZN7rocprim17ROCPRIM_400000_NS6detail17trampoline_kernelINS0_14default_configENS1_35radix_sort_onesweep_config_selectorIbNS0_10empty_typeEEEZNS1_34radix_sort_onesweep_global_offsetsIS3_Lb0EPKbPS5_mNS0_19identity_decomposerEEE10hipError_tT1_T2_PT3_SF_jT4_jjP12ihipStream_tbEUlT_E_NS1_11comp_targetILNS1_3genE5ELNS1_11target_archE942ELNS1_3gpuE9ELNS1_3repE0EEENS1_52radix_sort_onesweep_histogram_config_static_selectorELNS0_4arch9wavefront6targetE0EEEvSD_.num_vgpr, 0
	.set _ZN7rocprim17ROCPRIM_400000_NS6detail17trampoline_kernelINS0_14default_configENS1_35radix_sort_onesweep_config_selectorIbNS0_10empty_typeEEEZNS1_34radix_sort_onesweep_global_offsetsIS3_Lb0EPKbPS5_mNS0_19identity_decomposerEEE10hipError_tT1_T2_PT3_SF_jT4_jjP12ihipStream_tbEUlT_E_NS1_11comp_targetILNS1_3genE5ELNS1_11target_archE942ELNS1_3gpuE9ELNS1_3repE0EEENS1_52radix_sort_onesweep_histogram_config_static_selectorELNS0_4arch9wavefront6targetE0EEEvSD_.num_agpr, 0
	.set _ZN7rocprim17ROCPRIM_400000_NS6detail17trampoline_kernelINS0_14default_configENS1_35radix_sort_onesweep_config_selectorIbNS0_10empty_typeEEEZNS1_34radix_sort_onesweep_global_offsetsIS3_Lb0EPKbPS5_mNS0_19identity_decomposerEEE10hipError_tT1_T2_PT3_SF_jT4_jjP12ihipStream_tbEUlT_E_NS1_11comp_targetILNS1_3genE5ELNS1_11target_archE942ELNS1_3gpuE9ELNS1_3repE0EEENS1_52radix_sort_onesweep_histogram_config_static_selectorELNS0_4arch9wavefront6targetE0EEEvSD_.numbered_sgpr, 0
	.set _ZN7rocprim17ROCPRIM_400000_NS6detail17trampoline_kernelINS0_14default_configENS1_35radix_sort_onesweep_config_selectorIbNS0_10empty_typeEEEZNS1_34radix_sort_onesweep_global_offsetsIS3_Lb0EPKbPS5_mNS0_19identity_decomposerEEE10hipError_tT1_T2_PT3_SF_jT4_jjP12ihipStream_tbEUlT_E_NS1_11comp_targetILNS1_3genE5ELNS1_11target_archE942ELNS1_3gpuE9ELNS1_3repE0EEENS1_52radix_sort_onesweep_histogram_config_static_selectorELNS0_4arch9wavefront6targetE0EEEvSD_.num_named_barrier, 0
	.set _ZN7rocprim17ROCPRIM_400000_NS6detail17trampoline_kernelINS0_14default_configENS1_35radix_sort_onesweep_config_selectorIbNS0_10empty_typeEEEZNS1_34radix_sort_onesweep_global_offsetsIS3_Lb0EPKbPS5_mNS0_19identity_decomposerEEE10hipError_tT1_T2_PT3_SF_jT4_jjP12ihipStream_tbEUlT_E_NS1_11comp_targetILNS1_3genE5ELNS1_11target_archE942ELNS1_3gpuE9ELNS1_3repE0EEENS1_52radix_sort_onesweep_histogram_config_static_selectorELNS0_4arch9wavefront6targetE0EEEvSD_.private_seg_size, 0
	.set _ZN7rocprim17ROCPRIM_400000_NS6detail17trampoline_kernelINS0_14default_configENS1_35radix_sort_onesweep_config_selectorIbNS0_10empty_typeEEEZNS1_34radix_sort_onesweep_global_offsetsIS3_Lb0EPKbPS5_mNS0_19identity_decomposerEEE10hipError_tT1_T2_PT3_SF_jT4_jjP12ihipStream_tbEUlT_E_NS1_11comp_targetILNS1_3genE5ELNS1_11target_archE942ELNS1_3gpuE9ELNS1_3repE0EEENS1_52radix_sort_onesweep_histogram_config_static_selectorELNS0_4arch9wavefront6targetE0EEEvSD_.uses_vcc, 0
	.set _ZN7rocprim17ROCPRIM_400000_NS6detail17trampoline_kernelINS0_14default_configENS1_35radix_sort_onesweep_config_selectorIbNS0_10empty_typeEEEZNS1_34radix_sort_onesweep_global_offsetsIS3_Lb0EPKbPS5_mNS0_19identity_decomposerEEE10hipError_tT1_T2_PT3_SF_jT4_jjP12ihipStream_tbEUlT_E_NS1_11comp_targetILNS1_3genE5ELNS1_11target_archE942ELNS1_3gpuE9ELNS1_3repE0EEENS1_52radix_sort_onesweep_histogram_config_static_selectorELNS0_4arch9wavefront6targetE0EEEvSD_.uses_flat_scratch, 0
	.set _ZN7rocprim17ROCPRIM_400000_NS6detail17trampoline_kernelINS0_14default_configENS1_35radix_sort_onesweep_config_selectorIbNS0_10empty_typeEEEZNS1_34radix_sort_onesweep_global_offsetsIS3_Lb0EPKbPS5_mNS0_19identity_decomposerEEE10hipError_tT1_T2_PT3_SF_jT4_jjP12ihipStream_tbEUlT_E_NS1_11comp_targetILNS1_3genE5ELNS1_11target_archE942ELNS1_3gpuE9ELNS1_3repE0EEENS1_52radix_sort_onesweep_histogram_config_static_selectorELNS0_4arch9wavefront6targetE0EEEvSD_.has_dyn_sized_stack, 0
	.set _ZN7rocprim17ROCPRIM_400000_NS6detail17trampoline_kernelINS0_14default_configENS1_35radix_sort_onesweep_config_selectorIbNS0_10empty_typeEEEZNS1_34radix_sort_onesweep_global_offsetsIS3_Lb0EPKbPS5_mNS0_19identity_decomposerEEE10hipError_tT1_T2_PT3_SF_jT4_jjP12ihipStream_tbEUlT_E_NS1_11comp_targetILNS1_3genE5ELNS1_11target_archE942ELNS1_3gpuE9ELNS1_3repE0EEENS1_52radix_sort_onesweep_histogram_config_static_selectorELNS0_4arch9wavefront6targetE0EEEvSD_.has_recursion, 0
	.set _ZN7rocprim17ROCPRIM_400000_NS6detail17trampoline_kernelINS0_14default_configENS1_35radix_sort_onesweep_config_selectorIbNS0_10empty_typeEEEZNS1_34radix_sort_onesweep_global_offsetsIS3_Lb0EPKbPS5_mNS0_19identity_decomposerEEE10hipError_tT1_T2_PT3_SF_jT4_jjP12ihipStream_tbEUlT_E_NS1_11comp_targetILNS1_3genE5ELNS1_11target_archE942ELNS1_3gpuE9ELNS1_3repE0EEENS1_52radix_sort_onesweep_histogram_config_static_selectorELNS0_4arch9wavefront6targetE0EEEvSD_.has_indirect_call, 0
	.section	.AMDGPU.csdata,"",@progbits
; Kernel info:
; codeLenInByte = 0
; TotalNumSgprs: 0
; NumVgprs: 0
; ScratchSize: 0
; MemoryBound: 0
; FloatMode: 240
; IeeeMode: 1
; LDSByteSize: 0 bytes/workgroup (compile time only)
; SGPRBlocks: 0
; VGPRBlocks: 0
; NumSGPRsForWavesPerEU: 1
; NumVGPRsForWavesPerEU: 1
; NamedBarCnt: 0
; Occupancy: 16
; WaveLimiterHint : 0
; COMPUTE_PGM_RSRC2:SCRATCH_EN: 0
; COMPUTE_PGM_RSRC2:USER_SGPR: 2
; COMPUTE_PGM_RSRC2:TRAP_HANDLER: 0
; COMPUTE_PGM_RSRC2:TGID_X_EN: 1
; COMPUTE_PGM_RSRC2:TGID_Y_EN: 0
; COMPUTE_PGM_RSRC2:TGID_Z_EN: 0
; COMPUTE_PGM_RSRC2:TIDIG_COMP_CNT: 0
	.section	.text._ZN7rocprim17ROCPRIM_400000_NS6detail17trampoline_kernelINS0_14default_configENS1_35radix_sort_onesweep_config_selectorIbNS0_10empty_typeEEEZNS1_34radix_sort_onesweep_global_offsetsIS3_Lb0EPKbPS5_mNS0_19identity_decomposerEEE10hipError_tT1_T2_PT3_SF_jT4_jjP12ihipStream_tbEUlT_E_NS1_11comp_targetILNS1_3genE2ELNS1_11target_archE906ELNS1_3gpuE6ELNS1_3repE0EEENS1_52radix_sort_onesweep_histogram_config_static_selectorELNS0_4arch9wavefront6targetE0EEEvSD_,"axG",@progbits,_ZN7rocprim17ROCPRIM_400000_NS6detail17trampoline_kernelINS0_14default_configENS1_35radix_sort_onesweep_config_selectorIbNS0_10empty_typeEEEZNS1_34radix_sort_onesweep_global_offsetsIS3_Lb0EPKbPS5_mNS0_19identity_decomposerEEE10hipError_tT1_T2_PT3_SF_jT4_jjP12ihipStream_tbEUlT_E_NS1_11comp_targetILNS1_3genE2ELNS1_11target_archE906ELNS1_3gpuE6ELNS1_3repE0EEENS1_52radix_sort_onesweep_histogram_config_static_selectorELNS0_4arch9wavefront6targetE0EEEvSD_,comdat
	.protected	_ZN7rocprim17ROCPRIM_400000_NS6detail17trampoline_kernelINS0_14default_configENS1_35radix_sort_onesweep_config_selectorIbNS0_10empty_typeEEEZNS1_34radix_sort_onesweep_global_offsetsIS3_Lb0EPKbPS5_mNS0_19identity_decomposerEEE10hipError_tT1_T2_PT3_SF_jT4_jjP12ihipStream_tbEUlT_E_NS1_11comp_targetILNS1_3genE2ELNS1_11target_archE906ELNS1_3gpuE6ELNS1_3repE0EEENS1_52radix_sort_onesweep_histogram_config_static_selectorELNS0_4arch9wavefront6targetE0EEEvSD_ ; -- Begin function _ZN7rocprim17ROCPRIM_400000_NS6detail17trampoline_kernelINS0_14default_configENS1_35radix_sort_onesweep_config_selectorIbNS0_10empty_typeEEEZNS1_34radix_sort_onesweep_global_offsetsIS3_Lb0EPKbPS5_mNS0_19identity_decomposerEEE10hipError_tT1_T2_PT3_SF_jT4_jjP12ihipStream_tbEUlT_E_NS1_11comp_targetILNS1_3genE2ELNS1_11target_archE906ELNS1_3gpuE6ELNS1_3repE0EEENS1_52radix_sort_onesweep_histogram_config_static_selectorELNS0_4arch9wavefront6targetE0EEEvSD_
	.globl	_ZN7rocprim17ROCPRIM_400000_NS6detail17trampoline_kernelINS0_14default_configENS1_35radix_sort_onesweep_config_selectorIbNS0_10empty_typeEEEZNS1_34radix_sort_onesweep_global_offsetsIS3_Lb0EPKbPS5_mNS0_19identity_decomposerEEE10hipError_tT1_T2_PT3_SF_jT4_jjP12ihipStream_tbEUlT_E_NS1_11comp_targetILNS1_3genE2ELNS1_11target_archE906ELNS1_3gpuE6ELNS1_3repE0EEENS1_52radix_sort_onesweep_histogram_config_static_selectorELNS0_4arch9wavefront6targetE0EEEvSD_
	.p2align	8
	.type	_ZN7rocprim17ROCPRIM_400000_NS6detail17trampoline_kernelINS0_14default_configENS1_35radix_sort_onesweep_config_selectorIbNS0_10empty_typeEEEZNS1_34radix_sort_onesweep_global_offsetsIS3_Lb0EPKbPS5_mNS0_19identity_decomposerEEE10hipError_tT1_T2_PT3_SF_jT4_jjP12ihipStream_tbEUlT_E_NS1_11comp_targetILNS1_3genE2ELNS1_11target_archE906ELNS1_3gpuE6ELNS1_3repE0EEENS1_52radix_sort_onesweep_histogram_config_static_selectorELNS0_4arch9wavefront6targetE0EEEvSD_,@function
_ZN7rocprim17ROCPRIM_400000_NS6detail17trampoline_kernelINS0_14default_configENS1_35radix_sort_onesweep_config_selectorIbNS0_10empty_typeEEEZNS1_34radix_sort_onesweep_global_offsetsIS3_Lb0EPKbPS5_mNS0_19identity_decomposerEEE10hipError_tT1_T2_PT3_SF_jT4_jjP12ihipStream_tbEUlT_E_NS1_11comp_targetILNS1_3genE2ELNS1_11target_archE906ELNS1_3gpuE6ELNS1_3repE0EEENS1_52radix_sort_onesweep_histogram_config_static_selectorELNS0_4arch9wavefront6targetE0EEEvSD_: ; @_ZN7rocprim17ROCPRIM_400000_NS6detail17trampoline_kernelINS0_14default_configENS1_35radix_sort_onesweep_config_selectorIbNS0_10empty_typeEEEZNS1_34radix_sort_onesweep_global_offsetsIS3_Lb0EPKbPS5_mNS0_19identity_decomposerEEE10hipError_tT1_T2_PT3_SF_jT4_jjP12ihipStream_tbEUlT_E_NS1_11comp_targetILNS1_3genE2ELNS1_11target_archE906ELNS1_3gpuE6ELNS1_3repE0EEENS1_52radix_sort_onesweep_histogram_config_static_selectorELNS0_4arch9wavefront6targetE0EEEvSD_
; %bb.0:
	.section	.rodata,"a",@progbits
	.p2align	6, 0x0
	.amdhsa_kernel _ZN7rocprim17ROCPRIM_400000_NS6detail17trampoline_kernelINS0_14default_configENS1_35radix_sort_onesweep_config_selectorIbNS0_10empty_typeEEEZNS1_34radix_sort_onesweep_global_offsetsIS3_Lb0EPKbPS5_mNS0_19identity_decomposerEEE10hipError_tT1_T2_PT3_SF_jT4_jjP12ihipStream_tbEUlT_E_NS1_11comp_targetILNS1_3genE2ELNS1_11target_archE906ELNS1_3gpuE6ELNS1_3repE0EEENS1_52radix_sort_onesweep_histogram_config_static_selectorELNS0_4arch9wavefront6targetE0EEEvSD_
		.amdhsa_group_segment_fixed_size 0
		.amdhsa_private_segment_fixed_size 0
		.amdhsa_kernarg_size 48
		.amdhsa_user_sgpr_count 2
		.amdhsa_user_sgpr_dispatch_ptr 0
		.amdhsa_user_sgpr_queue_ptr 0
		.amdhsa_user_sgpr_kernarg_segment_ptr 1
		.amdhsa_user_sgpr_dispatch_id 0
		.amdhsa_user_sgpr_kernarg_preload_length 0
		.amdhsa_user_sgpr_kernarg_preload_offset 0
		.amdhsa_user_sgpr_private_segment_size 0
		.amdhsa_wavefront_size32 1
		.amdhsa_uses_dynamic_stack 0
		.amdhsa_enable_private_segment 0
		.amdhsa_system_sgpr_workgroup_id_x 1
		.amdhsa_system_sgpr_workgroup_id_y 0
		.amdhsa_system_sgpr_workgroup_id_z 0
		.amdhsa_system_sgpr_workgroup_info 0
		.amdhsa_system_vgpr_workitem_id 0
		.amdhsa_next_free_vgpr 1
		.amdhsa_next_free_sgpr 1
		.amdhsa_named_barrier_count 0
		.amdhsa_reserve_vcc 0
		.amdhsa_float_round_mode_32 0
		.amdhsa_float_round_mode_16_64 0
		.amdhsa_float_denorm_mode_32 3
		.amdhsa_float_denorm_mode_16_64 3
		.amdhsa_fp16_overflow 0
		.amdhsa_memory_ordered 1
		.amdhsa_forward_progress 1
		.amdhsa_inst_pref_size 0
		.amdhsa_round_robin_scheduling 0
		.amdhsa_exception_fp_ieee_invalid_op 0
		.amdhsa_exception_fp_denorm_src 0
		.amdhsa_exception_fp_ieee_div_zero 0
		.amdhsa_exception_fp_ieee_overflow 0
		.amdhsa_exception_fp_ieee_underflow 0
		.amdhsa_exception_fp_ieee_inexact 0
		.amdhsa_exception_int_div_zero 0
	.end_amdhsa_kernel
	.section	.text._ZN7rocprim17ROCPRIM_400000_NS6detail17trampoline_kernelINS0_14default_configENS1_35radix_sort_onesweep_config_selectorIbNS0_10empty_typeEEEZNS1_34radix_sort_onesweep_global_offsetsIS3_Lb0EPKbPS5_mNS0_19identity_decomposerEEE10hipError_tT1_T2_PT3_SF_jT4_jjP12ihipStream_tbEUlT_E_NS1_11comp_targetILNS1_3genE2ELNS1_11target_archE906ELNS1_3gpuE6ELNS1_3repE0EEENS1_52radix_sort_onesweep_histogram_config_static_selectorELNS0_4arch9wavefront6targetE0EEEvSD_,"axG",@progbits,_ZN7rocprim17ROCPRIM_400000_NS6detail17trampoline_kernelINS0_14default_configENS1_35radix_sort_onesweep_config_selectorIbNS0_10empty_typeEEEZNS1_34radix_sort_onesweep_global_offsetsIS3_Lb0EPKbPS5_mNS0_19identity_decomposerEEE10hipError_tT1_T2_PT3_SF_jT4_jjP12ihipStream_tbEUlT_E_NS1_11comp_targetILNS1_3genE2ELNS1_11target_archE906ELNS1_3gpuE6ELNS1_3repE0EEENS1_52radix_sort_onesweep_histogram_config_static_selectorELNS0_4arch9wavefront6targetE0EEEvSD_,comdat
.Lfunc_end1837:
	.size	_ZN7rocprim17ROCPRIM_400000_NS6detail17trampoline_kernelINS0_14default_configENS1_35radix_sort_onesweep_config_selectorIbNS0_10empty_typeEEEZNS1_34radix_sort_onesweep_global_offsetsIS3_Lb0EPKbPS5_mNS0_19identity_decomposerEEE10hipError_tT1_T2_PT3_SF_jT4_jjP12ihipStream_tbEUlT_E_NS1_11comp_targetILNS1_3genE2ELNS1_11target_archE906ELNS1_3gpuE6ELNS1_3repE0EEENS1_52radix_sort_onesweep_histogram_config_static_selectorELNS0_4arch9wavefront6targetE0EEEvSD_, .Lfunc_end1837-_ZN7rocprim17ROCPRIM_400000_NS6detail17trampoline_kernelINS0_14default_configENS1_35radix_sort_onesweep_config_selectorIbNS0_10empty_typeEEEZNS1_34radix_sort_onesweep_global_offsetsIS3_Lb0EPKbPS5_mNS0_19identity_decomposerEEE10hipError_tT1_T2_PT3_SF_jT4_jjP12ihipStream_tbEUlT_E_NS1_11comp_targetILNS1_3genE2ELNS1_11target_archE906ELNS1_3gpuE6ELNS1_3repE0EEENS1_52radix_sort_onesweep_histogram_config_static_selectorELNS0_4arch9wavefront6targetE0EEEvSD_
                                        ; -- End function
	.set _ZN7rocprim17ROCPRIM_400000_NS6detail17trampoline_kernelINS0_14default_configENS1_35radix_sort_onesweep_config_selectorIbNS0_10empty_typeEEEZNS1_34radix_sort_onesweep_global_offsetsIS3_Lb0EPKbPS5_mNS0_19identity_decomposerEEE10hipError_tT1_T2_PT3_SF_jT4_jjP12ihipStream_tbEUlT_E_NS1_11comp_targetILNS1_3genE2ELNS1_11target_archE906ELNS1_3gpuE6ELNS1_3repE0EEENS1_52radix_sort_onesweep_histogram_config_static_selectorELNS0_4arch9wavefront6targetE0EEEvSD_.num_vgpr, 0
	.set _ZN7rocprim17ROCPRIM_400000_NS6detail17trampoline_kernelINS0_14default_configENS1_35radix_sort_onesweep_config_selectorIbNS0_10empty_typeEEEZNS1_34radix_sort_onesweep_global_offsetsIS3_Lb0EPKbPS5_mNS0_19identity_decomposerEEE10hipError_tT1_T2_PT3_SF_jT4_jjP12ihipStream_tbEUlT_E_NS1_11comp_targetILNS1_3genE2ELNS1_11target_archE906ELNS1_3gpuE6ELNS1_3repE0EEENS1_52radix_sort_onesweep_histogram_config_static_selectorELNS0_4arch9wavefront6targetE0EEEvSD_.num_agpr, 0
	.set _ZN7rocprim17ROCPRIM_400000_NS6detail17trampoline_kernelINS0_14default_configENS1_35radix_sort_onesweep_config_selectorIbNS0_10empty_typeEEEZNS1_34radix_sort_onesweep_global_offsetsIS3_Lb0EPKbPS5_mNS0_19identity_decomposerEEE10hipError_tT1_T2_PT3_SF_jT4_jjP12ihipStream_tbEUlT_E_NS1_11comp_targetILNS1_3genE2ELNS1_11target_archE906ELNS1_3gpuE6ELNS1_3repE0EEENS1_52radix_sort_onesweep_histogram_config_static_selectorELNS0_4arch9wavefront6targetE0EEEvSD_.numbered_sgpr, 0
	.set _ZN7rocprim17ROCPRIM_400000_NS6detail17trampoline_kernelINS0_14default_configENS1_35radix_sort_onesweep_config_selectorIbNS0_10empty_typeEEEZNS1_34radix_sort_onesweep_global_offsetsIS3_Lb0EPKbPS5_mNS0_19identity_decomposerEEE10hipError_tT1_T2_PT3_SF_jT4_jjP12ihipStream_tbEUlT_E_NS1_11comp_targetILNS1_3genE2ELNS1_11target_archE906ELNS1_3gpuE6ELNS1_3repE0EEENS1_52radix_sort_onesweep_histogram_config_static_selectorELNS0_4arch9wavefront6targetE0EEEvSD_.num_named_barrier, 0
	.set _ZN7rocprim17ROCPRIM_400000_NS6detail17trampoline_kernelINS0_14default_configENS1_35radix_sort_onesweep_config_selectorIbNS0_10empty_typeEEEZNS1_34radix_sort_onesweep_global_offsetsIS3_Lb0EPKbPS5_mNS0_19identity_decomposerEEE10hipError_tT1_T2_PT3_SF_jT4_jjP12ihipStream_tbEUlT_E_NS1_11comp_targetILNS1_3genE2ELNS1_11target_archE906ELNS1_3gpuE6ELNS1_3repE0EEENS1_52radix_sort_onesweep_histogram_config_static_selectorELNS0_4arch9wavefront6targetE0EEEvSD_.private_seg_size, 0
	.set _ZN7rocprim17ROCPRIM_400000_NS6detail17trampoline_kernelINS0_14default_configENS1_35radix_sort_onesweep_config_selectorIbNS0_10empty_typeEEEZNS1_34radix_sort_onesweep_global_offsetsIS3_Lb0EPKbPS5_mNS0_19identity_decomposerEEE10hipError_tT1_T2_PT3_SF_jT4_jjP12ihipStream_tbEUlT_E_NS1_11comp_targetILNS1_3genE2ELNS1_11target_archE906ELNS1_3gpuE6ELNS1_3repE0EEENS1_52radix_sort_onesweep_histogram_config_static_selectorELNS0_4arch9wavefront6targetE0EEEvSD_.uses_vcc, 0
	.set _ZN7rocprim17ROCPRIM_400000_NS6detail17trampoline_kernelINS0_14default_configENS1_35radix_sort_onesweep_config_selectorIbNS0_10empty_typeEEEZNS1_34radix_sort_onesweep_global_offsetsIS3_Lb0EPKbPS5_mNS0_19identity_decomposerEEE10hipError_tT1_T2_PT3_SF_jT4_jjP12ihipStream_tbEUlT_E_NS1_11comp_targetILNS1_3genE2ELNS1_11target_archE906ELNS1_3gpuE6ELNS1_3repE0EEENS1_52radix_sort_onesweep_histogram_config_static_selectorELNS0_4arch9wavefront6targetE0EEEvSD_.uses_flat_scratch, 0
	.set _ZN7rocprim17ROCPRIM_400000_NS6detail17trampoline_kernelINS0_14default_configENS1_35radix_sort_onesweep_config_selectorIbNS0_10empty_typeEEEZNS1_34radix_sort_onesweep_global_offsetsIS3_Lb0EPKbPS5_mNS0_19identity_decomposerEEE10hipError_tT1_T2_PT3_SF_jT4_jjP12ihipStream_tbEUlT_E_NS1_11comp_targetILNS1_3genE2ELNS1_11target_archE906ELNS1_3gpuE6ELNS1_3repE0EEENS1_52radix_sort_onesweep_histogram_config_static_selectorELNS0_4arch9wavefront6targetE0EEEvSD_.has_dyn_sized_stack, 0
	.set _ZN7rocprim17ROCPRIM_400000_NS6detail17trampoline_kernelINS0_14default_configENS1_35radix_sort_onesweep_config_selectorIbNS0_10empty_typeEEEZNS1_34radix_sort_onesweep_global_offsetsIS3_Lb0EPKbPS5_mNS0_19identity_decomposerEEE10hipError_tT1_T2_PT3_SF_jT4_jjP12ihipStream_tbEUlT_E_NS1_11comp_targetILNS1_3genE2ELNS1_11target_archE906ELNS1_3gpuE6ELNS1_3repE0EEENS1_52radix_sort_onesweep_histogram_config_static_selectorELNS0_4arch9wavefront6targetE0EEEvSD_.has_recursion, 0
	.set _ZN7rocprim17ROCPRIM_400000_NS6detail17trampoline_kernelINS0_14default_configENS1_35radix_sort_onesweep_config_selectorIbNS0_10empty_typeEEEZNS1_34radix_sort_onesweep_global_offsetsIS3_Lb0EPKbPS5_mNS0_19identity_decomposerEEE10hipError_tT1_T2_PT3_SF_jT4_jjP12ihipStream_tbEUlT_E_NS1_11comp_targetILNS1_3genE2ELNS1_11target_archE906ELNS1_3gpuE6ELNS1_3repE0EEENS1_52radix_sort_onesweep_histogram_config_static_selectorELNS0_4arch9wavefront6targetE0EEEvSD_.has_indirect_call, 0
	.section	.AMDGPU.csdata,"",@progbits
; Kernel info:
; codeLenInByte = 0
; TotalNumSgprs: 0
; NumVgprs: 0
; ScratchSize: 0
; MemoryBound: 0
; FloatMode: 240
; IeeeMode: 1
; LDSByteSize: 0 bytes/workgroup (compile time only)
; SGPRBlocks: 0
; VGPRBlocks: 0
; NumSGPRsForWavesPerEU: 1
; NumVGPRsForWavesPerEU: 1
; NamedBarCnt: 0
; Occupancy: 16
; WaveLimiterHint : 0
; COMPUTE_PGM_RSRC2:SCRATCH_EN: 0
; COMPUTE_PGM_RSRC2:USER_SGPR: 2
; COMPUTE_PGM_RSRC2:TRAP_HANDLER: 0
; COMPUTE_PGM_RSRC2:TGID_X_EN: 1
; COMPUTE_PGM_RSRC2:TGID_Y_EN: 0
; COMPUTE_PGM_RSRC2:TGID_Z_EN: 0
; COMPUTE_PGM_RSRC2:TIDIG_COMP_CNT: 0
	.section	.text._ZN7rocprim17ROCPRIM_400000_NS6detail17trampoline_kernelINS0_14default_configENS1_35radix_sort_onesweep_config_selectorIbNS0_10empty_typeEEEZNS1_34radix_sort_onesweep_global_offsetsIS3_Lb0EPKbPS5_mNS0_19identity_decomposerEEE10hipError_tT1_T2_PT3_SF_jT4_jjP12ihipStream_tbEUlT_E_NS1_11comp_targetILNS1_3genE4ELNS1_11target_archE910ELNS1_3gpuE8ELNS1_3repE0EEENS1_52radix_sort_onesweep_histogram_config_static_selectorELNS0_4arch9wavefront6targetE0EEEvSD_,"axG",@progbits,_ZN7rocprim17ROCPRIM_400000_NS6detail17trampoline_kernelINS0_14default_configENS1_35radix_sort_onesweep_config_selectorIbNS0_10empty_typeEEEZNS1_34radix_sort_onesweep_global_offsetsIS3_Lb0EPKbPS5_mNS0_19identity_decomposerEEE10hipError_tT1_T2_PT3_SF_jT4_jjP12ihipStream_tbEUlT_E_NS1_11comp_targetILNS1_3genE4ELNS1_11target_archE910ELNS1_3gpuE8ELNS1_3repE0EEENS1_52radix_sort_onesweep_histogram_config_static_selectorELNS0_4arch9wavefront6targetE0EEEvSD_,comdat
	.protected	_ZN7rocprim17ROCPRIM_400000_NS6detail17trampoline_kernelINS0_14default_configENS1_35radix_sort_onesweep_config_selectorIbNS0_10empty_typeEEEZNS1_34radix_sort_onesweep_global_offsetsIS3_Lb0EPKbPS5_mNS0_19identity_decomposerEEE10hipError_tT1_T2_PT3_SF_jT4_jjP12ihipStream_tbEUlT_E_NS1_11comp_targetILNS1_3genE4ELNS1_11target_archE910ELNS1_3gpuE8ELNS1_3repE0EEENS1_52radix_sort_onesweep_histogram_config_static_selectorELNS0_4arch9wavefront6targetE0EEEvSD_ ; -- Begin function _ZN7rocprim17ROCPRIM_400000_NS6detail17trampoline_kernelINS0_14default_configENS1_35radix_sort_onesweep_config_selectorIbNS0_10empty_typeEEEZNS1_34radix_sort_onesweep_global_offsetsIS3_Lb0EPKbPS5_mNS0_19identity_decomposerEEE10hipError_tT1_T2_PT3_SF_jT4_jjP12ihipStream_tbEUlT_E_NS1_11comp_targetILNS1_3genE4ELNS1_11target_archE910ELNS1_3gpuE8ELNS1_3repE0EEENS1_52radix_sort_onesweep_histogram_config_static_selectorELNS0_4arch9wavefront6targetE0EEEvSD_
	.globl	_ZN7rocprim17ROCPRIM_400000_NS6detail17trampoline_kernelINS0_14default_configENS1_35radix_sort_onesweep_config_selectorIbNS0_10empty_typeEEEZNS1_34radix_sort_onesweep_global_offsetsIS3_Lb0EPKbPS5_mNS0_19identity_decomposerEEE10hipError_tT1_T2_PT3_SF_jT4_jjP12ihipStream_tbEUlT_E_NS1_11comp_targetILNS1_3genE4ELNS1_11target_archE910ELNS1_3gpuE8ELNS1_3repE0EEENS1_52radix_sort_onesweep_histogram_config_static_selectorELNS0_4arch9wavefront6targetE0EEEvSD_
	.p2align	8
	.type	_ZN7rocprim17ROCPRIM_400000_NS6detail17trampoline_kernelINS0_14default_configENS1_35radix_sort_onesweep_config_selectorIbNS0_10empty_typeEEEZNS1_34radix_sort_onesweep_global_offsetsIS3_Lb0EPKbPS5_mNS0_19identity_decomposerEEE10hipError_tT1_T2_PT3_SF_jT4_jjP12ihipStream_tbEUlT_E_NS1_11comp_targetILNS1_3genE4ELNS1_11target_archE910ELNS1_3gpuE8ELNS1_3repE0EEENS1_52radix_sort_onesweep_histogram_config_static_selectorELNS0_4arch9wavefront6targetE0EEEvSD_,@function
_ZN7rocprim17ROCPRIM_400000_NS6detail17trampoline_kernelINS0_14default_configENS1_35radix_sort_onesweep_config_selectorIbNS0_10empty_typeEEEZNS1_34radix_sort_onesweep_global_offsetsIS3_Lb0EPKbPS5_mNS0_19identity_decomposerEEE10hipError_tT1_T2_PT3_SF_jT4_jjP12ihipStream_tbEUlT_E_NS1_11comp_targetILNS1_3genE4ELNS1_11target_archE910ELNS1_3gpuE8ELNS1_3repE0EEENS1_52radix_sort_onesweep_histogram_config_static_selectorELNS0_4arch9wavefront6targetE0EEEvSD_: ; @_ZN7rocprim17ROCPRIM_400000_NS6detail17trampoline_kernelINS0_14default_configENS1_35radix_sort_onesweep_config_selectorIbNS0_10empty_typeEEEZNS1_34radix_sort_onesweep_global_offsetsIS3_Lb0EPKbPS5_mNS0_19identity_decomposerEEE10hipError_tT1_T2_PT3_SF_jT4_jjP12ihipStream_tbEUlT_E_NS1_11comp_targetILNS1_3genE4ELNS1_11target_archE910ELNS1_3gpuE8ELNS1_3repE0EEENS1_52radix_sort_onesweep_histogram_config_static_selectorELNS0_4arch9wavefront6targetE0EEEvSD_
; %bb.0:
	.section	.rodata,"a",@progbits
	.p2align	6, 0x0
	.amdhsa_kernel _ZN7rocprim17ROCPRIM_400000_NS6detail17trampoline_kernelINS0_14default_configENS1_35radix_sort_onesweep_config_selectorIbNS0_10empty_typeEEEZNS1_34radix_sort_onesweep_global_offsetsIS3_Lb0EPKbPS5_mNS0_19identity_decomposerEEE10hipError_tT1_T2_PT3_SF_jT4_jjP12ihipStream_tbEUlT_E_NS1_11comp_targetILNS1_3genE4ELNS1_11target_archE910ELNS1_3gpuE8ELNS1_3repE0EEENS1_52radix_sort_onesweep_histogram_config_static_selectorELNS0_4arch9wavefront6targetE0EEEvSD_
		.amdhsa_group_segment_fixed_size 0
		.amdhsa_private_segment_fixed_size 0
		.amdhsa_kernarg_size 48
		.amdhsa_user_sgpr_count 2
		.amdhsa_user_sgpr_dispatch_ptr 0
		.amdhsa_user_sgpr_queue_ptr 0
		.amdhsa_user_sgpr_kernarg_segment_ptr 1
		.amdhsa_user_sgpr_dispatch_id 0
		.amdhsa_user_sgpr_kernarg_preload_length 0
		.amdhsa_user_sgpr_kernarg_preload_offset 0
		.amdhsa_user_sgpr_private_segment_size 0
		.amdhsa_wavefront_size32 1
		.amdhsa_uses_dynamic_stack 0
		.amdhsa_enable_private_segment 0
		.amdhsa_system_sgpr_workgroup_id_x 1
		.amdhsa_system_sgpr_workgroup_id_y 0
		.amdhsa_system_sgpr_workgroup_id_z 0
		.amdhsa_system_sgpr_workgroup_info 0
		.amdhsa_system_vgpr_workitem_id 0
		.amdhsa_next_free_vgpr 1
		.amdhsa_next_free_sgpr 1
		.amdhsa_named_barrier_count 0
		.amdhsa_reserve_vcc 0
		.amdhsa_float_round_mode_32 0
		.amdhsa_float_round_mode_16_64 0
		.amdhsa_float_denorm_mode_32 3
		.amdhsa_float_denorm_mode_16_64 3
		.amdhsa_fp16_overflow 0
		.amdhsa_memory_ordered 1
		.amdhsa_forward_progress 1
		.amdhsa_inst_pref_size 0
		.amdhsa_round_robin_scheduling 0
		.amdhsa_exception_fp_ieee_invalid_op 0
		.amdhsa_exception_fp_denorm_src 0
		.amdhsa_exception_fp_ieee_div_zero 0
		.amdhsa_exception_fp_ieee_overflow 0
		.amdhsa_exception_fp_ieee_underflow 0
		.amdhsa_exception_fp_ieee_inexact 0
		.amdhsa_exception_int_div_zero 0
	.end_amdhsa_kernel
	.section	.text._ZN7rocprim17ROCPRIM_400000_NS6detail17trampoline_kernelINS0_14default_configENS1_35radix_sort_onesweep_config_selectorIbNS0_10empty_typeEEEZNS1_34radix_sort_onesweep_global_offsetsIS3_Lb0EPKbPS5_mNS0_19identity_decomposerEEE10hipError_tT1_T2_PT3_SF_jT4_jjP12ihipStream_tbEUlT_E_NS1_11comp_targetILNS1_3genE4ELNS1_11target_archE910ELNS1_3gpuE8ELNS1_3repE0EEENS1_52radix_sort_onesweep_histogram_config_static_selectorELNS0_4arch9wavefront6targetE0EEEvSD_,"axG",@progbits,_ZN7rocprim17ROCPRIM_400000_NS6detail17trampoline_kernelINS0_14default_configENS1_35radix_sort_onesweep_config_selectorIbNS0_10empty_typeEEEZNS1_34radix_sort_onesweep_global_offsetsIS3_Lb0EPKbPS5_mNS0_19identity_decomposerEEE10hipError_tT1_T2_PT3_SF_jT4_jjP12ihipStream_tbEUlT_E_NS1_11comp_targetILNS1_3genE4ELNS1_11target_archE910ELNS1_3gpuE8ELNS1_3repE0EEENS1_52radix_sort_onesweep_histogram_config_static_selectorELNS0_4arch9wavefront6targetE0EEEvSD_,comdat
.Lfunc_end1838:
	.size	_ZN7rocprim17ROCPRIM_400000_NS6detail17trampoline_kernelINS0_14default_configENS1_35radix_sort_onesweep_config_selectorIbNS0_10empty_typeEEEZNS1_34radix_sort_onesweep_global_offsetsIS3_Lb0EPKbPS5_mNS0_19identity_decomposerEEE10hipError_tT1_T2_PT3_SF_jT4_jjP12ihipStream_tbEUlT_E_NS1_11comp_targetILNS1_3genE4ELNS1_11target_archE910ELNS1_3gpuE8ELNS1_3repE0EEENS1_52radix_sort_onesweep_histogram_config_static_selectorELNS0_4arch9wavefront6targetE0EEEvSD_, .Lfunc_end1838-_ZN7rocprim17ROCPRIM_400000_NS6detail17trampoline_kernelINS0_14default_configENS1_35radix_sort_onesweep_config_selectorIbNS0_10empty_typeEEEZNS1_34radix_sort_onesweep_global_offsetsIS3_Lb0EPKbPS5_mNS0_19identity_decomposerEEE10hipError_tT1_T2_PT3_SF_jT4_jjP12ihipStream_tbEUlT_E_NS1_11comp_targetILNS1_3genE4ELNS1_11target_archE910ELNS1_3gpuE8ELNS1_3repE0EEENS1_52radix_sort_onesweep_histogram_config_static_selectorELNS0_4arch9wavefront6targetE0EEEvSD_
                                        ; -- End function
	.set _ZN7rocprim17ROCPRIM_400000_NS6detail17trampoline_kernelINS0_14default_configENS1_35radix_sort_onesweep_config_selectorIbNS0_10empty_typeEEEZNS1_34radix_sort_onesweep_global_offsetsIS3_Lb0EPKbPS5_mNS0_19identity_decomposerEEE10hipError_tT1_T2_PT3_SF_jT4_jjP12ihipStream_tbEUlT_E_NS1_11comp_targetILNS1_3genE4ELNS1_11target_archE910ELNS1_3gpuE8ELNS1_3repE0EEENS1_52radix_sort_onesweep_histogram_config_static_selectorELNS0_4arch9wavefront6targetE0EEEvSD_.num_vgpr, 0
	.set _ZN7rocprim17ROCPRIM_400000_NS6detail17trampoline_kernelINS0_14default_configENS1_35radix_sort_onesweep_config_selectorIbNS0_10empty_typeEEEZNS1_34radix_sort_onesweep_global_offsetsIS3_Lb0EPKbPS5_mNS0_19identity_decomposerEEE10hipError_tT1_T2_PT3_SF_jT4_jjP12ihipStream_tbEUlT_E_NS1_11comp_targetILNS1_3genE4ELNS1_11target_archE910ELNS1_3gpuE8ELNS1_3repE0EEENS1_52radix_sort_onesweep_histogram_config_static_selectorELNS0_4arch9wavefront6targetE0EEEvSD_.num_agpr, 0
	.set _ZN7rocprim17ROCPRIM_400000_NS6detail17trampoline_kernelINS0_14default_configENS1_35radix_sort_onesweep_config_selectorIbNS0_10empty_typeEEEZNS1_34radix_sort_onesweep_global_offsetsIS3_Lb0EPKbPS5_mNS0_19identity_decomposerEEE10hipError_tT1_T2_PT3_SF_jT4_jjP12ihipStream_tbEUlT_E_NS1_11comp_targetILNS1_3genE4ELNS1_11target_archE910ELNS1_3gpuE8ELNS1_3repE0EEENS1_52radix_sort_onesweep_histogram_config_static_selectorELNS0_4arch9wavefront6targetE0EEEvSD_.numbered_sgpr, 0
	.set _ZN7rocprim17ROCPRIM_400000_NS6detail17trampoline_kernelINS0_14default_configENS1_35radix_sort_onesweep_config_selectorIbNS0_10empty_typeEEEZNS1_34radix_sort_onesweep_global_offsetsIS3_Lb0EPKbPS5_mNS0_19identity_decomposerEEE10hipError_tT1_T2_PT3_SF_jT4_jjP12ihipStream_tbEUlT_E_NS1_11comp_targetILNS1_3genE4ELNS1_11target_archE910ELNS1_3gpuE8ELNS1_3repE0EEENS1_52radix_sort_onesweep_histogram_config_static_selectorELNS0_4arch9wavefront6targetE0EEEvSD_.num_named_barrier, 0
	.set _ZN7rocprim17ROCPRIM_400000_NS6detail17trampoline_kernelINS0_14default_configENS1_35radix_sort_onesweep_config_selectorIbNS0_10empty_typeEEEZNS1_34radix_sort_onesweep_global_offsetsIS3_Lb0EPKbPS5_mNS0_19identity_decomposerEEE10hipError_tT1_T2_PT3_SF_jT4_jjP12ihipStream_tbEUlT_E_NS1_11comp_targetILNS1_3genE4ELNS1_11target_archE910ELNS1_3gpuE8ELNS1_3repE0EEENS1_52radix_sort_onesweep_histogram_config_static_selectorELNS0_4arch9wavefront6targetE0EEEvSD_.private_seg_size, 0
	.set _ZN7rocprim17ROCPRIM_400000_NS6detail17trampoline_kernelINS0_14default_configENS1_35radix_sort_onesweep_config_selectorIbNS0_10empty_typeEEEZNS1_34radix_sort_onesweep_global_offsetsIS3_Lb0EPKbPS5_mNS0_19identity_decomposerEEE10hipError_tT1_T2_PT3_SF_jT4_jjP12ihipStream_tbEUlT_E_NS1_11comp_targetILNS1_3genE4ELNS1_11target_archE910ELNS1_3gpuE8ELNS1_3repE0EEENS1_52radix_sort_onesweep_histogram_config_static_selectorELNS0_4arch9wavefront6targetE0EEEvSD_.uses_vcc, 0
	.set _ZN7rocprim17ROCPRIM_400000_NS6detail17trampoline_kernelINS0_14default_configENS1_35radix_sort_onesweep_config_selectorIbNS0_10empty_typeEEEZNS1_34radix_sort_onesweep_global_offsetsIS3_Lb0EPKbPS5_mNS0_19identity_decomposerEEE10hipError_tT1_T2_PT3_SF_jT4_jjP12ihipStream_tbEUlT_E_NS1_11comp_targetILNS1_3genE4ELNS1_11target_archE910ELNS1_3gpuE8ELNS1_3repE0EEENS1_52radix_sort_onesweep_histogram_config_static_selectorELNS0_4arch9wavefront6targetE0EEEvSD_.uses_flat_scratch, 0
	.set _ZN7rocprim17ROCPRIM_400000_NS6detail17trampoline_kernelINS0_14default_configENS1_35radix_sort_onesweep_config_selectorIbNS0_10empty_typeEEEZNS1_34radix_sort_onesweep_global_offsetsIS3_Lb0EPKbPS5_mNS0_19identity_decomposerEEE10hipError_tT1_T2_PT3_SF_jT4_jjP12ihipStream_tbEUlT_E_NS1_11comp_targetILNS1_3genE4ELNS1_11target_archE910ELNS1_3gpuE8ELNS1_3repE0EEENS1_52radix_sort_onesweep_histogram_config_static_selectorELNS0_4arch9wavefront6targetE0EEEvSD_.has_dyn_sized_stack, 0
	.set _ZN7rocprim17ROCPRIM_400000_NS6detail17trampoline_kernelINS0_14default_configENS1_35radix_sort_onesweep_config_selectorIbNS0_10empty_typeEEEZNS1_34radix_sort_onesweep_global_offsetsIS3_Lb0EPKbPS5_mNS0_19identity_decomposerEEE10hipError_tT1_T2_PT3_SF_jT4_jjP12ihipStream_tbEUlT_E_NS1_11comp_targetILNS1_3genE4ELNS1_11target_archE910ELNS1_3gpuE8ELNS1_3repE0EEENS1_52radix_sort_onesweep_histogram_config_static_selectorELNS0_4arch9wavefront6targetE0EEEvSD_.has_recursion, 0
	.set _ZN7rocprim17ROCPRIM_400000_NS6detail17trampoline_kernelINS0_14default_configENS1_35radix_sort_onesweep_config_selectorIbNS0_10empty_typeEEEZNS1_34radix_sort_onesweep_global_offsetsIS3_Lb0EPKbPS5_mNS0_19identity_decomposerEEE10hipError_tT1_T2_PT3_SF_jT4_jjP12ihipStream_tbEUlT_E_NS1_11comp_targetILNS1_3genE4ELNS1_11target_archE910ELNS1_3gpuE8ELNS1_3repE0EEENS1_52radix_sort_onesweep_histogram_config_static_selectorELNS0_4arch9wavefront6targetE0EEEvSD_.has_indirect_call, 0
	.section	.AMDGPU.csdata,"",@progbits
; Kernel info:
; codeLenInByte = 0
; TotalNumSgprs: 0
; NumVgprs: 0
; ScratchSize: 0
; MemoryBound: 0
; FloatMode: 240
; IeeeMode: 1
; LDSByteSize: 0 bytes/workgroup (compile time only)
; SGPRBlocks: 0
; VGPRBlocks: 0
; NumSGPRsForWavesPerEU: 1
; NumVGPRsForWavesPerEU: 1
; NamedBarCnt: 0
; Occupancy: 16
; WaveLimiterHint : 0
; COMPUTE_PGM_RSRC2:SCRATCH_EN: 0
; COMPUTE_PGM_RSRC2:USER_SGPR: 2
; COMPUTE_PGM_RSRC2:TRAP_HANDLER: 0
; COMPUTE_PGM_RSRC2:TGID_X_EN: 1
; COMPUTE_PGM_RSRC2:TGID_Y_EN: 0
; COMPUTE_PGM_RSRC2:TGID_Z_EN: 0
; COMPUTE_PGM_RSRC2:TIDIG_COMP_CNT: 0
	.section	.text._ZN7rocprim17ROCPRIM_400000_NS6detail17trampoline_kernelINS0_14default_configENS1_35radix_sort_onesweep_config_selectorIbNS0_10empty_typeEEEZNS1_34radix_sort_onesweep_global_offsetsIS3_Lb0EPKbPS5_mNS0_19identity_decomposerEEE10hipError_tT1_T2_PT3_SF_jT4_jjP12ihipStream_tbEUlT_E_NS1_11comp_targetILNS1_3genE3ELNS1_11target_archE908ELNS1_3gpuE7ELNS1_3repE0EEENS1_52radix_sort_onesweep_histogram_config_static_selectorELNS0_4arch9wavefront6targetE0EEEvSD_,"axG",@progbits,_ZN7rocprim17ROCPRIM_400000_NS6detail17trampoline_kernelINS0_14default_configENS1_35radix_sort_onesweep_config_selectorIbNS0_10empty_typeEEEZNS1_34radix_sort_onesweep_global_offsetsIS3_Lb0EPKbPS5_mNS0_19identity_decomposerEEE10hipError_tT1_T2_PT3_SF_jT4_jjP12ihipStream_tbEUlT_E_NS1_11comp_targetILNS1_3genE3ELNS1_11target_archE908ELNS1_3gpuE7ELNS1_3repE0EEENS1_52radix_sort_onesweep_histogram_config_static_selectorELNS0_4arch9wavefront6targetE0EEEvSD_,comdat
	.protected	_ZN7rocprim17ROCPRIM_400000_NS6detail17trampoline_kernelINS0_14default_configENS1_35radix_sort_onesweep_config_selectorIbNS0_10empty_typeEEEZNS1_34radix_sort_onesweep_global_offsetsIS3_Lb0EPKbPS5_mNS0_19identity_decomposerEEE10hipError_tT1_T2_PT3_SF_jT4_jjP12ihipStream_tbEUlT_E_NS1_11comp_targetILNS1_3genE3ELNS1_11target_archE908ELNS1_3gpuE7ELNS1_3repE0EEENS1_52radix_sort_onesweep_histogram_config_static_selectorELNS0_4arch9wavefront6targetE0EEEvSD_ ; -- Begin function _ZN7rocprim17ROCPRIM_400000_NS6detail17trampoline_kernelINS0_14default_configENS1_35radix_sort_onesweep_config_selectorIbNS0_10empty_typeEEEZNS1_34radix_sort_onesweep_global_offsetsIS3_Lb0EPKbPS5_mNS0_19identity_decomposerEEE10hipError_tT1_T2_PT3_SF_jT4_jjP12ihipStream_tbEUlT_E_NS1_11comp_targetILNS1_3genE3ELNS1_11target_archE908ELNS1_3gpuE7ELNS1_3repE0EEENS1_52radix_sort_onesweep_histogram_config_static_selectorELNS0_4arch9wavefront6targetE0EEEvSD_
	.globl	_ZN7rocprim17ROCPRIM_400000_NS6detail17trampoline_kernelINS0_14default_configENS1_35radix_sort_onesweep_config_selectorIbNS0_10empty_typeEEEZNS1_34radix_sort_onesweep_global_offsetsIS3_Lb0EPKbPS5_mNS0_19identity_decomposerEEE10hipError_tT1_T2_PT3_SF_jT4_jjP12ihipStream_tbEUlT_E_NS1_11comp_targetILNS1_3genE3ELNS1_11target_archE908ELNS1_3gpuE7ELNS1_3repE0EEENS1_52radix_sort_onesweep_histogram_config_static_selectorELNS0_4arch9wavefront6targetE0EEEvSD_
	.p2align	8
	.type	_ZN7rocprim17ROCPRIM_400000_NS6detail17trampoline_kernelINS0_14default_configENS1_35radix_sort_onesweep_config_selectorIbNS0_10empty_typeEEEZNS1_34radix_sort_onesweep_global_offsetsIS3_Lb0EPKbPS5_mNS0_19identity_decomposerEEE10hipError_tT1_T2_PT3_SF_jT4_jjP12ihipStream_tbEUlT_E_NS1_11comp_targetILNS1_3genE3ELNS1_11target_archE908ELNS1_3gpuE7ELNS1_3repE0EEENS1_52radix_sort_onesweep_histogram_config_static_selectorELNS0_4arch9wavefront6targetE0EEEvSD_,@function
_ZN7rocprim17ROCPRIM_400000_NS6detail17trampoline_kernelINS0_14default_configENS1_35radix_sort_onesweep_config_selectorIbNS0_10empty_typeEEEZNS1_34radix_sort_onesweep_global_offsetsIS3_Lb0EPKbPS5_mNS0_19identity_decomposerEEE10hipError_tT1_T2_PT3_SF_jT4_jjP12ihipStream_tbEUlT_E_NS1_11comp_targetILNS1_3genE3ELNS1_11target_archE908ELNS1_3gpuE7ELNS1_3repE0EEENS1_52radix_sort_onesweep_histogram_config_static_selectorELNS0_4arch9wavefront6targetE0EEEvSD_: ; @_ZN7rocprim17ROCPRIM_400000_NS6detail17trampoline_kernelINS0_14default_configENS1_35radix_sort_onesweep_config_selectorIbNS0_10empty_typeEEEZNS1_34radix_sort_onesweep_global_offsetsIS3_Lb0EPKbPS5_mNS0_19identity_decomposerEEE10hipError_tT1_T2_PT3_SF_jT4_jjP12ihipStream_tbEUlT_E_NS1_11comp_targetILNS1_3genE3ELNS1_11target_archE908ELNS1_3gpuE7ELNS1_3repE0EEENS1_52radix_sort_onesweep_histogram_config_static_selectorELNS0_4arch9wavefront6targetE0EEEvSD_
; %bb.0:
	.section	.rodata,"a",@progbits
	.p2align	6, 0x0
	.amdhsa_kernel _ZN7rocprim17ROCPRIM_400000_NS6detail17trampoline_kernelINS0_14default_configENS1_35radix_sort_onesweep_config_selectorIbNS0_10empty_typeEEEZNS1_34radix_sort_onesweep_global_offsetsIS3_Lb0EPKbPS5_mNS0_19identity_decomposerEEE10hipError_tT1_T2_PT3_SF_jT4_jjP12ihipStream_tbEUlT_E_NS1_11comp_targetILNS1_3genE3ELNS1_11target_archE908ELNS1_3gpuE7ELNS1_3repE0EEENS1_52radix_sort_onesweep_histogram_config_static_selectorELNS0_4arch9wavefront6targetE0EEEvSD_
		.amdhsa_group_segment_fixed_size 0
		.amdhsa_private_segment_fixed_size 0
		.amdhsa_kernarg_size 48
		.amdhsa_user_sgpr_count 2
		.amdhsa_user_sgpr_dispatch_ptr 0
		.amdhsa_user_sgpr_queue_ptr 0
		.amdhsa_user_sgpr_kernarg_segment_ptr 1
		.amdhsa_user_sgpr_dispatch_id 0
		.amdhsa_user_sgpr_kernarg_preload_length 0
		.amdhsa_user_sgpr_kernarg_preload_offset 0
		.amdhsa_user_sgpr_private_segment_size 0
		.amdhsa_wavefront_size32 1
		.amdhsa_uses_dynamic_stack 0
		.amdhsa_enable_private_segment 0
		.amdhsa_system_sgpr_workgroup_id_x 1
		.amdhsa_system_sgpr_workgroup_id_y 0
		.amdhsa_system_sgpr_workgroup_id_z 0
		.amdhsa_system_sgpr_workgroup_info 0
		.amdhsa_system_vgpr_workitem_id 0
		.amdhsa_next_free_vgpr 1
		.amdhsa_next_free_sgpr 1
		.amdhsa_named_barrier_count 0
		.amdhsa_reserve_vcc 0
		.amdhsa_float_round_mode_32 0
		.amdhsa_float_round_mode_16_64 0
		.amdhsa_float_denorm_mode_32 3
		.amdhsa_float_denorm_mode_16_64 3
		.amdhsa_fp16_overflow 0
		.amdhsa_memory_ordered 1
		.amdhsa_forward_progress 1
		.amdhsa_inst_pref_size 0
		.amdhsa_round_robin_scheduling 0
		.amdhsa_exception_fp_ieee_invalid_op 0
		.amdhsa_exception_fp_denorm_src 0
		.amdhsa_exception_fp_ieee_div_zero 0
		.amdhsa_exception_fp_ieee_overflow 0
		.amdhsa_exception_fp_ieee_underflow 0
		.amdhsa_exception_fp_ieee_inexact 0
		.amdhsa_exception_int_div_zero 0
	.end_amdhsa_kernel
	.section	.text._ZN7rocprim17ROCPRIM_400000_NS6detail17trampoline_kernelINS0_14default_configENS1_35radix_sort_onesweep_config_selectorIbNS0_10empty_typeEEEZNS1_34radix_sort_onesweep_global_offsetsIS3_Lb0EPKbPS5_mNS0_19identity_decomposerEEE10hipError_tT1_T2_PT3_SF_jT4_jjP12ihipStream_tbEUlT_E_NS1_11comp_targetILNS1_3genE3ELNS1_11target_archE908ELNS1_3gpuE7ELNS1_3repE0EEENS1_52radix_sort_onesweep_histogram_config_static_selectorELNS0_4arch9wavefront6targetE0EEEvSD_,"axG",@progbits,_ZN7rocprim17ROCPRIM_400000_NS6detail17trampoline_kernelINS0_14default_configENS1_35radix_sort_onesweep_config_selectorIbNS0_10empty_typeEEEZNS1_34radix_sort_onesweep_global_offsetsIS3_Lb0EPKbPS5_mNS0_19identity_decomposerEEE10hipError_tT1_T2_PT3_SF_jT4_jjP12ihipStream_tbEUlT_E_NS1_11comp_targetILNS1_3genE3ELNS1_11target_archE908ELNS1_3gpuE7ELNS1_3repE0EEENS1_52radix_sort_onesweep_histogram_config_static_selectorELNS0_4arch9wavefront6targetE0EEEvSD_,comdat
.Lfunc_end1839:
	.size	_ZN7rocprim17ROCPRIM_400000_NS6detail17trampoline_kernelINS0_14default_configENS1_35radix_sort_onesweep_config_selectorIbNS0_10empty_typeEEEZNS1_34radix_sort_onesweep_global_offsetsIS3_Lb0EPKbPS5_mNS0_19identity_decomposerEEE10hipError_tT1_T2_PT3_SF_jT4_jjP12ihipStream_tbEUlT_E_NS1_11comp_targetILNS1_3genE3ELNS1_11target_archE908ELNS1_3gpuE7ELNS1_3repE0EEENS1_52radix_sort_onesweep_histogram_config_static_selectorELNS0_4arch9wavefront6targetE0EEEvSD_, .Lfunc_end1839-_ZN7rocprim17ROCPRIM_400000_NS6detail17trampoline_kernelINS0_14default_configENS1_35radix_sort_onesweep_config_selectorIbNS0_10empty_typeEEEZNS1_34radix_sort_onesweep_global_offsetsIS3_Lb0EPKbPS5_mNS0_19identity_decomposerEEE10hipError_tT1_T2_PT3_SF_jT4_jjP12ihipStream_tbEUlT_E_NS1_11comp_targetILNS1_3genE3ELNS1_11target_archE908ELNS1_3gpuE7ELNS1_3repE0EEENS1_52radix_sort_onesweep_histogram_config_static_selectorELNS0_4arch9wavefront6targetE0EEEvSD_
                                        ; -- End function
	.set _ZN7rocprim17ROCPRIM_400000_NS6detail17trampoline_kernelINS0_14default_configENS1_35radix_sort_onesweep_config_selectorIbNS0_10empty_typeEEEZNS1_34radix_sort_onesweep_global_offsetsIS3_Lb0EPKbPS5_mNS0_19identity_decomposerEEE10hipError_tT1_T2_PT3_SF_jT4_jjP12ihipStream_tbEUlT_E_NS1_11comp_targetILNS1_3genE3ELNS1_11target_archE908ELNS1_3gpuE7ELNS1_3repE0EEENS1_52radix_sort_onesweep_histogram_config_static_selectorELNS0_4arch9wavefront6targetE0EEEvSD_.num_vgpr, 0
	.set _ZN7rocprim17ROCPRIM_400000_NS6detail17trampoline_kernelINS0_14default_configENS1_35radix_sort_onesweep_config_selectorIbNS0_10empty_typeEEEZNS1_34radix_sort_onesweep_global_offsetsIS3_Lb0EPKbPS5_mNS0_19identity_decomposerEEE10hipError_tT1_T2_PT3_SF_jT4_jjP12ihipStream_tbEUlT_E_NS1_11comp_targetILNS1_3genE3ELNS1_11target_archE908ELNS1_3gpuE7ELNS1_3repE0EEENS1_52radix_sort_onesweep_histogram_config_static_selectorELNS0_4arch9wavefront6targetE0EEEvSD_.num_agpr, 0
	.set _ZN7rocprim17ROCPRIM_400000_NS6detail17trampoline_kernelINS0_14default_configENS1_35radix_sort_onesweep_config_selectorIbNS0_10empty_typeEEEZNS1_34radix_sort_onesweep_global_offsetsIS3_Lb0EPKbPS5_mNS0_19identity_decomposerEEE10hipError_tT1_T2_PT3_SF_jT4_jjP12ihipStream_tbEUlT_E_NS1_11comp_targetILNS1_3genE3ELNS1_11target_archE908ELNS1_3gpuE7ELNS1_3repE0EEENS1_52radix_sort_onesweep_histogram_config_static_selectorELNS0_4arch9wavefront6targetE0EEEvSD_.numbered_sgpr, 0
	.set _ZN7rocprim17ROCPRIM_400000_NS6detail17trampoline_kernelINS0_14default_configENS1_35radix_sort_onesweep_config_selectorIbNS0_10empty_typeEEEZNS1_34radix_sort_onesweep_global_offsetsIS3_Lb0EPKbPS5_mNS0_19identity_decomposerEEE10hipError_tT1_T2_PT3_SF_jT4_jjP12ihipStream_tbEUlT_E_NS1_11comp_targetILNS1_3genE3ELNS1_11target_archE908ELNS1_3gpuE7ELNS1_3repE0EEENS1_52radix_sort_onesweep_histogram_config_static_selectorELNS0_4arch9wavefront6targetE0EEEvSD_.num_named_barrier, 0
	.set _ZN7rocprim17ROCPRIM_400000_NS6detail17trampoline_kernelINS0_14default_configENS1_35radix_sort_onesweep_config_selectorIbNS0_10empty_typeEEEZNS1_34radix_sort_onesweep_global_offsetsIS3_Lb0EPKbPS5_mNS0_19identity_decomposerEEE10hipError_tT1_T2_PT3_SF_jT4_jjP12ihipStream_tbEUlT_E_NS1_11comp_targetILNS1_3genE3ELNS1_11target_archE908ELNS1_3gpuE7ELNS1_3repE0EEENS1_52radix_sort_onesweep_histogram_config_static_selectorELNS0_4arch9wavefront6targetE0EEEvSD_.private_seg_size, 0
	.set _ZN7rocprim17ROCPRIM_400000_NS6detail17trampoline_kernelINS0_14default_configENS1_35radix_sort_onesweep_config_selectorIbNS0_10empty_typeEEEZNS1_34radix_sort_onesweep_global_offsetsIS3_Lb0EPKbPS5_mNS0_19identity_decomposerEEE10hipError_tT1_T2_PT3_SF_jT4_jjP12ihipStream_tbEUlT_E_NS1_11comp_targetILNS1_3genE3ELNS1_11target_archE908ELNS1_3gpuE7ELNS1_3repE0EEENS1_52radix_sort_onesweep_histogram_config_static_selectorELNS0_4arch9wavefront6targetE0EEEvSD_.uses_vcc, 0
	.set _ZN7rocprim17ROCPRIM_400000_NS6detail17trampoline_kernelINS0_14default_configENS1_35radix_sort_onesweep_config_selectorIbNS0_10empty_typeEEEZNS1_34radix_sort_onesweep_global_offsetsIS3_Lb0EPKbPS5_mNS0_19identity_decomposerEEE10hipError_tT1_T2_PT3_SF_jT4_jjP12ihipStream_tbEUlT_E_NS1_11comp_targetILNS1_3genE3ELNS1_11target_archE908ELNS1_3gpuE7ELNS1_3repE0EEENS1_52radix_sort_onesweep_histogram_config_static_selectorELNS0_4arch9wavefront6targetE0EEEvSD_.uses_flat_scratch, 0
	.set _ZN7rocprim17ROCPRIM_400000_NS6detail17trampoline_kernelINS0_14default_configENS1_35radix_sort_onesweep_config_selectorIbNS0_10empty_typeEEEZNS1_34radix_sort_onesweep_global_offsetsIS3_Lb0EPKbPS5_mNS0_19identity_decomposerEEE10hipError_tT1_T2_PT3_SF_jT4_jjP12ihipStream_tbEUlT_E_NS1_11comp_targetILNS1_3genE3ELNS1_11target_archE908ELNS1_3gpuE7ELNS1_3repE0EEENS1_52radix_sort_onesweep_histogram_config_static_selectorELNS0_4arch9wavefront6targetE0EEEvSD_.has_dyn_sized_stack, 0
	.set _ZN7rocprim17ROCPRIM_400000_NS6detail17trampoline_kernelINS0_14default_configENS1_35radix_sort_onesweep_config_selectorIbNS0_10empty_typeEEEZNS1_34radix_sort_onesweep_global_offsetsIS3_Lb0EPKbPS5_mNS0_19identity_decomposerEEE10hipError_tT1_T2_PT3_SF_jT4_jjP12ihipStream_tbEUlT_E_NS1_11comp_targetILNS1_3genE3ELNS1_11target_archE908ELNS1_3gpuE7ELNS1_3repE0EEENS1_52radix_sort_onesweep_histogram_config_static_selectorELNS0_4arch9wavefront6targetE0EEEvSD_.has_recursion, 0
	.set _ZN7rocprim17ROCPRIM_400000_NS6detail17trampoline_kernelINS0_14default_configENS1_35radix_sort_onesweep_config_selectorIbNS0_10empty_typeEEEZNS1_34radix_sort_onesweep_global_offsetsIS3_Lb0EPKbPS5_mNS0_19identity_decomposerEEE10hipError_tT1_T2_PT3_SF_jT4_jjP12ihipStream_tbEUlT_E_NS1_11comp_targetILNS1_3genE3ELNS1_11target_archE908ELNS1_3gpuE7ELNS1_3repE0EEENS1_52radix_sort_onesweep_histogram_config_static_selectorELNS0_4arch9wavefront6targetE0EEEvSD_.has_indirect_call, 0
	.section	.AMDGPU.csdata,"",@progbits
; Kernel info:
; codeLenInByte = 0
; TotalNumSgprs: 0
; NumVgprs: 0
; ScratchSize: 0
; MemoryBound: 0
; FloatMode: 240
; IeeeMode: 1
; LDSByteSize: 0 bytes/workgroup (compile time only)
; SGPRBlocks: 0
; VGPRBlocks: 0
; NumSGPRsForWavesPerEU: 1
; NumVGPRsForWavesPerEU: 1
; NamedBarCnt: 0
; Occupancy: 16
; WaveLimiterHint : 0
; COMPUTE_PGM_RSRC2:SCRATCH_EN: 0
; COMPUTE_PGM_RSRC2:USER_SGPR: 2
; COMPUTE_PGM_RSRC2:TRAP_HANDLER: 0
; COMPUTE_PGM_RSRC2:TGID_X_EN: 1
; COMPUTE_PGM_RSRC2:TGID_Y_EN: 0
; COMPUTE_PGM_RSRC2:TGID_Z_EN: 0
; COMPUTE_PGM_RSRC2:TIDIG_COMP_CNT: 0
	.section	.text._ZN7rocprim17ROCPRIM_400000_NS6detail17trampoline_kernelINS0_14default_configENS1_35radix_sort_onesweep_config_selectorIbNS0_10empty_typeEEEZNS1_34radix_sort_onesweep_global_offsetsIS3_Lb0EPKbPS5_mNS0_19identity_decomposerEEE10hipError_tT1_T2_PT3_SF_jT4_jjP12ihipStream_tbEUlT_E_NS1_11comp_targetILNS1_3genE10ELNS1_11target_archE1201ELNS1_3gpuE5ELNS1_3repE0EEENS1_52radix_sort_onesweep_histogram_config_static_selectorELNS0_4arch9wavefront6targetE0EEEvSD_,"axG",@progbits,_ZN7rocprim17ROCPRIM_400000_NS6detail17trampoline_kernelINS0_14default_configENS1_35radix_sort_onesweep_config_selectorIbNS0_10empty_typeEEEZNS1_34radix_sort_onesweep_global_offsetsIS3_Lb0EPKbPS5_mNS0_19identity_decomposerEEE10hipError_tT1_T2_PT3_SF_jT4_jjP12ihipStream_tbEUlT_E_NS1_11comp_targetILNS1_3genE10ELNS1_11target_archE1201ELNS1_3gpuE5ELNS1_3repE0EEENS1_52radix_sort_onesweep_histogram_config_static_selectorELNS0_4arch9wavefront6targetE0EEEvSD_,comdat
	.protected	_ZN7rocprim17ROCPRIM_400000_NS6detail17trampoline_kernelINS0_14default_configENS1_35radix_sort_onesweep_config_selectorIbNS0_10empty_typeEEEZNS1_34radix_sort_onesweep_global_offsetsIS3_Lb0EPKbPS5_mNS0_19identity_decomposerEEE10hipError_tT1_T2_PT3_SF_jT4_jjP12ihipStream_tbEUlT_E_NS1_11comp_targetILNS1_3genE10ELNS1_11target_archE1201ELNS1_3gpuE5ELNS1_3repE0EEENS1_52radix_sort_onesweep_histogram_config_static_selectorELNS0_4arch9wavefront6targetE0EEEvSD_ ; -- Begin function _ZN7rocprim17ROCPRIM_400000_NS6detail17trampoline_kernelINS0_14default_configENS1_35radix_sort_onesweep_config_selectorIbNS0_10empty_typeEEEZNS1_34radix_sort_onesweep_global_offsetsIS3_Lb0EPKbPS5_mNS0_19identity_decomposerEEE10hipError_tT1_T2_PT3_SF_jT4_jjP12ihipStream_tbEUlT_E_NS1_11comp_targetILNS1_3genE10ELNS1_11target_archE1201ELNS1_3gpuE5ELNS1_3repE0EEENS1_52radix_sort_onesweep_histogram_config_static_selectorELNS0_4arch9wavefront6targetE0EEEvSD_
	.globl	_ZN7rocprim17ROCPRIM_400000_NS6detail17trampoline_kernelINS0_14default_configENS1_35radix_sort_onesweep_config_selectorIbNS0_10empty_typeEEEZNS1_34radix_sort_onesweep_global_offsetsIS3_Lb0EPKbPS5_mNS0_19identity_decomposerEEE10hipError_tT1_T2_PT3_SF_jT4_jjP12ihipStream_tbEUlT_E_NS1_11comp_targetILNS1_3genE10ELNS1_11target_archE1201ELNS1_3gpuE5ELNS1_3repE0EEENS1_52radix_sort_onesweep_histogram_config_static_selectorELNS0_4arch9wavefront6targetE0EEEvSD_
	.p2align	8
	.type	_ZN7rocprim17ROCPRIM_400000_NS6detail17trampoline_kernelINS0_14default_configENS1_35radix_sort_onesweep_config_selectorIbNS0_10empty_typeEEEZNS1_34radix_sort_onesweep_global_offsetsIS3_Lb0EPKbPS5_mNS0_19identity_decomposerEEE10hipError_tT1_T2_PT3_SF_jT4_jjP12ihipStream_tbEUlT_E_NS1_11comp_targetILNS1_3genE10ELNS1_11target_archE1201ELNS1_3gpuE5ELNS1_3repE0EEENS1_52radix_sort_onesweep_histogram_config_static_selectorELNS0_4arch9wavefront6targetE0EEEvSD_,@function
_ZN7rocprim17ROCPRIM_400000_NS6detail17trampoline_kernelINS0_14default_configENS1_35radix_sort_onesweep_config_selectorIbNS0_10empty_typeEEEZNS1_34radix_sort_onesweep_global_offsetsIS3_Lb0EPKbPS5_mNS0_19identity_decomposerEEE10hipError_tT1_T2_PT3_SF_jT4_jjP12ihipStream_tbEUlT_E_NS1_11comp_targetILNS1_3genE10ELNS1_11target_archE1201ELNS1_3gpuE5ELNS1_3repE0EEENS1_52radix_sort_onesweep_histogram_config_static_selectorELNS0_4arch9wavefront6targetE0EEEvSD_: ; @_ZN7rocprim17ROCPRIM_400000_NS6detail17trampoline_kernelINS0_14default_configENS1_35radix_sort_onesweep_config_selectorIbNS0_10empty_typeEEEZNS1_34radix_sort_onesweep_global_offsetsIS3_Lb0EPKbPS5_mNS0_19identity_decomposerEEE10hipError_tT1_T2_PT3_SF_jT4_jjP12ihipStream_tbEUlT_E_NS1_11comp_targetILNS1_3genE10ELNS1_11target_archE1201ELNS1_3gpuE5ELNS1_3repE0EEENS1_52radix_sort_onesweep_histogram_config_static_selectorELNS0_4arch9wavefront6targetE0EEEvSD_
; %bb.0:
	.section	.rodata,"a",@progbits
	.p2align	6, 0x0
	.amdhsa_kernel _ZN7rocprim17ROCPRIM_400000_NS6detail17trampoline_kernelINS0_14default_configENS1_35radix_sort_onesweep_config_selectorIbNS0_10empty_typeEEEZNS1_34radix_sort_onesweep_global_offsetsIS3_Lb0EPKbPS5_mNS0_19identity_decomposerEEE10hipError_tT1_T2_PT3_SF_jT4_jjP12ihipStream_tbEUlT_E_NS1_11comp_targetILNS1_3genE10ELNS1_11target_archE1201ELNS1_3gpuE5ELNS1_3repE0EEENS1_52radix_sort_onesweep_histogram_config_static_selectorELNS0_4arch9wavefront6targetE0EEEvSD_
		.amdhsa_group_segment_fixed_size 0
		.amdhsa_private_segment_fixed_size 0
		.amdhsa_kernarg_size 48
		.amdhsa_user_sgpr_count 2
		.amdhsa_user_sgpr_dispatch_ptr 0
		.amdhsa_user_sgpr_queue_ptr 0
		.amdhsa_user_sgpr_kernarg_segment_ptr 1
		.amdhsa_user_sgpr_dispatch_id 0
		.amdhsa_user_sgpr_kernarg_preload_length 0
		.amdhsa_user_sgpr_kernarg_preload_offset 0
		.amdhsa_user_sgpr_private_segment_size 0
		.amdhsa_wavefront_size32 1
		.amdhsa_uses_dynamic_stack 0
		.amdhsa_enable_private_segment 0
		.amdhsa_system_sgpr_workgroup_id_x 1
		.amdhsa_system_sgpr_workgroup_id_y 0
		.amdhsa_system_sgpr_workgroup_id_z 0
		.amdhsa_system_sgpr_workgroup_info 0
		.amdhsa_system_vgpr_workitem_id 0
		.amdhsa_next_free_vgpr 1
		.amdhsa_next_free_sgpr 1
		.amdhsa_named_barrier_count 0
		.amdhsa_reserve_vcc 0
		.amdhsa_float_round_mode_32 0
		.amdhsa_float_round_mode_16_64 0
		.amdhsa_float_denorm_mode_32 3
		.amdhsa_float_denorm_mode_16_64 3
		.amdhsa_fp16_overflow 0
		.amdhsa_memory_ordered 1
		.amdhsa_forward_progress 1
		.amdhsa_inst_pref_size 0
		.amdhsa_round_robin_scheduling 0
		.amdhsa_exception_fp_ieee_invalid_op 0
		.amdhsa_exception_fp_denorm_src 0
		.amdhsa_exception_fp_ieee_div_zero 0
		.amdhsa_exception_fp_ieee_overflow 0
		.amdhsa_exception_fp_ieee_underflow 0
		.amdhsa_exception_fp_ieee_inexact 0
		.amdhsa_exception_int_div_zero 0
	.end_amdhsa_kernel
	.section	.text._ZN7rocprim17ROCPRIM_400000_NS6detail17trampoline_kernelINS0_14default_configENS1_35radix_sort_onesweep_config_selectorIbNS0_10empty_typeEEEZNS1_34radix_sort_onesweep_global_offsetsIS3_Lb0EPKbPS5_mNS0_19identity_decomposerEEE10hipError_tT1_T2_PT3_SF_jT4_jjP12ihipStream_tbEUlT_E_NS1_11comp_targetILNS1_3genE10ELNS1_11target_archE1201ELNS1_3gpuE5ELNS1_3repE0EEENS1_52radix_sort_onesweep_histogram_config_static_selectorELNS0_4arch9wavefront6targetE0EEEvSD_,"axG",@progbits,_ZN7rocprim17ROCPRIM_400000_NS6detail17trampoline_kernelINS0_14default_configENS1_35radix_sort_onesweep_config_selectorIbNS0_10empty_typeEEEZNS1_34radix_sort_onesweep_global_offsetsIS3_Lb0EPKbPS5_mNS0_19identity_decomposerEEE10hipError_tT1_T2_PT3_SF_jT4_jjP12ihipStream_tbEUlT_E_NS1_11comp_targetILNS1_3genE10ELNS1_11target_archE1201ELNS1_3gpuE5ELNS1_3repE0EEENS1_52radix_sort_onesweep_histogram_config_static_selectorELNS0_4arch9wavefront6targetE0EEEvSD_,comdat
.Lfunc_end1840:
	.size	_ZN7rocprim17ROCPRIM_400000_NS6detail17trampoline_kernelINS0_14default_configENS1_35radix_sort_onesweep_config_selectorIbNS0_10empty_typeEEEZNS1_34radix_sort_onesweep_global_offsetsIS3_Lb0EPKbPS5_mNS0_19identity_decomposerEEE10hipError_tT1_T2_PT3_SF_jT4_jjP12ihipStream_tbEUlT_E_NS1_11comp_targetILNS1_3genE10ELNS1_11target_archE1201ELNS1_3gpuE5ELNS1_3repE0EEENS1_52radix_sort_onesweep_histogram_config_static_selectorELNS0_4arch9wavefront6targetE0EEEvSD_, .Lfunc_end1840-_ZN7rocprim17ROCPRIM_400000_NS6detail17trampoline_kernelINS0_14default_configENS1_35radix_sort_onesweep_config_selectorIbNS0_10empty_typeEEEZNS1_34radix_sort_onesweep_global_offsetsIS3_Lb0EPKbPS5_mNS0_19identity_decomposerEEE10hipError_tT1_T2_PT3_SF_jT4_jjP12ihipStream_tbEUlT_E_NS1_11comp_targetILNS1_3genE10ELNS1_11target_archE1201ELNS1_3gpuE5ELNS1_3repE0EEENS1_52radix_sort_onesweep_histogram_config_static_selectorELNS0_4arch9wavefront6targetE0EEEvSD_
                                        ; -- End function
	.set _ZN7rocprim17ROCPRIM_400000_NS6detail17trampoline_kernelINS0_14default_configENS1_35radix_sort_onesweep_config_selectorIbNS0_10empty_typeEEEZNS1_34radix_sort_onesweep_global_offsetsIS3_Lb0EPKbPS5_mNS0_19identity_decomposerEEE10hipError_tT1_T2_PT3_SF_jT4_jjP12ihipStream_tbEUlT_E_NS1_11comp_targetILNS1_3genE10ELNS1_11target_archE1201ELNS1_3gpuE5ELNS1_3repE0EEENS1_52radix_sort_onesweep_histogram_config_static_selectorELNS0_4arch9wavefront6targetE0EEEvSD_.num_vgpr, 0
	.set _ZN7rocprim17ROCPRIM_400000_NS6detail17trampoline_kernelINS0_14default_configENS1_35radix_sort_onesweep_config_selectorIbNS0_10empty_typeEEEZNS1_34radix_sort_onesweep_global_offsetsIS3_Lb0EPKbPS5_mNS0_19identity_decomposerEEE10hipError_tT1_T2_PT3_SF_jT4_jjP12ihipStream_tbEUlT_E_NS1_11comp_targetILNS1_3genE10ELNS1_11target_archE1201ELNS1_3gpuE5ELNS1_3repE0EEENS1_52radix_sort_onesweep_histogram_config_static_selectorELNS0_4arch9wavefront6targetE0EEEvSD_.num_agpr, 0
	.set _ZN7rocprim17ROCPRIM_400000_NS6detail17trampoline_kernelINS0_14default_configENS1_35radix_sort_onesweep_config_selectorIbNS0_10empty_typeEEEZNS1_34radix_sort_onesweep_global_offsetsIS3_Lb0EPKbPS5_mNS0_19identity_decomposerEEE10hipError_tT1_T2_PT3_SF_jT4_jjP12ihipStream_tbEUlT_E_NS1_11comp_targetILNS1_3genE10ELNS1_11target_archE1201ELNS1_3gpuE5ELNS1_3repE0EEENS1_52radix_sort_onesweep_histogram_config_static_selectorELNS0_4arch9wavefront6targetE0EEEvSD_.numbered_sgpr, 0
	.set _ZN7rocprim17ROCPRIM_400000_NS6detail17trampoline_kernelINS0_14default_configENS1_35radix_sort_onesweep_config_selectorIbNS0_10empty_typeEEEZNS1_34radix_sort_onesweep_global_offsetsIS3_Lb0EPKbPS5_mNS0_19identity_decomposerEEE10hipError_tT1_T2_PT3_SF_jT4_jjP12ihipStream_tbEUlT_E_NS1_11comp_targetILNS1_3genE10ELNS1_11target_archE1201ELNS1_3gpuE5ELNS1_3repE0EEENS1_52radix_sort_onesweep_histogram_config_static_selectorELNS0_4arch9wavefront6targetE0EEEvSD_.num_named_barrier, 0
	.set _ZN7rocprim17ROCPRIM_400000_NS6detail17trampoline_kernelINS0_14default_configENS1_35radix_sort_onesweep_config_selectorIbNS0_10empty_typeEEEZNS1_34radix_sort_onesweep_global_offsetsIS3_Lb0EPKbPS5_mNS0_19identity_decomposerEEE10hipError_tT1_T2_PT3_SF_jT4_jjP12ihipStream_tbEUlT_E_NS1_11comp_targetILNS1_3genE10ELNS1_11target_archE1201ELNS1_3gpuE5ELNS1_3repE0EEENS1_52radix_sort_onesweep_histogram_config_static_selectorELNS0_4arch9wavefront6targetE0EEEvSD_.private_seg_size, 0
	.set _ZN7rocprim17ROCPRIM_400000_NS6detail17trampoline_kernelINS0_14default_configENS1_35radix_sort_onesweep_config_selectorIbNS0_10empty_typeEEEZNS1_34radix_sort_onesweep_global_offsetsIS3_Lb0EPKbPS5_mNS0_19identity_decomposerEEE10hipError_tT1_T2_PT3_SF_jT4_jjP12ihipStream_tbEUlT_E_NS1_11comp_targetILNS1_3genE10ELNS1_11target_archE1201ELNS1_3gpuE5ELNS1_3repE0EEENS1_52radix_sort_onesweep_histogram_config_static_selectorELNS0_4arch9wavefront6targetE0EEEvSD_.uses_vcc, 0
	.set _ZN7rocprim17ROCPRIM_400000_NS6detail17trampoline_kernelINS0_14default_configENS1_35radix_sort_onesweep_config_selectorIbNS0_10empty_typeEEEZNS1_34radix_sort_onesweep_global_offsetsIS3_Lb0EPKbPS5_mNS0_19identity_decomposerEEE10hipError_tT1_T2_PT3_SF_jT4_jjP12ihipStream_tbEUlT_E_NS1_11comp_targetILNS1_3genE10ELNS1_11target_archE1201ELNS1_3gpuE5ELNS1_3repE0EEENS1_52radix_sort_onesweep_histogram_config_static_selectorELNS0_4arch9wavefront6targetE0EEEvSD_.uses_flat_scratch, 0
	.set _ZN7rocprim17ROCPRIM_400000_NS6detail17trampoline_kernelINS0_14default_configENS1_35radix_sort_onesweep_config_selectorIbNS0_10empty_typeEEEZNS1_34radix_sort_onesweep_global_offsetsIS3_Lb0EPKbPS5_mNS0_19identity_decomposerEEE10hipError_tT1_T2_PT3_SF_jT4_jjP12ihipStream_tbEUlT_E_NS1_11comp_targetILNS1_3genE10ELNS1_11target_archE1201ELNS1_3gpuE5ELNS1_3repE0EEENS1_52radix_sort_onesweep_histogram_config_static_selectorELNS0_4arch9wavefront6targetE0EEEvSD_.has_dyn_sized_stack, 0
	.set _ZN7rocprim17ROCPRIM_400000_NS6detail17trampoline_kernelINS0_14default_configENS1_35radix_sort_onesweep_config_selectorIbNS0_10empty_typeEEEZNS1_34radix_sort_onesweep_global_offsetsIS3_Lb0EPKbPS5_mNS0_19identity_decomposerEEE10hipError_tT1_T2_PT3_SF_jT4_jjP12ihipStream_tbEUlT_E_NS1_11comp_targetILNS1_3genE10ELNS1_11target_archE1201ELNS1_3gpuE5ELNS1_3repE0EEENS1_52radix_sort_onesweep_histogram_config_static_selectorELNS0_4arch9wavefront6targetE0EEEvSD_.has_recursion, 0
	.set _ZN7rocprim17ROCPRIM_400000_NS6detail17trampoline_kernelINS0_14default_configENS1_35radix_sort_onesweep_config_selectorIbNS0_10empty_typeEEEZNS1_34radix_sort_onesweep_global_offsetsIS3_Lb0EPKbPS5_mNS0_19identity_decomposerEEE10hipError_tT1_T2_PT3_SF_jT4_jjP12ihipStream_tbEUlT_E_NS1_11comp_targetILNS1_3genE10ELNS1_11target_archE1201ELNS1_3gpuE5ELNS1_3repE0EEENS1_52radix_sort_onesweep_histogram_config_static_selectorELNS0_4arch9wavefront6targetE0EEEvSD_.has_indirect_call, 0
	.section	.AMDGPU.csdata,"",@progbits
; Kernel info:
; codeLenInByte = 0
; TotalNumSgprs: 0
; NumVgprs: 0
; ScratchSize: 0
; MemoryBound: 0
; FloatMode: 240
; IeeeMode: 1
; LDSByteSize: 0 bytes/workgroup (compile time only)
; SGPRBlocks: 0
; VGPRBlocks: 0
; NumSGPRsForWavesPerEU: 1
; NumVGPRsForWavesPerEU: 1
; NamedBarCnt: 0
; Occupancy: 16
; WaveLimiterHint : 0
; COMPUTE_PGM_RSRC2:SCRATCH_EN: 0
; COMPUTE_PGM_RSRC2:USER_SGPR: 2
; COMPUTE_PGM_RSRC2:TRAP_HANDLER: 0
; COMPUTE_PGM_RSRC2:TGID_X_EN: 1
; COMPUTE_PGM_RSRC2:TGID_Y_EN: 0
; COMPUTE_PGM_RSRC2:TGID_Z_EN: 0
; COMPUTE_PGM_RSRC2:TIDIG_COMP_CNT: 0
	.section	.text._ZN7rocprim17ROCPRIM_400000_NS6detail17trampoline_kernelINS0_14default_configENS1_35radix_sort_onesweep_config_selectorIbNS0_10empty_typeEEEZNS1_34radix_sort_onesweep_global_offsetsIS3_Lb0EPKbPS5_mNS0_19identity_decomposerEEE10hipError_tT1_T2_PT3_SF_jT4_jjP12ihipStream_tbEUlT_E_NS1_11comp_targetILNS1_3genE9ELNS1_11target_archE1100ELNS1_3gpuE3ELNS1_3repE0EEENS1_52radix_sort_onesweep_histogram_config_static_selectorELNS0_4arch9wavefront6targetE0EEEvSD_,"axG",@progbits,_ZN7rocprim17ROCPRIM_400000_NS6detail17trampoline_kernelINS0_14default_configENS1_35radix_sort_onesweep_config_selectorIbNS0_10empty_typeEEEZNS1_34radix_sort_onesweep_global_offsetsIS3_Lb0EPKbPS5_mNS0_19identity_decomposerEEE10hipError_tT1_T2_PT3_SF_jT4_jjP12ihipStream_tbEUlT_E_NS1_11comp_targetILNS1_3genE9ELNS1_11target_archE1100ELNS1_3gpuE3ELNS1_3repE0EEENS1_52radix_sort_onesweep_histogram_config_static_selectorELNS0_4arch9wavefront6targetE0EEEvSD_,comdat
	.protected	_ZN7rocprim17ROCPRIM_400000_NS6detail17trampoline_kernelINS0_14default_configENS1_35radix_sort_onesweep_config_selectorIbNS0_10empty_typeEEEZNS1_34radix_sort_onesweep_global_offsetsIS3_Lb0EPKbPS5_mNS0_19identity_decomposerEEE10hipError_tT1_T2_PT3_SF_jT4_jjP12ihipStream_tbEUlT_E_NS1_11comp_targetILNS1_3genE9ELNS1_11target_archE1100ELNS1_3gpuE3ELNS1_3repE0EEENS1_52radix_sort_onesweep_histogram_config_static_selectorELNS0_4arch9wavefront6targetE0EEEvSD_ ; -- Begin function _ZN7rocprim17ROCPRIM_400000_NS6detail17trampoline_kernelINS0_14default_configENS1_35radix_sort_onesweep_config_selectorIbNS0_10empty_typeEEEZNS1_34radix_sort_onesweep_global_offsetsIS3_Lb0EPKbPS5_mNS0_19identity_decomposerEEE10hipError_tT1_T2_PT3_SF_jT4_jjP12ihipStream_tbEUlT_E_NS1_11comp_targetILNS1_3genE9ELNS1_11target_archE1100ELNS1_3gpuE3ELNS1_3repE0EEENS1_52radix_sort_onesweep_histogram_config_static_selectorELNS0_4arch9wavefront6targetE0EEEvSD_
	.globl	_ZN7rocprim17ROCPRIM_400000_NS6detail17trampoline_kernelINS0_14default_configENS1_35radix_sort_onesweep_config_selectorIbNS0_10empty_typeEEEZNS1_34radix_sort_onesweep_global_offsetsIS3_Lb0EPKbPS5_mNS0_19identity_decomposerEEE10hipError_tT1_T2_PT3_SF_jT4_jjP12ihipStream_tbEUlT_E_NS1_11comp_targetILNS1_3genE9ELNS1_11target_archE1100ELNS1_3gpuE3ELNS1_3repE0EEENS1_52radix_sort_onesweep_histogram_config_static_selectorELNS0_4arch9wavefront6targetE0EEEvSD_
	.p2align	8
	.type	_ZN7rocprim17ROCPRIM_400000_NS6detail17trampoline_kernelINS0_14default_configENS1_35radix_sort_onesweep_config_selectorIbNS0_10empty_typeEEEZNS1_34radix_sort_onesweep_global_offsetsIS3_Lb0EPKbPS5_mNS0_19identity_decomposerEEE10hipError_tT1_T2_PT3_SF_jT4_jjP12ihipStream_tbEUlT_E_NS1_11comp_targetILNS1_3genE9ELNS1_11target_archE1100ELNS1_3gpuE3ELNS1_3repE0EEENS1_52radix_sort_onesweep_histogram_config_static_selectorELNS0_4arch9wavefront6targetE0EEEvSD_,@function
_ZN7rocprim17ROCPRIM_400000_NS6detail17trampoline_kernelINS0_14default_configENS1_35radix_sort_onesweep_config_selectorIbNS0_10empty_typeEEEZNS1_34radix_sort_onesweep_global_offsetsIS3_Lb0EPKbPS5_mNS0_19identity_decomposerEEE10hipError_tT1_T2_PT3_SF_jT4_jjP12ihipStream_tbEUlT_E_NS1_11comp_targetILNS1_3genE9ELNS1_11target_archE1100ELNS1_3gpuE3ELNS1_3repE0EEENS1_52radix_sort_onesweep_histogram_config_static_selectorELNS0_4arch9wavefront6targetE0EEEvSD_: ; @_ZN7rocprim17ROCPRIM_400000_NS6detail17trampoline_kernelINS0_14default_configENS1_35radix_sort_onesweep_config_selectorIbNS0_10empty_typeEEEZNS1_34radix_sort_onesweep_global_offsetsIS3_Lb0EPKbPS5_mNS0_19identity_decomposerEEE10hipError_tT1_T2_PT3_SF_jT4_jjP12ihipStream_tbEUlT_E_NS1_11comp_targetILNS1_3genE9ELNS1_11target_archE1100ELNS1_3gpuE3ELNS1_3repE0EEENS1_52radix_sort_onesweep_histogram_config_static_selectorELNS0_4arch9wavefront6targetE0EEEvSD_
; %bb.0:
	.section	.rodata,"a",@progbits
	.p2align	6, 0x0
	.amdhsa_kernel _ZN7rocprim17ROCPRIM_400000_NS6detail17trampoline_kernelINS0_14default_configENS1_35radix_sort_onesweep_config_selectorIbNS0_10empty_typeEEEZNS1_34radix_sort_onesweep_global_offsetsIS3_Lb0EPKbPS5_mNS0_19identity_decomposerEEE10hipError_tT1_T2_PT3_SF_jT4_jjP12ihipStream_tbEUlT_E_NS1_11comp_targetILNS1_3genE9ELNS1_11target_archE1100ELNS1_3gpuE3ELNS1_3repE0EEENS1_52radix_sort_onesweep_histogram_config_static_selectorELNS0_4arch9wavefront6targetE0EEEvSD_
		.amdhsa_group_segment_fixed_size 0
		.amdhsa_private_segment_fixed_size 0
		.amdhsa_kernarg_size 48
		.amdhsa_user_sgpr_count 2
		.amdhsa_user_sgpr_dispatch_ptr 0
		.amdhsa_user_sgpr_queue_ptr 0
		.amdhsa_user_sgpr_kernarg_segment_ptr 1
		.amdhsa_user_sgpr_dispatch_id 0
		.amdhsa_user_sgpr_kernarg_preload_length 0
		.amdhsa_user_sgpr_kernarg_preload_offset 0
		.amdhsa_user_sgpr_private_segment_size 0
		.amdhsa_wavefront_size32 1
		.amdhsa_uses_dynamic_stack 0
		.amdhsa_enable_private_segment 0
		.amdhsa_system_sgpr_workgroup_id_x 1
		.amdhsa_system_sgpr_workgroup_id_y 0
		.amdhsa_system_sgpr_workgroup_id_z 0
		.amdhsa_system_sgpr_workgroup_info 0
		.amdhsa_system_vgpr_workitem_id 0
		.amdhsa_next_free_vgpr 1
		.amdhsa_next_free_sgpr 1
		.amdhsa_named_barrier_count 0
		.amdhsa_reserve_vcc 0
		.amdhsa_float_round_mode_32 0
		.amdhsa_float_round_mode_16_64 0
		.amdhsa_float_denorm_mode_32 3
		.amdhsa_float_denorm_mode_16_64 3
		.amdhsa_fp16_overflow 0
		.amdhsa_memory_ordered 1
		.amdhsa_forward_progress 1
		.amdhsa_inst_pref_size 0
		.amdhsa_round_robin_scheduling 0
		.amdhsa_exception_fp_ieee_invalid_op 0
		.amdhsa_exception_fp_denorm_src 0
		.amdhsa_exception_fp_ieee_div_zero 0
		.amdhsa_exception_fp_ieee_overflow 0
		.amdhsa_exception_fp_ieee_underflow 0
		.amdhsa_exception_fp_ieee_inexact 0
		.amdhsa_exception_int_div_zero 0
	.end_amdhsa_kernel
	.section	.text._ZN7rocprim17ROCPRIM_400000_NS6detail17trampoline_kernelINS0_14default_configENS1_35radix_sort_onesweep_config_selectorIbNS0_10empty_typeEEEZNS1_34radix_sort_onesweep_global_offsetsIS3_Lb0EPKbPS5_mNS0_19identity_decomposerEEE10hipError_tT1_T2_PT3_SF_jT4_jjP12ihipStream_tbEUlT_E_NS1_11comp_targetILNS1_3genE9ELNS1_11target_archE1100ELNS1_3gpuE3ELNS1_3repE0EEENS1_52radix_sort_onesweep_histogram_config_static_selectorELNS0_4arch9wavefront6targetE0EEEvSD_,"axG",@progbits,_ZN7rocprim17ROCPRIM_400000_NS6detail17trampoline_kernelINS0_14default_configENS1_35radix_sort_onesweep_config_selectorIbNS0_10empty_typeEEEZNS1_34radix_sort_onesweep_global_offsetsIS3_Lb0EPKbPS5_mNS0_19identity_decomposerEEE10hipError_tT1_T2_PT3_SF_jT4_jjP12ihipStream_tbEUlT_E_NS1_11comp_targetILNS1_3genE9ELNS1_11target_archE1100ELNS1_3gpuE3ELNS1_3repE0EEENS1_52radix_sort_onesweep_histogram_config_static_selectorELNS0_4arch9wavefront6targetE0EEEvSD_,comdat
.Lfunc_end1841:
	.size	_ZN7rocprim17ROCPRIM_400000_NS6detail17trampoline_kernelINS0_14default_configENS1_35radix_sort_onesweep_config_selectorIbNS0_10empty_typeEEEZNS1_34radix_sort_onesweep_global_offsetsIS3_Lb0EPKbPS5_mNS0_19identity_decomposerEEE10hipError_tT1_T2_PT3_SF_jT4_jjP12ihipStream_tbEUlT_E_NS1_11comp_targetILNS1_3genE9ELNS1_11target_archE1100ELNS1_3gpuE3ELNS1_3repE0EEENS1_52radix_sort_onesweep_histogram_config_static_selectorELNS0_4arch9wavefront6targetE0EEEvSD_, .Lfunc_end1841-_ZN7rocprim17ROCPRIM_400000_NS6detail17trampoline_kernelINS0_14default_configENS1_35radix_sort_onesweep_config_selectorIbNS0_10empty_typeEEEZNS1_34radix_sort_onesweep_global_offsetsIS3_Lb0EPKbPS5_mNS0_19identity_decomposerEEE10hipError_tT1_T2_PT3_SF_jT4_jjP12ihipStream_tbEUlT_E_NS1_11comp_targetILNS1_3genE9ELNS1_11target_archE1100ELNS1_3gpuE3ELNS1_3repE0EEENS1_52radix_sort_onesweep_histogram_config_static_selectorELNS0_4arch9wavefront6targetE0EEEvSD_
                                        ; -- End function
	.set _ZN7rocprim17ROCPRIM_400000_NS6detail17trampoline_kernelINS0_14default_configENS1_35radix_sort_onesweep_config_selectorIbNS0_10empty_typeEEEZNS1_34radix_sort_onesweep_global_offsetsIS3_Lb0EPKbPS5_mNS0_19identity_decomposerEEE10hipError_tT1_T2_PT3_SF_jT4_jjP12ihipStream_tbEUlT_E_NS1_11comp_targetILNS1_3genE9ELNS1_11target_archE1100ELNS1_3gpuE3ELNS1_3repE0EEENS1_52radix_sort_onesweep_histogram_config_static_selectorELNS0_4arch9wavefront6targetE0EEEvSD_.num_vgpr, 0
	.set _ZN7rocprim17ROCPRIM_400000_NS6detail17trampoline_kernelINS0_14default_configENS1_35radix_sort_onesweep_config_selectorIbNS0_10empty_typeEEEZNS1_34radix_sort_onesweep_global_offsetsIS3_Lb0EPKbPS5_mNS0_19identity_decomposerEEE10hipError_tT1_T2_PT3_SF_jT4_jjP12ihipStream_tbEUlT_E_NS1_11comp_targetILNS1_3genE9ELNS1_11target_archE1100ELNS1_3gpuE3ELNS1_3repE0EEENS1_52radix_sort_onesweep_histogram_config_static_selectorELNS0_4arch9wavefront6targetE0EEEvSD_.num_agpr, 0
	.set _ZN7rocprim17ROCPRIM_400000_NS6detail17trampoline_kernelINS0_14default_configENS1_35radix_sort_onesweep_config_selectorIbNS0_10empty_typeEEEZNS1_34radix_sort_onesweep_global_offsetsIS3_Lb0EPKbPS5_mNS0_19identity_decomposerEEE10hipError_tT1_T2_PT3_SF_jT4_jjP12ihipStream_tbEUlT_E_NS1_11comp_targetILNS1_3genE9ELNS1_11target_archE1100ELNS1_3gpuE3ELNS1_3repE0EEENS1_52radix_sort_onesweep_histogram_config_static_selectorELNS0_4arch9wavefront6targetE0EEEvSD_.numbered_sgpr, 0
	.set _ZN7rocprim17ROCPRIM_400000_NS6detail17trampoline_kernelINS0_14default_configENS1_35radix_sort_onesweep_config_selectorIbNS0_10empty_typeEEEZNS1_34radix_sort_onesweep_global_offsetsIS3_Lb0EPKbPS5_mNS0_19identity_decomposerEEE10hipError_tT1_T2_PT3_SF_jT4_jjP12ihipStream_tbEUlT_E_NS1_11comp_targetILNS1_3genE9ELNS1_11target_archE1100ELNS1_3gpuE3ELNS1_3repE0EEENS1_52radix_sort_onesweep_histogram_config_static_selectorELNS0_4arch9wavefront6targetE0EEEvSD_.num_named_barrier, 0
	.set _ZN7rocprim17ROCPRIM_400000_NS6detail17trampoline_kernelINS0_14default_configENS1_35radix_sort_onesweep_config_selectorIbNS0_10empty_typeEEEZNS1_34radix_sort_onesweep_global_offsetsIS3_Lb0EPKbPS5_mNS0_19identity_decomposerEEE10hipError_tT1_T2_PT3_SF_jT4_jjP12ihipStream_tbEUlT_E_NS1_11comp_targetILNS1_3genE9ELNS1_11target_archE1100ELNS1_3gpuE3ELNS1_3repE0EEENS1_52radix_sort_onesweep_histogram_config_static_selectorELNS0_4arch9wavefront6targetE0EEEvSD_.private_seg_size, 0
	.set _ZN7rocprim17ROCPRIM_400000_NS6detail17trampoline_kernelINS0_14default_configENS1_35radix_sort_onesweep_config_selectorIbNS0_10empty_typeEEEZNS1_34radix_sort_onesweep_global_offsetsIS3_Lb0EPKbPS5_mNS0_19identity_decomposerEEE10hipError_tT1_T2_PT3_SF_jT4_jjP12ihipStream_tbEUlT_E_NS1_11comp_targetILNS1_3genE9ELNS1_11target_archE1100ELNS1_3gpuE3ELNS1_3repE0EEENS1_52radix_sort_onesweep_histogram_config_static_selectorELNS0_4arch9wavefront6targetE0EEEvSD_.uses_vcc, 0
	.set _ZN7rocprim17ROCPRIM_400000_NS6detail17trampoline_kernelINS0_14default_configENS1_35radix_sort_onesweep_config_selectorIbNS0_10empty_typeEEEZNS1_34radix_sort_onesweep_global_offsetsIS3_Lb0EPKbPS5_mNS0_19identity_decomposerEEE10hipError_tT1_T2_PT3_SF_jT4_jjP12ihipStream_tbEUlT_E_NS1_11comp_targetILNS1_3genE9ELNS1_11target_archE1100ELNS1_3gpuE3ELNS1_3repE0EEENS1_52radix_sort_onesweep_histogram_config_static_selectorELNS0_4arch9wavefront6targetE0EEEvSD_.uses_flat_scratch, 0
	.set _ZN7rocprim17ROCPRIM_400000_NS6detail17trampoline_kernelINS0_14default_configENS1_35radix_sort_onesweep_config_selectorIbNS0_10empty_typeEEEZNS1_34radix_sort_onesweep_global_offsetsIS3_Lb0EPKbPS5_mNS0_19identity_decomposerEEE10hipError_tT1_T2_PT3_SF_jT4_jjP12ihipStream_tbEUlT_E_NS1_11comp_targetILNS1_3genE9ELNS1_11target_archE1100ELNS1_3gpuE3ELNS1_3repE0EEENS1_52radix_sort_onesweep_histogram_config_static_selectorELNS0_4arch9wavefront6targetE0EEEvSD_.has_dyn_sized_stack, 0
	.set _ZN7rocprim17ROCPRIM_400000_NS6detail17trampoline_kernelINS0_14default_configENS1_35radix_sort_onesweep_config_selectorIbNS0_10empty_typeEEEZNS1_34radix_sort_onesweep_global_offsetsIS3_Lb0EPKbPS5_mNS0_19identity_decomposerEEE10hipError_tT1_T2_PT3_SF_jT4_jjP12ihipStream_tbEUlT_E_NS1_11comp_targetILNS1_3genE9ELNS1_11target_archE1100ELNS1_3gpuE3ELNS1_3repE0EEENS1_52radix_sort_onesweep_histogram_config_static_selectorELNS0_4arch9wavefront6targetE0EEEvSD_.has_recursion, 0
	.set _ZN7rocprim17ROCPRIM_400000_NS6detail17trampoline_kernelINS0_14default_configENS1_35radix_sort_onesweep_config_selectorIbNS0_10empty_typeEEEZNS1_34radix_sort_onesweep_global_offsetsIS3_Lb0EPKbPS5_mNS0_19identity_decomposerEEE10hipError_tT1_T2_PT3_SF_jT4_jjP12ihipStream_tbEUlT_E_NS1_11comp_targetILNS1_3genE9ELNS1_11target_archE1100ELNS1_3gpuE3ELNS1_3repE0EEENS1_52radix_sort_onesweep_histogram_config_static_selectorELNS0_4arch9wavefront6targetE0EEEvSD_.has_indirect_call, 0
	.section	.AMDGPU.csdata,"",@progbits
; Kernel info:
; codeLenInByte = 0
; TotalNumSgprs: 0
; NumVgprs: 0
; ScratchSize: 0
; MemoryBound: 0
; FloatMode: 240
; IeeeMode: 1
; LDSByteSize: 0 bytes/workgroup (compile time only)
; SGPRBlocks: 0
; VGPRBlocks: 0
; NumSGPRsForWavesPerEU: 1
; NumVGPRsForWavesPerEU: 1
; NamedBarCnt: 0
; Occupancy: 16
; WaveLimiterHint : 0
; COMPUTE_PGM_RSRC2:SCRATCH_EN: 0
; COMPUTE_PGM_RSRC2:USER_SGPR: 2
; COMPUTE_PGM_RSRC2:TRAP_HANDLER: 0
; COMPUTE_PGM_RSRC2:TGID_X_EN: 1
; COMPUTE_PGM_RSRC2:TGID_Y_EN: 0
; COMPUTE_PGM_RSRC2:TGID_Z_EN: 0
; COMPUTE_PGM_RSRC2:TIDIG_COMP_CNT: 0
	.section	.text._ZN7rocprim17ROCPRIM_400000_NS6detail17trampoline_kernelINS0_14default_configENS1_35radix_sort_onesweep_config_selectorIbNS0_10empty_typeEEEZNS1_34radix_sort_onesweep_global_offsetsIS3_Lb0EPKbPS5_mNS0_19identity_decomposerEEE10hipError_tT1_T2_PT3_SF_jT4_jjP12ihipStream_tbEUlT_E_NS1_11comp_targetILNS1_3genE8ELNS1_11target_archE1030ELNS1_3gpuE2ELNS1_3repE0EEENS1_52radix_sort_onesweep_histogram_config_static_selectorELNS0_4arch9wavefront6targetE0EEEvSD_,"axG",@progbits,_ZN7rocprim17ROCPRIM_400000_NS6detail17trampoline_kernelINS0_14default_configENS1_35radix_sort_onesweep_config_selectorIbNS0_10empty_typeEEEZNS1_34radix_sort_onesweep_global_offsetsIS3_Lb0EPKbPS5_mNS0_19identity_decomposerEEE10hipError_tT1_T2_PT3_SF_jT4_jjP12ihipStream_tbEUlT_E_NS1_11comp_targetILNS1_3genE8ELNS1_11target_archE1030ELNS1_3gpuE2ELNS1_3repE0EEENS1_52radix_sort_onesweep_histogram_config_static_selectorELNS0_4arch9wavefront6targetE0EEEvSD_,comdat
	.protected	_ZN7rocprim17ROCPRIM_400000_NS6detail17trampoline_kernelINS0_14default_configENS1_35radix_sort_onesweep_config_selectorIbNS0_10empty_typeEEEZNS1_34radix_sort_onesweep_global_offsetsIS3_Lb0EPKbPS5_mNS0_19identity_decomposerEEE10hipError_tT1_T2_PT3_SF_jT4_jjP12ihipStream_tbEUlT_E_NS1_11comp_targetILNS1_3genE8ELNS1_11target_archE1030ELNS1_3gpuE2ELNS1_3repE0EEENS1_52radix_sort_onesweep_histogram_config_static_selectorELNS0_4arch9wavefront6targetE0EEEvSD_ ; -- Begin function _ZN7rocprim17ROCPRIM_400000_NS6detail17trampoline_kernelINS0_14default_configENS1_35radix_sort_onesweep_config_selectorIbNS0_10empty_typeEEEZNS1_34radix_sort_onesweep_global_offsetsIS3_Lb0EPKbPS5_mNS0_19identity_decomposerEEE10hipError_tT1_T2_PT3_SF_jT4_jjP12ihipStream_tbEUlT_E_NS1_11comp_targetILNS1_3genE8ELNS1_11target_archE1030ELNS1_3gpuE2ELNS1_3repE0EEENS1_52radix_sort_onesweep_histogram_config_static_selectorELNS0_4arch9wavefront6targetE0EEEvSD_
	.globl	_ZN7rocprim17ROCPRIM_400000_NS6detail17trampoline_kernelINS0_14default_configENS1_35radix_sort_onesweep_config_selectorIbNS0_10empty_typeEEEZNS1_34radix_sort_onesweep_global_offsetsIS3_Lb0EPKbPS5_mNS0_19identity_decomposerEEE10hipError_tT1_T2_PT3_SF_jT4_jjP12ihipStream_tbEUlT_E_NS1_11comp_targetILNS1_3genE8ELNS1_11target_archE1030ELNS1_3gpuE2ELNS1_3repE0EEENS1_52radix_sort_onesweep_histogram_config_static_selectorELNS0_4arch9wavefront6targetE0EEEvSD_
	.p2align	8
	.type	_ZN7rocprim17ROCPRIM_400000_NS6detail17trampoline_kernelINS0_14default_configENS1_35radix_sort_onesweep_config_selectorIbNS0_10empty_typeEEEZNS1_34radix_sort_onesweep_global_offsetsIS3_Lb0EPKbPS5_mNS0_19identity_decomposerEEE10hipError_tT1_T2_PT3_SF_jT4_jjP12ihipStream_tbEUlT_E_NS1_11comp_targetILNS1_3genE8ELNS1_11target_archE1030ELNS1_3gpuE2ELNS1_3repE0EEENS1_52radix_sort_onesweep_histogram_config_static_selectorELNS0_4arch9wavefront6targetE0EEEvSD_,@function
_ZN7rocprim17ROCPRIM_400000_NS6detail17trampoline_kernelINS0_14default_configENS1_35radix_sort_onesweep_config_selectorIbNS0_10empty_typeEEEZNS1_34radix_sort_onesweep_global_offsetsIS3_Lb0EPKbPS5_mNS0_19identity_decomposerEEE10hipError_tT1_T2_PT3_SF_jT4_jjP12ihipStream_tbEUlT_E_NS1_11comp_targetILNS1_3genE8ELNS1_11target_archE1030ELNS1_3gpuE2ELNS1_3repE0EEENS1_52radix_sort_onesweep_histogram_config_static_selectorELNS0_4arch9wavefront6targetE0EEEvSD_: ; @_ZN7rocprim17ROCPRIM_400000_NS6detail17trampoline_kernelINS0_14default_configENS1_35radix_sort_onesweep_config_selectorIbNS0_10empty_typeEEEZNS1_34radix_sort_onesweep_global_offsetsIS3_Lb0EPKbPS5_mNS0_19identity_decomposerEEE10hipError_tT1_T2_PT3_SF_jT4_jjP12ihipStream_tbEUlT_E_NS1_11comp_targetILNS1_3genE8ELNS1_11target_archE1030ELNS1_3gpuE2ELNS1_3repE0EEENS1_52radix_sort_onesweep_histogram_config_static_selectorELNS0_4arch9wavefront6targetE0EEEvSD_
; %bb.0:
	.section	.rodata,"a",@progbits
	.p2align	6, 0x0
	.amdhsa_kernel _ZN7rocprim17ROCPRIM_400000_NS6detail17trampoline_kernelINS0_14default_configENS1_35radix_sort_onesweep_config_selectorIbNS0_10empty_typeEEEZNS1_34radix_sort_onesweep_global_offsetsIS3_Lb0EPKbPS5_mNS0_19identity_decomposerEEE10hipError_tT1_T2_PT3_SF_jT4_jjP12ihipStream_tbEUlT_E_NS1_11comp_targetILNS1_3genE8ELNS1_11target_archE1030ELNS1_3gpuE2ELNS1_3repE0EEENS1_52radix_sort_onesweep_histogram_config_static_selectorELNS0_4arch9wavefront6targetE0EEEvSD_
		.amdhsa_group_segment_fixed_size 0
		.amdhsa_private_segment_fixed_size 0
		.amdhsa_kernarg_size 48
		.amdhsa_user_sgpr_count 2
		.amdhsa_user_sgpr_dispatch_ptr 0
		.amdhsa_user_sgpr_queue_ptr 0
		.amdhsa_user_sgpr_kernarg_segment_ptr 1
		.amdhsa_user_sgpr_dispatch_id 0
		.amdhsa_user_sgpr_kernarg_preload_length 0
		.amdhsa_user_sgpr_kernarg_preload_offset 0
		.amdhsa_user_sgpr_private_segment_size 0
		.amdhsa_wavefront_size32 1
		.amdhsa_uses_dynamic_stack 0
		.amdhsa_enable_private_segment 0
		.amdhsa_system_sgpr_workgroup_id_x 1
		.amdhsa_system_sgpr_workgroup_id_y 0
		.amdhsa_system_sgpr_workgroup_id_z 0
		.amdhsa_system_sgpr_workgroup_info 0
		.amdhsa_system_vgpr_workitem_id 0
		.amdhsa_next_free_vgpr 1
		.amdhsa_next_free_sgpr 1
		.amdhsa_named_barrier_count 0
		.amdhsa_reserve_vcc 0
		.amdhsa_float_round_mode_32 0
		.amdhsa_float_round_mode_16_64 0
		.amdhsa_float_denorm_mode_32 3
		.amdhsa_float_denorm_mode_16_64 3
		.amdhsa_fp16_overflow 0
		.amdhsa_memory_ordered 1
		.amdhsa_forward_progress 1
		.amdhsa_inst_pref_size 0
		.amdhsa_round_robin_scheduling 0
		.amdhsa_exception_fp_ieee_invalid_op 0
		.amdhsa_exception_fp_denorm_src 0
		.amdhsa_exception_fp_ieee_div_zero 0
		.amdhsa_exception_fp_ieee_overflow 0
		.amdhsa_exception_fp_ieee_underflow 0
		.amdhsa_exception_fp_ieee_inexact 0
		.amdhsa_exception_int_div_zero 0
	.end_amdhsa_kernel
	.section	.text._ZN7rocprim17ROCPRIM_400000_NS6detail17trampoline_kernelINS0_14default_configENS1_35radix_sort_onesweep_config_selectorIbNS0_10empty_typeEEEZNS1_34radix_sort_onesweep_global_offsetsIS3_Lb0EPKbPS5_mNS0_19identity_decomposerEEE10hipError_tT1_T2_PT3_SF_jT4_jjP12ihipStream_tbEUlT_E_NS1_11comp_targetILNS1_3genE8ELNS1_11target_archE1030ELNS1_3gpuE2ELNS1_3repE0EEENS1_52radix_sort_onesweep_histogram_config_static_selectorELNS0_4arch9wavefront6targetE0EEEvSD_,"axG",@progbits,_ZN7rocprim17ROCPRIM_400000_NS6detail17trampoline_kernelINS0_14default_configENS1_35radix_sort_onesweep_config_selectorIbNS0_10empty_typeEEEZNS1_34radix_sort_onesweep_global_offsetsIS3_Lb0EPKbPS5_mNS0_19identity_decomposerEEE10hipError_tT1_T2_PT3_SF_jT4_jjP12ihipStream_tbEUlT_E_NS1_11comp_targetILNS1_3genE8ELNS1_11target_archE1030ELNS1_3gpuE2ELNS1_3repE0EEENS1_52radix_sort_onesweep_histogram_config_static_selectorELNS0_4arch9wavefront6targetE0EEEvSD_,comdat
.Lfunc_end1842:
	.size	_ZN7rocprim17ROCPRIM_400000_NS6detail17trampoline_kernelINS0_14default_configENS1_35radix_sort_onesweep_config_selectorIbNS0_10empty_typeEEEZNS1_34radix_sort_onesweep_global_offsetsIS3_Lb0EPKbPS5_mNS0_19identity_decomposerEEE10hipError_tT1_T2_PT3_SF_jT4_jjP12ihipStream_tbEUlT_E_NS1_11comp_targetILNS1_3genE8ELNS1_11target_archE1030ELNS1_3gpuE2ELNS1_3repE0EEENS1_52radix_sort_onesweep_histogram_config_static_selectorELNS0_4arch9wavefront6targetE0EEEvSD_, .Lfunc_end1842-_ZN7rocprim17ROCPRIM_400000_NS6detail17trampoline_kernelINS0_14default_configENS1_35radix_sort_onesweep_config_selectorIbNS0_10empty_typeEEEZNS1_34radix_sort_onesweep_global_offsetsIS3_Lb0EPKbPS5_mNS0_19identity_decomposerEEE10hipError_tT1_T2_PT3_SF_jT4_jjP12ihipStream_tbEUlT_E_NS1_11comp_targetILNS1_3genE8ELNS1_11target_archE1030ELNS1_3gpuE2ELNS1_3repE0EEENS1_52radix_sort_onesweep_histogram_config_static_selectorELNS0_4arch9wavefront6targetE0EEEvSD_
                                        ; -- End function
	.set _ZN7rocprim17ROCPRIM_400000_NS6detail17trampoline_kernelINS0_14default_configENS1_35radix_sort_onesweep_config_selectorIbNS0_10empty_typeEEEZNS1_34radix_sort_onesweep_global_offsetsIS3_Lb0EPKbPS5_mNS0_19identity_decomposerEEE10hipError_tT1_T2_PT3_SF_jT4_jjP12ihipStream_tbEUlT_E_NS1_11comp_targetILNS1_3genE8ELNS1_11target_archE1030ELNS1_3gpuE2ELNS1_3repE0EEENS1_52radix_sort_onesweep_histogram_config_static_selectorELNS0_4arch9wavefront6targetE0EEEvSD_.num_vgpr, 0
	.set _ZN7rocprim17ROCPRIM_400000_NS6detail17trampoline_kernelINS0_14default_configENS1_35radix_sort_onesweep_config_selectorIbNS0_10empty_typeEEEZNS1_34radix_sort_onesweep_global_offsetsIS3_Lb0EPKbPS5_mNS0_19identity_decomposerEEE10hipError_tT1_T2_PT3_SF_jT4_jjP12ihipStream_tbEUlT_E_NS1_11comp_targetILNS1_3genE8ELNS1_11target_archE1030ELNS1_3gpuE2ELNS1_3repE0EEENS1_52radix_sort_onesweep_histogram_config_static_selectorELNS0_4arch9wavefront6targetE0EEEvSD_.num_agpr, 0
	.set _ZN7rocprim17ROCPRIM_400000_NS6detail17trampoline_kernelINS0_14default_configENS1_35radix_sort_onesweep_config_selectorIbNS0_10empty_typeEEEZNS1_34radix_sort_onesweep_global_offsetsIS3_Lb0EPKbPS5_mNS0_19identity_decomposerEEE10hipError_tT1_T2_PT3_SF_jT4_jjP12ihipStream_tbEUlT_E_NS1_11comp_targetILNS1_3genE8ELNS1_11target_archE1030ELNS1_3gpuE2ELNS1_3repE0EEENS1_52radix_sort_onesweep_histogram_config_static_selectorELNS0_4arch9wavefront6targetE0EEEvSD_.numbered_sgpr, 0
	.set _ZN7rocprim17ROCPRIM_400000_NS6detail17trampoline_kernelINS0_14default_configENS1_35radix_sort_onesweep_config_selectorIbNS0_10empty_typeEEEZNS1_34radix_sort_onesweep_global_offsetsIS3_Lb0EPKbPS5_mNS0_19identity_decomposerEEE10hipError_tT1_T2_PT3_SF_jT4_jjP12ihipStream_tbEUlT_E_NS1_11comp_targetILNS1_3genE8ELNS1_11target_archE1030ELNS1_3gpuE2ELNS1_3repE0EEENS1_52radix_sort_onesweep_histogram_config_static_selectorELNS0_4arch9wavefront6targetE0EEEvSD_.num_named_barrier, 0
	.set _ZN7rocprim17ROCPRIM_400000_NS6detail17trampoline_kernelINS0_14default_configENS1_35radix_sort_onesweep_config_selectorIbNS0_10empty_typeEEEZNS1_34radix_sort_onesweep_global_offsetsIS3_Lb0EPKbPS5_mNS0_19identity_decomposerEEE10hipError_tT1_T2_PT3_SF_jT4_jjP12ihipStream_tbEUlT_E_NS1_11comp_targetILNS1_3genE8ELNS1_11target_archE1030ELNS1_3gpuE2ELNS1_3repE0EEENS1_52radix_sort_onesweep_histogram_config_static_selectorELNS0_4arch9wavefront6targetE0EEEvSD_.private_seg_size, 0
	.set _ZN7rocprim17ROCPRIM_400000_NS6detail17trampoline_kernelINS0_14default_configENS1_35radix_sort_onesweep_config_selectorIbNS0_10empty_typeEEEZNS1_34radix_sort_onesweep_global_offsetsIS3_Lb0EPKbPS5_mNS0_19identity_decomposerEEE10hipError_tT1_T2_PT3_SF_jT4_jjP12ihipStream_tbEUlT_E_NS1_11comp_targetILNS1_3genE8ELNS1_11target_archE1030ELNS1_3gpuE2ELNS1_3repE0EEENS1_52radix_sort_onesweep_histogram_config_static_selectorELNS0_4arch9wavefront6targetE0EEEvSD_.uses_vcc, 0
	.set _ZN7rocprim17ROCPRIM_400000_NS6detail17trampoline_kernelINS0_14default_configENS1_35radix_sort_onesweep_config_selectorIbNS0_10empty_typeEEEZNS1_34radix_sort_onesweep_global_offsetsIS3_Lb0EPKbPS5_mNS0_19identity_decomposerEEE10hipError_tT1_T2_PT3_SF_jT4_jjP12ihipStream_tbEUlT_E_NS1_11comp_targetILNS1_3genE8ELNS1_11target_archE1030ELNS1_3gpuE2ELNS1_3repE0EEENS1_52radix_sort_onesweep_histogram_config_static_selectorELNS0_4arch9wavefront6targetE0EEEvSD_.uses_flat_scratch, 0
	.set _ZN7rocprim17ROCPRIM_400000_NS6detail17trampoline_kernelINS0_14default_configENS1_35radix_sort_onesweep_config_selectorIbNS0_10empty_typeEEEZNS1_34radix_sort_onesweep_global_offsetsIS3_Lb0EPKbPS5_mNS0_19identity_decomposerEEE10hipError_tT1_T2_PT3_SF_jT4_jjP12ihipStream_tbEUlT_E_NS1_11comp_targetILNS1_3genE8ELNS1_11target_archE1030ELNS1_3gpuE2ELNS1_3repE0EEENS1_52radix_sort_onesweep_histogram_config_static_selectorELNS0_4arch9wavefront6targetE0EEEvSD_.has_dyn_sized_stack, 0
	.set _ZN7rocprim17ROCPRIM_400000_NS6detail17trampoline_kernelINS0_14default_configENS1_35radix_sort_onesweep_config_selectorIbNS0_10empty_typeEEEZNS1_34radix_sort_onesweep_global_offsetsIS3_Lb0EPKbPS5_mNS0_19identity_decomposerEEE10hipError_tT1_T2_PT3_SF_jT4_jjP12ihipStream_tbEUlT_E_NS1_11comp_targetILNS1_3genE8ELNS1_11target_archE1030ELNS1_3gpuE2ELNS1_3repE0EEENS1_52radix_sort_onesweep_histogram_config_static_selectorELNS0_4arch9wavefront6targetE0EEEvSD_.has_recursion, 0
	.set _ZN7rocprim17ROCPRIM_400000_NS6detail17trampoline_kernelINS0_14default_configENS1_35radix_sort_onesweep_config_selectorIbNS0_10empty_typeEEEZNS1_34radix_sort_onesweep_global_offsetsIS3_Lb0EPKbPS5_mNS0_19identity_decomposerEEE10hipError_tT1_T2_PT3_SF_jT4_jjP12ihipStream_tbEUlT_E_NS1_11comp_targetILNS1_3genE8ELNS1_11target_archE1030ELNS1_3gpuE2ELNS1_3repE0EEENS1_52radix_sort_onesweep_histogram_config_static_selectorELNS0_4arch9wavefront6targetE0EEEvSD_.has_indirect_call, 0
	.section	.AMDGPU.csdata,"",@progbits
; Kernel info:
; codeLenInByte = 0
; TotalNumSgprs: 0
; NumVgprs: 0
; ScratchSize: 0
; MemoryBound: 0
; FloatMode: 240
; IeeeMode: 1
; LDSByteSize: 0 bytes/workgroup (compile time only)
; SGPRBlocks: 0
; VGPRBlocks: 0
; NumSGPRsForWavesPerEU: 1
; NumVGPRsForWavesPerEU: 1
; NamedBarCnt: 0
; Occupancy: 16
; WaveLimiterHint : 0
; COMPUTE_PGM_RSRC2:SCRATCH_EN: 0
; COMPUTE_PGM_RSRC2:USER_SGPR: 2
; COMPUTE_PGM_RSRC2:TRAP_HANDLER: 0
; COMPUTE_PGM_RSRC2:TGID_X_EN: 1
; COMPUTE_PGM_RSRC2:TGID_Y_EN: 0
; COMPUTE_PGM_RSRC2:TGID_Z_EN: 0
; COMPUTE_PGM_RSRC2:TIDIG_COMP_CNT: 0
	.section	.text._ZN7rocprim17ROCPRIM_400000_NS6detail17trampoline_kernelINS0_14default_configENS1_35radix_sort_onesweep_config_selectorIbNS0_10empty_typeEEEZNS1_34radix_sort_onesweep_global_offsetsIS3_Lb0EPKbPS5_mNS0_19identity_decomposerEEE10hipError_tT1_T2_PT3_SF_jT4_jjP12ihipStream_tbEUlT_E0_NS1_11comp_targetILNS1_3genE0ELNS1_11target_archE4294967295ELNS1_3gpuE0ELNS1_3repE0EEENS1_52radix_sort_onesweep_histogram_config_static_selectorELNS0_4arch9wavefront6targetE0EEEvSD_,"axG",@progbits,_ZN7rocprim17ROCPRIM_400000_NS6detail17trampoline_kernelINS0_14default_configENS1_35radix_sort_onesweep_config_selectorIbNS0_10empty_typeEEEZNS1_34radix_sort_onesweep_global_offsetsIS3_Lb0EPKbPS5_mNS0_19identity_decomposerEEE10hipError_tT1_T2_PT3_SF_jT4_jjP12ihipStream_tbEUlT_E0_NS1_11comp_targetILNS1_3genE0ELNS1_11target_archE4294967295ELNS1_3gpuE0ELNS1_3repE0EEENS1_52radix_sort_onesweep_histogram_config_static_selectorELNS0_4arch9wavefront6targetE0EEEvSD_,comdat
	.protected	_ZN7rocprim17ROCPRIM_400000_NS6detail17trampoline_kernelINS0_14default_configENS1_35radix_sort_onesweep_config_selectorIbNS0_10empty_typeEEEZNS1_34radix_sort_onesweep_global_offsetsIS3_Lb0EPKbPS5_mNS0_19identity_decomposerEEE10hipError_tT1_T2_PT3_SF_jT4_jjP12ihipStream_tbEUlT_E0_NS1_11comp_targetILNS1_3genE0ELNS1_11target_archE4294967295ELNS1_3gpuE0ELNS1_3repE0EEENS1_52radix_sort_onesweep_histogram_config_static_selectorELNS0_4arch9wavefront6targetE0EEEvSD_ ; -- Begin function _ZN7rocprim17ROCPRIM_400000_NS6detail17trampoline_kernelINS0_14default_configENS1_35radix_sort_onesweep_config_selectorIbNS0_10empty_typeEEEZNS1_34radix_sort_onesweep_global_offsetsIS3_Lb0EPKbPS5_mNS0_19identity_decomposerEEE10hipError_tT1_T2_PT3_SF_jT4_jjP12ihipStream_tbEUlT_E0_NS1_11comp_targetILNS1_3genE0ELNS1_11target_archE4294967295ELNS1_3gpuE0ELNS1_3repE0EEENS1_52radix_sort_onesweep_histogram_config_static_selectorELNS0_4arch9wavefront6targetE0EEEvSD_
	.globl	_ZN7rocprim17ROCPRIM_400000_NS6detail17trampoline_kernelINS0_14default_configENS1_35radix_sort_onesweep_config_selectorIbNS0_10empty_typeEEEZNS1_34radix_sort_onesweep_global_offsetsIS3_Lb0EPKbPS5_mNS0_19identity_decomposerEEE10hipError_tT1_T2_PT3_SF_jT4_jjP12ihipStream_tbEUlT_E0_NS1_11comp_targetILNS1_3genE0ELNS1_11target_archE4294967295ELNS1_3gpuE0ELNS1_3repE0EEENS1_52radix_sort_onesweep_histogram_config_static_selectorELNS0_4arch9wavefront6targetE0EEEvSD_
	.p2align	8
	.type	_ZN7rocprim17ROCPRIM_400000_NS6detail17trampoline_kernelINS0_14default_configENS1_35radix_sort_onesweep_config_selectorIbNS0_10empty_typeEEEZNS1_34radix_sort_onesweep_global_offsetsIS3_Lb0EPKbPS5_mNS0_19identity_decomposerEEE10hipError_tT1_T2_PT3_SF_jT4_jjP12ihipStream_tbEUlT_E0_NS1_11comp_targetILNS1_3genE0ELNS1_11target_archE4294967295ELNS1_3gpuE0ELNS1_3repE0EEENS1_52radix_sort_onesweep_histogram_config_static_selectorELNS0_4arch9wavefront6targetE0EEEvSD_,@function
_ZN7rocprim17ROCPRIM_400000_NS6detail17trampoline_kernelINS0_14default_configENS1_35radix_sort_onesweep_config_selectorIbNS0_10empty_typeEEEZNS1_34radix_sort_onesweep_global_offsetsIS3_Lb0EPKbPS5_mNS0_19identity_decomposerEEE10hipError_tT1_T2_PT3_SF_jT4_jjP12ihipStream_tbEUlT_E0_NS1_11comp_targetILNS1_3genE0ELNS1_11target_archE4294967295ELNS1_3gpuE0ELNS1_3repE0EEENS1_52radix_sort_onesweep_histogram_config_static_selectorELNS0_4arch9wavefront6targetE0EEEvSD_: ; @_ZN7rocprim17ROCPRIM_400000_NS6detail17trampoline_kernelINS0_14default_configENS1_35radix_sort_onesweep_config_selectorIbNS0_10empty_typeEEEZNS1_34radix_sort_onesweep_global_offsetsIS3_Lb0EPKbPS5_mNS0_19identity_decomposerEEE10hipError_tT1_T2_PT3_SF_jT4_jjP12ihipStream_tbEUlT_E0_NS1_11comp_targetILNS1_3genE0ELNS1_11target_archE4294967295ELNS1_3gpuE0ELNS1_3repE0EEENS1_52radix_sort_onesweep_histogram_config_static_selectorELNS0_4arch9wavefront6targetE0EEEvSD_
; %bb.0:
	s_load_b64 s[0:1], s[0:1], 0x0
	s_bfe_u32 s2, ttmp6, 0x4000c
	s_and_b32 s3, ttmp6, 15
	s_add_co_i32 s2, s2, 1
	s_getreg_b32 s4, hwreg(HW_REG_IB_STS2, 6, 4)
	s_mul_i32 s2, ttmp9, s2
	v_cmp_gt_u32_e32 vcc_lo, 16, v0
	s_add_co_i32 s3, s3, s2
	s_cmp_eq_u32 s4, 0
                                        ; implicit-def: $vgpr2_vgpr3
	s_cselect_b32 s2, ttmp9, s3
	s_mov_b32 s3, 0
	s_lshl_b32 s2, s2, 4
	s_delay_alu instid0(SALU_CYCLE_1)
	s_lshl_b64 s[2:3], s[2:3], 3
	s_wait_kmcnt 0x0
	s_add_nc_u64 s[8:9], s[0:1], s[2:3]
	s_and_saveexec_b32 s0, vcc_lo
	s_cbranch_execz .LBB1843_2
; %bb.1:
	global_load_b64 v[2:3], v0, s[8:9] scale_offset
.LBB1843_2:
	s_wait_xcnt 0x0
	s_or_b32 exec_lo, exec_lo, s0
	v_mbcnt_lo_u32_b32 v1, -1, 0
	s_wait_loadcnt 0x0
	v_mov_b32_dpp v6, v2 row_shr:1 row_mask:0xf bank_mask:0xf
	v_mov_b32_dpp v9, v3 row_shr:1 row_mask:0xf bank_mask:0xf
	s_delay_alu instid0(VALU_DEP_3) | instskip(NEXT) | instid1(VALU_DEP_1)
	v_dual_mov_b32 v4, v2 :: v_dual_bitop2_b32 v10, 15, v1 bitop3:0x40
	v_cmp_ne_u32_e64 s0, 0, v10
	s_and_saveexec_b32 s1, s0
; %bb.3:
	v_mov_b32_e32 v8, 0
	s_delay_alu instid0(VALU_DEP_1) | instskip(NEXT) | instid1(VALU_DEP_1)
	v_mov_b32_e32 v7, v8
	v_add_nc_u64_e32 v[4:5], v[2:3], v[6:7]
	s_delay_alu instid0(VALU_DEP_1)
	v_add_nc_u64_e32 v[2:3], v[8:9], v[4:5]
; %bb.4:
	s_or_b32 exec_lo, exec_lo, s1
	v_mov_b32_dpp v6, v4 row_shr:2 row_mask:0xf bank_mask:0xf
	s_delay_alu instid0(VALU_DEP_2)
	v_mov_b32_dpp v9, v3 row_shr:2 row_mask:0xf bank_mask:0xf
	v_cmp_lt_u32_e64 s1, 1, v10
	s_and_saveexec_b32 s2, s1
; %bb.5:
	v_mov_b32_e32 v8, 0
	s_delay_alu instid0(VALU_DEP_1) | instskip(NEXT) | instid1(VALU_DEP_1)
	v_mov_b32_e32 v7, v8
	v_add_nc_u64_e32 v[4:5], v[2:3], v[6:7]
	s_delay_alu instid0(VALU_DEP_1)
	v_add_nc_u64_e32 v[2:3], v[8:9], v[4:5]
; %bb.6:
	s_or_b32 exec_lo, exec_lo, s2
	v_mov_b32_dpp v6, v4 row_shr:4 row_mask:0xf bank_mask:0xf
	s_delay_alu instid0(VALU_DEP_2)
	v_mov_b32_dpp v9, v3 row_shr:4 row_mask:0xf bank_mask:0xf
	v_cmp_lt_u32_e64 s2, 3, v10
	;; [unrolled: 14-line block ×3, first 2 shown]
	s_and_saveexec_b32 s4, s3
; %bb.9:
	v_mov_b32_e32 v8, 0
	s_delay_alu instid0(VALU_DEP_1) | instskip(NEXT) | instid1(VALU_DEP_1)
	v_mov_b32_e32 v7, v8
	v_add_nc_u64_e32 v[4:5], v[2:3], v[6:7]
	s_delay_alu instid0(VALU_DEP_1)
	v_add_nc_u64_e32 v[2:3], v[8:9], v[4:5]
; %bb.10:
	s_or_b32 exec_lo, exec_lo, s4
	ds_swizzle_b32 v4, v4 offset:swizzle(BROADCAST,32,15)
	ds_swizzle_b32 v7, v3 offset:swizzle(BROADCAST,32,15)
	v_and_b32_e32 v5, 16, v1
	s_delay_alu instid0(VALU_DEP_1)
	v_cmp_ne_u32_e64 s4, 0, v5
	s_and_saveexec_b32 s5, s4
	s_cbranch_execz .LBB1843_12
; %bb.11:
	v_mov_b32_e32 v6, 0
	s_delay_alu instid0(VALU_DEP_1) | instskip(SKIP_1) | instid1(VALU_DEP_1)
	v_mov_b32_e32 v5, v6
	s_wait_dscnt 0x1
	v_add_nc_u64_e32 v[2:3], v[2:3], v[4:5]
	s_wait_dscnt 0x0
	s_delay_alu instid0(VALU_DEP_1)
	v_add_nc_u64_e32 v[2:3], v[2:3], v[6:7]
.LBB1843_12:
	s_or_b32 exec_lo, exec_lo, s5
	s_wait_dscnt 0x1
	v_dual_lshrrev_b32 v12, 5, v0 :: v_dual_bitop2_b32 v4, 31, v0 bitop3:0x40
	s_mov_b32 s6, exec_lo
	s_delay_alu instid0(VALU_DEP_1)
	v_cmpx_eq_u32_e32 31, v4
; %bb.13:
	s_delay_alu instid0(VALU_DEP_2)
	v_lshlrev_b32_e32 v4, 3, v12
	ds_store_b64 v4, v[2:3]
; %bb.14:
	s_or_b32 exec_lo, exec_lo, s6
	v_cmp_lt_u32_e64 s5, 31, v0
	s_mov_b32 s7, exec_lo
	s_wait_dscnt 0x0
	s_barrier_signal -1
	s_barrier_wait -1
	v_cmpx_gt_u32_e32 32, v0
	s_cbranch_execz .LBB1843_26
; %bb.15:
	v_lshlrev_b32_e32 v13, 3, v0
	ds_load_b64 v[4:5], v13
	s_wait_dscnt 0x0
	v_mov_b32_dpp v8, v4 row_shr:1 row_mask:0xf bank_mask:0xf
	v_mov_b32_dpp v11, v5 row_shr:1 row_mask:0xf bank_mask:0xf
	v_mov_b32_e32 v6, v4
	s_and_saveexec_b32 s6, s0
; %bb.16:
	v_mov_b32_e32 v10, 0
	s_delay_alu instid0(VALU_DEP_1) | instskip(NEXT) | instid1(VALU_DEP_1)
	v_mov_b32_e32 v9, v10
	v_add_nc_u64_e32 v[6:7], v[4:5], v[8:9]
	s_delay_alu instid0(VALU_DEP_1)
	v_add_nc_u64_e32 v[4:5], v[10:11], v[6:7]
; %bb.17:
	s_or_b32 exec_lo, exec_lo, s6
	v_mov_b32_dpp v8, v6 row_shr:2 row_mask:0xf bank_mask:0xf
	s_delay_alu instid0(VALU_DEP_2)
	v_mov_b32_dpp v11, v5 row_shr:2 row_mask:0xf bank_mask:0xf
	s_and_saveexec_b32 s0, s1
; %bb.18:
	v_mov_b32_e32 v10, 0
	s_delay_alu instid0(VALU_DEP_1) | instskip(NEXT) | instid1(VALU_DEP_1)
	v_mov_b32_e32 v9, v10
	v_add_nc_u64_e32 v[6:7], v[4:5], v[8:9]
	s_delay_alu instid0(VALU_DEP_1)
	v_add_nc_u64_e32 v[4:5], v[10:11], v[6:7]
; %bb.19:
	s_or_b32 exec_lo, exec_lo, s0
	v_mov_b32_dpp v8, v6 row_shr:4 row_mask:0xf bank_mask:0xf
	s_delay_alu instid0(VALU_DEP_2)
	v_mov_b32_dpp v11, v5 row_shr:4 row_mask:0xf bank_mask:0xf
	;; [unrolled: 13-line block ×3, first 2 shown]
	s_and_saveexec_b32 s0, s3
; %bb.22:
	v_mov_b32_e32 v10, 0
	s_delay_alu instid0(VALU_DEP_1) | instskip(NEXT) | instid1(VALU_DEP_1)
	v_mov_b32_e32 v9, v10
	v_add_nc_u64_e32 v[6:7], v[4:5], v[8:9]
	s_delay_alu instid0(VALU_DEP_1)
	v_add_nc_u64_e32 v[4:5], v[10:11], v[6:7]
; %bb.23:
	s_or_b32 exec_lo, exec_lo, s0
	ds_swizzle_b32 v6, v6 offset:swizzle(BROADCAST,32,15)
	ds_swizzle_b32 v9, v5 offset:swizzle(BROADCAST,32,15)
	s_and_saveexec_b32 s0, s4
	s_cbranch_execz .LBB1843_25
; %bb.24:
	v_mov_b32_e32 v8, 0
	s_delay_alu instid0(VALU_DEP_1) | instskip(SKIP_1) | instid1(VALU_DEP_1)
	v_mov_b32_e32 v7, v8
	s_wait_dscnt 0x1
	v_add_nc_u64_e32 v[4:5], v[4:5], v[6:7]
	s_wait_dscnt 0x0
	s_delay_alu instid0(VALU_DEP_1)
	v_add_nc_u64_e32 v[4:5], v[4:5], v[8:9]
.LBB1843_25:
	s_or_b32 exec_lo, exec_lo, s0
	ds_store_b64 v13, v[4:5]
.LBB1843_26:
	s_or_b32 exec_lo, exec_lo, s7
	v_mov_b64_e32 v[4:5], 0
	s_wait_dscnt 0x0
	s_barrier_signal -1
	s_barrier_wait -1
	s_and_saveexec_b32 s0, s5
; %bb.27:
	v_lshl_add_u32 v4, v12, 3, -8
	ds_load_b64 v[4:5], v4
; %bb.28:
	s_or_b32 exec_lo, exec_lo, s0
	v_add_nc_u32_e32 v6, -1, v1
	s_wait_dscnt 0x0
	v_add_nc_u64_e32 v[2:3], v[4:5], v[2:3]
	s_delay_alu instid0(VALU_DEP_2) | instskip(NEXT) | instid1(VALU_DEP_1)
	v_cmp_gt_i32_e64 s0, 0, v6
	v_cndmask_b32_e64 v6, v6, v1, s0
	s_delay_alu instid0(VALU_DEP_1)
	v_lshlrev_b32_e32 v6, 2, v6
	ds_bpermute_b32 v2, v6, v2
	ds_bpermute_b32 v3, v6, v3
	s_and_saveexec_b32 s0, vcc_lo
	s_cbranch_execz .LBB1843_30
; %bb.29:
	v_cmp_eq_u32_e32 vcc_lo, 0, v1
	s_wait_dscnt 0x0
	v_dual_cndmask_b32 v3, v3, v5 :: v_dual_cndmask_b32 v2, v2, v4
	global_store_b64 v0, v[2:3], s[8:9] scale_offset
.LBB1843_30:
	s_endpgm
	.section	.rodata,"a",@progbits
	.p2align	6, 0x0
	.amdhsa_kernel _ZN7rocprim17ROCPRIM_400000_NS6detail17trampoline_kernelINS0_14default_configENS1_35radix_sort_onesweep_config_selectorIbNS0_10empty_typeEEEZNS1_34radix_sort_onesweep_global_offsetsIS3_Lb0EPKbPS5_mNS0_19identity_decomposerEEE10hipError_tT1_T2_PT3_SF_jT4_jjP12ihipStream_tbEUlT_E0_NS1_11comp_targetILNS1_3genE0ELNS1_11target_archE4294967295ELNS1_3gpuE0ELNS1_3repE0EEENS1_52radix_sort_onesweep_histogram_config_static_selectorELNS0_4arch9wavefront6targetE0EEEvSD_
		.amdhsa_group_segment_fixed_size 256
		.amdhsa_private_segment_fixed_size 0
		.amdhsa_kernarg_size 8
		.amdhsa_user_sgpr_count 2
		.amdhsa_user_sgpr_dispatch_ptr 0
		.amdhsa_user_sgpr_queue_ptr 0
		.amdhsa_user_sgpr_kernarg_segment_ptr 1
		.amdhsa_user_sgpr_dispatch_id 0
		.amdhsa_user_sgpr_kernarg_preload_length 0
		.amdhsa_user_sgpr_kernarg_preload_offset 0
		.amdhsa_user_sgpr_private_segment_size 0
		.amdhsa_wavefront_size32 1
		.amdhsa_uses_dynamic_stack 0
		.amdhsa_enable_private_segment 0
		.amdhsa_system_sgpr_workgroup_id_x 1
		.amdhsa_system_sgpr_workgroup_id_y 0
		.amdhsa_system_sgpr_workgroup_id_z 0
		.amdhsa_system_sgpr_workgroup_info 0
		.amdhsa_system_vgpr_workitem_id 0
		.amdhsa_next_free_vgpr 14
		.amdhsa_next_free_sgpr 10
		.amdhsa_named_barrier_count 0
		.amdhsa_reserve_vcc 1
		.amdhsa_float_round_mode_32 0
		.amdhsa_float_round_mode_16_64 0
		.amdhsa_float_denorm_mode_32 3
		.amdhsa_float_denorm_mode_16_64 3
		.amdhsa_fp16_overflow 0
		.amdhsa_memory_ordered 1
		.amdhsa_forward_progress 1
		.amdhsa_inst_pref_size 8
		.amdhsa_round_robin_scheduling 0
		.amdhsa_exception_fp_ieee_invalid_op 0
		.amdhsa_exception_fp_denorm_src 0
		.amdhsa_exception_fp_ieee_div_zero 0
		.amdhsa_exception_fp_ieee_overflow 0
		.amdhsa_exception_fp_ieee_underflow 0
		.amdhsa_exception_fp_ieee_inexact 0
		.amdhsa_exception_int_div_zero 0
	.end_amdhsa_kernel
	.section	.text._ZN7rocprim17ROCPRIM_400000_NS6detail17trampoline_kernelINS0_14default_configENS1_35radix_sort_onesweep_config_selectorIbNS0_10empty_typeEEEZNS1_34radix_sort_onesweep_global_offsetsIS3_Lb0EPKbPS5_mNS0_19identity_decomposerEEE10hipError_tT1_T2_PT3_SF_jT4_jjP12ihipStream_tbEUlT_E0_NS1_11comp_targetILNS1_3genE0ELNS1_11target_archE4294967295ELNS1_3gpuE0ELNS1_3repE0EEENS1_52radix_sort_onesweep_histogram_config_static_selectorELNS0_4arch9wavefront6targetE0EEEvSD_,"axG",@progbits,_ZN7rocprim17ROCPRIM_400000_NS6detail17trampoline_kernelINS0_14default_configENS1_35radix_sort_onesweep_config_selectorIbNS0_10empty_typeEEEZNS1_34radix_sort_onesweep_global_offsetsIS3_Lb0EPKbPS5_mNS0_19identity_decomposerEEE10hipError_tT1_T2_PT3_SF_jT4_jjP12ihipStream_tbEUlT_E0_NS1_11comp_targetILNS1_3genE0ELNS1_11target_archE4294967295ELNS1_3gpuE0ELNS1_3repE0EEENS1_52radix_sort_onesweep_histogram_config_static_selectorELNS0_4arch9wavefront6targetE0EEEvSD_,comdat
.Lfunc_end1843:
	.size	_ZN7rocprim17ROCPRIM_400000_NS6detail17trampoline_kernelINS0_14default_configENS1_35radix_sort_onesweep_config_selectorIbNS0_10empty_typeEEEZNS1_34radix_sort_onesweep_global_offsetsIS3_Lb0EPKbPS5_mNS0_19identity_decomposerEEE10hipError_tT1_T2_PT3_SF_jT4_jjP12ihipStream_tbEUlT_E0_NS1_11comp_targetILNS1_3genE0ELNS1_11target_archE4294967295ELNS1_3gpuE0ELNS1_3repE0EEENS1_52radix_sort_onesweep_histogram_config_static_selectorELNS0_4arch9wavefront6targetE0EEEvSD_, .Lfunc_end1843-_ZN7rocprim17ROCPRIM_400000_NS6detail17trampoline_kernelINS0_14default_configENS1_35radix_sort_onesweep_config_selectorIbNS0_10empty_typeEEEZNS1_34radix_sort_onesweep_global_offsetsIS3_Lb0EPKbPS5_mNS0_19identity_decomposerEEE10hipError_tT1_T2_PT3_SF_jT4_jjP12ihipStream_tbEUlT_E0_NS1_11comp_targetILNS1_3genE0ELNS1_11target_archE4294967295ELNS1_3gpuE0ELNS1_3repE0EEENS1_52radix_sort_onesweep_histogram_config_static_selectorELNS0_4arch9wavefront6targetE0EEEvSD_
                                        ; -- End function
	.set _ZN7rocprim17ROCPRIM_400000_NS6detail17trampoline_kernelINS0_14default_configENS1_35radix_sort_onesweep_config_selectorIbNS0_10empty_typeEEEZNS1_34radix_sort_onesweep_global_offsetsIS3_Lb0EPKbPS5_mNS0_19identity_decomposerEEE10hipError_tT1_T2_PT3_SF_jT4_jjP12ihipStream_tbEUlT_E0_NS1_11comp_targetILNS1_3genE0ELNS1_11target_archE4294967295ELNS1_3gpuE0ELNS1_3repE0EEENS1_52radix_sort_onesweep_histogram_config_static_selectorELNS0_4arch9wavefront6targetE0EEEvSD_.num_vgpr, 14
	.set _ZN7rocprim17ROCPRIM_400000_NS6detail17trampoline_kernelINS0_14default_configENS1_35radix_sort_onesweep_config_selectorIbNS0_10empty_typeEEEZNS1_34radix_sort_onesweep_global_offsetsIS3_Lb0EPKbPS5_mNS0_19identity_decomposerEEE10hipError_tT1_T2_PT3_SF_jT4_jjP12ihipStream_tbEUlT_E0_NS1_11comp_targetILNS1_3genE0ELNS1_11target_archE4294967295ELNS1_3gpuE0ELNS1_3repE0EEENS1_52radix_sort_onesweep_histogram_config_static_selectorELNS0_4arch9wavefront6targetE0EEEvSD_.num_agpr, 0
	.set _ZN7rocprim17ROCPRIM_400000_NS6detail17trampoline_kernelINS0_14default_configENS1_35radix_sort_onesweep_config_selectorIbNS0_10empty_typeEEEZNS1_34radix_sort_onesweep_global_offsetsIS3_Lb0EPKbPS5_mNS0_19identity_decomposerEEE10hipError_tT1_T2_PT3_SF_jT4_jjP12ihipStream_tbEUlT_E0_NS1_11comp_targetILNS1_3genE0ELNS1_11target_archE4294967295ELNS1_3gpuE0ELNS1_3repE0EEENS1_52radix_sort_onesweep_histogram_config_static_selectorELNS0_4arch9wavefront6targetE0EEEvSD_.numbered_sgpr, 10
	.set _ZN7rocprim17ROCPRIM_400000_NS6detail17trampoline_kernelINS0_14default_configENS1_35radix_sort_onesweep_config_selectorIbNS0_10empty_typeEEEZNS1_34radix_sort_onesweep_global_offsetsIS3_Lb0EPKbPS5_mNS0_19identity_decomposerEEE10hipError_tT1_T2_PT3_SF_jT4_jjP12ihipStream_tbEUlT_E0_NS1_11comp_targetILNS1_3genE0ELNS1_11target_archE4294967295ELNS1_3gpuE0ELNS1_3repE0EEENS1_52radix_sort_onesweep_histogram_config_static_selectorELNS0_4arch9wavefront6targetE0EEEvSD_.num_named_barrier, 0
	.set _ZN7rocprim17ROCPRIM_400000_NS6detail17trampoline_kernelINS0_14default_configENS1_35radix_sort_onesweep_config_selectorIbNS0_10empty_typeEEEZNS1_34radix_sort_onesweep_global_offsetsIS3_Lb0EPKbPS5_mNS0_19identity_decomposerEEE10hipError_tT1_T2_PT3_SF_jT4_jjP12ihipStream_tbEUlT_E0_NS1_11comp_targetILNS1_3genE0ELNS1_11target_archE4294967295ELNS1_3gpuE0ELNS1_3repE0EEENS1_52radix_sort_onesweep_histogram_config_static_selectorELNS0_4arch9wavefront6targetE0EEEvSD_.private_seg_size, 0
	.set _ZN7rocprim17ROCPRIM_400000_NS6detail17trampoline_kernelINS0_14default_configENS1_35radix_sort_onesweep_config_selectorIbNS0_10empty_typeEEEZNS1_34radix_sort_onesweep_global_offsetsIS3_Lb0EPKbPS5_mNS0_19identity_decomposerEEE10hipError_tT1_T2_PT3_SF_jT4_jjP12ihipStream_tbEUlT_E0_NS1_11comp_targetILNS1_3genE0ELNS1_11target_archE4294967295ELNS1_3gpuE0ELNS1_3repE0EEENS1_52radix_sort_onesweep_histogram_config_static_selectorELNS0_4arch9wavefront6targetE0EEEvSD_.uses_vcc, 1
	.set _ZN7rocprim17ROCPRIM_400000_NS6detail17trampoline_kernelINS0_14default_configENS1_35radix_sort_onesweep_config_selectorIbNS0_10empty_typeEEEZNS1_34radix_sort_onesweep_global_offsetsIS3_Lb0EPKbPS5_mNS0_19identity_decomposerEEE10hipError_tT1_T2_PT3_SF_jT4_jjP12ihipStream_tbEUlT_E0_NS1_11comp_targetILNS1_3genE0ELNS1_11target_archE4294967295ELNS1_3gpuE0ELNS1_3repE0EEENS1_52radix_sort_onesweep_histogram_config_static_selectorELNS0_4arch9wavefront6targetE0EEEvSD_.uses_flat_scratch, 0
	.set _ZN7rocprim17ROCPRIM_400000_NS6detail17trampoline_kernelINS0_14default_configENS1_35radix_sort_onesweep_config_selectorIbNS0_10empty_typeEEEZNS1_34radix_sort_onesweep_global_offsetsIS3_Lb0EPKbPS5_mNS0_19identity_decomposerEEE10hipError_tT1_T2_PT3_SF_jT4_jjP12ihipStream_tbEUlT_E0_NS1_11comp_targetILNS1_3genE0ELNS1_11target_archE4294967295ELNS1_3gpuE0ELNS1_3repE0EEENS1_52radix_sort_onesweep_histogram_config_static_selectorELNS0_4arch9wavefront6targetE0EEEvSD_.has_dyn_sized_stack, 0
	.set _ZN7rocprim17ROCPRIM_400000_NS6detail17trampoline_kernelINS0_14default_configENS1_35radix_sort_onesweep_config_selectorIbNS0_10empty_typeEEEZNS1_34radix_sort_onesweep_global_offsetsIS3_Lb0EPKbPS5_mNS0_19identity_decomposerEEE10hipError_tT1_T2_PT3_SF_jT4_jjP12ihipStream_tbEUlT_E0_NS1_11comp_targetILNS1_3genE0ELNS1_11target_archE4294967295ELNS1_3gpuE0ELNS1_3repE0EEENS1_52radix_sort_onesweep_histogram_config_static_selectorELNS0_4arch9wavefront6targetE0EEEvSD_.has_recursion, 0
	.set _ZN7rocprim17ROCPRIM_400000_NS6detail17trampoline_kernelINS0_14default_configENS1_35radix_sort_onesweep_config_selectorIbNS0_10empty_typeEEEZNS1_34radix_sort_onesweep_global_offsetsIS3_Lb0EPKbPS5_mNS0_19identity_decomposerEEE10hipError_tT1_T2_PT3_SF_jT4_jjP12ihipStream_tbEUlT_E0_NS1_11comp_targetILNS1_3genE0ELNS1_11target_archE4294967295ELNS1_3gpuE0ELNS1_3repE0EEENS1_52radix_sort_onesweep_histogram_config_static_selectorELNS0_4arch9wavefront6targetE0EEEvSD_.has_indirect_call, 0
	.section	.AMDGPU.csdata,"",@progbits
; Kernel info:
; codeLenInByte = 952
; TotalNumSgprs: 12
; NumVgprs: 14
; ScratchSize: 0
; MemoryBound: 0
; FloatMode: 240
; IeeeMode: 1
; LDSByteSize: 256 bytes/workgroup (compile time only)
; SGPRBlocks: 0
; VGPRBlocks: 0
; NumSGPRsForWavesPerEU: 12
; NumVGPRsForWavesPerEU: 14
; NamedBarCnt: 0
; Occupancy: 16
; WaveLimiterHint : 0
; COMPUTE_PGM_RSRC2:SCRATCH_EN: 0
; COMPUTE_PGM_RSRC2:USER_SGPR: 2
; COMPUTE_PGM_RSRC2:TRAP_HANDLER: 0
; COMPUTE_PGM_RSRC2:TGID_X_EN: 1
; COMPUTE_PGM_RSRC2:TGID_Y_EN: 0
; COMPUTE_PGM_RSRC2:TGID_Z_EN: 0
; COMPUTE_PGM_RSRC2:TIDIG_COMP_CNT: 0
	.section	.text._ZN7rocprim17ROCPRIM_400000_NS6detail17trampoline_kernelINS0_14default_configENS1_35radix_sort_onesweep_config_selectorIbNS0_10empty_typeEEEZNS1_34radix_sort_onesweep_global_offsetsIS3_Lb0EPKbPS5_mNS0_19identity_decomposerEEE10hipError_tT1_T2_PT3_SF_jT4_jjP12ihipStream_tbEUlT_E0_NS1_11comp_targetILNS1_3genE6ELNS1_11target_archE950ELNS1_3gpuE13ELNS1_3repE0EEENS1_52radix_sort_onesweep_histogram_config_static_selectorELNS0_4arch9wavefront6targetE0EEEvSD_,"axG",@progbits,_ZN7rocprim17ROCPRIM_400000_NS6detail17trampoline_kernelINS0_14default_configENS1_35radix_sort_onesweep_config_selectorIbNS0_10empty_typeEEEZNS1_34radix_sort_onesweep_global_offsetsIS3_Lb0EPKbPS5_mNS0_19identity_decomposerEEE10hipError_tT1_T2_PT3_SF_jT4_jjP12ihipStream_tbEUlT_E0_NS1_11comp_targetILNS1_3genE6ELNS1_11target_archE950ELNS1_3gpuE13ELNS1_3repE0EEENS1_52radix_sort_onesweep_histogram_config_static_selectorELNS0_4arch9wavefront6targetE0EEEvSD_,comdat
	.protected	_ZN7rocprim17ROCPRIM_400000_NS6detail17trampoline_kernelINS0_14default_configENS1_35radix_sort_onesweep_config_selectorIbNS0_10empty_typeEEEZNS1_34radix_sort_onesweep_global_offsetsIS3_Lb0EPKbPS5_mNS0_19identity_decomposerEEE10hipError_tT1_T2_PT3_SF_jT4_jjP12ihipStream_tbEUlT_E0_NS1_11comp_targetILNS1_3genE6ELNS1_11target_archE950ELNS1_3gpuE13ELNS1_3repE0EEENS1_52radix_sort_onesweep_histogram_config_static_selectorELNS0_4arch9wavefront6targetE0EEEvSD_ ; -- Begin function _ZN7rocprim17ROCPRIM_400000_NS6detail17trampoline_kernelINS0_14default_configENS1_35radix_sort_onesweep_config_selectorIbNS0_10empty_typeEEEZNS1_34radix_sort_onesweep_global_offsetsIS3_Lb0EPKbPS5_mNS0_19identity_decomposerEEE10hipError_tT1_T2_PT3_SF_jT4_jjP12ihipStream_tbEUlT_E0_NS1_11comp_targetILNS1_3genE6ELNS1_11target_archE950ELNS1_3gpuE13ELNS1_3repE0EEENS1_52radix_sort_onesweep_histogram_config_static_selectorELNS0_4arch9wavefront6targetE0EEEvSD_
	.globl	_ZN7rocprim17ROCPRIM_400000_NS6detail17trampoline_kernelINS0_14default_configENS1_35radix_sort_onesweep_config_selectorIbNS0_10empty_typeEEEZNS1_34radix_sort_onesweep_global_offsetsIS3_Lb0EPKbPS5_mNS0_19identity_decomposerEEE10hipError_tT1_T2_PT3_SF_jT4_jjP12ihipStream_tbEUlT_E0_NS1_11comp_targetILNS1_3genE6ELNS1_11target_archE950ELNS1_3gpuE13ELNS1_3repE0EEENS1_52radix_sort_onesweep_histogram_config_static_selectorELNS0_4arch9wavefront6targetE0EEEvSD_
	.p2align	8
	.type	_ZN7rocprim17ROCPRIM_400000_NS6detail17trampoline_kernelINS0_14default_configENS1_35radix_sort_onesweep_config_selectorIbNS0_10empty_typeEEEZNS1_34radix_sort_onesweep_global_offsetsIS3_Lb0EPKbPS5_mNS0_19identity_decomposerEEE10hipError_tT1_T2_PT3_SF_jT4_jjP12ihipStream_tbEUlT_E0_NS1_11comp_targetILNS1_3genE6ELNS1_11target_archE950ELNS1_3gpuE13ELNS1_3repE0EEENS1_52radix_sort_onesweep_histogram_config_static_selectorELNS0_4arch9wavefront6targetE0EEEvSD_,@function
_ZN7rocprim17ROCPRIM_400000_NS6detail17trampoline_kernelINS0_14default_configENS1_35radix_sort_onesweep_config_selectorIbNS0_10empty_typeEEEZNS1_34radix_sort_onesweep_global_offsetsIS3_Lb0EPKbPS5_mNS0_19identity_decomposerEEE10hipError_tT1_T2_PT3_SF_jT4_jjP12ihipStream_tbEUlT_E0_NS1_11comp_targetILNS1_3genE6ELNS1_11target_archE950ELNS1_3gpuE13ELNS1_3repE0EEENS1_52radix_sort_onesweep_histogram_config_static_selectorELNS0_4arch9wavefront6targetE0EEEvSD_: ; @_ZN7rocprim17ROCPRIM_400000_NS6detail17trampoline_kernelINS0_14default_configENS1_35radix_sort_onesweep_config_selectorIbNS0_10empty_typeEEEZNS1_34radix_sort_onesweep_global_offsetsIS3_Lb0EPKbPS5_mNS0_19identity_decomposerEEE10hipError_tT1_T2_PT3_SF_jT4_jjP12ihipStream_tbEUlT_E0_NS1_11comp_targetILNS1_3genE6ELNS1_11target_archE950ELNS1_3gpuE13ELNS1_3repE0EEENS1_52radix_sort_onesweep_histogram_config_static_selectorELNS0_4arch9wavefront6targetE0EEEvSD_
; %bb.0:
	.section	.rodata,"a",@progbits
	.p2align	6, 0x0
	.amdhsa_kernel _ZN7rocprim17ROCPRIM_400000_NS6detail17trampoline_kernelINS0_14default_configENS1_35radix_sort_onesweep_config_selectorIbNS0_10empty_typeEEEZNS1_34radix_sort_onesweep_global_offsetsIS3_Lb0EPKbPS5_mNS0_19identity_decomposerEEE10hipError_tT1_T2_PT3_SF_jT4_jjP12ihipStream_tbEUlT_E0_NS1_11comp_targetILNS1_3genE6ELNS1_11target_archE950ELNS1_3gpuE13ELNS1_3repE0EEENS1_52radix_sort_onesweep_histogram_config_static_selectorELNS0_4arch9wavefront6targetE0EEEvSD_
		.amdhsa_group_segment_fixed_size 0
		.amdhsa_private_segment_fixed_size 0
		.amdhsa_kernarg_size 8
		.amdhsa_user_sgpr_count 2
		.amdhsa_user_sgpr_dispatch_ptr 0
		.amdhsa_user_sgpr_queue_ptr 0
		.amdhsa_user_sgpr_kernarg_segment_ptr 1
		.amdhsa_user_sgpr_dispatch_id 0
		.amdhsa_user_sgpr_kernarg_preload_length 0
		.amdhsa_user_sgpr_kernarg_preload_offset 0
		.amdhsa_user_sgpr_private_segment_size 0
		.amdhsa_wavefront_size32 1
		.amdhsa_uses_dynamic_stack 0
		.amdhsa_enable_private_segment 0
		.amdhsa_system_sgpr_workgroup_id_x 1
		.amdhsa_system_sgpr_workgroup_id_y 0
		.amdhsa_system_sgpr_workgroup_id_z 0
		.amdhsa_system_sgpr_workgroup_info 0
		.amdhsa_system_vgpr_workitem_id 0
		.amdhsa_next_free_vgpr 1
		.amdhsa_next_free_sgpr 1
		.amdhsa_named_barrier_count 0
		.amdhsa_reserve_vcc 0
		.amdhsa_float_round_mode_32 0
		.amdhsa_float_round_mode_16_64 0
		.amdhsa_float_denorm_mode_32 3
		.amdhsa_float_denorm_mode_16_64 3
		.amdhsa_fp16_overflow 0
		.amdhsa_memory_ordered 1
		.amdhsa_forward_progress 1
		.amdhsa_inst_pref_size 0
		.amdhsa_round_robin_scheduling 0
		.amdhsa_exception_fp_ieee_invalid_op 0
		.amdhsa_exception_fp_denorm_src 0
		.amdhsa_exception_fp_ieee_div_zero 0
		.amdhsa_exception_fp_ieee_overflow 0
		.amdhsa_exception_fp_ieee_underflow 0
		.amdhsa_exception_fp_ieee_inexact 0
		.amdhsa_exception_int_div_zero 0
	.end_amdhsa_kernel
	.section	.text._ZN7rocprim17ROCPRIM_400000_NS6detail17trampoline_kernelINS0_14default_configENS1_35radix_sort_onesweep_config_selectorIbNS0_10empty_typeEEEZNS1_34radix_sort_onesweep_global_offsetsIS3_Lb0EPKbPS5_mNS0_19identity_decomposerEEE10hipError_tT1_T2_PT3_SF_jT4_jjP12ihipStream_tbEUlT_E0_NS1_11comp_targetILNS1_3genE6ELNS1_11target_archE950ELNS1_3gpuE13ELNS1_3repE0EEENS1_52radix_sort_onesweep_histogram_config_static_selectorELNS0_4arch9wavefront6targetE0EEEvSD_,"axG",@progbits,_ZN7rocprim17ROCPRIM_400000_NS6detail17trampoline_kernelINS0_14default_configENS1_35radix_sort_onesweep_config_selectorIbNS0_10empty_typeEEEZNS1_34radix_sort_onesweep_global_offsetsIS3_Lb0EPKbPS5_mNS0_19identity_decomposerEEE10hipError_tT1_T2_PT3_SF_jT4_jjP12ihipStream_tbEUlT_E0_NS1_11comp_targetILNS1_3genE6ELNS1_11target_archE950ELNS1_3gpuE13ELNS1_3repE0EEENS1_52radix_sort_onesweep_histogram_config_static_selectorELNS0_4arch9wavefront6targetE0EEEvSD_,comdat
.Lfunc_end1844:
	.size	_ZN7rocprim17ROCPRIM_400000_NS6detail17trampoline_kernelINS0_14default_configENS1_35radix_sort_onesweep_config_selectorIbNS0_10empty_typeEEEZNS1_34radix_sort_onesweep_global_offsetsIS3_Lb0EPKbPS5_mNS0_19identity_decomposerEEE10hipError_tT1_T2_PT3_SF_jT4_jjP12ihipStream_tbEUlT_E0_NS1_11comp_targetILNS1_3genE6ELNS1_11target_archE950ELNS1_3gpuE13ELNS1_3repE0EEENS1_52radix_sort_onesweep_histogram_config_static_selectorELNS0_4arch9wavefront6targetE0EEEvSD_, .Lfunc_end1844-_ZN7rocprim17ROCPRIM_400000_NS6detail17trampoline_kernelINS0_14default_configENS1_35radix_sort_onesweep_config_selectorIbNS0_10empty_typeEEEZNS1_34radix_sort_onesweep_global_offsetsIS3_Lb0EPKbPS5_mNS0_19identity_decomposerEEE10hipError_tT1_T2_PT3_SF_jT4_jjP12ihipStream_tbEUlT_E0_NS1_11comp_targetILNS1_3genE6ELNS1_11target_archE950ELNS1_3gpuE13ELNS1_3repE0EEENS1_52radix_sort_onesweep_histogram_config_static_selectorELNS0_4arch9wavefront6targetE0EEEvSD_
                                        ; -- End function
	.set _ZN7rocprim17ROCPRIM_400000_NS6detail17trampoline_kernelINS0_14default_configENS1_35radix_sort_onesweep_config_selectorIbNS0_10empty_typeEEEZNS1_34radix_sort_onesweep_global_offsetsIS3_Lb0EPKbPS5_mNS0_19identity_decomposerEEE10hipError_tT1_T2_PT3_SF_jT4_jjP12ihipStream_tbEUlT_E0_NS1_11comp_targetILNS1_3genE6ELNS1_11target_archE950ELNS1_3gpuE13ELNS1_3repE0EEENS1_52radix_sort_onesweep_histogram_config_static_selectorELNS0_4arch9wavefront6targetE0EEEvSD_.num_vgpr, 0
	.set _ZN7rocprim17ROCPRIM_400000_NS6detail17trampoline_kernelINS0_14default_configENS1_35radix_sort_onesweep_config_selectorIbNS0_10empty_typeEEEZNS1_34radix_sort_onesweep_global_offsetsIS3_Lb0EPKbPS5_mNS0_19identity_decomposerEEE10hipError_tT1_T2_PT3_SF_jT4_jjP12ihipStream_tbEUlT_E0_NS1_11comp_targetILNS1_3genE6ELNS1_11target_archE950ELNS1_3gpuE13ELNS1_3repE0EEENS1_52radix_sort_onesweep_histogram_config_static_selectorELNS0_4arch9wavefront6targetE0EEEvSD_.num_agpr, 0
	.set _ZN7rocprim17ROCPRIM_400000_NS6detail17trampoline_kernelINS0_14default_configENS1_35radix_sort_onesweep_config_selectorIbNS0_10empty_typeEEEZNS1_34radix_sort_onesweep_global_offsetsIS3_Lb0EPKbPS5_mNS0_19identity_decomposerEEE10hipError_tT1_T2_PT3_SF_jT4_jjP12ihipStream_tbEUlT_E0_NS1_11comp_targetILNS1_3genE6ELNS1_11target_archE950ELNS1_3gpuE13ELNS1_3repE0EEENS1_52radix_sort_onesweep_histogram_config_static_selectorELNS0_4arch9wavefront6targetE0EEEvSD_.numbered_sgpr, 0
	.set _ZN7rocprim17ROCPRIM_400000_NS6detail17trampoline_kernelINS0_14default_configENS1_35radix_sort_onesweep_config_selectorIbNS0_10empty_typeEEEZNS1_34radix_sort_onesweep_global_offsetsIS3_Lb0EPKbPS5_mNS0_19identity_decomposerEEE10hipError_tT1_T2_PT3_SF_jT4_jjP12ihipStream_tbEUlT_E0_NS1_11comp_targetILNS1_3genE6ELNS1_11target_archE950ELNS1_3gpuE13ELNS1_3repE0EEENS1_52radix_sort_onesweep_histogram_config_static_selectorELNS0_4arch9wavefront6targetE0EEEvSD_.num_named_barrier, 0
	.set _ZN7rocprim17ROCPRIM_400000_NS6detail17trampoline_kernelINS0_14default_configENS1_35radix_sort_onesweep_config_selectorIbNS0_10empty_typeEEEZNS1_34radix_sort_onesweep_global_offsetsIS3_Lb0EPKbPS5_mNS0_19identity_decomposerEEE10hipError_tT1_T2_PT3_SF_jT4_jjP12ihipStream_tbEUlT_E0_NS1_11comp_targetILNS1_3genE6ELNS1_11target_archE950ELNS1_3gpuE13ELNS1_3repE0EEENS1_52radix_sort_onesweep_histogram_config_static_selectorELNS0_4arch9wavefront6targetE0EEEvSD_.private_seg_size, 0
	.set _ZN7rocprim17ROCPRIM_400000_NS6detail17trampoline_kernelINS0_14default_configENS1_35radix_sort_onesweep_config_selectorIbNS0_10empty_typeEEEZNS1_34radix_sort_onesweep_global_offsetsIS3_Lb0EPKbPS5_mNS0_19identity_decomposerEEE10hipError_tT1_T2_PT3_SF_jT4_jjP12ihipStream_tbEUlT_E0_NS1_11comp_targetILNS1_3genE6ELNS1_11target_archE950ELNS1_3gpuE13ELNS1_3repE0EEENS1_52radix_sort_onesweep_histogram_config_static_selectorELNS0_4arch9wavefront6targetE0EEEvSD_.uses_vcc, 0
	.set _ZN7rocprim17ROCPRIM_400000_NS6detail17trampoline_kernelINS0_14default_configENS1_35radix_sort_onesweep_config_selectorIbNS0_10empty_typeEEEZNS1_34radix_sort_onesweep_global_offsetsIS3_Lb0EPKbPS5_mNS0_19identity_decomposerEEE10hipError_tT1_T2_PT3_SF_jT4_jjP12ihipStream_tbEUlT_E0_NS1_11comp_targetILNS1_3genE6ELNS1_11target_archE950ELNS1_3gpuE13ELNS1_3repE0EEENS1_52radix_sort_onesweep_histogram_config_static_selectorELNS0_4arch9wavefront6targetE0EEEvSD_.uses_flat_scratch, 0
	.set _ZN7rocprim17ROCPRIM_400000_NS6detail17trampoline_kernelINS0_14default_configENS1_35radix_sort_onesweep_config_selectorIbNS0_10empty_typeEEEZNS1_34radix_sort_onesweep_global_offsetsIS3_Lb0EPKbPS5_mNS0_19identity_decomposerEEE10hipError_tT1_T2_PT3_SF_jT4_jjP12ihipStream_tbEUlT_E0_NS1_11comp_targetILNS1_3genE6ELNS1_11target_archE950ELNS1_3gpuE13ELNS1_3repE0EEENS1_52radix_sort_onesweep_histogram_config_static_selectorELNS0_4arch9wavefront6targetE0EEEvSD_.has_dyn_sized_stack, 0
	.set _ZN7rocprim17ROCPRIM_400000_NS6detail17trampoline_kernelINS0_14default_configENS1_35radix_sort_onesweep_config_selectorIbNS0_10empty_typeEEEZNS1_34radix_sort_onesweep_global_offsetsIS3_Lb0EPKbPS5_mNS0_19identity_decomposerEEE10hipError_tT1_T2_PT3_SF_jT4_jjP12ihipStream_tbEUlT_E0_NS1_11comp_targetILNS1_3genE6ELNS1_11target_archE950ELNS1_3gpuE13ELNS1_3repE0EEENS1_52radix_sort_onesweep_histogram_config_static_selectorELNS0_4arch9wavefront6targetE0EEEvSD_.has_recursion, 0
	.set _ZN7rocprim17ROCPRIM_400000_NS6detail17trampoline_kernelINS0_14default_configENS1_35radix_sort_onesweep_config_selectorIbNS0_10empty_typeEEEZNS1_34radix_sort_onesweep_global_offsetsIS3_Lb0EPKbPS5_mNS0_19identity_decomposerEEE10hipError_tT1_T2_PT3_SF_jT4_jjP12ihipStream_tbEUlT_E0_NS1_11comp_targetILNS1_3genE6ELNS1_11target_archE950ELNS1_3gpuE13ELNS1_3repE0EEENS1_52radix_sort_onesweep_histogram_config_static_selectorELNS0_4arch9wavefront6targetE0EEEvSD_.has_indirect_call, 0
	.section	.AMDGPU.csdata,"",@progbits
; Kernel info:
; codeLenInByte = 0
; TotalNumSgprs: 0
; NumVgprs: 0
; ScratchSize: 0
; MemoryBound: 0
; FloatMode: 240
; IeeeMode: 1
; LDSByteSize: 0 bytes/workgroup (compile time only)
; SGPRBlocks: 0
; VGPRBlocks: 0
; NumSGPRsForWavesPerEU: 1
; NumVGPRsForWavesPerEU: 1
; NamedBarCnt: 0
; Occupancy: 16
; WaveLimiterHint : 0
; COMPUTE_PGM_RSRC2:SCRATCH_EN: 0
; COMPUTE_PGM_RSRC2:USER_SGPR: 2
; COMPUTE_PGM_RSRC2:TRAP_HANDLER: 0
; COMPUTE_PGM_RSRC2:TGID_X_EN: 1
; COMPUTE_PGM_RSRC2:TGID_Y_EN: 0
; COMPUTE_PGM_RSRC2:TGID_Z_EN: 0
; COMPUTE_PGM_RSRC2:TIDIG_COMP_CNT: 0
	.section	.text._ZN7rocprim17ROCPRIM_400000_NS6detail17trampoline_kernelINS0_14default_configENS1_35radix_sort_onesweep_config_selectorIbNS0_10empty_typeEEEZNS1_34radix_sort_onesweep_global_offsetsIS3_Lb0EPKbPS5_mNS0_19identity_decomposerEEE10hipError_tT1_T2_PT3_SF_jT4_jjP12ihipStream_tbEUlT_E0_NS1_11comp_targetILNS1_3genE5ELNS1_11target_archE942ELNS1_3gpuE9ELNS1_3repE0EEENS1_52radix_sort_onesweep_histogram_config_static_selectorELNS0_4arch9wavefront6targetE0EEEvSD_,"axG",@progbits,_ZN7rocprim17ROCPRIM_400000_NS6detail17trampoline_kernelINS0_14default_configENS1_35radix_sort_onesweep_config_selectorIbNS0_10empty_typeEEEZNS1_34radix_sort_onesweep_global_offsetsIS3_Lb0EPKbPS5_mNS0_19identity_decomposerEEE10hipError_tT1_T2_PT3_SF_jT4_jjP12ihipStream_tbEUlT_E0_NS1_11comp_targetILNS1_3genE5ELNS1_11target_archE942ELNS1_3gpuE9ELNS1_3repE0EEENS1_52radix_sort_onesweep_histogram_config_static_selectorELNS0_4arch9wavefront6targetE0EEEvSD_,comdat
	.protected	_ZN7rocprim17ROCPRIM_400000_NS6detail17trampoline_kernelINS0_14default_configENS1_35radix_sort_onesweep_config_selectorIbNS0_10empty_typeEEEZNS1_34radix_sort_onesweep_global_offsetsIS3_Lb0EPKbPS5_mNS0_19identity_decomposerEEE10hipError_tT1_T2_PT3_SF_jT4_jjP12ihipStream_tbEUlT_E0_NS1_11comp_targetILNS1_3genE5ELNS1_11target_archE942ELNS1_3gpuE9ELNS1_3repE0EEENS1_52radix_sort_onesweep_histogram_config_static_selectorELNS0_4arch9wavefront6targetE0EEEvSD_ ; -- Begin function _ZN7rocprim17ROCPRIM_400000_NS6detail17trampoline_kernelINS0_14default_configENS1_35radix_sort_onesweep_config_selectorIbNS0_10empty_typeEEEZNS1_34radix_sort_onesweep_global_offsetsIS3_Lb0EPKbPS5_mNS0_19identity_decomposerEEE10hipError_tT1_T2_PT3_SF_jT4_jjP12ihipStream_tbEUlT_E0_NS1_11comp_targetILNS1_3genE5ELNS1_11target_archE942ELNS1_3gpuE9ELNS1_3repE0EEENS1_52radix_sort_onesweep_histogram_config_static_selectorELNS0_4arch9wavefront6targetE0EEEvSD_
	.globl	_ZN7rocprim17ROCPRIM_400000_NS6detail17trampoline_kernelINS0_14default_configENS1_35radix_sort_onesweep_config_selectorIbNS0_10empty_typeEEEZNS1_34radix_sort_onesweep_global_offsetsIS3_Lb0EPKbPS5_mNS0_19identity_decomposerEEE10hipError_tT1_T2_PT3_SF_jT4_jjP12ihipStream_tbEUlT_E0_NS1_11comp_targetILNS1_3genE5ELNS1_11target_archE942ELNS1_3gpuE9ELNS1_3repE0EEENS1_52radix_sort_onesweep_histogram_config_static_selectorELNS0_4arch9wavefront6targetE0EEEvSD_
	.p2align	8
	.type	_ZN7rocprim17ROCPRIM_400000_NS6detail17trampoline_kernelINS0_14default_configENS1_35radix_sort_onesweep_config_selectorIbNS0_10empty_typeEEEZNS1_34radix_sort_onesweep_global_offsetsIS3_Lb0EPKbPS5_mNS0_19identity_decomposerEEE10hipError_tT1_T2_PT3_SF_jT4_jjP12ihipStream_tbEUlT_E0_NS1_11comp_targetILNS1_3genE5ELNS1_11target_archE942ELNS1_3gpuE9ELNS1_3repE0EEENS1_52radix_sort_onesweep_histogram_config_static_selectorELNS0_4arch9wavefront6targetE0EEEvSD_,@function
_ZN7rocprim17ROCPRIM_400000_NS6detail17trampoline_kernelINS0_14default_configENS1_35radix_sort_onesweep_config_selectorIbNS0_10empty_typeEEEZNS1_34radix_sort_onesweep_global_offsetsIS3_Lb0EPKbPS5_mNS0_19identity_decomposerEEE10hipError_tT1_T2_PT3_SF_jT4_jjP12ihipStream_tbEUlT_E0_NS1_11comp_targetILNS1_3genE5ELNS1_11target_archE942ELNS1_3gpuE9ELNS1_3repE0EEENS1_52radix_sort_onesweep_histogram_config_static_selectorELNS0_4arch9wavefront6targetE0EEEvSD_: ; @_ZN7rocprim17ROCPRIM_400000_NS6detail17trampoline_kernelINS0_14default_configENS1_35radix_sort_onesweep_config_selectorIbNS0_10empty_typeEEEZNS1_34radix_sort_onesweep_global_offsetsIS3_Lb0EPKbPS5_mNS0_19identity_decomposerEEE10hipError_tT1_T2_PT3_SF_jT4_jjP12ihipStream_tbEUlT_E0_NS1_11comp_targetILNS1_3genE5ELNS1_11target_archE942ELNS1_3gpuE9ELNS1_3repE0EEENS1_52radix_sort_onesweep_histogram_config_static_selectorELNS0_4arch9wavefront6targetE0EEEvSD_
; %bb.0:
	.section	.rodata,"a",@progbits
	.p2align	6, 0x0
	.amdhsa_kernel _ZN7rocprim17ROCPRIM_400000_NS6detail17trampoline_kernelINS0_14default_configENS1_35radix_sort_onesweep_config_selectorIbNS0_10empty_typeEEEZNS1_34radix_sort_onesweep_global_offsetsIS3_Lb0EPKbPS5_mNS0_19identity_decomposerEEE10hipError_tT1_T2_PT3_SF_jT4_jjP12ihipStream_tbEUlT_E0_NS1_11comp_targetILNS1_3genE5ELNS1_11target_archE942ELNS1_3gpuE9ELNS1_3repE0EEENS1_52radix_sort_onesweep_histogram_config_static_selectorELNS0_4arch9wavefront6targetE0EEEvSD_
		.amdhsa_group_segment_fixed_size 0
		.amdhsa_private_segment_fixed_size 0
		.amdhsa_kernarg_size 8
		.amdhsa_user_sgpr_count 2
		.amdhsa_user_sgpr_dispatch_ptr 0
		.amdhsa_user_sgpr_queue_ptr 0
		.amdhsa_user_sgpr_kernarg_segment_ptr 1
		.amdhsa_user_sgpr_dispatch_id 0
		.amdhsa_user_sgpr_kernarg_preload_length 0
		.amdhsa_user_sgpr_kernarg_preload_offset 0
		.amdhsa_user_sgpr_private_segment_size 0
		.amdhsa_wavefront_size32 1
		.amdhsa_uses_dynamic_stack 0
		.amdhsa_enable_private_segment 0
		.amdhsa_system_sgpr_workgroup_id_x 1
		.amdhsa_system_sgpr_workgroup_id_y 0
		.amdhsa_system_sgpr_workgroup_id_z 0
		.amdhsa_system_sgpr_workgroup_info 0
		.amdhsa_system_vgpr_workitem_id 0
		.amdhsa_next_free_vgpr 1
		.amdhsa_next_free_sgpr 1
		.amdhsa_named_barrier_count 0
		.amdhsa_reserve_vcc 0
		.amdhsa_float_round_mode_32 0
		.amdhsa_float_round_mode_16_64 0
		.amdhsa_float_denorm_mode_32 3
		.amdhsa_float_denorm_mode_16_64 3
		.amdhsa_fp16_overflow 0
		.amdhsa_memory_ordered 1
		.amdhsa_forward_progress 1
		.amdhsa_inst_pref_size 0
		.amdhsa_round_robin_scheduling 0
		.amdhsa_exception_fp_ieee_invalid_op 0
		.amdhsa_exception_fp_denorm_src 0
		.amdhsa_exception_fp_ieee_div_zero 0
		.amdhsa_exception_fp_ieee_overflow 0
		.amdhsa_exception_fp_ieee_underflow 0
		.amdhsa_exception_fp_ieee_inexact 0
		.amdhsa_exception_int_div_zero 0
	.end_amdhsa_kernel
	.section	.text._ZN7rocprim17ROCPRIM_400000_NS6detail17trampoline_kernelINS0_14default_configENS1_35radix_sort_onesweep_config_selectorIbNS0_10empty_typeEEEZNS1_34radix_sort_onesweep_global_offsetsIS3_Lb0EPKbPS5_mNS0_19identity_decomposerEEE10hipError_tT1_T2_PT3_SF_jT4_jjP12ihipStream_tbEUlT_E0_NS1_11comp_targetILNS1_3genE5ELNS1_11target_archE942ELNS1_3gpuE9ELNS1_3repE0EEENS1_52radix_sort_onesweep_histogram_config_static_selectorELNS0_4arch9wavefront6targetE0EEEvSD_,"axG",@progbits,_ZN7rocprim17ROCPRIM_400000_NS6detail17trampoline_kernelINS0_14default_configENS1_35radix_sort_onesweep_config_selectorIbNS0_10empty_typeEEEZNS1_34radix_sort_onesweep_global_offsetsIS3_Lb0EPKbPS5_mNS0_19identity_decomposerEEE10hipError_tT1_T2_PT3_SF_jT4_jjP12ihipStream_tbEUlT_E0_NS1_11comp_targetILNS1_3genE5ELNS1_11target_archE942ELNS1_3gpuE9ELNS1_3repE0EEENS1_52radix_sort_onesweep_histogram_config_static_selectorELNS0_4arch9wavefront6targetE0EEEvSD_,comdat
.Lfunc_end1845:
	.size	_ZN7rocprim17ROCPRIM_400000_NS6detail17trampoline_kernelINS0_14default_configENS1_35radix_sort_onesweep_config_selectorIbNS0_10empty_typeEEEZNS1_34radix_sort_onesweep_global_offsetsIS3_Lb0EPKbPS5_mNS0_19identity_decomposerEEE10hipError_tT1_T2_PT3_SF_jT4_jjP12ihipStream_tbEUlT_E0_NS1_11comp_targetILNS1_3genE5ELNS1_11target_archE942ELNS1_3gpuE9ELNS1_3repE0EEENS1_52radix_sort_onesweep_histogram_config_static_selectorELNS0_4arch9wavefront6targetE0EEEvSD_, .Lfunc_end1845-_ZN7rocprim17ROCPRIM_400000_NS6detail17trampoline_kernelINS0_14default_configENS1_35radix_sort_onesweep_config_selectorIbNS0_10empty_typeEEEZNS1_34radix_sort_onesweep_global_offsetsIS3_Lb0EPKbPS5_mNS0_19identity_decomposerEEE10hipError_tT1_T2_PT3_SF_jT4_jjP12ihipStream_tbEUlT_E0_NS1_11comp_targetILNS1_3genE5ELNS1_11target_archE942ELNS1_3gpuE9ELNS1_3repE0EEENS1_52radix_sort_onesweep_histogram_config_static_selectorELNS0_4arch9wavefront6targetE0EEEvSD_
                                        ; -- End function
	.set _ZN7rocprim17ROCPRIM_400000_NS6detail17trampoline_kernelINS0_14default_configENS1_35radix_sort_onesweep_config_selectorIbNS0_10empty_typeEEEZNS1_34radix_sort_onesweep_global_offsetsIS3_Lb0EPKbPS5_mNS0_19identity_decomposerEEE10hipError_tT1_T2_PT3_SF_jT4_jjP12ihipStream_tbEUlT_E0_NS1_11comp_targetILNS1_3genE5ELNS1_11target_archE942ELNS1_3gpuE9ELNS1_3repE0EEENS1_52radix_sort_onesweep_histogram_config_static_selectorELNS0_4arch9wavefront6targetE0EEEvSD_.num_vgpr, 0
	.set _ZN7rocprim17ROCPRIM_400000_NS6detail17trampoline_kernelINS0_14default_configENS1_35radix_sort_onesweep_config_selectorIbNS0_10empty_typeEEEZNS1_34radix_sort_onesweep_global_offsetsIS3_Lb0EPKbPS5_mNS0_19identity_decomposerEEE10hipError_tT1_T2_PT3_SF_jT4_jjP12ihipStream_tbEUlT_E0_NS1_11comp_targetILNS1_3genE5ELNS1_11target_archE942ELNS1_3gpuE9ELNS1_3repE0EEENS1_52radix_sort_onesweep_histogram_config_static_selectorELNS0_4arch9wavefront6targetE0EEEvSD_.num_agpr, 0
	.set _ZN7rocprim17ROCPRIM_400000_NS6detail17trampoline_kernelINS0_14default_configENS1_35radix_sort_onesweep_config_selectorIbNS0_10empty_typeEEEZNS1_34radix_sort_onesweep_global_offsetsIS3_Lb0EPKbPS5_mNS0_19identity_decomposerEEE10hipError_tT1_T2_PT3_SF_jT4_jjP12ihipStream_tbEUlT_E0_NS1_11comp_targetILNS1_3genE5ELNS1_11target_archE942ELNS1_3gpuE9ELNS1_3repE0EEENS1_52radix_sort_onesweep_histogram_config_static_selectorELNS0_4arch9wavefront6targetE0EEEvSD_.numbered_sgpr, 0
	.set _ZN7rocprim17ROCPRIM_400000_NS6detail17trampoline_kernelINS0_14default_configENS1_35radix_sort_onesweep_config_selectorIbNS0_10empty_typeEEEZNS1_34radix_sort_onesweep_global_offsetsIS3_Lb0EPKbPS5_mNS0_19identity_decomposerEEE10hipError_tT1_T2_PT3_SF_jT4_jjP12ihipStream_tbEUlT_E0_NS1_11comp_targetILNS1_3genE5ELNS1_11target_archE942ELNS1_3gpuE9ELNS1_3repE0EEENS1_52radix_sort_onesweep_histogram_config_static_selectorELNS0_4arch9wavefront6targetE0EEEvSD_.num_named_barrier, 0
	.set _ZN7rocprim17ROCPRIM_400000_NS6detail17trampoline_kernelINS0_14default_configENS1_35radix_sort_onesweep_config_selectorIbNS0_10empty_typeEEEZNS1_34radix_sort_onesweep_global_offsetsIS3_Lb0EPKbPS5_mNS0_19identity_decomposerEEE10hipError_tT1_T2_PT3_SF_jT4_jjP12ihipStream_tbEUlT_E0_NS1_11comp_targetILNS1_3genE5ELNS1_11target_archE942ELNS1_3gpuE9ELNS1_3repE0EEENS1_52radix_sort_onesweep_histogram_config_static_selectorELNS0_4arch9wavefront6targetE0EEEvSD_.private_seg_size, 0
	.set _ZN7rocprim17ROCPRIM_400000_NS6detail17trampoline_kernelINS0_14default_configENS1_35radix_sort_onesweep_config_selectorIbNS0_10empty_typeEEEZNS1_34radix_sort_onesweep_global_offsetsIS3_Lb0EPKbPS5_mNS0_19identity_decomposerEEE10hipError_tT1_T2_PT3_SF_jT4_jjP12ihipStream_tbEUlT_E0_NS1_11comp_targetILNS1_3genE5ELNS1_11target_archE942ELNS1_3gpuE9ELNS1_3repE0EEENS1_52radix_sort_onesweep_histogram_config_static_selectorELNS0_4arch9wavefront6targetE0EEEvSD_.uses_vcc, 0
	.set _ZN7rocprim17ROCPRIM_400000_NS6detail17trampoline_kernelINS0_14default_configENS1_35radix_sort_onesweep_config_selectorIbNS0_10empty_typeEEEZNS1_34radix_sort_onesweep_global_offsetsIS3_Lb0EPKbPS5_mNS0_19identity_decomposerEEE10hipError_tT1_T2_PT3_SF_jT4_jjP12ihipStream_tbEUlT_E0_NS1_11comp_targetILNS1_3genE5ELNS1_11target_archE942ELNS1_3gpuE9ELNS1_3repE0EEENS1_52radix_sort_onesweep_histogram_config_static_selectorELNS0_4arch9wavefront6targetE0EEEvSD_.uses_flat_scratch, 0
	.set _ZN7rocprim17ROCPRIM_400000_NS6detail17trampoline_kernelINS0_14default_configENS1_35radix_sort_onesweep_config_selectorIbNS0_10empty_typeEEEZNS1_34radix_sort_onesweep_global_offsetsIS3_Lb0EPKbPS5_mNS0_19identity_decomposerEEE10hipError_tT1_T2_PT3_SF_jT4_jjP12ihipStream_tbEUlT_E0_NS1_11comp_targetILNS1_3genE5ELNS1_11target_archE942ELNS1_3gpuE9ELNS1_3repE0EEENS1_52radix_sort_onesweep_histogram_config_static_selectorELNS0_4arch9wavefront6targetE0EEEvSD_.has_dyn_sized_stack, 0
	.set _ZN7rocprim17ROCPRIM_400000_NS6detail17trampoline_kernelINS0_14default_configENS1_35radix_sort_onesweep_config_selectorIbNS0_10empty_typeEEEZNS1_34radix_sort_onesweep_global_offsetsIS3_Lb0EPKbPS5_mNS0_19identity_decomposerEEE10hipError_tT1_T2_PT3_SF_jT4_jjP12ihipStream_tbEUlT_E0_NS1_11comp_targetILNS1_3genE5ELNS1_11target_archE942ELNS1_3gpuE9ELNS1_3repE0EEENS1_52radix_sort_onesweep_histogram_config_static_selectorELNS0_4arch9wavefront6targetE0EEEvSD_.has_recursion, 0
	.set _ZN7rocprim17ROCPRIM_400000_NS6detail17trampoline_kernelINS0_14default_configENS1_35radix_sort_onesweep_config_selectorIbNS0_10empty_typeEEEZNS1_34radix_sort_onesweep_global_offsetsIS3_Lb0EPKbPS5_mNS0_19identity_decomposerEEE10hipError_tT1_T2_PT3_SF_jT4_jjP12ihipStream_tbEUlT_E0_NS1_11comp_targetILNS1_3genE5ELNS1_11target_archE942ELNS1_3gpuE9ELNS1_3repE0EEENS1_52radix_sort_onesweep_histogram_config_static_selectorELNS0_4arch9wavefront6targetE0EEEvSD_.has_indirect_call, 0
	.section	.AMDGPU.csdata,"",@progbits
; Kernel info:
; codeLenInByte = 0
; TotalNumSgprs: 0
; NumVgprs: 0
; ScratchSize: 0
; MemoryBound: 0
; FloatMode: 240
; IeeeMode: 1
; LDSByteSize: 0 bytes/workgroup (compile time only)
; SGPRBlocks: 0
; VGPRBlocks: 0
; NumSGPRsForWavesPerEU: 1
; NumVGPRsForWavesPerEU: 1
; NamedBarCnt: 0
; Occupancy: 16
; WaveLimiterHint : 0
; COMPUTE_PGM_RSRC2:SCRATCH_EN: 0
; COMPUTE_PGM_RSRC2:USER_SGPR: 2
; COMPUTE_PGM_RSRC2:TRAP_HANDLER: 0
; COMPUTE_PGM_RSRC2:TGID_X_EN: 1
; COMPUTE_PGM_RSRC2:TGID_Y_EN: 0
; COMPUTE_PGM_RSRC2:TGID_Z_EN: 0
; COMPUTE_PGM_RSRC2:TIDIG_COMP_CNT: 0
	.section	.text._ZN7rocprim17ROCPRIM_400000_NS6detail17trampoline_kernelINS0_14default_configENS1_35radix_sort_onesweep_config_selectorIbNS0_10empty_typeEEEZNS1_34radix_sort_onesweep_global_offsetsIS3_Lb0EPKbPS5_mNS0_19identity_decomposerEEE10hipError_tT1_T2_PT3_SF_jT4_jjP12ihipStream_tbEUlT_E0_NS1_11comp_targetILNS1_3genE2ELNS1_11target_archE906ELNS1_3gpuE6ELNS1_3repE0EEENS1_52radix_sort_onesweep_histogram_config_static_selectorELNS0_4arch9wavefront6targetE0EEEvSD_,"axG",@progbits,_ZN7rocprim17ROCPRIM_400000_NS6detail17trampoline_kernelINS0_14default_configENS1_35radix_sort_onesweep_config_selectorIbNS0_10empty_typeEEEZNS1_34radix_sort_onesweep_global_offsetsIS3_Lb0EPKbPS5_mNS0_19identity_decomposerEEE10hipError_tT1_T2_PT3_SF_jT4_jjP12ihipStream_tbEUlT_E0_NS1_11comp_targetILNS1_3genE2ELNS1_11target_archE906ELNS1_3gpuE6ELNS1_3repE0EEENS1_52radix_sort_onesweep_histogram_config_static_selectorELNS0_4arch9wavefront6targetE0EEEvSD_,comdat
	.protected	_ZN7rocprim17ROCPRIM_400000_NS6detail17trampoline_kernelINS0_14default_configENS1_35radix_sort_onesweep_config_selectorIbNS0_10empty_typeEEEZNS1_34radix_sort_onesweep_global_offsetsIS3_Lb0EPKbPS5_mNS0_19identity_decomposerEEE10hipError_tT1_T2_PT3_SF_jT4_jjP12ihipStream_tbEUlT_E0_NS1_11comp_targetILNS1_3genE2ELNS1_11target_archE906ELNS1_3gpuE6ELNS1_3repE0EEENS1_52radix_sort_onesweep_histogram_config_static_selectorELNS0_4arch9wavefront6targetE0EEEvSD_ ; -- Begin function _ZN7rocprim17ROCPRIM_400000_NS6detail17trampoline_kernelINS0_14default_configENS1_35radix_sort_onesweep_config_selectorIbNS0_10empty_typeEEEZNS1_34radix_sort_onesweep_global_offsetsIS3_Lb0EPKbPS5_mNS0_19identity_decomposerEEE10hipError_tT1_T2_PT3_SF_jT4_jjP12ihipStream_tbEUlT_E0_NS1_11comp_targetILNS1_3genE2ELNS1_11target_archE906ELNS1_3gpuE6ELNS1_3repE0EEENS1_52radix_sort_onesweep_histogram_config_static_selectorELNS0_4arch9wavefront6targetE0EEEvSD_
	.globl	_ZN7rocprim17ROCPRIM_400000_NS6detail17trampoline_kernelINS0_14default_configENS1_35radix_sort_onesweep_config_selectorIbNS0_10empty_typeEEEZNS1_34radix_sort_onesweep_global_offsetsIS3_Lb0EPKbPS5_mNS0_19identity_decomposerEEE10hipError_tT1_T2_PT3_SF_jT4_jjP12ihipStream_tbEUlT_E0_NS1_11comp_targetILNS1_3genE2ELNS1_11target_archE906ELNS1_3gpuE6ELNS1_3repE0EEENS1_52radix_sort_onesweep_histogram_config_static_selectorELNS0_4arch9wavefront6targetE0EEEvSD_
	.p2align	8
	.type	_ZN7rocprim17ROCPRIM_400000_NS6detail17trampoline_kernelINS0_14default_configENS1_35radix_sort_onesweep_config_selectorIbNS0_10empty_typeEEEZNS1_34radix_sort_onesweep_global_offsetsIS3_Lb0EPKbPS5_mNS0_19identity_decomposerEEE10hipError_tT1_T2_PT3_SF_jT4_jjP12ihipStream_tbEUlT_E0_NS1_11comp_targetILNS1_3genE2ELNS1_11target_archE906ELNS1_3gpuE6ELNS1_3repE0EEENS1_52radix_sort_onesweep_histogram_config_static_selectorELNS0_4arch9wavefront6targetE0EEEvSD_,@function
_ZN7rocprim17ROCPRIM_400000_NS6detail17trampoline_kernelINS0_14default_configENS1_35radix_sort_onesweep_config_selectorIbNS0_10empty_typeEEEZNS1_34radix_sort_onesweep_global_offsetsIS3_Lb0EPKbPS5_mNS0_19identity_decomposerEEE10hipError_tT1_T2_PT3_SF_jT4_jjP12ihipStream_tbEUlT_E0_NS1_11comp_targetILNS1_3genE2ELNS1_11target_archE906ELNS1_3gpuE6ELNS1_3repE0EEENS1_52radix_sort_onesweep_histogram_config_static_selectorELNS0_4arch9wavefront6targetE0EEEvSD_: ; @_ZN7rocprim17ROCPRIM_400000_NS6detail17trampoline_kernelINS0_14default_configENS1_35radix_sort_onesweep_config_selectorIbNS0_10empty_typeEEEZNS1_34radix_sort_onesweep_global_offsetsIS3_Lb0EPKbPS5_mNS0_19identity_decomposerEEE10hipError_tT1_T2_PT3_SF_jT4_jjP12ihipStream_tbEUlT_E0_NS1_11comp_targetILNS1_3genE2ELNS1_11target_archE906ELNS1_3gpuE6ELNS1_3repE0EEENS1_52radix_sort_onesweep_histogram_config_static_selectorELNS0_4arch9wavefront6targetE0EEEvSD_
; %bb.0:
	.section	.rodata,"a",@progbits
	.p2align	6, 0x0
	.amdhsa_kernel _ZN7rocprim17ROCPRIM_400000_NS6detail17trampoline_kernelINS0_14default_configENS1_35radix_sort_onesweep_config_selectorIbNS0_10empty_typeEEEZNS1_34radix_sort_onesweep_global_offsetsIS3_Lb0EPKbPS5_mNS0_19identity_decomposerEEE10hipError_tT1_T2_PT3_SF_jT4_jjP12ihipStream_tbEUlT_E0_NS1_11comp_targetILNS1_3genE2ELNS1_11target_archE906ELNS1_3gpuE6ELNS1_3repE0EEENS1_52radix_sort_onesweep_histogram_config_static_selectorELNS0_4arch9wavefront6targetE0EEEvSD_
		.amdhsa_group_segment_fixed_size 0
		.amdhsa_private_segment_fixed_size 0
		.amdhsa_kernarg_size 8
		.amdhsa_user_sgpr_count 2
		.amdhsa_user_sgpr_dispatch_ptr 0
		.amdhsa_user_sgpr_queue_ptr 0
		.amdhsa_user_sgpr_kernarg_segment_ptr 1
		.amdhsa_user_sgpr_dispatch_id 0
		.amdhsa_user_sgpr_kernarg_preload_length 0
		.amdhsa_user_sgpr_kernarg_preload_offset 0
		.amdhsa_user_sgpr_private_segment_size 0
		.amdhsa_wavefront_size32 1
		.amdhsa_uses_dynamic_stack 0
		.amdhsa_enable_private_segment 0
		.amdhsa_system_sgpr_workgroup_id_x 1
		.amdhsa_system_sgpr_workgroup_id_y 0
		.amdhsa_system_sgpr_workgroup_id_z 0
		.amdhsa_system_sgpr_workgroup_info 0
		.amdhsa_system_vgpr_workitem_id 0
		.amdhsa_next_free_vgpr 1
		.amdhsa_next_free_sgpr 1
		.amdhsa_named_barrier_count 0
		.amdhsa_reserve_vcc 0
		.amdhsa_float_round_mode_32 0
		.amdhsa_float_round_mode_16_64 0
		.amdhsa_float_denorm_mode_32 3
		.amdhsa_float_denorm_mode_16_64 3
		.amdhsa_fp16_overflow 0
		.amdhsa_memory_ordered 1
		.amdhsa_forward_progress 1
		.amdhsa_inst_pref_size 0
		.amdhsa_round_robin_scheduling 0
		.amdhsa_exception_fp_ieee_invalid_op 0
		.amdhsa_exception_fp_denorm_src 0
		.amdhsa_exception_fp_ieee_div_zero 0
		.amdhsa_exception_fp_ieee_overflow 0
		.amdhsa_exception_fp_ieee_underflow 0
		.amdhsa_exception_fp_ieee_inexact 0
		.amdhsa_exception_int_div_zero 0
	.end_amdhsa_kernel
	.section	.text._ZN7rocprim17ROCPRIM_400000_NS6detail17trampoline_kernelINS0_14default_configENS1_35radix_sort_onesweep_config_selectorIbNS0_10empty_typeEEEZNS1_34radix_sort_onesweep_global_offsetsIS3_Lb0EPKbPS5_mNS0_19identity_decomposerEEE10hipError_tT1_T2_PT3_SF_jT4_jjP12ihipStream_tbEUlT_E0_NS1_11comp_targetILNS1_3genE2ELNS1_11target_archE906ELNS1_3gpuE6ELNS1_3repE0EEENS1_52radix_sort_onesweep_histogram_config_static_selectorELNS0_4arch9wavefront6targetE0EEEvSD_,"axG",@progbits,_ZN7rocprim17ROCPRIM_400000_NS6detail17trampoline_kernelINS0_14default_configENS1_35radix_sort_onesweep_config_selectorIbNS0_10empty_typeEEEZNS1_34radix_sort_onesweep_global_offsetsIS3_Lb0EPKbPS5_mNS0_19identity_decomposerEEE10hipError_tT1_T2_PT3_SF_jT4_jjP12ihipStream_tbEUlT_E0_NS1_11comp_targetILNS1_3genE2ELNS1_11target_archE906ELNS1_3gpuE6ELNS1_3repE0EEENS1_52radix_sort_onesweep_histogram_config_static_selectorELNS0_4arch9wavefront6targetE0EEEvSD_,comdat
.Lfunc_end1846:
	.size	_ZN7rocprim17ROCPRIM_400000_NS6detail17trampoline_kernelINS0_14default_configENS1_35radix_sort_onesweep_config_selectorIbNS0_10empty_typeEEEZNS1_34radix_sort_onesweep_global_offsetsIS3_Lb0EPKbPS5_mNS0_19identity_decomposerEEE10hipError_tT1_T2_PT3_SF_jT4_jjP12ihipStream_tbEUlT_E0_NS1_11comp_targetILNS1_3genE2ELNS1_11target_archE906ELNS1_3gpuE6ELNS1_3repE0EEENS1_52radix_sort_onesweep_histogram_config_static_selectorELNS0_4arch9wavefront6targetE0EEEvSD_, .Lfunc_end1846-_ZN7rocprim17ROCPRIM_400000_NS6detail17trampoline_kernelINS0_14default_configENS1_35radix_sort_onesweep_config_selectorIbNS0_10empty_typeEEEZNS1_34radix_sort_onesweep_global_offsetsIS3_Lb0EPKbPS5_mNS0_19identity_decomposerEEE10hipError_tT1_T2_PT3_SF_jT4_jjP12ihipStream_tbEUlT_E0_NS1_11comp_targetILNS1_3genE2ELNS1_11target_archE906ELNS1_3gpuE6ELNS1_3repE0EEENS1_52radix_sort_onesweep_histogram_config_static_selectorELNS0_4arch9wavefront6targetE0EEEvSD_
                                        ; -- End function
	.set _ZN7rocprim17ROCPRIM_400000_NS6detail17trampoline_kernelINS0_14default_configENS1_35radix_sort_onesweep_config_selectorIbNS0_10empty_typeEEEZNS1_34radix_sort_onesweep_global_offsetsIS3_Lb0EPKbPS5_mNS0_19identity_decomposerEEE10hipError_tT1_T2_PT3_SF_jT4_jjP12ihipStream_tbEUlT_E0_NS1_11comp_targetILNS1_3genE2ELNS1_11target_archE906ELNS1_3gpuE6ELNS1_3repE0EEENS1_52radix_sort_onesweep_histogram_config_static_selectorELNS0_4arch9wavefront6targetE0EEEvSD_.num_vgpr, 0
	.set _ZN7rocprim17ROCPRIM_400000_NS6detail17trampoline_kernelINS0_14default_configENS1_35radix_sort_onesweep_config_selectorIbNS0_10empty_typeEEEZNS1_34radix_sort_onesweep_global_offsetsIS3_Lb0EPKbPS5_mNS0_19identity_decomposerEEE10hipError_tT1_T2_PT3_SF_jT4_jjP12ihipStream_tbEUlT_E0_NS1_11comp_targetILNS1_3genE2ELNS1_11target_archE906ELNS1_3gpuE6ELNS1_3repE0EEENS1_52radix_sort_onesweep_histogram_config_static_selectorELNS0_4arch9wavefront6targetE0EEEvSD_.num_agpr, 0
	.set _ZN7rocprim17ROCPRIM_400000_NS6detail17trampoline_kernelINS0_14default_configENS1_35radix_sort_onesweep_config_selectorIbNS0_10empty_typeEEEZNS1_34radix_sort_onesweep_global_offsetsIS3_Lb0EPKbPS5_mNS0_19identity_decomposerEEE10hipError_tT1_T2_PT3_SF_jT4_jjP12ihipStream_tbEUlT_E0_NS1_11comp_targetILNS1_3genE2ELNS1_11target_archE906ELNS1_3gpuE6ELNS1_3repE0EEENS1_52radix_sort_onesweep_histogram_config_static_selectorELNS0_4arch9wavefront6targetE0EEEvSD_.numbered_sgpr, 0
	.set _ZN7rocprim17ROCPRIM_400000_NS6detail17trampoline_kernelINS0_14default_configENS1_35radix_sort_onesweep_config_selectorIbNS0_10empty_typeEEEZNS1_34radix_sort_onesweep_global_offsetsIS3_Lb0EPKbPS5_mNS0_19identity_decomposerEEE10hipError_tT1_T2_PT3_SF_jT4_jjP12ihipStream_tbEUlT_E0_NS1_11comp_targetILNS1_3genE2ELNS1_11target_archE906ELNS1_3gpuE6ELNS1_3repE0EEENS1_52radix_sort_onesweep_histogram_config_static_selectorELNS0_4arch9wavefront6targetE0EEEvSD_.num_named_barrier, 0
	.set _ZN7rocprim17ROCPRIM_400000_NS6detail17trampoline_kernelINS0_14default_configENS1_35radix_sort_onesweep_config_selectorIbNS0_10empty_typeEEEZNS1_34radix_sort_onesweep_global_offsetsIS3_Lb0EPKbPS5_mNS0_19identity_decomposerEEE10hipError_tT1_T2_PT3_SF_jT4_jjP12ihipStream_tbEUlT_E0_NS1_11comp_targetILNS1_3genE2ELNS1_11target_archE906ELNS1_3gpuE6ELNS1_3repE0EEENS1_52radix_sort_onesweep_histogram_config_static_selectorELNS0_4arch9wavefront6targetE0EEEvSD_.private_seg_size, 0
	.set _ZN7rocprim17ROCPRIM_400000_NS6detail17trampoline_kernelINS0_14default_configENS1_35radix_sort_onesweep_config_selectorIbNS0_10empty_typeEEEZNS1_34radix_sort_onesweep_global_offsetsIS3_Lb0EPKbPS5_mNS0_19identity_decomposerEEE10hipError_tT1_T2_PT3_SF_jT4_jjP12ihipStream_tbEUlT_E0_NS1_11comp_targetILNS1_3genE2ELNS1_11target_archE906ELNS1_3gpuE6ELNS1_3repE0EEENS1_52radix_sort_onesweep_histogram_config_static_selectorELNS0_4arch9wavefront6targetE0EEEvSD_.uses_vcc, 0
	.set _ZN7rocprim17ROCPRIM_400000_NS6detail17trampoline_kernelINS0_14default_configENS1_35radix_sort_onesweep_config_selectorIbNS0_10empty_typeEEEZNS1_34radix_sort_onesweep_global_offsetsIS3_Lb0EPKbPS5_mNS0_19identity_decomposerEEE10hipError_tT1_T2_PT3_SF_jT4_jjP12ihipStream_tbEUlT_E0_NS1_11comp_targetILNS1_3genE2ELNS1_11target_archE906ELNS1_3gpuE6ELNS1_3repE0EEENS1_52radix_sort_onesweep_histogram_config_static_selectorELNS0_4arch9wavefront6targetE0EEEvSD_.uses_flat_scratch, 0
	.set _ZN7rocprim17ROCPRIM_400000_NS6detail17trampoline_kernelINS0_14default_configENS1_35radix_sort_onesweep_config_selectorIbNS0_10empty_typeEEEZNS1_34radix_sort_onesweep_global_offsetsIS3_Lb0EPKbPS5_mNS0_19identity_decomposerEEE10hipError_tT1_T2_PT3_SF_jT4_jjP12ihipStream_tbEUlT_E0_NS1_11comp_targetILNS1_3genE2ELNS1_11target_archE906ELNS1_3gpuE6ELNS1_3repE0EEENS1_52radix_sort_onesweep_histogram_config_static_selectorELNS0_4arch9wavefront6targetE0EEEvSD_.has_dyn_sized_stack, 0
	.set _ZN7rocprim17ROCPRIM_400000_NS6detail17trampoline_kernelINS0_14default_configENS1_35radix_sort_onesweep_config_selectorIbNS0_10empty_typeEEEZNS1_34radix_sort_onesweep_global_offsetsIS3_Lb0EPKbPS5_mNS0_19identity_decomposerEEE10hipError_tT1_T2_PT3_SF_jT4_jjP12ihipStream_tbEUlT_E0_NS1_11comp_targetILNS1_3genE2ELNS1_11target_archE906ELNS1_3gpuE6ELNS1_3repE0EEENS1_52radix_sort_onesweep_histogram_config_static_selectorELNS0_4arch9wavefront6targetE0EEEvSD_.has_recursion, 0
	.set _ZN7rocprim17ROCPRIM_400000_NS6detail17trampoline_kernelINS0_14default_configENS1_35radix_sort_onesweep_config_selectorIbNS0_10empty_typeEEEZNS1_34radix_sort_onesweep_global_offsetsIS3_Lb0EPKbPS5_mNS0_19identity_decomposerEEE10hipError_tT1_T2_PT3_SF_jT4_jjP12ihipStream_tbEUlT_E0_NS1_11comp_targetILNS1_3genE2ELNS1_11target_archE906ELNS1_3gpuE6ELNS1_3repE0EEENS1_52radix_sort_onesweep_histogram_config_static_selectorELNS0_4arch9wavefront6targetE0EEEvSD_.has_indirect_call, 0
	.section	.AMDGPU.csdata,"",@progbits
; Kernel info:
; codeLenInByte = 0
; TotalNumSgprs: 0
; NumVgprs: 0
; ScratchSize: 0
; MemoryBound: 0
; FloatMode: 240
; IeeeMode: 1
; LDSByteSize: 0 bytes/workgroup (compile time only)
; SGPRBlocks: 0
; VGPRBlocks: 0
; NumSGPRsForWavesPerEU: 1
; NumVGPRsForWavesPerEU: 1
; NamedBarCnt: 0
; Occupancy: 16
; WaveLimiterHint : 0
; COMPUTE_PGM_RSRC2:SCRATCH_EN: 0
; COMPUTE_PGM_RSRC2:USER_SGPR: 2
; COMPUTE_PGM_RSRC2:TRAP_HANDLER: 0
; COMPUTE_PGM_RSRC2:TGID_X_EN: 1
; COMPUTE_PGM_RSRC2:TGID_Y_EN: 0
; COMPUTE_PGM_RSRC2:TGID_Z_EN: 0
; COMPUTE_PGM_RSRC2:TIDIG_COMP_CNT: 0
	.section	.text._ZN7rocprim17ROCPRIM_400000_NS6detail17trampoline_kernelINS0_14default_configENS1_35radix_sort_onesweep_config_selectorIbNS0_10empty_typeEEEZNS1_34radix_sort_onesweep_global_offsetsIS3_Lb0EPKbPS5_mNS0_19identity_decomposerEEE10hipError_tT1_T2_PT3_SF_jT4_jjP12ihipStream_tbEUlT_E0_NS1_11comp_targetILNS1_3genE4ELNS1_11target_archE910ELNS1_3gpuE8ELNS1_3repE0EEENS1_52radix_sort_onesweep_histogram_config_static_selectorELNS0_4arch9wavefront6targetE0EEEvSD_,"axG",@progbits,_ZN7rocprim17ROCPRIM_400000_NS6detail17trampoline_kernelINS0_14default_configENS1_35radix_sort_onesweep_config_selectorIbNS0_10empty_typeEEEZNS1_34radix_sort_onesweep_global_offsetsIS3_Lb0EPKbPS5_mNS0_19identity_decomposerEEE10hipError_tT1_T2_PT3_SF_jT4_jjP12ihipStream_tbEUlT_E0_NS1_11comp_targetILNS1_3genE4ELNS1_11target_archE910ELNS1_3gpuE8ELNS1_3repE0EEENS1_52radix_sort_onesweep_histogram_config_static_selectorELNS0_4arch9wavefront6targetE0EEEvSD_,comdat
	.protected	_ZN7rocprim17ROCPRIM_400000_NS6detail17trampoline_kernelINS0_14default_configENS1_35radix_sort_onesweep_config_selectorIbNS0_10empty_typeEEEZNS1_34radix_sort_onesweep_global_offsetsIS3_Lb0EPKbPS5_mNS0_19identity_decomposerEEE10hipError_tT1_T2_PT3_SF_jT4_jjP12ihipStream_tbEUlT_E0_NS1_11comp_targetILNS1_3genE4ELNS1_11target_archE910ELNS1_3gpuE8ELNS1_3repE0EEENS1_52radix_sort_onesweep_histogram_config_static_selectorELNS0_4arch9wavefront6targetE0EEEvSD_ ; -- Begin function _ZN7rocprim17ROCPRIM_400000_NS6detail17trampoline_kernelINS0_14default_configENS1_35radix_sort_onesweep_config_selectorIbNS0_10empty_typeEEEZNS1_34radix_sort_onesweep_global_offsetsIS3_Lb0EPKbPS5_mNS0_19identity_decomposerEEE10hipError_tT1_T2_PT3_SF_jT4_jjP12ihipStream_tbEUlT_E0_NS1_11comp_targetILNS1_3genE4ELNS1_11target_archE910ELNS1_3gpuE8ELNS1_3repE0EEENS1_52radix_sort_onesweep_histogram_config_static_selectorELNS0_4arch9wavefront6targetE0EEEvSD_
	.globl	_ZN7rocprim17ROCPRIM_400000_NS6detail17trampoline_kernelINS0_14default_configENS1_35radix_sort_onesweep_config_selectorIbNS0_10empty_typeEEEZNS1_34radix_sort_onesweep_global_offsetsIS3_Lb0EPKbPS5_mNS0_19identity_decomposerEEE10hipError_tT1_T2_PT3_SF_jT4_jjP12ihipStream_tbEUlT_E0_NS1_11comp_targetILNS1_3genE4ELNS1_11target_archE910ELNS1_3gpuE8ELNS1_3repE0EEENS1_52radix_sort_onesweep_histogram_config_static_selectorELNS0_4arch9wavefront6targetE0EEEvSD_
	.p2align	8
	.type	_ZN7rocprim17ROCPRIM_400000_NS6detail17trampoline_kernelINS0_14default_configENS1_35radix_sort_onesweep_config_selectorIbNS0_10empty_typeEEEZNS1_34radix_sort_onesweep_global_offsetsIS3_Lb0EPKbPS5_mNS0_19identity_decomposerEEE10hipError_tT1_T2_PT3_SF_jT4_jjP12ihipStream_tbEUlT_E0_NS1_11comp_targetILNS1_3genE4ELNS1_11target_archE910ELNS1_3gpuE8ELNS1_3repE0EEENS1_52radix_sort_onesweep_histogram_config_static_selectorELNS0_4arch9wavefront6targetE0EEEvSD_,@function
_ZN7rocprim17ROCPRIM_400000_NS6detail17trampoline_kernelINS0_14default_configENS1_35radix_sort_onesweep_config_selectorIbNS0_10empty_typeEEEZNS1_34radix_sort_onesweep_global_offsetsIS3_Lb0EPKbPS5_mNS0_19identity_decomposerEEE10hipError_tT1_T2_PT3_SF_jT4_jjP12ihipStream_tbEUlT_E0_NS1_11comp_targetILNS1_3genE4ELNS1_11target_archE910ELNS1_3gpuE8ELNS1_3repE0EEENS1_52radix_sort_onesweep_histogram_config_static_selectorELNS0_4arch9wavefront6targetE0EEEvSD_: ; @_ZN7rocprim17ROCPRIM_400000_NS6detail17trampoline_kernelINS0_14default_configENS1_35radix_sort_onesweep_config_selectorIbNS0_10empty_typeEEEZNS1_34radix_sort_onesweep_global_offsetsIS3_Lb0EPKbPS5_mNS0_19identity_decomposerEEE10hipError_tT1_T2_PT3_SF_jT4_jjP12ihipStream_tbEUlT_E0_NS1_11comp_targetILNS1_3genE4ELNS1_11target_archE910ELNS1_3gpuE8ELNS1_3repE0EEENS1_52radix_sort_onesweep_histogram_config_static_selectorELNS0_4arch9wavefront6targetE0EEEvSD_
; %bb.0:
	.section	.rodata,"a",@progbits
	.p2align	6, 0x0
	.amdhsa_kernel _ZN7rocprim17ROCPRIM_400000_NS6detail17trampoline_kernelINS0_14default_configENS1_35radix_sort_onesweep_config_selectorIbNS0_10empty_typeEEEZNS1_34radix_sort_onesweep_global_offsetsIS3_Lb0EPKbPS5_mNS0_19identity_decomposerEEE10hipError_tT1_T2_PT3_SF_jT4_jjP12ihipStream_tbEUlT_E0_NS1_11comp_targetILNS1_3genE4ELNS1_11target_archE910ELNS1_3gpuE8ELNS1_3repE0EEENS1_52radix_sort_onesweep_histogram_config_static_selectorELNS0_4arch9wavefront6targetE0EEEvSD_
		.amdhsa_group_segment_fixed_size 0
		.amdhsa_private_segment_fixed_size 0
		.amdhsa_kernarg_size 8
		.amdhsa_user_sgpr_count 2
		.amdhsa_user_sgpr_dispatch_ptr 0
		.amdhsa_user_sgpr_queue_ptr 0
		.amdhsa_user_sgpr_kernarg_segment_ptr 1
		.amdhsa_user_sgpr_dispatch_id 0
		.amdhsa_user_sgpr_kernarg_preload_length 0
		.amdhsa_user_sgpr_kernarg_preload_offset 0
		.amdhsa_user_sgpr_private_segment_size 0
		.amdhsa_wavefront_size32 1
		.amdhsa_uses_dynamic_stack 0
		.amdhsa_enable_private_segment 0
		.amdhsa_system_sgpr_workgroup_id_x 1
		.amdhsa_system_sgpr_workgroup_id_y 0
		.amdhsa_system_sgpr_workgroup_id_z 0
		.amdhsa_system_sgpr_workgroup_info 0
		.amdhsa_system_vgpr_workitem_id 0
		.amdhsa_next_free_vgpr 1
		.amdhsa_next_free_sgpr 1
		.amdhsa_named_barrier_count 0
		.amdhsa_reserve_vcc 0
		.amdhsa_float_round_mode_32 0
		.amdhsa_float_round_mode_16_64 0
		.amdhsa_float_denorm_mode_32 3
		.amdhsa_float_denorm_mode_16_64 3
		.amdhsa_fp16_overflow 0
		.amdhsa_memory_ordered 1
		.amdhsa_forward_progress 1
		.amdhsa_inst_pref_size 0
		.amdhsa_round_robin_scheduling 0
		.amdhsa_exception_fp_ieee_invalid_op 0
		.amdhsa_exception_fp_denorm_src 0
		.amdhsa_exception_fp_ieee_div_zero 0
		.amdhsa_exception_fp_ieee_overflow 0
		.amdhsa_exception_fp_ieee_underflow 0
		.amdhsa_exception_fp_ieee_inexact 0
		.amdhsa_exception_int_div_zero 0
	.end_amdhsa_kernel
	.section	.text._ZN7rocprim17ROCPRIM_400000_NS6detail17trampoline_kernelINS0_14default_configENS1_35radix_sort_onesweep_config_selectorIbNS0_10empty_typeEEEZNS1_34radix_sort_onesweep_global_offsetsIS3_Lb0EPKbPS5_mNS0_19identity_decomposerEEE10hipError_tT1_T2_PT3_SF_jT4_jjP12ihipStream_tbEUlT_E0_NS1_11comp_targetILNS1_3genE4ELNS1_11target_archE910ELNS1_3gpuE8ELNS1_3repE0EEENS1_52radix_sort_onesweep_histogram_config_static_selectorELNS0_4arch9wavefront6targetE0EEEvSD_,"axG",@progbits,_ZN7rocprim17ROCPRIM_400000_NS6detail17trampoline_kernelINS0_14default_configENS1_35radix_sort_onesweep_config_selectorIbNS0_10empty_typeEEEZNS1_34radix_sort_onesweep_global_offsetsIS3_Lb0EPKbPS5_mNS0_19identity_decomposerEEE10hipError_tT1_T2_PT3_SF_jT4_jjP12ihipStream_tbEUlT_E0_NS1_11comp_targetILNS1_3genE4ELNS1_11target_archE910ELNS1_3gpuE8ELNS1_3repE0EEENS1_52radix_sort_onesweep_histogram_config_static_selectorELNS0_4arch9wavefront6targetE0EEEvSD_,comdat
.Lfunc_end1847:
	.size	_ZN7rocprim17ROCPRIM_400000_NS6detail17trampoline_kernelINS0_14default_configENS1_35radix_sort_onesweep_config_selectorIbNS0_10empty_typeEEEZNS1_34radix_sort_onesweep_global_offsetsIS3_Lb0EPKbPS5_mNS0_19identity_decomposerEEE10hipError_tT1_T2_PT3_SF_jT4_jjP12ihipStream_tbEUlT_E0_NS1_11comp_targetILNS1_3genE4ELNS1_11target_archE910ELNS1_3gpuE8ELNS1_3repE0EEENS1_52radix_sort_onesweep_histogram_config_static_selectorELNS0_4arch9wavefront6targetE0EEEvSD_, .Lfunc_end1847-_ZN7rocprim17ROCPRIM_400000_NS6detail17trampoline_kernelINS0_14default_configENS1_35radix_sort_onesweep_config_selectorIbNS0_10empty_typeEEEZNS1_34radix_sort_onesweep_global_offsetsIS3_Lb0EPKbPS5_mNS0_19identity_decomposerEEE10hipError_tT1_T2_PT3_SF_jT4_jjP12ihipStream_tbEUlT_E0_NS1_11comp_targetILNS1_3genE4ELNS1_11target_archE910ELNS1_3gpuE8ELNS1_3repE0EEENS1_52radix_sort_onesweep_histogram_config_static_selectorELNS0_4arch9wavefront6targetE0EEEvSD_
                                        ; -- End function
	.set _ZN7rocprim17ROCPRIM_400000_NS6detail17trampoline_kernelINS0_14default_configENS1_35radix_sort_onesweep_config_selectorIbNS0_10empty_typeEEEZNS1_34radix_sort_onesweep_global_offsetsIS3_Lb0EPKbPS5_mNS0_19identity_decomposerEEE10hipError_tT1_T2_PT3_SF_jT4_jjP12ihipStream_tbEUlT_E0_NS1_11comp_targetILNS1_3genE4ELNS1_11target_archE910ELNS1_3gpuE8ELNS1_3repE0EEENS1_52radix_sort_onesweep_histogram_config_static_selectorELNS0_4arch9wavefront6targetE0EEEvSD_.num_vgpr, 0
	.set _ZN7rocprim17ROCPRIM_400000_NS6detail17trampoline_kernelINS0_14default_configENS1_35radix_sort_onesweep_config_selectorIbNS0_10empty_typeEEEZNS1_34radix_sort_onesweep_global_offsetsIS3_Lb0EPKbPS5_mNS0_19identity_decomposerEEE10hipError_tT1_T2_PT3_SF_jT4_jjP12ihipStream_tbEUlT_E0_NS1_11comp_targetILNS1_3genE4ELNS1_11target_archE910ELNS1_3gpuE8ELNS1_3repE0EEENS1_52radix_sort_onesweep_histogram_config_static_selectorELNS0_4arch9wavefront6targetE0EEEvSD_.num_agpr, 0
	.set _ZN7rocprim17ROCPRIM_400000_NS6detail17trampoline_kernelINS0_14default_configENS1_35radix_sort_onesweep_config_selectorIbNS0_10empty_typeEEEZNS1_34radix_sort_onesweep_global_offsetsIS3_Lb0EPKbPS5_mNS0_19identity_decomposerEEE10hipError_tT1_T2_PT3_SF_jT4_jjP12ihipStream_tbEUlT_E0_NS1_11comp_targetILNS1_3genE4ELNS1_11target_archE910ELNS1_3gpuE8ELNS1_3repE0EEENS1_52radix_sort_onesweep_histogram_config_static_selectorELNS0_4arch9wavefront6targetE0EEEvSD_.numbered_sgpr, 0
	.set _ZN7rocprim17ROCPRIM_400000_NS6detail17trampoline_kernelINS0_14default_configENS1_35radix_sort_onesweep_config_selectorIbNS0_10empty_typeEEEZNS1_34radix_sort_onesweep_global_offsetsIS3_Lb0EPKbPS5_mNS0_19identity_decomposerEEE10hipError_tT1_T2_PT3_SF_jT4_jjP12ihipStream_tbEUlT_E0_NS1_11comp_targetILNS1_3genE4ELNS1_11target_archE910ELNS1_3gpuE8ELNS1_3repE0EEENS1_52radix_sort_onesweep_histogram_config_static_selectorELNS0_4arch9wavefront6targetE0EEEvSD_.num_named_barrier, 0
	.set _ZN7rocprim17ROCPRIM_400000_NS6detail17trampoline_kernelINS0_14default_configENS1_35radix_sort_onesweep_config_selectorIbNS0_10empty_typeEEEZNS1_34radix_sort_onesweep_global_offsetsIS3_Lb0EPKbPS5_mNS0_19identity_decomposerEEE10hipError_tT1_T2_PT3_SF_jT4_jjP12ihipStream_tbEUlT_E0_NS1_11comp_targetILNS1_3genE4ELNS1_11target_archE910ELNS1_3gpuE8ELNS1_3repE0EEENS1_52radix_sort_onesweep_histogram_config_static_selectorELNS0_4arch9wavefront6targetE0EEEvSD_.private_seg_size, 0
	.set _ZN7rocprim17ROCPRIM_400000_NS6detail17trampoline_kernelINS0_14default_configENS1_35radix_sort_onesweep_config_selectorIbNS0_10empty_typeEEEZNS1_34radix_sort_onesweep_global_offsetsIS3_Lb0EPKbPS5_mNS0_19identity_decomposerEEE10hipError_tT1_T2_PT3_SF_jT4_jjP12ihipStream_tbEUlT_E0_NS1_11comp_targetILNS1_3genE4ELNS1_11target_archE910ELNS1_3gpuE8ELNS1_3repE0EEENS1_52radix_sort_onesweep_histogram_config_static_selectorELNS0_4arch9wavefront6targetE0EEEvSD_.uses_vcc, 0
	.set _ZN7rocprim17ROCPRIM_400000_NS6detail17trampoline_kernelINS0_14default_configENS1_35radix_sort_onesweep_config_selectorIbNS0_10empty_typeEEEZNS1_34radix_sort_onesweep_global_offsetsIS3_Lb0EPKbPS5_mNS0_19identity_decomposerEEE10hipError_tT1_T2_PT3_SF_jT4_jjP12ihipStream_tbEUlT_E0_NS1_11comp_targetILNS1_3genE4ELNS1_11target_archE910ELNS1_3gpuE8ELNS1_3repE0EEENS1_52radix_sort_onesweep_histogram_config_static_selectorELNS0_4arch9wavefront6targetE0EEEvSD_.uses_flat_scratch, 0
	.set _ZN7rocprim17ROCPRIM_400000_NS6detail17trampoline_kernelINS0_14default_configENS1_35radix_sort_onesweep_config_selectorIbNS0_10empty_typeEEEZNS1_34radix_sort_onesweep_global_offsetsIS3_Lb0EPKbPS5_mNS0_19identity_decomposerEEE10hipError_tT1_T2_PT3_SF_jT4_jjP12ihipStream_tbEUlT_E0_NS1_11comp_targetILNS1_3genE4ELNS1_11target_archE910ELNS1_3gpuE8ELNS1_3repE0EEENS1_52radix_sort_onesweep_histogram_config_static_selectorELNS0_4arch9wavefront6targetE0EEEvSD_.has_dyn_sized_stack, 0
	.set _ZN7rocprim17ROCPRIM_400000_NS6detail17trampoline_kernelINS0_14default_configENS1_35radix_sort_onesweep_config_selectorIbNS0_10empty_typeEEEZNS1_34radix_sort_onesweep_global_offsetsIS3_Lb0EPKbPS5_mNS0_19identity_decomposerEEE10hipError_tT1_T2_PT3_SF_jT4_jjP12ihipStream_tbEUlT_E0_NS1_11comp_targetILNS1_3genE4ELNS1_11target_archE910ELNS1_3gpuE8ELNS1_3repE0EEENS1_52radix_sort_onesweep_histogram_config_static_selectorELNS0_4arch9wavefront6targetE0EEEvSD_.has_recursion, 0
	.set _ZN7rocprim17ROCPRIM_400000_NS6detail17trampoline_kernelINS0_14default_configENS1_35radix_sort_onesweep_config_selectorIbNS0_10empty_typeEEEZNS1_34radix_sort_onesweep_global_offsetsIS3_Lb0EPKbPS5_mNS0_19identity_decomposerEEE10hipError_tT1_T2_PT3_SF_jT4_jjP12ihipStream_tbEUlT_E0_NS1_11comp_targetILNS1_3genE4ELNS1_11target_archE910ELNS1_3gpuE8ELNS1_3repE0EEENS1_52radix_sort_onesweep_histogram_config_static_selectorELNS0_4arch9wavefront6targetE0EEEvSD_.has_indirect_call, 0
	.section	.AMDGPU.csdata,"",@progbits
; Kernel info:
; codeLenInByte = 0
; TotalNumSgprs: 0
; NumVgprs: 0
; ScratchSize: 0
; MemoryBound: 0
; FloatMode: 240
; IeeeMode: 1
; LDSByteSize: 0 bytes/workgroup (compile time only)
; SGPRBlocks: 0
; VGPRBlocks: 0
; NumSGPRsForWavesPerEU: 1
; NumVGPRsForWavesPerEU: 1
; NamedBarCnt: 0
; Occupancy: 16
; WaveLimiterHint : 0
; COMPUTE_PGM_RSRC2:SCRATCH_EN: 0
; COMPUTE_PGM_RSRC2:USER_SGPR: 2
; COMPUTE_PGM_RSRC2:TRAP_HANDLER: 0
; COMPUTE_PGM_RSRC2:TGID_X_EN: 1
; COMPUTE_PGM_RSRC2:TGID_Y_EN: 0
; COMPUTE_PGM_RSRC2:TGID_Z_EN: 0
; COMPUTE_PGM_RSRC2:TIDIG_COMP_CNT: 0
	.section	.text._ZN7rocprim17ROCPRIM_400000_NS6detail17trampoline_kernelINS0_14default_configENS1_35radix_sort_onesweep_config_selectorIbNS0_10empty_typeEEEZNS1_34radix_sort_onesweep_global_offsetsIS3_Lb0EPKbPS5_mNS0_19identity_decomposerEEE10hipError_tT1_T2_PT3_SF_jT4_jjP12ihipStream_tbEUlT_E0_NS1_11comp_targetILNS1_3genE3ELNS1_11target_archE908ELNS1_3gpuE7ELNS1_3repE0EEENS1_52radix_sort_onesweep_histogram_config_static_selectorELNS0_4arch9wavefront6targetE0EEEvSD_,"axG",@progbits,_ZN7rocprim17ROCPRIM_400000_NS6detail17trampoline_kernelINS0_14default_configENS1_35radix_sort_onesweep_config_selectorIbNS0_10empty_typeEEEZNS1_34radix_sort_onesweep_global_offsetsIS3_Lb0EPKbPS5_mNS0_19identity_decomposerEEE10hipError_tT1_T2_PT3_SF_jT4_jjP12ihipStream_tbEUlT_E0_NS1_11comp_targetILNS1_3genE3ELNS1_11target_archE908ELNS1_3gpuE7ELNS1_3repE0EEENS1_52radix_sort_onesweep_histogram_config_static_selectorELNS0_4arch9wavefront6targetE0EEEvSD_,comdat
	.protected	_ZN7rocprim17ROCPRIM_400000_NS6detail17trampoline_kernelINS0_14default_configENS1_35radix_sort_onesweep_config_selectorIbNS0_10empty_typeEEEZNS1_34radix_sort_onesweep_global_offsetsIS3_Lb0EPKbPS5_mNS0_19identity_decomposerEEE10hipError_tT1_T2_PT3_SF_jT4_jjP12ihipStream_tbEUlT_E0_NS1_11comp_targetILNS1_3genE3ELNS1_11target_archE908ELNS1_3gpuE7ELNS1_3repE0EEENS1_52radix_sort_onesweep_histogram_config_static_selectorELNS0_4arch9wavefront6targetE0EEEvSD_ ; -- Begin function _ZN7rocprim17ROCPRIM_400000_NS6detail17trampoline_kernelINS0_14default_configENS1_35radix_sort_onesweep_config_selectorIbNS0_10empty_typeEEEZNS1_34radix_sort_onesweep_global_offsetsIS3_Lb0EPKbPS5_mNS0_19identity_decomposerEEE10hipError_tT1_T2_PT3_SF_jT4_jjP12ihipStream_tbEUlT_E0_NS1_11comp_targetILNS1_3genE3ELNS1_11target_archE908ELNS1_3gpuE7ELNS1_3repE0EEENS1_52radix_sort_onesweep_histogram_config_static_selectorELNS0_4arch9wavefront6targetE0EEEvSD_
	.globl	_ZN7rocprim17ROCPRIM_400000_NS6detail17trampoline_kernelINS0_14default_configENS1_35radix_sort_onesweep_config_selectorIbNS0_10empty_typeEEEZNS1_34radix_sort_onesweep_global_offsetsIS3_Lb0EPKbPS5_mNS0_19identity_decomposerEEE10hipError_tT1_T2_PT3_SF_jT4_jjP12ihipStream_tbEUlT_E0_NS1_11comp_targetILNS1_3genE3ELNS1_11target_archE908ELNS1_3gpuE7ELNS1_3repE0EEENS1_52radix_sort_onesweep_histogram_config_static_selectorELNS0_4arch9wavefront6targetE0EEEvSD_
	.p2align	8
	.type	_ZN7rocprim17ROCPRIM_400000_NS6detail17trampoline_kernelINS0_14default_configENS1_35radix_sort_onesweep_config_selectorIbNS0_10empty_typeEEEZNS1_34radix_sort_onesweep_global_offsetsIS3_Lb0EPKbPS5_mNS0_19identity_decomposerEEE10hipError_tT1_T2_PT3_SF_jT4_jjP12ihipStream_tbEUlT_E0_NS1_11comp_targetILNS1_3genE3ELNS1_11target_archE908ELNS1_3gpuE7ELNS1_3repE0EEENS1_52radix_sort_onesweep_histogram_config_static_selectorELNS0_4arch9wavefront6targetE0EEEvSD_,@function
_ZN7rocprim17ROCPRIM_400000_NS6detail17trampoline_kernelINS0_14default_configENS1_35radix_sort_onesweep_config_selectorIbNS0_10empty_typeEEEZNS1_34radix_sort_onesweep_global_offsetsIS3_Lb0EPKbPS5_mNS0_19identity_decomposerEEE10hipError_tT1_T2_PT3_SF_jT4_jjP12ihipStream_tbEUlT_E0_NS1_11comp_targetILNS1_3genE3ELNS1_11target_archE908ELNS1_3gpuE7ELNS1_3repE0EEENS1_52radix_sort_onesweep_histogram_config_static_selectorELNS0_4arch9wavefront6targetE0EEEvSD_: ; @_ZN7rocprim17ROCPRIM_400000_NS6detail17trampoline_kernelINS0_14default_configENS1_35radix_sort_onesweep_config_selectorIbNS0_10empty_typeEEEZNS1_34radix_sort_onesweep_global_offsetsIS3_Lb0EPKbPS5_mNS0_19identity_decomposerEEE10hipError_tT1_T2_PT3_SF_jT4_jjP12ihipStream_tbEUlT_E0_NS1_11comp_targetILNS1_3genE3ELNS1_11target_archE908ELNS1_3gpuE7ELNS1_3repE0EEENS1_52radix_sort_onesweep_histogram_config_static_selectorELNS0_4arch9wavefront6targetE0EEEvSD_
; %bb.0:
	.section	.rodata,"a",@progbits
	.p2align	6, 0x0
	.amdhsa_kernel _ZN7rocprim17ROCPRIM_400000_NS6detail17trampoline_kernelINS0_14default_configENS1_35radix_sort_onesweep_config_selectorIbNS0_10empty_typeEEEZNS1_34radix_sort_onesweep_global_offsetsIS3_Lb0EPKbPS5_mNS0_19identity_decomposerEEE10hipError_tT1_T2_PT3_SF_jT4_jjP12ihipStream_tbEUlT_E0_NS1_11comp_targetILNS1_3genE3ELNS1_11target_archE908ELNS1_3gpuE7ELNS1_3repE0EEENS1_52radix_sort_onesweep_histogram_config_static_selectorELNS0_4arch9wavefront6targetE0EEEvSD_
		.amdhsa_group_segment_fixed_size 0
		.amdhsa_private_segment_fixed_size 0
		.amdhsa_kernarg_size 8
		.amdhsa_user_sgpr_count 2
		.amdhsa_user_sgpr_dispatch_ptr 0
		.amdhsa_user_sgpr_queue_ptr 0
		.amdhsa_user_sgpr_kernarg_segment_ptr 1
		.amdhsa_user_sgpr_dispatch_id 0
		.amdhsa_user_sgpr_kernarg_preload_length 0
		.amdhsa_user_sgpr_kernarg_preload_offset 0
		.amdhsa_user_sgpr_private_segment_size 0
		.amdhsa_wavefront_size32 1
		.amdhsa_uses_dynamic_stack 0
		.amdhsa_enable_private_segment 0
		.amdhsa_system_sgpr_workgroup_id_x 1
		.amdhsa_system_sgpr_workgroup_id_y 0
		.amdhsa_system_sgpr_workgroup_id_z 0
		.amdhsa_system_sgpr_workgroup_info 0
		.amdhsa_system_vgpr_workitem_id 0
		.amdhsa_next_free_vgpr 1
		.amdhsa_next_free_sgpr 1
		.amdhsa_named_barrier_count 0
		.amdhsa_reserve_vcc 0
		.amdhsa_float_round_mode_32 0
		.amdhsa_float_round_mode_16_64 0
		.amdhsa_float_denorm_mode_32 3
		.amdhsa_float_denorm_mode_16_64 3
		.amdhsa_fp16_overflow 0
		.amdhsa_memory_ordered 1
		.amdhsa_forward_progress 1
		.amdhsa_inst_pref_size 0
		.amdhsa_round_robin_scheduling 0
		.amdhsa_exception_fp_ieee_invalid_op 0
		.amdhsa_exception_fp_denorm_src 0
		.amdhsa_exception_fp_ieee_div_zero 0
		.amdhsa_exception_fp_ieee_overflow 0
		.amdhsa_exception_fp_ieee_underflow 0
		.amdhsa_exception_fp_ieee_inexact 0
		.amdhsa_exception_int_div_zero 0
	.end_amdhsa_kernel
	.section	.text._ZN7rocprim17ROCPRIM_400000_NS6detail17trampoline_kernelINS0_14default_configENS1_35radix_sort_onesweep_config_selectorIbNS0_10empty_typeEEEZNS1_34radix_sort_onesweep_global_offsetsIS3_Lb0EPKbPS5_mNS0_19identity_decomposerEEE10hipError_tT1_T2_PT3_SF_jT4_jjP12ihipStream_tbEUlT_E0_NS1_11comp_targetILNS1_3genE3ELNS1_11target_archE908ELNS1_3gpuE7ELNS1_3repE0EEENS1_52radix_sort_onesweep_histogram_config_static_selectorELNS0_4arch9wavefront6targetE0EEEvSD_,"axG",@progbits,_ZN7rocprim17ROCPRIM_400000_NS6detail17trampoline_kernelINS0_14default_configENS1_35radix_sort_onesweep_config_selectorIbNS0_10empty_typeEEEZNS1_34radix_sort_onesweep_global_offsetsIS3_Lb0EPKbPS5_mNS0_19identity_decomposerEEE10hipError_tT1_T2_PT3_SF_jT4_jjP12ihipStream_tbEUlT_E0_NS1_11comp_targetILNS1_3genE3ELNS1_11target_archE908ELNS1_3gpuE7ELNS1_3repE0EEENS1_52radix_sort_onesweep_histogram_config_static_selectorELNS0_4arch9wavefront6targetE0EEEvSD_,comdat
.Lfunc_end1848:
	.size	_ZN7rocprim17ROCPRIM_400000_NS6detail17trampoline_kernelINS0_14default_configENS1_35radix_sort_onesweep_config_selectorIbNS0_10empty_typeEEEZNS1_34radix_sort_onesweep_global_offsetsIS3_Lb0EPKbPS5_mNS0_19identity_decomposerEEE10hipError_tT1_T2_PT3_SF_jT4_jjP12ihipStream_tbEUlT_E0_NS1_11comp_targetILNS1_3genE3ELNS1_11target_archE908ELNS1_3gpuE7ELNS1_3repE0EEENS1_52radix_sort_onesweep_histogram_config_static_selectorELNS0_4arch9wavefront6targetE0EEEvSD_, .Lfunc_end1848-_ZN7rocprim17ROCPRIM_400000_NS6detail17trampoline_kernelINS0_14default_configENS1_35radix_sort_onesweep_config_selectorIbNS0_10empty_typeEEEZNS1_34radix_sort_onesweep_global_offsetsIS3_Lb0EPKbPS5_mNS0_19identity_decomposerEEE10hipError_tT1_T2_PT3_SF_jT4_jjP12ihipStream_tbEUlT_E0_NS1_11comp_targetILNS1_3genE3ELNS1_11target_archE908ELNS1_3gpuE7ELNS1_3repE0EEENS1_52radix_sort_onesweep_histogram_config_static_selectorELNS0_4arch9wavefront6targetE0EEEvSD_
                                        ; -- End function
	.set _ZN7rocprim17ROCPRIM_400000_NS6detail17trampoline_kernelINS0_14default_configENS1_35radix_sort_onesweep_config_selectorIbNS0_10empty_typeEEEZNS1_34radix_sort_onesweep_global_offsetsIS3_Lb0EPKbPS5_mNS0_19identity_decomposerEEE10hipError_tT1_T2_PT3_SF_jT4_jjP12ihipStream_tbEUlT_E0_NS1_11comp_targetILNS1_3genE3ELNS1_11target_archE908ELNS1_3gpuE7ELNS1_3repE0EEENS1_52radix_sort_onesweep_histogram_config_static_selectorELNS0_4arch9wavefront6targetE0EEEvSD_.num_vgpr, 0
	.set _ZN7rocprim17ROCPRIM_400000_NS6detail17trampoline_kernelINS0_14default_configENS1_35radix_sort_onesweep_config_selectorIbNS0_10empty_typeEEEZNS1_34radix_sort_onesweep_global_offsetsIS3_Lb0EPKbPS5_mNS0_19identity_decomposerEEE10hipError_tT1_T2_PT3_SF_jT4_jjP12ihipStream_tbEUlT_E0_NS1_11comp_targetILNS1_3genE3ELNS1_11target_archE908ELNS1_3gpuE7ELNS1_3repE0EEENS1_52radix_sort_onesweep_histogram_config_static_selectorELNS0_4arch9wavefront6targetE0EEEvSD_.num_agpr, 0
	.set _ZN7rocprim17ROCPRIM_400000_NS6detail17trampoline_kernelINS0_14default_configENS1_35radix_sort_onesweep_config_selectorIbNS0_10empty_typeEEEZNS1_34radix_sort_onesweep_global_offsetsIS3_Lb0EPKbPS5_mNS0_19identity_decomposerEEE10hipError_tT1_T2_PT3_SF_jT4_jjP12ihipStream_tbEUlT_E0_NS1_11comp_targetILNS1_3genE3ELNS1_11target_archE908ELNS1_3gpuE7ELNS1_3repE0EEENS1_52radix_sort_onesweep_histogram_config_static_selectorELNS0_4arch9wavefront6targetE0EEEvSD_.numbered_sgpr, 0
	.set _ZN7rocprim17ROCPRIM_400000_NS6detail17trampoline_kernelINS0_14default_configENS1_35radix_sort_onesweep_config_selectorIbNS0_10empty_typeEEEZNS1_34radix_sort_onesweep_global_offsetsIS3_Lb0EPKbPS5_mNS0_19identity_decomposerEEE10hipError_tT1_T2_PT3_SF_jT4_jjP12ihipStream_tbEUlT_E0_NS1_11comp_targetILNS1_3genE3ELNS1_11target_archE908ELNS1_3gpuE7ELNS1_3repE0EEENS1_52radix_sort_onesweep_histogram_config_static_selectorELNS0_4arch9wavefront6targetE0EEEvSD_.num_named_barrier, 0
	.set _ZN7rocprim17ROCPRIM_400000_NS6detail17trampoline_kernelINS0_14default_configENS1_35radix_sort_onesweep_config_selectorIbNS0_10empty_typeEEEZNS1_34radix_sort_onesweep_global_offsetsIS3_Lb0EPKbPS5_mNS0_19identity_decomposerEEE10hipError_tT1_T2_PT3_SF_jT4_jjP12ihipStream_tbEUlT_E0_NS1_11comp_targetILNS1_3genE3ELNS1_11target_archE908ELNS1_3gpuE7ELNS1_3repE0EEENS1_52radix_sort_onesweep_histogram_config_static_selectorELNS0_4arch9wavefront6targetE0EEEvSD_.private_seg_size, 0
	.set _ZN7rocprim17ROCPRIM_400000_NS6detail17trampoline_kernelINS0_14default_configENS1_35radix_sort_onesweep_config_selectorIbNS0_10empty_typeEEEZNS1_34radix_sort_onesweep_global_offsetsIS3_Lb0EPKbPS5_mNS0_19identity_decomposerEEE10hipError_tT1_T2_PT3_SF_jT4_jjP12ihipStream_tbEUlT_E0_NS1_11comp_targetILNS1_3genE3ELNS1_11target_archE908ELNS1_3gpuE7ELNS1_3repE0EEENS1_52radix_sort_onesweep_histogram_config_static_selectorELNS0_4arch9wavefront6targetE0EEEvSD_.uses_vcc, 0
	.set _ZN7rocprim17ROCPRIM_400000_NS6detail17trampoline_kernelINS0_14default_configENS1_35radix_sort_onesweep_config_selectorIbNS0_10empty_typeEEEZNS1_34radix_sort_onesweep_global_offsetsIS3_Lb0EPKbPS5_mNS0_19identity_decomposerEEE10hipError_tT1_T2_PT3_SF_jT4_jjP12ihipStream_tbEUlT_E0_NS1_11comp_targetILNS1_3genE3ELNS1_11target_archE908ELNS1_3gpuE7ELNS1_3repE0EEENS1_52radix_sort_onesweep_histogram_config_static_selectorELNS0_4arch9wavefront6targetE0EEEvSD_.uses_flat_scratch, 0
	.set _ZN7rocprim17ROCPRIM_400000_NS6detail17trampoline_kernelINS0_14default_configENS1_35radix_sort_onesweep_config_selectorIbNS0_10empty_typeEEEZNS1_34radix_sort_onesweep_global_offsetsIS3_Lb0EPKbPS5_mNS0_19identity_decomposerEEE10hipError_tT1_T2_PT3_SF_jT4_jjP12ihipStream_tbEUlT_E0_NS1_11comp_targetILNS1_3genE3ELNS1_11target_archE908ELNS1_3gpuE7ELNS1_3repE0EEENS1_52radix_sort_onesweep_histogram_config_static_selectorELNS0_4arch9wavefront6targetE0EEEvSD_.has_dyn_sized_stack, 0
	.set _ZN7rocprim17ROCPRIM_400000_NS6detail17trampoline_kernelINS0_14default_configENS1_35radix_sort_onesweep_config_selectorIbNS0_10empty_typeEEEZNS1_34radix_sort_onesweep_global_offsetsIS3_Lb0EPKbPS5_mNS0_19identity_decomposerEEE10hipError_tT1_T2_PT3_SF_jT4_jjP12ihipStream_tbEUlT_E0_NS1_11comp_targetILNS1_3genE3ELNS1_11target_archE908ELNS1_3gpuE7ELNS1_3repE0EEENS1_52radix_sort_onesweep_histogram_config_static_selectorELNS0_4arch9wavefront6targetE0EEEvSD_.has_recursion, 0
	.set _ZN7rocprim17ROCPRIM_400000_NS6detail17trampoline_kernelINS0_14default_configENS1_35radix_sort_onesweep_config_selectorIbNS0_10empty_typeEEEZNS1_34radix_sort_onesweep_global_offsetsIS3_Lb0EPKbPS5_mNS0_19identity_decomposerEEE10hipError_tT1_T2_PT3_SF_jT4_jjP12ihipStream_tbEUlT_E0_NS1_11comp_targetILNS1_3genE3ELNS1_11target_archE908ELNS1_3gpuE7ELNS1_3repE0EEENS1_52radix_sort_onesweep_histogram_config_static_selectorELNS0_4arch9wavefront6targetE0EEEvSD_.has_indirect_call, 0
	.section	.AMDGPU.csdata,"",@progbits
; Kernel info:
; codeLenInByte = 0
; TotalNumSgprs: 0
; NumVgprs: 0
; ScratchSize: 0
; MemoryBound: 0
; FloatMode: 240
; IeeeMode: 1
; LDSByteSize: 0 bytes/workgroup (compile time only)
; SGPRBlocks: 0
; VGPRBlocks: 0
; NumSGPRsForWavesPerEU: 1
; NumVGPRsForWavesPerEU: 1
; NamedBarCnt: 0
; Occupancy: 16
; WaveLimiterHint : 0
; COMPUTE_PGM_RSRC2:SCRATCH_EN: 0
; COMPUTE_PGM_RSRC2:USER_SGPR: 2
; COMPUTE_PGM_RSRC2:TRAP_HANDLER: 0
; COMPUTE_PGM_RSRC2:TGID_X_EN: 1
; COMPUTE_PGM_RSRC2:TGID_Y_EN: 0
; COMPUTE_PGM_RSRC2:TGID_Z_EN: 0
; COMPUTE_PGM_RSRC2:TIDIG_COMP_CNT: 0
	.section	.text._ZN7rocprim17ROCPRIM_400000_NS6detail17trampoline_kernelINS0_14default_configENS1_35radix_sort_onesweep_config_selectorIbNS0_10empty_typeEEEZNS1_34radix_sort_onesweep_global_offsetsIS3_Lb0EPKbPS5_mNS0_19identity_decomposerEEE10hipError_tT1_T2_PT3_SF_jT4_jjP12ihipStream_tbEUlT_E0_NS1_11comp_targetILNS1_3genE10ELNS1_11target_archE1201ELNS1_3gpuE5ELNS1_3repE0EEENS1_52radix_sort_onesweep_histogram_config_static_selectorELNS0_4arch9wavefront6targetE0EEEvSD_,"axG",@progbits,_ZN7rocprim17ROCPRIM_400000_NS6detail17trampoline_kernelINS0_14default_configENS1_35radix_sort_onesweep_config_selectorIbNS0_10empty_typeEEEZNS1_34radix_sort_onesweep_global_offsetsIS3_Lb0EPKbPS5_mNS0_19identity_decomposerEEE10hipError_tT1_T2_PT3_SF_jT4_jjP12ihipStream_tbEUlT_E0_NS1_11comp_targetILNS1_3genE10ELNS1_11target_archE1201ELNS1_3gpuE5ELNS1_3repE0EEENS1_52radix_sort_onesweep_histogram_config_static_selectorELNS0_4arch9wavefront6targetE0EEEvSD_,comdat
	.protected	_ZN7rocprim17ROCPRIM_400000_NS6detail17trampoline_kernelINS0_14default_configENS1_35radix_sort_onesweep_config_selectorIbNS0_10empty_typeEEEZNS1_34radix_sort_onesweep_global_offsetsIS3_Lb0EPKbPS5_mNS0_19identity_decomposerEEE10hipError_tT1_T2_PT3_SF_jT4_jjP12ihipStream_tbEUlT_E0_NS1_11comp_targetILNS1_3genE10ELNS1_11target_archE1201ELNS1_3gpuE5ELNS1_3repE0EEENS1_52radix_sort_onesweep_histogram_config_static_selectorELNS0_4arch9wavefront6targetE0EEEvSD_ ; -- Begin function _ZN7rocprim17ROCPRIM_400000_NS6detail17trampoline_kernelINS0_14default_configENS1_35radix_sort_onesweep_config_selectorIbNS0_10empty_typeEEEZNS1_34radix_sort_onesweep_global_offsetsIS3_Lb0EPKbPS5_mNS0_19identity_decomposerEEE10hipError_tT1_T2_PT3_SF_jT4_jjP12ihipStream_tbEUlT_E0_NS1_11comp_targetILNS1_3genE10ELNS1_11target_archE1201ELNS1_3gpuE5ELNS1_3repE0EEENS1_52radix_sort_onesweep_histogram_config_static_selectorELNS0_4arch9wavefront6targetE0EEEvSD_
	.globl	_ZN7rocprim17ROCPRIM_400000_NS6detail17trampoline_kernelINS0_14default_configENS1_35radix_sort_onesweep_config_selectorIbNS0_10empty_typeEEEZNS1_34radix_sort_onesweep_global_offsetsIS3_Lb0EPKbPS5_mNS0_19identity_decomposerEEE10hipError_tT1_T2_PT3_SF_jT4_jjP12ihipStream_tbEUlT_E0_NS1_11comp_targetILNS1_3genE10ELNS1_11target_archE1201ELNS1_3gpuE5ELNS1_3repE0EEENS1_52radix_sort_onesweep_histogram_config_static_selectorELNS0_4arch9wavefront6targetE0EEEvSD_
	.p2align	8
	.type	_ZN7rocprim17ROCPRIM_400000_NS6detail17trampoline_kernelINS0_14default_configENS1_35radix_sort_onesweep_config_selectorIbNS0_10empty_typeEEEZNS1_34radix_sort_onesweep_global_offsetsIS3_Lb0EPKbPS5_mNS0_19identity_decomposerEEE10hipError_tT1_T2_PT3_SF_jT4_jjP12ihipStream_tbEUlT_E0_NS1_11comp_targetILNS1_3genE10ELNS1_11target_archE1201ELNS1_3gpuE5ELNS1_3repE0EEENS1_52radix_sort_onesweep_histogram_config_static_selectorELNS0_4arch9wavefront6targetE0EEEvSD_,@function
_ZN7rocprim17ROCPRIM_400000_NS6detail17trampoline_kernelINS0_14default_configENS1_35radix_sort_onesweep_config_selectorIbNS0_10empty_typeEEEZNS1_34radix_sort_onesweep_global_offsetsIS3_Lb0EPKbPS5_mNS0_19identity_decomposerEEE10hipError_tT1_T2_PT3_SF_jT4_jjP12ihipStream_tbEUlT_E0_NS1_11comp_targetILNS1_3genE10ELNS1_11target_archE1201ELNS1_3gpuE5ELNS1_3repE0EEENS1_52radix_sort_onesweep_histogram_config_static_selectorELNS0_4arch9wavefront6targetE0EEEvSD_: ; @_ZN7rocprim17ROCPRIM_400000_NS6detail17trampoline_kernelINS0_14default_configENS1_35radix_sort_onesweep_config_selectorIbNS0_10empty_typeEEEZNS1_34radix_sort_onesweep_global_offsetsIS3_Lb0EPKbPS5_mNS0_19identity_decomposerEEE10hipError_tT1_T2_PT3_SF_jT4_jjP12ihipStream_tbEUlT_E0_NS1_11comp_targetILNS1_3genE10ELNS1_11target_archE1201ELNS1_3gpuE5ELNS1_3repE0EEENS1_52radix_sort_onesweep_histogram_config_static_selectorELNS0_4arch9wavefront6targetE0EEEvSD_
; %bb.0:
	.section	.rodata,"a",@progbits
	.p2align	6, 0x0
	.amdhsa_kernel _ZN7rocprim17ROCPRIM_400000_NS6detail17trampoline_kernelINS0_14default_configENS1_35radix_sort_onesweep_config_selectorIbNS0_10empty_typeEEEZNS1_34radix_sort_onesweep_global_offsetsIS3_Lb0EPKbPS5_mNS0_19identity_decomposerEEE10hipError_tT1_T2_PT3_SF_jT4_jjP12ihipStream_tbEUlT_E0_NS1_11comp_targetILNS1_3genE10ELNS1_11target_archE1201ELNS1_3gpuE5ELNS1_3repE0EEENS1_52radix_sort_onesweep_histogram_config_static_selectorELNS0_4arch9wavefront6targetE0EEEvSD_
		.amdhsa_group_segment_fixed_size 0
		.amdhsa_private_segment_fixed_size 0
		.amdhsa_kernarg_size 8
		.amdhsa_user_sgpr_count 2
		.amdhsa_user_sgpr_dispatch_ptr 0
		.amdhsa_user_sgpr_queue_ptr 0
		.amdhsa_user_sgpr_kernarg_segment_ptr 1
		.amdhsa_user_sgpr_dispatch_id 0
		.amdhsa_user_sgpr_kernarg_preload_length 0
		.amdhsa_user_sgpr_kernarg_preload_offset 0
		.amdhsa_user_sgpr_private_segment_size 0
		.amdhsa_wavefront_size32 1
		.amdhsa_uses_dynamic_stack 0
		.amdhsa_enable_private_segment 0
		.amdhsa_system_sgpr_workgroup_id_x 1
		.amdhsa_system_sgpr_workgroup_id_y 0
		.amdhsa_system_sgpr_workgroup_id_z 0
		.amdhsa_system_sgpr_workgroup_info 0
		.amdhsa_system_vgpr_workitem_id 0
		.amdhsa_next_free_vgpr 1
		.amdhsa_next_free_sgpr 1
		.amdhsa_named_barrier_count 0
		.amdhsa_reserve_vcc 0
		.amdhsa_float_round_mode_32 0
		.amdhsa_float_round_mode_16_64 0
		.amdhsa_float_denorm_mode_32 3
		.amdhsa_float_denorm_mode_16_64 3
		.amdhsa_fp16_overflow 0
		.amdhsa_memory_ordered 1
		.amdhsa_forward_progress 1
		.amdhsa_inst_pref_size 0
		.amdhsa_round_robin_scheduling 0
		.amdhsa_exception_fp_ieee_invalid_op 0
		.amdhsa_exception_fp_denorm_src 0
		.amdhsa_exception_fp_ieee_div_zero 0
		.amdhsa_exception_fp_ieee_overflow 0
		.amdhsa_exception_fp_ieee_underflow 0
		.amdhsa_exception_fp_ieee_inexact 0
		.amdhsa_exception_int_div_zero 0
	.end_amdhsa_kernel
	.section	.text._ZN7rocprim17ROCPRIM_400000_NS6detail17trampoline_kernelINS0_14default_configENS1_35radix_sort_onesweep_config_selectorIbNS0_10empty_typeEEEZNS1_34radix_sort_onesweep_global_offsetsIS3_Lb0EPKbPS5_mNS0_19identity_decomposerEEE10hipError_tT1_T2_PT3_SF_jT4_jjP12ihipStream_tbEUlT_E0_NS1_11comp_targetILNS1_3genE10ELNS1_11target_archE1201ELNS1_3gpuE5ELNS1_3repE0EEENS1_52radix_sort_onesweep_histogram_config_static_selectorELNS0_4arch9wavefront6targetE0EEEvSD_,"axG",@progbits,_ZN7rocprim17ROCPRIM_400000_NS6detail17trampoline_kernelINS0_14default_configENS1_35radix_sort_onesweep_config_selectorIbNS0_10empty_typeEEEZNS1_34radix_sort_onesweep_global_offsetsIS3_Lb0EPKbPS5_mNS0_19identity_decomposerEEE10hipError_tT1_T2_PT3_SF_jT4_jjP12ihipStream_tbEUlT_E0_NS1_11comp_targetILNS1_3genE10ELNS1_11target_archE1201ELNS1_3gpuE5ELNS1_3repE0EEENS1_52radix_sort_onesweep_histogram_config_static_selectorELNS0_4arch9wavefront6targetE0EEEvSD_,comdat
.Lfunc_end1849:
	.size	_ZN7rocprim17ROCPRIM_400000_NS6detail17trampoline_kernelINS0_14default_configENS1_35radix_sort_onesweep_config_selectorIbNS0_10empty_typeEEEZNS1_34radix_sort_onesweep_global_offsetsIS3_Lb0EPKbPS5_mNS0_19identity_decomposerEEE10hipError_tT1_T2_PT3_SF_jT4_jjP12ihipStream_tbEUlT_E0_NS1_11comp_targetILNS1_3genE10ELNS1_11target_archE1201ELNS1_3gpuE5ELNS1_3repE0EEENS1_52radix_sort_onesweep_histogram_config_static_selectorELNS0_4arch9wavefront6targetE0EEEvSD_, .Lfunc_end1849-_ZN7rocprim17ROCPRIM_400000_NS6detail17trampoline_kernelINS0_14default_configENS1_35radix_sort_onesweep_config_selectorIbNS0_10empty_typeEEEZNS1_34radix_sort_onesweep_global_offsetsIS3_Lb0EPKbPS5_mNS0_19identity_decomposerEEE10hipError_tT1_T2_PT3_SF_jT4_jjP12ihipStream_tbEUlT_E0_NS1_11comp_targetILNS1_3genE10ELNS1_11target_archE1201ELNS1_3gpuE5ELNS1_3repE0EEENS1_52radix_sort_onesweep_histogram_config_static_selectorELNS0_4arch9wavefront6targetE0EEEvSD_
                                        ; -- End function
	.set _ZN7rocprim17ROCPRIM_400000_NS6detail17trampoline_kernelINS0_14default_configENS1_35radix_sort_onesweep_config_selectorIbNS0_10empty_typeEEEZNS1_34radix_sort_onesweep_global_offsetsIS3_Lb0EPKbPS5_mNS0_19identity_decomposerEEE10hipError_tT1_T2_PT3_SF_jT4_jjP12ihipStream_tbEUlT_E0_NS1_11comp_targetILNS1_3genE10ELNS1_11target_archE1201ELNS1_3gpuE5ELNS1_3repE0EEENS1_52radix_sort_onesweep_histogram_config_static_selectorELNS0_4arch9wavefront6targetE0EEEvSD_.num_vgpr, 0
	.set _ZN7rocprim17ROCPRIM_400000_NS6detail17trampoline_kernelINS0_14default_configENS1_35radix_sort_onesweep_config_selectorIbNS0_10empty_typeEEEZNS1_34radix_sort_onesweep_global_offsetsIS3_Lb0EPKbPS5_mNS0_19identity_decomposerEEE10hipError_tT1_T2_PT3_SF_jT4_jjP12ihipStream_tbEUlT_E0_NS1_11comp_targetILNS1_3genE10ELNS1_11target_archE1201ELNS1_3gpuE5ELNS1_3repE0EEENS1_52radix_sort_onesweep_histogram_config_static_selectorELNS0_4arch9wavefront6targetE0EEEvSD_.num_agpr, 0
	.set _ZN7rocprim17ROCPRIM_400000_NS6detail17trampoline_kernelINS0_14default_configENS1_35radix_sort_onesweep_config_selectorIbNS0_10empty_typeEEEZNS1_34radix_sort_onesweep_global_offsetsIS3_Lb0EPKbPS5_mNS0_19identity_decomposerEEE10hipError_tT1_T2_PT3_SF_jT4_jjP12ihipStream_tbEUlT_E0_NS1_11comp_targetILNS1_3genE10ELNS1_11target_archE1201ELNS1_3gpuE5ELNS1_3repE0EEENS1_52radix_sort_onesweep_histogram_config_static_selectorELNS0_4arch9wavefront6targetE0EEEvSD_.numbered_sgpr, 0
	.set _ZN7rocprim17ROCPRIM_400000_NS6detail17trampoline_kernelINS0_14default_configENS1_35radix_sort_onesweep_config_selectorIbNS0_10empty_typeEEEZNS1_34radix_sort_onesweep_global_offsetsIS3_Lb0EPKbPS5_mNS0_19identity_decomposerEEE10hipError_tT1_T2_PT3_SF_jT4_jjP12ihipStream_tbEUlT_E0_NS1_11comp_targetILNS1_3genE10ELNS1_11target_archE1201ELNS1_3gpuE5ELNS1_3repE0EEENS1_52radix_sort_onesweep_histogram_config_static_selectorELNS0_4arch9wavefront6targetE0EEEvSD_.num_named_barrier, 0
	.set _ZN7rocprim17ROCPRIM_400000_NS6detail17trampoline_kernelINS0_14default_configENS1_35radix_sort_onesweep_config_selectorIbNS0_10empty_typeEEEZNS1_34radix_sort_onesweep_global_offsetsIS3_Lb0EPKbPS5_mNS0_19identity_decomposerEEE10hipError_tT1_T2_PT3_SF_jT4_jjP12ihipStream_tbEUlT_E0_NS1_11comp_targetILNS1_3genE10ELNS1_11target_archE1201ELNS1_3gpuE5ELNS1_3repE0EEENS1_52radix_sort_onesweep_histogram_config_static_selectorELNS0_4arch9wavefront6targetE0EEEvSD_.private_seg_size, 0
	.set _ZN7rocprim17ROCPRIM_400000_NS6detail17trampoline_kernelINS0_14default_configENS1_35radix_sort_onesweep_config_selectorIbNS0_10empty_typeEEEZNS1_34radix_sort_onesweep_global_offsetsIS3_Lb0EPKbPS5_mNS0_19identity_decomposerEEE10hipError_tT1_T2_PT3_SF_jT4_jjP12ihipStream_tbEUlT_E0_NS1_11comp_targetILNS1_3genE10ELNS1_11target_archE1201ELNS1_3gpuE5ELNS1_3repE0EEENS1_52radix_sort_onesweep_histogram_config_static_selectorELNS0_4arch9wavefront6targetE0EEEvSD_.uses_vcc, 0
	.set _ZN7rocprim17ROCPRIM_400000_NS6detail17trampoline_kernelINS0_14default_configENS1_35radix_sort_onesweep_config_selectorIbNS0_10empty_typeEEEZNS1_34radix_sort_onesweep_global_offsetsIS3_Lb0EPKbPS5_mNS0_19identity_decomposerEEE10hipError_tT1_T2_PT3_SF_jT4_jjP12ihipStream_tbEUlT_E0_NS1_11comp_targetILNS1_3genE10ELNS1_11target_archE1201ELNS1_3gpuE5ELNS1_3repE0EEENS1_52radix_sort_onesweep_histogram_config_static_selectorELNS0_4arch9wavefront6targetE0EEEvSD_.uses_flat_scratch, 0
	.set _ZN7rocprim17ROCPRIM_400000_NS6detail17trampoline_kernelINS0_14default_configENS1_35radix_sort_onesweep_config_selectorIbNS0_10empty_typeEEEZNS1_34radix_sort_onesweep_global_offsetsIS3_Lb0EPKbPS5_mNS0_19identity_decomposerEEE10hipError_tT1_T2_PT3_SF_jT4_jjP12ihipStream_tbEUlT_E0_NS1_11comp_targetILNS1_3genE10ELNS1_11target_archE1201ELNS1_3gpuE5ELNS1_3repE0EEENS1_52radix_sort_onesweep_histogram_config_static_selectorELNS0_4arch9wavefront6targetE0EEEvSD_.has_dyn_sized_stack, 0
	.set _ZN7rocprim17ROCPRIM_400000_NS6detail17trampoline_kernelINS0_14default_configENS1_35radix_sort_onesweep_config_selectorIbNS0_10empty_typeEEEZNS1_34radix_sort_onesweep_global_offsetsIS3_Lb0EPKbPS5_mNS0_19identity_decomposerEEE10hipError_tT1_T2_PT3_SF_jT4_jjP12ihipStream_tbEUlT_E0_NS1_11comp_targetILNS1_3genE10ELNS1_11target_archE1201ELNS1_3gpuE5ELNS1_3repE0EEENS1_52radix_sort_onesweep_histogram_config_static_selectorELNS0_4arch9wavefront6targetE0EEEvSD_.has_recursion, 0
	.set _ZN7rocprim17ROCPRIM_400000_NS6detail17trampoline_kernelINS0_14default_configENS1_35radix_sort_onesweep_config_selectorIbNS0_10empty_typeEEEZNS1_34radix_sort_onesweep_global_offsetsIS3_Lb0EPKbPS5_mNS0_19identity_decomposerEEE10hipError_tT1_T2_PT3_SF_jT4_jjP12ihipStream_tbEUlT_E0_NS1_11comp_targetILNS1_3genE10ELNS1_11target_archE1201ELNS1_3gpuE5ELNS1_3repE0EEENS1_52radix_sort_onesweep_histogram_config_static_selectorELNS0_4arch9wavefront6targetE0EEEvSD_.has_indirect_call, 0
	.section	.AMDGPU.csdata,"",@progbits
; Kernel info:
; codeLenInByte = 0
; TotalNumSgprs: 0
; NumVgprs: 0
; ScratchSize: 0
; MemoryBound: 0
; FloatMode: 240
; IeeeMode: 1
; LDSByteSize: 0 bytes/workgroup (compile time only)
; SGPRBlocks: 0
; VGPRBlocks: 0
; NumSGPRsForWavesPerEU: 1
; NumVGPRsForWavesPerEU: 1
; NamedBarCnt: 0
; Occupancy: 16
; WaveLimiterHint : 0
; COMPUTE_PGM_RSRC2:SCRATCH_EN: 0
; COMPUTE_PGM_RSRC2:USER_SGPR: 2
; COMPUTE_PGM_RSRC2:TRAP_HANDLER: 0
; COMPUTE_PGM_RSRC2:TGID_X_EN: 1
; COMPUTE_PGM_RSRC2:TGID_Y_EN: 0
; COMPUTE_PGM_RSRC2:TGID_Z_EN: 0
; COMPUTE_PGM_RSRC2:TIDIG_COMP_CNT: 0
	.section	.text._ZN7rocprim17ROCPRIM_400000_NS6detail17trampoline_kernelINS0_14default_configENS1_35radix_sort_onesweep_config_selectorIbNS0_10empty_typeEEEZNS1_34radix_sort_onesweep_global_offsetsIS3_Lb0EPKbPS5_mNS0_19identity_decomposerEEE10hipError_tT1_T2_PT3_SF_jT4_jjP12ihipStream_tbEUlT_E0_NS1_11comp_targetILNS1_3genE9ELNS1_11target_archE1100ELNS1_3gpuE3ELNS1_3repE0EEENS1_52radix_sort_onesweep_histogram_config_static_selectorELNS0_4arch9wavefront6targetE0EEEvSD_,"axG",@progbits,_ZN7rocprim17ROCPRIM_400000_NS6detail17trampoline_kernelINS0_14default_configENS1_35radix_sort_onesweep_config_selectorIbNS0_10empty_typeEEEZNS1_34radix_sort_onesweep_global_offsetsIS3_Lb0EPKbPS5_mNS0_19identity_decomposerEEE10hipError_tT1_T2_PT3_SF_jT4_jjP12ihipStream_tbEUlT_E0_NS1_11comp_targetILNS1_3genE9ELNS1_11target_archE1100ELNS1_3gpuE3ELNS1_3repE0EEENS1_52radix_sort_onesweep_histogram_config_static_selectorELNS0_4arch9wavefront6targetE0EEEvSD_,comdat
	.protected	_ZN7rocprim17ROCPRIM_400000_NS6detail17trampoline_kernelINS0_14default_configENS1_35radix_sort_onesweep_config_selectorIbNS0_10empty_typeEEEZNS1_34radix_sort_onesweep_global_offsetsIS3_Lb0EPKbPS5_mNS0_19identity_decomposerEEE10hipError_tT1_T2_PT3_SF_jT4_jjP12ihipStream_tbEUlT_E0_NS1_11comp_targetILNS1_3genE9ELNS1_11target_archE1100ELNS1_3gpuE3ELNS1_3repE0EEENS1_52radix_sort_onesweep_histogram_config_static_selectorELNS0_4arch9wavefront6targetE0EEEvSD_ ; -- Begin function _ZN7rocprim17ROCPRIM_400000_NS6detail17trampoline_kernelINS0_14default_configENS1_35radix_sort_onesweep_config_selectorIbNS0_10empty_typeEEEZNS1_34radix_sort_onesweep_global_offsetsIS3_Lb0EPKbPS5_mNS0_19identity_decomposerEEE10hipError_tT1_T2_PT3_SF_jT4_jjP12ihipStream_tbEUlT_E0_NS1_11comp_targetILNS1_3genE9ELNS1_11target_archE1100ELNS1_3gpuE3ELNS1_3repE0EEENS1_52radix_sort_onesweep_histogram_config_static_selectorELNS0_4arch9wavefront6targetE0EEEvSD_
	.globl	_ZN7rocprim17ROCPRIM_400000_NS6detail17trampoline_kernelINS0_14default_configENS1_35radix_sort_onesweep_config_selectorIbNS0_10empty_typeEEEZNS1_34radix_sort_onesweep_global_offsetsIS3_Lb0EPKbPS5_mNS0_19identity_decomposerEEE10hipError_tT1_T2_PT3_SF_jT4_jjP12ihipStream_tbEUlT_E0_NS1_11comp_targetILNS1_3genE9ELNS1_11target_archE1100ELNS1_3gpuE3ELNS1_3repE0EEENS1_52radix_sort_onesweep_histogram_config_static_selectorELNS0_4arch9wavefront6targetE0EEEvSD_
	.p2align	8
	.type	_ZN7rocprim17ROCPRIM_400000_NS6detail17trampoline_kernelINS0_14default_configENS1_35radix_sort_onesweep_config_selectorIbNS0_10empty_typeEEEZNS1_34radix_sort_onesweep_global_offsetsIS3_Lb0EPKbPS5_mNS0_19identity_decomposerEEE10hipError_tT1_T2_PT3_SF_jT4_jjP12ihipStream_tbEUlT_E0_NS1_11comp_targetILNS1_3genE9ELNS1_11target_archE1100ELNS1_3gpuE3ELNS1_3repE0EEENS1_52radix_sort_onesweep_histogram_config_static_selectorELNS0_4arch9wavefront6targetE0EEEvSD_,@function
_ZN7rocprim17ROCPRIM_400000_NS6detail17trampoline_kernelINS0_14default_configENS1_35radix_sort_onesweep_config_selectorIbNS0_10empty_typeEEEZNS1_34radix_sort_onesweep_global_offsetsIS3_Lb0EPKbPS5_mNS0_19identity_decomposerEEE10hipError_tT1_T2_PT3_SF_jT4_jjP12ihipStream_tbEUlT_E0_NS1_11comp_targetILNS1_3genE9ELNS1_11target_archE1100ELNS1_3gpuE3ELNS1_3repE0EEENS1_52radix_sort_onesweep_histogram_config_static_selectorELNS0_4arch9wavefront6targetE0EEEvSD_: ; @_ZN7rocprim17ROCPRIM_400000_NS6detail17trampoline_kernelINS0_14default_configENS1_35radix_sort_onesweep_config_selectorIbNS0_10empty_typeEEEZNS1_34radix_sort_onesweep_global_offsetsIS3_Lb0EPKbPS5_mNS0_19identity_decomposerEEE10hipError_tT1_T2_PT3_SF_jT4_jjP12ihipStream_tbEUlT_E0_NS1_11comp_targetILNS1_3genE9ELNS1_11target_archE1100ELNS1_3gpuE3ELNS1_3repE0EEENS1_52radix_sort_onesweep_histogram_config_static_selectorELNS0_4arch9wavefront6targetE0EEEvSD_
; %bb.0:
	.section	.rodata,"a",@progbits
	.p2align	6, 0x0
	.amdhsa_kernel _ZN7rocprim17ROCPRIM_400000_NS6detail17trampoline_kernelINS0_14default_configENS1_35radix_sort_onesweep_config_selectorIbNS0_10empty_typeEEEZNS1_34radix_sort_onesweep_global_offsetsIS3_Lb0EPKbPS5_mNS0_19identity_decomposerEEE10hipError_tT1_T2_PT3_SF_jT4_jjP12ihipStream_tbEUlT_E0_NS1_11comp_targetILNS1_3genE9ELNS1_11target_archE1100ELNS1_3gpuE3ELNS1_3repE0EEENS1_52radix_sort_onesweep_histogram_config_static_selectorELNS0_4arch9wavefront6targetE0EEEvSD_
		.amdhsa_group_segment_fixed_size 0
		.amdhsa_private_segment_fixed_size 0
		.amdhsa_kernarg_size 8
		.amdhsa_user_sgpr_count 2
		.amdhsa_user_sgpr_dispatch_ptr 0
		.amdhsa_user_sgpr_queue_ptr 0
		.amdhsa_user_sgpr_kernarg_segment_ptr 1
		.amdhsa_user_sgpr_dispatch_id 0
		.amdhsa_user_sgpr_kernarg_preload_length 0
		.amdhsa_user_sgpr_kernarg_preload_offset 0
		.amdhsa_user_sgpr_private_segment_size 0
		.amdhsa_wavefront_size32 1
		.amdhsa_uses_dynamic_stack 0
		.amdhsa_enable_private_segment 0
		.amdhsa_system_sgpr_workgroup_id_x 1
		.amdhsa_system_sgpr_workgroup_id_y 0
		.amdhsa_system_sgpr_workgroup_id_z 0
		.amdhsa_system_sgpr_workgroup_info 0
		.amdhsa_system_vgpr_workitem_id 0
		.amdhsa_next_free_vgpr 1
		.amdhsa_next_free_sgpr 1
		.amdhsa_named_barrier_count 0
		.amdhsa_reserve_vcc 0
		.amdhsa_float_round_mode_32 0
		.amdhsa_float_round_mode_16_64 0
		.amdhsa_float_denorm_mode_32 3
		.amdhsa_float_denorm_mode_16_64 3
		.amdhsa_fp16_overflow 0
		.amdhsa_memory_ordered 1
		.amdhsa_forward_progress 1
		.amdhsa_inst_pref_size 0
		.amdhsa_round_robin_scheduling 0
		.amdhsa_exception_fp_ieee_invalid_op 0
		.amdhsa_exception_fp_denorm_src 0
		.amdhsa_exception_fp_ieee_div_zero 0
		.amdhsa_exception_fp_ieee_overflow 0
		.amdhsa_exception_fp_ieee_underflow 0
		.amdhsa_exception_fp_ieee_inexact 0
		.amdhsa_exception_int_div_zero 0
	.end_amdhsa_kernel
	.section	.text._ZN7rocprim17ROCPRIM_400000_NS6detail17trampoline_kernelINS0_14default_configENS1_35radix_sort_onesweep_config_selectorIbNS0_10empty_typeEEEZNS1_34radix_sort_onesweep_global_offsetsIS3_Lb0EPKbPS5_mNS0_19identity_decomposerEEE10hipError_tT1_T2_PT3_SF_jT4_jjP12ihipStream_tbEUlT_E0_NS1_11comp_targetILNS1_3genE9ELNS1_11target_archE1100ELNS1_3gpuE3ELNS1_3repE0EEENS1_52radix_sort_onesweep_histogram_config_static_selectorELNS0_4arch9wavefront6targetE0EEEvSD_,"axG",@progbits,_ZN7rocprim17ROCPRIM_400000_NS6detail17trampoline_kernelINS0_14default_configENS1_35radix_sort_onesweep_config_selectorIbNS0_10empty_typeEEEZNS1_34radix_sort_onesweep_global_offsetsIS3_Lb0EPKbPS5_mNS0_19identity_decomposerEEE10hipError_tT1_T2_PT3_SF_jT4_jjP12ihipStream_tbEUlT_E0_NS1_11comp_targetILNS1_3genE9ELNS1_11target_archE1100ELNS1_3gpuE3ELNS1_3repE0EEENS1_52radix_sort_onesweep_histogram_config_static_selectorELNS0_4arch9wavefront6targetE0EEEvSD_,comdat
.Lfunc_end1850:
	.size	_ZN7rocprim17ROCPRIM_400000_NS6detail17trampoline_kernelINS0_14default_configENS1_35radix_sort_onesweep_config_selectorIbNS0_10empty_typeEEEZNS1_34radix_sort_onesweep_global_offsetsIS3_Lb0EPKbPS5_mNS0_19identity_decomposerEEE10hipError_tT1_T2_PT3_SF_jT4_jjP12ihipStream_tbEUlT_E0_NS1_11comp_targetILNS1_3genE9ELNS1_11target_archE1100ELNS1_3gpuE3ELNS1_3repE0EEENS1_52radix_sort_onesweep_histogram_config_static_selectorELNS0_4arch9wavefront6targetE0EEEvSD_, .Lfunc_end1850-_ZN7rocprim17ROCPRIM_400000_NS6detail17trampoline_kernelINS0_14default_configENS1_35radix_sort_onesweep_config_selectorIbNS0_10empty_typeEEEZNS1_34radix_sort_onesweep_global_offsetsIS3_Lb0EPKbPS5_mNS0_19identity_decomposerEEE10hipError_tT1_T2_PT3_SF_jT4_jjP12ihipStream_tbEUlT_E0_NS1_11comp_targetILNS1_3genE9ELNS1_11target_archE1100ELNS1_3gpuE3ELNS1_3repE0EEENS1_52radix_sort_onesweep_histogram_config_static_selectorELNS0_4arch9wavefront6targetE0EEEvSD_
                                        ; -- End function
	.set _ZN7rocprim17ROCPRIM_400000_NS6detail17trampoline_kernelINS0_14default_configENS1_35radix_sort_onesweep_config_selectorIbNS0_10empty_typeEEEZNS1_34radix_sort_onesweep_global_offsetsIS3_Lb0EPKbPS5_mNS0_19identity_decomposerEEE10hipError_tT1_T2_PT3_SF_jT4_jjP12ihipStream_tbEUlT_E0_NS1_11comp_targetILNS1_3genE9ELNS1_11target_archE1100ELNS1_3gpuE3ELNS1_3repE0EEENS1_52radix_sort_onesweep_histogram_config_static_selectorELNS0_4arch9wavefront6targetE0EEEvSD_.num_vgpr, 0
	.set _ZN7rocprim17ROCPRIM_400000_NS6detail17trampoline_kernelINS0_14default_configENS1_35radix_sort_onesweep_config_selectorIbNS0_10empty_typeEEEZNS1_34radix_sort_onesweep_global_offsetsIS3_Lb0EPKbPS5_mNS0_19identity_decomposerEEE10hipError_tT1_T2_PT3_SF_jT4_jjP12ihipStream_tbEUlT_E0_NS1_11comp_targetILNS1_3genE9ELNS1_11target_archE1100ELNS1_3gpuE3ELNS1_3repE0EEENS1_52radix_sort_onesweep_histogram_config_static_selectorELNS0_4arch9wavefront6targetE0EEEvSD_.num_agpr, 0
	.set _ZN7rocprim17ROCPRIM_400000_NS6detail17trampoline_kernelINS0_14default_configENS1_35radix_sort_onesweep_config_selectorIbNS0_10empty_typeEEEZNS1_34radix_sort_onesweep_global_offsetsIS3_Lb0EPKbPS5_mNS0_19identity_decomposerEEE10hipError_tT1_T2_PT3_SF_jT4_jjP12ihipStream_tbEUlT_E0_NS1_11comp_targetILNS1_3genE9ELNS1_11target_archE1100ELNS1_3gpuE3ELNS1_3repE0EEENS1_52radix_sort_onesweep_histogram_config_static_selectorELNS0_4arch9wavefront6targetE0EEEvSD_.numbered_sgpr, 0
	.set _ZN7rocprim17ROCPRIM_400000_NS6detail17trampoline_kernelINS0_14default_configENS1_35radix_sort_onesweep_config_selectorIbNS0_10empty_typeEEEZNS1_34radix_sort_onesweep_global_offsetsIS3_Lb0EPKbPS5_mNS0_19identity_decomposerEEE10hipError_tT1_T2_PT3_SF_jT4_jjP12ihipStream_tbEUlT_E0_NS1_11comp_targetILNS1_3genE9ELNS1_11target_archE1100ELNS1_3gpuE3ELNS1_3repE0EEENS1_52radix_sort_onesweep_histogram_config_static_selectorELNS0_4arch9wavefront6targetE0EEEvSD_.num_named_barrier, 0
	.set _ZN7rocprim17ROCPRIM_400000_NS6detail17trampoline_kernelINS0_14default_configENS1_35radix_sort_onesweep_config_selectorIbNS0_10empty_typeEEEZNS1_34radix_sort_onesweep_global_offsetsIS3_Lb0EPKbPS5_mNS0_19identity_decomposerEEE10hipError_tT1_T2_PT3_SF_jT4_jjP12ihipStream_tbEUlT_E0_NS1_11comp_targetILNS1_3genE9ELNS1_11target_archE1100ELNS1_3gpuE3ELNS1_3repE0EEENS1_52radix_sort_onesweep_histogram_config_static_selectorELNS0_4arch9wavefront6targetE0EEEvSD_.private_seg_size, 0
	.set _ZN7rocprim17ROCPRIM_400000_NS6detail17trampoline_kernelINS0_14default_configENS1_35radix_sort_onesweep_config_selectorIbNS0_10empty_typeEEEZNS1_34radix_sort_onesweep_global_offsetsIS3_Lb0EPKbPS5_mNS0_19identity_decomposerEEE10hipError_tT1_T2_PT3_SF_jT4_jjP12ihipStream_tbEUlT_E0_NS1_11comp_targetILNS1_3genE9ELNS1_11target_archE1100ELNS1_3gpuE3ELNS1_3repE0EEENS1_52radix_sort_onesweep_histogram_config_static_selectorELNS0_4arch9wavefront6targetE0EEEvSD_.uses_vcc, 0
	.set _ZN7rocprim17ROCPRIM_400000_NS6detail17trampoline_kernelINS0_14default_configENS1_35radix_sort_onesweep_config_selectorIbNS0_10empty_typeEEEZNS1_34radix_sort_onesweep_global_offsetsIS3_Lb0EPKbPS5_mNS0_19identity_decomposerEEE10hipError_tT1_T2_PT3_SF_jT4_jjP12ihipStream_tbEUlT_E0_NS1_11comp_targetILNS1_3genE9ELNS1_11target_archE1100ELNS1_3gpuE3ELNS1_3repE0EEENS1_52radix_sort_onesweep_histogram_config_static_selectorELNS0_4arch9wavefront6targetE0EEEvSD_.uses_flat_scratch, 0
	.set _ZN7rocprim17ROCPRIM_400000_NS6detail17trampoline_kernelINS0_14default_configENS1_35radix_sort_onesweep_config_selectorIbNS0_10empty_typeEEEZNS1_34radix_sort_onesweep_global_offsetsIS3_Lb0EPKbPS5_mNS0_19identity_decomposerEEE10hipError_tT1_T2_PT3_SF_jT4_jjP12ihipStream_tbEUlT_E0_NS1_11comp_targetILNS1_3genE9ELNS1_11target_archE1100ELNS1_3gpuE3ELNS1_3repE0EEENS1_52radix_sort_onesweep_histogram_config_static_selectorELNS0_4arch9wavefront6targetE0EEEvSD_.has_dyn_sized_stack, 0
	.set _ZN7rocprim17ROCPRIM_400000_NS6detail17trampoline_kernelINS0_14default_configENS1_35radix_sort_onesweep_config_selectorIbNS0_10empty_typeEEEZNS1_34radix_sort_onesweep_global_offsetsIS3_Lb0EPKbPS5_mNS0_19identity_decomposerEEE10hipError_tT1_T2_PT3_SF_jT4_jjP12ihipStream_tbEUlT_E0_NS1_11comp_targetILNS1_3genE9ELNS1_11target_archE1100ELNS1_3gpuE3ELNS1_3repE0EEENS1_52radix_sort_onesweep_histogram_config_static_selectorELNS0_4arch9wavefront6targetE0EEEvSD_.has_recursion, 0
	.set _ZN7rocprim17ROCPRIM_400000_NS6detail17trampoline_kernelINS0_14default_configENS1_35radix_sort_onesweep_config_selectorIbNS0_10empty_typeEEEZNS1_34radix_sort_onesweep_global_offsetsIS3_Lb0EPKbPS5_mNS0_19identity_decomposerEEE10hipError_tT1_T2_PT3_SF_jT4_jjP12ihipStream_tbEUlT_E0_NS1_11comp_targetILNS1_3genE9ELNS1_11target_archE1100ELNS1_3gpuE3ELNS1_3repE0EEENS1_52radix_sort_onesweep_histogram_config_static_selectorELNS0_4arch9wavefront6targetE0EEEvSD_.has_indirect_call, 0
	.section	.AMDGPU.csdata,"",@progbits
; Kernel info:
; codeLenInByte = 0
; TotalNumSgprs: 0
; NumVgprs: 0
; ScratchSize: 0
; MemoryBound: 0
; FloatMode: 240
; IeeeMode: 1
; LDSByteSize: 0 bytes/workgroup (compile time only)
; SGPRBlocks: 0
; VGPRBlocks: 0
; NumSGPRsForWavesPerEU: 1
; NumVGPRsForWavesPerEU: 1
; NamedBarCnt: 0
; Occupancy: 16
; WaveLimiterHint : 0
; COMPUTE_PGM_RSRC2:SCRATCH_EN: 0
; COMPUTE_PGM_RSRC2:USER_SGPR: 2
; COMPUTE_PGM_RSRC2:TRAP_HANDLER: 0
; COMPUTE_PGM_RSRC2:TGID_X_EN: 1
; COMPUTE_PGM_RSRC2:TGID_Y_EN: 0
; COMPUTE_PGM_RSRC2:TGID_Z_EN: 0
; COMPUTE_PGM_RSRC2:TIDIG_COMP_CNT: 0
	.section	.text._ZN7rocprim17ROCPRIM_400000_NS6detail17trampoline_kernelINS0_14default_configENS1_35radix_sort_onesweep_config_selectorIbNS0_10empty_typeEEEZNS1_34radix_sort_onesweep_global_offsetsIS3_Lb0EPKbPS5_mNS0_19identity_decomposerEEE10hipError_tT1_T2_PT3_SF_jT4_jjP12ihipStream_tbEUlT_E0_NS1_11comp_targetILNS1_3genE8ELNS1_11target_archE1030ELNS1_3gpuE2ELNS1_3repE0EEENS1_52radix_sort_onesweep_histogram_config_static_selectorELNS0_4arch9wavefront6targetE0EEEvSD_,"axG",@progbits,_ZN7rocprim17ROCPRIM_400000_NS6detail17trampoline_kernelINS0_14default_configENS1_35radix_sort_onesweep_config_selectorIbNS0_10empty_typeEEEZNS1_34radix_sort_onesweep_global_offsetsIS3_Lb0EPKbPS5_mNS0_19identity_decomposerEEE10hipError_tT1_T2_PT3_SF_jT4_jjP12ihipStream_tbEUlT_E0_NS1_11comp_targetILNS1_3genE8ELNS1_11target_archE1030ELNS1_3gpuE2ELNS1_3repE0EEENS1_52radix_sort_onesweep_histogram_config_static_selectorELNS0_4arch9wavefront6targetE0EEEvSD_,comdat
	.protected	_ZN7rocprim17ROCPRIM_400000_NS6detail17trampoline_kernelINS0_14default_configENS1_35radix_sort_onesweep_config_selectorIbNS0_10empty_typeEEEZNS1_34radix_sort_onesweep_global_offsetsIS3_Lb0EPKbPS5_mNS0_19identity_decomposerEEE10hipError_tT1_T2_PT3_SF_jT4_jjP12ihipStream_tbEUlT_E0_NS1_11comp_targetILNS1_3genE8ELNS1_11target_archE1030ELNS1_3gpuE2ELNS1_3repE0EEENS1_52radix_sort_onesweep_histogram_config_static_selectorELNS0_4arch9wavefront6targetE0EEEvSD_ ; -- Begin function _ZN7rocprim17ROCPRIM_400000_NS6detail17trampoline_kernelINS0_14default_configENS1_35radix_sort_onesweep_config_selectorIbNS0_10empty_typeEEEZNS1_34radix_sort_onesweep_global_offsetsIS3_Lb0EPKbPS5_mNS0_19identity_decomposerEEE10hipError_tT1_T2_PT3_SF_jT4_jjP12ihipStream_tbEUlT_E0_NS1_11comp_targetILNS1_3genE8ELNS1_11target_archE1030ELNS1_3gpuE2ELNS1_3repE0EEENS1_52radix_sort_onesweep_histogram_config_static_selectorELNS0_4arch9wavefront6targetE0EEEvSD_
	.globl	_ZN7rocprim17ROCPRIM_400000_NS6detail17trampoline_kernelINS0_14default_configENS1_35radix_sort_onesweep_config_selectorIbNS0_10empty_typeEEEZNS1_34radix_sort_onesweep_global_offsetsIS3_Lb0EPKbPS5_mNS0_19identity_decomposerEEE10hipError_tT1_T2_PT3_SF_jT4_jjP12ihipStream_tbEUlT_E0_NS1_11comp_targetILNS1_3genE8ELNS1_11target_archE1030ELNS1_3gpuE2ELNS1_3repE0EEENS1_52radix_sort_onesweep_histogram_config_static_selectorELNS0_4arch9wavefront6targetE0EEEvSD_
	.p2align	8
	.type	_ZN7rocprim17ROCPRIM_400000_NS6detail17trampoline_kernelINS0_14default_configENS1_35radix_sort_onesweep_config_selectorIbNS0_10empty_typeEEEZNS1_34radix_sort_onesweep_global_offsetsIS3_Lb0EPKbPS5_mNS0_19identity_decomposerEEE10hipError_tT1_T2_PT3_SF_jT4_jjP12ihipStream_tbEUlT_E0_NS1_11comp_targetILNS1_3genE8ELNS1_11target_archE1030ELNS1_3gpuE2ELNS1_3repE0EEENS1_52radix_sort_onesweep_histogram_config_static_selectorELNS0_4arch9wavefront6targetE0EEEvSD_,@function
_ZN7rocprim17ROCPRIM_400000_NS6detail17trampoline_kernelINS0_14default_configENS1_35radix_sort_onesweep_config_selectorIbNS0_10empty_typeEEEZNS1_34radix_sort_onesweep_global_offsetsIS3_Lb0EPKbPS5_mNS0_19identity_decomposerEEE10hipError_tT1_T2_PT3_SF_jT4_jjP12ihipStream_tbEUlT_E0_NS1_11comp_targetILNS1_3genE8ELNS1_11target_archE1030ELNS1_3gpuE2ELNS1_3repE0EEENS1_52radix_sort_onesweep_histogram_config_static_selectorELNS0_4arch9wavefront6targetE0EEEvSD_: ; @_ZN7rocprim17ROCPRIM_400000_NS6detail17trampoline_kernelINS0_14default_configENS1_35radix_sort_onesweep_config_selectorIbNS0_10empty_typeEEEZNS1_34radix_sort_onesweep_global_offsetsIS3_Lb0EPKbPS5_mNS0_19identity_decomposerEEE10hipError_tT1_T2_PT3_SF_jT4_jjP12ihipStream_tbEUlT_E0_NS1_11comp_targetILNS1_3genE8ELNS1_11target_archE1030ELNS1_3gpuE2ELNS1_3repE0EEENS1_52radix_sort_onesweep_histogram_config_static_selectorELNS0_4arch9wavefront6targetE0EEEvSD_
; %bb.0:
	.section	.rodata,"a",@progbits
	.p2align	6, 0x0
	.amdhsa_kernel _ZN7rocprim17ROCPRIM_400000_NS6detail17trampoline_kernelINS0_14default_configENS1_35radix_sort_onesweep_config_selectorIbNS0_10empty_typeEEEZNS1_34radix_sort_onesweep_global_offsetsIS3_Lb0EPKbPS5_mNS0_19identity_decomposerEEE10hipError_tT1_T2_PT3_SF_jT4_jjP12ihipStream_tbEUlT_E0_NS1_11comp_targetILNS1_3genE8ELNS1_11target_archE1030ELNS1_3gpuE2ELNS1_3repE0EEENS1_52radix_sort_onesweep_histogram_config_static_selectorELNS0_4arch9wavefront6targetE0EEEvSD_
		.amdhsa_group_segment_fixed_size 0
		.amdhsa_private_segment_fixed_size 0
		.amdhsa_kernarg_size 8
		.amdhsa_user_sgpr_count 2
		.amdhsa_user_sgpr_dispatch_ptr 0
		.amdhsa_user_sgpr_queue_ptr 0
		.amdhsa_user_sgpr_kernarg_segment_ptr 1
		.amdhsa_user_sgpr_dispatch_id 0
		.amdhsa_user_sgpr_kernarg_preload_length 0
		.amdhsa_user_sgpr_kernarg_preload_offset 0
		.amdhsa_user_sgpr_private_segment_size 0
		.amdhsa_wavefront_size32 1
		.amdhsa_uses_dynamic_stack 0
		.amdhsa_enable_private_segment 0
		.amdhsa_system_sgpr_workgroup_id_x 1
		.amdhsa_system_sgpr_workgroup_id_y 0
		.amdhsa_system_sgpr_workgroup_id_z 0
		.amdhsa_system_sgpr_workgroup_info 0
		.amdhsa_system_vgpr_workitem_id 0
		.amdhsa_next_free_vgpr 1
		.amdhsa_next_free_sgpr 1
		.amdhsa_named_barrier_count 0
		.amdhsa_reserve_vcc 0
		.amdhsa_float_round_mode_32 0
		.amdhsa_float_round_mode_16_64 0
		.amdhsa_float_denorm_mode_32 3
		.amdhsa_float_denorm_mode_16_64 3
		.amdhsa_fp16_overflow 0
		.amdhsa_memory_ordered 1
		.amdhsa_forward_progress 1
		.amdhsa_inst_pref_size 0
		.amdhsa_round_robin_scheduling 0
		.amdhsa_exception_fp_ieee_invalid_op 0
		.amdhsa_exception_fp_denorm_src 0
		.amdhsa_exception_fp_ieee_div_zero 0
		.amdhsa_exception_fp_ieee_overflow 0
		.amdhsa_exception_fp_ieee_underflow 0
		.amdhsa_exception_fp_ieee_inexact 0
		.amdhsa_exception_int_div_zero 0
	.end_amdhsa_kernel
	.section	.text._ZN7rocprim17ROCPRIM_400000_NS6detail17trampoline_kernelINS0_14default_configENS1_35radix_sort_onesweep_config_selectorIbNS0_10empty_typeEEEZNS1_34radix_sort_onesweep_global_offsetsIS3_Lb0EPKbPS5_mNS0_19identity_decomposerEEE10hipError_tT1_T2_PT3_SF_jT4_jjP12ihipStream_tbEUlT_E0_NS1_11comp_targetILNS1_3genE8ELNS1_11target_archE1030ELNS1_3gpuE2ELNS1_3repE0EEENS1_52radix_sort_onesweep_histogram_config_static_selectorELNS0_4arch9wavefront6targetE0EEEvSD_,"axG",@progbits,_ZN7rocprim17ROCPRIM_400000_NS6detail17trampoline_kernelINS0_14default_configENS1_35radix_sort_onesweep_config_selectorIbNS0_10empty_typeEEEZNS1_34radix_sort_onesweep_global_offsetsIS3_Lb0EPKbPS5_mNS0_19identity_decomposerEEE10hipError_tT1_T2_PT3_SF_jT4_jjP12ihipStream_tbEUlT_E0_NS1_11comp_targetILNS1_3genE8ELNS1_11target_archE1030ELNS1_3gpuE2ELNS1_3repE0EEENS1_52radix_sort_onesweep_histogram_config_static_selectorELNS0_4arch9wavefront6targetE0EEEvSD_,comdat
.Lfunc_end1851:
	.size	_ZN7rocprim17ROCPRIM_400000_NS6detail17trampoline_kernelINS0_14default_configENS1_35radix_sort_onesweep_config_selectorIbNS0_10empty_typeEEEZNS1_34radix_sort_onesweep_global_offsetsIS3_Lb0EPKbPS5_mNS0_19identity_decomposerEEE10hipError_tT1_T2_PT3_SF_jT4_jjP12ihipStream_tbEUlT_E0_NS1_11comp_targetILNS1_3genE8ELNS1_11target_archE1030ELNS1_3gpuE2ELNS1_3repE0EEENS1_52radix_sort_onesweep_histogram_config_static_selectorELNS0_4arch9wavefront6targetE0EEEvSD_, .Lfunc_end1851-_ZN7rocprim17ROCPRIM_400000_NS6detail17trampoline_kernelINS0_14default_configENS1_35radix_sort_onesweep_config_selectorIbNS0_10empty_typeEEEZNS1_34radix_sort_onesweep_global_offsetsIS3_Lb0EPKbPS5_mNS0_19identity_decomposerEEE10hipError_tT1_T2_PT3_SF_jT4_jjP12ihipStream_tbEUlT_E0_NS1_11comp_targetILNS1_3genE8ELNS1_11target_archE1030ELNS1_3gpuE2ELNS1_3repE0EEENS1_52radix_sort_onesweep_histogram_config_static_selectorELNS0_4arch9wavefront6targetE0EEEvSD_
                                        ; -- End function
	.set _ZN7rocprim17ROCPRIM_400000_NS6detail17trampoline_kernelINS0_14default_configENS1_35radix_sort_onesweep_config_selectorIbNS0_10empty_typeEEEZNS1_34radix_sort_onesweep_global_offsetsIS3_Lb0EPKbPS5_mNS0_19identity_decomposerEEE10hipError_tT1_T2_PT3_SF_jT4_jjP12ihipStream_tbEUlT_E0_NS1_11comp_targetILNS1_3genE8ELNS1_11target_archE1030ELNS1_3gpuE2ELNS1_3repE0EEENS1_52radix_sort_onesweep_histogram_config_static_selectorELNS0_4arch9wavefront6targetE0EEEvSD_.num_vgpr, 0
	.set _ZN7rocprim17ROCPRIM_400000_NS6detail17trampoline_kernelINS0_14default_configENS1_35radix_sort_onesweep_config_selectorIbNS0_10empty_typeEEEZNS1_34radix_sort_onesweep_global_offsetsIS3_Lb0EPKbPS5_mNS0_19identity_decomposerEEE10hipError_tT1_T2_PT3_SF_jT4_jjP12ihipStream_tbEUlT_E0_NS1_11comp_targetILNS1_3genE8ELNS1_11target_archE1030ELNS1_3gpuE2ELNS1_3repE0EEENS1_52radix_sort_onesweep_histogram_config_static_selectorELNS0_4arch9wavefront6targetE0EEEvSD_.num_agpr, 0
	.set _ZN7rocprim17ROCPRIM_400000_NS6detail17trampoline_kernelINS0_14default_configENS1_35radix_sort_onesweep_config_selectorIbNS0_10empty_typeEEEZNS1_34radix_sort_onesweep_global_offsetsIS3_Lb0EPKbPS5_mNS0_19identity_decomposerEEE10hipError_tT1_T2_PT3_SF_jT4_jjP12ihipStream_tbEUlT_E0_NS1_11comp_targetILNS1_3genE8ELNS1_11target_archE1030ELNS1_3gpuE2ELNS1_3repE0EEENS1_52radix_sort_onesweep_histogram_config_static_selectorELNS0_4arch9wavefront6targetE0EEEvSD_.numbered_sgpr, 0
	.set _ZN7rocprim17ROCPRIM_400000_NS6detail17trampoline_kernelINS0_14default_configENS1_35radix_sort_onesweep_config_selectorIbNS0_10empty_typeEEEZNS1_34radix_sort_onesweep_global_offsetsIS3_Lb0EPKbPS5_mNS0_19identity_decomposerEEE10hipError_tT1_T2_PT3_SF_jT4_jjP12ihipStream_tbEUlT_E0_NS1_11comp_targetILNS1_3genE8ELNS1_11target_archE1030ELNS1_3gpuE2ELNS1_3repE0EEENS1_52radix_sort_onesweep_histogram_config_static_selectorELNS0_4arch9wavefront6targetE0EEEvSD_.num_named_barrier, 0
	.set _ZN7rocprim17ROCPRIM_400000_NS6detail17trampoline_kernelINS0_14default_configENS1_35radix_sort_onesweep_config_selectorIbNS0_10empty_typeEEEZNS1_34radix_sort_onesweep_global_offsetsIS3_Lb0EPKbPS5_mNS0_19identity_decomposerEEE10hipError_tT1_T2_PT3_SF_jT4_jjP12ihipStream_tbEUlT_E0_NS1_11comp_targetILNS1_3genE8ELNS1_11target_archE1030ELNS1_3gpuE2ELNS1_3repE0EEENS1_52radix_sort_onesweep_histogram_config_static_selectorELNS0_4arch9wavefront6targetE0EEEvSD_.private_seg_size, 0
	.set _ZN7rocprim17ROCPRIM_400000_NS6detail17trampoline_kernelINS0_14default_configENS1_35radix_sort_onesweep_config_selectorIbNS0_10empty_typeEEEZNS1_34radix_sort_onesweep_global_offsetsIS3_Lb0EPKbPS5_mNS0_19identity_decomposerEEE10hipError_tT1_T2_PT3_SF_jT4_jjP12ihipStream_tbEUlT_E0_NS1_11comp_targetILNS1_3genE8ELNS1_11target_archE1030ELNS1_3gpuE2ELNS1_3repE0EEENS1_52radix_sort_onesweep_histogram_config_static_selectorELNS0_4arch9wavefront6targetE0EEEvSD_.uses_vcc, 0
	.set _ZN7rocprim17ROCPRIM_400000_NS6detail17trampoline_kernelINS0_14default_configENS1_35radix_sort_onesweep_config_selectorIbNS0_10empty_typeEEEZNS1_34radix_sort_onesweep_global_offsetsIS3_Lb0EPKbPS5_mNS0_19identity_decomposerEEE10hipError_tT1_T2_PT3_SF_jT4_jjP12ihipStream_tbEUlT_E0_NS1_11comp_targetILNS1_3genE8ELNS1_11target_archE1030ELNS1_3gpuE2ELNS1_3repE0EEENS1_52radix_sort_onesweep_histogram_config_static_selectorELNS0_4arch9wavefront6targetE0EEEvSD_.uses_flat_scratch, 0
	.set _ZN7rocprim17ROCPRIM_400000_NS6detail17trampoline_kernelINS0_14default_configENS1_35radix_sort_onesweep_config_selectorIbNS0_10empty_typeEEEZNS1_34radix_sort_onesweep_global_offsetsIS3_Lb0EPKbPS5_mNS0_19identity_decomposerEEE10hipError_tT1_T2_PT3_SF_jT4_jjP12ihipStream_tbEUlT_E0_NS1_11comp_targetILNS1_3genE8ELNS1_11target_archE1030ELNS1_3gpuE2ELNS1_3repE0EEENS1_52radix_sort_onesweep_histogram_config_static_selectorELNS0_4arch9wavefront6targetE0EEEvSD_.has_dyn_sized_stack, 0
	.set _ZN7rocprim17ROCPRIM_400000_NS6detail17trampoline_kernelINS0_14default_configENS1_35radix_sort_onesweep_config_selectorIbNS0_10empty_typeEEEZNS1_34radix_sort_onesweep_global_offsetsIS3_Lb0EPKbPS5_mNS0_19identity_decomposerEEE10hipError_tT1_T2_PT3_SF_jT4_jjP12ihipStream_tbEUlT_E0_NS1_11comp_targetILNS1_3genE8ELNS1_11target_archE1030ELNS1_3gpuE2ELNS1_3repE0EEENS1_52radix_sort_onesweep_histogram_config_static_selectorELNS0_4arch9wavefront6targetE0EEEvSD_.has_recursion, 0
	.set _ZN7rocprim17ROCPRIM_400000_NS6detail17trampoline_kernelINS0_14default_configENS1_35radix_sort_onesweep_config_selectorIbNS0_10empty_typeEEEZNS1_34radix_sort_onesweep_global_offsetsIS3_Lb0EPKbPS5_mNS0_19identity_decomposerEEE10hipError_tT1_T2_PT3_SF_jT4_jjP12ihipStream_tbEUlT_E0_NS1_11comp_targetILNS1_3genE8ELNS1_11target_archE1030ELNS1_3gpuE2ELNS1_3repE0EEENS1_52radix_sort_onesweep_histogram_config_static_selectorELNS0_4arch9wavefront6targetE0EEEvSD_.has_indirect_call, 0
	.section	.AMDGPU.csdata,"",@progbits
; Kernel info:
; codeLenInByte = 0
; TotalNumSgprs: 0
; NumVgprs: 0
; ScratchSize: 0
; MemoryBound: 0
; FloatMode: 240
; IeeeMode: 1
; LDSByteSize: 0 bytes/workgroup (compile time only)
; SGPRBlocks: 0
; VGPRBlocks: 0
; NumSGPRsForWavesPerEU: 1
; NumVGPRsForWavesPerEU: 1
; NamedBarCnt: 0
; Occupancy: 16
; WaveLimiterHint : 0
; COMPUTE_PGM_RSRC2:SCRATCH_EN: 0
; COMPUTE_PGM_RSRC2:USER_SGPR: 2
; COMPUTE_PGM_RSRC2:TRAP_HANDLER: 0
; COMPUTE_PGM_RSRC2:TGID_X_EN: 1
; COMPUTE_PGM_RSRC2:TGID_Y_EN: 0
; COMPUTE_PGM_RSRC2:TGID_Z_EN: 0
; COMPUTE_PGM_RSRC2:TIDIG_COMP_CNT: 0
	.section	.text._ZN7rocprim17ROCPRIM_400000_NS6detail17trampoline_kernelINS0_14default_configENS1_35radix_sort_onesweep_config_selectorIbNS0_10empty_typeEEEZZNS1_29radix_sort_onesweep_iterationIS3_Lb0EPKbPbPS5_SB_mNS0_19identity_decomposerENS1_16block_id_wrapperIjLb1EEEEE10hipError_tT1_PNSt15iterator_traitsISG_E10value_typeET2_T3_PNSH_ISM_E10value_typeET4_T5_PSR_SS_PNS1_23onesweep_lookback_stateEbbT6_jjT7_P12ihipStream_tbENKUlT_T0_SG_SL_E_clIS9_SA_SB_SB_EEDaSZ_S10_SG_SL_EUlSZ_E_NS1_11comp_targetILNS1_3genE0ELNS1_11target_archE4294967295ELNS1_3gpuE0ELNS1_3repE0EEENS1_47radix_sort_onesweep_sort_config_static_selectorELNS0_4arch9wavefront6targetE0EEEvSG_,"axG",@progbits,_ZN7rocprim17ROCPRIM_400000_NS6detail17trampoline_kernelINS0_14default_configENS1_35radix_sort_onesweep_config_selectorIbNS0_10empty_typeEEEZZNS1_29radix_sort_onesweep_iterationIS3_Lb0EPKbPbPS5_SB_mNS0_19identity_decomposerENS1_16block_id_wrapperIjLb1EEEEE10hipError_tT1_PNSt15iterator_traitsISG_E10value_typeET2_T3_PNSH_ISM_E10value_typeET4_T5_PSR_SS_PNS1_23onesweep_lookback_stateEbbT6_jjT7_P12ihipStream_tbENKUlT_T0_SG_SL_E_clIS9_SA_SB_SB_EEDaSZ_S10_SG_SL_EUlSZ_E_NS1_11comp_targetILNS1_3genE0ELNS1_11target_archE4294967295ELNS1_3gpuE0ELNS1_3repE0EEENS1_47radix_sort_onesweep_sort_config_static_selectorELNS0_4arch9wavefront6targetE0EEEvSG_,comdat
	.protected	_ZN7rocprim17ROCPRIM_400000_NS6detail17trampoline_kernelINS0_14default_configENS1_35radix_sort_onesweep_config_selectorIbNS0_10empty_typeEEEZZNS1_29radix_sort_onesweep_iterationIS3_Lb0EPKbPbPS5_SB_mNS0_19identity_decomposerENS1_16block_id_wrapperIjLb1EEEEE10hipError_tT1_PNSt15iterator_traitsISG_E10value_typeET2_T3_PNSH_ISM_E10value_typeET4_T5_PSR_SS_PNS1_23onesweep_lookback_stateEbbT6_jjT7_P12ihipStream_tbENKUlT_T0_SG_SL_E_clIS9_SA_SB_SB_EEDaSZ_S10_SG_SL_EUlSZ_E_NS1_11comp_targetILNS1_3genE0ELNS1_11target_archE4294967295ELNS1_3gpuE0ELNS1_3repE0EEENS1_47radix_sort_onesweep_sort_config_static_selectorELNS0_4arch9wavefront6targetE0EEEvSG_ ; -- Begin function _ZN7rocprim17ROCPRIM_400000_NS6detail17trampoline_kernelINS0_14default_configENS1_35radix_sort_onesweep_config_selectorIbNS0_10empty_typeEEEZZNS1_29radix_sort_onesweep_iterationIS3_Lb0EPKbPbPS5_SB_mNS0_19identity_decomposerENS1_16block_id_wrapperIjLb1EEEEE10hipError_tT1_PNSt15iterator_traitsISG_E10value_typeET2_T3_PNSH_ISM_E10value_typeET4_T5_PSR_SS_PNS1_23onesweep_lookback_stateEbbT6_jjT7_P12ihipStream_tbENKUlT_T0_SG_SL_E_clIS9_SA_SB_SB_EEDaSZ_S10_SG_SL_EUlSZ_E_NS1_11comp_targetILNS1_3genE0ELNS1_11target_archE4294967295ELNS1_3gpuE0ELNS1_3repE0EEENS1_47radix_sort_onesweep_sort_config_static_selectorELNS0_4arch9wavefront6targetE0EEEvSG_
	.globl	_ZN7rocprim17ROCPRIM_400000_NS6detail17trampoline_kernelINS0_14default_configENS1_35radix_sort_onesweep_config_selectorIbNS0_10empty_typeEEEZZNS1_29radix_sort_onesweep_iterationIS3_Lb0EPKbPbPS5_SB_mNS0_19identity_decomposerENS1_16block_id_wrapperIjLb1EEEEE10hipError_tT1_PNSt15iterator_traitsISG_E10value_typeET2_T3_PNSH_ISM_E10value_typeET4_T5_PSR_SS_PNS1_23onesweep_lookback_stateEbbT6_jjT7_P12ihipStream_tbENKUlT_T0_SG_SL_E_clIS9_SA_SB_SB_EEDaSZ_S10_SG_SL_EUlSZ_E_NS1_11comp_targetILNS1_3genE0ELNS1_11target_archE4294967295ELNS1_3gpuE0ELNS1_3repE0EEENS1_47radix_sort_onesweep_sort_config_static_selectorELNS0_4arch9wavefront6targetE0EEEvSG_
	.p2align	8
	.type	_ZN7rocprim17ROCPRIM_400000_NS6detail17trampoline_kernelINS0_14default_configENS1_35radix_sort_onesweep_config_selectorIbNS0_10empty_typeEEEZZNS1_29radix_sort_onesweep_iterationIS3_Lb0EPKbPbPS5_SB_mNS0_19identity_decomposerENS1_16block_id_wrapperIjLb1EEEEE10hipError_tT1_PNSt15iterator_traitsISG_E10value_typeET2_T3_PNSH_ISM_E10value_typeET4_T5_PSR_SS_PNS1_23onesweep_lookback_stateEbbT6_jjT7_P12ihipStream_tbENKUlT_T0_SG_SL_E_clIS9_SA_SB_SB_EEDaSZ_S10_SG_SL_EUlSZ_E_NS1_11comp_targetILNS1_3genE0ELNS1_11target_archE4294967295ELNS1_3gpuE0ELNS1_3repE0EEENS1_47radix_sort_onesweep_sort_config_static_selectorELNS0_4arch9wavefront6targetE0EEEvSG_,@function
_ZN7rocprim17ROCPRIM_400000_NS6detail17trampoline_kernelINS0_14default_configENS1_35radix_sort_onesweep_config_selectorIbNS0_10empty_typeEEEZZNS1_29radix_sort_onesweep_iterationIS3_Lb0EPKbPbPS5_SB_mNS0_19identity_decomposerENS1_16block_id_wrapperIjLb1EEEEE10hipError_tT1_PNSt15iterator_traitsISG_E10value_typeET2_T3_PNSH_ISM_E10value_typeET4_T5_PSR_SS_PNS1_23onesweep_lookback_stateEbbT6_jjT7_P12ihipStream_tbENKUlT_T0_SG_SL_E_clIS9_SA_SB_SB_EEDaSZ_S10_SG_SL_EUlSZ_E_NS1_11comp_targetILNS1_3genE0ELNS1_11target_archE4294967295ELNS1_3gpuE0ELNS1_3repE0EEENS1_47radix_sort_onesweep_sort_config_static_selectorELNS0_4arch9wavefront6targetE0EEEvSG_: ; @_ZN7rocprim17ROCPRIM_400000_NS6detail17trampoline_kernelINS0_14default_configENS1_35radix_sort_onesweep_config_selectorIbNS0_10empty_typeEEEZZNS1_29radix_sort_onesweep_iterationIS3_Lb0EPKbPbPS5_SB_mNS0_19identity_decomposerENS1_16block_id_wrapperIjLb1EEEEE10hipError_tT1_PNSt15iterator_traitsISG_E10value_typeET2_T3_PNSH_ISM_E10value_typeET4_T5_PSR_SS_PNS1_23onesweep_lookback_stateEbbT6_jjT7_P12ihipStream_tbENKUlT_T0_SG_SL_E_clIS9_SA_SB_SB_EEDaSZ_S10_SG_SL_EUlSZ_E_NS1_11comp_targetILNS1_3genE0ELNS1_11target_archE4294967295ELNS1_3gpuE0ELNS1_3repE0EEENS1_47radix_sort_onesweep_sort_config_static_selectorELNS0_4arch9wavefront6targetE0EEEvSG_
; %bb.0:
	s_clause 0x1
	s_load_b128 s[8:11], s[0:1], 0x28
	s_load_b64 s[20:21], s[0:1], 0x38
	s_mov_b32 s2, exec_lo
	v_cmpx_eq_u32_e32 0, v0
	s_cbranch_execz .LBB1852_4
; %bb.1:
	s_mov_b32 s4, exec_lo
	s_mov_b32 s3, exec_lo
	v_mbcnt_lo_u32_b32 v1, s4, 0
                                        ; implicit-def: $vgpr2
	s_delay_alu instid0(VALU_DEP_1)
	v_cmpx_eq_u32_e32 0, v1
	s_cbranch_execz .LBB1852_3
; %bb.2:
	s_load_b64 s[6:7], s[0:1], 0x50
	s_bcnt1_i32_b32 s4, s4
	s_delay_alu instid0(SALU_CYCLE_1)
	v_dual_mov_b32 v2, 0 :: v_dual_mov_b32 v3, s4
	s_wait_xcnt 0x0
	s_wait_kmcnt 0x0
	global_atomic_add_u32 v2, v2, v3, s[6:7] th:TH_ATOMIC_RETURN scope:SCOPE_DEV
.LBB1852_3:
	s_wait_xcnt 0x0
	s_or_b32 exec_lo, exec_lo, s3
	s_wait_loadcnt 0x0
	v_readfirstlane_b32 s3, v2
	s_delay_alu instid0(VALU_DEP_1)
	v_dual_mov_b32 v2, 0 :: v_dual_add_nc_u32 v1, s3, v1
	ds_store_b32 v2, v1 offset:32896
.LBB1852_4:
	s_or_b32 exec_lo, exec_lo, s2
	v_mov_b32_e32 v7, 0
	s_clause 0x2
	s_load_b128 s[12:15], s[0:1], 0x0
	s_load_b32 s2, s[0:1], 0x20
	s_load_b96 s[16:18], s[0:1], 0x44
	s_wait_dscnt 0x0
	s_barrier_signal -1
	s_barrier_wait -1
	ds_load_b32 v1, v7 offset:32896
	v_mul_u32_u24_e32 v6, 22, v0
	s_mov_b32 s3, -1
	s_wait_dscnt 0x0
	s_barrier_signal -1
	s_barrier_wait -1
	v_readfirstlane_b32 s19, v1
	s_wait_kmcnt 0x0
	v_cmp_le_u32_e32 vcc_lo, s18, v1
	s_mul_i32 s22, s19, 0x5800
	s_cbranch_vccz .LBB1852_116
; %bb.5:
	s_mov_b32 s23, 0
	v_dual_mov_b32 v4, 1 :: v_dual_mov_b32 v1, 1
	s_add_nc_u64 s[4:5], s[12:13], s[22:23]
	v_mov_b32_e32 v5, 1
	v_add_nc_u64_e32 v[2:3], s[4:5], v[6:7]
	s_mulk_i32 s18, 0xa800
	s_delay_alu instid0(SALU_CYCLE_1)
	s_add_co_i32 s18, s18, s2
	s_mov_b32 s2, exec_lo
	v_cmpx_gt_u32_e64 s18, v6
	s_cbranch_execz .LBB1852_7
; %bb.6:
	global_load_u8 v5, v[2:3], off
	s_wait_loadcnt 0x0
	v_and_b32_e32 v4, 1, v5
.LBB1852_7:
	s_or_b32 exec_lo, exec_lo, s2
	v_dual_mov_b32 v28, 1 :: v_dual_bitop2_b32 v7, 1, v6 bitop3:0x54
	s_mov_b32 s2, exec_lo
	s_delay_alu instid0(VALU_DEP_1)
	v_cmpx_gt_u32_e64 s18, v7
	s_cbranch_execz .LBB1852_9
; %bb.8:
	global_load_u8 v1, v[2:3], off offset:1
	s_wait_loadcnt 0x0
	v_and_b32_e32 v28, 1, v1
.LBB1852_9:
	s_or_b32 exec_lo, exec_lo, s2
	v_dual_mov_b32 v29, 1 :: v_dual_add_nc_u32 v8, 2, v6
	v_mov_b32_e32 v7, 1
	s_delay_alu instid0(VALU_DEP_2)
	v_cmp_gt_u32_e32 vcc_lo, s18, v8
	v_mov_b32_e32 v8, 1
	s_and_saveexec_b32 s2, vcc_lo
	s_cbranch_execz .LBB1852_11
; %bb.10:
	global_load_u8 v8, v[2:3], off offset:2
	s_wait_loadcnt 0x0
	v_and_b32_e32 v29, 1, v8
.LBB1852_11:
	s_or_b32 exec_lo, exec_lo, s2
	v_dual_mov_b32 v30, 1 :: v_dual_add_nc_u32 v9, 3, v6
	s_mov_b32 s2, exec_lo
	s_delay_alu instid0(VALU_DEP_1)
	v_cmpx_gt_u32_e64 s18, v9
	s_cbranch_execz .LBB1852_13
; %bb.12:
	global_load_u8 v7, v[2:3], off offset:3
	s_wait_loadcnt 0x0
	v_and_b32_e32 v30, 1, v7
.LBB1852_13:
	s_or_b32 exec_lo, exec_lo, s2
	v_dual_mov_b32 v31, 1 :: v_dual_add_nc_u32 v10, 4, v6
	v_mov_b32_e32 v9, 1
	s_delay_alu instid0(VALU_DEP_2)
	v_cmp_gt_u32_e32 vcc_lo, s18, v10
	v_mov_b32_e32 v10, 1
	s_and_saveexec_b32 s2, vcc_lo
	s_cbranch_execz .LBB1852_15
; %bb.14:
	global_load_u8 v10, v[2:3], off offset:4
	s_wait_loadcnt 0x0
	v_and_b32_e32 v31, 1, v10
.LBB1852_15:
	s_or_b32 exec_lo, exec_lo, s2
	v_dual_mov_b32 v32, 1 :: v_dual_add_nc_u32 v11, 5, v6
	;; [unrolled: 24-line block ×7, first 2 shown]
	s_mov_b32 s2, exec_lo
	s_delay_alu instid0(VALU_DEP_1)
	v_cmpx_gt_u32_e64 s18, v21
	s_cbranch_execz .LBB1852_37
; %bb.36:
	global_load_u8 v19, v[2:3], off offset:15
	s_wait_loadcnt 0x0
	v_and_b32_e32 v42, 1, v19
.LBB1852_37:
	s_or_b32 exec_lo, exec_lo, s2
	v_dual_mov_b32 v43, 1 :: v_dual_add_nc_u32 v22, 16, v6
	v_mov_b32_e32 v21, 1
	s_delay_alu instid0(VALU_DEP_2)
	v_cmp_gt_u32_e32 vcc_lo, s18, v22
	v_mov_b32_e32 v22, 1
	s_and_saveexec_b32 s2, vcc_lo
	s_cbranch_execz .LBB1852_39
; %bb.38:
	global_load_u8 v22, v[2:3], off offset:16
	s_wait_loadcnt 0x0
	v_and_b32_e32 v43, 1, v22
.LBB1852_39:
	s_or_b32 exec_lo, exec_lo, s2
	v_dual_add_nc_u32 v23, 17, v6 :: v_dual_mov_b32 v45, 1
	s_mov_b32 s2, exec_lo
	s_delay_alu instid0(VALU_DEP_1)
	v_cmpx_gt_u32_e64 s18, v23
	s_cbranch_execz .LBB1852_41
; %bb.40:
	global_load_u8 v21, v[2:3], off offset:17
	s_wait_loadcnt 0x0
	v_and_b32_e32 v45, 1, v21
.LBB1852_41:
	s_or_b32 exec_lo, exec_lo, s2
	v_dual_mov_b32 v47, 1 :: v_dual_add_nc_u32 v24, 18, v6
	v_mov_b32_e32 v23, 1
	s_delay_alu instid0(VALU_DEP_2)
	v_cmp_gt_u32_e32 vcc_lo, s18, v24
	v_mov_b32_e32 v24, 1
	s_and_saveexec_b32 s2, vcc_lo
	s_cbranch_execz .LBB1852_43
; %bb.42:
	global_load_u8 v24, v[2:3], off offset:18
	s_wait_loadcnt 0x0
	v_and_b32_e32 v47, 1, v24
.LBB1852_43:
	s_or_b32 exec_lo, exec_lo, s2
	v_dual_add_nc_u32 v25, 19, v6 :: v_dual_mov_b32 v49, 1
	;; [unrolled: 24-line block ×3, first 2 shown]
	s_mov_b32 s2, exec_lo
	s_delay_alu instid0(VALU_DEP_1)
	v_cmpx_gt_u32_e64 s18, v27
	s_cbranch_execz .LBB1852_49
; %bb.48:
	global_load_u8 v25, v[2:3], off offset:21
	s_wait_loadcnt 0x0
	v_and_b32_e32 v53, 1, v25
.LBB1852_49:
	s_or_b32 exec_lo, exec_lo, s2
	v_dual_mov_b32 v3, 0 :: v_dual_lshrrev_b32 v2, s16, v4
	s_lshl_b32 s23, -1, s17
	v_dual_lshlrev_b32 v67, 2, v0 :: v_dual_lshrrev_b32 v31, s16, v31
	v_lshrrev_b32_e32 v32, s16, v32
	s_delay_alu instid0(VALU_DEP_3)
	v_bitop3_b32 v2, v2, s23, v2 bitop3:0x30
	ds_store_2addr_stride64_b32 v67, v3, v3 offset1:16
	ds_store_2addr_stride64_b32 v67, v3, v3 offset0:32 offset1:48
	ds_store_2addr_stride64_b32 v67, v3, v3 offset0:64 offset1:80
	;; [unrolled: 1-line block ×3, first 2 shown]
	v_dual_lshrrev_b32 v3, s16, v28 :: v_dual_lshrrev_b32 v30, s16, v30
	v_lshl_or_b32 v2, v2, 12, v67
	v_bitop3_b32 v31, v31, s23, v31 bitop3:0x30
	v_bitop3_b32 v32, v32, s23, v32 bitop3:0x30
	s_delay_alu instid0(VALU_DEP_4)
	v_bitop3_b32 v3, v3, s23, v3 bitop3:0x30
	v_bitop3_b32 v30, v30, s23, v30 bitop3:0x30
	ds_load_u16 v27, v2
	v_dual_lshrrev_b32 v33, s16, v33 :: v_dual_lshrrev_b32 v34, s16, v34
	v_dual_lshrrev_b32 v35, s16, v35 :: v_dual_lshrrev_b32 v36, s16, v36
	;; [unrolled: 1-line block ×3, first 2 shown]
	s_delay_alu instid0(VALU_DEP_3) | instskip(NEXT) | instid1(VALU_DEP_4)
	v_bitop3_b32 v33, v33, s23, v33 bitop3:0x30
	v_bitop3_b32 v34, v34, s23, v34 bitop3:0x30
	s_delay_alu instid0(VALU_DEP_4)
	v_bitop3_b32 v35, v35, s23, v35 bitop3:0x30
	v_bitop3_b32 v36, v36, s23, v36 bitop3:0x30
	;; [unrolled: 1-line block ×4, first 2 shown]
	v_dual_lshrrev_b32 v39, s16, v39 :: v_dual_lshrrev_b32 v40, s16, v40
	v_dual_lshrrev_b32 v41, s16, v41 :: v_dual_lshrrev_b32 v42, s16, v42
	;; [unrolled: 1-line block ×3, first 2 shown]
	s_delay_alu instid0(VALU_DEP_3)
	v_bitop3_b32 v39, v39, s23, v39 bitop3:0x30
	s_wait_dscnt 0x0
	v_add_nc_u16 v4, v27, 1
	v_bitop3_b32 v40, v40, s23, v40 bitop3:0x30
	v_bitop3_b32 v41, v41, s23, v41 bitop3:0x30
	;; [unrolled: 1-line block ×4, first 2 shown]
	ds_store_b16 v2, v4
	v_lshrrev_b32_e32 v4, s16, v29
	v_lshl_or_b32 v3, v3, 12, v67
	v_lshl_or_b32 v44, v30, 12, v67
	v_bitop3_b32 v45, v45, s23, v45 bitop3:0x30
	v_dual_lshrrev_b32 v47, s16, v47 :: v_dual_lshrrev_b32 v49, s16, v49
	ds_load_u16 v28, v3
	v_bitop3_b32 v4, v4, s23, v4 bitop3:0x30
	v_dual_lshrrev_b32 v51, s16, v51 :: v_dual_lshrrev_b32 v53, s16, v53
	v_bitop3_b32 v47, v47, s23, v47 bitop3:0x30
	v_bitop3_b32 v49, v49, s23, v49 bitop3:0x30
	s_delay_alu instid0(VALU_DEP_4) | instskip(NEXT) | instid1(VALU_DEP_4)
	v_lshl_or_b32 v4, v4, 12, v67
	v_bitop3_b32 v51, v51, s23, v51 bitop3:0x30
	v_bitop3_b32 v53, v53, s23, v53 bitop3:0x30
	s_mov_b32 s7, exec_lo
	s_wait_dscnt 0x0
	v_add_nc_u16 v29, v28, 1
	ds_store_b16 v3, v29
	ds_load_u16 v29, v4
	s_wait_dscnt 0x0
	v_add_nc_u16 v46, v29, 1
	ds_store_b16 v4, v46
	ds_load_u16 v30, v44
	v_lshl_or_b32 v46, v31, 12, v67
	s_wait_dscnt 0x0
	v_add_nc_u16 v48, v30, 1
	ds_store_b16 v44, v48
	ds_load_u16 v31, v46
	v_lshl_or_b32 v48, v32, 12, v67
	;; [unrolled: 5-line block ×17, first 2 shown]
	v_lshl_or_b32 v67, v53, 12, v67
	s_wait_dscnt 0x0
	v_add_nc_u16 v68, v49, 1
	ds_store_b16 v65, v68
	ds_load_u16 v51, v66
	s_wait_dscnt 0x0
	v_add_nc_u16 v68, v51, 1
	ds_store_b16 v66, v68
	ds_load_u16 v53, v67
	v_lshlrev_b32_e32 v68, 5, v0
	s_wait_dscnt 0x0
	v_add_nc_u16 v69, v53, 1
	ds_store_b16 v67, v69
	s_wait_dscnt 0x0
	s_barrier_signal -1
	s_barrier_wait -1
	ds_load_2addr_b64 v[70:73], v68 offset1:1
	ds_load_2addr_b64 v[74:77], v68 offset0:2 offset1:3
	s_wait_dscnt 0x1
	v_add_nc_u32_e32 v69, v71, v70
	s_delay_alu instid0(VALU_DEP_1) | instskip(SKIP_2) | instid1(VALU_DEP_2)
	v_add3_u32 v69, v69, v72, v73
	v_and_b32_e32 v73, 31, v0
	s_wait_dscnt 0x0
	v_add3_u32 v70, v69, v74, v75
	v_mbcnt_lo_u32_b32 v69, -1, 0
	s_delay_alu instid0(VALU_DEP_2) | instskip(NEXT) | instid1(VALU_DEP_2)
	v_add3_u32 v70, v70, v76, v77
	v_and_b32_e32 v71, 15, v69
	s_delay_alu instid0(VALU_DEP_2) | instskip(NEXT) | instid1(VALU_DEP_2)
	v_mov_b32_dpp v72, v70 row_shr:1 row_mask:0xf bank_mask:0xf
	v_cmp_eq_u32_e32 vcc_lo, 0, v71
	s_delay_alu instid0(VALU_DEP_2) | instskip(NEXT) | instid1(VALU_DEP_1)
	v_cndmask_b32_e64 v72, v72, 0, vcc_lo
	v_add_nc_u32_e32 v70, v72, v70
	v_cmp_lt_u32_e64 s2, 1, v71
	v_cmp_lt_u32_e64 s3, 3, v71
	;; [unrolled: 1-line block ×3, first 2 shown]
	s_delay_alu instid0(VALU_DEP_4) | instskip(NEXT) | instid1(VALU_DEP_1)
	v_mov_b32_dpp v72, v70 row_shr:2 row_mask:0xf bank_mask:0xf
	v_cndmask_b32_e64 v72, 0, v72, s2
	s_delay_alu instid0(VALU_DEP_1) | instskip(NEXT) | instid1(VALU_DEP_1)
	v_add_nc_u32_e32 v70, v70, v72
	v_mov_b32_dpp v72, v70 row_shr:4 row_mask:0xf bank_mask:0xf
	s_delay_alu instid0(VALU_DEP_1) | instskip(NEXT) | instid1(VALU_DEP_1)
	v_cndmask_b32_e64 v72, 0, v72, s3
	v_add_nc_u32_e32 v70, v70, v72
	s_delay_alu instid0(VALU_DEP_1) | instskip(NEXT) | instid1(VALU_DEP_1)
	v_mov_b32_dpp v72, v70 row_shr:8 row_mask:0xf bank_mask:0xf
	v_cndmask_b32_e64 v71, 0, v72, s4
	v_bfe_i32 v72, v69, 4, 1
	s_delay_alu instid0(VALU_DEP_2) | instskip(SKIP_4) | instid1(VALU_DEP_2)
	v_add_nc_u32_e32 v70, v70, v71
	ds_swizzle_b32 v71, v70 offset:swizzle(BROADCAST,32,15)
	s_wait_dscnt 0x0
	v_and_b32_e32 v71, v72, v71
	v_dual_lshrrev_b32 v72, 5, v0 :: v_dual_bitop2_b32 v74, 16, v69 bitop3:0x40
	v_add_nc_u32_e32 v70, v70, v71
	s_delay_alu instid0(VALU_DEP_2) | instskip(NEXT) | instid1(VALU_DEP_3)
	v_cmp_eq_u32_e64 s5, 0, v74
	v_lshlrev_b32_e32 v71, 2, v72
	v_cmpx_eq_u32_e32 31, v73
; %bb.50:
	ds_store_b32 v71, v70 offset:32768
; %bb.51:
	s_or_b32 exec_lo, exec_lo, s7
	v_cmp_lt_u32_e64 s6, 31, v0
	s_mov_b32 s24, exec_lo
	s_wait_dscnt 0x0
	s_barrier_signal -1
	s_barrier_wait -1
	v_cmpx_gt_u32_e32 32, v0
	s_cbranch_execz .LBB1852_53
; %bb.52:
	v_mad_i32_i24 v72, 0xffffffe4, v0, v68
	ds_load_b32 v73, v72 offset:32768
	s_wait_dscnt 0x0
	v_mov_b32_dpp v74, v73 row_shr:1 row_mask:0xf bank_mask:0xf
	s_delay_alu instid0(VALU_DEP_1) | instskip(NEXT) | instid1(VALU_DEP_1)
	v_cndmask_b32_e64 v74, v74, 0, vcc_lo
	v_add_nc_u32_e32 v73, v74, v73
	s_delay_alu instid0(VALU_DEP_1) | instskip(NEXT) | instid1(VALU_DEP_1)
	v_mov_b32_dpp v74, v73 row_shr:2 row_mask:0xf bank_mask:0xf
	v_cndmask_b32_e64 v74, 0, v74, s2
	s_delay_alu instid0(VALU_DEP_1) | instskip(NEXT) | instid1(VALU_DEP_1)
	v_add_nc_u32_e32 v73, v73, v74
	v_mov_b32_dpp v74, v73 row_shr:4 row_mask:0xf bank_mask:0xf
	s_delay_alu instid0(VALU_DEP_1) | instskip(NEXT) | instid1(VALU_DEP_1)
	v_cndmask_b32_e64 v74, 0, v74, s3
	v_add_nc_u32_e32 v73, v73, v74
	s_delay_alu instid0(VALU_DEP_1) | instskip(NEXT) | instid1(VALU_DEP_1)
	v_mov_b32_dpp v74, v73 row_shr:8 row_mask:0xf bank_mask:0xf
	v_cndmask_b32_e64 v74, 0, v74, s4
	s_delay_alu instid0(VALU_DEP_1) | instskip(SKIP_3) | instid1(VALU_DEP_1)
	v_add_nc_u32_e32 v73, v73, v74
	ds_swizzle_b32 v74, v73 offset:swizzle(BROADCAST,32,15)
	s_wait_dscnt 0x0
	v_cndmask_b32_e64 v74, v74, 0, s5
	v_add_nc_u32_e32 v73, v73, v74
	ds_store_b32 v72, v73 offset:32768
.LBB1852_53:
	s_or_b32 exec_lo, exec_lo, s24
	v_dual_mov_b32 v73, 0 :: v_dual_mov_b32 v72, 0
	s_wait_dscnt 0x0
	s_barrier_signal -1
	s_barrier_wait -1
	s_and_saveexec_b32 s2, s6
; %bb.54:
	ds_load_b32 v72, v71 offset:32764
; %bb.55:
	s_or_b32 exec_lo, exec_lo, s2
	v_sub_co_u32 v71, vcc_lo, v69, 1
	s_wait_dscnt 0x0
	v_add_nc_u32_e32 v70, v72, v70
	s_delay_alu instid0(VALU_DEP_2) | instskip(NEXT) | instid1(VALU_DEP_1)
	v_cmp_gt_i32_e64 s2, 0, v71
	v_cndmask_b32_e64 v69, v71, v69, s2
	v_cmp_gt_u32_e64 s2, 16, v0
	s_delay_alu instid0(VALU_DEP_2)
	v_lshlrev_b32_e32 v69, 2, v69
	ds_bpermute_b32 v69, v69, v70
	ds_load_b32 v70, v73 offset:32892
	ds_load_2addr_b64 v[74:77], v68 offset1:1
	ds_load_b32 v78, v68 offset:24
	s_wait_dscnt 0x3
	v_cndmask_b32_e32 v69, v69, v72, vcc_lo
	ds_load_b64 v[72:73], v68 offset:16
	v_cmp_lt_u32_e32 vcc_lo, 15, v0
	s_wait_dscnt 0x3
	v_lshl_add_u32 v70, v70, 16, v69
	s_wait_dscnt 0x2
	s_delay_alu instid0(VALU_DEP_1) | instskip(NEXT) | instid1(VALU_DEP_1)
	v_add_nc_u32_e32 v71, v70, v74
	v_add_nc_u32_e32 v74, v75, v71
	s_delay_alu instid0(VALU_DEP_1) | instskip(NEXT) | instid1(VALU_DEP_1)
	v_add_nc_u32_e32 v75, v76, v74
	v_add_nc_u32_e32 v76, v77, v75
	s_wait_dscnt 0x0
	s_delay_alu instid0(VALU_DEP_1) | instskip(NEXT) | instid1(VALU_DEP_1)
	v_add_nc_u32_e32 v77, v72, v76
	v_add_nc_u32_e32 v72, v73, v77
	s_delay_alu instid0(VALU_DEP_1)
	v_add_nc_u32_e32 v73, v78, v72
	ds_store_2addr_b64 v68, v[70:71], v[74:75] offset1:1
	ds_store_2addr_b64 v68, v[76:77], v[72:73] offset0:2 offset1:3
	s_wait_dscnt 0x0
	s_barrier_signal -1
	s_barrier_wait -1
	ds_load_u16 v68, v2
	ds_load_u16 v69, v3
	;; [unrolled: 1-line block ×22, first 2 shown]
	v_mov_b64_e32 v[2:3], 0
                                        ; implicit-def: $vgpr4
	s_and_saveexec_b32 s4, s2
	s_cbranch_execz .LBB1852_59
; %bb.56:
	v_dual_lshlrev_b32 v2, 12, v0 :: v_dual_lshrrev_b32 v3, 2, v0
	v_add_nc_u32_e32 v4, 1, v0
	s_mov_b32 s5, exec_lo
	s_delay_alu instid0(VALU_DEP_2)
	v_bitop3_b32 v2, v2, 0x70fe, v3 bitop3:0xc8
	v_mov_b32_e32 v3, 0x5800
	ds_load_u16 v2, v2
	v_cmpx_ne_u32_e32 16, v4
; %bb.57:
	v_dual_lshlrev_b32 v3, 12, v4 :: v_dual_lshrrev_b32 v4, 2, v4
	s_delay_alu instid0(VALU_DEP_1)
	v_bitop3_b32 v3, v3, 0x71fe, v4 bitop3:0xc8
	ds_load_u16 v3, v3
; %bb.58:
	s_or_b32 exec_lo, exec_lo, s5
	s_wait_dscnt 0x0
	v_and_b32_e32 v2, 0xffff, v2
	s_mov_b32 s3, 0
	s_delay_alu instid0(VALU_DEP_1) | instid1(SALU_CYCLE_1)
	v_dual_mov_b32 v3, s3 :: v_dual_sub_nc_u32 v4, v3, v2
.LBB1852_59:
	s_or_b32 exec_lo, exec_lo, s4
	s_wait_dscnt 0x15
	v_and_b32_e32 v68, 0xffff, v68
	v_and_b32_e32 v27, 0xffff, v27
	s_wait_dscnt 0x14
	v_and_b32_e32 v69, 0xffff, v69
	v_and_b32_e32 v28, 0xffff, v28
	;; [unrolled: 3-line block ×4, first 2 shown]
	v_dual_add_nc_u32 v27, v68, v27 :: v_dual_add_nc_u32 v28, v69, v28
	s_wait_dscnt 0x11
	v_and_b32_e32 v46, 0xffff, v46
	v_and_b32_e32 v31, 0xffff, v31
	s_wait_dscnt 0x10
	v_and_b32_e32 v48, 0xffff, v48
	v_and_b32_e32 v32, 0xffff, v32
	v_add_nc_u32_e32 v29, v70, v29
	s_wait_dscnt 0xf
	v_and_b32_e32 v50, 0xffff, v50
	v_and_b32_e32 v33, 0xffff, v33
	s_wait_dscnt 0xe
	v_and_b32_e32 v52, 0xffff, v52
	v_and_b32_e32 v34, 0xffff, v34
	;; [unrolled: 3-line block ×3, first 2 shown]
	s_wait_dscnt 0x0
	s_barrier_signal -1
	s_barrier_wait -1
	ds_store_b8 v27, v5 offset:128
	ds_store_b8 v28, v1 offset:128
	;; [unrolled: 1-line block ×3, first 2 shown]
	v_add_nc_u32_e32 v1, v44, v30
	v_and_b32_e32 v55, 0xffff, v55
	v_and_b32_e32 v36, 0xffff, v36
	v_dual_add_nc_u32 v5, v46, v31 :: v_dual_add_nc_u32 v8, v48, v32
	v_and_b32_e32 v56, 0xffff, v56
	v_and_b32_e32 v37, 0xffff, v37
	;; [unrolled: 1-line block ×4, first 2 shown]
	v_dual_add_nc_u32 v27, v50, v33 :: v_dual_add_nc_u32 v28, v52, v34
	v_and_b32_e32 v58, 0xffff, v58
	v_and_b32_e32 v39, 0xffff, v39
	;; [unrolled: 1-line block ×4, first 2 shown]
	ds_store_b8 v1, v7 offset:128
	ds_store_b8 v5, v10 offset:128
	;; [unrolled: 1-line block ×5, first 2 shown]
	v_dual_add_nc_u32 v1, v54, v35 :: v_dual_add_nc_u32 v5, v55, v36
	v_and_b32_e32 v60, 0xffff, v60
	v_and_b32_e32 v41, 0xffff, v41
	;; [unrolled: 1-line block ×4, first 2 shown]
	v_dual_add_nc_u32 v7, v56, v37 :: v_dual_add_nc_u32 v8, v57, v38
	v_and_b32_e32 v62, 0xffff, v62
	v_and_b32_e32 v43, 0xffff, v43
	v_and_b32_e32 v63, 0xffff, v63
	v_and_b32_e32 v45, 0xffff, v45
	v_add_nc_u32_e32 v9, v58, v39
	ds_store_b8 v1, v14 offset:128
	ds_store_b8 v5, v13 offset:128
	;; [unrolled: 1-line block ×5, first 2 shown]
	v_dual_add_nc_u32 v1, v59, v40 :: v_dual_add_nc_u32 v5, v60, v41
	v_dual_add_nc_u32 v7, v61, v42 :: v_dual_add_nc_u32 v8, v62, v43
	v_add_nc_u32_e32 v9, v63, v45
	v_and_b32_e32 v64, 0xffff, v64
	v_and_b32_e32 v67, 0xffff, v67
	;; [unrolled: 1-line block ×4, first 2 shown]
	ds_store_b8 v1, v17 offset:128
	ds_store_b8 v5, v20 offset:128
	ds_store_b8 v7, v19 offset:128
	ds_store_b8 v8, v22 offset:128
	ds_store_b8 v9, v21 offset:128
	v_mov_b32_e32 v9, 0
	v_and_b32_e32 v65, 0xffff, v65
	v_and_b32_e32 v49, 0xffff, v49
	;; [unrolled: 1-line block ×4, first 2 shown]
	v_dual_add_nc_u32 v7, v64, v47 :: v_dual_add_nc_u32 v11, v67, v53
	v_dual_mov_b32 v1, v9 :: v_dual_lshlrev_b32 v5, 3, v0
	s_delay_alu instid0(VALU_DEP_3)
	v_dual_add_nc_u32 v8, v65, v49 :: v_dual_add_nc_u32 v10, v66, v51
	s_not_b32 s3, s23
	ds_store_b8 v7, v24 offset:128
	ds_store_b8 v8, v23 offset:128
	;; [unrolled: 1-line block ×4, first 2 shown]
	s_and_saveexec_b32 s4, s2
	s_cbranch_execz .LBB1852_69
; %bb.60:
	v_lshl_add_u32 v8, s19, 4, v0
	v_dual_mov_b32 v12, 0 :: v_dual_bitop2_b32 v7, 2.0, v4 bitop3:0x54
	s_mov_b32 s5, 0
	s_mov_b32 s6, s19
	s_delay_alu instid0(VALU_DEP_2)
	v_lshl_add_u64 v[10:11], v[8:9], 2, s[20:21]
	global_store_b32 v8, v7, s[20:21] scale_offset scope:SCOPE_DEV
                                        ; implicit-def: $sgpr2
	s_branch .LBB1852_63
.LBB1852_61:                            ;   in Loop: Header=BB1852_63 Depth=1
	s_or_b32 exec_lo, exec_lo, s23
.LBB1852_62:                            ;   in Loop: Header=BB1852_63 Depth=1
	s_delay_alu instid0(SALU_CYCLE_1) | instskip(SKIP_2) | instid1(VALU_DEP_2)
	s_or_b32 exec_lo, exec_lo, s7
	v_and_b32_e32 v8, 0x3fffffff, v7
	v_cmp_gt_i32_e64 s2, -2.0, v7
	v_add_nc_u32_e32 v12, v8, v12
	s_and_b32 s7, exec_lo, s2
	s_delay_alu instid0(SALU_CYCLE_1) | instskip(NEXT) | instid1(SALU_CYCLE_1)
	s_or_b32 s5, s7, s5
	s_and_not1_b32 exec_lo, exec_lo, s5
	s_cbranch_execz .LBB1852_68
.LBB1852_63:                            ; =>This Loop Header: Depth=1
                                        ;     Child Loop BB1852_66 Depth 2
	s_or_b32 s2, s2, exec_lo
	s_cmp_eq_u32 s6, 0
	s_cbranch_scc1 .LBB1852_67
; %bb.64:                               ;   in Loop: Header=BB1852_63 Depth=1
	s_add_co_i32 s6, s6, -1
	s_mov_b32 s7, exec_lo
	s_wait_xcnt 0x0
	v_lshl_or_b32 v8, s6, 4, v0
	global_load_b32 v7, v8, s[20:21] scale_offset scope:SCOPE_DEV
	s_wait_loadcnt 0x0
	v_cmpx_gt_u32_e32 2.0, v7
	s_cbranch_execz .LBB1852_62
; %bb.65:                               ;   in Loop: Header=BB1852_63 Depth=1
	v_lshl_add_u64 v[14:15], v[8:9], 2, s[20:21]
	s_mov_b32 s23, 0
.LBB1852_66:                            ;   Parent Loop BB1852_63 Depth=1
                                        ; =>  This Inner Loop Header: Depth=2
	global_load_b32 v7, v[14:15], off scope:SCOPE_DEV
	s_wait_loadcnt 0x0
	v_cmp_lt_u32_e64 s2, 0x3fffffff, v7
	s_or_b32 s23, s2, s23
	s_wait_xcnt 0x0
	s_and_not1_b32 exec_lo, exec_lo, s23
	s_cbranch_execnz .LBB1852_66
	s_branch .LBB1852_61
.LBB1852_67:                            ;   in Loop: Header=BB1852_63 Depth=1
                                        ; implicit-def: $sgpr6
	s_and_b32 s7, exec_lo, s2
	s_delay_alu instid0(SALU_CYCLE_1)
	s_or_b32 s5, s7, s5
	s_wait_xcnt 0x0
	s_and_not1_b32 exec_lo, exec_lo, s5
	s_cbranch_execnz .LBB1852_63
.LBB1852_68:
	s_or_b32 exec_lo, exec_lo, s5
	v_dual_add_nc_u32 v7, v12, v4 :: v_dual_mov_b32 v13, 0
	s_delay_alu instid0(VALU_DEP_1)
	v_or_b32_e32 v7, 0x80000000, v7
	global_store_b32 v[10:11], v7, off scope:SCOPE_DEV
	global_load_b64 v[8:9], v0, s[8:9] scale_offset
	s_wait_xcnt 0x1
	v_sub_nc_u64_e32 v[10:11], v[12:13], v[2:3]
	s_wait_loadcnt 0x0
	s_delay_alu instid0(VALU_DEP_1)
	v_add_nc_u64_e32 v[8:9], v[10:11], v[8:9]
	ds_store_b64 v5, v[8:9]
.LBB1852_69:
	s_wait_xcnt 0x0
	s_or_b32 exec_lo, exec_lo, s4
	s_delay_alu instid0(SALU_CYCLE_1)
	s_mov_b32 s4, exec_lo
	s_wait_storecnt_dscnt 0x0
	s_barrier_signal -1
	s_barrier_wait -1
	v_cmpx_gt_u32_e64 s18, v0
	s_cbranch_execz .LBB1852_71
; %bb.70:
	ds_load_u8 v7, v0 offset:128
	s_wait_dscnt 0x0
	v_and_b32_e32 v8, 1, v7
	s_delay_alu instid0(VALU_DEP_1) | instskip(NEXT) | instid1(VALU_DEP_1)
	v_lshrrev_b32_e32 v8, s16, v8
	v_and_b32_e32 v8, s3, v8
	s_delay_alu instid0(VALU_DEP_1) | instskip(SKIP_3) | instid1(VALU_DEP_1)
	v_lshlrev_b32_e32 v8, 3, v8
	ds_load_b64 v[8:9], v8
	s_wait_dscnt 0x0
	v_add_nc_u64_e32 v[8:9], s[14:15], v[8:9]
	v_add_nc_u64_e32 v[8:9], v[8:9], v[0:1]
	global_store_b8 v[8:9], v7, off
.LBB1852_71:
	s_wait_xcnt 0x0
	s_or_b32 exec_lo, exec_lo, s4
	v_or_b32_e32 v7, 0x400, v0
	s_mov_b32 s4, exec_lo
	s_delay_alu instid0(VALU_DEP_1)
	v_cmpx_gt_u32_e64 s18, v7
	s_cbranch_execz .LBB1852_73
; %bb.72:
	ds_load_u8 v7, v0 offset:1152
	s_wait_dscnt 0x0
	v_and_b32_e32 v8, 1, v7
	s_delay_alu instid0(VALU_DEP_1) | instskip(NEXT) | instid1(VALU_DEP_1)
	v_lshrrev_b32_e32 v8, s16, v8
	v_and_b32_e32 v8, s3, v8
	s_delay_alu instid0(VALU_DEP_1) | instskip(SKIP_3) | instid1(VALU_DEP_1)
	v_lshlrev_b32_e32 v8, 3, v8
	ds_load_b64 v[8:9], v8
	s_wait_dscnt 0x0
	v_add_nc_u64_e32 v[8:9], s[14:15], v[8:9]
	v_add_nc_u64_e32 v[8:9], v[8:9], v[0:1]
	global_store_b8 v[8:9], v7, off offset:1024
.LBB1852_73:
	s_wait_xcnt 0x0
	s_or_b32 exec_lo, exec_lo, s4
	v_or_b32_e32 v7, 0x800, v0
	s_mov_b32 s4, exec_lo
	s_delay_alu instid0(VALU_DEP_1)
	v_cmpx_gt_u32_e64 s18, v7
	s_cbranch_execz .LBB1852_75
; %bb.74:
	ds_load_u8 v7, v0 offset:2176
	s_wait_dscnt 0x0
	v_and_b32_e32 v8, 1, v7
	s_delay_alu instid0(VALU_DEP_1) | instskip(NEXT) | instid1(VALU_DEP_1)
	v_lshrrev_b32_e32 v8, s16, v8
	v_and_b32_e32 v8, s3, v8
	s_delay_alu instid0(VALU_DEP_1) | instskip(SKIP_3) | instid1(VALU_DEP_1)
	v_lshlrev_b32_e32 v8, 3, v8
	ds_load_b64 v[8:9], v8
	s_wait_dscnt 0x0
	v_add_nc_u64_e32 v[8:9], s[14:15], v[8:9]
	v_add_nc_u64_e32 v[8:9], v[8:9], v[0:1]
	global_store_b8 v[8:9], v7, off offset:2048
.LBB1852_75:
	;; [unrolled: 22-line block ×21, first 2 shown]
	s_wait_xcnt 0x0
	s_or_b32 exec_lo, exec_lo, s4
	s_load_b32 s2, s[0:1], 0x58
	s_wait_kmcnt 0x0
	s_add_co_i32 s2, s2, -1
	s_delay_alu instid0(SALU_CYCLE_1) | instskip(SKIP_2) | instid1(SALU_CYCLE_1)
	s_cmp_eq_u32 s19, s2
	s_cselect_b32 s2, -1, 0
	s_xor_b32 s3, vcc_lo, -1
	s_and_b32 s3, s3, s2
	s_delay_alu instid0(SALU_CYCLE_1)
	s_and_saveexec_b32 s2, s3
	s_cbranch_execz .LBB1852_115
; %bb.114:
	ds_load_b64 v[8:9], v5
	v_mov_b32_e32 v5, 0
	s_delay_alu instid0(VALU_DEP_1) | instskip(SKIP_1) | instid1(VALU_DEP_1)
	v_add_nc_u64_e32 v[2:3], v[2:3], v[4:5]
	s_wait_dscnt 0x0
	v_add_nc_u64_e32 v[2:3], v[2:3], v[8:9]
	global_store_b64 v0, v[2:3], s[10:11] scale_offset
.LBB1852_115:
	s_wait_xcnt 0x0
	s_or_b32 exec_lo, exec_lo, s2
	s_mov_b32 s3, 0
.LBB1852_116:
	s_delay_alu instid0(SALU_CYCLE_1)
	s_and_b32 vcc_lo, exec_lo, s3
	s_cbranch_vccz .LBB1852_139
; %bb.117:
	s_mov_b32 s23, 0
	s_mov_b32 s7, exec_lo
	s_add_nc_u64 s[2:3], s[12:13], s[22:23]
	s_lshl_b32 s12, -1, s17
	s_clause 0x2
	global_load_b128 v[2:5], v6, s[2:3]
	global_load_b32 v8, v6, s[2:3] offset:16
	global_load_u16 v11, v6, s[2:3] offset:20
	v_lshlrev_b32_e32 v47, 2, v0
	s_wait_loadcnt 0x2
	v_and_b32_e32 v1, 0xff, v2
	s_delay_alu instid0(VALU_DEP_1) | instskip(NEXT) | instid1(VALU_DEP_1)
	v_lshrrev_b32_e32 v1, s16, v1
	v_bitop3_b32 v1, v1, s12, v1 bitop3:0x30
	s_wait_xcnt 0x0
	s_delay_alu instid0(VALU_DEP_1) | instskip(SKIP_1) | instid1(VALU_DEP_1)
	v_lshl_or_b32 v6, v1, 12, v47
	v_bfe_u32 v1, v2, 8, 8
	v_dual_mov_b32 v7, 0 :: v_dual_lshrrev_b32 v1, s16, v1
	ds_store_2addr_stride64_b32 v47, v7, v7 offset1:16
	ds_store_2addr_stride64_b32 v47, v7, v7 offset0:32 offset1:48
	ds_store_2addr_stride64_b32 v47, v7, v7 offset0:64 offset1:80
	;; [unrolled: 1-line block ×3, first 2 shown]
	ds_load_u16 v14, v6
	v_bitop3_b32 v1, v1, s12, v1 bitop3:0x30
	s_delay_alu instid0(VALU_DEP_1) | instskip(SKIP_1) | instid1(VALU_DEP_1)
	v_lshl_or_b32 v7, v1, 12, v47
	v_bfe_u32 v1, v2, 16, 8
	v_lshrrev_b32_e32 v1, s16, v1
	s_delay_alu instid0(VALU_DEP_1) | instskip(SKIP_2) | instid1(VALU_DEP_2)
	v_bitop3_b32 v1, v1, s12, v1 bitop3:0x30
	s_wait_dscnt 0x0
	v_add_nc_u16 v9, v14, 1
	v_lshl_or_b32 v10, v1, 12, v47
	ds_store_b16 v6, v9
	ds_load_u16 v15, v7
	v_lshrrev_b32_e32 v1, 24, v2
	s_wait_dscnt 0x0
	v_add_nc_u16 v9, v15, 1
	ds_store_b16 v7, v9
	ds_load_u16 v16, v10
	v_lshrrev_b32_e32 v9, s16, v1
	s_delay_alu instid0(VALU_DEP_1) | instskip(NEXT) | instid1(VALU_DEP_1)
	v_bitop3_b32 v9, v9, s12, v9 bitop3:0x30
	v_lshl_or_b32 v12, v9, 12, v47
	v_and_b32_e32 v9, 0xff, v3
	s_delay_alu instid0(VALU_DEP_1) | instskip(SKIP_2) | instid1(VALU_DEP_2)
	v_lshrrev_b32_e32 v9, s16, v9
	s_wait_dscnt 0x0
	v_add_nc_u16 v13, v16, 1
	v_bitop3_b32 v9, v9, s12, v9 bitop3:0x30
	ds_store_b16 v10, v13
	ds_load_u16 v18, v12
	v_lshl_or_b32 v13, v9, 12, v47
	v_bfe_u32 v9, v3, 8, 8
	s_delay_alu instid0(VALU_DEP_1) | instskip(NEXT) | instid1(VALU_DEP_1)
	v_lshrrev_b32_e32 v9, s16, v9
	v_bitop3_b32 v9, v9, s12, v9 bitop3:0x30
	s_delay_alu instid0(VALU_DEP_1) | instskip(SKIP_3) | instid1(VALU_DEP_2)
	v_lshl_or_b32 v31, v9, 12, v47
	v_bfe_u32 v9, v3, 16, 8
	s_wait_dscnt 0x0
	v_add_nc_u16 v17, v18, 1
	v_lshrrev_b32_e32 v9, s16, v9
	ds_store_b16 v12, v17
	ds_load_u16 v19, v13
	v_bitop3_b32 v9, v9, s12, v9 bitop3:0x30
	s_delay_alu instid0(VALU_DEP_1)
	v_lshl_or_b32 v34, v9, 12, v47
	s_wait_dscnt 0x0
	v_add_nc_u16 v17, v19, 1
	ds_store_b16 v13, v17
	ds_load_u16 v20, v31
	s_wait_dscnt 0x0
	v_add_nc_u16 v17, v20, 1
	ds_store_b16 v31, v17
	ds_load_u16 v22, v34
	v_lshrrev_b32_e32 v17, 24, v3
	s_delay_alu instid0(VALU_DEP_1) | instskip(NEXT) | instid1(VALU_DEP_1)
	v_lshrrev_b32_e32 v9, s16, v17
	v_bitop3_b32 v9, v9, s12, v9 bitop3:0x30
	s_delay_alu instid0(VALU_DEP_1) | instskip(SKIP_3) | instid1(VALU_DEP_2)
	v_lshl_or_b32 v36, v9, 12, v47
	v_and_b32_e32 v9, 0xff, v4
	s_wait_dscnt 0x0
	v_add_nc_u16 v21, v22, 1
	v_lshrrev_b32_e32 v9, s16, v9
	ds_store_b16 v34, v21
	ds_load_u16 v23, v36
	v_bitop3_b32 v9, v9, s12, v9 bitop3:0x30
	s_delay_alu instid0(VALU_DEP_1) | instskip(SKIP_1) | instid1(VALU_DEP_1)
	v_lshl_or_b32 v38, v9, 12, v47
	v_bfe_u32 v9, v4, 8, 8
	v_lshrrev_b32_e32 v9, s16, v9
	s_delay_alu instid0(VALU_DEP_1) | instskip(SKIP_2) | instid1(VALU_DEP_2)
	v_bitop3_b32 v9, v9, s12, v9 bitop3:0x30
	s_wait_dscnt 0x0
	v_add_nc_u16 v21, v23, 1
	v_lshl_or_b32 v40, v9, 12, v47
	v_bfe_u32 v9, v4, 16, 8
	ds_store_b16 v36, v21
	ds_load_u16 v24, v38
	v_lshrrev_b32_e32 v9, s16, v9
	s_delay_alu instid0(VALU_DEP_1) | instskip(NEXT) | instid1(VALU_DEP_1)
	v_bitop3_b32 v9, v9, s12, v9 bitop3:0x30
	v_lshl_or_b32 v42, v9, 12, v47
	s_wait_dscnt 0x0
	v_add_nc_u16 v21, v24, 1
	ds_store_b16 v38, v21
	ds_load_u16 v25, v40
	s_wait_dscnt 0x0
	v_add_nc_u16 v21, v25, 1
	ds_store_b16 v40, v21
	ds_load_u16 v27, v42
	v_lshrrev_b32_e32 v21, 24, v4
	s_delay_alu instid0(VALU_DEP_1) | instskip(NEXT) | instid1(VALU_DEP_1)
	v_lshrrev_b32_e32 v9, s16, v21
	v_bitop3_b32 v9, v9, s12, v9 bitop3:0x30
	s_delay_alu instid0(VALU_DEP_1) | instskip(SKIP_3) | instid1(VALU_DEP_2)
	v_lshl_or_b32 v44, v9, 12, v47
	v_and_b32_e32 v9, 0xff, v5
	s_wait_dscnt 0x0
	v_add_nc_u16 v26, v27, 1
	v_lshrrev_b32_e32 v9, s16, v9
	ds_store_b16 v42, v26
	ds_load_u16 v28, v44
	v_bitop3_b32 v9, v9, s12, v9 bitop3:0x30
	s_delay_alu instid0(VALU_DEP_1) | instskip(SKIP_1) | instid1(VALU_DEP_1)
	v_lshl_or_b32 v46, v9, 12, v47
	v_bfe_u32 v9, v5, 8, 8
	v_lshrrev_b32_e32 v9, s16, v9
	s_delay_alu instid0(VALU_DEP_1) | instskip(SKIP_2) | instid1(VALU_DEP_2)
	v_bitop3_b32 v9, v9, s12, v9 bitop3:0x30
	s_wait_dscnt 0x0
	v_add_nc_u16 v26, v28, 1
	v_lshl_or_b32 v48, v9, 12, v47
	v_bfe_u32 v9, v5, 16, 8
	ds_store_b16 v44, v26
	ds_load_u16 v29, v46
	v_lshrrev_b32_e32 v9, s16, v9
	s_delay_alu instid0(VALU_DEP_1) | instskip(NEXT) | instid1(VALU_DEP_1)
	v_bitop3_b32 v9, v9, s12, v9 bitop3:0x30
	v_lshl_or_b32 v49, v9, 12, v47
	s_wait_dscnt 0x0
	v_add_nc_u16 v26, v29, 1
	ds_store_b16 v46, v26
	ds_load_u16 v30, v48
	s_wait_dscnt 0x0
	v_add_nc_u16 v26, v30, 1
	ds_store_b16 v48, v26
	ds_load_u16 v32, v49
	v_lshrrev_b32_e32 v26, 24, v5
	s_delay_alu instid0(VALU_DEP_1) | instskip(NEXT) | instid1(VALU_DEP_1)
	v_lshrrev_b32_e32 v9, s16, v26
	v_bitop3_b32 v9, v9, s12, v9 bitop3:0x30
	s_delay_alu instid0(VALU_DEP_1) | instskip(SKIP_4) | instid1(VALU_DEP_2)
	v_lshl_or_b32 v50, v9, 12, v47
	s_wait_loadcnt 0x1
	v_and_b32_e32 v9, 0xff, v8
	s_wait_dscnt 0x0
	v_add_nc_u16 v33, v32, 1
	v_lshrrev_b32_e32 v9, s16, v9
	ds_store_b16 v49, v33
	ds_load_u16 v35, v50
	v_bitop3_b32 v9, v9, s12, v9 bitop3:0x30
	s_delay_alu instid0(VALU_DEP_1) | instskip(SKIP_1) | instid1(VALU_DEP_1)
	v_lshl_or_b32 v51, v9, 12, v47
	v_bfe_u32 v9, v8, 8, 8
	v_lshrrev_b32_e32 v9, s16, v9
	s_delay_alu instid0(VALU_DEP_1) | instskip(SKIP_2) | instid1(VALU_DEP_2)
	v_bitop3_b32 v9, v9, s12, v9 bitop3:0x30
	s_wait_dscnt 0x0
	v_add_nc_u16 v33, v35, 1
	v_lshl_or_b32 v52, v9, 12, v47
	v_bfe_u32 v9, v8, 16, 8
	ds_store_b16 v50, v33
	ds_load_u16 v37, v51
	v_lshrrev_b32_e32 v9, s16, v9
	s_delay_alu instid0(VALU_DEP_1) | instskip(NEXT) | instid1(VALU_DEP_1)
	v_bitop3_b32 v9, v9, s12, v9 bitop3:0x30
	v_lshl_or_b32 v53, v9, 12, v47
	s_wait_loadcnt 0x0
	v_and_b32_e32 v9, 0xffff, v11
	s_wait_dscnt 0x0
	v_add_nc_u16 v33, v37, 1
	ds_store_b16 v51, v33
	ds_load_u16 v39, v52
	s_wait_dscnt 0x0
	v_add_nc_u16 v33, v39, 1
	ds_store_b16 v52, v33
	ds_load_u16 v41, v53
	v_alignbit_b32 v33, v9, v8, 24
	s_delay_alu instid0(VALU_DEP_1) | instskip(NEXT) | instid1(VALU_DEP_1)
	v_and_b32_e32 v33, 0xff, v33
	v_lshrrev_b32_e32 v33, s16, v33
	s_delay_alu instid0(VALU_DEP_1) | instskip(SKIP_2) | instid1(VALU_DEP_2)
	v_bitop3_b32 v33, v33, s12, v33 bitop3:0x30
	s_wait_dscnt 0x0
	v_add_nc_u16 v43, v41, 1
	v_lshl_or_b32 v54, v33, 12, v47
	v_and_b32_e32 v33, 0xff, v9
	ds_store_b16 v53, v43
	ds_load_u16 v43, v54
	v_lshrrev_b32_e32 v33, s16, v33
	s_delay_alu instid0(VALU_DEP_1) | instskip(NEXT) | instid1(VALU_DEP_1)
	v_bitop3_b32 v33, v33, s12, v33 bitop3:0x30
	v_lshl_or_b32 v55, v33, 12, v47
	v_lshrrev_b32_e32 v33, 8, v9
	s_delay_alu instid0(VALU_DEP_1) | instskip(SKIP_2) | instid1(VALU_DEP_2)
	v_lshrrev_b32_e32 v56, s16, v33
	s_wait_dscnt 0x0
	v_add_nc_u16 v45, v43, 1
	v_bitop3_b32 v56, v56, s12, v56 bitop3:0x30
	ds_store_b16 v54, v45
	ds_load_u16 v45, v55
	v_lshl_or_b32 v56, v56, 12, v47
	s_wait_dscnt 0x0
	v_add_nc_u16 v57, v45, 1
	ds_store_b16 v55, v57
	ds_load_u16 v47, v56
	v_lshlrev_b32_e32 v57, 5, v0
	s_wait_dscnt 0x0
	v_add_nc_u16 v58, v47, 1
	ds_store_b16 v56, v58
	s_wait_storecnt_dscnt 0x0
	s_barrier_signal -1
	s_barrier_wait -1
	ds_load_2addr_b64 v[58:61], v57 offset1:1
	ds_load_2addr_b64 v[62:65], v57 offset0:2 offset1:3
	s_wait_dscnt 0x1
	v_add_nc_u32_e32 v58, v59, v58
	s_delay_alu instid0(VALU_DEP_1) | instskip(SKIP_1) | instid1(VALU_DEP_1)
	v_add3_u32 v58, v58, v60, v61
	s_wait_dscnt 0x0
	v_add3_u32 v59, v58, v62, v63
	v_mbcnt_lo_u32_b32 v58, -1, 0
	v_and_b32_e32 v62, 31, v0
	s_delay_alu instid0(VALU_DEP_3) | instskip(NEXT) | instid1(VALU_DEP_3)
	v_add3_u32 v59, v59, v64, v65
	v_and_b32_e32 v60, 15, v58
	v_and_b32_e32 v63, 16, v58
	s_delay_alu instid0(VALU_DEP_3) | instskip(NEXT) | instid1(VALU_DEP_3)
	v_mov_b32_dpp v61, v59 row_shr:1 row_mask:0xf bank_mask:0xf
	v_cmp_eq_u32_e32 vcc_lo, 0, v60
	v_cmp_lt_u32_e64 s2, 1, v60
	v_cmp_lt_u32_e64 s3, 3, v60
	;; [unrolled: 1-line block ×3, first 2 shown]
	v_cmp_eq_u32_e64 s5, 0, v63
	v_cndmask_b32_e64 v61, v61, 0, vcc_lo
	s_delay_alu instid0(VALU_DEP_1) | instskip(NEXT) | instid1(VALU_DEP_1)
	v_add_nc_u32_e32 v59, v61, v59
	v_mov_b32_dpp v61, v59 row_shr:2 row_mask:0xf bank_mask:0xf
	s_delay_alu instid0(VALU_DEP_1) | instskip(NEXT) | instid1(VALU_DEP_1)
	v_cndmask_b32_e64 v61, 0, v61, s2
	v_add_nc_u32_e32 v59, v59, v61
	s_delay_alu instid0(VALU_DEP_1) | instskip(NEXT) | instid1(VALU_DEP_1)
	v_mov_b32_dpp v61, v59 row_shr:4 row_mask:0xf bank_mask:0xf
	v_cndmask_b32_e64 v61, 0, v61, s3
	s_delay_alu instid0(VALU_DEP_1) | instskip(NEXT) | instid1(VALU_DEP_1)
	v_add_nc_u32_e32 v59, v59, v61
	v_mov_b32_dpp v61, v59 row_shr:8 row_mask:0xf bank_mask:0xf
	s_delay_alu instid0(VALU_DEP_1) | instskip(SKIP_1) | instid1(VALU_DEP_2)
	v_cndmask_b32_e64 v60, 0, v61, s4
	v_bfe_i32 v61, v58, 4, 1
	v_add_nc_u32_e32 v59, v59, v60
	ds_swizzle_b32 v60, v59 offset:swizzle(BROADCAST,32,15)
	s_wait_dscnt 0x0
	v_and_b32_e32 v60, v61, v60
	v_lshrrev_b32_e32 v61, 5, v0
	s_delay_alu instid0(VALU_DEP_1)
	v_dual_add_nc_u32 v59, v59, v60 :: v_dual_lshlrev_b32 v60, 2, v61
	v_cmpx_eq_u32_e32 31, v62
; %bb.118:
	ds_store_b32 v60, v59 offset:32768
; %bb.119:
	s_or_b32 exec_lo, exec_lo, s7
	v_cmp_lt_u32_e64 s6, 31, v0
	s_mov_b32 s13, exec_lo
	s_wait_dscnt 0x0
	s_barrier_signal -1
	s_barrier_wait -1
	v_cmpx_gt_u32_e32 32, v0
	s_cbranch_execz .LBB1852_121
; %bb.120:
	v_mad_i32_i24 v61, 0xffffffe4, v0, v57
	ds_load_b32 v62, v61 offset:32768
	s_wait_dscnt 0x0
	v_mov_b32_dpp v63, v62 row_shr:1 row_mask:0xf bank_mask:0xf
	s_delay_alu instid0(VALU_DEP_1) | instskip(NEXT) | instid1(VALU_DEP_1)
	v_cndmask_b32_e64 v63, v63, 0, vcc_lo
	v_add_nc_u32_e32 v62, v63, v62
	s_delay_alu instid0(VALU_DEP_1) | instskip(NEXT) | instid1(VALU_DEP_1)
	v_mov_b32_dpp v63, v62 row_shr:2 row_mask:0xf bank_mask:0xf
	v_cndmask_b32_e64 v63, 0, v63, s2
	s_delay_alu instid0(VALU_DEP_1) | instskip(NEXT) | instid1(VALU_DEP_1)
	v_add_nc_u32_e32 v62, v62, v63
	v_mov_b32_dpp v63, v62 row_shr:4 row_mask:0xf bank_mask:0xf
	s_delay_alu instid0(VALU_DEP_1) | instskip(NEXT) | instid1(VALU_DEP_1)
	v_cndmask_b32_e64 v63, 0, v63, s3
	v_add_nc_u32_e32 v62, v62, v63
	s_delay_alu instid0(VALU_DEP_1) | instskip(NEXT) | instid1(VALU_DEP_1)
	v_mov_b32_dpp v63, v62 row_shr:8 row_mask:0xf bank_mask:0xf
	v_cndmask_b32_e64 v63, 0, v63, s4
	s_delay_alu instid0(VALU_DEP_1) | instskip(SKIP_3) | instid1(VALU_DEP_1)
	v_add_nc_u32_e32 v62, v62, v63
	ds_swizzle_b32 v63, v62 offset:swizzle(BROADCAST,32,15)
	s_wait_dscnt 0x0
	v_cndmask_b32_e64 v63, v63, 0, s5
	v_add_nc_u32_e32 v62, v62, v63
	ds_store_b32 v61, v62 offset:32768
.LBB1852_121:
	s_or_b32 exec_lo, exec_lo, s13
	v_dual_mov_b32 v62, 0 :: v_dual_mov_b32 v61, 0
	s_wait_dscnt 0x0
	s_barrier_signal -1
	s_barrier_wait -1
	s_and_saveexec_b32 s2, s6
; %bb.122:
	ds_load_b32 v61, v60 offset:32764
; %bb.123:
	s_or_b32 exec_lo, exec_lo, s2
	v_sub_co_u32 v60, vcc_lo, v58, 1
	s_wait_dscnt 0x0
	v_add_nc_u32_e32 v59, v61, v59
	s_delay_alu instid0(VALU_DEP_2) | instskip(NEXT) | instid1(VALU_DEP_1)
	v_cmp_gt_i32_e64 s2, 0, v60
	v_cndmask_b32_e64 v58, v60, v58, s2
	v_cmp_gt_u32_e64 s2, 16, v0
	s_delay_alu instid0(VALU_DEP_2)
	v_lshlrev_b32_e32 v58, 2, v58
	ds_bpermute_b32 v58, v58, v59
	ds_load_b32 v59, v62 offset:32892
	ds_load_2addr_b64 v[62:65], v57 offset1:1
	ds_load_b32 v66, v57 offset:24
	s_wait_dscnt 0x3
	v_cndmask_b32_e32 v58, v58, v61, vcc_lo
	ds_load_b64 v[60:61], v57 offset:16
	v_cmp_lt_u32_e32 vcc_lo, 15, v0
	s_wait_dscnt 0x3
	v_lshl_add_u32 v58, v59, 16, v58
	s_wait_dscnt 0x2
	s_delay_alu instid0(VALU_DEP_1) | instskip(NEXT) | instid1(VALU_DEP_1)
	v_add_nc_u32_e32 v59, v58, v62
	v_add_nc_u32_e32 v62, v63, v59
	s_delay_alu instid0(VALU_DEP_1) | instskip(NEXT) | instid1(VALU_DEP_1)
	v_add_nc_u32_e32 v63, v64, v62
	v_add_nc_u32_e32 v64, v65, v63
	s_wait_dscnt 0x0
	s_delay_alu instid0(VALU_DEP_1) | instskip(NEXT) | instid1(VALU_DEP_1)
	v_add_nc_u32_e32 v65, v60, v64
	v_add_nc_u32_e32 v60, v61, v65
	s_delay_alu instid0(VALU_DEP_1)
	v_add_nc_u32_e32 v61, v66, v60
	ds_store_2addr_b64 v57, v[58:59], v[62:63] offset1:1
	ds_store_2addr_b64 v57, v[64:65], v[60:61] offset0:2 offset1:3
	s_wait_dscnt 0x0
	s_barrier_signal -1
	s_barrier_wait -1
	ds_load_u16 v57, v6
	ds_load_u16 v58, v7
	ds_load_u16 v59, v10
	ds_load_u16 v60, v12
	ds_load_u16 v61, v13
	ds_load_u16 v62, v31
	ds_load_u16 v63, v34
	ds_load_u16 v64, v36
	ds_load_u16 v65, v38
	ds_load_u16 v40, v40
	ds_load_u16 v42, v42
	ds_load_u16 v44, v44
	ds_load_u16 v46, v46
	ds_load_u16 v48, v48
	ds_load_u16 v49, v49
	ds_load_u16 v50, v50
	ds_load_u16 v51, v51
	ds_load_u16 v52, v52
	ds_load_u16 v53, v53
	ds_load_u16 v54, v54
	ds_load_u16 v55, v55
	ds_load_u16 v56, v56
	v_lshrrev_b64 v[12:13], 24, v[8:9]
	v_mov_b64_e32 v[6:7], 0
                                        ; implicit-def: $vgpr10
	s_and_saveexec_b32 s4, s2
	s_cbranch_execz .LBB1852_127
; %bb.124:
	v_dual_lshlrev_b32 v6, 12, v0 :: v_dual_lshrrev_b32 v7, 2, v0
	v_add_nc_u32_e32 v9, 1, v0
	s_mov_b32 s5, exec_lo
	s_delay_alu instid0(VALU_DEP_2)
	v_bitop3_b32 v6, v6, 0x70fe, v7 bitop3:0xc8
	v_mov_b32_e32 v7, 0x5800
	ds_load_u16 v6, v6
	v_cmpx_ne_u32_e32 16, v9
; %bb.125:
	v_dual_lshlrev_b32 v7, 12, v9 :: v_dual_lshrrev_b32 v9, 2, v9
	s_delay_alu instid0(VALU_DEP_1)
	v_bitop3_b32 v7, v7, 0x71fe, v9 bitop3:0xc8
	ds_load_u16 v7, v7
; %bb.126:
	s_or_b32 exec_lo, exec_lo, s5
	s_wait_dscnt 0x0
	v_and_b32_e32 v6, 0xffff, v6
	s_mov_b32 s3, 0
	s_delay_alu instid0(VALU_DEP_1) | instid1(SALU_CYCLE_1)
	v_dual_mov_b32 v7, s3 :: v_dual_sub_nc_u32 v10, v7, v6
.LBB1852_127:
	s_or_b32 exec_lo, exec_lo, s4
	s_wait_dscnt 0x15
	v_and_b32_e32 v57, 0xffff, v57
	v_and_b32_e32 v14, 0xffff, v14
	s_wait_dscnt 0x14
	v_and_b32_e32 v58, 0xffff, v58
	v_and_b32_e32 v15, 0xffff, v15
	;; [unrolled: 3-line block ×4, first 2 shown]
	v_dual_add_nc_u32 v14, v57, v14 :: v_dual_add_nc_u32 v15, v58, v15
	v_dual_lshrrev_b32 v68, 8, v2 :: v_dual_lshrrev_b32 v69, 16, v2
	s_wait_dscnt 0x11
	v_and_b32_e32 v61, 0xffff, v61
	v_and_b32_e32 v19, 0xffff, v19
	s_wait_dscnt 0x10
	v_and_b32_e32 v62, 0xffff, v62
	v_and_b32_e32 v20, 0xffff, v20
	v_add_nc_u32_e32 v16, v59, v16
	s_wait_dscnt 0xf
	v_and_b32_e32 v63, 0xffff, v63
	v_and_b32_e32 v22, 0xffff, v22
	s_wait_dscnt 0xe
	v_and_b32_e32 v64, 0xffff, v64
	v_and_b32_e32 v23, 0xffff, v23
	s_wait_dscnt 0xd
	v_and_b32_e32 v65, 0xffff, v65
	v_and_b32_e32 v24, 0xffff, v24
	s_wait_dscnt 0x0
	s_barrier_signal -1
	s_barrier_wait -1
	ds_store_b8 v14, v2 offset:128
	ds_store_b8 v15, v68 offset:128
	;; [unrolled: 1-line block ×3, first 2 shown]
	v_add_nc_u32_e32 v2, v60, v18
	v_and_b32_e32 v40, 0xffff, v40
	v_and_b32_e32 v25, 0xffff, v25
	v_dual_add_nc_u32 v14, v61, v19 :: v_dual_add_nc_u32 v15, v62, v20
	v_dual_lshrrev_b32 v66, 8, v3 :: v_dual_lshrrev_b32 v67, 16, v3
	v_and_b32_e32 v42, 0xffff, v42
	v_and_b32_e32 v27, 0xffff, v27
	;; [unrolled: 1-line block ×4, first 2 shown]
	v_dual_add_nc_u32 v16, v63, v22 :: v_dual_add_nc_u32 v18, v64, v23
	v_and_b32_e32 v46, 0xffff, v46
	v_and_b32_e32 v29, 0xffff, v29
	;; [unrolled: 1-line block ×4, first 2 shown]
	ds_store_b8 v2, v1 offset:128
	ds_store_b8 v14, v3 offset:128
	;; [unrolled: 1-line block ×5, first 2 shown]
	v_dual_add_nc_u32 v1, v65, v24 :: v_dual_add_nc_u32 v2, v40, v25
	v_dual_lshrrev_b32 v36, 8, v4 :: v_dual_lshrrev_b32 v38, 16, v4
	v_and_b32_e32 v49, 0xffff, v49
	v_and_b32_e32 v32, 0xffff, v32
	;; [unrolled: 1-line block ×4, first 2 shown]
	v_dual_add_nc_u32 v3, v42, v27 :: v_dual_add_nc_u32 v14, v44, v28
	v_and_b32_e32 v51, 0xffff, v51
	v_and_b32_e32 v37, 0xffff, v37
	;; [unrolled: 1-line block ×4, first 2 shown]
	v_add_nc_u32_e32 v15, v46, v29
	v_dual_lshrrev_b32 v31, 8, v5 :: v_dual_lshrrev_b32 v34, 16, v5
	ds_store_b8 v1, v4 offset:128
	ds_store_b8 v2, v36 offset:128
	;; [unrolled: 1-line block ×5, first 2 shown]
	v_dual_add_nc_u32 v1, v48, v30 :: v_dual_add_nc_u32 v2, v49, v32
	v_dual_add_nc_u32 v3, v50, v35 :: v_dual_add_nc_u32 v4, v51, v37
	v_dual_add_nc_u32 v5, v52, v39 :: v_dual_lshrrev_b32 v13, 8, v8
	v_lshrrev_b32_e32 v9, 16, v8
	v_and_b32_e32 v53, 0xffff, v53
	v_and_b32_e32 v56, 0xffff, v56
	;; [unrolled: 1-line block ×4, first 2 shown]
	ds_store_b8 v1, v31 offset:128
	ds_store_b8 v2, v34 offset:128
	;; [unrolled: 1-line block ×5, first 2 shown]
	v_mov_b32_e32 v3, 0
	v_and_b32_e32 v54, 0xffff, v54
	v_and_b32_e32 v43, 0xffff, v43
	;; [unrolled: 1-line block ×4, first 2 shown]
	v_dual_add_nc_u32 v2, v53, v41 :: v_dual_add_nc_u32 v8, v56, v47
	v_dual_mov_b32 v1, v3 :: v_dual_lshlrev_b32 v14, 3, v0
	s_delay_alu instid0(VALU_DEP_3)
	v_dual_add_nc_u32 v4, v54, v43 :: v_dual_add_nc_u32 v5, v55, v45
	s_not_b32 s3, s12
	ds_store_b8 v2, v9 offset:128
	ds_store_b8 v4, v12 offset:128
	;; [unrolled: 1-line block ×4, first 2 shown]
	s_and_saveexec_b32 s4, s2
	s_cbranch_execz .LBB1852_137
; %bb.128:
	v_lshl_add_u32 v2, s19, 4, v0
	v_dual_mov_b32 v8, 0 :: v_dual_bitop2_b32 v9, 2.0, v10 bitop3:0x54
	s_mov_b32 s5, 0
	s_mov_b32 s6, s19
	s_delay_alu instid0(VALU_DEP_2)
	v_lshl_add_u64 v[4:5], v[2:3], 2, s[20:21]
	global_store_b32 v2, v9, s[20:21] scale_offset scope:SCOPE_DEV
                                        ; implicit-def: $sgpr2
	s_branch .LBB1852_131
.LBB1852_129:                           ;   in Loop: Header=BB1852_131 Depth=1
	s_or_b32 exec_lo, exec_lo, s12
.LBB1852_130:                           ;   in Loop: Header=BB1852_131 Depth=1
	s_delay_alu instid0(SALU_CYCLE_1) | instskip(SKIP_2) | instid1(VALU_DEP_2)
	s_or_b32 exec_lo, exec_lo, s7
	v_and_b32_e32 v2, 0x3fffffff, v9
	v_cmp_gt_i32_e64 s2, -2.0, v9
	v_add_nc_u32_e32 v8, v2, v8
	s_and_b32 s7, exec_lo, s2
	s_delay_alu instid0(SALU_CYCLE_1) | instskip(NEXT) | instid1(SALU_CYCLE_1)
	s_or_b32 s5, s7, s5
	s_and_not1_b32 exec_lo, exec_lo, s5
	s_cbranch_execz .LBB1852_136
.LBB1852_131:                           ; =>This Loop Header: Depth=1
                                        ;     Child Loop BB1852_134 Depth 2
	s_or_b32 s2, s2, exec_lo
	s_cmp_eq_u32 s6, 0
	s_cbranch_scc1 .LBB1852_135
; %bb.132:                              ;   in Loop: Header=BB1852_131 Depth=1
	s_add_co_i32 s6, s6, -1
	s_mov_b32 s7, exec_lo
	s_wait_xcnt 0x0
	v_lshl_or_b32 v2, s6, 4, v0
	global_load_b32 v9, v2, s[20:21] scale_offset scope:SCOPE_DEV
	s_wait_loadcnt 0x0
	v_cmpx_gt_u32_e32 2.0, v9
	s_cbranch_execz .LBB1852_130
; %bb.133:                              ;   in Loop: Header=BB1852_131 Depth=1
	v_lshl_add_u64 v[12:13], v[2:3], 2, s[20:21]
	s_mov_b32 s12, 0
.LBB1852_134:                           ;   Parent Loop BB1852_131 Depth=1
                                        ; =>  This Inner Loop Header: Depth=2
	global_load_b32 v9, v[12:13], off scope:SCOPE_DEV
	s_wait_loadcnt 0x0
	v_cmp_lt_u32_e64 s2, 0x3fffffff, v9
	s_or_b32 s12, s2, s12
	s_wait_xcnt 0x0
	s_and_not1_b32 exec_lo, exec_lo, s12
	s_cbranch_execnz .LBB1852_134
	s_branch .LBB1852_129
.LBB1852_135:                           ;   in Loop: Header=BB1852_131 Depth=1
                                        ; implicit-def: $sgpr6
	s_and_b32 s7, exec_lo, s2
	s_delay_alu instid0(SALU_CYCLE_1)
	s_or_b32 s5, s7, s5
	s_wait_xcnt 0x0
	s_and_not1_b32 exec_lo, exec_lo, s5
	s_cbranch_execnz .LBB1852_131
.LBB1852_136:
	s_or_b32 exec_lo, exec_lo, s5
	v_dual_mov_b32 v9, 0 :: v_dual_add_nc_u32 v2, v8, v10
	s_delay_alu instid0(VALU_DEP_1) | instskip(SKIP_4) | instid1(VALU_DEP_1)
	v_or_b32_e32 v2, 0x80000000, v2
	global_store_b32 v[4:5], v2, off scope:SCOPE_DEV
	global_load_b64 v[2:3], v0, s[8:9] scale_offset
	v_sub_nc_u64_e32 v[4:5], v[8:9], v[6:7]
	s_wait_loadcnt 0x0
	v_add_nc_u64_e32 v[2:3], v[4:5], v[2:3]
	ds_store_b64 v14, v[2:3]
.LBB1852_137:
	s_wait_xcnt 0x0
	s_or_b32 exec_lo, exec_lo, s4
	s_wait_storecnt_dscnt 0x0
	s_barrier_signal -1
	s_barrier_wait -1
	ds_load_u8 v11, v0 offset:21632
	ds_load_u8 v15, v0 offset:1152
	;; [unrolled: 1-line block ×12, first 2 shown]
	s_wait_dscnt 0xa
	v_and_b32_e32 v3, 1, v15
	s_wait_dscnt 0x9
	v_and_b32_e32 v4, 1, v28
	v_and_b32_e32 v2, 1, v11
	s_wait_dscnt 0x7
	v_and_b32_e32 v8, 1, v30
	;; [unrolled: 3-line block ×3, first 2 shown]
	v_dual_lshrrev_b32 v4, s16, v4 :: v_dual_bitop2_b32 v9, 1, v31 bitop3:0x40
	s_wait_dscnt 0x2
	v_and_b32_e32 v18, 1, v34
	s_delay_alu instid0(VALU_DEP_3) | instskip(SKIP_1) | instid1(VALU_DEP_3)
	v_dual_lshrrev_b32 v20, s16, v12 :: v_dual_bitop2_b32 v13, 1, v33 bitop3:0x40
	v_dual_lshrrev_b32 v2, s16, v2 :: v_dual_lshrrev_b32 v17, s16, v3
	v_dual_lshrrev_b32 v12, s16, v18 :: v_dual_bitop2_b32 v16, 1, v36 bitop3:0x40
	s_delay_alu instid0(VALU_DEP_2) | instskip(SKIP_1) | instid1(VALU_DEP_3)
	v_dual_lshrrev_b32 v21, s16, v13 :: v_dual_bitop2_b32 v2, s3, v2 bitop3:0x40
	v_dual_lshrrev_b32 v8, s16, v8 :: v_dual_lshrrev_b32 v5, s16, v5
	v_dual_lshrrev_b32 v13, s16, v16 :: v_dual_lshrrev_b32 v9, s16, v9
	s_delay_alu instid0(VALU_DEP_3) | instskip(SKIP_1) | instid1(VALU_DEP_3)
	v_dual_lshlrev_b32 v2, 3, v2 :: v_dual_bitop2_b32 v25, s3, v21 bitop3:0x40
	v_and_b32_e32 v24, s3, v20
	v_and_b32_e32 v23, s3, v13
	;; [unrolled: 1-line block ×4, first 2 shown]
	ds_load_b64 v[2:3], v2
	v_dual_lshlrev_b32 v26, 3, v25 :: v_dual_lshlrev_b32 v23, 3, v23
	v_dual_lshlrev_b32 v9, 3, v12 :: v_dual_bitop2_b32 v16, s3, v17 bitop3:0x40
	v_dual_lshlrev_b32 v24, 3, v24 :: v_dual_bitop2_b32 v5, s3, v5 bitop3:0x40
	s_wait_dscnt 0x1
	s_delay_alu instid0(VALU_DEP_2) | instskip(NEXT) | instid1(VALU_DEP_2)
	v_dual_lshlrev_b32 v12, 3, v16 :: v_dual_bitop2_b32 v43, 1, v38 bitop3:0x40
	v_dual_lshlrev_b32 v16, 3, v5 :: v_dual_bitop2_b32 v4, s3, v4 bitop3:0x40
	s_delay_alu instid0(VALU_DEP_2) | instskip(NEXT) | instid1(VALU_DEP_2)
	v_dual_lshrrev_b32 v43, s16, v43 :: v_dual_bitop2_b32 v35, 1, v37 bitop3:0x40
	v_lshlrev_b32_e32 v13, 3, v4
	v_dual_lshlrev_b32 v22, 3, v22 :: v_dual_bitop2_b32 v8, s3, v8 bitop3:0x40
	s_delay_alu instid0(VALU_DEP_1)
	v_dual_lshrrev_b32 v35, s16, v35 :: v_dual_lshlrev_b32 v18, 3, v8
	ds_load_b64 v[4:5], v9
	ds_load_b64 v[8:9], v12
	;; [unrolled: 1-line block ×5, first 2 shown]
	ds_load_u8 v39, v0 offset:18560
	ds_load_u8 v40, v0 offset:19584
	ds_load_b64 v[20:21], v23
	ds_load_u8 v41, v0 offset:10368
	ds_load_u8 v42, v0 offset:11392
	ds_load_b64 v[22:23], v22
	ds_load_b64 v[24:25], v24
	;; [unrolled: 1-line block ×3, first 2 shown]
	s_wait_dscnt 0xd
	v_add_nc_u64_e32 v[2:3], s[14:15], v[2:3]
	s_delay_alu instid0(VALU_DEP_1)
	v_add_nc_u64_e32 v[2:3], v[2:3], v[0:1]
	s_wait_dscnt 0xc
	v_add_nc_u64_e32 v[4:5], s[14:15], v[4:5]
	s_wait_dscnt 0xb
	;; [unrolled: 2-line block ×6, first 2 shown]
	v_add_nc_u64_e32 v[20:21], s[14:15], v[20:21]
	v_add_nc_u64_e32 v[4:5], v[4:5], v[0:1]
	;; [unrolled: 1-line block ×6, first 2 shown]
	s_clause 0x4
	global_store_b8 v[4:5], v34, off
	global_store_b8 v[8:9], v15, off offset:1024
	global_store_b8 v[12:13], v28, off offset:2048
	;; [unrolled: 1-line block ×4, first 2 shown]
	s_wait_xcnt 0x3
	ds_load_u8 v15, v0 offset:12416
	ds_load_u8 v44, v0 offset:13440
	;; [unrolled: 1-line block ×6, first 2 shown]
	s_wait_dscnt 0xa
	v_and_b32_e32 v8, 1, v41
	v_and_b32_e32 v35, s3, v35
	s_wait_xcnt 0x1
	v_and_b32_e32 v16, s3, v43
	s_wait_dscnt 0x9
	v_and_b32_e32 v9, 1, v42
	s_wait_dscnt 0x8
	v_add_nc_u64_e32 v[4:5], s[14:15], v[22:23]
	v_dual_lshrrev_b32 v17, s16, v8 :: v_dual_lshlrev_b32 v12, 3, v35
	s_wait_xcnt 0x0
	v_dual_lshlrev_b32 v19, 3, v16 :: v_dual_lshrrev_b32 v18, s16, v9
	s_wait_dscnt 0x7
	v_add_nc_u64_e32 v[8:9], s[14:15], v[24:25]
	v_and_b32_e32 v29, 1, v39
	ds_load_b64 v[12:13], v12
	v_add_nc_u64_e32 v[4:5], v[4:5], v[0:1]
	v_and_b32_e32 v23, s3, v18
	v_and_b32_e32 v22, s3, v17
	s_wait_dscnt 0x7
	v_add_nc_u64_e32 v[16:17], s[14:15], v[26:27]
	s_wait_dscnt 0x6
	v_and_b32_e32 v26, 1, v15
	v_add_nc_u64_e32 v[8:9], v[8:9], v[0:1]
	v_dual_lshlrev_b32 v24, 3, v23 :: v_dual_lshlrev_b32 v22, 3, v22
	ds_load_b64 v[18:19], v19
	s_wait_dscnt 0x6
	v_dual_lshrrev_b32 v26, s16, v26 :: v_dual_bitop2_b32 v27, 1, v44 bitop3:0x40
	ds_load_b64 v[22:23], v22
	ds_load_b64 v[24:25], v24
	s_clause 0x1
	global_store_b8 v[4:5], v31, off offset:5120
	global_store_b8 v[8:9], v32, off offset:6144
	s_wait_xcnt 0x0
	v_and_b32_e32 v8, s3, v26
	s_wait_dscnt 0x7
	v_and_b32_e32 v28, 1, v45
	v_add_nc_u64_e32 v[16:17], v[16:17], v[0:1]
	v_lshrrev_b32_e32 v9, s16, v27
	v_add_nc_u64_e32 v[20:21], v[20:21], v[0:1]
	s_wait_dscnt 0x3
	v_add_nc_u64_e32 v[4:5], s[14:15], v[12:13]
	v_lshlrev_b32_e32 v12, 3, v8
	v_dual_lshrrev_b32 v26, s16, v28 :: v_dual_lshrrev_b32 v29, s16, v29
	global_store_b8 v[16:17], v33, off offset:7168
	ds_load_b64 v[12:13], v12
	s_wait_xcnt 0x0
	v_and_b32_e32 v17, s3, v26
	v_and_b32_e32 v26, 1, v46
	;; [unrolled: 1-line block ×3, first 2 shown]
	s_wait_dscnt 0x3
	v_add_nc_u64_e32 v[8:9], s[14:15], v[18:19]
	v_add_nc_u64_e32 v[4:5], v[4:5], v[0:1]
	s_delay_alu instid0(VALU_DEP_3)
	v_dual_lshrrev_b32 v26, s16, v26 :: v_dual_lshlrev_b32 v27, 3, v16
	v_lshlrev_b32_e32 v28, 3, v17
	s_wait_dscnt 0x2
	v_add_nc_u64_e32 v[16:17], s[14:15], v[22:23]
	s_wait_dscnt 0x1
	v_add_nc_u64_e32 v[18:19], s[14:15], v[24:25]
	ds_load_b64 v[22:23], v27
	ds_load_b64 v[24:25], v28
	v_and_b32_e32 v27, 1, v47
	v_and_b32_e32 v26, s3, v26
	;; [unrolled: 1-line block ×3, first 2 shown]
	v_add_nc_u64_e32 v[8:9], v[8:9], v[0:1]
	v_add_nc_u64_e32 v[16:17], v[16:17], v[0:1]
	s_delay_alu instid0(VALU_DEP_4) | instskip(NEXT) | instid1(VALU_DEP_4)
	v_dual_lshrrev_b32 v31, s16, v27 :: v_dual_lshlrev_b32 v26, 3, v26
	v_lshrrev_b32_e32 v28, s16, v28
	s_wait_dscnt 0x2
	v_add_nc_u64_e32 v[12:13], s[14:15], v[12:13]
	v_add_nc_u64_e32 v[18:19], v[18:19], v[0:1]
	v_and_b32_e32 v31, s3, v31
	v_and_b32_e32 v30, 1, v40
	v_and_b32_e32 v28, s3, v28
	ds_load_b64 v[26:27], v26
	v_dual_lshlrev_b32 v31, 3, v31 :: v_dual_lshrrev_b32 v30, s16, v30
	v_lshlrev_b32_e32 v32, 3, v28
	s_wait_dscnt 0x2
	v_add_nc_u64_e32 v[22:23], s[14:15], v[22:23]
	s_wait_dscnt 0x1
	v_add_nc_u64_e32 v[24:25], s[14:15], v[24:25]
	v_add_nc_u64_e32 v[12:13], v[12:13], v[0:1]
	v_and_b32_e32 v30, s3, v30
	v_and_b32_e32 v29, s3, v29
	v_add_nc_u64_e32 v[22:23], v[22:23], v[0:1]
	s_delay_alu instid0(VALU_DEP_2)
	v_dual_lshlrev_b32 v34, 3, v30 :: v_dual_lshlrev_b32 v33, 3, v29
	ds_load_b64 v[28:29], v31
	ds_load_b64 v[30:31], v32
	;; [unrolled: 1-line block ×4, first 2 shown]
	v_add_nc_u64_e32 v[24:25], v[24:25], v[0:1]
	s_clause 0x6
	global_store_b8 v[4:5], v37, off offset:8192
	global_store_b8 v[8:9], v38, off offset:9216
	;; [unrolled: 1-line block ×7, first 2 shown]
	s_wait_dscnt 0x4
	s_wait_xcnt 0x6
	v_add_nc_u64_e32 v[4:5], s[14:15], v[26:27]
	s_delay_alu instid0(VALU_DEP_1)
	v_add_nc_u64_e32 v[4:5], v[4:5], v[0:1]
	s_wait_dscnt 0x3
	s_wait_xcnt 0x5
	v_add_nc_u64_e32 v[8:9], s[14:15], v[28:29]
	s_wait_dscnt 0x2
	s_wait_xcnt 0x2
	v_add_nc_u64_e32 v[12:13], s[14:15], v[30:31]
	s_wait_dscnt 0x1
	v_add_nc_u64_e32 v[16:17], s[14:15], v[32:33]
	s_wait_dscnt 0x0
	v_add_nc_u64_e32 v[18:19], s[14:15], v[34:35]
	v_add_nc_u64_e32 v[8:9], v[8:9], v[0:1]
	s_delay_alu instid0(VALU_DEP_4) | instskip(NEXT) | instid1(VALU_DEP_4)
	v_add_nc_u64_e32 v[12:13], v[12:13], v[0:1]
	v_add_nc_u64_e32 v[16:17], v[16:17], v[0:1]
	s_delay_alu instid0(VALU_DEP_4)
	v_add_nc_u64_e32 v[18:19], v[18:19], v[0:1]
	s_clause 0x6
	global_store_b8 v[4:5], v46, off offset:15360
	global_store_b8 v[8:9], v47, off offset:16384
	;; [unrolled: 1-line block ×7, first 2 shown]
	s_load_b32 s0, s[0:1], 0x58
	s_wait_kmcnt 0x0
	s_add_co_i32 s0, s0, -1
	s_delay_alu instid0(SALU_CYCLE_1) | instskip(SKIP_2) | instid1(SALU_CYCLE_1)
	s_cmp_eq_u32 s19, s0
	s_cselect_b32 s0, -1, 0
	s_xor_b32 s1, vcc_lo, -1
	s_and_b32 s0, s1, s0
	s_delay_alu instid0(SALU_CYCLE_1)
	s_and_saveexec_b32 s1, s0
	s_cbranch_execz .LBB1852_139
; %bb.138:
	ds_load_b64 v[2:3], v14
	v_mov_b32_e32 v11, 0
	s_delay_alu instid0(VALU_DEP_1) | instskip(SKIP_1) | instid1(VALU_DEP_1)
	v_add_nc_u64_e32 v[4:5], v[6:7], v[10:11]
	s_wait_dscnt 0x0
	v_add_nc_u64_e32 v[2:3], v[4:5], v[2:3]
	global_store_b64 v0, v[2:3], s[10:11] scale_offset
.LBB1852_139:
	s_sendmsg sendmsg(MSG_DEALLOC_VGPRS)
	s_endpgm
	.section	.rodata,"a",@progbits
	.p2align	6, 0x0
	.amdhsa_kernel _ZN7rocprim17ROCPRIM_400000_NS6detail17trampoline_kernelINS0_14default_configENS1_35radix_sort_onesweep_config_selectorIbNS0_10empty_typeEEEZZNS1_29radix_sort_onesweep_iterationIS3_Lb0EPKbPbPS5_SB_mNS0_19identity_decomposerENS1_16block_id_wrapperIjLb1EEEEE10hipError_tT1_PNSt15iterator_traitsISG_E10value_typeET2_T3_PNSH_ISM_E10value_typeET4_T5_PSR_SS_PNS1_23onesweep_lookback_stateEbbT6_jjT7_P12ihipStream_tbENKUlT_T0_SG_SL_E_clIS9_SA_SB_SB_EEDaSZ_S10_SG_SL_EUlSZ_E_NS1_11comp_targetILNS1_3genE0ELNS1_11target_archE4294967295ELNS1_3gpuE0ELNS1_3repE0EEENS1_47radix_sort_onesweep_sort_config_static_selectorELNS0_4arch9wavefront6targetE0EEEvSG_
		.amdhsa_group_segment_fixed_size 32904
		.amdhsa_private_segment_fixed_size 0
		.amdhsa_kernarg_size 344
		.amdhsa_user_sgpr_count 2
		.amdhsa_user_sgpr_dispatch_ptr 0
		.amdhsa_user_sgpr_queue_ptr 0
		.amdhsa_user_sgpr_kernarg_segment_ptr 1
		.amdhsa_user_sgpr_dispatch_id 0
		.amdhsa_user_sgpr_kernarg_preload_length 0
		.amdhsa_user_sgpr_kernarg_preload_offset 0
		.amdhsa_user_sgpr_private_segment_size 0
		.amdhsa_wavefront_size32 1
		.amdhsa_uses_dynamic_stack 0
		.amdhsa_enable_private_segment 0
		.amdhsa_system_sgpr_workgroup_id_x 1
		.amdhsa_system_sgpr_workgroup_id_y 0
		.amdhsa_system_sgpr_workgroup_id_z 0
		.amdhsa_system_sgpr_workgroup_info 0
		.amdhsa_system_vgpr_workitem_id 0
		.amdhsa_next_free_vgpr 79
		.amdhsa_next_free_sgpr 25
		.amdhsa_named_barrier_count 0
		.amdhsa_reserve_vcc 1
		.amdhsa_float_round_mode_32 0
		.amdhsa_float_round_mode_16_64 0
		.amdhsa_float_denorm_mode_32 3
		.amdhsa_float_denorm_mode_16_64 3
		.amdhsa_fp16_overflow 0
		.amdhsa_memory_ordered 1
		.amdhsa_forward_progress 1
		.amdhsa_inst_pref_size 97
		.amdhsa_round_robin_scheduling 0
		.amdhsa_exception_fp_ieee_invalid_op 0
		.amdhsa_exception_fp_denorm_src 0
		.amdhsa_exception_fp_ieee_div_zero 0
		.amdhsa_exception_fp_ieee_overflow 0
		.amdhsa_exception_fp_ieee_underflow 0
		.amdhsa_exception_fp_ieee_inexact 0
		.amdhsa_exception_int_div_zero 0
	.end_amdhsa_kernel
	.section	.text._ZN7rocprim17ROCPRIM_400000_NS6detail17trampoline_kernelINS0_14default_configENS1_35radix_sort_onesweep_config_selectorIbNS0_10empty_typeEEEZZNS1_29radix_sort_onesweep_iterationIS3_Lb0EPKbPbPS5_SB_mNS0_19identity_decomposerENS1_16block_id_wrapperIjLb1EEEEE10hipError_tT1_PNSt15iterator_traitsISG_E10value_typeET2_T3_PNSH_ISM_E10value_typeET4_T5_PSR_SS_PNS1_23onesweep_lookback_stateEbbT6_jjT7_P12ihipStream_tbENKUlT_T0_SG_SL_E_clIS9_SA_SB_SB_EEDaSZ_S10_SG_SL_EUlSZ_E_NS1_11comp_targetILNS1_3genE0ELNS1_11target_archE4294967295ELNS1_3gpuE0ELNS1_3repE0EEENS1_47radix_sort_onesweep_sort_config_static_selectorELNS0_4arch9wavefront6targetE0EEEvSG_,"axG",@progbits,_ZN7rocprim17ROCPRIM_400000_NS6detail17trampoline_kernelINS0_14default_configENS1_35radix_sort_onesweep_config_selectorIbNS0_10empty_typeEEEZZNS1_29radix_sort_onesweep_iterationIS3_Lb0EPKbPbPS5_SB_mNS0_19identity_decomposerENS1_16block_id_wrapperIjLb1EEEEE10hipError_tT1_PNSt15iterator_traitsISG_E10value_typeET2_T3_PNSH_ISM_E10value_typeET4_T5_PSR_SS_PNS1_23onesweep_lookback_stateEbbT6_jjT7_P12ihipStream_tbENKUlT_T0_SG_SL_E_clIS9_SA_SB_SB_EEDaSZ_S10_SG_SL_EUlSZ_E_NS1_11comp_targetILNS1_3genE0ELNS1_11target_archE4294967295ELNS1_3gpuE0ELNS1_3repE0EEENS1_47radix_sort_onesweep_sort_config_static_selectorELNS0_4arch9wavefront6targetE0EEEvSG_,comdat
.Lfunc_end1852:
	.size	_ZN7rocprim17ROCPRIM_400000_NS6detail17trampoline_kernelINS0_14default_configENS1_35radix_sort_onesweep_config_selectorIbNS0_10empty_typeEEEZZNS1_29radix_sort_onesweep_iterationIS3_Lb0EPKbPbPS5_SB_mNS0_19identity_decomposerENS1_16block_id_wrapperIjLb1EEEEE10hipError_tT1_PNSt15iterator_traitsISG_E10value_typeET2_T3_PNSH_ISM_E10value_typeET4_T5_PSR_SS_PNS1_23onesweep_lookback_stateEbbT6_jjT7_P12ihipStream_tbENKUlT_T0_SG_SL_E_clIS9_SA_SB_SB_EEDaSZ_S10_SG_SL_EUlSZ_E_NS1_11comp_targetILNS1_3genE0ELNS1_11target_archE4294967295ELNS1_3gpuE0ELNS1_3repE0EEENS1_47radix_sort_onesweep_sort_config_static_selectorELNS0_4arch9wavefront6targetE0EEEvSG_, .Lfunc_end1852-_ZN7rocprim17ROCPRIM_400000_NS6detail17trampoline_kernelINS0_14default_configENS1_35radix_sort_onesweep_config_selectorIbNS0_10empty_typeEEEZZNS1_29radix_sort_onesweep_iterationIS3_Lb0EPKbPbPS5_SB_mNS0_19identity_decomposerENS1_16block_id_wrapperIjLb1EEEEE10hipError_tT1_PNSt15iterator_traitsISG_E10value_typeET2_T3_PNSH_ISM_E10value_typeET4_T5_PSR_SS_PNS1_23onesweep_lookback_stateEbbT6_jjT7_P12ihipStream_tbENKUlT_T0_SG_SL_E_clIS9_SA_SB_SB_EEDaSZ_S10_SG_SL_EUlSZ_E_NS1_11comp_targetILNS1_3genE0ELNS1_11target_archE4294967295ELNS1_3gpuE0ELNS1_3repE0EEENS1_47radix_sort_onesweep_sort_config_static_selectorELNS0_4arch9wavefront6targetE0EEEvSG_
                                        ; -- End function
	.set _ZN7rocprim17ROCPRIM_400000_NS6detail17trampoline_kernelINS0_14default_configENS1_35radix_sort_onesweep_config_selectorIbNS0_10empty_typeEEEZZNS1_29radix_sort_onesweep_iterationIS3_Lb0EPKbPbPS5_SB_mNS0_19identity_decomposerENS1_16block_id_wrapperIjLb1EEEEE10hipError_tT1_PNSt15iterator_traitsISG_E10value_typeET2_T3_PNSH_ISM_E10value_typeET4_T5_PSR_SS_PNS1_23onesweep_lookback_stateEbbT6_jjT7_P12ihipStream_tbENKUlT_T0_SG_SL_E_clIS9_SA_SB_SB_EEDaSZ_S10_SG_SL_EUlSZ_E_NS1_11comp_targetILNS1_3genE0ELNS1_11target_archE4294967295ELNS1_3gpuE0ELNS1_3repE0EEENS1_47radix_sort_onesweep_sort_config_static_selectorELNS0_4arch9wavefront6targetE0EEEvSG_.num_vgpr, 79
	.set _ZN7rocprim17ROCPRIM_400000_NS6detail17trampoline_kernelINS0_14default_configENS1_35radix_sort_onesweep_config_selectorIbNS0_10empty_typeEEEZZNS1_29radix_sort_onesweep_iterationIS3_Lb0EPKbPbPS5_SB_mNS0_19identity_decomposerENS1_16block_id_wrapperIjLb1EEEEE10hipError_tT1_PNSt15iterator_traitsISG_E10value_typeET2_T3_PNSH_ISM_E10value_typeET4_T5_PSR_SS_PNS1_23onesweep_lookback_stateEbbT6_jjT7_P12ihipStream_tbENKUlT_T0_SG_SL_E_clIS9_SA_SB_SB_EEDaSZ_S10_SG_SL_EUlSZ_E_NS1_11comp_targetILNS1_3genE0ELNS1_11target_archE4294967295ELNS1_3gpuE0ELNS1_3repE0EEENS1_47radix_sort_onesweep_sort_config_static_selectorELNS0_4arch9wavefront6targetE0EEEvSG_.num_agpr, 0
	.set _ZN7rocprim17ROCPRIM_400000_NS6detail17trampoline_kernelINS0_14default_configENS1_35radix_sort_onesweep_config_selectorIbNS0_10empty_typeEEEZZNS1_29radix_sort_onesweep_iterationIS3_Lb0EPKbPbPS5_SB_mNS0_19identity_decomposerENS1_16block_id_wrapperIjLb1EEEEE10hipError_tT1_PNSt15iterator_traitsISG_E10value_typeET2_T3_PNSH_ISM_E10value_typeET4_T5_PSR_SS_PNS1_23onesweep_lookback_stateEbbT6_jjT7_P12ihipStream_tbENKUlT_T0_SG_SL_E_clIS9_SA_SB_SB_EEDaSZ_S10_SG_SL_EUlSZ_E_NS1_11comp_targetILNS1_3genE0ELNS1_11target_archE4294967295ELNS1_3gpuE0ELNS1_3repE0EEENS1_47radix_sort_onesweep_sort_config_static_selectorELNS0_4arch9wavefront6targetE0EEEvSG_.numbered_sgpr, 25
	.set _ZN7rocprim17ROCPRIM_400000_NS6detail17trampoline_kernelINS0_14default_configENS1_35radix_sort_onesweep_config_selectorIbNS0_10empty_typeEEEZZNS1_29radix_sort_onesweep_iterationIS3_Lb0EPKbPbPS5_SB_mNS0_19identity_decomposerENS1_16block_id_wrapperIjLb1EEEEE10hipError_tT1_PNSt15iterator_traitsISG_E10value_typeET2_T3_PNSH_ISM_E10value_typeET4_T5_PSR_SS_PNS1_23onesweep_lookback_stateEbbT6_jjT7_P12ihipStream_tbENKUlT_T0_SG_SL_E_clIS9_SA_SB_SB_EEDaSZ_S10_SG_SL_EUlSZ_E_NS1_11comp_targetILNS1_3genE0ELNS1_11target_archE4294967295ELNS1_3gpuE0ELNS1_3repE0EEENS1_47radix_sort_onesweep_sort_config_static_selectorELNS0_4arch9wavefront6targetE0EEEvSG_.num_named_barrier, 0
	.set _ZN7rocprim17ROCPRIM_400000_NS6detail17trampoline_kernelINS0_14default_configENS1_35radix_sort_onesweep_config_selectorIbNS0_10empty_typeEEEZZNS1_29radix_sort_onesweep_iterationIS3_Lb0EPKbPbPS5_SB_mNS0_19identity_decomposerENS1_16block_id_wrapperIjLb1EEEEE10hipError_tT1_PNSt15iterator_traitsISG_E10value_typeET2_T3_PNSH_ISM_E10value_typeET4_T5_PSR_SS_PNS1_23onesweep_lookback_stateEbbT6_jjT7_P12ihipStream_tbENKUlT_T0_SG_SL_E_clIS9_SA_SB_SB_EEDaSZ_S10_SG_SL_EUlSZ_E_NS1_11comp_targetILNS1_3genE0ELNS1_11target_archE4294967295ELNS1_3gpuE0ELNS1_3repE0EEENS1_47radix_sort_onesweep_sort_config_static_selectorELNS0_4arch9wavefront6targetE0EEEvSG_.private_seg_size, 0
	.set _ZN7rocprim17ROCPRIM_400000_NS6detail17trampoline_kernelINS0_14default_configENS1_35radix_sort_onesweep_config_selectorIbNS0_10empty_typeEEEZZNS1_29radix_sort_onesweep_iterationIS3_Lb0EPKbPbPS5_SB_mNS0_19identity_decomposerENS1_16block_id_wrapperIjLb1EEEEE10hipError_tT1_PNSt15iterator_traitsISG_E10value_typeET2_T3_PNSH_ISM_E10value_typeET4_T5_PSR_SS_PNS1_23onesweep_lookback_stateEbbT6_jjT7_P12ihipStream_tbENKUlT_T0_SG_SL_E_clIS9_SA_SB_SB_EEDaSZ_S10_SG_SL_EUlSZ_E_NS1_11comp_targetILNS1_3genE0ELNS1_11target_archE4294967295ELNS1_3gpuE0ELNS1_3repE0EEENS1_47radix_sort_onesweep_sort_config_static_selectorELNS0_4arch9wavefront6targetE0EEEvSG_.uses_vcc, 1
	.set _ZN7rocprim17ROCPRIM_400000_NS6detail17trampoline_kernelINS0_14default_configENS1_35radix_sort_onesweep_config_selectorIbNS0_10empty_typeEEEZZNS1_29radix_sort_onesweep_iterationIS3_Lb0EPKbPbPS5_SB_mNS0_19identity_decomposerENS1_16block_id_wrapperIjLb1EEEEE10hipError_tT1_PNSt15iterator_traitsISG_E10value_typeET2_T3_PNSH_ISM_E10value_typeET4_T5_PSR_SS_PNS1_23onesweep_lookback_stateEbbT6_jjT7_P12ihipStream_tbENKUlT_T0_SG_SL_E_clIS9_SA_SB_SB_EEDaSZ_S10_SG_SL_EUlSZ_E_NS1_11comp_targetILNS1_3genE0ELNS1_11target_archE4294967295ELNS1_3gpuE0ELNS1_3repE0EEENS1_47radix_sort_onesweep_sort_config_static_selectorELNS0_4arch9wavefront6targetE0EEEvSG_.uses_flat_scratch, 0
	.set _ZN7rocprim17ROCPRIM_400000_NS6detail17trampoline_kernelINS0_14default_configENS1_35radix_sort_onesweep_config_selectorIbNS0_10empty_typeEEEZZNS1_29radix_sort_onesweep_iterationIS3_Lb0EPKbPbPS5_SB_mNS0_19identity_decomposerENS1_16block_id_wrapperIjLb1EEEEE10hipError_tT1_PNSt15iterator_traitsISG_E10value_typeET2_T3_PNSH_ISM_E10value_typeET4_T5_PSR_SS_PNS1_23onesweep_lookback_stateEbbT6_jjT7_P12ihipStream_tbENKUlT_T0_SG_SL_E_clIS9_SA_SB_SB_EEDaSZ_S10_SG_SL_EUlSZ_E_NS1_11comp_targetILNS1_3genE0ELNS1_11target_archE4294967295ELNS1_3gpuE0ELNS1_3repE0EEENS1_47radix_sort_onesweep_sort_config_static_selectorELNS0_4arch9wavefront6targetE0EEEvSG_.has_dyn_sized_stack, 0
	.set _ZN7rocprim17ROCPRIM_400000_NS6detail17trampoline_kernelINS0_14default_configENS1_35radix_sort_onesweep_config_selectorIbNS0_10empty_typeEEEZZNS1_29radix_sort_onesweep_iterationIS3_Lb0EPKbPbPS5_SB_mNS0_19identity_decomposerENS1_16block_id_wrapperIjLb1EEEEE10hipError_tT1_PNSt15iterator_traitsISG_E10value_typeET2_T3_PNSH_ISM_E10value_typeET4_T5_PSR_SS_PNS1_23onesweep_lookback_stateEbbT6_jjT7_P12ihipStream_tbENKUlT_T0_SG_SL_E_clIS9_SA_SB_SB_EEDaSZ_S10_SG_SL_EUlSZ_E_NS1_11comp_targetILNS1_3genE0ELNS1_11target_archE4294967295ELNS1_3gpuE0ELNS1_3repE0EEENS1_47radix_sort_onesweep_sort_config_static_selectorELNS0_4arch9wavefront6targetE0EEEvSG_.has_recursion, 0
	.set _ZN7rocprim17ROCPRIM_400000_NS6detail17trampoline_kernelINS0_14default_configENS1_35radix_sort_onesweep_config_selectorIbNS0_10empty_typeEEEZZNS1_29radix_sort_onesweep_iterationIS3_Lb0EPKbPbPS5_SB_mNS0_19identity_decomposerENS1_16block_id_wrapperIjLb1EEEEE10hipError_tT1_PNSt15iterator_traitsISG_E10value_typeET2_T3_PNSH_ISM_E10value_typeET4_T5_PSR_SS_PNS1_23onesweep_lookback_stateEbbT6_jjT7_P12ihipStream_tbENKUlT_T0_SG_SL_E_clIS9_SA_SB_SB_EEDaSZ_S10_SG_SL_EUlSZ_E_NS1_11comp_targetILNS1_3genE0ELNS1_11target_archE4294967295ELNS1_3gpuE0ELNS1_3repE0EEENS1_47radix_sort_onesweep_sort_config_static_selectorELNS0_4arch9wavefront6targetE0EEEvSG_.has_indirect_call, 0
	.section	.AMDGPU.csdata,"",@progbits
; Kernel info:
; codeLenInByte = 12348
; TotalNumSgprs: 27
; NumVgprs: 79
; ScratchSize: 0
; MemoryBound: 0
; FloatMode: 240
; IeeeMode: 1
; LDSByteSize: 32904 bytes/workgroup (compile time only)
; SGPRBlocks: 0
; VGPRBlocks: 4
; NumSGPRsForWavesPerEU: 27
; NumVGPRsForWavesPerEU: 79
; NamedBarCnt: 0
; Occupancy: 12
; WaveLimiterHint : 0
; COMPUTE_PGM_RSRC2:SCRATCH_EN: 0
; COMPUTE_PGM_RSRC2:USER_SGPR: 2
; COMPUTE_PGM_RSRC2:TRAP_HANDLER: 0
; COMPUTE_PGM_RSRC2:TGID_X_EN: 1
; COMPUTE_PGM_RSRC2:TGID_Y_EN: 0
; COMPUTE_PGM_RSRC2:TGID_Z_EN: 0
; COMPUTE_PGM_RSRC2:TIDIG_COMP_CNT: 0
	.section	.text._ZN7rocprim17ROCPRIM_400000_NS6detail17trampoline_kernelINS0_14default_configENS1_35radix_sort_onesweep_config_selectorIbNS0_10empty_typeEEEZZNS1_29radix_sort_onesweep_iterationIS3_Lb0EPKbPbPS5_SB_mNS0_19identity_decomposerENS1_16block_id_wrapperIjLb1EEEEE10hipError_tT1_PNSt15iterator_traitsISG_E10value_typeET2_T3_PNSH_ISM_E10value_typeET4_T5_PSR_SS_PNS1_23onesweep_lookback_stateEbbT6_jjT7_P12ihipStream_tbENKUlT_T0_SG_SL_E_clIS9_SA_SB_SB_EEDaSZ_S10_SG_SL_EUlSZ_E_NS1_11comp_targetILNS1_3genE6ELNS1_11target_archE950ELNS1_3gpuE13ELNS1_3repE0EEENS1_47radix_sort_onesweep_sort_config_static_selectorELNS0_4arch9wavefront6targetE0EEEvSG_,"axG",@progbits,_ZN7rocprim17ROCPRIM_400000_NS6detail17trampoline_kernelINS0_14default_configENS1_35radix_sort_onesweep_config_selectorIbNS0_10empty_typeEEEZZNS1_29radix_sort_onesweep_iterationIS3_Lb0EPKbPbPS5_SB_mNS0_19identity_decomposerENS1_16block_id_wrapperIjLb1EEEEE10hipError_tT1_PNSt15iterator_traitsISG_E10value_typeET2_T3_PNSH_ISM_E10value_typeET4_T5_PSR_SS_PNS1_23onesweep_lookback_stateEbbT6_jjT7_P12ihipStream_tbENKUlT_T0_SG_SL_E_clIS9_SA_SB_SB_EEDaSZ_S10_SG_SL_EUlSZ_E_NS1_11comp_targetILNS1_3genE6ELNS1_11target_archE950ELNS1_3gpuE13ELNS1_3repE0EEENS1_47radix_sort_onesweep_sort_config_static_selectorELNS0_4arch9wavefront6targetE0EEEvSG_,comdat
	.protected	_ZN7rocprim17ROCPRIM_400000_NS6detail17trampoline_kernelINS0_14default_configENS1_35radix_sort_onesweep_config_selectorIbNS0_10empty_typeEEEZZNS1_29radix_sort_onesweep_iterationIS3_Lb0EPKbPbPS5_SB_mNS0_19identity_decomposerENS1_16block_id_wrapperIjLb1EEEEE10hipError_tT1_PNSt15iterator_traitsISG_E10value_typeET2_T3_PNSH_ISM_E10value_typeET4_T5_PSR_SS_PNS1_23onesweep_lookback_stateEbbT6_jjT7_P12ihipStream_tbENKUlT_T0_SG_SL_E_clIS9_SA_SB_SB_EEDaSZ_S10_SG_SL_EUlSZ_E_NS1_11comp_targetILNS1_3genE6ELNS1_11target_archE950ELNS1_3gpuE13ELNS1_3repE0EEENS1_47radix_sort_onesweep_sort_config_static_selectorELNS0_4arch9wavefront6targetE0EEEvSG_ ; -- Begin function _ZN7rocprim17ROCPRIM_400000_NS6detail17trampoline_kernelINS0_14default_configENS1_35radix_sort_onesweep_config_selectorIbNS0_10empty_typeEEEZZNS1_29radix_sort_onesweep_iterationIS3_Lb0EPKbPbPS5_SB_mNS0_19identity_decomposerENS1_16block_id_wrapperIjLb1EEEEE10hipError_tT1_PNSt15iterator_traitsISG_E10value_typeET2_T3_PNSH_ISM_E10value_typeET4_T5_PSR_SS_PNS1_23onesweep_lookback_stateEbbT6_jjT7_P12ihipStream_tbENKUlT_T0_SG_SL_E_clIS9_SA_SB_SB_EEDaSZ_S10_SG_SL_EUlSZ_E_NS1_11comp_targetILNS1_3genE6ELNS1_11target_archE950ELNS1_3gpuE13ELNS1_3repE0EEENS1_47radix_sort_onesweep_sort_config_static_selectorELNS0_4arch9wavefront6targetE0EEEvSG_
	.globl	_ZN7rocprim17ROCPRIM_400000_NS6detail17trampoline_kernelINS0_14default_configENS1_35radix_sort_onesweep_config_selectorIbNS0_10empty_typeEEEZZNS1_29radix_sort_onesweep_iterationIS3_Lb0EPKbPbPS5_SB_mNS0_19identity_decomposerENS1_16block_id_wrapperIjLb1EEEEE10hipError_tT1_PNSt15iterator_traitsISG_E10value_typeET2_T3_PNSH_ISM_E10value_typeET4_T5_PSR_SS_PNS1_23onesweep_lookback_stateEbbT6_jjT7_P12ihipStream_tbENKUlT_T0_SG_SL_E_clIS9_SA_SB_SB_EEDaSZ_S10_SG_SL_EUlSZ_E_NS1_11comp_targetILNS1_3genE6ELNS1_11target_archE950ELNS1_3gpuE13ELNS1_3repE0EEENS1_47radix_sort_onesweep_sort_config_static_selectorELNS0_4arch9wavefront6targetE0EEEvSG_
	.p2align	8
	.type	_ZN7rocprim17ROCPRIM_400000_NS6detail17trampoline_kernelINS0_14default_configENS1_35radix_sort_onesweep_config_selectorIbNS0_10empty_typeEEEZZNS1_29radix_sort_onesweep_iterationIS3_Lb0EPKbPbPS5_SB_mNS0_19identity_decomposerENS1_16block_id_wrapperIjLb1EEEEE10hipError_tT1_PNSt15iterator_traitsISG_E10value_typeET2_T3_PNSH_ISM_E10value_typeET4_T5_PSR_SS_PNS1_23onesweep_lookback_stateEbbT6_jjT7_P12ihipStream_tbENKUlT_T0_SG_SL_E_clIS9_SA_SB_SB_EEDaSZ_S10_SG_SL_EUlSZ_E_NS1_11comp_targetILNS1_3genE6ELNS1_11target_archE950ELNS1_3gpuE13ELNS1_3repE0EEENS1_47radix_sort_onesweep_sort_config_static_selectorELNS0_4arch9wavefront6targetE0EEEvSG_,@function
_ZN7rocprim17ROCPRIM_400000_NS6detail17trampoline_kernelINS0_14default_configENS1_35radix_sort_onesweep_config_selectorIbNS0_10empty_typeEEEZZNS1_29radix_sort_onesweep_iterationIS3_Lb0EPKbPbPS5_SB_mNS0_19identity_decomposerENS1_16block_id_wrapperIjLb1EEEEE10hipError_tT1_PNSt15iterator_traitsISG_E10value_typeET2_T3_PNSH_ISM_E10value_typeET4_T5_PSR_SS_PNS1_23onesweep_lookback_stateEbbT6_jjT7_P12ihipStream_tbENKUlT_T0_SG_SL_E_clIS9_SA_SB_SB_EEDaSZ_S10_SG_SL_EUlSZ_E_NS1_11comp_targetILNS1_3genE6ELNS1_11target_archE950ELNS1_3gpuE13ELNS1_3repE0EEENS1_47radix_sort_onesweep_sort_config_static_selectorELNS0_4arch9wavefront6targetE0EEEvSG_: ; @_ZN7rocprim17ROCPRIM_400000_NS6detail17trampoline_kernelINS0_14default_configENS1_35radix_sort_onesweep_config_selectorIbNS0_10empty_typeEEEZZNS1_29radix_sort_onesweep_iterationIS3_Lb0EPKbPbPS5_SB_mNS0_19identity_decomposerENS1_16block_id_wrapperIjLb1EEEEE10hipError_tT1_PNSt15iterator_traitsISG_E10value_typeET2_T3_PNSH_ISM_E10value_typeET4_T5_PSR_SS_PNS1_23onesweep_lookback_stateEbbT6_jjT7_P12ihipStream_tbENKUlT_T0_SG_SL_E_clIS9_SA_SB_SB_EEDaSZ_S10_SG_SL_EUlSZ_E_NS1_11comp_targetILNS1_3genE6ELNS1_11target_archE950ELNS1_3gpuE13ELNS1_3repE0EEENS1_47radix_sort_onesweep_sort_config_static_selectorELNS0_4arch9wavefront6targetE0EEEvSG_
; %bb.0:
	.section	.rodata,"a",@progbits
	.p2align	6, 0x0
	.amdhsa_kernel _ZN7rocprim17ROCPRIM_400000_NS6detail17trampoline_kernelINS0_14default_configENS1_35radix_sort_onesweep_config_selectorIbNS0_10empty_typeEEEZZNS1_29radix_sort_onesweep_iterationIS3_Lb0EPKbPbPS5_SB_mNS0_19identity_decomposerENS1_16block_id_wrapperIjLb1EEEEE10hipError_tT1_PNSt15iterator_traitsISG_E10value_typeET2_T3_PNSH_ISM_E10value_typeET4_T5_PSR_SS_PNS1_23onesweep_lookback_stateEbbT6_jjT7_P12ihipStream_tbENKUlT_T0_SG_SL_E_clIS9_SA_SB_SB_EEDaSZ_S10_SG_SL_EUlSZ_E_NS1_11comp_targetILNS1_3genE6ELNS1_11target_archE950ELNS1_3gpuE13ELNS1_3repE0EEENS1_47radix_sort_onesweep_sort_config_static_selectorELNS0_4arch9wavefront6targetE0EEEvSG_
		.amdhsa_group_segment_fixed_size 0
		.amdhsa_private_segment_fixed_size 0
		.amdhsa_kernarg_size 88
		.amdhsa_user_sgpr_count 2
		.amdhsa_user_sgpr_dispatch_ptr 0
		.amdhsa_user_sgpr_queue_ptr 0
		.amdhsa_user_sgpr_kernarg_segment_ptr 1
		.amdhsa_user_sgpr_dispatch_id 0
		.amdhsa_user_sgpr_kernarg_preload_length 0
		.amdhsa_user_sgpr_kernarg_preload_offset 0
		.amdhsa_user_sgpr_private_segment_size 0
		.amdhsa_wavefront_size32 1
		.amdhsa_uses_dynamic_stack 0
		.amdhsa_enable_private_segment 0
		.amdhsa_system_sgpr_workgroup_id_x 1
		.amdhsa_system_sgpr_workgroup_id_y 0
		.amdhsa_system_sgpr_workgroup_id_z 0
		.amdhsa_system_sgpr_workgroup_info 0
		.amdhsa_system_vgpr_workitem_id 0
		.amdhsa_next_free_vgpr 1
		.amdhsa_next_free_sgpr 1
		.amdhsa_named_barrier_count 0
		.amdhsa_reserve_vcc 0
		.amdhsa_float_round_mode_32 0
		.amdhsa_float_round_mode_16_64 0
		.amdhsa_float_denorm_mode_32 3
		.amdhsa_float_denorm_mode_16_64 3
		.amdhsa_fp16_overflow 0
		.amdhsa_memory_ordered 1
		.amdhsa_forward_progress 1
		.amdhsa_inst_pref_size 0
		.amdhsa_round_robin_scheduling 0
		.amdhsa_exception_fp_ieee_invalid_op 0
		.amdhsa_exception_fp_denorm_src 0
		.amdhsa_exception_fp_ieee_div_zero 0
		.amdhsa_exception_fp_ieee_overflow 0
		.amdhsa_exception_fp_ieee_underflow 0
		.amdhsa_exception_fp_ieee_inexact 0
		.amdhsa_exception_int_div_zero 0
	.end_amdhsa_kernel
	.section	.text._ZN7rocprim17ROCPRIM_400000_NS6detail17trampoline_kernelINS0_14default_configENS1_35radix_sort_onesweep_config_selectorIbNS0_10empty_typeEEEZZNS1_29radix_sort_onesweep_iterationIS3_Lb0EPKbPbPS5_SB_mNS0_19identity_decomposerENS1_16block_id_wrapperIjLb1EEEEE10hipError_tT1_PNSt15iterator_traitsISG_E10value_typeET2_T3_PNSH_ISM_E10value_typeET4_T5_PSR_SS_PNS1_23onesweep_lookback_stateEbbT6_jjT7_P12ihipStream_tbENKUlT_T0_SG_SL_E_clIS9_SA_SB_SB_EEDaSZ_S10_SG_SL_EUlSZ_E_NS1_11comp_targetILNS1_3genE6ELNS1_11target_archE950ELNS1_3gpuE13ELNS1_3repE0EEENS1_47radix_sort_onesweep_sort_config_static_selectorELNS0_4arch9wavefront6targetE0EEEvSG_,"axG",@progbits,_ZN7rocprim17ROCPRIM_400000_NS6detail17trampoline_kernelINS0_14default_configENS1_35radix_sort_onesweep_config_selectorIbNS0_10empty_typeEEEZZNS1_29radix_sort_onesweep_iterationIS3_Lb0EPKbPbPS5_SB_mNS0_19identity_decomposerENS1_16block_id_wrapperIjLb1EEEEE10hipError_tT1_PNSt15iterator_traitsISG_E10value_typeET2_T3_PNSH_ISM_E10value_typeET4_T5_PSR_SS_PNS1_23onesweep_lookback_stateEbbT6_jjT7_P12ihipStream_tbENKUlT_T0_SG_SL_E_clIS9_SA_SB_SB_EEDaSZ_S10_SG_SL_EUlSZ_E_NS1_11comp_targetILNS1_3genE6ELNS1_11target_archE950ELNS1_3gpuE13ELNS1_3repE0EEENS1_47radix_sort_onesweep_sort_config_static_selectorELNS0_4arch9wavefront6targetE0EEEvSG_,comdat
.Lfunc_end1853:
	.size	_ZN7rocprim17ROCPRIM_400000_NS6detail17trampoline_kernelINS0_14default_configENS1_35radix_sort_onesweep_config_selectorIbNS0_10empty_typeEEEZZNS1_29radix_sort_onesweep_iterationIS3_Lb0EPKbPbPS5_SB_mNS0_19identity_decomposerENS1_16block_id_wrapperIjLb1EEEEE10hipError_tT1_PNSt15iterator_traitsISG_E10value_typeET2_T3_PNSH_ISM_E10value_typeET4_T5_PSR_SS_PNS1_23onesweep_lookback_stateEbbT6_jjT7_P12ihipStream_tbENKUlT_T0_SG_SL_E_clIS9_SA_SB_SB_EEDaSZ_S10_SG_SL_EUlSZ_E_NS1_11comp_targetILNS1_3genE6ELNS1_11target_archE950ELNS1_3gpuE13ELNS1_3repE0EEENS1_47radix_sort_onesweep_sort_config_static_selectorELNS0_4arch9wavefront6targetE0EEEvSG_, .Lfunc_end1853-_ZN7rocprim17ROCPRIM_400000_NS6detail17trampoline_kernelINS0_14default_configENS1_35radix_sort_onesweep_config_selectorIbNS0_10empty_typeEEEZZNS1_29radix_sort_onesweep_iterationIS3_Lb0EPKbPbPS5_SB_mNS0_19identity_decomposerENS1_16block_id_wrapperIjLb1EEEEE10hipError_tT1_PNSt15iterator_traitsISG_E10value_typeET2_T3_PNSH_ISM_E10value_typeET4_T5_PSR_SS_PNS1_23onesweep_lookback_stateEbbT6_jjT7_P12ihipStream_tbENKUlT_T0_SG_SL_E_clIS9_SA_SB_SB_EEDaSZ_S10_SG_SL_EUlSZ_E_NS1_11comp_targetILNS1_3genE6ELNS1_11target_archE950ELNS1_3gpuE13ELNS1_3repE0EEENS1_47radix_sort_onesweep_sort_config_static_selectorELNS0_4arch9wavefront6targetE0EEEvSG_
                                        ; -- End function
	.set _ZN7rocprim17ROCPRIM_400000_NS6detail17trampoline_kernelINS0_14default_configENS1_35radix_sort_onesweep_config_selectorIbNS0_10empty_typeEEEZZNS1_29radix_sort_onesweep_iterationIS3_Lb0EPKbPbPS5_SB_mNS0_19identity_decomposerENS1_16block_id_wrapperIjLb1EEEEE10hipError_tT1_PNSt15iterator_traitsISG_E10value_typeET2_T3_PNSH_ISM_E10value_typeET4_T5_PSR_SS_PNS1_23onesweep_lookback_stateEbbT6_jjT7_P12ihipStream_tbENKUlT_T0_SG_SL_E_clIS9_SA_SB_SB_EEDaSZ_S10_SG_SL_EUlSZ_E_NS1_11comp_targetILNS1_3genE6ELNS1_11target_archE950ELNS1_3gpuE13ELNS1_3repE0EEENS1_47radix_sort_onesweep_sort_config_static_selectorELNS0_4arch9wavefront6targetE0EEEvSG_.num_vgpr, 0
	.set _ZN7rocprim17ROCPRIM_400000_NS6detail17trampoline_kernelINS0_14default_configENS1_35radix_sort_onesweep_config_selectorIbNS0_10empty_typeEEEZZNS1_29radix_sort_onesweep_iterationIS3_Lb0EPKbPbPS5_SB_mNS0_19identity_decomposerENS1_16block_id_wrapperIjLb1EEEEE10hipError_tT1_PNSt15iterator_traitsISG_E10value_typeET2_T3_PNSH_ISM_E10value_typeET4_T5_PSR_SS_PNS1_23onesweep_lookback_stateEbbT6_jjT7_P12ihipStream_tbENKUlT_T0_SG_SL_E_clIS9_SA_SB_SB_EEDaSZ_S10_SG_SL_EUlSZ_E_NS1_11comp_targetILNS1_3genE6ELNS1_11target_archE950ELNS1_3gpuE13ELNS1_3repE0EEENS1_47radix_sort_onesweep_sort_config_static_selectorELNS0_4arch9wavefront6targetE0EEEvSG_.num_agpr, 0
	.set _ZN7rocprim17ROCPRIM_400000_NS6detail17trampoline_kernelINS0_14default_configENS1_35radix_sort_onesweep_config_selectorIbNS0_10empty_typeEEEZZNS1_29radix_sort_onesweep_iterationIS3_Lb0EPKbPbPS5_SB_mNS0_19identity_decomposerENS1_16block_id_wrapperIjLb1EEEEE10hipError_tT1_PNSt15iterator_traitsISG_E10value_typeET2_T3_PNSH_ISM_E10value_typeET4_T5_PSR_SS_PNS1_23onesweep_lookback_stateEbbT6_jjT7_P12ihipStream_tbENKUlT_T0_SG_SL_E_clIS9_SA_SB_SB_EEDaSZ_S10_SG_SL_EUlSZ_E_NS1_11comp_targetILNS1_3genE6ELNS1_11target_archE950ELNS1_3gpuE13ELNS1_3repE0EEENS1_47radix_sort_onesweep_sort_config_static_selectorELNS0_4arch9wavefront6targetE0EEEvSG_.numbered_sgpr, 0
	.set _ZN7rocprim17ROCPRIM_400000_NS6detail17trampoline_kernelINS0_14default_configENS1_35radix_sort_onesweep_config_selectorIbNS0_10empty_typeEEEZZNS1_29radix_sort_onesweep_iterationIS3_Lb0EPKbPbPS5_SB_mNS0_19identity_decomposerENS1_16block_id_wrapperIjLb1EEEEE10hipError_tT1_PNSt15iterator_traitsISG_E10value_typeET2_T3_PNSH_ISM_E10value_typeET4_T5_PSR_SS_PNS1_23onesweep_lookback_stateEbbT6_jjT7_P12ihipStream_tbENKUlT_T0_SG_SL_E_clIS9_SA_SB_SB_EEDaSZ_S10_SG_SL_EUlSZ_E_NS1_11comp_targetILNS1_3genE6ELNS1_11target_archE950ELNS1_3gpuE13ELNS1_3repE0EEENS1_47radix_sort_onesweep_sort_config_static_selectorELNS0_4arch9wavefront6targetE0EEEvSG_.num_named_barrier, 0
	.set _ZN7rocprim17ROCPRIM_400000_NS6detail17trampoline_kernelINS0_14default_configENS1_35radix_sort_onesweep_config_selectorIbNS0_10empty_typeEEEZZNS1_29radix_sort_onesweep_iterationIS3_Lb0EPKbPbPS5_SB_mNS0_19identity_decomposerENS1_16block_id_wrapperIjLb1EEEEE10hipError_tT1_PNSt15iterator_traitsISG_E10value_typeET2_T3_PNSH_ISM_E10value_typeET4_T5_PSR_SS_PNS1_23onesweep_lookback_stateEbbT6_jjT7_P12ihipStream_tbENKUlT_T0_SG_SL_E_clIS9_SA_SB_SB_EEDaSZ_S10_SG_SL_EUlSZ_E_NS1_11comp_targetILNS1_3genE6ELNS1_11target_archE950ELNS1_3gpuE13ELNS1_3repE0EEENS1_47radix_sort_onesweep_sort_config_static_selectorELNS0_4arch9wavefront6targetE0EEEvSG_.private_seg_size, 0
	.set _ZN7rocprim17ROCPRIM_400000_NS6detail17trampoline_kernelINS0_14default_configENS1_35radix_sort_onesweep_config_selectorIbNS0_10empty_typeEEEZZNS1_29radix_sort_onesweep_iterationIS3_Lb0EPKbPbPS5_SB_mNS0_19identity_decomposerENS1_16block_id_wrapperIjLb1EEEEE10hipError_tT1_PNSt15iterator_traitsISG_E10value_typeET2_T3_PNSH_ISM_E10value_typeET4_T5_PSR_SS_PNS1_23onesweep_lookback_stateEbbT6_jjT7_P12ihipStream_tbENKUlT_T0_SG_SL_E_clIS9_SA_SB_SB_EEDaSZ_S10_SG_SL_EUlSZ_E_NS1_11comp_targetILNS1_3genE6ELNS1_11target_archE950ELNS1_3gpuE13ELNS1_3repE0EEENS1_47radix_sort_onesweep_sort_config_static_selectorELNS0_4arch9wavefront6targetE0EEEvSG_.uses_vcc, 0
	.set _ZN7rocprim17ROCPRIM_400000_NS6detail17trampoline_kernelINS0_14default_configENS1_35radix_sort_onesweep_config_selectorIbNS0_10empty_typeEEEZZNS1_29radix_sort_onesweep_iterationIS3_Lb0EPKbPbPS5_SB_mNS0_19identity_decomposerENS1_16block_id_wrapperIjLb1EEEEE10hipError_tT1_PNSt15iterator_traitsISG_E10value_typeET2_T3_PNSH_ISM_E10value_typeET4_T5_PSR_SS_PNS1_23onesweep_lookback_stateEbbT6_jjT7_P12ihipStream_tbENKUlT_T0_SG_SL_E_clIS9_SA_SB_SB_EEDaSZ_S10_SG_SL_EUlSZ_E_NS1_11comp_targetILNS1_3genE6ELNS1_11target_archE950ELNS1_3gpuE13ELNS1_3repE0EEENS1_47radix_sort_onesweep_sort_config_static_selectorELNS0_4arch9wavefront6targetE0EEEvSG_.uses_flat_scratch, 0
	.set _ZN7rocprim17ROCPRIM_400000_NS6detail17trampoline_kernelINS0_14default_configENS1_35radix_sort_onesweep_config_selectorIbNS0_10empty_typeEEEZZNS1_29radix_sort_onesweep_iterationIS3_Lb0EPKbPbPS5_SB_mNS0_19identity_decomposerENS1_16block_id_wrapperIjLb1EEEEE10hipError_tT1_PNSt15iterator_traitsISG_E10value_typeET2_T3_PNSH_ISM_E10value_typeET4_T5_PSR_SS_PNS1_23onesweep_lookback_stateEbbT6_jjT7_P12ihipStream_tbENKUlT_T0_SG_SL_E_clIS9_SA_SB_SB_EEDaSZ_S10_SG_SL_EUlSZ_E_NS1_11comp_targetILNS1_3genE6ELNS1_11target_archE950ELNS1_3gpuE13ELNS1_3repE0EEENS1_47radix_sort_onesweep_sort_config_static_selectorELNS0_4arch9wavefront6targetE0EEEvSG_.has_dyn_sized_stack, 0
	.set _ZN7rocprim17ROCPRIM_400000_NS6detail17trampoline_kernelINS0_14default_configENS1_35radix_sort_onesweep_config_selectorIbNS0_10empty_typeEEEZZNS1_29radix_sort_onesweep_iterationIS3_Lb0EPKbPbPS5_SB_mNS0_19identity_decomposerENS1_16block_id_wrapperIjLb1EEEEE10hipError_tT1_PNSt15iterator_traitsISG_E10value_typeET2_T3_PNSH_ISM_E10value_typeET4_T5_PSR_SS_PNS1_23onesweep_lookback_stateEbbT6_jjT7_P12ihipStream_tbENKUlT_T0_SG_SL_E_clIS9_SA_SB_SB_EEDaSZ_S10_SG_SL_EUlSZ_E_NS1_11comp_targetILNS1_3genE6ELNS1_11target_archE950ELNS1_3gpuE13ELNS1_3repE0EEENS1_47radix_sort_onesweep_sort_config_static_selectorELNS0_4arch9wavefront6targetE0EEEvSG_.has_recursion, 0
	.set _ZN7rocprim17ROCPRIM_400000_NS6detail17trampoline_kernelINS0_14default_configENS1_35radix_sort_onesweep_config_selectorIbNS0_10empty_typeEEEZZNS1_29radix_sort_onesweep_iterationIS3_Lb0EPKbPbPS5_SB_mNS0_19identity_decomposerENS1_16block_id_wrapperIjLb1EEEEE10hipError_tT1_PNSt15iterator_traitsISG_E10value_typeET2_T3_PNSH_ISM_E10value_typeET4_T5_PSR_SS_PNS1_23onesweep_lookback_stateEbbT6_jjT7_P12ihipStream_tbENKUlT_T0_SG_SL_E_clIS9_SA_SB_SB_EEDaSZ_S10_SG_SL_EUlSZ_E_NS1_11comp_targetILNS1_3genE6ELNS1_11target_archE950ELNS1_3gpuE13ELNS1_3repE0EEENS1_47radix_sort_onesweep_sort_config_static_selectorELNS0_4arch9wavefront6targetE0EEEvSG_.has_indirect_call, 0
	.section	.AMDGPU.csdata,"",@progbits
; Kernel info:
; codeLenInByte = 0
; TotalNumSgprs: 0
; NumVgprs: 0
; ScratchSize: 0
; MemoryBound: 0
; FloatMode: 240
; IeeeMode: 1
; LDSByteSize: 0 bytes/workgroup (compile time only)
; SGPRBlocks: 0
; VGPRBlocks: 0
; NumSGPRsForWavesPerEU: 1
; NumVGPRsForWavesPerEU: 1
; NamedBarCnt: 0
; Occupancy: 16
; WaveLimiterHint : 0
; COMPUTE_PGM_RSRC2:SCRATCH_EN: 0
; COMPUTE_PGM_RSRC2:USER_SGPR: 2
; COMPUTE_PGM_RSRC2:TRAP_HANDLER: 0
; COMPUTE_PGM_RSRC2:TGID_X_EN: 1
; COMPUTE_PGM_RSRC2:TGID_Y_EN: 0
; COMPUTE_PGM_RSRC2:TGID_Z_EN: 0
; COMPUTE_PGM_RSRC2:TIDIG_COMP_CNT: 0
	.section	.text._ZN7rocprim17ROCPRIM_400000_NS6detail17trampoline_kernelINS0_14default_configENS1_35radix_sort_onesweep_config_selectorIbNS0_10empty_typeEEEZZNS1_29radix_sort_onesweep_iterationIS3_Lb0EPKbPbPS5_SB_mNS0_19identity_decomposerENS1_16block_id_wrapperIjLb1EEEEE10hipError_tT1_PNSt15iterator_traitsISG_E10value_typeET2_T3_PNSH_ISM_E10value_typeET4_T5_PSR_SS_PNS1_23onesweep_lookback_stateEbbT6_jjT7_P12ihipStream_tbENKUlT_T0_SG_SL_E_clIS9_SA_SB_SB_EEDaSZ_S10_SG_SL_EUlSZ_E_NS1_11comp_targetILNS1_3genE5ELNS1_11target_archE942ELNS1_3gpuE9ELNS1_3repE0EEENS1_47radix_sort_onesweep_sort_config_static_selectorELNS0_4arch9wavefront6targetE0EEEvSG_,"axG",@progbits,_ZN7rocprim17ROCPRIM_400000_NS6detail17trampoline_kernelINS0_14default_configENS1_35radix_sort_onesweep_config_selectorIbNS0_10empty_typeEEEZZNS1_29radix_sort_onesweep_iterationIS3_Lb0EPKbPbPS5_SB_mNS0_19identity_decomposerENS1_16block_id_wrapperIjLb1EEEEE10hipError_tT1_PNSt15iterator_traitsISG_E10value_typeET2_T3_PNSH_ISM_E10value_typeET4_T5_PSR_SS_PNS1_23onesweep_lookback_stateEbbT6_jjT7_P12ihipStream_tbENKUlT_T0_SG_SL_E_clIS9_SA_SB_SB_EEDaSZ_S10_SG_SL_EUlSZ_E_NS1_11comp_targetILNS1_3genE5ELNS1_11target_archE942ELNS1_3gpuE9ELNS1_3repE0EEENS1_47radix_sort_onesweep_sort_config_static_selectorELNS0_4arch9wavefront6targetE0EEEvSG_,comdat
	.protected	_ZN7rocprim17ROCPRIM_400000_NS6detail17trampoline_kernelINS0_14default_configENS1_35radix_sort_onesweep_config_selectorIbNS0_10empty_typeEEEZZNS1_29radix_sort_onesweep_iterationIS3_Lb0EPKbPbPS5_SB_mNS0_19identity_decomposerENS1_16block_id_wrapperIjLb1EEEEE10hipError_tT1_PNSt15iterator_traitsISG_E10value_typeET2_T3_PNSH_ISM_E10value_typeET4_T5_PSR_SS_PNS1_23onesweep_lookback_stateEbbT6_jjT7_P12ihipStream_tbENKUlT_T0_SG_SL_E_clIS9_SA_SB_SB_EEDaSZ_S10_SG_SL_EUlSZ_E_NS1_11comp_targetILNS1_3genE5ELNS1_11target_archE942ELNS1_3gpuE9ELNS1_3repE0EEENS1_47radix_sort_onesweep_sort_config_static_selectorELNS0_4arch9wavefront6targetE0EEEvSG_ ; -- Begin function _ZN7rocprim17ROCPRIM_400000_NS6detail17trampoline_kernelINS0_14default_configENS1_35radix_sort_onesweep_config_selectorIbNS0_10empty_typeEEEZZNS1_29radix_sort_onesweep_iterationIS3_Lb0EPKbPbPS5_SB_mNS0_19identity_decomposerENS1_16block_id_wrapperIjLb1EEEEE10hipError_tT1_PNSt15iterator_traitsISG_E10value_typeET2_T3_PNSH_ISM_E10value_typeET4_T5_PSR_SS_PNS1_23onesweep_lookback_stateEbbT6_jjT7_P12ihipStream_tbENKUlT_T0_SG_SL_E_clIS9_SA_SB_SB_EEDaSZ_S10_SG_SL_EUlSZ_E_NS1_11comp_targetILNS1_3genE5ELNS1_11target_archE942ELNS1_3gpuE9ELNS1_3repE0EEENS1_47radix_sort_onesweep_sort_config_static_selectorELNS0_4arch9wavefront6targetE0EEEvSG_
	.globl	_ZN7rocprim17ROCPRIM_400000_NS6detail17trampoline_kernelINS0_14default_configENS1_35radix_sort_onesweep_config_selectorIbNS0_10empty_typeEEEZZNS1_29radix_sort_onesweep_iterationIS3_Lb0EPKbPbPS5_SB_mNS0_19identity_decomposerENS1_16block_id_wrapperIjLb1EEEEE10hipError_tT1_PNSt15iterator_traitsISG_E10value_typeET2_T3_PNSH_ISM_E10value_typeET4_T5_PSR_SS_PNS1_23onesweep_lookback_stateEbbT6_jjT7_P12ihipStream_tbENKUlT_T0_SG_SL_E_clIS9_SA_SB_SB_EEDaSZ_S10_SG_SL_EUlSZ_E_NS1_11comp_targetILNS1_3genE5ELNS1_11target_archE942ELNS1_3gpuE9ELNS1_3repE0EEENS1_47radix_sort_onesweep_sort_config_static_selectorELNS0_4arch9wavefront6targetE0EEEvSG_
	.p2align	8
	.type	_ZN7rocprim17ROCPRIM_400000_NS6detail17trampoline_kernelINS0_14default_configENS1_35radix_sort_onesweep_config_selectorIbNS0_10empty_typeEEEZZNS1_29radix_sort_onesweep_iterationIS3_Lb0EPKbPbPS5_SB_mNS0_19identity_decomposerENS1_16block_id_wrapperIjLb1EEEEE10hipError_tT1_PNSt15iterator_traitsISG_E10value_typeET2_T3_PNSH_ISM_E10value_typeET4_T5_PSR_SS_PNS1_23onesweep_lookback_stateEbbT6_jjT7_P12ihipStream_tbENKUlT_T0_SG_SL_E_clIS9_SA_SB_SB_EEDaSZ_S10_SG_SL_EUlSZ_E_NS1_11comp_targetILNS1_3genE5ELNS1_11target_archE942ELNS1_3gpuE9ELNS1_3repE0EEENS1_47radix_sort_onesweep_sort_config_static_selectorELNS0_4arch9wavefront6targetE0EEEvSG_,@function
_ZN7rocprim17ROCPRIM_400000_NS6detail17trampoline_kernelINS0_14default_configENS1_35radix_sort_onesweep_config_selectorIbNS0_10empty_typeEEEZZNS1_29radix_sort_onesweep_iterationIS3_Lb0EPKbPbPS5_SB_mNS0_19identity_decomposerENS1_16block_id_wrapperIjLb1EEEEE10hipError_tT1_PNSt15iterator_traitsISG_E10value_typeET2_T3_PNSH_ISM_E10value_typeET4_T5_PSR_SS_PNS1_23onesweep_lookback_stateEbbT6_jjT7_P12ihipStream_tbENKUlT_T0_SG_SL_E_clIS9_SA_SB_SB_EEDaSZ_S10_SG_SL_EUlSZ_E_NS1_11comp_targetILNS1_3genE5ELNS1_11target_archE942ELNS1_3gpuE9ELNS1_3repE0EEENS1_47radix_sort_onesweep_sort_config_static_selectorELNS0_4arch9wavefront6targetE0EEEvSG_: ; @_ZN7rocprim17ROCPRIM_400000_NS6detail17trampoline_kernelINS0_14default_configENS1_35radix_sort_onesweep_config_selectorIbNS0_10empty_typeEEEZZNS1_29radix_sort_onesweep_iterationIS3_Lb0EPKbPbPS5_SB_mNS0_19identity_decomposerENS1_16block_id_wrapperIjLb1EEEEE10hipError_tT1_PNSt15iterator_traitsISG_E10value_typeET2_T3_PNSH_ISM_E10value_typeET4_T5_PSR_SS_PNS1_23onesweep_lookback_stateEbbT6_jjT7_P12ihipStream_tbENKUlT_T0_SG_SL_E_clIS9_SA_SB_SB_EEDaSZ_S10_SG_SL_EUlSZ_E_NS1_11comp_targetILNS1_3genE5ELNS1_11target_archE942ELNS1_3gpuE9ELNS1_3repE0EEENS1_47radix_sort_onesweep_sort_config_static_selectorELNS0_4arch9wavefront6targetE0EEEvSG_
; %bb.0:
	.section	.rodata,"a",@progbits
	.p2align	6, 0x0
	.amdhsa_kernel _ZN7rocprim17ROCPRIM_400000_NS6detail17trampoline_kernelINS0_14default_configENS1_35radix_sort_onesweep_config_selectorIbNS0_10empty_typeEEEZZNS1_29radix_sort_onesweep_iterationIS3_Lb0EPKbPbPS5_SB_mNS0_19identity_decomposerENS1_16block_id_wrapperIjLb1EEEEE10hipError_tT1_PNSt15iterator_traitsISG_E10value_typeET2_T3_PNSH_ISM_E10value_typeET4_T5_PSR_SS_PNS1_23onesweep_lookback_stateEbbT6_jjT7_P12ihipStream_tbENKUlT_T0_SG_SL_E_clIS9_SA_SB_SB_EEDaSZ_S10_SG_SL_EUlSZ_E_NS1_11comp_targetILNS1_3genE5ELNS1_11target_archE942ELNS1_3gpuE9ELNS1_3repE0EEENS1_47radix_sort_onesweep_sort_config_static_selectorELNS0_4arch9wavefront6targetE0EEEvSG_
		.amdhsa_group_segment_fixed_size 0
		.amdhsa_private_segment_fixed_size 0
		.amdhsa_kernarg_size 88
		.amdhsa_user_sgpr_count 2
		.amdhsa_user_sgpr_dispatch_ptr 0
		.amdhsa_user_sgpr_queue_ptr 0
		.amdhsa_user_sgpr_kernarg_segment_ptr 1
		.amdhsa_user_sgpr_dispatch_id 0
		.amdhsa_user_sgpr_kernarg_preload_length 0
		.amdhsa_user_sgpr_kernarg_preload_offset 0
		.amdhsa_user_sgpr_private_segment_size 0
		.amdhsa_wavefront_size32 1
		.amdhsa_uses_dynamic_stack 0
		.amdhsa_enable_private_segment 0
		.amdhsa_system_sgpr_workgroup_id_x 1
		.amdhsa_system_sgpr_workgroup_id_y 0
		.amdhsa_system_sgpr_workgroup_id_z 0
		.amdhsa_system_sgpr_workgroup_info 0
		.amdhsa_system_vgpr_workitem_id 0
		.amdhsa_next_free_vgpr 1
		.amdhsa_next_free_sgpr 1
		.amdhsa_named_barrier_count 0
		.amdhsa_reserve_vcc 0
		.amdhsa_float_round_mode_32 0
		.amdhsa_float_round_mode_16_64 0
		.amdhsa_float_denorm_mode_32 3
		.amdhsa_float_denorm_mode_16_64 3
		.amdhsa_fp16_overflow 0
		.amdhsa_memory_ordered 1
		.amdhsa_forward_progress 1
		.amdhsa_inst_pref_size 0
		.amdhsa_round_robin_scheduling 0
		.amdhsa_exception_fp_ieee_invalid_op 0
		.amdhsa_exception_fp_denorm_src 0
		.amdhsa_exception_fp_ieee_div_zero 0
		.amdhsa_exception_fp_ieee_overflow 0
		.amdhsa_exception_fp_ieee_underflow 0
		.amdhsa_exception_fp_ieee_inexact 0
		.amdhsa_exception_int_div_zero 0
	.end_amdhsa_kernel
	.section	.text._ZN7rocprim17ROCPRIM_400000_NS6detail17trampoline_kernelINS0_14default_configENS1_35radix_sort_onesweep_config_selectorIbNS0_10empty_typeEEEZZNS1_29radix_sort_onesweep_iterationIS3_Lb0EPKbPbPS5_SB_mNS0_19identity_decomposerENS1_16block_id_wrapperIjLb1EEEEE10hipError_tT1_PNSt15iterator_traitsISG_E10value_typeET2_T3_PNSH_ISM_E10value_typeET4_T5_PSR_SS_PNS1_23onesweep_lookback_stateEbbT6_jjT7_P12ihipStream_tbENKUlT_T0_SG_SL_E_clIS9_SA_SB_SB_EEDaSZ_S10_SG_SL_EUlSZ_E_NS1_11comp_targetILNS1_3genE5ELNS1_11target_archE942ELNS1_3gpuE9ELNS1_3repE0EEENS1_47radix_sort_onesweep_sort_config_static_selectorELNS0_4arch9wavefront6targetE0EEEvSG_,"axG",@progbits,_ZN7rocprim17ROCPRIM_400000_NS6detail17trampoline_kernelINS0_14default_configENS1_35radix_sort_onesweep_config_selectorIbNS0_10empty_typeEEEZZNS1_29radix_sort_onesweep_iterationIS3_Lb0EPKbPbPS5_SB_mNS0_19identity_decomposerENS1_16block_id_wrapperIjLb1EEEEE10hipError_tT1_PNSt15iterator_traitsISG_E10value_typeET2_T3_PNSH_ISM_E10value_typeET4_T5_PSR_SS_PNS1_23onesweep_lookback_stateEbbT6_jjT7_P12ihipStream_tbENKUlT_T0_SG_SL_E_clIS9_SA_SB_SB_EEDaSZ_S10_SG_SL_EUlSZ_E_NS1_11comp_targetILNS1_3genE5ELNS1_11target_archE942ELNS1_3gpuE9ELNS1_3repE0EEENS1_47radix_sort_onesweep_sort_config_static_selectorELNS0_4arch9wavefront6targetE0EEEvSG_,comdat
.Lfunc_end1854:
	.size	_ZN7rocprim17ROCPRIM_400000_NS6detail17trampoline_kernelINS0_14default_configENS1_35radix_sort_onesweep_config_selectorIbNS0_10empty_typeEEEZZNS1_29radix_sort_onesweep_iterationIS3_Lb0EPKbPbPS5_SB_mNS0_19identity_decomposerENS1_16block_id_wrapperIjLb1EEEEE10hipError_tT1_PNSt15iterator_traitsISG_E10value_typeET2_T3_PNSH_ISM_E10value_typeET4_T5_PSR_SS_PNS1_23onesweep_lookback_stateEbbT6_jjT7_P12ihipStream_tbENKUlT_T0_SG_SL_E_clIS9_SA_SB_SB_EEDaSZ_S10_SG_SL_EUlSZ_E_NS1_11comp_targetILNS1_3genE5ELNS1_11target_archE942ELNS1_3gpuE9ELNS1_3repE0EEENS1_47radix_sort_onesweep_sort_config_static_selectorELNS0_4arch9wavefront6targetE0EEEvSG_, .Lfunc_end1854-_ZN7rocprim17ROCPRIM_400000_NS6detail17trampoline_kernelINS0_14default_configENS1_35radix_sort_onesweep_config_selectorIbNS0_10empty_typeEEEZZNS1_29radix_sort_onesweep_iterationIS3_Lb0EPKbPbPS5_SB_mNS0_19identity_decomposerENS1_16block_id_wrapperIjLb1EEEEE10hipError_tT1_PNSt15iterator_traitsISG_E10value_typeET2_T3_PNSH_ISM_E10value_typeET4_T5_PSR_SS_PNS1_23onesweep_lookback_stateEbbT6_jjT7_P12ihipStream_tbENKUlT_T0_SG_SL_E_clIS9_SA_SB_SB_EEDaSZ_S10_SG_SL_EUlSZ_E_NS1_11comp_targetILNS1_3genE5ELNS1_11target_archE942ELNS1_3gpuE9ELNS1_3repE0EEENS1_47radix_sort_onesweep_sort_config_static_selectorELNS0_4arch9wavefront6targetE0EEEvSG_
                                        ; -- End function
	.set _ZN7rocprim17ROCPRIM_400000_NS6detail17trampoline_kernelINS0_14default_configENS1_35radix_sort_onesweep_config_selectorIbNS0_10empty_typeEEEZZNS1_29radix_sort_onesweep_iterationIS3_Lb0EPKbPbPS5_SB_mNS0_19identity_decomposerENS1_16block_id_wrapperIjLb1EEEEE10hipError_tT1_PNSt15iterator_traitsISG_E10value_typeET2_T3_PNSH_ISM_E10value_typeET4_T5_PSR_SS_PNS1_23onesweep_lookback_stateEbbT6_jjT7_P12ihipStream_tbENKUlT_T0_SG_SL_E_clIS9_SA_SB_SB_EEDaSZ_S10_SG_SL_EUlSZ_E_NS1_11comp_targetILNS1_3genE5ELNS1_11target_archE942ELNS1_3gpuE9ELNS1_3repE0EEENS1_47radix_sort_onesweep_sort_config_static_selectorELNS0_4arch9wavefront6targetE0EEEvSG_.num_vgpr, 0
	.set _ZN7rocprim17ROCPRIM_400000_NS6detail17trampoline_kernelINS0_14default_configENS1_35radix_sort_onesweep_config_selectorIbNS0_10empty_typeEEEZZNS1_29radix_sort_onesweep_iterationIS3_Lb0EPKbPbPS5_SB_mNS0_19identity_decomposerENS1_16block_id_wrapperIjLb1EEEEE10hipError_tT1_PNSt15iterator_traitsISG_E10value_typeET2_T3_PNSH_ISM_E10value_typeET4_T5_PSR_SS_PNS1_23onesweep_lookback_stateEbbT6_jjT7_P12ihipStream_tbENKUlT_T0_SG_SL_E_clIS9_SA_SB_SB_EEDaSZ_S10_SG_SL_EUlSZ_E_NS1_11comp_targetILNS1_3genE5ELNS1_11target_archE942ELNS1_3gpuE9ELNS1_3repE0EEENS1_47radix_sort_onesweep_sort_config_static_selectorELNS0_4arch9wavefront6targetE0EEEvSG_.num_agpr, 0
	.set _ZN7rocprim17ROCPRIM_400000_NS6detail17trampoline_kernelINS0_14default_configENS1_35radix_sort_onesweep_config_selectorIbNS0_10empty_typeEEEZZNS1_29radix_sort_onesweep_iterationIS3_Lb0EPKbPbPS5_SB_mNS0_19identity_decomposerENS1_16block_id_wrapperIjLb1EEEEE10hipError_tT1_PNSt15iterator_traitsISG_E10value_typeET2_T3_PNSH_ISM_E10value_typeET4_T5_PSR_SS_PNS1_23onesweep_lookback_stateEbbT6_jjT7_P12ihipStream_tbENKUlT_T0_SG_SL_E_clIS9_SA_SB_SB_EEDaSZ_S10_SG_SL_EUlSZ_E_NS1_11comp_targetILNS1_3genE5ELNS1_11target_archE942ELNS1_3gpuE9ELNS1_3repE0EEENS1_47radix_sort_onesweep_sort_config_static_selectorELNS0_4arch9wavefront6targetE0EEEvSG_.numbered_sgpr, 0
	.set _ZN7rocprim17ROCPRIM_400000_NS6detail17trampoline_kernelINS0_14default_configENS1_35radix_sort_onesweep_config_selectorIbNS0_10empty_typeEEEZZNS1_29radix_sort_onesweep_iterationIS3_Lb0EPKbPbPS5_SB_mNS0_19identity_decomposerENS1_16block_id_wrapperIjLb1EEEEE10hipError_tT1_PNSt15iterator_traitsISG_E10value_typeET2_T3_PNSH_ISM_E10value_typeET4_T5_PSR_SS_PNS1_23onesweep_lookback_stateEbbT6_jjT7_P12ihipStream_tbENKUlT_T0_SG_SL_E_clIS9_SA_SB_SB_EEDaSZ_S10_SG_SL_EUlSZ_E_NS1_11comp_targetILNS1_3genE5ELNS1_11target_archE942ELNS1_3gpuE9ELNS1_3repE0EEENS1_47radix_sort_onesweep_sort_config_static_selectorELNS0_4arch9wavefront6targetE0EEEvSG_.num_named_barrier, 0
	.set _ZN7rocprim17ROCPRIM_400000_NS6detail17trampoline_kernelINS0_14default_configENS1_35radix_sort_onesweep_config_selectorIbNS0_10empty_typeEEEZZNS1_29radix_sort_onesweep_iterationIS3_Lb0EPKbPbPS5_SB_mNS0_19identity_decomposerENS1_16block_id_wrapperIjLb1EEEEE10hipError_tT1_PNSt15iterator_traitsISG_E10value_typeET2_T3_PNSH_ISM_E10value_typeET4_T5_PSR_SS_PNS1_23onesweep_lookback_stateEbbT6_jjT7_P12ihipStream_tbENKUlT_T0_SG_SL_E_clIS9_SA_SB_SB_EEDaSZ_S10_SG_SL_EUlSZ_E_NS1_11comp_targetILNS1_3genE5ELNS1_11target_archE942ELNS1_3gpuE9ELNS1_3repE0EEENS1_47radix_sort_onesweep_sort_config_static_selectorELNS0_4arch9wavefront6targetE0EEEvSG_.private_seg_size, 0
	.set _ZN7rocprim17ROCPRIM_400000_NS6detail17trampoline_kernelINS0_14default_configENS1_35radix_sort_onesweep_config_selectorIbNS0_10empty_typeEEEZZNS1_29radix_sort_onesweep_iterationIS3_Lb0EPKbPbPS5_SB_mNS0_19identity_decomposerENS1_16block_id_wrapperIjLb1EEEEE10hipError_tT1_PNSt15iterator_traitsISG_E10value_typeET2_T3_PNSH_ISM_E10value_typeET4_T5_PSR_SS_PNS1_23onesweep_lookback_stateEbbT6_jjT7_P12ihipStream_tbENKUlT_T0_SG_SL_E_clIS9_SA_SB_SB_EEDaSZ_S10_SG_SL_EUlSZ_E_NS1_11comp_targetILNS1_3genE5ELNS1_11target_archE942ELNS1_3gpuE9ELNS1_3repE0EEENS1_47radix_sort_onesweep_sort_config_static_selectorELNS0_4arch9wavefront6targetE0EEEvSG_.uses_vcc, 0
	.set _ZN7rocprim17ROCPRIM_400000_NS6detail17trampoline_kernelINS0_14default_configENS1_35radix_sort_onesweep_config_selectorIbNS0_10empty_typeEEEZZNS1_29radix_sort_onesweep_iterationIS3_Lb0EPKbPbPS5_SB_mNS0_19identity_decomposerENS1_16block_id_wrapperIjLb1EEEEE10hipError_tT1_PNSt15iterator_traitsISG_E10value_typeET2_T3_PNSH_ISM_E10value_typeET4_T5_PSR_SS_PNS1_23onesweep_lookback_stateEbbT6_jjT7_P12ihipStream_tbENKUlT_T0_SG_SL_E_clIS9_SA_SB_SB_EEDaSZ_S10_SG_SL_EUlSZ_E_NS1_11comp_targetILNS1_3genE5ELNS1_11target_archE942ELNS1_3gpuE9ELNS1_3repE0EEENS1_47radix_sort_onesweep_sort_config_static_selectorELNS0_4arch9wavefront6targetE0EEEvSG_.uses_flat_scratch, 0
	.set _ZN7rocprim17ROCPRIM_400000_NS6detail17trampoline_kernelINS0_14default_configENS1_35radix_sort_onesweep_config_selectorIbNS0_10empty_typeEEEZZNS1_29radix_sort_onesweep_iterationIS3_Lb0EPKbPbPS5_SB_mNS0_19identity_decomposerENS1_16block_id_wrapperIjLb1EEEEE10hipError_tT1_PNSt15iterator_traitsISG_E10value_typeET2_T3_PNSH_ISM_E10value_typeET4_T5_PSR_SS_PNS1_23onesweep_lookback_stateEbbT6_jjT7_P12ihipStream_tbENKUlT_T0_SG_SL_E_clIS9_SA_SB_SB_EEDaSZ_S10_SG_SL_EUlSZ_E_NS1_11comp_targetILNS1_3genE5ELNS1_11target_archE942ELNS1_3gpuE9ELNS1_3repE0EEENS1_47radix_sort_onesweep_sort_config_static_selectorELNS0_4arch9wavefront6targetE0EEEvSG_.has_dyn_sized_stack, 0
	.set _ZN7rocprim17ROCPRIM_400000_NS6detail17trampoline_kernelINS0_14default_configENS1_35radix_sort_onesweep_config_selectorIbNS0_10empty_typeEEEZZNS1_29radix_sort_onesweep_iterationIS3_Lb0EPKbPbPS5_SB_mNS0_19identity_decomposerENS1_16block_id_wrapperIjLb1EEEEE10hipError_tT1_PNSt15iterator_traitsISG_E10value_typeET2_T3_PNSH_ISM_E10value_typeET4_T5_PSR_SS_PNS1_23onesweep_lookback_stateEbbT6_jjT7_P12ihipStream_tbENKUlT_T0_SG_SL_E_clIS9_SA_SB_SB_EEDaSZ_S10_SG_SL_EUlSZ_E_NS1_11comp_targetILNS1_3genE5ELNS1_11target_archE942ELNS1_3gpuE9ELNS1_3repE0EEENS1_47radix_sort_onesweep_sort_config_static_selectorELNS0_4arch9wavefront6targetE0EEEvSG_.has_recursion, 0
	.set _ZN7rocprim17ROCPRIM_400000_NS6detail17trampoline_kernelINS0_14default_configENS1_35radix_sort_onesweep_config_selectorIbNS0_10empty_typeEEEZZNS1_29radix_sort_onesweep_iterationIS3_Lb0EPKbPbPS5_SB_mNS0_19identity_decomposerENS1_16block_id_wrapperIjLb1EEEEE10hipError_tT1_PNSt15iterator_traitsISG_E10value_typeET2_T3_PNSH_ISM_E10value_typeET4_T5_PSR_SS_PNS1_23onesweep_lookback_stateEbbT6_jjT7_P12ihipStream_tbENKUlT_T0_SG_SL_E_clIS9_SA_SB_SB_EEDaSZ_S10_SG_SL_EUlSZ_E_NS1_11comp_targetILNS1_3genE5ELNS1_11target_archE942ELNS1_3gpuE9ELNS1_3repE0EEENS1_47radix_sort_onesweep_sort_config_static_selectorELNS0_4arch9wavefront6targetE0EEEvSG_.has_indirect_call, 0
	.section	.AMDGPU.csdata,"",@progbits
; Kernel info:
; codeLenInByte = 0
; TotalNumSgprs: 0
; NumVgprs: 0
; ScratchSize: 0
; MemoryBound: 0
; FloatMode: 240
; IeeeMode: 1
; LDSByteSize: 0 bytes/workgroup (compile time only)
; SGPRBlocks: 0
; VGPRBlocks: 0
; NumSGPRsForWavesPerEU: 1
; NumVGPRsForWavesPerEU: 1
; NamedBarCnt: 0
; Occupancy: 16
; WaveLimiterHint : 0
; COMPUTE_PGM_RSRC2:SCRATCH_EN: 0
; COMPUTE_PGM_RSRC2:USER_SGPR: 2
; COMPUTE_PGM_RSRC2:TRAP_HANDLER: 0
; COMPUTE_PGM_RSRC2:TGID_X_EN: 1
; COMPUTE_PGM_RSRC2:TGID_Y_EN: 0
; COMPUTE_PGM_RSRC2:TGID_Z_EN: 0
; COMPUTE_PGM_RSRC2:TIDIG_COMP_CNT: 0
	.section	.text._ZN7rocprim17ROCPRIM_400000_NS6detail17trampoline_kernelINS0_14default_configENS1_35radix_sort_onesweep_config_selectorIbNS0_10empty_typeEEEZZNS1_29radix_sort_onesweep_iterationIS3_Lb0EPKbPbPS5_SB_mNS0_19identity_decomposerENS1_16block_id_wrapperIjLb1EEEEE10hipError_tT1_PNSt15iterator_traitsISG_E10value_typeET2_T3_PNSH_ISM_E10value_typeET4_T5_PSR_SS_PNS1_23onesweep_lookback_stateEbbT6_jjT7_P12ihipStream_tbENKUlT_T0_SG_SL_E_clIS9_SA_SB_SB_EEDaSZ_S10_SG_SL_EUlSZ_E_NS1_11comp_targetILNS1_3genE2ELNS1_11target_archE906ELNS1_3gpuE6ELNS1_3repE0EEENS1_47radix_sort_onesweep_sort_config_static_selectorELNS0_4arch9wavefront6targetE0EEEvSG_,"axG",@progbits,_ZN7rocprim17ROCPRIM_400000_NS6detail17trampoline_kernelINS0_14default_configENS1_35radix_sort_onesweep_config_selectorIbNS0_10empty_typeEEEZZNS1_29radix_sort_onesweep_iterationIS3_Lb0EPKbPbPS5_SB_mNS0_19identity_decomposerENS1_16block_id_wrapperIjLb1EEEEE10hipError_tT1_PNSt15iterator_traitsISG_E10value_typeET2_T3_PNSH_ISM_E10value_typeET4_T5_PSR_SS_PNS1_23onesweep_lookback_stateEbbT6_jjT7_P12ihipStream_tbENKUlT_T0_SG_SL_E_clIS9_SA_SB_SB_EEDaSZ_S10_SG_SL_EUlSZ_E_NS1_11comp_targetILNS1_3genE2ELNS1_11target_archE906ELNS1_3gpuE6ELNS1_3repE0EEENS1_47radix_sort_onesweep_sort_config_static_selectorELNS0_4arch9wavefront6targetE0EEEvSG_,comdat
	.protected	_ZN7rocprim17ROCPRIM_400000_NS6detail17trampoline_kernelINS0_14default_configENS1_35radix_sort_onesweep_config_selectorIbNS0_10empty_typeEEEZZNS1_29radix_sort_onesweep_iterationIS3_Lb0EPKbPbPS5_SB_mNS0_19identity_decomposerENS1_16block_id_wrapperIjLb1EEEEE10hipError_tT1_PNSt15iterator_traitsISG_E10value_typeET2_T3_PNSH_ISM_E10value_typeET4_T5_PSR_SS_PNS1_23onesweep_lookback_stateEbbT6_jjT7_P12ihipStream_tbENKUlT_T0_SG_SL_E_clIS9_SA_SB_SB_EEDaSZ_S10_SG_SL_EUlSZ_E_NS1_11comp_targetILNS1_3genE2ELNS1_11target_archE906ELNS1_3gpuE6ELNS1_3repE0EEENS1_47radix_sort_onesweep_sort_config_static_selectorELNS0_4arch9wavefront6targetE0EEEvSG_ ; -- Begin function _ZN7rocprim17ROCPRIM_400000_NS6detail17trampoline_kernelINS0_14default_configENS1_35radix_sort_onesweep_config_selectorIbNS0_10empty_typeEEEZZNS1_29radix_sort_onesweep_iterationIS3_Lb0EPKbPbPS5_SB_mNS0_19identity_decomposerENS1_16block_id_wrapperIjLb1EEEEE10hipError_tT1_PNSt15iterator_traitsISG_E10value_typeET2_T3_PNSH_ISM_E10value_typeET4_T5_PSR_SS_PNS1_23onesweep_lookback_stateEbbT6_jjT7_P12ihipStream_tbENKUlT_T0_SG_SL_E_clIS9_SA_SB_SB_EEDaSZ_S10_SG_SL_EUlSZ_E_NS1_11comp_targetILNS1_3genE2ELNS1_11target_archE906ELNS1_3gpuE6ELNS1_3repE0EEENS1_47radix_sort_onesweep_sort_config_static_selectorELNS0_4arch9wavefront6targetE0EEEvSG_
	.globl	_ZN7rocprim17ROCPRIM_400000_NS6detail17trampoline_kernelINS0_14default_configENS1_35radix_sort_onesweep_config_selectorIbNS0_10empty_typeEEEZZNS1_29radix_sort_onesweep_iterationIS3_Lb0EPKbPbPS5_SB_mNS0_19identity_decomposerENS1_16block_id_wrapperIjLb1EEEEE10hipError_tT1_PNSt15iterator_traitsISG_E10value_typeET2_T3_PNSH_ISM_E10value_typeET4_T5_PSR_SS_PNS1_23onesweep_lookback_stateEbbT6_jjT7_P12ihipStream_tbENKUlT_T0_SG_SL_E_clIS9_SA_SB_SB_EEDaSZ_S10_SG_SL_EUlSZ_E_NS1_11comp_targetILNS1_3genE2ELNS1_11target_archE906ELNS1_3gpuE6ELNS1_3repE0EEENS1_47radix_sort_onesweep_sort_config_static_selectorELNS0_4arch9wavefront6targetE0EEEvSG_
	.p2align	8
	.type	_ZN7rocprim17ROCPRIM_400000_NS6detail17trampoline_kernelINS0_14default_configENS1_35radix_sort_onesweep_config_selectorIbNS0_10empty_typeEEEZZNS1_29radix_sort_onesweep_iterationIS3_Lb0EPKbPbPS5_SB_mNS0_19identity_decomposerENS1_16block_id_wrapperIjLb1EEEEE10hipError_tT1_PNSt15iterator_traitsISG_E10value_typeET2_T3_PNSH_ISM_E10value_typeET4_T5_PSR_SS_PNS1_23onesweep_lookback_stateEbbT6_jjT7_P12ihipStream_tbENKUlT_T0_SG_SL_E_clIS9_SA_SB_SB_EEDaSZ_S10_SG_SL_EUlSZ_E_NS1_11comp_targetILNS1_3genE2ELNS1_11target_archE906ELNS1_3gpuE6ELNS1_3repE0EEENS1_47radix_sort_onesweep_sort_config_static_selectorELNS0_4arch9wavefront6targetE0EEEvSG_,@function
_ZN7rocprim17ROCPRIM_400000_NS6detail17trampoline_kernelINS0_14default_configENS1_35radix_sort_onesweep_config_selectorIbNS0_10empty_typeEEEZZNS1_29radix_sort_onesweep_iterationIS3_Lb0EPKbPbPS5_SB_mNS0_19identity_decomposerENS1_16block_id_wrapperIjLb1EEEEE10hipError_tT1_PNSt15iterator_traitsISG_E10value_typeET2_T3_PNSH_ISM_E10value_typeET4_T5_PSR_SS_PNS1_23onesweep_lookback_stateEbbT6_jjT7_P12ihipStream_tbENKUlT_T0_SG_SL_E_clIS9_SA_SB_SB_EEDaSZ_S10_SG_SL_EUlSZ_E_NS1_11comp_targetILNS1_3genE2ELNS1_11target_archE906ELNS1_3gpuE6ELNS1_3repE0EEENS1_47radix_sort_onesweep_sort_config_static_selectorELNS0_4arch9wavefront6targetE0EEEvSG_: ; @_ZN7rocprim17ROCPRIM_400000_NS6detail17trampoline_kernelINS0_14default_configENS1_35radix_sort_onesweep_config_selectorIbNS0_10empty_typeEEEZZNS1_29radix_sort_onesweep_iterationIS3_Lb0EPKbPbPS5_SB_mNS0_19identity_decomposerENS1_16block_id_wrapperIjLb1EEEEE10hipError_tT1_PNSt15iterator_traitsISG_E10value_typeET2_T3_PNSH_ISM_E10value_typeET4_T5_PSR_SS_PNS1_23onesweep_lookback_stateEbbT6_jjT7_P12ihipStream_tbENKUlT_T0_SG_SL_E_clIS9_SA_SB_SB_EEDaSZ_S10_SG_SL_EUlSZ_E_NS1_11comp_targetILNS1_3genE2ELNS1_11target_archE906ELNS1_3gpuE6ELNS1_3repE0EEENS1_47radix_sort_onesweep_sort_config_static_selectorELNS0_4arch9wavefront6targetE0EEEvSG_
; %bb.0:
	.section	.rodata,"a",@progbits
	.p2align	6, 0x0
	.amdhsa_kernel _ZN7rocprim17ROCPRIM_400000_NS6detail17trampoline_kernelINS0_14default_configENS1_35radix_sort_onesweep_config_selectorIbNS0_10empty_typeEEEZZNS1_29radix_sort_onesweep_iterationIS3_Lb0EPKbPbPS5_SB_mNS0_19identity_decomposerENS1_16block_id_wrapperIjLb1EEEEE10hipError_tT1_PNSt15iterator_traitsISG_E10value_typeET2_T3_PNSH_ISM_E10value_typeET4_T5_PSR_SS_PNS1_23onesweep_lookback_stateEbbT6_jjT7_P12ihipStream_tbENKUlT_T0_SG_SL_E_clIS9_SA_SB_SB_EEDaSZ_S10_SG_SL_EUlSZ_E_NS1_11comp_targetILNS1_3genE2ELNS1_11target_archE906ELNS1_3gpuE6ELNS1_3repE0EEENS1_47radix_sort_onesweep_sort_config_static_selectorELNS0_4arch9wavefront6targetE0EEEvSG_
		.amdhsa_group_segment_fixed_size 0
		.amdhsa_private_segment_fixed_size 0
		.amdhsa_kernarg_size 88
		.amdhsa_user_sgpr_count 2
		.amdhsa_user_sgpr_dispatch_ptr 0
		.amdhsa_user_sgpr_queue_ptr 0
		.amdhsa_user_sgpr_kernarg_segment_ptr 1
		.amdhsa_user_sgpr_dispatch_id 0
		.amdhsa_user_sgpr_kernarg_preload_length 0
		.amdhsa_user_sgpr_kernarg_preload_offset 0
		.amdhsa_user_sgpr_private_segment_size 0
		.amdhsa_wavefront_size32 1
		.amdhsa_uses_dynamic_stack 0
		.amdhsa_enable_private_segment 0
		.amdhsa_system_sgpr_workgroup_id_x 1
		.amdhsa_system_sgpr_workgroup_id_y 0
		.amdhsa_system_sgpr_workgroup_id_z 0
		.amdhsa_system_sgpr_workgroup_info 0
		.amdhsa_system_vgpr_workitem_id 0
		.amdhsa_next_free_vgpr 1
		.amdhsa_next_free_sgpr 1
		.amdhsa_named_barrier_count 0
		.amdhsa_reserve_vcc 0
		.amdhsa_float_round_mode_32 0
		.amdhsa_float_round_mode_16_64 0
		.amdhsa_float_denorm_mode_32 3
		.amdhsa_float_denorm_mode_16_64 3
		.amdhsa_fp16_overflow 0
		.amdhsa_memory_ordered 1
		.amdhsa_forward_progress 1
		.amdhsa_inst_pref_size 0
		.amdhsa_round_robin_scheduling 0
		.amdhsa_exception_fp_ieee_invalid_op 0
		.amdhsa_exception_fp_denorm_src 0
		.amdhsa_exception_fp_ieee_div_zero 0
		.amdhsa_exception_fp_ieee_overflow 0
		.amdhsa_exception_fp_ieee_underflow 0
		.amdhsa_exception_fp_ieee_inexact 0
		.amdhsa_exception_int_div_zero 0
	.end_amdhsa_kernel
	.section	.text._ZN7rocprim17ROCPRIM_400000_NS6detail17trampoline_kernelINS0_14default_configENS1_35radix_sort_onesweep_config_selectorIbNS0_10empty_typeEEEZZNS1_29radix_sort_onesweep_iterationIS3_Lb0EPKbPbPS5_SB_mNS0_19identity_decomposerENS1_16block_id_wrapperIjLb1EEEEE10hipError_tT1_PNSt15iterator_traitsISG_E10value_typeET2_T3_PNSH_ISM_E10value_typeET4_T5_PSR_SS_PNS1_23onesweep_lookback_stateEbbT6_jjT7_P12ihipStream_tbENKUlT_T0_SG_SL_E_clIS9_SA_SB_SB_EEDaSZ_S10_SG_SL_EUlSZ_E_NS1_11comp_targetILNS1_3genE2ELNS1_11target_archE906ELNS1_3gpuE6ELNS1_3repE0EEENS1_47radix_sort_onesweep_sort_config_static_selectorELNS0_4arch9wavefront6targetE0EEEvSG_,"axG",@progbits,_ZN7rocprim17ROCPRIM_400000_NS6detail17trampoline_kernelINS0_14default_configENS1_35radix_sort_onesweep_config_selectorIbNS0_10empty_typeEEEZZNS1_29radix_sort_onesweep_iterationIS3_Lb0EPKbPbPS5_SB_mNS0_19identity_decomposerENS1_16block_id_wrapperIjLb1EEEEE10hipError_tT1_PNSt15iterator_traitsISG_E10value_typeET2_T3_PNSH_ISM_E10value_typeET4_T5_PSR_SS_PNS1_23onesweep_lookback_stateEbbT6_jjT7_P12ihipStream_tbENKUlT_T0_SG_SL_E_clIS9_SA_SB_SB_EEDaSZ_S10_SG_SL_EUlSZ_E_NS1_11comp_targetILNS1_3genE2ELNS1_11target_archE906ELNS1_3gpuE6ELNS1_3repE0EEENS1_47radix_sort_onesweep_sort_config_static_selectorELNS0_4arch9wavefront6targetE0EEEvSG_,comdat
.Lfunc_end1855:
	.size	_ZN7rocprim17ROCPRIM_400000_NS6detail17trampoline_kernelINS0_14default_configENS1_35radix_sort_onesweep_config_selectorIbNS0_10empty_typeEEEZZNS1_29radix_sort_onesweep_iterationIS3_Lb0EPKbPbPS5_SB_mNS0_19identity_decomposerENS1_16block_id_wrapperIjLb1EEEEE10hipError_tT1_PNSt15iterator_traitsISG_E10value_typeET2_T3_PNSH_ISM_E10value_typeET4_T5_PSR_SS_PNS1_23onesweep_lookback_stateEbbT6_jjT7_P12ihipStream_tbENKUlT_T0_SG_SL_E_clIS9_SA_SB_SB_EEDaSZ_S10_SG_SL_EUlSZ_E_NS1_11comp_targetILNS1_3genE2ELNS1_11target_archE906ELNS1_3gpuE6ELNS1_3repE0EEENS1_47radix_sort_onesweep_sort_config_static_selectorELNS0_4arch9wavefront6targetE0EEEvSG_, .Lfunc_end1855-_ZN7rocprim17ROCPRIM_400000_NS6detail17trampoline_kernelINS0_14default_configENS1_35radix_sort_onesweep_config_selectorIbNS0_10empty_typeEEEZZNS1_29radix_sort_onesweep_iterationIS3_Lb0EPKbPbPS5_SB_mNS0_19identity_decomposerENS1_16block_id_wrapperIjLb1EEEEE10hipError_tT1_PNSt15iterator_traitsISG_E10value_typeET2_T3_PNSH_ISM_E10value_typeET4_T5_PSR_SS_PNS1_23onesweep_lookback_stateEbbT6_jjT7_P12ihipStream_tbENKUlT_T0_SG_SL_E_clIS9_SA_SB_SB_EEDaSZ_S10_SG_SL_EUlSZ_E_NS1_11comp_targetILNS1_3genE2ELNS1_11target_archE906ELNS1_3gpuE6ELNS1_3repE0EEENS1_47radix_sort_onesweep_sort_config_static_selectorELNS0_4arch9wavefront6targetE0EEEvSG_
                                        ; -- End function
	.set _ZN7rocprim17ROCPRIM_400000_NS6detail17trampoline_kernelINS0_14default_configENS1_35radix_sort_onesweep_config_selectorIbNS0_10empty_typeEEEZZNS1_29radix_sort_onesweep_iterationIS3_Lb0EPKbPbPS5_SB_mNS0_19identity_decomposerENS1_16block_id_wrapperIjLb1EEEEE10hipError_tT1_PNSt15iterator_traitsISG_E10value_typeET2_T3_PNSH_ISM_E10value_typeET4_T5_PSR_SS_PNS1_23onesweep_lookback_stateEbbT6_jjT7_P12ihipStream_tbENKUlT_T0_SG_SL_E_clIS9_SA_SB_SB_EEDaSZ_S10_SG_SL_EUlSZ_E_NS1_11comp_targetILNS1_3genE2ELNS1_11target_archE906ELNS1_3gpuE6ELNS1_3repE0EEENS1_47radix_sort_onesweep_sort_config_static_selectorELNS0_4arch9wavefront6targetE0EEEvSG_.num_vgpr, 0
	.set _ZN7rocprim17ROCPRIM_400000_NS6detail17trampoline_kernelINS0_14default_configENS1_35radix_sort_onesweep_config_selectorIbNS0_10empty_typeEEEZZNS1_29radix_sort_onesweep_iterationIS3_Lb0EPKbPbPS5_SB_mNS0_19identity_decomposerENS1_16block_id_wrapperIjLb1EEEEE10hipError_tT1_PNSt15iterator_traitsISG_E10value_typeET2_T3_PNSH_ISM_E10value_typeET4_T5_PSR_SS_PNS1_23onesweep_lookback_stateEbbT6_jjT7_P12ihipStream_tbENKUlT_T0_SG_SL_E_clIS9_SA_SB_SB_EEDaSZ_S10_SG_SL_EUlSZ_E_NS1_11comp_targetILNS1_3genE2ELNS1_11target_archE906ELNS1_3gpuE6ELNS1_3repE0EEENS1_47radix_sort_onesweep_sort_config_static_selectorELNS0_4arch9wavefront6targetE0EEEvSG_.num_agpr, 0
	.set _ZN7rocprim17ROCPRIM_400000_NS6detail17trampoline_kernelINS0_14default_configENS1_35radix_sort_onesweep_config_selectorIbNS0_10empty_typeEEEZZNS1_29radix_sort_onesweep_iterationIS3_Lb0EPKbPbPS5_SB_mNS0_19identity_decomposerENS1_16block_id_wrapperIjLb1EEEEE10hipError_tT1_PNSt15iterator_traitsISG_E10value_typeET2_T3_PNSH_ISM_E10value_typeET4_T5_PSR_SS_PNS1_23onesweep_lookback_stateEbbT6_jjT7_P12ihipStream_tbENKUlT_T0_SG_SL_E_clIS9_SA_SB_SB_EEDaSZ_S10_SG_SL_EUlSZ_E_NS1_11comp_targetILNS1_3genE2ELNS1_11target_archE906ELNS1_3gpuE6ELNS1_3repE0EEENS1_47radix_sort_onesweep_sort_config_static_selectorELNS0_4arch9wavefront6targetE0EEEvSG_.numbered_sgpr, 0
	.set _ZN7rocprim17ROCPRIM_400000_NS6detail17trampoline_kernelINS0_14default_configENS1_35radix_sort_onesweep_config_selectorIbNS0_10empty_typeEEEZZNS1_29radix_sort_onesweep_iterationIS3_Lb0EPKbPbPS5_SB_mNS0_19identity_decomposerENS1_16block_id_wrapperIjLb1EEEEE10hipError_tT1_PNSt15iterator_traitsISG_E10value_typeET2_T3_PNSH_ISM_E10value_typeET4_T5_PSR_SS_PNS1_23onesweep_lookback_stateEbbT6_jjT7_P12ihipStream_tbENKUlT_T0_SG_SL_E_clIS9_SA_SB_SB_EEDaSZ_S10_SG_SL_EUlSZ_E_NS1_11comp_targetILNS1_3genE2ELNS1_11target_archE906ELNS1_3gpuE6ELNS1_3repE0EEENS1_47radix_sort_onesweep_sort_config_static_selectorELNS0_4arch9wavefront6targetE0EEEvSG_.num_named_barrier, 0
	.set _ZN7rocprim17ROCPRIM_400000_NS6detail17trampoline_kernelINS0_14default_configENS1_35radix_sort_onesweep_config_selectorIbNS0_10empty_typeEEEZZNS1_29radix_sort_onesweep_iterationIS3_Lb0EPKbPbPS5_SB_mNS0_19identity_decomposerENS1_16block_id_wrapperIjLb1EEEEE10hipError_tT1_PNSt15iterator_traitsISG_E10value_typeET2_T3_PNSH_ISM_E10value_typeET4_T5_PSR_SS_PNS1_23onesweep_lookback_stateEbbT6_jjT7_P12ihipStream_tbENKUlT_T0_SG_SL_E_clIS9_SA_SB_SB_EEDaSZ_S10_SG_SL_EUlSZ_E_NS1_11comp_targetILNS1_3genE2ELNS1_11target_archE906ELNS1_3gpuE6ELNS1_3repE0EEENS1_47radix_sort_onesweep_sort_config_static_selectorELNS0_4arch9wavefront6targetE0EEEvSG_.private_seg_size, 0
	.set _ZN7rocprim17ROCPRIM_400000_NS6detail17trampoline_kernelINS0_14default_configENS1_35radix_sort_onesweep_config_selectorIbNS0_10empty_typeEEEZZNS1_29radix_sort_onesweep_iterationIS3_Lb0EPKbPbPS5_SB_mNS0_19identity_decomposerENS1_16block_id_wrapperIjLb1EEEEE10hipError_tT1_PNSt15iterator_traitsISG_E10value_typeET2_T3_PNSH_ISM_E10value_typeET4_T5_PSR_SS_PNS1_23onesweep_lookback_stateEbbT6_jjT7_P12ihipStream_tbENKUlT_T0_SG_SL_E_clIS9_SA_SB_SB_EEDaSZ_S10_SG_SL_EUlSZ_E_NS1_11comp_targetILNS1_3genE2ELNS1_11target_archE906ELNS1_3gpuE6ELNS1_3repE0EEENS1_47radix_sort_onesweep_sort_config_static_selectorELNS0_4arch9wavefront6targetE0EEEvSG_.uses_vcc, 0
	.set _ZN7rocprim17ROCPRIM_400000_NS6detail17trampoline_kernelINS0_14default_configENS1_35radix_sort_onesweep_config_selectorIbNS0_10empty_typeEEEZZNS1_29radix_sort_onesweep_iterationIS3_Lb0EPKbPbPS5_SB_mNS0_19identity_decomposerENS1_16block_id_wrapperIjLb1EEEEE10hipError_tT1_PNSt15iterator_traitsISG_E10value_typeET2_T3_PNSH_ISM_E10value_typeET4_T5_PSR_SS_PNS1_23onesweep_lookback_stateEbbT6_jjT7_P12ihipStream_tbENKUlT_T0_SG_SL_E_clIS9_SA_SB_SB_EEDaSZ_S10_SG_SL_EUlSZ_E_NS1_11comp_targetILNS1_3genE2ELNS1_11target_archE906ELNS1_3gpuE6ELNS1_3repE0EEENS1_47radix_sort_onesweep_sort_config_static_selectorELNS0_4arch9wavefront6targetE0EEEvSG_.uses_flat_scratch, 0
	.set _ZN7rocprim17ROCPRIM_400000_NS6detail17trampoline_kernelINS0_14default_configENS1_35radix_sort_onesweep_config_selectorIbNS0_10empty_typeEEEZZNS1_29radix_sort_onesweep_iterationIS3_Lb0EPKbPbPS5_SB_mNS0_19identity_decomposerENS1_16block_id_wrapperIjLb1EEEEE10hipError_tT1_PNSt15iterator_traitsISG_E10value_typeET2_T3_PNSH_ISM_E10value_typeET4_T5_PSR_SS_PNS1_23onesweep_lookback_stateEbbT6_jjT7_P12ihipStream_tbENKUlT_T0_SG_SL_E_clIS9_SA_SB_SB_EEDaSZ_S10_SG_SL_EUlSZ_E_NS1_11comp_targetILNS1_3genE2ELNS1_11target_archE906ELNS1_3gpuE6ELNS1_3repE0EEENS1_47radix_sort_onesweep_sort_config_static_selectorELNS0_4arch9wavefront6targetE0EEEvSG_.has_dyn_sized_stack, 0
	.set _ZN7rocprim17ROCPRIM_400000_NS6detail17trampoline_kernelINS0_14default_configENS1_35radix_sort_onesweep_config_selectorIbNS0_10empty_typeEEEZZNS1_29radix_sort_onesweep_iterationIS3_Lb0EPKbPbPS5_SB_mNS0_19identity_decomposerENS1_16block_id_wrapperIjLb1EEEEE10hipError_tT1_PNSt15iterator_traitsISG_E10value_typeET2_T3_PNSH_ISM_E10value_typeET4_T5_PSR_SS_PNS1_23onesweep_lookback_stateEbbT6_jjT7_P12ihipStream_tbENKUlT_T0_SG_SL_E_clIS9_SA_SB_SB_EEDaSZ_S10_SG_SL_EUlSZ_E_NS1_11comp_targetILNS1_3genE2ELNS1_11target_archE906ELNS1_3gpuE6ELNS1_3repE0EEENS1_47radix_sort_onesweep_sort_config_static_selectorELNS0_4arch9wavefront6targetE0EEEvSG_.has_recursion, 0
	.set _ZN7rocprim17ROCPRIM_400000_NS6detail17trampoline_kernelINS0_14default_configENS1_35radix_sort_onesweep_config_selectorIbNS0_10empty_typeEEEZZNS1_29radix_sort_onesweep_iterationIS3_Lb0EPKbPbPS5_SB_mNS0_19identity_decomposerENS1_16block_id_wrapperIjLb1EEEEE10hipError_tT1_PNSt15iterator_traitsISG_E10value_typeET2_T3_PNSH_ISM_E10value_typeET4_T5_PSR_SS_PNS1_23onesweep_lookback_stateEbbT6_jjT7_P12ihipStream_tbENKUlT_T0_SG_SL_E_clIS9_SA_SB_SB_EEDaSZ_S10_SG_SL_EUlSZ_E_NS1_11comp_targetILNS1_3genE2ELNS1_11target_archE906ELNS1_3gpuE6ELNS1_3repE0EEENS1_47radix_sort_onesweep_sort_config_static_selectorELNS0_4arch9wavefront6targetE0EEEvSG_.has_indirect_call, 0
	.section	.AMDGPU.csdata,"",@progbits
; Kernel info:
; codeLenInByte = 0
; TotalNumSgprs: 0
; NumVgprs: 0
; ScratchSize: 0
; MemoryBound: 0
; FloatMode: 240
; IeeeMode: 1
; LDSByteSize: 0 bytes/workgroup (compile time only)
; SGPRBlocks: 0
; VGPRBlocks: 0
; NumSGPRsForWavesPerEU: 1
; NumVGPRsForWavesPerEU: 1
; NamedBarCnt: 0
; Occupancy: 16
; WaveLimiterHint : 0
; COMPUTE_PGM_RSRC2:SCRATCH_EN: 0
; COMPUTE_PGM_RSRC2:USER_SGPR: 2
; COMPUTE_PGM_RSRC2:TRAP_HANDLER: 0
; COMPUTE_PGM_RSRC2:TGID_X_EN: 1
; COMPUTE_PGM_RSRC2:TGID_Y_EN: 0
; COMPUTE_PGM_RSRC2:TGID_Z_EN: 0
; COMPUTE_PGM_RSRC2:TIDIG_COMP_CNT: 0
	.section	.text._ZN7rocprim17ROCPRIM_400000_NS6detail17trampoline_kernelINS0_14default_configENS1_35radix_sort_onesweep_config_selectorIbNS0_10empty_typeEEEZZNS1_29radix_sort_onesweep_iterationIS3_Lb0EPKbPbPS5_SB_mNS0_19identity_decomposerENS1_16block_id_wrapperIjLb1EEEEE10hipError_tT1_PNSt15iterator_traitsISG_E10value_typeET2_T3_PNSH_ISM_E10value_typeET4_T5_PSR_SS_PNS1_23onesweep_lookback_stateEbbT6_jjT7_P12ihipStream_tbENKUlT_T0_SG_SL_E_clIS9_SA_SB_SB_EEDaSZ_S10_SG_SL_EUlSZ_E_NS1_11comp_targetILNS1_3genE4ELNS1_11target_archE910ELNS1_3gpuE8ELNS1_3repE0EEENS1_47radix_sort_onesweep_sort_config_static_selectorELNS0_4arch9wavefront6targetE0EEEvSG_,"axG",@progbits,_ZN7rocprim17ROCPRIM_400000_NS6detail17trampoline_kernelINS0_14default_configENS1_35radix_sort_onesweep_config_selectorIbNS0_10empty_typeEEEZZNS1_29radix_sort_onesweep_iterationIS3_Lb0EPKbPbPS5_SB_mNS0_19identity_decomposerENS1_16block_id_wrapperIjLb1EEEEE10hipError_tT1_PNSt15iterator_traitsISG_E10value_typeET2_T3_PNSH_ISM_E10value_typeET4_T5_PSR_SS_PNS1_23onesweep_lookback_stateEbbT6_jjT7_P12ihipStream_tbENKUlT_T0_SG_SL_E_clIS9_SA_SB_SB_EEDaSZ_S10_SG_SL_EUlSZ_E_NS1_11comp_targetILNS1_3genE4ELNS1_11target_archE910ELNS1_3gpuE8ELNS1_3repE0EEENS1_47radix_sort_onesweep_sort_config_static_selectorELNS0_4arch9wavefront6targetE0EEEvSG_,comdat
	.protected	_ZN7rocprim17ROCPRIM_400000_NS6detail17trampoline_kernelINS0_14default_configENS1_35radix_sort_onesweep_config_selectorIbNS0_10empty_typeEEEZZNS1_29radix_sort_onesweep_iterationIS3_Lb0EPKbPbPS5_SB_mNS0_19identity_decomposerENS1_16block_id_wrapperIjLb1EEEEE10hipError_tT1_PNSt15iterator_traitsISG_E10value_typeET2_T3_PNSH_ISM_E10value_typeET4_T5_PSR_SS_PNS1_23onesweep_lookback_stateEbbT6_jjT7_P12ihipStream_tbENKUlT_T0_SG_SL_E_clIS9_SA_SB_SB_EEDaSZ_S10_SG_SL_EUlSZ_E_NS1_11comp_targetILNS1_3genE4ELNS1_11target_archE910ELNS1_3gpuE8ELNS1_3repE0EEENS1_47radix_sort_onesweep_sort_config_static_selectorELNS0_4arch9wavefront6targetE0EEEvSG_ ; -- Begin function _ZN7rocprim17ROCPRIM_400000_NS6detail17trampoline_kernelINS0_14default_configENS1_35radix_sort_onesweep_config_selectorIbNS0_10empty_typeEEEZZNS1_29radix_sort_onesweep_iterationIS3_Lb0EPKbPbPS5_SB_mNS0_19identity_decomposerENS1_16block_id_wrapperIjLb1EEEEE10hipError_tT1_PNSt15iterator_traitsISG_E10value_typeET2_T3_PNSH_ISM_E10value_typeET4_T5_PSR_SS_PNS1_23onesweep_lookback_stateEbbT6_jjT7_P12ihipStream_tbENKUlT_T0_SG_SL_E_clIS9_SA_SB_SB_EEDaSZ_S10_SG_SL_EUlSZ_E_NS1_11comp_targetILNS1_3genE4ELNS1_11target_archE910ELNS1_3gpuE8ELNS1_3repE0EEENS1_47radix_sort_onesweep_sort_config_static_selectorELNS0_4arch9wavefront6targetE0EEEvSG_
	.globl	_ZN7rocprim17ROCPRIM_400000_NS6detail17trampoline_kernelINS0_14default_configENS1_35radix_sort_onesweep_config_selectorIbNS0_10empty_typeEEEZZNS1_29radix_sort_onesweep_iterationIS3_Lb0EPKbPbPS5_SB_mNS0_19identity_decomposerENS1_16block_id_wrapperIjLb1EEEEE10hipError_tT1_PNSt15iterator_traitsISG_E10value_typeET2_T3_PNSH_ISM_E10value_typeET4_T5_PSR_SS_PNS1_23onesweep_lookback_stateEbbT6_jjT7_P12ihipStream_tbENKUlT_T0_SG_SL_E_clIS9_SA_SB_SB_EEDaSZ_S10_SG_SL_EUlSZ_E_NS1_11comp_targetILNS1_3genE4ELNS1_11target_archE910ELNS1_3gpuE8ELNS1_3repE0EEENS1_47radix_sort_onesweep_sort_config_static_selectorELNS0_4arch9wavefront6targetE0EEEvSG_
	.p2align	8
	.type	_ZN7rocprim17ROCPRIM_400000_NS6detail17trampoline_kernelINS0_14default_configENS1_35radix_sort_onesweep_config_selectorIbNS0_10empty_typeEEEZZNS1_29radix_sort_onesweep_iterationIS3_Lb0EPKbPbPS5_SB_mNS0_19identity_decomposerENS1_16block_id_wrapperIjLb1EEEEE10hipError_tT1_PNSt15iterator_traitsISG_E10value_typeET2_T3_PNSH_ISM_E10value_typeET4_T5_PSR_SS_PNS1_23onesweep_lookback_stateEbbT6_jjT7_P12ihipStream_tbENKUlT_T0_SG_SL_E_clIS9_SA_SB_SB_EEDaSZ_S10_SG_SL_EUlSZ_E_NS1_11comp_targetILNS1_3genE4ELNS1_11target_archE910ELNS1_3gpuE8ELNS1_3repE0EEENS1_47radix_sort_onesweep_sort_config_static_selectorELNS0_4arch9wavefront6targetE0EEEvSG_,@function
_ZN7rocprim17ROCPRIM_400000_NS6detail17trampoline_kernelINS0_14default_configENS1_35radix_sort_onesweep_config_selectorIbNS0_10empty_typeEEEZZNS1_29radix_sort_onesweep_iterationIS3_Lb0EPKbPbPS5_SB_mNS0_19identity_decomposerENS1_16block_id_wrapperIjLb1EEEEE10hipError_tT1_PNSt15iterator_traitsISG_E10value_typeET2_T3_PNSH_ISM_E10value_typeET4_T5_PSR_SS_PNS1_23onesweep_lookback_stateEbbT6_jjT7_P12ihipStream_tbENKUlT_T0_SG_SL_E_clIS9_SA_SB_SB_EEDaSZ_S10_SG_SL_EUlSZ_E_NS1_11comp_targetILNS1_3genE4ELNS1_11target_archE910ELNS1_3gpuE8ELNS1_3repE0EEENS1_47radix_sort_onesweep_sort_config_static_selectorELNS0_4arch9wavefront6targetE0EEEvSG_: ; @_ZN7rocprim17ROCPRIM_400000_NS6detail17trampoline_kernelINS0_14default_configENS1_35radix_sort_onesweep_config_selectorIbNS0_10empty_typeEEEZZNS1_29radix_sort_onesweep_iterationIS3_Lb0EPKbPbPS5_SB_mNS0_19identity_decomposerENS1_16block_id_wrapperIjLb1EEEEE10hipError_tT1_PNSt15iterator_traitsISG_E10value_typeET2_T3_PNSH_ISM_E10value_typeET4_T5_PSR_SS_PNS1_23onesweep_lookback_stateEbbT6_jjT7_P12ihipStream_tbENKUlT_T0_SG_SL_E_clIS9_SA_SB_SB_EEDaSZ_S10_SG_SL_EUlSZ_E_NS1_11comp_targetILNS1_3genE4ELNS1_11target_archE910ELNS1_3gpuE8ELNS1_3repE0EEENS1_47radix_sort_onesweep_sort_config_static_selectorELNS0_4arch9wavefront6targetE0EEEvSG_
; %bb.0:
	.section	.rodata,"a",@progbits
	.p2align	6, 0x0
	.amdhsa_kernel _ZN7rocprim17ROCPRIM_400000_NS6detail17trampoline_kernelINS0_14default_configENS1_35radix_sort_onesweep_config_selectorIbNS0_10empty_typeEEEZZNS1_29radix_sort_onesweep_iterationIS3_Lb0EPKbPbPS5_SB_mNS0_19identity_decomposerENS1_16block_id_wrapperIjLb1EEEEE10hipError_tT1_PNSt15iterator_traitsISG_E10value_typeET2_T3_PNSH_ISM_E10value_typeET4_T5_PSR_SS_PNS1_23onesweep_lookback_stateEbbT6_jjT7_P12ihipStream_tbENKUlT_T0_SG_SL_E_clIS9_SA_SB_SB_EEDaSZ_S10_SG_SL_EUlSZ_E_NS1_11comp_targetILNS1_3genE4ELNS1_11target_archE910ELNS1_3gpuE8ELNS1_3repE0EEENS1_47radix_sort_onesweep_sort_config_static_selectorELNS0_4arch9wavefront6targetE0EEEvSG_
		.amdhsa_group_segment_fixed_size 0
		.amdhsa_private_segment_fixed_size 0
		.amdhsa_kernarg_size 88
		.amdhsa_user_sgpr_count 2
		.amdhsa_user_sgpr_dispatch_ptr 0
		.amdhsa_user_sgpr_queue_ptr 0
		.amdhsa_user_sgpr_kernarg_segment_ptr 1
		.amdhsa_user_sgpr_dispatch_id 0
		.amdhsa_user_sgpr_kernarg_preload_length 0
		.amdhsa_user_sgpr_kernarg_preload_offset 0
		.amdhsa_user_sgpr_private_segment_size 0
		.amdhsa_wavefront_size32 1
		.amdhsa_uses_dynamic_stack 0
		.amdhsa_enable_private_segment 0
		.amdhsa_system_sgpr_workgroup_id_x 1
		.amdhsa_system_sgpr_workgroup_id_y 0
		.amdhsa_system_sgpr_workgroup_id_z 0
		.amdhsa_system_sgpr_workgroup_info 0
		.amdhsa_system_vgpr_workitem_id 0
		.amdhsa_next_free_vgpr 1
		.amdhsa_next_free_sgpr 1
		.amdhsa_named_barrier_count 0
		.amdhsa_reserve_vcc 0
		.amdhsa_float_round_mode_32 0
		.amdhsa_float_round_mode_16_64 0
		.amdhsa_float_denorm_mode_32 3
		.amdhsa_float_denorm_mode_16_64 3
		.amdhsa_fp16_overflow 0
		.amdhsa_memory_ordered 1
		.amdhsa_forward_progress 1
		.amdhsa_inst_pref_size 0
		.amdhsa_round_robin_scheduling 0
		.amdhsa_exception_fp_ieee_invalid_op 0
		.amdhsa_exception_fp_denorm_src 0
		.amdhsa_exception_fp_ieee_div_zero 0
		.amdhsa_exception_fp_ieee_overflow 0
		.amdhsa_exception_fp_ieee_underflow 0
		.amdhsa_exception_fp_ieee_inexact 0
		.amdhsa_exception_int_div_zero 0
	.end_amdhsa_kernel
	.section	.text._ZN7rocprim17ROCPRIM_400000_NS6detail17trampoline_kernelINS0_14default_configENS1_35radix_sort_onesweep_config_selectorIbNS0_10empty_typeEEEZZNS1_29radix_sort_onesweep_iterationIS3_Lb0EPKbPbPS5_SB_mNS0_19identity_decomposerENS1_16block_id_wrapperIjLb1EEEEE10hipError_tT1_PNSt15iterator_traitsISG_E10value_typeET2_T3_PNSH_ISM_E10value_typeET4_T5_PSR_SS_PNS1_23onesweep_lookback_stateEbbT6_jjT7_P12ihipStream_tbENKUlT_T0_SG_SL_E_clIS9_SA_SB_SB_EEDaSZ_S10_SG_SL_EUlSZ_E_NS1_11comp_targetILNS1_3genE4ELNS1_11target_archE910ELNS1_3gpuE8ELNS1_3repE0EEENS1_47radix_sort_onesweep_sort_config_static_selectorELNS0_4arch9wavefront6targetE0EEEvSG_,"axG",@progbits,_ZN7rocprim17ROCPRIM_400000_NS6detail17trampoline_kernelINS0_14default_configENS1_35radix_sort_onesweep_config_selectorIbNS0_10empty_typeEEEZZNS1_29radix_sort_onesweep_iterationIS3_Lb0EPKbPbPS5_SB_mNS0_19identity_decomposerENS1_16block_id_wrapperIjLb1EEEEE10hipError_tT1_PNSt15iterator_traitsISG_E10value_typeET2_T3_PNSH_ISM_E10value_typeET4_T5_PSR_SS_PNS1_23onesweep_lookback_stateEbbT6_jjT7_P12ihipStream_tbENKUlT_T0_SG_SL_E_clIS9_SA_SB_SB_EEDaSZ_S10_SG_SL_EUlSZ_E_NS1_11comp_targetILNS1_3genE4ELNS1_11target_archE910ELNS1_3gpuE8ELNS1_3repE0EEENS1_47radix_sort_onesweep_sort_config_static_selectorELNS0_4arch9wavefront6targetE0EEEvSG_,comdat
.Lfunc_end1856:
	.size	_ZN7rocprim17ROCPRIM_400000_NS6detail17trampoline_kernelINS0_14default_configENS1_35radix_sort_onesweep_config_selectorIbNS0_10empty_typeEEEZZNS1_29radix_sort_onesweep_iterationIS3_Lb0EPKbPbPS5_SB_mNS0_19identity_decomposerENS1_16block_id_wrapperIjLb1EEEEE10hipError_tT1_PNSt15iterator_traitsISG_E10value_typeET2_T3_PNSH_ISM_E10value_typeET4_T5_PSR_SS_PNS1_23onesweep_lookback_stateEbbT6_jjT7_P12ihipStream_tbENKUlT_T0_SG_SL_E_clIS9_SA_SB_SB_EEDaSZ_S10_SG_SL_EUlSZ_E_NS1_11comp_targetILNS1_3genE4ELNS1_11target_archE910ELNS1_3gpuE8ELNS1_3repE0EEENS1_47radix_sort_onesweep_sort_config_static_selectorELNS0_4arch9wavefront6targetE0EEEvSG_, .Lfunc_end1856-_ZN7rocprim17ROCPRIM_400000_NS6detail17trampoline_kernelINS0_14default_configENS1_35radix_sort_onesweep_config_selectorIbNS0_10empty_typeEEEZZNS1_29radix_sort_onesweep_iterationIS3_Lb0EPKbPbPS5_SB_mNS0_19identity_decomposerENS1_16block_id_wrapperIjLb1EEEEE10hipError_tT1_PNSt15iterator_traitsISG_E10value_typeET2_T3_PNSH_ISM_E10value_typeET4_T5_PSR_SS_PNS1_23onesweep_lookback_stateEbbT6_jjT7_P12ihipStream_tbENKUlT_T0_SG_SL_E_clIS9_SA_SB_SB_EEDaSZ_S10_SG_SL_EUlSZ_E_NS1_11comp_targetILNS1_3genE4ELNS1_11target_archE910ELNS1_3gpuE8ELNS1_3repE0EEENS1_47radix_sort_onesweep_sort_config_static_selectorELNS0_4arch9wavefront6targetE0EEEvSG_
                                        ; -- End function
	.set _ZN7rocprim17ROCPRIM_400000_NS6detail17trampoline_kernelINS0_14default_configENS1_35radix_sort_onesweep_config_selectorIbNS0_10empty_typeEEEZZNS1_29radix_sort_onesweep_iterationIS3_Lb0EPKbPbPS5_SB_mNS0_19identity_decomposerENS1_16block_id_wrapperIjLb1EEEEE10hipError_tT1_PNSt15iterator_traitsISG_E10value_typeET2_T3_PNSH_ISM_E10value_typeET4_T5_PSR_SS_PNS1_23onesweep_lookback_stateEbbT6_jjT7_P12ihipStream_tbENKUlT_T0_SG_SL_E_clIS9_SA_SB_SB_EEDaSZ_S10_SG_SL_EUlSZ_E_NS1_11comp_targetILNS1_3genE4ELNS1_11target_archE910ELNS1_3gpuE8ELNS1_3repE0EEENS1_47radix_sort_onesweep_sort_config_static_selectorELNS0_4arch9wavefront6targetE0EEEvSG_.num_vgpr, 0
	.set _ZN7rocprim17ROCPRIM_400000_NS6detail17trampoline_kernelINS0_14default_configENS1_35radix_sort_onesweep_config_selectorIbNS0_10empty_typeEEEZZNS1_29radix_sort_onesweep_iterationIS3_Lb0EPKbPbPS5_SB_mNS0_19identity_decomposerENS1_16block_id_wrapperIjLb1EEEEE10hipError_tT1_PNSt15iterator_traitsISG_E10value_typeET2_T3_PNSH_ISM_E10value_typeET4_T5_PSR_SS_PNS1_23onesweep_lookback_stateEbbT6_jjT7_P12ihipStream_tbENKUlT_T0_SG_SL_E_clIS9_SA_SB_SB_EEDaSZ_S10_SG_SL_EUlSZ_E_NS1_11comp_targetILNS1_3genE4ELNS1_11target_archE910ELNS1_3gpuE8ELNS1_3repE0EEENS1_47radix_sort_onesweep_sort_config_static_selectorELNS0_4arch9wavefront6targetE0EEEvSG_.num_agpr, 0
	.set _ZN7rocprim17ROCPRIM_400000_NS6detail17trampoline_kernelINS0_14default_configENS1_35radix_sort_onesweep_config_selectorIbNS0_10empty_typeEEEZZNS1_29radix_sort_onesweep_iterationIS3_Lb0EPKbPbPS5_SB_mNS0_19identity_decomposerENS1_16block_id_wrapperIjLb1EEEEE10hipError_tT1_PNSt15iterator_traitsISG_E10value_typeET2_T3_PNSH_ISM_E10value_typeET4_T5_PSR_SS_PNS1_23onesweep_lookback_stateEbbT6_jjT7_P12ihipStream_tbENKUlT_T0_SG_SL_E_clIS9_SA_SB_SB_EEDaSZ_S10_SG_SL_EUlSZ_E_NS1_11comp_targetILNS1_3genE4ELNS1_11target_archE910ELNS1_3gpuE8ELNS1_3repE0EEENS1_47radix_sort_onesweep_sort_config_static_selectorELNS0_4arch9wavefront6targetE0EEEvSG_.numbered_sgpr, 0
	.set _ZN7rocprim17ROCPRIM_400000_NS6detail17trampoline_kernelINS0_14default_configENS1_35radix_sort_onesweep_config_selectorIbNS0_10empty_typeEEEZZNS1_29radix_sort_onesweep_iterationIS3_Lb0EPKbPbPS5_SB_mNS0_19identity_decomposerENS1_16block_id_wrapperIjLb1EEEEE10hipError_tT1_PNSt15iterator_traitsISG_E10value_typeET2_T3_PNSH_ISM_E10value_typeET4_T5_PSR_SS_PNS1_23onesweep_lookback_stateEbbT6_jjT7_P12ihipStream_tbENKUlT_T0_SG_SL_E_clIS9_SA_SB_SB_EEDaSZ_S10_SG_SL_EUlSZ_E_NS1_11comp_targetILNS1_3genE4ELNS1_11target_archE910ELNS1_3gpuE8ELNS1_3repE0EEENS1_47radix_sort_onesweep_sort_config_static_selectorELNS0_4arch9wavefront6targetE0EEEvSG_.num_named_barrier, 0
	.set _ZN7rocprim17ROCPRIM_400000_NS6detail17trampoline_kernelINS0_14default_configENS1_35radix_sort_onesweep_config_selectorIbNS0_10empty_typeEEEZZNS1_29radix_sort_onesweep_iterationIS3_Lb0EPKbPbPS5_SB_mNS0_19identity_decomposerENS1_16block_id_wrapperIjLb1EEEEE10hipError_tT1_PNSt15iterator_traitsISG_E10value_typeET2_T3_PNSH_ISM_E10value_typeET4_T5_PSR_SS_PNS1_23onesweep_lookback_stateEbbT6_jjT7_P12ihipStream_tbENKUlT_T0_SG_SL_E_clIS9_SA_SB_SB_EEDaSZ_S10_SG_SL_EUlSZ_E_NS1_11comp_targetILNS1_3genE4ELNS1_11target_archE910ELNS1_3gpuE8ELNS1_3repE0EEENS1_47radix_sort_onesweep_sort_config_static_selectorELNS0_4arch9wavefront6targetE0EEEvSG_.private_seg_size, 0
	.set _ZN7rocprim17ROCPRIM_400000_NS6detail17trampoline_kernelINS0_14default_configENS1_35radix_sort_onesweep_config_selectorIbNS0_10empty_typeEEEZZNS1_29radix_sort_onesweep_iterationIS3_Lb0EPKbPbPS5_SB_mNS0_19identity_decomposerENS1_16block_id_wrapperIjLb1EEEEE10hipError_tT1_PNSt15iterator_traitsISG_E10value_typeET2_T3_PNSH_ISM_E10value_typeET4_T5_PSR_SS_PNS1_23onesweep_lookback_stateEbbT6_jjT7_P12ihipStream_tbENKUlT_T0_SG_SL_E_clIS9_SA_SB_SB_EEDaSZ_S10_SG_SL_EUlSZ_E_NS1_11comp_targetILNS1_3genE4ELNS1_11target_archE910ELNS1_3gpuE8ELNS1_3repE0EEENS1_47radix_sort_onesweep_sort_config_static_selectorELNS0_4arch9wavefront6targetE0EEEvSG_.uses_vcc, 0
	.set _ZN7rocprim17ROCPRIM_400000_NS6detail17trampoline_kernelINS0_14default_configENS1_35radix_sort_onesweep_config_selectorIbNS0_10empty_typeEEEZZNS1_29radix_sort_onesweep_iterationIS3_Lb0EPKbPbPS5_SB_mNS0_19identity_decomposerENS1_16block_id_wrapperIjLb1EEEEE10hipError_tT1_PNSt15iterator_traitsISG_E10value_typeET2_T3_PNSH_ISM_E10value_typeET4_T5_PSR_SS_PNS1_23onesweep_lookback_stateEbbT6_jjT7_P12ihipStream_tbENKUlT_T0_SG_SL_E_clIS9_SA_SB_SB_EEDaSZ_S10_SG_SL_EUlSZ_E_NS1_11comp_targetILNS1_3genE4ELNS1_11target_archE910ELNS1_3gpuE8ELNS1_3repE0EEENS1_47radix_sort_onesweep_sort_config_static_selectorELNS0_4arch9wavefront6targetE0EEEvSG_.uses_flat_scratch, 0
	.set _ZN7rocprim17ROCPRIM_400000_NS6detail17trampoline_kernelINS0_14default_configENS1_35radix_sort_onesweep_config_selectorIbNS0_10empty_typeEEEZZNS1_29radix_sort_onesweep_iterationIS3_Lb0EPKbPbPS5_SB_mNS0_19identity_decomposerENS1_16block_id_wrapperIjLb1EEEEE10hipError_tT1_PNSt15iterator_traitsISG_E10value_typeET2_T3_PNSH_ISM_E10value_typeET4_T5_PSR_SS_PNS1_23onesweep_lookback_stateEbbT6_jjT7_P12ihipStream_tbENKUlT_T0_SG_SL_E_clIS9_SA_SB_SB_EEDaSZ_S10_SG_SL_EUlSZ_E_NS1_11comp_targetILNS1_3genE4ELNS1_11target_archE910ELNS1_3gpuE8ELNS1_3repE0EEENS1_47radix_sort_onesweep_sort_config_static_selectorELNS0_4arch9wavefront6targetE0EEEvSG_.has_dyn_sized_stack, 0
	.set _ZN7rocprim17ROCPRIM_400000_NS6detail17trampoline_kernelINS0_14default_configENS1_35radix_sort_onesweep_config_selectorIbNS0_10empty_typeEEEZZNS1_29radix_sort_onesweep_iterationIS3_Lb0EPKbPbPS5_SB_mNS0_19identity_decomposerENS1_16block_id_wrapperIjLb1EEEEE10hipError_tT1_PNSt15iterator_traitsISG_E10value_typeET2_T3_PNSH_ISM_E10value_typeET4_T5_PSR_SS_PNS1_23onesweep_lookback_stateEbbT6_jjT7_P12ihipStream_tbENKUlT_T0_SG_SL_E_clIS9_SA_SB_SB_EEDaSZ_S10_SG_SL_EUlSZ_E_NS1_11comp_targetILNS1_3genE4ELNS1_11target_archE910ELNS1_3gpuE8ELNS1_3repE0EEENS1_47radix_sort_onesweep_sort_config_static_selectorELNS0_4arch9wavefront6targetE0EEEvSG_.has_recursion, 0
	.set _ZN7rocprim17ROCPRIM_400000_NS6detail17trampoline_kernelINS0_14default_configENS1_35radix_sort_onesweep_config_selectorIbNS0_10empty_typeEEEZZNS1_29radix_sort_onesweep_iterationIS3_Lb0EPKbPbPS5_SB_mNS0_19identity_decomposerENS1_16block_id_wrapperIjLb1EEEEE10hipError_tT1_PNSt15iterator_traitsISG_E10value_typeET2_T3_PNSH_ISM_E10value_typeET4_T5_PSR_SS_PNS1_23onesweep_lookback_stateEbbT6_jjT7_P12ihipStream_tbENKUlT_T0_SG_SL_E_clIS9_SA_SB_SB_EEDaSZ_S10_SG_SL_EUlSZ_E_NS1_11comp_targetILNS1_3genE4ELNS1_11target_archE910ELNS1_3gpuE8ELNS1_3repE0EEENS1_47radix_sort_onesweep_sort_config_static_selectorELNS0_4arch9wavefront6targetE0EEEvSG_.has_indirect_call, 0
	.section	.AMDGPU.csdata,"",@progbits
; Kernel info:
; codeLenInByte = 0
; TotalNumSgprs: 0
; NumVgprs: 0
; ScratchSize: 0
; MemoryBound: 0
; FloatMode: 240
; IeeeMode: 1
; LDSByteSize: 0 bytes/workgroup (compile time only)
; SGPRBlocks: 0
; VGPRBlocks: 0
; NumSGPRsForWavesPerEU: 1
; NumVGPRsForWavesPerEU: 1
; NamedBarCnt: 0
; Occupancy: 16
; WaveLimiterHint : 0
; COMPUTE_PGM_RSRC2:SCRATCH_EN: 0
; COMPUTE_PGM_RSRC2:USER_SGPR: 2
; COMPUTE_PGM_RSRC2:TRAP_HANDLER: 0
; COMPUTE_PGM_RSRC2:TGID_X_EN: 1
; COMPUTE_PGM_RSRC2:TGID_Y_EN: 0
; COMPUTE_PGM_RSRC2:TGID_Z_EN: 0
; COMPUTE_PGM_RSRC2:TIDIG_COMP_CNT: 0
	.section	.text._ZN7rocprim17ROCPRIM_400000_NS6detail17trampoline_kernelINS0_14default_configENS1_35radix_sort_onesweep_config_selectorIbNS0_10empty_typeEEEZZNS1_29radix_sort_onesweep_iterationIS3_Lb0EPKbPbPS5_SB_mNS0_19identity_decomposerENS1_16block_id_wrapperIjLb1EEEEE10hipError_tT1_PNSt15iterator_traitsISG_E10value_typeET2_T3_PNSH_ISM_E10value_typeET4_T5_PSR_SS_PNS1_23onesweep_lookback_stateEbbT6_jjT7_P12ihipStream_tbENKUlT_T0_SG_SL_E_clIS9_SA_SB_SB_EEDaSZ_S10_SG_SL_EUlSZ_E_NS1_11comp_targetILNS1_3genE3ELNS1_11target_archE908ELNS1_3gpuE7ELNS1_3repE0EEENS1_47radix_sort_onesweep_sort_config_static_selectorELNS0_4arch9wavefront6targetE0EEEvSG_,"axG",@progbits,_ZN7rocprim17ROCPRIM_400000_NS6detail17trampoline_kernelINS0_14default_configENS1_35radix_sort_onesweep_config_selectorIbNS0_10empty_typeEEEZZNS1_29radix_sort_onesweep_iterationIS3_Lb0EPKbPbPS5_SB_mNS0_19identity_decomposerENS1_16block_id_wrapperIjLb1EEEEE10hipError_tT1_PNSt15iterator_traitsISG_E10value_typeET2_T3_PNSH_ISM_E10value_typeET4_T5_PSR_SS_PNS1_23onesweep_lookback_stateEbbT6_jjT7_P12ihipStream_tbENKUlT_T0_SG_SL_E_clIS9_SA_SB_SB_EEDaSZ_S10_SG_SL_EUlSZ_E_NS1_11comp_targetILNS1_3genE3ELNS1_11target_archE908ELNS1_3gpuE7ELNS1_3repE0EEENS1_47radix_sort_onesweep_sort_config_static_selectorELNS0_4arch9wavefront6targetE0EEEvSG_,comdat
	.protected	_ZN7rocprim17ROCPRIM_400000_NS6detail17trampoline_kernelINS0_14default_configENS1_35radix_sort_onesweep_config_selectorIbNS0_10empty_typeEEEZZNS1_29radix_sort_onesweep_iterationIS3_Lb0EPKbPbPS5_SB_mNS0_19identity_decomposerENS1_16block_id_wrapperIjLb1EEEEE10hipError_tT1_PNSt15iterator_traitsISG_E10value_typeET2_T3_PNSH_ISM_E10value_typeET4_T5_PSR_SS_PNS1_23onesweep_lookback_stateEbbT6_jjT7_P12ihipStream_tbENKUlT_T0_SG_SL_E_clIS9_SA_SB_SB_EEDaSZ_S10_SG_SL_EUlSZ_E_NS1_11comp_targetILNS1_3genE3ELNS1_11target_archE908ELNS1_3gpuE7ELNS1_3repE0EEENS1_47radix_sort_onesweep_sort_config_static_selectorELNS0_4arch9wavefront6targetE0EEEvSG_ ; -- Begin function _ZN7rocprim17ROCPRIM_400000_NS6detail17trampoline_kernelINS0_14default_configENS1_35radix_sort_onesweep_config_selectorIbNS0_10empty_typeEEEZZNS1_29radix_sort_onesweep_iterationIS3_Lb0EPKbPbPS5_SB_mNS0_19identity_decomposerENS1_16block_id_wrapperIjLb1EEEEE10hipError_tT1_PNSt15iterator_traitsISG_E10value_typeET2_T3_PNSH_ISM_E10value_typeET4_T5_PSR_SS_PNS1_23onesweep_lookback_stateEbbT6_jjT7_P12ihipStream_tbENKUlT_T0_SG_SL_E_clIS9_SA_SB_SB_EEDaSZ_S10_SG_SL_EUlSZ_E_NS1_11comp_targetILNS1_3genE3ELNS1_11target_archE908ELNS1_3gpuE7ELNS1_3repE0EEENS1_47radix_sort_onesweep_sort_config_static_selectorELNS0_4arch9wavefront6targetE0EEEvSG_
	.globl	_ZN7rocprim17ROCPRIM_400000_NS6detail17trampoline_kernelINS0_14default_configENS1_35radix_sort_onesweep_config_selectorIbNS0_10empty_typeEEEZZNS1_29radix_sort_onesweep_iterationIS3_Lb0EPKbPbPS5_SB_mNS0_19identity_decomposerENS1_16block_id_wrapperIjLb1EEEEE10hipError_tT1_PNSt15iterator_traitsISG_E10value_typeET2_T3_PNSH_ISM_E10value_typeET4_T5_PSR_SS_PNS1_23onesweep_lookback_stateEbbT6_jjT7_P12ihipStream_tbENKUlT_T0_SG_SL_E_clIS9_SA_SB_SB_EEDaSZ_S10_SG_SL_EUlSZ_E_NS1_11comp_targetILNS1_3genE3ELNS1_11target_archE908ELNS1_3gpuE7ELNS1_3repE0EEENS1_47radix_sort_onesweep_sort_config_static_selectorELNS0_4arch9wavefront6targetE0EEEvSG_
	.p2align	8
	.type	_ZN7rocprim17ROCPRIM_400000_NS6detail17trampoline_kernelINS0_14default_configENS1_35radix_sort_onesweep_config_selectorIbNS0_10empty_typeEEEZZNS1_29radix_sort_onesweep_iterationIS3_Lb0EPKbPbPS5_SB_mNS0_19identity_decomposerENS1_16block_id_wrapperIjLb1EEEEE10hipError_tT1_PNSt15iterator_traitsISG_E10value_typeET2_T3_PNSH_ISM_E10value_typeET4_T5_PSR_SS_PNS1_23onesweep_lookback_stateEbbT6_jjT7_P12ihipStream_tbENKUlT_T0_SG_SL_E_clIS9_SA_SB_SB_EEDaSZ_S10_SG_SL_EUlSZ_E_NS1_11comp_targetILNS1_3genE3ELNS1_11target_archE908ELNS1_3gpuE7ELNS1_3repE0EEENS1_47radix_sort_onesweep_sort_config_static_selectorELNS0_4arch9wavefront6targetE0EEEvSG_,@function
_ZN7rocprim17ROCPRIM_400000_NS6detail17trampoline_kernelINS0_14default_configENS1_35radix_sort_onesweep_config_selectorIbNS0_10empty_typeEEEZZNS1_29radix_sort_onesweep_iterationIS3_Lb0EPKbPbPS5_SB_mNS0_19identity_decomposerENS1_16block_id_wrapperIjLb1EEEEE10hipError_tT1_PNSt15iterator_traitsISG_E10value_typeET2_T3_PNSH_ISM_E10value_typeET4_T5_PSR_SS_PNS1_23onesweep_lookback_stateEbbT6_jjT7_P12ihipStream_tbENKUlT_T0_SG_SL_E_clIS9_SA_SB_SB_EEDaSZ_S10_SG_SL_EUlSZ_E_NS1_11comp_targetILNS1_3genE3ELNS1_11target_archE908ELNS1_3gpuE7ELNS1_3repE0EEENS1_47radix_sort_onesweep_sort_config_static_selectorELNS0_4arch9wavefront6targetE0EEEvSG_: ; @_ZN7rocprim17ROCPRIM_400000_NS6detail17trampoline_kernelINS0_14default_configENS1_35radix_sort_onesweep_config_selectorIbNS0_10empty_typeEEEZZNS1_29radix_sort_onesweep_iterationIS3_Lb0EPKbPbPS5_SB_mNS0_19identity_decomposerENS1_16block_id_wrapperIjLb1EEEEE10hipError_tT1_PNSt15iterator_traitsISG_E10value_typeET2_T3_PNSH_ISM_E10value_typeET4_T5_PSR_SS_PNS1_23onesweep_lookback_stateEbbT6_jjT7_P12ihipStream_tbENKUlT_T0_SG_SL_E_clIS9_SA_SB_SB_EEDaSZ_S10_SG_SL_EUlSZ_E_NS1_11comp_targetILNS1_3genE3ELNS1_11target_archE908ELNS1_3gpuE7ELNS1_3repE0EEENS1_47radix_sort_onesweep_sort_config_static_selectorELNS0_4arch9wavefront6targetE0EEEvSG_
; %bb.0:
	.section	.rodata,"a",@progbits
	.p2align	6, 0x0
	.amdhsa_kernel _ZN7rocprim17ROCPRIM_400000_NS6detail17trampoline_kernelINS0_14default_configENS1_35radix_sort_onesweep_config_selectorIbNS0_10empty_typeEEEZZNS1_29radix_sort_onesweep_iterationIS3_Lb0EPKbPbPS5_SB_mNS0_19identity_decomposerENS1_16block_id_wrapperIjLb1EEEEE10hipError_tT1_PNSt15iterator_traitsISG_E10value_typeET2_T3_PNSH_ISM_E10value_typeET4_T5_PSR_SS_PNS1_23onesweep_lookback_stateEbbT6_jjT7_P12ihipStream_tbENKUlT_T0_SG_SL_E_clIS9_SA_SB_SB_EEDaSZ_S10_SG_SL_EUlSZ_E_NS1_11comp_targetILNS1_3genE3ELNS1_11target_archE908ELNS1_3gpuE7ELNS1_3repE0EEENS1_47radix_sort_onesweep_sort_config_static_selectorELNS0_4arch9wavefront6targetE0EEEvSG_
		.amdhsa_group_segment_fixed_size 0
		.amdhsa_private_segment_fixed_size 0
		.amdhsa_kernarg_size 88
		.amdhsa_user_sgpr_count 2
		.amdhsa_user_sgpr_dispatch_ptr 0
		.amdhsa_user_sgpr_queue_ptr 0
		.amdhsa_user_sgpr_kernarg_segment_ptr 1
		.amdhsa_user_sgpr_dispatch_id 0
		.amdhsa_user_sgpr_kernarg_preload_length 0
		.amdhsa_user_sgpr_kernarg_preload_offset 0
		.amdhsa_user_sgpr_private_segment_size 0
		.amdhsa_wavefront_size32 1
		.amdhsa_uses_dynamic_stack 0
		.amdhsa_enable_private_segment 0
		.amdhsa_system_sgpr_workgroup_id_x 1
		.amdhsa_system_sgpr_workgroup_id_y 0
		.amdhsa_system_sgpr_workgroup_id_z 0
		.amdhsa_system_sgpr_workgroup_info 0
		.amdhsa_system_vgpr_workitem_id 0
		.amdhsa_next_free_vgpr 1
		.amdhsa_next_free_sgpr 1
		.amdhsa_named_barrier_count 0
		.amdhsa_reserve_vcc 0
		.amdhsa_float_round_mode_32 0
		.amdhsa_float_round_mode_16_64 0
		.amdhsa_float_denorm_mode_32 3
		.amdhsa_float_denorm_mode_16_64 3
		.amdhsa_fp16_overflow 0
		.amdhsa_memory_ordered 1
		.amdhsa_forward_progress 1
		.amdhsa_inst_pref_size 0
		.amdhsa_round_robin_scheduling 0
		.amdhsa_exception_fp_ieee_invalid_op 0
		.amdhsa_exception_fp_denorm_src 0
		.amdhsa_exception_fp_ieee_div_zero 0
		.amdhsa_exception_fp_ieee_overflow 0
		.amdhsa_exception_fp_ieee_underflow 0
		.amdhsa_exception_fp_ieee_inexact 0
		.amdhsa_exception_int_div_zero 0
	.end_amdhsa_kernel
	.section	.text._ZN7rocprim17ROCPRIM_400000_NS6detail17trampoline_kernelINS0_14default_configENS1_35radix_sort_onesweep_config_selectorIbNS0_10empty_typeEEEZZNS1_29radix_sort_onesweep_iterationIS3_Lb0EPKbPbPS5_SB_mNS0_19identity_decomposerENS1_16block_id_wrapperIjLb1EEEEE10hipError_tT1_PNSt15iterator_traitsISG_E10value_typeET2_T3_PNSH_ISM_E10value_typeET4_T5_PSR_SS_PNS1_23onesweep_lookback_stateEbbT6_jjT7_P12ihipStream_tbENKUlT_T0_SG_SL_E_clIS9_SA_SB_SB_EEDaSZ_S10_SG_SL_EUlSZ_E_NS1_11comp_targetILNS1_3genE3ELNS1_11target_archE908ELNS1_3gpuE7ELNS1_3repE0EEENS1_47radix_sort_onesweep_sort_config_static_selectorELNS0_4arch9wavefront6targetE0EEEvSG_,"axG",@progbits,_ZN7rocprim17ROCPRIM_400000_NS6detail17trampoline_kernelINS0_14default_configENS1_35radix_sort_onesweep_config_selectorIbNS0_10empty_typeEEEZZNS1_29radix_sort_onesweep_iterationIS3_Lb0EPKbPbPS5_SB_mNS0_19identity_decomposerENS1_16block_id_wrapperIjLb1EEEEE10hipError_tT1_PNSt15iterator_traitsISG_E10value_typeET2_T3_PNSH_ISM_E10value_typeET4_T5_PSR_SS_PNS1_23onesweep_lookback_stateEbbT6_jjT7_P12ihipStream_tbENKUlT_T0_SG_SL_E_clIS9_SA_SB_SB_EEDaSZ_S10_SG_SL_EUlSZ_E_NS1_11comp_targetILNS1_3genE3ELNS1_11target_archE908ELNS1_3gpuE7ELNS1_3repE0EEENS1_47radix_sort_onesweep_sort_config_static_selectorELNS0_4arch9wavefront6targetE0EEEvSG_,comdat
.Lfunc_end1857:
	.size	_ZN7rocprim17ROCPRIM_400000_NS6detail17trampoline_kernelINS0_14default_configENS1_35radix_sort_onesweep_config_selectorIbNS0_10empty_typeEEEZZNS1_29radix_sort_onesweep_iterationIS3_Lb0EPKbPbPS5_SB_mNS0_19identity_decomposerENS1_16block_id_wrapperIjLb1EEEEE10hipError_tT1_PNSt15iterator_traitsISG_E10value_typeET2_T3_PNSH_ISM_E10value_typeET4_T5_PSR_SS_PNS1_23onesweep_lookback_stateEbbT6_jjT7_P12ihipStream_tbENKUlT_T0_SG_SL_E_clIS9_SA_SB_SB_EEDaSZ_S10_SG_SL_EUlSZ_E_NS1_11comp_targetILNS1_3genE3ELNS1_11target_archE908ELNS1_3gpuE7ELNS1_3repE0EEENS1_47radix_sort_onesweep_sort_config_static_selectorELNS0_4arch9wavefront6targetE0EEEvSG_, .Lfunc_end1857-_ZN7rocprim17ROCPRIM_400000_NS6detail17trampoline_kernelINS0_14default_configENS1_35radix_sort_onesweep_config_selectorIbNS0_10empty_typeEEEZZNS1_29radix_sort_onesweep_iterationIS3_Lb0EPKbPbPS5_SB_mNS0_19identity_decomposerENS1_16block_id_wrapperIjLb1EEEEE10hipError_tT1_PNSt15iterator_traitsISG_E10value_typeET2_T3_PNSH_ISM_E10value_typeET4_T5_PSR_SS_PNS1_23onesweep_lookback_stateEbbT6_jjT7_P12ihipStream_tbENKUlT_T0_SG_SL_E_clIS9_SA_SB_SB_EEDaSZ_S10_SG_SL_EUlSZ_E_NS1_11comp_targetILNS1_3genE3ELNS1_11target_archE908ELNS1_3gpuE7ELNS1_3repE0EEENS1_47radix_sort_onesweep_sort_config_static_selectorELNS0_4arch9wavefront6targetE0EEEvSG_
                                        ; -- End function
	.set _ZN7rocprim17ROCPRIM_400000_NS6detail17trampoline_kernelINS0_14default_configENS1_35radix_sort_onesweep_config_selectorIbNS0_10empty_typeEEEZZNS1_29radix_sort_onesweep_iterationIS3_Lb0EPKbPbPS5_SB_mNS0_19identity_decomposerENS1_16block_id_wrapperIjLb1EEEEE10hipError_tT1_PNSt15iterator_traitsISG_E10value_typeET2_T3_PNSH_ISM_E10value_typeET4_T5_PSR_SS_PNS1_23onesweep_lookback_stateEbbT6_jjT7_P12ihipStream_tbENKUlT_T0_SG_SL_E_clIS9_SA_SB_SB_EEDaSZ_S10_SG_SL_EUlSZ_E_NS1_11comp_targetILNS1_3genE3ELNS1_11target_archE908ELNS1_3gpuE7ELNS1_3repE0EEENS1_47radix_sort_onesweep_sort_config_static_selectorELNS0_4arch9wavefront6targetE0EEEvSG_.num_vgpr, 0
	.set _ZN7rocprim17ROCPRIM_400000_NS6detail17trampoline_kernelINS0_14default_configENS1_35radix_sort_onesweep_config_selectorIbNS0_10empty_typeEEEZZNS1_29radix_sort_onesweep_iterationIS3_Lb0EPKbPbPS5_SB_mNS0_19identity_decomposerENS1_16block_id_wrapperIjLb1EEEEE10hipError_tT1_PNSt15iterator_traitsISG_E10value_typeET2_T3_PNSH_ISM_E10value_typeET4_T5_PSR_SS_PNS1_23onesweep_lookback_stateEbbT6_jjT7_P12ihipStream_tbENKUlT_T0_SG_SL_E_clIS9_SA_SB_SB_EEDaSZ_S10_SG_SL_EUlSZ_E_NS1_11comp_targetILNS1_3genE3ELNS1_11target_archE908ELNS1_3gpuE7ELNS1_3repE0EEENS1_47radix_sort_onesweep_sort_config_static_selectorELNS0_4arch9wavefront6targetE0EEEvSG_.num_agpr, 0
	.set _ZN7rocprim17ROCPRIM_400000_NS6detail17trampoline_kernelINS0_14default_configENS1_35radix_sort_onesweep_config_selectorIbNS0_10empty_typeEEEZZNS1_29radix_sort_onesweep_iterationIS3_Lb0EPKbPbPS5_SB_mNS0_19identity_decomposerENS1_16block_id_wrapperIjLb1EEEEE10hipError_tT1_PNSt15iterator_traitsISG_E10value_typeET2_T3_PNSH_ISM_E10value_typeET4_T5_PSR_SS_PNS1_23onesweep_lookback_stateEbbT6_jjT7_P12ihipStream_tbENKUlT_T0_SG_SL_E_clIS9_SA_SB_SB_EEDaSZ_S10_SG_SL_EUlSZ_E_NS1_11comp_targetILNS1_3genE3ELNS1_11target_archE908ELNS1_3gpuE7ELNS1_3repE0EEENS1_47radix_sort_onesweep_sort_config_static_selectorELNS0_4arch9wavefront6targetE0EEEvSG_.numbered_sgpr, 0
	.set _ZN7rocprim17ROCPRIM_400000_NS6detail17trampoline_kernelINS0_14default_configENS1_35radix_sort_onesweep_config_selectorIbNS0_10empty_typeEEEZZNS1_29radix_sort_onesweep_iterationIS3_Lb0EPKbPbPS5_SB_mNS0_19identity_decomposerENS1_16block_id_wrapperIjLb1EEEEE10hipError_tT1_PNSt15iterator_traitsISG_E10value_typeET2_T3_PNSH_ISM_E10value_typeET4_T5_PSR_SS_PNS1_23onesweep_lookback_stateEbbT6_jjT7_P12ihipStream_tbENKUlT_T0_SG_SL_E_clIS9_SA_SB_SB_EEDaSZ_S10_SG_SL_EUlSZ_E_NS1_11comp_targetILNS1_3genE3ELNS1_11target_archE908ELNS1_3gpuE7ELNS1_3repE0EEENS1_47radix_sort_onesweep_sort_config_static_selectorELNS0_4arch9wavefront6targetE0EEEvSG_.num_named_barrier, 0
	.set _ZN7rocprim17ROCPRIM_400000_NS6detail17trampoline_kernelINS0_14default_configENS1_35radix_sort_onesweep_config_selectorIbNS0_10empty_typeEEEZZNS1_29radix_sort_onesweep_iterationIS3_Lb0EPKbPbPS5_SB_mNS0_19identity_decomposerENS1_16block_id_wrapperIjLb1EEEEE10hipError_tT1_PNSt15iterator_traitsISG_E10value_typeET2_T3_PNSH_ISM_E10value_typeET4_T5_PSR_SS_PNS1_23onesweep_lookback_stateEbbT6_jjT7_P12ihipStream_tbENKUlT_T0_SG_SL_E_clIS9_SA_SB_SB_EEDaSZ_S10_SG_SL_EUlSZ_E_NS1_11comp_targetILNS1_3genE3ELNS1_11target_archE908ELNS1_3gpuE7ELNS1_3repE0EEENS1_47radix_sort_onesweep_sort_config_static_selectorELNS0_4arch9wavefront6targetE0EEEvSG_.private_seg_size, 0
	.set _ZN7rocprim17ROCPRIM_400000_NS6detail17trampoline_kernelINS0_14default_configENS1_35radix_sort_onesweep_config_selectorIbNS0_10empty_typeEEEZZNS1_29radix_sort_onesweep_iterationIS3_Lb0EPKbPbPS5_SB_mNS0_19identity_decomposerENS1_16block_id_wrapperIjLb1EEEEE10hipError_tT1_PNSt15iterator_traitsISG_E10value_typeET2_T3_PNSH_ISM_E10value_typeET4_T5_PSR_SS_PNS1_23onesweep_lookback_stateEbbT6_jjT7_P12ihipStream_tbENKUlT_T0_SG_SL_E_clIS9_SA_SB_SB_EEDaSZ_S10_SG_SL_EUlSZ_E_NS1_11comp_targetILNS1_3genE3ELNS1_11target_archE908ELNS1_3gpuE7ELNS1_3repE0EEENS1_47radix_sort_onesweep_sort_config_static_selectorELNS0_4arch9wavefront6targetE0EEEvSG_.uses_vcc, 0
	.set _ZN7rocprim17ROCPRIM_400000_NS6detail17trampoline_kernelINS0_14default_configENS1_35radix_sort_onesweep_config_selectorIbNS0_10empty_typeEEEZZNS1_29radix_sort_onesweep_iterationIS3_Lb0EPKbPbPS5_SB_mNS0_19identity_decomposerENS1_16block_id_wrapperIjLb1EEEEE10hipError_tT1_PNSt15iterator_traitsISG_E10value_typeET2_T3_PNSH_ISM_E10value_typeET4_T5_PSR_SS_PNS1_23onesweep_lookback_stateEbbT6_jjT7_P12ihipStream_tbENKUlT_T0_SG_SL_E_clIS9_SA_SB_SB_EEDaSZ_S10_SG_SL_EUlSZ_E_NS1_11comp_targetILNS1_3genE3ELNS1_11target_archE908ELNS1_3gpuE7ELNS1_3repE0EEENS1_47radix_sort_onesweep_sort_config_static_selectorELNS0_4arch9wavefront6targetE0EEEvSG_.uses_flat_scratch, 0
	.set _ZN7rocprim17ROCPRIM_400000_NS6detail17trampoline_kernelINS0_14default_configENS1_35radix_sort_onesweep_config_selectorIbNS0_10empty_typeEEEZZNS1_29radix_sort_onesweep_iterationIS3_Lb0EPKbPbPS5_SB_mNS0_19identity_decomposerENS1_16block_id_wrapperIjLb1EEEEE10hipError_tT1_PNSt15iterator_traitsISG_E10value_typeET2_T3_PNSH_ISM_E10value_typeET4_T5_PSR_SS_PNS1_23onesweep_lookback_stateEbbT6_jjT7_P12ihipStream_tbENKUlT_T0_SG_SL_E_clIS9_SA_SB_SB_EEDaSZ_S10_SG_SL_EUlSZ_E_NS1_11comp_targetILNS1_3genE3ELNS1_11target_archE908ELNS1_3gpuE7ELNS1_3repE0EEENS1_47radix_sort_onesweep_sort_config_static_selectorELNS0_4arch9wavefront6targetE0EEEvSG_.has_dyn_sized_stack, 0
	.set _ZN7rocprim17ROCPRIM_400000_NS6detail17trampoline_kernelINS0_14default_configENS1_35radix_sort_onesweep_config_selectorIbNS0_10empty_typeEEEZZNS1_29radix_sort_onesweep_iterationIS3_Lb0EPKbPbPS5_SB_mNS0_19identity_decomposerENS1_16block_id_wrapperIjLb1EEEEE10hipError_tT1_PNSt15iterator_traitsISG_E10value_typeET2_T3_PNSH_ISM_E10value_typeET4_T5_PSR_SS_PNS1_23onesweep_lookback_stateEbbT6_jjT7_P12ihipStream_tbENKUlT_T0_SG_SL_E_clIS9_SA_SB_SB_EEDaSZ_S10_SG_SL_EUlSZ_E_NS1_11comp_targetILNS1_3genE3ELNS1_11target_archE908ELNS1_3gpuE7ELNS1_3repE0EEENS1_47radix_sort_onesweep_sort_config_static_selectorELNS0_4arch9wavefront6targetE0EEEvSG_.has_recursion, 0
	.set _ZN7rocprim17ROCPRIM_400000_NS6detail17trampoline_kernelINS0_14default_configENS1_35radix_sort_onesweep_config_selectorIbNS0_10empty_typeEEEZZNS1_29radix_sort_onesweep_iterationIS3_Lb0EPKbPbPS5_SB_mNS0_19identity_decomposerENS1_16block_id_wrapperIjLb1EEEEE10hipError_tT1_PNSt15iterator_traitsISG_E10value_typeET2_T3_PNSH_ISM_E10value_typeET4_T5_PSR_SS_PNS1_23onesweep_lookback_stateEbbT6_jjT7_P12ihipStream_tbENKUlT_T0_SG_SL_E_clIS9_SA_SB_SB_EEDaSZ_S10_SG_SL_EUlSZ_E_NS1_11comp_targetILNS1_3genE3ELNS1_11target_archE908ELNS1_3gpuE7ELNS1_3repE0EEENS1_47radix_sort_onesweep_sort_config_static_selectorELNS0_4arch9wavefront6targetE0EEEvSG_.has_indirect_call, 0
	.section	.AMDGPU.csdata,"",@progbits
; Kernel info:
; codeLenInByte = 0
; TotalNumSgprs: 0
; NumVgprs: 0
; ScratchSize: 0
; MemoryBound: 0
; FloatMode: 240
; IeeeMode: 1
; LDSByteSize: 0 bytes/workgroup (compile time only)
; SGPRBlocks: 0
; VGPRBlocks: 0
; NumSGPRsForWavesPerEU: 1
; NumVGPRsForWavesPerEU: 1
; NamedBarCnt: 0
; Occupancy: 16
; WaveLimiterHint : 0
; COMPUTE_PGM_RSRC2:SCRATCH_EN: 0
; COMPUTE_PGM_RSRC2:USER_SGPR: 2
; COMPUTE_PGM_RSRC2:TRAP_HANDLER: 0
; COMPUTE_PGM_RSRC2:TGID_X_EN: 1
; COMPUTE_PGM_RSRC2:TGID_Y_EN: 0
; COMPUTE_PGM_RSRC2:TGID_Z_EN: 0
; COMPUTE_PGM_RSRC2:TIDIG_COMP_CNT: 0
	.section	.text._ZN7rocprim17ROCPRIM_400000_NS6detail17trampoline_kernelINS0_14default_configENS1_35radix_sort_onesweep_config_selectorIbNS0_10empty_typeEEEZZNS1_29radix_sort_onesweep_iterationIS3_Lb0EPKbPbPS5_SB_mNS0_19identity_decomposerENS1_16block_id_wrapperIjLb1EEEEE10hipError_tT1_PNSt15iterator_traitsISG_E10value_typeET2_T3_PNSH_ISM_E10value_typeET4_T5_PSR_SS_PNS1_23onesweep_lookback_stateEbbT6_jjT7_P12ihipStream_tbENKUlT_T0_SG_SL_E_clIS9_SA_SB_SB_EEDaSZ_S10_SG_SL_EUlSZ_E_NS1_11comp_targetILNS1_3genE10ELNS1_11target_archE1201ELNS1_3gpuE5ELNS1_3repE0EEENS1_47radix_sort_onesweep_sort_config_static_selectorELNS0_4arch9wavefront6targetE0EEEvSG_,"axG",@progbits,_ZN7rocprim17ROCPRIM_400000_NS6detail17trampoline_kernelINS0_14default_configENS1_35radix_sort_onesweep_config_selectorIbNS0_10empty_typeEEEZZNS1_29radix_sort_onesweep_iterationIS3_Lb0EPKbPbPS5_SB_mNS0_19identity_decomposerENS1_16block_id_wrapperIjLb1EEEEE10hipError_tT1_PNSt15iterator_traitsISG_E10value_typeET2_T3_PNSH_ISM_E10value_typeET4_T5_PSR_SS_PNS1_23onesweep_lookback_stateEbbT6_jjT7_P12ihipStream_tbENKUlT_T0_SG_SL_E_clIS9_SA_SB_SB_EEDaSZ_S10_SG_SL_EUlSZ_E_NS1_11comp_targetILNS1_3genE10ELNS1_11target_archE1201ELNS1_3gpuE5ELNS1_3repE0EEENS1_47radix_sort_onesweep_sort_config_static_selectorELNS0_4arch9wavefront6targetE0EEEvSG_,comdat
	.protected	_ZN7rocprim17ROCPRIM_400000_NS6detail17trampoline_kernelINS0_14default_configENS1_35radix_sort_onesweep_config_selectorIbNS0_10empty_typeEEEZZNS1_29radix_sort_onesweep_iterationIS3_Lb0EPKbPbPS5_SB_mNS0_19identity_decomposerENS1_16block_id_wrapperIjLb1EEEEE10hipError_tT1_PNSt15iterator_traitsISG_E10value_typeET2_T3_PNSH_ISM_E10value_typeET4_T5_PSR_SS_PNS1_23onesweep_lookback_stateEbbT6_jjT7_P12ihipStream_tbENKUlT_T0_SG_SL_E_clIS9_SA_SB_SB_EEDaSZ_S10_SG_SL_EUlSZ_E_NS1_11comp_targetILNS1_3genE10ELNS1_11target_archE1201ELNS1_3gpuE5ELNS1_3repE0EEENS1_47radix_sort_onesweep_sort_config_static_selectorELNS0_4arch9wavefront6targetE0EEEvSG_ ; -- Begin function _ZN7rocprim17ROCPRIM_400000_NS6detail17trampoline_kernelINS0_14default_configENS1_35radix_sort_onesweep_config_selectorIbNS0_10empty_typeEEEZZNS1_29radix_sort_onesweep_iterationIS3_Lb0EPKbPbPS5_SB_mNS0_19identity_decomposerENS1_16block_id_wrapperIjLb1EEEEE10hipError_tT1_PNSt15iterator_traitsISG_E10value_typeET2_T3_PNSH_ISM_E10value_typeET4_T5_PSR_SS_PNS1_23onesweep_lookback_stateEbbT6_jjT7_P12ihipStream_tbENKUlT_T0_SG_SL_E_clIS9_SA_SB_SB_EEDaSZ_S10_SG_SL_EUlSZ_E_NS1_11comp_targetILNS1_3genE10ELNS1_11target_archE1201ELNS1_3gpuE5ELNS1_3repE0EEENS1_47radix_sort_onesweep_sort_config_static_selectorELNS0_4arch9wavefront6targetE0EEEvSG_
	.globl	_ZN7rocprim17ROCPRIM_400000_NS6detail17trampoline_kernelINS0_14default_configENS1_35radix_sort_onesweep_config_selectorIbNS0_10empty_typeEEEZZNS1_29radix_sort_onesweep_iterationIS3_Lb0EPKbPbPS5_SB_mNS0_19identity_decomposerENS1_16block_id_wrapperIjLb1EEEEE10hipError_tT1_PNSt15iterator_traitsISG_E10value_typeET2_T3_PNSH_ISM_E10value_typeET4_T5_PSR_SS_PNS1_23onesweep_lookback_stateEbbT6_jjT7_P12ihipStream_tbENKUlT_T0_SG_SL_E_clIS9_SA_SB_SB_EEDaSZ_S10_SG_SL_EUlSZ_E_NS1_11comp_targetILNS1_3genE10ELNS1_11target_archE1201ELNS1_3gpuE5ELNS1_3repE0EEENS1_47radix_sort_onesweep_sort_config_static_selectorELNS0_4arch9wavefront6targetE0EEEvSG_
	.p2align	8
	.type	_ZN7rocprim17ROCPRIM_400000_NS6detail17trampoline_kernelINS0_14default_configENS1_35radix_sort_onesweep_config_selectorIbNS0_10empty_typeEEEZZNS1_29radix_sort_onesweep_iterationIS3_Lb0EPKbPbPS5_SB_mNS0_19identity_decomposerENS1_16block_id_wrapperIjLb1EEEEE10hipError_tT1_PNSt15iterator_traitsISG_E10value_typeET2_T3_PNSH_ISM_E10value_typeET4_T5_PSR_SS_PNS1_23onesweep_lookback_stateEbbT6_jjT7_P12ihipStream_tbENKUlT_T0_SG_SL_E_clIS9_SA_SB_SB_EEDaSZ_S10_SG_SL_EUlSZ_E_NS1_11comp_targetILNS1_3genE10ELNS1_11target_archE1201ELNS1_3gpuE5ELNS1_3repE0EEENS1_47radix_sort_onesweep_sort_config_static_selectorELNS0_4arch9wavefront6targetE0EEEvSG_,@function
_ZN7rocprim17ROCPRIM_400000_NS6detail17trampoline_kernelINS0_14default_configENS1_35radix_sort_onesweep_config_selectorIbNS0_10empty_typeEEEZZNS1_29radix_sort_onesweep_iterationIS3_Lb0EPKbPbPS5_SB_mNS0_19identity_decomposerENS1_16block_id_wrapperIjLb1EEEEE10hipError_tT1_PNSt15iterator_traitsISG_E10value_typeET2_T3_PNSH_ISM_E10value_typeET4_T5_PSR_SS_PNS1_23onesweep_lookback_stateEbbT6_jjT7_P12ihipStream_tbENKUlT_T0_SG_SL_E_clIS9_SA_SB_SB_EEDaSZ_S10_SG_SL_EUlSZ_E_NS1_11comp_targetILNS1_3genE10ELNS1_11target_archE1201ELNS1_3gpuE5ELNS1_3repE0EEENS1_47radix_sort_onesweep_sort_config_static_selectorELNS0_4arch9wavefront6targetE0EEEvSG_: ; @_ZN7rocprim17ROCPRIM_400000_NS6detail17trampoline_kernelINS0_14default_configENS1_35radix_sort_onesweep_config_selectorIbNS0_10empty_typeEEEZZNS1_29radix_sort_onesweep_iterationIS3_Lb0EPKbPbPS5_SB_mNS0_19identity_decomposerENS1_16block_id_wrapperIjLb1EEEEE10hipError_tT1_PNSt15iterator_traitsISG_E10value_typeET2_T3_PNSH_ISM_E10value_typeET4_T5_PSR_SS_PNS1_23onesweep_lookback_stateEbbT6_jjT7_P12ihipStream_tbENKUlT_T0_SG_SL_E_clIS9_SA_SB_SB_EEDaSZ_S10_SG_SL_EUlSZ_E_NS1_11comp_targetILNS1_3genE10ELNS1_11target_archE1201ELNS1_3gpuE5ELNS1_3repE0EEENS1_47radix_sort_onesweep_sort_config_static_selectorELNS0_4arch9wavefront6targetE0EEEvSG_
; %bb.0:
	.section	.rodata,"a",@progbits
	.p2align	6, 0x0
	.amdhsa_kernel _ZN7rocprim17ROCPRIM_400000_NS6detail17trampoline_kernelINS0_14default_configENS1_35radix_sort_onesweep_config_selectorIbNS0_10empty_typeEEEZZNS1_29radix_sort_onesweep_iterationIS3_Lb0EPKbPbPS5_SB_mNS0_19identity_decomposerENS1_16block_id_wrapperIjLb1EEEEE10hipError_tT1_PNSt15iterator_traitsISG_E10value_typeET2_T3_PNSH_ISM_E10value_typeET4_T5_PSR_SS_PNS1_23onesweep_lookback_stateEbbT6_jjT7_P12ihipStream_tbENKUlT_T0_SG_SL_E_clIS9_SA_SB_SB_EEDaSZ_S10_SG_SL_EUlSZ_E_NS1_11comp_targetILNS1_3genE10ELNS1_11target_archE1201ELNS1_3gpuE5ELNS1_3repE0EEENS1_47radix_sort_onesweep_sort_config_static_selectorELNS0_4arch9wavefront6targetE0EEEvSG_
		.amdhsa_group_segment_fixed_size 0
		.amdhsa_private_segment_fixed_size 0
		.amdhsa_kernarg_size 88
		.amdhsa_user_sgpr_count 2
		.amdhsa_user_sgpr_dispatch_ptr 0
		.amdhsa_user_sgpr_queue_ptr 0
		.amdhsa_user_sgpr_kernarg_segment_ptr 1
		.amdhsa_user_sgpr_dispatch_id 0
		.amdhsa_user_sgpr_kernarg_preload_length 0
		.amdhsa_user_sgpr_kernarg_preload_offset 0
		.amdhsa_user_sgpr_private_segment_size 0
		.amdhsa_wavefront_size32 1
		.amdhsa_uses_dynamic_stack 0
		.amdhsa_enable_private_segment 0
		.amdhsa_system_sgpr_workgroup_id_x 1
		.amdhsa_system_sgpr_workgroup_id_y 0
		.amdhsa_system_sgpr_workgroup_id_z 0
		.amdhsa_system_sgpr_workgroup_info 0
		.amdhsa_system_vgpr_workitem_id 0
		.amdhsa_next_free_vgpr 1
		.amdhsa_next_free_sgpr 1
		.amdhsa_named_barrier_count 0
		.amdhsa_reserve_vcc 0
		.amdhsa_float_round_mode_32 0
		.amdhsa_float_round_mode_16_64 0
		.amdhsa_float_denorm_mode_32 3
		.amdhsa_float_denorm_mode_16_64 3
		.amdhsa_fp16_overflow 0
		.amdhsa_memory_ordered 1
		.amdhsa_forward_progress 1
		.amdhsa_inst_pref_size 0
		.amdhsa_round_robin_scheduling 0
		.amdhsa_exception_fp_ieee_invalid_op 0
		.amdhsa_exception_fp_denorm_src 0
		.amdhsa_exception_fp_ieee_div_zero 0
		.amdhsa_exception_fp_ieee_overflow 0
		.amdhsa_exception_fp_ieee_underflow 0
		.amdhsa_exception_fp_ieee_inexact 0
		.amdhsa_exception_int_div_zero 0
	.end_amdhsa_kernel
	.section	.text._ZN7rocprim17ROCPRIM_400000_NS6detail17trampoline_kernelINS0_14default_configENS1_35radix_sort_onesweep_config_selectorIbNS0_10empty_typeEEEZZNS1_29radix_sort_onesweep_iterationIS3_Lb0EPKbPbPS5_SB_mNS0_19identity_decomposerENS1_16block_id_wrapperIjLb1EEEEE10hipError_tT1_PNSt15iterator_traitsISG_E10value_typeET2_T3_PNSH_ISM_E10value_typeET4_T5_PSR_SS_PNS1_23onesweep_lookback_stateEbbT6_jjT7_P12ihipStream_tbENKUlT_T0_SG_SL_E_clIS9_SA_SB_SB_EEDaSZ_S10_SG_SL_EUlSZ_E_NS1_11comp_targetILNS1_3genE10ELNS1_11target_archE1201ELNS1_3gpuE5ELNS1_3repE0EEENS1_47radix_sort_onesweep_sort_config_static_selectorELNS0_4arch9wavefront6targetE0EEEvSG_,"axG",@progbits,_ZN7rocprim17ROCPRIM_400000_NS6detail17trampoline_kernelINS0_14default_configENS1_35radix_sort_onesweep_config_selectorIbNS0_10empty_typeEEEZZNS1_29radix_sort_onesweep_iterationIS3_Lb0EPKbPbPS5_SB_mNS0_19identity_decomposerENS1_16block_id_wrapperIjLb1EEEEE10hipError_tT1_PNSt15iterator_traitsISG_E10value_typeET2_T3_PNSH_ISM_E10value_typeET4_T5_PSR_SS_PNS1_23onesweep_lookback_stateEbbT6_jjT7_P12ihipStream_tbENKUlT_T0_SG_SL_E_clIS9_SA_SB_SB_EEDaSZ_S10_SG_SL_EUlSZ_E_NS1_11comp_targetILNS1_3genE10ELNS1_11target_archE1201ELNS1_3gpuE5ELNS1_3repE0EEENS1_47radix_sort_onesweep_sort_config_static_selectorELNS0_4arch9wavefront6targetE0EEEvSG_,comdat
.Lfunc_end1858:
	.size	_ZN7rocprim17ROCPRIM_400000_NS6detail17trampoline_kernelINS0_14default_configENS1_35radix_sort_onesweep_config_selectorIbNS0_10empty_typeEEEZZNS1_29radix_sort_onesweep_iterationIS3_Lb0EPKbPbPS5_SB_mNS0_19identity_decomposerENS1_16block_id_wrapperIjLb1EEEEE10hipError_tT1_PNSt15iterator_traitsISG_E10value_typeET2_T3_PNSH_ISM_E10value_typeET4_T5_PSR_SS_PNS1_23onesweep_lookback_stateEbbT6_jjT7_P12ihipStream_tbENKUlT_T0_SG_SL_E_clIS9_SA_SB_SB_EEDaSZ_S10_SG_SL_EUlSZ_E_NS1_11comp_targetILNS1_3genE10ELNS1_11target_archE1201ELNS1_3gpuE5ELNS1_3repE0EEENS1_47radix_sort_onesweep_sort_config_static_selectorELNS0_4arch9wavefront6targetE0EEEvSG_, .Lfunc_end1858-_ZN7rocprim17ROCPRIM_400000_NS6detail17trampoline_kernelINS0_14default_configENS1_35radix_sort_onesweep_config_selectorIbNS0_10empty_typeEEEZZNS1_29radix_sort_onesweep_iterationIS3_Lb0EPKbPbPS5_SB_mNS0_19identity_decomposerENS1_16block_id_wrapperIjLb1EEEEE10hipError_tT1_PNSt15iterator_traitsISG_E10value_typeET2_T3_PNSH_ISM_E10value_typeET4_T5_PSR_SS_PNS1_23onesweep_lookback_stateEbbT6_jjT7_P12ihipStream_tbENKUlT_T0_SG_SL_E_clIS9_SA_SB_SB_EEDaSZ_S10_SG_SL_EUlSZ_E_NS1_11comp_targetILNS1_3genE10ELNS1_11target_archE1201ELNS1_3gpuE5ELNS1_3repE0EEENS1_47radix_sort_onesweep_sort_config_static_selectorELNS0_4arch9wavefront6targetE0EEEvSG_
                                        ; -- End function
	.set _ZN7rocprim17ROCPRIM_400000_NS6detail17trampoline_kernelINS0_14default_configENS1_35radix_sort_onesweep_config_selectorIbNS0_10empty_typeEEEZZNS1_29radix_sort_onesweep_iterationIS3_Lb0EPKbPbPS5_SB_mNS0_19identity_decomposerENS1_16block_id_wrapperIjLb1EEEEE10hipError_tT1_PNSt15iterator_traitsISG_E10value_typeET2_T3_PNSH_ISM_E10value_typeET4_T5_PSR_SS_PNS1_23onesweep_lookback_stateEbbT6_jjT7_P12ihipStream_tbENKUlT_T0_SG_SL_E_clIS9_SA_SB_SB_EEDaSZ_S10_SG_SL_EUlSZ_E_NS1_11comp_targetILNS1_3genE10ELNS1_11target_archE1201ELNS1_3gpuE5ELNS1_3repE0EEENS1_47radix_sort_onesweep_sort_config_static_selectorELNS0_4arch9wavefront6targetE0EEEvSG_.num_vgpr, 0
	.set _ZN7rocprim17ROCPRIM_400000_NS6detail17trampoline_kernelINS0_14default_configENS1_35radix_sort_onesweep_config_selectorIbNS0_10empty_typeEEEZZNS1_29radix_sort_onesweep_iterationIS3_Lb0EPKbPbPS5_SB_mNS0_19identity_decomposerENS1_16block_id_wrapperIjLb1EEEEE10hipError_tT1_PNSt15iterator_traitsISG_E10value_typeET2_T3_PNSH_ISM_E10value_typeET4_T5_PSR_SS_PNS1_23onesweep_lookback_stateEbbT6_jjT7_P12ihipStream_tbENKUlT_T0_SG_SL_E_clIS9_SA_SB_SB_EEDaSZ_S10_SG_SL_EUlSZ_E_NS1_11comp_targetILNS1_3genE10ELNS1_11target_archE1201ELNS1_3gpuE5ELNS1_3repE0EEENS1_47radix_sort_onesweep_sort_config_static_selectorELNS0_4arch9wavefront6targetE0EEEvSG_.num_agpr, 0
	.set _ZN7rocprim17ROCPRIM_400000_NS6detail17trampoline_kernelINS0_14default_configENS1_35radix_sort_onesweep_config_selectorIbNS0_10empty_typeEEEZZNS1_29radix_sort_onesweep_iterationIS3_Lb0EPKbPbPS5_SB_mNS0_19identity_decomposerENS1_16block_id_wrapperIjLb1EEEEE10hipError_tT1_PNSt15iterator_traitsISG_E10value_typeET2_T3_PNSH_ISM_E10value_typeET4_T5_PSR_SS_PNS1_23onesweep_lookback_stateEbbT6_jjT7_P12ihipStream_tbENKUlT_T0_SG_SL_E_clIS9_SA_SB_SB_EEDaSZ_S10_SG_SL_EUlSZ_E_NS1_11comp_targetILNS1_3genE10ELNS1_11target_archE1201ELNS1_3gpuE5ELNS1_3repE0EEENS1_47radix_sort_onesweep_sort_config_static_selectorELNS0_4arch9wavefront6targetE0EEEvSG_.numbered_sgpr, 0
	.set _ZN7rocprim17ROCPRIM_400000_NS6detail17trampoline_kernelINS0_14default_configENS1_35radix_sort_onesweep_config_selectorIbNS0_10empty_typeEEEZZNS1_29radix_sort_onesweep_iterationIS3_Lb0EPKbPbPS5_SB_mNS0_19identity_decomposerENS1_16block_id_wrapperIjLb1EEEEE10hipError_tT1_PNSt15iterator_traitsISG_E10value_typeET2_T3_PNSH_ISM_E10value_typeET4_T5_PSR_SS_PNS1_23onesweep_lookback_stateEbbT6_jjT7_P12ihipStream_tbENKUlT_T0_SG_SL_E_clIS9_SA_SB_SB_EEDaSZ_S10_SG_SL_EUlSZ_E_NS1_11comp_targetILNS1_3genE10ELNS1_11target_archE1201ELNS1_3gpuE5ELNS1_3repE0EEENS1_47radix_sort_onesweep_sort_config_static_selectorELNS0_4arch9wavefront6targetE0EEEvSG_.num_named_barrier, 0
	.set _ZN7rocprim17ROCPRIM_400000_NS6detail17trampoline_kernelINS0_14default_configENS1_35radix_sort_onesweep_config_selectorIbNS0_10empty_typeEEEZZNS1_29radix_sort_onesweep_iterationIS3_Lb0EPKbPbPS5_SB_mNS0_19identity_decomposerENS1_16block_id_wrapperIjLb1EEEEE10hipError_tT1_PNSt15iterator_traitsISG_E10value_typeET2_T3_PNSH_ISM_E10value_typeET4_T5_PSR_SS_PNS1_23onesweep_lookback_stateEbbT6_jjT7_P12ihipStream_tbENKUlT_T0_SG_SL_E_clIS9_SA_SB_SB_EEDaSZ_S10_SG_SL_EUlSZ_E_NS1_11comp_targetILNS1_3genE10ELNS1_11target_archE1201ELNS1_3gpuE5ELNS1_3repE0EEENS1_47radix_sort_onesweep_sort_config_static_selectorELNS0_4arch9wavefront6targetE0EEEvSG_.private_seg_size, 0
	.set _ZN7rocprim17ROCPRIM_400000_NS6detail17trampoline_kernelINS0_14default_configENS1_35radix_sort_onesweep_config_selectorIbNS0_10empty_typeEEEZZNS1_29radix_sort_onesweep_iterationIS3_Lb0EPKbPbPS5_SB_mNS0_19identity_decomposerENS1_16block_id_wrapperIjLb1EEEEE10hipError_tT1_PNSt15iterator_traitsISG_E10value_typeET2_T3_PNSH_ISM_E10value_typeET4_T5_PSR_SS_PNS1_23onesweep_lookback_stateEbbT6_jjT7_P12ihipStream_tbENKUlT_T0_SG_SL_E_clIS9_SA_SB_SB_EEDaSZ_S10_SG_SL_EUlSZ_E_NS1_11comp_targetILNS1_3genE10ELNS1_11target_archE1201ELNS1_3gpuE5ELNS1_3repE0EEENS1_47radix_sort_onesweep_sort_config_static_selectorELNS0_4arch9wavefront6targetE0EEEvSG_.uses_vcc, 0
	.set _ZN7rocprim17ROCPRIM_400000_NS6detail17trampoline_kernelINS0_14default_configENS1_35radix_sort_onesweep_config_selectorIbNS0_10empty_typeEEEZZNS1_29radix_sort_onesweep_iterationIS3_Lb0EPKbPbPS5_SB_mNS0_19identity_decomposerENS1_16block_id_wrapperIjLb1EEEEE10hipError_tT1_PNSt15iterator_traitsISG_E10value_typeET2_T3_PNSH_ISM_E10value_typeET4_T5_PSR_SS_PNS1_23onesweep_lookback_stateEbbT6_jjT7_P12ihipStream_tbENKUlT_T0_SG_SL_E_clIS9_SA_SB_SB_EEDaSZ_S10_SG_SL_EUlSZ_E_NS1_11comp_targetILNS1_3genE10ELNS1_11target_archE1201ELNS1_3gpuE5ELNS1_3repE0EEENS1_47radix_sort_onesweep_sort_config_static_selectorELNS0_4arch9wavefront6targetE0EEEvSG_.uses_flat_scratch, 0
	.set _ZN7rocprim17ROCPRIM_400000_NS6detail17trampoline_kernelINS0_14default_configENS1_35radix_sort_onesweep_config_selectorIbNS0_10empty_typeEEEZZNS1_29radix_sort_onesweep_iterationIS3_Lb0EPKbPbPS5_SB_mNS0_19identity_decomposerENS1_16block_id_wrapperIjLb1EEEEE10hipError_tT1_PNSt15iterator_traitsISG_E10value_typeET2_T3_PNSH_ISM_E10value_typeET4_T5_PSR_SS_PNS1_23onesweep_lookback_stateEbbT6_jjT7_P12ihipStream_tbENKUlT_T0_SG_SL_E_clIS9_SA_SB_SB_EEDaSZ_S10_SG_SL_EUlSZ_E_NS1_11comp_targetILNS1_3genE10ELNS1_11target_archE1201ELNS1_3gpuE5ELNS1_3repE0EEENS1_47radix_sort_onesweep_sort_config_static_selectorELNS0_4arch9wavefront6targetE0EEEvSG_.has_dyn_sized_stack, 0
	.set _ZN7rocprim17ROCPRIM_400000_NS6detail17trampoline_kernelINS0_14default_configENS1_35radix_sort_onesweep_config_selectorIbNS0_10empty_typeEEEZZNS1_29radix_sort_onesweep_iterationIS3_Lb0EPKbPbPS5_SB_mNS0_19identity_decomposerENS1_16block_id_wrapperIjLb1EEEEE10hipError_tT1_PNSt15iterator_traitsISG_E10value_typeET2_T3_PNSH_ISM_E10value_typeET4_T5_PSR_SS_PNS1_23onesweep_lookback_stateEbbT6_jjT7_P12ihipStream_tbENKUlT_T0_SG_SL_E_clIS9_SA_SB_SB_EEDaSZ_S10_SG_SL_EUlSZ_E_NS1_11comp_targetILNS1_3genE10ELNS1_11target_archE1201ELNS1_3gpuE5ELNS1_3repE0EEENS1_47radix_sort_onesweep_sort_config_static_selectorELNS0_4arch9wavefront6targetE0EEEvSG_.has_recursion, 0
	.set _ZN7rocprim17ROCPRIM_400000_NS6detail17trampoline_kernelINS0_14default_configENS1_35radix_sort_onesweep_config_selectorIbNS0_10empty_typeEEEZZNS1_29radix_sort_onesweep_iterationIS3_Lb0EPKbPbPS5_SB_mNS0_19identity_decomposerENS1_16block_id_wrapperIjLb1EEEEE10hipError_tT1_PNSt15iterator_traitsISG_E10value_typeET2_T3_PNSH_ISM_E10value_typeET4_T5_PSR_SS_PNS1_23onesweep_lookback_stateEbbT6_jjT7_P12ihipStream_tbENKUlT_T0_SG_SL_E_clIS9_SA_SB_SB_EEDaSZ_S10_SG_SL_EUlSZ_E_NS1_11comp_targetILNS1_3genE10ELNS1_11target_archE1201ELNS1_3gpuE5ELNS1_3repE0EEENS1_47radix_sort_onesweep_sort_config_static_selectorELNS0_4arch9wavefront6targetE0EEEvSG_.has_indirect_call, 0
	.section	.AMDGPU.csdata,"",@progbits
; Kernel info:
; codeLenInByte = 0
; TotalNumSgprs: 0
; NumVgprs: 0
; ScratchSize: 0
; MemoryBound: 0
; FloatMode: 240
; IeeeMode: 1
; LDSByteSize: 0 bytes/workgroup (compile time only)
; SGPRBlocks: 0
; VGPRBlocks: 0
; NumSGPRsForWavesPerEU: 1
; NumVGPRsForWavesPerEU: 1
; NamedBarCnt: 0
; Occupancy: 16
; WaveLimiterHint : 0
; COMPUTE_PGM_RSRC2:SCRATCH_EN: 0
; COMPUTE_PGM_RSRC2:USER_SGPR: 2
; COMPUTE_PGM_RSRC2:TRAP_HANDLER: 0
; COMPUTE_PGM_RSRC2:TGID_X_EN: 1
; COMPUTE_PGM_RSRC2:TGID_Y_EN: 0
; COMPUTE_PGM_RSRC2:TGID_Z_EN: 0
; COMPUTE_PGM_RSRC2:TIDIG_COMP_CNT: 0
	.section	.text._ZN7rocprim17ROCPRIM_400000_NS6detail17trampoline_kernelINS0_14default_configENS1_35radix_sort_onesweep_config_selectorIbNS0_10empty_typeEEEZZNS1_29radix_sort_onesweep_iterationIS3_Lb0EPKbPbPS5_SB_mNS0_19identity_decomposerENS1_16block_id_wrapperIjLb1EEEEE10hipError_tT1_PNSt15iterator_traitsISG_E10value_typeET2_T3_PNSH_ISM_E10value_typeET4_T5_PSR_SS_PNS1_23onesweep_lookback_stateEbbT6_jjT7_P12ihipStream_tbENKUlT_T0_SG_SL_E_clIS9_SA_SB_SB_EEDaSZ_S10_SG_SL_EUlSZ_E_NS1_11comp_targetILNS1_3genE9ELNS1_11target_archE1100ELNS1_3gpuE3ELNS1_3repE0EEENS1_47radix_sort_onesweep_sort_config_static_selectorELNS0_4arch9wavefront6targetE0EEEvSG_,"axG",@progbits,_ZN7rocprim17ROCPRIM_400000_NS6detail17trampoline_kernelINS0_14default_configENS1_35radix_sort_onesweep_config_selectorIbNS0_10empty_typeEEEZZNS1_29radix_sort_onesweep_iterationIS3_Lb0EPKbPbPS5_SB_mNS0_19identity_decomposerENS1_16block_id_wrapperIjLb1EEEEE10hipError_tT1_PNSt15iterator_traitsISG_E10value_typeET2_T3_PNSH_ISM_E10value_typeET4_T5_PSR_SS_PNS1_23onesweep_lookback_stateEbbT6_jjT7_P12ihipStream_tbENKUlT_T0_SG_SL_E_clIS9_SA_SB_SB_EEDaSZ_S10_SG_SL_EUlSZ_E_NS1_11comp_targetILNS1_3genE9ELNS1_11target_archE1100ELNS1_3gpuE3ELNS1_3repE0EEENS1_47radix_sort_onesweep_sort_config_static_selectorELNS0_4arch9wavefront6targetE0EEEvSG_,comdat
	.protected	_ZN7rocprim17ROCPRIM_400000_NS6detail17trampoline_kernelINS0_14default_configENS1_35radix_sort_onesweep_config_selectorIbNS0_10empty_typeEEEZZNS1_29radix_sort_onesweep_iterationIS3_Lb0EPKbPbPS5_SB_mNS0_19identity_decomposerENS1_16block_id_wrapperIjLb1EEEEE10hipError_tT1_PNSt15iterator_traitsISG_E10value_typeET2_T3_PNSH_ISM_E10value_typeET4_T5_PSR_SS_PNS1_23onesweep_lookback_stateEbbT6_jjT7_P12ihipStream_tbENKUlT_T0_SG_SL_E_clIS9_SA_SB_SB_EEDaSZ_S10_SG_SL_EUlSZ_E_NS1_11comp_targetILNS1_3genE9ELNS1_11target_archE1100ELNS1_3gpuE3ELNS1_3repE0EEENS1_47radix_sort_onesweep_sort_config_static_selectorELNS0_4arch9wavefront6targetE0EEEvSG_ ; -- Begin function _ZN7rocprim17ROCPRIM_400000_NS6detail17trampoline_kernelINS0_14default_configENS1_35radix_sort_onesweep_config_selectorIbNS0_10empty_typeEEEZZNS1_29radix_sort_onesweep_iterationIS3_Lb0EPKbPbPS5_SB_mNS0_19identity_decomposerENS1_16block_id_wrapperIjLb1EEEEE10hipError_tT1_PNSt15iterator_traitsISG_E10value_typeET2_T3_PNSH_ISM_E10value_typeET4_T5_PSR_SS_PNS1_23onesweep_lookback_stateEbbT6_jjT7_P12ihipStream_tbENKUlT_T0_SG_SL_E_clIS9_SA_SB_SB_EEDaSZ_S10_SG_SL_EUlSZ_E_NS1_11comp_targetILNS1_3genE9ELNS1_11target_archE1100ELNS1_3gpuE3ELNS1_3repE0EEENS1_47radix_sort_onesweep_sort_config_static_selectorELNS0_4arch9wavefront6targetE0EEEvSG_
	.globl	_ZN7rocprim17ROCPRIM_400000_NS6detail17trampoline_kernelINS0_14default_configENS1_35radix_sort_onesweep_config_selectorIbNS0_10empty_typeEEEZZNS1_29radix_sort_onesweep_iterationIS3_Lb0EPKbPbPS5_SB_mNS0_19identity_decomposerENS1_16block_id_wrapperIjLb1EEEEE10hipError_tT1_PNSt15iterator_traitsISG_E10value_typeET2_T3_PNSH_ISM_E10value_typeET4_T5_PSR_SS_PNS1_23onesweep_lookback_stateEbbT6_jjT7_P12ihipStream_tbENKUlT_T0_SG_SL_E_clIS9_SA_SB_SB_EEDaSZ_S10_SG_SL_EUlSZ_E_NS1_11comp_targetILNS1_3genE9ELNS1_11target_archE1100ELNS1_3gpuE3ELNS1_3repE0EEENS1_47radix_sort_onesweep_sort_config_static_selectorELNS0_4arch9wavefront6targetE0EEEvSG_
	.p2align	8
	.type	_ZN7rocprim17ROCPRIM_400000_NS6detail17trampoline_kernelINS0_14default_configENS1_35radix_sort_onesweep_config_selectorIbNS0_10empty_typeEEEZZNS1_29radix_sort_onesweep_iterationIS3_Lb0EPKbPbPS5_SB_mNS0_19identity_decomposerENS1_16block_id_wrapperIjLb1EEEEE10hipError_tT1_PNSt15iterator_traitsISG_E10value_typeET2_T3_PNSH_ISM_E10value_typeET4_T5_PSR_SS_PNS1_23onesweep_lookback_stateEbbT6_jjT7_P12ihipStream_tbENKUlT_T0_SG_SL_E_clIS9_SA_SB_SB_EEDaSZ_S10_SG_SL_EUlSZ_E_NS1_11comp_targetILNS1_3genE9ELNS1_11target_archE1100ELNS1_3gpuE3ELNS1_3repE0EEENS1_47radix_sort_onesweep_sort_config_static_selectorELNS0_4arch9wavefront6targetE0EEEvSG_,@function
_ZN7rocprim17ROCPRIM_400000_NS6detail17trampoline_kernelINS0_14default_configENS1_35radix_sort_onesweep_config_selectorIbNS0_10empty_typeEEEZZNS1_29radix_sort_onesweep_iterationIS3_Lb0EPKbPbPS5_SB_mNS0_19identity_decomposerENS1_16block_id_wrapperIjLb1EEEEE10hipError_tT1_PNSt15iterator_traitsISG_E10value_typeET2_T3_PNSH_ISM_E10value_typeET4_T5_PSR_SS_PNS1_23onesweep_lookback_stateEbbT6_jjT7_P12ihipStream_tbENKUlT_T0_SG_SL_E_clIS9_SA_SB_SB_EEDaSZ_S10_SG_SL_EUlSZ_E_NS1_11comp_targetILNS1_3genE9ELNS1_11target_archE1100ELNS1_3gpuE3ELNS1_3repE0EEENS1_47radix_sort_onesweep_sort_config_static_selectorELNS0_4arch9wavefront6targetE0EEEvSG_: ; @_ZN7rocprim17ROCPRIM_400000_NS6detail17trampoline_kernelINS0_14default_configENS1_35radix_sort_onesweep_config_selectorIbNS0_10empty_typeEEEZZNS1_29radix_sort_onesweep_iterationIS3_Lb0EPKbPbPS5_SB_mNS0_19identity_decomposerENS1_16block_id_wrapperIjLb1EEEEE10hipError_tT1_PNSt15iterator_traitsISG_E10value_typeET2_T3_PNSH_ISM_E10value_typeET4_T5_PSR_SS_PNS1_23onesweep_lookback_stateEbbT6_jjT7_P12ihipStream_tbENKUlT_T0_SG_SL_E_clIS9_SA_SB_SB_EEDaSZ_S10_SG_SL_EUlSZ_E_NS1_11comp_targetILNS1_3genE9ELNS1_11target_archE1100ELNS1_3gpuE3ELNS1_3repE0EEENS1_47radix_sort_onesweep_sort_config_static_selectorELNS0_4arch9wavefront6targetE0EEEvSG_
; %bb.0:
	.section	.rodata,"a",@progbits
	.p2align	6, 0x0
	.amdhsa_kernel _ZN7rocprim17ROCPRIM_400000_NS6detail17trampoline_kernelINS0_14default_configENS1_35radix_sort_onesweep_config_selectorIbNS0_10empty_typeEEEZZNS1_29radix_sort_onesweep_iterationIS3_Lb0EPKbPbPS5_SB_mNS0_19identity_decomposerENS1_16block_id_wrapperIjLb1EEEEE10hipError_tT1_PNSt15iterator_traitsISG_E10value_typeET2_T3_PNSH_ISM_E10value_typeET4_T5_PSR_SS_PNS1_23onesweep_lookback_stateEbbT6_jjT7_P12ihipStream_tbENKUlT_T0_SG_SL_E_clIS9_SA_SB_SB_EEDaSZ_S10_SG_SL_EUlSZ_E_NS1_11comp_targetILNS1_3genE9ELNS1_11target_archE1100ELNS1_3gpuE3ELNS1_3repE0EEENS1_47radix_sort_onesweep_sort_config_static_selectorELNS0_4arch9wavefront6targetE0EEEvSG_
		.amdhsa_group_segment_fixed_size 0
		.amdhsa_private_segment_fixed_size 0
		.amdhsa_kernarg_size 88
		.amdhsa_user_sgpr_count 2
		.amdhsa_user_sgpr_dispatch_ptr 0
		.amdhsa_user_sgpr_queue_ptr 0
		.amdhsa_user_sgpr_kernarg_segment_ptr 1
		.amdhsa_user_sgpr_dispatch_id 0
		.amdhsa_user_sgpr_kernarg_preload_length 0
		.amdhsa_user_sgpr_kernarg_preload_offset 0
		.amdhsa_user_sgpr_private_segment_size 0
		.amdhsa_wavefront_size32 1
		.amdhsa_uses_dynamic_stack 0
		.amdhsa_enable_private_segment 0
		.amdhsa_system_sgpr_workgroup_id_x 1
		.amdhsa_system_sgpr_workgroup_id_y 0
		.amdhsa_system_sgpr_workgroup_id_z 0
		.amdhsa_system_sgpr_workgroup_info 0
		.amdhsa_system_vgpr_workitem_id 0
		.amdhsa_next_free_vgpr 1
		.amdhsa_next_free_sgpr 1
		.amdhsa_named_barrier_count 0
		.amdhsa_reserve_vcc 0
		.amdhsa_float_round_mode_32 0
		.amdhsa_float_round_mode_16_64 0
		.amdhsa_float_denorm_mode_32 3
		.amdhsa_float_denorm_mode_16_64 3
		.amdhsa_fp16_overflow 0
		.amdhsa_memory_ordered 1
		.amdhsa_forward_progress 1
		.amdhsa_inst_pref_size 0
		.amdhsa_round_robin_scheduling 0
		.amdhsa_exception_fp_ieee_invalid_op 0
		.amdhsa_exception_fp_denorm_src 0
		.amdhsa_exception_fp_ieee_div_zero 0
		.amdhsa_exception_fp_ieee_overflow 0
		.amdhsa_exception_fp_ieee_underflow 0
		.amdhsa_exception_fp_ieee_inexact 0
		.amdhsa_exception_int_div_zero 0
	.end_amdhsa_kernel
	.section	.text._ZN7rocprim17ROCPRIM_400000_NS6detail17trampoline_kernelINS0_14default_configENS1_35radix_sort_onesweep_config_selectorIbNS0_10empty_typeEEEZZNS1_29radix_sort_onesweep_iterationIS3_Lb0EPKbPbPS5_SB_mNS0_19identity_decomposerENS1_16block_id_wrapperIjLb1EEEEE10hipError_tT1_PNSt15iterator_traitsISG_E10value_typeET2_T3_PNSH_ISM_E10value_typeET4_T5_PSR_SS_PNS1_23onesweep_lookback_stateEbbT6_jjT7_P12ihipStream_tbENKUlT_T0_SG_SL_E_clIS9_SA_SB_SB_EEDaSZ_S10_SG_SL_EUlSZ_E_NS1_11comp_targetILNS1_3genE9ELNS1_11target_archE1100ELNS1_3gpuE3ELNS1_3repE0EEENS1_47radix_sort_onesweep_sort_config_static_selectorELNS0_4arch9wavefront6targetE0EEEvSG_,"axG",@progbits,_ZN7rocprim17ROCPRIM_400000_NS6detail17trampoline_kernelINS0_14default_configENS1_35radix_sort_onesweep_config_selectorIbNS0_10empty_typeEEEZZNS1_29radix_sort_onesweep_iterationIS3_Lb0EPKbPbPS5_SB_mNS0_19identity_decomposerENS1_16block_id_wrapperIjLb1EEEEE10hipError_tT1_PNSt15iterator_traitsISG_E10value_typeET2_T3_PNSH_ISM_E10value_typeET4_T5_PSR_SS_PNS1_23onesweep_lookback_stateEbbT6_jjT7_P12ihipStream_tbENKUlT_T0_SG_SL_E_clIS9_SA_SB_SB_EEDaSZ_S10_SG_SL_EUlSZ_E_NS1_11comp_targetILNS1_3genE9ELNS1_11target_archE1100ELNS1_3gpuE3ELNS1_3repE0EEENS1_47radix_sort_onesweep_sort_config_static_selectorELNS0_4arch9wavefront6targetE0EEEvSG_,comdat
.Lfunc_end1859:
	.size	_ZN7rocprim17ROCPRIM_400000_NS6detail17trampoline_kernelINS0_14default_configENS1_35radix_sort_onesweep_config_selectorIbNS0_10empty_typeEEEZZNS1_29radix_sort_onesweep_iterationIS3_Lb0EPKbPbPS5_SB_mNS0_19identity_decomposerENS1_16block_id_wrapperIjLb1EEEEE10hipError_tT1_PNSt15iterator_traitsISG_E10value_typeET2_T3_PNSH_ISM_E10value_typeET4_T5_PSR_SS_PNS1_23onesweep_lookback_stateEbbT6_jjT7_P12ihipStream_tbENKUlT_T0_SG_SL_E_clIS9_SA_SB_SB_EEDaSZ_S10_SG_SL_EUlSZ_E_NS1_11comp_targetILNS1_3genE9ELNS1_11target_archE1100ELNS1_3gpuE3ELNS1_3repE0EEENS1_47radix_sort_onesweep_sort_config_static_selectorELNS0_4arch9wavefront6targetE0EEEvSG_, .Lfunc_end1859-_ZN7rocprim17ROCPRIM_400000_NS6detail17trampoline_kernelINS0_14default_configENS1_35radix_sort_onesweep_config_selectorIbNS0_10empty_typeEEEZZNS1_29radix_sort_onesweep_iterationIS3_Lb0EPKbPbPS5_SB_mNS0_19identity_decomposerENS1_16block_id_wrapperIjLb1EEEEE10hipError_tT1_PNSt15iterator_traitsISG_E10value_typeET2_T3_PNSH_ISM_E10value_typeET4_T5_PSR_SS_PNS1_23onesweep_lookback_stateEbbT6_jjT7_P12ihipStream_tbENKUlT_T0_SG_SL_E_clIS9_SA_SB_SB_EEDaSZ_S10_SG_SL_EUlSZ_E_NS1_11comp_targetILNS1_3genE9ELNS1_11target_archE1100ELNS1_3gpuE3ELNS1_3repE0EEENS1_47radix_sort_onesweep_sort_config_static_selectorELNS0_4arch9wavefront6targetE0EEEvSG_
                                        ; -- End function
	.set _ZN7rocprim17ROCPRIM_400000_NS6detail17trampoline_kernelINS0_14default_configENS1_35radix_sort_onesweep_config_selectorIbNS0_10empty_typeEEEZZNS1_29radix_sort_onesweep_iterationIS3_Lb0EPKbPbPS5_SB_mNS0_19identity_decomposerENS1_16block_id_wrapperIjLb1EEEEE10hipError_tT1_PNSt15iterator_traitsISG_E10value_typeET2_T3_PNSH_ISM_E10value_typeET4_T5_PSR_SS_PNS1_23onesweep_lookback_stateEbbT6_jjT7_P12ihipStream_tbENKUlT_T0_SG_SL_E_clIS9_SA_SB_SB_EEDaSZ_S10_SG_SL_EUlSZ_E_NS1_11comp_targetILNS1_3genE9ELNS1_11target_archE1100ELNS1_3gpuE3ELNS1_3repE0EEENS1_47radix_sort_onesweep_sort_config_static_selectorELNS0_4arch9wavefront6targetE0EEEvSG_.num_vgpr, 0
	.set _ZN7rocprim17ROCPRIM_400000_NS6detail17trampoline_kernelINS0_14default_configENS1_35radix_sort_onesweep_config_selectorIbNS0_10empty_typeEEEZZNS1_29radix_sort_onesweep_iterationIS3_Lb0EPKbPbPS5_SB_mNS0_19identity_decomposerENS1_16block_id_wrapperIjLb1EEEEE10hipError_tT1_PNSt15iterator_traitsISG_E10value_typeET2_T3_PNSH_ISM_E10value_typeET4_T5_PSR_SS_PNS1_23onesweep_lookback_stateEbbT6_jjT7_P12ihipStream_tbENKUlT_T0_SG_SL_E_clIS9_SA_SB_SB_EEDaSZ_S10_SG_SL_EUlSZ_E_NS1_11comp_targetILNS1_3genE9ELNS1_11target_archE1100ELNS1_3gpuE3ELNS1_3repE0EEENS1_47radix_sort_onesweep_sort_config_static_selectorELNS0_4arch9wavefront6targetE0EEEvSG_.num_agpr, 0
	.set _ZN7rocprim17ROCPRIM_400000_NS6detail17trampoline_kernelINS0_14default_configENS1_35radix_sort_onesweep_config_selectorIbNS0_10empty_typeEEEZZNS1_29radix_sort_onesweep_iterationIS3_Lb0EPKbPbPS5_SB_mNS0_19identity_decomposerENS1_16block_id_wrapperIjLb1EEEEE10hipError_tT1_PNSt15iterator_traitsISG_E10value_typeET2_T3_PNSH_ISM_E10value_typeET4_T5_PSR_SS_PNS1_23onesweep_lookback_stateEbbT6_jjT7_P12ihipStream_tbENKUlT_T0_SG_SL_E_clIS9_SA_SB_SB_EEDaSZ_S10_SG_SL_EUlSZ_E_NS1_11comp_targetILNS1_3genE9ELNS1_11target_archE1100ELNS1_3gpuE3ELNS1_3repE0EEENS1_47radix_sort_onesweep_sort_config_static_selectorELNS0_4arch9wavefront6targetE0EEEvSG_.numbered_sgpr, 0
	.set _ZN7rocprim17ROCPRIM_400000_NS6detail17trampoline_kernelINS0_14default_configENS1_35radix_sort_onesweep_config_selectorIbNS0_10empty_typeEEEZZNS1_29radix_sort_onesweep_iterationIS3_Lb0EPKbPbPS5_SB_mNS0_19identity_decomposerENS1_16block_id_wrapperIjLb1EEEEE10hipError_tT1_PNSt15iterator_traitsISG_E10value_typeET2_T3_PNSH_ISM_E10value_typeET4_T5_PSR_SS_PNS1_23onesweep_lookback_stateEbbT6_jjT7_P12ihipStream_tbENKUlT_T0_SG_SL_E_clIS9_SA_SB_SB_EEDaSZ_S10_SG_SL_EUlSZ_E_NS1_11comp_targetILNS1_3genE9ELNS1_11target_archE1100ELNS1_3gpuE3ELNS1_3repE0EEENS1_47radix_sort_onesweep_sort_config_static_selectorELNS0_4arch9wavefront6targetE0EEEvSG_.num_named_barrier, 0
	.set _ZN7rocprim17ROCPRIM_400000_NS6detail17trampoline_kernelINS0_14default_configENS1_35radix_sort_onesweep_config_selectorIbNS0_10empty_typeEEEZZNS1_29radix_sort_onesweep_iterationIS3_Lb0EPKbPbPS5_SB_mNS0_19identity_decomposerENS1_16block_id_wrapperIjLb1EEEEE10hipError_tT1_PNSt15iterator_traitsISG_E10value_typeET2_T3_PNSH_ISM_E10value_typeET4_T5_PSR_SS_PNS1_23onesweep_lookback_stateEbbT6_jjT7_P12ihipStream_tbENKUlT_T0_SG_SL_E_clIS9_SA_SB_SB_EEDaSZ_S10_SG_SL_EUlSZ_E_NS1_11comp_targetILNS1_3genE9ELNS1_11target_archE1100ELNS1_3gpuE3ELNS1_3repE0EEENS1_47radix_sort_onesweep_sort_config_static_selectorELNS0_4arch9wavefront6targetE0EEEvSG_.private_seg_size, 0
	.set _ZN7rocprim17ROCPRIM_400000_NS6detail17trampoline_kernelINS0_14default_configENS1_35radix_sort_onesweep_config_selectorIbNS0_10empty_typeEEEZZNS1_29radix_sort_onesweep_iterationIS3_Lb0EPKbPbPS5_SB_mNS0_19identity_decomposerENS1_16block_id_wrapperIjLb1EEEEE10hipError_tT1_PNSt15iterator_traitsISG_E10value_typeET2_T3_PNSH_ISM_E10value_typeET4_T5_PSR_SS_PNS1_23onesweep_lookback_stateEbbT6_jjT7_P12ihipStream_tbENKUlT_T0_SG_SL_E_clIS9_SA_SB_SB_EEDaSZ_S10_SG_SL_EUlSZ_E_NS1_11comp_targetILNS1_3genE9ELNS1_11target_archE1100ELNS1_3gpuE3ELNS1_3repE0EEENS1_47radix_sort_onesweep_sort_config_static_selectorELNS0_4arch9wavefront6targetE0EEEvSG_.uses_vcc, 0
	.set _ZN7rocprim17ROCPRIM_400000_NS6detail17trampoline_kernelINS0_14default_configENS1_35radix_sort_onesweep_config_selectorIbNS0_10empty_typeEEEZZNS1_29radix_sort_onesweep_iterationIS3_Lb0EPKbPbPS5_SB_mNS0_19identity_decomposerENS1_16block_id_wrapperIjLb1EEEEE10hipError_tT1_PNSt15iterator_traitsISG_E10value_typeET2_T3_PNSH_ISM_E10value_typeET4_T5_PSR_SS_PNS1_23onesweep_lookback_stateEbbT6_jjT7_P12ihipStream_tbENKUlT_T0_SG_SL_E_clIS9_SA_SB_SB_EEDaSZ_S10_SG_SL_EUlSZ_E_NS1_11comp_targetILNS1_3genE9ELNS1_11target_archE1100ELNS1_3gpuE3ELNS1_3repE0EEENS1_47radix_sort_onesweep_sort_config_static_selectorELNS0_4arch9wavefront6targetE0EEEvSG_.uses_flat_scratch, 0
	.set _ZN7rocprim17ROCPRIM_400000_NS6detail17trampoline_kernelINS0_14default_configENS1_35radix_sort_onesweep_config_selectorIbNS0_10empty_typeEEEZZNS1_29radix_sort_onesweep_iterationIS3_Lb0EPKbPbPS5_SB_mNS0_19identity_decomposerENS1_16block_id_wrapperIjLb1EEEEE10hipError_tT1_PNSt15iterator_traitsISG_E10value_typeET2_T3_PNSH_ISM_E10value_typeET4_T5_PSR_SS_PNS1_23onesweep_lookback_stateEbbT6_jjT7_P12ihipStream_tbENKUlT_T0_SG_SL_E_clIS9_SA_SB_SB_EEDaSZ_S10_SG_SL_EUlSZ_E_NS1_11comp_targetILNS1_3genE9ELNS1_11target_archE1100ELNS1_3gpuE3ELNS1_3repE0EEENS1_47radix_sort_onesweep_sort_config_static_selectorELNS0_4arch9wavefront6targetE0EEEvSG_.has_dyn_sized_stack, 0
	.set _ZN7rocprim17ROCPRIM_400000_NS6detail17trampoline_kernelINS0_14default_configENS1_35radix_sort_onesweep_config_selectorIbNS0_10empty_typeEEEZZNS1_29radix_sort_onesweep_iterationIS3_Lb0EPKbPbPS5_SB_mNS0_19identity_decomposerENS1_16block_id_wrapperIjLb1EEEEE10hipError_tT1_PNSt15iterator_traitsISG_E10value_typeET2_T3_PNSH_ISM_E10value_typeET4_T5_PSR_SS_PNS1_23onesweep_lookback_stateEbbT6_jjT7_P12ihipStream_tbENKUlT_T0_SG_SL_E_clIS9_SA_SB_SB_EEDaSZ_S10_SG_SL_EUlSZ_E_NS1_11comp_targetILNS1_3genE9ELNS1_11target_archE1100ELNS1_3gpuE3ELNS1_3repE0EEENS1_47radix_sort_onesweep_sort_config_static_selectorELNS0_4arch9wavefront6targetE0EEEvSG_.has_recursion, 0
	.set _ZN7rocprim17ROCPRIM_400000_NS6detail17trampoline_kernelINS0_14default_configENS1_35radix_sort_onesweep_config_selectorIbNS0_10empty_typeEEEZZNS1_29radix_sort_onesweep_iterationIS3_Lb0EPKbPbPS5_SB_mNS0_19identity_decomposerENS1_16block_id_wrapperIjLb1EEEEE10hipError_tT1_PNSt15iterator_traitsISG_E10value_typeET2_T3_PNSH_ISM_E10value_typeET4_T5_PSR_SS_PNS1_23onesweep_lookback_stateEbbT6_jjT7_P12ihipStream_tbENKUlT_T0_SG_SL_E_clIS9_SA_SB_SB_EEDaSZ_S10_SG_SL_EUlSZ_E_NS1_11comp_targetILNS1_3genE9ELNS1_11target_archE1100ELNS1_3gpuE3ELNS1_3repE0EEENS1_47radix_sort_onesweep_sort_config_static_selectorELNS0_4arch9wavefront6targetE0EEEvSG_.has_indirect_call, 0
	.section	.AMDGPU.csdata,"",@progbits
; Kernel info:
; codeLenInByte = 0
; TotalNumSgprs: 0
; NumVgprs: 0
; ScratchSize: 0
; MemoryBound: 0
; FloatMode: 240
; IeeeMode: 1
; LDSByteSize: 0 bytes/workgroup (compile time only)
; SGPRBlocks: 0
; VGPRBlocks: 0
; NumSGPRsForWavesPerEU: 1
; NumVGPRsForWavesPerEU: 1
; NamedBarCnt: 0
; Occupancy: 16
; WaveLimiterHint : 0
; COMPUTE_PGM_RSRC2:SCRATCH_EN: 0
; COMPUTE_PGM_RSRC2:USER_SGPR: 2
; COMPUTE_PGM_RSRC2:TRAP_HANDLER: 0
; COMPUTE_PGM_RSRC2:TGID_X_EN: 1
; COMPUTE_PGM_RSRC2:TGID_Y_EN: 0
; COMPUTE_PGM_RSRC2:TGID_Z_EN: 0
; COMPUTE_PGM_RSRC2:TIDIG_COMP_CNT: 0
	.section	.text._ZN7rocprim17ROCPRIM_400000_NS6detail17trampoline_kernelINS0_14default_configENS1_35radix_sort_onesweep_config_selectorIbNS0_10empty_typeEEEZZNS1_29radix_sort_onesweep_iterationIS3_Lb0EPKbPbPS5_SB_mNS0_19identity_decomposerENS1_16block_id_wrapperIjLb1EEEEE10hipError_tT1_PNSt15iterator_traitsISG_E10value_typeET2_T3_PNSH_ISM_E10value_typeET4_T5_PSR_SS_PNS1_23onesweep_lookback_stateEbbT6_jjT7_P12ihipStream_tbENKUlT_T0_SG_SL_E_clIS9_SA_SB_SB_EEDaSZ_S10_SG_SL_EUlSZ_E_NS1_11comp_targetILNS1_3genE8ELNS1_11target_archE1030ELNS1_3gpuE2ELNS1_3repE0EEENS1_47radix_sort_onesweep_sort_config_static_selectorELNS0_4arch9wavefront6targetE0EEEvSG_,"axG",@progbits,_ZN7rocprim17ROCPRIM_400000_NS6detail17trampoline_kernelINS0_14default_configENS1_35radix_sort_onesweep_config_selectorIbNS0_10empty_typeEEEZZNS1_29radix_sort_onesweep_iterationIS3_Lb0EPKbPbPS5_SB_mNS0_19identity_decomposerENS1_16block_id_wrapperIjLb1EEEEE10hipError_tT1_PNSt15iterator_traitsISG_E10value_typeET2_T3_PNSH_ISM_E10value_typeET4_T5_PSR_SS_PNS1_23onesweep_lookback_stateEbbT6_jjT7_P12ihipStream_tbENKUlT_T0_SG_SL_E_clIS9_SA_SB_SB_EEDaSZ_S10_SG_SL_EUlSZ_E_NS1_11comp_targetILNS1_3genE8ELNS1_11target_archE1030ELNS1_3gpuE2ELNS1_3repE0EEENS1_47radix_sort_onesweep_sort_config_static_selectorELNS0_4arch9wavefront6targetE0EEEvSG_,comdat
	.protected	_ZN7rocprim17ROCPRIM_400000_NS6detail17trampoline_kernelINS0_14default_configENS1_35radix_sort_onesweep_config_selectorIbNS0_10empty_typeEEEZZNS1_29radix_sort_onesweep_iterationIS3_Lb0EPKbPbPS5_SB_mNS0_19identity_decomposerENS1_16block_id_wrapperIjLb1EEEEE10hipError_tT1_PNSt15iterator_traitsISG_E10value_typeET2_T3_PNSH_ISM_E10value_typeET4_T5_PSR_SS_PNS1_23onesweep_lookback_stateEbbT6_jjT7_P12ihipStream_tbENKUlT_T0_SG_SL_E_clIS9_SA_SB_SB_EEDaSZ_S10_SG_SL_EUlSZ_E_NS1_11comp_targetILNS1_3genE8ELNS1_11target_archE1030ELNS1_3gpuE2ELNS1_3repE0EEENS1_47radix_sort_onesweep_sort_config_static_selectorELNS0_4arch9wavefront6targetE0EEEvSG_ ; -- Begin function _ZN7rocprim17ROCPRIM_400000_NS6detail17trampoline_kernelINS0_14default_configENS1_35radix_sort_onesweep_config_selectorIbNS0_10empty_typeEEEZZNS1_29radix_sort_onesweep_iterationIS3_Lb0EPKbPbPS5_SB_mNS0_19identity_decomposerENS1_16block_id_wrapperIjLb1EEEEE10hipError_tT1_PNSt15iterator_traitsISG_E10value_typeET2_T3_PNSH_ISM_E10value_typeET4_T5_PSR_SS_PNS1_23onesweep_lookback_stateEbbT6_jjT7_P12ihipStream_tbENKUlT_T0_SG_SL_E_clIS9_SA_SB_SB_EEDaSZ_S10_SG_SL_EUlSZ_E_NS1_11comp_targetILNS1_3genE8ELNS1_11target_archE1030ELNS1_3gpuE2ELNS1_3repE0EEENS1_47radix_sort_onesweep_sort_config_static_selectorELNS0_4arch9wavefront6targetE0EEEvSG_
	.globl	_ZN7rocprim17ROCPRIM_400000_NS6detail17trampoline_kernelINS0_14default_configENS1_35radix_sort_onesweep_config_selectorIbNS0_10empty_typeEEEZZNS1_29radix_sort_onesweep_iterationIS3_Lb0EPKbPbPS5_SB_mNS0_19identity_decomposerENS1_16block_id_wrapperIjLb1EEEEE10hipError_tT1_PNSt15iterator_traitsISG_E10value_typeET2_T3_PNSH_ISM_E10value_typeET4_T5_PSR_SS_PNS1_23onesweep_lookback_stateEbbT6_jjT7_P12ihipStream_tbENKUlT_T0_SG_SL_E_clIS9_SA_SB_SB_EEDaSZ_S10_SG_SL_EUlSZ_E_NS1_11comp_targetILNS1_3genE8ELNS1_11target_archE1030ELNS1_3gpuE2ELNS1_3repE0EEENS1_47radix_sort_onesweep_sort_config_static_selectorELNS0_4arch9wavefront6targetE0EEEvSG_
	.p2align	8
	.type	_ZN7rocprim17ROCPRIM_400000_NS6detail17trampoline_kernelINS0_14default_configENS1_35radix_sort_onesweep_config_selectorIbNS0_10empty_typeEEEZZNS1_29radix_sort_onesweep_iterationIS3_Lb0EPKbPbPS5_SB_mNS0_19identity_decomposerENS1_16block_id_wrapperIjLb1EEEEE10hipError_tT1_PNSt15iterator_traitsISG_E10value_typeET2_T3_PNSH_ISM_E10value_typeET4_T5_PSR_SS_PNS1_23onesweep_lookback_stateEbbT6_jjT7_P12ihipStream_tbENKUlT_T0_SG_SL_E_clIS9_SA_SB_SB_EEDaSZ_S10_SG_SL_EUlSZ_E_NS1_11comp_targetILNS1_3genE8ELNS1_11target_archE1030ELNS1_3gpuE2ELNS1_3repE0EEENS1_47radix_sort_onesweep_sort_config_static_selectorELNS0_4arch9wavefront6targetE0EEEvSG_,@function
_ZN7rocprim17ROCPRIM_400000_NS6detail17trampoline_kernelINS0_14default_configENS1_35radix_sort_onesweep_config_selectorIbNS0_10empty_typeEEEZZNS1_29radix_sort_onesweep_iterationIS3_Lb0EPKbPbPS5_SB_mNS0_19identity_decomposerENS1_16block_id_wrapperIjLb1EEEEE10hipError_tT1_PNSt15iterator_traitsISG_E10value_typeET2_T3_PNSH_ISM_E10value_typeET4_T5_PSR_SS_PNS1_23onesweep_lookback_stateEbbT6_jjT7_P12ihipStream_tbENKUlT_T0_SG_SL_E_clIS9_SA_SB_SB_EEDaSZ_S10_SG_SL_EUlSZ_E_NS1_11comp_targetILNS1_3genE8ELNS1_11target_archE1030ELNS1_3gpuE2ELNS1_3repE0EEENS1_47radix_sort_onesweep_sort_config_static_selectorELNS0_4arch9wavefront6targetE0EEEvSG_: ; @_ZN7rocprim17ROCPRIM_400000_NS6detail17trampoline_kernelINS0_14default_configENS1_35radix_sort_onesweep_config_selectorIbNS0_10empty_typeEEEZZNS1_29radix_sort_onesweep_iterationIS3_Lb0EPKbPbPS5_SB_mNS0_19identity_decomposerENS1_16block_id_wrapperIjLb1EEEEE10hipError_tT1_PNSt15iterator_traitsISG_E10value_typeET2_T3_PNSH_ISM_E10value_typeET4_T5_PSR_SS_PNS1_23onesweep_lookback_stateEbbT6_jjT7_P12ihipStream_tbENKUlT_T0_SG_SL_E_clIS9_SA_SB_SB_EEDaSZ_S10_SG_SL_EUlSZ_E_NS1_11comp_targetILNS1_3genE8ELNS1_11target_archE1030ELNS1_3gpuE2ELNS1_3repE0EEENS1_47radix_sort_onesweep_sort_config_static_selectorELNS0_4arch9wavefront6targetE0EEEvSG_
; %bb.0:
	.section	.rodata,"a",@progbits
	.p2align	6, 0x0
	.amdhsa_kernel _ZN7rocprim17ROCPRIM_400000_NS6detail17trampoline_kernelINS0_14default_configENS1_35radix_sort_onesweep_config_selectorIbNS0_10empty_typeEEEZZNS1_29radix_sort_onesweep_iterationIS3_Lb0EPKbPbPS5_SB_mNS0_19identity_decomposerENS1_16block_id_wrapperIjLb1EEEEE10hipError_tT1_PNSt15iterator_traitsISG_E10value_typeET2_T3_PNSH_ISM_E10value_typeET4_T5_PSR_SS_PNS1_23onesweep_lookback_stateEbbT6_jjT7_P12ihipStream_tbENKUlT_T0_SG_SL_E_clIS9_SA_SB_SB_EEDaSZ_S10_SG_SL_EUlSZ_E_NS1_11comp_targetILNS1_3genE8ELNS1_11target_archE1030ELNS1_3gpuE2ELNS1_3repE0EEENS1_47radix_sort_onesweep_sort_config_static_selectorELNS0_4arch9wavefront6targetE0EEEvSG_
		.amdhsa_group_segment_fixed_size 0
		.amdhsa_private_segment_fixed_size 0
		.amdhsa_kernarg_size 88
		.amdhsa_user_sgpr_count 2
		.amdhsa_user_sgpr_dispatch_ptr 0
		.amdhsa_user_sgpr_queue_ptr 0
		.amdhsa_user_sgpr_kernarg_segment_ptr 1
		.amdhsa_user_sgpr_dispatch_id 0
		.amdhsa_user_sgpr_kernarg_preload_length 0
		.amdhsa_user_sgpr_kernarg_preload_offset 0
		.amdhsa_user_sgpr_private_segment_size 0
		.amdhsa_wavefront_size32 1
		.amdhsa_uses_dynamic_stack 0
		.amdhsa_enable_private_segment 0
		.amdhsa_system_sgpr_workgroup_id_x 1
		.amdhsa_system_sgpr_workgroup_id_y 0
		.amdhsa_system_sgpr_workgroup_id_z 0
		.amdhsa_system_sgpr_workgroup_info 0
		.amdhsa_system_vgpr_workitem_id 0
		.amdhsa_next_free_vgpr 1
		.amdhsa_next_free_sgpr 1
		.amdhsa_named_barrier_count 0
		.amdhsa_reserve_vcc 0
		.amdhsa_float_round_mode_32 0
		.amdhsa_float_round_mode_16_64 0
		.amdhsa_float_denorm_mode_32 3
		.amdhsa_float_denorm_mode_16_64 3
		.amdhsa_fp16_overflow 0
		.amdhsa_memory_ordered 1
		.amdhsa_forward_progress 1
		.amdhsa_inst_pref_size 0
		.amdhsa_round_robin_scheduling 0
		.amdhsa_exception_fp_ieee_invalid_op 0
		.amdhsa_exception_fp_denorm_src 0
		.amdhsa_exception_fp_ieee_div_zero 0
		.amdhsa_exception_fp_ieee_overflow 0
		.amdhsa_exception_fp_ieee_underflow 0
		.amdhsa_exception_fp_ieee_inexact 0
		.amdhsa_exception_int_div_zero 0
	.end_amdhsa_kernel
	.section	.text._ZN7rocprim17ROCPRIM_400000_NS6detail17trampoline_kernelINS0_14default_configENS1_35radix_sort_onesweep_config_selectorIbNS0_10empty_typeEEEZZNS1_29radix_sort_onesweep_iterationIS3_Lb0EPKbPbPS5_SB_mNS0_19identity_decomposerENS1_16block_id_wrapperIjLb1EEEEE10hipError_tT1_PNSt15iterator_traitsISG_E10value_typeET2_T3_PNSH_ISM_E10value_typeET4_T5_PSR_SS_PNS1_23onesweep_lookback_stateEbbT6_jjT7_P12ihipStream_tbENKUlT_T0_SG_SL_E_clIS9_SA_SB_SB_EEDaSZ_S10_SG_SL_EUlSZ_E_NS1_11comp_targetILNS1_3genE8ELNS1_11target_archE1030ELNS1_3gpuE2ELNS1_3repE0EEENS1_47radix_sort_onesweep_sort_config_static_selectorELNS0_4arch9wavefront6targetE0EEEvSG_,"axG",@progbits,_ZN7rocprim17ROCPRIM_400000_NS6detail17trampoline_kernelINS0_14default_configENS1_35radix_sort_onesweep_config_selectorIbNS0_10empty_typeEEEZZNS1_29radix_sort_onesweep_iterationIS3_Lb0EPKbPbPS5_SB_mNS0_19identity_decomposerENS1_16block_id_wrapperIjLb1EEEEE10hipError_tT1_PNSt15iterator_traitsISG_E10value_typeET2_T3_PNSH_ISM_E10value_typeET4_T5_PSR_SS_PNS1_23onesweep_lookback_stateEbbT6_jjT7_P12ihipStream_tbENKUlT_T0_SG_SL_E_clIS9_SA_SB_SB_EEDaSZ_S10_SG_SL_EUlSZ_E_NS1_11comp_targetILNS1_3genE8ELNS1_11target_archE1030ELNS1_3gpuE2ELNS1_3repE0EEENS1_47radix_sort_onesweep_sort_config_static_selectorELNS0_4arch9wavefront6targetE0EEEvSG_,comdat
.Lfunc_end1860:
	.size	_ZN7rocprim17ROCPRIM_400000_NS6detail17trampoline_kernelINS0_14default_configENS1_35radix_sort_onesweep_config_selectorIbNS0_10empty_typeEEEZZNS1_29radix_sort_onesweep_iterationIS3_Lb0EPKbPbPS5_SB_mNS0_19identity_decomposerENS1_16block_id_wrapperIjLb1EEEEE10hipError_tT1_PNSt15iterator_traitsISG_E10value_typeET2_T3_PNSH_ISM_E10value_typeET4_T5_PSR_SS_PNS1_23onesweep_lookback_stateEbbT6_jjT7_P12ihipStream_tbENKUlT_T0_SG_SL_E_clIS9_SA_SB_SB_EEDaSZ_S10_SG_SL_EUlSZ_E_NS1_11comp_targetILNS1_3genE8ELNS1_11target_archE1030ELNS1_3gpuE2ELNS1_3repE0EEENS1_47radix_sort_onesweep_sort_config_static_selectorELNS0_4arch9wavefront6targetE0EEEvSG_, .Lfunc_end1860-_ZN7rocprim17ROCPRIM_400000_NS6detail17trampoline_kernelINS0_14default_configENS1_35radix_sort_onesweep_config_selectorIbNS0_10empty_typeEEEZZNS1_29radix_sort_onesweep_iterationIS3_Lb0EPKbPbPS5_SB_mNS0_19identity_decomposerENS1_16block_id_wrapperIjLb1EEEEE10hipError_tT1_PNSt15iterator_traitsISG_E10value_typeET2_T3_PNSH_ISM_E10value_typeET4_T5_PSR_SS_PNS1_23onesweep_lookback_stateEbbT6_jjT7_P12ihipStream_tbENKUlT_T0_SG_SL_E_clIS9_SA_SB_SB_EEDaSZ_S10_SG_SL_EUlSZ_E_NS1_11comp_targetILNS1_3genE8ELNS1_11target_archE1030ELNS1_3gpuE2ELNS1_3repE0EEENS1_47radix_sort_onesweep_sort_config_static_selectorELNS0_4arch9wavefront6targetE0EEEvSG_
                                        ; -- End function
	.set _ZN7rocprim17ROCPRIM_400000_NS6detail17trampoline_kernelINS0_14default_configENS1_35radix_sort_onesweep_config_selectorIbNS0_10empty_typeEEEZZNS1_29radix_sort_onesweep_iterationIS3_Lb0EPKbPbPS5_SB_mNS0_19identity_decomposerENS1_16block_id_wrapperIjLb1EEEEE10hipError_tT1_PNSt15iterator_traitsISG_E10value_typeET2_T3_PNSH_ISM_E10value_typeET4_T5_PSR_SS_PNS1_23onesweep_lookback_stateEbbT6_jjT7_P12ihipStream_tbENKUlT_T0_SG_SL_E_clIS9_SA_SB_SB_EEDaSZ_S10_SG_SL_EUlSZ_E_NS1_11comp_targetILNS1_3genE8ELNS1_11target_archE1030ELNS1_3gpuE2ELNS1_3repE0EEENS1_47radix_sort_onesweep_sort_config_static_selectorELNS0_4arch9wavefront6targetE0EEEvSG_.num_vgpr, 0
	.set _ZN7rocprim17ROCPRIM_400000_NS6detail17trampoline_kernelINS0_14default_configENS1_35radix_sort_onesweep_config_selectorIbNS0_10empty_typeEEEZZNS1_29radix_sort_onesweep_iterationIS3_Lb0EPKbPbPS5_SB_mNS0_19identity_decomposerENS1_16block_id_wrapperIjLb1EEEEE10hipError_tT1_PNSt15iterator_traitsISG_E10value_typeET2_T3_PNSH_ISM_E10value_typeET4_T5_PSR_SS_PNS1_23onesweep_lookback_stateEbbT6_jjT7_P12ihipStream_tbENKUlT_T0_SG_SL_E_clIS9_SA_SB_SB_EEDaSZ_S10_SG_SL_EUlSZ_E_NS1_11comp_targetILNS1_3genE8ELNS1_11target_archE1030ELNS1_3gpuE2ELNS1_3repE0EEENS1_47radix_sort_onesweep_sort_config_static_selectorELNS0_4arch9wavefront6targetE0EEEvSG_.num_agpr, 0
	.set _ZN7rocprim17ROCPRIM_400000_NS6detail17trampoline_kernelINS0_14default_configENS1_35radix_sort_onesweep_config_selectorIbNS0_10empty_typeEEEZZNS1_29radix_sort_onesweep_iterationIS3_Lb0EPKbPbPS5_SB_mNS0_19identity_decomposerENS1_16block_id_wrapperIjLb1EEEEE10hipError_tT1_PNSt15iterator_traitsISG_E10value_typeET2_T3_PNSH_ISM_E10value_typeET4_T5_PSR_SS_PNS1_23onesweep_lookback_stateEbbT6_jjT7_P12ihipStream_tbENKUlT_T0_SG_SL_E_clIS9_SA_SB_SB_EEDaSZ_S10_SG_SL_EUlSZ_E_NS1_11comp_targetILNS1_3genE8ELNS1_11target_archE1030ELNS1_3gpuE2ELNS1_3repE0EEENS1_47radix_sort_onesweep_sort_config_static_selectorELNS0_4arch9wavefront6targetE0EEEvSG_.numbered_sgpr, 0
	.set _ZN7rocprim17ROCPRIM_400000_NS6detail17trampoline_kernelINS0_14default_configENS1_35radix_sort_onesweep_config_selectorIbNS0_10empty_typeEEEZZNS1_29radix_sort_onesweep_iterationIS3_Lb0EPKbPbPS5_SB_mNS0_19identity_decomposerENS1_16block_id_wrapperIjLb1EEEEE10hipError_tT1_PNSt15iterator_traitsISG_E10value_typeET2_T3_PNSH_ISM_E10value_typeET4_T5_PSR_SS_PNS1_23onesweep_lookback_stateEbbT6_jjT7_P12ihipStream_tbENKUlT_T0_SG_SL_E_clIS9_SA_SB_SB_EEDaSZ_S10_SG_SL_EUlSZ_E_NS1_11comp_targetILNS1_3genE8ELNS1_11target_archE1030ELNS1_3gpuE2ELNS1_3repE0EEENS1_47radix_sort_onesweep_sort_config_static_selectorELNS0_4arch9wavefront6targetE0EEEvSG_.num_named_barrier, 0
	.set _ZN7rocprim17ROCPRIM_400000_NS6detail17trampoline_kernelINS0_14default_configENS1_35radix_sort_onesweep_config_selectorIbNS0_10empty_typeEEEZZNS1_29radix_sort_onesweep_iterationIS3_Lb0EPKbPbPS5_SB_mNS0_19identity_decomposerENS1_16block_id_wrapperIjLb1EEEEE10hipError_tT1_PNSt15iterator_traitsISG_E10value_typeET2_T3_PNSH_ISM_E10value_typeET4_T5_PSR_SS_PNS1_23onesweep_lookback_stateEbbT6_jjT7_P12ihipStream_tbENKUlT_T0_SG_SL_E_clIS9_SA_SB_SB_EEDaSZ_S10_SG_SL_EUlSZ_E_NS1_11comp_targetILNS1_3genE8ELNS1_11target_archE1030ELNS1_3gpuE2ELNS1_3repE0EEENS1_47radix_sort_onesweep_sort_config_static_selectorELNS0_4arch9wavefront6targetE0EEEvSG_.private_seg_size, 0
	.set _ZN7rocprim17ROCPRIM_400000_NS6detail17trampoline_kernelINS0_14default_configENS1_35radix_sort_onesweep_config_selectorIbNS0_10empty_typeEEEZZNS1_29radix_sort_onesweep_iterationIS3_Lb0EPKbPbPS5_SB_mNS0_19identity_decomposerENS1_16block_id_wrapperIjLb1EEEEE10hipError_tT1_PNSt15iterator_traitsISG_E10value_typeET2_T3_PNSH_ISM_E10value_typeET4_T5_PSR_SS_PNS1_23onesweep_lookback_stateEbbT6_jjT7_P12ihipStream_tbENKUlT_T0_SG_SL_E_clIS9_SA_SB_SB_EEDaSZ_S10_SG_SL_EUlSZ_E_NS1_11comp_targetILNS1_3genE8ELNS1_11target_archE1030ELNS1_3gpuE2ELNS1_3repE0EEENS1_47radix_sort_onesweep_sort_config_static_selectorELNS0_4arch9wavefront6targetE0EEEvSG_.uses_vcc, 0
	.set _ZN7rocprim17ROCPRIM_400000_NS6detail17trampoline_kernelINS0_14default_configENS1_35radix_sort_onesweep_config_selectorIbNS0_10empty_typeEEEZZNS1_29radix_sort_onesweep_iterationIS3_Lb0EPKbPbPS5_SB_mNS0_19identity_decomposerENS1_16block_id_wrapperIjLb1EEEEE10hipError_tT1_PNSt15iterator_traitsISG_E10value_typeET2_T3_PNSH_ISM_E10value_typeET4_T5_PSR_SS_PNS1_23onesweep_lookback_stateEbbT6_jjT7_P12ihipStream_tbENKUlT_T0_SG_SL_E_clIS9_SA_SB_SB_EEDaSZ_S10_SG_SL_EUlSZ_E_NS1_11comp_targetILNS1_3genE8ELNS1_11target_archE1030ELNS1_3gpuE2ELNS1_3repE0EEENS1_47radix_sort_onesweep_sort_config_static_selectorELNS0_4arch9wavefront6targetE0EEEvSG_.uses_flat_scratch, 0
	.set _ZN7rocprim17ROCPRIM_400000_NS6detail17trampoline_kernelINS0_14default_configENS1_35radix_sort_onesweep_config_selectorIbNS0_10empty_typeEEEZZNS1_29radix_sort_onesweep_iterationIS3_Lb0EPKbPbPS5_SB_mNS0_19identity_decomposerENS1_16block_id_wrapperIjLb1EEEEE10hipError_tT1_PNSt15iterator_traitsISG_E10value_typeET2_T3_PNSH_ISM_E10value_typeET4_T5_PSR_SS_PNS1_23onesweep_lookback_stateEbbT6_jjT7_P12ihipStream_tbENKUlT_T0_SG_SL_E_clIS9_SA_SB_SB_EEDaSZ_S10_SG_SL_EUlSZ_E_NS1_11comp_targetILNS1_3genE8ELNS1_11target_archE1030ELNS1_3gpuE2ELNS1_3repE0EEENS1_47radix_sort_onesweep_sort_config_static_selectorELNS0_4arch9wavefront6targetE0EEEvSG_.has_dyn_sized_stack, 0
	.set _ZN7rocprim17ROCPRIM_400000_NS6detail17trampoline_kernelINS0_14default_configENS1_35radix_sort_onesweep_config_selectorIbNS0_10empty_typeEEEZZNS1_29radix_sort_onesweep_iterationIS3_Lb0EPKbPbPS5_SB_mNS0_19identity_decomposerENS1_16block_id_wrapperIjLb1EEEEE10hipError_tT1_PNSt15iterator_traitsISG_E10value_typeET2_T3_PNSH_ISM_E10value_typeET4_T5_PSR_SS_PNS1_23onesweep_lookback_stateEbbT6_jjT7_P12ihipStream_tbENKUlT_T0_SG_SL_E_clIS9_SA_SB_SB_EEDaSZ_S10_SG_SL_EUlSZ_E_NS1_11comp_targetILNS1_3genE8ELNS1_11target_archE1030ELNS1_3gpuE2ELNS1_3repE0EEENS1_47radix_sort_onesweep_sort_config_static_selectorELNS0_4arch9wavefront6targetE0EEEvSG_.has_recursion, 0
	.set _ZN7rocprim17ROCPRIM_400000_NS6detail17trampoline_kernelINS0_14default_configENS1_35radix_sort_onesweep_config_selectorIbNS0_10empty_typeEEEZZNS1_29radix_sort_onesweep_iterationIS3_Lb0EPKbPbPS5_SB_mNS0_19identity_decomposerENS1_16block_id_wrapperIjLb1EEEEE10hipError_tT1_PNSt15iterator_traitsISG_E10value_typeET2_T3_PNSH_ISM_E10value_typeET4_T5_PSR_SS_PNS1_23onesweep_lookback_stateEbbT6_jjT7_P12ihipStream_tbENKUlT_T0_SG_SL_E_clIS9_SA_SB_SB_EEDaSZ_S10_SG_SL_EUlSZ_E_NS1_11comp_targetILNS1_3genE8ELNS1_11target_archE1030ELNS1_3gpuE2ELNS1_3repE0EEENS1_47radix_sort_onesweep_sort_config_static_selectorELNS0_4arch9wavefront6targetE0EEEvSG_.has_indirect_call, 0
	.section	.AMDGPU.csdata,"",@progbits
; Kernel info:
; codeLenInByte = 0
; TotalNumSgprs: 0
; NumVgprs: 0
; ScratchSize: 0
; MemoryBound: 0
; FloatMode: 240
; IeeeMode: 1
; LDSByteSize: 0 bytes/workgroup (compile time only)
; SGPRBlocks: 0
; VGPRBlocks: 0
; NumSGPRsForWavesPerEU: 1
; NumVGPRsForWavesPerEU: 1
; NamedBarCnt: 0
; Occupancy: 16
; WaveLimiterHint : 0
; COMPUTE_PGM_RSRC2:SCRATCH_EN: 0
; COMPUTE_PGM_RSRC2:USER_SGPR: 2
; COMPUTE_PGM_RSRC2:TRAP_HANDLER: 0
; COMPUTE_PGM_RSRC2:TGID_X_EN: 1
; COMPUTE_PGM_RSRC2:TGID_Y_EN: 0
; COMPUTE_PGM_RSRC2:TGID_Z_EN: 0
; COMPUTE_PGM_RSRC2:TIDIG_COMP_CNT: 0
	.section	.text._ZN7rocprim17ROCPRIM_400000_NS6detail17trampoline_kernelINS0_14default_configENS1_35radix_sort_onesweep_config_selectorIbNS0_10empty_typeEEEZZNS1_29radix_sort_onesweep_iterationIS3_Lb0EPKbPbPS5_SB_mNS0_19identity_decomposerENS1_16block_id_wrapperIjLb1EEEEE10hipError_tT1_PNSt15iterator_traitsISG_E10value_typeET2_T3_PNSH_ISM_E10value_typeET4_T5_PSR_SS_PNS1_23onesweep_lookback_stateEbbT6_jjT7_P12ihipStream_tbENKUlT_T0_SG_SL_E_clISA_SA_SB_SB_EEDaSZ_S10_SG_SL_EUlSZ_E_NS1_11comp_targetILNS1_3genE0ELNS1_11target_archE4294967295ELNS1_3gpuE0ELNS1_3repE0EEENS1_47radix_sort_onesweep_sort_config_static_selectorELNS0_4arch9wavefront6targetE0EEEvSG_,"axG",@progbits,_ZN7rocprim17ROCPRIM_400000_NS6detail17trampoline_kernelINS0_14default_configENS1_35radix_sort_onesweep_config_selectorIbNS0_10empty_typeEEEZZNS1_29radix_sort_onesweep_iterationIS3_Lb0EPKbPbPS5_SB_mNS0_19identity_decomposerENS1_16block_id_wrapperIjLb1EEEEE10hipError_tT1_PNSt15iterator_traitsISG_E10value_typeET2_T3_PNSH_ISM_E10value_typeET4_T5_PSR_SS_PNS1_23onesweep_lookback_stateEbbT6_jjT7_P12ihipStream_tbENKUlT_T0_SG_SL_E_clISA_SA_SB_SB_EEDaSZ_S10_SG_SL_EUlSZ_E_NS1_11comp_targetILNS1_3genE0ELNS1_11target_archE4294967295ELNS1_3gpuE0ELNS1_3repE0EEENS1_47radix_sort_onesweep_sort_config_static_selectorELNS0_4arch9wavefront6targetE0EEEvSG_,comdat
	.protected	_ZN7rocprim17ROCPRIM_400000_NS6detail17trampoline_kernelINS0_14default_configENS1_35radix_sort_onesweep_config_selectorIbNS0_10empty_typeEEEZZNS1_29radix_sort_onesweep_iterationIS3_Lb0EPKbPbPS5_SB_mNS0_19identity_decomposerENS1_16block_id_wrapperIjLb1EEEEE10hipError_tT1_PNSt15iterator_traitsISG_E10value_typeET2_T3_PNSH_ISM_E10value_typeET4_T5_PSR_SS_PNS1_23onesweep_lookback_stateEbbT6_jjT7_P12ihipStream_tbENKUlT_T0_SG_SL_E_clISA_SA_SB_SB_EEDaSZ_S10_SG_SL_EUlSZ_E_NS1_11comp_targetILNS1_3genE0ELNS1_11target_archE4294967295ELNS1_3gpuE0ELNS1_3repE0EEENS1_47radix_sort_onesweep_sort_config_static_selectorELNS0_4arch9wavefront6targetE0EEEvSG_ ; -- Begin function _ZN7rocprim17ROCPRIM_400000_NS6detail17trampoline_kernelINS0_14default_configENS1_35radix_sort_onesweep_config_selectorIbNS0_10empty_typeEEEZZNS1_29radix_sort_onesweep_iterationIS3_Lb0EPKbPbPS5_SB_mNS0_19identity_decomposerENS1_16block_id_wrapperIjLb1EEEEE10hipError_tT1_PNSt15iterator_traitsISG_E10value_typeET2_T3_PNSH_ISM_E10value_typeET4_T5_PSR_SS_PNS1_23onesweep_lookback_stateEbbT6_jjT7_P12ihipStream_tbENKUlT_T0_SG_SL_E_clISA_SA_SB_SB_EEDaSZ_S10_SG_SL_EUlSZ_E_NS1_11comp_targetILNS1_3genE0ELNS1_11target_archE4294967295ELNS1_3gpuE0ELNS1_3repE0EEENS1_47radix_sort_onesweep_sort_config_static_selectorELNS0_4arch9wavefront6targetE0EEEvSG_
	.globl	_ZN7rocprim17ROCPRIM_400000_NS6detail17trampoline_kernelINS0_14default_configENS1_35radix_sort_onesweep_config_selectorIbNS0_10empty_typeEEEZZNS1_29radix_sort_onesweep_iterationIS3_Lb0EPKbPbPS5_SB_mNS0_19identity_decomposerENS1_16block_id_wrapperIjLb1EEEEE10hipError_tT1_PNSt15iterator_traitsISG_E10value_typeET2_T3_PNSH_ISM_E10value_typeET4_T5_PSR_SS_PNS1_23onesweep_lookback_stateEbbT6_jjT7_P12ihipStream_tbENKUlT_T0_SG_SL_E_clISA_SA_SB_SB_EEDaSZ_S10_SG_SL_EUlSZ_E_NS1_11comp_targetILNS1_3genE0ELNS1_11target_archE4294967295ELNS1_3gpuE0ELNS1_3repE0EEENS1_47radix_sort_onesweep_sort_config_static_selectorELNS0_4arch9wavefront6targetE0EEEvSG_
	.p2align	8
	.type	_ZN7rocprim17ROCPRIM_400000_NS6detail17trampoline_kernelINS0_14default_configENS1_35radix_sort_onesweep_config_selectorIbNS0_10empty_typeEEEZZNS1_29radix_sort_onesweep_iterationIS3_Lb0EPKbPbPS5_SB_mNS0_19identity_decomposerENS1_16block_id_wrapperIjLb1EEEEE10hipError_tT1_PNSt15iterator_traitsISG_E10value_typeET2_T3_PNSH_ISM_E10value_typeET4_T5_PSR_SS_PNS1_23onesweep_lookback_stateEbbT6_jjT7_P12ihipStream_tbENKUlT_T0_SG_SL_E_clISA_SA_SB_SB_EEDaSZ_S10_SG_SL_EUlSZ_E_NS1_11comp_targetILNS1_3genE0ELNS1_11target_archE4294967295ELNS1_3gpuE0ELNS1_3repE0EEENS1_47radix_sort_onesweep_sort_config_static_selectorELNS0_4arch9wavefront6targetE0EEEvSG_,@function
_ZN7rocprim17ROCPRIM_400000_NS6detail17trampoline_kernelINS0_14default_configENS1_35radix_sort_onesweep_config_selectorIbNS0_10empty_typeEEEZZNS1_29radix_sort_onesweep_iterationIS3_Lb0EPKbPbPS5_SB_mNS0_19identity_decomposerENS1_16block_id_wrapperIjLb1EEEEE10hipError_tT1_PNSt15iterator_traitsISG_E10value_typeET2_T3_PNSH_ISM_E10value_typeET4_T5_PSR_SS_PNS1_23onesweep_lookback_stateEbbT6_jjT7_P12ihipStream_tbENKUlT_T0_SG_SL_E_clISA_SA_SB_SB_EEDaSZ_S10_SG_SL_EUlSZ_E_NS1_11comp_targetILNS1_3genE0ELNS1_11target_archE4294967295ELNS1_3gpuE0ELNS1_3repE0EEENS1_47radix_sort_onesweep_sort_config_static_selectorELNS0_4arch9wavefront6targetE0EEEvSG_: ; @_ZN7rocprim17ROCPRIM_400000_NS6detail17trampoline_kernelINS0_14default_configENS1_35radix_sort_onesweep_config_selectorIbNS0_10empty_typeEEEZZNS1_29radix_sort_onesweep_iterationIS3_Lb0EPKbPbPS5_SB_mNS0_19identity_decomposerENS1_16block_id_wrapperIjLb1EEEEE10hipError_tT1_PNSt15iterator_traitsISG_E10value_typeET2_T3_PNSH_ISM_E10value_typeET4_T5_PSR_SS_PNS1_23onesweep_lookback_stateEbbT6_jjT7_P12ihipStream_tbENKUlT_T0_SG_SL_E_clISA_SA_SB_SB_EEDaSZ_S10_SG_SL_EUlSZ_E_NS1_11comp_targetILNS1_3genE0ELNS1_11target_archE4294967295ELNS1_3gpuE0ELNS1_3repE0EEENS1_47radix_sort_onesweep_sort_config_static_selectorELNS0_4arch9wavefront6targetE0EEEvSG_
; %bb.0:
	s_clause 0x1
	s_load_b128 s[8:11], s[0:1], 0x28
	s_load_b64 s[20:21], s[0:1], 0x38
	s_mov_b32 s2, exec_lo
	v_cmpx_eq_u32_e32 0, v0
	s_cbranch_execz .LBB1861_4
; %bb.1:
	s_mov_b32 s4, exec_lo
	s_mov_b32 s3, exec_lo
	v_mbcnt_lo_u32_b32 v1, s4, 0
                                        ; implicit-def: $vgpr2
	s_delay_alu instid0(VALU_DEP_1)
	v_cmpx_eq_u32_e32 0, v1
	s_cbranch_execz .LBB1861_3
; %bb.2:
	s_load_b64 s[6:7], s[0:1], 0x50
	s_bcnt1_i32_b32 s4, s4
	s_delay_alu instid0(SALU_CYCLE_1)
	v_dual_mov_b32 v2, 0 :: v_dual_mov_b32 v3, s4
	s_wait_xcnt 0x0
	s_wait_kmcnt 0x0
	global_atomic_add_u32 v2, v2, v3, s[6:7] th:TH_ATOMIC_RETURN scope:SCOPE_DEV
.LBB1861_3:
	s_wait_xcnt 0x0
	s_or_b32 exec_lo, exec_lo, s3
	s_wait_loadcnt 0x0
	v_readfirstlane_b32 s3, v2
	s_delay_alu instid0(VALU_DEP_1)
	v_dual_mov_b32 v2, 0 :: v_dual_add_nc_u32 v1, s3, v1
	ds_store_b32 v2, v1 offset:32896
.LBB1861_4:
	s_or_b32 exec_lo, exec_lo, s2
	v_mov_b32_e32 v7, 0
	s_clause 0x2
	s_load_b128 s[12:15], s[0:1], 0x0
	s_load_b32 s2, s[0:1], 0x20
	s_load_b96 s[16:18], s[0:1], 0x44
	s_wait_dscnt 0x0
	s_barrier_signal -1
	s_barrier_wait -1
	ds_load_b32 v1, v7 offset:32896
	v_mul_u32_u24_e32 v6, 22, v0
	s_mov_b32 s3, -1
	s_wait_dscnt 0x0
	s_barrier_signal -1
	s_barrier_wait -1
	v_readfirstlane_b32 s19, v1
	s_wait_kmcnt 0x0
	v_cmp_le_u32_e32 vcc_lo, s18, v1
	s_mul_i32 s22, s19, 0x5800
	s_cbranch_vccz .LBB1861_116
; %bb.5:
	s_mov_b32 s23, 0
	v_dual_mov_b32 v4, 1 :: v_dual_mov_b32 v1, 1
	s_add_nc_u64 s[4:5], s[12:13], s[22:23]
	v_mov_b32_e32 v5, 1
	v_add_nc_u64_e32 v[2:3], s[4:5], v[6:7]
	s_mulk_i32 s18, 0xa800
	s_delay_alu instid0(SALU_CYCLE_1)
	s_add_co_i32 s18, s18, s2
	s_mov_b32 s2, exec_lo
	v_cmpx_gt_u32_e64 s18, v6
	s_cbranch_execz .LBB1861_7
; %bb.6:
	global_load_u8 v5, v[2:3], off
	s_wait_loadcnt 0x0
	v_and_b32_e32 v4, 1, v5
.LBB1861_7:
	s_or_b32 exec_lo, exec_lo, s2
	v_dual_mov_b32 v28, 1 :: v_dual_bitop2_b32 v7, 1, v6 bitop3:0x54
	s_mov_b32 s2, exec_lo
	s_delay_alu instid0(VALU_DEP_1)
	v_cmpx_gt_u32_e64 s18, v7
	s_cbranch_execz .LBB1861_9
; %bb.8:
	global_load_u8 v1, v[2:3], off offset:1
	s_wait_loadcnt 0x0
	v_and_b32_e32 v28, 1, v1
.LBB1861_9:
	s_or_b32 exec_lo, exec_lo, s2
	v_dual_mov_b32 v29, 1 :: v_dual_add_nc_u32 v8, 2, v6
	v_mov_b32_e32 v7, 1
	s_delay_alu instid0(VALU_DEP_2)
	v_cmp_gt_u32_e32 vcc_lo, s18, v8
	v_mov_b32_e32 v8, 1
	s_and_saveexec_b32 s2, vcc_lo
	s_cbranch_execz .LBB1861_11
; %bb.10:
	global_load_u8 v8, v[2:3], off offset:2
	s_wait_loadcnt 0x0
	v_and_b32_e32 v29, 1, v8
.LBB1861_11:
	s_or_b32 exec_lo, exec_lo, s2
	v_dual_mov_b32 v30, 1 :: v_dual_add_nc_u32 v9, 3, v6
	s_mov_b32 s2, exec_lo
	s_delay_alu instid0(VALU_DEP_1)
	v_cmpx_gt_u32_e64 s18, v9
	s_cbranch_execz .LBB1861_13
; %bb.12:
	global_load_u8 v7, v[2:3], off offset:3
	s_wait_loadcnt 0x0
	v_and_b32_e32 v30, 1, v7
.LBB1861_13:
	s_or_b32 exec_lo, exec_lo, s2
	v_dual_mov_b32 v31, 1 :: v_dual_add_nc_u32 v10, 4, v6
	v_mov_b32_e32 v9, 1
	s_delay_alu instid0(VALU_DEP_2)
	v_cmp_gt_u32_e32 vcc_lo, s18, v10
	v_mov_b32_e32 v10, 1
	s_and_saveexec_b32 s2, vcc_lo
	s_cbranch_execz .LBB1861_15
; %bb.14:
	global_load_u8 v10, v[2:3], off offset:4
	s_wait_loadcnt 0x0
	v_and_b32_e32 v31, 1, v10
.LBB1861_15:
	s_or_b32 exec_lo, exec_lo, s2
	v_dual_mov_b32 v32, 1 :: v_dual_add_nc_u32 v11, 5, v6
	;; [unrolled: 24-line block ×7, first 2 shown]
	s_mov_b32 s2, exec_lo
	s_delay_alu instid0(VALU_DEP_1)
	v_cmpx_gt_u32_e64 s18, v21
	s_cbranch_execz .LBB1861_37
; %bb.36:
	global_load_u8 v19, v[2:3], off offset:15
	s_wait_loadcnt 0x0
	v_and_b32_e32 v42, 1, v19
.LBB1861_37:
	s_or_b32 exec_lo, exec_lo, s2
	v_dual_mov_b32 v43, 1 :: v_dual_add_nc_u32 v22, 16, v6
	v_mov_b32_e32 v21, 1
	s_delay_alu instid0(VALU_DEP_2)
	v_cmp_gt_u32_e32 vcc_lo, s18, v22
	v_mov_b32_e32 v22, 1
	s_and_saveexec_b32 s2, vcc_lo
	s_cbranch_execz .LBB1861_39
; %bb.38:
	global_load_u8 v22, v[2:3], off offset:16
	s_wait_loadcnt 0x0
	v_and_b32_e32 v43, 1, v22
.LBB1861_39:
	s_or_b32 exec_lo, exec_lo, s2
	v_dual_add_nc_u32 v23, 17, v6 :: v_dual_mov_b32 v45, 1
	s_mov_b32 s2, exec_lo
	s_delay_alu instid0(VALU_DEP_1)
	v_cmpx_gt_u32_e64 s18, v23
	s_cbranch_execz .LBB1861_41
; %bb.40:
	global_load_u8 v21, v[2:3], off offset:17
	s_wait_loadcnt 0x0
	v_and_b32_e32 v45, 1, v21
.LBB1861_41:
	s_or_b32 exec_lo, exec_lo, s2
	v_dual_mov_b32 v47, 1 :: v_dual_add_nc_u32 v24, 18, v6
	v_mov_b32_e32 v23, 1
	s_delay_alu instid0(VALU_DEP_2)
	v_cmp_gt_u32_e32 vcc_lo, s18, v24
	v_mov_b32_e32 v24, 1
	s_and_saveexec_b32 s2, vcc_lo
	s_cbranch_execz .LBB1861_43
; %bb.42:
	global_load_u8 v24, v[2:3], off offset:18
	s_wait_loadcnt 0x0
	v_and_b32_e32 v47, 1, v24
.LBB1861_43:
	s_or_b32 exec_lo, exec_lo, s2
	v_dual_add_nc_u32 v25, 19, v6 :: v_dual_mov_b32 v49, 1
	s_mov_b32 s2, exec_lo
	s_delay_alu instid0(VALU_DEP_1)
	v_cmpx_gt_u32_e64 s18, v25
	s_cbranch_execz .LBB1861_45
; %bb.44:
	global_load_u8 v23, v[2:3], off offset:19
	s_wait_loadcnt 0x0
	v_and_b32_e32 v49, 1, v23
.LBB1861_45:
	s_or_b32 exec_lo, exec_lo, s2
	v_dual_mov_b32 v51, 1 :: v_dual_add_nc_u32 v26, 20, v6
	v_mov_b32_e32 v25, 1
	s_delay_alu instid0(VALU_DEP_2)
	v_cmp_gt_u32_e32 vcc_lo, s18, v26
	v_mov_b32_e32 v26, 1
	s_and_saveexec_b32 s2, vcc_lo
	s_cbranch_execz .LBB1861_47
; %bb.46:
	global_load_u8 v26, v[2:3], off offset:20
	s_wait_loadcnt 0x0
	v_and_b32_e32 v51, 1, v26
.LBB1861_47:
	s_or_b32 exec_lo, exec_lo, s2
	v_dual_add_nc_u32 v27, 21, v6 :: v_dual_mov_b32 v53, 1
	s_mov_b32 s2, exec_lo
	s_delay_alu instid0(VALU_DEP_1)
	v_cmpx_gt_u32_e64 s18, v27
	s_cbranch_execz .LBB1861_49
; %bb.48:
	global_load_u8 v25, v[2:3], off offset:21
	s_wait_loadcnt 0x0
	v_and_b32_e32 v53, 1, v25
.LBB1861_49:
	s_or_b32 exec_lo, exec_lo, s2
	v_dual_mov_b32 v3, 0 :: v_dual_lshrrev_b32 v2, s16, v4
	s_lshl_b32 s23, -1, s17
	v_dual_lshlrev_b32 v67, 2, v0 :: v_dual_lshrrev_b32 v31, s16, v31
	v_lshrrev_b32_e32 v32, s16, v32
	s_delay_alu instid0(VALU_DEP_3)
	v_bitop3_b32 v2, v2, s23, v2 bitop3:0x30
	ds_store_2addr_stride64_b32 v67, v3, v3 offset1:16
	ds_store_2addr_stride64_b32 v67, v3, v3 offset0:32 offset1:48
	ds_store_2addr_stride64_b32 v67, v3, v3 offset0:64 offset1:80
	;; [unrolled: 1-line block ×3, first 2 shown]
	v_dual_lshrrev_b32 v3, s16, v28 :: v_dual_lshrrev_b32 v30, s16, v30
	v_lshl_or_b32 v2, v2, 12, v67
	v_bitop3_b32 v31, v31, s23, v31 bitop3:0x30
	v_bitop3_b32 v32, v32, s23, v32 bitop3:0x30
	s_delay_alu instid0(VALU_DEP_4)
	v_bitop3_b32 v3, v3, s23, v3 bitop3:0x30
	v_bitop3_b32 v30, v30, s23, v30 bitop3:0x30
	ds_load_u16 v27, v2
	v_dual_lshrrev_b32 v33, s16, v33 :: v_dual_lshrrev_b32 v34, s16, v34
	v_dual_lshrrev_b32 v35, s16, v35 :: v_dual_lshrrev_b32 v36, s16, v36
	;; [unrolled: 1-line block ×3, first 2 shown]
	s_delay_alu instid0(VALU_DEP_3) | instskip(NEXT) | instid1(VALU_DEP_4)
	v_bitop3_b32 v33, v33, s23, v33 bitop3:0x30
	v_bitop3_b32 v34, v34, s23, v34 bitop3:0x30
	s_delay_alu instid0(VALU_DEP_4)
	v_bitop3_b32 v35, v35, s23, v35 bitop3:0x30
	v_bitop3_b32 v36, v36, s23, v36 bitop3:0x30
	;; [unrolled: 1-line block ×4, first 2 shown]
	v_dual_lshrrev_b32 v39, s16, v39 :: v_dual_lshrrev_b32 v40, s16, v40
	v_dual_lshrrev_b32 v41, s16, v41 :: v_dual_lshrrev_b32 v42, s16, v42
	v_dual_lshrrev_b32 v43, s16, v43 :: v_dual_lshrrev_b32 v45, s16, v45
	s_delay_alu instid0(VALU_DEP_3)
	v_bitop3_b32 v39, v39, s23, v39 bitop3:0x30
	s_wait_dscnt 0x0
	v_add_nc_u16 v4, v27, 1
	v_bitop3_b32 v40, v40, s23, v40 bitop3:0x30
	v_bitop3_b32 v41, v41, s23, v41 bitop3:0x30
	;; [unrolled: 1-line block ×4, first 2 shown]
	ds_store_b16 v2, v4
	v_lshrrev_b32_e32 v4, s16, v29
	v_lshl_or_b32 v3, v3, 12, v67
	v_lshl_or_b32 v44, v30, 12, v67
	v_bitop3_b32 v45, v45, s23, v45 bitop3:0x30
	v_dual_lshrrev_b32 v47, s16, v47 :: v_dual_lshrrev_b32 v49, s16, v49
	ds_load_u16 v28, v3
	v_bitop3_b32 v4, v4, s23, v4 bitop3:0x30
	v_dual_lshrrev_b32 v51, s16, v51 :: v_dual_lshrrev_b32 v53, s16, v53
	v_bitop3_b32 v47, v47, s23, v47 bitop3:0x30
	v_bitop3_b32 v49, v49, s23, v49 bitop3:0x30
	s_delay_alu instid0(VALU_DEP_4) | instskip(NEXT) | instid1(VALU_DEP_4)
	v_lshl_or_b32 v4, v4, 12, v67
	v_bitop3_b32 v51, v51, s23, v51 bitop3:0x30
	v_bitop3_b32 v53, v53, s23, v53 bitop3:0x30
	s_mov_b32 s7, exec_lo
	s_wait_dscnt 0x0
	v_add_nc_u16 v29, v28, 1
	ds_store_b16 v3, v29
	ds_load_u16 v29, v4
	s_wait_dscnt 0x0
	v_add_nc_u16 v46, v29, 1
	ds_store_b16 v4, v46
	ds_load_u16 v30, v44
	v_lshl_or_b32 v46, v31, 12, v67
	s_wait_dscnt 0x0
	v_add_nc_u16 v48, v30, 1
	ds_store_b16 v44, v48
	ds_load_u16 v31, v46
	v_lshl_or_b32 v48, v32, 12, v67
	;; [unrolled: 5-line block ×17, first 2 shown]
	v_lshl_or_b32 v67, v53, 12, v67
	s_wait_dscnt 0x0
	v_add_nc_u16 v68, v49, 1
	ds_store_b16 v65, v68
	ds_load_u16 v51, v66
	s_wait_dscnt 0x0
	v_add_nc_u16 v68, v51, 1
	ds_store_b16 v66, v68
	ds_load_u16 v53, v67
	v_lshlrev_b32_e32 v68, 5, v0
	s_wait_dscnt 0x0
	v_add_nc_u16 v69, v53, 1
	ds_store_b16 v67, v69
	s_wait_dscnt 0x0
	s_barrier_signal -1
	s_barrier_wait -1
	ds_load_2addr_b64 v[70:73], v68 offset1:1
	ds_load_2addr_b64 v[74:77], v68 offset0:2 offset1:3
	s_wait_dscnt 0x1
	v_add_nc_u32_e32 v69, v71, v70
	s_delay_alu instid0(VALU_DEP_1) | instskip(SKIP_2) | instid1(VALU_DEP_2)
	v_add3_u32 v69, v69, v72, v73
	v_and_b32_e32 v73, 31, v0
	s_wait_dscnt 0x0
	v_add3_u32 v70, v69, v74, v75
	v_mbcnt_lo_u32_b32 v69, -1, 0
	s_delay_alu instid0(VALU_DEP_2) | instskip(NEXT) | instid1(VALU_DEP_2)
	v_add3_u32 v70, v70, v76, v77
	v_and_b32_e32 v71, 15, v69
	s_delay_alu instid0(VALU_DEP_2) | instskip(NEXT) | instid1(VALU_DEP_2)
	v_mov_b32_dpp v72, v70 row_shr:1 row_mask:0xf bank_mask:0xf
	v_cmp_eq_u32_e32 vcc_lo, 0, v71
	s_delay_alu instid0(VALU_DEP_2) | instskip(NEXT) | instid1(VALU_DEP_1)
	v_cndmask_b32_e64 v72, v72, 0, vcc_lo
	v_add_nc_u32_e32 v70, v72, v70
	v_cmp_lt_u32_e64 s2, 1, v71
	v_cmp_lt_u32_e64 s3, 3, v71
	;; [unrolled: 1-line block ×3, first 2 shown]
	s_delay_alu instid0(VALU_DEP_4) | instskip(NEXT) | instid1(VALU_DEP_1)
	v_mov_b32_dpp v72, v70 row_shr:2 row_mask:0xf bank_mask:0xf
	v_cndmask_b32_e64 v72, 0, v72, s2
	s_delay_alu instid0(VALU_DEP_1) | instskip(NEXT) | instid1(VALU_DEP_1)
	v_add_nc_u32_e32 v70, v70, v72
	v_mov_b32_dpp v72, v70 row_shr:4 row_mask:0xf bank_mask:0xf
	s_delay_alu instid0(VALU_DEP_1) | instskip(NEXT) | instid1(VALU_DEP_1)
	v_cndmask_b32_e64 v72, 0, v72, s3
	v_add_nc_u32_e32 v70, v70, v72
	s_delay_alu instid0(VALU_DEP_1) | instskip(NEXT) | instid1(VALU_DEP_1)
	v_mov_b32_dpp v72, v70 row_shr:8 row_mask:0xf bank_mask:0xf
	v_cndmask_b32_e64 v71, 0, v72, s4
	v_bfe_i32 v72, v69, 4, 1
	s_delay_alu instid0(VALU_DEP_2) | instskip(SKIP_4) | instid1(VALU_DEP_2)
	v_add_nc_u32_e32 v70, v70, v71
	ds_swizzle_b32 v71, v70 offset:swizzle(BROADCAST,32,15)
	s_wait_dscnt 0x0
	v_and_b32_e32 v71, v72, v71
	v_dual_lshrrev_b32 v72, 5, v0 :: v_dual_bitop2_b32 v74, 16, v69 bitop3:0x40
	v_add_nc_u32_e32 v70, v70, v71
	s_delay_alu instid0(VALU_DEP_2) | instskip(NEXT) | instid1(VALU_DEP_3)
	v_cmp_eq_u32_e64 s5, 0, v74
	v_lshlrev_b32_e32 v71, 2, v72
	v_cmpx_eq_u32_e32 31, v73
; %bb.50:
	ds_store_b32 v71, v70 offset:32768
; %bb.51:
	s_or_b32 exec_lo, exec_lo, s7
	v_cmp_lt_u32_e64 s6, 31, v0
	s_mov_b32 s24, exec_lo
	s_wait_dscnt 0x0
	s_barrier_signal -1
	s_barrier_wait -1
	v_cmpx_gt_u32_e32 32, v0
	s_cbranch_execz .LBB1861_53
; %bb.52:
	v_mad_i32_i24 v72, 0xffffffe4, v0, v68
	ds_load_b32 v73, v72 offset:32768
	s_wait_dscnt 0x0
	v_mov_b32_dpp v74, v73 row_shr:1 row_mask:0xf bank_mask:0xf
	s_delay_alu instid0(VALU_DEP_1) | instskip(NEXT) | instid1(VALU_DEP_1)
	v_cndmask_b32_e64 v74, v74, 0, vcc_lo
	v_add_nc_u32_e32 v73, v74, v73
	s_delay_alu instid0(VALU_DEP_1) | instskip(NEXT) | instid1(VALU_DEP_1)
	v_mov_b32_dpp v74, v73 row_shr:2 row_mask:0xf bank_mask:0xf
	v_cndmask_b32_e64 v74, 0, v74, s2
	s_delay_alu instid0(VALU_DEP_1) | instskip(NEXT) | instid1(VALU_DEP_1)
	v_add_nc_u32_e32 v73, v73, v74
	v_mov_b32_dpp v74, v73 row_shr:4 row_mask:0xf bank_mask:0xf
	s_delay_alu instid0(VALU_DEP_1) | instskip(NEXT) | instid1(VALU_DEP_1)
	v_cndmask_b32_e64 v74, 0, v74, s3
	v_add_nc_u32_e32 v73, v73, v74
	s_delay_alu instid0(VALU_DEP_1) | instskip(NEXT) | instid1(VALU_DEP_1)
	v_mov_b32_dpp v74, v73 row_shr:8 row_mask:0xf bank_mask:0xf
	v_cndmask_b32_e64 v74, 0, v74, s4
	s_delay_alu instid0(VALU_DEP_1) | instskip(SKIP_3) | instid1(VALU_DEP_1)
	v_add_nc_u32_e32 v73, v73, v74
	ds_swizzle_b32 v74, v73 offset:swizzle(BROADCAST,32,15)
	s_wait_dscnt 0x0
	v_cndmask_b32_e64 v74, v74, 0, s5
	v_add_nc_u32_e32 v73, v73, v74
	ds_store_b32 v72, v73 offset:32768
.LBB1861_53:
	s_or_b32 exec_lo, exec_lo, s24
	v_dual_mov_b32 v73, 0 :: v_dual_mov_b32 v72, 0
	s_wait_dscnt 0x0
	s_barrier_signal -1
	s_barrier_wait -1
	s_and_saveexec_b32 s2, s6
; %bb.54:
	ds_load_b32 v72, v71 offset:32764
; %bb.55:
	s_or_b32 exec_lo, exec_lo, s2
	v_sub_co_u32 v71, vcc_lo, v69, 1
	s_wait_dscnt 0x0
	v_add_nc_u32_e32 v70, v72, v70
	s_delay_alu instid0(VALU_DEP_2) | instskip(NEXT) | instid1(VALU_DEP_1)
	v_cmp_gt_i32_e64 s2, 0, v71
	v_cndmask_b32_e64 v69, v71, v69, s2
	v_cmp_gt_u32_e64 s2, 16, v0
	s_delay_alu instid0(VALU_DEP_2)
	v_lshlrev_b32_e32 v69, 2, v69
	ds_bpermute_b32 v69, v69, v70
	ds_load_b32 v70, v73 offset:32892
	ds_load_2addr_b64 v[74:77], v68 offset1:1
	ds_load_b32 v78, v68 offset:24
	s_wait_dscnt 0x3
	v_cndmask_b32_e32 v69, v69, v72, vcc_lo
	ds_load_b64 v[72:73], v68 offset:16
	v_cmp_lt_u32_e32 vcc_lo, 15, v0
	s_wait_dscnt 0x3
	v_lshl_add_u32 v70, v70, 16, v69
	s_wait_dscnt 0x2
	s_delay_alu instid0(VALU_DEP_1) | instskip(NEXT) | instid1(VALU_DEP_1)
	v_add_nc_u32_e32 v71, v70, v74
	v_add_nc_u32_e32 v74, v75, v71
	s_delay_alu instid0(VALU_DEP_1) | instskip(NEXT) | instid1(VALU_DEP_1)
	v_add_nc_u32_e32 v75, v76, v74
	v_add_nc_u32_e32 v76, v77, v75
	s_wait_dscnt 0x0
	s_delay_alu instid0(VALU_DEP_1) | instskip(NEXT) | instid1(VALU_DEP_1)
	v_add_nc_u32_e32 v77, v72, v76
	v_add_nc_u32_e32 v72, v73, v77
	s_delay_alu instid0(VALU_DEP_1)
	v_add_nc_u32_e32 v73, v78, v72
	ds_store_2addr_b64 v68, v[70:71], v[74:75] offset1:1
	ds_store_2addr_b64 v68, v[76:77], v[72:73] offset0:2 offset1:3
	s_wait_dscnt 0x0
	s_barrier_signal -1
	s_barrier_wait -1
	ds_load_u16 v68, v2
	ds_load_u16 v69, v3
	ds_load_u16 v70, v4
	ds_load_u16 v44, v44
	ds_load_u16 v46, v46
	ds_load_u16 v48, v48
	ds_load_u16 v50, v50
	ds_load_u16 v52, v52
	ds_load_u16 v54, v54
	ds_load_u16 v55, v55
	ds_load_u16 v56, v56
	ds_load_u16 v57, v57
	ds_load_u16 v58, v58
	ds_load_u16 v59, v59
	ds_load_u16 v60, v60
	ds_load_u16 v61, v61
	ds_load_u16 v62, v62
	ds_load_u16 v63, v63
	ds_load_u16 v64, v64
	ds_load_u16 v65, v65
	ds_load_u16 v66, v66
	ds_load_u16 v67, v67
	v_mov_b64_e32 v[2:3], 0
                                        ; implicit-def: $vgpr4
	s_and_saveexec_b32 s4, s2
	s_cbranch_execz .LBB1861_59
; %bb.56:
	v_dual_lshlrev_b32 v2, 12, v0 :: v_dual_lshrrev_b32 v3, 2, v0
	v_add_nc_u32_e32 v4, 1, v0
	s_mov_b32 s5, exec_lo
	s_delay_alu instid0(VALU_DEP_2)
	v_bitop3_b32 v2, v2, 0x70fe, v3 bitop3:0xc8
	v_mov_b32_e32 v3, 0x5800
	ds_load_u16 v2, v2
	v_cmpx_ne_u32_e32 16, v4
; %bb.57:
	v_dual_lshlrev_b32 v3, 12, v4 :: v_dual_lshrrev_b32 v4, 2, v4
	s_delay_alu instid0(VALU_DEP_1)
	v_bitop3_b32 v3, v3, 0x71fe, v4 bitop3:0xc8
	ds_load_u16 v3, v3
; %bb.58:
	s_or_b32 exec_lo, exec_lo, s5
	s_wait_dscnt 0x0
	v_and_b32_e32 v2, 0xffff, v2
	s_mov_b32 s3, 0
	s_delay_alu instid0(VALU_DEP_1) | instid1(SALU_CYCLE_1)
	v_dual_mov_b32 v3, s3 :: v_dual_sub_nc_u32 v4, v3, v2
.LBB1861_59:
	s_or_b32 exec_lo, exec_lo, s4
	s_wait_dscnt 0x15
	v_and_b32_e32 v68, 0xffff, v68
	v_and_b32_e32 v27, 0xffff, v27
	s_wait_dscnt 0x14
	v_and_b32_e32 v69, 0xffff, v69
	v_and_b32_e32 v28, 0xffff, v28
	;; [unrolled: 3-line block ×4, first 2 shown]
	v_dual_add_nc_u32 v27, v68, v27 :: v_dual_add_nc_u32 v28, v69, v28
	s_wait_dscnt 0x11
	v_and_b32_e32 v46, 0xffff, v46
	v_and_b32_e32 v31, 0xffff, v31
	s_wait_dscnt 0x10
	v_and_b32_e32 v48, 0xffff, v48
	v_and_b32_e32 v32, 0xffff, v32
	v_add_nc_u32_e32 v29, v70, v29
	s_wait_dscnt 0xf
	v_and_b32_e32 v50, 0xffff, v50
	v_and_b32_e32 v33, 0xffff, v33
	s_wait_dscnt 0xe
	v_and_b32_e32 v52, 0xffff, v52
	v_and_b32_e32 v34, 0xffff, v34
	s_wait_dscnt 0xd
	v_and_b32_e32 v54, 0xffff, v54
	v_and_b32_e32 v35, 0xffff, v35
	s_wait_dscnt 0x0
	s_barrier_signal -1
	s_barrier_wait -1
	ds_store_b8 v27, v5 offset:128
	ds_store_b8 v28, v1 offset:128
	;; [unrolled: 1-line block ×3, first 2 shown]
	v_add_nc_u32_e32 v1, v44, v30
	v_and_b32_e32 v55, 0xffff, v55
	v_and_b32_e32 v36, 0xffff, v36
	v_dual_add_nc_u32 v5, v46, v31 :: v_dual_add_nc_u32 v8, v48, v32
	v_and_b32_e32 v56, 0xffff, v56
	v_and_b32_e32 v37, 0xffff, v37
	;; [unrolled: 1-line block ×4, first 2 shown]
	v_dual_add_nc_u32 v27, v50, v33 :: v_dual_add_nc_u32 v28, v52, v34
	v_and_b32_e32 v58, 0xffff, v58
	v_and_b32_e32 v39, 0xffff, v39
	;; [unrolled: 1-line block ×4, first 2 shown]
	ds_store_b8 v1, v7 offset:128
	ds_store_b8 v5, v10 offset:128
	;; [unrolled: 1-line block ×5, first 2 shown]
	v_dual_add_nc_u32 v1, v54, v35 :: v_dual_add_nc_u32 v5, v55, v36
	v_and_b32_e32 v60, 0xffff, v60
	v_and_b32_e32 v41, 0xffff, v41
	;; [unrolled: 1-line block ×4, first 2 shown]
	v_dual_add_nc_u32 v7, v56, v37 :: v_dual_add_nc_u32 v8, v57, v38
	v_and_b32_e32 v62, 0xffff, v62
	v_and_b32_e32 v43, 0xffff, v43
	;; [unrolled: 1-line block ×4, first 2 shown]
	v_add_nc_u32_e32 v9, v58, v39
	ds_store_b8 v1, v14 offset:128
	ds_store_b8 v5, v13 offset:128
	;; [unrolled: 1-line block ×5, first 2 shown]
	v_dual_add_nc_u32 v1, v59, v40 :: v_dual_add_nc_u32 v5, v60, v41
	v_dual_add_nc_u32 v7, v61, v42 :: v_dual_add_nc_u32 v8, v62, v43
	v_add_nc_u32_e32 v9, v63, v45
	v_and_b32_e32 v64, 0xffff, v64
	v_and_b32_e32 v67, 0xffff, v67
	;; [unrolled: 1-line block ×4, first 2 shown]
	ds_store_b8 v1, v17 offset:128
	ds_store_b8 v5, v20 offset:128
	;; [unrolled: 1-line block ×5, first 2 shown]
	v_mov_b32_e32 v9, 0
	v_and_b32_e32 v65, 0xffff, v65
	v_and_b32_e32 v49, 0xffff, v49
	;; [unrolled: 1-line block ×4, first 2 shown]
	v_dual_add_nc_u32 v7, v64, v47 :: v_dual_add_nc_u32 v11, v67, v53
	v_dual_mov_b32 v1, v9 :: v_dual_lshlrev_b32 v5, 3, v0
	s_delay_alu instid0(VALU_DEP_3)
	v_dual_add_nc_u32 v8, v65, v49 :: v_dual_add_nc_u32 v10, v66, v51
	s_not_b32 s3, s23
	ds_store_b8 v7, v24 offset:128
	ds_store_b8 v8, v23 offset:128
	;; [unrolled: 1-line block ×4, first 2 shown]
	s_and_saveexec_b32 s4, s2
	s_cbranch_execz .LBB1861_69
; %bb.60:
	v_lshl_add_u32 v8, s19, 4, v0
	v_dual_mov_b32 v12, 0 :: v_dual_bitop2_b32 v7, 2.0, v4 bitop3:0x54
	s_mov_b32 s5, 0
	s_mov_b32 s6, s19
	s_delay_alu instid0(VALU_DEP_2)
	v_lshl_add_u64 v[10:11], v[8:9], 2, s[20:21]
	global_store_b32 v8, v7, s[20:21] scale_offset scope:SCOPE_DEV
                                        ; implicit-def: $sgpr2
	s_branch .LBB1861_63
.LBB1861_61:                            ;   in Loop: Header=BB1861_63 Depth=1
	s_or_b32 exec_lo, exec_lo, s23
.LBB1861_62:                            ;   in Loop: Header=BB1861_63 Depth=1
	s_delay_alu instid0(SALU_CYCLE_1) | instskip(SKIP_2) | instid1(VALU_DEP_2)
	s_or_b32 exec_lo, exec_lo, s7
	v_and_b32_e32 v8, 0x3fffffff, v7
	v_cmp_gt_i32_e64 s2, -2.0, v7
	v_add_nc_u32_e32 v12, v8, v12
	s_and_b32 s7, exec_lo, s2
	s_delay_alu instid0(SALU_CYCLE_1) | instskip(NEXT) | instid1(SALU_CYCLE_1)
	s_or_b32 s5, s7, s5
	s_and_not1_b32 exec_lo, exec_lo, s5
	s_cbranch_execz .LBB1861_68
.LBB1861_63:                            ; =>This Loop Header: Depth=1
                                        ;     Child Loop BB1861_66 Depth 2
	s_or_b32 s2, s2, exec_lo
	s_cmp_eq_u32 s6, 0
	s_cbranch_scc1 .LBB1861_67
; %bb.64:                               ;   in Loop: Header=BB1861_63 Depth=1
	s_add_co_i32 s6, s6, -1
	s_mov_b32 s7, exec_lo
	s_wait_xcnt 0x0
	v_lshl_or_b32 v8, s6, 4, v0
	global_load_b32 v7, v8, s[20:21] scale_offset scope:SCOPE_DEV
	s_wait_loadcnt 0x0
	v_cmpx_gt_u32_e32 2.0, v7
	s_cbranch_execz .LBB1861_62
; %bb.65:                               ;   in Loop: Header=BB1861_63 Depth=1
	v_lshl_add_u64 v[14:15], v[8:9], 2, s[20:21]
	s_mov_b32 s23, 0
.LBB1861_66:                            ;   Parent Loop BB1861_63 Depth=1
                                        ; =>  This Inner Loop Header: Depth=2
	global_load_b32 v7, v[14:15], off scope:SCOPE_DEV
	s_wait_loadcnt 0x0
	v_cmp_lt_u32_e64 s2, 0x3fffffff, v7
	s_or_b32 s23, s2, s23
	s_wait_xcnt 0x0
	s_and_not1_b32 exec_lo, exec_lo, s23
	s_cbranch_execnz .LBB1861_66
	s_branch .LBB1861_61
.LBB1861_67:                            ;   in Loop: Header=BB1861_63 Depth=1
                                        ; implicit-def: $sgpr6
	s_and_b32 s7, exec_lo, s2
	s_delay_alu instid0(SALU_CYCLE_1)
	s_or_b32 s5, s7, s5
	s_wait_xcnt 0x0
	s_and_not1_b32 exec_lo, exec_lo, s5
	s_cbranch_execnz .LBB1861_63
.LBB1861_68:
	s_or_b32 exec_lo, exec_lo, s5
	v_dual_add_nc_u32 v7, v12, v4 :: v_dual_mov_b32 v13, 0
	s_delay_alu instid0(VALU_DEP_1)
	v_or_b32_e32 v7, 0x80000000, v7
	global_store_b32 v[10:11], v7, off scope:SCOPE_DEV
	global_load_b64 v[8:9], v0, s[8:9] scale_offset
	s_wait_xcnt 0x1
	v_sub_nc_u64_e32 v[10:11], v[12:13], v[2:3]
	s_wait_loadcnt 0x0
	s_delay_alu instid0(VALU_DEP_1)
	v_add_nc_u64_e32 v[8:9], v[10:11], v[8:9]
	ds_store_b64 v5, v[8:9]
.LBB1861_69:
	s_wait_xcnt 0x0
	s_or_b32 exec_lo, exec_lo, s4
	s_delay_alu instid0(SALU_CYCLE_1)
	s_mov_b32 s4, exec_lo
	s_wait_storecnt_dscnt 0x0
	s_barrier_signal -1
	s_barrier_wait -1
	v_cmpx_gt_u32_e64 s18, v0
	s_cbranch_execz .LBB1861_71
; %bb.70:
	ds_load_u8 v7, v0 offset:128
	s_wait_dscnt 0x0
	v_and_b32_e32 v8, 1, v7
	s_delay_alu instid0(VALU_DEP_1) | instskip(NEXT) | instid1(VALU_DEP_1)
	v_lshrrev_b32_e32 v8, s16, v8
	v_and_b32_e32 v8, s3, v8
	s_delay_alu instid0(VALU_DEP_1) | instskip(SKIP_3) | instid1(VALU_DEP_1)
	v_lshlrev_b32_e32 v8, 3, v8
	ds_load_b64 v[8:9], v8
	s_wait_dscnt 0x0
	v_add_nc_u64_e32 v[8:9], s[14:15], v[8:9]
	v_add_nc_u64_e32 v[8:9], v[8:9], v[0:1]
	global_store_b8 v[8:9], v7, off
.LBB1861_71:
	s_wait_xcnt 0x0
	s_or_b32 exec_lo, exec_lo, s4
	v_or_b32_e32 v7, 0x400, v0
	s_mov_b32 s4, exec_lo
	s_delay_alu instid0(VALU_DEP_1)
	v_cmpx_gt_u32_e64 s18, v7
	s_cbranch_execz .LBB1861_73
; %bb.72:
	ds_load_u8 v7, v0 offset:1152
	s_wait_dscnt 0x0
	v_and_b32_e32 v8, 1, v7
	s_delay_alu instid0(VALU_DEP_1) | instskip(NEXT) | instid1(VALU_DEP_1)
	v_lshrrev_b32_e32 v8, s16, v8
	v_and_b32_e32 v8, s3, v8
	s_delay_alu instid0(VALU_DEP_1) | instskip(SKIP_3) | instid1(VALU_DEP_1)
	v_lshlrev_b32_e32 v8, 3, v8
	ds_load_b64 v[8:9], v8
	s_wait_dscnt 0x0
	v_add_nc_u64_e32 v[8:9], s[14:15], v[8:9]
	v_add_nc_u64_e32 v[8:9], v[8:9], v[0:1]
	global_store_b8 v[8:9], v7, off offset:1024
.LBB1861_73:
	s_wait_xcnt 0x0
	s_or_b32 exec_lo, exec_lo, s4
	v_or_b32_e32 v7, 0x800, v0
	s_mov_b32 s4, exec_lo
	s_delay_alu instid0(VALU_DEP_1)
	v_cmpx_gt_u32_e64 s18, v7
	s_cbranch_execz .LBB1861_75
; %bb.74:
	ds_load_u8 v7, v0 offset:2176
	s_wait_dscnt 0x0
	v_and_b32_e32 v8, 1, v7
	s_delay_alu instid0(VALU_DEP_1) | instskip(NEXT) | instid1(VALU_DEP_1)
	v_lshrrev_b32_e32 v8, s16, v8
	v_and_b32_e32 v8, s3, v8
	s_delay_alu instid0(VALU_DEP_1) | instskip(SKIP_3) | instid1(VALU_DEP_1)
	v_lshlrev_b32_e32 v8, 3, v8
	ds_load_b64 v[8:9], v8
	s_wait_dscnt 0x0
	v_add_nc_u64_e32 v[8:9], s[14:15], v[8:9]
	v_add_nc_u64_e32 v[8:9], v[8:9], v[0:1]
	global_store_b8 v[8:9], v7, off offset:2048
.LBB1861_75:
	;; [unrolled: 22-line block ×21, first 2 shown]
	s_wait_xcnt 0x0
	s_or_b32 exec_lo, exec_lo, s4
	s_load_b32 s2, s[0:1], 0x58
	s_wait_kmcnt 0x0
	s_add_co_i32 s2, s2, -1
	s_delay_alu instid0(SALU_CYCLE_1) | instskip(SKIP_2) | instid1(SALU_CYCLE_1)
	s_cmp_eq_u32 s19, s2
	s_cselect_b32 s2, -1, 0
	s_xor_b32 s3, vcc_lo, -1
	s_and_b32 s3, s3, s2
	s_delay_alu instid0(SALU_CYCLE_1)
	s_and_saveexec_b32 s2, s3
	s_cbranch_execz .LBB1861_115
; %bb.114:
	ds_load_b64 v[8:9], v5
	v_mov_b32_e32 v5, 0
	s_delay_alu instid0(VALU_DEP_1) | instskip(SKIP_1) | instid1(VALU_DEP_1)
	v_add_nc_u64_e32 v[2:3], v[2:3], v[4:5]
	s_wait_dscnt 0x0
	v_add_nc_u64_e32 v[2:3], v[2:3], v[8:9]
	global_store_b64 v0, v[2:3], s[10:11] scale_offset
.LBB1861_115:
	s_wait_xcnt 0x0
	s_or_b32 exec_lo, exec_lo, s2
	s_mov_b32 s3, 0
.LBB1861_116:
	s_delay_alu instid0(SALU_CYCLE_1)
	s_and_b32 vcc_lo, exec_lo, s3
	s_cbranch_vccz .LBB1861_139
; %bb.117:
	s_mov_b32 s23, 0
	s_mov_b32 s7, exec_lo
	s_add_nc_u64 s[2:3], s[12:13], s[22:23]
	s_lshl_b32 s12, -1, s17
	s_clause 0x2
	global_load_b128 v[2:5], v6, s[2:3]
	global_load_b32 v8, v6, s[2:3] offset:16
	global_load_u16 v11, v6, s[2:3] offset:20
	v_lshlrev_b32_e32 v47, 2, v0
	s_wait_loadcnt 0x2
	v_and_b32_e32 v1, 0xff, v2
	s_delay_alu instid0(VALU_DEP_1) | instskip(NEXT) | instid1(VALU_DEP_1)
	v_lshrrev_b32_e32 v1, s16, v1
	v_bitop3_b32 v1, v1, s12, v1 bitop3:0x30
	s_wait_xcnt 0x0
	s_delay_alu instid0(VALU_DEP_1) | instskip(SKIP_1) | instid1(VALU_DEP_1)
	v_lshl_or_b32 v6, v1, 12, v47
	v_bfe_u32 v1, v2, 8, 8
	v_dual_mov_b32 v7, 0 :: v_dual_lshrrev_b32 v1, s16, v1
	ds_store_2addr_stride64_b32 v47, v7, v7 offset1:16
	ds_store_2addr_stride64_b32 v47, v7, v7 offset0:32 offset1:48
	ds_store_2addr_stride64_b32 v47, v7, v7 offset0:64 offset1:80
	;; [unrolled: 1-line block ×3, first 2 shown]
	ds_load_u16 v14, v6
	v_bitop3_b32 v1, v1, s12, v1 bitop3:0x30
	s_delay_alu instid0(VALU_DEP_1) | instskip(SKIP_1) | instid1(VALU_DEP_1)
	v_lshl_or_b32 v7, v1, 12, v47
	v_bfe_u32 v1, v2, 16, 8
	v_lshrrev_b32_e32 v1, s16, v1
	s_delay_alu instid0(VALU_DEP_1) | instskip(SKIP_2) | instid1(VALU_DEP_2)
	v_bitop3_b32 v1, v1, s12, v1 bitop3:0x30
	s_wait_dscnt 0x0
	v_add_nc_u16 v9, v14, 1
	v_lshl_or_b32 v10, v1, 12, v47
	ds_store_b16 v6, v9
	ds_load_u16 v15, v7
	v_lshrrev_b32_e32 v1, 24, v2
	s_wait_dscnt 0x0
	v_add_nc_u16 v9, v15, 1
	ds_store_b16 v7, v9
	ds_load_u16 v16, v10
	v_lshrrev_b32_e32 v9, s16, v1
	s_delay_alu instid0(VALU_DEP_1) | instskip(NEXT) | instid1(VALU_DEP_1)
	v_bitop3_b32 v9, v9, s12, v9 bitop3:0x30
	v_lshl_or_b32 v12, v9, 12, v47
	v_and_b32_e32 v9, 0xff, v3
	s_delay_alu instid0(VALU_DEP_1) | instskip(SKIP_2) | instid1(VALU_DEP_2)
	v_lshrrev_b32_e32 v9, s16, v9
	s_wait_dscnt 0x0
	v_add_nc_u16 v13, v16, 1
	v_bitop3_b32 v9, v9, s12, v9 bitop3:0x30
	ds_store_b16 v10, v13
	ds_load_u16 v18, v12
	v_lshl_or_b32 v13, v9, 12, v47
	v_bfe_u32 v9, v3, 8, 8
	s_delay_alu instid0(VALU_DEP_1) | instskip(NEXT) | instid1(VALU_DEP_1)
	v_lshrrev_b32_e32 v9, s16, v9
	v_bitop3_b32 v9, v9, s12, v9 bitop3:0x30
	s_delay_alu instid0(VALU_DEP_1) | instskip(SKIP_3) | instid1(VALU_DEP_2)
	v_lshl_or_b32 v31, v9, 12, v47
	v_bfe_u32 v9, v3, 16, 8
	s_wait_dscnt 0x0
	v_add_nc_u16 v17, v18, 1
	v_lshrrev_b32_e32 v9, s16, v9
	ds_store_b16 v12, v17
	ds_load_u16 v19, v13
	v_bitop3_b32 v9, v9, s12, v9 bitop3:0x30
	s_delay_alu instid0(VALU_DEP_1)
	v_lshl_or_b32 v34, v9, 12, v47
	s_wait_dscnt 0x0
	v_add_nc_u16 v17, v19, 1
	ds_store_b16 v13, v17
	ds_load_u16 v20, v31
	s_wait_dscnt 0x0
	v_add_nc_u16 v17, v20, 1
	ds_store_b16 v31, v17
	ds_load_u16 v22, v34
	v_lshrrev_b32_e32 v17, 24, v3
	s_delay_alu instid0(VALU_DEP_1) | instskip(NEXT) | instid1(VALU_DEP_1)
	v_lshrrev_b32_e32 v9, s16, v17
	v_bitop3_b32 v9, v9, s12, v9 bitop3:0x30
	s_delay_alu instid0(VALU_DEP_1) | instskip(SKIP_3) | instid1(VALU_DEP_2)
	v_lshl_or_b32 v36, v9, 12, v47
	v_and_b32_e32 v9, 0xff, v4
	s_wait_dscnt 0x0
	v_add_nc_u16 v21, v22, 1
	v_lshrrev_b32_e32 v9, s16, v9
	ds_store_b16 v34, v21
	ds_load_u16 v23, v36
	v_bitop3_b32 v9, v9, s12, v9 bitop3:0x30
	s_delay_alu instid0(VALU_DEP_1) | instskip(SKIP_1) | instid1(VALU_DEP_1)
	v_lshl_or_b32 v38, v9, 12, v47
	v_bfe_u32 v9, v4, 8, 8
	v_lshrrev_b32_e32 v9, s16, v9
	s_delay_alu instid0(VALU_DEP_1) | instskip(SKIP_2) | instid1(VALU_DEP_2)
	v_bitop3_b32 v9, v9, s12, v9 bitop3:0x30
	s_wait_dscnt 0x0
	v_add_nc_u16 v21, v23, 1
	v_lshl_or_b32 v40, v9, 12, v47
	v_bfe_u32 v9, v4, 16, 8
	ds_store_b16 v36, v21
	ds_load_u16 v24, v38
	v_lshrrev_b32_e32 v9, s16, v9
	s_delay_alu instid0(VALU_DEP_1) | instskip(NEXT) | instid1(VALU_DEP_1)
	v_bitop3_b32 v9, v9, s12, v9 bitop3:0x30
	v_lshl_or_b32 v42, v9, 12, v47
	s_wait_dscnt 0x0
	v_add_nc_u16 v21, v24, 1
	ds_store_b16 v38, v21
	ds_load_u16 v25, v40
	s_wait_dscnt 0x0
	v_add_nc_u16 v21, v25, 1
	ds_store_b16 v40, v21
	ds_load_u16 v27, v42
	v_lshrrev_b32_e32 v21, 24, v4
	s_delay_alu instid0(VALU_DEP_1) | instskip(NEXT) | instid1(VALU_DEP_1)
	v_lshrrev_b32_e32 v9, s16, v21
	v_bitop3_b32 v9, v9, s12, v9 bitop3:0x30
	s_delay_alu instid0(VALU_DEP_1) | instskip(SKIP_3) | instid1(VALU_DEP_2)
	v_lshl_or_b32 v44, v9, 12, v47
	v_and_b32_e32 v9, 0xff, v5
	s_wait_dscnt 0x0
	v_add_nc_u16 v26, v27, 1
	v_lshrrev_b32_e32 v9, s16, v9
	ds_store_b16 v42, v26
	ds_load_u16 v28, v44
	v_bitop3_b32 v9, v9, s12, v9 bitop3:0x30
	s_delay_alu instid0(VALU_DEP_1) | instskip(SKIP_1) | instid1(VALU_DEP_1)
	v_lshl_or_b32 v46, v9, 12, v47
	v_bfe_u32 v9, v5, 8, 8
	v_lshrrev_b32_e32 v9, s16, v9
	s_delay_alu instid0(VALU_DEP_1) | instskip(SKIP_2) | instid1(VALU_DEP_2)
	v_bitop3_b32 v9, v9, s12, v9 bitop3:0x30
	s_wait_dscnt 0x0
	v_add_nc_u16 v26, v28, 1
	v_lshl_or_b32 v48, v9, 12, v47
	v_bfe_u32 v9, v5, 16, 8
	ds_store_b16 v44, v26
	ds_load_u16 v29, v46
	v_lshrrev_b32_e32 v9, s16, v9
	s_delay_alu instid0(VALU_DEP_1) | instskip(NEXT) | instid1(VALU_DEP_1)
	v_bitop3_b32 v9, v9, s12, v9 bitop3:0x30
	v_lshl_or_b32 v49, v9, 12, v47
	s_wait_dscnt 0x0
	v_add_nc_u16 v26, v29, 1
	ds_store_b16 v46, v26
	ds_load_u16 v30, v48
	s_wait_dscnt 0x0
	v_add_nc_u16 v26, v30, 1
	ds_store_b16 v48, v26
	ds_load_u16 v32, v49
	v_lshrrev_b32_e32 v26, 24, v5
	s_delay_alu instid0(VALU_DEP_1) | instskip(NEXT) | instid1(VALU_DEP_1)
	v_lshrrev_b32_e32 v9, s16, v26
	v_bitop3_b32 v9, v9, s12, v9 bitop3:0x30
	s_delay_alu instid0(VALU_DEP_1) | instskip(SKIP_4) | instid1(VALU_DEP_2)
	v_lshl_or_b32 v50, v9, 12, v47
	s_wait_loadcnt 0x1
	v_and_b32_e32 v9, 0xff, v8
	s_wait_dscnt 0x0
	v_add_nc_u16 v33, v32, 1
	v_lshrrev_b32_e32 v9, s16, v9
	ds_store_b16 v49, v33
	ds_load_u16 v35, v50
	v_bitop3_b32 v9, v9, s12, v9 bitop3:0x30
	s_delay_alu instid0(VALU_DEP_1) | instskip(SKIP_1) | instid1(VALU_DEP_1)
	v_lshl_or_b32 v51, v9, 12, v47
	v_bfe_u32 v9, v8, 8, 8
	v_lshrrev_b32_e32 v9, s16, v9
	s_delay_alu instid0(VALU_DEP_1) | instskip(SKIP_2) | instid1(VALU_DEP_2)
	v_bitop3_b32 v9, v9, s12, v9 bitop3:0x30
	s_wait_dscnt 0x0
	v_add_nc_u16 v33, v35, 1
	v_lshl_or_b32 v52, v9, 12, v47
	v_bfe_u32 v9, v8, 16, 8
	ds_store_b16 v50, v33
	ds_load_u16 v37, v51
	v_lshrrev_b32_e32 v9, s16, v9
	s_delay_alu instid0(VALU_DEP_1) | instskip(NEXT) | instid1(VALU_DEP_1)
	v_bitop3_b32 v9, v9, s12, v9 bitop3:0x30
	v_lshl_or_b32 v53, v9, 12, v47
	s_wait_loadcnt 0x0
	v_and_b32_e32 v9, 0xffff, v11
	s_wait_dscnt 0x0
	v_add_nc_u16 v33, v37, 1
	ds_store_b16 v51, v33
	ds_load_u16 v39, v52
	s_wait_dscnt 0x0
	v_add_nc_u16 v33, v39, 1
	ds_store_b16 v52, v33
	ds_load_u16 v41, v53
	v_alignbit_b32 v33, v9, v8, 24
	s_delay_alu instid0(VALU_DEP_1) | instskip(NEXT) | instid1(VALU_DEP_1)
	v_and_b32_e32 v33, 0xff, v33
	v_lshrrev_b32_e32 v33, s16, v33
	s_delay_alu instid0(VALU_DEP_1) | instskip(SKIP_2) | instid1(VALU_DEP_2)
	v_bitop3_b32 v33, v33, s12, v33 bitop3:0x30
	s_wait_dscnt 0x0
	v_add_nc_u16 v43, v41, 1
	v_lshl_or_b32 v54, v33, 12, v47
	v_and_b32_e32 v33, 0xff, v9
	ds_store_b16 v53, v43
	ds_load_u16 v43, v54
	v_lshrrev_b32_e32 v33, s16, v33
	s_delay_alu instid0(VALU_DEP_1) | instskip(NEXT) | instid1(VALU_DEP_1)
	v_bitop3_b32 v33, v33, s12, v33 bitop3:0x30
	v_lshl_or_b32 v55, v33, 12, v47
	v_lshrrev_b32_e32 v33, 8, v9
	s_delay_alu instid0(VALU_DEP_1) | instskip(SKIP_2) | instid1(VALU_DEP_2)
	v_lshrrev_b32_e32 v56, s16, v33
	s_wait_dscnt 0x0
	v_add_nc_u16 v45, v43, 1
	v_bitop3_b32 v56, v56, s12, v56 bitop3:0x30
	ds_store_b16 v54, v45
	ds_load_u16 v45, v55
	v_lshl_or_b32 v56, v56, 12, v47
	s_wait_dscnt 0x0
	v_add_nc_u16 v57, v45, 1
	ds_store_b16 v55, v57
	ds_load_u16 v47, v56
	v_lshlrev_b32_e32 v57, 5, v0
	s_wait_dscnt 0x0
	v_add_nc_u16 v58, v47, 1
	ds_store_b16 v56, v58
	s_wait_storecnt_dscnt 0x0
	s_barrier_signal -1
	s_barrier_wait -1
	ds_load_2addr_b64 v[58:61], v57 offset1:1
	ds_load_2addr_b64 v[62:65], v57 offset0:2 offset1:3
	s_wait_dscnt 0x1
	v_add_nc_u32_e32 v58, v59, v58
	s_delay_alu instid0(VALU_DEP_1) | instskip(SKIP_1) | instid1(VALU_DEP_1)
	v_add3_u32 v58, v58, v60, v61
	s_wait_dscnt 0x0
	v_add3_u32 v59, v58, v62, v63
	v_mbcnt_lo_u32_b32 v58, -1, 0
	v_and_b32_e32 v62, 31, v0
	s_delay_alu instid0(VALU_DEP_3) | instskip(NEXT) | instid1(VALU_DEP_3)
	v_add3_u32 v59, v59, v64, v65
	v_and_b32_e32 v60, 15, v58
	v_and_b32_e32 v63, 16, v58
	s_delay_alu instid0(VALU_DEP_3) | instskip(NEXT) | instid1(VALU_DEP_3)
	v_mov_b32_dpp v61, v59 row_shr:1 row_mask:0xf bank_mask:0xf
	v_cmp_eq_u32_e32 vcc_lo, 0, v60
	v_cmp_lt_u32_e64 s2, 1, v60
	v_cmp_lt_u32_e64 s3, 3, v60
	;; [unrolled: 1-line block ×3, first 2 shown]
	v_cmp_eq_u32_e64 s5, 0, v63
	v_cndmask_b32_e64 v61, v61, 0, vcc_lo
	s_delay_alu instid0(VALU_DEP_1) | instskip(NEXT) | instid1(VALU_DEP_1)
	v_add_nc_u32_e32 v59, v61, v59
	v_mov_b32_dpp v61, v59 row_shr:2 row_mask:0xf bank_mask:0xf
	s_delay_alu instid0(VALU_DEP_1) | instskip(NEXT) | instid1(VALU_DEP_1)
	v_cndmask_b32_e64 v61, 0, v61, s2
	v_add_nc_u32_e32 v59, v59, v61
	s_delay_alu instid0(VALU_DEP_1) | instskip(NEXT) | instid1(VALU_DEP_1)
	v_mov_b32_dpp v61, v59 row_shr:4 row_mask:0xf bank_mask:0xf
	v_cndmask_b32_e64 v61, 0, v61, s3
	s_delay_alu instid0(VALU_DEP_1) | instskip(NEXT) | instid1(VALU_DEP_1)
	v_add_nc_u32_e32 v59, v59, v61
	v_mov_b32_dpp v61, v59 row_shr:8 row_mask:0xf bank_mask:0xf
	s_delay_alu instid0(VALU_DEP_1) | instskip(SKIP_1) | instid1(VALU_DEP_2)
	v_cndmask_b32_e64 v60, 0, v61, s4
	v_bfe_i32 v61, v58, 4, 1
	v_add_nc_u32_e32 v59, v59, v60
	ds_swizzle_b32 v60, v59 offset:swizzle(BROADCAST,32,15)
	s_wait_dscnt 0x0
	v_and_b32_e32 v60, v61, v60
	v_lshrrev_b32_e32 v61, 5, v0
	s_delay_alu instid0(VALU_DEP_1)
	v_dual_add_nc_u32 v59, v59, v60 :: v_dual_lshlrev_b32 v60, 2, v61
	v_cmpx_eq_u32_e32 31, v62
; %bb.118:
	ds_store_b32 v60, v59 offset:32768
; %bb.119:
	s_or_b32 exec_lo, exec_lo, s7
	v_cmp_lt_u32_e64 s6, 31, v0
	s_mov_b32 s13, exec_lo
	s_wait_dscnt 0x0
	s_barrier_signal -1
	s_barrier_wait -1
	v_cmpx_gt_u32_e32 32, v0
	s_cbranch_execz .LBB1861_121
; %bb.120:
	v_mad_i32_i24 v61, 0xffffffe4, v0, v57
	ds_load_b32 v62, v61 offset:32768
	s_wait_dscnt 0x0
	v_mov_b32_dpp v63, v62 row_shr:1 row_mask:0xf bank_mask:0xf
	s_delay_alu instid0(VALU_DEP_1) | instskip(NEXT) | instid1(VALU_DEP_1)
	v_cndmask_b32_e64 v63, v63, 0, vcc_lo
	v_add_nc_u32_e32 v62, v63, v62
	s_delay_alu instid0(VALU_DEP_1) | instskip(NEXT) | instid1(VALU_DEP_1)
	v_mov_b32_dpp v63, v62 row_shr:2 row_mask:0xf bank_mask:0xf
	v_cndmask_b32_e64 v63, 0, v63, s2
	s_delay_alu instid0(VALU_DEP_1) | instskip(NEXT) | instid1(VALU_DEP_1)
	v_add_nc_u32_e32 v62, v62, v63
	v_mov_b32_dpp v63, v62 row_shr:4 row_mask:0xf bank_mask:0xf
	s_delay_alu instid0(VALU_DEP_1) | instskip(NEXT) | instid1(VALU_DEP_1)
	v_cndmask_b32_e64 v63, 0, v63, s3
	v_add_nc_u32_e32 v62, v62, v63
	s_delay_alu instid0(VALU_DEP_1) | instskip(NEXT) | instid1(VALU_DEP_1)
	v_mov_b32_dpp v63, v62 row_shr:8 row_mask:0xf bank_mask:0xf
	v_cndmask_b32_e64 v63, 0, v63, s4
	s_delay_alu instid0(VALU_DEP_1) | instskip(SKIP_3) | instid1(VALU_DEP_1)
	v_add_nc_u32_e32 v62, v62, v63
	ds_swizzle_b32 v63, v62 offset:swizzle(BROADCAST,32,15)
	s_wait_dscnt 0x0
	v_cndmask_b32_e64 v63, v63, 0, s5
	v_add_nc_u32_e32 v62, v62, v63
	ds_store_b32 v61, v62 offset:32768
.LBB1861_121:
	s_or_b32 exec_lo, exec_lo, s13
	v_dual_mov_b32 v62, 0 :: v_dual_mov_b32 v61, 0
	s_wait_dscnt 0x0
	s_barrier_signal -1
	s_barrier_wait -1
	s_and_saveexec_b32 s2, s6
; %bb.122:
	ds_load_b32 v61, v60 offset:32764
; %bb.123:
	s_or_b32 exec_lo, exec_lo, s2
	v_sub_co_u32 v60, vcc_lo, v58, 1
	s_wait_dscnt 0x0
	v_add_nc_u32_e32 v59, v61, v59
	s_delay_alu instid0(VALU_DEP_2) | instskip(NEXT) | instid1(VALU_DEP_1)
	v_cmp_gt_i32_e64 s2, 0, v60
	v_cndmask_b32_e64 v58, v60, v58, s2
	v_cmp_gt_u32_e64 s2, 16, v0
	s_delay_alu instid0(VALU_DEP_2)
	v_lshlrev_b32_e32 v58, 2, v58
	ds_bpermute_b32 v58, v58, v59
	ds_load_b32 v59, v62 offset:32892
	ds_load_2addr_b64 v[62:65], v57 offset1:1
	ds_load_b32 v66, v57 offset:24
	s_wait_dscnt 0x3
	v_cndmask_b32_e32 v58, v58, v61, vcc_lo
	ds_load_b64 v[60:61], v57 offset:16
	v_cmp_lt_u32_e32 vcc_lo, 15, v0
	s_wait_dscnt 0x3
	v_lshl_add_u32 v58, v59, 16, v58
	s_wait_dscnt 0x2
	s_delay_alu instid0(VALU_DEP_1) | instskip(NEXT) | instid1(VALU_DEP_1)
	v_add_nc_u32_e32 v59, v58, v62
	v_add_nc_u32_e32 v62, v63, v59
	s_delay_alu instid0(VALU_DEP_1) | instskip(NEXT) | instid1(VALU_DEP_1)
	v_add_nc_u32_e32 v63, v64, v62
	v_add_nc_u32_e32 v64, v65, v63
	s_wait_dscnt 0x0
	s_delay_alu instid0(VALU_DEP_1) | instskip(NEXT) | instid1(VALU_DEP_1)
	v_add_nc_u32_e32 v65, v60, v64
	v_add_nc_u32_e32 v60, v61, v65
	s_delay_alu instid0(VALU_DEP_1)
	v_add_nc_u32_e32 v61, v66, v60
	ds_store_2addr_b64 v57, v[58:59], v[62:63] offset1:1
	ds_store_2addr_b64 v57, v[64:65], v[60:61] offset0:2 offset1:3
	s_wait_dscnt 0x0
	s_barrier_signal -1
	s_barrier_wait -1
	ds_load_u16 v57, v6
	ds_load_u16 v58, v7
	;; [unrolled: 1-line block ×22, first 2 shown]
	v_lshrrev_b64 v[12:13], 24, v[8:9]
	v_mov_b64_e32 v[6:7], 0
                                        ; implicit-def: $vgpr10
	s_and_saveexec_b32 s4, s2
	s_cbranch_execz .LBB1861_127
; %bb.124:
	v_dual_lshlrev_b32 v6, 12, v0 :: v_dual_lshrrev_b32 v7, 2, v0
	v_add_nc_u32_e32 v9, 1, v0
	s_mov_b32 s5, exec_lo
	s_delay_alu instid0(VALU_DEP_2)
	v_bitop3_b32 v6, v6, 0x70fe, v7 bitop3:0xc8
	v_mov_b32_e32 v7, 0x5800
	ds_load_u16 v6, v6
	v_cmpx_ne_u32_e32 16, v9
; %bb.125:
	v_dual_lshlrev_b32 v7, 12, v9 :: v_dual_lshrrev_b32 v9, 2, v9
	s_delay_alu instid0(VALU_DEP_1)
	v_bitop3_b32 v7, v7, 0x71fe, v9 bitop3:0xc8
	ds_load_u16 v7, v7
; %bb.126:
	s_or_b32 exec_lo, exec_lo, s5
	s_wait_dscnt 0x0
	v_and_b32_e32 v6, 0xffff, v6
	s_mov_b32 s3, 0
	s_delay_alu instid0(VALU_DEP_1) | instid1(SALU_CYCLE_1)
	v_dual_mov_b32 v7, s3 :: v_dual_sub_nc_u32 v10, v7, v6
.LBB1861_127:
	s_or_b32 exec_lo, exec_lo, s4
	s_wait_dscnt 0x15
	v_and_b32_e32 v57, 0xffff, v57
	v_and_b32_e32 v14, 0xffff, v14
	s_wait_dscnt 0x14
	v_and_b32_e32 v58, 0xffff, v58
	v_and_b32_e32 v15, 0xffff, v15
	;; [unrolled: 3-line block ×4, first 2 shown]
	v_dual_add_nc_u32 v14, v57, v14 :: v_dual_add_nc_u32 v15, v58, v15
	v_dual_lshrrev_b32 v68, 8, v2 :: v_dual_lshrrev_b32 v69, 16, v2
	s_wait_dscnt 0x11
	v_and_b32_e32 v61, 0xffff, v61
	v_and_b32_e32 v19, 0xffff, v19
	s_wait_dscnt 0x10
	v_and_b32_e32 v62, 0xffff, v62
	v_and_b32_e32 v20, 0xffff, v20
	v_add_nc_u32_e32 v16, v59, v16
	s_wait_dscnt 0xf
	v_and_b32_e32 v63, 0xffff, v63
	v_and_b32_e32 v22, 0xffff, v22
	s_wait_dscnt 0xe
	v_and_b32_e32 v64, 0xffff, v64
	v_and_b32_e32 v23, 0xffff, v23
	;; [unrolled: 3-line block ×3, first 2 shown]
	s_wait_dscnt 0x0
	s_barrier_signal -1
	s_barrier_wait -1
	ds_store_b8 v14, v2 offset:128
	ds_store_b8 v15, v68 offset:128
	;; [unrolled: 1-line block ×3, first 2 shown]
	v_add_nc_u32_e32 v2, v60, v18
	v_and_b32_e32 v40, 0xffff, v40
	v_and_b32_e32 v25, 0xffff, v25
	v_dual_add_nc_u32 v14, v61, v19 :: v_dual_add_nc_u32 v15, v62, v20
	v_dual_lshrrev_b32 v66, 8, v3 :: v_dual_lshrrev_b32 v67, 16, v3
	v_and_b32_e32 v42, 0xffff, v42
	v_and_b32_e32 v27, 0xffff, v27
	v_and_b32_e32 v44, 0xffff, v44
	v_and_b32_e32 v28, 0xffff, v28
	v_dual_add_nc_u32 v16, v63, v22 :: v_dual_add_nc_u32 v18, v64, v23
	v_and_b32_e32 v46, 0xffff, v46
	v_and_b32_e32 v29, 0xffff, v29
	;; [unrolled: 1-line block ×4, first 2 shown]
	ds_store_b8 v2, v1 offset:128
	ds_store_b8 v14, v3 offset:128
	;; [unrolled: 1-line block ×5, first 2 shown]
	v_dual_add_nc_u32 v1, v65, v24 :: v_dual_add_nc_u32 v2, v40, v25
	v_dual_lshrrev_b32 v36, 8, v4 :: v_dual_lshrrev_b32 v38, 16, v4
	v_and_b32_e32 v49, 0xffff, v49
	v_and_b32_e32 v32, 0xffff, v32
	;; [unrolled: 1-line block ×4, first 2 shown]
	v_dual_add_nc_u32 v3, v42, v27 :: v_dual_add_nc_u32 v14, v44, v28
	v_and_b32_e32 v51, 0xffff, v51
	v_and_b32_e32 v37, 0xffff, v37
	;; [unrolled: 1-line block ×4, first 2 shown]
	v_add_nc_u32_e32 v15, v46, v29
	v_dual_lshrrev_b32 v31, 8, v5 :: v_dual_lshrrev_b32 v34, 16, v5
	ds_store_b8 v1, v4 offset:128
	ds_store_b8 v2, v36 offset:128
	;; [unrolled: 1-line block ×5, first 2 shown]
	v_dual_add_nc_u32 v1, v48, v30 :: v_dual_add_nc_u32 v2, v49, v32
	v_dual_add_nc_u32 v3, v50, v35 :: v_dual_add_nc_u32 v4, v51, v37
	v_dual_add_nc_u32 v5, v52, v39 :: v_dual_lshrrev_b32 v13, 8, v8
	v_lshrrev_b32_e32 v9, 16, v8
	v_and_b32_e32 v53, 0xffff, v53
	v_and_b32_e32 v56, 0xffff, v56
	;; [unrolled: 1-line block ×4, first 2 shown]
	ds_store_b8 v1, v31 offset:128
	ds_store_b8 v2, v34 offset:128
	;; [unrolled: 1-line block ×5, first 2 shown]
	v_mov_b32_e32 v3, 0
	v_and_b32_e32 v54, 0xffff, v54
	v_and_b32_e32 v43, 0xffff, v43
	;; [unrolled: 1-line block ×4, first 2 shown]
	v_dual_add_nc_u32 v2, v53, v41 :: v_dual_add_nc_u32 v8, v56, v47
	v_dual_mov_b32 v1, v3 :: v_dual_lshlrev_b32 v14, 3, v0
	s_delay_alu instid0(VALU_DEP_3)
	v_dual_add_nc_u32 v4, v54, v43 :: v_dual_add_nc_u32 v5, v55, v45
	s_not_b32 s3, s12
	ds_store_b8 v2, v9 offset:128
	ds_store_b8 v4, v12 offset:128
	ds_store_b8 v5, v11 offset:128
	ds_store_b8 v8, v33 offset:128
	s_and_saveexec_b32 s4, s2
	s_cbranch_execz .LBB1861_137
; %bb.128:
	v_lshl_add_u32 v2, s19, 4, v0
	v_dual_mov_b32 v8, 0 :: v_dual_bitop2_b32 v9, 2.0, v10 bitop3:0x54
	s_mov_b32 s5, 0
	s_mov_b32 s6, s19
	s_delay_alu instid0(VALU_DEP_2)
	v_lshl_add_u64 v[4:5], v[2:3], 2, s[20:21]
	global_store_b32 v2, v9, s[20:21] scale_offset scope:SCOPE_DEV
                                        ; implicit-def: $sgpr2
	s_branch .LBB1861_131
.LBB1861_129:                           ;   in Loop: Header=BB1861_131 Depth=1
	s_or_b32 exec_lo, exec_lo, s12
.LBB1861_130:                           ;   in Loop: Header=BB1861_131 Depth=1
	s_delay_alu instid0(SALU_CYCLE_1) | instskip(SKIP_2) | instid1(VALU_DEP_2)
	s_or_b32 exec_lo, exec_lo, s7
	v_and_b32_e32 v2, 0x3fffffff, v9
	v_cmp_gt_i32_e64 s2, -2.0, v9
	v_add_nc_u32_e32 v8, v2, v8
	s_and_b32 s7, exec_lo, s2
	s_delay_alu instid0(SALU_CYCLE_1) | instskip(NEXT) | instid1(SALU_CYCLE_1)
	s_or_b32 s5, s7, s5
	s_and_not1_b32 exec_lo, exec_lo, s5
	s_cbranch_execz .LBB1861_136
.LBB1861_131:                           ; =>This Loop Header: Depth=1
                                        ;     Child Loop BB1861_134 Depth 2
	s_or_b32 s2, s2, exec_lo
	s_cmp_eq_u32 s6, 0
	s_cbranch_scc1 .LBB1861_135
; %bb.132:                              ;   in Loop: Header=BB1861_131 Depth=1
	s_add_co_i32 s6, s6, -1
	s_mov_b32 s7, exec_lo
	s_wait_xcnt 0x0
	v_lshl_or_b32 v2, s6, 4, v0
	global_load_b32 v9, v2, s[20:21] scale_offset scope:SCOPE_DEV
	s_wait_loadcnt 0x0
	v_cmpx_gt_u32_e32 2.0, v9
	s_cbranch_execz .LBB1861_130
; %bb.133:                              ;   in Loop: Header=BB1861_131 Depth=1
	v_lshl_add_u64 v[12:13], v[2:3], 2, s[20:21]
	s_mov_b32 s12, 0
.LBB1861_134:                           ;   Parent Loop BB1861_131 Depth=1
                                        ; =>  This Inner Loop Header: Depth=2
	global_load_b32 v9, v[12:13], off scope:SCOPE_DEV
	s_wait_loadcnt 0x0
	v_cmp_lt_u32_e64 s2, 0x3fffffff, v9
	s_or_b32 s12, s2, s12
	s_wait_xcnt 0x0
	s_and_not1_b32 exec_lo, exec_lo, s12
	s_cbranch_execnz .LBB1861_134
	s_branch .LBB1861_129
.LBB1861_135:                           ;   in Loop: Header=BB1861_131 Depth=1
                                        ; implicit-def: $sgpr6
	s_and_b32 s7, exec_lo, s2
	s_delay_alu instid0(SALU_CYCLE_1)
	s_or_b32 s5, s7, s5
	s_wait_xcnt 0x0
	s_and_not1_b32 exec_lo, exec_lo, s5
	s_cbranch_execnz .LBB1861_131
.LBB1861_136:
	s_or_b32 exec_lo, exec_lo, s5
	v_dual_mov_b32 v9, 0 :: v_dual_add_nc_u32 v2, v8, v10
	s_delay_alu instid0(VALU_DEP_1) | instskip(SKIP_4) | instid1(VALU_DEP_1)
	v_or_b32_e32 v2, 0x80000000, v2
	global_store_b32 v[4:5], v2, off scope:SCOPE_DEV
	global_load_b64 v[2:3], v0, s[8:9] scale_offset
	v_sub_nc_u64_e32 v[4:5], v[8:9], v[6:7]
	s_wait_loadcnt 0x0
	v_add_nc_u64_e32 v[2:3], v[4:5], v[2:3]
	ds_store_b64 v14, v[2:3]
.LBB1861_137:
	s_wait_xcnt 0x0
	s_or_b32 exec_lo, exec_lo, s4
	s_wait_storecnt_dscnt 0x0
	s_barrier_signal -1
	s_barrier_wait -1
	ds_load_u8 v11, v0 offset:21632
	ds_load_u8 v15, v0 offset:1152
	;; [unrolled: 1-line block ×12, first 2 shown]
	s_wait_dscnt 0xa
	v_and_b32_e32 v3, 1, v15
	s_wait_dscnt 0x9
	v_and_b32_e32 v4, 1, v28
	v_and_b32_e32 v2, 1, v11
	s_wait_dscnt 0x7
	v_and_b32_e32 v8, 1, v30
	;; [unrolled: 3-line block ×3, first 2 shown]
	v_dual_lshrrev_b32 v4, s16, v4 :: v_dual_bitop2_b32 v9, 1, v31 bitop3:0x40
	s_wait_dscnt 0x2
	v_and_b32_e32 v18, 1, v34
	s_delay_alu instid0(VALU_DEP_3) | instskip(SKIP_1) | instid1(VALU_DEP_3)
	v_dual_lshrrev_b32 v20, s16, v12 :: v_dual_bitop2_b32 v13, 1, v33 bitop3:0x40
	v_dual_lshrrev_b32 v2, s16, v2 :: v_dual_lshrrev_b32 v17, s16, v3
	v_dual_lshrrev_b32 v12, s16, v18 :: v_dual_bitop2_b32 v16, 1, v36 bitop3:0x40
	s_delay_alu instid0(VALU_DEP_2) | instskip(SKIP_1) | instid1(VALU_DEP_3)
	v_dual_lshrrev_b32 v21, s16, v13 :: v_dual_bitop2_b32 v2, s3, v2 bitop3:0x40
	v_dual_lshrrev_b32 v8, s16, v8 :: v_dual_lshrrev_b32 v5, s16, v5
	v_dual_lshrrev_b32 v13, s16, v16 :: v_dual_lshrrev_b32 v9, s16, v9
	s_delay_alu instid0(VALU_DEP_3) | instskip(SKIP_1) | instid1(VALU_DEP_3)
	v_dual_lshlrev_b32 v2, 3, v2 :: v_dual_bitop2_b32 v25, s3, v21 bitop3:0x40
	v_and_b32_e32 v24, s3, v20
	v_and_b32_e32 v23, s3, v13
	v_and_b32_e32 v12, s3, v12
	v_and_b32_e32 v22, s3, v9
	ds_load_b64 v[2:3], v2
	v_dual_lshlrev_b32 v26, 3, v25 :: v_dual_lshlrev_b32 v23, 3, v23
	v_dual_lshlrev_b32 v9, 3, v12 :: v_dual_bitop2_b32 v16, s3, v17 bitop3:0x40
	v_dual_lshlrev_b32 v24, 3, v24 :: v_dual_bitop2_b32 v5, s3, v5 bitop3:0x40
	s_wait_dscnt 0x1
	s_delay_alu instid0(VALU_DEP_2) | instskip(NEXT) | instid1(VALU_DEP_2)
	v_dual_lshlrev_b32 v12, 3, v16 :: v_dual_bitop2_b32 v43, 1, v38 bitop3:0x40
	v_dual_lshlrev_b32 v16, 3, v5 :: v_dual_bitop2_b32 v4, s3, v4 bitop3:0x40
	s_delay_alu instid0(VALU_DEP_2) | instskip(NEXT) | instid1(VALU_DEP_2)
	v_dual_lshrrev_b32 v43, s16, v43 :: v_dual_bitop2_b32 v35, 1, v37 bitop3:0x40
	v_lshlrev_b32_e32 v13, 3, v4
	v_dual_lshlrev_b32 v22, 3, v22 :: v_dual_bitop2_b32 v8, s3, v8 bitop3:0x40
	s_delay_alu instid0(VALU_DEP_1)
	v_dual_lshrrev_b32 v35, s16, v35 :: v_dual_lshlrev_b32 v18, 3, v8
	ds_load_b64 v[4:5], v9
	ds_load_b64 v[8:9], v12
	;; [unrolled: 1-line block ×5, first 2 shown]
	ds_load_u8 v39, v0 offset:18560
	ds_load_u8 v40, v0 offset:19584
	ds_load_b64 v[20:21], v23
	ds_load_u8 v41, v0 offset:10368
	ds_load_u8 v42, v0 offset:11392
	ds_load_b64 v[22:23], v22
	ds_load_b64 v[24:25], v24
	;; [unrolled: 1-line block ×3, first 2 shown]
	s_wait_dscnt 0xd
	v_add_nc_u64_e32 v[2:3], s[14:15], v[2:3]
	s_delay_alu instid0(VALU_DEP_1)
	v_add_nc_u64_e32 v[2:3], v[2:3], v[0:1]
	s_wait_dscnt 0xc
	v_add_nc_u64_e32 v[4:5], s[14:15], v[4:5]
	s_wait_dscnt 0xb
	;; [unrolled: 2-line block ×6, first 2 shown]
	v_add_nc_u64_e32 v[20:21], s[14:15], v[20:21]
	v_add_nc_u64_e32 v[4:5], v[4:5], v[0:1]
	;; [unrolled: 1-line block ×6, first 2 shown]
	s_clause 0x4
	global_store_b8 v[4:5], v34, off
	global_store_b8 v[8:9], v15, off offset:1024
	global_store_b8 v[12:13], v28, off offset:2048
	;; [unrolled: 1-line block ×4, first 2 shown]
	s_wait_xcnt 0x3
	ds_load_u8 v15, v0 offset:12416
	ds_load_u8 v44, v0 offset:13440
	;; [unrolled: 1-line block ×6, first 2 shown]
	s_wait_dscnt 0xa
	v_and_b32_e32 v8, 1, v41
	v_and_b32_e32 v35, s3, v35
	s_wait_xcnt 0x1
	v_and_b32_e32 v16, s3, v43
	s_wait_dscnt 0x9
	v_and_b32_e32 v9, 1, v42
	s_wait_dscnt 0x8
	v_add_nc_u64_e32 v[4:5], s[14:15], v[22:23]
	v_dual_lshrrev_b32 v17, s16, v8 :: v_dual_lshlrev_b32 v12, 3, v35
	s_wait_xcnt 0x0
	v_dual_lshlrev_b32 v19, 3, v16 :: v_dual_lshrrev_b32 v18, s16, v9
	s_wait_dscnt 0x7
	v_add_nc_u64_e32 v[8:9], s[14:15], v[24:25]
	v_and_b32_e32 v29, 1, v39
	ds_load_b64 v[12:13], v12
	v_add_nc_u64_e32 v[4:5], v[4:5], v[0:1]
	v_and_b32_e32 v23, s3, v18
	v_and_b32_e32 v22, s3, v17
	s_wait_dscnt 0x7
	v_add_nc_u64_e32 v[16:17], s[14:15], v[26:27]
	s_wait_dscnt 0x6
	v_and_b32_e32 v26, 1, v15
	v_add_nc_u64_e32 v[8:9], v[8:9], v[0:1]
	v_dual_lshlrev_b32 v24, 3, v23 :: v_dual_lshlrev_b32 v22, 3, v22
	ds_load_b64 v[18:19], v19
	s_wait_dscnt 0x6
	v_dual_lshrrev_b32 v26, s16, v26 :: v_dual_bitop2_b32 v27, 1, v44 bitop3:0x40
	ds_load_b64 v[22:23], v22
	ds_load_b64 v[24:25], v24
	s_clause 0x1
	global_store_b8 v[4:5], v31, off offset:5120
	global_store_b8 v[8:9], v32, off offset:6144
	s_wait_xcnt 0x0
	v_and_b32_e32 v8, s3, v26
	s_wait_dscnt 0x7
	v_and_b32_e32 v28, 1, v45
	v_add_nc_u64_e32 v[16:17], v[16:17], v[0:1]
	v_lshrrev_b32_e32 v9, s16, v27
	v_add_nc_u64_e32 v[20:21], v[20:21], v[0:1]
	s_wait_dscnt 0x3
	v_add_nc_u64_e32 v[4:5], s[14:15], v[12:13]
	v_lshlrev_b32_e32 v12, 3, v8
	v_dual_lshrrev_b32 v26, s16, v28 :: v_dual_lshrrev_b32 v29, s16, v29
	global_store_b8 v[16:17], v33, off offset:7168
	ds_load_b64 v[12:13], v12
	s_wait_xcnt 0x0
	v_and_b32_e32 v17, s3, v26
	v_and_b32_e32 v26, 1, v46
	;; [unrolled: 1-line block ×3, first 2 shown]
	s_wait_dscnt 0x3
	v_add_nc_u64_e32 v[8:9], s[14:15], v[18:19]
	v_add_nc_u64_e32 v[4:5], v[4:5], v[0:1]
	s_delay_alu instid0(VALU_DEP_3)
	v_dual_lshrrev_b32 v26, s16, v26 :: v_dual_lshlrev_b32 v27, 3, v16
	v_lshlrev_b32_e32 v28, 3, v17
	s_wait_dscnt 0x2
	v_add_nc_u64_e32 v[16:17], s[14:15], v[22:23]
	s_wait_dscnt 0x1
	v_add_nc_u64_e32 v[18:19], s[14:15], v[24:25]
	ds_load_b64 v[22:23], v27
	ds_load_b64 v[24:25], v28
	v_and_b32_e32 v27, 1, v47
	v_and_b32_e32 v26, s3, v26
	;; [unrolled: 1-line block ×3, first 2 shown]
	v_add_nc_u64_e32 v[8:9], v[8:9], v[0:1]
	v_add_nc_u64_e32 v[16:17], v[16:17], v[0:1]
	s_delay_alu instid0(VALU_DEP_4) | instskip(NEXT) | instid1(VALU_DEP_4)
	v_dual_lshrrev_b32 v31, s16, v27 :: v_dual_lshlrev_b32 v26, 3, v26
	v_lshrrev_b32_e32 v28, s16, v28
	s_wait_dscnt 0x2
	v_add_nc_u64_e32 v[12:13], s[14:15], v[12:13]
	v_add_nc_u64_e32 v[18:19], v[18:19], v[0:1]
	v_and_b32_e32 v31, s3, v31
	v_and_b32_e32 v30, 1, v40
	;; [unrolled: 1-line block ×3, first 2 shown]
	ds_load_b64 v[26:27], v26
	v_dual_lshlrev_b32 v31, 3, v31 :: v_dual_lshrrev_b32 v30, s16, v30
	v_lshlrev_b32_e32 v32, 3, v28
	s_wait_dscnt 0x2
	v_add_nc_u64_e32 v[22:23], s[14:15], v[22:23]
	s_wait_dscnt 0x1
	v_add_nc_u64_e32 v[24:25], s[14:15], v[24:25]
	v_add_nc_u64_e32 v[12:13], v[12:13], v[0:1]
	v_and_b32_e32 v30, s3, v30
	v_and_b32_e32 v29, s3, v29
	v_add_nc_u64_e32 v[22:23], v[22:23], v[0:1]
	s_delay_alu instid0(VALU_DEP_2)
	v_dual_lshlrev_b32 v34, 3, v30 :: v_dual_lshlrev_b32 v33, 3, v29
	ds_load_b64 v[28:29], v31
	ds_load_b64 v[30:31], v32
	;; [unrolled: 1-line block ×4, first 2 shown]
	v_add_nc_u64_e32 v[24:25], v[24:25], v[0:1]
	s_clause 0x6
	global_store_b8 v[4:5], v37, off offset:8192
	global_store_b8 v[8:9], v38, off offset:9216
	;; [unrolled: 1-line block ×7, first 2 shown]
	s_wait_dscnt 0x4
	s_wait_xcnt 0x6
	v_add_nc_u64_e32 v[4:5], s[14:15], v[26:27]
	s_delay_alu instid0(VALU_DEP_1)
	v_add_nc_u64_e32 v[4:5], v[4:5], v[0:1]
	s_wait_dscnt 0x3
	s_wait_xcnt 0x5
	v_add_nc_u64_e32 v[8:9], s[14:15], v[28:29]
	s_wait_dscnt 0x2
	s_wait_xcnt 0x2
	v_add_nc_u64_e32 v[12:13], s[14:15], v[30:31]
	s_wait_dscnt 0x1
	v_add_nc_u64_e32 v[16:17], s[14:15], v[32:33]
	s_wait_dscnt 0x0
	v_add_nc_u64_e32 v[18:19], s[14:15], v[34:35]
	v_add_nc_u64_e32 v[8:9], v[8:9], v[0:1]
	s_delay_alu instid0(VALU_DEP_4) | instskip(NEXT) | instid1(VALU_DEP_4)
	v_add_nc_u64_e32 v[12:13], v[12:13], v[0:1]
	v_add_nc_u64_e32 v[16:17], v[16:17], v[0:1]
	s_delay_alu instid0(VALU_DEP_4)
	v_add_nc_u64_e32 v[18:19], v[18:19], v[0:1]
	s_clause 0x6
	global_store_b8 v[4:5], v46, off offset:15360
	global_store_b8 v[8:9], v47, off offset:16384
	;; [unrolled: 1-line block ×7, first 2 shown]
	s_load_b32 s0, s[0:1], 0x58
	s_wait_kmcnt 0x0
	s_add_co_i32 s0, s0, -1
	s_delay_alu instid0(SALU_CYCLE_1) | instskip(SKIP_2) | instid1(SALU_CYCLE_1)
	s_cmp_eq_u32 s19, s0
	s_cselect_b32 s0, -1, 0
	s_xor_b32 s1, vcc_lo, -1
	s_and_b32 s0, s1, s0
	s_delay_alu instid0(SALU_CYCLE_1)
	s_and_saveexec_b32 s1, s0
	s_cbranch_execz .LBB1861_139
; %bb.138:
	ds_load_b64 v[2:3], v14
	v_mov_b32_e32 v11, 0
	s_delay_alu instid0(VALU_DEP_1) | instskip(SKIP_1) | instid1(VALU_DEP_1)
	v_add_nc_u64_e32 v[4:5], v[6:7], v[10:11]
	s_wait_dscnt 0x0
	v_add_nc_u64_e32 v[2:3], v[4:5], v[2:3]
	global_store_b64 v0, v[2:3], s[10:11] scale_offset
.LBB1861_139:
	s_sendmsg sendmsg(MSG_DEALLOC_VGPRS)
	s_endpgm
	.section	.rodata,"a",@progbits
	.p2align	6, 0x0
	.amdhsa_kernel _ZN7rocprim17ROCPRIM_400000_NS6detail17trampoline_kernelINS0_14default_configENS1_35radix_sort_onesweep_config_selectorIbNS0_10empty_typeEEEZZNS1_29radix_sort_onesweep_iterationIS3_Lb0EPKbPbPS5_SB_mNS0_19identity_decomposerENS1_16block_id_wrapperIjLb1EEEEE10hipError_tT1_PNSt15iterator_traitsISG_E10value_typeET2_T3_PNSH_ISM_E10value_typeET4_T5_PSR_SS_PNS1_23onesweep_lookback_stateEbbT6_jjT7_P12ihipStream_tbENKUlT_T0_SG_SL_E_clISA_SA_SB_SB_EEDaSZ_S10_SG_SL_EUlSZ_E_NS1_11comp_targetILNS1_3genE0ELNS1_11target_archE4294967295ELNS1_3gpuE0ELNS1_3repE0EEENS1_47radix_sort_onesweep_sort_config_static_selectorELNS0_4arch9wavefront6targetE0EEEvSG_
		.amdhsa_group_segment_fixed_size 32904
		.amdhsa_private_segment_fixed_size 0
		.amdhsa_kernarg_size 344
		.amdhsa_user_sgpr_count 2
		.amdhsa_user_sgpr_dispatch_ptr 0
		.amdhsa_user_sgpr_queue_ptr 0
		.amdhsa_user_sgpr_kernarg_segment_ptr 1
		.amdhsa_user_sgpr_dispatch_id 0
		.amdhsa_user_sgpr_kernarg_preload_length 0
		.amdhsa_user_sgpr_kernarg_preload_offset 0
		.amdhsa_user_sgpr_private_segment_size 0
		.amdhsa_wavefront_size32 1
		.amdhsa_uses_dynamic_stack 0
		.amdhsa_enable_private_segment 0
		.amdhsa_system_sgpr_workgroup_id_x 1
		.amdhsa_system_sgpr_workgroup_id_y 0
		.amdhsa_system_sgpr_workgroup_id_z 0
		.amdhsa_system_sgpr_workgroup_info 0
		.amdhsa_system_vgpr_workitem_id 0
		.amdhsa_next_free_vgpr 79
		.amdhsa_next_free_sgpr 25
		.amdhsa_named_barrier_count 0
		.amdhsa_reserve_vcc 1
		.amdhsa_float_round_mode_32 0
		.amdhsa_float_round_mode_16_64 0
		.amdhsa_float_denorm_mode_32 3
		.amdhsa_float_denorm_mode_16_64 3
		.amdhsa_fp16_overflow 0
		.amdhsa_memory_ordered 1
		.amdhsa_forward_progress 1
		.amdhsa_inst_pref_size 97
		.amdhsa_round_robin_scheduling 0
		.amdhsa_exception_fp_ieee_invalid_op 0
		.amdhsa_exception_fp_denorm_src 0
		.amdhsa_exception_fp_ieee_div_zero 0
		.amdhsa_exception_fp_ieee_overflow 0
		.amdhsa_exception_fp_ieee_underflow 0
		.amdhsa_exception_fp_ieee_inexact 0
		.amdhsa_exception_int_div_zero 0
	.end_amdhsa_kernel
	.section	.text._ZN7rocprim17ROCPRIM_400000_NS6detail17trampoline_kernelINS0_14default_configENS1_35radix_sort_onesweep_config_selectorIbNS0_10empty_typeEEEZZNS1_29radix_sort_onesweep_iterationIS3_Lb0EPKbPbPS5_SB_mNS0_19identity_decomposerENS1_16block_id_wrapperIjLb1EEEEE10hipError_tT1_PNSt15iterator_traitsISG_E10value_typeET2_T3_PNSH_ISM_E10value_typeET4_T5_PSR_SS_PNS1_23onesweep_lookback_stateEbbT6_jjT7_P12ihipStream_tbENKUlT_T0_SG_SL_E_clISA_SA_SB_SB_EEDaSZ_S10_SG_SL_EUlSZ_E_NS1_11comp_targetILNS1_3genE0ELNS1_11target_archE4294967295ELNS1_3gpuE0ELNS1_3repE0EEENS1_47radix_sort_onesweep_sort_config_static_selectorELNS0_4arch9wavefront6targetE0EEEvSG_,"axG",@progbits,_ZN7rocprim17ROCPRIM_400000_NS6detail17trampoline_kernelINS0_14default_configENS1_35radix_sort_onesweep_config_selectorIbNS0_10empty_typeEEEZZNS1_29radix_sort_onesweep_iterationIS3_Lb0EPKbPbPS5_SB_mNS0_19identity_decomposerENS1_16block_id_wrapperIjLb1EEEEE10hipError_tT1_PNSt15iterator_traitsISG_E10value_typeET2_T3_PNSH_ISM_E10value_typeET4_T5_PSR_SS_PNS1_23onesweep_lookback_stateEbbT6_jjT7_P12ihipStream_tbENKUlT_T0_SG_SL_E_clISA_SA_SB_SB_EEDaSZ_S10_SG_SL_EUlSZ_E_NS1_11comp_targetILNS1_3genE0ELNS1_11target_archE4294967295ELNS1_3gpuE0ELNS1_3repE0EEENS1_47radix_sort_onesweep_sort_config_static_selectorELNS0_4arch9wavefront6targetE0EEEvSG_,comdat
.Lfunc_end1861:
	.size	_ZN7rocprim17ROCPRIM_400000_NS6detail17trampoline_kernelINS0_14default_configENS1_35radix_sort_onesweep_config_selectorIbNS0_10empty_typeEEEZZNS1_29radix_sort_onesweep_iterationIS3_Lb0EPKbPbPS5_SB_mNS0_19identity_decomposerENS1_16block_id_wrapperIjLb1EEEEE10hipError_tT1_PNSt15iterator_traitsISG_E10value_typeET2_T3_PNSH_ISM_E10value_typeET4_T5_PSR_SS_PNS1_23onesweep_lookback_stateEbbT6_jjT7_P12ihipStream_tbENKUlT_T0_SG_SL_E_clISA_SA_SB_SB_EEDaSZ_S10_SG_SL_EUlSZ_E_NS1_11comp_targetILNS1_3genE0ELNS1_11target_archE4294967295ELNS1_3gpuE0ELNS1_3repE0EEENS1_47radix_sort_onesweep_sort_config_static_selectorELNS0_4arch9wavefront6targetE0EEEvSG_, .Lfunc_end1861-_ZN7rocprim17ROCPRIM_400000_NS6detail17trampoline_kernelINS0_14default_configENS1_35radix_sort_onesweep_config_selectorIbNS0_10empty_typeEEEZZNS1_29radix_sort_onesweep_iterationIS3_Lb0EPKbPbPS5_SB_mNS0_19identity_decomposerENS1_16block_id_wrapperIjLb1EEEEE10hipError_tT1_PNSt15iterator_traitsISG_E10value_typeET2_T3_PNSH_ISM_E10value_typeET4_T5_PSR_SS_PNS1_23onesweep_lookback_stateEbbT6_jjT7_P12ihipStream_tbENKUlT_T0_SG_SL_E_clISA_SA_SB_SB_EEDaSZ_S10_SG_SL_EUlSZ_E_NS1_11comp_targetILNS1_3genE0ELNS1_11target_archE4294967295ELNS1_3gpuE0ELNS1_3repE0EEENS1_47radix_sort_onesweep_sort_config_static_selectorELNS0_4arch9wavefront6targetE0EEEvSG_
                                        ; -- End function
	.set _ZN7rocprim17ROCPRIM_400000_NS6detail17trampoline_kernelINS0_14default_configENS1_35radix_sort_onesweep_config_selectorIbNS0_10empty_typeEEEZZNS1_29radix_sort_onesweep_iterationIS3_Lb0EPKbPbPS5_SB_mNS0_19identity_decomposerENS1_16block_id_wrapperIjLb1EEEEE10hipError_tT1_PNSt15iterator_traitsISG_E10value_typeET2_T3_PNSH_ISM_E10value_typeET4_T5_PSR_SS_PNS1_23onesweep_lookback_stateEbbT6_jjT7_P12ihipStream_tbENKUlT_T0_SG_SL_E_clISA_SA_SB_SB_EEDaSZ_S10_SG_SL_EUlSZ_E_NS1_11comp_targetILNS1_3genE0ELNS1_11target_archE4294967295ELNS1_3gpuE0ELNS1_3repE0EEENS1_47radix_sort_onesweep_sort_config_static_selectorELNS0_4arch9wavefront6targetE0EEEvSG_.num_vgpr, 79
	.set _ZN7rocprim17ROCPRIM_400000_NS6detail17trampoline_kernelINS0_14default_configENS1_35radix_sort_onesweep_config_selectorIbNS0_10empty_typeEEEZZNS1_29radix_sort_onesweep_iterationIS3_Lb0EPKbPbPS5_SB_mNS0_19identity_decomposerENS1_16block_id_wrapperIjLb1EEEEE10hipError_tT1_PNSt15iterator_traitsISG_E10value_typeET2_T3_PNSH_ISM_E10value_typeET4_T5_PSR_SS_PNS1_23onesweep_lookback_stateEbbT6_jjT7_P12ihipStream_tbENKUlT_T0_SG_SL_E_clISA_SA_SB_SB_EEDaSZ_S10_SG_SL_EUlSZ_E_NS1_11comp_targetILNS1_3genE0ELNS1_11target_archE4294967295ELNS1_3gpuE0ELNS1_3repE0EEENS1_47radix_sort_onesweep_sort_config_static_selectorELNS0_4arch9wavefront6targetE0EEEvSG_.num_agpr, 0
	.set _ZN7rocprim17ROCPRIM_400000_NS6detail17trampoline_kernelINS0_14default_configENS1_35radix_sort_onesweep_config_selectorIbNS0_10empty_typeEEEZZNS1_29radix_sort_onesweep_iterationIS3_Lb0EPKbPbPS5_SB_mNS0_19identity_decomposerENS1_16block_id_wrapperIjLb1EEEEE10hipError_tT1_PNSt15iterator_traitsISG_E10value_typeET2_T3_PNSH_ISM_E10value_typeET4_T5_PSR_SS_PNS1_23onesweep_lookback_stateEbbT6_jjT7_P12ihipStream_tbENKUlT_T0_SG_SL_E_clISA_SA_SB_SB_EEDaSZ_S10_SG_SL_EUlSZ_E_NS1_11comp_targetILNS1_3genE0ELNS1_11target_archE4294967295ELNS1_3gpuE0ELNS1_3repE0EEENS1_47radix_sort_onesweep_sort_config_static_selectorELNS0_4arch9wavefront6targetE0EEEvSG_.numbered_sgpr, 25
	.set _ZN7rocprim17ROCPRIM_400000_NS6detail17trampoline_kernelINS0_14default_configENS1_35radix_sort_onesweep_config_selectorIbNS0_10empty_typeEEEZZNS1_29radix_sort_onesweep_iterationIS3_Lb0EPKbPbPS5_SB_mNS0_19identity_decomposerENS1_16block_id_wrapperIjLb1EEEEE10hipError_tT1_PNSt15iterator_traitsISG_E10value_typeET2_T3_PNSH_ISM_E10value_typeET4_T5_PSR_SS_PNS1_23onesweep_lookback_stateEbbT6_jjT7_P12ihipStream_tbENKUlT_T0_SG_SL_E_clISA_SA_SB_SB_EEDaSZ_S10_SG_SL_EUlSZ_E_NS1_11comp_targetILNS1_3genE0ELNS1_11target_archE4294967295ELNS1_3gpuE0ELNS1_3repE0EEENS1_47radix_sort_onesweep_sort_config_static_selectorELNS0_4arch9wavefront6targetE0EEEvSG_.num_named_barrier, 0
	.set _ZN7rocprim17ROCPRIM_400000_NS6detail17trampoline_kernelINS0_14default_configENS1_35radix_sort_onesweep_config_selectorIbNS0_10empty_typeEEEZZNS1_29radix_sort_onesweep_iterationIS3_Lb0EPKbPbPS5_SB_mNS0_19identity_decomposerENS1_16block_id_wrapperIjLb1EEEEE10hipError_tT1_PNSt15iterator_traitsISG_E10value_typeET2_T3_PNSH_ISM_E10value_typeET4_T5_PSR_SS_PNS1_23onesweep_lookback_stateEbbT6_jjT7_P12ihipStream_tbENKUlT_T0_SG_SL_E_clISA_SA_SB_SB_EEDaSZ_S10_SG_SL_EUlSZ_E_NS1_11comp_targetILNS1_3genE0ELNS1_11target_archE4294967295ELNS1_3gpuE0ELNS1_3repE0EEENS1_47radix_sort_onesweep_sort_config_static_selectorELNS0_4arch9wavefront6targetE0EEEvSG_.private_seg_size, 0
	.set _ZN7rocprim17ROCPRIM_400000_NS6detail17trampoline_kernelINS0_14default_configENS1_35radix_sort_onesweep_config_selectorIbNS0_10empty_typeEEEZZNS1_29radix_sort_onesweep_iterationIS3_Lb0EPKbPbPS5_SB_mNS0_19identity_decomposerENS1_16block_id_wrapperIjLb1EEEEE10hipError_tT1_PNSt15iterator_traitsISG_E10value_typeET2_T3_PNSH_ISM_E10value_typeET4_T5_PSR_SS_PNS1_23onesweep_lookback_stateEbbT6_jjT7_P12ihipStream_tbENKUlT_T0_SG_SL_E_clISA_SA_SB_SB_EEDaSZ_S10_SG_SL_EUlSZ_E_NS1_11comp_targetILNS1_3genE0ELNS1_11target_archE4294967295ELNS1_3gpuE0ELNS1_3repE0EEENS1_47radix_sort_onesweep_sort_config_static_selectorELNS0_4arch9wavefront6targetE0EEEvSG_.uses_vcc, 1
	.set _ZN7rocprim17ROCPRIM_400000_NS6detail17trampoline_kernelINS0_14default_configENS1_35radix_sort_onesweep_config_selectorIbNS0_10empty_typeEEEZZNS1_29radix_sort_onesweep_iterationIS3_Lb0EPKbPbPS5_SB_mNS0_19identity_decomposerENS1_16block_id_wrapperIjLb1EEEEE10hipError_tT1_PNSt15iterator_traitsISG_E10value_typeET2_T3_PNSH_ISM_E10value_typeET4_T5_PSR_SS_PNS1_23onesweep_lookback_stateEbbT6_jjT7_P12ihipStream_tbENKUlT_T0_SG_SL_E_clISA_SA_SB_SB_EEDaSZ_S10_SG_SL_EUlSZ_E_NS1_11comp_targetILNS1_3genE0ELNS1_11target_archE4294967295ELNS1_3gpuE0ELNS1_3repE0EEENS1_47radix_sort_onesweep_sort_config_static_selectorELNS0_4arch9wavefront6targetE0EEEvSG_.uses_flat_scratch, 0
	.set _ZN7rocprim17ROCPRIM_400000_NS6detail17trampoline_kernelINS0_14default_configENS1_35radix_sort_onesweep_config_selectorIbNS0_10empty_typeEEEZZNS1_29radix_sort_onesweep_iterationIS3_Lb0EPKbPbPS5_SB_mNS0_19identity_decomposerENS1_16block_id_wrapperIjLb1EEEEE10hipError_tT1_PNSt15iterator_traitsISG_E10value_typeET2_T3_PNSH_ISM_E10value_typeET4_T5_PSR_SS_PNS1_23onesweep_lookback_stateEbbT6_jjT7_P12ihipStream_tbENKUlT_T0_SG_SL_E_clISA_SA_SB_SB_EEDaSZ_S10_SG_SL_EUlSZ_E_NS1_11comp_targetILNS1_3genE0ELNS1_11target_archE4294967295ELNS1_3gpuE0ELNS1_3repE0EEENS1_47radix_sort_onesweep_sort_config_static_selectorELNS0_4arch9wavefront6targetE0EEEvSG_.has_dyn_sized_stack, 0
	.set _ZN7rocprim17ROCPRIM_400000_NS6detail17trampoline_kernelINS0_14default_configENS1_35radix_sort_onesweep_config_selectorIbNS0_10empty_typeEEEZZNS1_29radix_sort_onesweep_iterationIS3_Lb0EPKbPbPS5_SB_mNS0_19identity_decomposerENS1_16block_id_wrapperIjLb1EEEEE10hipError_tT1_PNSt15iterator_traitsISG_E10value_typeET2_T3_PNSH_ISM_E10value_typeET4_T5_PSR_SS_PNS1_23onesweep_lookback_stateEbbT6_jjT7_P12ihipStream_tbENKUlT_T0_SG_SL_E_clISA_SA_SB_SB_EEDaSZ_S10_SG_SL_EUlSZ_E_NS1_11comp_targetILNS1_3genE0ELNS1_11target_archE4294967295ELNS1_3gpuE0ELNS1_3repE0EEENS1_47radix_sort_onesweep_sort_config_static_selectorELNS0_4arch9wavefront6targetE0EEEvSG_.has_recursion, 0
	.set _ZN7rocprim17ROCPRIM_400000_NS6detail17trampoline_kernelINS0_14default_configENS1_35radix_sort_onesweep_config_selectorIbNS0_10empty_typeEEEZZNS1_29radix_sort_onesweep_iterationIS3_Lb0EPKbPbPS5_SB_mNS0_19identity_decomposerENS1_16block_id_wrapperIjLb1EEEEE10hipError_tT1_PNSt15iterator_traitsISG_E10value_typeET2_T3_PNSH_ISM_E10value_typeET4_T5_PSR_SS_PNS1_23onesweep_lookback_stateEbbT6_jjT7_P12ihipStream_tbENKUlT_T0_SG_SL_E_clISA_SA_SB_SB_EEDaSZ_S10_SG_SL_EUlSZ_E_NS1_11comp_targetILNS1_3genE0ELNS1_11target_archE4294967295ELNS1_3gpuE0ELNS1_3repE0EEENS1_47radix_sort_onesweep_sort_config_static_selectorELNS0_4arch9wavefront6targetE0EEEvSG_.has_indirect_call, 0
	.section	.AMDGPU.csdata,"",@progbits
; Kernel info:
; codeLenInByte = 12348
; TotalNumSgprs: 27
; NumVgprs: 79
; ScratchSize: 0
; MemoryBound: 0
; FloatMode: 240
; IeeeMode: 1
; LDSByteSize: 32904 bytes/workgroup (compile time only)
; SGPRBlocks: 0
; VGPRBlocks: 4
; NumSGPRsForWavesPerEU: 27
; NumVGPRsForWavesPerEU: 79
; NamedBarCnt: 0
; Occupancy: 12
; WaveLimiterHint : 0
; COMPUTE_PGM_RSRC2:SCRATCH_EN: 0
; COMPUTE_PGM_RSRC2:USER_SGPR: 2
; COMPUTE_PGM_RSRC2:TRAP_HANDLER: 0
; COMPUTE_PGM_RSRC2:TGID_X_EN: 1
; COMPUTE_PGM_RSRC2:TGID_Y_EN: 0
; COMPUTE_PGM_RSRC2:TGID_Z_EN: 0
; COMPUTE_PGM_RSRC2:TIDIG_COMP_CNT: 0
	.section	.text._ZN7rocprim17ROCPRIM_400000_NS6detail17trampoline_kernelINS0_14default_configENS1_35radix_sort_onesweep_config_selectorIbNS0_10empty_typeEEEZZNS1_29radix_sort_onesweep_iterationIS3_Lb0EPKbPbPS5_SB_mNS0_19identity_decomposerENS1_16block_id_wrapperIjLb1EEEEE10hipError_tT1_PNSt15iterator_traitsISG_E10value_typeET2_T3_PNSH_ISM_E10value_typeET4_T5_PSR_SS_PNS1_23onesweep_lookback_stateEbbT6_jjT7_P12ihipStream_tbENKUlT_T0_SG_SL_E_clISA_SA_SB_SB_EEDaSZ_S10_SG_SL_EUlSZ_E_NS1_11comp_targetILNS1_3genE6ELNS1_11target_archE950ELNS1_3gpuE13ELNS1_3repE0EEENS1_47radix_sort_onesweep_sort_config_static_selectorELNS0_4arch9wavefront6targetE0EEEvSG_,"axG",@progbits,_ZN7rocprim17ROCPRIM_400000_NS6detail17trampoline_kernelINS0_14default_configENS1_35radix_sort_onesweep_config_selectorIbNS0_10empty_typeEEEZZNS1_29radix_sort_onesweep_iterationIS3_Lb0EPKbPbPS5_SB_mNS0_19identity_decomposerENS1_16block_id_wrapperIjLb1EEEEE10hipError_tT1_PNSt15iterator_traitsISG_E10value_typeET2_T3_PNSH_ISM_E10value_typeET4_T5_PSR_SS_PNS1_23onesweep_lookback_stateEbbT6_jjT7_P12ihipStream_tbENKUlT_T0_SG_SL_E_clISA_SA_SB_SB_EEDaSZ_S10_SG_SL_EUlSZ_E_NS1_11comp_targetILNS1_3genE6ELNS1_11target_archE950ELNS1_3gpuE13ELNS1_3repE0EEENS1_47radix_sort_onesweep_sort_config_static_selectorELNS0_4arch9wavefront6targetE0EEEvSG_,comdat
	.protected	_ZN7rocprim17ROCPRIM_400000_NS6detail17trampoline_kernelINS0_14default_configENS1_35radix_sort_onesweep_config_selectorIbNS0_10empty_typeEEEZZNS1_29radix_sort_onesweep_iterationIS3_Lb0EPKbPbPS5_SB_mNS0_19identity_decomposerENS1_16block_id_wrapperIjLb1EEEEE10hipError_tT1_PNSt15iterator_traitsISG_E10value_typeET2_T3_PNSH_ISM_E10value_typeET4_T5_PSR_SS_PNS1_23onesweep_lookback_stateEbbT6_jjT7_P12ihipStream_tbENKUlT_T0_SG_SL_E_clISA_SA_SB_SB_EEDaSZ_S10_SG_SL_EUlSZ_E_NS1_11comp_targetILNS1_3genE6ELNS1_11target_archE950ELNS1_3gpuE13ELNS1_3repE0EEENS1_47radix_sort_onesweep_sort_config_static_selectorELNS0_4arch9wavefront6targetE0EEEvSG_ ; -- Begin function _ZN7rocprim17ROCPRIM_400000_NS6detail17trampoline_kernelINS0_14default_configENS1_35radix_sort_onesweep_config_selectorIbNS0_10empty_typeEEEZZNS1_29radix_sort_onesweep_iterationIS3_Lb0EPKbPbPS5_SB_mNS0_19identity_decomposerENS1_16block_id_wrapperIjLb1EEEEE10hipError_tT1_PNSt15iterator_traitsISG_E10value_typeET2_T3_PNSH_ISM_E10value_typeET4_T5_PSR_SS_PNS1_23onesweep_lookback_stateEbbT6_jjT7_P12ihipStream_tbENKUlT_T0_SG_SL_E_clISA_SA_SB_SB_EEDaSZ_S10_SG_SL_EUlSZ_E_NS1_11comp_targetILNS1_3genE6ELNS1_11target_archE950ELNS1_3gpuE13ELNS1_3repE0EEENS1_47radix_sort_onesweep_sort_config_static_selectorELNS0_4arch9wavefront6targetE0EEEvSG_
	.globl	_ZN7rocprim17ROCPRIM_400000_NS6detail17trampoline_kernelINS0_14default_configENS1_35radix_sort_onesweep_config_selectorIbNS0_10empty_typeEEEZZNS1_29radix_sort_onesweep_iterationIS3_Lb0EPKbPbPS5_SB_mNS0_19identity_decomposerENS1_16block_id_wrapperIjLb1EEEEE10hipError_tT1_PNSt15iterator_traitsISG_E10value_typeET2_T3_PNSH_ISM_E10value_typeET4_T5_PSR_SS_PNS1_23onesweep_lookback_stateEbbT6_jjT7_P12ihipStream_tbENKUlT_T0_SG_SL_E_clISA_SA_SB_SB_EEDaSZ_S10_SG_SL_EUlSZ_E_NS1_11comp_targetILNS1_3genE6ELNS1_11target_archE950ELNS1_3gpuE13ELNS1_3repE0EEENS1_47radix_sort_onesweep_sort_config_static_selectorELNS0_4arch9wavefront6targetE0EEEvSG_
	.p2align	8
	.type	_ZN7rocprim17ROCPRIM_400000_NS6detail17trampoline_kernelINS0_14default_configENS1_35radix_sort_onesweep_config_selectorIbNS0_10empty_typeEEEZZNS1_29radix_sort_onesweep_iterationIS3_Lb0EPKbPbPS5_SB_mNS0_19identity_decomposerENS1_16block_id_wrapperIjLb1EEEEE10hipError_tT1_PNSt15iterator_traitsISG_E10value_typeET2_T3_PNSH_ISM_E10value_typeET4_T5_PSR_SS_PNS1_23onesweep_lookback_stateEbbT6_jjT7_P12ihipStream_tbENKUlT_T0_SG_SL_E_clISA_SA_SB_SB_EEDaSZ_S10_SG_SL_EUlSZ_E_NS1_11comp_targetILNS1_3genE6ELNS1_11target_archE950ELNS1_3gpuE13ELNS1_3repE0EEENS1_47radix_sort_onesweep_sort_config_static_selectorELNS0_4arch9wavefront6targetE0EEEvSG_,@function
_ZN7rocprim17ROCPRIM_400000_NS6detail17trampoline_kernelINS0_14default_configENS1_35radix_sort_onesweep_config_selectorIbNS0_10empty_typeEEEZZNS1_29radix_sort_onesweep_iterationIS3_Lb0EPKbPbPS5_SB_mNS0_19identity_decomposerENS1_16block_id_wrapperIjLb1EEEEE10hipError_tT1_PNSt15iterator_traitsISG_E10value_typeET2_T3_PNSH_ISM_E10value_typeET4_T5_PSR_SS_PNS1_23onesweep_lookback_stateEbbT6_jjT7_P12ihipStream_tbENKUlT_T0_SG_SL_E_clISA_SA_SB_SB_EEDaSZ_S10_SG_SL_EUlSZ_E_NS1_11comp_targetILNS1_3genE6ELNS1_11target_archE950ELNS1_3gpuE13ELNS1_3repE0EEENS1_47radix_sort_onesweep_sort_config_static_selectorELNS0_4arch9wavefront6targetE0EEEvSG_: ; @_ZN7rocprim17ROCPRIM_400000_NS6detail17trampoline_kernelINS0_14default_configENS1_35radix_sort_onesweep_config_selectorIbNS0_10empty_typeEEEZZNS1_29radix_sort_onesweep_iterationIS3_Lb0EPKbPbPS5_SB_mNS0_19identity_decomposerENS1_16block_id_wrapperIjLb1EEEEE10hipError_tT1_PNSt15iterator_traitsISG_E10value_typeET2_T3_PNSH_ISM_E10value_typeET4_T5_PSR_SS_PNS1_23onesweep_lookback_stateEbbT6_jjT7_P12ihipStream_tbENKUlT_T0_SG_SL_E_clISA_SA_SB_SB_EEDaSZ_S10_SG_SL_EUlSZ_E_NS1_11comp_targetILNS1_3genE6ELNS1_11target_archE950ELNS1_3gpuE13ELNS1_3repE0EEENS1_47radix_sort_onesweep_sort_config_static_selectorELNS0_4arch9wavefront6targetE0EEEvSG_
; %bb.0:
	.section	.rodata,"a",@progbits
	.p2align	6, 0x0
	.amdhsa_kernel _ZN7rocprim17ROCPRIM_400000_NS6detail17trampoline_kernelINS0_14default_configENS1_35radix_sort_onesweep_config_selectorIbNS0_10empty_typeEEEZZNS1_29radix_sort_onesweep_iterationIS3_Lb0EPKbPbPS5_SB_mNS0_19identity_decomposerENS1_16block_id_wrapperIjLb1EEEEE10hipError_tT1_PNSt15iterator_traitsISG_E10value_typeET2_T3_PNSH_ISM_E10value_typeET4_T5_PSR_SS_PNS1_23onesweep_lookback_stateEbbT6_jjT7_P12ihipStream_tbENKUlT_T0_SG_SL_E_clISA_SA_SB_SB_EEDaSZ_S10_SG_SL_EUlSZ_E_NS1_11comp_targetILNS1_3genE6ELNS1_11target_archE950ELNS1_3gpuE13ELNS1_3repE0EEENS1_47radix_sort_onesweep_sort_config_static_selectorELNS0_4arch9wavefront6targetE0EEEvSG_
		.amdhsa_group_segment_fixed_size 0
		.amdhsa_private_segment_fixed_size 0
		.amdhsa_kernarg_size 88
		.amdhsa_user_sgpr_count 2
		.amdhsa_user_sgpr_dispatch_ptr 0
		.amdhsa_user_sgpr_queue_ptr 0
		.amdhsa_user_sgpr_kernarg_segment_ptr 1
		.amdhsa_user_sgpr_dispatch_id 0
		.amdhsa_user_sgpr_kernarg_preload_length 0
		.amdhsa_user_sgpr_kernarg_preload_offset 0
		.amdhsa_user_sgpr_private_segment_size 0
		.amdhsa_wavefront_size32 1
		.amdhsa_uses_dynamic_stack 0
		.amdhsa_enable_private_segment 0
		.amdhsa_system_sgpr_workgroup_id_x 1
		.amdhsa_system_sgpr_workgroup_id_y 0
		.amdhsa_system_sgpr_workgroup_id_z 0
		.amdhsa_system_sgpr_workgroup_info 0
		.amdhsa_system_vgpr_workitem_id 0
		.amdhsa_next_free_vgpr 1
		.amdhsa_next_free_sgpr 1
		.amdhsa_named_barrier_count 0
		.amdhsa_reserve_vcc 0
		.amdhsa_float_round_mode_32 0
		.amdhsa_float_round_mode_16_64 0
		.amdhsa_float_denorm_mode_32 3
		.amdhsa_float_denorm_mode_16_64 3
		.amdhsa_fp16_overflow 0
		.amdhsa_memory_ordered 1
		.amdhsa_forward_progress 1
		.amdhsa_inst_pref_size 0
		.amdhsa_round_robin_scheduling 0
		.amdhsa_exception_fp_ieee_invalid_op 0
		.amdhsa_exception_fp_denorm_src 0
		.amdhsa_exception_fp_ieee_div_zero 0
		.amdhsa_exception_fp_ieee_overflow 0
		.amdhsa_exception_fp_ieee_underflow 0
		.amdhsa_exception_fp_ieee_inexact 0
		.amdhsa_exception_int_div_zero 0
	.end_amdhsa_kernel
	.section	.text._ZN7rocprim17ROCPRIM_400000_NS6detail17trampoline_kernelINS0_14default_configENS1_35radix_sort_onesweep_config_selectorIbNS0_10empty_typeEEEZZNS1_29radix_sort_onesweep_iterationIS3_Lb0EPKbPbPS5_SB_mNS0_19identity_decomposerENS1_16block_id_wrapperIjLb1EEEEE10hipError_tT1_PNSt15iterator_traitsISG_E10value_typeET2_T3_PNSH_ISM_E10value_typeET4_T5_PSR_SS_PNS1_23onesweep_lookback_stateEbbT6_jjT7_P12ihipStream_tbENKUlT_T0_SG_SL_E_clISA_SA_SB_SB_EEDaSZ_S10_SG_SL_EUlSZ_E_NS1_11comp_targetILNS1_3genE6ELNS1_11target_archE950ELNS1_3gpuE13ELNS1_3repE0EEENS1_47radix_sort_onesweep_sort_config_static_selectorELNS0_4arch9wavefront6targetE0EEEvSG_,"axG",@progbits,_ZN7rocprim17ROCPRIM_400000_NS6detail17trampoline_kernelINS0_14default_configENS1_35radix_sort_onesweep_config_selectorIbNS0_10empty_typeEEEZZNS1_29radix_sort_onesweep_iterationIS3_Lb0EPKbPbPS5_SB_mNS0_19identity_decomposerENS1_16block_id_wrapperIjLb1EEEEE10hipError_tT1_PNSt15iterator_traitsISG_E10value_typeET2_T3_PNSH_ISM_E10value_typeET4_T5_PSR_SS_PNS1_23onesweep_lookback_stateEbbT6_jjT7_P12ihipStream_tbENKUlT_T0_SG_SL_E_clISA_SA_SB_SB_EEDaSZ_S10_SG_SL_EUlSZ_E_NS1_11comp_targetILNS1_3genE6ELNS1_11target_archE950ELNS1_3gpuE13ELNS1_3repE0EEENS1_47radix_sort_onesweep_sort_config_static_selectorELNS0_4arch9wavefront6targetE0EEEvSG_,comdat
.Lfunc_end1862:
	.size	_ZN7rocprim17ROCPRIM_400000_NS6detail17trampoline_kernelINS0_14default_configENS1_35radix_sort_onesweep_config_selectorIbNS0_10empty_typeEEEZZNS1_29radix_sort_onesweep_iterationIS3_Lb0EPKbPbPS5_SB_mNS0_19identity_decomposerENS1_16block_id_wrapperIjLb1EEEEE10hipError_tT1_PNSt15iterator_traitsISG_E10value_typeET2_T3_PNSH_ISM_E10value_typeET4_T5_PSR_SS_PNS1_23onesweep_lookback_stateEbbT6_jjT7_P12ihipStream_tbENKUlT_T0_SG_SL_E_clISA_SA_SB_SB_EEDaSZ_S10_SG_SL_EUlSZ_E_NS1_11comp_targetILNS1_3genE6ELNS1_11target_archE950ELNS1_3gpuE13ELNS1_3repE0EEENS1_47radix_sort_onesweep_sort_config_static_selectorELNS0_4arch9wavefront6targetE0EEEvSG_, .Lfunc_end1862-_ZN7rocprim17ROCPRIM_400000_NS6detail17trampoline_kernelINS0_14default_configENS1_35radix_sort_onesweep_config_selectorIbNS0_10empty_typeEEEZZNS1_29radix_sort_onesweep_iterationIS3_Lb0EPKbPbPS5_SB_mNS0_19identity_decomposerENS1_16block_id_wrapperIjLb1EEEEE10hipError_tT1_PNSt15iterator_traitsISG_E10value_typeET2_T3_PNSH_ISM_E10value_typeET4_T5_PSR_SS_PNS1_23onesweep_lookback_stateEbbT6_jjT7_P12ihipStream_tbENKUlT_T0_SG_SL_E_clISA_SA_SB_SB_EEDaSZ_S10_SG_SL_EUlSZ_E_NS1_11comp_targetILNS1_3genE6ELNS1_11target_archE950ELNS1_3gpuE13ELNS1_3repE0EEENS1_47radix_sort_onesweep_sort_config_static_selectorELNS0_4arch9wavefront6targetE0EEEvSG_
                                        ; -- End function
	.set _ZN7rocprim17ROCPRIM_400000_NS6detail17trampoline_kernelINS0_14default_configENS1_35radix_sort_onesweep_config_selectorIbNS0_10empty_typeEEEZZNS1_29radix_sort_onesweep_iterationIS3_Lb0EPKbPbPS5_SB_mNS0_19identity_decomposerENS1_16block_id_wrapperIjLb1EEEEE10hipError_tT1_PNSt15iterator_traitsISG_E10value_typeET2_T3_PNSH_ISM_E10value_typeET4_T5_PSR_SS_PNS1_23onesweep_lookback_stateEbbT6_jjT7_P12ihipStream_tbENKUlT_T0_SG_SL_E_clISA_SA_SB_SB_EEDaSZ_S10_SG_SL_EUlSZ_E_NS1_11comp_targetILNS1_3genE6ELNS1_11target_archE950ELNS1_3gpuE13ELNS1_3repE0EEENS1_47radix_sort_onesweep_sort_config_static_selectorELNS0_4arch9wavefront6targetE0EEEvSG_.num_vgpr, 0
	.set _ZN7rocprim17ROCPRIM_400000_NS6detail17trampoline_kernelINS0_14default_configENS1_35radix_sort_onesweep_config_selectorIbNS0_10empty_typeEEEZZNS1_29radix_sort_onesweep_iterationIS3_Lb0EPKbPbPS5_SB_mNS0_19identity_decomposerENS1_16block_id_wrapperIjLb1EEEEE10hipError_tT1_PNSt15iterator_traitsISG_E10value_typeET2_T3_PNSH_ISM_E10value_typeET4_T5_PSR_SS_PNS1_23onesweep_lookback_stateEbbT6_jjT7_P12ihipStream_tbENKUlT_T0_SG_SL_E_clISA_SA_SB_SB_EEDaSZ_S10_SG_SL_EUlSZ_E_NS1_11comp_targetILNS1_3genE6ELNS1_11target_archE950ELNS1_3gpuE13ELNS1_3repE0EEENS1_47radix_sort_onesweep_sort_config_static_selectorELNS0_4arch9wavefront6targetE0EEEvSG_.num_agpr, 0
	.set _ZN7rocprim17ROCPRIM_400000_NS6detail17trampoline_kernelINS0_14default_configENS1_35radix_sort_onesweep_config_selectorIbNS0_10empty_typeEEEZZNS1_29radix_sort_onesweep_iterationIS3_Lb0EPKbPbPS5_SB_mNS0_19identity_decomposerENS1_16block_id_wrapperIjLb1EEEEE10hipError_tT1_PNSt15iterator_traitsISG_E10value_typeET2_T3_PNSH_ISM_E10value_typeET4_T5_PSR_SS_PNS1_23onesweep_lookback_stateEbbT6_jjT7_P12ihipStream_tbENKUlT_T0_SG_SL_E_clISA_SA_SB_SB_EEDaSZ_S10_SG_SL_EUlSZ_E_NS1_11comp_targetILNS1_3genE6ELNS1_11target_archE950ELNS1_3gpuE13ELNS1_3repE0EEENS1_47radix_sort_onesweep_sort_config_static_selectorELNS0_4arch9wavefront6targetE0EEEvSG_.numbered_sgpr, 0
	.set _ZN7rocprim17ROCPRIM_400000_NS6detail17trampoline_kernelINS0_14default_configENS1_35radix_sort_onesweep_config_selectorIbNS0_10empty_typeEEEZZNS1_29radix_sort_onesweep_iterationIS3_Lb0EPKbPbPS5_SB_mNS0_19identity_decomposerENS1_16block_id_wrapperIjLb1EEEEE10hipError_tT1_PNSt15iterator_traitsISG_E10value_typeET2_T3_PNSH_ISM_E10value_typeET4_T5_PSR_SS_PNS1_23onesweep_lookback_stateEbbT6_jjT7_P12ihipStream_tbENKUlT_T0_SG_SL_E_clISA_SA_SB_SB_EEDaSZ_S10_SG_SL_EUlSZ_E_NS1_11comp_targetILNS1_3genE6ELNS1_11target_archE950ELNS1_3gpuE13ELNS1_3repE0EEENS1_47radix_sort_onesweep_sort_config_static_selectorELNS0_4arch9wavefront6targetE0EEEvSG_.num_named_barrier, 0
	.set _ZN7rocprim17ROCPRIM_400000_NS6detail17trampoline_kernelINS0_14default_configENS1_35radix_sort_onesweep_config_selectorIbNS0_10empty_typeEEEZZNS1_29radix_sort_onesweep_iterationIS3_Lb0EPKbPbPS5_SB_mNS0_19identity_decomposerENS1_16block_id_wrapperIjLb1EEEEE10hipError_tT1_PNSt15iterator_traitsISG_E10value_typeET2_T3_PNSH_ISM_E10value_typeET4_T5_PSR_SS_PNS1_23onesweep_lookback_stateEbbT6_jjT7_P12ihipStream_tbENKUlT_T0_SG_SL_E_clISA_SA_SB_SB_EEDaSZ_S10_SG_SL_EUlSZ_E_NS1_11comp_targetILNS1_3genE6ELNS1_11target_archE950ELNS1_3gpuE13ELNS1_3repE0EEENS1_47radix_sort_onesweep_sort_config_static_selectorELNS0_4arch9wavefront6targetE0EEEvSG_.private_seg_size, 0
	.set _ZN7rocprim17ROCPRIM_400000_NS6detail17trampoline_kernelINS0_14default_configENS1_35radix_sort_onesweep_config_selectorIbNS0_10empty_typeEEEZZNS1_29radix_sort_onesweep_iterationIS3_Lb0EPKbPbPS5_SB_mNS0_19identity_decomposerENS1_16block_id_wrapperIjLb1EEEEE10hipError_tT1_PNSt15iterator_traitsISG_E10value_typeET2_T3_PNSH_ISM_E10value_typeET4_T5_PSR_SS_PNS1_23onesweep_lookback_stateEbbT6_jjT7_P12ihipStream_tbENKUlT_T0_SG_SL_E_clISA_SA_SB_SB_EEDaSZ_S10_SG_SL_EUlSZ_E_NS1_11comp_targetILNS1_3genE6ELNS1_11target_archE950ELNS1_3gpuE13ELNS1_3repE0EEENS1_47radix_sort_onesweep_sort_config_static_selectorELNS0_4arch9wavefront6targetE0EEEvSG_.uses_vcc, 0
	.set _ZN7rocprim17ROCPRIM_400000_NS6detail17trampoline_kernelINS0_14default_configENS1_35radix_sort_onesweep_config_selectorIbNS0_10empty_typeEEEZZNS1_29radix_sort_onesweep_iterationIS3_Lb0EPKbPbPS5_SB_mNS0_19identity_decomposerENS1_16block_id_wrapperIjLb1EEEEE10hipError_tT1_PNSt15iterator_traitsISG_E10value_typeET2_T3_PNSH_ISM_E10value_typeET4_T5_PSR_SS_PNS1_23onesweep_lookback_stateEbbT6_jjT7_P12ihipStream_tbENKUlT_T0_SG_SL_E_clISA_SA_SB_SB_EEDaSZ_S10_SG_SL_EUlSZ_E_NS1_11comp_targetILNS1_3genE6ELNS1_11target_archE950ELNS1_3gpuE13ELNS1_3repE0EEENS1_47radix_sort_onesweep_sort_config_static_selectorELNS0_4arch9wavefront6targetE0EEEvSG_.uses_flat_scratch, 0
	.set _ZN7rocprim17ROCPRIM_400000_NS6detail17trampoline_kernelINS0_14default_configENS1_35radix_sort_onesweep_config_selectorIbNS0_10empty_typeEEEZZNS1_29radix_sort_onesweep_iterationIS3_Lb0EPKbPbPS5_SB_mNS0_19identity_decomposerENS1_16block_id_wrapperIjLb1EEEEE10hipError_tT1_PNSt15iterator_traitsISG_E10value_typeET2_T3_PNSH_ISM_E10value_typeET4_T5_PSR_SS_PNS1_23onesweep_lookback_stateEbbT6_jjT7_P12ihipStream_tbENKUlT_T0_SG_SL_E_clISA_SA_SB_SB_EEDaSZ_S10_SG_SL_EUlSZ_E_NS1_11comp_targetILNS1_3genE6ELNS1_11target_archE950ELNS1_3gpuE13ELNS1_3repE0EEENS1_47radix_sort_onesweep_sort_config_static_selectorELNS0_4arch9wavefront6targetE0EEEvSG_.has_dyn_sized_stack, 0
	.set _ZN7rocprim17ROCPRIM_400000_NS6detail17trampoline_kernelINS0_14default_configENS1_35radix_sort_onesweep_config_selectorIbNS0_10empty_typeEEEZZNS1_29radix_sort_onesweep_iterationIS3_Lb0EPKbPbPS5_SB_mNS0_19identity_decomposerENS1_16block_id_wrapperIjLb1EEEEE10hipError_tT1_PNSt15iterator_traitsISG_E10value_typeET2_T3_PNSH_ISM_E10value_typeET4_T5_PSR_SS_PNS1_23onesweep_lookback_stateEbbT6_jjT7_P12ihipStream_tbENKUlT_T0_SG_SL_E_clISA_SA_SB_SB_EEDaSZ_S10_SG_SL_EUlSZ_E_NS1_11comp_targetILNS1_3genE6ELNS1_11target_archE950ELNS1_3gpuE13ELNS1_3repE0EEENS1_47radix_sort_onesweep_sort_config_static_selectorELNS0_4arch9wavefront6targetE0EEEvSG_.has_recursion, 0
	.set _ZN7rocprim17ROCPRIM_400000_NS6detail17trampoline_kernelINS0_14default_configENS1_35radix_sort_onesweep_config_selectorIbNS0_10empty_typeEEEZZNS1_29radix_sort_onesweep_iterationIS3_Lb0EPKbPbPS5_SB_mNS0_19identity_decomposerENS1_16block_id_wrapperIjLb1EEEEE10hipError_tT1_PNSt15iterator_traitsISG_E10value_typeET2_T3_PNSH_ISM_E10value_typeET4_T5_PSR_SS_PNS1_23onesweep_lookback_stateEbbT6_jjT7_P12ihipStream_tbENKUlT_T0_SG_SL_E_clISA_SA_SB_SB_EEDaSZ_S10_SG_SL_EUlSZ_E_NS1_11comp_targetILNS1_3genE6ELNS1_11target_archE950ELNS1_3gpuE13ELNS1_3repE0EEENS1_47radix_sort_onesweep_sort_config_static_selectorELNS0_4arch9wavefront6targetE0EEEvSG_.has_indirect_call, 0
	.section	.AMDGPU.csdata,"",@progbits
; Kernel info:
; codeLenInByte = 0
; TotalNumSgprs: 0
; NumVgprs: 0
; ScratchSize: 0
; MemoryBound: 0
; FloatMode: 240
; IeeeMode: 1
; LDSByteSize: 0 bytes/workgroup (compile time only)
; SGPRBlocks: 0
; VGPRBlocks: 0
; NumSGPRsForWavesPerEU: 1
; NumVGPRsForWavesPerEU: 1
; NamedBarCnt: 0
; Occupancy: 16
; WaveLimiterHint : 0
; COMPUTE_PGM_RSRC2:SCRATCH_EN: 0
; COMPUTE_PGM_RSRC2:USER_SGPR: 2
; COMPUTE_PGM_RSRC2:TRAP_HANDLER: 0
; COMPUTE_PGM_RSRC2:TGID_X_EN: 1
; COMPUTE_PGM_RSRC2:TGID_Y_EN: 0
; COMPUTE_PGM_RSRC2:TGID_Z_EN: 0
; COMPUTE_PGM_RSRC2:TIDIG_COMP_CNT: 0
	.section	.text._ZN7rocprim17ROCPRIM_400000_NS6detail17trampoline_kernelINS0_14default_configENS1_35radix_sort_onesweep_config_selectorIbNS0_10empty_typeEEEZZNS1_29radix_sort_onesweep_iterationIS3_Lb0EPKbPbPS5_SB_mNS0_19identity_decomposerENS1_16block_id_wrapperIjLb1EEEEE10hipError_tT1_PNSt15iterator_traitsISG_E10value_typeET2_T3_PNSH_ISM_E10value_typeET4_T5_PSR_SS_PNS1_23onesweep_lookback_stateEbbT6_jjT7_P12ihipStream_tbENKUlT_T0_SG_SL_E_clISA_SA_SB_SB_EEDaSZ_S10_SG_SL_EUlSZ_E_NS1_11comp_targetILNS1_3genE5ELNS1_11target_archE942ELNS1_3gpuE9ELNS1_3repE0EEENS1_47radix_sort_onesweep_sort_config_static_selectorELNS0_4arch9wavefront6targetE0EEEvSG_,"axG",@progbits,_ZN7rocprim17ROCPRIM_400000_NS6detail17trampoline_kernelINS0_14default_configENS1_35radix_sort_onesweep_config_selectorIbNS0_10empty_typeEEEZZNS1_29radix_sort_onesweep_iterationIS3_Lb0EPKbPbPS5_SB_mNS0_19identity_decomposerENS1_16block_id_wrapperIjLb1EEEEE10hipError_tT1_PNSt15iterator_traitsISG_E10value_typeET2_T3_PNSH_ISM_E10value_typeET4_T5_PSR_SS_PNS1_23onesweep_lookback_stateEbbT6_jjT7_P12ihipStream_tbENKUlT_T0_SG_SL_E_clISA_SA_SB_SB_EEDaSZ_S10_SG_SL_EUlSZ_E_NS1_11comp_targetILNS1_3genE5ELNS1_11target_archE942ELNS1_3gpuE9ELNS1_3repE0EEENS1_47radix_sort_onesweep_sort_config_static_selectorELNS0_4arch9wavefront6targetE0EEEvSG_,comdat
	.protected	_ZN7rocprim17ROCPRIM_400000_NS6detail17trampoline_kernelINS0_14default_configENS1_35radix_sort_onesweep_config_selectorIbNS0_10empty_typeEEEZZNS1_29radix_sort_onesweep_iterationIS3_Lb0EPKbPbPS5_SB_mNS0_19identity_decomposerENS1_16block_id_wrapperIjLb1EEEEE10hipError_tT1_PNSt15iterator_traitsISG_E10value_typeET2_T3_PNSH_ISM_E10value_typeET4_T5_PSR_SS_PNS1_23onesweep_lookback_stateEbbT6_jjT7_P12ihipStream_tbENKUlT_T0_SG_SL_E_clISA_SA_SB_SB_EEDaSZ_S10_SG_SL_EUlSZ_E_NS1_11comp_targetILNS1_3genE5ELNS1_11target_archE942ELNS1_3gpuE9ELNS1_3repE0EEENS1_47radix_sort_onesweep_sort_config_static_selectorELNS0_4arch9wavefront6targetE0EEEvSG_ ; -- Begin function _ZN7rocprim17ROCPRIM_400000_NS6detail17trampoline_kernelINS0_14default_configENS1_35radix_sort_onesweep_config_selectorIbNS0_10empty_typeEEEZZNS1_29radix_sort_onesweep_iterationIS3_Lb0EPKbPbPS5_SB_mNS0_19identity_decomposerENS1_16block_id_wrapperIjLb1EEEEE10hipError_tT1_PNSt15iterator_traitsISG_E10value_typeET2_T3_PNSH_ISM_E10value_typeET4_T5_PSR_SS_PNS1_23onesweep_lookback_stateEbbT6_jjT7_P12ihipStream_tbENKUlT_T0_SG_SL_E_clISA_SA_SB_SB_EEDaSZ_S10_SG_SL_EUlSZ_E_NS1_11comp_targetILNS1_3genE5ELNS1_11target_archE942ELNS1_3gpuE9ELNS1_3repE0EEENS1_47radix_sort_onesweep_sort_config_static_selectorELNS0_4arch9wavefront6targetE0EEEvSG_
	.globl	_ZN7rocprim17ROCPRIM_400000_NS6detail17trampoline_kernelINS0_14default_configENS1_35radix_sort_onesweep_config_selectorIbNS0_10empty_typeEEEZZNS1_29radix_sort_onesweep_iterationIS3_Lb0EPKbPbPS5_SB_mNS0_19identity_decomposerENS1_16block_id_wrapperIjLb1EEEEE10hipError_tT1_PNSt15iterator_traitsISG_E10value_typeET2_T3_PNSH_ISM_E10value_typeET4_T5_PSR_SS_PNS1_23onesweep_lookback_stateEbbT6_jjT7_P12ihipStream_tbENKUlT_T0_SG_SL_E_clISA_SA_SB_SB_EEDaSZ_S10_SG_SL_EUlSZ_E_NS1_11comp_targetILNS1_3genE5ELNS1_11target_archE942ELNS1_3gpuE9ELNS1_3repE0EEENS1_47radix_sort_onesweep_sort_config_static_selectorELNS0_4arch9wavefront6targetE0EEEvSG_
	.p2align	8
	.type	_ZN7rocprim17ROCPRIM_400000_NS6detail17trampoline_kernelINS0_14default_configENS1_35radix_sort_onesweep_config_selectorIbNS0_10empty_typeEEEZZNS1_29radix_sort_onesweep_iterationIS3_Lb0EPKbPbPS5_SB_mNS0_19identity_decomposerENS1_16block_id_wrapperIjLb1EEEEE10hipError_tT1_PNSt15iterator_traitsISG_E10value_typeET2_T3_PNSH_ISM_E10value_typeET4_T5_PSR_SS_PNS1_23onesweep_lookback_stateEbbT6_jjT7_P12ihipStream_tbENKUlT_T0_SG_SL_E_clISA_SA_SB_SB_EEDaSZ_S10_SG_SL_EUlSZ_E_NS1_11comp_targetILNS1_3genE5ELNS1_11target_archE942ELNS1_3gpuE9ELNS1_3repE0EEENS1_47radix_sort_onesweep_sort_config_static_selectorELNS0_4arch9wavefront6targetE0EEEvSG_,@function
_ZN7rocprim17ROCPRIM_400000_NS6detail17trampoline_kernelINS0_14default_configENS1_35radix_sort_onesweep_config_selectorIbNS0_10empty_typeEEEZZNS1_29radix_sort_onesweep_iterationIS3_Lb0EPKbPbPS5_SB_mNS0_19identity_decomposerENS1_16block_id_wrapperIjLb1EEEEE10hipError_tT1_PNSt15iterator_traitsISG_E10value_typeET2_T3_PNSH_ISM_E10value_typeET4_T5_PSR_SS_PNS1_23onesweep_lookback_stateEbbT6_jjT7_P12ihipStream_tbENKUlT_T0_SG_SL_E_clISA_SA_SB_SB_EEDaSZ_S10_SG_SL_EUlSZ_E_NS1_11comp_targetILNS1_3genE5ELNS1_11target_archE942ELNS1_3gpuE9ELNS1_3repE0EEENS1_47radix_sort_onesweep_sort_config_static_selectorELNS0_4arch9wavefront6targetE0EEEvSG_: ; @_ZN7rocprim17ROCPRIM_400000_NS6detail17trampoline_kernelINS0_14default_configENS1_35radix_sort_onesweep_config_selectorIbNS0_10empty_typeEEEZZNS1_29radix_sort_onesweep_iterationIS3_Lb0EPKbPbPS5_SB_mNS0_19identity_decomposerENS1_16block_id_wrapperIjLb1EEEEE10hipError_tT1_PNSt15iterator_traitsISG_E10value_typeET2_T3_PNSH_ISM_E10value_typeET4_T5_PSR_SS_PNS1_23onesweep_lookback_stateEbbT6_jjT7_P12ihipStream_tbENKUlT_T0_SG_SL_E_clISA_SA_SB_SB_EEDaSZ_S10_SG_SL_EUlSZ_E_NS1_11comp_targetILNS1_3genE5ELNS1_11target_archE942ELNS1_3gpuE9ELNS1_3repE0EEENS1_47radix_sort_onesweep_sort_config_static_selectorELNS0_4arch9wavefront6targetE0EEEvSG_
; %bb.0:
	.section	.rodata,"a",@progbits
	.p2align	6, 0x0
	.amdhsa_kernel _ZN7rocprim17ROCPRIM_400000_NS6detail17trampoline_kernelINS0_14default_configENS1_35radix_sort_onesweep_config_selectorIbNS0_10empty_typeEEEZZNS1_29radix_sort_onesweep_iterationIS3_Lb0EPKbPbPS5_SB_mNS0_19identity_decomposerENS1_16block_id_wrapperIjLb1EEEEE10hipError_tT1_PNSt15iterator_traitsISG_E10value_typeET2_T3_PNSH_ISM_E10value_typeET4_T5_PSR_SS_PNS1_23onesweep_lookback_stateEbbT6_jjT7_P12ihipStream_tbENKUlT_T0_SG_SL_E_clISA_SA_SB_SB_EEDaSZ_S10_SG_SL_EUlSZ_E_NS1_11comp_targetILNS1_3genE5ELNS1_11target_archE942ELNS1_3gpuE9ELNS1_3repE0EEENS1_47radix_sort_onesweep_sort_config_static_selectorELNS0_4arch9wavefront6targetE0EEEvSG_
		.amdhsa_group_segment_fixed_size 0
		.amdhsa_private_segment_fixed_size 0
		.amdhsa_kernarg_size 88
		.amdhsa_user_sgpr_count 2
		.amdhsa_user_sgpr_dispatch_ptr 0
		.amdhsa_user_sgpr_queue_ptr 0
		.amdhsa_user_sgpr_kernarg_segment_ptr 1
		.amdhsa_user_sgpr_dispatch_id 0
		.amdhsa_user_sgpr_kernarg_preload_length 0
		.amdhsa_user_sgpr_kernarg_preload_offset 0
		.amdhsa_user_sgpr_private_segment_size 0
		.amdhsa_wavefront_size32 1
		.amdhsa_uses_dynamic_stack 0
		.amdhsa_enable_private_segment 0
		.amdhsa_system_sgpr_workgroup_id_x 1
		.amdhsa_system_sgpr_workgroup_id_y 0
		.amdhsa_system_sgpr_workgroup_id_z 0
		.amdhsa_system_sgpr_workgroup_info 0
		.amdhsa_system_vgpr_workitem_id 0
		.amdhsa_next_free_vgpr 1
		.amdhsa_next_free_sgpr 1
		.amdhsa_named_barrier_count 0
		.amdhsa_reserve_vcc 0
		.amdhsa_float_round_mode_32 0
		.amdhsa_float_round_mode_16_64 0
		.amdhsa_float_denorm_mode_32 3
		.amdhsa_float_denorm_mode_16_64 3
		.amdhsa_fp16_overflow 0
		.amdhsa_memory_ordered 1
		.amdhsa_forward_progress 1
		.amdhsa_inst_pref_size 0
		.amdhsa_round_robin_scheduling 0
		.amdhsa_exception_fp_ieee_invalid_op 0
		.amdhsa_exception_fp_denorm_src 0
		.amdhsa_exception_fp_ieee_div_zero 0
		.amdhsa_exception_fp_ieee_overflow 0
		.amdhsa_exception_fp_ieee_underflow 0
		.amdhsa_exception_fp_ieee_inexact 0
		.amdhsa_exception_int_div_zero 0
	.end_amdhsa_kernel
	.section	.text._ZN7rocprim17ROCPRIM_400000_NS6detail17trampoline_kernelINS0_14default_configENS1_35radix_sort_onesweep_config_selectorIbNS0_10empty_typeEEEZZNS1_29radix_sort_onesweep_iterationIS3_Lb0EPKbPbPS5_SB_mNS0_19identity_decomposerENS1_16block_id_wrapperIjLb1EEEEE10hipError_tT1_PNSt15iterator_traitsISG_E10value_typeET2_T3_PNSH_ISM_E10value_typeET4_T5_PSR_SS_PNS1_23onesweep_lookback_stateEbbT6_jjT7_P12ihipStream_tbENKUlT_T0_SG_SL_E_clISA_SA_SB_SB_EEDaSZ_S10_SG_SL_EUlSZ_E_NS1_11comp_targetILNS1_3genE5ELNS1_11target_archE942ELNS1_3gpuE9ELNS1_3repE0EEENS1_47radix_sort_onesweep_sort_config_static_selectorELNS0_4arch9wavefront6targetE0EEEvSG_,"axG",@progbits,_ZN7rocprim17ROCPRIM_400000_NS6detail17trampoline_kernelINS0_14default_configENS1_35radix_sort_onesweep_config_selectorIbNS0_10empty_typeEEEZZNS1_29radix_sort_onesweep_iterationIS3_Lb0EPKbPbPS5_SB_mNS0_19identity_decomposerENS1_16block_id_wrapperIjLb1EEEEE10hipError_tT1_PNSt15iterator_traitsISG_E10value_typeET2_T3_PNSH_ISM_E10value_typeET4_T5_PSR_SS_PNS1_23onesweep_lookback_stateEbbT6_jjT7_P12ihipStream_tbENKUlT_T0_SG_SL_E_clISA_SA_SB_SB_EEDaSZ_S10_SG_SL_EUlSZ_E_NS1_11comp_targetILNS1_3genE5ELNS1_11target_archE942ELNS1_3gpuE9ELNS1_3repE0EEENS1_47radix_sort_onesweep_sort_config_static_selectorELNS0_4arch9wavefront6targetE0EEEvSG_,comdat
.Lfunc_end1863:
	.size	_ZN7rocprim17ROCPRIM_400000_NS6detail17trampoline_kernelINS0_14default_configENS1_35radix_sort_onesweep_config_selectorIbNS0_10empty_typeEEEZZNS1_29radix_sort_onesweep_iterationIS3_Lb0EPKbPbPS5_SB_mNS0_19identity_decomposerENS1_16block_id_wrapperIjLb1EEEEE10hipError_tT1_PNSt15iterator_traitsISG_E10value_typeET2_T3_PNSH_ISM_E10value_typeET4_T5_PSR_SS_PNS1_23onesweep_lookback_stateEbbT6_jjT7_P12ihipStream_tbENKUlT_T0_SG_SL_E_clISA_SA_SB_SB_EEDaSZ_S10_SG_SL_EUlSZ_E_NS1_11comp_targetILNS1_3genE5ELNS1_11target_archE942ELNS1_3gpuE9ELNS1_3repE0EEENS1_47radix_sort_onesweep_sort_config_static_selectorELNS0_4arch9wavefront6targetE0EEEvSG_, .Lfunc_end1863-_ZN7rocprim17ROCPRIM_400000_NS6detail17trampoline_kernelINS0_14default_configENS1_35radix_sort_onesweep_config_selectorIbNS0_10empty_typeEEEZZNS1_29radix_sort_onesweep_iterationIS3_Lb0EPKbPbPS5_SB_mNS0_19identity_decomposerENS1_16block_id_wrapperIjLb1EEEEE10hipError_tT1_PNSt15iterator_traitsISG_E10value_typeET2_T3_PNSH_ISM_E10value_typeET4_T5_PSR_SS_PNS1_23onesweep_lookback_stateEbbT6_jjT7_P12ihipStream_tbENKUlT_T0_SG_SL_E_clISA_SA_SB_SB_EEDaSZ_S10_SG_SL_EUlSZ_E_NS1_11comp_targetILNS1_3genE5ELNS1_11target_archE942ELNS1_3gpuE9ELNS1_3repE0EEENS1_47radix_sort_onesweep_sort_config_static_selectorELNS0_4arch9wavefront6targetE0EEEvSG_
                                        ; -- End function
	.set _ZN7rocprim17ROCPRIM_400000_NS6detail17trampoline_kernelINS0_14default_configENS1_35radix_sort_onesweep_config_selectorIbNS0_10empty_typeEEEZZNS1_29radix_sort_onesweep_iterationIS3_Lb0EPKbPbPS5_SB_mNS0_19identity_decomposerENS1_16block_id_wrapperIjLb1EEEEE10hipError_tT1_PNSt15iterator_traitsISG_E10value_typeET2_T3_PNSH_ISM_E10value_typeET4_T5_PSR_SS_PNS1_23onesweep_lookback_stateEbbT6_jjT7_P12ihipStream_tbENKUlT_T0_SG_SL_E_clISA_SA_SB_SB_EEDaSZ_S10_SG_SL_EUlSZ_E_NS1_11comp_targetILNS1_3genE5ELNS1_11target_archE942ELNS1_3gpuE9ELNS1_3repE0EEENS1_47radix_sort_onesweep_sort_config_static_selectorELNS0_4arch9wavefront6targetE0EEEvSG_.num_vgpr, 0
	.set _ZN7rocprim17ROCPRIM_400000_NS6detail17trampoline_kernelINS0_14default_configENS1_35radix_sort_onesweep_config_selectorIbNS0_10empty_typeEEEZZNS1_29radix_sort_onesweep_iterationIS3_Lb0EPKbPbPS5_SB_mNS0_19identity_decomposerENS1_16block_id_wrapperIjLb1EEEEE10hipError_tT1_PNSt15iterator_traitsISG_E10value_typeET2_T3_PNSH_ISM_E10value_typeET4_T5_PSR_SS_PNS1_23onesweep_lookback_stateEbbT6_jjT7_P12ihipStream_tbENKUlT_T0_SG_SL_E_clISA_SA_SB_SB_EEDaSZ_S10_SG_SL_EUlSZ_E_NS1_11comp_targetILNS1_3genE5ELNS1_11target_archE942ELNS1_3gpuE9ELNS1_3repE0EEENS1_47radix_sort_onesweep_sort_config_static_selectorELNS0_4arch9wavefront6targetE0EEEvSG_.num_agpr, 0
	.set _ZN7rocprim17ROCPRIM_400000_NS6detail17trampoline_kernelINS0_14default_configENS1_35radix_sort_onesweep_config_selectorIbNS0_10empty_typeEEEZZNS1_29radix_sort_onesweep_iterationIS3_Lb0EPKbPbPS5_SB_mNS0_19identity_decomposerENS1_16block_id_wrapperIjLb1EEEEE10hipError_tT1_PNSt15iterator_traitsISG_E10value_typeET2_T3_PNSH_ISM_E10value_typeET4_T5_PSR_SS_PNS1_23onesweep_lookback_stateEbbT6_jjT7_P12ihipStream_tbENKUlT_T0_SG_SL_E_clISA_SA_SB_SB_EEDaSZ_S10_SG_SL_EUlSZ_E_NS1_11comp_targetILNS1_3genE5ELNS1_11target_archE942ELNS1_3gpuE9ELNS1_3repE0EEENS1_47radix_sort_onesweep_sort_config_static_selectorELNS0_4arch9wavefront6targetE0EEEvSG_.numbered_sgpr, 0
	.set _ZN7rocprim17ROCPRIM_400000_NS6detail17trampoline_kernelINS0_14default_configENS1_35radix_sort_onesweep_config_selectorIbNS0_10empty_typeEEEZZNS1_29radix_sort_onesweep_iterationIS3_Lb0EPKbPbPS5_SB_mNS0_19identity_decomposerENS1_16block_id_wrapperIjLb1EEEEE10hipError_tT1_PNSt15iterator_traitsISG_E10value_typeET2_T3_PNSH_ISM_E10value_typeET4_T5_PSR_SS_PNS1_23onesweep_lookback_stateEbbT6_jjT7_P12ihipStream_tbENKUlT_T0_SG_SL_E_clISA_SA_SB_SB_EEDaSZ_S10_SG_SL_EUlSZ_E_NS1_11comp_targetILNS1_3genE5ELNS1_11target_archE942ELNS1_3gpuE9ELNS1_3repE0EEENS1_47radix_sort_onesweep_sort_config_static_selectorELNS0_4arch9wavefront6targetE0EEEvSG_.num_named_barrier, 0
	.set _ZN7rocprim17ROCPRIM_400000_NS6detail17trampoline_kernelINS0_14default_configENS1_35radix_sort_onesweep_config_selectorIbNS0_10empty_typeEEEZZNS1_29radix_sort_onesweep_iterationIS3_Lb0EPKbPbPS5_SB_mNS0_19identity_decomposerENS1_16block_id_wrapperIjLb1EEEEE10hipError_tT1_PNSt15iterator_traitsISG_E10value_typeET2_T3_PNSH_ISM_E10value_typeET4_T5_PSR_SS_PNS1_23onesweep_lookback_stateEbbT6_jjT7_P12ihipStream_tbENKUlT_T0_SG_SL_E_clISA_SA_SB_SB_EEDaSZ_S10_SG_SL_EUlSZ_E_NS1_11comp_targetILNS1_3genE5ELNS1_11target_archE942ELNS1_3gpuE9ELNS1_3repE0EEENS1_47radix_sort_onesweep_sort_config_static_selectorELNS0_4arch9wavefront6targetE0EEEvSG_.private_seg_size, 0
	.set _ZN7rocprim17ROCPRIM_400000_NS6detail17trampoline_kernelINS0_14default_configENS1_35radix_sort_onesweep_config_selectorIbNS0_10empty_typeEEEZZNS1_29radix_sort_onesweep_iterationIS3_Lb0EPKbPbPS5_SB_mNS0_19identity_decomposerENS1_16block_id_wrapperIjLb1EEEEE10hipError_tT1_PNSt15iterator_traitsISG_E10value_typeET2_T3_PNSH_ISM_E10value_typeET4_T5_PSR_SS_PNS1_23onesweep_lookback_stateEbbT6_jjT7_P12ihipStream_tbENKUlT_T0_SG_SL_E_clISA_SA_SB_SB_EEDaSZ_S10_SG_SL_EUlSZ_E_NS1_11comp_targetILNS1_3genE5ELNS1_11target_archE942ELNS1_3gpuE9ELNS1_3repE0EEENS1_47radix_sort_onesweep_sort_config_static_selectorELNS0_4arch9wavefront6targetE0EEEvSG_.uses_vcc, 0
	.set _ZN7rocprim17ROCPRIM_400000_NS6detail17trampoline_kernelINS0_14default_configENS1_35radix_sort_onesweep_config_selectorIbNS0_10empty_typeEEEZZNS1_29radix_sort_onesweep_iterationIS3_Lb0EPKbPbPS5_SB_mNS0_19identity_decomposerENS1_16block_id_wrapperIjLb1EEEEE10hipError_tT1_PNSt15iterator_traitsISG_E10value_typeET2_T3_PNSH_ISM_E10value_typeET4_T5_PSR_SS_PNS1_23onesweep_lookback_stateEbbT6_jjT7_P12ihipStream_tbENKUlT_T0_SG_SL_E_clISA_SA_SB_SB_EEDaSZ_S10_SG_SL_EUlSZ_E_NS1_11comp_targetILNS1_3genE5ELNS1_11target_archE942ELNS1_3gpuE9ELNS1_3repE0EEENS1_47radix_sort_onesweep_sort_config_static_selectorELNS0_4arch9wavefront6targetE0EEEvSG_.uses_flat_scratch, 0
	.set _ZN7rocprim17ROCPRIM_400000_NS6detail17trampoline_kernelINS0_14default_configENS1_35radix_sort_onesweep_config_selectorIbNS0_10empty_typeEEEZZNS1_29radix_sort_onesweep_iterationIS3_Lb0EPKbPbPS5_SB_mNS0_19identity_decomposerENS1_16block_id_wrapperIjLb1EEEEE10hipError_tT1_PNSt15iterator_traitsISG_E10value_typeET2_T3_PNSH_ISM_E10value_typeET4_T5_PSR_SS_PNS1_23onesweep_lookback_stateEbbT6_jjT7_P12ihipStream_tbENKUlT_T0_SG_SL_E_clISA_SA_SB_SB_EEDaSZ_S10_SG_SL_EUlSZ_E_NS1_11comp_targetILNS1_3genE5ELNS1_11target_archE942ELNS1_3gpuE9ELNS1_3repE0EEENS1_47radix_sort_onesweep_sort_config_static_selectorELNS0_4arch9wavefront6targetE0EEEvSG_.has_dyn_sized_stack, 0
	.set _ZN7rocprim17ROCPRIM_400000_NS6detail17trampoline_kernelINS0_14default_configENS1_35radix_sort_onesweep_config_selectorIbNS0_10empty_typeEEEZZNS1_29radix_sort_onesweep_iterationIS3_Lb0EPKbPbPS5_SB_mNS0_19identity_decomposerENS1_16block_id_wrapperIjLb1EEEEE10hipError_tT1_PNSt15iterator_traitsISG_E10value_typeET2_T3_PNSH_ISM_E10value_typeET4_T5_PSR_SS_PNS1_23onesweep_lookback_stateEbbT6_jjT7_P12ihipStream_tbENKUlT_T0_SG_SL_E_clISA_SA_SB_SB_EEDaSZ_S10_SG_SL_EUlSZ_E_NS1_11comp_targetILNS1_3genE5ELNS1_11target_archE942ELNS1_3gpuE9ELNS1_3repE0EEENS1_47radix_sort_onesweep_sort_config_static_selectorELNS0_4arch9wavefront6targetE0EEEvSG_.has_recursion, 0
	.set _ZN7rocprim17ROCPRIM_400000_NS6detail17trampoline_kernelINS0_14default_configENS1_35radix_sort_onesweep_config_selectorIbNS0_10empty_typeEEEZZNS1_29radix_sort_onesweep_iterationIS3_Lb0EPKbPbPS5_SB_mNS0_19identity_decomposerENS1_16block_id_wrapperIjLb1EEEEE10hipError_tT1_PNSt15iterator_traitsISG_E10value_typeET2_T3_PNSH_ISM_E10value_typeET4_T5_PSR_SS_PNS1_23onesweep_lookback_stateEbbT6_jjT7_P12ihipStream_tbENKUlT_T0_SG_SL_E_clISA_SA_SB_SB_EEDaSZ_S10_SG_SL_EUlSZ_E_NS1_11comp_targetILNS1_3genE5ELNS1_11target_archE942ELNS1_3gpuE9ELNS1_3repE0EEENS1_47radix_sort_onesweep_sort_config_static_selectorELNS0_4arch9wavefront6targetE0EEEvSG_.has_indirect_call, 0
	.section	.AMDGPU.csdata,"",@progbits
; Kernel info:
; codeLenInByte = 0
; TotalNumSgprs: 0
; NumVgprs: 0
; ScratchSize: 0
; MemoryBound: 0
; FloatMode: 240
; IeeeMode: 1
; LDSByteSize: 0 bytes/workgroup (compile time only)
; SGPRBlocks: 0
; VGPRBlocks: 0
; NumSGPRsForWavesPerEU: 1
; NumVGPRsForWavesPerEU: 1
; NamedBarCnt: 0
; Occupancy: 16
; WaveLimiterHint : 0
; COMPUTE_PGM_RSRC2:SCRATCH_EN: 0
; COMPUTE_PGM_RSRC2:USER_SGPR: 2
; COMPUTE_PGM_RSRC2:TRAP_HANDLER: 0
; COMPUTE_PGM_RSRC2:TGID_X_EN: 1
; COMPUTE_PGM_RSRC2:TGID_Y_EN: 0
; COMPUTE_PGM_RSRC2:TGID_Z_EN: 0
; COMPUTE_PGM_RSRC2:TIDIG_COMP_CNT: 0
	.section	.text._ZN7rocprim17ROCPRIM_400000_NS6detail17trampoline_kernelINS0_14default_configENS1_35radix_sort_onesweep_config_selectorIbNS0_10empty_typeEEEZZNS1_29radix_sort_onesweep_iterationIS3_Lb0EPKbPbPS5_SB_mNS0_19identity_decomposerENS1_16block_id_wrapperIjLb1EEEEE10hipError_tT1_PNSt15iterator_traitsISG_E10value_typeET2_T3_PNSH_ISM_E10value_typeET4_T5_PSR_SS_PNS1_23onesweep_lookback_stateEbbT6_jjT7_P12ihipStream_tbENKUlT_T0_SG_SL_E_clISA_SA_SB_SB_EEDaSZ_S10_SG_SL_EUlSZ_E_NS1_11comp_targetILNS1_3genE2ELNS1_11target_archE906ELNS1_3gpuE6ELNS1_3repE0EEENS1_47radix_sort_onesweep_sort_config_static_selectorELNS0_4arch9wavefront6targetE0EEEvSG_,"axG",@progbits,_ZN7rocprim17ROCPRIM_400000_NS6detail17trampoline_kernelINS0_14default_configENS1_35radix_sort_onesweep_config_selectorIbNS0_10empty_typeEEEZZNS1_29radix_sort_onesweep_iterationIS3_Lb0EPKbPbPS5_SB_mNS0_19identity_decomposerENS1_16block_id_wrapperIjLb1EEEEE10hipError_tT1_PNSt15iterator_traitsISG_E10value_typeET2_T3_PNSH_ISM_E10value_typeET4_T5_PSR_SS_PNS1_23onesweep_lookback_stateEbbT6_jjT7_P12ihipStream_tbENKUlT_T0_SG_SL_E_clISA_SA_SB_SB_EEDaSZ_S10_SG_SL_EUlSZ_E_NS1_11comp_targetILNS1_3genE2ELNS1_11target_archE906ELNS1_3gpuE6ELNS1_3repE0EEENS1_47radix_sort_onesweep_sort_config_static_selectorELNS0_4arch9wavefront6targetE0EEEvSG_,comdat
	.protected	_ZN7rocprim17ROCPRIM_400000_NS6detail17trampoline_kernelINS0_14default_configENS1_35radix_sort_onesweep_config_selectorIbNS0_10empty_typeEEEZZNS1_29radix_sort_onesweep_iterationIS3_Lb0EPKbPbPS5_SB_mNS0_19identity_decomposerENS1_16block_id_wrapperIjLb1EEEEE10hipError_tT1_PNSt15iterator_traitsISG_E10value_typeET2_T3_PNSH_ISM_E10value_typeET4_T5_PSR_SS_PNS1_23onesweep_lookback_stateEbbT6_jjT7_P12ihipStream_tbENKUlT_T0_SG_SL_E_clISA_SA_SB_SB_EEDaSZ_S10_SG_SL_EUlSZ_E_NS1_11comp_targetILNS1_3genE2ELNS1_11target_archE906ELNS1_3gpuE6ELNS1_3repE0EEENS1_47radix_sort_onesweep_sort_config_static_selectorELNS0_4arch9wavefront6targetE0EEEvSG_ ; -- Begin function _ZN7rocprim17ROCPRIM_400000_NS6detail17trampoline_kernelINS0_14default_configENS1_35radix_sort_onesweep_config_selectorIbNS0_10empty_typeEEEZZNS1_29radix_sort_onesweep_iterationIS3_Lb0EPKbPbPS5_SB_mNS0_19identity_decomposerENS1_16block_id_wrapperIjLb1EEEEE10hipError_tT1_PNSt15iterator_traitsISG_E10value_typeET2_T3_PNSH_ISM_E10value_typeET4_T5_PSR_SS_PNS1_23onesweep_lookback_stateEbbT6_jjT7_P12ihipStream_tbENKUlT_T0_SG_SL_E_clISA_SA_SB_SB_EEDaSZ_S10_SG_SL_EUlSZ_E_NS1_11comp_targetILNS1_3genE2ELNS1_11target_archE906ELNS1_3gpuE6ELNS1_3repE0EEENS1_47radix_sort_onesweep_sort_config_static_selectorELNS0_4arch9wavefront6targetE0EEEvSG_
	.globl	_ZN7rocprim17ROCPRIM_400000_NS6detail17trampoline_kernelINS0_14default_configENS1_35radix_sort_onesweep_config_selectorIbNS0_10empty_typeEEEZZNS1_29radix_sort_onesweep_iterationIS3_Lb0EPKbPbPS5_SB_mNS0_19identity_decomposerENS1_16block_id_wrapperIjLb1EEEEE10hipError_tT1_PNSt15iterator_traitsISG_E10value_typeET2_T3_PNSH_ISM_E10value_typeET4_T5_PSR_SS_PNS1_23onesweep_lookback_stateEbbT6_jjT7_P12ihipStream_tbENKUlT_T0_SG_SL_E_clISA_SA_SB_SB_EEDaSZ_S10_SG_SL_EUlSZ_E_NS1_11comp_targetILNS1_3genE2ELNS1_11target_archE906ELNS1_3gpuE6ELNS1_3repE0EEENS1_47radix_sort_onesweep_sort_config_static_selectorELNS0_4arch9wavefront6targetE0EEEvSG_
	.p2align	8
	.type	_ZN7rocprim17ROCPRIM_400000_NS6detail17trampoline_kernelINS0_14default_configENS1_35radix_sort_onesweep_config_selectorIbNS0_10empty_typeEEEZZNS1_29radix_sort_onesweep_iterationIS3_Lb0EPKbPbPS5_SB_mNS0_19identity_decomposerENS1_16block_id_wrapperIjLb1EEEEE10hipError_tT1_PNSt15iterator_traitsISG_E10value_typeET2_T3_PNSH_ISM_E10value_typeET4_T5_PSR_SS_PNS1_23onesweep_lookback_stateEbbT6_jjT7_P12ihipStream_tbENKUlT_T0_SG_SL_E_clISA_SA_SB_SB_EEDaSZ_S10_SG_SL_EUlSZ_E_NS1_11comp_targetILNS1_3genE2ELNS1_11target_archE906ELNS1_3gpuE6ELNS1_3repE0EEENS1_47radix_sort_onesweep_sort_config_static_selectorELNS0_4arch9wavefront6targetE0EEEvSG_,@function
_ZN7rocprim17ROCPRIM_400000_NS6detail17trampoline_kernelINS0_14default_configENS1_35radix_sort_onesweep_config_selectorIbNS0_10empty_typeEEEZZNS1_29radix_sort_onesweep_iterationIS3_Lb0EPKbPbPS5_SB_mNS0_19identity_decomposerENS1_16block_id_wrapperIjLb1EEEEE10hipError_tT1_PNSt15iterator_traitsISG_E10value_typeET2_T3_PNSH_ISM_E10value_typeET4_T5_PSR_SS_PNS1_23onesweep_lookback_stateEbbT6_jjT7_P12ihipStream_tbENKUlT_T0_SG_SL_E_clISA_SA_SB_SB_EEDaSZ_S10_SG_SL_EUlSZ_E_NS1_11comp_targetILNS1_3genE2ELNS1_11target_archE906ELNS1_3gpuE6ELNS1_3repE0EEENS1_47radix_sort_onesweep_sort_config_static_selectorELNS0_4arch9wavefront6targetE0EEEvSG_: ; @_ZN7rocprim17ROCPRIM_400000_NS6detail17trampoline_kernelINS0_14default_configENS1_35radix_sort_onesweep_config_selectorIbNS0_10empty_typeEEEZZNS1_29radix_sort_onesweep_iterationIS3_Lb0EPKbPbPS5_SB_mNS0_19identity_decomposerENS1_16block_id_wrapperIjLb1EEEEE10hipError_tT1_PNSt15iterator_traitsISG_E10value_typeET2_T3_PNSH_ISM_E10value_typeET4_T5_PSR_SS_PNS1_23onesweep_lookback_stateEbbT6_jjT7_P12ihipStream_tbENKUlT_T0_SG_SL_E_clISA_SA_SB_SB_EEDaSZ_S10_SG_SL_EUlSZ_E_NS1_11comp_targetILNS1_3genE2ELNS1_11target_archE906ELNS1_3gpuE6ELNS1_3repE0EEENS1_47radix_sort_onesweep_sort_config_static_selectorELNS0_4arch9wavefront6targetE0EEEvSG_
; %bb.0:
	.section	.rodata,"a",@progbits
	.p2align	6, 0x0
	.amdhsa_kernel _ZN7rocprim17ROCPRIM_400000_NS6detail17trampoline_kernelINS0_14default_configENS1_35radix_sort_onesweep_config_selectorIbNS0_10empty_typeEEEZZNS1_29radix_sort_onesweep_iterationIS3_Lb0EPKbPbPS5_SB_mNS0_19identity_decomposerENS1_16block_id_wrapperIjLb1EEEEE10hipError_tT1_PNSt15iterator_traitsISG_E10value_typeET2_T3_PNSH_ISM_E10value_typeET4_T5_PSR_SS_PNS1_23onesweep_lookback_stateEbbT6_jjT7_P12ihipStream_tbENKUlT_T0_SG_SL_E_clISA_SA_SB_SB_EEDaSZ_S10_SG_SL_EUlSZ_E_NS1_11comp_targetILNS1_3genE2ELNS1_11target_archE906ELNS1_3gpuE6ELNS1_3repE0EEENS1_47radix_sort_onesweep_sort_config_static_selectorELNS0_4arch9wavefront6targetE0EEEvSG_
		.amdhsa_group_segment_fixed_size 0
		.amdhsa_private_segment_fixed_size 0
		.amdhsa_kernarg_size 88
		.amdhsa_user_sgpr_count 2
		.amdhsa_user_sgpr_dispatch_ptr 0
		.amdhsa_user_sgpr_queue_ptr 0
		.amdhsa_user_sgpr_kernarg_segment_ptr 1
		.amdhsa_user_sgpr_dispatch_id 0
		.amdhsa_user_sgpr_kernarg_preload_length 0
		.amdhsa_user_sgpr_kernarg_preload_offset 0
		.amdhsa_user_sgpr_private_segment_size 0
		.amdhsa_wavefront_size32 1
		.amdhsa_uses_dynamic_stack 0
		.amdhsa_enable_private_segment 0
		.amdhsa_system_sgpr_workgroup_id_x 1
		.amdhsa_system_sgpr_workgroup_id_y 0
		.amdhsa_system_sgpr_workgroup_id_z 0
		.amdhsa_system_sgpr_workgroup_info 0
		.amdhsa_system_vgpr_workitem_id 0
		.amdhsa_next_free_vgpr 1
		.amdhsa_next_free_sgpr 1
		.amdhsa_named_barrier_count 0
		.amdhsa_reserve_vcc 0
		.amdhsa_float_round_mode_32 0
		.amdhsa_float_round_mode_16_64 0
		.amdhsa_float_denorm_mode_32 3
		.amdhsa_float_denorm_mode_16_64 3
		.amdhsa_fp16_overflow 0
		.amdhsa_memory_ordered 1
		.amdhsa_forward_progress 1
		.amdhsa_inst_pref_size 0
		.amdhsa_round_robin_scheduling 0
		.amdhsa_exception_fp_ieee_invalid_op 0
		.amdhsa_exception_fp_denorm_src 0
		.amdhsa_exception_fp_ieee_div_zero 0
		.amdhsa_exception_fp_ieee_overflow 0
		.amdhsa_exception_fp_ieee_underflow 0
		.amdhsa_exception_fp_ieee_inexact 0
		.amdhsa_exception_int_div_zero 0
	.end_amdhsa_kernel
	.section	.text._ZN7rocprim17ROCPRIM_400000_NS6detail17trampoline_kernelINS0_14default_configENS1_35radix_sort_onesweep_config_selectorIbNS0_10empty_typeEEEZZNS1_29radix_sort_onesweep_iterationIS3_Lb0EPKbPbPS5_SB_mNS0_19identity_decomposerENS1_16block_id_wrapperIjLb1EEEEE10hipError_tT1_PNSt15iterator_traitsISG_E10value_typeET2_T3_PNSH_ISM_E10value_typeET4_T5_PSR_SS_PNS1_23onesweep_lookback_stateEbbT6_jjT7_P12ihipStream_tbENKUlT_T0_SG_SL_E_clISA_SA_SB_SB_EEDaSZ_S10_SG_SL_EUlSZ_E_NS1_11comp_targetILNS1_3genE2ELNS1_11target_archE906ELNS1_3gpuE6ELNS1_3repE0EEENS1_47radix_sort_onesweep_sort_config_static_selectorELNS0_4arch9wavefront6targetE0EEEvSG_,"axG",@progbits,_ZN7rocprim17ROCPRIM_400000_NS6detail17trampoline_kernelINS0_14default_configENS1_35radix_sort_onesweep_config_selectorIbNS0_10empty_typeEEEZZNS1_29radix_sort_onesweep_iterationIS3_Lb0EPKbPbPS5_SB_mNS0_19identity_decomposerENS1_16block_id_wrapperIjLb1EEEEE10hipError_tT1_PNSt15iterator_traitsISG_E10value_typeET2_T3_PNSH_ISM_E10value_typeET4_T5_PSR_SS_PNS1_23onesweep_lookback_stateEbbT6_jjT7_P12ihipStream_tbENKUlT_T0_SG_SL_E_clISA_SA_SB_SB_EEDaSZ_S10_SG_SL_EUlSZ_E_NS1_11comp_targetILNS1_3genE2ELNS1_11target_archE906ELNS1_3gpuE6ELNS1_3repE0EEENS1_47radix_sort_onesweep_sort_config_static_selectorELNS0_4arch9wavefront6targetE0EEEvSG_,comdat
.Lfunc_end1864:
	.size	_ZN7rocprim17ROCPRIM_400000_NS6detail17trampoline_kernelINS0_14default_configENS1_35radix_sort_onesweep_config_selectorIbNS0_10empty_typeEEEZZNS1_29radix_sort_onesweep_iterationIS3_Lb0EPKbPbPS5_SB_mNS0_19identity_decomposerENS1_16block_id_wrapperIjLb1EEEEE10hipError_tT1_PNSt15iterator_traitsISG_E10value_typeET2_T3_PNSH_ISM_E10value_typeET4_T5_PSR_SS_PNS1_23onesweep_lookback_stateEbbT6_jjT7_P12ihipStream_tbENKUlT_T0_SG_SL_E_clISA_SA_SB_SB_EEDaSZ_S10_SG_SL_EUlSZ_E_NS1_11comp_targetILNS1_3genE2ELNS1_11target_archE906ELNS1_3gpuE6ELNS1_3repE0EEENS1_47radix_sort_onesweep_sort_config_static_selectorELNS0_4arch9wavefront6targetE0EEEvSG_, .Lfunc_end1864-_ZN7rocprim17ROCPRIM_400000_NS6detail17trampoline_kernelINS0_14default_configENS1_35radix_sort_onesweep_config_selectorIbNS0_10empty_typeEEEZZNS1_29radix_sort_onesweep_iterationIS3_Lb0EPKbPbPS5_SB_mNS0_19identity_decomposerENS1_16block_id_wrapperIjLb1EEEEE10hipError_tT1_PNSt15iterator_traitsISG_E10value_typeET2_T3_PNSH_ISM_E10value_typeET4_T5_PSR_SS_PNS1_23onesweep_lookback_stateEbbT6_jjT7_P12ihipStream_tbENKUlT_T0_SG_SL_E_clISA_SA_SB_SB_EEDaSZ_S10_SG_SL_EUlSZ_E_NS1_11comp_targetILNS1_3genE2ELNS1_11target_archE906ELNS1_3gpuE6ELNS1_3repE0EEENS1_47radix_sort_onesweep_sort_config_static_selectorELNS0_4arch9wavefront6targetE0EEEvSG_
                                        ; -- End function
	.set _ZN7rocprim17ROCPRIM_400000_NS6detail17trampoline_kernelINS0_14default_configENS1_35radix_sort_onesweep_config_selectorIbNS0_10empty_typeEEEZZNS1_29radix_sort_onesweep_iterationIS3_Lb0EPKbPbPS5_SB_mNS0_19identity_decomposerENS1_16block_id_wrapperIjLb1EEEEE10hipError_tT1_PNSt15iterator_traitsISG_E10value_typeET2_T3_PNSH_ISM_E10value_typeET4_T5_PSR_SS_PNS1_23onesweep_lookback_stateEbbT6_jjT7_P12ihipStream_tbENKUlT_T0_SG_SL_E_clISA_SA_SB_SB_EEDaSZ_S10_SG_SL_EUlSZ_E_NS1_11comp_targetILNS1_3genE2ELNS1_11target_archE906ELNS1_3gpuE6ELNS1_3repE0EEENS1_47radix_sort_onesweep_sort_config_static_selectorELNS0_4arch9wavefront6targetE0EEEvSG_.num_vgpr, 0
	.set _ZN7rocprim17ROCPRIM_400000_NS6detail17trampoline_kernelINS0_14default_configENS1_35radix_sort_onesweep_config_selectorIbNS0_10empty_typeEEEZZNS1_29radix_sort_onesweep_iterationIS3_Lb0EPKbPbPS5_SB_mNS0_19identity_decomposerENS1_16block_id_wrapperIjLb1EEEEE10hipError_tT1_PNSt15iterator_traitsISG_E10value_typeET2_T3_PNSH_ISM_E10value_typeET4_T5_PSR_SS_PNS1_23onesweep_lookback_stateEbbT6_jjT7_P12ihipStream_tbENKUlT_T0_SG_SL_E_clISA_SA_SB_SB_EEDaSZ_S10_SG_SL_EUlSZ_E_NS1_11comp_targetILNS1_3genE2ELNS1_11target_archE906ELNS1_3gpuE6ELNS1_3repE0EEENS1_47radix_sort_onesweep_sort_config_static_selectorELNS0_4arch9wavefront6targetE0EEEvSG_.num_agpr, 0
	.set _ZN7rocprim17ROCPRIM_400000_NS6detail17trampoline_kernelINS0_14default_configENS1_35radix_sort_onesweep_config_selectorIbNS0_10empty_typeEEEZZNS1_29radix_sort_onesweep_iterationIS3_Lb0EPKbPbPS5_SB_mNS0_19identity_decomposerENS1_16block_id_wrapperIjLb1EEEEE10hipError_tT1_PNSt15iterator_traitsISG_E10value_typeET2_T3_PNSH_ISM_E10value_typeET4_T5_PSR_SS_PNS1_23onesweep_lookback_stateEbbT6_jjT7_P12ihipStream_tbENKUlT_T0_SG_SL_E_clISA_SA_SB_SB_EEDaSZ_S10_SG_SL_EUlSZ_E_NS1_11comp_targetILNS1_3genE2ELNS1_11target_archE906ELNS1_3gpuE6ELNS1_3repE0EEENS1_47radix_sort_onesweep_sort_config_static_selectorELNS0_4arch9wavefront6targetE0EEEvSG_.numbered_sgpr, 0
	.set _ZN7rocprim17ROCPRIM_400000_NS6detail17trampoline_kernelINS0_14default_configENS1_35radix_sort_onesweep_config_selectorIbNS0_10empty_typeEEEZZNS1_29radix_sort_onesweep_iterationIS3_Lb0EPKbPbPS5_SB_mNS0_19identity_decomposerENS1_16block_id_wrapperIjLb1EEEEE10hipError_tT1_PNSt15iterator_traitsISG_E10value_typeET2_T3_PNSH_ISM_E10value_typeET4_T5_PSR_SS_PNS1_23onesweep_lookback_stateEbbT6_jjT7_P12ihipStream_tbENKUlT_T0_SG_SL_E_clISA_SA_SB_SB_EEDaSZ_S10_SG_SL_EUlSZ_E_NS1_11comp_targetILNS1_3genE2ELNS1_11target_archE906ELNS1_3gpuE6ELNS1_3repE0EEENS1_47radix_sort_onesweep_sort_config_static_selectorELNS0_4arch9wavefront6targetE0EEEvSG_.num_named_barrier, 0
	.set _ZN7rocprim17ROCPRIM_400000_NS6detail17trampoline_kernelINS0_14default_configENS1_35radix_sort_onesweep_config_selectorIbNS0_10empty_typeEEEZZNS1_29radix_sort_onesweep_iterationIS3_Lb0EPKbPbPS5_SB_mNS0_19identity_decomposerENS1_16block_id_wrapperIjLb1EEEEE10hipError_tT1_PNSt15iterator_traitsISG_E10value_typeET2_T3_PNSH_ISM_E10value_typeET4_T5_PSR_SS_PNS1_23onesweep_lookback_stateEbbT6_jjT7_P12ihipStream_tbENKUlT_T0_SG_SL_E_clISA_SA_SB_SB_EEDaSZ_S10_SG_SL_EUlSZ_E_NS1_11comp_targetILNS1_3genE2ELNS1_11target_archE906ELNS1_3gpuE6ELNS1_3repE0EEENS1_47radix_sort_onesweep_sort_config_static_selectorELNS0_4arch9wavefront6targetE0EEEvSG_.private_seg_size, 0
	.set _ZN7rocprim17ROCPRIM_400000_NS6detail17trampoline_kernelINS0_14default_configENS1_35radix_sort_onesweep_config_selectorIbNS0_10empty_typeEEEZZNS1_29radix_sort_onesweep_iterationIS3_Lb0EPKbPbPS5_SB_mNS0_19identity_decomposerENS1_16block_id_wrapperIjLb1EEEEE10hipError_tT1_PNSt15iterator_traitsISG_E10value_typeET2_T3_PNSH_ISM_E10value_typeET4_T5_PSR_SS_PNS1_23onesweep_lookback_stateEbbT6_jjT7_P12ihipStream_tbENKUlT_T0_SG_SL_E_clISA_SA_SB_SB_EEDaSZ_S10_SG_SL_EUlSZ_E_NS1_11comp_targetILNS1_3genE2ELNS1_11target_archE906ELNS1_3gpuE6ELNS1_3repE0EEENS1_47radix_sort_onesweep_sort_config_static_selectorELNS0_4arch9wavefront6targetE0EEEvSG_.uses_vcc, 0
	.set _ZN7rocprim17ROCPRIM_400000_NS6detail17trampoline_kernelINS0_14default_configENS1_35radix_sort_onesweep_config_selectorIbNS0_10empty_typeEEEZZNS1_29radix_sort_onesweep_iterationIS3_Lb0EPKbPbPS5_SB_mNS0_19identity_decomposerENS1_16block_id_wrapperIjLb1EEEEE10hipError_tT1_PNSt15iterator_traitsISG_E10value_typeET2_T3_PNSH_ISM_E10value_typeET4_T5_PSR_SS_PNS1_23onesweep_lookback_stateEbbT6_jjT7_P12ihipStream_tbENKUlT_T0_SG_SL_E_clISA_SA_SB_SB_EEDaSZ_S10_SG_SL_EUlSZ_E_NS1_11comp_targetILNS1_3genE2ELNS1_11target_archE906ELNS1_3gpuE6ELNS1_3repE0EEENS1_47radix_sort_onesweep_sort_config_static_selectorELNS0_4arch9wavefront6targetE0EEEvSG_.uses_flat_scratch, 0
	.set _ZN7rocprim17ROCPRIM_400000_NS6detail17trampoline_kernelINS0_14default_configENS1_35radix_sort_onesweep_config_selectorIbNS0_10empty_typeEEEZZNS1_29radix_sort_onesweep_iterationIS3_Lb0EPKbPbPS5_SB_mNS0_19identity_decomposerENS1_16block_id_wrapperIjLb1EEEEE10hipError_tT1_PNSt15iterator_traitsISG_E10value_typeET2_T3_PNSH_ISM_E10value_typeET4_T5_PSR_SS_PNS1_23onesweep_lookback_stateEbbT6_jjT7_P12ihipStream_tbENKUlT_T0_SG_SL_E_clISA_SA_SB_SB_EEDaSZ_S10_SG_SL_EUlSZ_E_NS1_11comp_targetILNS1_3genE2ELNS1_11target_archE906ELNS1_3gpuE6ELNS1_3repE0EEENS1_47radix_sort_onesweep_sort_config_static_selectorELNS0_4arch9wavefront6targetE0EEEvSG_.has_dyn_sized_stack, 0
	.set _ZN7rocprim17ROCPRIM_400000_NS6detail17trampoline_kernelINS0_14default_configENS1_35radix_sort_onesweep_config_selectorIbNS0_10empty_typeEEEZZNS1_29radix_sort_onesweep_iterationIS3_Lb0EPKbPbPS5_SB_mNS0_19identity_decomposerENS1_16block_id_wrapperIjLb1EEEEE10hipError_tT1_PNSt15iterator_traitsISG_E10value_typeET2_T3_PNSH_ISM_E10value_typeET4_T5_PSR_SS_PNS1_23onesweep_lookback_stateEbbT6_jjT7_P12ihipStream_tbENKUlT_T0_SG_SL_E_clISA_SA_SB_SB_EEDaSZ_S10_SG_SL_EUlSZ_E_NS1_11comp_targetILNS1_3genE2ELNS1_11target_archE906ELNS1_3gpuE6ELNS1_3repE0EEENS1_47radix_sort_onesweep_sort_config_static_selectorELNS0_4arch9wavefront6targetE0EEEvSG_.has_recursion, 0
	.set _ZN7rocprim17ROCPRIM_400000_NS6detail17trampoline_kernelINS0_14default_configENS1_35radix_sort_onesweep_config_selectorIbNS0_10empty_typeEEEZZNS1_29radix_sort_onesweep_iterationIS3_Lb0EPKbPbPS5_SB_mNS0_19identity_decomposerENS1_16block_id_wrapperIjLb1EEEEE10hipError_tT1_PNSt15iterator_traitsISG_E10value_typeET2_T3_PNSH_ISM_E10value_typeET4_T5_PSR_SS_PNS1_23onesweep_lookback_stateEbbT6_jjT7_P12ihipStream_tbENKUlT_T0_SG_SL_E_clISA_SA_SB_SB_EEDaSZ_S10_SG_SL_EUlSZ_E_NS1_11comp_targetILNS1_3genE2ELNS1_11target_archE906ELNS1_3gpuE6ELNS1_3repE0EEENS1_47radix_sort_onesweep_sort_config_static_selectorELNS0_4arch9wavefront6targetE0EEEvSG_.has_indirect_call, 0
	.section	.AMDGPU.csdata,"",@progbits
; Kernel info:
; codeLenInByte = 0
; TotalNumSgprs: 0
; NumVgprs: 0
; ScratchSize: 0
; MemoryBound: 0
; FloatMode: 240
; IeeeMode: 1
; LDSByteSize: 0 bytes/workgroup (compile time only)
; SGPRBlocks: 0
; VGPRBlocks: 0
; NumSGPRsForWavesPerEU: 1
; NumVGPRsForWavesPerEU: 1
; NamedBarCnt: 0
; Occupancy: 16
; WaveLimiterHint : 0
; COMPUTE_PGM_RSRC2:SCRATCH_EN: 0
; COMPUTE_PGM_RSRC2:USER_SGPR: 2
; COMPUTE_PGM_RSRC2:TRAP_HANDLER: 0
; COMPUTE_PGM_RSRC2:TGID_X_EN: 1
; COMPUTE_PGM_RSRC2:TGID_Y_EN: 0
; COMPUTE_PGM_RSRC2:TGID_Z_EN: 0
; COMPUTE_PGM_RSRC2:TIDIG_COMP_CNT: 0
	.section	.text._ZN7rocprim17ROCPRIM_400000_NS6detail17trampoline_kernelINS0_14default_configENS1_35radix_sort_onesweep_config_selectorIbNS0_10empty_typeEEEZZNS1_29radix_sort_onesweep_iterationIS3_Lb0EPKbPbPS5_SB_mNS0_19identity_decomposerENS1_16block_id_wrapperIjLb1EEEEE10hipError_tT1_PNSt15iterator_traitsISG_E10value_typeET2_T3_PNSH_ISM_E10value_typeET4_T5_PSR_SS_PNS1_23onesweep_lookback_stateEbbT6_jjT7_P12ihipStream_tbENKUlT_T0_SG_SL_E_clISA_SA_SB_SB_EEDaSZ_S10_SG_SL_EUlSZ_E_NS1_11comp_targetILNS1_3genE4ELNS1_11target_archE910ELNS1_3gpuE8ELNS1_3repE0EEENS1_47radix_sort_onesweep_sort_config_static_selectorELNS0_4arch9wavefront6targetE0EEEvSG_,"axG",@progbits,_ZN7rocprim17ROCPRIM_400000_NS6detail17trampoline_kernelINS0_14default_configENS1_35radix_sort_onesweep_config_selectorIbNS0_10empty_typeEEEZZNS1_29radix_sort_onesweep_iterationIS3_Lb0EPKbPbPS5_SB_mNS0_19identity_decomposerENS1_16block_id_wrapperIjLb1EEEEE10hipError_tT1_PNSt15iterator_traitsISG_E10value_typeET2_T3_PNSH_ISM_E10value_typeET4_T5_PSR_SS_PNS1_23onesweep_lookback_stateEbbT6_jjT7_P12ihipStream_tbENKUlT_T0_SG_SL_E_clISA_SA_SB_SB_EEDaSZ_S10_SG_SL_EUlSZ_E_NS1_11comp_targetILNS1_3genE4ELNS1_11target_archE910ELNS1_3gpuE8ELNS1_3repE0EEENS1_47radix_sort_onesweep_sort_config_static_selectorELNS0_4arch9wavefront6targetE0EEEvSG_,comdat
	.protected	_ZN7rocprim17ROCPRIM_400000_NS6detail17trampoline_kernelINS0_14default_configENS1_35radix_sort_onesweep_config_selectorIbNS0_10empty_typeEEEZZNS1_29radix_sort_onesweep_iterationIS3_Lb0EPKbPbPS5_SB_mNS0_19identity_decomposerENS1_16block_id_wrapperIjLb1EEEEE10hipError_tT1_PNSt15iterator_traitsISG_E10value_typeET2_T3_PNSH_ISM_E10value_typeET4_T5_PSR_SS_PNS1_23onesweep_lookback_stateEbbT6_jjT7_P12ihipStream_tbENKUlT_T0_SG_SL_E_clISA_SA_SB_SB_EEDaSZ_S10_SG_SL_EUlSZ_E_NS1_11comp_targetILNS1_3genE4ELNS1_11target_archE910ELNS1_3gpuE8ELNS1_3repE0EEENS1_47radix_sort_onesweep_sort_config_static_selectorELNS0_4arch9wavefront6targetE0EEEvSG_ ; -- Begin function _ZN7rocprim17ROCPRIM_400000_NS6detail17trampoline_kernelINS0_14default_configENS1_35radix_sort_onesweep_config_selectorIbNS0_10empty_typeEEEZZNS1_29radix_sort_onesweep_iterationIS3_Lb0EPKbPbPS5_SB_mNS0_19identity_decomposerENS1_16block_id_wrapperIjLb1EEEEE10hipError_tT1_PNSt15iterator_traitsISG_E10value_typeET2_T3_PNSH_ISM_E10value_typeET4_T5_PSR_SS_PNS1_23onesweep_lookback_stateEbbT6_jjT7_P12ihipStream_tbENKUlT_T0_SG_SL_E_clISA_SA_SB_SB_EEDaSZ_S10_SG_SL_EUlSZ_E_NS1_11comp_targetILNS1_3genE4ELNS1_11target_archE910ELNS1_3gpuE8ELNS1_3repE0EEENS1_47radix_sort_onesweep_sort_config_static_selectorELNS0_4arch9wavefront6targetE0EEEvSG_
	.globl	_ZN7rocprim17ROCPRIM_400000_NS6detail17trampoline_kernelINS0_14default_configENS1_35radix_sort_onesweep_config_selectorIbNS0_10empty_typeEEEZZNS1_29radix_sort_onesweep_iterationIS3_Lb0EPKbPbPS5_SB_mNS0_19identity_decomposerENS1_16block_id_wrapperIjLb1EEEEE10hipError_tT1_PNSt15iterator_traitsISG_E10value_typeET2_T3_PNSH_ISM_E10value_typeET4_T5_PSR_SS_PNS1_23onesweep_lookback_stateEbbT6_jjT7_P12ihipStream_tbENKUlT_T0_SG_SL_E_clISA_SA_SB_SB_EEDaSZ_S10_SG_SL_EUlSZ_E_NS1_11comp_targetILNS1_3genE4ELNS1_11target_archE910ELNS1_3gpuE8ELNS1_3repE0EEENS1_47radix_sort_onesweep_sort_config_static_selectorELNS0_4arch9wavefront6targetE0EEEvSG_
	.p2align	8
	.type	_ZN7rocprim17ROCPRIM_400000_NS6detail17trampoline_kernelINS0_14default_configENS1_35radix_sort_onesweep_config_selectorIbNS0_10empty_typeEEEZZNS1_29radix_sort_onesweep_iterationIS3_Lb0EPKbPbPS5_SB_mNS0_19identity_decomposerENS1_16block_id_wrapperIjLb1EEEEE10hipError_tT1_PNSt15iterator_traitsISG_E10value_typeET2_T3_PNSH_ISM_E10value_typeET4_T5_PSR_SS_PNS1_23onesweep_lookback_stateEbbT6_jjT7_P12ihipStream_tbENKUlT_T0_SG_SL_E_clISA_SA_SB_SB_EEDaSZ_S10_SG_SL_EUlSZ_E_NS1_11comp_targetILNS1_3genE4ELNS1_11target_archE910ELNS1_3gpuE8ELNS1_3repE0EEENS1_47radix_sort_onesweep_sort_config_static_selectorELNS0_4arch9wavefront6targetE0EEEvSG_,@function
_ZN7rocprim17ROCPRIM_400000_NS6detail17trampoline_kernelINS0_14default_configENS1_35radix_sort_onesweep_config_selectorIbNS0_10empty_typeEEEZZNS1_29radix_sort_onesweep_iterationIS3_Lb0EPKbPbPS5_SB_mNS0_19identity_decomposerENS1_16block_id_wrapperIjLb1EEEEE10hipError_tT1_PNSt15iterator_traitsISG_E10value_typeET2_T3_PNSH_ISM_E10value_typeET4_T5_PSR_SS_PNS1_23onesweep_lookback_stateEbbT6_jjT7_P12ihipStream_tbENKUlT_T0_SG_SL_E_clISA_SA_SB_SB_EEDaSZ_S10_SG_SL_EUlSZ_E_NS1_11comp_targetILNS1_3genE4ELNS1_11target_archE910ELNS1_3gpuE8ELNS1_3repE0EEENS1_47radix_sort_onesweep_sort_config_static_selectorELNS0_4arch9wavefront6targetE0EEEvSG_: ; @_ZN7rocprim17ROCPRIM_400000_NS6detail17trampoline_kernelINS0_14default_configENS1_35radix_sort_onesweep_config_selectorIbNS0_10empty_typeEEEZZNS1_29radix_sort_onesweep_iterationIS3_Lb0EPKbPbPS5_SB_mNS0_19identity_decomposerENS1_16block_id_wrapperIjLb1EEEEE10hipError_tT1_PNSt15iterator_traitsISG_E10value_typeET2_T3_PNSH_ISM_E10value_typeET4_T5_PSR_SS_PNS1_23onesweep_lookback_stateEbbT6_jjT7_P12ihipStream_tbENKUlT_T0_SG_SL_E_clISA_SA_SB_SB_EEDaSZ_S10_SG_SL_EUlSZ_E_NS1_11comp_targetILNS1_3genE4ELNS1_11target_archE910ELNS1_3gpuE8ELNS1_3repE0EEENS1_47radix_sort_onesweep_sort_config_static_selectorELNS0_4arch9wavefront6targetE0EEEvSG_
; %bb.0:
	.section	.rodata,"a",@progbits
	.p2align	6, 0x0
	.amdhsa_kernel _ZN7rocprim17ROCPRIM_400000_NS6detail17trampoline_kernelINS0_14default_configENS1_35radix_sort_onesweep_config_selectorIbNS0_10empty_typeEEEZZNS1_29radix_sort_onesweep_iterationIS3_Lb0EPKbPbPS5_SB_mNS0_19identity_decomposerENS1_16block_id_wrapperIjLb1EEEEE10hipError_tT1_PNSt15iterator_traitsISG_E10value_typeET2_T3_PNSH_ISM_E10value_typeET4_T5_PSR_SS_PNS1_23onesweep_lookback_stateEbbT6_jjT7_P12ihipStream_tbENKUlT_T0_SG_SL_E_clISA_SA_SB_SB_EEDaSZ_S10_SG_SL_EUlSZ_E_NS1_11comp_targetILNS1_3genE4ELNS1_11target_archE910ELNS1_3gpuE8ELNS1_3repE0EEENS1_47radix_sort_onesweep_sort_config_static_selectorELNS0_4arch9wavefront6targetE0EEEvSG_
		.amdhsa_group_segment_fixed_size 0
		.amdhsa_private_segment_fixed_size 0
		.amdhsa_kernarg_size 88
		.amdhsa_user_sgpr_count 2
		.amdhsa_user_sgpr_dispatch_ptr 0
		.amdhsa_user_sgpr_queue_ptr 0
		.amdhsa_user_sgpr_kernarg_segment_ptr 1
		.amdhsa_user_sgpr_dispatch_id 0
		.amdhsa_user_sgpr_kernarg_preload_length 0
		.amdhsa_user_sgpr_kernarg_preload_offset 0
		.amdhsa_user_sgpr_private_segment_size 0
		.amdhsa_wavefront_size32 1
		.amdhsa_uses_dynamic_stack 0
		.amdhsa_enable_private_segment 0
		.amdhsa_system_sgpr_workgroup_id_x 1
		.amdhsa_system_sgpr_workgroup_id_y 0
		.amdhsa_system_sgpr_workgroup_id_z 0
		.amdhsa_system_sgpr_workgroup_info 0
		.amdhsa_system_vgpr_workitem_id 0
		.amdhsa_next_free_vgpr 1
		.amdhsa_next_free_sgpr 1
		.amdhsa_named_barrier_count 0
		.amdhsa_reserve_vcc 0
		.amdhsa_float_round_mode_32 0
		.amdhsa_float_round_mode_16_64 0
		.amdhsa_float_denorm_mode_32 3
		.amdhsa_float_denorm_mode_16_64 3
		.amdhsa_fp16_overflow 0
		.amdhsa_memory_ordered 1
		.amdhsa_forward_progress 1
		.amdhsa_inst_pref_size 0
		.amdhsa_round_robin_scheduling 0
		.amdhsa_exception_fp_ieee_invalid_op 0
		.amdhsa_exception_fp_denorm_src 0
		.amdhsa_exception_fp_ieee_div_zero 0
		.amdhsa_exception_fp_ieee_overflow 0
		.amdhsa_exception_fp_ieee_underflow 0
		.amdhsa_exception_fp_ieee_inexact 0
		.amdhsa_exception_int_div_zero 0
	.end_amdhsa_kernel
	.section	.text._ZN7rocprim17ROCPRIM_400000_NS6detail17trampoline_kernelINS0_14default_configENS1_35radix_sort_onesweep_config_selectorIbNS0_10empty_typeEEEZZNS1_29radix_sort_onesweep_iterationIS3_Lb0EPKbPbPS5_SB_mNS0_19identity_decomposerENS1_16block_id_wrapperIjLb1EEEEE10hipError_tT1_PNSt15iterator_traitsISG_E10value_typeET2_T3_PNSH_ISM_E10value_typeET4_T5_PSR_SS_PNS1_23onesweep_lookback_stateEbbT6_jjT7_P12ihipStream_tbENKUlT_T0_SG_SL_E_clISA_SA_SB_SB_EEDaSZ_S10_SG_SL_EUlSZ_E_NS1_11comp_targetILNS1_3genE4ELNS1_11target_archE910ELNS1_3gpuE8ELNS1_3repE0EEENS1_47radix_sort_onesweep_sort_config_static_selectorELNS0_4arch9wavefront6targetE0EEEvSG_,"axG",@progbits,_ZN7rocprim17ROCPRIM_400000_NS6detail17trampoline_kernelINS0_14default_configENS1_35radix_sort_onesweep_config_selectorIbNS0_10empty_typeEEEZZNS1_29radix_sort_onesweep_iterationIS3_Lb0EPKbPbPS5_SB_mNS0_19identity_decomposerENS1_16block_id_wrapperIjLb1EEEEE10hipError_tT1_PNSt15iterator_traitsISG_E10value_typeET2_T3_PNSH_ISM_E10value_typeET4_T5_PSR_SS_PNS1_23onesweep_lookback_stateEbbT6_jjT7_P12ihipStream_tbENKUlT_T0_SG_SL_E_clISA_SA_SB_SB_EEDaSZ_S10_SG_SL_EUlSZ_E_NS1_11comp_targetILNS1_3genE4ELNS1_11target_archE910ELNS1_3gpuE8ELNS1_3repE0EEENS1_47radix_sort_onesweep_sort_config_static_selectorELNS0_4arch9wavefront6targetE0EEEvSG_,comdat
.Lfunc_end1865:
	.size	_ZN7rocprim17ROCPRIM_400000_NS6detail17trampoline_kernelINS0_14default_configENS1_35radix_sort_onesweep_config_selectorIbNS0_10empty_typeEEEZZNS1_29radix_sort_onesweep_iterationIS3_Lb0EPKbPbPS5_SB_mNS0_19identity_decomposerENS1_16block_id_wrapperIjLb1EEEEE10hipError_tT1_PNSt15iterator_traitsISG_E10value_typeET2_T3_PNSH_ISM_E10value_typeET4_T5_PSR_SS_PNS1_23onesweep_lookback_stateEbbT6_jjT7_P12ihipStream_tbENKUlT_T0_SG_SL_E_clISA_SA_SB_SB_EEDaSZ_S10_SG_SL_EUlSZ_E_NS1_11comp_targetILNS1_3genE4ELNS1_11target_archE910ELNS1_3gpuE8ELNS1_3repE0EEENS1_47radix_sort_onesweep_sort_config_static_selectorELNS0_4arch9wavefront6targetE0EEEvSG_, .Lfunc_end1865-_ZN7rocprim17ROCPRIM_400000_NS6detail17trampoline_kernelINS0_14default_configENS1_35radix_sort_onesweep_config_selectorIbNS0_10empty_typeEEEZZNS1_29radix_sort_onesweep_iterationIS3_Lb0EPKbPbPS5_SB_mNS0_19identity_decomposerENS1_16block_id_wrapperIjLb1EEEEE10hipError_tT1_PNSt15iterator_traitsISG_E10value_typeET2_T3_PNSH_ISM_E10value_typeET4_T5_PSR_SS_PNS1_23onesweep_lookback_stateEbbT6_jjT7_P12ihipStream_tbENKUlT_T0_SG_SL_E_clISA_SA_SB_SB_EEDaSZ_S10_SG_SL_EUlSZ_E_NS1_11comp_targetILNS1_3genE4ELNS1_11target_archE910ELNS1_3gpuE8ELNS1_3repE0EEENS1_47radix_sort_onesweep_sort_config_static_selectorELNS0_4arch9wavefront6targetE0EEEvSG_
                                        ; -- End function
	.set _ZN7rocprim17ROCPRIM_400000_NS6detail17trampoline_kernelINS0_14default_configENS1_35radix_sort_onesweep_config_selectorIbNS0_10empty_typeEEEZZNS1_29radix_sort_onesweep_iterationIS3_Lb0EPKbPbPS5_SB_mNS0_19identity_decomposerENS1_16block_id_wrapperIjLb1EEEEE10hipError_tT1_PNSt15iterator_traitsISG_E10value_typeET2_T3_PNSH_ISM_E10value_typeET4_T5_PSR_SS_PNS1_23onesweep_lookback_stateEbbT6_jjT7_P12ihipStream_tbENKUlT_T0_SG_SL_E_clISA_SA_SB_SB_EEDaSZ_S10_SG_SL_EUlSZ_E_NS1_11comp_targetILNS1_3genE4ELNS1_11target_archE910ELNS1_3gpuE8ELNS1_3repE0EEENS1_47radix_sort_onesweep_sort_config_static_selectorELNS0_4arch9wavefront6targetE0EEEvSG_.num_vgpr, 0
	.set _ZN7rocprim17ROCPRIM_400000_NS6detail17trampoline_kernelINS0_14default_configENS1_35radix_sort_onesweep_config_selectorIbNS0_10empty_typeEEEZZNS1_29radix_sort_onesweep_iterationIS3_Lb0EPKbPbPS5_SB_mNS0_19identity_decomposerENS1_16block_id_wrapperIjLb1EEEEE10hipError_tT1_PNSt15iterator_traitsISG_E10value_typeET2_T3_PNSH_ISM_E10value_typeET4_T5_PSR_SS_PNS1_23onesweep_lookback_stateEbbT6_jjT7_P12ihipStream_tbENKUlT_T0_SG_SL_E_clISA_SA_SB_SB_EEDaSZ_S10_SG_SL_EUlSZ_E_NS1_11comp_targetILNS1_3genE4ELNS1_11target_archE910ELNS1_3gpuE8ELNS1_3repE0EEENS1_47radix_sort_onesweep_sort_config_static_selectorELNS0_4arch9wavefront6targetE0EEEvSG_.num_agpr, 0
	.set _ZN7rocprim17ROCPRIM_400000_NS6detail17trampoline_kernelINS0_14default_configENS1_35radix_sort_onesweep_config_selectorIbNS0_10empty_typeEEEZZNS1_29radix_sort_onesweep_iterationIS3_Lb0EPKbPbPS5_SB_mNS0_19identity_decomposerENS1_16block_id_wrapperIjLb1EEEEE10hipError_tT1_PNSt15iterator_traitsISG_E10value_typeET2_T3_PNSH_ISM_E10value_typeET4_T5_PSR_SS_PNS1_23onesweep_lookback_stateEbbT6_jjT7_P12ihipStream_tbENKUlT_T0_SG_SL_E_clISA_SA_SB_SB_EEDaSZ_S10_SG_SL_EUlSZ_E_NS1_11comp_targetILNS1_3genE4ELNS1_11target_archE910ELNS1_3gpuE8ELNS1_3repE0EEENS1_47radix_sort_onesweep_sort_config_static_selectorELNS0_4arch9wavefront6targetE0EEEvSG_.numbered_sgpr, 0
	.set _ZN7rocprim17ROCPRIM_400000_NS6detail17trampoline_kernelINS0_14default_configENS1_35radix_sort_onesweep_config_selectorIbNS0_10empty_typeEEEZZNS1_29radix_sort_onesweep_iterationIS3_Lb0EPKbPbPS5_SB_mNS0_19identity_decomposerENS1_16block_id_wrapperIjLb1EEEEE10hipError_tT1_PNSt15iterator_traitsISG_E10value_typeET2_T3_PNSH_ISM_E10value_typeET4_T5_PSR_SS_PNS1_23onesweep_lookback_stateEbbT6_jjT7_P12ihipStream_tbENKUlT_T0_SG_SL_E_clISA_SA_SB_SB_EEDaSZ_S10_SG_SL_EUlSZ_E_NS1_11comp_targetILNS1_3genE4ELNS1_11target_archE910ELNS1_3gpuE8ELNS1_3repE0EEENS1_47radix_sort_onesweep_sort_config_static_selectorELNS0_4arch9wavefront6targetE0EEEvSG_.num_named_barrier, 0
	.set _ZN7rocprim17ROCPRIM_400000_NS6detail17trampoline_kernelINS0_14default_configENS1_35radix_sort_onesweep_config_selectorIbNS0_10empty_typeEEEZZNS1_29radix_sort_onesweep_iterationIS3_Lb0EPKbPbPS5_SB_mNS0_19identity_decomposerENS1_16block_id_wrapperIjLb1EEEEE10hipError_tT1_PNSt15iterator_traitsISG_E10value_typeET2_T3_PNSH_ISM_E10value_typeET4_T5_PSR_SS_PNS1_23onesweep_lookback_stateEbbT6_jjT7_P12ihipStream_tbENKUlT_T0_SG_SL_E_clISA_SA_SB_SB_EEDaSZ_S10_SG_SL_EUlSZ_E_NS1_11comp_targetILNS1_3genE4ELNS1_11target_archE910ELNS1_3gpuE8ELNS1_3repE0EEENS1_47radix_sort_onesweep_sort_config_static_selectorELNS0_4arch9wavefront6targetE0EEEvSG_.private_seg_size, 0
	.set _ZN7rocprim17ROCPRIM_400000_NS6detail17trampoline_kernelINS0_14default_configENS1_35radix_sort_onesweep_config_selectorIbNS0_10empty_typeEEEZZNS1_29radix_sort_onesweep_iterationIS3_Lb0EPKbPbPS5_SB_mNS0_19identity_decomposerENS1_16block_id_wrapperIjLb1EEEEE10hipError_tT1_PNSt15iterator_traitsISG_E10value_typeET2_T3_PNSH_ISM_E10value_typeET4_T5_PSR_SS_PNS1_23onesweep_lookback_stateEbbT6_jjT7_P12ihipStream_tbENKUlT_T0_SG_SL_E_clISA_SA_SB_SB_EEDaSZ_S10_SG_SL_EUlSZ_E_NS1_11comp_targetILNS1_3genE4ELNS1_11target_archE910ELNS1_3gpuE8ELNS1_3repE0EEENS1_47radix_sort_onesweep_sort_config_static_selectorELNS0_4arch9wavefront6targetE0EEEvSG_.uses_vcc, 0
	.set _ZN7rocprim17ROCPRIM_400000_NS6detail17trampoline_kernelINS0_14default_configENS1_35radix_sort_onesweep_config_selectorIbNS0_10empty_typeEEEZZNS1_29radix_sort_onesweep_iterationIS3_Lb0EPKbPbPS5_SB_mNS0_19identity_decomposerENS1_16block_id_wrapperIjLb1EEEEE10hipError_tT1_PNSt15iterator_traitsISG_E10value_typeET2_T3_PNSH_ISM_E10value_typeET4_T5_PSR_SS_PNS1_23onesweep_lookback_stateEbbT6_jjT7_P12ihipStream_tbENKUlT_T0_SG_SL_E_clISA_SA_SB_SB_EEDaSZ_S10_SG_SL_EUlSZ_E_NS1_11comp_targetILNS1_3genE4ELNS1_11target_archE910ELNS1_3gpuE8ELNS1_3repE0EEENS1_47radix_sort_onesweep_sort_config_static_selectorELNS0_4arch9wavefront6targetE0EEEvSG_.uses_flat_scratch, 0
	.set _ZN7rocprim17ROCPRIM_400000_NS6detail17trampoline_kernelINS0_14default_configENS1_35radix_sort_onesweep_config_selectorIbNS0_10empty_typeEEEZZNS1_29radix_sort_onesweep_iterationIS3_Lb0EPKbPbPS5_SB_mNS0_19identity_decomposerENS1_16block_id_wrapperIjLb1EEEEE10hipError_tT1_PNSt15iterator_traitsISG_E10value_typeET2_T3_PNSH_ISM_E10value_typeET4_T5_PSR_SS_PNS1_23onesweep_lookback_stateEbbT6_jjT7_P12ihipStream_tbENKUlT_T0_SG_SL_E_clISA_SA_SB_SB_EEDaSZ_S10_SG_SL_EUlSZ_E_NS1_11comp_targetILNS1_3genE4ELNS1_11target_archE910ELNS1_3gpuE8ELNS1_3repE0EEENS1_47radix_sort_onesweep_sort_config_static_selectorELNS0_4arch9wavefront6targetE0EEEvSG_.has_dyn_sized_stack, 0
	.set _ZN7rocprim17ROCPRIM_400000_NS6detail17trampoline_kernelINS0_14default_configENS1_35radix_sort_onesweep_config_selectorIbNS0_10empty_typeEEEZZNS1_29radix_sort_onesweep_iterationIS3_Lb0EPKbPbPS5_SB_mNS0_19identity_decomposerENS1_16block_id_wrapperIjLb1EEEEE10hipError_tT1_PNSt15iterator_traitsISG_E10value_typeET2_T3_PNSH_ISM_E10value_typeET4_T5_PSR_SS_PNS1_23onesweep_lookback_stateEbbT6_jjT7_P12ihipStream_tbENKUlT_T0_SG_SL_E_clISA_SA_SB_SB_EEDaSZ_S10_SG_SL_EUlSZ_E_NS1_11comp_targetILNS1_3genE4ELNS1_11target_archE910ELNS1_3gpuE8ELNS1_3repE0EEENS1_47radix_sort_onesweep_sort_config_static_selectorELNS0_4arch9wavefront6targetE0EEEvSG_.has_recursion, 0
	.set _ZN7rocprim17ROCPRIM_400000_NS6detail17trampoline_kernelINS0_14default_configENS1_35radix_sort_onesweep_config_selectorIbNS0_10empty_typeEEEZZNS1_29radix_sort_onesweep_iterationIS3_Lb0EPKbPbPS5_SB_mNS0_19identity_decomposerENS1_16block_id_wrapperIjLb1EEEEE10hipError_tT1_PNSt15iterator_traitsISG_E10value_typeET2_T3_PNSH_ISM_E10value_typeET4_T5_PSR_SS_PNS1_23onesweep_lookback_stateEbbT6_jjT7_P12ihipStream_tbENKUlT_T0_SG_SL_E_clISA_SA_SB_SB_EEDaSZ_S10_SG_SL_EUlSZ_E_NS1_11comp_targetILNS1_3genE4ELNS1_11target_archE910ELNS1_3gpuE8ELNS1_3repE0EEENS1_47radix_sort_onesweep_sort_config_static_selectorELNS0_4arch9wavefront6targetE0EEEvSG_.has_indirect_call, 0
	.section	.AMDGPU.csdata,"",@progbits
; Kernel info:
; codeLenInByte = 0
; TotalNumSgprs: 0
; NumVgprs: 0
; ScratchSize: 0
; MemoryBound: 0
; FloatMode: 240
; IeeeMode: 1
; LDSByteSize: 0 bytes/workgroup (compile time only)
; SGPRBlocks: 0
; VGPRBlocks: 0
; NumSGPRsForWavesPerEU: 1
; NumVGPRsForWavesPerEU: 1
; NamedBarCnt: 0
; Occupancy: 16
; WaveLimiterHint : 0
; COMPUTE_PGM_RSRC2:SCRATCH_EN: 0
; COMPUTE_PGM_RSRC2:USER_SGPR: 2
; COMPUTE_PGM_RSRC2:TRAP_HANDLER: 0
; COMPUTE_PGM_RSRC2:TGID_X_EN: 1
; COMPUTE_PGM_RSRC2:TGID_Y_EN: 0
; COMPUTE_PGM_RSRC2:TGID_Z_EN: 0
; COMPUTE_PGM_RSRC2:TIDIG_COMP_CNT: 0
	.section	.text._ZN7rocprim17ROCPRIM_400000_NS6detail17trampoline_kernelINS0_14default_configENS1_35radix_sort_onesweep_config_selectorIbNS0_10empty_typeEEEZZNS1_29radix_sort_onesweep_iterationIS3_Lb0EPKbPbPS5_SB_mNS0_19identity_decomposerENS1_16block_id_wrapperIjLb1EEEEE10hipError_tT1_PNSt15iterator_traitsISG_E10value_typeET2_T3_PNSH_ISM_E10value_typeET4_T5_PSR_SS_PNS1_23onesweep_lookback_stateEbbT6_jjT7_P12ihipStream_tbENKUlT_T0_SG_SL_E_clISA_SA_SB_SB_EEDaSZ_S10_SG_SL_EUlSZ_E_NS1_11comp_targetILNS1_3genE3ELNS1_11target_archE908ELNS1_3gpuE7ELNS1_3repE0EEENS1_47radix_sort_onesweep_sort_config_static_selectorELNS0_4arch9wavefront6targetE0EEEvSG_,"axG",@progbits,_ZN7rocprim17ROCPRIM_400000_NS6detail17trampoline_kernelINS0_14default_configENS1_35radix_sort_onesweep_config_selectorIbNS0_10empty_typeEEEZZNS1_29radix_sort_onesweep_iterationIS3_Lb0EPKbPbPS5_SB_mNS0_19identity_decomposerENS1_16block_id_wrapperIjLb1EEEEE10hipError_tT1_PNSt15iterator_traitsISG_E10value_typeET2_T3_PNSH_ISM_E10value_typeET4_T5_PSR_SS_PNS1_23onesweep_lookback_stateEbbT6_jjT7_P12ihipStream_tbENKUlT_T0_SG_SL_E_clISA_SA_SB_SB_EEDaSZ_S10_SG_SL_EUlSZ_E_NS1_11comp_targetILNS1_3genE3ELNS1_11target_archE908ELNS1_3gpuE7ELNS1_3repE0EEENS1_47radix_sort_onesweep_sort_config_static_selectorELNS0_4arch9wavefront6targetE0EEEvSG_,comdat
	.protected	_ZN7rocprim17ROCPRIM_400000_NS6detail17trampoline_kernelINS0_14default_configENS1_35radix_sort_onesweep_config_selectorIbNS0_10empty_typeEEEZZNS1_29radix_sort_onesweep_iterationIS3_Lb0EPKbPbPS5_SB_mNS0_19identity_decomposerENS1_16block_id_wrapperIjLb1EEEEE10hipError_tT1_PNSt15iterator_traitsISG_E10value_typeET2_T3_PNSH_ISM_E10value_typeET4_T5_PSR_SS_PNS1_23onesweep_lookback_stateEbbT6_jjT7_P12ihipStream_tbENKUlT_T0_SG_SL_E_clISA_SA_SB_SB_EEDaSZ_S10_SG_SL_EUlSZ_E_NS1_11comp_targetILNS1_3genE3ELNS1_11target_archE908ELNS1_3gpuE7ELNS1_3repE0EEENS1_47radix_sort_onesweep_sort_config_static_selectorELNS0_4arch9wavefront6targetE0EEEvSG_ ; -- Begin function _ZN7rocprim17ROCPRIM_400000_NS6detail17trampoline_kernelINS0_14default_configENS1_35radix_sort_onesweep_config_selectorIbNS0_10empty_typeEEEZZNS1_29radix_sort_onesweep_iterationIS3_Lb0EPKbPbPS5_SB_mNS0_19identity_decomposerENS1_16block_id_wrapperIjLb1EEEEE10hipError_tT1_PNSt15iterator_traitsISG_E10value_typeET2_T3_PNSH_ISM_E10value_typeET4_T5_PSR_SS_PNS1_23onesweep_lookback_stateEbbT6_jjT7_P12ihipStream_tbENKUlT_T0_SG_SL_E_clISA_SA_SB_SB_EEDaSZ_S10_SG_SL_EUlSZ_E_NS1_11comp_targetILNS1_3genE3ELNS1_11target_archE908ELNS1_3gpuE7ELNS1_3repE0EEENS1_47radix_sort_onesweep_sort_config_static_selectorELNS0_4arch9wavefront6targetE0EEEvSG_
	.globl	_ZN7rocprim17ROCPRIM_400000_NS6detail17trampoline_kernelINS0_14default_configENS1_35radix_sort_onesweep_config_selectorIbNS0_10empty_typeEEEZZNS1_29radix_sort_onesweep_iterationIS3_Lb0EPKbPbPS5_SB_mNS0_19identity_decomposerENS1_16block_id_wrapperIjLb1EEEEE10hipError_tT1_PNSt15iterator_traitsISG_E10value_typeET2_T3_PNSH_ISM_E10value_typeET4_T5_PSR_SS_PNS1_23onesweep_lookback_stateEbbT6_jjT7_P12ihipStream_tbENKUlT_T0_SG_SL_E_clISA_SA_SB_SB_EEDaSZ_S10_SG_SL_EUlSZ_E_NS1_11comp_targetILNS1_3genE3ELNS1_11target_archE908ELNS1_3gpuE7ELNS1_3repE0EEENS1_47radix_sort_onesweep_sort_config_static_selectorELNS0_4arch9wavefront6targetE0EEEvSG_
	.p2align	8
	.type	_ZN7rocprim17ROCPRIM_400000_NS6detail17trampoline_kernelINS0_14default_configENS1_35radix_sort_onesweep_config_selectorIbNS0_10empty_typeEEEZZNS1_29radix_sort_onesweep_iterationIS3_Lb0EPKbPbPS5_SB_mNS0_19identity_decomposerENS1_16block_id_wrapperIjLb1EEEEE10hipError_tT1_PNSt15iterator_traitsISG_E10value_typeET2_T3_PNSH_ISM_E10value_typeET4_T5_PSR_SS_PNS1_23onesweep_lookback_stateEbbT6_jjT7_P12ihipStream_tbENKUlT_T0_SG_SL_E_clISA_SA_SB_SB_EEDaSZ_S10_SG_SL_EUlSZ_E_NS1_11comp_targetILNS1_3genE3ELNS1_11target_archE908ELNS1_3gpuE7ELNS1_3repE0EEENS1_47radix_sort_onesweep_sort_config_static_selectorELNS0_4arch9wavefront6targetE0EEEvSG_,@function
_ZN7rocprim17ROCPRIM_400000_NS6detail17trampoline_kernelINS0_14default_configENS1_35radix_sort_onesweep_config_selectorIbNS0_10empty_typeEEEZZNS1_29radix_sort_onesweep_iterationIS3_Lb0EPKbPbPS5_SB_mNS0_19identity_decomposerENS1_16block_id_wrapperIjLb1EEEEE10hipError_tT1_PNSt15iterator_traitsISG_E10value_typeET2_T3_PNSH_ISM_E10value_typeET4_T5_PSR_SS_PNS1_23onesweep_lookback_stateEbbT6_jjT7_P12ihipStream_tbENKUlT_T0_SG_SL_E_clISA_SA_SB_SB_EEDaSZ_S10_SG_SL_EUlSZ_E_NS1_11comp_targetILNS1_3genE3ELNS1_11target_archE908ELNS1_3gpuE7ELNS1_3repE0EEENS1_47radix_sort_onesweep_sort_config_static_selectorELNS0_4arch9wavefront6targetE0EEEvSG_: ; @_ZN7rocprim17ROCPRIM_400000_NS6detail17trampoline_kernelINS0_14default_configENS1_35radix_sort_onesweep_config_selectorIbNS0_10empty_typeEEEZZNS1_29radix_sort_onesweep_iterationIS3_Lb0EPKbPbPS5_SB_mNS0_19identity_decomposerENS1_16block_id_wrapperIjLb1EEEEE10hipError_tT1_PNSt15iterator_traitsISG_E10value_typeET2_T3_PNSH_ISM_E10value_typeET4_T5_PSR_SS_PNS1_23onesweep_lookback_stateEbbT6_jjT7_P12ihipStream_tbENKUlT_T0_SG_SL_E_clISA_SA_SB_SB_EEDaSZ_S10_SG_SL_EUlSZ_E_NS1_11comp_targetILNS1_3genE3ELNS1_11target_archE908ELNS1_3gpuE7ELNS1_3repE0EEENS1_47radix_sort_onesweep_sort_config_static_selectorELNS0_4arch9wavefront6targetE0EEEvSG_
; %bb.0:
	.section	.rodata,"a",@progbits
	.p2align	6, 0x0
	.amdhsa_kernel _ZN7rocprim17ROCPRIM_400000_NS6detail17trampoline_kernelINS0_14default_configENS1_35radix_sort_onesweep_config_selectorIbNS0_10empty_typeEEEZZNS1_29radix_sort_onesweep_iterationIS3_Lb0EPKbPbPS5_SB_mNS0_19identity_decomposerENS1_16block_id_wrapperIjLb1EEEEE10hipError_tT1_PNSt15iterator_traitsISG_E10value_typeET2_T3_PNSH_ISM_E10value_typeET4_T5_PSR_SS_PNS1_23onesweep_lookback_stateEbbT6_jjT7_P12ihipStream_tbENKUlT_T0_SG_SL_E_clISA_SA_SB_SB_EEDaSZ_S10_SG_SL_EUlSZ_E_NS1_11comp_targetILNS1_3genE3ELNS1_11target_archE908ELNS1_3gpuE7ELNS1_3repE0EEENS1_47radix_sort_onesweep_sort_config_static_selectorELNS0_4arch9wavefront6targetE0EEEvSG_
		.amdhsa_group_segment_fixed_size 0
		.amdhsa_private_segment_fixed_size 0
		.amdhsa_kernarg_size 88
		.amdhsa_user_sgpr_count 2
		.amdhsa_user_sgpr_dispatch_ptr 0
		.amdhsa_user_sgpr_queue_ptr 0
		.amdhsa_user_sgpr_kernarg_segment_ptr 1
		.amdhsa_user_sgpr_dispatch_id 0
		.amdhsa_user_sgpr_kernarg_preload_length 0
		.amdhsa_user_sgpr_kernarg_preload_offset 0
		.amdhsa_user_sgpr_private_segment_size 0
		.amdhsa_wavefront_size32 1
		.amdhsa_uses_dynamic_stack 0
		.amdhsa_enable_private_segment 0
		.amdhsa_system_sgpr_workgroup_id_x 1
		.amdhsa_system_sgpr_workgroup_id_y 0
		.amdhsa_system_sgpr_workgroup_id_z 0
		.amdhsa_system_sgpr_workgroup_info 0
		.amdhsa_system_vgpr_workitem_id 0
		.amdhsa_next_free_vgpr 1
		.amdhsa_next_free_sgpr 1
		.amdhsa_named_barrier_count 0
		.amdhsa_reserve_vcc 0
		.amdhsa_float_round_mode_32 0
		.amdhsa_float_round_mode_16_64 0
		.amdhsa_float_denorm_mode_32 3
		.amdhsa_float_denorm_mode_16_64 3
		.amdhsa_fp16_overflow 0
		.amdhsa_memory_ordered 1
		.amdhsa_forward_progress 1
		.amdhsa_inst_pref_size 0
		.amdhsa_round_robin_scheduling 0
		.amdhsa_exception_fp_ieee_invalid_op 0
		.amdhsa_exception_fp_denorm_src 0
		.amdhsa_exception_fp_ieee_div_zero 0
		.amdhsa_exception_fp_ieee_overflow 0
		.amdhsa_exception_fp_ieee_underflow 0
		.amdhsa_exception_fp_ieee_inexact 0
		.amdhsa_exception_int_div_zero 0
	.end_amdhsa_kernel
	.section	.text._ZN7rocprim17ROCPRIM_400000_NS6detail17trampoline_kernelINS0_14default_configENS1_35radix_sort_onesweep_config_selectorIbNS0_10empty_typeEEEZZNS1_29radix_sort_onesweep_iterationIS3_Lb0EPKbPbPS5_SB_mNS0_19identity_decomposerENS1_16block_id_wrapperIjLb1EEEEE10hipError_tT1_PNSt15iterator_traitsISG_E10value_typeET2_T3_PNSH_ISM_E10value_typeET4_T5_PSR_SS_PNS1_23onesweep_lookback_stateEbbT6_jjT7_P12ihipStream_tbENKUlT_T0_SG_SL_E_clISA_SA_SB_SB_EEDaSZ_S10_SG_SL_EUlSZ_E_NS1_11comp_targetILNS1_3genE3ELNS1_11target_archE908ELNS1_3gpuE7ELNS1_3repE0EEENS1_47radix_sort_onesweep_sort_config_static_selectorELNS0_4arch9wavefront6targetE0EEEvSG_,"axG",@progbits,_ZN7rocprim17ROCPRIM_400000_NS6detail17trampoline_kernelINS0_14default_configENS1_35radix_sort_onesweep_config_selectorIbNS0_10empty_typeEEEZZNS1_29radix_sort_onesweep_iterationIS3_Lb0EPKbPbPS5_SB_mNS0_19identity_decomposerENS1_16block_id_wrapperIjLb1EEEEE10hipError_tT1_PNSt15iterator_traitsISG_E10value_typeET2_T3_PNSH_ISM_E10value_typeET4_T5_PSR_SS_PNS1_23onesweep_lookback_stateEbbT6_jjT7_P12ihipStream_tbENKUlT_T0_SG_SL_E_clISA_SA_SB_SB_EEDaSZ_S10_SG_SL_EUlSZ_E_NS1_11comp_targetILNS1_3genE3ELNS1_11target_archE908ELNS1_3gpuE7ELNS1_3repE0EEENS1_47radix_sort_onesweep_sort_config_static_selectorELNS0_4arch9wavefront6targetE0EEEvSG_,comdat
.Lfunc_end1866:
	.size	_ZN7rocprim17ROCPRIM_400000_NS6detail17trampoline_kernelINS0_14default_configENS1_35radix_sort_onesweep_config_selectorIbNS0_10empty_typeEEEZZNS1_29radix_sort_onesweep_iterationIS3_Lb0EPKbPbPS5_SB_mNS0_19identity_decomposerENS1_16block_id_wrapperIjLb1EEEEE10hipError_tT1_PNSt15iterator_traitsISG_E10value_typeET2_T3_PNSH_ISM_E10value_typeET4_T5_PSR_SS_PNS1_23onesweep_lookback_stateEbbT6_jjT7_P12ihipStream_tbENKUlT_T0_SG_SL_E_clISA_SA_SB_SB_EEDaSZ_S10_SG_SL_EUlSZ_E_NS1_11comp_targetILNS1_3genE3ELNS1_11target_archE908ELNS1_3gpuE7ELNS1_3repE0EEENS1_47radix_sort_onesweep_sort_config_static_selectorELNS0_4arch9wavefront6targetE0EEEvSG_, .Lfunc_end1866-_ZN7rocprim17ROCPRIM_400000_NS6detail17trampoline_kernelINS0_14default_configENS1_35radix_sort_onesweep_config_selectorIbNS0_10empty_typeEEEZZNS1_29radix_sort_onesweep_iterationIS3_Lb0EPKbPbPS5_SB_mNS0_19identity_decomposerENS1_16block_id_wrapperIjLb1EEEEE10hipError_tT1_PNSt15iterator_traitsISG_E10value_typeET2_T3_PNSH_ISM_E10value_typeET4_T5_PSR_SS_PNS1_23onesweep_lookback_stateEbbT6_jjT7_P12ihipStream_tbENKUlT_T0_SG_SL_E_clISA_SA_SB_SB_EEDaSZ_S10_SG_SL_EUlSZ_E_NS1_11comp_targetILNS1_3genE3ELNS1_11target_archE908ELNS1_3gpuE7ELNS1_3repE0EEENS1_47radix_sort_onesweep_sort_config_static_selectorELNS0_4arch9wavefront6targetE0EEEvSG_
                                        ; -- End function
	.set _ZN7rocprim17ROCPRIM_400000_NS6detail17trampoline_kernelINS0_14default_configENS1_35radix_sort_onesweep_config_selectorIbNS0_10empty_typeEEEZZNS1_29radix_sort_onesweep_iterationIS3_Lb0EPKbPbPS5_SB_mNS0_19identity_decomposerENS1_16block_id_wrapperIjLb1EEEEE10hipError_tT1_PNSt15iterator_traitsISG_E10value_typeET2_T3_PNSH_ISM_E10value_typeET4_T5_PSR_SS_PNS1_23onesweep_lookback_stateEbbT6_jjT7_P12ihipStream_tbENKUlT_T0_SG_SL_E_clISA_SA_SB_SB_EEDaSZ_S10_SG_SL_EUlSZ_E_NS1_11comp_targetILNS1_3genE3ELNS1_11target_archE908ELNS1_3gpuE7ELNS1_3repE0EEENS1_47radix_sort_onesweep_sort_config_static_selectorELNS0_4arch9wavefront6targetE0EEEvSG_.num_vgpr, 0
	.set _ZN7rocprim17ROCPRIM_400000_NS6detail17trampoline_kernelINS0_14default_configENS1_35radix_sort_onesweep_config_selectorIbNS0_10empty_typeEEEZZNS1_29radix_sort_onesweep_iterationIS3_Lb0EPKbPbPS5_SB_mNS0_19identity_decomposerENS1_16block_id_wrapperIjLb1EEEEE10hipError_tT1_PNSt15iterator_traitsISG_E10value_typeET2_T3_PNSH_ISM_E10value_typeET4_T5_PSR_SS_PNS1_23onesweep_lookback_stateEbbT6_jjT7_P12ihipStream_tbENKUlT_T0_SG_SL_E_clISA_SA_SB_SB_EEDaSZ_S10_SG_SL_EUlSZ_E_NS1_11comp_targetILNS1_3genE3ELNS1_11target_archE908ELNS1_3gpuE7ELNS1_3repE0EEENS1_47radix_sort_onesweep_sort_config_static_selectorELNS0_4arch9wavefront6targetE0EEEvSG_.num_agpr, 0
	.set _ZN7rocprim17ROCPRIM_400000_NS6detail17trampoline_kernelINS0_14default_configENS1_35radix_sort_onesweep_config_selectorIbNS0_10empty_typeEEEZZNS1_29radix_sort_onesweep_iterationIS3_Lb0EPKbPbPS5_SB_mNS0_19identity_decomposerENS1_16block_id_wrapperIjLb1EEEEE10hipError_tT1_PNSt15iterator_traitsISG_E10value_typeET2_T3_PNSH_ISM_E10value_typeET4_T5_PSR_SS_PNS1_23onesweep_lookback_stateEbbT6_jjT7_P12ihipStream_tbENKUlT_T0_SG_SL_E_clISA_SA_SB_SB_EEDaSZ_S10_SG_SL_EUlSZ_E_NS1_11comp_targetILNS1_3genE3ELNS1_11target_archE908ELNS1_3gpuE7ELNS1_3repE0EEENS1_47radix_sort_onesweep_sort_config_static_selectorELNS0_4arch9wavefront6targetE0EEEvSG_.numbered_sgpr, 0
	.set _ZN7rocprim17ROCPRIM_400000_NS6detail17trampoline_kernelINS0_14default_configENS1_35radix_sort_onesweep_config_selectorIbNS0_10empty_typeEEEZZNS1_29radix_sort_onesweep_iterationIS3_Lb0EPKbPbPS5_SB_mNS0_19identity_decomposerENS1_16block_id_wrapperIjLb1EEEEE10hipError_tT1_PNSt15iterator_traitsISG_E10value_typeET2_T3_PNSH_ISM_E10value_typeET4_T5_PSR_SS_PNS1_23onesweep_lookback_stateEbbT6_jjT7_P12ihipStream_tbENKUlT_T0_SG_SL_E_clISA_SA_SB_SB_EEDaSZ_S10_SG_SL_EUlSZ_E_NS1_11comp_targetILNS1_3genE3ELNS1_11target_archE908ELNS1_3gpuE7ELNS1_3repE0EEENS1_47radix_sort_onesweep_sort_config_static_selectorELNS0_4arch9wavefront6targetE0EEEvSG_.num_named_barrier, 0
	.set _ZN7rocprim17ROCPRIM_400000_NS6detail17trampoline_kernelINS0_14default_configENS1_35radix_sort_onesweep_config_selectorIbNS0_10empty_typeEEEZZNS1_29radix_sort_onesweep_iterationIS3_Lb0EPKbPbPS5_SB_mNS0_19identity_decomposerENS1_16block_id_wrapperIjLb1EEEEE10hipError_tT1_PNSt15iterator_traitsISG_E10value_typeET2_T3_PNSH_ISM_E10value_typeET4_T5_PSR_SS_PNS1_23onesweep_lookback_stateEbbT6_jjT7_P12ihipStream_tbENKUlT_T0_SG_SL_E_clISA_SA_SB_SB_EEDaSZ_S10_SG_SL_EUlSZ_E_NS1_11comp_targetILNS1_3genE3ELNS1_11target_archE908ELNS1_3gpuE7ELNS1_3repE0EEENS1_47radix_sort_onesweep_sort_config_static_selectorELNS0_4arch9wavefront6targetE0EEEvSG_.private_seg_size, 0
	.set _ZN7rocprim17ROCPRIM_400000_NS6detail17trampoline_kernelINS0_14default_configENS1_35radix_sort_onesweep_config_selectorIbNS0_10empty_typeEEEZZNS1_29radix_sort_onesweep_iterationIS3_Lb0EPKbPbPS5_SB_mNS0_19identity_decomposerENS1_16block_id_wrapperIjLb1EEEEE10hipError_tT1_PNSt15iterator_traitsISG_E10value_typeET2_T3_PNSH_ISM_E10value_typeET4_T5_PSR_SS_PNS1_23onesweep_lookback_stateEbbT6_jjT7_P12ihipStream_tbENKUlT_T0_SG_SL_E_clISA_SA_SB_SB_EEDaSZ_S10_SG_SL_EUlSZ_E_NS1_11comp_targetILNS1_3genE3ELNS1_11target_archE908ELNS1_3gpuE7ELNS1_3repE0EEENS1_47radix_sort_onesweep_sort_config_static_selectorELNS0_4arch9wavefront6targetE0EEEvSG_.uses_vcc, 0
	.set _ZN7rocprim17ROCPRIM_400000_NS6detail17trampoline_kernelINS0_14default_configENS1_35radix_sort_onesweep_config_selectorIbNS0_10empty_typeEEEZZNS1_29radix_sort_onesweep_iterationIS3_Lb0EPKbPbPS5_SB_mNS0_19identity_decomposerENS1_16block_id_wrapperIjLb1EEEEE10hipError_tT1_PNSt15iterator_traitsISG_E10value_typeET2_T3_PNSH_ISM_E10value_typeET4_T5_PSR_SS_PNS1_23onesweep_lookback_stateEbbT6_jjT7_P12ihipStream_tbENKUlT_T0_SG_SL_E_clISA_SA_SB_SB_EEDaSZ_S10_SG_SL_EUlSZ_E_NS1_11comp_targetILNS1_3genE3ELNS1_11target_archE908ELNS1_3gpuE7ELNS1_3repE0EEENS1_47radix_sort_onesweep_sort_config_static_selectorELNS0_4arch9wavefront6targetE0EEEvSG_.uses_flat_scratch, 0
	.set _ZN7rocprim17ROCPRIM_400000_NS6detail17trampoline_kernelINS0_14default_configENS1_35radix_sort_onesweep_config_selectorIbNS0_10empty_typeEEEZZNS1_29radix_sort_onesweep_iterationIS3_Lb0EPKbPbPS5_SB_mNS0_19identity_decomposerENS1_16block_id_wrapperIjLb1EEEEE10hipError_tT1_PNSt15iterator_traitsISG_E10value_typeET2_T3_PNSH_ISM_E10value_typeET4_T5_PSR_SS_PNS1_23onesweep_lookback_stateEbbT6_jjT7_P12ihipStream_tbENKUlT_T0_SG_SL_E_clISA_SA_SB_SB_EEDaSZ_S10_SG_SL_EUlSZ_E_NS1_11comp_targetILNS1_3genE3ELNS1_11target_archE908ELNS1_3gpuE7ELNS1_3repE0EEENS1_47radix_sort_onesweep_sort_config_static_selectorELNS0_4arch9wavefront6targetE0EEEvSG_.has_dyn_sized_stack, 0
	.set _ZN7rocprim17ROCPRIM_400000_NS6detail17trampoline_kernelINS0_14default_configENS1_35radix_sort_onesweep_config_selectorIbNS0_10empty_typeEEEZZNS1_29radix_sort_onesweep_iterationIS3_Lb0EPKbPbPS5_SB_mNS0_19identity_decomposerENS1_16block_id_wrapperIjLb1EEEEE10hipError_tT1_PNSt15iterator_traitsISG_E10value_typeET2_T3_PNSH_ISM_E10value_typeET4_T5_PSR_SS_PNS1_23onesweep_lookback_stateEbbT6_jjT7_P12ihipStream_tbENKUlT_T0_SG_SL_E_clISA_SA_SB_SB_EEDaSZ_S10_SG_SL_EUlSZ_E_NS1_11comp_targetILNS1_3genE3ELNS1_11target_archE908ELNS1_3gpuE7ELNS1_3repE0EEENS1_47radix_sort_onesweep_sort_config_static_selectorELNS0_4arch9wavefront6targetE0EEEvSG_.has_recursion, 0
	.set _ZN7rocprim17ROCPRIM_400000_NS6detail17trampoline_kernelINS0_14default_configENS1_35radix_sort_onesweep_config_selectorIbNS0_10empty_typeEEEZZNS1_29radix_sort_onesweep_iterationIS3_Lb0EPKbPbPS5_SB_mNS0_19identity_decomposerENS1_16block_id_wrapperIjLb1EEEEE10hipError_tT1_PNSt15iterator_traitsISG_E10value_typeET2_T3_PNSH_ISM_E10value_typeET4_T5_PSR_SS_PNS1_23onesweep_lookback_stateEbbT6_jjT7_P12ihipStream_tbENKUlT_T0_SG_SL_E_clISA_SA_SB_SB_EEDaSZ_S10_SG_SL_EUlSZ_E_NS1_11comp_targetILNS1_3genE3ELNS1_11target_archE908ELNS1_3gpuE7ELNS1_3repE0EEENS1_47radix_sort_onesweep_sort_config_static_selectorELNS0_4arch9wavefront6targetE0EEEvSG_.has_indirect_call, 0
	.section	.AMDGPU.csdata,"",@progbits
; Kernel info:
; codeLenInByte = 0
; TotalNumSgprs: 0
; NumVgprs: 0
; ScratchSize: 0
; MemoryBound: 0
; FloatMode: 240
; IeeeMode: 1
; LDSByteSize: 0 bytes/workgroup (compile time only)
; SGPRBlocks: 0
; VGPRBlocks: 0
; NumSGPRsForWavesPerEU: 1
; NumVGPRsForWavesPerEU: 1
; NamedBarCnt: 0
; Occupancy: 16
; WaveLimiterHint : 0
; COMPUTE_PGM_RSRC2:SCRATCH_EN: 0
; COMPUTE_PGM_RSRC2:USER_SGPR: 2
; COMPUTE_PGM_RSRC2:TRAP_HANDLER: 0
; COMPUTE_PGM_RSRC2:TGID_X_EN: 1
; COMPUTE_PGM_RSRC2:TGID_Y_EN: 0
; COMPUTE_PGM_RSRC2:TGID_Z_EN: 0
; COMPUTE_PGM_RSRC2:TIDIG_COMP_CNT: 0
	.section	.text._ZN7rocprim17ROCPRIM_400000_NS6detail17trampoline_kernelINS0_14default_configENS1_35radix_sort_onesweep_config_selectorIbNS0_10empty_typeEEEZZNS1_29radix_sort_onesweep_iterationIS3_Lb0EPKbPbPS5_SB_mNS0_19identity_decomposerENS1_16block_id_wrapperIjLb1EEEEE10hipError_tT1_PNSt15iterator_traitsISG_E10value_typeET2_T3_PNSH_ISM_E10value_typeET4_T5_PSR_SS_PNS1_23onesweep_lookback_stateEbbT6_jjT7_P12ihipStream_tbENKUlT_T0_SG_SL_E_clISA_SA_SB_SB_EEDaSZ_S10_SG_SL_EUlSZ_E_NS1_11comp_targetILNS1_3genE10ELNS1_11target_archE1201ELNS1_3gpuE5ELNS1_3repE0EEENS1_47radix_sort_onesweep_sort_config_static_selectorELNS0_4arch9wavefront6targetE0EEEvSG_,"axG",@progbits,_ZN7rocprim17ROCPRIM_400000_NS6detail17trampoline_kernelINS0_14default_configENS1_35radix_sort_onesweep_config_selectorIbNS0_10empty_typeEEEZZNS1_29radix_sort_onesweep_iterationIS3_Lb0EPKbPbPS5_SB_mNS0_19identity_decomposerENS1_16block_id_wrapperIjLb1EEEEE10hipError_tT1_PNSt15iterator_traitsISG_E10value_typeET2_T3_PNSH_ISM_E10value_typeET4_T5_PSR_SS_PNS1_23onesweep_lookback_stateEbbT6_jjT7_P12ihipStream_tbENKUlT_T0_SG_SL_E_clISA_SA_SB_SB_EEDaSZ_S10_SG_SL_EUlSZ_E_NS1_11comp_targetILNS1_3genE10ELNS1_11target_archE1201ELNS1_3gpuE5ELNS1_3repE0EEENS1_47radix_sort_onesweep_sort_config_static_selectorELNS0_4arch9wavefront6targetE0EEEvSG_,comdat
	.protected	_ZN7rocprim17ROCPRIM_400000_NS6detail17trampoline_kernelINS0_14default_configENS1_35radix_sort_onesweep_config_selectorIbNS0_10empty_typeEEEZZNS1_29radix_sort_onesweep_iterationIS3_Lb0EPKbPbPS5_SB_mNS0_19identity_decomposerENS1_16block_id_wrapperIjLb1EEEEE10hipError_tT1_PNSt15iterator_traitsISG_E10value_typeET2_T3_PNSH_ISM_E10value_typeET4_T5_PSR_SS_PNS1_23onesweep_lookback_stateEbbT6_jjT7_P12ihipStream_tbENKUlT_T0_SG_SL_E_clISA_SA_SB_SB_EEDaSZ_S10_SG_SL_EUlSZ_E_NS1_11comp_targetILNS1_3genE10ELNS1_11target_archE1201ELNS1_3gpuE5ELNS1_3repE0EEENS1_47radix_sort_onesweep_sort_config_static_selectorELNS0_4arch9wavefront6targetE0EEEvSG_ ; -- Begin function _ZN7rocprim17ROCPRIM_400000_NS6detail17trampoline_kernelINS0_14default_configENS1_35radix_sort_onesweep_config_selectorIbNS0_10empty_typeEEEZZNS1_29radix_sort_onesweep_iterationIS3_Lb0EPKbPbPS5_SB_mNS0_19identity_decomposerENS1_16block_id_wrapperIjLb1EEEEE10hipError_tT1_PNSt15iterator_traitsISG_E10value_typeET2_T3_PNSH_ISM_E10value_typeET4_T5_PSR_SS_PNS1_23onesweep_lookback_stateEbbT6_jjT7_P12ihipStream_tbENKUlT_T0_SG_SL_E_clISA_SA_SB_SB_EEDaSZ_S10_SG_SL_EUlSZ_E_NS1_11comp_targetILNS1_3genE10ELNS1_11target_archE1201ELNS1_3gpuE5ELNS1_3repE0EEENS1_47radix_sort_onesweep_sort_config_static_selectorELNS0_4arch9wavefront6targetE0EEEvSG_
	.globl	_ZN7rocprim17ROCPRIM_400000_NS6detail17trampoline_kernelINS0_14default_configENS1_35radix_sort_onesweep_config_selectorIbNS0_10empty_typeEEEZZNS1_29radix_sort_onesweep_iterationIS3_Lb0EPKbPbPS5_SB_mNS0_19identity_decomposerENS1_16block_id_wrapperIjLb1EEEEE10hipError_tT1_PNSt15iterator_traitsISG_E10value_typeET2_T3_PNSH_ISM_E10value_typeET4_T5_PSR_SS_PNS1_23onesweep_lookback_stateEbbT6_jjT7_P12ihipStream_tbENKUlT_T0_SG_SL_E_clISA_SA_SB_SB_EEDaSZ_S10_SG_SL_EUlSZ_E_NS1_11comp_targetILNS1_3genE10ELNS1_11target_archE1201ELNS1_3gpuE5ELNS1_3repE0EEENS1_47radix_sort_onesweep_sort_config_static_selectorELNS0_4arch9wavefront6targetE0EEEvSG_
	.p2align	8
	.type	_ZN7rocprim17ROCPRIM_400000_NS6detail17trampoline_kernelINS0_14default_configENS1_35radix_sort_onesweep_config_selectorIbNS0_10empty_typeEEEZZNS1_29radix_sort_onesweep_iterationIS3_Lb0EPKbPbPS5_SB_mNS0_19identity_decomposerENS1_16block_id_wrapperIjLb1EEEEE10hipError_tT1_PNSt15iterator_traitsISG_E10value_typeET2_T3_PNSH_ISM_E10value_typeET4_T5_PSR_SS_PNS1_23onesweep_lookback_stateEbbT6_jjT7_P12ihipStream_tbENKUlT_T0_SG_SL_E_clISA_SA_SB_SB_EEDaSZ_S10_SG_SL_EUlSZ_E_NS1_11comp_targetILNS1_3genE10ELNS1_11target_archE1201ELNS1_3gpuE5ELNS1_3repE0EEENS1_47radix_sort_onesweep_sort_config_static_selectorELNS0_4arch9wavefront6targetE0EEEvSG_,@function
_ZN7rocprim17ROCPRIM_400000_NS6detail17trampoline_kernelINS0_14default_configENS1_35radix_sort_onesweep_config_selectorIbNS0_10empty_typeEEEZZNS1_29radix_sort_onesweep_iterationIS3_Lb0EPKbPbPS5_SB_mNS0_19identity_decomposerENS1_16block_id_wrapperIjLb1EEEEE10hipError_tT1_PNSt15iterator_traitsISG_E10value_typeET2_T3_PNSH_ISM_E10value_typeET4_T5_PSR_SS_PNS1_23onesweep_lookback_stateEbbT6_jjT7_P12ihipStream_tbENKUlT_T0_SG_SL_E_clISA_SA_SB_SB_EEDaSZ_S10_SG_SL_EUlSZ_E_NS1_11comp_targetILNS1_3genE10ELNS1_11target_archE1201ELNS1_3gpuE5ELNS1_3repE0EEENS1_47radix_sort_onesweep_sort_config_static_selectorELNS0_4arch9wavefront6targetE0EEEvSG_: ; @_ZN7rocprim17ROCPRIM_400000_NS6detail17trampoline_kernelINS0_14default_configENS1_35radix_sort_onesweep_config_selectorIbNS0_10empty_typeEEEZZNS1_29radix_sort_onesweep_iterationIS3_Lb0EPKbPbPS5_SB_mNS0_19identity_decomposerENS1_16block_id_wrapperIjLb1EEEEE10hipError_tT1_PNSt15iterator_traitsISG_E10value_typeET2_T3_PNSH_ISM_E10value_typeET4_T5_PSR_SS_PNS1_23onesweep_lookback_stateEbbT6_jjT7_P12ihipStream_tbENKUlT_T0_SG_SL_E_clISA_SA_SB_SB_EEDaSZ_S10_SG_SL_EUlSZ_E_NS1_11comp_targetILNS1_3genE10ELNS1_11target_archE1201ELNS1_3gpuE5ELNS1_3repE0EEENS1_47radix_sort_onesweep_sort_config_static_selectorELNS0_4arch9wavefront6targetE0EEEvSG_
; %bb.0:
	.section	.rodata,"a",@progbits
	.p2align	6, 0x0
	.amdhsa_kernel _ZN7rocprim17ROCPRIM_400000_NS6detail17trampoline_kernelINS0_14default_configENS1_35radix_sort_onesweep_config_selectorIbNS0_10empty_typeEEEZZNS1_29radix_sort_onesweep_iterationIS3_Lb0EPKbPbPS5_SB_mNS0_19identity_decomposerENS1_16block_id_wrapperIjLb1EEEEE10hipError_tT1_PNSt15iterator_traitsISG_E10value_typeET2_T3_PNSH_ISM_E10value_typeET4_T5_PSR_SS_PNS1_23onesweep_lookback_stateEbbT6_jjT7_P12ihipStream_tbENKUlT_T0_SG_SL_E_clISA_SA_SB_SB_EEDaSZ_S10_SG_SL_EUlSZ_E_NS1_11comp_targetILNS1_3genE10ELNS1_11target_archE1201ELNS1_3gpuE5ELNS1_3repE0EEENS1_47radix_sort_onesweep_sort_config_static_selectorELNS0_4arch9wavefront6targetE0EEEvSG_
		.amdhsa_group_segment_fixed_size 0
		.amdhsa_private_segment_fixed_size 0
		.amdhsa_kernarg_size 88
		.amdhsa_user_sgpr_count 2
		.amdhsa_user_sgpr_dispatch_ptr 0
		.amdhsa_user_sgpr_queue_ptr 0
		.amdhsa_user_sgpr_kernarg_segment_ptr 1
		.amdhsa_user_sgpr_dispatch_id 0
		.amdhsa_user_sgpr_kernarg_preload_length 0
		.amdhsa_user_sgpr_kernarg_preload_offset 0
		.amdhsa_user_sgpr_private_segment_size 0
		.amdhsa_wavefront_size32 1
		.amdhsa_uses_dynamic_stack 0
		.amdhsa_enable_private_segment 0
		.amdhsa_system_sgpr_workgroup_id_x 1
		.amdhsa_system_sgpr_workgroup_id_y 0
		.amdhsa_system_sgpr_workgroup_id_z 0
		.amdhsa_system_sgpr_workgroup_info 0
		.amdhsa_system_vgpr_workitem_id 0
		.amdhsa_next_free_vgpr 1
		.amdhsa_next_free_sgpr 1
		.amdhsa_named_barrier_count 0
		.amdhsa_reserve_vcc 0
		.amdhsa_float_round_mode_32 0
		.amdhsa_float_round_mode_16_64 0
		.amdhsa_float_denorm_mode_32 3
		.amdhsa_float_denorm_mode_16_64 3
		.amdhsa_fp16_overflow 0
		.amdhsa_memory_ordered 1
		.amdhsa_forward_progress 1
		.amdhsa_inst_pref_size 0
		.amdhsa_round_robin_scheduling 0
		.amdhsa_exception_fp_ieee_invalid_op 0
		.amdhsa_exception_fp_denorm_src 0
		.amdhsa_exception_fp_ieee_div_zero 0
		.amdhsa_exception_fp_ieee_overflow 0
		.amdhsa_exception_fp_ieee_underflow 0
		.amdhsa_exception_fp_ieee_inexact 0
		.amdhsa_exception_int_div_zero 0
	.end_amdhsa_kernel
	.section	.text._ZN7rocprim17ROCPRIM_400000_NS6detail17trampoline_kernelINS0_14default_configENS1_35radix_sort_onesweep_config_selectorIbNS0_10empty_typeEEEZZNS1_29radix_sort_onesweep_iterationIS3_Lb0EPKbPbPS5_SB_mNS0_19identity_decomposerENS1_16block_id_wrapperIjLb1EEEEE10hipError_tT1_PNSt15iterator_traitsISG_E10value_typeET2_T3_PNSH_ISM_E10value_typeET4_T5_PSR_SS_PNS1_23onesweep_lookback_stateEbbT6_jjT7_P12ihipStream_tbENKUlT_T0_SG_SL_E_clISA_SA_SB_SB_EEDaSZ_S10_SG_SL_EUlSZ_E_NS1_11comp_targetILNS1_3genE10ELNS1_11target_archE1201ELNS1_3gpuE5ELNS1_3repE0EEENS1_47radix_sort_onesweep_sort_config_static_selectorELNS0_4arch9wavefront6targetE0EEEvSG_,"axG",@progbits,_ZN7rocprim17ROCPRIM_400000_NS6detail17trampoline_kernelINS0_14default_configENS1_35radix_sort_onesweep_config_selectorIbNS0_10empty_typeEEEZZNS1_29radix_sort_onesweep_iterationIS3_Lb0EPKbPbPS5_SB_mNS0_19identity_decomposerENS1_16block_id_wrapperIjLb1EEEEE10hipError_tT1_PNSt15iterator_traitsISG_E10value_typeET2_T3_PNSH_ISM_E10value_typeET4_T5_PSR_SS_PNS1_23onesweep_lookback_stateEbbT6_jjT7_P12ihipStream_tbENKUlT_T0_SG_SL_E_clISA_SA_SB_SB_EEDaSZ_S10_SG_SL_EUlSZ_E_NS1_11comp_targetILNS1_3genE10ELNS1_11target_archE1201ELNS1_3gpuE5ELNS1_3repE0EEENS1_47radix_sort_onesweep_sort_config_static_selectorELNS0_4arch9wavefront6targetE0EEEvSG_,comdat
.Lfunc_end1867:
	.size	_ZN7rocprim17ROCPRIM_400000_NS6detail17trampoline_kernelINS0_14default_configENS1_35radix_sort_onesweep_config_selectorIbNS0_10empty_typeEEEZZNS1_29radix_sort_onesweep_iterationIS3_Lb0EPKbPbPS5_SB_mNS0_19identity_decomposerENS1_16block_id_wrapperIjLb1EEEEE10hipError_tT1_PNSt15iterator_traitsISG_E10value_typeET2_T3_PNSH_ISM_E10value_typeET4_T5_PSR_SS_PNS1_23onesweep_lookback_stateEbbT6_jjT7_P12ihipStream_tbENKUlT_T0_SG_SL_E_clISA_SA_SB_SB_EEDaSZ_S10_SG_SL_EUlSZ_E_NS1_11comp_targetILNS1_3genE10ELNS1_11target_archE1201ELNS1_3gpuE5ELNS1_3repE0EEENS1_47radix_sort_onesweep_sort_config_static_selectorELNS0_4arch9wavefront6targetE0EEEvSG_, .Lfunc_end1867-_ZN7rocprim17ROCPRIM_400000_NS6detail17trampoline_kernelINS0_14default_configENS1_35radix_sort_onesweep_config_selectorIbNS0_10empty_typeEEEZZNS1_29radix_sort_onesweep_iterationIS3_Lb0EPKbPbPS5_SB_mNS0_19identity_decomposerENS1_16block_id_wrapperIjLb1EEEEE10hipError_tT1_PNSt15iterator_traitsISG_E10value_typeET2_T3_PNSH_ISM_E10value_typeET4_T5_PSR_SS_PNS1_23onesweep_lookback_stateEbbT6_jjT7_P12ihipStream_tbENKUlT_T0_SG_SL_E_clISA_SA_SB_SB_EEDaSZ_S10_SG_SL_EUlSZ_E_NS1_11comp_targetILNS1_3genE10ELNS1_11target_archE1201ELNS1_3gpuE5ELNS1_3repE0EEENS1_47radix_sort_onesweep_sort_config_static_selectorELNS0_4arch9wavefront6targetE0EEEvSG_
                                        ; -- End function
	.set _ZN7rocprim17ROCPRIM_400000_NS6detail17trampoline_kernelINS0_14default_configENS1_35radix_sort_onesweep_config_selectorIbNS0_10empty_typeEEEZZNS1_29radix_sort_onesweep_iterationIS3_Lb0EPKbPbPS5_SB_mNS0_19identity_decomposerENS1_16block_id_wrapperIjLb1EEEEE10hipError_tT1_PNSt15iterator_traitsISG_E10value_typeET2_T3_PNSH_ISM_E10value_typeET4_T5_PSR_SS_PNS1_23onesweep_lookback_stateEbbT6_jjT7_P12ihipStream_tbENKUlT_T0_SG_SL_E_clISA_SA_SB_SB_EEDaSZ_S10_SG_SL_EUlSZ_E_NS1_11comp_targetILNS1_3genE10ELNS1_11target_archE1201ELNS1_3gpuE5ELNS1_3repE0EEENS1_47radix_sort_onesweep_sort_config_static_selectorELNS0_4arch9wavefront6targetE0EEEvSG_.num_vgpr, 0
	.set _ZN7rocprim17ROCPRIM_400000_NS6detail17trampoline_kernelINS0_14default_configENS1_35radix_sort_onesweep_config_selectorIbNS0_10empty_typeEEEZZNS1_29radix_sort_onesweep_iterationIS3_Lb0EPKbPbPS5_SB_mNS0_19identity_decomposerENS1_16block_id_wrapperIjLb1EEEEE10hipError_tT1_PNSt15iterator_traitsISG_E10value_typeET2_T3_PNSH_ISM_E10value_typeET4_T5_PSR_SS_PNS1_23onesweep_lookback_stateEbbT6_jjT7_P12ihipStream_tbENKUlT_T0_SG_SL_E_clISA_SA_SB_SB_EEDaSZ_S10_SG_SL_EUlSZ_E_NS1_11comp_targetILNS1_3genE10ELNS1_11target_archE1201ELNS1_3gpuE5ELNS1_3repE0EEENS1_47radix_sort_onesweep_sort_config_static_selectorELNS0_4arch9wavefront6targetE0EEEvSG_.num_agpr, 0
	.set _ZN7rocprim17ROCPRIM_400000_NS6detail17trampoline_kernelINS0_14default_configENS1_35radix_sort_onesweep_config_selectorIbNS0_10empty_typeEEEZZNS1_29radix_sort_onesweep_iterationIS3_Lb0EPKbPbPS5_SB_mNS0_19identity_decomposerENS1_16block_id_wrapperIjLb1EEEEE10hipError_tT1_PNSt15iterator_traitsISG_E10value_typeET2_T3_PNSH_ISM_E10value_typeET4_T5_PSR_SS_PNS1_23onesweep_lookback_stateEbbT6_jjT7_P12ihipStream_tbENKUlT_T0_SG_SL_E_clISA_SA_SB_SB_EEDaSZ_S10_SG_SL_EUlSZ_E_NS1_11comp_targetILNS1_3genE10ELNS1_11target_archE1201ELNS1_3gpuE5ELNS1_3repE0EEENS1_47radix_sort_onesweep_sort_config_static_selectorELNS0_4arch9wavefront6targetE0EEEvSG_.numbered_sgpr, 0
	.set _ZN7rocprim17ROCPRIM_400000_NS6detail17trampoline_kernelINS0_14default_configENS1_35radix_sort_onesweep_config_selectorIbNS0_10empty_typeEEEZZNS1_29radix_sort_onesweep_iterationIS3_Lb0EPKbPbPS5_SB_mNS0_19identity_decomposerENS1_16block_id_wrapperIjLb1EEEEE10hipError_tT1_PNSt15iterator_traitsISG_E10value_typeET2_T3_PNSH_ISM_E10value_typeET4_T5_PSR_SS_PNS1_23onesweep_lookback_stateEbbT6_jjT7_P12ihipStream_tbENKUlT_T0_SG_SL_E_clISA_SA_SB_SB_EEDaSZ_S10_SG_SL_EUlSZ_E_NS1_11comp_targetILNS1_3genE10ELNS1_11target_archE1201ELNS1_3gpuE5ELNS1_3repE0EEENS1_47radix_sort_onesweep_sort_config_static_selectorELNS0_4arch9wavefront6targetE0EEEvSG_.num_named_barrier, 0
	.set _ZN7rocprim17ROCPRIM_400000_NS6detail17trampoline_kernelINS0_14default_configENS1_35radix_sort_onesweep_config_selectorIbNS0_10empty_typeEEEZZNS1_29radix_sort_onesweep_iterationIS3_Lb0EPKbPbPS5_SB_mNS0_19identity_decomposerENS1_16block_id_wrapperIjLb1EEEEE10hipError_tT1_PNSt15iterator_traitsISG_E10value_typeET2_T3_PNSH_ISM_E10value_typeET4_T5_PSR_SS_PNS1_23onesweep_lookback_stateEbbT6_jjT7_P12ihipStream_tbENKUlT_T0_SG_SL_E_clISA_SA_SB_SB_EEDaSZ_S10_SG_SL_EUlSZ_E_NS1_11comp_targetILNS1_3genE10ELNS1_11target_archE1201ELNS1_3gpuE5ELNS1_3repE0EEENS1_47radix_sort_onesweep_sort_config_static_selectorELNS0_4arch9wavefront6targetE0EEEvSG_.private_seg_size, 0
	.set _ZN7rocprim17ROCPRIM_400000_NS6detail17trampoline_kernelINS0_14default_configENS1_35radix_sort_onesweep_config_selectorIbNS0_10empty_typeEEEZZNS1_29radix_sort_onesweep_iterationIS3_Lb0EPKbPbPS5_SB_mNS0_19identity_decomposerENS1_16block_id_wrapperIjLb1EEEEE10hipError_tT1_PNSt15iterator_traitsISG_E10value_typeET2_T3_PNSH_ISM_E10value_typeET4_T5_PSR_SS_PNS1_23onesweep_lookback_stateEbbT6_jjT7_P12ihipStream_tbENKUlT_T0_SG_SL_E_clISA_SA_SB_SB_EEDaSZ_S10_SG_SL_EUlSZ_E_NS1_11comp_targetILNS1_3genE10ELNS1_11target_archE1201ELNS1_3gpuE5ELNS1_3repE0EEENS1_47radix_sort_onesweep_sort_config_static_selectorELNS0_4arch9wavefront6targetE0EEEvSG_.uses_vcc, 0
	.set _ZN7rocprim17ROCPRIM_400000_NS6detail17trampoline_kernelINS0_14default_configENS1_35radix_sort_onesweep_config_selectorIbNS0_10empty_typeEEEZZNS1_29radix_sort_onesweep_iterationIS3_Lb0EPKbPbPS5_SB_mNS0_19identity_decomposerENS1_16block_id_wrapperIjLb1EEEEE10hipError_tT1_PNSt15iterator_traitsISG_E10value_typeET2_T3_PNSH_ISM_E10value_typeET4_T5_PSR_SS_PNS1_23onesweep_lookback_stateEbbT6_jjT7_P12ihipStream_tbENKUlT_T0_SG_SL_E_clISA_SA_SB_SB_EEDaSZ_S10_SG_SL_EUlSZ_E_NS1_11comp_targetILNS1_3genE10ELNS1_11target_archE1201ELNS1_3gpuE5ELNS1_3repE0EEENS1_47radix_sort_onesweep_sort_config_static_selectorELNS0_4arch9wavefront6targetE0EEEvSG_.uses_flat_scratch, 0
	.set _ZN7rocprim17ROCPRIM_400000_NS6detail17trampoline_kernelINS0_14default_configENS1_35radix_sort_onesweep_config_selectorIbNS0_10empty_typeEEEZZNS1_29radix_sort_onesweep_iterationIS3_Lb0EPKbPbPS5_SB_mNS0_19identity_decomposerENS1_16block_id_wrapperIjLb1EEEEE10hipError_tT1_PNSt15iterator_traitsISG_E10value_typeET2_T3_PNSH_ISM_E10value_typeET4_T5_PSR_SS_PNS1_23onesweep_lookback_stateEbbT6_jjT7_P12ihipStream_tbENKUlT_T0_SG_SL_E_clISA_SA_SB_SB_EEDaSZ_S10_SG_SL_EUlSZ_E_NS1_11comp_targetILNS1_3genE10ELNS1_11target_archE1201ELNS1_3gpuE5ELNS1_3repE0EEENS1_47radix_sort_onesweep_sort_config_static_selectorELNS0_4arch9wavefront6targetE0EEEvSG_.has_dyn_sized_stack, 0
	.set _ZN7rocprim17ROCPRIM_400000_NS6detail17trampoline_kernelINS0_14default_configENS1_35radix_sort_onesweep_config_selectorIbNS0_10empty_typeEEEZZNS1_29radix_sort_onesweep_iterationIS3_Lb0EPKbPbPS5_SB_mNS0_19identity_decomposerENS1_16block_id_wrapperIjLb1EEEEE10hipError_tT1_PNSt15iterator_traitsISG_E10value_typeET2_T3_PNSH_ISM_E10value_typeET4_T5_PSR_SS_PNS1_23onesweep_lookback_stateEbbT6_jjT7_P12ihipStream_tbENKUlT_T0_SG_SL_E_clISA_SA_SB_SB_EEDaSZ_S10_SG_SL_EUlSZ_E_NS1_11comp_targetILNS1_3genE10ELNS1_11target_archE1201ELNS1_3gpuE5ELNS1_3repE0EEENS1_47radix_sort_onesweep_sort_config_static_selectorELNS0_4arch9wavefront6targetE0EEEvSG_.has_recursion, 0
	.set _ZN7rocprim17ROCPRIM_400000_NS6detail17trampoline_kernelINS0_14default_configENS1_35radix_sort_onesweep_config_selectorIbNS0_10empty_typeEEEZZNS1_29radix_sort_onesweep_iterationIS3_Lb0EPKbPbPS5_SB_mNS0_19identity_decomposerENS1_16block_id_wrapperIjLb1EEEEE10hipError_tT1_PNSt15iterator_traitsISG_E10value_typeET2_T3_PNSH_ISM_E10value_typeET4_T5_PSR_SS_PNS1_23onesweep_lookback_stateEbbT6_jjT7_P12ihipStream_tbENKUlT_T0_SG_SL_E_clISA_SA_SB_SB_EEDaSZ_S10_SG_SL_EUlSZ_E_NS1_11comp_targetILNS1_3genE10ELNS1_11target_archE1201ELNS1_3gpuE5ELNS1_3repE0EEENS1_47radix_sort_onesweep_sort_config_static_selectorELNS0_4arch9wavefront6targetE0EEEvSG_.has_indirect_call, 0
	.section	.AMDGPU.csdata,"",@progbits
; Kernel info:
; codeLenInByte = 0
; TotalNumSgprs: 0
; NumVgprs: 0
; ScratchSize: 0
; MemoryBound: 0
; FloatMode: 240
; IeeeMode: 1
; LDSByteSize: 0 bytes/workgroup (compile time only)
; SGPRBlocks: 0
; VGPRBlocks: 0
; NumSGPRsForWavesPerEU: 1
; NumVGPRsForWavesPerEU: 1
; NamedBarCnt: 0
; Occupancy: 16
; WaveLimiterHint : 0
; COMPUTE_PGM_RSRC2:SCRATCH_EN: 0
; COMPUTE_PGM_RSRC2:USER_SGPR: 2
; COMPUTE_PGM_RSRC2:TRAP_HANDLER: 0
; COMPUTE_PGM_RSRC2:TGID_X_EN: 1
; COMPUTE_PGM_RSRC2:TGID_Y_EN: 0
; COMPUTE_PGM_RSRC2:TGID_Z_EN: 0
; COMPUTE_PGM_RSRC2:TIDIG_COMP_CNT: 0
	.section	.text._ZN7rocprim17ROCPRIM_400000_NS6detail17trampoline_kernelINS0_14default_configENS1_35radix_sort_onesweep_config_selectorIbNS0_10empty_typeEEEZZNS1_29radix_sort_onesweep_iterationIS3_Lb0EPKbPbPS5_SB_mNS0_19identity_decomposerENS1_16block_id_wrapperIjLb1EEEEE10hipError_tT1_PNSt15iterator_traitsISG_E10value_typeET2_T3_PNSH_ISM_E10value_typeET4_T5_PSR_SS_PNS1_23onesweep_lookback_stateEbbT6_jjT7_P12ihipStream_tbENKUlT_T0_SG_SL_E_clISA_SA_SB_SB_EEDaSZ_S10_SG_SL_EUlSZ_E_NS1_11comp_targetILNS1_3genE9ELNS1_11target_archE1100ELNS1_3gpuE3ELNS1_3repE0EEENS1_47radix_sort_onesweep_sort_config_static_selectorELNS0_4arch9wavefront6targetE0EEEvSG_,"axG",@progbits,_ZN7rocprim17ROCPRIM_400000_NS6detail17trampoline_kernelINS0_14default_configENS1_35radix_sort_onesweep_config_selectorIbNS0_10empty_typeEEEZZNS1_29radix_sort_onesweep_iterationIS3_Lb0EPKbPbPS5_SB_mNS0_19identity_decomposerENS1_16block_id_wrapperIjLb1EEEEE10hipError_tT1_PNSt15iterator_traitsISG_E10value_typeET2_T3_PNSH_ISM_E10value_typeET4_T5_PSR_SS_PNS1_23onesweep_lookback_stateEbbT6_jjT7_P12ihipStream_tbENKUlT_T0_SG_SL_E_clISA_SA_SB_SB_EEDaSZ_S10_SG_SL_EUlSZ_E_NS1_11comp_targetILNS1_3genE9ELNS1_11target_archE1100ELNS1_3gpuE3ELNS1_3repE0EEENS1_47radix_sort_onesweep_sort_config_static_selectorELNS0_4arch9wavefront6targetE0EEEvSG_,comdat
	.protected	_ZN7rocprim17ROCPRIM_400000_NS6detail17trampoline_kernelINS0_14default_configENS1_35radix_sort_onesweep_config_selectorIbNS0_10empty_typeEEEZZNS1_29radix_sort_onesweep_iterationIS3_Lb0EPKbPbPS5_SB_mNS0_19identity_decomposerENS1_16block_id_wrapperIjLb1EEEEE10hipError_tT1_PNSt15iterator_traitsISG_E10value_typeET2_T3_PNSH_ISM_E10value_typeET4_T5_PSR_SS_PNS1_23onesweep_lookback_stateEbbT6_jjT7_P12ihipStream_tbENKUlT_T0_SG_SL_E_clISA_SA_SB_SB_EEDaSZ_S10_SG_SL_EUlSZ_E_NS1_11comp_targetILNS1_3genE9ELNS1_11target_archE1100ELNS1_3gpuE3ELNS1_3repE0EEENS1_47radix_sort_onesweep_sort_config_static_selectorELNS0_4arch9wavefront6targetE0EEEvSG_ ; -- Begin function _ZN7rocprim17ROCPRIM_400000_NS6detail17trampoline_kernelINS0_14default_configENS1_35radix_sort_onesweep_config_selectorIbNS0_10empty_typeEEEZZNS1_29radix_sort_onesweep_iterationIS3_Lb0EPKbPbPS5_SB_mNS0_19identity_decomposerENS1_16block_id_wrapperIjLb1EEEEE10hipError_tT1_PNSt15iterator_traitsISG_E10value_typeET2_T3_PNSH_ISM_E10value_typeET4_T5_PSR_SS_PNS1_23onesweep_lookback_stateEbbT6_jjT7_P12ihipStream_tbENKUlT_T0_SG_SL_E_clISA_SA_SB_SB_EEDaSZ_S10_SG_SL_EUlSZ_E_NS1_11comp_targetILNS1_3genE9ELNS1_11target_archE1100ELNS1_3gpuE3ELNS1_3repE0EEENS1_47radix_sort_onesweep_sort_config_static_selectorELNS0_4arch9wavefront6targetE0EEEvSG_
	.globl	_ZN7rocprim17ROCPRIM_400000_NS6detail17trampoline_kernelINS0_14default_configENS1_35radix_sort_onesweep_config_selectorIbNS0_10empty_typeEEEZZNS1_29radix_sort_onesweep_iterationIS3_Lb0EPKbPbPS5_SB_mNS0_19identity_decomposerENS1_16block_id_wrapperIjLb1EEEEE10hipError_tT1_PNSt15iterator_traitsISG_E10value_typeET2_T3_PNSH_ISM_E10value_typeET4_T5_PSR_SS_PNS1_23onesweep_lookback_stateEbbT6_jjT7_P12ihipStream_tbENKUlT_T0_SG_SL_E_clISA_SA_SB_SB_EEDaSZ_S10_SG_SL_EUlSZ_E_NS1_11comp_targetILNS1_3genE9ELNS1_11target_archE1100ELNS1_3gpuE3ELNS1_3repE0EEENS1_47radix_sort_onesweep_sort_config_static_selectorELNS0_4arch9wavefront6targetE0EEEvSG_
	.p2align	8
	.type	_ZN7rocprim17ROCPRIM_400000_NS6detail17trampoline_kernelINS0_14default_configENS1_35radix_sort_onesweep_config_selectorIbNS0_10empty_typeEEEZZNS1_29radix_sort_onesweep_iterationIS3_Lb0EPKbPbPS5_SB_mNS0_19identity_decomposerENS1_16block_id_wrapperIjLb1EEEEE10hipError_tT1_PNSt15iterator_traitsISG_E10value_typeET2_T3_PNSH_ISM_E10value_typeET4_T5_PSR_SS_PNS1_23onesweep_lookback_stateEbbT6_jjT7_P12ihipStream_tbENKUlT_T0_SG_SL_E_clISA_SA_SB_SB_EEDaSZ_S10_SG_SL_EUlSZ_E_NS1_11comp_targetILNS1_3genE9ELNS1_11target_archE1100ELNS1_3gpuE3ELNS1_3repE0EEENS1_47radix_sort_onesweep_sort_config_static_selectorELNS0_4arch9wavefront6targetE0EEEvSG_,@function
_ZN7rocprim17ROCPRIM_400000_NS6detail17trampoline_kernelINS0_14default_configENS1_35radix_sort_onesweep_config_selectorIbNS0_10empty_typeEEEZZNS1_29radix_sort_onesweep_iterationIS3_Lb0EPKbPbPS5_SB_mNS0_19identity_decomposerENS1_16block_id_wrapperIjLb1EEEEE10hipError_tT1_PNSt15iterator_traitsISG_E10value_typeET2_T3_PNSH_ISM_E10value_typeET4_T5_PSR_SS_PNS1_23onesweep_lookback_stateEbbT6_jjT7_P12ihipStream_tbENKUlT_T0_SG_SL_E_clISA_SA_SB_SB_EEDaSZ_S10_SG_SL_EUlSZ_E_NS1_11comp_targetILNS1_3genE9ELNS1_11target_archE1100ELNS1_3gpuE3ELNS1_3repE0EEENS1_47radix_sort_onesweep_sort_config_static_selectorELNS0_4arch9wavefront6targetE0EEEvSG_: ; @_ZN7rocprim17ROCPRIM_400000_NS6detail17trampoline_kernelINS0_14default_configENS1_35radix_sort_onesweep_config_selectorIbNS0_10empty_typeEEEZZNS1_29radix_sort_onesweep_iterationIS3_Lb0EPKbPbPS5_SB_mNS0_19identity_decomposerENS1_16block_id_wrapperIjLb1EEEEE10hipError_tT1_PNSt15iterator_traitsISG_E10value_typeET2_T3_PNSH_ISM_E10value_typeET4_T5_PSR_SS_PNS1_23onesweep_lookback_stateEbbT6_jjT7_P12ihipStream_tbENKUlT_T0_SG_SL_E_clISA_SA_SB_SB_EEDaSZ_S10_SG_SL_EUlSZ_E_NS1_11comp_targetILNS1_3genE9ELNS1_11target_archE1100ELNS1_3gpuE3ELNS1_3repE0EEENS1_47radix_sort_onesweep_sort_config_static_selectorELNS0_4arch9wavefront6targetE0EEEvSG_
; %bb.0:
	.section	.rodata,"a",@progbits
	.p2align	6, 0x0
	.amdhsa_kernel _ZN7rocprim17ROCPRIM_400000_NS6detail17trampoline_kernelINS0_14default_configENS1_35radix_sort_onesweep_config_selectorIbNS0_10empty_typeEEEZZNS1_29radix_sort_onesweep_iterationIS3_Lb0EPKbPbPS5_SB_mNS0_19identity_decomposerENS1_16block_id_wrapperIjLb1EEEEE10hipError_tT1_PNSt15iterator_traitsISG_E10value_typeET2_T3_PNSH_ISM_E10value_typeET4_T5_PSR_SS_PNS1_23onesweep_lookback_stateEbbT6_jjT7_P12ihipStream_tbENKUlT_T0_SG_SL_E_clISA_SA_SB_SB_EEDaSZ_S10_SG_SL_EUlSZ_E_NS1_11comp_targetILNS1_3genE9ELNS1_11target_archE1100ELNS1_3gpuE3ELNS1_3repE0EEENS1_47radix_sort_onesweep_sort_config_static_selectorELNS0_4arch9wavefront6targetE0EEEvSG_
		.amdhsa_group_segment_fixed_size 0
		.amdhsa_private_segment_fixed_size 0
		.amdhsa_kernarg_size 88
		.amdhsa_user_sgpr_count 2
		.amdhsa_user_sgpr_dispatch_ptr 0
		.amdhsa_user_sgpr_queue_ptr 0
		.amdhsa_user_sgpr_kernarg_segment_ptr 1
		.amdhsa_user_sgpr_dispatch_id 0
		.amdhsa_user_sgpr_kernarg_preload_length 0
		.amdhsa_user_sgpr_kernarg_preload_offset 0
		.amdhsa_user_sgpr_private_segment_size 0
		.amdhsa_wavefront_size32 1
		.amdhsa_uses_dynamic_stack 0
		.amdhsa_enable_private_segment 0
		.amdhsa_system_sgpr_workgroup_id_x 1
		.amdhsa_system_sgpr_workgroup_id_y 0
		.amdhsa_system_sgpr_workgroup_id_z 0
		.amdhsa_system_sgpr_workgroup_info 0
		.amdhsa_system_vgpr_workitem_id 0
		.amdhsa_next_free_vgpr 1
		.amdhsa_next_free_sgpr 1
		.amdhsa_named_barrier_count 0
		.amdhsa_reserve_vcc 0
		.amdhsa_float_round_mode_32 0
		.amdhsa_float_round_mode_16_64 0
		.amdhsa_float_denorm_mode_32 3
		.amdhsa_float_denorm_mode_16_64 3
		.amdhsa_fp16_overflow 0
		.amdhsa_memory_ordered 1
		.amdhsa_forward_progress 1
		.amdhsa_inst_pref_size 0
		.amdhsa_round_robin_scheduling 0
		.amdhsa_exception_fp_ieee_invalid_op 0
		.amdhsa_exception_fp_denorm_src 0
		.amdhsa_exception_fp_ieee_div_zero 0
		.amdhsa_exception_fp_ieee_overflow 0
		.amdhsa_exception_fp_ieee_underflow 0
		.amdhsa_exception_fp_ieee_inexact 0
		.amdhsa_exception_int_div_zero 0
	.end_amdhsa_kernel
	.section	.text._ZN7rocprim17ROCPRIM_400000_NS6detail17trampoline_kernelINS0_14default_configENS1_35radix_sort_onesweep_config_selectorIbNS0_10empty_typeEEEZZNS1_29radix_sort_onesweep_iterationIS3_Lb0EPKbPbPS5_SB_mNS0_19identity_decomposerENS1_16block_id_wrapperIjLb1EEEEE10hipError_tT1_PNSt15iterator_traitsISG_E10value_typeET2_T3_PNSH_ISM_E10value_typeET4_T5_PSR_SS_PNS1_23onesweep_lookback_stateEbbT6_jjT7_P12ihipStream_tbENKUlT_T0_SG_SL_E_clISA_SA_SB_SB_EEDaSZ_S10_SG_SL_EUlSZ_E_NS1_11comp_targetILNS1_3genE9ELNS1_11target_archE1100ELNS1_3gpuE3ELNS1_3repE0EEENS1_47radix_sort_onesweep_sort_config_static_selectorELNS0_4arch9wavefront6targetE0EEEvSG_,"axG",@progbits,_ZN7rocprim17ROCPRIM_400000_NS6detail17trampoline_kernelINS0_14default_configENS1_35radix_sort_onesweep_config_selectorIbNS0_10empty_typeEEEZZNS1_29radix_sort_onesweep_iterationIS3_Lb0EPKbPbPS5_SB_mNS0_19identity_decomposerENS1_16block_id_wrapperIjLb1EEEEE10hipError_tT1_PNSt15iterator_traitsISG_E10value_typeET2_T3_PNSH_ISM_E10value_typeET4_T5_PSR_SS_PNS1_23onesweep_lookback_stateEbbT6_jjT7_P12ihipStream_tbENKUlT_T0_SG_SL_E_clISA_SA_SB_SB_EEDaSZ_S10_SG_SL_EUlSZ_E_NS1_11comp_targetILNS1_3genE9ELNS1_11target_archE1100ELNS1_3gpuE3ELNS1_3repE0EEENS1_47radix_sort_onesweep_sort_config_static_selectorELNS0_4arch9wavefront6targetE0EEEvSG_,comdat
.Lfunc_end1868:
	.size	_ZN7rocprim17ROCPRIM_400000_NS6detail17trampoline_kernelINS0_14default_configENS1_35radix_sort_onesweep_config_selectorIbNS0_10empty_typeEEEZZNS1_29radix_sort_onesweep_iterationIS3_Lb0EPKbPbPS5_SB_mNS0_19identity_decomposerENS1_16block_id_wrapperIjLb1EEEEE10hipError_tT1_PNSt15iterator_traitsISG_E10value_typeET2_T3_PNSH_ISM_E10value_typeET4_T5_PSR_SS_PNS1_23onesweep_lookback_stateEbbT6_jjT7_P12ihipStream_tbENKUlT_T0_SG_SL_E_clISA_SA_SB_SB_EEDaSZ_S10_SG_SL_EUlSZ_E_NS1_11comp_targetILNS1_3genE9ELNS1_11target_archE1100ELNS1_3gpuE3ELNS1_3repE0EEENS1_47radix_sort_onesweep_sort_config_static_selectorELNS0_4arch9wavefront6targetE0EEEvSG_, .Lfunc_end1868-_ZN7rocprim17ROCPRIM_400000_NS6detail17trampoline_kernelINS0_14default_configENS1_35radix_sort_onesweep_config_selectorIbNS0_10empty_typeEEEZZNS1_29radix_sort_onesweep_iterationIS3_Lb0EPKbPbPS5_SB_mNS0_19identity_decomposerENS1_16block_id_wrapperIjLb1EEEEE10hipError_tT1_PNSt15iterator_traitsISG_E10value_typeET2_T3_PNSH_ISM_E10value_typeET4_T5_PSR_SS_PNS1_23onesweep_lookback_stateEbbT6_jjT7_P12ihipStream_tbENKUlT_T0_SG_SL_E_clISA_SA_SB_SB_EEDaSZ_S10_SG_SL_EUlSZ_E_NS1_11comp_targetILNS1_3genE9ELNS1_11target_archE1100ELNS1_3gpuE3ELNS1_3repE0EEENS1_47radix_sort_onesweep_sort_config_static_selectorELNS0_4arch9wavefront6targetE0EEEvSG_
                                        ; -- End function
	.set _ZN7rocprim17ROCPRIM_400000_NS6detail17trampoline_kernelINS0_14default_configENS1_35radix_sort_onesweep_config_selectorIbNS0_10empty_typeEEEZZNS1_29radix_sort_onesweep_iterationIS3_Lb0EPKbPbPS5_SB_mNS0_19identity_decomposerENS1_16block_id_wrapperIjLb1EEEEE10hipError_tT1_PNSt15iterator_traitsISG_E10value_typeET2_T3_PNSH_ISM_E10value_typeET4_T5_PSR_SS_PNS1_23onesweep_lookback_stateEbbT6_jjT7_P12ihipStream_tbENKUlT_T0_SG_SL_E_clISA_SA_SB_SB_EEDaSZ_S10_SG_SL_EUlSZ_E_NS1_11comp_targetILNS1_3genE9ELNS1_11target_archE1100ELNS1_3gpuE3ELNS1_3repE0EEENS1_47radix_sort_onesweep_sort_config_static_selectorELNS0_4arch9wavefront6targetE0EEEvSG_.num_vgpr, 0
	.set _ZN7rocprim17ROCPRIM_400000_NS6detail17trampoline_kernelINS0_14default_configENS1_35radix_sort_onesweep_config_selectorIbNS0_10empty_typeEEEZZNS1_29radix_sort_onesweep_iterationIS3_Lb0EPKbPbPS5_SB_mNS0_19identity_decomposerENS1_16block_id_wrapperIjLb1EEEEE10hipError_tT1_PNSt15iterator_traitsISG_E10value_typeET2_T3_PNSH_ISM_E10value_typeET4_T5_PSR_SS_PNS1_23onesweep_lookback_stateEbbT6_jjT7_P12ihipStream_tbENKUlT_T0_SG_SL_E_clISA_SA_SB_SB_EEDaSZ_S10_SG_SL_EUlSZ_E_NS1_11comp_targetILNS1_3genE9ELNS1_11target_archE1100ELNS1_3gpuE3ELNS1_3repE0EEENS1_47radix_sort_onesweep_sort_config_static_selectorELNS0_4arch9wavefront6targetE0EEEvSG_.num_agpr, 0
	.set _ZN7rocprim17ROCPRIM_400000_NS6detail17trampoline_kernelINS0_14default_configENS1_35radix_sort_onesweep_config_selectorIbNS0_10empty_typeEEEZZNS1_29radix_sort_onesweep_iterationIS3_Lb0EPKbPbPS5_SB_mNS0_19identity_decomposerENS1_16block_id_wrapperIjLb1EEEEE10hipError_tT1_PNSt15iterator_traitsISG_E10value_typeET2_T3_PNSH_ISM_E10value_typeET4_T5_PSR_SS_PNS1_23onesweep_lookback_stateEbbT6_jjT7_P12ihipStream_tbENKUlT_T0_SG_SL_E_clISA_SA_SB_SB_EEDaSZ_S10_SG_SL_EUlSZ_E_NS1_11comp_targetILNS1_3genE9ELNS1_11target_archE1100ELNS1_3gpuE3ELNS1_3repE0EEENS1_47radix_sort_onesweep_sort_config_static_selectorELNS0_4arch9wavefront6targetE0EEEvSG_.numbered_sgpr, 0
	.set _ZN7rocprim17ROCPRIM_400000_NS6detail17trampoline_kernelINS0_14default_configENS1_35radix_sort_onesweep_config_selectorIbNS0_10empty_typeEEEZZNS1_29radix_sort_onesweep_iterationIS3_Lb0EPKbPbPS5_SB_mNS0_19identity_decomposerENS1_16block_id_wrapperIjLb1EEEEE10hipError_tT1_PNSt15iterator_traitsISG_E10value_typeET2_T3_PNSH_ISM_E10value_typeET4_T5_PSR_SS_PNS1_23onesweep_lookback_stateEbbT6_jjT7_P12ihipStream_tbENKUlT_T0_SG_SL_E_clISA_SA_SB_SB_EEDaSZ_S10_SG_SL_EUlSZ_E_NS1_11comp_targetILNS1_3genE9ELNS1_11target_archE1100ELNS1_3gpuE3ELNS1_3repE0EEENS1_47radix_sort_onesweep_sort_config_static_selectorELNS0_4arch9wavefront6targetE0EEEvSG_.num_named_barrier, 0
	.set _ZN7rocprim17ROCPRIM_400000_NS6detail17trampoline_kernelINS0_14default_configENS1_35radix_sort_onesweep_config_selectorIbNS0_10empty_typeEEEZZNS1_29radix_sort_onesweep_iterationIS3_Lb0EPKbPbPS5_SB_mNS0_19identity_decomposerENS1_16block_id_wrapperIjLb1EEEEE10hipError_tT1_PNSt15iterator_traitsISG_E10value_typeET2_T3_PNSH_ISM_E10value_typeET4_T5_PSR_SS_PNS1_23onesweep_lookback_stateEbbT6_jjT7_P12ihipStream_tbENKUlT_T0_SG_SL_E_clISA_SA_SB_SB_EEDaSZ_S10_SG_SL_EUlSZ_E_NS1_11comp_targetILNS1_3genE9ELNS1_11target_archE1100ELNS1_3gpuE3ELNS1_3repE0EEENS1_47radix_sort_onesweep_sort_config_static_selectorELNS0_4arch9wavefront6targetE0EEEvSG_.private_seg_size, 0
	.set _ZN7rocprim17ROCPRIM_400000_NS6detail17trampoline_kernelINS0_14default_configENS1_35radix_sort_onesweep_config_selectorIbNS0_10empty_typeEEEZZNS1_29radix_sort_onesweep_iterationIS3_Lb0EPKbPbPS5_SB_mNS0_19identity_decomposerENS1_16block_id_wrapperIjLb1EEEEE10hipError_tT1_PNSt15iterator_traitsISG_E10value_typeET2_T3_PNSH_ISM_E10value_typeET4_T5_PSR_SS_PNS1_23onesweep_lookback_stateEbbT6_jjT7_P12ihipStream_tbENKUlT_T0_SG_SL_E_clISA_SA_SB_SB_EEDaSZ_S10_SG_SL_EUlSZ_E_NS1_11comp_targetILNS1_3genE9ELNS1_11target_archE1100ELNS1_3gpuE3ELNS1_3repE0EEENS1_47radix_sort_onesweep_sort_config_static_selectorELNS0_4arch9wavefront6targetE0EEEvSG_.uses_vcc, 0
	.set _ZN7rocprim17ROCPRIM_400000_NS6detail17trampoline_kernelINS0_14default_configENS1_35radix_sort_onesweep_config_selectorIbNS0_10empty_typeEEEZZNS1_29radix_sort_onesweep_iterationIS3_Lb0EPKbPbPS5_SB_mNS0_19identity_decomposerENS1_16block_id_wrapperIjLb1EEEEE10hipError_tT1_PNSt15iterator_traitsISG_E10value_typeET2_T3_PNSH_ISM_E10value_typeET4_T5_PSR_SS_PNS1_23onesweep_lookback_stateEbbT6_jjT7_P12ihipStream_tbENKUlT_T0_SG_SL_E_clISA_SA_SB_SB_EEDaSZ_S10_SG_SL_EUlSZ_E_NS1_11comp_targetILNS1_3genE9ELNS1_11target_archE1100ELNS1_3gpuE3ELNS1_3repE0EEENS1_47radix_sort_onesweep_sort_config_static_selectorELNS0_4arch9wavefront6targetE0EEEvSG_.uses_flat_scratch, 0
	.set _ZN7rocprim17ROCPRIM_400000_NS6detail17trampoline_kernelINS0_14default_configENS1_35radix_sort_onesweep_config_selectorIbNS0_10empty_typeEEEZZNS1_29radix_sort_onesweep_iterationIS3_Lb0EPKbPbPS5_SB_mNS0_19identity_decomposerENS1_16block_id_wrapperIjLb1EEEEE10hipError_tT1_PNSt15iterator_traitsISG_E10value_typeET2_T3_PNSH_ISM_E10value_typeET4_T5_PSR_SS_PNS1_23onesweep_lookback_stateEbbT6_jjT7_P12ihipStream_tbENKUlT_T0_SG_SL_E_clISA_SA_SB_SB_EEDaSZ_S10_SG_SL_EUlSZ_E_NS1_11comp_targetILNS1_3genE9ELNS1_11target_archE1100ELNS1_3gpuE3ELNS1_3repE0EEENS1_47radix_sort_onesweep_sort_config_static_selectorELNS0_4arch9wavefront6targetE0EEEvSG_.has_dyn_sized_stack, 0
	.set _ZN7rocprim17ROCPRIM_400000_NS6detail17trampoline_kernelINS0_14default_configENS1_35radix_sort_onesweep_config_selectorIbNS0_10empty_typeEEEZZNS1_29radix_sort_onesweep_iterationIS3_Lb0EPKbPbPS5_SB_mNS0_19identity_decomposerENS1_16block_id_wrapperIjLb1EEEEE10hipError_tT1_PNSt15iterator_traitsISG_E10value_typeET2_T3_PNSH_ISM_E10value_typeET4_T5_PSR_SS_PNS1_23onesweep_lookback_stateEbbT6_jjT7_P12ihipStream_tbENKUlT_T0_SG_SL_E_clISA_SA_SB_SB_EEDaSZ_S10_SG_SL_EUlSZ_E_NS1_11comp_targetILNS1_3genE9ELNS1_11target_archE1100ELNS1_3gpuE3ELNS1_3repE0EEENS1_47radix_sort_onesweep_sort_config_static_selectorELNS0_4arch9wavefront6targetE0EEEvSG_.has_recursion, 0
	.set _ZN7rocprim17ROCPRIM_400000_NS6detail17trampoline_kernelINS0_14default_configENS1_35radix_sort_onesweep_config_selectorIbNS0_10empty_typeEEEZZNS1_29radix_sort_onesweep_iterationIS3_Lb0EPKbPbPS5_SB_mNS0_19identity_decomposerENS1_16block_id_wrapperIjLb1EEEEE10hipError_tT1_PNSt15iterator_traitsISG_E10value_typeET2_T3_PNSH_ISM_E10value_typeET4_T5_PSR_SS_PNS1_23onesweep_lookback_stateEbbT6_jjT7_P12ihipStream_tbENKUlT_T0_SG_SL_E_clISA_SA_SB_SB_EEDaSZ_S10_SG_SL_EUlSZ_E_NS1_11comp_targetILNS1_3genE9ELNS1_11target_archE1100ELNS1_3gpuE3ELNS1_3repE0EEENS1_47radix_sort_onesweep_sort_config_static_selectorELNS0_4arch9wavefront6targetE0EEEvSG_.has_indirect_call, 0
	.section	.AMDGPU.csdata,"",@progbits
; Kernel info:
; codeLenInByte = 0
; TotalNumSgprs: 0
; NumVgprs: 0
; ScratchSize: 0
; MemoryBound: 0
; FloatMode: 240
; IeeeMode: 1
; LDSByteSize: 0 bytes/workgroup (compile time only)
; SGPRBlocks: 0
; VGPRBlocks: 0
; NumSGPRsForWavesPerEU: 1
; NumVGPRsForWavesPerEU: 1
; NamedBarCnt: 0
; Occupancy: 16
; WaveLimiterHint : 0
; COMPUTE_PGM_RSRC2:SCRATCH_EN: 0
; COMPUTE_PGM_RSRC2:USER_SGPR: 2
; COMPUTE_PGM_RSRC2:TRAP_HANDLER: 0
; COMPUTE_PGM_RSRC2:TGID_X_EN: 1
; COMPUTE_PGM_RSRC2:TGID_Y_EN: 0
; COMPUTE_PGM_RSRC2:TGID_Z_EN: 0
; COMPUTE_PGM_RSRC2:TIDIG_COMP_CNT: 0
	.section	.text._ZN7rocprim17ROCPRIM_400000_NS6detail17trampoline_kernelINS0_14default_configENS1_35radix_sort_onesweep_config_selectorIbNS0_10empty_typeEEEZZNS1_29radix_sort_onesweep_iterationIS3_Lb0EPKbPbPS5_SB_mNS0_19identity_decomposerENS1_16block_id_wrapperIjLb1EEEEE10hipError_tT1_PNSt15iterator_traitsISG_E10value_typeET2_T3_PNSH_ISM_E10value_typeET4_T5_PSR_SS_PNS1_23onesweep_lookback_stateEbbT6_jjT7_P12ihipStream_tbENKUlT_T0_SG_SL_E_clISA_SA_SB_SB_EEDaSZ_S10_SG_SL_EUlSZ_E_NS1_11comp_targetILNS1_3genE8ELNS1_11target_archE1030ELNS1_3gpuE2ELNS1_3repE0EEENS1_47radix_sort_onesweep_sort_config_static_selectorELNS0_4arch9wavefront6targetE0EEEvSG_,"axG",@progbits,_ZN7rocprim17ROCPRIM_400000_NS6detail17trampoline_kernelINS0_14default_configENS1_35radix_sort_onesweep_config_selectorIbNS0_10empty_typeEEEZZNS1_29radix_sort_onesweep_iterationIS3_Lb0EPKbPbPS5_SB_mNS0_19identity_decomposerENS1_16block_id_wrapperIjLb1EEEEE10hipError_tT1_PNSt15iterator_traitsISG_E10value_typeET2_T3_PNSH_ISM_E10value_typeET4_T5_PSR_SS_PNS1_23onesweep_lookback_stateEbbT6_jjT7_P12ihipStream_tbENKUlT_T0_SG_SL_E_clISA_SA_SB_SB_EEDaSZ_S10_SG_SL_EUlSZ_E_NS1_11comp_targetILNS1_3genE8ELNS1_11target_archE1030ELNS1_3gpuE2ELNS1_3repE0EEENS1_47radix_sort_onesweep_sort_config_static_selectorELNS0_4arch9wavefront6targetE0EEEvSG_,comdat
	.protected	_ZN7rocprim17ROCPRIM_400000_NS6detail17trampoline_kernelINS0_14default_configENS1_35radix_sort_onesweep_config_selectorIbNS0_10empty_typeEEEZZNS1_29radix_sort_onesweep_iterationIS3_Lb0EPKbPbPS5_SB_mNS0_19identity_decomposerENS1_16block_id_wrapperIjLb1EEEEE10hipError_tT1_PNSt15iterator_traitsISG_E10value_typeET2_T3_PNSH_ISM_E10value_typeET4_T5_PSR_SS_PNS1_23onesweep_lookback_stateEbbT6_jjT7_P12ihipStream_tbENKUlT_T0_SG_SL_E_clISA_SA_SB_SB_EEDaSZ_S10_SG_SL_EUlSZ_E_NS1_11comp_targetILNS1_3genE8ELNS1_11target_archE1030ELNS1_3gpuE2ELNS1_3repE0EEENS1_47radix_sort_onesweep_sort_config_static_selectorELNS0_4arch9wavefront6targetE0EEEvSG_ ; -- Begin function _ZN7rocprim17ROCPRIM_400000_NS6detail17trampoline_kernelINS0_14default_configENS1_35radix_sort_onesweep_config_selectorIbNS0_10empty_typeEEEZZNS1_29radix_sort_onesweep_iterationIS3_Lb0EPKbPbPS5_SB_mNS0_19identity_decomposerENS1_16block_id_wrapperIjLb1EEEEE10hipError_tT1_PNSt15iterator_traitsISG_E10value_typeET2_T3_PNSH_ISM_E10value_typeET4_T5_PSR_SS_PNS1_23onesweep_lookback_stateEbbT6_jjT7_P12ihipStream_tbENKUlT_T0_SG_SL_E_clISA_SA_SB_SB_EEDaSZ_S10_SG_SL_EUlSZ_E_NS1_11comp_targetILNS1_3genE8ELNS1_11target_archE1030ELNS1_3gpuE2ELNS1_3repE0EEENS1_47radix_sort_onesweep_sort_config_static_selectorELNS0_4arch9wavefront6targetE0EEEvSG_
	.globl	_ZN7rocprim17ROCPRIM_400000_NS6detail17trampoline_kernelINS0_14default_configENS1_35radix_sort_onesweep_config_selectorIbNS0_10empty_typeEEEZZNS1_29radix_sort_onesweep_iterationIS3_Lb0EPKbPbPS5_SB_mNS0_19identity_decomposerENS1_16block_id_wrapperIjLb1EEEEE10hipError_tT1_PNSt15iterator_traitsISG_E10value_typeET2_T3_PNSH_ISM_E10value_typeET4_T5_PSR_SS_PNS1_23onesweep_lookback_stateEbbT6_jjT7_P12ihipStream_tbENKUlT_T0_SG_SL_E_clISA_SA_SB_SB_EEDaSZ_S10_SG_SL_EUlSZ_E_NS1_11comp_targetILNS1_3genE8ELNS1_11target_archE1030ELNS1_3gpuE2ELNS1_3repE0EEENS1_47radix_sort_onesweep_sort_config_static_selectorELNS0_4arch9wavefront6targetE0EEEvSG_
	.p2align	8
	.type	_ZN7rocprim17ROCPRIM_400000_NS6detail17trampoline_kernelINS0_14default_configENS1_35radix_sort_onesweep_config_selectorIbNS0_10empty_typeEEEZZNS1_29radix_sort_onesweep_iterationIS3_Lb0EPKbPbPS5_SB_mNS0_19identity_decomposerENS1_16block_id_wrapperIjLb1EEEEE10hipError_tT1_PNSt15iterator_traitsISG_E10value_typeET2_T3_PNSH_ISM_E10value_typeET4_T5_PSR_SS_PNS1_23onesweep_lookback_stateEbbT6_jjT7_P12ihipStream_tbENKUlT_T0_SG_SL_E_clISA_SA_SB_SB_EEDaSZ_S10_SG_SL_EUlSZ_E_NS1_11comp_targetILNS1_3genE8ELNS1_11target_archE1030ELNS1_3gpuE2ELNS1_3repE0EEENS1_47radix_sort_onesweep_sort_config_static_selectorELNS0_4arch9wavefront6targetE0EEEvSG_,@function
_ZN7rocprim17ROCPRIM_400000_NS6detail17trampoline_kernelINS0_14default_configENS1_35radix_sort_onesweep_config_selectorIbNS0_10empty_typeEEEZZNS1_29radix_sort_onesweep_iterationIS3_Lb0EPKbPbPS5_SB_mNS0_19identity_decomposerENS1_16block_id_wrapperIjLb1EEEEE10hipError_tT1_PNSt15iterator_traitsISG_E10value_typeET2_T3_PNSH_ISM_E10value_typeET4_T5_PSR_SS_PNS1_23onesweep_lookback_stateEbbT6_jjT7_P12ihipStream_tbENKUlT_T0_SG_SL_E_clISA_SA_SB_SB_EEDaSZ_S10_SG_SL_EUlSZ_E_NS1_11comp_targetILNS1_3genE8ELNS1_11target_archE1030ELNS1_3gpuE2ELNS1_3repE0EEENS1_47radix_sort_onesweep_sort_config_static_selectorELNS0_4arch9wavefront6targetE0EEEvSG_: ; @_ZN7rocprim17ROCPRIM_400000_NS6detail17trampoline_kernelINS0_14default_configENS1_35radix_sort_onesweep_config_selectorIbNS0_10empty_typeEEEZZNS1_29radix_sort_onesweep_iterationIS3_Lb0EPKbPbPS5_SB_mNS0_19identity_decomposerENS1_16block_id_wrapperIjLb1EEEEE10hipError_tT1_PNSt15iterator_traitsISG_E10value_typeET2_T3_PNSH_ISM_E10value_typeET4_T5_PSR_SS_PNS1_23onesweep_lookback_stateEbbT6_jjT7_P12ihipStream_tbENKUlT_T0_SG_SL_E_clISA_SA_SB_SB_EEDaSZ_S10_SG_SL_EUlSZ_E_NS1_11comp_targetILNS1_3genE8ELNS1_11target_archE1030ELNS1_3gpuE2ELNS1_3repE0EEENS1_47radix_sort_onesweep_sort_config_static_selectorELNS0_4arch9wavefront6targetE0EEEvSG_
; %bb.0:
	.section	.rodata,"a",@progbits
	.p2align	6, 0x0
	.amdhsa_kernel _ZN7rocprim17ROCPRIM_400000_NS6detail17trampoline_kernelINS0_14default_configENS1_35radix_sort_onesweep_config_selectorIbNS0_10empty_typeEEEZZNS1_29radix_sort_onesweep_iterationIS3_Lb0EPKbPbPS5_SB_mNS0_19identity_decomposerENS1_16block_id_wrapperIjLb1EEEEE10hipError_tT1_PNSt15iterator_traitsISG_E10value_typeET2_T3_PNSH_ISM_E10value_typeET4_T5_PSR_SS_PNS1_23onesweep_lookback_stateEbbT6_jjT7_P12ihipStream_tbENKUlT_T0_SG_SL_E_clISA_SA_SB_SB_EEDaSZ_S10_SG_SL_EUlSZ_E_NS1_11comp_targetILNS1_3genE8ELNS1_11target_archE1030ELNS1_3gpuE2ELNS1_3repE0EEENS1_47radix_sort_onesweep_sort_config_static_selectorELNS0_4arch9wavefront6targetE0EEEvSG_
		.amdhsa_group_segment_fixed_size 0
		.amdhsa_private_segment_fixed_size 0
		.amdhsa_kernarg_size 88
		.amdhsa_user_sgpr_count 2
		.amdhsa_user_sgpr_dispatch_ptr 0
		.amdhsa_user_sgpr_queue_ptr 0
		.amdhsa_user_sgpr_kernarg_segment_ptr 1
		.amdhsa_user_sgpr_dispatch_id 0
		.amdhsa_user_sgpr_kernarg_preload_length 0
		.amdhsa_user_sgpr_kernarg_preload_offset 0
		.amdhsa_user_sgpr_private_segment_size 0
		.amdhsa_wavefront_size32 1
		.amdhsa_uses_dynamic_stack 0
		.amdhsa_enable_private_segment 0
		.amdhsa_system_sgpr_workgroup_id_x 1
		.amdhsa_system_sgpr_workgroup_id_y 0
		.amdhsa_system_sgpr_workgroup_id_z 0
		.amdhsa_system_sgpr_workgroup_info 0
		.amdhsa_system_vgpr_workitem_id 0
		.amdhsa_next_free_vgpr 1
		.amdhsa_next_free_sgpr 1
		.amdhsa_named_barrier_count 0
		.amdhsa_reserve_vcc 0
		.amdhsa_float_round_mode_32 0
		.amdhsa_float_round_mode_16_64 0
		.amdhsa_float_denorm_mode_32 3
		.amdhsa_float_denorm_mode_16_64 3
		.amdhsa_fp16_overflow 0
		.amdhsa_memory_ordered 1
		.amdhsa_forward_progress 1
		.amdhsa_inst_pref_size 0
		.amdhsa_round_robin_scheduling 0
		.amdhsa_exception_fp_ieee_invalid_op 0
		.amdhsa_exception_fp_denorm_src 0
		.amdhsa_exception_fp_ieee_div_zero 0
		.amdhsa_exception_fp_ieee_overflow 0
		.amdhsa_exception_fp_ieee_underflow 0
		.amdhsa_exception_fp_ieee_inexact 0
		.amdhsa_exception_int_div_zero 0
	.end_amdhsa_kernel
	.section	.text._ZN7rocprim17ROCPRIM_400000_NS6detail17trampoline_kernelINS0_14default_configENS1_35radix_sort_onesweep_config_selectorIbNS0_10empty_typeEEEZZNS1_29radix_sort_onesweep_iterationIS3_Lb0EPKbPbPS5_SB_mNS0_19identity_decomposerENS1_16block_id_wrapperIjLb1EEEEE10hipError_tT1_PNSt15iterator_traitsISG_E10value_typeET2_T3_PNSH_ISM_E10value_typeET4_T5_PSR_SS_PNS1_23onesweep_lookback_stateEbbT6_jjT7_P12ihipStream_tbENKUlT_T0_SG_SL_E_clISA_SA_SB_SB_EEDaSZ_S10_SG_SL_EUlSZ_E_NS1_11comp_targetILNS1_3genE8ELNS1_11target_archE1030ELNS1_3gpuE2ELNS1_3repE0EEENS1_47radix_sort_onesweep_sort_config_static_selectorELNS0_4arch9wavefront6targetE0EEEvSG_,"axG",@progbits,_ZN7rocprim17ROCPRIM_400000_NS6detail17trampoline_kernelINS0_14default_configENS1_35radix_sort_onesweep_config_selectorIbNS0_10empty_typeEEEZZNS1_29radix_sort_onesweep_iterationIS3_Lb0EPKbPbPS5_SB_mNS0_19identity_decomposerENS1_16block_id_wrapperIjLb1EEEEE10hipError_tT1_PNSt15iterator_traitsISG_E10value_typeET2_T3_PNSH_ISM_E10value_typeET4_T5_PSR_SS_PNS1_23onesweep_lookback_stateEbbT6_jjT7_P12ihipStream_tbENKUlT_T0_SG_SL_E_clISA_SA_SB_SB_EEDaSZ_S10_SG_SL_EUlSZ_E_NS1_11comp_targetILNS1_3genE8ELNS1_11target_archE1030ELNS1_3gpuE2ELNS1_3repE0EEENS1_47radix_sort_onesweep_sort_config_static_selectorELNS0_4arch9wavefront6targetE0EEEvSG_,comdat
.Lfunc_end1869:
	.size	_ZN7rocprim17ROCPRIM_400000_NS6detail17trampoline_kernelINS0_14default_configENS1_35radix_sort_onesweep_config_selectorIbNS0_10empty_typeEEEZZNS1_29radix_sort_onesweep_iterationIS3_Lb0EPKbPbPS5_SB_mNS0_19identity_decomposerENS1_16block_id_wrapperIjLb1EEEEE10hipError_tT1_PNSt15iterator_traitsISG_E10value_typeET2_T3_PNSH_ISM_E10value_typeET4_T5_PSR_SS_PNS1_23onesweep_lookback_stateEbbT6_jjT7_P12ihipStream_tbENKUlT_T0_SG_SL_E_clISA_SA_SB_SB_EEDaSZ_S10_SG_SL_EUlSZ_E_NS1_11comp_targetILNS1_3genE8ELNS1_11target_archE1030ELNS1_3gpuE2ELNS1_3repE0EEENS1_47radix_sort_onesweep_sort_config_static_selectorELNS0_4arch9wavefront6targetE0EEEvSG_, .Lfunc_end1869-_ZN7rocprim17ROCPRIM_400000_NS6detail17trampoline_kernelINS0_14default_configENS1_35radix_sort_onesweep_config_selectorIbNS0_10empty_typeEEEZZNS1_29radix_sort_onesweep_iterationIS3_Lb0EPKbPbPS5_SB_mNS0_19identity_decomposerENS1_16block_id_wrapperIjLb1EEEEE10hipError_tT1_PNSt15iterator_traitsISG_E10value_typeET2_T3_PNSH_ISM_E10value_typeET4_T5_PSR_SS_PNS1_23onesweep_lookback_stateEbbT6_jjT7_P12ihipStream_tbENKUlT_T0_SG_SL_E_clISA_SA_SB_SB_EEDaSZ_S10_SG_SL_EUlSZ_E_NS1_11comp_targetILNS1_3genE8ELNS1_11target_archE1030ELNS1_3gpuE2ELNS1_3repE0EEENS1_47radix_sort_onesweep_sort_config_static_selectorELNS0_4arch9wavefront6targetE0EEEvSG_
                                        ; -- End function
	.set _ZN7rocprim17ROCPRIM_400000_NS6detail17trampoline_kernelINS0_14default_configENS1_35radix_sort_onesweep_config_selectorIbNS0_10empty_typeEEEZZNS1_29radix_sort_onesweep_iterationIS3_Lb0EPKbPbPS5_SB_mNS0_19identity_decomposerENS1_16block_id_wrapperIjLb1EEEEE10hipError_tT1_PNSt15iterator_traitsISG_E10value_typeET2_T3_PNSH_ISM_E10value_typeET4_T5_PSR_SS_PNS1_23onesweep_lookback_stateEbbT6_jjT7_P12ihipStream_tbENKUlT_T0_SG_SL_E_clISA_SA_SB_SB_EEDaSZ_S10_SG_SL_EUlSZ_E_NS1_11comp_targetILNS1_3genE8ELNS1_11target_archE1030ELNS1_3gpuE2ELNS1_3repE0EEENS1_47radix_sort_onesweep_sort_config_static_selectorELNS0_4arch9wavefront6targetE0EEEvSG_.num_vgpr, 0
	.set _ZN7rocprim17ROCPRIM_400000_NS6detail17trampoline_kernelINS0_14default_configENS1_35radix_sort_onesweep_config_selectorIbNS0_10empty_typeEEEZZNS1_29radix_sort_onesweep_iterationIS3_Lb0EPKbPbPS5_SB_mNS0_19identity_decomposerENS1_16block_id_wrapperIjLb1EEEEE10hipError_tT1_PNSt15iterator_traitsISG_E10value_typeET2_T3_PNSH_ISM_E10value_typeET4_T5_PSR_SS_PNS1_23onesweep_lookback_stateEbbT6_jjT7_P12ihipStream_tbENKUlT_T0_SG_SL_E_clISA_SA_SB_SB_EEDaSZ_S10_SG_SL_EUlSZ_E_NS1_11comp_targetILNS1_3genE8ELNS1_11target_archE1030ELNS1_3gpuE2ELNS1_3repE0EEENS1_47radix_sort_onesweep_sort_config_static_selectorELNS0_4arch9wavefront6targetE0EEEvSG_.num_agpr, 0
	.set _ZN7rocprim17ROCPRIM_400000_NS6detail17trampoline_kernelINS0_14default_configENS1_35radix_sort_onesweep_config_selectorIbNS0_10empty_typeEEEZZNS1_29radix_sort_onesweep_iterationIS3_Lb0EPKbPbPS5_SB_mNS0_19identity_decomposerENS1_16block_id_wrapperIjLb1EEEEE10hipError_tT1_PNSt15iterator_traitsISG_E10value_typeET2_T3_PNSH_ISM_E10value_typeET4_T5_PSR_SS_PNS1_23onesweep_lookback_stateEbbT6_jjT7_P12ihipStream_tbENKUlT_T0_SG_SL_E_clISA_SA_SB_SB_EEDaSZ_S10_SG_SL_EUlSZ_E_NS1_11comp_targetILNS1_3genE8ELNS1_11target_archE1030ELNS1_3gpuE2ELNS1_3repE0EEENS1_47radix_sort_onesweep_sort_config_static_selectorELNS0_4arch9wavefront6targetE0EEEvSG_.numbered_sgpr, 0
	.set _ZN7rocprim17ROCPRIM_400000_NS6detail17trampoline_kernelINS0_14default_configENS1_35radix_sort_onesweep_config_selectorIbNS0_10empty_typeEEEZZNS1_29radix_sort_onesweep_iterationIS3_Lb0EPKbPbPS5_SB_mNS0_19identity_decomposerENS1_16block_id_wrapperIjLb1EEEEE10hipError_tT1_PNSt15iterator_traitsISG_E10value_typeET2_T3_PNSH_ISM_E10value_typeET4_T5_PSR_SS_PNS1_23onesweep_lookback_stateEbbT6_jjT7_P12ihipStream_tbENKUlT_T0_SG_SL_E_clISA_SA_SB_SB_EEDaSZ_S10_SG_SL_EUlSZ_E_NS1_11comp_targetILNS1_3genE8ELNS1_11target_archE1030ELNS1_3gpuE2ELNS1_3repE0EEENS1_47radix_sort_onesweep_sort_config_static_selectorELNS0_4arch9wavefront6targetE0EEEvSG_.num_named_barrier, 0
	.set _ZN7rocprim17ROCPRIM_400000_NS6detail17trampoline_kernelINS0_14default_configENS1_35radix_sort_onesweep_config_selectorIbNS0_10empty_typeEEEZZNS1_29radix_sort_onesweep_iterationIS3_Lb0EPKbPbPS5_SB_mNS0_19identity_decomposerENS1_16block_id_wrapperIjLb1EEEEE10hipError_tT1_PNSt15iterator_traitsISG_E10value_typeET2_T3_PNSH_ISM_E10value_typeET4_T5_PSR_SS_PNS1_23onesweep_lookback_stateEbbT6_jjT7_P12ihipStream_tbENKUlT_T0_SG_SL_E_clISA_SA_SB_SB_EEDaSZ_S10_SG_SL_EUlSZ_E_NS1_11comp_targetILNS1_3genE8ELNS1_11target_archE1030ELNS1_3gpuE2ELNS1_3repE0EEENS1_47radix_sort_onesweep_sort_config_static_selectorELNS0_4arch9wavefront6targetE0EEEvSG_.private_seg_size, 0
	.set _ZN7rocprim17ROCPRIM_400000_NS6detail17trampoline_kernelINS0_14default_configENS1_35radix_sort_onesweep_config_selectorIbNS0_10empty_typeEEEZZNS1_29radix_sort_onesweep_iterationIS3_Lb0EPKbPbPS5_SB_mNS0_19identity_decomposerENS1_16block_id_wrapperIjLb1EEEEE10hipError_tT1_PNSt15iterator_traitsISG_E10value_typeET2_T3_PNSH_ISM_E10value_typeET4_T5_PSR_SS_PNS1_23onesweep_lookback_stateEbbT6_jjT7_P12ihipStream_tbENKUlT_T0_SG_SL_E_clISA_SA_SB_SB_EEDaSZ_S10_SG_SL_EUlSZ_E_NS1_11comp_targetILNS1_3genE8ELNS1_11target_archE1030ELNS1_3gpuE2ELNS1_3repE0EEENS1_47radix_sort_onesweep_sort_config_static_selectorELNS0_4arch9wavefront6targetE0EEEvSG_.uses_vcc, 0
	.set _ZN7rocprim17ROCPRIM_400000_NS6detail17trampoline_kernelINS0_14default_configENS1_35radix_sort_onesweep_config_selectorIbNS0_10empty_typeEEEZZNS1_29radix_sort_onesweep_iterationIS3_Lb0EPKbPbPS5_SB_mNS0_19identity_decomposerENS1_16block_id_wrapperIjLb1EEEEE10hipError_tT1_PNSt15iterator_traitsISG_E10value_typeET2_T3_PNSH_ISM_E10value_typeET4_T5_PSR_SS_PNS1_23onesweep_lookback_stateEbbT6_jjT7_P12ihipStream_tbENKUlT_T0_SG_SL_E_clISA_SA_SB_SB_EEDaSZ_S10_SG_SL_EUlSZ_E_NS1_11comp_targetILNS1_3genE8ELNS1_11target_archE1030ELNS1_3gpuE2ELNS1_3repE0EEENS1_47radix_sort_onesweep_sort_config_static_selectorELNS0_4arch9wavefront6targetE0EEEvSG_.uses_flat_scratch, 0
	.set _ZN7rocprim17ROCPRIM_400000_NS6detail17trampoline_kernelINS0_14default_configENS1_35radix_sort_onesweep_config_selectorIbNS0_10empty_typeEEEZZNS1_29radix_sort_onesweep_iterationIS3_Lb0EPKbPbPS5_SB_mNS0_19identity_decomposerENS1_16block_id_wrapperIjLb1EEEEE10hipError_tT1_PNSt15iterator_traitsISG_E10value_typeET2_T3_PNSH_ISM_E10value_typeET4_T5_PSR_SS_PNS1_23onesweep_lookback_stateEbbT6_jjT7_P12ihipStream_tbENKUlT_T0_SG_SL_E_clISA_SA_SB_SB_EEDaSZ_S10_SG_SL_EUlSZ_E_NS1_11comp_targetILNS1_3genE8ELNS1_11target_archE1030ELNS1_3gpuE2ELNS1_3repE0EEENS1_47radix_sort_onesweep_sort_config_static_selectorELNS0_4arch9wavefront6targetE0EEEvSG_.has_dyn_sized_stack, 0
	.set _ZN7rocprim17ROCPRIM_400000_NS6detail17trampoline_kernelINS0_14default_configENS1_35radix_sort_onesweep_config_selectorIbNS0_10empty_typeEEEZZNS1_29radix_sort_onesweep_iterationIS3_Lb0EPKbPbPS5_SB_mNS0_19identity_decomposerENS1_16block_id_wrapperIjLb1EEEEE10hipError_tT1_PNSt15iterator_traitsISG_E10value_typeET2_T3_PNSH_ISM_E10value_typeET4_T5_PSR_SS_PNS1_23onesweep_lookback_stateEbbT6_jjT7_P12ihipStream_tbENKUlT_T0_SG_SL_E_clISA_SA_SB_SB_EEDaSZ_S10_SG_SL_EUlSZ_E_NS1_11comp_targetILNS1_3genE8ELNS1_11target_archE1030ELNS1_3gpuE2ELNS1_3repE0EEENS1_47radix_sort_onesweep_sort_config_static_selectorELNS0_4arch9wavefront6targetE0EEEvSG_.has_recursion, 0
	.set _ZN7rocprim17ROCPRIM_400000_NS6detail17trampoline_kernelINS0_14default_configENS1_35radix_sort_onesweep_config_selectorIbNS0_10empty_typeEEEZZNS1_29radix_sort_onesweep_iterationIS3_Lb0EPKbPbPS5_SB_mNS0_19identity_decomposerENS1_16block_id_wrapperIjLb1EEEEE10hipError_tT1_PNSt15iterator_traitsISG_E10value_typeET2_T3_PNSH_ISM_E10value_typeET4_T5_PSR_SS_PNS1_23onesweep_lookback_stateEbbT6_jjT7_P12ihipStream_tbENKUlT_T0_SG_SL_E_clISA_SA_SB_SB_EEDaSZ_S10_SG_SL_EUlSZ_E_NS1_11comp_targetILNS1_3genE8ELNS1_11target_archE1030ELNS1_3gpuE2ELNS1_3repE0EEENS1_47radix_sort_onesweep_sort_config_static_selectorELNS0_4arch9wavefront6targetE0EEEvSG_.has_indirect_call, 0
	.section	.AMDGPU.csdata,"",@progbits
; Kernel info:
; codeLenInByte = 0
; TotalNumSgprs: 0
; NumVgprs: 0
; ScratchSize: 0
; MemoryBound: 0
; FloatMode: 240
; IeeeMode: 1
; LDSByteSize: 0 bytes/workgroup (compile time only)
; SGPRBlocks: 0
; VGPRBlocks: 0
; NumSGPRsForWavesPerEU: 1
; NumVGPRsForWavesPerEU: 1
; NamedBarCnt: 0
; Occupancy: 16
; WaveLimiterHint : 0
; COMPUTE_PGM_RSRC2:SCRATCH_EN: 0
; COMPUTE_PGM_RSRC2:USER_SGPR: 2
; COMPUTE_PGM_RSRC2:TRAP_HANDLER: 0
; COMPUTE_PGM_RSRC2:TGID_X_EN: 1
; COMPUTE_PGM_RSRC2:TGID_Y_EN: 0
; COMPUTE_PGM_RSRC2:TGID_Z_EN: 0
; COMPUTE_PGM_RSRC2:TIDIG_COMP_CNT: 0
	.section	.text._ZN7rocprim17ROCPRIM_400000_NS6detail17trampoline_kernelINS0_14default_configENS1_35radix_sort_onesweep_config_selectorIbNS0_10empty_typeEEEZZNS1_29radix_sort_onesweep_iterationIS3_Lb0EPKbPbPS5_SB_mNS0_19identity_decomposerENS1_16block_id_wrapperIjLb0EEEEE10hipError_tT1_PNSt15iterator_traitsISG_E10value_typeET2_T3_PNSH_ISM_E10value_typeET4_T5_PSR_SS_PNS1_23onesweep_lookback_stateEbbT6_jjT7_P12ihipStream_tbENKUlT_T0_SG_SL_E_clIS9_SA_SB_SB_EEDaSZ_S10_SG_SL_EUlSZ_E_NS1_11comp_targetILNS1_3genE0ELNS1_11target_archE4294967295ELNS1_3gpuE0ELNS1_3repE0EEENS1_47radix_sort_onesweep_sort_config_static_selectorELNS0_4arch9wavefront6targetE0EEEvSG_,"axG",@progbits,_ZN7rocprim17ROCPRIM_400000_NS6detail17trampoline_kernelINS0_14default_configENS1_35radix_sort_onesweep_config_selectorIbNS0_10empty_typeEEEZZNS1_29radix_sort_onesweep_iterationIS3_Lb0EPKbPbPS5_SB_mNS0_19identity_decomposerENS1_16block_id_wrapperIjLb0EEEEE10hipError_tT1_PNSt15iterator_traitsISG_E10value_typeET2_T3_PNSH_ISM_E10value_typeET4_T5_PSR_SS_PNS1_23onesweep_lookback_stateEbbT6_jjT7_P12ihipStream_tbENKUlT_T0_SG_SL_E_clIS9_SA_SB_SB_EEDaSZ_S10_SG_SL_EUlSZ_E_NS1_11comp_targetILNS1_3genE0ELNS1_11target_archE4294967295ELNS1_3gpuE0ELNS1_3repE0EEENS1_47radix_sort_onesweep_sort_config_static_selectorELNS0_4arch9wavefront6targetE0EEEvSG_,comdat
	.protected	_ZN7rocprim17ROCPRIM_400000_NS6detail17trampoline_kernelINS0_14default_configENS1_35radix_sort_onesweep_config_selectorIbNS0_10empty_typeEEEZZNS1_29radix_sort_onesweep_iterationIS3_Lb0EPKbPbPS5_SB_mNS0_19identity_decomposerENS1_16block_id_wrapperIjLb0EEEEE10hipError_tT1_PNSt15iterator_traitsISG_E10value_typeET2_T3_PNSH_ISM_E10value_typeET4_T5_PSR_SS_PNS1_23onesweep_lookback_stateEbbT6_jjT7_P12ihipStream_tbENKUlT_T0_SG_SL_E_clIS9_SA_SB_SB_EEDaSZ_S10_SG_SL_EUlSZ_E_NS1_11comp_targetILNS1_3genE0ELNS1_11target_archE4294967295ELNS1_3gpuE0ELNS1_3repE0EEENS1_47radix_sort_onesweep_sort_config_static_selectorELNS0_4arch9wavefront6targetE0EEEvSG_ ; -- Begin function _ZN7rocprim17ROCPRIM_400000_NS6detail17trampoline_kernelINS0_14default_configENS1_35radix_sort_onesweep_config_selectorIbNS0_10empty_typeEEEZZNS1_29radix_sort_onesweep_iterationIS3_Lb0EPKbPbPS5_SB_mNS0_19identity_decomposerENS1_16block_id_wrapperIjLb0EEEEE10hipError_tT1_PNSt15iterator_traitsISG_E10value_typeET2_T3_PNSH_ISM_E10value_typeET4_T5_PSR_SS_PNS1_23onesweep_lookback_stateEbbT6_jjT7_P12ihipStream_tbENKUlT_T0_SG_SL_E_clIS9_SA_SB_SB_EEDaSZ_S10_SG_SL_EUlSZ_E_NS1_11comp_targetILNS1_3genE0ELNS1_11target_archE4294967295ELNS1_3gpuE0ELNS1_3repE0EEENS1_47radix_sort_onesweep_sort_config_static_selectorELNS0_4arch9wavefront6targetE0EEEvSG_
	.globl	_ZN7rocprim17ROCPRIM_400000_NS6detail17trampoline_kernelINS0_14default_configENS1_35radix_sort_onesweep_config_selectorIbNS0_10empty_typeEEEZZNS1_29radix_sort_onesweep_iterationIS3_Lb0EPKbPbPS5_SB_mNS0_19identity_decomposerENS1_16block_id_wrapperIjLb0EEEEE10hipError_tT1_PNSt15iterator_traitsISG_E10value_typeET2_T3_PNSH_ISM_E10value_typeET4_T5_PSR_SS_PNS1_23onesweep_lookback_stateEbbT6_jjT7_P12ihipStream_tbENKUlT_T0_SG_SL_E_clIS9_SA_SB_SB_EEDaSZ_S10_SG_SL_EUlSZ_E_NS1_11comp_targetILNS1_3genE0ELNS1_11target_archE4294967295ELNS1_3gpuE0ELNS1_3repE0EEENS1_47radix_sort_onesweep_sort_config_static_selectorELNS0_4arch9wavefront6targetE0EEEvSG_
	.p2align	8
	.type	_ZN7rocprim17ROCPRIM_400000_NS6detail17trampoline_kernelINS0_14default_configENS1_35radix_sort_onesweep_config_selectorIbNS0_10empty_typeEEEZZNS1_29radix_sort_onesweep_iterationIS3_Lb0EPKbPbPS5_SB_mNS0_19identity_decomposerENS1_16block_id_wrapperIjLb0EEEEE10hipError_tT1_PNSt15iterator_traitsISG_E10value_typeET2_T3_PNSH_ISM_E10value_typeET4_T5_PSR_SS_PNS1_23onesweep_lookback_stateEbbT6_jjT7_P12ihipStream_tbENKUlT_T0_SG_SL_E_clIS9_SA_SB_SB_EEDaSZ_S10_SG_SL_EUlSZ_E_NS1_11comp_targetILNS1_3genE0ELNS1_11target_archE4294967295ELNS1_3gpuE0ELNS1_3repE0EEENS1_47radix_sort_onesweep_sort_config_static_selectorELNS0_4arch9wavefront6targetE0EEEvSG_,@function
_ZN7rocprim17ROCPRIM_400000_NS6detail17trampoline_kernelINS0_14default_configENS1_35radix_sort_onesweep_config_selectorIbNS0_10empty_typeEEEZZNS1_29radix_sort_onesweep_iterationIS3_Lb0EPKbPbPS5_SB_mNS0_19identity_decomposerENS1_16block_id_wrapperIjLb0EEEEE10hipError_tT1_PNSt15iterator_traitsISG_E10value_typeET2_T3_PNSH_ISM_E10value_typeET4_T5_PSR_SS_PNS1_23onesweep_lookback_stateEbbT6_jjT7_P12ihipStream_tbENKUlT_T0_SG_SL_E_clIS9_SA_SB_SB_EEDaSZ_S10_SG_SL_EUlSZ_E_NS1_11comp_targetILNS1_3genE0ELNS1_11target_archE4294967295ELNS1_3gpuE0ELNS1_3repE0EEENS1_47radix_sort_onesweep_sort_config_static_selectorELNS0_4arch9wavefront6targetE0EEEvSG_: ; @_ZN7rocprim17ROCPRIM_400000_NS6detail17trampoline_kernelINS0_14default_configENS1_35radix_sort_onesweep_config_selectorIbNS0_10empty_typeEEEZZNS1_29radix_sort_onesweep_iterationIS3_Lb0EPKbPbPS5_SB_mNS0_19identity_decomposerENS1_16block_id_wrapperIjLb0EEEEE10hipError_tT1_PNSt15iterator_traitsISG_E10value_typeET2_T3_PNSH_ISM_E10value_typeET4_T5_PSR_SS_PNS1_23onesweep_lookback_stateEbbT6_jjT7_P12ihipStream_tbENKUlT_T0_SG_SL_E_clIS9_SA_SB_SB_EEDaSZ_S10_SG_SL_EUlSZ_E_NS1_11comp_targetILNS1_3genE0ELNS1_11target_archE4294967295ELNS1_3gpuE0ELNS1_3repE0EEENS1_47radix_sort_onesweep_sort_config_static_selectorELNS0_4arch9wavefront6targetE0EEEvSG_
; %bb.0:
	s_clause 0x3
	s_load_b96 s[16:18], s[0:1], 0x44
	s_load_b64 s[20:21], s[0:1], 0x38
	s_load_b128 s[12:15], s[0:1], 0x0
	s_load_b128 s[8:11], s[0:1], 0x28
	s_bfe_u32 s2, ttmp6, 0x4000c
	s_and_b32 s3, ttmp6, 15
	s_add_co_i32 s2, s2, 1
	s_getreg_b32 s4, hwreg(HW_REG_IB_STS2, 6, 4)
	s_mul_i32 s2, ttmp9, s2
	v_mul_u32_u24_e32 v6, 22, v0
	s_add_co_i32 s3, s3, s2
	s_cmp_eq_u32 s4, 0
	s_mov_b32 s23, 0
	s_cselect_b32 s19, ttmp9, s3
	s_mov_b32 s2, -1
	s_mul_i32 s22, s19, 0x5800
	s_wait_kmcnt 0x0
	s_cmp_ge_u32 s19, s18
	s_cbranch_scc0 .LBB1870_112
; %bb.1:
	s_load_b32 s4, s[0:1], 0x20
	v_dual_mov_b32 v7, 0 :: v_dual_mov_b32 v4, 1
	s_add_nc_u64 s[2:3], s[12:13], s[22:23]
	v_dual_mov_b32 v1, 1 :: v_dual_mov_b32 v5, 1
	s_delay_alu instid0(VALU_DEP_2) | instskip(SKIP_4) | instid1(SALU_CYCLE_1)
	v_add_nc_u64_e32 v[2:3], s[2:3], v[6:7]
	s_mul_i32 s5, s18, 0xffffa800
	s_mov_b32 s2, exec_lo
	s_wait_kmcnt 0x0
	s_add_co_i32 s18, s4, s5
	v_cmpx_gt_u32_e64 s18, v6
	s_cbranch_execz .LBB1870_3
; %bb.2:
	global_load_u8 v5, v[2:3], off
	s_wait_loadcnt 0x0
	v_and_b32_e32 v4, 1, v5
.LBB1870_3:
	s_or_b32 exec_lo, exec_lo, s2
	v_dual_mov_b32 v28, 1 :: v_dual_bitop2_b32 v7, 1, v6 bitop3:0x54
	s_mov_b32 s2, exec_lo
	s_delay_alu instid0(VALU_DEP_1)
	v_cmpx_gt_u32_e64 s18, v7
	s_cbranch_execz .LBB1870_5
; %bb.4:
	global_load_u8 v1, v[2:3], off offset:1
	s_wait_loadcnt 0x0
	v_and_b32_e32 v28, 1, v1
.LBB1870_5:
	s_or_b32 exec_lo, exec_lo, s2
	v_dual_mov_b32 v29, 1 :: v_dual_add_nc_u32 v8, 2, v6
	v_mov_b32_e32 v7, 1
	s_delay_alu instid0(VALU_DEP_2)
	v_cmp_gt_u32_e32 vcc_lo, s18, v8
	v_mov_b32_e32 v8, 1
	s_and_saveexec_b32 s2, vcc_lo
	s_cbranch_execz .LBB1870_7
; %bb.6:
	global_load_u8 v8, v[2:3], off offset:2
	s_wait_loadcnt 0x0
	v_and_b32_e32 v29, 1, v8
.LBB1870_7:
	s_or_b32 exec_lo, exec_lo, s2
	v_dual_mov_b32 v30, 1 :: v_dual_add_nc_u32 v9, 3, v6
	s_mov_b32 s2, exec_lo
	s_delay_alu instid0(VALU_DEP_1)
	v_cmpx_gt_u32_e64 s18, v9
	s_cbranch_execz .LBB1870_9
; %bb.8:
	global_load_u8 v7, v[2:3], off offset:3
	s_wait_loadcnt 0x0
	v_and_b32_e32 v30, 1, v7
.LBB1870_9:
	s_or_b32 exec_lo, exec_lo, s2
	v_dual_mov_b32 v31, 1 :: v_dual_add_nc_u32 v10, 4, v6
	v_mov_b32_e32 v9, 1
	s_delay_alu instid0(VALU_DEP_2)
	v_cmp_gt_u32_e32 vcc_lo, s18, v10
	v_mov_b32_e32 v10, 1
	s_and_saveexec_b32 s2, vcc_lo
	s_cbranch_execz .LBB1870_11
; %bb.10:
	global_load_u8 v10, v[2:3], off offset:4
	s_wait_loadcnt 0x0
	v_and_b32_e32 v31, 1, v10
.LBB1870_11:
	s_or_b32 exec_lo, exec_lo, s2
	v_dual_mov_b32 v32, 1 :: v_dual_add_nc_u32 v11, 5, v6
	;; [unrolled: 24-line block ×7, first 2 shown]
	s_mov_b32 s2, exec_lo
	s_delay_alu instid0(VALU_DEP_1)
	v_cmpx_gt_u32_e64 s18, v21
	s_cbranch_execz .LBB1870_33
; %bb.32:
	global_load_u8 v19, v[2:3], off offset:15
	s_wait_loadcnt 0x0
	v_and_b32_e32 v42, 1, v19
.LBB1870_33:
	s_or_b32 exec_lo, exec_lo, s2
	v_dual_mov_b32 v43, 1 :: v_dual_add_nc_u32 v22, 16, v6
	v_mov_b32_e32 v21, 1
	s_delay_alu instid0(VALU_DEP_2)
	v_cmp_gt_u32_e32 vcc_lo, s18, v22
	v_mov_b32_e32 v22, 1
	s_and_saveexec_b32 s2, vcc_lo
	s_cbranch_execz .LBB1870_35
; %bb.34:
	global_load_u8 v22, v[2:3], off offset:16
	s_wait_loadcnt 0x0
	v_and_b32_e32 v43, 1, v22
.LBB1870_35:
	s_or_b32 exec_lo, exec_lo, s2
	v_dual_add_nc_u32 v23, 17, v6 :: v_dual_mov_b32 v45, 1
	s_mov_b32 s2, exec_lo
	s_delay_alu instid0(VALU_DEP_1)
	v_cmpx_gt_u32_e64 s18, v23
	s_cbranch_execz .LBB1870_37
; %bb.36:
	global_load_u8 v21, v[2:3], off offset:17
	s_wait_loadcnt 0x0
	v_and_b32_e32 v45, 1, v21
.LBB1870_37:
	s_or_b32 exec_lo, exec_lo, s2
	v_dual_mov_b32 v47, 1 :: v_dual_add_nc_u32 v24, 18, v6
	v_mov_b32_e32 v23, 1
	s_delay_alu instid0(VALU_DEP_2)
	v_cmp_gt_u32_e32 vcc_lo, s18, v24
	v_mov_b32_e32 v24, 1
	s_and_saveexec_b32 s2, vcc_lo
	s_cbranch_execz .LBB1870_39
; %bb.38:
	global_load_u8 v24, v[2:3], off offset:18
	s_wait_loadcnt 0x0
	v_and_b32_e32 v47, 1, v24
.LBB1870_39:
	s_or_b32 exec_lo, exec_lo, s2
	v_dual_add_nc_u32 v25, 19, v6 :: v_dual_mov_b32 v49, 1
	;; [unrolled: 24-line block ×3, first 2 shown]
	s_mov_b32 s2, exec_lo
	s_delay_alu instid0(VALU_DEP_1)
	v_cmpx_gt_u32_e64 s18, v27
	s_cbranch_execz .LBB1870_45
; %bb.44:
	global_load_u8 v25, v[2:3], off offset:21
	s_wait_loadcnt 0x0
	v_and_b32_e32 v53, 1, v25
.LBB1870_45:
	s_or_b32 exec_lo, exec_lo, s2
	v_dual_mov_b32 v3, 0 :: v_dual_lshrrev_b32 v2, s16, v4
	s_lshl_b32 s23, -1, s17
	v_dual_lshlrev_b32 v67, 2, v0 :: v_dual_lshrrev_b32 v31, s16, v31
	v_lshrrev_b32_e32 v32, s16, v32
	s_delay_alu instid0(VALU_DEP_3)
	v_bitop3_b32 v2, v2, s23, v2 bitop3:0x30
	ds_store_2addr_stride64_b32 v67, v3, v3 offset1:16
	ds_store_2addr_stride64_b32 v67, v3, v3 offset0:32 offset1:48
	ds_store_2addr_stride64_b32 v67, v3, v3 offset0:64 offset1:80
	;; [unrolled: 1-line block ×3, first 2 shown]
	v_dual_lshrrev_b32 v3, s16, v28 :: v_dual_lshrrev_b32 v30, s16, v30
	v_lshl_or_b32 v2, v2, 12, v67
	v_bitop3_b32 v31, v31, s23, v31 bitop3:0x30
	v_bitop3_b32 v32, v32, s23, v32 bitop3:0x30
	s_delay_alu instid0(VALU_DEP_4)
	v_bitop3_b32 v3, v3, s23, v3 bitop3:0x30
	v_bitop3_b32 v30, v30, s23, v30 bitop3:0x30
	ds_load_u16 v27, v2
	v_dual_lshrrev_b32 v33, s16, v33 :: v_dual_lshrrev_b32 v34, s16, v34
	v_dual_lshrrev_b32 v35, s16, v35 :: v_dual_lshrrev_b32 v36, s16, v36
	;; [unrolled: 1-line block ×3, first 2 shown]
	s_delay_alu instid0(VALU_DEP_3) | instskip(NEXT) | instid1(VALU_DEP_4)
	v_bitop3_b32 v33, v33, s23, v33 bitop3:0x30
	v_bitop3_b32 v34, v34, s23, v34 bitop3:0x30
	s_delay_alu instid0(VALU_DEP_4)
	v_bitop3_b32 v35, v35, s23, v35 bitop3:0x30
	v_bitop3_b32 v36, v36, s23, v36 bitop3:0x30
	;; [unrolled: 1-line block ×4, first 2 shown]
	v_dual_lshrrev_b32 v39, s16, v39 :: v_dual_lshrrev_b32 v40, s16, v40
	v_dual_lshrrev_b32 v41, s16, v41 :: v_dual_lshrrev_b32 v42, s16, v42
	;; [unrolled: 1-line block ×3, first 2 shown]
	s_delay_alu instid0(VALU_DEP_3)
	v_bitop3_b32 v39, v39, s23, v39 bitop3:0x30
	s_wait_dscnt 0x0
	v_add_nc_u16 v4, v27, 1
	v_bitop3_b32 v40, v40, s23, v40 bitop3:0x30
	v_bitop3_b32 v41, v41, s23, v41 bitop3:0x30
	;; [unrolled: 1-line block ×4, first 2 shown]
	ds_store_b16 v2, v4
	v_lshrrev_b32_e32 v4, s16, v29
	v_lshl_or_b32 v3, v3, 12, v67
	v_lshl_or_b32 v44, v30, 12, v67
	v_bitop3_b32 v45, v45, s23, v45 bitop3:0x30
	v_dual_lshrrev_b32 v47, s16, v47 :: v_dual_lshrrev_b32 v49, s16, v49
	ds_load_u16 v28, v3
	v_bitop3_b32 v4, v4, s23, v4 bitop3:0x30
	v_dual_lshrrev_b32 v51, s16, v51 :: v_dual_lshrrev_b32 v53, s16, v53
	v_bitop3_b32 v47, v47, s23, v47 bitop3:0x30
	v_bitop3_b32 v49, v49, s23, v49 bitop3:0x30
	s_delay_alu instid0(VALU_DEP_4) | instskip(NEXT) | instid1(VALU_DEP_4)
	v_lshl_or_b32 v4, v4, 12, v67
	v_bitop3_b32 v51, v51, s23, v51 bitop3:0x30
	v_bitop3_b32 v53, v53, s23, v53 bitop3:0x30
	s_mov_b32 s7, exec_lo
	s_wait_dscnt 0x0
	v_add_nc_u16 v29, v28, 1
	ds_store_b16 v3, v29
	ds_load_u16 v29, v4
	s_wait_dscnt 0x0
	v_add_nc_u16 v46, v29, 1
	ds_store_b16 v4, v46
	ds_load_u16 v30, v44
	v_lshl_or_b32 v46, v31, 12, v67
	s_wait_dscnt 0x0
	v_add_nc_u16 v48, v30, 1
	ds_store_b16 v44, v48
	ds_load_u16 v31, v46
	v_lshl_or_b32 v48, v32, 12, v67
	;; [unrolled: 5-line block ×17, first 2 shown]
	v_lshl_or_b32 v67, v53, 12, v67
	s_wait_dscnt 0x0
	v_add_nc_u16 v68, v49, 1
	ds_store_b16 v65, v68
	ds_load_u16 v51, v66
	s_wait_dscnt 0x0
	v_add_nc_u16 v68, v51, 1
	ds_store_b16 v66, v68
	ds_load_u16 v53, v67
	v_lshlrev_b32_e32 v68, 5, v0
	s_wait_dscnt 0x0
	v_add_nc_u16 v69, v53, 1
	ds_store_b16 v67, v69
	s_wait_dscnt 0x0
	s_barrier_signal -1
	s_barrier_wait -1
	ds_load_2addr_b64 v[70:73], v68 offset1:1
	ds_load_2addr_b64 v[74:77], v68 offset0:2 offset1:3
	s_wait_dscnt 0x1
	v_add_nc_u32_e32 v69, v71, v70
	s_delay_alu instid0(VALU_DEP_1) | instskip(SKIP_2) | instid1(VALU_DEP_2)
	v_add3_u32 v69, v69, v72, v73
	v_and_b32_e32 v73, 31, v0
	s_wait_dscnt 0x0
	v_add3_u32 v70, v69, v74, v75
	v_mbcnt_lo_u32_b32 v69, -1, 0
	s_delay_alu instid0(VALU_DEP_2) | instskip(NEXT) | instid1(VALU_DEP_2)
	v_add3_u32 v70, v70, v76, v77
	v_and_b32_e32 v71, 15, v69
	s_delay_alu instid0(VALU_DEP_2) | instskip(NEXT) | instid1(VALU_DEP_2)
	v_mov_b32_dpp v72, v70 row_shr:1 row_mask:0xf bank_mask:0xf
	v_cmp_eq_u32_e32 vcc_lo, 0, v71
	s_delay_alu instid0(VALU_DEP_2) | instskip(NEXT) | instid1(VALU_DEP_1)
	v_cndmask_b32_e64 v72, v72, 0, vcc_lo
	v_add_nc_u32_e32 v70, v72, v70
	v_cmp_lt_u32_e64 s2, 1, v71
	v_cmp_lt_u32_e64 s3, 3, v71
	;; [unrolled: 1-line block ×3, first 2 shown]
	s_delay_alu instid0(VALU_DEP_4) | instskip(NEXT) | instid1(VALU_DEP_1)
	v_mov_b32_dpp v72, v70 row_shr:2 row_mask:0xf bank_mask:0xf
	v_cndmask_b32_e64 v72, 0, v72, s2
	s_delay_alu instid0(VALU_DEP_1) | instskip(NEXT) | instid1(VALU_DEP_1)
	v_add_nc_u32_e32 v70, v70, v72
	v_mov_b32_dpp v72, v70 row_shr:4 row_mask:0xf bank_mask:0xf
	s_delay_alu instid0(VALU_DEP_1) | instskip(NEXT) | instid1(VALU_DEP_1)
	v_cndmask_b32_e64 v72, 0, v72, s3
	v_add_nc_u32_e32 v70, v70, v72
	s_delay_alu instid0(VALU_DEP_1) | instskip(NEXT) | instid1(VALU_DEP_1)
	v_mov_b32_dpp v72, v70 row_shr:8 row_mask:0xf bank_mask:0xf
	v_cndmask_b32_e64 v71, 0, v72, s4
	v_bfe_i32 v72, v69, 4, 1
	s_delay_alu instid0(VALU_DEP_2) | instskip(SKIP_4) | instid1(VALU_DEP_2)
	v_add_nc_u32_e32 v70, v70, v71
	ds_swizzle_b32 v71, v70 offset:swizzle(BROADCAST,32,15)
	s_wait_dscnt 0x0
	v_and_b32_e32 v71, v72, v71
	v_dual_lshrrev_b32 v72, 5, v0 :: v_dual_bitop2_b32 v74, 16, v69 bitop3:0x40
	v_add_nc_u32_e32 v70, v70, v71
	s_delay_alu instid0(VALU_DEP_2) | instskip(NEXT) | instid1(VALU_DEP_3)
	v_cmp_eq_u32_e64 s5, 0, v74
	v_lshlrev_b32_e32 v71, 2, v72
	v_cmpx_eq_u32_e32 31, v73
; %bb.46:
	ds_store_b32 v71, v70 offset:32768
; %bb.47:
	s_or_b32 exec_lo, exec_lo, s7
	v_cmp_lt_u32_e64 s6, 31, v0
	s_mov_b32 s24, exec_lo
	s_wait_dscnt 0x0
	s_barrier_signal -1
	s_barrier_wait -1
	v_cmpx_gt_u32_e32 32, v0
	s_cbranch_execz .LBB1870_49
; %bb.48:
	v_mad_i32_i24 v72, 0xffffffe4, v0, v68
	ds_load_b32 v73, v72 offset:32768
	s_wait_dscnt 0x0
	v_mov_b32_dpp v74, v73 row_shr:1 row_mask:0xf bank_mask:0xf
	s_delay_alu instid0(VALU_DEP_1) | instskip(NEXT) | instid1(VALU_DEP_1)
	v_cndmask_b32_e64 v74, v74, 0, vcc_lo
	v_add_nc_u32_e32 v73, v74, v73
	s_delay_alu instid0(VALU_DEP_1) | instskip(NEXT) | instid1(VALU_DEP_1)
	v_mov_b32_dpp v74, v73 row_shr:2 row_mask:0xf bank_mask:0xf
	v_cndmask_b32_e64 v74, 0, v74, s2
	s_delay_alu instid0(VALU_DEP_1) | instskip(NEXT) | instid1(VALU_DEP_1)
	v_add_nc_u32_e32 v73, v73, v74
	v_mov_b32_dpp v74, v73 row_shr:4 row_mask:0xf bank_mask:0xf
	s_delay_alu instid0(VALU_DEP_1) | instskip(NEXT) | instid1(VALU_DEP_1)
	v_cndmask_b32_e64 v74, 0, v74, s3
	v_add_nc_u32_e32 v73, v73, v74
	s_delay_alu instid0(VALU_DEP_1) | instskip(NEXT) | instid1(VALU_DEP_1)
	v_mov_b32_dpp v74, v73 row_shr:8 row_mask:0xf bank_mask:0xf
	v_cndmask_b32_e64 v74, 0, v74, s4
	s_delay_alu instid0(VALU_DEP_1) | instskip(SKIP_3) | instid1(VALU_DEP_1)
	v_add_nc_u32_e32 v73, v73, v74
	ds_swizzle_b32 v74, v73 offset:swizzle(BROADCAST,32,15)
	s_wait_dscnt 0x0
	v_cndmask_b32_e64 v74, v74, 0, s5
	v_add_nc_u32_e32 v73, v73, v74
	ds_store_b32 v72, v73 offset:32768
.LBB1870_49:
	s_or_b32 exec_lo, exec_lo, s24
	v_dual_mov_b32 v73, 0 :: v_dual_mov_b32 v72, 0
	s_wait_dscnt 0x0
	s_barrier_signal -1
	s_barrier_wait -1
	s_and_saveexec_b32 s2, s6
; %bb.50:
	ds_load_b32 v72, v71 offset:32764
; %bb.51:
	s_or_b32 exec_lo, exec_lo, s2
	v_sub_co_u32 v71, vcc_lo, v69, 1
	s_wait_dscnt 0x0
	v_add_nc_u32_e32 v70, v72, v70
	s_delay_alu instid0(VALU_DEP_2) | instskip(NEXT) | instid1(VALU_DEP_1)
	v_cmp_gt_i32_e64 s2, 0, v71
	v_cndmask_b32_e64 v69, v71, v69, s2
	v_cmp_gt_u32_e64 s2, 16, v0
	s_delay_alu instid0(VALU_DEP_2)
	v_lshlrev_b32_e32 v69, 2, v69
	ds_bpermute_b32 v69, v69, v70
	ds_load_b32 v70, v73 offset:32892
	ds_load_2addr_b64 v[74:77], v68 offset1:1
	ds_load_b32 v78, v68 offset:24
	s_wait_dscnt 0x3
	v_cndmask_b32_e32 v69, v69, v72, vcc_lo
	ds_load_b64 v[72:73], v68 offset:16
	v_cmp_lt_u32_e32 vcc_lo, 15, v0
	s_wait_dscnt 0x3
	v_lshl_add_u32 v70, v70, 16, v69
	s_wait_dscnt 0x2
	s_delay_alu instid0(VALU_DEP_1) | instskip(NEXT) | instid1(VALU_DEP_1)
	v_add_nc_u32_e32 v71, v70, v74
	v_add_nc_u32_e32 v74, v75, v71
	s_delay_alu instid0(VALU_DEP_1) | instskip(NEXT) | instid1(VALU_DEP_1)
	v_add_nc_u32_e32 v75, v76, v74
	v_add_nc_u32_e32 v76, v77, v75
	s_wait_dscnt 0x0
	s_delay_alu instid0(VALU_DEP_1) | instskip(NEXT) | instid1(VALU_DEP_1)
	v_add_nc_u32_e32 v77, v72, v76
	v_add_nc_u32_e32 v72, v73, v77
	s_delay_alu instid0(VALU_DEP_1)
	v_add_nc_u32_e32 v73, v78, v72
	ds_store_2addr_b64 v68, v[70:71], v[74:75] offset1:1
	ds_store_2addr_b64 v68, v[76:77], v[72:73] offset0:2 offset1:3
	s_wait_dscnt 0x0
	s_barrier_signal -1
	s_barrier_wait -1
	ds_load_u16 v68, v2
	ds_load_u16 v69, v3
	;; [unrolled: 1-line block ×22, first 2 shown]
	v_mov_b64_e32 v[2:3], 0
                                        ; implicit-def: $vgpr4
	s_and_saveexec_b32 s4, s2
	s_cbranch_execz .LBB1870_55
; %bb.52:
	v_dual_lshlrev_b32 v2, 12, v0 :: v_dual_lshrrev_b32 v3, 2, v0
	v_add_nc_u32_e32 v4, 1, v0
	s_mov_b32 s5, exec_lo
	s_delay_alu instid0(VALU_DEP_2)
	v_bitop3_b32 v2, v2, 0x70fe, v3 bitop3:0xc8
	v_mov_b32_e32 v3, 0x5800
	ds_load_u16 v2, v2
	v_cmpx_ne_u32_e32 16, v4
; %bb.53:
	v_dual_lshlrev_b32 v3, 12, v4 :: v_dual_lshrrev_b32 v4, 2, v4
	s_delay_alu instid0(VALU_DEP_1)
	v_bitop3_b32 v3, v3, 0x71fe, v4 bitop3:0xc8
	ds_load_u16 v3, v3
; %bb.54:
	s_or_b32 exec_lo, exec_lo, s5
	s_wait_dscnt 0x0
	v_and_b32_e32 v2, 0xffff, v2
	s_mov_b32 s3, 0
	s_delay_alu instid0(VALU_DEP_1) | instid1(SALU_CYCLE_1)
	v_dual_mov_b32 v3, s3 :: v_dual_sub_nc_u32 v4, v3, v2
.LBB1870_55:
	s_or_b32 exec_lo, exec_lo, s4
	s_wait_dscnt 0x15
	v_and_b32_e32 v68, 0xffff, v68
	v_and_b32_e32 v27, 0xffff, v27
	s_wait_dscnt 0x14
	v_and_b32_e32 v69, 0xffff, v69
	v_and_b32_e32 v28, 0xffff, v28
	;; [unrolled: 3-line block ×4, first 2 shown]
	v_dual_add_nc_u32 v27, v68, v27 :: v_dual_add_nc_u32 v28, v69, v28
	s_wait_dscnt 0x11
	v_and_b32_e32 v46, 0xffff, v46
	v_and_b32_e32 v31, 0xffff, v31
	s_wait_dscnt 0x10
	v_and_b32_e32 v48, 0xffff, v48
	v_and_b32_e32 v32, 0xffff, v32
	v_add_nc_u32_e32 v29, v70, v29
	s_wait_dscnt 0xf
	v_and_b32_e32 v50, 0xffff, v50
	v_and_b32_e32 v33, 0xffff, v33
	s_wait_dscnt 0xe
	v_and_b32_e32 v52, 0xffff, v52
	v_and_b32_e32 v34, 0xffff, v34
	;; [unrolled: 3-line block ×3, first 2 shown]
	s_wait_dscnt 0x0
	s_barrier_signal -1
	s_barrier_wait -1
	ds_store_b8 v27, v5 offset:128
	ds_store_b8 v28, v1 offset:128
	;; [unrolled: 1-line block ×3, first 2 shown]
	v_add_nc_u32_e32 v1, v44, v30
	v_and_b32_e32 v55, 0xffff, v55
	v_and_b32_e32 v36, 0xffff, v36
	v_dual_add_nc_u32 v5, v46, v31 :: v_dual_add_nc_u32 v8, v48, v32
	v_and_b32_e32 v56, 0xffff, v56
	v_and_b32_e32 v37, 0xffff, v37
	;; [unrolled: 1-line block ×4, first 2 shown]
	v_dual_add_nc_u32 v27, v50, v33 :: v_dual_add_nc_u32 v28, v52, v34
	v_and_b32_e32 v58, 0xffff, v58
	v_and_b32_e32 v39, 0xffff, v39
	v_and_b32_e32 v59, 0xffff, v59
	v_and_b32_e32 v40, 0xffff, v40
	ds_store_b8 v1, v7 offset:128
	ds_store_b8 v5, v10 offset:128
	;; [unrolled: 1-line block ×5, first 2 shown]
	v_dual_add_nc_u32 v1, v54, v35 :: v_dual_add_nc_u32 v5, v55, v36
	v_and_b32_e32 v60, 0xffff, v60
	v_and_b32_e32 v41, 0xffff, v41
	;; [unrolled: 1-line block ×4, first 2 shown]
	v_dual_add_nc_u32 v7, v56, v37 :: v_dual_add_nc_u32 v8, v57, v38
	v_and_b32_e32 v62, 0xffff, v62
	v_and_b32_e32 v43, 0xffff, v43
	v_and_b32_e32 v63, 0xffff, v63
	v_and_b32_e32 v45, 0xffff, v45
	v_add_nc_u32_e32 v9, v58, v39
	ds_store_b8 v1, v14 offset:128
	ds_store_b8 v5, v13 offset:128
	;; [unrolled: 1-line block ×5, first 2 shown]
	v_dual_add_nc_u32 v1, v59, v40 :: v_dual_add_nc_u32 v5, v60, v41
	v_dual_add_nc_u32 v7, v61, v42 :: v_dual_add_nc_u32 v8, v62, v43
	v_add_nc_u32_e32 v9, v63, v45
	v_and_b32_e32 v64, 0xffff, v64
	v_and_b32_e32 v67, 0xffff, v67
	;; [unrolled: 1-line block ×4, first 2 shown]
	ds_store_b8 v1, v17 offset:128
	ds_store_b8 v5, v20 offset:128
	;; [unrolled: 1-line block ×5, first 2 shown]
	v_mov_b32_e32 v9, 0
	v_and_b32_e32 v65, 0xffff, v65
	v_and_b32_e32 v49, 0xffff, v49
	v_and_b32_e32 v66, 0xffff, v66
	v_and_b32_e32 v51, 0xffff, v51
	v_dual_add_nc_u32 v7, v64, v47 :: v_dual_add_nc_u32 v11, v67, v53
	v_dual_mov_b32 v1, v9 :: v_dual_lshlrev_b32 v5, 3, v0
	s_delay_alu instid0(VALU_DEP_3)
	v_dual_add_nc_u32 v8, v65, v49 :: v_dual_add_nc_u32 v10, v66, v51
	s_not_b32 s3, s23
	ds_store_b8 v7, v24 offset:128
	ds_store_b8 v8, v23 offset:128
	;; [unrolled: 1-line block ×4, first 2 shown]
	s_and_saveexec_b32 s4, s2
	s_cbranch_execz .LBB1870_65
; %bb.56:
	v_lshl_add_u32 v8, s19, 4, v0
	v_dual_mov_b32 v12, 0 :: v_dual_bitop2_b32 v7, 2.0, v4 bitop3:0x54
	s_mov_b32 s5, 0
	s_mov_b32 s6, s19
	s_delay_alu instid0(VALU_DEP_2)
	v_lshl_add_u64 v[10:11], v[8:9], 2, s[20:21]
	global_store_b32 v8, v7, s[20:21] scale_offset scope:SCOPE_DEV
                                        ; implicit-def: $sgpr2
	s_branch .LBB1870_59
.LBB1870_57:                            ;   in Loop: Header=BB1870_59 Depth=1
	s_or_b32 exec_lo, exec_lo, s23
.LBB1870_58:                            ;   in Loop: Header=BB1870_59 Depth=1
	s_delay_alu instid0(SALU_CYCLE_1) | instskip(SKIP_2) | instid1(VALU_DEP_2)
	s_or_b32 exec_lo, exec_lo, s7
	v_and_b32_e32 v8, 0x3fffffff, v7
	v_cmp_gt_i32_e64 s2, -2.0, v7
	v_add_nc_u32_e32 v12, v8, v12
	s_and_b32 s7, exec_lo, s2
	s_delay_alu instid0(SALU_CYCLE_1) | instskip(NEXT) | instid1(SALU_CYCLE_1)
	s_or_b32 s5, s7, s5
	s_and_not1_b32 exec_lo, exec_lo, s5
	s_cbranch_execz .LBB1870_64
.LBB1870_59:                            ; =>This Loop Header: Depth=1
                                        ;     Child Loop BB1870_62 Depth 2
	s_or_b32 s2, s2, exec_lo
	s_cmp_eq_u32 s6, 0
	s_cbranch_scc1 .LBB1870_63
; %bb.60:                               ;   in Loop: Header=BB1870_59 Depth=1
	s_add_co_i32 s6, s6, -1
	s_mov_b32 s7, exec_lo
	s_wait_xcnt 0x0
	v_lshl_or_b32 v8, s6, 4, v0
	global_load_b32 v7, v8, s[20:21] scale_offset scope:SCOPE_DEV
	s_wait_loadcnt 0x0
	v_cmpx_gt_u32_e32 2.0, v7
	s_cbranch_execz .LBB1870_58
; %bb.61:                               ;   in Loop: Header=BB1870_59 Depth=1
	v_lshl_add_u64 v[14:15], v[8:9], 2, s[20:21]
	s_mov_b32 s23, 0
.LBB1870_62:                            ;   Parent Loop BB1870_59 Depth=1
                                        ; =>  This Inner Loop Header: Depth=2
	global_load_b32 v7, v[14:15], off scope:SCOPE_DEV
	s_wait_loadcnt 0x0
	v_cmp_lt_u32_e64 s2, 0x3fffffff, v7
	s_or_b32 s23, s2, s23
	s_wait_xcnt 0x0
	s_and_not1_b32 exec_lo, exec_lo, s23
	s_cbranch_execnz .LBB1870_62
	s_branch .LBB1870_57
.LBB1870_63:                            ;   in Loop: Header=BB1870_59 Depth=1
                                        ; implicit-def: $sgpr6
	s_and_b32 s7, exec_lo, s2
	s_delay_alu instid0(SALU_CYCLE_1)
	s_or_b32 s5, s7, s5
	s_wait_xcnt 0x0
	s_and_not1_b32 exec_lo, exec_lo, s5
	s_cbranch_execnz .LBB1870_59
.LBB1870_64:
	s_or_b32 exec_lo, exec_lo, s5
	v_dual_add_nc_u32 v7, v12, v4 :: v_dual_mov_b32 v13, 0
	s_delay_alu instid0(VALU_DEP_1)
	v_or_b32_e32 v7, 0x80000000, v7
	global_store_b32 v[10:11], v7, off scope:SCOPE_DEV
	global_load_b64 v[8:9], v0, s[8:9] scale_offset
	s_wait_xcnt 0x1
	v_sub_nc_u64_e32 v[10:11], v[12:13], v[2:3]
	s_wait_loadcnt 0x0
	s_delay_alu instid0(VALU_DEP_1)
	v_add_nc_u64_e32 v[8:9], v[10:11], v[8:9]
	ds_store_b64 v5, v[8:9]
.LBB1870_65:
	s_wait_xcnt 0x0
	s_or_b32 exec_lo, exec_lo, s4
	s_delay_alu instid0(SALU_CYCLE_1)
	s_mov_b32 s4, exec_lo
	s_wait_storecnt_dscnt 0x0
	s_barrier_signal -1
	s_barrier_wait -1
	v_cmpx_gt_u32_e64 s18, v0
	s_cbranch_execz .LBB1870_67
; %bb.66:
	ds_load_u8 v7, v0 offset:128
	s_wait_dscnt 0x0
	v_and_b32_e32 v8, 1, v7
	s_delay_alu instid0(VALU_DEP_1) | instskip(NEXT) | instid1(VALU_DEP_1)
	v_lshrrev_b32_e32 v8, s16, v8
	v_and_b32_e32 v8, s3, v8
	s_delay_alu instid0(VALU_DEP_1) | instskip(SKIP_3) | instid1(VALU_DEP_1)
	v_lshlrev_b32_e32 v8, 3, v8
	ds_load_b64 v[8:9], v8
	s_wait_dscnt 0x0
	v_add_nc_u64_e32 v[8:9], s[14:15], v[8:9]
	v_add_nc_u64_e32 v[8:9], v[8:9], v[0:1]
	global_store_b8 v[8:9], v7, off
.LBB1870_67:
	s_wait_xcnt 0x0
	s_or_b32 exec_lo, exec_lo, s4
	v_or_b32_e32 v7, 0x400, v0
	s_mov_b32 s4, exec_lo
	s_delay_alu instid0(VALU_DEP_1)
	v_cmpx_gt_u32_e64 s18, v7
	s_cbranch_execz .LBB1870_69
; %bb.68:
	ds_load_u8 v7, v0 offset:1152
	s_wait_dscnt 0x0
	v_and_b32_e32 v8, 1, v7
	s_delay_alu instid0(VALU_DEP_1) | instskip(NEXT) | instid1(VALU_DEP_1)
	v_lshrrev_b32_e32 v8, s16, v8
	v_and_b32_e32 v8, s3, v8
	s_delay_alu instid0(VALU_DEP_1) | instskip(SKIP_3) | instid1(VALU_DEP_1)
	v_lshlrev_b32_e32 v8, 3, v8
	ds_load_b64 v[8:9], v8
	s_wait_dscnt 0x0
	v_add_nc_u64_e32 v[8:9], s[14:15], v[8:9]
	v_add_nc_u64_e32 v[8:9], v[8:9], v[0:1]
	global_store_b8 v[8:9], v7, off offset:1024
.LBB1870_69:
	s_wait_xcnt 0x0
	s_or_b32 exec_lo, exec_lo, s4
	v_or_b32_e32 v7, 0x800, v0
	s_mov_b32 s4, exec_lo
	s_delay_alu instid0(VALU_DEP_1)
	v_cmpx_gt_u32_e64 s18, v7
	s_cbranch_execz .LBB1870_71
; %bb.70:
	ds_load_u8 v7, v0 offset:2176
	s_wait_dscnt 0x0
	v_and_b32_e32 v8, 1, v7
	s_delay_alu instid0(VALU_DEP_1) | instskip(NEXT) | instid1(VALU_DEP_1)
	v_lshrrev_b32_e32 v8, s16, v8
	v_and_b32_e32 v8, s3, v8
	s_delay_alu instid0(VALU_DEP_1) | instskip(SKIP_3) | instid1(VALU_DEP_1)
	v_lshlrev_b32_e32 v8, 3, v8
	ds_load_b64 v[8:9], v8
	s_wait_dscnt 0x0
	v_add_nc_u64_e32 v[8:9], s[14:15], v[8:9]
	v_add_nc_u64_e32 v[8:9], v[8:9], v[0:1]
	global_store_b8 v[8:9], v7, off offset:2048
.LBB1870_71:
	;; [unrolled: 22-line block ×21, first 2 shown]
	s_wait_xcnt 0x0
	s_or_b32 exec_lo, exec_lo, s4
	s_load_b32 s2, s[0:1], 0x58
	s_wait_kmcnt 0x0
	s_add_co_i32 s2, s2, -1
	s_delay_alu instid0(SALU_CYCLE_1) | instskip(SKIP_2) | instid1(SALU_CYCLE_1)
	s_cmp_eq_u32 s19, s2
	s_cselect_b32 s2, -1, 0
	s_xor_b32 s3, vcc_lo, -1
	s_and_b32 s3, s3, s2
	s_delay_alu instid0(SALU_CYCLE_1)
	s_and_saveexec_b32 s2, s3
	s_cbranch_execz .LBB1870_111
; %bb.110:
	ds_load_b64 v[8:9], v5
	v_mov_b32_e32 v5, 0
	s_delay_alu instid0(VALU_DEP_1) | instskip(SKIP_1) | instid1(VALU_DEP_1)
	v_add_nc_u64_e32 v[2:3], v[2:3], v[4:5]
	s_wait_dscnt 0x0
	v_add_nc_u64_e32 v[2:3], v[2:3], v[8:9]
	global_store_b64 v0, v[2:3], s[10:11] scale_offset
.LBB1870_111:
	s_wait_xcnt 0x0
	s_or_b32 exec_lo, exec_lo, s2
	s_mov_b32 s2, 0
.LBB1870_112:
	s_delay_alu instid0(SALU_CYCLE_1)
	s_and_b32 vcc_lo, exec_lo, s2
	s_cbranch_vccz .LBB1870_135
; %bb.113:
	s_mov_b32 s23, 0
	s_mov_b32 s7, exec_lo
	s_add_nc_u64 s[2:3], s[12:13], s[22:23]
	s_lshl_b32 s12, -1, s17
	s_clause 0x2
	global_load_b128 v[2:5], v6, s[2:3]
	global_load_b32 v8, v6, s[2:3] offset:16
	global_load_u16 v11, v6, s[2:3] offset:20
	v_lshlrev_b32_e32 v47, 2, v0
	s_wait_loadcnt 0x2
	v_and_b32_e32 v1, 0xff, v2
	s_delay_alu instid0(VALU_DEP_1) | instskip(NEXT) | instid1(VALU_DEP_1)
	v_lshrrev_b32_e32 v1, s16, v1
	v_bitop3_b32 v1, v1, s12, v1 bitop3:0x30
	s_wait_xcnt 0x0
	s_delay_alu instid0(VALU_DEP_1) | instskip(SKIP_1) | instid1(VALU_DEP_1)
	v_lshl_or_b32 v6, v1, 12, v47
	v_bfe_u32 v1, v2, 8, 8
	v_dual_mov_b32 v7, 0 :: v_dual_lshrrev_b32 v1, s16, v1
	ds_store_2addr_stride64_b32 v47, v7, v7 offset1:16
	ds_store_2addr_stride64_b32 v47, v7, v7 offset0:32 offset1:48
	ds_store_2addr_stride64_b32 v47, v7, v7 offset0:64 offset1:80
	;; [unrolled: 1-line block ×3, first 2 shown]
	ds_load_u16 v14, v6
	v_bitop3_b32 v1, v1, s12, v1 bitop3:0x30
	s_delay_alu instid0(VALU_DEP_1) | instskip(SKIP_1) | instid1(VALU_DEP_1)
	v_lshl_or_b32 v7, v1, 12, v47
	v_bfe_u32 v1, v2, 16, 8
	v_lshrrev_b32_e32 v1, s16, v1
	s_delay_alu instid0(VALU_DEP_1) | instskip(SKIP_2) | instid1(VALU_DEP_2)
	v_bitop3_b32 v1, v1, s12, v1 bitop3:0x30
	s_wait_dscnt 0x0
	v_add_nc_u16 v9, v14, 1
	v_lshl_or_b32 v10, v1, 12, v47
	ds_store_b16 v6, v9
	ds_load_u16 v15, v7
	v_lshrrev_b32_e32 v1, 24, v2
	s_wait_dscnt 0x0
	v_add_nc_u16 v9, v15, 1
	ds_store_b16 v7, v9
	ds_load_u16 v16, v10
	v_lshrrev_b32_e32 v9, s16, v1
	s_delay_alu instid0(VALU_DEP_1) | instskip(NEXT) | instid1(VALU_DEP_1)
	v_bitop3_b32 v9, v9, s12, v9 bitop3:0x30
	v_lshl_or_b32 v12, v9, 12, v47
	v_and_b32_e32 v9, 0xff, v3
	s_delay_alu instid0(VALU_DEP_1) | instskip(SKIP_2) | instid1(VALU_DEP_2)
	v_lshrrev_b32_e32 v9, s16, v9
	s_wait_dscnt 0x0
	v_add_nc_u16 v13, v16, 1
	v_bitop3_b32 v9, v9, s12, v9 bitop3:0x30
	ds_store_b16 v10, v13
	ds_load_u16 v18, v12
	v_lshl_or_b32 v13, v9, 12, v47
	v_bfe_u32 v9, v3, 8, 8
	s_delay_alu instid0(VALU_DEP_1) | instskip(NEXT) | instid1(VALU_DEP_1)
	v_lshrrev_b32_e32 v9, s16, v9
	v_bitop3_b32 v9, v9, s12, v9 bitop3:0x30
	s_delay_alu instid0(VALU_DEP_1) | instskip(SKIP_3) | instid1(VALU_DEP_2)
	v_lshl_or_b32 v31, v9, 12, v47
	v_bfe_u32 v9, v3, 16, 8
	s_wait_dscnt 0x0
	v_add_nc_u16 v17, v18, 1
	v_lshrrev_b32_e32 v9, s16, v9
	ds_store_b16 v12, v17
	ds_load_u16 v19, v13
	v_bitop3_b32 v9, v9, s12, v9 bitop3:0x30
	s_delay_alu instid0(VALU_DEP_1)
	v_lshl_or_b32 v34, v9, 12, v47
	s_wait_dscnt 0x0
	v_add_nc_u16 v17, v19, 1
	ds_store_b16 v13, v17
	ds_load_u16 v20, v31
	s_wait_dscnt 0x0
	v_add_nc_u16 v17, v20, 1
	ds_store_b16 v31, v17
	ds_load_u16 v22, v34
	v_lshrrev_b32_e32 v17, 24, v3
	s_delay_alu instid0(VALU_DEP_1) | instskip(NEXT) | instid1(VALU_DEP_1)
	v_lshrrev_b32_e32 v9, s16, v17
	v_bitop3_b32 v9, v9, s12, v9 bitop3:0x30
	s_delay_alu instid0(VALU_DEP_1) | instskip(SKIP_3) | instid1(VALU_DEP_2)
	v_lshl_or_b32 v36, v9, 12, v47
	v_and_b32_e32 v9, 0xff, v4
	s_wait_dscnt 0x0
	v_add_nc_u16 v21, v22, 1
	v_lshrrev_b32_e32 v9, s16, v9
	ds_store_b16 v34, v21
	ds_load_u16 v23, v36
	v_bitop3_b32 v9, v9, s12, v9 bitop3:0x30
	s_delay_alu instid0(VALU_DEP_1) | instskip(SKIP_1) | instid1(VALU_DEP_1)
	v_lshl_or_b32 v38, v9, 12, v47
	v_bfe_u32 v9, v4, 8, 8
	v_lshrrev_b32_e32 v9, s16, v9
	s_delay_alu instid0(VALU_DEP_1) | instskip(SKIP_2) | instid1(VALU_DEP_2)
	v_bitop3_b32 v9, v9, s12, v9 bitop3:0x30
	s_wait_dscnt 0x0
	v_add_nc_u16 v21, v23, 1
	v_lshl_or_b32 v40, v9, 12, v47
	v_bfe_u32 v9, v4, 16, 8
	ds_store_b16 v36, v21
	ds_load_u16 v24, v38
	v_lshrrev_b32_e32 v9, s16, v9
	s_delay_alu instid0(VALU_DEP_1) | instskip(NEXT) | instid1(VALU_DEP_1)
	v_bitop3_b32 v9, v9, s12, v9 bitop3:0x30
	v_lshl_or_b32 v42, v9, 12, v47
	s_wait_dscnt 0x0
	v_add_nc_u16 v21, v24, 1
	ds_store_b16 v38, v21
	ds_load_u16 v25, v40
	s_wait_dscnt 0x0
	v_add_nc_u16 v21, v25, 1
	ds_store_b16 v40, v21
	ds_load_u16 v27, v42
	v_lshrrev_b32_e32 v21, 24, v4
	s_delay_alu instid0(VALU_DEP_1) | instskip(NEXT) | instid1(VALU_DEP_1)
	v_lshrrev_b32_e32 v9, s16, v21
	v_bitop3_b32 v9, v9, s12, v9 bitop3:0x30
	s_delay_alu instid0(VALU_DEP_1) | instskip(SKIP_3) | instid1(VALU_DEP_2)
	v_lshl_or_b32 v44, v9, 12, v47
	v_and_b32_e32 v9, 0xff, v5
	s_wait_dscnt 0x0
	v_add_nc_u16 v26, v27, 1
	v_lshrrev_b32_e32 v9, s16, v9
	ds_store_b16 v42, v26
	ds_load_u16 v28, v44
	v_bitop3_b32 v9, v9, s12, v9 bitop3:0x30
	s_delay_alu instid0(VALU_DEP_1) | instskip(SKIP_1) | instid1(VALU_DEP_1)
	v_lshl_or_b32 v46, v9, 12, v47
	v_bfe_u32 v9, v5, 8, 8
	v_lshrrev_b32_e32 v9, s16, v9
	s_delay_alu instid0(VALU_DEP_1) | instskip(SKIP_2) | instid1(VALU_DEP_2)
	v_bitop3_b32 v9, v9, s12, v9 bitop3:0x30
	s_wait_dscnt 0x0
	v_add_nc_u16 v26, v28, 1
	v_lshl_or_b32 v48, v9, 12, v47
	v_bfe_u32 v9, v5, 16, 8
	ds_store_b16 v44, v26
	ds_load_u16 v29, v46
	v_lshrrev_b32_e32 v9, s16, v9
	s_delay_alu instid0(VALU_DEP_1) | instskip(NEXT) | instid1(VALU_DEP_1)
	v_bitop3_b32 v9, v9, s12, v9 bitop3:0x30
	v_lshl_or_b32 v49, v9, 12, v47
	s_wait_dscnt 0x0
	v_add_nc_u16 v26, v29, 1
	ds_store_b16 v46, v26
	ds_load_u16 v30, v48
	s_wait_dscnt 0x0
	v_add_nc_u16 v26, v30, 1
	ds_store_b16 v48, v26
	ds_load_u16 v32, v49
	v_lshrrev_b32_e32 v26, 24, v5
	s_delay_alu instid0(VALU_DEP_1) | instskip(NEXT) | instid1(VALU_DEP_1)
	v_lshrrev_b32_e32 v9, s16, v26
	v_bitop3_b32 v9, v9, s12, v9 bitop3:0x30
	s_delay_alu instid0(VALU_DEP_1) | instskip(SKIP_4) | instid1(VALU_DEP_2)
	v_lshl_or_b32 v50, v9, 12, v47
	s_wait_loadcnt 0x1
	v_and_b32_e32 v9, 0xff, v8
	s_wait_dscnt 0x0
	v_add_nc_u16 v33, v32, 1
	v_lshrrev_b32_e32 v9, s16, v9
	ds_store_b16 v49, v33
	ds_load_u16 v35, v50
	v_bitop3_b32 v9, v9, s12, v9 bitop3:0x30
	s_delay_alu instid0(VALU_DEP_1) | instskip(SKIP_1) | instid1(VALU_DEP_1)
	v_lshl_or_b32 v51, v9, 12, v47
	v_bfe_u32 v9, v8, 8, 8
	v_lshrrev_b32_e32 v9, s16, v9
	s_delay_alu instid0(VALU_DEP_1) | instskip(SKIP_2) | instid1(VALU_DEP_2)
	v_bitop3_b32 v9, v9, s12, v9 bitop3:0x30
	s_wait_dscnt 0x0
	v_add_nc_u16 v33, v35, 1
	v_lshl_or_b32 v52, v9, 12, v47
	v_bfe_u32 v9, v8, 16, 8
	ds_store_b16 v50, v33
	ds_load_u16 v37, v51
	v_lshrrev_b32_e32 v9, s16, v9
	s_delay_alu instid0(VALU_DEP_1) | instskip(NEXT) | instid1(VALU_DEP_1)
	v_bitop3_b32 v9, v9, s12, v9 bitop3:0x30
	v_lshl_or_b32 v53, v9, 12, v47
	s_wait_loadcnt 0x0
	v_and_b32_e32 v9, 0xffff, v11
	s_wait_dscnt 0x0
	v_add_nc_u16 v33, v37, 1
	ds_store_b16 v51, v33
	ds_load_u16 v39, v52
	s_wait_dscnt 0x0
	v_add_nc_u16 v33, v39, 1
	ds_store_b16 v52, v33
	ds_load_u16 v41, v53
	v_alignbit_b32 v33, v9, v8, 24
	s_delay_alu instid0(VALU_DEP_1) | instskip(NEXT) | instid1(VALU_DEP_1)
	v_and_b32_e32 v33, 0xff, v33
	v_lshrrev_b32_e32 v33, s16, v33
	s_delay_alu instid0(VALU_DEP_1) | instskip(SKIP_2) | instid1(VALU_DEP_2)
	v_bitop3_b32 v33, v33, s12, v33 bitop3:0x30
	s_wait_dscnt 0x0
	v_add_nc_u16 v43, v41, 1
	v_lshl_or_b32 v54, v33, 12, v47
	v_and_b32_e32 v33, 0xff, v9
	ds_store_b16 v53, v43
	ds_load_u16 v43, v54
	v_lshrrev_b32_e32 v33, s16, v33
	s_delay_alu instid0(VALU_DEP_1) | instskip(NEXT) | instid1(VALU_DEP_1)
	v_bitop3_b32 v33, v33, s12, v33 bitop3:0x30
	v_lshl_or_b32 v55, v33, 12, v47
	v_lshrrev_b32_e32 v33, 8, v9
	s_delay_alu instid0(VALU_DEP_1) | instskip(SKIP_2) | instid1(VALU_DEP_2)
	v_lshrrev_b32_e32 v56, s16, v33
	s_wait_dscnt 0x0
	v_add_nc_u16 v45, v43, 1
	v_bitop3_b32 v56, v56, s12, v56 bitop3:0x30
	ds_store_b16 v54, v45
	ds_load_u16 v45, v55
	v_lshl_or_b32 v56, v56, 12, v47
	s_wait_dscnt 0x0
	v_add_nc_u16 v57, v45, 1
	ds_store_b16 v55, v57
	ds_load_u16 v47, v56
	v_lshlrev_b32_e32 v57, 5, v0
	s_wait_dscnt 0x0
	v_add_nc_u16 v58, v47, 1
	ds_store_b16 v56, v58
	s_wait_storecnt_dscnt 0x0
	s_barrier_signal -1
	s_barrier_wait -1
	ds_load_2addr_b64 v[58:61], v57 offset1:1
	ds_load_2addr_b64 v[62:65], v57 offset0:2 offset1:3
	s_wait_dscnt 0x1
	v_add_nc_u32_e32 v58, v59, v58
	s_delay_alu instid0(VALU_DEP_1) | instskip(SKIP_1) | instid1(VALU_DEP_1)
	v_add3_u32 v58, v58, v60, v61
	s_wait_dscnt 0x0
	v_add3_u32 v59, v58, v62, v63
	v_mbcnt_lo_u32_b32 v58, -1, 0
	v_and_b32_e32 v62, 31, v0
	s_delay_alu instid0(VALU_DEP_3) | instskip(NEXT) | instid1(VALU_DEP_3)
	v_add3_u32 v59, v59, v64, v65
	v_and_b32_e32 v60, 15, v58
	v_and_b32_e32 v63, 16, v58
	s_delay_alu instid0(VALU_DEP_3) | instskip(NEXT) | instid1(VALU_DEP_3)
	v_mov_b32_dpp v61, v59 row_shr:1 row_mask:0xf bank_mask:0xf
	v_cmp_eq_u32_e32 vcc_lo, 0, v60
	v_cmp_lt_u32_e64 s2, 1, v60
	v_cmp_lt_u32_e64 s3, 3, v60
	;; [unrolled: 1-line block ×3, first 2 shown]
	v_cmp_eq_u32_e64 s5, 0, v63
	v_cndmask_b32_e64 v61, v61, 0, vcc_lo
	s_delay_alu instid0(VALU_DEP_1) | instskip(NEXT) | instid1(VALU_DEP_1)
	v_add_nc_u32_e32 v59, v61, v59
	v_mov_b32_dpp v61, v59 row_shr:2 row_mask:0xf bank_mask:0xf
	s_delay_alu instid0(VALU_DEP_1) | instskip(NEXT) | instid1(VALU_DEP_1)
	v_cndmask_b32_e64 v61, 0, v61, s2
	v_add_nc_u32_e32 v59, v59, v61
	s_delay_alu instid0(VALU_DEP_1) | instskip(NEXT) | instid1(VALU_DEP_1)
	v_mov_b32_dpp v61, v59 row_shr:4 row_mask:0xf bank_mask:0xf
	v_cndmask_b32_e64 v61, 0, v61, s3
	s_delay_alu instid0(VALU_DEP_1) | instskip(NEXT) | instid1(VALU_DEP_1)
	v_add_nc_u32_e32 v59, v59, v61
	v_mov_b32_dpp v61, v59 row_shr:8 row_mask:0xf bank_mask:0xf
	s_delay_alu instid0(VALU_DEP_1) | instskip(SKIP_1) | instid1(VALU_DEP_2)
	v_cndmask_b32_e64 v60, 0, v61, s4
	v_bfe_i32 v61, v58, 4, 1
	v_add_nc_u32_e32 v59, v59, v60
	ds_swizzle_b32 v60, v59 offset:swizzle(BROADCAST,32,15)
	s_wait_dscnt 0x0
	v_and_b32_e32 v60, v61, v60
	v_lshrrev_b32_e32 v61, 5, v0
	s_delay_alu instid0(VALU_DEP_1)
	v_dual_add_nc_u32 v59, v59, v60 :: v_dual_lshlrev_b32 v60, 2, v61
	v_cmpx_eq_u32_e32 31, v62
; %bb.114:
	ds_store_b32 v60, v59 offset:32768
; %bb.115:
	s_or_b32 exec_lo, exec_lo, s7
	v_cmp_lt_u32_e64 s6, 31, v0
	s_mov_b32 s13, exec_lo
	s_wait_dscnt 0x0
	s_barrier_signal -1
	s_barrier_wait -1
	v_cmpx_gt_u32_e32 32, v0
	s_cbranch_execz .LBB1870_117
; %bb.116:
	v_mad_i32_i24 v61, 0xffffffe4, v0, v57
	ds_load_b32 v62, v61 offset:32768
	s_wait_dscnt 0x0
	v_mov_b32_dpp v63, v62 row_shr:1 row_mask:0xf bank_mask:0xf
	s_delay_alu instid0(VALU_DEP_1) | instskip(NEXT) | instid1(VALU_DEP_1)
	v_cndmask_b32_e64 v63, v63, 0, vcc_lo
	v_add_nc_u32_e32 v62, v63, v62
	s_delay_alu instid0(VALU_DEP_1) | instskip(NEXT) | instid1(VALU_DEP_1)
	v_mov_b32_dpp v63, v62 row_shr:2 row_mask:0xf bank_mask:0xf
	v_cndmask_b32_e64 v63, 0, v63, s2
	s_delay_alu instid0(VALU_DEP_1) | instskip(NEXT) | instid1(VALU_DEP_1)
	v_add_nc_u32_e32 v62, v62, v63
	v_mov_b32_dpp v63, v62 row_shr:4 row_mask:0xf bank_mask:0xf
	s_delay_alu instid0(VALU_DEP_1) | instskip(NEXT) | instid1(VALU_DEP_1)
	v_cndmask_b32_e64 v63, 0, v63, s3
	v_add_nc_u32_e32 v62, v62, v63
	s_delay_alu instid0(VALU_DEP_1) | instskip(NEXT) | instid1(VALU_DEP_1)
	v_mov_b32_dpp v63, v62 row_shr:8 row_mask:0xf bank_mask:0xf
	v_cndmask_b32_e64 v63, 0, v63, s4
	s_delay_alu instid0(VALU_DEP_1) | instskip(SKIP_3) | instid1(VALU_DEP_1)
	v_add_nc_u32_e32 v62, v62, v63
	ds_swizzle_b32 v63, v62 offset:swizzle(BROADCAST,32,15)
	s_wait_dscnt 0x0
	v_cndmask_b32_e64 v63, v63, 0, s5
	v_add_nc_u32_e32 v62, v62, v63
	ds_store_b32 v61, v62 offset:32768
.LBB1870_117:
	s_or_b32 exec_lo, exec_lo, s13
	v_dual_mov_b32 v62, 0 :: v_dual_mov_b32 v61, 0
	s_wait_dscnt 0x0
	s_barrier_signal -1
	s_barrier_wait -1
	s_and_saveexec_b32 s2, s6
; %bb.118:
	ds_load_b32 v61, v60 offset:32764
; %bb.119:
	s_or_b32 exec_lo, exec_lo, s2
	v_sub_co_u32 v60, vcc_lo, v58, 1
	s_wait_dscnt 0x0
	v_add_nc_u32_e32 v59, v61, v59
	s_delay_alu instid0(VALU_DEP_2) | instskip(NEXT) | instid1(VALU_DEP_1)
	v_cmp_gt_i32_e64 s2, 0, v60
	v_cndmask_b32_e64 v58, v60, v58, s2
	v_cmp_gt_u32_e64 s2, 16, v0
	s_delay_alu instid0(VALU_DEP_2)
	v_lshlrev_b32_e32 v58, 2, v58
	ds_bpermute_b32 v58, v58, v59
	ds_load_b32 v59, v62 offset:32892
	ds_load_2addr_b64 v[62:65], v57 offset1:1
	ds_load_b32 v66, v57 offset:24
	s_wait_dscnt 0x3
	v_cndmask_b32_e32 v58, v58, v61, vcc_lo
	ds_load_b64 v[60:61], v57 offset:16
	v_cmp_lt_u32_e32 vcc_lo, 15, v0
	s_wait_dscnt 0x3
	v_lshl_add_u32 v58, v59, 16, v58
	s_wait_dscnt 0x2
	s_delay_alu instid0(VALU_DEP_1) | instskip(NEXT) | instid1(VALU_DEP_1)
	v_add_nc_u32_e32 v59, v58, v62
	v_add_nc_u32_e32 v62, v63, v59
	s_delay_alu instid0(VALU_DEP_1) | instskip(NEXT) | instid1(VALU_DEP_1)
	v_add_nc_u32_e32 v63, v64, v62
	v_add_nc_u32_e32 v64, v65, v63
	s_wait_dscnt 0x0
	s_delay_alu instid0(VALU_DEP_1) | instskip(NEXT) | instid1(VALU_DEP_1)
	v_add_nc_u32_e32 v65, v60, v64
	v_add_nc_u32_e32 v60, v61, v65
	s_delay_alu instid0(VALU_DEP_1)
	v_add_nc_u32_e32 v61, v66, v60
	ds_store_2addr_b64 v57, v[58:59], v[62:63] offset1:1
	ds_store_2addr_b64 v57, v[64:65], v[60:61] offset0:2 offset1:3
	s_wait_dscnt 0x0
	s_barrier_signal -1
	s_barrier_wait -1
	ds_load_u16 v57, v6
	ds_load_u16 v58, v7
	;; [unrolled: 1-line block ×22, first 2 shown]
	v_lshrrev_b64 v[12:13], 24, v[8:9]
	v_mov_b64_e32 v[6:7], 0
                                        ; implicit-def: $vgpr10
	s_and_saveexec_b32 s4, s2
	s_cbranch_execz .LBB1870_123
; %bb.120:
	v_dual_lshlrev_b32 v6, 12, v0 :: v_dual_lshrrev_b32 v7, 2, v0
	v_add_nc_u32_e32 v9, 1, v0
	s_mov_b32 s5, exec_lo
	s_delay_alu instid0(VALU_DEP_2)
	v_bitop3_b32 v6, v6, 0x70fe, v7 bitop3:0xc8
	v_mov_b32_e32 v7, 0x5800
	ds_load_u16 v6, v6
	v_cmpx_ne_u32_e32 16, v9
; %bb.121:
	v_dual_lshlrev_b32 v7, 12, v9 :: v_dual_lshrrev_b32 v9, 2, v9
	s_delay_alu instid0(VALU_DEP_1)
	v_bitop3_b32 v7, v7, 0x71fe, v9 bitop3:0xc8
	ds_load_u16 v7, v7
; %bb.122:
	s_or_b32 exec_lo, exec_lo, s5
	s_wait_dscnt 0x0
	v_and_b32_e32 v6, 0xffff, v6
	s_mov_b32 s3, 0
	s_delay_alu instid0(VALU_DEP_1) | instid1(SALU_CYCLE_1)
	v_dual_mov_b32 v7, s3 :: v_dual_sub_nc_u32 v10, v7, v6
.LBB1870_123:
	s_or_b32 exec_lo, exec_lo, s4
	s_wait_dscnt 0x15
	v_and_b32_e32 v57, 0xffff, v57
	v_and_b32_e32 v14, 0xffff, v14
	s_wait_dscnt 0x14
	v_and_b32_e32 v58, 0xffff, v58
	v_and_b32_e32 v15, 0xffff, v15
	;; [unrolled: 3-line block ×4, first 2 shown]
	v_dual_add_nc_u32 v14, v57, v14 :: v_dual_add_nc_u32 v15, v58, v15
	v_dual_lshrrev_b32 v68, 8, v2 :: v_dual_lshrrev_b32 v69, 16, v2
	s_wait_dscnt 0x11
	v_and_b32_e32 v61, 0xffff, v61
	v_and_b32_e32 v19, 0xffff, v19
	s_wait_dscnt 0x10
	v_and_b32_e32 v62, 0xffff, v62
	v_and_b32_e32 v20, 0xffff, v20
	v_add_nc_u32_e32 v16, v59, v16
	s_wait_dscnt 0xf
	v_and_b32_e32 v63, 0xffff, v63
	v_and_b32_e32 v22, 0xffff, v22
	s_wait_dscnt 0xe
	v_and_b32_e32 v64, 0xffff, v64
	v_and_b32_e32 v23, 0xffff, v23
	;; [unrolled: 3-line block ×3, first 2 shown]
	s_wait_dscnt 0x0
	s_barrier_signal -1
	s_barrier_wait -1
	ds_store_b8 v14, v2 offset:128
	ds_store_b8 v15, v68 offset:128
	;; [unrolled: 1-line block ×3, first 2 shown]
	v_add_nc_u32_e32 v2, v60, v18
	v_and_b32_e32 v40, 0xffff, v40
	v_and_b32_e32 v25, 0xffff, v25
	v_dual_add_nc_u32 v14, v61, v19 :: v_dual_add_nc_u32 v15, v62, v20
	v_dual_lshrrev_b32 v66, 8, v3 :: v_dual_lshrrev_b32 v67, 16, v3
	v_and_b32_e32 v42, 0xffff, v42
	v_and_b32_e32 v27, 0xffff, v27
	;; [unrolled: 1-line block ×4, first 2 shown]
	v_dual_add_nc_u32 v16, v63, v22 :: v_dual_add_nc_u32 v18, v64, v23
	v_and_b32_e32 v46, 0xffff, v46
	v_and_b32_e32 v29, 0xffff, v29
	;; [unrolled: 1-line block ×4, first 2 shown]
	ds_store_b8 v2, v1 offset:128
	ds_store_b8 v14, v3 offset:128
	;; [unrolled: 1-line block ×5, first 2 shown]
	v_dual_add_nc_u32 v1, v65, v24 :: v_dual_add_nc_u32 v2, v40, v25
	v_dual_lshrrev_b32 v36, 8, v4 :: v_dual_lshrrev_b32 v38, 16, v4
	v_and_b32_e32 v49, 0xffff, v49
	v_and_b32_e32 v32, 0xffff, v32
	;; [unrolled: 1-line block ×4, first 2 shown]
	v_dual_add_nc_u32 v3, v42, v27 :: v_dual_add_nc_u32 v14, v44, v28
	v_and_b32_e32 v51, 0xffff, v51
	v_and_b32_e32 v37, 0xffff, v37
	;; [unrolled: 1-line block ×4, first 2 shown]
	v_add_nc_u32_e32 v15, v46, v29
	v_dual_lshrrev_b32 v31, 8, v5 :: v_dual_lshrrev_b32 v34, 16, v5
	ds_store_b8 v1, v4 offset:128
	ds_store_b8 v2, v36 offset:128
	;; [unrolled: 1-line block ×5, first 2 shown]
	v_dual_add_nc_u32 v1, v48, v30 :: v_dual_add_nc_u32 v2, v49, v32
	v_dual_add_nc_u32 v3, v50, v35 :: v_dual_add_nc_u32 v4, v51, v37
	v_dual_add_nc_u32 v5, v52, v39 :: v_dual_lshrrev_b32 v13, 8, v8
	v_lshrrev_b32_e32 v9, 16, v8
	v_and_b32_e32 v53, 0xffff, v53
	v_and_b32_e32 v56, 0xffff, v56
	;; [unrolled: 1-line block ×4, first 2 shown]
	ds_store_b8 v1, v31 offset:128
	ds_store_b8 v2, v34 offset:128
	ds_store_b8 v3, v26 offset:128
	ds_store_b8 v4, v8 offset:128
	ds_store_b8 v5, v13 offset:128
	v_mov_b32_e32 v3, 0
	v_and_b32_e32 v54, 0xffff, v54
	v_and_b32_e32 v43, 0xffff, v43
	;; [unrolled: 1-line block ×4, first 2 shown]
	v_dual_add_nc_u32 v2, v53, v41 :: v_dual_add_nc_u32 v8, v56, v47
	v_dual_mov_b32 v1, v3 :: v_dual_lshlrev_b32 v14, 3, v0
	s_delay_alu instid0(VALU_DEP_3)
	v_dual_add_nc_u32 v4, v54, v43 :: v_dual_add_nc_u32 v5, v55, v45
	s_not_b32 s3, s12
	ds_store_b8 v2, v9 offset:128
	ds_store_b8 v4, v12 offset:128
	;; [unrolled: 1-line block ×4, first 2 shown]
	s_and_saveexec_b32 s4, s2
	s_cbranch_execz .LBB1870_133
; %bb.124:
	v_lshl_add_u32 v2, s19, 4, v0
	v_dual_mov_b32 v8, 0 :: v_dual_bitop2_b32 v9, 2.0, v10 bitop3:0x54
	s_mov_b32 s5, 0
	s_mov_b32 s6, s19
	s_delay_alu instid0(VALU_DEP_2)
	v_lshl_add_u64 v[4:5], v[2:3], 2, s[20:21]
	global_store_b32 v2, v9, s[20:21] scale_offset scope:SCOPE_DEV
                                        ; implicit-def: $sgpr2
	s_branch .LBB1870_127
.LBB1870_125:                           ;   in Loop: Header=BB1870_127 Depth=1
	s_or_b32 exec_lo, exec_lo, s12
.LBB1870_126:                           ;   in Loop: Header=BB1870_127 Depth=1
	s_delay_alu instid0(SALU_CYCLE_1) | instskip(SKIP_2) | instid1(VALU_DEP_2)
	s_or_b32 exec_lo, exec_lo, s7
	v_and_b32_e32 v2, 0x3fffffff, v9
	v_cmp_gt_i32_e64 s2, -2.0, v9
	v_add_nc_u32_e32 v8, v2, v8
	s_and_b32 s7, exec_lo, s2
	s_delay_alu instid0(SALU_CYCLE_1) | instskip(NEXT) | instid1(SALU_CYCLE_1)
	s_or_b32 s5, s7, s5
	s_and_not1_b32 exec_lo, exec_lo, s5
	s_cbranch_execz .LBB1870_132
.LBB1870_127:                           ; =>This Loop Header: Depth=1
                                        ;     Child Loop BB1870_130 Depth 2
	s_or_b32 s2, s2, exec_lo
	s_cmp_eq_u32 s6, 0
	s_cbranch_scc1 .LBB1870_131
; %bb.128:                              ;   in Loop: Header=BB1870_127 Depth=1
	s_add_co_i32 s6, s6, -1
	s_mov_b32 s7, exec_lo
	s_wait_xcnt 0x0
	v_lshl_or_b32 v2, s6, 4, v0
	global_load_b32 v9, v2, s[20:21] scale_offset scope:SCOPE_DEV
	s_wait_loadcnt 0x0
	v_cmpx_gt_u32_e32 2.0, v9
	s_cbranch_execz .LBB1870_126
; %bb.129:                              ;   in Loop: Header=BB1870_127 Depth=1
	v_lshl_add_u64 v[12:13], v[2:3], 2, s[20:21]
	s_mov_b32 s12, 0
.LBB1870_130:                           ;   Parent Loop BB1870_127 Depth=1
                                        ; =>  This Inner Loop Header: Depth=2
	global_load_b32 v9, v[12:13], off scope:SCOPE_DEV
	s_wait_loadcnt 0x0
	v_cmp_lt_u32_e64 s2, 0x3fffffff, v9
	s_or_b32 s12, s2, s12
	s_wait_xcnt 0x0
	s_and_not1_b32 exec_lo, exec_lo, s12
	s_cbranch_execnz .LBB1870_130
	s_branch .LBB1870_125
.LBB1870_131:                           ;   in Loop: Header=BB1870_127 Depth=1
                                        ; implicit-def: $sgpr6
	s_and_b32 s7, exec_lo, s2
	s_delay_alu instid0(SALU_CYCLE_1)
	s_or_b32 s5, s7, s5
	s_wait_xcnt 0x0
	s_and_not1_b32 exec_lo, exec_lo, s5
	s_cbranch_execnz .LBB1870_127
.LBB1870_132:
	s_or_b32 exec_lo, exec_lo, s5
	v_dual_mov_b32 v9, 0 :: v_dual_add_nc_u32 v2, v8, v10
	s_delay_alu instid0(VALU_DEP_1) | instskip(SKIP_4) | instid1(VALU_DEP_1)
	v_or_b32_e32 v2, 0x80000000, v2
	global_store_b32 v[4:5], v2, off scope:SCOPE_DEV
	global_load_b64 v[2:3], v0, s[8:9] scale_offset
	v_sub_nc_u64_e32 v[4:5], v[8:9], v[6:7]
	s_wait_loadcnt 0x0
	v_add_nc_u64_e32 v[2:3], v[4:5], v[2:3]
	ds_store_b64 v14, v[2:3]
.LBB1870_133:
	s_wait_xcnt 0x0
	s_or_b32 exec_lo, exec_lo, s4
	s_wait_storecnt_dscnt 0x0
	s_barrier_signal -1
	s_barrier_wait -1
	ds_load_u8 v11, v0 offset:21632
	ds_load_u8 v15, v0 offset:1152
	;; [unrolled: 1-line block ×12, first 2 shown]
	s_wait_dscnt 0xa
	v_and_b32_e32 v3, 1, v15
	s_wait_dscnt 0x9
	v_and_b32_e32 v4, 1, v28
	v_and_b32_e32 v2, 1, v11
	s_wait_dscnt 0x7
	v_and_b32_e32 v8, 1, v30
	;; [unrolled: 3-line block ×3, first 2 shown]
	v_dual_lshrrev_b32 v4, s16, v4 :: v_dual_bitop2_b32 v9, 1, v31 bitop3:0x40
	s_wait_dscnt 0x2
	v_and_b32_e32 v18, 1, v34
	s_delay_alu instid0(VALU_DEP_3) | instskip(SKIP_1) | instid1(VALU_DEP_3)
	v_dual_lshrrev_b32 v20, s16, v12 :: v_dual_bitop2_b32 v13, 1, v33 bitop3:0x40
	v_dual_lshrrev_b32 v2, s16, v2 :: v_dual_lshrrev_b32 v17, s16, v3
	v_dual_lshrrev_b32 v12, s16, v18 :: v_dual_bitop2_b32 v16, 1, v36 bitop3:0x40
	s_delay_alu instid0(VALU_DEP_2) | instskip(SKIP_1) | instid1(VALU_DEP_3)
	v_dual_lshrrev_b32 v21, s16, v13 :: v_dual_bitop2_b32 v2, s3, v2 bitop3:0x40
	v_dual_lshrrev_b32 v8, s16, v8 :: v_dual_lshrrev_b32 v5, s16, v5
	v_dual_lshrrev_b32 v13, s16, v16 :: v_dual_lshrrev_b32 v9, s16, v9
	s_delay_alu instid0(VALU_DEP_3) | instskip(SKIP_1) | instid1(VALU_DEP_3)
	v_dual_lshlrev_b32 v2, 3, v2 :: v_dual_bitop2_b32 v25, s3, v21 bitop3:0x40
	v_and_b32_e32 v24, s3, v20
	v_and_b32_e32 v23, s3, v13
	;; [unrolled: 1-line block ×4, first 2 shown]
	ds_load_b64 v[2:3], v2
	v_dual_lshlrev_b32 v26, 3, v25 :: v_dual_lshlrev_b32 v23, 3, v23
	v_dual_lshlrev_b32 v9, 3, v12 :: v_dual_bitop2_b32 v16, s3, v17 bitop3:0x40
	v_dual_lshlrev_b32 v24, 3, v24 :: v_dual_bitop2_b32 v5, s3, v5 bitop3:0x40
	s_wait_dscnt 0x1
	s_delay_alu instid0(VALU_DEP_2) | instskip(NEXT) | instid1(VALU_DEP_2)
	v_dual_lshlrev_b32 v12, 3, v16 :: v_dual_bitop2_b32 v43, 1, v38 bitop3:0x40
	v_dual_lshlrev_b32 v16, 3, v5 :: v_dual_bitop2_b32 v4, s3, v4 bitop3:0x40
	s_delay_alu instid0(VALU_DEP_2) | instskip(NEXT) | instid1(VALU_DEP_2)
	v_dual_lshrrev_b32 v43, s16, v43 :: v_dual_bitop2_b32 v35, 1, v37 bitop3:0x40
	v_lshlrev_b32_e32 v13, 3, v4
	v_dual_lshlrev_b32 v22, 3, v22 :: v_dual_bitop2_b32 v8, s3, v8 bitop3:0x40
	s_delay_alu instid0(VALU_DEP_1)
	v_dual_lshrrev_b32 v35, s16, v35 :: v_dual_lshlrev_b32 v18, 3, v8
	ds_load_b64 v[4:5], v9
	ds_load_b64 v[8:9], v12
	;; [unrolled: 1-line block ×5, first 2 shown]
	ds_load_u8 v39, v0 offset:18560
	ds_load_u8 v40, v0 offset:19584
	ds_load_b64 v[20:21], v23
	ds_load_u8 v41, v0 offset:10368
	ds_load_u8 v42, v0 offset:11392
	ds_load_b64 v[22:23], v22
	ds_load_b64 v[24:25], v24
	;; [unrolled: 1-line block ×3, first 2 shown]
	s_wait_dscnt 0xd
	v_add_nc_u64_e32 v[2:3], s[14:15], v[2:3]
	s_delay_alu instid0(VALU_DEP_1)
	v_add_nc_u64_e32 v[2:3], v[2:3], v[0:1]
	s_wait_dscnt 0xc
	v_add_nc_u64_e32 v[4:5], s[14:15], v[4:5]
	s_wait_dscnt 0xb
	;; [unrolled: 2-line block ×6, first 2 shown]
	v_add_nc_u64_e32 v[20:21], s[14:15], v[20:21]
	v_add_nc_u64_e32 v[4:5], v[4:5], v[0:1]
	;; [unrolled: 1-line block ×6, first 2 shown]
	s_clause 0x4
	global_store_b8 v[4:5], v34, off
	global_store_b8 v[8:9], v15, off offset:1024
	global_store_b8 v[12:13], v28, off offset:2048
	;; [unrolled: 1-line block ×4, first 2 shown]
	s_wait_xcnt 0x3
	ds_load_u8 v15, v0 offset:12416
	ds_load_u8 v44, v0 offset:13440
	;; [unrolled: 1-line block ×6, first 2 shown]
	s_wait_dscnt 0xa
	v_and_b32_e32 v8, 1, v41
	v_and_b32_e32 v35, s3, v35
	s_wait_xcnt 0x1
	v_and_b32_e32 v16, s3, v43
	s_wait_dscnt 0x9
	v_and_b32_e32 v9, 1, v42
	s_wait_dscnt 0x8
	v_add_nc_u64_e32 v[4:5], s[14:15], v[22:23]
	v_dual_lshrrev_b32 v17, s16, v8 :: v_dual_lshlrev_b32 v12, 3, v35
	s_wait_xcnt 0x0
	v_dual_lshlrev_b32 v19, 3, v16 :: v_dual_lshrrev_b32 v18, s16, v9
	s_wait_dscnt 0x7
	v_add_nc_u64_e32 v[8:9], s[14:15], v[24:25]
	v_and_b32_e32 v29, 1, v39
	ds_load_b64 v[12:13], v12
	v_add_nc_u64_e32 v[4:5], v[4:5], v[0:1]
	v_and_b32_e32 v23, s3, v18
	v_and_b32_e32 v22, s3, v17
	s_wait_dscnt 0x7
	v_add_nc_u64_e32 v[16:17], s[14:15], v[26:27]
	s_wait_dscnt 0x6
	v_and_b32_e32 v26, 1, v15
	v_add_nc_u64_e32 v[8:9], v[8:9], v[0:1]
	v_dual_lshlrev_b32 v24, 3, v23 :: v_dual_lshlrev_b32 v22, 3, v22
	ds_load_b64 v[18:19], v19
	s_wait_dscnt 0x6
	v_dual_lshrrev_b32 v26, s16, v26 :: v_dual_bitop2_b32 v27, 1, v44 bitop3:0x40
	ds_load_b64 v[22:23], v22
	ds_load_b64 v[24:25], v24
	s_clause 0x1
	global_store_b8 v[4:5], v31, off offset:5120
	global_store_b8 v[8:9], v32, off offset:6144
	s_wait_xcnt 0x0
	v_and_b32_e32 v8, s3, v26
	s_wait_dscnt 0x7
	v_and_b32_e32 v28, 1, v45
	v_add_nc_u64_e32 v[16:17], v[16:17], v[0:1]
	v_lshrrev_b32_e32 v9, s16, v27
	v_add_nc_u64_e32 v[20:21], v[20:21], v[0:1]
	s_wait_dscnt 0x3
	v_add_nc_u64_e32 v[4:5], s[14:15], v[12:13]
	v_lshlrev_b32_e32 v12, 3, v8
	v_dual_lshrrev_b32 v26, s16, v28 :: v_dual_lshrrev_b32 v29, s16, v29
	global_store_b8 v[16:17], v33, off offset:7168
	ds_load_b64 v[12:13], v12
	s_wait_xcnt 0x0
	v_and_b32_e32 v17, s3, v26
	v_and_b32_e32 v26, 1, v46
	;; [unrolled: 1-line block ×3, first 2 shown]
	s_wait_dscnt 0x3
	v_add_nc_u64_e32 v[8:9], s[14:15], v[18:19]
	v_add_nc_u64_e32 v[4:5], v[4:5], v[0:1]
	s_delay_alu instid0(VALU_DEP_3)
	v_dual_lshrrev_b32 v26, s16, v26 :: v_dual_lshlrev_b32 v27, 3, v16
	v_lshlrev_b32_e32 v28, 3, v17
	s_wait_dscnt 0x2
	v_add_nc_u64_e32 v[16:17], s[14:15], v[22:23]
	s_wait_dscnt 0x1
	v_add_nc_u64_e32 v[18:19], s[14:15], v[24:25]
	ds_load_b64 v[22:23], v27
	ds_load_b64 v[24:25], v28
	v_and_b32_e32 v27, 1, v47
	v_and_b32_e32 v26, s3, v26
	;; [unrolled: 1-line block ×3, first 2 shown]
	v_add_nc_u64_e32 v[8:9], v[8:9], v[0:1]
	v_add_nc_u64_e32 v[16:17], v[16:17], v[0:1]
	s_delay_alu instid0(VALU_DEP_4) | instskip(NEXT) | instid1(VALU_DEP_4)
	v_dual_lshrrev_b32 v31, s16, v27 :: v_dual_lshlrev_b32 v26, 3, v26
	v_lshrrev_b32_e32 v28, s16, v28
	s_wait_dscnt 0x2
	v_add_nc_u64_e32 v[12:13], s[14:15], v[12:13]
	v_add_nc_u64_e32 v[18:19], v[18:19], v[0:1]
	v_and_b32_e32 v31, s3, v31
	v_and_b32_e32 v30, 1, v40
	;; [unrolled: 1-line block ×3, first 2 shown]
	ds_load_b64 v[26:27], v26
	v_dual_lshlrev_b32 v31, 3, v31 :: v_dual_lshrrev_b32 v30, s16, v30
	v_lshlrev_b32_e32 v32, 3, v28
	s_wait_dscnt 0x2
	v_add_nc_u64_e32 v[22:23], s[14:15], v[22:23]
	s_wait_dscnt 0x1
	v_add_nc_u64_e32 v[24:25], s[14:15], v[24:25]
	v_add_nc_u64_e32 v[12:13], v[12:13], v[0:1]
	v_and_b32_e32 v30, s3, v30
	v_and_b32_e32 v29, s3, v29
	v_add_nc_u64_e32 v[22:23], v[22:23], v[0:1]
	s_delay_alu instid0(VALU_DEP_2)
	v_dual_lshlrev_b32 v34, 3, v30 :: v_dual_lshlrev_b32 v33, 3, v29
	ds_load_b64 v[28:29], v31
	ds_load_b64 v[30:31], v32
	ds_load_b64 v[32:33], v33
	ds_load_b64 v[34:35], v34
	v_add_nc_u64_e32 v[24:25], v[24:25], v[0:1]
	s_clause 0x6
	global_store_b8 v[4:5], v37, off offset:8192
	global_store_b8 v[8:9], v38, off offset:9216
	;; [unrolled: 1-line block ×7, first 2 shown]
	s_wait_dscnt 0x4
	s_wait_xcnt 0x6
	v_add_nc_u64_e32 v[4:5], s[14:15], v[26:27]
	s_delay_alu instid0(VALU_DEP_1)
	v_add_nc_u64_e32 v[4:5], v[4:5], v[0:1]
	s_wait_dscnt 0x3
	s_wait_xcnt 0x5
	v_add_nc_u64_e32 v[8:9], s[14:15], v[28:29]
	s_wait_dscnt 0x2
	s_wait_xcnt 0x2
	v_add_nc_u64_e32 v[12:13], s[14:15], v[30:31]
	s_wait_dscnt 0x1
	v_add_nc_u64_e32 v[16:17], s[14:15], v[32:33]
	s_wait_dscnt 0x0
	v_add_nc_u64_e32 v[18:19], s[14:15], v[34:35]
	v_add_nc_u64_e32 v[8:9], v[8:9], v[0:1]
	s_delay_alu instid0(VALU_DEP_4) | instskip(NEXT) | instid1(VALU_DEP_4)
	v_add_nc_u64_e32 v[12:13], v[12:13], v[0:1]
	v_add_nc_u64_e32 v[16:17], v[16:17], v[0:1]
	s_delay_alu instid0(VALU_DEP_4)
	v_add_nc_u64_e32 v[18:19], v[18:19], v[0:1]
	s_clause 0x6
	global_store_b8 v[4:5], v46, off offset:15360
	global_store_b8 v[8:9], v47, off offset:16384
	;; [unrolled: 1-line block ×7, first 2 shown]
	s_load_b32 s0, s[0:1], 0x58
	s_wait_kmcnt 0x0
	s_add_co_i32 s0, s0, -1
	s_delay_alu instid0(SALU_CYCLE_1) | instskip(SKIP_2) | instid1(SALU_CYCLE_1)
	s_cmp_eq_u32 s19, s0
	s_cselect_b32 s0, -1, 0
	s_xor_b32 s1, vcc_lo, -1
	s_and_b32 s0, s1, s0
	s_delay_alu instid0(SALU_CYCLE_1)
	s_and_saveexec_b32 s1, s0
	s_cbranch_execz .LBB1870_135
; %bb.134:
	ds_load_b64 v[2:3], v14
	v_mov_b32_e32 v11, 0
	s_delay_alu instid0(VALU_DEP_1) | instskip(SKIP_1) | instid1(VALU_DEP_1)
	v_add_nc_u64_e32 v[4:5], v[6:7], v[10:11]
	s_wait_dscnt 0x0
	v_add_nc_u64_e32 v[2:3], v[4:5], v[2:3]
	global_store_b64 v0, v[2:3], s[10:11] scale_offset
.LBB1870_135:
	s_sendmsg sendmsg(MSG_DEALLOC_VGPRS)
	s_endpgm
	.section	.rodata,"a",@progbits
	.p2align	6, 0x0
	.amdhsa_kernel _ZN7rocprim17ROCPRIM_400000_NS6detail17trampoline_kernelINS0_14default_configENS1_35radix_sort_onesweep_config_selectorIbNS0_10empty_typeEEEZZNS1_29radix_sort_onesweep_iterationIS3_Lb0EPKbPbPS5_SB_mNS0_19identity_decomposerENS1_16block_id_wrapperIjLb0EEEEE10hipError_tT1_PNSt15iterator_traitsISG_E10value_typeET2_T3_PNSH_ISM_E10value_typeET4_T5_PSR_SS_PNS1_23onesweep_lookback_stateEbbT6_jjT7_P12ihipStream_tbENKUlT_T0_SG_SL_E_clIS9_SA_SB_SB_EEDaSZ_S10_SG_SL_EUlSZ_E_NS1_11comp_targetILNS1_3genE0ELNS1_11target_archE4294967295ELNS1_3gpuE0ELNS1_3repE0EEENS1_47radix_sort_onesweep_sort_config_static_selectorELNS0_4arch9wavefront6targetE0EEEvSG_
		.amdhsa_group_segment_fixed_size 32904
		.amdhsa_private_segment_fixed_size 0
		.amdhsa_kernarg_size 344
		.amdhsa_user_sgpr_count 2
		.amdhsa_user_sgpr_dispatch_ptr 0
		.amdhsa_user_sgpr_queue_ptr 0
		.amdhsa_user_sgpr_kernarg_segment_ptr 1
		.amdhsa_user_sgpr_dispatch_id 0
		.amdhsa_user_sgpr_kernarg_preload_length 0
		.amdhsa_user_sgpr_kernarg_preload_offset 0
		.amdhsa_user_sgpr_private_segment_size 0
		.amdhsa_wavefront_size32 1
		.amdhsa_uses_dynamic_stack 0
		.amdhsa_enable_private_segment 0
		.amdhsa_system_sgpr_workgroup_id_x 1
		.amdhsa_system_sgpr_workgroup_id_y 0
		.amdhsa_system_sgpr_workgroup_id_z 0
		.amdhsa_system_sgpr_workgroup_info 0
		.amdhsa_system_vgpr_workitem_id 0
		.amdhsa_next_free_vgpr 79
		.amdhsa_next_free_sgpr 25
		.amdhsa_named_barrier_count 0
		.amdhsa_reserve_vcc 1
		.amdhsa_float_round_mode_32 0
		.amdhsa_float_round_mode_16_64 0
		.amdhsa_float_denorm_mode_32 3
		.amdhsa_float_denorm_mode_16_64 3
		.amdhsa_fp16_overflow 0
		.amdhsa_memory_ordered 1
		.amdhsa_forward_progress 1
		.amdhsa_inst_pref_size 96
		.amdhsa_round_robin_scheduling 0
		.amdhsa_exception_fp_ieee_invalid_op 0
		.amdhsa_exception_fp_denorm_src 0
		.amdhsa_exception_fp_ieee_div_zero 0
		.amdhsa_exception_fp_ieee_overflow 0
		.amdhsa_exception_fp_ieee_underflow 0
		.amdhsa_exception_fp_ieee_inexact 0
		.amdhsa_exception_int_div_zero 0
	.end_amdhsa_kernel
	.section	.text._ZN7rocprim17ROCPRIM_400000_NS6detail17trampoline_kernelINS0_14default_configENS1_35radix_sort_onesweep_config_selectorIbNS0_10empty_typeEEEZZNS1_29radix_sort_onesweep_iterationIS3_Lb0EPKbPbPS5_SB_mNS0_19identity_decomposerENS1_16block_id_wrapperIjLb0EEEEE10hipError_tT1_PNSt15iterator_traitsISG_E10value_typeET2_T3_PNSH_ISM_E10value_typeET4_T5_PSR_SS_PNS1_23onesweep_lookback_stateEbbT6_jjT7_P12ihipStream_tbENKUlT_T0_SG_SL_E_clIS9_SA_SB_SB_EEDaSZ_S10_SG_SL_EUlSZ_E_NS1_11comp_targetILNS1_3genE0ELNS1_11target_archE4294967295ELNS1_3gpuE0ELNS1_3repE0EEENS1_47radix_sort_onesweep_sort_config_static_selectorELNS0_4arch9wavefront6targetE0EEEvSG_,"axG",@progbits,_ZN7rocprim17ROCPRIM_400000_NS6detail17trampoline_kernelINS0_14default_configENS1_35radix_sort_onesweep_config_selectorIbNS0_10empty_typeEEEZZNS1_29radix_sort_onesweep_iterationIS3_Lb0EPKbPbPS5_SB_mNS0_19identity_decomposerENS1_16block_id_wrapperIjLb0EEEEE10hipError_tT1_PNSt15iterator_traitsISG_E10value_typeET2_T3_PNSH_ISM_E10value_typeET4_T5_PSR_SS_PNS1_23onesweep_lookback_stateEbbT6_jjT7_P12ihipStream_tbENKUlT_T0_SG_SL_E_clIS9_SA_SB_SB_EEDaSZ_S10_SG_SL_EUlSZ_E_NS1_11comp_targetILNS1_3genE0ELNS1_11target_archE4294967295ELNS1_3gpuE0ELNS1_3repE0EEENS1_47radix_sort_onesweep_sort_config_static_selectorELNS0_4arch9wavefront6targetE0EEEvSG_,comdat
.Lfunc_end1870:
	.size	_ZN7rocprim17ROCPRIM_400000_NS6detail17trampoline_kernelINS0_14default_configENS1_35radix_sort_onesweep_config_selectorIbNS0_10empty_typeEEEZZNS1_29radix_sort_onesweep_iterationIS3_Lb0EPKbPbPS5_SB_mNS0_19identity_decomposerENS1_16block_id_wrapperIjLb0EEEEE10hipError_tT1_PNSt15iterator_traitsISG_E10value_typeET2_T3_PNSH_ISM_E10value_typeET4_T5_PSR_SS_PNS1_23onesweep_lookback_stateEbbT6_jjT7_P12ihipStream_tbENKUlT_T0_SG_SL_E_clIS9_SA_SB_SB_EEDaSZ_S10_SG_SL_EUlSZ_E_NS1_11comp_targetILNS1_3genE0ELNS1_11target_archE4294967295ELNS1_3gpuE0ELNS1_3repE0EEENS1_47radix_sort_onesweep_sort_config_static_selectorELNS0_4arch9wavefront6targetE0EEEvSG_, .Lfunc_end1870-_ZN7rocprim17ROCPRIM_400000_NS6detail17trampoline_kernelINS0_14default_configENS1_35radix_sort_onesweep_config_selectorIbNS0_10empty_typeEEEZZNS1_29radix_sort_onesweep_iterationIS3_Lb0EPKbPbPS5_SB_mNS0_19identity_decomposerENS1_16block_id_wrapperIjLb0EEEEE10hipError_tT1_PNSt15iterator_traitsISG_E10value_typeET2_T3_PNSH_ISM_E10value_typeET4_T5_PSR_SS_PNS1_23onesweep_lookback_stateEbbT6_jjT7_P12ihipStream_tbENKUlT_T0_SG_SL_E_clIS9_SA_SB_SB_EEDaSZ_S10_SG_SL_EUlSZ_E_NS1_11comp_targetILNS1_3genE0ELNS1_11target_archE4294967295ELNS1_3gpuE0ELNS1_3repE0EEENS1_47radix_sort_onesweep_sort_config_static_selectorELNS0_4arch9wavefront6targetE0EEEvSG_
                                        ; -- End function
	.set _ZN7rocprim17ROCPRIM_400000_NS6detail17trampoline_kernelINS0_14default_configENS1_35radix_sort_onesweep_config_selectorIbNS0_10empty_typeEEEZZNS1_29radix_sort_onesweep_iterationIS3_Lb0EPKbPbPS5_SB_mNS0_19identity_decomposerENS1_16block_id_wrapperIjLb0EEEEE10hipError_tT1_PNSt15iterator_traitsISG_E10value_typeET2_T3_PNSH_ISM_E10value_typeET4_T5_PSR_SS_PNS1_23onesweep_lookback_stateEbbT6_jjT7_P12ihipStream_tbENKUlT_T0_SG_SL_E_clIS9_SA_SB_SB_EEDaSZ_S10_SG_SL_EUlSZ_E_NS1_11comp_targetILNS1_3genE0ELNS1_11target_archE4294967295ELNS1_3gpuE0ELNS1_3repE0EEENS1_47radix_sort_onesweep_sort_config_static_selectorELNS0_4arch9wavefront6targetE0EEEvSG_.num_vgpr, 79
	.set _ZN7rocprim17ROCPRIM_400000_NS6detail17trampoline_kernelINS0_14default_configENS1_35radix_sort_onesweep_config_selectorIbNS0_10empty_typeEEEZZNS1_29radix_sort_onesweep_iterationIS3_Lb0EPKbPbPS5_SB_mNS0_19identity_decomposerENS1_16block_id_wrapperIjLb0EEEEE10hipError_tT1_PNSt15iterator_traitsISG_E10value_typeET2_T3_PNSH_ISM_E10value_typeET4_T5_PSR_SS_PNS1_23onesweep_lookback_stateEbbT6_jjT7_P12ihipStream_tbENKUlT_T0_SG_SL_E_clIS9_SA_SB_SB_EEDaSZ_S10_SG_SL_EUlSZ_E_NS1_11comp_targetILNS1_3genE0ELNS1_11target_archE4294967295ELNS1_3gpuE0ELNS1_3repE0EEENS1_47radix_sort_onesweep_sort_config_static_selectorELNS0_4arch9wavefront6targetE0EEEvSG_.num_agpr, 0
	.set _ZN7rocprim17ROCPRIM_400000_NS6detail17trampoline_kernelINS0_14default_configENS1_35radix_sort_onesweep_config_selectorIbNS0_10empty_typeEEEZZNS1_29radix_sort_onesweep_iterationIS3_Lb0EPKbPbPS5_SB_mNS0_19identity_decomposerENS1_16block_id_wrapperIjLb0EEEEE10hipError_tT1_PNSt15iterator_traitsISG_E10value_typeET2_T3_PNSH_ISM_E10value_typeET4_T5_PSR_SS_PNS1_23onesweep_lookback_stateEbbT6_jjT7_P12ihipStream_tbENKUlT_T0_SG_SL_E_clIS9_SA_SB_SB_EEDaSZ_S10_SG_SL_EUlSZ_E_NS1_11comp_targetILNS1_3genE0ELNS1_11target_archE4294967295ELNS1_3gpuE0ELNS1_3repE0EEENS1_47radix_sort_onesweep_sort_config_static_selectorELNS0_4arch9wavefront6targetE0EEEvSG_.numbered_sgpr, 25
	.set _ZN7rocprim17ROCPRIM_400000_NS6detail17trampoline_kernelINS0_14default_configENS1_35radix_sort_onesweep_config_selectorIbNS0_10empty_typeEEEZZNS1_29radix_sort_onesweep_iterationIS3_Lb0EPKbPbPS5_SB_mNS0_19identity_decomposerENS1_16block_id_wrapperIjLb0EEEEE10hipError_tT1_PNSt15iterator_traitsISG_E10value_typeET2_T3_PNSH_ISM_E10value_typeET4_T5_PSR_SS_PNS1_23onesweep_lookback_stateEbbT6_jjT7_P12ihipStream_tbENKUlT_T0_SG_SL_E_clIS9_SA_SB_SB_EEDaSZ_S10_SG_SL_EUlSZ_E_NS1_11comp_targetILNS1_3genE0ELNS1_11target_archE4294967295ELNS1_3gpuE0ELNS1_3repE0EEENS1_47radix_sort_onesweep_sort_config_static_selectorELNS0_4arch9wavefront6targetE0EEEvSG_.num_named_barrier, 0
	.set _ZN7rocprim17ROCPRIM_400000_NS6detail17trampoline_kernelINS0_14default_configENS1_35radix_sort_onesweep_config_selectorIbNS0_10empty_typeEEEZZNS1_29radix_sort_onesweep_iterationIS3_Lb0EPKbPbPS5_SB_mNS0_19identity_decomposerENS1_16block_id_wrapperIjLb0EEEEE10hipError_tT1_PNSt15iterator_traitsISG_E10value_typeET2_T3_PNSH_ISM_E10value_typeET4_T5_PSR_SS_PNS1_23onesweep_lookback_stateEbbT6_jjT7_P12ihipStream_tbENKUlT_T0_SG_SL_E_clIS9_SA_SB_SB_EEDaSZ_S10_SG_SL_EUlSZ_E_NS1_11comp_targetILNS1_3genE0ELNS1_11target_archE4294967295ELNS1_3gpuE0ELNS1_3repE0EEENS1_47radix_sort_onesweep_sort_config_static_selectorELNS0_4arch9wavefront6targetE0EEEvSG_.private_seg_size, 0
	.set _ZN7rocprim17ROCPRIM_400000_NS6detail17trampoline_kernelINS0_14default_configENS1_35radix_sort_onesweep_config_selectorIbNS0_10empty_typeEEEZZNS1_29radix_sort_onesweep_iterationIS3_Lb0EPKbPbPS5_SB_mNS0_19identity_decomposerENS1_16block_id_wrapperIjLb0EEEEE10hipError_tT1_PNSt15iterator_traitsISG_E10value_typeET2_T3_PNSH_ISM_E10value_typeET4_T5_PSR_SS_PNS1_23onesweep_lookback_stateEbbT6_jjT7_P12ihipStream_tbENKUlT_T0_SG_SL_E_clIS9_SA_SB_SB_EEDaSZ_S10_SG_SL_EUlSZ_E_NS1_11comp_targetILNS1_3genE0ELNS1_11target_archE4294967295ELNS1_3gpuE0ELNS1_3repE0EEENS1_47radix_sort_onesweep_sort_config_static_selectorELNS0_4arch9wavefront6targetE0EEEvSG_.uses_vcc, 1
	.set _ZN7rocprim17ROCPRIM_400000_NS6detail17trampoline_kernelINS0_14default_configENS1_35radix_sort_onesweep_config_selectorIbNS0_10empty_typeEEEZZNS1_29radix_sort_onesweep_iterationIS3_Lb0EPKbPbPS5_SB_mNS0_19identity_decomposerENS1_16block_id_wrapperIjLb0EEEEE10hipError_tT1_PNSt15iterator_traitsISG_E10value_typeET2_T3_PNSH_ISM_E10value_typeET4_T5_PSR_SS_PNS1_23onesweep_lookback_stateEbbT6_jjT7_P12ihipStream_tbENKUlT_T0_SG_SL_E_clIS9_SA_SB_SB_EEDaSZ_S10_SG_SL_EUlSZ_E_NS1_11comp_targetILNS1_3genE0ELNS1_11target_archE4294967295ELNS1_3gpuE0ELNS1_3repE0EEENS1_47radix_sort_onesweep_sort_config_static_selectorELNS0_4arch9wavefront6targetE0EEEvSG_.uses_flat_scratch, 0
	.set _ZN7rocprim17ROCPRIM_400000_NS6detail17trampoline_kernelINS0_14default_configENS1_35radix_sort_onesweep_config_selectorIbNS0_10empty_typeEEEZZNS1_29radix_sort_onesweep_iterationIS3_Lb0EPKbPbPS5_SB_mNS0_19identity_decomposerENS1_16block_id_wrapperIjLb0EEEEE10hipError_tT1_PNSt15iterator_traitsISG_E10value_typeET2_T3_PNSH_ISM_E10value_typeET4_T5_PSR_SS_PNS1_23onesweep_lookback_stateEbbT6_jjT7_P12ihipStream_tbENKUlT_T0_SG_SL_E_clIS9_SA_SB_SB_EEDaSZ_S10_SG_SL_EUlSZ_E_NS1_11comp_targetILNS1_3genE0ELNS1_11target_archE4294967295ELNS1_3gpuE0ELNS1_3repE0EEENS1_47radix_sort_onesweep_sort_config_static_selectorELNS0_4arch9wavefront6targetE0EEEvSG_.has_dyn_sized_stack, 0
	.set _ZN7rocprim17ROCPRIM_400000_NS6detail17trampoline_kernelINS0_14default_configENS1_35radix_sort_onesweep_config_selectorIbNS0_10empty_typeEEEZZNS1_29radix_sort_onesweep_iterationIS3_Lb0EPKbPbPS5_SB_mNS0_19identity_decomposerENS1_16block_id_wrapperIjLb0EEEEE10hipError_tT1_PNSt15iterator_traitsISG_E10value_typeET2_T3_PNSH_ISM_E10value_typeET4_T5_PSR_SS_PNS1_23onesweep_lookback_stateEbbT6_jjT7_P12ihipStream_tbENKUlT_T0_SG_SL_E_clIS9_SA_SB_SB_EEDaSZ_S10_SG_SL_EUlSZ_E_NS1_11comp_targetILNS1_3genE0ELNS1_11target_archE4294967295ELNS1_3gpuE0ELNS1_3repE0EEENS1_47radix_sort_onesweep_sort_config_static_selectorELNS0_4arch9wavefront6targetE0EEEvSG_.has_recursion, 0
	.set _ZN7rocprim17ROCPRIM_400000_NS6detail17trampoline_kernelINS0_14default_configENS1_35radix_sort_onesweep_config_selectorIbNS0_10empty_typeEEEZZNS1_29radix_sort_onesweep_iterationIS3_Lb0EPKbPbPS5_SB_mNS0_19identity_decomposerENS1_16block_id_wrapperIjLb0EEEEE10hipError_tT1_PNSt15iterator_traitsISG_E10value_typeET2_T3_PNSH_ISM_E10value_typeET4_T5_PSR_SS_PNS1_23onesweep_lookback_stateEbbT6_jjT7_P12ihipStream_tbENKUlT_T0_SG_SL_E_clIS9_SA_SB_SB_EEDaSZ_S10_SG_SL_EUlSZ_E_NS1_11comp_targetILNS1_3genE0ELNS1_11target_archE4294967295ELNS1_3gpuE0ELNS1_3repE0EEENS1_47radix_sort_onesweep_sort_config_static_selectorELNS0_4arch9wavefront6targetE0EEEvSG_.has_indirect_call, 0
	.section	.AMDGPU.csdata,"",@progbits
; Kernel info:
; codeLenInByte = 12232
; TotalNumSgprs: 27
; NumVgprs: 79
; ScratchSize: 0
; MemoryBound: 0
; FloatMode: 240
; IeeeMode: 1
; LDSByteSize: 32904 bytes/workgroup (compile time only)
; SGPRBlocks: 0
; VGPRBlocks: 4
; NumSGPRsForWavesPerEU: 27
; NumVGPRsForWavesPerEU: 79
; NamedBarCnt: 0
; Occupancy: 12
; WaveLimiterHint : 0
; COMPUTE_PGM_RSRC2:SCRATCH_EN: 0
; COMPUTE_PGM_RSRC2:USER_SGPR: 2
; COMPUTE_PGM_RSRC2:TRAP_HANDLER: 0
; COMPUTE_PGM_RSRC2:TGID_X_EN: 1
; COMPUTE_PGM_RSRC2:TGID_Y_EN: 0
; COMPUTE_PGM_RSRC2:TGID_Z_EN: 0
; COMPUTE_PGM_RSRC2:TIDIG_COMP_CNT: 0
	.section	.text._ZN7rocprim17ROCPRIM_400000_NS6detail17trampoline_kernelINS0_14default_configENS1_35radix_sort_onesweep_config_selectorIbNS0_10empty_typeEEEZZNS1_29radix_sort_onesweep_iterationIS3_Lb0EPKbPbPS5_SB_mNS0_19identity_decomposerENS1_16block_id_wrapperIjLb0EEEEE10hipError_tT1_PNSt15iterator_traitsISG_E10value_typeET2_T3_PNSH_ISM_E10value_typeET4_T5_PSR_SS_PNS1_23onesweep_lookback_stateEbbT6_jjT7_P12ihipStream_tbENKUlT_T0_SG_SL_E_clIS9_SA_SB_SB_EEDaSZ_S10_SG_SL_EUlSZ_E_NS1_11comp_targetILNS1_3genE6ELNS1_11target_archE950ELNS1_3gpuE13ELNS1_3repE0EEENS1_47radix_sort_onesweep_sort_config_static_selectorELNS0_4arch9wavefront6targetE0EEEvSG_,"axG",@progbits,_ZN7rocprim17ROCPRIM_400000_NS6detail17trampoline_kernelINS0_14default_configENS1_35radix_sort_onesweep_config_selectorIbNS0_10empty_typeEEEZZNS1_29radix_sort_onesweep_iterationIS3_Lb0EPKbPbPS5_SB_mNS0_19identity_decomposerENS1_16block_id_wrapperIjLb0EEEEE10hipError_tT1_PNSt15iterator_traitsISG_E10value_typeET2_T3_PNSH_ISM_E10value_typeET4_T5_PSR_SS_PNS1_23onesweep_lookback_stateEbbT6_jjT7_P12ihipStream_tbENKUlT_T0_SG_SL_E_clIS9_SA_SB_SB_EEDaSZ_S10_SG_SL_EUlSZ_E_NS1_11comp_targetILNS1_3genE6ELNS1_11target_archE950ELNS1_3gpuE13ELNS1_3repE0EEENS1_47radix_sort_onesweep_sort_config_static_selectorELNS0_4arch9wavefront6targetE0EEEvSG_,comdat
	.protected	_ZN7rocprim17ROCPRIM_400000_NS6detail17trampoline_kernelINS0_14default_configENS1_35radix_sort_onesweep_config_selectorIbNS0_10empty_typeEEEZZNS1_29radix_sort_onesweep_iterationIS3_Lb0EPKbPbPS5_SB_mNS0_19identity_decomposerENS1_16block_id_wrapperIjLb0EEEEE10hipError_tT1_PNSt15iterator_traitsISG_E10value_typeET2_T3_PNSH_ISM_E10value_typeET4_T5_PSR_SS_PNS1_23onesweep_lookback_stateEbbT6_jjT7_P12ihipStream_tbENKUlT_T0_SG_SL_E_clIS9_SA_SB_SB_EEDaSZ_S10_SG_SL_EUlSZ_E_NS1_11comp_targetILNS1_3genE6ELNS1_11target_archE950ELNS1_3gpuE13ELNS1_3repE0EEENS1_47radix_sort_onesweep_sort_config_static_selectorELNS0_4arch9wavefront6targetE0EEEvSG_ ; -- Begin function _ZN7rocprim17ROCPRIM_400000_NS6detail17trampoline_kernelINS0_14default_configENS1_35radix_sort_onesweep_config_selectorIbNS0_10empty_typeEEEZZNS1_29radix_sort_onesweep_iterationIS3_Lb0EPKbPbPS5_SB_mNS0_19identity_decomposerENS1_16block_id_wrapperIjLb0EEEEE10hipError_tT1_PNSt15iterator_traitsISG_E10value_typeET2_T3_PNSH_ISM_E10value_typeET4_T5_PSR_SS_PNS1_23onesweep_lookback_stateEbbT6_jjT7_P12ihipStream_tbENKUlT_T0_SG_SL_E_clIS9_SA_SB_SB_EEDaSZ_S10_SG_SL_EUlSZ_E_NS1_11comp_targetILNS1_3genE6ELNS1_11target_archE950ELNS1_3gpuE13ELNS1_3repE0EEENS1_47radix_sort_onesweep_sort_config_static_selectorELNS0_4arch9wavefront6targetE0EEEvSG_
	.globl	_ZN7rocprim17ROCPRIM_400000_NS6detail17trampoline_kernelINS0_14default_configENS1_35radix_sort_onesweep_config_selectorIbNS0_10empty_typeEEEZZNS1_29radix_sort_onesweep_iterationIS3_Lb0EPKbPbPS5_SB_mNS0_19identity_decomposerENS1_16block_id_wrapperIjLb0EEEEE10hipError_tT1_PNSt15iterator_traitsISG_E10value_typeET2_T3_PNSH_ISM_E10value_typeET4_T5_PSR_SS_PNS1_23onesweep_lookback_stateEbbT6_jjT7_P12ihipStream_tbENKUlT_T0_SG_SL_E_clIS9_SA_SB_SB_EEDaSZ_S10_SG_SL_EUlSZ_E_NS1_11comp_targetILNS1_3genE6ELNS1_11target_archE950ELNS1_3gpuE13ELNS1_3repE0EEENS1_47radix_sort_onesweep_sort_config_static_selectorELNS0_4arch9wavefront6targetE0EEEvSG_
	.p2align	8
	.type	_ZN7rocprim17ROCPRIM_400000_NS6detail17trampoline_kernelINS0_14default_configENS1_35radix_sort_onesweep_config_selectorIbNS0_10empty_typeEEEZZNS1_29radix_sort_onesweep_iterationIS3_Lb0EPKbPbPS5_SB_mNS0_19identity_decomposerENS1_16block_id_wrapperIjLb0EEEEE10hipError_tT1_PNSt15iterator_traitsISG_E10value_typeET2_T3_PNSH_ISM_E10value_typeET4_T5_PSR_SS_PNS1_23onesweep_lookback_stateEbbT6_jjT7_P12ihipStream_tbENKUlT_T0_SG_SL_E_clIS9_SA_SB_SB_EEDaSZ_S10_SG_SL_EUlSZ_E_NS1_11comp_targetILNS1_3genE6ELNS1_11target_archE950ELNS1_3gpuE13ELNS1_3repE0EEENS1_47radix_sort_onesweep_sort_config_static_selectorELNS0_4arch9wavefront6targetE0EEEvSG_,@function
_ZN7rocprim17ROCPRIM_400000_NS6detail17trampoline_kernelINS0_14default_configENS1_35radix_sort_onesweep_config_selectorIbNS0_10empty_typeEEEZZNS1_29radix_sort_onesweep_iterationIS3_Lb0EPKbPbPS5_SB_mNS0_19identity_decomposerENS1_16block_id_wrapperIjLb0EEEEE10hipError_tT1_PNSt15iterator_traitsISG_E10value_typeET2_T3_PNSH_ISM_E10value_typeET4_T5_PSR_SS_PNS1_23onesweep_lookback_stateEbbT6_jjT7_P12ihipStream_tbENKUlT_T0_SG_SL_E_clIS9_SA_SB_SB_EEDaSZ_S10_SG_SL_EUlSZ_E_NS1_11comp_targetILNS1_3genE6ELNS1_11target_archE950ELNS1_3gpuE13ELNS1_3repE0EEENS1_47radix_sort_onesweep_sort_config_static_selectorELNS0_4arch9wavefront6targetE0EEEvSG_: ; @_ZN7rocprim17ROCPRIM_400000_NS6detail17trampoline_kernelINS0_14default_configENS1_35radix_sort_onesweep_config_selectorIbNS0_10empty_typeEEEZZNS1_29radix_sort_onesweep_iterationIS3_Lb0EPKbPbPS5_SB_mNS0_19identity_decomposerENS1_16block_id_wrapperIjLb0EEEEE10hipError_tT1_PNSt15iterator_traitsISG_E10value_typeET2_T3_PNSH_ISM_E10value_typeET4_T5_PSR_SS_PNS1_23onesweep_lookback_stateEbbT6_jjT7_P12ihipStream_tbENKUlT_T0_SG_SL_E_clIS9_SA_SB_SB_EEDaSZ_S10_SG_SL_EUlSZ_E_NS1_11comp_targetILNS1_3genE6ELNS1_11target_archE950ELNS1_3gpuE13ELNS1_3repE0EEENS1_47radix_sort_onesweep_sort_config_static_selectorELNS0_4arch9wavefront6targetE0EEEvSG_
; %bb.0:
	.section	.rodata,"a",@progbits
	.p2align	6, 0x0
	.amdhsa_kernel _ZN7rocprim17ROCPRIM_400000_NS6detail17trampoline_kernelINS0_14default_configENS1_35radix_sort_onesweep_config_selectorIbNS0_10empty_typeEEEZZNS1_29radix_sort_onesweep_iterationIS3_Lb0EPKbPbPS5_SB_mNS0_19identity_decomposerENS1_16block_id_wrapperIjLb0EEEEE10hipError_tT1_PNSt15iterator_traitsISG_E10value_typeET2_T3_PNSH_ISM_E10value_typeET4_T5_PSR_SS_PNS1_23onesweep_lookback_stateEbbT6_jjT7_P12ihipStream_tbENKUlT_T0_SG_SL_E_clIS9_SA_SB_SB_EEDaSZ_S10_SG_SL_EUlSZ_E_NS1_11comp_targetILNS1_3genE6ELNS1_11target_archE950ELNS1_3gpuE13ELNS1_3repE0EEENS1_47radix_sort_onesweep_sort_config_static_selectorELNS0_4arch9wavefront6targetE0EEEvSG_
		.amdhsa_group_segment_fixed_size 0
		.amdhsa_private_segment_fixed_size 0
		.amdhsa_kernarg_size 88
		.amdhsa_user_sgpr_count 2
		.amdhsa_user_sgpr_dispatch_ptr 0
		.amdhsa_user_sgpr_queue_ptr 0
		.amdhsa_user_sgpr_kernarg_segment_ptr 1
		.amdhsa_user_sgpr_dispatch_id 0
		.amdhsa_user_sgpr_kernarg_preload_length 0
		.amdhsa_user_sgpr_kernarg_preload_offset 0
		.amdhsa_user_sgpr_private_segment_size 0
		.amdhsa_wavefront_size32 1
		.amdhsa_uses_dynamic_stack 0
		.amdhsa_enable_private_segment 0
		.amdhsa_system_sgpr_workgroup_id_x 1
		.amdhsa_system_sgpr_workgroup_id_y 0
		.amdhsa_system_sgpr_workgroup_id_z 0
		.amdhsa_system_sgpr_workgroup_info 0
		.amdhsa_system_vgpr_workitem_id 0
		.amdhsa_next_free_vgpr 1
		.amdhsa_next_free_sgpr 1
		.amdhsa_named_barrier_count 0
		.amdhsa_reserve_vcc 0
		.amdhsa_float_round_mode_32 0
		.amdhsa_float_round_mode_16_64 0
		.amdhsa_float_denorm_mode_32 3
		.amdhsa_float_denorm_mode_16_64 3
		.amdhsa_fp16_overflow 0
		.amdhsa_memory_ordered 1
		.amdhsa_forward_progress 1
		.amdhsa_inst_pref_size 0
		.amdhsa_round_robin_scheduling 0
		.amdhsa_exception_fp_ieee_invalid_op 0
		.amdhsa_exception_fp_denorm_src 0
		.amdhsa_exception_fp_ieee_div_zero 0
		.amdhsa_exception_fp_ieee_overflow 0
		.amdhsa_exception_fp_ieee_underflow 0
		.amdhsa_exception_fp_ieee_inexact 0
		.amdhsa_exception_int_div_zero 0
	.end_amdhsa_kernel
	.section	.text._ZN7rocprim17ROCPRIM_400000_NS6detail17trampoline_kernelINS0_14default_configENS1_35radix_sort_onesweep_config_selectorIbNS0_10empty_typeEEEZZNS1_29radix_sort_onesweep_iterationIS3_Lb0EPKbPbPS5_SB_mNS0_19identity_decomposerENS1_16block_id_wrapperIjLb0EEEEE10hipError_tT1_PNSt15iterator_traitsISG_E10value_typeET2_T3_PNSH_ISM_E10value_typeET4_T5_PSR_SS_PNS1_23onesweep_lookback_stateEbbT6_jjT7_P12ihipStream_tbENKUlT_T0_SG_SL_E_clIS9_SA_SB_SB_EEDaSZ_S10_SG_SL_EUlSZ_E_NS1_11comp_targetILNS1_3genE6ELNS1_11target_archE950ELNS1_3gpuE13ELNS1_3repE0EEENS1_47radix_sort_onesweep_sort_config_static_selectorELNS0_4arch9wavefront6targetE0EEEvSG_,"axG",@progbits,_ZN7rocprim17ROCPRIM_400000_NS6detail17trampoline_kernelINS0_14default_configENS1_35radix_sort_onesweep_config_selectorIbNS0_10empty_typeEEEZZNS1_29radix_sort_onesweep_iterationIS3_Lb0EPKbPbPS5_SB_mNS0_19identity_decomposerENS1_16block_id_wrapperIjLb0EEEEE10hipError_tT1_PNSt15iterator_traitsISG_E10value_typeET2_T3_PNSH_ISM_E10value_typeET4_T5_PSR_SS_PNS1_23onesweep_lookback_stateEbbT6_jjT7_P12ihipStream_tbENKUlT_T0_SG_SL_E_clIS9_SA_SB_SB_EEDaSZ_S10_SG_SL_EUlSZ_E_NS1_11comp_targetILNS1_3genE6ELNS1_11target_archE950ELNS1_3gpuE13ELNS1_3repE0EEENS1_47radix_sort_onesweep_sort_config_static_selectorELNS0_4arch9wavefront6targetE0EEEvSG_,comdat
.Lfunc_end1871:
	.size	_ZN7rocprim17ROCPRIM_400000_NS6detail17trampoline_kernelINS0_14default_configENS1_35radix_sort_onesweep_config_selectorIbNS0_10empty_typeEEEZZNS1_29radix_sort_onesweep_iterationIS3_Lb0EPKbPbPS5_SB_mNS0_19identity_decomposerENS1_16block_id_wrapperIjLb0EEEEE10hipError_tT1_PNSt15iterator_traitsISG_E10value_typeET2_T3_PNSH_ISM_E10value_typeET4_T5_PSR_SS_PNS1_23onesweep_lookback_stateEbbT6_jjT7_P12ihipStream_tbENKUlT_T0_SG_SL_E_clIS9_SA_SB_SB_EEDaSZ_S10_SG_SL_EUlSZ_E_NS1_11comp_targetILNS1_3genE6ELNS1_11target_archE950ELNS1_3gpuE13ELNS1_3repE0EEENS1_47radix_sort_onesweep_sort_config_static_selectorELNS0_4arch9wavefront6targetE0EEEvSG_, .Lfunc_end1871-_ZN7rocprim17ROCPRIM_400000_NS6detail17trampoline_kernelINS0_14default_configENS1_35radix_sort_onesweep_config_selectorIbNS0_10empty_typeEEEZZNS1_29radix_sort_onesweep_iterationIS3_Lb0EPKbPbPS5_SB_mNS0_19identity_decomposerENS1_16block_id_wrapperIjLb0EEEEE10hipError_tT1_PNSt15iterator_traitsISG_E10value_typeET2_T3_PNSH_ISM_E10value_typeET4_T5_PSR_SS_PNS1_23onesweep_lookback_stateEbbT6_jjT7_P12ihipStream_tbENKUlT_T0_SG_SL_E_clIS9_SA_SB_SB_EEDaSZ_S10_SG_SL_EUlSZ_E_NS1_11comp_targetILNS1_3genE6ELNS1_11target_archE950ELNS1_3gpuE13ELNS1_3repE0EEENS1_47radix_sort_onesweep_sort_config_static_selectorELNS0_4arch9wavefront6targetE0EEEvSG_
                                        ; -- End function
	.set _ZN7rocprim17ROCPRIM_400000_NS6detail17trampoline_kernelINS0_14default_configENS1_35radix_sort_onesweep_config_selectorIbNS0_10empty_typeEEEZZNS1_29radix_sort_onesweep_iterationIS3_Lb0EPKbPbPS5_SB_mNS0_19identity_decomposerENS1_16block_id_wrapperIjLb0EEEEE10hipError_tT1_PNSt15iterator_traitsISG_E10value_typeET2_T3_PNSH_ISM_E10value_typeET4_T5_PSR_SS_PNS1_23onesweep_lookback_stateEbbT6_jjT7_P12ihipStream_tbENKUlT_T0_SG_SL_E_clIS9_SA_SB_SB_EEDaSZ_S10_SG_SL_EUlSZ_E_NS1_11comp_targetILNS1_3genE6ELNS1_11target_archE950ELNS1_3gpuE13ELNS1_3repE0EEENS1_47radix_sort_onesweep_sort_config_static_selectorELNS0_4arch9wavefront6targetE0EEEvSG_.num_vgpr, 0
	.set _ZN7rocprim17ROCPRIM_400000_NS6detail17trampoline_kernelINS0_14default_configENS1_35radix_sort_onesweep_config_selectorIbNS0_10empty_typeEEEZZNS1_29radix_sort_onesweep_iterationIS3_Lb0EPKbPbPS5_SB_mNS0_19identity_decomposerENS1_16block_id_wrapperIjLb0EEEEE10hipError_tT1_PNSt15iterator_traitsISG_E10value_typeET2_T3_PNSH_ISM_E10value_typeET4_T5_PSR_SS_PNS1_23onesweep_lookback_stateEbbT6_jjT7_P12ihipStream_tbENKUlT_T0_SG_SL_E_clIS9_SA_SB_SB_EEDaSZ_S10_SG_SL_EUlSZ_E_NS1_11comp_targetILNS1_3genE6ELNS1_11target_archE950ELNS1_3gpuE13ELNS1_3repE0EEENS1_47radix_sort_onesweep_sort_config_static_selectorELNS0_4arch9wavefront6targetE0EEEvSG_.num_agpr, 0
	.set _ZN7rocprim17ROCPRIM_400000_NS6detail17trampoline_kernelINS0_14default_configENS1_35radix_sort_onesweep_config_selectorIbNS0_10empty_typeEEEZZNS1_29radix_sort_onesweep_iterationIS3_Lb0EPKbPbPS5_SB_mNS0_19identity_decomposerENS1_16block_id_wrapperIjLb0EEEEE10hipError_tT1_PNSt15iterator_traitsISG_E10value_typeET2_T3_PNSH_ISM_E10value_typeET4_T5_PSR_SS_PNS1_23onesweep_lookback_stateEbbT6_jjT7_P12ihipStream_tbENKUlT_T0_SG_SL_E_clIS9_SA_SB_SB_EEDaSZ_S10_SG_SL_EUlSZ_E_NS1_11comp_targetILNS1_3genE6ELNS1_11target_archE950ELNS1_3gpuE13ELNS1_3repE0EEENS1_47radix_sort_onesweep_sort_config_static_selectorELNS0_4arch9wavefront6targetE0EEEvSG_.numbered_sgpr, 0
	.set _ZN7rocprim17ROCPRIM_400000_NS6detail17trampoline_kernelINS0_14default_configENS1_35radix_sort_onesweep_config_selectorIbNS0_10empty_typeEEEZZNS1_29radix_sort_onesweep_iterationIS3_Lb0EPKbPbPS5_SB_mNS0_19identity_decomposerENS1_16block_id_wrapperIjLb0EEEEE10hipError_tT1_PNSt15iterator_traitsISG_E10value_typeET2_T3_PNSH_ISM_E10value_typeET4_T5_PSR_SS_PNS1_23onesweep_lookback_stateEbbT6_jjT7_P12ihipStream_tbENKUlT_T0_SG_SL_E_clIS9_SA_SB_SB_EEDaSZ_S10_SG_SL_EUlSZ_E_NS1_11comp_targetILNS1_3genE6ELNS1_11target_archE950ELNS1_3gpuE13ELNS1_3repE0EEENS1_47radix_sort_onesweep_sort_config_static_selectorELNS0_4arch9wavefront6targetE0EEEvSG_.num_named_barrier, 0
	.set _ZN7rocprim17ROCPRIM_400000_NS6detail17trampoline_kernelINS0_14default_configENS1_35radix_sort_onesweep_config_selectorIbNS0_10empty_typeEEEZZNS1_29radix_sort_onesweep_iterationIS3_Lb0EPKbPbPS5_SB_mNS0_19identity_decomposerENS1_16block_id_wrapperIjLb0EEEEE10hipError_tT1_PNSt15iterator_traitsISG_E10value_typeET2_T3_PNSH_ISM_E10value_typeET4_T5_PSR_SS_PNS1_23onesweep_lookback_stateEbbT6_jjT7_P12ihipStream_tbENKUlT_T0_SG_SL_E_clIS9_SA_SB_SB_EEDaSZ_S10_SG_SL_EUlSZ_E_NS1_11comp_targetILNS1_3genE6ELNS1_11target_archE950ELNS1_3gpuE13ELNS1_3repE0EEENS1_47radix_sort_onesweep_sort_config_static_selectorELNS0_4arch9wavefront6targetE0EEEvSG_.private_seg_size, 0
	.set _ZN7rocprim17ROCPRIM_400000_NS6detail17trampoline_kernelINS0_14default_configENS1_35radix_sort_onesweep_config_selectorIbNS0_10empty_typeEEEZZNS1_29radix_sort_onesweep_iterationIS3_Lb0EPKbPbPS5_SB_mNS0_19identity_decomposerENS1_16block_id_wrapperIjLb0EEEEE10hipError_tT1_PNSt15iterator_traitsISG_E10value_typeET2_T3_PNSH_ISM_E10value_typeET4_T5_PSR_SS_PNS1_23onesweep_lookback_stateEbbT6_jjT7_P12ihipStream_tbENKUlT_T0_SG_SL_E_clIS9_SA_SB_SB_EEDaSZ_S10_SG_SL_EUlSZ_E_NS1_11comp_targetILNS1_3genE6ELNS1_11target_archE950ELNS1_3gpuE13ELNS1_3repE0EEENS1_47radix_sort_onesweep_sort_config_static_selectorELNS0_4arch9wavefront6targetE0EEEvSG_.uses_vcc, 0
	.set _ZN7rocprim17ROCPRIM_400000_NS6detail17trampoline_kernelINS0_14default_configENS1_35radix_sort_onesweep_config_selectorIbNS0_10empty_typeEEEZZNS1_29radix_sort_onesweep_iterationIS3_Lb0EPKbPbPS5_SB_mNS0_19identity_decomposerENS1_16block_id_wrapperIjLb0EEEEE10hipError_tT1_PNSt15iterator_traitsISG_E10value_typeET2_T3_PNSH_ISM_E10value_typeET4_T5_PSR_SS_PNS1_23onesweep_lookback_stateEbbT6_jjT7_P12ihipStream_tbENKUlT_T0_SG_SL_E_clIS9_SA_SB_SB_EEDaSZ_S10_SG_SL_EUlSZ_E_NS1_11comp_targetILNS1_3genE6ELNS1_11target_archE950ELNS1_3gpuE13ELNS1_3repE0EEENS1_47radix_sort_onesweep_sort_config_static_selectorELNS0_4arch9wavefront6targetE0EEEvSG_.uses_flat_scratch, 0
	.set _ZN7rocprim17ROCPRIM_400000_NS6detail17trampoline_kernelINS0_14default_configENS1_35radix_sort_onesweep_config_selectorIbNS0_10empty_typeEEEZZNS1_29radix_sort_onesweep_iterationIS3_Lb0EPKbPbPS5_SB_mNS0_19identity_decomposerENS1_16block_id_wrapperIjLb0EEEEE10hipError_tT1_PNSt15iterator_traitsISG_E10value_typeET2_T3_PNSH_ISM_E10value_typeET4_T5_PSR_SS_PNS1_23onesweep_lookback_stateEbbT6_jjT7_P12ihipStream_tbENKUlT_T0_SG_SL_E_clIS9_SA_SB_SB_EEDaSZ_S10_SG_SL_EUlSZ_E_NS1_11comp_targetILNS1_3genE6ELNS1_11target_archE950ELNS1_3gpuE13ELNS1_3repE0EEENS1_47radix_sort_onesweep_sort_config_static_selectorELNS0_4arch9wavefront6targetE0EEEvSG_.has_dyn_sized_stack, 0
	.set _ZN7rocprim17ROCPRIM_400000_NS6detail17trampoline_kernelINS0_14default_configENS1_35radix_sort_onesweep_config_selectorIbNS0_10empty_typeEEEZZNS1_29radix_sort_onesweep_iterationIS3_Lb0EPKbPbPS5_SB_mNS0_19identity_decomposerENS1_16block_id_wrapperIjLb0EEEEE10hipError_tT1_PNSt15iterator_traitsISG_E10value_typeET2_T3_PNSH_ISM_E10value_typeET4_T5_PSR_SS_PNS1_23onesweep_lookback_stateEbbT6_jjT7_P12ihipStream_tbENKUlT_T0_SG_SL_E_clIS9_SA_SB_SB_EEDaSZ_S10_SG_SL_EUlSZ_E_NS1_11comp_targetILNS1_3genE6ELNS1_11target_archE950ELNS1_3gpuE13ELNS1_3repE0EEENS1_47radix_sort_onesweep_sort_config_static_selectorELNS0_4arch9wavefront6targetE0EEEvSG_.has_recursion, 0
	.set _ZN7rocprim17ROCPRIM_400000_NS6detail17trampoline_kernelINS0_14default_configENS1_35radix_sort_onesweep_config_selectorIbNS0_10empty_typeEEEZZNS1_29radix_sort_onesweep_iterationIS3_Lb0EPKbPbPS5_SB_mNS0_19identity_decomposerENS1_16block_id_wrapperIjLb0EEEEE10hipError_tT1_PNSt15iterator_traitsISG_E10value_typeET2_T3_PNSH_ISM_E10value_typeET4_T5_PSR_SS_PNS1_23onesweep_lookback_stateEbbT6_jjT7_P12ihipStream_tbENKUlT_T0_SG_SL_E_clIS9_SA_SB_SB_EEDaSZ_S10_SG_SL_EUlSZ_E_NS1_11comp_targetILNS1_3genE6ELNS1_11target_archE950ELNS1_3gpuE13ELNS1_3repE0EEENS1_47radix_sort_onesweep_sort_config_static_selectorELNS0_4arch9wavefront6targetE0EEEvSG_.has_indirect_call, 0
	.section	.AMDGPU.csdata,"",@progbits
; Kernel info:
; codeLenInByte = 0
; TotalNumSgprs: 0
; NumVgprs: 0
; ScratchSize: 0
; MemoryBound: 0
; FloatMode: 240
; IeeeMode: 1
; LDSByteSize: 0 bytes/workgroup (compile time only)
; SGPRBlocks: 0
; VGPRBlocks: 0
; NumSGPRsForWavesPerEU: 1
; NumVGPRsForWavesPerEU: 1
; NamedBarCnt: 0
; Occupancy: 16
; WaveLimiterHint : 0
; COMPUTE_PGM_RSRC2:SCRATCH_EN: 0
; COMPUTE_PGM_RSRC2:USER_SGPR: 2
; COMPUTE_PGM_RSRC2:TRAP_HANDLER: 0
; COMPUTE_PGM_RSRC2:TGID_X_EN: 1
; COMPUTE_PGM_RSRC2:TGID_Y_EN: 0
; COMPUTE_PGM_RSRC2:TGID_Z_EN: 0
; COMPUTE_PGM_RSRC2:TIDIG_COMP_CNT: 0
	.section	.text._ZN7rocprim17ROCPRIM_400000_NS6detail17trampoline_kernelINS0_14default_configENS1_35radix_sort_onesweep_config_selectorIbNS0_10empty_typeEEEZZNS1_29radix_sort_onesweep_iterationIS3_Lb0EPKbPbPS5_SB_mNS0_19identity_decomposerENS1_16block_id_wrapperIjLb0EEEEE10hipError_tT1_PNSt15iterator_traitsISG_E10value_typeET2_T3_PNSH_ISM_E10value_typeET4_T5_PSR_SS_PNS1_23onesweep_lookback_stateEbbT6_jjT7_P12ihipStream_tbENKUlT_T0_SG_SL_E_clIS9_SA_SB_SB_EEDaSZ_S10_SG_SL_EUlSZ_E_NS1_11comp_targetILNS1_3genE5ELNS1_11target_archE942ELNS1_3gpuE9ELNS1_3repE0EEENS1_47radix_sort_onesweep_sort_config_static_selectorELNS0_4arch9wavefront6targetE0EEEvSG_,"axG",@progbits,_ZN7rocprim17ROCPRIM_400000_NS6detail17trampoline_kernelINS0_14default_configENS1_35radix_sort_onesweep_config_selectorIbNS0_10empty_typeEEEZZNS1_29radix_sort_onesweep_iterationIS3_Lb0EPKbPbPS5_SB_mNS0_19identity_decomposerENS1_16block_id_wrapperIjLb0EEEEE10hipError_tT1_PNSt15iterator_traitsISG_E10value_typeET2_T3_PNSH_ISM_E10value_typeET4_T5_PSR_SS_PNS1_23onesweep_lookback_stateEbbT6_jjT7_P12ihipStream_tbENKUlT_T0_SG_SL_E_clIS9_SA_SB_SB_EEDaSZ_S10_SG_SL_EUlSZ_E_NS1_11comp_targetILNS1_3genE5ELNS1_11target_archE942ELNS1_3gpuE9ELNS1_3repE0EEENS1_47radix_sort_onesweep_sort_config_static_selectorELNS0_4arch9wavefront6targetE0EEEvSG_,comdat
	.protected	_ZN7rocprim17ROCPRIM_400000_NS6detail17trampoline_kernelINS0_14default_configENS1_35radix_sort_onesweep_config_selectorIbNS0_10empty_typeEEEZZNS1_29radix_sort_onesweep_iterationIS3_Lb0EPKbPbPS5_SB_mNS0_19identity_decomposerENS1_16block_id_wrapperIjLb0EEEEE10hipError_tT1_PNSt15iterator_traitsISG_E10value_typeET2_T3_PNSH_ISM_E10value_typeET4_T5_PSR_SS_PNS1_23onesweep_lookback_stateEbbT6_jjT7_P12ihipStream_tbENKUlT_T0_SG_SL_E_clIS9_SA_SB_SB_EEDaSZ_S10_SG_SL_EUlSZ_E_NS1_11comp_targetILNS1_3genE5ELNS1_11target_archE942ELNS1_3gpuE9ELNS1_3repE0EEENS1_47radix_sort_onesweep_sort_config_static_selectorELNS0_4arch9wavefront6targetE0EEEvSG_ ; -- Begin function _ZN7rocprim17ROCPRIM_400000_NS6detail17trampoline_kernelINS0_14default_configENS1_35radix_sort_onesweep_config_selectorIbNS0_10empty_typeEEEZZNS1_29radix_sort_onesweep_iterationIS3_Lb0EPKbPbPS5_SB_mNS0_19identity_decomposerENS1_16block_id_wrapperIjLb0EEEEE10hipError_tT1_PNSt15iterator_traitsISG_E10value_typeET2_T3_PNSH_ISM_E10value_typeET4_T5_PSR_SS_PNS1_23onesweep_lookback_stateEbbT6_jjT7_P12ihipStream_tbENKUlT_T0_SG_SL_E_clIS9_SA_SB_SB_EEDaSZ_S10_SG_SL_EUlSZ_E_NS1_11comp_targetILNS1_3genE5ELNS1_11target_archE942ELNS1_3gpuE9ELNS1_3repE0EEENS1_47radix_sort_onesweep_sort_config_static_selectorELNS0_4arch9wavefront6targetE0EEEvSG_
	.globl	_ZN7rocprim17ROCPRIM_400000_NS6detail17trampoline_kernelINS0_14default_configENS1_35radix_sort_onesweep_config_selectorIbNS0_10empty_typeEEEZZNS1_29radix_sort_onesweep_iterationIS3_Lb0EPKbPbPS5_SB_mNS0_19identity_decomposerENS1_16block_id_wrapperIjLb0EEEEE10hipError_tT1_PNSt15iterator_traitsISG_E10value_typeET2_T3_PNSH_ISM_E10value_typeET4_T5_PSR_SS_PNS1_23onesweep_lookback_stateEbbT6_jjT7_P12ihipStream_tbENKUlT_T0_SG_SL_E_clIS9_SA_SB_SB_EEDaSZ_S10_SG_SL_EUlSZ_E_NS1_11comp_targetILNS1_3genE5ELNS1_11target_archE942ELNS1_3gpuE9ELNS1_3repE0EEENS1_47radix_sort_onesweep_sort_config_static_selectorELNS0_4arch9wavefront6targetE0EEEvSG_
	.p2align	8
	.type	_ZN7rocprim17ROCPRIM_400000_NS6detail17trampoline_kernelINS0_14default_configENS1_35radix_sort_onesweep_config_selectorIbNS0_10empty_typeEEEZZNS1_29radix_sort_onesweep_iterationIS3_Lb0EPKbPbPS5_SB_mNS0_19identity_decomposerENS1_16block_id_wrapperIjLb0EEEEE10hipError_tT1_PNSt15iterator_traitsISG_E10value_typeET2_T3_PNSH_ISM_E10value_typeET4_T5_PSR_SS_PNS1_23onesweep_lookback_stateEbbT6_jjT7_P12ihipStream_tbENKUlT_T0_SG_SL_E_clIS9_SA_SB_SB_EEDaSZ_S10_SG_SL_EUlSZ_E_NS1_11comp_targetILNS1_3genE5ELNS1_11target_archE942ELNS1_3gpuE9ELNS1_3repE0EEENS1_47radix_sort_onesweep_sort_config_static_selectorELNS0_4arch9wavefront6targetE0EEEvSG_,@function
_ZN7rocprim17ROCPRIM_400000_NS6detail17trampoline_kernelINS0_14default_configENS1_35radix_sort_onesweep_config_selectorIbNS0_10empty_typeEEEZZNS1_29radix_sort_onesweep_iterationIS3_Lb0EPKbPbPS5_SB_mNS0_19identity_decomposerENS1_16block_id_wrapperIjLb0EEEEE10hipError_tT1_PNSt15iterator_traitsISG_E10value_typeET2_T3_PNSH_ISM_E10value_typeET4_T5_PSR_SS_PNS1_23onesweep_lookback_stateEbbT6_jjT7_P12ihipStream_tbENKUlT_T0_SG_SL_E_clIS9_SA_SB_SB_EEDaSZ_S10_SG_SL_EUlSZ_E_NS1_11comp_targetILNS1_3genE5ELNS1_11target_archE942ELNS1_3gpuE9ELNS1_3repE0EEENS1_47radix_sort_onesweep_sort_config_static_selectorELNS0_4arch9wavefront6targetE0EEEvSG_: ; @_ZN7rocprim17ROCPRIM_400000_NS6detail17trampoline_kernelINS0_14default_configENS1_35radix_sort_onesweep_config_selectorIbNS0_10empty_typeEEEZZNS1_29radix_sort_onesweep_iterationIS3_Lb0EPKbPbPS5_SB_mNS0_19identity_decomposerENS1_16block_id_wrapperIjLb0EEEEE10hipError_tT1_PNSt15iterator_traitsISG_E10value_typeET2_T3_PNSH_ISM_E10value_typeET4_T5_PSR_SS_PNS1_23onesweep_lookback_stateEbbT6_jjT7_P12ihipStream_tbENKUlT_T0_SG_SL_E_clIS9_SA_SB_SB_EEDaSZ_S10_SG_SL_EUlSZ_E_NS1_11comp_targetILNS1_3genE5ELNS1_11target_archE942ELNS1_3gpuE9ELNS1_3repE0EEENS1_47radix_sort_onesweep_sort_config_static_selectorELNS0_4arch9wavefront6targetE0EEEvSG_
; %bb.0:
	.section	.rodata,"a",@progbits
	.p2align	6, 0x0
	.amdhsa_kernel _ZN7rocprim17ROCPRIM_400000_NS6detail17trampoline_kernelINS0_14default_configENS1_35radix_sort_onesweep_config_selectorIbNS0_10empty_typeEEEZZNS1_29radix_sort_onesweep_iterationIS3_Lb0EPKbPbPS5_SB_mNS0_19identity_decomposerENS1_16block_id_wrapperIjLb0EEEEE10hipError_tT1_PNSt15iterator_traitsISG_E10value_typeET2_T3_PNSH_ISM_E10value_typeET4_T5_PSR_SS_PNS1_23onesweep_lookback_stateEbbT6_jjT7_P12ihipStream_tbENKUlT_T0_SG_SL_E_clIS9_SA_SB_SB_EEDaSZ_S10_SG_SL_EUlSZ_E_NS1_11comp_targetILNS1_3genE5ELNS1_11target_archE942ELNS1_3gpuE9ELNS1_3repE0EEENS1_47radix_sort_onesweep_sort_config_static_selectorELNS0_4arch9wavefront6targetE0EEEvSG_
		.amdhsa_group_segment_fixed_size 0
		.amdhsa_private_segment_fixed_size 0
		.amdhsa_kernarg_size 88
		.amdhsa_user_sgpr_count 2
		.amdhsa_user_sgpr_dispatch_ptr 0
		.amdhsa_user_sgpr_queue_ptr 0
		.amdhsa_user_sgpr_kernarg_segment_ptr 1
		.amdhsa_user_sgpr_dispatch_id 0
		.amdhsa_user_sgpr_kernarg_preload_length 0
		.amdhsa_user_sgpr_kernarg_preload_offset 0
		.amdhsa_user_sgpr_private_segment_size 0
		.amdhsa_wavefront_size32 1
		.amdhsa_uses_dynamic_stack 0
		.amdhsa_enable_private_segment 0
		.amdhsa_system_sgpr_workgroup_id_x 1
		.amdhsa_system_sgpr_workgroup_id_y 0
		.amdhsa_system_sgpr_workgroup_id_z 0
		.amdhsa_system_sgpr_workgroup_info 0
		.amdhsa_system_vgpr_workitem_id 0
		.amdhsa_next_free_vgpr 1
		.amdhsa_next_free_sgpr 1
		.amdhsa_named_barrier_count 0
		.amdhsa_reserve_vcc 0
		.amdhsa_float_round_mode_32 0
		.amdhsa_float_round_mode_16_64 0
		.amdhsa_float_denorm_mode_32 3
		.amdhsa_float_denorm_mode_16_64 3
		.amdhsa_fp16_overflow 0
		.amdhsa_memory_ordered 1
		.amdhsa_forward_progress 1
		.amdhsa_inst_pref_size 0
		.amdhsa_round_robin_scheduling 0
		.amdhsa_exception_fp_ieee_invalid_op 0
		.amdhsa_exception_fp_denorm_src 0
		.amdhsa_exception_fp_ieee_div_zero 0
		.amdhsa_exception_fp_ieee_overflow 0
		.amdhsa_exception_fp_ieee_underflow 0
		.amdhsa_exception_fp_ieee_inexact 0
		.amdhsa_exception_int_div_zero 0
	.end_amdhsa_kernel
	.section	.text._ZN7rocprim17ROCPRIM_400000_NS6detail17trampoline_kernelINS0_14default_configENS1_35radix_sort_onesweep_config_selectorIbNS0_10empty_typeEEEZZNS1_29radix_sort_onesweep_iterationIS3_Lb0EPKbPbPS5_SB_mNS0_19identity_decomposerENS1_16block_id_wrapperIjLb0EEEEE10hipError_tT1_PNSt15iterator_traitsISG_E10value_typeET2_T3_PNSH_ISM_E10value_typeET4_T5_PSR_SS_PNS1_23onesweep_lookback_stateEbbT6_jjT7_P12ihipStream_tbENKUlT_T0_SG_SL_E_clIS9_SA_SB_SB_EEDaSZ_S10_SG_SL_EUlSZ_E_NS1_11comp_targetILNS1_3genE5ELNS1_11target_archE942ELNS1_3gpuE9ELNS1_3repE0EEENS1_47radix_sort_onesweep_sort_config_static_selectorELNS0_4arch9wavefront6targetE0EEEvSG_,"axG",@progbits,_ZN7rocprim17ROCPRIM_400000_NS6detail17trampoline_kernelINS0_14default_configENS1_35radix_sort_onesweep_config_selectorIbNS0_10empty_typeEEEZZNS1_29radix_sort_onesweep_iterationIS3_Lb0EPKbPbPS5_SB_mNS0_19identity_decomposerENS1_16block_id_wrapperIjLb0EEEEE10hipError_tT1_PNSt15iterator_traitsISG_E10value_typeET2_T3_PNSH_ISM_E10value_typeET4_T5_PSR_SS_PNS1_23onesweep_lookback_stateEbbT6_jjT7_P12ihipStream_tbENKUlT_T0_SG_SL_E_clIS9_SA_SB_SB_EEDaSZ_S10_SG_SL_EUlSZ_E_NS1_11comp_targetILNS1_3genE5ELNS1_11target_archE942ELNS1_3gpuE9ELNS1_3repE0EEENS1_47radix_sort_onesweep_sort_config_static_selectorELNS0_4arch9wavefront6targetE0EEEvSG_,comdat
.Lfunc_end1872:
	.size	_ZN7rocprim17ROCPRIM_400000_NS6detail17trampoline_kernelINS0_14default_configENS1_35radix_sort_onesweep_config_selectorIbNS0_10empty_typeEEEZZNS1_29radix_sort_onesweep_iterationIS3_Lb0EPKbPbPS5_SB_mNS0_19identity_decomposerENS1_16block_id_wrapperIjLb0EEEEE10hipError_tT1_PNSt15iterator_traitsISG_E10value_typeET2_T3_PNSH_ISM_E10value_typeET4_T5_PSR_SS_PNS1_23onesweep_lookback_stateEbbT6_jjT7_P12ihipStream_tbENKUlT_T0_SG_SL_E_clIS9_SA_SB_SB_EEDaSZ_S10_SG_SL_EUlSZ_E_NS1_11comp_targetILNS1_3genE5ELNS1_11target_archE942ELNS1_3gpuE9ELNS1_3repE0EEENS1_47radix_sort_onesweep_sort_config_static_selectorELNS0_4arch9wavefront6targetE0EEEvSG_, .Lfunc_end1872-_ZN7rocprim17ROCPRIM_400000_NS6detail17trampoline_kernelINS0_14default_configENS1_35radix_sort_onesweep_config_selectorIbNS0_10empty_typeEEEZZNS1_29radix_sort_onesweep_iterationIS3_Lb0EPKbPbPS5_SB_mNS0_19identity_decomposerENS1_16block_id_wrapperIjLb0EEEEE10hipError_tT1_PNSt15iterator_traitsISG_E10value_typeET2_T3_PNSH_ISM_E10value_typeET4_T5_PSR_SS_PNS1_23onesweep_lookback_stateEbbT6_jjT7_P12ihipStream_tbENKUlT_T0_SG_SL_E_clIS9_SA_SB_SB_EEDaSZ_S10_SG_SL_EUlSZ_E_NS1_11comp_targetILNS1_3genE5ELNS1_11target_archE942ELNS1_3gpuE9ELNS1_3repE0EEENS1_47radix_sort_onesweep_sort_config_static_selectorELNS0_4arch9wavefront6targetE0EEEvSG_
                                        ; -- End function
	.set _ZN7rocprim17ROCPRIM_400000_NS6detail17trampoline_kernelINS0_14default_configENS1_35radix_sort_onesweep_config_selectorIbNS0_10empty_typeEEEZZNS1_29radix_sort_onesweep_iterationIS3_Lb0EPKbPbPS5_SB_mNS0_19identity_decomposerENS1_16block_id_wrapperIjLb0EEEEE10hipError_tT1_PNSt15iterator_traitsISG_E10value_typeET2_T3_PNSH_ISM_E10value_typeET4_T5_PSR_SS_PNS1_23onesweep_lookback_stateEbbT6_jjT7_P12ihipStream_tbENKUlT_T0_SG_SL_E_clIS9_SA_SB_SB_EEDaSZ_S10_SG_SL_EUlSZ_E_NS1_11comp_targetILNS1_3genE5ELNS1_11target_archE942ELNS1_3gpuE9ELNS1_3repE0EEENS1_47radix_sort_onesweep_sort_config_static_selectorELNS0_4arch9wavefront6targetE0EEEvSG_.num_vgpr, 0
	.set _ZN7rocprim17ROCPRIM_400000_NS6detail17trampoline_kernelINS0_14default_configENS1_35radix_sort_onesweep_config_selectorIbNS0_10empty_typeEEEZZNS1_29radix_sort_onesweep_iterationIS3_Lb0EPKbPbPS5_SB_mNS0_19identity_decomposerENS1_16block_id_wrapperIjLb0EEEEE10hipError_tT1_PNSt15iterator_traitsISG_E10value_typeET2_T3_PNSH_ISM_E10value_typeET4_T5_PSR_SS_PNS1_23onesweep_lookback_stateEbbT6_jjT7_P12ihipStream_tbENKUlT_T0_SG_SL_E_clIS9_SA_SB_SB_EEDaSZ_S10_SG_SL_EUlSZ_E_NS1_11comp_targetILNS1_3genE5ELNS1_11target_archE942ELNS1_3gpuE9ELNS1_3repE0EEENS1_47radix_sort_onesweep_sort_config_static_selectorELNS0_4arch9wavefront6targetE0EEEvSG_.num_agpr, 0
	.set _ZN7rocprim17ROCPRIM_400000_NS6detail17trampoline_kernelINS0_14default_configENS1_35radix_sort_onesweep_config_selectorIbNS0_10empty_typeEEEZZNS1_29radix_sort_onesweep_iterationIS3_Lb0EPKbPbPS5_SB_mNS0_19identity_decomposerENS1_16block_id_wrapperIjLb0EEEEE10hipError_tT1_PNSt15iterator_traitsISG_E10value_typeET2_T3_PNSH_ISM_E10value_typeET4_T5_PSR_SS_PNS1_23onesweep_lookback_stateEbbT6_jjT7_P12ihipStream_tbENKUlT_T0_SG_SL_E_clIS9_SA_SB_SB_EEDaSZ_S10_SG_SL_EUlSZ_E_NS1_11comp_targetILNS1_3genE5ELNS1_11target_archE942ELNS1_3gpuE9ELNS1_3repE0EEENS1_47radix_sort_onesweep_sort_config_static_selectorELNS0_4arch9wavefront6targetE0EEEvSG_.numbered_sgpr, 0
	.set _ZN7rocprim17ROCPRIM_400000_NS6detail17trampoline_kernelINS0_14default_configENS1_35radix_sort_onesweep_config_selectorIbNS0_10empty_typeEEEZZNS1_29radix_sort_onesweep_iterationIS3_Lb0EPKbPbPS5_SB_mNS0_19identity_decomposerENS1_16block_id_wrapperIjLb0EEEEE10hipError_tT1_PNSt15iterator_traitsISG_E10value_typeET2_T3_PNSH_ISM_E10value_typeET4_T5_PSR_SS_PNS1_23onesweep_lookback_stateEbbT6_jjT7_P12ihipStream_tbENKUlT_T0_SG_SL_E_clIS9_SA_SB_SB_EEDaSZ_S10_SG_SL_EUlSZ_E_NS1_11comp_targetILNS1_3genE5ELNS1_11target_archE942ELNS1_3gpuE9ELNS1_3repE0EEENS1_47radix_sort_onesweep_sort_config_static_selectorELNS0_4arch9wavefront6targetE0EEEvSG_.num_named_barrier, 0
	.set _ZN7rocprim17ROCPRIM_400000_NS6detail17trampoline_kernelINS0_14default_configENS1_35radix_sort_onesweep_config_selectorIbNS0_10empty_typeEEEZZNS1_29radix_sort_onesweep_iterationIS3_Lb0EPKbPbPS5_SB_mNS0_19identity_decomposerENS1_16block_id_wrapperIjLb0EEEEE10hipError_tT1_PNSt15iterator_traitsISG_E10value_typeET2_T3_PNSH_ISM_E10value_typeET4_T5_PSR_SS_PNS1_23onesweep_lookback_stateEbbT6_jjT7_P12ihipStream_tbENKUlT_T0_SG_SL_E_clIS9_SA_SB_SB_EEDaSZ_S10_SG_SL_EUlSZ_E_NS1_11comp_targetILNS1_3genE5ELNS1_11target_archE942ELNS1_3gpuE9ELNS1_3repE0EEENS1_47radix_sort_onesweep_sort_config_static_selectorELNS0_4arch9wavefront6targetE0EEEvSG_.private_seg_size, 0
	.set _ZN7rocprim17ROCPRIM_400000_NS6detail17trampoline_kernelINS0_14default_configENS1_35radix_sort_onesweep_config_selectorIbNS0_10empty_typeEEEZZNS1_29radix_sort_onesweep_iterationIS3_Lb0EPKbPbPS5_SB_mNS0_19identity_decomposerENS1_16block_id_wrapperIjLb0EEEEE10hipError_tT1_PNSt15iterator_traitsISG_E10value_typeET2_T3_PNSH_ISM_E10value_typeET4_T5_PSR_SS_PNS1_23onesweep_lookback_stateEbbT6_jjT7_P12ihipStream_tbENKUlT_T0_SG_SL_E_clIS9_SA_SB_SB_EEDaSZ_S10_SG_SL_EUlSZ_E_NS1_11comp_targetILNS1_3genE5ELNS1_11target_archE942ELNS1_3gpuE9ELNS1_3repE0EEENS1_47radix_sort_onesweep_sort_config_static_selectorELNS0_4arch9wavefront6targetE0EEEvSG_.uses_vcc, 0
	.set _ZN7rocprim17ROCPRIM_400000_NS6detail17trampoline_kernelINS0_14default_configENS1_35radix_sort_onesweep_config_selectorIbNS0_10empty_typeEEEZZNS1_29radix_sort_onesweep_iterationIS3_Lb0EPKbPbPS5_SB_mNS0_19identity_decomposerENS1_16block_id_wrapperIjLb0EEEEE10hipError_tT1_PNSt15iterator_traitsISG_E10value_typeET2_T3_PNSH_ISM_E10value_typeET4_T5_PSR_SS_PNS1_23onesweep_lookback_stateEbbT6_jjT7_P12ihipStream_tbENKUlT_T0_SG_SL_E_clIS9_SA_SB_SB_EEDaSZ_S10_SG_SL_EUlSZ_E_NS1_11comp_targetILNS1_3genE5ELNS1_11target_archE942ELNS1_3gpuE9ELNS1_3repE0EEENS1_47radix_sort_onesweep_sort_config_static_selectorELNS0_4arch9wavefront6targetE0EEEvSG_.uses_flat_scratch, 0
	.set _ZN7rocprim17ROCPRIM_400000_NS6detail17trampoline_kernelINS0_14default_configENS1_35radix_sort_onesweep_config_selectorIbNS0_10empty_typeEEEZZNS1_29radix_sort_onesweep_iterationIS3_Lb0EPKbPbPS5_SB_mNS0_19identity_decomposerENS1_16block_id_wrapperIjLb0EEEEE10hipError_tT1_PNSt15iterator_traitsISG_E10value_typeET2_T3_PNSH_ISM_E10value_typeET4_T5_PSR_SS_PNS1_23onesweep_lookback_stateEbbT6_jjT7_P12ihipStream_tbENKUlT_T0_SG_SL_E_clIS9_SA_SB_SB_EEDaSZ_S10_SG_SL_EUlSZ_E_NS1_11comp_targetILNS1_3genE5ELNS1_11target_archE942ELNS1_3gpuE9ELNS1_3repE0EEENS1_47radix_sort_onesweep_sort_config_static_selectorELNS0_4arch9wavefront6targetE0EEEvSG_.has_dyn_sized_stack, 0
	.set _ZN7rocprim17ROCPRIM_400000_NS6detail17trampoline_kernelINS0_14default_configENS1_35radix_sort_onesweep_config_selectorIbNS0_10empty_typeEEEZZNS1_29radix_sort_onesweep_iterationIS3_Lb0EPKbPbPS5_SB_mNS0_19identity_decomposerENS1_16block_id_wrapperIjLb0EEEEE10hipError_tT1_PNSt15iterator_traitsISG_E10value_typeET2_T3_PNSH_ISM_E10value_typeET4_T5_PSR_SS_PNS1_23onesweep_lookback_stateEbbT6_jjT7_P12ihipStream_tbENKUlT_T0_SG_SL_E_clIS9_SA_SB_SB_EEDaSZ_S10_SG_SL_EUlSZ_E_NS1_11comp_targetILNS1_3genE5ELNS1_11target_archE942ELNS1_3gpuE9ELNS1_3repE0EEENS1_47radix_sort_onesweep_sort_config_static_selectorELNS0_4arch9wavefront6targetE0EEEvSG_.has_recursion, 0
	.set _ZN7rocprim17ROCPRIM_400000_NS6detail17trampoline_kernelINS0_14default_configENS1_35radix_sort_onesweep_config_selectorIbNS0_10empty_typeEEEZZNS1_29radix_sort_onesweep_iterationIS3_Lb0EPKbPbPS5_SB_mNS0_19identity_decomposerENS1_16block_id_wrapperIjLb0EEEEE10hipError_tT1_PNSt15iterator_traitsISG_E10value_typeET2_T3_PNSH_ISM_E10value_typeET4_T5_PSR_SS_PNS1_23onesweep_lookback_stateEbbT6_jjT7_P12ihipStream_tbENKUlT_T0_SG_SL_E_clIS9_SA_SB_SB_EEDaSZ_S10_SG_SL_EUlSZ_E_NS1_11comp_targetILNS1_3genE5ELNS1_11target_archE942ELNS1_3gpuE9ELNS1_3repE0EEENS1_47radix_sort_onesweep_sort_config_static_selectorELNS0_4arch9wavefront6targetE0EEEvSG_.has_indirect_call, 0
	.section	.AMDGPU.csdata,"",@progbits
; Kernel info:
; codeLenInByte = 0
; TotalNumSgprs: 0
; NumVgprs: 0
; ScratchSize: 0
; MemoryBound: 0
; FloatMode: 240
; IeeeMode: 1
; LDSByteSize: 0 bytes/workgroup (compile time only)
; SGPRBlocks: 0
; VGPRBlocks: 0
; NumSGPRsForWavesPerEU: 1
; NumVGPRsForWavesPerEU: 1
; NamedBarCnt: 0
; Occupancy: 16
; WaveLimiterHint : 0
; COMPUTE_PGM_RSRC2:SCRATCH_EN: 0
; COMPUTE_PGM_RSRC2:USER_SGPR: 2
; COMPUTE_PGM_RSRC2:TRAP_HANDLER: 0
; COMPUTE_PGM_RSRC2:TGID_X_EN: 1
; COMPUTE_PGM_RSRC2:TGID_Y_EN: 0
; COMPUTE_PGM_RSRC2:TGID_Z_EN: 0
; COMPUTE_PGM_RSRC2:TIDIG_COMP_CNT: 0
	.section	.text._ZN7rocprim17ROCPRIM_400000_NS6detail17trampoline_kernelINS0_14default_configENS1_35radix_sort_onesweep_config_selectorIbNS0_10empty_typeEEEZZNS1_29radix_sort_onesweep_iterationIS3_Lb0EPKbPbPS5_SB_mNS0_19identity_decomposerENS1_16block_id_wrapperIjLb0EEEEE10hipError_tT1_PNSt15iterator_traitsISG_E10value_typeET2_T3_PNSH_ISM_E10value_typeET4_T5_PSR_SS_PNS1_23onesweep_lookback_stateEbbT6_jjT7_P12ihipStream_tbENKUlT_T0_SG_SL_E_clIS9_SA_SB_SB_EEDaSZ_S10_SG_SL_EUlSZ_E_NS1_11comp_targetILNS1_3genE2ELNS1_11target_archE906ELNS1_3gpuE6ELNS1_3repE0EEENS1_47radix_sort_onesweep_sort_config_static_selectorELNS0_4arch9wavefront6targetE0EEEvSG_,"axG",@progbits,_ZN7rocprim17ROCPRIM_400000_NS6detail17trampoline_kernelINS0_14default_configENS1_35radix_sort_onesweep_config_selectorIbNS0_10empty_typeEEEZZNS1_29radix_sort_onesweep_iterationIS3_Lb0EPKbPbPS5_SB_mNS0_19identity_decomposerENS1_16block_id_wrapperIjLb0EEEEE10hipError_tT1_PNSt15iterator_traitsISG_E10value_typeET2_T3_PNSH_ISM_E10value_typeET4_T5_PSR_SS_PNS1_23onesweep_lookback_stateEbbT6_jjT7_P12ihipStream_tbENKUlT_T0_SG_SL_E_clIS9_SA_SB_SB_EEDaSZ_S10_SG_SL_EUlSZ_E_NS1_11comp_targetILNS1_3genE2ELNS1_11target_archE906ELNS1_3gpuE6ELNS1_3repE0EEENS1_47radix_sort_onesweep_sort_config_static_selectorELNS0_4arch9wavefront6targetE0EEEvSG_,comdat
	.protected	_ZN7rocprim17ROCPRIM_400000_NS6detail17trampoline_kernelINS0_14default_configENS1_35radix_sort_onesweep_config_selectorIbNS0_10empty_typeEEEZZNS1_29radix_sort_onesweep_iterationIS3_Lb0EPKbPbPS5_SB_mNS0_19identity_decomposerENS1_16block_id_wrapperIjLb0EEEEE10hipError_tT1_PNSt15iterator_traitsISG_E10value_typeET2_T3_PNSH_ISM_E10value_typeET4_T5_PSR_SS_PNS1_23onesweep_lookback_stateEbbT6_jjT7_P12ihipStream_tbENKUlT_T0_SG_SL_E_clIS9_SA_SB_SB_EEDaSZ_S10_SG_SL_EUlSZ_E_NS1_11comp_targetILNS1_3genE2ELNS1_11target_archE906ELNS1_3gpuE6ELNS1_3repE0EEENS1_47radix_sort_onesweep_sort_config_static_selectorELNS0_4arch9wavefront6targetE0EEEvSG_ ; -- Begin function _ZN7rocprim17ROCPRIM_400000_NS6detail17trampoline_kernelINS0_14default_configENS1_35radix_sort_onesweep_config_selectorIbNS0_10empty_typeEEEZZNS1_29radix_sort_onesweep_iterationIS3_Lb0EPKbPbPS5_SB_mNS0_19identity_decomposerENS1_16block_id_wrapperIjLb0EEEEE10hipError_tT1_PNSt15iterator_traitsISG_E10value_typeET2_T3_PNSH_ISM_E10value_typeET4_T5_PSR_SS_PNS1_23onesweep_lookback_stateEbbT6_jjT7_P12ihipStream_tbENKUlT_T0_SG_SL_E_clIS9_SA_SB_SB_EEDaSZ_S10_SG_SL_EUlSZ_E_NS1_11comp_targetILNS1_3genE2ELNS1_11target_archE906ELNS1_3gpuE6ELNS1_3repE0EEENS1_47radix_sort_onesweep_sort_config_static_selectorELNS0_4arch9wavefront6targetE0EEEvSG_
	.globl	_ZN7rocprim17ROCPRIM_400000_NS6detail17trampoline_kernelINS0_14default_configENS1_35radix_sort_onesweep_config_selectorIbNS0_10empty_typeEEEZZNS1_29radix_sort_onesweep_iterationIS3_Lb0EPKbPbPS5_SB_mNS0_19identity_decomposerENS1_16block_id_wrapperIjLb0EEEEE10hipError_tT1_PNSt15iterator_traitsISG_E10value_typeET2_T3_PNSH_ISM_E10value_typeET4_T5_PSR_SS_PNS1_23onesweep_lookback_stateEbbT6_jjT7_P12ihipStream_tbENKUlT_T0_SG_SL_E_clIS9_SA_SB_SB_EEDaSZ_S10_SG_SL_EUlSZ_E_NS1_11comp_targetILNS1_3genE2ELNS1_11target_archE906ELNS1_3gpuE6ELNS1_3repE0EEENS1_47radix_sort_onesweep_sort_config_static_selectorELNS0_4arch9wavefront6targetE0EEEvSG_
	.p2align	8
	.type	_ZN7rocprim17ROCPRIM_400000_NS6detail17trampoline_kernelINS0_14default_configENS1_35radix_sort_onesweep_config_selectorIbNS0_10empty_typeEEEZZNS1_29radix_sort_onesweep_iterationIS3_Lb0EPKbPbPS5_SB_mNS0_19identity_decomposerENS1_16block_id_wrapperIjLb0EEEEE10hipError_tT1_PNSt15iterator_traitsISG_E10value_typeET2_T3_PNSH_ISM_E10value_typeET4_T5_PSR_SS_PNS1_23onesweep_lookback_stateEbbT6_jjT7_P12ihipStream_tbENKUlT_T0_SG_SL_E_clIS9_SA_SB_SB_EEDaSZ_S10_SG_SL_EUlSZ_E_NS1_11comp_targetILNS1_3genE2ELNS1_11target_archE906ELNS1_3gpuE6ELNS1_3repE0EEENS1_47radix_sort_onesweep_sort_config_static_selectorELNS0_4arch9wavefront6targetE0EEEvSG_,@function
_ZN7rocprim17ROCPRIM_400000_NS6detail17trampoline_kernelINS0_14default_configENS1_35radix_sort_onesweep_config_selectorIbNS0_10empty_typeEEEZZNS1_29radix_sort_onesweep_iterationIS3_Lb0EPKbPbPS5_SB_mNS0_19identity_decomposerENS1_16block_id_wrapperIjLb0EEEEE10hipError_tT1_PNSt15iterator_traitsISG_E10value_typeET2_T3_PNSH_ISM_E10value_typeET4_T5_PSR_SS_PNS1_23onesweep_lookback_stateEbbT6_jjT7_P12ihipStream_tbENKUlT_T0_SG_SL_E_clIS9_SA_SB_SB_EEDaSZ_S10_SG_SL_EUlSZ_E_NS1_11comp_targetILNS1_3genE2ELNS1_11target_archE906ELNS1_3gpuE6ELNS1_3repE0EEENS1_47radix_sort_onesweep_sort_config_static_selectorELNS0_4arch9wavefront6targetE0EEEvSG_: ; @_ZN7rocprim17ROCPRIM_400000_NS6detail17trampoline_kernelINS0_14default_configENS1_35radix_sort_onesweep_config_selectorIbNS0_10empty_typeEEEZZNS1_29radix_sort_onesweep_iterationIS3_Lb0EPKbPbPS5_SB_mNS0_19identity_decomposerENS1_16block_id_wrapperIjLb0EEEEE10hipError_tT1_PNSt15iterator_traitsISG_E10value_typeET2_T3_PNSH_ISM_E10value_typeET4_T5_PSR_SS_PNS1_23onesweep_lookback_stateEbbT6_jjT7_P12ihipStream_tbENKUlT_T0_SG_SL_E_clIS9_SA_SB_SB_EEDaSZ_S10_SG_SL_EUlSZ_E_NS1_11comp_targetILNS1_3genE2ELNS1_11target_archE906ELNS1_3gpuE6ELNS1_3repE0EEENS1_47radix_sort_onesweep_sort_config_static_selectorELNS0_4arch9wavefront6targetE0EEEvSG_
; %bb.0:
	.section	.rodata,"a",@progbits
	.p2align	6, 0x0
	.amdhsa_kernel _ZN7rocprim17ROCPRIM_400000_NS6detail17trampoline_kernelINS0_14default_configENS1_35radix_sort_onesweep_config_selectorIbNS0_10empty_typeEEEZZNS1_29radix_sort_onesweep_iterationIS3_Lb0EPKbPbPS5_SB_mNS0_19identity_decomposerENS1_16block_id_wrapperIjLb0EEEEE10hipError_tT1_PNSt15iterator_traitsISG_E10value_typeET2_T3_PNSH_ISM_E10value_typeET4_T5_PSR_SS_PNS1_23onesweep_lookback_stateEbbT6_jjT7_P12ihipStream_tbENKUlT_T0_SG_SL_E_clIS9_SA_SB_SB_EEDaSZ_S10_SG_SL_EUlSZ_E_NS1_11comp_targetILNS1_3genE2ELNS1_11target_archE906ELNS1_3gpuE6ELNS1_3repE0EEENS1_47radix_sort_onesweep_sort_config_static_selectorELNS0_4arch9wavefront6targetE0EEEvSG_
		.amdhsa_group_segment_fixed_size 0
		.amdhsa_private_segment_fixed_size 0
		.amdhsa_kernarg_size 88
		.amdhsa_user_sgpr_count 2
		.amdhsa_user_sgpr_dispatch_ptr 0
		.amdhsa_user_sgpr_queue_ptr 0
		.amdhsa_user_sgpr_kernarg_segment_ptr 1
		.amdhsa_user_sgpr_dispatch_id 0
		.amdhsa_user_sgpr_kernarg_preload_length 0
		.amdhsa_user_sgpr_kernarg_preload_offset 0
		.amdhsa_user_sgpr_private_segment_size 0
		.amdhsa_wavefront_size32 1
		.amdhsa_uses_dynamic_stack 0
		.amdhsa_enable_private_segment 0
		.amdhsa_system_sgpr_workgroup_id_x 1
		.amdhsa_system_sgpr_workgroup_id_y 0
		.amdhsa_system_sgpr_workgroup_id_z 0
		.amdhsa_system_sgpr_workgroup_info 0
		.amdhsa_system_vgpr_workitem_id 0
		.amdhsa_next_free_vgpr 1
		.amdhsa_next_free_sgpr 1
		.amdhsa_named_barrier_count 0
		.amdhsa_reserve_vcc 0
		.amdhsa_float_round_mode_32 0
		.amdhsa_float_round_mode_16_64 0
		.amdhsa_float_denorm_mode_32 3
		.amdhsa_float_denorm_mode_16_64 3
		.amdhsa_fp16_overflow 0
		.amdhsa_memory_ordered 1
		.amdhsa_forward_progress 1
		.amdhsa_inst_pref_size 0
		.amdhsa_round_robin_scheduling 0
		.amdhsa_exception_fp_ieee_invalid_op 0
		.amdhsa_exception_fp_denorm_src 0
		.amdhsa_exception_fp_ieee_div_zero 0
		.amdhsa_exception_fp_ieee_overflow 0
		.amdhsa_exception_fp_ieee_underflow 0
		.amdhsa_exception_fp_ieee_inexact 0
		.amdhsa_exception_int_div_zero 0
	.end_amdhsa_kernel
	.section	.text._ZN7rocprim17ROCPRIM_400000_NS6detail17trampoline_kernelINS0_14default_configENS1_35radix_sort_onesweep_config_selectorIbNS0_10empty_typeEEEZZNS1_29radix_sort_onesweep_iterationIS3_Lb0EPKbPbPS5_SB_mNS0_19identity_decomposerENS1_16block_id_wrapperIjLb0EEEEE10hipError_tT1_PNSt15iterator_traitsISG_E10value_typeET2_T3_PNSH_ISM_E10value_typeET4_T5_PSR_SS_PNS1_23onesweep_lookback_stateEbbT6_jjT7_P12ihipStream_tbENKUlT_T0_SG_SL_E_clIS9_SA_SB_SB_EEDaSZ_S10_SG_SL_EUlSZ_E_NS1_11comp_targetILNS1_3genE2ELNS1_11target_archE906ELNS1_3gpuE6ELNS1_3repE0EEENS1_47radix_sort_onesweep_sort_config_static_selectorELNS0_4arch9wavefront6targetE0EEEvSG_,"axG",@progbits,_ZN7rocprim17ROCPRIM_400000_NS6detail17trampoline_kernelINS0_14default_configENS1_35radix_sort_onesweep_config_selectorIbNS0_10empty_typeEEEZZNS1_29radix_sort_onesweep_iterationIS3_Lb0EPKbPbPS5_SB_mNS0_19identity_decomposerENS1_16block_id_wrapperIjLb0EEEEE10hipError_tT1_PNSt15iterator_traitsISG_E10value_typeET2_T3_PNSH_ISM_E10value_typeET4_T5_PSR_SS_PNS1_23onesweep_lookback_stateEbbT6_jjT7_P12ihipStream_tbENKUlT_T0_SG_SL_E_clIS9_SA_SB_SB_EEDaSZ_S10_SG_SL_EUlSZ_E_NS1_11comp_targetILNS1_3genE2ELNS1_11target_archE906ELNS1_3gpuE6ELNS1_3repE0EEENS1_47radix_sort_onesweep_sort_config_static_selectorELNS0_4arch9wavefront6targetE0EEEvSG_,comdat
.Lfunc_end1873:
	.size	_ZN7rocprim17ROCPRIM_400000_NS6detail17trampoline_kernelINS0_14default_configENS1_35radix_sort_onesweep_config_selectorIbNS0_10empty_typeEEEZZNS1_29radix_sort_onesweep_iterationIS3_Lb0EPKbPbPS5_SB_mNS0_19identity_decomposerENS1_16block_id_wrapperIjLb0EEEEE10hipError_tT1_PNSt15iterator_traitsISG_E10value_typeET2_T3_PNSH_ISM_E10value_typeET4_T5_PSR_SS_PNS1_23onesweep_lookback_stateEbbT6_jjT7_P12ihipStream_tbENKUlT_T0_SG_SL_E_clIS9_SA_SB_SB_EEDaSZ_S10_SG_SL_EUlSZ_E_NS1_11comp_targetILNS1_3genE2ELNS1_11target_archE906ELNS1_3gpuE6ELNS1_3repE0EEENS1_47radix_sort_onesweep_sort_config_static_selectorELNS0_4arch9wavefront6targetE0EEEvSG_, .Lfunc_end1873-_ZN7rocprim17ROCPRIM_400000_NS6detail17trampoline_kernelINS0_14default_configENS1_35radix_sort_onesweep_config_selectorIbNS0_10empty_typeEEEZZNS1_29radix_sort_onesweep_iterationIS3_Lb0EPKbPbPS5_SB_mNS0_19identity_decomposerENS1_16block_id_wrapperIjLb0EEEEE10hipError_tT1_PNSt15iterator_traitsISG_E10value_typeET2_T3_PNSH_ISM_E10value_typeET4_T5_PSR_SS_PNS1_23onesweep_lookback_stateEbbT6_jjT7_P12ihipStream_tbENKUlT_T0_SG_SL_E_clIS9_SA_SB_SB_EEDaSZ_S10_SG_SL_EUlSZ_E_NS1_11comp_targetILNS1_3genE2ELNS1_11target_archE906ELNS1_3gpuE6ELNS1_3repE0EEENS1_47radix_sort_onesweep_sort_config_static_selectorELNS0_4arch9wavefront6targetE0EEEvSG_
                                        ; -- End function
	.set _ZN7rocprim17ROCPRIM_400000_NS6detail17trampoline_kernelINS0_14default_configENS1_35radix_sort_onesweep_config_selectorIbNS0_10empty_typeEEEZZNS1_29radix_sort_onesweep_iterationIS3_Lb0EPKbPbPS5_SB_mNS0_19identity_decomposerENS1_16block_id_wrapperIjLb0EEEEE10hipError_tT1_PNSt15iterator_traitsISG_E10value_typeET2_T3_PNSH_ISM_E10value_typeET4_T5_PSR_SS_PNS1_23onesweep_lookback_stateEbbT6_jjT7_P12ihipStream_tbENKUlT_T0_SG_SL_E_clIS9_SA_SB_SB_EEDaSZ_S10_SG_SL_EUlSZ_E_NS1_11comp_targetILNS1_3genE2ELNS1_11target_archE906ELNS1_3gpuE6ELNS1_3repE0EEENS1_47radix_sort_onesweep_sort_config_static_selectorELNS0_4arch9wavefront6targetE0EEEvSG_.num_vgpr, 0
	.set _ZN7rocprim17ROCPRIM_400000_NS6detail17trampoline_kernelINS0_14default_configENS1_35radix_sort_onesweep_config_selectorIbNS0_10empty_typeEEEZZNS1_29radix_sort_onesweep_iterationIS3_Lb0EPKbPbPS5_SB_mNS0_19identity_decomposerENS1_16block_id_wrapperIjLb0EEEEE10hipError_tT1_PNSt15iterator_traitsISG_E10value_typeET2_T3_PNSH_ISM_E10value_typeET4_T5_PSR_SS_PNS1_23onesweep_lookback_stateEbbT6_jjT7_P12ihipStream_tbENKUlT_T0_SG_SL_E_clIS9_SA_SB_SB_EEDaSZ_S10_SG_SL_EUlSZ_E_NS1_11comp_targetILNS1_3genE2ELNS1_11target_archE906ELNS1_3gpuE6ELNS1_3repE0EEENS1_47radix_sort_onesweep_sort_config_static_selectorELNS0_4arch9wavefront6targetE0EEEvSG_.num_agpr, 0
	.set _ZN7rocprim17ROCPRIM_400000_NS6detail17trampoline_kernelINS0_14default_configENS1_35radix_sort_onesweep_config_selectorIbNS0_10empty_typeEEEZZNS1_29radix_sort_onesweep_iterationIS3_Lb0EPKbPbPS5_SB_mNS0_19identity_decomposerENS1_16block_id_wrapperIjLb0EEEEE10hipError_tT1_PNSt15iterator_traitsISG_E10value_typeET2_T3_PNSH_ISM_E10value_typeET4_T5_PSR_SS_PNS1_23onesweep_lookback_stateEbbT6_jjT7_P12ihipStream_tbENKUlT_T0_SG_SL_E_clIS9_SA_SB_SB_EEDaSZ_S10_SG_SL_EUlSZ_E_NS1_11comp_targetILNS1_3genE2ELNS1_11target_archE906ELNS1_3gpuE6ELNS1_3repE0EEENS1_47radix_sort_onesweep_sort_config_static_selectorELNS0_4arch9wavefront6targetE0EEEvSG_.numbered_sgpr, 0
	.set _ZN7rocprim17ROCPRIM_400000_NS6detail17trampoline_kernelINS0_14default_configENS1_35radix_sort_onesweep_config_selectorIbNS0_10empty_typeEEEZZNS1_29radix_sort_onesweep_iterationIS3_Lb0EPKbPbPS5_SB_mNS0_19identity_decomposerENS1_16block_id_wrapperIjLb0EEEEE10hipError_tT1_PNSt15iterator_traitsISG_E10value_typeET2_T3_PNSH_ISM_E10value_typeET4_T5_PSR_SS_PNS1_23onesweep_lookback_stateEbbT6_jjT7_P12ihipStream_tbENKUlT_T0_SG_SL_E_clIS9_SA_SB_SB_EEDaSZ_S10_SG_SL_EUlSZ_E_NS1_11comp_targetILNS1_3genE2ELNS1_11target_archE906ELNS1_3gpuE6ELNS1_3repE0EEENS1_47radix_sort_onesweep_sort_config_static_selectorELNS0_4arch9wavefront6targetE0EEEvSG_.num_named_barrier, 0
	.set _ZN7rocprim17ROCPRIM_400000_NS6detail17trampoline_kernelINS0_14default_configENS1_35radix_sort_onesweep_config_selectorIbNS0_10empty_typeEEEZZNS1_29radix_sort_onesweep_iterationIS3_Lb0EPKbPbPS5_SB_mNS0_19identity_decomposerENS1_16block_id_wrapperIjLb0EEEEE10hipError_tT1_PNSt15iterator_traitsISG_E10value_typeET2_T3_PNSH_ISM_E10value_typeET4_T5_PSR_SS_PNS1_23onesweep_lookback_stateEbbT6_jjT7_P12ihipStream_tbENKUlT_T0_SG_SL_E_clIS9_SA_SB_SB_EEDaSZ_S10_SG_SL_EUlSZ_E_NS1_11comp_targetILNS1_3genE2ELNS1_11target_archE906ELNS1_3gpuE6ELNS1_3repE0EEENS1_47radix_sort_onesweep_sort_config_static_selectorELNS0_4arch9wavefront6targetE0EEEvSG_.private_seg_size, 0
	.set _ZN7rocprim17ROCPRIM_400000_NS6detail17trampoline_kernelINS0_14default_configENS1_35radix_sort_onesweep_config_selectorIbNS0_10empty_typeEEEZZNS1_29radix_sort_onesweep_iterationIS3_Lb0EPKbPbPS5_SB_mNS0_19identity_decomposerENS1_16block_id_wrapperIjLb0EEEEE10hipError_tT1_PNSt15iterator_traitsISG_E10value_typeET2_T3_PNSH_ISM_E10value_typeET4_T5_PSR_SS_PNS1_23onesweep_lookback_stateEbbT6_jjT7_P12ihipStream_tbENKUlT_T0_SG_SL_E_clIS9_SA_SB_SB_EEDaSZ_S10_SG_SL_EUlSZ_E_NS1_11comp_targetILNS1_3genE2ELNS1_11target_archE906ELNS1_3gpuE6ELNS1_3repE0EEENS1_47radix_sort_onesweep_sort_config_static_selectorELNS0_4arch9wavefront6targetE0EEEvSG_.uses_vcc, 0
	.set _ZN7rocprim17ROCPRIM_400000_NS6detail17trampoline_kernelINS0_14default_configENS1_35radix_sort_onesweep_config_selectorIbNS0_10empty_typeEEEZZNS1_29radix_sort_onesweep_iterationIS3_Lb0EPKbPbPS5_SB_mNS0_19identity_decomposerENS1_16block_id_wrapperIjLb0EEEEE10hipError_tT1_PNSt15iterator_traitsISG_E10value_typeET2_T3_PNSH_ISM_E10value_typeET4_T5_PSR_SS_PNS1_23onesweep_lookback_stateEbbT6_jjT7_P12ihipStream_tbENKUlT_T0_SG_SL_E_clIS9_SA_SB_SB_EEDaSZ_S10_SG_SL_EUlSZ_E_NS1_11comp_targetILNS1_3genE2ELNS1_11target_archE906ELNS1_3gpuE6ELNS1_3repE0EEENS1_47radix_sort_onesweep_sort_config_static_selectorELNS0_4arch9wavefront6targetE0EEEvSG_.uses_flat_scratch, 0
	.set _ZN7rocprim17ROCPRIM_400000_NS6detail17trampoline_kernelINS0_14default_configENS1_35radix_sort_onesweep_config_selectorIbNS0_10empty_typeEEEZZNS1_29radix_sort_onesweep_iterationIS3_Lb0EPKbPbPS5_SB_mNS0_19identity_decomposerENS1_16block_id_wrapperIjLb0EEEEE10hipError_tT1_PNSt15iterator_traitsISG_E10value_typeET2_T3_PNSH_ISM_E10value_typeET4_T5_PSR_SS_PNS1_23onesweep_lookback_stateEbbT6_jjT7_P12ihipStream_tbENKUlT_T0_SG_SL_E_clIS9_SA_SB_SB_EEDaSZ_S10_SG_SL_EUlSZ_E_NS1_11comp_targetILNS1_3genE2ELNS1_11target_archE906ELNS1_3gpuE6ELNS1_3repE0EEENS1_47radix_sort_onesweep_sort_config_static_selectorELNS0_4arch9wavefront6targetE0EEEvSG_.has_dyn_sized_stack, 0
	.set _ZN7rocprim17ROCPRIM_400000_NS6detail17trampoline_kernelINS0_14default_configENS1_35radix_sort_onesweep_config_selectorIbNS0_10empty_typeEEEZZNS1_29radix_sort_onesweep_iterationIS3_Lb0EPKbPbPS5_SB_mNS0_19identity_decomposerENS1_16block_id_wrapperIjLb0EEEEE10hipError_tT1_PNSt15iterator_traitsISG_E10value_typeET2_T3_PNSH_ISM_E10value_typeET4_T5_PSR_SS_PNS1_23onesweep_lookback_stateEbbT6_jjT7_P12ihipStream_tbENKUlT_T0_SG_SL_E_clIS9_SA_SB_SB_EEDaSZ_S10_SG_SL_EUlSZ_E_NS1_11comp_targetILNS1_3genE2ELNS1_11target_archE906ELNS1_3gpuE6ELNS1_3repE0EEENS1_47radix_sort_onesweep_sort_config_static_selectorELNS0_4arch9wavefront6targetE0EEEvSG_.has_recursion, 0
	.set _ZN7rocprim17ROCPRIM_400000_NS6detail17trampoline_kernelINS0_14default_configENS1_35radix_sort_onesweep_config_selectorIbNS0_10empty_typeEEEZZNS1_29radix_sort_onesweep_iterationIS3_Lb0EPKbPbPS5_SB_mNS0_19identity_decomposerENS1_16block_id_wrapperIjLb0EEEEE10hipError_tT1_PNSt15iterator_traitsISG_E10value_typeET2_T3_PNSH_ISM_E10value_typeET4_T5_PSR_SS_PNS1_23onesweep_lookback_stateEbbT6_jjT7_P12ihipStream_tbENKUlT_T0_SG_SL_E_clIS9_SA_SB_SB_EEDaSZ_S10_SG_SL_EUlSZ_E_NS1_11comp_targetILNS1_3genE2ELNS1_11target_archE906ELNS1_3gpuE6ELNS1_3repE0EEENS1_47radix_sort_onesweep_sort_config_static_selectorELNS0_4arch9wavefront6targetE0EEEvSG_.has_indirect_call, 0
	.section	.AMDGPU.csdata,"",@progbits
; Kernel info:
; codeLenInByte = 0
; TotalNumSgprs: 0
; NumVgprs: 0
; ScratchSize: 0
; MemoryBound: 0
; FloatMode: 240
; IeeeMode: 1
; LDSByteSize: 0 bytes/workgroup (compile time only)
; SGPRBlocks: 0
; VGPRBlocks: 0
; NumSGPRsForWavesPerEU: 1
; NumVGPRsForWavesPerEU: 1
; NamedBarCnt: 0
; Occupancy: 16
; WaveLimiterHint : 0
; COMPUTE_PGM_RSRC2:SCRATCH_EN: 0
; COMPUTE_PGM_RSRC2:USER_SGPR: 2
; COMPUTE_PGM_RSRC2:TRAP_HANDLER: 0
; COMPUTE_PGM_RSRC2:TGID_X_EN: 1
; COMPUTE_PGM_RSRC2:TGID_Y_EN: 0
; COMPUTE_PGM_RSRC2:TGID_Z_EN: 0
; COMPUTE_PGM_RSRC2:TIDIG_COMP_CNT: 0
	.section	.text._ZN7rocprim17ROCPRIM_400000_NS6detail17trampoline_kernelINS0_14default_configENS1_35radix_sort_onesweep_config_selectorIbNS0_10empty_typeEEEZZNS1_29radix_sort_onesweep_iterationIS3_Lb0EPKbPbPS5_SB_mNS0_19identity_decomposerENS1_16block_id_wrapperIjLb0EEEEE10hipError_tT1_PNSt15iterator_traitsISG_E10value_typeET2_T3_PNSH_ISM_E10value_typeET4_T5_PSR_SS_PNS1_23onesweep_lookback_stateEbbT6_jjT7_P12ihipStream_tbENKUlT_T0_SG_SL_E_clIS9_SA_SB_SB_EEDaSZ_S10_SG_SL_EUlSZ_E_NS1_11comp_targetILNS1_3genE4ELNS1_11target_archE910ELNS1_3gpuE8ELNS1_3repE0EEENS1_47radix_sort_onesweep_sort_config_static_selectorELNS0_4arch9wavefront6targetE0EEEvSG_,"axG",@progbits,_ZN7rocprim17ROCPRIM_400000_NS6detail17trampoline_kernelINS0_14default_configENS1_35radix_sort_onesweep_config_selectorIbNS0_10empty_typeEEEZZNS1_29radix_sort_onesweep_iterationIS3_Lb0EPKbPbPS5_SB_mNS0_19identity_decomposerENS1_16block_id_wrapperIjLb0EEEEE10hipError_tT1_PNSt15iterator_traitsISG_E10value_typeET2_T3_PNSH_ISM_E10value_typeET4_T5_PSR_SS_PNS1_23onesweep_lookback_stateEbbT6_jjT7_P12ihipStream_tbENKUlT_T0_SG_SL_E_clIS9_SA_SB_SB_EEDaSZ_S10_SG_SL_EUlSZ_E_NS1_11comp_targetILNS1_3genE4ELNS1_11target_archE910ELNS1_3gpuE8ELNS1_3repE0EEENS1_47radix_sort_onesweep_sort_config_static_selectorELNS0_4arch9wavefront6targetE0EEEvSG_,comdat
	.protected	_ZN7rocprim17ROCPRIM_400000_NS6detail17trampoline_kernelINS0_14default_configENS1_35radix_sort_onesweep_config_selectorIbNS0_10empty_typeEEEZZNS1_29radix_sort_onesweep_iterationIS3_Lb0EPKbPbPS5_SB_mNS0_19identity_decomposerENS1_16block_id_wrapperIjLb0EEEEE10hipError_tT1_PNSt15iterator_traitsISG_E10value_typeET2_T3_PNSH_ISM_E10value_typeET4_T5_PSR_SS_PNS1_23onesweep_lookback_stateEbbT6_jjT7_P12ihipStream_tbENKUlT_T0_SG_SL_E_clIS9_SA_SB_SB_EEDaSZ_S10_SG_SL_EUlSZ_E_NS1_11comp_targetILNS1_3genE4ELNS1_11target_archE910ELNS1_3gpuE8ELNS1_3repE0EEENS1_47radix_sort_onesweep_sort_config_static_selectorELNS0_4arch9wavefront6targetE0EEEvSG_ ; -- Begin function _ZN7rocprim17ROCPRIM_400000_NS6detail17trampoline_kernelINS0_14default_configENS1_35radix_sort_onesweep_config_selectorIbNS0_10empty_typeEEEZZNS1_29radix_sort_onesweep_iterationIS3_Lb0EPKbPbPS5_SB_mNS0_19identity_decomposerENS1_16block_id_wrapperIjLb0EEEEE10hipError_tT1_PNSt15iterator_traitsISG_E10value_typeET2_T3_PNSH_ISM_E10value_typeET4_T5_PSR_SS_PNS1_23onesweep_lookback_stateEbbT6_jjT7_P12ihipStream_tbENKUlT_T0_SG_SL_E_clIS9_SA_SB_SB_EEDaSZ_S10_SG_SL_EUlSZ_E_NS1_11comp_targetILNS1_3genE4ELNS1_11target_archE910ELNS1_3gpuE8ELNS1_3repE0EEENS1_47radix_sort_onesweep_sort_config_static_selectorELNS0_4arch9wavefront6targetE0EEEvSG_
	.globl	_ZN7rocprim17ROCPRIM_400000_NS6detail17trampoline_kernelINS0_14default_configENS1_35radix_sort_onesweep_config_selectorIbNS0_10empty_typeEEEZZNS1_29radix_sort_onesweep_iterationIS3_Lb0EPKbPbPS5_SB_mNS0_19identity_decomposerENS1_16block_id_wrapperIjLb0EEEEE10hipError_tT1_PNSt15iterator_traitsISG_E10value_typeET2_T3_PNSH_ISM_E10value_typeET4_T5_PSR_SS_PNS1_23onesweep_lookback_stateEbbT6_jjT7_P12ihipStream_tbENKUlT_T0_SG_SL_E_clIS9_SA_SB_SB_EEDaSZ_S10_SG_SL_EUlSZ_E_NS1_11comp_targetILNS1_3genE4ELNS1_11target_archE910ELNS1_3gpuE8ELNS1_3repE0EEENS1_47radix_sort_onesweep_sort_config_static_selectorELNS0_4arch9wavefront6targetE0EEEvSG_
	.p2align	8
	.type	_ZN7rocprim17ROCPRIM_400000_NS6detail17trampoline_kernelINS0_14default_configENS1_35radix_sort_onesweep_config_selectorIbNS0_10empty_typeEEEZZNS1_29radix_sort_onesweep_iterationIS3_Lb0EPKbPbPS5_SB_mNS0_19identity_decomposerENS1_16block_id_wrapperIjLb0EEEEE10hipError_tT1_PNSt15iterator_traitsISG_E10value_typeET2_T3_PNSH_ISM_E10value_typeET4_T5_PSR_SS_PNS1_23onesweep_lookback_stateEbbT6_jjT7_P12ihipStream_tbENKUlT_T0_SG_SL_E_clIS9_SA_SB_SB_EEDaSZ_S10_SG_SL_EUlSZ_E_NS1_11comp_targetILNS1_3genE4ELNS1_11target_archE910ELNS1_3gpuE8ELNS1_3repE0EEENS1_47radix_sort_onesweep_sort_config_static_selectorELNS0_4arch9wavefront6targetE0EEEvSG_,@function
_ZN7rocprim17ROCPRIM_400000_NS6detail17trampoline_kernelINS0_14default_configENS1_35radix_sort_onesweep_config_selectorIbNS0_10empty_typeEEEZZNS1_29radix_sort_onesweep_iterationIS3_Lb0EPKbPbPS5_SB_mNS0_19identity_decomposerENS1_16block_id_wrapperIjLb0EEEEE10hipError_tT1_PNSt15iterator_traitsISG_E10value_typeET2_T3_PNSH_ISM_E10value_typeET4_T5_PSR_SS_PNS1_23onesweep_lookback_stateEbbT6_jjT7_P12ihipStream_tbENKUlT_T0_SG_SL_E_clIS9_SA_SB_SB_EEDaSZ_S10_SG_SL_EUlSZ_E_NS1_11comp_targetILNS1_3genE4ELNS1_11target_archE910ELNS1_3gpuE8ELNS1_3repE0EEENS1_47radix_sort_onesweep_sort_config_static_selectorELNS0_4arch9wavefront6targetE0EEEvSG_: ; @_ZN7rocprim17ROCPRIM_400000_NS6detail17trampoline_kernelINS0_14default_configENS1_35radix_sort_onesweep_config_selectorIbNS0_10empty_typeEEEZZNS1_29radix_sort_onesweep_iterationIS3_Lb0EPKbPbPS5_SB_mNS0_19identity_decomposerENS1_16block_id_wrapperIjLb0EEEEE10hipError_tT1_PNSt15iterator_traitsISG_E10value_typeET2_T3_PNSH_ISM_E10value_typeET4_T5_PSR_SS_PNS1_23onesweep_lookback_stateEbbT6_jjT7_P12ihipStream_tbENKUlT_T0_SG_SL_E_clIS9_SA_SB_SB_EEDaSZ_S10_SG_SL_EUlSZ_E_NS1_11comp_targetILNS1_3genE4ELNS1_11target_archE910ELNS1_3gpuE8ELNS1_3repE0EEENS1_47radix_sort_onesweep_sort_config_static_selectorELNS0_4arch9wavefront6targetE0EEEvSG_
; %bb.0:
	.section	.rodata,"a",@progbits
	.p2align	6, 0x0
	.amdhsa_kernel _ZN7rocprim17ROCPRIM_400000_NS6detail17trampoline_kernelINS0_14default_configENS1_35radix_sort_onesweep_config_selectorIbNS0_10empty_typeEEEZZNS1_29radix_sort_onesweep_iterationIS3_Lb0EPKbPbPS5_SB_mNS0_19identity_decomposerENS1_16block_id_wrapperIjLb0EEEEE10hipError_tT1_PNSt15iterator_traitsISG_E10value_typeET2_T3_PNSH_ISM_E10value_typeET4_T5_PSR_SS_PNS1_23onesweep_lookback_stateEbbT6_jjT7_P12ihipStream_tbENKUlT_T0_SG_SL_E_clIS9_SA_SB_SB_EEDaSZ_S10_SG_SL_EUlSZ_E_NS1_11comp_targetILNS1_3genE4ELNS1_11target_archE910ELNS1_3gpuE8ELNS1_3repE0EEENS1_47radix_sort_onesweep_sort_config_static_selectorELNS0_4arch9wavefront6targetE0EEEvSG_
		.amdhsa_group_segment_fixed_size 0
		.amdhsa_private_segment_fixed_size 0
		.amdhsa_kernarg_size 88
		.amdhsa_user_sgpr_count 2
		.amdhsa_user_sgpr_dispatch_ptr 0
		.amdhsa_user_sgpr_queue_ptr 0
		.amdhsa_user_sgpr_kernarg_segment_ptr 1
		.amdhsa_user_sgpr_dispatch_id 0
		.amdhsa_user_sgpr_kernarg_preload_length 0
		.amdhsa_user_sgpr_kernarg_preload_offset 0
		.amdhsa_user_sgpr_private_segment_size 0
		.amdhsa_wavefront_size32 1
		.amdhsa_uses_dynamic_stack 0
		.amdhsa_enable_private_segment 0
		.amdhsa_system_sgpr_workgroup_id_x 1
		.amdhsa_system_sgpr_workgroup_id_y 0
		.amdhsa_system_sgpr_workgroup_id_z 0
		.amdhsa_system_sgpr_workgroup_info 0
		.amdhsa_system_vgpr_workitem_id 0
		.amdhsa_next_free_vgpr 1
		.amdhsa_next_free_sgpr 1
		.amdhsa_named_barrier_count 0
		.amdhsa_reserve_vcc 0
		.amdhsa_float_round_mode_32 0
		.amdhsa_float_round_mode_16_64 0
		.amdhsa_float_denorm_mode_32 3
		.amdhsa_float_denorm_mode_16_64 3
		.amdhsa_fp16_overflow 0
		.amdhsa_memory_ordered 1
		.amdhsa_forward_progress 1
		.amdhsa_inst_pref_size 0
		.amdhsa_round_robin_scheduling 0
		.amdhsa_exception_fp_ieee_invalid_op 0
		.amdhsa_exception_fp_denorm_src 0
		.amdhsa_exception_fp_ieee_div_zero 0
		.amdhsa_exception_fp_ieee_overflow 0
		.amdhsa_exception_fp_ieee_underflow 0
		.amdhsa_exception_fp_ieee_inexact 0
		.amdhsa_exception_int_div_zero 0
	.end_amdhsa_kernel
	.section	.text._ZN7rocprim17ROCPRIM_400000_NS6detail17trampoline_kernelINS0_14default_configENS1_35radix_sort_onesweep_config_selectorIbNS0_10empty_typeEEEZZNS1_29radix_sort_onesweep_iterationIS3_Lb0EPKbPbPS5_SB_mNS0_19identity_decomposerENS1_16block_id_wrapperIjLb0EEEEE10hipError_tT1_PNSt15iterator_traitsISG_E10value_typeET2_T3_PNSH_ISM_E10value_typeET4_T5_PSR_SS_PNS1_23onesweep_lookback_stateEbbT6_jjT7_P12ihipStream_tbENKUlT_T0_SG_SL_E_clIS9_SA_SB_SB_EEDaSZ_S10_SG_SL_EUlSZ_E_NS1_11comp_targetILNS1_3genE4ELNS1_11target_archE910ELNS1_3gpuE8ELNS1_3repE0EEENS1_47radix_sort_onesweep_sort_config_static_selectorELNS0_4arch9wavefront6targetE0EEEvSG_,"axG",@progbits,_ZN7rocprim17ROCPRIM_400000_NS6detail17trampoline_kernelINS0_14default_configENS1_35radix_sort_onesweep_config_selectorIbNS0_10empty_typeEEEZZNS1_29radix_sort_onesweep_iterationIS3_Lb0EPKbPbPS5_SB_mNS0_19identity_decomposerENS1_16block_id_wrapperIjLb0EEEEE10hipError_tT1_PNSt15iterator_traitsISG_E10value_typeET2_T3_PNSH_ISM_E10value_typeET4_T5_PSR_SS_PNS1_23onesweep_lookback_stateEbbT6_jjT7_P12ihipStream_tbENKUlT_T0_SG_SL_E_clIS9_SA_SB_SB_EEDaSZ_S10_SG_SL_EUlSZ_E_NS1_11comp_targetILNS1_3genE4ELNS1_11target_archE910ELNS1_3gpuE8ELNS1_3repE0EEENS1_47radix_sort_onesweep_sort_config_static_selectorELNS0_4arch9wavefront6targetE0EEEvSG_,comdat
.Lfunc_end1874:
	.size	_ZN7rocprim17ROCPRIM_400000_NS6detail17trampoline_kernelINS0_14default_configENS1_35radix_sort_onesweep_config_selectorIbNS0_10empty_typeEEEZZNS1_29radix_sort_onesweep_iterationIS3_Lb0EPKbPbPS5_SB_mNS0_19identity_decomposerENS1_16block_id_wrapperIjLb0EEEEE10hipError_tT1_PNSt15iterator_traitsISG_E10value_typeET2_T3_PNSH_ISM_E10value_typeET4_T5_PSR_SS_PNS1_23onesweep_lookback_stateEbbT6_jjT7_P12ihipStream_tbENKUlT_T0_SG_SL_E_clIS9_SA_SB_SB_EEDaSZ_S10_SG_SL_EUlSZ_E_NS1_11comp_targetILNS1_3genE4ELNS1_11target_archE910ELNS1_3gpuE8ELNS1_3repE0EEENS1_47radix_sort_onesweep_sort_config_static_selectorELNS0_4arch9wavefront6targetE0EEEvSG_, .Lfunc_end1874-_ZN7rocprim17ROCPRIM_400000_NS6detail17trampoline_kernelINS0_14default_configENS1_35radix_sort_onesweep_config_selectorIbNS0_10empty_typeEEEZZNS1_29radix_sort_onesweep_iterationIS3_Lb0EPKbPbPS5_SB_mNS0_19identity_decomposerENS1_16block_id_wrapperIjLb0EEEEE10hipError_tT1_PNSt15iterator_traitsISG_E10value_typeET2_T3_PNSH_ISM_E10value_typeET4_T5_PSR_SS_PNS1_23onesweep_lookback_stateEbbT6_jjT7_P12ihipStream_tbENKUlT_T0_SG_SL_E_clIS9_SA_SB_SB_EEDaSZ_S10_SG_SL_EUlSZ_E_NS1_11comp_targetILNS1_3genE4ELNS1_11target_archE910ELNS1_3gpuE8ELNS1_3repE0EEENS1_47radix_sort_onesweep_sort_config_static_selectorELNS0_4arch9wavefront6targetE0EEEvSG_
                                        ; -- End function
	.set _ZN7rocprim17ROCPRIM_400000_NS6detail17trampoline_kernelINS0_14default_configENS1_35radix_sort_onesweep_config_selectorIbNS0_10empty_typeEEEZZNS1_29radix_sort_onesweep_iterationIS3_Lb0EPKbPbPS5_SB_mNS0_19identity_decomposerENS1_16block_id_wrapperIjLb0EEEEE10hipError_tT1_PNSt15iterator_traitsISG_E10value_typeET2_T3_PNSH_ISM_E10value_typeET4_T5_PSR_SS_PNS1_23onesweep_lookback_stateEbbT6_jjT7_P12ihipStream_tbENKUlT_T0_SG_SL_E_clIS9_SA_SB_SB_EEDaSZ_S10_SG_SL_EUlSZ_E_NS1_11comp_targetILNS1_3genE4ELNS1_11target_archE910ELNS1_3gpuE8ELNS1_3repE0EEENS1_47radix_sort_onesweep_sort_config_static_selectorELNS0_4arch9wavefront6targetE0EEEvSG_.num_vgpr, 0
	.set _ZN7rocprim17ROCPRIM_400000_NS6detail17trampoline_kernelINS0_14default_configENS1_35radix_sort_onesweep_config_selectorIbNS0_10empty_typeEEEZZNS1_29radix_sort_onesweep_iterationIS3_Lb0EPKbPbPS5_SB_mNS0_19identity_decomposerENS1_16block_id_wrapperIjLb0EEEEE10hipError_tT1_PNSt15iterator_traitsISG_E10value_typeET2_T3_PNSH_ISM_E10value_typeET4_T5_PSR_SS_PNS1_23onesweep_lookback_stateEbbT6_jjT7_P12ihipStream_tbENKUlT_T0_SG_SL_E_clIS9_SA_SB_SB_EEDaSZ_S10_SG_SL_EUlSZ_E_NS1_11comp_targetILNS1_3genE4ELNS1_11target_archE910ELNS1_3gpuE8ELNS1_3repE0EEENS1_47radix_sort_onesweep_sort_config_static_selectorELNS0_4arch9wavefront6targetE0EEEvSG_.num_agpr, 0
	.set _ZN7rocprim17ROCPRIM_400000_NS6detail17trampoline_kernelINS0_14default_configENS1_35radix_sort_onesweep_config_selectorIbNS0_10empty_typeEEEZZNS1_29radix_sort_onesweep_iterationIS3_Lb0EPKbPbPS5_SB_mNS0_19identity_decomposerENS1_16block_id_wrapperIjLb0EEEEE10hipError_tT1_PNSt15iterator_traitsISG_E10value_typeET2_T3_PNSH_ISM_E10value_typeET4_T5_PSR_SS_PNS1_23onesweep_lookback_stateEbbT6_jjT7_P12ihipStream_tbENKUlT_T0_SG_SL_E_clIS9_SA_SB_SB_EEDaSZ_S10_SG_SL_EUlSZ_E_NS1_11comp_targetILNS1_3genE4ELNS1_11target_archE910ELNS1_3gpuE8ELNS1_3repE0EEENS1_47radix_sort_onesweep_sort_config_static_selectorELNS0_4arch9wavefront6targetE0EEEvSG_.numbered_sgpr, 0
	.set _ZN7rocprim17ROCPRIM_400000_NS6detail17trampoline_kernelINS0_14default_configENS1_35radix_sort_onesweep_config_selectorIbNS0_10empty_typeEEEZZNS1_29radix_sort_onesweep_iterationIS3_Lb0EPKbPbPS5_SB_mNS0_19identity_decomposerENS1_16block_id_wrapperIjLb0EEEEE10hipError_tT1_PNSt15iterator_traitsISG_E10value_typeET2_T3_PNSH_ISM_E10value_typeET4_T5_PSR_SS_PNS1_23onesweep_lookback_stateEbbT6_jjT7_P12ihipStream_tbENKUlT_T0_SG_SL_E_clIS9_SA_SB_SB_EEDaSZ_S10_SG_SL_EUlSZ_E_NS1_11comp_targetILNS1_3genE4ELNS1_11target_archE910ELNS1_3gpuE8ELNS1_3repE0EEENS1_47radix_sort_onesweep_sort_config_static_selectorELNS0_4arch9wavefront6targetE0EEEvSG_.num_named_barrier, 0
	.set _ZN7rocprim17ROCPRIM_400000_NS6detail17trampoline_kernelINS0_14default_configENS1_35radix_sort_onesweep_config_selectorIbNS0_10empty_typeEEEZZNS1_29radix_sort_onesweep_iterationIS3_Lb0EPKbPbPS5_SB_mNS0_19identity_decomposerENS1_16block_id_wrapperIjLb0EEEEE10hipError_tT1_PNSt15iterator_traitsISG_E10value_typeET2_T3_PNSH_ISM_E10value_typeET4_T5_PSR_SS_PNS1_23onesweep_lookback_stateEbbT6_jjT7_P12ihipStream_tbENKUlT_T0_SG_SL_E_clIS9_SA_SB_SB_EEDaSZ_S10_SG_SL_EUlSZ_E_NS1_11comp_targetILNS1_3genE4ELNS1_11target_archE910ELNS1_3gpuE8ELNS1_3repE0EEENS1_47radix_sort_onesweep_sort_config_static_selectorELNS0_4arch9wavefront6targetE0EEEvSG_.private_seg_size, 0
	.set _ZN7rocprim17ROCPRIM_400000_NS6detail17trampoline_kernelINS0_14default_configENS1_35radix_sort_onesweep_config_selectorIbNS0_10empty_typeEEEZZNS1_29radix_sort_onesweep_iterationIS3_Lb0EPKbPbPS5_SB_mNS0_19identity_decomposerENS1_16block_id_wrapperIjLb0EEEEE10hipError_tT1_PNSt15iterator_traitsISG_E10value_typeET2_T3_PNSH_ISM_E10value_typeET4_T5_PSR_SS_PNS1_23onesweep_lookback_stateEbbT6_jjT7_P12ihipStream_tbENKUlT_T0_SG_SL_E_clIS9_SA_SB_SB_EEDaSZ_S10_SG_SL_EUlSZ_E_NS1_11comp_targetILNS1_3genE4ELNS1_11target_archE910ELNS1_3gpuE8ELNS1_3repE0EEENS1_47radix_sort_onesweep_sort_config_static_selectorELNS0_4arch9wavefront6targetE0EEEvSG_.uses_vcc, 0
	.set _ZN7rocprim17ROCPRIM_400000_NS6detail17trampoline_kernelINS0_14default_configENS1_35radix_sort_onesweep_config_selectorIbNS0_10empty_typeEEEZZNS1_29radix_sort_onesweep_iterationIS3_Lb0EPKbPbPS5_SB_mNS0_19identity_decomposerENS1_16block_id_wrapperIjLb0EEEEE10hipError_tT1_PNSt15iterator_traitsISG_E10value_typeET2_T3_PNSH_ISM_E10value_typeET4_T5_PSR_SS_PNS1_23onesweep_lookback_stateEbbT6_jjT7_P12ihipStream_tbENKUlT_T0_SG_SL_E_clIS9_SA_SB_SB_EEDaSZ_S10_SG_SL_EUlSZ_E_NS1_11comp_targetILNS1_3genE4ELNS1_11target_archE910ELNS1_3gpuE8ELNS1_3repE0EEENS1_47radix_sort_onesweep_sort_config_static_selectorELNS0_4arch9wavefront6targetE0EEEvSG_.uses_flat_scratch, 0
	.set _ZN7rocprim17ROCPRIM_400000_NS6detail17trampoline_kernelINS0_14default_configENS1_35radix_sort_onesweep_config_selectorIbNS0_10empty_typeEEEZZNS1_29radix_sort_onesweep_iterationIS3_Lb0EPKbPbPS5_SB_mNS0_19identity_decomposerENS1_16block_id_wrapperIjLb0EEEEE10hipError_tT1_PNSt15iterator_traitsISG_E10value_typeET2_T3_PNSH_ISM_E10value_typeET4_T5_PSR_SS_PNS1_23onesweep_lookback_stateEbbT6_jjT7_P12ihipStream_tbENKUlT_T0_SG_SL_E_clIS9_SA_SB_SB_EEDaSZ_S10_SG_SL_EUlSZ_E_NS1_11comp_targetILNS1_3genE4ELNS1_11target_archE910ELNS1_3gpuE8ELNS1_3repE0EEENS1_47radix_sort_onesweep_sort_config_static_selectorELNS0_4arch9wavefront6targetE0EEEvSG_.has_dyn_sized_stack, 0
	.set _ZN7rocprim17ROCPRIM_400000_NS6detail17trampoline_kernelINS0_14default_configENS1_35radix_sort_onesweep_config_selectorIbNS0_10empty_typeEEEZZNS1_29radix_sort_onesweep_iterationIS3_Lb0EPKbPbPS5_SB_mNS0_19identity_decomposerENS1_16block_id_wrapperIjLb0EEEEE10hipError_tT1_PNSt15iterator_traitsISG_E10value_typeET2_T3_PNSH_ISM_E10value_typeET4_T5_PSR_SS_PNS1_23onesweep_lookback_stateEbbT6_jjT7_P12ihipStream_tbENKUlT_T0_SG_SL_E_clIS9_SA_SB_SB_EEDaSZ_S10_SG_SL_EUlSZ_E_NS1_11comp_targetILNS1_3genE4ELNS1_11target_archE910ELNS1_3gpuE8ELNS1_3repE0EEENS1_47radix_sort_onesweep_sort_config_static_selectorELNS0_4arch9wavefront6targetE0EEEvSG_.has_recursion, 0
	.set _ZN7rocprim17ROCPRIM_400000_NS6detail17trampoline_kernelINS0_14default_configENS1_35radix_sort_onesweep_config_selectorIbNS0_10empty_typeEEEZZNS1_29radix_sort_onesweep_iterationIS3_Lb0EPKbPbPS5_SB_mNS0_19identity_decomposerENS1_16block_id_wrapperIjLb0EEEEE10hipError_tT1_PNSt15iterator_traitsISG_E10value_typeET2_T3_PNSH_ISM_E10value_typeET4_T5_PSR_SS_PNS1_23onesweep_lookback_stateEbbT6_jjT7_P12ihipStream_tbENKUlT_T0_SG_SL_E_clIS9_SA_SB_SB_EEDaSZ_S10_SG_SL_EUlSZ_E_NS1_11comp_targetILNS1_3genE4ELNS1_11target_archE910ELNS1_3gpuE8ELNS1_3repE0EEENS1_47radix_sort_onesweep_sort_config_static_selectorELNS0_4arch9wavefront6targetE0EEEvSG_.has_indirect_call, 0
	.section	.AMDGPU.csdata,"",@progbits
; Kernel info:
; codeLenInByte = 0
; TotalNumSgprs: 0
; NumVgprs: 0
; ScratchSize: 0
; MemoryBound: 0
; FloatMode: 240
; IeeeMode: 1
; LDSByteSize: 0 bytes/workgroup (compile time only)
; SGPRBlocks: 0
; VGPRBlocks: 0
; NumSGPRsForWavesPerEU: 1
; NumVGPRsForWavesPerEU: 1
; NamedBarCnt: 0
; Occupancy: 16
; WaveLimiterHint : 0
; COMPUTE_PGM_RSRC2:SCRATCH_EN: 0
; COMPUTE_PGM_RSRC2:USER_SGPR: 2
; COMPUTE_PGM_RSRC2:TRAP_HANDLER: 0
; COMPUTE_PGM_RSRC2:TGID_X_EN: 1
; COMPUTE_PGM_RSRC2:TGID_Y_EN: 0
; COMPUTE_PGM_RSRC2:TGID_Z_EN: 0
; COMPUTE_PGM_RSRC2:TIDIG_COMP_CNT: 0
	.section	.text._ZN7rocprim17ROCPRIM_400000_NS6detail17trampoline_kernelINS0_14default_configENS1_35radix_sort_onesweep_config_selectorIbNS0_10empty_typeEEEZZNS1_29radix_sort_onesweep_iterationIS3_Lb0EPKbPbPS5_SB_mNS0_19identity_decomposerENS1_16block_id_wrapperIjLb0EEEEE10hipError_tT1_PNSt15iterator_traitsISG_E10value_typeET2_T3_PNSH_ISM_E10value_typeET4_T5_PSR_SS_PNS1_23onesweep_lookback_stateEbbT6_jjT7_P12ihipStream_tbENKUlT_T0_SG_SL_E_clIS9_SA_SB_SB_EEDaSZ_S10_SG_SL_EUlSZ_E_NS1_11comp_targetILNS1_3genE3ELNS1_11target_archE908ELNS1_3gpuE7ELNS1_3repE0EEENS1_47radix_sort_onesweep_sort_config_static_selectorELNS0_4arch9wavefront6targetE0EEEvSG_,"axG",@progbits,_ZN7rocprim17ROCPRIM_400000_NS6detail17trampoline_kernelINS0_14default_configENS1_35radix_sort_onesweep_config_selectorIbNS0_10empty_typeEEEZZNS1_29radix_sort_onesweep_iterationIS3_Lb0EPKbPbPS5_SB_mNS0_19identity_decomposerENS1_16block_id_wrapperIjLb0EEEEE10hipError_tT1_PNSt15iterator_traitsISG_E10value_typeET2_T3_PNSH_ISM_E10value_typeET4_T5_PSR_SS_PNS1_23onesweep_lookback_stateEbbT6_jjT7_P12ihipStream_tbENKUlT_T0_SG_SL_E_clIS9_SA_SB_SB_EEDaSZ_S10_SG_SL_EUlSZ_E_NS1_11comp_targetILNS1_3genE3ELNS1_11target_archE908ELNS1_3gpuE7ELNS1_3repE0EEENS1_47radix_sort_onesweep_sort_config_static_selectorELNS0_4arch9wavefront6targetE0EEEvSG_,comdat
	.protected	_ZN7rocprim17ROCPRIM_400000_NS6detail17trampoline_kernelINS0_14default_configENS1_35radix_sort_onesweep_config_selectorIbNS0_10empty_typeEEEZZNS1_29radix_sort_onesweep_iterationIS3_Lb0EPKbPbPS5_SB_mNS0_19identity_decomposerENS1_16block_id_wrapperIjLb0EEEEE10hipError_tT1_PNSt15iterator_traitsISG_E10value_typeET2_T3_PNSH_ISM_E10value_typeET4_T5_PSR_SS_PNS1_23onesweep_lookback_stateEbbT6_jjT7_P12ihipStream_tbENKUlT_T0_SG_SL_E_clIS9_SA_SB_SB_EEDaSZ_S10_SG_SL_EUlSZ_E_NS1_11comp_targetILNS1_3genE3ELNS1_11target_archE908ELNS1_3gpuE7ELNS1_3repE0EEENS1_47radix_sort_onesweep_sort_config_static_selectorELNS0_4arch9wavefront6targetE0EEEvSG_ ; -- Begin function _ZN7rocprim17ROCPRIM_400000_NS6detail17trampoline_kernelINS0_14default_configENS1_35radix_sort_onesweep_config_selectorIbNS0_10empty_typeEEEZZNS1_29radix_sort_onesweep_iterationIS3_Lb0EPKbPbPS5_SB_mNS0_19identity_decomposerENS1_16block_id_wrapperIjLb0EEEEE10hipError_tT1_PNSt15iterator_traitsISG_E10value_typeET2_T3_PNSH_ISM_E10value_typeET4_T5_PSR_SS_PNS1_23onesweep_lookback_stateEbbT6_jjT7_P12ihipStream_tbENKUlT_T0_SG_SL_E_clIS9_SA_SB_SB_EEDaSZ_S10_SG_SL_EUlSZ_E_NS1_11comp_targetILNS1_3genE3ELNS1_11target_archE908ELNS1_3gpuE7ELNS1_3repE0EEENS1_47radix_sort_onesweep_sort_config_static_selectorELNS0_4arch9wavefront6targetE0EEEvSG_
	.globl	_ZN7rocprim17ROCPRIM_400000_NS6detail17trampoline_kernelINS0_14default_configENS1_35radix_sort_onesweep_config_selectorIbNS0_10empty_typeEEEZZNS1_29radix_sort_onesweep_iterationIS3_Lb0EPKbPbPS5_SB_mNS0_19identity_decomposerENS1_16block_id_wrapperIjLb0EEEEE10hipError_tT1_PNSt15iterator_traitsISG_E10value_typeET2_T3_PNSH_ISM_E10value_typeET4_T5_PSR_SS_PNS1_23onesweep_lookback_stateEbbT6_jjT7_P12ihipStream_tbENKUlT_T0_SG_SL_E_clIS9_SA_SB_SB_EEDaSZ_S10_SG_SL_EUlSZ_E_NS1_11comp_targetILNS1_3genE3ELNS1_11target_archE908ELNS1_3gpuE7ELNS1_3repE0EEENS1_47radix_sort_onesweep_sort_config_static_selectorELNS0_4arch9wavefront6targetE0EEEvSG_
	.p2align	8
	.type	_ZN7rocprim17ROCPRIM_400000_NS6detail17trampoline_kernelINS0_14default_configENS1_35radix_sort_onesweep_config_selectorIbNS0_10empty_typeEEEZZNS1_29radix_sort_onesweep_iterationIS3_Lb0EPKbPbPS5_SB_mNS0_19identity_decomposerENS1_16block_id_wrapperIjLb0EEEEE10hipError_tT1_PNSt15iterator_traitsISG_E10value_typeET2_T3_PNSH_ISM_E10value_typeET4_T5_PSR_SS_PNS1_23onesweep_lookback_stateEbbT6_jjT7_P12ihipStream_tbENKUlT_T0_SG_SL_E_clIS9_SA_SB_SB_EEDaSZ_S10_SG_SL_EUlSZ_E_NS1_11comp_targetILNS1_3genE3ELNS1_11target_archE908ELNS1_3gpuE7ELNS1_3repE0EEENS1_47radix_sort_onesweep_sort_config_static_selectorELNS0_4arch9wavefront6targetE0EEEvSG_,@function
_ZN7rocprim17ROCPRIM_400000_NS6detail17trampoline_kernelINS0_14default_configENS1_35radix_sort_onesweep_config_selectorIbNS0_10empty_typeEEEZZNS1_29radix_sort_onesweep_iterationIS3_Lb0EPKbPbPS5_SB_mNS0_19identity_decomposerENS1_16block_id_wrapperIjLb0EEEEE10hipError_tT1_PNSt15iterator_traitsISG_E10value_typeET2_T3_PNSH_ISM_E10value_typeET4_T5_PSR_SS_PNS1_23onesweep_lookback_stateEbbT6_jjT7_P12ihipStream_tbENKUlT_T0_SG_SL_E_clIS9_SA_SB_SB_EEDaSZ_S10_SG_SL_EUlSZ_E_NS1_11comp_targetILNS1_3genE3ELNS1_11target_archE908ELNS1_3gpuE7ELNS1_3repE0EEENS1_47radix_sort_onesweep_sort_config_static_selectorELNS0_4arch9wavefront6targetE0EEEvSG_: ; @_ZN7rocprim17ROCPRIM_400000_NS6detail17trampoline_kernelINS0_14default_configENS1_35radix_sort_onesweep_config_selectorIbNS0_10empty_typeEEEZZNS1_29radix_sort_onesweep_iterationIS3_Lb0EPKbPbPS5_SB_mNS0_19identity_decomposerENS1_16block_id_wrapperIjLb0EEEEE10hipError_tT1_PNSt15iterator_traitsISG_E10value_typeET2_T3_PNSH_ISM_E10value_typeET4_T5_PSR_SS_PNS1_23onesweep_lookback_stateEbbT6_jjT7_P12ihipStream_tbENKUlT_T0_SG_SL_E_clIS9_SA_SB_SB_EEDaSZ_S10_SG_SL_EUlSZ_E_NS1_11comp_targetILNS1_3genE3ELNS1_11target_archE908ELNS1_3gpuE7ELNS1_3repE0EEENS1_47radix_sort_onesweep_sort_config_static_selectorELNS0_4arch9wavefront6targetE0EEEvSG_
; %bb.0:
	.section	.rodata,"a",@progbits
	.p2align	6, 0x0
	.amdhsa_kernel _ZN7rocprim17ROCPRIM_400000_NS6detail17trampoline_kernelINS0_14default_configENS1_35radix_sort_onesweep_config_selectorIbNS0_10empty_typeEEEZZNS1_29radix_sort_onesweep_iterationIS3_Lb0EPKbPbPS5_SB_mNS0_19identity_decomposerENS1_16block_id_wrapperIjLb0EEEEE10hipError_tT1_PNSt15iterator_traitsISG_E10value_typeET2_T3_PNSH_ISM_E10value_typeET4_T5_PSR_SS_PNS1_23onesweep_lookback_stateEbbT6_jjT7_P12ihipStream_tbENKUlT_T0_SG_SL_E_clIS9_SA_SB_SB_EEDaSZ_S10_SG_SL_EUlSZ_E_NS1_11comp_targetILNS1_3genE3ELNS1_11target_archE908ELNS1_3gpuE7ELNS1_3repE0EEENS1_47radix_sort_onesweep_sort_config_static_selectorELNS0_4arch9wavefront6targetE0EEEvSG_
		.amdhsa_group_segment_fixed_size 0
		.amdhsa_private_segment_fixed_size 0
		.amdhsa_kernarg_size 88
		.amdhsa_user_sgpr_count 2
		.amdhsa_user_sgpr_dispatch_ptr 0
		.amdhsa_user_sgpr_queue_ptr 0
		.amdhsa_user_sgpr_kernarg_segment_ptr 1
		.amdhsa_user_sgpr_dispatch_id 0
		.amdhsa_user_sgpr_kernarg_preload_length 0
		.amdhsa_user_sgpr_kernarg_preload_offset 0
		.amdhsa_user_sgpr_private_segment_size 0
		.amdhsa_wavefront_size32 1
		.amdhsa_uses_dynamic_stack 0
		.amdhsa_enable_private_segment 0
		.amdhsa_system_sgpr_workgroup_id_x 1
		.amdhsa_system_sgpr_workgroup_id_y 0
		.amdhsa_system_sgpr_workgroup_id_z 0
		.amdhsa_system_sgpr_workgroup_info 0
		.amdhsa_system_vgpr_workitem_id 0
		.amdhsa_next_free_vgpr 1
		.amdhsa_next_free_sgpr 1
		.amdhsa_named_barrier_count 0
		.amdhsa_reserve_vcc 0
		.amdhsa_float_round_mode_32 0
		.amdhsa_float_round_mode_16_64 0
		.amdhsa_float_denorm_mode_32 3
		.amdhsa_float_denorm_mode_16_64 3
		.amdhsa_fp16_overflow 0
		.amdhsa_memory_ordered 1
		.amdhsa_forward_progress 1
		.amdhsa_inst_pref_size 0
		.amdhsa_round_robin_scheduling 0
		.amdhsa_exception_fp_ieee_invalid_op 0
		.amdhsa_exception_fp_denorm_src 0
		.amdhsa_exception_fp_ieee_div_zero 0
		.amdhsa_exception_fp_ieee_overflow 0
		.amdhsa_exception_fp_ieee_underflow 0
		.amdhsa_exception_fp_ieee_inexact 0
		.amdhsa_exception_int_div_zero 0
	.end_amdhsa_kernel
	.section	.text._ZN7rocprim17ROCPRIM_400000_NS6detail17trampoline_kernelINS0_14default_configENS1_35radix_sort_onesweep_config_selectorIbNS0_10empty_typeEEEZZNS1_29radix_sort_onesweep_iterationIS3_Lb0EPKbPbPS5_SB_mNS0_19identity_decomposerENS1_16block_id_wrapperIjLb0EEEEE10hipError_tT1_PNSt15iterator_traitsISG_E10value_typeET2_T3_PNSH_ISM_E10value_typeET4_T5_PSR_SS_PNS1_23onesweep_lookback_stateEbbT6_jjT7_P12ihipStream_tbENKUlT_T0_SG_SL_E_clIS9_SA_SB_SB_EEDaSZ_S10_SG_SL_EUlSZ_E_NS1_11comp_targetILNS1_3genE3ELNS1_11target_archE908ELNS1_3gpuE7ELNS1_3repE0EEENS1_47radix_sort_onesweep_sort_config_static_selectorELNS0_4arch9wavefront6targetE0EEEvSG_,"axG",@progbits,_ZN7rocprim17ROCPRIM_400000_NS6detail17trampoline_kernelINS0_14default_configENS1_35radix_sort_onesweep_config_selectorIbNS0_10empty_typeEEEZZNS1_29radix_sort_onesweep_iterationIS3_Lb0EPKbPbPS5_SB_mNS0_19identity_decomposerENS1_16block_id_wrapperIjLb0EEEEE10hipError_tT1_PNSt15iterator_traitsISG_E10value_typeET2_T3_PNSH_ISM_E10value_typeET4_T5_PSR_SS_PNS1_23onesweep_lookback_stateEbbT6_jjT7_P12ihipStream_tbENKUlT_T0_SG_SL_E_clIS9_SA_SB_SB_EEDaSZ_S10_SG_SL_EUlSZ_E_NS1_11comp_targetILNS1_3genE3ELNS1_11target_archE908ELNS1_3gpuE7ELNS1_3repE0EEENS1_47radix_sort_onesweep_sort_config_static_selectorELNS0_4arch9wavefront6targetE0EEEvSG_,comdat
.Lfunc_end1875:
	.size	_ZN7rocprim17ROCPRIM_400000_NS6detail17trampoline_kernelINS0_14default_configENS1_35radix_sort_onesweep_config_selectorIbNS0_10empty_typeEEEZZNS1_29radix_sort_onesweep_iterationIS3_Lb0EPKbPbPS5_SB_mNS0_19identity_decomposerENS1_16block_id_wrapperIjLb0EEEEE10hipError_tT1_PNSt15iterator_traitsISG_E10value_typeET2_T3_PNSH_ISM_E10value_typeET4_T5_PSR_SS_PNS1_23onesweep_lookback_stateEbbT6_jjT7_P12ihipStream_tbENKUlT_T0_SG_SL_E_clIS9_SA_SB_SB_EEDaSZ_S10_SG_SL_EUlSZ_E_NS1_11comp_targetILNS1_3genE3ELNS1_11target_archE908ELNS1_3gpuE7ELNS1_3repE0EEENS1_47radix_sort_onesweep_sort_config_static_selectorELNS0_4arch9wavefront6targetE0EEEvSG_, .Lfunc_end1875-_ZN7rocprim17ROCPRIM_400000_NS6detail17trampoline_kernelINS0_14default_configENS1_35radix_sort_onesweep_config_selectorIbNS0_10empty_typeEEEZZNS1_29radix_sort_onesweep_iterationIS3_Lb0EPKbPbPS5_SB_mNS0_19identity_decomposerENS1_16block_id_wrapperIjLb0EEEEE10hipError_tT1_PNSt15iterator_traitsISG_E10value_typeET2_T3_PNSH_ISM_E10value_typeET4_T5_PSR_SS_PNS1_23onesweep_lookback_stateEbbT6_jjT7_P12ihipStream_tbENKUlT_T0_SG_SL_E_clIS9_SA_SB_SB_EEDaSZ_S10_SG_SL_EUlSZ_E_NS1_11comp_targetILNS1_3genE3ELNS1_11target_archE908ELNS1_3gpuE7ELNS1_3repE0EEENS1_47radix_sort_onesweep_sort_config_static_selectorELNS0_4arch9wavefront6targetE0EEEvSG_
                                        ; -- End function
	.set _ZN7rocprim17ROCPRIM_400000_NS6detail17trampoline_kernelINS0_14default_configENS1_35radix_sort_onesweep_config_selectorIbNS0_10empty_typeEEEZZNS1_29radix_sort_onesweep_iterationIS3_Lb0EPKbPbPS5_SB_mNS0_19identity_decomposerENS1_16block_id_wrapperIjLb0EEEEE10hipError_tT1_PNSt15iterator_traitsISG_E10value_typeET2_T3_PNSH_ISM_E10value_typeET4_T5_PSR_SS_PNS1_23onesweep_lookback_stateEbbT6_jjT7_P12ihipStream_tbENKUlT_T0_SG_SL_E_clIS9_SA_SB_SB_EEDaSZ_S10_SG_SL_EUlSZ_E_NS1_11comp_targetILNS1_3genE3ELNS1_11target_archE908ELNS1_3gpuE7ELNS1_3repE0EEENS1_47radix_sort_onesweep_sort_config_static_selectorELNS0_4arch9wavefront6targetE0EEEvSG_.num_vgpr, 0
	.set _ZN7rocprim17ROCPRIM_400000_NS6detail17trampoline_kernelINS0_14default_configENS1_35radix_sort_onesweep_config_selectorIbNS0_10empty_typeEEEZZNS1_29radix_sort_onesweep_iterationIS3_Lb0EPKbPbPS5_SB_mNS0_19identity_decomposerENS1_16block_id_wrapperIjLb0EEEEE10hipError_tT1_PNSt15iterator_traitsISG_E10value_typeET2_T3_PNSH_ISM_E10value_typeET4_T5_PSR_SS_PNS1_23onesweep_lookback_stateEbbT6_jjT7_P12ihipStream_tbENKUlT_T0_SG_SL_E_clIS9_SA_SB_SB_EEDaSZ_S10_SG_SL_EUlSZ_E_NS1_11comp_targetILNS1_3genE3ELNS1_11target_archE908ELNS1_3gpuE7ELNS1_3repE0EEENS1_47radix_sort_onesweep_sort_config_static_selectorELNS0_4arch9wavefront6targetE0EEEvSG_.num_agpr, 0
	.set _ZN7rocprim17ROCPRIM_400000_NS6detail17trampoline_kernelINS0_14default_configENS1_35radix_sort_onesweep_config_selectorIbNS0_10empty_typeEEEZZNS1_29radix_sort_onesweep_iterationIS3_Lb0EPKbPbPS5_SB_mNS0_19identity_decomposerENS1_16block_id_wrapperIjLb0EEEEE10hipError_tT1_PNSt15iterator_traitsISG_E10value_typeET2_T3_PNSH_ISM_E10value_typeET4_T5_PSR_SS_PNS1_23onesweep_lookback_stateEbbT6_jjT7_P12ihipStream_tbENKUlT_T0_SG_SL_E_clIS9_SA_SB_SB_EEDaSZ_S10_SG_SL_EUlSZ_E_NS1_11comp_targetILNS1_3genE3ELNS1_11target_archE908ELNS1_3gpuE7ELNS1_3repE0EEENS1_47radix_sort_onesweep_sort_config_static_selectorELNS0_4arch9wavefront6targetE0EEEvSG_.numbered_sgpr, 0
	.set _ZN7rocprim17ROCPRIM_400000_NS6detail17trampoline_kernelINS0_14default_configENS1_35radix_sort_onesweep_config_selectorIbNS0_10empty_typeEEEZZNS1_29radix_sort_onesweep_iterationIS3_Lb0EPKbPbPS5_SB_mNS0_19identity_decomposerENS1_16block_id_wrapperIjLb0EEEEE10hipError_tT1_PNSt15iterator_traitsISG_E10value_typeET2_T3_PNSH_ISM_E10value_typeET4_T5_PSR_SS_PNS1_23onesweep_lookback_stateEbbT6_jjT7_P12ihipStream_tbENKUlT_T0_SG_SL_E_clIS9_SA_SB_SB_EEDaSZ_S10_SG_SL_EUlSZ_E_NS1_11comp_targetILNS1_3genE3ELNS1_11target_archE908ELNS1_3gpuE7ELNS1_3repE0EEENS1_47radix_sort_onesweep_sort_config_static_selectorELNS0_4arch9wavefront6targetE0EEEvSG_.num_named_barrier, 0
	.set _ZN7rocprim17ROCPRIM_400000_NS6detail17trampoline_kernelINS0_14default_configENS1_35radix_sort_onesweep_config_selectorIbNS0_10empty_typeEEEZZNS1_29radix_sort_onesweep_iterationIS3_Lb0EPKbPbPS5_SB_mNS0_19identity_decomposerENS1_16block_id_wrapperIjLb0EEEEE10hipError_tT1_PNSt15iterator_traitsISG_E10value_typeET2_T3_PNSH_ISM_E10value_typeET4_T5_PSR_SS_PNS1_23onesweep_lookback_stateEbbT6_jjT7_P12ihipStream_tbENKUlT_T0_SG_SL_E_clIS9_SA_SB_SB_EEDaSZ_S10_SG_SL_EUlSZ_E_NS1_11comp_targetILNS1_3genE3ELNS1_11target_archE908ELNS1_3gpuE7ELNS1_3repE0EEENS1_47radix_sort_onesweep_sort_config_static_selectorELNS0_4arch9wavefront6targetE0EEEvSG_.private_seg_size, 0
	.set _ZN7rocprim17ROCPRIM_400000_NS6detail17trampoline_kernelINS0_14default_configENS1_35radix_sort_onesweep_config_selectorIbNS0_10empty_typeEEEZZNS1_29radix_sort_onesweep_iterationIS3_Lb0EPKbPbPS5_SB_mNS0_19identity_decomposerENS1_16block_id_wrapperIjLb0EEEEE10hipError_tT1_PNSt15iterator_traitsISG_E10value_typeET2_T3_PNSH_ISM_E10value_typeET4_T5_PSR_SS_PNS1_23onesweep_lookback_stateEbbT6_jjT7_P12ihipStream_tbENKUlT_T0_SG_SL_E_clIS9_SA_SB_SB_EEDaSZ_S10_SG_SL_EUlSZ_E_NS1_11comp_targetILNS1_3genE3ELNS1_11target_archE908ELNS1_3gpuE7ELNS1_3repE0EEENS1_47radix_sort_onesweep_sort_config_static_selectorELNS0_4arch9wavefront6targetE0EEEvSG_.uses_vcc, 0
	.set _ZN7rocprim17ROCPRIM_400000_NS6detail17trampoline_kernelINS0_14default_configENS1_35radix_sort_onesweep_config_selectorIbNS0_10empty_typeEEEZZNS1_29radix_sort_onesweep_iterationIS3_Lb0EPKbPbPS5_SB_mNS0_19identity_decomposerENS1_16block_id_wrapperIjLb0EEEEE10hipError_tT1_PNSt15iterator_traitsISG_E10value_typeET2_T3_PNSH_ISM_E10value_typeET4_T5_PSR_SS_PNS1_23onesweep_lookback_stateEbbT6_jjT7_P12ihipStream_tbENKUlT_T0_SG_SL_E_clIS9_SA_SB_SB_EEDaSZ_S10_SG_SL_EUlSZ_E_NS1_11comp_targetILNS1_3genE3ELNS1_11target_archE908ELNS1_3gpuE7ELNS1_3repE0EEENS1_47radix_sort_onesweep_sort_config_static_selectorELNS0_4arch9wavefront6targetE0EEEvSG_.uses_flat_scratch, 0
	.set _ZN7rocprim17ROCPRIM_400000_NS6detail17trampoline_kernelINS0_14default_configENS1_35radix_sort_onesweep_config_selectorIbNS0_10empty_typeEEEZZNS1_29radix_sort_onesweep_iterationIS3_Lb0EPKbPbPS5_SB_mNS0_19identity_decomposerENS1_16block_id_wrapperIjLb0EEEEE10hipError_tT1_PNSt15iterator_traitsISG_E10value_typeET2_T3_PNSH_ISM_E10value_typeET4_T5_PSR_SS_PNS1_23onesweep_lookback_stateEbbT6_jjT7_P12ihipStream_tbENKUlT_T0_SG_SL_E_clIS9_SA_SB_SB_EEDaSZ_S10_SG_SL_EUlSZ_E_NS1_11comp_targetILNS1_3genE3ELNS1_11target_archE908ELNS1_3gpuE7ELNS1_3repE0EEENS1_47radix_sort_onesweep_sort_config_static_selectorELNS0_4arch9wavefront6targetE0EEEvSG_.has_dyn_sized_stack, 0
	.set _ZN7rocprim17ROCPRIM_400000_NS6detail17trampoline_kernelINS0_14default_configENS1_35radix_sort_onesweep_config_selectorIbNS0_10empty_typeEEEZZNS1_29radix_sort_onesweep_iterationIS3_Lb0EPKbPbPS5_SB_mNS0_19identity_decomposerENS1_16block_id_wrapperIjLb0EEEEE10hipError_tT1_PNSt15iterator_traitsISG_E10value_typeET2_T3_PNSH_ISM_E10value_typeET4_T5_PSR_SS_PNS1_23onesweep_lookback_stateEbbT6_jjT7_P12ihipStream_tbENKUlT_T0_SG_SL_E_clIS9_SA_SB_SB_EEDaSZ_S10_SG_SL_EUlSZ_E_NS1_11comp_targetILNS1_3genE3ELNS1_11target_archE908ELNS1_3gpuE7ELNS1_3repE0EEENS1_47radix_sort_onesweep_sort_config_static_selectorELNS0_4arch9wavefront6targetE0EEEvSG_.has_recursion, 0
	.set _ZN7rocprim17ROCPRIM_400000_NS6detail17trampoline_kernelINS0_14default_configENS1_35radix_sort_onesweep_config_selectorIbNS0_10empty_typeEEEZZNS1_29radix_sort_onesweep_iterationIS3_Lb0EPKbPbPS5_SB_mNS0_19identity_decomposerENS1_16block_id_wrapperIjLb0EEEEE10hipError_tT1_PNSt15iterator_traitsISG_E10value_typeET2_T3_PNSH_ISM_E10value_typeET4_T5_PSR_SS_PNS1_23onesweep_lookback_stateEbbT6_jjT7_P12ihipStream_tbENKUlT_T0_SG_SL_E_clIS9_SA_SB_SB_EEDaSZ_S10_SG_SL_EUlSZ_E_NS1_11comp_targetILNS1_3genE3ELNS1_11target_archE908ELNS1_3gpuE7ELNS1_3repE0EEENS1_47radix_sort_onesweep_sort_config_static_selectorELNS0_4arch9wavefront6targetE0EEEvSG_.has_indirect_call, 0
	.section	.AMDGPU.csdata,"",@progbits
; Kernel info:
; codeLenInByte = 0
; TotalNumSgprs: 0
; NumVgprs: 0
; ScratchSize: 0
; MemoryBound: 0
; FloatMode: 240
; IeeeMode: 1
; LDSByteSize: 0 bytes/workgroup (compile time only)
; SGPRBlocks: 0
; VGPRBlocks: 0
; NumSGPRsForWavesPerEU: 1
; NumVGPRsForWavesPerEU: 1
; NamedBarCnt: 0
; Occupancy: 16
; WaveLimiterHint : 0
; COMPUTE_PGM_RSRC2:SCRATCH_EN: 0
; COMPUTE_PGM_RSRC2:USER_SGPR: 2
; COMPUTE_PGM_RSRC2:TRAP_HANDLER: 0
; COMPUTE_PGM_RSRC2:TGID_X_EN: 1
; COMPUTE_PGM_RSRC2:TGID_Y_EN: 0
; COMPUTE_PGM_RSRC2:TGID_Z_EN: 0
; COMPUTE_PGM_RSRC2:TIDIG_COMP_CNT: 0
	.section	.text._ZN7rocprim17ROCPRIM_400000_NS6detail17trampoline_kernelINS0_14default_configENS1_35radix_sort_onesweep_config_selectorIbNS0_10empty_typeEEEZZNS1_29radix_sort_onesweep_iterationIS3_Lb0EPKbPbPS5_SB_mNS0_19identity_decomposerENS1_16block_id_wrapperIjLb0EEEEE10hipError_tT1_PNSt15iterator_traitsISG_E10value_typeET2_T3_PNSH_ISM_E10value_typeET4_T5_PSR_SS_PNS1_23onesweep_lookback_stateEbbT6_jjT7_P12ihipStream_tbENKUlT_T0_SG_SL_E_clIS9_SA_SB_SB_EEDaSZ_S10_SG_SL_EUlSZ_E_NS1_11comp_targetILNS1_3genE10ELNS1_11target_archE1201ELNS1_3gpuE5ELNS1_3repE0EEENS1_47radix_sort_onesweep_sort_config_static_selectorELNS0_4arch9wavefront6targetE0EEEvSG_,"axG",@progbits,_ZN7rocprim17ROCPRIM_400000_NS6detail17trampoline_kernelINS0_14default_configENS1_35radix_sort_onesweep_config_selectorIbNS0_10empty_typeEEEZZNS1_29radix_sort_onesweep_iterationIS3_Lb0EPKbPbPS5_SB_mNS0_19identity_decomposerENS1_16block_id_wrapperIjLb0EEEEE10hipError_tT1_PNSt15iterator_traitsISG_E10value_typeET2_T3_PNSH_ISM_E10value_typeET4_T5_PSR_SS_PNS1_23onesweep_lookback_stateEbbT6_jjT7_P12ihipStream_tbENKUlT_T0_SG_SL_E_clIS9_SA_SB_SB_EEDaSZ_S10_SG_SL_EUlSZ_E_NS1_11comp_targetILNS1_3genE10ELNS1_11target_archE1201ELNS1_3gpuE5ELNS1_3repE0EEENS1_47radix_sort_onesweep_sort_config_static_selectorELNS0_4arch9wavefront6targetE0EEEvSG_,comdat
	.protected	_ZN7rocprim17ROCPRIM_400000_NS6detail17trampoline_kernelINS0_14default_configENS1_35radix_sort_onesweep_config_selectorIbNS0_10empty_typeEEEZZNS1_29radix_sort_onesweep_iterationIS3_Lb0EPKbPbPS5_SB_mNS0_19identity_decomposerENS1_16block_id_wrapperIjLb0EEEEE10hipError_tT1_PNSt15iterator_traitsISG_E10value_typeET2_T3_PNSH_ISM_E10value_typeET4_T5_PSR_SS_PNS1_23onesweep_lookback_stateEbbT6_jjT7_P12ihipStream_tbENKUlT_T0_SG_SL_E_clIS9_SA_SB_SB_EEDaSZ_S10_SG_SL_EUlSZ_E_NS1_11comp_targetILNS1_3genE10ELNS1_11target_archE1201ELNS1_3gpuE5ELNS1_3repE0EEENS1_47radix_sort_onesweep_sort_config_static_selectorELNS0_4arch9wavefront6targetE0EEEvSG_ ; -- Begin function _ZN7rocprim17ROCPRIM_400000_NS6detail17trampoline_kernelINS0_14default_configENS1_35radix_sort_onesweep_config_selectorIbNS0_10empty_typeEEEZZNS1_29radix_sort_onesweep_iterationIS3_Lb0EPKbPbPS5_SB_mNS0_19identity_decomposerENS1_16block_id_wrapperIjLb0EEEEE10hipError_tT1_PNSt15iterator_traitsISG_E10value_typeET2_T3_PNSH_ISM_E10value_typeET4_T5_PSR_SS_PNS1_23onesweep_lookback_stateEbbT6_jjT7_P12ihipStream_tbENKUlT_T0_SG_SL_E_clIS9_SA_SB_SB_EEDaSZ_S10_SG_SL_EUlSZ_E_NS1_11comp_targetILNS1_3genE10ELNS1_11target_archE1201ELNS1_3gpuE5ELNS1_3repE0EEENS1_47radix_sort_onesweep_sort_config_static_selectorELNS0_4arch9wavefront6targetE0EEEvSG_
	.globl	_ZN7rocprim17ROCPRIM_400000_NS6detail17trampoline_kernelINS0_14default_configENS1_35radix_sort_onesweep_config_selectorIbNS0_10empty_typeEEEZZNS1_29radix_sort_onesweep_iterationIS3_Lb0EPKbPbPS5_SB_mNS0_19identity_decomposerENS1_16block_id_wrapperIjLb0EEEEE10hipError_tT1_PNSt15iterator_traitsISG_E10value_typeET2_T3_PNSH_ISM_E10value_typeET4_T5_PSR_SS_PNS1_23onesweep_lookback_stateEbbT6_jjT7_P12ihipStream_tbENKUlT_T0_SG_SL_E_clIS9_SA_SB_SB_EEDaSZ_S10_SG_SL_EUlSZ_E_NS1_11comp_targetILNS1_3genE10ELNS1_11target_archE1201ELNS1_3gpuE5ELNS1_3repE0EEENS1_47radix_sort_onesweep_sort_config_static_selectorELNS0_4arch9wavefront6targetE0EEEvSG_
	.p2align	8
	.type	_ZN7rocprim17ROCPRIM_400000_NS6detail17trampoline_kernelINS0_14default_configENS1_35radix_sort_onesweep_config_selectorIbNS0_10empty_typeEEEZZNS1_29radix_sort_onesweep_iterationIS3_Lb0EPKbPbPS5_SB_mNS0_19identity_decomposerENS1_16block_id_wrapperIjLb0EEEEE10hipError_tT1_PNSt15iterator_traitsISG_E10value_typeET2_T3_PNSH_ISM_E10value_typeET4_T5_PSR_SS_PNS1_23onesweep_lookback_stateEbbT6_jjT7_P12ihipStream_tbENKUlT_T0_SG_SL_E_clIS9_SA_SB_SB_EEDaSZ_S10_SG_SL_EUlSZ_E_NS1_11comp_targetILNS1_3genE10ELNS1_11target_archE1201ELNS1_3gpuE5ELNS1_3repE0EEENS1_47radix_sort_onesweep_sort_config_static_selectorELNS0_4arch9wavefront6targetE0EEEvSG_,@function
_ZN7rocprim17ROCPRIM_400000_NS6detail17trampoline_kernelINS0_14default_configENS1_35radix_sort_onesweep_config_selectorIbNS0_10empty_typeEEEZZNS1_29radix_sort_onesweep_iterationIS3_Lb0EPKbPbPS5_SB_mNS0_19identity_decomposerENS1_16block_id_wrapperIjLb0EEEEE10hipError_tT1_PNSt15iterator_traitsISG_E10value_typeET2_T3_PNSH_ISM_E10value_typeET4_T5_PSR_SS_PNS1_23onesweep_lookback_stateEbbT6_jjT7_P12ihipStream_tbENKUlT_T0_SG_SL_E_clIS9_SA_SB_SB_EEDaSZ_S10_SG_SL_EUlSZ_E_NS1_11comp_targetILNS1_3genE10ELNS1_11target_archE1201ELNS1_3gpuE5ELNS1_3repE0EEENS1_47radix_sort_onesweep_sort_config_static_selectorELNS0_4arch9wavefront6targetE0EEEvSG_: ; @_ZN7rocprim17ROCPRIM_400000_NS6detail17trampoline_kernelINS0_14default_configENS1_35radix_sort_onesweep_config_selectorIbNS0_10empty_typeEEEZZNS1_29radix_sort_onesweep_iterationIS3_Lb0EPKbPbPS5_SB_mNS0_19identity_decomposerENS1_16block_id_wrapperIjLb0EEEEE10hipError_tT1_PNSt15iterator_traitsISG_E10value_typeET2_T3_PNSH_ISM_E10value_typeET4_T5_PSR_SS_PNS1_23onesweep_lookback_stateEbbT6_jjT7_P12ihipStream_tbENKUlT_T0_SG_SL_E_clIS9_SA_SB_SB_EEDaSZ_S10_SG_SL_EUlSZ_E_NS1_11comp_targetILNS1_3genE10ELNS1_11target_archE1201ELNS1_3gpuE5ELNS1_3repE0EEENS1_47radix_sort_onesweep_sort_config_static_selectorELNS0_4arch9wavefront6targetE0EEEvSG_
; %bb.0:
	.section	.rodata,"a",@progbits
	.p2align	6, 0x0
	.amdhsa_kernel _ZN7rocprim17ROCPRIM_400000_NS6detail17trampoline_kernelINS0_14default_configENS1_35radix_sort_onesweep_config_selectorIbNS0_10empty_typeEEEZZNS1_29radix_sort_onesweep_iterationIS3_Lb0EPKbPbPS5_SB_mNS0_19identity_decomposerENS1_16block_id_wrapperIjLb0EEEEE10hipError_tT1_PNSt15iterator_traitsISG_E10value_typeET2_T3_PNSH_ISM_E10value_typeET4_T5_PSR_SS_PNS1_23onesweep_lookback_stateEbbT6_jjT7_P12ihipStream_tbENKUlT_T0_SG_SL_E_clIS9_SA_SB_SB_EEDaSZ_S10_SG_SL_EUlSZ_E_NS1_11comp_targetILNS1_3genE10ELNS1_11target_archE1201ELNS1_3gpuE5ELNS1_3repE0EEENS1_47radix_sort_onesweep_sort_config_static_selectorELNS0_4arch9wavefront6targetE0EEEvSG_
		.amdhsa_group_segment_fixed_size 0
		.amdhsa_private_segment_fixed_size 0
		.amdhsa_kernarg_size 88
		.amdhsa_user_sgpr_count 2
		.amdhsa_user_sgpr_dispatch_ptr 0
		.amdhsa_user_sgpr_queue_ptr 0
		.amdhsa_user_sgpr_kernarg_segment_ptr 1
		.amdhsa_user_sgpr_dispatch_id 0
		.amdhsa_user_sgpr_kernarg_preload_length 0
		.amdhsa_user_sgpr_kernarg_preload_offset 0
		.amdhsa_user_sgpr_private_segment_size 0
		.amdhsa_wavefront_size32 1
		.amdhsa_uses_dynamic_stack 0
		.amdhsa_enable_private_segment 0
		.amdhsa_system_sgpr_workgroup_id_x 1
		.amdhsa_system_sgpr_workgroup_id_y 0
		.amdhsa_system_sgpr_workgroup_id_z 0
		.amdhsa_system_sgpr_workgroup_info 0
		.amdhsa_system_vgpr_workitem_id 0
		.amdhsa_next_free_vgpr 1
		.amdhsa_next_free_sgpr 1
		.amdhsa_named_barrier_count 0
		.amdhsa_reserve_vcc 0
		.amdhsa_float_round_mode_32 0
		.amdhsa_float_round_mode_16_64 0
		.amdhsa_float_denorm_mode_32 3
		.amdhsa_float_denorm_mode_16_64 3
		.amdhsa_fp16_overflow 0
		.amdhsa_memory_ordered 1
		.amdhsa_forward_progress 1
		.amdhsa_inst_pref_size 0
		.amdhsa_round_robin_scheduling 0
		.amdhsa_exception_fp_ieee_invalid_op 0
		.amdhsa_exception_fp_denorm_src 0
		.amdhsa_exception_fp_ieee_div_zero 0
		.amdhsa_exception_fp_ieee_overflow 0
		.amdhsa_exception_fp_ieee_underflow 0
		.amdhsa_exception_fp_ieee_inexact 0
		.amdhsa_exception_int_div_zero 0
	.end_amdhsa_kernel
	.section	.text._ZN7rocprim17ROCPRIM_400000_NS6detail17trampoline_kernelINS0_14default_configENS1_35radix_sort_onesweep_config_selectorIbNS0_10empty_typeEEEZZNS1_29radix_sort_onesweep_iterationIS3_Lb0EPKbPbPS5_SB_mNS0_19identity_decomposerENS1_16block_id_wrapperIjLb0EEEEE10hipError_tT1_PNSt15iterator_traitsISG_E10value_typeET2_T3_PNSH_ISM_E10value_typeET4_T5_PSR_SS_PNS1_23onesweep_lookback_stateEbbT6_jjT7_P12ihipStream_tbENKUlT_T0_SG_SL_E_clIS9_SA_SB_SB_EEDaSZ_S10_SG_SL_EUlSZ_E_NS1_11comp_targetILNS1_3genE10ELNS1_11target_archE1201ELNS1_3gpuE5ELNS1_3repE0EEENS1_47radix_sort_onesweep_sort_config_static_selectorELNS0_4arch9wavefront6targetE0EEEvSG_,"axG",@progbits,_ZN7rocprim17ROCPRIM_400000_NS6detail17trampoline_kernelINS0_14default_configENS1_35radix_sort_onesweep_config_selectorIbNS0_10empty_typeEEEZZNS1_29radix_sort_onesweep_iterationIS3_Lb0EPKbPbPS5_SB_mNS0_19identity_decomposerENS1_16block_id_wrapperIjLb0EEEEE10hipError_tT1_PNSt15iterator_traitsISG_E10value_typeET2_T3_PNSH_ISM_E10value_typeET4_T5_PSR_SS_PNS1_23onesweep_lookback_stateEbbT6_jjT7_P12ihipStream_tbENKUlT_T0_SG_SL_E_clIS9_SA_SB_SB_EEDaSZ_S10_SG_SL_EUlSZ_E_NS1_11comp_targetILNS1_3genE10ELNS1_11target_archE1201ELNS1_3gpuE5ELNS1_3repE0EEENS1_47radix_sort_onesweep_sort_config_static_selectorELNS0_4arch9wavefront6targetE0EEEvSG_,comdat
.Lfunc_end1876:
	.size	_ZN7rocprim17ROCPRIM_400000_NS6detail17trampoline_kernelINS0_14default_configENS1_35radix_sort_onesweep_config_selectorIbNS0_10empty_typeEEEZZNS1_29radix_sort_onesweep_iterationIS3_Lb0EPKbPbPS5_SB_mNS0_19identity_decomposerENS1_16block_id_wrapperIjLb0EEEEE10hipError_tT1_PNSt15iterator_traitsISG_E10value_typeET2_T3_PNSH_ISM_E10value_typeET4_T5_PSR_SS_PNS1_23onesweep_lookback_stateEbbT6_jjT7_P12ihipStream_tbENKUlT_T0_SG_SL_E_clIS9_SA_SB_SB_EEDaSZ_S10_SG_SL_EUlSZ_E_NS1_11comp_targetILNS1_3genE10ELNS1_11target_archE1201ELNS1_3gpuE5ELNS1_3repE0EEENS1_47radix_sort_onesweep_sort_config_static_selectorELNS0_4arch9wavefront6targetE0EEEvSG_, .Lfunc_end1876-_ZN7rocprim17ROCPRIM_400000_NS6detail17trampoline_kernelINS0_14default_configENS1_35radix_sort_onesweep_config_selectorIbNS0_10empty_typeEEEZZNS1_29radix_sort_onesweep_iterationIS3_Lb0EPKbPbPS5_SB_mNS0_19identity_decomposerENS1_16block_id_wrapperIjLb0EEEEE10hipError_tT1_PNSt15iterator_traitsISG_E10value_typeET2_T3_PNSH_ISM_E10value_typeET4_T5_PSR_SS_PNS1_23onesweep_lookback_stateEbbT6_jjT7_P12ihipStream_tbENKUlT_T0_SG_SL_E_clIS9_SA_SB_SB_EEDaSZ_S10_SG_SL_EUlSZ_E_NS1_11comp_targetILNS1_3genE10ELNS1_11target_archE1201ELNS1_3gpuE5ELNS1_3repE0EEENS1_47radix_sort_onesweep_sort_config_static_selectorELNS0_4arch9wavefront6targetE0EEEvSG_
                                        ; -- End function
	.set _ZN7rocprim17ROCPRIM_400000_NS6detail17trampoline_kernelINS0_14default_configENS1_35radix_sort_onesweep_config_selectorIbNS0_10empty_typeEEEZZNS1_29radix_sort_onesweep_iterationIS3_Lb0EPKbPbPS5_SB_mNS0_19identity_decomposerENS1_16block_id_wrapperIjLb0EEEEE10hipError_tT1_PNSt15iterator_traitsISG_E10value_typeET2_T3_PNSH_ISM_E10value_typeET4_T5_PSR_SS_PNS1_23onesweep_lookback_stateEbbT6_jjT7_P12ihipStream_tbENKUlT_T0_SG_SL_E_clIS9_SA_SB_SB_EEDaSZ_S10_SG_SL_EUlSZ_E_NS1_11comp_targetILNS1_3genE10ELNS1_11target_archE1201ELNS1_3gpuE5ELNS1_3repE0EEENS1_47radix_sort_onesweep_sort_config_static_selectorELNS0_4arch9wavefront6targetE0EEEvSG_.num_vgpr, 0
	.set _ZN7rocprim17ROCPRIM_400000_NS6detail17trampoline_kernelINS0_14default_configENS1_35radix_sort_onesweep_config_selectorIbNS0_10empty_typeEEEZZNS1_29radix_sort_onesweep_iterationIS3_Lb0EPKbPbPS5_SB_mNS0_19identity_decomposerENS1_16block_id_wrapperIjLb0EEEEE10hipError_tT1_PNSt15iterator_traitsISG_E10value_typeET2_T3_PNSH_ISM_E10value_typeET4_T5_PSR_SS_PNS1_23onesweep_lookback_stateEbbT6_jjT7_P12ihipStream_tbENKUlT_T0_SG_SL_E_clIS9_SA_SB_SB_EEDaSZ_S10_SG_SL_EUlSZ_E_NS1_11comp_targetILNS1_3genE10ELNS1_11target_archE1201ELNS1_3gpuE5ELNS1_3repE0EEENS1_47radix_sort_onesweep_sort_config_static_selectorELNS0_4arch9wavefront6targetE0EEEvSG_.num_agpr, 0
	.set _ZN7rocprim17ROCPRIM_400000_NS6detail17trampoline_kernelINS0_14default_configENS1_35radix_sort_onesweep_config_selectorIbNS0_10empty_typeEEEZZNS1_29radix_sort_onesweep_iterationIS3_Lb0EPKbPbPS5_SB_mNS0_19identity_decomposerENS1_16block_id_wrapperIjLb0EEEEE10hipError_tT1_PNSt15iterator_traitsISG_E10value_typeET2_T3_PNSH_ISM_E10value_typeET4_T5_PSR_SS_PNS1_23onesweep_lookback_stateEbbT6_jjT7_P12ihipStream_tbENKUlT_T0_SG_SL_E_clIS9_SA_SB_SB_EEDaSZ_S10_SG_SL_EUlSZ_E_NS1_11comp_targetILNS1_3genE10ELNS1_11target_archE1201ELNS1_3gpuE5ELNS1_3repE0EEENS1_47radix_sort_onesweep_sort_config_static_selectorELNS0_4arch9wavefront6targetE0EEEvSG_.numbered_sgpr, 0
	.set _ZN7rocprim17ROCPRIM_400000_NS6detail17trampoline_kernelINS0_14default_configENS1_35radix_sort_onesweep_config_selectorIbNS0_10empty_typeEEEZZNS1_29radix_sort_onesweep_iterationIS3_Lb0EPKbPbPS5_SB_mNS0_19identity_decomposerENS1_16block_id_wrapperIjLb0EEEEE10hipError_tT1_PNSt15iterator_traitsISG_E10value_typeET2_T3_PNSH_ISM_E10value_typeET4_T5_PSR_SS_PNS1_23onesweep_lookback_stateEbbT6_jjT7_P12ihipStream_tbENKUlT_T0_SG_SL_E_clIS9_SA_SB_SB_EEDaSZ_S10_SG_SL_EUlSZ_E_NS1_11comp_targetILNS1_3genE10ELNS1_11target_archE1201ELNS1_3gpuE5ELNS1_3repE0EEENS1_47radix_sort_onesweep_sort_config_static_selectorELNS0_4arch9wavefront6targetE0EEEvSG_.num_named_barrier, 0
	.set _ZN7rocprim17ROCPRIM_400000_NS6detail17trampoline_kernelINS0_14default_configENS1_35radix_sort_onesweep_config_selectorIbNS0_10empty_typeEEEZZNS1_29radix_sort_onesweep_iterationIS3_Lb0EPKbPbPS5_SB_mNS0_19identity_decomposerENS1_16block_id_wrapperIjLb0EEEEE10hipError_tT1_PNSt15iterator_traitsISG_E10value_typeET2_T3_PNSH_ISM_E10value_typeET4_T5_PSR_SS_PNS1_23onesweep_lookback_stateEbbT6_jjT7_P12ihipStream_tbENKUlT_T0_SG_SL_E_clIS9_SA_SB_SB_EEDaSZ_S10_SG_SL_EUlSZ_E_NS1_11comp_targetILNS1_3genE10ELNS1_11target_archE1201ELNS1_3gpuE5ELNS1_3repE0EEENS1_47radix_sort_onesweep_sort_config_static_selectorELNS0_4arch9wavefront6targetE0EEEvSG_.private_seg_size, 0
	.set _ZN7rocprim17ROCPRIM_400000_NS6detail17trampoline_kernelINS0_14default_configENS1_35radix_sort_onesweep_config_selectorIbNS0_10empty_typeEEEZZNS1_29radix_sort_onesweep_iterationIS3_Lb0EPKbPbPS5_SB_mNS0_19identity_decomposerENS1_16block_id_wrapperIjLb0EEEEE10hipError_tT1_PNSt15iterator_traitsISG_E10value_typeET2_T3_PNSH_ISM_E10value_typeET4_T5_PSR_SS_PNS1_23onesweep_lookback_stateEbbT6_jjT7_P12ihipStream_tbENKUlT_T0_SG_SL_E_clIS9_SA_SB_SB_EEDaSZ_S10_SG_SL_EUlSZ_E_NS1_11comp_targetILNS1_3genE10ELNS1_11target_archE1201ELNS1_3gpuE5ELNS1_3repE0EEENS1_47radix_sort_onesweep_sort_config_static_selectorELNS0_4arch9wavefront6targetE0EEEvSG_.uses_vcc, 0
	.set _ZN7rocprim17ROCPRIM_400000_NS6detail17trampoline_kernelINS0_14default_configENS1_35radix_sort_onesweep_config_selectorIbNS0_10empty_typeEEEZZNS1_29radix_sort_onesweep_iterationIS3_Lb0EPKbPbPS5_SB_mNS0_19identity_decomposerENS1_16block_id_wrapperIjLb0EEEEE10hipError_tT1_PNSt15iterator_traitsISG_E10value_typeET2_T3_PNSH_ISM_E10value_typeET4_T5_PSR_SS_PNS1_23onesweep_lookback_stateEbbT6_jjT7_P12ihipStream_tbENKUlT_T0_SG_SL_E_clIS9_SA_SB_SB_EEDaSZ_S10_SG_SL_EUlSZ_E_NS1_11comp_targetILNS1_3genE10ELNS1_11target_archE1201ELNS1_3gpuE5ELNS1_3repE0EEENS1_47radix_sort_onesweep_sort_config_static_selectorELNS0_4arch9wavefront6targetE0EEEvSG_.uses_flat_scratch, 0
	.set _ZN7rocprim17ROCPRIM_400000_NS6detail17trampoline_kernelINS0_14default_configENS1_35radix_sort_onesweep_config_selectorIbNS0_10empty_typeEEEZZNS1_29radix_sort_onesweep_iterationIS3_Lb0EPKbPbPS5_SB_mNS0_19identity_decomposerENS1_16block_id_wrapperIjLb0EEEEE10hipError_tT1_PNSt15iterator_traitsISG_E10value_typeET2_T3_PNSH_ISM_E10value_typeET4_T5_PSR_SS_PNS1_23onesweep_lookback_stateEbbT6_jjT7_P12ihipStream_tbENKUlT_T0_SG_SL_E_clIS9_SA_SB_SB_EEDaSZ_S10_SG_SL_EUlSZ_E_NS1_11comp_targetILNS1_3genE10ELNS1_11target_archE1201ELNS1_3gpuE5ELNS1_3repE0EEENS1_47radix_sort_onesweep_sort_config_static_selectorELNS0_4arch9wavefront6targetE0EEEvSG_.has_dyn_sized_stack, 0
	.set _ZN7rocprim17ROCPRIM_400000_NS6detail17trampoline_kernelINS0_14default_configENS1_35radix_sort_onesweep_config_selectorIbNS0_10empty_typeEEEZZNS1_29radix_sort_onesweep_iterationIS3_Lb0EPKbPbPS5_SB_mNS0_19identity_decomposerENS1_16block_id_wrapperIjLb0EEEEE10hipError_tT1_PNSt15iterator_traitsISG_E10value_typeET2_T3_PNSH_ISM_E10value_typeET4_T5_PSR_SS_PNS1_23onesweep_lookback_stateEbbT6_jjT7_P12ihipStream_tbENKUlT_T0_SG_SL_E_clIS9_SA_SB_SB_EEDaSZ_S10_SG_SL_EUlSZ_E_NS1_11comp_targetILNS1_3genE10ELNS1_11target_archE1201ELNS1_3gpuE5ELNS1_3repE0EEENS1_47radix_sort_onesweep_sort_config_static_selectorELNS0_4arch9wavefront6targetE0EEEvSG_.has_recursion, 0
	.set _ZN7rocprim17ROCPRIM_400000_NS6detail17trampoline_kernelINS0_14default_configENS1_35radix_sort_onesweep_config_selectorIbNS0_10empty_typeEEEZZNS1_29radix_sort_onesweep_iterationIS3_Lb0EPKbPbPS5_SB_mNS0_19identity_decomposerENS1_16block_id_wrapperIjLb0EEEEE10hipError_tT1_PNSt15iterator_traitsISG_E10value_typeET2_T3_PNSH_ISM_E10value_typeET4_T5_PSR_SS_PNS1_23onesweep_lookback_stateEbbT6_jjT7_P12ihipStream_tbENKUlT_T0_SG_SL_E_clIS9_SA_SB_SB_EEDaSZ_S10_SG_SL_EUlSZ_E_NS1_11comp_targetILNS1_3genE10ELNS1_11target_archE1201ELNS1_3gpuE5ELNS1_3repE0EEENS1_47radix_sort_onesweep_sort_config_static_selectorELNS0_4arch9wavefront6targetE0EEEvSG_.has_indirect_call, 0
	.section	.AMDGPU.csdata,"",@progbits
; Kernel info:
; codeLenInByte = 0
; TotalNumSgprs: 0
; NumVgprs: 0
; ScratchSize: 0
; MemoryBound: 0
; FloatMode: 240
; IeeeMode: 1
; LDSByteSize: 0 bytes/workgroup (compile time only)
; SGPRBlocks: 0
; VGPRBlocks: 0
; NumSGPRsForWavesPerEU: 1
; NumVGPRsForWavesPerEU: 1
; NamedBarCnt: 0
; Occupancy: 16
; WaveLimiterHint : 0
; COMPUTE_PGM_RSRC2:SCRATCH_EN: 0
; COMPUTE_PGM_RSRC2:USER_SGPR: 2
; COMPUTE_PGM_RSRC2:TRAP_HANDLER: 0
; COMPUTE_PGM_RSRC2:TGID_X_EN: 1
; COMPUTE_PGM_RSRC2:TGID_Y_EN: 0
; COMPUTE_PGM_RSRC2:TGID_Z_EN: 0
; COMPUTE_PGM_RSRC2:TIDIG_COMP_CNT: 0
	.section	.text._ZN7rocprim17ROCPRIM_400000_NS6detail17trampoline_kernelINS0_14default_configENS1_35radix_sort_onesweep_config_selectorIbNS0_10empty_typeEEEZZNS1_29radix_sort_onesweep_iterationIS3_Lb0EPKbPbPS5_SB_mNS0_19identity_decomposerENS1_16block_id_wrapperIjLb0EEEEE10hipError_tT1_PNSt15iterator_traitsISG_E10value_typeET2_T3_PNSH_ISM_E10value_typeET4_T5_PSR_SS_PNS1_23onesweep_lookback_stateEbbT6_jjT7_P12ihipStream_tbENKUlT_T0_SG_SL_E_clIS9_SA_SB_SB_EEDaSZ_S10_SG_SL_EUlSZ_E_NS1_11comp_targetILNS1_3genE9ELNS1_11target_archE1100ELNS1_3gpuE3ELNS1_3repE0EEENS1_47radix_sort_onesweep_sort_config_static_selectorELNS0_4arch9wavefront6targetE0EEEvSG_,"axG",@progbits,_ZN7rocprim17ROCPRIM_400000_NS6detail17trampoline_kernelINS0_14default_configENS1_35radix_sort_onesweep_config_selectorIbNS0_10empty_typeEEEZZNS1_29radix_sort_onesweep_iterationIS3_Lb0EPKbPbPS5_SB_mNS0_19identity_decomposerENS1_16block_id_wrapperIjLb0EEEEE10hipError_tT1_PNSt15iterator_traitsISG_E10value_typeET2_T3_PNSH_ISM_E10value_typeET4_T5_PSR_SS_PNS1_23onesweep_lookback_stateEbbT6_jjT7_P12ihipStream_tbENKUlT_T0_SG_SL_E_clIS9_SA_SB_SB_EEDaSZ_S10_SG_SL_EUlSZ_E_NS1_11comp_targetILNS1_3genE9ELNS1_11target_archE1100ELNS1_3gpuE3ELNS1_3repE0EEENS1_47radix_sort_onesweep_sort_config_static_selectorELNS0_4arch9wavefront6targetE0EEEvSG_,comdat
	.protected	_ZN7rocprim17ROCPRIM_400000_NS6detail17trampoline_kernelINS0_14default_configENS1_35radix_sort_onesweep_config_selectorIbNS0_10empty_typeEEEZZNS1_29radix_sort_onesweep_iterationIS3_Lb0EPKbPbPS5_SB_mNS0_19identity_decomposerENS1_16block_id_wrapperIjLb0EEEEE10hipError_tT1_PNSt15iterator_traitsISG_E10value_typeET2_T3_PNSH_ISM_E10value_typeET4_T5_PSR_SS_PNS1_23onesweep_lookback_stateEbbT6_jjT7_P12ihipStream_tbENKUlT_T0_SG_SL_E_clIS9_SA_SB_SB_EEDaSZ_S10_SG_SL_EUlSZ_E_NS1_11comp_targetILNS1_3genE9ELNS1_11target_archE1100ELNS1_3gpuE3ELNS1_3repE0EEENS1_47radix_sort_onesweep_sort_config_static_selectorELNS0_4arch9wavefront6targetE0EEEvSG_ ; -- Begin function _ZN7rocprim17ROCPRIM_400000_NS6detail17trampoline_kernelINS0_14default_configENS1_35radix_sort_onesweep_config_selectorIbNS0_10empty_typeEEEZZNS1_29radix_sort_onesweep_iterationIS3_Lb0EPKbPbPS5_SB_mNS0_19identity_decomposerENS1_16block_id_wrapperIjLb0EEEEE10hipError_tT1_PNSt15iterator_traitsISG_E10value_typeET2_T3_PNSH_ISM_E10value_typeET4_T5_PSR_SS_PNS1_23onesweep_lookback_stateEbbT6_jjT7_P12ihipStream_tbENKUlT_T0_SG_SL_E_clIS9_SA_SB_SB_EEDaSZ_S10_SG_SL_EUlSZ_E_NS1_11comp_targetILNS1_3genE9ELNS1_11target_archE1100ELNS1_3gpuE3ELNS1_3repE0EEENS1_47radix_sort_onesweep_sort_config_static_selectorELNS0_4arch9wavefront6targetE0EEEvSG_
	.globl	_ZN7rocprim17ROCPRIM_400000_NS6detail17trampoline_kernelINS0_14default_configENS1_35radix_sort_onesweep_config_selectorIbNS0_10empty_typeEEEZZNS1_29radix_sort_onesweep_iterationIS3_Lb0EPKbPbPS5_SB_mNS0_19identity_decomposerENS1_16block_id_wrapperIjLb0EEEEE10hipError_tT1_PNSt15iterator_traitsISG_E10value_typeET2_T3_PNSH_ISM_E10value_typeET4_T5_PSR_SS_PNS1_23onesweep_lookback_stateEbbT6_jjT7_P12ihipStream_tbENKUlT_T0_SG_SL_E_clIS9_SA_SB_SB_EEDaSZ_S10_SG_SL_EUlSZ_E_NS1_11comp_targetILNS1_3genE9ELNS1_11target_archE1100ELNS1_3gpuE3ELNS1_3repE0EEENS1_47radix_sort_onesweep_sort_config_static_selectorELNS0_4arch9wavefront6targetE0EEEvSG_
	.p2align	8
	.type	_ZN7rocprim17ROCPRIM_400000_NS6detail17trampoline_kernelINS0_14default_configENS1_35radix_sort_onesweep_config_selectorIbNS0_10empty_typeEEEZZNS1_29radix_sort_onesweep_iterationIS3_Lb0EPKbPbPS5_SB_mNS0_19identity_decomposerENS1_16block_id_wrapperIjLb0EEEEE10hipError_tT1_PNSt15iterator_traitsISG_E10value_typeET2_T3_PNSH_ISM_E10value_typeET4_T5_PSR_SS_PNS1_23onesweep_lookback_stateEbbT6_jjT7_P12ihipStream_tbENKUlT_T0_SG_SL_E_clIS9_SA_SB_SB_EEDaSZ_S10_SG_SL_EUlSZ_E_NS1_11comp_targetILNS1_3genE9ELNS1_11target_archE1100ELNS1_3gpuE3ELNS1_3repE0EEENS1_47radix_sort_onesweep_sort_config_static_selectorELNS0_4arch9wavefront6targetE0EEEvSG_,@function
_ZN7rocprim17ROCPRIM_400000_NS6detail17trampoline_kernelINS0_14default_configENS1_35radix_sort_onesweep_config_selectorIbNS0_10empty_typeEEEZZNS1_29radix_sort_onesweep_iterationIS3_Lb0EPKbPbPS5_SB_mNS0_19identity_decomposerENS1_16block_id_wrapperIjLb0EEEEE10hipError_tT1_PNSt15iterator_traitsISG_E10value_typeET2_T3_PNSH_ISM_E10value_typeET4_T5_PSR_SS_PNS1_23onesweep_lookback_stateEbbT6_jjT7_P12ihipStream_tbENKUlT_T0_SG_SL_E_clIS9_SA_SB_SB_EEDaSZ_S10_SG_SL_EUlSZ_E_NS1_11comp_targetILNS1_3genE9ELNS1_11target_archE1100ELNS1_3gpuE3ELNS1_3repE0EEENS1_47radix_sort_onesweep_sort_config_static_selectorELNS0_4arch9wavefront6targetE0EEEvSG_: ; @_ZN7rocprim17ROCPRIM_400000_NS6detail17trampoline_kernelINS0_14default_configENS1_35radix_sort_onesweep_config_selectorIbNS0_10empty_typeEEEZZNS1_29radix_sort_onesweep_iterationIS3_Lb0EPKbPbPS5_SB_mNS0_19identity_decomposerENS1_16block_id_wrapperIjLb0EEEEE10hipError_tT1_PNSt15iterator_traitsISG_E10value_typeET2_T3_PNSH_ISM_E10value_typeET4_T5_PSR_SS_PNS1_23onesweep_lookback_stateEbbT6_jjT7_P12ihipStream_tbENKUlT_T0_SG_SL_E_clIS9_SA_SB_SB_EEDaSZ_S10_SG_SL_EUlSZ_E_NS1_11comp_targetILNS1_3genE9ELNS1_11target_archE1100ELNS1_3gpuE3ELNS1_3repE0EEENS1_47radix_sort_onesweep_sort_config_static_selectorELNS0_4arch9wavefront6targetE0EEEvSG_
; %bb.0:
	.section	.rodata,"a",@progbits
	.p2align	6, 0x0
	.amdhsa_kernel _ZN7rocprim17ROCPRIM_400000_NS6detail17trampoline_kernelINS0_14default_configENS1_35radix_sort_onesweep_config_selectorIbNS0_10empty_typeEEEZZNS1_29radix_sort_onesweep_iterationIS3_Lb0EPKbPbPS5_SB_mNS0_19identity_decomposerENS1_16block_id_wrapperIjLb0EEEEE10hipError_tT1_PNSt15iterator_traitsISG_E10value_typeET2_T3_PNSH_ISM_E10value_typeET4_T5_PSR_SS_PNS1_23onesweep_lookback_stateEbbT6_jjT7_P12ihipStream_tbENKUlT_T0_SG_SL_E_clIS9_SA_SB_SB_EEDaSZ_S10_SG_SL_EUlSZ_E_NS1_11comp_targetILNS1_3genE9ELNS1_11target_archE1100ELNS1_3gpuE3ELNS1_3repE0EEENS1_47radix_sort_onesweep_sort_config_static_selectorELNS0_4arch9wavefront6targetE0EEEvSG_
		.amdhsa_group_segment_fixed_size 0
		.amdhsa_private_segment_fixed_size 0
		.amdhsa_kernarg_size 88
		.amdhsa_user_sgpr_count 2
		.amdhsa_user_sgpr_dispatch_ptr 0
		.amdhsa_user_sgpr_queue_ptr 0
		.amdhsa_user_sgpr_kernarg_segment_ptr 1
		.amdhsa_user_sgpr_dispatch_id 0
		.amdhsa_user_sgpr_kernarg_preload_length 0
		.amdhsa_user_sgpr_kernarg_preload_offset 0
		.amdhsa_user_sgpr_private_segment_size 0
		.amdhsa_wavefront_size32 1
		.amdhsa_uses_dynamic_stack 0
		.amdhsa_enable_private_segment 0
		.amdhsa_system_sgpr_workgroup_id_x 1
		.amdhsa_system_sgpr_workgroup_id_y 0
		.amdhsa_system_sgpr_workgroup_id_z 0
		.amdhsa_system_sgpr_workgroup_info 0
		.amdhsa_system_vgpr_workitem_id 0
		.amdhsa_next_free_vgpr 1
		.amdhsa_next_free_sgpr 1
		.amdhsa_named_barrier_count 0
		.amdhsa_reserve_vcc 0
		.amdhsa_float_round_mode_32 0
		.amdhsa_float_round_mode_16_64 0
		.amdhsa_float_denorm_mode_32 3
		.amdhsa_float_denorm_mode_16_64 3
		.amdhsa_fp16_overflow 0
		.amdhsa_memory_ordered 1
		.amdhsa_forward_progress 1
		.amdhsa_inst_pref_size 0
		.amdhsa_round_robin_scheduling 0
		.amdhsa_exception_fp_ieee_invalid_op 0
		.amdhsa_exception_fp_denorm_src 0
		.amdhsa_exception_fp_ieee_div_zero 0
		.amdhsa_exception_fp_ieee_overflow 0
		.amdhsa_exception_fp_ieee_underflow 0
		.amdhsa_exception_fp_ieee_inexact 0
		.amdhsa_exception_int_div_zero 0
	.end_amdhsa_kernel
	.section	.text._ZN7rocprim17ROCPRIM_400000_NS6detail17trampoline_kernelINS0_14default_configENS1_35radix_sort_onesweep_config_selectorIbNS0_10empty_typeEEEZZNS1_29radix_sort_onesweep_iterationIS3_Lb0EPKbPbPS5_SB_mNS0_19identity_decomposerENS1_16block_id_wrapperIjLb0EEEEE10hipError_tT1_PNSt15iterator_traitsISG_E10value_typeET2_T3_PNSH_ISM_E10value_typeET4_T5_PSR_SS_PNS1_23onesweep_lookback_stateEbbT6_jjT7_P12ihipStream_tbENKUlT_T0_SG_SL_E_clIS9_SA_SB_SB_EEDaSZ_S10_SG_SL_EUlSZ_E_NS1_11comp_targetILNS1_3genE9ELNS1_11target_archE1100ELNS1_3gpuE3ELNS1_3repE0EEENS1_47radix_sort_onesweep_sort_config_static_selectorELNS0_4arch9wavefront6targetE0EEEvSG_,"axG",@progbits,_ZN7rocprim17ROCPRIM_400000_NS6detail17trampoline_kernelINS0_14default_configENS1_35radix_sort_onesweep_config_selectorIbNS0_10empty_typeEEEZZNS1_29radix_sort_onesweep_iterationIS3_Lb0EPKbPbPS5_SB_mNS0_19identity_decomposerENS1_16block_id_wrapperIjLb0EEEEE10hipError_tT1_PNSt15iterator_traitsISG_E10value_typeET2_T3_PNSH_ISM_E10value_typeET4_T5_PSR_SS_PNS1_23onesweep_lookback_stateEbbT6_jjT7_P12ihipStream_tbENKUlT_T0_SG_SL_E_clIS9_SA_SB_SB_EEDaSZ_S10_SG_SL_EUlSZ_E_NS1_11comp_targetILNS1_3genE9ELNS1_11target_archE1100ELNS1_3gpuE3ELNS1_3repE0EEENS1_47radix_sort_onesweep_sort_config_static_selectorELNS0_4arch9wavefront6targetE0EEEvSG_,comdat
.Lfunc_end1877:
	.size	_ZN7rocprim17ROCPRIM_400000_NS6detail17trampoline_kernelINS0_14default_configENS1_35radix_sort_onesweep_config_selectorIbNS0_10empty_typeEEEZZNS1_29radix_sort_onesweep_iterationIS3_Lb0EPKbPbPS5_SB_mNS0_19identity_decomposerENS1_16block_id_wrapperIjLb0EEEEE10hipError_tT1_PNSt15iterator_traitsISG_E10value_typeET2_T3_PNSH_ISM_E10value_typeET4_T5_PSR_SS_PNS1_23onesweep_lookback_stateEbbT6_jjT7_P12ihipStream_tbENKUlT_T0_SG_SL_E_clIS9_SA_SB_SB_EEDaSZ_S10_SG_SL_EUlSZ_E_NS1_11comp_targetILNS1_3genE9ELNS1_11target_archE1100ELNS1_3gpuE3ELNS1_3repE0EEENS1_47radix_sort_onesweep_sort_config_static_selectorELNS0_4arch9wavefront6targetE0EEEvSG_, .Lfunc_end1877-_ZN7rocprim17ROCPRIM_400000_NS6detail17trampoline_kernelINS0_14default_configENS1_35radix_sort_onesweep_config_selectorIbNS0_10empty_typeEEEZZNS1_29radix_sort_onesweep_iterationIS3_Lb0EPKbPbPS5_SB_mNS0_19identity_decomposerENS1_16block_id_wrapperIjLb0EEEEE10hipError_tT1_PNSt15iterator_traitsISG_E10value_typeET2_T3_PNSH_ISM_E10value_typeET4_T5_PSR_SS_PNS1_23onesweep_lookback_stateEbbT6_jjT7_P12ihipStream_tbENKUlT_T0_SG_SL_E_clIS9_SA_SB_SB_EEDaSZ_S10_SG_SL_EUlSZ_E_NS1_11comp_targetILNS1_3genE9ELNS1_11target_archE1100ELNS1_3gpuE3ELNS1_3repE0EEENS1_47radix_sort_onesweep_sort_config_static_selectorELNS0_4arch9wavefront6targetE0EEEvSG_
                                        ; -- End function
	.set _ZN7rocprim17ROCPRIM_400000_NS6detail17trampoline_kernelINS0_14default_configENS1_35radix_sort_onesweep_config_selectorIbNS0_10empty_typeEEEZZNS1_29radix_sort_onesweep_iterationIS3_Lb0EPKbPbPS5_SB_mNS0_19identity_decomposerENS1_16block_id_wrapperIjLb0EEEEE10hipError_tT1_PNSt15iterator_traitsISG_E10value_typeET2_T3_PNSH_ISM_E10value_typeET4_T5_PSR_SS_PNS1_23onesweep_lookback_stateEbbT6_jjT7_P12ihipStream_tbENKUlT_T0_SG_SL_E_clIS9_SA_SB_SB_EEDaSZ_S10_SG_SL_EUlSZ_E_NS1_11comp_targetILNS1_3genE9ELNS1_11target_archE1100ELNS1_3gpuE3ELNS1_3repE0EEENS1_47radix_sort_onesweep_sort_config_static_selectorELNS0_4arch9wavefront6targetE0EEEvSG_.num_vgpr, 0
	.set _ZN7rocprim17ROCPRIM_400000_NS6detail17trampoline_kernelINS0_14default_configENS1_35radix_sort_onesweep_config_selectorIbNS0_10empty_typeEEEZZNS1_29radix_sort_onesweep_iterationIS3_Lb0EPKbPbPS5_SB_mNS0_19identity_decomposerENS1_16block_id_wrapperIjLb0EEEEE10hipError_tT1_PNSt15iterator_traitsISG_E10value_typeET2_T3_PNSH_ISM_E10value_typeET4_T5_PSR_SS_PNS1_23onesweep_lookback_stateEbbT6_jjT7_P12ihipStream_tbENKUlT_T0_SG_SL_E_clIS9_SA_SB_SB_EEDaSZ_S10_SG_SL_EUlSZ_E_NS1_11comp_targetILNS1_3genE9ELNS1_11target_archE1100ELNS1_3gpuE3ELNS1_3repE0EEENS1_47radix_sort_onesweep_sort_config_static_selectorELNS0_4arch9wavefront6targetE0EEEvSG_.num_agpr, 0
	.set _ZN7rocprim17ROCPRIM_400000_NS6detail17trampoline_kernelINS0_14default_configENS1_35radix_sort_onesweep_config_selectorIbNS0_10empty_typeEEEZZNS1_29radix_sort_onesweep_iterationIS3_Lb0EPKbPbPS5_SB_mNS0_19identity_decomposerENS1_16block_id_wrapperIjLb0EEEEE10hipError_tT1_PNSt15iterator_traitsISG_E10value_typeET2_T3_PNSH_ISM_E10value_typeET4_T5_PSR_SS_PNS1_23onesweep_lookback_stateEbbT6_jjT7_P12ihipStream_tbENKUlT_T0_SG_SL_E_clIS9_SA_SB_SB_EEDaSZ_S10_SG_SL_EUlSZ_E_NS1_11comp_targetILNS1_3genE9ELNS1_11target_archE1100ELNS1_3gpuE3ELNS1_3repE0EEENS1_47radix_sort_onesweep_sort_config_static_selectorELNS0_4arch9wavefront6targetE0EEEvSG_.numbered_sgpr, 0
	.set _ZN7rocprim17ROCPRIM_400000_NS6detail17trampoline_kernelINS0_14default_configENS1_35radix_sort_onesweep_config_selectorIbNS0_10empty_typeEEEZZNS1_29radix_sort_onesweep_iterationIS3_Lb0EPKbPbPS5_SB_mNS0_19identity_decomposerENS1_16block_id_wrapperIjLb0EEEEE10hipError_tT1_PNSt15iterator_traitsISG_E10value_typeET2_T3_PNSH_ISM_E10value_typeET4_T5_PSR_SS_PNS1_23onesweep_lookback_stateEbbT6_jjT7_P12ihipStream_tbENKUlT_T0_SG_SL_E_clIS9_SA_SB_SB_EEDaSZ_S10_SG_SL_EUlSZ_E_NS1_11comp_targetILNS1_3genE9ELNS1_11target_archE1100ELNS1_3gpuE3ELNS1_3repE0EEENS1_47radix_sort_onesweep_sort_config_static_selectorELNS0_4arch9wavefront6targetE0EEEvSG_.num_named_barrier, 0
	.set _ZN7rocprim17ROCPRIM_400000_NS6detail17trampoline_kernelINS0_14default_configENS1_35radix_sort_onesweep_config_selectorIbNS0_10empty_typeEEEZZNS1_29radix_sort_onesweep_iterationIS3_Lb0EPKbPbPS5_SB_mNS0_19identity_decomposerENS1_16block_id_wrapperIjLb0EEEEE10hipError_tT1_PNSt15iterator_traitsISG_E10value_typeET2_T3_PNSH_ISM_E10value_typeET4_T5_PSR_SS_PNS1_23onesweep_lookback_stateEbbT6_jjT7_P12ihipStream_tbENKUlT_T0_SG_SL_E_clIS9_SA_SB_SB_EEDaSZ_S10_SG_SL_EUlSZ_E_NS1_11comp_targetILNS1_3genE9ELNS1_11target_archE1100ELNS1_3gpuE3ELNS1_3repE0EEENS1_47radix_sort_onesweep_sort_config_static_selectorELNS0_4arch9wavefront6targetE0EEEvSG_.private_seg_size, 0
	.set _ZN7rocprim17ROCPRIM_400000_NS6detail17trampoline_kernelINS0_14default_configENS1_35radix_sort_onesweep_config_selectorIbNS0_10empty_typeEEEZZNS1_29radix_sort_onesweep_iterationIS3_Lb0EPKbPbPS5_SB_mNS0_19identity_decomposerENS1_16block_id_wrapperIjLb0EEEEE10hipError_tT1_PNSt15iterator_traitsISG_E10value_typeET2_T3_PNSH_ISM_E10value_typeET4_T5_PSR_SS_PNS1_23onesweep_lookback_stateEbbT6_jjT7_P12ihipStream_tbENKUlT_T0_SG_SL_E_clIS9_SA_SB_SB_EEDaSZ_S10_SG_SL_EUlSZ_E_NS1_11comp_targetILNS1_3genE9ELNS1_11target_archE1100ELNS1_3gpuE3ELNS1_3repE0EEENS1_47radix_sort_onesweep_sort_config_static_selectorELNS0_4arch9wavefront6targetE0EEEvSG_.uses_vcc, 0
	.set _ZN7rocprim17ROCPRIM_400000_NS6detail17trampoline_kernelINS0_14default_configENS1_35radix_sort_onesweep_config_selectorIbNS0_10empty_typeEEEZZNS1_29radix_sort_onesweep_iterationIS3_Lb0EPKbPbPS5_SB_mNS0_19identity_decomposerENS1_16block_id_wrapperIjLb0EEEEE10hipError_tT1_PNSt15iterator_traitsISG_E10value_typeET2_T3_PNSH_ISM_E10value_typeET4_T5_PSR_SS_PNS1_23onesweep_lookback_stateEbbT6_jjT7_P12ihipStream_tbENKUlT_T0_SG_SL_E_clIS9_SA_SB_SB_EEDaSZ_S10_SG_SL_EUlSZ_E_NS1_11comp_targetILNS1_3genE9ELNS1_11target_archE1100ELNS1_3gpuE3ELNS1_3repE0EEENS1_47radix_sort_onesweep_sort_config_static_selectorELNS0_4arch9wavefront6targetE0EEEvSG_.uses_flat_scratch, 0
	.set _ZN7rocprim17ROCPRIM_400000_NS6detail17trampoline_kernelINS0_14default_configENS1_35radix_sort_onesweep_config_selectorIbNS0_10empty_typeEEEZZNS1_29radix_sort_onesweep_iterationIS3_Lb0EPKbPbPS5_SB_mNS0_19identity_decomposerENS1_16block_id_wrapperIjLb0EEEEE10hipError_tT1_PNSt15iterator_traitsISG_E10value_typeET2_T3_PNSH_ISM_E10value_typeET4_T5_PSR_SS_PNS1_23onesweep_lookback_stateEbbT6_jjT7_P12ihipStream_tbENKUlT_T0_SG_SL_E_clIS9_SA_SB_SB_EEDaSZ_S10_SG_SL_EUlSZ_E_NS1_11comp_targetILNS1_3genE9ELNS1_11target_archE1100ELNS1_3gpuE3ELNS1_3repE0EEENS1_47radix_sort_onesweep_sort_config_static_selectorELNS0_4arch9wavefront6targetE0EEEvSG_.has_dyn_sized_stack, 0
	.set _ZN7rocprim17ROCPRIM_400000_NS6detail17trampoline_kernelINS0_14default_configENS1_35radix_sort_onesweep_config_selectorIbNS0_10empty_typeEEEZZNS1_29radix_sort_onesweep_iterationIS3_Lb0EPKbPbPS5_SB_mNS0_19identity_decomposerENS1_16block_id_wrapperIjLb0EEEEE10hipError_tT1_PNSt15iterator_traitsISG_E10value_typeET2_T3_PNSH_ISM_E10value_typeET4_T5_PSR_SS_PNS1_23onesweep_lookback_stateEbbT6_jjT7_P12ihipStream_tbENKUlT_T0_SG_SL_E_clIS9_SA_SB_SB_EEDaSZ_S10_SG_SL_EUlSZ_E_NS1_11comp_targetILNS1_3genE9ELNS1_11target_archE1100ELNS1_3gpuE3ELNS1_3repE0EEENS1_47radix_sort_onesweep_sort_config_static_selectorELNS0_4arch9wavefront6targetE0EEEvSG_.has_recursion, 0
	.set _ZN7rocprim17ROCPRIM_400000_NS6detail17trampoline_kernelINS0_14default_configENS1_35radix_sort_onesweep_config_selectorIbNS0_10empty_typeEEEZZNS1_29radix_sort_onesweep_iterationIS3_Lb0EPKbPbPS5_SB_mNS0_19identity_decomposerENS1_16block_id_wrapperIjLb0EEEEE10hipError_tT1_PNSt15iterator_traitsISG_E10value_typeET2_T3_PNSH_ISM_E10value_typeET4_T5_PSR_SS_PNS1_23onesweep_lookback_stateEbbT6_jjT7_P12ihipStream_tbENKUlT_T0_SG_SL_E_clIS9_SA_SB_SB_EEDaSZ_S10_SG_SL_EUlSZ_E_NS1_11comp_targetILNS1_3genE9ELNS1_11target_archE1100ELNS1_3gpuE3ELNS1_3repE0EEENS1_47radix_sort_onesweep_sort_config_static_selectorELNS0_4arch9wavefront6targetE0EEEvSG_.has_indirect_call, 0
	.section	.AMDGPU.csdata,"",@progbits
; Kernel info:
; codeLenInByte = 0
; TotalNumSgprs: 0
; NumVgprs: 0
; ScratchSize: 0
; MemoryBound: 0
; FloatMode: 240
; IeeeMode: 1
; LDSByteSize: 0 bytes/workgroup (compile time only)
; SGPRBlocks: 0
; VGPRBlocks: 0
; NumSGPRsForWavesPerEU: 1
; NumVGPRsForWavesPerEU: 1
; NamedBarCnt: 0
; Occupancy: 16
; WaveLimiterHint : 0
; COMPUTE_PGM_RSRC2:SCRATCH_EN: 0
; COMPUTE_PGM_RSRC2:USER_SGPR: 2
; COMPUTE_PGM_RSRC2:TRAP_HANDLER: 0
; COMPUTE_PGM_RSRC2:TGID_X_EN: 1
; COMPUTE_PGM_RSRC2:TGID_Y_EN: 0
; COMPUTE_PGM_RSRC2:TGID_Z_EN: 0
; COMPUTE_PGM_RSRC2:TIDIG_COMP_CNT: 0
	.section	.text._ZN7rocprim17ROCPRIM_400000_NS6detail17trampoline_kernelINS0_14default_configENS1_35radix_sort_onesweep_config_selectorIbNS0_10empty_typeEEEZZNS1_29radix_sort_onesweep_iterationIS3_Lb0EPKbPbPS5_SB_mNS0_19identity_decomposerENS1_16block_id_wrapperIjLb0EEEEE10hipError_tT1_PNSt15iterator_traitsISG_E10value_typeET2_T3_PNSH_ISM_E10value_typeET4_T5_PSR_SS_PNS1_23onesweep_lookback_stateEbbT6_jjT7_P12ihipStream_tbENKUlT_T0_SG_SL_E_clIS9_SA_SB_SB_EEDaSZ_S10_SG_SL_EUlSZ_E_NS1_11comp_targetILNS1_3genE8ELNS1_11target_archE1030ELNS1_3gpuE2ELNS1_3repE0EEENS1_47radix_sort_onesweep_sort_config_static_selectorELNS0_4arch9wavefront6targetE0EEEvSG_,"axG",@progbits,_ZN7rocprim17ROCPRIM_400000_NS6detail17trampoline_kernelINS0_14default_configENS1_35radix_sort_onesweep_config_selectorIbNS0_10empty_typeEEEZZNS1_29radix_sort_onesweep_iterationIS3_Lb0EPKbPbPS5_SB_mNS0_19identity_decomposerENS1_16block_id_wrapperIjLb0EEEEE10hipError_tT1_PNSt15iterator_traitsISG_E10value_typeET2_T3_PNSH_ISM_E10value_typeET4_T5_PSR_SS_PNS1_23onesweep_lookback_stateEbbT6_jjT7_P12ihipStream_tbENKUlT_T0_SG_SL_E_clIS9_SA_SB_SB_EEDaSZ_S10_SG_SL_EUlSZ_E_NS1_11comp_targetILNS1_3genE8ELNS1_11target_archE1030ELNS1_3gpuE2ELNS1_3repE0EEENS1_47radix_sort_onesweep_sort_config_static_selectorELNS0_4arch9wavefront6targetE0EEEvSG_,comdat
	.protected	_ZN7rocprim17ROCPRIM_400000_NS6detail17trampoline_kernelINS0_14default_configENS1_35radix_sort_onesweep_config_selectorIbNS0_10empty_typeEEEZZNS1_29radix_sort_onesweep_iterationIS3_Lb0EPKbPbPS5_SB_mNS0_19identity_decomposerENS1_16block_id_wrapperIjLb0EEEEE10hipError_tT1_PNSt15iterator_traitsISG_E10value_typeET2_T3_PNSH_ISM_E10value_typeET4_T5_PSR_SS_PNS1_23onesweep_lookback_stateEbbT6_jjT7_P12ihipStream_tbENKUlT_T0_SG_SL_E_clIS9_SA_SB_SB_EEDaSZ_S10_SG_SL_EUlSZ_E_NS1_11comp_targetILNS1_3genE8ELNS1_11target_archE1030ELNS1_3gpuE2ELNS1_3repE0EEENS1_47radix_sort_onesweep_sort_config_static_selectorELNS0_4arch9wavefront6targetE0EEEvSG_ ; -- Begin function _ZN7rocprim17ROCPRIM_400000_NS6detail17trampoline_kernelINS0_14default_configENS1_35radix_sort_onesweep_config_selectorIbNS0_10empty_typeEEEZZNS1_29radix_sort_onesweep_iterationIS3_Lb0EPKbPbPS5_SB_mNS0_19identity_decomposerENS1_16block_id_wrapperIjLb0EEEEE10hipError_tT1_PNSt15iterator_traitsISG_E10value_typeET2_T3_PNSH_ISM_E10value_typeET4_T5_PSR_SS_PNS1_23onesweep_lookback_stateEbbT6_jjT7_P12ihipStream_tbENKUlT_T0_SG_SL_E_clIS9_SA_SB_SB_EEDaSZ_S10_SG_SL_EUlSZ_E_NS1_11comp_targetILNS1_3genE8ELNS1_11target_archE1030ELNS1_3gpuE2ELNS1_3repE0EEENS1_47radix_sort_onesweep_sort_config_static_selectorELNS0_4arch9wavefront6targetE0EEEvSG_
	.globl	_ZN7rocprim17ROCPRIM_400000_NS6detail17trampoline_kernelINS0_14default_configENS1_35radix_sort_onesweep_config_selectorIbNS0_10empty_typeEEEZZNS1_29radix_sort_onesweep_iterationIS3_Lb0EPKbPbPS5_SB_mNS0_19identity_decomposerENS1_16block_id_wrapperIjLb0EEEEE10hipError_tT1_PNSt15iterator_traitsISG_E10value_typeET2_T3_PNSH_ISM_E10value_typeET4_T5_PSR_SS_PNS1_23onesweep_lookback_stateEbbT6_jjT7_P12ihipStream_tbENKUlT_T0_SG_SL_E_clIS9_SA_SB_SB_EEDaSZ_S10_SG_SL_EUlSZ_E_NS1_11comp_targetILNS1_3genE8ELNS1_11target_archE1030ELNS1_3gpuE2ELNS1_3repE0EEENS1_47radix_sort_onesweep_sort_config_static_selectorELNS0_4arch9wavefront6targetE0EEEvSG_
	.p2align	8
	.type	_ZN7rocprim17ROCPRIM_400000_NS6detail17trampoline_kernelINS0_14default_configENS1_35radix_sort_onesweep_config_selectorIbNS0_10empty_typeEEEZZNS1_29radix_sort_onesweep_iterationIS3_Lb0EPKbPbPS5_SB_mNS0_19identity_decomposerENS1_16block_id_wrapperIjLb0EEEEE10hipError_tT1_PNSt15iterator_traitsISG_E10value_typeET2_T3_PNSH_ISM_E10value_typeET4_T5_PSR_SS_PNS1_23onesweep_lookback_stateEbbT6_jjT7_P12ihipStream_tbENKUlT_T0_SG_SL_E_clIS9_SA_SB_SB_EEDaSZ_S10_SG_SL_EUlSZ_E_NS1_11comp_targetILNS1_3genE8ELNS1_11target_archE1030ELNS1_3gpuE2ELNS1_3repE0EEENS1_47radix_sort_onesweep_sort_config_static_selectorELNS0_4arch9wavefront6targetE0EEEvSG_,@function
_ZN7rocprim17ROCPRIM_400000_NS6detail17trampoline_kernelINS0_14default_configENS1_35radix_sort_onesweep_config_selectorIbNS0_10empty_typeEEEZZNS1_29radix_sort_onesweep_iterationIS3_Lb0EPKbPbPS5_SB_mNS0_19identity_decomposerENS1_16block_id_wrapperIjLb0EEEEE10hipError_tT1_PNSt15iterator_traitsISG_E10value_typeET2_T3_PNSH_ISM_E10value_typeET4_T5_PSR_SS_PNS1_23onesweep_lookback_stateEbbT6_jjT7_P12ihipStream_tbENKUlT_T0_SG_SL_E_clIS9_SA_SB_SB_EEDaSZ_S10_SG_SL_EUlSZ_E_NS1_11comp_targetILNS1_3genE8ELNS1_11target_archE1030ELNS1_3gpuE2ELNS1_3repE0EEENS1_47radix_sort_onesweep_sort_config_static_selectorELNS0_4arch9wavefront6targetE0EEEvSG_: ; @_ZN7rocprim17ROCPRIM_400000_NS6detail17trampoline_kernelINS0_14default_configENS1_35radix_sort_onesweep_config_selectorIbNS0_10empty_typeEEEZZNS1_29radix_sort_onesweep_iterationIS3_Lb0EPKbPbPS5_SB_mNS0_19identity_decomposerENS1_16block_id_wrapperIjLb0EEEEE10hipError_tT1_PNSt15iterator_traitsISG_E10value_typeET2_T3_PNSH_ISM_E10value_typeET4_T5_PSR_SS_PNS1_23onesweep_lookback_stateEbbT6_jjT7_P12ihipStream_tbENKUlT_T0_SG_SL_E_clIS9_SA_SB_SB_EEDaSZ_S10_SG_SL_EUlSZ_E_NS1_11comp_targetILNS1_3genE8ELNS1_11target_archE1030ELNS1_3gpuE2ELNS1_3repE0EEENS1_47radix_sort_onesweep_sort_config_static_selectorELNS0_4arch9wavefront6targetE0EEEvSG_
; %bb.0:
	.section	.rodata,"a",@progbits
	.p2align	6, 0x0
	.amdhsa_kernel _ZN7rocprim17ROCPRIM_400000_NS6detail17trampoline_kernelINS0_14default_configENS1_35radix_sort_onesweep_config_selectorIbNS0_10empty_typeEEEZZNS1_29radix_sort_onesweep_iterationIS3_Lb0EPKbPbPS5_SB_mNS0_19identity_decomposerENS1_16block_id_wrapperIjLb0EEEEE10hipError_tT1_PNSt15iterator_traitsISG_E10value_typeET2_T3_PNSH_ISM_E10value_typeET4_T5_PSR_SS_PNS1_23onesweep_lookback_stateEbbT6_jjT7_P12ihipStream_tbENKUlT_T0_SG_SL_E_clIS9_SA_SB_SB_EEDaSZ_S10_SG_SL_EUlSZ_E_NS1_11comp_targetILNS1_3genE8ELNS1_11target_archE1030ELNS1_3gpuE2ELNS1_3repE0EEENS1_47radix_sort_onesweep_sort_config_static_selectorELNS0_4arch9wavefront6targetE0EEEvSG_
		.amdhsa_group_segment_fixed_size 0
		.amdhsa_private_segment_fixed_size 0
		.amdhsa_kernarg_size 88
		.amdhsa_user_sgpr_count 2
		.amdhsa_user_sgpr_dispatch_ptr 0
		.amdhsa_user_sgpr_queue_ptr 0
		.amdhsa_user_sgpr_kernarg_segment_ptr 1
		.amdhsa_user_sgpr_dispatch_id 0
		.amdhsa_user_sgpr_kernarg_preload_length 0
		.amdhsa_user_sgpr_kernarg_preload_offset 0
		.amdhsa_user_sgpr_private_segment_size 0
		.amdhsa_wavefront_size32 1
		.amdhsa_uses_dynamic_stack 0
		.amdhsa_enable_private_segment 0
		.amdhsa_system_sgpr_workgroup_id_x 1
		.amdhsa_system_sgpr_workgroup_id_y 0
		.amdhsa_system_sgpr_workgroup_id_z 0
		.amdhsa_system_sgpr_workgroup_info 0
		.amdhsa_system_vgpr_workitem_id 0
		.amdhsa_next_free_vgpr 1
		.amdhsa_next_free_sgpr 1
		.amdhsa_named_barrier_count 0
		.amdhsa_reserve_vcc 0
		.amdhsa_float_round_mode_32 0
		.amdhsa_float_round_mode_16_64 0
		.amdhsa_float_denorm_mode_32 3
		.amdhsa_float_denorm_mode_16_64 3
		.amdhsa_fp16_overflow 0
		.amdhsa_memory_ordered 1
		.amdhsa_forward_progress 1
		.amdhsa_inst_pref_size 0
		.amdhsa_round_robin_scheduling 0
		.amdhsa_exception_fp_ieee_invalid_op 0
		.amdhsa_exception_fp_denorm_src 0
		.amdhsa_exception_fp_ieee_div_zero 0
		.amdhsa_exception_fp_ieee_overflow 0
		.amdhsa_exception_fp_ieee_underflow 0
		.amdhsa_exception_fp_ieee_inexact 0
		.amdhsa_exception_int_div_zero 0
	.end_amdhsa_kernel
	.section	.text._ZN7rocprim17ROCPRIM_400000_NS6detail17trampoline_kernelINS0_14default_configENS1_35radix_sort_onesweep_config_selectorIbNS0_10empty_typeEEEZZNS1_29radix_sort_onesweep_iterationIS3_Lb0EPKbPbPS5_SB_mNS0_19identity_decomposerENS1_16block_id_wrapperIjLb0EEEEE10hipError_tT1_PNSt15iterator_traitsISG_E10value_typeET2_T3_PNSH_ISM_E10value_typeET4_T5_PSR_SS_PNS1_23onesweep_lookback_stateEbbT6_jjT7_P12ihipStream_tbENKUlT_T0_SG_SL_E_clIS9_SA_SB_SB_EEDaSZ_S10_SG_SL_EUlSZ_E_NS1_11comp_targetILNS1_3genE8ELNS1_11target_archE1030ELNS1_3gpuE2ELNS1_3repE0EEENS1_47radix_sort_onesweep_sort_config_static_selectorELNS0_4arch9wavefront6targetE0EEEvSG_,"axG",@progbits,_ZN7rocprim17ROCPRIM_400000_NS6detail17trampoline_kernelINS0_14default_configENS1_35radix_sort_onesweep_config_selectorIbNS0_10empty_typeEEEZZNS1_29radix_sort_onesweep_iterationIS3_Lb0EPKbPbPS5_SB_mNS0_19identity_decomposerENS1_16block_id_wrapperIjLb0EEEEE10hipError_tT1_PNSt15iterator_traitsISG_E10value_typeET2_T3_PNSH_ISM_E10value_typeET4_T5_PSR_SS_PNS1_23onesweep_lookback_stateEbbT6_jjT7_P12ihipStream_tbENKUlT_T0_SG_SL_E_clIS9_SA_SB_SB_EEDaSZ_S10_SG_SL_EUlSZ_E_NS1_11comp_targetILNS1_3genE8ELNS1_11target_archE1030ELNS1_3gpuE2ELNS1_3repE0EEENS1_47radix_sort_onesweep_sort_config_static_selectorELNS0_4arch9wavefront6targetE0EEEvSG_,comdat
.Lfunc_end1878:
	.size	_ZN7rocprim17ROCPRIM_400000_NS6detail17trampoline_kernelINS0_14default_configENS1_35radix_sort_onesweep_config_selectorIbNS0_10empty_typeEEEZZNS1_29radix_sort_onesweep_iterationIS3_Lb0EPKbPbPS5_SB_mNS0_19identity_decomposerENS1_16block_id_wrapperIjLb0EEEEE10hipError_tT1_PNSt15iterator_traitsISG_E10value_typeET2_T3_PNSH_ISM_E10value_typeET4_T5_PSR_SS_PNS1_23onesweep_lookback_stateEbbT6_jjT7_P12ihipStream_tbENKUlT_T0_SG_SL_E_clIS9_SA_SB_SB_EEDaSZ_S10_SG_SL_EUlSZ_E_NS1_11comp_targetILNS1_3genE8ELNS1_11target_archE1030ELNS1_3gpuE2ELNS1_3repE0EEENS1_47radix_sort_onesweep_sort_config_static_selectorELNS0_4arch9wavefront6targetE0EEEvSG_, .Lfunc_end1878-_ZN7rocprim17ROCPRIM_400000_NS6detail17trampoline_kernelINS0_14default_configENS1_35radix_sort_onesweep_config_selectorIbNS0_10empty_typeEEEZZNS1_29radix_sort_onesweep_iterationIS3_Lb0EPKbPbPS5_SB_mNS0_19identity_decomposerENS1_16block_id_wrapperIjLb0EEEEE10hipError_tT1_PNSt15iterator_traitsISG_E10value_typeET2_T3_PNSH_ISM_E10value_typeET4_T5_PSR_SS_PNS1_23onesweep_lookback_stateEbbT6_jjT7_P12ihipStream_tbENKUlT_T0_SG_SL_E_clIS9_SA_SB_SB_EEDaSZ_S10_SG_SL_EUlSZ_E_NS1_11comp_targetILNS1_3genE8ELNS1_11target_archE1030ELNS1_3gpuE2ELNS1_3repE0EEENS1_47radix_sort_onesweep_sort_config_static_selectorELNS0_4arch9wavefront6targetE0EEEvSG_
                                        ; -- End function
	.set _ZN7rocprim17ROCPRIM_400000_NS6detail17trampoline_kernelINS0_14default_configENS1_35radix_sort_onesweep_config_selectorIbNS0_10empty_typeEEEZZNS1_29radix_sort_onesweep_iterationIS3_Lb0EPKbPbPS5_SB_mNS0_19identity_decomposerENS1_16block_id_wrapperIjLb0EEEEE10hipError_tT1_PNSt15iterator_traitsISG_E10value_typeET2_T3_PNSH_ISM_E10value_typeET4_T5_PSR_SS_PNS1_23onesweep_lookback_stateEbbT6_jjT7_P12ihipStream_tbENKUlT_T0_SG_SL_E_clIS9_SA_SB_SB_EEDaSZ_S10_SG_SL_EUlSZ_E_NS1_11comp_targetILNS1_3genE8ELNS1_11target_archE1030ELNS1_3gpuE2ELNS1_3repE0EEENS1_47radix_sort_onesweep_sort_config_static_selectorELNS0_4arch9wavefront6targetE0EEEvSG_.num_vgpr, 0
	.set _ZN7rocprim17ROCPRIM_400000_NS6detail17trampoline_kernelINS0_14default_configENS1_35radix_sort_onesweep_config_selectorIbNS0_10empty_typeEEEZZNS1_29radix_sort_onesweep_iterationIS3_Lb0EPKbPbPS5_SB_mNS0_19identity_decomposerENS1_16block_id_wrapperIjLb0EEEEE10hipError_tT1_PNSt15iterator_traitsISG_E10value_typeET2_T3_PNSH_ISM_E10value_typeET4_T5_PSR_SS_PNS1_23onesweep_lookback_stateEbbT6_jjT7_P12ihipStream_tbENKUlT_T0_SG_SL_E_clIS9_SA_SB_SB_EEDaSZ_S10_SG_SL_EUlSZ_E_NS1_11comp_targetILNS1_3genE8ELNS1_11target_archE1030ELNS1_3gpuE2ELNS1_3repE0EEENS1_47radix_sort_onesweep_sort_config_static_selectorELNS0_4arch9wavefront6targetE0EEEvSG_.num_agpr, 0
	.set _ZN7rocprim17ROCPRIM_400000_NS6detail17trampoline_kernelINS0_14default_configENS1_35radix_sort_onesweep_config_selectorIbNS0_10empty_typeEEEZZNS1_29radix_sort_onesweep_iterationIS3_Lb0EPKbPbPS5_SB_mNS0_19identity_decomposerENS1_16block_id_wrapperIjLb0EEEEE10hipError_tT1_PNSt15iterator_traitsISG_E10value_typeET2_T3_PNSH_ISM_E10value_typeET4_T5_PSR_SS_PNS1_23onesweep_lookback_stateEbbT6_jjT7_P12ihipStream_tbENKUlT_T0_SG_SL_E_clIS9_SA_SB_SB_EEDaSZ_S10_SG_SL_EUlSZ_E_NS1_11comp_targetILNS1_3genE8ELNS1_11target_archE1030ELNS1_3gpuE2ELNS1_3repE0EEENS1_47radix_sort_onesweep_sort_config_static_selectorELNS0_4arch9wavefront6targetE0EEEvSG_.numbered_sgpr, 0
	.set _ZN7rocprim17ROCPRIM_400000_NS6detail17trampoline_kernelINS0_14default_configENS1_35radix_sort_onesweep_config_selectorIbNS0_10empty_typeEEEZZNS1_29radix_sort_onesweep_iterationIS3_Lb0EPKbPbPS5_SB_mNS0_19identity_decomposerENS1_16block_id_wrapperIjLb0EEEEE10hipError_tT1_PNSt15iterator_traitsISG_E10value_typeET2_T3_PNSH_ISM_E10value_typeET4_T5_PSR_SS_PNS1_23onesweep_lookback_stateEbbT6_jjT7_P12ihipStream_tbENKUlT_T0_SG_SL_E_clIS9_SA_SB_SB_EEDaSZ_S10_SG_SL_EUlSZ_E_NS1_11comp_targetILNS1_3genE8ELNS1_11target_archE1030ELNS1_3gpuE2ELNS1_3repE0EEENS1_47radix_sort_onesweep_sort_config_static_selectorELNS0_4arch9wavefront6targetE0EEEvSG_.num_named_barrier, 0
	.set _ZN7rocprim17ROCPRIM_400000_NS6detail17trampoline_kernelINS0_14default_configENS1_35radix_sort_onesweep_config_selectorIbNS0_10empty_typeEEEZZNS1_29radix_sort_onesweep_iterationIS3_Lb0EPKbPbPS5_SB_mNS0_19identity_decomposerENS1_16block_id_wrapperIjLb0EEEEE10hipError_tT1_PNSt15iterator_traitsISG_E10value_typeET2_T3_PNSH_ISM_E10value_typeET4_T5_PSR_SS_PNS1_23onesweep_lookback_stateEbbT6_jjT7_P12ihipStream_tbENKUlT_T0_SG_SL_E_clIS9_SA_SB_SB_EEDaSZ_S10_SG_SL_EUlSZ_E_NS1_11comp_targetILNS1_3genE8ELNS1_11target_archE1030ELNS1_3gpuE2ELNS1_3repE0EEENS1_47radix_sort_onesweep_sort_config_static_selectorELNS0_4arch9wavefront6targetE0EEEvSG_.private_seg_size, 0
	.set _ZN7rocprim17ROCPRIM_400000_NS6detail17trampoline_kernelINS0_14default_configENS1_35radix_sort_onesweep_config_selectorIbNS0_10empty_typeEEEZZNS1_29radix_sort_onesweep_iterationIS3_Lb0EPKbPbPS5_SB_mNS0_19identity_decomposerENS1_16block_id_wrapperIjLb0EEEEE10hipError_tT1_PNSt15iterator_traitsISG_E10value_typeET2_T3_PNSH_ISM_E10value_typeET4_T5_PSR_SS_PNS1_23onesweep_lookback_stateEbbT6_jjT7_P12ihipStream_tbENKUlT_T0_SG_SL_E_clIS9_SA_SB_SB_EEDaSZ_S10_SG_SL_EUlSZ_E_NS1_11comp_targetILNS1_3genE8ELNS1_11target_archE1030ELNS1_3gpuE2ELNS1_3repE0EEENS1_47radix_sort_onesweep_sort_config_static_selectorELNS0_4arch9wavefront6targetE0EEEvSG_.uses_vcc, 0
	.set _ZN7rocprim17ROCPRIM_400000_NS6detail17trampoline_kernelINS0_14default_configENS1_35radix_sort_onesweep_config_selectorIbNS0_10empty_typeEEEZZNS1_29radix_sort_onesweep_iterationIS3_Lb0EPKbPbPS5_SB_mNS0_19identity_decomposerENS1_16block_id_wrapperIjLb0EEEEE10hipError_tT1_PNSt15iterator_traitsISG_E10value_typeET2_T3_PNSH_ISM_E10value_typeET4_T5_PSR_SS_PNS1_23onesweep_lookback_stateEbbT6_jjT7_P12ihipStream_tbENKUlT_T0_SG_SL_E_clIS9_SA_SB_SB_EEDaSZ_S10_SG_SL_EUlSZ_E_NS1_11comp_targetILNS1_3genE8ELNS1_11target_archE1030ELNS1_3gpuE2ELNS1_3repE0EEENS1_47radix_sort_onesweep_sort_config_static_selectorELNS0_4arch9wavefront6targetE0EEEvSG_.uses_flat_scratch, 0
	.set _ZN7rocprim17ROCPRIM_400000_NS6detail17trampoline_kernelINS0_14default_configENS1_35radix_sort_onesweep_config_selectorIbNS0_10empty_typeEEEZZNS1_29radix_sort_onesweep_iterationIS3_Lb0EPKbPbPS5_SB_mNS0_19identity_decomposerENS1_16block_id_wrapperIjLb0EEEEE10hipError_tT1_PNSt15iterator_traitsISG_E10value_typeET2_T3_PNSH_ISM_E10value_typeET4_T5_PSR_SS_PNS1_23onesweep_lookback_stateEbbT6_jjT7_P12ihipStream_tbENKUlT_T0_SG_SL_E_clIS9_SA_SB_SB_EEDaSZ_S10_SG_SL_EUlSZ_E_NS1_11comp_targetILNS1_3genE8ELNS1_11target_archE1030ELNS1_3gpuE2ELNS1_3repE0EEENS1_47radix_sort_onesweep_sort_config_static_selectorELNS0_4arch9wavefront6targetE0EEEvSG_.has_dyn_sized_stack, 0
	.set _ZN7rocprim17ROCPRIM_400000_NS6detail17trampoline_kernelINS0_14default_configENS1_35radix_sort_onesweep_config_selectorIbNS0_10empty_typeEEEZZNS1_29radix_sort_onesweep_iterationIS3_Lb0EPKbPbPS5_SB_mNS0_19identity_decomposerENS1_16block_id_wrapperIjLb0EEEEE10hipError_tT1_PNSt15iterator_traitsISG_E10value_typeET2_T3_PNSH_ISM_E10value_typeET4_T5_PSR_SS_PNS1_23onesweep_lookback_stateEbbT6_jjT7_P12ihipStream_tbENKUlT_T0_SG_SL_E_clIS9_SA_SB_SB_EEDaSZ_S10_SG_SL_EUlSZ_E_NS1_11comp_targetILNS1_3genE8ELNS1_11target_archE1030ELNS1_3gpuE2ELNS1_3repE0EEENS1_47radix_sort_onesweep_sort_config_static_selectorELNS0_4arch9wavefront6targetE0EEEvSG_.has_recursion, 0
	.set _ZN7rocprim17ROCPRIM_400000_NS6detail17trampoline_kernelINS0_14default_configENS1_35radix_sort_onesweep_config_selectorIbNS0_10empty_typeEEEZZNS1_29radix_sort_onesweep_iterationIS3_Lb0EPKbPbPS5_SB_mNS0_19identity_decomposerENS1_16block_id_wrapperIjLb0EEEEE10hipError_tT1_PNSt15iterator_traitsISG_E10value_typeET2_T3_PNSH_ISM_E10value_typeET4_T5_PSR_SS_PNS1_23onesweep_lookback_stateEbbT6_jjT7_P12ihipStream_tbENKUlT_T0_SG_SL_E_clIS9_SA_SB_SB_EEDaSZ_S10_SG_SL_EUlSZ_E_NS1_11comp_targetILNS1_3genE8ELNS1_11target_archE1030ELNS1_3gpuE2ELNS1_3repE0EEENS1_47radix_sort_onesweep_sort_config_static_selectorELNS0_4arch9wavefront6targetE0EEEvSG_.has_indirect_call, 0
	.section	.AMDGPU.csdata,"",@progbits
; Kernel info:
; codeLenInByte = 0
; TotalNumSgprs: 0
; NumVgprs: 0
; ScratchSize: 0
; MemoryBound: 0
; FloatMode: 240
; IeeeMode: 1
; LDSByteSize: 0 bytes/workgroup (compile time only)
; SGPRBlocks: 0
; VGPRBlocks: 0
; NumSGPRsForWavesPerEU: 1
; NumVGPRsForWavesPerEU: 1
; NamedBarCnt: 0
; Occupancy: 16
; WaveLimiterHint : 0
; COMPUTE_PGM_RSRC2:SCRATCH_EN: 0
; COMPUTE_PGM_RSRC2:USER_SGPR: 2
; COMPUTE_PGM_RSRC2:TRAP_HANDLER: 0
; COMPUTE_PGM_RSRC2:TGID_X_EN: 1
; COMPUTE_PGM_RSRC2:TGID_Y_EN: 0
; COMPUTE_PGM_RSRC2:TGID_Z_EN: 0
; COMPUTE_PGM_RSRC2:TIDIG_COMP_CNT: 0
	.section	.text._ZN7rocprim17ROCPRIM_400000_NS6detail17trampoline_kernelINS0_14default_configENS1_35radix_sort_onesweep_config_selectorIbNS0_10empty_typeEEEZZNS1_29radix_sort_onesweep_iterationIS3_Lb0EPKbPbPS5_SB_mNS0_19identity_decomposerENS1_16block_id_wrapperIjLb0EEEEE10hipError_tT1_PNSt15iterator_traitsISG_E10value_typeET2_T3_PNSH_ISM_E10value_typeET4_T5_PSR_SS_PNS1_23onesweep_lookback_stateEbbT6_jjT7_P12ihipStream_tbENKUlT_T0_SG_SL_E_clISA_SA_SB_SB_EEDaSZ_S10_SG_SL_EUlSZ_E_NS1_11comp_targetILNS1_3genE0ELNS1_11target_archE4294967295ELNS1_3gpuE0ELNS1_3repE0EEENS1_47radix_sort_onesweep_sort_config_static_selectorELNS0_4arch9wavefront6targetE0EEEvSG_,"axG",@progbits,_ZN7rocprim17ROCPRIM_400000_NS6detail17trampoline_kernelINS0_14default_configENS1_35radix_sort_onesweep_config_selectorIbNS0_10empty_typeEEEZZNS1_29radix_sort_onesweep_iterationIS3_Lb0EPKbPbPS5_SB_mNS0_19identity_decomposerENS1_16block_id_wrapperIjLb0EEEEE10hipError_tT1_PNSt15iterator_traitsISG_E10value_typeET2_T3_PNSH_ISM_E10value_typeET4_T5_PSR_SS_PNS1_23onesweep_lookback_stateEbbT6_jjT7_P12ihipStream_tbENKUlT_T0_SG_SL_E_clISA_SA_SB_SB_EEDaSZ_S10_SG_SL_EUlSZ_E_NS1_11comp_targetILNS1_3genE0ELNS1_11target_archE4294967295ELNS1_3gpuE0ELNS1_3repE0EEENS1_47radix_sort_onesweep_sort_config_static_selectorELNS0_4arch9wavefront6targetE0EEEvSG_,comdat
	.protected	_ZN7rocprim17ROCPRIM_400000_NS6detail17trampoline_kernelINS0_14default_configENS1_35radix_sort_onesweep_config_selectorIbNS0_10empty_typeEEEZZNS1_29radix_sort_onesweep_iterationIS3_Lb0EPKbPbPS5_SB_mNS0_19identity_decomposerENS1_16block_id_wrapperIjLb0EEEEE10hipError_tT1_PNSt15iterator_traitsISG_E10value_typeET2_T3_PNSH_ISM_E10value_typeET4_T5_PSR_SS_PNS1_23onesweep_lookback_stateEbbT6_jjT7_P12ihipStream_tbENKUlT_T0_SG_SL_E_clISA_SA_SB_SB_EEDaSZ_S10_SG_SL_EUlSZ_E_NS1_11comp_targetILNS1_3genE0ELNS1_11target_archE4294967295ELNS1_3gpuE0ELNS1_3repE0EEENS1_47radix_sort_onesweep_sort_config_static_selectorELNS0_4arch9wavefront6targetE0EEEvSG_ ; -- Begin function _ZN7rocprim17ROCPRIM_400000_NS6detail17trampoline_kernelINS0_14default_configENS1_35radix_sort_onesweep_config_selectorIbNS0_10empty_typeEEEZZNS1_29radix_sort_onesweep_iterationIS3_Lb0EPKbPbPS5_SB_mNS0_19identity_decomposerENS1_16block_id_wrapperIjLb0EEEEE10hipError_tT1_PNSt15iterator_traitsISG_E10value_typeET2_T3_PNSH_ISM_E10value_typeET4_T5_PSR_SS_PNS1_23onesweep_lookback_stateEbbT6_jjT7_P12ihipStream_tbENKUlT_T0_SG_SL_E_clISA_SA_SB_SB_EEDaSZ_S10_SG_SL_EUlSZ_E_NS1_11comp_targetILNS1_3genE0ELNS1_11target_archE4294967295ELNS1_3gpuE0ELNS1_3repE0EEENS1_47radix_sort_onesweep_sort_config_static_selectorELNS0_4arch9wavefront6targetE0EEEvSG_
	.globl	_ZN7rocprim17ROCPRIM_400000_NS6detail17trampoline_kernelINS0_14default_configENS1_35radix_sort_onesweep_config_selectorIbNS0_10empty_typeEEEZZNS1_29radix_sort_onesweep_iterationIS3_Lb0EPKbPbPS5_SB_mNS0_19identity_decomposerENS1_16block_id_wrapperIjLb0EEEEE10hipError_tT1_PNSt15iterator_traitsISG_E10value_typeET2_T3_PNSH_ISM_E10value_typeET4_T5_PSR_SS_PNS1_23onesweep_lookback_stateEbbT6_jjT7_P12ihipStream_tbENKUlT_T0_SG_SL_E_clISA_SA_SB_SB_EEDaSZ_S10_SG_SL_EUlSZ_E_NS1_11comp_targetILNS1_3genE0ELNS1_11target_archE4294967295ELNS1_3gpuE0ELNS1_3repE0EEENS1_47radix_sort_onesweep_sort_config_static_selectorELNS0_4arch9wavefront6targetE0EEEvSG_
	.p2align	8
	.type	_ZN7rocprim17ROCPRIM_400000_NS6detail17trampoline_kernelINS0_14default_configENS1_35radix_sort_onesweep_config_selectorIbNS0_10empty_typeEEEZZNS1_29radix_sort_onesweep_iterationIS3_Lb0EPKbPbPS5_SB_mNS0_19identity_decomposerENS1_16block_id_wrapperIjLb0EEEEE10hipError_tT1_PNSt15iterator_traitsISG_E10value_typeET2_T3_PNSH_ISM_E10value_typeET4_T5_PSR_SS_PNS1_23onesweep_lookback_stateEbbT6_jjT7_P12ihipStream_tbENKUlT_T0_SG_SL_E_clISA_SA_SB_SB_EEDaSZ_S10_SG_SL_EUlSZ_E_NS1_11comp_targetILNS1_3genE0ELNS1_11target_archE4294967295ELNS1_3gpuE0ELNS1_3repE0EEENS1_47radix_sort_onesweep_sort_config_static_selectorELNS0_4arch9wavefront6targetE0EEEvSG_,@function
_ZN7rocprim17ROCPRIM_400000_NS6detail17trampoline_kernelINS0_14default_configENS1_35radix_sort_onesweep_config_selectorIbNS0_10empty_typeEEEZZNS1_29radix_sort_onesweep_iterationIS3_Lb0EPKbPbPS5_SB_mNS0_19identity_decomposerENS1_16block_id_wrapperIjLb0EEEEE10hipError_tT1_PNSt15iterator_traitsISG_E10value_typeET2_T3_PNSH_ISM_E10value_typeET4_T5_PSR_SS_PNS1_23onesweep_lookback_stateEbbT6_jjT7_P12ihipStream_tbENKUlT_T0_SG_SL_E_clISA_SA_SB_SB_EEDaSZ_S10_SG_SL_EUlSZ_E_NS1_11comp_targetILNS1_3genE0ELNS1_11target_archE4294967295ELNS1_3gpuE0ELNS1_3repE0EEENS1_47radix_sort_onesweep_sort_config_static_selectorELNS0_4arch9wavefront6targetE0EEEvSG_: ; @_ZN7rocprim17ROCPRIM_400000_NS6detail17trampoline_kernelINS0_14default_configENS1_35radix_sort_onesweep_config_selectorIbNS0_10empty_typeEEEZZNS1_29radix_sort_onesweep_iterationIS3_Lb0EPKbPbPS5_SB_mNS0_19identity_decomposerENS1_16block_id_wrapperIjLb0EEEEE10hipError_tT1_PNSt15iterator_traitsISG_E10value_typeET2_T3_PNSH_ISM_E10value_typeET4_T5_PSR_SS_PNS1_23onesweep_lookback_stateEbbT6_jjT7_P12ihipStream_tbENKUlT_T0_SG_SL_E_clISA_SA_SB_SB_EEDaSZ_S10_SG_SL_EUlSZ_E_NS1_11comp_targetILNS1_3genE0ELNS1_11target_archE4294967295ELNS1_3gpuE0ELNS1_3repE0EEENS1_47radix_sort_onesweep_sort_config_static_selectorELNS0_4arch9wavefront6targetE0EEEvSG_
; %bb.0:
	s_clause 0x3
	s_load_b96 s[16:18], s[0:1], 0x44
	s_load_b64 s[20:21], s[0:1], 0x38
	s_load_b128 s[12:15], s[0:1], 0x0
	s_load_b128 s[8:11], s[0:1], 0x28
	s_bfe_u32 s2, ttmp6, 0x4000c
	s_and_b32 s3, ttmp6, 15
	s_add_co_i32 s2, s2, 1
	s_getreg_b32 s4, hwreg(HW_REG_IB_STS2, 6, 4)
	s_mul_i32 s2, ttmp9, s2
	v_mul_u32_u24_e32 v6, 22, v0
	s_add_co_i32 s3, s3, s2
	s_cmp_eq_u32 s4, 0
	s_mov_b32 s23, 0
	s_cselect_b32 s19, ttmp9, s3
	s_mov_b32 s2, -1
	s_mul_i32 s22, s19, 0x5800
	s_wait_kmcnt 0x0
	s_cmp_ge_u32 s19, s18
	s_cbranch_scc0 .LBB1879_112
; %bb.1:
	s_load_b32 s4, s[0:1], 0x20
	v_dual_mov_b32 v7, 0 :: v_dual_mov_b32 v4, 1
	s_add_nc_u64 s[2:3], s[12:13], s[22:23]
	v_dual_mov_b32 v1, 1 :: v_dual_mov_b32 v5, 1
	s_delay_alu instid0(VALU_DEP_2) | instskip(SKIP_4) | instid1(SALU_CYCLE_1)
	v_add_nc_u64_e32 v[2:3], s[2:3], v[6:7]
	s_mul_i32 s5, s18, 0xffffa800
	s_mov_b32 s2, exec_lo
	s_wait_kmcnt 0x0
	s_add_co_i32 s18, s4, s5
	v_cmpx_gt_u32_e64 s18, v6
	s_cbranch_execz .LBB1879_3
; %bb.2:
	global_load_u8 v5, v[2:3], off
	s_wait_loadcnt 0x0
	v_and_b32_e32 v4, 1, v5
.LBB1879_3:
	s_or_b32 exec_lo, exec_lo, s2
	v_dual_mov_b32 v28, 1 :: v_dual_bitop2_b32 v7, 1, v6 bitop3:0x54
	s_mov_b32 s2, exec_lo
	s_delay_alu instid0(VALU_DEP_1)
	v_cmpx_gt_u32_e64 s18, v7
	s_cbranch_execz .LBB1879_5
; %bb.4:
	global_load_u8 v1, v[2:3], off offset:1
	s_wait_loadcnt 0x0
	v_and_b32_e32 v28, 1, v1
.LBB1879_5:
	s_or_b32 exec_lo, exec_lo, s2
	v_dual_mov_b32 v29, 1 :: v_dual_add_nc_u32 v8, 2, v6
	v_mov_b32_e32 v7, 1
	s_delay_alu instid0(VALU_DEP_2)
	v_cmp_gt_u32_e32 vcc_lo, s18, v8
	v_mov_b32_e32 v8, 1
	s_and_saveexec_b32 s2, vcc_lo
	s_cbranch_execz .LBB1879_7
; %bb.6:
	global_load_u8 v8, v[2:3], off offset:2
	s_wait_loadcnt 0x0
	v_and_b32_e32 v29, 1, v8
.LBB1879_7:
	s_or_b32 exec_lo, exec_lo, s2
	v_dual_mov_b32 v30, 1 :: v_dual_add_nc_u32 v9, 3, v6
	s_mov_b32 s2, exec_lo
	s_delay_alu instid0(VALU_DEP_1)
	v_cmpx_gt_u32_e64 s18, v9
	s_cbranch_execz .LBB1879_9
; %bb.8:
	global_load_u8 v7, v[2:3], off offset:3
	s_wait_loadcnt 0x0
	v_and_b32_e32 v30, 1, v7
.LBB1879_9:
	s_or_b32 exec_lo, exec_lo, s2
	v_dual_mov_b32 v31, 1 :: v_dual_add_nc_u32 v10, 4, v6
	v_mov_b32_e32 v9, 1
	s_delay_alu instid0(VALU_DEP_2)
	v_cmp_gt_u32_e32 vcc_lo, s18, v10
	v_mov_b32_e32 v10, 1
	s_and_saveexec_b32 s2, vcc_lo
	s_cbranch_execz .LBB1879_11
; %bb.10:
	global_load_u8 v10, v[2:3], off offset:4
	s_wait_loadcnt 0x0
	v_and_b32_e32 v31, 1, v10
.LBB1879_11:
	s_or_b32 exec_lo, exec_lo, s2
	v_dual_mov_b32 v32, 1 :: v_dual_add_nc_u32 v11, 5, v6
	;; [unrolled: 24-line block ×7, first 2 shown]
	s_mov_b32 s2, exec_lo
	s_delay_alu instid0(VALU_DEP_1)
	v_cmpx_gt_u32_e64 s18, v21
	s_cbranch_execz .LBB1879_33
; %bb.32:
	global_load_u8 v19, v[2:3], off offset:15
	s_wait_loadcnt 0x0
	v_and_b32_e32 v42, 1, v19
.LBB1879_33:
	s_or_b32 exec_lo, exec_lo, s2
	v_dual_mov_b32 v43, 1 :: v_dual_add_nc_u32 v22, 16, v6
	v_mov_b32_e32 v21, 1
	s_delay_alu instid0(VALU_DEP_2)
	v_cmp_gt_u32_e32 vcc_lo, s18, v22
	v_mov_b32_e32 v22, 1
	s_and_saveexec_b32 s2, vcc_lo
	s_cbranch_execz .LBB1879_35
; %bb.34:
	global_load_u8 v22, v[2:3], off offset:16
	s_wait_loadcnt 0x0
	v_and_b32_e32 v43, 1, v22
.LBB1879_35:
	s_or_b32 exec_lo, exec_lo, s2
	v_dual_add_nc_u32 v23, 17, v6 :: v_dual_mov_b32 v45, 1
	s_mov_b32 s2, exec_lo
	s_delay_alu instid0(VALU_DEP_1)
	v_cmpx_gt_u32_e64 s18, v23
	s_cbranch_execz .LBB1879_37
; %bb.36:
	global_load_u8 v21, v[2:3], off offset:17
	s_wait_loadcnt 0x0
	v_and_b32_e32 v45, 1, v21
.LBB1879_37:
	s_or_b32 exec_lo, exec_lo, s2
	v_dual_mov_b32 v47, 1 :: v_dual_add_nc_u32 v24, 18, v6
	v_mov_b32_e32 v23, 1
	s_delay_alu instid0(VALU_DEP_2)
	v_cmp_gt_u32_e32 vcc_lo, s18, v24
	v_mov_b32_e32 v24, 1
	s_and_saveexec_b32 s2, vcc_lo
	s_cbranch_execz .LBB1879_39
; %bb.38:
	global_load_u8 v24, v[2:3], off offset:18
	s_wait_loadcnt 0x0
	v_and_b32_e32 v47, 1, v24
.LBB1879_39:
	s_or_b32 exec_lo, exec_lo, s2
	v_dual_add_nc_u32 v25, 19, v6 :: v_dual_mov_b32 v49, 1
	;; [unrolled: 24-line block ×3, first 2 shown]
	s_mov_b32 s2, exec_lo
	s_delay_alu instid0(VALU_DEP_1)
	v_cmpx_gt_u32_e64 s18, v27
	s_cbranch_execz .LBB1879_45
; %bb.44:
	global_load_u8 v25, v[2:3], off offset:21
	s_wait_loadcnt 0x0
	v_and_b32_e32 v53, 1, v25
.LBB1879_45:
	s_or_b32 exec_lo, exec_lo, s2
	v_dual_mov_b32 v3, 0 :: v_dual_lshrrev_b32 v2, s16, v4
	s_lshl_b32 s23, -1, s17
	v_dual_lshlrev_b32 v67, 2, v0 :: v_dual_lshrrev_b32 v31, s16, v31
	v_lshrrev_b32_e32 v32, s16, v32
	s_delay_alu instid0(VALU_DEP_3)
	v_bitop3_b32 v2, v2, s23, v2 bitop3:0x30
	ds_store_2addr_stride64_b32 v67, v3, v3 offset1:16
	ds_store_2addr_stride64_b32 v67, v3, v3 offset0:32 offset1:48
	ds_store_2addr_stride64_b32 v67, v3, v3 offset0:64 offset1:80
	ds_store_2addr_stride64_b32 v67, v3, v3 offset0:96 offset1:112
	v_dual_lshrrev_b32 v3, s16, v28 :: v_dual_lshrrev_b32 v30, s16, v30
	v_lshl_or_b32 v2, v2, 12, v67
	v_bitop3_b32 v31, v31, s23, v31 bitop3:0x30
	v_bitop3_b32 v32, v32, s23, v32 bitop3:0x30
	s_delay_alu instid0(VALU_DEP_4)
	v_bitop3_b32 v3, v3, s23, v3 bitop3:0x30
	v_bitop3_b32 v30, v30, s23, v30 bitop3:0x30
	ds_load_u16 v27, v2
	v_dual_lshrrev_b32 v33, s16, v33 :: v_dual_lshrrev_b32 v34, s16, v34
	v_dual_lshrrev_b32 v35, s16, v35 :: v_dual_lshrrev_b32 v36, s16, v36
	;; [unrolled: 1-line block ×3, first 2 shown]
	s_delay_alu instid0(VALU_DEP_3) | instskip(NEXT) | instid1(VALU_DEP_4)
	v_bitop3_b32 v33, v33, s23, v33 bitop3:0x30
	v_bitop3_b32 v34, v34, s23, v34 bitop3:0x30
	s_delay_alu instid0(VALU_DEP_4)
	v_bitop3_b32 v35, v35, s23, v35 bitop3:0x30
	v_bitop3_b32 v36, v36, s23, v36 bitop3:0x30
	v_bitop3_b32 v37, v37, s23, v37 bitop3:0x30
	v_bitop3_b32 v38, v38, s23, v38 bitop3:0x30
	v_dual_lshrrev_b32 v39, s16, v39 :: v_dual_lshrrev_b32 v40, s16, v40
	v_dual_lshrrev_b32 v41, s16, v41 :: v_dual_lshrrev_b32 v42, s16, v42
	;; [unrolled: 1-line block ×3, first 2 shown]
	s_delay_alu instid0(VALU_DEP_3)
	v_bitop3_b32 v39, v39, s23, v39 bitop3:0x30
	s_wait_dscnt 0x0
	v_add_nc_u16 v4, v27, 1
	v_bitop3_b32 v40, v40, s23, v40 bitop3:0x30
	v_bitop3_b32 v41, v41, s23, v41 bitop3:0x30
	;; [unrolled: 1-line block ×4, first 2 shown]
	ds_store_b16 v2, v4
	v_lshrrev_b32_e32 v4, s16, v29
	v_lshl_or_b32 v3, v3, 12, v67
	v_lshl_or_b32 v44, v30, 12, v67
	v_bitop3_b32 v45, v45, s23, v45 bitop3:0x30
	v_dual_lshrrev_b32 v47, s16, v47 :: v_dual_lshrrev_b32 v49, s16, v49
	ds_load_u16 v28, v3
	v_bitop3_b32 v4, v4, s23, v4 bitop3:0x30
	v_dual_lshrrev_b32 v51, s16, v51 :: v_dual_lshrrev_b32 v53, s16, v53
	v_bitop3_b32 v47, v47, s23, v47 bitop3:0x30
	v_bitop3_b32 v49, v49, s23, v49 bitop3:0x30
	s_delay_alu instid0(VALU_DEP_4) | instskip(NEXT) | instid1(VALU_DEP_4)
	v_lshl_or_b32 v4, v4, 12, v67
	v_bitop3_b32 v51, v51, s23, v51 bitop3:0x30
	v_bitop3_b32 v53, v53, s23, v53 bitop3:0x30
	s_mov_b32 s7, exec_lo
	s_wait_dscnt 0x0
	v_add_nc_u16 v29, v28, 1
	ds_store_b16 v3, v29
	ds_load_u16 v29, v4
	s_wait_dscnt 0x0
	v_add_nc_u16 v46, v29, 1
	ds_store_b16 v4, v46
	ds_load_u16 v30, v44
	v_lshl_or_b32 v46, v31, 12, v67
	s_wait_dscnt 0x0
	v_add_nc_u16 v48, v30, 1
	ds_store_b16 v44, v48
	ds_load_u16 v31, v46
	v_lshl_or_b32 v48, v32, 12, v67
	;; [unrolled: 5-line block ×17, first 2 shown]
	v_lshl_or_b32 v67, v53, 12, v67
	s_wait_dscnt 0x0
	v_add_nc_u16 v68, v49, 1
	ds_store_b16 v65, v68
	ds_load_u16 v51, v66
	s_wait_dscnt 0x0
	v_add_nc_u16 v68, v51, 1
	ds_store_b16 v66, v68
	ds_load_u16 v53, v67
	v_lshlrev_b32_e32 v68, 5, v0
	s_wait_dscnt 0x0
	v_add_nc_u16 v69, v53, 1
	ds_store_b16 v67, v69
	s_wait_dscnt 0x0
	s_barrier_signal -1
	s_barrier_wait -1
	ds_load_2addr_b64 v[70:73], v68 offset1:1
	ds_load_2addr_b64 v[74:77], v68 offset0:2 offset1:3
	s_wait_dscnt 0x1
	v_add_nc_u32_e32 v69, v71, v70
	s_delay_alu instid0(VALU_DEP_1) | instskip(SKIP_2) | instid1(VALU_DEP_2)
	v_add3_u32 v69, v69, v72, v73
	v_and_b32_e32 v73, 31, v0
	s_wait_dscnt 0x0
	v_add3_u32 v70, v69, v74, v75
	v_mbcnt_lo_u32_b32 v69, -1, 0
	s_delay_alu instid0(VALU_DEP_2) | instskip(NEXT) | instid1(VALU_DEP_2)
	v_add3_u32 v70, v70, v76, v77
	v_and_b32_e32 v71, 15, v69
	s_delay_alu instid0(VALU_DEP_2) | instskip(NEXT) | instid1(VALU_DEP_2)
	v_mov_b32_dpp v72, v70 row_shr:1 row_mask:0xf bank_mask:0xf
	v_cmp_eq_u32_e32 vcc_lo, 0, v71
	s_delay_alu instid0(VALU_DEP_2) | instskip(NEXT) | instid1(VALU_DEP_1)
	v_cndmask_b32_e64 v72, v72, 0, vcc_lo
	v_add_nc_u32_e32 v70, v72, v70
	v_cmp_lt_u32_e64 s2, 1, v71
	v_cmp_lt_u32_e64 s3, 3, v71
	;; [unrolled: 1-line block ×3, first 2 shown]
	s_delay_alu instid0(VALU_DEP_4) | instskip(NEXT) | instid1(VALU_DEP_1)
	v_mov_b32_dpp v72, v70 row_shr:2 row_mask:0xf bank_mask:0xf
	v_cndmask_b32_e64 v72, 0, v72, s2
	s_delay_alu instid0(VALU_DEP_1) | instskip(NEXT) | instid1(VALU_DEP_1)
	v_add_nc_u32_e32 v70, v70, v72
	v_mov_b32_dpp v72, v70 row_shr:4 row_mask:0xf bank_mask:0xf
	s_delay_alu instid0(VALU_DEP_1) | instskip(NEXT) | instid1(VALU_DEP_1)
	v_cndmask_b32_e64 v72, 0, v72, s3
	v_add_nc_u32_e32 v70, v70, v72
	s_delay_alu instid0(VALU_DEP_1) | instskip(NEXT) | instid1(VALU_DEP_1)
	v_mov_b32_dpp v72, v70 row_shr:8 row_mask:0xf bank_mask:0xf
	v_cndmask_b32_e64 v71, 0, v72, s4
	v_bfe_i32 v72, v69, 4, 1
	s_delay_alu instid0(VALU_DEP_2) | instskip(SKIP_4) | instid1(VALU_DEP_2)
	v_add_nc_u32_e32 v70, v70, v71
	ds_swizzle_b32 v71, v70 offset:swizzle(BROADCAST,32,15)
	s_wait_dscnt 0x0
	v_and_b32_e32 v71, v72, v71
	v_dual_lshrrev_b32 v72, 5, v0 :: v_dual_bitop2_b32 v74, 16, v69 bitop3:0x40
	v_add_nc_u32_e32 v70, v70, v71
	s_delay_alu instid0(VALU_DEP_2) | instskip(NEXT) | instid1(VALU_DEP_3)
	v_cmp_eq_u32_e64 s5, 0, v74
	v_lshlrev_b32_e32 v71, 2, v72
	v_cmpx_eq_u32_e32 31, v73
; %bb.46:
	ds_store_b32 v71, v70 offset:32768
; %bb.47:
	s_or_b32 exec_lo, exec_lo, s7
	v_cmp_lt_u32_e64 s6, 31, v0
	s_mov_b32 s24, exec_lo
	s_wait_dscnt 0x0
	s_barrier_signal -1
	s_barrier_wait -1
	v_cmpx_gt_u32_e32 32, v0
	s_cbranch_execz .LBB1879_49
; %bb.48:
	v_mad_i32_i24 v72, 0xffffffe4, v0, v68
	ds_load_b32 v73, v72 offset:32768
	s_wait_dscnt 0x0
	v_mov_b32_dpp v74, v73 row_shr:1 row_mask:0xf bank_mask:0xf
	s_delay_alu instid0(VALU_DEP_1) | instskip(NEXT) | instid1(VALU_DEP_1)
	v_cndmask_b32_e64 v74, v74, 0, vcc_lo
	v_add_nc_u32_e32 v73, v74, v73
	s_delay_alu instid0(VALU_DEP_1) | instskip(NEXT) | instid1(VALU_DEP_1)
	v_mov_b32_dpp v74, v73 row_shr:2 row_mask:0xf bank_mask:0xf
	v_cndmask_b32_e64 v74, 0, v74, s2
	s_delay_alu instid0(VALU_DEP_1) | instskip(NEXT) | instid1(VALU_DEP_1)
	v_add_nc_u32_e32 v73, v73, v74
	v_mov_b32_dpp v74, v73 row_shr:4 row_mask:0xf bank_mask:0xf
	s_delay_alu instid0(VALU_DEP_1) | instskip(NEXT) | instid1(VALU_DEP_1)
	v_cndmask_b32_e64 v74, 0, v74, s3
	v_add_nc_u32_e32 v73, v73, v74
	s_delay_alu instid0(VALU_DEP_1) | instskip(NEXT) | instid1(VALU_DEP_1)
	v_mov_b32_dpp v74, v73 row_shr:8 row_mask:0xf bank_mask:0xf
	v_cndmask_b32_e64 v74, 0, v74, s4
	s_delay_alu instid0(VALU_DEP_1) | instskip(SKIP_3) | instid1(VALU_DEP_1)
	v_add_nc_u32_e32 v73, v73, v74
	ds_swizzle_b32 v74, v73 offset:swizzle(BROADCAST,32,15)
	s_wait_dscnt 0x0
	v_cndmask_b32_e64 v74, v74, 0, s5
	v_add_nc_u32_e32 v73, v73, v74
	ds_store_b32 v72, v73 offset:32768
.LBB1879_49:
	s_or_b32 exec_lo, exec_lo, s24
	v_dual_mov_b32 v73, 0 :: v_dual_mov_b32 v72, 0
	s_wait_dscnt 0x0
	s_barrier_signal -1
	s_barrier_wait -1
	s_and_saveexec_b32 s2, s6
; %bb.50:
	ds_load_b32 v72, v71 offset:32764
; %bb.51:
	s_or_b32 exec_lo, exec_lo, s2
	v_sub_co_u32 v71, vcc_lo, v69, 1
	s_wait_dscnt 0x0
	v_add_nc_u32_e32 v70, v72, v70
	s_delay_alu instid0(VALU_DEP_2) | instskip(NEXT) | instid1(VALU_DEP_1)
	v_cmp_gt_i32_e64 s2, 0, v71
	v_cndmask_b32_e64 v69, v71, v69, s2
	v_cmp_gt_u32_e64 s2, 16, v0
	s_delay_alu instid0(VALU_DEP_2)
	v_lshlrev_b32_e32 v69, 2, v69
	ds_bpermute_b32 v69, v69, v70
	ds_load_b32 v70, v73 offset:32892
	ds_load_2addr_b64 v[74:77], v68 offset1:1
	ds_load_b32 v78, v68 offset:24
	s_wait_dscnt 0x3
	v_cndmask_b32_e32 v69, v69, v72, vcc_lo
	ds_load_b64 v[72:73], v68 offset:16
	v_cmp_lt_u32_e32 vcc_lo, 15, v0
	s_wait_dscnt 0x3
	v_lshl_add_u32 v70, v70, 16, v69
	s_wait_dscnt 0x2
	s_delay_alu instid0(VALU_DEP_1) | instskip(NEXT) | instid1(VALU_DEP_1)
	v_add_nc_u32_e32 v71, v70, v74
	v_add_nc_u32_e32 v74, v75, v71
	s_delay_alu instid0(VALU_DEP_1) | instskip(NEXT) | instid1(VALU_DEP_1)
	v_add_nc_u32_e32 v75, v76, v74
	v_add_nc_u32_e32 v76, v77, v75
	s_wait_dscnt 0x0
	s_delay_alu instid0(VALU_DEP_1) | instskip(NEXT) | instid1(VALU_DEP_1)
	v_add_nc_u32_e32 v77, v72, v76
	v_add_nc_u32_e32 v72, v73, v77
	s_delay_alu instid0(VALU_DEP_1)
	v_add_nc_u32_e32 v73, v78, v72
	ds_store_2addr_b64 v68, v[70:71], v[74:75] offset1:1
	ds_store_2addr_b64 v68, v[76:77], v[72:73] offset0:2 offset1:3
	s_wait_dscnt 0x0
	s_barrier_signal -1
	s_barrier_wait -1
	ds_load_u16 v68, v2
	ds_load_u16 v69, v3
	;; [unrolled: 1-line block ×22, first 2 shown]
	v_mov_b64_e32 v[2:3], 0
                                        ; implicit-def: $vgpr4
	s_and_saveexec_b32 s4, s2
	s_cbranch_execz .LBB1879_55
; %bb.52:
	v_dual_lshlrev_b32 v2, 12, v0 :: v_dual_lshrrev_b32 v3, 2, v0
	v_add_nc_u32_e32 v4, 1, v0
	s_mov_b32 s5, exec_lo
	s_delay_alu instid0(VALU_DEP_2)
	v_bitop3_b32 v2, v2, 0x70fe, v3 bitop3:0xc8
	v_mov_b32_e32 v3, 0x5800
	ds_load_u16 v2, v2
	v_cmpx_ne_u32_e32 16, v4
; %bb.53:
	v_dual_lshlrev_b32 v3, 12, v4 :: v_dual_lshrrev_b32 v4, 2, v4
	s_delay_alu instid0(VALU_DEP_1)
	v_bitop3_b32 v3, v3, 0x71fe, v4 bitop3:0xc8
	ds_load_u16 v3, v3
; %bb.54:
	s_or_b32 exec_lo, exec_lo, s5
	s_wait_dscnt 0x0
	v_and_b32_e32 v2, 0xffff, v2
	s_mov_b32 s3, 0
	s_delay_alu instid0(VALU_DEP_1) | instid1(SALU_CYCLE_1)
	v_dual_mov_b32 v3, s3 :: v_dual_sub_nc_u32 v4, v3, v2
.LBB1879_55:
	s_or_b32 exec_lo, exec_lo, s4
	s_wait_dscnt 0x15
	v_and_b32_e32 v68, 0xffff, v68
	v_and_b32_e32 v27, 0xffff, v27
	s_wait_dscnt 0x14
	v_and_b32_e32 v69, 0xffff, v69
	v_and_b32_e32 v28, 0xffff, v28
	;; [unrolled: 3-line block ×4, first 2 shown]
	v_dual_add_nc_u32 v27, v68, v27 :: v_dual_add_nc_u32 v28, v69, v28
	s_wait_dscnt 0x11
	v_and_b32_e32 v46, 0xffff, v46
	v_and_b32_e32 v31, 0xffff, v31
	s_wait_dscnt 0x10
	v_and_b32_e32 v48, 0xffff, v48
	v_and_b32_e32 v32, 0xffff, v32
	v_add_nc_u32_e32 v29, v70, v29
	s_wait_dscnt 0xf
	v_and_b32_e32 v50, 0xffff, v50
	v_and_b32_e32 v33, 0xffff, v33
	s_wait_dscnt 0xe
	v_and_b32_e32 v52, 0xffff, v52
	v_and_b32_e32 v34, 0xffff, v34
	;; [unrolled: 3-line block ×3, first 2 shown]
	s_wait_dscnt 0x0
	s_barrier_signal -1
	s_barrier_wait -1
	ds_store_b8 v27, v5 offset:128
	ds_store_b8 v28, v1 offset:128
	;; [unrolled: 1-line block ×3, first 2 shown]
	v_add_nc_u32_e32 v1, v44, v30
	v_and_b32_e32 v55, 0xffff, v55
	v_and_b32_e32 v36, 0xffff, v36
	v_dual_add_nc_u32 v5, v46, v31 :: v_dual_add_nc_u32 v8, v48, v32
	v_and_b32_e32 v56, 0xffff, v56
	v_and_b32_e32 v37, 0xffff, v37
	;; [unrolled: 1-line block ×4, first 2 shown]
	v_dual_add_nc_u32 v27, v50, v33 :: v_dual_add_nc_u32 v28, v52, v34
	v_and_b32_e32 v58, 0xffff, v58
	v_and_b32_e32 v39, 0xffff, v39
	;; [unrolled: 1-line block ×4, first 2 shown]
	ds_store_b8 v1, v7 offset:128
	ds_store_b8 v5, v10 offset:128
	;; [unrolled: 1-line block ×5, first 2 shown]
	v_dual_add_nc_u32 v1, v54, v35 :: v_dual_add_nc_u32 v5, v55, v36
	v_and_b32_e32 v60, 0xffff, v60
	v_and_b32_e32 v41, 0xffff, v41
	;; [unrolled: 1-line block ×4, first 2 shown]
	v_dual_add_nc_u32 v7, v56, v37 :: v_dual_add_nc_u32 v8, v57, v38
	v_and_b32_e32 v62, 0xffff, v62
	v_and_b32_e32 v43, 0xffff, v43
	;; [unrolled: 1-line block ×4, first 2 shown]
	v_add_nc_u32_e32 v9, v58, v39
	ds_store_b8 v1, v14 offset:128
	ds_store_b8 v5, v13 offset:128
	;; [unrolled: 1-line block ×5, first 2 shown]
	v_dual_add_nc_u32 v1, v59, v40 :: v_dual_add_nc_u32 v5, v60, v41
	v_dual_add_nc_u32 v7, v61, v42 :: v_dual_add_nc_u32 v8, v62, v43
	v_add_nc_u32_e32 v9, v63, v45
	v_and_b32_e32 v64, 0xffff, v64
	v_and_b32_e32 v67, 0xffff, v67
	;; [unrolled: 1-line block ×4, first 2 shown]
	ds_store_b8 v1, v17 offset:128
	ds_store_b8 v5, v20 offset:128
	;; [unrolled: 1-line block ×5, first 2 shown]
	v_mov_b32_e32 v9, 0
	v_and_b32_e32 v65, 0xffff, v65
	v_and_b32_e32 v49, 0xffff, v49
	;; [unrolled: 1-line block ×4, first 2 shown]
	v_dual_add_nc_u32 v7, v64, v47 :: v_dual_add_nc_u32 v11, v67, v53
	v_dual_mov_b32 v1, v9 :: v_dual_lshlrev_b32 v5, 3, v0
	s_delay_alu instid0(VALU_DEP_3)
	v_dual_add_nc_u32 v8, v65, v49 :: v_dual_add_nc_u32 v10, v66, v51
	s_not_b32 s3, s23
	ds_store_b8 v7, v24 offset:128
	ds_store_b8 v8, v23 offset:128
	ds_store_b8 v10, v26 offset:128
	ds_store_b8 v11, v25 offset:128
	s_and_saveexec_b32 s4, s2
	s_cbranch_execz .LBB1879_65
; %bb.56:
	v_lshl_add_u32 v8, s19, 4, v0
	v_dual_mov_b32 v12, 0 :: v_dual_bitop2_b32 v7, 2.0, v4 bitop3:0x54
	s_mov_b32 s5, 0
	s_mov_b32 s6, s19
	s_delay_alu instid0(VALU_DEP_2)
	v_lshl_add_u64 v[10:11], v[8:9], 2, s[20:21]
	global_store_b32 v8, v7, s[20:21] scale_offset scope:SCOPE_DEV
                                        ; implicit-def: $sgpr2
	s_branch .LBB1879_59
.LBB1879_57:                            ;   in Loop: Header=BB1879_59 Depth=1
	s_or_b32 exec_lo, exec_lo, s23
.LBB1879_58:                            ;   in Loop: Header=BB1879_59 Depth=1
	s_delay_alu instid0(SALU_CYCLE_1) | instskip(SKIP_2) | instid1(VALU_DEP_2)
	s_or_b32 exec_lo, exec_lo, s7
	v_and_b32_e32 v8, 0x3fffffff, v7
	v_cmp_gt_i32_e64 s2, -2.0, v7
	v_add_nc_u32_e32 v12, v8, v12
	s_and_b32 s7, exec_lo, s2
	s_delay_alu instid0(SALU_CYCLE_1) | instskip(NEXT) | instid1(SALU_CYCLE_1)
	s_or_b32 s5, s7, s5
	s_and_not1_b32 exec_lo, exec_lo, s5
	s_cbranch_execz .LBB1879_64
.LBB1879_59:                            ; =>This Loop Header: Depth=1
                                        ;     Child Loop BB1879_62 Depth 2
	s_or_b32 s2, s2, exec_lo
	s_cmp_eq_u32 s6, 0
	s_cbranch_scc1 .LBB1879_63
; %bb.60:                               ;   in Loop: Header=BB1879_59 Depth=1
	s_add_co_i32 s6, s6, -1
	s_mov_b32 s7, exec_lo
	s_wait_xcnt 0x0
	v_lshl_or_b32 v8, s6, 4, v0
	global_load_b32 v7, v8, s[20:21] scale_offset scope:SCOPE_DEV
	s_wait_loadcnt 0x0
	v_cmpx_gt_u32_e32 2.0, v7
	s_cbranch_execz .LBB1879_58
; %bb.61:                               ;   in Loop: Header=BB1879_59 Depth=1
	v_lshl_add_u64 v[14:15], v[8:9], 2, s[20:21]
	s_mov_b32 s23, 0
.LBB1879_62:                            ;   Parent Loop BB1879_59 Depth=1
                                        ; =>  This Inner Loop Header: Depth=2
	global_load_b32 v7, v[14:15], off scope:SCOPE_DEV
	s_wait_loadcnt 0x0
	v_cmp_lt_u32_e64 s2, 0x3fffffff, v7
	s_or_b32 s23, s2, s23
	s_wait_xcnt 0x0
	s_and_not1_b32 exec_lo, exec_lo, s23
	s_cbranch_execnz .LBB1879_62
	s_branch .LBB1879_57
.LBB1879_63:                            ;   in Loop: Header=BB1879_59 Depth=1
                                        ; implicit-def: $sgpr6
	s_and_b32 s7, exec_lo, s2
	s_delay_alu instid0(SALU_CYCLE_1)
	s_or_b32 s5, s7, s5
	s_wait_xcnt 0x0
	s_and_not1_b32 exec_lo, exec_lo, s5
	s_cbranch_execnz .LBB1879_59
.LBB1879_64:
	s_or_b32 exec_lo, exec_lo, s5
	v_dual_add_nc_u32 v7, v12, v4 :: v_dual_mov_b32 v13, 0
	s_delay_alu instid0(VALU_DEP_1)
	v_or_b32_e32 v7, 0x80000000, v7
	global_store_b32 v[10:11], v7, off scope:SCOPE_DEV
	global_load_b64 v[8:9], v0, s[8:9] scale_offset
	s_wait_xcnt 0x1
	v_sub_nc_u64_e32 v[10:11], v[12:13], v[2:3]
	s_wait_loadcnt 0x0
	s_delay_alu instid0(VALU_DEP_1)
	v_add_nc_u64_e32 v[8:9], v[10:11], v[8:9]
	ds_store_b64 v5, v[8:9]
.LBB1879_65:
	s_wait_xcnt 0x0
	s_or_b32 exec_lo, exec_lo, s4
	s_delay_alu instid0(SALU_CYCLE_1)
	s_mov_b32 s4, exec_lo
	s_wait_storecnt_dscnt 0x0
	s_barrier_signal -1
	s_barrier_wait -1
	v_cmpx_gt_u32_e64 s18, v0
	s_cbranch_execz .LBB1879_67
; %bb.66:
	ds_load_u8 v7, v0 offset:128
	s_wait_dscnt 0x0
	v_and_b32_e32 v8, 1, v7
	s_delay_alu instid0(VALU_DEP_1) | instskip(NEXT) | instid1(VALU_DEP_1)
	v_lshrrev_b32_e32 v8, s16, v8
	v_and_b32_e32 v8, s3, v8
	s_delay_alu instid0(VALU_DEP_1) | instskip(SKIP_3) | instid1(VALU_DEP_1)
	v_lshlrev_b32_e32 v8, 3, v8
	ds_load_b64 v[8:9], v8
	s_wait_dscnt 0x0
	v_add_nc_u64_e32 v[8:9], s[14:15], v[8:9]
	v_add_nc_u64_e32 v[8:9], v[8:9], v[0:1]
	global_store_b8 v[8:9], v7, off
.LBB1879_67:
	s_wait_xcnt 0x0
	s_or_b32 exec_lo, exec_lo, s4
	v_or_b32_e32 v7, 0x400, v0
	s_mov_b32 s4, exec_lo
	s_delay_alu instid0(VALU_DEP_1)
	v_cmpx_gt_u32_e64 s18, v7
	s_cbranch_execz .LBB1879_69
; %bb.68:
	ds_load_u8 v7, v0 offset:1152
	s_wait_dscnt 0x0
	v_and_b32_e32 v8, 1, v7
	s_delay_alu instid0(VALU_DEP_1) | instskip(NEXT) | instid1(VALU_DEP_1)
	v_lshrrev_b32_e32 v8, s16, v8
	v_and_b32_e32 v8, s3, v8
	s_delay_alu instid0(VALU_DEP_1) | instskip(SKIP_3) | instid1(VALU_DEP_1)
	v_lshlrev_b32_e32 v8, 3, v8
	ds_load_b64 v[8:9], v8
	s_wait_dscnt 0x0
	v_add_nc_u64_e32 v[8:9], s[14:15], v[8:9]
	v_add_nc_u64_e32 v[8:9], v[8:9], v[0:1]
	global_store_b8 v[8:9], v7, off offset:1024
.LBB1879_69:
	s_wait_xcnt 0x0
	s_or_b32 exec_lo, exec_lo, s4
	v_or_b32_e32 v7, 0x800, v0
	s_mov_b32 s4, exec_lo
	s_delay_alu instid0(VALU_DEP_1)
	v_cmpx_gt_u32_e64 s18, v7
	s_cbranch_execz .LBB1879_71
; %bb.70:
	ds_load_u8 v7, v0 offset:2176
	s_wait_dscnt 0x0
	v_and_b32_e32 v8, 1, v7
	s_delay_alu instid0(VALU_DEP_1) | instskip(NEXT) | instid1(VALU_DEP_1)
	v_lshrrev_b32_e32 v8, s16, v8
	v_and_b32_e32 v8, s3, v8
	s_delay_alu instid0(VALU_DEP_1) | instskip(SKIP_3) | instid1(VALU_DEP_1)
	v_lshlrev_b32_e32 v8, 3, v8
	ds_load_b64 v[8:9], v8
	s_wait_dscnt 0x0
	v_add_nc_u64_e32 v[8:9], s[14:15], v[8:9]
	v_add_nc_u64_e32 v[8:9], v[8:9], v[0:1]
	global_store_b8 v[8:9], v7, off offset:2048
.LBB1879_71:
	;; [unrolled: 22-line block ×21, first 2 shown]
	s_wait_xcnt 0x0
	s_or_b32 exec_lo, exec_lo, s4
	s_load_b32 s2, s[0:1], 0x58
	s_wait_kmcnt 0x0
	s_add_co_i32 s2, s2, -1
	s_delay_alu instid0(SALU_CYCLE_1) | instskip(SKIP_2) | instid1(SALU_CYCLE_1)
	s_cmp_eq_u32 s19, s2
	s_cselect_b32 s2, -1, 0
	s_xor_b32 s3, vcc_lo, -1
	s_and_b32 s3, s3, s2
	s_delay_alu instid0(SALU_CYCLE_1)
	s_and_saveexec_b32 s2, s3
	s_cbranch_execz .LBB1879_111
; %bb.110:
	ds_load_b64 v[8:9], v5
	v_mov_b32_e32 v5, 0
	s_delay_alu instid0(VALU_DEP_1) | instskip(SKIP_1) | instid1(VALU_DEP_1)
	v_add_nc_u64_e32 v[2:3], v[2:3], v[4:5]
	s_wait_dscnt 0x0
	v_add_nc_u64_e32 v[2:3], v[2:3], v[8:9]
	global_store_b64 v0, v[2:3], s[10:11] scale_offset
.LBB1879_111:
	s_wait_xcnt 0x0
	s_or_b32 exec_lo, exec_lo, s2
	s_mov_b32 s2, 0
.LBB1879_112:
	s_delay_alu instid0(SALU_CYCLE_1)
	s_and_b32 vcc_lo, exec_lo, s2
	s_cbranch_vccz .LBB1879_135
; %bb.113:
	s_mov_b32 s23, 0
	s_mov_b32 s7, exec_lo
	s_add_nc_u64 s[2:3], s[12:13], s[22:23]
	s_lshl_b32 s12, -1, s17
	s_clause 0x2
	global_load_b128 v[2:5], v6, s[2:3]
	global_load_b32 v8, v6, s[2:3] offset:16
	global_load_u16 v11, v6, s[2:3] offset:20
	v_lshlrev_b32_e32 v47, 2, v0
	s_wait_loadcnt 0x2
	v_and_b32_e32 v1, 0xff, v2
	s_delay_alu instid0(VALU_DEP_1) | instskip(NEXT) | instid1(VALU_DEP_1)
	v_lshrrev_b32_e32 v1, s16, v1
	v_bitop3_b32 v1, v1, s12, v1 bitop3:0x30
	s_wait_xcnt 0x0
	s_delay_alu instid0(VALU_DEP_1) | instskip(SKIP_1) | instid1(VALU_DEP_1)
	v_lshl_or_b32 v6, v1, 12, v47
	v_bfe_u32 v1, v2, 8, 8
	v_dual_mov_b32 v7, 0 :: v_dual_lshrrev_b32 v1, s16, v1
	ds_store_2addr_stride64_b32 v47, v7, v7 offset1:16
	ds_store_2addr_stride64_b32 v47, v7, v7 offset0:32 offset1:48
	ds_store_2addr_stride64_b32 v47, v7, v7 offset0:64 offset1:80
	;; [unrolled: 1-line block ×3, first 2 shown]
	ds_load_u16 v14, v6
	v_bitop3_b32 v1, v1, s12, v1 bitop3:0x30
	s_delay_alu instid0(VALU_DEP_1) | instskip(SKIP_1) | instid1(VALU_DEP_1)
	v_lshl_or_b32 v7, v1, 12, v47
	v_bfe_u32 v1, v2, 16, 8
	v_lshrrev_b32_e32 v1, s16, v1
	s_delay_alu instid0(VALU_DEP_1) | instskip(SKIP_2) | instid1(VALU_DEP_2)
	v_bitop3_b32 v1, v1, s12, v1 bitop3:0x30
	s_wait_dscnt 0x0
	v_add_nc_u16 v9, v14, 1
	v_lshl_or_b32 v10, v1, 12, v47
	ds_store_b16 v6, v9
	ds_load_u16 v15, v7
	v_lshrrev_b32_e32 v1, 24, v2
	s_wait_dscnt 0x0
	v_add_nc_u16 v9, v15, 1
	ds_store_b16 v7, v9
	ds_load_u16 v16, v10
	v_lshrrev_b32_e32 v9, s16, v1
	s_delay_alu instid0(VALU_DEP_1) | instskip(NEXT) | instid1(VALU_DEP_1)
	v_bitop3_b32 v9, v9, s12, v9 bitop3:0x30
	v_lshl_or_b32 v12, v9, 12, v47
	v_and_b32_e32 v9, 0xff, v3
	s_delay_alu instid0(VALU_DEP_1) | instskip(SKIP_2) | instid1(VALU_DEP_2)
	v_lshrrev_b32_e32 v9, s16, v9
	s_wait_dscnt 0x0
	v_add_nc_u16 v13, v16, 1
	v_bitop3_b32 v9, v9, s12, v9 bitop3:0x30
	ds_store_b16 v10, v13
	ds_load_u16 v18, v12
	v_lshl_or_b32 v13, v9, 12, v47
	v_bfe_u32 v9, v3, 8, 8
	s_delay_alu instid0(VALU_DEP_1) | instskip(NEXT) | instid1(VALU_DEP_1)
	v_lshrrev_b32_e32 v9, s16, v9
	v_bitop3_b32 v9, v9, s12, v9 bitop3:0x30
	s_delay_alu instid0(VALU_DEP_1) | instskip(SKIP_3) | instid1(VALU_DEP_2)
	v_lshl_or_b32 v31, v9, 12, v47
	v_bfe_u32 v9, v3, 16, 8
	s_wait_dscnt 0x0
	v_add_nc_u16 v17, v18, 1
	v_lshrrev_b32_e32 v9, s16, v9
	ds_store_b16 v12, v17
	ds_load_u16 v19, v13
	v_bitop3_b32 v9, v9, s12, v9 bitop3:0x30
	s_delay_alu instid0(VALU_DEP_1)
	v_lshl_or_b32 v34, v9, 12, v47
	s_wait_dscnt 0x0
	v_add_nc_u16 v17, v19, 1
	ds_store_b16 v13, v17
	ds_load_u16 v20, v31
	s_wait_dscnt 0x0
	v_add_nc_u16 v17, v20, 1
	ds_store_b16 v31, v17
	ds_load_u16 v22, v34
	v_lshrrev_b32_e32 v17, 24, v3
	s_delay_alu instid0(VALU_DEP_1) | instskip(NEXT) | instid1(VALU_DEP_1)
	v_lshrrev_b32_e32 v9, s16, v17
	v_bitop3_b32 v9, v9, s12, v9 bitop3:0x30
	s_delay_alu instid0(VALU_DEP_1) | instskip(SKIP_3) | instid1(VALU_DEP_2)
	v_lshl_or_b32 v36, v9, 12, v47
	v_and_b32_e32 v9, 0xff, v4
	s_wait_dscnt 0x0
	v_add_nc_u16 v21, v22, 1
	v_lshrrev_b32_e32 v9, s16, v9
	ds_store_b16 v34, v21
	ds_load_u16 v23, v36
	v_bitop3_b32 v9, v9, s12, v9 bitop3:0x30
	s_delay_alu instid0(VALU_DEP_1) | instskip(SKIP_1) | instid1(VALU_DEP_1)
	v_lshl_or_b32 v38, v9, 12, v47
	v_bfe_u32 v9, v4, 8, 8
	v_lshrrev_b32_e32 v9, s16, v9
	s_delay_alu instid0(VALU_DEP_1) | instskip(SKIP_2) | instid1(VALU_DEP_2)
	v_bitop3_b32 v9, v9, s12, v9 bitop3:0x30
	s_wait_dscnt 0x0
	v_add_nc_u16 v21, v23, 1
	v_lshl_or_b32 v40, v9, 12, v47
	v_bfe_u32 v9, v4, 16, 8
	ds_store_b16 v36, v21
	ds_load_u16 v24, v38
	v_lshrrev_b32_e32 v9, s16, v9
	s_delay_alu instid0(VALU_DEP_1) | instskip(NEXT) | instid1(VALU_DEP_1)
	v_bitop3_b32 v9, v9, s12, v9 bitop3:0x30
	v_lshl_or_b32 v42, v9, 12, v47
	s_wait_dscnt 0x0
	v_add_nc_u16 v21, v24, 1
	ds_store_b16 v38, v21
	ds_load_u16 v25, v40
	s_wait_dscnt 0x0
	v_add_nc_u16 v21, v25, 1
	ds_store_b16 v40, v21
	ds_load_u16 v27, v42
	v_lshrrev_b32_e32 v21, 24, v4
	s_delay_alu instid0(VALU_DEP_1) | instskip(NEXT) | instid1(VALU_DEP_1)
	v_lshrrev_b32_e32 v9, s16, v21
	v_bitop3_b32 v9, v9, s12, v9 bitop3:0x30
	s_delay_alu instid0(VALU_DEP_1) | instskip(SKIP_3) | instid1(VALU_DEP_2)
	v_lshl_or_b32 v44, v9, 12, v47
	v_and_b32_e32 v9, 0xff, v5
	s_wait_dscnt 0x0
	v_add_nc_u16 v26, v27, 1
	v_lshrrev_b32_e32 v9, s16, v9
	ds_store_b16 v42, v26
	ds_load_u16 v28, v44
	v_bitop3_b32 v9, v9, s12, v9 bitop3:0x30
	s_delay_alu instid0(VALU_DEP_1) | instskip(SKIP_1) | instid1(VALU_DEP_1)
	v_lshl_or_b32 v46, v9, 12, v47
	v_bfe_u32 v9, v5, 8, 8
	v_lshrrev_b32_e32 v9, s16, v9
	s_delay_alu instid0(VALU_DEP_1) | instskip(SKIP_2) | instid1(VALU_DEP_2)
	v_bitop3_b32 v9, v9, s12, v9 bitop3:0x30
	s_wait_dscnt 0x0
	v_add_nc_u16 v26, v28, 1
	v_lshl_or_b32 v48, v9, 12, v47
	v_bfe_u32 v9, v5, 16, 8
	ds_store_b16 v44, v26
	ds_load_u16 v29, v46
	v_lshrrev_b32_e32 v9, s16, v9
	s_delay_alu instid0(VALU_DEP_1) | instskip(NEXT) | instid1(VALU_DEP_1)
	v_bitop3_b32 v9, v9, s12, v9 bitop3:0x30
	v_lshl_or_b32 v49, v9, 12, v47
	s_wait_dscnt 0x0
	v_add_nc_u16 v26, v29, 1
	ds_store_b16 v46, v26
	ds_load_u16 v30, v48
	s_wait_dscnt 0x0
	v_add_nc_u16 v26, v30, 1
	ds_store_b16 v48, v26
	ds_load_u16 v32, v49
	v_lshrrev_b32_e32 v26, 24, v5
	s_delay_alu instid0(VALU_DEP_1) | instskip(NEXT) | instid1(VALU_DEP_1)
	v_lshrrev_b32_e32 v9, s16, v26
	v_bitop3_b32 v9, v9, s12, v9 bitop3:0x30
	s_delay_alu instid0(VALU_DEP_1) | instskip(SKIP_4) | instid1(VALU_DEP_2)
	v_lshl_or_b32 v50, v9, 12, v47
	s_wait_loadcnt 0x1
	v_and_b32_e32 v9, 0xff, v8
	s_wait_dscnt 0x0
	v_add_nc_u16 v33, v32, 1
	v_lshrrev_b32_e32 v9, s16, v9
	ds_store_b16 v49, v33
	ds_load_u16 v35, v50
	v_bitop3_b32 v9, v9, s12, v9 bitop3:0x30
	s_delay_alu instid0(VALU_DEP_1) | instskip(SKIP_1) | instid1(VALU_DEP_1)
	v_lshl_or_b32 v51, v9, 12, v47
	v_bfe_u32 v9, v8, 8, 8
	v_lshrrev_b32_e32 v9, s16, v9
	s_delay_alu instid0(VALU_DEP_1) | instskip(SKIP_2) | instid1(VALU_DEP_2)
	v_bitop3_b32 v9, v9, s12, v9 bitop3:0x30
	s_wait_dscnt 0x0
	v_add_nc_u16 v33, v35, 1
	v_lshl_or_b32 v52, v9, 12, v47
	v_bfe_u32 v9, v8, 16, 8
	ds_store_b16 v50, v33
	ds_load_u16 v37, v51
	v_lshrrev_b32_e32 v9, s16, v9
	s_delay_alu instid0(VALU_DEP_1) | instskip(NEXT) | instid1(VALU_DEP_1)
	v_bitop3_b32 v9, v9, s12, v9 bitop3:0x30
	v_lshl_or_b32 v53, v9, 12, v47
	s_wait_loadcnt 0x0
	v_and_b32_e32 v9, 0xffff, v11
	s_wait_dscnt 0x0
	v_add_nc_u16 v33, v37, 1
	ds_store_b16 v51, v33
	ds_load_u16 v39, v52
	s_wait_dscnt 0x0
	v_add_nc_u16 v33, v39, 1
	ds_store_b16 v52, v33
	ds_load_u16 v41, v53
	v_alignbit_b32 v33, v9, v8, 24
	s_delay_alu instid0(VALU_DEP_1) | instskip(NEXT) | instid1(VALU_DEP_1)
	v_and_b32_e32 v33, 0xff, v33
	v_lshrrev_b32_e32 v33, s16, v33
	s_delay_alu instid0(VALU_DEP_1) | instskip(SKIP_2) | instid1(VALU_DEP_2)
	v_bitop3_b32 v33, v33, s12, v33 bitop3:0x30
	s_wait_dscnt 0x0
	v_add_nc_u16 v43, v41, 1
	v_lshl_or_b32 v54, v33, 12, v47
	v_and_b32_e32 v33, 0xff, v9
	ds_store_b16 v53, v43
	ds_load_u16 v43, v54
	v_lshrrev_b32_e32 v33, s16, v33
	s_delay_alu instid0(VALU_DEP_1) | instskip(NEXT) | instid1(VALU_DEP_1)
	v_bitop3_b32 v33, v33, s12, v33 bitop3:0x30
	v_lshl_or_b32 v55, v33, 12, v47
	v_lshrrev_b32_e32 v33, 8, v9
	s_delay_alu instid0(VALU_DEP_1) | instskip(SKIP_2) | instid1(VALU_DEP_2)
	v_lshrrev_b32_e32 v56, s16, v33
	s_wait_dscnt 0x0
	v_add_nc_u16 v45, v43, 1
	v_bitop3_b32 v56, v56, s12, v56 bitop3:0x30
	ds_store_b16 v54, v45
	ds_load_u16 v45, v55
	v_lshl_or_b32 v56, v56, 12, v47
	s_wait_dscnt 0x0
	v_add_nc_u16 v57, v45, 1
	ds_store_b16 v55, v57
	ds_load_u16 v47, v56
	v_lshlrev_b32_e32 v57, 5, v0
	s_wait_dscnt 0x0
	v_add_nc_u16 v58, v47, 1
	ds_store_b16 v56, v58
	s_wait_storecnt_dscnt 0x0
	s_barrier_signal -1
	s_barrier_wait -1
	ds_load_2addr_b64 v[58:61], v57 offset1:1
	ds_load_2addr_b64 v[62:65], v57 offset0:2 offset1:3
	s_wait_dscnt 0x1
	v_add_nc_u32_e32 v58, v59, v58
	s_delay_alu instid0(VALU_DEP_1) | instskip(SKIP_1) | instid1(VALU_DEP_1)
	v_add3_u32 v58, v58, v60, v61
	s_wait_dscnt 0x0
	v_add3_u32 v59, v58, v62, v63
	v_mbcnt_lo_u32_b32 v58, -1, 0
	v_and_b32_e32 v62, 31, v0
	s_delay_alu instid0(VALU_DEP_3) | instskip(NEXT) | instid1(VALU_DEP_3)
	v_add3_u32 v59, v59, v64, v65
	v_and_b32_e32 v60, 15, v58
	v_and_b32_e32 v63, 16, v58
	s_delay_alu instid0(VALU_DEP_3) | instskip(NEXT) | instid1(VALU_DEP_3)
	v_mov_b32_dpp v61, v59 row_shr:1 row_mask:0xf bank_mask:0xf
	v_cmp_eq_u32_e32 vcc_lo, 0, v60
	v_cmp_lt_u32_e64 s2, 1, v60
	v_cmp_lt_u32_e64 s3, 3, v60
	;; [unrolled: 1-line block ×3, first 2 shown]
	v_cmp_eq_u32_e64 s5, 0, v63
	v_cndmask_b32_e64 v61, v61, 0, vcc_lo
	s_delay_alu instid0(VALU_DEP_1) | instskip(NEXT) | instid1(VALU_DEP_1)
	v_add_nc_u32_e32 v59, v61, v59
	v_mov_b32_dpp v61, v59 row_shr:2 row_mask:0xf bank_mask:0xf
	s_delay_alu instid0(VALU_DEP_1) | instskip(NEXT) | instid1(VALU_DEP_1)
	v_cndmask_b32_e64 v61, 0, v61, s2
	v_add_nc_u32_e32 v59, v59, v61
	s_delay_alu instid0(VALU_DEP_1) | instskip(NEXT) | instid1(VALU_DEP_1)
	v_mov_b32_dpp v61, v59 row_shr:4 row_mask:0xf bank_mask:0xf
	v_cndmask_b32_e64 v61, 0, v61, s3
	s_delay_alu instid0(VALU_DEP_1) | instskip(NEXT) | instid1(VALU_DEP_1)
	v_add_nc_u32_e32 v59, v59, v61
	v_mov_b32_dpp v61, v59 row_shr:8 row_mask:0xf bank_mask:0xf
	s_delay_alu instid0(VALU_DEP_1) | instskip(SKIP_1) | instid1(VALU_DEP_2)
	v_cndmask_b32_e64 v60, 0, v61, s4
	v_bfe_i32 v61, v58, 4, 1
	v_add_nc_u32_e32 v59, v59, v60
	ds_swizzle_b32 v60, v59 offset:swizzle(BROADCAST,32,15)
	s_wait_dscnt 0x0
	v_and_b32_e32 v60, v61, v60
	v_lshrrev_b32_e32 v61, 5, v0
	s_delay_alu instid0(VALU_DEP_1)
	v_dual_add_nc_u32 v59, v59, v60 :: v_dual_lshlrev_b32 v60, 2, v61
	v_cmpx_eq_u32_e32 31, v62
; %bb.114:
	ds_store_b32 v60, v59 offset:32768
; %bb.115:
	s_or_b32 exec_lo, exec_lo, s7
	v_cmp_lt_u32_e64 s6, 31, v0
	s_mov_b32 s13, exec_lo
	s_wait_dscnt 0x0
	s_barrier_signal -1
	s_barrier_wait -1
	v_cmpx_gt_u32_e32 32, v0
	s_cbranch_execz .LBB1879_117
; %bb.116:
	v_mad_i32_i24 v61, 0xffffffe4, v0, v57
	ds_load_b32 v62, v61 offset:32768
	s_wait_dscnt 0x0
	v_mov_b32_dpp v63, v62 row_shr:1 row_mask:0xf bank_mask:0xf
	s_delay_alu instid0(VALU_DEP_1) | instskip(NEXT) | instid1(VALU_DEP_1)
	v_cndmask_b32_e64 v63, v63, 0, vcc_lo
	v_add_nc_u32_e32 v62, v63, v62
	s_delay_alu instid0(VALU_DEP_1) | instskip(NEXT) | instid1(VALU_DEP_1)
	v_mov_b32_dpp v63, v62 row_shr:2 row_mask:0xf bank_mask:0xf
	v_cndmask_b32_e64 v63, 0, v63, s2
	s_delay_alu instid0(VALU_DEP_1) | instskip(NEXT) | instid1(VALU_DEP_1)
	v_add_nc_u32_e32 v62, v62, v63
	v_mov_b32_dpp v63, v62 row_shr:4 row_mask:0xf bank_mask:0xf
	s_delay_alu instid0(VALU_DEP_1) | instskip(NEXT) | instid1(VALU_DEP_1)
	v_cndmask_b32_e64 v63, 0, v63, s3
	v_add_nc_u32_e32 v62, v62, v63
	s_delay_alu instid0(VALU_DEP_1) | instskip(NEXT) | instid1(VALU_DEP_1)
	v_mov_b32_dpp v63, v62 row_shr:8 row_mask:0xf bank_mask:0xf
	v_cndmask_b32_e64 v63, 0, v63, s4
	s_delay_alu instid0(VALU_DEP_1) | instskip(SKIP_3) | instid1(VALU_DEP_1)
	v_add_nc_u32_e32 v62, v62, v63
	ds_swizzle_b32 v63, v62 offset:swizzle(BROADCAST,32,15)
	s_wait_dscnt 0x0
	v_cndmask_b32_e64 v63, v63, 0, s5
	v_add_nc_u32_e32 v62, v62, v63
	ds_store_b32 v61, v62 offset:32768
.LBB1879_117:
	s_or_b32 exec_lo, exec_lo, s13
	v_dual_mov_b32 v62, 0 :: v_dual_mov_b32 v61, 0
	s_wait_dscnt 0x0
	s_barrier_signal -1
	s_barrier_wait -1
	s_and_saveexec_b32 s2, s6
; %bb.118:
	ds_load_b32 v61, v60 offset:32764
; %bb.119:
	s_or_b32 exec_lo, exec_lo, s2
	v_sub_co_u32 v60, vcc_lo, v58, 1
	s_wait_dscnt 0x0
	v_add_nc_u32_e32 v59, v61, v59
	s_delay_alu instid0(VALU_DEP_2) | instskip(NEXT) | instid1(VALU_DEP_1)
	v_cmp_gt_i32_e64 s2, 0, v60
	v_cndmask_b32_e64 v58, v60, v58, s2
	v_cmp_gt_u32_e64 s2, 16, v0
	s_delay_alu instid0(VALU_DEP_2)
	v_lshlrev_b32_e32 v58, 2, v58
	ds_bpermute_b32 v58, v58, v59
	ds_load_b32 v59, v62 offset:32892
	ds_load_2addr_b64 v[62:65], v57 offset1:1
	ds_load_b32 v66, v57 offset:24
	s_wait_dscnt 0x3
	v_cndmask_b32_e32 v58, v58, v61, vcc_lo
	ds_load_b64 v[60:61], v57 offset:16
	v_cmp_lt_u32_e32 vcc_lo, 15, v0
	s_wait_dscnt 0x3
	v_lshl_add_u32 v58, v59, 16, v58
	s_wait_dscnt 0x2
	s_delay_alu instid0(VALU_DEP_1) | instskip(NEXT) | instid1(VALU_DEP_1)
	v_add_nc_u32_e32 v59, v58, v62
	v_add_nc_u32_e32 v62, v63, v59
	s_delay_alu instid0(VALU_DEP_1) | instskip(NEXT) | instid1(VALU_DEP_1)
	v_add_nc_u32_e32 v63, v64, v62
	v_add_nc_u32_e32 v64, v65, v63
	s_wait_dscnt 0x0
	s_delay_alu instid0(VALU_DEP_1) | instskip(NEXT) | instid1(VALU_DEP_1)
	v_add_nc_u32_e32 v65, v60, v64
	v_add_nc_u32_e32 v60, v61, v65
	s_delay_alu instid0(VALU_DEP_1)
	v_add_nc_u32_e32 v61, v66, v60
	ds_store_2addr_b64 v57, v[58:59], v[62:63] offset1:1
	ds_store_2addr_b64 v57, v[64:65], v[60:61] offset0:2 offset1:3
	s_wait_dscnt 0x0
	s_barrier_signal -1
	s_barrier_wait -1
	ds_load_u16 v57, v6
	ds_load_u16 v58, v7
	;; [unrolled: 1-line block ×22, first 2 shown]
	v_lshrrev_b64 v[12:13], 24, v[8:9]
	v_mov_b64_e32 v[6:7], 0
                                        ; implicit-def: $vgpr10
	s_and_saveexec_b32 s4, s2
	s_cbranch_execz .LBB1879_123
; %bb.120:
	v_dual_lshlrev_b32 v6, 12, v0 :: v_dual_lshrrev_b32 v7, 2, v0
	v_add_nc_u32_e32 v9, 1, v0
	s_mov_b32 s5, exec_lo
	s_delay_alu instid0(VALU_DEP_2)
	v_bitop3_b32 v6, v6, 0x70fe, v7 bitop3:0xc8
	v_mov_b32_e32 v7, 0x5800
	ds_load_u16 v6, v6
	v_cmpx_ne_u32_e32 16, v9
; %bb.121:
	v_dual_lshlrev_b32 v7, 12, v9 :: v_dual_lshrrev_b32 v9, 2, v9
	s_delay_alu instid0(VALU_DEP_1)
	v_bitop3_b32 v7, v7, 0x71fe, v9 bitop3:0xc8
	ds_load_u16 v7, v7
; %bb.122:
	s_or_b32 exec_lo, exec_lo, s5
	s_wait_dscnt 0x0
	v_and_b32_e32 v6, 0xffff, v6
	s_mov_b32 s3, 0
	s_delay_alu instid0(VALU_DEP_1) | instid1(SALU_CYCLE_1)
	v_dual_mov_b32 v7, s3 :: v_dual_sub_nc_u32 v10, v7, v6
.LBB1879_123:
	s_or_b32 exec_lo, exec_lo, s4
	s_wait_dscnt 0x15
	v_and_b32_e32 v57, 0xffff, v57
	v_and_b32_e32 v14, 0xffff, v14
	s_wait_dscnt 0x14
	v_and_b32_e32 v58, 0xffff, v58
	v_and_b32_e32 v15, 0xffff, v15
	;; [unrolled: 3-line block ×4, first 2 shown]
	v_dual_add_nc_u32 v14, v57, v14 :: v_dual_add_nc_u32 v15, v58, v15
	v_dual_lshrrev_b32 v68, 8, v2 :: v_dual_lshrrev_b32 v69, 16, v2
	s_wait_dscnt 0x11
	v_and_b32_e32 v61, 0xffff, v61
	v_and_b32_e32 v19, 0xffff, v19
	s_wait_dscnt 0x10
	v_and_b32_e32 v62, 0xffff, v62
	v_and_b32_e32 v20, 0xffff, v20
	v_add_nc_u32_e32 v16, v59, v16
	s_wait_dscnt 0xf
	v_and_b32_e32 v63, 0xffff, v63
	v_and_b32_e32 v22, 0xffff, v22
	s_wait_dscnt 0xe
	v_and_b32_e32 v64, 0xffff, v64
	v_and_b32_e32 v23, 0xffff, v23
	;; [unrolled: 3-line block ×3, first 2 shown]
	s_wait_dscnt 0x0
	s_barrier_signal -1
	s_barrier_wait -1
	ds_store_b8 v14, v2 offset:128
	ds_store_b8 v15, v68 offset:128
	;; [unrolled: 1-line block ×3, first 2 shown]
	v_add_nc_u32_e32 v2, v60, v18
	v_and_b32_e32 v40, 0xffff, v40
	v_and_b32_e32 v25, 0xffff, v25
	v_dual_add_nc_u32 v14, v61, v19 :: v_dual_add_nc_u32 v15, v62, v20
	v_dual_lshrrev_b32 v66, 8, v3 :: v_dual_lshrrev_b32 v67, 16, v3
	v_and_b32_e32 v42, 0xffff, v42
	v_and_b32_e32 v27, 0xffff, v27
	v_and_b32_e32 v44, 0xffff, v44
	v_and_b32_e32 v28, 0xffff, v28
	v_dual_add_nc_u32 v16, v63, v22 :: v_dual_add_nc_u32 v18, v64, v23
	v_and_b32_e32 v46, 0xffff, v46
	v_and_b32_e32 v29, 0xffff, v29
	;; [unrolled: 1-line block ×4, first 2 shown]
	ds_store_b8 v2, v1 offset:128
	ds_store_b8 v14, v3 offset:128
	;; [unrolled: 1-line block ×5, first 2 shown]
	v_dual_add_nc_u32 v1, v65, v24 :: v_dual_add_nc_u32 v2, v40, v25
	v_dual_lshrrev_b32 v36, 8, v4 :: v_dual_lshrrev_b32 v38, 16, v4
	v_and_b32_e32 v49, 0xffff, v49
	v_and_b32_e32 v32, 0xffff, v32
	;; [unrolled: 1-line block ×4, first 2 shown]
	v_dual_add_nc_u32 v3, v42, v27 :: v_dual_add_nc_u32 v14, v44, v28
	v_and_b32_e32 v51, 0xffff, v51
	v_and_b32_e32 v37, 0xffff, v37
	;; [unrolled: 1-line block ×4, first 2 shown]
	v_add_nc_u32_e32 v15, v46, v29
	v_dual_lshrrev_b32 v31, 8, v5 :: v_dual_lshrrev_b32 v34, 16, v5
	ds_store_b8 v1, v4 offset:128
	ds_store_b8 v2, v36 offset:128
	;; [unrolled: 1-line block ×5, first 2 shown]
	v_dual_add_nc_u32 v1, v48, v30 :: v_dual_add_nc_u32 v2, v49, v32
	v_dual_add_nc_u32 v3, v50, v35 :: v_dual_add_nc_u32 v4, v51, v37
	v_dual_add_nc_u32 v5, v52, v39 :: v_dual_lshrrev_b32 v13, 8, v8
	v_lshrrev_b32_e32 v9, 16, v8
	v_and_b32_e32 v53, 0xffff, v53
	v_and_b32_e32 v56, 0xffff, v56
	;; [unrolled: 1-line block ×4, first 2 shown]
	ds_store_b8 v1, v31 offset:128
	ds_store_b8 v2, v34 offset:128
	;; [unrolled: 1-line block ×5, first 2 shown]
	v_mov_b32_e32 v3, 0
	v_and_b32_e32 v54, 0xffff, v54
	v_and_b32_e32 v43, 0xffff, v43
	;; [unrolled: 1-line block ×4, first 2 shown]
	v_dual_add_nc_u32 v2, v53, v41 :: v_dual_add_nc_u32 v8, v56, v47
	v_dual_mov_b32 v1, v3 :: v_dual_lshlrev_b32 v14, 3, v0
	s_delay_alu instid0(VALU_DEP_3)
	v_dual_add_nc_u32 v4, v54, v43 :: v_dual_add_nc_u32 v5, v55, v45
	s_not_b32 s3, s12
	ds_store_b8 v2, v9 offset:128
	ds_store_b8 v4, v12 offset:128
	;; [unrolled: 1-line block ×4, first 2 shown]
	s_and_saveexec_b32 s4, s2
	s_cbranch_execz .LBB1879_133
; %bb.124:
	v_lshl_add_u32 v2, s19, 4, v0
	v_dual_mov_b32 v8, 0 :: v_dual_bitop2_b32 v9, 2.0, v10 bitop3:0x54
	s_mov_b32 s5, 0
	s_mov_b32 s6, s19
	s_delay_alu instid0(VALU_DEP_2)
	v_lshl_add_u64 v[4:5], v[2:3], 2, s[20:21]
	global_store_b32 v2, v9, s[20:21] scale_offset scope:SCOPE_DEV
                                        ; implicit-def: $sgpr2
	s_branch .LBB1879_127
.LBB1879_125:                           ;   in Loop: Header=BB1879_127 Depth=1
	s_or_b32 exec_lo, exec_lo, s12
.LBB1879_126:                           ;   in Loop: Header=BB1879_127 Depth=1
	s_delay_alu instid0(SALU_CYCLE_1) | instskip(SKIP_2) | instid1(VALU_DEP_2)
	s_or_b32 exec_lo, exec_lo, s7
	v_and_b32_e32 v2, 0x3fffffff, v9
	v_cmp_gt_i32_e64 s2, -2.0, v9
	v_add_nc_u32_e32 v8, v2, v8
	s_and_b32 s7, exec_lo, s2
	s_delay_alu instid0(SALU_CYCLE_1) | instskip(NEXT) | instid1(SALU_CYCLE_1)
	s_or_b32 s5, s7, s5
	s_and_not1_b32 exec_lo, exec_lo, s5
	s_cbranch_execz .LBB1879_132
.LBB1879_127:                           ; =>This Loop Header: Depth=1
                                        ;     Child Loop BB1879_130 Depth 2
	s_or_b32 s2, s2, exec_lo
	s_cmp_eq_u32 s6, 0
	s_cbranch_scc1 .LBB1879_131
; %bb.128:                              ;   in Loop: Header=BB1879_127 Depth=1
	s_add_co_i32 s6, s6, -1
	s_mov_b32 s7, exec_lo
	s_wait_xcnt 0x0
	v_lshl_or_b32 v2, s6, 4, v0
	global_load_b32 v9, v2, s[20:21] scale_offset scope:SCOPE_DEV
	s_wait_loadcnt 0x0
	v_cmpx_gt_u32_e32 2.0, v9
	s_cbranch_execz .LBB1879_126
; %bb.129:                              ;   in Loop: Header=BB1879_127 Depth=1
	v_lshl_add_u64 v[12:13], v[2:3], 2, s[20:21]
	s_mov_b32 s12, 0
.LBB1879_130:                           ;   Parent Loop BB1879_127 Depth=1
                                        ; =>  This Inner Loop Header: Depth=2
	global_load_b32 v9, v[12:13], off scope:SCOPE_DEV
	s_wait_loadcnt 0x0
	v_cmp_lt_u32_e64 s2, 0x3fffffff, v9
	s_or_b32 s12, s2, s12
	s_wait_xcnt 0x0
	s_and_not1_b32 exec_lo, exec_lo, s12
	s_cbranch_execnz .LBB1879_130
	s_branch .LBB1879_125
.LBB1879_131:                           ;   in Loop: Header=BB1879_127 Depth=1
                                        ; implicit-def: $sgpr6
	s_and_b32 s7, exec_lo, s2
	s_delay_alu instid0(SALU_CYCLE_1)
	s_or_b32 s5, s7, s5
	s_wait_xcnt 0x0
	s_and_not1_b32 exec_lo, exec_lo, s5
	s_cbranch_execnz .LBB1879_127
.LBB1879_132:
	s_or_b32 exec_lo, exec_lo, s5
	v_dual_mov_b32 v9, 0 :: v_dual_add_nc_u32 v2, v8, v10
	s_delay_alu instid0(VALU_DEP_1) | instskip(SKIP_4) | instid1(VALU_DEP_1)
	v_or_b32_e32 v2, 0x80000000, v2
	global_store_b32 v[4:5], v2, off scope:SCOPE_DEV
	global_load_b64 v[2:3], v0, s[8:9] scale_offset
	v_sub_nc_u64_e32 v[4:5], v[8:9], v[6:7]
	s_wait_loadcnt 0x0
	v_add_nc_u64_e32 v[2:3], v[4:5], v[2:3]
	ds_store_b64 v14, v[2:3]
.LBB1879_133:
	s_wait_xcnt 0x0
	s_or_b32 exec_lo, exec_lo, s4
	s_wait_storecnt_dscnt 0x0
	s_barrier_signal -1
	s_barrier_wait -1
	ds_load_u8 v11, v0 offset:21632
	ds_load_u8 v15, v0 offset:1152
	ds_load_u8 v28, v0 offset:2176
	ds_load_u8 v29, v0 offset:3200
	ds_load_u8 v30, v0 offset:4224
	ds_load_u8 v31, v0 offset:5248
	ds_load_u8 v32, v0 offset:6272
	ds_load_u8 v33, v0 offset:7296
	ds_load_u8 v36, v0 offset:20608
	ds_load_u8 v34, v0 offset:128
	ds_load_u8 v37, v0 offset:8320
	ds_load_u8 v38, v0 offset:9344
	s_wait_dscnt 0xa
	v_and_b32_e32 v3, 1, v15
	s_wait_dscnt 0x9
	v_and_b32_e32 v4, 1, v28
	v_and_b32_e32 v2, 1, v11
	s_wait_dscnt 0x7
	v_and_b32_e32 v8, 1, v30
	;; [unrolled: 3-line block ×3, first 2 shown]
	v_dual_lshrrev_b32 v4, s16, v4 :: v_dual_bitop2_b32 v9, 1, v31 bitop3:0x40
	s_wait_dscnt 0x2
	v_and_b32_e32 v18, 1, v34
	s_delay_alu instid0(VALU_DEP_3) | instskip(SKIP_1) | instid1(VALU_DEP_3)
	v_dual_lshrrev_b32 v20, s16, v12 :: v_dual_bitop2_b32 v13, 1, v33 bitop3:0x40
	v_dual_lshrrev_b32 v2, s16, v2 :: v_dual_lshrrev_b32 v17, s16, v3
	v_dual_lshrrev_b32 v12, s16, v18 :: v_dual_bitop2_b32 v16, 1, v36 bitop3:0x40
	s_delay_alu instid0(VALU_DEP_2) | instskip(SKIP_1) | instid1(VALU_DEP_3)
	v_dual_lshrrev_b32 v21, s16, v13 :: v_dual_bitop2_b32 v2, s3, v2 bitop3:0x40
	v_dual_lshrrev_b32 v8, s16, v8 :: v_dual_lshrrev_b32 v5, s16, v5
	v_dual_lshrrev_b32 v13, s16, v16 :: v_dual_lshrrev_b32 v9, s16, v9
	s_delay_alu instid0(VALU_DEP_3) | instskip(SKIP_1) | instid1(VALU_DEP_3)
	v_dual_lshlrev_b32 v2, 3, v2 :: v_dual_bitop2_b32 v25, s3, v21 bitop3:0x40
	v_and_b32_e32 v24, s3, v20
	v_and_b32_e32 v23, s3, v13
	;; [unrolled: 1-line block ×4, first 2 shown]
	ds_load_b64 v[2:3], v2
	v_dual_lshlrev_b32 v26, 3, v25 :: v_dual_lshlrev_b32 v23, 3, v23
	v_dual_lshlrev_b32 v9, 3, v12 :: v_dual_bitop2_b32 v16, s3, v17 bitop3:0x40
	v_dual_lshlrev_b32 v24, 3, v24 :: v_dual_bitop2_b32 v5, s3, v5 bitop3:0x40
	s_wait_dscnt 0x1
	s_delay_alu instid0(VALU_DEP_2) | instskip(NEXT) | instid1(VALU_DEP_2)
	v_dual_lshlrev_b32 v12, 3, v16 :: v_dual_bitop2_b32 v43, 1, v38 bitop3:0x40
	v_dual_lshlrev_b32 v16, 3, v5 :: v_dual_bitop2_b32 v4, s3, v4 bitop3:0x40
	s_delay_alu instid0(VALU_DEP_2) | instskip(NEXT) | instid1(VALU_DEP_2)
	v_dual_lshrrev_b32 v43, s16, v43 :: v_dual_bitop2_b32 v35, 1, v37 bitop3:0x40
	v_lshlrev_b32_e32 v13, 3, v4
	v_dual_lshlrev_b32 v22, 3, v22 :: v_dual_bitop2_b32 v8, s3, v8 bitop3:0x40
	s_delay_alu instid0(VALU_DEP_1)
	v_dual_lshrrev_b32 v35, s16, v35 :: v_dual_lshlrev_b32 v18, 3, v8
	ds_load_b64 v[4:5], v9
	ds_load_b64 v[8:9], v12
	;; [unrolled: 1-line block ×5, first 2 shown]
	ds_load_u8 v39, v0 offset:18560
	ds_load_u8 v40, v0 offset:19584
	ds_load_b64 v[20:21], v23
	ds_load_u8 v41, v0 offset:10368
	ds_load_u8 v42, v0 offset:11392
	ds_load_b64 v[22:23], v22
	ds_load_b64 v[24:25], v24
	;; [unrolled: 1-line block ×3, first 2 shown]
	s_wait_dscnt 0xd
	v_add_nc_u64_e32 v[2:3], s[14:15], v[2:3]
	s_delay_alu instid0(VALU_DEP_1)
	v_add_nc_u64_e32 v[2:3], v[2:3], v[0:1]
	s_wait_dscnt 0xc
	v_add_nc_u64_e32 v[4:5], s[14:15], v[4:5]
	s_wait_dscnt 0xb
	;; [unrolled: 2-line block ×6, first 2 shown]
	v_add_nc_u64_e32 v[20:21], s[14:15], v[20:21]
	v_add_nc_u64_e32 v[4:5], v[4:5], v[0:1]
	v_add_nc_u64_e32 v[8:9], v[8:9], v[0:1]
	v_add_nc_u64_e32 v[12:13], v[12:13], v[0:1]
	v_add_nc_u64_e32 v[16:17], v[16:17], v[0:1]
	v_add_nc_u64_e32 v[18:19], v[18:19], v[0:1]
	s_clause 0x4
	global_store_b8 v[4:5], v34, off
	global_store_b8 v[8:9], v15, off offset:1024
	global_store_b8 v[12:13], v28, off offset:2048
	;; [unrolled: 1-line block ×4, first 2 shown]
	s_wait_xcnt 0x3
	ds_load_u8 v15, v0 offset:12416
	ds_load_u8 v44, v0 offset:13440
	;; [unrolled: 1-line block ×6, first 2 shown]
	s_wait_dscnt 0xa
	v_and_b32_e32 v8, 1, v41
	v_and_b32_e32 v35, s3, v35
	s_wait_xcnt 0x1
	v_and_b32_e32 v16, s3, v43
	s_wait_dscnt 0x9
	v_and_b32_e32 v9, 1, v42
	s_wait_dscnt 0x8
	v_add_nc_u64_e32 v[4:5], s[14:15], v[22:23]
	v_dual_lshrrev_b32 v17, s16, v8 :: v_dual_lshlrev_b32 v12, 3, v35
	s_wait_xcnt 0x0
	v_dual_lshlrev_b32 v19, 3, v16 :: v_dual_lshrrev_b32 v18, s16, v9
	s_wait_dscnt 0x7
	v_add_nc_u64_e32 v[8:9], s[14:15], v[24:25]
	v_and_b32_e32 v29, 1, v39
	ds_load_b64 v[12:13], v12
	v_add_nc_u64_e32 v[4:5], v[4:5], v[0:1]
	v_and_b32_e32 v23, s3, v18
	v_and_b32_e32 v22, s3, v17
	s_wait_dscnt 0x7
	v_add_nc_u64_e32 v[16:17], s[14:15], v[26:27]
	s_wait_dscnt 0x6
	v_and_b32_e32 v26, 1, v15
	v_add_nc_u64_e32 v[8:9], v[8:9], v[0:1]
	v_dual_lshlrev_b32 v24, 3, v23 :: v_dual_lshlrev_b32 v22, 3, v22
	ds_load_b64 v[18:19], v19
	s_wait_dscnt 0x6
	v_dual_lshrrev_b32 v26, s16, v26 :: v_dual_bitop2_b32 v27, 1, v44 bitop3:0x40
	ds_load_b64 v[22:23], v22
	ds_load_b64 v[24:25], v24
	s_clause 0x1
	global_store_b8 v[4:5], v31, off offset:5120
	global_store_b8 v[8:9], v32, off offset:6144
	s_wait_xcnt 0x0
	v_and_b32_e32 v8, s3, v26
	s_wait_dscnt 0x7
	v_and_b32_e32 v28, 1, v45
	v_add_nc_u64_e32 v[16:17], v[16:17], v[0:1]
	v_lshrrev_b32_e32 v9, s16, v27
	v_add_nc_u64_e32 v[20:21], v[20:21], v[0:1]
	s_wait_dscnt 0x3
	v_add_nc_u64_e32 v[4:5], s[14:15], v[12:13]
	v_lshlrev_b32_e32 v12, 3, v8
	v_dual_lshrrev_b32 v26, s16, v28 :: v_dual_lshrrev_b32 v29, s16, v29
	global_store_b8 v[16:17], v33, off offset:7168
	ds_load_b64 v[12:13], v12
	s_wait_xcnt 0x0
	v_and_b32_e32 v17, s3, v26
	v_and_b32_e32 v26, 1, v46
	;; [unrolled: 1-line block ×3, first 2 shown]
	s_wait_dscnt 0x3
	v_add_nc_u64_e32 v[8:9], s[14:15], v[18:19]
	v_add_nc_u64_e32 v[4:5], v[4:5], v[0:1]
	s_delay_alu instid0(VALU_DEP_3)
	v_dual_lshrrev_b32 v26, s16, v26 :: v_dual_lshlrev_b32 v27, 3, v16
	v_lshlrev_b32_e32 v28, 3, v17
	s_wait_dscnt 0x2
	v_add_nc_u64_e32 v[16:17], s[14:15], v[22:23]
	s_wait_dscnt 0x1
	v_add_nc_u64_e32 v[18:19], s[14:15], v[24:25]
	ds_load_b64 v[22:23], v27
	ds_load_b64 v[24:25], v28
	v_and_b32_e32 v27, 1, v47
	v_and_b32_e32 v26, s3, v26
	v_and_b32_e32 v28, 1, v48
	v_add_nc_u64_e32 v[8:9], v[8:9], v[0:1]
	v_add_nc_u64_e32 v[16:17], v[16:17], v[0:1]
	s_delay_alu instid0(VALU_DEP_4) | instskip(NEXT) | instid1(VALU_DEP_4)
	v_dual_lshrrev_b32 v31, s16, v27 :: v_dual_lshlrev_b32 v26, 3, v26
	v_lshrrev_b32_e32 v28, s16, v28
	s_wait_dscnt 0x2
	v_add_nc_u64_e32 v[12:13], s[14:15], v[12:13]
	v_add_nc_u64_e32 v[18:19], v[18:19], v[0:1]
	v_and_b32_e32 v31, s3, v31
	v_and_b32_e32 v30, 1, v40
	;; [unrolled: 1-line block ×3, first 2 shown]
	ds_load_b64 v[26:27], v26
	v_dual_lshlrev_b32 v31, 3, v31 :: v_dual_lshrrev_b32 v30, s16, v30
	v_lshlrev_b32_e32 v32, 3, v28
	s_wait_dscnt 0x2
	v_add_nc_u64_e32 v[22:23], s[14:15], v[22:23]
	s_wait_dscnt 0x1
	v_add_nc_u64_e32 v[24:25], s[14:15], v[24:25]
	v_add_nc_u64_e32 v[12:13], v[12:13], v[0:1]
	v_and_b32_e32 v30, s3, v30
	v_and_b32_e32 v29, s3, v29
	v_add_nc_u64_e32 v[22:23], v[22:23], v[0:1]
	s_delay_alu instid0(VALU_DEP_2)
	v_dual_lshlrev_b32 v34, 3, v30 :: v_dual_lshlrev_b32 v33, 3, v29
	ds_load_b64 v[28:29], v31
	ds_load_b64 v[30:31], v32
	;; [unrolled: 1-line block ×4, first 2 shown]
	v_add_nc_u64_e32 v[24:25], v[24:25], v[0:1]
	s_clause 0x6
	global_store_b8 v[4:5], v37, off offset:8192
	global_store_b8 v[8:9], v38, off offset:9216
	;; [unrolled: 1-line block ×7, first 2 shown]
	s_wait_dscnt 0x4
	s_wait_xcnt 0x6
	v_add_nc_u64_e32 v[4:5], s[14:15], v[26:27]
	s_delay_alu instid0(VALU_DEP_1)
	v_add_nc_u64_e32 v[4:5], v[4:5], v[0:1]
	s_wait_dscnt 0x3
	s_wait_xcnt 0x5
	v_add_nc_u64_e32 v[8:9], s[14:15], v[28:29]
	s_wait_dscnt 0x2
	s_wait_xcnt 0x2
	v_add_nc_u64_e32 v[12:13], s[14:15], v[30:31]
	s_wait_dscnt 0x1
	v_add_nc_u64_e32 v[16:17], s[14:15], v[32:33]
	s_wait_dscnt 0x0
	v_add_nc_u64_e32 v[18:19], s[14:15], v[34:35]
	v_add_nc_u64_e32 v[8:9], v[8:9], v[0:1]
	s_delay_alu instid0(VALU_DEP_4) | instskip(NEXT) | instid1(VALU_DEP_4)
	v_add_nc_u64_e32 v[12:13], v[12:13], v[0:1]
	v_add_nc_u64_e32 v[16:17], v[16:17], v[0:1]
	s_delay_alu instid0(VALU_DEP_4)
	v_add_nc_u64_e32 v[18:19], v[18:19], v[0:1]
	s_clause 0x6
	global_store_b8 v[4:5], v46, off offset:15360
	global_store_b8 v[8:9], v47, off offset:16384
	;; [unrolled: 1-line block ×7, first 2 shown]
	s_load_b32 s0, s[0:1], 0x58
	s_wait_kmcnt 0x0
	s_add_co_i32 s0, s0, -1
	s_delay_alu instid0(SALU_CYCLE_1) | instskip(SKIP_2) | instid1(SALU_CYCLE_1)
	s_cmp_eq_u32 s19, s0
	s_cselect_b32 s0, -1, 0
	s_xor_b32 s1, vcc_lo, -1
	s_and_b32 s0, s1, s0
	s_delay_alu instid0(SALU_CYCLE_1)
	s_and_saveexec_b32 s1, s0
	s_cbranch_execz .LBB1879_135
; %bb.134:
	ds_load_b64 v[2:3], v14
	v_mov_b32_e32 v11, 0
	s_delay_alu instid0(VALU_DEP_1) | instskip(SKIP_1) | instid1(VALU_DEP_1)
	v_add_nc_u64_e32 v[4:5], v[6:7], v[10:11]
	s_wait_dscnt 0x0
	v_add_nc_u64_e32 v[2:3], v[4:5], v[2:3]
	global_store_b64 v0, v[2:3], s[10:11] scale_offset
.LBB1879_135:
	s_sendmsg sendmsg(MSG_DEALLOC_VGPRS)
	s_endpgm
	.section	.rodata,"a",@progbits
	.p2align	6, 0x0
	.amdhsa_kernel _ZN7rocprim17ROCPRIM_400000_NS6detail17trampoline_kernelINS0_14default_configENS1_35radix_sort_onesweep_config_selectorIbNS0_10empty_typeEEEZZNS1_29radix_sort_onesweep_iterationIS3_Lb0EPKbPbPS5_SB_mNS0_19identity_decomposerENS1_16block_id_wrapperIjLb0EEEEE10hipError_tT1_PNSt15iterator_traitsISG_E10value_typeET2_T3_PNSH_ISM_E10value_typeET4_T5_PSR_SS_PNS1_23onesweep_lookback_stateEbbT6_jjT7_P12ihipStream_tbENKUlT_T0_SG_SL_E_clISA_SA_SB_SB_EEDaSZ_S10_SG_SL_EUlSZ_E_NS1_11comp_targetILNS1_3genE0ELNS1_11target_archE4294967295ELNS1_3gpuE0ELNS1_3repE0EEENS1_47radix_sort_onesweep_sort_config_static_selectorELNS0_4arch9wavefront6targetE0EEEvSG_
		.amdhsa_group_segment_fixed_size 32904
		.amdhsa_private_segment_fixed_size 0
		.amdhsa_kernarg_size 344
		.amdhsa_user_sgpr_count 2
		.amdhsa_user_sgpr_dispatch_ptr 0
		.amdhsa_user_sgpr_queue_ptr 0
		.amdhsa_user_sgpr_kernarg_segment_ptr 1
		.amdhsa_user_sgpr_dispatch_id 0
		.amdhsa_user_sgpr_kernarg_preload_length 0
		.amdhsa_user_sgpr_kernarg_preload_offset 0
		.amdhsa_user_sgpr_private_segment_size 0
		.amdhsa_wavefront_size32 1
		.amdhsa_uses_dynamic_stack 0
		.amdhsa_enable_private_segment 0
		.amdhsa_system_sgpr_workgroup_id_x 1
		.amdhsa_system_sgpr_workgroup_id_y 0
		.amdhsa_system_sgpr_workgroup_id_z 0
		.amdhsa_system_sgpr_workgroup_info 0
		.amdhsa_system_vgpr_workitem_id 0
		.amdhsa_next_free_vgpr 79
		.amdhsa_next_free_sgpr 25
		.amdhsa_named_barrier_count 0
		.amdhsa_reserve_vcc 1
		.amdhsa_float_round_mode_32 0
		.amdhsa_float_round_mode_16_64 0
		.amdhsa_float_denorm_mode_32 3
		.amdhsa_float_denorm_mode_16_64 3
		.amdhsa_fp16_overflow 0
		.amdhsa_memory_ordered 1
		.amdhsa_forward_progress 1
		.amdhsa_inst_pref_size 96
		.amdhsa_round_robin_scheduling 0
		.amdhsa_exception_fp_ieee_invalid_op 0
		.amdhsa_exception_fp_denorm_src 0
		.amdhsa_exception_fp_ieee_div_zero 0
		.amdhsa_exception_fp_ieee_overflow 0
		.amdhsa_exception_fp_ieee_underflow 0
		.amdhsa_exception_fp_ieee_inexact 0
		.amdhsa_exception_int_div_zero 0
	.end_amdhsa_kernel
	.section	.text._ZN7rocprim17ROCPRIM_400000_NS6detail17trampoline_kernelINS0_14default_configENS1_35radix_sort_onesweep_config_selectorIbNS0_10empty_typeEEEZZNS1_29radix_sort_onesweep_iterationIS3_Lb0EPKbPbPS5_SB_mNS0_19identity_decomposerENS1_16block_id_wrapperIjLb0EEEEE10hipError_tT1_PNSt15iterator_traitsISG_E10value_typeET2_T3_PNSH_ISM_E10value_typeET4_T5_PSR_SS_PNS1_23onesweep_lookback_stateEbbT6_jjT7_P12ihipStream_tbENKUlT_T0_SG_SL_E_clISA_SA_SB_SB_EEDaSZ_S10_SG_SL_EUlSZ_E_NS1_11comp_targetILNS1_3genE0ELNS1_11target_archE4294967295ELNS1_3gpuE0ELNS1_3repE0EEENS1_47radix_sort_onesweep_sort_config_static_selectorELNS0_4arch9wavefront6targetE0EEEvSG_,"axG",@progbits,_ZN7rocprim17ROCPRIM_400000_NS6detail17trampoline_kernelINS0_14default_configENS1_35radix_sort_onesweep_config_selectorIbNS0_10empty_typeEEEZZNS1_29radix_sort_onesweep_iterationIS3_Lb0EPKbPbPS5_SB_mNS0_19identity_decomposerENS1_16block_id_wrapperIjLb0EEEEE10hipError_tT1_PNSt15iterator_traitsISG_E10value_typeET2_T3_PNSH_ISM_E10value_typeET4_T5_PSR_SS_PNS1_23onesweep_lookback_stateEbbT6_jjT7_P12ihipStream_tbENKUlT_T0_SG_SL_E_clISA_SA_SB_SB_EEDaSZ_S10_SG_SL_EUlSZ_E_NS1_11comp_targetILNS1_3genE0ELNS1_11target_archE4294967295ELNS1_3gpuE0ELNS1_3repE0EEENS1_47radix_sort_onesweep_sort_config_static_selectorELNS0_4arch9wavefront6targetE0EEEvSG_,comdat
.Lfunc_end1879:
	.size	_ZN7rocprim17ROCPRIM_400000_NS6detail17trampoline_kernelINS0_14default_configENS1_35radix_sort_onesweep_config_selectorIbNS0_10empty_typeEEEZZNS1_29radix_sort_onesweep_iterationIS3_Lb0EPKbPbPS5_SB_mNS0_19identity_decomposerENS1_16block_id_wrapperIjLb0EEEEE10hipError_tT1_PNSt15iterator_traitsISG_E10value_typeET2_T3_PNSH_ISM_E10value_typeET4_T5_PSR_SS_PNS1_23onesweep_lookback_stateEbbT6_jjT7_P12ihipStream_tbENKUlT_T0_SG_SL_E_clISA_SA_SB_SB_EEDaSZ_S10_SG_SL_EUlSZ_E_NS1_11comp_targetILNS1_3genE0ELNS1_11target_archE4294967295ELNS1_3gpuE0ELNS1_3repE0EEENS1_47radix_sort_onesweep_sort_config_static_selectorELNS0_4arch9wavefront6targetE0EEEvSG_, .Lfunc_end1879-_ZN7rocprim17ROCPRIM_400000_NS6detail17trampoline_kernelINS0_14default_configENS1_35radix_sort_onesweep_config_selectorIbNS0_10empty_typeEEEZZNS1_29radix_sort_onesweep_iterationIS3_Lb0EPKbPbPS5_SB_mNS0_19identity_decomposerENS1_16block_id_wrapperIjLb0EEEEE10hipError_tT1_PNSt15iterator_traitsISG_E10value_typeET2_T3_PNSH_ISM_E10value_typeET4_T5_PSR_SS_PNS1_23onesweep_lookback_stateEbbT6_jjT7_P12ihipStream_tbENKUlT_T0_SG_SL_E_clISA_SA_SB_SB_EEDaSZ_S10_SG_SL_EUlSZ_E_NS1_11comp_targetILNS1_3genE0ELNS1_11target_archE4294967295ELNS1_3gpuE0ELNS1_3repE0EEENS1_47radix_sort_onesweep_sort_config_static_selectorELNS0_4arch9wavefront6targetE0EEEvSG_
                                        ; -- End function
	.set _ZN7rocprim17ROCPRIM_400000_NS6detail17trampoline_kernelINS0_14default_configENS1_35radix_sort_onesweep_config_selectorIbNS0_10empty_typeEEEZZNS1_29radix_sort_onesweep_iterationIS3_Lb0EPKbPbPS5_SB_mNS0_19identity_decomposerENS1_16block_id_wrapperIjLb0EEEEE10hipError_tT1_PNSt15iterator_traitsISG_E10value_typeET2_T3_PNSH_ISM_E10value_typeET4_T5_PSR_SS_PNS1_23onesweep_lookback_stateEbbT6_jjT7_P12ihipStream_tbENKUlT_T0_SG_SL_E_clISA_SA_SB_SB_EEDaSZ_S10_SG_SL_EUlSZ_E_NS1_11comp_targetILNS1_3genE0ELNS1_11target_archE4294967295ELNS1_3gpuE0ELNS1_3repE0EEENS1_47radix_sort_onesweep_sort_config_static_selectorELNS0_4arch9wavefront6targetE0EEEvSG_.num_vgpr, 79
	.set _ZN7rocprim17ROCPRIM_400000_NS6detail17trampoline_kernelINS0_14default_configENS1_35radix_sort_onesweep_config_selectorIbNS0_10empty_typeEEEZZNS1_29radix_sort_onesweep_iterationIS3_Lb0EPKbPbPS5_SB_mNS0_19identity_decomposerENS1_16block_id_wrapperIjLb0EEEEE10hipError_tT1_PNSt15iterator_traitsISG_E10value_typeET2_T3_PNSH_ISM_E10value_typeET4_T5_PSR_SS_PNS1_23onesweep_lookback_stateEbbT6_jjT7_P12ihipStream_tbENKUlT_T0_SG_SL_E_clISA_SA_SB_SB_EEDaSZ_S10_SG_SL_EUlSZ_E_NS1_11comp_targetILNS1_3genE0ELNS1_11target_archE4294967295ELNS1_3gpuE0ELNS1_3repE0EEENS1_47radix_sort_onesweep_sort_config_static_selectorELNS0_4arch9wavefront6targetE0EEEvSG_.num_agpr, 0
	.set _ZN7rocprim17ROCPRIM_400000_NS6detail17trampoline_kernelINS0_14default_configENS1_35radix_sort_onesweep_config_selectorIbNS0_10empty_typeEEEZZNS1_29radix_sort_onesweep_iterationIS3_Lb0EPKbPbPS5_SB_mNS0_19identity_decomposerENS1_16block_id_wrapperIjLb0EEEEE10hipError_tT1_PNSt15iterator_traitsISG_E10value_typeET2_T3_PNSH_ISM_E10value_typeET4_T5_PSR_SS_PNS1_23onesweep_lookback_stateEbbT6_jjT7_P12ihipStream_tbENKUlT_T0_SG_SL_E_clISA_SA_SB_SB_EEDaSZ_S10_SG_SL_EUlSZ_E_NS1_11comp_targetILNS1_3genE0ELNS1_11target_archE4294967295ELNS1_3gpuE0ELNS1_3repE0EEENS1_47radix_sort_onesweep_sort_config_static_selectorELNS0_4arch9wavefront6targetE0EEEvSG_.numbered_sgpr, 25
	.set _ZN7rocprim17ROCPRIM_400000_NS6detail17trampoline_kernelINS0_14default_configENS1_35radix_sort_onesweep_config_selectorIbNS0_10empty_typeEEEZZNS1_29radix_sort_onesweep_iterationIS3_Lb0EPKbPbPS5_SB_mNS0_19identity_decomposerENS1_16block_id_wrapperIjLb0EEEEE10hipError_tT1_PNSt15iterator_traitsISG_E10value_typeET2_T3_PNSH_ISM_E10value_typeET4_T5_PSR_SS_PNS1_23onesweep_lookback_stateEbbT6_jjT7_P12ihipStream_tbENKUlT_T0_SG_SL_E_clISA_SA_SB_SB_EEDaSZ_S10_SG_SL_EUlSZ_E_NS1_11comp_targetILNS1_3genE0ELNS1_11target_archE4294967295ELNS1_3gpuE0ELNS1_3repE0EEENS1_47radix_sort_onesweep_sort_config_static_selectorELNS0_4arch9wavefront6targetE0EEEvSG_.num_named_barrier, 0
	.set _ZN7rocprim17ROCPRIM_400000_NS6detail17trampoline_kernelINS0_14default_configENS1_35radix_sort_onesweep_config_selectorIbNS0_10empty_typeEEEZZNS1_29radix_sort_onesweep_iterationIS3_Lb0EPKbPbPS5_SB_mNS0_19identity_decomposerENS1_16block_id_wrapperIjLb0EEEEE10hipError_tT1_PNSt15iterator_traitsISG_E10value_typeET2_T3_PNSH_ISM_E10value_typeET4_T5_PSR_SS_PNS1_23onesweep_lookback_stateEbbT6_jjT7_P12ihipStream_tbENKUlT_T0_SG_SL_E_clISA_SA_SB_SB_EEDaSZ_S10_SG_SL_EUlSZ_E_NS1_11comp_targetILNS1_3genE0ELNS1_11target_archE4294967295ELNS1_3gpuE0ELNS1_3repE0EEENS1_47radix_sort_onesweep_sort_config_static_selectorELNS0_4arch9wavefront6targetE0EEEvSG_.private_seg_size, 0
	.set _ZN7rocprim17ROCPRIM_400000_NS6detail17trampoline_kernelINS0_14default_configENS1_35radix_sort_onesweep_config_selectorIbNS0_10empty_typeEEEZZNS1_29radix_sort_onesweep_iterationIS3_Lb0EPKbPbPS5_SB_mNS0_19identity_decomposerENS1_16block_id_wrapperIjLb0EEEEE10hipError_tT1_PNSt15iterator_traitsISG_E10value_typeET2_T3_PNSH_ISM_E10value_typeET4_T5_PSR_SS_PNS1_23onesweep_lookback_stateEbbT6_jjT7_P12ihipStream_tbENKUlT_T0_SG_SL_E_clISA_SA_SB_SB_EEDaSZ_S10_SG_SL_EUlSZ_E_NS1_11comp_targetILNS1_3genE0ELNS1_11target_archE4294967295ELNS1_3gpuE0ELNS1_3repE0EEENS1_47radix_sort_onesweep_sort_config_static_selectorELNS0_4arch9wavefront6targetE0EEEvSG_.uses_vcc, 1
	.set _ZN7rocprim17ROCPRIM_400000_NS6detail17trampoline_kernelINS0_14default_configENS1_35radix_sort_onesweep_config_selectorIbNS0_10empty_typeEEEZZNS1_29radix_sort_onesweep_iterationIS3_Lb0EPKbPbPS5_SB_mNS0_19identity_decomposerENS1_16block_id_wrapperIjLb0EEEEE10hipError_tT1_PNSt15iterator_traitsISG_E10value_typeET2_T3_PNSH_ISM_E10value_typeET4_T5_PSR_SS_PNS1_23onesweep_lookback_stateEbbT6_jjT7_P12ihipStream_tbENKUlT_T0_SG_SL_E_clISA_SA_SB_SB_EEDaSZ_S10_SG_SL_EUlSZ_E_NS1_11comp_targetILNS1_3genE0ELNS1_11target_archE4294967295ELNS1_3gpuE0ELNS1_3repE0EEENS1_47radix_sort_onesweep_sort_config_static_selectorELNS0_4arch9wavefront6targetE0EEEvSG_.uses_flat_scratch, 0
	.set _ZN7rocprim17ROCPRIM_400000_NS6detail17trampoline_kernelINS0_14default_configENS1_35radix_sort_onesweep_config_selectorIbNS0_10empty_typeEEEZZNS1_29radix_sort_onesweep_iterationIS3_Lb0EPKbPbPS5_SB_mNS0_19identity_decomposerENS1_16block_id_wrapperIjLb0EEEEE10hipError_tT1_PNSt15iterator_traitsISG_E10value_typeET2_T3_PNSH_ISM_E10value_typeET4_T5_PSR_SS_PNS1_23onesweep_lookback_stateEbbT6_jjT7_P12ihipStream_tbENKUlT_T0_SG_SL_E_clISA_SA_SB_SB_EEDaSZ_S10_SG_SL_EUlSZ_E_NS1_11comp_targetILNS1_3genE0ELNS1_11target_archE4294967295ELNS1_3gpuE0ELNS1_3repE0EEENS1_47radix_sort_onesweep_sort_config_static_selectorELNS0_4arch9wavefront6targetE0EEEvSG_.has_dyn_sized_stack, 0
	.set _ZN7rocprim17ROCPRIM_400000_NS6detail17trampoline_kernelINS0_14default_configENS1_35radix_sort_onesweep_config_selectorIbNS0_10empty_typeEEEZZNS1_29radix_sort_onesweep_iterationIS3_Lb0EPKbPbPS5_SB_mNS0_19identity_decomposerENS1_16block_id_wrapperIjLb0EEEEE10hipError_tT1_PNSt15iterator_traitsISG_E10value_typeET2_T3_PNSH_ISM_E10value_typeET4_T5_PSR_SS_PNS1_23onesweep_lookback_stateEbbT6_jjT7_P12ihipStream_tbENKUlT_T0_SG_SL_E_clISA_SA_SB_SB_EEDaSZ_S10_SG_SL_EUlSZ_E_NS1_11comp_targetILNS1_3genE0ELNS1_11target_archE4294967295ELNS1_3gpuE0ELNS1_3repE0EEENS1_47radix_sort_onesweep_sort_config_static_selectorELNS0_4arch9wavefront6targetE0EEEvSG_.has_recursion, 0
	.set _ZN7rocprim17ROCPRIM_400000_NS6detail17trampoline_kernelINS0_14default_configENS1_35radix_sort_onesweep_config_selectorIbNS0_10empty_typeEEEZZNS1_29radix_sort_onesweep_iterationIS3_Lb0EPKbPbPS5_SB_mNS0_19identity_decomposerENS1_16block_id_wrapperIjLb0EEEEE10hipError_tT1_PNSt15iterator_traitsISG_E10value_typeET2_T3_PNSH_ISM_E10value_typeET4_T5_PSR_SS_PNS1_23onesweep_lookback_stateEbbT6_jjT7_P12ihipStream_tbENKUlT_T0_SG_SL_E_clISA_SA_SB_SB_EEDaSZ_S10_SG_SL_EUlSZ_E_NS1_11comp_targetILNS1_3genE0ELNS1_11target_archE4294967295ELNS1_3gpuE0ELNS1_3repE0EEENS1_47radix_sort_onesweep_sort_config_static_selectorELNS0_4arch9wavefront6targetE0EEEvSG_.has_indirect_call, 0
	.section	.AMDGPU.csdata,"",@progbits
; Kernel info:
; codeLenInByte = 12232
; TotalNumSgprs: 27
; NumVgprs: 79
; ScratchSize: 0
; MemoryBound: 0
; FloatMode: 240
; IeeeMode: 1
; LDSByteSize: 32904 bytes/workgroup (compile time only)
; SGPRBlocks: 0
; VGPRBlocks: 4
; NumSGPRsForWavesPerEU: 27
; NumVGPRsForWavesPerEU: 79
; NamedBarCnt: 0
; Occupancy: 12
; WaveLimiterHint : 0
; COMPUTE_PGM_RSRC2:SCRATCH_EN: 0
; COMPUTE_PGM_RSRC2:USER_SGPR: 2
; COMPUTE_PGM_RSRC2:TRAP_HANDLER: 0
; COMPUTE_PGM_RSRC2:TGID_X_EN: 1
; COMPUTE_PGM_RSRC2:TGID_Y_EN: 0
; COMPUTE_PGM_RSRC2:TGID_Z_EN: 0
; COMPUTE_PGM_RSRC2:TIDIG_COMP_CNT: 0
	.section	.text._ZN7rocprim17ROCPRIM_400000_NS6detail17trampoline_kernelINS0_14default_configENS1_35radix_sort_onesweep_config_selectorIbNS0_10empty_typeEEEZZNS1_29radix_sort_onesweep_iterationIS3_Lb0EPKbPbPS5_SB_mNS0_19identity_decomposerENS1_16block_id_wrapperIjLb0EEEEE10hipError_tT1_PNSt15iterator_traitsISG_E10value_typeET2_T3_PNSH_ISM_E10value_typeET4_T5_PSR_SS_PNS1_23onesweep_lookback_stateEbbT6_jjT7_P12ihipStream_tbENKUlT_T0_SG_SL_E_clISA_SA_SB_SB_EEDaSZ_S10_SG_SL_EUlSZ_E_NS1_11comp_targetILNS1_3genE6ELNS1_11target_archE950ELNS1_3gpuE13ELNS1_3repE0EEENS1_47radix_sort_onesweep_sort_config_static_selectorELNS0_4arch9wavefront6targetE0EEEvSG_,"axG",@progbits,_ZN7rocprim17ROCPRIM_400000_NS6detail17trampoline_kernelINS0_14default_configENS1_35radix_sort_onesweep_config_selectorIbNS0_10empty_typeEEEZZNS1_29radix_sort_onesweep_iterationIS3_Lb0EPKbPbPS5_SB_mNS0_19identity_decomposerENS1_16block_id_wrapperIjLb0EEEEE10hipError_tT1_PNSt15iterator_traitsISG_E10value_typeET2_T3_PNSH_ISM_E10value_typeET4_T5_PSR_SS_PNS1_23onesweep_lookback_stateEbbT6_jjT7_P12ihipStream_tbENKUlT_T0_SG_SL_E_clISA_SA_SB_SB_EEDaSZ_S10_SG_SL_EUlSZ_E_NS1_11comp_targetILNS1_3genE6ELNS1_11target_archE950ELNS1_3gpuE13ELNS1_3repE0EEENS1_47radix_sort_onesweep_sort_config_static_selectorELNS0_4arch9wavefront6targetE0EEEvSG_,comdat
	.protected	_ZN7rocprim17ROCPRIM_400000_NS6detail17trampoline_kernelINS0_14default_configENS1_35radix_sort_onesweep_config_selectorIbNS0_10empty_typeEEEZZNS1_29radix_sort_onesweep_iterationIS3_Lb0EPKbPbPS5_SB_mNS0_19identity_decomposerENS1_16block_id_wrapperIjLb0EEEEE10hipError_tT1_PNSt15iterator_traitsISG_E10value_typeET2_T3_PNSH_ISM_E10value_typeET4_T5_PSR_SS_PNS1_23onesweep_lookback_stateEbbT6_jjT7_P12ihipStream_tbENKUlT_T0_SG_SL_E_clISA_SA_SB_SB_EEDaSZ_S10_SG_SL_EUlSZ_E_NS1_11comp_targetILNS1_3genE6ELNS1_11target_archE950ELNS1_3gpuE13ELNS1_3repE0EEENS1_47radix_sort_onesweep_sort_config_static_selectorELNS0_4arch9wavefront6targetE0EEEvSG_ ; -- Begin function _ZN7rocprim17ROCPRIM_400000_NS6detail17trampoline_kernelINS0_14default_configENS1_35radix_sort_onesweep_config_selectorIbNS0_10empty_typeEEEZZNS1_29radix_sort_onesweep_iterationIS3_Lb0EPKbPbPS5_SB_mNS0_19identity_decomposerENS1_16block_id_wrapperIjLb0EEEEE10hipError_tT1_PNSt15iterator_traitsISG_E10value_typeET2_T3_PNSH_ISM_E10value_typeET4_T5_PSR_SS_PNS1_23onesweep_lookback_stateEbbT6_jjT7_P12ihipStream_tbENKUlT_T0_SG_SL_E_clISA_SA_SB_SB_EEDaSZ_S10_SG_SL_EUlSZ_E_NS1_11comp_targetILNS1_3genE6ELNS1_11target_archE950ELNS1_3gpuE13ELNS1_3repE0EEENS1_47radix_sort_onesweep_sort_config_static_selectorELNS0_4arch9wavefront6targetE0EEEvSG_
	.globl	_ZN7rocprim17ROCPRIM_400000_NS6detail17trampoline_kernelINS0_14default_configENS1_35radix_sort_onesweep_config_selectorIbNS0_10empty_typeEEEZZNS1_29radix_sort_onesweep_iterationIS3_Lb0EPKbPbPS5_SB_mNS0_19identity_decomposerENS1_16block_id_wrapperIjLb0EEEEE10hipError_tT1_PNSt15iterator_traitsISG_E10value_typeET2_T3_PNSH_ISM_E10value_typeET4_T5_PSR_SS_PNS1_23onesweep_lookback_stateEbbT6_jjT7_P12ihipStream_tbENKUlT_T0_SG_SL_E_clISA_SA_SB_SB_EEDaSZ_S10_SG_SL_EUlSZ_E_NS1_11comp_targetILNS1_3genE6ELNS1_11target_archE950ELNS1_3gpuE13ELNS1_3repE0EEENS1_47radix_sort_onesweep_sort_config_static_selectorELNS0_4arch9wavefront6targetE0EEEvSG_
	.p2align	8
	.type	_ZN7rocprim17ROCPRIM_400000_NS6detail17trampoline_kernelINS0_14default_configENS1_35radix_sort_onesweep_config_selectorIbNS0_10empty_typeEEEZZNS1_29radix_sort_onesweep_iterationIS3_Lb0EPKbPbPS5_SB_mNS0_19identity_decomposerENS1_16block_id_wrapperIjLb0EEEEE10hipError_tT1_PNSt15iterator_traitsISG_E10value_typeET2_T3_PNSH_ISM_E10value_typeET4_T5_PSR_SS_PNS1_23onesweep_lookback_stateEbbT6_jjT7_P12ihipStream_tbENKUlT_T0_SG_SL_E_clISA_SA_SB_SB_EEDaSZ_S10_SG_SL_EUlSZ_E_NS1_11comp_targetILNS1_3genE6ELNS1_11target_archE950ELNS1_3gpuE13ELNS1_3repE0EEENS1_47radix_sort_onesweep_sort_config_static_selectorELNS0_4arch9wavefront6targetE0EEEvSG_,@function
_ZN7rocprim17ROCPRIM_400000_NS6detail17trampoline_kernelINS0_14default_configENS1_35radix_sort_onesweep_config_selectorIbNS0_10empty_typeEEEZZNS1_29radix_sort_onesweep_iterationIS3_Lb0EPKbPbPS5_SB_mNS0_19identity_decomposerENS1_16block_id_wrapperIjLb0EEEEE10hipError_tT1_PNSt15iterator_traitsISG_E10value_typeET2_T3_PNSH_ISM_E10value_typeET4_T5_PSR_SS_PNS1_23onesweep_lookback_stateEbbT6_jjT7_P12ihipStream_tbENKUlT_T0_SG_SL_E_clISA_SA_SB_SB_EEDaSZ_S10_SG_SL_EUlSZ_E_NS1_11comp_targetILNS1_3genE6ELNS1_11target_archE950ELNS1_3gpuE13ELNS1_3repE0EEENS1_47radix_sort_onesweep_sort_config_static_selectorELNS0_4arch9wavefront6targetE0EEEvSG_: ; @_ZN7rocprim17ROCPRIM_400000_NS6detail17trampoline_kernelINS0_14default_configENS1_35radix_sort_onesweep_config_selectorIbNS0_10empty_typeEEEZZNS1_29radix_sort_onesweep_iterationIS3_Lb0EPKbPbPS5_SB_mNS0_19identity_decomposerENS1_16block_id_wrapperIjLb0EEEEE10hipError_tT1_PNSt15iterator_traitsISG_E10value_typeET2_T3_PNSH_ISM_E10value_typeET4_T5_PSR_SS_PNS1_23onesweep_lookback_stateEbbT6_jjT7_P12ihipStream_tbENKUlT_T0_SG_SL_E_clISA_SA_SB_SB_EEDaSZ_S10_SG_SL_EUlSZ_E_NS1_11comp_targetILNS1_3genE6ELNS1_11target_archE950ELNS1_3gpuE13ELNS1_3repE0EEENS1_47radix_sort_onesweep_sort_config_static_selectorELNS0_4arch9wavefront6targetE0EEEvSG_
; %bb.0:
	.section	.rodata,"a",@progbits
	.p2align	6, 0x0
	.amdhsa_kernel _ZN7rocprim17ROCPRIM_400000_NS6detail17trampoline_kernelINS0_14default_configENS1_35radix_sort_onesweep_config_selectorIbNS0_10empty_typeEEEZZNS1_29radix_sort_onesweep_iterationIS3_Lb0EPKbPbPS5_SB_mNS0_19identity_decomposerENS1_16block_id_wrapperIjLb0EEEEE10hipError_tT1_PNSt15iterator_traitsISG_E10value_typeET2_T3_PNSH_ISM_E10value_typeET4_T5_PSR_SS_PNS1_23onesweep_lookback_stateEbbT6_jjT7_P12ihipStream_tbENKUlT_T0_SG_SL_E_clISA_SA_SB_SB_EEDaSZ_S10_SG_SL_EUlSZ_E_NS1_11comp_targetILNS1_3genE6ELNS1_11target_archE950ELNS1_3gpuE13ELNS1_3repE0EEENS1_47radix_sort_onesweep_sort_config_static_selectorELNS0_4arch9wavefront6targetE0EEEvSG_
		.amdhsa_group_segment_fixed_size 0
		.amdhsa_private_segment_fixed_size 0
		.amdhsa_kernarg_size 88
		.amdhsa_user_sgpr_count 2
		.amdhsa_user_sgpr_dispatch_ptr 0
		.amdhsa_user_sgpr_queue_ptr 0
		.amdhsa_user_sgpr_kernarg_segment_ptr 1
		.amdhsa_user_sgpr_dispatch_id 0
		.amdhsa_user_sgpr_kernarg_preload_length 0
		.amdhsa_user_sgpr_kernarg_preload_offset 0
		.amdhsa_user_sgpr_private_segment_size 0
		.amdhsa_wavefront_size32 1
		.amdhsa_uses_dynamic_stack 0
		.amdhsa_enable_private_segment 0
		.amdhsa_system_sgpr_workgroup_id_x 1
		.amdhsa_system_sgpr_workgroup_id_y 0
		.amdhsa_system_sgpr_workgroup_id_z 0
		.amdhsa_system_sgpr_workgroup_info 0
		.amdhsa_system_vgpr_workitem_id 0
		.amdhsa_next_free_vgpr 1
		.amdhsa_next_free_sgpr 1
		.amdhsa_named_barrier_count 0
		.amdhsa_reserve_vcc 0
		.amdhsa_float_round_mode_32 0
		.amdhsa_float_round_mode_16_64 0
		.amdhsa_float_denorm_mode_32 3
		.amdhsa_float_denorm_mode_16_64 3
		.amdhsa_fp16_overflow 0
		.amdhsa_memory_ordered 1
		.amdhsa_forward_progress 1
		.amdhsa_inst_pref_size 0
		.amdhsa_round_robin_scheduling 0
		.amdhsa_exception_fp_ieee_invalid_op 0
		.amdhsa_exception_fp_denorm_src 0
		.amdhsa_exception_fp_ieee_div_zero 0
		.amdhsa_exception_fp_ieee_overflow 0
		.amdhsa_exception_fp_ieee_underflow 0
		.amdhsa_exception_fp_ieee_inexact 0
		.amdhsa_exception_int_div_zero 0
	.end_amdhsa_kernel
	.section	.text._ZN7rocprim17ROCPRIM_400000_NS6detail17trampoline_kernelINS0_14default_configENS1_35radix_sort_onesweep_config_selectorIbNS0_10empty_typeEEEZZNS1_29radix_sort_onesweep_iterationIS3_Lb0EPKbPbPS5_SB_mNS0_19identity_decomposerENS1_16block_id_wrapperIjLb0EEEEE10hipError_tT1_PNSt15iterator_traitsISG_E10value_typeET2_T3_PNSH_ISM_E10value_typeET4_T5_PSR_SS_PNS1_23onesweep_lookback_stateEbbT6_jjT7_P12ihipStream_tbENKUlT_T0_SG_SL_E_clISA_SA_SB_SB_EEDaSZ_S10_SG_SL_EUlSZ_E_NS1_11comp_targetILNS1_3genE6ELNS1_11target_archE950ELNS1_3gpuE13ELNS1_3repE0EEENS1_47radix_sort_onesweep_sort_config_static_selectorELNS0_4arch9wavefront6targetE0EEEvSG_,"axG",@progbits,_ZN7rocprim17ROCPRIM_400000_NS6detail17trampoline_kernelINS0_14default_configENS1_35radix_sort_onesweep_config_selectorIbNS0_10empty_typeEEEZZNS1_29radix_sort_onesweep_iterationIS3_Lb0EPKbPbPS5_SB_mNS0_19identity_decomposerENS1_16block_id_wrapperIjLb0EEEEE10hipError_tT1_PNSt15iterator_traitsISG_E10value_typeET2_T3_PNSH_ISM_E10value_typeET4_T5_PSR_SS_PNS1_23onesweep_lookback_stateEbbT6_jjT7_P12ihipStream_tbENKUlT_T0_SG_SL_E_clISA_SA_SB_SB_EEDaSZ_S10_SG_SL_EUlSZ_E_NS1_11comp_targetILNS1_3genE6ELNS1_11target_archE950ELNS1_3gpuE13ELNS1_3repE0EEENS1_47radix_sort_onesweep_sort_config_static_selectorELNS0_4arch9wavefront6targetE0EEEvSG_,comdat
.Lfunc_end1880:
	.size	_ZN7rocprim17ROCPRIM_400000_NS6detail17trampoline_kernelINS0_14default_configENS1_35radix_sort_onesweep_config_selectorIbNS0_10empty_typeEEEZZNS1_29radix_sort_onesweep_iterationIS3_Lb0EPKbPbPS5_SB_mNS0_19identity_decomposerENS1_16block_id_wrapperIjLb0EEEEE10hipError_tT1_PNSt15iterator_traitsISG_E10value_typeET2_T3_PNSH_ISM_E10value_typeET4_T5_PSR_SS_PNS1_23onesweep_lookback_stateEbbT6_jjT7_P12ihipStream_tbENKUlT_T0_SG_SL_E_clISA_SA_SB_SB_EEDaSZ_S10_SG_SL_EUlSZ_E_NS1_11comp_targetILNS1_3genE6ELNS1_11target_archE950ELNS1_3gpuE13ELNS1_3repE0EEENS1_47radix_sort_onesweep_sort_config_static_selectorELNS0_4arch9wavefront6targetE0EEEvSG_, .Lfunc_end1880-_ZN7rocprim17ROCPRIM_400000_NS6detail17trampoline_kernelINS0_14default_configENS1_35radix_sort_onesweep_config_selectorIbNS0_10empty_typeEEEZZNS1_29radix_sort_onesweep_iterationIS3_Lb0EPKbPbPS5_SB_mNS0_19identity_decomposerENS1_16block_id_wrapperIjLb0EEEEE10hipError_tT1_PNSt15iterator_traitsISG_E10value_typeET2_T3_PNSH_ISM_E10value_typeET4_T5_PSR_SS_PNS1_23onesweep_lookback_stateEbbT6_jjT7_P12ihipStream_tbENKUlT_T0_SG_SL_E_clISA_SA_SB_SB_EEDaSZ_S10_SG_SL_EUlSZ_E_NS1_11comp_targetILNS1_3genE6ELNS1_11target_archE950ELNS1_3gpuE13ELNS1_3repE0EEENS1_47radix_sort_onesweep_sort_config_static_selectorELNS0_4arch9wavefront6targetE0EEEvSG_
                                        ; -- End function
	.set _ZN7rocprim17ROCPRIM_400000_NS6detail17trampoline_kernelINS0_14default_configENS1_35radix_sort_onesweep_config_selectorIbNS0_10empty_typeEEEZZNS1_29radix_sort_onesweep_iterationIS3_Lb0EPKbPbPS5_SB_mNS0_19identity_decomposerENS1_16block_id_wrapperIjLb0EEEEE10hipError_tT1_PNSt15iterator_traitsISG_E10value_typeET2_T3_PNSH_ISM_E10value_typeET4_T5_PSR_SS_PNS1_23onesweep_lookback_stateEbbT6_jjT7_P12ihipStream_tbENKUlT_T0_SG_SL_E_clISA_SA_SB_SB_EEDaSZ_S10_SG_SL_EUlSZ_E_NS1_11comp_targetILNS1_3genE6ELNS1_11target_archE950ELNS1_3gpuE13ELNS1_3repE0EEENS1_47radix_sort_onesweep_sort_config_static_selectorELNS0_4arch9wavefront6targetE0EEEvSG_.num_vgpr, 0
	.set _ZN7rocprim17ROCPRIM_400000_NS6detail17trampoline_kernelINS0_14default_configENS1_35radix_sort_onesweep_config_selectorIbNS0_10empty_typeEEEZZNS1_29radix_sort_onesweep_iterationIS3_Lb0EPKbPbPS5_SB_mNS0_19identity_decomposerENS1_16block_id_wrapperIjLb0EEEEE10hipError_tT1_PNSt15iterator_traitsISG_E10value_typeET2_T3_PNSH_ISM_E10value_typeET4_T5_PSR_SS_PNS1_23onesweep_lookback_stateEbbT6_jjT7_P12ihipStream_tbENKUlT_T0_SG_SL_E_clISA_SA_SB_SB_EEDaSZ_S10_SG_SL_EUlSZ_E_NS1_11comp_targetILNS1_3genE6ELNS1_11target_archE950ELNS1_3gpuE13ELNS1_3repE0EEENS1_47radix_sort_onesweep_sort_config_static_selectorELNS0_4arch9wavefront6targetE0EEEvSG_.num_agpr, 0
	.set _ZN7rocprim17ROCPRIM_400000_NS6detail17trampoline_kernelINS0_14default_configENS1_35radix_sort_onesweep_config_selectorIbNS0_10empty_typeEEEZZNS1_29radix_sort_onesweep_iterationIS3_Lb0EPKbPbPS5_SB_mNS0_19identity_decomposerENS1_16block_id_wrapperIjLb0EEEEE10hipError_tT1_PNSt15iterator_traitsISG_E10value_typeET2_T3_PNSH_ISM_E10value_typeET4_T5_PSR_SS_PNS1_23onesweep_lookback_stateEbbT6_jjT7_P12ihipStream_tbENKUlT_T0_SG_SL_E_clISA_SA_SB_SB_EEDaSZ_S10_SG_SL_EUlSZ_E_NS1_11comp_targetILNS1_3genE6ELNS1_11target_archE950ELNS1_3gpuE13ELNS1_3repE0EEENS1_47radix_sort_onesweep_sort_config_static_selectorELNS0_4arch9wavefront6targetE0EEEvSG_.numbered_sgpr, 0
	.set _ZN7rocprim17ROCPRIM_400000_NS6detail17trampoline_kernelINS0_14default_configENS1_35radix_sort_onesweep_config_selectorIbNS0_10empty_typeEEEZZNS1_29radix_sort_onesweep_iterationIS3_Lb0EPKbPbPS5_SB_mNS0_19identity_decomposerENS1_16block_id_wrapperIjLb0EEEEE10hipError_tT1_PNSt15iterator_traitsISG_E10value_typeET2_T3_PNSH_ISM_E10value_typeET4_T5_PSR_SS_PNS1_23onesweep_lookback_stateEbbT6_jjT7_P12ihipStream_tbENKUlT_T0_SG_SL_E_clISA_SA_SB_SB_EEDaSZ_S10_SG_SL_EUlSZ_E_NS1_11comp_targetILNS1_3genE6ELNS1_11target_archE950ELNS1_3gpuE13ELNS1_3repE0EEENS1_47radix_sort_onesweep_sort_config_static_selectorELNS0_4arch9wavefront6targetE0EEEvSG_.num_named_barrier, 0
	.set _ZN7rocprim17ROCPRIM_400000_NS6detail17trampoline_kernelINS0_14default_configENS1_35radix_sort_onesweep_config_selectorIbNS0_10empty_typeEEEZZNS1_29radix_sort_onesweep_iterationIS3_Lb0EPKbPbPS5_SB_mNS0_19identity_decomposerENS1_16block_id_wrapperIjLb0EEEEE10hipError_tT1_PNSt15iterator_traitsISG_E10value_typeET2_T3_PNSH_ISM_E10value_typeET4_T5_PSR_SS_PNS1_23onesweep_lookback_stateEbbT6_jjT7_P12ihipStream_tbENKUlT_T0_SG_SL_E_clISA_SA_SB_SB_EEDaSZ_S10_SG_SL_EUlSZ_E_NS1_11comp_targetILNS1_3genE6ELNS1_11target_archE950ELNS1_3gpuE13ELNS1_3repE0EEENS1_47radix_sort_onesweep_sort_config_static_selectorELNS0_4arch9wavefront6targetE0EEEvSG_.private_seg_size, 0
	.set _ZN7rocprim17ROCPRIM_400000_NS6detail17trampoline_kernelINS0_14default_configENS1_35radix_sort_onesweep_config_selectorIbNS0_10empty_typeEEEZZNS1_29radix_sort_onesweep_iterationIS3_Lb0EPKbPbPS5_SB_mNS0_19identity_decomposerENS1_16block_id_wrapperIjLb0EEEEE10hipError_tT1_PNSt15iterator_traitsISG_E10value_typeET2_T3_PNSH_ISM_E10value_typeET4_T5_PSR_SS_PNS1_23onesweep_lookback_stateEbbT6_jjT7_P12ihipStream_tbENKUlT_T0_SG_SL_E_clISA_SA_SB_SB_EEDaSZ_S10_SG_SL_EUlSZ_E_NS1_11comp_targetILNS1_3genE6ELNS1_11target_archE950ELNS1_3gpuE13ELNS1_3repE0EEENS1_47radix_sort_onesweep_sort_config_static_selectorELNS0_4arch9wavefront6targetE0EEEvSG_.uses_vcc, 0
	.set _ZN7rocprim17ROCPRIM_400000_NS6detail17trampoline_kernelINS0_14default_configENS1_35radix_sort_onesweep_config_selectorIbNS0_10empty_typeEEEZZNS1_29radix_sort_onesweep_iterationIS3_Lb0EPKbPbPS5_SB_mNS0_19identity_decomposerENS1_16block_id_wrapperIjLb0EEEEE10hipError_tT1_PNSt15iterator_traitsISG_E10value_typeET2_T3_PNSH_ISM_E10value_typeET4_T5_PSR_SS_PNS1_23onesweep_lookback_stateEbbT6_jjT7_P12ihipStream_tbENKUlT_T0_SG_SL_E_clISA_SA_SB_SB_EEDaSZ_S10_SG_SL_EUlSZ_E_NS1_11comp_targetILNS1_3genE6ELNS1_11target_archE950ELNS1_3gpuE13ELNS1_3repE0EEENS1_47radix_sort_onesweep_sort_config_static_selectorELNS0_4arch9wavefront6targetE0EEEvSG_.uses_flat_scratch, 0
	.set _ZN7rocprim17ROCPRIM_400000_NS6detail17trampoline_kernelINS0_14default_configENS1_35radix_sort_onesweep_config_selectorIbNS0_10empty_typeEEEZZNS1_29radix_sort_onesweep_iterationIS3_Lb0EPKbPbPS5_SB_mNS0_19identity_decomposerENS1_16block_id_wrapperIjLb0EEEEE10hipError_tT1_PNSt15iterator_traitsISG_E10value_typeET2_T3_PNSH_ISM_E10value_typeET4_T5_PSR_SS_PNS1_23onesweep_lookback_stateEbbT6_jjT7_P12ihipStream_tbENKUlT_T0_SG_SL_E_clISA_SA_SB_SB_EEDaSZ_S10_SG_SL_EUlSZ_E_NS1_11comp_targetILNS1_3genE6ELNS1_11target_archE950ELNS1_3gpuE13ELNS1_3repE0EEENS1_47radix_sort_onesweep_sort_config_static_selectorELNS0_4arch9wavefront6targetE0EEEvSG_.has_dyn_sized_stack, 0
	.set _ZN7rocprim17ROCPRIM_400000_NS6detail17trampoline_kernelINS0_14default_configENS1_35radix_sort_onesweep_config_selectorIbNS0_10empty_typeEEEZZNS1_29radix_sort_onesweep_iterationIS3_Lb0EPKbPbPS5_SB_mNS0_19identity_decomposerENS1_16block_id_wrapperIjLb0EEEEE10hipError_tT1_PNSt15iterator_traitsISG_E10value_typeET2_T3_PNSH_ISM_E10value_typeET4_T5_PSR_SS_PNS1_23onesweep_lookback_stateEbbT6_jjT7_P12ihipStream_tbENKUlT_T0_SG_SL_E_clISA_SA_SB_SB_EEDaSZ_S10_SG_SL_EUlSZ_E_NS1_11comp_targetILNS1_3genE6ELNS1_11target_archE950ELNS1_3gpuE13ELNS1_3repE0EEENS1_47radix_sort_onesweep_sort_config_static_selectorELNS0_4arch9wavefront6targetE0EEEvSG_.has_recursion, 0
	.set _ZN7rocprim17ROCPRIM_400000_NS6detail17trampoline_kernelINS0_14default_configENS1_35radix_sort_onesweep_config_selectorIbNS0_10empty_typeEEEZZNS1_29radix_sort_onesweep_iterationIS3_Lb0EPKbPbPS5_SB_mNS0_19identity_decomposerENS1_16block_id_wrapperIjLb0EEEEE10hipError_tT1_PNSt15iterator_traitsISG_E10value_typeET2_T3_PNSH_ISM_E10value_typeET4_T5_PSR_SS_PNS1_23onesweep_lookback_stateEbbT6_jjT7_P12ihipStream_tbENKUlT_T0_SG_SL_E_clISA_SA_SB_SB_EEDaSZ_S10_SG_SL_EUlSZ_E_NS1_11comp_targetILNS1_3genE6ELNS1_11target_archE950ELNS1_3gpuE13ELNS1_3repE0EEENS1_47radix_sort_onesweep_sort_config_static_selectorELNS0_4arch9wavefront6targetE0EEEvSG_.has_indirect_call, 0
	.section	.AMDGPU.csdata,"",@progbits
; Kernel info:
; codeLenInByte = 0
; TotalNumSgprs: 0
; NumVgprs: 0
; ScratchSize: 0
; MemoryBound: 0
; FloatMode: 240
; IeeeMode: 1
; LDSByteSize: 0 bytes/workgroup (compile time only)
; SGPRBlocks: 0
; VGPRBlocks: 0
; NumSGPRsForWavesPerEU: 1
; NumVGPRsForWavesPerEU: 1
; NamedBarCnt: 0
; Occupancy: 16
; WaveLimiterHint : 0
; COMPUTE_PGM_RSRC2:SCRATCH_EN: 0
; COMPUTE_PGM_RSRC2:USER_SGPR: 2
; COMPUTE_PGM_RSRC2:TRAP_HANDLER: 0
; COMPUTE_PGM_RSRC2:TGID_X_EN: 1
; COMPUTE_PGM_RSRC2:TGID_Y_EN: 0
; COMPUTE_PGM_RSRC2:TGID_Z_EN: 0
; COMPUTE_PGM_RSRC2:TIDIG_COMP_CNT: 0
	.section	.text._ZN7rocprim17ROCPRIM_400000_NS6detail17trampoline_kernelINS0_14default_configENS1_35radix_sort_onesweep_config_selectorIbNS0_10empty_typeEEEZZNS1_29radix_sort_onesweep_iterationIS3_Lb0EPKbPbPS5_SB_mNS0_19identity_decomposerENS1_16block_id_wrapperIjLb0EEEEE10hipError_tT1_PNSt15iterator_traitsISG_E10value_typeET2_T3_PNSH_ISM_E10value_typeET4_T5_PSR_SS_PNS1_23onesweep_lookback_stateEbbT6_jjT7_P12ihipStream_tbENKUlT_T0_SG_SL_E_clISA_SA_SB_SB_EEDaSZ_S10_SG_SL_EUlSZ_E_NS1_11comp_targetILNS1_3genE5ELNS1_11target_archE942ELNS1_3gpuE9ELNS1_3repE0EEENS1_47radix_sort_onesweep_sort_config_static_selectorELNS0_4arch9wavefront6targetE0EEEvSG_,"axG",@progbits,_ZN7rocprim17ROCPRIM_400000_NS6detail17trampoline_kernelINS0_14default_configENS1_35radix_sort_onesweep_config_selectorIbNS0_10empty_typeEEEZZNS1_29radix_sort_onesweep_iterationIS3_Lb0EPKbPbPS5_SB_mNS0_19identity_decomposerENS1_16block_id_wrapperIjLb0EEEEE10hipError_tT1_PNSt15iterator_traitsISG_E10value_typeET2_T3_PNSH_ISM_E10value_typeET4_T5_PSR_SS_PNS1_23onesweep_lookback_stateEbbT6_jjT7_P12ihipStream_tbENKUlT_T0_SG_SL_E_clISA_SA_SB_SB_EEDaSZ_S10_SG_SL_EUlSZ_E_NS1_11comp_targetILNS1_3genE5ELNS1_11target_archE942ELNS1_3gpuE9ELNS1_3repE0EEENS1_47radix_sort_onesweep_sort_config_static_selectorELNS0_4arch9wavefront6targetE0EEEvSG_,comdat
	.protected	_ZN7rocprim17ROCPRIM_400000_NS6detail17trampoline_kernelINS0_14default_configENS1_35radix_sort_onesweep_config_selectorIbNS0_10empty_typeEEEZZNS1_29radix_sort_onesweep_iterationIS3_Lb0EPKbPbPS5_SB_mNS0_19identity_decomposerENS1_16block_id_wrapperIjLb0EEEEE10hipError_tT1_PNSt15iterator_traitsISG_E10value_typeET2_T3_PNSH_ISM_E10value_typeET4_T5_PSR_SS_PNS1_23onesweep_lookback_stateEbbT6_jjT7_P12ihipStream_tbENKUlT_T0_SG_SL_E_clISA_SA_SB_SB_EEDaSZ_S10_SG_SL_EUlSZ_E_NS1_11comp_targetILNS1_3genE5ELNS1_11target_archE942ELNS1_3gpuE9ELNS1_3repE0EEENS1_47radix_sort_onesweep_sort_config_static_selectorELNS0_4arch9wavefront6targetE0EEEvSG_ ; -- Begin function _ZN7rocprim17ROCPRIM_400000_NS6detail17trampoline_kernelINS0_14default_configENS1_35radix_sort_onesweep_config_selectorIbNS0_10empty_typeEEEZZNS1_29radix_sort_onesweep_iterationIS3_Lb0EPKbPbPS5_SB_mNS0_19identity_decomposerENS1_16block_id_wrapperIjLb0EEEEE10hipError_tT1_PNSt15iterator_traitsISG_E10value_typeET2_T3_PNSH_ISM_E10value_typeET4_T5_PSR_SS_PNS1_23onesweep_lookback_stateEbbT6_jjT7_P12ihipStream_tbENKUlT_T0_SG_SL_E_clISA_SA_SB_SB_EEDaSZ_S10_SG_SL_EUlSZ_E_NS1_11comp_targetILNS1_3genE5ELNS1_11target_archE942ELNS1_3gpuE9ELNS1_3repE0EEENS1_47radix_sort_onesweep_sort_config_static_selectorELNS0_4arch9wavefront6targetE0EEEvSG_
	.globl	_ZN7rocprim17ROCPRIM_400000_NS6detail17trampoline_kernelINS0_14default_configENS1_35radix_sort_onesweep_config_selectorIbNS0_10empty_typeEEEZZNS1_29radix_sort_onesweep_iterationIS3_Lb0EPKbPbPS5_SB_mNS0_19identity_decomposerENS1_16block_id_wrapperIjLb0EEEEE10hipError_tT1_PNSt15iterator_traitsISG_E10value_typeET2_T3_PNSH_ISM_E10value_typeET4_T5_PSR_SS_PNS1_23onesweep_lookback_stateEbbT6_jjT7_P12ihipStream_tbENKUlT_T0_SG_SL_E_clISA_SA_SB_SB_EEDaSZ_S10_SG_SL_EUlSZ_E_NS1_11comp_targetILNS1_3genE5ELNS1_11target_archE942ELNS1_3gpuE9ELNS1_3repE0EEENS1_47radix_sort_onesweep_sort_config_static_selectorELNS0_4arch9wavefront6targetE0EEEvSG_
	.p2align	8
	.type	_ZN7rocprim17ROCPRIM_400000_NS6detail17trampoline_kernelINS0_14default_configENS1_35radix_sort_onesweep_config_selectorIbNS0_10empty_typeEEEZZNS1_29radix_sort_onesweep_iterationIS3_Lb0EPKbPbPS5_SB_mNS0_19identity_decomposerENS1_16block_id_wrapperIjLb0EEEEE10hipError_tT1_PNSt15iterator_traitsISG_E10value_typeET2_T3_PNSH_ISM_E10value_typeET4_T5_PSR_SS_PNS1_23onesweep_lookback_stateEbbT6_jjT7_P12ihipStream_tbENKUlT_T0_SG_SL_E_clISA_SA_SB_SB_EEDaSZ_S10_SG_SL_EUlSZ_E_NS1_11comp_targetILNS1_3genE5ELNS1_11target_archE942ELNS1_3gpuE9ELNS1_3repE0EEENS1_47radix_sort_onesweep_sort_config_static_selectorELNS0_4arch9wavefront6targetE0EEEvSG_,@function
_ZN7rocprim17ROCPRIM_400000_NS6detail17trampoline_kernelINS0_14default_configENS1_35radix_sort_onesweep_config_selectorIbNS0_10empty_typeEEEZZNS1_29radix_sort_onesweep_iterationIS3_Lb0EPKbPbPS5_SB_mNS0_19identity_decomposerENS1_16block_id_wrapperIjLb0EEEEE10hipError_tT1_PNSt15iterator_traitsISG_E10value_typeET2_T3_PNSH_ISM_E10value_typeET4_T5_PSR_SS_PNS1_23onesweep_lookback_stateEbbT6_jjT7_P12ihipStream_tbENKUlT_T0_SG_SL_E_clISA_SA_SB_SB_EEDaSZ_S10_SG_SL_EUlSZ_E_NS1_11comp_targetILNS1_3genE5ELNS1_11target_archE942ELNS1_3gpuE9ELNS1_3repE0EEENS1_47radix_sort_onesweep_sort_config_static_selectorELNS0_4arch9wavefront6targetE0EEEvSG_: ; @_ZN7rocprim17ROCPRIM_400000_NS6detail17trampoline_kernelINS0_14default_configENS1_35radix_sort_onesweep_config_selectorIbNS0_10empty_typeEEEZZNS1_29radix_sort_onesweep_iterationIS3_Lb0EPKbPbPS5_SB_mNS0_19identity_decomposerENS1_16block_id_wrapperIjLb0EEEEE10hipError_tT1_PNSt15iterator_traitsISG_E10value_typeET2_T3_PNSH_ISM_E10value_typeET4_T5_PSR_SS_PNS1_23onesweep_lookback_stateEbbT6_jjT7_P12ihipStream_tbENKUlT_T0_SG_SL_E_clISA_SA_SB_SB_EEDaSZ_S10_SG_SL_EUlSZ_E_NS1_11comp_targetILNS1_3genE5ELNS1_11target_archE942ELNS1_3gpuE9ELNS1_3repE0EEENS1_47radix_sort_onesweep_sort_config_static_selectorELNS0_4arch9wavefront6targetE0EEEvSG_
; %bb.0:
	.section	.rodata,"a",@progbits
	.p2align	6, 0x0
	.amdhsa_kernel _ZN7rocprim17ROCPRIM_400000_NS6detail17trampoline_kernelINS0_14default_configENS1_35radix_sort_onesweep_config_selectorIbNS0_10empty_typeEEEZZNS1_29radix_sort_onesweep_iterationIS3_Lb0EPKbPbPS5_SB_mNS0_19identity_decomposerENS1_16block_id_wrapperIjLb0EEEEE10hipError_tT1_PNSt15iterator_traitsISG_E10value_typeET2_T3_PNSH_ISM_E10value_typeET4_T5_PSR_SS_PNS1_23onesweep_lookback_stateEbbT6_jjT7_P12ihipStream_tbENKUlT_T0_SG_SL_E_clISA_SA_SB_SB_EEDaSZ_S10_SG_SL_EUlSZ_E_NS1_11comp_targetILNS1_3genE5ELNS1_11target_archE942ELNS1_3gpuE9ELNS1_3repE0EEENS1_47radix_sort_onesweep_sort_config_static_selectorELNS0_4arch9wavefront6targetE0EEEvSG_
		.amdhsa_group_segment_fixed_size 0
		.amdhsa_private_segment_fixed_size 0
		.amdhsa_kernarg_size 88
		.amdhsa_user_sgpr_count 2
		.amdhsa_user_sgpr_dispatch_ptr 0
		.amdhsa_user_sgpr_queue_ptr 0
		.amdhsa_user_sgpr_kernarg_segment_ptr 1
		.amdhsa_user_sgpr_dispatch_id 0
		.amdhsa_user_sgpr_kernarg_preload_length 0
		.amdhsa_user_sgpr_kernarg_preload_offset 0
		.amdhsa_user_sgpr_private_segment_size 0
		.amdhsa_wavefront_size32 1
		.amdhsa_uses_dynamic_stack 0
		.amdhsa_enable_private_segment 0
		.amdhsa_system_sgpr_workgroup_id_x 1
		.amdhsa_system_sgpr_workgroup_id_y 0
		.amdhsa_system_sgpr_workgroup_id_z 0
		.amdhsa_system_sgpr_workgroup_info 0
		.amdhsa_system_vgpr_workitem_id 0
		.amdhsa_next_free_vgpr 1
		.amdhsa_next_free_sgpr 1
		.amdhsa_named_barrier_count 0
		.amdhsa_reserve_vcc 0
		.amdhsa_float_round_mode_32 0
		.amdhsa_float_round_mode_16_64 0
		.amdhsa_float_denorm_mode_32 3
		.amdhsa_float_denorm_mode_16_64 3
		.amdhsa_fp16_overflow 0
		.amdhsa_memory_ordered 1
		.amdhsa_forward_progress 1
		.amdhsa_inst_pref_size 0
		.amdhsa_round_robin_scheduling 0
		.amdhsa_exception_fp_ieee_invalid_op 0
		.amdhsa_exception_fp_denorm_src 0
		.amdhsa_exception_fp_ieee_div_zero 0
		.amdhsa_exception_fp_ieee_overflow 0
		.amdhsa_exception_fp_ieee_underflow 0
		.amdhsa_exception_fp_ieee_inexact 0
		.amdhsa_exception_int_div_zero 0
	.end_amdhsa_kernel
	.section	.text._ZN7rocprim17ROCPRIM_400000_NS6detail17trampoline_kernelINS0_14default_configENS1_35radix_sort_onesweep_config_selectorIbNS0_10empty_typeEEEZZNS1_29radix_sort_onesweep_iterationIS3_Lb0EPKbPbPS5_SB_mNS0_19identity_decomposerENS1_16block_id_wrapperIjLb0EEEEE10hipError_tT1_PNSt15iterator_traitsISG_E10value_typeET2_T3_PNSH_ISM_E10value_typeET4_T5_PSR_SS_PNS1_23onesweep_lookback_stateEbbT6_jjT7_P12ihipStream_tbENKUlT_T0_SG_SL_E_clISA_SA_SB_SB_EEDaSZ_S10_SG_SL_EUlSZ_E_NS1_11comp_targetILNS1_3genE5ELNS1_11target_archE942ELNS1_3gpuE9ELNS1_3repE0EEENS1_47radix_sort_onesweep_sort_config_static_selectorELNS0_4arch9wavefront6targetE0EEEvSG_,"axG",@progbits,_ZN7rocprim17ROCPRIM_400000_NS6detail17trampoline_kernelINS0_14default_configENS1_35radix_sort_onesweep_config_selectorIbNS0_10empty_typeEEEZZNS1_29radix_sort_onesweep_iterationIS3_Lb0EPKbPbPS5_SB_mNS0_19identity_decomposerENS1_16block_id_wrapperIjLb0EEEEE10hipError_tT1_PNSt15iterator_traitsISG_E10value_typeET2_T3_PNSH_ISM_E10value_typeET4_T5_PSR_SS_PNS1_23onesweep_lookback_stateEbbT6_jjT7_P12ihipStream_tbENKUlT_T0_SG_SL_E_clISA_SA_SB_SB_EEDaSZ_S10_SG_SL_EUlSZ_E_NS1_11comp_targetILNS1_3genE5ELNS1_11target_archE942ELNS1_3gpuE9ELNS1_3repE0EEENS1_47radix_sort_onesweep_sort_config_static_selectorELNS0_4arch9wavefront6targetE0EEEvSG_,comdat
.Lfunc_end1881:
	.size	_ZN7rocprim17ROCPRIM_400000_NS6detail17trampoline_kernelINS0_14default_configENS1_35radix_sort_onesweep_config_selectorIbNS0_10empty_typeEEEZZNS1_29radix_sort_onesweep_iterationIS3_Lb0EPKbPbPS5_SB_mNS0_19identity_decomposerENS1_16block_id_wrapperIjLb0EEEEE10hipError_tT1_PNSt15iterator_traitsISG_E10value_typeET2_T3_PNSH_ISM_E10value_typeET4_T5_PSR_SS_PNS1_23onesweep_lookback_stateEbbT6_jjT7_P12ihipStream_tbENKUlT_T0_SG_SL_E_clISA_SA_SB_SB_EEDaSZ_S10_SG_SL_EUlSZ_E_NS1_11comp_targetILNS1_3genE5ELNS1_11target_archE942ELNS1_3gpuE9ELNS1_3repE0EEENS1_47radix_sort_onesweep_sort_config_static_selectorELNS0_4arch9wavefront6targetE0EEEvSG_, .Lfunc_end1881-_ZN7rocprim17ROCPRIM_400000_NS6detail17trampoline_kernelINS0_14default_configENS1_35radix_sort_onesweep_config_selectorIbNS0_10empty_typeEEEZZNS1_29radix_sort_onesweep_iterationIS3_Lb0EPKbPbPS5_SB_mNS0_19identity_decomposerENS1_16block_id_wrapperIjLb0EEEEE10hipError_tT1_PNSt15iterator_traitsISG_E10value_typeET2_T3_PNSH_ISM_E10value_typeET4_T5_PSR_SS_PNS1_23onesweep_lookback_stateEbbT6_jjT7_P12ihipStream_tbENKUlT_T0_SG_SL_E_clISA_SA_SB_SB_EEDaSZ_S10_SG_SL_EUlSZ_E_NS1_11comp_targetILNS1_3genE5ELNS1_11target_archE942ELNS1_3gpuE9ELNS1_3repE0EEENS1_47radix_sort_onesweep_sort_config_static_selectorELNS0_4arch9wavefront6targetE0EEEvSG_
                                        ; -- End function
	.set _ZN7rocprim17ROCPRIM_400000_NS6detail17trampoline_kernelINS0_14default_configENS1_35radix_sort_onesweep_config_selectorIbNS0_10empty_typeEEEZZNS1_29radix_sort_onesweep_iterationIS3_Lb0EPKbPbPS5_SB_mNS0_19identity_decomposerENS1_16block_id_wrapperIjLb0EEEEE10hipError_tT1_PNSt15iterator_traitsISG_E10value_typeET2_T3_PNSH_ISM_E10value_typeET4_T5_PSR_SS_PNS1_23onesweep_lookback_stateEbbT6_jjT7_P12ihipStream_tbENKUlT_T0_SG_SL_E_clISA_SA_SB_SB_EEDaSZ_S10_SG_SL_EUlSZ_E_NS1_11comp_targetILNS1_3genE5ELNS1_11target_archE942ELNS1_3gpuE9ELNS1_3repE0EEENS1_47radix_sort_onesweep_sort_config_static_selectorELNS0_4arch9wavefront6targetE0EEEvSG_.num_vgpr, 0
	.set _ZN7rocprim17ROCPRIM_400000_NS6detail17trampoline_kernelINS0_14default_configENS1_35radix_sort_onesweep_config_selectorIbNS0_10empty_typeEEEZZNS1_29radix_sort_onesweep_iterationIS3_Lb0EPKbPbPS5_SB_mNS0_19identity_decomposerENS1_16block_id_wrapperIjLb0EEEEE10hipError_tT1_PNSt15iterator_traitsISG_E10value_typeET2_T3_PNSH_ISM_E10value_typeET4_T5_PSR_SS_PNS1_23onesweep_lookback_stateEbbT6_jjT7_P12ihipStream_tbENKUlT_T0_SG_SL_E_clISA_SA_SB_SB_EEDaSZ_S10_SG_SL_EUlSZ_E_NS1_11comp_targetILNS1_3genE5ELNS1_11target_archE942ELNS1_3gpuE9ELNS1_3repE0EEENS1_47radix_sort_onesweep_sort_config_static_selectorELNS0_4arch9wavefront6targetE0EEEvSG_.num_agpr, 0
	.set _ZN7rocprim17ROCPRIM_400000_NS6detail17trampoline_kernelINS0_14default_configENS1_35radix_sort_onesweep_config_selectorIbNS0_10empty_typeEEEZZNS1_29radix_sort_onesweep_iterationIS3_Lb0EPKbPbPS5_SB_mNS0_19identity_decomposerENS1_16block_id_wrapperIjLb0EEEEE10hipError_tT1_PNSt15iterator_traitsISG_E10value_typeET2_T3_PNSH_ISM_E10value_typeET4_T5_PSR_SS_PNS1_23onesweep_lookback_stateEbbT6_jjT7_P12ihipStream_tbENKUlT_T0_SG_SL_E_clISA_SA_SB_SB_EEDaSZ_S10_SG_SL_EUlSZ_E_NS1_11comp_targetILNS1_3genE5ELNS1_11target_archE942ELNS1_3gpuE9ELNS1_3repE0EEENS1_47radix_sort_onesweep_sort_config_static_selectorELNS0_4arch9wavefront6targetE0EEEvSG_.numbered_sgpr, 0
	.set _ZN7rocprim17ROCPRIM_400000_NS6detail17trampoline_kernelINS0_14default_configENS1_35radix_sort_onesweep_config_selectorIbNS0_10empty_typeEEEZZNS1_29radix_sort_onesweep_iterationIS3_Lb0EPKbPbPS5_SB_mNS0_19identity_decomposerENS1_16block_id_wrapperIjLb0EEEEE10hipError_tT1_PNSt15iterator_traitsISG_E10value_typeET2_T3_PNSH_ISM_E10value_typeET4_T5_PSR_SS_PNS1_23onesweep_lookback_stateEbbT6_jjT7_P12ihipStream_tbENKUlT_T0_SG_SL_E_clISA_SA_SB_SB_EEDaSZ_S10_SG_SL_EUlSZ_E_NS1_11comp_targetILNS1_3genE5ELNS1_11target_archE942ELNS1_3gpuE9ELNS1_3repE0EEENS1_47radix_sort_onesweep_sort_config_static_selectorELNS0_4arch9wavefront6targetE0EEEvSG_.num_named_barrier, 0
	.set _ZN7rocprim17ROCPRIM_400000_NS6detail17trampoline_kernelINS0_14default_configENS1_35radix_sort_onesweep_config_selectorIbNS0_10empty_typeEEEZZNS1_29radix_sort_onesweep_iterationIS3_Lb0EPKbPbPS5_SB_mNS0_19identity_decomposerENS1_16block_id_wrapperIjLb0EEEEE10hipError_tT1_PNSt15iterator_traitsISG_E10value_typeET2_T3_PNSH_ISM_E10value_typeET4_T5_PSR_SS_PNS1_23onesweep_lookback_stateEbbT6_jjT7_P12ihipStream_tbENKUlT_T0_SG_SL_E_clISA_SA_SB_SB_EEDaSZ_S10_SG_SL_EUlSZ_E_NS1_11comp_targetILNS1_3genE5ELNS1_11target_archE942ELNS1_3gpuE9ELNS1_3repE0EEENS1_47radix_sort_onesweep_sort_config_static_selectorELNS0_4arch9wavefront6targetE0EEEvSG_.private_seg_size, 0
	.set _ZN7rocprim17ROCPRIM_400000_NS6detail17trampoline_kernelINS0_14default_configENS1_35radix_sort_onesweep_config_selectorIbNS0_10empty_typeEEEZZNS1_29radix_sort_onesweep_iterationIS3_Lb0EPKbPbPS5_SB_mNS0_19identity_decomposerENS1_16block_id_wrapperIjLb0EEEEE10hipError_tT1_PNSt15iterator_traitsISG_E10value_typeET2_T3_PNSH_ISM_E10value_typeET4_T5_PSR_SS_PNS1_23onesweep_lookback_stateEbbT6_jjT7_P12ihipStream_tbENKUlT_T0_SG_SL_E_clISA_SA_SB_SB_EEDaSZ_S10_SG_SL_EUlSZ_E_NS1_11comp_targetILNS1_3genE5ELNS1_11target_archE942ELNS1_3gpuE9ELNS1_3repE0EEENS1_47radix_sort_onesweep_sort_config_static_selectorELNS0_4arch9wavefront6targetE0EEEvSG_.uses_vcc, 0
	.set _ZN7rocprim17ROCPRIM_400000_NS6detail17trampoline_kernelINS0_14default_configENS1_35radix_sort_onesweep_config_selectorIbNS0_10empty_typeEEEZZNS1_29radix_sort_onesweep_iterationIS3_Lb0EPKbPbPS5_SB_mNS0_19identity_decomposerENS1_16block_id_wrapperIjLb0EEEEE10hipError_tT1_PNSt15iterator_traitsISG_E10value_typeET2_T3_PNSH_ISM_E10value_typeET4_T5_PSR_SS_PNS1_23onesweep_lookback_stateEbbT6_jjT7_P12ihipStream_tbENKUlT_T0_SG_SL_E_clISA_SA_SB_SB_EEDaSZ_S10_SG_SL_EUlSZ_E_NS1_11comp_targetILNS1_3genE5ELNS1_11target_archE942ELNS1_3gpuE9ELNS1_3repE0EEENS1_47radix_sort_onesweep_sort_config_static_selectorELNS0_4arch9wavefront6targetE0EEEvSG_.uses_flat_scratch, 0
	.set _ZN7rocprim17ROCPRIM_400000_NS6detail17trampoline_kernelINS0_14default_configENS1_35radix_sort_onesweep_config_selectorIbNS0_10empty_typeEEEZZNS1_29radix_sort_onesweep_iterationIS3_Lb0EPKbPbPS5_SB_mNS0_19identity_decomposerENS1_16block_id_wrapperIjLb0EEEEE10hipError_tT1_PNSt15iterator_traitsISG_E10value_typeET2_T3_PNSH_ISM_E10value_typeET4_T5_PSR_SS_PNS1_23onesweep_lookback_stateEbbT6_jjT7_P12ihipStream_tbENKUlT_T0_SG_SL_E_clISA_SA_SB_SB_EEDaSZ_S10_SG_SL_EUlSZ_E_NS1_11comp_targetILNS1_3genE5ELNS1_11target_archE942ELNS1_3gpuE9ELNS1_3repE0EEENS1_47radix_sort_onesweep_sort_config_static_selectorELNS0_4arch9wavefront6targetE0EEEvSG_.has_dyn_sized_stack, 0
	.set _ZN7rocprim17ROCPRIM_400000_NS6detail17trampoline_kernelINS0_14default_configENS1_35radix_sort_onesweep_config_selectorIbNS0_10empty_typeEEEZZNS1_29radix_sort_onesweep_iterationIS3_Lb0EPKbPbPS5_SB_mNS0_19identity_decomposerENS1_16block_id_wrapperIjLb0EEEEE10hipError_tT1_PNSt15iterator_traitsISG_E10value_typeET2_T3_PNSH_ISM_E10value_typeET4_T5_PSR_SS_PNS1_23onesweep_lookback_stateEbbT6_jjT7_P12ihipStream_tbENKUlT_T0_SG_SL_E_clISA_SA_SB_SB_EEDaSZ_S10_SG_SL_EUlSZ_E_NS1_11comp_targetILNS1_3genE5ELNS1_11target_archE942ELNS1_3gpuE9ELNS1_3repE0EEENS1_47radix_sort_onesweep_sort_config_static_selectorELNS0_4arch9wavefront6targetE0EEEvSG_.has_recursion, 0
	.set _ZN7rocprim17ROCPRIM_400000_NS6detail17trampoline_kernelINS0_14default_configENS1_35radix_sort_onesweep_config_selectorIbNS0_10empty_typeEEEZZNS1_29radix_sort_onesweep_iterationIS3_Lb0EPKbPbPS5_SB_mNS0_19identity_decomposerENS1_16block_id_wrapperIjLb0EEEEE10hipError_tT1_PNSt15iterator_traitsISG_E10value_typeET2_T3_PNSH_ISM_E10value_typeET4_T5_PSR_SS_PNS1_23onesweep_lookback_stateEbbT6_jjT7_P12ihipStream_tbENKUlT_T0_SG_SL_E_clISA_SA_SB_SB_EEDaSZ_S10_SG_SL_EUlSZ_E_NS1_11comp_targetILNS1_3genE5ELNS1_11target_archE942ELNS1_3gpuE9ELNS1_3repE0EEENS1_47radix_sort_onesweep_sort_config_static_selectorELNS0_4arch9wavefront6targetE0EEEvSG_.has_indirect_call, 0
	.section	.AMDGPU.csdata,"",@progbits
; Kernel info:
; codeLenInByte = 0
; TotalNumSgprs: 0
; NumVgprs: 0
; ScratchSize: 0
; MemoryBound: 0
; FloatMode: 240
; IeeeMode: 1
; LDSByteSize: 0 bytes/workgroup (compile time only)
; SGPRBlocks: 0
; VGPRBlocks: 0
; NumSGPRsForWavesPerEU: 1
; NumVGPRsForWavesPerEU: 1
; NamedBarCnt: 0
; Occupancy: 16
; WaveLimiterHint : 0
; COMPUTE_PGM_RSRC2:SCRATCH_EN: 0
; COMPUTE_PGM_RSRC2:USER_SGPR: 2
; COMPUTE_PGM_RSRC2:TRAP_HANDLER: 0
; COMPUTE_PGM_RSRC2:TGID_X_EN: 1
; COMPUTE_PGM_RSRC2:TGID_Y_EN: 0
; COMPUTE_PGM_RSRC2:TGID_Z_EN: 0
; COMPUTE_PGM_RSRC2:TIDIG_COMP_CNT: 0
	.section	.text._ZN7rocprim17ROCPRIM_400000_NS6detail17trampoline_kernelINS0_14default_configENS1_35radix_sort_onesweep_config_selectorIbNS0_10empty_typeEEEZZNS1_29radix_sort_onesweep_iterationIS3_Lb0EPKbPbPS5_SB_mNS0_19identity_decomposerENS1_16block_id_wrapperIjLb0EEEEE10hipError_tT1_PNSt15iterator_traitsISG_E10value_typeET2_T3_PNSH_ISM_E10value_typeET4_T5_PSR_SS_PNS1_23onesweep_lookback_stateEbbT6_jjT7_P12ihipStream_tbENKUlT_T0_SG_SL_E_clISA_SA_SB_SB_EEDaSZ_S10_SG_SL_EUlSZ_E_NS1_11comp_targetILNS1_3genE2ELNS1_11target_archE906ELNS1_3gpuE6ELNS1_3repE0EEENS1_47radix_sort_onesweep_sort_config_static_selectorELNS0_4arch9wavefront6targetE0EEEvSG_,"axG",@progbits,_ZN7rocprim17ROCPRIM_400000_NS6detail17trampoline_kernelINS0_14default_configENS1_35radix_sort_onesweep_config_selectorIbNS0_10empty_typeEEEZZNS1_29radix_sort_onesweep_iterationIS3_Lb0EPKbPbPS5_SB_mNS0_19identity_decomposerENS1_16block_id_wrapperIjLb0EEEEE10hipError_tT1_PNSt15iterator_traitsISG_E10value_typeET2_T3_PNSH_ISM_E10value_typeET4_T5_PSR_SS_PNS1_23onesweep_lookback_stateEbbT6_jjT7_P12ihipStream_tbENKUlT_T0_SG_SL_E_clISA_SA_SB_SB_EEDaSZ_S10_SG_SL_EUlSZ_E_NS1_11comp_targetILNS1_3genE2ELNS1_11target_archE906ELNS1_3gpuE6ELNS1_3repE0EEENS1_47radix_sort_onesweep_sort_config_static_selectorELNS0_4arch9wavefront6targetE0EEEvSG_,comdat
	.protected	_ZN7rocprim17ROCPRIM_400000_NS6detail17trampoline_kernelINS0_14default_configENS1_35radix_sort_onesweep_config_selectorIbNS0_10empty_typeEEEZZNS1_29radix_sort_onesweep_iterationIS3_Lb0EPKbPbPS5_SB_mNS0_19identity_decomposerENS1_16block_id_wrapperIjLb0EEEEE10hipError_tT1_PNSt15iterator_traitsISG_E10value_typeET2_T3_PNSH_ISM_E10value_typeET4_T5_PSR_SS_PNS1_23onesweep_lookback_stateEbbT6_jjT7_P12ihipStream_tbENKUlT_T0_SG_SL_E_clISA_SA_SB_SB_EEDaSZ_S10_SG_SL_EUlSZ_E_NS1_11comp_targetILNS1_3genE2ELNS1_11target_archE906ELNS1_3gpuE6ELNS1_3repE0EEENS1_47radix_sort_onesweep_sort_config_static_selectorELNS0_4arch9wavefront6targetE0EEEvSG_ ; -- Begin function _ZN7rocprim17ROCPRIM_400000_NS6detail17trampoline_kernelINS0_14default_configENS1_35radix_sort_onesweep_config_selectorIbNS0_10empty_typeEEEZZNS1_29radix_sort_onesweep_iterationIS3_Lb0EPKbPbPS5_SB_mNS0_19identity_decomposerENS1_16block_id_wrapperIjLb0EEEEE10hipError_tT1_PNSt15iterator_traitsISG_E10value_typeET2_T3_PNSH_ISM_E10value_typeET4_T5_PSR_SS_PNS1_23onesweep_lookback_stateEbbT6_jjT7_P12ihipStream_tbENKUlT_T0_SG_SL_E_clISA_SA_SB_SB_EEDaSZ_S10_SG_SL_EUlSZ_E_NS1_11comp_targetILNS1_3genE2ELNS1_11target_archE906ELNS1_3gpuE6ELNS1_3repE0EEENS1_47radix_sort_onesweep_sort_config_static_selectorELNS0_4arch9wavefront6targetE0EEEvSG_
	.globl	_ZN7rocprim17ROCPRIM_400000_NS6detail17trampoline_kernelINS0_14default_configENS1_35radix_sort_onesweep_config_selectorIbNS0_10empty_typeEEEZZNS1_29radix_sort_onesweep_iterationIS3_Lb0EPKbPbPS5_SB_mNS0_19identity_decomposerENS1_16block_id_wrapperIjLb0EEEEE10hipError_tT1_PNSt15iterator_traitsISG_E10value_typeET2_T3_PNSH_ISM_E10value_typeET4_T5_PSR_SS_PNS1_23onesweep_lookback_stateEbbT6_jjT7_P12ihipStream_tbENKUlT_T0_SG_SL_E_clISA_SA_SB_SB_EEDaSZ_S10_SG_SL_EUlSZ_E_NS1_11comp_targetILNS1_3genE2ELNS1_11target_archE906ELNS1_3gpuE6ELNS1_3repE0EEENS1_47radix_sort_onesweep_sort_config_static_selectorELNS0_4arch9wavefront6targetE0EEEvSG_
	.p2align	8
	.type	_ZN7rocprim17ROCPRIM_400000_NS6detail17trampoline_kernelINS0_14default_configENS1_35radix_sort_onesweep_config_selectorIbNS0_10empty_typeEEEZZNS1_29radix_sort_onesweep_iterationIS3_Lb0EPKbPbPS5_SB_mNS0_19identity_decomposerENS1_16block_id_wrapperIjLb0EEEEE10hipError_tT1_PNSt15iterator_traitsISG_E10value_typeET2_T3_PNSH_ISM_E10value_typeET4_T5_PSR_SS_PNS1_23onesweep_lookback_stateEbbT6_jjT7_P12ihipStream_tbENKUlT_T0_SG_SL_E_clISA_SA_SB_SB_EEDaSZ_S10_SG_SL_EUlSZ_E_NS1_11comp_targetILNS1_3genE2ELNS1_11target_archE906ELNS1_3gpuE6ELNS1_3repE0EEENS1_47radix_sort_onesweep_sort_config_static_selectorELNS0_4arch9wavefront6targetE0EEEvSG_,@function
_ZN7rocprim17ROCPRIM_400000_NS6detail17trampoline_kernelINS0_14default_configENS1_35radix_sort_onesweep_config_selectorIbNS0_10empty_typeEEEZZNS1_29radix_sort_onesweep_iterationIS3_Lb0EPKbPbPS5_SB_mNS0_19identity_decomposerENS1_16block_id_wrapperIjLb0EEEEE10hipError_tT1_PNSt15iterator_traitsISG_E10value_typeET2_T3_PNSH_ISM_E10value_typeET4_T5_PSR_SS_PNS1_23onesweep_lookback_stateEbbT6_jjT7_P12ihipStream_tbENKUlT_T0_SG_SL_E_clISA_SA_SB_SB_EEDaSZ_S10_SG_SL_EUlSZ_E_NS1_11comp_targetILNS1_3genE2ELNS1_11target_archE906ELNS1_3gpuE6ELNS1_3repE0EEENS1_47radix_sort_onesweep_sort_config_static_selectorELNS0_4arch9wavefront6targetE0EEEvSG_: ; @_ZN7rocprim17ROCPRIM_400000_NS6detail17trampoline_kernelINS0_14default_configENS1_35radix_sort_onesweep_config_selectorIbNS0_10empty_typeEEEZZNS1_29radix_sort_onesweep_iterationIS3_Lb0EPKbPbPS5_SB_mNS0_19identity_decomposerENS1_16block_id_wrapperIjLb0EEEEE10hipError_tT1_PNSt15iterator_traitsISG_E10value_typeET2_T3_PNSH_ISM_E10value_typeET4_T5_PSR_SS_PNS1_23onesweep_lookback_stateEbbT6_jjT7_P12ihipStream_tbENKUlT_T0_SG_SL_E_clISA_SA_SB_SB_EEDaSZ_S10_SG_SL_EUlSZ_E_NS1_11comp_targetILNS1_3genE2ELNS1_11target_archE906ELNS1_3gpuE6ELNS1_3repE0EEENS1_47radix_sort_onesweep_sort_config_static_selectorELNS0_4arch9wavefront6targetE0EEEvSG_
; %bb.0:
	.section	.rodata,"a",@progbits
	.p2align	6, 0x0
	.amdhsa_kernel _ZN7rocprim17ROCPRIM_400000_NS6detail17trampoline_kernelINS0_14default_configENS1_35radix_sort_onesweep_config_selectorIbNS0_10empty_typeEEEZZNS1_29radix_sort_onesweep_iterationIS3_Lb0EPKbPbPS5_SB_mNS0_19identity_decomposerENS1_16block_id_wrapperIjLb0EEEEE10hipError_tT1_PNSt15iterator_traitsISG_E10value_typeET2_T3_PNSH_ISM_E10value_typeET4_T5_PSR_SS_PNS1_23onesweep_lookback_stateEbbT6_jjT7_P12ihipStream_tbENKUlT_T0_SG_SL_E_clISA_SA_SB_SB_EEDaSZ_S10_SG_SL_EUlSZ_E_NS1_11comp_targetILNS1_3genE2ELNS1_11target_archE906ELNS1_3gpuE6ELNS1_3repE0EEENS1_47radix_sort_onesweep_sort_config_static_selectorELNS0_4arch9wavefront6targetE0EEEvSG_
		.amdhsa_group_segment_fixed_size 0
		.amdhsa_private_segment_fixed_size 0
		.amdhsa_kernarg_size 88
		.amdhsa_user_sgpr_count 2
		.amdhsa_user_sgpr_dispatch_ptr 0
		.amdhsa_user_sgpr_queue_ptr 0
		.amdhsa_user_sgpr_kernarg_segment_ptr 1
		.amdhsa_user_sgpr_dispatch_id 0
		.amdhsa_user_sgpr_kernarg_preload_length 0
		.amdhsa_user_sgpr_kernarg_preload_offset 0
		.amdhsa_user_sgpr_private_segment_size 0
		.amdhsa_wavefront_size32 1
		.amdhsa_uses_dynamic_stack 0
		.amdhsa_enable_private_segment 0
		.amdhsa_system_sgpr_workgroup_id_x 1
		.amdhsa_system_sgpr_workgroup_id_y 0
		.amdhsa_system_sgpr_workgroup_id_z 0
		.amdhsa_system_sgpr_workgroup_info 0
		.amdhsa_system_vgpr_workitem_id 0
		.amdhsa_next_free_vgpr 1
		.amdhsa_next_free_sgpr 1
		.amdhsa_named_barrier_count 0
		.amdhsa_reserve_vcc 0
		.amdhsa_float_round_mode_32 0
		.amdhsa_float_round_mode_16_64 0
		.amdhsa_float_denorm_mode_32 3
		.amdhsa_float_denorm_mode_16_64 3
		.amdhsa_fp16_overflow 0
		.amdhsa_memory_ordered 1
		.amdhsa_forward_progress 1
		.amdhsa_inst_pref_size 0
		.amdhsa_round_robin_scheduling 0
		.amdhsa_exception_fp_ieee_invalid_op 0
		.amdhsa_exception_fp_denorm_src 0
		.amdhsa_exception_fp_ieee_div_zero 0
		.amdhsa_exception_fp_ieee_overflow 0
		.amdhsa_exception_fp_ieee_underflow 0
		.amdhsa_exception_fp_ieee_inexact 0
		.amdhsa_exception_int_div_zero 0
	.end_amdhsa_kernel
	.section	.text._ZN7rocprim17ROCPRIM_400000_NS6detail17trampoline_kernelINS0_14default_configENS1_35radix_sort_onesweep_config_selectorIbNS0_10empty_typeEEEZZNS1_29radix_sort_onesweep_iterationIS3_Lb0EPKbPbPS5_SB_mNS0_19identity_decomposerENS1_16block_id_wrapperIjLb0EEEEE10hipError_tT1_PNSt15iterator_traitsISG_E10value_typeET2_T3_PNSH_ISM_E10value_typeET4_T5_PSR_SS_PNS1_23onesweep_lookback_stateEbbT6_jjT7_P12ihipStream_tbENKUlT_T0_SG_SL_E_clISA_SA_SB_SB_EEDaSZ_S10_SG_SL_EUlSZ_E_NS1_11comp_targetILNS1_3genE2ELNS1_11target_archE906ELNS1_3gpuE6ELNS1_3repE0EEENS1_47radix_sort_onesweep_sort_config_static_selectorELNS0_4arch9wavefront6targetE0EEEvSG_,"axG",@progbits,_ZN7rocprim17ROCPRIM_400000_NS6detail17trampoline_kernelINS0_14default_configENS1_35radix_sort_onesweep_config_selectorIbNS0_10empty_typeEEEZZNS1_29radix_sort_onesweep_iterationIS3_Lb0EPKbPbPS5_SB_mNS0_19identity_decomposerENS1_16block_id_wrapperIjLb0EEEEE10hipError_tT1_PNSt15iterator_traitsISG_E10value_typeET2_T3_PNSH_ISM_E10value_typeET4_T5_PSR_SS_PNS1_23onesweep_lookback_stateEbbT6_jjT7_P12ihipStream_tbENKUlT_T0_SG_SL_E_clISA_SA_SB_SB_EEDaSZ_S10_SG_SL_EUlSZ_E_NS1_11comp_targetILNS1_3genE2ELNS1_11target_archE906ELNS1_3gpuE6ELNS1_3repE0EEENS1_47radix_sort_onesweep_sort_config_static_selectorELNS0_4arch9wavefront6targetE0EEEvSG_,comdat
.Lfunc_end1882:
	.size	_ZN7rocprim17ROCPRIM_400000_NS6detail17trampoline_kernelINS0_14default_configENS1_35radix_sort_onesweep_config_selectorIbNS0_10empty_typeEEEZZNS1_29radix_sort_onesweep_iterationIS3_Lb0EPKbPbPS5_SB_mNS0_19identity_decomposerENS1_16block_id_wrapperIjLb0EEEEE10hipError_tT1_PNSt15iterator_traitsISG_E10value_typeET2_T3_PNSH_ISM_E10value_typeET4_T5_PSR_SS_PNS1_23onesweep_lookback_stateEbbT6_jjT7_P12ihipStream_tbENKUlT_T0_SG_SL_E_clISA_SA_SB_SB_EEDaSZ_S10_SG_SL_EUlSZ_E_NS1_11comp_targetILNS1_3genE2ELNS1_11target_archE906ELNS1_3gpuE6ELNS1_3repE0EEENS1_47radix_sort_onesweep_sort_config_static_selectorELNS0_4arch9wavefront6targetE0EEEvSG_, .Lfunc_end1882-_ZN7rocprim17ROCPRIM_400000_NS6detail17trampoline_kernelINS0_14default_configENS1_35radix_sort_onesweep_config_selectorIbNS0_10empty_typeEEEZZNS1_29radix_sort_onesweep_iterationIS3_Lb0EPKbPbPS5_SB_mNS0_19identity_decomposerENS1_16block_id_wrapperIjLb0EEEEE10hipError_tT1_PNSt15iterator_traitsISG_E10value_typeET2_T3_PNSH_ISM_E10value_typeET4_T5_PSR_SS_PNS1_23onesweep_lookback_stateEbbT6_jjT7_P12ihipStream_tbENKUlT_T0_SG_SL_E_clISA_SA_SB_SB_EEDaSZ_S10_SG_SL_EUlSZ_E_NS1_11comp_targetILNS1_3genE2ELNS1_11target_archE906ELNS1_3gpuE6ELNS1_3repE0EEENS1_47radix_sort_onesweep_sort_config_static_selectorELNS0_4arch9wavefront6targetE0EEEvSG_
                                        ; -- End function
	.set _ZN7rocprim17ROCPRIM_400000_NS6detail17trampoline_kernelINS0_14default_configENS1_35radix_sort_onesweep_config_selectorIbNS0_10empty_typeEEEZZNS1_29radix_sort_onesweep_iterationIS3_Lb0EPKbPbPS5_SB_mNS0_19identity_decomposerENS1_16block_id_wrapperIjLb0EEEEE10hipError_tT1_PNSt15iterator_traitsISG_E10value_typeET2_T3_PNSH_ISM_E10value_typeET4_T5_PSR_SS_PNS1_23onesweep_lookback_stateEbbT6_jjT7_P12ihipStream_tbENKUlT_T0_SG_SL_E_clISA_SA_SB_SB_EEDaSZ_S10_SG_SL_EUlSZ_E_NS1_11comp_targetILNS1_3genE2ELNS1_11target_archE906ELNS1_3gpuE6ELNS1_3repE0EEENS1_47radix_sort_onesweep_sort_config_static_selectorELNS0_4arch9wavefront6targetE0EEEvSG_.num_vgpr, 0
	.set _ZN7rocprim17ROCPRIM_400000_NS6detail17trampoline_kernelINS0_14default_configENS1_35radix_sort_onesweep_config_selectorIbNS0_10empty_typeEEEZZNS1_29radix_sort_onesweep_iterationIS3_Lb0EPKbPbPS5_SB_mNS0_19identity_decomposerENS1_16block_id_wrapperIjLb0EEEEE10hipError_tT1_PNSt15iterator_traitsISG_E10value_typeET2_T3_PNSH_ISM_E10value_typeET4_T5_PSR_SS_PNS1_23onesweep_lookback_stateEbbT6_jjT7_P12ihipStream_tbENKUlT_T0_SG_SL_E_clISA_SA_SB_SB_EEDaSZ_S10_SG_SL_EUlSZ_E_NS1_11comp_targetILNS1_3genE2ELNS1_11target_archE906ELNS1_3gpuE6ELNS1_3repE0EEENS1_47radix_sort_onesweep_sort_config_static_selectorELNS0_4arch9wavefront6targetE0EEEvSG_.num_agpr, 0
	.set _ZN7rocprim17ROCPRIM_400000_NS6detail17trampoline_kernelINS0_14default_configENS1_35radix_sort_onesweep_config_selectorIbNS0_10empty_typeEEEZZNS1_29radix_sort_onesweep_iterationIS3_Lb0EPKbPbPS5_SB_mNS0_19identity_decomposerENS1_16block_id_wrapperIjLb0EEEEE10hipError_tT1_PNSt15iterator_traitsISG_E10value_typeET2_T3_PNSH_ISM_E10value_typeET4_T5_PSR_SS_PNS1_23onesweep_lookback_stateEbbT6_jjT7_P12ihipStream_tbENKUlT_T0_SG_SL_E_clISA_SA_SB_SB_EEDaSZ_S10_SG_SL_EUlSZ_E_NS1_11comp_targetILNS1_3genE2ELNS1_11target_archE906ELNS1_3gpuE6ELNS1_3repE0EEENS1_47radix_sort_onesweep_sort_config_static_selectorELNS0_4arch9wavefront6targetE0EEEvSG_.numbered_sgpr, 0
	.set _ZN7rocprim17ROCPRIM_400000_NS6detail17trampoline_kernelINS0_14default_configENS1_35radix_sort_onesweep_config_selectorIbNS0_10empty_typeEEEZZNS1_29radix_sort_onesweep_iterationIS3_Lb0EPKbPbPS5_SB_mNS0_19identity_decomposerENS1_16block_id_wrapperIjLb0EEEEE10hipError_tT1_PNSt15iterator_traitsISG_E10value_typeET2_T3_PNSH_ISM_E10value_typeET4_T5_PSR_SS_PNS1_23onesweep_lookback_stateEbbT6_jjT7_P12ihipStream_tbENKUlT_T0_SG_SL_E_clISA_SA_SB_SB_EEDaSZ_S10_SG_SL_EUlSZ_E_NS1_11comp_targetILNS1_3genE2ELNS1_11target_archE906ELNS1_3gpuE6ELNS1_3repE0EEENS1_47radix_sort_onesweep_sort_config_static_selectorELNS0_4arch9wavefront6targetE0EEEvSG_.num_named_barrier, 0
	.set _ZN7rocprim17ROCPRIM_400000_NS6detail17trampoline_kernelINS0_14default_configENS1_35radix_sort_onesweep_config_selectorIbNS0_10empty_typeEEEZZNS1_29radix_sort_onesweep_iterationIS3_Lb0EPKbPbPS5_SB_mNS0_19identity_decomposerENS1_16block_id_wrapperIjLb0EEEEE10hipError_tT1_PNSt15iterator_traitsISG_E10value_typeET2_T3_PNSH_ISM_E10value_typeET4_T5_PSR_SS_PNS1_23onesweep_lookback_stateEbbT6_jjT7_P12ihipStream_tbENKUlT_T0_SG_SL_E_clISA_SA_SB_SB_EEDaSZ_S10_SG_SL_EUlSZ_E_NS1_11comp_targetILNS1_3genE2ELNS1_11target_archE906ELNS1_3gpuE6ELNS1_3repE0EEENS1_47radix_sort_onesweep_sort_config_static_selectorELNS0_4arch9wavefront6targetE0EEEvSG_.private_seg_size, 0
	.set _ZN7rocprim17ROCPRIM_400000_NS6detail17trampoline_kernelINS0_14default_configENS1_35radix_sort_onesweep_config_selectorIbNS0_10empty_typeEEEZZNS1_29radix_sort_onesweep_iterationIS3_Lb0EPKbPbPS5_SB_mNS0_19identity_decomposerENS1_16block_id_wrapperIjLb0EEEEE10hipError_tT1_PNSt15iterator_traitsISG_E10value_typeET2_T3_PNSH_ISM_E10value_typeET4_T5_PSR_SS_PNS1_23onesweep_lookback_stateEbbT6_jjT7_P12ihipStream_tbENKUlT_T0_SG_SL_E_clISA_SA_SB_SB_EEDaSZ_S10_SG_SL_EUlSZ_E_NS1_11comp_targetILNS1_3genE2ELNS1_11target_archE906ELNS1_3gpuE6ELNS1_3repE0EEENS1_47radix_sort_onesweep_sort_config_static_selectorELNS0_4arch9wavefront6targetE0EEEvSG_.uses_vcc, 0
	.set _ZN7rocprim17ROCPRIM_400000_NS6detail17trampoline_kernelINS0_14default_configENS1_35radix_sort_onesweep_config_selectorIbNS0_10empty_typeEEEZZNS1_29radix_sort_onesweep_iterationIS3_Lb0EPKbPbPS5_SB_mNS0_19identity_decomposerENS1_16block_id_wrapperIjLb0EEEEE10hipError_tT1_PNSt15iterator_traitsISG_E10value_typeET2_T3_PNSH_ISM_E10value_typeET4_T5_PSR_SS_PNS1_23onesweep_lookback_stateEbbT6_jjT7_P12ihipStream_tbENKUlT_T0_SG_SL_E_clISA_SA_SB_SB_EEDaSZ_S10_SG_SL_EUlSZ_E_NS1_11comp_targetILNS1_3genE2ELNS1_11target_archE906ELNS1_3gpuE6ELNS1_3repE0EEENS1_47radix_sort_onesweep_sort_config_static_selectorELNS0_4arch9wavefront6targetE0EEEvSG_.uses_flat_scratch, 0
	.set _ZN7rocprim17ROCPRIM_400000_NS6detail17trampoline_kernelINS0_14default_configENS1_35radix_sort_onesweep_config_selectorIbNS0_10empty_typeEEEZZNS1_29radix_sort_onesweep_iterationIS3_Lb0EPKbPbPS5_SB_mNS0_19identity_decomposerENS1_16block_id_wrapperIjLb0EEEEE10hipError_tT1_PNSt15iterator_traitsISG_E10value_typeET2_T3_PNSH_ISM_E10value_typeET4_T5_PSR_SS_PNS1_23onesweep_lookback_stateEbbT6_jjT7_P12ihipStream_tbENKUlT_T0_SG_SL_E_clISA_SA_SB_SB_EEDaSZ_S10_SG_SL_EUlSZ_E_NS1_11comp_targetILNS1_3genE2ELNS1_11target_archE906ELNS1_3gpuE6ELNS1_3repE0EEENS1_47radix_sort_onesweep_sort_config_static_selectorELNS0_4arch9wavefront6targetE0EEEvSG_.has_dyn_sized_stack, 0
	.set _ZN7rocprim17ROCPRIM_400000_NS6detail17trampoline_kernelINS0_14default_configENS1_35radix_sort_onesweep_config_selectorIbNS0_10empty_typeEEEZZNS1_29radix_sort_onesweep_iterationIS3_Lb0EPKbPbPS5_SB_mNS0_19identity_decomposerENS1_16block_id_wrapperIjLb0EEEEE10hipError_tT1_PNSt15iterator_traitsISG_E10value_typeET2_T3_PNSH_ISM_E10value_typeET4_T5_PSR_SS_PNS1_23onesweep_lookback_stateEbbT6_jjT7_P12ihipStream_tbENKUlT_T0_SG_SL_E_clISA_SA_SB_SB_EEDaSZ_S10_SG_SL_EUlSZ_E_NS1_11comp_targetILNS1_3genE2ELNS1_11target_archE906ELNS1_3gpuE6ELNS1_3repE0EEENS1_47radix_sort_onesweep_sort_config_static_selectorELNS0_4arch9wavefront6targetE0EEEvSG_.has_recursion, 0
	.set _ZN7rocprim17ROCPRIM_400000_NS6detail17trampoline_kernelINS0_14default_configENS1_35radix_sort_onesweep_config_selectorIbNS0_10empty_typeEEEZZNS1_29radix_sort_onesweep_iterationIS3_Lb0EPKbPbPS5_SB_mNS0_19identity_decomposerENS1_16block_id_wrapperIjLb0EEEEE10hipError_tT1_PNSt15iterator_traitsISG_E10value_typeET2_T3_PNSH_ISM_E10value_typeET4_T5_PSR_SS_PNS1_23onesweep_lookback_stateEbbT6_jjT7_P12ihipStream_tbENKUlT_T0_SG_SL_E_clISA_SA_SB_SB_EEDaSZ_S10_SG_SL_EUlSZ_E_NS1_11comp_targetILNS1_3genE2ELNS1_11target_archE906ELNS1_3gpuE6ELNS1_3repE0EEENS1_47radix_sort_onesweep_sort_config_static_selectorELNS0_4arch9wavefront6targetE0EEEvSG_.has_indirect_call, 0
	.section	.AMDGPU.csdata,"",@progbits
; Kernel info:
; codeLenInByte = 0
; TotalNumSgprs: 0
; NumVgprs: 0
; ScratchSize: 0
; MemoryBound: 0
; FloatMode: 240
; IeeeMode: 1
; LDSByteSize: 0 bytes/workgroup (compile time only)
; SGPRBlocks: 0
; VGPRBlocks: 0
; NumSGPRsForWavesPerEU: 1
; NumVGPRsForWavesPerEU: 1
; NamedBarCnt: 0
; Occupancy: 16
; WaveLimiterHint : 0
; COMPUTE_PGM_RSRC2:SCRATCH_EN: 0
; COMPUTE_PGM_RSRC2:USER_SGPR: 2
; COMPUTE_PGM_RSRC2:TRAP_HANDLER: 0
; COMPUTE_PGM_RSRC2:TGID_X_EN: 1
; COMPUTE_PGM_RSRC2:TGID_Y_EN: 0
; COMPUTE_PGM_RSRC2:TGID_Z_EN: 0
; COMPUTE_PGM_RSRC2:TIDIG_COMP_CNT: 0
	.section	.text._ZN7rocprim17ROCPRIM_400000_NS6detail17trampoline_kernelINS0_14default_configENS1_35radix_sort_onesweep_config_selectorIbNS0_10empty_typeEEEZZNS1_29radix_sort_onesweep_iterationIS3_Lb0EPKbPbPS5_SB_mNS0_19identity_decomposerENS1_16block_id_wrapperIjLb0EEEEE10hipError_tT1_PNSt15iterator_traitsISG_E10value_typeET2_T3_PNSH_ISM_E10value_typeET4_T5_PSR_SS_PNS1_23onesweep_lookback_stateEbbT6_jjT7_P12ihipStream_tbENKUlT_T0_SG_SL_E_clISA_SA_SB_SB_EEDaSZ_S10_SG_SL_EUlSZ_E_NS1_11comp_targetILNS1_3genE4ELNS1_11target_archE910ELNS1_3gpuE8ELNS1_3repE0EEENS1_47radix_sort_onesweep_sort_config_static_selectorELNS0_4arch9wavefront6targetE0EEEvSG_,"axG",@progbits,_ZN7rocprim17ROCPRIM_400000_NS6detail17trampoline_kernelINS0_14default_configENS1_35radix_sort_onesweep_config_selectorIbNS0_10empty_typeEEEZZNS1_29radix_sort_onesweep_iterationIS3_Lb0EPKbPbPS5_SB_mNS0_19identity_decomposerENS1_16block_id_wrapperIjLb0EEEEE10hipError_tT1_PNSt15iterator_traitsISG_E10value_typeET2_T3_PNSH_ISM_E10value_typeET4_T5_PSR_SS_PNS1_23onesweep_lookback_stateEbbT6_jjT7_P12ihipStream_tbENKUlT_T0_SG_SL_E_clISA_SA_SB_SB_EEDaSZ_S10_SG_SL_EUlSZ_E_NS1_11comp_targetILNS1_3genE4ELNS1_11target_archE910ELNS1_3gpuE8ELNS1_3repE0EEENS1_47radix_sort_onesweep_sort_config_static_selectorELNS0_4arch9wavefront6targetE0EEEvSG_,comdat
	.protected	_ZN7rocprim17ROCPRIM_400000_NS6detail17trampoline_kernelINS0_14default_configENS1_35radix_sort_onesweep_config_selectorIbNS0_10empty_typeEEEZZNS1_29radix_sort_onesweep_iterationIS3_Lb0EPKbPbPS5_SB_mNS0_19identity_decomposerENS1_16block_id_wrapperIjLb0EEEEE10hipError_tT1_PNSt15iterator_traitsISG_E10value_typeET2_T3_PNSH_ISM_E10value_typeET4_T5_PSR_SS_PNS1_23onesweep_lookback_stateEbbT6_jjT7_P12ihipStream_tbENKUlT_T0_SG_SL_E_clISA_SA_SB_SB_EEDaSZ_S10_SG_SL_EUlSZ_E_NS1_11comp_targetILNS1_3genE4ELNS1_11target_archE910ELNS1_3gpuE8ELNS1_3repE0EEENS1_47radix_sort_onesweep_sort_config_static_selectorELNS0_4arch9wavefront6targetE0EEEvSG_ ; -- Begin function _ZN7rocprim17ROCPRIM_400000_NS6detail17trampoline_kernelINS0_14default_configENS1_35radix_sort_onesweep_config_selectorIbNS0_10empty_typeEEEZZNS1_29radix_sort_onesweep_iterationIS3_Lb0EPKbPbPS5_SB_mNS0_19identity_decomposerENS1_16block_id_wrapperIjLb0EEEEE10hipError_tT1_PNSt15iterator_traitsISG_E10value_typeET2_T3_PNSH_ISM_E10value_typeET4_T5_PSR_SS_PNS1_23onesweep_lookback_stateEbbT6_jjT7_P12ihipStream_tbENKUlT_T0_SG_SL_E_clISA_SA_SB_SB_EEDaSZ_S10_SG_SL_EUlSZ_E_NS1_11comp_targetILNS1_3genE4ELNS1_11target_archE910ELNS1_3gpuE8ELNS1_3repE0EEENS1_47radix_sort_onesweep_sort_config_static_selectorELNS0_4arch9wavefront6targetE0EEEvSG_
	.globl	_ZN7rocprim17ROCPRIM_400000_NS6detail17trampoline_kernelINS0_14default_configENS1_35radix_sort_onesweep_config_selectorIbNS0_10empty_typeEEEZZNS1_29radix_sort_onesweep_iterationIS3_Lb0EPKbPbPS5_SB_mNS0_19identity_decomposerENS1_16block_id_wrapperIjLb0EEEEE10hipError_tT1_PNSt15iterator_traitsISG_E10value_typeET2_T3_PNSH_ISM_E10value_typeET4_T5_PSR_SS_PNS1_23onesweep_lookback_stateEbbT6_jjT7_P12ihipStream_tbENKUlT_T0_SG_SL_E_clISA_SA_SB_SB_EEDaSZ_S10_SG_SL_EUlSZ_E_NS1_11comp_targetILNS1_3genE4ELNS1_11target_archE910ELNS1_3gpuE8ELNS1_3repE0EEENS1_47radix_sort_onesweep_sort_config_static_selectorELNS0_4arch9wavefront6targetE0EEEvSG_
	.p2align	8
	.type	_ZN7rocprim17ROCPRIM_400000_NS6detail17trampoline_kernelINS0_14default_configENS1_35radix_sort_onesweep_config_selectorIbNS0_10empty_typeEEEZZNS1_29radix_sort_onesweep_iterationIS3_Lb0EPKbPbPS5_SB_mNS0_19identity_decomposerENS1_16block_id_wrapperIjLb0EEEEE10hipError_tT1_PNSt15iterator_traitsISG_E10value_typeET2_T3_PNSH_ISM_E10value_typeET4_T5_PSR_SS_PNS1_23onesweep_lookback_stateEbbT6_jjT7_P12ihipStream_tbENKUlT_T0_SG_SL_E_clISA_SA_SB_SB_EEDaSZ_S10_SG_SL_EUlSZ_E_NS1_11comp_targetILNS1_3genE4ELNS1_11target_archE910ELNS1_3gpuE8ELNS1_3repE0EEENS1_47radix_sort_onesweep_sort_config_static_selectorELNS0_4arch9wavefront6targetE0EEEvSG_,@function
_ZN7rocprim17ROCPRIM_400000_NS6detail17trampoline_kernelINS0_14default_configENS1_35radix_sort_onesweep_config_selectorIbNS0_10empty_typeEEEZZNS1_29radix_sort_onesweep_iterationIS3_Lb0EPKbPbPS5_SB_mNS0_19identity_decomposerENS1_16block_id_wrapperIjLb0EEEEE10hipError_tT1_PNSt15iterator_traitsISG_E10value_typeET2_T3_PNSH_ISM_E10value_typeET4_T5_PSR_SS_PNS1_23onesweep_lookback_stateEbbT6_jjT7_P12ihipStream_tbENKUlT_T0_SG_SL_E_clISA_SA_SB_SB_EEDaSZ_S10_SG_SL_EUlSZ_E_NS1_11comp_targetILNS1_3genE4ELNS1_11target_archE910ELNS1_3gpuE8ELNS1_3repE0EEENS1_47radix_sort_onesweep_sort_config_static_selectorELNS0_4arch9wavefront6targetE0EEEvSG_: ; @_ZN7rocprim17ROCPRIM_400000_NS6detail17trampoline_kernelINS0_14default_configENS1_35radix_sort_onesweep_config_selectorIbNS0_10empty_typeEEEZZNS1_29radix_sort_onesweep_iterationIS3_Lb0EPKbPbPS5_SB_mNS0_19identity_decomposerENS1_16block_id_wrapperIjLb0EEEEE10hipError_tT1_PNSt15iterator_traitsISG_E10value_typeET2_T3_PNSH_ISM_E10value_typeET4_T5_PSR_SS_PNS1_23onesweep_lookback_stateEbbT6_jjT7_P12ihipStream_tbENKUlT_T0_SG_SL_E_clISA_SA_SB_SB_EEDaSZ_S10_SG_SL_EUlSZ_E_NS1_11comp_targetILNS1_3genE4ELNS1_11target_archE910ELNS1_3gpuE8ELNS1_3repE0EEENS1_47radix_sort_onesweep_sort_config_static_selectorELNS0_4arch9wavefront6targetE0EEEvSG_
; %bb.0:
	.section	.rodata,"a",@progbits
	.p2align	6, 0x0
	.amdhsa_kernel _ZN7rocprim17ROCPRIM_400000_NS6detail17trampoline_kernelINS0_14default_configENS1_35radix_sort_onesweep_config_selectorIbNS0_10empty_typeEEEZZNS1_29radix_sort_onesweep_iterationIS3_Lb0EPKbPbPS5_SB_mNS0_19identity_decomposerENS1_16block_id_wrapperIjLb0EEEEE10hipError_tT1_PNSt15iterator_traitsISG_E10value_typeET2_T3_PNSH_ISM_E10value_typeET4_T5_PSR_SS_PNS1_23onesweep_lookback_stateEbbT6_jjT7_P12ihipStream_tbENKUlT_T0_SG_SL_E_clISA_SA_SB_SB_EEDaSZ_S10_SG_SL_EUlSZ_E_NS1_11comp_targetILNS1_3genE4ELNS1_11target_archE910ELNS1_3gpuE8ELNS1_3repE0EEENS1_47radix_sort_onesweep_sort_config_static_selectorELNS0_4arch9wavefront6targetE0EEEvSG_
		.amdhsa_group_segment_fixed_size 0
		.amdhsa_private_segment_fixed_size 0
		.amdhsa_kernarg_size 88
		.amdhsa_user_sgpr_count 2
		.amdhsa_user_sgpr_dispatch_ptr 0
		.amdhsa_user_sgpr_queue_ptr 0
		.amdhsa_user_sgpr_kernarg_segment_ptr 1
		.amdhsa_user_sgpr_dispatch_id 0
		.amdhsa_user_sgpr_kernarg_preload_length 0
		.amdhsa_user_sgpr_kernarg_preload_offset 0
		.amdhsa_user_sgpr_private_segment_size 0
		.amdhsa_wavefront_size32 1
		.amdhsa_uses_dynamic_stack 0
		.amdhsa_enable_private_segment 0
		.amdhsa_system_sgpr_workgroup_id_x 1
		.amdhsa_system_sgpr_workgroup_id_y 0
		.amdhsa_system_sgpr_workgroup_id_z 0
		.amdhsa_system_sgpr_workgroup_info 0
		.amdhsa_system_vgpr_workitem_id 0
		.amdhsa_next_free_vgpr 1
		.amdhsa_next_free_sgpr 1
		.amdhsa_named_barrier_count 0
		.amdhsa_reserve_vcc 0
		.amdhsa_float_round_mode_32 0
		.amdhsa_float_round_mode_16_64 0
		.amdhsa_float_denorm_mode_32 3
		.amdhsa_float_denorm_mode_16_64 3
		.amdhsa_fp16_overflow 0
		.amdhsa_memory_ordered 1
		.amdhsa_forward_progress 1
		.amdhsa_inst_pref_size 0
		.amdhsa_round_robin_scheduling 0
		.amdhsa_exception_fp_ieee_invalid_op 0
		.amdhsa_exception_fp_denorm_src 0
		.amdhsa_exception_fp_ieee_div_zero 0
		.amdhsa_exception_fp_ieee_overflow 0
		.amdhsa_exception_fp_ieee_underflow 0
		.amdhsa_exception_fp_ieee_inexact 0
		.amdhsa_exception_int_div_zero 0
	.end_amdhsa_kernel
	.section	.text._ZN7rocprim17ROCPRIM_400000_NS6detail17trampoline_kernelINS0_14default_configENS1_35radix_sort_onesweep_config_selectorIbNS0_10empty_typeEEEZZNS1_29radix_sort_onesweep_iterationIS3_Lb0EPKbPbPS5_SB_mNS0_19identity_decomposerENS1_16block_id_wrapperIjLb0EEEEE10hipError_tT1_PNSt15iterator_traitsISG_E10value_typeET2_T3_PNSH_ISM_E10value_typeET4_T5_PSR_SS_PNS1_23onesweep_lookback_stateEbbT6_jjT7_P12ihipStream_tbENKUlT_T0_SG_SL_E_clISA_SA_SB_SB_EEDaSZ_S10_SG_SL_EUlSZ_E_NS1_11comp_targetILNS1_3genE4ELNS1_11target_archE910ELNS1_3gpuE8ELNS1_3repE0EEENS1_47radix_sort_onesweep_sort_config_static_selectorELNS0_4arch9wavefront6targetE0EEEvSG_,"axG",@progbits,_ZN7rocprim17ROCPRIM_400000_NS6detail17trampoline_kernelINS0_14default_configENS1_35radix_sort_onesweep_config_selectorIbNS0_10empty_typeEEEZZNS1_29radix_sort_onesweep_iterationIS3_Lb0EPKbPbPS5_SB_mNS0_19identity_decomposerENS1_16block_id_wrapperIjLb0EEEEE10hipError_tT1_PNSt15iterator_traitsISG_E10value_typeET2_T3_PNSH_ISM_E10value_typeET4_T5_PSR_SS_PNS1_23onesweep_lookback_stateEbbT6_jjT7_P12ihipStream_tbENKUlT_T0_SG_SL_E_clISA_SA_SB_SB_EEDaSZ_S10_SG_SL_EUlSZ_E_NS1_11comp_targetILNS1_3genE4ELNS1_11target_archE910ELNS1_3gpuE8ELNS1_3repE0EEENS1_47radix_sort_onesweep_sort_config_static_selectorELNS0_4arch9wavefront6targetE0EEEvSG_,comdat
.Lfunc_end1883:
	.size	_ZN7rocprim17ROCPRIM_400000_NS6detail17trampoline_kernelINS0_14default_configENS1_35radix_sort_onesweep_config_selectorIbNS0_10empty_typeEEEZZNS1_29radix_sort_onesweep_iterationIS3_Lb0EPKbPbPS5_SB_mNS0_19identity_decomposerENS1_16block_id_wrapperIjLb0EEEEE10hipError_tT1_PNSt15iterator_traitsISG_E10value_typeET2_T3_PNSH_ISM_E10value_typeET4_T5_PSR_SS_PNS1_23onesweep_lookback_stateEbbT6_jjT7_P12ihipStream_tbENKUlT_T0_SG_SL_E_clISA_SA_SB_SB_EEDaSZ_S10_SG_SL_EUlSZ_E_NS1_11comp_targetILNS1_3genE4ELNS1_11target_archE910ELNS1_3gpuE8ELNS1_3repE0EEENS1_47radix_sort_onesweep_sort_config_static_selectorELNS0_4arch9wavefront6targetE0EEEvSG_, .Lfunc_end1883-_ZN7rocprim17ROCPRIM_400000_NS6detail17trampoline_kernelINS0_14default_configENS1_35radix_sort_onesweep_config_selectorIbNS0_10empty_typeEEEZZNS1_29radix_sort_onesweep_iterationIS3_Lb0EPKbPbPS5_SB_mNS0_19identity_decomposerENS1_16block_id_wrapperIjLb0EEEEE10hipError_tT1_PNSt15iterator_traitsISG_E10value_typeET2_T3_PNSH_ISM_E10value_typeET4_T5_PSR_SS_PNS1_23onesweep_lookback_stateEbbT6_jjT7_P12ihipStream_tbENKUlT_T0_SG_SL_E_clISA_SA_SB_SB_EEDaSZ_S10_SG_SL_EUlSZ_E_NS1_11comp_targetILNS1_3genE4ELNS1_11target_archE910ELNS1_3gpuE8ELNS1_3repE0EEENS1_47radix_sort_onesweep_sort_config_static_selectorELNS0_4arch9wavefront6targetE0EEEvSG_
                                        ; -- End function
	.set _ZN7rocprim17ROCPRIM_400000_NS6detail17trampoline_kernelINS0_14default_configENS1_35radix_sort_onesweep_config_selectorIbNS0_10empty_typeEEEZZNS1_29radix_sort_onesweep_iterationIS3_Lb0EPKbPbPS5_SB_mNS0_19identity_decomposerENS1_16block_id_wrapperIjLb0EEEEE10hipError_tT1_PNSt15iterator_traitsISG_E10value_typeET2_T3_PNSH_ISM_E10value_typeET4_T5_PSR_SS_PNS1_23onesweep_lookback_stateEbbT6_jjT7_P12ihipStream_tbENKUlT_T0_SG_SL_E_clISA_SA_SB_SB_EEDaSZ_S10_SG_SL_EUlSZ_E_NS1_11comp_targetILNS1_3genE4ELNS1_11target_archE910ELNS1_3gpuE8ELNS1_3repE0EEENS1_47radix_sort_onesweep_sort_config_static_selectorELNS0_4arch9wavefront6targetE0EEEvSG_.num_vgpr, 0
	.set _ZN7rocprim17ROCPRIM_400000_NS6detail17trampoline_kernelINS0_14default_configENS1_35radix_sort_onesweep_config_selectorIbNS0_10empty_typeEEEZZNS1_29radix_sort_onesweep_iterationIS3_Lb0EPKbPbPS5_SB_mNS0_19identity_decomposerENS1_16block_id_wrapperIjLb0EEEEE10hipError_tT1_PNSt15iterator_traitsISG_E10value_typeET2_T3_PNSH_ISM_E10value_typeET4_T5_PSR_SS_PNS1_23onesweep_lookback_stateEbbT6_jjT7_P12ihipStream_tbENKUlT_T0_SG_SL_E_clISA_SA_SB_SB_EEDaSZ_S10_SG_SL_EUlSZ_E_NS1_11comp_targetILNS1_3genE4ELNS1_11target_archE910ELNS1_3gpuE8ELNS1_3repE0EEENS1_47radix_sort_onesweep_sort_config_static_selectorELNS0_4arch9wavefront6targetE0EEEvSG_.num_agpr, 0
	.set _ZN7rocprim17ROCPRIM_400000_NS6detail17trampoline_kernelINS0_14default_configENS1_35radix_sort_onesweep_config_selectorIbNS0_10empty_typeEEEZZNS1_29radix_sort_onesweep_iterationIS3_Lb0EPKbPbPS5_SB_mNS0_19identity_decomposerENS1_16block_id_wrapperIjLb0EEEEE10hipError_tT1_PNSt15iterator_traitsISG_E10value_typeET2_T3_PNSH_ISM_E10value_typeET4_T5_PSR_SS_PNS1_23onesweep_lookback_stateEbbT6_jjT7_P12ihipStream_tbENKUlT_T0_SG_SL_E_clISA_SA_SB_SB_EEDaSZ_S10_SG_SL_EUlSZ_E_NS1_11comp_targetILNS1_3genE4ELNS1_11target_archE910ELNS1_3gpuE8ELNS1_3repE0EEENS1_47radix_sort_onesweep_sort_config_static_selectorELNS0_4arch9wavefront6targetE0EEEvSG_.numbered_sgpr, 0
	.set _ZN7rocprim17ROCPRIM_400000_NS6detail17trampoline_kernelINS0_14default_configENS1_35radix_sort_onesweep_config_selectorIbNS0_10empty_typeEEEZZNS1_29radix_sort_onesweep_iterationIS3_Lb0EPKbPbPS5_SB_mNS0_19identity_decomposerENS1_16block_id_wrapperIjLb0EEEEE10hipError_tT1_PNSt15iterator_traitsISG_E10value_typeET2_T3_PNSH_ISM_E10value_typeET4_T5_PSR_SS_PNS1_23onesweep_lookback_stateEbbT6_jjT7_P12ihipStream_tbENKUlT_T0_SG_SL_E_clISA_SA_SB_SB_EEDaSZ_S10_SG_SL_EUlSZ_E_NS1_11comp_targetILNS1_3genE4ELNS1_11target_archE910ELNS1_3gpuE8ELNS1_3repE0EEENS1_47radix_sort_onesweep_sort_config_static_selectorELNS0_4arch9wavefront6targetE0EEEvSG_.num_named_barrier, 0
	.set _ZN7rocprim17ROCPRIM_400000_NS6detail17trampoline_kernelINS0_14default_configENS1_35radix_sort_onesweep_config_selectorIbNS0_10empty_typeEEEZZNS1_29radix_sort_onesweep_iterationIS3_Lb0EPKbPbPS5_SB_mNS0_19identity_decomposerENS1_16block_id_wrapperIjLb0EEEEE10hipError_tT1_PNSt15iterator_traitsISG_E10value_typeET2_T3_PNSH_ISM_E10value_typeET4_T5_PSR_SS_PNS1_23onesweep_lookback_stateEbbT6_jjT7_P12ihipStream_tbENKUlT_T0_SG_SL_E_clISA_SA_SB_SB_EEDaSZ_S10_SG_SL_EUlSZ_E_NS1_11comp_targetILNS1_3genE4ELNS1_11target_archE910ELNS1_3gpuE8ELNS1_3repE0EEENS1_47radix_sort_onesweep_sort_config_static_selectorELNS0_4arch9wavefront6targetE0EEEvSG_.private_seg_size, 0
	.set _ZN7rocprim17ROCPRIM_400000_NS6detail17trampoline_kernelINS0_14default_configENS1_35radix_sort_onesweep_config_selectorIbNS0_10empty_typeEEEZZNS1_29radix_sort_onesweep_iterationIS3_Lb0EPKbPbPS5_SB_mNS0_19identity_decomposerENS1_16block_id_wrapperIjLb0EEEEE10hipError_tT1_PNSt15iterator_traitsISG_E10value_typeET2_T3_PNSH_ISM_E10value_typeET4_T5_PSR_SS_PNS1_23onesweep_lookback_stateEbbT6_jjT7_P12ihipStream_tbENKUlT_T0_SG_SL_E_clISA_SA_SB_SB_EEDaSZ_S10_SG_SL_EUlSZ_E_NS1_11comp_targetILNS1_3genE4ELNS1_11target_archE910ELNS1_3gpuE8ELNS1_3repE0EEENS1_47radix_sort_onesweep_sort_config_static_selectorELNS0_4arch9wavefront6targetE0EEEvSG_.uses_vcc, 0
	.set _ZN7rocprim17ROCPRIM_400000_NS6detail17trampoline_kernelINS0_14default_configENS1_35radix_sort_onesweep_config_selectorIbNS0_10empty_typeEEEZZNS1_29radix_sort_onesweep_iterationIS3_Lb0EPKbPbPS5_SB_mNS0_19identity_decomposerENS1_16block_id_wrapperIjLb0EEEEE10hipError_tT1_PNSt15iterator_traitsISG_E10value_typeET2_T3_PNSH_ISM_E10value_typeET4_T5_PSR_SS_PNS1_23onesweep_lookback_stateEbbT6_jjT7_P12ihipStream_tbENKUlT_T0_SG_SL_E_clISA_SA_SB_SB_EEDaSZ_S10_SG_SL_EUlSZ_E_NS1_11comp_targetILNS1_3genE4ELNS1_11target_archE910ELNS1_3gpuE8ELNS1_3repE0EEENS1_47radix_sort_onesweep_sort_config_static_selectorELNS0_4arch9wavefront6targetE0EEEvSG_.uses_flat_scratch, 0
	.set _ZN7rocprim17ROCPRIM_400000_NS6detail17trampoline_kernelINS0_14default_configENS1_35radix_sort_onesweep_config_selectorIbNS0_10empty_typeEEEZZNS1_29radix_sort_onesweep_iterationIS3_Lb0EPKbPbPS5_SB_mNS0_19identity_decomposerENS1_16block_id_wrapperIjLb0EEEEE10hipError_tT1_PNSt15iterator_traitsISG_E10value_typeET2_T3_PNSH_ISM_E10value_typeET4_T5_PSR_SS_PNS1_23onesweep_lookback_stateEbbT6_jjT7_P12ihipStream_tbENKUlT_T0_SG_SL_E_clISA_SA_SB_SB_EEDaSZ_S10_SG_SL_EUlSZ_E_NS1_11comp_targetILNS1_3genE4ELNS1_11target_archE910ELNS1_3gpuE8ELNS1_3repE0EEENS1_47radix_sort_onesweep_sort_config_static_selectorELNS0_4arch9wavefront6targetE0EEEvSG_.has_dyn_sized_stack, 0
	.set _ZN7rocprim17ROCPRIM_400000_NS6detail17trampoline_kernelINS0_14default_configENS1_35radix_sort_onesweep_config_selectorIbNS0_10empty_typeEEEZZNS1_29radix_sort_onesweep_iterationIS3_Lb0EPKbPbPS5_SB_mNS0_19identity_decomposerENS1_16block_id_wrapperIjLb0EEEEE10hipError_tT1_PNSt15iterator_traitsISG_E10value_typeET2_T3_PNSH_ISM_E10value_typeET4_T5_PSR_SS_PNS1_23onesweep_lookback_stateEbbT6_jjT7_P12ihipStream_tbENKUlT_T0_SG_SL_E_clISA_SA_SB_SB_EEDaSZ_S10_SG_SL_EUlSZ_E_NS1_11comp_targetILNS1_3genE4ELNS1_11target_archE910ELNS1_3gpuE8ELNS1_3repE0EEENS1_47radix_sort_onesweep_sort_config_static_selectorELNS0_4arch9wavefront6targetE0EEEvSG_.has_recursion, 0
	.set _ZN7rocprim17ROCPRIM_400000_NS6detail17trampoline_kernelINS0_14default_configENS1_35radix_sort_onesweep_config_selectorIbNS0_10empty_typeEEEZZNS1_29radix_sort_onesweep_iterationIS3_Lb0EPKbPbPS5_SB_mNS0_19identity_decomposerENS1_16block_id_wrapperIjLb0EEEEE10hipError_tT1_PNSt15iterator_traitsISG_E10value_typeET2_T3_PNSH_ISM_E10value_typeET4_T5_PSR_SS_PNS1_23onesweep_lookback_stateEbbT6_jjT7_P12ihipStream_tbENKUlT_T0_SG_SL_E_clISA_SA_SB_SB_EEDaSZ_S10_SG_SL_EUlSZ_E_NS1_11comp_targetILNS1_3genE4ELNS1_11target_archE910ELNS1_3gpuE8ELNS1_3repE0EEENS1_47radix_sort_onesweep_sort_config_static_selectorELNS0_4arch9wavefront6targetE0EEEvSG_.has_indirect_call, 0
	.section	.AMDGPU.csdata,"",@progbits
; Kernel info:
; codeLenInByte = 0
; TotalNumSgprs: 0
; NumVgprs: 0
; ScratchSize: 0
; MemoryBound: 0
; FloatMode: 240
; IeeeMode: 1
; LDSByteSize: 0 bytes/workgroup (compile time only)
; SGPRBlocks: 0
; VGPRBlocks: 0
; NumSGPRsForWavesPerEU: 1
; NumVGPRsForWavesPerEU: 1
; NamedBarCnt: 0
; Occupancy: 16
; WaveLimiterHint : 0
; COMPUTE_PGM_RSRC2:SCRATCH_EN: 0
; COMPUTE_PGM_RSRC2:USER_SGPR: 2
; COMPUTE_PGM_RSRC2:TRAP_HANDLER: 0
; COMPUTE_PGM_RSRC2:TGID_X_EN: 1
; COMPUTE_PGM_RSRC2:TGID_Y_EN: 0
; COMPUTE_PGM_RSRC2:TGID_Z_EN: 0
; COMPUTE_PGM_RSRC2:TIDIG_COMP_CNT: 0
	.section	.text._ZN7rocprim17ROCPRIM_400000_NS6detail17trampoline_kernelINS0_14default_configENS1_35radix_sort_onesweep_config_selectorIbNS0_10empty_typeEEEZZNS1_29radix_sort_onesweep_iterationIS3_Lb0EPKbPbPS5_SB_mNS0_19identity_decomposerENS1_16block_id_wrapperIjLb0EEEEE10hipError_tT1_PNSt15iterator_traitsISG_E10value_typeET2_T3_PNSH_ISM_E10value_typeET4_T5_PSR_SS_PNS1_23onesweep_lookback_stateEbbT6_jjT7_P12ihipStream_tbENKUlT_T0_SG_SL_E_clISA_SA_SB_SB_EEDaSZ_S10_SG_SL_EUlSZ_E_NS1_11comp_targetILNS1_3genE3ELNS1_11target_archE908ELNS1_3gpuE7ELNS1_3repE0EEENS1_47radix_sort_onesweep_sort_config_static_selectorELNS0_4arch9wavefront6targetE0EEEvSG_,"axG",@progbits,_ZN7rocprim17ROCPRIM_400000_NS6detail17trampoline_kernelINS0_14default_configENS1_35radix_sort_onesweep_config_selectorIbNS0_10empty_typeEEEZZNS1_29radix_sort_onesweep_iterationIS3_Lb0EPKbPbPS5_SB_mNS0_19identity_decomposerENS1_16block_id_wrapperIjLb0EEEEE10hipError_tT1_PNSt15iterator_traitsISG_E10value_typeET2_T3_PNSH_ISM_E10value_typeET4_T5_PSR_SS_PNS1_23onesweep_lookback_stateEbbT6_jjT7_P12ihipStream_tbENKUlT_T0_SG_SL_E_clISA_SA_SB_SB_EEDaSZ_S10_SG_SL_EUlSZ_E_NS1_11comp_targetILNS1_3genE3ELNS1_11target_archE908ELNS1_3gpuE7ELNS1_3repE0EEENS1_47radix_sort_onesweep_sort_config_static_selectorELNS0_4arch9wavefront6targetE0EEEvSG_,comdat
	.protected	_ZN7rocprim17ROCPRIM_400000_NS6detail17trampoline_kernelINS0_14default_configENS1_35radix_sort_onesweep_config_selectorIbNS0_10empty_typeEEEZZNS1_29radix_sort_onesweep_iterationIS3_Lb0EPKbPbPS5_SB_mNS0_19identity_decomposerENS1_16block_id_wrapperIjLb0EEEEE10hipError_tT1_PNSt15iterator_traitsISG_E10value_typeET2_T3_PNSH_ISM_E10value_typeET4_T5_PSR_SS_PNS1_23onesweep_lookback_stateEbbT6_jjT7_P12ihipStream_tbENKUlT_T0_SG_SL_E_clISA_SA_SB_SB_EEDaSZ_S10_SG_SL_EUlSZ_E_NS1_11comp_targetILNS1_3genE3ELNS1_11target_archE908ELNS1_3gpuE7ELNS1_3repE0EEENS1_47radix_sort_onesweep_sort_config_static_selectorELNS0_4arch9wavefront6targetE0EEEvSG_ ; -- Begin function _ZN7rocprim17ROCPRIM_400000_NS6detail17trampoline_kernelINS0_14default_configENS1_35radix_sort_onesweep_config_selectorIbNS0_10empty_typeEEEZZNS1_29radix_sort_onesweep_iterationIS3_Lb0EPKbPbPS5_SB_mNS0_19identity_decomposerENS1_16block_id_wrapperIjLb0EEEEE10hipError_tT1_PNSt15iterator_traitsISG_E10value_typeET2_T3_PNSH_ISM_E10value_typeET4_T5_PSR_SS_PNS1_23onesweep_lookback_stateEbbT6_jjT7_P12ihipStream_tbENKUlT_T0_SG_SL_E_clISA_SA_SB_SB_EEDaSZ_S10_SG_SL_EUlSZ_E_NS1_11comp_targetILNS1_3genE3ELNS1_11target_archE908ELNS1_3gpuE7ELNS1_3repE0EEENS1_47radix_sort_onesweep_sort_config_static_selectorELNS0_4arch9wavefront6targetE0EEEvSG_
	.globl	_ZN7rocprim17ROCPRIM_400000_NS6detail17trampoline_kernelINS0_14default_configENS1_35radix_sort_onesweep_config_selectorIbNS0_10empty_typeEEEZZNS1_29radix_sort_onesweep_iterationIS3_Lb0EPKbPbPS5_SB_mNS0_19identity_decomposerENS1_16block_id_wrapperIjLb0EEEEE10hipError_tT1_PNSt15iterator_traitsISG_E10value_typeET2_T3_PNSH_ISM_E10value_typeET4_T5_PSR_SS_PNS1_23onesweep_lookback_stateEbbT6_jjT7_P12ihipStream_tbENKUlT_T0_SG_SL_E_clISA_SA_SB_SB_EEDaSZ_S10_SG_SL_EUlSZ_E_NS1_11comp_targetILNS1_3genE3ELNS1_11target_archE908ELNS1_3gpuE7ELNS1_3repE0EEENS1_47radix_sort_onesweep_sort_config_static_selectorELNS0_4arch9wavefront6targetE0EEEvSG_
	.p2align	8
	.type	_ZN7rocprim17ROCPRIM_400000_NS6detail17trampoline_kernelINS0_14default_configENS1_35radix_sort_onesweep_config_selectorIbNS0_10empty_typeEEEZZNS1_29radix_sort_onesweep_iterationIS3_Lb0EPKbPbPS5_SB_mNS0_19identity_decomposerENS1_16block_id_wrapperIjLb0EEEEE10hipError_tT1_PNSt15iterator_traitsISG_E10value_typeET2_T3_PNSH_ISM_E10value_typeET4_T5_PSR_SS_PNS1_23onesweep_lookback_stateEbbT6_jjT7_P12ihipStream_tbENKUlT_T0_SG_SL_E_clISA_SA_SB_SB_EEDaSZ_S10_SG_SL_EUlSZ_E_NS1_11comp_targetILNS1_3genE3ELNS1_11target_archE908ELNS1_3gpuE7ELNS1_3repE0EEENS1_47radix_sort_onesweep_sort_config_static_selectorELNS0_4arch9wavefront6targetE0EEEvSG_,@function
_ZN7rocprim17ROCPRIM_400000_NS6detail17trampoline_kernelINS0_14default_configENS1_35radix_sort_onesweep_config_selectorIbNS0_10empty_typeEEEZZNS1_29radix_sort_onesweep_iterationIS3_Lb0EPKbPbPS5_SB_mNS0_19identity_decomposerENS1_16block_id_wrapperIjLb0EEEEE10hipError_tT1_PNSt15iterator_traitsISG_E10value_typeET2_T3_PNSH_ISM_E10value_typeET4_T5_PSR_SS_PNS1_23onesweep_lookback_stateEbbT6_jjT7_P12ihipStream_tbENKUlT_T0_SG_SL_E_clISA_SA_SB_SB_EEDaSZ_S10_SG_SL_EUlSZ_E_NS1_11comp_targetILNS1_3genE3ELNS1_11target_archE908ELNS1_3gpuE7ELNS1_3repE0EEENS1_47radix_sort_onesweep_sort_config_static_selectorELNS0_4arch9wavefront6targetE0EEEvSG_: ; @_ZN7rocprim17ROCPRIM_400000_NS6detail17trampoline_kernelINS0_14default_configENS1_35radix_sort_onesweep_config_selectorIbNS0_10empty_typeEEEZZNS1_29radix_sort_onesweep_iterationIS3_Lb0EPKbPbPS5_SB_mNS0_19identity_decomposerENS1_16block_id_wrapperIjLb0EEEEE10hipError_tT1_PNSt15iterator_traitsISG_E10value_typeET2_T3_PNSH_ISM_E10value_typeET4_T5_PSR_SS_PNS1_23onesweep_lookback_stateEbbT6_jjT7_P12ihipStream_tbENKUlT_T0_SG_SL_E_clISA_SA_SB_SB_EEDaSZ_S10_SG_SL_EUlSZ_E_NS1_11comp_targetILNS1_3genE3ELNS1_11target_archE908ELNS1_3gpuE7ELNS1_3repE0EEENS1_47radix_sort_onesweep_sort_config_static_selectorELNS0_4arch9wavefront6targetE0EEEvSG_
; %bb.0:
	.section	.rodata,"a",@progbits
	.p2align	6, 0x0
	.amdhsa_kernel _ZN7rocprim17ROCPRIM_400000_NS6detail17trampoline_kernelINS0_14default_configENS1_35radix_sort_onesweep_config_selectorIbNS0_10empty_typeEEEZZNS1_29radix_sort_onesweep_iterationIS3_Lb0EPKbPbPS5_SB_mNS0_19identity_decomposerENS1_16block_id_wrapperIjLb0EEEEE10hipError_tT1_PNSt15iterator_traitsISG_E10value_typeET2_T3_PNSH_ISM_E10value_typeET4_T5_PSR_SS_PNS1_23onesweep_lookback_stateEbbT6_jjT7_P12ihipStream_tbENKUlT_T0_SG_SL_E_clISA_SA_SB_SB_EEDaSZ_S10_SG_SL_EUlSZ_E_NS1_11comp_targetILNS1_3genE3ELNS1_11target_archE908ELNS1_3gpuE7ELNS1_3repE0EEENS1_47radix_sort_onesweep_sort_config_static_selectorELNS0_4arch9wavefront6targetE0EEEvSG_
		.amdhsa_group_segment_fixed_size 0
		.amdhsa_private_segment_fixed_size 0
		.amdhsa_kernarg_size 88
		.amdhsa_user_sgpr_count 2
		.amdhsa_user_sgpr_dispatch_ptr 0
		.amdhsa_user_sgpr_queue_ptr 0
		.amdhsa_user_sgpr_kernarg_segment_ptr 1
		.amdhsa_user_sgpr_dispatch_id 0
		.amdhsa_user_sgpr_kernarg_preload_length 0
		.amdhsa_user_sgpr_kernarg_preload_offset 0
		.amdhsa_user_sgpr_private_segment_size 0
		.amdhsa_wavefront_size32 1
		.amdhsa_uses_dynamic_stack 0
		.amdhsa_enable_private_segment 0
		.amdhsa_system_sgpr_workgroup_id_x 1
		.amdhsa_system_sgpr_workgroup_id_y 0
		.amdhsa_system_sgpr_workgroup_id_z 0
		.amdhsa_system_sgpr_workgroup_info 0
		.amdhsa_system_vgpr_workitem_id 0
		.amdhsa_next_free_vgpr 1
		.amdhsa_next_free_sgpr 1
		.amdhsa_named_barrier_count 0
		.amdhsa_reserve_vcc 0
		.amdhsa_float_round_mode_32 0
		.amdhsa_float_round_mode_16_64 0
		.amdhsa_float_denorm_mode_32 3
		.amdhsa_float_denorm_mode_16_64 3
		.amdhsa_fp16_overflow 0
		.amdhsa_memory_ordered 1
		.amdhsa_forward_progress 1
		.amdhsa_inst_pref_size 0
		.amdhsa_round_robin_scheduling 0
		.amdhsa_exception_fp_ieee_invalid_op 0
		.amdhsa_exception_fp_denorm_src 0
		.amdhsa_exception_fp_ieee_div_zero 0
		.amdhsa_exception_fp_ieee_overflow 0
		.amdhsa_exception_fp_ieee_underflow 0
		.amdhsa_exception_fp_ieee_inexact 0
		.amdhsa_exception_int_div_zero 0
	.end_amdhsa_kernel
	.section	.text._ZN7rocprim17ROCPRIM_400000_NS6detail17trampoline_kernelINS0_14default_configENS1_35radix_sort_onesweep_config_selectorIbNS0_10empty_typeEEEZZNS1_29radix_sort_onesweep_iterationIS3_Lb0EPKbPbPS5_SB_mNS0_19identity_decomposerENS1_16block_id_wrapperIjLb0EEEEE10hipError_tT1_PNSt15iterator_traitsISG_E10value_typeET2_T3_PNSH_ISM_E10value_typeET4_T5_PSR_SS_PNS1_23onesweep_lookback_stateEbbT6_jjT7_P12ihipStream_tbENKUlT_T0_SG_SL_E_clISA_SA_SB_SB_EEDaSZ_S10_SG_SL_EUlSZ_E_NS1_11comp_targetILNS1_3genE3ELNS1_11target_archE908ELNS1_3gpuE7ELNS1_3repE0EEENS1_47radix_sort_onesweep_sort_config_static_selectorELNS0_4arch9wavefront6targetE0EEEvSG_,"axG",@progbits,_ZN7rocprim17ROCPRIM_400000_NS6detail17trampoline_kernelINS0_14default_configENS1_35radix_sort_onesweep_config_selectorIbNS0_10empty_typeEEEZZNS1_29radix_sort_onesweep_iterationIS3_Lb0EPKbPbPS5_SB_mNS0_19identity_decomposerENS1_16block_id_wrapperIjLb0EEEEE10hipError_tT1_PNSt15iterator_traitsISG_E10value_typeET2_T3_PNSH_ISM_E10value_typeET4_T5_PSR_SS_PNS1_23onesweep_lookback_stateEbbT6_jjT7_P12ihipStream_tbENKUlT_T0_SG_SL_E_clISA_SA_SB_SB_EEDaSZ_S10_SG_SL_EUlSZ_E_NS1_11comp_targetILNS1_3genE3ELNS1_11target_archE908ELNS1_3gpuE7ELNS1_3repE0EEENS1_47radix_sort_onesweep_sort_config_static_selectorELNS0_4arch9wavefront6targetE0EEEvSG_,comdat
.Lfunc_end1884:
	.size	_ZN7rocprim17ROCPRIM_400000_NS6detail17trampoline_kernelINS0_14default_configENS1_35radix_sort_onesweep_config_selectorIbNS0_10empty_typeEEEZZNS1_29radix_sort_onesweep_iterationIS3_Lb0EPKbPbPS5_SB_mNS0_19identity_decomposerENS1_16block_id_wrapperIjLb0EEEEE10hipError_tT1_PNSt15iterator_traitsISG_E10value_typeET2_T3_PNSH_ISM_E10value_typeET4_T5_PSR_SS_PNS1_23onesweep_lookback_stateEbbT6_jjT7_P12ihipStream_tbENKUlT_T0_SG_SL_E_clISA_SA_SB_SB_EEDaSZ_S10_SG_SL_EUlSZ_E_NS1_11comp_targetILNS1_3genE3ELNS1_11target_archE908ELNS1_3gpuE7ELNS1_3repE0EEENS1_47radix_sort_onesweep_sort_config_static_selectorELNS0_4arch9wavefront6targetE0EEEvSG_, .Lfunc_end1884-_ZN7rocprim17ROCPRIM_400000_NS6detail17trampoline_kernelINS0_14default_configENS1_35radix_sort_onesweep_config_selectorIbNS0_10empty_typeEEEZZNS1_29radix_sort_onesweep_iterationIS3_Lb0EPKbPbPS5_SB_mNS0_19identity_decomposerENS1_16block_id_wrapperIjLb0EEEEE10hipError_tT1_PNSt15iterator_traitsISG_E10value_typeET2_T3_PNSH_ISM_E10value_typeET4_T5_PSR_SS_PNS1_23onesweep_lookback_stateEbbT6_jjT7_P12ihipStream_tbENKUlT_T0_SG_SL_E_clISA_SA_SB_SB_EEDaSZ_S10_SG_SL_EUlSZ_E_NS1_11comp_targetILNS1_3genE3ELNS1_11target_archE908ELNS1_3gpuE7ELNS1_3repE0EEENS1_47radix_sort_onesweep_sort_config_static_selectorELNS0_4arch9wavefront6targetE0EEEvSG_
                                        ; -- End function
	.set _ZN7rocprim17ROCPRIM_400000_NS6detail17trampoline_kernelINS0_14default_configENS1_35radix_sort_onesweep_config_selectorIbNS0_10empty_typeEEEZZNS1_29radix_sort_onesweep_iterationIS3_Lb0EPKbPbPS5_SB_mNS0_19identity_decomposerENS1_16block_id_wrapperIjLb0EEEEE10hipError_tT1_PNSt15iterator_traitsISG_E10value_typeET2_T3_PNSH_ISM_E10value_typeET4_T5_PSR_SS_PNS1_23onesweep_lookback_stateEbbT6_jjT7_P12ihipStream_tbENKUlT_T0_SG_SL_E_clISA_SA_SB_SB_EEDaSZ_S10_SG_SL_EUlSZ_E_NS1_11comp_targetILNS1_3genE3ELNS1_11target_archE908ELNS1_3gpuE7ELNS1_3repE0EEENS1_47radix_sort_onesweep_sort_config_static_selectorELNS0_4arch9wavefront6targetE0EEEvSG_.num_vgpr, 0
	.set _ZN7rocprim17ROCPRIM_400000_NS6detail17trampoline_kernelINS0_14default_configENS1_35radix_sort_onesweep_config_selectorIbNS0_10empty_typeEEEZZNS1_29radix_sort_onesweep_iterationIS3_Lb0EPKbPbPS5_SB_mNS0_19identity_decomposerENS1_16block_id_wrapperIjLb0EEEEE10hipError_tT1_PNSt15iterator_traitsISG_E10value_typeET2_T3_PNSH_ISM_E10value_typeET4_T5_PSR_SS_PNS1_23onesweep_lookback_stateEbbT6_jjT7_P12ihipStream_tbENKUlT_T0_SG_SL_E_clISA_SA_SB_SB_EEDaSZ_S10_SG_SL_EUlSZ_E_NS1_11comp_targetILNS1_3genE3ELNS1_11target_archE908ELNS1_3gpuE7ELNS1_3repE0EEENS1_47radix_sort_onesweep_sort_config_static_selectorELNS0_4arch9wavefront6targetE0EEEvSG_.num_agpr, 0
	.set _ZN7rocprim17ROCPRIM_400000_NS6detail17trampoline_kernelINS0_14default_configENS1_35radix_sort_onesweep_config_selectorIbNS0_10empty_typeEEEZZNS1_29radix_sort_onesweep_iterationIS3_Lb0EPKbPbPS5_SB_mNS0_19identity_decomposerENS1_16block_id_wrapperIjLb0EEEEE10hipError_tT1_PNSt15iterator_traitsISG_E10value_typeET2_T3_PNSH_ISM_E10value_typeET4_T5_PSR_SS_PNS1_23onesweep_lookback_stateEbbT6_jjT7_P12ihipStream_tbENKUlT_T0_SG_SL_E_clISA_SA_SB_SB_EEDaSZ_S10_SG_SL_EUlSZ_E_NS1_11comp_targetILNS1_3genE3ELNS1_11target_archE908ELNS1_3gpuE7ELNS1_3repE0EEENS1_47radix_sort_onesweep_sort_config_static_selectorELNS0_4arch9wavefront6targetE0EEEvSG_.numbered_sgpr, 0
	.set _ZN7rocprim17ROCPRIM_400000_NS6detail17trampoline_kernelINS0_14default_configENS1_35radix_sort_onesweep_config_selectorIbNS0_10empty_typeEEEZZNS1_29radix_sort_onesweep_iterationIS3_Lb0EPKbPbPS5_SB_mNS0_19identity_decomposerENS1_16block_id_wrapperIjLb0EEEEE10hipError_tT1_PNSt15iterator_traitsISG_E10value_typeET2_T3_PNSH_ISM_E10value_typeET4_T5_PSR_SS_PNS1_23onesweep_lookback_stateEbbT6_jjT7_P12ihipStream_tbENKUlT_T0_SG_SL_E_clISA_SA_SB_SB_EEDaSZ_S10_SG_SL_EUlSZ_E_NS1_11comp_targetILNS1_3genE3ELNS1_11target_archE908ELNS1_3gpuE7ELNS1_3repE0EEENS1_47radix_sort_onesweep_sort_config_static_selectorELNS0_4arch9wavefront6targetE0EEEvSG_.num_named_barrier, 0
	.set _ZN7rocprim17ROCPRIM_400000_NS6detail17trampoline_kernelINS0_14default_configENS1_35radix_sort_onesweep_config_selectorIbNS0_10empty_typeEEEZZNS1_29radix_sort_onesweep_iterationIS3_Lb0EPKbPbPS5_SB_mNS0_19identity_decomposerENS1_16block_id_wrapperIjLb0EEEEE10hipError_tT1_PNSt15iterator_traitsISG_E10value_typeET2_T3_PNSH_ISM_E10value_typeET4_T5_PSR_SS_PNS1_23onesweep_lookback_stateEbbT6_jjT7_P12ihipStream_tbENKUlT_T0_SG_SL_E_clISA_SA_SB_SB_EEDaSZ_S10_SG_SL_EUlSZ_E_NS1_11comp_targetILNS1_3genE3ELNS1_11target_archE908ELNS1_3gpuE7ELNS1_3repE0EEENS1_47radix_sort_onesweep_sort_config_static_selectorELNS0_4arch9wavefront6targetE0EEEvSG_.private_seg_size, 0
	.set _ZN7rocprim17ROCPRIM_400000_NS6detail17trampoline_kernelINS0_14default_configENS1_35radix_sort_onesweep_config_selectorIbNS0_10empty_typeEEEZZNS1_29radix_sort_onesweep_iterationIS3_Lb0EPKbPbPS5_SB_mNS0_19identity_decomposerENS1_16block_id_wrapperIjLb0EEEEE10hipError_tT1_PNSt15iterator_traitsISG_E10value_typeET2_T3_PNSH_ISM_E10value_typeET4_T5_PSR_SS_PNS1_23onesweep_lookback_stateEbbT6_jjT7_P12ihipStream_tbENKUlT_T0_SG_SL_E_clISA_SA_SB_SB_EEDaSZ_S10_SG_SL_EUlSZ_E_NS1_11comp_targetILNS1_3genE3ELNS1_11target_archE908ELNS1_3gpuE7ELNS1_3repE0EEENS1_47radix_sort_onesweep_sort_config_static_selectorELNS0_4arch9wavefront6targetE0EEEvSG_.uses_vcc, 0
	.set _ZN7rocprim17ROCPRIM_400000_NS6detail17trampoline_kernelINS0_14default_configENS1_35radix_sort_onesweep_config_selectorIbNS0_10empty_typeEEEZZNS1_29radix_sort_onesweep_iterationIS3_Lb0EPKbPbPS5_SB_mNS0_19identity_decomposerENS1_16block_id_wrapperIjLb0EEEEE10hipError_tT1_PNSt15iterator_traitsISG_E10value_typeET2_T3_PNSH_ISM_E10value_typeET4_T5_PSR_SS_PNS1_23onesweep_lookback_stateEbbT6_jjT7_P12ihipStream_tbENKUlT_T0_SG_SL_E_clISA_SA_SB_SB_EEDaSZ_S10_SG_SL_EUlSZ_E_NS1_11comp_targetILNS1_3genE3ELNS1_11target_archE908ELNS1_3gpuE7ELNS1_3repE0EEENS1_47radix_sort_onesweep_sort_config_static_selectorELNS0_4arch9wavefront6targetE0EEEvSG_.uses_flat_scratch, 0
	.set _ZN7rocprim17ROCPRIM_400000_NS6detail17trampoline_kernelINS0_14default_configENS1_35radix_sort_onesweep_config_selectorIbNS0_10empty_typeEEEZZNS1_29radix_sort_onesweep_iterationIS3_Lb0EPKbPbPS5_SB_mNS0_19identity_decomposerENS1_16block_id_wrapperIjLb0EEEEE10hipError_tT1_PNSt15iterator_traitsISG_E10value_typeET2_T3_PNSH_ISM_E10value_typeET4_T5_PSR_SS_PNS1_23onesweep_lookback_stateEbbT6_jjT7_P12ihipStream_tbENKUlT_T0_SG_SL_E_clISA_SA_SB_SB_EEDaSZ_S10_SG_SL_EUlSZ_E_NS1_11comp_targetILNS1_3genE3ELNS1_11target_archE908ELNS1_3gpuE7ELNS1_3repE0EEENS1_47radix_sort_onesweep_sort_config_static_selectorELNS0_4arch9wavefront6targetE0EEEvSG_.has_dyn_sized_stack, 0
	.set _ZN7rocprim17ROCPRIM_400000_NS6detail17trampoline_kernelINS0_14default_configENS1_35radix_sort_onesweep_config_selectorIbNS0_10empty_typeEEEZZNS1_29radix_sort_onesweep_iterationIS3_Lb0EPKbPbPS5_SB_mNS0_19identity_decomposerENS1_16block_id_wrapperIjLb0EEEEE10hipError_tT1_PNSt15iterator_traitsISG_E10value_typeET2_T3_PNSH_ISM_E10value_typeET4_T5_PSR_SS_PNS1_23onesweep_lookback_stateEbbT6_jjT7_P12ihipStream_tbENKUlT_T0_SG_SL_E_clISA_SA_SB_SB_EEDaSZ_S10_SG_SL_EUlSZ_E_NS1_11comp_targetILNS1_3genE3ELNS1_11target_archE908ELNS1_3gpuE7ELNS1_3repE0EEENS1_47radix_sort_onesweep_sort_config_static_selectorELNS0_4arch9wavefront6targetE0EEEvSG_.has_recursion, 0
	.set _ZN7rocprim17ROCPRIM_400000_NS6detail17trampoline_kernelINS0_14default_configENS1_35radix_sort_onesweep_config_selectorIbNS0_10empty_typeEEEZZNS1_29radix_sort_onesweep_iterationIS3_Lb0EPKbPbPS5_SB_mNS0_19identity_decomposerENS1_16block_id_wrapperIjLb0EEEEE10hipError_tT1_PNSt15iterator_traitsISG_E10value_typeET2_T3_PNSH_ISM_E10value_typeET4_T5_PSR_SS_PNS1_23onesweep_lookback_stateEbbT6_jjT7_P12ihipStream_tbENKUlT_T0_SG_SL_E_clISA_SA_SB_SB_EEDaSZ_S10_SG_SL_EUlSZ_E_NS1_11comp_targetILNS1_3genE3ELNS1_11target_archE908ELNS1_3gpuE7ELNS1_3repE0EEENS1_47radix_sort_onesweep_sort_config_static_selectorELNS0_4arch9wavefront6targetE0EEEvSG_.has_indirect_call, 0
	.section	.AMDGPU.csdata,"",@progbits
; Kernel info:
; codeLenInByte = 0
; TotalNumSgprs: 0
; NumVgprs: 0
; ScratchSize: 0
; MemoryBound: 0
; FloatMode: 240
; IeeeMode: 1
; LDSByteSize: 0 bytes/workgroup (compile time only)
; SGPRBlocks: 0
; VGPRBlocks: 0
; NumSGPRsForWavesPerEU: 1
; NumVGPRsForWavesPerEU: 1
; NamedBarCnt: 0
; Occupancy: 16
; WaveLimiterHint : 0
; COMPUTE_PGM_RSRC2:SCRATCH_EN: 0
; COMPUTE_PGM_RSRC2:USER_SGPR: 2
; COMPUTE_PGM_RSRC2:TRAP_HANDLER: 0
; COMPUTE_PGM_RSRC2:TGID_X_EN: 1
; COMPUTE_PGM_RSRC2:TGID_Y_EN: 0
; COMPUTE_PGM_RSRC2:TGID_Z_EN: 0
; COMPUTE_PGM_RSRC2:TIDIG_COMP_CNT: 0
	.section	.text._ZN7rocprim17ROCPRIM_400000_NS6detail17trampoline_kernelINS0_14default_configENS1_35radix_sort_onesweep_config_selectorIbNS0_10empty_typeEEEZZNS1_29radix_sort_onesweep_iterationIS3_Lb0EPKbPbPS5_SB_mNS0_19identity_decomposerENS1_16block_id_wrapperIjLb0EEEEE10hipError_tT1_PNSt15iterator_traitsISG_E10value_typeET2_T3_PNSH_ISM_E10value_typeET4_T5_PSR_SS_PNS1_23onesweep_lookback_stateEbbT6_jjT7_P12ihipStream_tbENKUlT_T0_SG_SL_E_clISA_SA_SB_SB_EEDaSZ_S10_SG_SL_EUlSZ_E_NS1_11comp_targetILNS1_3genE10ELNS1_11target_archE1201ELNS1_3gpuE5ELNS1_3repE0EEENS1_47radix_sort_onesweep_sort_config_static_selectorELNS0_4arch9wavefront6targetE0EEEvSG_,"axG",@progbits,_ZN7rocprim17ROCPRIM_400000_NS6detail17trampoline_kernelINS0_14default_configENS1_35radix_sort_onesweep_config_selectorIbNS0_10empty_typeEEEZZNS1_29radix_sort_onesweep_iterationIS3_Lb0EPKbPbPS5_SB_mNS0_19identity_decomposerENS1_16block_id_wrapperIjLb0EEEEE10hipError_tT1_PNSt15iterator_traitsISG_E10value_typeET2_T3_PNSH_ISM_E10value_typeET4_T5_PSR_SS_PNS1_23onesweep_lookback_stateEbbT6_jjT7_P12ihipStream_tbENKUlT_T0_SG_SL_E_clISA_SA_SB_SB_EEDaSZ_S10_SG_SL_EUlSZ_E_NS1_11comp_targetILNS1_3genE10ELNS1_11target_archE1201ELNS1_3gpuE5ELNS1_3repE0EEENS1_47radix_sort_onesweep_sort_config_static_selectorELNS0_4arch9wavefront6targetE0EEEvSG_,comdat
	.protected	_ZN7rocprim17ROCPRIM_400000_NS6detail17trampoline_kernelINS0_14default_configENS1_35radix_sort_onesweep_config_selectorIbNS0_10empty_typeEEEZZNS1_29radix_sort_onesweep_iterationIS3_Lb0EPKbPbPS5_SB_mNS0_19identity_decomposerENS1_16block_id_wrapperIjLb0EEEEE10hipError_tT1_PNSt15iterator_traitsISG_E10value_typeET2_T3_PNSH_ISM_E10value_typeET4_T5_PSR_SS_PNS1_23onesweep_lookback_stateEbbT6_jjT7_P12ihipStream_tbENKUlT_T0_SG_SL_E_clISA_SA_SB_SB_EEDaSZ_S10_SG_SL_EUlSZ_E_NS1_11comp_targetILNS1_3genE10ELNS1_11target_archE1201ELNS1_3gpuE5ELNS1_3repE0EEENS1_47radix_sort_onesweep_sort_config_static_selectorELNS0_4arch9wavefront6targetE0EEEvSG_ ; -- Begin function _ZN7rocprim17ROCPRIM_400000_NS6detail17trampoline_kernelINS0_14default_configENS1_35radix_sort_onesweep_config_selectorIbNS0_10empty_typeEEEZZNS1_29radix_sort_onesweep_iterationIS3_Lb0EPKbPbPS5_SB_mNS0_19identity_decomposerENS1_16block_id_wrapperIjLb0EEEEE10hipError_tT1_PNSt15iterator_traitsISG_E10value_typeET2_T3_PNSH_ISM_E10value_typeET4_T5_PSR_SS_PNS1_23onesweep_lookback_stateEbbT6_jjT7_P12ihipStream_tbENKUlT_T0_SG_SL_E_clISA_SA_SB_SB_EEDaSZ_S10_SG_SL_EUlSZ_E_NS1_11comp_targetILNS1_3genE10ELNS1_11target_archE1201ELNS1_3gpuE5ELNS1_3repE0EEENS1_47radix_sort_onesweep_sort_config_static_selectorELNS0_4arch9wavefront6targetE0EEEvSG_
	.globl	_ZN7rocprim17ROCPRIM_400000_NS6detail17trampoline_kernelINS0_14default_configENS1_35radix_sort_onesweep_config_selectorIbNS0_10empty_typeEEEZZNS1_29radix_sort_onesweep_iterationIS3_Lb0EPKbPbPS5_SB_mNS0_19identity_decomposerENS1_16block_id_wrapperIjLb0EEEEE10hipError_tT1_PNSt15iterator_traitsISG_E10value_typeET2_T3_PNSH_ISM_E10value_typeET4_T5_PSR_SS_PNS1_23onesweep_lookback_stateEbbT6_jjT7_P12ihipStream_tbENKUlT_T0_SG_SL_E_clISA_SA_SB_SB_EEDaSZ_S10_SG_SL_EUlSZ_E_NS1_11comp_targetILNS1_3genE10ELNS1_11target_archE1201ELNS1_3gpuE5ELNS1_3repE0EEENS1_47radix_sort_onesweep_sort_config_static_selectorELNS0_4arch9wavefront6targetE0EEEvSG_
	.p2align	8
	.type	_ZN7rocprim17ROCPRIM_400000_NS6detail17trampoline_kernelINS0_14default_configENS1_35radix_sort_onesweep_config_selectorIbNS0_10empty_typeEEEZZNS1_29radix_sort_onesweep_iterationIS3_Lb0EPKbPbPS5_SB_mNS0_19identity_decomposerENS1_16block_id_wrapperIjLb0EEEEE10hipError_tT1_PNSt15iterator_traitsISG_E10value_typeET2_T3_PNSH_ISM_E10value_typeET4_T5_PSR_SS_PNS1_23onesweep_lookback_stateEbbT6_jjT7_P12ihipStream_tbENKUlT_T0_SG_SL_E_clISA_SA_SB_SB_EEDaSZ_S10_SG_SL_EUlSZ_E_NS1_11comp_targetILNS1_3genE10ELNS1_11target_archE1201ELNS1_3gpuE5ELNS1_3repE0EEENS1_47radix_sort_onesweep_sort_config_static_selectorELNS0_4arch9wavefront6targetE0EEEvSG_,@function
_ZN7rocprim17ROCPRIM_400000_NS6detail17trampoline_kernelINS0_14default_configENS1_35radix_sort_onesweep_config_selectorIbNS0_10empty_typeEEEZZNS1_29radix_sort_onesweep_iterationIS3_Lb0EPKbPbPS5_SB_mNS0_19identity_decomposerENS1_16block_id_wrapperIjLb0EEEEE10hipError_tT1_PNSt15iterator_traitsISG_E10value_typeET2_T3_PNSH_ISM_E10value_typeET4_T5_PSR_SS_PNS1_23onesweep_lookback_stateEbbT6_jjT7_P12ihipStream_tbENKUlT_T0_SG_SL_E_clISA_SA_SB_SB_EEDaSZ_S10_SG_SL_EUlSZ_E_NS1_11comp_targetILNS1_3genE10ELNS1_11target_archE1201ELNS1_3gpuE5ELNS1_3repE0EEENS1_47radix_sort_onesweep_sort_config_static_selectorELNS0_4arch9wavefront6targetE0EEEvSG_: ; @_ZN7rocprim17ROCPRIM_400000_NS6detail17trampoline_kernelINS0_14default_configENS1_35radix_sort_onesweep_config_selectorIbNS0_10empty_typeEEEZZNS1_29radix_sort_onesweep_iterationIS3_Lb0EPKbPbPS5_SB_mNS0_19identity_decomposerENS1_16block_id_wrapperIjLb0EEEEE10hipError_tT1_PNSt15iterator_traitsISG_E10value_typeET2_T3_PNSH_ISM_E10value_typeET4_T5_PSR_SS_PNS1_23onesweep_lookback_stateEbbT6_jjT7_P12ihipStream_tbENKUlT_T0_SG_SL_E_clISA_SA_SB_SB_EEDaSZ_S10_SG_SL_EUlSZ_E_NS1_11comp_targetILNS1_3genE10ELNS1_11target_archE1201ELNS1_3gpuE5ELNS1_3repE0EEENS1_47radix_sort_onesweep_sort_config_static_selectorELNS0_4arch9wavefront6targetE0EEEvSG_
; %bb.0:
	.section	.rodata,"a",@progbits
	.p2align	6, 0x0
	.amdhsa_kernel _ZN7rocprim17ROCPRIM_400000_NS6detail17trampoline_kernelINS0_14default_configENS1_35radix_sort_onesweep_config_selectorIbNS0_10empty_typeEEEZZNS1_29radix_sort_onesweep_iterationIS3_Lb0EPKbPbPS5_SB_mNS0_19identity_decomposerENS1_16block_id_wrapperIjLb0EEEEE10hipError_tT1_PNSt15iterator_traitsISG_E10value_typeET2_T3_PNSH_ISM_E10value_typeET4_T5_PSR_SS_PNS1_23onesweep_lookback_stateEbbT6_jjT7_P12ihipStream_tbENKUlT_T0_SG_SL_E_clISA_SA_SB_SB_EEDaSZ_S10_SG_SL_EUlSZ_E_NS1_11comp_targetILNS1_3genE10ELNS1_11target_archE1201ELNS1_3gpuE5ELNS1_3repE0EEENS1_47radix_sort_onesweep_sort_config_static_selectorELNS0_4arch9wavefront6targetE0EEEvSG_
		.amdhsa_group_segment_fixed_size 0
		.amdhsa_private_segment_fixed_size 0
		.amdhsa_kernarg_size 88
		.amdhsa_user_sgpr_count 2
		.amdhsa_user_sgpr_dispatch_ptr 0
		.amdhsa_user_sgpr_queue_ptr 0
		.amdhsa_user_sgpr_kernarg_segment_ptr 1
		.amdhsa_user_sgpr_dispatch_id 0
		.amdhsa_user_sgpr_kernarg_preload_length 0
		.amdhsa_user_sgpr_kernarg_preload_offset 0
		.amdhsa_user_sgpr_private_segment_size 0
		.amdhsa_wavefront_size32 1
		.amdhsa_uses_dynamic_stack 0
		.amdhsa_enable_private_segment 0
		.amdhsa_system_sgpr_workgroup_id_x 1
		.amdhsa_system_sgpr_workgroup_id_y 0
		.amdhsa_system_sgpr_workgroup_id_z 0
		.amdhsa_system_sgpr_workgroup_info 0
		.amdhsa_system_vgpr_workitem_id 0
		.amdhsa_next_free_vgpr 1
		.amdhsa_next_free_sgpr 1
		.amdhsa_named_barrier_count 0
		.amdhsa_reserve_vcc 0
		.amdhsa_float_round_mode_32 0
		.amdhsa_float_round_mode_16_64 0
		.amdhsa_float_denorm_mode_32 3
		.amdhsa_float_denorm_mode_16_64 3
		.amdhsa_fp16_overflow 0
		.amdhsa_memory_ordered 1
		.amdhsa_forward_progress 1
		.amdhsa_inst_pref_size 0
		.amdhsa_round_robin_scheduling 0
		.amdhsa_exception_fp_ieee_invalid_op 0
		.amdhsa_exception_fp_denorm_src 0
		.amdhsa_exception_fp_ieee_div_zero 0
		.amdhsa_exception_fp_ieee_overflow 0
		.amdhsa_exception_fp_ieee_underflow 0
		.amdhsa_exception_fp_ieee_inexact 0
		.amdhsa_exception_int_div_zero 0
	.end_amdhsa_kernel
	.section	.text._ZN7rocprim17ROCPRIM_400000_NS6detail17trampoline_kernelINS0_14default_configENS1_35radix_sort_onesweep_config_selectorIbNS0_10empty_typeEEEZZNS1_29radix_sort_onesweep_iterationIS3_Lb0EPKbPbPS5_SB_mNS0_19identity_decomposerENS1_16block_id_wrapperIjLb0EEEEE10hipError_tT1_PNSt15iterator_traitsISG_E10value_typeET2_T3_PNSH_ISM_E10value_typeET4_T5_PSR_SS_PNS1_23onesweep_lookback_stateEbbT6_jjT7_P12ihipStream_tbENKUlT_T0_SG_SL_E_clISA_SA_SB_SB_EEDaSZ_S10_SG_SL_EUlSZ_E_NS1_11comp_targetILNS1_3genE10ELNS1_11target_archE1201ELNS1_3gpuE5ELNS1_3repE0EEENS1_47radix_sort_onesweep_sort_config_static_selectorELNS0_4arch9wavefront6targetE0EEEvSG_,"axG",@progbits,_ZN7rocprim17ROCPRIM_400000_NS6detail17trampoline_kernelINS0_14default_configENS1_35radix_sort_onesweep_config_selectorIbNS0_10empty_typeEEEZZNS1_29radix_sort_onesweep_iterationIS3_Lb0EPKbPbPS5_SB_mNS0_19identity_decomposerENS1_16block_id_wrapperIjLb0EEEEE10hipError_tT1_PNSt15iterator_traitsISG_E10value_typeET2_T3_PNSH_ISM_E10value_typeET4_T5_PSR_SS_PNS1_23onesweep_lookback_stateEbbT6_jjT7_P12ihipStream_tbENKUlT_T0_SG_SL_E_clISA_SA_SB_SB_EEDaSZ_S10_SG_SL_EUlSZ_E_NS1_11comp_targetILNS1_3genE10ELNS1_11target_archE1201ELNS1_3gpuE5ELNS1_3repE0EEENS1_47radix_sort_onesweep_sort_config_static_selectorELNS0_4arch9wavefront6targetE0EEEvSG_,comdat
.Lfunc_end1885:
	.size	_ZN7rocprim17ROCPRIM_400000_NS6detail17trampoline_kernelINS0_14default_configENS1_35radix_sort_onesweep_config_selectorIbNS0_10empty_typeEEEZZNS1_29radix_sort_onesweep_iterationIS3_Lb0EPKbPbPS5_SB_mNS0_19identity_decomposerENS1_16block_id_wrapperIjLb0EEEEE10hipError_tT1_PNSt15iterator_traitsISG_E10value_typeET2_T3_PNSH_ISM_E10value_typeET4_T5_PSR_SS_PNS1_23onesweep_lookback_stateEbbT6_jjT7_P12ihipStream_tbENKUlT_T0_SG_SL_E_clISA_SA_SB_SB_EEDaSZ_S10_SG_SL_EUlSZ_E_NS1_11comp_targetILNS1_3genE10ELNS1_11target_archE1201ELNS1_3gpuE5ELNS1_3repE0EEENS1_47radix_sort_onesweep_sort_config_static_selectorELNS0_4arch9wavefront6targetE0EEEvSG_, .Lfunc_end1885-_ZN7rocprim17ROCPRIM_400000_NS6detail17trampoline_kernelINS0_14default_configENS1_35radix_sort_onesweep_config_selectorIbNS0_10empty_typeEEEZZNS1_29radix_sort_onesweep_iterationIS3_Lb0EPKbPbPS5_SB_mNS0_19identity_decomposerENS1_16block_id_wrapperIjLb0EEEEE10hipError_tT1_PNSt15iterator_traitsISG_E10value_typeET2_T3_PNSH_ISM_E10value_typeET4_T5_PSR_SS_PNS1_23onesweep_lookback_stateEbbT6_jjT7_P12ihipStream_tbENKUlT_T0_SG_SL_E_clISA_SA_SB_SB_EEDaSZ_S10_SG_SL_EUlSZ_E_NS1_11comp_targetILNS1_3genE10ELNS1_11target_archE1201ELNS1_3gpuE5ELNS1_3repE0EEENS1_47radix_sort_onesweep_sort_config_static_selectorELNS0_4arch9wavefront6targetE0EEEvSG_
                                        ; -- End function
	.set _ZN7rocprim17ROCPRIM_400000_NS6detail17trampoline_kernelINS0_14default_configENS1_35radix_sort_onesweep_config_selectorIbNS0_10empty_typeEEEZZNS1_29radix_sort_onesweep_iterationIS3_Lb0EPKbPbPS5_SB_mNS0_19identity_decomposerENS1_16block_id_wrapperIjLb0EEEEE10hipError_tT1_PNSt15iterator_traitsISG_E10value_typeET2_T3_PNSH_ISM_E10value_typeET4_T5_PSR_SS_PNS1_23onesweep_lookback_stateEbbT6_jjT7_P12ihipStream_tbENKUlT_T0_SG_SL_E_clISA_SA_SB_SB_EEDaSZ_S10_SG_SL_EUlSZ_E_NS1_11comp_targetILNS1_3genE10ELNS1_11target_archE1201ELNS1_3gpuE5ELNS1_3repE0EEENS1_47radix_sort_onesweep_sort_config_static_selectorELNS0_4arch9wavefront6targetE0EEEvSG_.num_vgpr, 0
	.set _ZN7rocprim17ROCPRIM_400000_NS6detail17trampoline_kernelINS0_14default_configENS1_35radix_sort_onesweep_config_selectorIbNS0_10empty_typeEEEZZNS1_29radix_sort_onesweep_iterationIS3_Lb0EPKbPbPS5_SB_mNS0_19identity_decomposerENS1_16block_id_wrapperIjLb0EEEEE10hipError_tT1_PNSt15iterator_traitsISG_E10value_typeET2_T3_PNSH_ISM_E10value_typeET4_T5_PSR_SS_PNS1_23onesweep_lookback_stateEbbT6_jjT7_P12ihipStream_tbENKUlT_T0_SG_SL_E_clISA_SA_SB_SB_EEDaSZ_S10_SG_SL_EUlSZ_E_NS1_11comp_targetILNS1_3genE10ELNS1_11target_archE1201ELNS1_3gpuE5ELNS1_3repE0EEENS1_47radix_sort_onesweep_sort_config_static_selectorELNS0_4arch9wavefront6targetE0EEEvSG_.num_agpr, 0
	.set _ZN7rocprim17ROCPRIM_400000_NS6detail17trampoline_kernelINS0_14default_configENS1_35radix_sort_onesweep_config_selectorIbNS0_10empty_typeEEEZZNS1_29radix_sort_onesweep_iterationIS3_Lb0EPKbPbPS5_SB_mNS0_19identity_decomposerENS1_16block_id_wrapperIjLb0EEEEE10hipError_tT1_PNSt15iterator_traitsISG_E10value_typeET2_T3_PNSH_ISM_E10value_typeET4_T5_PSR_SS_PNS1_23onesweep_lookback_stateEbbT6_jjT7_P12ihipStream_tbENKUlT_T0_SG_SL_E_clISA_SA_SB_SB_EEDaSZ_S10_SG_SL_EUlSZ_E_NS1_11comp_targetILNS1_3genE10ELNS1_11target_archE1201ELNS1_3gpuE5ELNS1_3repE0EEENS1_47radix_sort_onesweep_sort_config_static_selectorELNS0_4arch9wavefront6targetE0EEEvSG_.numbered_sgpr, 0
	.set _ZN7rocprim17ROCPRIM_400000_NS6detail17trampoline_kernelINS0_14default_configENS1_35radix_sort_onesweep_config_selectorIbNS0_10empty_typeEEEZZNS1_29radix_sort_onesweep_iterationIS3_Lb0EPKbPbPS5_SB_mNS0_19identity_decomposerENS1_16block_id_wrapperIjLb0EEEEE10hipError_tT1_PNSt15iterator_traitsISG_E10value_typeET2_T3_PNSH_ISM_E10value_typeET4_T5_PSR_SS_PNS1_23onesweep_lookback_stateEbbT6_jjT7_P12ihipStream_tbENKUlT_T0_SG_SL_E_clISA_SA_SB_SB_EEDaSZ_S10_SG_SL_EUlSZ_E_NS1_11comp_targetILNS1_3genE10ELNS1_11target_archE1201ELNS1_3gpuE5ELNS1_3repE0EEENS1_47radix_sort_onesweep_sort_config_static_selectorELNS0_4arch9wavefront6targetE0EEEvSG_.num_named_barrier, 0
	.set _ZN7rocprim17ROCPRIM_400000_NS6detail17trampoline_kernelINS0_14default_configENS1_35radix_sort_onesweep_config_selectorIbNS0_10empty_typeEEEZZNS1_29radix_sort_onesweep_iterationIS3_Lb0EPKbPbPS5_SB_mNS0_19identity_decomposerENS1_16block_id_wrapperIjLb0EEEEE10hipError_tT1_PNSt15iterator_traitsISG_E10value_typeET2_T3_PNSH_ISM_E10value_typeET4_T5_PSR_SS_PNS1_23onesweep_lookback_stateEbbT6_jjT7_P12ihipStream_tbENKUlT_T0_SG_SL_E_clISA_SA_SB_SB_EEDaSZ_S10_SG_SL_EUlSZ_E_NS1_11comp_targetILNS1_3genE10ELNS1_11target_archE1201ELNS1_3gpuE5ELNS1_3repE0EEENS1_47radix_sort_onesweep_sort_config_static_selectorELNS0_4arch9wavefront6targetE0EEEvSG_.private_seg_size, 0
	.set _ZN7rocprim17ROCPRIM_400000_NS6detail17trampoline_kernelINS0_14default_configENS1_35radix_sort_onesweep_config_selectorIbNS0_10empty_typeEEEZZNS1_29radix_sort_onesweep_iterationIS3_Lb0EPKbPbPS5_SB_mNS0_19identity_decomposerENS1_16block_id_wrapperIjLb0EEEEE10hipError_tT1_PNSt15iterator_traitsISG_E10value_typeET2_T3_PNSH_ISM_E10value_typeET4_T5_PSR_SS_PNS1_23onesweep_lookback_stateEbbT6_jjT7_P12ihipStream_tbENKUlT_T0_SG_SL_E_clISA_SA_SB_SB_EEDaSZ_S10_SG_SL_EUlSZ_E_NS1_11comp_targetILNS1_3genE10ELNS1_11target_archE1201ELNS1_3gpuE5ELNS1_3repE0EEENS1_47radix_sort_onesweep_sort_config_static_selectorELNS0_4arch9wavefront6targetE0EEEvSG_.uses_vcc, 0
	.set _ZN7rocprim17ROCPRIM_400000_NS6detail17trampoline_kernelINS0_14default_configENS1_35radix_sort_onesweep_config_selectorIbNS0_10empty_typeEEEZZNS1_29radix_sort_onesweep_iterationIS3_Lb0EPKbPbPS5_SB_mNS0_19identity_decomposerENS1_16block_id_wrapperIjLb0EEEEE10hipError_tT1_PNSt15iterator_traitsISG_E10value_typeET2_T3_PNSH_ISM_E10value_typeET4_T5_PSR_SS_PNS1_23onesweep_lookback_stateEbbT6_jjT7_P12ihipStream_tbENKUlT_T0_SG_SL_E_clISA_SA_SB_SB_EEDaSZ_S10_SG_SL_EUlSZ_E_NS1_11comp_targetILNS1_3genE10ELNS1_11target_archE1201ELNS1_3gpuE5ELNS1_3repE0EEENS1_47radix_sort_onesweep_sort_config_static_selectorELNS0_4arch9wavefront6targetE0EEEvSG_.uses_flat_scratch, 0
	.set _ZN7rocprim17ROCPRIM_400000_NS6detail17trampoline_kernelINS0_14default_configENS1_35radix_sort_onesweep_config_selectorIbNS0_10empty_typeEEEZZNS1_29radix_sort_onesweep_iterationIS3_Lb0EPKbPbPS5_SB_mNS0_19identity_decomposerENS1_16block_id_wrapperIjLb0EEEEE10hipError_tT1_PNSt15iterator_traitsISG_E10value_typeET2_T3_PNSH_ISM_E10value_typeET4_T5_PSR_SS_PNS1_23onesweep_lookback_stateEbbT6_jjT7_P12ihipStream_tbENKUlT_T0_SG_SL_E_clISA_SA_SB_SB_EEDaSZ_S10_SG_SL_EUlSZ_E_NS1_11comp_targetILNS1_3genE10ELNS1_11target_archE1201ELNS1_3gpuE5ELNS1_3repE0EEENS1_47radix_sort_onesweep_sort_config_static_selectorELNS0_4arch9wavefront6targetE0EEEvSG_.has_dyn_sized_stack, 0
	.set _ZN7rocprim17ROCPRIM_400000_NS6detail17trampoline_kernelINS0_14default_configENS1_35radix_sort_onesweep_config_selectorIbNS0_10empty_typeEEEZZNS1_29radix_sort_onesweep_iterationIS3_Lb0EPKbPbPS5_SB_mNS0_19identity_decomposerENS1_16block_id_wrapperIjLb0EEEEE10hipError_tT1_PNSt15iterator_traitsISG_E10value_typeET2_T3_PNSH_ISM_E10value_typeET4_T5_PSR_SS_PNS1_23onesweep_lookback_stateEbbT6_jjT7_P12ihipStream_tbENKUlT_T0_SG_SL_E_clISA_SA_SB_SB_EEDaSZ_S10_SG_SL_EUlSZ_E_NS1_11comp_targetILNS1_3genE10ELNS1_11target_archE1201ELNS1_3gpuE5ELNS1_3repE0EEENS1_47radix_sort_onesweep_sort_config_static_selectorELNS0_4arch9wavefront6targetE0EEEvSG_.has_recursion, 0
	.set _ZN7rocprim17ROCPRIM_400000_NS6detail17trampoline_kernelINS0_14default_configENS1_35radix_sort_onesweep_config_selectorIbNS0_10empty_typeEEEZZNS1_29radix_sort_onesweep_iterationIS3_Lb0EPKbPbPS5_SB_mNS0_19identity_decomposerENS1_16block_id_wrapperIjLb0EEEEE10hipError_tT1_PNSt15iterator_traitsISG_E10value_typeET2_T3_PNSH_ISM_E10value_typeET4_T5_PSR_SS_PNS1_23onesweep_lookback_stateEbbT6_jjT7_P12ihipStream_tbENKUlT_T0_SG_SL_E_clISA_SA_SB_SB_EEDaSZ_S10_SG_SL_EUlSZ_E_NS1_11comp_targetILNS1_3genE10ELNS1_11target_archE1201ELNS1_3gpuE5ELNS1_3repE0EEENS1_47radix_sort_onesweep_sort_config_static_selectorELNS0_4arch9wavefront6targetE0EEEvSG_.has_indirect_call, 0
	.section	.AMDGPU.csdata,"",@progbits
; Kernel info:
; codeLenInByte = 0
; TotalNumSgprs: 0
; NumVgprs: 0
; ScratchSize: 0
; MemoryBound: 0
; FloatMode: 240
; IeeeMode: 1
; LDSByteSize: 0 bytes/workgroup (compile time only)
; SGPRBlocks: 0
; VGPRBlocks: 0
; NumSGPRsForWavesPerEU: 1
; NumVGPRsForWavesPerEU: 1
; NamedBarCnt: 0
; Occupancy: 16
; WaveLimiterHint : 0
; COMPUTE_PGM_RSRC2:SCRATCH_EN: 0
; COMPUTE_PGM_RSRC2:USER_SGPR: 2
; COMPUTE_PGM_RSRC2:TRAP_HANDLER: 0
; COMPUTE_PGM_RSRC2:TGID_X_EN: 1
; COMPUTE_PGM_RSRC2:TGID_Y_EN: 0
; COMPUTE_PGM_RSRC2:TGID_Z_EN: 0
; COMPUTE_PGM_RSRC2:TIDIG_COMP_CNT: 0
	.section	.text._ZN7rocprim17ROCPRIM_400000_NS6detail17trampoline_kernelINS0_14default_configENS1_35radix_sort_onesweep_config_selectorIbNS0_10empty_typeEEEZZNS1_29radix_sort_onesweep_iterationIS3_Lb0EPKbPbPS5_SB_mNS0_19identity_decomposerENS1_16block_id_wrapperIjLb0EEEEE10hipError_tT1_PNSt15iterator_traitsISG_E10value_typeET2_T3_PNSH_ISM_E10value_typeET4_T5_PSR_SS_PNS1_23onesweep_lookback_stateEbbT6_jjT7_P12ihipStream_tbENKUlT_T0_SG_SL_E_clISA_SA_SB_SB_EEDaSZ_S10_SG_SL_EUlSZ_E_NS1_11comp_targetILNS1_3genE9ELNS1_11target_archE1100ELNS1_3gpuE3ELNS1_3repE0EEENS1_47radix_sort_onesweep_sort_config_static_selectorELNS0_4arch9wavefront6targetE0EEEvSG_,"axG",@progbits,_ZN7rocprim17ROCPRIM_400000_NS6detail17trampoline_kernelINS0_14default_configENS1_35radix_sort_onesweep_config_selectorIbNS0_10empty_typeEEEZZNS1_29radix_sort_onesweep_iterationIS3_Lb0EPKbPbPS5_SB_mNS0_19identity_decomposerENS1_16block_id_wrapperIjLb0EEEEE10hipError_tT1_PNSt15iterator_traitsISG_E10value_typeET2_T3_PNSH_ISM_E10value_typeET4_T5_PSR_SS_PNS1_23onesweep_lookback_stateEbbT6_jjT7_P12ihipStream_tbENKUlT_T0_SG_SL_E_clISA_SA_SB_SB_EEDaSZ_S10_SG_SL_EUlSZ_E_NS1_11comp_targetILNS1_3genE9ELNS1_11target_archE1100ELNS1_3gpuE3ELNS1_3repE0EEENS1_47radix_sort_onesweep_sort_config_static_selectorELNS0_4arch9wavefront6targetE0EEEvSG_,comdat
	.protected	_ZN7rocprim17ROCPRIM_400000_NS6detail17trampoline_kernelINS0_14default_configENS1_35radix_sort_onesweep_config_selectorIbNS0_10empty_typeEEEZZNS1_29radix_sort_onesweep_iterationIS3_Lb0EPKbPbPS5_SB_mNS0_19identity_decomposerENS1_16block_id_wrapperIjLb0EEEEE10hipError_tT1_PNSt15iterator_traitsISG_E10value_typeET2_T3_PNSH_ISM_E10value_typeET4_T5_PSR_SS_PNS1_23onesweep_lookback_stateEbbT6_jjT7_P12ihipStream_tbENKUlT_T0_SG_SL_E_clISA_SA_SB_SB_EEDaSZ_S10_SG_SL_EUlSZ_E_NS1_11comp_targetILNS1_3genE9ELNS1_11target_archE1100ELNS1_3gpuE3ELNS1_3repE0EEENS1_47radix_sort_onesweep_sort_config_static_selectorELNS0_4arch9wavefront6targetE0EEEvSG_ ; -- Begin function _ZN7rocprim17ROCPRIM_400000_NS6detail17trampoline_kernelINS0_14default_configENS1_35radix_sort_onesweep_config_selectorIbNS0_10empty_typeEEEZZNS1_29radix_sort_onesweep_iterationIS3_Lb0EPKbPbPS5_SB_mNS0_19identity_decomposerENS1_16block_id_wrapperIjLb0EEEEE10hipError_tT1_PNSt15iterator_traitsISG_E10value_typeET2_T3_PNSH_ISM_E10value_typeET4_T5_PSR_SS_PNS1_23onesweep_lookback_stateEbbT6_jjT7_P12ihipStream_tbENKUlT_T0_SG_SL_E_clISA_SA_SB_SB_EEDaSZ_S10_SG_SL_EUlSZ_E_NS1_11comp_targetILNS1_3genE9ELNS1_11target_archE1100ELNS1_3gpuE3ELNS1_3repE0EEENS1_47radix_sort_onesweep_sort_config_static_selectorELNS0_4arch9wavefront6targetE0EEEvSG_
	.globl	_ZN7rocprim17ROCPRIM_400000_NS6detail17trampoline_kernelINS0_14default_configENS1_35radix_sort_onesweep_config_selectorIbNS0_10empty_typeEEEZZNS1_29radix_sort_onesweep_iterationIS3_Lb0EPKbPbPS5_SB_mNS0_19identity_decomposerENS1_16block_id_wrapperIjLb0EEEEE10hipError_tT1_PNSt15iterator_traitsISG_E10value_typeET2_T3_PNSH_ISM_E10value_typeET4_T5_PSR_SS_PNS1_23onesweep_lookback_stateEbbT6_jjT7_P12ihipStream_tbENKUlT_T0_SG_SL_E_clISA_SA_SB_SB_EEDaSZ_S10_SG_SL_EUlSZ_E_NS1_11comp_targetILNS1_3genE9ELNS1_11target_archE1100ELNS1_3gpuE3ELNS1_3repE0EEENS1_47radix_sort_onesweep_sort_config_static_selectorELNS0_4arch9wavefront6targetE0EEEvSG_
	.p2align	8
	.type	_ZN7rocprim17ROCPRIM_400000_NS6detail17trampoline_kernelINS0_14default_configENS1_35radix_sort_onesweep_config_selectorIbNS0_10empty_typeEEEZZNS1_29radix_sort_onesweep_iterationIS3_Lb0EPKbPbPS5_SB_mNS0_19identity_decomposerENS1_16block_id_wrapperIjLb0EEEEE10hipError_tT1_PNSt15iterator_traitsISG_E10value_typeET2_T3_PNSH_ISM_E10value_typeET4_T5_PSR_SS_PNS1_23onesweep_lookback_stateEbbT6_jjT7_P12ihipStream_tbENKUlT_T0_SG_SL_E_clISA_SA_SB_SB_EEDaSZ_S10_SG_SL_EUlSZ_E_NS1_11comp_targetILNS1_3genE9ELNS1_11target_archE1100ELNS1_3gpuE3ELNS1_3repE0EEENS1_47radix_sort_onesweep_sort_config_static_selectorELNS0_4arch9wavefront6targetE0EEEvSG_,@function
_ZN7rocprim17ROCPRIM_400000_NS6detail17trampoline_kernelINS0_14default_configENS1_35radix_sort_onesweep_config_selectorIbNS0_10empty_typeEEEZZNS1_29radix_sort_onesweep_iterationIS3_Lb0EPKbPbPS5_SB_mNS0_19identity_decomposerENS1_16block_id_wrapperIjLb0EEEEE10hipError_tT1_PNSt15iterator_traitsISG_E10value_typeET2_T3_PNSH_ISM_E10value_typeET4_T5_PSR_SS_PNS1_23onesweep_lookback_stateEbbT6_jjT7_P12ihipStream_tbENKUlT_T0_SG_SL_E_clISA_SA_SB_SB_EEDaSZ_S10_SG_SL_EUlSZ_E_NS1_11comp_targetILNS1_3genE9ELNS1_11target_archE1100ELNS1_3gpuE3ELNS1_3repE0EEENS1_47radix_sort_onesweep_sort_config_static_selectorELNS0_4arch9wavefront6targetE0EEEvSG_: ; @_ZN7rocprim17ROCPRIM_400000_NS6detail17trampoline_kernelINS0_14default_configENS1_35radix_sort_onesweep_config_selectorIbNS0_10empty_typeEEEZZNS1_29radix_sort_onesweep_iterationIS3_Lb0EPKbPbPS5_SB_mNS0_19identity_decomposerENS1_16block_id_wrapperIjLb0EEEEE10hipError_tT1_PNSt15iterator_traitsISG_E10value_typeET2_T3_PNSH_ISM_E10value_typeET4_T5_PSR_SS_PNS1_23onesweep_lookback_stateEbbT6_jjT7_P12ihipStream_tbENKUlT_T0_SG_SL_E_clISA_SA_SB_SB_EEDaSZ_S10_SG_SL_EUlSZ_E_NS1_11comp_targetILNS1_3genE9ELNS1_11target_archE1100ELNS1_3gpuE3ELNS1_3repE0EEENS1_47radix_sort_onesweep_sort_config_static_selectorELNS0_4arch9wavefront6targetE0EEEvSG_
; %bb.0:
	.section	.rodata,"a",@progbits
	.p2align	6, 0x0
	.amdhsa_kernel _ZN7rocprim17ROCPRIM_400000_NS6detail17trampoline_kernelINS0_14default_configENS1_35radix_sort_onesweep_config_selectorIbNS0_10empty_typeEEEZZNS1_29radix_sort_onesweep_iterationIS3_Lb0EPKbPbPS5_SB_mNS0_19identity_decomposerENS1_16block_id_wrapperIjLb0EEEEE10hipError_tT1_PNSt15iterator_traitsISG_E10value_typeET2_T3_PNSH_ISM_E10value_typeET4_T5_PSR_SS_PNS1_23onesweep_lookback_stateEbbT6_jjT7_P12ihipStream_tbENKUlT_T0_SG_SL_E_clISA_SA_SB_SB_EEDaSZ_S10_SG_SL_EUlSZ_E_NS1_11comp_targetILNS1_3genE9ELNS1_11target_archE1100ELNS1_3gpuE3ELNS1_3repE0EEENS1_47radix_sort_onesweep_sort_config_static_selectorELNS0_4arch9wavefront6targetE0EEEvSG_
		.amdhsa_group_segment_fixed_size 0
		.amdhsa_private_segment_fixed_size 0
		.amdhsa_kernarg_size 88
		.amdhsa_user_sgpr_count 2
		.amdhsa_user_sgpr_dispatch_ptr 0
		.amdhsa_user_sgpr_queue_ptr 0
		.amdhsa_user_sgpr_kernarg_segment_ptr 1
		.amdhsa_user_sgpr_dispatch_id 0
		.amdhsa_user_sgpr_kernarg_preload_length 0
		.amdhsa_user_sgpr_kernarg_preload_offset 0
		.amdhsa_user_sgpr_private_segment_size 0
		.amdhsa_wavefront_size32 1
		.amdhsa_uses_dynamic_stack 0
		.amdhsa_enable_private_segment 0
		.amdhsa_system_sgpr_workgroup_id_x 1
		.amdhsa_system_sgpr_workgroup_id_y 0
		.amdhsa_system_sgpr_workgroup_id_z 0
		.amdhsa_system_sgpr_workgroup_info 0
		.amdhsa_system_vgpr_workitem_id 0
		.amdhsa_next_free_vgpr 1
		.amdhsa_next_free_sgpr 1
		.amdhsa_named_barrier_count 0
		.amdhsa_reserve_vcc 0
		.amdhsa_float_round_mode_32 0
		.amdhsa_float_round_mode_16_64 0
		.amdhsa_float_denorm_mode_32 3
		.amdhsa_float_denorm_mode_16_64 3
		.amdhsa_fp16_overflow 0
		.amdhsa_memory_ordered 1
		.amdhsa_forward_progress 1
		.amdhsa_inst_pref_size 0
		.amdhsa_round_robin_scheduling 0
		.amdhsa_exception_fp_ieee_invalid_op 0
		.amdhsa_exception_fp_denorm_src 0
		.amdhsa_exception_fp_ieee_div_zero 0
		.amdhsa_exception_fp_ieee_overflow 0
		.amdhsa_exception_fp_ieee_underflow 0
		.amdhsa_exception_fp_ieee_inexact 0
		.amdhsa_exception_int_div_zero 0
	.end_amdhsa_kernel
	.section	.text._ZN7rocprim17ROCPRIM_400000_NS6detail17trampoline_kernelINS0_14default_configENS1_35radix_sort_onesweep_config_selectorIbNS0_10empty_typeEEEZZNS1_29radix_sort_onesweep_iterationIS3_Lb0EPKbPbPS5_SB_mNS0_19identity_decomposerENS1_16block_id_wrapperIjLb0EEEEE10hipError_tT1_PNSt15iterator_traitsISG_E10value_typeET2_T3_PNSH_ISM_E10value_typeET4_T5_PSR_SS_PNS1_23onesweep_lookback_stateEbbT6_jjT7_P12ihipStream_tbENKUlT_T0_SG_SL_E_clISA_SA_SB_SB_EEDaSZ_S10_SG_SL_EUlSZ_E_NS1_11comp_targetILNS1_3genE9ELNS1_11target_archE1100ELNS1_3gpuE3ELNS1_3repE0EEENS1_47radix_sort_onesweep_sort_config_static_selectorELNS0_4arch9wavefront6targetE0EEEvSG_,"axG",@progbits,_ZN7rocprim17ROCPRIM_400000_NS6detail17trampoline_kernelINS0_14default_configENS1_35radix_sort_onesweep_config_selectorIbNS0_10empty_typeEEEZZNS1_29radix_sort_onesweep_iterationIS3_Lb0EPKbPbPS5_SB_mNS0_19identity_decomposerENS1_16block_id_wrapperIjLb0EEEEE10hipError_tT1_PNSt15iterator_traitsISG_E10value_typeET2_T3_PNSH_ISM_E10value_typeET4_T5_PSR_SS_PNS1_23onesweep_lookback_stateEbbT6_jjT7_P12ihipStream_tbENKUlT_T0_SG_SL_E_clISA_SA_SB_SB_EEDaSZ_S10_SG_SL_EUlSZ_E_NS1_11comp_targetILNS1_3genE9ELNS1_11target_archE1100ELNS1_3gpuE3ELNS1_3repE0EEENS1_47radix_sort_onesweep_sort_config_static_selectorELNS0_4arch9wavefront6targetE0EEEvSG_,comdat
.Lfunc_end1886:
	.size	_ZN7rocprim17ROCPRIM_400000_NS6detail17trampoline_kernelINS0_14default_configENS1_35radix_sort_onesweep_config_selectorIbNS0_10empty_typeEEEZZNS1_29radix_sort_onesweep_iterationIS3_Lb0EPKbPbPS5_SB_mNS0_19identity_decomposerENS1_16block_id_wrapperIjLb0EEEEE10hipError_tT1_PNSt15iterator_traitsISG_E10value_typeET2_T3_PNSH_ISM_E10value_typeET4_T5_PSR_SS_PNS1_23onesweep_lookback_stateEbbT6_jjT7_P12ihipStream_tbENKUlT_T0_SG_SL_E_clISA_SA_SB_SB_EEDaSZ_S10_SG_SL_EUlSZ_E_NS1_11comp_targetILNS1_3genE9ELNS1_11target_archE1100ELNS1_3gpuE3ELNS1_3repE0EEENS1_47radix_sort_onesweep_sort_config_static_selectorELNS0_4arch9wavefront6targetE0EEEvSG_, .Lfunc_end1886-_ZN7rocprim17ROCPRIM_400000_NS6detail17trampoline_kernelINS0_14default_configENS1_35radix_sort_onesweep_config_selectorIbNS0_10empty_typeEEEZZNS1_29radix_sort_onesweep_iterationIS3_Lb0EPKbPbPS5_SB_mNS0_19identity_decomposerENS1_16block_id_wrapperIjLb0EEEEE10hipError_tT1_PNSt15iterator_traitsISG_E10value_typeET2_T3_PNSH_ISM_E10value_typeET4_T5_PSR_SS_PNS1_23onesweep_lookback_stateEbbT6_jjT7_P12ihipStream_tbENKUlT_T0_SG_SL_E_clISA_SA_SB_SB_EEDaSZ_S10_SG_SL_EUlSZ_E_NS1_11comp_targetILNS1_3genE9ELNS1_11target_archE1100ELNS1_3gpuE3ELNS1_3repE0EEENS1_47radix_sort_onesweep_sort_config_static_selectorELNS0_4arch9wavefront6targetE0EEEvSG_
                                        ; -- End function
	.set _ZN7rocprim17ROCPRIM_400000_NS6detail17trampoline_kernelINS0_14default_configENS1_35radix_sort_onesweep_config_selectorIbNS0_10empty_typeEEEZZNS1_29radix_sort_onesweep_iterationIS3_Lb0EPKbPbPS5_SB_mNS0_19identity_decomposerENS1_16block_id_wrapperIjLb0EEEEE10hipError_tT1_PNSt15iterator_traitsISG_E10value_typeET2_T3_PNSH_ISM_E10value_typeET4_T5_PSR_SS_PNS1_23onesweep_lookback_stateEbbT6_jjT7_P12ihipStream_tbENKUlT_T0_SG_SL_E_clISA_SA_SB_SB_EEDaSZ_S10_SG_SL_EUlSZ_E_NS1_11comp_targetILNS1_3genE9ELNS1_11target_archE1100ELNS1_3gpuE3ELNS1_3repE0EEENS1_47radix_sort_onesweep_sort_config_static_selectorELNS0_4arch9wavefront6targetE0EEEvSG_.num_vgpr, 0
	.set _ZN7rocprim17ROCPRIM_400000_NS6detail17trampoline_kernelINS0_14default_configENS1_35radix_sort_onesweep_config_selectorIbNS0_10empty_typeEEEZZNS1_29radix_sort_onesweep_iterationIS3_Lb0EPKbPbPS5_SB_mNS0_19identity_decomposerENS1_16block_id_wrapperIjLb0EEEEE10hipError_tT1_PNSt15iterator_traitsISG_E10value_typeET2_T3_PNSH_ISM_E10value_typeET4_T5_PSR_SS_PNS1_23onesweep_lookback_stateEbbT6_jjT7_P12ihipStream_tbENKUlT_T0_SG_SL_E_clISA_SA_SB_SB_EEDaSZ_S10_SG_SL_EUlSZ_E_NS1_11comp_targetILNS1_3genE9ELNS1_11target_archE1100ELNS1_3gpuE3ELNS1_3repE0EEENS1_47radix_sort_onesweep_sort_config_static_selectorELNS0_4arch9wavefront6targetE0EEEvSG_.num_agpr, 0
	.set _ZN7rocprim17ROCPRIM_400000_NS6detail17trampoline_kernelINS0_14default_configENS1_35radix_sort_onesweep_config_selectorIbNS0_10empty_typeEEEZZNS1_29radix_sort_onesweep_iterationIS3_Lb0EPKbPbPS5_SB_mNS0_19identity_decomposerENS1_16block_id_wrapperIjLb0EEEEE10hipError_tT1_PNSt15iterator_traitsISG_E10value_typeET2_T3_PNSH_ISM_E10value_typeET4_T5_PSR_SS_PNS1_23onesweep_lookback_stateEbbT6_jjT7_P12ihipStream_tbENKUlT_T0_SG_SL_E_clISA_SA_SB_SB_EEDaSZ_S10_SG_SL_EUlSZ_E_NS1_11comp_targetILNS1_3genE9ELNS1_11target_archE1100ELNS1_3gpuE3ELNS1_3repE0EEENS1_47radix_sort_onesweep_sort_config_static_selectorELNS0_4arch9wavefront6targetE0EEEvSG_.numbered_sgpr, 0
	.set _ZN7rocprim17ROCPRIM_400000_NS6detail17trampoline_kernelINS0_14default_configENS1_35radix_sort_onesweep_config_selectorIbNS0_10empty_typeEEEZZNS1_29radix_sort_onesweep_iterationIS3_Lb0EPKbPbPS5_SB_mNS0_19identity_decomposerENS1_16block_id_wrapperIjLb0EEEEE10hipError_tT1_PNSt15iterator_traitsISG_E10value_typeET2_T3_PNSH_ISM_E10value_typeET4_T5_PSR_SS_PNS1_23onesweep_lookback_stateEbbT6_jjT7_P12ihipStream_tbENKUlT_T0_SG_SL_E_clISA_SA_SB_SB_EEDaSZ_S10_SG_SL_EUlSZ_E_NS1_11comp_targetILNS1_3genE9ELNS1_11target_archE1100ELNS1_3gpuE3ELNS1_3repE0EEENS1_47radix_sort_onesweep_sort_config_static_selectorELNS0_4arch9wavefront6targetE0EEEvSG_.num_named_barrier, 0
	.set _ZN7rocprim17ROCPRIM_400000_NS6detail17trampoline_kernelINS0_14default_configENS1_35radix_sort_onesweep_config_selectorIbNS0_10empty_typeEEEZZNS1_29radix_sort_onesweep_iterationIS3_Lb0EPKbPbPS5_SB_mNS0_19identity_decomposerENS1_16block_id_wrapperIjLb0EEEEE10hipError_tT1_PNSt15iterator_traitsISG_E10value_typeET2_T3_PNSH_ISM_E10value_typeET4_T5_PSR_SS_PNS1_23onesweep_lookback_stateEbbT6_jjT7_P12ihipStream_tbENKUlT_T0_SG_SL_E_clISA_SA_SB_SB_EEDaSZ_S10_SG_SL_EUlSZ_E_NS1_11comp_targetILNS1_3genE9ELNS1_11target_archE1100ELNS1_3gpuE3ELNS1_3repE0EEENS1_47radix_sort_onesweep_sort_config_static_selectorELNS0_4arch9wavefront6targetE0EEEvSG_.private_seg_size, 0
	.set _ZN7rocprim17ROCPRIM_400000_NS6detail17trampoline_kernelINS0_14default_configENS1_35radix_sort_onesweep_config_selectorIbNS0_10empty_typeEEEZZNS1_29radix_sort_onesweep_iterationIS3_Lb0EPKbPbPS5_SB_mNS0_19identity_decomposerENS1_16block_id_wrapperIjLb0EEEEE10hipError_tT1_PNSt15iterator_traitsISG_E10value_typeET2_T3_PNSH_ISM_E10value_typeET4_T5_PSR_SS_PNS1_23onesweep_lookback_stateEbbT6_jjT7_P12ihipStream_tbENKUlT_T0_SG_SL_E_clISA_SA_SB_SB_EEDaSZ_S10_SG_SL_EUlSZ_E_NS1_11comp_targetILNS1_3genE9ELNS1_11target_archE1100ELNS1_3gpuE3ELNS1_3repE0EEENS1_47radix_sort_onesweep_sort_config_static_selectorELNS0_4arch9wavefront6targetE0EEEvSG_.uses_vcc, 0
	.set _ZN7rocprim17ROCPRIM_400000_NS6detail17trampoline_kernelINS0_14default_configENS1_35radix_sort_onesweep_config_selectorIbNS0_10empty_typeEEEZZNS1_29radix_sort_onesweep_iterationIS3_Lb0EPKbPbPS5_SB_mNS0_19identity_decomposerENS1_16block_id_wrapperIjLb0EEEEE10hipError_tT1_PNSt15iterator_traitsISG_E10value_typeET2_T3_PNSH_ISM_E10value_typeET4_T5_PSR_SS_PNS1_23onesweep_lookback_stateEbbT6_jjT7_P12ihipStream_tbENKUlT_T0_SG_SL_E_clISA_SA_SB_SB_EEDaSZ_S10_SG_SL_EUlSZ_E_NS1_11comp_targetILNS1_3genE9ELNS1_11target_archE1100ELNS1_3gpuE3ELNS1_3repE0EEENS1_47radix_sort_onesweep_sort_config_static_selectorELNS0_4arch9wavefront6targetE0EEEvSG_.uses_flat_scratch, 0
	.set _ZN7rocprim17ROCPRIM_400000_NS6detail17trampoline_kernelINS0_14default_configENS1_35radix_sort_onesweep_config_selectorIbNS0_10empty_typeEEEZZNS1_29radix_sort_onesweep_iterationIS3_Lb0EPKbPbPS5_SB_mNS0_19identity_decomposerENS1_16block_id_wrapperIjLb0EEEEE10hipError_tT1_PNSt15iterator_traitsISG_E10value_typeET2_T3_PNSH_ISM_E10value_typeET4_T5_PSR_SS_PNS1_23onesweep_lookback_stateEbbT6_jjT7_P12ihipStream_tbENKUlT_T0_SG_SL_E_clISA_SA_SB_SB_EEDaSZ_S10_SG_SL_EUlSZ_E_NS1_11comp_targetILNS1_3genE9ELNS1_11target_archE1100ELNS1_3gpuE3ELNS1_3repE0EEENS1_47radix_sort_onesweep_sort_config_static_selectorELNS0_4arch9wavefront6targetE0EEEvSG_.has_dyn_sized_stack, 0
	.set _ZN7rocprim17ROCPRIM_400000_NS6detail17trampoline_kernelINS0_14default_configENS1_35radix_sort_onesweep_config_selectorIbNS0_10empty_typeEEEZZNS1_29radix_sort_onesweep_iterationIS3_Lb0EPKbPbPS5_SB_mNS0_19identity_decomposerENS1_16block_id_wrapperIjLb0EEEEE10hipError_tT1_PNSt15iterator_traitsISG_E10value_typeET2_T3_PNSH_ISM_E10value_typeET4_T5_PSR_SS_PNS1_23onesweep_lookback_stateEbbT6_jjT7_P12ihipStream_tbENKUlT_T0_SG_SL_E_clISA_SA_SB_SB_EEDaSZ_S10_SG_SL_EUlSZ_E_NS1_11comp_targetILNS1_3genE9ELNS1_11target_archE1100ELNS1_3gpuE3ELNS1_3repE0EEENS1_47radix_sort_onesweep_sort_config_static_selectorELNS0_4arch9wavefront6targetE0EEEvSG_.has_recursion, 0
	.set _ZN7rocprim17ROCPRIM_400000_NS6detail17trampoline_kernelINS0_14default_configENS1_35radix_sort_onesweep_config_selectorIbNS0_10empty_typeEEEZZNS1_29radix_sort_onesweep_iterationIS3_Lb0EPKbPbPS5_SB_mNS0_19identity_decomposerENS1_16block_id_wrapperIjLb0EEEEE10hipError_tT1_PNSt15iterator_traitsISG_E10value_typeET2_T3_PNSH_ISM_E10value_typeET4_T5_PSR_SS_PNS1_23onesweep_lookback_stateEbbT6_jjT7_P12ihipStream_tbENKUlT_T0_SG_SL_E_clISA_SA_SB_SB_EEDaSZ_S10_SG_SL_EUlSZ_E_NS1_11comp_targetILNS1_3genE9ELNS1_11target_archE1100ELNS1_3gpuE3ELNS1_3repE0EEENS1_47radix_sort_onesweep_sort_config_static_selectorELNS0_4arch9wavefront6targetE0EEEvSG_.has_indirect_call, 0
	.section	.AMDGPU.csdata,"",@progbits
; Kernel info:
; codeLenInByte = 0
; TotalNumSgprs: 0
; NumVgprs: 0
; ScratchSize: 0
; MemoryBound: 0
; FloatMode: 240
; IeeeMode: 1
; LDSByteSize: 0 bytes/workgroup (compile time only)
; SGPRBlocks: 0
; VGPRBlocks: 0
; NumSGPRsForWavesPerEU: 1
; NumVGPRsForWavesPerEU: 1
; NamedBarCnt: 0
; Occupancy: 16
; WaveLimiterHint : 0
; COMPUTE_PGM_RSRC2:SCRATCH_EN: 0
; COMPUTE_PGM_RSRC2:USER_SGPR: 2
; COMPUTE_PGM_RSRC2:TRAP_HANDLER: 0
; COMPUTE_PGM_RSRC2:TGID_X_EN: 1
; COMPUTE_PGM_RSRC2:TGID_Y_EN: 0
; COMPUTE_PGM_RSRC2:TGID_Z_EN: 0
; COMPUTE_PGM_RSRC2:TIDIG_COMP_CNT: 0
	.section	.text._ZN7rocprim17ROCPRIM_400000_NS6detail17trampoline_kernelINS0_14default_configENS1_35radix_sort_onesweep_config_selectorIbNS0_10empty_typeEEEZZNS1_29radix_sort_onesweep_iterationIS3_Lb0EPKbPbPS5_SB_mNS0_19identity_decomposerENS1_16block_id_wrapperIjLb0EEEEE10hipError_tT1_PNSt15iterator_traitsISG_E10value_typeET2_T3_PNSH_ISM_E10value_typeET4_T5_PSR_SS_PNS1_23onesweep_lookback_stateEbbT6_jjT7_P12ihipStream_tbENKUlT_T0_SG_SL_E_clISA_SA_SB_SB_EEDaSZ_S10_SG_SL_EUlSZ_E_NS1_11comp_targetILNS1_3genE8ELNS1_11target_archE1030ELNS1_3gpuE2ELNS1_3repE0EEENS1_47radix_sort_onesweep_sort_config_static_selectorELNS0_4arch9wavefront6targetE0EEEvSG_,"axG",@progbits,_ZN7rocprim17ROCPRIM_400000_NS6detail17trampoline_kernelINS0_14default_configENS1_35radix_sort_onesweep_config_selectorIbNS0_10empty_typeEEEZZNS1_29radix_sort_onesweep_iterationIS3_Lb0EPKbPbPS5_SB_mNS0_19identity_decomposerENS1_16block_id_wrapperIjLb0EEEEE10hipError_tT1_PNSt15iterator_traitsISG_E10value_typeET2_T3_PNSH_ISM_E10value_typeET4_T5_PSR_SS_PNS1_23onesweep_lookback_stateEbbT6_jjT7_P12ihipStream_tbENKUlT_T0_SG_SL_E_clISA_SA_SB_SB_EEDaSZ_S10_SG_SL_EUlSZ_E_NS1_11comp_targetILNS1_3genE8ELNS1_11target_archE1030ELNS1_3gpuE2ELNS1_3repE0EEENS1_47radix_sort_onesweep_sort_config_static_selectorELNS0_4arch9wavefront6targetE0EEEvSG_,comdat
	.protected	_ZN7rocprim17ROCPRIM_400000_NS6detail17trampoline_kernelINS0_14default_configENS1_35radix_sort_onesweep_config_selectorIbNS0_10empty_typeEEEZZNS1_29radix_sort_onesweep_iterationIS3_Lb0EPKbPbPS5_SB_mNS0_19identity_decomposerENS1_16block_id_wrapperIjLb0EEEEE10hipError_tT1_PNSt15iterator_traitsISG_E10value_typeET2_T3_PNSH_ISM_E10value_typeET4_T5_PSR_SS_PNS1_23onesweep_lookback_stateEbbT6_jjT7_P12ihipStream_tbENKUlT_T0_SG_SL_E_clISA_SA_SB_SB_EEDaSZ_S10_SG_SL_EUlSZ_E_NS1_11comp_targetILNS1_3genE8ELNS1_11target_archE1030ELNS1_3gpuE2ELNS1_3repE0EEENS1_47radix_sort_onesweep_sort_config_static_selectorELNS0_4arch9wavefront6targetE0EEEvSG_ ; -- Begin function _ZN7rocprim17ROCPRIM_400000_NS6detail17trampoline_kernelINS0_14default_configENS1_35radix_sort_onesweep_config_selectorIbNS0_10empty_typeEEEZZNS1_29radix_sort_onesweep_iterationIS3_Lb0EPKbPbPS5_SB_mNS0_19identity_decomposerENS1_16block_id_wrapperIjLb0EEEEE10hipError_tT1_PNSt15iterator_traitsISG_E10value_typeET2_T3_PNSH_ISM_E10value_typeET4_T5_PSR_SS_PNS1_23onesweep_lookback_stateEbbT6_jjT7_P12ihipStream_tbENKUlT_T0_SG_SL_E_clISA_SA_SB_SB_EEDaSZ_S10_SG_SL_EUlSZ_E_NS1_11comp_targetILNS1_3genE8ELNS1_11target_archE1030ELNS1_3gpuE2ELNS1_3repE0EEENS1_47radix_sort_onesweep_sort_config_static_selectorELNS0_4arch9wavefront6targetE0EEEvSG_
	.globl	_ZN7rocprim17ROCPRIM_400000_NS6detail17trampoline_kernelINS0_14default_configENS1_35radix_sort_onesweep_config_selectorIbNS0_10empty_typeEEEZZNS1_29radix_sort_onesweep_iterationIS3_Lb0EPKbPbPS5_SB_mNS0_19identity_decomposerENS1_16block_id_wrapperIjLb0EEEEE10hipError_tT1_PNSt15iterator_traitsISG_E10value_typeET2_T3_PNSH_ISM_E10value_typeET4_T5_PSR_SS_PNS1_23onesweep_lookback_stateEbbT6_jjT7_P12ihipStream_tbENKUlT_T0_SG_SL_E_clISA_SA_SB_SB_EEDaSZ_S10_SG_SL_EUlSZ_E_NS1_11comp_targetILNS1_3genE8ELNS1_11target_archE1030ELNS1_3gpuE2ELNS1_3repE0EEENS1_47radix_sort_onesweep_sort_config_static_selectorELNS0_4arch9wavefront6targetE0EEEvSG_
	.p2align	8
	.type	_ZN7rocprim17ROCPRIM_400000_NS6detail17trampoline_kernelINS0_14default_configENS1_35radix_sort_onesweep_config_selectorIbNS0_10empty_typeEEEZZNS1_29radix_sort_onesweep_iterationIS3_Lb0EPKbPbPS5_SB_mNS0_19identity_decomposerENS1_16block_id_wrapperIjLb0EEEEE10hipError_tT1_PNSt15iterator_traitsISG_E10value_typeET2_T3_PNSH_ISM_E10value_typeET4_T5_PSR_SS_PNS1_23onesweep_lookback_stateEbbT6_jjT7_P12ihipStream_tbENKUlT_T0_SG_SL_E_clISA_SA_SB_SB_EEDaSZ_S10_SG_SL_EUlSZ_E_NS1_11comp_targetILNS1_3genE8ELNS1_11target_archE1030ELNS1_3gpuE2ELNS1_3repE0EEENS1_47radix_sort_onesweep_sort_config_static_selectorELNS0_4arch9wavefront6targetE0EEEvSG_,@function
_ZN7rocprim17ROCPRIM_400000_NS6detail17trampoline_kernelINS0_14default_configENS1_35radix_sort_onesweep_config_selectorIbNS0_10empty_typeEEEZZNS1_29radix_sort_onesweep_iterationIS3_Lb0EPKbPbPS5_SB_mNS0_19identity_decomposerENS1_16block_id_wrapperIjLb0EEEEE10hipError_tT1_PNSt15iterator_traitsISG_E10value_typeET2_T3_PNSH_ISM_E10value_typeET4_T5_PSR_SS_PNS1_23onesweep_lookback_stateEbbT6_jjT7_P12ihipStream_tbENKUlT_T0_SG_SL_E_clISA_SA_SB_SB_EEDaSZ_S10_SG_SL_EUlSZ_E_NS1_11comp_targetILNS1_3genE8ELNS1_11target_archE1030ELNS1_3gpuE2ELNS1_3repE0EEENS1_47radix_sort_onesweep_sort_config_static_selectorELNS0_4arch9wavefront6targetE0EEEvSG_: ; @_ZN7rocprim17ROCPRIM_400000_NS6detail17trampoline_kernelINS0_14default_configENS1_35radix_sort_onesweep_config_selectorIbNS0_10empty_typeEEEZZNS1_29radix_sort_onesweep_iterationIS3_Lb0EPKbPbPS5_SB_mNS0_19identity_decomposerENS1_16block_id_wrapperIjLb0EEEEE10hipError_tT1_PNSt15iterator_traitsISG_E10value_typeET2_T3_PNSH_ISM_E10value_typeET4_T5_PSR_SS_PNS1_23onesweep_lookback_stateEbbT6_jjT7_P12ihipStream_tbENKUlT_T0_SG_SL_E_clISA_SA_SB_SB_EEDaSZ_S10_SG_SL_EUlSZ_E_NS1_11comp_targetILNS1_3genE8ELNS1_11target_archE1030ELNS1_3gpuE2ELNS1_3repE0EEENS1_47radix_sort_onesweep_sort_config_static_selectorELNS0_4arch9wavefront6targetE0EEEvSG_
; %bb.0:
	.section	.rodata,"a",@progbits
	.p2align	6, 0x0
	.amdhsa_kernel _ZN7rocprim17ROCPRIM_400000_NS6detail17trampoline_kernelINS0_14default_configENS1_35radix_sort_onesweep_config_selectorIbNS0_10empty_typeEEEZZNS1_29radix_sort_onesweep_iterationIS3_Lb0EPKbPbPS5_SB_mNS0_19identity_decomposerENS1_16block_id_wrapperIjLb0EEEEE10hipError_tT1_PNSt15iterator_traitsISG_E10value_typeET2_T3_PNSH_ISM_E10value_typeET4_T5_PSR_SS_PNS1_23onesweep_lookback_stateEbbT6_jjT7_P12ihipStream_tbENKUlT_T0_SG_SL_E_clISA_SA_SB_SB_EEDaSZ_S10_SG_SL_EUlSZ_E_NS1_11comp_targetILNS1_3genE8ELNS1_11target_archE1030ELNS1_3gpuE2ELNS1_3repE0EEENS1_47radix_sort_onesweep_sort_config_static_selectorELNS0_4arch9wavefront6targetE0EEEvSG_
		.amdhsa_group_segment_fixed_size 0
		.amdhsa_private_segment_fixed_size 0
		.amdhsa_kernarg_size 88
		.amdhsa_user_sgpr_count 2
		.amdhsa_user_sgpr_dispatch_ptr 0
		.amdhsa_user_sgpr_queue_ptr 0
		.amdhsa_user_sgpr_kernarg_segment_ptr 1
		.amdhsa_user_sgpr_dispatch_id 0
		.amdhsa_user_sgpr_kernarg_preload_length 0
		.amdhsa_user_sgpr_kernarg_preload_offset 0
		.amdhsa_user_sgpr_private_segment_size 0
		.amdhsa_wavefront_size32 1
		.amdhsa_uses_dynamic_stack 0
		.amdhsa_enable_private_segment 0
		.amdhsa_system_sgpr_workgroup_id_x 1
		.amdhsa_system_sgpr_workgroup_id_y 0
		.amdhsa_system_sgpr_workgroup_id_z 0
		.amdhsa_system_sgpr_workgroup_info 0
		.amdhsa_system_vgpr_workitem_id 0
		.amdhsa_next_free_vgpr 1
		.amdhsa_next_free_sgpr 1
		.amdhsa_named_barrier_count 0
		.amdhsa_reserve_vcc 0
		.amdhsa_float_round_mode_32 0
		.amdhsa_float_round_mode_16_64 0
		.amdhsa_float_denorm_mode_32 3
		.amdhsa_float_denorm_mode_16_64 3
		.amdhsa_fp16_overflow 0
		.amdhsa_memory_ordered 1
		.amdhsa_forward_progress 1
		.amdhsa_inst_pref_size 0
		.amdhsa_round_robin_scheduling 0
		.amdhsa_exception_fp_ieee_invalid_op 0
		.amdhsa_exception_fp_denorm_src 0
		.amdhsa_exception_fp_ieee_div_zero 0
		.amdhsa_exception_fp_ieee_overflow 0
		.amdhsa_exception_fp_ieee_underflow 0
		.amdhsa_exception_fp_ieee_inexact 0
		.amdhsa_exception_int_div_zero 0
	.end_amdhsa_kernel
	.section	.text._ZN7rocprim17ROCPRIM_400000_NS6detail17trampoline_kernelINS0_14default_configENS1_35radix_sort_onesweep_config_selectorIbNS0_10empty_typeEEEZZNS1_29radix_sort_onesweep_iterationIS3_Lb0EPKbPbPS5_SB_mNS0_19identity_decomposerENS1_16block_id_wrapperIjLb0EEEEE10hipError_tT1_PNSt15iterator_traitsISG_E10value_typeET2_T3_PNSH_ISM_E10value_typeET4_T5_PSR_SS_PNS1_23onesweep_lookback_stateEbbT6_jjT7_P12ihipStream_tbENKUlT_T0_SG_SL_E_clISA_SA_SB_SB_EEDaSZ_S10_SG_SL_EUlSZ_E_NS1_11comp_targetILNS1_3genE8ELNS1_11target_archE1030ELNS1_3gpuE2ELNS1_3repE0EEENS1_47radix_sort_onesweep_sort_config_static_selectorELNS0_4arch9wavefront6targetE0EEEvSG_,"axG",@progbits,_ZN7rocprim17ROCPRIM_400000_NS6detail17trampoline_kernelINS0_14default_configENS1_35radix_sort_onesweep_config_selectorIbNS0_10empty_typeEEEZZNS1_29radix_sort_onesweep_iterationIS3_Lb0EPKbPbPS5_SB_mNS0_19identity_decomposerENS1_16block_id_wrapperIjLb0EEEEE10hipError_tT1_PNSt15iterator_traitsISG_E10value_typeET2_T3_PNSH_ISM_E10value_typeET4_T5_PSR_SS_PNS1_23onesweep_lookback_stateEbbT6_jjT7_P12ihipStream_tbENKUlT_T0_SG_SL_E_clISA_SA_SB_SB_EEDaSZ_S10_SG_SL_EUlSZ_E_NS1_11comp_targetILNS1_3genE8ELNS1_11target_archE1030ELNS1_3gpuE2ELNS1_3repE0EEENS1_47radix_sort_onesweep_sort_config_static_selectorELNS0_4arch9wavefront6targetE0EEEvSG_,comdat
.Lfunc_end1887:
	.size	_ZN7rocprim17ROCPRIM_400000_NS6detail17trampoline_kernelINS0_14default_configENS1_35radix_sort_onesweep_config_selectorIbNS0_10empty_typeEEEZZNS1_29radix_sort_onesweep_iterationIS3_Lb0EPKbPbPS5_SB_mNS0_19identity_decomposerENS1_16block_id_wrapperIjLb0EEEEE10hipError_tT1_PNSt15iterator_traitsISG_E10value_typeET2_T3_PNSH_ISM_E10value_typeET4_T5_PSR_SS_PNS1_23onesweep_lookback_stateEbbT6_jjT7_P12ihipStream_tbENKUlT_T0_SG_SL_E_clISA_SA_SB_SB_EEDaSZ_S10_SG_SL_EUlSZ_E_NS1_11comp_targetILNS1_3genE8ELNS1_11target_archE1030ELNS1_3gpuE2ELNS1_3repE0EEENS1_47radix_sort_onesweep_sort_config_static_selectorELNS0_4arch9wavefront6targetE0EEEvSG_, .Lfunc_end1887-_ZN7rocprim17ROCPRIM_400000_NS6detail17trampoline_kernelINS0_14default_configENS1_35radix_sort_onesweep_config_selectorIbNS0_10empty_typeEEEZZNS1_29radix_sort_onesweep_iterationIS3_Lb0EPKbPbPS5_SB_mNS0_19identity_decomposerENS1_16block_id_wrapperIjLb0EEEEE10hipError_tT1_PNSt15iterator_traitsISG_E10value_typeET2_T3_PNSH_ISM_E10value_typeET4_T5_PSR_SS_PNS1_23onesweep_lookback_stateEbbT6_jjT7_P12ihipStream_tbENKUlT_T0_SG_SL_E_clISA_SA_SB_SB_EEDaSZ_S10_SG_SL_EUlSZ_E_NS1_11comp_targetILNS1_3genE8ELNS1_11target_archE1030ELNS1_3gpuE2ELNS1_3repE0EEENS1_47radix_sort_onesweep_sort_config_static_selectorELNS0_4arch9wavefront6targetE0EEEvSG_
                                        ; -- End function
	.set _ZN7rocprim17ROCPRIM_400000_NS6detail17trampoline_kernelINS0_14default_configENS1_35radix_sort_onesweep_config_selectorIbNS0_10empty_typeEEEZZNS1_29radix_sort_onesweep_iterationIS3_Lb0EPKbPbPS5_SB_mNS0_19identity_decomposerENS1_16block_id_wrapperIjLb0EEEEE10hipError_tT1_PNSt15iterator_traitsISG_E10value_typeET2_T3_PNSH_ISM_E10value_typeET4_T5_PSR_SS_PNS1_23onesweep_lookback_stateEbbT6_jjT7_P12ihipStream_tbENKUlT_T0_SG_SL_E_clISA_SA_SB_SB_EEDaSZ_S10_SG_SL_EUlSZ_E_NS1_11comp_targetILNS1_3genE8ELNS1_11target_archE1030ELNS1_3gpuE2ELNS1_3repE0EEENS1_47radix_sort_onesweep_sort_config_static_selectorELNS0_4arch9wavefront6targetE0EEEvSG_.num_vgpr, 0
	.set _ZN7rocprim17ROCPRIM_400000_NS6detail17trampoline_kernelINS0_14default_configENS1_35radix_sort_onesweep_config_selectorIbNS0_10empty_typeEEEZZNS1_29radix_sort_onesweep_iterationIS3_Lb0EPKbPbPS5_SB_mNS0_19identity_decomposerENS1_16block_id_wrapperIjLb0EEEEE10hipError_tT1_PNSt15iterator_traitsISG_E10value_typeET2_T3_PNSH_ISM_E10value_typeET4_T5_PSR_SS_PNS1_23onesweep_lookback_stateEbbT6_jjT7_P12ihipStream_tbENKUlT_T0_SG_SL_E_clISA_SA_SB_SB_EEDaSZ_S10_SG_SL_EUlSZ_E_NS1_11comp_targetILNS1_3genE8ELNS1_11target_archE1030ELNS1_3gpuE2ELNS1_3repE0EEENS1_47radix_sort_onesweep_sort_config_static_selectorELNS0_4arch9wavefront6targetE0EEEvSG_.num_agpr, 0
	.set _ZN7rocprim17ROCPRIM_400000_NS6detail17trampoline_kernelINS0_14default_configENS1_35radix_sort_onesweep_config_selectorIbNS0_10empty_typeEEEZZNS1_29radix_sort_onesweep_iterationIS3_Lb0EPKbPbPS5_SB_mNS0_19identity_decomposerENS1_16block_id_wrapperIjLb0EEEEE10hipError_tT1_PNSt15iterator_traitsISG_E10value_typeET2_T3_PNSH_ISM_E10value_typeET4_T5_PSR_SS_PNS1_23onesweep_lookback_stateEbbT6_jjT7_P12ihipStream_tbENKUlT_T0_SG_SL_E_clISA_SA_SB_SB_EEDaSZ_S10_SG_SL_EUlSZ_E_NS1_11comp_targetILNS1_3genE8ELNS1_11target_archE1030ELNS1_3gpuE2ELNS1_3repE0EEENS1_47radix_sort_onesweep_sort_config_static_selectorELNS0_4arch9wavefront6targetE0EEEvSG_.numbered_sgpr, 0
	.set _ZN7rocprim17ROCPRIM_400000_NS6detail17trampoline_kernelINS0_14default_configENS1_35radix_sort_onesweep_config_selectorIbNS0_10empty_typeEEEZZNS1_29radix_sort_onesweep_iterationIS3_Lb0EPKbPbPS5_SB_mNS0_19identity_decomposerENS1_16block_id_wrapperIjLb0EEEEE10hipError_tT1_PNSt15iterator_traitsISG_E10value_typeET2_T3_PNSH_ISM_E10value_typeET4_T5_PSR_SS_PNS1_23onesweep_lookback_stateEbbT6_jjT7_P12ihipStream_tbENKUlT_T0_SG_SL_E_clISA_SA_SB_SB_EEDaSZ_S10_SG_SL_EUlSZ_E_NS1_11comp_targetILNS1_3genE8ELNS1_11target_archE1030ELNS1_3gpuE2ELNS1_3repE0EEENS1_47radix_sort_onesweep_sort_config_static_selectorELNS0_4arch9wavefront6targetE0EEEvSG_.num_named_barrier, 0
	.set _ZN7rocprim17ROCPRIM_400000_NS6detail17trampoline_kernelINS0_14default_configENS1_35radix_sort_onesweep_config_selectorIbNS0_10empty_typeEEEZZNS1_29radix_sort_onesweep_iterationIS3_Lb0EPKbPbPS5_SB_mNS0_19identity_decomposerENS1_16block_id_wrapperIjLb0EEEEE10hipError_tT1_PNSt15iterator_traitsISG_E10value_typeET2_T3_PNSH_ISM_E10value_typeET4_T5_PSR_SS_PNS1_23onesweep_lookback_stateEbbT6_jjT7_P12ihipStream_tbENKUlT_T0_SG_SL_E_clISA_SA_SB_SB_EEDaSZ_S10_SG_SL_EUlSZ_E_NS1_11comp_targetILNS1_3genE8ELNS1_11target_archE1030ELNS1_3gpuE2ELNS1_3repE0EEENS1_47radix_sort_onesweep_sort_config_static_selectorELNS0_4arch9wavefront6targetE0EEEvSG_.private_seg_size, 0
	.set _ZN7rocprim17ROCPRIM_400000_NS6detail17trampoline_kernelINS0_14default_configENS1_35radix_sort_onesweep_config_selectorIbNS0_10empty_typeEEEZZNS1_29radix_sort_onesweep_iterationIS3_Lb0EPKbPbPS5_SB_mNS0_19identity_decomposerENS1_16block_id_wrapperIjLb0EEEEE10hipError_tT1_PNSt15iterator_traitsISG_E10value_typeET2_T3_PNSH_ISM_E10value_typeET4_T5_PSR_SS_PNS1_23onesweep_lookback_stateEbbT6_jjT7_P12ihipStream_tbENKUlT_T0_SG_SL_E_clISA_SA_SB_SB_EEDaSZ_S10_SG_SL_EUlSZ_E_NS1_11comp_targetILNS1_3genE8ELNS1_11target_archE1030ELNS1_3gpuE2ELNS1_3repE0EEENS1_47radix_sort_onesweep_sort_config_static_selectorELNS0_4arch9wavefront6targetE0EEEvSG_.uses_vcc, 0
	.set _ZN7rocprim17ROCPRIM_400000_NS6detail17trampoline_kernelINS0_14default_configENS1_35radix_sort_onesweep_config_selectorIbNS0_10empty_typeEEEZZNS1_29radix_sort_onesweep_iterationIS3_Lb0EPKbPbPS5_SB_mNS0_19identity_decomposerENS1_16block_id_wrapperIjLb0EEEEE10hipError_tT1_PNSt15iterator_traitsISG_E10value_typeET2_T3_PNSH_ISM_E10value_typeET4_T5_PSR_SS_PNS1_23onesweep_lookback_stateEbbT6_jjT7_P12ihipStream_tbENKUlT_T0_SG_SL_E_clISA_SA_SB_SB_EEDaSZ_S10_SG_SL_EUlSZ_E_NS1_11comp_targetILNS1_3genE8ELNS1_11target_archE1030ELNS1_3gpuE2ELNS1_3repE0EEENS1_47radix_sort_onesweep_sort_config_static_selectorELNS0_4arch9wavefront6targetE0EEEvSG_.uses_flat_scratch, 0
	.set _ZN7rocprim17ROCPRIM_400000_NS6detail17trampoline_kernelINS0_14default_configENS1_35radix_sort_onesweep_config_selectorIbNS0_10empty_typeEEEZZNS1_29radix_sort_onesweep_iterationIS3_Lb0EPKbPbPS5_SB_mNS0_19identity_decomposerENS1_16block_id_wrapperIjLb0EEEEE10hipError_tT1_PNSt15iterator_traitsISG_E10value_typeET2_T3_PNSH_ISM_E10value_typeET4_T5_PSR_SS_PNS1_23onesweep_lookback_stateEbbT6_jjT7_P12ihipStream_tbENKUlT_T0_SG_SL_E_clISA_SA_SB_SB_EEDaSZ_S10_SG_SL_EUlSZ_E_NS1_11comp_targetILNS1_3genE8ELNS1_11target_archE1030ELNS1_3gpuE2ELNS1_3repE0EEENS1_47radix_sort_onesweep_sort_config_static_selectorELNS0_4arch9wavefront6targetE0EEEvSG_.has_dyn_sized_stack, 0
	.set _ZN7rocprim17ROCPRIM_400000_NS6detail17trampoline_kernelINS0_14default_configENS1_35radix_sort_onesweep_config_selectorIbNS0_10empty_typeEEEZZNS1_29radix_sort_onesweep_iterationIS3_Lb0EPKbPbPS5_SB_mNS0_19identity_decomposerENS1_16block_id_wrapperIjLb0EEEEE10hipError_tT1_PNSt15iterator_traitsISG_E10value_typeET2_T3_PNSH_ISM_E10value_typeET4_T5_PSR_SS_PNS1_23onesweep_lookback_stateEbbT6_jjT7_P12ihipStream_tbENKUlT_T0_SG_SL_E_clISA_SA_SB_SB_EEDaSZ_S10_SG_SL_EUlSZ_E_NS1_11comp_targetILNS1_3genE8ELNS1_11target_archE1030ELNS1_3gpuE2ELNS1_3repE0EEENS1_47radix_sort_onesweep_sort_config_static_selectorELNS0_4arch9wavefront6targetE0EEEvSG_.has_recursion, 0
	.set _ZN7rocprim17ROCPRIM_400000_NS6detail17trampoline_kernelINS0_14default_configENS1_35radix_sort_onesweep_config_selectorIbNS0_10empty_typeEEEZZNS1_29radix_sort_onesweep_iterationIS3_Lb0EPKbPbPS5_SB_mNS0_19identity_decomposerENS1_16block_id_wrapperIjLb0EEEEE10hipError_tT1_PNSt15iterator_traitsISG_E10value_typeET2_T3_PNSH_ISM_E10value_typeET4_T5_PSR_SS_PNS1_23onesweep_lookback_stateEbbT6_jjT7_P12ihipStream_tbENKUlT_T0_SG_SL_E_clISA_SA_SB_SB_EEDaSZ_S10_SG_SL_EUlSZ_E_NS1_11comp_targetILNS1_3genE8ELNS1_11target_archE1030ELNS1_3gpuE2ELNS1_3repE0EEENS1_47radix_sort_onesweep_sort_config_static_selectorELNS0_4arch9wavefront6targetE0EEEvSG_.has_indirect_call, 0
	.section	.AMDGPU.csdata,"",@progbits
; Kernel info:
; codeLenInByte = 0
; TotalNumSgprs: 0
; NumVgprs: 0
; ScratchSize: 0
; MemoryBound: 0
; FloatMode: 240
; IeeeMode: 1
; LDSByteSize: 0 bytes/workgroup (compile time only)
; SGPRBlocks: 0
; VGPRBlocks: 0
; NumSGPRsForWavesPerEU: 1
; NumVGPRsForWavesPerEU: 1
; NamedBarCnt: 0
; Occupancy: 16
; WaveLimiterHint : 0
; COMPUTE_PGM_RSRC2:SCRATCH_EN: 0
; COMPUTE_PGM_RSRC2:USER_SGPR: 2
; COMPUTE_PGM_RSRC2:TRAP_HANDLER: 0
; COMPUTE_PGM_RSRC2:TGID_X_EN: 1
; COMPUTE_PGM_RSRC2:TGID_Y_EN: 0
; COMPUTE_PGM_RSRC2:TGID_Z_EN: 0
; COMPUTE_PGM_RSRC2:TIDIG_COMP_CNT: 0
	.section	.text._ZN7rocprim17ROCPRIM_400000_NS6detail17trampoline_kernelINS0_13kernel_configILj256ELj4ELj4294967295EEENS1_37radix_sort_block_sort_config_selectorI12hip_bfloat16NS0_10empty_typeEEEZNS1_21radix_sort_block_sortIS4_Lb1EPKS6_PS6_PS7_SD_NS0_19identity_decomposerEEE10hipError_tT1_T2_T3_T4_jRjT5_jjP12ihipStream_tbEUlT_E_NS1_11comp_targetILNS1_3genE0ELNS1_11target_archE4294967295ELNS1_3gpuE0ELNS1_3repE0EEENS1_44radix_sort_block_sort_config_static_selectorELNS0_4arch9wavefront6targetE0EEEvSG_,"axG",@progbits,_ZN7rocprim17ROCPRIM_400000_NS6detail17trampoline_kernelINS0_13kernel_configILj256ELj4ELj4294967295EEENS1_37radix_sort_block_sort_config_selectorI12hip_bfloat16NS0_10empty_typeEEEZNS1_21radix_sort_block_sortIS4_Lb1EPKS6_PS6_PS7_SD_NS0_19identity_decomposerEEE10hipError_tT1_T2_T3_T4_jRjT5_jjP12ihipStream_tbEUlT_E_NS1_11comp_targetILNS1_3genE0ELNS1_11target_archE4294967295ELNS1_3gpuE0ELNS1_3repE0EEENS1_44radix_sort_block_sort_config_static_selectorELNS0_4arch9wavefront6targetE0EEEvSG_,comdat
	.protected	_ZN7rocprim17ROCPRIM_400000_NS6detail17trampoline_kernelINS0_13kernel_configILj256ELj4ELj4294967295EEENS1_37radix_sort_block_sort_config_selectorI12hip_bfloat16NS0_10empty_typeEEEZNS1_21radix_sort_block_sortIS4_Lb1EPKS6_PS6_PS7_SD_NS0_19identity_decomposerEEE10hipError_tT1_T2_T3_T4_jRjT5_jjP12ihipStream_tbEUlT_E_NS1_11comp_targetILNS1_3genE0ELNS1_11target_archE4294967295ELNS1_3gpuE0ELNS1_3repE0EEENS1_44radix_sort_block_sort_config_static_selectorELNS0_4arch9wavefront6targetE0EEEvSG_ ; -- Begin function _ZN7rocprim17ROCPRIM_400000_NS6detail17trampoline_kernelINS0_13kernel_configILj256ELj4ELj4294967295EEENS1_37radix_sort_block_sort_config_selectorI12hip_bfloat16NS0_10empty_typeEEEZNS1_21radix_sort_block_sortIS4_Lb1EPKS6_PS6_PS7_SD_NS0_19identity_decomposerEEE10hipError_tT1_T2_T3_T4_jRjT5_jjP12ihipStream_tbEUlT_E_NS1_11comp_targetILNS1_3genE0ELNS1_11target_archE4294967295ELNS1_3gpuE0ELNS1_3repE0EEENS1_44radix_sort_block_sort_config_static_selectorELNS0_4arch9wavefront6targetE0EEEvSG_
	.globl	_ZN7rocprim17ROCPRIM_400000_NS6detail17trampoline_kernelINS0_13kernel_configILj256ELj4ELj4294967295EEENS1_37radix_sort_block_sort_config_selectorI12hip_bfloat16NS0_10empty_typeEEEZNS1_21radix_sort_block_sortIS4_Lb1EPKS6_PS6_PS7_SD_NS0_19identity_decomposerEEE10hipError_tT1_T2_T3_T4_jRjT5_jjP12ihipStream_tbEUlT_E_NS1_11comp_targetILNS1_3genE0ELNS1_11target_archE4294967295ELNS1_3gpuE0ELNS1_3repE0EEENS1_44radix_sort_block_sort_config_static_selectorELNS0_4arch9wavefront6targetE0EEEvSG_
	.p2align	8
	.type	_ZN7rocprim17ROCPRIM_400000_NS6detail17trampoline_kernelINS0_13kernel_configILj256ELj4ELj4294967295EEENS1_37radix_sort_block_sort_config_selectorI12hip_bfloat16NS0_10empty_typeEEEZNS1_21radix_sort_block_sortIS4_Lb1EPKS6_PS6_PS7_SD_NS0_19identity_decomposerEEE10hipError_tT1_T2_T3_T4_jRjT5_jjP12ihipStream_tbEUlT_E_NS1_11comp_targetILNS1_3genE0ELNS1_11target_archE4294967295ELNS1_3gpuE0ELNS1_3repE0EEENS1_44radix_sort_block_sort_config_static_selectorELNS0_4arch9wavefront6targetE0EEEvSG_,@function
_ZN7rocprim17ROCPRIM_400000_NS6detail17trampoline_kernelINS0_13kernel_configILj256ELj4ELj4294967295EEENS1_37radix_sort_block_sort_config_selectorI12hip_bfloat16NS0_10empty_typeEEEZNS1_21radix_sort_block_sortIS4_Lb1EPKS6_PS6_PS7_SD_NS0_19identity_decomposerEEE10hipError_tT1_T2_T3_T4_jRjT5_jjP12ihipStream_tbEUlT_E_NS1_11comp_targetILNS1_3genE0ELNS1_11target_archE4294967295ELNS1_3gpuE0ELNS1_3repE0EEENS1_44radix_sort_block_sort_config_static_selectorELNS0_4arch9wavefront6targetE0EEEvSG_: ; @_ZN7rocprim17ROCPRIM_400000_NS6detail17trampoline_kernelINS0_13kernel_configILj256ELj4ELj4294967295EEENS1_37radix_sort_block_sort_config_selectorI12hip_bfloat16NS0_10empty_typeEEEZNS1_21radix_sort_block_sortIS4_Lb1EPKS6_PS6_PS7_SD_NS0_19identity_decomposerEEE10hipError_tT1_T2_T3_T4_jRjT5_jjP12ihipStream_tbEUlT_E_NS1_11comp_targetILNS1_3genE0ELNS1_11target_archE4294967295ELNS1_3gpuE0ELNS1_3repE0EEENS1_44radix_sort_block_sort_config_static_selectorELNS0_4arch9wavefront6targetE0EEEvSG_
; %bb.0:
	s_clause 0x1
	s_load_b32 s4, s[0:1], 0x20
	s_load_b128 s[20:23], s[0:1], 0x0
	s_bfe_u32 s5, ttmp6, 0x4000c
	s_and_b32 s2, ttmp6, 15
	s_add_co_i32 s5, s5, 1
	s_getreg_b32 s6, hwreg(HW_REG_IB_STS2, 6, 4)
	s_mul_i32 s5, ttmp9, s5
	v_and_b32_e32 v12, 0x3ff, v0
	s_add_co_i32 s2, s2, s5
	s_cmp_eq_u32 s6, 0
	v_mbcnt_lo_u32_b32 v1, -1, 0
	s_cselect_b32 s5, ttmp9, s2
	v_dual_mov_b32 v3, 0 :: v_dual_lshlrev_b32 v4, 2, v12
	s_lshl_b32 s2, s5, 10
	s_mov_b32 s3, 0
	v_lshlrev_b32_e32 v2, 1, v1
                                        ; implicit-def: $vgpr6
                                        ; implicit-def: $vgpr7
	s_delay_alu instid0(VALU_DEP_2) | instskip(SKIP_2) | instid1(SALU_CYCLE_1)
	v_and_b32_e32 v8, 0x380, v4
	s_wait_kmcnt 0x0
	s_lshr_b32 s8, s4, 10
	s_cmp_lg_u32 s5, s8
	s_cselect_b32 s27, -1, 0
	s_lshl_b64 s[24:25], s[2:3], 1
	s_cmp_eq_u32 s5, s8
	s_add_nc_u64 s[6:7], s[20:21], s[24:25]
	s_mov_b32 s5, -1
	v_add_nc_u64_e32 v[4:5], s[6:7], v[2:3]
	v_lshlrev_b32_e32 v2, 1, v8
	s_delay_alu instid0(VALU_DEP_1)
	v_add_nc_u64_e32 v[4:5], v[4:5], v[2:3]
                                        ; implicit-def: $vgpr3
	s_cbranch_scc0 .LBB1888_26
; %bb.1:
	s_load_b64 s[20:21], s[0:1], 0x28
	s_and_not1_b32 vcc_lo, exec_lo, s5
	s_sub_co_i32 s26, s4, s2
	s_cbranch_vccz .LBB1888_27
.LBB1888_2:
	v_mov_b32_e32 v8, -1
	s_and_saveexec_b32 s2, s3
	s_cbranch_execz .LBB1888_4
.LBB1888_3:
	global_load_u16 v8, v[4:5], off offset:192
.LBB1888_4:
	s_wait_xcnt 0x0
	s_or_b32 exec_lo, exec_lo, s2
	s_load_b32 s3, s[0:1], 0x3c
	s_wait_loadcnt 0x2
	v_cmp_gt_i16_e32 vcc_lo, 0, v6
	v_bfe_u32 v5, v0, 10, 10
	v_bfe_u32 v0, v0, 20, 10
	v_and_b32_e32 v16, 0x3e0, v12
	s_get_pc_i64 s[4:5]
	s_add_nc_u64 s[4:5], s[4:5], _ZN7rocprim17ROCPRIM_400000_NS16block_radix_sortI12hip_bfloat16Lj256ELj4ENS0_10empty_typeELj1ELj1ELj0ELNS0_26block_radix_rank_algorithmE1ELNS0_18block_padding_hintE2ELNS0_4arch9wavefront6targetE0EE19radix_bits_per_passE@rel64+4
	v_cndmask_b32_e64 v4, 0x7fff, 0, vcc_lo
	s_wait_loadcnt 0x0
	v_cmp_gt_i16_e32 vcc_lo, 0, v3
	s_load_b32 s28, s[4:5], 0x0
	v_dual_lshrrev_b32 v18, 3, v12 :: v_dual_bitop2_b32 v15, 16, v1 bitop3:0x40
	v_dual_lshlrev_b32 v13, 5, v12 :: v_dual_bitop2_b32 v14, 15, v1 bitop3:0x40
	v_cndmask_b32_e64 v9, 0x7fff, 0, vcc_lo
	v_cmp_gt_i16_e32 vcc_lo, 0, v7
	s_mov_b32 s14, 0
	v_cmp_eq_u32_e64 s7, 0, v15
	s_mov_b32 s15, s14
	s_mov_b32 s16, s14
	v_cndmask_b32_e64 v10, 0x7fff, 0, vcc_lo
	s_wait_kmcnt 0x0
	s_lshr_b32 s2, s3, 16
	v_cmp_gt_i16_e32 vcc_lo, 0, v8
	v_mad_u32_u24 v0, v0, s2, v5
	v_sub_co_u32 v17, s2, v1, 1
	s_and_b32 s3, s3, 0xffff
	v_cndmask_b32_e64 v11, 0x7fff, 0, vcc_lo
	v_mad_u32 v20, v0, s3, v12
	v_cmp_gt_i32_e32 vcc_lo, 0, v17
	v_xor_b32_e32 v5, v4, v6
	v_min_u32_e32 v6, 0xe0, v16
	v_and_b32_e32 v19, 7, v1
	v_and_b32_e32 v16, 0x7c, v18
	s_mov_b32 s17, s14
	v_cmp_gt_u32_e64 s0, 8, v12
	v_or_b32_e32 v6, 31, v6
	v_cmp_lt_u32_e64 s1, 31, v12
	v_cmp_eq_u32_e64 s3, 0, v14
	v_cmp_lt_u32_e64 s4, 1, v14
	v_cmp_lt_u32_e64 s5, 3, v14
	v_cmp_eq_u32_e64 s8, v12, v6
	v_mul_i32_i24_e32 v6, 0xffffffe4, v12
	v_dual_cndmask_b32 v8, v17, v1, vcc_lo :: v_dual_bitop2_b32 v4, v11, v8 bitop3:0x14
	v_xor_b32_e32 v0, v9, v3
	v_dual_add_nc_u32 v17, -4, v16 :: v_dual_bitop2_b32 v3, v10, v7 bitop3:0x14
	v_lshrrev_b32_e32 v7, 3, v20
	s_delay_alu instid0(VALU_DEP_4)
	v_lshlrev_b32_e32 v15, 2, v8
	v_mov_b64_e32 v[8:9], s[14:15]
	v_mov_b64_e32 v[10:11], s[16:17]
	v_cmp_lt_u32_e64 s6, 7, v14
	v_and_b32_e32 v14, 0x1ffffffc, v7
	v_cmp_eq_u32_e64 s9, 0, v12
	v_cmp_eq_u32_e64 s10, 0, v19
	v_cmp_lt_u32_e64 s11, 1, v19
	v_cmp_lt_u32_e64 s12, 3, v19
	v_lshl_add_u32 v18, v1, 1, v2
	v_add_nc_u32_e32 v19, v13, v6
	s_add_co_i32 s29, s21, s20
	s_branch .LBB1888_6
.LBB1888_5:                             ;   in Loop: Header=BB1888_6 Depth=1
	s_and_not1_b32 vcc_lo, exec_lo, s13
	s_cbranch_vccz .LBB1888_22
.LBB1888_6:                             ; =>This Inner Loop Header: Depth=1
	v_mov_b32_e32 v20, v5
	s_min_u32 s13, s28, s21
	ds_store_2addr_b64 v13, v[8:9], v[10:11] offset0:4 offset1:5
	ds_store_2addr_b64 v13, v[8:9], v[10:11] offset0:6 offset1:7
	s_lshl_b32 s30, -1, s13
	s_wait_dscnt 0x0
	v_cmp_ne_u16_e32 vcc_lo, 0x8000, v20
	s_barrier_signal -1
	s_barrier_wait -1
	v_cndmask_b32_e32 v1, 0x7fff, v20, vcc_lo
	; wave barrier
	s_delay_alu instid0(VALU_DEP_1) | instskip(NEXT) | instid1(VALU_DEP_1)
	v_and_b32_e32 v1, 0xffff, v1
	v_lshrrev_b32_e32 v1, s20, v1
	s_delay_alu instid0(VALU_DEP_1) | instskip(SKIP_1) | instid1(VALU_DEP_2)
	v_bitop3_b32 v2, v1, 1, s30 bitop3:0x40
	v_bitop3_b32 v5, v1, s30, v1 bitop3:0x30
	v_add_co_u32 v1, s13, v2, -1
	s_delay_alu instid0(VALU_DEP_1) | instskip(NEXT) | instid1(VALU_DEP_3)
	v_cndmask_b32_e64 v2, 0, 1, s13
	v_dual_lshlrev_b32 v6, 30, v5 :: v_dual_lshlrev_b32 v7, 29, v5
	v_dual_lshlrev_b32 v21, 28, v5 :: v_dual_lshlrev_b32 v22, 27, v5
	v_lshlrev_b32_e32 v23, 26, v5
	s_delay_alu instid0(VALU_DEP_4) | instskip(NEXT) | instid1(VALU_DEP_4)
	v_cmp_ne_u32_e32 vcc_lo, 0, v2
	v_not_b32_e32 v2, v6
	v_cmp_gt_i32_e64 s13, 0, v6
	v_cmp_gt_i32_e64 s14, 0, v7
	v_not_b32_e32 v6, v7
	v_not_b32_e32 v7, v21
	v_dual_ashrrev_i32 v2, 31, v2 :: v_dual_bitop2_b32 v1, vcc_lo, v1 bitop3:0x14
	v_dual_lshlrev_b32 v24, 25, v5 :: v_dual_lshlrev_b32 v25, 24, v5
	v_cmp_gt_i32_e64 s15, 0, v21
	v_cmp_gt_i32_e64 s16, 0, v22
	v_not_b32_e32 v21, v22
	v_not_b32_e32 v22, v23
	v_dual_ashrrev_i32 v6, 31, v6 :: v_dual_ashrrev_i32 v7, 31, v7
	s_delay_alu instid0(VALU_DEP_3)
	v_dual_ashrrev_i32 v21, 31, v21 :: v_dual_bitop2_b32 v2, s13, v2 bitop3:0x14
	v_cmp_gt_i32_e64 s17, 0, v23
	v_cmp_gt_i32_e64 s18, 0, v24
	v_not_b32_e32 v23, v24
	v_not_b32_e32 v24, v25
	v_dual_ashrrev_i32 v22, 31, v22 :: v_dual_bitop2_b32 v7, s15, v7 bitop3:0x14
	v_xor_b32_e32 v6, s14, v6
	v_bitop3_b32 v1, v1, v2, exec_lo bitop3:0x80
	v_cmp_gt_i32_e64 s19, 0, v25
	v_dual_ashrrev_i32 v2, 31, v23 :: v_dual_ashrrev_i32 v23, 31, v24
	v_xor_b32_e32 v21, s16, v21
	v_xor_b32_e32 v22, s17, v22
	v_bitop3_b32 v1, v1, v7, v6 bitop3:0x80
	s_delay_alu instid0(VALU_DEP_4) | instskip(SKIP_2) | instid1(VALU_DEP_4)
	v_xor_b32_e32 v2, s18, v2
	v_dual_mov_b32 v23, v0 :: v_dual_bitop2_b32 v6, s19, v23 bitop3:0x14
	v_lshlrev_b32_e32 v0, 5, v5
	v_bitop3_b32 v1, v1, v22, v21 bitop3:0x80
	v_dual_mov_b32 v22, v3 :: v_dual_mov_b32 v21, v4
	s_delay_alu instid0(VALU_DEP_3) | instskip(NEXT) | instid1(VALU_DEP_3)
	v_add_nc_u32_e32 v25, v14, v0
	v_bitop3_b32 v1, v1, v6, v2 bitop3:0x80
	s_delay_alu instid0(VALU_DEP_1) | instskip(SKIP_1) | instid1(VALU_DEP_2)
	v_mbcnt_lo_u32_b32 v24, v1, 0
	v_cmp_ne_u32_e64 s13, 0, v1
	v_cmp_eq_u32_e32 vcc_lo, 0, v24
	s_and_b32 s14, s13, vcc_lo
	s_delay_alu instid0(SALU_CYCLE_1)
	s_and_saveexec_b32 s13, s14
; %bb.7:                                ;   in Loop: Header=BB1888_6 Depth=1
	v_bcnt_u32_b32 v0, v1, 0
	ds_store_b32 v25, v0 offset:32
; %bb.8:                                ;   in Loop: Header=BB1888_6 Depth=1
	s_or_b32 exec_lo, exec_lo, s13
	v_cmp_ne_u16_e32 vcc_lo, 0x8000, v23
	s_not_b32 s19, s30
	; wave barrier
	v_cndmask_b32_e32 v0, 0x7fff, v23, vcc_lo
	s_delay_alu instid0(VALU_DEP_1) | instskip(NEXT) | instid1(VALU_DEP_1)
	v_and_b32_e32 v0, 0xffff, v0
	v_lshrrev_b32_e32 v0, s20, v0
	s_delay_alu instid0(VALU_DEP_1) | instskip(NEXT) | instid1(VALU_DEP_1)
	v_and_b32_e32 v1, s19, v0
	v_lshlrev_b32_e32 v2, 5, v1
	v_bitop3_b32 v0, v0, 1, s19 bitop3:0x80
	v_lshlrev_b32_e32 v4, 30, v1
	s_delay_alu instid0(VALU_DEP_2) | instskip(NEXT) | instid1(VALU_DEP_1)
	v_add_co_u32 v0, s13, v0, -1
	v_cndmask_b32_e64 v3, 0, 1, s13
	s_delay_alu instid0(VALU_DEP_1) | instskip(NEXT) | instid1(VALU_DEP_4)
	v_cmp_ne_u32_e32 vcc_lo, 0, v3
	v_not_b32_e32 v3, v4
	s_delay_alu instid0(VALU_DEP_1) | instskip(SKIP_3) | instid1(VALU_DEP_4)
	v_dual_ashrrev_i32 v3, 31, v3 :: v_dual_lshlrev_b32 v5, 29, v1
	v_dual_lshlrev_b32 v6, 28, v1 :: v_dual_lshlrev_b32 v7, 27, v1
	v_lshlrev_b32_e32 v26, 26, v1
	v_cmp_gt_i32_e64 s13, 0, v4
	v_cmp_gt_i32_e64 s14, 0, v5
	v_not_b32_e32 v4, v5
	v_not_b32_e32 v5, v6
	v_dual_lshlrev_b32 v27, 25, v1 :: v_dual_lshlrev_b32 v1, 24, v1
	v_cmp_gt_i32_e64 s15, 0, v6
	v_cmp_gt_i32_e64 s16, 0, v7
	v_not_b32_e32 v6, v7
	v_not_b32_e32 v7, v26
	v_dual_ashrrev_i32 v5, 31, v5 :: v_dual_bitop2_b32 v0, vcc_lo, v0 bitop3:0x14
	v_dual_ashrrev_i32 v4, 31, v4 :: v_dual_bitop2_b32 v3, s13, v3 bitop3:0x14
	v_cmp_gt_i32_e64 s17, 0, v26
	v_not_b32_e32 v26, v27
	v_dual_ashrrev_i32 v6, 31, v6 :: v_dual_ashrrev_i32 v7, 31, v7
	s_delay_alu instid0(VALU_DEP_4)
	v_xor_b32_e32 v4, s14, v4
	v_bitop3_b32 v0, v0, v3, exec_lo bitop3:0x80
	v_not_b32_e32 v3, v1
	v_xor_b32_e32 v5, s15, v5
	v_cmp_gt_i32_e64 s18, 0, v27
	v_ashrrev_i32_e32 v26, 31, v26
	v_xor_b32_e32 v6, s16, v6
	v_dual_add_nc_u32 v27, v14, v2 :: v_dual_bitop2_b32 v7, s17, v7 bitop3:0x14
	v_cmp_gt_i32_e32 vcc_lo, 0, v1
	v_ashrrev_i32_e32 v1, 31, v3
	v_bitop3_b32 v0, v0, v5, v4 bitop3:0x80
	v_xor_b32_e32 v2, s18, v26
	ds_load_b32 v26, v27 offset:32
	v_xor_b32_e32 v1, vcc_lo, v1
	v_bitop3_b32 v0, v0, v7, v6 bitop3:0x80
	; wave barrier
	s_delay_alu instid0(VALU_DEP_1) | instskip(NEXT) | instid1(VALU_DEP_1)
	v_bitop3_b32 v0, v0, v1, v2 bitop3:0x80
	v_mbcnt_lo_u32_b32 v28, v0, 0
	v_cmp_ne_u32_e64 s13, 0, v0
	s_delay_alu instid0(VALU_DEP_2) | instskip(SKIP_1) | instid1(SALU_CYCLE_1)
	v_cmp_eq_u32_e32 vcc_lo, 0, v28
	s_and_b32 s14, s13, vcc_lo
	s_and_saveexec_b32 s13, s14
	s_cbranch_execz .LBB1888_10
; %bb.9:                                ;   in Loop: Header=BB1888_6 Depth=1
	s_wait_dscnt 0x0
	v_bcnt_u32_b32 v0, v0, v26
	ds_store_b32 v27, v0 offset:32
.LBB1888_10:                            ;   in Loop: Header=BB1888_6 Depth=1
	s_or_b32 exec_lo, exec_lo, s13
	v_cmp_ne_u16_e32 vcc_lo, 0x8000, v22
	; wave barrier
	v_cndmask_b32_e32 v0, 0x7fff, v22, vcc_lo
	s_delay_alu instid0(VALU_DEP_1) | instskip(NEXT) | instid1(VALU_DEP_1)
	v_and_b32_e32 v0, 0xffff, v0
	v_lshrrev_b32_e32 v0, s20, v0
	s_delay_alu instid0(VALU_DEP_1) | instskip(NEXT) | instid1(VALU_DEP_1)
	v_and_b32_e32 v1, s19, v0
	v_lshlrev_b32_e32 v2, 5, v1
	v_bitop3_b32 v0, v0, 1, s19 bitop3:0x80
	v_lshlrev_b32_e32 v4, 30, v1
	s_delay_alu instid0(VALU_DEP_2) | instskip(NEXT) | instid1(VALU_DEP_1)
	v_add_co_u32 v0, s13, v0, -1
	v_cndmask_b32_e64 v3, 0, 1, s13
	s_delay_alu instid0(VALU_DEP_1) | instskip(NEXT) | instid1(VALU_DEP_4)
	v_cmp_ne_u32_e32 vcc_lo, 0, v3
	v_not_b32_e32 v3, v4
	s_delay_alu instid0(VALU_DEP_1)
	v_dual_ashrrev_i32 v3, 31, v3 :: v_dual_lshlrev_b32 v5, 29, v1
	v_dual_lshlrev_b32 v6, 28, v1 :: v_dual_lshlrev_b32 v7, 27, v1
	v_dual_lshlrev_b32 v29, 26, v1 :: v_dual_lshlrev_b32 v30, 25, v1
	v_lshlrev_b32_e32 v1, 24, v1
	v_cmp_gt_i32_e64 s13, 0, v4
	v_cmp_gt_i32_e64 s14, 0, v5
	v_not_b32_e32 v4, v5
	v_not_b32_e32 v5, v6
	v_cmp_gt_i32_e64 s15, 0, v6
	v_cmp_gt_i32_e64 s16, 0, v7
	v_not_b32_e32 v6, v7
	v_cmp_gt_i32_e64 s17, 0, v29
	v_not_b32_e32 v7, v29
	v_not_b32_e32 v29, v30
	v_dual_ashrrev_i32 v5, 31, v5 :: v_dual_bitop2_b32 v0, vcc_lo, v0 bitop3:0x14
	v_dual_ashrrev_i32 v4, 31, v4 :: v_dual_ashrrev_i32 v6, 31, v6
	v_xor_b32_e32 v3, s13, v3
	v_not_b32_e32 v31, v1
	s_delay_alu instid0(VALU_DEP_3) | instskip(SKIP_1) | instid1(VALU_DEP_4)
	v_dual_ashrrev_i32 v7, 31, v7 :: v_dual_bitop2_b32 v4, s14, v4 bitop3:0x14
	v_xor_b32_e32 v5, s15, v5
	v_bitop3_b32 v0, v0, v3, exec_lo bitop3:0x80
	v_xor_b32_e32 v6, s16, v6
	s_delay_alu instid0(VALU_DEP_4)
	v_xor_b32_e32 v3, s17, v7
	v_cmp_gt_i32_e32 vcc_lo, 0, v30
	v_ashrrev_i32_e32 v7, 31, v29
	v_cmp_gt_i32_e64 s13, 0, v1
	v_ashrrev_i32_e32 v1, 31, v31
	v_bitop3_b32 v0, v0, v5, v4 bitop3:0x80
	s_delay_alu instid0(VALU_DEP_4) | instskip(NEXT) | instid1(VALU_DEP_3)
	v_dual_add_nc_u32 v31, v14, v2 :: v_dual_bitop2_b32 v2, vcc_lo, v7 bitop3:0x14
	v_xor_b32_e32 v1, s13, v1
	s_delay_alu instid0(VALU_DEP_3) | instskip(SKIP_2) | instid1(VALU_DEP_1)
	v_bitop3_b32 v0, v0, v3, v6 bitop3:0x80
	ds_load_b32 v29, v31 offset:32
	; wave barrier
	v_bitop3_b32 v0, v0, v1, v2 bitop3:0x80
	v_mbcnt_lo_u32_b32 v30, v0, 0
	v_cmp_ne_u32_e64 s13, 0, v0
	s_delay_alu instid0(VALU_DEP_2) | instskip(SKIP_1) | instid1(SALU_CYCLE_1)
	v_cmp_eq_u32_e32 vcc_lo, 0, v30
	s_and_b32 s14, s13, vcc_lo
	s_and_saveexec_b32 s13, s14
	s_cbranch_execz .LBB1888_12
; %bb.11:                               ;   in Loop: Header=BB1888_6 Depth=1
	s_wait_dscnt 0x0
	v_bcnt_u32_b32 v0, v0, v29
	ds_store_b32 v31, v0 offset:32
.LBB1888_12:                            ;   in Loop: Header=BB1888_6 Depth=1
	s_or_b32 exec_lo, exec_lo, s13
	v_cmp_ne_u16_e32 vcc_lo, 0x8000, v21
	; wave barrier
	v_cndmask_b32_e32 v0, 0x7fff, v21, vcc_lo
	s_delay_alu instid0(VALU_DEP_1) | instskip(NEXT) | instid1(VALU_DEP_1)
	v_and_b32_e32 v0, 0xffff, v0
	v_lshrrev_b32_e32 v0, s20, v0
	s_delay_alu instid0(VALU_DEP_1) | instskip(NEXT) | instid1(VALU_DEP_1)
	v_and_b32_e32 v1, s19, v0
	v_lshlrev_b32_e32 v2, 5, v1
	v_bitop3_b32 v0, v0, 1, s19 bitop3:0x80
	v_dual_lshlrev_b32 v4, 30, v1 :: v_dual_lshlrev_b32 v5, 29, v1
	v_lshlrev_b32_e32 v6, 28, v1
	s_delay_alu instid0(VALU_DEP_3) | instskip(NEXT) | instid1(VALU_DEP_1)
	v_add_co_u32 v0, s13, v0, -1
	v_cndmask_b32_e64 v3, 0, 1, s13
	s_delay_alu instid0(VALU_DEP_4) | instskip(SKIP_1) | instid1(VALU_DEP_3)
	v_cmp_gt_i32_e64 s13, 0, v4
	v_cmp_gt_i32_e64 s14, 0, v5
	v_cmp_ne_u32_e32 vcc_lo, 0, v3
	v_not_b32_e32 v3, v4
	v_not_b32_e32 v4, v5
	;; [unrolled: 1-line block ×3, first 2 shown]
	s_delay_alu instid0(VALU_DEP_3) | instskip(NEXT) | instid1(VALU_DEP_2)
	v_dual_ashrrev_i32 v3, 31, v3 :: v_dual_bitop2_b32 v0, vcc_lo, v0 bitop3:0x14
	v_ashrrev_i32_e32 v5, 31, v5
	v_dual_lshlrev_b32 v7, 27, v1 :: v_dual_lshlrev_b32 v32, 26, v1
	v_dual_lshlrev_b32 v33, 25, v1 :: v_dual_lshlrev_b32 v1, 24, v1
	v_cmp_gt_i32_e64 s15, 0, v6
	s_delay_alu instid0(VALU_DEP_3) | instskip(SKIP_4) | instid1(VALU_DEP_4)
	v_cmp_gt_i32_e64 s16, 0, v7
	v_not_b32_e32 v6, v7
	v_cmp_gt_i32_e64 s17, 0, v32
	v_not_b32_e32 v7, v32
	v_not_b32_e32 v32, v33
	v_dual_ashrrev_i32 v4, 31, v4 :: v_dual_ashrrev_i32 v6, 31, v6
	v_xor_b32_e32 v3, s13, v3
	v_not_b32_e32 v34, v1
	s_delay_alu instid0(VALU_DEP_3) | instskip(SKIP_1) | instid1(VALU_DEP_4)
	v_dual_ashrrev_i32 v7, 31, v7 :: v_dual_bitop2_b32 v4, s14, v4 bitop3:0x14
	v_xor_b32_e32 v5, s15, v5
	v_bitop3_b32 v0, v0, v3, exec_lo bitop3:0x80
	v_xor_b32_e32 v6, s16, v6
	s_delay_alu instid0(VALU_DEP_4)
	v_xor_b32_e32 v3, s17, v7
	v_cmp_gt_i32_e32 vcc_lo, 0, v33
	v_ashrrev_i32_e32 v7, 31, v32
	v_cmp_gt_i32_e64 s13, 0, v1
	v_ashrrev_i32_e32 v1, 31, v34
	v_bitop3_b32 v0, v0, v5, v4 bitop3:0x80
	s_delay_alu instid0(VALU_DEP_4) | instskip(NEXT) | instid1(VALU_DEP_3)
	v_dual_add_nc_u32 v34, v14, v2 :: v_dual_bitop2_b32 v2, vcc_lo, v7 bitop3:0x14
	v_xor_b32_e32 v1, s13, v1
	s_delay_alu instid0(VALU_DEP_3) | instskip(SKIP_2) | instid1(VALU_DEP_1)
	v_bitop3_b32 v0, v0, v3, v6 bitop3:0x80
	ds_load_b32 v32, v34 offset:32
	; wave barrier
	v_bitop3_b32 v0, v0, v1, v2 bitop3:0x80
	v_mbcnt_lo_u32_b32 v33, v0, 0
	v_cmp_ne_u32_e64 s13, 0, v0
	s_delay_alu instid0(VALU_DEP_2) | instskip(SKIP_1) | instid1(SALU_CYCLE_1)
	v_cmp_eq_u32_e32 vcc_lo, 0, v33
	s_and_b32 s14, s13, vcc_lo
	s_and_saveexec_b32 s13, s14
	s_cbranch_execz .LBB1888_14
; %bb.13:                               ;   in Loop: Header=BB1888_6 Depth=1
	s_wait_dscnt 0x0
	v_bcnt_u32_b32 v0, v0, v32
	ds_store_b32 v34, v0 offset:32
.LBB1888_14:                            ;   in Loop: Header=BB1888_6 Depth=1
	s_or_b32 exec_lo, exec_lo, s13
	; wave barrier
	s_wait_dscnt 0x0
	s_barrier_signal -1
	s_barrier_wait -1
	ds_load_2addr_b64 v[4:7], v13 offset0:4 offset1:5
	ds_load_2addr_b64 v[0:3], v13 offset0:6 offset1:7
	s_wait_dscnt 0x1
	v_add_nc_u32_e32 v35, v5, v4
	s_delay_alu instid0(VALU_DEP_1) | instskip(SKIP_1) | instid1(VALU_DEP_1)
	v_add3_u32 v35, v35, v6, v7
	s_wait_dscnt 0x0
	v_add3_u32 v35, v35, v0, v1
	s_delay_alu instid0(VALU_DEP_1) | instskip(NEXT) | instid1(VALU_DEP_1)
	v_add3_u32 v3, v35, v2, v3
	v_mov_b32_dpp v35, v3 row_shr:1 row_mask:0xf bank_mask:0xf
	s_delay_alu instid0(VALU_DEP_1) | instskip(NEXT) | instid1(VALU_DEP_1)
	v_cndmask_b32_e64 v35, v35, 0, s3
	v_add_nc_u32_e32 v3, v35, v3
	s_delay_alu instid0(VALU_DEP_1) | instskip(NEXT) | instid1(VALU_DEP_1)
	v_mov_b32_dpp v35, v3 row_shr:2 row_mask:0xf bank_mask:0xf
	v_cndmask_b32_e64 v35, 0, v35, s4
	s_delay_alu instid0(VALU_DEP_1) | instskip(NEXT) | instid1(VALU_DEP_1)
	v_add_nc_u32_e32 v3, v3, v35
	v_mov_b32_dpp v35, v3 row_shr:4 row_mask:0xf bank_mask:0xf
	s_delay_alu instid0(VALU_DEP_1) | instskip(NEXT) | instid1(VALU_DEP_1)
	v_cndmask_b32_e64 v35, 0, v35, s5
	v_add_nc_u32_e32 v3, v3, v35
	s_delay_alu instid0(VALU_DEP_1) | instskip(NEXT) | instid1(VALU_DEP_1)
	v_mov_b32_dpp v35, v3 row_shr:8 row_mask:0xf bank_mask:0xf
	v_cndmask_b32_e64 v35, 0, v35, s6
	s_delay_alu instid0(VALU_DEP_1) | instskip(SKIP_3) | instid1(VALU_DEP_1)
	v_add_nc_u32_e32 v3, v3, v35
	ds_swizzle_b32 v35, v3 offset:swizzle(BROADCAST,32,15)
	s_wait_dscnt 0x0
	v_cndmask_b32_e64 v35, v35, 0, s7
	v_add_nc_u32_e32 v3, v3, v35
	s_and_saveexec_b32 s13, s8
; %bb.15:                               ;   in Loop: Header=BB1888_6 Depth=1
	ds_store_b32 v16, v3
; %bb.16:                               ;   in Loop: Header=BB1888_6 Depth=1
	s_or_b32 exec_lo, exec_lo, s13
	s_wait_dscnt 0x0
	s_barrier_signal -1
	s_barrier_wait -1
	s_and_saveexec_b32 s13, s0
	s_cbranch_execz .LBB1888_18
; %bb.17:                               ;   in Loop: Header=BB1888_6 Depth=1
	ds_load_b32 v35, v19
	s_wait_dscnt 0x0
	v_mov_b32_dpp v36, v35 row_shr:1 row_mask:0xf bank_mask:0xf
	s_delay_alu instid0(VALU_DEP_1) | instskip(NEXT) | instid1(VALU_DEP_1)
	v_cndmask_b32_e64 v36, v36, 0, s10
	v_add_nc_u32_e32 v35, v36, v35
	s_delay_alu instid0(VALU_DEP_1) | instskip(NEXT) | instid1(VALU_DEP_1)
	v_mov_b32_dpp v36, v35 row_shr:2 row_mask:0xf bank_mask:0xf
	v_cndmask_b32_e64 v36, 0, v36, s11
	s_delay_alu instid0(VALU_DEP_1) | instskip(NEXT) | instid1(VALU_DEP_1)
	v_add_nc_u32_e32 v35, v35, v36
	v_mov_b32_dpp v36, v35 row_shr:4 row_mask:0xf bank_mask:0xf
	s_delay_alu instid0(VALU_DEP_1) | instskip(NEXT) | instid1(VALU_DEP_1)
	v_cndmask_b32_e64 v36, 0, v36, s12
	v_add_nc_u32_e32 v35, v35, v36
	ds_store_b32 v19, v35
.LBB1888_18:                            ;   in Loop: Header=BB1888_6 Depth=1
	s_or_b32 exec_lo, exec_lo, s13
	v_mov_b32_e32 v35, 0
	s_wait_dscnt 0x0
	s_barrier_signal -1
	s_barrier_wait -1
	s_and_saveexec_b32 s13, s1
; %bb.19:                               ;   in Loop: Header=BB1888_6 Depth=1
	ds_load_b32 v35, v17
; %bb.20:                               ;   in Loop: Header=BB1888_6 Depth=1
	s_or_b32 exec_lo, exec_lo, s13
	s_wait_dscnt 0x0
	v_add_nc_u32_e32 v3, v35, v3
	s_add_co_i32 s20, s20, 8
	s_mov_b32 s13, -1
	s_cmp_ge_u32 s20, s29
	ds_bpermute_b32 v3, v15, v3
	s_wait_dscnt 0x0
	v_cndmask_b32_e64 v3, v3, v35, s2
	s_delay_alu instid0(VALU_DEP_1) | instskip(NEXT) | instid1(VALU_DEP_1)
	v_cndmask_b32_e64 v36, v3, 0, s9
	v_add_nc_u32_e32 v37, v36, v4
	s_delay_alu instid0(VALU_DEP_1) | instskip(NEXT) | instid1(VALU_DEP_1)
	v_add_nc_u32_e32 v4, v37, v5
	v_add_nc_u32_e32 v5, v4, v6
	s_delay_alu instid0(VALU_DEP_1) | instskip(NEXT) | instid1(VALU_DEP_1)
	v_add_nc_u32_e32 v6, v5, v7
	;; [unrolled: 3-line block ×3, first 2 shown]
	v_add_nc_u32_e32 v1, v0, v2
	ds_store_2addr_b64 v13, v[36:37], v[4:5] offset0:4 offset1:5
	ds_store_2addr_b64 v13, v[6:7], v[0:1] offset0:6 offset1:7
	s_wait_dscnt 0x0
	s_barrier_signal -1
	s_barrier_wait -1
	ds_load_b32 v0, v27 offset:32
	ds_load_b32 v1, v31 offset:32
	ds_load_b32 v2, v34 offset:32
	ds_load_b32 v3, v25 offset:32
	v_lshlrev_b32_e32 v4, 1, v24
	v_dual_lshlrev_b32 v5, 1, v28 :: v_dual_lshlrev_b32 v6, 1, v26
	v_dual_lshlrev_b32 v7, 1, v30 :: v_dual_lshlrev_b32 v24, 1, v29
	;; [unrolled: 1-line block ×3, first 2 shown]
	s_wait_dscnt 0x0
	v_dual_lshlrev_b32 v0, 1, v0 :: v_dual_lshlrev_b32 v27, 1, v1
	v_lshlrev_b32_e32 v28, 1, v2
	v_lshl_add_u32 v1, v3, 1, v4
                                        ; implicit-def: $vgpr4
                                        ; implicit-def: $vgpr3
	s_delay_alu instid0(VALU_DEP_3) | instskip(NEXT) | instid1(VALU_DEP_4)
	v_add3_u32 v2, v5, v6, v0
	v_add3_u32 v6, v7, v24, v27
	s_delay_alu instid0(VALU_DEP_4)
	v_add3_u32 v7, v25, v26, v28
                                        ; implicit-def: $vgpr5
                                        ; implicit-def: $vgpr0
	s_cbranch_scc1 .LBB1888_5
; %bb.21:                               ;   in Loop: Header=BB1888_6 Depth=1
	s_barrier_signal -1
	s_barrier_wait -1
	ds_store_b16 v1, v20
	ds_store_b16 v2, v23
	;; [unrolled: 1-line block ×4, first 2 shown]
	s_wait_dscnt 0x0
	s_barrier_signal -1
	s_barrier_wait -1
	ds_load_u16 v5, v18
	ds_load_u16 v0, v18 offset:64
	ds_load_u16 v3, v18 offset:128
	;; [unrolled: 1-line block ×3, first 2 shown]
	s_add_co_i32 s21, s21, -8
	s_mov_b32 s13, 0
	s_wait_dscnt 0x0
	s_barrier_signal -1
	s_barrier_wait -1
	s_branch .LBB1888_5
.LBB1888_22:
	v_lshlrev_b32_e32 v0, 1, v12
	s_barrier_signal -1
	s_barrier_wait -1
	ds_store_b16 v1, v20
	ds_store_b16 v2, v23
	ds_store_b16 v6, v22
	ds_store_b16 v7, v21
	s_wait_dscnt 0x0
	s_barrier_signal -1
	s_barrier_wait -1
	v_mov_b32_e32 v1, 0
	ds_load_u16 v3, v0
	ds_load_u16 v4, v0 offset:512
	ds_load_u16 v6, v0 offset:1024
	;; [unrolled: 1-line block ×3, first 2 shown]
	s_add_nc_u64 s[0:1], s[22:23], s[24:25]
	s_delay_alu instid0(SALU_CYCLE_1)
	v_add_nc_u64_e32 v[0:1], s[0:1], v[0:1]
	s_mov_b32 s0, 0
	s_mov_b32 s1, -1
	s_wait_dscnt 0x3
	v_cmp_gt_i16_e32 vcc_lo, 0, v3
	v_cndmask_b32_e64 v5, 0x7fff, 0, vcc_lo
	s_wait_dscnt 0x2
	v_cmp_gt_i16_e32 vcc_lo, 0, v4
	s_delay_alu instid0(VALU_DEP_2) | instskip(SKIP_3) | instid1(VALU_DEP_2)
	v_xor_b32_e32 v5, v5, v3
	v_cndmask_b32_e64 v7, 0x7fff, 0, vcc_lo
	s_wait_dscnt 0x1
	v_cmp_gt_i16_e32 vcc_lo, 0, v6
	v_xor_b32_e32 v4, v7, v4
	v_cndmask_b32_e64 v8, 0x7fff, 0, vcc_lo
	s_and_not1_b32 vcc_lo, exec_lo, s27
	s_delay_alu instid0(VALU_DEP_1)
	v_xor_b32_e32 v3, v8, v6
	s_cbranch_vccz .LBB1888_34
; %bb.23:
	s_and_not1_b32 vcc_lo, exec_lo, s1
	s_cbranch_vccz .LBB1888_35
.LBB1888_24:
	s_wait_xcnt 0x0
	s_and_saveexec_b32 s1, s0
	s_cbranch_execnz .LBB1888_42
.LBB1888_25:
	s_endpgm
.LBB1888_26:
	s_clause 0x2
	global_load_u16 v6, v[4:5], off
	global_load_u16 v3, v[4:5], off offset:64
	global_load_u16 v7, v[4:5], off offset:128
	s_mov_b32 s3, -1
	s_load_b64 s[20:21], s[0:1], 0x28
	s_sub_co_i32 s26, s4, s2
	s_cbranch_execnz .LBB1888_2
.LBB1888_27:
	s_wait_loadcnt 0x1
	v_dual_mov_b32 v3, -1 :: v_dual_bitop2_b32 v8, v1, v8 bitop3:0x54
	v_mov_b32_e32 v6, -1
	s_mov_b32 s2, exec_lo
	s_delay_alu instid0(VALU_DEP_2)
	v_cmpx_gt_u32_e64 s26, v8
	s_cbranch_execz .LBB1888_29
; %bb.28:
	global_load_u16 v6, v[4:5], off
.LBB1888_29:
	s_wait_xcnt 0x0
	s_or_b32 exec_lo, exec_lo, s2
	s_wait_loadcnt 0x0
	v_or_b32_e32 v7, 32, v8
	s_mov_b32 s2, exec_lo
	s_delay_alu instid0(VALU_DEP_1)
	v_cmpx_gt_u32_e64 s26, v7
	s_cbranch_execz .LBB1888_31
; %bb.30:
	global_load_u16 v3, v[4:5], off offset:64
.LBB1888_31:
	s_wait_xcnt 0x0
	s_or_b32 exec_lo, exec_lo, s2
	v_or_b32_e32 v7, 64, v8
	s_delay_alu instid0(VALU_DEP_1)
	v_cmp_gt_u32_e32 vcc_lo, s26, v7
	v_mov_b32_e32 v7, -1
	s_and_saveexec_b32 s2, vcc_lo
	s_cbranch_execz .LBB1888_33
; %bb.32:
	global_load_u16 v7, v[4:5], off offset:128
.LBB1888_33:
	s_wait_xcnt 0x0
	s_or_b32 exec_lo, exec_lo, s2
	v_or_b32_e32 v8, 0x60, v8
	s_delay_alu instid0(VALU_DEP_1)
	v_cmp_gt_u32_e64 s3, s26, v8
	v_mov_b32_e32 v8, -1
	s_and_saveexec_b32 s2, s3
	s_cbranch_execnz .LBB1888_3
	s_branch .LBB1888_4
.LBB1888_34:
	s_mov_b32 s0, -1
	s_clause 0x2
	global_store_b16 v[0:1], v5, off
	global_store_b16 v[0:1], v4, off offset:512
	global_store_b16 v[0:1], v3, off offset:1024
	s_cbranch_execnz .LBB1888_24
.LBB1888_35:
	s_mov_b32 s0, exec_lo
	s_wait_xcnt 0x0
	v_cmpx_gt_u32_e64 s26, v12
	s_cbranch_execz .LBB1888_37
; %bb.36:
	global_store_b16 v[0:1], v5, off
.LBB1888_37:
	s_wait_xcnt 0x0
	s_or_b32 exec_lo, exec_lo, s0
	v_add_nc_u32_e32 v5, 0x100, v12
	s_mov_b32 s0, exec_lo
	s_delay_alu instid0(VALU_DEP_1)
	v_cmpx_gt_u32_e64 s26, v5
	s_cbranch_execz .LBB1888_39
; %bb.38:
	global_store_b16 v[0:1], v4, off offset:512
.LBB1888_39:
	s_wait_xcnt 0x0
	s_or_b32 exec_lo, exec_lo, s0
	v_add_nc_u32_e32 v4, 0x200, v12
	s_mov_b32 s0, exec_lo
	s_delay_alu instid0(VALU_DEP_1)
	v_cmpx_gt_u32_e64 s26, v4
	s_cbranch_execz .LBB1888_41
; %bb.40:
	global_store_b16 v[0:1], v3, off offset:1024
.LBB1888_41:
	s_wait_xcnt 0x0
	s_or_b32 exec_lo, exec_lo, s0
	v_add_nc_u32_e32 v3, 0x300, v12
	s_delay_alu instid0(VALU_DEP_1)
	v_cmp_gt_u32_e64 s0, s26, v3
	s_and_saveexec_b32 s1, s0
	s_cbranch_execz .LBB1888_25
.LBB1888_42:
	s_wait_dscnt 0x0
	v_cmp_gt_i16_e32 vcc_lo, 0, v2
	v_cndmask_b32_e64 v3, 0x7fff, 0, vcc_lo
	s_delay_alu instid0(VALU_DEP_1)
	v_xor_b32_e32 v2, v3, v2
	global_store_b16 v[0:1], v2, off offset:1536
	s_endpgm
	.section	.rodata,"a",@progbits
	.p2align	6, 0x0
	.amdhsa_kernel _ZN7rocprim17ROCPRIM_400000_NS6detail17trampoline_kernelINS0_13kernel_configILj256ELj4ELj4294967295EEENS1_37radix_sort_block_sort_config_selectorI12hip_bfloat16NS0_10empty_typeEEEZNS1_21radix_sort_block_sortIS4_Lb1EPKS6_PS6_PS7_SD_NS0_19identity_decomposerEEE10hipError_tT1_T2_T3_T4_jRjT5_jjP12ihipStream_tbEUlT_E_NS1_11comp_targetILNS1_3genE0ELNS1_11target_archE4294967295ELNS1_3gpuE0ELNS1_3repE0EEENS1_44radix_sort_block_sort_config_static_selectorELNS0_4arch9wavefront6targetE0EEEvSG_
		.amdhsa_group_segment_fixed_size 8224
		.amdhsa_private_segment_fixed_size 0
		.amdhsa_kernarg_size 304
		.amdhsa_user_sgpr_count 2
		.amdhsa_user_sgpr_dispatch_ptr 0
		.amdhsa_user_sgpr_queue_ptr 0
		.amdhsa_user_sgpr_kernarg_segment_ptr 1
		.amdhsa_user_sgpr_dispatch_id 0
		.amdhsa_user_sgpr_kernarg_preload_length 0
		.amdhsa_user_sgpr_kernarg_preload_offset 0
		.amdhsa_user_sgpr_private_segment_size 0
		.amdhsa_wavefront_size32 1
		.amdhsa_uses_dynamic_stack 0
		.amdhsa_enable_private_segment 0
		.amdhsa_system_sgpr_workgroup_id_x 1
		.amdhsa_system_sgpr_workgroup_id_y 0
		.amdhsa_system_sgpr_workgroup_id_z 0
		.amdhsa_system_sgpr_workgroup_info 0
		.amdhsa_system_vgpr_workitem_id 2
		.amdhsa_next_free_vgpr 38
		.amdhsa_next_free_sgpr 31
		.amdhsa_named_barrier_count 0
		.amdhsa_reserve_vcc 1
		.amdhsa_float_round_mode_32 0
		.amdhsa_float_round_mode_16_64 0
		.amdhsa_float_denorm_mode_32 3
		.amdhsa_float_denorm_mode_16_64 3
		.amdhsa_fp16_overflow 0
		.amdhsa_memory_ordered 1
		.amdhsa_forward_progress 1
		.amdhsa_inst_pref_size 30
		.amdhsa_round_robin_scheduling 0
		.amdhsa_exception_fp_ieee_invalid_op 0
		.amdhsa_exception_fp_denorm_src 0
		.amdhsa_exception_fp_ieee_div_zero 0
		.amdhsa_exception_fp_ieee_overflow 0
		.amdhsa_exception_fp_ieee_underflow 0
		.amdhsa_exception_fp_ieee_inexact 0
		.amdhsa_exception_int_div_zero 0
	.end_amdhsa_kernel
	.section	.text._ZN7rocprim17ROCPRIM_400000_NS6detail17trampoline_kernelINS0_13kernel_configILj256ELj4ELj4294967295EEENS1_37radix_sort_block_sort_config_selectorI12hip_bfloat16NS0_10empty_typeEEEZNS1_21radix_sort_block_sortIS4_Lb1EPKS6_PS6_PS7_SD_NS0_19identity_decomposerEEE10hipError_tT1_T2_T3_T4_jRjT5_jjP12ihipStream_tbEUlT_E_NS1_11comp_targetILNS1_3genE0ELNS1_11target_archE4294967295ELNS1_3gpuE0ELNS1_3repE0EEENS1_44radix_sort_block_sort_config_static_selectorELNS0_4arch9wavefront6targetE0EEEvSG_,"axG",@progbits,_ZN7rocprim17ROCPRIM_400000_NS6detail17trampoline_kernelINS0_13kernel_configILj256ELj4ELj4294967295EEENS1_37radix_sort_block_sort_config_selectorI12hip_bfloat16NS0_10empty_typeEEEZNS1_21radix_sort_block_sortIS4_Lb1EPKS6_PS6_PS7_SD_NS0_19identity_decomposerEEE10hipError_tT1_T2_T3_T4_jRjT5_jjP12ihipStream_tbEUlT_E_NS1_11comp_targetILNS1_3genE0ELNS1_11target_archE4294967295ELNS1_3gpuE0ELNS1_3repE0EEENS1_44radix_sort_block_sort_config_static_selectorELNS0_4arch9wavefront6targetE0EEEvSG_,comdat
.Lfunc_end1888:
	.size	_ZN7rocprim17ROCPRIM_400000_NS6detail17trampoline_kernelINS0_13kernel_configILj256ELj4ELj4294967295EEENS1_37radix_sort_block_sort_config_selectorI12hip_bfloat16NS0_10empty_typeEEEZNS1_21radix_sort_block_sortIS4_Lb1EPKS6_PS6_PS7_SD_NS0_19identity_decomposerEEE10hipError_tT1_T2_T3_T4_jRjT5_jjP12ihipStream_tbEUlT_E_NS1_11comp_targetILNS1_3genE0ELNS1_11target_archE4294967295ELNS1_3gpuE0ELNS1_3repE0EEENS1_44radix_sort_block_sort_config_static_selectorELNS0_4arch9wavefront6targetE0EEEvSG_, .Lfunc_end1888-_ZN7rocprim17ROCPRIM_400000_NS6detail17trampoline_kernelINS0_13kernel_configILj256ELj4ELj4294967295EEENS1_37radix_sort_block_sort_config_selectorI12hip_bfloat16NS0_10empty_typeEEEZNS1_21radix_sort_block_sortIS4_Lb1EPKS6_PS6_PS7_SD_NS0_19identity_decomposerEEE10hipError_tT1_T2_T3_T4_jRjT5_jjP12ihipStream_tbEUlT_E_NS1_11comp_targetILNS1_3genE0ELNS1_11target_archE4294967295ELNS1_3gpuE0ELNS1_3repE0EEENS1_44radix_sort_block_sort_config_static_selectorELNS0_4arch9wavefront6targetE0EEEvSG_
                                        ; -- End function
	.set _ZN7rocprim17ROCPRIM_400000_NS6detail17trampoline_kernelINS0_13kernel_configILj256ELj4ELj4294967295EEENS1_37radix_sort_block_sort_config_selectorI12hip_bfloat16NS0_10empty_typeEEEZNS1_21radix_sort_block_sortIS4_Lb1EPKS6_PS6_PS7_SD_NS0_19identity_decomposerEEE10hipError_tT1_T2_T3_T4_jRjT5_jjP12ihipStream_tbEUlT_E_NS1_11comp_targetILNS1_3genE0ELNS1_11target_archE4294967295ELNS1_3gpuE0ELNS1_3repE0EEENS1_44radix_sort_block_sort_config_static_selectorELNS0_4arch9wavefront6targetE0EEEvSG_.num_vgpr, 38
	.set _ZN7rocprim17ROCPRIM_400000_NS6detail17trampoline_kernelINS0_13kernel_configILj256ELj4ELj4294967295EEENS1_37radix_sort_block_sort_config_selectorI12hip_bfloat16NS0_10empty_typeEEEZNS1_21radix_sort_block_sortIS4_Lb1EPKS6_PS6_PS7_SD_NS0_19identity_decomposerEEE10hipError_tT1_T2_T3_T4_jRjT5_jjP12ihipStream_tbEUlT_E_NS1_11comp_targetILNS1_3genE0ELNS1_11target_archE4294967295ELNS1_3gpuE0ELNS1_3repE0EEENS1_44radix_sort_block_sort_config_static_selectorELNS0_4arch9wavefront6targetE0EEEvSG_.num_agpr, 0
	.set _ZN7rocprim17ROCPRIM_400000_NS6detail17trampoline_kernelINS0_13kernel_configILj256ELj4ELj4294967295EEENS1_37radix_sort_block_sort_config_selectorI12hip_bfloat16NS0_10empty_typeEEEZNS1_21radix_sort_block_sortIS4_Lb1EPKS6_PS6_PS7_SD_NS0_19identity_decomposerEEE10hipError_tT1_T2_T3_T4_jRjT5_jjP12ihipStream_tbEUlT_E_NS1_11comp_targetILNS1_3genE0ELNS1_11target_archE4294967295ELNS1_3gpuE0ELNS1_3repE0EEENS1_44radix_sort_block_sort_config_static_selectorELNS0_4arch9wavefront6targetE0EEEvSG_.numbered_sgpr, 31
	.set _ZN7rocprim17ROCPRIM_400000_NS6detail17trampoline_kernelINS0_13kernel_configILj256ELj4ELj4294967295EEENS1_37radix_sort_block_sort_config_selectorI12hip_bfloat16NS0_10empty_typeEEEZNS1_21radix_sort_block_sortIS4_Lb1EPKS6_PS6_PS7_SD_NS0_19identity_decomposerEEE10hipError_tT1_T2_T3_T4_jRjT5_jjP12ihipStream_tbEUlT_E_NS1_11comp_targetILNS1_3genE0ELNS1_11target_archE4294967295ELNS1_3gpuE0ELNS1_3repE0EEENS1_44radix_sort_block_sort_config_static_selectorELNS0_4arch9wavefront6targetE0EEEvSG_.num_named_barrier, 0
	.set _ZN7rocprim17ROCPRIM_400000_NS6detail17trampoline_kernelINS0_13kernel_configILj256ELj4ELj4294967295EEENS1_37radix_sort_block_sort_config_selectorI12hip_bfloat16NS0_10empty_typeEEEZNS1_21radix_sort_block_sortIS4_Lb1EPKS6_PS6_PS7_SD_NS0_19identity_decomposerEEE10hipError_tT1_T2_T3_T4_jRjT5_jjP12ihipStream_tbEUlT_E_NS1_11comp_targetILNS1_3genE0ELNS1_11target_archE4294967295ELNS1_3gpuE0ELNS1_3repE0EEENS1_44radix_sort_block_sort_config_static_selectorELNS0_4arch9wavefront6targetE0EEEvSG_.private_seg_size, 0
	.set _ZN7rocprim17ROCPRIM_400000_NS6detail17trampoline_kernelINS0_13kernel_configILj256ELj4ELj4294967295EEENS1_37radix_sort_block_sort_config_selectorI12hip_bfloat16NS0_10empty_typeEEEZNS1_21radix_sort_block_sortIS4_Lb1EPKS6_PS6_PS7_SD_NS0_19identity_decomposerEEE10hipError_tT1_T2_T3_T4_jRjT5_jjP12ihipStream_tbEUlT_E_NS1_11comp_targetILNS1_3genE0ELNS1_11target_archE4294967295ELNS1_3gpuE0ELNS1_3repE0EEENS1_44radix_sort_block_sort_config_static_selectorELNS0_4arch9wavefront6targetE0EEEvSG_.uses_vcc, 1
	.set _ZN7rocprim17ROCPRIM_400000_NS6detail17trampoline_kernelINS0_13kernel_configILj256ELj4ELj4294967295EEENS1_37radix_sort_block_sort_config_selectorI12hip_bfloat16NS0_10empty_typeEEEZNS1_21radix_sort_block_sortIS4_Lb1EPKS6_PS6_PS7_SD_NS0_19identity_decomposerEEE10hipError_tT1_T2_T3_T4_jRjT5_jjP12ihipStream_tbEUlT_E_NS1_11comp_targetILNS1_3genE0ELNS1_11target_archE4294967295ELNS1_3gpuE0ELNS1_3repE0EEENS1_44radix_sort_block_sort_config_static_selectorELNS0_4arch9wavefront6targetE0EEEvSG_.uses_flat_scratch, 0
	.set _ZN7rocprim17ROCPRIM_400000_NS6detail17trampoline_kernelINS0_13kernel_configILj256ELj4ELj4294967295EEENS1_37radix_sort_block_sort_config_selectorI12hip_bfloat16NS0_10empty_typeEEEZNS1_21radix_sort_block_sortIS4_Lb1EPKS6_PS6_PS7_SD_NS0_19identity_decomposerEEE10hipError_tT1_T2_T3_T4_jRjT5_jjP12ihipStream_tbEUlT_E_NS1_11comp_targetILNS1_3genE0ELNS1_11target_archE4294967295ELNS1_3gpuE0ELNS1_3repE0EEENS1_44radix_sort_block_sort_config_static_selectorELNS0_4arch9wavefront6targetE0EEEvSG_.has_dyn_sized_stack, 0
	.set _ZN7rocprim17ROCPRIM_400000_NS6detail17trampoline_kernelINS0_13kernel_configILj256ELj4ELj4294967295EEENS1_37radix_sort_block_sort_config_selectorI12hip_bfloat16NS0_10empty_typeEEEZNS1_21radix_sort_block_sortIS4_Lb1EPKS6_PS6_PS7_SD_NS0_19identity_decomposerEEE10hipError_tT1_T2_T3_T4_jRjT5_jjP12ihipStream_tbEUlT_E_NS1_11comp_targetILNS1_3genE0ELNS1_11target_archE4294967295ELNS1_3gpuE0ELNS1_3repE0EEENS1_44radix_sort_block_sort_config_static_selectorELNS0_4arch9wavefront6targetE0EEEvSG_.has_recursion, 0
	.set _ZN7rocprim17ROCPRIM_400000_NS6detail17trampoline_kernelINS0_13kernel_configILj256ELj4ELj4294967295EEENS1_37radix_sort_block_sort_config_selectorI12hip_bfloat16NS0_10empty_typeEEEZNS1_21radix_sort_block_sortIS4_Lb1EPKS6_PS6_PS7_SD_NS0_19identity_decomposerEEE10hipError_tT1_T2_T3_T4_jRjT5_jjP12ihipStream_tbEUlT_E_NS1_11comp_targetILNS1_3genE0ELNS1_11target_archE4294967295ELNS1_3gpuE0ELNS1_3repE0EEENS1_44radix_sort_block_sort_config_static_selectorELNS0_4arch9wavefront6targetE0EEEvSG_.has_indirect_call, 0
	.section	.AMDGPU.csdata,"",@progbits
; Kernel info:
; codeLenInByte = 3744
; TotalNumSgprs: 33
; NumVgprs: 38
; ScratchSize: 0
; MemoryBound: 0
; FloatMode: 240
; IeeeMode: 1
; LDSByteSize: 8224 bytes/workgroup (compile time only)
; SGPRBlocks: 0
; VGPRBlocks: 2
; NumSGPRsForWavesPerEU: 33
; NumVGPRsForWavesPerEU: 38
; NamedBarCnt: 0
; Occupancy: 16
; WaveLimiterHint : 1
; COMPUTE_PGM_RSRC2:SCRATCH_EN: 0
; COMPUTE_PGM_RSRC2:USER_SGPR: 2
; COMPUTE_PGM_RSRC2:TRAP_HANDLER: 0
; COMPUTE_PGM_RSRC2:TGID_X_EN: 1
; COMPUTE_PGM_RSRC2:TGID_Y_EN: 0
; COMPUTE_PGM_RSRC2:TGID_Z_EN: 0
; COMPUTE_PGM_RSRC2:TIDIG_COMP_CNT: 2
	.section	.text._ZN7rocprim17ROCPRIM_400000_NS6detail17trampoline_kernelINS0_13kernel_configILj256ELj4ELj4294967295EEENS1_37radix_sort_block_sort_config_selectorI12hip_bfloat16NS0_10empty_typeEEEZNS1_21radix_sort_block_sortIS4_Lb1EPKS6_PS6_PS7_SD_NS0_19identity_decomposerEEE10hipError_tT1_T2_T3_T4_jRjT5_jjP12ihipStream_tbEUlT_E_NS1_11comp_targetILNS1_3genE5ELNS1_11target_archE942ELNS1_3gpuE9ELNS1_3repE0EEENS1_44radix_sort_block_sort_config_static_selectorELNS0_4arch9wavefront6targetE0EEEvSG_,"axG",@progbits,_ZN7rocprim17ROCPRIM_400000_NS6detail17trampoline_kernelINS0_13kernel_configILj256ELj4ELj4294967295EEENS1_37radix_sort_block_sort_config_selectorI12hip_bfloat16NS0_10empty_typeEEEZNS1_21radix_sort_block_sortIS4_Lb1EPKS6_PS6_PS7_SD_NS0_19identity_decomposerEEE10hipError_tT1_T2_T3_T4_jRjT5_jjP12ihipStream_tbEUlT_E_NS1_11comp_targetILNS1_3genE5ELNS1_11target_archE942ELNS1_3gpuE9ELNS1_3repE0EEENS1_44radix_sort_block_sort_config_static_selectorELNS0_4arch9wavefront6targetE0EEEvSG_,comdat
	.protected	_ZN7rocprim17ROCPRIM_400000_NS6detail17trampoline_kernelINS0_13kernel_configILj256ELj4ELj4294967295EEENS1_37radix_sort_block_sort_config_selectorI12hip_bfloat16NS0_10empty_typeEEEZNS1_21radix_sort_block_sortIS4_Lb1EPKS6_PS6_PS7_SD_NS0_19identity_decomposerEEE10hipError_tT1_T2_T3_T4_jRjT5_jjP12ihipStream_tbEUlT_E_NS1_11comp_targetILNS1_3genE5ELNS1_11target_archE942ELNS1_3gpuE9ELNS1_3repE0EEENS1_44radix_sort_block_sort_config_static_selectorELNS0_4arch9wavefront6targetE0EEEvSG_ ; -- Begin function _ZN7rocprim17ROCPRIM_400000_NS6detail17trampoline_kernelINS0_13kernel_configILj256ELj4ELj4294967295EEENS1_37radix_sort_block_sort_config_selectorI12hip_bfloat16NS0_10empty_typeEEEZNS1_21radix_sort_block_sortIS4_Lb1EPKS6_PS6_PS7_SD_NS0_19identity_decomposerEEE10hipError_tT1_T2_T3_T4_jRjT5_jjP12ihipStream_tbEUlT_E_NS1_11comp_targetILNS1_3genE5ELNS1_11target_archE942ELNS1_3gpuE9ELNS1_3repE0EEENS1_44radix_sort_block_sort_config_static_selectorELNS0_4arch9wavefront6targetE0EEEvSG_
	.globl	_ZN7rocprim17ROCPRIM_400000_NS6detail17trampoline_kernelINS0_13kernel_configILj256ELj4ELj4294967295EEENS1_37radix_sort_block_sort_config_selectorI12hip_bfloat16NS0_10empty_typeEEEZNS1_21radix_sort_block_sortIS4_Lb1EPKS6_PS6_PS7_SD_NS0_19identity_decomposerEEE10hipError_tT1_T2_T3_T4_jRjT5_jjP12ihipStream_tbEUlT_E_NS1_11comp_targetILNS1_3genE5ELNS1_11target_archE942ELNS1_3gpuE9ELNS1_3repE0EEENS1_44radix_sort_block_sort_config_static_selectorELNS0_4arch9wavefront6targetE0EEEvSG_
	.p2align	8
	.type	_ZN7rocprim17ROCPRIM_400000_NS6detail17trampoline_kernelINS0_13kernel_configILj256ELj4ELj4294967295EEENS1_37radix_sort_block_sort_config_selectorI12hip_bfloat16NS0_10empty_typeEEEZNS1_21radix_sort_block_sortIS4_Lb1EPKS6_PS6_PS7_SD_NS0_19identity_decomposerEEE10hipError_tT1_T2_T3_T4_jRjT5_jjP12ihipStream_tbEUlT_E_NS1_11comp_targetILNS1_3genE5ELNS1_11target_archE942ELNS1_3gpuE9ELNS1_3repE0EEENS1_44radix_sort_block_sort_config_static_selectorELNS0_4arch9wavefront6targetE0EEEvSG_,@function
_ZN7rocprim17ROCPRIM_400000_NS6detail17trampoline_kernelINS0_13kernel_configILj256ELj4ELj4294967295EEENS1_37radix_sort_block_sort_config_selectorI12hip_bfloat16NS0_10empty_typeEEEZNS1_21radix_sort_block_sortIS4_Lb1EPKS6_PS6_PS7_SD_NS0_19identity_decomposerEEE10hipError_tT1_T2_T3_T4_jRjT5_jjP12ihipStream_tbEUlT_E_NS1_11comp_targetILNS1_3genE5ELNS1_11target_archE942ELNS1_3gpuE9ELNS1_3repE0EEENS1_44radix_sort_block_sort_config_static_selectorELNS0_4arch9wavefront6targetE0EEEvSG_: ; @_ZN7rocprim17ROCPRIM_400000_NS6detail17trampoline_kernelINS0_13kernel_configILj256ELj4ELj4294967295EEENS1_37radix_sort_block_sort_config_selectorI12hip_bfloat16NS0_10empty_typeEEEZNS1_21radix_sort_block_sortIS4_Lb1EPKS6_PS6_PS7_SD_NS0_19identity_decomposerEEE10hipError_tT1_T2_T3_T4_jRjT5_jjP12ihipStream_tbEUlT_E_NS1_11comp_targetILNS1_3genE5ELNS1_11target_archE942ELNS1_3gpuE9ELNS1_3repE0EEENS1_44radix_sort_block_sort_config_static_selectorELNS0_4arch9wavefront6targetE0EEEvSG_
; %bb.0:
	.section	.rodata,"a",@progbits
	.p2align	6, 0x0
	.amdhsa_kernel _ZN7rocprim17ROCPRIM_400000_NS6detail17trampoline_kernelINS0_13kernel_configILj256ELj4ELj4294967295EEENS1_37radix_sort_block_sort_config_selectorI12hip_bfloat16NS0_10empty_typeEEEZNS1_21radix_sort_block_sortIS4_Lb1EPKS6_PS6_PS7_SD_NS0_19identity_decomposerEEE10hipError_tT1_T2_T3_T4_jRjT5_jjP12ihipStream_tbEUlT_E_NS1_11comp_targetILNS1_3genE5ELNS1_11target_archE942ELNS1_3gpuE9ELNS1_3repE0EEENS1_44radix_sort_block_sort_config_static_selectorELNS0_4arch9wavefront6targetE0EEEvSG_
		.amdhsa_group_segment_fixed_size 0
		.amdhsa_private_segment_fixed_size 0
		.amdhsa_kernarg_size 48
		.amdhsa_user_sgpr_count 2
		.amdhsa_user_sgpr_dispatch_ptr 0
		.amdhsa_user_sgpr_queue_ptr 0
		.amdhsa_user_sgpr_kernarg_segment_ptr 1
		.amdhsa_user_sgpr_dispatch_id 0
		.amdhsa_user_sgpr_kernarg_preload_length 0
		.amdhsa_user_sgpr_kernarg_preload_offset 0
		.amdhsa_user_sgpr_private_segment_size 0
		.amdhsa_wavefront_size32 1
		.amdhsa_uses_dynamic_stack 0
		.amdhsa_enable_private_segment 0
		.amdhsa_system_sgpr_workgroup_id_x 1
		.amdhsa_system_sgpr_workgroup_id_y 0
		.amdhsa_system_sgpr_workgroup_id_z 0
		.amdhsa_system_sgpr_workgroup_info 0
		.amdhsa_system_vgpr_workitem_id 0
		.amdhsa_next_free_vgpr 1
		.amdhsa_next_free_sgpr 1
		.amdhsa_named_barrier_count 0
		.amdhsa_reserve_vcc 0
		.amdhsa_float_round_mode_32 0
		.amdhsa_float_round_mode_16_64 0
		.amdhsa_float_denorm_mode_32 3
		.amdhsa_float_denorm_mode_16_64 3
		.amdhsa_fp16_overflow 0
		.amdhsa_memory_ordered 1
		.amdhsa_forward_progress 1
		.amdhsa_inst_pref_size 0
		.amdhsa_round_robin_scheduling 0
		.amdhsa_exception_fp_ieee_invalid_op 0
		.amdhsa_exception_fp_denorm_src 0
		.amdhsa_exception_fp_ieee_div_zero 0
		.amdhsa_exception_fp_ieee_overflow 0
		.amdhsa_exception_fp_ieee_underflow 0
		.amdhsa_exception_fp_ieee_inexact 0
		.amdhsa_exception_int_div_zero 0
	.end_amdhsa_kernel
	.section	.text._ZN7rocprim17ROCPRIM_400000_NS6detail17trampoline_kernelINS0_13kernel_configILj256ELj4ELj4294967295EEENS1_37radix_sort_block_sort_config_selectorI12hip_bfloat16NS0_10empty_typeEEEZNS1_21radix_sort_block_sortIS4_Lb1EPKS6_PS6_PS7_SD_NS0_19identity_decomposerEEE10hipError_tT1_T2_T3_T4_jRjT5_jjP12ihipStream_tbEUlT_E_NS1_11comp_targetILNS1_3genE5ELNS1_11target_archE942ELNS1_3gpuE9ELNS1_3repE0EEENS1_44radix_sort_block_sort_config_static_selectorELNS0_4arch9wavefront6targetE0EEEvSG_,"axG",@progbits,_ZN7rocprim17ROCPRIM_400000_NS6detail17trampoline_kernelINS0_13kernel_configILj256ELj4ELj4294967295EEENS1_37radix_sort_block_sort_config_selectorI12hip_bfloat16NS0_10empty_typeEEEZNS1_21radix_sort_block_sortIS4_Lb1EPKS6_PS6_PS7_SD_NS0_19identity_decomposerEEE10hipError_tT1_T2_T3_T4_jRjT5_jjP12ihipStream_tbEUlT_E_NS1_11comp_targetILNS1_3genE5ELNS1_11target_archE942ELNS1_3gpuE9ELNS1_3repE0EEENS1_44radix_sort_block_sort_config_static_selectorELNS0_4arch9wavefront6targetE0EEEvSG_,comdat
.Lfunc_end1889:
	.size	_ZN7rocprim17ROCPRIM_400000_NS6detail17trampoline_kernelINS0_13kernel_configILj256ELj4ELj4294967295EEENS1_37radix_sort_block_sort_config_selectorI12hip_bfloat16NS0_10empty_typeEEEZNS1_21radix_sort_block_sortIS4_Lb1EPKS6_PS6_PS7_SD_NS0_19identity_decomposerEEE10hipError_tT1_T2_T3_T4_jRjT5_jjP12ihipStream_tbEUlT_E_NS1_11comp_targetILNS1_3genE5ELNS1_11target_archE942ELNS1_3gpuE9ELNS1_3repE0EEENS1_44radix_sort_block_sort_config_static_selectorELNS0_4arch9wavefront6targetE0EEEvSG_, .Lfunc_end1889-_ZN7rocprim17ROCPRIM_400000_NS6detail17trampoline_kernelINS0_13kernel_configILj256ELj4ELj4294967295EEENS1_37radix_sort_block_sort_config_selectorI12hip_bfloat16NS0_10empty_typeEEEZNS1_21radix_sort_block_sortIS4_Lb1EPKS6_PS6_PS7_SD_NS0_19identity_decomposerEEE10hipError_tT1_T2_T3_T4_jRjT5_jjP12ihipStream_tbEUlT_E_NS1_11comp_targetILNS1_3genE5ELNS1_11target_archE942ELNS1_3gpuE9ELNS1_3repE0EEENS1_44radix_sort_block_sort_config_static_selectorELNS0_4arch9wavefront6targetE0EEEvSG_
                                        ; -- End function
	.set _ZN7rocprim17ROCPRIM_400000_NS6detail17trampoline_kernelINS0_13kernel_configILj256ELj4ELj4294967295EEENS1_37radix_sort_block_sort_config_selectorI12hip_bfloat16NS0_10empty_typeEEEZNS1_21radix_sort_block_sortIS4_Lb1EPKS6_PS6_PS7_SD_NS0_19identity_decomposerEEE10hipError_tT1_T2_T3_T4_jRjT5_jjP12ihipStream_tbEUlT_E_NS1_11comp_targetILNS1_3genE5ELNS1_11target_archE942ELNS1_3gpuE9ELNS1_3repE0EEENS1_44radix_sort_block_sort_config_static_selectorELNS0_4arch9wavefront6targetE0EEEvSG_.num_vgpr, 0
	.set _ZN7rocprim17ROCPRIM_400000_NS6detail17trampoline_kernelINS0_13kernel_configILj256ELj4ELj4294967295EEENS1_37radix_sort_block_sort_config_selectorI12hip_bfloat16NS0_10empty_typeEEEZNS1_21radix_sort_block_sortIS4_Lb1EPKS6_PS6_PS7_SD_NS0_19identity_decomposerEEE10hipError_tT1_T2_T3_T4_jRjT5_jjP12ihipStream_tbEUlT_E_NS1_11comp_targetILNS1_3genE5ELNS1_11target_archE942ELNS1_3gpuE9ELNS1_3repE0EEENS1_44radix_sort_block_sort_config_static_selectorELNS0_4arch9wavefront6targetE0EEEvSG_.num_agpr, 0
	.set _ZN7rocprim17ROCPRIM_400000_NS6detail17trampoline_kernelINS0_13kernel_configILj256ELj4ELj4294967295EEENS1_37radix_sort_block_sort_config_selectorI12hip_bfloat16NS0_10empty_typeEEEZNS1_21radix_sort_block_sortIS4_Lb1EPKS6_PS6_PS7_SD_NS0_19identity_decomposerEEE10hipError_tT1_T2_T3_T4_jRjT5_jjP12ihipStream_tbEUlT_E_NS1_11comp_targetILNS1_3genE5ELNS1_11target_archE942ELNS1_3gpuE9ELNS1_3repE0EEENS1_44radix_sort_block_sort_config_static_selectorELNS0_4arch9wavefront6targetE0EEEvSG_.numbered_sgpr, 0
	.set _ZN7rocprim17ROCPRIM_400000_NS6detail17trampoline_kernelINS0_13kernel_configILj256ELj4ELj4294967295EEENS1_37radix_sort_block_sort_config_selectorI12hip_bfloat16NS0_10empty_typeEEEZNS1_21radix_sort_block_sortIS4_Lb1EPKS6_PS6_PS7_SD_NS0_19identity_decomposerEEE10hipError_tT1_T2_T3_T4_jRjT5_jjP12ihipStream_tbEUlT_E_NS1_11comp_targetILNS1_3genE5ELNS1_11target_archE942ELNS1_3gpuE9ELNS1_3repE0EEENS1_44radix_sort_block_sort_config_static_selectorELNS0_4arch9wavefront6targetE0EEEvSG_.num_named_barrier, 0
	.set _ZN7rocprim17ROCPRIM_400000_NS6detail17trampoline_kernelINS0_13kernel_configILj256ELj4ELj4294967295EEENS1_37radix_sort_block_sort_config_selectorI12hip_bfloat16NS0_10empty_typeEEEZNS1_21radix_sort_block_sortIS4_Lb1EPKS6_PS6_PS7_SD_NS0_19identity_decomposerEEE10hipError_tT1_T2_T3_T4_jRjT5_jjP12ihipStream_tbEUlT_E_NS1_11comp_targetILNS1_3genE5ELNS1_11target_archE942ELNS1_3gpuE9ELNS1_3repE0EEENS1_44radix_sort_block_sort_config_static_selectorELNS0_4arch9wavefront6targetE0EEEvSG_.private_seg_size, 0
	.set _ZN7rocprim17ROCPRIM_400000_NS6detail17trampoline_kernelINS0_13kernel_configILj256ELj4ELj4294967295EEENS1_37radix_sort_block_sort_config_selectorI12hip_bfloat16NS0_10empty_typeEEEZNS1_21radix_sort_block_sortIS4_Lb1EPKS6_PS6_PS7_SD_NS0_19identity_decomposerEEE10hipError_tT1_T2_T3_T4_jRjT5_jjP12ihipStream_tbEUlT_E_NS1_11comp_targetILNS1_3genE5ELNS1_11target_archE942ELNS1_3gpuE9ELNS1_3repE0EEENS1_44radix_sort_block_sort_config_static_selectorELNS0_4arch9wavefront6targetE0EEEvSG_.uses_vcc, 0
	.set _ZN7rocprim17ROCPRIM_400000_NS6detail17trampoline_kernelINS0_13kernel_configILj256ELj4ELj4294967295EEENS1_37radix_sort_block_sort_config_selectorI12hip_bfloat16NS0_10empty_typeEEEZNS1_21radix_sort_block_sortIS4_Lb1EPKS6_PS6_PS7_SD_NS0_19identity_decomposerEEE10hipError_tT1_T2_T3_T4_jRjT5_jjP12ihipStream_tbEUlT_E_NS1_11comp_targetILNS1_3genE5ELNS1_11target_archE942ELNS1_3gpuE9ELNS1_3repE0EEENS1_44radix_sort_block_sort_config_static_selectorELNS0_4arch9wavefront6targetE0EEEvSG_.uses_flat_scratch, 0
	.set _ZN7rocprim17ROCPRIM_400000_NS6detail17trampoline_kernelINS0_13kernel_configILj256ELj4ELj4294967295EEENS1_37radix_sort_block_sort_config_selectorI12hip_bfloat16NS0_10empty_typeEEEZNS1_21radix_sort_block_sortIS4_Lb1EPKS6_PS6_PS7_SD_NS0_19identity_decomposerEEE10hipError_tT1_T2_T3_T4_jRjT5_jjP12ihipStream_tbEUlT_E_NS1_11comp_targetILNS1_3genE5ELNS1_11target_archE942ELNS1_3gpuE9ELNS1_3repE0EEENS1_44radix_sort_block_sort_config_static_selectorELNS0_4arch9wavefront6targetE0EEEvSG_.has_dyn_sized_stack, 0
	.set _ZN7rocprim17ROCPRIM_400000_NS6detail17trampoline_kernelINS0_13kernel_configILj256ELj4ELj4294967295EEENS1_37radix_sort_block_sort_config_selectorI12hip_bfloat16NS0_10empty_typeEEEZNS1_21radix_sort_block_sortIS4_Lb1EPKS6_PS6_PS7_SD_NS0_19identity_decomposerEEE10hipError_tT1_T2_T3_T4_jRjT5_jjP12ihipStream_tbEUlT_E_NS1_11comp_targetILNS1_3genE5ELNS1_11target_archE942ELNS1_3gpuE9ELNS1_3repE0EEENS1_44radix_sort_block_sort_config_static_selectorELNS0_4arch9wavefront6targetE0EEEvSG_.has_recursion, 0
	.set _ZN7rocprim17ROCPRIM_400000_NS6detail17trampoline_kernelINS0_13kernel_configILj256ELj4ELj4294967295EEENS1_37radix_sort_block_sort_config_selectorI12hip_bfloat16NS0_10empty_typeEEEZNS1_21radix_sort_block_sortIS4_Lb1EPKS6_PS6_PS7_SD_NS0_19identity_decomposerEEE10hipError_tT1_T2_T3_T4_jRjT5_jjP12ihipStream_tbEUlT_E_NS1_11comp_targetILNS1_3genE5ELNS1_11target_archE942ELNS1_3gpuE9ELNS1_3repE0EEENS1_44radix_sort_block_sort_config_static_selectorELNS0_4arch9wavefront6targetE0EEEvSG_.has_indirect_call, 0
	.section	.AMDGPU.csdata,"",@progbits
; Kernel info:
; codeLenInByte = 0
; TotalNumSgprs: 0
; NumVgprs: 0
; ScratchSize: 0
; MemoryBound: 0
; FloatMode: 240
; IeeeMode: 1
; LDSByteSize: 0 bytes/workgroup (compile time only)
; SGPRBlocks: 0
; VGPRBlocks: 0
; NumSGPRsForWavesPerEU: 1
; NumVGPRsForWavesPerEU: 1
; NamedBarCnt: 0
; Occupancy: 16
; WaveLimiterHint : 0
; COMPUTE_PGM_RSRC2:SCRATCH_EN: 0
; COMPUTE_PGM_RSRC2:USER_SGPR: 2
; COMPUTE_PGM_RSRC2:TRAP_HANDLER: 0
; COMPUTE_PGM_RSRC2:TGID_X_EN: 1
; COMPUTE_PGM_RSRC2:TGID_Y_EN: 0
; COMPUTE_PGM_RSRC2:TGID_Z_EN: 0
; COMPUTE_PGM_RSRC2:TIDIG_COMP_CNT: 0
	.section	.text._ZN7rocprim17ROCPRIM_400000_NS6detail17trampoline_kernelINS0_13kernel_configILj256ELj4ELj4294967295EEENS1_37radix_sort_block_sort_config_selectorI12hip_bfloat16NS0_10empty_typeEEEZNS1_21radix_sort_block_sortIS4_Lb1EPKS6_PS6_PS7_SD_NS0_19identity_decomposerEEE10hipError_tT1_T2_T3_T4_jRjT5_jjP12ihipStream_tbEUlT_E_NS1_11comp_targetILNS1_3genE4ELNS1_11target_archE910ELNS1_3gpuE8ELNS1_3repE0EEENS1_44radix_sort_block_sort_config_static_selectorELNS0_4arch9wavefront6targetE0EEEvSG_,"axG",@progbits,_ZN7rocprim17ROCPRIM_400000_NS6detail17trampoline_kernelINS0_13kernel_configILj256ELj4ELj4294967295EEENS1_37radix_sort_block_sort_config_selectorI12hip_bfloat16NS0_10empty_typeEEEZNS1_21radix_sort_block_sortIS4_Lb1EPKS6_PS6_PS7_SD_NS0_19identity_decomposerEEE10hipError_tT1_T2_T3_T4_jRjT5_jjP12ihipStream_tbEUlT_E_NS1_11comp_targetILNS1_3genE4ELNS1_11target_archE910ELNS1_3gpuE8ELNS1_3repE0EEENS1_44radix_sort_block_sort_config_static_selectorELNS0_4arch9wavefront6targetE0EEEvSG_,comdat
	.protected	_ZN7rocprim17ROCPRIM_400000_NS6detail17trampoline_kernelINS0_13kernel_configILj256ELj4ELj4294967295EEENS1_37radix_sort_block_sort_config_selectorI12hip_bfloat16NS0_10empty_typeEEEZNS1_21radix_sort_block_sortIS4_Lb1EPKS6_PS6_PS7_SD_NS0_19identity_decomposerEEE10hipError_tT1_T2_T3_T4_jRjT5_jjP12ihipStream_tbEUlT_E_NS1_11comp_targetILNS1_3genE4ELNS1_11target_archE910ELNS1_3gpuE8ELNS1_3repE0EEENS1_44radix_sort_block_sort_config_static_selectorELNS0_4arch9wavefront6targetE0EEEvSG_ ; -- Begin function _ZN7rocprim17ROCPRIM_400000_NS6detail17trampoline_kernelINS0_13kernel_configILj256ELj4ELj4294967295EEENS1_37radix_sort_block_sort_config_selectorI12hip_bfloat16NS0_10empty_typeEEEZNS1_21radix_sort_block_sortIS4_Lb1EPKS6_PS6_PS7_SD_NS0_19identity_decomposerEEE10hipError_tT1_T2_T3_T4_jRjT5_jjP12ihipStream_tbEUlT_E_NS1_11comp_targetILNS1_3genE4ELNS1_11target_archE910ELNS1_3gpuE8ELNS1_3repE0EEENS1_44radix_sort_block_sort_config_static_selectorELNS0_4arch9wavefront6targetE0EEEvSG_
	.globl	_ZN7rocprim17ROCPRIM_400000_NS6detail17trampoline_kernelINS0_13kernel_configILj256ELj4ELj4294967295EEENS1_37radix_sort_block_sort_config_selectorI12hip_bfloat16NS0_10empty_typeEEEZNS1_21radix_sort_block_sortIS4_Lb1EPKS6_PS6_PS7_SD_NS0_19identity_decomposerEEE10hipError_tT1_T2_T3_T4_jRjT5_jjP12ihipStream_tbEUlT_E_NS1_11comp_targetILNS1_3genE4ELNS1_11target_archE910ELNS1_3gpuE8ELNS1_3repE0EEENS1_44radix_sort_block_sort_config_static_selectorELNS0_4arch9wavefront6targetE0EEEvSG_
	.p2align	8
	.type	_ZN7rocprim17ROCPRIM_400000_NS6detail17trampoline_kernelINS0_13kernel_configILj256ELj4ELj4294967295EEENS1_37radix_sort_block_sort_config_selectorI12hip_bfloat16NS0_10empty_typeEEEZNS1_21radix_sort_block_sortIS4_Lb1EPKS6_PS6_PS7_SD_NS0_19identity_decomposerEEE10hipError_tT1_T2_T3_T4_jRjT5_jjP12ihipStream_tbEUlT_E_NS1_11comp_targetILNS1_3genE4ELNS1_11target_archE910ELNS1_3gpuE8ELNS1_3repE0EEENS1_44radix_sort_block_sort_config_static_selectorELNS0_4arch9wavefront6targetE0EEEvSG_,@function
_ZN7rocprim17ROCPRIM_400000_NS6detail17trampoline_kernelINS0_13kernel_configILj256ELj4ELj4294967295EEENS1_37radix_sort_block_sort_config_selectorI12hip_bfloat16NS0_10empty_typeEEEZNS1_21radix_sort_block_sortIS4_Lb1EPKS6_PS6_PS7_SD_NS0_19identity_decomposerEEE10hipError_tT1_T2_T3_T4_jRjT5_jjP12ihipStream_tbEUlT_E_NS1_11comp_targetILNS1_3genE4ELNS1_11target_archE910ELNS1_3gpuE8ELNS1_3repE0EEENS1_44radix_sort_block_sort_config_static_selectorELNS0_4arch9wavefront6targetE0EEEvSG_: ; @_ZN7rocprim17ROCPRIM_400000_NS6detail17trampoline_kernelINS0_13kernel_configILj256ELj4ELj4294967295EEENS1_37radix_sort_block_sort_config_selectorI12hip_bfloat16NS0_10empty_typeEEEZNS1_21radix_sort_block_sortIS4_Lb1EPKS6_PS6_PS7_SD_NS0_19identity_decomposerEEE10hipError_tT1_T2_T3_T4_jRjT5_jjP12ihipStream_tbEUlT_E_NS1_11comp_targetILNS1_3genE4ELNS1_11target_archE910ELNS1_3gpuE8ELNS1_3repE0EEENS1_44radix_sort_block_sort_config_static_selectorELNS0_4arch9wavefront6targetE0EEEvSG_
; %bb.0:
	.section	.rodata,"a",@progbits
	.p2align	6, 0x0
	.amdhsa_kernel _ZN7rocprim17ROCPRIM_400000_NS6detail17trampoline_kernelINS0_13kernel_configILj256ELj4ELj4294967295EEENS1_37radix_sort_block_sort_config_selectorI12hip_bfloat16NS0_10empty_typeEEEZNS1_21radix_sort_block_sortIS4_Lb1EPKS6_PS6_PS7_SD_NS0_19identity_decomposerEEE10hipError_tT1_T2_T3_T4_jRjT5_jjP12ihipStream_tbEUlT_E_NS1_11comp_targetILNS1_3genE4ELNS1_11target_archE910ELNS1_3gpuE8ELNS1_3repE0EEENS1_44radix_sort_block_sort_config_static_selectorELNS0_4arch9wavefront6targetE0EEEvSG_
		.amdhsa_group_segment_fixed_size 0
		.amdhsa_private_segment_fixed_size 0
		.amdhsa_kernarg_size 48
		.amdhsa_user_sgpr_count 2
		.amdhsa_user_sgpr_dispatch_ptr 0
		.amdhsa_user_sgpr_queue_ptr 0
		.amdhsa_user_sgpr_kernarg_segment_ptr 1
		.amdhsa_user_sgpr_dispatch_id 0
		.amdhsa_user_sgpr_kernarg_preload_length 0
		.amdhsa_user_sgpr_kernarg_preload_offset 0
		.amdhsa_user_sgpr_private_segment_size 0
		.amdhsa_wavefront_size32 1
		.amdhsa_uses_dynamic_stack 0
		.amdhsa_enable_private_segment 0
		.amdhsa_system_sgpr_workgroup_id_x 1
		.amdhsa_system_sgpr_workgroup_id_y 0
		.amdhsa_system_sgpr_workgroup_id_z 0
		.amdhsa_system_sgpr_workgroup_info 0
		.amdhsa_system_vgpr_workitem_id 0
		.amdhsa_next_free_vgpr 1
		.amdhsa_next_free_sgpr 1
		.amdhsa_named_barrier_count 0
		.amdhsa_reserve_vcc 0
		.amdhsa_float_round_mode_32 0
		.amdhsa_float_round_mode_16_64 0
		.amdhsa_float_denorm_mode_32 3
		.amdhsa_float_denorm_mode_16_64 3
		.amdhsa_fp16_overflow 0
		.amdhsa_memory_ordered 1
		.amdhsa_forward_progress 1
		.amdhsa_inst_pref_size 0
		.amdhsa_round_robin_scheduling 0
		.amdhsa_exception_fp_ieee_invalid_op 0
		.amdhsa_exception_fp_denorm_src 0
		.amdhsa_exception_fp_ieee_div_zero 0
		.amdhsa_exception_fp_ieee_overflow 0
		.amdhsa_exception_fp_ieee_underflow 0
		.amdhsa_exception_fp_ieee_inexact 0
		.amdhsa_exception_int_div_zero 0
	.end_amdhsa_kernel
	.section	.text._ZN7rocprim17ROCPRIM_400000_NS6detail17trampoline_kernelINS0_13kernel_configILj256ELj4ELj4294967295EEENS1_37radix_sort_block_sort_config_selectorI12hip_bfloat16NS0_10empty_typeEEEZNS1_21radix_sort_block_sortIS4_Lb1EPKS6_PS6_PS7_SD_NS0_19identity_decomposerEEE10hipError_tT1_T2_T3_T4_jRjT5_jjP12ihipStream_tbEUlT_E_NS1_11comp_targetILNS1_3genE4ELNS1_11target_archE910ELNS1_3gpuE8ELNS1_3repE0EEENS1_44radix_sort_block_sort_config_static_selectorELNS0_4arch9wavefront6targetE0EEEvSG_,"axG",@progbits,_ZN7rocprim17ROCPRIM_400000_NS6detail17trampoline_kernelINS0_13kernel_configILj256ELj4ELj4294967295EEENS1_37radix_sort_block_sort_config_selectorI12hip_bfloat16NS0_10empty_typeEEEZNS1_21radix_sort_block_sortIS4_Lb1EPKS6_PS6_PS7_SD_NS0_19identity_decomposerEEE10hipError_tT1_T2_T3_T4_jRjT5_jjP12ihipStream_tbEUlT_E_NS1_11comp_targetILNS1_3genE4ELNS1_11target_archE910ELNS1_3gpuE8ELNS1_3repE0EEENS1_44radix_sort_block_sort_config_static_selectorELNS0_4arch9wavefront6targetE0EEEvSG_,comdat
.Lfunc_end1890:
	.size	_ZN7rocprim17ROCPRIM_400000_NS6detail17trampoline_kernelINS0_13kernel_configILj256ELj4ELj4294967295EEENS1_37radix_sort_block_sort_config_selectorI12hip_bfloat16NS0_10empty_typeEEEZNS1_21radix_sort_block_sortIS4_Lb1EPKS6_PS6_PS7_SD_NS0_19identity_decomposerEEE10hipError_tT1_T2_T3_T4_jRjT5_jjP12ihipStream_tbEUlT_E_NS1_11comp_targetILNS1_3genE4ELNS1_11target_archE910ELNS1_3gpuE8ELNS1_3repE0EEENS1_44radix_sort_block_sort_config_static_selectorELNS0_4arch9wavefront6targetE0EEEvSG_, .Lfunc_end1890-_ZN7rocprim17ROCPRIM_400000_NS6detail17trampoline_kernelINS0_13kernel_configILj256ELj4ELj4294967295EEENS1_37radix_sort_block_sort_config_selectorI12hip_bfloat16NS0_10empty_typeEEEZNS1_21radix_sort_block_sortIS4_Lb1EPKS6_PS6_PS7_SD_NS0_19identity_decomposerEEE10hipError_tT1_T2_T3_T4_jRjT5_jjP12ihipStream_tbEUlT_E_NS1_11comp_targetILNS1_3genE4ELNS1_11target_archE910ELNS1_3gpuE8ELNS1_3repE0EEENS1_44radix_sort_block_sort_config_static_selectorELNS0_4arch9wavefront6targetE0EEEvSG_
                                        ; -- End function
	.set _ZN7rocprim17ROCPRIM_400000_NS6detail17trampoline_kernelINS0_13kernel_configILj256ELj4ELj4294967295EEENS1_37radix_sort_block_sort_config_selectorI12hip_bfloat16NS0_10empty_typeEEEZNS1_21radix_sort_block_sortIS4_Lb1EPKS6_PS6_PS7_SD_NS0_19identity_decomposerEEE10hipError_tT1_T2_T3_T4_jRjT5_jjP12ihipStream_tbEUlT_E_NS1_11comp_targetILNS1_3genE4ELNS1_11target_archE910ELNS1_3gpuE8ELNS1_3repE0EEENS1_44radix_sort_block_sort_config_static_selectorELNS0_4arch9wavefront6targetE0EEEvSG_.num_vgpr, 0
	.set _ZN7rocprim17ROCPRIM_400000_NS6detail17trampoline_kernelINS0_13kernel_configILj256ELj4ELj4294967295EEENS1_37radix_sort_block_sort_config_selectorI12hip_bfloat16NS0_10empty_typeEEEZNS1_21radix_sort_block_sortIS4_Lb1EPKS6_PS6_PS7_SD_NS0_19identity_decomposerEEE10hipError_tT1_T2_T3_T4_jRjT5_jjP12ihipStream_tbEUlT_E_NS1_11comp_targetILNS1_3genE4ELNS1_11target_archE910ELNS1_3gpuE8ELNS1_3repE0EEENS1_44radix_sort_block_sort_config_static_selectorELNS0_4arch9wavefront6targetE0EEEvSG_.num_agpr, 0
	.set _ZN7rocprim17ROCPRIM_400000_NS6detail17trampoline_kernelINS0_13kernel_configILj256ELj4ELj4294967295EEENS1_37radix_sort_block_sort_config_selectorI12hip_bfloat16NS0_10empty_typeEEEZNS1_21radix_sort_block_sortIS4_Lb1EPKS6_PS6_PS7_SD_NS0_19identity_decomposerEEE10hipError_tT1_T2_T3_T4_jRjT5_jjP12ihipStream_tbEUlT_E_NS1_11comp_targetILNS1_3genE4ELNS1_11target_archE910ELNS1_3gpuE8ELNS1_3repE0EEENS1_44radix_sort_block_sort_config_static_selectorELNS0_4arch9wavefront6targetE0EEEvSG_.numbered_sgpr, 0
	.set _ZN7rocprim17ROCPRIM_400000_NS6detail17trampoline_kernelINS0_13kernel_configILj256ELj4ELj4294967295EEENS1_37radix_sort_block_sort_config_selectorI12hip_bfloat16NS0_10empty_typeEEEZNS1_21radix_sort_block_sortIS4_Lb1EPKS6_PS6_PS7_SD_NS0_19identity_decomposerEEE10hipError_tT1_T2_T3_T4_jRjT5_jjP12ihipStream_tbEUlT_E_NS1_11comp_targetILNS1_3genE4ELNS1_11target_archE910ELNS1_3gpuE8ELNS1_3repE0EEENS1_44radix_sort_block_sort_config_static_selectorELNS0_4arch9wavefront6targetE0EEEvSG_.num_named_barrier, 0
	.set _ZN7rocprim17ROCPRIM_400000_NS6detail17trampoline_kernelINS0_13kernel_configILj256ELj4ELj4294967295EEENS1_37radix_sort_block_sort_config_selectorI12hip_bfloat16NS0_10empty_typeEEEZNS1_21radix_sort_block_sortIS4_Lb1EPKS6_PS6_PS7_SD_NS0_19identity_decomposerEEE10hipError_tT1_T2_T3_T4_jRjT5_jjP12ihipStream_tbEUlT_E_NS1_11comp_targetILNS1_3genE4ELNS1_11target_archE910ELNS1_3gpuE8ELNS1_3repE0EEENS1_44radix_sort_block_sort_config_static_selectorELNS0_4arch9wavefront6targetE0EEEvSG_.private_seg_size, 0
	.set _ZN7rocprim17ROCPRIM_400000_NS6detail17trampoline_kernelINS0_13kernel_configILj256ELj4ELj4294967295EEENS1_37radix_sort_block_sort_config_selectorI12hip_bfloat16NS0_10empty_typeEEEZNS1_21radix_sort_block_sortIS4_Lb1EPKS6_PS6_PS7_SD_NS0_19identity_decomposerEEE10hipError_tT1_T2_T3_T4_jRjT5_jjP12ihipStream_tbEUlT_E_NS1_11comp_targetILNS1_3genE4ELNS1_11target_archE910ELNS1_3gpuE8ELNS1_3repE0EEENS1_44radix_sort_block_sort_config_static_selectorELNS0_4arch9wavefront6targetE0EEEvSG_.uses_vcc, 0
	.set _ZN7rocprim17ROCPRIM_400000_NS6detail17trampoline_kernelINS0_13kernel_configILj256ELj4ELj4294967295EEENS1_37radix_sort_block_sort_config_selectorI12hip_bfloat16NS0_10empty_typeEEEZNS1_21radix_sort_block_sortIS4_Lb1EPKS6_PS6_PS7_SD_NS0_19identity_decomposerEEE10hipError_tT1_T2_T3_T4_jRjT5_jjP12ihipStream_tbEUlT_E_NS1_11comp_targetILNS1_3genE4ELNS1_11target_archE910ELNS1_3gpuE8ELNS1_3repE0EEENS1_44radix_sort_block_sort_config_static_selectorELNS0_4arch9wavefront6targetE0EEEvSG_.uses_flat_scratch, 0
	.set _ZN7rocprim17ROCPRIM_400000_NS6detail17trampoline_kernelINS0_13kernel_configILj256ELj4ELj4294967295EEENS1_37radix_sort_block_sort_config_selectorI12hip_bfloat16NS0_10empty_typeEEEZNS1_21radix_sort_block_sortIS4_Lb1EPKS6_PS6_PS7_SD_NS0_19identity_decomposerEEE10hipError_tT1_T2_T3_T4_jRjT5_jjP12ihipStream_tbEUlT_E_NS1_11comp_targetILNS1_3genE4ELNS1_11target_archE910ELNS1_3gpuE8ELNS1_3repE0EEENS1_44radix_sort_block_sort_config_static_selectorELNS0_4arch9wavefront6targetE0EEEvSG_.has_dyn_sized_stack, 0
	.set _ZN7rocprim17ROCPRIM_400000_NS6detail17trampoline_kernelINS0_13kernel_configILj256ELj4ELj4294967295EEENS1_37radix_sort_block_sort_config_selectorI12hip_bfloat16NS0_10empty_typeEEEZNS1_21radix_sort_block_sortIS4_Lb1EPKS6_PS6_PS7_SD_NS0_19identity_decomposerEEE10hipError_tT1_T2_T3_T4_jRjT5_jjP12ihipStream_tbEUlT_E_NS1_11comp_targetILNS1_3genE4ELNS1_11target_archE910ELNS1_3gpuE8ELNS1_3repE0EEENS1_44radix_sort_block_sort_config_static_selectorELNS0_4arch9wavefront6targetE0EEEvSG_.has_recursion, 0
	.set _ZN7rocprim17ROCPRIM_400000_NS6detail17trampoline_kernelINS0_13kernel_configILj256ELj4ELj4294967295EEENS1_37radix_sort_block_sort_config_selectorI12hip_bfloat16NS0_10empty_typeEEEZNS1_21radix_sort_block_sortIS4_Lb1EPKS6_PS6_PS7_SD_NS0_19identity_decomposerEEE10hipError_tT1_T2_T3_T4_jRjT5_jjP12ihipStream_tbEUlT_E_NS1_11comp_targetILNS1_3genE4ELNS1_11target_archE910ELNS1_3gpuE8ELNS1_3repE0EEENS1_44radix_sort_block_sort_config_static_selectorELNS0_4arch9wavefront6targetE0EEEvSG_.has_indirect_call, 0
	.section	.AMDGPU.csdata,"",@progbits
; Kernel info:
; codeLenInByte = 0
; TotalNumSgprs: 0
; NumVgprs: 0
; ScratchSize: 0
; MemoryBound: 0
; FloatMode: 240
; IeeeMode: 1
; LDSByteSize: 0 bytes/workgroup (compile time only)
; SGPRBlocks: 0
; VGPRBlocks: 0
; NumSGPRsForWavesPerEU: 1
; NumVGPRsForWavesPerEU: 1
; NamedBarCnt: 0
; Occupancy: 16
; WaveLimiterHint : 0
; COMPUTE_PGM_RSRC2:SCRATCH_EN: 0
; COMPUTE_PGM_RSRC2:USER_SGPR: 2
; COMPUTE_PGM_RSRC2:TRAP_HANDLER: 0
; COMPUTE_PGM_RSRC2:TGID_X_EN: 1
; COMPUTE_PGM_RSRC2:TGID_Y_EN: 0
; COMPUTE_PGM_RSRC2:TGID_Z_EN: 0
; COMPUTE_PGM_RSRC2:TIDIG_COMP_CNT: 0
	.section	.text._ZN7rocprim17ROCPRIM_400000_NS6detail17trampoline_kernelINS0_13kernel_configILj256ELj4ELj4294967295EEENS1_37radix_sort_block_sort_config_selectorI12hip_bfloat16NS0_10empty_typeEEEZNS1_21radix_sort_block_sortIS4_Lb1EPKS6_PS6_PS7_SD_NS0_19identity_decomposerEEE10hipError_tT1_T2_T3_T4_jRjT5_jjP12ihipStream_tbEUlT_E_NS1_11comp_targetILNS1_3genE3ELNS1_11target_archE908ELNS1_3gpuE7ELNS1_3repE0EEENS1_44radix_sort_block_sort_config_static_selectorELNS0_4arch9wavefront6targetE0EEEvSG_,"axG",@progbits,_ZN7rocprim17ROCPRIM_400000_NS6detail17trampoline_kernelINS0_13kernel_configILj256ELj4ELj4294967295EEENS1_37radix_sort_block_sort_config_selectorI12hip_bfloat16NS0_10empty_typeEEEZNS1_21radix_sort_block_sortIS4_Lb1EPKS6_PS6_PS7_SD_NS0_19identity_decomposerEEE10hipError_tT1_T2_T3_T4_jRjT5_jjP12ihipStream_tbEUlT_E_NS1_11comp_targetILNS1_3genE3ELNS1_11target_archE908ELNS1_3gpuE7ELNS1_3repE0EEENS1_44radix_sort_block_sort_config_static_selectorELNS0_4arch9wavefront6targetE0EEEvSG_,comdat
	.protected	_ZN7rocprim17ROCPRIM_400000_NS6detail17trampoline_kernelINS0_13kernel_configILj256ELj4ELj4294967295EEENS1_37radix_sort_block_sort_config_selectorI12hip_bfloat16NS0_10empty_typeEEEZNS1_21radix_sort_block_sortIS4_Lb1EPKS6_PS6_PS7_SD_NS0_19identity_decomposerEEE10hipError_tT1_T2_T3_T4_jRjT5_jjP12ihipStream_tbEUlT_E_NS1_11comp_targetILNS1_3genE3ELNS1_11target_archE908ELNS1_3gpuE7ELNS1_3repE0EEENS1_44radix_sort_block_sort_config_static_selectorELNS0_4arch9wavefront6targetE0EEEvSG_ ; -- Begin function _ZN7rocprim17ROCPRIM_400000_NS6detail17trampoline_kernelINS0_13kernel_configILj256ELj4ELj4294967295EEENS1_37radix_sort_block_sort_config_selectorI12hip_bfloat16NS0_10empty_typeEEEZNS1_21radix_sort_block_sortIS4_Lb1EPKS6_PS6_PS7_SD_NS0_19identity_decomposerEEE10hipError_tT1_T2_T3_T4_jRjT5_jjP12ihipStream_tbEUlT_E_NS1_11comp_targetILNS1_3genE3ELNS1_11target_archE908ELNS1_3gpuE7ELNS1_3repE0EEENS1_44radix_sort_block_sort_config_static_selectorELNS0_4arch9wavefront6targetE0EEEvSG_
	.globl	_ZN7rocprim17ROCPRIM_400000_NS6detail17trampoline_kernelINS0_13kernel_configILj256ELj4ELj4294967295EEENS1_37radix_sort_block_sort_config_selectorI12hip_bfloat16NS0_10empty_typeEEEZNS1_21radix_sort_block_sortIS4_Lb1EPKS6_PS6_PS7_SD_NS0_19identity_decomposerEEE10hipError_tT1_T2_T3_T4_jRjT5_jjP12ihipStream_tbEUlT_E_NS1_11comp_targetILNS1_3genE3ELNS1_11target_archE908ELNS1_3gpuE7ELNS1_3repE0EEENS1_44radix_sort_block_sort_config_static_selectorELNS0_4arch9wavefront6targetE0EEEvSG_
	.p2align	8
	.type	_ZN7rocprim17ROCPRIM_400000_NS6detail17trampoline_kernelINS0_13kernel_configILj256ELj4ELj4294967295EEENS1_37radix_sort_block_sort_config_selectorI12hip_bfloat16NS0_10empty_typeEEEZNS1_21radix_sort_block_sortIS4_Lb1EPKS6_PS6_PS7_SD_NS0_19identity_decomposerEEE10hipError_tT1_T2_T3_T4_jRjT5_jjP12ihipStream_tbEUlT_E_NS1_11comp_targetILNS1_3genE3ELNS1_11target_archE908ELNS1_3gpuE7ELNS1_3repE0EEENS1_44radix_sort_block_sort_config_static_selectorELNS0_4arch9wavefront6targetE0EEEvSG_,@function
_ZN7rocprim17ROCPRIM_400000_NS6detail17trampoline_kernelINS0_13kernel_configILj256ELj4ELj4294967295EEENS1_37radix_sort_block_sort_config_selectorI12hip_bfloat16NS0_10empty_typeEEEZNS1_21radix_sort_block_sortIS4_Lb1EPKS6_PS6_PS7_SD_NS0_19identity_decomposerEEE10hipError_tT1_T2_T3_T4_jRjT5_jjP12ihipStream_tbEUlT_E_NS1_11comp_targetILNS1_3genE3ELNS1_11target_archE908ELNS1_3gpuE7ELNS1_3repE0EEENS1_44radix_sort_block_sort_config_static_selectorELNS0_4arch9wavefront6targetE0EEEvSG_: ; @_ZN7rocprim17ROCPRIM_400000_NS6detail17trampoline_kernelINS0_13kernel_configILj256ELj4ELj4294967295EEENS1_37radix_sort_block_sort_config_selectorI12hip_bfloat16NS0_10empty_typeEEEZNS1_21radix_sort_block_sortIS4_Lb1EPKS6_PS6_PS7_SD_NS0_19identity_decomposerEEE10hipError_tT1_T2_T3_T4_jRjT5_jjP12ihipStream_tbEUlT_E_NS1_11comp_targetILNS1_3genE3ELNS1_11target_archE908ELNS1_3gpuE7ELNS1_3repE0EEENS1_44radix_sort_block_sort_config_static_selectorELNS0_4arch9wavefront6targetE0EEEvSG_
; %bb.0:
	.section	.rodata,"a",@progbits
	.p2align	6, 0x0
	.amdhsa_kernel _ZN7rocprim17ROCPRIM_400000_NS6detail17trampoline_kernelINS0_13kernel_configILj256ELj4ELj4294967295EEENS1_37radix_sort_block_sort_config_selectorI12hip_bfloat16NS0_10empty_typeEEEZNS1_21radix_sort_block_sortIS4_Lb1EPKS6_PS6_PS7_SD_NS0_19identity_decomposerEEE10hipError_tT1_T2_T3_T4_jRjT5_jjP12ihipStream_tbEUlT_E_NS1_11comp_targetILNS1_3genE3ELNS1_11target_archE908ELNS1_3gpuE7ELNS1_3repE0EEENS1_44radix_sort_block_sort_config_static_selectorELNS0_4arch9wavefront6targetE0EEEvSG_
		.amdhsa_group_segment_fixed_size 0
		.amdhsa_private_segment_fixed_size 0
		.amdhsa_kernarg_size 48
		.amdhsa_user_sgpr_count 2
		.amdhsa_user_sgpr_dispatch_ptr 0
		.amdhsa_user_sgpr_queue_ptr 0
		.amdhsa_user_sgpr_kernarg_segment_ptr 1
		.amdhsa_user_sgpr_dispatch_id 0
		.amdhsa_user_sgpr_kernarg_preload_length 0
		.amdhsa_user_sgpr_kernarg_preload_offset 0
		.amdhsa_user_sgpr_private_segment_size 0
		.amdhsa_wavefront_size32 1
		.amdhsa_uses_dynamic_stack 0
		.amdhsa_enable_private_segment 0
		.amdhsa_system_sgpr_workgroup_id_x 1
		.amdhsa_system_sgpr_workgroup_id_y 0
		.amdhsa_system_sgpr_workgroup_id_z 0
		.amdhsa_system_sgpr_workgroup_info 0
		.amdhsa_system_vgpr_workitem_id 0
		.amdhsa_next_free_vgpr 1
		.amdhsa_next_free_sgpr 1
		.amdhsa_named_barrier_count 0
		.amdhsa_reserve_vcc 0
		.amdhsa_float_round_mode_32 0
		.amdhsa_float_round_mode_16_64 0
		.amdhsa_float_denorm_mode_32 3
		.amdhsa_float_denorm_mode_16_64 3
		.amdhsa_fp16_overflow 0
		.amdhsa_memory_ordered 1
		.amdhsa_forward_progress 1
		.amdhsa_inst_pref_size 0
		.amdhsa_round_robin_scheduling 0
		.amdhsa_exception_fp_ieee_invalid_op 0
		.amdhsa_exception_fp_denorm_src 0
		.amdhsa_exception_fp_ieee_div_zero 0
		.amdhsa_exception_fp_ieee_overflow 0
		.amdhsa_exception_fp_ieee_underflow 0
		.amdhsa_exception_fp_ieee_inexact 0
		.amdhsa_exception_int_div_zero 0
	.end_amdhsa_kernel
	.section	.text._ZN7rocprim17ROCPRIM_400000_NS6detail17trampoline_kernelINS0_13kernel_configILj256ELj4ELj4294967295EEENS1_37radix_sort_block_sort_config_selectorI12hip_bfloat16NS0_10empty_typeEEEZNS1_21radix_sort_block_sortIS4_Lb1EPKS6_PS6_PS7_SD_NS0_19identity_decomposerEEE10hipError_tT1_T2_T3_T4_jRjT5_jjP12ihipStream_tbEUlT_E_NS1_11comp_targetILNS1_3genE3ELNS1_11target_archE908ELNS1_3gpuE7ELNS1_3repE0EEENS1_44radix_sort_block_sort_config_static_selectorELNS0_4arch9wavefront6targetE0EEEvSG_,"axG",@progbits,_ZN7rocprim17ROCPRIM_400000_NS6detail17trampoline_kernelINS0_13kernel_configILj256ELj4ELj4294967295EEENS1_37radix_sort_block_sort_config_selectorI12hip_bfloat16NS0_10empty_typeEEEZNS1_21radix_sort_block_sortIS4_Lb1EPKS6_PS6_PS7_SD_NS0_19identity_decomposerEEE10hipError_tT1_T2_T3_T4_jRjT5_jjP12ihipStream_tbEUlT_E_NS1_11comp_targetILNS1_3genE3ELNS1_11target_archE908ELNS1_3gpuE7ELNS1_3repE0EEENS1_44radix_sort_block_sort_config_static_selectorELNS0_4arch9wavefront6targetE0EEEvSG_,comdat
.Lfunc_end1891:
	.size	_ZN7rocprim17ROCPRIM_400000_NS6detail17trampoline_kernelINS0_13kernel_configILj256ELj4ELj4294967295EEENS1_37radix_sort_block_sort_config_selectorI12hip_bfloat16NS0_10empty_typeEEEZNS1_21radix_sort_block_sortIS4_Lb1EPKS6_PS6_PS7_SD_NS0_19identity_decomposerEEE10hipError_tT1_T2_T3_T4_jRjT5_jjP12ihipStream_tbEUlT_E_NS1_11comp_targetILNS1_3genE3ELNS1_11target_archE908ELNS1_3gpuE7ELNS1_3repE0EEENS1_44radix_sort_block_sort_config_static_selectorELNS0_4arch9wavefront6targetE0EEEvSG_, .Lfunc_end1891-_ZN7rocprim17ROCPRIM_400000_NS6detail17trampoline_kernelINS0_13kernel_configILj256ELj4ELj4294967295EEENS1_37radix_sort_block_sort_config_selectorI12hip_bfloat16NS0_10empty_typeEEEZNS1_21radix_sort_block_sortIS4_Lb1EPKS6_PS6_PS7_SD_NS0_19identity_decomposerEEE10hipError_tT1_T2_T3_T4_jRjT5_jjP12ihipStream_tbEUlT_E_NS1_11comp_targetILNS1_3genE3ELNS1_11target_archE908ELNS1_3gpuE7ELNS1_3repE0EEENS1_44radix_sort_block_sort_config_static_selectorELNS0_4arch9wavefront6targetE0EEEvSG_
                                        ; -- End function
	.set _ZN7rocprim17ROCPRIM_400000_NS6detail17trampoline_kernelINS0_13kernel_configILj256ELj4ELj4294967295EEENS1_37radix_sort_block_sort_config_selectorI12hip_bfloat16NS0_10empty_typeEEEZNS1_21radix_sort_block_sortIS4_Lb1EPKS6_PS6_PS7_SD_NS0_19identity_decomposerEEE10hipError_tT1_T2_T3_T4_jRjT5_jjP12ihipStream_tbEUlT_E_NS1_11comp_targetILNS1_3genE3ELNS1_11target_archE908ELNS1_3gpuE7ELNS1_3repE0EEENS1_44radix_sort_block_sort_config_static_selectorELNS0_4arch9wavefront6targetE0EEEvSG_.num_vgpr, 0
	.set _ZN7rocprim17ROCPRIM_400000_NS6detail17trampoline_kernelINS0_13kernel_configILj256ELj4ELj4294967295EEENS1_37radix_sort_block_sort_config_selectorI12hip_bfloat16NS0_10empty_typeEEEZNS1_21radix_sort_block_sortIS4_Lb1EPKS6_PS6_PS7_SD_NS0_19identity_decomposerEEE10hipError_tT1_T2_T3_T4_jRjT5_jjP12ihipStream_tbEUlT_E_NS1_11comp_targetILNS1_3genE3ELNS1_11target_archE908ELNS1_3gpuE7ELNS1_3repE0EEENS1_44radix_sort_block_sort_config_static_selectorELNS0_4arch9wavefront6targetE0EEEvSG_.num_agpr, 0
	.set _ZN7rocprim17ROCPRIM_400000_NS6detail17trampoline_kernelINS0_13kernel_configILj256ELj4ELj4294967295EEENS1_37radix_sort_block_sort_config_selectorI12hip_bfloat16NS0_10empty_typeEEEZNS1_21radix_sort_block_sortIS4_Lb1EPKS6_PS6_PS7_SD_NS0_19identity_decomposerEEE10hipError_tT1_T2_T3_T4_jRjT5_jjP12ihipStream_tbEUlT_E_NS1_11comp_targetILNS1_3genE3ELNS1_11target_archE908ELNS1_3gpuE7ELNS1_3repE0EEENS1_44radix_sort_block_sort_config_static_selectorELNS0_4arch9wavefront6targetE0EEEvSG_.numbered_sgpr, 0
	.set _ZN7rocprim17ROCPRIM_400000_NS6detail17trampoline_kernelINS0_13kernel_configILj256ELj4ELj4294967295EEENS1_37radix_sort_block_sort_config_selectorI12hip_bfloat16NS0_10empty_typeEEEZNS1_21radix_sort_block_sortIS4_Lb1EPKS6_PS6_PS7_SD_NS0_19identity_decomposerEEE10hipError_tT1_T2_T3_T4_jRjT5_jjP12ihipStream_tbEUlT_E_NS1_11comp_targetILNS1_3genE3ELNS1_11target_archE908ELNS1_3gpuE7ELNS1_3repE0EEENS1_44radix_sort_block_sort_config_static_selectorELNS0_4arch9wavefront6targetE0EEEvSG_.num_named_barrier, 0
	.set _ZN7rocprim17ROCPRIM_400000_NS6detail17trampoline_kernelINS0_13kernel_configILj256ELj4ELj4294967295EEENS1_37radix_sort_block_sort_config_selectorI12hip_bfloat16NS0_10empty_typeEEEZNS1_21radix_sort_block_sortIS4_Lb1EPKS6_PS6_PS7_SD_NS0_19identity_decomposerEEE10hipError_tT1_T2_T3_T4_jRjT5_jjP12ihipStream_tbEUlT_E_NS1_11comp_targetILNS1_3genE3ELNS1_11target_archE908ELNS1_3gpuE7ELNS1_3repE0EEENS1_44radix_sort_block_sort_config_static_selectorELNS0_4arch9wavefront6targetE0EEEvSG_.private_seg_size, 0
	.set _ZN7rocprim17ROCPRIM_400000_NS6detail17trampoline_kernelINS0_13kernel_configILj256ELj4ELj4294967295EEENS1_37radix_sort_block_sort_config_selectorI12hip_bfloat16NS0_10empty_typeEEEZNS1_21radix_sort_block_sortIS4_Lb1EPKS6_PS6_PS7_SD_NS0_19identity_decomposerEEE10hipError_tT1_T2_T3_T4_jRjT5_jjP12ihipStream_tbEUlT_E_NS1_11comp_targetILNS1_3genE3ELNS1_11target_archE908ELNS1_3gpuE7ELNS1_3repE0EEENS1_44radix_sort_block_sort_config_static_selectorELNS0_4arch9wavefront6targetE0EEEvSG_.uses_vcc, 0
	.set _ZN7rocprim17ROCPRIM_400000_NS6detail17trampoline_kernelINS0_13kernel_configILj256ELj4ELj4294967295EEENS1_37radix_sort_block_sort_config_selectorI12hip_bfloat16NS0_10empty_typeEEEZNS1_21radix_sort_block_sortIS4_Lb1EPKS6_PS6_PS7_SD_NS0_19identity_decomposerEEE10hipError_tT1_T2_T3_T4_jRjT5_jjP12ihipStream_tbEUlT_E_NS1_11comp_targetILNS1_3genE3ELNS1_11target_archE908ELNS1_3gpuE7ELNS1_3repE0EEENS1_44radix_sort_block_sort_config_static_selectorELNS0_4arch9wavefront6targetE0EEEvSG_.uses_flat_scratch, 0
	.set _ZN7rocprim17ROCPRIM_400000_NS6detail17trampoline_kernelINS0_13kernel_configILj256ELj4ELj4294967295EEENS1_37radix_sort_block_sort_config_selectorI12hip_bfloat16NS0_10empty_typeEEEZNS1_21radix_sort_block_sortIS4_Lb1EPKS6_PS6_PS7_SD_NS0_19identity_decomposerEEE10hipError_tT1_T2_T3_T4_jRjT5_jjP12ihipStream_tbEUlT_E_NS1_11comp_targetILNS1_3genE3ELNS1_11target_archE908ELNS1_3gpuE7ELNS1_3repE0EEENS1_44radix_sort_block_sort_config_static_selectorELNS0_4arch9wavefront6targetE0EEEvSG_.has_dyn_sized_stack, 0
	.set _ZN7rocprim17ROCPRIM_400000_NS6detail17trampoline_kernelINS0_13kernel_configILj256ELj4ELj4294967295EEENS1_37radix_sort_block_sort_config_selectorI12hip_bfloat16NS0_10empty_typeEEEZNS1_21radix_sort_block_sortIS4_Lb1EPKS6_PS6_PS7_SD_NS0_19identity_decomposerEEE10hipError_tT1_T2_T3_T4_jRjT5_jjP12ihipStream_tbEUlT_E_NS1_11comp_targetILNS1_3genE3ELNS1_11target_archE908ELNS1_3gpuE7ELNS1_3repE0EEENS1_44radix_sort_block_sort_config_static_selectorELNS0_4arch9wavefront6targetE0EEEvSG_.has_recursion, 0
	.set _ZN7rocprim17ROCPRIM_400000_NS6detail17trampoline_kernelINS0_13kernel_configILj256ELj4ELj4294967295EEENS1_37radix_sort_block_sort_config_selectorI12hip_bfloat16NS0_10empty_typeEEEZNS1_21radix_sort_block_sortIS4_Lb1EPKS6_PS6_PS7_SD_NS0_19identity_decomposerEEE10hipError_tT1_T2_T3_T4_jRjT5_jjP12ihipStream_tbEUlT_E_NS1_11comp_targetILNS1_3genE3ELNS1_11target_archE908ELNS1_3gpuE7ELNS1_3repE0EEENS1_44radix_sort_block_sort_config_static_selectorELNS0_4arch9wavefront6targetE0EEEvSG_.has_indirect_call, 0
	.section	.AMDGPU.csdata,"",@progbits
; Kernel info:
; codeLenInByte = 0
; TotalNumSgprs: 0
; NumVgprs: 0
; ScratchSize: 0
; MemoryBound: 0
; FloatMode: 240
; IeeeMode: 1
; LDSByteSize: 0 bytes/workgroup (compile time only)
; SGPRBlocks: 0
; VGPRBlocks: 0
; NumSGPRsForWavesPerEU: 1
; NumVGPRsForWavesPerEU: 1
; NamedBarCnt: 0
; Occupancy: 16
; WaveLimiterHint : 0
; COMPUTE_PGM_RSRC2:SCRATCH_EN: 0
; COMPUTE_PGM_RSRC2:USER_SGPR: 2
; COMPUTE_PGM_RSRC2:TRAP_HANDLER: 0
; COMPUTE_PGM_RSRC2:TGID_X_EN: 1
; COMPUTE_PGM_RSRC2:TGID_Y_EN: 0
; COMPUTE_PGM_RSRC2:TGID_Z_EN: 0
; COMPUTE_PGM_RSRC2:TIDIG_COMP_CNT: 0
	.section	.text._ZN7rocprim17ROCPRIM_400000_NS6detail17trampoline_kernelINS0_13kernel_configILj256ELj4ELj4294967295EEENS1_37radix_sort_block_sort_config_selectorI12hip_bfloat16NS0_10empty_typeEEEZNS1_21radix_sort_block_sortIS4_Lb1EPKS6_PS6_PS7_SD_NS0_19identity_decomposerEEE10hipError_tT1_T2_T3_T4_jRjT5_jjP12ihipStream_tbEUlT_E_NS1_11comp_targetILNS1_3genE2ELNS1_11target_archE906ELNS1_3gpuE6ELNS1_3repE0EEENS1_44radix_sort_block_sort_config_static_selectorELNS0_4arch9wavefront6targetE0EEEvSG_,"axG",@progbits,_ZN7rocprim17ROCPRIM_400000_NS6detail17trampoline_kernelINS0_13kernel_configILj256ELj4ELj4294967295EEENS1_37radix_sort_block_sort_config_selectorI12hip_bfloat16NS0_10empty_typeEEEZNS1_21radix_sort_block_sortIS4_Lb1EPKS6_PS6_PS7_SD_NS0_19identity_decomposerEEE10hipError_tT1_T2_T3_T4_jRjT5_jjP12ihipStream_tbEUlT_E_NS1_11comp_targetILNS1_3genE2ELNS1_11target_archE906ELNS1_3gpuE6ELNS1_3repE0EEENS1_44radix_sort_block_sort_config_static_selectorELNS0_4arch9wavefront6targetE0EEEvSG_,comdat
	.protected	_ZN7rocprim17ROCPRIM_400000_NS6detail17trampoline_kernelINS0_13kernel_configILj256ELj4ELj4294967295EEENS1_37radix_sort_block_sort_config_selectorI12hip_bfloat16NS0_10empty_typeEEEZNS1_21radix_sort_block_sortIS4_Lb1EPKS6_PS6_PS7_SD_NS0_19identity_decomposerEEE10hipError_tT1_T2_T3_T4_jRjT5_jjP12ihipStream_tbEUlT_E_NS1_11comp_targetILNS1_3genE2ELNS1_11target_archE906ELNS1_3gpuE6ELNS1_3repE0EEENS1_44radix_sort_block_sort_config_static_selectorELNS0_4arch9wavefront6targetE0EEEvSG_ ; -- Begin function _ZN7rocprim17ROCPRIM_400000_NS6detail17trampoline_kernelINS0_13kernel_configILj256ELj4ELj4294967295EEENS1_37radix_sort_block_sort_config_selectorI12hip_bfloat16NS0_10empty_typeEEEZNS1_21radix_sort_block_sortIS4_Lb1EPKS6_PS6_PS7_SD_NS0_19identity_decomposerEEE10hipError_tT1_T2_T3_T4_jRjT5_jjP12ihipStream_tbEUlT_E_NS1_11comp_targetILNS1_3genE2ELNS1_11target_archE906ELNS1_3gpuE6ELNS1_3repE0EEENS1_44radix_sort_block_sort_config_static_selectorELNS0_4arch9wavefront6targetE0EEEvSG_
	.globl	_ZN7rocprim17ROCPRIM_400000_NS6detail17trampoline_kernelINS0_13kernel_configILj256ELj4ELj4294967295EEENS1_37radix_sort_block_sort_config_selectorI12hip_bfloat16NS0_10empty_typeEEEZNS1_21radix_sort_block_sortIS4_Lb1EPKS6_PS6_PS7_SD_NS0_19identity_decomposerEEE10hipError_tT1_T2_T3_T4_jRjT5_jjP12ihipStream_tbEUlT_E_NS1_11comp_targetILNS1_3genE2ELNS1_11target_archE906ELNS1_3gpuE6ELNS1_3repE0EEENS1_44radix_sort_block_sort_config_static_selectorELNS0_4arch9wavefront6targetE0EEEvSG_
	.p2align	8
	.type	_ZN7rocprim17ROCPRIM_400000_NS6detail17trampoline_kernelINS0_13kernel_configILj256ELj4ELj4294967295EEENS1_37radix_sort_block_sort_config_selectorI12hip_bfloat16NS0_10empty_typeEEEZNS1_21radix_sort_block_sortIS4_Lb1EPKS6_PS6_PS7_SD_NS0_19identity_decomposerEEE10hipError_tT1_T2_T3_T4_jRjT5_jjP12ihipStream_tbEUlT_E_NS1_11comp_targetILNS1_3genE2ELNS1_11target_archE906ELNS1_3gpuE6ELNS1_3repE0EEENS1_44radix_sort_block_sort_config_static_selectorELNS0_4arch9wavefront6targetE0EEEvSG_,@function
_ZN7rocprim17ROCPRIM_400000_NS6detail17trampoline_kernelINS0_13kernel_configILj256ELj4ELj4294967295EEENS1_37radix_sort_block_sort_config_selectorI12hip_bfloat16NS0_10empty_typeEEEZNS1_21radix_sort_block_sortIS4_Lb1EPKS6_PS6_PS7_SD_NS0_19identity_decomposerEEE10hipError_tT1_T2_T3_T4_jRjT5_jjP12ihipStream_tbEUlT_E_NS1_11comp_targetILNS1_3genE2ELNS1_11target_archE906ELNS1_3gpuE6ELNS1_3repE0EEENS1_44radix_sort_block_sort_config_static_selectorELNS0_4arch9wavefront6targetE0EEEvSG_: ; @_ZN7rocprim17ROCPRIM_400000_NS6detail17trampoline_kernelINS0_13kernel_configILj256ELj4ELj4294967295EEENS1_37radix_sort_block_sort_config_selectorI12hip_bfloat16NS0_10empty_typeEEEZNS1_21radix_sort_block_sortIS4_Lb1EPKS6_PS6_PS7_SD_NS0_19identity_decomposerEEE10hipError_tT1_T2_T3_T4_jRjT5_jjP12ihipStream_tbEUlT_E_NS1_11comp_targetILNS1_3genE2ELNS1_11target_archE906ELNS1_3gpuE6ELNS1_3repE0EEENS1_44radix_sort_block_sort_config_static_selectorELNS0_4arch9wavefront6targetE0EEEvSG_
; %bb.0:
	.section	.rodata,"a",@progbits
	.p2align	6, 0x0
	.amdhsa_kernel _ZN7rocprim17ROCPRIM_400000_NS6detail17trampoline_kernelINS0_13kernel_configILj256ELj4ELj4294967295EEENS1_37radix_sort_block_sort_config_selectorI12hip_bfloat16NS0_10empty_typeEEEZNS1_21radix_sort_block_sortIS4_Lb1EPKS6_PS6_PS7_SD_NS0_19identity_decomposerEEE10hipError_tT1_T2_T3_T4_jRjT5_jjP12ihipStream_tbEUlT_E_NS1_11comp_targetILNS1_3genE2ELNS1_11target_archE906ELNS1_3gpuE6ELNS1_3repE0EEENS1_44radix_sort_block_sort_config_static_selectorELNS0_4arch9wavefront6targetE0EEEvSG_
		.amdhsa_group_segment_fixed_size 0
		.amdhsa_private_segment_fixed_size 0
		.amdhsa_kernarg_size 48
		.amdhsa_user_sgpr_count 2
		.amdhsa_user_sgpr_dispatch_ptr 0
		.amdhsa_user_sgpr_queue_ptr 0
		.amdhsa_user_sgpr_kernarg_segment_ptr 1
		.amdhsa_user_sgpr_dispatch_id 0
		.amdhsa_user_sgpr_kernarg_preload_length 0
		.amdhsa_user_sgpr_kernarg_preload_offset 0
		.amdhsa_user_sgpr_private_segment_size 0
		.amdhsa_wavefront_size32 1
		.amdhsa_uses_dynamic_stack 0
		.amdhsa_enable_private_segment 0
		.amdhsa_system_sgpr_workgroup_id_x 1
		.amdhsa_system_sgpr_workgroup_id_y 0
		.amdhsa_system_sgpr_workgroup_id_z 0
		.amdhsa_system_sgpr_workgroup_info 0
		.amdhsa_system_vgpr_workitem_id 0
		.amdhsa_next_free_vgpr 1
		.amdhsa_next_free_sgpr 1
		.amdhsa_named_barrier_count 0
		.amdhsa_reserve_vcc 0
		.amdhsa_float_round_mode_32 0
		.amdhsa_float_round_mode_16_64 0
		.amdhsa_float_denorm_mode_32 3
		.amdhsa_float_denorm_mode_16_64 3
		.amdhsa_fp16_overflow 0
		.amdhsa_memory_ordered 1
		.amdhsa_forward_progress 1
		.amdhsa_inst_pref_size 0
		.amdhsa_round_robin_scheduling 0
		.amdhsa_exception_fp_ieee_invalid_op 0
		.amdhsa_exception_fp_denorm_src 0
		.amdhsa_exception_fp_ieee_div_zero 0
		.amdhsa_exception_fp_ieee_overflow 0
		.amdhsa_exception_fp_ieee_underflow 0
		.amdhsa_exception_fp_ieee_inexact 0
		.amdhsa_exception_int_div_zero 0
	.end_amdhsa_kernel
	.section	.text._ZN7rocprim17ROCPRIM_400000_NS6detail17trampoline_kernelINS0_13kernel_configILj256ELj4ELj4294967295EEENS1_37radix_sort_block_sort_config_selectorI12hip_bfloat16NS0_10empty_typeEEEZNS1_21radix_sort_block_sortIS4_Lb1EPKS6_PS6_PS7_SD_NS0_19identity_decomposerEEE10hipError_tT1_T2_T3_T4_jRjT5_jjP12ihipStream_tbEUlT_E_NS1_11comp_targetILNS1_3genE2ELNS1_11target_archE906ELNS1_3gpuE6ELNS1_3repE0EEENS1_44radix_sort_block_sort_config_static_selectorELNS0_4arch9wavefront6targetE0EEEvSG_,"axG",@progbits,_ZN7rocprim17ROCPRIM_400000_NS6detail17trampoline_kernelINS0_13kernel_configILj256ELj4ELj4294967295EEENS1_37radix_sort_block_sort_config_selectorI12hip_bfloat16NS0_10empty_typeEEEZNS1_21radix_sort_block_sortIS4_Lb1EPKS6_PS6_PS7_SD_NS0_19identity_decomposerEEE10hipError_tT1_T2_T3_T4_jRjT5_jjP12ihipStream_tbEUlT_E_NS1_11comp_targetILNS1_3genE2ELNS1_11target_archE906ELNS1_3gpuE6ELNS1_3repE0EEENS1_44radix_sort_block_sort_config_static_selectorELNS0_4arch9wavefront6targetE0EEEvSG_,comdat
.Lfunc_end1892:
	.size	_ZN7rocprim17ROCPRIM_400000_NS6detail17trampoline_kernelINS0_13kernel_configILj256ELj4ELj4294967295EEENS1_37radix_sort_block_sort_config_selectorI12hip_bfloat16NS0_10empty_typeEEEZNS1_21radix_sort_block_sortIS4_Lb1EPKS6_PS6_PS7_SD_NS0_19identity_decomposerEEE10hipError_tT1_T2_T3_T4_jRjT5_jjP12ihipStream_tbEUlT_E_NS1_11comp_targetILNS1_3genE2ELNS1_11target_archE906ELNS1_3gpuE6ELNS1_3repE0EEENS1_44radix_sort_block_sort_config_static_selectorELNS0_4arch9wavefront6targetE0EEEvSG_, .Lfunc_end1892-_ZN7rocprim17ROCPRIM_400000_NS6detail17trampoline_kernelINS0_13kernel_configILj256ELj4ELj4294967295EEENS1_37radix_sort_block_sort_config_selectorI12hip_bfloat16NS0_10empty_typeEEEZNS1_21radix_sort_block_sortIS4_Lb1EPKS6_PS6_PS7_SD_NS0_19identity_decomposerEEE10hipError_tT1_T2_T3_T4_jRjT5_jjP12ihipStream_tbEUlT_E_NS1_11comp_targetILNS1_3genE2ELNS1_11target_archE906ELNS1_3gpuE6ELNS1_3repE0EEENS1_44radix_sort_block_sort_config_static_selectorELNS0_4arch9wavefront6targetE0EEEvSG_
                                        ; -- End function
	.set _ZN7rocprim17ROCPRIM_400000_NS6detail17trampoline_kernelINS0_13kernel_configILj256ELj4ELj4294967295EEENS1_37radix_sort_block_sort_config_selectorI12hip_bfloat16NS0_10empty_typeEEEZNS1_21radix_sort_block_sortIS4_Lb1EPKS6_PS6_PS7_SD_NS0_19identity_decomposerEEE10hipError_tT1_T2_T3_T4_jRjT5_jjP12ihipStream_tbEUlT_E_NS1_11comp_targetILNS1_3genE2ELNS1_11target_archE906ELNS1_3gpuE6ELNS1_3repE0EEENS1_44radix_sort_block_sort_config_static_selectorELNS0_4arch9wavefront6targetE0EEEvSG_.num_vgpr, 0
	.set _ZN7rocprim17ROCPRIM_400000_NS6detail17trampoline_kernelINS0_13kernel_configILj256ELj4ELj4294967295EEENS1_37radix_sort_block_sort_config_selectorI12hip_bfloat16NS0_10empty_typeEEEZNS1_21radix_sort_block_sortIS4_Lb1EPKS6_PS6_PS7_SD_NS0_19identity_decomposerEEE10hipError_tT1_T2_T3_T4_jRjT5_jjP12ihipStream_tbEUlT_E_NS1_11comp_targetILNS1_3genE2ELNS1_11target_archE906ELNS1_3gpuE6ELNS1_3repE0EEENS1_44radix_sort_block_sort_config_static_selectorELNS0_4arch9wavefront6targetE0EEEvSG_.num_agpr, 0
	.set _ZN7rocprim17ROCPRIM_400000_NS6detail17trampoline_kernelINS0_13kernel_configILj256ELj4ELj4294967295EEENS1_37radix_sort_block_sort_config_selectorI12hip_bfloat16NS0_10empty_typeEEEZNS1_21radix_sort_block_sortIS4_Lb1EPKS6_PS6_PS7_SD_NS0_19identity_decomposerEEE10hipError_tT1_T2_T3_T4_jRjT5_jjP12ihipStream_tbEUlT_E_NS1_11comp_targetILNS1_3genE2ELNS1_11target_archE906ELNS1_3gpuE6ELNS1_3repE0EEENS1_44radix_sort_block_sort_config_static_selectorELNS0_4arch9wavefront6targetE0EEEvSG_.numbered_sgpr, 0
	.set _ZN7rocprim17ROCPRIM_400000_NS6detail17trampoline_kernelINS0_13kernel_configILj256ELj4ELj4294967295EEENS1_37radix_sort_block_sort_config_selectorI12hip_bfloat16NS0_10empty_typeEEEZNS1_21radix_sort_block_sortIS4_Lb1EPKS6_PS6_PS7_SD_NS0_19identity_decomposerEEE10hipError_tT1_T2_T3_T4_jRjT5_jjP12ihipStream_tbEUlT_E_NS1_11comp_targetILNS1_3genE2ELNS1_11target_archE906ELNS1_3gpuE6ELNS1_3repE0EEENS1_44radix_sort_block_sort_config_static_selectorELNS0_4arch9wavefront6targetE0EEEvSG_.num_named_barrier, 0
	.set _ZN7rocprim17ROCPRIM_400000_NS6detail17trampoline_kernelINS0_13kernel_configILj256ELj4ELj4294967295EEENS1_37radix_sort_block_sort_config_selectorI12hip_bfloat16NS0_10empty_typeEEEZNS1_21radix_sort_block_sortIS4_Lb1EPKS6_PS6_PS7_SD_NS0_19identity_decomposerEEE10hipError_tT1_T2_T3_T4_jRjT5_jjP12ihipStream_tbEUlT_E_NS1_11comp_targetILNS1_3genE2ELNS1_11target_archE906ELNS1_3gpuE6ELNS1_3repE0EEENS1_44radix_sort_block_sort_config_static_selectorELNS0_4arch9wavefront6targetE0EEEvSG_.private_seg_size, 0
	.set _ZN7rocprim17ROCPRIM_400000_NS6detail17trampoline_kernelINS0_13kernel_configILj256ELj4ELj4294967295EEENS1_37radix_sort_block_sort_config_selectorI12hip_bfloat16NS0_10empty_typeEEEZNS1_21radix_sort_block_sortIS4_Lb1EPKS6_PS6_PS7_SD_NS0_19identity_decomposerEEE10hipError_tT1_T2_T3_T4_jRjT5_jjP12ihipStream_tbEUlT_E_NS1_11comp_targetILNS1_3genE2ELNS1_11target_archE906ELNS1_3gpuE6ELNS1_3repE0EEENS1_44radix_sort_block_sort_config_static_selectorELNS0_4arch9wavefront6targetE0EEEvSG_.uses_vcc, 0
	.set _ZN7rocprim17ROCPRIM_400000_NS6detail17trampoline_kernelINS0_13kernel_configILj256ELj4ELj4294967295EEENS1_37radix_sort_block_sort_config_selectorI12hip_bfloat16NS0_10empty_typeEEEZNS1_21radix_sort_block_sortIS4_Lb1EPKS6_PS6_PS7_SD_NS0_19identity_decomposerEEE10hipError_tT1_T2_T3_T4_jRjT5_jjP12ihipStream_tbEUlT_E_NS1_11comp_targetILNS1_3genE2ELNS1_11target_archE906ELNS1_3gpuE6ELNS1_3repE0EEENS1_44radix_sort_block_sort_config_static_selectorELNS0_4arch9wavefront6targetE0EEEvSG_.uses_flat_scratch, 0
	.set _ZN7rocprim17ROCPRIM_400000_NS6detail17trampoline_kernelINS0_13kernel_configILj256ELj4ELj4294967295EEENS1_37radix_sort_block_sort_config_selectorI12hip_bfloat16NS0_10empty_typeEEEZNS1_21radix_sort_block_sortIS4_Lb1EPKS6_PS6_PS7_SD_NS0_19identity_decomposerEEE10hipError_tT1_T2_T3_T4_jRjT5_jjP12ihipStream_tbEUlT_E_NS1_11comp_targetILNS1_3genE2ELNS1_11target_archE906ELNS1_3gpuE6ELNS1_3repE0EEENS1_44radix_sort_block_sort_config_static_selectorELNS0_4arch9wavefront6targetE0EEEvSG_.has_dyn_sized_stack, 0
	.set _ZN7rocprim17ROCPRIM_400000_NS6detail17trampoline_kernelINS0_13kernel_configILj256ELj4ELj4294967295EEENS1_37radix_sort_block_sort_config_selectorI12hip_bfloat16NS0_10empty_typeEEEZNS1_21radix_sort_block_sortIS4_Lb1EPKS6_PS6_PS7_SD_NS0_19identity_decomposerEEE10hipError_tT1_T2_T3_T4_jRjT5_jjP12ihipStream_tbEUlT_E_NS1_11comp_targetILNS1_3genE2ELNS1_11target_archE906ELNS1_3gpuE6ELNS1_3repE0EEENS1_44radix_sort_block_sort_config_static_selectorELNS0_4arch9wavefront6targetE0EEEvSG_.has_recursion, 0
	.set _ZN7rocprim17ROCPRIM_400000_NS6detail17trampoline_kernelINS0_13kernel_configILj256ELj4ELj4294967295EEENS1_37radix_sort_block_sort_config_selectorI12hip_bfloat16NS0_10empty_typeEEEZNS1_21radix_sort_block_sortIS4_Lb1EPKS6_PS6_PS7_SD_NS0_19identity_decomposerEEE10hipError_tT1_T2_T3_T4_jRjT5_jjP12ihipStream_tbEUlT_E_NS1_11comp_targetILNS1_3genE2ELNS1_11target_archE906ELNS1_3gpuE6ELNS1_3repE0EEENS1_44radix_sort_block_sort_config_static_selectorELNS0_4arch9wavefront6targetE0EEEvSG_.has_indirect_call, 0
	.section	.AMDGPU.csdata,"",@progbits
; Kernel info:
; codeLenInByte = 0
; TotalNumSgprs: 0
; NumVgprs: 0
; ScratchSize: 0
; MemoryBound: 0
; FloatMode: 240
; IeeeMode: 1
; LDSByteSize: 0 bytes/workgroup (compile time only)
; SGPRBlocks: 0
; VGPRBlocks: 0
; NumSGPRsForWavesPerEU: 1
; NumVGPRsForWavesPerEU: 1
; NamedBarCnt: 0
; Occupancy: 16
; WaveLimiterHint : 0
; COMPUTE_PGM_RSRC2:SCRATCH_EN: 0
; COMPUTE_PGM_RSRC2:USER_SGPR: 2
; COMPUTE_PGM_RSRC2:TRAP_HANDLER: 0
; COMPUTE_PGM_RSRC2:TGID_X_EN: 1
; COMPUTE_PGM_RSRC2:TGID_Y_EN: 0
; COMPUTE_PGM_RSRC2:TGID_Z_EN: 0
; COMPUTE_PGM_RSRC2:TIDIG_COMP_CNT: 0
	.section	.text._ZN7rocprim17ROCPRIM_400000_NS6detail17trampoline_kernelINS0_13kernel_configILj256ELj4ELj4294967295EEENS1_37radix_sort_block_sort_config_selectorI12hip_bfloat16NS0_10empty_typeEEEZNS1_21radix_sort_block_sortIS4_Lb1EPKS6_PS6_PS7_SD_NS0_19identity_decomposerEEE10hipError_tT1_T2_T3_T4_jRjT5_jjP12ihipStream_tbEUlT_E_NS1_11comp_targetILNS1_3genE10ELNS1_11target_archE1201ELNS1_3gpuE5ELNS1_3repE0EEENS1_44radix_sort_block_sort_config_static_selectorELNS0_4arch9wavefront6targetE0EEEvSG_,"axG",@progbits,_ZN7rocprim17ROCPRIM_400000_NS6detail17trampoline_kernelINS0_13kernel_configILj256ELj4ELj4294967295EEENS1_37radix_sort_block_sort_config_selectorI12hip_bfloat16NS0_10empty_typeEEEZNS1_21radix_sort_block_sortIS4_Lb1EPKS6_PS6_PS7_SD_NS0_19identity_decomposerEEE10hipError_tT1_T2_T3_T4_jRjT5_jjP12ihipStream_tbEUlT_E_NS1_11comp_targetILNS1_3genE10ELNS1_11target_archE1201ELNS1_3gpuE5ELNS1_3repE0EEENS1_44radix_sort_block_sort_config_static_selectorELNS0_4arch9wavefront6targetE0EEEvSG_,comdat
	.protected	_ZN7rocprim17ROCPRIM_400000_NS6detail17trampoline_kernelINS0_13kernel_configILj256ELj4ELj4294967295EEENS1_37radix_sort_block_sort_config_selectorI12hip_bfloat16NS0_10empty_typeEEEZNS1_21radix_sort_block_sortIS4_Lb1EPKS6_PS6_PS7_SD_NS0_19identity_decomposerEEE10hipError_tT1_T2_T3_T4_jRjT5_jjP12ihipStream_tbEUlT_E_NS1_11comp_targetILNS1_3genE10ELNS1_11target_archE1201ELNS1_3gpuE5ELNS1_3repE0EEENS1_44radix_sort_block_sort_config_static_selectorELNS0_4arch9wavefront6targetE0EEEvSG_ ; -- Begin function _ZN7rocprim17ROCPRIM_400000_NS6detail17trampoline_kernelINS0_13kernel_configILj256ELj4ELj4294967295EEENS1_37radix_sort_block_sort_config_selectorI12hip_bfloat16NS0_10empty_typeEEEZNS1_21radix_sort_block_sortIS4_Lb1EPKS6_PS6_PS7_SD_NS0_19identity_decomposerEEE10hipError_tT1_T2_T3_T4_jRjT5_jjP12ihipStream_tbEUlT_E_NS1_11comp_targetILNS1_3genE10ELNS1_11target_archE1201ELNS1_3gpuE5ELNS1_3repE0EEENS1_44radix_sort_block_sort_config_static_selectorELNS0_4arch9wavefront6targetE0EEEvSG_
	.globl	_ZN7rocprim17ROCPRIM_400000_NS6detail17trampoline_kernelINS0_13kernel_configILj256ELj4ELj4294967295EEENS1_37radix_sort_block_sort_config_selectorI12hip_bfloat16NS0_10empty_typeEEEZNS1_21radix_sort_block_sortIS4_Lb1EPKS6_PS6_PS7_SD_NS0_19identity_decomposerEEE10hipError_tT1_T2_T3_T4_jRjT5_jjP12ihipStream_tbEUlT_E_NS1_11comp_targetILNS1_3genE10ELNS1_11target_archE1201ELNS1_3gpuE5ELNS1_3repE0EEENS1_44radix_sort_block_sort_config_static_selectorELNS0_4arch9wavefront6targetE0EEEvSG_
	.p2align	8
	.type	_ZN7rocprim17ROCPRIM_400000_NS6detail17trampoline_kernelINS0_13kernel_configILj256ELj4ELj4294967295EEENS1_37radix_sort_block_sort_config_selectorI12hip_bfloat16NS0_10empty_typeEEEZNS1_21radix_sort_block_sortIS4_Lb1EPKS6_PS6_PS7_SD_NS0_19identity_decomposerEEE10hipError_tT1_T2_T3_T4_jRjT5_jjP12ihipStream_tbEUlT_E_NS1_11comp_targetILNS1_3genE10ELNS1_11target_archE1201ELNS1_3gpuE5ELNS1_3repE0EEENS1_44radix_sort_block_sort_config_static_selectorELNS0_4arch9wavefront6targetE0EEEvSG_,@function
_ZN7rocprim17ROCPRIM_400000_NS6detail17trampoline_kernelINS0_13kernel_configILj256ELj4ELj4294967295EEENS1_37radix_sort_block_sort_config_selectorI12hip_bfloat16NS0_10empty_typeEEEZNS1_21radix_sort_block_sortIS4_Lb1EPKS6_PS6_PS7_SD_NS0_19identity_decomposerEEE10hipError_tT1_T2_T3_T4_jRjT5_jjP12ihipStream_tbEUlT_E_NS1_11comp_targetILNS1_3genE10ELNS1_11target_archE1201ELNS1_3gpuE5ELNS1_3repE0EEENS1_44radix_sort_block_sort_config_static_selectorELNS0_4arch9wavefront6targetE0EEEvSG_: ; @_ZN7rocprim17ROCPRIM_400000_NS6detail17trampoline_kernelINS0_13kernel_configILj256ELj4ELj4294967295EEENS1_37radix_sort_block_sort_config_selectorI12hip_bfloat16NS0_10empty_typeEEEZNS1_21radix_sort_block_sortIS4_Lb1EPKS6_PS6_PS7_SD_NS0_19identity_decomposerEEE10hipError_tT1_T2_T3_T4_jRjT5_jjP12ihipStream_tbEUlT_E_NS1_11comp_targetILNS1_3genE10ELNS1_11target_archE1201ELNS1_3gpuE5ELNS1_3repE0EEENS1_44radix_sort_block_sort_config_static_selectorELNS0_4arch9wavefront6targetE0EEEvSG_
; %bb.0:
	.section	.rodata,"a",@progbits
	.p2align	6, 0x0
	.amdhsa_kernel _ZN7rocprim17ROCPRIM_400000_NS6detail17trampoline_kernelINS0_13kernel_configILj256ELj4ELj4294967295EEENS1_37radix_sort_block_sort_config_selectorI12hip_bfloat16NS0_10empty_typeEEEZNS1_21radix_sort_block_sortIS4_Lb1EPKS6_PS6_PS7_SD_NS0_19identity_decomposerEEE10hipError_tT1_T2_T3_T4_jRjT5_jjP12ihipStream_tbEUlT_E_NS1_11comp_targetILNS1_3genE10ELNS1_11target_archE1201ELNS1_3gpuE5ELNS1_3repE0EEENS1_44radix_sort_block_sort_config_static_selectorELNS0_4arch9wavefront6targetE0EEEvSG_
		.amdhsa_group_segment_fixed_size 0
		.amdhsa_private_segment_fixed_size 0
		.amdhsa_kernarg_size 48
		.amdhsa_user_sgpr_count 2
		.amdhsa_user_sgpr_dispatch_ptr 0
		.amdhsa_user_sgpr_queue_ptr 0
		.amdhsa_user_sgpr_kernarg_segment_ptr 1
		.amdhsa_user_sgpr_dispatch_id 0
		.amdhsa_user_sgpr_kernarg_preload_length 0
		.amdhsa_user_sgpr_kernarg_preload_offset 0
		.amdhsa_user_sgpr_private_segment_size 0
		.amdhsa_wavefront_size32 1
		.amdhsa_uses_dynamic_stack 0
		.amdhsa_enable_private_segment 0
		.amdhsa_system_sgpr_workgroup_id_x 1
		.amdhsa_system_sgpr_workgroup_id_y 0
		.amdhsa_system_sgpr_workgroup_id_z 0
		.amdhsa_system_sgpr_workgroup_info 0
		.amdhsa_system_vgpr_workitem_id 0
		.amdhsa_next_free_vgpr 1
		.amdhsa_next_free_sgpr 1
		.amdhsa_named_barrier_count 0
		.amdhsa_reserve_vcc 0
		.amdhsa_float_round_mode_32 0
		.amdhsa_float_round_mode_16_64 0
		.amdhsa_float_denorm_mode_32 3
		.amdhsa_float_denorm_mode_16_64 3
		.amdhsa_fp16_overflow 0
		.amdhsa_memory_ordered 1
		.amdhsa_forward_progress 1
		.amdhsa_inst_pref_size 0
		.amdhsa_round_robin_scheduling 0
		.amdhsa_exception_fp_ieee_invalid_op 0
		.amdhsa_exception_fp_denorm_src 0
		.amdhsa_exception_fp_ieee_div_zero 0
		.amdhsa_exception_fp_ieee_overflow 0
		.amdhsa_exception_fp_ieee_underflow 0
		.amdhsa_exception_fp_ieee_inexact 0
		.amdhsa_exception_int_div_zero 0
	.end_amdhsa_kernel
	.section	.text._ZN7rocprim17ROCPRIM_400000_NS6detail17trampoline_kernelINS0_13kernel_configILj256ELj4ELj4294967295EEENS1_37radix_sort_block_sort_config_selectorI12hip_bfloat16NS0_10empty_typeEEEZNS1_21radix_sort_block_sortIS4_Lb1EPKS6_PS6_PS7_SD_NS0_19identity_decomposerEEE10hipError_tT1_T2_T3_T4_jRjT5_jjP12ihipStream_tbEUlT_E_NS1_11comp_targetILNS1_3genE10ELNS1_11target_archE1201ELNS1_3gpuE5ELNS1_3repE0EEENS1_44radix_sort_block_sort_config_static_selectorELNS0_4arch9wavefront6targetE0EEEvSG_,"axG",@progbits,_ZN7rocprim17ROCPRIM_400000_NS6detail17trampoline_kernelINS0_13kernel_configILj256ELj4ELj4294967295EEENS1_37radix_sort_block_sort_config_selectorI12hip_bfloat16NS0_10empty_typeEEEZNS1_21radix_sort_block_sortIS4_Lb1EPKS6_PS6_PS7_SD_NS0_19identity_decomposerEEE10hipError_tT1_T2_T3_T4_jRjT5_jjP12ihipStream_tbEUlT_E_NS1_11comp_targetILNS1_3genE10ELNS1_11target_archE1201ELNS1_3gpuE5ELNS1_3repE0EEENS1_44radix_sort_block_sort_config_static_selectorELNS0_4arch9wavefront6targetE0EEEvSG_,comdat
.Lfunc_end1893:
	.size	_ZN7rocprim17ROCPRIM_400000_NS6detail17trampoline_kernelINS0_13kernel_configILj256ELj4ELj4294967295EEENS1_37radix_sort_block_sort_config_selectorI12hip_bfloat16NS0_10empty_typeEEEZNS1_21radix_sort_block_sortIS4_Lb1EPKS6_PS6_PS7_SD_NS0_19identity_decomposerEEE10hipError_tT1_T2_T3_T4_jRjT5_jjP12ihipStream_tbEUlT_E_NS1_11comp_targetILNS1_3genE10ELNS1_11target_archE1201ELNS1_3gpuE5ELNS1_3repE0EEENS1_44radix_sort_block_sort_config_static_selectorELNS0_4arch9wavefront6targetE0EEEvSG_, .Lfunc_end1893-_ZN7rocprim17ROCPRIM_400000_NS6detail17trampoline_kernelINS0_13kernel_configILj256ELj4ELj4294967295EEENS1_37radix_sort_block_sort_config_selectorI12hip_bfloat16NS0_10empty_typeEEEZNS1_21radix_sort_block_sortIS4_Lb1EPKS6_PS6_PS7_SD_NS0_19identity_decomposerEEE10hipError_tT1_T2_T3_T4_jRjT5_jjP12ihipStream_tbEUlT_E_NS1_11comp_targetILNS1_3genE10ELNS1_11target_archE1201ELNS1_3gpuE5ELNS1_3repE0EEENS1_44radix_sort_block_sort_config_static_selectorELNS0_4arch9wavefront6targetE0EEEvSG_
                                        ; -- End function
	.set _ZN7rocprim17ROCPRIM_400000_NS6detail17trampoline_kernelINS0_13kernel_configILj256ELj4ELj4294967295EEENS1_37radix_sort_block_sort_config_selectorI12hip_bfloat16NS0_10empty_typeEEEZNS1_21radix_sort_block_sortIS4_Lb1EPKS6_PS6_PS7_SD_NS0_19identity_decomposerEEE10hipError_tT1_T2_T3_T4_jRjT5_jjP12ihipStream_tbEUlT_E_NS1_11comp_targetILNS1_3genE10ELNS1_11target_archE1201ELNS1_3gpuE5ELNS1_3repE0EEENS1_44radix_sort_block_sort_config_static_selectorELNS0_4arch9wavefront6targetE0EEEvSG_.num_vgpr, 0
	.set _ZN7rocprim17ROCPRIM_400000_NS6detail17trampoline_kernelINS0_13kernel_configILj256ELj4ELj4294967295EEENS1_37radix_sort_block_sort_config_selectorI12hip_bfloat16NS0_10empty_typeEEEZNS1_21radix_sort_block_sortIS4_Lb1EPKS6_PS6_PS7_SD_NS0_19identity_decomposerEEE10hipError_tT1_T2_T3_T4_jRjT5_jjP12ihipStream_tbEUlT_E_NS1_11comp_targetILNS1_3genE10ELNS1_11target_archE1201ELNS1_3gpuE5ELNS1_3repE0EEENS1_44radix_sort_block_sort_config_static_selectorELNS0_4arch9wavefront6targetE0EEEvSG_.num_agpr, 0
	.set _ZN7rocprim17ROCPRIM_400000_NS6detail17trampoline_kernelINS0_13kernel_configILj256ELj4ELj4294967295EEENS1_37radix_sort_block_sort_config_selectorI12hip_bfloat16NS0_10empty_typeEEEZNS1_21radix_sort_block_sortIS4_Lb1EPKS6_PS6_PS7_SD_NS0_19identity_decomposerEEE10hipError_tT1_T2_T3_T4_jRjT5_jjP12ihipStream_tbEUlT_E_NS1_11comp_targetILNS1_3genE10ELNS1_11target_archE1201ELNS1_3gpuE5ELNS1_3repE0EEENS1_44radix_sort_block_sort_config_static_selectorELNS0_4arch9wavefront6targetE0EEEvSG_.numbered_sgpr, 0
	.set _ZN7rocprim17ROCPRIM_400000_NS6detail17trampoline_kernelINS0_13kernel_configILj256ELj4ELj4294967295EEENS1_37radix_sort_block_sort_config_selectorI12hip_bfloat16NS0_10empty_typeEEEZNS1_21radix_sort_block_sortIS4_Lb1EPKS6_PS6_PS7_SD_NS0_19identity_decomposerEEE10hipError_tT1_T2_T3_T4_jRjT5_jjP12ihipStream_tbEUlT_E_NS1_11comp_targetILNS1_3genE10ELNS1_11target_archE1201ELNS1_3gpuE5ELNS1_3repE0EEENS1_44radix_sort_block_sort_config_static_selectorELNS0_4arch9wavefront6targetE0EEEvSG_.num_named_barrier, 0
	.set _ZN7rocprim17ROCPRIM_400000_NS6detail17trampoline_kernelINS0_13kernel_configILj256ELj4ELj4294967295EEENS1_37radix_sort_block_sort_config_selectorI12hip_bfloat16NS0_10empty_typeEEEZNS1_21radix_sort_block_sortIS4_Lb1EPKS6_PS6_PS7_SD_NS0_19identity_decomposerEEE10hipError_tT1_T2_T3_T4_jRjT5_jjP12ihipStream_tbEUlT_E_NS1_11comp_targetILNS1_3genE10ELNS1_11target_archE1201ELNS1_3gpuE5ELNS1_3repE0EEENS1_44radix_sort_block_sort_config_static_selectorELNS0_4arch9wavefront6targetE0EEEvSG_.private_seg_size, 0
	.set _ZN7rocprim17ROCPRIM_400000_NS6detail17trampoline_kernelINS0_13kernel_configILj256ELj4ELj4294967295EEENS1_37radix_sort_block_sort_config_selectorI12hip_bfloat16NS0_10empty_typeEEEZNS1_21radix_sort_block_sortIS4_Lb1EPKS6_PS6_PS7_SD_NS0_19identity_decomposerEEE10hipError_tT1_T2_T3_T4_jRjT5_jjP12ihipStream_tbEUlT_E_NS1_11comp_targetILNS1_3genE10ELNS1_11target_archE1201ELNS1_3gpuE5ELNS1_3repE0EEENS1_44radix_sort_block_sort_config_static_selectorELNS0_4arch9wavefront6targetE0EEEvSG_.uses_vcc, 0
	.set _ZN7rocprim17ROCPRIM_400000_NS6detail17trampoline_kernelINS0_13kernel_configILj256ELj4ELj4294967295EEENS1_37radix_sort_block_sort_config_selectorI12hip_bfloat16NS0_10empty_typeEEEZNS1_21radix_sort_block_sortIS4_Lb1EPKS6_PS6_PS7_SD_NS0_19identity_decomposerEEE10hipError_tT1_T2_T3_T4_jRjT5_jjP12ihipStream_tbEUlT_E_NS1_11comp_targetILNS1_3genE10ELNS1_11target_archE1201ELNS1_3gpuE5ELNS1_3repE0EEENS1_44radix_sort_block_sort_config_static_selectorELNS0_4arch9wavefront6targetE0EEEvSG_.uses_flat_scratch, 0
	.set _ZN7rocprim17ROCPRIM_400000_NS6detail17trampoline_kernelINS0_13kernel_configILj256ELj4ELj4294967295EEENS1_37radix_sort_block_sort_config_selectorI12hip_bfloat16NS0_10empty_typeEEEZNS1_21radix_sort_block_sortIS4_Lb1EPKS6_PS6_PS7_SD_NS0_19identity_decomposerEEE10hipError_tT1_T2_T3_T4_jRjT5_jjP12ihipStream_tbEUlT_E_NS1_11comp_targetILNS1_3genE10ELNS1_11target_archE1201ELNS1_3gpuE5ELNS1_3repE0EEENS1_44radix_sort_block_sort_config_static_selectorELNS0_4arch9wavefront6targetE0EEEvSG_.has_dyn_sized_stack, 0
	.set _ZN7rocprim17ROCPRIM_400000_NS6detail17trampoline_kernelINS0_13kernel_configILj256ELj4ELj4294967295EEENS1_37radix_sort_block_sort_config_selectorI12hip_bfloat16NS0_10empty_typeEEEZNS1_21radix_sort_block_sortIS4_Lb1EPKS6_PS6_PS7_SD_NS0_19identity_decomposerEEE10hipError_tT1_T2_T3_T4_jRjT5_jjP12ihipStream_tbEUlT_E_NS1_11comp_targetILNS1_3genE10ELNS1_11target_archE1201ELNS1_3gpuE5ELNS1_3repE0EEENS1_44radix_sort_block_sort_config_static_selectorELNS0_4arch9wavefront6targetE0EEEvSG_.has_recursion, 0
	.set _ZN7rocprim17ROCPRIM_400000_NS6detail17trampoline_kernelINS0_13kernel_configILj256ELj4ELj4294967295EEENS1_37radix_sort_block_sort_config_selectorI12hip_bfloat16NS0_10empty_typeEEEZNS1_21radix_sort_block_sortIS4_Lb1EPKS6_PS6_PS7_SD_NS0_19identity_decomposerEEE10hipError_tT1_T2_T3_T4_jRjT5_jjP12ihipStream_tbEUlT_E_NS1_11comp_targetILNS1_3genE10ELNS1_11target_archE1201ELNS1_3gpuE5ELNS1_3repE0EEENS1_44radix_sort_block_sort_config_static_selectorELNS0_4arch9wavefront6targetE0EEEvSG_.has_indirect_call, 0
	.section	.AMDGPU.csdata,"",@progbits
; Kernel info:
; codeLenInByte = 0
; TotalNumSgprs: 0
; NumVgprs: 0
; ScratchSize: 0
; MemoryBound: 0
; FloatMode: 240
; IeeeMode: 1
; LDSByteSize: 0 bytes/workgroup (compile time only)
; SGPRBlocks: 0
; VGPRBlocks: 0
; NumSGPRsForWavesPerEU: 1
; NumVGPRsForWavesPerEU: 1
; NamedBarCnt: 0
; Occupancy: 16
; WaveLimiterHint : 0
; COMPUTE_PGM_RSRC2:SCRATCH_EN: 0
; COMPUTE_PGM_RSRC2:USER_SGPR: 2
; COMPUTE_PGM_RSRC2:TRAP_HANDLER: 0
; COMPUTE_PGM_RSRC2:TGID_X_EN: 1
; COMPUTE_PGM_RSRC2:TGID_Y_EN: 0
; COMPUTE_PGM_RSRC2:TGID_Z_EN: 0
; COMPUTE_PGM_RSRC2:TIDIG_COMP_CNT: 0
	.section	.text._ZN7rocprim17ROCPRIM_400000_NS6detail17trampoline_kernelINS0_13kernel_configILj256ELj4ELj4294967295EEENS1_37radix_sort_block_sort_config_selectorI12hip_bfloat16NS0_10empty_typeEEEZNS1_21radix_sort_block_sortIS4_Lb1EPKS6_PS6_PS7_SD_NS0_19identity_decomposerEEE10hipError_tT1_T2_T3_T4_jRjT5_jjP12ihipStream_tbEUlT_E_NS1_11comp_targetILNS1_3genE10ELNS1_11target_archE1200ELNS1_3gpuE4ELNS1_3repE0EEENS1_44radix_sort_block_sort_config_static_selectorELNS0_4arch9wavefront6targetE0EEEvSG_,"axG",@progbits,_ZN7rocprim17ROCPRIM_400000_NS6detail17trampoline_kernelINS0_13kernel_configILj256ELj4ELj4294967295EEENS1_37radix_sort_block_sort_config_selectorI12hip_bfloat16NS0_10empty_typeEEEZNS1_21radix_sort_block_sortIS4_Lb1EPKS6_PS6_PS7_SD_NS0_19identity_decomposerEEE10hipError_tT1_T2_T3_T4_jRjT5_jjP12ihipStream_tbEUlT_E_NS1_11comp_targetILNS1_3genE10ELNS1_11target_archE1200ELNS1_3gpuE4ELNS1_3repE0EEENS1_44radix_sort_block_sort_config_static_selectorELNS0_4arch9wavefront6targetE0EEEvSG_,comdat
	.protected	_ZN7rocprim17ROCPRIM_400000_NS6detail17trampoline_kernelINS0_13kernel_configILj256ELj4ELj4294967295EEENS1_37radix_sort_block_sort_config_selectorI12hip_bfloat16NS0_10empty_typeEEEZNS1_21radix_sort_block_sortIS4_Lb1EPKS6_PS6_PS7_SD_NS0_19identity_decomposerEEE10hipError_tT1_T2_T3_T4_jRjT5_jjP12ihipStream_tbEUlT_E_NS1_11comp_targetILNS1_3genE10ELNS1_11target_archE1200ELNS1_3gpuE4ELNS1_3repE0EEENS1_44radix_sort_block_sort_config_static_selectorELNS0_4arch9wavefront6targetE0EEEvSG_ ; -- Begin function _ZN7rocprim17ROCPRIM_400000_NS6detail17trampoline_kernelINS0_13kernel_configILj256ELj4ELj4294967295EEENS1_37radix_sort_block_sort_config_selectorI12hip_bfloat16NS0_10empty_typeEEEZNS1_21radix_sort_block_sortIS4_Lb1EPKS6_PS6_PS7_SD_NS0_19identity_decomposerEEE10hipError_tT1_T2_T3_T4_jRjT5_jjP12ihipStream_tbEUlT_E_NS1_11comp_targetILNS1_3genE10ELNS1_11target_archE1200ELNS1_3gpuE4ELNS1_3repE0EEENS1_44radix_sort_block_sort_config_static_selectorELNS0_4arch9wavefront6targetE0EEEvSG_
	.globl	_ZN7rocprim17ROCPRIM_400000_NS6detail17trampoline_kernelINS0_13kernel_configILj256ELj4ELj4294967295EEENS1_37radix_sort_block_sort_config_selectorI12hip_bfloat16NS0_10empty_typeEEEZNS1_21radix_sort_block_sortIS4_Lb1EPKS6_PS6_PS7_SD_NS0_19identity_decomposerEEE10hipError_tT1_T2_T3_T4_jRjT5_jjP12ihipStream_tbEUlT_E_NS1_11comp_targetILNS1_3genE10ELNS1_11target_archE1200ELNS1_3gpuE4ELNS1_3repE0EEENS1_44radix_sort_block_sort_config_static_selectorELNS0_4arch9wavefront6targetE0EEEvSG_
	.p2align	8
	.type	_ZN7rocprim17ROCPRIM_400000_NS6detail17trampoline_kernelINS0_13kernel_configILj256ELj4ELj4294967295EEENS1_37radix_sort_block_sort_config_selectorI12hip_bfloat16NS0_10empty_typeEEEZNS1_21radix_sort_block_sortIS4_Lb1EPKS6_PS6_PS7_SD_NS0_19identity_decomposerEEE10hipError_tT1_T2_T3_T4_jRjT5_jjP12ihipStream_tbEUlT_E_NS1_11comp_targetILNS1_3genE10ELNS1_11target_archE1200ELNS1_3gpuE4ELNS1_3repE0EEENS1_44radix_sort_block_sort_config_static_selectorELNS0_4arch9wavefront6targetE0EEEvSG_,@function
_ZN7rocprim17ROCPRIM_400000_NS6detail17trampoline_kernelINS0_13kernel_configILj256ELj4ELj4294967295EEENS1_37radix_sort_block_sort_config_selectorI12hip_bfloat16NS0_10empty_typeEEEZNS1_21radix_sort_block_sortIS4_Lb1EPKS6_PS6_PS7_SD_NS0_19identity_decomposerEEE10hipError_tT1_T2_T3_T4_jRjT5_jjP12ihipStream_tbEUlT_E_NS1_11comp_targetILNS1_3genE10ELNS1_11target_archE1200ELNS1_3gpuE4ELNS1_3repE0EEENS1_44radix_sort_block_sort_config_static_selectorELNS0_4arch9wavefront6targetE0EEEvSG_: ; @_ZN7rocprim17ROCPRIM_400000_NS6detail17trampoline_kernelINS0_13kernel_configILj256ELj4ELj4294967295EEENS1_37radix_sort_block_sort_config_selectorI12hip_bfloat16NS0_10empty_typeEEEZNS1_21radix_sort_block_sortIS4_Lb1EPKS6_PS6_PS7_SD_NS0_19identity_decomposerEEE10hipError_tT1_T2_T3_T4_jRjT5_jjP12ihipStream_tbEUlT_E_NS1_11comp_targetILNS1_3genE10ELNS1_11target_archE1200ELNS1_3gpuE4ELNS1_3repE0EEENS1_44radix_sort_block_sort_config_static_selectorELNS0_4arch9wavefront6targetE0EEEvSG_
; %bb.0:
	.section	.rodata,"a",@progbits
	.p2align	6, 0x0
	.amdhsa_kernel _ZN7rocprim17ROCPRIM_400000_NS6detail17trampoline_kernelINS0_13kernel_configILj256ELj4ELj4294967295EEENS1_37radix_sort_block_sort_config_selectorI12hip_bfloat16NS0_10empty_typeEEEZNS1_21radix_sort_block_sortIS4_Lb1EPKS6_PS6_PS7_SD_NS0_19identity_decomposerEEE10hipError_tT1_T2_T3_T4_jRjT5_jjP12ihipStream_tbEUlT_E_NS1_11comp_targetILNS1_3genE10ELNS1_11target_archE1200ELNS1_3gpuE4ELNS1_3repE0EEENS1_44radix_sort_block_sort_config_static_selectorELNS0_4arch9wavefront6targetE0EEEvSG_
		.amdhsa_group_segment_fixed_size 0
		.amdhsa_private_segment_fixed_size 0
		.amdhsa_kernarg_size 48
		.amdhsa_user_sgpr_count 2
		.amdhsa_user_sgpr_dispatch_ptr 0
		.amdhsa_user_sgpr_queue_ptr 0
		.amdhsa_user_sgpr_kernarg_segment_ptr 1
		.amdhsa_user_sgpr_dispatch_id 0
		.amdhsa_user_sgpr_kernarg_preload_length 0
		.amdhsa_user_sgpr_kernarg_preload_offset 0
		.amdhsa_user_sgpr_private_segment_size 0
		.amdhsa_wavefront_size32 1
		.amdhsa_uses_dynamic_stack 0
		.amdhsa_enable_private_segment 0
		.amdhsa_system_sgpr_workgroup_id_x 1
		.amdhsa_system_sgpr_workgroup_id_y 0
		.amdhsa_system_sgpr_workgroup_id_z 0
		.amdhsa_system_sgpr_workgroup_info 0
		.amdhsa_system_vgpr_workitem_id 0
		.amdhsa_next_free_vgpr 1
		.amdhsa_next_free_sgpr 1
		.amdhsa_named_barrier_count 0
		.amdhsa_reserve_vcc 0
		.amdhsa_float_round_mode_32 0
		.amdhsa_float_round_mode_16_64 0
		.amdhsa_float_denorm_mode_32 3
		.amdhsa_float_denorm_mode_16_64 3
		.amdhsa_fp16_overflow 0
		.amdhsa_memory_ordered 1
		.amdhsa_forward_progress 1
		.amdhsa_inst_pref_size 0
		.amdhsa_round_robin_scheduling 0
		.amdhsa_exception_fp_ieee_invalid_op 0
		.amdhsa_exception_fp_denorm_src 0
		.amdhsa_exception_fp_ieee_div_zero 0
		.amdhsa_exception_fp_ieee_overflow 0
		.amdhsa_exception_fp_ieee_underflow 0
		.amdhsa_exception_fp_ieee_inexact 0
		.amdhsa_exception_int_div_zero 0
	.end_amdhsa_kernel
	.section	.text._ZN7rocprim17ROCPRIM_400000_NS6detail17trampoline_kernelINS0_13kernel_configILj256ELj4ELj4294967295EEENS1_37radix_sort_block_sort_config_selectorI12hip_bfloat16NS0_10empty_typeEEEZNS1_21radix_sort_block_sortIS4_Lb1EPKS6_PS6_PS7_SD_NS0_19identity_decomposerEEE10hipError_tT1_T2_T3_T4_jRjT5_jjP12ihipStream_tbEUlT_E_NS1_11comp_targetILNS1_3genE10ELNS1_11target_archE1200ELNS1_3gpuE4ELNS1_3repE0EEENS1_44radix_sort_block_sort_config_static_selectorELNS0_4arch9wavefront6targetE0EEEvSG_,"axG",@progbits,_ZN7rocprim17ROCPRIM_400000_NS6detail17trampoline_kernelINS0_13kernel_configILj256ELj4ELj4294967295EEENS1_37radix_sort_block_sort_config_selectorI12hip_bfloat16NS0_10empty_typeEEEZNS1_21radix_sort_block_sortIS4_Lb1EPKS6_PS6_PS7_SD_NS0_19identity_decomposerEEE10hipError_tT1_T2_T3_T4_jRjT5_jjP12ihipStream_tbEUlT_E_NS1_11comp_targetILNS1_3genE10ELNS1_11target_archE1200ELNS1_3gpuE4ELNS1_3repE0EEENS1_44radix_sort_block_sort_config_static_selectorELNS0_4arch9wavefront6targetE0EEEvSG_,comdat
.Lfunc_end1894:
	.size	_ZN7rocprim17ROCPRIM_400000_NS6detail17trampoline_kernelINS0_13kernel_configILj256ELj4ELj4294967295EEENS1_37radix_sort_block_sort_config_selectorI12hip_bfloat16NS0_10empty_typeEEEZNS1_21radix_sort_block_sortIS4_Lb1EPKS6_PS6_PS7_SD_NS0_19identity_decomposerEEE10hipError_tT1_T2_T3_T4_jRjT5_jjP12ihipStream_tbEUlT_E_NS1_11comp_targetILNS1_3genE10ELNS1_11target_archE1200ELNS1_3gpuE4ELNS1_3repE0EEENS1_44radix_sort_block_sort_config_static_selectorELNS0_4arch9wavefront6targetE0EEEvSG_, .Lfunc_end1894-_ZN7rocprim17ROCPRIM_400000_NS6detail17trampoline_kernelINS0_13kernel_configILj256ELj4ELj4294967295EEENS1_37radix_sort_block_sort_config_selectorI12hip_bfloat16NS0_10empty_typeEEEZNS1_21radix_sort_block_sortIS4_Lb1EPKS6_PS6_PS7_SD_NS0_19identity_decomposerEEE10hipError_tT1_T2_T3_T4_jRjT5_jjP12ihipStream_tbEUlT_E_NS1_11comp_targetILNS1_3genE10ELNS1_11target_archE1200ELNS1_3gpuE4ELNS1_3repE0EEENS1_44radix_sort_block_sort_config_static_selectorELNS0_4arch9wavefront6targetE0EEEvSG_
                                        ; -- End function
	.set _ZN7rocprim17ROCPRIM_400000_NS6detail17trampoline_kernelINS0_13kernel_configILj256ELj4ELj4294967295EEENS1_37radix_sort_block_sort_config_selectorI12hip_bfloat16NS0_10empty_typeEEEZNS1_21radix_sort_block_sortIS4_Lb1EPKS6_PS6_PS7_SD_NS0_19identity_decomposerEEE10hipError_tT1_T2_T3_T4_jRjT5_jjP12ihipStream_tbEUlT_E_NS1_11comp_targetILNS1_3genE10ELNS1_11target_archE1200ELNS1_3gpuE4ELNS1_3repE0EEENS1_44radix_sort_block_sort_config_static_selectorELNS0_4arch9wavefront6targetE0EEEvSG_.num_vgpr, 0
	.set _ZN7rocprim17ROCPRIM_400000_NS6detail17trampoline_kernelINS0_13kernel_configILj256ELj4ELj4294967295EEENS1_37radix_sort_block_sort_config_selectorI12hip_bfloat16NS0_10empty_typeEEEZNS1_21radix_sort_block_sortIS4_Lb1EPKS6_PS6_PS7_SD_NS0_19identity_decomposerEEE10hipError_tT1_T2_T3_T4_jRjT5_jjP12ihipStream_tbEUlT_E_NS1_11comp_targetILNS1_3genE10ELNS1_11target_archE1200ELNS1_3gpuE4ELNS1_3repE0EEENS1_44radix_sort_block_sort_config_static_selectorELNS0_4arch9wavefront6targetE0EEEvSG_.num_agpr, 0
	.set _ZN7rocprim17ROCPRIM_400000_NS6detail17trampoline_kernelINS0_13kernel_configILj256ELj4ELj4294967295EEENS1_37radix_sort_block_sort_config_selectorI12hip_bfloat16NS0_10empty_typeEEEZNS1_21radix_sort_block_sortIS4_Lb1EPKS6_PS6_PS7_SD_NS0_19identity_decomposerEEE10hipError_tT1_T2_T3_T4_jRjT5_jjP12ihipStream_tbEUlT_E_NS1_11comp_targetILNS1_3genE10ELNS1_11target_archE1200ELNS1_3gpuE4ELNS1_3repE0EEENS1_44radix_sort_block_sort_config_static_selectorELNS0_4arch9wavefront6targetE0EEEvSG_.numbered_sgpr, 0
	.set _ZN7rocprim17ROCPRIM_400000_NS6detail17trampoline_kernelINS0_13kernel_configILj256ELj4ELj4294967295EEENS1_37radix_sort_block_sort_config_selectorI12hip_bfloat16NS0_10empty_typeEEEZNS1_21radix_sort_block_sortIS4_Lb1EPKS6_PS6_PS7_SD_NS0_19identity_decomposerEEE10hipError_tT1_T2_T3_T4_jRjT5_jjP12ihipStream_tbEUlT_E_NS1_11comp_targetILNS1_3genE10ELNS1_11target_archE1200ELNS1_3gpuE4ELNS1_3repE0EEENS1_44radix_sort_block_sort_config_static_selectorELNS0_4arch9wavefront6targetE0EEEvSG_.num_named_barrier, 0
	.set _ZN7rocprim17ROCPRIM_400000_NS6detail17trampoline_kernelINS0_13kernel_configILj256ELj4ELj4294967295EEENS1_37radix_sort_block_sort_config_selectorI12hip_bfloat16NS0_10empty_typeEEEZNS1_21radix_sort_block_sortIS4_Lb1EPKS6_PS6_PS7_SD_NS0_19identity_decomposerEEE10hipError_tT1_T2_T3_T4_jRjT5_jjP12ihipStream_tbEUlT_E_NS1_11comp_targetILNS1_3genE10ELNS1_11target_archE1200ELNS1_3gpuE4ELNS1_3repE0EEENS1_44radix_sort_block_sort_config_static_selectorELNS0_4arch9wavefront6targetE0EEEvSG_.private_seg_size, 0
	.set _ZN7rocprim17ROCPRIM_400000_NS6detail17trampoline_kernelINS0_13kernel_configILj256ELj4ELj4294967295EEENS1_37radix_sort_block_sort_config_selectorI12hip_bfloat16NS0_10empty_typeEEEZNS1_21radix_sort_block_sortIS4_Lb1EPKS6_PS6_PS7_SD_NS0_19identity_decomposerEEE10hipError_tT1_T2_T3_T4_jRjT5_jjP12ihipStream_tbEUlT_E_NS1_11comp_targetILNS1_3genE10ELNS1_11target_archE1200ELNS1_3gpuE4ELNS1_3repE0EEENS1_44radix_sort_block_sort_config_static_selectorELNS0_4arch9wavefront6targetE0EEEvSG_.uses_vcc, 0
	.set _ZN7rocprim17ROCPRIM_400000_NS6detail17trampoline_kernelINS0_13kernel_configILj256ELj4ELj4294967295EEENS1_37radix_sort_block_sort_config_selectorI12hip_bfloat16NS0_10empty_typeEEEZNS1_21radix_sort_block_sortIS4_Lb1EPKS6_PS6_PS7_SD_NS0_19identity_decomposerEEE10hipError_tT1_T2_T3_T4_jRjT5_jjP12ihipStream_tbEUlT_E_NS1_11comp_targetILNS1_3genE10ELNS1_11target_archE1200ELNS1_3gpuE4ELNS1_3repE0EEENS1_44radix_sort_block_sort_config_static_selectorELNS0_4arch9wavefront6targetE0EEEvSG_.uses_flat_scratch, 0
	.set _ZN7rocprim17ROCPRIM_400000_NS6detail17trampoline_kernelINS0_13kernel_configILj256ELj4ELj4294967295EEENS1_37radix_sort_block_sort_config_selectorI12hip_bfloat16NS0_10empty_typeEEEZNS1_21radix_sort_block_sortIS4_Lb1EPKS6_PS6_PS7_SD_NS0_19identity_decomposerEEE10hipError_tT1_T2_T3_T4_jRjT5_jjP12ihipStream_tbEUlT_E_NS1_11comp_targetILNS1_3genE10ELNS1_11target_archE1200ELNS1_3gpuE4ELNS1_3repE0EEENS1_44radix_sort_block_sort_config_static_selectorELNS0_4arch9wavefront6targetE0EEEvSG_.has_dyn_sized_stack, 0
	.set _ZN7rocprim17ROCPRIM_400000_NS6detail17trampoline_kernelINS0_13kernel_configILj256ELj4ELj4294967295EEENS1_37radix_sort_block_sort_config_selectorI12hip_bfloat16NS0_10empty_typeEEEZNS1_21radix_sort_block_sortIS4_Lb1EPKS6_PS6_PS7_SD_NS0_19identity_decomposerEEE10hipError_tT1_T2_T3_T4_jRjT5_jjP12ihipStream_tbEUlT_E_NS1_11comp_targetILNS1_3genE10ELNS1_11target_archE1200ELNS1_3gpuE4ELNS1_3repE0EEENS1_44radix_sort_block_sort_config_static_selectorELNS0_4arch9wavefront6targetE0EEEvSG_.has_recursion, 0
	.set _ZN7rocprim17ROCPRIM_400000_NS6detail17trampoline_kernelINS0_13kernel_configILj256ELj4ELj4294967295EEENS1_37radix_sort_block_sort_config_selectorI12hip_bfloat16NS0_10empty_typeEEEZNS1_21radix_sort_block_sortIS4_Lb1EPKS6_PS6_PS7_SD_NS0_19identity_decomposerEEE10hipError_tT1_T2_T3_T4_jRjT5_jjP12ihipStream_tbEUlT_E_NS1_11comp_targetILNS1_3genE10ELNS1_11target_archE1200ELNS1_3gpuE4ELNS1_3repE0EEENS1_44radix_sort_block_sort_config_static_selectorELNS0_4arch9wavefront6targetE0EEEvSG_.has_indirect_call, 0
	.section	.AMDGPU.csdata,"",@progbits
; Kernel info:
; codeLenInByte = 0
; TotalNumSgprs: 0
; NumVgprs: 0
; ScratchSize: 0
; MemoryBound: 0
; FloatMode: 240
; IeeeMode: 1
; LDSByteSize: 0 bytes/workgroup (compile time only)
; SGPRBlocks: 0
; VGPRBlocks: 0
; NumSGPRsForWavesPerEU: 1
; NumVGPRsForWavesPerEU: 1
; NamedBarCnt: 0
; Occupancy: 16
; WaveLimiterHint : 0
; COMPUTE_PGM_RSRC2:SCRATCH_EN: 0
; COMPUTE_PGM_RSRC2:USER_SGPR: 2
; COMPUTE_PGM_RSRC2:TRAP_HANDLER: 0
; COMPUTE_PGM_RSRC2:TGID_X_EN: 1
; COMPUTE_PGM_RSRC2:TGID_Y_EN: 0
; COMPUTE_PGM_RSRC2:TGID_Z_EN: 0
; COMPUTE_PGM_RSRC2:TIDIG_COMP_CNT: 0
	.section	.text._ZN7rocprim17ROCPRIM_400000_NS6detail17trampoline_kernelINS0_13kernel_configILj256ELj4ELj4294967295EEENS1_37radix_sort_block_sort_config_selectorI12hip_bfloat16NS0_10empty_typeEEEZNS1_21radix_sort_block_sortIS4_Lb1EPKS6_PS6_PS7_SD_NS0_19identity_decomposerEEE10hipError_tT1_T2_T3_T4_jRjT5_jjP12ihipStream_tbEUlT_E_NS1_11comp_targetILNS1_3genE9ELNS1_11target_archE1100ELNS1_3gpuE3ELNS1_3repE0EEENS1_44radix_sort_block_sort_config_static_selectorELNS0_4arch9wavefront6targetE0EEEvSG_,"axG",@progbits,_ZN7rocprim17ROCPRIM_400000_NS6detail17trampoline_kernelINS0_13kernel_configILj256ELj4ELj4294967295EEENS1_37radix_sort_block_sort_config_selectorI12hip_bfloat16NS0_10empty_typeEEEZNS1_21radix_sort_block_sortIS4_Lb1EPKS6_PS6_PS7_SD_NS0_19identity_decomposerEEE10hipError_tT1_T2_T3_T4_jRjT5_jjP12ihipStream_tbEUlT_E_NS1_11comp_targetILNS1_3genE9ELNS1_11target_archE1100ELNS1_3gpuE3ELNS1_3repE0EEENS1_44radix_sort_block_sort_config_static_selectorELNS0_4arch9wavefront6targetE0EEEvSG_,comdat
	.protected	_ZN7rocprim17ROCPRIM_400000_NS6detail17trampoline_kernelINS0_13kernel_configILj256ELj4ELj4294967295EEENS1_37radix_sort_block_sort_config_selectorI12hip_bfloat16NS0_10empty_typeEEEZNS1_21radix_sort_block_sortIS4_Lb1EPKS6_PS6_PS7_SD_NS0_19identity_decomposerEEE10hipError_tT1_T2_T3_T4_jRjT5_jjP12ihipStream_tbEUlT_E_NS1_11comp_targetILNS1_3genE9ELNS1_11target_archE1100ELNS1_3gpuE3ELNS1_3repE0EEENS1_44radix_sort_block_sort_config_static_selectorELNS0_4arch9wavefront6targetE0EEEvSG_ ; -- Begin function _ZN7rocprim17ROCPRIM_400000_NS6detail17trampoline_kernelINS0_13kernel_configILj256ELj4ELj4294967295EEENS1_37radix_sort_block_sort_config_selectorI12hip_bfloat16NS0_10empty_typeEEEZNS1_21radix_sort_block_sortIS4_Lb1EPKS6_PS6_PS7_SD_NS0_19identity_decomposerEEE10hipError_tT1_T2_T3_T4_jRjT5_jjP12ihipStream_tbEUlT_E_NS1_11comp_targetILNS1_3genE9ELNS1_11target_archE1100ELNS1_3gpuE3ELNS1_3repE0EEENS1_44radix_sort_block_sort_config_static_selectorELNS0_4arch9wavefront6targetE0EEEvSG_
	.globl	_ZN7rocprim17ROCPRIM_400000_NS6detail17trampoline_kernelINS0_13kernel_configILj256ELj4ELj4294967295EEENS1_37radix_sort_block_sort_config_selectorI12hip_bfloat16NS0_10empty_typeEEEZNS1_21radix_sort_block_sortIS4_Lb1EPKS6_PS6_PS7_SD_NS0_19identity_decomposerEEE10hipError_tT1_T2_T3_T4_jRjT5_jjP12ihipStream_tbEUlT_E_NS1_11comp_targetILNS1_3genE9ELNS1_11target_archE1100ELNS1_3gpuE3ELNS1_3repE0EEENS1_44radix_sort_block_sort_config_static_selectorELNS0_4arch9wavefront6targetE0EEEvSG_
	.p2align	8
	.type	_ZN7rocprim17ROCPRIM_400000_NS6detail17trampoline_kernelINS0_13kernel_configILj256ELj4ELj4294967295EEENS1_37radix_sort_block_sort_config_selectorI12hip_bfloat16NS0_10empty_typeEEEZNS1_21radix_sort_block_sortIS4_Lb1EPKS6_PS6_PS7_SD_NS0_19identity_decomposerEEE10hipError_tT1_T2_T3_T4_jRjT5_jjP12ihipStream_tbEUlT_E_NS1_11comp_targetILNS1_3genE9ELNS1_11target_archE1100ELNS1_3gpuE3ELNS1_3repE0EEENS1_44radix_sort_block_sort_config_static_selectorELNS0_4arch9wavefront6targetE0EEEvSG_,@function
_ZN7rocprim17ROCPRIM_400000_NS6detail17trampoline_kernelINS0_13kernel_configILj256ELj4ELj4294967295EEENS1_37radix_sort_block_sort_config_selectorI12hip_bfloat16NS0_10empty_typeEEEZNS1_21radix_sort_block_sortIS4_Lb1EPKS6_PS6_PS7_SD_NS0_19identity_decomposerEEE10hipError_tT1_T2_T3_T4_jRjT5_jjP12ihipStream_tbEUlT_E_NS1_11comp_targetILNS1_3genE9ELNS1_11target_archE1100ELNS1_3gpuE3ELNS1_3repE0EEENS1_44radix_sort_block_sort_config_static_selectorELNS0_4arch9wavefront6targetE0EEEvSG_: ; @_ZN7rocprim17ROCPRIM_400000_NS6detail17trampoline_kernelINS0_13kernel_configILj256ELj4ELj4294967295EEENS1_37radix_sort_block_sort_config_selectorI12hip_bfloat16NS0_10empty_typeEEEZNS1_21radix_sort_block_sortIS4_Lb1EPKS6_PS6_PS7_SD_NS0_19identity_decomposerEEE10hipError_tT1_T2_T3_T4_jRjT5_jjP12ihipStream_tbEUlT_E_NS1_11comp_targetILNS1_3genE9ELNS1_11target_archE1100ELNS1_3gpuE3ELNS1_3repE0EEENS1_44radix_sort_block_sort_config_static_selectorELNS0_4arch9wavefront6targetE0EEEvSG_
; %bb.0:
	.section	.rodata,"a",@progbits
	.p2align	6, 0x0
	.amdhsa_kernel _ZN7rocprim17ROCPRIM_400000_NS6detail17trampoline_kernelINS0_13kernel_configILj256ELj4ELj4294967295EEENS1_37radix_sort_block_sort_config_selectorI12hip_bfloat16NS0_10empty_typeEEEZNS1_21radix_sort_block_sortIS4_Lb1EPKS6_PS6_PS7_SD_NS0_19identity_decomposerEEE10hipError_tT1_T2_T3_T4_jRjT5_jjP12ihipStream_tbEUlT_E_NS1_11comp_targetILNS1_3genE9ELNS1_11target_archE1100ELNS1_3gpuE3ELNS1_3repE0EEENS1_44radix_sort_block_sort_config_static_selectorELNS0_4arch9wavefront6targetE0EEEvSG_
		.amdhsa_group_segment_fixed_size 0
		.amdhsa_private_segment_fixed_size 0
		.amdhsa_kernarg_size 48
		.amdhsa_user_sgpr_count 2
		.amdhsa_user_sgpr_dispatch_ptr 0
		.amdhsa_user_sgpr_queue_ptr 0
		.amdhsa_user_sgpr_kernarg_segment_ptr 1
		.amdhsa_user_sgpr_dispatch_id 0
		.amdhsa_user_sgpr_kernarg_preload_length 0
		.amdhsa_user_sgpr_kernarg_preload_offset 0
		.amdhsa_user_sgpr_private_segment_size 0
		.amdhsa_wavefront_size32 1
		.amdhsa_uses_dynamic_stack 0
		.amdhsa_enable_private_segment 0
		.amdhsa_system_sgpr_workgroup_id_x 1
		.amdhsa_system_sgpr_workgroup_id_y 0
		.amdhsa_system_sgpr_workgroup_id_z 0
		.amdhsa_system_sgpr_workgroup_info 0
		.amdhsa_system_vgpr_workitem_id 0
		.amdhsa_next_free_vgpr 1
		.amdhsa_next_free_sgpr 1
		.amdhsa_named_barrier_count 0
		.amdhsa_reserve_vcc 0
		.amdhsa_float_round_mode_32 0
		.amdhsa_float_round_mode_16_64 0
		.amdhsa_float_denorm_mode_32 3
		.amdhsa_float_denorm_mode_16_64 3
		.amdhsa_fp16_overflow 0
		.amdhsa_memory_ordered 1
		.amdhsa_forward_progress 1
		.amdhsa_inst_pref_size 0
		.amdhsa_round_robin_scheduling 0
		.amdhsa_exception_fp_ieee_invalid_op 0
		.amdhsa_exception_fp_denorm_src 0
		.amdhsa_exception_fp_ieee_div_zero 0
		.amdhsa_exception_fp_ieee_overflow 0
		.amdhsa_exception_fp_ieee_underflow 0
		.amdhsa_exception_fp_ieee_inexact 0
		.amdhsa_exception_int_div_zero 0
	.end_amdhsa_kernel
	.section	.text._ZN7rocprim17ROCPRIM_400000_NS6detail17trampoline_kernelINS0_13kernel_configILj256ELj4ELj4294967295EEENS1_37radix_sort_block_sort_config_selectorI12hip_bfloat16NS0_10empty_typeEEEZNS1_21radix_sort_block_sortIS4_Lb1EPKS6_PS6_PS7_SD_NS0_19identity_decomposerEEE10hipError_tT1_T2_T3_T4_jRjT5_jjP12ihipStream_tbEUlT_E_NS1_11comp_targetILNS1_3genE9ELNS1_11target_archE1100ELNS1_3gpuE3ELNS1_3repE0EEENS1_44radix_sort_block_sort_config_static_selectorELNS0_4arch9wavefront6targetE0EEEvSG_,"axG",@progbits,_ZN7rocprim17ROCPRIM_400000_NS6detail17trampoline_kernelINS0_13kernel_configILj256ELj4ELj4294967295EEENS1_37radix_sort_block_sort_config_selectorI12hip_bfloat16NS0_10empty_typeEEEZNS1_21radix_sort_block_sortIS4_Lb1EPKS6_PS6_PS7_SD_NS0_19identity_decomposerEEE10hipError_tT1_T2_T3_T4_jRjT5_jjP12ihipStream_tbEUlT_E_NS1_11comp_targetILNS1_3genE9ELNS1_11target_archE1100ELNS1_3gpuE3ELNS1_3repE0EEENS1_44radix_sort_block_sort_config_static_selectorELNS0_4arch9wavefront6targetE0EEEvSG_,comdat
.Lfunc_end1895:
	.size	_ZN7rocprim17ROCPRIM_400000_NS6detail17trampoline_kernelINS0_13kernel_configILj256ELj4ELj4294967295EEENS1_37radix_sort_block_sort_config_selectorI12hip_bfloat16NS0_10empty_typeEEEZNS1_21radix_sort_block_sortIS4_Lb1EPKS6_PS6_PS7_SD_NS0_19identity_decomposerEEE10hipError_tT1_T2_T3_T4_jRjT5_jjP12ihipStream_tbEUlT_E_NS1_11comp_targetILNS1_3genE9ELNS1_11target_archE1100ELNS1_3gpuE3ELNS1_3repE0EEENS1_44radix_sort_block_sort_config_static_selectorELNS0_4arch9wavefront6targetE0EEEvSG_, .Lfunc_end1895-_ZN7rocprim17ROCPRIM_400000_NS6detail17trampoline_kernelINS0_13kernel_configILj256ELj4ELj4294967295EEENS1_37radix_sort_block_sort_config_selectorI12hip_bfloat16NS0_10empty_typeEEEZNS1_21radix_sort_block_sortIS4_Lb1EPKS6_PS6_PS7_SD_NS0_19identity_decomposerEEE10hipError_tT1_T2_T3_T4_jRjT5_jjP12ihipStream_tbEUlT_E_NS1_11comp_targetILNS1_3genE9ELNS1_11target_archE1100ELNS1_3gpuE3ELNS1_3repE0EEENS1_44radix_sort_block_sort_config_static_selectorELNS0_4arch9wavefront6targetE0EEEvSG_
                                        ; -- End function
	.set _ZN7rocprim17ROCPRIM_400000_NS6detail17trampoline_kernelINS0_13kernel_configILj256ELj4ELj4294967295EEENS1_37radix_sort_block_sort_config_selectorI12hip_bfloat16NS0_10empty_typeEEEZNS1_21radix_sort_block_sortIS4_Lb1EPKS6_PS6_PS7_SD_NS0_19identity_decomposerEEE10hipError_tT1_T2_T3_T4_jRjT5_jjP12ihipStream_tbEUlT_E_NS1_11comp_targetILNS1_3genE9ELNS1_11target_archE1100ELNS1_3gpuE3ELNS1_3repE0EEENS1_44radix_sort_block_sort_config_static_selectorELNS0_4arch9wavefront6targetE0EEEvSG_.num_vgpr, 0
	.set _ZN7rocprim17ROCPRIM_400000_NS6detail17trampoline_kernelINS0_13kernel_configILj256ELj4ELj4294967295EEENS1_37radix_sort_block_sort_config_selectorI12hip_bfloat16NS0_10empty_typeEEEZNS1_21radix_sort_block_sortIS4_Lb1EPKS6_PS6_PS7_SD_NS0_19identity_decomposerEEE10hipError_tT1_T2_T3_T4_jRjT5_jjP12ihipStream_tbEUlT_E_NS1_11comp_targetILNS1_3genE9ELNS1_11target_archE1100ELNS1_3gpuE3ELNS1_3repE0EEENS1_44radix_sort_block_sort_config_static_selectorELNS0_4arch9wavefront6targetE0EEEvSG_.num_agpr, 0
	.set _ZN7rocprim17ROCPRIM_400000_NS6detail17trampoline_kernelINS0_13kernel_configILj256ELj4ELj4294967295EEENS1_37radix_sort_block_sort_config_selectorI12hip_bfloat16NS0_10empty_typeEEEZNS1_21radix_sort_block_sortIS4_Lb1EPKS6_PS6_PS7_SD_NS0_19identity_decomposerEEE10hipError_tT1_T2_T3_T4_jRjT5_jjP12ihipStream_tbEUlT_E_NS1_11comp_targetILNS1_3genE9ELNS1_11target_archE1100ELNS1_3gpuE3ELNS1_3repE0EEENS1_44radix_sort_block_sort_config_static_selectorELNS0_4arch9wavefront6targetE0EEEvSG_.numbered_sgpr, 0
	.set _ZN7rocprim17ROCPRIM_400000_NS6detail17trampoline_kernelINS0_13kernel_configILj256ELj4ELj4294967295EEENS1_37radix_sort_block_sort_config_selectorI12hip_bfloat16NS0_10empty_typeEEEZNS1_21radix_sort_block_sortIS4_Lb1EPKS6_PS6_PS7_SD_NS0_19identity_decomposerEEE10hipError_tT1_T2_T3_T4_jRjT5_jjP12ihipStream_tbEUlT_E_NS1_11comp_targetILNS1_3genE9ELNS1_11target_archE1100ELNS1_3gpuE3ELNS1_3repE0EEENS1_44radix_sort_block_sort_config_static_selectorELNS0_4arch9wavefront6targetE0EEEvSG_.num_named_barrier, 0
	.set _ZN7rocprim17ROCPRIM_400000_NS6detail17trampoline_kernelINS0_13kernel_configILj256ELj4ELj4294967295EEENS1_37radix_sort_block_sort_config_selectorI12hip_bfloat16NS0_10empty_typeEEEZNS1_21radix_sort_block_sortIS4_Lb1EPKS6_PS6_PS7_SD_NS0_19identity_decomposerEEE10hipError_tT1_T2_T3_T4_jRjT5_jjP12ihipStream_tbEUlT_E_NS1_11comp_targetILNS1_3genE9ELNS1_11target_archE1100ELNS1_3gpuE3ELNS1_3repE0EEENS1_44radix_sort_block_sort_config_static_selectorELNS0_4arch9wavefront6targetE0EEEvSG_.private_seg_size, 0
	.set _ZN7rocprim17ROCPRIM_400000_NS6detail17trampoline_kernelINS0_13kernel_configILj256ELj4ELj4294967295EEENS1_37radix_sort_block_sort_config_selectorI12hip_bfloat16NS0_10empty_typeEEEZNS1_21radix_sort_block_sortIS4_Lb1EPKS6_PS6_PS7_SD_NS0_19identity_decomposerEEE10hipError_tT1_T2_T3_T4_jRjT5_jjP12ihipStream_tbEUlT_E_NS1_11comp_targetILNS1_3genE9ELNS1_11target_archE1100ELNS1_3gpuE3ELNS1_3repE0EEENS1_44radix_sort_block_sort_config_static_selectorELNS0_4arch9wavefront6targetE0EEEvSG_.uses_vcc, 0
	.set _ZN7rocprim17ROCPRIM_400000_NS6detail17trampoline_kernelINS0_13kernel_configILj256ELj4ELj4294967295EEENS1_37radix_sort_block_sort_config_selectorI12hip_bfloat16NS0_10empty_typeEEEZNS1_21radix_sort_block_sortIS4_Lb1EPKS6_PS6_PS7_SD_NS0_19identity_decomposerEEE10hipError_tT1_T2_T3_T4_jRjT5_jjP12ihipStream_tbEUlT_E_NS1_11comp_targetILNS1_3genE9ELNS1_11target_archE1100ELNS1_3gpuE3ELNS1_3repE0EEENS1_44radix_sort_block_sort_config_static_selectorELNS0_4arch9wavefront6targetE0EEEvSG_.uses_flat_scratch, 0
	.set _ZN7rocprim17ROCPRIM_400000_NS6detail17trampoline_kernelINS0_13kernel_configILj256ELj4ELj4294967295EEENS1_37radix_sort_block_sort_config_selectorI12hip_bfloat16NS0_10empty_typeEEEZNS1_21radix_sort_block_sortIS4_Lb1EPKS6_PS6_PS7_SD_NS0_19identity_decomposerEEE10hipError_tT1_T2_T3_T4_jRjT5_jjP12ihipStream_tbEUlT_E_NS1_11comp_targetILNS1_3genE9ELNS1_11target_archE1100ELNS1_3gpuE3ELNS1_3repE0EEENS1_44radix_sort_block_sort_config_static_selectorELNS0_4arch9wavefront6targetE0EEEvSG_.has_dyn_sized_stack, 0
	.set _ZN7rocprim17ROCPRIM_400000_NS6detail17trampoline_kernelINS0_13kernel_configILj256ELj4ELj4294967295EEENS1_37radix_sort_block_sort_config_selectorI12hip_bfloat16NS0_10empty_typeEEEZNS1_21radix_sort_block_sortIS4_Lb1EPKS6_PS6_PS7_SD_NS0_19identity_decomposerEEE10hipError_tT1_T2_T3_T4_jRjT5_jjP12ihipStream_tbEUlT_E_NS1_11comp_targetILNS1_3genE9ELNS1_11target_archE1100ELNS1_3gpuE3ELNS1_3repE0EEENS1_44radix_sort_block_sort_config_static_selectorELNS0_4arch9wavefront6targetE0EEEvSG_.has_recursion, 0
	.set _ZN7rocprim17ROCPRIM_400000_NS6detail17trampoline_kernelINS0_13kernel_configILj256ELj4ELj4294967295EEENS1_37radix_sort_block_sort_config_selectorI12hip_bfloat16NS0_10empty_typeEEEZNS1_21radix_sort_block_sortIS4_Lb1EPKS6_PS6_PS7_SD_NS0_19identity_decomposerEEE10hipError_tT1_T2_T3_T4_jRjT5_jjP12ihipStream_tbEUlT_E_NS1_11comp_targetILNS1_3genE9ELNS1_11target_archE1100ELNS1_3gpuE3ELNS1_3repE0EEENS1_44radix_sort_block_sort_config_static_selectorELNS0_4arch9wavefront6targetE0EEEvSG_.has_indirect_call, 0
	.section	.AMDGPU.csdata,"",@progbits
; Kernel info:
; codeLenInByte = 0
; TotalNumSgprs: 0
; NumVgprs: 0
; ScratchSize: 0
; MemoryBound: 0
; FloatMode: 240
; IeeeMode: 1
; LDSByteSize: 0 bytes/workgroup (compile time only)
; SGPRBlocks: 0
; VGPRBlocks: 0
; NumSGPRsForWavesPerEU: 1
; NumVGPRsForWavesPerEU: 1
; NamedBarCnt: 0
; Occupancy: 16
; WaveLimiterHint : 0
; COMPUTE_PGM_RSRC2:SCRATCH_EN: 0
; COMPUTE_PGM_RSRC2:USER_SGPR: 2
; COMPUTE_PGM_RSRC2:TRAP_HANDLER: 0
; COMPUTE_PGM_RSRC2:TGID_X_EN: 1
; COMPUTE_PGM_RSRC2:TGID_Y_EN: 0
; COMPUTE_PGM_RSRC2:TGID_Z_EN: 0
; COMPUTE_PGM_RSRC2:TIDIG_COMP_CNT: 0
	.section	.text._ZN7rocprim17ROCPRIM_400000_NS6detail17trampoline_kernelINS0_13kernel_configILj256ELj4ELj4294967295EEENS1_37radix_sort_block_sort_config_selectorI12hip_bfloat16NS0_10empty_typeEEEZNS1_21radix_sort_block_sortIS4_Lb1EPKS6_PS6_PS7_SD_NS0_19identity_decomposerEEE10hipError_tT1_T2_T3_T4_jRjT5_jjP12ihipStream_tbEUlT_E_NS1_11comp_targetILNS1_3genE8ELNS1_11target_archE1030ELNS1_3gpuE2ELNS1_3repE0EEENS1_44radix_sort_block_sort_config_static_selectorELNS0_4arch9wavefront6targetE0EEEvSG_,"axG",@progbits,_ZN7rocprim17ROCPRIM_400000_NS6detail17trampoline_kernelINS0_13kernel_configILj256ELj4ELj4294967295EEENS1_37radix_sort_block_sort_config_selectorI12hip_bfloat16NS0_10empty_typeEEEZNS1_21radix_sort_block_sortIS4_Lb1EPKS6_PS6_PS7_SD_NS0_19identity_decomposerEEE10hipError_tT1_T2_T3_T4_jRjT5_jjP12ihipStream_tbEUlT_E_NS1_11comp_targetILNS1_3genE8ELNS1_11target_archE1030ELNS1_3gpuE2ELNS1_3repE0EEENS1_44radix_sort_block_sort_config_static_selectorELNS0_4arch9wavefront6targetE0EEEvSG_,comdat
	.protected	_ZN7rocprim17ROCPRIM_400000_NS6detail17trampoline_kernelINS0_13kernel_configILj256ELj4ELj4294967295EEENS1_37radix_sort_block_sort_config_selectorI12hip_bfloat16NS0_10empty_typeEEEZNS1_21radix_sort_block_sortIS4_Lb1EPKS6_PS6_PS7_SD_NS0_19identity_decomposerEEE10hipError_tT1_T2_T3_T4_jRjT5_jjP12ihipStream_tbEUlT_E_NS1_11comp_targetILNS1_3genE8ELNS1_11target_archE1030ELNS1_3gpuE2ELNS1_3repE0EEENS1_44radix_sort_block_sort_config_static_selectorELNS0_4arch9wavefront6targetE0EEEvSG_ ; -- Begin function _ZN7rocprim17ROCPRIM_400000_NS6detail17trampoline_kernelINS0_13kernel_configILj256ELj4ELj4294967295EEENS1_37radix_sort_block_sort_config_selectorI12hip_bfloat16NS0_10empty_typeEEEZNS1_21radix_sort_block_sortIS4_Lb1EPKS6_PS6_PS7_SD_NS0_19identity_decomposerEEE10hipError_tT1_T2_T3_T4_jRjT5_jjP12ihipStream_tbEUlT_E_NS1_11comp_targetILNS1_3genE8ELNS1_11target_archE1030ELNS1_3gpuE2ELNS1_3repE0EEENS1_44radix_sort_block_sort_config_static_selectorELNS0_4arch9wavefront6targetE0EEEvSG_
	.globl	_ZN7rocprim17ROCPRIM_400000_NS6detail17trampoline_kernelINS0_13kernel_configILj256ELj4ELj4294967295EEENS1_37radix_sort_block_sort_config_selectorI12hip_bfloat16NS0_10empty_typeEEEZNS1_21radix_sort_block_sortIS4_Lb1EPKS6_PS6_PS7_SD_NS0_19identity_decomposerEEE10hipError_tT1_T2_T3_T4_jRjT5_jjP12ihipStream_tbEUlT_E_NS1_11comp_targetILNS1_3genE8ELNS1_11target_archE1030ELNS1_3gpuE2ELNS1_3repE0EEENS1_44radix_sort_block_sort_config_static_selectorELNS0_4arch9wavefront6targetE0EEEvSG_
	.p2align	8
	.type	_ZN7rocprim17ROCPRIM_400000_NS6detail17trampoline_kernelINS0_13kernel_configILj256ELj4ELj4294967295EEENS1_37radix_sort_block_sort_config_selectorI12hip_bfloat16NS0_10empty_typeEEEZNS1_21radix_sort_block_sortIS4_Lb1EPKS6_PS6_PS7_SD_NS0_19identity_decomposerEEE10hipError_tT1_T2_T3_T4_jRjT5_jjP12ihipStream_tbEUlT_E_NS1_11comp_targetILNS1_3genE8ELNS1_11target_archE1030ELNS1_3gpuE2ELNS1_3repE0EEENS1_44radix_sort_block_sort_config_static_selectorELNS0_4arch9wavefront6targetE0EEEvSG_,@function
_ZN7rocprim17ROCPRIM_400000_NS6detail17trampoline_kernelINS0_13kernel_configILj256ELj4ELj4294967295EEENS1_37radix_sort_block_sort_config_selectorI12hip_bfloat16NS0_10empty_typeEEEZNS1_21radix_sort_block_sortIS4_Lb1EPKS6_PS6_PS7_SD_NS0_19identity_decomposerEEE10hipError_tT1_T2_T3_T4_jRjT5_jjP12ihipStream_tbEUlT_E_NS1_11comp_targetILNS1_3genE8ELNS1_11target_archE1030ELNS1_3gpuE2ELNS1_3repE0EEENS1_44radix_sort_block_sort_config_static_selectorELNS0_4arch9wavefront6targetE0EEEvSG_: ; @_ZN7rocprim17ROCPRIM_400000_NS6detail17trampoline_kernelINS0_13kernel_configILj256ELj4ELj4294967295EEENS1_37radix_sort_block_sort_config_selectorI12hip_bfloat16NS0_10empty_typeEEEZNS1_21radix_sort_block_sortIS4_Lb1EPKS6_PS6_PS7_SD_NS0_19identity_decomposerEEE10hipError_tT1_T2_T3_T4_jRjT5_jjP12ihipStream_tbEUlT_E_NS1_11comp_targetILNS1_3genE8ELNS1_11target_archE1030ELNS1_3gpuE2ELNS1_3repE0EEENS1_44radix_sort_block_sort_config_static_selectorELNS0_4arch9wavefront6targetE0EEEvSG_
; %bb.0:
	.section	.rodata,"a",@progbits
	.p2align	6, 0x0
	.amdhsa_kernel _ZN7rocprim17ROCPRIM_400000_NS6detail17trampoline_kernelINS0_13kernel_configILj256ELj4ELj4294967295EEENS1_37radix_sort_block_sort_config_selectorI12hip_bfloat16NS0_10empty_typeEEEZNS1_21radix_sort_block_sortIS4_Lb1EPKS6_PS6_PS7_SD_NS0_19identity_decomposerEEE10hipError_tT1_T2_T3_T4_jRjT5_jjP12ihipStream_tbEUlT_E_NS1_11comp_targetILNS1_3genE8ELNS1_11target_archE1030ELNS1_3gpuE2ELNS1_3repE0EEENS1_44radix_sort_block_sort_config_static_selectorELNS0_4arch9wavefront6targetE0EEEvSG_
		.amdhsa_group_segment_fixed_size 0
		.amdhsa_private_segment_fixed_size 0
		.amdhsa_kernarg_size 48
		.amdhsa_user_sgpr_count 2
		.amdhsa_user_sgpr_dispatch_ptr 0
		.amdhsa_user_sgpr_queue_ptr 0
		.amdhsa_user_sgpr_kernarg_segment_ptr 1
		.amdhsa_user_sgpr_dispatch_id 0
		.amdhsa_user_sgpr_kernarg_preload_length 0
		.amdhsa_user_sgpr_kernarg_preload_offset 0
		.amdhsa_user_sgpr_private_segment_size 0
		.amdhsa_wavefront_size32 1
		.amdhsa_uses_dynamic_stack 0
		.amdhsa_enable_private_segment 0
		.amdhsa_system_sgpr_workgroup_id_x 1
		.amdhsa_system_sgpr_workgroup_id_y 0
		.amdhsa_system_sgpr_workgroup_id_z 0
		.amdhsa_system_sgpr_workgroup_info 0
		.amdhsa_system_vgpr_workitem_id 0
		.amdhsa_next_free_vgpr 1
		.amdhsa_next_free_sgpr 1
		.amdhsa_named_barrier_count 0
		.amdhsa_reserve_vcc 0
		.amdhsa_float_round_mode_32 0
		.amdhsa_float_round_mode_16_64 0
		.amdhsa_float_denorm_mode_32 3
		.amdhsa_float_denorm_mode_16_64 3
		.amdhsa_fp16_overflow 0
		.amdhsa_memory_ordered 1
		.amdhsa_forward_progress 1
		.amdhsa_inst_pref_size 0
		.amdhsa_round_robin_scheduling 0
		.amdhsa_exception_fp_ieee_invalid_op 0
		.amdhsa_exception_fp_denorm_src 0
		.amdhsa_exception_fp_ieee_div_zero 0
		.amdhsa_exception_fp_ieee_overflow 0
		.amdhsa_exception_fp_ieee_underflow 0
		.amdhsa_exception_fp_ieee_inexact 0
		.amdhsa_exception_int_div_zero 0
	.end_amdhsa_kernel
	.section	.text._ZN7rocprim17ROCPRIM_400000_NS6detail17trampoline_kernelINS0_13kernel_configILj256ELj4ELj4294967295EEENS1_37radix_sort_block_sort_config_selectorI12hip_bfloat16NS0_10empty_typeEEEZNS1_21radix_sort_block_sortIS4_Lb1EPKS6_PS6_PS7_SD_NS0_19identity_decomposerEEE10hipError_tT1_T2_T3_T4_jRjT5_jjP12ihipStream_tbEUlT_E_NS1_11comp_targetILNS1_3genE8ELNS1_11target_archE1030ELNS1_3gpuE2ELNS1_3repE0EEENS1_44radix_sort_block_sort_config_static_selectorELNS0_4arch9wavefront6targetE0EEEvSG_,"axG",@progbits,_ZN7rocprim17ROCPRIM_400000_NS6detail17trampoline_kernelINS0_13kernel_configILj256ELj4ELj4294967295EEENS1_37radix_sort_block_sort_config_selectorI12hip_bfloat16NS0_10empty_typeEEEZNS1_21radix_sort_block_sortIS4_Lb1EPKS6_PS6_PS7_SD_NS0_19identity_decomposerEEE10hipError_tT1_T2_T3_T4_jRjT5_jjP12ihipStream_tbEUlT_E_NS1_11comp_targetILNS1_3genE8ELNS1_11target_archE1030ELNS1_3gpuE2ELNS1_3repE0EEENS1_44radix_sort_block_sort_config_static_selectorELNS0_4arch9wavefront6targetE0EEEvSG_,comdat
.Lfunc_end1896:
	.size	_ZN7rocprim17ROCPRIM_400000_NS6detail17trampoline_kernelINS0_13kernel_configILj256ELj4ELj4294967295EEENS1_37radix_sort_block_sort_config_selectorI12hip_bfloat16NS0_10empty_typeEEEZNS1_21radix_sort_block_sortIS4_Lb1EPKS6_PS6_PS7_SD_NS0_19identity_decomposerEEE10hipError_tT1_T2_T3_T4_jRjT5_jjP12ihipStream_tbEUlT_E_NS1_11comp_targetILNS1_3genE8ELNS1_11target_archE1030ELNS1_3gpuE2ELNS1_3repE0EEENS1_44radix_sort_block_sort_config_static_selectorELNS0_4arch9wavefront6targetE0EEEvSG_, .Lfunc_end1896-_ZN7rocprim17ROCPRIM_400000_NS6detail17trampoline_kernelINS0_13kernel_configILj256ELj4ELj4294967295EEENS1_37radix_sort_block_sort_config_selectorI12hip_bfloat16NS0_10empty_typeEEEZNS1_21radix_sort_block_sortIS4_Lb1EPKS6_PS6_PS7_SD_NS0_19identity_decomposerEEE10hipError_tT1_T2_T3_T4_jRjT5_jjP12ihipStream_tbEUlT_E_NS1_11comp_targetILNS1_3genE8ELNS1_11target_archE1030ELNS1_3gpuE2ELNS1_3repE0EEENS1_44radix_sort_block_sort_config_static_selectorELNS0_4arch9wavefront6targetE0EEEvSG_
                                        ; -- End function
	.set _ZN7rocprim17ROCPRIM_400000_NS6detail17trampoline_kernelINS0_13kernel_configILj256ELj4ELj4294967295EEENS1_37radix_sort_block_sort_config_selectorI12hip_bfloat16NS0_10empty_typeEEEZNS1_21radix_sort_block_sortIS4_Lb1EPKS6_PS6_PS7_SD_NS0_19identity_decomposerEEE10hipError_tT1_T2_T3_T4_jRjT5_jjP12ihipStream_tbEUlT_E_NS1_11comp_targetILNS1_3genE8ELNS1_11target_archE1030ELNS1_3gpuE2ELNS1_3repE0EEENS1_44radix_sort_block_sort_config_static_selectorELNS0_4arch9wavefront6targetE0EEEvSG_.num_vgpr, 0
	.set _ZN7rocprim17ROCPRIM_400000_NS6detail17trampoline_kernelINS0_13kernel_configILj256ELj4ELj4294967295EEENS1_37radix_sort_block_sort_config_selectorI12hip_bfloat16NS0_10empty_typeEEEZNS1_21radix_sort_block_sortIS4_Lb1EPKS6_PS6_PS7_SD_NS0_19identity_decomposerEEE10hipError_tT1_T2_T3_T4_jRjT5_jjP12ihipStream_tbEUlT_E_NS1_11comp_targetILNS1_3genE8ELNS1_11target_archE1030ELNS1_3gpuE2ELNS1_3repE0EEENS1_44radix_sort_block_sort_config_static_selectorELNS0_4arch9wavefront6targetE0EEEvSG_.num_agpr, 0
	.set _ZN7rocprim17ROCPRIM_400000_NS6detail17trampoline_kernelINS0_13kernel_configILj256ELj4ELj4294967295EEENS1_37radix_sort_block_sort_config_selectorI12hip_bfloat16NS0_10empty_typeEEEZNS1_21radix_sort_block_sortIS4_Lb1EPKS6_PS6_PS7_SD_NS0_19identity_decomposerEEE10hipError_tT1_T2_T3_T4_jRjT5_jjP12ihipStream_tbEUlT_E_NS1_11comp_targetILNS1_3genE8ELNS1_11target_archE1030ELNS1_3gpuE2ELNS1_3repE0EEENS1_44radix_sort_block_sort_config_static_selectorELNS0_4arch9wavefront6targetE0EEEvSG_.numbered_sgpr, 0
	.set _ZN7rocprim17ROCPRIM_400000_NS6detail17trampoline_kernelINS0_13kernel_configILj256ELj4ELj4294967295EEENS1_37radix_sort_block_sort_config_selectorI12hip_bfloat16NS0_10empty_typeEEEZNS1_21radix_sort_block_sortIS4_Lb1EPKS6_PS6_PS7_SD_NS0_19identity_decomposerEEE10hipError_tT1_T2_T3_T4_jRjT5_jjP12ihipStream_tbEUlT_E_NS1_11comp_targetILNS1_3genE8ELNS1_11target_archE1030ELNS1_3gpuE2ELNS1_3repE0EEENS1_44radix_sort_block_sort_config_static_selectorELNS0_4arch9wavefront6targetE0EEEvSG_.num_named_barrier, 0
	.set _ZN7rocprim17ROCPRIM_400000_NS6detail17trampoline_kernelINS0_13kernel_configILj256ELj4ELj4294967295EEENS1_37radix_sort_block_sort_config_selectorI12hip_bfloat16NS0_10empty_typeEEEZNS1_21radix_sort_block_sortIS4_Lb1EPKS6_PS6_PS7_SD_NS0_19identity_decomposerEEE10hipError_tT1_T2_T3_T4_jRjT5_jjP12ihipStream_tbEUlT_E_NS1_11comp_targetILNS1_3genE8ELNS1_11target_archE1030ELNS1_3gpuE2ELNS1_3repE0EEENS1_44radix_sort_block_sort_config_static_selectorELNS0_4arch9wavefront6targetE0EEEvSG_.private_seg_size, 0
	.set _ZN7rocprim17ROCPRIM_400000_NS6detail17trampoline_kernelINS0_13kernel_configILj256ELj4ELj4294967295EEENS1_37radix_sort_block_sort_config_selectorI12hip_bfloat16NS0_10empty_typeEEEZNS1_21radix_sort_block_sortIS4_Lb1EPKS6_PS6_PS7_SD_NS0_19identity_decomposerEEE10hipError_tT1_T2_T3_T4_jRjT5_jjP12ihipStream_tbEUlT_E_NS1_11comp_targetILNS1_3genE8ELNS1_11target_archE1030ELNS1_3gpuE2ELNS1_3repE0EEENS1_44radix_sort_block_sort_config_static_selectorELNS0_4arch9wavefront6targetE0EEEvSG_.uses_vcc, 0
	.set _ZN7rocprim17ROCPRIM_400000_NS6detail17trampoline_kernelINS0_13kernel_configILj256ELj4ELj4294967295EEENS1_37radix_sort_block_sort_config_selectorI12hip_bfloat16NS0_10empty_typeEEEZNS1_21radix_sort_block_sortIS4_Lb1EPKS6_PS6_PS7_SD_NS0_19identity_decomposerEEE10hipError_tT1_T2_T3_T4_jRjT5_jjP12ihipStream_tbEUlT_E_NS1_11comp_targetILNS1_3genE8ELNS1_11target_archE1030ELNS1_3gpuE2ELNS1_3repE0EEENS1_44radix_sort_block_sort_config_static_selectorELNS0_4arch9wavefront6targetE0EEEvSG_.uses_flat_scratch, 0
	.set _ZN7rocprim17ROCPRIM_400000_NS6detail17trampoline_kernelINS0_13kernel_configILj256ELj4ELj4294967295EEENS1_37radix_sort_block_sort_config_selectorI12hip_bfloat16NS0_10empty_typeEEEZNS1_21radix_sort_block_sortIS4_Lb1EPKS6_PS6_PS7_SD_NS0_19identity_decomposerEEE10hipError_tT1_T2_T3_T4_jRjT5_jjP12ihipStream_tbEUlT_E_NS1_11comp_targetILNS1_3genE8ELNS1_11target_archE1030ELNS1_3gpuE2ELNS1_3repE0EEENS1_44radix_sort_block_sort_config_static_selectorELNS0_4arch9wavefront6targetE0EEEvSG_.has_dyn_sized_stack, 0
	.set _ZN7rocprim17ROCPRIM_400000_NS6detail17trampoline_kernelINS0_13kernel_configILj256ELj4ELj4294967295EEENS1_37radix_sort_block_sort_config_selectorI12hip_bfloat16NS0_10empty_typeEEEZNS1_21radix_sort_block_sortIS4_Lb1EPKS6_PS6_PS7_SD_NS0_19identity_decomposerEEE10hipError_tT1_T2_T3_T4_jRjT5_jjP12ihipStream_tbEUlT_E_NS1_11comp_targetILNS1_3genE8ELNS1_11target_archE1030ELNS1_3gpuE2ELNS1_3repE0EEENS1_44radix_sort_block_sort_config_static_selectorELNS0_4arch9wavefront6targetE0EEEvSG_.has_recursion, 0
	.set _ZN7rocprim17ROCPRIM_400000_NS6detail17trampoline_kernelINS0_13kernel_configILj256ELj4ELj4294967295EEENS1_37radix_sort_block_sort_config_selectorI12hip_bfloat16NS0_10empty_typeEEEZNS1_21radix_sort_block_sortIS4_Lb1EPKS6_PS6_PS7_SD_NS0_19identity_decomposerEEE10hipError_tT1_T2_T3_T4_jRjT5_jjP12ihipStream_tbEUlT_E_NS1_11comp_targetILNS1_3genE8ELNS1_11target_archE1030ELNS1_3gpuE2ELNS1_3repE0EEENS1_44radix_sort_block_sort_config_static_selectorELNS0_4arch9wavefront6targetE0EEEvSG_.has_indirect_call, 0
	.section	.AMDGPU.csdata,"",@progbits
; Kernel info:
; codeLenInByte = 0
; TotalNumSgprs: 0
; NumVgprs: 0
; ScratchSize: 0
; MemoryBound: 0
; FloatMode: 240
; IeeeMode: 1
; LDSByteSize: 0 bytes/workgroup (compile time only)
; SGPRBlocks: 0
; VGPRBlocks: 0
; NumSGPRsForWavesPerEU: 1
; NumVGPRsForWavesPerEU: 1
; NamedBarCnt: 0
; Occupancy: 16
; WaveLimiterHint : 0
; COMPUTE_PGM_RSRC2:SCRATCH_EN: 0
; COMPUTE_PGM_RSRC2:USER_SGPR: 2
; COMPUTE_PGM_RSRC2:TRAP_HANDLER: 0
; COMPUTE_PGM_RSRC2:TGID_X_EN: 1
; COMPUTE_PGM_RSRC2:TGID_Y_EN: 0
; COMPUTE_PGM_RSRC2:TGID_Z_EN: 0
; COMPUTE_PGM_RSRC2:TIDIG_COMP_CNT: 0
	.section	.text._ZN7rocprim17ROCPRIM_400000_NS6detail44device_merge_sort_compile_time_verifier_archINS1_11comp_targetILNS1_3genE0ELNS1_11target_archE4294967295ELNS1_3gpuE0ELNS1_3repE0EEES8_NS1_28merge_sort_block_sort_configILj256ELj4ELNS0_20block_sort_algorithmE0EEENS0_14default_configENS1_37merge_sort_block_sort_config_selectorI12hip_bfloat16NS0_10empty_typeEEENS1_38merge_sort_block_merge_config_selectorISE_SF_EEEEvv,"axG",@progbits,_ZN7rocprim17ROCPRIM_400000_NS6detail44device_merge_sort_compile_time_verifier_archINS1_11comp_targetILNS1_3genE0ELNS1_11target_archE4294967295ELNS1_3gpuE0ELNS1_3repE0EEES8_NS1_28merge_sort_block_sort_configILj256ELj4ELNS0_20block_sort_algorithmE0EEENS0_14default_configENS1_37merge_sort_block_sort_config_selectorI12hip_bfloat16NS0_10empty_typeEEENS1_38merge_sort_block_merge_config_selectorISE_SF_EEEEvv,comdat
	.protected	_ZN7rocprim17ROCPRIM_400000_NS6detail44device_merge_sort_compile_time_verifier_archINS1_11comp_targetILNS1_3genE0ELNS1_11target_archE4294967295ELNS1_3gpuE0ELNS1_3repE0EEES8_NS1_28merge_sort_block_sort_configILj256ELj4ELNS0_20block_sort_algorithmE0EEENS0_14default_configENS1_37merge_sort_block_sort_config_selectorI12hip_bfloat16NS0_10empty_typeEEENS1_38merge_sort_block_merge_config_selectorISE_SF_EEEEvv ; -- Begin function _ZN7rocprim17ROCPRIM_400000_NS6detail44device_merge_sort_compile_time_verifier_archINS1_11comp_targetILNS1_3genE0ELNS1_11target_archE4294967295ELNS1_3gpuE0ELNS1_3repE0EEES8_NS1_28merge_sort_block_sort_configILj256ELj4ELNS0_20block_sort_algorithmE0EEENS0_14default_configENS1_37merge_sort_block_sort_config_selectorI12hip_bfloat16NS0_10empty_typeEEENS1_38merge_sort_block_merge_config_selectorISE_SF_EEEEvv
	.globl	_ZN7rocprim17ROCPRIM_400000_NS6detail44device_merge_sort_compile_time_verifier_archINS1_11comp_targetILNS1_3genE0ELNS1_11target_archE4294967295ELNS1_3gpuE0ELNS1_3repE0EEES8_NS1_28merge_sort_block_sort_configILj256ELj4ELNS0_20block_sort_algorithmE0EEENS0_14default_configENS1_37merge_sort_block_sort_config_selectorI12hip_bfloat16NS0_10empty_typeEEENS1_38merge_sort_block_merge_config_selectorISE_SF_EEEEvv
	.p2align	8
	.type	_ZN7rocprim17ROCPRIM_400000_NS6detail44device_merge_sort_compile_time_verifier_archINS1_11comp_targetILNS1_3genE0ELNS1_11target_archE4294967295ELNS1_3gpuE0ELNS1_3repE0EEES8_NS1_28merge_sort_block_sort_configILj256ELj4ELNS0_20block_sort_algorithmE0EEENS0_14default_configENS1_37merge_sort_block_sort_config_selectorI12hip_bfloat16NS0_10empty_typeEEENS1_38merge_sort_block_merge_config_selectorISE_SF_EEEEvv,@function
_ZN7rocprim17ROCPRIM_400000_NS6detail44device_merge_sort_compile_time_verifier_archINS1_11comp_targetILNS1_3genE0ELNS1_11target_archE4294967295ELNS1_3gpuE0ELNS1_3repE0EEES8_NS1_28merge_sort_block_sort_configILj256ELj4ELNS0_20block_sort_algorithmE0EEENS0_14default_configENS1_37merge_sort_block_sort_config_selectorI12hip_bfloat16NS0_10empty_typeEEENS1_38merge_sort_block_merge_config_selectorISE_SF_EEEEvv: ; @_ZN7rocprim17ROCPRIM_400000_NS6detail44device_merge_sort_compile_time_verifier_archINS1_11comp_targetILNS1_3genE0ELNS1_11target_archE4294967295ELNS1_3gpuE0ELNS1_3repE0EEES8_NS1_28merge_sort_block_sort_configILj256ELj4ELNS0_20block_sort_algorithmE0EEENS0_14default_configENS1_37merge_sort_block_sort_config_selectorI12hip_bfloat16NS0_10empty_typeEEENS1_38merge_sort_block_merge_config_selectorISE_SF_EEEEvv
; %bb.0:
	s_endpgm
	.section	.rodata,"a",@progbits
	.p2align	6, 0x0
	.amdhsa_kernel _ZN7rocprim17ROCPRIM_400000_NS6detail44device_merge_sort_compile_time_verifier_archINS1_11comp_targetILNS1_3genE0ELNS1_11target_archE4294967295ELNS1_3gpuE0ELNS1_3repE0EEES8_NS1_28merge_sort_block_sort_configILj256ELj4ELNS0_20block_sort_algorithmE0EEENS0_14default_configENS1_37merge_sort_block_sort_config_selectorI12hip_bfloat16NS0_10empty_typeEEENS1_38merge_sort_block_merge_config_selectorISE_SF_EEEEvv
		.amdhsa_group_segment_fixed_size 0
		.amdhsa_private_segment_fixed_size 0
		.amdhsa_kernarg_size 0
		.amdhsa_user_sgpr_count 0
		.amdhsa_user_sgpr_dispatch_ptr 0
		.amdhsa_user_sgpr_queue_ptr 0
		.amdhsa_user_sgpr_kernarg_segment_ptr 0
		.amdhsa_user_sgpr_dispatch_id 0
		.amdhsa_user_sgpr_kernarg_preload_length 0
		.amdhsa_user_sgpr_kernarg_preload_offset 0
		.amdhsa_user_sgpr_private_segment_size 0
		.amdhsa_wavefront_size32 1
		.amdhsa_uses_dynamic_stack 0
		.amdhsa_enable_private_segment 0
		.amdhsa_system_sgpr_workgroup_id_x 1
		.amdhsa_system_sgpr_workgroup_id_y 0
		.amdhsa_system_sgpr_workgroup_id_z 0
		.amdhsa_system_sgpr_workgroup_info 0
		.amdhsa_system_vgpr_workitem_id 0
		.amdhsa_next_free_vgpr 1
		.amdhsa_next_free_sgpr 1
		.amdhsa_named_barrier_count 0
		.amdhsa_reserve_vcc 0
		.amdhsa_float_round_mode_32 0
		.amdhsa_float_round_mode_16_64 0
		.amdhsa_float_denorm_mode_32 3
		.amdhsa_float_denorm_mode_16_64 3
		.amdhsa_fp16_overflow 0
		.amdhsa_memory_ordered 1
		.amdhsa_forward_progress 1
		.amdhsa_inst_pref_size 1
		.amdhsa_round_robin_scheduling 0
		.amdhsa_exception_fp_ieee_invalid_op 0
		.amdhsa_exception_fp_denorm_src 0
		.amdhsa_exception_fp_ieee_div_zero 0
		.amdhsa_exception_fp_ieee_overflow 0
		.amdhsa_exception_fp_ieee_underflow 0
		.amdhsa_exception_fp_ieee_inexact 0
		.amdhsa_exception_int_div_zero 0
	.end_amdhsa_kernel
	.section	.text._ZN7rocprim17ROCPRIM_400000_NS6detail44device_merge_sort_compile_time_verifier_archINS1_11comp_targetILNS1_3genE0ELNS1_11target_archE4294967295ELNS1_3gpuE0ELNS1_3repE0EEES8_NS1_28merge_sort_block_sort_configILj256ELj4ELNS0_20block_sort_algorithmE0EEENS0_14default_configENS1_37merge_sort_block_sort_config_selectorI12hip_bfloat16NS0_10empty_typeEEENS1_38merge_sort_block_merge_config_selectorISE_SF_EEEEvv,"axG",@progbits,_ZN7rocprim17ROCPRIM_400000_NS6detail44device_merge_sort_compile_time_verifier_archINS1_11comp_targetILNS1_3genE0ELNS1_11target_archE4294967295ELNS1_3gpuE0ELNS1_3repE0EEES8_NS1_28merge_sort_block_sort_configILj256ELj4ELNS0_20block_sort_algorithmE0EEENS0_14default_configENS1_37merge_sort_block_sort_config_selectorI12hip_bfloat16NS0_10empty_typeEEENS1_38merge_sort_block_merge_config_selectorISE_SF_EEEEvv,comdat
.Lfunc_end1897:
	.size	_ZN7rocprim17ROCPRIM_400000_NS6detail44device_merge_sort_compile_time_verifier_archINS1_11comp_targetILNS1_3genE0ELNS1_11target_archE4294967295ELNS1_3gpuE0ELNS1_3repE0EEES8_NS1_28merge_sort_block_sort_configILj256ELj4ELNS0_20block_sort_algorithmE0EEENS0_14default_configENS1_37merge_sort_block_sort_config_selectorI12hip_bfloat16NS0_10empty_typeEEENS1_38merge_sort_block_merge_config_selectorISE_SF_EEEEvv, .Lfunc_end1897-_ZN7rocprim17ROCPRIM_400000_NS6detail44device_merge_sort_compile_time_verifier_archINS1_11comp_targetILNS1_3genE0ELNS1_11target_archE4294967295ELNS1_3gpuE0ELNS1_3repE0EEES8_NS1_28merge_sort_block_sort_configILj256ELj4ELNS0_20block_sort_algorithmE0EEENS0_14default_configENS1_37merge_sort_block_sort_config_selectorI12hip_bfloat16NS0_10empty_typeEEENS1_38merge_sort_block_merge_config_selectorISE_SF_EEEEvv
                                        ; -- End function
	.set _ZN7rocprim17ROCPRIM_400000_NS6detail44device_merge_sort_compile_time_verifier_archINS1_11comp_targetILNS1_3genE0ELNS1_11target_archE4294967295ELNS1_3gpuE0ELNS1_3repE0EEES8_NS1_28merge_sort_block_sort_configILj256ELj4ELNS0_20block_sort_algorithmE0EEENS0_14default_configENS1_37merge_sort_block_sort_config_selectorI12hip_bfloat16NS0_10empty_typeEEENS1_38merge_sort_block_merge_config_selectorISE_SF_EEEEvv.num_vgpr, 0
	.set _ZN7rocprim17ROCPRIM_400000_NS6detail44device_merge_sort_compile_time_verifier_archINS1_11comp_targetILNS1_3genE0ELNS1_11target_archE4294967295ELNS1_3gpuE0ELNS1_3repE0EEES8_NS1_28merge_sort_block_sort_configILj256ELj4ELNS0_20block_sort_algorithmE0EEENS0_14default_configENS1_37merge_sort_block_sort_config_selectorI12hip_bfloat16NS0_10empty_typeEEENS1_38merge_sort_block_merge_config_selectorISE_SF_EEEEvv.num_agpr, 0
	.set _ZN7rocprim17ROCPRIM_400000_NS6detail44device_merge_sort_compile_time_verifier_archINS1_11comp_targetILNS1_3genE0ELNS1_11target_archE4294967295ELNS1_3gpuE0ELNS1_3repE0EEES8_NS1_28merge_sort_block_sort_configILj256ELj4ELNS0_20block_sort_algorithmE0EEENS0_14default_configENS1_37merge_sort_block_sort_config_selectorI12hip_bfloat16NS0_10empty_typeEEENS1_38merge_sort_block_merge_config_selectorISE_SF_EEEEvv.numbered_sgpr, 0
	.set _ZN7rocprim17ROCPRIM_400000_NS6detail44device_merge_sort_compile_time_verifier_archINS1_11comp_targetILNS1_3genE0ELNS1_11target_archE4294967295ELNS1_3gpuE0ELNS1_3repE0EEES8_NS1_28merge_sort_block_sort_configILj256ELj4ELNS0_20block_sort_algorithmE0EEENS0_14default_configENS1_37merge_sort_block_sort_config_selectorI12hip_bfloat16NS0_10empty_typeEEENS1_38merge_sort_block_merge_config_selectorISE_SF_EEEEvv.num_named_barrier, 0
	.set _ZN7rocprim17ROCPRIM_400000_NS6detail44device_merge_sort_compile_time_verifier_archINS1_11comp_targetILNS1_3genE0ELNS1_11target_archE4294967295ELNS1_3gpuE0ELNS1_3repE0EEES8_NS1_28merge_sort_block_sort_configILj256ELj4ELNS0_20block_sort_algorithmE0EEENS0_14default_configENS1_37merge_sort_block_sort_config_selectorI12hip_bfloat16NS0_10empty_typeEEENS1_38merge_sort_block_merge_config_selectorISE_SF_EEEEvv.private_seg_size, 0
	.set _ZN7rocprim17ROCPRIM_400000_NS6detail44device_merge_sort_compile_time_verifier_archINS1_11comp_targetILNS1_3genE0ELNS1_11target_archE4294967295ELNS1_3gpuE0ELNS1_3repE0EEES8_NS1_28merge_sort_block_sort_configILj256ELj4ELNS0_20block_sort_algorithmE0EEENS0_14default_configENS1_37merge_sort_block_sort_config_selectorI12hip_bfloat16NS0_10empty_typeEEENS1_38merge_sort_block_merge_config_selectorISE_SF_EEEEvv.uses_vcc, 0
	.set _ZN7rocprim17ROCPRIM_400000_NS6detail44device_merge_sort_compile_time_verifier_archINS1_11comp_targetILNS1_3genE0ELNS1_11target_archE4294967295ELNS1_3gpuE0ELNS1_3repE0EEES8_NS1_28merge_sort_block_sort_configILj256ELj4ELNS0_20block_sort_algorithmE0EEENS0_14default_configENS1_37merge_sort_block_sort_config_selectorI12hip_bfloat16NS0_10empty_typeEEENS1_38merge_sort_block_merge_config_selectorISE_SF_EEEEvv.uses_flat_scratch, 0
	.set _ZN7rocprim17ROCPRIM_400000_NS6detail44device_merge_sort_compile_time_verifier_archINS1_11comp_targetILNS1_3genE0ELNS1_11target_archE4294967295ELNS1_3gpuE0ELNS1_3repE0EEES8_NS1_28merge_sort_block_sort_configILj256ELj4ELNS0_20block_sort_algorithmE0EEENS0_14default_configENS1_37merge_sort_block_sort_config_selectorI12hip_bfloat16NS0_10empty_typeEEENS1_38merge_sort_block_merge_config_selectorISE_SF_EEEEvv.has_dyn_sized_stack, 0
	.set _ZN7rocprim17ROCPRIM_400000_NS6detail44device_merge_sort_compile_time_verifier_archINS1_11comp_targetILNS1_3genE0ELNS1_11target_archE4294967295ELNS1_3gpuE0ELNS1_3repE0EEES8_NS1_28merge_sort_block_sort_configILj256ELj4ELNS0_20block_sort_algorithmE0EEENS0_14default_configENS1_37merge_sort_block_sort_config_selectorI12hip_bfloat16NS0_10empty_typeEEENS1_38merge_sort_block_merge_config_selectorISE_SF_EEEEvv.has_recursion, 0
	.set _ZN7rocprim17ROCPRIM_400000_NS6detail44device_merge_sort_compile_time_verifier_archINS1_11comp_targetILNS1_3genE0ELNS1_11target_archE4294967295ELNS1_3gpuE0ELNS1_3repE0EEES8_NS1_28merge_sort_block_sort_configILj256ELj4ELNS0_20block_sort_algorithmE0EEENS0_14default_configENS1_37merge_sort_block_sort_config_selectorI12hip_bfloat16NS0_10empty_typeEEENS1_38merge_sort_block_merge_config_selectorISE_SF_EEEEvv.has_indirect_call, 0
	.section	.AMDGPU.csdata,"",@progbits
; Kernel info:
; codeLenInByte = 4
; TotalNumSgprs: 0
; NumVgprs: 0
; ScratchSize: 0
; MemoryBound: 0
; FloatMode: 240
; IeeeMode: 1
; LDSByteSize: 0 bytes/workgroup (compile time only)
; SGPRBlocks: 0
; VGPRBlocks: 0
; NumSGPRsForWavesPerEU: 1
; NumVGPRsForWavesPerEU: 1
; NamedBarCnt: 0
; Occupancy: 16
; WaveLimiterHint : 0
; COMPUTE_PGM_RSRC2:SCRATCH_EN: 0
; COMPUTE_PGM_RSRC2:USER_SGPR: 0
; COMPUTE_PGM_RSRC2:TRAP_HANDLER: 0
; COMPUTE_PGM_RSRC2:TGID_X_EN: 1
; COMPUTE_PGM_RSRC2:TGID_Y_EN: 0
; COMPUTE_PGM_RSRC2:TGID_Z_EN: 0
; COMPUTE_PGM_RSRC2:TIDIG_COMP_CNT: 0
	.section	.text._ZN7rocprim17ROCPRIM_400000_NS6detail44device_merge_sort_compile_time_verifier_archINS1_11comp_targetILNS1_3genE5ELNS1_11target_archE942ELNS1_3gpuE9ELNS1_3repE0EEES8_NS1_28merge_sort_block_sort_configILj256ELj4ELNS0_20block_sort_algorithmE0EEENS0_14default_configENS1_37merge_sort_block_sort_config_selectorI12hip_bfloat16NS0_10empty_typeEEENS1_38merge_sort_block_merge_config_selectorISE_SF_EEEEvv,"axG",@progbits,_ZN7rocprim17ROCPRIM_400000_NS6detail44device_merge_sort_compile_time_verifier_archINS1_11comp_targetILNS1_3genE5ELNS1_11target_archE942ELNS1_3gpuE9ELNS1_3repE0EEES8_NS1_28merge_sort_block_sort_configILj256ELj4ELNS0_20block_sort_algorithmE0EEENS0_14default_configENS1_37merge_sort_block_sort_config_selectorI12hip_bfloat16NS0_10empty_typeEEENS1_38merge_sort_block_merge_config_selectorISE_SF_EEEEvv,comdat
	.protected	_ZN7rocprim17ROCPRIM_400000_NS6detail44device_merge_sort_compile_time_verifier_archINS1_11comp_targetILNS1_3genE5ELNS1_11target_archE942ELNS1_3gpuE9ELNS1_3repE0EEES8_NS1_28merge_sort_block_sort_configILj256ELj4ELNS0_20block_sort_algorithmE0EEENS0_14default_configENS1_37merge_sort_block_sort_config_selectorI12hip_bfloat16NS0_10empty_typeEEENS1_38merge_sort_block_merge_config_selectorISE_SF_EEEEvv ; -- Begin function _ZN7rocprim17ROCPRIM_400000_NS6detail44device_merge_sort_compile_time_verifier_archINS1_11comp_targetILNS1_3genE5ELNS1_11target_archE942ELNS1_3gpuE9ELNS1_3repE0EEES8_NS1_28merge_sort_block_sort_configILj256ELj4ELNS0_20block_sort_algorithmE0EEENS0_14default_configENS1_37merge_sort_block_sort_config_selectorI12hip_bfloat16NS0_10empty_typeEEENS1_38merge_sort_block_merge_config_selectorISE_SF_EEEEvv
	.globl	_ZN7rocprim17ROCPRIM_400000_NS6detail44device_merge_sort_compile_time_verifier_archINS1_11comp_targetILNS1_3genE5ELNS1_11target_archE942ELNS1_3gpuE9ELNS1_3repE0EEES8_NS1_28merge_sort_block_sort_configILj256ELj4ELNS0_20block_sort_algorithmE0EEENS0_14default_configENS1_37merge_sort_block_sort_config_selectorI12hip_bfloat16NS0_10empty_typeEEENS1_38merge_sort_block_merge_config_selectorISE_SF_EEEEvv
	.p2align	8
	.type	_ZN7rocprim17ROCPRIM_400000_NS6detail44device_merge_sort_compile_time_verifier_archINS1_11comp_targetILNS1_3genE5ELNS1_11target_archE942ELNS1_3gpuE9ELNS1_3repE0EEES8_NS1_28merge_sort_block_sort_configILj256ELj4ELNS0_20block_sort_algorithmE0EEENS0_14default_configENS1_37merge_sort_block_sort_config_selectorI12hip_bfloat16NS0_10empty_typeEEENS1_38merge_sort_block_merge_config_selectorISE_SF_EEEEvv,@function
_ZN7rocprim17ROCPRIM_400000_NS6detail44device_merge_sort_compile_time_verifier_archINS1_11comp_targetILNS1_3genE5ELNS1_11target_archE942ELNS1_3gpuE9ELNS1_3repE0EEES8_NS1_28merge_sort_block_sort_configILj256ELj4ELNS0_20block_sort_algorithmE0EEENS0_14default_configENS1_37merge_sort_block_sort_config_selectorI12hip_bfloat16NS0_10empty_typeEEENS1_38merge_sort_block_merge_config_selectorISE_SF_EEEEvv: ; @_ZN7rocprim17ROCPRIM_400000_NS6detail44device_merge_sort_compile_time_verifier_archINS1_11comp_targetILNS1_3genE5ELNS1_11target_archE942ELNS1_3gpuE9ELNS1_3repE0EEES8_NS1_28merge_sort_block_sort_configILj256ELj4ELNS0_20block_sort_algorithmE0EEENS0_14default_configENS1_37merge_sort_block_sort_config_selectorI12hip_bfloat16NS0_10empty_typeEEENS1_38merge_sort_block_merge_config_selectorISE_SF_EEEEvv
; %bb.0:
	s_endpgm
	.section	.rodata,"a",@progbits
	.p2align	6, 0x0
	.amdhsa_kernel _ZN7rocprim17ROCPRIM_400000_NS6detail44device_merge_sort_compile_time_verifier_archINS1_11comp_targetILNS1_3genE5ELNS1_11target_archE942ELNS1_3gpuE9ELNS1_3repE0EEES8_NS1_28merge_sort_block_sort_configILj256ELj4ELNS0_20block_sort_algorithmE0EEENS0_14default_configENS1_37merge_sort_block_sort_config_selectorI12hip_bfloat16NS0_10empty_typeEEENS1_38merge_sort_block_merge_config_selectorISE_SF_EEEEvv
		.amdhsa_group_segment_fixed_size 0
		.amdhsa_private_segment_fixed_size 0
		.amdhsa_kernarg_size 0
		.amdhsa_user_sgpr_count 0
		.amdhsa_user_sgpr_dispatch_ptr 0
		.amdhsa_user_sgpr_queue_ptr 0
		.amdhsa_user_sgpr_kernarg_segment_ptr 0
		.amdhsa_user_sgpr_dispatch_id 0
		.amdhsa_user_sgpr_kernarg_preload_length 0
		.amdhsa_user_sgpr_kernarg_preload_offset 0
		.amdhsa_user_sgpr_private_segment_size 0
		.amdhsa_wavefront_size32 1
		.amdhsa_uses_dynamic_stack 0
		.amdhsa_enable_private_segment 0
		.amdhsa_system_sgpr_workgroup_id_x 1
		.amdhsa_system_sgpr_workgroup_id_y 0
		.amdhsa_system_sgpr_workgroup_id_z 0
		.amdhsa_system_sgpr_workgroup_info 0
		.amdhsa_system_vgpr_workitem_id 0
		.amdhsa_next_free_vgpr 1
		.amdhsa_next_free_sgpr 1
		.amdhsa_named_barrier_count 0
		.amdhsa_reserve_vcc 0
		.amdhsa_float_round_mode_32 0
		.amdhsa_float_round_mode_16_64 0
		.amdhsa_float_denorm_mode_32 3
		.amdhsa_float_denorm_mode_16_64 3
		.amdhsa_fp16_overflow 0
		.amdhsa_memory_ordered 1
		.amdhsa_forward_progress 1
		.amdhsa_inst_pref_size 1
		.amdhsa_round_robin_scheduling 0
		.amdhsa_exception_fp_ieee_invalid_op 0
		.amdhsa_exception_fp_denorm_src 0
		.amdhsa_exception_fp_ieee_div_zero 0
		.amdhsa_exception_fp_ieee_overflow 0
		.amdhsa_exception_fp_ieee_underflow 0
		.amdhsa_exception_fp_ieee_inexact 0
		.amdhsa_exception_int_div_zero 0
	.end_amdhsa_kernel
	.section	.text._ZN7rocprim17ROCPRIM_400000_NS6detail44device_merge_sort_compile_time_verifier_archINS1_11comp_targetILNS1_3genE5ELNS1_11target_archE942ELNS1_3gpuE9ELNS1_3repE0EEES8_NS1_28merge_sort_block_sort_configILj256ELj4ELNS0_20block_sort_algorithmE0EEENS0_14default_configENS1_37merge_sort_block_sort_config_selectorI12hip_bfloat16NS0_10empty_typeEEENS1_38merge_sort_block_merge_config_selectorISE_SF_EEEEvv,"axG",@progbits,_ZN7rocprim17ROCPRIM_400000_NS6detail44device_merge_sort_compile_time_verifier_archINS1_11comp_targetILNS1_3genE5ELNS1_11target_archE942ELNS1_3gpuE9ELNS1_3repE0EEES8_NS1_28merge_sort_block_sort_configILj256ELj4ELNS0_20block_sort_algorithmE0EEENS0_14default_configENS1_37merge_sort_block_sort_config_selectorI12hip_bfloat16NS0_10empty_typeEEENS1_38merge_sort_block_merge_config_selectorISE_SF_EEEEvv,comdat
.Lfunc_end1898:
	.size	_ZN7rocprim17ROCPRIM_400000_NS6detail44device_merge_sort_compile_time_verifier_archINS1_11comp_targetILNS1_3genE5ELNS1_11target_archE942ELNS1_3gpuE9ELNS1_3repE0EEES8_NS1_28merge_sort_block_sort_configILj256ELj4ELNS0_20block_sort_algorithmE0EEENS0_14default_configENS1_37merge_sort_block_sort_config_selectorI12hip_bfloat16NS0_10empty_typeEEENS1_38merge_sort_block_merge_config_selectorISE_SF_EEEEvv, .Lfunc_end1898-_ZN7rocprim17ROCPRIM_400000_NS6detail44device_merge_sort_compile_time_verifier_archINS1_11comp_targetILNS1_3genE5ELNS1_11target_archE942ELNS1_3gpuE9ELNS1_3repE0EEES8_NS1_28merge_sort_block_sort_configILj256ELj4ELNS0_20block_sort_algorithmE0EEENS0_14default_configENS1_37merge_sort_block_sort_config_selectorI12hip_bfloat16NS0_10empty_typeEEENS1_38merge_sort_block_merge_config_selectorISE_SF_EEEEvv
                                        ; -- End function
	.set _ZN7rocprim17ROCPRIM_400000_NS6detail44device_merge_sort_compile_time_verifier_archINS1_11comp_targetILNS1_3genE5ELNS1_11target_archE942ELNS1_3gpuE9ELNS1_3repE0EEES8_NS1_28merge_sort_block_sort_configILj256ELj4ELNS0_20block_sort_algorithmE0EEENS0_14default_configENS1_37merge_sort_block_sort_config_selectorI12hip_bfloat16NS0_10empty_typeEEENS1_38merge_sort_block_merge_config_selectorISE_SF_EEEEvv.num_vgpr, 0
	.set _ZN7rocprim17ROCPRIM_400000_NS6detail44device_merge_sort_compile_time_verifier_archINS1_11comp_targetILNS1_3genE5ELNS1_11target_archE942ELNS1_3gpuE9ELNS1_3repE0EEES8_NS1_28merge_sort_block_sort_configILj256ELj4ELNS0_20block_sort_algorithmE0EEENS0_14default_configENS1_37merge_sort_block_sort_config_selectorI12hip_bfloat16NS0_10empty_typeEEENS1_38merge_sort_block_merge_config_selectorISE_SF_EEEEvv.num_agpr, 0
	.set _ZN7rocprim17ROCPRIM_400000_NS6detail44device_merge_sort_compile_time_verifier_archINS1_11comp_targetILNS1_3genE5ELNS1_11target_archE942ELNS1_3gpuE9ELNS1_3repE0EEES8_NS1_28merge_sort_block_sort_configILj256ELj4ELNS0_20block_sort_algorithmE0EEENS0_14default_configENS1_37merge_sort_block_sort_config_selectorI12hip_bfloat16NS0_10empty_typeEEENS1_38merge_sort_block_merge_config_selectorISE_SF_EEEEvv.numbered_sgpr, 0
	.set _ZN7rocprim17ROCPRIM_400000_NS6detail44device_merge_sort_compile_time_verifier_archINS1_11comp_targetILNS1_3genE5ELNS1_11target_archE942ELNS1_3gpuE9ELNS1_3repE0EEES8_NS1_28merge_sort_block_sort_configILj256ELj4ELNS0_20block_sort_algorithmE0EEENS0_14default_configENS1_37merge_sort_block_sort_config_selectorI12hip_bfloat16NS0_10empty_typeEEENS1_38merge_sort_block_merge_config_selectorISE_SF_EEEEvv.num_named_barrier, 0
	.set _ZN7rocprim17ROCPRIM_400000_NS6detail44device_merge_sort_compile_time_verifier_archINS1_11comp_targetILNS1_3genE5ELNS1_11target_archE942ELNS1_3gpuE9ELNS1_3repE0EEES8_NS1_28merge_sort_block_sort_configILj256ELj4ELNS0_20block_sort_algorithmE0EEENS0_14default_configENS1_37merge_sort_block_sort_config_selectorI12hip_bfloat16NS0_10empty_typeEEENS1_38merge_sort_block_merge_config_selectorISE_SF_EEEEvv.private_seg_size, 0
	.set _ZN7rocprim17ROCPRIM_400000_NS6detail44device_merge_sort_compile_time_verifier_archINS1_11comp_targetILNS1_3genE5ELNS1_11target_archE942ELNS1_3gpuE9ELNS1_3repE0EEES8_NS1_28merge_sort_block_sort_configILj256ELj4ELNS0_20block_sort_algorithmE0EEENS0_14default_configENS1_37merge_sort_block_sort_config_selectorI12hip_bfloat16NS0_10empty_typeEEENS1_38merge_sort_block_merge_config_selectorISE_SF_EEEEvv.uses_vcc, 0
	.set _ZN7rocprim17ROCPRIM_400000_NS6detail44device_merge_sort_compile_time_verifier_archINS1_11comp_targetILNS1_3genE5ELNS1_11target_archE942ELNS1_3gpuE9ELNS1_3repE0EEES8_NS1_28merge_sort_block_sort_configILj256ELj4ELNS0_20block_sort_algorithmE0EEENS0_14default_configENS1_37merge_sort_block_sort_config_selectorI12hip_bfloat16NS0_10empty_typeEEENS1_38merge_sort_block_merge_config_selectorISE_SF_EEEEvv.uses_flat_scratch, 0
	.set _ZN7rocprim17ROCPRIM_400000_NS6detail44device_merge_sort_compile_time_verifier_archINS1_11comp_targetILNS1_3genE5ELNS1_11target_archE942ELNS1_3gpuE9ELNS1_3repE0EEES8_NS1_28merge_sort_block_sort_configILj256ELj4ELNS0_20block_sort_algorithmE0EEENS0_14default_configENS1_37merge_sort_block_sort_config_selectorI12hip_bfloat16NS0_10empty_typeEEENS1_38merge_sort_block_merge_config_selectorISE_SF_EEEEvv.has_dyn_sized_stack, 0
	.set _ZN7rocprim17ROCPRIM_400000_NS6detail44device_merge_sort_compile_time_verifier_archINS1_11comp_targetILNS1_3genE5ELNS1_11target_archE942ELNS1_3gpuE9ELNS1_3repE0EEES8_NS1_28merge_sort_block_sort_configILj256ELj4ELNS0_20block_sort_algorithmE0EEENS0_14default_configENS1_37merge_sort_block_sort_config_selectorI12hip_bfloat16NS0_10empty_typeEEENS1_38merge_sort_block_merge_config_selectorISE_SF_EEEEvv.has_recursion, 0
	.set _ZN7rocprim17ROCPRIM_400000_NS6detail44device_merge_sort_compile_time_verifier_archINS1_11comp_targetILNS1_3genE5ELNS1_11target_archE942ELNS1_3gpuE9ELNS1_3repE0EEES8_NS1_28merge_sort_block_sort_configILj256ELj4ELNS0_20block_sort_algorithmE0EEENS0_14default_configENS1_37merge_sort_block_sort_config_selectorI12hip_bfloat16NS0_10empty_typeEEENS1_38merge_sort_block_merge_config_selectorISE_SF_EEEEvv.has_indirect_call, 0
	.section	.AMDGPU.csdata,"",@progbits
; Kernel info:
; codeLenInByte = 4
; TotalNumSgprs: 0
; NumVgprs: 0
; ScratchSize: 0
; MemoryBound: 0
; FloatMode: 240
; IeeeMode: 1
; LDSByteSize: 0 bytes/workgroup (compile time only)
; SGPRBlocks: 0
; VGPRBlocks: 0
; NumSGPRsForWavesPerEU: 1
; NumVGPRsForWavesPerEU: 1
; NamedBarCnt: 0
; Occupancy: 16
; WaveLimiterHint : 0
; COMPUTE_PGM_RSRC2:SCRATCH_EN: 0
; COMPUTE_PGM_RSRC2:USER_SGPR: 0
; COMPUTE_PGM_RSRC2:TRAP_HANDLER: 0
; COMPUTE_PGM_RSRC2:TGID_X_EN: 1
; COMPUTE_PGM_RSRC2:TGID_Y_EN: 0
; COMPUTE_PGM_RSRC2:TGID_Z_EN: 0
; COMPUTE_PGM_RSRC2:TIDIG_COMP_CNT: 0
	.section	.text._ZN7rocprim17ROCPRIM_400000_NS6detail44device_merge_sort_compile_time_verifier_archINS1_11comp_targetILNS1_3genE4ELNS1_11target_archE910ELNS1_3gpuE8ELNS1_3repE0EEES8_NS1_28merge_sort_block_sort_configILj256ELj4ELNS0_20block_sort_algorithmE0EEENS0_14default_configENS1_37merge_sort_block_sort_config_selectorI12hip_bfloat16NS0_10empty_typeEEENS1_38merge_sort_block_merge_config_selectorISE_SF_EEEEvv,"axG",@progbits,_ZN7rocprim17ROCPRIM_400000_NS6detail44device_merge_sort_compile_time_verifier_archINS1_11comp_targetILNS1_3genE4ELNS1_11target_archE910ELNS1_3gpuE8ELNS1_3repE0EEES8_NS1_28merge_sort_block_sort_configILj256ELj4ELNS0_20block_sort_algorithmE0EEENS0_14default_configENS1_37merge_sort_block_sort_config_selectorI12hip_bfloat16NS0_10empty_typeEEENS1_38merge_sort_block_merge_config_selectorISE_SF_EEEEvv,comdat
	.protected	_ZN7rocprim17ROCPRIM_400000_NS6detail44device_merge_sort_compile_time_verifier_archINS1_11comp_targetILNS1_3genE4ELNS1_11target_archE910ELNS1_3gpuE8ELNS1_3repE0EEES8_NS1_28merge_sort_block_sort_configILj256ELj4ELNS0_20block_sort_algorithmE0EEENS0_14default_configENS1_37merge_sort_block_sort_config_selectorI12hip_bfloat16NS0_10empty_typeEEENS1_38merge_sort_block_merge_config_selectorISE_SF_EEEEvv ; -- Begin function _ZN7rocprim17ROCPRIM_400000_NS6detail44device_merge_sort_compile_time_verifier_archINS1_11comp_targetILNS1_3genE4ELNS1_11target_archE910ELNS1_3gpuE8ELNS1_3repE0EEES8_NS1_28merge_sort_block_sort_configILj256ELj4ELNS0_20block_sort_algorithmE0EEENS0_14default_configENS1_37merge_sort_block_sort_config_selectorI12hip_bfloat16NS0_10empty_typeEEENS1_38merge_sort_block_merge_config_selectorISE_SF_EEEEvv
	.globl	_ZN7rocprim17ROCPRIM_400000_NS6detail44device_merge_sort_compile_time_verifier_archINS1_11comp_targetILNS1_3genE4ELNS1_11target_archE910ELNS1_3gpuE8ELNS1_3repE0EEES8_NS1_28merge_sort_block_sort_configILj256ELj4ELNS0_20block_sort_algorithmE0EEENS0_14default_configENS1_37merge_sort_block_sort_config_selectorI12hip_bfloat16NS0_10empty_typeEEENS1_38merge_sort_block_merge_config_selectorISE_SF_EEEEvv
	.p2align	8
	.type	_ZN7rocprim17ROCPRIM_400000_NS6detail44device_merge_sort_compile_time_verifier_archINS1_11comp_targetILNS1_3genE4ELNS1_11target_archE910ELNS1_3gpuE8ELNS1_3repE0EEES8_NS1_28merge_sort_block_sort_configILj256ELj4ELNS0_20block_sort_algorithmE0EEENS0_14default_configENS1_37merge_sort_block_sort_config_selectorI12hip_bfloat16NS0_10empty_typeEEENS1_38merge_sort_block_merge_config_selectorISE_SF_EEEEvv,@function
_ZN7rocprim17ROCPRIM_400000_NS6detail44device_merge_sort_compile_time_verifier_archINS1_11comp_targetILNS1_3genE4ELNS1_11target_archE910ELNS1_3gpuE8ELNS1_3repE0EEES8_NS1_28merge_sort_block_sort_configILj256ELj4ELNS0_20block_sort_algorithmE0EEENS0_14default_configENS1_37merge_sort_block_sort_config_selectorI12hip_bfloat16NS0_10empty_typeEEENS1_38merge_sort_block_merge_config_selectorISE_SF_EEEEvv: ; @_ZN7rocprim17ROCPRIM_400000_NS6detail44device_merge_sort_compile_time_verifier_archINS1_11comp_targetILNS1_3genE4ELNS1_11target_archE910ELNS1_3gpuE8ELNS1_3repE0EEES8_NS1_28merge_sort_block_sort_configILj256ELj4ELNS0_20block_sort_algorithmE0EEENS0_14default_configENS1_37merge_sort_block_sort_config_selectorI12hip_bfloat16NS0_10empty_typeEEENS1_38merge_sort_block_merge_config_selectorISE_SF_EEEEvv
; %bb.0:
	s_endpgm
	.section	.rodata,"a",@progbits
	.p2align	6, 0x0
	.amdhsa_kernel _ZN7rocprim17ROCPRIM_400000_NS6detail44device_merge_sort_compile_time_verifier_archINS1_11comp_targetILNS1_3genE4ELNS1_11target_archE910ELNS1_3gpuE8ELNS1_3repE0EEES8_NS1_28merge_sort_block_sort_configILj256ELj4ELNS0_20block_sort_algorithmE0EEENS0_14default_configENS1_37merge_sort_block_sort_config_selectorI12hip_bfloat16NS0_10empty_typeEEENS1_38merge_sort_block_merge_config_selectorISE_SF_EEEEvv
		.amdhsa_group_segment_fixed_size 0
		.amdhsa_private_segment_fixed_size 0
		.amdhsa_kernarg_size 0
		.amdhsa_user_sgpr_count 0
		.amdhsa_user_sgpr_dispatch_ptr 0
		.amdhsa_user_sgpr_queue_ptr 0
		.amdhsa_user_sgpr_kernarg_segment_ptr 0
		.amdhsa_user_sgpr_dispatch_id 0
		.amdhsa_user_sgpr_kernarg_preload_length 0
		.amdhsa_user_sgpr_kernarg_preload_offset 0
		.amdhsa_user_sgpr_private_segment_size 0
		.amdhsa_wavefront_size32 1
		.amdhsa_uses_dynamic_stack 0
		.amdhsa_enable_private_segment 0
		.amdhsa_system_sgpr_workgroup_id_x 1
		.amdhsa_system_sgpr_workgroup_id_y 0
		.amdhsa_system_sgpr_workgroup_id_z 0
		.amdhsa_system_sgpr_workgroup_info 0
		.amdhsa_system_vgpr_workitem_id 0
		.amdhsa_next_free_vgpr 1
		.amdhsa_next_free_sgpr 1
		.amdhsa_named_barrier_count 0
		.amdhsa_reserve_vcc 0
		.amdhsa_float_round_mode_32 0
		.amdhsa_float_round_mode_16_64 0
		.amdhsa_float_denorm_mode_32 3
		.amdhsa_float_denorm_mode_16_64 3
		.amdhsa_fp16_overflow 0
		.amdhsa_memory_ordered 1
		.amdhsa_forward_progress 1
		.amdhsa_inst_pref_size 1
		.amdhsa_round_robin_scheduling 0
		.amdhsa_exception_fp_ieee_invalid_op 0
		.amdhsa_exception_fp_denorm_src 0
		.amdhsa_exception_fp_ieee_div_zero 0
		.amdhsa_exception_fp_ieee_overflow 0
		.amdhsa_exception_fp_ieee_underflow 0
		.amdhsa_exception_fp_ieee_inexact 0
		.amdhsa_exception_int_div_zero 0
	.end_amdhsa_kernel
	.section	.text._ZN7rocprim17ROCPRIM_400000_NS6detail44device_merge_sort_compile_time_verifier_archINS1_11comp_targetILNS1_3genE4ELNS1_11target_archE910ELNS1_3gpuE8ELNS1_3repE0EEES8_NS1_28merge_sort_block_sort_configILj256ELj4ELNS0_20block_sort_algorithmE0EEENS0_14default_configENS1_37merge_sort_block_sort_config_selectorI12hip_bfloat16NS0_10empty_typeEEENS1_38merge_sort_block_merge_config_selectorISE_SF_EEEEvv,"axG",@progbits,_ZN7rocprim17ROCPRIM_400000_NS6detail44device_merge_sort_compile_time_verifier_archINS1_11comp_targetILNS1_3genE4ELNS1_11target_archE910ELNS1_3gpuE8ELNS1_3repE0EEES8_NS1_28merge_sort_block_sort_configILj256ELj4ELNS0_20block_sort_algorithmE0EEENS0_14default_configENS1_37merge_sort_block_sort_config_selectorI12hip_bfloat16NS0_10empty_typeEEENS1_38merge_sort_block_merge_config_selectorISE_SF_EEEEvv,comdat
.Lfunc_end1899:
	.size	_ZN7rocprim17ROCPRIM_400000_NS6detail44device_merge_sort_compile_time_verifier_archINS1_11comp_targetILNS1_3genE4ELNS1_11target_archE910ELNS1_3gpuE8ELNS1_3repE0EEES8_NS1_28merge_sort_block_sort_configILj256ELj4ELNS0_20block_sort_algorithmE0EEENS0_14default_configENS1_37merge_sort_block_sort_config_selectorI12hip_bfloat16NS0_10empty_typeEEENS1_38merge_sort_block_merge_config_selectorISE_SF_EEEEvv, .Lfunc_end1899-_ZN7rocprim17ROCPRIM_400000_NS6detail44device_merge_sort_compile_time_verifier_archINS1_11comp_targetILNS1_3genE4ELNS1_11target_archE910ELNS1_3gpuE8ELNS1_3repE0EEES8_NS1_28merge_sort_block_sort_configILj256ELj4ELNS0_20block_sort_algorithmE0EEENS0_14default_configENS1_37merge_sort_block_sort_config_selectorI12hip_bfloat16NS0_10empty_typeEEENS1_38merge_sort_block_merge_config_selectorISE_SF_EEEEvv
                                        ; -- End function
	.set _ZN7rocprim17ROCPRIM_400000_NS6detail44device_merge_sort_compile_time_verifier_archINS1_11comp_targetILNS1_3genE4ELNS1_11target_archE910ELNS1_3gpuE8ELNS1_3repE0EEES8_NS1_28merge_sort_block_sort_configILj256ELj4ELNS0_20block_sort_algorithmE0EEENS0_14default_configENS1_37merge_sort_block_sort_config_selectorI12hip_bfloat16NS0_10empty_typeEEENS1_38merge_sort_block_merge_config_selectorISE_SF_EEEEvv.num_vgpr, 0
	.set _ZN7rocprim17ROCPRIM_400000_NS6detail44device_merge_sort_compile_time_verifier_archINS1_11comp_targetILNS1_3genE4ELNS1_11target_archE910ELNS1_3gpuE8ELNS1_3repE0EEES8_NS1_28merge_sort_block_sort_configILj256ELj4ELNS0_20block_sort_algorithmE0EEENS0_14default_configENS1_37merge_sort_block_sort_config_selectorI12hip_bfloat16NS0_10empty_typeEEENS1_38merge_sort_block_merge_config_selectorISE_SF_EEEEvv.num_agpr, 0
	.set _ZN7rocprim17ROCPRIM_400000_NS6detail44device_merge_sort_compile_time_verifier_archINS1_11comp_targetILNS1_3genE4ELNS1_11target_archE910ELNS1_3gpuE8ELNS1_3repE0EEES8_NS1_28merge_sort_block_sort_configILj256ELj4ELNS0_20block_sort_algorithmE0EEENS0_14default_configENS1_37merge_sort_block_sort_config_selectorI12hip_bfloat16NS0_10empty_typeEEENS1_38merge_sort_block_merge_config_selectorISE_SF_EEEEvv.numbered_sgpr, 0
	.set _ZN7rocprim17ROCPRIM_400000_NS6detail44device_merge_sort_compile_time_verifier_archINS1_11comp_targetILNS1_3genE4ELNS1_11target_archE910ELNS1_3gpuE8ELNS1_3repE0EEES8_NS1_28merge_sort_block_sort_configILj256ELj4ELNS0_20block_sort_algorithmE0EEENS0_14default_configENS1_37merge_sort_block_sort_config_selectorI12hip_bfloat16NS0_10empty_typeEEENS1_38merge_sort_block_merge_config_selectorISE_SF_EEEEvv.num_named_barrier, 0
	.set _ZN7rocprim17ROCPRIM_400000_NS6detail44device_merge_sort_compile_time_verifier_archINS1_11comp_targetILNS1_3genE4ELNS1_11target_archE910ELNS1_3gpuE8ELNS1_3repE0EEES8_NS1_28merge_sort_block_sort_configILj256ELj4ELNS0_20block_sort_algorithmE0EEENS0_14default_configENS1_37merge_sort_block_sort_config_selectorI12hip_bfloat16NS0_10empty_typeEEENS1_38merge_sort_block_merge_config_selectorISE_SF_EEEEvv.private_seg_size, 0
	.set _ZN7rocprim17ROCPRIM_400000_NS6detail44device_merge_sort_compile_time_verifier_archINS1_11comp_targetILNS1_3genE4ELNS1_11target_archE910ELNS1_3gpuE8ELNS1_3repE0EEES8_NS1_28merge_sort_block_sort_configILj256ELj4ELNS0_20block_sort_algorithmE0EEENS0_14default_configENS1_37merge_sort_block_sort_config_selectorI12hip_bfloat16NS0_10empty_typeEEENS1_38merge_sort_block_merge_config_selectorISE_SF_EEEEvv.uses_vcc, 0
	.set _ZN7rocprim17ROCPRIM_400000_NS6detail44device_merge_sort_compile_time_verifier_archINS1_11comp_targetILNS1_3genE4ELNS1_11target_archE910ELNS1_3gpuE8ELNS1_3repE0EEES8_NS1_28merge_sort_block_sort_configILj256ELj4ELNS0_20block_sort_algorithmE0EEENS0_14default_configENS1_37merge_sort_block_sort_config_selectorI12hip_bfloat16NS0_10empty_typeEEENS1_38merge_sort_block_merge_config_selectorISE_SF_EEEEvv.uses_flat_scratch, 0
	.set _ZN7rocprim17ROCPRIM_400000_NS6detail44device_merge_sort_compile_time_verifier_archINS1_11comp_targetILNS1_3genE4ELNS1_11target_archE910ELNS1_3gpuE8ELNS1_3repE0EEES8_NS1_28merge_sort_block_sort_configILj256ELj4ELNS0_20block_sort_algorithmE0EEENS0_14default_configENS1_37merge_sort_block_sort_config_selectorI12hip_bfloat16NS0_10empty_typeEEENS1_38merge_sort_block_merge_config_selectorISE_SF_EEEEvv.has_dyn_sized_stack, 0
	.set _ZN7rocprim17ROCPRIM_400000_NS6detail44device_merge_sort_compile_time_verifier_archINS1_11comp_targetILNS1_3genE4ELNS1_11target_archE910ELNS1_3gpuE8ELNS1_3repE0EEES8_NS1_28merge_sort_block_sort_configILj256ELj4ELNS0_20block_sort_algorithmE0EEENS0_14default_configENS1_37merge_sort_block_sort_config_selectorI12hip_bfloat16NS0_10empty_typeEEENS1_38merge_sort_block_merge_config_selectorISE_SF_EEEEvv.has_recursion, 0
	.set _ZN7rocprim17ROCPRIM_400000_NS6detail44device_merge_sort_compile_time_verifier_archINS1_11comp_targetILNS1_3genE4ELNS1_11target_archE910ELNS1_3gpuE8ELNS1_3repE0EEES8_NS1_28merge_sort_block_sort_configILj256ELj4ELNS0_20block_sort_algorithmE0EEENS0_14default_configENS1_37merge_sort_block_sort_config_selectorI12hip_bfloat16NS0_10empty_typeEEENS1_38merge_sort_block_merge_config_selectorISE_SF_EEEEvv.has_indirect_call, 0
	.section	.AMDGPU.csdata,"",@progbits
; Kernel info:
; codeLenInByte = 4
; TotalNumSgprs: 0
; NumVgprs: 0
; ScratchSize: 0
; MemoryBound: 0
; FloatMode: 240
; IeeeMode: 1
; LDSByteSize: 0 bytes/workgroup (compile time only)
; SGPRBlocks: 0
; VGPRBlocks: 0
; NumSGPRsForWavesPerEU: 1
; NumVGPRsForWavesPerEU: 1
; NamedBarCnt: 0
; Occupancy: 16
; WaveLimiterHint : 0
; COMPUTE_PGM_RSRC2:SCRATCH_EN: 0
; COMPUTE_PGM_RSRC2:USER_SGPR: 0
; COMPUTE_PGM_RSRC2:TRAP_HANDLER: 0
; COMPUTE_PGM_RSRC2:TGID_X_EN: 1
; COMPUTE_PGM_RSRC2:TGID_Y_EN: 0
; COMPUTE_PGM_RSRC2:TGID_Z_EN: 0
; COMPUTE_PGM_RSRC2:TIDIG_COMP_CNT: 0
	.section	.text._ZN7rocprim17ROCPRIM_400000_NS6detail44device_merge_sort_compile_time_verifier_archINS1_11comp_targetILNS1_3genE3ELNS1_11target_archE908ELNS1_3gpuE7ELNS1_3repE0EEES8_NS1_28merge_sort_block_sort_configILj256ELj4ELNS0_20block_sort_algorithmE0EEENS0_14default_configENS1_37merge_sort_block_sort_config_selectorI12hip_bfloat16NS0_10empty_typeEEENS1_38merge_sort_block_merge_config_selectorISE_SF_EEEEvv,"axG",@progbits,_ZN7rocprim17ROCPRIM_400000_NS6detail44device_merge_sort_compile_time_verifier_archINS1_11comp_targetILNS1_3genE3ELNS1_11target_archE908ELNS1_3gpuE7ELNS1_3repE0EEES8_NS1_28merge_sort_block_sort_configILj256ELj4ELNS0_20block_sort_algorithmE0EEENS0_14default_configENS1_37merge_sort_block_sort_config_selectorI12hip_bfloat16NS0_10empty_typeEEENS1_38merge_sort_block_merge_config_selectorISE_SF_EEEEvv,comdat
	.protected	_ZN7rocprim17ROCPRIM_400000_NS6detail44device_merge_sort_compile_time_verifier_archINS1_11comp_targetILNS1_3genE3ELNS1_11target_archE908ELNS1_3gpuE7ELNS1_3repE0EEES8_NS1_28merge_sort_block_sort_configILj256ELj4ELNS0_20block_sort_algorithmE0EEENS0_14default_configENS1_37merge_sort_block_sort_config_selectorI12hip_bfloat16NS0_10empty_typeEEENS1_38merge_sort_block_merge_config_selectorISE_SF_EEEEvv ; -- Begin function _ZN7rocprim17ROCPRIM_400000_NS6detail44device_merge_sort_compile_time_verifier_archINS1_11comp_targetILNS1_3genE3ELNS1_11target_archE908ELNS1_3gpuE7ELNS1_3repE0EEES8_NS1_28merge_sort_block_sort_configILj256ELj4ELNS0_20block_sort_algorithmE0EEENS0_14default_configENS1_37merge_sort_block_sort_config_selectorI12hip_bfloat16NS0_10empty_typeEEENS1_38merge_sort_block_merge_config_selectorISE_SF_EEEEvv
	.globl	_ZN7rocprim17ROCPRIM_400000_NS6detail44device_merge_sort_compile_time_verifier_archINS1_11comp_targetILNS1_3genE3ELNS1_11target_archE908ELNS1_3gpuE7ELNS1_3repE0EEES8_NS1_28merge_sort_block_sort_configILj256ELj4ELNS0_20block_sort_algorithmE0EEENS0_14default_configENS1_37merge_sort_block_sort_config_selectorI12hip_bfloat16NS0_10empty_typeEEENS1_38merge_sort_block_merge_config_selectorISE_SF_EEEEvv
	.p2align	8
	.type	_ZN7rocprim17ROCPRIM_400000_NS6detail44device_merge_sort_compile_time_verifier_archINS1_11comp_targetILNS1_3genE3ELNS1_11target_archE908ELNS1_3gpuE7ELNS1_3repE0EEES8_NS1_28merge_sort_block_sort_configILj256ELj4ELNS0_20block_sort_algorithmE0EEENS0_14default_configENS1_37merge_sort_block_sort_config_selectorI12hip_bfloat16NS0_10empty_typeEEENS1_38merge_sort_block_merge_config_selectorISE_SF_EEEEvv,@function
_ZN7rocprim17ROCPRIM_400000_NS6detail44device_merge_sort_compile_time_verifier_archINS1_11comp_targetILNS1_3genE3ELNS1_11target_archE908ELNS1_3gpuE7ELNS1_3repE0EEES8_NS1_28merge_sort_block_sort_configILj256ELj4ELNS0_20block_sort_algorithmE0EEENS0_14default_configENS1_37merge_sort_block_sort_config_selectorI12hip_bfloat16NS0_10empty_typeEEENS1_38merge_sort_block_merge_config_selectorISE_SF_EEEEvv: ; @_ZN7rocprim17ROCPRIM_400000_NS6detail44device_merge_sort_compile_time_verifier_archINS1_11comp_targetILNS1_3genE3ELNS1_11target_archE908ELNS1_3gpuE7ELNS1_3repE0EEES8_NS1_28merge_sort_block_sort_configILj256ELj4ELNS0_20block_sort_algorithmE0EEENS0_14default_configENS1_37merge_sort_block_sort_config_selectorI12hip_bfloat16NS0_10empty_typeEEENS1_38merge_sort_block_merge_config_selectorISE_SF_EEEEvv
; %bb.0:
	s_endpgm
	.section	.rodata,"a",@progbits
	.p2align	6, 0x0
	.amdhsa_kernel _ZN7rocprim17ROCPRIM_400000_NS6detail44device_merge_sort_compile_time_verifier_archINS1_11comp_targetILNS1_3genE3ELNS1_11target_archE908ELNS1_3gpuE7ELNS1_3repE0EEES8_NS1_28merge_sort_block_sort_configILj256ELj4ELNS0_20block_sort_algorithmE0EEENS0_14default_configENS1_37merge_sort_block_sort_config_selectorI12hip_bfloat16NS0_10empty_typeEEENS1_38merge_sort_block_merge_config_selectorISE_SF_EEEEvv
		.amdhsa_group_segment_fixed_size 0
		.amdhsa_private_segment_fixed_size 0
		.amdhsa_kernarg_size 0
		.amdhsa_user_sgpr_count 0
		.amdhsa_user_sgpr_dispatch_ptr 0
		.amdhsa_user_sgpr_queue_ptr 0
		.amdhsa_user_sgpr_kernarg_segment_ptr 0
		.amdhsa_user_sgpr_dispatch_id 0
		.amdhsa_user_sgpr_kernarg_preload_length 0
		.amdhsa_user_sgpr_kernarg_preload_offset 0
		.amdhsa_user_sgpr_private_segment_size 0
		.amdhsa_wavefront_size32 1
		.amdhsa_uses_dynamic_stack 0
		.amdhsa_enable_private_segment 0
		.amdhsa_system_sgpr_workgroup_id_x 1
		.amdhsa_system_sgpr_workgroup_id_y 0
		.amdhsa_system_sgpr_workgroup_id_z 0
		.amdhsa_system_sgpr_workgroup_info 0
		.amdhsa_system_vgpr_workitem_id 0
		.amdhsa_next_free_vgpr 1
		.amdhsa_next_free_sgpr 1
		.amdhsa_named_barrier_count 0
		.amdhsa_reserve_vcc 0
		.amdhsa_float_round_mode_32 0
		.amdhsa_float_round_mode_16_64 0
		.amdhsa_float_denorm_mode_32 3
		.amdhsa_float_denorm_mode_16_64 3
		.amdhsa_fp16_overflow 0
		.amdhsa_memory_ordered 1
		.amdhsa_forward_progress 1
		.amdhsa_inst_pref_size 1
		.amdhsa_round_robin_scheduling 0
		.amdhsa_exception_fp_ieee_invalid_op 0
		.amdhsa_exception_fp_denorm_src 0
		.amdhsa_exception_fp_ieee_div_zero 0
		.amdhsa_exception_fp_ieee_overflow 0
		.amdhsa_exception_fp_ieee_underflow 0
		.amdhsa_exception_fp_ieee_inexact 0
		.amdhsa_exception_int_div_zero 0
	.end_amdhsa_kernel
	.section	.text._ZN7rocprim17ROCPRIM_400000_NS6detail44device_merge_sort_compile_time_verifier_archINS1_11comp_targetILNS1_3genE3ELNS1_11target_archE908ELNS1_3gpuE7ELNS1_3repE0EEES8_NS1_28merge_sort_block_sort_configILj256ELj4ELNS0_20block_sort_algorithmE0EEENS0_14default_configENS1_37merge_sort_block_sort_config_selectorI12hip_bfloat16NS0_10empty_typeEEENS1_38merge_sort_block_merge_config_selectorISE_SF_EEEEvv,"axG",@progbits,_ZN7rocprim17ROCPRIM_400000_NS6detail44device_merge_sort_compile_time_verifier_archINS1_11comp_targetILNS1_3genE3ELNS1_11target_archE908ELNS1_3gpuE7ELNS1_3repE0EEES8_NS1_28merge_sort_block_sort_configILj256ELj4ELNS0_20block_sort_algorithmE0EEENS0_14default_configENS1_37merge_sort_block_sort_config_selectorI12hip_bfloat16NS0_10empty_typeEEENS1_38merge_sort_block_merge_config_selectorISE_SF_EEEEvv,comdat
.Lfunc_end1900:
	.size	_ZN7rocprim17ROCPRIM_400000_NS6detail44device_merge_sort_compile_time_verifier_archINS1_11comp_targetILNS1_3genE3ELNS1_11target_archE908ELNS1_3gpuE7ELNS1_3repE0EEES8_NS1_28merge_sort_block_sort_configILj256ELj4ELNS0_20block_sort_algorithmE0EEENS0_14default_configENS1_37merge_sort_block_sort_config_selectorI12hip_bfloat16NS0_10empty_typeEEENS1_38merge_sort_block_merge_config_selectorISE_SF_EEEEvv, .Lfunc_end1900-_ZN7rocprim17ROCPRIM_400000_NS6detail44device_merge_sort_compile_time_verifier_archINS1_11comp_targetILNS1_3genE3ELNS1_11target_archE908ELNS1_3gpuE7ELNS1_3repE0EEES8_NS1_28merge_sort_block_sort_configILj256ELj4ELNS0_20block_sort_algorithmE0EEENS0_14default_configENS1_37merge_sort_block_sort_config_selectorI12hip_bfloat16NS0_10empty_typeEEENS1_38merge_sort_block_merge_config_selectorISE_SF_EEEEvv
                                        ; -- End function
	.set _ZN7rocprim17ROCPRIM_400000_NS6detail44device_merge_sort_compile_time_verifier_archINS1_11comp_targetILNS1_3genE3ELNS1_11target_archE908ELNS1_3gpuE7ELNS1_3repE0EEES8_NS1_28merge_sort_block_sort_configILj256ELj4ELNS0_20block_sort_algorithmE0EEENS0_14default_configENS1_37merge_sort_block_sort_config_selectorI12hip_bfloat16NS0_10empty_typeEEENS1_38merge_sort_block_merge_config_selectorISE_SF_EEEEvv.num_vgpr, 0
	.set _ZN7rocprim17ROCPRIM_400000_NS6detail44device_merge_sort_compile_time_verifier_archINS1_11comp_targetILNS1_3genE3ELNS1_11target_archE908ELNS1_3gpuE7ELNS1_3repE0EEES8_NS1_28merge_sort_block_sort_configILj256ELj4ELNS0_20block_sort_algorithmE0EEENS0_14default_configENS1_37merge_sort_block_sort_config_selectorI12hip_bfloat16NS0_10empty_typeEEENS1_38merge_sort_block_merge_config_selectorISE_SF_EEEEvv.num_agpr, 0
	.set _ZN7rocprim17ROCPRIM_400000_NS6detail44device_merge_sort_compile_time_verifier_archINS1_11comp_targetILNS1_3genE3ELNS1_11target_archE908ELNS1_3gpuE7ELNS1_3repE0EEES8_NS1_28merge_sort_block_sort_configILj256ELj4ELNS0_20block_sort_algorithmE0EEENS0_14default_configENS1_37merge_sort_block_sort_config_selectorI12hip_bfloat16NS0_10empty_typeEEENS1_38merge_sort_block_merge_config_selectorISE_SF_EEEEvv.numbered_sgpr, 0
	.set _ZN7rocprim17ROCPRIM_400000_NS6detail44device_merge_sort_compile_time_verifier_archINS1_11comp_targetILNS1_3genE3ELNS1_11target_archE908ELNS1_3gpuE7ELNS1_3repE0EEES8_NS1_28merge_sort_block_sort_configILj256ELj4ELNS0_20block_sort_algorithmE0EEENS0_14default_configENS1_37merge_sort_block_sort_config_selectorI12hip_bfloat16NS0_10empty_typeEEENS1_38merge_sort_block_merge_config_selectorISE_SF_EEEEvv.num_named_barrier, 0
	.set _ZN7rocprim17ROCPRIM_400000_NS6detail44device_merge_sort_compile_time_verifier_archINS1_11comp_targetILNS1_3genE3ELNS1_11target_archE908ELNS1_3gpuE7ELNS1_3repE0EEES8_NS1_28merge_sort_block_sort_configILj256ELj4ELNS0_20block_sort_algorithmE0EEENS0_14default_configENS1_37merge_sort_block_sort_config_selectorI12hip_bfloat16NS0_10empty_typeEEENS1_38merge_sort_block_merge_config_selectorISE_SF_EEEEvv.private_seg_size, 0
	.set _ZN7rocprim17ROCPRIM_400000_NS6detail44device_merge_sort_compile_time_verifier_archINS1_11comp_targetILNS1_3genE3ELNS1_11target_archE908ELNS1_3gpuE7ELNS1_3repE0EEES8_NS1_28merge_sort_block_sort_configILj256ELj4ELNS0_20block_sort_algorithmE0EEENS0_14default_configENS1_37merge_sort_block_sort_config_selectorI12hip_bfloat16NS0_10empty_typeEEENS1_38merge_sort_block_merge_config_selectorISE_SF_EEEEvv.uses_vcc, 0
	.set _ZN7rocprim17ROCPRIM_400000_NS6detail44device_merge_sort_compile_time_verifier_archINS1_11comp_targetILNS1_3genE3ELNS1_11target_archE908ELNS1_3gpuE7ELNS1_3repE0EEES8_NS1_28merge_sort_block_sort_configILj256ELj4ELNS0_20block_sort_algorithmE0EEENS0_14default_configENS1_37merge_sort_block_sort_config_selectorI12hip_bfloat16NS0_10empty_typeEEENS1_38merge_sort_block_merge_config_selectorISE_SF_EEEEvv.uses_flat_scratch, 0
	.set _ZN7rocprim17ROCPRIM_400000_NS6detail44device_merge_sort_compile_time_verifier_archINS1_11comp_targetILNS1_3genE3ELNS1_11target_archE908ELNS1_3gpuE7ELNS1_3repE0EEES8_NS1_28merge_sort_block_sort_configILj256ELj4ELNS0_20block_sort_algorithmE0EEENS0_14default_configENS1_37merge_sort_block_sort_config_selectorI12hip_bfloat16NS0_10empty_typeEEENS1_38merge_sort_block_merge_config_selectorISE_SF_EEEEvv.has_dyn_sized_stack, 0
	.set _ZN7rocprim17ROCPRIM_400000_NS6detail44device_merge_sort_compile_time_verifier_archINS1_11comp_targetILNS1_3genE3ELNS1_11target_archE908ELNS1_3gpuE7ELNS1_3repE0EEES8_NS1_28merge_sort_block_sort_configILj256ELj4ELNS0_20block_sort_algorithmE0EEENS0_14default_configENS1_37merge_sort_block_sort_config_selectorI12hip_bfloat16NS0_10empty_typeEEENS1_38merge_sort_block_merge_config_selectorISE_SF_EEEEvv.has_recursion, 0
	.set _ZN7rocprim17ROCPRIM_400000_NS6detail44device_merge_sort_compile_time_verifier_archINS1_11comp_targetILNS1_3genE3ELNS1_11target_archE908ELNS1_3gpuE7ELNS1_3repE0EEES8_NS1_28merge_sort_block_sort_configILj256ELj4ELNS0_20block_sort_algorithmE0EEENS0_14default_configENS1_37merge_sort_block_sort_config_selectorI12hip_bfloat16NS0_10empty_typeEEENS1_38merge_sort_block_merge_config_selectorISE_SF_EEEEvv.has_indirect_call, 0
	.section	.AMDGPU.csdata,"",@progbits
; Kernel info:
; codeLenInByte = 4
; TotalNumSgprs: 0
; NumVgprs: 0
; ScratchSize: 0
; MemoryBound: 0
; FloatMode: 240
; IeeeMode: 1
; LDSByteSize: 0 bytes/workgroup (compile time only)
; SGPRBlocks: 0
; VGPRBlocks: 0
; NumSGPRsForWavesPerEU: 1
; NumVGPRsForWavesPerEU: 1
; NamedBarCnt: 0
; Occupancy: 16
; WaveLimiterHint : 0
; COMPUTE_PGM_RSRC2:SCRATCH_EN: 0
; COMPUTE_PGM_RSRC2:USER_SGPR: 0
; COMPUTE_PGM_RSRC2:TRAP_HANDLER: 0
; COMPUTE_PGM_RSRC2:TGID_X_EN: 1
; COMPUTE_PGM_RSRC2:TGID_Y_EN: 0
; COMPUTE_PGM_RSRC2:TGID_Z_EN: 0
; COMPUTE_PGM_RSRC2:TIDIG_COMP_CNT: 0
	.section	.text._ZN7rocprim17ROCPRIM_400000_NS6detail44device_merge_sort_compile_time_verifier_archINS1_11comp_targetILNS1_3genE2ELNS1_11target_archE906ELNS1_3gpuE6ELNS1_3repE0EEES8_NS1_28merge_sort_block_sort_configILj256ELj4ELNS0_20block_sort_algorithmE0EEENS0_14default_configENS1_37merge_sort_block_sort_config_selectorI12hip_bfloat16NS0_10empty_typeEEENS1_38merge_sort_block_merge_config_selectorISE_SF_EEEEvv,"axG",@progbits,_ZN7rocprim17ROCPRIM_400000_NS6detail44device_merge_sort_compile_time_verifier_archINS1_11comp_targetILNS1_3genE2ELNS1_11target_archE906ELNS1_3gpuE6ELNS1_3repE0EEES8_NS1_28merge_sort_block_sort_configILj256ELj4ELNS0_20block_sort_algorithmE0EEENS0_14default_configENS1_37merge_sort_block_sort_config_selectorI12hip_bfloat16NS0_10empty_typeEEENS1_38merge_sort_block_merge_config_selectorISE_SF_EEEEvv,comdat
	.protected	_ZN7rocprim17ROCPRIM_400000_NS6detail44device_merge_sort_compile_time_verifier_archINS1_11comp_targetILNS1_3genE2ELNS1_11target_archE906ELNS1_3gpuE6ELNS1_3repE0EEES8_NS1_28merge_sort_block_sort_configILj256ELj4ELNS0_20block_sort_algorithmE0EEENS0_14default_configENS1_37merge_sort_block_sort_config_selectorI12hip_bfloat16NS0_10empty_typeEEENS1_38merge_sort_block_merge_config_selectorISE_SF_EEEEvv ; -- Begin function _ZN7rocprim17ROCPRIM_400000_NS6detail44device_merge_sort_compile_time_verifier_archINS1_11comp_targetILNS1_3genE2ELNS1_11target_archE906ELNS1_3gpuE6ELNS1_3repE0EEES8_NS1_28merge_sort_block_sort_configILj256ELj4ELNS0_20block_sort_algorithmE0EEENS0_14default_configENS1_37merge_sort_block_sort_config_selectorI12hip_bfloat16NS0_10empty_typeEEENS1_38merge_sort_block_merge_config_selectorISE_SF_EEEEvv
	.globl	_ZN7rocprim17ROCPRIM_400000_NS6detail44device_merge_sort_compile_time_verifier_archINS1_11comp_targetILNS1_3genE2ELNS1_11target_archE906ELNS1_3gpuE6ELNS1_3repE0EEES8_NS1_28merge_sort_block_sort_configILj256ELj4ELNS0_20block_sort_algorithmE0EEENS0_14default_configENS1_37merge_sort_block_sort_config_selectorI12hip_bfloat16NS0_10empty_typeEEENS1_38merge_sort_block_merge_config_selectorISE_SF_EEEEvv
	.p2align	8
	.type	_ZN7rocprim17ROCPRIM_400000_NS6detail44device_merge_sort_compile_time_verifier_archINS1_11comp_targetILNS1_3genE2ELNS1_11target_archE906ELNS1_3gpuE6ELNS1_3repE0EEES8_NS1_28merge_sort_block_sort_configILj256ELj4ELNS0_20block_sort_algorithmE0EEENS0_14default_configENS1_37merge_sort_block_sort_config_selectorI12hip_bfloat16NS0_10empty_typeEEENS1_38merge_sort_block_merge_config_selectorISE_SF_EEEEvv,@function
_ZN7rocprim17ROCPRIM_400000_NS6detail44device_merge_sort_compile_time_verifier_archINS1_11comp_targetILNS1_3genE2ELNS1_11target_archE906ELNS1_3gpuE6ELNS1_3repE0EEES8_NS1_28merge_sort_block_sort_configILj256ELj4ELNS0_20block_sort_algorithmE0EEENS0_14default_configENS1_37merge_sort_block_sort_config_selectorI12hip_bfloat16NS0_10empty_typeEEENS1_38merge_sort_block_merge_config_selectorISE_SF_EEEEvv: ; @_ZN7rocprim17ROCPRIM_400000_NS6detail44device_merge_sort_compile_time_verifier_archINS1_11comp_targetILNS1_3genE2ELNS1_11target_archE906ELNS1_3gpuE6ELNS1_3repE0EEES8_NS1_28merge_sort_block_sort_configILj256ELj4ELNS0_20block_sort_algorithmE0EEENS0_14default_configENS1_37merge_sort_block_sort_config_selectorI12hip_bfloat16NS0_10empty_typeEEENS1_38merge_sort_block_merge_config_selectorISE_SF_EEEEvv
; %bb.0:
	s_endpgm
	.section	.rodata,"a",@progbits
	.p2align	6, 0x0
	.amdhsa_kernel _ZN7rocprim17ROCPRIM_400000_NS6detail44device_merge_sort_compile_time_verifier_archINS1_11comp_targetILNS1_3genE2ELNS1_11target_archE906ELNS1_3gpuE6ELNS1_3repE0EEES8_NS1_28merge_sort_block_sort_configILj256ELj4ELNS0_20block_sort_algorithmE0EEENS0_14default_configENS1_37merge_sort_block_sort_config_selectorI12hip_bfloat16NS0_10empty_typeEEENS1_38merge_sort_block_merge_config_selectorISE_SF_EEEEvv
		.amdhsa_group_segment_fixed_size 0
		.amdhsa_private_segment_fixed_size 0
		.amdhsa_kernarg_size 0
		.amdhsa_user_sgpr_count 0
		.amdhsa_user_sgpr_dispatch_ptr 0
		.amdhsa_user_sgpr_queue_ptr 0
		.amdhsa_user_sgpr_kernarg_segment_ptr 0
		.amdhsa_user_sgpr_dispatch_id 0
		.amdhsa_user_sgpr_kernarg_preload_length 0
		.amdhsa_user_sgpr_kernarg_preload_offset 0
		.amdhsa_user_sgpr_private_segment_size 0
		.amdhsa_wavefront_size32 1
		.amdhsa_uses_dynamic_stack 0
		.amdhsa_enable_private_segment 0
		.amdhsa_system_sgpr_workgroup_id_x 1
		.amdhsa_system_sgpr_workgroup_id_y 0
		.amdhsa_system_sgpr_workgroup_id_z 0
		.amdhsa_system_sgpr_workgroup_info 0
		.amdhsa_system_vgpr_workitem_id 0
		.amdhsa_next_free_vgpr 1
		.amdhsa_next_free_sgpr 1
		.amdhsa_named_barrier_count 0
		.amdhsa_reserve_vcc 0
		.amdhsa_float_round_mode_32 0
		.amdhsa_float_round_mode_16_64 0
		.amdhsa_float_denorm_mode_32 3
		.amdhsa_float_denorm_mode_16_64 3
		.amdhsa_fp16_overflow 0
		.amdhsa_memory_ordered 1
		.amdhsa_forward_progress 1
		.amdhsa_inst_pref_size 1
		.amdhsa_round_robin_scheduling 0
		.amdhsa_exception_fp_ieee_invalid_op 0
		.amdhsa_exception_fp_denorm_src 0
		.amdhsa_exception_fp_ieee_div_zero 0
		.amdhsa_exception_fp_ieee_overflow 0
		.amdhsa_exception_fp_ieee_underflow 0
		.amdhsa_exception_fp_ieee_inexact 0
		.amdhsa_exception_int_div_zero 0
	.end_amdhsa_kernel
	.section	.text._ZN7rocprim17ROCPRIM_400000_NS6detail44device_merge_sort_compile_time_verifier_archINS1_11comp_targetILNS1_3genE2ELNS1_11target_archE906ELNS1_3gpuE6ELNS1_3repE0EEES8_NS1_28merge_sort_block_sort_configILj256ELj4ELNS0_20block_sort_algorithmE0EEENS0_14default_configENS1_37merge_sort_block_sort_config_selectorI12hip_bfloat16NS0_10empty_typeEEENS1_38merge_sort_block_merge_config_selectorISE_SF_EEEEvv,"axG",@progbits,_ZN7rocprim17ROCPRIM_400000_NS6detail44device_merge_sort_compile_time_verifier_archINS1_11comp_targetILNS1_3genE2ELNS1_11target_archE906ELNS1_3gpuE6ELNS1_3repE0EEES8_NS1_28merge_sort_block_sort_configILj256ELj4ELNS0_20block_sort_algorithmE0EEENS0_14default_configENS1_37merge_sort_block_sort_config_selectorI12hip_bfloat16NS0_10empty_typeEEENS1_38merge_sort_block_merge_config_selectorISE_SF_EEEEvv,comdat
.Lfunc_end1901:
	.size	_ZN7rocprim17ROCPRIM_400000_NS6detail44device_merge_sort_compile_time_verifier_archINS1_11comp_targetILNS1_3genE2ELNS1_11target_archE906ELNS1_3gpuE6ELNS1_3repE0EEES8_NS1_28merge_sort_block_sort_configILj256ELj4ELNS0_20block_sort_algorithmE0EEENS0_14default_configENS1_37merge_sort_block_sort_config_selectorI12hip_bfloat16NS0_10empty_typeEEENS1_38merge_sort_block_merge_config_selectorISE_SF_EEEEvv, .Lfunc_end1901-_ZN7rocprim17ROCPRIM_400000_NS6detail44device_merge_sort_compile_time_verifier_archINS1_11comp_targetILNS1_3genE2ELNS1_11target_archE906ELNS1_3gpuE6ELNS1_3repE0EEES8_NS1_28merge_sort_block_sort_configILj256ELj4ELNS0_20block_sort_algorithmE0EEENS0_14default_configENS1_37merge_sort_block_sort_config_selectorI12hip_bfloat16NS0_10empty_typeEEENS1_38merge_sort_block_merge_config_selectorISE_SF_EEEEvv
                                        ; -- End function
	.set _ZN7rocprim17ROCPRIM_400000_NS6detail44device_merge_sort_compile_time_verifier_archINS1_11comp_targetILNS1_3genE2ELNS1_11target_archE906ELNS1_3gpuE6ELNS1_3repE0EEES8_NS1_28merge_sort_block_sort_configILj256ELj4ELNS0_20block_sort_algorithmE0EEENS0_14default_configENS1_37merge_sort_block_sort_config_selectorI12hip_bfloat16NS0_10empty_typeEEENS1_38merge_sort_block_merge_config_selectorISE_SF_EEEEvv.num_vgpr, 0
	.set _ZN7rocprim17ROCPRIM_400000_NS6detail44device_merge_sort_compile_time_verifier_archINS1_11comp_targetILNS1_3genE2ELNS1_11target_archE906ELNS1_3gpuE6ELNS1_3repE0EEES8_NS1_28merge_sort_block_sort_configILj256ELj4ELNS0_20block_sort_algorithmE0EEENS0_14default_configENS1_37merge_sort_block_sort_config_selectorI12hip_bfloat16NS0_10empty_typeEEENS1_38merge_sort_block_merge_config_selectorISE_SF_EEEEvv.num_agpr, 0
	.set _ZN7rocprim17ROCPRIM_400000_NS6detail44device_merge_sort_compile_time_verifier_archINS1_11comp_targetILNS1_3genE2ELNS1_11target_archE906ELNS1_3gpuE6ELNS1_3repE0EEES8_NS1_28merge_sort_block_sort_configILj256ELj4ELNS0_20block_sort_algorithmE0EEENS0_14default_configENS1_37merge_sort_block_sort_config_selectorI12hip_bfloat16NS0_10empty_typeEEENS1_38merge_sort_block_merge_config_selectorISE_SF_EEEEvv.numbered_sgpr, 0
	.set _ZN7rocprim17ROCPRIM_400000_NS6detail44device_merge_sort_compile_time_verifier_archINS1_11comp_targetILNS1_3genE2ELNS1_11target_archE906ELNS1_3gpuE6ELNS1_3repE0EEES8_NS1_28merge_sort_block_sort_configILj256ELj4ELNS0_20block_sort_algorithmE0EEENS0_14default_configENS1_37merge_sort_block_sort_config_selectorI12hip_bfloat16NS0_10empty_typeEEENS1_38merge_sort_block_merge_config_selectorISE_SF_EEEEvv.num_named_barrier, 0
	.set _ZN7rocprim17ROCPRIM_400000_NS6detail44device_merge_sort_compile_time_verifier_archINS1_11comp_targetILNS1_3genE2ELNS1_11target_archE906ELNS1_3gpuE6ELNS1_3repE0EEES8_NS1_28merge_sort_block_sort_configILj256ELj4ELNS0_20block_sort_algorithmE0EEENS0_14default_configENS1_37merge_sort_block_sort_config_selectorI12hip_bfloat16NS0_10empty_typeEEENS1_38merge_sort_block_merge_config_selectorISE_SF_EEEEvv.private_seg_size, 0
	.set _ZN7rocprim17ROCPRIM_400000_NS6detail44device_merge_sort_compile_time_verifier_archINS1_11comp_targetILNS1_3genE2ELNS1_11target_archE906ELNS1_3gpuE6ELNS1_3repE0EEES8_NS1_28merge_sort_block_sort_configILj256ELj4ELNS0_20block_sort_algorithmE0EEENS0_14default_configENS1_37merge_sort_block_sort_config_selectorI12hip_bfloat16NS0_10empty_typeEEENS1_38merge_sort_block_merge_config_selectorISE_SF_EEEEvv.uses_vcc, 0
	.set _ZN7rocprim17ROCPRIM_400000_NS6detail44device_merge_sort_compile_time_verifier_archINS1_11comp_targetILNS1_3genE2ELNS1_11target_archE906ELNS1_3gpuE6ELNS1_3repE0EEES8_NS1_28merge_sort_block_sort_configILj256ELj4ELNS0_20block_sort_algorithmE0EEENS0_14default_configENS1_37merge_sort_block_sort_config_selectorI12hip_bfloat16NS0_10empty_typeEEENS1_38merge_sort_block_merge_config_selectorISE_SF_EEEEvv.uses_flat_scratch, 0
	.set _ZN7rocprim17ROCPRIM_400000_NS6detail44device_merge_sort_compile_time_verifier_archINS1_11comp_targetILNS1_3genE2ELNS1_11target_archE906ELNS1_3gpuE6ELNS1_3repE0EEES8_NS1_28merge_sort_block_sort_configILj256ELj4ELNS0_20block_sort_algorithmE0EEENS0_14default_configENS1_37merge_sort_block_sort_config_selectorI12hip_bfloat16NS0_10empty_typeEEENS1_38merge_sort_block_merge_config_selectorISE_SF_EEEEvv.has_dyn_sized_stack, 0
	.set _ZN7rocprim17ROCPRIM_400000_NS6detail44device_merge_sort_compile_time_verifier_archINS1_11comp_targetILNS1_3genE2ELNS1_11target_archE906ELNS1_3gpuE6ELNS1_3repE0EEES8_NS1_28merge_sort_block_sort_configILj256ELj4ELNS0_20block_sort_algorithmE0EEENS0_14default_configENS1_37merge_sort_block_sort_config_selectorI12hip_bfloat16NS0_10empty_typeEEENS1_38merge_sort_block_merge_config_selectorISE_SF_EEEEvv.has_recursion, 0
	.set _ZN7rocprim17ROCPRIM_400000_NS6detail44device_merge_sort_compile_time_verifier_archINS1_11comp_targetILNS1_3genE2ELNS1_11target_archE906ELNS1_3gpuE6ELNS1_3repE0EEES8_NS1_28merge_sort_block_sort_configILj256ELj4ELNS0_20block_sort_algorithmE0EEENS0_14default_configENS1_37merge_sort_block_sort_config_selectorI12hip_bfloat16NS0_10empty_typeEEENS1_38merge_sort_block_merge_config_selectorISE_SF_EEEEvv.has_indirect_call, 0
	.section	.AMDGPU.csdata,"",@progbits
; Kernel info:
; codeLenInByte = 4
; TotalNumSgprs: 0
; NumVgprs: 0
; ScratchSize: 0
; MemoryBound: 0
; FloatMode: 240
; IeeeMode: 1
; LDSByteSize: 0 bytes/workgroup (compile time only)
; SGPRBlocks: 0
; VGPRBlocks: 0
; NumSGPRsForWavesPerEU: 1
; NumVGPRsForWavesPerEU: 1
; NamedBarCnt: 0
; Occupancy: 16
; WaveLimiterHint : 0
; COMPUTE_PGM_RSRC2:SCRATCH_EN: 0
; COMPUTE_PGM_RSRC2:USER_SGPR: 0
; COMPUTE_PGM_RSRC2:TRAP_HANDLER: 0
; COMPUTE_PGM_RSRC2:TGID_X_EN: 1
; COMPUTE_PGM_RSRC2:TGID_Y_EN: 0
; COMPUTE_PGM_RSRC2:TGID_Z_EN: 0
; COMPUTE_PGM_RSRC2:TIDIG_COMP_CNT: 0
	.section	.text._ZN7rocprim17ROCPRIM_400000_NS6detail44device_merge_sort_compile_time_verifier_archINS1_11comp_targetILNS1_3genE10ELNS1_11target_archE1201ELNS1_3gpuE5ELNS1_3repE0EEES8_NS1_28merge_sort_block_sort_configILj256ELj4ELNS0_20block_sort_algorithmE0EEENS0_14default_configENS1_37merge_sort_block_sort_config_selectorI12hip_bfloat16NS0_10empty_typeEEENS1_38merge_sort_block_merge_config_selectorISE_SF_EEEEvv,"axG",@progbits,_ZN7rocprim17ROCPRIM_400000_NS6detail44device_merge_sort_compile_time_verifier_archINS1_11comp_targetILNS1_3genE10ELNS1_11target_archE1201ELNS1_3gpuE5ELNS1_3repE0EEES8_NS1_28merge_sort_block_sort_configILj256ELj4ELNS0_20block_sort_algorithmE0EEENS0_14default_configENS1_37merge_sort_block_sort_config_selectorI12hip_bfloat16NS0_10empty_typeEEENS1_38merge_sort_block_merge_config_selectorISE_SF_EEEEvv,comdat
	.protected	_ZN7rocprim17ROCPRIM_400000_NS6detail44device_merge_sort_compile_time_verifier_archINS1_11comp_targetILNS1_3genE10ELNS1_11target_archE1201ELNS1_3gpuE5ELNS1_3repE0EEES8_NS1_28merge_sort_block_sort_configILj256ELj4ELNS0_20block_sort_algorithmE0EEENS0_14default_configENS1_37merge_sort_block_sort_config_selectorI12hip_bfloat16NS0_10empty_typeEEENS1_38merge_sort_block_merge_config_selectorISE_SF_EEEEvv ; -- Begin function _ZN7rocprim17ROCPRIM_400000_NS6detail44device_merge_sort_compile_time_verifier_archINS1_11comp_targetILNS1_3genE10ELNS1_11target_archE1201ELNS1_3gpuE5ELNS1_3repE0EEES8_NS1_28merge_sort_block_sort_configILj256ELj4ELNS0_20block_sort_algorithmE0EEENS0_14default_configENS1_37merge_sort_block_sort_config_selectorI12hip_bfloat16NS0_10empty_typeEEENS1_38merge_sort_block_merge_config_selectorISE_SF_EEEEvv
	.globl	_ZN7rocprim17ROCPRIM_400000_NS6detail44device_merge_sort_compile_time_verifier_archINS1_11comp_targetILNS1_3genE10ELNS1_11target_archE1201ELNS1_3gpuE5ELNS1_3repE0EEES8_NS1_28merge_sort_block_sort_configILj256ELj4ELNS0_20block_sort_algorithmE0EEENS0_14default_configENS1_37merge_sort_block_sort_config_selectorI12hip_bfloat16NS0_10empty_typeEEENS1_38merge_sort_block_merge_config_selectorISE_SF_EEEEvv
	.p2align	8
	.type	_ZN7rocprim17ROCPRIM_400000_NS6detail44device_merge_sort_compile_time_verifier_archINS1_11comp_targetILNS1_3genE10ELNS1_11target_archE1201ELNS1_3gpuE5ELNS1_3repE0EEES8_NS1_28merge_sort_block_sort_configILj256ELj4ELNS0_20block_sort_algorithmE0EEENS0_14default_configENS1_37merge_sort_block_sort_config_selectorI12hip_bfloat16NS0_10empty_typeEEENS1_38merge_sort_block_merge_config_selectorISE_SF_EEEEvv,@function
_ZN7rocprim17ROCPRIM_400000_NS6detail44device_merge_sort_compile_time_verifier_archINS1_11comp_targetILNS1_3genE10ELNS1_11target_archE1201ELNS1_3gpuE5ELNS1_3repE0EEES8_NS1_28merge_sort_block_sort_configILj256ELj4ELNS0_20block_sort_algorithmE0EEENS0_14default_configENS1_37merge_sort_block_sort_config_selectorI12hip_bfloat16NS0_10empty_typeEEENS1_38merge_sort_block_merge_config_selectorISE_SF_EEEEvv: ; @_ZN7rocprim17ROCPRIM_400000_NS6detail44device_merge_sort_compile_time_verifier_archINS1_11comp_targetILNS1_3genE10ELNS1_11target_archE1201ELNS1_3gpuE5ELNS1_3repE0EEES8_NS1_28merge_sort_block_sort_configILj256ELj4ELNS0_20block_sort_algorithmE0EEENS0_14default_configENS1_37merge_sort_block_sort_config_selectorI12hip_bfloat16NS0_10empty_typeEEENS1_38merge_sort_block_merge_config_selectorISE_SF_EEEEvv
; %bb.0:
	s_endpgm
	.section	.rodata,"a",@progbits
	.p2align	6, 0x0
	.amdhsa_kernel _ZN7rocprim17ROCPRIM_400000_NS6detail44device_merge_sort_compile_time_verifier_archINS1_11comp_targetILNS1_3genE10ELNS1_11target_archE1201ELNS1_3gpuE5ELNS1_3repE0EEES8_NS1_28merge_sort_block_sort_configILj256ELj4ELNS0_20block_sort_algorithmE0EEENS0_14default_configENS1_37merge_sort_block_sort_config_selectorI12hip_bfloat16NS0_10empty_typeEEENS1_38merge_sort_block_merge_config_selectorISE_SF_EEEEvv
		.amdhsa_group_segment_fixed_size 0
		.amdhsa_private_segment_fixed_size 0
		.amdhsa_kernarg_size 0
		.amdhsa_user_sgpr_count 0
		.amdhsa_user_sgpr_dispatch_ptr 0
		.amdhsa_user_sgpr_queue_ptr 0
		.amdhsa_user_sgpr_kernarg_segment_ptr 0
		.amdhsa_user_sgpr_dispatch_id 0
		.amdhsa_user_sgpr_kernarg_preload_length 0
		.amdhsa_user_sgpr_kernarg_preload_offset 0
		.amdhsa_user_sgpr_private_segment_size 0
		.amdhsa_wavefront_size32 1
		.amdhsa_uses_dynamic_stack 0
		.amdhsa_enable_private_segment 0
		.amdhsa_system_sgpr_workgroup_id_x 1
		.amdhsa_system_sgpr_workgroup_id_y 0
		.amdhsa_system_sgpr_workgroup_id_z 0
		.amdhsa_system_sgpr_workgroup_info 0
		.amdhsa_system_vgpr_workitem_id 0
		.amdhsa_next_free_vgpr 1
		.amdhsa_next_free_sgpr 1
		.amdhsa_named_barrier_count 0
		.amdhsa_reserve_vcc 0
		.amdhsa_float_round_mode_32 0
		.amdhsa_float_round_mode_16_64 0
		.amdhsa_float_denorm_mode_32 3
		.amdhsa_float_denorm_mode_16_64 3
		.amdhsa_fp16_overflow 0
		.amdhsa_memory_ordered 1
		.amdhsa_forward_progress 1
		.amdhsa_inst_pref_size 1
		.amdhsa_round_robin_scheduling 0
		.amdhsa_exception_fp_ieee_invalid_op 0
		.amdhsa_exception_fp_denorm_src 0
		.amdhsa_exception_fp_ieee_div_zero 0
		.amdhsa_exception_fp_ieee_overflow 0
		.amdhsa_exception_fp_ieee_underflow 0
		.amdhsa_exception_fp_ieee_inexact 0
		.amdhsa_exception_int_div_zero 0
	.end_amdhsa_kernel
	.section	.text._ZN7rocprim17ROCPRIM_400000_NS6detail44device_merge_sort_compile_time_verifier_archINS1_11comp_targetILNS1_3genE10ELNS1_11target_archE1201ELNS1_3gpuE5ELNS1_3repE0EEES8_NS1_28merge_sort_block_sort_configILj256ELj4ELNS0_20block_sort_algorithmE0EEENS0_14default_configENS1_37merge_sort_block_sort_config_selectorI12hip_bfloat16NS0_10empty_typeEEENS1_38merge_sort_block_merge_config_selectorISE_SF_EEEEvv,"axG",@progbits,_ZN7rocprim17ROCPRIM_400000_NS6detail44device_merge_sort_compile_time_verifier_archINS1_11comp_targetILNS1_3genE10ELNS1_11target_archE1201ELNS1_3gpuE5ELNS1_3repE0EEES8_NS1_28merge_sort_block_sort_configILj256ELj4ELNS0_20block_sort_algorithmE0EEENS0_14default_configENS1_37merge_sort_block_sort_config_selectorI12hip_bfloat16NS0_10empty_typeEEENS1_38merge_sort_block_merge_config_selectorISE_SF_EEEEvv,comdat
.Lfunc_end1902:
	.size	_ZN7rocprim17ROCPRIM_400000_NS6detail44device_merge_sort_compile_time_verifier_archINS1_11comp_targetILNS1_3genE10ELNS1_11target_archE1201ELNS1_3gpuE5ELNS1_3repE0EEES8_NS1_28merge_sort_block_sort_configILj256ELj4ELNS0_20block_sort_algorithmE0EEENS0_14default_configENS1_37merge_sort_block_sort_config_selectorI12hip_bfloat16NS0_10empty_typeEEENS1_38merge_sort_block_merge_config_selectorISE_SF_EEEEvv, .Lfunc_end1902-_ZN7rocprim17ROCPRIM_400000_NS6detail44device_merge_sort_compile_time_verifier_archINS1_11comp_targetILNS1_3genE10ELNS1_11target_archE1201ELNS1_3gpuE5ELNS1_3repE0EEES8_NS1_28merge_sort_block_sort_configILj256ELj4ELNS0_20block_sort_algorithmE0EEENS0_14default_configENS1_37merge_sort_block_sort_config_selectorI12hip_bfloat16NS0_10empty_typeEEENS1_38merge_sort_block_merge_config_selectorISE_SF_EEEEvv
                                        ; -- End function
	.set _ZN7rocprim17ROCPRIM_400000_NS6detail44device_merge_sort_compile_time_verifier_archINS1_11comp_targetILNS1_3genE10ELNS1_11target_archE1201ELNS1_3gpuE5ELNS1_3repE0EEES8_NS1_28merge_sort_block_sort_configILj256ELj4ELNS0_20block_sort_algorithmE0EEENS0_14default_configENS1_37merge_sort_block_sort_config_selectorI12hip_bfloat16NS0_10empty_typeEEENS1_38merge_sort_block_merge_config_selectorISE_SF_EEEEvv.num_vgpr, 0
	.set _ZN7rocprim17ROCPRIM_400000_NS6detail44device_merge_sort_compile_time_verifier_archINS1_11comp_targetILNS1_3genE10ELNS1_11target_archE1201ELNS1_3gpuE5ELNS1_3repE0EEES8_NS1_28merge_sort_block_sort_configILj256ELj4ELNS0_20block_sort_algorithmE0EEENS0_14default_configENS1_37merge_sort_block_sort_config_selectorI12hip_bfloat16NS0_10empty_typeEEENS1_38merge_sort_block_merge_config_selectorISE_SF_EEEEvv.num_agpr, 0
	.set _ZN7rocprim17ROCPRIM_400000_NS6detail44device_merge_sort_compile_time_verifier_archINS1_11comp_targetILNS1_3genE10ELNS1_11target_archE1201ELNS1_3gpuE5ELNS1_3repE0EEES8_NS1_28merge_sort_block_sort_configILj256ELj4ELNS0_20block_sort_algorithmE0EEENS0_14default_configENS1_37merge_sort_block_sort_config_selectorI12hip_bfloat16NS0_10empty_typeEEENS1_38merge_sort_block_merge_config_selectorISE_SF_EEEEvv.numbered_sgpr, 0
	.set _ZN7rocprim17ROCPRIM_400000_NS6detail44device_merge_sort_compile_time_verifier_archINS1_11comp_targetILNS1_3genE10ELNS1_11target_archE1201ELNS1_3gpuE5ELNS1_3repE0EEES8_NS1_28merge_sort_block_sort_configILj256ELj4ELNS0_20block_sort_algorithmE0EEENS0_14default_configENS1_37merge_sort_block_sort_config_selectorI12hip_bfloat16NS0_10empty_typeEEENS1_38merge_sort_block_merge_config_selectorISE_SF_EEEEvv.num_named_barrier, 0
	.set _ZN7rocprim17ROCPRIM_400000_NS6detail44device_merge_sort_compile_time_verifier_archINS1_11comp_targetILNS1_3genE10ELNS1_11target_archE1201ELNS1_3gpuE5ELNS1_3repE0EEES8_NS1_28merge_sort_block_sort_configILj256ELj4ELNS0_20block_sort_algorithmE0EEENS0_14default_configENS1_37merge_sort_block_sort_config_selectorI12hip_bfloat16NS0_10empty_typeEEENS1_38merge_sort_block_merge_config_selectorISE_SF_EEEEvv.private_seg_size, 0
	.set _ZN7rocprim17ROCPRIM_400000_NS6detail44device_merge_sort_compile_time_verifier_archINS1_11comp_targetILNS1_3genE10ELNS1_11target_archE1201ELNS1_3gpuE5ELNS1_3repE0EEES8_NS1_28merge_sort_block_sort_configILj256ELj4ELNS0_20block_sort_algorithmE0EEENS0_14default_configENS1_37merge_sort_block_sort_config_selectorI12hip_bfloat16NS0_10empty_typeEEENS1_38merge_sort_block_merge_config_selectorISE_SF_EEEEvv.uses_vcc, 0
	.set _ZN7rocprim17ROCPRIM_400000_NS6detail44device_merge_sort_compile_time_verifier_archINS1_11comp_targetILNS1_3genE10ELNS1_11target_archE1201ELNS1_3gpuE5ELNS1_3repE0EEES8_NS1_28merge_sort_block_sort_configILj256ELj4ELNS0_20block_sort_algorithmE0EEENS0_14default_configENS1_37merge_sort_block_sort_config_selectorI12hip_bfloat16NS0_10empty_typeEEENS1_38merge_sort_block_merge_config_selectorISE_SF_EEEEvv.uses_flat_scratch, 0
	.set _ZN7rocprim17ROCPRIM_400000_NS6detail44device_merge_sort_compile_time_verifier_archINS1_11comp_targetILNS1_3genE10ELNS1_11target_archE1201ELNS1_3gpuE5ELNS1_3repE0EEES8_NS1_28merge_sort_block_sort_configILj256ELj4ELNS0_20block_sort_algorithmE0EEENS0_14default_configENS1_37merge_sort_block_sort_config_selectorI12hip_bfloat16NS0_10empty_typeEEENS1_38merge_sort_block_merge_config_selectorISE_SF_EEEEvv.has_dyn_sized_stack, 0
	.set _ZN7rocprim17ROCPRIM_400000_NS6detail44device_merge_sort_compile_time_verifier_archINS1_11comp_targetILNS1_3genE10ELNS1_11target_archE1201ELNS1_3gpuE5ELNS1_3repE0EEES8_NS1_28merge_sort_block_sort_configILj256ELj4ELNS0_20block_sort_algorithmE0EEENS0_14default_configENS1_37merge_sort_block_sort_config_selectorI12hip_bfloat16NS0_10empty_typeEEENS1_38merge_sort_block_merge_config_selectorISE_SF_EEEEvv.has_recursion, 0
	.set _ZN7rocprim17ROCPRIM_400000_NS6detail44device_merge_sort_compile_time_verifier_archINS1_11comp_targetILNS1_3genE10ELNS1_11target_archE1201ELNS1_3gpuE5ELNS1_3repE0EEES8_NS1_28merge_sort_block_sort_configILj256ELj4ELNS0_20block_sort_algorithmE0EEENS0_14default_configENS1_37merge_sort_block_sort_config_selectorI12hip_bfloat16NS0_10empty_typeEEENS1_38merge_sort_block_merge_config_selectorISE_SF_EEEEvv.has_indirect_call, 0
	.section	.AMDGPU.csdata,"",@progbits
; Kernel info:
; codeLenInByte = 4
; TotalNumSgprs: 0
; NumVgprs: 0
; ScratchSize: 0
; MemoryBound: 0
; FloatMode: 240
; IeeeMode: 1
; LDSByteSize: 0 bytes/workgroup (compile time only)
; SGPRBlocks: 0
; VGPRBlocks: 0
; NumSGPRsForWavesPerEU: 1
; NumVGPRsForWavesPerEU: 1
; NamedBarCnt: 0
; Occupancy: 16
; WaveLimiterHint : 0
; COMPUTE_PGM_RSRC2:SCRATCH_EN: 0
; COMPUTE_PGM_RSRC2:USER_SGPR: 0
; COMPUTE_PGM_RSRC2:TRAP_HANDLER: 0
; COMPUTE_PGM_RSRC2:TGID_X_EN: 1
; COMPUTE_PGM_RSRC2:TGID_Y_EN: 0
; COMPUTE_PGM_RSRC2:TGID_Z_EN: 0
; COMPUTE_PGM_RSRC2:TIDIG_COMP_CNT: 0
	.section	.text._ZN7rocprim17ROCPRIM_400000_NS6detail44device_merge_sort_compile_time_verifier_archINS1_11comp_targetILNS1_3genE10ELNS1_11target_archE1200ELNS1_3gpuE4ELNS1_3repE0EEENS3_ILS4_10ELS5_1201ELS6_5ELS7_0EEENS1_28merge_sort_block_sort_configILj256ELj4ELNS0_20block_sort_algorithmE0EEENS0_14default_configENS1_37merge_sort_block_sort_config_selectorI12hip_bfloat16NS0_10empty_typeEEENS1_38merge_sort_block_merge_config_selectorISF_SG_EEEEvv,"axG",@progbits,_ZN7rocprim17ROCPRIM_400000_NS6detail44device_merge_sort_compile_time_verifier_archINS1_11comp_targetILNS1_3genE10ELNS1_11target_archE1200ELNS1_3gpuE4ELNS1_3repE0EEENS3_ILS4_10ELS5_1201ELS6_5ELS7_0EEENS1_28merge_sort_block_sort_configILj256ELj4ELNS0_20block_sort_algorithmE0EEENS0_14default_configENS1_37merge_sort_block_sort_config_selectorI12hip_bfloat16NS0_10empty_typeEEENS1_38merge_sort_block_merge_config_selectorISF_SG_EEEEvv,comdat
	.protected	_ZN7rocprim17ROCPRIM_400000_NS6detail44device_merge_sort_compile_time_verifier_archINS1_11comp_targetILNS1_3genE10ELNS1_11target_archE1200ELNS1_3gpuE4ELNS1_3repE0EEENS3_ILS4_10ELS5_1201ELS6_5ELS7_0EEENS1_28merge_sort_block_sort_configILj256ELj4ELNS0_20block_sort_algorithmE0EEENS0_14default_configENS1_37merge_sort_block_sort_config_selectorI12hip_bfloat16NS0_10empty_typeEEENS1_38merge_sort_block_merge_config_selectorISF_SG_EEEEvv ; -- Begin function _ZN7rocprim17ROCPRIM_400000_NS6detail44device_merge_sort_compile_time_verifier_archINS1_11comp_targetILNS1_3genE10ELNS1_11target_archE1200ELNS1_3gpuE4ELNS1_3repE0EEENS3_ILS4_10ELS5_1201ELS6_5ELS7_0EEENS1_28merge_sort_block_sort_configILj256ELj4ELNS0_20block_sort_algorithmE0EEENS0_14default_configENS1_37merge_sort_block_sort_config_selectorI12hip_bfloat16NS0_10empty_typeEEENS1_38merge_sort_block_merge_config_selectorISF_SG_EEEEvv
	.globl	_ZN7rocprim17ROCPRIM_400000_NS6detail44device_merge_sort_compile_time_verifier_archINS1_11comp_targetILNS1_3genE10ELNS1_11target_archE1200ELNS1_3gpuE4ELNS1_3repE0EEENS3_ILS4_10ELS5_1201ELS6_5ELS7_0EEENS1_28merge_sort_block_sort_configILj256ELj4ELNS0_20block_sort_algorithmE0EEENS0_14default_configENS1_37merge_sort_block_sort_config_selectorI12hip_bfloat16NS0_10empty_typeEEENS1_38merge_sort_block_merge_config_selectorISF_SG_EEEEvv
	.p2align	8
	.type	_ZN7rocprim17ROCPRIM_400000_NS6detail44device_merge_sort_compile_time_verifier_archINS1_11comp_targetILNS1_3genE10ELNS1_11target_archE1200ELNS1_3gpuE4ELNS1_3repE0EEENS3_ILS4_10ELS5_1201ELS6_5ELS7_0EEENS1_28merge_sort_block_sort_configILj256ELj4ELNS0_20block_sort_algorithmE0EEENS0_14default_configENS1_37merge_sort_block_sort_config_selectorI12hip_bfloat16NS0_10empty_typeEEENS1_38merge_sort_block_merge_config_selectorISF_SG_EEEEvv,@function
_ZN7rocprim17ROCPRIM_400000_NS6detail44device_merge_sort_compile_time_verifier_archINS1_11comp_targetILNS1_3genE10ELNS1_11target_archE1200ELNS1_3gpuE4ELNS1_3repE0EEENS3_ILS4_10ELS5_1201ELS6_5ELS7_0EEENS1_28merge_sort_block_sort_configILj256ELj4ELNS0_20block_sort_algorithmE0EEENS0_14default_configENS1_37merge_sort_block_sort_config_selectorI12hip_bfloat16NS0_10empty_typeEEENS1_38merge_sort_block_merge_config_selectorISF_SG_EEEEvv: ; @_ZN7rocprim17ROCPRIM_400000_NS6detail44device_merge_sort_compile_time_verifier_archINS1_11comp_targetILNS1_3genE10ELNS1_11target_archE1200ELNS1_3gpuE4ELNS1_3repE0EEENS3_ILS4_10ELS5_1201ELS6_5ELS7_0EEENS1_28merge_sort_block_sort_configILj256ELj4ELNS0_20block_sort_algorithmE0EEENS0_14default_configENS1_37merge_sort_block_sort_config_selectorI12hip_bfloat16NS0_10empty_typeEEENS1_38merge_sort_block_merge_config_selectorISF_SG_EEEEvv
; %bb.0:
	s_endpgm
	.section	.rodata,"a",@progbits
	.p2align	6, 0x0
	.amdhsa_kernel _ZN7rocprim17ROCPRIM_400000_NS6detail44device_merge_sort_compile_time_verifier_archINS1_11comp_targetILNS1_3genE10ELNS1_11target_archE1200ELNS1_3gpuE4ELNS1_3repE0EEENS3_ILS4_10ELS5_1201ELS6_5ELS7_0EEENS1_28merge_sort_block_sort_configILj256ELj4ELNS0_20block_sort_algorithmE0EEENS0_14default_configENS1_37merge_sort_block_sort_config_selectorI12hip_bfloat16NS0_10empty_typeEEENS1_38merge_sort_block_merge_config_selectorISF_SG_EEEEvv
		.amdhsa_group_segment_fixed_size 0
		.amdhsa_private_segment_fixed_size 0
		.amdhsa_kernarg_size 0
		.amdhsa_user_sgpr_count 0
		.amdhsa_user_sgpr_dispatch_ptr 0
		.amdhsa_user_sgpr_queue_ptr 0
		.amdhsa_user_sgpr_kernarg_segment_ptr 0
		.amdhsa_user_sgpr_dispatch_id 0
		.amdhsa_user_sgpr_kernarg_preload_length 0
		.amdhsa_user_sgpr_kernarg_preload_offset 0
		.amdhsa_user_sgpr_private_segment_size 0
		.amdhsa_wavefront_size32 1
		.amdhsa_uses_dynamic_stack 0
		.amdhsa_enable_private_segment 0
		.amdhsa_system_sgpr_workgroup_id_x 1
		.amdhsa_system_sgpr_workgroup_id_y 0
		.amdhsa_system_sgpr_workgroup_id_z 0
		.amdhsa_system_sgpr_workgroup_info 0
		.amdhsa_system_vgpr_workitem_id 0
		.amdhsa_next_free_vgpr 1
		.amdhsa_next_free_sgpr 1
		.amdhsa_named_barrier_count 0
		.amdhsa_reserve_vcc 0
		.amdhsa_float_round_mode_32 0
		.amdhsa_float_round_mode_16_64 0
		.amdhsa_float_denorm_mode_32 3
		.amdhsa_float_denorm_mode_16_64 3
		.amdhsa_fp16_overflow 0
		.amdhsa_memory_ordered 1
		.amdhsa_forward_progress 1
		.amdhsa_inst_pref_size 1
		.amdhsa_round_robin_scheduling 0
		.amdhsa_exception_fp_ieee_invalid_op 0
		.amdhsa_exception_fp_denorm_src 0
		.amdhsa_exception_fp_ieee_div_zero 0
		.amdhsa_exception_fp_ieee_overflow 0
		.amdhsa_exception_fp_ieee_underflow 0
		.amdhsa_exception_fp_ieee_inexact 0
		.amdhsa_exception_int_div_zero 0
	.end_amdhsa_kernel
	.section	.text._ZN7rocprim17ROCPRIM_400000_NS6detail44device_merge_sort_compile_time_verifier_archINS1_11comp_targetILNS1_3genE10ELNS1_11target_archE1200ELNS1_3gpuE4ELNS1_3repE0EEENS3_ILS4_10ELS5_1201ELS6_5ELS7_0EEENS1_28merge_sort_block_sort_configILj256ELj4ELNS0_20block_sort_algorithmE0EEENS0_14default_configENS1_37merge_sort_block_sort_config_selectorI12hip_bfloat16NS0_10empty_typeEEENS1_38merge_sort_block_merge_config_selectorISF_SG_EEEEvv,"axG",@progbits,_ZN7rocprim17ROCPRIM_400000_NS6detail44device_merge_sort_compile_time_verifier_archINS1_11comp_targetILNS1_3genE10ELNS1_11target_archE1200ELNS1_3gpuE4ELNS1_3repE0EEENS3_ILS4_10ELS5_1201ELS6_5ELS7_0EEENS1_28merge_sort_block_sort_configILj256ELj4ELNS0_20block_sort_algorithmE0EEENS0_14default_configENS1_37merge_sort_block_sort_config_selectorI12hip_bfloat16NS0_10empty_typeEEENS1_38merge_sort_block_merge_config_selectorISF_SG_EEEEvv,comdat
.Lfunc_end1903:
	.size	_ZN7rocprim17ROCPRIM_400000_NS6detail44device_merge_sort_compile_time_verifier_archINS1_11comp_targetILNS1_3genE10ELNS1_11target_archE1200ELNS1_3gpuE4ELNS1_3repE0EEENS3_ILS4_10ELS5_1201ELS6_5ELS7_0EEENS1_28merge_sort_block_sort_configILj256ELj4ELNS0_20block_sort_algorithmE0EEENS0_14default_configENS1_37merge_sort_block_sort_config_selectorI12hip_bfloat16NS0_10empty_typeEEENS1_38merge_sort_block_merge_config_selectorISF_SG_EEEEvv, .Lfunc_end1903-_ZN7rocprim17ROCPRIM_400000_NS6detail44device_merge_sort_compile_time_verifier_archINS1_11comp_targetILNS1_3genE10ELNS1_11target_archE1200ELNS1_3gpuE4ELNS1_3repE0EEENS3_ILS4_10ELS5_1201ELS6_5ELS7_0EEENS1_28merge_sort_block_sort_configILj256ELj4ELNS0_20block_sort_algorithmE0EEENS0_14default_configENS1_37merge_sort_block_sort_config_selectorI12hip_bfloat16NS0_10empty_typeEEENS1_38merge_sort_block_merge_config_selectorISF_SG_EEEEvv
                                        ; -- End function
	.set _ZN7rocprim17ROCPRIM_400000_NS6detail44device_merge_sort_compile_time_verifier_archINS1_11comp_targetILNS1_3genE10ELNS1_11target_archE1200ELNS1_3gpuE4ELNS1_3repE0EEENS3_ILS4_10ELS5_1201ELS6_5ELS7_0EEENS1_28merge_sort_block_sort_configILj256ELj4ELNS0_20block_sort_algorithmE0EEENS0_14default_configENS1_37merge_sort_block_sort_config_selectorI12hip_bfloat16NS0_10empty_typeEEENS1_38merge_sort_block_merge_config_selectorISF_SG_EEEEvv.num_vgpr, 0
	.set _ZN7rocprim17ROCPRIM_400000_NS6detail44device_merge_sort_compile_time_verifier_archINS1_11comp_targetILNS1_3genE10ELNS1_11target_archE1200ELNS1_3gpuE4ELNS1_3repE0EEENS3_ILS4_10ELS5_1201ELS6_5ELS7_0EEENS1_28merge_sort_block_sort_configILj256ELj4ELNS0_20block_sort_algorithmE0EEENS0_14default_configENS1_37merge_sort_block_sort_config_selectorI12hip_bfloat16NS0_10empty_typeEEENS1_38merge_sort_block_merge_config_selectorISF_SG_EEEEvv.num_agpr, 0
	.set _ZN7rocprim17ROCPRIM_400000_NS6detail44device_merge_sort_compile_time_verifier_archINS1_11comp_targetILNS1_3genE10ELNS1_11target_archE1200ELNS1_3gpuE4ELNS1_3repE0EEENS3_ILS4_10ELS5_1201ELS6_5ELS7_0EEENS1_28merge_sort_block_sort_configILj256ELj4ELNS0_20block_sort_algorithmE0EEENS0_14default_configENS1_37merge_sort_block_sort_config_selectorI12hip_bfloat16NS0_10empty_typeEEENS1_38merge_sort_block_merge_config_selectorISF_SG_EEEEvv.numbered_sgpr, 0
	.set _ZN7rocprim17ROCPRIM_400000_NS6detail44device_merge_sort_compile_time_verifier_archINS1_11comp_targetILNS1_3genE10ELNS1_11target_archE1200ELNS1_3gpuE4ELNS1_3repE0EEENS3_ILS4_10ELS5_1201ELS6_5ELS7_0EEENS1_28merge_sort_block_sort_configILj256ELj4ELNS0_20block_sort_algorithmE0EEENS0_14default_configENS1_37merge_sort_block_sort_config_selectorI12hip_bfloat16NS0_10empty_typeEEENS1_38merge_sort_block_merge_config_selectorISF_SG_EEEEvv.num_named_barrier, 0
	.set _ZN7rocprim17ROCPRIM_400000_NS6detail44device_merge_sort_compile_time_verifier_archINS1_11comp_targetILNS1_3genE10ELNS1_11target_archE1200ELNS1_3gpuE4ELNS1_3repE0EEENS3_ILS4_10ELS5_1201ELS6_5ELS7_0EEENS1_28merge_sort_block_sort_configILj256ELj4ELNS0_20block_sort_algorithmE0EEENS0_14default_configENS1_37merge_sort_block_sort_config_selectorI12hip_bfloat16NS0_10empty_typeEEENS1_38merge_sort_block_merge_config_selectorISF_SG_EEEEvv.private_seg_size, 0
	.set _ZN7rocprim17ROCPRIM_400000_NS6detail44device_merge_sort_compile_time_verifier_archINS1_11comp_targetILNS1_3genE10ELNS1_11target_archE1200ELNS1_3gpuE4ELNS1_3repE0EEENS3_ILS4_10ELS5_1201ELS6_5ELS7_0EEENS1_28merge_sort_block_sort_configILj256ELj4ELNS0_20block_sort_algorithmE0EEENS0_14default_configENS1_37merge_sort_block_sort_config_selectorI12hip_bfloat16NS0_10empty_typeEEENS1_38merge_sort_block_merge_config_selectorISF_SG_EEEEvv.uses_vcc, 0
	.set _ZN7rocprim17ROCPRIM_400000_NS6detail44device_merge_sort_compile_time_verifier_archINS1_11comp_targetILNS1_3genE10ELNS1_11target_archE1200ELNS1_3gpuE4ELNS1_3repE0EEENS3_ILS4_10ELS5_1201ELS6_5ELS7_0EEENS1_28merge_sort_block_sort_configILj256ELj4ELNS0_20block_sort_algorithmE0EEENS0_14default_configENS1_37merge_sort_block_sort_config_selectorI12hip_bfloat16NS0_10empty_typeEEENS1_38merge_sort_block_merge_config_selectorISF_SG_EEEEvv.uses_flat_scratch, 0
	.set _ZN7rocprim17ROCPRIM_400000_NS6detail44device_merge_sort_compile_time_verifier_archINS1_11comp_targetILNS1_3genE10ELNS1_11target_archE1200ELNS1_3gpuE4ELNS1_3repE0EEENS3_ILS4_10ELS5_1201ELS6_5ELS7_0EEENS1_28merge_sort_block_sort_configILj256ELj4ELNS0_20block_sort_algorithmE0EEENS0_14default_configENS1_37merge_sort_block_sort_config_selectorI12hip_bfloat16NS0_10empty_typeEEENS1_38merge_sort_block_merge_config_selectorISF_SG_EEEEvv.has_dyn_sized_stack, 0
	.set _ZN7rocprim17ROCPRIM_400000_NS6detail44device_merge_sort_compile_time_verifier_archINS1_11comp_targetILNS1_3genE10ELNS1_11target_archE1200ELNS1_3gpuE4ELNS1_3repE0EEENS3_ILS4_10ELS5_1201ELS6_5ELS7_0EEENS1_28merge_sort_block_sort_configILj256ELj4ELNS0_20block_sort_algorithmE0EEENS0_14default_configENS1_37merge_sort_block_sort_config_selectorI12hip_bfloat16NS0_10empty_typeEEENS1_38merge_sort_block_merge_config_selectorISF_SG_EEEEvv.has_recursion, 0
	.set _ZN7rocprim17ROCPRIM_400000_NS6detail44device_merge_sort_compile_time_verifier_archINS1_11comp_targetILNS1_3genE10ELNS1_11target_archE1200ELNS1_3gpuE4ELNS1_3repE0EEENS3_ILS4_10ELS5_1201ELS6_5ELS7_0EEENS1_28merge_sort_block_sort_configILj256ELj4ELNS0_20block_sort_algorithmE0EEENS0_14default_configENS1_37merge_sort_block_sort_config_selectorI12hip_bfloat16NS0_10empty_typeEEENS1_38merge_sort_block_merge_config_selectorISF_SG_EEEEvv.has_indirect_call, 0
	.section	.AMDGPU.csdata,"",@progbits
; Kernel info:
; codeLenInByte = 4
; TotalNumSgprs: 0
; NumVgprs: 0
; ScratchSize: 0
; MemoryBound: 0
; FloatMode: 240
; IeeeMode: 1
; LDSByteSize: 0 bytes/workgroup (compile time only)
; SGPRBlocks: 0
; VGPRBlocks: 0
; NumSGPRsForWavesPerEU: 1
; NumVGPRsForWavesPerEU: 1
; NamedBarCnt: 0
; Occupancy: 16
; WaveLimiterHint : 0
; COMPUTE_PGM_RSRC2:SCRATCH_EN: 0
; COMPUTE_PGM_RSRC2:USER_SGPR: 0
; COMPUTE_PGM_RSRC2:TRAP_HANDLER: 0
; COMPUTE_PGM_RSRC2:TGID_X_EN: 1
; COMPUTE_PGM_RSRC2:TGID_Y_EN: 0
; COMPUTE_PGM_RSRC2:TGID_Z_EN: 0
; COMPUTE_PGM_RSRC2:TIDIG_COMP_CNT: 0
	.section	.text._ZN7rocprim17ROCPRIM_400000_NS6detail44device_merge_sort_compile_time_verifier_archINS1_11comp_targetILNS1_3genE9ELNS1_11target_archE1100ELNS1_3gpuE3ELNS1_3repE0EEES8_NS1_28merge_sort_block_sort_configILj256ELj4ELNS0_20block_sort_algorithmE0EEENS0_14default_configENS1_37merge_sort_block_sort_config_selectorI12hip_bfloat16NS0_10empty_typeEEENS1_38merge_sort_block_merge_config_selectorISE_SF_EEEEvv,"axG",@progbits,_ZN7rocprim17ROCPRIM_400000_NS6detail44device_merge_sort_compile_time_verifier_archINS1_11comp_targetILNS1_3genE9ELNS1_11target_archE1100ELNS1_3gpuE3ELNS1_3repE0EEES8_NS1_28merge_sort_block_sort_configILj256ELj4ELNS0_20block_sort_algorithmE0EEENS0_14default_configENS1_37merge_sort_block_sort_config_selectorI12hip_bfloat16NS0_10empty_typeEEENS1_38merge_sort_block_merge_config_selectorISE_SF_EEEEvv,comdat
	.protected	_ZN7rocprim17ROCPRIM_400000_NS6detail44device_merge_sort_compile_time_verifier_archINS1_11comp_targetILNS1_3genE9ELNS1_11target_archE1100ELNS1_3gpuE3ELNS1_3repE0EEES8_NS1_28merge_sort_block_sort_configILj256ELj4ELNS0_20block_sort_algorithmE0EEENS0_14default_configENS1_37merge_sort_block_sort_config_selectorI12hip_bfloat16NS0_10empty_typeEEENS1_38merge_sort_block_merge_config_selectorISE_SF_EEEEvv ; -- Begin function _ZN7rocprim17ROCPRIM_400000_NS6detail44device_merge_sort_compile_time_verifier_archINS1_11comp_targetILNS1_3genE9ELNS1_11target_archE1100ELNS1_3gpuE3ELNS1_3repE0EEES8_NS1_28merge_sort_block_sort_configILj256ELj4ELNS0_20block_sort_algorithmE0EEENS0_14default_configENS1_37merge_sort_block_sort_config_selectorI12hip_bfloat16NS0_10empty_typeEEENS1_38merge_sort_block_merge_config_selectorISE_SF_EEEEvv
	.globl	_ZN7rocprim17ROCPRIM_400000_NS6detail44device_merge_sort_compile_time_verifier_archINS1_11comp_targetILNS1_3genE9ELNS1_11target_archE1100ELNS1_3gpuE3ELNS1_3repE0EEES8_NS1_28merge_sort_block_sort_configILj256ELj4ELNS0_20block_sort_algorithmE0EEENS0_14default_configENS1_37merge_sort_block_sort_config_selectorI12hip_bfloat16NS0_10empty_typeEEENS1_38merge_sort_block_merge_config_selectorISE_SF_EEEEvv
	.p2align	8
	.type	_ZN7rocprim17ROCPRIM_400000_NS6detail44device_merge_sort_compile_time_verifier_archINS1_11comp_targetILNS1_3genE9ELNS1_11target_archE1100ELNS1_3gpuE3ELNS1_3repE0EEES8_NS1_28merge_sort_block_sort_configILj256ELj4ELNS0_20block_sort_algorithmE0EEENS0_14default_configENS1_37merge_sort_block_sort_config_selectorI12hip_bfloat16NS0_10empty_typeEEENS1_38merge_sort_block_merge_config_selectorISE_SF_EEEEvv,@function
_ZN7rocprim17ROCPRIM_400000_NS6detail44device_merge_sort_compile_time_verifier_archINS1_11comp_targetILNS1_3genE9ELNS1_11target_archE1100ELNS1_3gpuE3ELNS1_3repE0EEES8_NS1_28merge_sort_block_sort_configILj256ELj4ELNS0_20block_sort_algorithmE0EEENS0_14default_configENS1_37merge_sort_block_sort_config_selectorI12hip_bfloat16NS0_10empty_typeEEENS1_38merge_sort_block_merge_config_selectorISE_SF_EEEEvv: ; @_ZN7rocprim17ROCPRIM_400000_NS6detail44device_merge_sort_compile_time_verifier_archINS1_11comp_targetILNS1_3genE9ELNS1_11target_archE1100ELNS1_3gpuE3ELNS1_3repE0EEES8_NS1_28merge_sort_block_sort_configILj256ELj4ELNS0_20block_sort_algorithmE0EEENS0_14default_configENS1_37merge_sort_block_sort_config_selectorI12hip_bfloat16NS0_10empty_typeEEENS1_38merge_sort_block_merge_config_selectorISE_SF_EEEEvv
; %bb.0:
	s_endpgm
	.section	.rodata,"a",@progbits
	.p2align	6, 0x0
	.amdhsa_kernel _ZN7rocprim17ROCPRIM_400000_NS6detail44device_merge_sort_compile_time_verifier_archINS1_11comp_targetILNS1_3genE9ELNS1_11target_archE1100ELNS1_3gpuE3ELNS1_3repE0EEES8_NS1_28merge_sort_block_sort_configILj256ELj4ELNS0_20block_sort_algorithmE0EEENS0_14default_configENS1_37merge_sort_block_sort_config_selectorI12hip_bfloat16NS0_10empty_typeEEENS1_38merge_sort_block_merge_config_selectorISE_SF_EEEEvv
		.amdhsa_group_segment_fixed_size 0
		.amdhsa_private_segment_fixed_size 0
		.amdhsa_kernarg_size 0
		.amdhsa_user_sgpr_count 0
		.amdhsa_user_sgpr_dispatch_ptr 0
		.amdhsa_user_sgpr_queue_ptr 0
		.amdhsa_user_sgpr_kernarg_segment_ptr 0
		.amdhsa_user_sgpr_dispatch_id 0
		.amdhsa_user_sgpr_kernarg_preload_length 0
		.amdhsa_user_sgpr_kernarg_preload_offset 0
		.amdhsa_user_sgpr_private_segment_size 0
		.amdhsa_wavefront_size32 1
		.amdhsa_uses_dynamic_stack 0
		.amdhsa_enable_private_segment 0
		.amdhsa_system_sgpr_workgroup_id_x 1
		.amdhsa_system_sgpr_workgroup_id_y 0
		.amdhsa_system_sgpr_workgroup_id_z 0
		.amdhsa_system_sgpr_workgroup_info 0
		.amdhsa_system_vgpr_workitem_id 0
		.amdhsa_next_free_vgpr 1
		.amdhsa_next_free_sgpr 1
		.amdhsa_named_barrier_count 0
		.amdhsa_reserve_vcc 0
		.amdhsa_float_round_mode_32 0
		.amdhsa_float_round_mode_16_64 0
		.amdhsa_float_denorm_mode_32 3
		.amdhsa_float_denorm_mode_16_64 3
		.amdhsa_fp16_overflow 0
		.amdhsa_memory_ordered 1
		.amdhsa_forward_progress 1
		.amdhsa_inst_pref_size 1
		.amdhsa_round_robin_scheduling 0
		.amdhsa_exception_fp_ieee_invalid_op 0
		.amdhsa_exception_fp_denorm_src 0
		.amdhsa_exception_fp_ieee_div_zero 0
		.amdhsa_exception_fp_ieee_overflow 0
		.amdhsa_exception_fp_ieee_underflow 0
		.amdhsa_exception_fp_ieee_inexact 0
		.amdhsa_exception_int_div_zero 0
	.end_amdhsa_kernel
	.section	.text._ZN7rocprim17ROCPRIM_400000_NS6detail44device_merge_sort_compile_time_verifier_archINS1_11comp_targetILNS1_3genE9ELNS1_11target_archE1100ELNS1_3gpuE3ELNS1_3repE0EEES8_NS1_28merge_sort_block_sort_configILj256ELj4ELNS0_20block_sort_algorithmE0EEENS0_14default_configENS1_37merge_sort_block_sort_config_selectorI12hip_bfloat16NS0_10empty_typeEEENS1_38merge_sort_block_merge_config_selectorISE_SF_EEEEvv,"axG",@progbits,_ZN7rocprim17ROCPRIM_400000_NS6detail44device_merge_sort_compile_time_verifier_archINS1_11comp_targetILNS1_3genE9ELNS1_11target_archE1100ELNS1_3gpuE3ELNS1_3repE0EEES8_NS1_28merge_sort_block_sort_configILj256ELj4ELNS0_20block_sort_algorithmE0EEENS0_14default_configENS1_37merge_sort_block_sort_config_selectorI12hip_bfloat16NS0_10empty_typeEEENS1_38merge_sort_block_merge_config_selectorISE_SF_EEEEvv,comdat
.Lfunc_end1904:
	.size	_ZN7rocprim17ROCPRIM_400000_NS6detail44device_merge_sort_compile_time_verifier_archINS1_11comp_targetILNS1_3genE9ELNS1_11target_archE1100ELNS1_3gpuE3ELNS1_3repE0EEES8_NS1_28merge_sort_block_sort_configILj256ELj4ELNS0_20block_sort_algorithmE0EEENS0_14default_configENS1_37merge_sort_block_sort_config_selectorI12hip_bfloat16NS0_10empty_typeEEENS1_38merge_sort_block_merge_config_selectorISE_SF_EEEEvv, .Lfunc_end1904-_ZN7rocprim17ROCPRIM_400000_NS6detail44device_merge_sort_compile_time_verifier_archINS1_11comp_targetILNS1_3genE9ELNS1_11target_archE1100ELNS1_3gpuE3ELNS1_3repE0EEES8_NS1_28merge_sort_block_sort_configILj256ELj4ELNS0_20block_sort_algorithmE0EEENS0_14default_configENS1_37merge_sort_block_sort_config_selectorI12hip_bfloat16NS0_10empty_typeEEENS1_38merge_sort_block_merge_config_selectorISE_SF_EEEEvv
                                        ; -- End function
	.set _ZN7rocprim17ROCPRIM_400000_NS6detail44device_merge_sort_compile_time_verifier_archINS1_11comp_targetILNS1_3genE9ELNS1_11target_archE1100ELNS1_3gpuE3ELNS1_3repE0EEES8_NS1_28merge_sort_block_sort_configILj256ELj4ELNS0_20block_sort_algorithmE0EEENS0_14default_configENS1_37merge_sort_block_sort_config_selectorI12hip_bfloat16NS0_10empty_typeEEENS1_38merge_sort_block_merge_config_selectorISE_SF_EEEEvv.num_vgpr, 0
	.set _ZN7rocprim17ROCPRIM_400000_NS6detail44device_merge_sort_compile_time_verifier_archINS1_11comp_targetILNS1_3genE9ELNS1_11target_archE1100ELNS1_3gpuE3ELNS1_3repE0EEES8_NS1_28merge_sort_block_sort_configILj256ELj4ELNS0_20block_sort_algorithmE0EEENS0_14default_configENS1_37merge_sort_block_sort_config_selectorI12hip_bfloat16NS0_10empty_typeEEENS1_38merge_sort_block_merge_config_selectorISE_SF_EEEEvv.num_agpr, 0
	.set _ZN7rocprim17ROCPRIM_400000_NS6detail44device_merge_sort_compile_time_verifier_archINS1_11comp_targetILNS1_3genE9ELNS1_11target_archE1100ELNS1_3gpuE3ELNS1_3repE0EEES8_NS1_28merge_sort_block_sort_configILj256ELj4ELNS0_20block_sort_algorithmE0EEENS0_14default_configENS1_37merge_sort_block_sort_config_selectorI12hip_bfloat16NS0_10empty_typeEEENS1_38merge_sort_block_merge_config_selectorISE_SF_EEEEvv.numbered_sgpr, 0
	.set _ZN7rocprim17ROCPRIM_400000_NS6detail44device_merge_sort_compile_time_verifier_archINS1_11comp_targetILNS1_3genE9ELNS1_11target_archE1100ELNS1_3gpuE3ELNS1_3repE0EEES8_NS1_28merge_sort_block_sort_configILj256ELj4ELNS0_20block_sort_algorithmE0EEENS0_14default_configENS1_37merge_sort_block_sort_config_selectorI12hip_bfloat16NS0_10empty_typeEEENS1_38merge_sort_block_merge_config_selectorISE_SF_EEEEvv.num_named_barrier, 0
	.set _ZN7rocprim17ROCPRIM_400000_NS6detail44device_merge_sort_compile_time_verifier_archINS1_11comp_targetILNS1_3genE9ELNS1_11target_archE1100ELNS1_3gpuE3ELNS1_3repE0EEES8_NS1_28merge_sort_block_sort_configILj256ELj4ELNS0_20block_sort_algorithmE0EEENS0_14default_configENS1_37merge_sort_block_sort_config_selectorI12hip_bfloat16NS0_10empty_typeEEENS1_38merge_sort_block_merge_config_selectorISE_SF_EEEEvv.private_seg_size, 0
	.set _ZN7rocprim17ROCPRIM_400000_NS6detail44device_merge_sort_compile_time_verifier_archINS1_11comp_targetILNS1_3genE9ELNS1_11target_archE1100ELNS1_3gpuE3ELNS1_3repE0EEES8_NS1_28merge_sort_block_sort_configILj256ELj4ELNS0_20block_sort_algorithmE0EEENS0_14default_configENS1_37merge_sort_block_sort_config_selectorI12hip_bfloat16NS0_10empty_typeEEENS1_38merge_sort_block_merge_config_selectorISE_SF_EEEEvv.uses_vcc, 0
	.set _ZN7rocprim17ROCPRIM_400000_NS6detail44device_merge_sort_compile_time_verifier_archINS1_11comp_targetILNS1_3genE9ELNS1_11target_archE1100ELNS1_3gpuE3ELNS1_3repE0EEES8_NS1_28merge_sort_block_sort_configILj256ELj4ELNS0_20block_sort_algorithmE0EEENS0_14default_configENS1_37merge_sort_block_sort_config_selectorI12hip_bfloat16NS0_10empty_typeEEENS1_38merge_sort_block_merge_config_selectorISE_SF_EEEEvv.uses_flat_scratch, 0
	.set _ZN7rocprim17ROCPRIM_400000_NS6detail44device_merge_sort_compile_time_verifier_archINS1_11comp_targetILNS1_3genE9ELNS1_11target_archE1100ELNS1_3gpuE3ELNS1_3repE0EEES8_NS1_28merge_sort_block_sort_configILj256ELj4ELNS0_20block_sort_algorithmE0EEENS0_14default_configENS1_37merge_sort_block_sort_config_selectorI12hip_bfloat16NS0_10empty_typeEEENS1_38merge_sort_block_merge_config_selectorISE_SF_EEEEvv.has_dyn_sized_stack, 0
	.set _ZN7rocprim17ROCPRIM_400000_NS6detail44device_merge_sort_compile_time_verifier_archINS1_11comp_targetILNS1_3genE9ELNS1_11target_archE1100ELNS1_3gpuE3ELNS1_3repE0EEES8_NS1_28merge_sort_block_sort_configILj256ELj4ELNS0_20block_sort_algorithmE0EEENS0_14default_configENS1_37merge_sort_block_sort_config_selectorI12hip_bfloat16NS0_10empty_typeEEENS1_38merge_sort_block_merge_config_selectorISE_SF_EEEEvv.has_recursion, 0
	.set _ZN7rocprim17ROCPRIM_400000_NS6detail44device_merge_sort_compile_time_verifier_archINS1_11comp_targetILNS1_3genE9ELNS1_11target_archE1100ELNS1_3gpuE3ELNS1_3repE0EEES8_NS1_28merge_sort_block_sort_configILj256ELj4ELNS0_20block_sort_algorithmE0EEENS0_14default_configENS1_37merge_sort_block_sort_config_selectorI12hip_bfloat16NS0_10empty_typeEEENS1_38merge_sort_block_merge_config_selectorISE_SF_EEEEvv.has_indirect_call, 0
	.section	.AMDGPU.csdata,"",@progbits
; Kernel info:
; codeLenInByte = 4
; TotalNumSgprs: 0
; NumVgprs: 0
; ScratchSize: 0
; MemoryBound: 0
; FloatMode: 240
; IeeeMode: 1
; LDSByteSize: 0 bytes/workgroup (compile time only)
; SGPRBlocks: 0
; VGPRBlocks: 0
; NumSGPRsForWavesPerEU: 1
; NumVGPRsForWavesPerEU: 1
; NamedBarCnt: 0
; Occupancy: 16
; WaveLimiterHint : 0
; COMPUTE_PGM_RSRC2:SCRATCH_EN: 0
; COMPUTE_PGM_RSRC2:USER_SGPR: 0
; COMPUTE_PGM_RSRC2:TRAP_HANDLER: 0
; COMPUTE_PGM_RSRC2:TGID_X_EN: 1
; COMPUTE_PGM_RSRC2:TGID_Y_EN: 0
; COMPUTE_PGM_RSRC2:TGID_Z_EN: 0
; COMPUTE_PGM_RSRC2:TIDIG_COMP_CNT: 0
	.section	.text._ZN7rocprim17ROCPRIM_400000_NS6detail44device_merge_sort_compile_time_verifier_archINS1_11comp_targetILNS1_3genE8ELNS1_11target_archE1030ELNS1_3gpuE2ELNS1_3repE0EEES8_NS1_28merge_sort_block_sort_configILj256ELj4ELNS0_20block_sort_algorithmE0EEENS0_14default_configENS1_37merge_sort_block_sort_config_selectorI12hip_bfloat16NS0_10empty_typeEEENS1_38merge_sort_block_merge_config_selectorISE_SF_EEEEvv,"axG",@progbits,_ZN7rocprim17ROCPRIM_400000_NS6detail44device_merge_sort_compile_time_verifier_archINS1_11comp_targetILNS1_3genE8ELNS1_11target_archE1030ELNS1_3gpuE2ELNS1_3repE0EEES8_NS1_28merge_sort_block_sort_configILj256ELj4ELNS0_20block_sort_algorithmE0EEENS0_14default_configENS1_37merge_sort_block_sort_config_selectorI12hip_bfloat16NS0_10empty_typeEEENS1_38merge_sort_block_merge_config_selectorISE_SF_EEEEvv,comdat
	.protected	_ZN7rocprim17ROCPRIM_400000_NS6detail44device_merge_sort_compile_time_verifier_archINS1_11comp_targetILNS1_3genE8ELNS1_11target_archE1030ELNS1_3gpuE2ELNS1_3repE0EEES8_NS1_28merge_sort_block_sort_configILj256ELj4ELNS0_20block_sort_algorithmE0EEENS0_14default_configENS1_37merge_sort_block_sort_config_selectorI12hip_bfloat16NS0_10empty_typeEEENS1_38merge_sort_block_merge_config_selectorISE_SF_EEEEvv ; -- Begin function _ZN7rocprim17ROCPRIM_400000_NS6detail44device_merge_sort_compile_time_verifier_archINS1_11comp_targetILNS1_3genE8ELNS1_11target_archE1030ELNS1_3gpuE2ELNS1_3repE0EEES8_NS1_28merge_sort_block_sort_configILj256ELj4ELNS0_20block_sort_algorithmE0EEENS0_14default_configENS1_37merge_sort_block_sort_config_selectorI12hip_bfloat16NS0_10empty_typeEEENS1_38merge_sort_block_merge_config_selectorISE_SF_EEEEvv
	.globl	_ZN7rocprim17ROCPRIM_400000_NS6detail44device_merge_sort_compile_time_verifier_archINS1_11comp_targetILNS1_3genE8ELNS1_11target_archE1030ELNS1_3gpuE2ELNS1_3repE0EEES8_NS1_28merge_sort_block_sort_configILj256ELj4ELNS0_20block_sort_algorithmE0EEENS0_14default_configENS1_37merge_sort_block_sort_config_selectorI12hip_bfloat16NS0_10empty_typeEEENS1_38merge_sort_block_merge_config_selectorISE_SF_EEEEvv
	.p2align	8
	.type	_ZN7rocprim17ROCPRIM_400000_NS6detail44device_merge_sort_compile_time_verifier_archINS1_11comp_targetILNS1_3genE8ELNS1_11target_archE1030ELNS1_3gpuE2ELNS1_3repE0EEES8_NS1_28merge_sort_block_sort_configILj256ELj4ELNS0_20block_sort_algorithmE0EEENS0_14default_configENS1_37merge_sort_block_sort_config_selectorI12hip_bfloat16NS0_10empty_typeEEENS1_38merge_sort_block_merge_config_selectorISE_SF_EEEEvv,@function
_ZN7rocprim17ROCPRIM_400000_NS6detail44device_merge_sort_compile_time_verifier_archINS1_11comp_targetILNS1_3genE8ELNS1_11target_archE1030ELNS1_3gpuE2ELNS1_3repE0EEES8_NS1_28merge_sort_block_sort_configILj256ELj4ELNS0_20block_sort_algorithmE0EEENS0_14default_configENS1_37merge_sort_block_sort_config_selectorI12hip_bfloat16NS0_10empty_typeEEENS1_38merge_sort_block_merge_config_selectorISE_SF_EEEEvv: ; @_ZN7rocprim17ROCPRIM_400000_NS6detail44device_merge_sort_compile_time_verifier_archINS1_11comp_targetILNS1_3genE8ELNS1_11target_archE1030ELNS1_3gpuE2ELNS1_3repE0EEES8_NS1_28merge_sort_block_sort_configILj256ELj4ELNS0_20block_sort_algorithmE0EEENS0_14default_configENS1_37merge_sort_block_sort_config_selectorI12hip_bfloat16NS0_10empty_typeEEENS1_38merge_sort_block_merge_config_selectorISE_SF_EEEEvv
; %bb.0:
	s_endpgm
	.section	.rodata,"a",@progbits
	.p2align	6, 0x0
	.amdhsa_kernel _ZN7rocprim17ROCPRIM_400000_NS6detail44device_merge_sort_compile_time_verifier_archINS1_11comp_targetILNS1_3genE8ELNS1_11target_archE1030ELNS1_3gpuE2ELNS1_3repE0EEES8_NS1_28merge_sort_block_sort_configILj256ELj4ELNS0_20block_sort_algorithmE0EEENS0_14default_configENS1_37merge_sort_block_sort_config_selectorI12hip_bfloat16NS0_10empty_typeEEENS1_38merge_sort_block_merge_config_selectorISE_SF_EEEEvv
		.amdhsa_group_segment_fixed_size 0
		.amdhsa_private_segment_fixed_size 0
		.amdhsa_kernarg_size 0
		.amdhsa_user_sgpr_count 0
		.amdhsa_user_sgpr_dispatch_ptr 0
		.amdhsa_user_sgpr_queue_ptr 0
		.amdhsa_user_sgpr_kernarg_segment_ptr 0
		.amdhsa_user_sgpr_dispatch_id 0
		.amdhsa_user_sgpr_kernarg_preload_length 0
		.amdhsa_user_sgpr_kernarg_preload_offset 0
		.amdhsa_user_sgpr_private_segment_size 0
		.amdhsa_wavefront_size32 1
		.amdhsa_uses_dynamic_stack 0
		.amdhsa_enable_private_segment 0
		.amdhsa_system_sgpr_workgroup_id_x 1
		.amdhsa_system_sgpr_workgroup_id_y 0
		.amdhsa_system_sgpr_workgroup_id_z 0
		.amdhsa_system_sgpr_workgroup_info 0
		.amdhsa_system_vgpr_workitem_id 0
		.amdhsa_next_free_vgpr 1
		.amdhsa_next_free_sgpr 1
		.amdhsa_named_barrier_count 0
		.amdhsa_reserve_vcc 0
		.amdhsa_float_round_mode_32 0
		.amdhsa_float_round_mode_16_64 0
		.amdhsa_float_denorm_mode_32 3
		.amdhsa_float_denorm_mode_16_64 3
		.amdhsa_fp16_overflow 0
		.amdhsa_memory_ordered 1
		.amdhsa_forward_progress 1
		.amdhsa_inst_pref_size 1
		.amdhsa_round_robin_scheduling 0
		.amdhsa_exception_fp_ieee_invalid_op 0
		.amdhsa_exception_fp_denorm_src 0
		.amdhsa_exception_fp_ieee_div_zero 0
		.amdhsa_exception_fp_ieee_overflow 0
		.amdhsa_exception_fp_ieee_underflow 0
		.amdhsa_exception_fp_ieee_inexact 0
		.amdhsa_exception_int_div_zero 0
	.end_amdhsa_kernel
	.section	.text._ZN7rocprim17ROCPRIM_400000_NS6detail44device_merge_sort_compile_time_verifier_archINS1_11comp_targetILNS1_3genE8ELNS1_11target_archE1030ELNS1_3gpuE2ELNS1_3repE0EEES8_NS1_28merge_sort_block_sort_configILj256ELj4ELNS0_20block_sort_algorithmE0EEENS0_14default_configENS1_37merge_sort_block_sort_config_selectorI12hip_bfloat16NS0_10empty_typeEEENS1_38merge_sort_block_merge_config_selectorISE_SF_EEEEvv,"axG",@progbits,_ZN7rocprim17ROCPRIM_400000_NS6detail44device_merge_sort_compile_time_verifier_archINS1_11comp_targetILNS1_3genE8ELNS1_11target_archE1030ELNS1_3gpuE2ELNS1_3repE0EEES8_NS1_28merge_sort_block_sort_configILj256ELj4ELNS0_20block_sort_algorithmE0EEENS0_14default_configENS1_37merge_sort_block_sort_config_selectorI12hip_bfloat16NS0_10empty_typeEEENS1_38merge_sort_block_merge_config_selectorISE_SF_EEEEvv,comdat
.Lfunc_end1905:
	.size	_ZN7rocprim17ROCPRIM_400000_NS6detail44device_merge_sort_compile_time_verifier_archINS1_11comp_targetILNS1_3genE8ELNS1_11target_archE1030ELNS1_3gpuE2ELNS1_3repE0EEES8_NS1_28merge_sort_block_sort_configILj256ELj4ELNS0_20block_sort_algorithmE0EEENS0_14default_configENS1_37merge_sort_block_sort_config_selectorI12hip_bfloat16NS0_10empty_typeEEENS1_38merge_sort_block_merge_config_selectorISE_SF_EEEEvv, .Lfunc_end1905-_ZN7rocprim17ROCPRIM_400000_NS6detail44device_merge_sort_compile_time_verifier_archINS1_11comp_targetILNS1_3genE8ELNS1_11target_archE1030ELNS1_3gpuE2ELNS1_3repE0EEES8_NS1_28merge_sort_block_sort_configILj256ELj4ELNS0_20block_sort_algorithmE0EEENS0_14default_configENS1_37merge_sort_block_sort_config_selectorI12hip_bfloat16NS0_10empty_typeEEENS1_38merge_sort_block_merge_config_selectorISE_SF_EEEEvv
                                        ; -- End function
	.set _ZN7rocprim17ROCPRIM_400000_NS6detail44device_merge_sort_compile_time_verifier_archINS1_11comp_targetILNS1_3genE8ELNS1_11target_archE1030ELNS1_3gpuE2ELNS1_3repE0EEES8_NS1_28merge_sort_block_sort_configILj256ELj4ELNS0_20block_sort_algorithmE0EEENS0_14default_configENS1_37merge_sort_block_sort_config_selectorI12hip_bfloat16NS0_10empty_typeEEENS1_38merge_sort_block_merge_config_selectorISE_SF_EEEEvv.num_vgpr, 0
	.set _ZN7rocprim17ROCPRIM_400000_NS6detail44device_merge_sort_compile_time_verifier_archINS1_11comp_targetILNS1_3genE8ELNS1_11target_archE1030ELNS1_3gpuE2ELNS1_3repE0EEES8_NS1_28merge_sort_block_sort_configILj256ELj4ELNS0_20block_sort_algorithmE0EEENS0_14default_configENS1_37merge_sort_block_sort_config_selectorI12hip_bfloat16NS0_10empty_typeEEENS1_38merge_sort_block_merge_config_selectorISE_SF_EEEEvv.num_agpr, 0
	.set _ZN7rocprim17ROCPRIM_400000_NS6detail44device_merge_sort_compile_time_verifier_archINS1_11comp_targetILNS1_3genE8ELNS1_11target_archE1030ELNS1_3gpuE2ELNS1_3repE0EEES8_NS1_28merge_sort_block_sort_configILj256ELj4ELNS0_20block_sort_algorithmE0EEENS0_14default_configENS1_37merge_sort_block_sort_config_selectorI12hip_bfloat16NS0_10empty_typeEEENS1_38merge_sort_block_merge_config_selectorISE_SF_EEEEvv.numbered_sgpr, 0
	.set _ZN7rocprim17ROCPRIM_400000_NS6detail44device_merge_sort_compile_time_verifier_archINS1_11comp_targetILNS1_3genE8ELNS1_11target_archE1030ELNS1_3gpuE2ELNS1_3repE0EEES8_NS1_28merge_sort_block_sort_configILj256ELj4ELNS0_20block_sort_algorithmE0EEENS0_14default_configENS1_37merge_sort_block_sort_config_selectorI12hip_bfloat16NS0_10empty_typeEEENS1_38merge_sort_block_merge_config_selectorISE_SF_EEEEvv.num_named_barrier, 0
	.set _ZN7rocprim17ROCPRIM_400000_NS6detail44device_merge_sort_compile_time_verifier_archINS1_11comp_targetILNS1_3genE8ELNS1_11target_archE1030ELNS1_3gpuE2ELNS1_3repE0EEES8_NS1_28merge_sort_block_sort_configILj256ELj4ELNS0_20block_sort_algorithmE0EEENS0_14default_configENS1_37merge_sort_block_sort_config_selectorI12hip_bfloat16NS0_10empty_typeEEENS1_38merge_sort_block_merge_config_selectorISE_SF_EEEEvv.private_seg_size, 0
	.set _ZN7rocprim17ROCPRIM_400000_NS6detail44device_merge_sort_compile_time_verifier_archINS1_11comp_targetILNS1_3genE8ELNS1_11target_archE1030ELNS1_3gpuE2ELNS1_3repE0EEES8_NS1_28merge_sort_block_sort_configILj256ELj4ELNS0_20block_sort_algorithmE0EEENS0_14default_configENS1_37merge_sort_block_sort_config_selectorI12hip_bfloat16NS0_10empty_typeEEENS1_38merge_sort_block_merge_config_selectorISE_SF_EEEEvv.uses_vcc, 0
	.set _ZN7rocprim17ROCPRIM_400000_NS6detail44device_merge_sort_compile_time_verifier_archINS1_11comp_targetILNS1_3genE8ELNS1_11target_archE1030ELNS1_3gpuE2ELNS1_3repE0EEES8_NS1_28merge_sort_block_sort_configILj256ELj4ELNS0_20block_sort_algorithmE0EEENS0_14default_configENS1_37merge_sort_block_sort_config_selectorI12hip_bfloat16NS0_10empty_typeEEENS1_38merge_sort_block_merge_config_selectorISE_SF_EEEEvv.uses_flat_scratch, 0
	.set _ZN7rocprim17ROCPRIM_400000_NS6detail44device_merge_sort_compile_time_verifier_archINS1_11comp_targetILNS1_3genE8ELNS1_11target_archE1030ELNS1_3gpuE2ELNS1_3repE0EEES8_NS1_28merge_sort_block_sort_configILj256ELj4ELNS0_20block_sort_algorithmE0EEENS0_14default_configENS1_37merge_sort_block_sort_config_selectorI12hip_bfloat16NS0_10empty_typeEEENS1_38merge_sort_block_merge_config_selectorISE_SF_EEEEvv.has_dyn_sized_stack, 0
	.set _ZN7rocprim17ROCPRIM_400000_NS6detail44device_merge_sort_compile_time_verifier_archINS1_11comp_targetILNS1_3genE8ELNS1_11target_archE1030ELNS1_3gpuE2ELNS1_3repE0EEES8_NS1_28merge_sort_block_sort_configILj256ELj4ELNS0_20block_sort_algorithmE0EEENS0_14default_configENS1_37merge_sort_block_sort_config_selectorI12hip_bfloat16NS0_10empty_typeEEENS1_38merge_sort_block_merge_config_selectorISE_SF_EEEEvv.has_recursion, 0
	.set _ZN7rocprim17ROCPRIM_400000_NS6detail44device_merge_sort_compile_time_verifier_archINS1_11comp_targetILNS1_3genE8ELNS1_11target_archE1030ELNS1_3gpuE2ELNS1_3repE0EEES8_NS1_28merge_sort_block_sort_configILj256ELj4ELNS0_20block_sort_algorithmE0EEENS0_14default_configENS1_37merge_sort_block_sort_config_selectorI12hip_bfloat16NS0_10empty_typeEEENS1_38merge_sort_block_merge_config_selectorISE_SF_EEEEvv.has_indirect_call, 0
	.section	.AMDGPU.csdata,"",@progbits
; Kernel info:
; codeLenInByte = 4
; TotalNumSgprs: 0
; NumVgprs: 0
; ScratchSize: 0
; MemoryBound: 0
; FloatMode: 240
; IeeeMode: 1
; LDSByteSize: 0 bytes/workgroup (compile time only)
; SGPRBlocks: 0
; VGPRBlocks: 0
; NumSGPRsForWavesPerEU: 1
; NumVGPRsForWavesPerEU: 1
; NamedBarCnt: 0
; Occupancy: 16
; WaveLimiterHint : 0
; COMPUTE_PGM_RSRC2:SCRATCH_EN: 0
; COMPUTE_PGM_RSRC2:USER_SGPR: 0
; COMPUTE_PGM_RSRC2:TRAP_HANDLER: 0
; COMPUTE_PGM_RSRC2:TGID_X_EN: 1
; COMPUTE_PGM_RSRC2:TGID_Y_EN: 0
; COMPUTE_PGM_RSRC2:TGID_Z_EN: 0
; COMPUTE_PGM_RSRC2:TIDIG_COMP_CNT: 0
	.section	.text._ZN7rocprim17ROCPRIM_400000_NS6detail17trampoline_kernelINS0_14default_configENS1_38merge_sort_block_merge_config_selectorI12hip_bfloat16NS0_10empty_typeEEEZZNS1_27merge_sort_block_merge_implIS3_PS5_PS6_jNS1_19radix_merge_compareILb1ELb0ES5_NS0_19identity_decomposerEEEEE10hipError_tT0_T1_T2_jT3_P12ihipStream_tbPNSt15iterator_traitsISF_E10value_typeEPNSL_ISG_E10value_typeEPSH_NS1_7vsmem_tEENKUlT_SF_SG_SH_E_clIS9_S9_SA_SA_EESE_SU_SF_SG_SH_EUlSU_E_NS1_11comp_targetILNS1_3genE0ELNS1_11target_archE4294967295ELNS1_3gpuE0ELNS1_3repE0EEENS1_48merge_mergepath_partition_config_static_selectorELNS0_4arch9wavefront6targetE0EEEvSG_,"axG",@progbits,_ZN7rocprim17ROCPRIM_400000_NS6detail17trampoline_kernelINS0_14default_configENS1_38merge_sort_block_merge_config_selectorI12hip_bfloat16NS0_10empty_typeEEEZZNS1_27merge_sort_block_merge_implIS3_PS5_PS6_jNS1_19radix_merge_compareILb1ELb0ES5_NS0_19identity_decomposerEEEEE10hipError_tT0_T1_T2_jT3_P12ihipStream_tbPNSt15iterator_traitsISF_E10value_typeEPNSL_ISG_E10value_typeEPSH_NS1_7vsmem_tEENKUlT_SF_SG_SH_E_clIS9_S9_SA_SA_EESE_SU_SF_SG_SH_EUlSU_E_NS1_11comp_targetILNS1_3genE0ELNS1_11target_archE4294967295ELNS1_3gpuE0ELNS1_3repE0EEENS1_48merge_mergepath_partition_config_static_selectorELNS0_4arch9wavefront6targetE0EEEvSG_,comdat
	.protected	_ZN7rocprim17ROCPRIM_400000_NS6detail17trampoline_kernelINS0_14default_configENS1_38merge_sort_block_merge_config_selectorI12hip_bfloat16NS0_10empty_typeEEEZZNS1_27merge_sort_block_merge_implIS3_PS5_PS6_jNS1_19radix_merge_compareILb1ELb0ES5_NS0_19identity_decomposerEEEEE10hipError_tT0_T1_T2_jT3_P12ihipStream_tbPNSt15iterator_traitsISF_E10value_typeEPNSL_ISG_E10value_typeEPSH_NS1_7vsmem_tEENKUlT_SF_SG_SH_E_clIS9_S9_SA_SA_EESE_SU_SF_SG_SH_EUlSU_E_NS1_11comp_targetILNS1_3genE0ELNS1_11target_archE4294967295ELNS1_3gpuE0ELNS1_3repE0EEENS1_48merge_mergepath_partition_config_static_selectorELNS0_4arch9wavefront6targetE0EEEvSG_ ; -- Begin function _ZN7rocprim17ROCPRIM_400000_NS6detail17trampoline_kernelINS0_14default_configENS1_38merge_sort_block_merge_config_selectorI12hip_bfloat16NS0_10empty_typeEEEZZNS1_27merge_sort_block_merge_implIS3_PS5_PS6_jNS1_19radix_merge_compareILb1ELb0ES5_NS0_19identity_decomposerEEEEE10hipError_tT0_T1_T2_jT3_P12ihipStream_tbPNSt15iterator_traitsISF_E10value_typeEPNSL_ISG_E10value_typeEPSH_NS1_7vsmem_tEENKUlT_SF_SG_SH_E_clIS9_S9_SA_SA_EESE_SU_SF_SG_SH_EUlSU_E_NS1_11comp_targetILNS1_3genE0ELNS1_11target_archE4294967295ELNS1_3gpuE0ELNS1_3repE0EEENS1_48merge_mergepath_partition_config_static_selectorELNS0_4arch9wavefront6targetE0EEEvSG_
	.globl	_ZN7rocprim17ROCPRIM_400000_NS6detail17trampoline_kernelINS0_14default_configENS1_38merge_sort_block_merge_config_selectorI12hip_bfloat16NS0_10empty_typeEEEZZNS1_27merge_sort_block_merge_implIS3_PS5_PS6_jNS1_19radix_merge_compareILb1ELb0ES5_NS0_19identity_decomposerEEEEE10hipError_tT0_T1_T2_jT3_P12ihipStream_tbPNSt15iterator_traitsISF_E10value_typeEPNSL_ISG_E10value_typeEPSH_NS1_7vsmem_tEENKUlT_SF_SG_SH_E_clIS9_S9_SA_SA_EESE_SU_SF_SG_SH_EUlSU_E_NS1_11comp_targetILNS1_3genE0ELNS1_11target_archE4294967295ELNS1_3gpuE0ELNS1_3repE0EEENS1_48merge_mergepath_partition_config_static_selectorELNS0_4arch9wavefront6targetE0EEEvSG_
	.p2align	8
	.type	_ZN7rocprim17ROCPRIM_400000_NS6detail17trampoline_kernelINS0_14default_configENS1_38merge_sort_block_merge_config_selectorI12hip_bfloat16NS0_10empty_typeEEEZZNS1_27merge_sort_block_merge_implIS3_PS5_PS6_jNS1_19radix_merge_compareILb1ELb0ES5_NS0_19identity_decomposerEEEEE10hipError_tT0_T1_T2_jT3_P12ihipStream_tbPNSt15iterator_traitsISF_E10value_typeEPNSL_ISG_E10value_typeEPSH_NS1_7vsmem_tEENKUlT_SF_SG_SH_E_clIS9_S9_SA_SA_EESE_SU_SF_SG_SH_EUlSU_E_NS1_11comp_targetILNS1_3genE0ELNS1_11target_archE4294967295ELNS1_3gpuE0ELNS1_3repE0EEENS1_48merge_mergepath_partition_config_static_selectorELNS0_4arch9wavefront6targetE0EEEvSG_,@function
_ZN7rocprim17ROCPRIM_400000_NS6detail17trampoline_kernelINS0_14default_configENS1_38merge_sort_block_merge_config_selectorI12hip_bfloat16NS0_10empty_typeEEEZZNS1_27merge_sort_block_merge_implIS3_PS5_PS6_jNS1_19radix_merge_compareILb1ELb0ES5_NS0_19identity_decomposerEEEEE10hipError_tT0_T1_T2_jT3_P12ihipStream_tbPNSt15iterator_traitsISF_E10value_typeEPNSL_ISG_E10value_typeEPSH_NS1_7vsmem_tEENKUlT_SF_SG_SH_E_clIS9_S9_SA_SA_EESE_SU_SF_SG_SH_EUlSU_E_NS1_11comp_targetILNS1_3genE0ELNS1_11target_archE4294967295ELNS1_3gpuE0ELNS1_3repE0EEENS1_48merge_mergepath_partition_config_static_selectorELNS0_4arch9wavefront6targetE0EEEvSG_: ; @_ZN7rocprim17ROCPRIM_400000_NS6detail17trampoline_kernelINS0_14default_configENS1_38merge_sort_block_merge_config_selectorI12hip_bfloat16NS0_10empty_typeEEEZZNS1_27merge_sort_block_merge_implIS3_PS5_PS6_jNS1_19radix_merge_compareILb1ELb0ES5_NS0_19identity_decomposerEEEEE10hipError_tT0_T1_T2_jT3_P12ihipStream_tbPNSt15iterator_traitsISF_E10value_typeEPNSL_ISG_E10value_typeEPSH_NS1_7vsmem_tEENKUlT_SF_SG_SH_E_clIS9_S9_SA_SA_EESE_SU_SF_SG_SH_EUlSU_E_NS1_11comp_targetILNS1_3genE0ELNS1_11target_archE4294967295ELNS1_3gpuE0ELNS1_3repE0EEENS1_48merge_mergepath_partition_config_static_selectorELNS0_4arch9wavefront6targetE0EEEvSG_
; %bb.0:
	s_load_b32 s2, s[0:1], 0x0
	s_bfe_u32 s3, ttmp6, 0x4000c
	s_and_b32 s4, ttmp6, 15
	s_add_co_i32 s3, s3, 1
	s_getreg_b32 s5, hwreg(HW_REG_IB_STS2, 6, 4)
	s_mul_i32 s3, ttmp9, s3
	s_delay_alu instid0(SALU_CYCLE_1) | instskip(SKIP_2) | instid1(SALU_CYCLE_1)
	s_add_co_i32 s4, s4, s3
	s_cmp_eq_u32 s5, 0
	s_cselect_b32 s3, ttmp9, s4
	v_lshl_or_b32 v8, s3, 7, v0
	s_wait_kmcnt 0x0
	s_delay_alu instid0(VALU_DEP_1)
	v_cmp_gt_u32_e32 vcc_lo, s2, v8
	s_and_saveexec_b32 s2, vcc_lo
	s_cbranch_execz .LBB1906_14
; %bb.1:
	s_load_b64 s[2:3], s[0:1], 0x4
	s_wait_kmcnt 0x0
	s_lshr_b32 s4, s2, 9
	s_delay_alu instid0(SALU_CYCLE_1) | instskip(NEXT) | instid1(SALU_CYCLE_1)
	s_and_b32 s4, s4, 0x7ffffe
	s_sub_co_i32 s5, 0, s4
	s_add_co_i32 s4, s4, -1
	s_delay_alu instid0(SALU_CYCLE_1) | instskip(SKIP_2) | instid1(VALU_DEP_1)
	v_and_b32_e32 v1, s4, v8
	v_and_b32_e32 v0, s5, v8
	s_mov_b32 s4, exec_lo
	v_dual_lshlrev_b32 v1, 10, v1 :: v_dual_lshlrev_b32 v0, 10, v0
	s_delay_alu instid0(VALU_DEP_1) | instskip(SKIP_1) | instid1(VALU_DEP_2)
	v_add_min_u32_e64 v2, v0, s2, s3
	v_min_u32_e32 v0, s3, v0
	v_add_min_u32_e64 v3, v2, s2, s3
	s_load_b64 s[2:3], s[0:1], 0x20
	s_delay_alu instid0(VALU_DEP_1) | instskip(NEXT) | instid1(VALU_DEP_1)
	v_dual_sub_nc_u32 v4, v3, v0 :: v_dual_sub_nc_u32 v3, v3, v2
	v_min_u32_e32 v10, v4, v1
	v_sub_nc_u32_e32 v1, v2, v0
	s_delay_alu instid0(VALU_DEP_2) | instskip(NEXT) | instid1(VALU_DEP_2)
	v_sub_nc_u32_e64 v9, v10, v3 clamp
	v_min_u32_e32 v11, v10, v1
	s_delay_alu instid0(VALU_DEP_1)
	v_cmpx_lt_u32_e64 v9, v11
	s_cbranch_execz .LBB1906_13
; %bb.2:
	s_wait_xcnt 0x0
	s_load_b64 s[0:1], s[0:1], 0x10
	v_mov_b32_e32 v3, 0
	s_delay_alu instid0(VALU_DEP_1) | instskip(SKIP_1) | instid1(VALU_DEP_1)
	v_mov_b32_e32 v1, v3
	s_wait_kmcnt 0x0
	v_lshl_add_u64 v[4:5], v[0:1], 1, s[0:1]
	v_lshl_add_u64 v[6:7], v[2:3], 1, s[0:1]
	s_mov_b32 s0, 0
	s_branch .LBB1906_4
.LBB1906_3:                             ;   in Loop: Header=BB1906_4 Depth=1
	s_or_b32 exec_lo, exec_lo, s1
	v_cmp_lt_i32_e32 vcc_lo, -1, v2
	s_delay_alu instid0(VALU_DEP_2) | instskip(SKIP_3) | instid1(VALU_DEP_1)
	v_perm_b32 v2, v12, v2, 0x7060302
	v_cndmask_b32_e64 v13, -1, 0xffff8000, vcc_lo
	v_cmp_lt_i32_e32 vcc_lo, -1, v12
	v_cndmask_b32_e64 v14, -1, 0xffff8000, vcc_lo
	v_perm_b32 v12, v14, v13, 0x5040100
	s_delay_alu instid0(VALU_DEP_1) | instskip(NEXT) | instid1(VALU_DEP_1)
	v_dual_add_nc_u32 v13, 1, v1 :: v_dual_bitop2_b32 v2, v12, v2 bitop3:0x14
	v_lshrrev_b32_e32 v12, 16, v2
	s_delay_alu instid0(VALU_DEP_1) | instskip(SKIP_1) | instid1(VALU_DEP_4)
	v_cmp_gt_u16_e32 vcc_lo, v2, v12
	v_cndmask_b32_e32 v11, v11, v1, vcc_lo
	v_cndmask_b32_e32 v9, v13, v9, vcc_lo
	s_delay_alu instid0(VALU_DEP_1) | instskip(SKIP_1) | instid1(SALU_CYCLE_1)
	v_cmp_ge_u32_e32 vcc_lo, v9, v11
	s_or_b32 s0, vcc_lo, s0
	s_and_not1_b32 exec_lo, exec_lo, s0
	s_cbranch_execz .LBB1906_12
.LBB1906_4:                             ; =>This Inner Loop Header: Depth=1
	v_add_nc_u32_e32 v2, v11, v9
	s_delay_alu instid0(VALU_DEP_1) | instskip(SKIP_1) | instid1(VALU_DEP_2)
	v_dual_mov_b32 v13, v3 :: v_dual_lshrrev_b32 v1, 1, v2
	v_and_b32_e32 v2, -2, v2
	v_xad_u32 v12, v1, -1, v10
	s_delay_alu instid0(VALU_DEP_1)
	v_lshl_add_u64 v[12:13], v[12:13], 1, v[6:7]
	global_load_u16 v14, v[12:13], off
	s_wait_xcnt 0x0
	v_add_nc_u64_e32 v[12:13], v[4:5], v[2:3]
	global_load_u16 v12, v[12:13], off
	s_wait_loadcnt 0x1
	v_lshlrev_b32_e32 v2, 16, v14
	s_wait_xcnt 0x0
	s_delay_alu instid0(VALU_DEP_1) | instskip(NEXT) | instid1(VALU_DEP_1)
	v_add_f32_e32 v13, 0, v2
	v_and_b32_e32 v2, 0x7f800000, v13
	s_delay_alu instid0(VALU_DEP_1) | instskip(SKIP_1) | instid1(SALU_CYCLE_1)
	v_cmp_ne_u32_e32 vcc_lo, 0x7f800000, v2
                                        ; implicit-def: $vgpr2
	s_and_saveexec_b32 s1, vcc_lo
	s_xor_b32 s1, exec_lo, s1
; %bb.5:                                ;   in Loop: Header=BB1906_4 Depth=1
	v_bfe_u32 v2, v13, 16, 1
	s_delay_alu instid0(VALU_DEP_1)
	v_add3_u32 v2, v13, v2, 0x7fff
                                        ; implicit-def: $vgpr13
; %bb.6:                                ;   in Loop: Header=BB1906_4 Depth=1
	s_and_not1_saveexec_b32 s1, s1
; %bb.7:                                ;   in Loop: Header=BB1906_4 Depth=1
	v_and_b32_e32 v2, 0xffff, v13
	v_or_b32_e32 v14, 0x10000, v13
	s_delay_alu instid0(VALU_DEP_2) | instskip(NEXT) | instid1(VALU_DEP_2)
	v_cmp_eq_u32_e32 vcc_lo, 0, v2
	v_cndmask_b32_e32 v2, v14, v13, vcc_lo
; %bb.8:                                ;   in Loop: Header=BB1906_4 Depth=1
	s_or_b32 exec_lo, exec_lo, s1
	s_wait_loadcnt 0x0
	v_lshlrev_b32_e32 v12, 16, v12
	s_delay_alu instid0(VALU_DEP_1) | instskip(NEXT) | instid1(VALU_DEP_1)
	v_add_f32_e32 v13, 0, v12
	v_and_b32_e32 v12, 0x7f800000, v13
	s_delay_alu instid0(VALU_DEP_1) | instskip(SKIP_1) | instid1(SALU_CYCLE_1)
	v_cmp_ne_u32_e32 vcc_lo, 0x7f800000, v12
                                        ; implicit-def: $vgpr12
	s_and_saveexec_b32 s1, vcc_lo
	s_xor_b32 s1, exec_lo, s1
; %bb.9:                                ;   in Loop: Header=BB1906_4 Depth=1
	v_bfe_u32 v12, v13, 16, 1
	s_delay_alu instid0(VALU_DEP_1)
	v_add3_u32 v12, v13, v12, 0x7fff
                                        ; implicit-def: $vgpr13
; %bb.10:                               ;   in Loop: Header=BB1906_4 Depth=1
	s_and_not1_saveexec_b32 s1, s1
	s_cbranch_execz .LBB1906_3
; %bb.11:                               ;   in Loop: Header=BB1906_4 Depth=1
	v_and_b32_e32 v12, 0xffff, v13
	v_or_b32_e32 v14, 0x10000, v13
	s_delay_alu instid0(VALU_DEP_2) | instskip(NEXT) | instid1(VALU_DEP_2)
	v_cmp_eq_u32_e32 vcc_lo, 0, v12
	v_cndmask_b32_e32 v12, v14, v13, vcc_lo
	s_branch .LBB1906_3
.LBB1906_12:
	s_or_b32 exec_lo, exec_lo, s0
.LBB1906_13:
	s_delay_alu instid0(SALU_CYCLE_1)
	s_or_b32 exec_lo, exec_lo, s4
	v_add_nc_u32_e32 v0, v9, v0
	s_wait_kmcnt 0x0
	global_store_b32 v8, v0, s[2:3] scale_offset
.LBB1906_14:
	s_endpgm
	.section	.rodata,"a",@progbits
	.p2align	6, 0x0
	.amdhsa_kernel _ZN7rocprim17ROCPRIM_400000_NS6detail17trampoline_kernelINS0_14default_configENS1_38merge_sort_block_merge_config_selectorI12hip_bfloat16NS0_10empty_typeEEEZZNS1_27merge_sort_block_merge_implIS3_PS5_PS6_jNS1_19radix_merge_compareILb1ELb0ES5_NS0_19identity_decomposerEEEEE10hipError_tT0_T1_T2_jT3_P12ihipStream_tbPNSt15iterator_traitsISF_E10value_typeEPNSL_ISG_E10value_typeEPSH_NS1_7vsmem_tEENKUlT_SF_SG_SH_E_clIS9_S9_SA_SA_EESE_SU_SF_SG_SH_EUlSU_E_NS1_11comp_targetILNS1_3genE0ELNS1_11target_archE4294967295ELNS1_3gpuE0ELNS1_3repE0EEENS1_48merge_mergepath_partition_config_static_selectorELNS0_4arch9wavefront6targetE0EEEvSG_
		.amdhsa_group_segment_fixed_size 0
		.amdhsa_private_segment_fixed_size 0
		.amdhsa_kernarg_size 40
		.amdhsa_user_sgpr_count 2
		.amdhsa_user_sgpr_dispatch_ptr 0
		.amdhsa_user_sgpr_queue_ptr 0
		.amdhsa_user_sgpr_kernarg_segment_ptr 1
		.amdhsa_user_sgpr_dispatch_id 0
		.amdhsa_user_sgpr_kernarg_preload_length 0
		.amdhsa_user_sgpr_kernarg_preload_offset 0
		.amdhsa_user_sgpr_private_segment_size 0
		.amdhsa_wavefront_size32 1
		.amdhsa_uses_dynamic_stack 0
		.amdhsa_enable_private_segment 0
		.amdhsa_system_sgpr_workgroup_id_x 1
		.amdhsa_system_sgpr_workgroup_id_y 0
		.amdhsa_system_sgpr_workgroup_id_z 0
		.amdhsa_system_sgpr_workgroup_info 0
		.amdhsa_system_vgpr_workitem_id 0
		.amdhsa_next_free_vgpr 15
		.amdhsa_next_free_sgpr 6
		.amdhsa_named_barrier_count 0
		.amdhsa_reserve_vcc 1
		.amdhsa_float_round_mode_32 0
		.amdhsa_float_round_mode_16_64 0
		.amdhsa_float_denorm_mode_32 3
		.amdhsa_float_denorm_mode_16_64 3
		.amdhsa_fp16_overflow 0
		.amdhsa_memory_ordered 1
		.amdhsa_forward_progress 1
		.amdhsa_inst_pref_size 6
		.amdhsa_round_robin_scheduling 0
		.amdhsa_exception_fp_ieee_invalid_op 0
		.amdhsa_exception_fp_denorm_src 0
		.amdhsa_exception_fp_ieee_div_zero 0
		.amdhsa_exception_fp_ieee_overflow 0
		.amdhsa_exception_fp_ieee_underflow 0
		.amdhsa_exception_fp_ieee_inexact 0
		.amdhsa_exception_int_div_zero 0
	.end_amdhsa_kernel
	.section	.text._ZN7rocprim17ROCPRIM_400000_NS6detail17trampoline_kernelINS0_14default_configENS1_38merge_sort_block_merge_config_selectorI12hip_bfloat16NS0_10empty_typeEEEZZNS1_27merge_sort_block_merge_implIS3_PS5_PS6_jNS1_19radix_merge_compareILb1ELb0ES5_NS0_19identity_decomposerEEEEE10hipError_tT0_T1_T2_jT3_P12ihipStream_tbPNSt15iterator_traitsISF_E10value_typeEPNSL_ISG_E10value_typeEPSH_NS1_7vsmem_tEENKUlT_SF_SG_SH_E_clIS9_S9_SA_SA_EESE_SU_SF_SG_SH_EUlSU_E_NS1_11comp_targetILNS1_3genE0ELNS1_11target_archE4294967295ELNS1_3gpuE0ELNS1_3repE0EEENS1_48merge_mergepath_partition_config_static_selectorELNS0_4arch9wavefront6targetE0EEEvSG_,"axG",@progbits,_ZN7rocprim17ROCPRIM_400000_NS6detail17trampoline_kernelINS0_14default_configENS1_38merge_sort_block_merge_config_selectorI12hip_bfloat16NS0_10empty_typeEEEZZNS1_27merge_sort_block_merge_implIS3_PS5_PS6_jNS1_19radix_merge_compareILb1ELb0ES5_NS0_19identity_decomposerEEEEE10hipError_tT0_T1_T2_jT3_P12ihipStream_tbPNSt15iterator_traitsISF_E10value_typeEPNSL_ISG_E10value_typeEPSH_NS1_7vsmem_tEENKUlT_SF_SG_SH_E_clIS9_S9_SA_SA_EESE_SU_SF_SG_SH_EUlSU_E_NS1_11comp_targetILNS1_3genE0ELNS1_11target_archE4294967295ELNS1_3gpuE0ELNS1_3repE0EEENS1_48merge_mergepath_partition_config_static_selectorELNS0_4arch9wavefront6targetE0EEEvSG_,comdat
.Lfunc_end1906:
	.size	_ZN7rocprim17ROCPRIM_400000_NS6detail17trampoline_kernelINS0_14default_configENS1_38merge_sort_block_merge_config_selectorI12hip_bfloat16NS0_10empty_typeEEEZZNS1_27merge_sort_block_merge_implIS3_PS5_PS6_jNS1_19radix_merge_compareILb1ELb0ES5_NS0_19identity_decomposerEEEEE10hipError_tT0_T1_T2_jT3_P12ihipStream_tbPNSt15iterator_traitsISF_E10value_typeEPNSL_ISG_E10value_typeEPSH_NS1_7vsmem_tEENKUlT_SF_SG_SH_E_clIS9_S9_SA_SA_EESE_SU_SF_SG_SH_EUlSU_E_NS1_11comp_targetILNS1_3genE0ELNS1_11target_archE4294967295ELNS1_3gpuE0ELNS1_3repE0EEENS1_48merge_mergepath_partition_config_static_selectorELNS0_4arch9wavefront6targetE0EEEvSG_, .Lfunc_end1906-_ZN7rocprim17ROCPRIM_400000_NS6detail17trampoline_kernelINS0_14default_configENS1_38merge_sort_block_merge_config_selectorI12hip_bfloat16NS0_10empty_typeEEEZZNS1_27merge_sort_block_merge_implIS3_PS5_PS6_jNS1_19radix_merge_compareILb1ELb0ES5_NS0_19identity_decomposerEEEEE10hipError_tT0_T1_T2_jT3_P12ihipStream_tbPNSt15iterator_traitsISF_E10value_typeEPNSL_ISG_E10value_typeEPSH_NS1_7vsmem_tEENKUlT_SF_SG_SH_E_clIS9_S9_SA_SA_EESE_SU_SF_SG_SH_EUlSU_E_NS1_11comp_targetILNS1_3genE0ELNS1_11target_archE4294967295ELNS1_3gpuE0ELNS1_3repE0EEENS1_48merge_mergepath_partition_config_static_selectorELNS0_4arch9wavefront6targetE0EEEvSG_
                                        ; -- End function
	.set _ZN7rocprim17ROCPRIM_400000_NS6detail17trampoline_kernelINS0_14default_configENS1_38merge_sort_block_merge_config_selectorI12hip_bfloat16NS0_10empty_typeEEEZZNS1_27merge_sort_block_merge_implIS3_PS5_PS6_jNS1_19radix_merge_compareILb1ELb0ES5_NS0_19identity_decomposerEEEEE10hipError_tT0_T1_T2_jT3_P12ihipStream_tbPNSt15iterator_traitsISF_E10value_typeEPNSL_ISG_E10value_typeEPSH_NS1_7vsmem_tEENKUlT_SF_SG_SH_E_clIS9_S9_SA_SA_EESE_SU_SF_SG_SH_EUlSU_E_NS1_11comp_targetILNS1_3genE0ELNS1_11target_archE4294967295ELNS1_3gpuE0ELNS1_3repE0EEENS1_48merge_mergepath_partition_config_static_selectorELNS0_4arch9wavefront6targetE0EEEvSG_.num_vgpr, 15
	.set _ZN7rocprim17ROCPRIM_400000_NS6detail17trampoline_kernelINS0_14default_configENS1_38merge_sort_block_merge_config_selectorI12hip_bfloat16NS0_10empty_typeEEEZZNS1_27merge_sort_block_merge_implIS3_PS5_PS6_jNS1_19radix_merge_compareILb1ELb0ES5_NS0_19identity_decomposerEEEEE10hipError_tT0_T1_T2_jT3_P12ihipStream_tbPNSt15iterator_traitsISF_E10value_typeEPNSL_ISG_E10value_typeEPSH_NS1_7vsmem_tEENKUlT_SF_SG_SH_E_clIS9_S9_SA_SA_EESE_SU_SF_SG_SH_EUlSU_E_NS1_11comp_targetILNS1_3genE0ELNS1_11target_archE4294967295ELNS1_3gpuE0ELNS1_3repE0EEENS1_48merge_mergepath_partition_config_static_selectorELNS0_4arch9wavefront6targetE0EEEvSG_.num_agpr, 0
	.set _ZN7rocprim17ROCPRIM_400000_NS6detail17trampoline_kernelINS0_14default_configENS1_38merge_sort_block_merge_config_selectorI12hip_bfloat16NS0_10empty_typeEEEZZNS1_27merge_sort_block_merge_implIS3_PS5_PS6_jNS1_19radix_merge_compareILb1ELb0ES5_NS0_19identity_decomposerEEEEE10hipError_tT0_T1_T2_jT3_P12ihipStream_tbPNSt15iterator_traitsISF_E10value_typeEPNSL_ISG_E10value_typeEPSH_NS1_7vsmem_tEENKUlT_SF_SG_SH_E_clIS9_S9_SA_SA_EESE_SU_SF_SG_SH_EUlSU_E_NS1_11comp_targetILNS1_3genE0ELNS1_11target_archE4294967295ELNS1_3gpuE0ELNS1_3repE0EEENS1_48merge_mergepath_partition_config_static_selectorELNS0_4arch9wavefront6targetE0EEEvSG_.numbered_sgpr, 6
	.set _ZN7rocprim17ROCPRIM_400000_NS6detail17trampoline_kernelINS0_14default_configENS1_38merge_sort_block_merge_config_selectorI12hip_bfloat16NS0_10empty_typeEEEZZNS1_27merge_sort_block_merge_implIS3_PS5_PS6_jNS1_19radix_merge_compareILb1ELb0ES5_NS0_19identity_decomposerEEEEE10hipError_tT0_T1_T2_jT3_P12ihipStream_tbPNSt15iterator_traitsISF_E10value_typeEPNSL_ISG_E10value_typeEPSH_NS1_7vsmem_tEENKUlT_SF_SG_SH_E_clIS9_S9_SA_SA_EESE_SU_SF_SG_SH_EUlSU_E_NS1_11comp_targetILNS1_3genE0ELNS1_11target_archE4294967295ELNS1_3gpuE0ELNS1_3repE0EEENS1_48merge_mergepath_partition_config_static_selectorELNS0_4arch9wavefront6targetE0EEEvSG_.num_named_barrier, 0
	.set _ZN7rocprim17ROCPRIM_400000_NS6detail17trampoline_kernelINS0_14default_configENS1_38merge_sort_block_merge_config_selectorI12hip_bfloat16NS0_10empty_typeEEEZZNS1_27merge_sort_block_merge_implIS3_PS5_PS6_jNS1_19radix_merge_compareILb1ELb0ES5_NS0_19identity_decomposerEEEEE10hipError_tT0_T1_T2_jT3_P12ihipStream_tbPNSt15iterator_traitsISF_E10value_typeEPNSL_ISG_E10value_typeEPSH_NS1_7vsmem_tEENKUlT_SF_SG_SH_E_clIS9_S9_SA_SA_EESE_SU_SF_SG_SH_EUlSU_E_NS1_11comp_targetILNS1_3genE0ELNS1_11target_archE4294967295ELNS1_3gpuE0ELNS1_3repE0EEENS1_48merge_mergepath_partition_config_static_selectorELNS0_4arch9wavefront6targetE0EEEvSG_.private_seg_size, 0
	.set _ZN7rocprim17ROCPRIM_400000_NS6detail17trampoline_kernelINS0_14default_configENS1_38merge_sort_block_merge_config_selectorI12hip_bfloat16NS0_10empty_typeEEEZZNS1_27merge_sort_block_merge_implIS3_PS5_PS6_jNS1_19radix_merge_compareILb1ELb0ES5_NS0_19identity_decomposerEEEEE10hipError_tT0_T1_T2_jT3_P12ihipStream_tbPNSt15iterator_traitsISF_E10value_typeEPNSL_ISG_E10value_typeEPSH_NS1_7vsmem_tEENKUlT_SF_SG_SH_E_clIS9_S9_SA_SA_EESE_SU_SF_SG_SH_EUlSU_E_NS1_11comp_targetILNS1_3genE0ELNS1_11target_archE4294967295ELNS1_3gpuE0ELNS1_3repE0EEENS1_48merge_mergepath_partition_config_static_selectorELNS0_4arch9wavefront6targetE0EEEvSG_.uses_vcc, 1
	.set _ZN7rocprim17ROCPRIM_400000_NS6detail17trampoline_kernelINS0_14default_configENS1_38merge_sort_block_merge_config_selectorI12hip_bfloat16NS0_10empty_typeEEEZZNS1_27merge_sort_block_merge_implIS3_PS5_PS6_jNS1_19radix_merge_compareILb1ELb0ES5_NS0_19identity_decomposerEEEEE10hipError_tT0_T1_T2_jT3_P12ihipStream_tbPNSt15iterator_traitsISF_E10value_typeEPNSL_ISG_E10value_typeEPSH_NS1_7vsmem_tEENKUlT_SF_SG_SH_E_clIS9_S9_SA_SA_EESE_SU_SF_SG_SH_EUlSU_E_NS1_11comp_targetILNS1_3genE0ELNS1_11target_archE4294967295ELNS1_3gpuE0ELNS1_3repE0EEENS1_48merge_mergepath_partition_config_static_selectorELNS0_4arch9wavefront6targetE0EEEvSG_.uses_flat_scratch, 0
	.set _ZN7rocprim17ROCPRIM_400000_NS6detail17trampoline_kernelINS0_14default_configENS1_38merge_sort_block_merge_config_selectorI12hip_bfloat16NS0_10empty_typeEEEZZNS1_27merge_sort_block_merge_implIS3_PS5_PS6_jNS1_19radix_merge_compareILb1ELb0ES5_NS0_19identity_decomposerEEEEE10hipError_tT0_T1_T2_jT3_P12ihipStream_tbPNSt15iterator_traitsISF_E10value_typeEPNSL_ISG_E10value_typeEPSH_NS1_7vsmem_tEENKUlT_SF_SG_SH_E_clIS9_S9_SA_SA_EESE_SU_SF_SG_SH_EUlSU_E_NS1_11comp_targetILNS1_3genE0ELNS1_11target_archE4294967295ELNS1_3gpuE0ELNS1_3repE0EEENS1_48merge_mergepath_partition_config_static_selectorELNS0_4arch9wavefront6targetE0EEEvSG_.has_dyn_sized_stack, 0
	.set _ZN7rocprim17ROCPRIM_400000_NS6detail17trampoline_kernelINS0_14default_configENS1_38merge_sort_block_merge_config_selectorI12hip_bfloat16NS0_10empty_typeEEEZZNS1_27merge_sort_block_merge_implIS3_PS5_PS6_jNS1_19radix_merge_compareILb1ELb0ES5_NS0_19identity_decomposerEEEEE10hipError_tT0_T1_T2_jT3_P12ihipStream_tbPNSt15iterator_traitsISF_E10value_typeEPNSL_ISG_E10value_typeEPSH_NS1_7vsmem_tEENKUlT_SF_SG_SH_E_clIS9_S9_SA_SA_EESE_SU_SF_SG_SH_EUlSU_E_NS1_11comp_targetILNS1_3genE0ELNS1_11target_archE4294967295ELNS1_3gpuE0ELNS1_3repE0EEENS1_48merge_mergepath_partition_config_static_selectorELNS0_4arch9wavefront6targetE0EEEvSG_.has_recursion, 0
	.set _ZN7rocprim17ROCPRIM_400000_NS6detail17trampoline_kernelINS0_14default_configENS1_38merge_sort_block_merge_config_selectorI12hip_bfloat16NS0_10empty_typeEEEZZNS1_27merge_sort_block_merge_implIS3_PS5_PS6_jNS1_19radix_merge_compareILb1ELb0ES5_NS0_19identity_decomposerEEEEE10hipError_tT0_T1_T2_jT3_P12ihipStream_tbPNSt15iterator_traitsISF_E10value_typeEPNSL_ISG_E10value_typeEPSH_NS1_7vsmem_tEENKUlT_SF_SG_SH_E_clIS9_S9_SA_SA_EESE_SU_SF_SG_SH_EUlSU_E_NS1_11comp_targetILNS1_3genE0ELNS1_11target_archE4294967295ELNS1_3gpuE0ELNS1_3repE0EEENS1_48merge_mergepath_partition_config_static_selectorELNS0_4arch9wavefront6targetE0EEEvSG_.has_indirect_call, 0
	.section	.AMDGPU.csdata,"",@progbits
; Kernel info:
; codeLenInByte = 728
; TotalNumSgprs: 8
; NumVgprs: 15
; ScratchSize: 0
; MemoryBound: 0
; FloatMode: 240
; IeeeMode: 1
; LDSByteSize: 0 bytes/workgroup (compile time only)
; SGPRBlocks: 0
; VGPRBlocks: 0
; NumSGPRsForWavesPerEU: 8
; NumVGPRsForWavesPerEU: 15
; NamedBarCnt: 0
; Occupancy: 16
; WaveLimiterHint : 0
; COMPUTE_PGM_RSRC2:SCRATCH_EN: 0
; COMPUTE_PGM_RSRC2:USER_SGPR: 2
; COMPUTE_PGM_RSRC2:TRAP_HANDLER: 0
; COMPUTE_PGM_RSRC2:TGID_X_EN: 1
; COMPUTE_PGM_RSRC2:TGID_Y_EN: 0
; COMPUTE_PGM_RSRC2:TGID_Z_EN: 0
; COMPUTE_PGM_RSRC2:TIDIG_COMP_CNT: 0
	.section	.text._ZN7rocprim17ROCPRIM_400000_NS6detail17trampoline_kernelINS0_14default_configENS1_38merge_sort_block_merge_config_selectorI12hip_bfloat16NS0_10empty_typeEEEZZNS1_27merge_sort_block_merge_implIS3_PS5_PS6_jNS1_19radix_merge_compareILb1ELb0ES5_NS0_19identity_decomposerEEEEE10hipError_tT0_T1_T2_jT3_P12ihipStream_tbPNSt15iterator_traitsISF_E10value_typeEPNSL_ISG_E10value_typeEPSH_NS1_7vsmem_tEENKUlT_SF_SG_SH_E_clIS9_S9_SA_SA_EESE_SU_SF_SG_SH_EUlSU_E_NS1_11comp_targetILNS1_3genE10ELNS1_11target_archE1201ELNS1_3gpuE5ELNS1_3repE0EEENS1_48merge_mergepath_partition_config_static_selectorELNS0_4arch9wavefront6targetE0EEEvSG_,"axG",@progbits,_ZN7rocprim17ROCPRIM_400000_NS6detail17trampoline_kernelINS0_14default_configENS1_38merge_sort_block_merge_config_selectorI12hip_bfloat16NS0_10empty_typeEEEZZNS1_27merge_sort_block_merge_implIS3_PS5_PS6_jNS1_19radix_merge_compareILb1ELb0ES5_NS0_19identity_decomposerEEEEE10hipError_tT0_T1_T2_jT3_P12ihipStream_tbPNSt15iterator_traitsISF_E10value_typeEPNSL_ISG_E10value_typeEPSH_NS1_7vsmem_tEENKUlT_SF_SG_SH_E_clIS9_S9_SA_SA_EESE_SU_SF_SG_SH_EUlSU_E_NS1_11comp_targetILNS1_3genE10ELNS1_11target_archE1201ELNS1_3gpuE5ELNS1_3repE0EEENS1_48merge_mergepath_partition_config_static_selectorELNS0_4arch9wavefront6targetE0EEEvSG_,comdat
	.protected	_ZN7rocprim17ROCPRIM_400000_NS6detail17trampoline_kernelINS0_14default_configENS1_38merge_sort_block_merge_config_selectorI12hip_bfloat16NS0_10empty_typeEEEZZNS1_27merge_sort_block_merge_implIS3_PS5_PS6_jNS1_19radix_merge_compareILb1ELb0ES5_NS0_19identity_decomposerEEEEE10hipError_tT0_T1_T2_jT3_P12ihipStream_tbPNSt15iterator_traitsISF_E10value_typeEPNSL_ISG_E10value_typeEPSH_NS1_7vsmem_tEENKUlT_SF_SG_SH_E_clIS9_S9_SA_SA_EESE_SU_SF_SG_SH_EUlSU_E_NS1_11comp_targetILNS1_3genE10ELNS1_11target_archE1201ELNS1_3gpuE5ELNS1_3repE0EEENS1_48merge_mergepath_partition_config_static_selectorELNS0_4arch9wavefront6targetE0EEEvSG_ ; -- Begin function _ZN7rocprim17ROCPRIM_400000_NS6detail17trampoline_kernelINS0_14default_configENS1_38merge_sort_block_merge_config_selectorI12hip_bfloat16NS0_10empty_typeEEEZZNS1_27merge_sort_block_merge_implIS3_PS5_PS6_jNS1_19radix_merge_compareILb1ELb0ES5_NS0_19identity_decomposerEEEEE10hipError_tT0_T1_T2_jT3_P12ihipStream_tbPNSt15iterator_traitsISF_E10value_typeEPNSL_ISG_E10value_typeEPSH_NS1_7vsmem_tEENKUlT_SF_SG_SH_E_clIS9_S9_SA_SA_EESE_SU_SF_SG_SH_EUlSU_E_NS1_11comp_targetILNS1_3genE10ELNS1_11target_archE1201ELNS1_3gpuE5ELNS1_3repE0EEENS1_48merge_mergepath_partition_config_static_selectorELNS0_4arch9wavefront6targetE0EEEvSG_
	.globl	_ZN7rocprim17ROCPRIM_400000_NS6detail17trampoline_kernelINS0_14default_configENS1_38merge_sort_block_merge_config_selectorI12hip_bfloat16NS0_10empty_typeEEEZZNS1_27merge_sort_block_merge_implIS3_PS5_PS6_jNS1_19radix_merge_compareILb1ELb0ES5_NS0_19identity_decomposerEEEEE10hipError_tT0_T1_T2_jT3_P12ihipStream_tbPNSt15iterator_traitsISF_E10value_typeEPNSL_ISG_E10value_typeEPSH_NS1_7vsmem_tEENKUlT_SF_SG_SH_E_clIS9_S9_SA_SA_EESE_SU_SF_SG_SH_EUlSU_E_NS1_11comp_targetILNS1_3genE10ELNS1_11target_archE1201ELNS1_3gpuE5ELNS1_3repE0EEENS1_48merge_mergepath_partition_config_static_selectorELNS0_4arch9wavefront6targetE0EEEvSG_
	.p2align	8
	.type	_ZN7rocprim17ROCPRIM_400000_NS6detail17trampoline_kernelINS0_14default_configENS1_38merge_sort_block_merge_config_selectorI12hip_bfloat16NS0_10empty_typeEEEZZNS1_27merge_sort_block_merge_implIS3_PS5_PS6_jNS1_19radix_merge_compareILb1ELb0ES5_NS0_19identity_decomposerEEEEE10hipError_tT0_T1_T2_jT3_P12ihipStream_tbPNSt15iterator_traitsISF_E10value_typeEPNSL_ISG_E10value_typeEPSH_NS1_7vsmem_tEENKUlT_SF_SG_SH_E_clIS9_S9_SA_SA_EESE_SU_SF_SG_SH_EUlSU_E_NS1_11comp_targetILNS1_3genE10ELNS1_11target_archE1201ELNS1_3gpuE5ELNS1_3repE0EEENS1_48merge_mergepath_partition_config_static_selectorELNS0_4arch9wavefront6targetE0EEEvSG_,@function
_ZN7rocprim17ROCPRIM_400000_NS6detail17trampoline_kernelINS0_14default_configENS1_38merge_sort_block_merge_config_selectorI12hip_bfloat16NS0_10empty_typeEEEZZNS1_27merge_sort_block_merge_implIS3_PS5_PS6_jNS1_19radix_merge_compareILb1ELb0ES5_NS0_19identity_decomposerEEEEE10hipError_tT0_T1_T2_jT3_P12ihipStream_tbPNSt15iterator_traitsISF_E10value_typeEPNSL_ISG_E10value_typeEPSH_NS1_7vsmem_tEENKUlT_SF_SG_SH_E_clIS9_S9_SA_SA_EESE_SU_SF_SG_SH_EUlSU_E_NS1_11comp_targetILNS1_3genE10ELNS1_11target_archE1201ELNS1_3gpuE5ELNS1_3repE0EEENS1_48merge_mergepath_partition_config_static_selectorELNS0_4arch9wavefront6targetE0EEEvSG_: ; @_ZN7rocprim17ROCPRIM_400000_NS6detail17trampoline_kernelINS0_14default_configENS1_38merge_sort_block_merge_config_selectorI12hip_bfloat16NS0_10empty_typeEEEZZNS1_27merge_sort_block_merge_implIS3_PS5_PS6_jNS1_19radix_merge_compareILb1ELb0ES5_NS0_19identity_decomposerEEEEE10hipError_tT0_T1_T2_jT3_P12ihipStream_tbPNSt15iterator_traitsISF_E10value_typeEPNSL_ISG_E10value_typeEPSH_NS1_7vsmem_tEENKUlT_SF_SG_SH_E_clIS9_S9_SA_SA_EESE_SU_SF_SG_SH_EUlSU_E_NS1_11comp_targetILNS1_3genE10ELNS1_11target_archE1201ELNS1_3gpuE5ELNS1_3repE0EEENS1_48merge_mergepath_partition_config_static_selectorELNS0_4arch9wavefront6targetE0EEEvSG_
; %bb.0:
	.section	.rodata,"a",@progbits
	.p2align	6, 0x0
	.amdhsa_kernel _ZN7rocprim17ROCPRIM_400000_NS6detail17trampoline_kernelINS0_14default_configENS1_38merge_sort_block_merge_config_selectorI12hip_bfloat16NS0_10empty_typeEEEZZNS1_27merge_sort_block_merge_implIS3_PS5_PS6_jNS1_19radix_merge_compareILb1ELb0ES5_NS0_19identity_decomposerEEEEE10hipError_tT0_T1_T2_jT3_P12ihipStream_tbPNSt15iterator_traitsISF_E10value_typeEPNSL_ISG_E10value_typeEPSH_NS1_7vsmem_tEENKUlT_SF_SG_SH_E_clIS9_S9_SA_SA_EESE_SU_SF_SG_SH_EUlSU_E_NS1_11comp_targetILNS1_3genE10ELNS1_11target_archE1201ELNS1_3gpuE5ELNS1_3repE0EEENS1_48merge_mergepath_partition_config_static_selectorELNS0_4arch9wavefront6targetE0EEEvSG_
		.amdhsa_group_segment_fixed_size 0
		.amdhsa_private_segment_fixed_size 0
		.amdhsa_kernarg_size 40
		.amdhsa_user_sgpr_count 2
		.amdhsa_user_sgpr_dispatch_ptr 0
		.amdhsa_user_sgpr_queue_ptr 0
		.amdhsa_user_sgpr_kernarg_segment_ptr 1
		.amdhsa_user_sgpr_dispatch_id 0
		.amdhsa_user_sgpr_kernarg_preload_length 0
		.amdhsa_user_sgpr_kernarg_preload_offset 0
		.amdhsa_user_sgpr_private_segment_size 0
		.amdhsa_wavefront_size32 1
		.amdhsa_uses_dynamic_stack 0
		.amdhsa_enable_private_segment 0
		.amdhsa_system_sgpr_workgroup_id_x 1
		.amdhsa_system_sgpr_workgroup_id_y 0
		.amdhsa_system_sgpr_workgroup_id_z 0
		.amdhsa_system_sgpr_workgroup_info 0
		.amdhsa_system_vgpr_workitem_id 0
		.amdhsa_next_free_vgpr 1
		.amdhsa_next_free_sgpr 1
		.amdhsa_named_barrier_count 0
		.amdhsa_reserve_vcc 0
		.amdhsa_float_round_mode_32 0
		.amdhsa_float_round_mode_16_64 0
		.amdhsa_float_denorm_mode_32 3
		.amdhsa_float_denorm_mode_16_64 3
		.amdhsa_fp16_overflow 0
		.amdhsa_memory_ordered 1
		.amdhsa_forward_progress 1
		.amdhsa_inst_pref_size 0
		.amdhsa_round_robin_scheduling 0
		.amdhsa_exception_fp_ieee_invalid_op 0
		.amdhsa_exception_fp_denorm_src 0
		.amdhsa_exception_fp_ieee_div_zero 0
		.amdhsa_exception_fp_ieee_overflow 0
		.amdhsa_exception_fp_ieee_underflow 0
		.amdhsa_exception_fp_ieee_inexact 0
		.amdhsa_exception_int_div_zero 0
	.end_amdhsa_kernel
	.section	.text._ZN7rocprim17ROCPRIM_400000_NS6detail17trampoline_kernelINS0_14default_configENS1_38merge_sort_block_merge_config_selectorI12hip_bfloat16NS0_10empty_typeEEEZZNS1_27merge_sort_block_merge_implIS3_PS5_PS6_jNS1_19radix_merge_compareILb1ELb0ES5_NS0_19identity_decomposerEEEEE10hipError_tT0_T1_T2_jT3_P12ihipStream_tbPNSt15iterator_traitsISF_E10value_typeEPNSL_ISG_E10value_typeEPSH_NS1_7vsmem_tEENKUlT_SF_SG_SH_E_clIS9_S9_SA_SA_EESE_SU_SF_SG_SH_EUlSU_E_NS1_11comp_targetILNS1_3genE10ELNS1_11target_archE1201ELNS1_3gpuE5ELNS1_3repE0EEENS1_48merge_mergepath_partition_config_static_selectorELNS0_4arch9wavefront6targetE0EEEvSG_,"axG",@progbits,_ZN7rocprim17ROCPRIM_400000_NS6detail17trampoline_kernelINS0_14default_configENS1_38merge_sort_block_merge_config_selectorI12hip_bfloat16NS0_10empty_typeEEEZZNS1_27merge_sort_block_merge_implIS3_PS5_PS6_jNS1_19radix_merge_compareILb1ELb0ES5_NS0_19identity_decomposerEEEEE10hipError_tT0_T1_T2_jT3_P12ihipStream_tbPNSt15iterator_traitsISF_E10value_typeEPNSL_ISG_E10value_typeEPSH_NS1_7vsmem_tEENKUlT_SF_SG_SH_E_clIS9_S9_SA_SA_EESE_SU_SF_SG_SH_EUlSU_E_NS1_11comp_targetILNS1_3genE10ELNS1_11target_archE1201ELNS1_3gpuE5ELNS1_3repE0EEENS1_48merge_mergepath_partition_config_static_selectorELNS0_4arch9wavefront6targetE0EEEvSG_,comdat
.Lfunc_end1907:
	.size	_ZN7rocprim17ROCPRIM_400000_NS6detail17trampoline_kernelINS0_14default_configENS1_38merge_sort_block_merge_config_selectorI12hip_bfloat16NS0_10empty_typeEEEZZNS1_27merge_sort_block_merge_implIS3_PS5_PS6_jNS1_19radix_merge_compareILb1ELb0ES5_NS0_19identity_decomposerEEEEE10hipError_tT0_T1_T2_jT3_P12ihipStream_tbPNSt15iterator_traitsISF_E10value_typeEPNSL_ISG_E10value_typeEPSH_NS1_7vsmem_tEENKUlT_SF_SG_SH_E_clIS9_S9_SA_SA_EESE_SU_SF_SG_SH_EUlSU_E_NS1_11comp_targetILNS1_3genE10ELNS1_11target_archE1201ELNS1_3gpuE5ELNS1_3repE0EEENS1_48merge_mergepath_partition_config_static_selectorELNS0_4arch9wavefront6targetE0EEEvSG_, .Lfunc_end1907-_ZN7rocprim17ROCPRIM_400000_NS6detail17trampoline_kernelINS0_14default_configENS1_38merge_sort_block_merge_config_selectorI12hip_bfloat16NS0_10empty_typeEEEZZNS1_27merge_sort_block_merge_implIS3_PS5_PS6_jNS1_19radix_merge_compareILb1ELb0ES5_NS0_19identity_decomposerEEEEE10hipError_tT0_T1_T2_jT3_P12ihipStream_tbPNSt15iterator_traitsISF_E10value_typeEPNSL_ISG_E10value_typeEPSH_NS1_7vsmem_tEENKUlT_SF_SG_SH_E_clIS9_S9_SA_SA_EESE_SU_SF_SG_SH_EUlSU_E_NS1_11comp_targetILNS1_3genE10ELNS1_11target_archE1201ELNS1_3gpuE5ELNS1_3repE0EEENS1_48merge_mergepath_partition_config_static_selectorELNS0_4arch9wavefront6targetE0EEEvSG_
                                        ; -- End function
	.set _ZN7rocprim17ROCPRIM_400000_NS6detail17trampoline_kernelINS0_14default_configENS1_38merge_sort_block_merge_config_selectorI12hip_bfloat16NS0_10empty_typeEEEZZNS1_27merge_sort_block_merge_implIS3_PS5_PS6_jNS1_19radix_merge_compareILb1ELb0ES5_NS0_19identity_decomposerEEEEE10hipError_tT0_T1_T2_jT3_P12ihipStream_tbPNSt15iterator_traitsISF_E10value_typeEPNSL_ISG_E10value_typeEPSH_NS1_7vsmem_tEENKUlT_SF_SG_SH_E_clIS9_S9_SA_SA_EESE_SU_SF_SG_SH_EUlSU_E_NS1_11comp_targetILNS1_3genE10ELNS1_11target_archE1201ELNS1_3gpuE5ELNS1_3repE0EEENS1_48merge_mergepath_partition_config_static_selectorELNS0_4arch9wavefront6targetE0EEEvSG_.num_vgpr, 0
	.set _ZN7rocprim17ROCPRIM_400000_NS6detail17trampoline_kernelINS0_14default_configENS1_38merge_sort_block_merge_config_selectorI12hip_bfloat16NS0_10empty_typeEEEZZNS1_27merge_sort_block_merge_implIS3_PS5_PS6_jNS1_19radix_merge_compareILb1ELb0ES5_NS0_19identity_decomposerEEEEE10hipError_tT0_T1_T2_jT3_P12ihipStream_tbPNSt15iterator_traitsISF_E10value_typeEPNSL_ISG_E10value_typeEPSH_NS1_7vsmem_tEENKUlT_SF_SG_SH_E_clIS9_S9_SA_SA_EESE_SU_SF_SG_SH_EUlSU_E_NS1_11comp_targetILNS1_3genE10ELNS1_11target_archE1201ELNS1_3gpuE5ELNS1_3repE0EEENS1_48merge_mergepath_partition_config_static_selectorELNS0_4arch9wavefront6targetE0EEEvSG_.num_agpr, 0
	.set _ZN7rocprim17ROCPRIM_400000_NS6detail17trampoline_kernelINS0_14default_configENS1_38merge_sort_block_merge_config_selectorI12hip_bfloat16NS0_10empty_typeEEEZZNS1_27merge_sort_block_merge_implIS3_PS5_PS6_jNS1_19radix_merge_compareILb1ELb0ES5_NS0_19identity_decomposerEEEEE10hipError_tT0_T1_T2_jT3_P12ihipStream_tbPNSt15iterator_traitsISF_E10value_typeEPNSL_ISG_E10value_typeEPSH_NS1_7vsmem_tEENKUlT_SF_SG_SH_E_clIS9_S9_SA_SA_EESE_SU_SF_SG_SH_EUlSU_E_NS1_11comp_targetILNS1_3genE10ELNS1_11target_archE1201ELNS1_3gpuE5ELNS1_3repE0EEENS1_48merge_mergepath_partition_config_static_selectorELNS0_4arch9wavefront6targetE0EEEvSG_.numbered_sgpr, 0
	.set _ZN7rocprim17ROCPRIM_400000_NS6detail17trampoline_kernelINS0_14default_configENS1_38merge_sort_block_merge_config_selectorI12hip_bfloat16NS0_10empty_typeEEEZZNS1_27merge_sort_block_merge_implIS3_PS5_PS6_jNS1_19radix_merge_compareILb1ELb0ES5_NS0_19identity_decomposerEEEEE10hipError_tT0_T1_T2_jT3_P12ihipStream_tbPNSt15iterator_traitsISF_E10value_typeEPNSL_ISG_E10value_typeEPSH_NS1_7vsmem_tEENKUlT_SF_SG_SH_E_clIS9_S9_SA_SA_EESE_SU_SF_SG_SH_EUlSU_E_NS1_11comp_targetILNS1_3genE10ELNS1_11target_archE1201ELNS1_3gpuE5ELNS1_3repE0EEENS1_48merge_mergepath_partition_config_static_selectorELNS0_4arch9wavefront6targetE0EEEvSG_.num_named_barrier, 0
	.set _ZN7rocprim17ROCPRIM_400000_NS6detail17trampoline_kernelINS0_14default_configENS1_38merge_sort_block_merge_config_selectorI12hip_bfloat16NS0_10empty_typeEEEZZNS1_27merge_sort_block_merge_implIS3_PS5_PS6_jNS1_19radix_merge_compareILb1ELb0ES5_NS0_19identity_decomposerEEEEE10hipError_tT0_T1_T2_jT3_P12ihipStream_tbPNSt15iterator_traitsISF_E10value_typeEPNSL_ISG_E10value_typeEPSH_NS1_7vsmem_tEENKUlT_SF_SG_SH_E_clIS9_S9_SA_SA_EESE_SU_SF_SG_SH_EUlSU_E_NS1_11comp_targetILNS1_3genE10ELNS1_11target_archE1201ELNS1_3gpuE5ELNS1_3repE0EEENS1_48merge_mergepath_partition_config_static_selectorELNS0_4arch9wavefront6targetE0EEEvSG_.private_seg_size, 0
	.set _ZN7rocprim17ROCPRIM_400000_NS6detail17trampoline_kernelINS0_14default_configENS1_38merge_sort_block_merge_config_selectorI12hip_bfloat16NS0_10empty_typeEEEZZNS1_27merge_sort_block_merge_implIS3_PS5_PS6_jNS1_19radix_merge_compareILb1ELb0ES5_NS0_19identity_decomposerEEEEE10hipError_tT0_T1_T2_jT3_P12ihipStream_tbPNSt15iterator_traitsISF_E10value_typeEPNSL_ISG_E10value_typeEPSH_NS1_7vsmem_tEENKUlT_SF_SG_SH_E_clIS9_S9_SA_SA_EESE_SU_SF_SG_SH_EUlSU_E_NS1_11comp_targetILNS1_3genE10ELNS1_11target_archE1201ELNS1_3gpuE5ELNS1_3repE0EEENS1_48merge_mergepath_partition_config_static_selectorELNS0_4arch9wavefront6targetE0EEEvSG_.uses_vcc, 0
	.set _ZN7rocprim17ROCPRIM_400000_NS6detail17trampoline_kernelINS0_14default_configENS1_38merge_sort_block_merge_config_selectorI12hip_bfloat16NS0_10empty_typeEEEZZNS1_27merge_sort_block_merge_implIS3_PS5_PS6_jNS1_19radix_merge_compareILb1ELb0ES5_NS0_19identity_decomposerEEEEE10hipError_tT0_T1_T2_jT3_P12ihipStream_tbPNSt15iterator_traitsISF_E10value_typeEPNSL_ISG_E10value_typeEPSH_NS1_7vsmem_tEENKUlT_SF_SG_SH_E_clIS9_S9_SA_SA_EESE_SU_SF_SG_SH_EUlSU_E_NS1_11comp_targetILNS1_3genE10ELNS1_11target_archE1201ELNS1_3gpuE5ELNS1_3repE0EEENS1_48merge_mergepath_partition_config_static_selectorELNS0_4arch9wavefront6targetE0EEEvSG_.uses_flat_scratch, 0
	.set _ZN7rocprim17ROCPRIM_400000_NS6detail17trampoline_kernelINS0_14default_configENS1_38merge_sort_block_merge_config_selectorI12hip_bfloat16NS0_10empty_typeEEEZZNS1_27merge_sort_block_merge_implIS3_PS5_PS6_jNS1_19radix_merge_compareILb1ELb0ES5_NS0_19identity_decomposerEEEEE10hipError_tT0_T1_T2_jT3_P12ihipStream_tbPNSt15iterator_traitsISF_E10value_typeEPNSL_ISG_E10value_typeEPSH_NS1_7vsmem_tEENKUlT_SF_SG_SH_E_clIS9_S9_SA_SA_EESE_SU_SF_SG_SH_EUlSU_E_NS1_11comp_targetILNS1_3genE10ELNS1_11target_archE1201ELNS1_3gpuE5ELNS1_3repE0EEENS1_48merge_mergepath_partition_config_static_selectorELNS0_4arch9wavefront6targetE0EEEvSG_.has_dyn_sized_stack, 0
	.set _ZN7rocprim17ROCPRIM_400000_NS6detail17trampoline_kernelINS0_14default_configENS1_38merge_sort_block_merge_config_selectorI12hip_bfloat16NS0_10empty_typeEEEZZNS1_27merge_sort_block_merge_implIS3_PS5_PS6_jNS1_19radix_merge_compareILb1ELb0ES5_NS0_19identity_decomposerEEEEE10hipError_tT0_T1_T2_jT3_P12ihipStream_tbPNSt15iterator_traitsISF_E10value_typeEPNSL_ISG_E10value_typeEPSH_NS1_7vsmem_tEENKUlT_SF_SG_SH_E_clIS9_S9_SA_SA_EESE_SU_SF_SG_SH_EUlSU_E_NS1_11comp_targetILNS1_3genE10ELNS1_11target_archE1201ELNS1_3gpuE5ELNS1_3repE0EEENS1_48merge_mergepath_partition_config_static_selectorELNS0_4arch9wavefront6targetE0EEEvSG_.has_recursion, 0
	.set _ZN7rocprim17ROCPRIM_400000_NS6detail17trampoline_kernelINS0_14default_configENS1_38merge_sort_block_merge_config_selectorI12hip_bfloat16NS0_10empty_typeEEEZZNS1_27merge_sort_block_merge_implIS3_PS5_PS6_jNS1_19radix_merge_compareILb1ELb0ES5_NS0_19identity_decomposerEEEEE10hipError_tT0_T1_T2_jT3_P12ihipStream_tbPNSt15iterator_traitsISF_E10value_typeEPNSL_ISG_E10value_typeEPSH_NS1_7vsmem_tEENKUlT_SF_SG_SH_E_clIS9_S9_SA_SA_EESE_SU_SF_SG_SH_EUlSU_E_NS1_11comp_targetILNS1_3genE10ELNS1_11target_archE1201ELNS1_3gpuE5ELNS1_3repE0EEENS1_48merge_mergepath_partition_config_static_selectorELNS0_4arch9wavefront6targetE0EEEvSG_.has_indirect_call, 0
	.section	.AMDGPU.csdata,"",@progbits
; Kernel info:
; codeLenInByte = 0
; TotalNumSgprs: 0
; NumVgprs: 0
; ScratchSize: 0
; MemoryBound: 0
; FloatMode: 240
; IeeeMode: 1
; LDSByteSize: 0 bytes/workgroup (compile time only)
; SGPRBlocks: 0
; VGPRBlocks: 0
; NumSGPRsForWavesPerEU: 1
; NumVGPRsForWavesPerEU: 1
; NamedBarCnt: 0
; Occupancy: 16
; WaveLimiterHint : 0
; COMPUTE_PGM_RSRC2:SCRATCH_EN: 0
; COMPUTE_PGM_RSRC2:USER_SGPR: 2
; COMPUTE_PGM_RSRC2:TRAP_HANDLER: 0
; COMPUTE_PGM_RSRC2:TGID_X_EN: 1
; COMPUTE_PGM_RSRC2:TGID_Y_EN: 0
; COMPUTE_PGM_RSRC2:TGID_Z_EN: 0
; COMPUTE_PGM_RSRC2:TIDIG_COMP_CNT: 0
	.section	.text._ZN7rocprim17ROCPRIM_400000_NS6detail17trampoline_kernelINS0_14default_configENS1_38merge_sort_block_merge_config_selectorI12hip_bfloat16NS0_10empty_typeEEEZZNS1_27merge_sort_block_merge_implIS3_PS5_PS6_jNS1_19radix_merge_compareILb1ELb0ES5_NS0_19identity_decomposerEEEEE10hipError_tT0_T1_T2_jT3_P12ihipStream_tbPNSt15iterator_traitsISF_E10value_typeEPNSL_ISG_E10value_typeEPSH_NS1_7vsmem_tEENKUlT_SF_SG_SH_E_clIS9_S9_SA_SA_EESE_SU_SF_SG_SH_EUlSU_E_NS1_11comp_targetILNS1_3genE5ELNS1_11target_archE942ELNS1_3gpuE9ELNS1_3repE0EEENS1_48merge_mergepath_partition_config_static_selectorELNS0_4arch9wavefront6targetE0EEEvSG_,"axG",@progbits,_ZN7rocprim17ROCPRIM_400000_NS6detail17trampoline_kernelINS0_14default_configENS1_38merge_sort_block_merge_config_selectorI12hip_bfloat16NS0_10empty_typeEEEZZNS1_27merge_sort_block_merge_implIS3_PS5_PS6_jNS1_19radix_merge_compareILb1ELb0ES5_NS0_19identity_decomposerEEEEE10hipError_tT0_T1_T2_jT3_P12ihipStream_tbPNSt15iterator_traitsISF_E10value_typeEPNSL_ISG_E10value_typeEPSH_NS1_7vsmem_tEENKUlT_SF_SG_SH_E_clIS9_S9_SA_SA_EESE_SU_SF_SG_SH_EUlSU_E_NS1_11comp_targetILNS1_3genE5ELNS1_11target_archE942ELNS1_3gpuE9ELNS1_3repE0EEENS1_48merge_mergepath_partition_config_static_selectorELNS0_4arch9wavefront6targetE0EEEvSG_,comdat
	.protected	_ZN7rocprim17ROCPRIM_400000_NS6detail17trampoline_kernelINS0_14default_configENS1_38merge_sort_block_merge_config_selectorI12hip_bfloat16NS0_10empty_typeEEEZZNS1_27merge_sort_block_merge_implIS3_PS5_PS6_jNS1_19radix_merge_compareILb1ELb0ES5_NS0_19identity_decomposerEEEEE10hipError_tT0_T1_T2_jT3_P12ihipStream_tbPNSt15iterator_traitsISF_E10value_typeEPNSL_ISG_E10value_typeEPSH_NS1_7vsmem_tEENKUlT_SF_SG_SH_E_clIS9_S9_SA_SA_EESE_SU_SF_SG_SH_EUlSU_E_NS1_11comp_targetILNS1_3genE5ELNS1_11target_archE942ELNS1_3gpuE9ELNS1_3repE0EEENS1_48merge_mergepath_partition_config_static_selectorELNS0_4arch9wavefront6targetE0EEEvSG_ ; -- Begin function _ZN7rocprim17ROCPRIM_400000_NS6detail17trampoline_kernelINS0_14default_configENS1_38merge_sort_block_merge_config_selectorI12hip_bfloat16NS0_10empty_typeEEEZZNS1_27merge_sort_block_merge_implIS3_PS5_PS6_jNS1_19radix_merge_compareILb1ELb0ES5_NS0_19identity_decomposerEEEEE10hipError_tT0_T1_T2_jT3_P12ihipStream_tbPNSt15iterator_traitsISF_E10value_typeEPNSL_ISG_E10value_typeEPSH_NS1_7vsmem_tEENKUlT_SF_SG_SH_E_clIS9_S9_SA_SA_EESE_SU_SF_SG_SH_EUlSU_E_NS1_11comp_targetILNS1_3genE5ELNS1_11target_archE942ELNS1_3gpuE9ELNS1_3repE0EEENS1_48merge_mergepath_partition_config_static_selectorELNS0_4arch9wavefront6targetE0EEEvSG_
	.globl	_ZN7rocprim17ROCPRIM_400000_NS6detail17trampoline_kernelINS0_14default_configENS1_38merge_sort_block_merge_config_selectorI12hip_bfloat16NS0_10empty_typeEEEZZNS1_27merge_sort_block_merge_implIS3_PS5_PS6_jNS1_19radix_merge_compareILb1ELb0ES5_NS0_19identity_decomposerEEEEE10hipError_tT0_T1_T2_jT3_P12ihipStream_tbPNSt15iterator_traitsISF_E10value_typeEPNSL_ISG_E10value_typeEPSH_NS1_7vsmem_tEENKUlT_SF_SG_SH_E_clIS9_S9_SA_SA_EESE_SU_SF_SG_SH_EUlSU_E_NS1_11comp_targetILNS1_3genE5ELNS1_11target_archE942ELNS1_3gpuE9ELNS1_3repE0EEENS1_48merge_mergepath_partition_config_static_selectorELNS0_4arch9wavefront6targetE0EEEvSG_
	.p2align	8
	.type	_ZN7rocprim17ROCPRIM_400000_NS6detail17trampoline_kernelINS0_14default_configENS1_38merge_sort_block_merge_config_selectorI12hip_bfloat16NS0_10empty_typeEEEZZNS1_27merge_sort_block_merge_implIS3_PS5_PS6_jNS1_19radix_merge_compareILb1ELb0ES5_NS0_19identity_decomposerEEEEE10hipError_tT0_T1_T2_jT3_P12ihipStream_tbPNSt15iterator_traitsISF_E10value_typeEPNSL_ISG_E10value_typeEPSH_NS1_7vsmem_tEENKUlT_SF_SG_SH_E_clIS9_S9_SA_SA_EESE_SU_SF_SG_SH_EUlSU_E_NS1_11comp_targetILNS1_3genE5ELNS1_11target_archE942ELNS1_3gpuE9ELNS1_3repE0EEENS1_48merge_mergepath_partition_config_static_selectorELNS0_4arch9wavefront6targetE0EEEvSG_,@function
_ZN7rocprim17ROCPRIM_400000_NS6detail17trampoline_kernelINS0_14default_configENS1_38merge_sort_block_merge_config_selectorI12hip_bfloat16NS0_10empty_typeEEEZZNS1_27merge_sort_block_merge_implIS3_PS5_PS6_jNS1_19radix_merge_compareILb1ELb0ES5_NS0_19identity_decomposerEEEEE10hipError_tT0_T1_T2_jT3_P12ihipStream_tbPNSt15iterator_traitsISF_E10value_typeEPNSL_ISG_E10value_typeEPSH_NS1_7vsmem_tEENKUlT_SF_SG_SH_E_clIS9_S9_SA_SA_EESE_SU_SF_SG_SH_EUlSU_E_NS1_11comp_targetILNS1_3genE5ELNS1_11target_archE942ELNS1_3gpuE9ELNS1_3repE0EEENS1_48merge_mergepath_partition_config_static_selectorELNS0_4arch9wavefront6targetE0EEEvSG_: ; @_ZN7rocprim17ROCPRIM_400000_NS6detail17trampoline_kernelINS0_14default_configENS1_38merge_sort_block_merge_config_selectorI12hip_bfloat16NS0_10empty_typeEEEZZNS1_27merge_sort_block_merge_implIS3_PS5_PS6_jNS1_19radix_merge_compareILb1ELb0ES5_NS0_19identity_decomposerEEEEE10hipError_tT0_T1_T2_jT3_P12ihipStream_tbPNSt15iterator_traitsISF_E10value_typeEPNSL_ISG_E10value_typeEPSH_NS1_7vsmem_tEENKUlT_SF_SG_SH_E_clIS9_S9_SA_SA_EESE_SU_SF_SG_SH_EUlSU_E_NS1_11comp_targetILNS1_3genE5ELNS1_11target_archE942ELNS1_3gpuE9ELNS1_3repE0EEENS1_48merge_mergepath_partition_config_static_selectorELNS0_4arch9wavefront6targetE0EEEvSG_
; %bb.0:
	.section	.rodata,"a",@progbits
	.p2align	6, 0x0
	.amdhsa_kernel _ZN7rocprim17ROCPRIM_400000_NS6detail17trampoline_kernelINS0_14default_configENS1_38merge_sort_block_merge_config_selectorI12hip_bfloat16NS0_10empty_typeEEEZZNS1_27merge_sort_block_merge_implIS3_PS5_PS6_jNS1_19radix_merge_compareILb1ELb0ES5_NS0_19identity_decomposerEEEEE10hipError_tT0_T1_T2_jT3_P12ihipStream_tbPNSt15iterator_traitsISF_E10value_typeEPNSL_ISG_E10value_typeEPSH_NS1_7vsmem_tEENKUlT_SF_SG_SH_E_clIS9_S9_SA_SA_EESE_SU_SF_SG_SH_EUlSU_E_NS1_11comp_targetILNS1_3genE5ELNS1_11target_archE942ELNS1_3gpuE9ELNS1_3repE0EEENS1_48merge_mergepath_partition_config_static_selectorELNS0_4arch9wavefront6targetE0EEEvSG_
		.amdhsa_group_segment_fixed_size 0
		.amdhsa_private_segment_fixed_size 0
		.amdhsa_kernarg_size 40
		.amdhsa_user_sgpr_count 2
		.amdhsa_user_sgpr_dispatch_ptr 0
		.amdhsa_user_sgpr_queue_ptr 0
		.amdhsa_user_sgpr_kernarg_segment_ptr 1
		.amdhsa_user_sgpr_dispatch_id 0
		.amdhsa_user_sgpr_kernarg_preload_length 0
		.amdhsa_user_sgpr_kernarg_preload_offset 0
		.amdhsa_user_sgpr_private_segment_size 0
		.amdhsa_wavefront_size32 1
		.amdhsa_uses_dynamic_stack 0
		.amdhsa_enable_private_segment 0
		.amdhsa_system_sgpr_workgroup_id_x 1
		.amdhsa_system_sgpr_workgroup_id_y 0
		.amdhsa_system_sgpr_workgroup_id_z 0
		.amdhsa_system_sgpr_workgroup_info 0
		.amdhsa_system_vgpr_workitem_id 0
		.amdhsa_next_free_vgpr 1
		.amdhsa_next_free_sgpr 1
		.amdhsa_named_barrier_count 0
		.amdhsa_reserve_vcc 0
		.amdhsa_float_round_mode_32 0
		.amdhsa_float_round_mode_16_64 0
		.amdhsa_float_denorm_mode_32 3
		.amdhsa_float_denorm_mode_16_64 3
		.amdhsa_fp16_overflow 0
		.amdhsa_memory_ordered 1
		.amdhsa_forward_progress 1
		.amdhsa_inst_pref_size 0
		.amdhsa_round_robin_scheduling 0
		.amdhsa_exception_fp_ieee_invalid_op 0
		.amdhsa_exception_fp_denorm_src 0
		.amdhsa_exception_fp_ieee_div_zero 0
		.amdhsa_exception_fp_ieee_overflow 0
		.amdhsa_exception_fp_ieee_underflow 0
		.amdhsa_exception_fp_ieee_inexact 0
		.amdhsa_exception_int_div_zero 0
	.end_amdhsa_kernel
	.section	.text._ZN7rocprim17ROCPRIM_400000_NS6detail17trampoline_kernelINS0_14default_configENS1_38merge_sort_block_merge_config_selectorI12hip_bfloat16NS0_10empty_typeEEEZZNS1_27merge_sort_block_merge_implIS3_PS5_PS6_jNS1_19radix_merge_compareILb1ELb0ES5_NS0_19identity_decomposerEEEEE10hipError_tT0_T1_T2_jT3_P12ihipStream_tbPNSt15iterator_traitsISF_E10value_typeEPNSL_ISG_E10value_typeEPSH_NS1_7vsmem_tEENKUlT_SF_SG_SH_E_clIS9_S9_SA_SA_EESE_SU_SF_SG_SH_EUlSU_E_NS1_11comp_targetILNS1_3genE5ELNS1_11target_archE942ELNS1_3gpuE9ELNS1_3repE0EEENS1_48merge_mergepath_partition_config_static_selectorELNS0_4arch9wavefront6targetE0EEEvSG_,"axG",@progbits,_ZN7rocprim17ROCPRIM_400000_NS6detail17trampoline_kernelINS0_14default_configENS1_38merge_sort_block_merge_config_selectorI12hip_bfloat16NS0_10empty_typeEEEZZNS1_27merge_sort_block_merge_implIS3_PS5_PS6_jNS1_19radix_merge_compareILb1ELb0ES5_NS0_19identity_decomposerEEEEE10hipError_tT0_T1_T2_jT3_P12ihipStream_tbPNSt15iterator_traitsISF_E10value_typeEPNSL_ISG_E10value_typeEPSH_NS1_7vsmem_tEENKUlT_SF_SG_SH_E_clIS9_S9_SA_SA_EESE_SU_SF_SG_SH_EUlSU_E_NS1_11comp_targetILNS1_3genE5ELNS1_11target_archE942ELNS1_3gpuE9ELNS1_3repE0EEENS1_48merge_mergepath_partition_config_static_selectorELNS0_4arch9wavefront6targetE0EEEvSG_,comdat
.Lfunc_end1908:
	.size	_ZN7rocprim17ROCPRIM_400000_NS6detail17trampoline_kernelINS0_14default_configENS1_38merge_sort_block_merge_config_selectorI12hip_bfloat16NS0_10empty_typeEEEZZNS1_27merge_sort_block_merge_implIS3_PS5_PS6_jNS1_19radix_merge_compareILb1ELb0ES5_NS0_19identity_decomposerEEEEE10hipError_tT0_T1_T2_jT3_P12ihipStream_tbPNSt15iterator_traitsISF_E10value_typeEPNSL_ISG_E10value_typeEPSH_NS1_7vsmem_tEENKUlT_SF_SG_SH_E_clIS9_S9_SA_SA_EESE_SU_SF_SG_SH_EUlSU_E_NS1_11comp_targetILNS1_3genE5ELNS1_11target_archE942ELNS1_3gpuE9ELNS1_3repE0EEENS1_48merge_mergepath_partition_config_static_selectorELNS0_4arch9wavefront6targetE0EEEvSG_, .Lfunc_end1908-_ZN7rocprim17ROCPRIM_400000_NS6detail17trampoline_kernelINS0_14default_configENS1_38merge_sort_block_merge_config_selectorI12hip_bfloat16NS0_10empty_typeEEEZZNS1_27merge_sort_block_merge_implIS3_PS5_PS6_jNS1_19radix_merge_compareILb1ELb0ES5_NS0_19identity_decomposerEEEEE10hipError_tT0_T1_T2_jT3_P12ihipStream_tbPNSt15iterator_traitsISF_E10value_typeEPNSL_ISG_E10value_typeEPSH_NS1_7vsmem_tEENKUlT_SF_SG_SH_E_clIS9_S9_SA_SA_EESE_SU_SF_SG_SH_EUlSU_E_NS1_11comp_targetILNS1_3genE5ELNS1_11target_archE942ELNS1_3gpuE9ELNS1_3repE0EEENS1_48merge_mergepath_partition_config_static_selectorELNS0_4arch9wavefront6targetE0EEEvSG_
                                        ; -- End function
	.set _ZN7rocprim17ROCPRIM_400000_NS6detail17trampoline_kernelINS0_14default_configENS1_38merge_sort_block_merge_config_selectorI12hip_bfloat16NS0_10empty_typeEEEZZNS1_27merge_sort_block_merge_implIS3_PS5_PS6_jNS1_19radix_merge_compareILb1ELb0ES5_NS0_19identity_decomposerEEEEE10hipError_tT0_T1_T2_jT3_P12ihipStream_tbPNSt15iterator_traitsISF_E10value_typeEPNSL_ISG_E10value_typeEPSH_NS1_7vsmem_tEENKUlT_SF_SG_SH_E_clIS9_S9_SA_SA_EESE_SU_SF_SG_SH_EUlSU_E_NS1_11comp_targetILNS1_3genE5ELNS1_11target_archE942ELNS1_3gpuE9ELNS1_3repE0EEENS1_48merge_mergepath_partition_config_static_selectorELNS0_4arch9wavefront6targetE0EEEvSG_.num_vgpr, 0
	.set _ZN7rocprim17ROCPRIM_400000_NS6detail17trampoline_kernelINS0_14default_configENS1_38merge_sort_block_merge_config_selectorI12hip_bfloat16NS0_10empty_typeEEEZZNS1_27merge_sort_block_merge_implIS3_PS5_PS6_jNS1_19radix_merge_compareILb1ELb0ES5_NS0_19identity_decomposerEEEEE10hipError_tT0_T1_T2_jT3_P12ihipStream_tbPNSt15iterator_traitsISF_E10value_typeEPNSL_ISG_E10value_typeEPSH_NS1_7vsmem_tEENKUlT_SF_SG_SH_E_clIS9_S9_SA_SA_EESE_SU_SF_SG_SH_EUlSU_E_NS1_11comp_targetILNS1_3genE5ELNS1_11target_archE942ELNS1_3gpuE9ELNS1_3repE0EEENS1_48merge_mergepath_partition_config_static_selectorELNS0_4arch9wavefront6targetE0EEEvSG_.num_agpr, 0
	.set _ZN7rocprim17ROCPRIM_400000_NS6detail17trampoline_kernelINS0_14default_configENS1_38merge_sort_block_merge_config_selectorI12hip_bfloat16NS0_10empty_typeEEEZZNS1_27merge_sort_block_merge_implIS3_PS5_PS6_jNS1_19radix_merge_compareILb1ELb0ES5_NS0_19identity_decomposerEEEEE10hipError_tT0_T1_T2_jT3_P12ihipStream_tbPNSt15iterator_traitsISF_E10value_typeEPNSL_ISG_E10value_typeEPSH_NS1_7vsmem_tEENKUlT_SF_SG_SH_E_clIS9_S9_SA_SA_EESE_SU_SF_SG_SH_EUlSU_E_NS1_11comp_targetILNS1_3genE5ELNS1_11target_archE942ELNS1_3gpuE9ELNS1_3repE0EEENS1_48merge_mergepath_partition_config_static_selectorELNS0_4arch9wavefront6targetE0EEEvSG_.numbered_sgpr, 0
	.set _ZN7rocprim17ROCPRIM_400000_NS6detail17trampoline_kernelINS0_14default_configENS1_38merge_sort_block_merge_config_selectorI12hip_bfloat16NS0_10empty_typeEEEZZNS1_27merge_sort_block_merge_implIS3_PS5_PS6_jNS1_19radix_merge_compareILb1ELb0ES5_NS0_19identity_decomposerEEEEE10hipError_tT0_T1_T2_jT3_P12ihipStream_tbPNSt15iterator_traitsISF_E10value_typeEPNSL_ISG_E10value_typeEPSH_NS1_7vsmem_tEENKUlT_SF_SG_SH_E_clIS9_S9_SA_SA_EESE_SU_SF_SG_SH_EUlSU_E_NS1_11comp_targetILNS1_3genE5ELNS1_11target_archE942ELNS1_3gpuE9ELNS1_3repE0EEENS1_48merge_mergepath_partition_config_static_selectorELNS0_4arch9wavefront6targetE0EEEvSG_.num_named_barrier, 0
	.set _ZN7rocprim17ROCPRIM_400000_NS6detail17trampoline_kernelINS0_14default_configENS1_38merge_sort_block_merge_config_selectorI12hip_bfloat16NS0_10empty_typeEEEZZNS1_27merge_sort_block_merge_implIS3_PS5_PS6_jNS1_19radix_merge_compareILb1ELb0ES5_NS0_19identity_decomposerEEEEE10hipError_tT0_T1_T2_jT3_P12ihipStream_tbPNSt15iterator_traitsISF_E10value_typeEPNSL_ISG_E10value_typeEPSH_NS1_7vsmem_tEENKUlT_SF_SG_SH_E_clIS9_S9_SA_SA_EESE_SU_SF_SG_SH_EUlSU_E_NS1_11comp_targetILNS1_3genE5ELNS1_11target_archE942ELNS1_3gpuE9ELNS1_3repE0EEENS1_48merge_mergepath_partition_config_static_selectorELNS0_4arch9wavefront6targetE0EEEvSG_.private_seg_size, 0
	.set _ZN7rocprim17ROCPRIM_400000_NS6detail17trampoline_kernelINS0_14default_configENS1_38merge_sort_block_merge_config_selectorI12hip_bfloat16NS0_10empty_typeEEEZZNS1_27merge_sort_block_merge_implIS3_PS5_PS6_jNS1_19radix_merge_compareILb1ELb0ES5_NS0_19identity_decomposerEEEEE10hipError_tT0_T1_T2_jT3_P12ihipStream_tbPNSt15iterator_traitsISF_E10value_typeEPNSL_ISG_E10value_typeEPSH_NS1_7vsmem_tEENKUlT_SF_SG_SH_E_clIS9_S9_SA_SA_EESE_SU_SF_SG_SH_EUlSU_E_NS1_11comp_targetILNS1_3genE5ELNS1_11target_archE942ELNS1_3gpuE9ELNS1_3repE0EEENS1_48merge_mergepath_partition_config_static_selectorELNS0_4arch9wavefront6targetE0EEEvSG_.uses_vcc, 0
	.set _ZN7rocprim17ROCPRIM_400000_NS6detail17trampoline_kernelINS0_14default_configENS1_38merge_sort_block_merge_config_selectorI12hip_bfloat16NS0_10empty_typeEEEZZNS1_27merge_sort_block_merge_implIS3_PS5_PS6_jNS1_19radix_merge_compareILb1ELb0ES5_NS0_19identity_decomposerEEEEE10hipError_tT0_T1_T2_jT3_P12ihipStream_tbPNSt15iterator_traitsISF_E10value_typeEPNSL_ISG_E10value_typeEPSH_NS1_7vsmem_tEENKUlT_SF_SG_SH_E_clIS9_S9_SA_SA_EESE_SU_SF_SG_SH_EUlSU_E_NS1_11comp_targetILNS1_3genE5ELNS1_11target_archE942ELNS1_3gpuE9ELNS1_3repE0EEENS1_48merge_mergepath_partition_config_static_selectorELNS0_4arch9wavefront6targetE0EEEvSG_.uses_flat_scratch, 0
	.set _ZN7rocprim17ROCPRIM_400000_NS6detail17trampoline_kernelINS0_14default_configENS1_38merge_sort_block_merge_config_selectorI12hip_bfloat16NS0_10empty_typeEEEZZNS1_27merge_sort_block_merge_implIS3_PS5_PS6_jNS1_19radix_merge_compareILb1ELb0ES5_NS0_19identity_decomposerEEEEE10hipError_tT0_T1_T2_jT3_P12ihipStream_tbPNSt15iterator_traitsISF_E10value_typeEPNSL_ISG_E10value_typeEPSH_NS1_7vsmem_tEENKUlT_SF_SG_SH_E_clIS9_S9_SA_SA_EESE_SU_SF_SG_SH_EUlSU_E_NS1_11comp_targetILNS1_3genE5ELNS1_11target_archE942ELNS1_3gpuE9ELNS1_3repE0EEENS1_48merge_mergepath_partition_config_static_selectorELNS0_4arch9wavefront6targetE0EEEvSG_.has_dyn_sized_stack, 0
	.set _ZN7rocprim17ROCPRIM_400000_NS6detail17trampoline_kernelINS0_14default_configENS1_38merge_sort_block_merge_config_selectorI12hip_bfloat16NS0_10empty_typeEEEZZNS1_27merge_sort_block_merge_implIS3_PS5_PS6_jNS1_19radix_merge_compareILb1ELb0ES5_NS0_19identity_decomposerEEEEE10hipError_tT0_T1_T2_jT3_P12ihipStream_tbPNSt15iterator_traitsISF_E10value_typeEPNSL_ISG_E10value_typeEPSH_NS1_7vsmem_tEENKUlT_SF_SG_SH_E_clIS9_S9_SA_SA_EESE_SU_SF_SG_SH_EUlSU_E_NS1_11comp_targetILNS1_3genE5ELNS1_11target_archE942ELNS1_3gpuE9ELNS1_3repE0EEENS1_48merge_mergepath_partition_config_static_selectorELNS0_4arch9wavefront6targetE0EEEvSG_.has_recursion, 0
	.set _ZN7rocprim17ROCPRIM_400000_NS6detail17trampoline_kernelINS0_14default_configENS1_38merge_sort_block_merge_config_selectorI12hip_bfloat16NS0_10empty_typeEEEZZNS1_27merge_sort_block_merge_implIS3_PS5_PS6_jNS1_19radix_merge_compareILb1ELb0ES5_NS0_19identity_decomposerEEEEE10hipError_tT0_T1_T2_jT3_P12ihipStream_tbPNSt15iterator_traitsISF_E10value_typeEPNSL_ISG_E10value_typeEPSH_NS1_7vsmem_tEENKUlT_SF_SG_SH_E_clIS9_S9_SA_SA_EESE_SU_SF_SG_SH_EUlSU_E_NS1_11comp_targetILNS1_3genE5ELNS1_11target_archE942ELNS1_3gpuE9ELNS1_3repE0EEENS1_48merge_mergepath_partition_config_static_selectorELNS0_4arch9wavefront6targetE0EEEvSG_.has_indirect_call, 0
	.section	.AMDGPU.csdata,"",@progbits
; Kernel info:
; codeLenInByte = 0
; TotalNumSgprs: 0
; NumVgprs: 0
; ScratchSize: 0
; MemoryBound: 0
; FloatMode: 240
; IeeeMode: 1
; LDSByteSize: 0 bytes/workgroup (compile time only)
; SGPRBlocks: 0
; VGPRBlocks: 0
; NumSGPRsForWavesPerEU: 1
; NumVGPRsForWavesPerEU: 1
; NamedBarCnt: 0
; Occupancy: 16
; WaveLimiterHint : 0
; COMPUTE_PGM_RSRC2:SCRATCH_EN: 0
; COMPUTE_PGM_RSRC2:USER_SGPR: 2
; COMPUTE_PGM_RSRC2:TRAP_HANDLER: 0
; COMPUTE_PGM_RSRC2:TGID_X_EN: 1
; COMPUTE_PGM_RSRC2:TGID_Y_EN: 0
; COMPUTE_PGM_RSRC2:TGID_Z_EN: 0
; COMPUTE_PGM_RSRC2:TIDIG_COMP_CNT: 0
	.section	.text._ZN7rocprim17ROCPRIM_400000_NS6detail17trampoline_kernelINS0_14default_configENS1_38merge_sort_block_merge_config_selectorI12hip_bfloat16NS0_10empty_typeEEEZZNS1_27merge_sort_block_merge_implIS3_PS5_PS6_jNS1_19radix_merge_compareILb1ELb0ES5_NS0_19identity_decomposerEEEEE10hipError_tT0_T1_T2_jT3_P12ihipStream_tbPNSt15iterator_traitsISF_E10value_typeEPNSL_ISG_E10value_typeEPSH_NS1_7vsmem_tEENKUlT_SF_SG_SH_E_clIS9_S9_SA_SA_EESE_SU_SF_SG_SH_EUlSU_E_NS1_11comp_targetILNS1_3genE4ELNS1_11target_archE910ELNS1_3gpuE8ELNS1_3repE0EEENS1_48merge_mergepath_partition_config_static_selectorELNS0_4arch9wavefront6targetE0EEEvSG_,"axG",@progbits,_ZN7rocprim17ROCPRIM_400000_NS6detail17trampoline_kernelINS0_14default_configENS1_38merge_sort_block_merge_config_selectorI12hip_bfloat16NS0_10empty_typeEEEZZNS1_27merge_sort_block_merge_implIS3_PS5_PS6_jNS1_19radix_merge_compareILb1ELb0ES5_NS0_19identity_decomposerEEEEE10hipError_tT0_T1_T2_jT3_P12ihipStream_tbPNSt15iterator_traitsISF_E10value_typeEPNSL_ISG_E10value_typeEPSH_NS1_7vsmem_tEENKUlT_SF_SG_SH_E_clIS9_S9_SA_SA_EESE_SU_SF_SG_SH_EUlSU_E_NS1_11comp_targetILNS1_3genE4ELNS1_11target_archE910ELNS1_3gpuE8ELNS1_3repE0EEENS1_48merge_mergepath_partition_config_static_selectorELNS0_4arch9wavefront6targetE0EEEvSG_,comdat
	.protected	_ZN7rocprim17ROCPRIM_400000_NS6detail17trampoline_kernelINS0_14default_configENS1_38merge_sort_block_merge_config_selectorI12hip_bfloat16NS0_10empty_typeEEEZZNS1_27merge_sort_block_merge_implIS3_PS5_PS6_jNS1_19radix_merge_compareILb1ELb0ES5_NS0_19identity_decomposerEEEEE10hipError_tT0_T1_T2_jT3_P12ihipStream_tbPNSt15iterator_traitsISF_E10value_typeEPNSL_ISG_E10value_typeEPSH_NS1_7vsmem_tEENKUlT_SF_SG_SH_E_clIS9_S9_SA_SA_EESE_SU_SF_SG_SH_EUlSU_E_NS1_11comp_targetILNS1_3genE4ELNS1_11target_archE910ELNS1_3gpuE8ELNS1_3repE0EEENS1_48merge_mergepath_partition_config_static_selectorELNS0_4arch9wavefront6targetE0EEEvSG_ ; -- Begin function _ZN7rocprim17ROCPRIM_400000_NS6detail17trampoline_kernelINS0_14default_configENS1_38merge_sort_block_merge_config_selectorI12hip_bfloat16NS0_10empty_typeEEEZZNS1_27merge_sort_block_merge_implIS3_PS5_PS6_jNS1_19radix_merge_compareILb1ELb0ES5_NS0_19identity_decomposerEEEEE10hipError_tT0_T1_T2_jT3_P12ihipStream_tbPNSt15iterator_traitsISF_E10value_typeEPNSL_ISG_E10value_typeEPSH_NS1_7vsmem_tEENKUlT_SF_SG_SH_E_clIS9_S9_SA_SA_EESE_SU_SF_SG_SH_EUlSU_E_NS1_11comp_targetILNS1_3genE4ELNS1_11target_archE910ELNS1_3gpuE8ELNS1_3repE0EEENS1_48merge_mergepath_partition_config_static_selectorELNS0_4arch9wavefront6targetE0EEEvSG_
	.globl	_ZN7rocprim17ROCPRIM_400000_NS6detail17trampoline_kernelINS0_14default_configENS1_38merge_sort_block_merge_config_selectorI12hip_bfloat16NS0_10empty_typeEEEZZNS1_27merge_sort_block_merge_implIS3_PS5_PS6_jNS1_19radix_merge_compareILb1ELb0ES5_NS0_19identity_decomposerEEEEE10hipError_tT0_T1_T2_jT3_P12ihipStream_tbPNSt15iterator_traitsISF_E10value_typeEPNSL_ISG_E10value_typeEPSH_NS1_7vsmem_tEENKUlT_SF_SG_SH_E_clIS9_S9_SA_SA_EESE_SU_SF_SG_SH_EUlSU_E_NS1_11comp_targetILNS1_3genE4ELNS1_11target_archE910ELNS1_3gpuE8ELNS1_3repE0EEENS1_48merge_mergepath_partition_config_static_selectorELNS0_4arch9wavefront6targetE0EEEvSG_
	.p2align	8
	.type	_ZN7rocprim17ROCPRIM_400000_NS6detail17trampoline_kernelINS0_14default_configENS1_38merge_sort_block_merge_config_selectorI12hip_bfloat16NS0_10empty_typeEEEZZNS1_27merge_sort_block_merge_implIS3_PS5_PS6_jNS1_19radix_merge_compareILb1ELb0ES5_NS0_19identity_decomposerEEEEE10hipError_tT0_T1_T2_jT3_P12ihipStream_tbPNSt15iterator_traitsISF_E10value_typeEPNSL_ISG_E10value_typeEPSH_NS1_7vsmem_tEENKUlT_SF_SG_SH_E_clIS9_S9_SA_SA_EESE_SU_SF_SG_SH_EUlSU_E_NS1_11comp_targetILNS1_3genE4ELNS1_11target_archE910ELNS1_3gpuE8ELNS1_3repE0EEENS1_48merge_mergepath_partition_config_static_selectorELNS0_4arch9wavefront6targetE0EEEvSG_,@function
_ZN7rocprim17ROCPRIM_400000_NS6detail17trampoline_kernelINS0_14default_configENS1_38merge_sort_block_merge_config_selectorI12hip_bfloat16NS0_10empty_typeEEEZZNS1_27merge_sort_block_merge_implIS3_PS5_PS6_jNS1_19radix_merge_compareILb1ELb0ES5_NS0_19identity_decomposerEEEEE10hipError_tT0_T1_T2_jT3_P12ihipStream_tbPNSt15iterator_traitsISF_E10value_typeEPNSL_ISG_E10value_typeEPSH_NS1_7vsmem_tEENKUlT_SF_SG_SH_E_clIS9_S9_SA_SA_EESE_SU_SF_SG_SH_EUlSU_E_NS1_11comp_targetILNS1_3genE4ELNS1_11target_archE910ELNS1_3gpuE8ELNS1_3repE0EEENS1_48merge_mergepath_partition_config_static_selectorELNS0_4arch9wavefront6targetE0EEEvSG_: ; @_ZN7rocprim17ROCPRIM_400000_NS6detail17trampoline_kernelINS0_14default_configENS1_38merge_sort_block_merge_config_selectorI12hip_bfloat16NS0_10empty_typeEEEZZNS1_27merge_sort_block_merge_implIS3_PS5_PS6_jNS1_19radix_merge_compareILb1ELb0ES5_NS0_19identity_decomposerEEEEE10hipError_tT0_T1_T2_jT3_P12ihipStream_tbPNSt15iterator_traitsISF_E10value_typeEPNSL_ISG_E10value_typeEPSH_NS1_7vsmem_tEENKUlT_SF_SG_SH_E_clIS9_S9_SA_SA_EESE_SU_SF_SG_SH_EUlSU_E_NS1_11comp_targetILNS1_3genE4ELNS1_11target_archE910ELNS1_3gpuE8ELNS1_3repE0EEENS1_48merge_mergepath_partition_config_static_selectorELNS0_4arch9wavefront6targetE0EEEvSG_
; %bb.0:
	.section	.rodata,"a",@progbits
	.p2align	6, 0x0
	.amdhsa_kernel _ZN7rocprim17ROCPRIM_400000_NS6detail17trampoline_kernelINS0_14default_configENS1_38merge_sort_block_merge_config_selectorI12hip_bfloat16NS0_10empty_typeEEEZZNS1_27merge_sort_block_merge_implIS3_PS5_PS6_jNS1_19radix_merge_compareILb1ELb0ES5_NS0_19identity_decomposerEEEEE10hipError_tT0_T1_T2_jT3_P12ihipStream_tbPNSt15iterator_traitsISF_E10value_typeEPNSL_ISG_E10value_typeEPSH_NS1_7vsmem_tEENKUlT_SF_SG_SH_E_clIS9_S9_SA_SA_EESE_SU_SF_SG_SH_EUlSU_E_NS1_11comp_targetILNS1_3genE4ELNS1_11target_archE910ELNS1_3gpuE8ELNS1_3repE0EEENS1_48merge_mergepath_partition_config_static_selectorELNS0_4arch9wavefront6targetE0EEEvSG_
		.amdhsa_group_segment_fixed_size 0
		.amdhsa_private_segment_fixed_size 0
		.amdhsa_kernarg_size 40
		.amdhsa_user_sgpr_count 2
		.amdhsa_user_sgpr_dispatch_ptr 0
		.amdhsa_user_sgpr_queue_ptr 0
		.amdhsa_user_sgpr_kernarg_segment_ptr 1
		.amdhsa_user_sgpr_dispatch_id 0
		.amdhsa_user_sgpr_kernarg_preload_length 0
		.amdhsa_user_sgpr_kernarg_preload_offset 0
		.amdhsa_user_sgpr_private_segment_size 0
		.amdhsa_wavefront_size32 1
		.amdhsa_uses_dynamic_stack 0
		.amdhsa_enable_private_segment 0
		.amdhsa_system_sgpr_workgroup_id_x 1
		.amdhsa_system_sgpr_workgroup_id_y 0
		.amdhsa_system_sgpr_workgroup_id_z 0
		.amdhsa_system_sgpr_workgroup_info 0
		.amdhsa_system_vgpr_workitem_id 0
		.amdhsa_next_free_vgpr 1
		.amdhsa_next_free_sgpr 1
		.amdhsa_named_barrier_count 0
		.amdhsa_reserve_vcc 0
		.amdhsa_float_round_mode_32 0
		.amdhsa_float_round_mode_16_64 0
		.amdhsa_float_denorm_mode_32 3
		.amdhsa_float_denorm_mode_16_64 3
		.amdhsa_fp16_overflow 0
		.amdhsa_memory_ordered 1
		.amdhsa_forward_progress 1
		.amdhsa_inst_pref_size 0
		.amdhsa_round_robin_scheduling 0
		.amdhsa_exception_fp_ieee_invalid_op 0
		.amdhsa_exception_fp_denorm_src 0
		.amdhsa_exception_fp_ieee_div_zero 0
		.amdhsa_exception_fp_ieee_overflow 0
		.amdhsa_exception_fp_ieee_underflow 0
		.amdhsa_exception_fp_ieee_inexact 0
		.amdhsa_exception_int_div_zero 0
	.end_amdhsa_kernel
	.section	.text._ZN7rocprim17ROCPRIM_400000_NS6detail17trampoline_kernelINS0_14default_configENS1_38merge_sort_block_merge_config_selectorI12hip_bfloat16NS0_10empty_typeEEEZZNS1_27merge_sort_block_merge_implIS3_PS5_PS6_jNS1_19radix_merge_compareILb1ELb0ES5_NS0_19identity_decomposerEEEEE10hipError_tT0_T1_T2_jT3_P12ihipStream_tbPNSt15iterator_traitsISF_E10value_typeEPNSL_ISG_E10value_typeEPSH_NS1_7vsmem_tEENKUlT_SF_SG_SH_E_clIS9_S9_SA_SA_EESE_SU_SF_SG_SH_EUlSU_E_NS1_11comp_targetILNS1_3genE4ELNS1_11target_archE910ELNS1_3gpuE8ELNS1_3repE0EEENS1_48merge_mergepath_partition_config_static_selectorELNS0_4arch9wavefront6targetE0EEEvSG_,"axG",@progbits,_ZN7rocprim17ROCPRIM_400000_NS6detail17trampoline_kernelINS0_14default_configENS1_38merge_sort_block_merge_config_selectorI12hip_bfloat16NS0_10empty_typeEEEZZNS1_27merge_sort_block_merge_implIS3_PS5_PS6_jNS1_19radix_merge_compareILb1ELb0ES5_NS0_19identity_decomposerEEEEE10hipError_tT0_T1_T2_jT3_P12ihipStream_tbPNSt15iterator_traitsISF_E10value_typeEPNSL_ISG_E10value_typeEPSH_NS1_7vsmem_tEENKUlT_SF_SG_SH_E_clIS9_S9_SA_SA_EESE_SU_SF_SG_SH_EUlSU_E_NS1_11comp_targetILNS1_3genE4ELNS1_11target_archE910ELNS1_3gpuE8ELNS1_3repE0EEENS1_48merge_mergepath_partition_config_static_selectorELNS0_4arch9wavefront6targetE0EEEvSG_,comdat
.Lfunc_end1909:
	.size	_ZN7rocprim17ROCPRIM_400000_NS6detail17trampoline_kernelINS0_14default_configENS1_38merge_sort_block_merge_config_selectorI12hip_bfloat16NS0_10empty_typeEEEZZNS1_27merge_sort_block_merge_implIS3_PS5_PS6_jNS1_19radix_merge_compareILb1ELb0ES5_NS0_19identity_decomposerEEEEE10hipError_tT0_T1_T2_jT3_P12ihipStream_tbPNSt15iterator_traitsISF_E10value_typeEPNSL_ISG_E10value_typeEPSH_NS1_7vsmem_tEENKUlT_SF_SG_SH_E_clIS9_S9_SA_SA_EESE_SU_SF_SG_SH_EUlSU_E_NS1_11comp_targetILNS1_3genE4ELNS1_11target_archE910ELNS1_3gpuE8ELNS1_3repE0EEENS1_48merge_mergepath_partition_config_static_selectorELNS0_4arch9wavefront6targetE0EEEvSG_, .Lfunc_end1909-_ZN7rocprim17ROCPRIM_400000_NS6detail17trampoline_kernelINS0_14default_configENS1_38merge_sort_block_merge_config_selectorI12hip_bfloat16NS0_10empty_typeEEEZZNS1_27merge_sort_block_merge_implIS3_PS5_PS6_jNS1_19radix_merge_compareILb1ELb0ES5_NS0_19identity_decomposerEEEEE10hipError_tT0_T1_T2_jT3_P12ihipStream_tbPNSt15iterator_traitsISF_E10value_typeEPNSL_ISG_E10value_typeEPSH_NS1_7vsmem_tEENKUlT_SF_SG_SH_E_clIS9_S9_SA_SA_EESE_SU_SF_SG_SH_EUlSU_E_NS1_11comp_targetILNS1_3genE4ELNS1_11target_archE910ELNS1_3gpuE8ELNS1_3repE0EEENS1_48merge_mergepath_partition_config_static_selectorELNS0_4arch9wavefront6targetE0EEEvSG_
                                        ; -- End function
	.set _ZN7rocprim17ROCPRIM_400000_NS6detail17trampoline_kernelINS0_14default_configENS1_38merge_sort_block_merge_config_selectorI12hip_bfloat16NS0_10empty_typeEEEZZNS1_27merge_sort_block_merge_implIS3_PS5_PS6_jNS1_19radix_merge_compareILb1ELb0ES5_NS0_19identity_decomposerEEEEE10hipError_tT0_T1_T2_jT3_P12ihipStream_tbPNSt15iterator_traitsISF_E10value_typeEPNSL_ISG_E10value_typeEPSH_NS1_7vsmem_tEENKUlT_SF_SG_SH_E_clIS9_S9_SA_SA_EESE_SU_SF_SG_SH_EUlSU_E_NS1_11comp_targetILNS1_3genE4ELNS1_11target_archE910ELNS1_3gpuE8ELNS1_3repE0EEENS1_48merge_mergepath_partition_config_static_selectorELNS0_4arch9wavefront6targetE0EEEvSG_.num_vgpr, 0
	.set _ZN7rocprim17ROCPRIM_400000_NS6detail17trampoline_kernelINS0_14default_configENS1_38merge_sort_block_merge_config_selectorI12hip_bfloat16NS0_10empty_typeEEEZZNS1_27merge_sort_block_merge_implIS3_PS5_PS6_jNS1_19radix_merge_compareILb1ELb0ES5_NS0_19identity_decomposerEEEEE10hipError_tT0_T1_T2_jT3_P12ihipStream_tbPNSt15iterator_traitsISF_E10value_typeEPNSL_ISG_E10value_typeEPSH_NS1_7vsmem_tEENKUlT_SF_SG_SH_E_clIS9_S9_SA_SA_EESE_SU_SF_SG_SH_EUlSU_E_NS1_11comp_targetILNS1_3genE4ELNS1_11target_archE910ELNS1_3gpuE8ELNS1_3repE0EEENS1_48merge_mergepath_partition_config_static_selectorELNS0_4arch9wavefront6targetE0EEEvSG_.num_agpr, 0
	.set _ZN7rocprim17ROCPRIM_400000_NS6detail17trampoline_kernelINS0_14default_configENS1_38merge_sort_block_merge_config_selectorI12hip_bfloat16NS0_10empty_typeEEEZZNS1_27merge_sort_block_merge_implIS3_PS5_PS6_jNS1_19radix_merge_compareILb1ELb0ES5_NS0_19identity_decomposerEEEEE10hipError_tT0_T1_T2_jT3_P12ihipStream_tbPNSt15iterator_traitsISF_E10value_typeEPNSL_ISG_E10value_typeEPSH_NS1_7vsmem_tEENKUlT_SF_SG_SH_E_clIS9_S9_SA_SA_EESE_SU_SF_SG_SH_EUlSU_E_NS1_11comp_targetILNS1_3genE4ELNS1_11target_archE910ELNS1_3gpuE8ELNS1_3repE0EEENS1_48merge_mergepath_partition_config_static_selectorELNS0_4arch9wavefront6targetE0EEEvSG_.numbered_sgpr, 0
	.set _ZN7rocprim17ROCPRIM_400000_NS6detail17trampoline_kernelINS0_14default_configENS1_38merge_sort_block_merge_config_selectorI12hip_bfloat16NS0_10empty_typeEEEZZNS1_27merge_sort_block_merge_implIS3_PS5_PS6_jNS1_19radix_merge_compareILb1ELb0ES5_NS0_19identity_decomposerEEEEE10hipError_tT0_T1_T2_jT3_P12ihipStream_tbPNSt15iterator_traitsISF_E10value_typeEPNSL_ISG_E10value_typeEPSH_NS1_7vsmem_tEENKUlT_SF_SG_SH_E_clIS9_S9_SA_SA_EESE_SU_SF_SG_SH_EUlSU_E_NS1_11comp_targetILNS1_3genE4ELNS1_11target_archE910ELNS1_3gpuE8ELNS1_3repE0EEENS1_48merge_mergepath_partition_config_static_selectorELNS0_4arch9wavefront6targetE0EEEvSG_.num_named_barrier, 0
	.set _ZN7rocprim17ROCPRIM_400000_NS6detail17trampoline_kernelINS0_14default_configENS1_38merge_sort_block_merge_config_selectorI12hip_bfloat16NS0_10empty_typeEEEZZNS1_27merge_sort_block_merge_implIS3_PS5_PS6_jNS1_19radix_merge_compareILb1ELb0ES5_NS0_19identity_decomposerEEEEE10hipError_tT0_T1_T2_jT3_P12ihipStream_tbPNSt15iterator_traitsISF_E10value_typeEPNSL_ISG_E10value_typeEPSH_NS1_7vsmem_tEENKUlT_SF_SG_SH_E_clIS9_S9_SA_SA_EESE_SU_SF_SG_SH_EUlSU_E_NS1_11comp_targetILNS1_3genE4ELNS1_11target_archE910ELNS1_3gpuE8ELNS1_3repE0EEENS1_48merge_mergepath_partition_config_static_selectorELNS0_4arch9wavefront6targetE0EEEvSG_.private_seg_size, 0
	.set _ZN7rocprim17ROCPRIM_400000_NS6detail17trampoline_kernelINS0_14default_configENS1_38merge_sort_block_merge_config_selectorI12hip_bfloat16NS0_10empty_typeEEEZZNS1_27merge_sort_block_merge_implIS3_PS5_PS6_jNS1_19radix_merge_compareILb1ELb0ES5_NS0_19identity_decomposerEEEEE10hipError_tT0_T1_T2_jT3_P12ihipStream_tbPNSt15iterator_traitsISF_E10value_typeEPNSL_ISG_E10value_typeEPSH_NS1_7vsmem_tEENKUlT_SF_SG_SH_E_clIS9_S9_SA_SA_EESE_SU_SF_SG_SH_EUlSU_E_NS1_11comp_targetILNS1_3genE4ELNS1_11target_archE910ELNS1_3gpuE8ELNS1_3repE0EEENS1_48merge_mergepath_partition_config_static_selectorELNS0_4arch9wavefront6targetE0EEEvSG_.uses_vcc, 0
	.set _ZN7rocprim17ROCPRIM_400000_NS6detail17trampoline_kernelINS0_14default_configENS1_38merge_sort_block_merge_config_selectorI12hip_bfloat16NS0_10empty_typeEEEZZNS1_27merge_sort_block_merge_implIS3_PS5_PS6_jNS1_19radix_merge_compareILb1ELb0ES5_NS0_19identity_decomposerEEEEE10hipError_tT0_T1_T2_jT3_P12ihipStream_tbPNSt15iterator_traitsISF_E10value_typeEPNSL_ISG_E10value_typeEPSH_NS1_7vsmem_tEENKUlT_SF_SG_SH_E_clIS9_S9_SA_SA_EESE_SU_SF_SG_SH_EUlSU_E_NS1_11comp_targetILNS1_3genE4ELNS1_11target_archE910ELNS1_3gpuE8ELNS1_3repE0EEENS1_48merge_mergepath_partition_config_static_selectorELNS0_4arch9wavefront6targetE0EEEvSG_.uses_flat_scratch, 0
	.set _ZN7rocprim17ROCPRIM_400000_NS6detail17trampoline_kernelINS0_14default_configENS1_38merge_sort_block_merge_config_selectorI12hip_bfloat16NS0_10empty_typeEEEZZNS1_27merge_sort_block_merge_implIS3_PS5_PS6_jNS1_19radix_merge_compareILb1ELb0ES5_NS0_19identity_decomposerEEEEE10hipError_tT0_T1_T2_jT3_P12ihipStream_tbPNSt15iterator_traitsISF_E10value_typeEPNSL_ISG_E10value_typeEPSH_NS1_7vsmem_tEENKUlT_SF_SG_SH_E_clIS9_S9_SA_SA_EESE_SU_SF_SG_SH_EUlSU_E_NS1_11comp_targetILNS1_3genE4ELNS1_11target_archE910ELNS1_3gpuE8ELNS1_3repE0EEENS1_48merge_mergepath_partition_config_static_selectorELNS0_4arch9wavefront6targetE0EEEvSG_.has_dyn_sized_stack, 0
	.set _ZN7rocprim17ROCPRIM_400000_NS6detail17trampoline_kernelINS0_14default_configENS1_38merge_sort_block_merge_config_selectorI12hip_bfloat16NS0_10empty_typeEEEZZNS1_27merge_sort_block_merge_implIS3_PS5_PS6_jNS1_19radix_merge_compareILb1ELb0ES5_NS0_19identity_decomposerEEEEE10hipError_tT0_T1_T2_jT3_P12ihipStream_tbPNSt15iterator_traitsISF_E10value_typeEPNSL_ISG_E10value_typeEPSH_NS1_7vsmem_tEENKUlT_SF_SG_SH_E_clIS9_S9_SA_SA_EESE_SU_SF_SG_SH_EUlSU_E_NS1_11comp_targetILNS1_3genE4ELNS1_11target_archE910ELNS1_3gpuE8ELNS1_3repE0EEENS1_48merge_mergepath_partition_config_static_selectorELNS0_4arch9wavefront6targetE0EEEvSG_.has_recursion, 0
	.set _ZN7rocprim17ROCPRIM_400000_NS6detail17trampoline_kernelINS0_14default_configENS1_38merge_sort_block_merge_config_selectorI12hip_bfloat16NS0_10empty_typeEEEZZNS1_27merge_sort_block_merge_implIS3_PS5_PS6_jNS1_19radix_merge_compareILb1ELb0ES5_NS0_19identity_decomposerEEEEE10hipError_tT0_T1_T2_jT3_P12ihipStream_tbPNSt15iterator_traitsISF_E10value_typeEPNSL_ISG_E10value_typeEPSH_NS1_7vsmem_tEENKUlT_SF_SG_SH_E_clIS9_S9_SA_SA_EESE_SU_SF_SG_SH_EUlSU_E_NS1_11comp_targetILNS1_3genE4ELNS1_11target_archE910ELNS1_3gpuE8ELNS1_3repE0EEENS1_48merge_mergepath_partition_config_static_selectorELNS0_4arch9wavefront6targetE0EEEvSG_.has_indirect_call, 0
	.section	.AMDGPU.csdata,"",@progbits
; Kernel info:
; codeLenInByte = 0
; TotalNumSgprs: 0
; NumVgprs: 0
; ScratchSize: 0
; MemoryBound: 0
; FloatMode: 240
; IeeeMode: 1
; LDSByteSize: 0 bytes/workgroup (compile time only)
; SGPRBlocks: 0
; VGPRBlocks: 0
; NumSGPRsForWavesPerEU: 1
; NumVGPRsForWavesPerEU: 1
; NamedBarCnt: 0
; Occupancy: 16
; WaveLimiterHint : 0
; COMPUTE_PGM_RSRC2:SCRATCH_EN: 0
; COMPUTE_PGM_RSRC2:USER_SGPR: 2
; COMPUTE_PGM_RSRC2:TRAP_HANDLER: 0
; COMPUTE_PGM_RSRC2:TGID_X_EN: 1
; COMPUTE_PGM_RSRC2:TGID_Y_EN: 0
; COMPUTE_PGM_RSRC2:TGID_Z_EN: 0
; COMPUTE_PGM_RSRC2:TIDIG_COMP_CNT: 0
	.section	.text._ZN7rocprim17ROCPRIM_400000_NS6detail17trampoline_kernelINS0_14default_configENS1_38merge_sort_block_merge_config_selectorI12hip_bfloat16NS0_10empty_typeEEEZZNS1_27merge_sort_block_merge_implIS3_PS5_PS6_jNS1_19radix_merge_compareILb1ELb0ES5_NS0_19identity_decomposerEEEEE10hipError_tT0_T1_T2_jT3_P12ihipStream_tbPNSt15iterator_traitsISF_E10value_typeEPNSL_ISG_E10value_typeEPSH_NS1_7vsmem_tEENKUlT_SF_SG_SH_E_clIS9_S9_SA_SA_EESE_SU_SF_SG_SH_EUlSU_E_NS1_11comp_targetILNS1_3genE3ELNS1_11target_archE908ELNS1_3gpuE7ELNS1_3repE0EEENS1_48merge_mergepath_partition_config_static_selectorELNS0_4arch9wavefront6targetE0EEEvSG_,"axG",@progbits,_ZN7rocprim17ROCPRIM_400000_NS6detail17trampoline_kernelINS0_14default_configENS1_38merge_sort_block_merge_config_selectorI12hip_bfloat16NS0_10empty_typeEEEZZNS1_27merge_sort_block_merge_implIS3_PS5_PS6_jNS1_19radix_merge_compareILb1ELb0ES5_NS0_19identity_decomposerEEEEE10hipError_tT0_T1_T2_jT3_P12ihipStream_tbPNSt15iterator_traitsISF_E10value_typeEPNSL_ISG_E10value_typeEPSH_NS1_7vsmem_tEENKUlT_SF_SG_SH_E_clIS9_S9_SA_SA_EESE_SU_SF_SG_SH_EUlSU_E_NS1_11comp_targetILNS1_3genE3ELNS1_11target_archE908ELNS1_3gpuE7ELNS1_3repE0EEENS1_48merge_mergepath_partition_config_static_selectorELNS0_4arch9wavefront6targetE0EEEvSG_,comdat
	.protected	_ZN7rocprim17ROCPRIM_400000_NS6detail17trampoline_kernelINS0_14default_configENS1_38merge_sort_block_merge_config_selectorI12hip_bfloat16NS0_10empty_typeEEEZZNS1_27merge_sort_block_merge_implIS3_PS5_PS6_jNS1_19radix_merge_compareILb1ELb0ES5_NS0_19identity_decomposerEEEEE10hipError_tT0_T1_T2_jT3_P12ihipStream_tbPNSt15iterator_traitsISF_E10value_typeEPNSL_ISG_E10value_typeEPSH_NS1_7vsmem_tEENKUlT_SF_SG_SH_E_clIS9_S9_SA_SA_EESE_SU_SF_SG_SH_EUlSU_E_NS1_11comp_targetILNS1_3genE3ELNS1_11target_archE908ELNS1_3gpuE7ELNS1_3repE0EEENS1_48merge_mergepath_partition_config_static_selectorELNS0_4arch9wavefront6targetE0EEEvSG_ ; -- Begin function _ZN7rocprim17ROCPRIM_400000_NS6detail17trampoline_kernelINS0_14default_configENS1_38merge_sort_block_merge_config_selectorI12hip_bfloat16NS0_10empty_typeEEEZZNS1_27merge_sort_block_merge_implIS3_PS5_PS6_jNS1_19radix_merge_compareILb1ELb0ES5_NS0_19identity_decomposerEEEEE10hipError_tT0_T1_T2_jT3_P12ihipStream_tbPNSt15iterator_traitsISF_E10value_typeEPNSL_ISG_E10value_typeEPSH_NS1_7vsmem_tEENKUlT_SF_SG_SH_E_clIS9_S9_SA_SA_EESE_SU_SF_SG_SH_EUlSU_E_NS1_11comp_targetILNS1_3genE3ELNS1_11target_archE908ELNS1_3gpuE7ELNS1_3repE0EEENS1_48merge_mergepath_partition_config_static_selectorELNS0_4arch9wavefront6targetE0EEEvSG_
	.globl	_ZN7rocprim17ROCPRIM_400000_NS6detail17trampoline_kernelINS0_14default_configENS1_38merge_sort_block_merge_config_selectorI12hip_bfloat16NS0_10empty_typeEEEZZNS1_27merge_sort_block_merge_implIS3_PS5_PS6_jNS1_19radix_merge_compareILb1ELb0ES5_NS0_19identity_decomposerEEEEE10hipError_tT0_T1_T2_jT3_P12ihipStream_tbPNSt15iterator_traitsISF_E10value_typeEPNSL_ISG_E10value_typeEPSH_NS1_7vsmem_tEENKUlT_SF_SG_SH_E_clIS9_S9_SA_SA_EESE_SU_SF_SG_SH_EUlSU_E_NS1_11comp_targetILNS1_3genE3ELNS1_11target_archE908ELNS1_3gpuE7ELNS1_3repE0EEENS1_48merge_mergepath_partition_config_static_selectorELNS0_4arch9wavefront6targetE0EEEvSG_
	.p2align	8
	.type	_ZN7rocprim17ROCPRIM_400000_NS6detail17trampoline_kernelINS0_14default_configENS1_38merge_sort_block_merge_config_selectorI12hip_bfloat16NS0_10empty_typeEEEZZNS1_27merge_sort_block_merge_implIS3_PS5_PS6_jNS1_19radix_merge_compareILb1ELb0ES5_NS0_19identity_decomposerEEEEE10hipError_tT0_T1_T2_jT3_P12ihipStream_tbPNSt15iterator_traitsISF_E10value_typeEPNSL_ISG_E10value_typeEPSH_NS1_7vsmem_tEENKUlT_SF_SG_SH_E_clIS9_S9_SA_SA_EESE_SU_SF_SG_SH_EUlSU_E_NS1_11comp_targetILNS1_3genE3ELNS1_11target_archE908ELNS1_3gpuE7ELNS1_3repE0EEENS1_48merge_mergepath_partition_config_static_selectorELNS0_4arch9wavefront6targetE0EEEvSG_,@function
_ZN7rocprim17ROCPRIM_400000_NS6detail17trampoline_kernelINS0_14default_configENS1_38merge_sort_block_merge_config_selectorI12hip_bfloat16NS0_10empty_typeEEEZZNS1_27merge_sort_block_merge_implIS3_PS5_PS6_jNS1_19radix_merge_compareILb1ELb0ES5_NS0_19identity_decomposerEEEEE10hipError_tT0_T1_T2_jT3_P12ihipStream_tbPNSt15iterator_traitsISF_E10value_typeEPNSL_ISG_E10value_typeEPSH_NS1_7vsmem_tEENKUlT_SF_SG_SH_E_clIS9_S9_SA_SA_EESE_SU_SF_SG_SH_EUlSU_E_NS1_11comp_targetILNS1_3genE3ELNS1_11target_archE908ELNS1_3gpuE7ELNS1_3repE0EEENS1_48merge_mergepath_partition_config_static_selectorELNS0_4arch9wavefront6targetE0EEEvSG_: ; @_ZN7rocprim17ROCPRIM_400000_NS6detail17trampoline_kernelINS0_14default_configENS1_38merge_sort_block_merge_config_selectorI12hip_bfloat16NS0_10empty_typeEEEZZNS1_27merge_sort_block_merge_implIS3_PS5_PS6_jNS1_19radix_merge_compareILb1ELb0ES5_NS0_19identity_decomposerEEEEE10hipError_tT0_T1_T2_jT3_P12ihipStream_tbPNSt15iterator_traitsISF_E10value_typeEPNSL_ISG_E10value_typeEPSH_NS1_7vsmem_tEENKUlT_SF_SG_SH_E_clIS9_S9_SA_SA_EESE_SU_SF_SG_SH_EUlSU_E_NS1_11comp_targetILNS1_3genE3ELNS1_11target_archE908ELNS1_3gpuE7ELNS1_3repE0EEENS1_48merge_mergepath_partition_config_static_selectorELNS0_4arch9wavefront6targetE0EEEvSG_
; %bb.0:
	.section	.rodata,"a",@progbits
	.p2align	6, 0x0
	.amdhsa_kernel _ZN7rocprim17ROCPRIM_400000_NS6detail17trampoline_kernelINS0_14default_configENS1_38merge_sort_block_merge_config_selectorI12hip_bfloat16NS0_10empty_typeEEEZZNS1_27merge_sort_block_merge_implIS3_PS5_PS6_jNS1_19radix_merge_compareILb1ELb0ES5_NS0_19identity_decomposerEEEEE10hipError_tT0_T1_T2_jT3_P12ihipStream_tbPNSt15iterator_traitsISF_E10value_typeEPNSL_ISG_E10value_typeEPSH_NS1_7vsmem_tEENKUlT_SF_SG_SH_E_clIS9_S9_SA_SA_EESE_SU_SF_SG_SH_EUlSU_E_NS1_11comp_targetILNS1_3genE3ELNS1_11target_archE908ELNS1_3gpuE7ELNS1_3repE0EEENS1_48merge_mergepath_partition_config_static_selectorELNS0_4arch9wavefront6targetE0EEEvSG_
		.amdhsa_group_segment_fixed_size 0
		.amdhsa_private_segment_fixed_size 0
		.amdhsa_kernarg_size 40
		.amdhsa_user_sgpr_count 2
		.amdhsa_user_sgpr_dispatch_ptr 0
		.amdhsa_user_sgpr_queue_ptr 0
		.amdhsa_user_sgpr_kernarg_segment_ptr 1
		.amdhsa_user_sgpr_dispatch_id 0
		.amdhsa_user_sgpr_kernarg_preload_length 0
		.amdhsa_user_sgpr_kernarg_preload_offset 0
		.amdhsa_user_sgpr_private_segment_size 0
		.amdhsa_wavefront_size32 1
		.amdhsa_uses_dynamic_stack 0
		.amdhsa_enable_private_segment 0
		.amdhsa_system_sgpr_workgroup_id_x 1
		.amdhsa_system_sgpr_workgroup_id_y 0
		.amdhsa_system_sgpr_workgroup_id_z 0
		.amdhsa_system_sgpr_workgroup_info 0
		.amdhsa_system_vgpr_workitem_id 0
		.amdhsa_next_free_vgpr 1
		.amdhsa_next_free_sgpr 1
		.amdhsa_named_barrier_count 0
		.amdhsa_reserve_vcc 0
		.amdhsa_float_round_mode_32 0
		.amdhsa_float_round_mode_16_64 0
		.amdhsa_float_denorm_mode_32 3
		.amdhsa_float_denorm_mode_16_64 3
		.amdhsa_fp16_overflow 0
		.amdhsa_memory_ordered 1
		.amdhsa_forward_progress 1
		.amdhsa_inst_pref_size 0
		.amdhsa_round_robin_scheduling 0
		.amdhsa_exception_fp_ieee_invalid_op 0
		.amdhsa_exception_fp_denorm_src 0
		.amdhsa_exception_fp_ieee_div_zero 0
		.amdhsa_exception_fp_ieee_overflow 0
		.amdhsa_exception_fp_ieee_underflow 0
		.amdhsa_exception_fp_ieee_inexact 0
		.amdhsa_exception_int_div_zero 0
	.end_amdhsa_kernel
	.section	.text._ZN7rocprim17ROCPRIM_400000_NS6detail17trampoline_kernelINS0_14default_configENS1_38merge_sort_block_merge_config_selectorI12hip_bfloat16NS0_10empty_typeEEEZZNS1_27merge_sort_block_merge_implIS3_PS5_PS6_jNS1_19radix_merge_compareILb1ELb0ES5_NS0_19identity_decomposerEEEEE10hipError_tT0_T1_T2_jT3_P12ihipStream_tbPNSt15iterator_traitsISF_E10value_typeEPNSL_ISG_E10value_typeEPSH_NS1_7vsmem_tEENKUlT_SF_SG_SH_E_clIS9_S9_SA_SA_EESE_SU_SF_SG_SH_EUlSU_E_NS1_11comp_targetILNS1_3genE3ELNS1_11target_archE908ELNS1_3gpuE7ELNS1_3repE0EEENS1_48merge_mergepath_partition_config_static_selectorELNS0_4arch9wavefront6targetE0EEEvSG_,"axG",@progbits,_ZN7rocprim17ROCPRIM_400000_NS6detail17trampoline_kernelINS0_14default_configENS1_38merge_sort_block_merge_config_selectorI12hip_bfloat16NS0_10empty_typeEEEZZNS1_27merge_sort_block_merge_implIS3_PS5_PS6_jNS1_19radix_merge_compareILb1ELb0ES5_NS0_19identity_decomposerEEEEE10hipError_tT0_T1_T2_jT3_P12ihipStream_tbPNSt15iterator_traitsISF_E10value_typeEPNSL_ISG_E10value_typeEPSH_NS1_7vsmem_tEENKUlT_SF_SG_SH_E_clIS9_S9_SA_SA_EESE_SU_SF_SG_SH_EUlSU_E_NS1_11comp_targetILNS1_3genE3ELNS1_11target_archE908ELNS1_3gpuE7ELNS1_3repE0EEENS1_48merge_mergepath_partition_config_static_selectorELNS0_4arch9wavefront6targetE0EEEvSG_,comdat
.Lfunc_end1910:
	.size	_ZN7rocprim17ROCPRIM_400000_NS6detail17trampoline_kernelINS0_14default_configENS1_38merge_sort_block_merge_config_selectorI12hip_bfloat16NS0_10empty_typeEEEZZNS1_27merge_sort_block_merge_implIS3_PS5_PS6_jNS1_19radix_merge_compareILb1ELb0ES5_NS0_19identity_decomposerEEEEE10hipError_tT0_T1_T2_jT3_P12ihipStream_tbPNSt15iterator_traitsISF_E10value_typeEPNSL_ISG_E10value_typeEPSH_NS1_7vsmem_tEENKUlT_SF_SG_SH_E_clIS9_S9_SA_SA_EESE_SU_SF_SG_SH_EUlSU_E_NS1_11comp_targetILNS1_3genE3ELNS1_11target_archE908ELNS1_3gpuE7ELNS1_3repE0EEENS1_48merge_mergepath_partition_config_static_selectorELNS0_4arch9wavefront6targetE0EEEvSG_, .Lfunc_end1910-_ZN7rocprim17ROCPRIM_400000_NS6detail17trampoline_kernelINS0_14default_configENS1_38merge_sort_block_merge_config_selectorI12hip_bfloat16NS0_10empty_typeEEEZZNS1_27merge_sort_block_merge_implIS3_PS5_PS6_jNS1_19radix_merge_compareILb1ELb0ES5_NS0_19identity_decomposerEEEEE10hipError_tT0_T1_T2_jT3_P12ihipStream_tbPNSt15iterator_traitsISF_E10value_typeEPNSL_ISG_E10value_typeEPSH_NS1_7vsmem_tEENKUlT_SF_SG_SH_E_clIS9_S9_SA_SA_EESE_SU_SF_SG_SH_EUlSU_E_NS1_11comp_targetILNS1_3genE3ELNS1_11target_archE908ELNS1_3gpuE7ELNS1_3repE0EEENS1_48merge_mergepath_partition_config_static_selectorELNS0_4arch9wavefront6targetE0EEEvSG_
                                        ; -- End function
	.set _ZN7rocprim17ROCPRIM_400000_NS6detail17trampoline_kernelINS0_14default_configENS1_38merge_sort_block_merge_config_selectorI12hip_bfloat16NS0_10empty_typeEEEZZNS1_27merge_sort_block_merge_implIS3_PS5_PS6_jNS1_19radix_merge_compareILb1ELb0ES5_NS0_19identity_decomposerEEEEE10hipError_tT0_T1_T2_jT3_P12ihipStream_tbPNSt15iterator_traitsISF_E10value_typeEPNSL_ISG_E10value_typeEPSH_NS1_7vsmem_tEENKUlT_SF_SG_SH_E_clIS9_S9_SA_SA_EESE_SU_SF_SG_SH_EUlSU_E_NS1_11comp_targetILNS1_3genE3ELNS1_11target_archE908ELNS1_3gpuE7ELNS1_3repE0EEENS1_48merge_mergepath_partition_config_static_selectorELNS0_4arch9wavefront6targetE0EEEvSG_.num_vgpr, 0
	.set _ZN7rocprim17ROCPRIM_400000_NS6detail17trampoline_kernelINS0_14default_configENS1_38merge_sort_block_merge_config_selectorI12hip_bfloat16NS0_10empty_typeEEEZZNS1_27merge_sort_block_merge_implIS3_PS5_PS6_jNS1_19radix_merge_compareILb1ELb0ES5_NS0_19identity_decomposerEEEEE10hipError_tT0_T1_T2_jT3_P12ihipStream_tbPNSt15iterator_traitsISF_E10value_typeEPNSL_ISG_E10value_typeEPSH_NS1_7vsmem_tEENKUlT_SF_SG_SH_E_clIS9_S9_SA_SA_EESE_SU_SF_SG_SH_EUlSU_E_NS1_11comp_targetILNS1_3genE3ELNS1_11target_archE908ELNS1_3gpuE7ELNS1_3repE0EEENS1_48merge_mergepath_partition_config_static_selectorELNS0_4arch9wavefront6targetE0EEEvSG_.num_agpr, 0
	.set _ZN7rocprim17ROCPRIM_400000_NS6detail17trampoline_kernelINS0_14default_configENS1_38merge_sort_block_merge_config_selectorI12hip_bfloat16NS0_10empty_typeEEEZZNS1_27merge_sort_block_merge_implIS3_PS5_PS6_jNS1_19radix_merge_compareILb1ELb0ES5_NS0_19identity_decomposerEEEEE10hipError_tT0_T1_T2_jT3_P12ihipStream_tbPNSt15iterator_traitsISF_E10value_typeEPNSL_ISG_E10value_typeEPSH_NS1_7vsmem_tEENKUlT_SF_SG_SH_E_clIS9_S9_SA_SA_EESE_SU_SF_SG_SH_EUlSU_E_NS1_11comp_targetILNS1_3genE3ELNS1_11target_archE908ELNS1_3gpuE7ELNS1_3repE0EEENS1_48merge_mergepath_partition_config_static_selectorELNS0_4arch9wavefront6targetE0EEEvSG_.numbered_sgpr, 0
	.set _ZN7rocprim17ROCPRIM_400000_NS6detail17trampoline_kernelINS0_14default_configENS1_38merge_sort_block_merge_config_selectorI12hip_bfloat16NS0_10empty_typeEEEZZNS1_27merge_sort_block_merge_implIS3_PS5_PS6_jNS1_19radix_merge_compareILb1ELb0ES5_NS0_19identity_decomposerEEEEE10hipError_tT0_T1_T2_jT3_P12ihipStream_tbPNSt15iterator_traitsISF_E10value_typeEPNSL_ISG_E10value_typeEPSH_NS1_7vsmem_tEENKUlT_SF_SG_SH_E_clIS9_S9_SA_SA_EESE_SU_SF_SG_SH_EUlSU_E_NS1_11comp_targetILNS1_3genE3ELNS1_11target_archE908ELNS1_3gpuE7ELNS1_3repE0EEENS1_48merge_mergepath_partition_config_static_selectorELNS0_4arch9wavefront6targetE0EEEvSG_.num_named_barrier, 0
	.set _ZN7rocprim17ROCPRIM_400000_NS6detail17trampoline_kernelINS0_14default_configENS1_38merge_sort_block_merge_config_selectorI12hip_bfloat16NS0_10empty_typeEEEZZNS1_27merge_sort_block_merge_implIS3_PS5_PS6_jNS1_19radix_merge_compareILb1ELb0ES5_NS0_19identity_decomposerEEEEE10hipError_tT0_T1_T2_jT3_P12ihipStream_tbPNSt15iterator_traitsISF_E10value_typeEPNSL_ISG_E10value_typeEPSH_NS1_7vsmem_tEENKUlT_SF_SG_SH_E_clIS9_S9_SA_SA_EESE_SU_SF_SG_SH_EUlSU_E_NS1_11comp_targetILNS1_3genE3ELNS1_11target_archE908ELNS1_3gpuE7ELNS1_3repE0EEENS1_48merge_mergepath_partition_config_static_selectorELNS0_4arch9wavefront6targetE0EEEvSG_.private_seg_size, 0
	.set _ZN7rocprim17ROCPRIM_400000_NS6detail17trampoline_kernelINS0_14default_configENS1_38merge_sort_block_merge_config_selectorI12hip_bfloat16NS0_10empty_typeEEEZZNS1_27merge_sort_block_merge_implIS3_PS5_PS6_jNS1_19radix_merge_compareILb1ELb0ES5_NS0_19identity_decomposerEEEEE10hipError_tT0_T1_T2_jT3_P12ihipStream_tbPNSt15iterator_traitsISF_E10value_typeEPNSL_ISG_E10value_typeEPSH_NS1_7vsmem_tEENKUlT_SF_SG_SH_E_clIS9_S9_SA_SA_EESE_SU_SF_SG_SH_EUlSU_E_NS1_11comp_targetILNS1_3genE3ELNS1_11target_archE908ELNS1_3gpuE7ELNS1_3repE0EEENS1_48merge_mergepath_partition_config_static_selectorELNS0_4arch9wavefront6targetE0EEEvSG_.uses_vcc, 0
	.set _ZN7rocprim17ROCPRIM_400000_NS6detail17trampoline_kernelINS0_14default_configENS1_38merge_sort_block_merge_config_selectorI12hip_bfloat16NS0_10empty_typeEEEZZNS1_27merge_sort_block_merge_implIS3_PS5_PS6_jNS1_19radix_merge_compareILb1ELb0ES5_NS0_19identity_decomposerEEEEE10hipError_tT0_T1_T2_jT3_P12ihipStream_tbPNSt15iterator_traitsISF_E10value_typeEPNSL_ISG_E10value_typeEPSH_NS1_7vsmem_tEENKUlT_SF_SG_SH_E_clIS9_S9_SA_SA_EESE_SU_SF_SG_SH_EUlSU_E_NS1_11comp_targetILNS1_3genE3ELNS1_11target_archE908ELNS1_3gpuE7ELNS1_3repE0EEENS1_48merge_mergepath_partition_config_static_selectorELNS0_4arch9wavefront6targetE0EEEvSG_.uses_flat_scratch, 0
	.set _ZN7rocprim17ROCPRIM_400000_NS6detail17trampoline_kernelINS0_14default_configENS1_38merge_sort_block_merge_config_selectorI12hip_bfloat16NS0_10empty_typeEEEZZNS1_27merge_sort_block_merge_implIS3_PS5_PS6_jNS1_19radix_merge_compareILb1ELb0ES5_NS0_19identity_decomposerEEEEE10hipError_tT0_T1_T2_jT3_P12ihipStream_tbPNSt15iterator_traitsISF_E10value_typeEPNSL_ISG_E10value_typeEPSH_NS1_7vsmem_tEENKUlT_SF_SG_SH_E_clIS9_S9_SA_SA_EESE_SU_SF_SG_SH_EUlSU_E_NS1_11comp_targetILNS1_3genE3ELNS1_11target_archE908ELNS1_3gpuE7ELNS1_3repE0EEENS1_48merge_mergepath_partition_config_static_selectorELNS0_4arch9wavefront6targetE0EEEvSG_.has_dyn_sized_stack, 0
	.set _ZN7rocprim17ROCPRIM_400000_NS6detail17trampoline_kernelINS0_14default_configENS1_38merge_sort_block_merge_config_selectorI12hip_bfloat16NS0_10empty_typeEEEZZNS1_27merge_sort_block_merge_implIS3_PS5_PS6_jNS1_19radix_merge_compareILb1ELb0ES5_NS0_19identity_decomposerEEEEE10hipError_tT0_T1_T2_jT3_P12ihipStream_tbPNSt15iterator_traitsISF_E10value_typeEPNSL_ISG_E10value_typeEPSH_NS1_7vsmem_tEENKUlT_SF_SG_SH_E_clIS9_S9_SA_SA_EESE_SU_SF_SG_SH_EUlSU_E_NS1_11comp_targetILNS1_3genE3ELNS1_11target_archE908ELNS1_3gpuE7ELNS1_3repE0EEENS1_48merge_mergepath_partition_config_static_selectorELNS0_4arch9wavefront6targetE0EEEvSG_.has_recursion, 0
	.set _ZN7rocprim17ROCPRIM_400000_NS6detail17trampoline_kernelINS0_14default_configENS1_38merge_sort_block_merge_config_selectorI12hip_bfloat16NS0_10empty_typeEEEZZNS1_27merge_sort_block_merge_implIS3_PS5_PS6_jNS1_19radix_merge_compareILb1ELb0ES5_NS0_19identity_decomposerEEEEE10hipError_tT0_T1_T2_jT3_P12ihipStream_tbPNSt15iterator_traitsISF_E10value_typeEPNSL_ISG_E10value_typeEPSH_NS1_7vsmem_tEENKUlT_SF_SG_SH_E_clIS9_S9_SA_SA_EESE_SU_SF_SG_SH_EUlSU_E_NS1_11comp_targetILNS1_3genE3ELNS1_11target_archE908ELNS1_3gpuE7ELNS1_3repE0EEENS1_48merge_mergepath_partition_config_static_selectorELNS0_4arch9wavefront6targetE0EEEvSG_.has_indirect_call, 0
	.section	.AMDGPU.csdata,"",@progbits
; Kernel info:
; codeLenInByte = 0
; TotalNumSgprs: 0
; NumVgprs: 0
; ScratchSize: 0
; MemoryBound: 0
; FloatMode: 240
; IeeeMode: 1
; LDSByteSize: 0 bytes/workgroup (compile time only)
; SGPRBlocks: 0
; VGPRBlocks: 0
; NumSGPRsForWavesPerEU: 1
; NumVGPRsForWavesPerEU: 1
; NamedBarCnt: 0
; Occupancy: 16
; WaveLimiterHint : 0
; COMPUTE_PGM_RSRC2:SCRATCH_EN: 0
; COMPUTE_PGM_RSRC2:USER_SGPR: 2
; COMPUTE_PGM_RSRC2:TRAP_HANDLER: 0
; COMPUTE_PGM_RSRC2:TGID_X_EN: 1
; COMPUTE_PGM_RSRC2:TGID_Y_EN: 0
; COMPUTE_PGM_RSRC2:TGID_Z_EN: 0
; COMPUTE_PGM_RSRC2:TIDIG_COMP_CNT: 0
	.section	.text._ZN7rocprim17ROCPRIM_400000_NS6detail17trampoline_kernelINS0_14default_configENS1_38merge_sort_block_merge_config_selectorI12hip_bfloat16NS0_10empty_typeEEEZZNS1_27merge_sort_block_merge_implIS3_PS5_PS6_jNS1_19radix_merge_compareILb1ELb0ES5_NS0_19identity_decomposerEEEEE10hipError_tT0_T1_T2_jT3_P12ihipStream_tbPNSt15iterator_traitsISF_E10value_typeEPNSL_ISG_E10value_typeEPSH_NS1_7vsmem_tEENKUlT_SF_SG_SH_E_clIS9_S9_SA_SA_EESE_SU_SF_SG_SH_EUlSU_E_NS1_11comp_targetILNS1_3genE2ELNS1_11target_archE906ELNS1_3gpuE6ELNS1_3repE0EEENS1_48merge_mergepath_partition_config_static_selectorELNS0_4arch9wavefront6targetE0EEEvSG_,"axG",@progbits,_ZN7rocprim17ROCPRIM_400000_NS6detail17trampoline_kernelINS0_14default_configENS1_38merge_sort_block_merge_config_selectorI12hip_bfloat16NS0_10empty_typeEEEZZNS1_27merge_sort_block_merge_implIS3_PS5_PS6_jNS1_19radix_merge_compareILb1ELb0ES5_NS0_19identity_decomposerEEEEE10hipError_tT0_T1_T2_jT3_P12ihipStream_tbPNSt15iterator_traitsISF_E10value_typeEPNSL_ISG_E10value_typeEPSH_NS1_7vsmem_tEENKUlT_SF_SG_SH_E_clIS9_S9_SA_SA_EESE_SU_SF_SG_SH_EUlSU_E_NS1_11comp_targetILNS1_3genE2ELNS1_11target_archE906ELNS1_3gpuE6ELNS1_3repE0EEENS1_48merge_mergepath_partition_config_static_selectorELNS0_4arch9wavefront6targetE0EEEvSG_,comdat
	.protected	_ZN7rocprim17ROCPRIM_400000_NS6detail17trampoline_kernelINS0_14default_configENS1_38merge_sort_block_merge_config_selectorI12hip_bfloat16NS0_10empty_typeEEEZZNS1_27merge_sort_block_merge_implIS3_PS5_PS6_jNS1_19radix_merge_compareILb1ELb0ES5_NS0_19identity_decomposerEEEEE10hipError_tT0_T1_T2_jT3_P12ihipStream_tbPNSt15iterator_traitsISF_E10value_typeEPNSL_ISG_E10value_typeEPSH_NS1_7vsmem_tEENKUlT_SF_SG_SH_E_clIS9_S9_SA_SA_EESE_SU_SF_SG_SH_EUlSU_E_NS1_11comp_targetILNS1_3genE2ELNS1_11target_archE906ELNS1_3gpuE6ELNS1_3repE0EEENS1_48merge_mergepath_partition_config_static_selectorELNS0_4arch9wavefront6targetE0EEEvSG_ ; -- Begin function _ZN7rocprim17ROCPRIM_400000_NS6detail17trampoline_kernelINS0_14default_configENS1_38merge_sort_block_merge_config_selectorI12hip_bfloat16NS0_10empty_typeEEEZZNS1_27merge_sort_block_merge_implIS3_PS5_PS6_jNS1_19radix_merge_compareILb1ELb0ES5_NS0_19identity_decomposerEEEEE10hipError_tT0_T1_T2_jT3_P12ihipStream_tbPNSt15iterator_traitsISF_E10value_typeEPNSL_ISG_E10value_typeEPSH_NS1_7vsmem_tEENKUlT_SF_SG_SH_E_clIS9_S9_SA_SA_EESE_SU_SF_SG_SH_EUlSU_E_NS1_11comp_targetILNS1_3genE2ELNS1_11target_archE906ELNS1_3gpuE6ELNS1_3repE0EEENS1_48merge_mergepath_partition_config_static_selectorELNS0_4arch9wavefront6targetE0EEEvSG_
	.globl	_ZN7rocprim17ROCPRIM_400000_NS6detail17trampoline_kernelINS0_14default_configENS1_38merge_sort_block_merge_config_selectorI12hip_bfloat16NS0_10empty_typeEEEZZNS1_27merge_sort_block_merge_implIS3_PS5_PS6_jNS1_19radix_merge_compareILb1ELb0ES5_NS0_19identity_decomposerEEEEE10hipError_tT0_T1_T2_jT3_P12ihipStream_tbPNSt15iterator_traitsISF_E10value_typeEPNSL_ISG_E10value_typeEPSH_NS1_7vsmem_tEENKUlT_SF_SG_SH_E_clIS9_S9_SA_SA_EESE_SU_SF_SG_SH_EUlSU_E_NS1_11comp_targetILNS1_3genE2ELNS1_11target_archE906ELNS1_3gpuE6ELNS1_3repE0EEENS1_48merge_mergepath_partition_config_static_selectorELNS0_4arch9wavefront6targetE0EEEvSG_
	.p2align	8
	.type	_ZN7rocprim17ROCPRIM_400000_NS6detail17trampoline_kernelINS0_14default_configENS1_38merge_sort_block_merge_config_selectorI12hip_bfloat16NS0_10empty_typeEEEZZNS1_27merge_sort_block_merge_implIS3_PS5_PS6_jNS1_19radix_merge_compareILb1ELb0ES5_NS0_19identity_decomposerEEEEE10hipError_tT0_T1_T2_jT3_P12ihipStream_tbPNSt15iterator_traitsISF_E10value_typeEPNSL_ISG_E10value_typeEPSH_NS1_7vsmem_tEENKUlT_SF_SG_SH_E_clIS9_S9_SA_SA_EESE_SU_SF_SG_SH_EUlSU_E_NS1_11comp_targetILNS1_3genE2ELNS1_11target_archE906ELNS1_3gpuE6ELNS1_3repE0EEENS1_48merge_mergepath_partition_config_static_selectorELNS0_4arch9wavefront6targetE0EEEvSG_,@function
_ZN7rocprim17ROCPRIM_400000_NS6detail17trampoline_kernelINS0_14default_configENS1_38merge_sort_block_merge_config_selectorI12hip_bfloat16NS0_10empty_typeEEEZZNS1_27merge_sort_block_merge_implIS3_PS5_PS6_jNS1_19radix_merge_compareILb1ELb0ES5_NS0_19identity_decomposerEEEEE10hipError_tT0_T1_T2_jT3_P12ihipStream_tbPNSt15iterator_traitsISF_E10value_typeEPNSL_ISG_E10value_typeEPSH_NS1_7vsmem_tEENKUlT_SF_SG_SH_E_clIS9_S9_SA_SA_EESE_SU_SF_SG_SH_EUlSU_E_NS1_11comp_targetILNS1_3genE2ELNS1_11target_archE906ELNS1_3gpuE6ELNS1_3repE0EEENS1_48merge_mergepath_partition_config_static_selectorELNS0_4arch9wavefront6targetE0EEEvSG_: ; @_ZN7rocprim17ROCPRIM_400000_NS6detail17trampoline_kernelINS0_14default_configENS1_38merge_sort_block_merge_config_selectorI12hip_bfloat16NS0_10empty_typeEEEZZNS1_27merge_sort_block_merge_implIS3_PS5_PS6_jNS1_19radix_merge_compareILb1ELb0ES5_NS0_19identity_decomposerEEEEE10hipError_tT0_T1_T2_jT3_P12ihipStream_tbPNSt15iterator_traitsISF_E10value_typeEPNSL_ISG_E10value_typeEPSH_NS1_7vsmem_tEENKUlT_SF_SG_SH_E_clIS9_S9_SA_SA_EESE_SU_SF_SG_SH_EUlSU_E_NS1_11comp_targetILNS1_3genE2ELNS1_11target_archE906ELNS1_3gpuE6ELNS1_3repE0EEENS1_48merge_mergepath_partition_config_static_selectorELNS0_4arch9wavefront6targetE0EEEvSG_
; %bb.0:
	.section	.rodata,"a",@progbits
	.p2align	6, 0x0
	.amdhsa_kernel _ZN7rocprim17ROCPRIM_400000_NS6detail17trampoline_kernelINS0_14default_configENS1_38merge_sort_block_merge_config_selectorI12hip_bfloat16NS0_10empty_typeEEEZZNS1_27merge_sort_block_merge_implIS3_PS5_PS6_jNS1_19radix_merge_compareILb1ELb0ES5_NS0_19identity_decomposerEEEEE10hipError_tT0_T1_T2_jT3_P12ihipStream_tbPNSt15iterator_traitsISF_E10value_typeEPNSL_ISG_E10value_typeEPSH_NS1_7vsmem_tEENKUlT_SF_SG_SH_E_clIS9_S9_SA_SA_EESE_SU_SF_SG_SH_EUlSU_E_NS1_11comp_targetILNS1_3genE2ELNS1_11target_archE906ELNS1_3gpuE6ELNS1_3repE0EEENS1_48merge_mergepath_partition_config_static_selectorELNS0_4arch9wavefront6targetE0EEEvSG_
		.amdhsa_group_segment_fixed_size 0
		.amdhsa_private_segment_fixed_size 0
		.amdhsa_kernarg_size 40
		.amdhsa_user_sgpr_count 2
		.amdhsa_user_sgpr_dispatch_ptr 0
		.amdhsa_user_sgpr_queue_ptr 0
		.amdhsa_user_sgpr_kernarg_segment_ptr 1
		.amdhsa_user_sgpr_dispatch_id 0
		.amdhsa_user_sgpr_kernarg_preload_length 0
		.amdhsa_user_sgpr_kernarg_preload_offset 0
		.amdhsa_user_sgpr_private_segment_size 0
		.amdhsa_wavefront_size32 1
		.amdhsa_uses_dynamic_stack 0
		.amdhsa_enable_private_segment 0
		.amdhsa_system_sgpr_workgroup_id_x 1
		.amdhsa_system_sgpr_workgroup_id_y 0
		.amdhsa_system_sgpr_workgroup_id_z 0
		.amdhsa_system_sgpr_workgroup_info 0
		.amdhsa_system_vgpr_workitem_id 0
		.amdhsa_next_free_vgpr 1
		.amdhsa_next_free_sgpr 1
		.amdhsa_named_barrier_count 0
		.amdhsa_reserve_vcc 0
		.amdhsa_float_round_mode_32 0
		.amdhsa_float_round_mode_16_64 0
		.amdhsa_float_denorm_mode_32 3
		.amdhsa_float_denorm_mode_16_64 3
		.amdhsa_fp16_overflow 0
		.amdhsa_memory_ordered 1
		.amdhsa_forward_progress 1
		.amdhsa_inst_pref_size 0
		.amdhsa_round_robin_scheduling 0
		.amdhsa_exception_fp_ieee_invalid_op 0
		.amdhsa_exception_fp_denorm_src 0
		.amdhsa_exception_fp_ieee_div_zero 0
		.amdhsa_exception_fp_ieee_overflow 0
		.amdhsa_exception_fp_ieee_underflow 0
		.amdhsa_exception_fp_ieee_inexact 0
		.amdhsa_exception_int_div_zero 0
	.end_amdhsa_kernel
	.section	.text._ZN7rocprim17ROCPRIM_400000_NS6detail17trampoline_kernelINS0_14default_configENS1_38merge_sort_block_merge_config_selectorI12hip_bfloat16NS0_10empty_typeEEEZZNS1_27merge_sort_block_merge_implIS3_PS5_PS6_jNS1_19radix_merge_compareILb1ELb0ES5_NS0_19identity_decomposerEEEEE10hipError_tT0_T1_T2_jT3_P12ihipStream_tbPNSt15iterator_traitsISF_E10value_typeEPNSL_ISG_E10value_typeEPSH_NS1_7vsmem_tEENKUlT_SF_SG_SH_E_clIS9_S9_SA_SA_EESE_SU_SF_SG_SH_EUlSU_E_NS1_11comp_targetILNS1_3genE2ELNS1_11target_archE906ELNS1_3gpuE6ELNS1_3repE0EEENS1_48merge_mergepath_partition_config_static_selectorELNS0_4arch9wavefront6targetE0EEEvSG_,"axG",@progbits,_ZN7rocprim17ROCPRIM_400000_NS6detail17trampoline_kernelINS0_14default_configENS1_38merge_sort_block_merge_config_selectorI12hip_bfloat16NS0_10empty_typeEEEZZNS1_27merge_sort_block_merge_implIS3_PS5_PS6_jNS1_19radix_merge_compareILb1ELb0ES5_NS0_19identity_decomposerEEEEE10hipError_tT0_T1_T2_jT3_P12ihipStream_tbPNSt15iterator_traitsISF_E10value_typeEPNSL_ISG_E10value_typeEPSH_NS1_7vsmem_tEENKUlT_SF_SG_SH_E_clIS9_S9_SA_SA_EESE_SU_SF_SG_SH_EUlSU_E_NS1_11comp_targetILNS1_3genE2ELNS1_11target_archE906ELNS1_3gpuE6ELNS1_3repE0EEENS1_48merge_mergepath_partition_config_static_selectorELNS0_4arch9wavefront6targetE0EEEvSG_,comdat
.Lfunc_end1911:
	.size	_ZN7rocprim17ROCPRIM_400000_NS6detail17trampoline_kernelINS0_14default_configENS1_38merge_sort_block_merge_config_selectorI12hip_bfloat16NS0_10empty_typeEEEZZNS1_27merge_sort_block_merge_implIS3_PS5_PS6_jNS1_19radix_merge_compareILb1ELb0ES5_NS0_19identity_decomposerEEEEE10hipError_tT0_T1_T2_jT3_P12ihipStream_tbPNSt15iterator_traitsISF_E10value_typeEPNSL_ISG_E10value_typeEPSH_NS1_7vsmem_tEENKUlT_SF_SG_SH_E_clIS9_S9_SA_SA_EESE_SU_SF_SG_SH_EUlSU_E_NS1_11comp_targetILNS1_3genE2ELNS1_11target_archE906ELNS1_3gpuE6ELNS1_3repE0EEENS1_48merge_mergepath_partition_config_static_selectorELNS0_4arch9wavefront6targetE0EEEvSG_, .Lfunc_end1911-_ZN7rocprim17ROCPRIM_400000_NS6detail17trampoline_kernelINS0_14default_configENS1_38merge_sort_block_merge_config_selectorI12hip_bfloat16NS0_10empty_typeEEEZZNS1_27merge_sort_block_merge_implIS3_PS5_PS6_jNS1_19radix_merge_compareILb1ELb0ES5_NS0_19identity_decomposerEEEEE10hipError_tT0_T1_T2_jT3_P12ihipStream_tbPNSt15iterator_traitsISF_E10value_typeEPNSL_ISG_E10value_typeEPSH_NS1_7vsmem_tEENKUlT_SF_SG_SH_E_clIS9_S9_SA_SA_EESE_SU_SF_SG_SH_EUlSU_E_NS1_11comp_targetILNS1_3genE2ELNS1_11target_archE906ELNS1_3gpuE6ELNS1_3repE0EEENS1_48merge_mergepath_partition_config_static_selectorELNS0_4arch9wavefront6targetE0EEEvSG_
                                        ; -- End function
	.set _ZN7rocprim17ROCPRIM_400000_NS6detail17trampoline_kernelINS0_14default_configENS1_38merge_sort_block_merge_config_selectorI12hip_bfloat16NS0_10empty_typeEEEZZNS1_27merge_sort_block_merge_implIS3_PS5_PS6_jNS1_19radix_merge_compareILb1ELb0ES5_NS0_19identity_decomposerEEEEE10hipError_tT0_T1_T2_jT3_P12ihipStream_tbPNSt15iterator_traitsISF_E10value_typeEPNSL_ISG_E10value_typeEPSH_NS1_7vsmem_tEENKUlT_SF_SG_SH_E_clIS9_S9_SA_SA_EESE_SU_SF_SG_SH_EUlSU_E_NS1_11comp_targetILNS1_3genE2ELNS1_11target_archE906ELNS1_3gpuE6ELNS1_3repE0EEENS1_48merge_mergepath_partition_config_static_selectorELNS0_4arch9wavefront6targetE0EEEvSG_.num_vgpr, 0
	.set _ZN7rocprim17ROCPRIM_400000_NS6detail17trampoline_kernelINS0_14default_configENS1_38merge_sort_block_merge_config_selectorI12hip_bfloat16NS0_10empty_typeEEEZZNS1_27merge_sort_block_merge_implIS3_PS5_PS6_jNS1_19radix_merge_compareILb1ELb0ES5_NS0_19identity_decomposerEEEEE10hipError_tT0_T1_T2_jT3_P12ihipStream_tbPNSt15iterator_traitsISF_E10value_typeEPNSL_ISG_E10value_typeEPSH_NS1_7vsmem_tEENKUlT_SF_SG_SH_E_clIS9_S9_SA_SA_EESE_SU_SF_SG_SH_EUlSU_E_NS1_11comp_targetILNS1_3genE2ELNS1_11target_archE906ELNS1_3gpuE6ELNS1_3repE0EEENS1_48merge_mergepath_partition_config_static_selectorELNS0_4arch9wavefront6targetE0EEEvSG_.num_agpr, 0
	.set _ZN7rocprim17ROCPRIM_400000_NS6detail17trampoline_kernelINS0_14default_configENS1_38merge_sort_block_merge_config_selectorI12hip_bfloat16NS0_10empty_typeEEEZZNS1_27merge_sort_block_merge_implIS3_PS5_PS6_jNS1_19radix_merge_compareILb1ELb0ES5_NS0_19identity_decomposerEEEEE10hipError_tT0_T1_T2_jT3_P12ihipStream_tbPNSt15iterator_traitsISF_E10value_typeEPNSL_ISG_E10value_typeEPSH_NS1_7vsmem_tEENKUlT_SF_SG_SH_E_clIS9_S9_SA_SA_EESE_SU_SF_SG_SH_EUlSU_E_NS1_11comp_targetILNS1_3genE2ELNS1_11target_archE906ELNS1_3gpuE6ELNS1_3repE0EEENS1_48merge_mergepath_partition_config_static_selectorELNS0_4arch9wavefront6targetE0EEEvSG_.numbered_sgpr, 0
	.set _ZN7rocprim17ROCPRIM_400000_NS6detail17trampoline_kernelINS0_14default_configENS1_38merge_sort_block_merge_config_selectorI12hip_bfloat16NS0_10empty_typeEEEZZNS1_27merge_sort_block_merge_implIS3_PS5_PS6_jNS1_19radix_merge_compareILb1ELb0ES5_NS0_19identity_decomposerEEEEE10hipError_tT0_T1_T2_jT3_P12ihipStream_tbPNSt15iterator_traitsISF_E10value_typeEPNSL_ISG_E10value_typeEPSH_NS1_7vsmem_tEENKUlT_SF_SG_SH_E_clIS9_S9_SA_SA_EESE_SU_SF_SG_SH_EUlSU_E_NS1_11comp_targetILNS1_3genE2ELNS1_11target_archE906ELNS1_3gpuE6ELNS1_3repE0EEENS1_48merge_mergepath_partition_config_static_selectorELNS0_4arch9wavefront6targetE0EEEvSG_.num_named_barrier, 0
	.set _ZN7rocprim17ROCPRIM_400000_NS6detail17trampoline_kernelINS0_14default_configENS1_38merge_sort_block_merge_config_selectorI12hip_bfloat16NS0_10empty_typeEEEZZNS1_27merge_sort_block_merge_implIS3_PS5_PS6_jNS1_19radix_merge_compareILb1ELb0ES5_NS0_19identity_decomposerEEEEE10hipError_tT0_T1_T2_jT3_P12ihipStream_tbPNSt15iterator_traitsISF_E10value_typeEPNSL_ISG_E10value_typeEPSH_NS1_7vsmem_tEENKUlT_SF_SG_SH_E_clIS9_S9_SA_SA_EESE_SU_SF_SG_SH_EUlSU_E_NS1_11comp_targetILNS1_3genE2ELNS1_11target_archE906ELNS1_3gpuE6ELNS1_3repE0EEENS1_48merge_mergepath_partition_config_static_selectorELNS0_4arch9wavefront6targetE0EEEvSG_.private_seg_size, 0
	.set _ZN7rocprim17ROCPRIM_400000_NS6detail17trampoline_kernelINS0_14default_configENS1_38merge_sort_block_merge_config_selectorI12hip_bfloat16NS0_10empty_typeEEEZZNS1_27merge_sort_block_merge_implIS3_PS5_PS6_jNS1_19radix_merge_compareILb1ELb0ES5_NS0_19identity_decomposerEEEEE10hipError_tT0_T1_T2_jT3_P12ihipStream_tbPNSt15iterator_traitsISF_E10value_typeEPNSL_ISG_E10value_typeEPSH_NS1_7vsmem_tEENKUlT_SF_SG_SH_E_clIS9_S9_SA_SA_EESE_SU_SF_SG_SH_EUlSU_E_NS1_11comp_targetILNS1_3genE2ELNS1_11target_archE906ELNS1_3gpuE6ELNS1_3repE0EEENS1_48merge_mergepath_partition_config_static_selectorELNS0_4arch9wavefront6targetE0EEEvSG_.uses_vcc, 0
	.set _ZN7rocprim17ROCPRIM_400000_NS6detail17trampoline_kernelINS0_14default_configENS1_38merge_sort_block_merge_config_selectorI12hip_bfloat16NS0_10empty_typeEEEZZNS1_27merge_sort_block_merge_implIS3_PS5_PS6_jNS1_19radix_merge_compareILb1ELb0ES5_NS0_19identity_decomposerEEEEE10hipError_tT0_T1_T2_jT3_P12ihipStream_tbPNSt15iterator_traitsISF_E10value_typeEPNSL_ISG_E10value_typeEPSH_NS1_7vsmem_tEENKUlT_SF_SG_SH_E_clIS9_S9_SA_SA_EESE_SU_SF_SG_SH_EUlSU_E_NS1_11comp_targetILNS1_3genE2ELNS1_11target_archE906ELNS1_3gpuE6ELNS1_3repE0EEENS1_48merge_mergepath_partition_config_static_selectorELNS0_4arch9wavefront6targetE0EEEvSG_.uses_flat_scratch, 0
	.set _ZN7rocprim17ROCPRIM_400000_NS6detail17trampoline_kernelINS0_14default_configENS1_38merge_sort_block_merge_config_selectorI12hip_bfloat16NS0_10empty_typeEEEZZNS1_27merge_sort_block_merge_implIS3_PS5_PS6_jNS1_19radix_merge_compareILb1ELb0ES5_NS0_19identity_decomposerEEEEE10hipError_tT0_T1_T2_jT3_P12ihipStream_tbPNSt15iterator_traitsISF_E10value_typeEPNSL_ISG_E10value_typeEPSH_NS1_7vsmem_tEENKUlT_SF_SG_SH_E_clIS9_S9_SA_SA_EESE_SU_SF_SG_SH_EUlSU_E_NS1_11comp_targetILNS1_3genE2ELNS1_11target_archE906ELNS1_3gpuE6ELNS1_3repE0EEENS1_48merge_mergepath_partition_config_static_selectorELNS0_4arch9wavefront6targetE0EEEvSG_.has_dyn_sized_stack, 0
	.set _ZN7rocprim17ROCPRIM_400000_NS6detail17trampoline_kernelINS0_14default_configENS1_38merge_sort_block_merge_config_selectorI12hip_bfloat16NS0_10empty_typeEEEZZNS1_27merge_sort_block_merge_implIS3_PS5_PS6_jNS1_19radix_merge_compareILb1ELb0ES5_NS0_19identity_decomposerEEEEE10hipError_tT0_T1_T2_jT3_P12ihipStream_tbPNSt15iterator_traitsISF_E10value_typeEPNSL_ISG_E10value_typeEPSH_NS1_7vsmem_tEENKUlT_SF_SG_SH_E_clIS9_S9_SA_SA_EESE_SU_SF_SG_SH_EUlSU_E_NS1_11comp_targetILNS1_3genE2ELNS1_11target_archE906ELNS1_3gpuE6ELNS1_3repE0EEENS1_48merge_mergepath_partition_config_static_selectorELNS0_4arch9wavefront6targetE0EEEvSG_.has_recursion, 0
	.set _ZN7rocprim17ROCPRIM_400000_NS6detail17trampoline_kernelINS0_14default_configENS1_38merge_sort_block_merge_config_selectorI12hip_bfloat16NS0_10empty_typeEEEZZNS1_27merge_sort_block_merge_implIS3_PS5_PS6_jNS1_19radix_merge_compareILb1ELb0ES5_NS0_19identity_decomposerEEEEE10hipError_tT0_T1_T2_jT3_P12ihipStream_tbPNSt15iterator_traitsISF_E10value_typeEPNSL_ISG_E10value_typeEPSH_NS1_7vsmem_tEENKUlT_SF_SG_SH_E_clIS9_S9_SA_SA_EESE_SU_SF_SG_SH_EUlSU_E_NS1_11comp_targetILNS1_3genE2ELNS1_11target_archE906ELNS1_3gpuE6ELNS1_3repE0EEENS1_48merge_mergepath_partition_config_static_selectorELNS0_4arch9wavefront6targetE0EEEvSG_.has_indirect_call, 0
	.section	.AMDGPU.csdata,"",@progbits
; Kernel info:
; codeLenInByte = 0
; TotalNumSgprs: 0
; NumVgprs: 0
; ScratchSize: 0
; MemoryBound: 0
; FloatMode: 240
; IeeeMode: 1
; LDSByteSize: 0 bytes/workgroup (compile time only)
; SGPRBlocks: 0
; VGPRBlocks: 0
; NumSGPRsForWavesPerEU: 1
; NumVGPRsForWavesPerEU: 1
; NamedBarCnt: 0
; Occupancy: 16
; WaveLimiterHint : 0
; COMPUTE_PGM_RSRC2:SCRATCH_EN: 0
; COMPUTE_PGM_RSRC2:USER_SGPR: 2
; COMPUTE_PGM_RSRC2:TRAP_HANDLER: 0
; COMPUTE_PGM_RSRC2:TGID_X_EN: 1
; COMPUTE_PGM_RSRC2:TGID_Y_EN: 0
; COMPUTE_PGM_RSRC2:TGID_Z_EN: 0
; COMPUTE_PGM_RSRC2:TIDIG_COMP_CNT: 0
	.section	.text._ZN7rocprim17ROCPRIM_400000_NS6detail17trampoline_kernelINS0_14default_configENS1_38merge_sort_block_merge_config_selectorI12hip_bfloat16NS0_10empty_typeEEEZZNS1_27merge_sort_block_merge_implIS3_PS5_PS6_jNS1_19radix_merge_compareILb1ELb0ES5_NS0_19identity_decomposerEEEEE10hipError_tT0_T1_T2_jT3_P12ihipStream_tbPNSt15iterator_traitsISF_E10value_typeEPNSL_ISG_E10value_typeEPSH_NS1_7vsmem_tEENKUlT_SF_SG_SH_E_clIS9_S9_SA_SA_EESE_SU_SF_SG_SH_EUlSU_E_NS1_11comp_targetILNS1_3genE9ELNS1_11target_archE1100ELNS1_3gpuE3ELNS1_3repE0EEENS1_48merge_mergepath_partition_config_static_selectorELNS0_4arch9wavefront6targetE0EEEvSG_,"axG",@progbits,_ZN7rocprim17ROCPRIM_400000_NS6detail17trampoline_kernelINS0_14default_configENS1_38merge_sort_block_merge_config_selectorI12hip_bfloat16NS0_10empty_typeEEEZZNS1_27merge_sort_block_merge_implIS3_PS5_PS6_jNS1_19radix_merge_compareILb1ELb0ES5_NS0_19identity_decomposerEEEEE10hipError_tT0_T1_T2_jT3_P12ihipStream_tbPNSt15iterator_traitsISF_E10value_typeEPNSL_ISG_E10value_typeEPSH_NS1_7vsmem_tEENKUlT_SF_SG_SH_E_clIS9_S9_SA_SA_EESE_SU_SF_SG_SH_EUlSU_E_NS1_11comp_targetILNS1_3genE9ELNS1_11target_archE1100ELNS1_3gpuE3ELNS1_3repE0EEENS1_48merge_mergepath_partition_config_static_selectorELNS0_4arch9wavefront6targetE0EEEvSG_,comdat
	.protected	_ZN7rocprim17ROCPRIM_400000_NS6detail17trampoline_kernelINS0_14default_configENS1_38merge_sort_block_merge_config_selectorI12hip_bfloat16NS0_10empty_typeEEEZZNS1_27merge_sort_block_merge_implIS3_PS5_PS6_jNS1_19radix_merge_compareILb1ELb0ES5_NS0_19identity_decomposerEEEEE10hipError_tT0_T1_T2_jT3_P12ihipStream_tbPNSt15iterator_traitsISF_E10value_typeEPNSL_ISG_E10value_typeEPSH_NS1_7vsmem_tEENKUlT_SF_SG_SH_E_clIS9_S9_SA_SA_EESE_SU_SF_SG_SH_EUlSU_E_NS1_11comp_targetILNS1_3genE9ELNS1_11target_archE1100ELNS1_3gpuE3ELNS1_3repE0EEENS1_48merge_mergepath_partition_config_static_selectorELNS0_4arch9wavefront6targetE0EEEvSG_ ; -- Begin function _ZN7rocprim17ROCPRIM_400000_NS6detail17trampoline_kernelINS0_14default_configENS1_38merge_sort_block_merge_config_selectorI12hip_bfloat16NS0_10empty_typeEEEZZNS1_27merge_sort_block_merge_implIS3_PS5_PS6_jNS1_19radix_merge_compareILb1ELb0ES5_NS0_19identity_decomposerEEEEE10hipError_tT0_T1_T2_jT3_P12ihipStream_tbPNSt15iterator_traitsISF_E10value_typeEPNSL_ISG_E10value_typeEPSH_NS1_7vsmem_tEENKUlT_SF_SG_SH_E_clIS9_S9_SA_SA_EESE_SU_SF_SG_SH_EUlSU_E_NS1_11comp_targetILNS1_3genE9ELNS1_11target_archE1100ELNS1_3gpuE3ELNS1_3repE0EEENS1_48merge_mergepath_partition_config_static_selectorELNS0_4arch9wavefront6targetE0EEEvSG_
	.globl	_ZN7rocprim17ROCPRIM_400000_NS6detail17trampoline_kernelINS0_14default_configENS1_38merge_sort_block_merge_config_selectorI12hip_bfloat16NS0_10empty_typeEEEZZNS1_27merge_sort_block_merge_implIS3_PS5_PS6_jNS1_19radix_merge_compareILb1ELb0ES5_NS0_19identity_decomposerEEEEE10hipError_tT0_T1_T2_jT3_P12ihipStream_tbPNSt15iterator_traitsISF_E10value_typeEPNSL_ISG_E10value_typeEPSH_NS1_7vsmem_tEENKUlT_SF_SG_SH_E_clIS9_S9_SA_SA_EESE_SU_SF_SG_SH_EUlSU_E_NS1_11comp_targetILNS1_3genE9ELNS1_11target_archE1100ELNS1_3gpuE3ELNS1_3repE0EEENS1_48merge_mergepath_partition_config_static_selectorELNS0_4arch9wavefront6targetE0EEEvSG_
	.p2align	8
	.type	_ZN7rocprim17ROCPRIM_400000_NS6detail17trampoline_kernelINS0_14default_configENS1_38merge_sort_block_merge_config_selectorI12hip_bfloat16NS0_10empty_typeEEEZZNS1_27merge_sort_block_merge_implIS3_PS5_PS6_jNS1_19radix_merge_compareILb1ELb0ES5_NS0_19identity_decomposerEEEEE10hipError_tT0_T1_T2_jT3_P12ihipStream_tbPNSt15iterator_traitsISF_E10value_typeEPNSL_ISG_E10value_typeEPSH_NS1_7vsmem_tEENKUlT_SF_SG_SH_E_clIS9_S9_SA_SA_EESE_SU_SF_SG_SH_EUlSU_E_NS1_11comp_targetILNS1_3genE9ELNS1_11target_archE1100ELNS1_3gpuE3ELNS1_3repE0EEENS1_48merge_mergepath_partition_config_static_selectorELNS0_4arch9wavefront6targetE0EEEvSG_,@function
_ZN7rocprim17ROCPRIM_400000_NS6detail17trampoline_kernelINS0_14default_configENS1_38merge_sort_block_merge_config_selectorI12hip_bfloat16NS0_10empty_typeEEEZZNS1_27merge_sort_block_merge_implIS3_PS5_PS6_jNS1_19radix_merge_compareILb1ELb0ES5_NS0_19identity_decomposerEEEEE10hipError_tT0_T1_T2_jT3_P12ihipStream_tbPNSt15iterator_traitsISF_E10value_typeEPNSL_ISG_E10value_typeEPSH_NS1_7vsmem_tEENKUlT_SF_SG_SH_E_clIS9_S9_SA_SA_EESE_SU_SF_SG_SH_EUlSU_E_NS1_11comp_targetILNS1_3genE9ELNS1_11target_archE1100ELNS1_3gpuE3ELNS1_3repE0EEENS1_48merge_mergepath_partition_config_static_selectorELNS0_4arch9wavefront6targetE0EEEvSG_: ; @_ZN7rocprim17ROCPRIM_400000_NS6detail17trampoline_kernelINS0_14default_configENS1_38merge_sort_block_merge_config_selectorI12hip_bfloat16NS0_10empty_typeEEEZZNS1_27merge_sort_block_merge_implIS3_PS5_PS6_jNS1_19radix_merge_compareILb1ELb0ES5_NS0_19identity_decomposerEEEEE10hipError_tT0_T1_T2_jT3_P12ihipStream_tbPNSt15iterator_traitsISF_E10value_typeEPNSL_ISG_E10value_typeEPSH_NS1_7vsmem_tEENKUlT_SF_SG_SH_E_clIS9_S9_SA_SA_EESE_SU_SF_SG_SH_EUlSU_E_NS1_11comp_targetILNS1_3genE9ELNS1_11target_archE1100ELNS1_3gpuE3ELNS1_3repE0EEENS1_48merge_mergepath_partition_config_static_selectorELNS0_4arch9wavefront6targetE0EEEvSG_
; %bb.0:
	.section	.rodata,"a",@progbits
	.p2align	6, 0x0
	.amdhsa_kernel _ZN7rocprim17ROCPRIM_400000_NS6detail17trampoline_kernelINS0_14default_configENS1_38merge_sort_block_merge_config_selectorI12hip_bfloat16NS0_10empty_typeEEEZZNS1_27merge_sort_block_merge_implIS3_PS5_PS6_jNS1_19radix_merge_compareILb1ELb0ES5_NS0_19identity_decomposerEEEEE10hipError_tT0_T1_T2_jT3_P12ihipStream_tbPNSt15iterator_traitsISF_E10value_typeEPNSL_ISG_E10value_typeEPSH_NS1_7vsmem_tEENKUlT_SF_SG_SH_E_clIS9_S9_SA_SA_EESE_SU_SF_SG_SH_EUlSU_E_NS1_11comp_targetILNS1_3genE9ELNS1_11target_archE1100ELNS1_3gpuE3ELNS1_3repE0EEENS1_48merge_mergepath_partition_config_static_selectorELNS0_4arch9wavefront6targetE0EEEvSG_
		.amdhsa_group_segment_fixed_size 0
		.amdhsa_private_segment_fixed_size 0
		.amdhsa_kernarg_size 40
		.amdhsa_user_sgpr_count 2
		.amdhsa_user_sgpr_dispatch_ptr 0
		.amdhsa_user_sgpr_queue_ptr 0
		.amdhsa_user_sgpr_kernarg_segment_ptr 1
		.amdhsa_user_sgpr_dispatch_id 0
		.amdhsa_user_sgpr_kernarg_preload_length 0
		.amdhsa_user_sgpr_kernarg_preload_offset 0
		.amdhsa_user_sgpr_private_segment_size 0
		.amdhsa_wavefront_size32 1
		.amdhsa_uses_dynamic_stack 0
		.amdhsa_enable_private_segment 0
		.amdhsa_system_sgpr_workgroup_id_x 1
		.amdhsa_system_sgpr_workgroup_id_y 0
		.amdhsa_system_sgpr_workgroup_id_z 0
		.amdhsa_system_sgpr_workgroup_info 0
		.amdhsa_system_vgpr_workitem_id 0
		.amdhsa_next_free_vgpr 1
		.amdhsa_next_free_sgpr 1
		.amdhsa_named_barrier_count 0
		.amdhsa_reserve_vcc 0
		.amdhsa_float_round_mode_32 0
		.amdhsa_float_round_mode_16_64 0
		.amdhsa_float_denorm_mode_32 3
		.amdhsa_float_denorm_mode_16_64 3
		.amdhsa_fp16_overflow 0
		.amdhsa_memory_ordered 1
		.amdhsa_forward_progress 1
		.amdhsa_inst_pref_size 0
		.amdhsa_round_robin_scheduling 0
		.amdhsa_exception_fp_ieee_invalid_op 0
		.amdhsa_exception_fp_denorm_src 0
		.amdhsa_exception_fp_ieee_div_zero 0
		.amdhsa_exception_fp_ieee_overflow 0
		.amdhsa_exception_fp_ieee_underflow 0
		.amdhsa_exception_fp_ieee_inexact 0
		.amdhsa_exception_int_div_zero 0
	.end_amdhsa_kernel
	.section	.text._ZN7rocprim17ROCPRIM_400000_NS6detail17trampoline_kernelINS0_14default_configENS1_38merge_sort_block_merge_config_selectorI12hip_bfloat16NS0_10empty_typeEEEZZNS1_27merge_sort_block_merge_implIS3_PS5_PS6_jNS1_19radix_merge_compareILb1ELb0ES5_NS0_19identity_decomposerEEEEE10hipError_tT0_T1_T2_jT3_P12ihipStream_tbPNSt15iterator_traitsISF_E10value_typeEPNSL_ISG_E10value_typeEPSH_NS1_7vsmem_tEENKUlT_SF_SG_SH_E_clIS9_S9_SA_SA_EESE_SU_SF_SG_SH_EUlSU_E_NS1_11comp_targetILNS1_3genE9ELNS1_11target_archE1100ELNS1_3gpuE3ELNS1_3repE0EEENS1_48merge_mergepath_partition_config_static_selectorELNS0_4arch9wavefront6targetE0EEEvSG_,"axG",@progbits,_ZN7rocprim17ROCPRIM_400000_NS6detail17trampoline_kernelINS0_14default_configENS1_38merge_sort_block_merge_config_selectorI12hip_bfloat16NS0_10empty_typeEEEZZNS1_27merge_sort_block_merge_implIS3_PS5_PS6_jNS1_19radix_merge_compareILb1ELb0ES5_NS0_19identity_decomposerEEEEE10hipError_tT0_T1_T2_jT3_P12ihipStream_tbPNSt15iterator_traitsISF_E10value_typeEPNSL_ISG_E10value_typeEPSH_NS1_7vsmem_tEENKUlT_SF_SG_SH_E_clIS9_S9_SA_SA_EESE_SU_SF_SG_SH_EUlSU_E_NS1_11comp_targetILNS1_3genE9ELNS1_11target_archE1100ELNS1_3gpuE3ELNS1_3repE0EEENS1_48merge_mergepath_partition_config_static_selectorELNS0_4arch9wavefront6targetE0EEEvSG_,comdat
.Lfunc_end1912:
	.size	_ZN7rocprim17ROCPRIM_400000_NS6detail17trampoline_kernelINS0_14default_configENS1_38merge_sort_block_merge_config_selectorI12hip_bfloat16NS0_10empty_typeEEEZZNS1_27merge_sort_block_merge_implIS3_PS5_PS6_jNS1_19radix_merge_compareILb1ELb0ES5_NS0_19identity_decomposerEEEEE10hipError_tT0_T1_T2_jT3_P12ihipStream_tbPNSt15iterator_traitsISF_E10value_typeEPNSL_ISG_E10value_typeEPSH_NS1_7vsmem_tEENKUlT_SF_SG_SH_E_clIS9_S9_SA_SA_EESE_SU_SF_SG_SH_EUlSU_E_NS1_11comp_targetILNS1_3genE9ELNS1_11target_archE1100ELNS1_3gpuE3ELNS1_3repE0EEENS1_48merge_mergepath_partition_config_static_selectorELNS0_4arch9wavefront6targetE0EEEvSG_, .Lfunc_end1912-_ZN7rocprim17ROCPRIM_400000_NS6detail17trampoline_kernelINS0_14default_configENS1_38merge_sort_block_merge_config_selectorI12hip_bfloat16NS0_10empty_typeEEEZZNS1_27merge_sort_block_merge_implIS3_PS5_PS6_jNS1_19radix_merge_compareILb1ELb0ES5_NS0_19identity_decomposerEEEEE10hipError_tT0_T1_T2_jT3_P12ihipStream_tbPNSt15iterator_traitsISF_E10value_typeEPNSL_ISG_E10value_typeEPSH_NS1_7vsmem_tEENKUlT_SF_SG_SH_E_clIS9_S9_SA_SA_EESE_SU_SF_SG_SH_EUlSU_E_NS1_11comp_targetILNS1_3genE9ELNS1_11target_archE1100ELNS1_3gpuE3ELNS1_3repE0EEENS1_48merge_mergepath_partition_config_static_selectorELNS0_4arch9wavefront6targetE0EEEvSG_
                                        ; -- End function
	.set _ZN7rocprim17ROCPRIM_400000_NS6detail17trampoline_kernelINS0_14default_configENS1_38merge_sort_block_merge_config_selectorI12hip_bfloat16NS0_10empty_typeEEEZZNS1_27merge_sort_block_merge_implIS3_PS5_PS6_jNS1_19radix_merge_compareILb1ELb0ES5_NS0_19identity_decomposerEEEEE10hipError_tT0_T1_T2_jT3_P12ihipStream_tbPNSt15iterator_traitsISF_E10value_typeEPNSL_ISG_E10value_typeEPSH_NS1_7vsmem_tEENKUlT_SF_SG_SH_E_clIS9_S9_SA_SA_EESE_SU_SF_SG_SH_EUlSU_E_NS1_11comp_targetILNS1_3genE9ELNS1_11target_archE1100ELNS1_3gpuE3ELNS1_3repE0EEENS1_48merge_mergepath_partition_config_static_selectorELNS0_4arch9wavefront6targetE0EEEvSG_.num_vgpr, 0
	.set _ZN7rocprim17ROCPRIM_400000_NS6detail17trampoline_kernelINS0_14default_configENS1_38merge_sort_block_merge_config_selectorI12hip_bfloat16NS0_10empty_typeEEEZZNS1_27merge_sort_block_merge_implIS3_PS5_PS6_jNS1_19radix_merge_compareILb1ELb0ES5_NS0_19identity_decomposerEEEEE10hipError_tT0_T1_T2_jT3_P12ihipStream_tbPNSt15iterator_traitsISF_E10value_typeEPNSL_ISG_E10value_typeEPSH_NS1_7vsmem_tEENKUlT_SF_SG_SH_E_clIS9_S9_SA_SA_EESE_SU_SF_SG_SH_EUlSU_E_NS1_11comp_targetILNS1_3genE9ELNS1_11target_archE1100ELNS1_3gpuE3ELNS1_3repE0EEENS1_48merge_mergepath_partition_config_static_selectorELNS0_4arch9wavefront6targetE0EEEvSG_.num_agpr, 0
	.set _ZN7rocprim17ROCPRIM_400000_NS6detail17trampoline_kernelINS0_14default_configENS1_38merge_sort_block_merge_config_selectorI12hip_bfloat16NS0_10empty_typeEEEZZNS1_27merge_sort_block_merge_implIS3_PS5_PS6_jNS1_19radix_merge_compareILb1ELb0ES5_NS0_19identity_decomposerEEEEE10hipError_tT0_T1_T2_jT3_P12ihipStream_tbPNSt15iterator_traitsISF_E10value_typeEPNSL_ISG_E10value_typeEPSH_NS1_7vsmem_tEENKUlT_SF_SG_SH_E_clIS9_S9_SA_SA_EESE_SU_SF_SG_SH_EUlSU_E_NS1_11comp_targetILNS1_3genE9ELNS1_11target_archE1100ELNS1_3gpuE3ELNS1_3repE0EEENS1_48merge_mergepath_partition_config_static_selectorELNS0_4arch9wavefront6targetE0EEEvSG_.numbered_sgpr, 0
	.set _ZN7rocprim17ROCPRIM_400000_NS6detail17trampoline_kernelINS0_14default_configENS1_38merge_sort_block_merge_config_selectorI12hip_bfloat16NS0_10empty_typeEEEZZNS1_27merge_sort_block_merge_implIS3_PS5_PS6_jNS1_19radix_merge_compareILb1ELb0ES5_NS0_19identity_decomposerEEEEE10hipError_tT0_T1_T2_jT3_P12ihipStream_tbPNSt15iterator_traitsISF_E10value_typeEPNSL_ISG_E10value_typeEPSH_NS1_7vsmem_tEENKUlT_SF_SG_SH_E_clIS9_S9_SA_SA_EESE_SU_SF_SG_SH_EUlSU_E_NS1_11comp_targetILNS1_3genE9ELNS1_11target_archE1100ELNS1_3gpuE3ELNS1_3repE0EEENS1_48merge_mergepath_partition_config_static_selectorELNS0_4arch9wavefront6targetE0EEEvSG_.num_named_barrier, 0
	.set _ZN7rocprim17ROCPRIM_400000_NS6detail17trampoline_kernelINS0_14default_configENS1_38merge_sort_block_merge_config_selectorI12hip_bfloat16NS0_10empty_typeEEEZZNS1_27merge_sort_block_merge_implIS3_PS5_PS6_jNS1_19radix_merge_compareILb1ELb0ES5_NS0_19identity_decomposerEEEEE10hipError_tT0_T1_T2_jT3_P12ihipStream_tbPNSt15iterator_traitsISF_E10value_typeEPNSL_ISG_E10value_typeEPSH_NS1_7vsmem_tEENKUlT_SF_SG_SH_E_clIS9_S9_SA_SA_EESE_SU_SF_SG_SH_EUlSU_E_NS1_11comp_targetILNS1_3genE9ELNS1_11target_archE1100ELNS1_3gpuE3ELNS1_3repE0EEENS1_48merge_mergepath_partition_config_static_selectorELNS0_4arch9wavefront6targetE0EEEvSG_.private_seg_size, 0
	.set _ZN7rocprim17ROCPRIM_400000_NS6detail17trampoline_kernelINS0_14default_configENS1_38merge_sort_block_merge_config_selectorI12hip_bfloat16NS0_10empty_typeEEEZZNS1_27merge_sort_block_merge_implIS3_PS5_PS6_jNS1_19radix_merge_compareILb1ELb0ES5_NS0_19identity_decomposerEEEEE10hipError_tT0_T1_T2_jT3_P12ihipStream_tbPNSt15iterator_traitsISF_E10value_typeEPNSL_ISG_E10value_typeEPSH_NS1_7vsmem_tEENKUlT_SF_SG_SH_E_clIS9_S9_SA_SA_EESE_SU_SF_SG_SH_EUlSU_E_NS1_11comp_targetILNS1_3genE9ELNS1_11target_archE1100ELNS1_3gpuE3ELNS1_3repE0EEENS1_48merge_mergepath_partition_config_static_selectorELNS0_4arch9wavefront6targetE0EEEvSG_.uses_vcc, 0
	.set _ZN7rocprim17ROCPRIM_400000_NS6detail17trampoline_kernelINS0_14default_configENS1_38merge_sort_block_merge_config_selectorI12hip_bfloat16NS0_10empty_typeEEEZZNS1_27merge_sort_block_merge_implIS3_PS5_PS6_jNS1_19radix_merge_compareILb1ELb0ES5_NS0_19identity_decomposerEEEEE10hipError_tT0_T1_T2_jT3_P12ihipStream_tbPNSt15iterator_traitsISF_E10value_typeEPNSL_ISG_E10value_typeEPSH_NS1_7vsmem_tEENKUlT_SF_SG_SH_E_clIS9_S9_SA_SA_EESE_SU_SF_SG_SH_EUlSU_E_NS1_11comp_targetILNS1_3genE9ELNS1_11target_archE1100ELNS1_3gpuE3ELNS1_3repE0EEENS1_48merge_mergepath_partition_config_static_selectorELNS0_4arch9wavefront6targetE0EEEvSG_.uses_flat_scratch, 0
	.set _ZN7rocprim17ROCPRIM_400000_NS6detail17trampoline_kernelINS0_14default_configENS1_38merge_sort_block_merge_config_selectorI12hip_bfloat16NS0_10empty_typeEEEZZNS1_27merge_sort_block_merge_implIS3_PS5_PS6_jNS1_19radix_merge_compareILb1ELb0ES5_NS0_19identity_decomposerEEEEE10hipError_tT0_T1_T2_jT3_P12ihipStream_tbPNSt15iterator_traitsISF_E10value_typeEPNSL_ISG_E10value_typeEPSH_NS1_7vsmem_tEENKUlT_SF_SG_SH_E_clIS9_S9_SA_SA_EESE_SU_SF_SG_SH_EUlSU_E_NS1_11comp_targetILNS1_3genE9ELNS1_11target_archE1100ELNS1_3gpuE3ELNS1_3repE0EEENS1_48merge_mergepath_partition_config_static_selectorELNS0_4arch9wavefront6targetE0EEEvSG_.has_dyn_sized_stack, 0
	.set _ZN7rocprim17ROCPRIM_400000_NS6detail17trampoline_kernelINS0_14default_configENS1_38merge_sort_block_merge_config_selectorI12hip_bfloat16NS0_10empty_typeEEEZZNS1_27merge_sort_block_merge_implIS3_PS5_PS6_jNS1_19radix_merge_compareILb1ELb0ES5_NS0_19identity_decomposerEEEEE10hipError_tT0_T1_T2_jT3_P12ihipStream_tbPNSt15iterator_traitsISF_E10value_typeEPNSL_ISG_E10value_typeEPSH_NS1_7vsmem_tEENKUlT_SF_SG_SH_E_clIS9_S9_SA_SA_EESE_SU_SF_SG_SH_EUlSU_E_NS1_11comp_targetILNS1_3genE9ELNS1_11target_archE1100ELNS1_3gpuE3ELNS1_3repE0EEENS1_48merge_mergepath_partition_config_static_selectorELNS0_4arch9wavefront6targetE0EEEvSG_.has_recursion, 0
	.set _ZN7rocprim17ROCPRIM_400000_NS6detail17trampoline_kernelINS0_14default_configENS1_38merge_sort_block_merge_config_selectorI12hip_bfloat16NS0_10empty_typeEEEZZNS1_27merge_sort_block_merge_implIS3_PS5_PS6_jNS1_19radix_merge_compareILb1ELb0ES5_NS0_19identity_decomposerEEEEE10hipError_tT0_T1_T2_jT3_P12ihipStream_tbPNSt15iterator_traitsISF_E10value_typeEPNSL_ISG_E10value_typeEPSH_NS1_7vsmem_tEENKUlT_SF_SG_SH_E_clIS9_S9_SA_SA_EESE_SU_SF_SG_SH_EUlSU_E_NS1_11comp_targetILNS1_3genE9ELNS1_11target_archE1100ELNS1_3gpuE3ELNS1_3repE0EEENS1_48merge_mergepath_partition_config_static_selectorELNS0_4arch9wavefront6targetE0EEEvSG_.has_indirect_call, 0
	.section	.AMDGPU.csdata,"",@progbits
; Kernel info:
; codeLenInByte = 0
; TotalNumSgprs: 0
; NumVgprs: 0
; ScratchSize: 0
; MemoryBound: 0
; FloatMode: 240
; IeeeMode: 1
; LDSByteSize: 0 bytes/workgroup (compile time only)
; SGPRBlocks: 0
; VGPRBlocks: 0
; NumSGPRsForWavesPerEU: 1
; NumVGPRsForWavesPerEU: 1
; NamedBarCnt: 0
; Occupancy: 16
; WaveLimiterHint : 0
; COMPUTE_PGM_RSRC2:SCRATCH_EN: 0
; COMPUTE_PGM_RSRC2:USER_SGPR: 2
; COMPUTE_PGM_RSRC2:TRAP_HANDLER: 0
; COMPUTE_PGM_RSRC2:TGID_X_EN: 1
; COMPUTE_PGM_RSRC2:TGID_Y_EN: 0
; COMPUTE_PGM_RSRC2:TGID_Z_EN: 0
; COMPUTE_PGM_RSRC2:TIDIG_COMP_CNT: 0
	.section	.text._ZN7rocprim17ROCPRIM_400000_NS6detail17trampoline_kernelINS0_14default_configENS1_38merge_sort_block_merge_config_selectorI12hip_bfloat16NS0_10empty_typeEEEZZNS1_27merge_sort_block_merge_implIS3_PS5_PS6_jNS1_19radix_merge_compareILb1ELb0ES5_NS0_19identity_decomposerEEEEE10hipError_tT0_T1_T2_jT3_P12ihipStream_tbPNSt15iterator_traitsISF_E10value_typeEPNSL_ISG_E10value_typeEPSH_NS1_7vsmem_tEENKUlT_SF_SG_SH_E_clIS9_S9_SA_SA_EESE_SU_SF_SG_SH_EUlSU_E_NS1_11comp_targetILNS1_3genE8ELNS1_11target_archE1030ELNS1_3gpuE2ELNS1_3repE0EEENS1_48merge_mergepath_partition_config_static_selectorELNS0_4arch9wavefront6targetE0EEEvSG_,"axG",@progbits,_ZN7rocprim17ROCPRIM_400000_NS6detail17trampoline_kernelINS0_14default_configENS1_38merge_sort_block_merge_config_selectorI12hip_bfloat16NS0_10empty_typeEEEZZNS1_27merge_sort_block_merge_implIS3_PS5_PS6_jNS1_19radix_merge_compareILb1ELb0ES5_NS0_19identity_decomposerEEEEE10hipError_tT0_T1_T2_jT3_P12ihipStream_tbPNSt15iterator_traitsISF_E10value_typeEPNSL_ISG_E10value_typeEPSH_NS1_7vsmem_tEENKUlT_SF_SG_SH_E_clIS9_S9_SA_SA_EESE_SU_SF_SG_SH_EUlSU_E_NS1_11comp_targetILNS1_3genE8ELNS1_11target_archE1030ELNS1_3gpuE2ELNS1_3repE0EEENS1_48merge_mergepath_partition_config_static_selectorELNS0_4arch9wavefront6targetE0EEEvSG_,comdat
	.protected	_ZN7rocprim17ROCPRIM_400000_NS6detail17trampoline_kernelINS0_14default_configENS1_38merge_sort_block_merge_config_selectorI12hip_bfloat16NS0_10empty_typeEEEZZNS1_27merge_sort_block_merge_implIS3_PS5_PS6_jNS1_19radix_merge_compareILb1ELb0ES5_NS0_19identity_decomposerEEEEE10hipError_tT0_T1_T2_jT3_P12ihipStream_tbPNSt15iterator_traitsISF_E10value_typeEPNSL_ISG_E10value_typeEPSH_NS1_7vsmem_tEENKUlT_SF_SG_SH_E_clIS9_S9_SA_SA_EESE_SU_SF_SG_SH_EUlSU_E_NS1_11comp_targetILNS1_3genE8ELNS1_11target_archE1030ELNS1_3gpuE2ELNS1_3repE0EEENS1_48merge_mergepath_partition_config_static_selectorELNS0_4arch9wavefront6targetE0EEEvSG_ ; -- Begin function _ZN7rocprim17ROCPRIM_400000_NS6detail17trampoline_kernelINS0_14default_configENS1_38merge_sort_block_merge_config_selectorI12hip_bfloat16NS0_10empty_typeEEEZZNS1_27merge_sort_block_merge_implIS3_PS5_PS6_jNS1_19radix_merge_compareILb1ELb0ES5_NS0_19identity_decomposerEEEEE10hipError_tT0_T1_T2_jT3_P12ihipStream_tbPNSt15iterator_traitsISF_E10value_typeEPNSL_ISG_E10value_typeEPSH_NS1_7vsmem_tEENKUlT_SF_SG_SH_E_clIS9_S9_SA_SA_EESE_SU_SF_SG_SH_EUlSU_E_NS1_11comp_targetILNS1_3genE8ELNS1_11target_archE1030ELNS1_3gpuE2ELNS1_3repE0EEENS1_48merge_mergepath_partition_config_static_selectorELNS0_4arch9wavefront6targetE0EEEvSG_
	.globl	_ZN7rocprim17ROCPRIM_400000_NS6detail17trampoline_kernelINS0_14default_configENS1_38merge_sort_block_merge_config_selectorI12hip_bfloat16NS0_10empty_typeEEEZZNS1_27merge_sort_block_merge_implIS3_PS5_PS6_jNS1_19radix_merge_compareILb1ELb0ES5_NS0_19identity_decomposerEEEEE10hipError_tT0_T1_T2_jT3_P12ihipStream_tbPNSt15iterator_traitsISF_E10value_typeEPNSL_ISG_E10value_typeEPSH_NS1_7vsmem_tEENKUlT_SF_SG_SH_E_clIS9_S9_SA_SA_EESE_SU_SF_SG_SH_EUlSU_E_NS1_11comp_targetILNS1_3genE8ELNS1_11target_archE1030ELNS1_3gpuE2ELNS1_3repE0EEENS1_48merge_mergepath_partition_config_static_selectorELNS0_4arch9wavefront6targetE0EEEvSG_
	.p2align	8
	.type	_ZN7rocprim17ROCPRIM_400000_NS6detail17trampoline_kernelINS0_14default_configENS1_38merge_sort_block_merge_config_selectorI12hip_bfloat16NS0_10empty_typeEEEZZNS1_27merge_sort_block_merge_implIS3_PS5_PS6_jNS1_19radix_merge_compareILb1ELb0ES5_NS0_19identity_decomposerEEEEE10hipError_tT0_T1_T2_jT3_P12ihipStream_tbPNSt15iterator_traitsISF_E10value_typeEPNSL_ISG_E10value_typeEPSH_NS1_7vsmem_tEENKUlT_SF_SG_SH_E_clIS9_S9_SA_SA_EESE_SU_SF_SG_SH_EUlSU_E_NS1_11comp_targetILNS1_3genE8ELNS1_11target_archE1030ELNS1_3gpuE2ELNS1_3repE0EEENS1_48merge_mergepath_partition_config_static_selectorELNS0_4arch9wavefront6targetE0EEEvSG_,@function
_ZN7rocprim17ROCPRIM_400000_NS6detail17trampoline_kernelINS0_14default_configENS1_38merge_sort_block_merge_config_selectorI12hip_bfloat16NS0_10empty_typeEEEZZNS1_27merge_sort_block_merge_implIS3_PS5_PS6_jNS1_19radix_merge_compareILb1ELb0ES5_NS0_19identity_decomposerEEEEE10hipError_tT0_T1_T2_jT3_P12ihipStream_tbPNSt15iterator_traitsISF_E10value_typeEPNSL_ISG_E10value_typeEPSH_NS1_7vsmem_tEENKUlT_SF_SG_SH_E_clIS9_S9_SA_SA_EESE_SU_SF_SG_SH_EUlSU_E_NS1_11comp_targetILNS1_3genE8ELNS1_11target_archE1030ELNS1_3gpuE2ELNS1_3repE0EEENS1_48merge_mergepath_partition_config_static_selectorELNS0_4arch9wavefront6targetE0EEEvSG_: ; @_ZN7rocprim17ROCPRIM_400000_NS6detail17trampoline_kernelINS0_14default_configENS1_38merge_sort_block_merge_config_selectorI12hip_bfloat16NS0_10empty_typeEEEZZNS1_27merge_sort_block_merge_implIS3_PS5_PS6_jNS1_19radix_merge_compareILb1ELb0ES5_NS0_19identity_decomposerEEEEE10hipError_tT0_T1_T2_jT3_P12ihipStream_tbPNSt15iterator_traitsISF_E10value_typeEPNSL_ISG_E10value_typeEPSH_NS1_7vsmem_tEENKUlT_SF_SG_SH_E_clIS9_S9_SA_SA_EESE_SU_SF_SG_SH_EUlSU_E_NS1_11comp_targetILNS1_3genE8ELNS1_11target_archE1030ELNS1_3gpuE2ELNS1_3repE0EEENS1_48merge_mergepath_partition_config_static_selectorELNS0_4arch9wavefront6targetE0EEEvSG_
; %bb.0:
	.section	.rodata,"a",@progbits
	.p2align	6, 0x0
	.amdhsa_kernel _ZN7rocprim17ROCPRIM_400000_NS6detail17trampoline_kernelINS0_14default_configENS1_38merge_sort_block_merge_config_selectorI12hip_bfloat16NS0_10empty_typeEEEZZNS1_27merge_sort_block_merge_implIS3_PS5_PS6_jNS1_19radix_merge_compareILb1ELb0ES5_NS0_19identity_decomposerEEEEE10hipError_tT0_T1_T2_jT3_P12ihipStream_tbPNSt15iterator_traitsISF_E10value_typeEPNSL_ISG_E10value_typeEPSH_NS1_7vsmem_tEENKUlT_SF_SG_SH_E_clIS9_S9_SA_SA_EESE_SU_SF_SG_SH_EUlSU_E_NS1_11comp_targetILNS1_3genE8ELNS1_11target_archE1030ELNS1_3gpuE2ELNS1_3repE0EEENS1_48merge_mergepath_partition_config_static_selectorELNS0_4arch9wavefront6targetE0EEEvSG_
		.amdhsa_group_segment_fixed_size 0
		.amdhsa_private_segment_fixed_size 0
		.amdhsa_kernarg_size 40
		.amdhsa_user_sgpr_count 2
		.amdhsa_user_sgpr_dispatch_ptr 0
		.amdhsa_user_sgpr_queue_ptr 0
		.amdhsa_user_sgpr_kernarg_segment_ptr 1
		.amdhsa_user_sgpr_dispatch_id 0
		.amdhsa_user_sgpr_kernarg_preload_length 0
		.amdhsa_user_sgpr_kernarg_preload_offset 0
		.amdhsa_user_sgpr_private_segment_size 0
		.amdhsa_wavefront_size32 1
		.amdhsa_uses_dynamic_stack 0
		.amdhsa_enable_private_segment 0
		.amdhsa_system_sgpr_workgroup_id_x 1
		.amdhsa_system_sgpr_workgroup_id_y 0
		.amdhsa_system_sgpr_workgroup_id_z 0
		.amdhsa_system_sgpr_workgroup_info 0
		.amdhsa_system_vgpr_workitem_id 0
		.amdhsa_next_free_vgpr 1
		.amdhsa_next_free_sgpr 1
		.amdhsa_named_barrier_count 0
		.amdhsa_reserve_vcc 0
		.amdhsa_float_round_mode_32 0
		.amdhsa_float_round_mode_16_64 0
		.amdhsa_float_denorm_mode_32 3
		.amdhsa_float_denorm_mode_16_64 3
		.amdhsa_fp16_overflow 0
		.amdhsa_memory_ordered 1
		.amdhsa_forward_progress 1
		.amdhsa_inst_pref_size 0
		.amdhsa_round_robin_scheduling 0
		.amdhsa_exception_fp_ieee_invalid_op 0
		.amdhsa_exception_fp_denorm_src 0
		.amdhsa_exception_fp_ieee_div_zero 0
		.amdhsa_exception_fp_ieee_overflow 0
		.amdhsa_exception_fp_ieee_underflow 0
		.amdhsa_exception_fp_ieee_inexact 0
		.amdhsa_exception_int_div_zero 0
	.end_amdhsa_kernel
	.section	.text._ZN7rocprim17ROCPRIM_400000_NS6detail17trampoline_kernelINS0_14default_configENS1_38merge_sort_block_merge_config_selectorI12hip_bfloat16NS0_10empty_typeEEEZZNS1_27merge_sort_block_merge_implIS3_PS5_PS6_jNS1_19radix_merge_compareILb1ELb0ES5_NS0_19identity_decomposerEEEEE10hipError_tT0_T1_T2_jT3_P12ihipStream_tbPNSt15iterator_traitsISF_E10value_typeEPNSL_ISG_E10value_typeEPSH_NS1_7vsmem_tEENKUlT_SF_SG_SH_E_clIS9_S9_SA_SA_EESE_SU_SF_SG_SH_EUlSU_E_NS1_11comp_targetILNS1_3genE8ELNS1_11target_archE1030ELNS1_3gpuE2ELNS1_3repE0EEENS1_48merge_mergepath_partition_config_static_selectorELNS0_4arch9wavefront6targetE0EEEvSG_,"axG",@progbits,_ZN7rocprim17ROCPRIM_400000_NS6detail17trampoline_kernelINS0_14default_configENS1_38merge_sort_block_merge_config_selectorI12hip_bfloat16NS0_10empty_typeEEEZZNS1_27merge_sort_block_merge_implIS3_PS5_PS6_jNS1_19radix_merge_compareILb1ELb0ES5_NS0_19identity_decomposerEEEEE10hipError_tT0_T1_T2_jT3_P12ihipStream_tbPNSt15iterator_traitsISF_E10value_typeEPNSL_ISG_E10value_typeEPSH_NS1_7vsmem_tEENKUlT_SF_SG_SH_E_clIS9_S9_SA_SA_EESE_SU_SF_SG_SH_EUlSU_E_NS1_11comp_targetILNS1_3genE8ELNS1_11target_archE1030ELNS1_3gpuE2ELNS1_3repE0EEENS1_48merge_mergepath_partition_config_static_selectorELNS0_4arch9wavefront6targetE0EEEvSG_,comdat
.Lfunc_end1913:
	.size	_ZN7rocprim17ROCPRIM_400000_NS6detail17trampoline_kernelINS0_14default_configENS1_38merge_sort_block_merge_config_selectorI12hip_bfloat16NS0_10empty_typeEEEZZNS1_27merge_sort_block_merge_implIS3_PS5_PS6_jNS1_19radix_merge_compareILb1ELb0ES5_NS0_19identity_decomposerEEEEE10hipError_tT0_T1_T2_jT3_P12ihipStream_tbPNSt15iterator_traitsISF_E10value_typeEPNSL_ISG_E10value_typeEPSH_NS1_7vsmem_tEENKUlT_SF_SG_SH_E_clIS9_S9_SA_SA_EESE_SU_SF_SG_SH_EUlSU_E_NS1_11comp_targetILNS1_3genE8ELNS1_11target_archE1030ELNS1_3gpuE2ELNS1_3repE0EEENS1_48merge_mergepath_partition_config_static_selectorELNS0_4arch9wavefront6targetE0EEEvSG_, .Lfunc_end1913-_ZN7rocprim17ROCPRIM_400000_NS6detail17trampoline_kernelINS0_14default_configENS1_38merge_sort_block_merge_config_selectorI12hip_bfloat16NS0_10empty_typeEEEZZNS1_27merge_sort_block_merge_implIS3_PS5_PS6_jNS1_19radix_merge_compareILb1ELb0ES5_NS0_19identity_decomposerEEEEE10hipError_tT0_T1_T2_jT3_P12ihipStream_tbPNSt15iterator_traitsISF_E10value_typeEPNSL_ISG_E10value_typeEPSH_NS1_7vsmem_tEENKUlT_SF_SG_SH_E_clIS9_S9_SA_SA_EESE_SU_SF_SG_SH_EUlSU_E_NS1_11comp_targetILNS1_3genE8ELNS1_11target_archE1030ELNS1_3gpuE2ELNS1_3repE0EEENS1_48merge_mergepath_partition_config_static_selectorELNS0_4arch9wavefront6targetE0EEEvSG_
                                        ; -- End function
	.set _ZN7rocprim17ROCPRIM_400000_NS6detail17trampoline_kernelINS0_14default_configENS1_38merge_sort_block_merge_config_selectorI12hip_bfloat16NS0_10empty_typeEEEZZNS1_27merge_sort_block_merge_implIS3_PS5_PS6_jNS1_19radix_merge_compareILb1ELb0ES5_NS0_19identity_decomposerEEEEE10hipError_tT0_T1_T2_jT3_P12ihipStream_tbPNSt15iterator_traitsISF_E10value_typeEPNSL_ISG_E10value_typeEPSH_NS1_7vsmem_tEENKUlT_SF_SG_SH_E_clIS9_S9_SA_SA_EESE_SU_SF_SG_SH_EUlSU_E_NS1_11comp_targetILNS1_3genE8ELNS1_11target_archE1030ELNS1_3gpuE2ELNS1_3repE0EEENS1_48merge_mergepath_partition_config_static_selectorELNS0_4arch9wavefront6targetE0EEEvSG_.num_vgpr, 0
	.set _ZN7rocprim17ROCPRIM_400000_NS6detail17trampoline_kernelINS0_14default_configENS1_38merge_sort_block_merge_config_selectorI12hip_bfloat16NS0_10empty_typeEEEZZNS1_27merge_sort_block_merge_implIS3_PS5_PS6_jNS1_19radix_merge_compareILb1ELb0ES5_NS0_19identity_decomposerEEEEE10hipError_tT0_T1_T2_jT3_P12ihipStream_tbPNSt15iterator_traitsISF_E10value_typeEPNSL_ISG_E10value_typeEPSH_NS1_7vsmem_tEENKUlT_SF_SG_SH_E_clIS9_S9_SA_SA_EESE_SU_SF_SG_SH_EUlSU_E_NS1_11comp_targetILNS1_3genE8ELNS1_11target_archE1030ELNS1_3gpuE2ELNS1_3repE0EEENS1_48merge_mergepath_partition_config_static_selectorELNS0_4arch9wavefront6targetE0EEEvSG_.num_agpr, 0
	.set _ZN7rocprim17ROCPRIM_400000_NS6detail17trampoline_kernelINS0_14default_configENS1_38merge_sort_block_merge_config_selectorI12hip_bfloat16NS0_10empty_typeEEEZZNS1_27merge_sort_block_merge_implIS3_PS5_PS6_jNS1_19radix_merge_compareILb1ELb0ES5_NS0_19identity_decomposerEEEEE10hipError_tT0_T1_T2_jT3_P12ihipStream_tbPNSt15iterator_traitsISF_E10value_typeEPNSL_ISG_E10value_typeEPSH_NS1_7vsmem_tEENKUlT_SF_SG_SH_E_clIS9_S9_SA_SA_EESE_SU_SF_SG_SH_EUlSU_E_NS1_11comp_targetILNS1_3genE8ELNS1_11target_archE1030ELNS1_3gpuE2ELNS1_3repE0EEENS1_48merge_mergepath_partition_config_static_selectorELNS0_4arch9wavefront6targetE0EEEvSG_.numbered_sgpr, 0
	.set _ZN7rocprim17ROCPRIM_400000_NS6detail17trampoline_kernelINS0_14default_configENS1_38merge_sort_block_merge_config_selectorI12hip_bfloat16NS0_10empty_typeEEEZZNS1_27merge_sort_block_merge_implIS3_PS5_PS6_jNS1_19radix_merge_compareILb1ELb0ES5_NS0_19identity_decomposerEEEEE10hipError_tT0_T1_T2_jT3_P12ihipStream_tbPNSt15iterator_traitsISF_E10value_typeEPNSL_ISG_E10value_typeEPSH_NS1_7vsmem_tEENKUlT_SF_SG_SH_E_clIS9_S9_SA_SA_EESE_SU_SF_SG_SH_EUlSU_E_NS1_11comp_targetILNS1_3genE8ELNS1_11target_archE1030ELNS1_3gpuE2ELNS1_3repE0EEENS1_48merge_mergepath_partition_config_static_selectorELNS0_4arch9wavefront6targetE0EEEvSG_.num_named_barrier, 0
	.set _ZN7rocprim17ROCPRIM_400000_NS6detail17trampoline_kernelINS0_14default_configENS1_38merge_sort_block_merge_config_selectorI12hip_bfloat16NS0_10empty_typeEEEZZNS1_27merge_sort_block_merge_implIS3_PS5_PS6_jNS1_19radix_merge_compareILb1ELb0ES5_NS0_19identity_decomposerEEEEE10hipError_tT0_T1_T2_jT3_P12ihipStream_tbPNSt15iterator_traitsISF_E10value_typeEPNSL_ISG_E10value_typeEPSH_NS1_7vsmem_tEENKUlT_SF_SG_SH_E_clIS9_S9_SA_SA_EESE_SU_SF_SG_SH_EUlSU_E_NS1_11comp_targetILNS1_3genE8ELNS1_11target_archE1030ELNS1_3gpuE2ELNS1_3repE0EEENS1_48merge_mergepath_partition_config_static_selectorELNS0_4arch9wavefront6targetE0EEEvSG_.private_seg_size, 0
	.set _ZN7rocprim17ROCPRIM_400000_NS6detail17trampoline_kernelINS0_14default_configENS1_38merge_sort_block_merge_config_selectorI12hip_bfloat16NS0_10empty_typeEEEZZNS1_27merge_sort_block_merge_implIS3_PS5_PS6_jNS1_19radix_merge_compareILb1ELb0ES5_NS0_19identity_decomposerEEEEE10hipError_tT0_T1_T2_jT3_P12ihipStream_tbPNSt15iterator_traitsISF_E10value_typeEPNSL_ISG_E10value_typeEPSH_NS1_7vsmem_tEENKUlT_SF_SG_SH_E_clIS9_S9_SA_SA_EESE_SU_SF_SG_SH_EUlSU_E_NS1_11comp_targetILNS1_3genE8ELNS1_11target_archE1030ELNS1_3gpuE2ELNS1_3repE0EEENS1_48merge_mergepath_partition_config_static_selectorELNS0_4arch9wavefront6targetE0EEEvSG_.uses_vcc, 0
	.set _ZN7rocprim17ROCPRIM_400000_NS6detail17trampoline_kernelINS0_14default_configENS1_38merge_sort_block_merge_config_selectorI12hip_bfloat16NS0_10empty_typeEEEZZNS1_27merge_sort_block_merge_implIS3_PS5_PS6_jNS1_19radix_merge_compareILb1ELb0ES5_NS0_19identity_decomposerEEEEE10hipError_tT0_T1_T2_jT3_P12ihipStream_tbPNSt15iterator_traitsISF_E10value_typeEPNSL_ISG_E10value_typeEPSH_NS1_7vsmem_tEENKUlT_SF_SG_SH_E_clIS9_S9_SA_SA_EESE_SU_SF_SG_SH_EUlSU_E_NS1_11comp_targetILNS1_3genE8ELNS1_11target_archE1030ELNS1_3gpuE2ELNS1_3repE0EEENS1_48merge_mergepath_partition_config_static_selectorELNS0_4arch9wavefront6targetE0EEEvSG_.uses_flat_scratch, 0
	.set _ZN7rocprim17ROCPRIM_400000_NS6detail17trampoline_kernelINS0_14default_configENS1_38merge_sort_block_merge_config_selectorI12hip_bfloat16NS0_10empty_typeEEEZZNS1_27merge_sort_block_merge_implIS3_PS5_PS6_jNS1_19radix_merge_compareILb1ELb0ES5_NS0_19identity_decomposerEEEEE10hipError_tT0_T1_T2_jT3_P12ihipStream_tbPNSt15iterator_traitsISF_E10value_typeEPNSL_ISG_E10value_typeEPSH_NS1_7vsmem_tEENKUlT_SF_SG_SH_E_clIS9_S9_SA_SA_EESE_SU_SF_SG_SH_EUlSU_E_NS1_11comp_targetILNS1_3genE8ELNS1_11target_archE1030ELNS1_3gpuE2ELNS1_3repE0EEENS1_48merge_mergepath_partition_config_static_selectorELNS0_4arch9wavefront6targetE0EEEvSG_.has_dyn_sized_stack, 0
	.set _ZN7rocprim17ROCPRIM_400000_NS6detail17trampoline_kernelINS0_14default_configENS1_38merge_sort_block_merge_config_selectorI12hip_bfloat16NS0_10empty_typeEEEZZNS1_27merge_sort_block_merge_implIS3_PS5_PS6_jNS1_19radix_merge_compareILb1ELb0ES5_NS0_19identity_decomposerEEEEE10hipError_tT0_T1_T2_jT3_P12ihipStream_tbPNSt15iterator_traitsISF_E10value_typeEPNSL_ISG_E10value_typeEPSH_NS1_7vsmem_tEENKUlT_SF_SG_SH_E_clIS9_S9_SA_SA_EESE_SU_SF_SG_SH_EUlSU_E_NS1_11comp_targetILNS1_3genE8ELNS1_11target_archE1030ELNS1_3gpuE2ELNS1_3repE0EEENS1_48merge_mergepath_partition_config_static_selectorELNS0_4arch9wavefront6targetE0EEEvSG_.has_recursion, 0
	.set _ZN7rocprim17ROCPRIM_400000_NS6detail17trampoline_kernelINS0_14default_configENS1_38merge_sort_block_merge_config_selectorI12hip_bfloat16NS0_10empty_typeEEEZZNS1_27merge_sort_block_merge_implIS3_PS5_PS6_jNS1_19radix_merge_compareILb1ELb0ES5_NS0_19identity_decomposerEEEEE10hipError_tT0_T1_T2_jT3_P12ihipStream_tbPNSt15iterator_traitsISF_E10value_typeEPNSL_ISG_E10value_typeEPSH_NS1_7vsmem_tEENKUlT_SF_SG_SH_E_clIS9_S9_SA_SA_EESE_SU_SF_SG_SH_EUlSU_E_NS1_11comp_targetILNS1_3genE8ELNS1_11target_archE1030ELNS1_3gpuE2ELNS1_3repE0EEENS1_48merge_mergepath_partition_config_static_selectorELNS0_4arch9wavefront6targetE0EEEvSG_.has_indirect_call, 0
	.section	.AMDGPU.csdata,"",@progbits
; Kernel info:
; codeLenInByte = 0
; TotalNumSgprs: 0
; NumVgprs: 0
; ScratchSize: 0
; MemoryBound: 0
; FloatMode: 240
; IeeeMode: 1
; LDSByteSize: 0 bytes/workgroup (compile time only)
; SGPRBlocks: 0
; VGPRBlocks: 0
; NumSGPRsForWavesPerEU: 1
; NumVGPRsForWavesPerEU: 1
; NamedBarCnt: 0
; Occupancy: 16
; WaveLimiterHint : 0
; COMPUTE_PGM_RSRC2:SCRATCH_EN: 0
; COMPUTE_PGM_RSRC2:USER_SGPR: 2
; COMPUTE_PGM_RSRC2:TRAP_HANDLER: 0
; COMPUTE_PGM_RSRC2:TGID_X_EN: 1
; COMPUTE_PGM_RSRC2:TGID_Y_EN: 0
; COMPUTE_PGM_RSRC2:TGID_Z_EN: 0
; COMPUTE_PGM_RSRC2:TIDIG_COMP_CNT: 0
	.section	.text._ZN7rocprim17ROCPRIM_400000_NS6detail17trampoline_kernelINS0_14default_configENS1_38merge_sort_block_merge_config_selectorI12hip_bfloat16NS0_10empty_typeEEEZZNS1_27merge_sort_block_merge_implIS3_PS5_PS6_jNS1_19radix_merge_compareILb1ELb0ES5_NS0_19identity_decomposerEEEEE10hipError_tT0_T1_T2_jT3_P12ihipStream_tbPNSt15iterator_traitsISF_E10value_typeEPNSL_ISG_E10value_typeEPSH_NS1_7vsmem_tEENKUlT_SF_SG_SH_E_clIS9_S9_SA_SA_EESE_SU_SF_SG_SH_EUlSU_E0_NS1_11comp_targetILNS1_3genE0ELNS1_11target_archE4294967295ELNS1_3gpuE0ELNS1_3repE0EEENS1_38merge_mergepath_config_static_selectorELNS0_4arch9wavefront6targetE0EEEvSG_,"axG",@progbits,_ZN7rocprim17ROCPRIM_400000_NS6detail17trampoline_kernelINS0_14default_configENS1_38merge_sort_block_merge_config_selectorI12hip_bfloat16NS0_10empty_typeEEEZZNS1_27merge_sort_block_merge_implIS3_PS5_PS6_jNS1_19radix_merge_compareILb1ELb0ES5_NS0_19identity_decomposerEEEEE10hipError_tT0_T1_T2_jT3_P12ihipStream_tbPNSt15iterator_traitsISF_E10value_typeEPNSL_ISG_E10value_typeEPSH_NS1_7vsmem_tEENKUlT_SF_SG_SH_E_clIS9_S9_SA_SA_EESE_SU_SF_SG_SH_EUlSU_E0_NS1_11comp_targetILNS1_3genE0ELNS1_11target_archE4294967295ELNS1_3gpuE0ELNS1_3repE0EEENS1_38merge_mergepath_config_static_selectorELNS0_4arch9wavefront6targetE0EEEvSG_,comdat
	.protected	_ZN7rocprim17ROCPRIM_400000_NS6detail17trampoline_kernelINS0_14default_configENS1_38merge_sort_block_merge_config_selectorI12hip_bfloat16NS0_10empty_typeEEEZZNS1_27merge_sort_block_merge_implIS3_PS5_PS6_jNS1_19radix_merge_compareILb1ELb0ES5_NS0_19identity_decomposerEEEEE10hipError_tT0_T1_T2_jT3_P12ihipStream_tbPNSt15iterator_traitsISF_E10value_typeEPNSL_ISG_E10value_typeEPSH_NS1_7vsmem_tEENKUlT_SF_SG_SH_E_clIS9_S9_SA_SA_EESE_SU_SF_SG_SH_EUlSU_E0_NS1_11comp_targetILNS1_3genE0ELNS1_11target_archE4294967295ELNS1_3gpuE0ELNS1_3repE0EEENS1_38merge_mergepath_config_static_selectorELNS0_4arch9wavefront6targetE0EEEvSG_ ; -- Begin function _ZN7rocprim17ROCPRIM_400000_NS6detail17trampoline_kernelINS0_14default_configENS1_38merge_sort_block_merge_config_selectorI12hip_bfloat16NS0_10empty_typeEEEZZNS1_27merge_sort_block_merge_implIS3_PS5_PS6_jNS1_19radix_merge_compareILb1ELb0ES5_NS0_19identity_decomposerEEEEE10hipError_tT0_T1_T2_jT3_P12ihipStream_tbPNSt15iterator_traitsISF_E10value_typeEPNSL_ISG_E10value_typeEPSH_NS1_7vsmem_tEENKUlT_SF_SG_SH_E_clIS9_S9_SA_SA_EESE_SU_SF_SG_SH_EUlSU_E0_NS1_11comp_targetILNS1_3genE0ELNS1_11target_archE4294967295ELNS1_3gpuE0ELNS1_3repE0EEENS1_38merge_mergepath_config_static_selectorELNS0_4arch9wavefront6targetE0EEEvSG_
	.globl	_ZN7rocprim17ROCPRIM_400000_NS6detail17trampoline_kernelINS0_14default_configENS1_38merge_sort_block_merge_config_selectorI12hip_bfloat16NS0_10empty_typeEEEZZNS1_27merge_sort_block_merge_implIS3_PS5_PS6_jNS1_19radix_merge_compareILb1ELb0ES5_NS0_19identity_decomposerEEEEE10hipError_tT0_T1_T2_jT3_P12ihipStream_tbPNSt15iterator_traitsISF_E10value_typeEPNSL_ISG_E10value_typeEPSH_NS1_7vsmem_tEENKUlT_SF_SG_SH_E_clIS9_S9_SA_SA_EESE_SU_SF_SG_SH_EUlSU_E0_NS1_11comp_targetILNS1_3genE0ELNS1_11target_archE4294967295ELNS1_3gpuE0ELNS1_3repE0EEENS1_38merge_mergepath_config_static_selectorELNS0_4arch9wavefront6targetE0EEEvSG_
	.p2align	8
	.type	_ZN7rocprim17ROCPRIM_400000_NS6detail17trampoline_kernelINS0_14default_configENS1_38merge_sort_block_merge_config_selectorI12hip_bfloat16NS0_10empty_typeEEEZZNS1_27merge_sort_block_merge_implIS3_PS5_PS6_jNS1_19radix_merge_compareILb1ELb0ES5_NS0_19identity_decomposerEEEEE10hipError_tT0_T1_T2_jT3_P12ihipStream_tbPNSt15iterator_traitsISF_E10value_typeEPNSL_ISG_E10value_typeEPSH_NS1_7vsmem_tEENKUlT_SF_SG_SH_E_clIS9_S9_SA_SA_EESE_SU_SF_SG_SH_EUlSU_E0_NS1_11comp_targetILNS1_3genE0ELNS1_11target_archE4294967295ELNS1_3gpuE0ELNS1_3repE0EEENS1_38merge_mergepath_config_static_selectorELNS0_4arch9wavefront6targetE0EEEvSG_,@function
_ZN7rocprim17ROCPRIM_400000_NS6detail17trampoline_kernelINS0_14default_configENS1_38merge_sort_block_merge_config_selectorI12hip_bfloat16NS0_10empty_typeEEEZZNS1_27merge_sort_block_merge_implIS3_PS5_PS6_jNS1_19radix_merge_compareILb1ELb0ES5_NS0_19identity_decomposerEEEEE10hipError_tT0_T1_T2_jT3_P12ihipStream_tbPNSt15iterator_traitsISF_E10value_typeEPNSL_ISG_E10value_typeEPSH_NS1_7vsmem_tEENKUlT_SF_SG_SH_E_clIS9_S9_SA_SA_EESE_SU_SF_SG_SH_EUlSU_E0_NS1_11comp_targetILNS1_3genE0ELNS1_11target_archE4294967295ELNS1_3gpuE0ELNS1_3repE0EEENS1_38merge_mergepath_config_static_selectorELNS0_4arch9wavefront6targetE0EEEvSG_: ; @_ZN7rocprim17ROCPRIM_400000_NS6detail17trampoline_kernelINS0_14default_configENS1_38merge_sort_block_merge_config_selectorI12hip_bfloat16NS0_10empty_typeEEEZZNS1_27merge_sort_block_merge_implIS3_PS5_PS6_jNS1_19radix_merge_compareILb1ELb0ES5_NS0_19identity_decomposerEEEEE10hipError_tT0_T1_T2_jT3_P12ihipStream_tbPNSt15iterator_traitsISF_E10value_typeEPNSL_ISG_E10value_typeEPSH_NS1_7vsmem_tEENKUlT_SF_SG_SH_E_clIS9_S9_SA_SA_EESE_SU_SF_SG_SH_EUlSU_E0_NS1_11comp_targetILNS1_3genE0ELNS1_11target_archE4294967295ELNS1_3gpuE0ELNS1_3repE0EEENS1_38merge_mergepath_config_static_selectorELNS0_4arch9wavefront6targetE0EEEvSG_
; %bb.0:
	s_bfe_u32 s2, ttmp6, 0x40010
	s_and_b32 s4, ttmp7, 0xffff
	s_add_co_i32 s5, s2, 1
	s_clause 0x1
	s_load_b32 s6, s[0:1], 0x30
	s_load_b64 s[2:3], s[0:1], 0x40
	s_bfe_u32 s8, ttmp6, 0x4000c
	s_mul_i32 s5, s4, s5
	s_bfe_u32 s7, ttmp6, 0x40004
	s_add_co_i32 s8, s8, 1
	s_bfe_u32 s9, ttmp6, 0x40014
	s_add_co_i32 s7, s7, s5
	s_and_b32 s5, ttmp6, 15
	s_mul_i32 s8, ttmp9, s8
	s_lshr_b32 s10, ttmp7, 16
	s_add_co_i32 s9, s9, 1
	s_add_co_i32 s5, s5, s8
	s_mul_i32 s8, s10, s9
	s_bfe_u32 s9, ttmp6, 0x40008
	s_getreg_b32 s11, hwreg(HW_REG_IB_STS2, 6, 4)
	s_add_co_i32 s9, s9, s8
	s_cmp_eq_u32 s11, 0
	s_cselect_b32 s8, s10, s9
	s_cselect_b32 s4, s4, s7
	s_wait_kmcnt 0x0
	s_mul_i32 s8, s3, s8
	s_cselect_b32 s3, ttmp9, s5
	s_add_co_i32 s4, s8, s4
	s_mov_b32 s5, 0
	s_mul_i32 s4, s4, s2
	s_delay_alu instid0(SALU_CYCLE_1) | instskip(NEXT) | instid1(SALU_CYCLE_1)
	s_add_co_i32 s4, s4, s3
	s_cmp_ge_u32 s4, s6
	s_cbranch_scc1 .LBB1914_147
; %bb.1:
	v_mov_b32_e32 v3, 0
	s_add_nc_u64 s[10:11], s[0:1], 64
	global_load_b32 v1, v3, s[10:11] offset:14
	s_clause 0x2
	s_load_b64 s[6:7], s[0:1], 0x28
	s_load_b64 s[8:9], s[0:1], 0x38
	;; [unrolled: 1-line block ×3, first 2 shown]
	s_wait_kmcnt 0x0
	s_lshr_b32 s15, s6, 10
	s_delay_alu instid0(SALU_CYCLE_1) | instskip(SKIP_2) | instid1(SALU_CYCLE_1)
	s_cmp_lg_u32 s4, s15
	s_cselect_b32 s14, -1, 0
	s_lshl_b64 s[12:13], s[4:5], 2
	s_add_nc_u64 s[8:9], s[8:9], s[12:13]
	s_load_b64 s[12:13], s[8:9], 0x0
	s_wait_xcnt 0x0
	s_lshr_b32 s8, s7, 9
	s_delay_alu instid0(SALU_CYCLE_1) | instskip(NEXT) | instid1(SALU_CYCLE_1)
	s_and_b32 s8, s8, 0x7ffffe
	s_sub_co_i32 s9, 0, s8
	s_lshl_b32 s8, s4, 10
	s_and_b32 s18, s4, s9
	s_or_b32 s9, s4, s9
	s_lshl_b32 s19, s18, 11
	s_lshl_b32 s18, s18, 10
	s_add_co_i32 s19, s19, s7
	s_sub_co_i32 s20, s8, s18
	s_sub_co_i32 s18, s19, s18
	s_add_co_i32 s19, s19, s20
	s_min_u32 s20, s6, s18
	s_add_co_i32 s7, s18, s7
	s_wait_kmcnt 0x0
	s_sub_co_i32 s18, s19, s12
	s_sub_co_i32 s19, s19, s13
	s_min_u32 s18, s6, s18
	s_add_co_i32 s21, s19, 0x400
	s_cmp_eq_u32 s9, -1
	s_mov_b32 s19, s5
	s_cselect_b32 s7, s7, s21
	s_cselect_b32 s9, s20, s13
	s_mov_b32 s13, s5
	s_lshl_b64 s[20:21], s[18:19], 1
	s_min_u32 s19, s7, s6
	s_sub_co_i32 s7, s9, s12
	s_lshl_b64 s[12:13], s[12:13], 1
	s_sub_co_i32 s9, s19, s18
	s_cmp_lt_u32 s3, s2
	s_mov_b32 s3, s5
	s_cselect_b32 s2, 12, 18
	s_add_nc_u64 s[12:13], s[16:17], s[12:13]
	s_add_nc_u64 s[2:3], s[10:11], s[2:3]
	s_cmp_eq_u32 s4, s15
	s_load_u16 s2, s[2:3], 0x0
	s_add_nc_u64 s[10:11], s[16:17], s[20:21]
	s_wait_loadcnt 0x0
	v_lshrrev_b32_e32 v2, 16, v1
	v_and_b32_e32 v1, 0xffff, v1
	s_delay_alu instid0(VALU_DEP_1) | instskip(SKIP_2) | instid1(VALU_DEP_2)
	v_mul_lo_u32 v1, v1, v2
	v_lshlrev_b32_e32 v2, 1, v0
	s_wait_kmcnt 0x0
	v_mul_lo_u32 v1, v1, s2
	s_mov_b32 s2, -1
	s_delay_alu instid0(VALU_DEP_1) | instskip(NEXT) | instid1(VALU_DEP_1)
	v_add_nc_u32_e32 v6, v1, v0
	v_add_nc_u32_e32 v4, v6, v1
	s_cbranch_scc1 .LBB1914_3
; %bb.2:
	v_sub_co_u32 v10, vcc_lo, v0, s7
	v_dual_mov_b32 v11, v3 :: v_dual_mov_b32 v7, v3
	v_add_nc_u64_e32 v[8:9], s[12:13], v[2:3]
	v_sub_co_u32 v14, s2, v6, s7
	s_delay_alu instid0(VALU_DEP_3) | instskip(SKIP_3) | instid1(VALU_DEP_4)
	v_lshl_add_u64 v[10:11], v[10:11], 1, s[10:11]
	v_dual_mov_b32 v15, v3 :: v_dual_mov_b32 v5, v3
	v_lshl_add_u64 v[12:13], v[6:7], 1, s[12:13]
	v_dual_mov_b32 v17, v3 :: v_dual_add_nc_u32 v18, v4, v1
	v_dual_cndmask_b32 v9, v11, v9 :: v_dual_cndmask_b32 v8, v10, v8
	s_delay_alu instid0(VALU_DEP_4) | instskip(SKIP_3) | instid1(VALU_DEP_4)
	v_lshl_add_u64 v[10:11], v[14:15], 1, s[10:11]
	v_sub_co_u32 v16, vcc_lo, v4, s7
	v_mov_b32_e32 v19, v3
	v_lshl_add_u64 v[14:15], v[4:5], 1, s[12:13]
	v_dual_cndmask_b32 v11, v11, v13, s2 :: v_dual_cndmask_b32 v10, v10, v12, s2
	s_delay_alu instid0(VALU_DEP_4) | instskip(NEXT) | instid1(VALU_DEP_4)
	v_lshl_add_u64 v[12:13], v[16:17], 1, s[10:11]
	v_lshl_add_u64 v[16:17], v[18:19], 1, s[12:13]
	v_sub_co_u32 v20, s2, v18, s7
	v_dual_mov_b32 v21, v3 :: v_dual_add_nc_u32 v18, v18, v1
	global_load_u16 v7, v[10:11], off
	s_wait_xcnt 0x0
	v_dual_cndmask_b32 v11, v13, v15 :: v_dual_cndmask_b32 v10, v12, v14
	v_lshl_add_u64 v[12:13], v[20:21], 1, s[10:11]
	v_lshl_add_u64 v[14:15], v[18:19], 1, s[12:13]
	v_sub_co_u32 v20, vcc_lo, v18, s7
	v_add_nc_u32_e32 v18, v18, v1
	global_load_u16 v8, v[8:9], off
	global_load_u16 v9, v[10:11], off
	s_wait_xcnt 0x0
	v_lshl_add_u64 v[10:11], v[20:21], 1, s[10:11]
	v_dual_mov_b32 v23, v3 :: v_dual_add_nc_u32 v20, v18, v1
	v_dual_cndmask_b32 v17, v13, v17, s2 :: v_dual_cndmask_b32 v16, v12, v16, s2
	v_lshl_add_u64 v[12:13], v[18:19], 1, s[12:13]
	v_sub_co_u32 v18, s2, v18, s7
	s_delay_alu instid0(VALU_DEP_4) | instskip(SKIP_2) | instid1(VALU_DEP_3)
	v_dual_cndmask_b32 v29, v11, v15 :: v_dual_add_nc_u32 v22, v20, v1
	v_lshl_add_u64 v[24:25], v[20:21], 1, s[12:13]
	v_sub_co_u32 v20, s3, v20, s7
	v_lshl_add_u64 v[26:27], v[22:23], 1, s[12:13]
	v_sub_co_u32 v22, s4, v22, s7
	v_lshl_add_u64 v[18:19], v[18:19], 1, s[10:11]
	s_delay_alu instid0(VALU_DEP_4) | instskip(SKIP_1) | instid1(VALU_DEP_4)
	v_lshl_add_u64 v[20:21], v[20:21], 1, s[10:11]
	v_cndmask_b32_e32 v28, v10, v14, vcc_lo
	v_lshl_add_u64 v[10:11], v[22:23], 1, s[10:11]
	s_delay_alu instid0(VALU_DEP_4) | instskip(NEXT) | instid1(VALU_DEP_4)
	v_dual_cndmask_b32 v19, v19, v13, s2 :: v_dual_cndmask_b32 v18, v18, v12, s2
	v_dual_cndmask_b32 v21, v21, v25, s3 :: v_dual_cndmask_b32 v20, v20, v24, s3
	s_delay_alu instid0(VALU_DEP_3)
	v_dual_cndmask_b32 v23, v11, v27, s4 :: v_dual_cndmask_b32 v22, v10, v26, s4
	global_load_u16 v10, v[16:17], off
	global_load_u16 v11, v[28:29], off
	;; [unrolled: 1-line block ×5, first 2 shown]
	s_add_co_i32 s4, s9, s7
	s_cbranch_execz .LBB1914_4
	s_branch .LBB1914_21
.LBB1914_3:
                                        ; implicit-def: $vgpr13
                                        ; implicit-def: $vgpr3
                                        ; implicit-def: $vgpr14
                                        ; implicit-def: $vgpr11
                                        ; implicit-def: $vgpr10
                                        ; implicit-def: $vgpr9
                                        ; implicit-def: $vgpr7
                                        ; implicit-def: $vgpr8
                                        ; implicit-def: $sgpr4
	s_and_not1_b32 vcc_lo, exec_lo, s2
	s_cbranch_vccnz .LBB1914_21
.LBB1914_4:
	s_add_co_i32 s4, s9, s7
	s_mov_b32 s2, exec_lo
                                        ; implicit-def: $vgpr8
	s_wait_xcnt 0x0
	v_cmpx_gt_u32_e64 s4, v0
	s_cbranch_execz .LBB1914_6
; %bb.5:
	s_wait_loadcnt 0x4
	v_sub_co_u32 v10, vcc_lo, v0, s7
	s_wait_loadcnt 0x1
	v_mov_b32_e32 v3, 0
	s_delay_alu instid0(VALU_DEP_1) | instskip(SKIP_1) | instid1(VALU_DEP_1)
	v_add_nc_u64_e32 v[8:9], s[12:13], v[2:3]
	v_mov_b32_e32 v11, v3
	v_lshl_add_u64 v[10:11], v[10:11], 1, s[10:11]
	s_delay_alu instid0(VALU_DEP_1)
	v_dual_cndmask_b32 v9, v11, v9 :: v_dual_cndmask_b32 v8, v10, v8
	global_load_u16 v8, v[8:9], off
.LBB1914_6:
	s_wait_xcnt 0x0
	s_or_b32 exec_lo, exec_lo, s2
	s_delay_alu instid0(SALU_CYCLE_1)
	s_mov_b32 s2, exec_lo
                                        ; implicit-def: $vgpr7
	v_cmpx_gt_u32_e64 s4, v6
	s_cbranch_execz .LBB1914_8
; %bb.7:
	s_wait_loadcnt 0x7
	v_mov_b32_e32 v7, 0
	s_wait_loadcnt 0x3
	s_delay_alu instid0(VALU_DEP_1) | instskip(SKIP_1) | instid1(VALU_DEP_1)
	v_lshl_add_u64 v[10:11], v[6:7], 1, s[12:13]
	v_sub_co_u32 v6, vcc_lo, v6, s7
	v_lshl_add_u64 v[6:7], v[6:7], 1, s[10:11]
	s_delay_alu instid0(VALU_DEP_1)
	v_dual_cndmask_b32 v7, v7, v11 :: v_dual_cndmask_b32 v6, v6, v10
	global_load_u16 v7, v[6:7], off
.LBB1914_8:
	s_wait_xcnt 0x0
	s_or_b32 exec_lo, exec_lo, s2
	s_delay_alu instid0(SALU_CYCLE_1)
	s_mov_b32 s2, exec_lo
                                        ; implicit-def: $vgpr9
	v_cmpx_gt_u32_e64 s4, v4
	s_cbranch_execz .LBB1914_10
; %bb.9:
	v_sub_co_u32 v12, vcc_lo, v4, s7
	v_mov_b32_e32 v5, 0
	s_wait_loadcnt 0x3
	s_delay_alu instid0(VALU_DEP_1) | instskip(SKIP_2) | instid1(VALU_DEP_1)
	v_lshl_add_u64 v[10:11], v[4:5], 1, s[12:13]
	s_wait_loadcnt 0x0
	v_mov_b32_e32 v13, v5
	v_lshl_add_u64 v[12:13], v[12:13], 1, s[10:11]
	s_delay_alu instid0(VALU_DEP_1)
	v_dual_cndmask_b32 v11, v13, v11 :: v_dual_cndmask_b32 v10, v12, v10
	global_load_u16 v9, v[10:11], off
.LBB1914_10:
	s_wait_xcnt 0x0
	s_or_b32 exec_lo, exec_lo, s2
	v_add_nc_u32_e32 v4, v4, v1
	s_mov_b32 s2, exec_lo
                                        ; implicit-def: $vgpr10
	s_delay_alu instid0(VALU_DEP_1)
	v_cmpx_gt_u32_e64 s4, v4
	s_cbranch_execz .LBB1914_12
; %bb.11:
	v_sub_co_u32 v12, vcc_lo, v4, s7
	v_mov_b32_e32 v5, 0
	s_wait_loadcnt 0x3
	s_delay_alu instid0(VALU_DEP_1) | instskip(SKIP_2) | instid1(VALU_DEP_1)
	v_lshl_add_u64 v[10:11], v[4:5], 1, s[12:13]
	s_wait_loadcnt 0x0
	v_mov_b32_e32 v13, v5
	v_lshl_add_u64 v[12:13], v[12:13], 1, s[10:11]
	s_delay_alu instid0(VALU_DEP_1)
	v_dual_cndmask_b32 v11, v13, v11 :: v_dual_cndmask_b32 v10, v12, v10
	global_load_u16 v10, v[10:11], off
.LBB1914_12:
	s_wait_xcnt 0x0
	s_or_b32 exec_lo, exec_lo, s2
	v_add_nc_u32_e32 v4, v4, v1
	s_mov_b32 s2, exec_lo
                                        ; implicit-def: $vgpr11
	s_delay_alu instid0(VALU_DEP_1)
	v_cmpx_gt_u32_e64 s4, v4
	s_cbranch_execz .LBB1914_14
; %bb.13:
	s_wait_loadcnt 0x2
	v_sub_co_u32 v14, vcc_lo, v4, s7
	v_mov_b32_e32 v5, 0
	s_wait_loadcnt 0x0
	s_delay_alu instid0(VALU_DEP_1) | instskip(SKIP_1) | instid1(VALU_DEP_1)
	v_lshl_add_u64 v[12:13], v[4:5], 1, s[12:13]
	v_mov_b32_e32 v15, v5
	v_lshl_add_u64 v[14:15], v[14:15], 1, s[10:11]
	s_delay_alu instid0(VALU_DEP_1)
	v_dual_cndmask_b32 v13, v15, v13 :: v_dual_cndmask_b32 v12, v14, v12
	global_load_u16 v11, v[12:13], off
.LBB1914_14:
	s_wait_xcnt 0x0
	s_or_b32 exec_lo, exec_lo, s2
	v_add_nc_u32_e32 v4, v4, v1
	s_mov_b32 s2, exec_lo
                                        ; implicit-def: $vgpr14
	s_delay_alu instid0(VALU_DEP_1)
	v_cmpx_gt_u32_e64 s4, v4
	s_cbranch_execz .LBB1914_16
; %bb.15:
	s_wait_loadcnt 0x2
	v_sub_co_u32 v14, vcc_lo, v4, s7
	v_mov_b32_e32 v5, 0
	s_wait_loadcnt 0x0
	s_delay_alu instid0(VALU_DEP_1) | instskip(SKIP_1) | instid1(VALU_DEP_1)
	v_lshl_add_u64 v[12:13], v[4:5], 1, s[12:13]
	v_mov_b32_e32 v15, v5
	v_lshl_add_u64 v[14:15], v[14:15], 1, s[10:11]
	s_delay_alu instid0(VALU_DEP_1)
	v_dual_cndmask_b32 v13, v15, v13 :: v_dual_cndmask_b32 v12, v14, v12
	global_load_u16 v14, v[12:13], off
.LBB1914_16:
	s_wait_xcnt 0x0
	s_or_b32 exec_lo, exec_lo, s2
	v_add_nc_u32_e32 v4, v4, v1
	s_mov_b32 s2, exec_lo
                                        ; implicit-def: $vgpr3
	s_delay_alu instid0(VALU_DEP_1)
	v_cmpx_gt_u32_e64 s4, v4
	s_cbranch_execz .LBB1914_18
; %bb.17:
	v_sub_co_u32 v16, vcc_lo, v4, s7
	v_mov_b32_e32 v5, 0
	s_wait_loadcnt 0x0
	s_delay_alu instid0(VALU_DEP_1) | instskip(SKIP_1) | instid1(VALU_DEP_1)
	v_lshl_add_u64 v[12:13], v[4:5], 1, s[12:13]
	v_mov_b32_e32 v17, v5
	v_lshl_add_u64 v[16:17], v[16:17], 1, s[10:11]
	s_delay_alu instid0(VALU_DEP_1)
	v_dual_cndmask_b32 v13, v17, v13 :: v_dual_cndmask_b32 v12, v16, v12
	global_load_u16 v3, v[12:13], off
.LBB1914_18:
	s_wait_xcnt 0x0
	s_or_b32 exec_lo, exec_lo, s2
	v_add_nc_u32_e32 v4, v4, v1
	s_mov_b32 s2, exec_lo
                                        ; implicit-def: $vgpr13
	s_delay_alu instid0(VALU_DEP_1)
	v_cmpx_gt_u32_e64 s4, v4
	s_cbranch_execz .LBB1914_20
; %bb.19:
	v_mov_b32_e32 v5, 0
	s_wait_loadcnt 0x0
	s_delay_alu instid0(VALU_DEP_1) | instskip(SKIP_1) | instid1(VALU_DEP_1)
	v_lshl_add_u64 v[12:13], v[4:5], 1, s[12:13]
	v_sub_co_u32 v4, vcc_lo, v4, s7
	v_lshl_add_u64 v[4:5], v[4:5], 1, s[10:11]
	s_delay_alu instid0(VALU_DEP_1)
	v_dual_cndmask_b32 v5, v5, v13 :: v_dual_cndmask_b32 v4, v4, v12
	global_load_u16 v13, v[4:5], off
.LBB1914_20:
	s_wait_xcnt 0x0
	s_or_b32 exec_lo, exec_lo, s2
.LBB1914_21:
	s_load_b64 s[2:3], s[0:1], 0x10
	v_lshlrev_b32_e32 v1, 3, v0
	s_wait_xcnt 0x0
	s_mov_b32 s0, exec_lo
	s_wait_loadcnt 0x0
	ds_store_b16 v2, v8
	ds_store_b16 v2, v7 offset:256
	ds_store_b16 v2, v9 offset:512
	;; [unrolled: 1-line block ×7, first 2 shown]
	s_wait_dscnt 0x0
	s_barrier_signal -1
	v_min_u32_e32 v4, s4, v1
	s_barrier_wait -1
	s_delay_alu instid0(VALU_DEP_1) | instskip(SKIP_1) | instid1(VALU_DEP_1)
	v_sub_nc_u32_e64 v5, v4, s9 clamp
	v_min_u32_e32 v6, s7, v4
	v_cmpx_lt_u32_e64 v5, v6
	s_cbranch_execz .LBB1914_33
; %bb.22:
	v_lshlrev_b32_e32 v12, 1, v4
	s_mov_b32 s1, 0
	s_delay_alu instid0(VALU_DEP_1)
	v_lshl_add_u32 v12, s7, 1, v12
	s_branch .LBB1914_24
.LBB1914_23:                            ;   in Loop: Header=BB1914_24 Depth=1
	s_or_b32 exec_lo, exec_lo, s5
	v_cmp_lt_i32_e32 vcc_lo, -1, v16
	s_delay_alu instid0(VALU_DEP_2) | instskip(SKIP_3) | instid1(VALU_DEP_1)
	v_perm_b32 v16, v17, v16, 0x7060302
	v_cndmask_b32_e64 v18, -1, 0xffff8000, vcc_lo
	v_cmp_lt_i32_e32 vcc_lo, -1, v17
	v_cndmask_b32_e64 v19, -1, 0xffff8000, vcc_lo
	v_perm_b32 v17, v19, v18, 0x5040100
	s_delay_alu instid0(VALU_DEP_1) | instskip(NEXT) | instid1(VALU_DEP_1)
	v_dual_add_nc_u32 v18, 1, v15 :: v_dual_bitop2_b32 v16, v17, v16 bitop3:0x14
	v_lshrrev_b32_e32 v17, 16, v16
	s_delay_alu instid0(VALU_DEP_1) | instskip(SKIP_1) | instid1(VALU_DEP_4)
	v_cmp_gt_u16_e32 vcc_lo, v16, v17
	v_cndmask_b32_e32 v6, v6, v15, vcc_lo
	v_cndmask_b32_e32 v5, v18, v5, vcc_lo
	s_delay_alu instid0(VALU_DEP_1) | instskip(SKIP_1) | instid1(SALU_CYCLE_1)
	v_cmp_ge_u32_e32 vcc_lo, v5, v6
	s_or_b32 s1, vcc_lo, s1
	s_and_not1_b32 exec_lo, exec_lo, s1
	s_cbranch_execz .LBB1914_32
.LBB1914_24:                            ; =>This Inner Loop Header: Depth=1
	v_add_nc_u32_e32 v16, v6, v5
	s_delay_alu instid0(VALU_DEP_1) | instskip(NEXT) | instid1(VALU_DEP_1)
	v_dual_lshrrev_b32 v15, 1, v16 :: v_dual_bitop2_b32 v16, -2, v16 bitop3:0x40
	v_not_b32_e32 v17, v15
	s_delay_alu instid0(VALU_DEP_1) | instskip(SKIP_4) | instid1(VALU_DEP_1)
	v_lshl_add_u32 v17, v17, 1, v12
	ds_load_u16 v18, v17
	ds_load_u16 v17, v16
	s_wait_dscnt 0x1
	v_lshlrev_b32_e32 v16, 16, v18
	v_add_f32_e32 v18, 0, v16
	s_delay_alu instid0(VALU_DEP_1) | instskip(NEXT) | instid1(VALU_DEP_1)
	v_and_b32_e32 v16, 0x7f800000, v18
	v_cmp_ne_u32_e32 vcc_lo, 0x7f800000, v16
                                        ; implicit-def: $vgpr16
	s_and_saveexec_b32 s5, vcc_lo
	s_delay_alu instid0(SALU_CYCLE_1)
	s_xor_b32 s5, exec_lo, s5
; %bb.25:                               ;   in Loop: Header=BB1914_24 Depth=1
	v_bfe_u32 v16, v18, 16, 1
	s_delay_alu instid0(VALU_DEP_1)
	v_add3_u32 v16, v18, v16, 0x7fff
                                        ; implicit-def: $vgpr18
; %bb.26:                               ;   in Loop: Header=BB1914_24 Depth=1
	s_and_not1_saveexec_b32 s5, s5
; %bb.27:                               ;   in Loop: Header=BB1914_24 Depth=1
	v_and_b32_e32 v16, 0xffff, v18
	v_or_b32_e32 v19, 0x10000, v18
	s_delay_alu instid0(VALU_DEP_2) | instskip(NEXT) | instid1(VALU_DEP_2)
	v_cmp_eq_u32_e32 vcc_lo, 0, v16
	v_cndmask_b32_e32 v16, v19, v18, vcc_lo
; %bb.28:                               ;   in Loop: Header=BB1914_24 Depth=1
	s_or_b32 exec_lo, exec_lo, s5
	s_wait_dscnt 0x0
	v_lshlrev_b32_e32 v17, 16, v17
	s_delay_alu instid0(VALU_DEP_1) | instskip(NEXT) | instid1(VALU_DEP_1)
	v_add_f32_e32 v18, 0, v17
	v_and_b32_e32 v17, 0x7f800000, v18
	s_delay_alu instid0(VALU_DEP_1) | instskip(SKIP_1) | instid1(SALU_CYCLE_1)
	v_cmp_ne_u32_e32 vcc_lo, 0x7f800000, v17
                                        ; implicit-def: $vgpr17
	s_and_saveexec_b32 s5, vcc_lo
	s_xor_b32 s5, exec_lo, s5
; %bb.29:                               ;   in Loop: Header=BB1914_24 Depth=1
	v_bfe_u32 v17, v18, 16, 1
	s_delay_alu instid0(VALU_DEP_1)
	v_add3_u32 v17, v18, v17, 0x7fff
                                        ; implicit-def: $vgpr18
; %bb.30:                               ;   in Loop: Header=BB1914_24 Depth=1
	s_and_not1_saveexec_b32 s5, s5
	s_cbranch_execz .LBB1914_23
; %bb.31:                               ;   in Loop: Header=BB1914_24 Depth=1
	v_and_b32_e32 v17, 0xffff, v18
	v_or_b32_e32 v19, 0x10000, v18
	s_delay_alu instid0(VALU_DEP_2) | instskip(NEXT) | instid1(VALU_DEP_2)
	v_cmp_eq_u32_e32 vcc_lo, 0, v17
	v_cndmask_b32_e32 v17, v19, v18, vcc_lo
	s_branch .LBB1914_23
.LBB1914_32:
	s_or_b32 exec_lo, exec_lo, s1
.LBB1914_33:
	s_delay_alu instid0(SALU_CYCLE_1) | instskip(SKIP_2) | instid1(VALU_DEP_2)
	s_or_b32 exec_lo, exec_lo, s0
	v_sub_nc_u32_e32 v4, v4, v5
	v_cmp_ge_u32_e32 vcc_lo, s7, v5
	v_add_nc_u32_e32 v6, s7, v4
	s_delay_alu instid0(VALU_DEP_1) | instskip(SKIP_1) | instid1(SALU_CYCLE_1)
	v_cmp_ge_u32_e64 s0, s4, v6
	s_or_b32 s0, vcc_lo, s0
	s_and_saveexec_b32 s1, s0
	s_cbranch_execz .LBB1914_133
; %bb.34:
	s_mov_b32 s5, exec_lo
	v_cmp_le_u32_e32 vcc_lo, s7, v5
                                        ; implicit-def: $vgpr3
	v_cmpx_gt_u32_e64 s7, v5
; %bb.35:
	v_lshlrev_b32_e32 v3, 1, v5
	ds_load_u16 v3, v3
; %bb.36:
	s_or_b32 exec_lo, exec_lo, s5
	v_cmp_le_u32_e64 s5, s4, v6
	s_mov_b32 s9, exec_lo
                                        ; implicit-def: $vgpr4
	v_cmpx_gt_u32_e64 s4, v6
; %bb.37:
	v_lshlrev_b32_e32 v4, 1, v6
	ds_load_u16 v4, v4
; %bb.38:
	s_or_b32 exec_lo, exec_lo, s9
	s_nor_b32 s9, vcc_lo, s5
	s_delay_alu instid0(SALU_CYCLE_1)
	s_and_saveexec_b32 s0, s9
	s_cbranch_execz .LBB1914_48
; %bb.39:
	s_wait_dscnt 0x0
	v_lshlrev_b32_e32 v7, 16, v4
	s_delay_alu instid0(VALU_DEP_1) | instskip(NEXT) | instid1(VALU_DEP_1)
	v_add_f32_e32 v8, 0, v7
	v_and_b32_e32 v7, 0x7f800000, v8
	s_delay_alu instid0(VALU_DEP_1) | instskip(SKIP_1) | instid1(SALU_CYCLE_1)
	v_cmp_ne_u32_e32 vcc_lo, 0x7f800000, v7
                                        ; implicit-def: $vgpr7
	s_and_saveexec_b32 s9, vcc_lo
	s_xor_b32 s9, exec_lo, s9
; %bb.40:
	v_bfe_u32 v7, v8, 16, 1
	s_delay_alu instid0(VALU_DEP_1)
	v_add3_u32 v7, v8, v7, 0x7fff
                                        ; implicit-def: $vgpr8
; %bb.41:
	s_and_not1_saveexec_b32 s9, s9
; %bb.42:
	v_and_b32_e32 v7, 0xffff, v8
	v_or_b32_e32 v9, 0x10000, v8
	s_delay_alu instid0(VALU_DEP_2) | instskip(NEXT) | instid1(VALU_DEP_2)
	v_cmp_eq_u32_e32 vcc_lo, 0, v7
	v_cndmask_b32_e32 v7, v9, v8, vcc_lo
; %bb.43:
	s_or_b32 exec_lo, exec_lo, s9
	v_lshlrev_b32_e32 v8, 16, v3
	s_delay_alu instid0(VALU_DEP_1) | instskip(NEXT) | instid1(VALU_DEP_1)
	v_add_f32_e32 v9, 0, v8
	v_and_b32_e32 v8, 0x7f800000, v9
	s_delay_alu instid0(VALU_DEP_1) | instskip(SKIP_1) | instid1(SALU_CYCLE_1)
	v_cmp_ne_u32_e32 vcc_lo, 0x7f800000, v8
                                        ; implicit-def: $vgpr8
	s_and_saveexec_b32 s9, vcc_lo
	s_xor_b32 s9, exec_lo, s9
; %bb.44:
	v_bfe_u32 v8, v9, 16, 1
	s_delay_alu instid0(VALU_DEP_1)
	v_add3_u32 v8, v9, v8, 0x7fff
                                        ; implicit-def: $vgpr9
; %bb.45:
	s_and_not1_saveexec_b32 s9, s9
; %bb.46:
	v_and_b32_e32 v8, 0xffff, v9
	v_or_b32_e32 v10, 0x10000, v9
	s_delay_alu instid0(VALU_DEP_2) | instskip(NEXT) | instid1(VALU_DEP_2)
	v_cmp_eq_u32_e32 vcc_lo, 0, v8
	v_cndmask_b32_e32 v8, v10, v9, vcc_lo
; %bb.47:
	s_or_b32 exec_lo, exec_lo, s9
	v_cmp_lt_i32_e32 vcc_lo, -1, v7
	s_delay_alu instid0(VALU_DEP_2) | instskip(SKIP_4) | instid1(VALU_DEP_1)
	v_perm_b32 v7, v8, v7, 0x7060302
	s_and_not1_b32 s5, s5, exec_lo
	v_cndmask_b32_e64 v9, -1, 0xffff8000, vcc_lo
	v_cmp_lt_i32_e32 vcc_lo, -1, v8
	v_cndmask_b32_e64 v10, -1, 0xffff8000, vcc_lo
	v_perm_b32 v8, v10, v9, 0x5040100
	s_delay_alu instid0(VALU_DEP_1) | instskip(NEXT) | instid1(VALU_DEP_1)
	v_xor_b32_e32 v7, v8, v7
	v_lshrrev_b32_e32 v8, 16, v7
	s_delay_alu instid0(VALU_DEP_1) | instskip(SKIP_1) | instid1(SALU_CYCLE_1)
	v_cmp_le_u16_e32 vcc_lo, v7, v8
	s_and_b32 s9, vcc_lo, exec_lo
	s_or_b32 s5, s5, s9
.LBB1914_48:
	s_or_b32 exec_lo, exec_lo, s0
	v_dual_mov_b32 v7, s7 :: v_dual_cndmask_b32 v8, v6, v5, s5
	s_mov_b32 s9, -1
	s_mov_b32 s0, -1
	s_mov_b32 s10, exec_lo
	s_delay_alu instid0(VALU_DEP_1) | instskip(NEXT) | instid1(VALU_DEP_1)
	v_dual_cndmask_b32 v7, s4, v7, s5 :: v_dual_add_nc_u32 v8, 1, v8
	v_add_min_u32_e64 v7, v7, -1, v8
	s_delay_alu instid0(VALU_DEP_1) | instskip(SKIP_4) | instid1(VALU_DEP_2)
	v_lshlrev_b32_e32 v7, 1, v7
	ds_load_u16 v9, v7
	v_dual_cndmask_b32 v7, v8, v6, s5 :: v_dual_cndmask_b32 v8, v5, v8, s5
	s_wait_dscnt 0x0
	v_dual_cndmask_b32 v5, v9, v4, s5 :: v_dual_cndmask_b32 v6, v3, v9, s5
	v_cmpx_gt_u32_e64 s4, v7
	s_cbranch_execz .LBB1914_60
; %bb.49:
	s_mov_b32 s11, 0
	s_mov_b32 s0, exec_lo
	v_cmpx_gt_u32_e64 s7, v8
	s_cbranch_execz .LBB1914_59
; %bb.50:
	v_lshlrev_b32_e32 v9, 16, v5
	s_delay_alu instid0(VALU_DEP_1) | instskip(NEXT) | instid1(VALU_DEP_1)
	v_add_f32_e32 v10, 0, v9
	v_and_b32_e32 v9, 0x7f800000, v10
	s_delay_alu instid0(VALU_DEP_1) | instskip(SKIP_1) | instid1(SALU_CYCLE_1)
	v_cmp_ne_u32_e32 vcc_lo, 0x7f800000, v9
                                        ; implicit-def: $vgpr9
	s_and_saveexec_b32 s11, vcc_lo
	s_xor_b32 s11, exec_lo, s11
; %bb.51:
	v_bfe_u32 v9, v10, 16, 1
	s_delay_alu instid0(VALU_DEP_1)
	v_add3_u32 v9, v10, v9, 0x7fff
                                        ; implicit-def: $vgpr10
; %bb.52:
	s_and_not1_saveexec_b32 s11, s11
; %bb.53:
	v_and_b32_e32 v9, 0xffff, v10
	v_or_b32_e32 v11, 0x10000, v10
	s_delay_alu instid0(VALU_DEP_2) | instskip(NEXT) | instid1(VALU_DEP_2)
	v_cmp_eq_u32_e32 vcc_lo, 0, v9
	v_cndmask_b32_e32 v9, v11, v10, vcc_lo
; %bb.54:
	s_or_b32 exec_lo, exec_lo, s11
	v_lshlrev_b32_e32 v10, 16, v6
	s_delay_alu instid0(VALU_DEP_1) | instskip(NEXT) | instid1(VALU_DEP_1)
	v_add_f32_e32 v11, 0, v10
	v_and_b32_e32 v10, 0x7f800000, v11
	s_delay_alu instid0(VALU_DEP_1) | instskip(SKIP_1) | instid1(SALU_CYCLE_1)
	v_cmp_ne_u32_e32 vcc_lo, 0x7f800000, v10
                                        ; implicit-def: $vgpr10
	s_and_saveexec_b32 s11, vcc_lo
	s_xor_b32 s11, exec_lo, s11
; %bb.55:
	v_bfe_u32 v10, v11, 16, 1
	s_delay_alu instid0(VALU_DEP_1)
	v_add3_u32 v10, v11, v10, 0x7fff
                                        ; implicit-def: $vgpr11
; %bb.56:
	s_and_not1_saveexec_b32 s11, s11
; %bb.57:
	v_and_b32_e32 v10, 0xffff, v11
	v_or_b32_e32 v12, 0x10000, v11
	s_delay_alu instid0(VALU_DEP_2) | instskip(NEXT) | instid1(VALU_DEP_2)
	v_cmp_eq_u32_e32 vcc_lo, 0, v10
	v_cndmask_b32_e32 v10, v12, v11, vcc_lo
; %bb.58:
	s_or_b32 exec_lo, exec_lo, s11
	v_cmp_lt_i32_e32 vcc_lo, -1, v9
	s_delay_alu instid0(VALU_DEP_2) | instskip(SKIP_3) | instid1(VALU_DEP_1)
	v_perm_b32 v9, v10, v9, 0x7060302
	v_cndmask_b32_e64 v11, -1, 0xffff8000, vcc_lo
	v_cmp_lt_i32_e32 vcc_lo, -1, v10
	v_cndmask_b32_e64 v12, -1, 0xffff8000, vcc_lo
	v_perm_b32 v10, v12, v11, 0x5040100
	s_delay_alu instid0(VALU_DEP_1) | instskip(NEXT) | instid1(VALU_DEP_1)
	v_xor_b32_e32 v9, v10, v9
	v_lshrrev_b32_e32 v10, 16, v9
	s_delay_alu instid0(VALU_DEP_1)
	v_cmp_le_u16_e32 vcc_lo, v9, v10
	s_and_b32 s11, vcc_lo, exec_lo
.LBB1914_59:
	s_or_b32 exec_lo, exec_lo, s0
	s_delay_alu instid0(SALU_CYCLE_1)
	s_or_not1_b32 s0, s11, exec_lo
.LBB1914_60:
	s_or_b32 exec_lo, exec_lo, s10
	v_dual_mov_b32 v9, s7 :: v_dual_cndmask_b32 v10, v7, v8, s0
	s_mov_b32 s10, exec_lo
	s_delay_alu instid0(VALU_DEP_1) | instskip(NEXT) | instid1(VALU_DEP_1)
	v_dual_cndmask_b32 v9, s4, v9, s0 :: v_dual_add_nc_u32 v10, 1, v10
	v_add_min_u32_e64 v9, v9, -1, v10
	s_delay_alu instid0(VALU_DEP_1) | instskip(SKIP_4) | instid1(VALU_DEP_2)
	v_lshlrev_b32_e32 v9, 1, v9
	ds_load_u16 v11, v9
	v_dual_cndmask_b32 v9, v10, v7, s0 :: v_dual_cndmask_b32 v10, v8, v10, s0
	s_wait_dscnt 0x0
	v_dual_cndmask_b32 v7, v11, v5, s0 :: v_dual_cndmask_b32 v8, v6, v11, s0
	v_cmpx_gt_u32_e64 s4, v9
	s_cbranch_execz .LBB1914_72
; %bb.61:
	s_mov_b32 s11, 0
	s_mov_b32 s9, exec_lo
	v_cmpx_gt_u32_e64 s7, v10
	s_cbranch_execz .LBB1914_71
; %bb.62:
	v_lshlrev_b32_e32 v11, 16, v7
	s_delay_alu instid0(VALU_DEP_1) | instskip(NEXT) | instid1(VALU_DEP_1)
	v_add_f32_e32 v12, 0, v11
	v_and_b32_e32 v11, 0x7f800000, v12
	s_delay_alu instid0(VALU_DEP_1) | instskip(SKIP_1) | instid1(SALU_CYCLE_1)
	v_cmp_ne_u32_e32 vcc_lo, 0x7f800000, v11
                                        ; implicit-def: $vgpr11
	s_and_saveexec_b32 s11, vcc_lo
	s_xor_b32 s11, exec_lo, s11
; %bb.63:
	v_bfe_u32 v11, v12, 16, 1
	s_delay_alu instid0(VALU_DEP_1)
	v_add3_u32 v11, v12, v11, 0x7fff
                                        ; implicit-def: $vgpr12
; %bb.64:
	s_and_not1_saveexec_b32 s11, s11
; %bb.65:
	v_and_b32_e32 v11, 0xffff, v12
	v_or_b32_e32 v13, 0x10000, v12
	s_delay_alu instid0(VALU_DEP_2) | instskip(NEXT) | instid1(VALU_DEP_2)
	v_cmp_eq_u32_e32 vcc_lo, 0, v11
	v_cndmask_b32_e32 v11, v13, v12, vcc_lo
; %bb.66:
	s_or_b32 exec_lo, exec_lo, s11
	v_lshlrev_b32_e32 v12, 16, v8
	s_delay_alu instid0(VALU_DEP_1) | instskip(NEXT) | instid1(VALU_DEP_1)
	v_add_f32_e32 v13, 0, v12
	v_and_b32_e32 v12, 0x7f800000, v13
	s_delay_alu instid0(VALU_DEP_1) | instskip(SKIP_1) | instid1(SALU_CYCLE_1)
	v_cmp_ne_u32_e32 vcc_lo, 0x7f800000, v12
                                        ; implicit-def: $vgpr12
	s_and_saveexec_b32 s11, vcc_lo
	s_xor_b32 s11, exec_lo, s11
; %bb.67:
	v_bfe_u32 v12, v13, 16, 1
	s_delay_alu instid0(VALU_DEP_1)
	v_add3_u32 v12, v13, v12, 0x7fff
                                        ; implicit-def: $vgpr13
; %bb.68:
	s_and_not1_saveexec_b32 s11, s11
; %bb.69:
	v_and_b32_e32 v12, 0xffff, v13
	v_or_b32_e32 v14, 0x10000, v13
	s_delay_alu instid0(VALU_DEP_2) | instskip(NEXT) | instid1(VALU_DEP_2)
	v_cmp_eq_u32_e32 vcc_lo, 0, v12
	v_cndmask_b32_e32 v12, v14, v13, vcc_lo
; %bb.70:
	s_or_b32 exec_lo, exec_lo, s11
	v_cmp_lt_i32_e32 vcc_lo, -1, v11
	s_delay_alu instid0(VALU_DEP_2) | instskip(SKIP_3) | instid1(VALU_DEP_1)
	v_perm_b32 v11, v12, v11, 0x7060302
	v_cndmask_b32_e64 v13, -1, 0xffff8000, vcc_lo
	v_cmp_lt_i32_e32 vcc_lo, -1, v12
	v_cndmask_b32_e64 v14, -1, 0xffff8000, vcc_lo
	v_perm_b32 v12, v14, v13, 0x5040100
	s_delay_alu instid0(VALU_DEP_1) | instskip(NEXT) | instid1(VALU_DEP_1)
	v_xor_b32_e32 v11, v12, v11
	v_lshrrev_b32_e32 v12, 16, v11
	s_delay_alu instid0(VALU_DEP_1)
	v_cmp_le_u16_e32 vcc_lo, v11, v12
	s_and_b32 s11, vcc_lo, exec_lo
.LBB1914_71:
	s_or_b32 exec_lo, exec_lo, s9
	s_delay_alu instid0(SALU_CYCLE_1)
	s_or_not1_b32 s9, s11, exec_lo
.LBB1914_72:
	s_or_b32 exec_lo, exec_lo, s10
	v_dual_mov_b32 v11, s7 :: v_dual_cndmask_b32 v12, v9, v10, s9
	s_mov_b32 s11, -1
	s_mov_b32 s10, -1
	s_mov_b32 s12, exec_lo
	s_delay_alu instid0(VALU_DEP_1) | instskip(NEXT) | instid1(VALU_DEP_1)
	v_dual_cndmask_b32 v11, s4, v11, s9 :: v_dual_add_nc_u32 v12, 1, v12
	v_add_min_u32_e64 v11, v11, -1, v12
	s_delay_alu instid0(VALU_DEP_1) | instskip(SKIP_4) | instid1(VALU_DEP_2)
	v_lshlrev_b32_e32 v11, 1, v11
	ds_load_u16 v13, v11
	v_dual_cndmask_b32 v11, v12, v9, s9 :: v_dual_cndmask_b32 v12, v10, v12, s9
	s_wait_dscnt 0x0
	v_dual_cndmask_b32 v9, v13, v7, s9 :: v_dual_cndmask_b32 v10, v8, v13, s9
	v_cmpx_gt_u32_e64 s4, v11
	s_cbranch_execz .LBB1914_84
; %bb.73:
	s_mov_b32 s13, 0
	s_mov_b32 s10, exec_lo
	v_cmpx_gt_u32_e64 s7, v12
	s_cbranch_execz .LBB1914_83
; %bb.74:
	v_lshlrev_b32_e32 v13, 16, v9
	s_delay_alu instid0(VALU_DEP_1) | instskip(NEXT) | instid1(VALU_DEP_1)
	v_add_f32_e32 v14, 0, v13
	v_and_b32_e32 v13, 0x7f800000, v14
	s_delay_alu instid0(VALU_DEP_1) | instskip(SKIP_1) | instid1(SALU_CYCLE_1)
	v_cmp_ne_u32_e32 vcc_lo, 0x7f800000, v13
                                        ; implicit-def: $vgpr13
	s_and_saveexec_b32 s13, vcc_lo
	s_xor_b32 s13, exec_lo, s13
; %bb.75:
	v_bfe_u32 v13, v14, 16, 1
	s_delay_alu instid0(VALU_DEP_1)
	v_add3_u32 v13, v14, v13, 0x7fff
                                        ; implicit-def: $vgpr14
; %bb.76:
	s_and_not1_saveexec_b32 s13, s13
; %bb.77:
	v_and_b32_e32 v13, 0xffff, v14
	v_or_b32_e32 v15, 0x10000, v14
	s_delay_alu instid0(VALU_DEP_2) | instskip(NEXT) | instid1(VALU_DEP_2)
	v_cmp_eq_u32_e32 vcc_lo, 0, v13
	v_cndmask_b32_e32 v13, v15, v14, vcc_lo
; %bb.78:
	s_or_b32 exec_lo, exec_lo, s13
	v_lshlrev_b32_e32 v14, 16, v10
	s_delay_alu instid0(VALU_DEP_1) | instskip(NEXT) | instid1(VALU_DEP_1)
	v_add_f32_e32 v15, 0, v14
	v_and_b32_e32 v14, 0x7f800000, v15
	s_delay_alu instid0(VALU_DEP_1) | instskip(SKIP_1) | instid1(SALU_CYCLE_1)
	v_cmp_ne_u32_e32 vcc_lo, 0x7f800000, v14
                                        ; implicit-def: $vgpr14
	s_and_saveexec_b32 s13, vcc_lo
	s_xor_b32 s13, exec_lo, s13
; %bb.79:
	v_bfe_u32 v14, v15, 16, 1
	s_delay_alu instid0(VALU_DEP_1)
	v_add3_u32 v14, v15, v14, 0x7fff
                                        ; implicit-def: $vgpr15
; %bb.80:
	s_and_not1_saveexec_b32 s13, s13
; %bb.81:
	v_and_b32_e32 v14, 0xffff, v15
	v_or_b32_e32 v16, 0x10000, v15
	s_delay_alu instid0(VALU_DEP_2) | instskip(NEXT) | instid1(VALU_DEP_2)
	v_cmp_eq_u32_e32 vcc_lo, 0, v14
	v_cndmask_b32_e32 v14, v16, v15, vcc_lo
; %bb.82:
	s_or_b32 exec_lo, exec_lo, s13
	v_cmp_lt_i32_e32 vcc_lo, -1, v13
	s_delay_alu instid0(VALU_DEP_2) | instskip(SKIP_3) | instid1(VALU_DEP_1)
	v_perm_b32 v13, v14, v13, 0x7060302
	v_cndmask_b32_e64 v15, -1, 0xffff8000, vcc_lo
	v_cmp_lt_i32_e32 vcc_lo, -1, v14
	v_cndmask_b32_e64 v16, -1, 0xffff8000, vcc_lo
	v_perm_b32 v14, v16, v15, 0x5040100
	s_delay_alu instid0(VALU_DEP_1) | instskip(NEXT) | instid1(VALU_DEP_1)
	v_xor_b32_e32 v13, v14, v13
	v_lshrrev_b32_e32 v14, 16, v13
	s_delay_alu instid0(VALU_DEP_1)
	v_cmp_le_u16_e32 vcc_lo, v13, v14
	s_and_b32 s13, vcc_lo, exec_lo
.LBB1914_83:
	s_or_b32 exec_lo, exec_lo, s10
	s_delay_alu instid0(SALU_CYCLE_1)
	s_or_not1_b32 s10, s13, exec_lo
.LBB1914_84:
	s_or_b32 exec_lo, exec_lo, s12
	v_dual_mov_b32 v13, s7 :: v_dual_cndmask_b32 v14, v11, v12, s10
	s_mov_b32 s12, exec_lo
	s_delay_alu instid0(VALU_DEP_1) | instskip(NEXT) | instid1(VALU_DEP_1)
	v_dual_cndmask_b32 v13, s4, v13, s10 :: v_dual_add_nc_u32 v14, 1, v14
	v_add_min_u32_e64 v13, v13, -1, v14
	s_delay_alu instid0(VALU_DEP_1) | instskip(SKIP_4) | instid1(VALU_DEP_2)
	v_lshlrev_b32_e32 v13, 1, v13
	ds_load_u16 v15, v13
	v_dual_cndmask_b32 v13, v14, v11, s10 :: v_dual_cndmask_b32 v14, v12, v14, s10
	s_wait_dscnt 0x0
	v_dual_cndmask_b32 v11, v15, v9, s10 :: v_dual_cndmask_b32 v12, v10, v15, s10
	v_cmpx_gt_u32_e64 s4, v13
	s_cbranch_execz .LBB1914_96
; %bb.85:
	s_mov_b32 s13, 0
	s_mov_b32 s11, exec_lo
	v_cmpx_gt_u32_e64 s7, v14
	s_cbranch_execz .LBB1914_95
; %bb.86:
	v_lshlrev_b32_e32 v15, 16, v11
	s_delay_alu instid0(VALU_DEP_1) | instskip(NEXT) | instid1(VALU_DEP_1)
	v_add_f32_e32 v16, 0, v15
	v_and_b32_e32 v15, 0x7f800000, v16
	s_delay_alu instid0(VALU_DEP_1) | instskip(SKIP_1) | instid1(SALU_CYCLE_1)
	v_cmp_ne_u32_e32 vcc_lo, 0x7f800000, v15
                                        ; implicit-def: $vgpr15
	s_and_saveexec_b32 s13, vcc_lo
	s_xor_b32 s13, exec_lo, s13
; %bb.87:
	v_bfe_u32 v15, v16, 16, 1
	s_delay_alu instid0(VALU_DEP_1)
	v_add3_u32 v15, v16, v15, 0x7fff
                                        ; implicit-def: $vgpr16
; %bb.88:
	s_and_not1_saveexec_b32 s13, s13
; %bb.89:
	v_and_b32_e32 v15, 0xffff, v16
	v_or_b32_e32 v17, 0x10000, v16
	s_delay_alu instid0(VALU_DEP_2) | instskip(NEXT) | instid1(VALU_DEP_2)
	v_cmp_eq_u32_e32 vcc_lo, 0, v15
	v_cndmask_b32_e32 v15, v17, v16, vcc_lo
; %bb.90:
	s_or_b32 exec_lo, exec_lo, s13
	v_lshlrev_b32_e32 v16, 16, v12
	s_delay_alu instid0(VALU_DEP_1) | instskip(NEXT) | instid1(VALU_DEP_1)
	v_add_f32_e32 v17, 0, v16
	v_and_b32_e32 v16, 0x7f800000, v17
	s_delay_alu instid0(VALU_DEP_1) | instskip(SKIP_1) | instid1(SALU_CYCLE_1)
	v_cmp_ne_u32_e32 vcc_lo, 0x7f800000, v16
                                        ; implicit-def: $vgpr16
	s_and_saveexec_b32 s13, vcc_lo
	s_xor_b32 s13, exec_lo, s13
; %bb.91:
	v_bfe_u32 v16, v17, 16, 1
	s_delay_alu instid0(VALU_DEP_1)
	v_add3_u32 v16, v17, v16, 0x7fff
                                        ; implicit-def: $vgpr17
; %bb.92:
	s_and_not1_saveexec_b32 s13, s13
; %bb.93:
	v_and_b32_e32 v16, 0xffff, v17
	v_or_b32_e32 v18, 0x10000, v17
	s_delay_alu instid0(VALU_DEP_2) | instskip(NEXT) | instid1(VALU_DEP_2)
	v_cmp_eq_u32_e32 vcc_lo, 0, v16
	v_cndmask_b32_e32 v16, v18, v17, vcc_lo
; %bb.94:
	s_or_b32 exec_lo, exec_lo, s13
	v_cmp_lt_i32_e32 vcc_lo, -1, v15
	s_delay_alu instid0(VALU_DEP_2) | instskip(SKIP_3) | instid1(VALU_DEP_1)
	v_perm_b32 v15, v16, v15, 0x7060302
	v_cndmask_b32_e64 v17, -1, 0xffff8000, vcc_lo
	v_cmp_lt_i32_e32 vcc_lo, -1, v16
	v_cndmask_b32_e64 v18, -1, 0xffff8000, vcc_lo
	v_perm_b32 v16, v18, v17, 0x5040100
	s_delay_alu instid0(VALU_DEP_1) | instskip(NEXT) | instid1(VALU_DEP_1)
	v_xor_b32_e32 v15, v16, v15
	v_lshrrev_b32_e32 v16, 16, v15
	s_delay_alu instid0(VALU_DEP_1)
	v_cmp_le_u16_e32 vcc_lo, v15, v16
	s_and_b32 s13, vcc_lo, exec_lo
.LBB1914_95:
	s_or_b32 exec_lo, exec_lo, s11
	s_delay_alu instid0(SALU_CYCLE_1)
	s_or_not1_b32 s11, s13, exec_lo
.LBB1914_96:
	s_or_b32 exec_lo, exec_lo, s12
	v_dual_mov_b32 v15, s7 :: v_dual_cndmask_b32 v16, v13, v14, s11
	s_mov_b32 s12, -1
	s_mov_b32 s13, -1
	s_mov_b32 s15, exec_lo
	s_delay_alu instid0(VALU_DEP_1) | instskip(NEXT) | instid1(VALU_DEP_1)
	v_dual_cndmask_b32 v15, s4, v15, s11 :: v_dual_add_nc_u32 v16, 1, v16
	v_add_min_u32_e64 v15, v15, -1, v16
	s_delay_alu instid0(VALU_DEP_1)
	v_dual_cndmask_b32 v13, v16, v13, s11 :: v_dual_lshlrev_b32 v15, 1, v15
	ds_load_u16 v15, v15
	s_wait_dscnt 0x0
	v_dual_cndmask_b32 v16, v14, v16, s11 :: v_dual_cndmask_b32 v14, v15, v11, s11
	v_cndmask_b32_e64 v15, v12, v15, s11
	v_cmpx_gt_u32_e64 s4, v13
	s_cbranch_execz .LBB1914_108
; %bb.97:
	s_mov_b32 s16, 0
	s_mov_b32 s13, exec_lo
	v_cmpx_gt_u32_e64 s7, v16
	s_cbranch_execz .LBB1914_107
; %bb.98:
	v_lshlrev_b32_e32 v17, 16, v14
	s_delay_alu instid0(VALU_DEP_1) | instskip(NEXT) | instid1(VALU_DEP_1)
	v_add_f32_e32 v18, 0, v17
	v_and_b32_e32 v17, 0x7f800000, v18
	s_delay_alu instid0(VALU_DEP_1) | instskip(SKIP_1) | instid1(SALU_CYCLE_1)
	v_cmp_ne_u32_e32 vcc_lo, 0x7f800000, v17
                                        ; implicit-def: $vgpr17
	s_and_saveexec_b32 s16, vcc_lo
	s_xor_b32 s16, exec_lo, s16
; %bb.99:
	v_bfe_u32 v17, v18, 16, 1
	s_delay_alu instid0(VALU_DEP_1)
	v_add3_u32 v17, v18, v17, 0x7fff
                                        ; implicit-def: $vgpr18
; %bb.100:
	s_and_not1_saveexec_b32 s16, s16
; %bb.101:
	v_and_b32_e32 v17, 0xffff, v18
	v_or_b32_e32 v19, 0x10000, v18
	s_delay_alu instid0(VALU_DEP_2) | instskip(NEXT) | instid1(VALU_DEP_2)
	v_cmp_eq_u32_e32 vcc_lo, 0, v17
	v_cndmask_b32_e32 v17, v19, v18, vcc_lo
; %bb.102:
	s_or_b32 exec_lo, exec_lo, s16
	v_lshlrev_b32_e32 v18, 16, v15
	s_delay_alu instid0(VALU_DEP_1) | instskip(NEXT) | instid1(VALU_DEP_1)
	v_add_f32_e32 v19, 0, v18
	v_and_b32_e32 v18, 0x7f800000, v19
	s_delay_alu instid0(VALU_DEP_1) | instskip(SKIP_1) | instid1(SALU_CYCLE_1)
	v_cmp_ne_u32_e32 vcc_lo, 0x7f800000, v18
                                        ; implicit-def: $vgpr18
	s_and_saveexec_b32 s16, vcc_lo
	s_xor_b32 s16, exec_lo, s16
; %bb.103:
	v_bfe_u32 v18, v19, 16, 1
	s_delay_alu instid0(VALU_DEP_1)
	v_add3_u32 v18, v19, v18, 0x7fff
                                        ; implicit-def: $vgpr19
; %bb.104:
	s_and_not1_saveexec_b32 s16, s16
; %bb.105:
	v_and_b32_e32 v18, 0xffff, v19
	v_or_b32_e32 v20, 0x10000, v19
	s_delay_alu instid0(VALU_DEP_2) | instskip(NEXT) | instid1(VALU_DEP_2)
	v_cmp_eq_u32_e32 vcc_lo, 0, v18
	v_cndmask_b32_e32 v18, v20, v19, vcc_lo
; %bb.106:
	s_or_b32 exec_lo, exec_lo, s16
	v_cmp_lt_i32_e32 vcc_lo, -1, v17
	s_delay_alu instid0(VALU_DEP_2) | instskip(SKIP_3) | instid1(VALU_DEP_1)
	v_perm_b32 v17, v18, v17, 0x7060302
	v_cndmask_b32_e64 v19, -1, 0xffff8000, vcc_lo
	v_cmp_lt_i32_e32 vcc_lo, -1, v18
	v_cndmask_b32_e64 v20, -1, 0xffff8000, vcc_lo
	v_perm_b32 v18, v20, v19, 0x5040100
	s_delay_alu instid0(VALU_DEP_1) | instskip(NEXT) | instid1(VALU_DEP_1)
	v_xor_b32_e32 v17, v18, v17
	v_lshrrev_b32_e32 v18, 16, v17
	s_delay_alu instid0(VALU_DEP_1)
	v_cmp_le_u16_e32 vcc_lo, v17, v18
	s_and_b32 s16, vcc_lo, exec_lo
.LBB1914_107:
	s_or_b32 exec_lo, exec_lo, s13
	s_delay_alu instid0(SALU_CYCLE_1)
	s_or_not1_b32 s13, s16, exec_lo
.LBB1914_108:
	s_or_b32 exec_lo, exec_lo, s15
	v_dual_mov_b32 v17, s7 :: v_dual_cndmask_b32 v18, v13, v16, s13
	s_mov_b32 s15, exec_lo
	s_delay_alu instid0(VALU_DEP_1) | instskip(NEXT) | instid1(VALU_DEP_1)
	v_dual_cndmask_b32 v17, s4, v17, s13 :: v_dual_add_nc_u32 v18, 1, v18
	v_add_min_u32_e64 v17, v17, -1, v18
	v_dual_cndmask_b32 v13, v18, v13, s13 :: v_dual_cndmask_b32 v18, v16, v18, s13
	s_delay_alu instid0(VALU_DEP_2)
	v_lshlrev_b32_e32 v17, 1, v17
	ds_load_u16 v17, v17
	s_wait_dscnt 0x0
	v_dual_cndmask_b32 v16, v17, v14, s13 :: v_dual_cndmask_b32 v17, v15, v17, s13
	v_cmpx_gt_u32_e64 s4, v13
	s_cbranch_execz .LBB1914_120
; %bb.109:
	s_mov_b32 s16, 0
	s_mov_b32 s12, exec_lo
	v_cmpx_gt_u32_e64 s7, v18
	s_cbranch_execz .LBB1914_119
; %bb.110:
	v_lshlrev_b32_e32 v19, 16, v16
	s_delay_alu instid0(VALU_DEP_1) | instskip(NEXT) | instid1(VALU_DEP_1)
	v_add_f32_e32 v20, 0, v19
	v_and_b32_e32 v19, 0x7f800000, v20
	s_delay_alu instid0(VALU_DEP_1) | instskip(SKIP_1) | instid1(SALU_CYCLE_1)
	v_cmp_ne_u32_e32 vcc_lo, 0x7f800000, v19
                                        ; implicit-def: $vgpr19
	s_and_saveexec_b32 s16, vcc_lo
	s_xor_b32 s16, exec_lo, s16
; %bb.111:
	v_bfe_u32 v19, v20, 16, 1
	s_delay_alu instid0(VALU_DEP_1)
	v_add3_u32 v19, v20, v19, 0x7fff
                                        ; implicit-def: $vgpr20
; %bb.112:
	s_and_not1_saveexec_b32 s16, s16
; %bb.113:
	v_and_b32_e32 v19, 0xffff, v20
	v_or_b32_e32 v21, 0x10000, v20
	s_delay_alu instid0(VALU_DEP_2) | instskip(NEXT) | instid1(VALU_DEP_2)
	v_cmp_eq_u32_e32 vcc_lo, 0, v19
	v_cndmask_b32_e32 v19, v21, v20, vcc_lo
; %bb.114:
	s_or_b32 exec_lo, exec_lo, s16
	v_lshlrev_b32_e32 v20, 16, v17
	s_delay_alu instid0(VALU_DEP_1) | instskip(NEXT) | instid1(VALU_DEP_1)
	v_add_f32_e32 v21, 0, v20
	v_and_b32_e32 v20, 0x7f800000, v21
	s_delay_alu instid0(VALU_DEP_1) | instskip(SKIP_1) | instid1(SALU_CYCLE_1)
	v_cmp_ne_u32_e32 vcc_lo, 0x7f800000, v20
                                        ; implicit-def: $vgpr20
	s_and_saveexec_b32 s16, vcc_lo
	s_xor_b32 s16, exec_lo, s16
; %bb.115:
	v_bfe_u32 v20, v21, 16, 1
	s_delay_alu instid0(VALU_DEP_1)
	v_add3_u32 v20, v21, v20, 0x7fff
                                        ; implicit-def: $vgpr21
; %bb.116:
	s_and_not1_saveexec_b32 s16, s16
; %bb.117:
	v_and_b32_e32 v20, 0xffff, v21
	v_or_b32_e32 v22, 0x10000, v21
	s_delay_alu instid0(VALU_DEP_2) | instskip(NEXT) | instid1(VALU_DEP_2)
	v_cmp_eq_u32_e32 vcc_lo, 0, v20
	v_cndmask_b32_e32 v20, v22, v21, vcc_lo
; %bb.118:
	s_or_b32 exec_lo, exec_lo, s16
	v_cmp_lt_i32_e32 vcc_lo, -1, v19
	s_delay_alu instid0(VALU_DEP_2) | instskip(SKIP_3) | instid1(VALU_DEP_1)
	v_perm_b32 v19, v20, v19, 0x7060302
	v_cndmask_b32_e64 v21, -1, 0xffff8000, vcc_lo
	v_cmp_lt_i32_e32 vcc_lo, -1, v20
	v_cndmask_b32_e64 v22, -1, 0xffff8000, vcc_lo
	v_perm_b32 v20, v22, v21, 0x5040100
	s_delay_alu instid0(VALU_DEP_1) | instskip(NEXT) | instid1(VALU_DEP_1)
	v_xor_b32_e32 v19, v20, v19
	v_lshrrev_b32_e32 v20, 16, v19
	s_delay_alu instid0(VALU_DEP_1)
	v_cmp_le_u16_e32 vcc_lo, v19, v20
	s_and_b32 s16, vcc_lo, exec_lo
.LBB1914_119:
	s_or_b32 exec_lo, exec_lo, s12
	s_delay_alu instid0(SALU_CYCLE_1)
	s_or_not1_b32 s12, s16, exec_lo
.LBB1914_120:
	s_or_b32 exec_lo, exec_lo, s15
	v_dual_mov_b32 v19, s7 :: v_dual_cndmask_b32 v20, v13, v18, s12
	s_delay_alu instid0(VALU_DEP_1) | instskip(NEXT) | instid1(VALU_DEP_1)
	v_dual_cndmask_b32 v21, s4, v19, s12 :: v_dual_add_nc_u32 v19, 1, v20
	v_add_min_u32_e64 v20, v21, -1, v19
	s_delay_alu instid0(VALU_DEP_1) | instskip(NEXT) | instid1(VALU_DEP_1)
	v_dual_cndmask_b32 v21, v19, v13, s12 :: v_dual_lshlrev_b32 v20, 1, v20
	v_cmp_gt_u32_e32 vcc_lo, s4, v21
	ds_load_u16 v20, v20
	s_wait_dscnt 0x0
	v_cndmask_b32_e64 v13, v17, v20, s12
	s_and_saveexec_b32 s4, vcc_lo
	s_cbranch_execz .LBB1914_132
; %bb.121:
	v_dual_cndmask_b32 v19, v18, v19, s12 :: v_dual_cndmask_b32 v18, v20, v16, s12
	s_delay_alu instid0(VALU_DEP_1)
	v_cmp_gt_u32_e32 vcc_lo, s7, v19
	s_and_saveexec_b32 s7, vcc_lo
	s_cbranch_execz .LBB1914_131
; %bb.122:
	s_delay_alu instid0(VALU_DEP_2) | instskip(NEXT) | instid1(VALU_DEP_1)
	v_lshlrev_b32_e32 v19, 16, v18
	v_add_f32_e32 v20, 0, v19
	s_delay_alu instid0(VALU_DEP_1) | instskip(NEXT) | instid1(VALU_DEP_1)
	v_and_b32_e32 v19, 0x7f800000, v20
	v_cmp_ne_u32_e32 vcc_lo, 0x7f800000, v19
                                        ; implicit-def: $vgpr19
	s_and_saveexec_b32 s15, vcc_lo
	s_delay_alu instid0(SALU_CYCLE_1)
	s_xor_b32 s15, exec_lo, s15
; %bb.123:
	v_bfe_u32 v19, v20, 16, 1
	s_delay_alu instid0(VALU_DEP_1)
	v_add3_u32 v19, v20, v19, 0x7fff
                                        ; implicit-def: $vgpr20
; %bb.124:
	s_and_not1_saveexec_b32 s15, s15
; %bb.125:
	v_and_b32_e32 v19, 0xffff, v20
	v_or_b32_e32 v21, 0x10000, v20
	s_delay_alu instid0(VALU_DEP_2) | instskip(NEXT) | instid1(VALU_DEP_2)
	v_cmp_eq_u32_e32 vcc_lo, 0, v19
	v_cndmask_b32_e32 v19, v21, v20, vcc_lo
; %bb.126:
	s_or_b32 exec_lo, exec_lo, s15
	v_lshlrev_b32_e32 v20, 16, v13
	s_delay_alu instid0(VALU_DEP_1) | instskip(NEXT) | instid1(VALU_DEP_1)
	v_add_f32_e32 v21, 0, v20
	v_and_b32_e32 v20, 0x7f800000, v21
	s_delay_alu instid0(VALU_DEP_1) | instskip(SKIP_1) | instid1(SALU_CYCLE_1)
	v_cmp_ne_u32_e32 vcc_lo, 0x7f800000, v20
                                        ; implicit-def: $vgpr20
	s_and_saveexec_b32 s15, vcc_lo
	s_xor_b32 s15, exec_lo, s15
; %bb.127:
	v_bfe_u32 v20, v21, 16, 1
	s_delay_alu instid0(VALU_DEP_1)
	v_add3_u32 v20, v21, v20, 0x7fff
                                        ; implicit-def: $vgpr21
; %bb.128:
	s_and_not1_saveexec_b32 s15, s15
; %bb.129:
	v_and_b32_e32 v20, 0xffff, v21
	v_or_b32_e32 v22, 0x10000, v21
	s_delay_alu instid0(VALU_DEP_2) | instskip(NEXT) | instid1(VALU_DEP_2)
	v_cmp_eq_u32_e32 vcc_lo, 0, v20
	v_cndmask_b32_e32 v20, v22, v21, vcc_lo
; %bb.130:
	s_or_b32 exec_lo, exec_lo, s15
	v_cmp_lt_i32_e32 vcc_lo, -1, v19
	s_delay_alu instid0(VALU_DEP_2) | instskip(SKIP_3) | instid1(VALU_DEP_1)
	v_perm_b32 v19, v20, v19, 0x7060302
	v_cndmask_b32_e64 v21, -1, 0xffff8000, vcc_lo
	v_cmp_lt_i32_e32 vcc_lo, -1, v20
	v_cndmask_b32_e64 v22, -1, 0xffff8000, vcc_lo
	v_perm_b32 v20, v22, v21, 0x5040100
	s_delay_alu instid0(VALU_DEP_1) | instskip(NEXT) | instid1(VALU_DEP_1)
	v_xor_b32_e32 v19, v20, v19
	v_lshrrev_b32_e32 v20, 16, v19
	s_delay_alu instid0(VALU_DEP_1)
	v_cmp_gt_u16_e32 vcc_lo, v19, v20
	v_cndmask_b32_e32 v18, v13, v18, vcc_lo
.LBB1914_131:
	s_or_b32 exec_lo, exec_lo, s7
	s_delay_alu instid0(VALU_DEP_1)
	v_mov_b32_e32 v13, v18
.LBB1914_132:
	s_or_b32 exec_lo, exec_lo, s4
	v_dual_cndmask_b32 v14, v14, v15, s13 :: v_dual_cndmask_b32 v11, v11, v12, s11
	v_dual_cndmask_b32 v10, v9, v10, s10 :: v_dual_cndmask_b32 v9, v7, v8, s9
	;; [unrolled: 1-line block ×3, first 2 shown]
	v_cndmask_b32_e64 v3, v16, v17, s12
.LBB1914_133:
	s_or_b32 exec_lo, exec_lo, s1
	v_dual_lshrrev_b32 v4, 1, v0 :: v_dual_lshrrev_b32 v6, 4, v0
	v_or_b32_e32 v15, 0x80, v0
	v_or_b32_e32 v12, 0x100, v0
	v_perm_b32 v5, v7, v8, 0x5040100
	s_delay_alu instid0(VALU_DEP_4) | instskip(NEXT) | instid1(VALU_DEP_4)
	v_and_b32_e32 v4, 60, v4
	v_dual_lshrrev_b32 v7, 4, v15 :: v_dual_bitop2_b32 v6, 4, v6 bitop3:0x40
	s_delay_alu instid0(VALU_DEP_4) | instskip(SKIP_1) | instid1(VALU_DEP_4)
	v_lshrrev_b32_e32 v8, 4, v12
	v_perm_b32 v3, v13, v3, 0x5040100
	v_lshl_add_u32 v1, v1, 1, v4
	v_perm_b32 v4, v10, v9, 0x5040100
	v_perm_b32 v10, v14, v11, 0x5040100
	v_and_b32_e32 v7, 12, v7
	v_or_b32_e32 v9, 0x180, v0
	s_barrier_signal -1
	s_barrier_wait -1
	s_barrier_signal -1
	s_barrier_wait -1
	ds_store_2addr_b32 v1, v5, v4 offset1:1
	ds_store_2addr_b32 v1, v10, v3 offset0:2 offset1:3
	v_dual_add_nc_u32 v10, v6, v2 :: v_dual_bitop2_b32 v8, 20, v8 bitop3:0x40
	v_dual_add_nc_u32 v11, v7, v2 :: v_dual_lshrrev_b32 v1, 4, v9
	v_or_b32_e32 v7, 0x280, v0
	v_or_b32_e32 v6, 0x300, v0
	s_delay_alu instid0(VALU_DEP_4) | instskip(SKIP_4) | instid1(VALU_DEP_3)
	v_add_nc_u32_e32 v13, v8, v2
	v_or_b32_e32 v8, 0x200, v0
	v_and_b32_e32 v3, 28, v1
	v_or_b32_e32 v1, 0x380, v0
	v_dual_lshrrev_b32 v5, 4, v7 :: v_dual_lshrrev_b32 v16, 4, v6
	v_dual_lshrrev_b32 v4, 4, v8 :: v_dual_add_nc_u32 v14, v3, v2
	s_delay_alu instid0(VALU_DEP_3) | instskip(SKIP_1) | instid1(VALU_DEP_2)
	v_lshrrev_b32_e32 v17, 4, v1
	s_mov_b32 s9, 0
	v_dual_mov_b32 v3, 0 :: v_dual_bitop2_b32 v4, 36, v4 bitop3:0x40
	v_and_b32_e32 v5, 44, v5
	s_lshl_b64 s[0:1], s[8:9], 1
	v_and_b32_e32 v18, 52, v16
	v_and_b32_e32 v19, 60, v17
	s_wait_kmcnt 0x0
	s_add_nc_u64 s[0:1], s[2:3], s[0:1]
	v_dual_add_nc_u32 v16, v4, v2 :: v_dual_add_nc_u32 v17, v5, v2
	v_add_nc_u64_e32 v[4:5], s[0:1], v[2:3]
	v_dual_add_nc_u32 v18, v18, v2 :: v_dual_add_nc_u32 v19, v19, v2
	s_and_b32 vcc_lo, exec_lo, s14
	s_wait_dscnt 0x0
	s_cbranch_vccz .LBB1914_135
; %bb.134:
	s_barrier_signal -1
	s_barrier_wait -1
	ds_load_u16 v3, v10
	ds_load_u16 v20, v11 offset:256
	ds_load_u16 v21, v13 offset:512
	;; [unrolled: 1-line block ×7, first 2 shown]
	s_mov_b32 s9, -1
	s_wait_dscnt 0x7
	global_store_b16 v[4:5], v3, off
	s_wait_dscnt 0x6
	global_store_b16 v[4:5], v20, off offset:256
	s_wait_dscnt 0x5
	global_store_b16 v[4:5], v21, off offset:512
	;; [unrolled: 2-line block ×6, first 2 shown]
	s_cbranch_execz .LBB1914_136
	s_branch .LBB1914_145
.LBB1914_135:
                                        ; implicit-def: $vgpr2
.LBB1914_136:
	s_barrier_signal -1
	s_barrier_wait -1
	s_wait_storecnt_dscnt 0x0
	s_wait_xcnt 0x4
	ds_load_u16 v21, v11 offset:256
	ds_load_u16 v20, v13 offset:512
	ds_load_u16 v14, v14 offset:768
	ds_load_u16 v13, v16 offset:1024
	ds_load_u16 v11, v17 offset:1280
	ds_load_u16 v3, v18 offset:1536
	ds_load_u16 v2, v19 offset:1792
	s_sub_co_i32 s0, s6, s8
	s_mov_b32 s1, exec_lo
	s_wait_xcnt 0x0
	v_cmpx_gt_u32_e64 s0, v0
	s_cbranch_execz .LBB1914_148
; %bb.137:
	ds_load_u16 v0, v10
	s_wait_dscnt 0x0
	global_store_b16 v[4:5], v0, off
	s_wait_xcnt 0x0
	s_or_b32 exec_lo, exec_lo, s1
	s_delay_alu instid0(SALU_CYCLE_1)
	s_mov_b32 s1, exec_lo
	v_cmpx_gt_u32_e64 s0, v15
	s_cbranch_execnz .LBB1914_149
.LBB1914_138:
	s_or_b32 exec_lo, exec_lo, s1
	s_delay_alu instid0(SALU_CYCLE_1)
	s_mov_b32 s1, exec_lo
	v_cmpx_gt_u32_e64 s0, v12
	s_cbranch_execz .LBB1914_150
.LBB1914_139:
	s_wait_dscnt 0x5
	global_store_b16 v[4:5], v20, off offset:512
	s_wait_xcnt 0x0
	s_or_b32 exec_lo, exec_lo, s1
	s_delay_alu instid0(SALU_CYCLE_1)
	s_mov_b32 s1, exec_lo
	v_cmpx_gt_u32_e64 s0, v9
	s_cbranch_execnz .LBB1914_151
.LBB1914_140:
	s_or_b32 exec_lo, exec_lo, s1
	s_delay_alu instid0(SALU_CYCLE_1)
	s_mov_b32 s1, exec_lo
	v_cmpx_gt_u32_e64 s0, v8
	s_cbranch_execz .LBB1914_152
.LBB1914_141:
	s_wait_dscnt 0x3
	global_store_b16 v[4:5], v13, off offset:1024
	s_wait_xcnt 0x0
	s_or_b32 exec_lo, exec_lo, s1
	s_delay_alu instid0(SALU_CYCLE_1)
	s_mov_b32 s1, exec_lo
	v_cmpx_gt_u32_e64 s0, v7
	s_cbranch_execnz .LBB1914_153
.LBB1914_142:
	s_or_b32 exec_lo, exec_lo, s1
	s_delay_alu instid0(SALU_CYCLE_1)
	s_mov_b32 s1, exec_lo
	v_cmpx_gt_u32_e64 s0, v6
	s_cbranch_execz .LBB1914_144
.LBB1914_143:
	s_wait_dscnt 0x1
	global_store_b16 v[4:5], v3, off offset:1536
.LBB1914_144:
	s_wait_xcnt 0x0
	s_or_b32 exec_lo, exec_lo, s1
	v_cmp_gt_u32_e64 s9, s0, v1
.LBB1914_145:
	s_wait_xcnt 0x0
	s_delay_alu instid0(VALU_DEP_1)
	s_and_saveexec_b32 s0, s9
	s_cbranch_execz .LBB1914_147
; %bb.146:
	s_wait_dscnt 0x0
	global_store_b16 v[4:5], v2, off offset:1792
.LBB1914_147:
	s_endpgm
.LBB1914_148:
	s_or_b32 exec_lo, exec_lo, s1
	s_delay_alu instid0(SALU_CYCLE_1)
	s_mov_b32 s1, exec_lo
	v_cmpx_gt_u32_e64 s0, v15
	s_cbranch_execz .LBB1914_138
.LBB1914_149:
	s_wait_dscnt 0x6
	global_store_b16 v[4:5], v21, off offset:256
	s_wait_xcnt 0x0
	s_or_b32 exec_lo, exec_lo, s1
	s_delay_alu instid0(SALU_CYCLE_1)
	s_mov_b32 s1, exec_lo
	v_cmpx_gt_u32_e64 s0, v12
	s_cbranch_execnz .LBB1914_139
.LBB1914_150:
	s_or_b32 exec_lo, exec_lo, s1
	s_delay_alu instid0(SALU_CYCLE_1)
	s_mov_b32 s1, exec_lo
	v_cmpx_gt_u32_e64 s0, v9
	s_cbranch_execz .LBB1914_140
.LBB1914_151:
	s_wait_dscnt 0x4
	global_store_b16 v[4:5], v14, off offset:768
	s_wait_xcnt 0x0
	s_or_b32 exec_lo, exec_lo, s1
	s_delay_alu instid0(SALU_CYCLE_1)
	s_mov_b32 s1, exec_lo
	v_cmpx_gt_u32_e64 s0, v8
	s_cbranch_execnz .LBB1914_141
.LBB1914_152:
	s_or_b32 exec_lo, exec_lo, s1
	s_delay_alu instid0(SALU_CYCLE_1)
	s_mov_b32 s1, exec_lo
	v_cmpx_gt_u32_e64 s0, v7
	s_cbranch_execz .LBB1914_142
.LBB1914_153:
	s_wait_dscnt 0x2
	global_store_b16 v[4:5], v11, off offset:1280
	s_wait_xcnt 0x0
	s_or_b32 exec_lo, exec_lo, s1
	s_delay_alu instid0(SALU_CYCLE_1)
	s_mov_b32 s1, exec_lo
	v_cmpx_gt_u32_e64 s0, v6
	s_cbranch_execnz .LBB1914_143
	s_branch .LBB1914_144
	.section	.rodata,"a",@progbits
	.p2align	6, 0x0
	.amdhsa_kernel _ZN7rocprim17ROCPRIM_400000_NS6detail17trampoline_kernelINS0_14default_configENS1_38merge_sort_block_merge_config_selectorI12hip_bfloat16NS0_10empty_typeEEEZZNS1_27merge_sort_block_merge_implIS3_PS5_PS6_jNS1_19radix_merge_compareILb1ELb0ES5_NS0_19identity_decomposerEEEEE10hipError_tT0_T1_T2_jT3_P12ihipStream_tbPNSt15iterator_traitsISF_E10value_typeEPNSL_ISG_E10value_typeEPSH_NS1_7vsmem_tEENKUlT_SF_SG_SH_E_clIS9_S9_SA_SA_EESE_SU_SF_SG_SH_EUlSU_E0_NS1_11comp_targetILNS1_3genE0ELNS1_11target_archE4294967295ELNS1_3gpuE0ELNS1_3repE0EEENS1_38merge_mergepath_config_static_selectorELNS0_4arch9wavefront6targetE0EEEvSG_
		.amdhsa_group_segment_fixed_size 2112
		.amdhsa_private_segment_fixed_size 0
		.amdhsa_kernarg_size 320
		.amdhsa_user_sgpr_count 2
		.amdhsa_user_sgpr_dispatch_ptr 0
		.amdhsa_user_sgpr_queue_ptr 0
		.amdhsa_user_sgpr_kernarg_segment_ptr 1
		.amdhsa_user_sgpr_dispatch_id 0
		.amdhsa_user_sgpr_kernarg_preload_length 0
		.amdhsa_user_sgpr_kernarg_preload_offset 0
		.amdhsa_user_sgpr_private_segment_size 0
		.amdhsa_wavefront_size32 1
		.amdhsa_uses_dynamic_stack 0
		.amdhsa_enable_private_segment 0
		.amdhsa_system_sgpr_workgroup_id_x 1
		.amdhsa_system_sgpr_workgroup_id_y 1
		.amdhsa_system_sgpr_workgroup_id_z 1
		.amdhsa_system_sgpr_workgroup_info 0
		.amdhsa_system_vgpr_workitem_id 0
		.amdhsa_next_free_vgpr 30
		.amdhsa_next_free_sgpr 22
		.amdhsa_named_barrier_count 0
		.amdhsa_reserve_vcc 1
		.amdhsa_float_round_mode_32 0
		.amdhsa_float_round_mode_16_64 0
		.amdhsa_float_denorm_mode_32 3
		.amdhsa_float_denorm_mode_16_64 3
		.amdhsa_fp16_overflow 0
		.amdhsa_memory_ordered 1
		.amdhsa_forward_progress 1
		.amdhsa_inst_pref_size 54
		.amdhsa_round_robin_scheduling 0
		.amdhsa_exception_fp_ieee_invalid_op 0
		.amdhsa_exception_fp_denorm_src 0
		.amdhsa_exception_fp_ieee_div_zero 0
		.amdhsa_exception_fp_ieee_overflow 0
		.amdhsa_exception_fp_ieee_underflow 0
		.amdhsa_exception_fp_ieee_inexact 0
		.amdhsa_exception_int_div_zero 0
	.end_amdhsa_kernel
	.section	.text._ZN7rocprim17ROCPRIM_400000_NS6detail17trampoline_kernelINS0_14default_configENS1_38merge_sort_block_merge_config_selectorI12hip_bfloat16NS0_10empty_typeEEEZZNS1_27merge_sort_block_merge_implIS3_PS5_PS6_jNS1_19radix_merge_compareILb1ELb0ES5_NS0_19identity_decomposerEEEEE10hipError_tT0_T1_T2_jT3_P12ihipStream_tbPNSt15iterator_traitsISF_E10value_typeEPNSL_ISG_E10value_typeEPSH_NS1_7vsmem_tEENKUlT_SF_SG_SH_E_clIS9_S9_SA_SA_EESE_SU_SF_SG_SH_EUlSU_E0_NS1_11comp_targetILNS1_3genE0ELNS1_11target_archE4294967295ELNS1_3gpuE0ELNS1_3repE0EEENS1_38merge_mergepath_config_static_selectorELNS0_4arch9wavefront6targetE0EEEvSG_,"axG",@progbits,_ZN7rocprim17ROCPRIM_400000_NS6detail17trampoline_kernelINS0_14default_configENS1_38merge_sort_block_merge_config_selectorI12hip_bfloat16NS0_10empty_typeEEEZZNS1_27merge_sort_block_merge_implIS3_PS5_PS6_jNS1_19radix_merge_compareILb1ELb0ES5_NS0_19identity_decomposerEEEEE10hipError_tT0_T1_T2_jT3_P12ihipStream_tbPNSt15iterator_traitsISF_E10value_typeEPNSL_ISG_E10value_typeEPSH_NS1_7vsmem_tEENKUlT_SF_SG_SH_E_clIS9_S9_SA_SA_EESE_SU_SF_SG_SH_EUlSU_E0_NS1_11comp_targetILNS1_3genE0ELNS1_11target_archE4294967295ELNS1_3gpuE0ELNS1_3repE0EEENS1_38merge_mergepath_config_static_selectorELNS0_4arch9wavefront6targetE0EEEvSG_,comdat
.Lfunc_end1914:
	.size	_ZN7rocprim17ROCPRIM_400000_NS6detail17trampoline_kernelINS0_14default_configENS1_38merge_sort_block_merge_config_selectorI12hip_bfloat16NS0_10empty_typeEEEZZNS1_27merge_sort_block_merge_implIS3_PS5_PS6_jNS1_19radix_merge_compareILb1ELb0ES5_NS0_19identity_decomposerEEEEE10hipError_tT0_T1_T2_jT3_P12ihipStream_tbPNSt15iterator_traitsISF_E10value_typeEPNSL_ISG_E10value_typeEPSH_NS1_7vsmem_tEENKUlT_SF_SG_SH_E_clIS9_S9_SA_SA_EESE_SU_SF_SG_SH_EUlSU_E0_NS1_11comp_targetILNS1_3genE0ELNS1_11target_archE4294967295ELNS1_3gpuE0ELNS1_3repE0EEENS1_38merge_mergepath_config_static_selectorELNS0_4arch9wavefront6targetE0EEEvSG_, .Lfunc_end1914-_ZN7rocprim17ROCPRIM_400000_NS6detail17trampoline_kernelINS0_14default_configENS1_38merge_sort_block_merge_config_selectorI12hip_bfloat16NS0_10empty_typeEEEZZNS1_27merge_sort_block_merge_implIS3_PS5_PS6_jNS1_19radix_merge_compareILb1ELb0ES5_NS0_19identity_decomposerEEEEE10hipError_tT0_T1_T2_jT3_P12ihipStream_tbPNSt15iterator_traitsISF_E10value_typeEPNSL_ISG_E10value_typeEPSH_NS1_7vsmem_tEENKUlT_SF_SG_SH_E_clIS9_S9_SA_SA_EESE_SU_SF_SG_SH_EUlSU_E0_NS1_11comp_targetILNS1_3genE0ELNS1_11target_archE4294967295ELNS1_3gpuE0ELNS1_3repE0EEENS1_38merge_mergepath_config_static_selectorELNS0_4arch9wavefront6targetE0EEEvSG_
                                        ; -- End function
	.set _ZN7rocprim17ROCPRIM_400000_NS6detail17trampoline_kernelINS0_14default_configENS1_38merge_sort_block_merge_config_selectorI12hip_bfloat16NS0_10empty_typeEEEZZNS1_27merge_sort_block_merge_implIS3_PS5_PS6_jNS1_19radix_merge_compareILb1ELb0ES5_NS0_19identity_decomposerEEEEE10hipError_tT0_T1_T2_jT3_P12ihipStream_tbPNSt15iterator_traitsISF_E10value_typeEPNSL_ISG_E10value_typeEPSH_NS1_7vsmem_tEENKUlT_SF_SG_SH_E_clIS9_S9_SA_SA_EESE_SU_SF_SG_SH_EUlSU_E0_NS1_11comp_targetILNS1_3genE0ELNS1_11target_archE4294967295ELNS1_3gpuE0ELNS1_3repE0EEENS1_38merge_mergepath_config_static_selectorELNS0_4arch9wavefront6targetE0EEEvSG_.num_vgpr, 30
	.set _ZN7rocprim17ROCPRIM_400000_NS6detail17trampoline_kernelINS0_14default_configENS1_38merge_sort_block_merge_config_selectorI12hip_bfloat16NS0_10empty_typeEEEZZNS1_27merge_sort_block_merge_implIS3_PS5_PS6_jNS1_19radix_merge_compareILb1ELb0ES5_NS0_19identity_decomposerEEEEE10hipError_tT0_T1_T2_jT3_P12ihipStream_tbPNSt15iterator_traitsISF_E10value_typeEPNSL_ISG_E10value_typeEPSH_NS1_7vsmem_tEENKUlT_SF_SG_SH_E_clIS9_S9_SA_SA_EESE_SU_SF_SG_SH_EUlSU_E0_NS1_11comp_targetILNS1_3genE0ELNS1_11target_archE4294967295ELNS1_3gpuE0ELNS1_3repE0EEENS1_38merge_mergepath_config_static_selectorELNS0_4arch9wavefront6targetE0EEEvSG_.num_agpr, 0
	.set _ZN7rocprim17ROCPRIM_400000_NS6detail17trampoline_kernelINS0_14default_configENS1_38merge_sort_block_merge_config_selectorI12hip_bfloat16NS0_10empty_typeEEEZZNS1_27merge_sort_block_merge_implIS3_PS5_PS6_jNS1_19radix_merge_compareILb1ELb0ES5_NS0_19identity_decomposerEEEEE10hipError_tT0_T1_T2_jT3_P12ihipStream_tbPNSt15iterator_traitsISF_E10value_typeEPNSL_ISG_E10value_typeEPSH_NS1_7vsmem_tEENKUlT_SF_SG_SH_E_clIS9_S9_SA_SA_EESE_SU_SF_SG_SH_EUlSU_E0_NS1_11comp_targetILNS1_3genE0ELNS1_11target_archE4294967295ELNS1_3gpuE0ELNS1_3repE0EEENS1_38merge_mergepath_config_static_selectorELNS0_4arch9wavefront6targetE0EEEvSG_.numbered_sgpr, 22
	.set _ZN7rocprim17ROCPRIM_400000_NS6detail17trampoline_kernelINS0_14default_configENS1_38merge_sort_block_merge_config_selectorI12hip_bfloat16NS0_10empty_typeEEEZZNS1_27merge_sort_block_merge_implIS3_PS5_PS6_jNS1_19radix_merge_compareILb1ELb0ES5_NS0_19identity_decomposerEEEEE10hipError_tT0_T1_T2_jT3_P12ihipStream_tbPNSt15iterator_traitsISF_E10value_typeEPNSL_ISG_E10value_typeEPSH_NS1_7vsmem_tEENKUlT_SF_SG_SH_E_clIS9_S9_SA_SA_EESE_SU_SF_SG_SH_EUlSU_E0_NS1_11comp_targetILNS1_3genE0ELNS1_11target_archE4294967295ELNS1_3gpuE0ELNS1_3repE0EEENS1_38merge_mergepath_config_static_selectorELNS0_4arch9wavefront6targetE0EEEvSG_.num_named_barrier, 0
	.set _ZN7rocprim17ROCPRIM_400000_NS6detail17trampoline_kernelINS0_14default_configENS1_38merge_sort_block_merge_config_selectorI12hip_bfloat16NS0_10empty_typeEEEZZNS1_27merge_sort_block_merge_implIS3_PS5_PS6_jNS1_19radix_merge_compareILb1ELb0ES5_NS0_19identity_decomposerEEEEE10hipError_tT0_T1_T2_jT3_P12ihipStream_tbPNSt15iterator_traitsISF_E10value_typeEPNSL_ISG_E10value_typeEPSH_NS1_7vsmem_tEENKUlT_SF_SG_SH_E_clIS9_S9_SA_SA_EESE_SU_SF_SG_SH_EUlSU_E0_NS1_11comp_targetILNS1_3genE0ELNS1_11target_archE4294967295ELNS1_3gpuE0ELNS1_3repE0EEENS1_38merge_mergepath_config_static_selectorELNS0_4arch9wavefront6targetE0EEEvSG_.private_seg_size, 0
	.set _ZN7rocprim17ROCPRIM_400000_NS6detail17trampoline_kernelINS0_14default_configENS1_38merge_sort_block_merge_config_selectorI12hip_bfloat16NS0_10empty_typeEEEZZNS1_27merge_sort_block_merge_implIS3_PS5_PS6_jNS1_19radix_merge_compareILb1ELb0ES5_NS0_19identity_decomposerEEEEE10hipError_tT0_T1_T2_jT3_P12ihipStream_tbPNSt15iterator_traitsISF_E10value_typeEPNSL_ISG_E10value_typeEPSH_NS1_7vsmem_tEENKUlT_SF_SG_SH_E_clIS9_S9_SA_SA_EESE_SU_SF_SG_SH_EUlSU_E0_NS1_11comp_targetILNS1_3genE0ELNS1_11target_archE4294967295ELNS1_3gpuE0ELNS1_3repE0EEENS1_38merge_mergepath_config_static_selectorELNS0_4arch9wavefront6targetE0EEEvSG_.uses_vcc, 1
	.set _ZN7rocprim17ROCPRIM_400000_NS6detail17trampoline_kernelINS0_14default_configENS1_38merge_sort_block_merge_config_selectorI12hip_bfloat16NS0_10empty_typeEEEZZNS1_27merge_sort_block_merge_implIS3_PS5_PS6_jNS1_19radix_merge_compareILb1ELb0ES5_NS0_19identity_decomposerEEEEE10hipError_tT0_T1_T2_jT3_P12ihipStream_tbPNSt15iterator_traitsISF_E10value_typeEPNSL_ISG_E10value_typeEPSH_NS1_7vsmem_tEENKUlT_SF_SG_SH_E_clIS9_S9_SA_SA_EESE_SU_SF_SG_SH_EUlSU_E0_NS1_11comp_targetILNS1_3genE0ELNS1_11target_archE4294967295ELNS1_3gpuE0ELNS1_3repE0EEENS1_38merge_mergepath_config_static_selectorELNS0_4arch9wavefront6targetE0EEEvSG_.uses_flat_scratch, 0
	.set _ZN7rocprim17ROCPRIM_400000_NS6detail17trampoline_kernelINS0_14default_configENS1_38merge_sort_block_merge_config_selectorI12hip_bfloat16NS0_10empty_typeEEEZZNS1_27merge_sort_block_merge_implIS3_PS5_PS6_jNS1_19radix_merge_compareILb1ELb0ES5_NS0_19identity_decomposerEEEEE10hipError_tT0_T1_T2_jT3_P12ihipStream_tbPNSt15iterator_traitsISF_E10value_typeEPNSL_ISG_E10value_typeEPSH_NS1_7vsmem_tEENKUlT_SF_SG_SH_E_clIS9_S9_SA_SA_EESE_SU_SF_SG_SH_EUlSU_E0_NS1_11comp_targetILNS1_3genE0ELNS1_11target_archE4294967295ELNS1_3gpuE0ELNS1_3repE0EEENS1_38merge_mergepath_config_static_selectorELNS0_4arch9wavefront6targetE0EEEvSG_.has_dyn_sized_stack, 0
	.set _ZN7rocprim17ROCPRIM_400000_NS6detail17trampoline_kernelINS0_14default_configENS1_38merge_sort_block_merge_config_selectorI12hip_bfloat16NS0_10empty_typeEEEZZNS1_27merge_sort_block_merge_implIS3_PS5_PS6_jNS1_19radix_merge_compareILb1ELb0ES5_NS0_19identity_decomposerEEEEE10hipError_tT0_T1_T2_jT3_P12ihipStream_tbPNSt15iterator_traitsISF_E10value_typeEPNSL_ISG_E10value_typeEPSH_NS1_7vsmem_tEENKUlT_SF_SG_SH_E_clIS9_S9_SA_SA_EESE_SU_SF_SG_SH_EUlSU_E0_NS1_11comp_targetILNS1_3genE0ELNS1_11target_archE4294967295ELNS1_3gpuE0ELNS1_3repE0EEENS1_38merge_mergepath_config_static_selectorELNS0_4arch9wavefront6targetE0EEEvSG_.has_recursion, 0
	.set _ZN7rocprim17ROCPRIM_400000_NS6detail17trampoline_kernelINS0_14default_configENS1_38merge_sort_block_merge_config_selectorI12hip_bfloat16NS0_10empty_typeEEEZZNS1_27merge_sort_block_merge_implIS3_PS5_PS6_jNS1_19radix_merge_compareILb1ELb0ES5_NS0_19identity_decomposerEEEEE10hipError_tT0_T1_T2_jT3_P12ihipStream_tbPNSt15iterator_traitsISF_E10value_typeEPNSL_ISG_E10value_typeEPSH_NS1_7vsmem_tEENKUlT_SF_SG_SH_E_clIS9_S9_SA_SA_EESE_SU_SF_SG_SH_EUlSU_E0_NS1_11comp_targetILNS1_3genE0ELNS1_11target_archE4294967295ELNS1_3gpuE0ELNS1_3repE0EEENS1_38merge_mergepath_config_static_selectorELNS0_4arch9wavefront6targetE0EEEvSG_.has_indirect_call, 0
	.section	.AMDGPU.csdata,"",@progbits
; Kernel info:
; codeLenInByte = 6816
; TotalNumSgprs: 24
; NumVgprs: 30
; ScratchSize: 0
; MemoryBound: 0
; FloatMode: 240
; IeeeMode: 1
; LDSByteSize: 2112 bytes/workgroup (compile time only)
; SGPRBlocks: 0
; VGPRBlocks: 1
; NumSGPRsForWavesPerEU: 24
; NumVGPRsForWavesPerEU: 30
; NamedBarCnt: 0
; Occupancy: 16
; WaveLimiterHint : 1
; COMPUTE_PGM_RSRC2:SCRATCH_EN: 0
; COMPUTE_PGM_RSRC2:USER_SGPR: 2
; COMPUTE_PGM_RSRC2:TRAP_HANDLER: 0
; COMPUTE_PGM_RSRC2:TGID_X_EN: 1
; COMPUTE_PGM_RSRC2:TGID_Y_EN: 1
; COMPUTE_PGM_RSRC2:TGID_Z_EN: 1
; COMPUTE_PGM_RSRC2:TIDIG_COMP_CNT: 0
	.section	.text._ZN7rocprim17ROCPRIM_400000_NS6detail17trampoline_kernelINS0_14default_configENS1_38merge_sort_block_merge_config_selectorI12hip_bfloat16NS0_10empty_typeEEEZZNS1_27merge_sort_block_merge_implIS3_PS5_PS6_jNS1_19radix_merge_compareILb1ELb0ES5_NS0_19identity_decomposerEEEEE10hipError_tT0_T1_T2_jT3_P12ihipStream_tbPNSt15iterator_traitsISF_E10value_typeEPNSL_ISG_E10value_typeEPSH_NS1_7vsmem_tEENKUlT_SF_SG_SH_E_clIS9_S9_SA_SA_EESE_SU_SF_SG_SH_EUlSU_E0_NS1_11comp_targetILNS1_3genE10ELNS1_11target_archE1201ELNS1_3gpuE5ELNS1_3repE0EEENS1_38merge_mergepath_config_static_selectorELNS0_4arch9wavefront6targetE0EEEvSG_,"axG",@progbits,_ZN7rocprim17ROCPRIM_400000_NS6detail17trampoline_kernelINS0_14default_configENS1_38merge_sort_block_merge_config_selectorI12hip_bfloat16NS0_10empty_typeEEEZZNS1_27merge_sort_block_merge_implIS3_PS5_PS6_jNS1_19radix_merge_compareILb1ELb0ES5_NS0_19identity_decomposerEEEEE10hipError_tT0_T1_T2_jT3_P12ihipStream_tbPNSt15iterator_traitsISF_E10value_typeEPNSL_ISG_E10value_typeEPSH_NS1_7vsmem_tEENKUlT_SF_SG_SH_E_clIS9_S9_SA_SA_EESE_SU_SF_SG_SH_EUlSU_E0_NS1_11comp_targetILNS1_3genE10ELNS1_11target_archE1201ELNS1_3gpuE5ELNS1_3repE0EEENS1_38merge_mergepath_config_static_selectorELNS0_4arch9wavefront6targetE0EEEvSG_,comdat
	.protected	_ZN7rocprim17ROCPRIM_400000_NS6detail17trampoline_kernelINS0_14default_configENS1_38merge_sort_block_merge_config_selectorI12hip_bfloat16NS0_10empty_typeEEEZZNS1_27merge_sort_block_merge_implIS3_PS5_PS6_jNS1_19radix_merge_compareILb1ELb0ES5_NS0_19identity_decomposerEEEEE10hipError_tT0_T1_T2_jT3_P12ihipStream_tbPNSt15iterator_traitsISF_E10value_typeEPNSL_ISG_E10value_typeEPSH_NS1_7vsmem_tEENKUlT_SF_SG_SH_E_clIS9_S9_SA_SA_EESE_SU_SF_SG_SH_EUlSU_E0_NS1_11comp_targetILNS1_3genE10ELNS1_11target_archE1201ELNS1_3gpuE5ELNS1_3repE0EEENS1_38merge_mergepath_config_static_selectorELNS0_4arch9wavefront6targetE0EEEvSG_ ; -- Begin function _ZN7rocprim17ROCPRIM_400000_NS6detail17trampoline_kernelINS0_14default_configENS1_38merge_sort_block_merge_config_selectorI12hip_bfloat16NS0_10empty_typeEEEZZNS1_27merge_sort_block_merge_implIS3_PS5_PS6_jNS1_19radix_merge_compareILb1ELb0ES5_NS0_19identity_decomposerEEEEE10hipError_tT0_T1_T2_jT3_P12ihipStream_tbPNSt15iterator_traitsISF_E10value_typeEPNSL_ISG_E10value_typeEPSH_NS1_7vsmem_tEENKUlT_SF_SG_SH_E_clIS9_S9_SA_SA_EESE_SU_SF_SG_SH_EUlSU_E0_NS1_11comp_targetILNS1_3genE10ELNS1_11target_archE1201ELNS1_3gpuE5ELNS1_3repE0EEENS1_38merge_mergepath_config_static_selectorELNS0_4arch9wavefront6targetE0EEEvSG_
	.globl	_ZN7rocprim17ROCPRIM_400000_NS6detail17trampoline_kernelINS0_14default_configENS1_38merge_sort_block_merge_config_selectorI12hip_bfloat16NS0_10empty_typeEEEZZNS1_27merge_sort_block_merge_implIS3_PS5_PS6_jNS1_19radix_merge_compareILb1ELb0ES5_NS0_19identity_decomposerEEEEE10hipError_tT0_T1_T2_jT3_P12ihipStream_tbPNSt15iterator_traitsISF_E10value_typeEPNSL_ISG_E10value_typeEPSH_NS1_7vsmem_tEENKUlT_SF_SG_SH_E_clIS9_S9_SA_SA_EESE_SU_SF_SG_SH_EUlSU_E0_NS1_11comp_targetILNS1_3genE10ELNS1_11target_archE1201ELNS1_3gpuE5ELNS1_3repE0EEENS1_38merge_mergepath_config_static_selectorELNS0_4arch9wavefront6targetE0EEEvSG_
	.p2align	8
	.type	_ZN7rocprim17ROCPRIM_400000_NS6detail17trampoline_kernelINS0_14default_configENS1_38merge_sort_block_merge_config_selectorI12hip_bfloat16NS0_10empty_typeEEEZZNS1_27merge_sort_block_merge_implIS3_PS5_PS6_jNS1_19radix_merge_compareILb1ELb0ES5_NS0_19identity_decomposerEEEEE10hipError_tT0_T1_T2_jT3_P12ihipStream_tbPNSt15iterator_traitsISF_E10value_typeEPNSL_ISG_E10value_typeEPSH_NS1_7vsmem_tEENKUlT_SF_SG_SH_E_clIS9_S9_SA_SA_EESE_SU_SF_SG_SH_EUlSU_E0_NS1_11comp_targetILNS1_3genE10ELNS1_11target_archE1201ELNS1_3gpuE5ELNS1_3repE0EEENS1_38merge_mergepath_config_static_selectorELNS0_4arch9wavefront6targetE0EEEvSG_,@function
_ZN7rocprim17ROCPRIM_400000_NS6detail17trampoline_kernelINS0_14default_configENS1_38merge_sort_block_merge_config_selectorI12hip_bfloat16NS0_10empty_typeEEEZZNS1_27merge_sort_block_merge_implIS3_PS5_PS6_jNS1_19radix_merge_compareILb1ELb0ES5_NS0_19identity_decomposerEEEEE10hipError_tT0_T1_T2_jT3_P12ihipStream_tbPNSt15iterator_traitsISF_E10value_typeEPNSL_ISG_E10value_typeEPSH_NS1_7vsmem_tEENKUlT_SF_SG_SH_E_clIS9_S9_SA_SA_EESE_SU_SF_SG_SH_EUlSU_E0_NS1_11comp_targetILNS1_3genE10ELNS1_11target_archE1201ELNS1_3gpuE5ELNS1_3repE0EEENS1_38merge_mergepath_config_static_selectorELNS0_4arch9wavefront6targetE0EEEvSG_: ; @_ZN7rocprim17ROCPRIM_400000_NS6detail17trampoline_kernelINS0_14default_configENS1_38merge_sort_block_merge_config_selectorI12hip_bfloat16NS0_10empty_typeEEEZZNS1_27merge_sort_block_merge_implIS3_PS5_PS6_jNS1_19radix_merge_compareILb1ELb0ES5_NS0_19identity_decomposerEEEEE10hipError_tT0_T1_T2_jT3_P12ihipStream_tbPNSt15iterator_traitsISF_E10value_typeEPNSL_ISG_E10value_typeEPSH_NS1_7vsmem_tEENKUlT_SF_SG_SH_E_clIS9_S9_SA_SA_EESE_SU_SF_SG_SH_EUlSU_E0_NS1_11comp_targetILNS1_3genE10ELNS1_11target_archE1201ELNS1_3gpuE5ELNS1_3repE0EEENS1_38merge_mergepath_config_static_selectorELNS0_4arch9wavefront6targetE0EEEvSG_
; %bb.0:
	.section	.rodata,"a",@progbits
	.p2align	6, 0x0
	.amdhsa_kernel _ZN7rocprim17ROCPRIM_400000_NS6detail17trampoline_kernelINS0_14default_configENS1_38merge_sort_block_merge_config_selectorI12hip_bfloat16NS0_10empty_typeEEEZZNS1_27merge_sort_block_merge_implIS3_PS5_PS6_jNS1_19radix_merge_compareILb1ELb0ES5_NS0_19identity_decomposerEEEEE10hipError_tT0_T1_T2_jT3_P12ihipStream_tbPNSt15iterator_traitsISF_E10value_typeEPNSL_ISG_E10value_typeEPSH_NS1_7vsmem_tEENKUlT_SF_SG_SH_E_clIS9_S9_SA_SA_EESE_SU_SF_SG_SH_EUlSU_E0_NS1_11comp_targetILNS1_3genE10ELNS1_11target_archE1201ELNS1_3gpuE5ELNS1_3repE0EEENS1_38merge_mergepath_config_static_selectorELNS0_4arch9wavefront6targetE0EEEvSG_
		.amdhsa_group_segment_fixed_size 0
		.amdhsa_private_segment_fixed_size 0
		.amdhsa_kernarg_size 64
		.amdhsa_user_sgpr_count 2
		.amdhsa_user_sgpr_dispatch_ptr 0
		.amdhsa_user_sgpr_queue_ptr 0
		.amdhsa_user_sgpr_kernarg_segment_ptr 1
		.amdhsa_user_sgpr_dispatch_id 0
		.amdhsa_user_sgpr_kernarg_preload_length 0
		.amdhsa_user_sgpr_kernarg_preload_offset 0
		.amdhsa_user_sgpr_private_segment_size 0
		.amdhsa_wavefront_size32 1
		.amdhsa_uses_dynamic_stack 0
		.amdhsa_enable_private_segment 0
		.amdhsa_system_sgpr_workgroup_id_x 1
		.amdhsa_system_sgpr_workgroup_id_y 0
		.amdhsa_system_sgpr_workgroup_id_z 0
		.amdhsa_system_sgpr_workgroup_info 0
		.amdhsa_system_vgpr_workitem_id 0
		.amdhsa_next_free_vgpr 1
		.amdhsa_next_free_sgpr 1
		.amdhsa_named_barrier_count 0
		.amdhsa_reserve_vcc 0
		.amdhsa_float_round_mode_32 0
		.amdhsa_float_round_mode_16_64 0
		.amdhsa_float_denorm_mode_32 3
		.amdhsa_float_denorm_mode_16_64 3
		.amdhsa_fp16_overflow 0
		.amdhsa_memory_ordered 1
		.amdhsa_forward_progress 1
		.amdhsa_inst_pref_size 0
		.amdhsa_round_robin_scheduling 0
		.amdhsa_exception_fp_ieee_invalid_op 0
		.amdhsa_exception_fp_denorm_src 0
		.amdhsa_exception_fp_ieee_div_zero 0
		.amdhsa_exception_fp_ieee_overflow 0
		.amdhsa_exception_fp_ieee_underflow 0
		.amdhsa_exception_fp_ieee_inexact 0
		.amdhsa_exception_int_div_zero 0
	.end_amdhsa_kernel
	.section	.text._ZN7rocprim17ROCPRIM_400000_NS6detail17trampoline_kernelINS0_14default_configENS1_38merge_sort_block_merge_config_selectorI12hip_bfloat16NS0_10empty_typeEEEZZNS1_27merge_sort_block_merge_implIS3_PS5_PS6_jNS1_19radix_merge_compareILb1ELb0ES5_NS0_19identity_decomposerEEEEE10hipError_tT0_T1_T2_jT3_P12ihipStream_tbPNSt15iterator_traitsISF_E10value_typeEPNSL_ISG_E10value_typeEPSH_NS1_7vsmem_tEENKUlT_SF_SG_SH_E_clIS9_S9_SA_SA_EESE_SU_SF_SG_SH_EUlSU_E0_NS1_11comp_targetILNS1_3genE10ELNS1_11target_archE1201ELNS1_3gpuE5ELNS1_3repE0EEENS1_38merge_mergepath_config_static_selectorELNS0_4arch9wavefront6targetE0EEEvSG_,"axG",@progbits,_ZN7rocprim17ROCPRIM_400000_NS6detail17trampoline_kernelINS0_14default_configENS1_38merge_sort_block_merge_config_selectorI12hip_bfloat16NS0_10empty_typeEEEZZNS1_27merge_sort_block_merge_implIS3_PS5_PS6_jNS1_19radix_merge_compareILb1ELb0ES5_NS0_19identity_decomposerEEEEE10hipError_tT0_T1_T2_jT3_P12ihipStream_tbPNSt15iterator_traitsISF_E10value_typeEPNSL_ISG_E10value_typeEPSH_NS1_7vsmem_tEENKUlT_SF_SG_SH_E_clIS9_S9_SA_SA_EESE_SU_SF_SG_SH_EUlSU_E0_NS1_11comp_targetILNS1_3genE10ELNS1_11target_archE1201ELNS1_3gpuE5ELNS1_3repE0EEENS1_38merge_mergepath_config_static_selectorELNS0_4arch9wavefront6targetE0EEEvSG_,comdat
.Lfunc_end1915:
	.size	_ZN7rocprim17ROCPRIM_400000_NS6detail17trampoline_kernelINS0_14default_configENS1_38merge_sort_block_merge_config_selectorI12hip_bfloat16NS0_10empty_typeEEEZZNS1_27merge_sort_block_merge_implIS3_PS5_PS6_jNS1_19radix_merge_compareILb1ELb0ES5_NS0_19identity_decomposerEEEEE10hipError_tT0_T1_T2_jT3_P12ihipStream_tbPNSt15iterator_traitsISF_E10value_typeEPNSL_ISG_E10value_typeEPSH_NS1_7vsmem_tEENKUlT_SF_SG_SH_E_clIS9_S9_SA_SA_EESE_SU_SF_SG_SH_EUlSU_E0_NS1_11comp_targetILNS1_3genE10ELNS1_11target_archE1201ELNS1_3gpuE5ELNS1_3repE0EEENS1_38merge_mergepath_config_static_selectorELNS0_4arch9wavefront6targetE0EEEvSG_, .Lfunc_end1915-_ZN7rocprim17ROCPRIM_400000_NS6detail17trampoline_kernelINS0_14default_configENS1_38merge_sort_block_merge_config_selectorI12hip_bfloat16NS0_10empty_typeEEEZZNS1_27merge_sort_block_merge_implIS3_PS5_PS6_jNS1_19radix_merge_compareILb1ELb0ES5_NS0_19identity_decomposerEEEEE10hipError_tT0_T1_T2_jT3_P12ihipStream_tbPNSt15iterator_traitsISF_E10value_typeEPNSL_ISG_E10value_typeEPSH_NS1_7vsmem_tEENKUlT_SF_SG_SH_E_clIS9_S9_SA_SA_EESE_SU_SF_SG_SH_EUlSU_E0_NS1_11comp_targetILNS1_3genE10ELNS1_11target_archE1201ELNS1_3gpuE5ELNS1_3repE0EEENS1_38merge_mergepath_config_static_selectorELNS0_4arch9wavefront6targetE0EEEvSG_
                                        ; -- End function
	.set _ZN7rocprim17ROCPRIM_400000_NS6detail17trampoline_kernelINS0_14default_configENS1_38merge_sort_block_merge_config_selectorI12hip_bfloat16NS0_10empty_typeEEEZZNS1_27merge_sort_block_merge_implIS3_PS5_PS6_jNS1_19radix_merge_compareILb1ELb0ES5_NS0_19identity_decomposerEEEEE10hipError_tT0_T1_T2_jT3_P12ihipStream_tbPNSt15iterator_traitsISF_E10value_typeEPNSL_ISG_E10value_typeEPSH_NS1_7vsmem_tEENKUlT_SF_SG_SH_E_clIS9_S9_SA_SA_EESE_SU_SF_SG_SH_EUlSU_E0_NS1_11comp_targetILNS1_3genE10ELNS1_11target_archE1201ELNS1_3gpuE5ELNS1_3repE0EEENS1_38merge_mergepath_config_static_selectorELNS0_4arch9wavefront6targetE0EEEvSG_.num_vgpr, 0
	.set _ZN7rocprim17ROCPRIM_400000_NS6detail17trampoline_kernelINS0_14default_configENS1_38merge_sort_block_merge_config_selectorI12hip_bfloat16NS0_10empty_typeEEEZZNS1_27merge_sort_block_merge_implIS3_PS5_PS6_jNS1_19radix_merge_compareILb1ELb0ES5_NS0_19identity_decomposerEEEEE10hipError_tT0_T1_T2_jT3_P12ihipStream_tbPNSt15iterator_traitsISF_E10value_typeEPNSL_ISG_E10value_typeEPSH_NS1_7vsmem_tEENKUlT_SF_SG_SH_E_clIS9_S9_SA_SA_EESE_SU_SF_SG_SH_EUlSU_E0_NS1_11comp_targetILNS1_3genE10ELNS1_11target_archE1201ELNS1_3gpuE5ELNS1_3repE0EEENS1_38merge_mergepath_config_static_selectorELNS0_4arch9wavefront6targetE0EEEvSG_.num_agpr, 0
	.set _ZN7rocprim17ROCPRIM_400000_NS6detail17trampoline_kernelINS0_14default_configENS1_38merge_sort_block_merge_config_selectorI12hip_bfloat16NS0_10empty_typeEEEZZNS1_27merge_sort_block_merge_implIS3_PS5_PS6_jNS1_19radix_merge_compareILb1ELb0ES5_NS0_19identity_decomposerEEEEE10hipError_tT0_T1_T2_jT3_P12ihipStream_tbPNSt15iterator_traitsISF_E10value_typeEPNSL_ISG_E10value_typeEPSH_NS1_7vsmem_tEENKUlT_SF_SG_SH_E_clIS9_S9_SA_SA_EESE_SU_SF_SG_SH_EUlSU_E0_NS1_11comp_targetILNS1_3genE10ELNS1_11target_archE1201ELNS1_3gpuE5ELNS1_3repE0EEENS1_38merge_mergepath_config_static_selectorELNS0_4arch9wavefront6targetE0EEEvSG_.numbered_sgpr, 0
	.set _ZN7rocprim17ROCPRIM_400000_NS6detail17trampoline_kernelINS0_14default_configENS1_38merge_sort_block_merge_config_selectorI12hip_bfloat16NS0_10empty_typeEEEZZNS1_27merge_sort_block_merge_implIS3_PS5_PS6_jNS1_19radix_merge_compareILb1ELb0ES5_NS0_19identity_decomposerEEEEE10hipError_tT0_T1_T2_jT3_P12ihipStream_tbPNSt15iterator_traitsISF_E10value_typeEPNSL_ISG_E10value_typeEPSH_NS1_7vsmem_tEENKUlT_SF_SG_SH_E_clIS9_S9_SA_SA_EESE_SU_SF_SG_SH_EUlSU_E0_NS1_11comp_targetILNS1_3genE10ELNS1_11target_archE1201ELNS1_3gpuE5ELNS1_3repE0EEENS1_38merge_mergepath_config_static_selectorELNS0_4arch9wavefront6targetE0EEEvSG_.num_named_barrier, 0
	.set _ZN7rocprim17ROCPRIM_400000_NS6detail17trampoline_kernelINS0_14default_configENS1_38merge_sort_block_merge_config_selectorI12hip_bfloat16NS0_10empty_typeEEEZZNS1_27merge_sort_block_merge_implIS3_PS5_PS6_jNS1_19radix_merge_compareILb1ELb0ES5_NS0_19identity_decomposerEEEEE10hipError_tT0_T1_T2_jT3_P12ihipStream_tbPNSt15iterator_traitsISF_E10value_typeEPNSL_ISG_E10value_typeEPSH_NS1_7vsmem_tEENKUlT_SF_SG_SH_E_clIS9_S9_SA_SA_EESE_SU_SF_SG_SH_EUlSU_E0_NS1_11comp_targetILNS1_3genE10ELNS1_11target_archE1201ELNS1_3gpuE5ELNS1_3repE0EEENS1_38merge_mergepath_config_static_selectorELNS0_4arch9wavefront6targetE0EEEvSG_.private_seg_size, 0
	.set _ZN7rocprim17ROCPRIM_400000_NS6detail17trampoline_kernelINS0_14default_configENS1_38merge_sort_block_merge_config_selectorI12hip_bfloat16NS0_10empty_typeEEEZZNS1_27merge_sort_block_merge_implIS3_PS5_PS6_jNS1_19radix_merge_compareILb1ELb0ES5_NS0_19identity_decomposerEEEEE10hipError_tT0_T1_T2_jT3_P12ihipStream_tbPNSt15iterator_traitsISF_E10value_typeEPNSL_ISG_E10value_typeEPSH_NS1_7vsmem_tEENKUlT_SF_SG_SH_E_clIS9_S9_SA_SA_EESE_SU_SF_SG_SH_EUlSU_E0_NS1_11comp_targetILNS1_3genE10ELNS1_11target_archE1201ELNS1_3gpuE5ELNS1_3repE0EEENS1_38merge_mergepath_config_static_selectorELNS0_4arch9wavefront6targetE0EEEvSG_.uses_vcc, 0
	.set _ZN7rocprim17ROCPRIM_400000_NS6detail17trampoline_kernelINS0_14default_configENS1_38merge_sort_block_merge_config_selectorI12hip_bfloat16NS0_10empty_typeEEEZZNS1_27merge_sort_block_merge_implIS3_PS5_PS6_jNS1_19radix_merge_compareILb1ELb0ES5_NS0_19identity_decomposerEEEEE10hipError_tT0_T1_T2_jT3_P12ihipStream_tbPNSt15iterator_traitsISF_E10value_typeEPNSL_ISG_E10value_typeEPSH_NS1_7vsmem_tEENKUlT_SF_SG_SH_E_clIS9_S9_SA_SA_EESE_SU_SF_SG_SH_EUlSU_E0_NS1_11comp_targetILNS1_3genE10ELNS1_11target_archE1201ELNS1_3gpuE5ELNS1_3repE0EEENS1_38merge_mergepath_config_static_selectorELNS0_4arch9wavefront6targetE0EEEvSG_.uses_flat_scratch, 0
	.set _ZN7rocprim17ROCPRIM_400000_NS6detail17trampoline_kernelINS0_14default_configENS1_38merge_sort_block_merge_config_selectorI12hip_bfloat16NS0_10empty_typeEEEZZNS1_27merge_sort_block_merge_implIS3_PS5_PS6_jNS1_19radix_merge_compareILb1ELb0ES5_NS0_19identity_decomposerEEEEE10hipError_tT0_T1_T2_jT3_P12ihipStream_tbPNSt15iterator_traitsISF_E10value_typeEPNSL_ISG_E10value_typeEPSH_NS1_7vsmem_tEENKUlT_SF_SG_SH_E_clIS9_S9_SA_SA_EESE_SU_SF_SG_SH_EUlSU_E0_NS1_11comp_targetILNS1_3genE10ELNS1_11target_archE1201ELNS1_3gpuE5ELNS1_3repE0EEENS1_38merge_mergepath_config_static_selectorELNS0_4arch9wavefront6targetE0EEEvSG_.has_dyn_sized_stack, 0
	.set _ZN7rocprim17ROCPRIM_400000_NS6detail17trampoline_kernelINS0_14default_configENS1_38merge_sort_block_merge_config_selectorI12hip_bfloat16NS0_10empty_typeEEEZZNS1_27merge_sort_block_merge_implIS3_PS5_PS6_jNS1_19radix_merge_compareILb1ELb0ES5_NS0_19identity_decomposerEEEEE10hipError_tT0_T1_T2_jT3_P12ihipStream_tbPNSt15iterator_traitsISF_E10value_typeEPNSL_ISG_E10value_typeEPSH_NS1_7vsmem_tEENKUlT_SF_SG_SH_E_clIS9_S9_SA_SA_EESE_SU_SF_SG_SH_EUlSU_E0_NS1_11comp_targetILNS1_3genE10ELNS1_11target_archE1201ELNS1_3gpuE5ELNS1_3repE0EEENS1_38merge_mergepath_config_static_selectorELNS0_4arch9wavefront6targetE0EEEvSG_.has_recursion, 0
	.set _ZN7rocprim17ROCPRIM_400000_NS6detail17trampoline_kernelINS0_14default_configENS1_38merge_sort_block_merge_config_selectorI12hip_bfloat16NS0_10empty_typeEEEZZNS1_27merge_sort_block_merge_implIS3_PS5_PS6_jNS1_19radix_merge_compareILb1ELb0ES5_NS0_19identity_decomposerEEEEE10hipError_tT0_T1_T2_jT3_P12ihipStream_tbPNSt15iterator_traitsISF_E10value_typeEPNSL_ISG_E10value_typeEPSH_NS1_7vsmem_tEENKUlT_SF_SG_SH_E_clIS9_S9_SA_SA_EESE_SU_SF_SG_SH_EUlSU_E0_NS1_11comp_targetILNS1_3genE10ELNS1_11target_archE1201ELNS1_3gpuE5ELNS1_3repE0EEENS1_38merge_mergepath_config_static_selectorELNS0_4arch9wavefront6targetE0EEEvSG_.has_indirect_call, 0
	.section	.AMDGPU.csdata,"",@progbits
; Kernel info:
; codeLenInByte = 0
; TotalNumSgprs: 0
; NumVgprs: 0
; ScratchSize: 0
; MemoryBound: 0
; FloatMode: 240
; IeeeMode: 1
; LDSByteSize: 0 bytes/workgroup (compile time only)
; SGPRBlocks: 0
; VGPRBlocks: 0
; NumSGPRsForWavesPerEU: 1
; NumVGPRsForWavesPerEU: 1
; NamedBarCnt: 0
; Occupancy: 16
; WaveLimiterHint : 0
; COMPUTE_PGM_RSRC2:SCRATCH_EN: 0
; COMPUTE_PGM_RSRC2:USER_SGPR: 2
; COMPUTE_PGM_RSRC2:TRAP_HANDLER: 0
; COMPUTE_PGM_RSRC2:TGID_X_EN: 1
; COMPUTE_PGM_RSRC2:TGID_Y_EN: 0
; COMPUTE_PGM_RSRC2:TGID_Z_EN: 0
; COMPUTE_PGM_RSRC2:TIDIG_COMP_CNT: 0
	.section	.text._ZN7rocprim17ROCPRIM_400000_NS6detail17trampoline_kernelINS0_14default_configENS1_38merge_sort_block_merge_config_selectorI12hip_bfloat16NS0_10empty_typeEEEZZNS1_27merge_sort_block_merge_implIS3_PS5_PS6_jNS1_19radix_merge_compareILb1ELb0ES5_NS0_19identity_decomposerEEEEE10hipError_tT0_T1_T2_jT3_P12ihipStream_tbPNSt15iterator_traitsISF_E10value_typeEPNSL_ISG_E10value_typeEPSH_NS1_7vsmem_tEENKUlT_SF_SG_SH_E_clIS9_S9_SA_SA_EESE_SU_SF_SG_SH_EUlSU_E0_NS1_11comp_targetILNS1_3genE5ELNS1_11target_archE942ELNS1_3gpuE9ELNS1_3repE0EEENS1_38merge_mergepath_config_static_selectorELNS0_4arch9wavefront6targetE0EEEvSG_,"axG",@progbits,_ZN7rocprim17ROCPRIM_400000_NS6detail17trampoline_kernelINS0_14default_configENS1_38merge_sort_block_merge_config_selectorI12hip_bfloat16NS0_10empty_typeEEEZZNS1_27merge_sort_block_merge_implIS3_PS5_PS6_jNS1_19radix_merge_compareILb1ELb0ES5_NS0_19identity_decomposerEEEEE10hipError_tT0_T1_T2_jT3_P12ihipStream_tbPNSt15iterator_traitsISF_E10value_typeEPNSL_ISG_E10value_typeEPSH_NS1_7vsmem_tEENKUlT_SF_SG_SH_E_clIS9_S9_SA_SA_EESE_SU_SF_SG_SH_EUlSU_E0_NS1_11comp_targetILNS1_3genE5ELNS1_11target_archE942ELNS1_3gpuE9ELNS1_3repE0EEENS1_38merge_mergepath_config_static_selectorELNS0_4arch9wavefront6targetE0EEEvSG_,comdat
	.protected	_ZN7rocprim17ROCPRIM_400000_NS6detail17trampoline_kernelINS0_14default_configENS1_38merge_sort_block_merge_config_selectorI12hip_bfloat16NS0_10empty_typeEEEZZNS1_27merge_sort_block_merge_implIS3_PS5_PS6_jNS1_19radix_merge_compareILb1ELb0ES5_NS0_19identity_decomposerEEEEE10hipError_tT0_T1_T2_jT3_P12ihipStream_tbPNSt15iterator_traitsISF_E10value_typeEPNSL_ISG_E10value_typeEPSH_NS1_7vsmem_tEENKUlT_SF_SG_SH_E_clIS9_S9_SA_SA_EESE_SU_SF_SG_SH_EUlSU_E0_NS1_11comp_targetILNS1_3genE5ELNS1_11target_archE942ELNS1_3gpuE9ELNS1_3repE0EEENS1_38merge_mergepath_config_static_selectorELNS0_4arch9wavefront6targetE0EEEvSG_ ; -- Begin function _ZN7rocprim17ROCPRIM_400000_NS6detail17trampoline_kernelINS0_14default_configENS1_38merge_sort_block_merge_config_selectorI12hip_bfloat16NS0_10empty_typeEEEZZNS1_27merge_sort_block_merge_implIS3_PS5_PS6_jNS1_19radix_merge_compareILb1ELb0ES5_NS0_19identity_decomposerEEEEE10hipError_tT0_T1_T2_jT3_P12ihipStream_tbPNSt15iterator_traitsISF_E10value_typeEPNSL_ISG_E10value_typeEPSH_NS1_7vsmem_tEENKUlT_SF_SG_SH_E_clIS9_S9_SA_SA_EESE_SU_SF_SG_SH_EUlSU_E0_NS1_11comp_targetILNS1_3genE5ELNS1_11target_archE942ELNS1_3gpuE9ELNS1_3repE0EEENS1_38merge_mergepath_config_static_selectorELNS0_4arch9wavefront6targetE0EEEvSG_
	.globl	_ZN7rocprim17ROCPRIM_400000_NS6detail17trampoline_kernelINS0_14default_configENS1_38merge_sort_block_merge_config_selectorI12hip_bfloat16NS0_10empty_typeEEEZZNS1_27merge_sort_block_merge_implIS3_PS5_PS6_jNS1_19radix_merge_compareILb1ELb0ES5_NS0_19identity_decomposerEEEEE10hipError_tT0_T1_T2_jT3_P12ihipStream_tbPNSt15iterator_traitsISF_E10value_typeEPNSL_ISG_E10value_typeEPSH_NS1_7vsmem_tEENKUlT_SF_SG_SH_E_clIS9_S9_SA_SA_EESE_SU_SF_SG_SH_EUlSU_E0_NS1_11comp_targetILNS1_3genE5ELNS1_11target_archE942ELNS1_3gpuE9ELNS1_3repE0EEENS1_38merge_mergepath_config_static_selectorELNS0_4arch9wavefront6targetE0EEEvSG_
	.p2align	8
	.type	_ZN7rocprim17ROCPRIM_400000_NS6detail17trampoline_kernelINS0_14default_configENS1_38merge_sort_block_merge_config_selectorI12hip_bfloat16NS0_10empty_typeEEEZZNS1_27merge_sort_block_merge_implIS3_PS5_PS6_jNS1_19radix_merge_compareILb1ELb0ES5_NS0_19identity_decomposerEEEEE10hipError_tT0_T1_T2_jT3_P12ihipStream_tbPNSt15iterator_traitsISF_E10value_typeEPNSL_ISG_E10value_typeEPSH_NS1_7vsmem_tEENKUlT_SF_SG_SH_E_clIS9_S9_SA_SA_EESE_SU_SF_SG_SH_EUlSU_E0_NS1_11comp_targetILNS1_3genE5ELNS1_11target_archE942ELNS1_3gpuE9ELNS1_3repE0EEENS1_38merge_mergepath_config_static_selectorELNS0_4arch9wavefront6targetE0EEEvSG_,@function
_ZN7rocprim17ROCPRIM_400000_NS6detail17trampoline_kernelINS0_14default_configENS1_38merge_sort_block_merge_config_selectorI12hip_bfloat16NS0_10empty_typeEEEZZNS1_27merge_sort_block_merge_implIS3_PS5_PS6_jNS1_19radix_merge_compareILb1ELb0ES5_NS0_19identity_decomposerEEEEE10hipError_tT0_T1_T2_jT3_P12ihipStream_tbPNSt15iterator_traitsISF_E10value_typeEPNSL_ISG_E10value_typeEPSH_NS1_7vsmem_tEENKUlT_SF_SG_SH_E_clIS9_S9_SA_SA_EESE_SU_SF_SG_SH_EUlSU_E0_NS1_11comp_targetILNS1_3genE5ELNS1_11target_archE942ELNS1_3gpuE9ELNS1_3repE0EEENS1_38merge_mergepath_config_static_selectorELNS0_4arch9wavefront6targetE0EEEvSG_: ; @_ZN7rocprim17ROCPRIM_400000_NS6detail17trampoline_kernelINS0_14default_configENS1_38merge_sort_block_merge_config_selectorI12hip_bfloat16NS0_10empty_typeEEEZZNS1_27merge_sort_block_merge_implIS3_PS5_PS6_jNS1_19radix_merge_compareILb1ELb0ES5_NS0_19identity_decomposerEEEEE10hipError_tT0_T1_T2_jT3_P12ihipStream_tbPNSt15iterator_traitsISF_E10value_typeEPNSL_ISG_E10value_typeEPSH_NS1_7vsmem_tEENKUlT_SF_SG_SH_E_clIS9_S9_SA_SA_EESE_SU_SF_SG_SH_EUlSU_E0_NS1_11comp_targetILNS1_3genE5ELNS1_11target_archE942ELNS1_3gpuE9ELNS1_3repE0EEENS1_38merge_mergepath_config_static_selectorELNS0_4arch9wavefront6targetE0EEEvSG_
; %bb.0:
	.section	.rodata,"a",@progbits
	.p2align	6, 0x0
	.amdhsa_kernel _ZN7rocprim17ROCPRIM_400000_NS6detail17trampoline_kernelINS0_14default_configENS1_38merge_sort_block_merge_config_selectorI12hip_bfloat16NS0_10empty_typeEEEZZNS1_27merge_sort_block_merge_implIS3_PS5_PS6_jNS1_19radix_merge_compareILb1ELb0ES5_NS0_19identity_decomposerEEEEE10hipError_tT0_T1_T2_jT3_P12ihipStream_tbPNSt15iterator_traitsISF_E10value_typeEPNSL_ISG_E10value_typeEPSH_NS1_7vsmem_tEENKUlT_SF_SG_SH_E_clIS9_S9_SA_SA_EESE_SU_SF_SG_SH_EUlSU_E0_NS1_11comp_targetILNS1_3genE5ELNS1_11target_archE942ELNS1_3gpuE9ELNS1_3repE0EEENS1_38merge_mergepath_config_static_selectorELNS0_4arch9wavefront6targetE0EEEvSG_
		.amdhsa_group_segment_fixed_size 0
		.amdhsa_private_segment_fixed_size 0
		.amdhsa_kernarg_size 64
		.amdhsa_user_sgpr_count 2
		.amdhsa_user_sgpr_dispatch_ptr 0
		.amdhsa_user_sgpr_queue_ptr 0
		.amdhsa_user_sgpr_kernarg_segment_ptr 1
		.amdhsa_user_sgpr_dispatch_id 0
		.amdhsa_user_sgpr_kernarg_preload_length 0
		.amdhsa_user_sgpr_kernarg_preload_offset 0
		.amdhsa_user_sgpr_private_segment_size 0
		.amdhsa_wavefront_size32 1
		.amdhsa_uses_dynamic_stack 0
		.amdhsa_enable_private_segment 0
		.amdhsa_system_sgpr_workgroup_id_x 1
		.amdhsa_system_sgpr_workgroup_id_y 0
		.amdhsa_system_sgpr_workgroup_id_z 0
		.amdhsa_system_sgpr_workgroup_info 0
		.amdhsa_system_vgpr_workitem_id 0
		.amdhsa_next_free_vgpr 1
		.amdhsa_next_free_sgpr 1
		.amdhsa_named_barrier_count 0
		.amdhsa_reserve_vcc 0
		.amdhsa_float_round_mode_32 0
		.amdhsa_float_round_mode_16_64 0
		.amdhsa_float_denorm_mode_32 3
		.amdhsa_float_denorm_mode_16_64 3
		.amdhsa_fp16_overflow 0
		.amdhsa_memory_ordered 1
		.amdhsa_forward_progress 1
		.amdhsa_inst_pref_size 0
		.amdhsa_round_robin_scheduling 0
		.amdhsa_exception_fp_ieee_invalid_op 0
		.amdhsa_exception_fp_denorm_src 0
		.amdhsa_exception_fp_ieee_div_zero 0
		.amdhsa_exception_fp_ieee_overflow 0
		.amdhsa_exception_fp_ieee_underflow 0
		.amdhsa_exception_fp_ieee_inexact 0
		.amdhsa_exception_int_div_zero 0
	.end_amdhsa_kernel
	.section	.text._ZN7rocprim17ROCPRIM_400000_NS6detail17trampoline_kernelINS0_14default_configENS1_38merge_sort_block_merge_config_selectorI12hip_bfloat16NS0_10empty_typeEEEZZNS1_27merge_sort_block_merge_implIS3_PS5_PS6_jNS1_19radix_merge_compareILb1ELb0ES5_NS0_19identity_decomposerEEEEE10hipError_tT0_T1_T2_jT3_P12ihipStream_tbPNSt15iterator_traitsISF_E10value_typeEPNSL_ISG_E10value_typeEPSH_NS1_7vsmem_tEENKUlT_SF_SG_SH_E_clIS9_S9_SA_SA_EESE_SU_SF_SG_SH_EUlSU_E0_NS1_11comp_targetILNS1_3genE5ELNS1_11target_archE942ELNS1_3gpuE9ELNS1_3repE0EEENS1_38merge_mergepath_config_static_selectorELNS0_4arch9wavefront6targetE0EEEvSG_,"axG",@progbits,_ZN7rocprim17ROCPRIM_400000_NS6detail17trampoline_kernelINS0_14default_configENS1_38merge_sort_block_merge_config_selectorI12hip_bfloat16NS0_10empty_typeEEEZZNS1_27merge_sort_block_merge_implIS3_PS5_PS6_jNS1_19radix_merge_compareILb1ELb0ES5_NS0_19identity_decomposerEEEEE10hipError_tT0_T1_T2_jT3_P12ihipStream_tbPNSt15iterator_traitsISF_E10value_typeEPNSL_ISG_E10value_typeEPSH_NS1_7vsmem_tEENKUlT_SF_SG_SH_E_clIS9_S9_SA_SA_EESE_SU_SF_SG_SH_EUlSU_E0_NS1_11comp_targetILNS1_3genE5ELNS1_11target_archE942ELNS1_3gpuE9ELNS1_3repE0EEENS1_38merge_mergepath_config_static_selectorELNS0_4arch9wavefront6targetE0EEEvSG_,comdat
.Lfunc_end1916:
	.size	_ZN7rocprim17ROCPRIM_400000_NS6detail17trampoline_kernelINS0_14default_configENS1_38merge_sort_block_merge_config_selectorI12hip_bfloat16NS0_10empty_typeEEEZZNS1_27merge_sort_block_merge_implIS3_PS5_PS6_jNS1_19radix_merge_compareILb1ELb0ES5_NS0_19identity_decomposerEEEEE10hipError_tT0_T1_T2_jT3_P12ihipStream_tbPNSt15iterator_traitsISF_E10value_typeEPNSL_ISG_E10value_typeEPSH_NS1_7vsmem_tEENKUlT_SF_SG_SH_E_clIS9_S9_SA_SA_EESE_SU_SF_SG_SH_EUlSU_E0_NS1_11comp_targetILNS1_3genE5ELNS1_11target_archE942ELNS1_3gpuE9ELNS1_3repE0EEENS1_38merge_mergepath_config_static_selectorELNS0_4arch9wavefront6targetE0EEEvSG_, .Lfunc_end1916-_ZN7rocprim17ROCPRIM_400000_NS6detail17trampoline_kernelINS0_14default_configENS1_38merge_sort_block_merge_config_selectorI12hip_bfloat16NS0_10empty_typeEEEZZNS1_27merge_sort_block_merge_implIS3_PS5_PS6_jNS1_19radix_merge_compareILb1ELb0ES5_NS0_19identity_decomposerEEEEE10hipError_tT0_T1_T2_jT3_P12ihipStream_tbPNSt15iterator_traitsISF_E10value_typeEPNSL_ISG_E10value_typeEPSH_NS1_7vsmem_tEENKUlT_SF_SG_SH_E_clIS9_S9_SA_SA_EESE_SU_SF_SG_SH_EUlSU_E0_NS1_11comp_targetILNS1_3genE5ELNS1_11target_archE942ELNS1_3gpuE9ELNS1_3repE0EEENS1_38merge_mergepath_config_static_selectorELNS0_4arch9wavefront6targetE0EEEvSG_
                                        ; -- End function
	.set _ZN7rocprim17ROCPRIM_400000_NS6detail17trampoline_kernelINS0_14default_configENS1_38merge_sort_block_merge_config_selectorI12hip_bfloat16NS0_10empty_typeEEEZZNS1_27merge_sort_block_merge_implIS3_PS5_PS6_jNS1_19radix_merge_compareILb1ELb0ES5_NS0_19identity_decomposerEEEEE10hipError_tT0_T1_T2_jT3_P12ihipStream_tbPNSt15iterator_traitsISF_E10value_typeEPNSL_ISG_E10value_typeEPSH_NS1_7vsmem_tEENKUlT_SF_SG_SH_E_clIS9_S9_SA_SA_EESE_SU_SF_SG_SH_EUlSU_E0_NS1_11comp_targetILNS1_3genE5ELNS1_11target_archE942ELNS1_3gpuE9ELNS1_3repE0EEENS1_38merge_mergepath_config_static_selectorELNS0_4arch9wavefront6targetE0EEEvSG_.num_vgpr, 0
	.set _ZN7rocprim17ROCPRIM_400000_NS6detail17trampoline_kernelINS0_14default_configENS1_38merge_sort_block_merge_config_selectorI12hip_bfloat16NS0_10empty_typeEEEZZNS1_27merge_sort_block_merge_implIS3_PS5_PS6_jNS1_19radix_merge_compareILb1ELb0ES5_NS0_19identity_decomposerEEEEE10hipError_tT0_T1_T2_jT3_P12ihipStream_tbPNSt15iterator_traitsISF_E10value_typeEPNSL_ISG_E10value_typeEPSH_NS1_7vsmem_tEENKUlT_SF_SG_SH_E_clIS9_S9_SA_SA_EESE_SU_SF_SG_SH_EUlSU_E0_NS1_11comp_targetILNS1_3genE5ELNS1_11target_archE942ELNS1_3gpuE9ELNS1_3repE0EEENS1_38merge_mergepath_config_static_selectorELNS0_4arch9wavefront6targetE0EEEvSG_.num_agpr, 0
	.set _ZN7rocprim17ROCPRIM_400000_NS6detail17trampoline_kernelINS0_14default_configENS1_38merge_sort_block_merge_config_selectorI12hip_bfloat16NS0_10empty_typeEEEZZNS1_27merge_sort_block_merge_implIS3_PS5_PS6_jNS1_19radix_merge_compareILb1ELb0ES5_NS0_19identity_decomposerEEEEE10hipError_tT0_T1_T2_jT3_P12ihipStream_tbPNSt15iterator_traitsISF_E10value_typeEPNSL_ISG_E10value_typeEPSH_NS1_7vsmem_tEENKUlT_SF_SG_SH_E_clIS9_S9_SA_SA_EESE_SU_SF_SG_SH_EUlSU_E0_NS1_11comp_targetILNS1_3genE5ELNS1_11target_archE942ELNS1_3gpuE9ELNS1_3repE0EEENS1_38merge_mergepath_config_static_selectorELNS0_4arch9wavefront6targetE0EEEvSG_.numbered_sgpr, 0
	.set _ZN7rocprim17ROCPRIM_400000_NS6detail17trampoline_kernelINS0_14default_configENS1_38merge_sort_block_merge_config_selectorI12hip_bfloat16NS0_10empty_typeEEEZZNS1_27merge_sort_block_merge_implIS3_PS5_PS6_jNS1_19radix_merge_compareILb1ELb0ES5_NS0_19identity_decomposerEEEEE10hipError_tT0_T1_T2_jT3_P12ihipStream_tbPNSt15iterator_traitsISF_E10value_typeEPNSL_ISG_E10value_typeEPSH_NS1_7vsmem_tEENKUlT_SF_SG_SH_E_clIS9_S9_SA_SA_EESE_SU_SF_SG_SH_EUlSU_E0_NS1_11comp_targetILNS1_3genE5ELNS1_11target_archE942ELNS1_3gpuE9ELNS1_3repE0EEENS1_38merge_mergepath_config_static_selectorELNS0_4arch9wavefront6targetE0EEEvSG_.num_named_barrier, 0
	.set _ZN7rocprim17ROCPRIM_400000_NS6detail17trampoline_kernelINS0_14default_configENS1_38merge_sort_block_merge_config_selectorI12hip_bfloat16NS0_10empty_typeEEEZZNS1_27merge_sort_block_merge_implIS3_PS5_PS6_jNS1_19radix_merge_compareILb1ELb0ES5_NS0_19identity_decomposerEEEEE10hipError_tT0_T1_T2_jT3_P12ihipStream_tbPNSt15iterator_traitsISF_E10value_typeEPNSL_ISG_E10value_typeEPSH_NS1_7vsmem_tEENKUlT_SF_SG_SH_E_clIS9_S9_SA_SA_EESE_SU_SF_SG_SH_EUlSU_E0_NS1_11comp_targetILNS1_3genE5ELNS1_11target_archE942ELNS1_3gpuE9ELNS1_3repE0EEENS1_38merge_mergepath_config_static_selectorELNS0_4arch9wavefront6targetE0EEEvSG_.private_seg_size, 0
	.set _ZN7rocprim17ROCPRIM_400000_NS6detail17trampoline_kernelINS0_14default_configENS1_38merge_sort_block_merge_config_selectorI12hip_bfloat16NS0_10empty_typeEEEZZNS1_27merge_sort_block_merge_implIS3_PS5_PS6_jNS1_19radix_merge_compareILb1ELb0ES5_NS0_19identity_decomposerEEEEE10hipError_tT0_T1_T2_jT3_P12ihipStream_tbPNSt15iterator_traitsISF_E10value_typeEPNSL_ISG_E10value_typeEPSH_NS1_7vsmem_tEENKUlT_SF_SG_SH_E_clIS9_S9_SA_SA_EESE_SU_SF_SG_SH_EUlSU_E0_NS1_11comp_targetILNS1_3genE5ELNS1_11target_archE942ELNS1_3gpuE9ELNS1_3repE0EEENS1_38merge_mergepath_config_static_selectorELNS0_4arch9wavefront6targetE0EEEvSG_.uses_vcc, 0
	.set _ZN7rocprim17ROCPRIM_400000_NS6detail17trampoline_kernelINS0_14default_configENS1_38merge_sort_block_merge_config_selectorI12hip_bfloat16NS0_10empty_typeEEEZZNS1_27merge_sort_block_merge_implIS3_PS5_PS6_jNS1_19radix_merge_compareILb1ELb0ES5_NS0_19identity_decomposerEEEEE10hipError_tT0_T1_T2_jT3_P12ihipStream_tbPNSt15iterator_traitsISF_E10value_typeEPNSL_ISG_E10value_typeEPSH_NS1_7vsmem_tEENKUlT_SF_SG_SH_E_clIS9_S9_SA_SA_EESE_SU_SF_SG_SH_EUlSU_E0_NS1_11comp_targetILNS1_3genE5ELNS1_11target_archE942ELNS1_3gpuE9ELNS1_3repE0EEENS1_38merge_mergepath_config_static_selectorELNS0_4arch9wavefront6targetE0EEEvSG_.uses_flat_scratch, 0
	.set _ZN7rocprim17ROCPRIM_400000_NS6detail17trampoline_kernelINS0_14default_configENS1_38merge_sort_block_merge_config_selectorI12hip_bfloat16NS0_10empty_typeEEEZZNS1_27merge_sort_block_merge_implIS3_PS5_PS6_jNS1_19radix_merge_compareILb1ELb0ES5_NS0_19identity_decomposerEEEEE10hipError_tT0_T1_T2_jT3_P12ihipStream_tbPNSt15iterator_traitsISF_E10value_typeEPNSL_ISG_E10value_typeEPSH_NS1_7vsmem_tEENKUlT_SF_SG_SH_E_clIS9_S9_SA_SA_EESE_SU_SF_SG_SH_EUlSU_E0_NS1_11comp_targetILNS1_3genE5ELNS1_11target_archE942ELNS1_3gpuE9ELNS1_3repE0EEENS1_38merge_mergepath_config_static_selectorELNS0_4arch9wavefront6targetE0EEEvSG_.has_dyn_sized_stack, 0
	.set _ZN7rocprim17ROCPRIM_400000_NS6detail17trampoline_kernelINS0_14default_configENS1_38merge_sort_block_merge_config_selectorI12hip_bfloat16NS0_10empty_typeEEEZZNS1_27merge_sort_block_merge_implIS3_PS5_PS6_jNS1_19radix_merge_compareILb1ELb0ES5_NS0_19identity_decomposerEEEEE10hipError_tT0_T1_T2_jT3_P12ihipStream_tbPNSt15iterator_traitsISF_E10value_typeEPNSL_ISG_E10value_typeEPSH_NS1_7vsmem_tEENKUlT_SF_SG_SH_E_clIS9_S9_SA_SA_EESE_SU_SF_SG_SH_EUlSU_E0_NS1_11comp_targetILNS1_3genE5ELNS1_11target_archE942ELNS1_3gpuE9ELNS1_3repE0EEENS1_38merge_mergepath_config_static_selectorELNS0_4arch9wavefront6targetE0EEEvSG_.has_recursion, 0
	.set _ZN7rocprim17ROCPRIM_400000_NS6detail17trampoline_kernelINS0_14default_configENS1_38merge_sort_block_merge_config_selectorI12hip_bfloat16NS0_10empty_typeEEEZZNS1_27merge_sort_block_merge_implIS3_PS5_PS6_jNS1_19radix_merge_compareILb1ELb0ES5_NS0_19identity_decomposerEEEEE10hipError_tT0_T1_T2_jT3_P12ihipStream_tbPNSt15iterator_traitsISF_E10value_typeEPNSL_ISG_E10value_typeEPSH_NS1_7vsmem_tEENKUlT_SF_SG_SH_E_clIS9_S9_SA_SA_EESE_SU_SF_SG_SH_EUlSU_E0_NS1_11comp_targetILNS1_3genE5ELNS1_11target_archE942ELNS1_3gpuE9ELNS1_3repE0EEENS1_38merge_mergepath_config_static_selectorELNS0_4arch9wavefront6targetE0EEEvSG_.has_indirect_call, 0
	.section	.AMDGPU.csdata,"",@progbits
; Kernel info:
; codeLenInByte = 0
; TotalNumSgprs: 0
; NumVgprs: 0
; ScratchSize: 0
; MemoryBound: 0
; FloatMode: 240
; IeeeMode: 1
; LDSByteSize: 0 bytes/workgroup (compile time only)
; SGPRBlocks: 0
; VGPRBlocks: 0
; NumSGPRsForWavesPerEU: 1
; NumVGPRsForWavesPerEU: 1
; NamedBarCnt: 0
; Occupancy: 16
; WaveLimiterHint : 0
; COMPUTE_PGM_RSRC2:SCRATCH_EN: 0
; COMPUTE_PGM_RSRC2:USER_SGPR: 2
; COMPUTE_PGM_RSRC2:TRAP_HANDLER: 0
; COMPUTE_PGM_RSRC2:TGID_X_EN: 1
; COMPUTE_PGM_RSRC2:TGID_Y_EN: 0
; COMPUTE_PGM_RSRC2:TGID_Z_EN: 0
; COMPUTE_PGM_RSRC2:TIDIG_COMP_CNT: 0
	.section	.text._ZN7rocprim17ROCPRIM_400000_NS6detail17trampoline_kernelINS0_14default_configENS1_38merge_sort_block_merge_config_selectorI12hip_bfloat16NS0_10empty_typeEEEZZNS1_27merge_sort_block_merge_implIS3_PS5_PS6_jNS1_19radix_merge_compareILb1ELb0ES5_NS0_19identity_decomposerEEEEE10hipError_tT0_T1_T2_jT3_P12ihipStream_tbPNSt15iterator_traitsISF_E10value_typeEPNSL_ISG_E10value_typeEPSH_NS1_7vsmem_tEENKUlT_SF_SG_SH_E_clIS9_S9_SA_SA_EESE_SU_SF_SG_SH_EUlSU_E0_NS1_11comp_targetILNS1_3genE4ELNS1_11target_archE910ELNS1_3gpuE8ELNS1_3repE0EEENS1_38merge_mergepath_config_static_selectorELNS0_4arch9wavefront6targetE0EEEvSG_,"axG",@progbits,_ZN7rocprim17ROCPRIM_400000_NS6detail17trampoline_kernelINS0_14default_configENS1_38merge_sort_block_merge_config_selectorI12hip_bfloat16NS0_10empty_typeEEEZZNS1_27merge_sort_block_merge_implIS3_PS5_PS6_jNS1_19radix_merge_compareILb1ELb0ES5_NS0_19identity_decomposerEEEEE10hipError_tT0_T1_T2_jT3_P12ihipStream_tbPNSt15iterator_traitsISF_E10value_typeEPNSL_ISG_E10value_typeEPSH_NS1_7vsmem_tEENKUlT_SF_SG_SH_E_clIS9_S9_SA_SA_EESE_SU_SF_SG_SH_EUlSU_E0_NS1_11comp_targetILNS1_3genE4ELNS1_11target_archE910ELNS1_3gpuE8ELNS1_3repE0EEENS1_38merge_mergepath_config_static_selectorELNS0_4arch9wavefront6targetE0EEEvSG_,comdat
	.protected	_ZN7rocprim17ROCPRIM_400000_NS6detail17trampoline_kernelINS0_14default_configENS1_38merge_sort_block_merge_config_selectorI12hip_bfloat16NS0_10empty_typeEEEZZNS1_27merge_sort_block_merge_implIS3_PS5_PS6_jNS1_19radix_merge_compareILb1ELb0ES5_NS0_19identity_decomposerEEEEE10hipError_tT0_T1_T2_jT3_P12ihipStream_tbPNSt15iterator_traitsISF_E10value_typeEPNSL_ISG_E10value_typeEPSH_NS1_7vsmem_tEENKUlT_SF_SG_SH_E_clIS9_S9_SA_SA_EESE_SU_SF_SG_SH_EUlSU_E0_NS1_11comp_targetILNS1_3genE4ELNS1_11target_archE910ELNS1_3gpuE8ELNS1_3repE0EEENS1_38merge_mergepath_config_static_selectorELNS0_4arch9wavefront6targetE0EEEvSG_ ; -- Begin function _ZN7rocprim17ROCPRIM_400000_NS6detail17trampoline_kernelINS0_14default_configENS1_38merge_sort_block_merge_config_selectorI12hip_bfloat16NS0_10empty_typeEEEZZNS1_27merge_sort_block_merge_implIS3_PS5_PS6_jNS1_19radix_merge_compareILb1ELb0ES5_NS0_19identity_decomposerEEEEE10hipError_tT0_T1_T2_jT3_P12ihipStream_tbPNSt15iterator_traitsISF_E10value_typeEPNSL_ISG_E10value_typeEPSH_NS1_7vsmem_tEENKUlT_SF_SG_SH_E_clIS9_S9_SA_SA_EESE_SU_SF_SG_SH_EUlSU_E0_NS1_11comp_targetILNS1_3genE4ELNS1_11target_archE910ELNS1_3gpuE8ELNS1_3repE0EEENS1_38merge_mergepath_config_static_selectorELNS0_4arch9wavefront6targetE0EEEvSG_
	.globl	_ZN7rocprim17ROCPRIM_400000_NS6detail17trampoline_kernelINS0_14default_configENS1_38merge_sort_block_merge_config_selectorI12hip_bfloat16NS0_10empty_typeEEEZZNS1_27merge_sort_block_merge_implIS3_PS5_PS6_jNS1_19radix_merge_compareILb1ELb0ES5_NS0_19identity_decomposerEEEEE10hipError_tT0_T1_T2_jT3_P12ihipStream_tbPNSt15iterator_traitsISF_E10value_typeEPNSL_ISG_E10value_typeEPSH_NS1_7vsmem_tEENKUlT_SF_SG_SH_E_clIS9_S9_SA_SA_EESE_SU_SF_SG_SH_EUlSU_E0_NS1_11comp_targetILNS1_3genE4ELNS1_11target_archE910ELNS1_3gpuE8ELNS1_3repE0EEENS1_38merge_mergepath_config_static_selectorELNS0_4arch9wavefront6targetE0EEEvSG_
	.p2align	8
	.type	_ZN7rocprim17ROCPRIM_400000_NS6detail17trampoline_kernelINS0_14default_configENS1_38merge_sort_block_merge_config_selectorI12hip_bfloat16NS0_10empty_typeEEEZZNS1_27merge_sort_block_merge_implIS3_PS5_PS6_jNS1_19radix_merge_compareILb1ELb0ES5_NS0_19identity_decomposerEEEEE10hipError_tT0_T1_T2_jT3_P12ihipStream_tbPNSt15iterator_traitsISF_E10value_typeEPNSL_ISG_E10value_typeEPSH_NS1_7vsmem_tEENKUlT_SF_SG_SH_E_clIS9_S9_SA_SA_EESE_SU_SF_SG_SH_EUlSU_E0_NS1_11comp_targetILNS1_3genE4ELNS1_11target_archE910ELNS1_3gpuE8ELNS1_3repE0EEENS1_38merge_mergepath_config_static_selectorELNS0_4arch9wavefront6targetE0EEEvSG_,@function
_ZN7rocprim17ROCPRIM_400000_NS6detail17trampoline_kernelINS0_14default_configENS1_38merge_sort_block_merge_config_selectorI12hip_bfloat16NS0_10empty_typeEEEZZNS1_27merge_sort_block_merge_implIS3_PS5_PS6_jNS1_19radix_merge_compareILb1ELb0ES5_NS0_19identity_decomposerEEEEE10hipError_tT0_T1_T2_jT3_P12ihipStream_tbPNSt15iterator_traitsISF_E10value_typeEPNSL_ISG_E10value_typeEPSH_NS1_7vsmem_tEENKUlT_SF_SG_SH_E_clIS9_S9_SA_SA_EESE_SU_SF_SG_SH_EUlSU_E0_NS1_11comp_targetILNS1_3genE4ELNS1_11target_archE910ELNS1_3gpuE8ELNS1_3repE0EEENS1_38merge_mergepath_config_static_selectorELNS0_4arch9wavefront6targetE0EEEvSG_: ; @_ZN7rocprim17ROCPRIM_400000_NS6detail17trampoline_kernelINS0_14default_configENS1_38merge_sort_block_merge_config_selectorI12hip_bfloat16NS0_10empty_typeEEEZZNS1_27merge_sort_block_merge_implIS3_PS5_PS6_jNS1_19radix_merge_compareILb1ELb0ES5_NS0_19identity_decomposerEEEEE10hipError_tT0_T1_T2_jT3_P12ihipStream_tbPNSt15iterator_traitsISF_E10value_typeEPNSL_ISG_E10value_typeEPSH_NS1_7vsmem_tEENKUlT_SF_SG_SH_E_clIS9_S9_SA_SA_EESE_SU_SF_SG_SH_EUlSU_E0_NS1_11comp_targetILNS1_3genE4ELNS1_11target_archE910ELNS1_3gpuE8ELNS1_3repE0EEENS1_38merge_mergepath_config_static_selectorELNS0_4arch9wavefront6targetE0EEEvSG_
; %bb.0:
	.section	.rodata,"a",@progbits
	.p2align	6, 0x0
	.amdhsa_kernel _ZN7rocprim17ROCPRIM_400000_NS6detail17trampoline_kernelINS0_14default_configENS1_38merge_sort_block_merge_config_selectorI12hip_bfloat16NS0_10empty_typeEEEZZNS1_27merge_sort_block_merge_implIS3_PS5_PS6_jNS1_19radix_merge_compareILb1ELb0ES5_NS0_19identity_decomposerEEEEE10hipError_tT0_T1_T2_jT3_P12ihipStream_tbPNSt15iterator_traitsISF_E10value_typeEPNSL_ISG_E10value_typeEPSH_NS1_7vsmem_tEENKUlT_SF_SG_SH_E_clIS9_S9_SA_SA_EESE_SU_SF_SG_SH_EUlSU_E0_NS1_11comp_targetILNS1_3genE4ELNS1_11target_archE910ELNS1_3gpuE8ELNS1_3repE0EEENS1_38merge_mergepath_config_static_selectorELNS0_4arch9wavefront6targetE0EEEvSG_
		.amdhsa_group_segment_fixed_size 0
		.amdhsa_private_segment_fixed_size 0
		.amdhsa_kernarg_size 64
		.amdhsa_user_sgpr_count 2
		.amdhsa_user_sgpr_dispatch_ptr 0
		.amdhsa_user_sgpr_queue_ptr 0
		.amdhsa_user_sgpr_kernarg_segment_ptr 1
		.amdhsa_user_sgpr_dispatch_id 0
		.amdhsa_user_sgpr_kernarg_preload_length 0
		.amdhsa_user_sgpr_kernarg_preload_offset 0
		.amdhsa_user_sgpr_private_segment_size 0
		.amdhsa_wavefront_size32 1
		.amdhsa_uses_dynamic_stack 0
		.amdhsa_enable_private_segment 0
		.amdhsa_system_sgpr_workgroup_id_x 1
		.amdhsa_system_sgpr_workgroup_id_y 0
		.amdhsa_system_sgpr_workgroup_id_z 0
		.amdhsa_system_sgpr_workgroup_info 0
		.amdhsa_system_vgpr_workitem_id 0
		.amdhsa_next_free_vgpr 1
		.amdhsa_next_free_sgpr 1
		.amdhsa_named_barrier_count 0
		.amdhsa_reserve_vcc 0
		.amdhsa_float_round_mode_32 0
		.amdhsa_float_round_mode_16_64 0
		.amdhsa_float_denorm_mode_32 3
		.amdhsa_float_denorm_mode_16_64 3
		.amdhsa_fp16_overflow 0
		.amdhsa_memory_ordered 1
		.amdhsa_forward_progress 1
		.amdhsa_inst_pref_size 0
		.amdhsa_round_robin_scheduling 0
		.amdhsa_exception_fp_ieee_invalid_op 0
		.amdhsa_exception_fp_denorm_src 0
		.amdhsa_exception_fp_ieee_div_zero 0
		.amdhsa_exception_fp_ieee_overflow 0
		.amdhsa_exception_fp_ieee_underflow 0
		.amdhsa_exception_fp_ieee_inexact 0
		.amdhsa_exception_int_div_zero 0
	.end_amdhsa_kernel
	.section	.text._ZN7rocprim17ROCPRIM_400000_NS6detail17trampoline_kernelINS0_14default_configENS1_38merge_sort_block_merge_config_selectorI12hip_bfloat16NS0_10empty_typeEEEZZNS1_27merge_sort_block_merge_implIS3_PS5_PS6_jNS1_19radix_merge_compareILb1ELb0ES5_NS0_19identity_decomposerEEEEE10hipError_tT0_T1_T2_jT3_P12ihipStream_tbPNSt15iterator_traitsISF_E10value_typeEPNSL_ISG_E10value_typeEPSH_NS1_7vsmem_tEENKUlT_SF_SG_SH_E_clIS9_S9_SA_SA_EESE_SU_SF_SG_SH_EUlSU_E0_NS1_11comp_targetILNS1_3genE4ELNS1_11target_archE910ELNS1_3gpuE8ELNS1_3repE0EEENS1_38merge_mergepath_config_static_selectorELNS0_4arch9wavefront6targetE0EEEvSG_,"axG",@progbits,_ZN7rocprim17ROCPRIM_400000_NS6detail17trampoline_kernelINS0_14default_configENS1_38merge_sort_block_merge_config_selectorI12hip_bfloat16NS0_10empty_typeEEEZZNS1_27merge_sort_block_merge_implIS3_PS5_PS6_jNS1_19radix_merge_compareILb1ELb0ES5_NS0_19identity_decomposerEEEEE10hipError_tT0_T1_T2_jT3_P12ihipStream_tbPNSt15iterator_traitsISF_E10value_typeEPNSL_ISG_E10value_typeEPSH_NS1_7vsmem_tEENKUlT_SF_SG_SH_E_clIS9_S9_SA_SA_EESE_SU_SF_SG_SH_EUlSU_E0_NS1_11comp_targetILNS1_3genE4ELNS1_11target_archE910ELNS1_3gpuE8ELNS1_3repE0EEENS1_38merge_mergepath_config_static_selectorELNS0_4arch9wavefront6targetE0EEEvSG_,comdat
.Lfunc_end1917:
	.size	_ZN7rocprim17ROCPRIM_400000_NS6detail17trampoline_kernelINS0_14default_configENS1_38merge_sort_block_merge_config_selectorI12hip_bfloat16NS0_10empty_typeEEEZZNS1_27merge_sort_block_merge_implIS3_PS5_PS6_jNS1_19radix_merge_compareILb1ELb0ES5_NS0_19identity_decomposerEEEEE10hipError_tT0_T1_T2_jT3_P12ihipStream_tbPNSt15iterator_traitsISF_E10value_typeEPNSL_ISG_E10value_typeEPSH_NS1_7vsmem_tEENKUlT_SF_SG_SH_E_clIS9_S9_SA_SA_EESE_SU_SF_SG_SH_EUlSU_E0_NS1_11comp_targetILNS1_3genE4ELNS1_11target_archE910ELNS1_3gpuE8ELNS1_3repE0EEENS1_38merge_mergepath_config_static_selectorELNS0_4arch9wavefront6targetE0EEEvSG_, .Lfunc_end1917-_ZN7rocprim17ROCPRIM_400000_NS6detail17trampoline_kernelINS0_14default_configENS1_38merge_sort_block_merge_config_selectorI12hip_bfloat16NS0_10empty_typeEEEZZNS1_27merge_sort_block_merge_implIS3_PS5_PS6_jNS1_19radix_merge_compareILb1ELb0ES5_NS0_19identity_decomposerEEEEE10hipError_tT0_T1_T2_jT3_P12ihipStream_tbPNSt15iterator_traitsISF_E10value_typeEPNSL_ISG_E10value_typeEPSH_NS1_7vsmem_tEENKUlT_SF_SG_SH_E_clIS9_S9_SA_SA_EESE_SU_SF_SG_SH_EUlSU_E0_NS1_11comp_targetILNS1_3genE4ELNS1_11target_archE910ELNS1_3gpuE8ELNS1_3repE0EEENS1_38merge_mergepath_config_static_selectorELNS0_4arch9wavefront6targetE0EEEvSG_
                                        ; -- End function
	.set _ZN7rocprim17ROCPRIM_400000_NS6detail17trampoline_kernelINS0_14default_configENS1_38merge_sort_block_merge_config_selectorI12hip_bfloat16NS0_10empty_typeEEEZZNS1_27merge_sort_block_merge_implIS3_PS5_PS6_jNS1_19radix_merge_compareILb1ELb0ES5_NS0_19identity_decomposerEEEEE10hipError_tT0_T1_T2_jT3_P12ihipStream_tbPNSt15iterator_traitsISF_E10value_typeEPNSL_ISG_E10value_typeEPSH_NS1_7vsmem_tEENKUlT_SF_SG_SH_E_clIS9_S9_SA_SA_EESE_SU_SF_SG_SH_EUlSU_E0_NS1_11comp_targetILNS1_3genE4ELNS1_11target_archE910ELNS1_3gpuE8ELNS1_3repE0EEENS1_38merge_mergepath_config_static_selectorELNS0_4arch9wavefront6targetE0EEEvSG_.num_vgpr, 0
	.set _ZN7rocprim17ROCPRIM_400000_NS6detail17trampoline_kernelINS0_14default_configENS1_38merge_sort_block_merge_config_selectorI12hip_bfloat16NS0_10empty_typeEEEZZNS1_27merge_sort_block_merge_implIS3_PS5_PS6_jNS1_19radix_merge_compareILb1ELb0ES5_NS0_19identity_decomposerEEEEE10hipError_tT0_T1_T2_jT3_P12ihipStream_tbPNSt15iterator_traitsISF_E10value_typeEPNSL_ISG_E10value_typeEPSH_NS1_7vsmem_tEENKUlT_SF_SG_SH_E_clIS9_S9_SA_SA_EESE_SU_SF_SG_SH_EUlSU_E0_NS1_11comp_targetILNS1_3genE4ELNS1_11target_archE910ELNS1_3gpuE8ELNS1_3repE0EEENS1_38merge_mergepath_config_static_selectorELNS0_4arch9wavefront6targetE0EEEvSG_.num_agpr, 0
	.set _ZN7rocprim17ROCPRIM_400000_NS6detail17trampoline_kernelINS0_14default_configENS1_38merge_sort_block_merge_config_selectorI12hip_bfloat16NS0_10empty_typeEEEZZNS1_27merge_sort_block_merge_implIS3_PS5_PS6_jNS1_19radix_merge_compareILb1ELb0ES5_NS0_19identity_decomposerEEEEE10hipError_tT0_T1_T2_jT3_P12ihipStream_tbPNSt15iterator_traitsISF_E10value_typeEPNSL_ISG_E10value_typeEPSH_NS1_7vsmem_tEENKUlT_SF_SG_SH_E_clIS9_S9_SA_SA_EESE_SU_SF_SG_SH_EUlSU_E0_NS1_11comp_targetILNS1_3genE4ELNS1_11target_archE910ELNS1_3gpuE8ELNS1_3repE0EEENS1_38merge_mergepath_config_static_selectorELNS0_4arch9wavefront6targetE0EEEvSG_.numbered_sgpr, 0
	.set _ZN7rocprim17ROCPRIM_400000_NS6detail17trampoline_kernelINS0_14default_configENS1_38merge_sort_block_merge_config_selectorI12hip_bfloat16NS0_10empty_typeEEEZZNS1_27merge_sort_block_merge_implIS3_PS5_PS6_jNS1_19radix_merge_compareILb1ELb0ES5_NS0_19identity_decomposerEEEEE10hipError_tT0_T1_T2_jT3_P12ihipStream_tbPNSt15iterator_traitsISF_E10value_typeEPNSL_ISG_E10value_typeEPSH_NS1_7vsmem_tEENKUlT_SF_SG_SH_E_clIS9_S9_SA_SA_EESE_SU_SF_SG_SH_EUlSU_E0_NS1_11comp_targetILNS1_3genE4ELNS1_11target_archE910ELNS1_3gpuE8ELNS1_3repE0EEENS1_38merge_mergepath_config_static_selectorELNS0_4arch9wavefront6targetE0EEEvSG_.num_named_barrier, 0
	.set _ZN7rocprim17ROCPRIM_400000_NS6detail17trampoline_kernelINS0_14default_configENS1_38merge_sort_block_merge_config_selectorI12hip_bfloat16NS0_10empty_typeEEEZZNS1_27merge_sort_block_merge_implIS3_PS5_PS6_jNS1_19radix_merge_compareILb1ELb0ES5_NS0_19identity_decomposerEEEEE10hipError_tT0_T1_T2_jT3_P12ihipStream_tbPNSt15iterator_traitsISF_E10value_typeEPNSL_ISG_E10value_typeEPSH_NS1_7vsmem_tEENKUlT_SF_SG_SH_E_clIS9_S9_SA_SA_EESE_SU_SF_SG_SH_EUlSU_E0_NS1_11comp_targetILNS1_3genE4ELNS1_11target_archE910ELNS1_3gpuE8ELNS1_3repE0EEENS1_38merge_mergepath_config_static_selectorELNS0_4arch9wavefront6targetE0EEEvSG_.private_seg_size, 0
	.set _ZN7rocprim17ROCPRIM_400000_NS6detail17trampoline_kernelINS0_14default_configENS1_38merge_sort_block_merge_config_selectorI12hip_bfloat16NS0_10empty_typeEEEZZNS1_27merge_sort_block_merge_implIS3_PS5_PS6_jNS1_19radix_merge_compareILb1ELb0ES5_NS0_19identity_decomposerEEEEE10hipError_tT0_T1_T2_jT3_P12ihipStream_tbPNSt15iterator_traitsISF_E10value_typeEPNSL_ISG_E10value_typeEPSH_NS1_7vsmem_tEENKUlT_SF_SG_SH_E_clIS9_S9_SA_SA_EESE_SU_SF_SG_SH_EUlSU_E0_NS1_11comp_targetILNS1_3genE4ELNS1_11target_archE910ELNS1_3gpuE8ELNS1_3repE0EEENS1_38merge_mergepath_config_static_selectorELNS0_4arch9wavefront6targetE0EEEvSG_.uses_vcc, 0
	.set _ZN7rocprim17ROCPRIM_400000_NS6detail17trampoline_kernelINS0_14default_configENS1_38merge_sort_block_merge_config_selectorI12hip_bfloat16NS0_10empty_typeEEEZZNS1_27merge_sort_block_merge_implIS3_PS5_PS6_jNS1_19radix_merge_compareILb1ELb0ES5_NS0_19identity_decomposerEEEEE10hipError_tT0_T1_T2_jT3_P12ihipStream_tbPNSt15iterator_traitsISF_E10value_typeEPNSL_ISG_E10value_typeEPSH_NS1_7vsmem_tEENKUlT_SF_SG_SH_E_clIS9_S9_SA_SA_EESE_SU_SF_SG_SH_EUlSU_E0_NS1_11comp_targetILNS1_3genE4ELNS1_11target_archE910ELNS1_3gpuE8ELNS1_3repE0EEENS1_38merge_mergepath_config_static_selectorELNS0_4arch9wavefront6targetE0EEEvSG_.uses_flat_scratch, 0
	.set _ZN7rocprim17ROCPRIM_400000_NS6detail17trampoline_kernelINS0_14default_configENS1_38merge_sort_block_merge_config_selectorI12hip_bfloat16NS0_10empty_typeEEEZZNS1_27merge_sort_block_merge_implIS3_PS5_PS6_jNS1_19radix_merge_compareILb1ELb0ES5_NS0_19identity_decomposerEEEEE10hipError_tT0_T1_T2_jT3_P12ihipStream_tbPNSt15iterator_traitsISF_E10value_typeEPNSL_ISG_E10value_typeEPSH_NS1_7vsmem_tEENKUlT_SF_SG_SH_E_clIS9_S9_SA_SA_EESE_SU_SF_SG_SH_EUlSU_E0_NS1_11comp_targetILNS1_3genE4ELNS1_11target_archE910ELNS1_3gpuE8ELNS1_3repE0EEENS1_38merge_mergepath_config_static_selectorELNS0_4arch9wavefront6targetE0EEEvSG_.has_dyn_sized_stack, 0
	.set _ZN7rocprim17ROCPRIM_400000_NS6detail17trampoline_kernelINS0_14default_configENS1_38merge_sort_block_merge_config_selectorI12hip_bfloat16NS0_10empty_typeEEEZZNS1_27merge_sort_block_merge_implIS3_PS5_PS6_jNS1_19radix_merge_compareILb1ELb0ES5_NS0_19identity_decomposerEEEEE10hipError_tT0_T1_T2_jT3_P12ihipStream_tbPNSt15iterator_traitsISF_E10value_typeEPNSL_ISG_E10value_typeEPSH_NS1_7vsmem_tEENKUlT_SF_SG_SH_E_clIS9_S9_SA_SA_EESE_SU_SF_SG_SH_EUlSU_E0_NS1_11comp_targetILNS1_3genE4ELNS1_11target_archE910ELNS1_3gpuE8ELNS1_3repE0EEENS1_38merge_mergepath_config_static_selectorELNS0_4arch9wavefront6targetE0EEEvSG_.has_recursion, 0
	.set _ZN7rocprim17ROCPRIM_400000_NS6detail17trampoline_kernelINS0_14default_configENS1_38merge_sort_block_merge_config_selectorI12hip_bfloat16NS0_10empty_typeEEEZZNS1_27merge_sort_block_merge_implIS3_PS5_PS6_jNS1_19radix_merge_compareILb1ELb0ES5_NS0_19identity_decomposerEEEEE10hipError_tT0_T1_T2_jT3_P12ihipStream_tbPNSt15iterator_traitsISF_E10value_typeEPNSL_ISG_E10value_typeEPSH_NS1_7vsmem_tEENKUlT_SF_SG_SH_E_clIS9_S9_SA_SA_EESE_SU_SF_SG_SH_EUlSU_E0_NS1_11comp_targetILNS1_3genE4ELNS1_11target_archE910ELNS1_3gpuE8ELNS1_3repE0EEENS1_38merge_mergepath_config_static_selectorELNS0_4arch9wavefront6targetE0EEEvSG_.has_indirect_call, 0
	.section	.AMDGPU.csdata,"",@progbits
; Kernel info:
; codeLenInByte = 0
; TotalNumSgprs: 0
; NumVgprs: 0
; ScratchSize: 0
; MemoryBound: 0
; FloatMode: 240
; IeeeMode: 1
; LDSByteSize: 0 bytes/workgroup (compile time only)
; SGPRBlocks: 0
; VGPRBlocks: 0
; NumSGPRsForWavesPerEU: 1
; NumVGPRsForWavesPerEU: 1
; NamedBarCnt: 0
; Occupancy: 16
; WaveLimiterHint : 0
; COMPUTE_PGM_RSRC2:SCRATCH_EN: 0
; COMPUTE_PGM_RSRC2:USER_SGPR: 2
; COMPUTE_PGM_RSRC2:TRAP_HANDLER: 0
; COMPUTE_PGM_RSRC2:TGID_X_EN: 1
; COMPUTE_PGM_RSRC2:TGID_Y_EN: 0
; COMPUTE_PGM_RSRC2:TGID_Z_EN: 0
; COMPUTE_PGM_RSRC2:TIDIG_COMP_CNT: 0
	.section	.text._ZN7rocprim17ROCPRIM_400000_NS6detail17trampoline_kernelINS0_14default_configENS1_38merge_sort_block_merge_config_selectorI12hip_bfloat16NS0_10empty_typeEEEZZNS1_27merge_sort_block_merge_implIS3_PS5_PS6_jNS1_19radix_merge_compareILb1ELb0ES5_NS0_19identity_decomposerEEEEE10hipError_tT0_T1_T2_jT3_P12ihipStream_tbPNSt15iterator_traitsISF_E10value_typeEPNSL_ISG_E10value_typeEPSH_NS1_7vsmem_tEENKUlT_SF_SG_SH_E_clIS9_S9_SA_SA_EESE_SU_SF_SG_SH_EUlSU_E0_NS1_11comp_targetILNS1_3genE3ELNS1_11target_archE908ELNS1_3gpuE7ELNS1_3repE0EEENS1_38merge_mergepath_config_static_selectorELNS0_4arch9wavefront6targetE0EEEvSG_,"axG",@progbits,_ZN7rocprim17ROCPRIM_400000_NS6detail17trampoline_kernelINS0_14default_configENS1_38merge_sort_block_merge_config_selectorI12hip_bfloat16NS0_10empty_typeEEEZZNS1_27merge_sort_block_merge_implIS3_PS5_PS6_jNS1_19radix_merge_compareILb1ELb0ES5_NS0_19identity_decomposerEEEEE10hipError_tT0_T1_T2_jT3_P12ihipStream_tbPNSt15iterator_traitsISF_E10value_typeEPNSL_ISG_E10value_typeEPSH_NS1_7vsmem_tEENKUlT_SF_SG_SH_E_clIS9_S9_SA_SA_EESE_SU_SF_SG_SH_EUlSU_E0_NS1_11comp_targetILNS1_3genE3ELNS1_11target_archE908ELNS1_3gpuE7ELNS1_3repE0EEENS1_38merge_mergepath_config_static_selectorELNS0_4arch9wavefront6targetE0EEEvSG_,comdat
	.protected	_ZN7rocprim17ROCPRIM_400000_NS6detail17trampoline_kernelINS0_14default_configENS1_38merge_sort_block_merge_config_selectorI12hip_bfloat16NS0_10empty_typeEEEZZNS1_27merge_sort_block_merge_implIS3_PS5_PS6_jNS1_19radix_merge_compareILb1ELb0ES5_NS0_19identity_decomposerEEEEE10hipError_tT0_T1_T2_jT3_P12ihipStream_tbPNSt15iterator_traitsISF_E10value_typeEPNSL_ISG_E10value_typeEPSH_NS1_7vsmem_tEENKUlT_SF_SG_SH_E_clIS9_S9_SA_SA_EESE_SU_SF_SG_SH_EUlSU_E0_NS1_11comp_targetILNS1_3genE3ELNS1_11target_archE908ELNS1_3gpuE7ELNS1_3repE0EEENS1_38merge_mergepath_config_static_selectorELNS0_4arch9wavefront6targetE0EEEvSG_ ; -- Begin function _ZN7rocprim17ROCPRIM_400000_NS6detail17trampoline_kernelINS0_14default_configENS1_38merge_sort_block_merge_config_selectorI12hip_bfloat16NS0_10empty_typeEEEZZNS1_27merge_sort_block_merge_implIS3_PS5_PS6_jNS1_19radix_merge_compareILb1ELb0ES5_NS0_19identity_decomposerEEEEE10hipError_tT0_T1_T2_jT3_P12ihipStream_tbPNSt15iterator_traitsISF_E10value_typeEPNSL_ISG_E10value_typeEPSH_NS1_7vsmem_tEENKUlT_SF_SG_SH_E_clIS9_S9_SA_SA_EESE_SU_SF_SG_SH_EUlSU_E0_NS1_11comp_targetILNS1_3genE3ELNS1_11target_archE908ELNS1_3gpuE7ELNS1_3repE0EEENS1_38merge_mergepath_config_static_selectorELNS0_4arch9wavefront6targetE0EEEvSG_
	.globl	_ZN7rocprim17ROCPRIM_400000_NS6detail17trampoline_kernelINS0_14default_configENS1_38merge_sort_block_merge_config_selectorI12hip_bfloat16NS0_10empty_typeEEEZZNS1_27merge_sort_block_merge_implIS3_PS5_PS6_jNS1_19radix_merge_compareILb1ELb0ES5_NS0_19identity_decomposerEEEEE10hipError_tT0_T1_T2_jT3_P12ihipStream_tbPNSt15iterator_traitsISF_E10value_typeEPNSL_ISG_E10value_typeEPSH_NS1_7vsmem_tEENKUlT_SF_SG_SH_E_clIS9_S9_SA_SA_EESE_SU_SF_SG_SH_EUlSU_E0_NS1_11comp_targetILNS1_3genE3ELNS1_11target_archE908ELNS1_3gpuE7ELNS1_3repE0EEENS1_38merge_mergepath_config_static_selectorELNS0_4arch9wavefront6targetE0EEEvSG_
	.p2align	8
	.type	_ZN7rocprim17ROCPRIM_400000_NS6detail17trampoline_kernelINS0_14default_configENS1_38merge_sort_block_merge_config_selectorI12hip_bfloat16NS0_10empty_typeEEEZZNS1_27merge_sort_block_merge_implIS3_PS5_PS6_jNS1_19radix_merge_compareILb1ELb0ES5_NS0_19identity_decomposerEEEEE10hipError_tT0_T1_T2_jT3_P12ihipStream_tbPNSt15iterator_traitsISF_E10value_typeEPNSL_ISG_E10value_typeEPSH_NS1_7vsmem_tEENKUlT_SF_SG_SH_E_clIS9_S9_SA_SA_EESE_SU_SF_SG_SH_EUlSU_E0_NS1_11comp_targetILNS1_3genE3ELNS1_11target_archE908ELNS1_3gpuE7ELNS1_3repE0EEENS1_38merge_mergepath_config_static_selectorELNS0_4arch9wavefront6targetE0EEEvSG_,@function
_ZN7rocprim17ROCPRIM_400000_NS6detail17trampoline_kernelINS0_14default_configENS1_38merge_sort_block_merge_config_selectorI12hip_bfloat16NS0_10empty_typeEEEZZNS1_27merge_sort_block_merge_implIS3_PS5_PS6_jNS1_19radix_merge_compareILb1ELb0ES5_NS0_19identity_decomposerEEEEE10hipError_tT0_T1_T2_jT3_P12ihipStream_tbPNSt15iterator_traitsISF_E10value_typeEPNSL_ISG_E10value_typeEPSH_NS1_7vsmem_tEENKUlT_SF_SG_SH_E_clIS9_S9_SA_SA_EESE_SU_SF_SG_SH_EUlSU_E0_NS1_11comp_targetILNS1_3genE3ELNS1_11target_archE908ELNS1_3gpuE7ELNS1_3repE0EEENS1_38merge_mergepath_config_static_selectorELNS0_4arch9wavefront6targetE0EEEvSG_: ; @_ZN7rocprim17ROCPRIM_400000_NS6detail17trampoline_kernelINS0_14default_configENS1_38merge_sort_block_merge_config_selectorI12hip_bfloat16NS0_10empty_typeEEEZZNS1_27merge_sort_block_merge_implIS3_PS5_PS6_jNS1_19radix_merge_compareILb1ELb0ES5_NS0_19identity_decomposerEEEEE10hipError_tT0_T1_T2_jT3_P12ihipStream_tbPNSt15iterator_traitsISF_E10value_typeEPNSL_ISG_E10value_typeEPSH_NS1_7vsmem_tEENKUlT_SF_SG_SH_E_clIS9_S9_SA_SA_EESE_SU_SF_SG_SH_EUlSU_E0_NS1_11comp_targetILNS1_3genE3ELNS1_11target_archE908ELNS1_3gpuE7ELNS1_3repE0EEENS1_38merge_mergepath_config_static_selectorELNS0_4arch9wavefront6targetE0EEEvSG_
; %bb.0:
	.section	.rodata,"a",@progbits
	.p2align	6, 0x0
	.amdhsa_kernel _ZN7rocprim17ROCPRIM_400000_NS6detail17trampoline_kernelINS0_14default_configENS1_38merge_sort_block_merge_config_selectorI12hip_bfloat16NS0_10empty_typeEEEZZNS1_27merge_sort_block_merge_implIS3_PS5_PS6_jNS1_19radix_merge_compareILb1ELb0ES5_NS0_19identity_decomposerEEEEE10hipError_tT0_T1_T2_jT3_P12ihipStream_tbPNSt15iterator_traitsISF_E10value_typeEPNSL_ISG_E10value_typeEPSH_NS1_7vsmem_tEENKUlT_SF_SG_SH_E_clIS9_S9_SA_SA_EESE_SU_SF_SG_SH_EUlSU_E0_NS1_11comp_targetILNS1_3genE3ELNS1_11target_archE908ELNS1_3gpuE7ELNS1_3repE0EEENS1_38merge_mergepath_config_static_selectorELNS0_4arch9wavefront6targetE0EEEvSG_
		.amdhsa_group_segment_fixed_size 0
		.amdhsa_private_segment_fixed_size 0
		.amdhsa_kernarg_size 64
		.amdhsa_user_sgpr_count 2
		.amdhsa_user_sgpr_dispatch_ptr 0
		.amdhsa_user_sgpr_queue_ptr 0
		.amdhsa_user_sgpr_kernarg_segment_ptr 1
		.amdhsa_user_sgpr_dispatch_id 0
		.amdhsa_user_sgpr_kernarg_preload_length 0
		.amdhsa_user_sgpr_kernarg_preload_offset 0
		.amdhsa_user_sgpr_private_segment_size 0
		.amdhsa_wavefront_size32 1
		.amdhsa_uses_dynamic_stack 0
		.amdhsa_enable_private_segment 0
		.amdhsa_system_sgpr_workgroup_id_x 1
		.amdhsa_system_sgpr_workgroup_id_y 0
		.amdhsa_system_sgpr_workgroup_id_z 0
		.amdhsa_system_sgpr_workgroup_info 0
		.amdhsa_system_vgpr_workitem_id 0
		.amdhsa_next_free_vgpr 1
		.amdhsa_next_free_sgpr 1
		.amdhsa_named_barrier_count 0
		.amdhsa_reserve_vcc 0
		.amdhsa_float_round_mode_32 0
		.amdhsa_float_round_mode_16_64 0
		.amdhsa_float_denorm_mode_32 3
		.amdhsa_float_denorm_mode_16_64 3
		.amdhsa_fp16_overflow 0
		.amdhsa_memory_ordered 1
		.amdhsa_forward_progress 1
		.amdhsa_inst_pref_size 0
		.amdhsa_round_robin_scheduling 0
		.amdhsa_exception_fp_ieee_invalid_op 0
		.amdhsa_exception_fp_denorm_src 0
		.amdhsa_exception_fp_ieee_div_zero 0
		.amdhsa_exception_fp_ieee_overflow 0
		.amdhsa_exception_fp_ieee_underflow 0
		.amdhsa_exception_fp_ieee_inexact 0
		.amdhsa_exception_int_div_zero 0
	.end_amdhsa_kernel
	.section	.text._ZN7rocprim17ROCPRIM_400000_NS6detail17trampoline_kernelINS0_14default_configENS1_38merge_sort_block_merge_config_selectorI12hip_bfloat16NS0_10empty_typeEEEZZNS1_27merge_sort_block_merge_implIS3_PS5_PS6_jNS1_19radix_merge_compareILb1ELb0ES5_NS0_19identity_decomposerEEEEE10hipError_tT0_T1_T2_jT3_P12ihipStream_tbPNSt15iterator_traitsISF_E10value_typeEPNSL_ISG_E10value_typeEPSH_NS1_7vsmem_tEENKUlT_SF_SG_SH_E_clIS9_S9_SA_SA_EESE_SU_SF_SG_SH_EUlSU_E0_NS1_11comp_targetILNS1_3genE3ELNS1_11target_archE908ELNS1_3gpuE7ELNS1_3repE0EEENS1_38merge_mergepath_config_static_selectorELNS0_4arch9wavefront6targetE0EEEvSG_,"axG",@progbits,_ZN7rocprim17ROCPRIM_400000_NS6detail17trampoline_kernelINS0_14default_configENS1_38merge_sort_block_merge_config_selectorI12hip_bfloat16NS0_10empty_typeEEEZZNS1_27merge_sort_block_merge_implIS3_PS5_PS6_jNS1_19radix_merge_compareILb1ELb0ES5_NS0_19identity_decomposerEEEEE10hipError_tT0_T1_T2_jT3_P12ihipStream_tbPNSt15iterator_traitsISF_E10value_typeEPNSL_ISG_E10value_typeEPSH_NS1_7vsmem_tEENKUlT_SF_SG_SH_E_clIS9_S9_SA_SA_EESE_SU_SF_SG_SH_EUlSU_E0_NS1_11comp_targetILNS1_3genE3ELNS1_11target_archE908ELNS1_3gpuE7ELNS1_3repE0EEENS1_38merge_mergepath_config_static_selectorELNS0_4arch9wavefront6targetE0EEEvSG_,comdat
.Lfunc_end1918:
	.size	_ZN7rocprim17ROCPRIM_400000_NS6detail17trampoline_kernelINS0_14default_configENS1_38merge_sort_block_merge_config_selectorI12hip_bfloat16NS0_10empty_typeEEEZZNS1_27merge_sort_block_merge_implIS3_PS5_PS6_jNS1_19radix_merge_compareILb1ELb0ES5_NS0_19identity_decomposerEEEEE10hipError_tT0_T1_T2_jT3_P12ihipStream_tbPNSt15iterator_traitsISF_E10value_typeEPNSL_ISG_E10value_typeEPSH_NS1_7vsmem_tEENKUlT_SF_SG_SH_E_clIS9_S9_SA_SA_EESE_SU_SF_SG_SH_EUlSU_E0_NS1_11comp_targetILNS1_3genE3ELNS1_11target_archE908ELNS1_3gpuE7ELNS1_3repE0EEENS1_38merge_mergepath_config_static_selectorELNS0_4arch9wavefront6targetE0EEEvSG_, .Lfunc_end1918-_ZN7rocprim17ROCPRIM_400000_NS6detail17trampoline_kernelINS0_14default_configENS1_38merge_sort_block_merge_config_selectorI12hip_bfloat16NS0_10empty_typeEEEZZNS1_27merge_sort_block_merge_implIS3_PS5_PS6_jNS1_19radix_merge_compareILb1ELb0ES5_NS0_19identity_decomposerEEEEE10hipError_tT0_T1_T2_jT3_P12ihipStream_tbPNSt15iterator_traitsISF_E10value_typeEPNSL_ISG_E10value_typeEPSH_NS1_7vsmem_tEENKUlT_SF_SG_SH_E_clIS9_S9_SA_SA_EESE_SU_SF_SG_SH_EUlSU_E0_NS1_11comp_targetILNS1_3genE3ELNS1_11target_archE908ELNS1_3gpuE7ELNS1_3repE0EEENS1_38merge_mergepath_config_static_selectorELNS0_4arch9wavefront6targetE0EEEvSG_
                                        ; -- End function
	.set _ZN7rocprim17ROCPRIM_400000_NS6detail17trampoline_kernelINS0_14default_configENS1_38merge_sort_block_merge_config_selectorI12hip_bfloat16NS0_10empty_typeEEEZZNS1_27merge_sort_block_merge_implIS3_PS5_PS6_jNS1_19radix_merge_compareILb1ELb0ES5_NS0_19identity_decomposerEEEEE10hipError_tT0_T1_T2_jT3_P12ihipStream_tbPNSt15iterator_traitsISF_E10value_typeEPNSL_ISG_E10value_typeEPSH_NS1_7vsmem_tEENKUlT_SF_SG_SH_E_clIS9_S9_SA_SA_EESE_SU_SF_SG_SH_EUlSU_E0_NS1_11comp_targetILNS1_3genE3ELNS1_11target_archE908ELNS1_3gpuE7ELNS1_3repE0EEENS1_38merge_mergepath_config_static_selectorELNS0_4arch9wavefront6targetE0EEEvSG_.num_vgpr, 0
	.set _ZN7rocprim17ROCPRIM_400000_NS6detail17trampoline_kernelINS0_14default_configENS1_38merge_sort_block_merge_config_selectorI12hip_bfloat16NS0_10empty_typeEEEZZNS1_27merge_sort_block_merge_implIS3_PS5_PS6_jNS1_19radix_merge_compareILb1ELb0ES5_NS0_19identity_decomposerEEEEE10hipError_tT0_T1_T2_jT3_P12ihipStream_tbPNSt15iterator_traitsISF_E10value_typeEPNSL_ISG_E10value_typeEPSH_NS1_7vsmem_tEENKUlT_SF_SG_SH_E_clIS9_S9_SA_SA_EESE_SU_SF_SG_SH_EUlSU_E0_NS1_11comp_targetILNS1_3genE3ELNS1_11target_archE908ELNS1_3gpuE7ELNS1_3repE0EEENS1_38merge_mergepath_config_static_selectorELNS0_4arch9wavefront6targetE0EEEvSG_.num_agpr, 0
	.set _ZN7rocprim17ROCPRIM_400000_NS6detail17trampoline_kernelINS0_14default_configENS1_38merge_sort_block_merge_config_selectorI12hip_bfloat16NS0_10empty_typeEEEZZNS1_27merge_sort_block_merge_implIS3_PS5_PS6_jNS1_19radix_merge_compareILb1ELb0ES5_NS0_19identity_decomposerEEEEE10hipError_tT0_T1_T2_jT3_P12ihipStream_tbPNSt15iterator_traitsISF_E10value_typeEPNSL_ISG_E10value_typeEPSH_NS1_7vsmem_tEENKUlT_SF_SG_SH_E_clIS9_S9_SA_SA_EESE_SU_SF_SG_SH_EUlSU_E0_NS1_11comp_targetILNS1_3genE3ELNS1_11target_archE908ELNS1_3gpuE7ELNS1_3repE0EEENS1_38merge_mergepath_config_static_selectorELNS0_4arch9wavefront6targetE0EEEvSG_.numbered_sgpr, 0
	.set _ZN7rocprim17ROCPRIM_400000_NS6detail17trampoline_kernelINS0_14default_configENS1_38merge_sort_block_merge_config_selectorI12hip_bfloat16NS0_10empty_typeEEEZZNS1_27merge_sort_block_merge_implIS3_PS5_PS6_jNS1_19radix_merge_compareILb1ELb0ES5_NS0_19identity_decomposerEEEEE10hipError_tT0_T1_T2_jT3_P12ihipStream_tbPNSt15iterator_traitsISF_E10value_typeEPNSL_ISG_E10value_typeEPSH_NS1_7vsmem_tEENKUlT_SF_SG_SH_E_clIS9_S9_SA_SA_EESE_SU_SF_SG_SH_EUlSU_E0_NS1_11comp_targetILNS1_3genE3ELNS1_11target_archE908ELNS1_3gpuE7ELNS1_3repE0EEENS1_38merge_mergepath_config_static_selectorELNS0_4arch9wavefront6targetE0EEEvSG_.num_named_barrier, 0
	.set _ZN7rocprim17ROCPRIM_400000_NS6detail17trampoline_kernelINS0_14default_configENS1_38merge_sort_block_merge_config_selectorI12hip_bfloat16NS0_10empty_typeEEEZZNS1_27merge_sort_block_merge_implIS3_PS5_PS6_jNS1_19radix_merge_compareILb1ELb0ES5_NS0_19identity_decomposerEEEEE10hipError_tT0_T1_T2_jT3_P12ihipStream_tbPNSt15iterator_traitsISF_E10value_typeEPNSL_ISG_E10value_typeEPSH_NS1_7vsmem_tEENKUlT_SF_SG_SH_E_clIS9_S9_SA_SA_EESE_SU_SF_SG_SH_EUlSU_E0_NS1_11comp_targetILNS1_3genE3ELNS1_11target_archE908ELNS1_3gpuE7ELNS1_3repE0EEENS1_38merge_mergepath_config_static_selectorELNS0_4arch9wavefront6targetE0EEEvSG_.private_seg_size, 0
	.set _ZN7rocprim17ROCPRIM_400000_NS6detail17trampoline_kernelINS0_14default_configENS1_38merge_sort_block_merge_config_selectorI12hip_bfloat16NS0_10empty_typeEEEZZNS1_27merge_sort_block_merge_implIS3_PS5_PS6_jNS1_19radix_merge_compareILb1ELb0ES5_NS0_19identity_decomposerEEEEE10hipError_tT0_T1_T2_jT3_P12ihipStream_tbPNSt15iterator_traitsISF_E10value_typeEPNSL_ISG_E10value_typeEPSH_NS1_7vsmem_tEENKUlT_SF_SG_SH_E_clIS9_S9_SA_SA_EESE_SU_SF_SG_SH_EUlSU_E0_NS1_11comp_targetILNS1_3genE3ELNS1_11target_archE908ELNS1_3gpuE7ELNS1_3repE0EEENS1_38merge_mergepath_config_static_selectorELNS0_4arch9wavefront6targetE0EEEvSG_.uses_vcc, 0
	.set _ZN7rocprim17ROCPRIM_400000_NS6detail17trampoline_kernelINS0_14default_configENS1_38merge_sort_block_merge_config_selectorI12hip_bfloat16NS0_10empty_typeEEEZZNS1_27merge_sort_block_merge_implIS3_PS5_PS6_jNS1_19radix_merge_compareILb1ELb0ES5_NS0_19identity_decomposerEEEEE10hipError_tT0_T1_T2_jT3_P12ihipStream_tbPNSt15iterator_traitsISF_E10value_typeEPNSL_ISG_E10value_typeEPSH_NS1_7vsmem_tEENKUlT_SF_SG_SH_E_clIS9_S9_SA_SA_EESE_SU_SF_SG_SH_EUlSU_E0_NS1_11comp_targetILNS1_3genE3ELNS1_11target_archE908ELNS1_3gpuE7ELNS1_3repE0EEENS1_38merge_mergepath_config_static_selectorELNS0_4arch9wavefront6targetE0EEEvSG_.uses_flat_scratch, 0
	.set _ZN7rocprim17ROCPRIM_400000_NS6detail17trampoline_kernelINS0_14default_configENS1_38merge_sort_block_merge_config_selectorI12hip_bfloat16NS0_10empty_typeEEEZZNS1_27merge_sort_block_merge_implIS3_PS5_PS6_jNS1_19radix_merge_compareILb1ELb0ES5_NS0_19identity_decomposerEEEEE10hipError_tT0_T1_T2_jT3_P12ihipStream_tbPNSt15iterator_traitsISF_E10value_typeEPNSL_ISG_E10value_typeEPSH_NS1_7vsmem_tEENKUlT_SF_SG_SH_E_clIS9_S9_SA_SA_EESE_SU_SF_SG_SH_EUlSU_E0_NS1_11comp_targetILNS1_3genE3ELNS1_11target_archE908ELNS1_3gpuE7ELNS1_3repE0EEENS1_38merge_mergepath_config_static_selectorELNS0_4arch9wavefront6targetE0EEEvSG_.has_dyn_sized_stack, 0
	.set _ZN7rocprim17ROCPRIM_400000_NS6detail17trampoline_kernelINS0_14default_configENS1_38merge_sort_block_merge_config_selectorI12hip_bfloat16NS0_10empty_typeEEEZZNS1_27merge_sort_block_merge_implIS3_PS5_PS6_jNS1_19radix_merge_compareILb1ELb0ES5_NS0_19identity_decomposerEEEEE10hipError_tT0_T1_T2_jT3_P12ihipStream_tbPNSt15iterator_traitsISF_E10value_typeEPNSL_ISG_E10value_typeEPSH_NS1_7vsmem_tEENKUlT_SF_SG_SH_E_clIS9_S9_SA_SA_EESE_SU_SF_SG_SH_EUlSU_E0_NS1_11comp_targetILNS1_3genE3ELNS1_11target_archE908ELNS1_3gpuE7ELNS1_3repE0EEENS1_38merge_mergepath_config_static_selectorELNS0_4arch9wavefront6targetE0EEEvSG_.has_recursion, 0
	.set _ZN7rocprim17ROCPRIM_400000_NS6detail17trampoline_kernelINS0_14default_configENS1_38merge_sort_block_merge_config_selectorI12hip_bfloat16NS0_10empty_typeEEEZZNS1_27merge_sort_block_merge_implIS3_PS5_PS6_jNS1_19radix_merge_compareILb1ELb0ES5_NS0_19identity_decomposerEEEEE10hipError_tT0_T1_T2_jT3_P12ihipStream_tbPNSt15iterator_traitsISF_E10value_typeEPNSL_ISG_E10value_typeEPSH_NS1_7vsmem_tEENKUlT_SF_SG_SH_E_clIS9_S9_SA_SA_EESE_SU_SF_SG_SH_EUlSU_E0_NS1_11comp_targetILNS1_3genE3ELNS1_11target_archE908ELNS1_3gpuE7ELNS1_3repE0EEENS1_38merge_mergepath_config_static_selectorELNS0_4arch9wavefront6targetE0EEEvSG_.has_indirect_call, 0
	.section	.AMDGPU.csdata,"",@progbits
; Kernel info:
; codeLenInByte = 0
; TotalNumSgprs: 0
; NumVgprs: 0
; ScratchSize: 0
; MemoryBound: 0
; FloatMode: 240
; IeeeMode: 1
; LDSByteSize: 0 bytes/workgroup (compile time only)
; SGPRBlocks: 0
; VGPRBlocks: 0
; NumSGPRsForWavesPerEU: 1
; NumVGPRsForWavesPerEU: 1
; NamedBarCnt: 0
; Occupancy: 16
; WaveLimiterHint : 0
; COMPUTE_PGM_RSRC2:SCRATCH_EN: 0
; COMPUTE_PGM_RSRC2:USER_SGPR: 2
; COMPUTE_PGM_RSRC2:TRAP_HANDLER: 0
; COMPUTE_PGM_RSRC2:TGID_X_EN: 1
; COMPUTE_PGM_RSRC2:TGID_Y_EN: 0
; COMPUTE_PGM_RSRC2:TGID_Z_EN: 0
; COMPUTE_PGM_RSRC2:TIDIG_COMP_CNT: 0
	.section	.text._ZN7rocprim17ROCPRIM_400000_NS6detail17trampoline_kernelINS0_14default_configENS1_38merge_sort_block_merge_config_selectorI12hip_bfloat16NS0_10empty_typeEEEZZNS1_27merge_sort_block_merge_implIS3_PS5_PS6_jNS1_19radix_merge_compareILb1ELb0ES5_NS0_19identity_decomposerEEEEE10hipError_tT0_T1_T2_jT3_P12ihipStream_tbPNSt15iterator_traitsISF_E10value_typeEPNSL_ISG_E10value_typeEPSH_NS1_7vsmem_tEENKUlT_SF_SG_SH_E_clIS9_S9_SA_SA_EESE_SU_SF_SG_SH_EUlSU_E0_NS1_11comp_targetILNS1_3genE2ELNS1_11target_archE906ELNS1_3gpuE6ELNS1_3repE0EEENS1_38merge_mergepath_config_static_selectorELNS0_4arch9wavefront6targetE0EEEvSG_,"axG",@progbits,_ZN7rocprim17ROCPRIM_400000_NS6detail17trampoline_kernelINS0_14default_configENS1_38merge_sort_block_merge_config_selectorI12hip_bfloat16NS0_10empty_typeEEEZZNS1_27merge_sort_block_merge_implIS3_PS5_PS6_jNS1_19radix_merge_compareILb1ELb0ES5_NS0_19identity_decomposerEEEEE10hipError_tT0_T1_T2_jT3_P12ihipStream_tbPNSt15iterator_traitsISF_E10value_typeEPNSL_ISG_E10value_typeEPSH_NS1_7vsmem_tEENKUlT_SF_SG_SH_E_clIS9_S9_SA_SA_EESE_SU_SF_SG_SH_EUlSU_E0_NS1_11comp_targetILNS1_3genE2ELNS1_11target_archE906ELNS1_3gpuE6ELNS1_3repE0EEENS1_38merge_mergepath_config_static_selectorELNS0_4arch9wavefront6targetE0EEEvSG_,comdat
	.protected	_ZN7rocprim17ROCPRIM_400000_NS6detail17trampoline_kernelINS0_14default_configENS1_38merge_sort_block_merge_config_selectorI12hip_bfloat16NS0_10empty_typeEEEZZNS1_27merge_sort_block_merge_implIS3_PS5_PS6_jNS1_19radix_merge_compareILb1ELb0ES5_NS0_19identity_decomposerEEEEE10hipError_tT0_T1_T2_jT3_P12ihipStream_tbPNSt15iterator_traitsISF_E10value_typeEPNSL_ISG_E10value_typeEPSH_NS1_7vsmem_tEENKUlT_SF_SG_SH_E_clIS9_S9_SA_SA_EESE_SU_SF_SG_SH_EUlSU_E0_NS1_11comp_targetILNS1_3genE2ELNS1_11target_archE906ELNS1_3gpuE6ELNS1_3repE0EEENS1_38merge_mergepath_config_static_selectorELNS0_4arch9wavefront6targetE0EEEvSG_ ; -- Begin function _ZN7rocprim17ROCPRIM_400000_NS6detail17trampoline_kernelINS0_14default_configENS1_38merge_sort_block_merge_config_selectorI12hip_bfloat16NS0_10empty_typeEEEZZNS1_27merge_sort_block_merge_implIS3_PS5_PS6_jNS1_19radix_merge_compareILb1ELb0ES5_NS0_19identity_decomposerEEEEE10hipError_tT0_T1_T2_jT3_P12ihipStream_tbPNSt15iterator_traitsISF_E10value_typeEPNSL_ISG_E10value_typeEPSH_NS1_7vsmem_tEENKUlT_SF_SG_SH_E_clIS9_S9_SA_SA_EESE_SU_SF_SG_SH_EUlSU_E0_NS1_11comp_targetILNS1_3genE2ELNS1_11target_archE906ELNS1_3gpuE6ELNS1_3repE0EEENS1_38merge_mergepath_config_static_selectorELNS0_4arch9wavefront6targetE0EEEvSG_
	.globl	_ZN7rocprim17ROCPRIM_400000_NS6detail17trampoline_kernelINS0_14default_configENS1_38merge_sort_block_merge_config_selectorI12hip_bfloat16NS0_10empty_typeEEEZZNS1_27merge_sort_block_merge_implIS3_PS5_PS6_jNS1_19radix_merge_compareILb1ELb0ES5_NS0_19identity_decomposerEEEEE10hipError_tT0_T1_T2_jT3_P12ihipStream_tbPNSt15iterator_traitsISF_E10value_typeEPNSL_ISG_E10value_typeEPSH_NS1_7vsmem_tEENKUlT_SF_SG_SH_E_clIS9_S9_SA_SA_EESE_SU_SF_SG_SH_EUlSU_E0_NS1_11comp_targetILNS1_3genE2ELNS1_11target_archE906ELNS1_3gpuE6ELNS1_3repE0EEENS1_38merge_mergepath_config_static_selectorELNS0_4arch9wavefront6targetE0EEEvSG_
	.p2align	8
	.type	_ZN7rocprim17ROCPRIM_400000_NS6detail17trampoline_kernelINS0_14default_configENS1_38merge_sort_block_merge_config_selectorI12hip_bfloat16NS0_10empty_typeEEEZZNS1_27merge_sort_block_merge_implIS3_PS5_PS6_jNS1_19radix_merge_compareILb1ELb0ES5_NS0_19identity_decomposerEEEEE10hipError_tT0_T1_T2_jT3_P12ihipStream_tbPNSt15iterator_traitsISF_E10value_typeEPNSL_ISG_E10value_typeEPSH_NS1_7vsmem_tEENKUlT_SF_SG_SH_E_clIS9_S9_SA_SA_EESE_SU_SF_SG_SH_EUlSU_E0_NS1_11comp_targetILNS1_3genE2ELNS1_11target_archE906ELNS1_3gpuE6ELNS1_3repE0EEENS1_38merge_mergepath_config_static_selectorELNS0_4arch9wavefront6targetE0EEEvSG_,@function
_ZN7rocprim17ROCPRIM_400000_NS6detail17trampoline_kernelINS0_14default_configENS1_38merge_sort_block_merge_config_selectorI12hip_bfloat16NS0_10empty_typeEEEZZNS1_27merge_sort_block_merge_implIS3_PS5_PS6_jNS1_19radix_merge_compareILb1ELb0ES5_NS0_19identity_decomposerEEEEE10hipError_tT0_T1_T2_jT3_P12ihipStream_tbPNSt15iterator_traitsISF_E10value_typeEPNSL_ISG_E10value_typeEPSH_NS1_7vsmem_tEENKUlT_SF_SG_SH_E_clIS9_S9_SA_SA_EESE_SU_SF_SG_SH_EUlSU_E0_NS1_11comp_targetILNS1_3genE2ELNS1_11target_archE906ELNS1_3gpuE6ELNS1_3repE0EEENS1_38merge_mergepath_config_static_selectorELNS0_4arch9wavefront6targetE0EEEvSG_: ; @_ZN7rocprim17ROCPRIM_400000_NS6detail17trampoline_kernelINS0_14default_configENS1_38merge_sort_block_merge_config_selectorI12hip_bfloat16NS0_10empty_typeEEEZZNS1_27merge_sort_block_merge_implIS3_PS5_PS6_jNS1_19radix_merge_compareILb1ELb0ES5_NS0_19identity_decomposerEEEEE10hipError_tT0_T1_T2_jT3_P12ihipStream_tbPNSt15iterator_traitsISF_E10value_typeEPNSL_ISG_E10value_typeEPSH_NS1_7vsmem_tEENKUlT_SF_SG_SH_E_clIS9_S9_SA_SA_EESE_SU_SF_SG_SH_EUlSU_E0_NS1_11comp_targetILNS1_3genE2ELNS1_11target_archE906ELNS1_3gpuE6ELNS1_3repE0EEENS1_38merge_mergepath_config_static_selectorELNS0_4arch9wavefront6targetE0EEEvSG_
; %bb.0:
	.section	.rodata,"a",@progbits
	.p2align	6, 0x0
	.amdhsa_kernel _ZN7rocprim17ROCPRIM_400000_NS6detail17trampoline_kernelINS0_14default_configENS1_38merge_sort_block_merge_config_selectorI12hip_bfloat16NS0_10empty_typeEEEZZNS1_27merge_sort_block_merge_implIS3_PS5_PS6_jNS1_19radix_merge_compareILb1ELb0ES5_NS0_19identity_decomposerEEEEE10hipError_tT0_T1_T2_jT3_P12ihipStream_tbPNSt15iterator_traitsISF_E10value_typeEPNSL_ISG_E10value_typeEPSH_NS1_7vsmem_tEENKUlT_SF_SG_SH_E_clIS9_S9_SA_SA_EESE_SU_SF_SG_SH_EUlSU_E0_NS1_11comp_targetILNS1_3genE2ELNS1_11target_archE906ELNS1_3gpuE6ELNS1_3repE0EEENS1_38merge_mergepath_config_static_selectorELNS0_4arch9wavefront6targetE0EEEvSG_
		.amdhsa_group_segment_fixed_size 0
		.amdhsa_private_segment_fixed_size 0
		.amdhsa_kernarg_size 64
		.amdhsa_user_sgpr_count 2
		.amdhsa_user_sgpr_dispatch_ptr 0
		.amdhsa_user_sgpr_queue_ptr 0
		.amdhsa_user_sgpr_kernarg_segment_ptr 1
		.amdhsa_user_sgpr_dispatch_id 0
		.amdhsa_user_sgpr_kernarg_preload_length 0
		.amdhsa_user_sgpr_kernarg_preload_offset 0
		.amdhsa_user_sgpr_private_segment_size 0
		.amdhsa_wavefront_size32 1
		.amdhsa_uses_dynamic_stack 0
		.amdhsa_enable_private_segment 0
		.amdhsa_system_sgpr_workgroup_id_x 1
		.amdhsa_system_sgpr_workgroup_id_y 0
		.amdhsa_system_sgpr_workgroup_id_z 0
		.amdhsa_system_sgpr_workgroup_info 0
		.amdhsa_system_vgpr_workitem_id 0
		.amdhsa_next_free_vgpr 1
		.amdhsa_next_free_sgpr 1
		.amdhsa_named_barrier_count 0
		.amdhsa_reserve_vcc 0
		.amdhsa_float_round_mode_32 0
		.amdhsa_float_round_mode_16_64 0
		.amdhsa_float_denorm_mode_32 3
		.amdhsa_float_denorm_mode_16_64 3
		.amdhsa_fp16_overflow 0
		.amdhsa_memory_ordered 1
		.amdhsa_forward_progress 1
		.amdhsa_inst_pref_size 0
		.amdhsa_round_robin_scheduling 0
		.amdhsa_exception_fp_ieee_invalid_op 0
		.amdhsa_exception_fp_denorm_src 0
		.amdhsa_exception_fp_ieee_div_zero 0
		.amdhsa_exception_fp_ieee_overflow 0
		.amdhsa_exception_fp_ieee_underflow 0
		.amdhsa_exception_fp_ieee_inexact 0
		.amdhsa_exception_int_div_zero 0
	.end_amdhsa_kernel
	.section	.text._ZN7rocprim17ROCPRIM_400000_NS6detail17trampoline_kernelINS0_14default_configENS1_38merge_sort_block_merge_config_selectorI12hip_bfloat16NS0_10empty_typeEEEZZNS1_27merge_sort_block_merge_implIS3_PS5_PS6_jNS1_19radix_merge_compareILb1ELb0ES5_NS0_19identity_decomposerEEEEE10hipError_tT0_T1_T2_jT3_P12ihipStream_tbPNSt15iterator_traitsISF_E10value_typeEPNSL_ISG_E10value_typeEPSH_NS1_7vsmem_tEENKUlT_SF_SG_SH_E_clIS9_S9_SA_SA_EESE_SU_SF_SG_SH_EUlSU_E0_NS1_11comp_targetILNS1_3genE2ELNS1_11target_archE906ELNS1_3gpuE6ELNS1_3repE0EEENS1_38merge_mergepath_config_static_selectorELNS0_4arch9wavefront6targetE0EEEvSG_,"axG",@progbits,_ZN7rocprim17ROCPRIM_400000_NS6detail17trampoline_kernelINS0_14default_configENS1_38merge_sort_block_merge_config_selectorI12hip_bfloat16NS0_10empty_typeEEEZZNS1_27merge_sort_block_merge_implIS3_PS5_PS6_jNS1_19radix_merge_compareILb1ELb0ES5_NS0_19identity_decomposerEEEEE10hipError_tT0_T1_T2_jT3_P12ihipStream_tbPNSt15iterator_traitsISF_E10value_typeEPNSL_ISG_E10value_typeEPSH_NS1_7vsmem_tEENKUlT_SF_SG_SH_E_clIS9_S9_SA_SA_EESE_SU_SF_SG_SH_EUlSU_E0_NS1_11comp_targetILNS1_3genE2ELNS1_11target_archE906ELNS1_3gpuE6ELNS1_3repE0EEENS1_38merge_mergepath_config_static_selectorELNS0_4arch9wavefront6targetE0EEEvSG_,comdat
.Lfunc_end1919:
	.size	_ZN7rocprim17ROCPRIM_400000_NS6detail17trampoline_kernelINS0_14default_configENS1_38merge_sort_block_merge_config_selectorI12hip_bfloat16NS0_10empty_typeEEEZZNS1_27merge_sort_block_merge_implIS3_PS5_PS6_jNS1_19radix_merge_compareILb1ELb0ES5_NS0_19identity_decomposerEEEEE10hipError_tT0_T1_T2_jT3_P12ihipStream_tbPNSt15iterator_traitsISF_E10value_typeEPNSL_ISG_E10value_typeEPSH_NS1_7vsmem_tEENKUlT_SF_SG_SH_E_clIS9_S9_SA_SA_EESE_SU_SF_SG_SH_EUlSU_E0_NS1_11comp_targetILNS1_3genE2ELNS1_11target_archE906ELNS1_3gpuE6ELNS1_3repE0EEENS1_38merge_mergepath_config_static_selectorELNS0_4arch9wavefront6targetE0EEEvSG_, .Lfunc_end1919-_ZN7rocprim17ROCPRIM_400000_NS6detail17trampoline_kernelINS0_14default_configENS1_38merge_sort_block_merge_config_selectorI12hip_bfloat16NS0_10empty_typeEEEZZNS1_27merge_sort_block_merge_implIS3_PS5_PS6_jNS1_19radix_merge_compareILb1ELb0ES5_NS0_19identity_decomposerEEEEE10hipError_tT0_T1_T2_jT3_P12ihipStream_tbPNSt15iterator_traitsISF_E10value_typeEPNSL_ISG_E10value_typeEPSH_NS1_7vsmem_tEENKUlT_SF_SG_SH_E_clIS9_S9_SA_SA_EESE_SU_SF_SG_SH_EUlSU_E0_NS1_11comp_targetILNS1_3genE2ELNS1_11target_archE906ELNS1_3gpuE6ELNS1_3repE0EEENS1_38merge_mergepath_config_static_selectorELNS0_4arch9wavefront6targetE0EEEvSG_
                                        ; -- End function
	.set _ZN7rocprim17ROCPRIM_400000_NS6detail17trampoline_kernelINS0_14default_configENS1_38merge_sort_block_merge_config_selectorI12hip_bfloat16NS0_10empty_typeEEEZZNS1_27merge_sort_block_merge_implIS3_PS5_PS6_jNS1_19radix_merge_compareILb1ELb0ES5_NS0_19identity_decomposerEEEEE10hipError_tT0_T1_T2_jT3_P12ihipStream_tbPNSt15iterator_traitsISF_E10value_typeEPNSL_ISG_E10value_typeEPSH_NS1_7vsmem_tEENKUlT_SF_SG_SH_E_clIS9_S9_SA_SA_EESE_SU_SF_SG_SH_EUlSU_E0_NS1_11comp_targetILNS1_3genE2ELNS1_11target_archE906ELNS1_3gpuE6ELNS1_3repE0EEENS1_38merge_mergepath_config_static_selectorELNS0_4arch9wavefront6targetE0EEEvSG_.num_vgpr, 0
	.set _ZN7rocprim17ROCPRIM_400000_NS6detail17trampoline_kernelINS0_14default_configENS1_38merge_sort_block_merge_config_selectorI12hip_bfloat16NS0_10empty_typeEEEZZNS1_27merge_sort_block_merge_implIS3_PS5_PS6_jNS1_19radix_merge_compareILb1ELb0ES5_NS0_19identity_decomposerEEEEE10hipError_tT0_T1_T2_jT3_P12ihipStream_tbPNSt15iterator_traitsISF_E10value_typeEPNSL_ISG_E10value_typeEPSH_NS1_7vsmem_tEENKUlT_SF_SG_SH_E_clIS9_S9_SA_SA_EESE_SU_SF_SG_SH_EUlSU_E0_NS1_11comp_targetILNS1_3genE2ELNS1_11target_archE906ELNS1_3gpuE6ELNS1_3repE0EEENS1_38merge_mergepath_config_static_selectorELNS0_4arch9wavefront6targetE0EEEvSG_.num_agpr, 0
	.set _ZN7rocprim17ROCPRIM_400000_NS6detail17trampoline_kernelINS0_14default_configENS1_38merge_sort_block_merge_config_selectorI12hip_bfloat16NS0_10empty_typeEEEZZNS1_27merge_sort_block_merge_implIS3_PS5_PS6_jNS1_19radix_merge_compareILb1ELb0ES5_NS0_19identity_decomposerEEEEE10hipError_tT0_T1_T2_jT3_P12ihipStream_tbPNSt15iterator_traitsISF_E10value_typeEPNSL_ISG_E10value_typeEPSH_NS1_7vsmem_tEENKUlT_SF_SG_SH_E_clIS9_S9_SA_SA_EESE_SU_SF_SG_SH_EUlSU_E0_NS1_11comp_targetILNS1_3genE2ELNS1_11target_archE906ELNS1_3gpuE6ELNS1_3repE0EEENS1_38merge_mergepath_config_static_selectorELNS0_4arch9wavefront6targetE0EEEvSG_.numbered_sgpr, 0
	.set _ZN7rocprim17ROCPRIM_400000_NS6detail17trampoline_kernelINS0_14default_configENS1_38merge_sort_block_merge_config_selectorI12hip_bfloat16NS0_10empty_typeEEEZZNS1_27merge_sort_block_merge_implIS3_PS5_PS6_jNS1_19radix_merge_compareILb1ELb0ES5_NS0_19identity_decomposerEEEEE10hipError_tT0_T1_T2_jT3_P12ihipStream_tbPNSt15iterator_traitsISF_E10value_typeEPNSL_ISG_E10value_typeEPSH_NS1_7vsmem_tEENKUlT_SF_SG_SH_E_clIS9_S9_SA_SA_EESE_SU_SF_SG_SH_EUlSU_E0_NS1_11comp_targetILNS1_3genE2ELNS1_11target_archE906ELNS1_3gpuE6ELNS1_3repE0EEENS1_38merge_mergepath_config_static_selectorELNS0_4arch9wavefront6targetE0EEEvSG_.num_named_barrier, 0
	.set _ZN7rocprim17ROCPRIM_400000_NS6detail17trampoline_kernelINS0_14default_configENS1_38merge_sort_block_merge_config_selectorI12hip_bfloat16NS0_10empty_typeEEEZZNS1_27merge_sort_block_merge_implIS3_PS5_PS6_jNS1_19radix_merge_compareILb1ELb0ES5_NS0_19identity_decomposerEEEEE10hipError_tT0_T1_T2_jT3_P12ihipStream_tbPNSt15iterator_traitsISF_E10value_typeEPNSL_ISG_E10value_typeEPSH_NS1_7vsmem_tEENKUlT_SF_SG_SH_E_clIS9_S9_SA_SA_EESE_SU_SF_SG_SH_EUlSU_E0_NS1_11comp_targetILNS1_3genE2ELNS1_11target_archE906ELNS1_3gpuE6ELNS1_3repE0EEENS1_38merge_mergepath_config_static_selectorELNS0_4arch9wavefront6targetE0EEEvSG_.private_seg_size, 0
	.set _ZN7rocprim17ROCPRIM_400000_NS6detail17trampoline_kernelINS0_14default_configENS1_38merge_sort_block_merge_config_selectorI12hip_bfloat16NS0_10empty_typeEEEZZNS1_27merge_sort_block_merge_implIS3_PS5_PS6_jNS1_19radix_merge_compareILb1ELb0ES5_NS0_19identity_decomposerEEEEE10hipError_tT0_T1_T2_jT3_P12ihipStream_tbPNSt15iterator_traitsISF_E10value_typeEPNSL_ISG_E10value_typeEPSH_NS1_7vsmem_tEENKUlT_SF_SG_SH_E_clIS9_S9_SA_SA_EESE_SU_SF_SG_SH_EUlSU_E0_NS1_11comp_targetILNS1_3genE2ELNS1_11target_archE906ELNS1_3gpuE6ELNS1_3repE0EEENS1_38merge_mergepath_config_static_selectorELNS0_4arch9wavefront6targetE0EEEvSG_.uses_vcc, 0
	.set _ZN7rocprim17ROCPRIM_400000_NS6detail17trampoline_kernelINS0_14default_configENS1_38merge_sort_block_merge_config_selectorI12hip_bfloat16NS0_10empty_typeEEEZZNS1_27merge_sort_block_merge_implIS3_PS5_PS6_jNS1_19radix_merge_compareILb1ELb0ES5_NS0_19identity_decomposerEEEEE10hipError_tT0_T1_T2_jT3_P12ihipStream_tbPNSt15iterator_traitsISF_E10value_typeEPNSL_ISG_E10value_typeEPSH_NS1_7vsmem_tEENKUlT_SF_SG_SH_E_clIS9_S9_SA_SA_EESE_SU_SF_SG_SH_EUlSU_E0_NS1_11comp_targetILNS1_3genE2ELNS1_11target_archE906ELNS1_3gpuE6ELNS1_3repE0EEENS1_38merge_mergepath_config_static_selectorELNS0_4arch9wavefront6targetE0EEEvSG_.uses_flat_scratch, 0
	.set _ZN7rocprim17ROCPRIM_400000_NS6detail17trampoline_kernelINS0_14default_configENS1_38merge_sort_block_merge_config_selectorI12hip_bfloat16NS0_10empty_typeEEEZZNS1_27merge_sort_block_merge_implIS3_PS5_PS6_jNS1_19radix_merge_compareILb1ELb0ES5_NS0_19identity_decomposerEEEEE10hipError_tT0_T1_T2_jT3_P12ihipStream_tbPNSt15iterator_traitsISF_E10value_typeEPNSL_ISG_E10value_typeEPSH_NS1_7vsmem_tEENKUlT_SF_SG_SH_E_clIS9_S9_SA_SA_EESE_SU_SF_SG_SH_EUlSU_E0_NS1_11comp_targetILNS1_3genE2ELNS1_11target_archE906ELNS1_3gpuE6ELNS1_3repE0EEENS1_38merge_mergepath_config_static_selectorELNS0_4arch9wavefront6targetE0EEEvSG_.has_dyn_sized_stack, 0
	.set _ZN7rocprim17ROCPRIM_400000_NS6detail17trampoline_kernelINS0_14default_configENS1_38merge_sort_block_merge_config_selectorI12hip_bfloat16NS0_10empty_typeEEEZZNS1_27merge_sort_block_merge_implIS3_PS5_PS6_jNS1_19radix_merge_compareILb1ELb0ES5_NS0_19identity_decomposerEEEEE10hipError_tT0_T1_T2_jT3_P12ihipStream_tbPNSt15iterator_traitsISF_E10value_typeEPNSL_ISG_E10value_typeEPSH_NS1_7vsmem_tEENKUlT_SF_SG_SH_E_clIS9_S9_SA_SA_EESE_SU_SF_SG_SH_EUlSU_E0_NS1_11comp_targetILNS1_3genE2ELNS1_11target_archE906ELNS1_3gpuE6ELNS1_3repE0EEENS1_38merge_mergepath_config_static_selectorELNS0_4arch9wavefront6targetE0EEEvSG_.has_recursion, 0
	.set _ZN7rocprim17ROCPRIM_400000_NS6detail17trampoline_kernelINS0_14default_configENS1_38merge_sort_block_merge_config_selectorI12hip_bfloat16NS0_10empty_typeEEEZZNS1_27merge_sort_block_merge_implIS3_PS5_PS6_jNS1_19radix_merge_compareILb1ELb0ES5_NS0_19identity_decomposerEEEEE10hipError_tT0_T1_T2_jT3_P12ihipStream_tbPNSt15iterator_traitsISF_E10value_typeEPNSL_ISG_E10value_typeEPSH_NS1_7vsmem_tEENKUlT_SF_SG_SH_E_clIS9_S9_SA_SA_EESE_SU_SF_SG_SH_EUlSU_E0_NS1_11comp_targetILNS1_3genE2ELNS1_11target_archE906ELNS1_3gpuE6ELNS1_3repE0EEENS1_38merge_mergepath_config_static_selectorELNS0_4arch9wavefront6targetE0EEEvSG_.has_indirect_call, 0
	.section	.AMDGPU.csdata,"",@progbits
; Kernel info:
; codeLenInByte = 0
; TotalNumSgprs: 0
; NumVgprs: 0
; ScratchSize: 0
; MemoryBound: 0
; FloatMode: 240
; IeeeMode: 1
; LDSByteSize: 0 bytes/workgroup (compile time only)
; SGPRBlocks: 0
; VGPRBlocks: 0
; NumSGPRsForWavesPerEU: 1
; NumVGPRsForWavesPerEU: 1
; NamedBarCnt: 0
; Occupancy: 16
; WaveLimiterHint : 0
; COMPUTE_PGM_RSRC2:SCRATCH_EN: 0
; COMPUTE_PGM_RSRC2:USER_SGPR: 2
; COMPUTE_PGM_RSRC2:TRAP_HANDLER: 0
; COMPUTE_PGM_RSRC2:TGID_X_EN: 1
; COMPUTE_PGM_RSRC2:TGID_Y_EN: 0
; COMPUTE_PGM_RSRC2:TGID_Z_EN: 0
; COMPUTE_PGM_RSRC2:TIDIG_COMP_CNT: 0
	.section	.text._ZN7rocprim17ROCPRIM_400000_NS6detail17trampoline_kernelINS0_14default_configENS1_38merge_sort_block_merge_config_selectorI12hip_bfloat16NS0_10empty_typeEEEZZNS1_27merge_sort_block_merge_implIS3_PS5_PS6_jNS1_19radix_merge_compareILb1ELb0ES5_NS0_19identity_decomposerEEEEE10hipError_tT0_T1_T2_jT3_P12ihipStream_tbPNSt15iterator_traitsISF_E10value_typeEPNSL_ISG_E10value_typeEPSH_NS1_7vsmem_tEENKUlT_SF_SG_SH_E_clIS9_S9_SA_SA_EESE_SU_SF_SG_SH_EUlSU_E0_NS1_11comp_targetILNS1_3genE9ELNS1_11target_archE1100ELNS1_3gpuE3ELNS1_3repE0EEENS1_38merge_mergepath_config_static_selectorELNS0_4arch9wavefront6targetE0EEEvSG_,"axG",@progbits,_ZN7rocprim17ROCPRIM_400000_NS6detail17trampoline_kernelINS0_14default_configENS1_38merge_sort_block_merge_config_selectorI12hip_bfloat16NS0_10empty_typeEEEZZNS1_27merge_sort_block_merge_implIS3_PS5_PS6_jNS1_19radix_merge_compareILb1ELb0ES5_NS0_19identity_decomposerEEEEE10hipError_tT0_T1_T2_jT3_P12ihipStream_tbPNSt15iterator_traitsISF_E10value_typeEPNSL_ISG_E10value_typeEPSH_NS1_7vsmem_tEENKUlT_SF_SG_SH_E_clIS9_S9_SA_SA_EESE_SU_SF_SG_SH_EUlSU_E0_NS1_11comp_targetILNS1_3genE9ELNS1_11target_archE1100ELNS1_3gpuE3ELNS1_3repE0EEENS1_38merge_mergepath_config_static_selectorELNS0_4arch9wavefront6targetE0EEEvSG_,comdat
	.protected	_ZN7rocprim17ROCPRIM_400000_NS6detail17trampoline_kernelINS0_14default_configENS1_38merge_sort_block_merge_config_selectorI12hip_bfloat16NS0_10empty_typeEEEZZNS1_27merge_sort_block_merge_implIS3_PS5_PS6_jNS1_19radix_merge_compareILb1ELb0ES5_NS0_19identity_decomposerEEEEE10hipError_tT0_T1_T2_jT3_P12ihipStream_tbPNSt15iterator_traitsISF_E10value_typeEPNSL_ISG_E10value_typeEPSH_NS1_7vsmem_tEENKUlT_SF_SG_SH_E_clIS9_S9_SA_SA_EESE_SU_SF_SG_SH_EUlSU_E0_NS1_11comp_targetILNS1_3genE9ELNS1_11target_archE1100ELNS1_3gpuE3ELNS1_3repE0EEENS1_38merge_mergepath_config_static_selectorELNS0_4arch9wavefront6targetE0EEEvSG_ ; -- Begin function _ZN7rocprim17ROCPRIM_400000_NS6detail17trampoline_kernelINS0_14default_configENS1_38merge_sort_block_merge_config_selectorI12hip_bfloat16NS0_10empty_typeEEEZZNS1_27merge_sort_block_merge_implIS3_PS5_PS6_jNS1_19radix_merge_compareILb1ELb0ES5_NS0_19identity_decomposerEEEEE10hipError_tT0_T1_T2_jT3_P12ihipStream_tbPNSt15iterator_traitsISF_E10value_typeEPNSL_ISG_E10value_typeEPSH_NS1_7vsmem_tEENKUlT_SF_SG_SH_E_clIS9_S9_SA_SA_EESE_SU_SF_SG_SH_EUlSU_E0_NS1_11comp_targetILNS1_3genE9ELNS1_11target_archE1100ELNS1_3gpuE3ELNS1_3repE0EEENS1_38merge_mergepath_config_static_selectorELNS0_4arch9wavefront6targetE0EEEvSG_
	.globl	_ZN7rocprim17ROCPRIM_400000_NS6detail17trampoline_kernelINS0_14default_configENS1_38merge_sort_block_merge_config_selectorI12hip_bfloat16NS0_10empty_typeEEEZZNS1_27merge_sort_block_merge_implIS3_PS5_PS6_jNS1_19radix_merge_compareILb1ELb0ES5_NS0_19identity_decomposerEEEEE10hipError_tT0_T1_T2_jT3_P12ihipStream_tbPNSt15iterator_traitsISF_E10value_typeEPNSL_ISG_E10value_typeEPSH_NS1_7vsmem_tEENKUlT_SF_SG_SH_E_clIS9_S9_SA_SA_EESE_SU_SF_SG_SH_EUlSU_E0_NS1_11comp_targetILNS1_3genE9ELNS1_11target_archE1100ELNS1_3gpuE3ELNS1_3repE0EEENS1_38merge_mergepath_config_static_selectorELNS0_4arch9wavefront6targetE0EEEvSG_
	.p2align	8
	.type	_ZN7rocprim17ROCPRIM_400000_NS6detail17trampoline_kernelINS0_14default_configENS1_38merge_sort_block_merge_config_selectorI12hip_bfloat16NS0_10empty_typeEEEZZNS1_27merge_sort_block_merge_implIS3_PS5_PS6_jNS1_19radix_merge_compareILb1ELb0ES5_NS0_19identity_decomposerEEEEE10hipError_tT0_T1_T2_jT3_P12ihipStream_tbPNSt15iterator_traitsISF_E10value_typeEPNSL_ISG_E10value_typeEPSH_NS1_7vsmem_tEENKUlT_SF_SG_SH_E_clIS9_S9_SA_SA_EESE_SU_SF_SG_SH_EUlSU_E0_NS1_11comp_targetILNS1_3genE9ELNS1_11target_archE1100ELNS1_3gpuE3ELNS1_3repE0EEENS1_38merge_mergepath_config_static_selectorELNS0_4arch9wavefront6targetE0EEEvSG_,@function
_ZN7rocprim17ROCPRIM_400000_NS6detail17trampoline_kernelINS0_14default_configENS1_38merge_sort_block_merge_config_selectorI12hip_bfloat16NS0_10empty_typeEEEZZNS1_27merge_sort_block_merge_implIS3_PS5_PS6_jNS1_19radix_merge_compareILb1ELb0ES5_NS0_19identity_decomposerEEEEE10hipError_tT0_T1_T2_jT3_P12ihipStream_tbPNSt15iterator_traitsISF_E10value_typeEPNSL_ISG_E10value_typeEPSH_NS1_7vsmem_tEENKUlT_SF_SG_SH_E_clIS9_S9_SA_SA_EESE_SU_SF_SG_SH_EUlSU_E0_NS1_11comp_targetILNS1_3genE9ELNS1_11target_archE1100ELNS1_3gpuE3ELNS1_3repE0EEENS1_38merge_mergepath_config_static_selectorELNS0_4arch9wavefront6targetE0EEEvSG_: ; @_ZN7rocprim17ROCPRIM_400000_NS6detail17trampoline_kernelINS0_14default_configENS1_38merge_sort_block_merge_config_selectorI12hip_bfloat16NS0_10empty_typeEEEZZNS1_27merge_sort_block_merge_implIS3_PS5_PS6_jNS1_19radix_merge_compareILb1ELb0ES5_NS0_19identity_decomposerEEEEE10hipError_tT0_T1_T2_jT3_P12ihipStream_tbPNSt15iterator_traitsISF_E10value_typeEPNSL_ISG_E10value_typeEPSH_NS1_7vsmem_tEENKUlT_SF_SG_SH_E_clIS9_S9_SA_SA_EESE_SU_SF_SG_SH_EUlSU_E0_NS1_11comp_targetILNS1_3genE9ELNS1_11target_archE1100ELNS1_3gpuE3ELNS1_3repE0EEENS1_38merge_mergepath_config_static_selectorELNS0_4arch9wavefront6targetE0EEEvSG_
; %bb.0:
	.section	.rodata,"a",@progbits
	.p2align	6, 0x0
	.amdhsa_kernel _ZN7rocprim17ROCPRIM_400000_NS6detail17trampoline_kernelINS0_14default_configENS1_38merge_sort_block_merge_config_selectorI12hip_bfloat16NS0_10empty_typeEEEZZNS1_27merge_sort_block_merge_implIS3_PS5_PS6_jNS1_19radix_merge_compareILb1ELb0ES5_NS0_19identity_decomposerEEEEE10hipError_tT0_T1_T2_jT3_P12ihipStream_tbPNSt15iterator_traitsISF_E10value_typeEPNSL_ISG_E10value_typeEPSH_NS1_7vsmem_tEENKUlT_SF_SG_SH_E_clIS9_S9_SA_SA_EESE_SU_SF_SG_SH_EUlSU_E0_NS1_11comp_targetILNS1_3genE9ELNS1_11target_archE1100ELNS1_3gpuE3ELNS1_3repE0EEENS1_38merge_mergepath_config_static_selectorELNS0_4arch9wavefront6targetE0EEEvSG_
		.amdhsa_group_segment_fixed_size 0
		.amdhsa_private_segment_fixed_size 0
		.amdhsa_kernarg_size 64
		.amdhsa_user_sgpr_count 2
		.amdhsa_user_sgpr_dispatch_ptr 0
		.amdhsa_user_sgpr_queue_ptr 0
		.amdhsa_user_sgpr_kernarg_segment_ptr 1
		.amdhsa_user_sgpr_dispatch_id 0
		.amdhsa_user_sgpr_kernarg_preload_length 0
		.amdhsa_user_sgpr_kernarg_preload_offset 0
		.amdhsa_user_sgpr_private_segment_size 0
		.amdhsa_wavefront_size32 1
		.amdhsa_uses_dynamic_stack 0
		.amdhsa_enable_private_segment 0
		.amdhsa_system_sgpr_workgroup_id_x 1
		.amdhsa_system_sgpr_workgroup_id_y 0
		.amdhsa_system_sgpr_workgroup_id_z 0
		.amdhsa_system_sgpr_workgroup_info 0
		.amdhsa_system_vgpr_workitem_id 0
		.amdhsa_next_free_vgpr 1
		.amdhsa_next_free_sgpr 1
		.amdhsa_named_barrier_count 0
		.amdhsa_reserve_vcc 0
		.amdhsa_float_round_mode_32 0
		.amdhsa_float_round_mode_16_64 0
		.amdhsa_float_denorm_mode_32 3
		.amdhsa_float_denorm_mode_16_64 3
		.amdhsa_fp16_overflow 0
		.amdhsa_memory_ordered 1
		.amdhsa_forward_progress 1
		.amdhsa_inst_pref_size 0
		.amdhsa_round_robin_scheduling 0
		.amdhsa_exception_fp_ieee_invalid_op 0
		.amdhsa_exception_fp_denorm_src 0
		.amdhsa_exception_fp_ieee_div_zero 0
		.amdhsa_exception_fp_ieee_overflow 0
		.amdhsa_exception_fp_ieee_underflow 0
		.amdhsa_exception_fp_ieee_inexact 0
		.amdhsa_exception_int_div_zero 0
	.end_amdhsa_kernel
	.section	.text._ZN7rocprim17ROCPRIM_400000_NS6detail17trampoline_kernelINS0_14default_configENS1_38merge_sort_block_merge_config_selectorI12hip_bfloat16NS0_10empty_typeEEEZZNS1_27merge_sort_block_merge_implIS3_PS5_PS6_jNS1_19radix_merge_compareILb1ELb0ES5_NS0_19identity_decomposerEEEEE10hipError_tT0_T1_T2_jT3_P12ihipStream_tbPNSt15iterator_traitsISF_E10value_typeEPNSL_ISG_E10value_typeEPSH_NS1_7vsmem_tEENKUlT_SF_SG_SH_E_clIS9_S9_SA_SA_EESE_SU_SF_SG_SH_EUlSU_E0_NS1_11comp_targetILNS1_3genE9ELNS1_11target_archE1100ELNS1_3gpuE3ELNS1_3repE0EEENS1_38merge_mergepath_config_static_selectorELNS0_4arch9wavefront6targetE0EEEvSG_,"axG",@progbits,_ZN7rocprim17ROCPRIM_400000_NS6detail17trampoline_kernelINS0_14default_configENS1_38merge_sort_block_merge_config_selectorI12hip_bfloat16NS0_10empty_typeEEEZZNS1_27merge_sort_block_merge_implIS3_PS5_PS6_jNS1_19radix_merge_compareILb1ELb0ES5_NS0_19identity_decomposerEEEEE10hipError_tT0_T1_T2_jT3_P12ihipStream_tbPNSt15iterator_traitsISF_E10value_typeEPNSL_ISG_E10value_typeEPSH_NS1_7vsmem_tEENKUlT_SF_SG_SH_E_clIS9_S9_SA_SA_EESE_SU_SF_SG_SH_EUlSU_E0_NS1_11comp_targetILNS1_3genE9ELNS1_11target_archE1100ELNS1_3gpuE3ELNS1_3repE0EEENS1_38merge_mergepath_config_static_selectorELNS0_4arch9wavefront6targetE0EEEvSG_,comdat
.Lfunc_end1920:
	.size	_ZN7rocprim17ROCPRIM_400000_NS6detail17trampoline_kernelINS0_14default_configENS1_38merge_sort_block_merge_config_selectorI12hip_bfloat16NS0_10empty_typeEEEZZNS1_27merge_sort_block_merge_implIS3_PS5_PS6_jNS1_19radix_merge_compareILb1ELb0ES5_NS0_19identity_decomposerEEEEE10hipError_tT0_T1_T2_jT3_P12ihipStream_tbPNSt15iterator_traitsISF_E10value_typeEPNSL_ISG_E10value_typeEPSH_NS1_7vsmem_tEENKUlT_SF_SG_SH_E_clIS9_S9_SA_SA_EESE_SU_SF_SG_SH_EUlSU_E0_NS1_11comp_targetILNS1_3genE9ELNS1_11target_archE1100ELNS1_3gpuE3ELNS1_3repE0EEENS1_38merge_mergepath_config_static_selectorELNS0_4arch9wavefront6targetE0EEEvSG_, .Lfunc_end1920-_ZN7rocprim17ROCPRIM_400000_NS6detail17trampoline_kernelINS0_14default_configENS1_38merge_sort_block_merge_config_selectorI12hip_bfloat16NS0_10empty_typeEEEZZNS1_27merge_sort_block_merge_implIS3_PS5_PS6_jNS1_19radix_merge_compareILb1ELb0ES5_NS0_19identity_decomposerEEEEE10hipError_tT0_T1_T2_jT3_P12ihipStream_tbPNSt15iterator_traitsISF_E10value_typeEPNSL_ISG_E10value_typeEPSH_NS1_7vsmem_tEENKUlT_SF_SG_SH_E_clIS9_S9_SA_SA_EESE_SU_SF_SG_SH_EUlSU_E0_NS1_11comp_targetILNS1_3genE9ELNS1_11target_archE1100ELNS1_3gpuE3ELNS1_3repE0EEENS1_38merge_mergepath_config_static_selectorELNS0_4arch9wavefront6targetE0EEEvSG_
                                        ; -- End function
	.set _ZN7rocprim17ROCPRIM_400000_NS6detail17trampoline_kernelINS0_14default_configENS1_38merge_sort_block_merge_config_selectorI12hip_bfloat16NS0_10empty_typeEEEZZNS1_27merge_sort_block_merge_implIS3_PS5_PS6_jNS1_19radix_merge_compareILb1ELb0ES5_NS0_19identity_decomposerEEEEE10hipError_tT0_T1_T2_jT3_P12ihipStream_tbPNSt15iterator_traitsISF_E10value_typeEPNSL_ISG_E10value_typeEPSH_NS1_7vsmem_tEENKUlT_SF_SG_SH_E_clIS9_S9_SA_SA_EESE_SU_SF_SG_SH_EUlSU_E0_NS1_11comp_targetILNS1_3genE9ELNS1_11target_archE1100ELNS1_3gpuE3ELNS1_3repE0EEENS1_38merge_mergepath_config_static_selectorELNS0_4arch9wavefront6targetE0EEEvSG_.num_vgpr, 0
	.set _ZN7rocprim17ROCPRIM_400000_NS6detail17trampoline_kernelINS0_14default_configENS1_38merge_sort_block_merge_config_selectorI12hip_bfloat16NS0_10empty_typeEEEZZNS1_27merge_sort_block_merge_implIS3_PS5_PS6_jNS1_19radix_merge_compareILb1ELb0ES5_NS0_19identity_decomposerEEEEE10hipError_tT0_T1_T2_jT3_P12ihipStream_tbPNSt15iterator_traitsISF_E10value_typeEPNSL_ISG_E10value_typeEPSH_NS1_7vsmem_tEENKUlT_SF_SG_SH_E_clIS9_S9_SA_SA_EESE_SU_SF_SG_SH_EUlSU_E0_NS1_11comp_targetILNS1_3genE9ELNS1_11target_archE1100ELNS1_3gpuE3ELNS1_3repE0EEENS1_38merge_mergepath_config_static_selectorELNS0_4arch9wavefront6targetE0EEEvSG_.num_agpr, 0
	.set _ZN7rocprim17ROCPRIM_400000_NS6detail17trampoline_kernelINS0_14default_configENS1_38merge_sort_block_merge_config_selectorI12hip_bfloat16NS0_10empty_typeEEEZZNS1_27merge_sort_block_merge_implIS3_PS5_PS6_jNS1_19radix_merge_compareILb1ELb0ES5_NS0_19identity_decomposerEEEEE10hipError_tT0_T1_T2_jT3_P12ihipStream_tbPNSt15iterator_traitsISF_E10value_typeEPNSL_ISG_E10value_typeEPSH_NS1_7vsmem_tEENKUlT_SF_SG_SH_E_clIS9_S9_SA_SA_EESE_SU_SF_SG_SH_EUlSU_E0_NS1_11comp_targetILNS1_3genE9ELNS1_11target_archE1100ELNS1_3gpuE3ELNS1_3repE0EEENS1_38merge_mergepath_config_static_selectorELNS0_4arch9wavefront6targetE0EEEvSG_.numbered_sgpr, 0
	.set _ZN7rocprim17ROCPRIM_400000_NS6detail17trampoline_kernelINS0_14default_configENS1_38merge_sort_block_merge_config_selectorI12hip_bfloat16NS0_10empty_typeEEEZZNS1_27merge_sort_block_merge_implIS3_PS5_PS6_jNS1_19radix_merge_compareILb1ELb0ES5_NS0_19identity_decomposerEEEEE10hipError_tT0_T1_T2_jT3_P12ihipStream_tbPNSt15iterator_traitsISF_E10value_typeEPNSL_ISG_E10value_typeEPSH_NS1_7vsmem_tEENKUlT_SF_SG_SH_E_clIS9_S9_SA_SA_EESE_SU_SF_SG_SH_EUlSU_E0_NS1_11comp_targetILNS1_3genE9ELNS1_11target_archE1100ELNS1_3gpuE3ELNS1_3repE0EEENS1_38merge_mergepath_config_static_selectorELNS0_4arch9wavefront6targetE0EEEvSG_.num_named_barrier, 0
	.set _ZN7rocprim17ROCPRIM_400000_NS6detail17trampoline_kernelINS0_14default_configENS1_38merge_sort_block_merge_config_selectorI12hip_bfloat16NS0_10empty_typeEEEZZNS1_27merge_sort_block_merge_implIS3_PS5_PS6_jNS1_19radix_merge_compareILb1ELb0ES5_NS0_19identity_decomposerEEEEE10hipError_tT0_T1_T2_jT3_P12ihipStream_tbPNSt15iterator_traitsISF_E10value_typeEPNSL_ISG_E10value_typeEPSH_NS1_7vsmem_tEENKUlT_SF_SG_SH_E_clIS9_S9_SA_SA_EESE_SU_SF_SG_SH_EUlSU_E0_NS1_11comp_targetILNS1_3genE9ELNS1_11target_archE1100ELNS1_3gpuE3ELNS1_3repE0EEENS1_38merge_mergepath_config_static_selectorELNS0_4arch9wavefront6targetE0EEEvSG_.private_seg_size, 0
	.set _ZN7rocprim17ROCPRIM_400000_NS6detail17trampoline_kernelINS0_14default_configENS1_38merge_sort_block_merge_config_selectorI12hip_bfloat16NS0_10empty_typeEEEZZNS1_27merge_sort_block_merge_implIS3_PS5_PS6_jNS1_19radix_merge_compareILb1ELb0ES5_NS0_19identity_decomposerEEEEE10hipError_tT0_T1_T2_jT3_P12ihipStream_tbPNSt15iterator_traitsISF_E10value_typeEPNSL_ISG_E10value_typeEPSH_NS1_7vsmem_tEENKUlT_SF_SG_SH_E_clIS9_S9_SA_SA_EESE_SU_SF_SG_SH_EUlSU_E0_NS1_11comp_targetILNS1_3genE9ELNS1_11target_archE1100ELNS1_3gpuE3ELNS1_3repE0EEENS1_38merge_mergepath_config_static_selectorELNS0_4arch9wavefront6targetE0EEEvSG_.uses_vcc, 0
	.set _ZN7rocprim17ROCPRIM_400000_NS6detail17trampoline_kernelINS0_14default_configENS1_38merge_sort_block_merge_config_selectorI12hip_bfloat16NS0_10empty_typeEEEZZNS1_27merge_sort_block_merge_implIS3_PS5_PS6_jNS1_19radix_merge_compareILb1ELb0ES5_NS0_19identity_decomposerEEEEE10hipError_tT0_T1_T2_jT3_P12ihipStream_tbPNSt15iterator_traitsISF_E10value_typeEPNSL_ISG_E10value_typeEPSH_NS1_7vsmem_tEENKUlT_SF_SG_SH_E_clIS9_S9_SA_SA_EESE_SU_SF_SG_SH_EUlSU_E0_NS1_11comp_targetILNS1_3genE9ELNS1_11target_archE1100ELNS1_3gpuE3ELNS1_3repE0EEENS1_38merge_mergepath_config_static_selectorELNS0_4arch9wavefront6targetE0EEEvSG_.uses_flat_scratch, 0
	.set _ZN7rocprim17ROCPRIM_400000_NS6detail17trampoline_kernelINS0_14default_configENS1_38merge_sort_block_merge_config_selectorI12hip_bfloat16NS0_10empty_typeEEEZZNS1_27merge_sort_block_merge_implIS3_PS5_PS6_jNS1_19radix_merge_compareILb1ELb0ES5_NS0_19identity_decomposerEEEEE10hipError_tT0_T1_T2_jT3_P12ihipStream_tbPNSt15iterator_traitsISF_E10value_typeEPNSL_ISG_E10value_typeEPSH_NS1_7vsmem_tEENKUlT_SF_SG_SH_E_clIS9_S9_SA_SA_EESE_SU_SF_SG_SH_EUlSU_E0_NS1_11comp_targetILNS1_3genE9ELNS1_11target_archE1100ELNS1_3gpuE3ELNS1_3repE0EEENS1_38merge_mergepath_config_static_selectorELNS0_4arch9wavefront6targetE0EEEvSG_.has_dyn_sized_stack, 0
	.set _ZN7rocprim17ROCPRIM_400000_NS6detail17trampoline_kernelINS0_14default_configENS1_38merge_sort_block_merge_config_selectorI12hip_bfloat16NS0_10empty_typeEEEZZNS1_27merge_sort_block_merge_implIS3_PS5_PS6_jNS1_19radix_merge_compareILb1ELb0ES5_NS0_19identity_decomposerEEEEE10hipError_tT0_T1_T2_jT3_P12ihipStream_tbPNSt15iterator_traitsISF_E10value_typeEPNSL_ISG_E10value_typeEPSH_NS1_7vsmem_tEENKUlT_SF_SG_SH_E_clIS9_S9_SA_SA_EESE_SU_SF_SG_SH_EUlSU_E0_NS1_11comp_targetILNS1_3genE9ELNS1_11target_archE1100ELNS1_3gpuE3ELNS1_3repE0EEENS1_38merge_mergepath_config_static_selectorELNS0_4arch9wavefront6targetE0EEEvSG_.has_recursion, 0
	.set _ZN7rocprim17ROCPRIM_400000_NS6detail17trampoline_kernelINS0_14default_configENS1_38merge_sort_block_merge_config_selectorI12hip_bfloat16NS0_10empty_typeEEEZZNS1_27merge_sort_block_merge_implIS3_PS5_PS6_jNS1_19radix_merge_compareILb1ELb0ES5_NS0_19identity_decomposerEEEEE10hipError_tT0_T1_T2_jT3_P12ihipStream_tbPNSt15iterator_traitsISF_E10value_typeEPNSL_ISG_E10value_typeEPSH_NS1_7vsmem_tEENKUlT_SF_SG_SH_E_clIS9_S9_SA_SA_EESE_SU_SF_SG_SH_EUlSU_E0_NS1_11comp_targetILNS1_3genE9ELNS1_11target_archE1100ELNS1_3gpuE3ELNS1_3repE0EEENS1_38merge_mergepath_config_static_selectorELNS0_4arch9wavefront6targetE0EEEvSG_.has_indirect_call, 0
	.section	.AMDGPU.csdata,"",@progbits
; Kernel info:
; codeLenInByte = 0
; TotalNumSgprs: 0
; NumVgprs: 0
; ScratchSize: 0
; MemoryBound: 0
; FloatMode: 240
; IeeeMode: 1
; LDSByteSize: 0 bytes/workgroup (compile time only)
; SGPRBlocks: 0
; VGPRBlocks: 0
; NumSGPRsForWavesPerEU: 1
; NumVGPRsForWavesPerEU: 1
; NamedBarCnt: 0
; Occupancy: 16
; WaveLimiterHint : 0
; COMPUTE_PGM_RSRC2:SCRATCH_EN: 0
; COMPUTE_PGM_RSRC2:USER_SGPR: 2
; COMPUTE_PGM_RSRC2:TRAP_HANDLER: 0
; COMPUTE_PGM_RSRC2:TGID_X_EN: 1
; COMPUTE_PGM_RSRC2:TGID_Y_EN: 0
; COMPUTE_PGM_RSRC2:TGID_Z_EN: 0
; COMPUTE_PGM_RSRC2:TIDIG_COMP_CNT: 0
	.section	.text._ZN7rocprim17ROCPRIM_400000_NS6detail17trampoline_kernelINS0_14default_configENS1_38merge_sort_block_merge_config_selectorI12hip_bfloat16NS0_10empty_typeEEEZZNS1_27merge_sort_block_merge_implIS3_PS5_PS6_jNS1_19radix_merge_compareILb1ELb0ES5_NS0_19identity_decomposerEEEEE10hipError_tT0_T1_T2_jT3_P12ihipStream_tbPNSt15iterator_traitsISF_E10value_typeEPNSL_ISG_E10value_typeEPSH_NS1_7vsmem_tEENKUlT_SF_SG_SH_E_clIS9_S9_SA_SA_EESE_SU_SF_SG_SH_EUlSU_E0_NS1_11comp_targetILNS1_3genE8ELNS1_11target_archE1030ELNS1_3gpuE2ELNS1_3repE0EEENS1_38merge_mergepath_config_static_selectorELNS0_4arch9wavefront6targetE0EEEvSG_,"axG",@progbits,_ZN7rocprim17ROCPRIM_400000_NS6detail17trampoline_kernelINS0_14default_configENS1_38merge_sort_block_merge_config_selectorI12hip_bfloat16NS0_10empty_typeEEEZZNS1_27merge_sort_block_merge_implIS3_PS5_PS6_jNS1_19radix_merge_compareILb1ELb0ES5_NS0_19identity_decomposerEEEEE10hipError_tT0_T1_T2_jT3_P12ihipStream_tbPNSt15iterator_traitsISF_E10value_typeEPNSL_ISG_E10value_typeEPSH_NS1_7vsmem_tEENKUlT_SF_SG_SH_E_clIS9_S9_SA_SA_EESE_SU_SF_SG_SH_EUlSU_E0_NS1_11comp_targetILNS1_3genE8ELNS1_11target_archE1030ELNS1_3gpuE2ELNS1_3repE0EEENS1_38merge_mergepath_config_static_selectorELNS0_4arch9wavefront6targetE0EEEvSG_,comdat
	.protected	_ZN7rocprim17ROCPRIM_400000_NS6detail17trampoline_kernelINS0_14default_configENS1_38merge_sort_block_merge_config_selectorI12hip_bfloat16NS0_10empty_typeEEEZZNS1_27merge_sort_block_merge_implIS3_PS5_PS6_jNS1_19radix_merge_compareILb1ELb0ES5_NS0_19identity_decomposerEEEEE10hipError_tT0_T1_T2_jT3_P12ihipStream_tbPNSt15iterator_traitsISF_E10value_typeEPNSL_ISG_E10value_typeEPSH_NS1_7vsmem_tEENKUlT_SF_SG_SH_E_clIS9_S9_SA_SA_EESE_SU_SF_SG_SH_EUlSU_E0_NS1_11comp_targetILNS1_3genE8ELNS1_11target_archE1030ELNS1_3gpuE2ELNS1_3repE0EEENS1_38merge_mergepath_config_static_selectorELNS0_4arch9wavefront6targetE0EEEvSG_ ; -- Begin function _ZN7rocprim17ROCPRIM_400000_NS6detail17trampoline_kernelINS0_14default_configENS1_38merge_sort_block_merge_config_selectorI12hip_bfloat16NS0_10empty_typeEEEZZNS1_27merge_sort_block_merge_implIS3_PS5_PS6_jNS1_19radix_merge_compareILb1ELb0ES5_NS0_19identity_decomposerEEEEE10hipError_tT0_T1_T2_jT3_P12ihipStream_tbPNSt15iterator_traitsISF_E10value_typeEPNSL_ISG_E10value_typeEPSH_NS1_7vsmem_tEENKUlT_SF_SG_SH_E_clIS9_S9_SA_SA_EESE_SU_SF_SG_SH_EUlSU_E0_NS1_11comp_targetILNS1_3genE8ELNS1_11target_archE1030ELNS1_3gpuE2ELNS1_3repE0EEENS1_38merge_mergepath_config_static_selectorELNS0_4arch9wavefront6targetE0EEEvSG_
	.globl	_ZN7rocprim17ROCPRIM_400000_NS6detail17trampoline_kernelINS0_14default_configENS1_38merge_sort_block_merge_config_selectorI12hip_bfloat16NS0_10empty_typeEEEZZNS1_27merge_sort_block_merge_implIS3_PS5_PS6_jNS1_19radix_merge_compareILb1ELb0ES5_NS0_19identity_decomposerEEEEE10hipError_tT0_T1_T2_jT3_P12ihipStream_tbPNSt15iterator_traitsISF_E10value_typeEPNSL_ISG_E10value_typeEPSH_NS1_7vsmem_tEENKUlT_SF_SG_SH_E_clIS9_S9_SA_SA_EESE_SU_SF_SG_SH_EUlSU_E0_NS1_11comp_targetILNS1_3genE8ELNS1_11target_archE1030ELNS1_3gpuE2ELNS1_3repE0EEENS1_38merge_mergepath_config_static_selectorELNS0_4arch9wavefront6targetE0EEEvSG_
	.p2align	8
	.type	_ZN7rocprim17ROCPRIM_400000_NS6detail17trampoline_kernelINS0_14default_configENS1_38merge_sort_block_merge_config_selectorI12hip_bfloat16NS0_10empty_typeEEEZZNS1_27merge_sort_block_merge_implIS3_PS5_PS6_jNS1_19radix_merge_compareILb1ELb0ES5_NS0_19identity_decomposerEEEEE10hipError_tT0_T1_T2_jT3_P12ihipStream_tbPNSt15iterator_traitsISF_E10value_typeEPNSL_ISG_E10value_typeEPSH_NS1_7vsmem_tEENKUlT_SF_SG_SH_E_clIS9_S9_SA_SA_EESE_SU_SF_SG_SH_EUlSU_E0_NS1_11comp_targetILNS1_3genE8ELNS1_11target_archE1030ELNS1_3gpuE2ELNS1_3repE0EEENS1_38merge_mergepath_config_static_selectorELNS0_4arch9wavefront6targetE0EEEvSG_,@function
_ZN7rocprim17ROCPRIM_400000_NS6detail17trampoline_kernelINS0_14default_configENS1_38merge_sort_block_merge_config_selectorI12hip_bfloat16NS0_10empty_typeEEEZZNS1_27merge_sort_block_merge_implIS3_PS5_PS6_jNS1_19radix_merge_compareILb1ELb0ES5_NS0_19identity_decomposerEEEEE10hipError_tT0_T1_T2_jT3_P12ihipStream_tbPNSt15iterator_traitsISF_E10value_typeEPNSL_ISG_E10value_typeEPSH_NS1_7vsmem_tEENKUlT_SF_SG_SH_E_clIS9_S9_SA_SA_EESE_SU_SF_SG_SH_EUlSU_E0_NS1_11comp_targetILNS1_3genE8ELNS1_11target_archE1030ELNS1_3gpuE2ELNS1_3repE0EEENS1_38merge_mergepath_config_static_selectorELNS0_4arch9wavefront6targetE0EEEvSG_: ; @_ZN7rocprim17ROCPRIM_400000_NS6detail17trampoline_kernelINS0_14default_configENS1_38merge_sort_block_merge_config_selectorI12hip_bfloat16NS0_10empty_typeEEEZZNS1_27merge_sort_block_merge_implIS3_PS5_PS6_jNS1_19radix_merge_compareILb1ELb0ES5_NS0_19identity_decomposerEEEEE10hipError_tT0_T1_T2_jT3_P12ihipStream_tbPNSt15iterator_traitsISF_E10value_typeEPNSL_ISG_E10value_typeEPSH_NS1_7vsmem_tEENKUlT_SF_SG_SH_E_clIS9_S9_SA_SA_EESE_SU_SF_SG_SH_EUlSU_E0_NS1_11comp_targetILNS1_3genE8ELNS1_11target_archE1030ELNS1_3gpuE2ELNS1_3repE0EEENS1_38merge_mergepath_config_static_selectorELNS0_4arch9wavefront6targetE0EEEvSG_
; %bb.0:
	.section	.rodata,"a",@progbits
	.p2align	6, 0x0
	.amdhsa_kernel _ZN7rocprim17ROCPRIM_400000_NS6detail17trampoline_kernelINS0_14default_configENS1_38merge_sort_block_merge_config_selectorI12hip_bfloat16NS0_10empty_typeEEEZZNS1_27merge_sort_block_merge_implIS3_PS5_PS6_jNS1_19radix_merge_compareILb1ELb0ES5_NS0_19identity_decomposerEEEEE10hipError_tT0_T1_T2_jT3_P12ihipStream_tbPNSt15iterator_traitsISF_E10value_typeEPNSL_ISG_E10value_typeEPSH_NS1_7vsmem_tEENKUlT_SF_SG_SH_E_clIS9_S9_SA_SA_EESE_SU_SF_SG_SH_EUlSU_E0_NS1_11comp_targetILNS1_3genE8ELNS1_11target_archE1030ELNS1_3gpuE2ELNS1_3repE0EEENS1_38merge_mergepath_config_static_selectorELNS0_4arch9wavefront6targetE0EEEvSG_
		.amdhsa_group_segment_fixed_size 0
		.amdhsa_private_segment_fixed_size 0
		.amdhsa_kernarg_size 64
		.amdhsa_user_sgpr_count 2
		.amdhsa_user_sgpr_dispatch_ptr 0
		.amdhsa_user_sgpr_queue_ptr 0
		.amdhsa_user_sgpr_kernarg_segment_ptr 1
		.amdhsa_user_sgpr_dispatch_id 0
		.amdhsa_user_sgpr_kernarg_preload_length 0
		.amdhsa_user_sgpr_kernarg_preload_offset 0
		.amdhsa_user_sgpr_private_segment_size 0
		.amdhsa_wavefront_size32 1
		.amdhsa_uses_dynamic_stack 0
		.amdhsa_enable_private_segment 0
		.amdhsa_system_sgpr_workgroup_id_x 1
		.amdhsa_system_sgpr_workgroup_id_y 0
		.amdhsa_system_sgpr_workgroup_id_z 0
		.amdhsa_system_sgpr_workgroup_info 0
		.amdhsa_system_vgpr_workitem_id 0
		.amdhsa_next_free_vgpr 1
		.amdhsa_next_free_sgpr 1
		.amdhsa_named_barrier_count 0
		.amdhsa_reserve_vcc 0
		.amdhsa_float_round_mode_32 0
		.amdhsa_float_round_mode_16_64 0
		.amdhsa_float_denorm_mode_32 3
		.amdhsa_float_denorm_mode_16_64 3
		.amdhsa_fp16_overflow 0
		.amdhsa_memory_ordered 1
		.amdhsa_forward_progress 1
		.amdhsa_inst_pref_size 0
		.amdhsa_round_robin_scheduling 0
		.amdhsa_exception_fp_ieee_invalid_op 0
		.amdhsa_exception_fp_denorm_src 0
		.amdhsa_exception_fp_ieee_div_zero 0
		.amdhsa_exception_fp_ieee_overflow 0
		.amdhsa_exception_fp_ieee_underflow 0
		.amdhsa_exception_fp_ieee_inexact 0
		.amdhsa_exception_int_div_zero 0
	.end_amdhsa_kernel
	.section	.text._ZN7rocprim17ROCPRIM_400000_NS6detail17trampoline_kernelINS0_14default_configENS1_38merge_sort_block_merge_config_selectorI12hip_bfloat16NS0_10empty_typeEEEZZNS1_27merge_sort_block_merge_implIS3_PS5_PS6_jNS1_19radix_merge_compareILb1ELb0ES5_NS0_19identity_decomposerEEEEE10hipError_tT0_T1_T2_jT3_P12ihipStream_tbPNSt15iterator_traitsISF_E10value_typeEPNSL_ISG_E10value_typeEPSH_NS1_7vsmem_tEENKUlT_SF_SG_SH_E_clIS9_S9_SA_SA_EESE_SU_SF_SG_SH_EUlSU_E0_NS1_11comp_targetILNS1_3genE8ELNS1_11target_archE1030ELNS1_3gpuE2ELNS1_3repE0EEENS1_38merge_mergepath_config_static_selectorELNS0_4arch9wavefront6targetE0EEEvSG_,"axG",@progbits,_ZN7rocprim17ROCPRIM_400000_NS6detail17trampoline_kernelINS0_14default_configENS1_38merge_sort_block_merge_config_selectorI12hip_bfloat16NS0_10empty_typeEEEZZNS1_27merge_sort_block_merge_implIS3_PS5_PS6_jNS1_19radix_merge_compareILb1ELb0ES5_NS0_19identity_decomposerEEEEE10hipError_tT0_T1_T2_jT3_P12ihipStream_tbPNSt15iterator_traitsISF_E10value_typeEPNSL_ISG_E10value_typeEPSH_NS1_7vsmem_tEENKUlT_SF_SG_SH_E_clIS9_S9_SA_SA_EESE_SU_SF_SG_SH_EUlSU_E0_NS1_11comp_targetILNS1_3genE8ELNS1_11target_archE1030ELNS1_3gpuE2ELNS1_3repE0EEENS1_38merge_mergepath_config_static_selectorELNS0_4arch9wavefront6targetE0EEEvSG_,comdat
.Lfunc_end1921:
	.size	_ZN7rocprim17ROCPRIM_400000_NS6detail17trampoline_kernelINS0_14default_configENS1_38merge_sort_block_merge_config_selectorI12hip_bfloat16NS0_10empty_typeEEEZZNS1_27merge_sort_block_merge_implIS3_PS5_PS6_jNS1_19radix_merge_compareILb1ELb0ES5_NS0_19identity_decomposerEEEEE10hipError_tT0_T1_T2_jT3_P12ihipStream_tbPNSt15iterator_traitsISF_E10value_typeEPNSL_ISG_E10value_typeEPSH_NS1_7vsmem_tEENKUlT_SF_SG_SH_E_clIS9_S9_SA_SA_EESE_SU_SF_SG_SH_EUlSU_E0_NS1_11comp_targetILNS1_3genE8ELNS1_11target_archE1030ELNS1_3gpuE2ELNS1_3repE0EEENS1_38merge_mergepath_config_static_selectorELNS0_4arch9wavefront6targetE0EEEvSG_, .Lfunc_end1921-_ZN7rocprim17ROCPRIM_400000_NS6detail17trampoline_kernelINS0_14default_configENS1_38merge_sort_block_merge_config_selectorI12hip_bfloat16NS0_10empty_typeEEEZZNS1_27merge_sort_block_merge_implIS3_PS5_PS6_jNS1_19radix_merge_compareILb1ELb0ES5_NS0_19identity_decomposerEEEEE10hipError_tT0_T1_T2_jT3_P12ihipStream_tbPNSt15iterator_traitsISF_E10value_typeEPNSL_ISG_E10value_typeEPSH_NS1_7vsmem_tEENKUlT_SF_SG_SH_E_clIS9_S9_SA_SA_EESE_SU_SF_SG_SH_EUlSU_E0_NS1_11comp_targetILNS1_3genE8ELNS1_11target_archE1030ELNS1_3gpuE2ELNS1_3repE0EEENS1_38merge_mergepath_config_static_selectorELNS0_4arch9wavefront6targetE0EEEvSG_
                                        ; -- End function
	.set _ZN7rocprim17ROCPRIM_400000_NS6detail17trampoline_kernelINS0_14default_configENS1_38merge_sort_block_merge_config_selectorI12hip_bfloat16NS0_10empty_typeEEEZZNS1_27merge_sort_block_merge_implIS3_PS5_PS6_jNS1_19radix_merge_compareILb1ELb0ES5_NS0_19identity_decomposerEEEEE10hipError_tT0_T1_T2_jT3_P12ihipStream_tbPNSt15iterator_traitsISF_E10value_typeEPNSL_ISG_E10value_typeEPSH_NS1_7vsmem_tEENKUlT_SF_SG_SH_E_clIS9_S9_SA_SA_EESE_SU_SF_SG_SH_EUlSU_E0_NS1_11comp_targetILNS1_3genE8ELNS1_11target_archE1030ELNS1_3gpuE2ELNS1_3repE0EEENS1_38merge_mergepath_config_static_selectorELNS0_4arch9wavefront6targetE0EEEvSG_.num_vgpr, 0
	.set _ZN7rocprim17ROCPRIM_400000_NS6detail17trampoline_kernelINS0_14default_configENS1_38merge_sort_block_merge_config_selectorI12hip_bfloat16NS0_10empty_typeEEEZZNS1_27merge_sort_block_merge_implIS3_PS5_PS6_jNS1_19radix_merge_compareILb1ELb0ES5_NS0_19identity_decomposerEEEEE10hipError_tT0_T1_T2_jT3_P12ihipStream_tbPNSt15iterator_traitsISF_E10value_typeEPNSL_ISG_E10value_typeEPSH_NS1_7vsmem_tEENKUlT_SF_SG_SH_E_clIS9_S9_SA_SA_EESE_SU_SF_SG_SH_EUlSU_E0_NS1_11comp_targetILNS1_3genE8ELNS1_11target_archE1030ELNS1_3gpuE2ELNS1_3repE0EEENS1_38merge_mergepath_config_static_selectorELNS0_4arch9wavefront6targetE0EEEvSG_.num_agpr, 0
	.set _ZN7rocprim17ROCPRIM_400000_NS6detail17trampoline_kernelINS0_14default_configENS1_38merge_sort_block_merge_config_selectorI12hip_bfloat16NS0_10empty_typeEEEZZNS1_27merge_sort_block_merge_implIS3_PS5_PS6_jNS1_19radix_merge_compareILb1ELb0ES5_NS0_19identity_decomposerEEEEE10hipError_tT0_T1_T2_jT3_P12ihipStream_tbPNSt15iterator_traitsISF_E10value_typeEPNSL_ISG_E10value_typeEPSH_NS1_7vsmem_tEENKUlT_SF_SG_SH_E_clIS9_S9_SA_SA_EESE_SU_SF_SG_SH_EUlSU_E0_NS1_11comp_targetILNS1_3genE8ELNS1_11target_archE1030ELNS1_3gpuE2ELNS1_3repE0EEENS1_38merge_mergepath_config_static_selectorELNS0_4arch9wavefront6targetE0EEEvSG_.numbered_sgpr, 0
	.set _ZN7rocprim17ROCPRIM_400000_NS6detail17trampoline_kernelINS0_14default_configENS1_38merge_sort_block_merge_config_selectorI12hip_bfloat16NS0_10empty_typeEEEZZNS1_27merge_sort_block_merge_implIS3_PS5_PS6_jNS1_19radix_merge_compareILb1ELb0ES5_NS0_19identity_decomposerEEEEE10hipError_tT0_T1_T2_jT3_P12ihipStream_tbPNSt15iterator_traitsISF_E10value_typeEPNSL_ISG_E10value_typeEPSH_NS1_7vsmem_tEENKUlT_SF_SG_SH_E_clIS9_S9_SA_SA_EESE_SU_SF_SG_SH_EUlSU_E0_NS1_11comp_targetILNS1_3genE8ELNS1_11target_archE1030ELNS1_3gpuE2ELNS1_3repE0EEENS1_38merge_mergepath_config_static_selectorELNS0_4arch9wavefront6targetE0EEEvSG_.num_named_barrier, 0
	.set _ZN7rocprim17ROCPRIM_400000_NS6detail17trampoline_kernelINS0_14default_configENS1_38merge_sort_block_merge_config_selectorI12hip_bfloat16NS0_10empty_typeEEEZZNS1_27merge_sort_block_merge_implIS3_PS5_PS6_jNS1_19radix_merge_compareILb1ELb0ES5_NS0_19identity_decomposerEEEEE10hipError_tT0_T1_T2_jT3_P12ihipStream_tbPNSt15iterator_traitsISF_E10value_typeEPNSL_ISG_E10value_typeEPSH_NS1_7vsmem_tEENKUlT_SF_SG_SH_E_clIS9_S9_SA_SA_EESE_SU_SF_SG_SH_EUlSU_E0_NS1_11comp_targetILNS1_3genE8ELNS1_11target_archE1030ELNS1_3gpuE2ELNS1_3repE0EEENS1_38merge_mergepath_config_static_selectorELNS0_4arch9wavefront6targetE0EEEvSG_.private_seg_size, 0
	.set _ZN7rocprim17ROCPRIM_400000_NS6detail17trampoline_kernelINS0_14default_configENS1_38merge_sort_block_merge_config_selectorI12hip_bfloat16NS0_10empty_typeEEEZZNS1_27merge_sort_block_merge_implIS3_PS5_PS6_jNS1_19radix_merge_compareILb1ELb0ES5_NS0_19identity_decomposerEEEEE10hipError_tT0_T1_T2_jT3_P12ihipStream_tbPNSt15iterator_traitsISF_E10value_typeEPNSL_ISG_E10value_typeEPSH_NS1_7vsmem_tEENKUlT_SF_SG_SH_E_clIS9_S9_SA_SA_EESE_SU_SF_SG_SH_EUlSU_E0_NS1_11comp_targetILNS1_3genE8ELNS1_11target_archE1030ELNS1_3gpuE2ELNS1_3repE0EEENS1_38merge_mergepath_config_static_selectorELNS0_4arch9wavefront6targetE0EEEvSG_.uses_vcc, 0
	.set _ZN7rocprim17ROCPRIM_400000_NS6detail17trampoline_kernelINS0_14default_configENS1_38merge_sort_block_merge_config_selectorI12hip_bfloat16NS0_10empty_typeEEEZZNS1_27merge_sort_block_merge_implIS3_PS5_PS6_jNS1_19radix_merge_compareILb1ELb0ES5_NS0_19identity_decomposerEEEEE10hipError_tT0_T1_T2_jT3_P12ihipStream_tbPNSt15iterator_traitsISF_E10value_typeEPNSL_ISG_E10value_typeEPSH_NS1_7vsmem_tEENKUlT_SF_SG_SH_E_clIS9_S9_SA_SA_EESE_SU_SF_SG_SH_EUlSU_E0_NS1_11comp_targetILNS1_3genE8ELNS1_11target_archE1030ELNS1_3gpuE2ELNS1_3repE0EEENS1_38merge_mergepath_config_static_selectorELNS0_4arch9wavefront6targetE0EEEvSG_.uses_flat_scratch, 0
	.set _ZN7rocprim17ROCPRIM_400000_NS6detail17trampoline_kernelINS0_14default_configENS1_38merge_sort_block_merge_config_selectorI12hip_bfloat16NS0_10empty_typeEEEZZNS1_27merge_sort_block_merge_implIS3_PS5_PS6_jNS1_19radix_merge_compareILb1ELb0ES5_NS0_19identity_decomposerEEEEE10hipError_tT0_T1_T2_jT3_P12ihipStream_tbPNSt15iterator_traitsISF_E10value_typeEPNSL_ISG_E10value_typeEPSH_NS1_7vsmem_tEENKUlT_SF_SG_SH_E_clIS9_S9_SA_SA_EESE_SU_SF_SG_SH_EUlSU_E0_NS1_11comp_targetILNS1_3genE8ELNS1_11target_archE1030ELNS1_3gpuE2ELNS1_3repE0EEENS1_38merge_mergepath_config_static_selectorELNS0_4arch9wavefront6targetE0EEEvSG_.has_dyn_sized_stack, 0
	.set _ZN7rocprim17ROCPRIM_400000_NS6detail17trampoline_kernelINS0_14default_configENS1_38merge_sort_block_merge_config_selectorI12hip_bfloat16NS0_10empty_typeEEEZZNS1_27merge_sort_block_merge_implIS3_PS5_PS6_jNS1_19radix_merge_compareILb1ELb0ES5_NS0_19identity_decomposerEEEEE10hipError_tT0_T1_T2_jT3_P12ihipStream_tbPNSt15iterator_traitsISF_E10value_typeEPNSL_ISG_E10value_typeEPSH_NS1_7vsmem_tEENKUlT_SF_SG_SH_E_clIS9_S9_SA_SA_EESE_SU_SF_SG_SH_EUlSU_E0_NS1_11comp_targetILNS1_3genE8ELNS1_11target_archE1030ELNS1_3gpuE2ELNS1_3repE0EEENS1_38merge_mergepath_config_static_selectorELNS0_4arch9wavefront6targetE0EEEvSG_.has_recursion, 0
	.set _ZN7rocprim17ROCPRIM_400000_NS6detail17trampoline_kernelINS0_14default_configENS1_38merge_sort_block_merge_config_selectorI12hip_bfloat16NS0_10empty_typeEEEZZNS1_27merge_sort_block_merge_implIS3_PS5_PS6_jNS1_19radix_merge_compareILb1ELb0ES5_NS0_19identity_decomposerEEEEE10hipError_tT0_T1_T2_jT3_P12ihipStream_tbPNSt15iterator_traitsISF_E10value_typeEPNSL_ISG_E10value_typeEPSH_NS1_7vsmem_tEENKUlT_SF_SG_SH_E_clIS9_S9_SA_SA_EESE_SU_SF_SG_SH_EUlSU_E0_NS1_11comp_targetILNS1_3genE8ELNS1_11target_archE1030ELNS1_3gpuE2ELNS1_3repE0EEENS1_38merge_mergepath_config_static_selectorELNS0_4arch9wavefront6targetE0EEEvSG_.has_indirect_call, 0
	.section	.AMDGPU.csdata,"",@progbits
; Kernel info:
; codeLenInByte = 0
; TotalNumSgprs: 0
; NumVgprs: 0
; ScratchSize: 0
; MemoryBound: 0
; FloatMode: 240
; IeeeMode: 1
; LDSByteSize: 0 bytes/workgroup (compile time only)
; SGPRBlocks: 0
; VGPRBlocks: 0
; NumSGPRsForWavesPerEU: 1
; NumVGPRsForWavesPerEU: 1
; NamedBarCnt: 0
; Occupancy: 16
; WaveLimiterHint : 0
; COMPUTE_PGM_RSRC2:SCRATCH_EN: 0
; COMPUTE_PGM_RSRC2:USER_SGPR: 2
; COMPUTE_PGM_RSRC2:TRAP_HANDLER: 0
; COMPUTE_PGM_RSRC2:TGID_X_EN: 1
; COMPUTE_PGM_RSRC2:TGID_Y_EN: 0
; COMPUTE_PGM_RSRC2:TGID_Z_EN: 0
; COMPUTE_PGM_RSRC2:TIDIG_COMP_CNT: 0
	.section	.text._ZN7rocprim17ROCPRIM_400000_NS6detail17trampoline_kernelINS0_14default_configENS1_38merge_sort_block_merge_config_selectorI12hip_bfloat16NS0_10empty_typeEEEZZNS1_27merge_sort_block_merge_implIS3_PS5_PS6_jNS1_19radix_merge_compareILb1ELb0ES5_NS0_19identity_decomposerEEEEE10hipError_tT0_T1_T2_jT3_P12ihipStream_tbPNSt15iterator_traitsISF_E10value_typeEPNSL_ISG_E10value_typeEPSH_NS1_7vsmem_tEENKUlT_SF_SG_SH_E_clIS9_S9_SA_SA_EESE_SU_SF_SG_SH_EUlSU_E1_NS1_11comp_targetILNS1_3genE0ELNS1_11target_archE4294967295ELNS1_3gpuE0ELNS1_3repE0EEENS1_36merge_oddeven_config_static_selectorELNS0_4arch9wavefront6targetE0EEEvSG_,"axG",@progbits,_ZN7rocprim17ROCPRIM_400000_NS6detail17trampoline_kernelINS0_14default_configENS1_38merge_sort_block_merge_config_selectorI12hip_bfloat16NS0_10empty_typeEEEZZNS1_27merge_sort_block_merge_implIS3_PS5_PS6_jNS1_19radix_merge_compareILb1ELb0ES5_NS0_19identity_decomposerEEEEE10hipError_tT0_T1_T2_jT3_P12ihipStream_tbPNSt15iterator_traitsISF_E10value_typeEPNSL_ISG_E10value_typeEPSH_NS1_7vsmem_tEENKUlT_SF_SG_SH_E_clIS9_S9_SA_SA_EESE_SU_SF_SG_SH_EUlSU_E1_NS1_11comp_targetILNS1_3genE0ELNS1_11target_archE4294967295ELNS1_3gpuE0ELNS1_3repE0EEENS1_36merge_oddeven_config_static_selectorELNS0_4arch9wavefront6targetE0EEEvSG_,comdat
	.protected	_ZN7rocprim17ROCPRIM_400000_NS6detail17trampoline_kernelINS0_14default_configENS1_38merge_sort_block_merge_config_selectorI12hip_bfloat16NS0_10empty_typeEEEZZNS1_27merge_sort_block_merge_implIS3_PS5_PS6_jNS1_19radix_merge_compareILb1ELb0ES5_NS0_19identity_decomposerEEEEE10hipError_tT0_T1_T2_jT3_P12ihipStream_tbPNSt15iterator_traitsISF_E10value_typeEPNSL_ISG_E10value_typeEPSH_NS1_7vsmem_tEENKUlT_SF_SG_SH_E_clIS9_S9_SA_SA_EESE_SU_SF_SG_SH_EUlSU_E1_NS1_11comp_targetILNS1_3genE0ELNS1_11target_archE4294967295ELNS1_3gpuE0ELNS1_3repE0EEENS1_36merge_oddeven_config_static_selectorELNS0_4arch9wavefront6targetE0EEEvSG_ ; -- Begin function _ZN7rocprim17ROCPRIM_400000_NS6detail17trampoline_kernelINS0_14default_configENS1_38merge_sort_block_merge_config_selectorI12hip_bfloat16NS0_10empty_typeEEEZZNS1_27merge_sort_block_merge_implIS3_PS5_PS6_jNS1_19radix_merge_compareILb1ELb0ES5_NS0_19identity_decomposerEEEEE10hipError_tT0_T1_T2_jT3_P12ihipStream_tbPNSt15iterator_traitsISF_E10value_typeEPNSL_ISG_E10value_typeEPSH_NS1_7vsmem_tEENKUlT_SF_SG_SH_E_clIS9_S9_SA_SA_EESE_SU_SF_SG_SH_EUlSU_E1_NS1_11comp_targetILNS1_3genE0ELNS1_11target_archE4294967295ELNS1_3gpuE0ELNS1_3repE0EEENS1_36merge_oddeven_config_static_selectorELNS0_4arch9wavefront6targetE0EEEvSG_
	.globl	_ZN7rocprim17ROCPRIM_400000_NS6detail17trampoline_kernelINS0_14default_configENS1_38merge_sort_block_merge_config_selectorI12hip_bfloat16NS0_10empty_typeEEEZZNS1_27merge_sort_block_merge_implIS3_PS5_PS6_jNS1_19radix_merge_compareILb1ELb0ES5_NS0_19identity_decomposerEEEEE10hipError_tT0_T1_T2_jT3_P12ihipStream_tbPNSt15iterator_traitsISF_E10value_typeEPNSL_ISG_E10value_typeEPSH_NS1_7vsmem_tEENKUlT_SF_SG_SH_E_clIS9_S9_SA_SA_EESE_SU_SF_SG_SH_EUlSU_E1_NS1_11comp_targetILNS1_3genE0ELNS1_11target_archE4294967295ELNS1_3gpuE0ELNS1_3repE0EEENS1_36merge_oddeven_config_static_selectorELNS0_4arch9wavefront6targetE0EEEvSG_
	.p2align	8
	.type	_ZN7rocprim17ROCPRIM_400000_NS6detail17trampoline_kernelINS0_14default_configENS1_38merge_sort_block_merge_config_selectorI12hip_bfloat16NS0_10empty_typeEEEZZNS1_27merge_sort_block_merge_implIS3_PS5_PS6_jNS1_19radix_merge_compareILb1ELb0ES5_NS0_19identity_decomposerEEEEE10hipError_tT0_T1_T2_jT3_P12ihipStream_tbPNSt15iterator_traitsISF_E10value_typeEPNSL_ISG_E10value_typeEPSH_NS1_7vsmem_tEENKUlT_SF_SG_SH_E_clIS9_S9_SA_SA_EESE_SU_SF_SG_SH_EUlSU_E1_NS1_11comp_targetILNS1_3genE0ELNS1_11target_archE4294967295ELNS1_3gpuE0ELNS1_3repE0EEENS1_36merge_oddeven_config_static_selectorELNS0_4arch9wavefront6targetE0EEEvSG_,@function
_ZN7rocprim17ROCPRIM_400000_NS6detail17trampoline_kernelINS0_14default_configENS1_38merge_sort_block_merge_config_selectorI12hip_bfloat16NS0_10empty_typeEEEZZNS1_27merge_sort_block_merge_implIS3_PS5_PS6_jNS1_19radix_merge_compareILb1ELb0ES5_NS0_19identity_decomposerEEEEE10hipError_tT0_T1_T2_jT3_P12ihipStream_tbPNSt15iterator_traitsISF_E10value_typeEPNSL_ISG_E10value_typeEPSH_NS1_7vsmem_tEENKUlT_SF_SG_SH_E_clIS9_S9_SA_SA_EESE_SU_SF_SG_SH_EUlSU_E1_NS1_11comp_targetILNS1_3genE0ELNS1_11target_archE4294967295ELNS1_3gpuE0ELNS1_3repE0EEENS1_36merge_oddeven_config_static_selectorELNS0_4arch9wavefront6targetE0EEEvSG_: ; @_ZN7rocprim17ROCPRIM_400000_NS6detail17trampoline_kernelINS0_14default_configENS1_38merge_sort_block_merge_config_selectorI12hip_bfloat16NS0_10empty_typeEEEZZNS1_27merge_sort_block_merge_implIS3_PS5_PS6_jNS1_19radix_merge_compareILb1ELb0ES5_NS0_19identity_decomposerEEEEE10hipError_tT0_T1_T2_jT3_P12ihipStream_tbPNSt15iterator_traitsISF_E10value_typeEPNSL_ISG_E10value_typeEPSH_NS1_7vsmem_tEENKUlT_SF_SG_SH_E_clIS9_S9_SA_SA_EESE_SU_SF_SG_SH_EUlSU_E1_NS1_11comp_targetILNS1_3genE0ELNS1_11target_archE4294967295ELNS1_3gpuE0ELNS1_3repE0EEENS1_36merge_oddeven_config_static_selectorELNS0_4arch9wavefront6targetE0EEEvSG_
; %bb.0:
	s_load_b32 s10, s[0:1], 0x20
	s_bfe_u32 s2, ttmp6, 0x4000c
	s_and_b32 s3, ttmp6, 15
	s_add_co_i32 s2, s2, 1
	s_getreg_b32 s4, hwreg(HW_REG_IB_STS2, 6, 4)
	s_mul_i32 s2, ttmp9, s2
	s_mov_b32 s9, 0
	s_add_co_i32 s3, s3, s2
	s_cmp_eq_u32 s4, 0
	s_cselect_b32 s3, ttmp9, s3
	s_wait_kmcnt 0x0
	s_lshr_b32 s2, s10, 8
	s_delay_alu instid0(SALU_CYCLE_1) | instskip(SKIP_4) | instid1(SALU_CYCLE_1)
	s_cmp_lg_u32 s3, s2
	s_cselect_b32 s12, -1, 0
	s_cmp_eq_u32 s3, s2
	s_cselect_b32 s11, -1, 0
	s_lshl_b32 s8, s3, 8
	s_sub_co_i32 s2, s10, s8
	s_delay_alu instid0(SALU_CYCLE_1) | instskip(SKIP_1) | instid1(SALU_CYCLE_1)
	v_cmp_gt_u32_e64 s2, s2, v0
	s_or_b32 s4, s12, s2
	s_and_saveexec_b32 s5, s4
	s_cbranch_execz .LBB1922_44
; %bb.1:
	s_load_b128 s[4:7], s[0:1], 0x0
	s_lshl_b64 s[14:15], s[8:9], 1
	s_wait_xcnt 0x0
	s_load_b32 s0, s[0:1], 0x24
	v_add_nc_u32_e32 v2, s8, v0
	s_wait_kmcnt 0x0
	s_add_nc_u64 s[14:15], s[4:5], s[14:15]
	s_lshr_b32 s1, s0, 8
	global_load_u16 v1, v0, s[14:15] scale_offset
	s_sub_co_i32 s13, 0, s1
	s_delay_alu instid0(SALU_CYCLE_1) | instskip(SKIP_2) | instid1(SALU_CYCLE_1)
	s_and_b32 s3, s3, s13
	s_wait_xcnt 0x0
	s_and_b32 s14, s3, s1
	s_cmp_lg_u32 s14, 0
	s_cselect_b32 s1, -1, 0
	s_lshl_b32 s13, s3, 8
	s_sub_co_i32 s3, 0, s0
	s_cmp_eq_u32 s14, 0
	s_cselect_b32 s3, s0, s3
	s_delay_alu instid0(SALU_CYCLE_1) | instskip(NEXT) | instid1(SALU_CYCLE_1)
	s_add_co_i32 s3, s3, s13
	s_cmp_gt_u32 s10, s3
	s_cbranch_scc1 .LBB1922_3
; %bb.2:
	v_cmp_gt_u32_e32 vcc_lo, s10, v2
	s_or_b32 s9, vcc_lo, s12
	s_delay_alu instid0(SALU_CYCLE_1)
	s_and_b32 s9, s9, exec_lo
	s_cbranch_execz .LBB1922_4
	s_branch .LBB1922_42
.LBB1922_3:
.LBB1922_4:
	s_min_u32 s8, s3, s10
	s_and_b32 vcc_lo, exec_lo, s11
	s_add_co_i32 s12, s13, s8
	s_add_co_i32 s0, s8, s0
	v_subrev_nc_u32_e32 v0, s12, v2
	s_min_u32 s12, s13, s8
	s_min_u32 s10, s0, s10
	s_delay_alu instid0(VALU_DEP_1)
	v_add_nc_u32_e32 v0, s12, v0
	s_cbranch_vccz .LBB1922_21
; %bb.5:
                                        ; implicit-def: $vgpr2
	s_and_saveexec_b32 s11, s2
	s_cbranch_execz .LBB1922_24
; %bb.6:
	v_mov_b32_e32 v2, s8
	s_cmp_ge_u32 s3, s10
	s_cbranch_scc1 .LBB1922_23
; %bb.7:
	s_wait_loadcnt 0x0
	v_lshlrev_b32_e32 v2, 16, v1
	s_mov_b32 s2, 0
	s_delay_alu instid0(VALU_DEP_1) | instskip(NEXT) | instid1(VALU_DEP_1)
	v_add_f32_e32 v2, 0, v2
	v_and_b32_e32 v4, 0xffff, v2
	v_bfe_u32 v3, v2, 16, 1
	v_or_b32_e32 v5, 0x10000, v2
	v_and_b32_e32 v6, 0x7f800000, v2
	s_delay_alu instid0(VALU_DEP_4) | instskip(NEXT) | instid1(VALU_DEP_4)
	v_cmp_eq_u32_e32 vcc_lo, 0, v4
	v_add3_u32 v3, v2, v3, 0x7fff
	s_delay_alu instid0(VALU_DEP_4) | instskip(NEXT) | instid1(VALU_DEP_4)
	v_cndmask_b32_e32 v2, v5, v2, vcc_lo
	v_cmp_eq_u32_e32 vcc_lo, 0x7f800000, v6
	s_delay_alu instid0(VALU_DEP_2) | instskip(NEXT) | instid1(VALU_DEP_1)
	v_dual_cndmask_b32 v2, v3, v2 :: v_dual_mov_b32 v3, s10
	v_cmp_lt_i32_e32 vcc_lo, -1, v2
	v_dual_lshrrev_b32 v4, 16, v2 :: v_dual_mov_b32 v2, s8
	v_cndmask_b32_e64 v5, -1, 0xffff8000, vcc_lo
	s_delay_alu instid0(VALU_DEP_1)
	v_xor_b32_e32 v4, v5, v4
	s_branch .LBB1922_10
.LBB1922_8:                             ;   in Loop: Header=BB1922_10 Depth=1
	s_or_b32 exec_lo, exec_lo, s0
	s_delay_alu instid0(VALU_DEP_1) | instskip(SKIP_2) | instid1(VALU_DEP_1)
	v_cmp_lt_i32_e32 vcc_lo, -1, v7
	v_lshrrev_b32_e32 v6, 16, v7
	v_cndmask_b32_e64 v7, -1, 0xffff8000, vcc_lo
	v_xor_b32_e32 v6, v7, v6
	s_delay_alu instid0(VALU_DEP_1)
	v_cmp_gt_u16_e64 s12, v6, v4
.LBB1922_9:                             ;   in Loop: Header=BB1922_10 Depth=1
	v_lshrrev_b32_e32 v5, 1, v5
	s_delay_alu instid0(VALU_DEP_1) | instskip(NEXT) | instid1(VALU_DEP_1)
	v_add_nc_u32_e32 v6, 1, v5
	v_dual_cndmask_b32 v2, v2, v6, s12 :: v_dual_cndmask_b32 v3, v5, v3, s12
	s_delay_alu instid0(VALU_DEP_1) | instskip(SKIP_1) | instid1(SALU_CYCLE_1)
	v_cmp_ge_u32_e32 vcc_lo, v2, v3
	s_or_b32 s2, vcc_lo, s2
	s_and_not1_b32 exec_lo, exec_lo, s2
	s_cbranch_execz .LBB1922_22
.LBB1922_10:                            ; =>This Inner Loop Header: Depth=1
	s_delay_alu instid0(VALU_DEP_3) | instskip(SKIP_2) | instid1(VALU_DEP_1)
	v_add_nc_u32_e32 v5, v2, v3
	s_and_not1_b32 vcc_lo, exec_lo, s1
	s_mov_b32 s13, -1
                                        ; implicit-def: $sgpr12
	v_and_b32_e32 v6, -2, v5
	global_load_u16 v6, v6, s[4:5]
	s_wait_loadcnt 0x0
	v_lshlrev_b32_e32 v6, 16, v6
	s_delay_alu instid0(VALU_DEP_1) | instskip(NEXT) | instid1(VALU_DEP_1)
	v_add_f32_e32 v6, 0, v6
	v_and_b32_e32 v7, 0x7f800000, v6
	s_delay_alu instid0(VALU_DEP_1)
	v_cmp_ne_u32_e64 s0, 0x7f800000, v7
	s_cbranch_vccnz .LBB1922_16
; %bb.11:                               ;   in Loop: Header=BB1922_10 Depth=1
                                        ; implicit-def: $vgpr7
	s_and_saveexec_b32 s12, s0
	s_delay_alu instid0(SALU_CYCLE_1)
	s_xor_b32 s12, exec_lo, s12
; %bb.12:                               ;   in Loop: Header=BB1922_10 Depth=1
	v_bfe_u32 v7, v6, 16, 1
	s_delay_alu instid0(VALU_DEP_1)
	v_add3_u32 v7, v6, v7, 0x7fff
; %bb.13:                               ;   in Loop: Header=BB1922_10 Depth=1
	s_and_not1_saveexec_b32 s12, s12
; %bb.14:                               ;   in Loop: Header=BB1922_10 Depth=1
	v_and_b32_e32 v7, 0xffff, v6
	v_or_b32_e32 v8, 0x10000, v6
	s_delay_alu instid0(VALU_DEP_2) | instskip(NEXT) | instid1(VALU_DEP_2)
	v_cmp_eq_u32_e32 vcc_lo, 0, v7
	v_cndmask_b32_e32 v7, v8, v6, vcc_lo
; %bb.15:                               ;   in Loop: Header=BB1922_10 Depth=1
	s_or_b32 exec_lo, exec_lo, s12
	s_delay_alu instid0(VALU_DEP_1) | instskip(SKIP_3) | instid1(VALU_DEP_1)
	v_cmp_lt_i32_e32 vcc_lo, -1, v7
	v_lshrrev_b32_e32 v8, 16, v7
	s_mov_b32 s13, 0
	v_cndmask_b32_e64 v7, -1, 0xffff8000, vcc_lo
	v_xor_b32_e32 v7, v7, v8
	s_delay_alu instid0(VALU_DEP_1)
	v_cmp_le_u16_e64 s12, v4, v7
.LBB1922_16:                            ;   in Loop: Header=BB1922_10 Depth=1
	s_and_b32 vcc_lo, exec_lo, s13
	s_cbranch_vccz .LBB1922_9
; %bb.17:                               ;   in Loop: Header=BB1922_10 Depth=1
                                        ; implicit-def: $vgpr7
	s_and_saveexec_b32 s12, s0
	s_delay_alu instid0(SALU_CYCLE_1)
	s_xor_b32 s0, exec_lo, s12
; %bb.18:                               ;   in Loop: Header=BB1922_10 Depth=1
	v_bfe_u32 v7, v6, 16, 1
	s_delay_alu instid0(VALU_DEP_1)
	v_add3_u32 v7, v6, v7, 0x7fff
                                        ; implicit-def: $vgpr6
; %bb.19:                               ;   in Loop: Header=BB1922_10 Depth=1
	s_and_not1_saveexec_b32 s0, s0
	s_cbranch_execz .LBB1922_8
; %bb.20:                               ;   in Loop: Header=BB1922_10 Depth=1
	v_and_b32_e32 v7, 0xffff, v6
	v_or_b32_e32 v8, 0x10000, v6
	s_delay_alu instid0(VALU_DEP_2) | instskip(NEXT) | instid1(VALU_DEP_2)
	v_cmp_eq_u32_e32 vcc_lo, 0, v7
	v_cndmask_b32_e32 v7, v8, v6, vcc_lo
	s_branch .LBB1922_8
.LBB1922_21:
                                        ; implicit-def: $vgpr2
	s_cbranch_execnz .LBB1922_25
	s_branch .LBB1922_42
.LBB1922_22:
	s_or_b32 exec_lo, exec_lo, s2
.LBB1922_23:
	s_delay_alu instid0(VALU_DEP_1)
	v_add_nc_u32_e32 v2, v2, v0
	s_or_b32 s9, s9, exec_lo
.LBB1922_24:
	s_or_b32 exec_lo, exec_lo, s11
	s_branch .LBB1922_42
.LBB1922_25:
	v_mov_b32_e32 v2, s8
	s_cmp_ge_u32 s3, s10
	s_cbranch_scc1 .LBB1922_41
; %bb.26:
	s_wait_loadcnt 0x0
	v_lshlrev_b32_e32 v2, 16, v1
	s_mov_b32 s2, 0
	s_delay_alu instid0(VALU_DEP_1) | instskip(NEXT) | instid1(VALU_DEP_1)
	v_add_f32_e32 v2, 0, v2
	v_and_b32_e32 v3, 0xffff, v2
	v_or_b32_e32 v4, 0x10000, v2
	v_bfe_u32 v5, v2, 16, 1
	v_and_b32_e32 v6, 0x7f800000, v2
	s_delay_alu instid0(VALU_DEP_4) | instskip(NEXT) | instid1(VALU_DEP_4)
	v_cmp_eq_u32_e32 vcc_lo, 0, v3
	v_cndmask_b32_e32 v3, v4, v2, vcc_lo
	s_delay_alu instid0(VALU_DEP_4) | instskip(NEXT) | instid1(VALU_DEP_4)
	v_add3_u32 v2, v2, v5, 0x7fff
	v_cmp_eq_u32_e32 vcc_lo, 0x7f800000, v6
	s_delay_alu instid0(VALU_DEP_2) | instskip(NEXT) | instid1(VALU_DEP_1)
	v_dual_cndmask_b32 v2, v2, v3 :: v_dual_mov_b32 v3, s10
	v_cmp_lt_i32_e32 vcc_lo, -1, v2
	v_dual_lshrrev_b32 v4, 16, v2 :: v_dual_mov_b32 v2, s8
	v_cndmask_b32_e64 v5, -1, 0xffff8000, vcc_lo
	s_delay_alu instid0(VALU_DEP_1)
	v_xor_b32_e32 v4, v5, v4
	s_branch .LBB1922_29
.LBB1922_27:                            ;   in Loop: Header=BB1922_29 Depth=1
	s_or_b32 exec_lo, exec_lo, s0
	s_delay_alu instid0(VALU_DEP_1) | instskip(SKIP_2) | instid1(VALU_DEP_1)
	v_cmp_lt_i32_e32 vcc_lo, -1, v7
	v_lshrrev_b32_e32 v6, 16, v7
	v_cndmask_b32_e64 v7, -1, 0xffff8000, vcc_lo
	v_xor_b32_e32 v6, v7, v6
	s_delay_alu instid0(VALU_DEP_1)
	v_cmp_gt_u16_e64 s3, v6, v4
.LBB1922_28:                            ;   in Loop: Header=BB1922_29 Depth=1
	v_lshrrev_b32_e32 v5, 1, v5
	s_delay_alu instid0(VALU_DEP_1) | instskip(NEXT) | instid1(VALU_DEP_1)
	v_add_nc_u32_e32 v6, 1, v5
	v_dual_cndmask_b32 v2, v2, v6, s3 :: v_dual_cndmask_b32 v3, v5, v3, s3
	s_delay_alu instid0(VALU_DEP_1) | instskip(SKIP_1) | instid1(SALU_CYCLE_1)
	v_cmp_ge_u32_e32 vcc_lo, v2, v3
	s_or_b32 s2, vcc_lo, s2
	s_and_not1_b32 exec_lo, exec_lo, s2
	s_cbranch_execz .LBB1922_40
.LBB1922_29:                            ; =>This Inner Loop Header: Depth=1
	s_delay_alu instid0(VALU_DEP_3) | instskip(SKIP_2) | instid1(VALU_DEP_1)
	v_add_nc_u32_e32 v5, v2, v3
	s_and_not1_b32 vcc_lo, exec_lo, s1
	s_mov_b32 s8, -1
                                        ; implicit-def: $sgpr3
	v_and_b32_e32 v6, -2, v5
	global_load_u16 v6, v6, s[4:5]
	s_wait_loadcnt 0x0
	v_lshlrev_b32_e32 v6, 16, v6
	s_delay_alu instid0(VALU_DEP_1) | instskip(NEXT) | instid1(VALU_DEP_1)
	v_add_f32_e32 v6, 0, v6
	v_and_b32_e32 v7, 0x7f800000, v6
	s_delay_alu instid0(VALU_DEP_1)
	v_cmp_ne_u32_e64 s0, 0x7f800000, v7
	s_cbranch_vccnz .LBB1922_35
; %bb.30:                               ;   in Loop: Header=BB1922_29 Depth=1
                                        ; implicit-def: $vgpr7
	s_and_saveexec_b32 s3, s0
	s_delay_alu instid0(SALU_CYCLE_1)
	s_xor_b32 s3, exec_lo, s3
; %bb.31:                               ;   in Loop: Header=BB1922_29 Depth=1
	v_bfe_u32 v7, v6, 16, 1
	s_delay_alu instid0(VALU_DEP_1)
	v_add3_u32 v7, v6, v7, 0x7fff
; %bb.32:                               ;   in Loop: Header=BB1922_29 Depth=1
	s_and_not1_saveexec_b32 s3, s3
; %bb.33:                               ;   in Loop: Header=BB1922_29 Depth=1
	v_and_b32_e32 v7, 0xffff, v6
	v_or_b32_e32 v8, 0x10000, v6
	s_delay_alu instid0(VALU_DEP_2) | instskip(NEXT) | instid1(VALU_DEP_2)
	v_cmp_eq_u32_e32 vcc_lo, 0, v7
	v_cndmask_b32_e32 v7, v8, v6, vcc_lo
; %bb.34:                               ;   in Loop: Header=BB1922_29 Depth=1
	s_or_b32 exec_lo, exec_lo, s3
	s_delay_alu instid0(VALU_DEP_1) | instskip(SKIP_3) | instid1(VALU_DEP_1)
	v_cmp_lt_i32_e32 vcc_lo, -1, v7
	v_lshrrev_b32_e32 v8, 16, v7
	s_mov_b32 s8, 0
	v_cndmask_b32_e64 v7, -1, 0xffff8000, vcc_lo
	v_xor_b32_e32 v7, v7, v8
	s_delay_alu instid0(VALU_DEP_1)
	v_cmp_le_u16_e64 s3, v4, v7
.LBB1922_35:                            ;   in Loop: Header=BB1922_29 Depth=1
	s_and_b32 vcc_lo, exec_lo, s8
	s_cbranch_vccz .LBB1922_28
; %bb.36:                               ;   in Loop: Header=BB1922_29 Depth=1
                                        ; implicit-def: $vgpr7
	s_and_saveexec_b32 s3, s0
	s_delay_alu instid0(SALU_CYCLE_1)
	s_xor_b32 s0, exec_lo, s3
; %bb.37:                               ;   in Loop: Header=BB1922_29 Depth=1
	v_bfe_u32 v7, v6, 16, 1
	s_delay_alu instid0(VALU_DEP_1)
	v_add3_u32 v7, v6, v7, 0x7fff
                                        ; implicit-def: $vgpr6
; %bb.38:                               ;   in Loop: Header=BB1922_29 Depth=1
	s_and_not1_saveexec_b32 s0, s0
	s_cbranch_execz .LBB1922_27
; %bb.39:                               ;   in Loop: Header=BB1922_29 Depth=1
	v_and_b32_e32 v7, 0xffff, v6
	v_or_b32_e32 v8, 0x10000, v6
	s_delay_alu instid0(VALU_DEP_2) | instskip(NEXT) | instid1(VALU_DEP_2)
	v_cmp_eq_u32_e32 vcc_lo, 0, v7
	v_cndmask_b32_e32 v7, v8, v6, vcc_lo
	s_branch .LBB1922_27
.LBB1922_40:
	s_or_b32 exec_lo, exec_lo, s2
.LBB1922_41:
	s_delay_alu instid0(VALU_DEP_1)
	v_add_nc_u32_e32 v2, v2, v0
	s_mov_b32 s9, -1
.LBB1922_42:
	s_delay_alu instid0(SALU_CYCLE_1)
	s_and_b32 exec_lo, exec_lo, s9
	s_cbranch_execz .LBB1922_44
; %bb.43:
	s_wait_loadcnt 0x0
	global_store_b16 v2, v1, s[6:7] scale_offset
.LBB1922_44:
	s_endpgm
	.section	.rodata,"a",@progbits
	.p2align	6, 0x0
	.amdhsa_kernel _ZN7rocprim17ROCPRIM_400000_NS6detail17trampoline_kernelINS0_14default_configENS1_38merge_sort_block_merge_config_selectorI12hip_bfloat16NS0_10empty_typeEEEZZNS1_27merge_sort_block_merge_implIS3_PS5_PS6_jNS1_19radix_merge_compareILb1ELb0ES5_NS0_19identity_decomposerEEEEE10hipError_tT0_T1_T2_jT3_P12ihipStream_tbPNSt15iterator_traitsISF_E10value_typeEPNSL_ISG_E10value_typeEPSH_NS1_7vsmem_tEENKUlT_SF_SG_SH_E_clIS9_S9_SA_SA_EESE_SU_SF_SG_SH_EUlSU_E1_NS1_11comp_targetILNS1_3genE0ELNS1_11target_archE4294967295ELNS1_3gpuE0ELNS1_3repE0EEENS1_36merge_oddeven_config_static_selectorELNS0_4arch9wavefront6targetE0EEEvSG_
		.amdhsa_group_segment_fixed_size 0
		.amdhsa_private_segment_fixed_size 0
		.amdhsa_kernarg_size 48
		.amdhsa_user_sgpr_count 2
		.amdhsa_user_sgpr_dispatch_ptr 0
		.amdhsa_user_sgpr_queue_ptr 0
		.amdhsa_user_sgpr_kernarg_segment_ptr 1
		.amdhsa_user_sgpr_dispatch_id 0
		.amdhsa_user_sgpr_kernarg_preload_length 0
		.amdhsa_user_sgpr_kernarg_preload_offset 0
		.amdhsa_user_sgpr_private_segment_size 0
		.amdhsa_wavefront_size32 1
		.amdhsa_uses_dynamic_stack 0
		.amdhsa_enable_private_segment 0
		.amdhsa_system_sgpr_workgroup_id_x 1
		.amdhsa_system_sgpr_workgroup_id_y 0
		.amdhsa_system_sgpr_workgroup_id_z 0
		.amdhsa_system_sgpr_workgroup_info 0
		.amdhsa_system_vgpr_workitem_id 0
		.amdhsa_next_free_vgpr 9
		.amdhsa_next_free_sgpr 16
		.amdhsa_named_barrier_count 0
		.amdhsa_reserve_vcc 1
		.amdhsa_float_round_mode_32 0
		.amdhsa_float_round_mode_16_64 0
		.amdhsa_float_denorm_mode_32 3
		.amdhsa_float_denorm_mode_16_64 3
		.amdhsa_fp16_overflow 0
		.amdhsa_memory_ordered 1
		.amdhsa_forward_progress 1
		.amdhsa_inst_pref_size 11
		.amdhsa_round_robin_scheduling 0
		.amdhsa_exception_fp_ieee_invalid_op 0
		.amdhsa_exception_fp_denorm_src 0
		.amdhsa_exception_fp_ieee_div_zero 0
		.amdhsa_exception_fp_ieee_overflow 0
		.amdhsa_exception_fp_ieee_underflow 0
		.amdhsa_exception_fp_ieee_inexact 0
		.amdhsa_exception_int_div_zero 0
	.end_amdhsa_kernel
	.section	.text._ZN7rocprim17ROCPRIM_400000_NS6detail17trampoline_kernelINS0_14default_configENS1_38merge_sort_block_merge_config_selectorI12hip_bfloat16NS0_10empty_typeEEEZZNS1_27merge_sort_block_merge_implIS3_PS5_PS6_jNS1_19radix_merge_compareILb1ELb0ES5_NS0_19identity_decomposerEEEEE10hipError_tT0_T1_T2_jT3_P12ihipStream_tbPNSt15iterator_traitsISF_E10value_typeEPNSL_ISG_E10value_typeEPSH_NS1_7vsmem_tEENKUlT_SF_SG_SH_E_clIS9_S9_SA_SA_EESE_SU_SF_SG_SH_EUlSU_E1_NS1_11comp_targetILNS1_3genE0ELNS1_11target_archE4294967295ELNS1_3gpuE0ELNS1_3repE0EEENS1_36merge_oddeven_config_static_selectorELNS0_4arch9wavefront6targetE0EEEvSG_,"axG",@progbits,_ZN7rocprim17ROCPRIM_400000_NS6detail17trampoline_kernelINS0_14default_configENS1_38merge_sort_block_merge_config_selectorI12hip_bfloat16NS0_10empty_typeEEEZZNS1_27merge_sort_block_merge_implIS3_PS5_PS6_jNS1_19radix_merge_compareILb1ELb0ES5_NS0_19identity_decomposerEEEEE10hipError_tT0_T1_T2_jT3_P12ihipStream_tbPNSt15iterator_traitsISF_E10value_typeEPNSL_ISG_E10value_typeEPSH_NS1_7vsmem_tEENKUlT_SF_SG_SH_E_clIS9_S9_SA_SA_EESE_SU_SF_SG_SH_EUlSU_E1_NS1_11comp_targetILNS1_3genE0ELNS1_11target_archE4294967295ELNS1_3gpuE0ELNS1_3repE0EEENS1_36merge_oddeven_config_static_selectorELNS0_4arch9wavefront6targetE0EEEvSG_,comdat
.Lfunc_end1922:
	.size	_ZN7rocprim17ROCPRIM_400000_NS6detail17trampoline_kernelINS0_14default_configENS1_38merge_sort_block_merge_config_selectorI12hip_bfloat16NS0_10empty_typeEEEZZNS1_27merge_sort_block_merge_implIS3_PS5_PS6_jNS1_19radix_merge_compareILb1ELb0ES5_NS0_19identity_decomposerEEEEE10hipError_tT0_T1_T2_jT3_P12ihipStream_tbPNSt15iterator_traitsISF_E10value_typeEPNSL_ISG_E10value_typeEPSH_NS1_7vsmem_tEENKUlT_SF_SG_SH_E_clIS9_S9_SA_SA_EESE_SU_SF_SG_SH_EUlSU_E1_NS1_11comp_targetILNS1_3genE0ELNS1_11target_archE4294967295ELNS1_3gpuE0ELNS1_3repE0EEENS1_36merge_oddeven_config_static_selectorELNS0_4arch9wavefront6targetE0EEEvSG_, .Lfunc_end1922-_ZN7rocprim17ROCPRIM_400000_NS6detail17trampoline_kernelINS0_14default_configENS1_38merge_sort_block_merge_config_selectorI12hip_bfloat16NS0_10empty_typeEEEZZNS1_27merge_sort_block_merge_implIS3_PS5_PS6_jNS1_19radix_merge_compareILb1ELb0ES5_NS0_19identity_decomposerEEEEE10hipError_tT0_T1_T2_jT3_P12ihipStream_tbPNSt15iterator_traitsISF_E10value_typeEPNSL_ISG_E10value_typeEPSH_NS1_7vsmem_tEENKUlT_SF_SG_SH_E_clIS9_S9_SA_SA_EESE_SU_SF_SG_SH_EUlSU_E1_NS1_11comp_targetILNS1_3genE0ELNS1_11target_archE4294967295ELNS1_3gpuE0ELNS1_3repE0EEENS1_36merge_oddeven_config_static_selectorELNS0_4arch9wavefront6targetE0EEEvSG_
                                        ; -- End function
	.set _ZN7rocprim17ROCPRIM_400000_NS6detail17trampoline_kernelINS0_14default_configENS1_38merge_sort_block_merge_config_selectorI12hip_bfloat16NS0_10empty_typeEEEZZNS1_27merge_sort_block_merge_implIS3_PS5_PS6_jNS1_19radix_merge_compareILb1ELb0ES5_NS0_19identity_decomposerEEEEE10hipError_tT0_T1_T2_jT3_P12ihipStream_tbPNSt15iterator_traitsISF_E10value_typeEPNSL_ISG_E10value_typeEPSH_NS1_7vsmem_tEENKUlT_SF_SG_SH_E_clIS9_S9_SA_SA_EESE_SU_SF_SG_SH_EUlSU_E1_NS1_11comp_targetILNS1_3genE0ELNS1_11target_archE4294967295ELNS1_3gpuE0ELNS1_3repE0EEENS1_36merge_oddeven_config_static_selectorELNS0_4arch9wavefront6targetE0EEEvSG_.num_vgpr, 9
	.set _ZN7rocprim17ROCPRIM_400000_NS6detail17trampoline_kernelINS0_14default_configENS1_38merge_sort_block_merge_config_selectorI12hip_bfloat16NS0_10empty_typeEEEZZNS1_27merge_sort_block_merge_implIS3_PS5_PS6_jNS1_19radix_merge_compareILb1ELb0ES5_NS0_19identity_decomposerEEEEE10hipError_tT0_T1_T2_jT3_P12ihipStream_tbPNSt15iterator_traitsISF_E10value_typeEPNSL_ISG_E10value_typeEPSH_NS1_7vsmem_tEENKUlT_SF_SG_SH_E_clIS9_S9_SA_SA_EESE_SU_SF_SG_SH_EUlSU_E1_NS1_11comp_targetILNS1_3genE0ELNS1_11target_archE4294967295ELNS1_3gpuE0ELNS1_3repE0EEENS1_36merge_oddeven_config_static_selectorELNS0_4arch9wavefront6targetE0EEEvSG_.num_agpr, 0
	.set _ZN7rocprim17ROCPRIM_400000_NS6detail17trampoline_kernelINS0_14default_configENS1_38merge_sort_block_merge_config_selectorI12hip_bfloat16NS0_10empty_typeEEEZZNS1_27merge_sort_block_merge_implIS3_PS5_PS6_jNS1_19radix_merge_compareILb1ELb0ES5_NS0_19identity_decomposerEEEEE10hipError_tT0_T1_T2_jT3_P12ihipStream_tbPNSt15iterator_traitsISF_E10value_typeEPNSL_ISG_E10value_typeEPSH_NS1_7vsmem_tEENKUlT_SF_SG_SH_E_clIS9_S9_SA_SA_EESE_SU_SF_SG_SH_EUlSU_E1_NS1_11comp_targetILNS1_3genE0ELNS1_11target_archE4294967295ELNS1_3gpuE0ELNS1_3repE0EEENS1_36merge_oddeven_config_static_selectorELNS0_4arch9wavefront6targetE0EEEvSG_.numbered_sgpr, 16
	.set _ZN7rocprim17ROCPRIM_400000_NS6detail17trampoline_kernelINS0_14default_configENS1_38merge_sort_block_merge_config_selectorI12hip_bfloat16NS0_10empty_typeEEEZZNS1_27merge_sort_block_merge_implIS3_PS5_PS6_jNS1_19radix_merge_compareILb1ELb0ES5_NS0_19identity_decomposerEEEEE10hipError_tT0_T1_T2_jT3_P12ihipStream_tbPNSt15iterator_traitsISF_E10value_typeEPNSL_ISG_E10value_typeEPSH_NS1_7vsmem_tEENKUlT_SF_SG_SH_E_clIS9_S9_SA_SA_EESE_SU_SF_SG_SH_EUlSU_E1_NS1_11comp_targetILNS1_3genE0ELNS1_11target_archE4294967295ELNS1_3gpuE0ELNS1_3repE0EEENS1_36merge_oddeven_config_static_selectorELNS0_4arch9wavefront6targetE0EEEvSG_.num_named_barrier, 0
	.set _ZN7rocprim17ROCPRIM_400000_NS6detail17trampoline_kernelINS0_14default_configENS1_38merge_sort_block_merge_config_selectorI12hip_bfloat16NS0_10empty_typeEEEZZNS1_27merge_sort_block_merge_implIS3_PS5_PS6_jNS1_19radix_merge_compareILb1ELb0ES5_NS0_19identity_decomposerEEEEE10hipError_tT0_T1_T2_jT3_P12ihipStream_tbPNSt15iterator_traitsISF_E10value_typeEPNSL_ISG_E10value_typeEPSH_NS1_7vsmem_tEENKUlT_SF_SG_SH_E_clIS9_S9_SA_SA_EESE_SU_SF_SG_SH_EUlSU_E1_NS1_11comp_targetILNS1_3genE0ELNS1_11target_archE4294967295ELNS1_3gpuE0ELNS1_3repE0EEENS1_36merge_oddeven_config_static_selectorELNS0_4arch9wavefront6targetE0EEEvSG_.private_seg_size, 0
	.set _ZN7rocprim17ROCPRIM_400000_NS6detail17trampoline_kernelINS0_14default_configENS1_38merge_sort_block_merge_config_selectorI12hip_bfloat16NS0_10empty_typeEEEZZNS1_27merge_sort_block_merge_implIS3_PS5_PS6_jNS1_19radix_merge_compareILb1ELb0ES5_NS0_19identity_decomposerEEEEE10hipError_tT0_T1_T2_jT3_P12ihipStream_tbPNSt15iterator_traitsISF_E10value_typeEPNSL_ISG_E10value_typeEPSH_NS1_7vsmem_tEENKUlT_SF_SG_SH_E_clIS9_S9_SA_SA_EESE_SU_SF_SG_SH_EUlSU_E1_NS1_11comp_targetILNS1_3genE0ELNS1_11target_archE4294967295ELNS1_3gpuE0ELNS1_3repE0EEENS1_36merge_oddeven_config_static_selectorELNS0_4arch9wavefront6targetE0EEEvSG_.uses_vcc, 1
	.set _ZN7rocprim17ROCPRIM_400000_NS6detail17trampoline_kernelINS0_14default_configENS1_38merge_sort_block_merge_config_selectorI12hip_bfloat16NS0_10empty_typeEEEZZNS1_27merge_sort_block_merge_implIS3_PS5_PS6_jNS1_19radix_merge_compareILb1ELb0ES5_NS0_19identity_decomposerEEEEE10hipError_tT0_T1_T2_jT3_P12ihipStream_tbPNSt15iterator_traitsISF_E10value_typeEPNSL_ISG_E10value_typeEPSH_NS1_7vsmem_tEENKUlT_SF_SG_SH_E_clIS9_S9_SA_SA_EESE_SU_SF_SG_SH_EUlSU_E1_NS1_11comp_targetILNS1_3genE0ELNS1_11target_archE4294967295ELNS1_3gpuE0ELNS1_3repE0EEENS1_36merge_oddeven_config_static_selectorELNS0_4arch9wavefront6targetE0EEEvSG_.uses_flat_scratch, 0
	.set _ZN7rocprim17ROCPRIM_400000_NS6detail17trampoline_kernelINS0_14default_configENS1_38merge_sort_block_merge_config_selectorI12hip_bfloat16NS0_10empty_typeEEEZZNS1_27merge_sort_block_merge_implIS3_PS5_PS6_jNS1_19radix_merge_compareILb1ELb0ES5_NS0_19identity_decomposerEEEEE10hipError_tT0_T1_T2_jT3_P12ihipStream_tbPNSt15iterator_traitsISF_E10value_typeEPNSL_ISG_E10value_typeEPSH_NS1_7vsmem_tEENKUlT_SF_SG_SH_E_clIS9_S9_SA_SA_EESE_SU_SF_SG_SH_EUlSU_E1_NS1_11comp_targetILNS1_3genE0ELNS1_11target_archE4294967295ELNS1_3gpuE0ELNS1_3repE0EEENS1_36merge_oddeven_config_static_selectorELNS0_4arch9wavefront6targetE0EEEvSG_.has_dyn_sized_stack, 0
	.set _ZN7rocprim17ROCPRIM_400000_NS6detail17trampoline_kernelINS0_14default_configENS1_38merge_sort_block_merge_config_selectorI12hip_bfloat16NS0_10empty_typeEEEZZNS1_27merge_sort_block_merge_implIS3_PS5_PS6_jNS1_19radix_merge_compareILb1ELb0ES5_NS0_19identity_decomposerEEEEE10hipError_tT0_T1_T2_jT3_P12ihipStream_tbPNSt15iterator_traitsISF_E10value_typeEPNSL_ISG_E10value_typeEPSH_NS1_7vsmem_tEENKUlT_SF_SG_SH_E_clIS9_S9_SA_SA_EESE_SU_SF_SG_SH_EUlSU_E1_NS1_11comp_targetILNS1_3genE0ELNS1_11target_archE4294967295ELNS1_3gpuE0ELNS1_3repE0EEENS1_36merge_oddeven_config_static_selectorELNS0_4arch9wavefront6targetE0EEEvSG_.has_recursion, 0
	.set _ZN7rocprim17ROCPRIM_400000_NS6detail17trampoline_kernelINS0_14default_configENS1_38merge_sort_block_merge_config_selectorI12hip_bfloat16NS0_10empty_typeEEEZZNS1_27merge_sort_block_merge_implIS3_PS5_PS6_jNS1_19radix_merge_compareILb1ELb0ES5_NS0_19identity_decomposerEEEEE10hipError_tT0_T1_T2_jT3_P12ihipStream_tbPNSt15iterator_traitsISF_E10value_typeEPNSL_ISG_E10value_typeEPSH_NS1_7vsmem_tEENKUlT_SF_SG_SH_E_clIS9_S9_SA_SA_EESE_SU_SF_SG_SH_EUlSU_E1_NS1_11comp_targetILNS1_3genE0ELNS1_11target_archE4294967295ELNS1_3gpuE0ELNS1_3repE0EEENS1_36merge_oddeven_config_static_selectorELNS0_4arch9wavefront6targetE0EEEvSG_.has_indirect_call, 0
	.section	.AMDGPU.csdata,"",@progbits
; Kernel info:
; codeLenInByte = 1404
; TotalNumSgprs: 18
; NumVgprs: 9
; ScratchSize: 0
; MemoryBound: 0
; FloatMode: 240
; IeeeMode: 1
; LDSByteSize: 0 bytes/workgroup (compile time only)
; SGPRBlocks: 0
; VGPRBlocks: 0
; NumSGPRsForWavesPerEU: 18
; NumVGPRsForWavesPerEU: 9
; NamedBarCnt: 0
; Occupancy: 16
; WaveLimiterHint : 0
; COMPUTE_PGM_RSRC2:SCRATCH_EN: 0
; COMPUTE_PGM_RSRC2:USER_SGPR: 2
; COMPUTE_PGM_RSRC2:TRAP_HANDLER: 0
; COMPUTE_PGM_RSRC2:TGID_X_EN: 1
; COMPUTE_PGM_RSRC2:TGID_Y_EN: 0
; COMPUTE_PGM_RSRC2:TGID_Z_EN: 0
; COMPUTE_PGM_RSRC2:TIDIG_COMP_CNT: 0
	.section	.text._ZN7rocprim17ROCPRIM_400000_NS6detail17trampoline_kernelINS0_14default_configENS1_38merge_sort_block_merge_config_selectorI12hip_bfloat16NS0_10empty_typeEEEZZNS1_27merge_sort_block_merge_implIS3_PS5_PS6_jNS1_19radix_merge_compareILb1ELb0ES5_NS0_19identity_decomposerEEEEE10hipError_tT0_T1_T2_jT3_P12ihipStream_tbPNSt15iterator_traitsISF_E10value_typeEPNSL_ISG_E10value_typeEPSH_NS1_7vsmem_tEENKUlT_SF_SG_SH_E_clIS9_S9_SA_SA_EESE_SU_SF_SG_SH_EUlSU_E1_NS1_11comp_targetILNS1_3genE10ELNS1_11target_archE1201ELNS1_3gpuE5ELNS1_3repE0EEENS1_36merge_oddeven_config_static_selectorELNS0_4arch9wavefront6targetE0EEEvSG_,"axG",@progbits,_ZN7rocprim17ROCPRIM_400000_NS6detail17trampoline_kernelINS0_14default_configENS1_38merge_sort_block_merge_config_selectorI12hip_bfloat16NS0_10empty_typeEEEZZNS1_27merge_sort_block_merge_implIS3_PS5_PS6_jNS1_19radix_merge_compareILb1ELb0ES5_NS0_19identity_decomposerEEEEE10hipError_tT0_T1_T2_jT3_P12ihipStream_tbPNSt15iterator_traitsISF_E10value_typeEPNSL_ISG_E10value_typeEPSH_NS1_7vsmem_tEENKUlT_SF_SG_SH_E_clIS9_S9_SA_SA_EESE_SU_SF_SG_SH_EUlSU_E1_NS1_11comp_targetILNS1_3genE10ELNS1_11target_archE1201ELNS1_3gpuE5ELNS1_3repE0EEENS1_36merge_oddeven_config_static_selectorELNS0_4arch9wavefront6targetE0EEEvSG_,comdat
	.protected	_ZN7rocprim17ROCPRIM_400000_NS6detail17trampoline_kernelINS0_14default_configENS1_38merge_sort_block_merge_config_selectorI12hip_bfloat16NS0_10empty_typeEEEZZNS1_27merge_sort_block_merge_implIS3_PS5_PS6_jNS1_19radix_merge_compareILb1ELb0ES5_NS0_19identity_decomposerEEEEE10hipError_tT0_T1_T2_jT3_P12ihipStream_tbPNSt15iterator_traitsISF_E10value_typeEPNSL_ISG_E10value_typeEPSH_NS1_7vsmem_tEENKUlT_SF_SG_SH_E_clIS9_S9_SA_SA_EESE_SU_SF_SG_SH_EUlSU_E1_NS1_11comp_targetILNS1_3genE10ELNS1_11target_archE1201ELNS1_3gpuE5ELNS1_3repE0EEENS1_36merge_oddeven_config_static_selectorELNS0_4arch9wavefront6targetE0EEEvSG_ ; -- Begin function _ZN7rocprim17ROCPRIM_400000_NS6detail17trampoline_kernelINS0_14default_configENS1_38merge_sort_block_merge_config_selectorI12hip_bfloat16NS0_10empty_typeEEEZZNS1_27merge_sort_block_merge_implIS3_PS5_PS6_jNS1_19radix_merge_compareILb1ELb0ES5_NS0_19identity_decomposerEEEEE10hipError_tT0_T1_T2_jT3_P12ihipStream_tbPNSt15iterator_traitsISF_E10value_typeEPNSL_ISG_E10value_typeEPSH_NS1_7vsmem_tEENKUlT_SF_SG_SH_E_clIS9_S9_SA_SA_EESE_SU_SF_SG_SH_EUlSU_E1_NS1_11comp_targetILNS1_3genE10ELNS1_11target_archE1201ELNS1_3gpuE5ELNS1_3repE0EEENS1_36merge_oddeven_config_static_selectorELNS0_4arch9wavefront6targetE0EEEvSG_
	.globl	_ZN7rocprim17ROCPRIM_400000_NS6detail17trampoline_kernelINS0_14default_configENS1_38merge_sort_block_merge_config_selectorI12hip_bfloat16NS0_10empty_typeEEEZZNS1_27merge_sort_block_merge_implIS3_PS5_PS6_jNS1_19radix_merge_compareILb1ELb0ES5_NS0_19identity_decomposerEEEEE10hipError_tT0_T1_T2_jT3_P12ihipStream_tbPNSt15iterator_traitsISF_E10value_typeEPNSL_ISG_E10value_typeEPSH_NS1_7vsmem_tEENKUlT_SF_SG_SH_E_clIS9_S9_SA_SA_EESE_SU_SF_SG_SH_EUlSU_E1_NS1_11comp_targetILNS1_3genE10ELNS1_11target_archE1201ELNS1_3gpuE5ELNS1_3repE0EEENS1_36merge_oddeven_config_static_selectorELNS0_4arch9wavefront6targetE0EEEvSG_
	.p2align	8
	.type	_ZN7rocprim17ROCPRIM_400000_NS6detail17trampoline_kernelINS0_14default_configENS1_38merge_sort_block_merge_config_selectorI12hip_bfloat16NS0_10empty_typeEEEZZNS1_27merge_sort_block_merge_implIS3_PS5_PS6_jNS1_19radix_merge_compareILb1ELb0ES5_NS0_19identity_decomposerEEEEE10hipError_tT0_T1_T2_jT3_P12ihipStream_tbPNSt15iterator_traitsISF_E10value_typeEPNSL_ISG_E10value_typeEPSH_NS1_7vsmem_tEENKUlT_SF_SG_SH_E_clIS9_S9_SA_SA_EESE_SU_SF_SG_SH_EUlSU_E1_NS1_11comp_targetILNS1_3genE10ELNS1_11target_archE1201ELNS1_3gpuE5ELNS1_3repE0EEENS1_36merge_oddeven_config_static_selectorELNS0_4arch9wavefront6targetE0EEEvSG_,@function
_ZN7rocprim17ROCPRIM_400000_NS6detail17trampoline_kernelINS0_14default_configENS1_38merge_sort_block_merge_config_selectorI12hip_bfloat16NS0_10empty_typeEEEZZNS1_27merge_sort_block_merge_implIS3_PS5_PS6_jNS1_19radix_merge_compareILb1ELb0ES5_NS0_19identity_decomposerEEEEE10hipError_tT0_T1_T2_jT3_P12ihipStream_tbPNSt15iterator_traitsISF_E10value_typeEPNSL_ISG_E10value_typeEPSH_NS1_7vsmem_tEENKUlT_SF_SG_SH_E_clIS9_S9_SA_SA_EESE_SU_SF_SG_SH_EUlSU_E1_NS1_11comp_targetILNS1_3genE10ELNS1_11target_archE1201ELNS1_3gpuE5ELNS1_3repE0EEENS1_36merge_oddeven_config_static_selectorELNS0_4arch9wavefront6targetE0EEEvSG_: ; @_ZN7rocprim17ROCPRIM_400000_NS6detail17trampoline_kernelINS0_14default_configENS1_38merge_sort_block_merge_config_selectorI12hip_bfloat16NS0_10empty_typeEEEZZNS1_27merge_sort_block_merge_implIS3_PS5_PS6_jNS1_19radix_merge_compareILb1ELb0ES5_NS0_19identity_decomposerEEEEE10hipError_tT0_T1_T2_jT3_P12ihipStream_tbPNSt15iterator_traitsISF_E10value_typeEPNSL_ISG_E10value_typeEPSH_NS1_7vsmem_tEENKUlT_SF_SG_SH_E_clIS9_S9_SA_SA_EESE_SU_SF_SG_SH_EUlSU_E1_NS1_11comp_targetILNS1_3genE10ELNS1_11target_archE1201ELNS1_3gpuE5ELNS1_3repE0EEENS1_36merge_oddeven_config_static_selectorELNS0_4arch9wavefront6targetE0EEEvSG_
; %bb.0:
	.section	.rodata,"a",@progbits
	.p2align	6, 0x0
	.amdhsa_kernel _ZN7rocprim17ROCPRIM_400000_NS6detail17trampoline_kernelINS0_14default_configENS1_38merge_sort_block_merge_config_selectorI12hip_bfloat16NS0_10empty_typeEEEZZNS1_27merge_sort_block_merge_implIS3_PS5_PS6_jNS1_19radix_merge_compareILb1ELb0ES5_NS0_19identity_decomposerEEEEE10hipError_tT0_T1_T2_jT3_P12ihipStream_tbPNSt15iterator_traitsISF_E10value_typeEPNSL_ISG_E10value_typeEPSH_NS1_7vsmem_tEENKUlT_SF_SG_SH_E_clIS9_S9_SA_SA_EESE_SU_SF_SG_SH_EUlSU_E1_NS1_11comp_targetILNS1_3genE10ELNS1_11target_archE1201ELNS1_3gpuE5ELNS1_3repE0EEENS1_36merge_oddeven_config_static_selectorELNS0_4arch9wavefront6targetE0EEEvSG_
		.amdhsa_group_segment_fixed_size 0
		.amdhsa_private_segment_fixed_size 0
		.amdhsa_kernarg_size 48
		.amdhsa_user_sgpr_count 2
		.amdhsa_user_sgpr_dispatch_ptr 0
		.amdhsa_user_sgpr_queue_ptr 0
		.amdhsa_user_sgpr_kernarg_segment_ptr 1
		.amdhsa_user_sgpr_dispatch_id 0
		.amdhsa_user_sgpr_kernarg_preload_length 0
		.amdhsa_user_sgpr_kernarg_preload_offset 0
		.amdhsa_user_sgpr_private_segment_size 0
		.amdhsa_wavefront_size32 1
		.amdhsa_uses_dynamic_stack 0
		.amdhsa_enable_private_segment 0
		.amdhsa_system_sgpr_workgroup_id_x 1
		.amdhsa_system_sgpr_workgroup_id_y 0
		.amdhsa_system_sgpr_workgroup_id_z 0
		.amdhsa_system_sgpr_workgroup_info 0
		.amdhsa_system_vgpr_workitem_id 0
		.amdhsa_next_free_vgpr 1
		.amdhsa_next_free_sgpr 1
		.amdhsa_named_barrier_count 0
		.amdhsa_reserve_vcc 0
		.amdhsa_float_round_mode_32 0
		.amdhsa_float_round_mode_16_64 0
		.amdhsa_float_denorm_mode_32 3
		.amdhsa_float_denorm_mode_16_64 3
		.amdhsa_fp16_overflow 0
		.amdhsa_memory_ordered 1
		.amdhsa_forward_progress 1
		.amdhsa_inst_pref_size 0
		.amdhsa_round_robin_scheduling 0
		.amdhsa_exception_fp_ieee_invalid_op 0
		.amdhsa_exception_fp_denorm_src 0
		.amdhsa_exception_fp_ieee_div_zero 0
		.amdhsa_exception_fp_ieee_overflow 0
		.amdhsa_exception_fp_ieee_underflow 0
		.amdhsa_exception_fp_ieee_inexact 0
		.amdhsa_exception_int_div_zero 0
	.end_amdhsa_kernel
	.section	.text._ZN7rocprim17ROCPRIM_400000_NS6detail17trampoline_kernelINS0_14default_configENS1_38merge_sort_block_merge_config_selectorI12hip_bfloat16NS0_10empty_typeEEEZZNS1_27merge_sort_block_merge_implIS3_PS5_PS6_jNS1_19radix_merge_compareILb1ELb0ES5_NS0_19identity_decomposerEEEEE10hipError_tT0_T1_T2_jT3_P12ihipStream_tbPNSt15iterator_traitsISF_E10value_typeEPNSL_ISG_E10value_typeEPSH_NS1_7vsmem_tEENKUlT_SF_SG_SH_E_clIS9_S9_SA_SA_EESE_SU_SF_SG_SH_EUlSU_E1_NS1_11comp_targetILNS1_3genE10ELNS1_11target_archE1201ELNS1_3gpuE5ELNS1_3repE0EEENS1_36merge_oddeven_config_static_selectorELNS0_4arch9wavefront6targetE0EEEvSG_,"axG",@progbits,_ZN7rocprim17ROCPRIM_400000_NS6detail17trampoline_kernelINS0_14default_configENS1_38merge_sort_block_merge_config_selectorI12hip_bfloat16NS0_10empty_typeEEEZZNS1_27merge_sort_block_merge_implIS3_PS5_PS6_jNS1_19radix_merge_compareILb1ELb0ES5_NS0_19identity_decomposerEEEEE10hipError_tT0_T1_T2_jT3_P12ihipStream_tbPNSt15iterator_traitsISF_E10value_typeEPNSL_ISG_E10value_typeEPSH_NS1_7vsmem_tEENKUlT_SF_SG_SH_E_clIS9_S9_SA_SA_EESE_SU_SF_SG_SH_EUlSU_E1_NS1_11comp_targetILNS1_3genE10ELNS1_11target_archE1201ELNS1_3gpuE5ELNS1_3repE0EEENS1_36merge_oddeven_config_static_selectorELNS0_4arch9wavefront6targetE0EEEvSG_,comdat
.Lfunc_end1923:
	.size	_ZN7rocprim17ROCPRIM_400000_NS6detail17trampoline_kernelINS0_14default_configENS1_38merge_sort_block_merge_config_selectorI12hip_bfloat16NS0_10empty_typeEEEZZNS1_27merge_sort_block_merge_implIS3_PS5_PS6_jNS1_19radix_merge_compareILb1ELb0ES5_NS0_19identity_decomposerEEEEE10hipError_tT0_T1_T2_jT3_P12ihipStream_tbPNSt15iterator_traitsISF_E10value_typeEPNSL_ISG_E10value_typeEPSH_NS1_7vsmem_tEENKUlT_SF_SG_SH_E_clIS9_S9_SA_SA_EESE_SU_SF_SG_SH_EUlSU_E1_NS1_11comp_targetILNS1_3genE10ELNS1_11target_archE1201ELNS1_3gpuE5ELNS1_3repE0EEENS1_36merge_oddeven_config_static_selectorELNS0_4arch9wavefront6targetE0EEEvSG_, .Lfunc_end1923-_ZN7rocprim17ROCPRIM_400000_NS6detail17trampoline_kernelINS0_14default_configENS1_38merge_sort_block_merge_config_selectorI12hip_bfloat16NS0_10empty_typeEEEZZNS1_27merge_sort_block_merge_implIS3_PS5_PS6_jNS1_19radix_merge_compareILb1ELb0ES5_NS0_19identity_decomposerEEEEE10hipError_tT0_T1_T2_jT3_P12ihipStream_tbPNSt15iterator_traitsISF_E10value_typeEPNSL_ISG_E10value_typeEPSH_NS1_7vsmem_tEENKUlT_SF_SG_SH_E_clIS9_S9_SA_SA_EESE_SU_SF_SG_SH_EUlSU_E1_NS1_11comp_targetILNS1_3genE10ELNS1_11target_archE1201ELNS1_3gpuE5ELNS1_3repE0EEENS1_36merge_oddeven_config_static_selectorELNS0_4arch9wavefront6targetE0EEEvSG_
                                        ; -- End function
	.set _ZN7rocprim17ROCPRIM_400000_NS6detail17trampoline_kernelINS0_14default_configENS1_38merge_sort_block_merge_config_selectorI12hip_bfloat16NS0_10empty_typeEEEZZNS1_27merge_sort_block_merge_implIS3_PS5_PS6_jNS1_19radix_merge_compareILb1ELb0ES5_NS0_19identity_decomposerEEEEE10hipError_tT0_T1_T2_jT3_P12ihipStream_tbPNSt15iterator_traitsISF_E10value_typeEPNSL_ISG_E10value_typeEPSH_NS1_7vsmem_tEENKUlT_SF_SG_SH_E_clIS9_S9_SA_SA_EESE_SU_SF_SG_SH_EUlSU_E1_NS1_11comp_targetILNS1_3genE10ELNS1_11target_archE1201ELNS1_3gpuE5ELNS1_3repE0EEENS1_36merge_oddeven_config_static_selectorELNS0_4arch9wavefront6targetE0EEEvSG_.num_vgpr, 0
	.set _ZN7rocprim17ROCPRIM_400000_NS6detail17trampoline_kernelINS0_14default_configENS1_38merge_sort_block_merge_config_selectorI12hip_bfloat16NS0_10empty_typeEEEZZNS1_27merge_sort_block_merge_implIS3_PS5_PS6_jNS1_19radix_merge_compareILb1ELb0ES5_NS0_19identity_decomposerEEEEE10hipError_tT0_T1_T2_jT3_P12ihipStream_tbPNSt15iterator_traitsISF_E10value_typeEPNSL_ISG_E10value_typeEPSH_NS1_7vsmem_tEENKUlT_SF_SG_SH_E_clIS9_S9_SA_SA_EESE_SU_SF_SG_SH_EUlSU_E1_NS1_11comp_targetILNS1_3genE10ELNS1_11target_archE1201ELNS1_3gpuE5ELNS1_3repE0EEENS1_36merge_oddeven_config_static_selectorELNS0_4arch9wavefront6targetE0EEEvSG_.num_agpr, 0
	.set _ZN7rocprim17ROCPRIM_400000_NS6detail17trampoline_kernelINS0_14default_configENS1_38merge_sort_block_merge_config_selectorI12hip_bfloat16NS0_10empty_typeEEEZZNS1_27merge_sort_block_merge_implIS3_PS5_PS6_jNS1_19radix_merge_compareILb1ELb0ES5_NS0_19identity_decomposerEEEEE10hipError_tT0_T1_T2_jT3_P12ihipStream_tbPNSt15iterator_traitsISF_E10value_typeEPNSL_ISG_E10value_typeEPSH_NS1_7vsmem_tEENKUlT_SF_SG_SH_E_clIS9_S9_SA_SA_EESE_SU_SF_SG_SH_EUlSU_E1_NS1_11comp_targetILNS1_3genE10ELNS1_11target_archE1201ELNS1_3gpuE5ELNS1_3repE0EEENS1_36merge_oddeven_config_static_selectorELNS0_4arch9wavefront6targetE0EEEvSG_.numbered_sgpr, 0
	.set _ZN7rocprim17ROCPRIM_400000_NS6detail17trampoline_kernelINS0_14default_configENS1_38merge_sort_block_merge_config_selectorI12hip_bfloat16NS0_10empty_typeEEEZZNS1_27merge_sort_block_merge_implIS3_PS5_PS6_jNS1_19radix_merge_compareILb1ELb0ES5_NS0_19identity_decomposerEEEEE10hipError_tT0_T1_T2_jT3_P12ihipStream_tbPNSt15iterator_traitsISF_E10value_typeEPNSL_ISG_E10value_typeEPSH_NS1_7vsmem_tEENKUlT_SF_SG_SH_E_clIS9_S9_SA_SA_EESE_SU_SF_SG_SH_EUlSU_E1_NS1_11comp_targetILNS1_3genE10ELNS1_11target_archE1201ELNS1_3gpuE5ELNS1_3repE0EEENS1_36merge_oddeven_config_static_selectorELNS0_4arch9wavefront6targetE0EEEvSG_.num_named_barrier, 0
	.set _ZN7rocprim17ROCPRIM_400000_NS6detail17trampoline_kernelINS0_14default_configENS1_38merge_sort_block_merge_config_selectorI12hip_bfloat16NS0_10empty_typeEEEZZNS1_27merge_sort_block_merge_implIS3_PS5_PS6_jNS1_19radix_merge_compareILb1ELb0ES5_NS0_19identity_decomposerEEEEE10hipError_tT0_T1_T2_jT3_P12ihipStream_tbPNSt15iterator_traitsISF_E10value_typeEPNSL_ISG_E10value_typeEPSH_NS1_7vsmem_tEENKUlT_SF_SG_SH_E_clIS9_S9_SA_SA_EESE_SU_SF_SG_SH_EUlSU_E1_NS1_11comp_targetILNS1_3genE10ELNS1_11target_archE1201ELNS1_3gpuE5ELNS1_3repE0EEENS1_36merge_oddeven_config_static_selectorELNS0_4arch9wavefront6targetE0EEEvSG_.private_seg_size, 0
	.set _ZN7rocprim17ROCPRIM_400000_NS6detail17trampoline_kernelINS0_14default_configENS1_38merge_sort_block_merge_config_selectorI12hip_bfloat16NS0_10empty_typeEEEZZNS1_27merge_sort_block_merge_implIS3_PS5_PS6_jNS1_19radix_merge_compareILb1ELb0ES5_NS0_19identity_decomposerEEEEE10hipError_tT0_T1_T2_jT3_P12ihipStream_tbPNSt15iterator_traitsISF_E10value_typeEPNSL_ISG_E10value_typeEPSH_NS1_7vsmem_tEENKUlT_SF_SG_SH_E_clIS9_S9_SA_SA_EESE_SU_SF_SG_SH_EUlSU_E1_NS1_11comp_targetILNS1_3genE10ELNS1_11target_archE1201ELNS1_3gpuE5ELNS1_3repE0EEENS1_36merge_oddeven_config_static_selectorELNS0_4arch9wavefront6targetE0EEEvSG_.uses_vcc, 0
	.set _ZN7rocprim17ROCPRIM_400000_NS6detail17trampoline_kernelINS0_14default_configENS1_38merge_sort_block_merge_config_selectorI12hip_bfloat16NS0_10empty_typeEEEZZNS1_27merge_sort_block_merge_implIS3_PS5_PS6_jNS1_19radix_merge_compareILb1ELb0ES5_NS0_19identity_decomposerEEEEE10hipError_tT0_T1_T2_jT3_P12ihipStream_tbPNSt15iterator_traitsISF_E10value_typeEPNSL_ISG_E10value_typeEPSH_NS1_7vsmem_tEENKUlT_SF_SG_SH_E_clIS9_S9_SA_SA_EESE_SU_SF_SG_SH_EUlSU_E1_NS1_11comp_targetILNS1_3genE10ELNS1_11target_archE1201ELNS1_3gpuE5ELNS1_3repE0EEENS1_36merge_oddeven_config_static_selectorELNS0_4arch9wavefront6targetE0EEEvSG_.uses_flat_scratch, 0
	.set _ZN7rocprim17ROCPRIM_400000_NS6detail17trampoline_kernelINS0_14default_configENS1_38merge_sort_block_merge_config_selectorI12hip_bfloat16NS0_10empty_typeEEEZZNS1_27merge_sort_block_merge_implIS3_PS5_PS6_jNS1_19radix_merge_compareILb1ELb0ES5_NS0_19identity_decomposerEEEEE10hipError_tT0_T1_T2_jT3_P12ihipStream_tbPNSt15iterator_traitsISF_E10value_typeEPNSL_ISG_E10value_typeEPSH_NS1_7vsmem_tEENKUlT_SF_SG_SH_E_clIS9_S9_SA_SA_EESE_SU_SF_SG_SH_EUlSU_E1_NS1_11comp_targetILNS1_3genE10ELNS1_11target_archE1201ELNS1_3gpuE5ELNS1_3repE0EEENS1_36merge_oddeven_config_static_selectorELNS0_4arch9wavefront6targetE0EEEvSG_.has_dyn_sized_stack, 0
	.set _ZN7rocprim17ROCPRIM_400000_NS6detail17trampoline_kernelINS0_14default_configENS1_38merge_sort_block_merge_config_selectorI12hip_bfloat16NS0_10empty_typeEEEZZNS1_27merge_sort_block_merge_implIS3_PS5_PS6_jNS1_19radix_merge_compareILb1ELb0ES5_NS0_19identity_decomposerEEEEE10hipError_tT0_T1_T2_jT3_P12ihipStream_tbPNSt15iterator_traitsISF_E10value_typeEPNSL_ISG_E10value_typeEPSH_NS1_7vsmem_tEENKUlT_SF_SG_SH_E_clIS9_S9_SA_SA_EESE_SU_SF_SG_SH_EUlSU_E1_NS1_11comp_targetILNS1_3genE10ELNS1_11target_archE1201ELNS1_3gpuE5ELNS1_3repE0EEENS1_36merge_oddeven_config_static_selectorELNS0_4arch9wavefront6targetE0EEEvSG_.has_recursion, 0
	.set _ZN7rocprim17ROCPRIM_400000_NS6detail17trampoline_kernelINS0_14default_configENS1_38merge_sort_block_merge_config_selectorI12hip_bfloat16NS0_10empty_typeEEEZZNS1_27merge_sort_block_merge_implIS3_PS5_PS6_jNS1_19radix_merge_compareILb1ELb0ES5_NS0_19identity_decomposerEEEEE10hipError_tT0_T1_T2_jT3_P12ihipStream_tbPNSt15iterator_traitsISF_E10value_typeEPNSL_ISG_E10value_typeEPSH_NS1_7vsmem_tEENKUlT_SF_SG_SH_E_clIS9_S9_SA_SA_EESE_SU_SF_SG_SH_EUlSU_E1_NS1_11comp_targetILNS1_3genE10ELNS1_11target_archE1201ELNS1_3gpuE5ELNS1_3repE0EEENS1_36merge_oddeven_config_static_selectorELNS0_4arch9wavefront6targetE0EEEvSG_.has_indirect_call, 0
	.section	.AMDGPU.csdata,"",@progbits
; Kernel info:
; codeLenInByte = 0
; TotalNumSgprs: 0
; NumVgprs: 0
; ScratchSize: 0
; MemoryBound: 0
; FloatMode: 240
; IeeeMode: 1
; LDSByteSize: 0 bytes/workgroup (compile time only)
; SGPRBlocks: 0
; VGPRBlocks: 0
; NumSGPRsForWavesPerEU: 1
; NumVGPRsForWavesPerEU: 1
; NamedBarCnt: 0
; Occupancy: 16
; WaveLimiterHint : 0
; COMPUTE_PGM_RSRC2:SCRATCH_EN: 0
; COMPUTE_PGM_RSRC2:USER_SGPR: 2
; COMPUTE_PGM_RSRC2:TRAP_HANDLER: 0
; COMPUTE_PGM_RSRC2:TGID_X_EN: 1
; COMPUTE_PGM_RSRC2:TGID_Y_EN: 0
; COMPUTE_PGM_RSRC2:TGID_Z_EN: 0
; COMPUTE_PGM_RSRC2:TIDIG_COMP_CNT: 0
	.section	.text._ZN7rocprim17ROCPRIM_400000_NS6detail17trampoline_kernelINS0_14default_configENS1_38merge_sort_block_merge_config_selectorI12hip_bfloat16NS0_10empty_typeEEEZZNS1_27merge_sort_block_merge_implIS3_PS5_PS6_jNS1_19radix_merge_compareILb1ELb0ES5_NS0_19identity_decomposerEEEEE10hipError_tT0_T1_T2_jT3_P12ihipStream_tbPNSt15iterator_traitsISF_E10value_typeEPNSL_ISG_E10value_typeEPSH_NS1_7vsmem_tEENKUlT_SF_SG_SH_E_clIS9_S9_SA_SA_EESE_SU_SF_SG_SH_EUlSU_E1_NS1_11comp_targetILNS1_3genE5ELNS1_11target_archE942ELNS1_3gpuE9ELNS1_3repE0EEENS1_36merge_oddeven_config_static_selectorELNS0_4arch9wavefront6targetE0EEEvSG_,"axG",@progbits,_ZN7rocprim17ROCPRIM_400000_NS6detail17trampoline_kernelINS0_14default_configENS1_38merge_sort_block_merge_config_selectorI12hip_bfloat16NS0_10empty_typeEEEZZNS1_27merge_sort_block_merge_implIS3_PS5_PS6_jNS1_19radix_merge_compareILb1ELb0ES5_NS0_19identity_decomposerEEEEE10hipError_tT0_T1_T2_jT3_P12ihipStream_tbPNSt15iterator_traitsISF_E10value_typeEPNSL_ISG_E10value_typeEPSH_NS1_7vsmem_tEENKUlT_SF_SG_SH_E_clIS9_S9_SA_SA_EESE_SU_SF_SG_SH_EUlSU_E1_NS1_11comp_targetILNS1_3genE5ELNS1_11target_archE942ELNS1_3gpuE9ELNS1_3repE0EEENS1_36merge_oddeven_config_static_selectorELNS0_4arch9wavefront6targetE0EEEvSG_,comdat
	.protected	_ZN7rocprim17ROCPRIM_400000_NS6detail17trampoline_kernelINS0_14default_configENS1_38merge_sort_block_merge_config_selectorI12hip_bfloat16NS0_10empty_typeEEEZZNS1_27merge_sort_block_merge_implIS3_PS5_PS6_jNS1_19radix_merge_compareILb1ELb0ES5_NS0_19identity_decomposerEEEEE10hipError_tT0_T1_T2_jT3_P12ihipStream_tbPNSt15iterator_traitsISF_E10value_typeEPNSL_ISG_E10value_typeEPSH_NS1_7vsmem_tEENKUlT_SF_SG_SH_E_clIS9_S9_SA_SA_EESE_SU_SF_SG_SH_EUlSU_E1_NS1_11comp_targetILNS1_3genE5ELNS1_11target_archE942ELNS1_3gpuE9ELNS1_3repE0EEENS1_36merge_oddeven_config_static_selectorELNS0_4arch9wavefront6targetE0EEEvSG_ ; -- Begin function _ZN7rocprim17ROCPRIM_400000_NS6detail17trampoline_kernelINS0_14default_configENS1_38merge_sort_block_merge_config_selectorI12hip_bfloat16NS0_10empty_typeEEEZZNS1_27merge_sort_block_merge_implIS3_PS5_PS6_jNS1_19radix_merge_compareILb1ELb0ES5_NS0_19identity_decomposerEEEEE10hipError_tT0_T1_T2_jT3_P12ihipStream_tbPNSt15iterator_traitsISF_E10value_typeEPNSL_ISG_E10value_typeEPSH_NS1_7vsmem_tEENKUlT_SF_SG_SH_E_clIS9_S9_SA_SA_EESE_SU_SF_SG_SH_EUlSU_E1_NS1_11comp_targetILNS1_3genE5ELNS1_11target_archE942ELNS1_3gpuE9ELNS1_3repE0EEENS1_36merge_oddeven_config_static_selectorELNS0_4arch9wavefront6targetE0EEEvSG_
	.globl	_ZN7rocprim17ROCPRIM_400000_NS6detail17trampoline_kernelINS0_14default_configENS1_38merge_sort_block_merge_config_selectorI12hip_bfloat16NS0_10empty_typeEEEZZNS1_27merge_sort_block_merge_implIS3_PS5_PS6_jNS1_19radix_merge_compareILb1ELb0ES5_NS0_19identity_decomposerEEEEE10hipError_tT0_T1_T2_jT3_P12ihipStream_tbPNSt15iterator_traitsISF_E10value_typeEPNSL_ISG_E10value_typeEPSH_NS1_7vsmem_tEENKUlT_SF_SG_SH_E_clIS9_S9_SA_SA_EESE_SU_SF_SG_SH_EUlSU_E1_NS1_11comp_targetILNS1_3genE5ELNS1_11target_archE942ELNS1_3gpuE9ELNS1_3repE0EEENS1_36merge_oddeven_config_static_selectorELNS0_4arch9wavefront6targetE0EEEvSG_
	.p2align	8
	.type	_ZN7rocprim17ROCPRIM_400000_NS6detail17trampoline_kernelINS0_14default_configENS1_38merge_sort_block_merge_config_selectorI12hip_bfloat16NS0_10empty_typeEEEZZNS1_27merge_sort_block_merge_implIS3_PS5_PS6_jNS1_19radix_merge_compareILb1ELb0ES5_NS0_19identity_decomposerEEEEE10hipError_tT0_T1_T2_jT3_P12ihipStream_tbPNSt15iterator_traitsISF_E10value_typeEPNSL_ISG_E10value_typeEPSH_NS1_7vsmem_tEENKUlT_SF_SG_SH_E_clIS9_S9_SA_SA_EESE_SU_SF_SG_SH_EUlSU_E1_NS1_11comp_targetILNS1_3genE5ELNS1_11target_archE942ELNS1_3gpuE9ELNS1_3repE0EEENS1_36merge_oddeven_config_static_selectorELNS0_4arch9wavefront6targetE0EEEvSG_,@function
_ZN7rocprim17ROCPRIM_400000_NS6detail17trampoline_kernelINS0_14default_configENS1_38merge_sort_block_merge_config_selectorI12hip_bfloat16NS0_10empty_typeEEEZZNS1_27merge_sort_block_merge_implIS3_PS5_PS6_jNS1_19radix_merge_compareILb1ELb0ES5_NS0_19identity_decomposerEEEEE10hipError_tT0_T1_T2_jT3_P12ihipStream_tbPNSt15iterator_traitsISF_E10value_typeEPNSL_ISG_E10value_typeEPSH_NS1_7vsmem_tEENKUlT_SF_SG_SH_E_clIS9_S9_SA_SA_EESE_SU_SF_SG_SH_EUlSU_E1_NS1_11comp_targetILNS1_3genE5ELNS1_11target_archE942ELNS1_3gpuE9ELNS1_3repE0EEENS1_36merge_oddeven_config_static_selectorELNS0_4arch9wavefront6targetE0EEEvSG_: ; @_ZN7rocprim17ROCPRIM_400000_NS6detail17trampoline_kernelINS0_14default_configENS1_38merge_sort_block_merge_config_selectorI12hip_bfloat16NS0_10empty_typeEEEZZNS1_27merge_sort_block_merge_implIS3_PS5_PS6_jNS1_19radix_merge_compareILb1ELb0ES5_NS0_19identity_decomposerEEEEE10hipError_tT0_T1_T2_jT3_P12ihipStream_tbPNSt15iterator_traitsISF_E10value_typeEPNSL_ISG_E10value_typeEPSH_NS1_7vsmem_tEENKUlT_SF_SG_SH_E_clIS9_S9_SA_SA_EESE_SU_SF_SG_SH_EUlSU_E1_NS1_11comp_targetILNS1_3genE5ELNS1_11target_archE942ELNS1_3gpuE9ELNS1_3repE0EEENS1_36merge_oddeven_config_static_selectorELNS0_4arch9wavefront6targetE0EEEvSG_
; %bb.0:
	.section	.rodata,"a",@progbits
	.p2align	6, 0x0
	.amdhsa_kernel _ZN7rocprim17ROCPRIM_400000_NS6detail17trampoline_kernelINS0_14default_configENS1_38merge_sort_block_merge_config_selectorI12hip_bfloat16NS0_10empty_typeEEEZZNS1_27merge_sort_block_merge_implIS3_PS5_PS6_jNS1_19radix_merge_compareILb1ELb0ES5_NS0_19identity_decomposerEEEEE10hipError_tT0_T1_T2_jT3_P12ihipStream_tbPNSt15iterator_traitsISF_E10value_typeEPNSL_ISG_E10value_typeEPSH_NS1_7vsmem_tEENKUlT_SF_SG_SH_E_clIS9_S9_SA_SA_EESE_SU_SF_SG_SH_EUlSU_E1_NS1_11comp_targetILNS1_3genE5ELNS1_11target_archE942ELNS1_3gpuE9ELNS1_3repE0EEENS1_36merge_oddeven_config_static_selectorELNS0_4arch9wavefront6targetE0EEEvSG_
		.amdhsa_group_segment_fixed_size 0
		.amdhsa_private_segment_fixed_size 0
		.amdhsa_kernarg_size 48
		.amdhsa_user_sgpr_count 2
		.amdhsa_user_sgpr_dispatch_ptr 0
		.amdhsa_user_sgpr_queue_ptr 0
		.amdhsa_user_sgpr_kernarg_segment_ptr 1
		.amdhsa_user_sgpr_dispatch_id 0
		.amdhsa_user_sgpr_kernarg_preload_length 0
		.amdhsa_user_sgpr_kernarg_preload_offset 0
		.amdhsa_user_sgpr_private_segment_size 0
		.amdhsa_wavefront_size32 1
		.amdhsa_uses_dynamic_stack 0
		.amdhsa_enable_private_segment 0
		.amdhsa_system_sgpr_workgroup_id_x 1
		.amdhsa_system_sgpr_workgroup_id_y 0
		.amdhsa_system_sgpr_workgroup_id_z 0
		.amdhsa_system_sgpr_workgroup_info 0
		.amdhsa_system_vgpr_workitem_id 0
		.amdhsa_next_free_vgpr 1
		.amdhsa_next_free_sgpr 1
		.amdhsa_named_barrier_count 0
		.amdhsa_reserve_vcc 0
		.amdhsa_float_round_mode_32 0
		.amdhsa_float_round_mode_16_64 0
		.amdhsa_float_denorm_mode_32 3
		.amdhsa_float_denorm_mode_16_64 3
		.amdhsa_fp16_overflow 0
		.amdhsa_memory_ordered 1
		.amdhsa_forward_progress 1
		.amdhsa_inst_pref_size 0
		.amdhsa_round_robin_scheduling 0
		.amdhsa_exception_fp_ieee_invalid_op 0
		.amdhsa_exception_fp_denorm_src 0
		.amdhsa_exception_fp_ieee_div_zero 0
		.amdhsa_exception_fp_ieee_overflow 0
		.amdhsa_exception_fp_ieee_underflow 0
		.amdhsa_exception_fp_ieee_inexact 0
		.amdhsa_exception_int_div_zero 0
	.end_amdhsa_kernel
	.section	.text._ZN7rocprim17ROCPRIM_400000_NS6detail17trampoline_kernelINS0_14default_configENS1_38merge_sort_block_merge_config_selectorI12hip_bfloat16NS0_10empty_typeEEEZZNS1_27merge_sort_block_merge_implIS3_PS5_PS6_jNS1_19radix_merge_compareILb1ELb0ES5_NS0_19identity_decomposerEEEEE10hipError_tT0_T1_T2_jT3_P12ihipStream_tbPNSt15iterator_traitsISF_E10value_typeEPNSL_ISG_E10value_typeEPSH_NS1_7vsmem_tEENKUlT_SF_SG_SH_E_clIS9_S9_SA_SA_EESE_SU_SF_SG_SH_EUlSU_E1_NS1_11comp_targetILNS1_3genE5ELNS1_11target_archE942ELNS1_3gpuE9ELNS1_3repE0EEENS1_36merge_oddeven_config_static_selectorELNS0_4arch9wavefront6targetE0EEEvSG_,"axG",@progbits,_ZN7rocprim17ROCPRIM_400000_NS6detail17trampoline_kernelINS0_14default_configENS1_38merge_sort_block_merge_config_selectorI12hip_bfloat16NS0_10empty_typeEEEZZNS1_27merge_sort_block_merge_implIS3_PS5_PS6_jNS1_19radix_merge_compareILb1ELb0ES5_NS0_19identity_decomposerEEEEE10hipError_tT0_T1_T2_jT3_P12ihipStream_tbPNSt15iterator_traitsISF_E10value_typeEPNSL_ISG_E10value_typeEPSH_NS1_7vsmem_tEENKUlT_SF_SG_SH_E_clIS9_S9_SA_SA_EESE_SU_SF_SG_SH_EUlSU_E1_NS1_11comp_targetILNS1_3genE5ELNS1_11target_archE942ELNS1_3gpuE9ELNS1_3repE0EEENS1_36merge_oddeven_config_static_selectorELNS0_4arch9wavefront6targetE0EEEvSG_,comdat
.Lfunc_end1924:
	.size	_ZN7rocprim17ROCPRIM_400000_NS6detail17trampoline_kernelINS0_14default_configENS1_38merge_sort_block_merge_config_selectorI12hip_bfloat16NS0_10empty_typeEEEZZNS1_27merge_sort_block_merge_implIS3_PS5_PS6_jNS1_19radix_merge_compareILb1ELb0ES5_NS0_19identity_decomposerEEEEE10hipError_tT0_T1_T2_jT3_P12ihipStream_tbPNSt15iterator_traitsISF_E10value_typeEPNSL_ISG_E10value_typeEPSH_NS1_7vsmem_tEENKUlT_SF_SG_SH_E_clIS9_S9_SA_SA_EESE_SU_SF_SG_SH_EUlSU_E1_NS1_11comp_targetILNS1_3genE5ELNS1_11target_archE942ELNS1_3gpuE9ELNS1_3repE0EEENS1_36merge_oddeven_config_static_selectorELNS0_4arch9wavefront6targetE0EEEvSG_, .Lfunc_end1924-_ZN7rocprim17ROCPRIM_400000_NS6detail17trampoline_kernelINS0_14default_configENS1_38merge_sort_block_merge_config_selectorI12hip_bfloat16NS0_10empty_typeEEEZZNS1_27merge_sort_block_merge_implIS3_PS5_PS6_jNS1_19radix_merge_compareILb1ELb0ES5_NS0_19identity_decomposerEEEEE10hipError_tT0_T1_T2_jT3_P12ihipStream_tbPNSt15iterator_traitsISF_E10value_typeEPNSL_ISG_E10value_typeEPSH_NS1_7vsmem_tEENKUlT_SF_SG_SH_E_clIS9_S9_SA_SA_EESE_SU_SF_SG_SH_EUlSU_E1_NS1_11comp_targetILNS1_3genE5ELNS1_11target_archE942ELNS1_3gpuE9ELNS1_3repE0EEENS1_36merge_oddeven_config_static_selectorELNS0_4arch9wavefront6targetE0EEEvSG_
                                        ; -- End function
	.set _ZN7rocprim17ROCPRIM_400000_NS6detail17trampoline_kernelINS0_14default_configENS1_38merge_sort_block_merge_config_selectorI12hip_bfloat16NS0_10empty_typeEEEZZNS1_27merge_sort_block_merge_implIS3_PS5_PS6_jNS1_19radix_merge_compareILb1ELb0ES5_NS0_19identity_decomposerEEEEE10hipError_tT0_T1_T2_jT3_P12ihipStream_tbPNSt15iterator_traitsISF_E10value_typeEPNSL_ISG_E10value_typeEPSH_NS1_7vsmem_tEENKUlT_SF_SG_SH_E_clIS9_S9_SA_SA_EESE_SU_SF_SG_SH_EUlSU_E1_NS1_11comp_targetILNS1_3genE5ELNS1_11target_archE942ELNS1_3gpuE9ELNS1_3repE0EEENS1_36merge_oddeven_config_static_selectorELNS0_4arch9wavefront6targetE0EEEvSG_.num_vgpr, 0
	.set _ZN7rocprim17ROCPRIM_400000_NS6detail17trampoline_kernelINS0_14default_configENS1_38merge_sort_block_merge_config_selectorI12hip_bfloat16NS0_10empty_typeEEEZZNS1_27merge_sort_block_merge_implIS3_PS5_PS6_jNS1_19radix_merge_compareILb1ELb0ES5_NS0_19identity_decomposerEEEEE10hipError_tT0_T1_T2_jT3_P12ihipStream_tbPNSt15iterator_traitsISF_E10value_typeEPNSL_ISG_E10value_typeEPSH_NS1_7vsmem_tEENKUlT_SF_SG_SH_E_clIS9_S9_SA_SA_EESE_SU_SF_SG_SH_EUlSU_E1_NS1_11comp_targetILNS1_3genE5ELNS1_11target_archE942ELNS1_3gpuE9ELNS1_3repE0EEENS1_36merge_oddeven_config_static_selectorELNS0_4arch9wavefront6targetE0EEEvSG_.num_agpr, 0
	.set _ZN7rocprim17ROCPRIM_400000_NS6detail17trampoline_kernelINS0_14default_configENS1_38merge_sort_block_merge_config_selectorI12hip_bfloat16NS0_10empty_typeEEEZZNS1_27merge_sort_block_merge_implIS3_PS5_PS6_jNS1_19radix_merge_compareILb1ELb0ES5_NS0_19identity_decomposerEEEEE10hipError_tT0_T1_T2_jT3_P12ihipStream_tbPNSt15iterator_traitsISF_E10value_typeEPNSL_ISG_E10value_typeEPSH_NS1_7vsmem_tEENKUlT_SF_SG_SH_E_clIS9_S9_SA_SA_EESE_SU_SF_SG_SH_EUlSU_E1_NS1_11comp_targetILNS1_3genE5ELNS1_11target_archE942ELNS1_3gpuE9ELNS1_3repE0EEENS1_36merge_oddeven_config_static_selectorELNS0_4arch9wavefront6targetE0EEEvSG_.numbered_sgpr, 0
	.set _ZN7rocprim17ROCPRIM_400000_NS6detail17trampoline_kernelINS0_14default_configENS1_38merge_sort_block_merge_config_selectorI12hip_bfloat16NS0_10empty_typeEEEZZNS1_27merge_sort_block_merge_implIS3_PS5_PS6_jNS1_19radix_merge_compareILb1ELb0ES5_NS0_19identity_decomposerEEEEE10hipError_tT0_T1_T2_jT3_P12ihipStream_tbPNSt15iterator_traitsISF_E10value_typeEPNSL_ISG_E10value_typeEPSH_NS1_7vsmem_tEENKUlT_SF_SG_SH_E_clIS9_S9_SA_SA_EESE_SU_SF_SG_SH_EUlSU_E1_NS1_11comp_targetILNS1_3genE5ELNS1_11target_archE942ELNS1_3gpuE9ELNS1_3repE0EEENS1_36merge_oddeven_config_static_selectorELNS0_4arch9wavefront6targetE0EEEvSG_.num_named_barrier, 0
	.set _ZN7rocprim17ROCPRIM_400000_NS6detail17trampoline_kernelINS0_14default_configENS1_38merge_sort_block_merge_config_selectorI12hip_bfloat16NS0_10empty_typeEEEZZNS1_27merge_sort_block_merge_implIS3_PS5_PS6_jNS1_19radix_merge_compareILb1ELb0ES5_NS0_19identity_decomposerEEEEE10hipError_tT0_T1_T2_jT3_P12ihipStream_tbPNSt15iterator_traitsISF_E10value_typeEPNSL_ISG_E10value_typeEPSH_NS1_7vsmem_tEENKUlT_SF_SG_SH_E_clIS9_S9_SA_SA_EESE_SU_SF_SG_SH_EUlSU_E1_NS1_11comp_targetILNS1_3genE5ELNS1_11target_archE942ELNS1_3gpuE9ELNS1_3repE0EEENS1_36merge_oddeven_config_static_selectorELNS0_4arch9wavefront6targetE0EEEvSG_.private_seg_size, 0
	.set _ZN7rocprim17ROCPRIM_400000_NS6detail17trampoline_kernelINS0_14default_configENS1_38merge_sort_block_merge_config_selectorI12hip_bfloat16NS0_10empty_typeEEEZZNS1_27merge_sort_block_merge_implIS3_PS5_PS6_jNS1_19radix_merge_compareILb1ELb0ES5_NS0_19identity_decomposerEEEEE10hipError_tT0_T1_T2_jT3_P12ihipStream_tbPNSt15iterator_traitsISF_E10value_typeEPNSL_ISG_E10value_typeEPSH_NS1_7vsmem_tEENKUlT_SF_SG_SH_E_clIS9_S9_SA_SA_EESE_SU_SF_SG_SH_EUlSU_E1_NS1_11comp_targetILNS1_3genE5ELNS1_11target_archE942ELNS1_3gpuE9ELNS1_3repE0EEENS1_36merge_oddeven_config_static_selectorELNS0_4arch9wavefront6targetE0EEEvSG_.uses_vcc, 0
	.set _ZN7rocprim17ROCPRIM_400000_NS6detail17trampoline_kernelINS0_14default_configENS1_38merge_sort_block_merge_config_selectorI12hip_bfloat16NS0_10empty_typeEEEZZNS1_27merge_sort_block_merge_implIS3_PS5_PS6_jNS1_19radix_merge_compareILb1ELb0ES5_NS0_19identity_decomposerEEEEE10hipError_tT0_T1_T2_jT3_P12ihipStream_tbPNSt15iterator_traitsISF_E10value_typeEPNSL_ISG_E10value_typeEPSH_NS1_7vsmem_tEENKUlT_SF_SG_SH_E_clIS9_S9_SA_SA_EESE_SU_SF_SG_SH_EUlSU_E1_NS1_11comp_targetILNS1_3genE5ELNS1_11target_archE942ELNS1_3gpuE9ELNS1_3repE0EEENS1_36merge_oddeven_config_static_selectorELNS0_4arch9wavefront6targetE0EEEvSG_.uses_flat_scratch, 0
	.set _ZN7rocprim17ROCPRIM_400000_NS6detail17trampoline_kernelINS0_14default_configENS1_38merge_sort_block_merge_config_selectorI12hip_bfloat16NS0_10empty_typeEEEZZNS1_27merge_sort_block_merge_implIS3_PS5_PS6_jNS1_19radix_merge_compareILb1ELb0ES5_NS0_19identity_decomposerEEEEE10hipError_tT0_T1_T2_jT3_P12ihipStream_tbPNSt15iterator_traitsISF_E10value_typeEPNSL_ISG_E10value_typeEPSH_NS1_7vsmem_tEENKUlT_SF_SG_SH_E_clIS9_S9_SA_SA_EESE_SU_SF_SG_SH_EUlSU_E1_NS1_11comp_targetILNS1_3genE5ELNS1_11target_archE942ELNS1_3gpuE9ELNS1_3repE0EEENS1_36merge_oddeven_config_static_selectorELNS0_4arch9wavefront6targetE0EEEvSG_.has_dyn_sized_stack, 0
	.set _ZN7rocprim17ROCPRIM_400000_NS6detail17trampoline_kernelINS0_14default_configENS1_38merge_sort_block_merge_config_selectorI12hip_bfloat16NS0_10empty_typeEEEZZNS1_27merge_sort_block_merge_implIS3_PS5_PS6_jNS1_19radix_merge_compareILb1ELb0ES5_NS0_19identity_decomposerEEEEE10hipError_tT0_T1_T2_jT3_P12ihipStream_tbPNSt15iterator_traitsISF_E10value_typeEPNSL_ISG_E10value_typeEPSH_NS1_7vsmem_tEENKUlT_SF_SG_SH_E_clIS9_S9_SA_SA_EESE_SU_SF_SG_SH_EUlSU_E1_NS1_11comp_targetILNS1_3genE5ELNS1_11target_archE942ELNS1_3gpuE9ELNS1_3repE0EEENS1_36merge_oddeven_config_static_selectorELNS0_4arch9wavefront6targetE0EEEvSG_.has_recursion, 0
	.set _ZN7rocprim17ROCPRIM_400000_NS6detail17trampoline_kernelINS0_14default_configENS1_38merge_sort_block_merge_config_selectorI12hip_bfloat16NS0_10empty_typeEEEZZNS1_27merge_sort_block_merge_implIS3_PS5_PS6_jNS1_19radix_merge_compareILb1ELb0ES5_NS0_19identity_decomposerEEEEE10hipError_tT0_T1_T2_jT3_P12ihipStream_tbPNSt15iterator_traitsISF_E10value_typeEPNSL_ISG_E10value_typeEPSH_NS1_7vsmem_tEENKUlT_SF_SG_SH_E_clIS9_S9_SA_SA_EESE_SU_SF_SG_SH_EUlSU_E1_NS1_11comp_targetILNS1_3genE5ELNS1_11target_archE942ELNS1_3gpuE9ELNS1_3repE0EEENS1_36merge_oddeven_config_static_selectorELNS0_4arch9wavefront6targetE0EEEvSG_.has_indirect_call, 0
	.section	.AMDGPU.csdata,"",@progbits
; Kernel info:
; codeLenInByte = 0
; TotalNumSgprs: 0
; NumVgprs: 0
; ScratchSize: 0
; MemoryBound: 0
; FloatMode: 240
; IeeeMode: 1
; LDSByteSize: 0 bytes/workgroup (compile time only)
; SGPRBlocks: 0
; VGPRBlocks: 0
; NumSGPRsForWavesPerEU: 1
; NumVGPRsForWavesPerEU: 1
; NamedBarCnt: 0
; Occupancy: 16
; WaveLimiterHint : 0
; COMPUTE_PGM_RSRC2:SCRATCH_EN: 0
; COMPUTE_PGM_RSRC2:USER_SGPR: 2
; COMPUTE_PGM_RSRC2:TRAP_HANDLER: 0
; COMPUTE_PGM_RSRC2:TGID_X_EN: 1
; COMPUTE_PGM_RSRC2:TGID_Y_EN: 0
; COMPUTE_PGM_RSRC2:TGID_Z_EN: 0
; COMPUTE_PGM_RSRC2:TIDIG_COMP_CNT: 0
	.section	.text._ZN7rocprim17ROCPRIM_400000_NS6detail17trampoline_kernelINS0_14default_configENS1_38merge_sort_block_merge_config_selectorI12hip_bfloat16NS0_10empty_typeEEEZZNS1_27merge_sort_block_merge_implIS3_PS5_PS6_jNS1_19radix_merge_compareILb1ELb0ES5_NS0_19identity_decomposerEEEEE10hipError_tT0_T1_T2_jT3_P12ihipStream_tbPNSt15iterator_traitsISF_E10value_typeEPNSL_ISG_E10value_typeEPSH_NS1_7vsmem_tEENKUlT_SF_SG_SH_E_clIS9_S9_SA_SA_EESE_SU_SF_SG_SH_EUlSU_E1_NS1_11comp_targetILNS1_3genE4ELNS1_11target_archE910ELNS1_3gpuE8ELNS1_3repE0EEENS1_36merge_oddeven_config_static_selectorELNS0_4arch9wavefront6targetE0EEEvSG_,"axG",@progbits,_ZN7rocprim17ROCPRIM_400000_NS6detail17trampoline_kernelINS0_14default_configENS1_38merge_sort_block_merge_config_selectorI12hip_bfloat16NS0_10empty_typeEEEZZNS1_27merge_sort_block_merge_implIS3_PS5_PS6_jNS1_19radix_merge_compareILb1ELb0ES5_NS0_19identity_decomposerEEEEE10hipError_tT0_T1_T2_jT3_P12ihipStream_tbPNSt15iterator_traitsISF_E10value_typeEPNSL_ISG_E10value_typeEPSH_NS1_7vsmem_tEENKUlT_SF_SG_SH_E_clIS9_S9_SA_SA_EESE_SU_SF_SG_SH_EUlSU_E1_NS1_11comp_targetILNS1_3genE4ELNS1_11target_archE910ELNS1_3gpuE8ELNS1_3repE0EEENS1_36merge_oddeven_config_static_selectorELNS0_4arch9wavefront6targetE0EEEvSG_,comdat
	.protected	_ZN7rocprim17ROCPRIM_400000_NS6detail17trampoline_kernelINS0_14default_configENS1_38merge_sort_block_merge_config_selectorI12hip_bfloat16NS0_10empty_typeEEEZZNS1_27merge_sort_block_merge_implIS3_PS5_PS6_jNS1_19radix_merge_compareILb1ELb0ES5_NS0_19identity_decomposerEEEEE10hipError_tT0_T1_T2_jT3_P12ihipStream_tbPNSt15iterator_traitsISF_E10value_typeEPNSL_ISG_E10value_typeEPSH_NS1_7vsmem_tEENKUlT_SF_SG_SH_E_clIS9_S9_SA_SA_EESE_SU_SF_SG_SH_EUlSU_E1_NS1_11comp_targetILNS1_3genE4ELNS1_11target_archE910ELNS1_3gpuE8ELNS1_3repE0EEENS1_36merge_oddeven_config_static_selectorELNS0_4arch9wavefront6targetE0EEEvSG_ ; -- Begin function _ZN7rocprim17ROCPRIM_400000_NS6detail17trampoline_kernelINS0_14default_configENS1_38merge_sort_block_merge_config_selectorI12hip_bfloat16NS0_10empty_typeEEEZZNS1_27merge_sort_block_merge_implIS3_PS5_PS6_jNS1_19radix_merge_compareILb1ELb0ES5_NS0_19identity_decomposerEEEEE10hipError_tT0_T1_T2_jT3_P12ihipStream_tbPNSt15iterator_traitsISF_E10value_typeEPNSL_ISG_E10value_typeEPSH_NS1_7vsmem_tEENKUlT_SF_SG_SH_E_clIS9_S9_SA_SA_EESE_SU_SF_SG_SH_EUlSU_E1_NS1_11comp_targetILNS1_3genE4ELNS1_11target_archE910ELNS1_3gpuE8ELNS1_3repE0EEENS1_36merge_oddeven_config_static_selectorELNS0_4arch9wavefront6targetE0EEEvSG_
	.globl	_ZN7rocprim17ROCPRIM_400000_NS6detail17trampoline_kernelINS0_14default_configENS1_38merge_sort_block_merge_config_selectorI12hip_bfloat16NS0_10empty_typeEEEZZNS1_27merge_sort_block_merge_implIS3_PS5_PS6_jNS1_19radix_merge_compareILb1ELb0ES5_NS0_19identity_decomposerEEEEE10hipError_tT0_T1_T2_jT3_P12ihipStream_tbPNSt15iterator_traitsISF_E10value_typeEPNSL_ISG_E10value_typeEPSH_NS1_7vsmem_tEENKUlT_SF_SG_SH_E_clIS9_S9_SA_SA_EESE_SU_SF_SG_SH_EUlSU_E1_NS1_11comp_targetILNS1_3genE4ELNS1_11target_archE910ELNS1_3gpuE8ELNS1_3repE0EEENS1_36merge_oddeven_config_static_selectorELNS0_4arch9wavefront6targetE0EEEvSG_
	.p2align	8
	.type	_ZN7rocprim17ROCPRIM_400000_NS6detail17trampoline_kernelINS0_14default_configENS1_38merge_sort_block_merge_config_selectorI12hip_bfloat16NS0_10empty_typeEEEZZNS1_27merge_sort_block_merge_implIS3_PS5_PS6_jNS1_19radix_merge_compareILb1ELb0ES5_NS0_19identity_decomposerEEEEE10hipError_tT0_T1_T2_jT3_P12ihipStream_tbPNSt15iterator_traitsISF_E10value_typeEPNSL_ISG_E10value_typeEPSH_NS1_7vsmem_tEENKUlT_SF_SG_SH_E_clIS9_S9_SA_SA_EESE_SU_SF_SG_SH_EUlSU_E1_NS1_11comp_targetILNS1_3genE4ELNS1_11target_archE910ELNS1_3gpuE8ELNS1_3repE0EEENS1_36merge_oddeven_config_static_selectorELNS0_4arch9wavefront6targetE0EEEvSG_,@function
_ZN7rocprim17ROCPRIM_400000_NS6detail17trampoline_kernelINS0_14default_configENS1_38merge_sort_block_merge_config_selectorI12hip_bfloat16NS0_10empty_typeEEEZZNS1_27merge_sort_block_merge_implIS3_PS5_PS6_jNS1_19radix_merge_compareILb1ELb0ES5_NS0_19identity_decomposerEEEEE10hipError_tT0_T1_T2_jT3_P12ihipStream_tbPNSt15iterator_traitsISF_E10value_typeEPNSL_ISG_E10value_typeEPSH_NS1_7vsmem_tEENKUlT_SF_SG_SH_E_clIS9_S9_SA_SA_EESE_SU_SF_SG_SH_EUlSU_E1_NS1_11comp_targetILNS1_3genE4ELNS1_11target_archE910ELNS1_3gpuE8ELNS1_3repE0EEENS1_36merge_oddeven_config_static_selectorELNS0_4arch9wavefront6targetE0EEEvSG_: ; @_ZN7rocprim17ROCPRIM_400000_NS6detail17trampoline_kernelINS0_14default_configENS1_38merge_sort_block_merge_config_selectorI12hip_bfloat16NS0_10empty_typeEEEZZNS1_27merge_sort_block_merge_implIS3_PS5_PS6_jNS1_19radix_merge_compareILb1ELb0ES5_NS0_19identity_decomposerEEEEE10hipError_tT0_T1_T2_jT3_P12ihipStream_tbPNSt15iterator_traitsISF_E10value_typeEPNSL_ISG_E10value_typeEPSH_NS1_7vsmem_tEENKUlT_SF_SG_SH_E_clIS9_S9_SA_SA_EESE_SU_SF_SG_SH_EUlSU_E1_NS1_11comp_targetILNS1_3genE4ELNS1_11target_archE910ELNS1_3gpuE8ELNS1_3repE0EEENS1_36merge_oddeven_config_static_selectorELNS0_4arch9wavefront6targetE0EEEvSG_
; %bb.0:
	.section	.rodata,"a",@progbits
	.p2align	6, 0x0
	.amdhsa_kernel _ZN7rocprim17ROCPRIM_400000_NS6detail17trampoline_kernelINS0_14default_configENS1_38merge_sort_block_merge_config_selectorI12hip_bfloat16NS0_10empty_typeEEEZZNS1_27merge_sort_block_merge_implIS3_PS5_PS6_jNS1_19radix_merge_compareILb1ELb0ES5_NS0_19identity_decomposerEEEEE10hipError_tT0_T1_T2_jT3_P12ihipStream_tbPNSt15iterator_traitsISF_E10value_typeEPNSL_ISG_E10value_typeEPSH_NS1_7vsmem_tEENKUlT_SF_SG_SH_E_clIS9_S9_SA_SA_EESE_SU_SF_SG_SH_EUlSU_E1_NS1_11comp_targetILNS1_3genE4ELNS1_11target_archE910ELNS1_3gpuE8ELNS1_3repE0EEENS1_36merge_oddeven_config_static_selectorELNS0_4arch9wavefront6targetE0EEEvSG_
		.amdhsa_group_segment_fixed_size 0
		.amdhsa_private_segment_fixed_size 0
		.amdhsa_kernarg_size 48
		.amdhsa_user_sgpr_count 2
		.amdhsa_user_sgpr_dispatch_ptr 0
		.amdhsa_user_sgpr_queue_ptr 0
		.amdhsa_user_sgpr_kernarg_segment_ptr 1
		.amdhsa_user_sgpr_dispatch_id 0
		.amdhsa_user_sgpr_kernarg_preload_length 0
		.amdhsa_user_sgpr_kernarg_preload_offset 0
		.amdhsa_user_sgpr_private_segment_size 0
		.amdhsa_wavefront_size32 1
		.amdhsa_uses_dynamic_stack 0
		.amdhsa_enable_private_segment 0
		.amdhsa_system_sgpr_workgroup_id_x 1
		.amdhsa_system_sgpr_workgroup_id_y 0
		.amdhsa_system_sgpr_workgroup_id_z 0
		.amdhsa_system_sgpr_workgroup_info 0
		.amdhsa_system_vgpr_workitem_id 0
		.amdhsa_next_free_vgpr 1
		.amdhsa_next_free_sgpr 1
		.amdhsa_named_barrier_count 0
		.amdhsa_reserve_vcc 0
		.amdhsa_float_round_mode_32 0
		.amdhsa_float_round_mode_16_64 0
		.amdhsa_float_denorm_mode_32 3
		.amdhsa_float_denorm_mode_16_64 3
		.amdhsa_fp16_overflow 0
		.amdhsa_memory_ordered 1
		.amdhsa_forward_progress 1
		.amdhsa_inst_pref_size 0
		.amdhsa_round_robin_scheduling 0
		.amdhsa_exception_fp_ieee_invalid_op 0
		.amdhsa_exception_fp_denorm_src 0
		.amdhsa_exception_fp_ieee_div_zero 0
		.amdhsa_exception_fp_ieee_overflow 0
		.amdhsa_exception_fp_ieee_underflow 0
		.amdhsa_exception_fp_ieee_inexact 0
		.amdhsa_exception_int_div_zero 0
	.end_amdhsa_kernel
	.section	.text._ZN7rocprim17ROCPRIM_400000_NS6detail17trampoline_kernelINS0_14default_configENS1_38merge_sort_block_merge_config_selectorI12hip_bfloat16NS0_10empty_typeEEEZZNS1_27merge_sort_block_merge_implIS3_PS5_PS6_jNS1_19radix_merge_compareILb1ELb0ES5_NS0_19identity_decomposerEEEEE10hipError_tT0_T1_T2_jT3_P12ihipStream_tbPNSt15iterator_traitsISF_E10value_typeEPNSL_ISG_E10value_typeEPSH_NS1_7vsmem_tEENKUlT_SF_SG_SH_E_clIS9_S9_SA_SA_EESE_SU_SF_SG_SH_EUlSU_E1_NS1_11comp_targetILNS1_3genE4ELNS1_11target_archE910ELNS1_3gpuE8ELNS1_3repE0EEENS1_36merge_oddeven_config_static_selectorELNS0_4arch9wavefront6targetE0EEEvSG_,"axG",@progbits,_ZN7rocprim17ROCPRIM_400000_NS6detail17trampoline_kernelINS0_14default_configENS1_38merge_sort_block_merge_config_selectorI12hip_bfloat16NS0_10empty_typeEEEZZNS1_27merge_sort_block_merge_implIS3_PS5_PS6_jNS1_19radix_merge_compareILb1ELb0ES5_NS0_19identity_decomposerEEEEE10hipError_tT0_T1_T2_jT3_P12ihipStream_tbPNSt15iterator_traitsISF_E10value_typeEPNSL_ISG_E10value_typeEPSH_NS1_7vsmem_tEENKUlT_SF_SG_SH_E_clIS9_S9_SA_SA_EESE_SU_SF_SG_SH_EUlSU_E1_NS1_11comp_targetILNS1_3genE4ELNS1_11target_archE910ELNS1_3gpuE8ELNS1_3repE0EEENS1_36merge_oddeven_config_static_selectorELNS0_4arch9wavefront6targetE0EEEvSG_,comdat
.Lfunc_end1925:
	.size	_ZN7rocprim17ROCPRIM_400000_NS6detail17trampoline_kernelINS0_14default_configENS1_38merge_sort_block_merge_config_selectorI12hip_bfloat16NS0_10empty_typeEEEZZNS1_27merge_sort_block_merge_implIS3_PS5_PS6_jNS1_19radix_merge_compareILb1ELb0ES5_NS0_19identity_decomposerEEEEE10hipError_tT0_T1_T2_jT3_P12ihipStream_tbPNSt15iterator_traitsISF_E10value_typeEPNSL_ISG_E10value_typeEPSH_NS1_7vsmem_tEENKUlT_SF_SG_SH_E_clIS9_S9_SA_SA_EESE_SU_SF_SG_SH_EUlSU_E1_NS1_11comp_targetILNS1_3genE4ELNS1_11target_archE910ELNS1_3gpuE8ELNS1_3repE0EEENS1_36merge_oddeven_config_static_selectorELNS0_4arch9wavefront6targetE0EEEvSG_, .Lfunc_end1925-_ZN7rocprim17ROCPRIM_400000_NS6detail17trampoline_kernelINS0_14default_configENS1_38merge_sort_block_merge_config_selectorI12hip_bfloat16NS0_10empty_typeEEEZZNS1_27merge_sort_block_merge_implIS3_PS5_PS6_jNS1_19radix_merge_compareILb1ELb0ES5_NS0_19identity_decomposerEEEEE10hipError_tT0_T1_T2_jT3_P12ihipStream_tbPNSt15iterator_traitsISF_E10value_typeEPNSL_ISG_E10value_typeEPSH_NS1_7vsmem_tEENKUlT_SF_SG_SH_E_clIS9_S9_SA_SA_EESE_SU_SF_SG_SH_EUlSU_E1_NS1_11comp_targetILNS1_3genE4ELNS1_11target_archE910ELNS1_3gpuE8ELNS1_3repE0EEENS1_36merge_oddeven_config_static_selectorELNS0_4arch9wavefront6targetE0EEEvSG_
                                        ; -- End function
	.set _ZN7rocprim17ROCPRIM_400000_NS6detail17trampoline_kernelINS0_14default_configENS1_38merge_sort_block_merge_config_selectorI12hip_bfloat16NS0_10empty_typeEEEZZNS1_27merge_sort_block_merge_implIS3_PS5_PS6_jNS1_19radix_merge_compareILb1ELb0ES5_NS0_19identity_decomposerEEEEE10hipError_tT0_T1_T2_jT3_P12ihipStream_tbPNSt15iterator_traitsISF_E10value_typeEPNSL_ISG_E10value_typeEPSH_NS1_7vsmem_tEENKUlT_SF_SG_SH_E_clIS9_S9_SA_SA_EESE_SU_SF_SG_SH_EUlSU_E1_NS1_11comp_targetILNS1_3genE4ELNS1_11target_archE910ELNS1_3gpuE8ELNS1_3repE0EEENS1_36merge_oddeven_config_static_selectorELNS0_4arch9wavefront6targetE0EEEvSG_.num_vgpr, 0
	.set _ZN7rocprim17ROCPRIM_400000_NS6detail17trampoline_kernelINS0_14default_configENS1_38merge_sort_block_merge_config_selectorI12hip_bfloat16NS0_10empty_typeEEEZZNS1_27merge_sort_block_merge_implIS3_PS5_PS6_jNS1_19radix_merge_compareILb1ELb0ES5_NS0_19identity_decomposerEEEEE10hipError_tT0_T1_T2_jT3_P12ihipStream_tbPNSt15iterator_traitsISF_E10value_typeEPNSL_ISG_E10value_typeEPSH_NS1_7vsmem_tEENKUlT_SF_SG_SH_E_clIS9_S9_SA_SA_EESE_SU_SF_SG_SH_EUlSU_E1_NS1_11comp_targetILNS1_3genE4ELNS1_11target_archE910ELNS1_3gpuE8ELNS1_3repE0EEENS1_36merge_oddeven_config_static_selectorELNS0_4arch9wavefront6targetE0EEEvSG_.num_agpr, 0
	.set _ZN7rocprim17ROCPRIM_400000_NS6detail17trampoline_kernelINS0_14default_configENS1_38merge_sort_block_merge_config_selectorI12hip_bfloat16NS0_10empty_typeEEEZZNS1_27merge_sort_block_merge_implIS3_PS5_PS6_jNS1_19radix_merge_compareILb1ELb0ES5_NS0_19identity_decomposerEEEEE10hipError_tT0_T1_T2_jT3_P12ihipStream_tbPNSt15iterator_traitsISF_E10value_typeEPNSL_ISG_E10value_typeEPSH_NS1_7vsmem_tEENKUlT_SF_SG_SH_E_clIS9_S9_SA_SA_EESE_SU_SF_SG_SH_EUlSU_E1_NS1_11comp_targetILNS1_3genE4ELNS1_11target_archE910ELNS1_3gpuE8ELNS1_3repE0EEENS1_36merge_oddeven_config_static_selectorELNS0_4arch9wavefront6targetE0EEEvSG_.numbered_sgpr, 0
	.set _ZN7rocprim17ROCPRIM_400000_NS6detail17trampoline_kernelINS0_14default_configENS1_38merge_sort_block_merge_config_selectorI12hip_bfloat16NS0_10empty_typeEEEZZNS1_27merge_sort_block_merge_implIS3_PS5_PS6_jNS1_19radix_merge_compareILb1ELb0ES5_NS0_19identity_decomposerEEEEE10hipError_tT0_T1_T2_jT3_P12ihipStream_tbPNSt15iterator_traitsISF_E10value_typeEPNSL_ISG_E10value_typeEPSH_NS1_7vsmem_tEENKUlT_SF_SG_SH_E_clIS9_S9_SA_SA_EESE_SU_SF_SG_SH_EUlSU_E1_NS1_11comp_targetILNS1_3genE4ELNS1_11target_archE910ELNS1_3gpuE8ELNS1_3repE0EEENS1_36merge_oddeven_config_static_selectorELNS0_4arch9wavefront6targetE0EEEvSG_.num_named_barrier, 0
	.set _ZN7rocprim17ROCPRIM_400000_NS6detail17trampoline_kernelINS0_14default_configENS1_38merge_sort_block_merge_config_selectorI12hip_bfloat16NS0_10empty_typeEEEZZNS1_27merge_sort_block_merge_implIS3_PS5_PS6_jNS1_19radix_merge_compareILb1ELb0ES5_NS0_19identity_decomposerEEEEE10hipError_tT0_T1_T2_jT3_P12ihipStream_tbPNSt15iterator_traitsISF_E10value_typeEPNSL_ISG_E10value_typeEPSH_NS1_7vsmem_tEENKUlT_SF_SG_SH_E_clIS9_S9_SA_SA_EESE_SU_SF_SG_SH_EUlSU_E1_NS1_11comp_targetILNS1_3genE4ELNS1_11target_archE910ELNS1_3gpuE8ELNS1_3repE0EEENS1_36merge_oddeven_config_static_selectorELNS0_4arch9wavefront6targetE0EEEvSG_.private_seg_size, 0
	.set _ZN7rocprim17ROCPRIM_400000_NS6detail17trampoline_kernelINS0_14default_configENS1_38merge_sort_block_merge_config_selectorI12hip_bfloat16NS0_10empty_typeEEEZZNS1_27merge_sort_block_merge_implIS3_PS5_PS6_jNS1_19radix_merge_compareILb1ELb0ES5_NS0_19identity_decomposerEEEEE10hipError_tT0_T1_T2_jT3_P12ihipStream_tbPNSt15iterator_traitsISF_E10value_typeEPNSL_ISG_E10value_typeEPSH_NS1_7vsmem_tEENKUlT_SF_SG_SH_E_clIS9_S9_SA_SA_EESE_SU_SF_SG_SH_EUlSU_E1_NS1_11comp_targetILNS1_3genE4ELNS1_11target_archE910ELNS1_3gpuE8ELNS1_3repE0EEENS1_36merge_oddeven_config_static_selectorELNS0_4arch9wavefront6targetE0EEEvSG_.uses_vcc, 0
	.set _ZN7rocprim17ROCPRIM_400000_NS6detail17trampoline_kernelINS0_14default_configENS1_38merge_sort_block_merge_config_selectorI12hip_bfloat16NS0_10empty_typeEEEZZNS1_27merge_sort_block_merge_implIS3_PS5_PS6_jNS1_19radix_merge_compareILb1ELb0ES5_NS0_19identity_decomposerEEEEE10hipError_tT0_T1_T2_jT3_P12ihipStream_tbPNSt15iterator_traitsISF_E10value_typeEPNSL_ISG_E10value_typeEPSH_NS1_7vsmem_tEENKUlT_SF_SG_SH_E_clIS9_S9_SA_SA_EESE_SU_SF_SG_SH_EUlSU_E1_NS1_11comp_targetILNS1_3genE4ELNS1_11target_archE910ELNS1_3gpuE8ELNS1_3repE0EEENS1_36merge_oddeven_config_static_selectorELNS0_4arch9wavefront6targetE0EEEvSG_.uses_flat_scratch, 0
	.set _ZN7rocprim17ROCPRIM_400000_NS6detail17trampoline_kernelINS0_14default_configENS1_38merge_sort_block_merge_config_selectorI12hip_bfloat16NS0_10empty_typeEEEZZNS1_27merge_sort_block_merge_implIS3_PS5_PS6_jNS1_19radix_merge_compareILb1ELb0ES5_NS0_19identity_decomposerEEEEE10hipError_tT0_T1_T2_jT3_P12ihipStream_tbPNSt15iterator_traitsISF_E10value_typeEPNSL_ISG_E10value_typeEPSH_NS1_7vsmem_tEENKUlT_SF_SG_SH_E_clIS9_S9_SA_SA_EESE_SU_SF_SG_SH_EUlSU_E1_NS1_11comp_targetILNS1_3genE4ELNS1_11target_archE910ELNS1_3gpuE8ELNS1_3repE0EEENS1_36merge_oddeven_config_static_selectorELNS0_4arch9wavefront6targetE0EEEvSG_.has_dyn_sized_stack, 0
	.set _ZN7rocprim17ROCPRIM_400000_NS6detail17trampoline_kernelINS0_14default_configENS1_38merge_sort_block_merge_config_selectorI12hip_bfloat16NS0_10empty_typeEEEZZNS1_27merge_sort_block_merge_implIS3_PS5_PS6_jNS1_19radix_merge_compareILb1ELb0ES5_NS0_19identity_decomposerEEEEE10hipError_tT0_T1_T2_jT3_P12ihipStream_tbPNSt15iterator_traitsISF_E10value_typeEPNSL_ISG_E10value_typeEPSH_NS1_7vsmem_tEENKUlT_SF_SG_SH_E_clIS9_S9_SA_SA_EESE_SU_SF_SG_SH_EUlSU_E1_NS1_11comp_targetILNS1_3genE4ELNS1_11target_archE910ELNS1_3gpuE8ELNS1_3repE0EEENS1_36merge_oddeven_config_static_selectorELNS0_4arch9wavefront6targetE0EEEvSG_.has_recursion, 0
	.set _ZN7rocprim17ROCPRIM_400000_NS6detail17trampoline_kernelINS0_14default_configENS1_38merge_sort_block_merge_config_selectorI12hip_bfloat16NS0_10empty_typeEEEZZNS1_27merge_sort_block_merge_implIS3_PS5_PS6_jNS1_19radix_merge_compareILb1ELb0ES5_NS0_19identity_decomposerEEEEE10hipError_tT0_T1_T2_jT3_P12ihipStream_tbPNSt15iterator_traitsISF_E10value_typeEPNSL_ISG_E10value_typeEPSH_NS1_7vsmem_tEENKUlT_SF_SG_SH_E_clIS9_S9_SA_SA_EESE_SU_SF_SG_SH_EUlSU_E1_NS1_11comp_targetILNS1_3genE4ELNS1_11target_archE910ELNS1_3gpuE8ELNS1_3repE0EEENS1_36merge_oddeven_config_static_selectorELNS0_4arch9wavefront6targetE0EEEvSG_.has_indirect_call, 0
	.section	.AMDGPU.csdata,"",@progbits
; Kernel info:
; codeLenInByte = 0
; TotalNumSgprs: 0
; NumVgprs: 0
; ScratchSize: 0
; MemoryBound: 0
; FloatMode: 240
; IeeeMode: 1
; LDSByteSize: 0 bytes/workgroup (compile time only)
; SGPRBlocks: 0
; VGPRBlocks: 0
; NumSGPRsForWavesPerEU: 1
; NumVGPRsForWavesPerEU: 1
; NamedBarCnt: 0
; Occupancy: 16
; WaveLimiterHint : 0
; COMPUTE_PGM_RSRC2:SCRATCH_EN: 0
; COMPUTE_PGM_RSRC2:USER_SGPR: 2
; COMPUTE_PGM_RSRC2:TRAP_HANDLER: 0
; COMPUTE_PGM_RSRC2:TGID_X_EN: 1
; COMPUTE_PGM_RSRC2:TGID_Y_EN: 0
; COMPUTE_PGM_RSRC2:TGID_Z_EN: 0
; COMPUTE_PGM_RSRC2:TIDIG_COMP_CNT: 0
	.section	.text._ZN7rocprim17ROCPRIM_400000_NS6detail17trampoline_kernelINS0_14default_configENS1_38merge_sort_block_merge_config_selectorI12hip_bfloat16NS0_10empty_typeEEEZZNS1_27merge_sort_block_merge_implIS3_PS5_PS6_jNS1_19radix_merge_compareILb1ELb0ES5_NS0_19identity_decomposerEEEEE10hipError_tT0_T1_T2_jT3_P12ihipStream_tbPNSt15iterator_traitsISF_E10value_typeEPNSL_ISG_E10value_typeEPSH_NS1_7vsmem_tEENKUlT_SF_SG_SH_E_clIS9_S9_SA_SA_EESE_SU_SF_SG_SH_EUlSU_E1_NS1_11comp_targetILNS1_3genE3ELNS1_11target_archE908ELNS1_3gpuE7ELNS1_3repE0EEENS1_36merge_oddeven_config_static_selectorELNS0_4arch9wavefront6targetE0EEEvSG_,"axG",@progbits,_ZN7rocprim17ROCPRIM_400000_NS6detail17trampoline_kernelINS0_14default_configENS1_38merge_sort_block_merge_config_selectorI12hip_bfloat16NS0_10empty_typeEEEZZNS1_27merge_sort_block_merge_implIS3_PS5_PS6_jNS1_19radix_merge_compareILb1ELb0ES5_NS0_19identity_decomposerEEEEE10hipError_tT0_T1_T2_jT3_P12ihipStream_tbPNSt15iterator_traitsISF_E10value_typeEPNSL_ISG_E10value_typeEPSH_NS1_7vsmem_tEENKUlT_SF_SG_SH_E_clIS9_S9_SA_SA_EESE_SU_SF_SG_SH_EUlSU_E1_NS1_11comp_targetILNS1_3genE3ELNS1_11target_archE908ELNS1_3gpuE7ELNS1_3repE0EEENS1_36merge_oddeven_config_static_selectorELNS0_4arch9wavefront6targetE0EEEvSG_,comdat
	.protected	_ZN7rocprim17ROCPRIM_400000_NS6detail17trampoline_kernelINS0_14default_configENS1_38merge_sort_block_merge_config_selectorI12hip_bfloat16NS0_10empty_typeEEEZZNS1_27merge_sort_block_merge_implIS3_PS5_PS6_jNS1_19radix_merge_compareILb1ELb0ES5_NS0_19identity_decomposerEEEEE10hipError_tT0_T1_T2_jT3_P12ihipStream_tbPNSt15iterator_traitsISF_E10value_typeEPNSL_ISG_E10value_typeEPSH_NS1_7vsmem_tEENKUlT_SF_SG_SH_E_clIS9_S9_SA_SA_EESE_SU_SF_SG_SH_EUlSU_E1_NS1_11comp_targetILNS1_3genE3ELNS1_11target_archE908ELNS1_3gpuE7ELNS1_3repE0EEENS1_36merge_oddeven_config_static_selectorELNS0_4arch9wavefront6targetE0EEEvSG_ ; -- Begin function _ZN7rocprim17ROCPRIM_400000_NS6detail17trampoline_kernelINS0_14default_configENS1_38merge_sort_block_merge_config_selectorI12hip_bfloat16NS0_10empty_typeEEEZZNS1_27merge_sort_block_merge_implIS3_PS5_PS6_jNS1_19radix_merge_compareILb1ELb0ES5_NS0_19identity_decomposerEEEEE10hipError_tT0_T1_T2_jT3_P12ihipStream_tbPNSt15iterator_traitsISF_E10value_typeEPNSL_ISG_E10value_typeEPSH_NS1_7vsmem_tEENKUlT_SF_SG_SH_E_clIS9_S9_SA_SA_EESE_SU_SF_SG_SH_EUlSU_E1_NS1_11comp_targetILNS1_3genE3ELNS1_11target_archE908ELNS1_3gpuE7ELNS1_3repE0EEENS1_36merge_oddeven_config_static_selectorELNS0_4arch9wavefront6targetE0EEEvSG_
	.globl	_ZN7rocprim17ROCPRIM_400000_NS6detail17trampoline_kernelINS0_14default_configENS1_38merge_sort_block_merge_config_selectorI12hip_bfloat16NS0_10empty_typeEEEZZNS1_27merge_sort_block_merge_implIS3_PS5_PS6_jNS1_19radix_merge_compareILb1ELb0ES5_NS0_19identity_decomposerEEEEE10hipError_tT0_T1_T2_jT3_P12ihipStream_tbPNSt15iterator_traitsISF_E10value_typeEPNSL_ISG_E10value_typeEPSH_NS1_7vsmem_tEENKUlT_SF_SG_SH_E_clIS9_S9_SA_SA_EESE_SU_SF_SG_SH_EUlSU_E1_NS1_11comp_targetILNS1_3genE3ELNS1_11target_archE908ELNS1_3gpuE7ELNS1_3repE0EEENS1_36merge_oddeven_config_static_selectorELNS0_4arch9wavefront6targetE0EEEvSG_
	.p2align	8
	.type	_ZN7rocprim17ROCPRIM_400000_NS6detail17trampoline_kernelINS0_14default_configENS1_38merge_sort_block_merge_config_selectorI12hip_bfloat16NS0_10empty_typeEEEZZNS1_27merge_sort_block_merge_implIS3_PS5_PS6_jNS1_19radix_merge_compareILb1ELb0ES5_NS0_19identity_decomposerEEEEE10hipError_tT0_T1_T2_jT3_P12ihipStream_tbPNSt15iterator_traitsISF_E10value_typeEPNSL_ISG_E10value_typeEPSH_NS1_7vsmem_tEENKUlT_SF_SG_SH_E_clIS9_S9_SA_SA_EESE_SU_SF_SG_SH_EUlSU_E1_NS1_11comp_targetILNS1_3genE3ELNS1_11target_archE908ELNS1_3gpuE7ELNS1_3repE0EEENS1_36merge_oddeven_config_static_selectorELNS0_4arch9wavefront6targetE0EEEvSG_,@function
_ZN7rocprim17ROCPRIM_400000_NS6detail17trampoline_kernelINS0_14default_configENS1_38merge_sort_block_merge_config_selectorI12hip_bfloat16NS0_10empty_typeEEEZZNS1_27merge_sort_block_merge_implIS3_PS5_PS6_jNS1_19radix_merge_compareILb1ELb0ES5_NS0_19identity_decomposerEEEEE10hipError_tT0_T1_T2_jT3_P12ihipStream_tbPNSt15iterator_traitsISF_E10value_typeEPNSL_ISG_E10value_typeEPSH_NS1_7vsmem_tEENKUlT_SF_SG_SH_E_clIS9_S9_SA_SA_EESE_SU_SF_SG_SH_EUlSU_E1_NS1_11comp_targetILNS1_3genE3ELNS1_11target_archE908ELNS1_3gpuE7ELNS1_3repE0EEENS1_36merge_oddeven_config_static_selectorELNS0_4arch9wavefront6targetE0EEEvSG_: ; @_ZN7rocprim17ROCPRIM_400000_NS6detail17trampoline_kernelINS0_14default_configENS1_38merge_sort_block_merge_config_selectorI12hip_bfloat16NS0_10empty_typeEEEZZNS1_27merge_sort_block_merge_implIS3_PS5_PS6_jNS1_19radix_merge_compareILb1ELb0ES5_NS0_19identity_decomposerEEEEE10hipError_tT0_T1_T2_jT3_P12ihipStream_tbPNSt15iterator_traitsISF_E10value_typeEPNSL_ISG_E10value_typeEPSH_NS1_7vsmem_tEENKUlT_SF_SG_SH_E_clIS9_S9_SA_SA_EESE_SU_SF_SG_SH_EUlSU_E1_NS1_11comp_targetILNS1_3genE3ELNS1_11target_archE908ELNS1_3gpuE7ELNS1_3repE0EEENS1_36merge_oddeven_config_static_selectorELNS0_4arch9wavefront6targetE0EEEvSG_
; %bb.0:
	.section	.rodata,"a",@progbits
	.p2align	6, 0x0
	.amdhsa_kernel _ZN7rocprim17ROCPRIM_400000_NS6detail17trampoline_kernelINS0_14default_configENS1_38merge_sort_block_merge_config_selectorI12hip_bfloat16NS0_10empty_typeEEEZZNS1_27merge_sort_block_merge_implIS3_PS5_PS6_jNS1_19radix_merge_compareILb1ELb0ES5_NS0_19identity_decomposerEEEEE10hipError_tT0_T1_T2_jT3_P12ihipStream_tbPNSt15iterator_traitsISF_E10value_typeEPNSL_ISG_E10value_typeEPSH_NS1_7vsmem_tEENKUlT_SF_SG_SH_E_clIS9_S9_SA_SA_EESE_SU_SF_SG_SH_EUlSU_E1_NS1_11comp_targetILNS1_3genE3ELNS1_11target_archE908ELNS1_3gpuE7ELNS1_3repE0EEENS1_36merge_oddeven_config_static_selectorELNS0_4arch9wavefront6targetE0EEEvSG_
		.amdhsa_group_segment_fixed_size 0
		.amdhsa_private_segment_fixed_size 0
		.amdhsa_kernarg_size 48
		.amdhsa_user_sgpr_count 2
		.amdhsa_user_sgpr_dispatch_ptr 0
		.amdhsa_user_sgpr_queue_ptr 0
		.amdhsa_user_sgpr_kernarg_segment_ptr 1
		.amdhsa_user_sgpr_dispatch_id 0
		.amdhsa_user_sgpr_kernarg_preload_length 0
		.amdhsa_user_sgpr_kernarg_preload_offset 0
		.amdhsa_user_sgpr_private_segment_size 0
		.amdhsa_wavefront_size32 1
		.amdhsa_uses_dynamic_stack 0
		.amdhsa_enable_private_segment 0
		.amdhsa_system_sgpr_workgroup_id_x 1
		.amdhsa_system_sgpr_workgroup_id_y 0
		.amdhsa_system_sgpr_workgroup_id_z 0
		.amdhsa_system_sgpr_workgroup_info 0
		.amdhsa_system_vgpr_workitem_id 0
		.amdhsa_next_free_vgpr 1
		.amdhsa_next_free_sgpr 1
		.amdhsa_named_barrier_count 0
		.amdhsa_reserve_vcc 0
		.amdhsa_float_round_mode_32 0
		.amdhsa_float_round_mode_16_64 0
		.amdhsa_float_denorm_mode_32 3
		.amdhsa_float_denorm_mode_16_64 3
		.amdhsa_fp16_overflow 0
		.amdhsa_memory_ordered 1
		.amdhsa_forward_progress 1
		.amdhsa_inst_pref_size 0
		.amdhsa_round_robin_scheduling 0
		.amdhsa_exception_fp_ieee_invalid_op 0
		.amdhsa_exception_fp_denorm_src 0
		.amdhsa_exception_fp_ieee_div_zero 0
		.amdhsa_exception_fp_ieee_overflow 0
		.amdhsa_exception_fp_ieee_underflow 0
		.amdhsa_exception_fp_ieee_inexact 0
		.amdhsa_exception_int_div_zero 0
	.end_amdhsa_kernel
	.section	.text._ZN7rocprim17ROCPRIM_400000_NS6detail17trampoline_kernelINS0_14default_configENS1_38merge_sort_block_merge_config_selectorI12hip_bfloat16NS0_10empty_typeEEEZZNS1_27merge_sort_block_merge_implIS3_PS5_PS6_jNS1_19radix_merge_compareILb1ELb0ES5_NS0_19identity_decomposerEEEEE10hipError_tT0_T1_T2_jT3_P12ihipStream_tbPNSt15iterator_traitsISF_E10value_typeEPNSL_ISG_E10value_typeEPSH_NS1_7vsmem_tEENKUlT_SF_SG_SH_E_clIS9_S9_SA_SA_EESE_SU_SF_SG_SH_EUlSU_E1_NS1_11comp_targetILNS1_3genE3ELNS1_11target_archE908ELNS1_3gpuE7ELNS1_3repE0EEENS1_36merge_oddeven_config_static_selectorELNS0_4arch9wavefront6targetE0EEEvSG_,"axG",@progbits,_ZN7rocprim17ROCPRIM_400000_NS6detail17trampoline_kernelINS0_14default_configENS1_38merge_sort_block_merge_config_selectorI12hip_bfloat16NS0_10empty_typeEEEZZNS1_27merge_sort_block_merge_implIS3_PS5_PS6_jNS1_19radix_merge_compareILb1ELb0ES5_NS0_19identity_decomposerEEEEE10hipError_tT0_T1_T2_jT3_P12ihipStream_tbPNSt15iterator_traitsISF_E10value_typeEPNSL_ISG_E10value_typeEPSH_NS1_7vsmem_tEENKUlT_SF_SG_SH_E_clIS9_S9_SA_SA_EESE_SU_SF_SG_SH_EUlSU_E1_NS1_11comp_targetILNS1_3genE3ELNS1_11target_archE908ELNS1_3gpuE7ELNS1_3repE0EEENS1_36merge_oddeven_config_static_selectorELNS0_4arch9wavefront6targetE0EEEvSG_,comdat
.Lfunc_end1926:
	.size	_ZN7rocprim17ROCPRIM_400000_NS6detail17trampoline_kernelINS0_14default_configENS1_38merge_sort_block_merge_config_selectorI12hip_bfloat16NS0_10empty_typeEEEZZNS1_27merge_sort_block_merge_implIS3_PS5_PS6_jNS1_19radix_merge_compareILb1ELb0ES5_NS0_19identity_decomposerEEEEE10hipError_tT0_T1_T2_jT3_P12ihipStream_tbPNSt15iterator_traitsISF_E10value_typeEPNSL_ISG_E10value_typeEPSH_NS1_7vsmem_tEENKUlT_SF_SG_SH_E_clIS9_S9_SA_SA_EESE_SU_SF_SG_SH_EUlSU_E1_NS1_11comp_targetILNS1_3genE3ELNS1_11target_archE908ELNS1_3gpuE7ELNS1_3repE0EEENS1_36merge_oddeven_config_static_selectorELNS0_4arch9wavefront6targetE0EEEvSG_, .Lfunc_end1926-_ZN7rocprim17ROCPRIM_400000_NS6detail17trampoline_kernelINS0_14default_configENS1_38merge_sort_block_merge_config_selectorI12hip_bfloat16NS0_10empty_typeEEEZZNS1_27merge_sort_block_merge_implIS3_PS5_PS6_jNS1_19radix_merge_compareILb1ELb0ES5_NS0_19identity_decomposerEEEEE10hipError_tT0_T1_T2_jT3_P12ihipStream_tbPNSt15iterator_traitsISF_E10value_typeEPNSL_ISG_E10value_typeEPSH_NS1_7vsmem_tEENKUlT_SF_SG_SH_E_clIS9_S9_SA_SA_EESE_SU_SF_SG_SH_EUlSU_E1_NS1_11comp_targetILNS1_3genE3ELNS1_11target_archE908ELNS1_3gpuE7ELNS1_3repE0EEENS1_36merge_oddeven_config_static_selectorELNS0_4arch9wavefront6targetE0EEEvSG_
                                        ; -- End function
	.set _ZN7rocprim17ROCPRIM_400000_NS6detail17trampoline_kernelINS0_14default_configENS1_38merge_sort_block_merge_config_selectorI12hip_bfloat16NS0_10empty_typeEEEZZNS1_27merge_sort_block_merge_implIS3_PS5_PS6_jNS1_19radix_merge_compareILb1ELb0ES5_NS0_19identity_decomposerEEEEE10hipError_tT0_T1_T2_jT3_P12ihipStream_tbPNSt15iterator_traitsISF_E10value_typeEPNSL_ISG_E10value_typeEPSH_NS1_7vsmem_tEENKUlT_SF_SG_SH_E_clIS9_S9_SA_SA_EESE_SU_SF_SG_SH_EUlSU_E1_NS1_11comp_targetILNS1_3genE3ELNS1_11target_archE908ELNS1_3gpuE7ELNS1_3repE0EEENS1_36merge_oddeven_config_static_selectorELNS0_4arch9wavefront6targetE0EEEvSG_.num_vgpr, 0
	.set _ZN7rocprim17ROCPRIM_400000_NS6detail17trampoline_kernelINS0_14default_configENS1_38merge_sort_block_merge_config_selectorI12hip_bfloat16NS0_10empty_typeEEEZZNS1_27merge_sort_block_merge_implIS3_PS5_PS6_jNS1_19radix_merge_compareILb1ELb0ES5_NS0_19identity_decomposerEEEEE10hipError_tT0_T1_T2_jT3_P12ihipStream_tbPNSt15iterator_traitsISF_E10value_typeEPNSL_ISG_E10value_typeEPSH_NS1_7vsmem_tEENKUlT_SF_SG_SH_E_clIS9_S9_SA_SA_EESE_SU_SF_SG_SH_EUlSU_E1_NS1_11comp_targetILNS1_3genE3ELNS1_11target_archE908ELNS1_3gpuE7ELNS1_3repE0EEENS1_36merge_oddeven_config_static_selectorELNS0_4arch9wavefront6targetE0EEEvSG_.num_agpr, 0
	.set _ZN7rocprim17ROCPRIM_400000_NS6detail17trampoline_kernelINS0_14default_configENS1_38merge_sort_block_merge_config_selectorI12hip_bfloat16NS0_10empty_typeEEEZZNS1_27merge_sort_block_merge_implIS3_PS5_PS6_jNS1_19radix_merge_compareILb1ELb0ES5_NS0_19identity_decomposerEEEEE10hipError_tT0_T1_T2_jT3_P12ihipStream_tbPNSt15iterator_traitsISF_E10value_typeEPNSL_ISG_E10value_typeEPSH_NS1_7vsmem_tEENKUlT_SF_SG_SH_E_clIS9_S9_SA_SA_EESE_SU_SF_SG_SH_EUlSU_E1_NS1_11comp_targetILNS1_3genE3ELNS1_11target_archE908ELNS1_3gpuE7ELNS1_3repE0EEENS1_36merge_oddeven_config_static_selectorELNS0_4arch9wavefront6targetE0EEEvSG_.numbered_sgpr, 0
	.set _ZN7rocprim17ROCPRIM_400000_NS6detail17trampoline_kernelINS0_14default_configENS1_38merge_sort_block_merge_config_selectorI12hip_bfloat16NS0_10empty_typeEEEZZNS1_27merge_sort_block_merge_implIS3_PS5_PS6_jNS1_19radix_merge_compareILb1ELb0ES5_NS0_19identity_decomposerEEEEE10hipError_tT0_T1_T2_jT3_P12ihipStream_tbPNSt15iterator_traitsISF_E10value_typeEPNSL_ISG_E10value_typeEPSH_NS1_7vsmem_tEENKUlT_SF_SG_SH_E_clIS9_S9_SA_SA_EESE_SU_SF_SG_SH_EUlSU_E1_NS1_11comp_targetILNS1_3genE3ELNS1_11target_archE908ELNS1_3gpuE7ELNS1_3repE0EEENS1_36merge_oddeven_config_static_selectorELNS0_4arch9wavefront6targetE0EEEvSG_.num_named_barrier, 0
	.set _ZN7rocprim17ROCPRIM_400000_NS6detail17trampoline_kernelINS0_14default_configENS1_38merge_sort_block_merge_config_selectorI12hip_bfloat16NS0_10empty_typeEEEZZNS1_27merge_sort_block_merge_implIS3_PS5_PS6_jNS1_19radix_merge_compareILb1ELb0ES5_NS0_19identity_decomposerEEEEE10hipError_tT0_T1_T2_jT3_P12ihipStream_tbPNSt15iterator_traitsISF_E10value_typeEPNSL_ISG_E10value_typeEPSH_NS1_7vsmem_tEENKUlT_SF_SG_SH_E_clIS9_S9_SA_SA_EESE_SU_SF_SG_SH_EUlSU_E1_NS1_11comp_targetILNS1_3genE3ELNS1_11target_archE908ELNS1_3gpuE7ELNS1_3repE0EEENS1_36merge_oddeven_config_static_selectorELNS0_4arch9wavefront6targetE0EEEvSG_.private_seg_size, 0
	.set _ZN7rocprim17ROCPRIM_400000_NS6detail17trampoline_kernelINS0_14default_configENS1_38merge_sort_block_merge_config_selectorI12hip_bfloat16NS0_10empty_typeEEEZZNS1_27merge_sort_block_merge_implIS3_PS5_PS6_jNS1_19radix_merge_compareILb1ELb0ES5_NS0_19identity_decomposerEEEEE10hipError_tT0_T1_T2_jT3_P12ihipStream_tbPNSt15iterator_traitsISF_E10value_typeEPNSL_ISG_E10value_typeEPSH_NS1_7vsmem_tEENKUlT_SF_SG_SH_E_clIS9_S9_SA_SA_EESE_SU_SF_SG_SH_EUlSU_E1_NS1_11comp_targetILNS1_3genE3ELNS1_11target_archE908ELNS1_3gpuE7ELNS1_3repE0EEENS1_36merge_oddeven_config_static_selectorELNS0_4arch9wavefront6targetE0EEEvSG_.uses_vcc, 0
	.set _ZN7rocprim17ROCPRIM_400000_NS6detail17trampoline_kernelINS0_14default_configENS1_38merge_sort_block_merge_config_selectorI12hip_bfloat16NS0_10empty_typeEEEZZNS1_27merge_sort_block_merge_implIS3_PS5_PS6_jNS1_19radix_merge_compareILb1ELb0ES5_NS0_19identity_decomposerEEEEE10hipError_tT0_T1_T2_jT3_P12ihipStream_tbPNSt15iterator_traitsISF_E10value_typeEPNSL_ISG_E10value_typeEPSH_NS1_7vsmem_tEENKUlT_SF_SG_SH_E_clIS9_S9_SA_SA_EESE_SU_SF_SG_SH_EUlSU_E1_NS1_11comp_targetILNS1_3genE3ELNS1_11target_archE908ELNS1_3gpuE7ELNS1_3repE0EEENS1_36merge_oddeven_config_static_selectorELNS0_4arch9wavefront6targetE0EEEvSG_.uses_flat_scratch, 0
	.set _ZN7rocprim17ROCPRIM_400000_NS6detail17trampoline_kernelINS0_14default_configENS1_38merge_sort_block_merge_config_selectorI12hip_bfloat16NS0_10empty_typeEEEZZNS1_27merge_sort_block_merge_implIS3_PS5_PS6_jNS1_19radix_merge_compareILb1ELb0ES5_NS0_19identity_decomposerEEEEE10hipError_tT0_T1_T2_jT3_P12ihipStream_tbPNSt15iterator_traitsISF_E10value_typeEPNSL_ISG_E10value_typeEPSH_NS1_7vsmem_tEENKUlT_SF_SG_SH_E_clIS9_S9_SA_SA_EESE_SU_SF_SG_SH_EUlSU_E1_NS1_11comp_targetILNS1_3genE3ELNS1_11target_archE908ELNS1_3gpuE7ELNS1_3repE0EEENS1_36merge_oddeven_config_static_selectorELNS0_4arch9wavefront6targetE0EEEvSG_.has_dyn_sized_stack, 0
	.set _ZN7rocprim17ROCPRIM_400000_NS6detail17trampoline_kernelINS0_14default_configENS1_38merge_sort_block_merge_config_selectorI12hip_bfloat16NS0_10empty_typeEEEZZNS1_27merge_sort_block_merge_implIS3_PS5_PS6_jNS1_19radix_merge_compareILb1ELb0ES5_NS0_19identity_decomposerEEEEE10hipError_tT0_T1_T2_jT3_P12ihipStream_tbPNSt15iterator_traitsISF_E10value_typeEPNSL_ISG_E10value_typeEPSH_NS1_7vsmem_tEENKUlT_SF_SG_SH_E_clIS9_S9_SA_SA_EESE_SU_SF_SG_SH_EUlSU_E1_NS1_11comp_targetILNS1_3genE3ELNS1_11target_archE908ELNS1_3gpuE7ELNS1_3repE0EEENS1_36merge_oddeven_config_static_selectorELNS0_4arch9wavefront6targetE0EEEvSG_.has_recursion, 0
	.set _ZN7rocprim17ROCPRIM_400000_NS6detail17trampoline_kernelINS0_14default_configENS1_38merge_sort_block_merge_config_selectorI12hip_bfloat16NS0_10empty_typeEEEZZNS1_27merge_sort_block_merge_implIS3_PS5_PS6_jNS1_19radix_merge_compareILb1ELb0ES5_NS0_19identity_decomposerEEEEE10hipError_tT0_T1_T2_jT3_P12ihipStream_tbPNSt15iterator_traitsISF_E10value_typeEPNSL_ISG_E10value_typeEPSH_NS1_7vsmem_tEENKUlT_SF_SG_SH_E_clIS9_S9_SA_SA_EESE_SU_SF_SG_SH_EUlSU_E1_NS1_11comp_targetILNS1_3genE3ELNS1_11target_archE908ELNS1_3gpuE7ELNS1_3repE0EEENS1_36merge_oddeven_config_static_selectorELNS0_4arch9wavefront6targetE0EEEvSG_.has_indirect_call, 0
	.section	.AMDGPU.csdata,"",@progbits
; Kernel info:
; codeLenInByte = 0
; TotalNumSgprs: 0
; NumVgprs: 0
; ScratchSize: 0
; MemoryBound: 0
; FloatMode: 240
; IeeeMode: 1
; LDSByteSize: 0 bytes/workgroup (compile time only)
; SGPRBlocks: 0
; VGPRBlocks: 0
; NumSGPRsForWavesPerEU: 1
; NumVGPRsForWavesPerEU: 1
; NamedBarCnt: 0
; Occupancy: 16
; WaveLimiterHint : 0
; COMPUTE_PGM_RSRC2:SCRATCH_EN: 0
; COMPUTE_PGM_RSRC2:USER_SGPR: 2
; COMPUTE_PGM_RSRC2:TRAP_HANDLER: 0
; COMPUTE_PGM_RSRC2:TGID_X_EN: 1
; COMPUTE_PGM_RSRC2:TGID_Y_EN: 0
; COMPUTE_PGM_RSRC2:TGID_Z_EN: 0
; COMPUTE_PGM_RSRC2:TIDIG_COMP_CNT: 0
	.section	.text._ZN7rocprim17ROCPRIM_400000_NS6detail17trampoline_kernelINS0_14default_configENS1_38merge_sort_block_merge_config_selectorI12hip_bfloat16NS0_10empty_typeEEEZZNS1_27merge_sort_block_merge_implIS3_PS5_PS6_jNS1_19radix_merge_compareILb1ELb0ES5_NS0_19identity_decomposerEEEEE10hipError_tT0_T1_T2_jT3_P12ihipStream_tbPNSt15iterator_traitsISF_E10value_typeEPNSL_ISG_E10value_typeEPSH_NS1_7vsmem_tEENKUlT_SF_SG_SH_E_clIS9_S9_SA_SA_EESE_SU_SF_SG_SH_EUlSU_E1_NS1_11comp_targetILNS1_3genE2ELNS1_11target_archE906ELNS1_3gpuE6ELNS1_3repE0EEENS1_36merge_oddeven_config_static_selectorELNS0_4arch9wavefront6targetE0EEEvSG_,"axG",@progbits,_ZN7rocprim17ROCPRIM_400000_NS6detail17trampoline_kernelINS0_14default_configENS1_38merge_sort_block_merge_config_selectorI12hip_bfloat16NS0_10empty_typeEEEZZNS1_27merge_sort_block_merge_implIS3_PS5_PS6_jNS1_19radix_merge_compareILb1ELb0ES5_NS0_19identity_decomposerEEEEE10hipError_tT0_T1_T2_jT3_P12ihipStream_tbPNSt15iterator_traitsISF_E10value_typeEPNSL_ISG_E10value_typeEPSH_NS1_7vsmem_tEENKUlT_SF_SG_SH_E_clIS9_S9_SA_SA_EESE_SU_SF_SG_SH_EUlSU_E1_NS1_11comp_targetILNS1_3genE2ELNS1_11target_archE906ELNS1_3gpuE6ELNS1_3repE0EEENS1_36merge_oddeven_config_static_selectorELNS0_4arch9wavefront6targetE0EEEvSG_,comdat
	.protected	_ZN7rocprim17ROCPRIM_400000_NS6detail17trampoline_kernelINS0_14default_configENS1_38merge_sort_block_merge_config_selectorI12hip_bfloat16NS0_10empty_typeEEEZZNS1_27merge_sort_block_merge_implIS3_PS5_PS6_jNS1_19radix_merge_compareILb1ELb0ES5_NS0_19identity_decomposerEEEEE10hipError_tT0_T1_T2_jT3_P12ihipStream_tbPNSt15iterator_traitsISF_E10value_typeEPNSL_ISG_E10value_typeEPSH_NS1_7vsmem_tEENKUlT_SF_SG_SH_E_clIS9_S9_SA_SA_EESE_SU_SF_SG_SH_EUlSU_E1_NS1_11comp_targetILNS1_3genE2ELNS1_11target_archE906ELNS1_3gpuE6ELNS1_3repE0EEENS1_36merge_oddeven_config_static_selectorELNS0_4arch9wavefront6targetE0EEEvSG_ ; -- Begin function _ZN7rocprim17ROCPRIM_400000_NS6detail17trampoline_kernelINS0_14default_configENS1_38merge_sort_block_merge_config_selectorI12hip_bfloat16NS0_10empty_typeEEEZZNS1_27merge_sort_block_merge_implIS3_PS5_PS6_jNS1_19radix_merge_compareILb1ELb0ES5_NS0_19identity_decomposerEEEEE10hipError_tT0_T1_T2_jT3_P12ihipStream_tbPNSt15iterator_traitsISF_E10value_typeEPNSL_ISG_E10value_typeEPSH_NS1_7vsmem_tEENKUlT_SF_SG_SH_E_clIS9_S9_SA_SA_EESE_SU_SF_SG_SH_EUlSU_E1_NS1_11comp_targetILNS1_3genE2ELNS1_11target_archE906ELNS1_3gpuE6ELNS1_3repE0EEENS1_36merge_oddeven_config_static_selectorELNS0_4arch9wavefront6targetE0EEEvSG_
	.globl	_ZN7rocprim17ROCPRIM_400000_NS6detail17trampoline_kernelINS0_14default_configENS1_38merge_sort_block_merge_config_selectorI12hip_bfloat16NS0_10empty_typeEEEZZNS1_27merge_sort_block_merge_implIS3_PS5_PS6_jNS1_19radix_merge_compareILb1ELb0ES5_NS0_19identity_decomposerEEEEE10hipError_tT0_T1_T2_jT3_P12ihipStream_tbPNSt15iterator_traitsISF_E10value_typeEPNSL_ISG_E10value_typeEPSH_NS1_7vsmem_tEENKUlT_SF_SG_SH_E_clIS9_S9_SA_SA_EESE_SU_SF_SG_SH_EUlSU_E1_NS1_11comp_targetILNS1_3genE2ELNS1_11target_archE906ELNS1_3gpuE6ELNS1_3repE0EEENS1_36merge_oddeven_config_static_selectorELNS0_4arch9wavefront6targetE0EEEvSG_
	.p2align	8
	.type	_ZN7rocprim17ROCPRIM_400000_NS6detail17trampoline_kernelINS0_14default_configENS1_38merge_sort_block_merge_config_selectorI12hip_bfloat16NS0_10empty_typeEEEZZNS1_27merge_sort_block_merge_implIS3_PS5_PS6_jNS1_19radix_merge_compareILb1ELb0ES5_NS0_19identity_decomposerEEEEE10hipError_tT0_T1_T2_jT3_P12ihipStream_tbPNSt15iterator_traitsISF_E10value_typeEPNSL_ISG_E10value_typeEPSH_NS1_7vsmem_tEENKUlT_SF_SG_SH_E_clIS9_S9_SA_SA_EESE_SU_SF_SG_SH_EUlSU_E1_NS1_11comp_targetILNS1_3genE2ELNS1_11target_archE906ELNS1_3gpuE6ELNS1_3repE0EEENS1_36merge_oddeven_config_static_selectorELNS0_4arch9wavefront6targetE0EEEvSG_,@function
_ZN7rocprim17ROCPRIM_400000_NS6detail17trampoline_kernelINS0_14default_configENS1_38merge_sort_block_merge_config_selectorI12hip_bfloat16NS0_10empty_typeEEEZZNS1_27merge_sort_block_merge_implIS3_PS5_PS6_jNS1_19radix_merge_compareILb1ELb0ES5_NS0_19identity_decomposerEEEEE10hipError_tT0_T1_T2_jT3_P12ihipStream_tbPNSt15iterator_traitsISF_E10value_typeEPNSL_ISG_E10value_typeEPSH_NS1_7vsmem_tEENKUlT_SF_SG_SH_E_clIS9_S9_SA_SA_EESE_SU_SF_SG_SH_EUlSU_E1_NS1_11comp_targetILNS1_3genE2ELNS1_11target_archE906ELNS1_3gpuE6ELNS1_3repE0EEENS1_36merge_oddeven_config_static_selectorELNS0_4arch9wavefront6targetE0EEEvSG_: ; @_ZN7rocprim17ROCPRIM_400000_NS6detail17trampoline_kernelINS0_14default_configENS1_38merge_sort_block_merge_config_selectorI12hip_bfloat16NS0_10empty_typeEEEZZNS1_27merge_sort_block_merge_implIS3_PS5_PS6_jNS1_19radix_merge_compareILb1ELb0ES5_NS0_19identity_decomposerEEEEE10hipError_tT0_T1_T2_jT3_P12ihipStream_tbPNSt15iterator_traitsISF_E10value_typeEPNSL_ISG_E10value_typeEPSH_NS1_7vsmem_tEENKUlT_SF_SG_SH_E_clIS9_S9_SA_SA_EESE_SU_SF_SG_SH_EUlSU_E1_NS1_11comp_targetILNS1_3genE2ELNS1_11target_archE906ELNS1_3gpuE6ELNS1_3repE0EEENS1_36merge_oddeven_config_static_selectorELNS0_4arch9wavefront6targetE0EEEvSG_
; %bb.0:
	.section	.rodata,"a",@progbits
	.p2align	6, 0x0
	.amdhsa_kernel _ZN7rocprim17ROCPRIM_400000_NS6detail17trampoline_kernelINS0_14default_configENS1_38merge_sort_block_merge_config_selectorI12hip_bfloat16NS0_10empty_typeEEEZZNS1_27merge_sort_block_merge_implIS3_PS5_PS6_jNS1_19radix_merge_compareILb1ELb0ES5_NS0_19identity_decomposerEEEEE10hipError_tT0_T1_T2_jT3_P12ihipStream_tbPNSt15iterator_traitsISF_E10value_typeEPNSL_ISG_E10value_typeEPSH_NS1_7vsmem_tEENKUlT_SF_SG_SH_E_clIS9_S9_SA_SA_EESE_SU_SF_SG_SH_EUlSU_E1_NS1_11comp_targetILNS1_3genE2ELNS1_11target_archE906ELNS1_3gpuE6ELNS1_3repE0EEENS1_36merge_oddeven_config_static_selectorELNS0_4arch9wavefront6targetE0EEEvSG_
		.amdhsa_group_segment_fixed_size 0
		.amdhsa_private_segment_fixed_size 0
		.amdhsa_kernarg_size 48
		.amdhsa_user_sgpr_count 2
		.amdhsa_user_sgpr_dispatch_ptr 0
		.amdhsa_user_sgpr_queue_ptr 0
		.amdhsa_user_sgpr_kernarg_segment_ptr 1
		.amdhsa_user_sgpr_dispatch_id 0
		.amdhsa_user_sgpr_kernarg_preload_length 0
		.amdhsa_user_sgpr_kernarg_preload_offset 0
		.amdhsa_user_sgpr_private_segment_size 0
		.amdhsa_wavefront_size32 1
		.amdhsa_uses_dynamic_stack 0
		.amdhsa_enable_private_segment 0
		.amdhsa_system_sgpr_workgroup_id_x 1
		.amdhsa_system_sgpr_workgroup_id_y 0
		.amdhsa_system_sgpr_workgroup_id_z 0
		.amdhsa_system_sgpr_workgroup_info 0
		.amdhsa_system_vgpr_workitem_id 0
		.amdhsa_next_free_vgpr 1
		.amdhsa_next_free_sgpr 1
		.amdhsa_named_barrier_count 0
		.amdhsa_reserve_vcc 0
		.amdhsa_float_round_mode_32 0
		.amdhsa_float_round_mode_16_64 0
		.amdhsa_float_denorm_mode_32 3
		.amdhsa_float_denorm_mode_16_64 3
		.amdhsa_fp16_overflow 0
		.amdhsa_memory_ordered 1
		.amdhsa_forward_progress 1
		.amdhsa_inst_pref_size 0
		.amdhsa_round_robin_scheduling 0
		.amdhsa_exception_fp_ieee_invalid_op 0
		.amdhsa_exception_fp_denorm_src 0
		.amdhsa_exception_fp_ieee_div_zero 0
		.amdhsa_exception_fp_ieee_overflow 0
		.amdhsa_exception_fp_ieee_underflow 0
		.amdhsa_exception_fp_ieee_inexact 0
		.amdhsa_exception_int_div_zero 0
	.end_amdhsa_kernel
	.section	.text._ZN7rocprim17ROCPRIM_400000_NS6detail17trampoline_kernelINS0_14default_configENS1_38merge_sort_block_merge_config_selectorI12hip_bfloat16NS0_10empty_typeEEEZZNS1_27merge_sort_block_merge_implIS3_PS5_PS6_jNS1_19radix_merge_compareILb1ELb0ES5_NS0_19identity_decomposerEEEEE10hipError_tT0_T1_T2_jT3_P12ihipStream_tbPNSt15iterator_traitsISF_E10value_typeEPNSL_ISG_E10value_typeEPSH_NS1_7vsmem_tEENKUlT_SF_SG_SH_E_clIS9_S9_SA_SA_EESE_SU_SF_SG_SH_EUlSU_E1_NS1_11comp_targetILNS1_3genE2ELNS1_11target_archE906ELNS1_3gpuE6ELNS1_3repE0EEENS1_36merge_oddeven_config_static_selectorELNS0_4arch9wavefront6targetE0EEEvSG_,"axG",@progbits,_ZN7rocprim17ROCPRIM_400000_NS6detail17trampoline_kernelINS0_14default_configENS1_38merge_sort_block_merge_config_selectorI12hip_bfloat16NS0_10empty_typeEEEZZNS1_27merge_sort_block_merge_implIS3_PS5_PS6_jNS1_19radix_merge_compareILb1ELb0ES5_NS0_19identity_decomposerEEEEE10hipError_tT0_T1_T2_jT3_P12ihipStream_tbPNSt15iterator_traitsISF_E10value_typeEPNSL_ISG_E10value_typeEPSH_NS1_7vsmem_tEENKUlT_SF_SG_SH_E_clIS9_S9_SA_SA_EESE_SU_SF_SG_SH_EUlSU_E1_NS1_11comp_targetILNS1_3genE2ELNS1_11target_archE906ELNS1_3gpuE6ELNS1_3repE0EEENS1_36merge_oddeven_config_static_selectorELNS0_4arch9wavefront6targetE0EEEvSG_,comdat
.Lfunc_end1927:
	.size	_ZN7rocprim17ROCPRIM_400000_NS6detail17trampoline_kernelINS0_14default_configENS1_38merge_sort_block_merge_config_selectorI12hip_bfloat16NS0_10empty_typeEEEZZNS1_27merge_sort_block_merge_implIS3_PS5_PS6_jNS1_19radix_merge_compareILb1ELb0ES5_NS0_19identity_decomposerEEEEE10hipError_tT0_T1_T2_jT3_P12ihipStream_tbPNSt15iterator_traitsISF_E10value_typeEPNSL_ISG_E10value_typeEPSH_NS1_7vsmem_tEENKUlT_SF_SG_SH_E_clIS9_S9_SA_SA_EESE_SU_SF_SG_SH_EUlSU_E1_NS1_11comp_targetILNS1_3genE2ELNS1_11target_archE906ELNS1_3gpuE6ELNS1_3repE0EEENS1_36merge_oddeven_config_static_selectorELNS0_4arch9wavefront6targetE0EEEvSG_, .Lfunc_end1927-_ZN7rocprim17ROCPRIM_400000_NS6detail17trampoline_kernelINS0_14default_configENS1_38merge_sort_block_merge_config_selectorI12hip_bfloat16NS0_10empty_typeEEEZZNS1_27merge_sort_block_merge_implIS3_PS5_PS6_jNS1_19radix_merge_compareILb1ELb0ES5_NS0_19identity_decomposerEEEEE10hipError_tT0_T1_T2_jT3_P12ihipStream_tbPNSt15iterator_traitsISF_E10value_typeEPNSL_ISG_E10value_typeEPSH_NS1_7vsmem_tEENKUlT_SF_SG_SH_E_clIS9_S9_SA_SA_EESE_SU_SF_SG_SH_EUlSU_E1_NS1_11comp_targetILNS1_3genE2ELNS1_11target_archE906ELNS1_3gpuE6ELNS1_3repE0EEENS1_36merge_oddeven_config_static_selectorELNS0_4arch9wavefront6targetE0EEEvSG_
                                        ; -- End function
	.set _ZN7rocprim17ROCPRIM_400000_NS6detail17trampoline_kernelINS0_14default_configENS1_38merge_sort_block_merge_config_selectorI12hip_bfloat16NS0_10empty_typeEEEZZNS1_27merge_sort_block_merge_implIS3_PS5_PS6_jNS1_19radix_merge_compareILb1ELb0ES5_NS0_19identity_decomposerEEEEE10hipError_tT0_T1_T2_jT3_P12ihipStream_tbPNSt15iterator_traitsISF_E10value_typeEPNSL_ISG_E10value_typeEPSH_NS1_7vsmem_tEENKUlT_SF_SG_SH_E_clIS9_S9_SA_SA_EESE_SU_SF_SG_SH_EUlSU_E1_NS1_11comp_targetILNS1_3genE2ELNS1_11target_archE906ELNS1_3gpuE6ELNS1_3repE0EEENS1_36merge_oddeven_config_static_selectorELNS0_4arch9wavefront6targetE0EEEvSG_.num_vgpr, 0
	.set _ZN7rocprim17ROCPRIM_400000_NS6detail17trampoline_kernelINS0_14default_configENS1_38merge_sort_block_merge_config_selectorI12hip_bfloat16NS0_10empty_typeEEEZZNS1_27merge_sort_block_merge_implIS3_PS5_PS6_jNS1_19radix_merge_compareILb1ELb0ES5_NS0_19identity_decomposerEEEEE10hipError_tT0_T1_T2_jT3_P12ihipStream_tbPNSt15iterator_traitsISF_E10value_typeEPNSL_ISG_E10value_typeEPSH_NS1_7vsmem_tEENKUlT_SF_SG_SH_E_clIS9_S9_SA_SA_EESE_SU_SF_SG_SH_EUlSU_E1_NS1_11comp_targetILNS1_3genE2ELNS1_11target_archE906ELNS1_3gpuE6ELNS1_3repE0EEENS1_36merge_oddeven_config_static_selectorELNS0_4arch9wavefront6targetE0EEEvSG_.num_agpr, 0
	.set _ZN7rocprim17ROCPRIM_400000_NS6detail17trampoline_kernelINS0_14default_configENS1_38merge_sort_block_merge_config_selectorI12hip_bfloat16NS0_10empty_typeEEEZZNS1_27merge_sort_block_merge_implIS3_PS5_PS6_jNS1_19radix_merge_compareILb1ELb0ES5_NS0_19identity_decomposerEEEEE10hipError_tT0_T1_T2_jT3_P12ihipStream_tbPNSt15iterator_traitsISF_E10value_typeEPNSL_ISG_E10value_typeEPSH_NS1_7vsmem_tEENKUlT_SF_SG_SH_E_clIS9_S9_SA_SA_EESE_SU_SF_SG_SH_EUlSU_E1_NS1_11comp_targetILNS1_3genE2ELNS1_11target_archE906ELNS1_3gpuE6ELNS1_3repE0EEENS1_36merge_oddeven_config_static_selectorELNS0_4arch9wavefront6targetE0EEEvSG_.numbered_sgpr, 0
	.set _ZN7rocprim17ROCPRIM_400000_NS6detail17trampoline_kernelINS0_14default_configENS1_38merge_sort_block_merge_config_selectorI12hip_bfloat16NS0_10empty_typeEEEZZNS1_27merge_sort_block_merge_implIS3_PS5_PS6_jNS1_19radix_merge_compareILb1ELb0ES5_NS0_19identity_decomposerEEEEE10hipError_tT0_T1_T2_jT3_P12ihipStream_tbPNSt15iterator_traitsISF_E10value_typeEPNSL_ISG_E10value_typeEPSH_NS1_7vsmem_tEENKUlT_SF_SG_SH_E_clIS9_S9_SA_SA_EESE_SU_SF_SG_SH_EUlSU_E1_NS1_11comp_targetILNS1_3genE2ELNS1_11target_archE906ELNS1_3gpuE6ELNS1_3repE0EEENS1_36merge_oddeven_config_static_selectorELNS0_4arch9wavefront6targetE0EEEvSG_.num_named_barrier, 0
	.set _ZN7rocprim17ROCPRIM_400000_NS6detail17trampoline_kernelINS0_14default_configENS1_38merge_sort_block_merge_config_selectorI12hip_bfloat16NS0_10empty_typeEEEZZNS1_27merge_sort_block_merge_implIS3_PS5_PS6_jNS1_19radix_merge_compareILb1ELb0ES5_NS0_19identity_decomposerEEEEE10hipError_tT0_T1_T2_jT3_P12ihipStream_tbPNSt15iterator_traitsISF_E10value_typeEPNSL_ISG_E10value_typeEPSH_NS1_7vsmem_tEENKUlT_SF_SG_SH_E_clIS9_S9_SA_SA_EESE_SU_SF_SG_SH_EUlSU_E1_NS1_11comp_targetILNS1_3genE2ELNS1_11target_archE906ELNS1_3gpuE6ELNS1_3repE0EEENS1_36merge_oddeven_config_static_selectorELNS0_4arch9wavefront6targetE0EEEvSG_.private_seg_size, 0
	.set _ZN7rocprim17ROCPRIM_400000_NS6detail17trampoline_kernelINS0_14default_configENS1_38merge_sort_block_merge_config_selectorI12hip_bfloat16NS0_10empty_typeEEEZZNS1_27merge_sort_block_merge_implIS3_PS5_PS6_jNS1_19radix_merge_compareILb1ELb0ES5_NS0_19identity_decomposerEEEEE10hipError_tT0_T1_T2_jT3_P12ihipStream_tbPNSt15iterator_traitsISF_E10value_typeEPNSL_ISG_E10value_typeEPSH_NS1_7vsmem_tEENKUlT_SF_SG_SH_E_clIS9_S9_SA_SA_EESE_SU_SF_SG_SH_EUlSU_E1_NS1_11comp_targetILNS1_3genE2ELNS1_11target_archE906ELNS1_3gpuE6ELNS1_3repE0EEENS1_36merge_oddeven_config_static_selectorELNS0_4arch9wavefront6targetE0EEEvSG_.uses_vcc, 0
	.set _ZN7rocprim17ROCPRIM_400000_NS6detail17trampoline_kernelINS0_14default_configENS1_38merge_sort_block_merge_config_selectorI12hip_bfloat16NS0_10empty_typeEEEZZNS1_27merge_sort_block_merge_implIS3_PS5_PS6_jNS1_19radix_merge_compareILb1ELb0ES5_NS0_19identity_decomposerEEEEE10hipError_tT0_T1_T2_jT3_P12ihipStream_tbPNSt15iterator_traitsISF_E10value_typeEPNSL_ISG_E10value_typeEPSH_NS1_7vsmem_tEENKUlT_SF_SG_SH_E_clIS9_S9_SA_SA_EESE_SU_SF_SG_SH_EUlSU_E1_NS1_11comp_targetILNS1_3genE2ELNS1_11target_archE906ELNS1_3gpuE6ELNS1_3repE0EEENS1_36merge_oddeven_config_static_selectorELNS0_4arch9wavefront6targetE0EEEvSG_.uses_flat_scratch, 0
	.set _ZN7rocprim17ROCPRIM_400000_NS6detail17trampoline_kernelINS0_14default_configENS1_38merge_sort_block_merge_config_selectorI12hip_bfloat16NS0_10empty_typeEEEZZNS1_27merge_sort_block_merge_implIS3_PS5_PS6_jNS1_19radix_merge_compareILb1ELb0ES5_NS0_19identity_decomposerEEEEE10hipError_tT0_T1_T2_jT3_P12ihipStream_tbPNSt15iterator_traitsISF_E10value_typeEPNSL_ISG_E10value_typeEPSH_NS1_7vsmem_tEENKUlT_SF_SG_SH_E_clIS9_S9_SA_SA_EESE_SU_SF_SG_SH_EUlSU_E1_NS1_11comp_targetILNS1_3genE2ELNS1_11target_archE906ELNS1_3gpuE6ELNS1_3repE0EEENS1_36merge_oddeven_config_static_selectorELNS0_4arch9wavefront6targetE0EEEvSG_.has_dyn_sized_stack, 0
	.set _ZN7rocprim17ROCPRIM_400000_NS6detail17trampoline_kernelINS0_14default_configENS1_38merge_sort_block_merge_config_selectorI12hip_bfloat16NS0_10empty_typeEEEZZNS1_27merge_sort_block_merge_implIS3_PS5_PS6_jNS1_19radix_merge_compareILb1ELb0ES5_NS0_19identity_decomposerEEEEE10hipError_tT0_T1_T2_jT3_P12ihipStream_tbPNSt15iterator_traitsISF_E10value_typeEPNSL_ISG_E10value_typeEPSH_NS1_7vsmem_tEENKUlT_SF_SG_SH_E_clIS9_S9_SA_SA_EESE_SU_SF_SG_SH_EUlSU_E1_NS1_11comp_targetILNS1_3genE2ELNS1_11target_archE906ELNS1_3gpuE6ELNS1_3repE0EEENS1_36merge_oddeven_config_static_selectorELNS0_4arch9wavefront6targetE0EEEvSG_.has_recursion, 0
	.set _ZN7rocprim17ROCPRIM_400000_NS6detail17trampoline_kernelINS0_14default_configENS1_38merge_sort_block_merge_config_selectorI12hip_bfloat16NS0_10empty_typeEEEZZNS1_27merge_sort_block_merge_implIS3_PS5_PS6_jNS1_19radix_merge_compareILb1ELb0ES5_NS0_19identity_decomposerEEEEE10hipError_tT0_T1_T2_jT3_P12ihipStream_tbPNSt15iterator_traitsISF_E10value_typeEPNSL_ISG_E10value_typeEPSH_NS1_7vsmem_tEENKUlT_SF_SG_SH_E_clIS9_S9_SA_SA_EESE_SU_SF_SG_SH_EUlSU_E1_NS1_11comp_targetILNS1_3genE2ELNS1_11target_archE906ELNS1_3gpuE6ELNS1_3repE0EEENS1_36merge_oddeven_config_static_selectorELNS0_4arch9wavefront6targetE0EEEvSG_.has_indirect_call, 0
	.section	.AMDGPU.csdata,"",@progbits
; Kernel info:
; codeLenInByte = 0
; TotalNumSgprs: 0
; NumVgprs: 0
; ScratchSize: 0
; MemoryBound: 0
; FloatMode: 240
; IeeeMode: 1
; LDSByteSize: 0 bytes/workgroup (compile time only)
; SGPRBlocks: 0
; VGPRBlocks: 0
; NumSGPRsForWavesPerEU: 1
; NumVGPRsForWavesPerEU: 1
; NamedBarCnt: 0
; Occupancy: 16
; WaveLimiterHint : 0
; COMPUTE_PGM_RSRC2:SCRATCH_EN: 0
; COMPUTE_PGM_RSRC2:USER_SGPR: 2
; COMPUTE_PGM_RSRC2:TRAP_HANDLER: 0
; COMPUTE_PGM_RSRC2:TGID_X_EN: 1
; COMPUTE_PGM_RSRC2:TGID_Y_EN: 0
; COMPUTE_PGM_RSRC2:TGID_Z_EN: 0
; COMPUTE_PGM_RSRC2:TIDIG_COMP_CNT: 0
	.section	.text._ZN7rocprim17ROCPRIM_400000_NS6detail17trampoline_kernelINS0_14default_configENS1_38merge_sort_block_merge_config_selectorI12hip_bfloat16NS0_10empty_typeEEEZZNS1_27merge_sort_block_merge_implIS3_PS5_PS6_jNS1_19radix_merge_compareILb1ELb0ES5_NS0_19identity_decomposerEEEEE10hipError_tT0_T1_T2_jT3_P12ihipStream_tbPNSt15iterator_traitsISF_E10value_typeEPNSL_ISG_E10value_typeEPSH_NS1_7vsmem_tEENKUlT_SF_SG_SH_E_clIS9_S9_SA_SA_EESE_SU_SF_SG_SH_EUlSU_E1_NS1_11comp_targetILNS1_3genE9ELNS1_11target_archE1100ELNS1_3gpuE3ELNS1_3repE0EEENS1_36merge_oddeven_config_static_selectorELNS0_4arch9wavefront6targetE0EEEvSG_,"axG",@progbits,_ZN7rocprim17ROCPRIM_400000_NS6detail17trampoline_kernelINS0_14default_configENS1_38merge_sort_block_merge_config_selectorI12hip_bfloat16NS0_10empty_typeEEEZZNS1_27merge_sort_block_merge_implIS3_PS5_PS6_jNS1_19radix_merge_compareILb1ELb0ES5_NS0_19identity_decomposerEEEEE10hipError_tT0_T1_T2_jT3_P12ihipStream_tbPNSt15iterator_traitsISF_E10value_typeEPNSL_ISG_E10value_typeEPSH_NS1_7vsmem_tEENKUlT_SF_SG_SH_E_clIS9_S9_SA_SA_EESE_SU_SF_SG_SH_EUlSU_E1_NS1_11comp_targetILNS1_3genE9ELNS1_11target_archE1100ELNS1_3gpuE3ELNS1_3repE0EEENS1_36merge_oddeven_config_static_selectorELNS0_4arch9wavefront6targetE0EEEvSG_,comdat
	.protected	_ZN7rocprim17ROCPRIM_400000_NS6detail17trampoline_kernelINS0_14default_configENS1_38merge_sort_block_merge_config_selectorI12hip_bfloat16NS0_10empty_typeEEEZZNS1_27merge_sort_block_merge_implIS3_PS5_PS6_jNS1_19radix_merge_compareILb1ELb0ES5_NS0_19identity_decomposerEEEEE10hipError_tT0_T1_T2_jT3_P12ihipStream_tbPNSt15iterator_traitsISF_E10value_typeEPNSL_ISG_E10value_typeEPSH_NS1_7vsmem_tEENKUlT_SF_SG_SH_E_clIS9_S9_SA_SA_EESE_SU_SF_SG_SH_EUlSU_E1_NS1_11comp_targetILNS1_3genE9ELNS1_11target_archE1100ELNS1_3gpuE3ELNS1_3repE0EEENS1_36merge_oddeven_config_static_selectorELNS0_4arch9wavefront6targetE0EEEvSG_ ; -- Begin function _ZN7rocprim17ROCPRIM_400000_NS6detail17trampoline_kernelINS0_14default_configENS1_38merge_sort_block_merge_config_selectorI12hip_bfloat16NS0_10empty_typeEEEZZNS1_27merge_sort_block_merge_implIS3_PS5_PS6_jNS1_19radix_merge_compareILb1ELb0ES5_NS0_19identity_decomposerEEEEE10hipError_tT0_T1_T2_jT3_P12ihipStream_tbPNSt15iterator_traitsISF_E10value_typeEPNSL_ISG_E10value_typeEPSH_NS1_7vsmem_tEENKUlT_SF_SG_SH_E_clIS9_S9_SA_SA_EESE_SU_SF_SG_SH_EUlSU_E1_NS1_11comp_targetILNS1_3genE9ELNS1_11target_archE1100ELNS1_3gpuE3ELNS1_3repE0EEENS1_36merge_oddeven_config_static_selectorELNS0_4arch9wavefront6targetE0EEEvSG_
	.globl	_ZN7rocprim17ROCPRIM_400000_NS6detail17trampoline_kernelINS0_14default_configENS1_38merge_sort_block_merge_config_selectorI12hip_bfloat16NS0_10empty_typeEEEZZNS1_27merge_sort_block_merge_implIS3_PS5_PS6_jNS1_19radix_merge_compareILb1ELb0ES5_NS0_19identity_decomposerEEEEE10hipError_tT0_T1_T2_jT3_P12ihipStream_tbPNSt15iterator_traitsISF_E10value_typeEPNSL_ISG_E10value_typeEPSH_NS1_7vsmem_tEENKUlT_SF_SG_SH_E_clIS9_S9_SA_SA_EESE_SU_SF_SG_SH_EUlSU_E1_NS1_11comp_targetILNS1_3genE9ELNS1_11target_archE1100ELNS1_3gpuE3ELNS1_3repE0EEENS1_36merge_oddeven_config_static_selectorELNS0_4arch9wavefront6targetE0EEEvSG_
	.p2align	8
	.type	_ZN7rocprim17ROCPRIM_400000_NS6detail17trampoline_kernelINS0_14default_configENS1_38merge_sort_block_merge_config_selectorI12hip_bfloat16NS0_10empty_typeEEEZZNS1_27merge_sort_block_merge_implIS3_PS5_PS6_jNS1_19radix_merge_compareILb1ELb0ES5_NS0_19identity_decomposerEEEEE10hipError_tT0_T1_T2_jT3_P12ihipStream_tbPNSt15iterator_traitsISF_E10value_typeEPNSL_ISG_E10value_typeEPSH_NS1_7vsmem_tEENKUlT_SF_SG_SH_E_clIS9_S9_SA_SA_EESE_SU_SF_SG_SH_EUlSU_E1_NS1_11comp_targetILNS1_3genE9ELNS1_11target_archE1100ELNS1_3gpuE3ELNS1_3repE0EEENS1_36merge_oddeven_config_static_selectorELNS0_4arch9wavefront6targetE0EEEvSG_,@function
_ZN7rocprim17ROCPRIM_400000_NS6detail17trampoline_kernelINS0_14default_configENS1_38merge_sort_block_merge_config_selectorI12hip_bfloat16NS0_10empty_typeEEEZZNS1_27merge_sort_block_merge_implIS3_PS5_PS6_jNS1_19radix_merge_compareILb1ELb0ES5_NS0_19identity_decomposerEEEEE10hipError_tT0_T1_T2_jT3_P12ihipStream_tbPNSt15iterator_traitsISF_E10value_typeEPNSL_ISG_E10value_typeEPSH_NS1_7vsmem_tEENKUlT_SF_SG_SH_E_clIS9_S9_SA_SA_EESE_SU_SF_SG_SH_EUlSU_E1_NS1_11comp_targetILNS1_3genE9ELNS1_11target_archE1100ELNS1_3gpuE3ELNS1_3repE0EEENS1_36merge_oddeven_config_static_selectorELNS0_4arch9wavefront6targetE0EEEvSG_: ; @_ZN7rocprim17ROCPRIM_400000_NS6detail17trampoline_kernelINS0_14default_configENS1_38merge_sort_block_merge_config_selectorI12hip_bfloat16NS0_10empty_typeEEEZZNS1_27merge_sort_block_merge_implIS3_PS5_PS6_jNS1_19radix_merge_compareILb1ELb0ES5_NS0_19identity_decomposerEEEEE10hipError_tT0_T1_T2_jT3_P12ihipStream_tbPNSt15iterator_traitsISF_E10value_typeEPNSL_ISG_E10value_typeEPSH_NS1_7vsmem_tEENKUlT_SF_SG_SH_E_clIS9_S9_SA_SA_EESE_SU_SF_SG_SH_EUlSU_E1_NS1_11comp_targetILNS1_3genE9ELNS1_11target_archE1100ELNS1_3gpuE3ELNS1_3repE0EEENS1_36merge_oddeven_config_static_selectorELNS0_4arch9wavefront6targetE0EEEvSG_
; %bb.0:
	.section	.rodata,"a",@progbits
	.p2align	6, 0x0
	.amdhsa_kernel _ZN7rocprim17ROCPRIM_400000_NS6detail17trampoline_kernelINS0_14default_configENS1_38merge_sort_block_merge_config_selectorI12hip_bfloat16NS0_10empty_typeEEEZZNS1_27merge_sort_block_merge_implIS3_PS5_PS6_jNS1_19radix_merge_compareILb1ELb0ES5_NS0_19identity_decomposerEEEEE10hipError_tT0_T1_T2_jT3_P12ihipStream_tbPNSt15iterator_traitsISF_E10value_typeEPNSL_ISG_E10value_typeEPSH_NS1_7vsmem_tEENKUlT_SF_SG_SH_E_clIS9_S9_SA_SA_EESE_SU_SF_SG_SH_EUlSU_E1_NS1_11comp_targetILNS1_3genE9ELNS1_11target_archE1100ELNS1_3gpuE3ELNS1_3repE0EEENS1_36merge_oddeven_config_static_selectorELNS0_4arch9wavefront6targetE0EEEvSG_
		.amdhsa_group_segment_fixed_size 0
		.amdhsa_private_segment_fixed_size 0
		.amdhsa_kernarg_size 48
		.amdhsa_user_sgpr_count 2
		.amdhsa_user_sgpr_dispatch_ptr 0
		.amdhsa_user_sgpr_queue_ptr 0
		.amdhsa_user_sgpr_kernarg_segment_ptr 1
		.amdhsa_user_sgpr_dispatch_id 0
		.amdhsa_user_sgpr_kernarg_preload_length 0
		.amdhsa_user_sgpr_kernarg_preload_offset 0
		.amdhsa_user_sgpr_private_segment_size 0
		.amdhsa_wavefront_size32 1
		.amdhsa_uses_dynamic_stack 0
		.amdhsa_enable_private_segment 0
		.amdhsa_system_sgpr_workgroup_id_x 1
		.amdhsa_system_sgpr_workgroup_id_y 0
		.amdhsa_system_sgpr_workgroup_id_z 0
		.amdhsa_system_sgpr_workgroup_info 0
		.amdhsa_system_vgpr_workitem_id 0
		.amdhsa_next_free_vgpr 1
		.amdhsa_next_free_sgpr 1
		.amdhsa_named_barrier_count 0
		.amdhsa_reserve_vcc 0
		.amdhsa_float_round_mode_32 0
		.amdhsa_float_round_mode_16_64 0
		.amdhsa_float_denorm_mode_32 3
		.amdhsa_float_denorm_mode_16_64 3
		.amdhsa_fp16_overflow 0
		.amdhsa_memory_ordered 1
		.amdhsa_forward_progress 1
		.amdhsa_inst_pref_size 0
		.amdhsa_round_robin_scheduling 0
		.amdhsa_exception_fp_ieee_invalid_op 0
		.amdhsa_exception_fp_denorm_src 0
		.amdhsa_exception_fp_ieee_div_zero 0
		.amdhsa_exception_fp_ieee_overflow 0
		.amdhsa_exception_fp_ieee_underflow 0
		.amdhsa_exception_fp_ieee_inexact 0
		.amdhsa_exception_int_div_zero 0
	.end_amdhsa_kernel
	.section	.text._ZN7rocprim17ROCPRIM_400000_NS6detail17trampoline_kernelINS0_14default_configENS1_38merge_sort_block_merge_config_selectorI12hip_bfloat16NS0_10empty_typeEEEZZNS1_27merge_sort_block_merge_implIS3_PS5_PS6_jNS1_19radix_merge_compareILb1ELb0ES5_NS0_19identity_decomposerEEEEE10hipError_tT0_T1_T2_jT3_P12ihipStream_tbPNSt15iterator_traitsISF_E10value_typeEPNSL_ISG_E10value_typeEPSH_NS1_7vsmem_tEENKUlT_SF_SG_SH_E_clIS9_S9_SA_SA_EESE_SU_SF_SG_SH_EUlSU_E1_NS1_11comp_targetILNS1_3genE9ELNS1_11target_archE1100ELNS1_3gpuE3ELNS1_3repE0EEENS1_36merge_oddeven_config_static_selectorELNS0_4arch9wavefront6targetE0EEEvSG_,"axG",@progbits,_ZN7rocprim17ROCPRIM_400000_NS6detail17trampoline_kernelINS0_14default_configENS1_38merge_sort_block_merge_config_selectorI12hip_bfloat16NS0_10empty_typeEEEZZNS1_27merge_sort_block_merge_implIS3_PS5_PS6_jNS1_19radix_merge_compareILb1ELb0ES5_NS0_19identity_decomposerEEEEE10hipError_tT0_T1_T2_jT3_P12ihipStream_tbPNSt15iterator_traitsISF_E10value_typeEPNSL_ISG_E10value_typeEPSH_NS1_7vsmem_tEENKUlT_SF_SG_SH_E_clIS9_S9_SA_SA_EESE_SU_SF_SG_SH_EUlSU_E1_NS1_11comp_targetILNS1_3genE9ELNS1_11target_archE1100ELNS1_3gpuE3ELNS1_3repE0EEENS1_36merge_oddeven_config_static_selectorELNS0_4arch9wavefront6targetE0EEEvSG_,comdat
.Lfunc_end1928:
	.size	_ZN7rocprim17ROCPRIM_400000_NS6detail17trampoline_kernelINS0_14default_configENS1_38merge_sort_block_merge_config_selectorI12hip_bfloat16NS0_10empty_typeEEEZZNS1_27merge_sort_block_merge_implIS3_PS5_PS6_jNS1_19radix_merge_compareILb1ELb0ES5_NS0_19identity_decomposerEEEEE10hipError_tT0_T1_T2_jT3_P12ihipStream_tbPNSt15iterator_traitsISF_E10value_typeEPNSL_ISG_E10value_typeEPSH_NS1_7vsmem_tEENKUlT_SF_SG_SH_E_clIS9_S9_SA_SA_EESE_SU_SF_SG_SH_EUlSU_E1_NS1_11comp_targetILNS1_3genE9ELNS1_11target_archE1100ELNS1_3gpuE3ELNS1_3repE0EEENS1_36merge_oddeven_config_static_selectorELNS0_4arch9wavefront6targetE0EEEvSG_, .Lfunc_end1928-_ZN7rocprim17ROCPRIM_400000_NS6detail17trampoline_kernelINS0_14default_configENS1_38merge_sort_block_merge_config_selectorI12hip_bfloat16NS0_10empty_typeEEEZZNS1_27merge_sort_block_merge_implIS3_PS5_PS6_jNS1_19radix_merge_compareILb1ELb0ES5_NS0_19identity_decomposerEEEEE10hipError_tT0_T1_T2_jT3_P12ihipStream_tbPNSt15iterator_traitsISF_E10value_typeEPNSL_ISG_E10value_typeEPSH_NS1_7vsmem_tEENKUlT_SF_SG_SH_E_clIS9_S9_SA_SA_EESE_SU_SF_SG_SH_EUlSU_E1_NS1_11comp_targetILNS1_3genE9ELNS1_11target_archE1100ELNS1_3gpuE3ELNS1_3repE0EEENS1_36merge_oddeven_config_static_selectorELNS0_4arch9wavefront6targetE0EEEvSG_
                                        ; -- End function
	.set _ZN7rocprim17ROCPRIM_400000_NS6detail17trampoline_kernelINS0_14default_configENS1_38merge_sort_block_merge_config_selectorI12hip_bfloat16NS0_10empty_typeEEEZZNS1_27merge_sort_block_merge_implIS3_PS5_PS6_jNS1_19radix_merge_compareILb1ELb0ES5_NS0_19identity_decomposerEEEEE10hipError_tT0_T1_T2_jT3_P12ihipStream_tbPNSt15iterator_traitsISF_E10value_typeEPNSL_ISG_E10value_typeEPSH_NS1_7vsmem_tEENKUlT_SF_SG_SH_E_clIS9_S9_SA_SA_EESE_SU_SF_SG_SH_EUlSU_E1_NS1_11comp_targetILNS1_3genE9ELNS1_11target_archE1100ELNS1_3gpuE3ELNS1_3repE0EEENS1_36merge_oddeven_config_static_selectorELNS0_4arch9wavefront6targetE0EEEvSG_.num_vgpr, 0
	.set _ZN7rocprim17ROCPRIM_400000_NS6detail17trampoline_kernelINS0_14default_configENS1_38merge_sort_block_merge_config_selectorI12hip_bfloat16NS0_10empty_typeEEEZZNS1_27merge_sort_block_merge_implIS3_PS5_PS6_jNS1_19radix_merge_compareILb1ELb0ES5_NS0_19identity_decomposerEEEEE10hipError_tT0_T1_T2_jT3_P12ihipStream_tbPNSt15iterator_traitsISF_E10value_typeEPNSL_ISG_E10value_typeEPSH_NS1_7vsmem_tEENKUlT_SF_SG_SH_E_clIS9_S9_SA_SA_EESE_SU_SF_SG_SH_EUlSU_E1_NS1_11comp_targetILNS1_3genE9ELNS1_11target_archE1100ELNS1_3gpuE3ELNS1_3repE0EEENS1_36merge_oddeven_config_static_selectorELNS0_4arch9wavefront6targetE0EEEvSG_.num_agpr, 0
	.set _ZN7rocprim17ROCPRIM_400000_NS6detail17trampoline_kernelINS0_14default_configENS1_38merge_sort_block_merge_config_selectorI12hip_bfloat16NS0_10empty_typeEEEZZNS1_27merge_sort_block_merge_implIS3_PS5_PS6_jNS1_19radix_merge_compareILb1ELb0ES5_NS0_19identity_decomposerEEEEE10hipError_tT0_T1_T2_jT3_P12ihipStream_tbPNSt15iterator_traitsISF_E10value_typeEPNSL_ISG_E10value_typeEPSH_NS1_7vsmem_tEENKUlT_SF_SG_SH_E_clIS9_S9_SA_SA_EESE_SU_SF_SG_SH_EUlSU_E1_NS1_11comp_targetILNS1_3genE9ELNS1_11target_archE1100ELNS1_3gpuE3ELNS1_3repE0EEENS1_36merge_oddeven_config_static_selectorELNS0_4arch9wavefront6targetE0EEEvSG_.numbered_sgpr, 0
	.set _ZN7rocprim17ROCPRIM_400000_NS6detail17trampoline_kernelINS0_14default_configENS1_38merge_sort_block_merge_config_selectorI12hip_bfloat16NS0_10empty_typeEEEZZNS1_27merge_sort_block_merge_implIS3_PS5_PS6_jNS1_19radix_merge_compareILb1ELb0ES5_NS0_19identity_decomposerEEEEE10hipError_tT0_T1_T2_jT3_P12ihipStream_tbPNSt15iterator_traitsISF_E10value_typeEPNSL_ISG_E10value_typeEPSH_NS1_7vsmem_tEENKUlT_SF_SG_SH_E_clIS9_S9_SA_SA_EESE_SU_SF_SG_SH_EUlSU_E1_NS1_11comp_targetILNS1_3genE9ELNS1_11target_archE1100ELNS1_3gpuE3ELNS1_3repE0EEENS1_36merge_oddeven_config_static_selectorELNS0_4arch9wavefront6targetE0EEEvSG_.num_named_barrier, 0
	.set _ZN7rocprim17ROCPRIM_400000_NS6detail17trampoline_kernelINS0_14default_configENS1_38merge_sort_block_merge_config_selectorI12hip_bfloat16NS0_10empty_typeEEEZZNS1_27merge_sort_block_merge_implIS3_PS5_PS6_jNS1_19radix_merge_compareILb1ELb0ES5_NS0_19identity_decomposerEEEEE10hipError_tT0_T1_T2_jT3_P12ihipStream_tbPNSt15iterator_traitsISF_E10value_typeEPNSL_ISG_E10value_typeEPSH_NS1_7vsmem_tEENKUlT_SF_SG_SH_E_clIS9_S9_SA_SA_EESE_SU_SF_SG_SH_EUlSU_E1_NS1_11comp_targetILNS1_3genE9ELNS1_11target_archE1100ELNS1_3gpuE3ELNS1_3repE0EEENS1_36merge_oddeven_config_static_selectorELNS0_4arch9wavefront6targetE0EEEvSG_.private_seg_size, 0
	.set _ZN7rocprim17ROCPRIM_400000_NS6detail17trampoline_kernelINS0_14default_configENS1_38merge_sort_block_merge_config_selectorI12hip_bfloat16NS0_10empty_typeEEEZZNS1_27merge_sort_block_merge_implIS3_PS5_PS6_jNS1_19radix_merge_compareILb1ELb0ES5_NS0_19identity_decomposerEEEEE10hipError_tT0_T1_T2_jT3_P12ihipStream_tbPNSt15iterator_traitsISF_E10value_typeEPNSL_ISG_E10value_typeEPSH_NS1_7vsmem_tEENKUlT_SF_SG_SH_E_clIS9_S9_SA_SA_EESE_SU_SF_SG_SH_EUlSU_E1_NS1_11comp_targetILNS1_3genE9ELNS1_11target_archE1100ELNS1_3gpuE3ELNS1_3repE0EEENS1_36merge_oddeven_config_static_selectorELNS0_4arch9wavefront6targetE0EEEvSG_.uses_vcc, 0
	.set _ZN7rocprim17ROCPRIM_400000_NS6detail17trampoline_kernelINS0_14default_configENS1_38merge_sort_block_merge_config_selectorI12hip_bfloat16NS0_10empty_typeEEEZZNS1_27merge_sort_block_merge_implIS3_PS5_PS6_jNS1_19radix_merge_compareILb1ELb0ES5_NS0_19identity_decomposerEEEEE10hipError_tT0_T1_T2_jT3_P12ihipStream_tbPNSt15iterator_traitsISF_E10value_typeEPNSL_ISG_E10value_typeEPSH_NS1_7vsmem_tEENKUlT_SF_SG_SH_E_clIS9_S9_SA_SA_EESE_SU_SF_SG_SH_EUlSU_E1_NS1_11comp_targetILNS1_3genE9ELNS1_11target_archE1100ELNS1_3gpuE3ELNS1_3repE0EEENS1_36merge_oddeven_config_static_selectorELNS0_4arch9wavefront6targetE0EEEvSG_.uses_flat_scratch, 0
	.set _ZN7rocprim17ROCPRIM_400000_NS6detail17trampoline_kernelINS0_14default_configENS1_38merge_sort_block_merge_config_selectorI12hip_bfloat16NS0_10empty_typeEEEZZNS1_27merge_sort_block_merge_implIS3_PS5_PS6_jNS1_19radix_merge_compareILb1ELb0ES5_NS0_19identity_decomposerEEEEE10hipError_tT0_T1_T2_jT3_P12ihipStream_tbPNSt15iterator_traitsISF_E10value_typeEPNSL_ISG_E10value_typeEPSH_NS1_7vsmem_tEENKUlT_SF_SG_SH_E_clIS9_S9_SA_SA_EESE_SU_SF_SG_SH_EUlSU_E1_NS1_11comp_targetILNS1_3genE9ELNS1_11target_archE1100ELNS1_3gpuE3ELNS1_3repE0EEENS1_36merge_oddeven_config_static_selectorELNS0_4arch9wavefront6targetE0EEEvSG_.has_dyn_sized_stack, 0
	.set _ZN7rocprim17ROCPRIM_400000_NS6detail17trampoline_kernelINS0_14default_configENS1_38merge_sort_block_merge_config_selectorI12hip_bfloat16NS0_10empty_typeEEEZZNS1_27merge_sort_block_merge_implIS3_PS5_PS6_jNS1_19radix_merge_compareILb1ELb0ES5_NS0_19identity_decomposerEEEEE10hipError_tT0_T1_T2_jT3_P12ihipStream_tbPNSt15iterator_traitsISF_E10value_typeEPNSL_ISG_E10value_typeEPSH_NS1_7vsmem_tEENKUlT_SF_SG_SH_E_clIS9_S9_SA_SA_EESE_SU_SF_SG_SH_EUlSU_E1_NS1_11comp_targetILNS1_3genE9ELNS1_11target_archE1100ELNS1_3gpuE3ELNS1_3repE0EEENS1_36merge_oddeven_config_static_selectorELNS0_4arch9wavefront6targetE0EEEvSG_.has_recursion, 0
	.set _ZN7rocprim17ROCPRIM_400000_NS6detail17trampoline_kernelINS0_14default_configENS1_38merge_sort_block_merge_config_selectorI12hip_bfloat16NS0_10empty_typeEEEZZNS1_27merge_sort_block_merge_implIS3_PS5_PS6_jNS1_19radix_merge_compareILb1ELb0ES5_NS0_19identity_decomposerEEEEE10hipError_tT0_T1_T2_jT3_P12ihipStream_tbPNSt15iterator_traitsISF_E10value_typeEPNSL_ISG_E10value_typeEPSH_NS1_7vsmem_tEENKUlT_SF_SG_SH_E_clIS9_S9_SA_SA_EESE_SU_SF_SG_SH_EUlSU_E1_NS1_11comp_targetILNS1_3genE9ELNS1_11target_archE1100ELNS1_3gpuE3ELNS1_3repE0EEENS1_36merge_oddeven_config_static_selectorELNS0_4arch9wavefront6targetE0EEEvSG_.has_indirect_call, 0
	.section	.AMDGPU.csdata,"",@progbits
; Kernel info:
; codeLenInByte = 0
; TotalNumSgprs: 0
; NumVgprs: 0
; ScratchSize: 0
; MemoryBound: 0
; FloatMode: 240
; IeeeMode: 1
; LDSByteSize: 0 bytes/workgroup (compile time only)
; SGPRBlocks: 0
; VGPRBlocks: 0
; NumSGPRsForWavesPerEU: 1
; NumVGPRsForWavesPerEU: 1
; NamedBarCnt: 0
; Occupancy: 16
; WaveLimiterHint : 0
; COMPUTE_PGM_RSRC2:SCRATCH_EN: 0
; COMPUTE_PGM_RSRC2:USER_SGPR: 2
; COMPUTE_PGM_RSRC2:TRAP_HANDLER: 0
; COMPUTE_PGM_RSRC2:TGID_X_EN: 1
; COMPUTE_PGM_RSRC2:TGID_Y_EN: 0
; COMPUTE_PGM_RSRC2:TGID_Z_EN: 0
; COMPUTE_PGM_RSRC2:TIDIG_COMP_CNT: 0
	.section	.text._ZN7rocprim17ROCPRIM_400000_NS6detail17trampoline_kernelINS0_14default_configENS1_38merge_sort_block_merge_config_selectorI12hip_bfloat16NS0_10empty_typeEEEZZNS1_27merge_sort_block_merge_implIS3_PS5_PS6_jNS1_19radix_merge_compareILb1ELb0ES5_NS0_19identity_decomposerEEEEE10hipError_tT0_T1_T2_jT3_P12ihipStream_tbPNSt15iterator_traitsISF_E10value_typeEPNSL_ISG_E10value_typeEPSH_NS1_7vsmem_tEENKUlT_SF_SG_SH_E_clIS9_S9_SA_SA_EESE_SU_SF_SG_SH_EUlSU_E1_NS1_11comp_targetILNS1_3genE8ELNS1_11target_archE1030ELNS1_3gpuE2ELNS1_3repE0EEENS1_36merge_oddeven_config_static_selectorELNS0_4arch9wavefront6targetE0EEEvSG_,"axG",@progbits,_ZN7rocprim17ROCPRIM_400000_NS6detail17trampoline_kernelINS0_14default_configENS1_38merge_sort_block_merge_config_selectorI12hip_bfloat16NS0_10empty_typeEEEZZNS1_27merge_sort_block_merge_implIS3_PS5_PS6_jNS1_19radix_merge_compareILb1ELb0ES5_NS0_19identity_decomposerEEEEE10hipError_tT0_T1_T2_jT3_P12ihipStream_tbPNSt15iterator_traitsISF_E10value_typeEPNSL_ISG_E10value_typeEPSH_NS1_7vsmem_tEENKUlT_SF_SG_SH_E_clIS9_S9_SA_SA_EESE_SU_SF_SG_SH_EUlSU_E1_NS1_11comp_targetILNS1_3genE8ELNS1_11target_archE1030ELNS1_3gpuE2ELNS1_3repE0EEENS1_36merge_oddeven_config_static_selectorELNS0_4arch9wavefront6targetE0EEEvSG_,comdat
	.protected	_ZN7rocprim17ROCPRIM_400000_NS6detail17trampoline_kernelINS0_14default_configENS1_38merge_sort_block_merge_config_selectorI12hip_bfloat16NS0_10empty_typeEEEZZNS1_27merge_sort_block_merge_implIS3_PS5_PS6_jNS1_19radix_merge_compareILb1ELb0ES5_NS0_19identity_decomposerEEEEE10hipError_tT0_T1_T2_jT3_P12ihipStream_tbPNSt15iterator_traitsISF_E10value_typeEPNSL_ISG_E10value_typeEPSH_NS1_7vsmem_tEENKUlT_SF_SG_SH_E_clIS9_S9_SA_SA_EESE_SU_SF_SG_SH_EUlSU_E1_NS1_11comp_targetILNS1_3genE8ELNS1_11target_archE1030ELNS1_3gpuE2ELNS1_3repE0EEENS1_36merge_oddeven_config_static_selectorELNS0_4arch9wavefront6targetE0EEEvSG_ ; -- Begin function _ZN7rocprim17ROCPRIM_400000_NS6detail17trampoline_kernelINS0_14default_configENS1_38merge_sort_block_merge_config_selectorI12hip_bfloat16NS0_10empty_typeEEEZZNS1_27merge_sort_block_merge_implIS3_PS5_PS6_jNS1_19radix_merge_compareILb1ELb0ES5_NS0_19identity_decomposerEEEEE10hipError_tT0_T1_T2_jT3_P12ihipStream_tbPNSt15iterator_traitsISF_E10value_typeEPNSL_ISG_E10value_typeEPSH_NS1_7vsmem_tEENKUlT_SF_SG_SH_E_clIS9_S9_SA_SA_EESE_SU_SF_SG_SH_EUlSU_E1_NS1_11comp_targetILNS1_3genE8ELNS1_11target_archE1030ELNS1_3gpuE2ELNS1_3repE0EEENS1_36merge_oddeven_config_static_selectorELNS0_4arch9wavefront6targetE0EEEvSG_
	.globl	_ZN7rocprim17ROCPRIM_400000_NS6detail17trampoline_kernelINS0_14default_configENS1_38merge_sort_block_merge_config_selectorI12hip_bfloat16NS0_10empty_typeEEEZZNS1_27merge_sort_block_merge_implIS3_PS5_PS6_jNS1_19radix_merge_compareILb1ELb0ES5_NS0_19identity_decomposerEEEEE10hipError_tT0_T1_T2_jT3_P12ihipStream_tbPNSt15iterator_traitsISF_E10value_typeEPNSL_ISG_E10value_typeEPSH_NS1_7vsmem_tEENKUlT_SF_SG_SH_E_clIS9_S9_SA_SA_EESE_SU_SF_SG_SH_EUlSU_E1_NS1_11comp_targetILNS1_3genE8ELNS1_11target_archE1030ELNS1_3gpuE2ELNS1_3repE0EEENS1_36merge_oddeven_config_static_selectorELNS0_4arch9wavefront6targetE0EEEvSG_
	.p2align	8
	.type	_ZN7rocprim17ROCPRIM_400000_NS6detail17trampoline_kernelINS0_14default_configENS1_38merge_sort_block_merge_config_selectorI12hip_bfloat16NS0_10empty_typeEEEZZNS1_27merge_sort_block_merge_implIS3_PS5_PS6_jNS1_19radix_merge_compareILb1ELb0ES5_NS0_19identity_decomposerEEEEE10hipError_tT0_T1_T2_jT3_P12ihipStream_tbPNSt15iterator_traitsISF_E10value_typeEPNSL_ISG_E10value_typeEPSH_NS1_7vsmem_tEENKUlT_SF_SG_SH_E_clIS9_S9_SA_SA_EESE_SU_SF_SG_SH_EUlSU_E1_NS1_11comp_targetILNS1_3genE8ELNS1_11target_archE1030ELNS1_3gpuE2ELNS1_3repE0EEENS1_36merge_oddeven_config_static_selectorELNS0_4arch9wavefront6targetE0EEEvSG_,@function
_ZN7rocprim17ROCPRIM_400000_NS6detail17trampoline_kernelINS0_14default_configENS1_38merge_sort_block_merge_config_selectorI12hip_bfloat16NS0_10empty_typeEEEZZNS1_27merge_sort_block_merge_implIS3_PS5_PS6_jNS1_19radix_merge_compareILb1ELb0ES5_NS0_19identity_decomposerEEEEE10hipError_tT0_T1_T2_jT3_P12ihipStream_tbPNSt15iterator_traitsISF_E10value_typeEPNSL_ISG_E10value_typeEPSH_NS1_7vsmem_tEENKUlT_SF_SG_SH_E_clIS9_S9_SA_SA_EESE_SU_SF_SG_SH_EUlSU_E1_NS1_11comp_targetILNS1_3genE8ELNS1_11target_archE1030ELNS1_3gpuE2ELNS1_3repE0EEENS1_36merge_oddeven_config_static_selectorELNS0_4arch9wavefront6targetE0EEEvSG_: ; @_ZN7rocprim17ROCPRIM_400000_NS6detail17trampoline_kernelINS0_14default_configENS1_38merge_sort_block_merge_config_selectorI12hip_bfloat16NS0_10empty_typeEEEZZNS1_27merge_sort_block_merge_implIS3_PS5_PS6_jNS1_19radix_merge_compareILb1ELb0ES5_NS0_19identity_decomposerEEEEE10hipError_tT0_T1_T2_jT3_P12ihipStream_tbPNSt15iterator_traitsISF_E10value_typeEPNSL_ISG_E10value_typeEPSH_NS1_7vsmem_tEENKUlT_SF_SG_SH_E_clIS9_S9_SA_SA_EESE_SU_SF_SG_SH_EUlSU_E1_NS1_11comp_targetILNS1_3genE8ELNS1_11target_archE1030ELNS1_3gpuE2ELNS1_3repE0EEENS1_36merge_oddeven_config_static_selectorELNS0_4arch9wavefront6targetE0EEEvSG_
; %bb.0:
	.section	.rodata,"a",@progbits
	.p2align	6, 0x0
	.amdhsa_kernel _ZN7rocprim17ROCPRIM_400000_NS6detail17trampoline_kernelINS0_14default_configENS1_38merge_sort_block_merge_config_selectorI12hip_bfloat16NS0_10empty_typeEEEZZNS1_27merge_sort_block_merge_implIS3_PS5_PS6_jNS1_19radix_merge_compareILb1ELb0ES5_NS0_19identity_decomposerEEEEE10hipError_tT0_T1_T2_jT3_P12ihipStream_tbPNSt15iterator_traitsISF_E10value_typeEPNSL_ISG_E10value_typeEPSH_NS1_7vsmem_tEENKUlT_SF_SG_SH_E_clIS9_S9_SA_SA_EESE_SU_SF_SG_SH_EUlSU_E1_NS1_11comp_targetILNS1_3genE8ELNS1_11target_archE1030ELNS1_3gpuE2ELNS1_3repE0EEENS1_36merge_oddeven_config_static_selectorELNS0_4arch9wavefront6targetE0EEEvSG_
		.amdhsa_group_segment_fixed_size 0
		.amdhsa_private_segment_fixed_size 0
		.amdhsa_kernarg_size 48
		.amdhsa_user_sgpr_count 2
		.amdhsa_user_sgpr_dispatch_ptr 0
		.amdhsa_user_sgpr_queue_ptr 0
		.amdhsa_user_sgpr_kernarg_segment_ptr 1
		.amdhsa_user_sgpr_dispatch_id 0
		.amdhsa_user_sgpr_kernarg_preload_length 0
		.amdhsa_user_sgpr_kernarg_preload_offset 0
		.amdhsa_user_sgpr_private_segment_size 0
		.amdhsa_wavefront_size32 1
		.amdhsa_uses_dynamic_stack 0
		.amdhsa_enable_private_segment 0
		.amdhsa_system_sgpr_workgroup_id_x 1
		.amdhsa_system_sgpr_workgroup_id_y 0
		.amdhsa_system_sgpr_workgroup_id_z 0
		.amdhsa_system_sgpr_workgroup_info 0
		.amdhsa_system_vgpr_workitem_id 0
		.amdhsa_next_free_vgpr 1
		.amdhsa_next_free_sgpr 1
		.amdhsa_named_barrier_count 0
		.amdhsa_reserve_vcc 0
		.amdhsa_float_round_mode_32 0
		.amdhsa_float_round_mode_16_64 0
		.amdhsa_float_denorm_mode_32 3
		.amdhsa_float_denorm_mode_16_64 3
		.amdhsa_fp16_overflow 0
		.amdhsa_memory_ordered 1
		.amdhsa_forward_progress 1
		.amdhsa_inst_pref_size 0
		.amdhsa_round_robin_scheduling 0
		.amdhsa_exception_fp_ieee_invalid_op 0
		.amdhsa_exception_fp_denorm_src 0
		.amdhsa_exception_fp_ieee_div_zero 0
		.amdhsa_exception_fp_ieee_overflow 0
		.amdhsa_exception_fp_ieee_underflow 0
		.amdhsa_exception_fp_ieee_inexact 0
		.amdhsa_exception_int_div_zero 0
	.end_amdhsa_kernel
	.section	.text._ZN7rocprim17ROCPRIM_400000_NS6detail17trampoline_kernelINS0_14default_configENS1_38merge_sort_block_merge_config_selectorI12hip_bfloat16NS0_10empty_typeEEEZZNS1_27merge_sort_block_merge_implIS3_PS5_PS6_jNS1_19radix_merge_compareILb1ELb0ES5_NS0_19identity_decomposerEEEEE10hipError_tT0_T1_T2_jT3_P12ihipStream_tbPNSt15iterator_traitsISF_E10value_typeEPNSL_ISG_E10value_typeEPSH_NS1_7vsmem_tEENKUlT_SF_SG_SH_E_clIS9_S9_SA_SA_EESE_SU_SF_SG_SH_EUlSU_E1_NS1_11comp_targetILNS1_3genE8ELNS1_11target_archE1030ELNS1_3gpuE2ELNS1_3repE0EEENS1_36merge_oddeven_config_static_selectorELNS0_4arch9wavefront6targetE0EEEvSG_,"axG",@progbits,_ZN7rocprim17ROCPRIM_400000_NS6detail17trampoline_kernelINS0_14default_configENS1_38merge_sort_block_merge_config_selectorI12hip_bfloat16NS0_10empty_typeEEEZZNS1_27merge_sort_block_merge_implIS3_PS5_PS6_jNS1_19radix_merge_compareILb1ELb0ES5_NS0_19identity_decomposerEEEEE10hipError_tT0_T1_T2_jT3_P12ihipStream_tbPNSt15iterator_traitsISF_E10value_typeEPNSL_ISG_E10value_typeEPSH_NS1_7vsmem_tEENKUlT_SF_SG_SH_E_clIS9_S9_SA_SA_EESE_SU_SF_SG_SH_EUlSU_E1_NS1_11comp_targetILNS1_3genE8ELNS1_11target_archE1030ELNS1_3gpuE2ELNS1_3repE0EEENS1_36merge_oddeven_config_static_selectorELNS0_4arch9wavefront6targetE0EEEvSG_,comdat
.Lfunc_end1929:
	.size	_ZN7rocprim17ROCPRIM_400000_NS6detail17trampoline_kernelINS0_14default_configENS1_38merge_sort_block_merge_config_selectorI12hip_bfloat16NS0_10empty_typeEEEZZNS1_27merge_sort_block_merge_implIS3_PS5_PS6_jNS1_19radix_merge_compareILb1ELb0ES5_NS0_19identity_decomposerEEEEE10hipError_tT0_T1_T2_jT3_P12ihipStream_tbPNSt15iterator_traitsISF_E10value_typeEPNSL_ISG_E10value_typeEPSH_NS1_7vsmem_tEENKUlT_SF_SG_SH_E_clIS9_S9_SA_SA_EESE_SU_SF_SG_SH_EUlSU_E1_NS1_11comp_targetILNS1_3genE8ELNS1_11target_archE1030ELNS1_3gpuE2ELNS1_3repE0EEENS1_36merge_oddeven_config_static_selectorELNS0_4arch9wavefront6targetE0EEEvSG_, .Lfunc_end1929-_ZN7rocprim17ROCPRIM_400000_NS6detail17trampoline_kernelINS0_14default_configENS1_38merge_sort_block_merge_config_selectorI12hip_bfloat16NS0_10empty_typeEEEZZNS1_27merge_sort_block_merge_implIS3_PS5_PS6_jNS1_19radix_merge_compareILb1ELb0ES5_NS0_19identity_decomposerEEEEE10hipError_tT0_T1_T2_jT3_P12ihipStream_tbPNSt15iterator_traitsISF_E10value_typeEPNSL_ISG_E10value_typeEPSH_NS1_7vsmem_tEENKUlT_SF_SG_SH_E_clIS9_S9_SA_SA_EESE_SU_SF_SG_SH_EUlSU_E1_NS1_11comp_targetILNS1_3genE8ELNS1_11target_archE1030ELNS1_3gpuE2ELNS1_3repE0EEENS1_36merge_oddeven_config_static_selectorELNS0_4arch9wavefront6targetE0EEEvSG_
                                        ; -- End function
	.set _ZN7rocprim17ROCPRIM_400000_NS6detail17trampoline_kernelINS0_14default_configENS1_38merge_sort_block_merge_config_selectorI12hip_bfloat16NS0_10empty_typeEEEZZNS1_27merge_sort_block_merge_implIS3_PS5_PS6_jNS1_19radix_merge_compareILb1ELb0ES5_NS0_19identity_decomposerEEEEE10hipError_tT0_T1_T2_jT3_P12ihipStream_tbPNSt15iterator_traitsISF_E10value_typeEPNSL_ISG_E10value_typeEPSH_NS1_7vsmem_tEENKUlT_SF_SG_SH_E_clIS9_S9_SA_SA_EESE_SU_SF_SG_SH_EUlSU_E1_NS1_11comp_targetILNS1_3genE8ELNS1_11target_archE1030ELNS1_3gpuE2ELNS1_3repE0EEENS1_36merge_oddeven_config_static_selectorELNS0_4arch9wavefront6targetE0EEEvSG_.num_vgpr, 0
	.set _ZN7rocprim17ROCPRIM_400000_NS6detail17trampoline_kernelINS0_14default_configENS1_38merge_sort_block_merge_config_selectorI12hip_bfloat16NS0_10empty_typeEEEZZNS1_27merge_sort_block_merge_implIS3_PS5_PS6_jNS1_19radix_merge_compareILb1ELb0ES5_NS0_19identity_decomposerEEEEE10hipError_tT0_T1_T2_jT3_P12ihipStream_tbPNSt15iterator_traitsISF_E10value_typeEPNSL_ISG_E10value_typeEPSH_NS1_7vsmem_tEENKUlT_SF_SG_SH_E_clIS9_S9_SA_SA_EESE_SU_SF_SG_SH_EUlSU_E1_NS1_11comp_targetILNS1_3genE8ELNS1_11target_archE1030ELNS1_3gpuE2ELNS1_3repE0EEENS1_36merge_oddeven_config_static_selectorELNS0_4arch9wavefront6targetE0EEEvSG_.num_agpr, 0
	.set _ZN7rocprim17ROCPRIM_400000_NS6detail17trampoline_kernelINS0_14default_configENS1_38merge_sort_block_merge_config_selectorI12hip_bfloat16NS0_10empty_typeEEEZZNS1_27merge_sort_block_merge_implIS3_PS5_PS6_jNS1_19radix_merge_compareILb1ELb0ES5_NS0_19identity_decomposerEEEEE10hipError_tT0_T1_T2_jT3_P12ihipStream_tbPNSt15iterator_traitsISF_E10value_typeEPNSL_ISG_E10value_typeEPSH_NS1_7vsmem_tEENKUlT_SF_SG_SH_E_clIS9_S9_SA_SA_EESE_SU_SF_SG_SH_EUlSU_E1_NS1_11comp_targetILNS1_3genE8ELNS1_11target_archE1030ELNS1_3gpuE2ELNS1_3repE0EEENS1_36merge_oddeven_config_static_selectorELNS0_4arch9wavefront6targetE0EEEvSG_.numbered_sgpr, 0
	.set _ZN7rocprim17ROCPRIM_400000_NS6detail17trampoline_kernelINS0_14default_configENS1_38merge_sort_block_merge_config_selectorI12hip_bfloat16NS0_10empty_typeEEEZZNS1_27merge_sort_block_merge_implIS3_PS5_PS6_jNS1_19radix_merge_compareILb1ELb0ES5_NS0_19identity_decomposerEEEEE10hipError_tT0_T1_T2_jT3_P12ihipStream_tbPNSt15iterator_traitsISF_E10value_typeEPNSL_ISG_E10value_typeEPSH_NS1_7vsmem_tEENKUlT_SF_SG_SH_E_clIS9_S9_SA_SA_EESE_SU_SF_SG_SH_EUlSU_E1_NS1_11comp_targetILNS1_3genE8ELNS1_11target_archE1030ELNS1_3gpuE2ELNS1_3repE0EEENS1_36merge_oddeven_config_static_selectorELNS0_4arch9wavefront6targetE0EEEvSG_.num_named_barrier, 0
	.set _ZN7rocprim17ROCPRIM_400000_NS6detail17trampoline_kernelINS0_14default_configENS1_38merge_sort_block_merge_config_selectorI12hip_bfloat16NS0_10empty_typeEEEZZNS1_27merge_sort_block_merge_implIS3_PS5_PS6_jNS1_19radix_merge_compareILb1ELb0ES5_NS0_19identity_decomposerEEEEE10hipError_tT0_T1_T2_jT3_P12ihipStream_tbPNSt15iterator_traitsISF_E10value_typeEPNSL_ISG_E10value_typeEPSH_NS1_7vsmem_tEENKUlT_SF_SG_SH_E_clIS9_S9_SA_SA_EESE_SU_SF_SG_SH_EUlSU_E1_NS1_11comp_targetILNS1_3genE8ELNS1_11target_archE1030ELNS1_3gpuE2ELNS1_3repE0EEENS1_36merge_oddeven_config_static_selectorELNS0_4arch9wavefront6targetE0EEEvSG_.private_seg_size, 0
	.set _ZN7rocprim17ROCPRIM_400000_NS6detail17trampoline_kernelINS0_14default_configENS1_38merge_sort_block_merge_config_selectorI12hip_bfloat16NS0_10empty_typeEEEZZNS1_27merge_sort_block_merge_implIS3_PS5_PS6_jNS1_19radix_merge_compareILb1ELb0ES5_NS0_19identity_decomposerEEEEE10hipError_tT0_T1_T2_jT3_P12ihipStream_tbPNSt15iterator_traitsISF_E10value_typeEPNSL_ISG_E10value_typeEPSH_NS1_7vsmem_tEENKUlT_SF_SG_SH_E_clIS9_S9_SA_SA_EESE_SU_SF_SG_SH_EUlSU_E1_NS1_11comp_targetILNS1_3genE8ELNS1_11target_archE1030ELNS1_3gpuE2ELNS1_3repE0EEENS1_36merge_oddeven_config_static_selectorELNS0_4arch9wavefront6targetE0EEEvSG_.uses_vcc, 0
	.set _ZN7rocprim17ROCPRIM_400000_NS6detail17trampoline_kernelINS0_14default_configENS1_38merge_sort_block_merge_config_selectorI12hip_bfloat16NS0_10empty_typeEEEZZNS1_27merge_sort_block_merge_implIS3_PS5_PS6_jNS1_19radix_merge_compareILb1ELb0ES5_NS0_19identity_decomposerEEEEE10hipError_tT0_T1_T2_jT3_P12ihipStream_tbPNSt15iterator_traitsISF_E10value_typeEPNSL_ISG_E10value_typeEPSH_NS1_7vsmem_tEENKUlT_SF_SG_SH_E_clIS9_S9_SA_SA_EESE_SU_SF_SG_SH_EUlSU_E1_NS1_11comp_targetILNS1_3genE8ELNS1_11target_archE1030ELNS1_3gpuE2ELNS1_3repE0EEENS1_36merge_oddeven_config_static_selectorELNS0_4arch9wavefront6targetE0EEEvSG_.uses_flat_scratch, 0
	.set _ZN7rocprim17ROCPRIM_400000_NS6detail17trampoline_kernelINS0_14default_configENS1_38merge_sort_block_merge_config_selectorI12hip_bfloat16NS0_10empty_typeEEEZZNS1_27merge_sort_block_merge_implIS3_PS5_PS6_jNS1_19radix_merge_compareILb1ELb0ES5_NS0_19identity_decomposerEEEEE10hipError_tT0_T1_T2_jT3_P12ihipStream_tbPNSt15iterator_traitsISF_E10value_typeEPNSL_ISG_E10value_typeEPSH_NS1_7vsmem_tEENKUlT_SF_SG_SH_E_clIS9_S9_SA_SA_EESE_SU_SF_SG_SH_EUlSU_E1_NS1_11comp_targetILNS1_3genE8ELNS1_11target_archE1030ELNS1_3gpuE2ELNS1_3repE0EEENS1_36merge_oddeven_config_static_selectorELNS0_4arch9wavefront6targetE0EEEvSG_.has_dyn_sized_stack, 0
	.set _ZN7rocprim17ROCPRIM_400000_NS6detail17trampoline_kernelINS0_14default_configENS1_38merge_sort_block_merge_config_selectorI12hip_bfloat16NS0_10empty_typeEEEZZNS1_27merge_sort_block_merge_implIS3_PS5_PS6_jNS1_19radix_merge_compareILb1ELb0ES5_NS0_19identity_decomposerEEEEE10hipError_tT0_T1_T2_jT3_P12ihipStream_tbPNSt15iterator_traitsISF_E10value_typeEPNSL_ISG_E10value_typeEPSH_NS1_7vsmem_tEENKUlT_SF_SG_SH_E_clIS9_S9_SA_SA_EESE_SU_SF_SG_SH_EUlSU_E1_NS1_11comp_targetILNS1_3genE8ELNS1_11target_archE1030ELNS1_3gpuE2ELNS1_3repE0EEENS1_36merge_oddeven_config_static_selectorELNS0_4arch9wavefront6targetE0EEEvSG_.has_recursion, 0
	.set _ZN7rocprim17ROCPRIM_400000_NS6detail17trampoline_kernelINS0_14default_configENS1_38merge_sort_block_merge_config_selectorI12hip_bfloat16NS0_10empty_typeEEEZZNS1_27merge_sort_block_merge_implIS3_PS5_PS6_jNS1_19radix_merge_compareILb1ELb0ES5_NS0_19identity_decomposerEEEEE10hipError_tT0_T1_T2_jT3_P12ihipStream_tbPNSt15iterator_traitsISF_E10value_typeEPNSL_ISG_E10value_typeEPSH_NS1_7vsmem_tEENKUlT_SF_SG_SH_E_clIS9_S9_SA_SA_EESE_SU_SF_SG_SH_EUlSU_E1_NS1_11comp_targetILNS1_3genE8ELNS1_11target_archE1030ELNS1_3gpuE2ELNS1_3repE0EEENS1_36merge_oddeven_config_static_selectorELNS0_4arch9wavefront6targetE0EEEvSG_.has_indirect_call, 0
	.section	.AMDGPU.csdata,"",@progbits
; Kernel info:
; codeLenInByte = 0
; TotalNumSgprs: 0
; NumVgprs: 0
; ScratchSize: 0
; MemoryBound: 0
; FloatMode: 240
; IeeeMode: 1
; LDSByteSize: 0 bytes/workgroup (compile time only)
; SGPRBlocks: 0
; VGPRBlocks: 0
; NumSGPRsForWavesPerEU: 1
; NumVGPRsForWavesPerEU: 1
; NamedBarCnt: 0
; Occupancy: 16
; WaveLimiterHint : 0
; COMPUTE_PGM_RSRC2:SCRATCH_EN: 0
; COMPUTE_PGM_RSRC2:USER_SGPR: 2
; COMPUTE_PGM_RSRC2:TRAP_HANDLER: 0
; COMPUTE_PGM_RSRC2:TGID_X_EN: 1
; COMPUTE_PGM_RSRC2:TGID_Y_EN: 0
; COMPUTE_PGM_RSRC2:TGID_Z_EN: 0
; COMPUTE_PGM_RSRC2:TIDIG_COMP_CNT: 0
	.section	.text._ZN7rocprim17ROCPRIM_400000_NS6detail17trampoline_kernelINS0_14default_configENS1_25transform_config_selectorI12hip_bfloat16Lb1EEEZNS1_14transform_implILb1ES3_S6_PS5_S8_NS0_8identityIS5_EEEE10hipError_tT2_T3_mT4_P12ihipStream_tbEUlT_E_NS1_11comp_targetILNS1_3genE0ELNS1_11target_archE4294967295ELNS1_3gpuE0ELNS1_3repE0EEENS1_30default_config_static_selectorELNS0_4arch9wavefront6targetE0EEEvT1_,"axG",@progbits,_ZN7rocprim17ROCPRIM_400000_NS6detail17trampoline_kernelINS0_14default_configENS1_25transform_config_selectorI12hip_bfloat16Lb1EEEZNS1_14transform_implILb1ES3_S6_PS5_S8_NS0_8identityIS5_EEEE10hipError_tT2_T3_mT4_P12ihipStream_tbEUlT_E_NS1_11comp_targetILNS1_3genE0ELNS1_11target_archE4294967295ELNS1_3gpuE0ELNS1_3repE0EEENS1_30default_config_static_selectorELNS0_4arch9wavefront6targetE0EEEvT1_,comdat
	.protected	_ZN7rocprim17ROCPRIM_400000_NS6detail17trampoline_kernelINS0_14default_configENS1_25transform_config_selectorI12hip_bfloat16Lb1EEEZNS1_14transform_implILb1ES3_S6_PS5_S8_NS0_8identityIS5_EEEE10hipError_tT2_T3_mT4_P12ihipStream_tbEUlT_E_NS1_11comp_targetILNS1_3genE0ELNS1_11target_archE4294967295ELNS1_3gpuE0ELNS1_3repE0EEENS1_30default_config_static_selectorELNS0_4arch9wavefront6targetE0EEEvT1_ ; -- Begin function _ZN7rocprim17ROCPRIM_400000_NS6detail17trampoline_kernelINS0_14default_configENS1_25transform_config_selectorI12hip_bfloat16Lb1EEEZNS1_14transform_implILb1ES3_S6_PS5_S8_NS0_8identityIS5_EEEE10hipError_tT2_T3_mT4_P12ihipStream_tbEUlT_E_NS1_11comp_targetILNS1_3genE0ELNS1_11target_archE4294967295ELNS1_3gpuE0ELNS1_3repE0EEENS1_30default_config_static_selectorELNS0_4arch9wavefront6targetE0EEEvT1_
	.globl	_ZN7rocprim17ROCPRIM_400000_NS6detail17trampoline_kernelINS0_14default_configENS1_25transform_config_selectorI12hip_bfloat16Lb1EEEZNS1_14transform_implILb1ES3_S6_PS5_S8_NS0_8identityIS5_EEEE10hipError_tT2_T3_mT4_P12ihipStream_tbEUlT_E_NS1_11comp_targetILNS1_3genE0ELNS1_11target_archE4294967295ELNS1_3gpuE0ELNS1_3repE0EEENS1_30default_config_static_selectorELNS0_4arch9wavefront6targetE0EEEvT1_
	.p2align	8
	.type	_ZN7rocprim17ROCPRIM_400000_NS6detail17trampoline_kernelINS0_14default_configENS1_25transform_config_selectorI12hip_bfloat16Lb1EEEZNS1_14transform_implILb1ES3_S6_PS5_S8_NS0_8identityIS5_EEEE10hipError_tT2_T3_mT4_P12ihipStream_tbEUlT_E_NS1_11comp_targetILNS1_3genE0ELNS1_11target_archE4294967295ELNS1_3gpuE0ELNS1_3repE0EEENS1_30default_config_static_selectorELNS0_4arch9wavefront6targetE0EEEvT1_,@function
_ZN7rocprim17ROCPRIM_400000_NS6detail17trampoline_kernelINS0_14default_configENS1_25transform_config_selectorI12hip_bfloat16Lb1EEEZNS1_14transform_implILb1ES3_S6_PS5_S8_NS0_8identityIS5_EEEE10hipError_tT2_T3_mT4_P12ihipStream_tbEUlT_E_NS1_11comp_targetILNS1_3genE0ELNS1_11target_archE4294967295ELNS1_3gpuE0ELNS1_3repE0EEENS1_30default_config_static_selectorELNS0_4arch9wavefront6targetE0EEEvT1_: ; @_ZN7rocprim17ROCPRIM_400000_NS6detail17trampoline_kernelINS0_14default_configENS1_25transform_config_selectorI12hip_bfloat16Lb1EEEZNS1_14transform_implILb1ES3_S6_PS5_S8_NS0_8identityIS5_EEEE10hipError_tT2_T3_mT4_P12ihipStream_tbEUlT_E_NS1_11comp_targetILNS1_3genE0ELNS1_11target_archE4294967295ELNS1_3gpuE0ELNS1_3repE0EEENS1_30default_config_static_selectorELNS0_4arch9wavefront6targetE0EEEvT1_
; %bb.0:
	s_load_b256 s[4:11], s[0:1], 0x0
	s_wait_kmcnt 0x0
	s_load_b32 s9, s[0:1], 0x28
                                        ; kill: killed $sgpr0_sgpr1
	s_wait_xcnt 0x0
	s_bfe_u32 s0, ttmp6, 0x4000c
	s_and_b32 s2, ttmp6, 15
	s_add_co_i32 s0, s0, 1
	s_getreg_b32 s12, hwreg(HW_REG_IB_STS2, 6, 4)
	s_mul_i32 s0, ttmp9, s0
	s_mov_b32 s1, 0
	s_add_co_i32 s0, s2, s0
	s_lshl_b64 s[2:3], s[6:7], 1
	s_cmp_eq_u32 s12, 0
	s_add_nc_u64 s[12:13], s[4:5], s[2:3]
	s_cselect_b32 s14, ttmp9, s0
	s_wait_kmcnt 0x0
	s_add_co_i32 s9, s9, -1
	s_lshl_b32 s0, s14, 9
	s_add_nc_u64 s[4:5], s[10:11], s[2:3]
	s_lshl_b64 s[6:7], s[0:1], 1
	s_mov_b32 s2, -1
	s_cmp_lg_u32 s14, s9
	s_add_nc_u64 s[10:11], s[12:13], s[6:7]
	s_cbranch_scc0 .LBB1930_2
; %bb.1:
	global_load_b64 v[2:3], v0, s[10:11] scale_offset th:TH_LOAD_NT
	s_add_nc_u64 s[12:13], s[4:5], s[6:7]
	s_mov_b32 s2, 0
	s_wait_loadcnt 0x0
	global_store_b64 v0, v[2:3], s[12:13] scale_offset
.LBB1930_2:
	s_and_not1_b32 vcc_lo, exec_lo, s2
	s_cbranch_vccnz .LBB1930_16
; %bb.3:
	s_sub_co_i32 s3, s8, s0
                                        ; implicit-def: $vgpr2
	s_delay_alu instid0(SALU_CYCLE_1)
	v_cmp_gt_u32_e32 vcc_lo, s3, v0
	s_wait_xcnt 0x0
	s_and_saveexec_b32 s0, vcc_lo
	s_cbranch_execz .LBB1930_5
; %bb.4:
	global_load_u16 v2, v0, s[10:11] scale_offset
.LBB1930_5:
	s_wait_xcnt 0x0
	s_or_b32 exec_lo, exec_lo, s0
	v_or_b32_e32 v1, 0x80, v0
                                        ; implicit-def: $vgpr3
	s_delay_alu instid0(VALU_DEP_1)
	v_cmp_gt_u32_e64 s0, s3, v1
	s_and_saveexec_b32 s1, s0
	s_cbranch_execz .LBB1930_7
; %bb.6:
	global_load_u16 v3, v0, s[10:11] offset:256 scale_offset
.LBB1930_7:
	s_wait_xcnt 0x0
	s_or_b32 exec_lo, exec_lo, s1
	v_or_b32_e32 v1, 0x100, v0
                                        ; implicit-def: $vgpr4
	s_delay_alu instid0(VALU_DEP_1)
	v_cmp_gt_u32_e64 s1, s3, v1
	s_and_saveexec_b32 s2, s1
	s_cbranch_execz .LBB1930_9
; %bb.8:
	global_load_u16 v4, v0, s[10:11] offset:512 scale_offset
.LBB1930_9:
	s_wait_xcnt 0x0
	s_or_b32 exec_lo, exec_lo, s2
	v_or_b32_e32 v1, 0x180, v0
	s_delay_alu instid0(VALU_DEP_1) | instskip(SKIP_2) | instid1(SALU_CYCLE_1)
	v_cmp_gt_u32_e64 s2, s3, v1
	v_cmp_le_u32_e64 s3, s3, v1
	s_and_saveexec_b32 s8, s3
	s_xor_b32 s3, exec_lo, s8
	s_delay_alu instid0(SALU_CYCLE_1) | instskip(NEXT) | instid1(SALU_CYCLE_1)
	s_or_saveexec_b32 s3, s3
                                        ; implicit-def: $vgpr5
	s_xor_b32 exec_lo, exec_lo, s3
	s_cbranch_execz .LBB1930_11
; %bb.10:
	global_load_u16 v5, v0, s[10:11] offset:768 scale_offset
.LBB1930_11:
	s_wait_xcnt 0x0
	s_or_b32 exec_lo, exec_lo, s3
	v_dual_mov_b32 v1, 0 :: v_dual_lshlrev_b32 v0, 1, v0
	s_add_nc_u64 s[4:5], s[4:5], s[6:7]
	s_delay_alu instid0(VALU_DEP_1) | instid1(SALU_CYCLE_1)
	v_add_nc_u64_e32 v[0:1], s[4:5], v[0:1]
	s_and_saveexec_b32 s3, vcc_lo
	s_cbranch_execnz .LBB1930_17
; %bb.12:
	s_or_b32 exec_lo, exec_lo, s3
	s_and_saveexec_b32 s3, s0
	s_cbranch_execnz .LBB1930_18
.LBB1930_13:
	s_or_b32 exec_lo, exec_lo, s3
	s_and_saveexec_b32 s0, s1
	s_cbranch_execnz .LBB1930_19
.LBB1930_14:
	s_or_b32 exec_lo, exec_lo, s0
	s_and_saveexec_b32 s0, s2
	s_cbranch_execz .LBB1930_16
.LBB1930_15:
	s_wait_loadcnt 0x0
	global_store_b16 v[0:1], v5, off offset:768
.LBB1930_16:
	s_endpgm
.LBB1930_17:
	s_wait_loadcnt 0x0
	global_store_b16 v[0:1], v2, off
	s_wait_xcnt 0x0
	s_or_b32 exec_lo, exec_lo, s3
	s_and_saveexec_b32 s3, s0
	s_cbranch_execz .LBB1930_13
.LBB1930_18:
	s_wait_loadcnt 0x0
	global_store_b16 v[0:1], v3, off offset:256
	s_wait_xcnt 0x0
	s_or_b32 exec_lo, exec_lo, s3
	s_and_saveexec_b32 s0, s1
	s_cbranch_execz .LBB1930_14
.LBB1930_19:
	s_wait_loadcnt 0x0
	global_store_b16 v[0:1], v4, off offset:512
	s_wait_xcnt 0x0
	s_or_b32 exec_lo, exec_lo, s0
	s_and_saveexec_b32 s0, s2
	s_cbranch_execnz .LBB1930_15
	s_branch .LBB1930_16
	.section	.rodata,"a",@progbits
	.p2align	6, 0x0
	.amdhsa_kernel _ZN7rocprim17ROCPRIM_400000_NS6detail17trampoline_kernelINS0_14default_configENS1_25transform_config_selectorI12hip_bfloat16Lb1EEEZNS1_14transform_implILb1ES3_S6_PS5_S8_NS0_8identityIS5_EEEE10hipError_tT2_T3_mT4_P12ihipStream_tbEUlT_E_NS1_11comp_targetILNS1_3genE0ELNS1_11target_archE4294967295ELNS1_3gpuE0ELNS1_3repE0EEENS1_30default_config_static_selectorELNS0_4arch9wavefront6targetE0EEEvT1_
		.amdhsa_group_segment_fixed_size 0
		.amdhsa_private_segment_fixed_size 0
		.amdhsa_kernarg_size 296
		.amdhsa_user_sgpr_count 2
		.amdhsa_user_sgpr_dispatch_ptr 0
		.amdhsa_user_sgpr_queue_ptr 0
		.amdhsa_user_sgpr_kernarg_segment_ptr 1
		.amdhsa_user_sgpr_dispatch_id 0
		.amdhsa_user_sgpr_kernarg_preload_length 0
		.amdhsa_user_sgpr_kernarg_preload_offset 0
		.amdhsa_user_sgpr_private_segment_size 0
		.amdhsa_wavefront_size32 1
		.amdhsa_uses_dynamic_stack 0
		.amdhsa_enable_private_segment 0
		.amdhsa_system_sgpr_workgroup_id_x 1
		.amdhsa_system_sgpr_workgroup_id_y 0
		.amdhsa_system_sgpr_workgroup_id_z 0
		.amdhsa_system_sgpr_workgroup_info 0
		.amdhsa_system_vgpr_workitem_id 0
		.amdhsa_next_free_vgpr 6
		.amdhsa_next_free_sgpr 15
		.amdhsa_named_barrier_count 0
		.amdhsa_reserve_vcc 1
		.amdhsa_float_round_mode_32 0
		.amdhsa_float_round_mode_16_64 0
		.amdhsa_float_denorm_mode_32 3
		.amdhsa_float_denorm_mode_16_64 3
		.amdhsa_fp16_overflow 0
		.amdhsa_memory_ordered 1
		.amdhsa_forward_progress 1
		.amdhsa_inst_pref_size 5
		.amdhsa_round_robin_scheduling 0
		.amdhsa_exception_fp_ieee_invalid_op 0
		.amdhsa_exception_fp_denorm_src 0
		.amdhsa_exception_fp_ieee_div_zero 0
		.amdhsa_exception_fp_ieee_overflow 0
		.amdhsa_exception_fp_ieee_underflow 0
		.amdhsa_exception_fp_ieee_inexact 0
		.amdhsa_exception_int_div_zero 0
	.end_amdhsa_kernel
	.section	.text._ZN7rocprim17ROCPRIM_400000_NS6detail17trampoline_kernelINS0_14default_configENS1_25transform_config_selectorI12hip_bfloat16Lb1EEEZNS1_14transform_implILb1ES3_S6_PS5_S8_NS0_8identityIS5_EEEE10hipError_tT2_T3_mT4_P12ihipStream_tbEUlT_E_NS1_11comp_targetILNS1_3genE0ELNS1_11target_archE4294967295ELNS1_3gpuE0ELNS1_3repE0EEENS1_30default_config_static_selectorELNS0_4arch9wavefront6targetE0EEEvT1_,"axG",@progbits,_ZN7rocprim17ROCPRIM_400000_NS6detail17trampoline_kernelINS0_14default_configENS1_25transform_config_selectorI12hip_bfloat16Lb1EEEZNS1_14transform_implILb1ES3_S6_PS5_S8_NS0_8identityIS5_EEEE10hipError_tT2_T3_mT4_P12ihipStream_tbEUlT_E_NS1_11comp_targetILNS1_3genE0ELNS1_11target_archE4294967295ELNS1_3gpuE0ELNS1_3repE0EEENS1_30default_config_static_selectorELNS0_4arch9wavefront6targetE0EEEvT1_,comdat
.Lfunc_end1930:
	.size	_ZN7rocprim17ROCPRIM_400000_NS6detail17trampoline_kernelINS0_14default_configENS1_25transform_config_selectorI12hip_bfloat16Lb1EEEZNS1_14transform_implILb1ES3_S6_PS5_S8_NS0_8identityIS5_EEEE10hipError_tT2_T3_mT4_P12ihipStream_tbEUlT_E_NS1_11comp_targetILNS1_3genE0ELNS1_11target_archE4294967295ELNS1_3gpuE0ELNS1_3repE0EEENS1_30default_config_static_selectorELNS0_4arch9wavefront6targetE0EEEvT1_, .Lfunc_end1930-_ZN7rocprim17ROCPRIM_400000_NS6detail17trampoline_kernelINS0_14default_configENS1_25transform_config_selectorI12hip_bfloat16Lb1EEEZNS1_14transform_implILb1ES3_S6_PS5_S8_NS0_8identityIS5_EEEE10hipError_tT2_T3_mT4_P12ihipStream_tbEUlT_E_NS1_11comp_targetILNS1_3genE0ELNS1_11target_archE4294967295ELNS1_3gpuE0ELNS1_3repE0EEENS1_30default_config_static_selectorELNS0_4arch9wavefront6targetE0EEEvT1_
                                        ; -- End function
	.set _ZN7rocprim17ROCPRIM_400000_NS6detail17trampoline_kernelINS0_14default_configENS1_25transform_config_selectorI12hip_bfloat16Lb1EEEZNS1_14transform_implILb1ES3_S6_PS5_S8_NS0_8identityIS5_EEEE10hipError_tT2_T3_mT4_P12ihipStream_tbEUlT_E_NS1_11comp_targetILNS1_3genE0ELNS1_11target_archE4294967295ELNS1_3gpuE0ELNS1_3repE0EEENS1_30default_config_static_selectorELNS0_4arch9wavefront6targetE0EEEvT1_.num_vgpr, 6
	.set _ZN7rocprim17ROCPRIM_400000_NS6detail17trampoline_kernelINS0_14default_configENS1_25transform_config_selectorI12hip_bfloat16Lb1EEEZNS1_14transform_implILb1ES3_S6_PS5_S8_NS0_8identityIS5_EEEE10hipError_tT2_T3_mT4_P12ihipStream_tbEUlT_E_NS1_11comp_targetILNS1_3genE0ELNS1_11target_archE4294967295ELNS1_3gpuE0ELNS1_3repE0EEENS1_30default_config_static_selectorELNS0_4arch9wavefront6targetE0EEEvT1_.num_agpr, 0
	.set _ZN7rocprim17ROCPRIM_400000_NS6detail17trampoline_kernelINS0_14default_configENS1_25transform_config_selectorI12hip_bfloat16Lb1EEEZNS1_14transform_implILb1ES3_S6_PS5_S8_NS0_8identityIS5_EEEE10hipError_tT2_T3_mT4_P12ihipStream_tbEUlT_E_NS1_11comp_targetILNS1_3genE0ELNS1_11target_archE4294967295ELNS1_3gpuE0ELNS1_3repE0EEENS1_30default_config_static_selectorELNS0_4arch9wavefront6targetE0EEEvT1_.numbered_sgpr, 15
	.set _ZN7rocprim17ROCPRIM_400000_NS6detail17trampoline_kernelINS0_14default_configENS1_25transform_config_selectorI12hip_bfloat16Lb1EEEZNS1_14transform_implILb1ES3_S6_PS5_S8_NS0_8identityIS5_EEEE10hipError_tT2_T3_mT4_P12ihipStream_tbEUlT_E_NS1_11comp_targetILNS1_3genE0ELNS1_11target_archE4294967295ELNS1_3gpuE0ELNS1_3repE0EEENS1_30default_config_static_selectorELNS0_4arch9wavefront6targetE0EEEvT1_.num_named_barrier, 0
	.set _ZN7rocprim17ROCPRIM_400000_NS6detail17trampoline_kernelINS0_14default_configENS1_25transform_config_selectorI12hip_bfloat16Lb1EEEZNS1_14transform_implILb1ES3_S6_PS5_S8_NS0_8identityIS5_EEEE10hipError_tT2_T3_mT4_P12ihipStream_tbEUlT_E_NS1_11comp_targetILNS1_3genE0ELNS1_11target_archE4294967295ELNS1_3gpuE0ELNS1_3repE0EEENS1_30default_config_static_selectorELNS0_4arch9wavefront6targetE0EEEvT1_.private_seg_size, 0
	.set _ZN7rocprim17ROCPRIM_400000_NS6detail17trampoline_kernelINS0_14default_configENS1_25transform_config_selectorI12hip_bfloat16Lb1EEEZNS1_14transform_implILb1ES3_S6_PS5_S8_NS0_8identityIS5_EEEE10hipError_tT2_T3_mT4_P12ihipStream_tbEUlT_E_NS1_11comp_targetILNS1_3genE0ELNS1_11target_archE4294967295ELNS1_3gpuE0ELNS1_3repE0EEENS1_30default_config_static_selectorELNS0_4arch9wavefront6targetE0EEEvT1_.uses_vcc, 1
	.set _ZN7rocprim17ROCPRIM_400000_NS6detail17trampoline_kernelINS0_14default_configENS1_25transform_config_selectorI12hip_bfloat16Lb1EEEZNS1_14transform_implILb1ES3_S6_PS5_S8_NS0_8identityIS5_EEEE10hipError_tT2_T3_mT4_P12ihipStream_tbEUlT_E_NS1_11comp_targetILNS1_3genE0ELNS1_11target_archE4294967295ELNS1_3gpuE0ELNS1_3repE0EEENS1_30default_config_static_selectorELNS0_4arch9wavefront6targetE0EEEvT1_.uses_flat_scratch, 0
	.set _ZN7rocprim17ROCPRIM_400000_NS6detail17trampoline_kernelINS0_14default_configENS1_25transform_config_selectorI12hip_bfloat16Lb1EEEZNS1_14transform_implILb1ES3_S6_PS5_S8_NS0_8identityIS5_EEEE10hipError_tT2_T3_mT4_P12ihipStream_tbEUlT_E_NS1_11comp_targetILNS1_3genE0ELNS1_11target_archE4294967295ELNS1_3gpuE0ELNS1_3repE0EEENS1_30default_config_static_selectorELNS0_4arch9wavefront6targetE0EEEvT1_.has_dyn_sized_stack, 0
	.set _ZN7rocprim17ROCPRIM_400000_NS6detail17trampoline_kernelINS0_14default_configENS1_25transform_config_selectorI12hip_bfloat16Lb1EEEZNS1_14transform_implILb1ES3_S6_PS5_S8_NS0_8identityIS5_EEEE10hipError_tT2_T3_mT4_P12ihipStream_tbEUlT_E_NS1_11comp_targetILNS1_3genE0ELNS1_11target_archE4294967295ELNS1_3gpuE0ELNS1_3repE0EEENS1_30default_config_static_selectorELNS0_4arch9wavefront6targetE0EEEvT1_.has_recursion, 0
	.set _ZN7rocprim17ROCPRIM_400000_NS6detail17trampoline_kernelINS0_14default_configENS1_25transform_config_selectorI12hip_bfloat16Lb1EEEZNS1_14transform_implILb1ES3_S6_PS5_S8_NS0_8identityIS5_EEEE10hipError_tT2_T3_mT4_P12ihipStream_tbEUlT_E_NS1_11comp_targetILNS1_3genE0ELNS1_11target_archE4294967295ELNS1_3gpuE0ELNS1_3repE0EEENS1_30default_config_static_selectorELNS0_4arch9wavefront6targetE0EEEvT1_.has_indirect_call, 0
	.section	.AMDGPU.csdata,"",@progbits
; Kernel info:
; codeLenInByte = 548
; TotalNumSgprs: 17
; NumVgprs: 6
; ScratchSize: 0
; MemoryBound: 0
; FloatMode: 240
; IeeeMode: 1
; LDSByteSize: 0 bytes/workgroup (compile time only)
; SGPRBlocks: 0
; VGPRBlocks: 0
; NumSGPRsForWavesPerEU: 17
; NumVGPRsForWavesPerEU: 6
; NamedBarCnt: 0
; Occupancy: 16
; WaveLimiterHint : 0
; COMPUTE_PGM_RSRC2:SCRATCH_EN: 0
; COMPUTE_PGM_RSRC2:USER_SGPR: 2
; COMPUTE_PGM_RSRC2:TRAP_HANDLER: 0
; COMPUTE_PGM_RSRC2:TGID_X_EN: 1
; COMPUTE_PGM_RSRC2:TGID_Y_EN: 0
; COMPUTE_PGM_RSRC2:TGID_Z_EN: 0
; COMPUTE_PGM_RSRC2:TIDIG_COMP_CNT: 0
	.section	.text._ZN7rocprim17ROCPRIM_400000_NS6detail17trampoline_kernelINS0_14default_configENS1_25transform_config_selectorI12hip_bfloat16Lb1EEEZNS1_14transform_implILb1ES3_S6_PS5_S8_NS0_8identityIS5_EEEE10hipError_tT2_T3_mT4_P12ihipStream_tbEUlT_E_NS1_11comp_targetILNS1_3genE10ELNS1_11target_archE1201ELNS1_3gpuE5ELNS1_3repE0EEENS1_30default_config_static_selectorELNS0_4arch9wavefront6targetE0EEEvT1_,"axG",@progbits,_ZN7rocprim17ROCPRIM_400000_NS6detail17trampoline_kernelINS0_14default_configENS1_25transform_config_selectorI12hip_bfloat16Lb1EEEZNS1_14transform_implILb1ES3_S6_PS5_S8_NS0_8identityIS5_EEEE10hipError_tT2_T3_mT4_P12ihipStream_tbEUlT_E_NS1_11comp_targetILNS1_3genE10ELNS1_11target_archE1201ELNS1_3gpuE5ELNS1_3repE0EEENS1_30default_config_static_selectorELNS0_4arch9wavefront6targetE0EEEvT1_,comdat
	.protected	_ZN7rocprim17ROCPRIM_400000_NS6detail17trampoline_kernelINS0_14default_configENS1_25transform_config_selectorI12hip_bfloat16Lb1EEEZNS1_14transform_implILb1ES3_S6_PS5_S8_NS0_8identityIS5_EEEE10hipError_tT2_T3_mT4_P12ihipStream_tbEUlT_E_NS1_11comp_targetILNS1_3genE10ELNS1_11target_archE1201ELNS1_3gpuE5ELNS1_3repE0EEENS1_30default_config_static_selectorELNS0_4arch9wavefront6targetE0EEEvT1_ ; -- Begin function _ZN7rocprim17ROCPRIM_400000_NS6detail17trampoline_kernelINS0_14default_configENS1_25transform_config_selectorI12hip_bfloat16Lb1EEEZNS1_14transform_implILb1ES3_S6_PS5_S8_NS0_8identityIS5_EEEE10hipError_tT2_T3_mT4_P12ihipStream_tbEUlT_E_NS1_11comp_targetILNS1_3genE10ELNS1_11target_archE1201ELNS1_3gpuE5ELNS1_3repE0EEENS1_30default_config_static_selectorELNS0_4arch9wavefront6targetE0EEEvT1_
	.globl	_ZN7rocprim17ROCPRIM_400000_NS6detail17trampoline_kernelINS0_14default_configENS1_25transform_config_selectorI12hip_bfloat16Lb1EEEZNS1_14transform_implILb1ES3_S6_PS5_S8_NS0_8identityIS5_EEEE10hipError_tT2_T3_mT4_P12ihipStream_tbEUlT_E_NS1_11comp_targetILNS1_3genE10ELNS1_11target_archE1201ELNS1_3gpuE5ELNS1_3repE0EEENS1_30default_config_static_selectorELNS0_4arch9wavefront6targetE0EEEvT1_
	.p2align	8
	.type	_ZN7rocprim17ROCPRIM_400000_NS6detail17trampoline_kernelINS0_14default_configENS1_25transform_config_selectorI12hip_bfloat16Lb1EEEZNS1_14transform_implILb1ES3_S6_PS5_S8_NS0_8identityIS5_EEEE10hipError_tT2_T3_mT4_P12ihipStream_tbEUlT_E_NS1_11comp_targetILNS1_3genE10ELNS1_11target_archE1201ELNS1_3gpuE5ELNS1_3repE0EEENS1_30default_config_static_selectorELNS0_4arch9wavefront6targetE0EEEvT1_,@function
_ZN7rocprim17ROCPRIM_400000_NS6detail17trampoline_kernelINS0_14default_configENS1_25transform_config_selectorI12hip_bfloat16Lb1EEEZNS1_14transform_implILb1ES3_S6_PS5_S8_NS0_8identityIS5_EEEE10hipError_tT2_T3_mT4_P12ihipStream_tbEUlT_E_NS1_11comp_targetILNS1_3genE10ELNS1_11target_archE1201ELNS1_3gpuE5ELNS1_3repE0EEENS1_30default_config_static_selectorELNS0_4arch9wavefront6targetE0EEEvT1_: ; @_ZN7rocprim17ROCPRIM_400000_NS6detail17trampoline_kernelINS0_14default_configENS1_25transform_config_selectorI12hip_bfloat16Lb1EEEZNS1_14transform_implILb1ES3_S6_PS5_S8_NS0_8identityIS5_EEEE10hipError_tT2_T3_mT4_P12ihipStream_tbEUlT_E_NS1_11comp_targetILNS1_3genE10ELNS1_11target_archE1201ELNS1_3gpuE5ELNS1_3repE0EEENS1_30default_config_static_selectorELNS0_4arch9wavefront6targetE0EEEvT1_
; %bb.0:
	.section	.rodata,"a",@progbits
	.p2align	6, 0x0
	.amdhsa_kernel _ZN7rocprim17ROCPRIM_400000_NS6detail17trampoline_kernelINS0_14default_configENS1_25transform_config_selectorI12hip_bfloat16Lb1EEEZNS1_14transform_implILb1ES3_S6_PS5_S8_NS0_8identityIS5_EEEE10hipError_tT2_T3_mT4_P12ihipStream_tbEUlT_E_NS1_11comp_targetILNS1_3genE10ELNS1_11target_archE1201ELNS1_3gpuE5ELNS1_3repE0EEENS1_30default_config_static_selectorELNS0_4arch9wavefront6targetE0EEEvT1_
		.amdhsa_group_segment_fixed_size 0
		.amdhsa_private_segment_fixed_size 0
		.amdhsa_kernarg_size 40
		.amdhsa_user_sgpr_count 2
		.amdhsa_user_sgpr_dispatch_ptr 0
		.amdhsa_user_sgpr_queue_ptr 0
		.amdhsa_user_sgpr_kernarg_segment_ptr 1
		.amdhsa_user_sgpr_dispatch_id 0
		.amdhsa_user_sgpr_kernarg_preload_length 0
		.amdhsa_user_sgpr_kernarg_preload_offset 0
		.amdhsa_user_sgpr_private_segment_size 0
		.amdhsa_wavefront_size32 1
		.amdhsa_uses_dynamic_stack 0
		.amdhsa_enable_private_segment 0
		.amdhsa_system_sgpr_workgroup_id_x 1
		.amdhsa_system_sgpr_workgroup_id_y 0
		.amdhsa_system_sgpr_workgroup_id_z 0
		.amdhsa_system_sgpr_workgroup_info 0
		.amdhsa_system_vgpr_workitem_id 0
		.amdhsa_next_free_vgpr 1
		.amdhsa_next_free_sgpr 1
		.amdhsa_named_barrier_count 0
		.amdhsa_reserve_vcc 0
		.amdhsa_float_round_mode_32 0
		.amdhsa_float_round_mode_16_64 0
		.amdhsa_float_denorm_mode_32 3
		.amdhsa_float_denorm_mode_16_64 3
		.amdhsa_fp16_overflow 0
		.amdhsa_memory_ordered 1
		.amdhsa_forward_progress 1
		.amdhsa_inst_pref_size 0
		.amdhsa_round_robin_scheduling 0
		.amdhsa_exception_fp_ieee_invalid_op 0
		.amdhsa_exception_fp_denorm_src 0
		.amdhsa_exception_fp_ieee_div_zero 0
		.amdhsa_exception_fp_ieee_overflow 0
		.amdhsa_exception_fp_ieee_underflow 0
		.amdhsa_exception_fp_ieee_inexact 0
		.amdhsa_exception_int_div_zero 0
	.end_amdhsa_kernel
	.section	.text._ZN7rocprim17ROCPRIM_400000_NS6detail17trampoline_kernelINS0_14default_configENS1_25transform_config_selectorI12hip_bfloat16Lb1EEEZNS1_14transform_implILb1ES3_S6_PS5_S8_NS0_8identityIS5_EEEE10hipError_tT2_T3_mT4_P12ihipStream_tbEUlT_E_NS1_11comp_targetILNS1_3genE10ELNS1_11target_archE1201ELNS1_3gpuE5ELNS1_3repE0EEENS1_30default_config_static_selectorELNS0_4arch9wavefront6targetE0EEEvT1_,"axG",@progbits,_ZN7rocprim17ROCPRIM_400000_NS6detail17trampoline_kernelINS0_14default_configENS1_25transform_config_selectorI12hip_bfloat16Lb1EEEZNS1_14transform_implILb1ES3_S6_PS5_S8_NS0_8identityIS5_EEEE10hipError_tT2_T3_mT4_P12ihipStream_tbEUlT_E_NS1_11comp_targetILNS1_3genE10ELNS1_11target_archE1201ELNS1_3gpuE5ELNS1_3repE0EEENS1_30default_config_static_selectorELNS0_4arch9wavefront6targetE0EEEvT1_,comdat
.Lfunc_end1931:
	.size	_ZN7rocprim17ROCPRIM_400000_NS6detail17trampoline_kernelINS0_14default_configENS1_25transform_config_selectorI12hip_bfloat16Lb1EEEZNS1_14transform_implILb1ES3_S6_PS5_S8_NS0_8identityIS5_EEEE10hipError_tT2_T3_mT4_P12ihipStream_tbEUlT_E_NS1_11comp_targetILNS1_3genE10ELNS1_11target_archE1201ELNS1_3gpuE5ELNS1_3repE0EEENS1_30default_config_static_selectorELNS0_4arch9wavefront6targetE0EEEvT1_, .Lfunc_end1931-_ZN7rocprim17ROCPRIM_400000_NS6detail17trampoline_kernelINS0_14default_configENS1_25transform_config_selectorI12hip_bfloat16Lb1EEEZNS1_14transform_implILb1ES3_S6_PS5_S8_NS0_8identityIS5_EEEE10hipError_tT2_T3_mT4_P12ihipStream_tbEUlT_E_NS1_11comp_targetILNS1_3genE10ELNS1_11target_archE1201ELNS1_3gpuE5ELNS1_3repE0EEENS1_30default_config_static_selectorELNS0_4arch9wavefront6targetE0EEEvT1_
                                        ; -- End function
	.set _ZN7rocprim17ROCPRIM_400000_NS6detail17trampoline_kernelINS0_14default_configENS1_25transform_config_selectorI12hip_bfloat16Lb1EEEZNS1_14transform_implILb1ES3_S6_PS5_S8_NS0_8identityIS5_EEEE10hipError_tT2_T3_mT4_P12ihipStream_tbEUlT_E_NS1_11comp_targetILNS1_3genE10ELNS1_11target_archE1201ELNS1_3gpuE5ELNS1_3repE0EEENS1_30default_config_static_selectorELNS0_4arch9wavefront6targetE0EEEvT1_.num_vgpr, 0
	.set _ZN7rocprim17ROCPRIM_400000_NS6detail17trampoline_kernelINS0_14default_configENS1_25transform_config_selectorI12hip_bfloat16Lb1EEEZNS1_14transform_implILb1ES3_S6_PS5_S8_NS0_8identityIS5_EEEE10hipError_tT2_T3_mT4_P12ihipStream_tbEUlT_E_NS1_11comp_targetILNS1_3genE10ELNS1_11target_archE1201ELNS1_3gpuE5ELNS1_3repE0EEENS1_30default_config_static_selectorELNS0_4arch9wavefront6targetE0EEEvT1_.num_agpr, 0
	.set _ZN7rocprim17ROCPRIM_400000_NS6detail17trampoline_kernelINS0_14default_configENS1_25transform_config_selectorI12hip_bfloat16Lb1EEEZNS1_14transform_implILb1ES3_S6_PS5_S8_NS0_8identityIS5_EEEE10hipError_tT2_T3_mT4_P12ihipStream_tbEUlT_E_NS1_11comp_targetILNS1_3genE10ELNS1_11target_archE1201ELNS1_3gpuE5ELNS1_3repE0EEENS1_30default_config_static_selectorELNS0_4arch9wavefront6targetE0EEEvT1_.numbered_sgpr, 0
	.set _ZN7rocprim17ROCPRIM_400000_NS6detail17trampoline_kernelINS0_14default_configENS1_25transform_config_selectorI12hip_bfloat16Lb1EEEZNS1_14transform_implILb1ES3_S6_PS5_S8_NS0_8identityIS5_EEEE10hipError_tT2_T3_mT4_P12ihipStream_tbEUlT_E_NS1_11comp_targetILNS1_3genE10ELNS1_11target_archE1201ELNS1_3gpuE5ELNS1_3repE0EEENS1_30default_config_static_selectorELNS0_4arch9wavefront6targetE0EEEvT1_.num_named_barrier, 0
	.set _ZN7rocprim17ROCPRIM_400000_NS6detail17trampoline_kernelINS0_14default_configENS1_25transform_config_selectorI12hip_bfloat16Lb1EEEZNS1_14transform_implILb1ES3_S6_PS5_S8_NS0_8identityIS5_EEEE10hipError_tT2_T3_mT4_P12ihipStream_tbEUlT_E_NS1_11comp_targetILNS1_3genE10ELNS1_11target_archE1201ELNS1_3gpuE5ELNS1_3repE0EEENS1_30default_config_static_selectorELNS0_4arch9wavefront6targetE0EEEvT1_.private_seg_size, 0
	.set _ZN7rocprim17ROCPRIM_400000_NS6detail17trampoline_kernelINS0_14default_configENS1_25transform_config_selectorI12hip_bfloat16Lb1EEEZNS1_14transform_implILb1ES3_S6_PS5_S8_NS0_8identityIS5_EEEE10hipError_tT2_T3_mT4_P12ihipStream_tbEUlT_E_NS1_11comp_targetILNS1_3genE10ELNS1_11target_archE1201ELNS1_3gpuE5ELNS1_3repE0EEENS1_30default_config_static_selectorELNS0_4arch9wavefront6targetE0EEEvT1_.uses_vcc, 0
	.set _ZN7rocprim17ROCPRIM_400000_NS6detail17trampoline_kernelINS0_14default_configENS1_25transform_config_selectorI12hip_bfloat16Lb1EEEZNS1_14transform_implILb1ES3_S6_PS5_S8_NS0_8identityIS5_EEEE10hipError_tT2_T3_mT4_P12ihipStream_tbEUlT_E_NS1_11comp_targetILNS1_3genE10ELNS1_11target_archE1201ELNS1_3gpuE5ELNS1_3repE0EEENS1_30default_config_static_selectorELNS0_4arch9wavefront6targetE0EEEvT1_.uses_flat_scratch, 0
	.set _ZN7rocprim17ROCPRIM_400000_NS6detail17trampoline_kernelINS0_14default_configENS1_25transform_config_selectorI12hip_bfloat16Lb1EEEZNS1_14transform_implILb1ES3_S6_PS5_S8_NS0_8identityIS5_EEEE10hipError_tT2_T3_mT4_P12ihipStream_tbEUlT_E_NS1_11comp_targetILNS1_3genE10ELNS1_11target_archE1201ELNS1_3gpuE5ELNS1_3repE0EEENS1_30default_config_static_selectorELNS0_4arch9wavefront6targetE0EEEvT1_.has_dyn_sized_stack, 0
	.set _ZN7rocprim17ROCPRIM_400000_NS6detail17trampoline_kernelINS0_14default_configENS1_25transform_config_selectorI12hip_bfloat16Lb1EEEZNS1_14transform_implILb1ES3_S6_PS5_S8_NS0_8identityIS5_EEEE10hipError_tT2_T3_mT4_P12ihipStream_tbEUlT_E_NS1_11comp_targetILNS1_3genE10ELNS1_11target_archE1201ELNS1_3gpuE5ELNS1_3repE0EEENS1_30default_config_static_selectorELNS0_4arch9wavefront6targetE0EEEvT1_.has_recursion, 0
	.set _ZN7rocprim17ROCPRIM_400000_NS6detail17trampoline_kernelINS0_14default_configENS1_25transform_config_selectorI12hip_bfloat16Lb1EEEZNS1_14transform_implILb1ES3_S6_PS5_S8_NS0_8identityIS5_EEEE10hipError_tT2_T3_mT4_P12ihipStream_tbEUlT_E_NS1_11comp_targetILNS1_3genE10ELNS1_11target_archE1201ELNS1_3gpuE5ELNS1_3repE0EEENS1_30default_config_static_selectorELNS0_4arch9wavefront6targetE0EEEvT1_.has_indirect_call, 0
	.section	.AMDGPU.csdata,"",@progbits
; Kernel info:
; codeLenInByte = 0
; TotalNumSgprs: 0
; NumVgprs: 0
; ScratchSize: 0
; MemoryBound: 0
; FloatMode: 240
; IeeeMode: 1
; LDSByteSize: 0 bytes/workgroup (compile time only)
; SGPRBlocks: 0
; VGPRBlocks: 0
; NumSGPRsForWavesPerEU: 1
; NumVGPRsForWavesPerEU: 1
; NamedBarCnt: 0
; Occupancy: 16
; WaveLimiterHint : 0
; COMPUTE_PGM_RSRC2:SCRATCH_EN: 0
; COMPUTE_PGM_RSRC2:USER_SGPR: 2
; COMPUTE_PGM_RSRC2:TRAP_HANDLER: 0
; COMPUTE_PGM_RSRC2:TGID_X_EN: 1
; COMPUTE_PGM_RSRC2:TGID_Y_EN: 0
; COMPUTE_PGM_RSRC2:TGID_Z_EN: 0
; COMPUTE_PGM_RSRC2:TIDIG_COMP_CNT: 0
	.section	.text._ZN7rocprim17ROCPRIM_400000_NS6detail17trampoline_kernelINS0_14default_configENS1_25transform_config_selectorI12hip_bfloat16Lb1EEEZNS1_14transform_implILb1ES3_S6_PS5_S8_NS0_8identityIS5_EEEE10hipError_tT2_T3_mT4_P12ihipStream_tbEUlT_E_NS1_11comp_targetILNS1_3genE5ELNS1_11target_archE942ELNS1_3gpuE9ELNS1_3repE0EEENS1_30default_config_static_selectorELNS0_4arch9wavefront6targetE0EEEvT1_,"axG",@progbits,_ZN7rocprim17ROCPRIM_400000_NS6detail17trampoline_kernelINS0_14default_configENS1_25transform_config_selectorI12hip_bfloat16Lb1EEEZNS1_14transform_implILb1ES3_S6_PS5_S8_NS0_8identityIS5_EEEE10hipError_tT2_T3_mT4_P12ihipStream_tbEUlT_E_NS1_11comp_targetILNS1_3genE5ELNS1_11target_archE942ELNS1_3gpuE9ELNS1_3repE0EEENS1_30default_config_static_selectorELNS0_4arch9wavefront6targetE0EEEvT1_,comdat
	.protected	_ZN7rocprim17ROCPRIM_400000_NS6detail17trampoline_kernelINS0_14default_configENS1_25transform_config_selectorI12hip_bfloat16Lb1EEEZNS1_14transform_implILb1ES3_S6_PS5_S8_NS0_8identityIS5_EEEE10hipError_tT2_T3_mT4_P12ihipStream_tbEUlT_E_NS1_11comp_targetILNS1_3genE5ELNS1_11target_archE942ELNS1_3gpuE9ELNS1_3repE0EEENS1_30default_config_static_selectorELNS0_4arch9wavefront6targetE0EEEvT1_ ; -- Begin function _ZN7rocprim17ROCPRIM_400000_NS6detail17trampoline_kernelINS0_14default_configENS1_25transform_config_selectorI12hip_bfloat16Lb1EEEZNS1_14transform_implILb1ES3_S6_PS5_S8_NS0_8identityIS5_EEEE10hipError_tT2_T3_mT4_P12ihipStream_tbEUlT_E_NS1_11comp_targetILNS1_3genE5ELNS1_11target_archE942ELNS1_3gpuE9ELNS1_3repE0EEENS1_30default_config_static_selectorELNS0_4arch9wavefront6targetE0EEEvT1_
	.globl	_ZN7rocprim17ROCPRIM_400000_NS6detail17trampoline_kernelINS0_14default_configENS1_25transform_config_selectorI12hip_bfloat16Lb1EEEZNS1_14transform_implILb1ES3_S6_PS5_S8_NS0_8identityIS5_EEEE10hipError_tT2_T3_mT4_P12ihipStream_tbEUlT_E_NS1_11comp_targetILNS1_3genE5ELNS1_11target_archE942ELNS1_3gpuE9ELNS1_3repE0EEENS1_30default_config_static_selectorELNS0_4arch9wavefront6targetE0EEEvT1_
	.p2align	8
	.type	_ZN7rocprim17ROCPRIM_400000_NS6detail17trampoline_kernelINS0_14default_configENS1_25transform_config_selectorI12hip_bfloat16Lb1EEEZNS1_14transform_implILb1ES3_S6_PS5_S8_NS0_8identityIS5_EEEE10hipError_tT2_T3_mT4_P12ihipStream_tbEUlT_E_NS1_11comp_targetILNS1_3genE5ELNS1_11target_archE942ELNS1_3gpuE9ELNS1_3repE0EEENS1_30default_config_static_selectorELNS0_4arch9wavefront6targetE0EEEvT1_,@function
_ZN7rocprim17ROCPRIM_400000_NS6detail17trampoline_kernelINS0_14default_configENS1_25transform_config_selectorI12hip_bfloat16Lb1EEEZNS1_14transform_implILb1ES3_S6_PS5_S8_NS0_8identityIS5_EEEE10hipError_tT2_T3_mT4_P12ihipStream_tbEUlT_E_NS1_11comp_targetILNS1_3genE5ELNS1_11target_archE942ELNS1_3gpuE9ELNS1_3repE0EEENS1_30default_config_static_selectorELNS0_4arch9wavefront6targetE0EEEvT1_: ; @_ZN7rocprim17ROCPRIM_400000_NS6detail17trampoline_kernelINS0_14default_configENS1_25transform_config_selectorI12hip_bfloat16Lb1EEEZNS1_14transform_implILb1ES3_S6_PS5_S8_NS0_8identityIS5_EEEE10hipError_tT2_T3_mT4_P12ihipStream_tbEUlT_E_NS1_11comp_targetILNS1_3genE5ELNS1_11target_archE942ELNS1_3gpuE9ELNS1_3repE0EEENS1_30default_config_static_selectorELNS0_4arch9wavefront6targetE0EEEvT1_
; %bb.0:
	.section	.rodata,"a",@progbits
	.p2align	6, 0x0
	.amdhsa_kernel _ZN7rocprim17ROCPRIM_400000_NS6detail17trampoline_kernelINS0_14default_configENS1_25transform_config_selectorI12hip_bfloat16Lb1EEEZNS1_14transform_implILb1ES3_S6_PS5_S8_NS0_8identityIS5_EEEE10hipError_tT2_T3_mT4_P12ihipStream_tbEUlT_E_NS1_11comp_targetILNS1_3genE5ELNS1_11target_archE942ELNS1_3gpuE9ELNS1_3repE0EEENS1_30default_config_static_selectorELNS0_4arch9wavefront6targetE0EEEvT1_
		.amdhsa_group_segment_fixed_size 0
		.amdhsa_private_segment_fixed_size 0
		.amdhsa_kernarg_size 40
		.amdhsa_user_sgpr_count 2
		.amdhsa_user_sgpr_dispatch_ptr 0
		.amdhsa_user_sgpr_queue_ptr 0
		.amdhsa_user_sgpr_kernarg_segment_ptr 1
		.amdhsa_user_sgpr_dispatch_id 0
		.amdhsa_user_sgpr_kernarg_preload_length 0
		.amdhsa_user_sgpr_kernarg_preload_offset 0
		.amdhsa_user_sgpr_private_segment_size 0
		.amdhsa_wavefront_size32 1
		.amdhsa_uses_dynamic_stack 0
		.amdhsa_enable_private_segment 0
		.amdhsa_system_sgpr_workgroup_id_x 1
		.amdhsa_system_sgpr_workgroup_id_y 0
		.amdhsa_system_sgpr_workgroup_id_z 0
		.amdhsa_system_sgpr_workgroup_info 0
		.amdhsa_system_vgpr_workitem_id 0
		.amdhsa_next_free_vgpr 1
		.amdhsa_next_free_sgpr 1
		.amdhsa_named_barrier_count 0
		.amdhsa_reserve_vcc 0
		.amdhsa_float_round_mode_32 0
		.amdhsa_float_round_mode_16_64 0
		.amdhsa_float_denorm_mode_32 3
		.amdhsa_float_denorm_mode_16_64 3
		.amdhsa_fp16_overflow 0
		.amdhsa_memory_ordered 1
		.amdhsa_forward_progress 1
		.amdhsa_inst_pref_size 0
		.amdhsa_round_robin_scheduling 0
		.amdhsa_exception_fp_ieee_invalid_op 0
		.amdhsa_exception_fp_denorm_src 0
		.amdhsa_exception_fp_ieee_div_zero 0
		.amdhsa_exception_fp_ieee_overflow 0
		.amdhsa_exception_fp_ieee_underflow 0
		.amdhsa_exception_fp_ieee_inexact 0
		.amdhsa_exception_int_div_zero 0
	.end_amdhsa_kernel
	.section	.text._ZN7rocprim17ROCPRIM_400000_NS6detail17trampoline_kernelINS0_14default_configENS1_25transform_config_selectorI12hip_bfloat16Lb1EEEZNS1_14transform_implILb1ES3_S6_PS5_S8_NS0_8identityIS5_EEEE10hipError_tT2_T3_mT4_P12ihipStream_tbEUlT_E_NS1_11comp_targetILNS1_3genE5ELNS1_11target_archE942ELNS1_3gpuE9ELNS1_3repE0EEENS1_30default_config_static_selectorELNS0_4arch9wavefront6targetE0EEEvT1_,"axG",@progbits,_ZN7rocprim17ROCPRIM_400000_NS6detail17trampoline_kernelINS0_14default_configENS1_25transform_config_selectorI12hip_bfloat16Lb1EEEZNS1_14transform_implILb1ES3_S6_PS5_S8_NS0_8identityIS5_EEEE10hipError_tT2_T3_mT4_P12ihipStream_tbEUlT_E_NS1_11comp_targetILNS1_3genE5ELNS1_11target_archE942ELNS1_3gpuE9ELNS1_3repE0EEENS1_30default_config_static_selectorELNS0_4arch9wavefront6targetE0EEEvT1_,comdat
.Lfunc_end1932:
	.size	_ZN7rocprim17ROCPRIM_400000_NS6detail17trampoline_kernelINS0_14default_configENS1_25transform_config_selectorI12hip_bfloat16Lb1EEEZNS1_14transform_implILb1ES3_S6_PS5_S8_NS0_8identityIS5_EEEE10hipError_tT2_T3_mT4_P12ihipStream_tbEUlT_E_NS1_11comp_targetILNS1_3genE5ELNS1_11target_archE942ELNS1_3gpuE9ELNS1_3repE0EEENS1_30default_config_static_selectorELNS0_4arch9wavefront6targetE0EEEvT1_, .Lfunc_end1932-_ZN7rocprim17ROCPRIM_400000_NS6detail17trampoline_kernelINS0_14default_configENS1_25transform_config_selectorI12hip_bfloat16Lb1EEEZNS1_14transform_implILb1ES3_S6_PS5_S8_NS0_8identityIS5_EEEE10hipError_tT2_T3_mT4_P12ihipStream_tbEUlT_E_NS1_11comp_targetILNS1_3genE5ELNS1_11target_archE942ELNS1_3gpuE9ELNS1_3repE0EEENS1_30default_config_static_selectorELNS0_4arch9wavefront6targetE0EEEvT1_
                                        ; -- End function
	.set _ZN7rocprim17ROCPRIM_400000_NS6detail17trampoline_kernelINS0_14default_configENS1_25transform_config_selectorI12hip_bfloat16Lb1EEEZNS1_14transform_implILb1ES3_S6_PS5_S8_NS0_8identityIS5_EEEE10hipError_tT2_T3_mT4_P12ihipStream_tbEUlT_E_NS1_11comp_targetILNS1_3genE5ELNS1_11target_archE942ELNS1_3gpuE9ELNS1_3repE0EEENS1_30default_config_static_selectorELNS0_4arch9wavefront6targetE0EEEvT1_.num_vgpr, 0
	.set _ZN7rocprim17ROCPRIM_400000_NS6detail17trampoline_kernelINS0_14default_configENS1_25transform_config_selectorI12hip_bfloat16Lb1EEEZNS1_14transform_implILb1ES3_S6_PS5_S8_NS0_8identityIS5_EEEE10hipError_tT2_T3_mT4_P12ihipStream_tbEUlT_E_NS1_11comp_targetILNS1_3genE5ELNS1_11target_archE942ELNS1_3gpuE9ELNS1_3repE0EEENS1_30default_config_static_selectorELNS0_4arch9wavefront6targetE0EEEvT1_.num_agpr, 0
	.set _ZN7rocprim17ROCPRIM_400000_NS6detail17trampoline_kernelINS0_14default_configENS1_25transform_config_selectorI12hip_bfloat16Lb1EEEZNS1_14transform_implILb1ES3_S6_PS5_S8_NS0_8identityIS5_EEEE10hipError_tT2_T3_mT4_P12ihipStream_tbEUlT_E_NS1_11comp_targetILNS1_3genE5ELNS1_11target_archE942ELNS1_3gpuE9ELNS1_3repE0EEENS1_30default_config_static_selectorELNS0_4arch9wavefront6targetE0EEEvT1_.numbered_sgpr, 0
	.set _ZN7rocprim17ROCPRIM_400000_NS6detail17trampoline_kernelINS0_14default_configENS1_25transform_config_selectorI12hip_bfloat16Lb1EEEZNS1_14transform_implILb1ES3_S6_PS5_S8_NS0_8identityIS5_EEEE10hipError_tT2_T3_mT4_P12ihipStream_tbEUlT_E_NS1_11comp_targetILNS1_3genE5ELNS1_11target_archE942ELNS1_3gpuE9ELNS1_3repE0EEENS1_30default_config_static_selectorELNS0_4arch9wavefront6targetE0EEEvT1_.num_named_barrier, 0
	.set _ZN7rocprim17ROCPRIM_400000_NS6detail17trampoline_kernelINS0_14default_configENS1_25transform_config_selectorI12hip_bfloat16Lb1EEEZNS1_14transform_implILb1ES3_S6_PS5_S8_NS0_8identityIS5_EEEE10hipError_tT2_T3_mT4_P12ihipStream_tbEUlT_E_NS1_11comp_targetILNS1_3genE5ELNS1_11target_archE942ELNS1_3gpuE9ELNS1_3repE0EEENS1_30default_config_static_selectorELNS0_4arch9wavefront6targetE0EEEvT1_.private_seg_size, 0
	.set _ZN7rocprim17ROCPRIM_400000_NS6detail17trampoline_kernelINS0_14default_configENS1_25transform_config_selectorI12hip_bfloat16Lb1EEEZNS1_14transform_implILb1ES3_S6_PS5_S8_NS0_8identityIS5_EEEE10hipError_tT2_T3_mT4_P12ihipStream_tbEUlT_E_NS1_11comp_targetILNS1_3genE5ELNS1_11target_archE942ELNS1_3gpuE9ELNS1_3repE0EEENS1_30default_config_static_selectorELNS0_4arch9wavefront6targetE0EEEvT1_.uses_vcc, 0
	.set _ZN7rocprim17ROCPRIM_400000_NS6detail17trampoline_kernelINS0_14default_configENS1_25transform_config_selectorI12hip_bfloat16Lb1EEEZNS1_14transform_implILb1ES3_S6_PS5_S8_NS0_8identityIS5_EEEE10hipError_tT2_T3_mT4_P12ihipStream_tbEUlT_E_NS1_11comp_targetILNS1_3genE5ELNS1_11target_archE942ELNS1_3gpuE9ELNS1_3repE0EEENS1_30default_config_static_selectorELNS0_4arch9wavefront6targetE0EEEvT1_.uses_flat_scratch, 0
	.set _ZN7rocprim17ROCPRIM_400000_NS6detail17trampoline_kernelINS0_14default_configENS1_25transform_config_selectorI12hip_bfloat16Lb1EEEZNS1_14transform_implILb1ES3_S6_PS5_S8_NS0_8identityIS5_EEEE10hipError_tT2_T3_mT4_P12ihipStream_tbEUlT_E_NS1_11comp_targetILNS1_3genE5ELNS1_11target_archE942ELNS1_3gpuE9ELNS1_3repE0EEENS1_30default_config_static_selectorELNS0_4arch9wavefront6targetE0EEEvT1_.has_dyn_sized_stack, 0
	.set _ZN7rocprim17ROCPRIM_400000_NS6detail17trampoline_kernelINS0_14default_configENS1_25transform_config_selectorI12hip_bfloat16Lb1EEEZNS1_14transform_implILb1ES3_S6_PS5_S8_NS0_8identityIS5_EEEE10hipError_tT2_T3_mT4_P12ihipStream_tbEUlT_E_NS1_11comp_targetILNS1_3genE5ELNS1_11target_archE942ELNS1_3gpuE9ELNS1_3repE0EEENS1_30default_config_static_selectorELNS0_4arch9wavefront6targetE0EEEvT1_.has_recursion, 0
	.set _ZN7rocprim17ROCPRIM_400000_NS6detail17trampoline_kernelINS0_14default_configENS1_25transform_config_selectorI12hip_bfloat16Lb1EEEZNS1_14transform_implILb1ES3_S6_PS5_S8_NS0_8identityIS5_EEEE10hipError_tT2_T3_mT4_P12ihipStream_tbEUlT_E_NS1_11comp_targetILNS1_3genE5ELNS1_11target_archE942ELNS1_3gpuE9ELNS1_3repE0EEENS1_30default_config_static_selectorELNS0_4arch9wavefront6targetE0EEEvT1_.has_indirect_call, 0
	.section	.AMDGPU.csdata,"",@progbits
; Kernel info:
; codeLenInByte = 0
; TotalNumSgprs: 0
; NumVgprs: 0
; ScratchSize: 0
; MemoryBound: 0
; FloatMode: 240
; IeeeMode: 1
; LDSByteSize: 0 bytes/workgroup (compile time only)
; SGPRBlocks: 0
; VGPRBlocks: 0
; NumSGPRsForWavesPerEU: 1
; NumVGPRsForWavesPerEU: 1
; NamedBarCnt: 0
; Occupancy: 16
; WaveLimiterHint : 0
; COMPUTE_PGM_RSRC2:SCRATCH_EN: 0
; COMPUTE_PGM_RSRC2:USER_SGPR: 2
; COMPUTE_PGM_RSRC2:TRAP_HANDLER: 0
; COMPUTE_PGM_RSRC2:TGID_X_EN: 1
; COMPUTE_PGM_RSRC2:TGID_Y_EN: 0
; COMPUTE_PGM_RSRC2:TGID_Z_EN: 0
; COMPUTE_PGM_RSRC2:TIDIG_COMP_CNT: 0
	.section	.text._ZN7rocprim17ROCPRIM_400000_NS6detail17trampoline_kernelINS0_14default_configENS1_25transform_config_selectorI12hip_bfloat16Lb1EEEZNS1_14transform_implILb1ES3_S6_PS5_S8_NS0_8identityIS5_EEEE10hipError_tT2_T3_mT4_P12ihipStream_tbEUlT_E_NS1_11comp_targetILNS1_3genE4ELNS1_11target_archE910ELNS1_3gpuE8ELNS1_3repE0EEENS1_30default_config_static_selectorELNS0_4arch9wavefront6targetE0EEEvT1_,"axG",@progbits,_ZN7rocprim17ROCPRIM_400000_NS6detail17trampoline_kernelINS0_14default_configENS1_25transform_config_selectorI12hip_bfloat16Lb1EEEZNS1_14transform_implILb1ES3_S6_PS5_S8_NS0_8identityIS5_EEEE10hipError_tT2_T3_mT4_P12ihipStream_tbEUlT_E_NS1_11comp_targetILNS1_3genE4ELNS1_11target_archE910ELNS1_3gpuE8ELNS1_3repE0EEENS1_30default_config_static_selectorELNS0_4arch9wavefront6targetE0EEEvT1_,comdat
	.protected	_ZN7rocprim17ROCPRIM_400000_NS6detail17trampoline_kernelINS0_14default_configENS1_25transform_config_selectorI12hip_bfloat16Lb1EEEZNS1_14transform_implILb1ES3_S6_PS5_S8_NS0_8identityIS5_EEEE10hipError_tT2_T3_mT4_P12ihipStream_tbEUlT_E_NS1_11comp_targetILNS1_3genE4ELNS1_11target_archE910ELNS1_3gpuE8ELNS1_3repE0EEENS1_30default_config_static_selectorELNS0_4arch9wavefront6targetE0EEEvT1_ ; -- Begin function _ZN7rocprim17ROCPRIM_400000_NS6detail17trampoline_kernelINS0_14default_configENS1_25transform_config_selectorI12hip_bfloat16Lb1EEEZNS1_14transform_implILb1ES3_S6_PS5_S8_NS0_8identityIS5_EEEE10hipError_tT2_T3_mT4_P12ihipStream_tbEUlT_E_NS1_11comp_targetILNS1_3genE4ELNS1_11target_archE910ELNS1_3gpuE8ELNS1_3repE0EEENS1_30default_config_static_selectorELNS0_4arch9wavefront6targetE0EEEvT1_
	.globl	_ZN7rocprim17ROCPRIM_400000_NS6detail17trampoline_kernelINS0_14default_configENS1_25transform_config_selectorI12hip_bfloat16Lb1EEEZNS1_14transform_implILb1ES3_S6_PS5_S8_NS0_8identityIS5_EEEE10hipError_tT2_T3_mT4_P12ihipStream_tbEUlT_E_NS1_11comp_targetILNS1_3genE4ELNS1_11target_archE910ELNS1_3gpuE8ELNS1_3repE0EEENS1_30default_config_static_selectorELNS0_4arch9wavefront6targetE0EEEvT1_
	.p2align	8
	.type	_ZN7rocprim17ROCPRIM_400000_NS6detail17trampoline_kernelINS0_14default_configENS1_25transform_config_selectorI12hip_bfloat16Lb1EEEZNS1_14transform_implILb1ES3_S6_PS5_S8_NS0_8identityIS5_EEEE10hipError_tT2_T3_mT4_P12ihipStream_tbEUlT_E_NS1_11comp_targetILNS1_3genE4ELNS1_11target_archE910ELNS1_3gpuE8ELNS1_3repE0EEENS1_30default_config_static_selectorELNS0_4arch9wavefront6targetE0EEEvT1_,@function
_ZN7rocprim17ROCPRIM_400000_NS6detail17trampoline_kernelINS0_14default_configENS1_25transform_config_selectorI12hip_bfloat16Lb1EEEZNS1_14transform_implILb1ES3_S6_PS5_S8_NS0_8identityIS5_EEEE10hipError_tT2_T3_mT4_P12ihipStream_tbEUlT_E_NS1_11comp_targetILNS1_3genE4ELNS1_11target_archE910ELNS1_3gpuE8ELNS1_3repE0EEENS1_30default_config_static_selectorELNS0_4arch9wavefront6targetE0EEEvT1_: ; @_ZN7rocprim17ROCPRIM_400000_NS6detail17trampoline_kernelINS0_14default_configENS1_25transform_config_selectorI12hip_bfloat16Lb1EEEZNS1_14transform_implILb1ES3_S6_PS5_S8_NS0_8identityIS5_EEEE10hipError_tT2_T3_mT4_P12ihipStream_tbEUlT_E_NS1_11comp_targetILNS1_3genE4ELNS1_11target_archE910ELNS1_3gpuE8ELNS1_3repE0EEENS1_30default_config_static_selectorELNS0_4arch9wavefront6targetE0EEEvT1_
; %bb.0:
	.section	.rodata,"a",@progbits
	.p2align	6, 0x0
	.amdhsa_kernel _ZN7rocprim17ROCPRIM_400000_NS6detail17trampoline_kernelINS0_14default_configENS1_25transform_config_selectorI12hip_bfloat16Lb1EEEZNS1_14transform_implILb1ES3_S6_PS5_S8_NS0_8identityIS5_EEEE10hipError_tT2_T3_mT4_P12ihipStream_tbEUlT_E_NS1_11comp_targetILNS1_3genE4ELNS1_11target_archE910ELNS1_3gpuE8ELNS1_3repE0EEENS1_30default_config_static_selectorELNS0_4arch9wavefront6targetE0EEEvT1_
		.amdhsa_group_segment_fixed_size 0
		.amdhsa_private_segment_fixed_size 0
		.amdhsa_kernarg_size 40
		.amdhsa_user_sgpr_count 2
		.amdhsa_user_sgpr_dispatch_ptr 0
		.amdhsa_user_sgpr_queue_ptr 0
		.amdhsa_user_sgpr_kernarg_segment_ptr 1
		.amdhsa_user_sgpr_dispatch_id 0
		.amdhsa_user_sgpr_kernarg_preload_length 0
		.amdhsa_user_sgpr_kernarg_preload_offset 0
		.amdhsa_user_sgpr_private_segment_size 0
		.amdhsa_wavefront_size32 1
		.amdhsa_uses_dynamic_stack 0
		.amdhsa_enable_private_segment 0
		.amdhsa_system_sgpr_workgroup_id_x 1
		.amdhsa_system_sgpr_workgroup_id_y 0
		.amdhsa_system_sgpr_workgroup_id_z 0
		.amdhsa_system_sgpr_workgroup_info 0
		.amdhsa_system_vgpr_workitem_id 0
		.amdhsa_next_free_vgpr 1
		.amdhsa_next_free_sgpr 1
		.amdhsa_named_barrier_count 0
		.amdhsa_reserve_vcc 0
		.amdhsa_float_round_mode_32 0
		.amdhsa_float_round_mode_16_64 0
		.amdhsa_float_denorm_mode_32 3
		.amdhsa_float_denorm_mode_16_64 3
		.amdhsa_fp16_overflow 0
		.amdhsa_memory_ordered 1
		.amdhsa_forward_progress 1
		.amdhsa_inst_pref_size 0
		.amdhsa_round_robin_scheduling 0
		.amdhsa_exception_fp_ieee_invalid_op 0
		.amdhsa_exception_fp_denorm_src 0
		.amdhsa_exception_fp_ieee_div_zero 0
		.amdhsa_exception_fp_ieee_overflow 0
		.amdhsa_exception_fp_ieee_underflow 0
		.amdhsa_exception_fp_ieee_inexact 0
		.amdhsa_exception_int_div_zero 0
	.end_amdhsa_kernel
	.section	.text._ZN7rocprim17ROCPRIM_400000_NS6detail17trampoline_kernelINS0_14default_configENS1_25transform_config_selectorI12hip_bfloat16Lb1EEEZNS1_14transform_implILb1ES3_S6_PS5_S8_NS0_8identityIS5_EEEE10hipError_tT2_T3_mT4_P12ihipStream_tbEUlT_E_NS1_11comp_targetILNS1_3genE4ELNS1_11target_archE910ELNS1_3gpuE8ELNS1_3repE0EEENS1_30default_config_static_selectorELNS0_4arch9wavefront6targetE0EEEvT1_,"axG",@progbits,_ZN7rocprim17ROCPRIM_400000_NS6detail17trampoline_kernelINS0_14default_configENS1_25transform_config_selectorI12hip_bfloat16Lb1EEEZNS1_14transform_implILb1ES3_S6_PS5_S8_NS0_8identityIS5_EEEE10hipError_tT2_T3_mT4_P12ihipStream_tbEUlT_E_NS1_11comp_targetILNS1_3genE4ELNS1_11target_archE910ELNS1_3gpuE8ELNS1_3repE0EEENS1_30default_config_static_selectorELNS0_4arch9wavefront6targetE0EEEvT1_,comdat
.Lfunc_end1933:
	.size	_ZN7rocprim17ROCPRIM_400000_NS6detail17trampoline_kernelINS0_14default_configENS1_25transform_config_selectorI12hip_bfloat16Lb1EEEZNS1_14transform_implILb1ES3_S6_PS5_S8_NS0_8identityIS5_EEEE10hipError_tT2_T3_mT4_P12ihipStream_tbEUlT_E_NS1_11comp_targetILNS1_3genE4ELNS1_11target_archE910ELNS1_3gpuE8ELNS1_3repE0EEENS1_30default_config_static_selectorELNS0_4arch9wavefront6targetE0EEEvT1_, .Lfunc_end1933-_ZN7rocprim17ROCPRIM_400000_NS6detail17trampoline_kernelINS0_14default_configENS1_25transform_config_selectorI12hip_bfloat16Lb1EEEZNS1_14transform_implILb1ES3_S6_PS5_S8_NS0_8identityIS5_EEEE10hipError_tT2_T3_mT4_P12ihipStream_tbEUlT_E_NS1_11comp_targetILNS1_3genE4ELNS1_11target_archE910ELNS1_3gpuE8ELNS1_3repE0EEENS1_30default_config_static_selectorELNS0_4arch9wavefront6targetE0EEEvT1_
                                        ; -- End function
	.set _ZN7rocprim17ROCPRIM_400000_NS6detail17trampoline_kernelINS0_14default_configENS1_25transform_config_selectorI12hip_bfloat16Lb1EEEZNS1_14transform_implILb1ES3_S6_PS5_S8_NS0_8identityIS5_EEEE10hipError_tT2_T3_mT4_P12ihipStream_tbEUlT_E_NS1_11comp_targetILNS1_3genE4ELNS1_11target_archE910ELNS1_3gpuE8ELNS1_3repE0EEENS1_30default_config_static_selectorELNS0_4arch9wavefront6targetE0EEEvT1_.num_vgpr, 0
	.set _ZN7rocprim17ROCPRIM_400000_NS6detail17trampoline_kernelINS0_14default_configENS1_25transform_config_selectorI12hip_bfloat16Lb1EEEZNS1_14transform_implILb1ES3_S6_PS5_S8_NS0_8identityIS5_EEEE10hipError_tT2_T3_mT4_P12ihipStream_tbEUlT_E_NS1_11comp_targetILNS1_3genE4ELNS1_11target_archE910ELNS1_3gpuE8ELNS1_3repE0EEENS1_30default_config_static_selectorELNS0_4arch9wavefront6targetE0EEEvT1_.num_agpr, 0
	.set _ZN7rocprim17ROCPRIM_400000_NS6detail17trampoline_kernelINS0_14default_configENS1_25transform_config_selectorI12hip_bfloat16Lb1EEEZNS1_14transform_implILb1ES3_S6_PS5_S8_NS0_8identityIS5_EEEE10hipError_tT2_T3_mT4_P12ihipStream_tbEUlT_E_NS1_11comp_targetILNS1_3genE4ELNS1_11target_archE910ELNS1_3gpuE8ELNS1_3repE0EEENS1_30default_config_static_selectorELNS0_4arch9wavefront6targetE0EEEvT1_.numbered_sgpr, 0
	.set _ZN7rocprim17ROCPRIM_400000_NS6detail17trampoline_kernelINS0_14default_configENS1_25transform_config_selectorI12hip_bfloat16Lb1EEEZNS1_14transform_implILb1ES3_S6_PS5_S8_NS0_8identityIS5_EEEE10hipError_tT2_T3_mT4_P12ihipStream_tbEUlT_E_NS1_11comp_targetILNS1_3genE4ELNS1_11target_archE910ELNS1_3gpuE8ELNS1_3repE0EEENS1_30default_config_static_selectorELNS0_4arch9wavefront6targetE0EEEvT1_.num_named_barrier, 0
	.set _ZN7rocprim17ROCPRIM_400000_NS6detail17trampoline_kernelINS0_14default_configENS1_25transform_config_selectorI12hip_bfloat16Lb1EEEZNS1_14transform_implILb1ES3_S6_PS5_S8_NS0_8identityIS5_EEEE10hipError_tT2_T3_mT4_P12ihipStream_tbEUlT_E_NS1_11comp_targetILNS1_3genE4ELNS1_11target_archE910ELNS1_3gpuE8ELNS1_3repE0EEENS1_30default_config_static_selectorELNS0_4arch9wavefront6targetE0EEEvT1_.private_seg_size, 0
	.set _ZN7rocprim17ROCPRIM_400000_NS6detail17trampoline_kernelINS0_14default_configENS1_25transform_config_selectorI12hip_bfloat16Lb1EEEZNS1_14transform_implILb1ES3_S6_PS5_S8_NS0_8identityIS5_EEEE10hipError_tT2_T3_mT4_P12ihipStream_tbEUlT_E_NS1_11comp_targetILNS1_3genE4ELNS1_11target_archE910ELNS1_3gpuE8ELNS1_3repE0EEENS1_30default_config_static_selectorELNS0_4arch9wavefront6targetE0EEEvT1_.uses_vcc, 0
	.set _ZN7rocprim17ROCPRIM_400000_NS6detail17trampoline_kernelINS0_14default_configENS1_25transform_config_selectorI12hip_bfloat16Lb1EEEZNS1_14transform_implILb1ES3_S6_PS5_S8_NS0_8identityIS5_EEEE10hipError_tT2_T3_mT4_P12ihipStream_tbEUlT_E_NS1_11comp_targetILNS1_3genE4ELNS1_11target_archE910ELNS1_3gpuE8ELNS1_3repE0EEENS1_30default_config_static_selectorELNS0_4arch9wavefront6targetE0EEEvT1_.uses_flat_scratch, 0
	.set _ZN7rocprim17ROCPRIM_400000_NS6detail17trampoline_kernelINS0_14default_configENS1_25transform_config_selectorI12hip_bfloat16Lb1EEEZNS1_14transform_implILb1ES3_S6_PS5_S8_NS0_8identityIS5_EEEE10hipError_tT2_T3_mT4_P12ihipStream_tbEUlT_E_NS1_11comp_targetILNS1_3genE4ELNS1_11target_archE910ELNS1_3gpuE8ELNS1_3repE0EEENS1_30default_config_static_selectorELNS0_4arch9wavefront6targetE0EEEvT1_.has_dyn_sized_stack, 0
	.set _ZN7rocprim17ROCPRIM_400000_NS6detail17trampoline_kernelINS0_14default_configENS1_25transform_config_selectorI12hip_bfloat16Lb1EEEZNS1_14transform_implILb1ES3_S6_PS5_S8_NS0_8identityIS5_EEEE10hipError_tT2_T3_mT4_P12ihipStream_tbEUlT_E_NS1_11comp_targetILNS1_3genE4ELNS1_11target_archE910ELNS1_3gpuE8ELNS1_3repE0EEENS1_30default_config_static_selectorELNS0_4arch9wavefront6targetE0EEEvT1_.has_recursion, 0
	.set _ZN7rocprim17ROCPRIM_400000_NS6detail17trampoline_kernelINS0_14default_configENS1_25transform_config_selectorI12hip_bfloat16Lb1EEEZNS1_14transform_implILb1ES3_S6_PS5_S8_NS0_8identityIS5_EEEE10hipError_tT2_T3_mT4_P12ihipStream_tbEUlT_E_NS1_11comp_targetILNS1_3genE4ELNS1_11target_archE910ELNS1_3gpuE8ELNS1_3repE0EEENS1_30default_config_static_selectorELNS0_4arch9wavefront6targetE0EEEvT1_.has_indirect_call, 0
	.section	.AMDGPU.csdata,"",@progbits
; Kernel info:
; codeLenInByte = 0
; TotalNumSgprs: 0
; NumVgprs: 0
; ScratchSize: 0
; MemoryBound: 0
; FloatMode: 240
; IeeeMode: 1
; LDSByteSize: 0 bytes/workgroup (compile time only)
; SGPRBlocks: 0
; VGPRBlocks: 0
; NumSGPRsForWavesPerEU: 1
; NumVGPRsForWavesPerEU: 1
; NamedBarCnt: 0
; Occupancy: 16
; WaveLimiterHint : 0
; COMPUTE_PGM_RSRC2:SCRATCH_EN: 0
; COMPUTE_PGM_RSRC2:USER_SGPR: 2
; COMPUTE_PGM_RSRC2:TRAP_HANDLER: 0
; COMPUTE_PGM_RSRC2:TGID_X_EN: 1
; COMPUTE_PGM_RSRC2:TGID_Y_EN: 0
; COMPUTE_PGM_RSRC2:TGID_Z_EN: 0
; COMPUTE_PGM_RSRC2:TIDIG_COMP_CNT: 0
	.section	.text._ZN7rocprim17ROCPRIM_400000_NS6detail17trampoline_kernelINS0_14default_configENS1_25transform_config_selectorI12hip_bfloat16Lb1EEEZNS1_14transform_implILb1ES3_S6_PS5_S8_NS0_8identityIS5_EEEE10hipError_tT2_T3_mT4_P12ihipStream_tbEUlT_E_NS1_11comp_targetILNS1_3genE3ELNS1_11target_archE908ELNS1_3gpuE7ELNS1_3repE0EEENS1_30default_config_static_selectorELNS0_4arch9wavefront6targetE0EEEvT1_,"axG",@progbits,_ZN7rocprim17ROCPRIM_400000_NS6detail17trampoline_kernelINS0_14default_configENS1_25transform_config_selectorI12hip_bfloat16Lb1EEEZNS1_14transform_implILb1ES3_S6_PS5_S8_NS0_8identityIS5_EEEE10hipError_tT2_T3_mT4_P12ihipStream_tbEUlT_E_NS1_11comp_targetILNS1_3genE3ELNS1_11target_archE908ELNS1_3gpuE7ELNS1_3repE0EEENS1_30default_config_static_selectorELNS0_4arch9wavefront6targetE0EEEvT1_,comdat
	.protected	_ZN7rocprim17ROCPRIM_400000_NS6detail17trampoline_kernelINS0_14default_configENS1_25transform_config_selectorI12hip_bfloat16Lb1EEEZNS1_14transform_implILb1ES3_S6_PS5_S8_NS0_8identityIS5_EEEE10hipError_tT2_T3_mT4_P12ihipStream_tbEUlT_E_NS1_11comp_targetILNS1_3genE3ELNS1_11target_archE908ELNS1_3gpuE7ELNS1_3repE0EEENS1_30default_config_static_selectorELNS0_4arch9wavefront6targetE0EEEvT1_ ; -- Begin function _ZN7rocprim17ROCPRIM_400000_NS6detail17trampoline_kernelINS0_14default_configENS1_25transform_config_selectorI12hip_bfloat16Lb1EEEZNS1_14transform_implILb1ES3_S6_PS5_S8_NS0_8identityIS5_EEEE10hipError_tT2_T3_mT4_P12ihipStream_tbEUlT_E_NS1_11comp_targetILNS1_3genE3ELNS1_11target_archE908ELNS1_3gpuE7ELNS1_3repE0EEENS1_30default_config_static_selectorELNS0_4arch9wavefront6targetE0EEEvT1_
	.globl	_ZN7rocprim17ROCPRIM_400000_NS6detail17trampoline_kernelINS0_14default_configENS1_25transform_config_selectorI12hip_bfloat16Lb1EEEZNS1_14transform_implILb1ES3_S6_PS5_S8_NS0_8identityIS5_EEEE10hipError_tT2_T3_mT4_P12ihipStream_tbEUlT_E_NS1_11comp_targetILNS1_3genE3ELNS1_11target_archE908ELNS1_3gpuE7ELNS1_3repE0EEENS1_30default_config_static_selectorELNS0_4arch9wavefront6targetE0EEEvT1_
	.p2align	8
	.type	_ZN7rocprim17ROCPRIM_400000_NS6detail17trampoline_kernelINS0_14default_configENS1_25transform_config_selectorI12hip_bfloat16Lb1EEEZNS1_14transform_implILb1ES3_S6_PS5_S8_NS0_8identityIS5_EEEE10hipError_tT2_T3_mT4_P12ihipStream_tbEUlT_E_NS1_11comp_targetILNS1_3genE3ELNS1_11target_archE908ELNS1_3gpuE7ELNS1_3repE0EEENS1_30default_config_static_selectorELNS0_4arch9wavefront6targetE0EEEvT1_,@function
_ZN7rocprim17ROCPRIM_400000_NS6detail17trampoline_kernelINS0_14default_configENS1_25transform_config_selectorI12hip_bfloat16Lb1EEEZNS1_14transform_implILb1ES3_S6_PS5_S8_NS0_8identityIS5_EEEE10hipError_tT2_T3_mT4_P12ihipStream_tbEUlT_E_NS1_11comp_targetILNS1_3genE3ELNS1_11target_archE908ELNS1_3gpuE7ELNS1_3repE0EEENS1_30default_config_static_selectorELNS0_4arch9wavefront6targetE0EEEvT1_: ; @_ZN7rocprim17ROCPRIM_400000_NS6detail17trampoline_kernelINS0_14default_configENS1_25transform_config_selectorI12hip_bfloat16Lb1EEEZNS1_14transform_implILb1ES3_S6_PS5_S8_NS0_8identityIS5_EEEE10hipError_tT2_T3_mT4_P12ihipStream_tbEUlT_E_NS1_11comp_targetILNS1_3genE3ELNS1_11target_archE908ELNS1_3gpuE7ELNS1_3repE0EEENS1_30default_config_static_selectorELNS0_4arch9wavefront6targetE0EEEvT1_
; %bb.0:
	.section	.rodata,"a",@progbits
	.p2align	6, 0x0
	.amdhsa_kernel _ZN7rocprim17ROCPRIM_400000_NS6detail17trampoline_kernelINS0_14default_configENS1_25transform_config_selectorI12hip_bfloat16Lb1EEEZNS1_14transform_implILb1ES3_S6_PS5_S8_NS0_8identityIS5_EEEE10hipError_tT2_T3_mT4_P12ihipStream_tbEUlT_E_NS1_11comp_targetILNS1_3genE3ELNS1_11target_archE908ELNS1_3gpuE7ELNS1_3repE0EEENS1_30default_config_static_selectorELNS0_4arch9wavefront6targetE0EEEvT1_
		.amdhsa_group_segment_fixed_size 0
		.amdhsa_private_segment_fixed_size 0
		.amdhsa_kernarg_size 40
		.amdhsa_user_sgpr_count 2
		.amdhsa_user_sgpr_dispatch_ptr 0
		.amdhsa_user_sgpr_queue_ptr 0
		.amdhsa_user_sgpr_kernarg_segment_ptr 1
		.amdhsa_user_sgpr_dispatch_id 0
		.amdhsa_user_sgpr_kernarg_preload_length 0
		.amdhsa_user_sgpr_kernarg_preload_offset 0
		.amdhsa_user_sgpr_private_segment_size 0
		.amdhsa_wavefront_size32 1
		.amdhsa_uses_dynamic_stack 0
		.amdhsa_enable_private_segment 0
		.amdhsa_system_sgpr_workgroup_id_x 1
		.amdhsa_system_sgpr_workgroup_id_y 0
		.amdhsa_system_sgpr_workgroup_id_z 0
		.amdhsa_system_sgpr_workgroup_info 0
		.amdhsa_system_vgpr_workitem_id 0
		.amdhsa_next_free_vgpr 1
		.amdhsa_next_free_sgpr 1
		.amdhsa_named_barrier_count 0
		.amdhsa_reserve_vcc 0
		.amdhsa_float_round_mode_32 0
		.amdhsa_float_round_mode_16_64 0
		.amdhsa_float_denorm_mode_32 3
		.amdhsa_float_denorm_mode_16_64 3
		.amdhsa_fp16_overflow 0
		.amdhsa_memory_ordered 1
		.amdhsa_forward_progress 1
		.amdhsa_inst_pref_size 0
		.amdhsa_round_robin_scheduling 0
		.amdhsa_exception_fp_ieee_invalid_op 0
		.amdhsa_exception_fp_denorm_src 0
		.amdhsa_exception_fp_ieee_div_zero 0
		.amdhsa_exception_fp_ieee_overflow 0
		.amdhsa_exception_fp_ieee_underflow 0
		.amdhsa_exception_fp_ieee_inexact 0
		.amdhsa_exception_int_div_zero 0
	.end_amdhsa_kernel
	.section	.text._ZN7rocprim17ROCPRIM_400000_NS6detail17trampoline_kernelINS0_14default_configENS1_25transform_config_selectorI12hip_bfloat16Lb1EEEZNS1_14transform_implILb1ES3_S6_PS5_S8_NS0_8identityIS5_EEEE10hipError_tT2_T3_mT4_P12ihipStream_tbEUlT_E_NS1_11comp_targetILNS1_3genE3ELNS1_11target_archE908ELNS1_3gpuE7ELNS1_3repE0EEENS1_30default_config_static_selectorELNS0_4arch9wavefront6targetE0EEEvT1_,"axG",@progbits,_ZN7rocprim17ROCPRIM_400000_NS6detail17trampoline_kernelINS0_14default_configENS1_25transform_config_selectorI12hip_bfloat16Lb1EEEZNS1_14transform_implILb1ES3_S6_PS5_S8_NS0_8identityIS5_EEEE10hipError_tT2_T3_mT4_P12ihipStream_tbEUlT_E_NS1_11comp_targetILNS1_3genE3ELNS1_11target_archE908ELNS1_3gpuE7ELNS1_3repE0EEENS1_30default_config_static_selectorELNS0_4arch9wavefront6targetE0EEEvT1_,comdat
.Lfunc_end1934:
	.size	_ZN7rocprim17ROCPRIM_400000_NS6detail17trampoline_kernelINS0_14default_configENS1_25transform_config_selectorI12hip_bfloat16Lb1EEEZNS1_14transform_implILb1ES3_S6_PS5_S8_NS0_8identityIS5_EEEE10hipError_tT2_T3_mT4_P12ihipStream_tbEUlT_E_NS1_11comp_targetILNS1_3genE3ELNS1_11target_archE908ELNS1_3gpuE7ELNS1_3repE0EEENS1_30default_config_static_selectorELNS0_4arch9wavefront6targetE0EEEvT1_, .Lfunc_end1934-_ZN7rocprim17ROCPRIM_400000_NS6detail17trampoline_kernelINS0_14default_configENS1_25transform_config_selectorI12hip_bfloat16Lb1EEEZNS1_14transform_implILb1ES3_S6_PS5_S8_NS0_8identityIS5_EEEE10hipError_tT2_T3_mT4_P12ihipStream_tbEUlT_E_NS1_11comp_targetILNS1_3genE3ELNS1_11target_archE908ELNS1_3gpuE7ELNS1_3repE0EEENS1_30default_config_static_selectorELNS0_4arch9wavefront6targetE0EEEvT1_
                                        ; -- End function
	.set _ZN7rocprim17ROCPRIM_400000_NS6detail17trampoline_kernelINS0_14default_configENS1_25transform_config_selectorI12hip_bfloat16Lb1EEEZNS1_14transform_implILb1ES3_S6_PS5_S8_NS0_8identityIS5_EEEE10hipError_tT2_T3_mT4_P12ihipStream_tbEUlT_E_NS1_11comp_targetILNS1_3genE3ELNS1_11target_archE908ELNS1_3gpuE7ELNS1_3repE0EEENS1_30default_config_static_selectorELNS0_4arch9wavefront6targetE0EEEvT1_.num_vgpr, 0
	.set _ZN7rocprim17ROCPRIM_400000_NS6detail17trampoline_kernelINS0_14default_configENS1_25transform_config_selectorI12hip_bfloat16Lb1EEEZNS1_14transform_implILb1ES3_S6_PS5_S8_NS0_8identityIS5_EEEE10hipError_tT2_T3_mT4_P12ihipStream_tbEUlT_E_NS1_11comp_targetILNS1_3genE3ELNS1_11target_archE908ELNS1_3gpuE7ELNS1_3repE0EEENS1_30default_config_static_selectorELNS0_4arch9wavefront6targetE0EEEvT1_.num_agpr, 0
	.set _ZN7rocprim17ROCPRIM_400000_NS6detail17trampoline_kernelINS0_14default_configENS1_25transform_config_selectorI12hip_bfloat16Lb1EEEZNS1_14transform_implILb1ES3_S6_PS5_S8_NS0_8identityIS5_EEEE10hipError_tT2_T3_mT4_P12ihipStream_tbEUlT_E_NS1_11comp_targetILNS1_3genE3ELNS1_11target_archE908ELNS1_3gpuE7ELNS1_3repE0EEENS1_30default_config_static_selectorELNS0_4arch9wavefront6targetE0EEEvT1_.numbered_sgpr, 0
	.set _ZN7rocprim17ROCPRIM_400000_NS6detail17trampoline_kernelINS0_14default_configENS1_25transform_config_selectorI12hip_bfloat16Lb1EEEZNS1_14transform_implILb1ES3_S6_PS5_S8_NS0_8identityIS5_EEEE10hipError_tT2_T3_mT4_P12ihipStream_tbEUlT_E_NS1_11comp_targetILNS1_3genE3ELNS1_11target_archE908ELNS1_3gpuE7ELNS1_3repE0EEENS1_30default_config_static_selectorELNS0_4arch9wavefront6targetE0EEEvT1_.num_named_barrier, 0
	.set _ZN7rocprim17ROCPRIM_400000_NS6detail17trampoline_kernelINS0_14default_configENS1_25transform_config_selectorI12hip_bfloat16Lb1EEEZNS1_14transform_implILb1ES3_S6_PS5_S8_NS0_8identityIS5_EEEE10hipError_tT2_T3_mT4_P12ihipStream_tbEUlT_E_NS1_11comp_targetILNS1_3genE3ELNS1_11target_archE908ELNS1_3gpuE7ELNS1_3repE0EEENS1_30default_config_static_selectorELNS0_4arch9wavefront6targetE0EEEvT1_.private_seg_size, 0
	.set _ZN7rocprim17ROCPRIM_400000_NS6detail17trampoline_kernelINS0_14default_configENS1_25transform_config_selectorI12hip_bfloat16Lb1EEEZNS1_14transform_implILb1ES3_S6_PS5_S8_NS0_8identityIS5_EEEE10hipError_tT2_T3_mT4_P12ihipStream_tbEUlT_E_NS1_11comp_targetILNS1_3genE3ELNS1_11target_archE908ELNS1_3gpuE7ELNS1_3repE0EEENS1_30default_config_static_selectorELNS0_4arch9wavefront6targetE0EEEvT1_.uses_vcc, 0
	.set _ZN7rocprim17ROCPRIM_400000_NS6detail17trampoline_kernelINS0_14default_configENS1_25transform_config_selectorI12hip_bfloat16Lb1EEEZNS1_14transform_implILb1ES3_S6_PS5_S8_NS0_8identityIS5_EEEE10hipError_tT2_T3_mT4_P12ihipStream_tbEUlT_E_NS1_11comp_targetILNS1_3genE3ELNS1_11target_archE908ELNS1_3gpuE7ELNS1_3repE0EEENS1_30default_config_static_selectorELNS0_4arch9wavefront6targetE0EEEvT1_.uses_flat_scratch, 0
	.set _ZN7rocprim17ROCPRIM_400000_NS6detail17trampoline_kernelINS0_14default_configENS1_25transform_config_selectorI12hip_bfloat16Lb1EEEZNS1_14transform_implILb1ES3_S6_PS5_S8_NS0_8identityIS5_EEEE10hipError_tT2_T3_mT4_P12ihipStream_tbEUlT_E_NS1_11comp_targetILNS1_3genE3ELNS1_11target_archE908ELNS1_3gpuE7ELNS1_3repE0EEENS1_30default_config_static_selectorELNS0_4arch9wavefront6targetE0EEEvT1_.has_dyn_sized_stack, 0
	.set _ZN7rocprim17ROCPRIM_400000_NS6detail17trampoline_kernelINS0_14default_configENS1_25transform_config_selectorI12hip_bfloat16Lb1EEEZNS1_14transform_implILb1ES3_S6_PS5_S8_NS0_8identityIS5_EEEE10hipError_tT2_T3_mT4_P12ihipStream_tbEUlT_E_NS1_11comp_targetILNS1_3genE3ELNS1_11target_archE908ELNS1_3gpuE7ELNS1_3repE0EEENS1_30default_config_static_selectorELNS0_4arch9wavefront6targetE0EEEvT1_.has_recursion, 0
	.set _ZN7rocprim17ROCPRIM_400000_NS6detail17trampoline_kernelINS0_14default_configENS1_25transform_config_selectorI12hip_bfloat16Lb1EEEZNS1_14transform_implILb1ES3_S6_PS5_S8_NS0_8identityIS5_EEEE10hipError_tT2_T3_mT4_P12ihipStream_tbEUlT_E_NS1_11comp_targetILNS1_3genE3ELNS1_11target_archE908ELNS1_3gpuE7ELNS1_3repE0EEENS1_30default_config_static_selectorELNS0_4arch9wavefront6targetE0EEEvT1_.has_indirect_call, 0
	.section	.AMDGPU.csdata,"",@progbits
; Kernel info:
; codeLenInByte = 0
; TotalNumSgprs: 0
; NumVgprs: 0
; ScratchSize: 0
; MemoryBound: 0
; FloatMode: 240
; IeeeMode: 1
; LDSByteSize: 0 bytes/workgroup (compile time only)
; SGPRBlocks: 0
; VGPRBlocks: 0
; NumSGPRsForWavesPerEU: 1
; NumVGPRsForWavesPerEU: 1
; NamedBarCnt: 0
; Occupancy: 16
; WaveLimiterHint : 0
; COMPUTE_PGM_RSRC2:SCRATCH_EN: 0
; COMPUTE_PGM_RSRC2:USER_SGPR: 2
; COMPUTE_PGM_RSRC2:TRAP_HANDLER: 0
; COMPUTE_PGM_RSRC2:TGID_X_EN: 1
; COMPUTE_PGM_RSRC2:TGID_Y_EN: 0
; COMPUTE_PGM_RSRC2:TGID_Z_EN: 0
; COMPUTE_PGM_RSRC2:TIDIG_COMP_CNT: 0
	.section	.text._ZN7rocprim17ROCPRIM_400000_NS6detail17trampoline_kernelINS0_14default_configENS1_25transform_config_selectorI12hip_bfloat16Lb1EEEZNS1_14transform_implILb1ES3_S6_PS5_S8_NS0_8identityIS5_EEEE10hipError_tT2_T3_mT4_P12ihipStream_tbEUlT_E_NS1_11comp_targetILNS1_3genE2ELNS1_11target_archE906ELNS1_3gpuE6ELNS1_3repE0EEENS1_30default_config_static_selectorELNS0_4arch9wavefront6targetE0EEEvT1_,"axG",@progbits,_ZN7rocprim17ROCPRIM_400000_NS6detail17trampoline_kernelINS0_14default_configENS1_25transform_config_selectorI12hip_bfloat16Lb1EEEZNS1_14transform_implILb1ES3_S6_PS5_S8_NS0_8identityIS5_EEEE10hipError_tT2_T3_mT4_P12ihipStream_tbEUlT_E_NS1_11comp_targetILNS1_3genE2ELNS1_11target_archE906ELNS1_3gpuE6ELNS1_3repE0EEENS1_30default_config_static_selectorELNS0_4arch9wavefront6targetE0EEEvT1_,comdat
	.protected	_ZN7rocprim17ROCPRIM_400000_NS6detail17trampoline_kernelINS0_14default_configENS1_25transform_config_selectorI12hip_bfloat16Lb1EEEZNS1_14transform_implILb1ES3_S6_PS5_S8_NS0_8identityIS5_EEEE10hipError_tT2_T3_mT4_P12ihipStream_tbEUlT_E_NS1_11comp_targetILNS1_3genE2ELNS1_11target_archE906ELNS1_3gpuE6ELNS1_3repE0EEENS1_30default_config_static_selectorELNS0_4arch9wavefront6targetE0EEEvT1_ ; -- Begin function _ZN7rocprim17ROCPRIM_400000_NS6detail17trampoline_kernelINS0_14default_configENS1_25transform_config_selectorI12hip_bfloat16Lb1EEEZNS1_14transform_implILb1ES3_S6_PS5_S8_NS0_8identityIS5_EEEE10hipError_tT2_T3_mT4_P12ihipStream_tbEUlT_E_NS1_11comp_targetILNS1_3genE2ELNS1_11target_archE906ELNS1_3gpuE6ELNS1_3repE0EEENS1_30default_config_static_selectorELNS0_4arch9wavefront6targetE0EEEvT1_
	.globl	_ZN7rocprim17ROCPRIM_400000_NS6detail17trampoline_kernelINS0_14default_configENS1_25transform_config_selectorI12hip_bfloat16Lb1EEEZNS1_14transform_implILb1ES3_S6_PS5_S8_NS0_8identityIS5_EEEE10hipError_tT2_T3_mT4_P12ihipStream_tbEUlT_E_NS1_11comp_targetILNS1_3genE2ELNS1_11target_archE906ELNS1_3gpuE6ELNS1_3repE0EEENS1_30default_config_static_selectorELNS0_4arch9wavefront6targetE0EEEvT1_
	.p2align	8
	.type	_ZN7rocprim17ROCPRIM_400000_NS6detail17trampoline_kernelINS0_14default_configENS1_25transform_config_selectorI12hip_bfloat16Lb1EEEZNS1_14transform_implILb1ES3_S6_PS5_S8_NS0_8identityIS5_EEEE10hipError_tT2_T3_mT4_P12ihipStream_tbEUlT_E_NS1_11comp_targetILNS1_3genE2ELNS1_11target_archE906ELNS1_3gpuE6ELNS1_3repE0EEENS1_30default_config_static_selectorELNS0_4arch9wavefront6targetE0EEEvT1_,@function
_ZN7rocprim17ROCPRIM_400000_NS6detail17trampoline_kernelINS0_14default_configENS1_25transform_config_selectorI12hip_bfloat16Lb1EEEZNS1_14transform_implILb1ES3_S6_PS5_S8_NS0_8identityIS5_EEEE10hipError_tT2_T3_mT4_P12ihipStream_tbEUlT_E_NS1_11comp_targetILNS1_3genE2ELNS1_11target_archE906ELNS1_3gpuE6ELNS1_3repE0EEENS1_30default_config_static_selectorELNS0_4arch9wavefront6targetE0EEEvT1_: ; @_ZN7rocprim17ROCPRIM_400000_NS6detail17trampoline_kernelINS0_14default_configENS1_25transform_config_selectorI12hip_bfloat16Lb1EEEZNS1_14transform_implILb1ES3_S6_PS5_S8_NS0_8identityIS5_EEEE10hipError_tT2_T3_mT4_P12ihipStream_tbEUlT_E_NS1_11comp_targetILNS1_3genE2ELNS1_11target_archE906ELNS1_3gpuE6ELNS1_3repE0EEENS1_30default_config_static_selectorELNS0_4arch9wavefront6targetE0EEEvT1_
; %bb.0:
	.section	.rodata,"a",@progbits
	.p2align	6, 0x0
	.amdhsa_kernel _ZN7rocprim17ROCPRIM_400000_NS6detail17trampoline_kernelINS0_14default_configENS1_25transform_config_selectorI12hip_bfloat16Lb1EEEZNS1_14transform_implILb1ES3_S6_PS5_S8_NS0_8identityIS5_EEEE10hipError_tT2_T3_mT4_P12ihipStream_tbEUlT_E_NS1_11comp_targetILNS1_3genE2ELNS1_11target_archE906ELNS1_3gpuE6ELNS1_3repE0EEENS1_30default_config_static_selectorELNS0_4arch9wavefront6targetE0EEEvT1_
		.amdhsa_group_segment_fixed_size 0
		.amdhsa_private_segment_fixed_size 0
		.amdhsa_kernarg_size 40
		.amdhsa_user_sgpr_count 2
		.amdhsa_user_sgpr_dispatch_ptr 0
		.amdhsa_user_sgpr_queue_ptr 0
		.amdhsa_user_sgpr_kernarg_segment_ptr 1
		.amdhsa_user_sgpr_dispatch_id 0
		.amdhsa_user_sgpr_kernarg_preload_length 0
		.amdhsa_user_sgpr_kernarg_preload_offset 0
		.amdhsa_user_sgpr_private_segment_size 0
		.amdhsa_wavefront_size32 1
		.amdhsa_uses_dynamic_stack 0
		.amdhsa_enable_private_segment 0
		.amdhsa_system_sgpr_workgroup_id_x 1
		.amdhsa_system_sgpr_workgroup_id_y 0
		.amdhsa_system_sgpr_workgroup_id_z 0
		.amdhsa_system_sgpr_workgroup_info 0
		.amdhsa_system_vgpr_workitem_id 0
		.amdhsa_next_free_vgpr 1
		.amdhsa_next_free_sgpr 1
		.amdhsa_named_barrier_count 0
		.amdhsa_reserve_vcc 0
		.amdhsa_float_round_mode_32 0
		.amdhsa_float_round_mode_16_64 0
		.amdhsa_float_denorm_mode_32 3
		.amdhsa_float_denorm_mode_16_64 3
		.amdhsa_fp16_overflow 0
		.amdhsa_memory_ordered 1
		.amdhsa_forward_progress 1
		.amdhsa_inst_pref_size 0
		.amdhsa_round_robin_scheduling 0
		.amdhsa_exception_fp_ieee_invalid_op 0
		.amdhsa_exception_fp_denorm_src 0
		.amdhsa_exception_fp_ieee_div_zero 0
		.amdhsa_exception_fp_ieee_overflow 0
		.amdhsa_exception_fp_ieee_underflow 0
		.amdhsa_exception_fp_ieee_inexact 0
		.amdhsa_exception_int_div_zero 0
	.end_amdhsa_kernel
	.section	.text._ZN7rocprim17ROCPRIM_400000_NS6detail17trampoline_kernelINS0_14default_configENS1_25transform_config_selectorI12hip_bfloat16Lb1EEEZNS1_14transform_implILb1ES3_S6_PS5_S8_NS0_8identityIS5_EEEE10hipError_tT2_T3_mT4_P12ihipStream_tbEUlT_E_NS1_11comp_targetILNS1_3genE2ELNS1_11target_archE906ELNS1_3gpuE6ELNS1_3repE0EEENS1_30default_config_static_selectorELNS0_4arch9wavefront6targetE0EEEvT1_,"axG",@progbits,_ZN7rocprim17ROCPRIM_400000_NS6detail17trampoline_kernelINS0_14default_configENS1_25transform_config_selectorI12hip_bfloat16Lb1EEEZNS1_14transform_implILb1ES3_S6_PS5_S8_NS0_8identityIS5_EEEE10hipError_tT2_T3_mT4_P12ihipStream_tbEUlT_E_NS1_11comp_targetILNS1_3genE2ELNS1_11target_archE906ELNS1_3gpuE6ELNS1_3repE0EEENS1_30default_config_static_selectorELNS0_4arch9wavefront6targetE0EEEvT1_,comdat
.Lfunc_end1935:
	.size	_ZN7rocprim17ROCPRIM_400000_NS6detail17trampoline_kernelINS0_14default_configENS1_25transform_config_selectorI12hip_bfloat16Lb1EEEZNS1_14transform_implILb1ES3_S6_PS5_S8_NS0_8identityIS5_EEEE10hipError_tT2_T3_mT4_P12ihipStream_tbEUlT_E_NS1_11comp_targetILNS1_3genE2ELNS1_11target_archE906ELNS1_3gpuE6ELNS1_3repE0EEENS1_30default_config_static_selectorELNS0_4arch9wavefront6targetE0EEEvT1_, .Lfunc_end1935-_ZN7rocprim17ROCPRIM_400000_NS6detail17trampoline_kernelINS0_14default_configENS1_25transform_config_selectorI12hip_bfloat16Lb1EEEZNS1_14transform_implILb1ES3_S6_PS5_S8_NS0_8identityIS5_EEEE10hipError_tT2_T3_mT4_P12ihipStream_tbEUlT_E_NS1_11comp_targetILNS1_3genE2ELNS1_11target_archE906ELNS1_3gpuE6ELNS1_3repE0EEENS1_30default_config_static_selectorELNS0_4arch9wavefront6targetE0EEEvT1_
                                        ; -- End function
	.set _ZN7rocprim17ROCPRIM_400000_NS6detail17trampoline_kernelINS0_14default_configENS1_25transform_config_selectorI12hip_bfloat16Lb1EEEZNS1_14transform_implILb1ES3_S6_PS5_S8_NS0_8identityIS5_EEEE10hipError_tT2_T3_mT4_P12ihipStream_tbEUlT_E_NS1_11comp_targetILNS1_3genE2ELNS1_11target_archE906ELNS1_3gpuE6ELNS1_3repE0EEENS1_30default_config_static_selectorELNS0_4arch9wavefront6targetE0EEEvT1_.num_vgpr, 0
	.set _ZN7rocprim17ROCPRIM_400000_NS6detail17trampoline_kernelINS0_14default_configENS1_25transform_config_selectorI12hip_bfloat16Lb1EEEZNS1_14transform_implILb1ES3_S6_PS5_S8_NS0_8identityIS5_EEEE10hipError_tT2_T3_mT4_P12ihipStream_tbEUlT_E_NS1_11comp_targetILNS1_3genE2ELNS1_11target_archE906ELNS1_3gpuE6ELNS1_3repE0EEENS1_30default_config_static_selectorELNS0_4arch9wavefront6targetE0EEEvT1_.num_agpr, 0
	.set _ZN7rocprim17ROCPRIM_400000_NS6detail17trampoline_kernelINS0_14default_configENS1_25transform_config_selectorI12hip_bfloat16Lb1EEEZNS1_14transform_implILb1ES3_S6_PS5_S8_NS0_8identityIS5_EEEE10hipError_tT2_T3_mT4_P12ihipStream_tbEUlT_E_NS1_11comp_targetILNS1_3genE2ELNS1_11target_archE906ELNS1_3gpuE6ELNS1_3repE0EEENS1_30default_config_static_selectorELNS0_4arch9wavefront6targetE0EEEvT1_.numbered_sgpr, 0
	.set _ZN7rocprim17ROCPRIM_400000_NS6detail17trampoline_kernelINS0_14default_configENS1_25transform_config_selectorI12hip_bfloat16Lb1EEEZNS1_14transform_implILb1ES3_S6_PS5_S8_NS0_8identityIS5_EEEE10hipError_tT2_T3_mT4_P12ihipStream_tbEUlT_E_NS1_11comp_targetILNS1_3genE2ELNS1_11target_archE906ELNS1_3gpuE6ELNS1_3repE0EEENS1_30default_config_static_selectorELNS0_4arch9wavefront6targetE0EEEvT1_.num_named_barrier, 0
	.set _ZN7rocprim17ROCPRIM_400000_NS6detail17trampoline_kernelINS0_14default_configENS1_25transform_config_selectorI12hip_bfloat16Lb1EEEZNS1_14transform_implILb1ES3_S6_PS5_S8_NS0_8identityIS5_EEEE10hipError_tT2_T3_mT4_P12ihipStream_tbEUlT_E_NS1_11comp_targetILNS1_3genE2ELNS1_11target_archE906ELNS1_3gpuE6ELNS1_3repE0EEENS1_30default_config_static_selectorELNS0_4arch9wavefront6targetE0EEEvT1_.private_seg_size, 0
	.set _ZN7rocprim17ROCPRIM_400000_NS6detail17trampoline_kernelINS0_14default_configENS1_25transform_config_selectorI12hip_bfloat16Lb1EEEZNS1_14transform_implILb1ES3_S6_PS5_S8_NS0_8identityIS5_EEEE10hipError_tT2_T3_mT4_P12ihipStream_tbEUlT_E_NS1_11comp_targetILNS1_3genE2ELNS1_11target_archE906ELNS1_3gpuE6ELNS1_3repE0EEENS1_30default_config_static_selectorELNS0_4arch9wavefront6targetE0EEEvT1_.uses_vcc, 0
	.set _ZN7rocprim17ROCPRIM_400000_NS6detail17trampoline_kernelINS0_14default_configENS1_25transform_config_selectorI12hip_bfloat16Lb1EEEZNS1_14transform_implILb1ES3_S6_PS5_S8_NS0_8identityIS5_EEEE10hipError_tT2_T3_mT4_P12ihipStream_tbEUlT_E_NS1_11comp_targetILNS1_3genE2ELNS1_11target_archE906ELNS1_3gpuE6ELNS1_3repE0EEENS1_30default_config_static_selectorELNS0_4arch9wavefront6targetE0EEEvT1_.uses_flat_scratch, 0
	.set _ZN7rocprim17ROCPRIM_400000_NS6detail17trampoline_kernelINS0_14default_configENS1_25transform_config_selectorI12hip_bfloat16Lb1EEEZNS1_14transform_implILb1ES3_S6_PS5_S8_NS0_8identityIS5_EEEE10hipError_tT2_T3_mT4_P12ihipStream_tbEUlT_E_NS1_11comp_targetILNS1_3genE2ELNS1_11target_archE906ELNS1_3gpuE6ELNS1_3repE0EEENS1_30default_config_static_selectorELNS0_4arch9wavefront6targetE0EEEvT1_.has_dyn_sized_stack, 0
	.set _ZN7rocprim17ROCPRIM_400000_NS6detail17trampoline_kernelINS0_14default_configENS1_25transform_config_selectorI12hip_bfloat16Lb1EEEZNS1_14transform_implILb1ES3_S6_PS5_S8_NS0_8identityIS5_EEEE10hipError_tT2_T3_mT4_P12ihipStream_tbEUlT_E_NS1_11comp_targetILNS1_3genE2ELNS1_11target_archE906ELNS1_3gpuE6ELNS1_3repE0EEENS1_30default_config_static_selectorELNS0_4arch9wavefront6targetE0EEEvT1_.has_recursion, 0
	.set _ZN7rocprim17ROCPRIM_400000_NS6detail17trampoline_kernelINS0_14default_configENS1_25transform_config_selectorI12hip_bfloat16Lb1EEEZNS1_14transform_implILb1ES3_S6_PS5_S8_NS0_8identityIS5_EEEE10hipError_tT2_T3_mT4_P12ihipStream_tbEUlT_E_NS1_11comp_targetILNS1_3genE2ELNS1_11target_archE906ELNS1_3gpuE6ELNS1_3repE0EEENS1_30default_config_static_selectorELNS0_4arch9wavefront6targetE0EEEvT1_.has_indirect_call, 0
	.section	.AMDGPU.csdata,"",@progbits
; Kernel info:
; codeLenInByte = 0
; TotalNumSgprs: 0
; NumVgprs: 0
; ScratchSize: 0
; MemoryBound: 0
; FloatMode: 240
; IeeeMode: 1
; LDSByteSize: 0 bytes/workgroup (compile time only)
; SGPRBlocks: 0
; VGPRBlocks: 0
; NumSGPRsForWavesPerEU: 1
; NumVGPRsForWavesPerEU: 1
; NamedBarCnt: 0
; Occupancy: 16
; WaveLimiterHint : 0
; COMPUTE_PGM_RSRC2:SCRATCH_EN: 0
; COMPUTE_PGM_RSRC2:USER_SGPR: 2
; COMPUTE_PGM_RSRC2:TRAP_HANDLER: 0
; COMPUTE_PGM_RSRC2:TGID_X_EN: 1
; COMPUTE_PGM_RSRC2:TGID_Y_EN: 0
; COMPUTE_PGM_RSRC2:TGID_Z_EN: 0
; COMPUTE_PGM_RSRC2:TIDIG_COMP_CNT: 0
	.section	.text._ZN7rocprim17ROCPRIM_400000_NS6detail17trampoline_kernelINS0_14default_configENS1_25transform_config_selectorI12hip_bfloat16Lb1EEEZNS1_14transform_implILb1ES3_S6_PS5_S8_NS0_8identityIS5_EEEE10hipError_tT2_T3_mT4_P12ihipStream_tbEUlT_E_NS1_11comp_targetILNS1_3genE9ELNS1_11target_archE1100ELNS1_3gpuE3ELNS1_3repE0EEENS1_30default_config_static_selectorELNS0_4arch9wavefront6targetE0EEEvT1_,"axG",@progbits,_ZN7rocprim17ROCPRIM_400000_NS6detail17trampoline_kernelINS0_14default_configENS1_25transform_config_selectorI12hip_bfloat16Lb1EEEZNS1_14transform_implILb1ES3_S6_PS5_S8_NS0_8identityIS5_EEEE10hipError_tT2_T3_mT4_P12ihipStream_tbEUlT_E_NS1_11comp_targetILNS1_3genE9ELNS1_11target_archE1100ELNS1_3gpuE3ELNS1_3repE0EEENS1_30default_config_static_selectorELNS0_4arch9wavefront6targetE0EEEvT1_,comdat
	.protected	_ZN7rocprim17ROCPRIM_400000_NS6detail17trampoline_kernelINS0_14default_configENS1_25transform_config_selectorI12hip_bfloat16Lb1EEEZNS1_14transform_implILb1ES3_S6_PS5_S8_NS0_8identityIS5_EEEE10hipError_tT2_T3_mT4_P12ihipStream_tbEUlT_E_NS1_11comp_targetILNS1_3genE9ELNS1_11target_archE1100ELNS1_3gpuE3ELNS1_3repE0EEENS1_30default_config_static_selectorELNS0_4arch9wavefront6targetE0EEEvT1_ ; -- Begin function _ZN7rocprim17ROCPRIM_400000_NS6detail17trampoline_kernelINS0_14default_configENS1_25transform_config_selectorI12hip_bfloat16Lb1EEEZNS1_14transform_implILb1ES3_S6_PS5_S8_NS0_8identityIS5_EEEE10hipError_tT2_T3_mT4_P12ihipStream_tbEUlT_E_NS1_11comp_targetILNS1_3genE9ELNS1_11target_archE1100ELNS1_3gpuE3ELNS1_3repE0EEENS1_30default_config_static_selectorELNS0_4arch9wavefront6targetE0EEEvT1_
	.globl	_ZN7rocprim17ROCPRIM_400000_NS6detail17trampoline_kernelINS0_14default_configENS1_25transform_config_selectorI12hip_bfloat16Lb1EEEZNS1_14transform_implILb1ES3_S6_PS5_S8_NS0_8identityIS5_EEEE10hipError_tT2_T3_mT4_P12ihipStream_tbEUlT_E_NS1_11comp_targetILNS1_3genE9ELNS1_11target_archE1100ELNS1_3gpuE3ELNS1_3repE0EEENS1_30default_config_static_selectorELNS0_4arch9wavefront6targetE0EEEvT1_
	.p2align	8
	.type	_ZN7rocprim17ROCPRIM_400000_NS6detail17trampoline_kernelINS0_14default_configENS1_25transform_config_selectorI12hip_bfloat16Lb1EEEZNS1_14transform_implILb1ES3_S6_PS5_S8_NS0_8identityIS5_EEEE10hipError_tT2_T3_mT4_P12ihipStream_tbEUlT_E_NS1_11comp_targetILNS1_3genE9ELNS1_11target_archE1100ELNS1_3gpuE3ELNS1_3repE0EEENS1_30default_config_static_selectorELNS0_4arch9wavefront6targetE0EEEvT1_,@function
_ZN7rocprim17ROCPRIM_400000_NS6detail17trampoline_kernelINS0_14default_configENS1_25transform_config_selectorI12hip_bfloat16Lb1EEEZNS1_14transform_implILb1ES3_S6_PS5_S8_NS0_8identityIS5_EEEE10hipError_tT2_T3_mT4_P12ihipStream_tbEUlT_E_NS1_11comp_targetILNS1_3genE9ELNS1_11target_archE1100ELNS1_3gpuE3ELNS1_3repE0EEENS1_30default_config_static_selectorELNS0_4arch9wavefront6targetE0EEEvT1_: ; @_ZN7rocprim17ROCPRIM_400000_NS6detail17trampoline_kernelINS0_14default_configENS1_25transform_config_selectorI12hip_bfloat16Lb1EEEZNS1_14transform_implILb1ES3_S6_PS5_S8_NS0_8identityIS5_EEEE10hipError_tT2_T3_mT4_P12ihipStream_tbEUlT_E_NS1_11comp_targetILNS1_3genE9ELNS1_11target_archE1100ELNS1_3gpuE3ELNS1_3repE0EEENS1_30default_config_static_selectorELNS0_4arch9wavefront6targetE0EEEvT1_
; %bb.0:
	.section	.rodata,"a",@progbits
	.p2align	6, 0x0
	.amdhsa_kernel _ZN7rocprim17ROCPRIM_400000_NS6detail17trampoline_kernelINS0_14default_configENS1_25transform_config_selectorI12hip_bfloat16Lb1EEEZNS1_14transform_implILb1ES3_S6_PS5_S8_NS0_8identityIS5_EEEE10hipError_tT2_T3_mT4_P12ihipStream_tbEUlT_E_NS1_11comp_targetILNS1_3genE9ELNS1_11target_archE1100ELNS1_3gpuE3ELNS1_3repE0EEENS1_30default_config_static_selectorELNS0_4arch9wavefront6targetE0EEEvT1_
		.amdhsa_group_segment_fixed_size 0
		.amdhsa_private_segment_fixed_size 0
		.amdhsa_kernarg_size 40
		.amdhsa_user_sgpr_count 2
		.amdhsa_user_sgpr_dispatch_ptr 0
		.amdhsa_user_sgpr_queue_ptr 0
		.amdhsa_user_sgpr_kernarg_segment_ptr 1
		.amdhsa_user_sgpr_dispatch_id 0
		.amdhsa_user_sgpr_kernarg_preload_length 0
		.amdhsa_user_sgpr_kernarg_preload_offset 0
		.amdhsa_user_sgpr_private_segment_size 0
		.amdhsa_wavefront_size32 1
		.amdhsa_uses_dynamic_stack 0
		.amdhsa_enable_private_segment 0
		.amdhsa_system_sgpr_workgroup_id_x 1
		.amdhsa_system_sgpr_workgroup_id_y 0
		.amdhsa_system_sgpr_workgroup_id_z 0
		.amdhsa_system_sgpr_workgroup_info 0
		.amdhsa_system_vgpr_workitem_id 0
		.amdhsa_next_free_vgpr 1
		.amdhsa_next_free_sgpr 1
		.amdhsa_named_barrier_count 0
		.amdhsa_reserve_vcc 0
		.amdhsa_float_round_mode_32 0
		.amdhsa_float_round_mode_16_64 0
		.amdhsa_float_denorm_mode_32 3
		.amdhsa_float_denorm_mode_16_64 3
		.amdhsa_fp16_overflow 0
		.amdhsa_memory_ordered 1
		.amdhsa_forward_progress 1
		.amdhsa_inst_pref_size 0
		.amdhsa_round_robin_scheduling 0
		.amdhsa_exception_fp_ieee_invalid_op 0
		.amdhsa_exception_fp_denorm_src 0
		.amdhsa_exception_fp_ieee_div_zero 0
		.amdhsa_exception_fp_ieee_overflow 0
		.amdhsa_exception_fp_ieee_underflow 0
		.amdhsa_exception_fp_ieee_inexact 0
		.amdhsa_exception_int_div_zero 0
	.end_amdhsa_kernel
	.section	.text._ZN7rocprim17ROCPRIM_400000_NS6detail17trampoline_kernelINS0_14default_configENS1_25transform_config_selectorI12hip_bfloat16Lb1EEEZNS1_14transform_implILb1ES3_S6_PS5_S8_NS0_8identityIS5_EEEE10hipError_tT2_T3_mT4_P12ihipStream_tbEUlT_E_NS1_11comp_targetILNS1_3genE9ELNS1_11target_archE1100ELNS1_3gpuE3ELNS1_3repE0EEENS1_30default_config_static_selectorELNS0_4arch9wavefront6targetE0EEEvT1_,"axG",@progbits,_ZN7rocprim17ROCPRIM_400000_NS6detail17trampoline_kernelINS0_14default_configENS1_25transform_config_selectorI12hip_bfloat16Lb1EEEZNS1_14transform_implILb1ES3_S6_PS5_S8_NS0_8identityIS5_EEEE10hipError_tT2_T3_mT4_P12ihipStream_tbEUlT_E_NS1_11comp_targetILNS1_3genE9ELNS1_11target_archE1100ELNS1_3gpuE3ELNS1_3repE0EEENS1_30default_config_static_selectorELNS0_4arch9wavefront6targetE0EEEvT1_,comdat
.Lfunc_end1936:
	.size	_ZN7rocprim17ROCPRIM_400000_NS6detail17trampoline_kernelINS0_14default_configENS1_25transform_config_selectorI12hip_bfloat16Lb1EEEZNS1_14transform_implILb1ES3_S6_PS5_S8_NS0_8identityIS5_EEEE10hipError_tT2_T3_mT4_P12ihipStream_tbEUlT_E_NS1_11comp_targetILNS1_3genE9ELNS1_11target_archE1100ELNS1_3gpuE3ELNS1_3repE0EEENS1_30default_config_static_selectorELNS0_4arch9wavefront6targetE0EEEvT1_, .Lfunc_end1936-_ZN7rocprim17ROCPRIM_400000_NS6detail17trampoline_kernelINS0_14default_configENS1_25transform_config_selectorI12hip_bfloat16Lb1EEEZNS1_14transform_implILb1ES3_S6_PS5_S8_NS0_8identityIS5_EEEE10hipError_tT2_T3_mT4_P12ihipStream_tbEUlT_E_NS1_11comp_targetILNS1_3genE9ELNS1_11target_archE1100ELNS1_3gpuE3ELNS1_3repE0EEENS1_30default_config_static_selectorELNS0_4arch9wavefront6targetE0EEEvT1_
                                        ; -- End function
	.set _ZN7rocprim17ROCPRIM_400000_NS6detail17trampoline_kernelINS0_14default_configENS1_25transform_config_selectorI12hip_bfloat16Lb1EEEZNS1_14transform_implILb1ES3_S6_PS5_S8_NS0_8identityIS5_EEEE10hipError_tT2_T3_mT4_P12ihipStream_tbEUlT_E_NS1_11comp_targetILNS1_3genE9ELNS1_11target_archE1100ELNS1_3gpuE3ELNS1_3repE0EEENS1_30default_config_static_selectorELNS0_4arch9wavefront6targetE0EEEvT1_.num_vgpr, 0
	.set _ZN7rocprim17ROCPRIM_400000_NS6detail17trampoline_kernelINS0_14default_configENS1_25transform_config_selectorI12hip_bfloat16Lb1EEEZNS1_14transform_implILb1ES3_S6_PS5_S8_NS0_8identityIS5_EEEE10hipError_tT2_T3_mT4_P12ihipStream_tbEUlT_E_NS1_11comp_targetILNS1_3genE9ELNS1_11target_archE1100ELNS1_3gpuE3ELNS1_3repE0EEENS1_30default_config_static_selectorELNS0_4arch9wavefront6targetE0EEEvT1_.num_agpr, 0
	.set _ZN7rocprim17ROCPRIM_400000_NS6detail17trampoline_kernelINS0_14default_configENS1_25transform_config_selectorI12hip_bfloat16Lb1EEEZNS1_14transform_implILb1ES3_S6_PS5_S8_NS0_8identityIS5_EEEE10hipError_tT2_T3_mT4_P12ihipStream_tbEUlT_E_NS1_11comp_targetILNS1_3genE9ELNS1_11target_archE1100ELNS1_3gpuE3ELNS1_3repE0EEENS1_30default_config_static_selectorELNS0_4arch9wavefront6targetE0EEEvT1_.numbered_sgpr, 0
	.set _ZN7rocprim17ROCPRIM_400000_NS6detail17trampoline_kernelINS0_14default_configENS1_25transform_config_selectorI12hip_bfloat16Lb1EEEZNS1_14transform_implILb1ES3_S6_PS5_S8_NS0_8identityIS5_EEEE10hipError_tT2_T3_mT4_P12ihipStream_tbEUlT_E_NS1_11comp_targetILNS1_3genE9ELNS1_11target_archE1100ELNS1_3gpuE3ELNS1_3repE0EEENS1_30default_config_static_selectorELNS0_4arch9wavefront6targetE0EEEvT1_.num_named_barrier, 0
	.set _ZN7rocprim17ROCPRIM_400000_NS6detail17trampoline_kernelINS0_14default_configENS1_25transform_config_selectorI12hip_bfloat16Lb1EEEZNS1_14transform_implILb1ES3_S6_PS5_S8_NS0_8identityIS5_EEEE10hipError_tT2_T3_mT4_P12ihipStream_tbEUlT_E_NS1_11comp_targetILNS1_3genE9ELNS1_11target_archE1100ELNS1_3gpuE3ELNS1_3repE0EEENS1_30default_config_static_selectorELNS0_4arch9wavefront6targetE0EEEvT1_.private_seg_size, 0
	.set _ZN7rocprim17ROCPRIM_400000_NS6detail17trampoline_kernelINS0_14default_configENS1_25transform_config_selectorI12hip_bfloat16Lb1EEEZNS1_14transform_implILb1ES3_S6_PS5_S8_NS0_8identityIS5_EEEE10hipError_tT2_T3_mT4_P12ihipStream_tbEUlT_E_NS1_11comp_targetILNS1_3genE9ELNS1_11target_archE1100ELNS1_3gpuE3ELNS1_3repE0EEENS1_30default_config_static_selectorELNS0_4arch9wavefront6targetE0EEEvT1_.uses_vcc, 0
	.set _ZN7rocprim17ROCPRIM_400000_NS6detail17trampoline_kernelINS0_14default_configENS1_25transform_config_selectorI12hip_bfloat16Lb1EEEZNS1_14transform_implILb1ES3_S6_PS5_S8_NS0_8identityIS5_EEEE10hipError_tT2_T3_mT4_P12ihipStream_tbEUlT_E_NS1_11comp_targetILNS1_3genE9ELNS1_11target_archE1100ELNS1_3gpuE3ELNS1_3repE0EEENS1_30default_config_static_selectorELNS0_4arch9wavefront6targetE0EEEvT1_.uses_flat_scratch, 0
	.set _ZN7rocprim17ROCPRIM_400000_NS6detail17trampoline_kernelINS0_14default_configENS1_25transform_config_selectorI12hip_bfloat16Lb1EEEZNS1_14transform_implILb1ES3_S6_PS5_S8_NS0_8identityIS5_EEEE10hipError_tT2_T3_mT4_P12ihipStream_tbEUlT_E_NS1_11comp_targetILNS1_3genE9ELNS1_11target_archE1100ELNS1_3gpuE3ELNS1_3repE0EEENS1_30default_config_static_selectorELNS0_4arch9wavefront6targetE0EEEvT1_.has_dyn_sized_stack, 0
	.set _ZN7rocprim17ROCPRIM_400000_NS6detail17trampoline_kernelINS0_14default_configENS1_25transform_config_selectorI12hip_bfloat16Lb1EEEZNS1_14transform_implILb1ES3_S6_PS5_S8_NS0_8identityIS5_EEEE10hipError_tT2_T3_mT4_P12ihipStream_tbEUlT_E_NS1_11comp_targetILNS1_3genE9ELNS1_11target_archE1100ELNS1_3gpuE3ELNS1_3repE0EEENS1_30default_config_static_selectorELNS0_4arch9wavefront6targetE0EEEvT1_.has_recursion, 0
	.set _ZN7rocprim17ROCPRIM_400000_NS6detail17trampoline_kernelINS0_14default_configENS1_25transform_config_selectorI12hip_bfloat16Lb1EEEZNS1_14transform_implILb1ES3_S6_PS5_S8_NS0_8identityIS5_EEEE10hipError_tT2_T3_mT4_P12ihipStream_tbEUlT_E_NS1_11comp_targetILNS1_3genE9ELNS1_11target_archE1100ELNS1_3gpuE3ELNS1_3repE0EEENS1_30default_config_static_selectorELNS0_4arch9wavefront6targetE0EEEvT1_.has_indirect_call, 0
	.section	.AMDGPU.csdata,"",@progbits
; Kernel info:
; codeLenInByte = 0
; TotalNumSgprs: 0
; NumVgprs: 0
; ScratchSize: 0
; MemoryBound: 0
; FloatMode: 240
; IeeeMode: 1
; LDSByteSize: 0 bytes/workgroup (compile time only)
; SGPRBlocks: 0
; VGPRBlocks: 0
; NumSGPRsForWavesPerEU: 1
; NumVGPRsForWavesPerEU: 1
; NamedBarCnt: 0
; Occupancy: 16
; WaveLimiterHint : 0
; COMPUTE_PGM_RSRC2:SCRATCH_EN: 0
; COMPUTE_PGM_RSRC2:USER_SGPR: 2
; COMPUTE_PGM_RSRC2:TRAP_HANDLER: 0
; COMPUTE_PGM_RSRC2:TGID_X_EN: 1
; COMPUTE_PGM_RSRC2:TGID_Y_EN: 0
; COMPUTE_PGM_RSRC2:TGID_Z_EN: 0
; COMPUTE_PGM_RSRC2:TIDIG_COMP_CNT: 0
	.section	.text._ZN7rocprim17ROCPRIM_400000_NS6detail17trampoline_kernelINS0_14default_configENS1_25transform_config_selectorI12hip_bfloat16Lb1EEEZNS1_14transform_implILb1ES3_S6_PS5_S8_NS0_8identityIS5_EEEE10hipError_tT2_T3_mT4_P12ihipStream_tbEUlT_E_NS1_11comp_targetILNS1_3genE8ELNS1_11target_archE1030ELNS1_3gpuE2ELNS1_3repE0EEENS1_30default_config_static_selectorELNS0_4arch9wavefront6targetE0EEEvT1_,"axG",@progbits,_ZN7rocprim17ROCPRIM_400000_NS6detail17trampoline_kernelINS0_14default_configENS1_25transform_config_selectorI12hip_bfloat16Lb1EEEZNS1_14transform_implILb1ES3_S6_PS5_S8_NS0_8identityIS5_EEEE10hipError_tT2_T3_mT4_P12ihipStream_tbEUlT_E_NS1_11comp_targetILNS1_3genE8ELNS1_11target_archE1030ELNS1_3gpuE2ELNS1_3repE0EEENS1_30default_config_static_selectorELNS0_4arch9wavefront6targetE0EEEvT1_,comdat
	.protected	_ZN7rocprim17ROCPRIM_400000_NS6detail17trampoline_kernelINS0_14default_configENS1_25transform_config_selectorI12hip_bfloat16Lb1EEEZNS1_14transform_implILb1ES3_S6_PS5_S8_NS0_8identityIS5_EEEE10hipError_tT2_T3_mT4_P12ihipStream_tbEUlT_E_NS1_11comp_targetILNS1_3genE8ELNS1_11target_archE1030ELNS1_3gpuE2ELNS1_3repE0EEENS1_30default_config_static_selectorELNS0_4arch9wavefront6targetE0EEEvT1_ ; -- Begin function _ZN7rocprim17ROCPRIM_400000_NS6detail17trampoline_kernelINS0_14default_configENS1_25transform_config_selectorI12hip_bfloat16Lb1EEEZNS1_14transform_implILb1ES3_S6_PS5_S8_NS0_8identityIS5_EEEE10hipError_tT2_T3_mT4_P12ihipStream_tbEUlT_E_NS1_11comp_targetILNS1_3genE8ELNS1_11target_archE1030ELNS1_3gpuE2ELNS1_3repE0EEENS1_30default_config_static_selectorELNS0_4arch9wavefront6targetE0EEEvT1_
	.globl	_ZN7rocprim17ROCPRIM_400000_NS6detail17trampoline_kernelINS0_14default_configENS1_25transform_config_selectorI12hip_bfloat16Lb1EEEZNS1_14transform_implILb1ES3_S6_PS5_S8_NS0_8identityIS5_EEEE10hipError_tT2_T3_mT4_P12ihipStream_tbEUlT_E_NS1_11comp_targetILNS1_3genE8ELNS1_11target_archE1030ELNS1_3gpuE2ELNS1_3repE0EEENS1_30default_config_static_selectorELNS0_4arch9wavefront6targetE0EEEvT1_
	.p2align	8
	.type	_ZN7rocprim17ROCPRIM_400000_NS6detail17trampoline_kernelINS0_14default_configENS1_25transform_config_selectorI12hip_bfloat16Lb1EEEZNS1_14transform_implILb1ES3_S6_PS5_S8_NS0_8identityIS5_EEEE10hipError_tT2_T3_mT4_P12ihipStream_tbEUlT_E_NS1_11comp_targetILNS1_3genE8ELNS1_11target_archE1030ELNS1_3gpuE2ELNS1_3repE0EEENS1_30default_config_static_selectorELNS0_4arch9wavefront6targetE0EEEvT1_,@function
_ZN7rocprim17ROCPRIM_400000_NS6detail17trampoline_kernelINS0_14default_configENS1_25transform_config_selectorI12hip_bfloat16Lb1EEEZNS1_14transform_implILb1ES3_S6_PS5_S8_NS0_8identityIS5_EEEE10hipError_tT2_T3_mT4_P12ihipStream_tbEUlT_E_NS1_11comp_targetILNS1_3genE8ELNS1_11target_archE1030ELNS1_3gpuE2ELNS1_3repE0EEENS1_30default_config_static_selectorELNS0_4arch9wavefront6targetE0EEEvT1_: ; @_ZN7rocprim17ROCPRIM_400000_NS6detail17trampoline_kernelINS0_14default_configENS1_25transform_config_selectorI12hip_bfloat16Lb1EEEZNS1_14transform_implILb1ES3_S6_PS5_S8_NS0_8identityIS5_EEEE10hipError_tT2_T3_mT4_P12ihipStream_tbEUlT_E_NS1_11comp_targetILNS1_3genE8ELNS1_11target_archE1030ELNS1_3gpuE2ELNS1_3repE0EEENS1_30default_config_static_selectorELNS0_4arch9wavefront6targetE0EEEvT1_
; %bb.0:
	.section	.rodata,"a",@progbits
	.p2align	6, 0x0
	.amdhsa_kernel _ZN7rocprim17ROCPRIM_400000_NS6detail17trampoline_kernelINS0_14default_configENS1_25transform_config_selectorI12hip_bfloat16Lb1EEEZNS1_14transform_implILb1ES3_S6_PS5_S8_NS0_8identityIS5_EEEE10hipError_tT2_T3_mT4_P12ihipStream_tbEUlT_E_NS1_11comp_targetILNS1_3genE8ELNS1_11target_archE1030ELNS1_3gpuE2ELNS1_3repE0EEENS1_30default_config_static_selectorELNS0_4arch9wavefront6targetE0EEEvT1_
		.amdhsa_group_segment_fixed_size 0
		.amdhsa_private_segment_fixed_size 0
		.amdhsa_kernarg_size 40
		.amdhsa_user_sgpr_count 2
		.amdhsa_user_sgpr_dispatch_ptr 0
		.amdhsa_user_sgpr_queue_ptr 0
		.amdhsa_user_sgpr_kernarg_segment_ptr 1
		.amdhsa_user_sgpr_dispatch_id 0
		.amdhsa_user_sgpr_kernarg_preload_length 0
		.amdhsa_user_sgpr_kernarg_preload_offset 0
		.amdhsa_user_sgpr_private_segment_size 0
		.amdhsa_wavefront_size32 1
		.amdhsa_uses_dynamic_stack 0
		.amdhsa_enable_private_segment 0
		.amdhsa_system_sgpr_workgroup_id_x 1
		.amdhsa_system_sgpr_workgroup_id_y 0
		.amdhsa_system_sgpr_workgroup_id_z 0
		.amdhsa_system_sgpr_workgroup_info 0
		.amdhsa_system_vgpr_workitem_id 0
		.amdhsa_next_free_vgpr 1
		.amdhsa_next_free_sgpr 1
		.amdhsa_named_barrier_count 0
		.amdhsa_reserve_vcc 0
		.amdhsa_float_round_mode_32 0
		.amdhsa_float_round_mode_16_64 0
		.amdhsa_float_denorm_mode_32 3
		.amdhsa_float_denorm_mode_16_64 3
		.amdhsa_fp16_overflow 0
		.amdhsa_memory_ordered 1
		.amdhsa_forward_progress 1
		.amdhsa_inst_pref_size 0
		.amdhsa_round_robin_scheduling 0
		.amdhsa_exception_fp_ieee_invalid_op 0
		.amdhsa_exception_fp_denorm_src 0
		.amdhsa_exception_fp_ieee_div_zero 0
		.amdhsa_exception_fp_ieee_overflow 0
		.amdhsa_exception_fp_ieee_underflow 0
		.amdhsa_exception_fp_ieee_inexact 0
		.amdhsa_exception_int_div_zero 0
	.end_amdhsa_kernel
	.section	.text._ZN7rocprim17ROCPRIM_400000_NS6detail17trampoline_kernelINS0_14default_configENS1_25transform_config_selectorI12hip_bfloat16Lb1EEEZNS1_14transform_implILb1ES3_S6_PS5_S8_NS0_8identityIS5_EEEE10hipError_tT2_T3_mT4_P12ihipStream_tbEUlT_E_NS1_11comp_targetILNS1_3genE8ELNS1_11target_archE1030ELNS1_3gpuE2ELNS1_3repE0EEENS1_30default_config_static_selectorELNS0_4arch9wavefront6targetE0EEEvT1_,"axG",@progbits,_ZN7rocprim17ROCPRIM_400000_NS6detail17trampoline_kernelINS0_14default_configENS1_25transform_config_selectorI12hip_bfloat16Lb1EEEZNS1_14transform_implILb1ES3_S6_PS5_S8_NS0_8identityIS5_EEEE10hipError_tT2_T3_mT4_P12ihipStream_tbEUlT_E_NS1_11comp_targetILNS1_3genE8ELNS1_11target_archE1030ELNS1_3gpuE2ELNS1_3repE0EEENS1_30default_config_static_selectorELNS0_4arch9wavefront6targetE0EEEvT1_,comdat
.Lfunc_end1937:
	.size	_ZN7rocprim17ROCPRIM_400000_NS6detail17trampoline_kernelINS0_14default_configENS1_25transform_config_selectorI12hip_bfloat16Lb1EEEZNS1_14transform_implILb1ES3_S6_PS5_S8_NS0_8identityIS5_EEEE10hipError_tT2_T3_mT4_P12ihipStream_tbEUlT_E_NS1_11comp_targetILNS1_3genE8ELNS1_11target_archE1030ELNS1_3gpuE2ELNS1_3repE0EEENS1_30default_config_static_selectorELNS0_4arch9wavefront6targetE0EEEvT1_, .Lfunc_end1937-_ZN7rocprim17ROCPRIM_400000_NS6detail17trampoline_kernelINS0_14default_configENS1_25transform_config_selectorI12hip_bfloat16Lb1EEEZNS1_14transform_implILb1ES3_S6_PS5_S8_NS0_8identityIS5_EEEE10hipError_tT2_T3_mT4_P12ihipStream_tbEUlT_E_NS1_11comp_targetILNS1_3genE8ELNS1_11target_archE1030ELNS1_3gpuE2ELNS1_3repE0EEENS1_30default_config_static_selectorELNS0_4arch9wavefront6targetE0EEEvT1_
                                        ; -- End function
	.set _ZN7rocprim17ROCPRIM_400000_NS6detail17trampoline_kernelINS0_14default_configENS1_25transform_config_selectorI12hip_bfloat16Lb1EEEZNS1_14transform_implILb1ES3_S6_PS5_S8_NS0_8identityIS5_EEEE10hipError_tT2_T3_mT4_P12ihipStream_tbEUlT_E_NS1_11comp_targetILNS1_3genE8ELNS1_11target_archE1030ELNS1_3gpuE2ELNS1_3repE0EEENS1_30default_config_static_selectorELNS0_4arch9wavefront6targetE0EEEvT1_.num_vgpr, 0
	.set _ZN7rocprim17ROCPRIM_400000_NS6detail17trampoline_kernelINS0_14default_configENS1_25transform_config_selectorI12hip_bfloat16Lb1EEEZNS1_14transform_implILb1ES3_S6_PS5_S8_NS0_8identityIS5_EEEE10hipError_tT2_T3_mT4_P12ihipStream_tbEUlT_E_NS1_11comp_targetILNS1_3genE8ELNS1_11target_archE1030ELNS1_3gpuE2ELNS1_3repE0EEENS1_30default_config_static_selectorELNS0_4arch9wavefront6targetE0EEEvT1_.num_agpr, 0
	.set _ZN7rocprim17ROCPRIM_400000_NS6detail17trampoline_kernelINS0_14default_configENS1_25transform_config_selectorI12hip_bfloat16Lb1EEEZNS1_14transform_implILb1ES3_S6_PS5_S8_NS0_8identityIS5_EEEE10hipError_tT2_T3_mT4_P12ihipStream_tbEUlT_E_NS1_11comp_targetILNS1_3genE8ELNS1_11target_archE1030ELNS1_3gpuE2ELNS1_3repE0EEENS1_30default_config_static_selectorELNS0_4arch9wavefront6targetE0EEEvT1_.numbered_sgpr, 0
	.set _ZN7rocprim17ROCPRIM_400000_NS6detail17trampoline_kernelINS0_14default_configENS1_25transform_config_selectorI12hip_bfloat16Lb1EEEZNS1_14transform_implILb1ES3_S6_PS5_S8_NS0_8identityIS5_EEEE10hipError_tT2_T3_mT4_P12ihipStream_tbEUlT_E_NS1_11comp_targetILNS1_3genE8ELNS1_11target_archE1030ELNS1_3gpuE2ELNS1_3repE0EEENS1_30default_config_static_selectorELNS0_4arch9wavefront6targetE0EEEvT1_.num_named_barrier, 0
	.set _ZN7rocprim17ROCPRIM_400000_NS6detail17trampoline_kernelINS0_14default_configENS1_25transform_config_selectorI12hip_bfloat16Lb1EEEZNS1_14transform_implILb1ES3_S6_PS5_S8_NS0_8identityIS5_EEEE10hipError_tT2_T3_mT4_P12ihipStream_tbEUlT_E_NS1_11comp_targetILNS1_3genE8ELNS1_11target_archE1030ELNS1_3gpuE2ELNS1_3repE0EEENS1_30default_config_static_selectorELNS0_4arch9wavefront6targetE0EEEvT1_.private_seg_size, 0
	.set _ZN7rocprim17ROCPRIM_400000_NS6detail17trampoline_kernelINS0_14default_configENS1_25transform_config_selectorI12hip_bfloat16Lb1EEEZNS1_14transform_implILb1ES3_S6_PS5_S8_NS0_8identityIS5_EEEE10hipError_tT2_T3_mT4_P12ihipStream_tbEUlT_E_NS1_11comp_targetILNS1_3genE8ELNS1_11target_archE1030ELNS1_3gpuE2ELNS1_3repE0EEENS1_30default_config_static_selectorELNS0_4arch9wavefront6targetE0EEEvT1_.uses_vcc, 0
	.set _ZN7rocprim17ROCPRIM_400000_NS6detail17trampoline_kernelINS0_14default_configENS1_25transform_config_selectorI12hip_bfloat16Lb1EEEZNS1_14transform_implILb1ES3_S6_PS5_S8_NS0_8identityIS5_EEEE10hipError_tT2_T3_mT4_P12ihipStream_tbEUlT_E_NS1_11comp_targetILNS1_3genE8ELNS1_11target_archE1030ELNS1_3gpuE2ELNS1_3repE0EEENS1_30default_config_static_selectorELNS0_4arch9wavefront6targetE0EEEvT1_.uses_flat_scratch, 0
	.set _ZN7rocprim17ROCPRIM_400000_NS6detail17trampoline_kernelINS0_14default_configENS1_25transform_config_selectorI12hip_bfloat16Lb1EEEZNS1_14transform_implILb1ES3_S6_PS5_S8_NS0_8identityIS5_EEEE10hipError_tT2_T3_mT4_P12ihipStream_tbEUlT_E_NS1_11comp_targetILNS1_3genE8ELNS1_11target_archE1030ELNS1_3gpuE2ELNS1_3repE0EEENS1_30default_config_static_selectorELNS0_4arch9wavefront6targetE0EEEvT1_.has_dyn_sized_stack, 0
	.set _ZN7rocprim17ROCPRIM_400000_NS6detail17trampoline_kernelINS0_14default_configENS1_25transform_config_selectorI12hip_bfloat16Lb1EEEZNS1_14transform_implILb1ES3_S6_PS5_S8_NS0_8identityIS5_EEEE10hipError_tT2_T3_mT4_P12ihipStream_tbEUlT_E_NS1_11comp_targetILNS1_3genE8ELNS1_11target_archE1030ELNS1_3gpuE2ELNS1_3repE0EEENS1_30default_config_static_selectorELNS0_4arch9wavefront6targetE0EEEvT1_.has_recursion, 0
	.set _ZN7rocprim17ROCPRIM_400000_NS6detail17trampoline_kernelINS0_14default_configENS1_25transform_config_selectorI12hip_bfloat16Lb1EEEZNS1_14transform_implILb1ES3_S6_PS5_S8_NS0_8identityIS5_EEEE10hipError_tT2_T3_mT4_P12ihipStream_tbEUlT_E_NS1_11comp_targetILNS1_3genE8ELNS1_11target_archE1030ELNS1_3gpuE2ELNS1_3repE0EEENS1_30default_config_static_selectorELNS0_4arch9wavefront6targetE0EEEvT1_.has_indirect_call, 0
	.section	.AMDGPU.csdata,"",@progbits
; Kernel info:
; codeLenInByte = 0
; TotalNumSgprs: 0
; NumVgprs: 0
; ScratchSize: 0
; MemoryBound: 0
; FloatMode: 240
; IeeeMode: 1
; LDSByteSize: 0 bytes/workgroup (compile time only)
; SGPRBlocks: 0
; VGPRBlocks: 0
; NumSGPRsForWavesPerEU: 1
; NumVGPRsForWavesPerEU: 1
; NamedBarCnt: 0
; Occupancy: 16
; WaveLimiterHint : 0
; COMPUTE_PGM_RSRC2:SCRATCH_EN: 0
; COMPUTE_PGM_RSRC2:USER_SGPR: 2
; COMPUTE_PGM_RSRC2:TRAP_HANDLER: 0
; COMPUTE_PGM_RSRC2:TGID_X_EN: 1
; COMPUTE_PGM_RSRC2:TGID_Y_EN: 0
; COMPUTE_PGM_RSRC2:TGID_Z_EN: 0
; COMPUTE_PGM_RSRC2:TIDIG_COMP_CNT: 0
	.section	.text._ZN7rocprim17ROCPRIM_400000_NS6detail17trampoline_kernelINS0_14default_configENS1_35radix_sort_onesweep_config_selectorI12hip_bfloat16NS0_10empty_typeEEEZNS1_34radix_sort_onesweep_global_offsetsIS3_Lb1EPKS5_PS6_mNS0_19identity_decomposerEEE10hipError_tT1_T2_PT3_SG_jT4_jjP12ihipStream_tbEUlT_E_NS1_11comp_targetILNS1_3genE0ELNS1_11target_archE4294967295ELNS1_3gpuE0ELNS1_3repE0EEENS1_52radix_sort_onesweep_histogram_config_static_selectorELNS0_4arch9wavefront6targetE0EEEvSE_,"axG",@progbits,_ZN7rocprim17ROCPRIM_400000_NS6detail17trampoline_kernelINS0_14default_configENS1_35radix_sort_onesweep_config_selectorI12hip_bfloat16NS0_10empty_typeEEEZNS1_34radix_sort_onesweep_global_offsetsIS3_Lb1EPKS5_PS6_mNS0_19identity_decomposerEEE10hipError_tT1_T2_PT3_SG_jT4_jjP12ihipStream_tbEUlT_E_NS1_11comp_targetILNS1_3genE0ELNS1_11target_archE4294967295ELNS1_3gpuE0ELNS1_3repE0EEENS1_52radix_sort_onesweep_histogram_config_static_selectorELNS0_4arch9wavefront6targetE0EEEvSE_,comdat
	.protected	_ZN7rocprim17ROCPRIM_400000_NS6detail17trampoline_kernelINS0_14default_configENS1_35radix_sort_onesweep_config_selectorI12hip_bfloat16NS0_10empty_typeEEEZNS1_34radix_sort_onesweep_global_offsetsIS3_Lb1EPKS5_PS6_mNS0_19identity_decomposerEEE10hipError_tT1_T2_PT3_SG_jT4_jjP12ihipStream_tbEUlT_E_NS1_11comp_targetILNS1_3genE0ELNS1_11target_archE4294967295ELNS1_3gpuE0ELNS1_3repE0EEENS1_52radix_sort_onesweep_histogram_config_static_selectorELNS0_4arch9wavefront6targetE0EEEvSE_ ; -- Begin function _ZN7rocprim17ROCPRIM_400000_NS6detail17trampoline_kernelINS0_14default_configENS1_35radix_sort_onesweep_config_selectorI12hip_bfloat16NS0_10empty_typeEEEZNS1_34radix_sort_onesweep_global_offsetsIS3_Lb1EPKS5_PS6_mNS0_19identity_decomposerEEE10hipError_tT1_T2_PT3_SG_jT4_jjP12ihipStream_tbEUlT_E_NS1_11comp_targetILNS1_3genE0ELNS1_11target_archE4294967295ELNS1_3gpuE0ELNS1_3repE0EEENS1_52radix_sort_onesweep_histogram_config_static_selectorELNS0_4arch9wavefront6targetE0EEEvSE_
	.globl	_ZN7rocprim17ROCPRIM_400000_NS6detail17trampoline_kernelINS0_14default_configENS1_35radix_sort_onesweep_config_selectorI12hip_bfloat16NS0_10empty_typeEEEZNS1_34radix_sort_onesweep_global_offsetsIS3_Lb1EPKS5_PS6_mNS0_19identity_decomposerEEE10hipError_tT1_T2_PT3_SG_jT4_jjP12ihipStream_tbEUlT_E_NS1_11comp_targetILNS1_3genE0ELNS1_11target_archE4294967295ELNS1_3gpuE0ELNS1_3repE0EEENS1_52radix_sort_onesweep_histogram_config_static_selectorELNS0_4arch9wavefront6targetE0EEEvSE_
	.p2align	8
	.type	_ZN7rocprim17ROCPRIM_400000_NS6detail17trampoline_kernelINS0_14default_configENS1_35radix_sort_onesweep_config_selectorI12hip_bfloat16NS0_10empty_typeEEEZNS1_34radix_sort_onesweep_global_offsetsIS3_Lb1EPKS5_PS6_mNS0_19identity_decomposerEEE10hipError_tT1_T2_PT3_SG_jT4_jjP12ihipStream_tbEUlT_E_NS1_11comp_targetILNS1_3genE0ELNS1_11target_archE4294967295ELNS1_3gpuE0ELNS1_3repE0EEENS1_52radix_sort_onesweep_histogram_config_static_selectorELNS0_4arch9wavefront6targetE0EEEvSE_,@function
_ZN7rocprim17ROCPRIM_400000_NS6detail17trampoline_kernelINS0_14default_configENS1_35radix_sort_onesweep_config_selectorI12hip_bfloat16NS0_10empty_typeEEEZNS1_34radix_sort_onesweep_global_offsetsIS3_Lb1EPKS5_PS6_mNS0_19identity_decomposerEEE10hipError_tT1_T2_PT3_SG_jT4_jjP12ihipStream_tbEUlT_E_NS1_11comp_targetILNS1_3genE0ELNS1_11target_archE4294967295ELNS1_3gpuE0ELNS1_3repE0EEENS1_52radix_sort_onesweep_histogram_config_static_selectorELNS0_4arch9wavefront6targetE0EEEvSE_: ; @_ZN7rocprim17ROCPRIM_400000_NS6detail17trampoline_kernelINS0_14default_configENS1_35radix_sort_onesweep_config_selectorI12hip_bfloat16NS0_10empty_typeEEEZNS1_34radix_sort_onesweep_global_offsetsIS3_Lb1EPKS5_PS6_mNS0_19identity_decomposerEEE10hipError_tT1_T2_PT3_SG_jT4_jjP12ihipStream_tbEUlT_E_NS1_11comp_targetILNS1_3genE0ELNS1_11target_archE4294967295ELNS1_3gpuE0ELNS1_3repE0EEENS1_52radix_sort_onesweep_histogram_config_static_selectorELNS0_4arch9wavefront6targetE0EEEvSE_
; %bb.0:
	s_clause 0x1
	s_load_b64 s[8:9], s[0:1], 0x18
	s_load_b128 s[4:7], s[0:1], 0x0
	s_bfe_u32 s10, ttmp6, 0x4000c
	s_load_b64 s[2:3], s[0:1], 0x24
	s_add_co_i32 s10, s10, 1
	s_and_b32 s11, ttmp6, 15
	s_mul_i32 s10, ttmp9, s10
	s_getreg_b32 s12, hwreg(HW_REG_IB_STS2, 6, 4)
	s_add_co_i32 s10, s11, s10
	s_cmp_eq_u32 s12, 0
	s_mov_b32 s11, 0
	s_cselect_b32 s10, ttmp9, s10
	s_wait_kmcnt 0x0
	v_cmp_le_u64_e64 s9, s[8:9], s[10:11]
	s_mul_u64 s[10:11], s[10:11], 0x3000
	s_delay_alu instid0(SALU_CYCLE_1)
	s_add_nc_u64 s[4:5], s[4:5], s[10:11]
	s_and_b32 vcc_lo, exec_lo, s9
	s_mov_b32 s9, -1
	s_cbranch_vccz .LBB1938_119
; %bb.1:
	s_load_b32 s1, s[0:1], 0x10
	s_wait_xcnt 0x0
	s_mul_i32 s0, s8, 0xffffe800
                                        ; implicit-def: $vgpr25
	s_wait_kmcnt 0x0
	s_add_co_i32 s1, s1, s0
	s_mov_b32 s0, exec_lo
	v_cmpx_gt_u32_e64 s1, v0
	s_cbranch_execz .LBB1938_3
; %bb.2:
	global_load_u16 v25, v0, s[4:5] scale_offset
.LBB1938_3:
	s_wait_xcnt 0x0
	s_or_b32 exec_lo, exec_lo, s0
	v_or_b32_e32 v23, 0x200, v0
	s_mov_b32 s0, exec_lo
                                        ; implicit-def: $vgpr24
	s_delay_alu instid0(VALU_DEP_1)
	v_cmpx_gt_u32_e64 s1, v23
	s_cbranch_execz .LBB1938_5
; %bb.4:
	global_load_u16 v24, v0, s[4:5] offset:1024 scale_offset
.LBB1938_5:
	s_wait_xcnt 0x0
	s_or_b32 exec_lo, exec_lo, s0
	v_or_b32_e32 v21, 0x400, v0
	s_mov_b32 s0, exec_lo
                                        ; implicit-def: $vgpr22
	s_delay_alu instid0(VALU_DEP_1)
	v_cmpx_gt_u32_e64 s1, v21
	s_cbranch_execz .LBB1938_7
; %bb.6:
	global_load_u16 v22, v0, s[4:5] offset:2048 scale_offset
.LBB1938_7:
	s_wait_xcnt 0x0
	s_or_b32 exec_lo, exec_lo, s0
	v_or_b32_e32 v19, 0x600, v0
	s_mov_b32 s0, exec_lo
                                        ; implicit-def: $vgpr20
	s_delay_alu instid0(VALU_DEP_1)
	v_cmpx_gt_u32_e64 s1, v19
	s_cbranch_execz .LBB1938_9
; %bb.8:
	global_load_u16 v20, v0, s[4:5] offset:3072 scale_offset
.LBB1938_9:
	s_wait_xcnt 0x0
	s_or_b32 exec_lo, exec_lo, s0
	v_or_b32_e32 v17, 0x800, v0
	s_mov_b32 s0, exec_lo
                                        ; implicit-def: $vgpr18
	s_delay_alu instid0(VALU_DEP_1)
	v_cmpx_gt_u32_e64 s1, v17
	s_cbranch_execz .LBB1938_11
; %bb.10:
	global_load_u16 v18, v0, s[4:5] offset:4096 scale_offset
.LBB1938_11:
	s_wait_xcnt 0x0
	s_or_b32 exec_lo, exec_lo, s0
	v_or_b32_e32 v15, 0xa00, v0
	s_mov_b32 s0, exec_lo
                                        ; implicit-def: $vgpr16
	s_delay_alu instid0(VALU_DEP_1)
	v_cmpx_gt_u32_e64 s1, v15
	s_cbranch_execz .LBB1938_13
; %bb.12:
	global_load_u16 v16, v0, s[4:5] offset:5120 scale_offset
.LBB1938_13:
	s_wait_xcnt 0x0
	s_or_b32 exec_lo, exec_lo, s0
	v_or_b32_e32 v13, 0xc00, v0
	s_mov_b32 s0, exec_lo
                                        ; implicit-def: $vgpr14
	s_delay_alu instid0(VALU_DEP_1)
	v_cmpx_gt_u32_e64 s1, v13
	s_cbranch_execz .LBB1938_15
; %bb.14:
	global_load_u16 v14, v0, s[4:5] offset:6144 scale_offset
.LBB1938_15:
	s_wait_xcnt 0x0
	s_or_b32 exec_lo, exec_lo, s0
	v_or_b32_e32 v11, 0xe00, v0
	s_mov_b32 s0, exec_lo
                                        ; implicit-def: $vgpr12
	s_delay_alu instid0(VALU_DEP_1)
	v_cmpx_gt_u32_e64 s1, v11
	s_cbranch_execz .LBB1938_17
; %bb.16:
	global_load_u16 v12, v0, s[4:5] offset:7168 scale_offset
.LBB1938_17:
	s_wait_xcnt 0x0
	s_or_b32 exec_lo, exec_lo, s0
	v_or_b32_e32 v9, 0x1000, v0
	s_mov_b32 s0, exec_lo
                                        ; implicit-def: $vgpr10
	s_delay_alu instid0(VALU_DEP_1)
	v_cmpx_gt_u32_e64 s1, v9
	s_cbranch_execz .LBB1938_19
; %bb.18:
	global_load_u16 v10, v0, s[4:5] offset:8192 scale_offset
.LBB1938_19:
	s_wait_xcnt 0x0
	s_or_b32 exec_lo, exec_lo, s0
	v_or_b32_e32 v7, 0x1200, v0
	s_mov_b32 s0, exec_lo
                                        ; implicit-def: $vgpr8
	s_delay_alu instid0(VALU_DEP_1)
	v_cmpx_gt_u32_e64 s1, v7
	s_cbranch_execz .LBB1938_21
; %bb.20:
	global_load_u16 v8, v0, s[4:5] offset:9216 scale_offset
.LBB1938_21:
	s_wait_xcnt 0x0
	s_or_b32 exec_lo, exec_lo, s0
	v_or_b32_e32 v5, 0x1400, v0
	s_mov_b32 s0, exec_lo
                                        ; implicit-def: $vgpr6
	s_delay_alu instid0(VALU_DEP_1)
	v_cmpx_gt_u32_e64 s1, v5
	s_cbranch_execz .LBB1938_23
; %bb.22:
	global_load_u16 v6, v0, s[4:5] offset:10240 scale_offset
.LBB1938_23:
	s_wait_xcnt 0x0
	s_or_b32 exec_lo, exec_lo, s0
	v_or_b32_e32 v3, 0x1600, v0
	s_mov_b32 s0, exec_lo
                                        ; implicit-def: $vgpr4
	s_delay_alu instid0(VALU_DEP_1)
	v_cmpx_gt_u32_e64 s1, v3
	s_cbranch_execz .LBB1938_25
; %bb.24:
	global_load_u16 v4, v0, s[4:5] offset:11264 scale_offset
.LBB1938_25:
	s_wait_xcnt 0x0
	s_or_b32 exec_lo, exec_lo, s0
	v_dual_mov_b32 v2, 0 :: v_dual_lshlrev_b32 v1, 2, v0
	s_mov_b32 s0, -1
	ds_store_2addr_stride64_b32 v1, v2, v2 offset1:8
	s_and_saveexec_b32 s8, s0
; %bb.26:
	ds_store_b32 v1, v2 offset:4096
; %bb.27:
	s_or_b32 exec_lo, exec_lo, s8
	s_and_saveexec_b32 s8, s0
; %bb.28:
	v_mov_b32_e32 v2, 0
	ds_store_b32 v1, v2 offset:6144
; %bb.29:
	s_or_b32 exec_lo, exec_lo, s8
	s_wait_loadcnt 0x0
	v_cmp_gt_i16_e32 vcc_lo, 0, v25
	s_cmp_le_u32 s3, s2
	s_wait_dscnt 0x0
	s_cselect_b32 s8, -1, 0
	s_barrier_signal -1
	v_cndmask_b32_e64 v26, 0x7fff, 0, vcc_lo
	s_and_b32 s0, s8, exec_lo
	v_cmp_le_u32_e32 vcc_lo, s1, v0
	s_cselect_b32 s9, 8, 10
	v_and_b32_e32 v2, 3, v0
	v_dual_mov_b32 v26, s9 :: v_dual_bitop2_b32 v25, v26, v25 bitop3:0x14
	s_nor_b32 s0, s8, vcc_lo
	s_barrier_wait -1
	s_and_saveexec_b32 s10, s0
	s_cbranch_execz .LBB1938_31
; %bb.30:
	v_cmp_ne_u16_e64 s0, 0x8000, v25
	v_lshlrev_b32_e32 v27, 2, v2
	s_delay_alu instid0(VALU_DEP_2) | instskip(SKIP_1) | instid1(SALU_CYCLE_1)
	v_cndmask_b32_e64 v26, 0x7fff, v25, s0
	s_sub_co_i32 s0, s3, s2
	s_min_u32 s0, s0, 8
	s_delay_alu instid0(VALU_DEP_1) | instskip(NEXT) | instid1(VALU_DEP_1)
	v_and_b32_e32 v26, 0xffff, v26
	v_lshrrev_b32_e32 v26, s2, v26
	s_delay_alu instid0(VALU_DEP_1) | instskip(NEXT) | instid1(VALU_DEP_1)
	v_bfe_u32 v26, v26, 0, s0
	v_lshl_or_b32 v26, v26, 4, v27
	v_mov_b32_e32 v27, 1
	ds_add_u32 v26, v27
	v_mov_b32_e32 v26, 0
.LBB1938_31:
	s_or_b32 exec_lo, exec_lo, s10
	s_mov_b32 s10, -1
	s_mov_b32 s11, exec_lo
	s_delay_alu instid0(VALU_DEP_1)
	v_cmpx_gt_i32_e32 10, v26
; %bb.32:
	v_cmp_eq_u32_e64 s0, 0, v26
	s_or_not1_b32 s10, s0, exec_lo
; %bb.33:
	s_or_b32 exec_lo, exec_lo, s11
	s_and_saveexec_b32 s0, s10
	s_cbranch_execz .LBB1938_36
; %bb.34:
	s_add_co_i32 s10, s2, 8
	s_delay_alu instid0(SALU_CYCLE_1) | instskip(SKIP_2) | instid1(SALU_CYCLE_1)
	s_cmp_gt_u32 s3, s10
	s_cselect_b32 s11, -1, 0
	s_xor_b32 s12, vcc_lo, -1
	s_and_b32 s11, s11, s12
	s_delay_alu instid0(SALU_CYCLE_1)
	s_and_b32 exec_lo, exec_lo, s11
	s_cbranch_execz .LBB1938_36
; %bb.35:
	v_cmp_ne_u16_e32 vcc_lo, 0x8000, v25
	v_dual_cndmask_b32 v25, 0x7fff, v25 :: v_dual_lshlrev_b32 v26, 2, v2
	s_delay_alu instid0(VALU_DEP_1) | instskip(NEXT) | instid1(VALU_DEP_1)
	v_and_b32_e32 v25, 0xffff, v25
	v_lshrrev_b32_e32 v25, s10, v25
	s_sub_co_i32 s10, s3, s10
	s_delay_alu instid0(SALU_CYCLE_1)
	s_min_u32 s10, s10, 8
	s_delay_alu instid0(VALU_DEP_1) | instid1(SALU_CYCLE_1)
	v_bfe_u32 v25, v25, 0, s10
	s_delay_alu instid0(VALU_DEP_1)
	v_lshl_or_b32 v25, v25, 4, v26
	v_mov_b32_e32 v26, 1
	ds_add_u32 v25, v26 offset:4096
.LBB1938_36:
	s_or_b32 exec_lo, exec_lo, s0
	v_cmp_gt_i16_e32 vcc_lo, 0, v24
	v_cndmask_b32_e64 v25, 0x7fff, 0, vcc_lo
	v_cmp_le_u32_e32 vcc_lo, s1, v23
	s_delay_alu instid0(VALU_DEP_2) | instskip(SKIP_1) | instid1(SALU_CYCLE_1)
	v_dual_mov_b32 v24, s9 :: v_dual_bitop2_b32 v23, v25, v24 bitop3:0x14
	s_nor_b32 s0, s8, vcc_lo
	s_and_saveexec_b32 s10, s0
	s_cbranch_execz .LBB1938_38
; %bb.37:
	s_delay_alu instid0(VALU_DEP_1) | instskip(SKIP_1) | instid1(VALU_DEP_2)
	v_cmp_ne_u16_e64 s0, 0x8000, v23
	v_lshlrev_b32_e32 v25, 2, v2
	v_cndmask_b32_e64 v24, 0x7fff, v23, s0
	s_sub_co_i32 s0, s3, s2
	s_delay_alu instid0(SALU_CYCLE_1) | instskip(NEXT) | instid1(VALU_DEP_1)
	s_min_u32 s0, s0, 8
	v_and_b32_e32 v24, 0xffff, v24
	s_delay_alu instid0(VALU_DEP_1) | instskip(NEXT) | instid1(VALU_DEP_1)
	v_lshrrev_b32_e32 v24, s2, v24
	v_bfe_u32 v24, v24, 0, s0
	s_delay_alu instid0(VALU_DEP_1)
	v_lshl_or_b32 v24, v24, 4, v25
	v_mov_b32_e32 v25, 1
	ds_add_u32 v24, v25
	v_mov_b32_e32 v24, 0
.LBB1938_38:
	s_or_b32 exec_lo, exec_lo, s10
	s_mov_b32 s10, -1
	s_mov_b32 s11, exec_lo
	s_delay_alu instid0(VALU_DEP_1)
	v_cmpx_gt_i32_e32 10, v24
; %bb.39:
	v_cmp_eq_u32_e64 s0, 0, v24
	s_or_not1_b32 s10, s0, exec_lo
; %bb.40:
	s_or_b32 exec_lo, exec_lo, s11
	s_and_saveexec_b32 s0, s10
	s_cbranch_execz .LBB1938_43
; %bb.41:
	s_add_co_i32 s10, s2, 8
	s_delay_alu instid0(SALU_CYCLE_1) | instskip(SKIP_2) | instid1(SALU_CYCLE_1)
	s_cmp_gt_u32 s3, s10
	s_cselect_b32 s11, -1, 0
	s_xor_b32 s12, vcc_lo, -1
	s_and_b32 s11, s11, s12
	s_delay_alu instid0(SALU_CYCLE_1)
	s_and_b32 exec_lo, exec_lo, s11
	s_cbranch_execz .LBB1938_43
; %bb.42:
	v_cmp_ne_u16_e32 vcc_lo, 0x8000, v23
	v_dual_cndmask_b32 v23, 0x7fff, v23 :: v_dual_lshlrev_b32 v24, 2, v2
	s_delay_alu instid0(VALU_DEP_1) | instskip(NEXT) | instid1(VALU_DEP_1)
	v_and_b32_e32 v23, 0xffff, v23
	v_lshrrev_b32_e32 v23, s10, v23
	s_sub_co_i32 s10, s3, s10
	s_delay_alu instid0(SALU_CYCLE_1)
	s_min_u32 s10, s10, 8
	s_delay_alu instid0(VALU_DEP_1) | instid1(SALU_CYCLE_1)
	v_bfe_u32 v23, v23, 0, s10
	s_delay_alu instid0(VALU_DEP_1)
	v_lshl_or_b32 v23, v23, 4, v24
	v_mov_b32_e32 v24, 1
	ds_add_u32 v23, v24 offset:4096
.LBB1938_43:
	s_or_b32 exec_lo, exec_lo, s0
	v_cmp_gt_i16_e32 vcc_lo, 0, v22
	v_cndmask_b32_e64 v23, 0x7fff, 0, vcc_lo
	v_cmp_le_u32_e32 vcc_lo, s1, v21
	s_delay_alu instid0(VALU_DEP_2) | instskip(SKIP_1) | instid1(SALU_CYCLE_1)
	v_dual_mov_b32 v22, s9 :: v_dual_bitop2_b32 v21, v23, v22 bitop3:0x14
	s_nor_b32 s0, s8, vcc_lo
	s_and_saveexec_b32 s10, s0
	s_cbranch_execz .LBB1938_45
; %bb.44:
	s_delay_alu instid0(VALU_DEP_1) | instskip(SKIP_1) | instid1(VALU_DEP_2)
	v_cmp_ne_u16_e64 s0, 0x8000, v21
	v_lshlrev_b32_e32 v23, 2, v2
	v_cndmask_b32_e64 v22, 0x7fff, v21, s0
	s_sub_co_i32 s0, s3, s2
	s_delay_alu instid0(SALU_CYCLE_1) | instskip(NEXT) | instid1(VALU_DEP_1)
	s_min_u32 s0, s0, 8
	v_and_b32_e32 v22, 0xffff, v22
	s_delay_alu instid0(VALU_DEP_1) | instskip(NEXT) | instid1(VALU_DEP_1)
	v_lshrrev_b32_e32 v22, s2, v22
	v_bfe_u32 v22, v22, 0, s0
	s_delay_alu instid0(VALU_DEP_1)
	v_lshl_or_b32 v22, v22, 4, v23
	v_mov_b32_e32 v23, 1
	ds_add_u32 v22, v23
	v_mov_b32_e32 v22, 0
.LBB1938_45:
	s_or_b32 exec_lo, exec_lo, s10
	s_mov_b32 s10, -1
	s_mov_b32 s11, exec_lo
	s_delay_alu instid0(VALU_DEP_1)
	v_cmpx_gt_i32_e32 10, v22
; %bb.46:
	v_cmp_eq_u32_e64 s0, 0, v22
	s_or_not1_b32 s10, s0, exec_lo
; %bb.47:
	s_or_b32 exec_lo, exec_lo, s11
	s_and_saveexec_b32 s0, s10
	s_cbranch_execz .LBB1938_50
; %bb.48:
	s_add_co_i32 s10, s2, 8
	s_delay_alu instid0(SALU_CYCLE_1) | instskip(SKIP_2) | instid1(SALU_CYCLE_1)
	s_cmp_gt_u32 s3, s10
	s_cselect_b32 s11, -1, 0
	s_xor_b32 s12, vcc_lo, -1
	s_and_b32 s11, s11, s12
	s_delay_alu instid0(SALU_CYCLE_1)
	s_and_b32 exec_lo, exec_lo, s11
	s_cbranch_execz .LBB1938_50
; %bb.49:
	v_cmp_ne_u16_e32 vcc_lo, 0x8000, v21
	v_dual_cndmask_b32 v21, 0x7fff, v21 :: v_dual_lshlrev_b32 v22, 2, v2
	s_delay_alu instid0(VALU_DEP_1) | instskip(NEXT) | instid1(VALU_DEP_1)
	v_and_b32_e32 v21, 0xffff, v21
	v_lshrrev_b32_e32 v21, s10, v21
	s_sub_co_i32 s10, s3, s10
	s_delay_alu instid0(SALU_CYCLE_1)
	s_min_u32 s10, s10, 8
	s_delay_alu instid0(VALU_DEP_1) | instid1(SALU_CYCLE_1)
	v_bfe_u32 v21, v21, 0, s10
	s_delay_alu instid0(VALU_DEP_1)
	v_lshl_or_b32 v21, v21, 4, v22
	v_mov_b32_e32 v22, 1
	ds_add_u32 v21, v22 offset:4096
.LBB1938_50:
	s_or_b32 exec_lo, exec_lo, s0
	v_cmp_gt_i16_e32 vcc_lo, 0, v20
	v_cndmask_b32_e64 v21, 0x7fff, 0, vcc_lo
	v_cmp_le_u32_e32 vcc_lo, s1, v19
	s_delay_alu instid0(VALU_DEP_2) | instskip(SKIP_1) | instid1(SALU_CYCLE_1)
	v_dual_mov_b32 v20, s9 :: v_dual_bitop2_b32 v19, v21, v20 bitop3:0x14
	s_nor_b32 s0, s8, vcc_lo
	s_and_saveexec_b32 s10, s0
	s_cbranch_execz .LBB1938_52
; %bb.51:
	s_delay_alu instid0(VALU_DEP_1) | instskip(SKIP_1) | instid1(VALU_DEP_2)
	v_cmp_ne_u16_e64 s0, 0x8000, v19
	v_lshlrev_b32_e32 v21, 2, v2
	v_cndmask_b32_e64 v20, 0x7fff, v19, s0
	s_sub_co_i32 s0, s3, s2
	s_delay_alu instid0(SALU_CYCLE_1) | instskip(NEXT) | instid1(VALU_DEP_1)
	s_min_u32 s0, s0, 8
	v_and_b32_e32 v20, 0xffff, v20
	s_delay_alu instid0(VALU_DEP_1) | instskip(NEXT) | instid1(VALU_DEP_1)
	v_lshrrev_b32_e32 v20, s2, v20
	v_bfe_u32 v20, v20, 0, s0
	s_delay_alu instid0(VALU_DEP_1)
	v_lshl_or_b32 v20, v20, 4, v21
	v_mov_b32_e32 v21, 1
	ds_add_u32 v20, v21
	v_mov_b32_e32 v20, 0
.LBB1938_52:
	s_or_b32 exec_lo, exec_lo, s10
	s_mov_b32 s10, -1
	s_mov_b32 s11, exec_lo
	s_delay_alu instid0(VALU_DEP_1)
	v_cmpx_gt_i32_e32 10, v20
; %bb.53:
	v_cmp_eq_u32_e64 s0, 0, v20
	s_or_not1_b32 s10, s0, exec_lo
; %bb.54:
	s_or_b32 exec_lo, exec_lo, s11
	s_and_saveexec_b32 s0, s10
	s_cbranch_execz .LBB1938_57
; %bb.55:
	s_add_co_i32 s10, s2, 8
	s_delay_alu instid0(SALU_CYCLE_1) | instskip(SKIP_2) | instid1(SALU_CYCLE_1)
	s_cmp_gt_u32 s3, s10
	s_cselect_b32 s11, -1, 0
	s_xor_b32 s12, vcc_lo, -1
	s_and_b32 s11, s11, s12
	s_delay_alu instid0(SALU_CYCLE_1)
	s_and_b32 exec_lo, exec_lo, s11
	s_cbranch_execz .LBB1938_57
; %bb.56:
	v_cmp_ne_u16_e32 vcc_lo, 0x8000, v19
	v_dual_cndmask_b32 v19, 0x7fff, v19 :: v_dual_lshlrev_b32 v20, 2, v2
	s_delay_alu instid0(VALU_DEP_1) | instskip(NEXT) | instid1(VALU_DEP_1)
	v_and_b32_e32 v19, 0xffff, v19
	v_lshrrev_b32_e32 v19, s10, v19
	s_sub_co_i32 s10, s3, s10
	s_delay_alu instid0(SALU_CYCLE_1)
	s_min_u32 s10, s10, 8
	s_delay_alu instid0(VALU_DEP_1) | instid1(SALU_CYCLE_1)
	v_bfe_u32 v19, v19, 0, s10
	s_delay_alu instid0(VALU_DEP_1)
	v_lshl_or_b32 v19, v19, 4, v20
	v_mov_b32_e32 v20, 1
	ds_add_u32 v19, v20 offset:4096
.LBB1938_57:
	s_or_b32 exec_lo, exec_lo, s0
	v_cmp_gt_i16_e32 vcc_lo, 0, v18
	v_cndmask_b32_e64 v19, 0x7fff, 0, vcc_lo
	v_cmp_le_u32_e32 vcc_lo, s1, v17
	s_delay_alu instid0(VALU_DEP_2) | instskip(SKIP_1) | instid1(SALU_CYCLE_1)
	v_dual_mov_b32 v18, s9 :: v_dual_bitop2_b32 v17, v19, v18 bitop3:0x14
	s_nor_b32 s0, s8, vcc_lo
	s_and_saveexec_b32 s10, s0
	s_cbranch_execz .LBB1938_59
; %bb.58:
	s_delay_alu instid0(VALU_DEP_1) | instskip(SKIP_1) | instid1(VALU_DEP_2)
	v_cmp_ne_u16_e64 s0, 0x8000, v17
	v_lshlrev_b32_e32 v19, 2, v2
	v_cndmask_b32_e64 v18, 0x7fff, v17, s0
	s_sub_co_i32 s0, s3, s2
	s_delay_alu instid0(SALU_CYCLE_1) | instskip(NEXT) | instid1(VALU_DEP_1)
	s_min_u32 s0, s0, 8
	v_and_b32_e32 v18, 0xffff, v18
	s_delay_alu instid0(VALU_DEP_1) | instskip(NEXT) | instid1(VALU_DEP_1)
	v_lshrrev_b32_e32 v18, s2, v18
	v_bfe_u32 v18, v18, 0, s0
	s_delay_alu instid0(VALU_DEP_1)
	v_lshl_or_b32 v18, v18, 4, v19
	v_mov_b32_e32 v19, 1
	ds_add_u32 v18, v19
	v_mov_b32_e32 v18, 0
.LBB1938_59:
	s_or_b32 exec_lo, exec_lo, s10
	s_mov_b32 s10, -1
	s_mov_b32 s11, exec_lo
	s_delay_alu instid0(VALU_DEP_1)
	v_cmpx_gt_i32_e32 10, v18
; %bb.60:
	v_cmp_eq_u32_e64 s0, 0, v18
	s_or_not1_b32 s10, s0, exec_lo
; %bb.61:
	s_or_b32 exec_lo, exec_lo, s11
	s_and_saveexec_b32 s0, s10
	s_cbranch_execz .LBB1938_64
; %bb.62:
	s_add_co_i32 s10, s2, 8
	s_delay_alu instid0(SALU_CYCLE_1) | instskip(SKIP_2) | instid1(SALU_CYCLE_1)
	s_cmp_gt_u32 s3, s10
	s_cselect_b32 s11, -1, 0
	s_xor_b32 s12, vcc_lo, -1
	s_and_b32 s11, s11, s12
	s_delay_alu instid0(SALU_CYCLE_1)
	s_and_b32 exec_lo, exec_lo, s11
	s_cbranch_execz .LBB1938_64
; %bb.63:
	v_cmp_ne_u16_e32 vcc_lo, 0x8000, v17
	v_dual_cndmask_b32 v17, 0x7fff, v17 :: v_dual_lshlrev_b32 v18, 2, v2
	s_delay_alu instid0(VALU_DEP_1) | instskip(NEXT) | instid1(VALU_DEP_1)
	v_and_b32_e32 v17, 0xffff, v17
	v_lshrrev_b32_e32 v17, s10, v17
	s_sub_co_i32 s10, s3, s10
	s_delay_alu instid0(SALU_CYCLE_1)
	s_min_u32 s10, s10, 8
	s_delay_alu instid0(VALU_DEP_1) | instid1(SALU_CYCLE_1)
	v_bfe_u32 v17, v17, 0, s10
	s_delay_alu instid0(VALU_DEP_1)
	v_lshl_or_b32 v17, v17, 4, v18
	v_mov_b32_e32 v18, 1
	ds_add_u32 v17, v18 offset:4096
.LBB1938_64:
	s_or_b32 exec_lo, exec_lo, s0
	v_cmp_gt_i16_e32 vcc_lo, 0, v16
	v_cndmask_b32_e64 v17, 0x7fff, 0, vcc_lo
	v_cmp_le_u32_e32 vcc_lo, s1, v15
	s_delay_alu instid0(VALU_DEP_2) | instskip(SKIP_1) | instid1(SALU_CYCLE_1)
	v_dual_mov_b32 v16, s9 :: v_dual_bitop2_b32 v15, v17, v16 bitop3:0x14
	s_nor_b32 s0, s8, vcc_lo
	s_and_saveexec_b32 s10, s0
	s_cbranch_execz .LBB1938_66
; %bb.65:
	s_delay_alu instid0(VALU_DEP_1) | instskip(SKIP_1) | instid1(VALU_DEP_2)
	v_cmp_ne_u16_e64 s0, 0x8000, v15
	v_lshlrev_b32_e32 v17, 2, v2
	v_cndmask_b32_e64 v16, 0x7fff, v15, s0
	s_sub_co_i32 s0, s3, s2
	s_delay_alu instid0(SALU_CYCLE_1) | instskip(NEXT) | instid1(VALU_DEP_1)
	s_min_u32 s0, s0, 8
	v_and_b32_e32 v16, 0xffff, v16
	s_delay_alu instid0(VALU_DEP_1) | instskip(NEXT) | instid1(VALU_DEP_1)
	v_lshrrev_b32_e32 v16, s2, v16
	v_bfe_u32 v16, v16, 0, s0
	s_delay_alu instid0(VALU_DEP_1)
	v_lshl_or_b32 v16, v16, 4, v17
	v_mov_b32_e32 v17, 1
	ds_add_u32 v16, v17
	v_mov_b32_e32 v16, 0
.LBB1938_66:
	s_or_b32 exec_lo, exec_lo, s10
	s_mov_b32 s10, -1
	s_mov_b32 s11, exec_lo
	s_delay_alu instid0(VALU_DEP_1)
	v_cmpx_gt_i32_e32 10, v16
; %bb.67:
	v_cmp_eq_u32_e64 s0, 0, v16
	s_or_not1_b32 s10, s0, exec_lo
; %bb.68:
	s_or_b32 exec_lo, exec_lo, s11
	s_and_saveexec_b32 s0, s10
	s_cbranch_execz .LBB1938_71
; %bb.69:
	s_add_co_i32 s10, s2, 8
	s_delay_alu instid0(SALU_CYCLE_1) | instskip(SKIP_2) | instid1(SALU_CYCLE_1)
	s_cmp_gt_u32 s3, s10
	s_cselect_b32 s11, -1, 0
	s_xor_b32 s12, vcc_lo, -1
	s_and_b32 s11, s11, s12
	s_delay_alu instid0(SALU_CYCLE_1)
	s_and_b32 exec_lo, exec_lo, s11
	s_cbranch_execz .LBB1938_71
; %bb.70:
	v_cmp_ne_u16_e32 vcc_lo, 0x8000, v15
	v_dual_cndmask_b32 v15, 0x7fff, v15 :: v_dual_lshlrev_b32 v16, 2, v2
	s_delay_alu instid0(VALU_DEP_1) | instskip(NEXT) | instid1(VALU_DEP_1)
	v_and_b32_e32 v15, 0xffff, v15
	v_lshrrev_b32_e32 v15, s10, v15
	s_sub_co_i32 s10, s3, s10
	s_delay_alu instid0(SALU_CYCLE_1)
	s_min_u32 s10, s10, 8
	s_delay_alu instid0(VALU_DEP_1) | instid1(SALU_CYCLE_1)
	v_bfe_u32 v15, v15, 0, s10
	s_delay_alu instid0(VALU_DEP_1)
	v_lshl_or_b32 v15, v15, 4, v16
	v_mov_b32_e32 v16, 1
	ds_add_u32 v15, v16 offset:4096
.LBB1938_71:
	s_or_b32 exec_lo, exec_lo, s0
	v_cmp_gt_i16_e32 vcc_lo, 0, v14
	v_cndmask_b32_e64 v15, 0x7fff, 0, vcc_lo
	v_cmp_le_u32_e32 vcc_lo, s1, v13
	s_delay_alu instid0(VALU_DEP_2) | instskip(SKIP_1) | instid1(SALU_CYCLE_1)
	v_dual_mov_b32 v14, s9 :: v_dual_bitop2_b32 v13, v15, v14 bitop3:0x14
	s_nor_b32 s0, s8, vcc_lo
	s_and_saveexec_b32 s10, s0
	s_cbranch_execz .LBB1938_73
; %bb.72:
	s_delay_alu instid0(VALU_DEP_1) | instskip(SKIP_1) | instid1(VALU_DEP_2)
	v_cmp_ne_u16_e64 s0, 0x8000, v13
	v_lshlrev_b32_e32 v15, 2, v2
	v_cndmask_b32_e64 v14, 0x7fff, v13, s0
	s_sub_co_i32 s0, s3, s2
	s_delay_alu instid0(SALU_CYCLE_1) | instskip(NEXT) | instid1(VALU_DEP_1)
	s_min_u32 s0, s0, 8
	v_and_b32_e32 v14, 0xffff, v14
	s_delay_alu instid0(VALU_DEP_1) | instskip(NEXT) | instid1(VALU_DEP_1)
	v_lshrrev_b32_e32 v14, s2, v14
	v_bfe_u32 v14, v14, 0, s0
	s_delay_alu instid0(VALU_DEP_1)
	v_lshl_or_b32 v14, v14, 4, v15
	v_mov_b32_e32 v15, 1
	ds_add_u32 v14, v15
	v_mov_b32_e32 v14, 0
.LBB1938_73:
	s_or_b32 exec_lo, exec_lo, s10
	s_mov_b32 s10, -1
	s_mov_b32 s11, exec_lo
	s_delay_alu instid0(VALU_DEP_1)
	v_cmpx_gt_i32_e32 10, v14
; %bb.74:
	v_cmp_eq_u32_e64 s0, 0, v14
	s_or_not1_b32 s10, s0, exec_lo
; %bb.75:
	s_or_b32 exec_lo, exec_lo, s11
	s_and_saveexec_b32 s0, s10
	s_cbranch_execz .LBB1938_78
; %bb.76:
	s_add_co_i32 s10, s2, 8
	s_delay_alu instid0(SALU_CYCLE_1) | instskip(SKIP_2) | instid1(SALU_CYCLE_1)
	s_cmp_gt_u32 s3, s10
	s_cselect_b32 s11, -1, 0
	s_xor_b32 s12, vcc_lo, -1
	s_and_b32 s11, s11, s12
	s_delay_alu instid0(SALU_CYCLE_1)
	s_and_b32 exec_lo, exec_lo, s11
	s_cbranch_execz .LBB1938_78
; %bb.77:
	v_cmp_ne_u16_e32 vcc_lo, 0x8000, v13
	v_dual_cndmask_b32 v13, 0x7fff, v13 :: v_dual_lshlrev_b32 v14, 2, v2
	s_delay_alu instid0(VALU_DEP_1) | instskip(NEXT) | instid1(VALU_DEP_1)
	v_and_b32_e32 v13, 0xffff, v13
	v_lshrrev_b32_e32 v13, s10, v13
	s_sub_co_i32 s10, s3, s10
	s_delay_alu instid0(SALU_CYCLE_1)
	s_min_u32 s10, s10, 8
	s_delay_alu instid0(VALU_DEP_1) | instid1(SALU_CYCLE_1)
	v_bfe_u32 v13, v13, 0, s10
	s_delay_alu instid0(VALU_DEP_1)
	v_lshl_or_b32 v13, v13, 4, v14
	v_mov_b32_e32 v14, 1
	ds_add_u32 v13, v14 offset:4096
.LBB1938_78:
	s_or_b32 exec_lo, exec_lo, s0
	v_cmp_gt_i16_e32 vcc_lo, 0, v12
	v_cndmask_b32_e64 v13, 0x7fff, 0, vcc_lo
	v_cmp_le_u32_e32 vcc_lo, s1, v11
	s_delay_alu instid0(VALU_DEP_2) | instskip(SKIP_1) | instid1(SALU_CYCLE_1)
	v_dual_mov_b32 v12, s9 :: v_dual_bitop2_b32 v11, v13, v12 bitop3:0x14
	s_nor_b32 s0, s8, vcc_lo
	s_and_saveexec_b32 s10, s0
	s_cbranch_execz .LBB1938_80
; %bb.79:
	s_delay_alu instid0(VALU_DEP_1) | instskip(SKIP_1) | instid1(VALU_DEP_2)
	v_cmp_ne_u16_e64 s0, 0x8000, v11
	v_lshlrev_b32_e32 v13, 2, v2
	v_cndmask_b32_e64 v12, 0x7fff, v11, s0
	s_sub_co_i32 s0, s3, s2
	s_delay_alu instid0(SALU_CYCLE_1) | instskip(NEXT) | instid1(VALU_DEP_1)
	s_min_u32 s0, s0, 8
	v_and_b32_e32 v12, 0xffff, v12
	s_delay_alu instid0(VALU_DEP_1) | instskip(NEXT) | instid1(VALU_DEP_1)
	v_lshrrev_b32_e32 v12, s2, v12
	v_bfe_u32 v12, v12, 0, s0
	s_delay_alu instid0(VALU_DEP_1)
	v_lshl_or_b32 v12, v12, 4, v13
	v_mov_b32_e32 v13, 1
	ds_add_u32 v12, v13
	v_mov_b32_e32 v12, 0
.LBB1938_80:
	s_or_b32 exec_lo, exec_lo, s10
	s_mov_b32 s10, -1
	s_mov_b32 s11, exec_lo
	s_delay_alu instid0(VALU_DEP_1)
	v_cmpx_gt_i32_e32 10, v12
; %bb.81:
	v_cmp_eq_u32_e64 s0, 0, v12
	s_or_not1_b32 s10, s0, exec_lo
; %bb.82:
	s_or_b32 exec_lo, exec_lo, s11
	s_and_saveexec_b32 s0, s10
	s_cbranch_execz .LBB1938_85
; %bb.83:
	s_add_co_i32 s10, s2, 8
	s_delay_alu instid0(SALU_CYCLE_1) | instskip(SKIP_2) | instid1(SALU_CYCLE_1)
	s_cmp_gt_u32 s3, s10
	s_cselect_b32 s11, -1, 0
	s_xor_b32 s12, vcc_lo, -1
	s_and_b32 s11, s11, s12
	s_delay_alu instid0(SALU_CYCLE_1)
	s_and_b32 exec_lo, exec_lo, s11
	s_cbranch_execz .LBB1938_85
; %bb.84:
	v_cmp_ne_u16_e32 vcc_lo, 0x8000, v11
	v_dual_cndmask_b32 v11, 0x7fff, v11 :: v_dual_lshlrev_b32 v12, 2, v2
	s_delay_alu instid0(VALU_DEP_1) | instskip(NEXT) | instid1(VALU_DEP_1)
	v_and_b32_e32 v11, 0xffff, v11
	v_lshrrev_b32_e32 v11, s10, v11
	s_sub_co_i32 s10, s3, s10
	s_delay_alu instid0(SALU_CYCLE_1)
	s_min_u32 s10, s10, 8
	s_delay_alu instid0(VALU_DEP_1) | instid1(SALU_CYCLE_1)
	v_bfe_u32 v11, v11, 0, s10
	s_delay_alu instid0(VALU_DEP_1)
	v_lshl_or_b32 v11, v11, 4, v12
	v_mov_b32_e32 v12, 1
	ds_add_u32 v11, v12 offset:4096
.LBB1938_85:
	s_or_b32 exec_lo, exec_lo, s0
	v_cmp_gt_i16_e32 vcc_lo, 0, v10
	v_cndmask_b32_e64 v11, 0x7fff, 0, vcc_lo
	v_cmp_le_u32_e32 vcc_lo, s1, v9
	s_delay_alu instid0(VALU_DEP_2) | instskip(SKIP_1) | instid1(SALU_CYCLE_1)
	v_dual_mov_b32 v10, s9 :: v_dual_bitop2_b32 v9, v11, v10 bitop3:0x14
	s_nor_b32 s0, s8, vcc_lo
	s_and_saveexec_b32 s10, s0
	s_cbranch_execz .LBB1938_87
; %bb.86:
	s_delay_alu instid0(VALU_DEP_1) | instskip(SKIP_1) | instid1(VALU_DEP_2)
	v_cmp_ne_u16_e64 s0, 0x8000, v9
	v_lshlrev_b32_e32 v11, 2, v2
	v_cndmask_b32_e64 v10, 0x7fff, v9, s0
	s_sub_co_i32 s0, s3, s2
	s_delay_alu instid0(SALU_CYCLE_1) | instskip(NEXT) | instid1(VALU_DEP_1)
	s_min_u32 s0, s0, 8
	v_and_b32_e32 v10, 0xffff, v10
	s_delay_alu instid0(VALU_DEP_1) | instskip(NEXT) | instid1(VALU_DEP_1)
	v_lshrrev_b32_e32 v10, s2, v10
	v_bfe_u32 v10, v10, 0, s0
	s_delay_alu instid0(VALU_DEP_1)
	v_lshl_or_b32 v10, v10, 4, v11
	v_mov_b32_e32 v11, 1
	ds_add_u32 v10, v11
	v_mov_b32_e32 v10, 0
.LBB1938_87:
	s_or_b32 exec_lo, exec_lo, s10
	s_mov_b32 s10, -1
	s_mov_b32 s11, exec_lo
	s_delay_alu instid0(VALU_DEP_1)
	v_cmpx_gt_i32_e32 10, v10
; %bb.88:
	v_cmp_eq_u32_e64 s0, 0, v10
	s_or_not1_b32 s10, s0, exec_lo
; %bb.89:
	s_or_b32 exec_lo, exec_lo, s11
	s_and_saveexec_b32 s0, s10
	s_cbranch_execz .LBB1938_92
; %bb.90:
	s_add_co_i32 s10, s2, 8
	s_delay_alu instid0(SALU_CYCLE_1) | instskip(SKIP_2) | instid1(SALU_CYCLE_1)
	s_cmp_gt_u32 s3, s10
	s_cselect_b32 s11, -1, 0
	s_xor_b32 s12, vcc_lo, -1
	s_and_b32 s11, s11, s12
	s_delay_alu instid0(SALU_CYCLE_1)
	s_and_b32 exec_lo, exec_lo, s11
	s_cbranch_execz .LBB1938_92
; %bb.91:
	v_cmp_ne_u16_e32 vcc_lo, 0x8000, v9
	v_dual_cndmask_b32 v9, 0x7fff, v9 :: v_dual_lshlrev_b32 v10, 2, v2
	s_delay_alu instid0(VALU_DEP_1) | instskip(NEXT) | instid1(VALU_DEP_1)
	v_and_b32_e32 v9, 0xffff, v9
	v_lshrrev_b32_e32 v9, s10, v9
	s_sub_co_i32 s10, s3, s10
	s_delay_alu instid0(SALU_CYCLE_1)
	s_min_u32 s10, s10, 8
	s_delay_alu instid0(VALU_DEP_1) | instid1(SALU_CYCLE_1)
	v_bfe_u32 v9, v9, 0, s10
	s_delay_alu instid0(VALU_DEP_1)
	v_lshl_or_b32 v9, v9, 4, v10
	v_mov_b32_e32 v10, 1
	ds_add_u32 v9, v10 offset:4096
.LBB1938_92:
	s_or_b32 exec_lo, exec_lo, s0
	v_cmp_gt_i16_e32 vcc_lo, 0, v8
	v_cndmask_b32_e64 v9, 0x7fff, 0, vcc_lo
	v_cmp_le_u32_e32 vcc_lo, s1, v7
	s_delay_alu instid0(VALU_DEP_2) | instskip(SKIP_1) | instid1(SALU_CYCLE_1)
	v_dual_mov_b32 v8, s9 :: v_dual_bitop2_b32 v7, v9, v8 bitop3:0x14
	s_nor_b32 s0, s8, vcc_lo
	s_and_saveexec_b32 s10, s0
	s_cbranch_execz .LBB1938_94
; %bb.93:
	s_delay_alu instid0(VALU_DEP_1) | instskip(SKIP_1) | instid1(VALU_DEP_2)
	v_cmp_ne_u16_e64 s0, 0x8000, v7
	v_lshlrev_b32_e32 v9, 2, v2
	v_cndmask_b32_e64 v8, 0x7fff, v7, s0
	s_sub_co_i32 s0, s3, s2
	s_delay_alu instid0(SALU_CYCLE_1) | instskip(NEXT) | instid1(VALU_DEP_1)
	s_min_u32 s0, s0, 8
	v_and_b32_e32 v8, 0xffff, v8
	s_delay_alu instid0(VALU_DEP_1) | instskip(NEXT) | instid1(VALU_DEP_1)
	v_lshrrev_b32_e32 v8, s2, v8
	v_bfe_u32 v8, v8, 0, s0
	s_delay_alu instid0(VALU_DEP_1)
	v_lshl_or_b32 v8, v8, 4, v9
	v_mov_b32_e32 v9, 1
	ds_add_u32 v8, v9
	v_mov_b32_e32 v8, 0
.LBB1938_94:
	s_or_b32 exec_lo, exec_lo, s10
	s_mov_b32 s10, -1
	s_mov_b32 s11, exec_lo
	s_delay_alu instid0(VALU_DEP_1)
	v_cmpx_gt_i32_e32 10, v8
; %bb.95:
	v_cmp_eq_u32_e64 s0, 0, v8
	s_or_not1_b32 s10, s0, exec_lo
; %bb.96:
	s_or_b32 exec_lo, exec_lo, s11
	s_and_saveexec_b32 s0, s10
	s_cbranch_execz .LBB1938_99
; %bb.97:
	s_add_co_i32 s10, s2, 8
	s_delay_alu instid0(SALU_CYCLE_1) | instskip(SKIP_2) | instid1(SALU_CYCLE_1)
	s_cmp_gt_u32 s3, s10
	s_cselect_b32 s11, -1, 0
	s_xor_b32 s12, vcc_lo, -1
	s_and_b32 s11, s11, s12
	s_delay_alu instid0(SALU_CYCLE_1)
	s_and_b32 exec_lo, exec_lo, s11
	s_cbranch_execz .LBB1938_99
; %bb.98:
	v_cmp_ne_u16_e32 vcc_lo, 0x8000, v7
	v_dual_cndmask_b32 v7, 0x7fff, v7 :: v_dual_lshlrev_b32 v8, 2, v2
	s_delay_alu instid0(VALU_DEP_1) | instskip(NEXT) | instid1(VALU_DEP_1)
	v_and_b32_e32 v7, 0xffff, v7
	v_lshrrev_b32_e32 v7, s10, v7
	s_sub_co_i32 s10, s3, s10
	s_delay_alu instid0(SALU_CYCLE_1)
	s_min_u32 s10, s10, 8
	s_delay_alu instid0(VALU_DEP_1) | instid1(SALU_CYCLE_1)
	v_bfe_u32 v7, v7, 0, s10
	s_delay_alu instid0(VALU_DEP_1)
	v_lshl_or_b32 v7, v7, 4, v8
	v_mov_b32_e32 v8, 1
	ds_add_u32 v7, v8 offset:4096
.LBB1938_99:
	s_or_b32 exec_lo, exec_lo, s0
	v_cmp_gt_i16_e32 vcc_lo, 0, v6
	v_cndmask_b32_e64 v7, 0x7fff, 0, vcc_lo
	v_cmp_le_u32_e32 vcc_lo, s1, v5
	s_delay_alu instid0(VALU_DEP_2) | instskip(SKIP_1) | instid1(SALU_CYCLE_1)
	v_dual_mov_b32 v6, s9 :: v_dual_bitop2_b32 v5, v7, v6 bitop3:0x14
	s_nor_b32 s0, s8, vcc_lo
	s_and_saveexec_b32 s10, s0
	s_cbranch_execz .LBB1938_101
; %bb.100:
	s_delay_alu instid0(VALU_DEP_1) | instskip(SKIP_1) | instid1(VALU_DEP_2)
	v_cmp_ne_u16_e64 s0, 0x8000, v5
	v_lshlrev_b32_e32 v7, 2, v2
	v_cndmask_b32_e64 v6, 0x7fff, v5, s0
	s_sub_co_i32 s0, s3, s2
	s_delay_alu instid0(SALU_CYCLE_1) | instskip(NEXT) | instid1(VALU_DEP_1)
	s_min_u32 s0, s0, 8
	v_and_b32_e32 v6, 0xffff, v6
	s_delay_alu instid0(VALU_DEP_1) | instskip(NEXT) | instid1(VALU_DEP_1)
	v_lshrrev_b32_e32 v6, s2, v6
	v_bfe_u32 v6, v6, 0, s0
	s_delay_alu instid0(VALU_DEP_1)
	v_lshl_or_b32 v6, v6, 4, v7
	v_mov_b32_e32 v7, 1
	ds_add_u32 v6, v7
	v_mov_b32_e32 v6, 0
.LBB1938_101:
	s_or_b32 exec_lo, exec_lo, s10
	s_mov_b32 s10, -1
	s_mov_b32 s11, exec_lo
	s_delay_alu instid0(VALU_DEP_1)
	v_cmpx_gt_i32_e32 10, v6
; %bb.102:
	v_cmp_eq_u32_e64 s0, 0, v6
	s_or_not1_b32 s10, s0, exec_lo
; %bb.103:
	s_or_b32 exec_lo, exec_lo, s11
	s_and_saveexec_b32 s0, s10
	s_cbranch_execz .LBB1938_106
; %bb.104:
	s_add_co_i32 s10, s2, 8
	s_delay_alu instid0(SALU_CYCLE_1) | instskip(SKIP_2) | instid1(SALU_CYCLE_1)
	s_cmp_gt_u32 s3, s10
	s_cselect_b32 s11, -1, 0
	s_xor_b32 s12, vcc_lo, -1
	s_and_b32 s11, s11, s12
	s_delay_alu instid0(SALU_CYCLE_1)
	s_and_b32 exec_lo, exec_lo, s11
	s_cbranch_execz .LBB1938_106
; %bb.105:
	v_cmp_ne_u16_e32 vcc_lo, 0x8000, v5
	v_dual_cndmask_b32 v5, 0x7fff, v5 :: v_dual_lshlrev_b32 v6, 2, v2
	s_delay_alu instid0(VALU_DEP_1) | instskip(NEXT) | instid1(VALU_DEP_1)
	v_and_b32_e32 v5, 0xffff, v5
	v_lshrrev_b32_e32 v5, s10, v5
	s_sub_co_i32 s10, s3, s10
	s_delay_alu instid0(SALU_CYCLE_1)
	s_min_u32 s10, s10, 8
	s_delay_alu instid0(VALU_DEP_1) | instid1(SALU_CYCLE_1)
	v_bfe_u32 v5, v5, 0, s10
	s_delay_alu instid0(VALU_DEP_1)
	v_lshl_or_b32 v5, v5, 4, v6
	v_mov_b32_e32 v6, 1
	ds_add_u32 v5, v6 offset:4096
.LBB1938_106:
	s_or_b32 exec_lo, exec_lo, s0
	v_cmp_gt_i16_e32 vcc_lo, 0, v4
	v_cndmask_b32_e64 v5, 0x7fff, 0, vcc_lo
	v_cmp_le_u32_e32 vcc_lo, s1, v3
	s_delay_alu instid0(VALU_DEP_2) | instskip(SKIP_1) | instid1(SALU_CYCLE_1)
	v_dual_mov_b32 v4, s9 :: v_dual_bitop2_b32 v3, v5, v4 bitop3:0x14
	s_nor_b32 s0, s8, vcc_lo
	s_and_saveexec_b32 s1, s0
	s_cbranch_execz .LBB1938_108
; %bb.107:
	s_delay_alu instid0(VALU_DEP_1) | instskip(SKIP_1) | instid1(VALU_DEP_2)
	v_cmp_ne_u16_e64 s0, 0x8000, v3
	v_lshlrev_b32_e32 v5, 2, v2
	v_cndmask_b32_e64 v4, 0x7fff, v3, s0
	s_sub_co_i32 s0, s3, s2
	s_delay_alu instid0(SALU_CYCLE_1) | instskip(NEXT) | instid1(VALU_DEP_1)
	s_min_u32 s0, s0, 8
	v_and_b32_e32 v4, 0xffff, v4
	s_delay_alu instid0(VALU_DEP_1) | instskip(NEXT) | instid1(VALU_DEP_1)
	v_lshrrev_b32_e32 v4, s2, v4
	v_bfe_u32 v4, v4, 0, s0
	s_delay_alu instid0(VALU_DEP_1)
	v_lshl_or_b32 v4, v4, 4, v5
	v_mov_b32_e32 v5, 1
	ds_add_u32 v4, v5
	v_mov_b32_e32 v4, 0
.LBB1938_108:
	s_or_b32 exec_lo, exec_lo, s1
	s_mov_b32 s1, -1
	s_mov_b32 s8, exec_lo
	s_delay_alu instid0(VALU_DEP_1)
	v_cmpx_gt_i32_e32 10, v4
; %bb.109:
	v_cmp_eq_u32_e64 s0, 0, v4
	s_or_not1_b32 s1, s0, exec_lo
; %bb.110:
	s_or_b32 exec_lo, exec_lo, s8
	s_and_saveexec_b32 s0, s1
	s_cbranch_execz .LBB1938_113
; %bb.111:
	s_add_co_i32 s1, s2, 8
	s_delay_alu instid0(SALU_CYCLE_1) | instskip(SKIP_2) | instid1(SALU_CYCLE_1)
	s_cmp_gt_u32 s3, s1
	s_cselect_b32 s8, -1, 0
	s_xor_b32 s9, vcc_lo, -1
	s_and_b32 s8, s8, s9
	s_delay_alu instid0(SALU_CYCLE_1)
	s_and_b32 exec_lo, exec_lo, s8
	s_cbranch_execz .LBB1938_113
; %bb.112:
	v_cmp_ne_u16_e32 vcc_lo, 0x8000, v3
	v_dual_cndmask_b32 v3, 0x7fff, v3 :: v_dual_lshlrev_b32 v2, 2, v2
	s_delay_alu instid0(VALU_DEP_1) | instskip(NEXT) | instid1(VALU_DEP_1)
	v_and_b32_e32 v3, 0xffff, v3
	v_lshrrev_b32_e32 v3, s1, v3
	s_sub_co_i32 s1, s3, s1
	s_delay_alu instid0(SALU_CYCLE_1)
	s_min_u32 s1, s1, 8
	s_delay_alu instid0(VALU_DEP_1) | instid1(SALU_CYCLE_1)
	v_bfe_u32 v3, v3, 0, s1
	s_delay_alu instid0(VALU_DEP_1)
	v_lshl_or_b32 v2, v3, 4, v2
	v_mov_b32_e32 v3, 1
	ds_add_u32 v2, v3 offset:4096
.LBB1938_113:
	s_or_b32 exec_lo, exec_lo, s0
	s_cmp_gt_u32 s3, s2
	s_wait_dscnt 0x0
	s_barrier_signal -1
	s_barrier_wait -1
	s_cbranch_scc0 .LBB1938_118
; %bb.114:
	v_mad_u32_u24 v1, v0, 12, v1
	v_dual_mov_b32 v3, 0 :: v_dual_mov_b32 v4, v0
	s_mov_b32 s0, s2
	v_cmp_gt_u32_e32 vcc_lo, 0x100, v0
	s_branch .LBB1938_116
.LBB1938_115:                           ;   in Loop: Header=BB1938_116 Depth=1
	s_wait_xcnt 0x0
	s_or_b32 exec_lo, exec_lo, s1
	v_add_nc_u32_e32 v4, 0x100, v4
	v_add_nc_u32_e32 v1, 0x1000, v1
	s_add_co_i32 s0, s0, 8
	s_delay_alu instid0(SALU_CYCLE_1)
	s_cmp_lt_u32 s0, s3
	s_cbranch_scc0 .LBB1938_118
.LBB1938_116:                           ; =>This Inner Loop Header: Depth=1
	s_and_saveexec_b32 s1, vcc_lo
	s_cbranch_execz .LBB1938_115
; %bb.117:                              ;   in Loop: Header=BB1938_116 Depth=1
	ds_load_2addr_b32 v[6:7], v1 offset1:1
	ds_load_2addr_b32 v[8:9], v1 offset0:2 offset1:3
	s_wait_dscnt 0x1
	v_add_nc_u32_e32 v2, v7, v6
	s_wait_dscnt 0x0
	s_delay_alu instid0(VALU_DEP_1)
	v_add3_u32 v2, v2, v8, v9
	global_atomic_add_u64 v4, v[2:3], s[6:7] scale_offset scope:SCOPE_DEV
	s_branch .LBB1938_115
.LBB1938_118:
	s_mov_b32 s9, 0
.LBB1938_119:
	s_delay_alu instid0(SALU_CYCLE_1)
	s_and_b32 vcc_lo, exec_lo, s9
	s_cbranch_vccz .LBB1938_164
; %bb.120:
	s_clause 0xb
	global_load_u16 v12, v0, s[4:5] scale_offset
	global_load_u16 v13, v0, s[4:5] offset:1024 scale_offset
	global_load_u16 v14, v0, s[4:5] offset:2048 scale_offset
	;; [unrolled: 1-line block ×11, first 2 shown]
	s_cmp_eq_u32 s2, 0
	v_dual_mov_b32 v2, 0 :: v_dual_lshlrev_b32 v15, 2, v0
	s_cselect_b32 s0, -1, 0
	s_cmp_eq_u32 s3, 16
	s_wait_xcnt 0x0
	v_cmp_gt_u32_e64 s4, 3, 1
	s_cselect_b32 s1, -1, 0
	s_delay_alu instid0(SALU_CYCLE_1)
	s_and_b32 s0, s0, s1
	s_mov_b32 s1, -1
	s_and_b32 vcc_lo, exec_lo, s0
	v_cmp_gt_u32_e64 s0, 3, 2
	s_cbranch_vccnz .LBB1938_157
; %bb.121:
	ds_store_2addr_stride64_b32 v15, v2, v2 offset1:8
	s_and_saveexec_b32 s1, s4
; %bb.122:
	v_mov_b32_e32 v2, 0
	ds_store_b32 v15, v2 offset:4096
; %bb.123:
	s_or_b32 exec_lo, exec_lo, s1
	s_and_saveexec_b32 s1, s0
; %bb.124:
	v_mov_b32_e32 v2, 0
	ds_store_b32 v15, v2 offset:6144
; %bb.125:
	s_or_b32 exec_lo, exec_lo, s1
	s_cmp_gt_u32 s3, s2
	s_wait_storecnt 0x0
	s_wait_loadcnt_dscnt 0x0
	s_cselect_b32 s1, -1, 0
	s_barrier_signal -1
	s_and_b32 vcc_lo, exec_lo, s1
	s_barrier_wait -1
	s_cbranch_vccz .LBB1938_151
; %bb.126:
	v_cmp_gt_i16_e32 vcc_lo, 0, v12
	s_sub_co_i32 s0, s3, s2
	s_add_co_i32 s4, s2, 8
	s_min_u32 s0, s0, 8
	s_mov_b32 s9, -1
	v_cndmask_b32_e64 v2, 0x7fff, 0, vcc_lo
	s_lshl_b32 s0, -1, s0
	v_mov_b32_e32 v18, 1
	s_not_b32 s5, s0
	s_cmp_le_u32 s3, s4
	v_xor_b32_e32 v2, v2, v12
	s_cselect_b32 s8, -1, 0
	s_delay_alu instid0(VALU_DEP_1) | instskip(SKIP_2) | instid1(VALU_DEP_2)
	v_cmp_ne_u16_e32 vcc_lo, 0x8000, v2
	v_cndmask_b32_e32 v2, 0x7fff, v2, vcc_lo
	v_cmp_gt_i16_e32 vcc_lo, 0, v13
	v_and_b32_e32 v16, 0xffff, v2
	v_and_b32_e32 v2, 3, v0
	s_delay_alu instid0(VALU_DEP_1) | instskip(NEXT) | instid1(VALU_DEP_1)
	v_dual_lshrrev_b32 v17, s2, v16 :: v_dual_lshlrev_b32 v3, 2, v2
	v_bitop3_b32 v17, v17, s0, v17 bitop3:0x30
	s_delay_alu instid0(VALU_DEP_1) | instskip(SKIP_3) | instid1(VALU_DEP_1)
	v_lshl_or_b32 v17, v17, 4, v3
	ds_add_u32 v17, v18
	v_cndmask_b32_e64 v17, 0x7fff, 0, vcc_lo
	s_and_b32 vcc_lo, exec_lo, s8
                                        ; implicit-def: $vgpr18
	v_xor_b32_e32 v17, v17, v13
	s_delay_alu instid0(VALU_DEP_1)
	v_cmp_ne_u16_e64 s0, 0x8000, v17
	s_cbranch_vccz .LBB1938_128
; %bb.127:
	v_cndmask_b32_e64 v18, 0x7fff, v17, s0
	s_mov_b32 s9, 0
	s_delay_alu instid0(VALU_DEP_1) | instskip(NEXT) | instid1(VALU_DEP_1)
	v_and_b32_e32 v18, 0xffff, v18
	v_lshrrev_b32_e32 v18, s2, v18
	s_delay_alu instid0(VALU_DEP_1) | instskip(NEXT) | instid1(VALU_DEP_1)
	v_and_b32_e32 v18, s5, v18
	v_lshlrev_b32_e32 v18, 4, v18
.LBB1938_128:
	s_and_not1_b32 vcc_lo, exec_lo, s9
	s_cbranch_vccnz .LBB1938_130
; %bb.129:
	v_cmp_ne_u16_e32 vcc_lo, 0x8000, v17
	s_sub_co_i32 s0, s3, s4
	v_mov_b32_e32 v19, 1
	s_min_u32 s0, s0, 8
	v_cndmask_b32_e32 v17, 0x7fff, v17, vcc_lo
	s_lshl_b32 s0, -1, s0
	s_delay_alu instid0(VALU_DEP_1) | instskip(NEXT) | instid1(VALU_DEP_1)
	v_and_b32_e32 v17, 0xffff, v17
	v_dual_lshrrev_b32 v16, s4, v16 :: v_dual_lshrrev_b32 v18, s2, v17
	s_delay_alu instid0(VALU_DEP_1) | instskip(NEXT) | instid1(VALU_DEP_2)
	v_bitop3_b32 v16, v16, s0, v16 bitop3:0x30
	v_and_b32_e32 v18, s5, v18
	s_delay_alu instid0(VALU_DEP_2) | instskip(NEXT) | instid1(VALU_DEP_2)
	v_lshl_or_b32 v16, v16, 4, v3
	v_lshl_or_b32 v18, v18, 4, v3
	ds_add_u32 v16, v19 offset:4096
	ds_add_u32 v18, v19
	v_lshrrev_b32_e32 v16, s4, v17
	s_delay_alu instid0(VALU_DEP_1) | instskip(NEXT) | instid1(VALU_DEP_1)
	v_bitop3_b32 v16, v16, s0, v16 bitop3:0x30
	v_lshl_add_u32 v18, v16, 4, 0x1000
.LBB1938_130:
	v_cmp_gt_i16_e32 vcc_lo, 0, v14
	s_mov_b32 s9, 0
	s_delay_alu instid0(VALU_DEP_2) | instskip(SKIP_1) | instid1(VALU_DEP_1)
	v_dual_mov_b32 v19, 1 :: v_dual_add_nc_u32 v18, v18, v3
	v_cndmask_b32_e64 v16, 0x7fff, 0, vcc_lo
	v_xor_b32_e32 v16, v16, v14
	s_delay_alu instid0(VALU_DEP_1) | instskip(SKIP_2) | instid1(VALU_DEP_2)
	v_cmp_ne_u16_e32 vcc_lo, 0x8000, v16
	v_cndmask_b32_e32 v16, 0x7fff, v16, vcc_lo
	v_cmp_gt_i16_e32 vcc_lo, 0, v7
	v_and_b32_e32 v16, 0xffff, v16
	s_delay_alu instid0(VALU_DEP_1) | instskip(NEXT) | instid1(VALU_DEP_1)
	v_lshrrev_b32_e32 v17, s2, v16
	v_and_b32_e32 v17, s5, v17
	s_delay_alu instid0(VALU_DEP_1) | instskip(SKIP_4) | instid1(VALU_DEP_1)
	v_lshl_or_b32 v17, v17, 4, v3
	ds_add_u32 v18, v19
	ds_add_u32 v17, v19
	v_cndmask_b32_e64 v17, 0x7fff, 0, vcc_lo
	s_and_b32 vcc_lo, exec_lo, s8
	v_xor_b32_e32 v17, v17, v7
	s_delay_alu instid0(VALU_DEP_1)
	v_cmp_ne_u16_e64 s0, 0x8000, v17
	s_cbranch_vccz .LBB1938_132
; %bb.131:
	v_cndmask_b32_e64 v18, 0x7fff, v17, s0
	s_delay_alu instid0(VALU_DEP_1) | instskip(NEXT) | instid1(VALU_DEP_1)
	v_and_b32_e32 v18, 0xffff, v18
	v_lshrrev_b32_e32 v18, s2, v18
	s_delay_alu instid0(VALU_DEP_1) | instskip(NEXT) | instid1(VALU_DEP_1)
	v_and_b32_e32 v18, s5, v18
	v_lshlrev_b32_e32 v18, 4, v18
	s_and_not1_b32 vcc_lo, exec_lo, s9
	s_cbranch_vccz .LBB1938_133
	s_branch .LBB1938_134
.LBB1938_132:
                                        ; implicit-def: $vgpr18
.LBB1938_133:
	v_cmp_ne_u16_e32 vcc_lo, 0x8000, v17
	s_sub_co_i32 s0, s3, s4
	v_mov_b32_e32 v19, 1
	s_min_u32 s0, s0, 8
	v_cndmask_b32_e32 v17, 0x7fff, v17, vcc_lo
	s_lshl_b32 s0, -1, s0
	s_delay_alu instid0(VALU_DEP_1) | instskip(NEXT) | instid1(VALU_DEP_1)
	v_and_b32_e32 v17, 0xffff, v17
	v_dual_lshrrev_b32 v16, s4, v16 :: v_dual_lshrrev_b32 v18, s2, v17
	s_delay_alu instid0(VALU_DEP_1) | instskip(NEXT) | instid1(VALU_DEP_2)
	v_bitop3_b32 v16, v16, s0, v16 bitop3:0x30
	v_and_b32_e32 v18, s5, v18
	s_delay_alu instid0(VALU_DEP_2) | instskip(NEXT) | instid1(VALU_DEP_2)
	v_lshl_or_b32 v16, v16, 4, v3
	v_lshl_or_b32 v18, v18, 4, v3
	ds_add_u32 v16, v19 offset:4096
	ds_add_u32 v18, v19
	v_lshrrev_b32_e32 v16, s4, v17
	s_delay_alu instid0(VALU_DEP_1) | instskip(NEXT) | instid1(VALU_DEP_1)
	v_bitop3_b32 v16, v16, s0, v16 bitop3:0x30
	v_lshl_add_u32 v18, v16, 4, 0x1000
.LBB1938_134:
	v_cmp_gt_i16_e32 vcc_lo, 0, v8
	s_mov_b32 s9, 0
	s_delay_alu instid0(VALU_DEP_2) | instskip(SKIP_1) | instid1(VALU_DEP_1)
	v_dual_mov_b32 v19, 1 :: v_dual_add_nc_u32 v18, v18, v3
	v_cndmask_b32_e64 v16, 0x7fff, 0, vcc_lo
	v_xor_b32_e32 v16, v16, v8
	s_delay_alu instid0(VALU_DEP_1) | instskip(SKIP_2) | instid1(VALU_DEP_2)
	v_cmp_ne_u16_e32 vcc_lo, 0x8000, v16
	v_cndmask_b32_e32 v16, 0x7fff, v16, vcc_lo
	v_cmp_gt_i16_e32 vcc_lo, 0, v9
	v_and_b32_e32 v16, 0xffff, v16
	s_delay_alu instid0(VALU_DEP_1) | instskip(NEXT) | instid1(VALU_DEP_1)
	v_lshrrev_b32_e32 v17, s2, v16
	v_and_b32_e32 v17, s5, v17
	s_delay_alu instid0(VALU_DEP_1) | instskip(SKIP_4) | instid1(VALU_DEP_1)
	v_lshl_or_b32 v17, v17, 4, v3
	ds_add_u32 v18, v19
	ds_add_u32 v17, v19
	v_cndmask_b32_e64 v17, 0x7fff, 0, vcc_lo
	s_and_b32 vcc_lo, exec_lo, s8
	v_xor_b32_e32 v17, v17, v9
	s_delay_alu instid0(VALU_DEP_1)
	v_cmp_ne_u16_e64 s0, 0x8000, v17
	s_cbranch_vccz .LBB1938_136
; %bb.135:
	v_cndmask_b32_e64 v18, 0x7fff, v17, s0
	s_delay_alu instid0(VALU_DEP_1) | instskip(NEXT) | instid1(VALU_DEP_1)
	v_and_b32_e32 v18, 0xffff, v18
	v_lshrrev_b32_e32 v18, s2, v18
	s_delay_alu instid0(VALU_DEP_1) | instskip(NEXT) | instid1(VALU_DEP_1)
	v_and_b32_e32 v18, s5, v18
	v_lshlrev_b32_e32 v18, 4, v18
	s_and_not1_b32 vcc_lo, exec_lo, s9
	s_cbranch_vccz .LBB1938_137
	s_branch .LBB1938_138
.LBB1938_136:
                                        ; implicit-def: $vgpr18
.LBB1938_137:
	v_cmp_ne_u16_e32 vcc_lo, 0x8000, v17
	s_sub_co_i32 s0, s3, s4
	v_mov_b32_e32 v19, 1
	s_min_u32 s0, s0, 8
	v_cndmask_b32_e32 v17, 0x7fff, v17, vcc_lo
	s_lshl_b32 s0, -1, s0
	s_delay_alu instid0(VALU_DEP_1) | instskip(NEXT) | instid1(VALU_DEP_1)
	v_and_b32_e32 v17, 0xffff, v17
	v_dual_lshrrev_b32 v16, s4, v16 :: v_dual_lshrrev_b32 v18, s2, v17
	s_delay_alu instid0(VALU_DEP_1) | instskip(NEXT) | instid1(VALU_DEP_2)
	v_bitop3_b32 v16, v16, s0, v16 bitop3:0x30
	v_and_b32_e32 v18, s5, v18
	s_delay_alu instid0(VALU_DEP_2) | instskip(NEXT) | instid1(VALU_DEP_2)
	v_lshl_or_b32 v16, v16, 4, v3
	v_lshl_or_b32 v18, v18, 4, v3
	ds_add_u32 v16, v19 offset:4096
	ds_add_u32 v18, v19
	v_lshrrev_b32_e32 v16, s4, v17
	s_delay_alu instid0(VALU_DEP_1) | instskip(NEXT) | instid1(VALU_DEP_1)
	v_bitop3_b32 v16, v16, s0, v16 bitop3:0x30
	v_lshl_add_u32 v18, v16, 4, 0x1000
.LBB1938_138:
	;; [unrolled: 60-line block ×4, first 2 shown]
	v_cmp_gt_i16_e32 vcc_lo, 0, v4
	s_delay_alu instid0(VALU_DEP_2) | instskip(SKIP_1) | instid1(VALU_DEP_1)
	v_dual_mov_b32 v19, 1 :: v_dual_add_nc_u32 v18, v18, v3
	v_cndmask_b32_e64 v16, 0x7fff, 0, vcc_lo
	v_xor_b32_e32 v16, v16, v4
	s_delay_alu instid0(VALU_DEP_1) | instskip(SKIP_2) | instid1(VALU_DEP_2)
	v_cmp_ne_u16_e32 vcc_lo, 0x8000, v16
	v_cndmask_b32_e32 v16, 0x7fff, v16, vcc_lo
	v_cmp_gt_i16_e32 vcc_lo, 0, v1
	v_and_b32_e32 v16, 0xffff, v16
	s_delay_alu instid0(VALU_DEP_1) | instskip(NEXT) | instid1(VALU_DEP_1)
	v_lshrrev_b32_e32 v17, s2, v16
	v_and_b32_e32 v17, s5, v17
	s_delay_alu instid0(VALU_DEP_1)
	v_lshl_or_b32 v17, v17, 4, v3
	ds_add_u32 v18, v19
	ds_add_u32 v17, v19
	v_cndmask_b32_e64 v17, 0x7fff, 0, vcc_lo
	s_and_b32 vcc_lo, exec_lo, s8
	s_mov_b32 s8, 0
	s_delay_alu instid0(VALU_DEP_1) | instskip(NEXT) | instid1(VALU_DEP_1)
	v_xor_b32_e32 v17, v17, v1
	v_cmp_ne_u16_e64 s0, 0x8000, v17
	s_cbranch_vccz .LBB1938_148
; %bb.147:
	v_cndmask_b32_e64 v18, 0x7fff, v17, s0
	s_delay_alu instid0(VALU_DEP_1) | instskip(NEXT) | instid1(VALU_DEP_1)
	v_and_b32_e32 v18, 0xffff, v18
	v_lshrrev_b32_e32 v18, s2, v18
	s_delay_alu instid0(VALU_DEP_1) | instskip(NEXT) | instid1(VALU_DEP_1)
	v_and_b32_e32 v18, s5, v18
	v_lshlrev_b32_e32 v18, 4, v18
	s_and_not1_b32 vcc_lo, exec_lo, s8
	s_cbranch_vccz .LBB1938_149
	s_branch .LBB1938_150
.LBB1938_148:
                                        ; implicit-def: $vgpr18
.LBB1938_149:
	v_cmp_ne_u16_e32 vcc_lo, 0x8000, v17
	s_sub_co_i32 s0, s3, s4
	v_mov_b32_e32 v19, 1
	s_min_u32 s0, s0, 8
	v_cndmask_b32_e32 v17, 0x7fff, v17, vcc_lo
	s_lshl_b32 s0, -1, s0
	s_delay_alu instid0(VALU_DEP_1) | instskip(NEXT) | instid1(VALU_DEP_1)
	v_and_b32_e32 v17, 0xffff, v17
	v_dual_lshrrev_b32 v16, s4, v16 :: v_dual_lshrrev_b32 v18, s2, v17
	s_delay_alu instid0(VALU_DEP_1) | instskip(NEXT) | instid1(VALU_DEP_2)
	v_bitop3_b32 v16, v16, s0, v16 bitop3:0x30
	v_and_b32_e32 v18, s5, v18
	s_delay_alu instid0(VALU_DEP_2) | instskip(NEXT) | instid1(VALU_DEP_2)
	v_lshl_or_b32 v16, v16, 4, v3
	v_lshl_or_b32 v3, v18, 4, v3
	ds_add_u32 v16, v19 offset:4096
	ds_add_u32 v3, v19
	v_lshrrev_b32_e32 v3, s4, v17
	s_delay_alu instid0(VALU_DEP_1) | instskip(NEXT) | instid1(VALU_DEP_1)
	v_bitop3_b32 v3, v3, s0, v3 bitop3:0x30
	v_lshl_add_u32 v18, v3, 4, 0x1000
.LBB1938_150:
	s_delay_alu instid0(VALU_DEP_1)
	v_lshl_add_u32 v2, v2, 2, v18
	v_mov_b32_e32 v3, 1
	ds_add_u32 v2, v3
.LBB1938_151:
	s_and_b32 vcc_lo, exec_lo, s1
	s_wait_dscnt 0x0
	s_barrier_signal -1
	s_barrier_wait -1
	s_cbranch_vccz .LBB1938_156
; %bb.152:
	v_dual_mov_b32 v3, 0 :: v_dual_lshlrev_b32 v16, 4, v0
	v_mov_b32_e32 v17, v0
	v_cmp_gt_u32_e32 vcc_lo, 0x100, v0
	s_branch .LBB1938_154
.LBB1938_153:                           ;   in Loop: Header=BB1938_154 Depth=1
	s_wait_xcnt 0x0
	s_or_b32 exec_lo, exec_lo, s0
	v_add_nc_u32_e32 v17, 0x100, v17
	v_add_nc_u32_e32 v16, 0x1000, v16
	s_add_co_i32 s2, s2, 8
	s_delay_alu instid0(SALU_CYCLE_1)
	s_cmp_ge_u32 s2, s3
	s_cbranch_scc1 .LBB1938_156
.LBB1938_154:                           ; =>This Inner Loop Header: Depth=1
	s_and_saveexec_b32 s0, vcc_lo
	s_cbranch_execz .LBB1938_153
; %bb.155:                              ;   in Loop: Header=BB1938_154 Depth=1
	ds_load_2addr_b32 v[18:19], v16 offset1:1
	ds_load_2addr_b32 v[20:21], v16 offset0:2 offset1:3
	s_wait_dscnt 0x1
	v_add_nc_u32_e32 v2, v19, v18
	s_wait_dscnt 0x0
	s_delay_alu instid0(VALU_DEP_1)
	v_add3_u32 v2, v2, v20, v21
	global_atomic_add_u64 v17, v[2:3], s[6:7] scale_offset scope:SCOPE_DEV
	s_branch .LBB1938_153
.LBB1938_156:
	s_mov_b32 s1, 0
.LBB1938_157:
	s_delay_alu instid0(SALU_CYCLE_1)
	s_and_b32 vcc_lo, exec_lo, s1
	s_cbranch_vccz .LBB1938_164
; %bb.158:
	v_mov_b32_e32 v2, 0
	v_cmp_gt_u32_e64 s0, 3, 2
	s_mov_b32 s1, exec_lo
	ds_store_2addr_stride64_b32 v15, v2, v2 offset1:8
	v_cmpx_gt_u32_e64 3, 1
; %bb.159:
	ds_store_b32 v15, v2 offset:4096
; %bb.160:
	s_or_b32 exec_lo, exec_lo, s1
	s_and_saveexec_b32 s1, s0
; %bb.161:
	v_mov_b32_e32 v2, 0
	ds_store_b32 v15, v2 offset:6144
; %bb.162:
	s_or_b32 exec_lo, exec_lo, s1
	s_wait_loadcnt 0xb
	v_cmp_gt_i16_e32 vcc_lo, 0, v12
	s_wait_storecnt 0x0
	s_wait_loadcnt_dscnt 0x0
	s_barrier_signal -1
	s_barrier_wait -1
	v_cndmask_b32_e64 v2, 0x7fff, 0, vcc_lo
	v_cmp_gt_i16_e32 vcc_lo, 0, v13
	s_mov_b32 s0, exec_lo
	s_delay_alu instid0(VALU_DEP_2) | instskip(SKIP_2) | instid1(VALU_DEP_2)
	v_xor_b32_e32 v2, v2, v12
	v_cndmask_b32_e64 v3, 0x7fff, 0, vcc_lo
	v_cmp_gt_i16_e32 vcc_lo, 0, v14
	v_xor_b32_e32 v3, v3, v13
	v_cndmask_b32_e64 v15, 0x7fff, 0, vcc_lo
	v_cmp_gt_i16_e32 vcc_lo, 0, v7
	s_delay_alu instid0(VALU_DEP_2) | instskip(SKIP_2) | instid1(VALU_DEP_2)
	v_xor_b32_e32 v12, v15, v14
	v_cndmask_b32_e64 v13, 0x7fff, 0, vcc_lo
	v_cmp_gt_i16_e32 vcc_lo, 0, v8
	v_xor_b32_e32 v7, v13, v7
	v_cndmask_b32_e64 v14, 0x7fff, 0, vcc_lo
	v_cmp_gt_i16_e32 vcc_lo, 0, v9
	;; [unrolled: 7-line block ×3, first 2 shown]
	v_cndmask_b32_e64 v17, 0x7fff, 0, vcc_lo
	v_cmp_gt_i16_e32 vcc_lo, 0, v5
	v_cndmask_b32_e64 v13, 0x7fff, 0, vcc_lo
	v_cmp_gt_i16_e32 vcc_lo, 0, v6
	s_delay_alu instid0(VALU_DEP_2) | instskip(SKIP_2) | instid1(VALU_DEP_2)
	v_xor_b32_e32 v5, v13, v5
	v_and_b32_e32 v13, 3, v0
	v_cndmask_b32_e64 v14, 0x7fff, 0, vcc_lo
	v_lshlrev_b32_e32 v13, 2, v13
	v_cmp_ne_u16_e32 vcc_lo, 0x8000, v2
	s_delay_alu instid0(VALU_DEP_3) | instskip(SKIP_2) | instid1(VALU_DEP_2)
	v_xor_b32_e32 v6, v14, v6
	v_cndmask_b32_e32 v2, 0x7fff, v2, vcc_lo
	v_cmp_gt_i16_e32 vcc_lo, 0, v4
	v_and_b32_e32 v2, 0xffff, v2
	v_cndmask_b32_e64 v15, 0x7fff, 0, vcc_lo
	v_cmp_gt_i16_e32 vcc_lo, 0, v1
	s_delay_alu instid0(VALU_DEP_2) | instskip(SKIP_3) | instid1(VALU_DEP_3)
	v_xor_b32_e32 v4, v15, v4
	v_cndmask_b32_e64 v14, 0x7fff, 0, vcc_lo
	v_lshlrev_b32_e32 v15, 4, v2
	v_cmp_ne_u16_e32 vcc_lo, 0x8000, v3
	v_dual_lshrrev_b32 v2, 4, v2 :: v_dual_bitop2_b32 v1, v14, v1 bitop3:0x14
	s_delay_alu instid0(VALU_DEP_3)
	v_and_or_b32 v14, 0xff0, v15, v13
	v_cndmask_b32_e32 v3, 0x7fff, v3, vcc_lo
	v_mov_b32_e32 v15, 1
	v_cmp_ne_u16_e32 vcc_lo, 0x8000, v12
	v_and_or_b32 v2, 0xff0, v2, v13
	ds_add_u32 v14, v15
	ds_add_u32 v2, v15 offset:4096
	v_and_b32_e32 v3, 0xffff, v3
	v_cndmask_b32_e32 v12, 0x7fff, v12, vcc_lo
	v_cmp_ne_u16_e32 vcc_lo, 0x8000, v7
	s_delay_alu instid0(VALU_DEP_3) | instskip(NEXT) | instid1(VALU_DEP_3)
	v_lshlrev_b32_e32 v2, 4, v3
	v_and_b32_e32 v12, 0xffff, v12
	v_cndmask_b32_e32 v7, 0x7fff, v7, vcc_lo
	v_dual_lshrrev_b32 v3, 4, v3 :: v_dual_bitop2_b32 v10, v16, v10 bitop3:0x14
	v_xor_b32_e32 v11, v17, v11
	v_and_or_b32 v2, 0xff0, v2, v13
	v_dual_lshlrev_b32 v14, 4, v12 :: v_dual_lshrrev_b32 v12, 4, v12
	v_and_b32_e32 v7, 0xffff, v7
	v_cmp_ne_u16_e32 vcc_lo, 0x8000, v8
	v_and_or_b32 v3, 0xff0, v3, v13
	ds_add_u32 v2, v15
	ds_add_u32 v3, v15 offset:4096
	v_and_or_b32 v2, 0xff0, v14, v13
	v_and_or_b32 v3, 0xff0, v12, v13
	v_dual_lshlrev_b32 v12, 4, v7 :: v_dual_lshrrev_b32 v7, 4, v7
	v_cndmask_b32_e32 v8, 0x7fff, v8, vcc_lo
	v_cmp_ne_u16_e32 vcc_lo, 0x8000, v9
	ds_add_u32 v2, v15
	ds_add_u32 v3, v15 offset:4096
	v_and_or_b32 v2, 0xff0, v12, v13
	v_and_or_b32 v3, 0xff0, v7, v13
	v_and_b32_e32 v7, 0xffff, v8
	v_cndmask_b32_e32 v8, 0x7fff, v9, vcc_lo
	ds_add_u32 v2, v15
	ds_add_u32 v3, v15 offset:4096
	v_cmp_ne_u16_e32 vcc_lo, 0x8000, v10
	v_dual_lshlrev_b32 v2, 4, v7 :: v_dual_lshrrev_b32 v3, 4, v7
	v_and_b32_e32 v7, 0xffff, v8
	v_cndmask_b32_e32 v8, 0x7fff, v10, vcc_lo
	s_delay_alu instid0(VALU_DEP_3) | instskip(SKIP_1) | instid1(VALU_DEP_4)
	v_and_or_b32 v2, 0xff0, v2, v13
	v_cmp_ne_u16_e32 vcc_lo, 0x8000, v11
	v_lshlrev_b32_e32 v9, 4, v7
	v_and_or_b32 v3, 0xff0, v3, v13
	v_lshrrev_b32_e32 v7, 4, v7
	v_and_b32_e32 v8, 0xffff, v8
	ds_add_u32 v2, v15
	ds_add_u32 v3, v15 offset:4096
	v_and_or_b32 v2, 0xff0, v9, v13
	v_cndmask_b32_e32 v9, 0x7fff, v11, vcc_lo
	v_cmp_ne_u16_e32 vcc_lo, 0x8000, v5
	v_and_or_b32 v3, 0xff0, v7, v13
	ds_add_u32 v2, v15
	ds_add_u32 v3, v15 offset:4096
	v_cndmask_b32_e32 v5, 0x7fff, v5, vcc_lo
	v_cmp_ne_u16_e32 vcc_lo, 0x8000, v6
	v_dual_lshlrev_b32 v7, 4, v8 :: v_dual_lshrrev_b32 v8, 4, v8
	v_cndmask_b32_e32 v6, 0x7fff, v6, vcc_lo
	s_delay_alu instid0(VALU_DEP_2) | instskip(SKIP_1) | instid1(VALU_DEP_4)
	v_and_or_b32 v2, 0xff0, v7, v13
	v_and_b32_e32 v7, 0xffff, v9
	v_and_or_b32 v3, 0xff0, v8, v13
	ds_add_u32 v2, v15
	ds_add_u32 v3, v15 offset:4096
	v_lshlrev_b32_e32 v2, 4, v7
	v_and_b32_e32 v5, 0xffff, v5
	v_lshrrev_b32_e32 v3, 4, v7
	v_cmp_ne_u16_e32 vcc_lo, 0x8000, v4
	v_and_b32_e32 v6, 0xffff, v6
	v_and_or_b32 v2, 0xff0, v2, v13
	v_lshlrev_b32_e32 v7, 4, v5
	v_and_or_b32 v3, 0xff0, v3, v13
	v_dual_cndmask_b32 v4, 0x7fff, v4 :: v_dual_lshrrev_b32 v5, 4, v5
	v_cmp_ne_u16_e32 vcc_lo, 0x8000, v1
	ds_add_u32 v2, v15
	ds_add_u32 v3, v15 offset:4096
	v_and_or_b32 v2, 0xff0, v7, v13
	v_and_or_b32 v3, 0xff0, v5, v13
	v_lshlrev_b32_e32 v5, 4, v6
	v_cndmask_b32_e32 v1, 0x7fff, v1, vcc_lo
	ds_add_u32 v2, v15
	ds_add_u32 v3, v15 offset:4096
	v_lshrrev_b32_e32 v3, 4, v6
	v_and_b32_e32 v2, 0xffff, v4
	v_and_or_b32 v5, 0xff0, v5, v13
	v_and_b32_e32 v1, 0xffff, v1
	s_delay_alu instid0(VALU_DEP_4) | instskip(NEXT) | instid1(VALU_DEP_4)
	v_and_or_b32 v3, 0xff0, v3, v13
	v_dual_lshlrev_b32 v4, 4, v2 :: v_dual_lshrrev_b32 v2, 4, v2
	ds_add_u32 v5, v15
	v_dual_lshlrev_b32 v5, 4, v1 :: v_dual_lshrrev_b32 v1, 4, v1
	v_and_or_b32 v4, 0xff0, v4, v13
	v_and_or_b32 v2, 0xff0, v2, v13
	s_delay_alu instid0(VALU_DEP_3) | instskip(NEXT) | instid1(VALU_DEP_4)
	v_and_or_b32 v5, 0xff0, v5, v13
	v_and_or_b32 v1, 0xff0, v1, v13
	ds_add_u32 v3, v15 offset:4096
	ds_add_u32 v4, v15
	ds_add_u32 v2, v15 offset:4096
	ds_add_u32 v5, v15
	ds_add_u32 v1, v15 offset:4096
	s_wait_dscnt 0x0
	s_barrier_signal -1
	s_barrier_wait -1
	v_cmpx_gt_u32_e32 0x100, v0
	s_cbranch_execz .LBB1938_164
; %bb.163:
	v_lshlrev_b32_e32 v1, 4, v0
	ds_load_2addr_b32 v[2:3], v1 offset1:1
	ds_load_2addr_b32 v[4:5], v1 offset0:2 offset1:3
	s_wait_dscnt 0x1
	v_dual_mov_b32 v3, 0 :: v_dual_add_nc_u32 v2, v3, v2
	s_wait_dscnt 0x0
	s_delay_alu instid0(VALU_DEP_1)
	v_add3_u32 v2, v2, v4, v5
	v_add_nc_u32_e32 v4, 0x1000, v1
	v_add_nc_u32_e32 v1, 0x1008, v1
	global_atomic_add_u64 v0, v[2:3], s[6:7] scale_offset scope:SCOPE_DEV
	ds_load_2addr_b32 v[4:5], v4 offset1:1
	ds_load_2addr_b32 v[6:7], v1 offset1:1
	s_wait_dscnt 0x1
	v_add_nc_u32_e32 v1, v5, v4
	s_wait_dscnt 0x0
	s_wait_xcnt 0x0
	s_delay_alu instid0(VALU_DEP_1)
	v_add3_u32 v2, v1, v6, v7
	global_atomic_add_u64 v0, v[2:3], s[6:7] offset:2048 scale_offset scope:SCOPE_DEV
.LBB1938_164:
	s_endpgm
	.section	.rodata,"a",@progbits
	.p2align	6, 0x0
	.amdhsa_kernel _ZN7rocprim17ROCPRIM_400000_NS6detail17trampoline_kernelINS0_14default_configENS1_35radix_sort_onesweep_config_selectorI12hip_bfloat16NS0_10empty_typeEEEZNS1_34radix_sort_onesweep_global_offsetsIS3_Lb1EPKS5_PS6_mNS0_19identity_decomposerEEE10hipError_tT1_T2_PT3_SG_jT4_jjP12ihipStream_tbEUlT_E_NS1_11comp_targetILNS1_3genE0ELNS1_11target_archE4294967295ELNS1_3gpuE0ELNS1_3repE0EEENS1_52radix_sort_onesweep_histogram_config_static_selectorELNS0_4arch9wavefront6targetE0EEEvSE_
		.amdhsa_group_segment_fixed_size 8192
		.amdhsa_private_segment_fixed_size 0
		.amdhsa_kernarg_size 48
		.amdhsa_user_sgpr_count 2
		.amdhsa_user_sgpr_dispatch_ptr 0
		.amdhsa_user_sgpr_queue_ptr 0
		.amdhsa_user_sgpr_kernarg_segment_ptr 1
		.amdhsa_user_sgpr_dispatch_id 0
		.amdhsa_user_sgpr_kernarg_preload_length 0
		.amdhsa_user_sgpr_kernarg_preload_offset 0
		.amdhsa_user_sgpr_private_segment_size 0
		.amdhsa_wavefront_size32 1
		.amdhsa_uses_dynamic_stack 0
		.amdhsa_enable_private_segment 0
		.amdhsa_system_sgpr_workgroup_id_x 1
		.amdhsa_system_sgpr_workgroup_id_y 0
		.amdhsa_system_sgpr_workgroup_id_z 0
		.amdhsa_system_sgpr_workgroup_info 0
		.amdhsa_system_vgpr_workitem_id 0
		.amdhsa_next_free_vgpr 28
		.amdhsa_next_free_sgpr 13
		.amdhsa_named_barrier_count 0
		.amdhsa_reserve_vcc 1
		.amdhsa_float_round_mode_32 0
		.amdhsa_float_round_mode_16_64 0
		.amdhsa_float_denorm_mode_32 3
		.amdhsa_float_denorm_mode_16_64 3
		.amdhsa_fp16_overflow 0
		.amdhsa_memory_ordered 1
		.amdhsa_forward_progress 1
		.amdhsa_inst_pref_size 68
		.amdhsa_round_robin_scheduling 0
		.amdhsa_exception_fp_ieee_invalid_op 0
		.amdhsa_exception_fp_denorm_src 0
		.amdhsa_exception_fp_ieee_div_zero 0
		.amdhsa_exception_fp_ieee_overflow 0
		.amdhsa_exception_fp_ieee_underflow 0
		.amdhsa_exception_fp_ieee_inexact 0
		.amdhsa_exception_int_div_zero 0
	.end_amdhsa_kernel
	.section	.text._ZN7rocprim17ROCPRIM_400000_NS6detail17trampoline_kernelINS0_14default_configENS1_35radix_sort_onesweep_config_selectorI12hip_bfloat16NS0_10empty_typeEEEZNS1_34radix_sort_onesweep_global_offsetsIS3_Lb1EPKS5_PS6_mNS0_19identity_decomposerEEE10hipError_tT1_T2_PT3_SG_jT4_jjP12ihipStream_tbEUlT_E_NS1_11comp_targetILNS1_3genE0ELNS1_11target_archE4294967295ELNS1_3gpuE0ELNS1_3repE0EEENS1_52radix_sort_onesweep_histogram_config_static_selectorELNS0_4arch9wavefront6targetE0EEEvSE_,"axG",@progbits,_ZN7rocprim17ROCPRIM_400000_NS6detail17trampoline_kernelINS0_14default_configENS1_35radix_sort_onesweep_config_selectorI12hip_bfloat16NS0_10empty_typeEEEZNS1_34radix_sort_onesweep_global_offsetsIS3_Lb1EPKS5_PS6_mNS0_19identity_decomposerEEE10hipError_tT1_T2_PT3_SG_jT4_jjP12ihipStream_tbEUlT_E_NS1_11comp_targetILNS1_3genE0ELNS1_11target_archE4294967295ELNS1_3gpuE0ELNS1_3repE0EEENS1_52radix_sort_onesweep_histogram_config_static_selectorELNS0_4arch9wavefront6targetE0EEEvSE_,comdat
.Lfunc_end1938:
	.size	_ZN7rocprim17ROCPRIM_400000_NS6detail17trampoline_kernelINS0_14default_configENS1_35radix_sort_onesweep_config_selectorI12hip_bfloat16NS0_10empty_typeEEEZNS1_34radix_sort_onesweep_global_offsetsIS3_Lb1EPKS5_PS6_mNS0_19identity_decomposerEEE10hipError_tT1_T2_PT3_SG_jT4_jjP12ihipStream_tbEUlT_E_NS1_11comp_targetILNS1_3genE0ELNS1_11target_archE4294967295ELNS1_3gpuE0ELNS1_3repE0EEENS1_52radix_sort_onesweep_histogram_config_static_selectorELNS0_4arch9wavefront6targetE0EEEvSE_, .Lfunc_end1938-_ZN7rocprim17ROCPRIM_400000_NS6detail17trampoline_kernelINS0_14default_configENS1_35radix_sort_onesweep_config_selectorI12hip_bfloat16NS0_10empty_typeEEEZNS1_34radix_sort_onesweep_global_offsetsIS3_Lb1EPKS5_PS6_mNS0_19identity_decomposerEEE10hipError_tT1_T2_PT3_SG_jT4_jjP12ihipStream_tbEUlT_E_NS1_11comp_targetILNS1_3genE0ELNS1_11target_archE4294967295ELNS1_3gpuE0ELNS1_3repE0EEENS1_52radix_sort_onesweep_histogram_config_static_selectorELNS0_4arch9wavefront6targetE0EEEvSE_
                                        ; -- End function
	.set _ZN7rocprim17ROCPRIM_400000_NS6detail17trampoline_kernelINS0_14default_configENS1_35radix_sort_onesweep_config_selectorI12hip_bfloat16NS0_10empty_typeEEEZNS1_34radix_sort_onesweep_global_offsetsIS3_Lb1EPKS5_PS6_mNS0_19identity_decomposerEEE10hipError_tT1_T2_PT3_SG_jT4_jjP12ihipStream_tbEUlT_E_NS1_11comp_targetILNS1_3genE0ELNS1_11target_archE4294967295ELNS1_3gpuE0ELNS1_3repE0EEENS1_52radix_sort_onesweep_histogram_config_static_selectorELNS0_4arch9wavefront6targetE0EEEvSE_.num_vgpr, 28
	.set _ZN7rocprim17ROCPRIM_400000_NS6detail17trampoline_kernelINS0_14default_configENS1_35radix_sort_onesweep_config_selectorI12hip_bfloat16NS0_10empty_typeEEEZNS1_34radix_sort_onesweep_global_offsetsIS3_Lb1EPKS5_PS6_mNS0_19identity_decomposerEEE10hipError_tT1_T2_PT3_SG_jT4_jjP12ihipStream_tbEUlT_E_NS1_11comp_targetILNS1_3genE0ELNS1_11target_archE4294967295ELNS1_3gpuE0ELNS1_3repE0EEENS1_52radix_sort_onesweep_histogram_config_static_selectorELNS0_4arch9wavefront6targetE0EEEvSE_.num_agpr, 0
	.set _ZN7rocprim17ROCPRIM_400000_NS6detail17trampoline_kernelINS0_14default_configENS1_35radix_sort_onesweep_config_selectorI12hip_bfloat16NS0_10empty_typeEEEZNS1_34radix_sort_onesweep_global_offsetsIS3_Lb1EPKS5_PS6_mNS0_19identity_decomposerEEE10hipError_tT1_T2_PT3_SG_jT4_jjP12ihipStream_tbEUlT_E_NS1_11comp_targetILNS1_3genE0ELNS1_11target_archE4294967295ELNS1_3gpuE0ELNS1_3repE0EEENS1_52radix_sort_onesweep_histogram_config_static_selectorELNS0_4arch9wavefront6targetE0EEEvSE_.numbered_sgpr, 13
	.set _ZN7rocprim17ROCPRIM_400000_NS6detail17trampoline_kernelINS0_14default_configENS1_35radix_sort_onesweep_config_selectorI12hip_bfloat16NS0_10empty_typeEEEZNS1_34radix_sort_onesweep_global_offsetsIS3_Lb1EPKS5_PS6_mNS0_19identity_decomposerEEE10hipError_tT1_T2_PT3_SG_jT4_jjP12ihipStream_tbEUlT_E_NS1_11comp_targetILNS1_3genE0ELNS1_11target_archE4294967295ELNS1_3gpuE0ELNS1_3repE0EEENS1_52radix_sort_onesweep_histogram_config_static_selectorELNS0_4arch9wavefront6targetE0EEEvSE_.num_named_barrier, 0
	.set _ZN7rocprim17ROCPRIM_400000_NS6detail17trampoline_kernelINS0_14default_configENS1_35radix_sort_onesweep_config_selectorI12hip_bfloat16NS0_10empty_typeEEEZNS1_34radix_sort_onesweep_global_offsetsIS3_Lb1EPKS5_PS6_mNS0_19identity_decomposerEEE10hipError_tT1_T2_PT3_SG_jT4_jjP12ihipStream_tbEUlT_E_NS1_11comp_targetILNS1_3genE0ELNS1_11target_archE4294967295ELNS1_3gpuE0ELNS1_3repE0EEENS1_52radix_sort_onesweep_histogram_config_static_selectorELNS0_4arch9wavefront6targetE0EEEvSE_.private_seg_size, 0
	.set _ZN7rocprim17ROCPRIM_400000_NS6detail17trampoline_kernelINS0_14default_configENS1_35radix_sort_onesweep_config_selectorI12hip_bfloat16NS0_10empty_typeEEEZNS1_34radix_sort_onesweep_global_offsetsIS3_Lb1EPKS5_PS6_mNS0_19identity_decomposerEEE10hipError_tT1_T2_PT3_SG_jT4_jjP12ihipStream_tbEUlT_E_NS1_11comp_targetILNS1_3genE0ELNS1_11target_archE4294967295ELNS1_3gpuE0ELNS1_3repE0EEENS1_52radix_sort_onesweep_histogram_config_static_selectorELNS0_4arch9wavefront6targetE0EEEvSE_.uses_vcc, 1
	.set _ZN7rocprim17ROCPRIM_400000_NS6detail17trampoline_kernelINS0_14default_configENS1_35radix_sort_onesweep_config_selectorI12hip_bfloat16NS0_10empty_typeEEEZNS1_34radix_sort_onesweep_global_offsetsIS3_Lb1EPKS5_PS6_mNS0_19identity_decomposerEEE10hipError_tT1_T2_PT3_SG_jT4_jjP12ihipStream_tbEUlT_E_NS1_11comp_targetILNS1_3genE0ELNS1_11target_archE4294967295ELNS1_3gpuE0ELNS1_3repE0EEENS1_52radix_sort_onesweep_histogram_config_static_selectorELNS0_4arch9wavefront6targetE0EEEvSE_.uses_flat_scratch, 0
	.set _ZN7rocprim17ROCPRIM_400000_NS6detail17trampoline_kernelINS0_14default_configENS1_35radix_sort_onesweep_config_selectorI12hip_bfloat16NS0_10empty_typeEEEZNS1_34radix_sort_onesweep_global_offsetsIS3_Lb1EPKS5_PS6_mNS0_19identity_decomposerEEE10hipError_tT1_T2_PT3_SG_jT4_jjP12ihipStream_tbEUlT_E_NS1_11comp_targetILNS1_3genE0ELNS1_11target_archE4294967295ELNS1_3gpuE0ELNS1_3repE0EEENS1_52radix_sort_onesweep_histogram_config_static_selectorELNS0_4arch9wavefront6targetE0EEEvSE_.has_dyn_sized_stack, 0
	.set _ZN7rocprim17ROCPRIM_400000_NS6detail17trampoline_kernelINS0_14default_configENS1_35radix_sort_onesweep_config_selectorI12hip_bfloat16NS0_10empty_typeEEEZNS1_34radix_sort_onesweep_global_offsetsIS3_Lb1EPKS5_PS6_mNS0_19identity_decomposerEEE10hipError_tT1_T2_PT3_SG_jT4_jjP12ihipStream_tbEUlT_E_NS1_11comp_targetILNS1_3genE0ELNS1_11target_archE4294967295ELNS1_3gpuE0ELNS1_3repE0EEENS1_52radix_sort_onesweep_histogram_config_static_selectorELNS0_4arch9wavefront6targetE0EEEvSE_.has_recursion, 0
	.set _ZN7rocprim17ROCPRIM_400000_NS6detail17trampoline_kernelINS0_14default_configENS1_35radix_sort_onesweep_config_selectorI12hip_bfloat16NS0_10empty_typeEEEZNS1_34radix_sort_onesweep_global_offsetsIS3_Lb1EPKS5_PS6_mNS0_19identity_decomposerEEE10hipError_tT1_T2_PT3_SG_jT4_jjP12ihipStream_tbEUlT_E_NS1_11comp_targetILNS1_3genE0ELNS1_11target_archE4294967295ELNS1_3gpuE0ELNS1_3repE0EEENS1_52radix_sort_onesweep_histogram_config_static_selectorELNS0_4arch9wavefront6targetE0EEEvSE_.has_indirect_call, 0
	.section	.AMDGPU.csdata,"",@progbits
; Kernel info:
; codeLenInByte = 8668
; TotalNumSgprs: 15
; NumVgprs: 28
; ScratchSize: 0
; MemoryBound: 0
; FloatMode: 240
; IeeeMode: 1
; LDSByteSize: 8192 bytes/workgroup (compile time only)
; SGPRBlocks: 0
; VGPRBlocks: 1
; NumSGPRsForWavesPerEU: 15
; NumVGPRsForWavesPerEU: 28
; NamedBarCnt: 0
; Occupancy: 16
; WaveLimiterHint : 1
; COMPUTE_PGM_RSRC2:SCRATCH_EN: 0
; COMPUTE_PGM_RSRC2:USER_SGPR: 2
; COMPUTE_PGM_RSRC2:TRAP_HANDLER: 0
; COMPUTE_PGM_RSRC2:TGID_X_EN: 1
; COMPUTE_PGM_RSRC2:TGID_Y_EN: 0
; COMPUTE_PGM_RSRC2:TGID_Z_EN: 0
; COMPUTE_PGM_RSRC2:TIDIG_COMP_CNT: 0
	.section	.text._ZN7rocprim17ROCPRIM_400000_NS6detail17trampoline_kernelINS0_14default_configENS1_35radix_sort_onesweep_config_selectorI12hip_bfloat16NS0_10empty_typeEEEZNS1_34radix_sort_onesweep_global_offsetsIS3_Lb1EPKS5_PS6_mNS0_19identity_decomposerEEE10hipError_tT1_T2_PT3_SG_jT4_jjP12ihipStream_tbEUlT_E_NS1_11comp_targetILNS1_3genE6ELNS1_11target_archE950ELNS1_3gpuE13ELNS1_3repE0EEENS1_52radix_sort_onesweep_histogram_config_static_selectorELNS0_4arch9wavefront6targetE0EEEvSE_,"axG",@progbits,_ZN7rocprim17ROCPRIM_400000_NS6detail17trampoline_kernelINS0_14default_configENS1_35radix_sort_onesweep_config_selectorI12hip_bfloat16NS0_10empty_typeEEEZNS1_34radix_sort_onesweep_global_offsetsIS3_Lb1EPKS5_PS6_mNS0_19identity_decomposerEEE10hipError_tT1_T2_PT3_SG_jT4_jjP12ihipStream_tbEUlT_E_NS1_11comp_targetILNS1_3genE6ELNS1_11target_archE950ELNS1_3gpuE13ELNS1_3repE0EEENS1_52radix_sort_onesweep_histogram_config_static_selectorELNS0_4arch9wavefront6targetE0EEEvSE_,comdat
	.protected	_ZN7rocprim17ROCPRIM_400000_NS6detail17trampoline_kernelINS0_14default_configENS1_35radix_sort_onesweep_config_selectorI12hip_bfloat16NS0_10empty_typeEEEZNS1_34radix_sort_onesweep_global_offsetsIS3_Lb1EPKS5_PS6_mNS0_19identity_decomposerEEE10hipError_tT1_T2_PT3_SG_jT4_jjP12ihipStream_tbEUlT_E_NS1_11comp_targetILNS1_3genE6ELNS1_11target_archE950ELNS1_3gpuE13ELNS1_3repE0EEENS1_52radix_sort_onesweep_histogram_config_static_selectorELNS0_4arch9wavefront6targetE0EEEvSE_ ; -- Begin function _ZN7rocprim17ROCPRIM_400000_NS6detail17trampoline_kernelINS0_14default_configENS1_35radix_sort_onesweep_config_selectorI12hip_bfloat16NS0_10empty_typeEEEZNS1_34radix_sort_onesweep_global_offsetsIS3_Lb1EPKS5_PS6_mNS0_19identity_decomposerEEE10hipError_tT1_T2_PT3_SG_jT4_jjP12ihipStream_tbEUlT_E_NS1_11comp_targetILNS1_3genE6ELNS1_11target_archE950ELNS1_3gpuE13ELNS1_3repE0EEENS1_52radix_sort_onesweep_histogram_config_static_selectorELNS0_4arch9wavefront6targetE0EEEvSE_
	.globl	_ZN7rocprim17ROCPRIM_400000_NS6detail17trampoline_kernelINS0_14default_configENS1_35radix_sort_onesweep_config_selectorI12hip_bfloat16NS0_10empty_typeEEEZNS1_34radix_sort_onesweep_global_offsetsIS3_Lb1EPKS5_PS6_mNS0_19identity_decomposerEEE10hipError_tT1_T2_PT3_SG_jT4_jjP12ihipStream_tbEUlT_E_NS1_11comp_targetILNS1_3genE6ELNS1_11target_archE950ELNS1_3gpuE13ELNS1_3repE0EEENS1_52radix_sort_onesweep_histogram_config_static_selectorELNS0_4arch9wavefront6targetE0EEEvSE_
	.p2align	8
	.type	_ZN7rocprim17ROCPRIM_400000_NS6detail17trampoline_kernelINS0_14default_configENS1_35radix_sort_onesweep_config_selectorI12hip_bfloat16NS0_10empty_typeEEEZNS1_34radix_sort_onesweep_global_offsetsIS3_Lb1EPKS5_PS6_mNS0_19identity_decomposerEEE10hipError_tT1_T2_PT3_SG_jT4_jjP12ihipStream_tbEUlT_E_NS1_11comp_targetILNS1_3genE6ELNS1_11target_archE950ELNS1_3gpuE13ELNS1_3repE0EEENS1_52radix_sort_onesweep_histogram_config_static_selectorELNS0_4arch9wavefront6targetE0EEEvSE_,@function
_ZN7rocprim17ROCPRIM_400000_NS6detail17trampoline_kernelINS0_14default_configENS1_35radix_sort_onesweep_config_selectorI12hip_bfloat16NS0_10empty_typeEEEZNS1_34radix_sort_onesweep_global_offsetsIS3_Lb1EPKS5_PS6_mNS0_19identity_decomposerEEE10hipError_tT1_T2_PT3_SG_jT4_jjP12ihipStream_tbEUlT_E_NS1_11comp_targetILNS1_3genE6ELNS1_11target_archE950ELNS1_3gpuE13ELNS1_3repE0EEENS1_52radix_sort_onesweep_histogram_config_static_selectorELNS0_4arch9wavefront6targetE0EEEvSE_: ; @_ZN7rocprim17ROCPRIM_400000_NS6detail17trampoline_kernelINS0_14default_configENS1_35radix_sort_onesweep_config_selectorI12hip_bfloat16NS0_10empty_typeEEEZNS1_34radix_sort_onesweep_global_offsetsIS3_Lb1EPKS5_PS6_mNS0_19identity_decomposerEEE10hipError_tT1_T2_PT3_SG_jT4_jjP12ihipStream_tbEUlT_E_NS1_11comp_targetILNS1_3genE6ELNS1_11target_archE950ELNS1_3gpuE13ELNS1_3repE0EEENS1_52radix_sort_onesweep_histogram_config_static_selectorELNS0_4arch9wavefront6targetE0EEEvSE_
; %bb.0:
	.section	.rodata,"a",@progbits
	.p2align	6, 0x0
	.amdhsa_kernel _ZN7rocprim17ROCPRIM_400000_NS6detail17trampoline_kernelINS0_14default_configENS1_35radix_sort_onesweep_config_selectorI12hip_bfloat16NS0_10empty_typeEEEZNS1_34radix_sort_onesweep_global_offsetsIS3_Lb1EPKS5_PS6_mNS0_19identity_decomposerEEE10hipError_tT1_T2_PT3_SG_jT4_jjP12ihipStream_tbEUlT_E_NS1_11comp_targetILNS1_3genE6ELNS1_11target_archE950ELNS1_3gpuE13ELNS1_3repE0EEENS1_52radix_sort_onesweep_histogram_config_static_selectorELNS0_4arch9wavefront6targetE0EEEvSE_
		.amdhsa_group_segment_fixed_size 0
		.amdhsa_private_segment_fixed_size 0
		.amdhsa_kernarg_size 48
		.amdhsa_user_sgpr_count 2
		.amdhsa_user_sgpr_dispatch_ptr 0
		.amdhsa_user_sgpr_queue_ptr 0
		.amdhsa_user_sgpr_kernarg_segment_ptr 1
		.amdhsa_user_sgpr_dispatch_id 0
		.amdhsa_user_sgpr_kernarg_preload_length 0
		.amdhsa_user_sgpr_kernarg_preload_offset 0
		.amdhsa_user_sgpr_private_segment_size 0
		.amdhsa_wavefront_size32 1
		.amdhsa_uses_dynamic_stack 0
		.amdhsa_enable_private_segment 0
		.amdhsa_system_sgpr_workgroup_id_x 1
		.amdhsa_system_sgpr_workgroup_id_y 0
		.amdhsa_system_sgpr_workgroup_id_z 0
		.amdhsa_system_sgpr_workgroup_info 0
		.amdhsa_system_vgpr_workitem_id 0
		.amdhsa_next_free_vgpr 1
		.amdhsa_next_free_sgpr 1
		.amdhsa_named_barrier_count 0
		.amdhsa_reserve_vcc 0
		.amdhsa_float_round_mode_32 0
		.amdhsa_float_round_mode_16_64 0
		.amdhsa_float_denorm_mode_32 3
		.amdhsa_float_denorm_mode_16_64 3
		.amdhsa_fp16_overflow 0
		.amdhsa_memory_ordered 1
		.amdhsa_forward_progress 1
		.amdhsa_inst_pref_size 0
		.amdhsa_round_robin_scheduling 0
		.amdhsa_exception_fp_ieee_invalid_op 0
		.amdhsa_exception_fp_denorm_src 0
		.amdhsa_exception_fp_ieee_div_zero 0
		.amdhsa_exception_fp_ieee_overflow 0
		.amdhsa_exception_fp_ieee_underflow 0
		.amdhsa_exception_fp_ieee_inexact 0
		.amdhsa_exception_int_div_zero 0
	.end_amdhsa_kernel
	.section	.text._ZN7rocprim17ROCPRIM_400000_NS6detail17trampoline_kernelINS0_14default_configENS1_35radix_sort_onesweep_config_selectorI12hip_bfloat16NS0_10empty_typeEEEZNS1_34radix_sort_onesweep_global_offsetsIS3_Lb1EPKS5_PS6_mNS0_19identity_decomposerEEE10hipError_tT1_T2_PT3_SG_jT4_jjP12ihipStream_tbEUlT_E_NS1_11comp_targetILNS1_3genE6ELNS1_11target_archE950ELNS1_3gpuE13ELNS1_3repE0EEENS1_52radix_sort_onesweep_histogram_config_static_selectorELNS0_4arch9wavefront6targetE0EEEvSE_,"axG",@progbits,_ZN7rocprim17ROCPRIM_400000_NS6detail17trampoline_kernelINS0_14default_configENS1_35radix_sort_onesweep_config_selectorI12hip_bfloat16NS0_10empty_typeEEEZNS1_34radix_sort_onesweep_global_offsetsIS3_Lb1EPKS5_PS6_mNS0_19identity_decomposerEEE10hipError_tT1_T2_PT3_SG_jT4_jjP12ihipStream_tbEUlT_E_NS1_11comp_targetILNS1_3genE6ELNS1_11target_archE950ELNS1_3gpuE13ELNS1_3repE0EEENS1_52radix_sort_onesweep_histogram_config_static_selectorELNS0_4arch9wavefront6targetE0EEEvSE_,comdat
.Lfunc_end1939:
	.size	_ZN7rocprim17ROCPRIM_400000_NS6detail17trampoline_kernelINS0_14default_configENS1_35radix_sort_onesweep_config_selectorI12hip_bfloat16NS0_10empty_typeEEEZNS1_34radix_sort_onesweep_global_offsetsIS3_Lb1EPKS5_PS6_mNS0_19identity_decomposerEEE10hipError_tT1_T2_PT3_SG_jT4_jjP12ihipStream_tbEUlT_E_NS1_11comp_targetILNS1_3genE6ELNS1_11target_archE950ELNS1_3gpuE13ELNS1_3repE0EEENS1_52radix_sort_onesweep_histogram_config_static_selectorELNS0_4arch9wavefront6targetE0EEEvSE_, .Lfunc_end1939-_ZN7rocprim17ROCPRIM_400000_NS6detail17trampoline_kernelINS0_14default_configENS1_35radix_sort_onesweep_config_selectorI12hip_bfloat16NS0_10empty_typeEEEZNS1_34radix_sort_onesweep_global_offsetsIS3_Lb1EPKS5_PS6_mNS0_19identity_decomposerEEE10hipError_tT1_T2_PT3_SG_jT4_jjP12ihipStream_tbEUlT_E_NS1_11comp_targetILNS1_3genE6ELNS1_11target_archE950ELNS1_3gpuE13ELNS1_3repE0EEENS1_52radix_sort_onesweep_histogram_config_static_selectorELNS0_4arch9wavefront6targetE0EEEvSE_
                                        ; -- End function
	.set _ZN7rocprim17ROCPRIM_400000_NS6detail17trampoline_kernelINS0_14default_configENS1_35radix_sort_onesweep_config_selectorI12hip_bfloat16NS0_10empty_typeEEEZNS1_34radix_sort_onesweep_global_offsetsIS3_Lb1EPKS5_PS6_mNS0_19identity_decomposerEEE10hipError_tT1_T2_PT3_SG_jT4_jjP12ihipStream_tbEUlT_E_NS1_11comp_targetILNS1_3genE6ELNS1_11target_archE950ELNS1_3gpuE13ELNS1_3repE0EEENS1_52radix_sort_onesweep_histogram_config_static_selectorELNS0_4arch9wavefront6targetE0EEEvSE_.num_vgpr, 0
	.set _ZN7rocprim17ROCPRIM_400000_NS6detail17trampoline_kernelINS0_14default_configENS1_35radix_sort_onesweep_config_selectorI12hip_bfloat16NS0_10empty_typeEEEZNS1_34radix_sort_onesweep_global_offsetsIS3_Lb1EPKS5_PS6_mNS0_19identity_decomposerEEE10hipError_tT1_T2_PT3_SG_jT4_jjP12ihipStream_tbEUlT_E_NS1_11comp_targetILNS1_3genE6ELNS1_11target_archE950ELNS1_3gpuE13ELNS1_3repE0EEENS1_52radix_sort_onesweep_histogram_config_static_selectorELNS0_4arch9wavefront6targetE0EEEvSE_.num_agpr, 0
	.set _ZN7rocprim17ROCPRIM_400000_NS6detail17trampoline_kernelINS0_14default_configENS1_35radix_sort_onesweep_config_selectorI12hip_bfloat16NS0_10empty_typeEEEZNS1_34radix_sort_onesweep_global_offsetsIS3_Lb1EPKS5_PS6_mNS0_19identity_decomposerEEE10hipError_tT1_T2_PT3_SG_jT4_jjP12ihipStream_tbEUlT_E_NS1_11comp_targetILNS1_3genE6ELNS1_11target_archE950ELNS1_3gpuE13ELNS1_3repE0EEENS1_52radix_sort_onesweep_histogram_config_static_selectorELNS0_4arch9wavefront6targetE0EEEvSE_.numbered_sgpr, 0
	.set _ZN7rocprim17ROCPRIM_400000_NS6detail17trampoline_kernelINS0_14default_configENS1_35radix_sort_onesweep_config_selectorI12hip_bfloat16NS0_10empty_typeEEEZNS1_34radix_sort_onesweep_global_offsetsIS3_Lb1EPKS5_PS6_mNS0_19identity_decomposerEEE10hipError_tT1_T2_PT3_SG_jT4_jjP12ihipStream_tbEUlT_E_NS1_11comp_targetILNS1_3genE6ELNS1_11target_archE950ELNS1_3gpuE13ELNS1_3repE0EEENS1_52radix_sort_onesweep_histogram_config_static_selectorELNS0_4arch9wavefront6targetE0EEEvSE_.num_named_barrier, 0
	.set _ZN7rocprim17ROCPRIM_400000_NS6detail17trampoline_kernelINS0_14default_configENS1_35radix_sort_onesweep_config_selectorI12hip_bfloat16NS0_10empty_typeEEEZNS1_34radix_sort_onesweep_global_offsetsIS3_Lb1EPKS5_PS6_mNS0_19identity_decomposerEEE10hipError_tT1_T2_PT3_SG_jT4_jjP12ihipStream_tbEUlT_E_NS1_11comp_targetILNS1_3genE6ELNS1_11target_archE950ELNS1_3gpuE13ELNS1_3repE0EEENS1_52radix_sort_onesweep_histogram_config_static_selectorELNS0_4arch9wavefront6targetE0EEEvSE_.private_seg_size, 0
	.set _ZN7rocprim17ROCPRIM_400000_NS6detail17trampoline_kernelINS0_14default_configENS1_35radix_sort_onesweep_config_selectorI12hip_bfloat16NS0_10empty_typeEEEZNS1_34radix_sort_onesweep_global_offsetsIS3_Lb1EPKS5_PS6_mNS0_19identity_decomposerEEE10hipError_tT1_T2_PT3_SG_jT4_jjP12ihipStream_tbEUlT_E_NS1_11comp_targetILNS1_3genE6ELNS1_11target_archE950ELNS1_3gpuE13ELNS1_3repE0EEENS1_52radix_sort_onesweep_histogram_config_static_selectorELNS0_4arch9wavefront6targetE0EEEvSE_.uses_vcc, 0
	.set _ZN7rocprim17ROCPRIM_400000_NS6detail17trampoline_kernelINS0_14default_configENS1_35radix_sort_onesweep_config_selectorI12hip_bfloat16NS0_10empty_typeEEEZNS1_34radix_sort_onesweep_global_offsetsIS3_Lb1EPKS5_PS6_mNS0_19identity_decomposerEEE10hipError_tT1_T2_PT3_SG_jT4_jjP12ihipStream_tbEUlT_E_NS1_11comp_targetILNS1_3genE6ELNS1_11target_archE950ELNS1_3gpuE13ELNS1_3repE0EEENS1_52radix_sort_onesweep_histogram_config_static_selectorELNS0_4arch9wavefront6targetE0EEEvSE_.uses_flat_scratch, 0
	.set _ZN7rocprim17ROCPRIM_400000_NS6detail17trampoline_kernelINS0_14default_configENS1_35radix_sort_onesweep_config_selectorI12hip_bfloat16NS0_10empty_typeEEEZNS1_34radix_sort_onesweep_global_offsetsIS3_Lb1EPKS5_PS6_mNS0_19identity_decomposerEEE10hipError_tT1_T2_PT3_SG_jT4_jjP12ihipStream_tbEUlT_E_NS1_11comp_targetILNS1_3genE6ELNS1_11target_archE950ELNS1_3gpuE13ELNS1_3repE0EEENS1_52radix_sort_onesweep_histogram_config_static_selectorELNS0_4arch9wavefront6targetE0EEEvSE_.has_dyn_sized_stack, 0
	.set _ZN7rocprim17ROCPRIM_400000_NS6detail17trampoline_kernelINS0_14default_configENS1_35radix_sort_onesweep_config_selectorI12hip_bfloat16NS0_10empty_typeEEEZNS1_34radix_sort_onesweep_global_offsetsIS3_Lb1EPKS5_PS6_mNS0_19identity_decomposerEEE10hipError_tT1_T2_PT3_SG_jT4_jjP12ihipStream_tbEUlT_E_NS1_11comp_targetILNS1_3genE6ELNS1_11target_archE950ELNS1_3gpuE13ELNS1_3repE0EEENS1_52radix_sort_onesweep_histogram_config_static_selectorELNS0_4arch9wavefront6targetE0EEEvSE_.has_recursion, 0
	.set _ZN7rocprim17ROCPRIM_400000_NS6detail17trampoline_kernelINS0_14default_configENS1_35radix_sort_onesweep_config_selectorI12hip_bfloat16NS0_10empty_typeEEEZNS1_34radix_sort_onesweep_global_offsetsIS3_Lb1EPKS5_PS6_mNS0_19identity_decomposerEEE10hipError_tT1_T2_PT3_SG_jT4_jjP12ihipStream_tbEUlT_E_NS1_11comp_targetILNS1_3genE6ELNS1_11target_archE950ELNS1_3gpuE13ELNS1_3repE0EEENS1_52radix_sort_onesweep_histogram_config_static_selectorELNS0_4arch9wavefront6targetE0EEEvSE_.has_indirect_call, 0
	.section	.AMDGPU.csdata,"",@progbits
; Kernel info:
; codeLenInByte = 0
; TotalNumSgprs: 0
; NumVgprs: 0
; ScratchSize: 0
; MemoryBound: 0
; FloatMode: 240
; IeeeMode: 1
; LDSByteSize: 0 bytes/workgroup (compile time only)
; SGPRBlocks: 0
; VGPRBlocks: 0
; NumSGPRsForWavesPerEU: 1
; NumVGPRsForWavesPerEU: 1
; NamedBarCnt: 0
; Occupancy: 16
; WaveLimiterHint : 0
; COMPUTE_PGM_RSRC2:SCRATCH_EN: 0
; COMPUTE_PGM_RSRC2:USER_SGPR: 2
; COMPUTE_PGM_RSRC2:TRAP_HANDLER: 0
; COMPUTE_PGM_RSRC2:TGID_X_EN: 1
; COMPUTE_PGM_RSRC2:TGID_Y_EN: 0
; COMPUTE_PGM_RSRC2:TGID_Z_EN: 0
; COMPUTE_PGM_RSRC2:TIDIG_COMP_CNT: 0
	.section	.text._ZN7rocprim17ROCPRIM_400000_NS6detail17trampoline_kernelINS0_14default_configENS1_35radix_sort_onesweep_config_selectorI12hip_bfloat16NS0_10empty_typeEEEZNS1_34radix_sort_onesweep_global_offsetsIS3_Lb1EPKS5_PS6_mNS0_19identity_decomposerEEE10hipError_tT1_T2_PT3_SG_jT4_jjP12ihipStream_tbEUlT_E_NS1_11comp_targetILNS1_3genE5ELNS1_11target_archE942ELNS1_3gpuE9ELNS1_3repE0EEENS1_52radix_sort_onesweep_histogram_config_static_selectorELNS0_4arch9wavefront6targetE0EEEvSE_,"axG",@progbits,_ZN7rocprim17ROCPRIM_400000_NS6detail17trampoline_kernelINS0_14default_configENS1_35radix_sort_onesweep_config_selectorI12hip_bfloat16NS0_10empty_typeEEEZNS1_34radix_sort_onesweep_global_offsetsIS3_Lb1EPKS5_PS6_mNS0_19identity_decomposerEEE10hipError_tT1_T2_PT3_SG_jT4_jjP12ihipStream_tbEUlT_E_NS1_11comp_targetILNS1_3genE5ELNS1_11target_archE942ELNS1_3gpuE9ELNS1_3repE0EEENS1_52radix_sort_onesweep_histogram_config_static_selectorELNS0_4arch9wavefront6targetE0EEEvSE_,comdat
	.protected	_ZN7rocprim17ROCPRIM_400000_NS6detail17trampoline_kernelINS0_14default_configENS1_35radix_sort_onesweep_config_selectorI12hip_bfloat16NS0_10empty_typeEEEZNS1_34radix_sort_onesweep_global_offsetsIS3_Lb1EPKS5_PS6_mNS0_19identity_decomposerEEE10hipError_tT1_T2_PT3_SG_jT4_jjP12ihipStream_tbEUlT_E_NS1_11comp_targetILNS1_3genE5ELNS1_11target_archE942ELNS1_3gpuE9ELNS1_3repE0EEENS1_52radix_sort_onesweep_histogram_config_static_selectorELNS0_4arch9wavefront6targetE0EEEvSE_ ; -- Begin function _ZN7rocprim17ROCPRIM_400000_NS6detail17trampoline_kernelINS0_14default_configENS1_35radix_sort_onesweep_config_selectorI12hip_bfloat16NS0_10empty_typeEEEZNS1_34radix_sort_onesweep_global_offsetsIS3_Lb1EPKS5_PS6_mNS0_19identity_decomposerEEE10hipError_tT1_T2_PT3_SG_jT4_jjP12ihipStream_tbEUlT_E_NS1_11comp_targetILNS1_3genE5ELNS1_11target_archE942ELNS1_3gpuE9ELNS1_3repE0EEENS1_52radix_sort_onesweep_histogram_config_static_selectorELNS0_4arch9wavefront6targetE0EEEvSE_
	.globl	_ZN7rocprim17ROCPRIM_400000_NS6detail17trampoline_kernelINS0_14default_configENS1_35radix_sort_onesweep_config_selectorI12hip_bfloat16NS0_10empty_typeEEEZNS1_34radix_sort_onesweep_global_offsetsIS3_Lb1EPKS5_PS6_mNS0_19identity_decomposerEEE10hipError_tT1_T2_PT3_SG_jT4_jjP12ihipStream_tbEUlT_E_NS1_11comp_targetILNS1_3genE5ELNS1_11target_archE942ELNS1_3gpuE9ELNS1_3repE0EEENS1_52radix_sort_onesweep_histogram_config_static_selectorELNS0_4arch9wavefront6targetE0EEEvSE_
	.p2align	8
	.type	_ZN7rocprim17ROCPRIM_400000_NS6detail17trampoline_kernelINS0_14default_configENS1_35radix_sort_onesweep_config_selectorI12hip_bfloat16NS0_10empty_typeEEEZNS1_34radix_sort_onesweep_global_offsetsIS3_Lb1EPKS5_PS6_mNS0_19identity_decomposerEEE10hipError_tT1_T2_PT3_SG_jT4_jjP12ihipStream_tbEUlT_E_NS1_11comp_targetILNS1_3genE5ELNS1_11target_archE942ELNS1_3gpuE9ELNS1_3repE0EEENS1_52radix_sort_onesweep_histogram_config_static_selectorELNS0_4arch9wavefront6targetE0EEEvSE_,@function
_ZN7rocprim17ROCPRIM_400000_NS6detail17trampoline_kernelINS0_14default_configENS1_35radix_sort_onesweep_config_selectorI12hip_bfloat16NS0_10empty_typeEEEZNS1_34radix_sort_onesweep_global_offsetsIS3_Lb1EPKS5_PS6_mNS0_19identity_decomposerEEE10hipError_tT1_T2_PT3_SG_jT4_jjP12ihipStream_tbEUlT_E_NS1_11comp_targetILNS1_3genE5ELNS1_11target_archE942ELNS1_3gpuE9ELNS1_3repE0EEENS1_52radix_sort_onesweep_histogram_config_static_selectorELNS0_4arch9wavefront6targetE0EEEvSE_: ; @_ZN7rocprim17ROCPRIM_400000_NS6detail17trampoline_kernelINS0_14default_configENS1_35radix_sort_onesweep_config_selectorI12hip_bfloat16NS0_10empty_typeEEEZNS1_34radix_sort_onesweep_global_offsetsIS3_Lb1EPKS5_PS6_mNS0_19identity_decomposerEEE10hipError_tT1_T2_PT3_SG_jT4_jjP12ihipStream_tbEUlT_E_NS1_11comp_targetILNS1_3genE5ELNS1_11target_archE942ELNS1_3gpuE9ELNS1_3repE0EEENS1_52radix_sort_onesweep_histogram_config_static_selectorELNS0_4arch9wavefront6targetE0EEEvSE_
; %bb.0:
	.section	.rodata,"a",@progbits
	.p2align	6, 0x0
	.amdhsa_kernel _ZN7rocprim17ROCPRIM_400000_NS6detail17trampoline_kernelINS0_14default_configENS1_35radix_sort_onesweep_config_selectorI12hip_bfloat16NS0_10empty_typeEEEZNS1_34radix_sort_onesweep_global_offsetsIS3_Lb1EPKS5_PS6_mNS0_19identity_decomposerEEE10hipError_tT1_T2_PT3_SG_jT4_jjP12ihipStream_tbEUlT_E_NS1_11comp_targetILNS1_3genE5ELNS1_11target_archE942ELNS1_3gpuE9ELNS1_3repE0EEENS1_52radix_sort_onesweep_histogram_config_static_selectorELNS0_4arch9wavefront6targetE0EEEvSE_
		.amdhsa_group_segment_fixed_size 0
		.amdhsa_private_segment_fixed_size 0
		.amdhsa_kernarg_size 48
		.amdhsa_user_sgpr_count 2
		.amdhsa_user_sgpr_dispatch_ptr 0
		.amdhsa_user_sgpr_queue_ptr 0
		.amdhsa_user_sgpr_kernarg_segment_ptr 1
		.amdhsa_user_sgpr_dispatch_id 0
		.amdhsa_user_sgpr_kernarg_preload_length 0
		.amdhsa_user_sgpr_kernarg_preload_offset 0
		.amdhsa_user_sgpr_private_segment_size 0
		.amdhsa_wavefront_size32 1
		.amdhsa_uses_dynamic_stack 0
		.amdhsa_enable_private_segment 0
		.amdhsa_system_sgpr_workgroup_id_x 1
		.amdhsa_system_sgpr_workgroup_id_y 0
		.amdhsa_system_sgpr_workgroup_id_z 0
		.amdhsa_system_sgpr_workgroup_info 0
		.amdhsa_system_vgpr_workitem_id 0
		.amdhsa_next_free_vgpr 1
		.amdhsa_next_free_sgpr 1
		.amdhsa_named_barrier_count 0
		.amdhsa_reserve_vcc 0
		.amdhsa_float_round_mode_32 0
		.amdhsa_float_round_mode_16_64 0
		.amdhsa_float_denorm_mode_32 3
		.amdhsa_float_denorm_mode_16_64 3
		.amdhsa_fp16_overflow 0
		.amdhsa_memory_ordered 1
		.amdhsa_forward_progress 1
		.amdhsa_inst_pref_size 0
		.amdhsa_round_robin_scheduling 0
		.amdhsa_exception_fp_ieee_invalid_op 0
		.amdhsa_exception_fp_denorm_src 0
		.amdhsa_exception_fp_ieee_div_zero 0
		.amdhsa_exception_fp_ieee_overflow 0
		.amdhsa_exception_fp_ieee_underflow 0
		.amdhsa_exception_fp_ieee_inexact 0
		.amdhsa_exception_int_div_zero 0
	.end_amdhsa_kernel
	.section	.text._ZN7rocprim17ROCPRIM_400000_NS6detail17trampoline_kernelINS0_14default_configENS1_35radix_sort_onesweep_config_selectorI12hip_bfloat16NS0_10empty_typeEEEZNS1_34radix_sort_onesweep_global_offsetsIS3_Lb1EPKS5_PS6_mNS0_19identity_decomposerEEE10hipError_tT1_T2_PT3_SG_jT4_jjP12ihipStream_tbEUlT_E_NS1_11comp_targetILNS1_3genE5ELNS1_11target_archE942ELNS1_3gpuE9ELNS1_3repE0EEENS1_52radix_sort_onesweep_histogram_config_static_selectorELNS0_4arch9wavefront6targetE0EEEvSE_,"axG",@progbits,_ZN7rocprim17ROCPRIM_400000_NS6detail17trampoline_kernelINS0_14default_configENS1_35radix_sort_onesweep_config_selectorI12hip_bfloat16NS0_10empty_typeEEEZNS1_34radix_sort_onesweep_global_offsetsIS3_Lb1EPKS5_PS6_mNS0_19identity_decomposerEEE10hipError_tT1_T2_PT3_SG_jT4_jjP12ihipStream_tbEUlT_E_NS1_11comp_targetILNS1_3genE5ELNS1_11target_archE942ELNS1_3gpuE9ELNS1_3repE0EEENS1_52radix_sort_onesweep_histogram_config_static_selectorELNS0_4arch9wavefront6targetE0EEEvSE_,comdat
.Lfunc_end1940:
	.size	_ZN7rocprim17ROCPRIM_400000_NS6detail17trampoline_kernelINS0_14default_configENS1_35radix_sort_onesweep_config_selectorI12hip_bfloat16NS0_10empty_typeEEEZNS1_34radix_sort_onesweep_global_offsetsIS3_Lb1EPKS5_PS6_mNS0_19identity_decomposerEEE10hipError_tT1_T2_PT3_SG_jT4_jjP12ihipStream_tbEUlT_E_NS1_11comp_targetILNS1_3genE5ELNS1_11target_archE942ELNS1_3gpuE9ELNS1_3repE0EEENS1_52radix_sort_onesweep_histogram_config_static_selectorELNS0_4arch9wavefront6targetE0EEEvSE_, .Lfunc_end1940-_ZN7rocprim17ROCPRIM_400000_NS6detail17trampoline_kernelINS0_14default_configENS1_35radix_sort_onesweep_config_selectorI12hip_bfloat16NS0_10empty_typeEEEZNS1_34radix_sort_onesweep_global_offsetsIS3_Lb1EPKS5_PS6_mNS0_19identity_decomposerEEE10hipError_tT1_T2_PT3_SG_jT4_jjP12ihipStream_tbEUlT_E_NS1_11comp_targetILNS1_3genE5ELNS1_11target_archE942ELNS1_3gpuE9ELNS1_3repE0EEENS1_52radix_sort_onesweep_histogram_config_static_selectorELNS0_4arch9wavefront6targetE0EEEvSE_
                                        ; -- End function
	.set _ZN7rocprim17ROCPRIM_400000_NS6detail17trampoline_kernelINS0_14default_configENS1_35radix_sort_onesweep_config_selectorI12hip_bfloat16NS0_10empty_typeEEEZNS1_34radix_sort_onesweep_global_offsetsIS3_Lb1EPKS5_PS6_mNS0_19identity_decomposerEEE10hipError_tT1_T2_PT3_SG_jT4_jjP12ihipStream_tbEUlT_E_NS1_11comp_targetILNS1_3genE5ELNS1_11target_archE942ELNS1_3gpuE9ELNS1_3repE0EEENS1_52radix_sort_onesweep_histogram_config_static_selectorELNS0_4arch9wavefront6targetE0EEEvSE_.num_vgpr, 0
	.set _ZN7rocprim17ROCPRIM_400000_NS6detail17trampoline_kernelINS0_14default_configENS1_35radix_sort_onesweep_config_selectorI12hip_bfloat16NS0_10empty_typeEEEZNS1_34radix_sort_onesweep_global_offsetsIS3_Lb1EPKS5_PS6_mNS0_19identity_decomposerEEE10hipError_tT1_T2_PT3_SG_jT4_jjP12ihipStream_tbEUlT_E_NS1_11comp_targetILNS1_3genE5ELNS1_11target_archE942ELNS1_3gpuE9ELNS1_3repE0EEENS1_52radix_sort_onesweep_histogram_config_static_selectorELNS0_4arch9wavefront6targetE0EEEvSE_.num_agpr, 0
	.set _ZN7rocprim17ROCPRIM_400000_NS6detail17trampoline_kernelINS0_14default_configENS1_35radix_sort_onesweep_config_selectorI12hip_bfloat16NS0_10empty_typeEEEZNS1_34radix_sort_onesweep_global_offsetsIS3_Lb1EPKS5_PS6_mNS0_19identity_decomposerEEE10hipError_tT1_T2_PT3_SG_jT4_jjP12ihipStream_tbEUlT_E_NS1_11comp_targetILNS1_3genE5ELNS1_11target_archE942ELNS1_3gpuE9ELNS1_3repE0EEENS1_52radix_sort_onesweep_histogram_config_static_selectorELNS0_4arch9wavefront6targetE0EEEvSE_.numbered_sgpr, 0
	.set _ZN7rocprim17ROCPRIM_400000_NS6detail17trampoline_kernelINS0_14default_configENS1_35radix_sort_onesweep_config_selectorI12hip_bfloat16NS0_10empty_typeEEEZNS1_34radix_sort_onesweep_global_offsetsIS3_Lb1EPKS5_PS6_mNS0_19identity_decomposerEEE10hipError_tT1_T2_PT3_SG_jT4_jjP12ihipStream_tbEUlT_E_NS1_11comp_targetILNS1_3genE5ELNS1_11target_archE942ELNS1_3gpuE9ELNS1_3repE0EEENS1_52radix_sort_onesweep_histogram_config_static_selectorELNS0_4arch9wavefront6targetE0EEEvSE_.num_named_barrier, 0
	.set _ZN7rocprim17ROCPRIM_400000_NS6detail17trampoline_kernelINS0_14default_configENS1_35radix_sort_onesweep_config_selectorI12hip_bfloat16NS0_10empty_typeEEEZNS1_34radix_sort_onesweep_global_offsetsIS3_Lb1EPKS5_PS6_mNS0_19identity_decomposerEEE10hipError_tT1_T2_PT3_SG_jT4_jjP12ihipStream_tbEUlT_E_NS1_11comp_targetILNS1_3genE5ELNS1_11target_archE942ELNS1_3gpuE9ELNS1_3repE0EEENS1_52radix_sort_onesweep_histogram_config_static_selectorELNS0_4arch9wavefront6targetE0EEEvSE_.private_seg_size, 0
	.set _ZN7rocprim17ROCPRIM_400000_NS6detail17trampoline_kernelINS0_14default_configENS1_35radix_sort_onesweep_config_selectorI12hip_bfloat16NS0_10empty_typeEEEZNS1_34radix_sort_onesweep_global_offsetsIS3_Lb1EPKS5_PS6_mNS0_19identity_decomposerEEE10hipError_tT1_T2_PT3_SG_jT4_jjP12ihipStream_tbEUlT_E_NS1_11comp_targetILNS1_3genE5ELNS1_11target_archE942ELNS1_3gpuE9ELNS1_3repE0EEENS1_52radix_sort_onesweep_histogram_config_static_selectorELNS0_4arch9wavefront6targetE0EEEvSE_.uses_vcc, 0
	.set _ZN7rocprim17ROCPRIM_400000_NS6detail17trampoline_kernelINS0_14default_configENS1_35radix_sort_onesweep_config_selectorI12hip_bfloat16NS0_10empty_typeEEEZNS1_34radix_sort_onesweep_global_offsetsIS3_Lb1EPKS5_PS6_mNS0_19identity_decomposerEEE10hipError_tT1_T2_PT3_SG_jT4_jjP12ihipStream_tbEUlT_E_NS1_11comp_targetILNS1_3genE5ELNS1_11target_archE942ELNS1_3gpuE9ELNS1_3repE0EEENS1_52radix_sort_onesweep_histogram_config_static_selectorELNS0_4arch9wavefront6targetE0EEEvSE_.uses_flat_scratch, 0
	.set _ZN7rocprim17ROCPRIM_400000_NS6detail17trampoline_kernelINS0_14default_configENS1_35radix_sort_onesweep_config_selectorI12hip_bfloat16NS0_10empty_typeEEEZNS1_34radix_sort_onesweep_global_offsetsIS3_Lb1EPKS5_PS6_mNS0_19identity_decomposerEEE10hipError_tT1_T2_PT3_SG_jT4_jjP12ihipStream_tbEUlT_E_NS1_11comp_targetILNS1_3genE5ELNS1_11target_archE942ELNS1_3gpuE9ELNS1_3repE0EEENS1_52radix_sort_onesweep_histogram_config_static_selectorELNS0_4arch9wavefront6targetE0EEEvSE_.has_dyn_sized_stack, 0
	.set _ZN7rocprim17ROCPRIM_400000_NS6detail17trampoline_kernelINS0_14default_configENS1_35radix_sort_onesweep_config_selectorI12hip_bfloat16NS0_10empty_typeEEEZNS1_34radix_sort_onesweep_global_offsetsIS3_Lb1EPKS5_PS6_mNS0_19identity_decomposerEEE10hipError_tT1_T2_PT3_SG_jT4_jjP12ihipStream_tbEUlT_E_NS1_11comp_targetILNS1_3genE5ELNS1_11target_archE942ELNS1_3gpuE9ELNS1_3repE0EEENS1_52radix_sort_onesweep_histogram_config_static_selectorELNS0_4arch9wavefront6targetE0EEEvSE_.has_recursion, 0
	.set _ZN7rocprim17ROCPRIM_400000_NS6detail17trampoline_kernelINS0_14default_configENS1_35radix_sort_onesweep_config_selectorI12hip_bfloat16NS0_10empty_typeEEEZNS1_34radix_sort_onesweep_global_offsetsIS3_Lb1EPKS5_PS6_mNS0_19identity_decomposerEEE10hipError_tT1_T2_PT3_SG_jT4_jjP12ihipStream_tbEUlT_E_NS1_11comp_targetILNS1_3genE5ELNS1_11target_archE942ELNS1_3gpuE9ELNS1_3repE0EEENS1_52radix_sort_onesweep_histogram_config_static_selectorELNS0_4arch9wavefront6targetE0EEEvSE_.has_indirect_call, 0
	.section	.AMDGPU.csdata,"",@progbits
; Kernel info:
; codeLenInByte = 0
; TotalNumSgprs: 0
; NumVgprs: 0
; ScratchSize: 0
; MemoryBound: 0
; FloatMode: 240
; IeeeMode: 1
; LDSByteSize: 0 bytes/workgroup (compile time only)
; SGPRBlocks: 0
; VGPRBlocks: 0
; NumSGPRsForWavesPerEU: 1
; NumVGPRsForWavesPerEU: 1
; NamedBarCnt: 0
; Occupancy: 16
; WaveLimiterHint : 0
; COMPUTE_PGM_RSRC2:SCRATCH_EN: 0
; COMPUTE_PGM_RSRC2:USER_SGPR: 2
; COMPUTE_PGM_RSRC2:TRAP_HANDLER: 0
; COMPUTE_PGM_RSRC2:TGID_X_EN: 1
; COMPUTE_PGM_RSRC2:TGID_Y_EN: 0
; COMPUTE_PGM_RSRC2:TGID_Z_EN: 0
; COMPUTE_PGM_RSRC2:TIDIG_COMP_CNT: 0
	.section	.text._ZN7rocprim17ROCPRIM_400000_NS6detail17trampoline_kernelINS0_14default_configENS1_35radix_sort_onesweep_config_selectorI12hip_bfloat16NS0_10empty_typeEEEZNS1_34radix_sort_onesweep_global_offsetsIS3_Lb1EPKS5_PS6_mNS0_19identity_decomposerEEE10hipError_tT1_T2_PT3_SG_jT4_jjP12ihipStream_tbEUlT_E_NS1_11comp_targetILNS1_3genE2ELNS1_11target_archE906ELNS1_3gpuE6ELNS1_3repE0EEENS1_52radix_sort_onesweep_histogram_config_static_selectorELNS0_4arch9wavefront6targetE0EEEvSE_,"axG",@progbits,_ZN7rocprim17ROCPRIM_400000_NS6detail17trampoline_kernelINS0_14default_configENS1_35radix_sort_onesweep_config_selectorI12hip_bfloat16NS0_10empty_typeEEEZNS1_34radix_sort_onesweep_global_offsetsIS3_Lb1EPKS5_PS6_mNS0_19identity_decomposerEEE10hipError_tT1_T2_PT3_SG_jT4_jjP12ihipStream_tbEUlT_E_NS1_11comp_targetILNS1_3genE2ELNS1_11target_archE906ELNS1_3gpuE6ELNS1_3repE0EEENS1_52radix_sort_onesweep_histogram_config_static_selectorELNS0_4arch9wavefront6targetE0EEEvSE_,comdat
	.protected	_ZN7rocprim17ROCPRIM_400000_NS6detail17trampoline_kernelINS0_14default_configENS1_35radix_sort_onesweep_config_selectorI12hip_bfloat16NS0_10empty_typeEEEZNS1_34radix_sort_onesweep_global_offsetsIS3_Lb1EPKS5_PS6_mNS0_19identity_decomposerEEE10hipError_tT1_T2_PT3_SG_jT4_jjP12ihipStream_tbEUlT_E_NS1_11comp_targetILNS1_3genE2ELNS1_11target_archE906ELNS1_3gpuE6ELNS1_3repE0EEENS1_52radix_sort_onesweep_histogram_config_static_selectorELNS0_4arch9wavefront6targetE0EEEvSE_ ; -- Begin function _ZN7rocprim17ROCPRIM_400000_NS6detail17trampoline_kernelINS0_14default_configENS1_35radix_sort_onesweep_config_selectorI12hip_bfloat16NS0_10empty_typeEEEZNS1_34radix_sort_onesweep_global_offsetsIS3_Lb1EPKS5_PS6_mNS0_19identity_decomposerEEE10hipError_tT1_T2_PT3_SG_jT4_jjP12ihipStream_tbEUlT_E_NS1_11comp_targetILNS1_3genE2ELNS1_11target_archE906ELNS1_3gpuE6ELNS1_3repE0EEENS1_52radix_sort_onesweep_histogram_config_static_selectorELNS0_4arch9wavefront6targetE0EEEvSE_
	.globl	_ZN7rocprim17ROCPRIM_400000_NS6detail17trampoline_kernelINS0_14default_configENS1_35radix_sort_onesweep_config_selectorI12hip_bfloat16NS0_10empty_typeEEEZNS1_34radix_sort_onesweep_global_offsetsIS3_Lb1EPKS5_PS6_mNS0_19identity_decomposerEEE10hipError_tT1_T2_PT3_SG_jT4_jjP12ihipStream_tbEUlT_E_NS1_11comp_targetILNS1_3genE2ELNS1_11target_archE906ELNS1_3gpuE6ELNS1_3repE0EEENS1_52radix_sort_onesweep_histogram_config_static_selectorELNS0_4arch9wavefront6targetE0EEEvSE_
	.p2align	8
	.type	_ZN7rocprim17ROCPRIM_400000_NS6detail17trampoline_kernelINS0_14default_configENS1_35radix_sort_onesweep_config_selectorI12hip_bfloat16NS0_10empty_typeEEEZNS1_34radix_sort_onesweep_global_offsetsIS3_Lb1EPKS5_PS6_mNS0_19identity_decomposerEEE10hipError_tT1_T2_PT3_SG_jT4_jjP12ihipStream_tbEUlT_E_NS1_11comp_targetILNS1_3genE2ELNS1_11target_archE906ELNS1_3gpuE6ELNS1_3repE0EEENS1_52radix_sort_onesweep_histogram_config_static_selectorELNS0_4arch9wavefront6targetE0EEEvSE_,@function
_ZN7rocprim17ROCPRIM_400000_NS6detail17trampoline_kernelINS0_14default_configENS1_35radix_sort_onesweep_config_selectorI12hip_bfloat16NS0_10empty_typeEEEZNS1_34radix_sort_onesweep_global_offsetsIS3_Lb1EPKS5_PS6_mNS0_19identity_decomposerEEE10hipError_tT1_T2_PT3_SG_jT4_jjP12ihipStream_tbEUlT_E_NS1_11comp_targetILNS1_3genE2ELNS1_11target_archE906ELNS1_3gpuE6ELNS1_3repE0EEENS1_52radix_sort_onesweep_histogram_config_static_selectorELNS0_4arch9wavefront6targetE0EEEvSE_: ; @_ZN7rocprim17ROCPRIM_400000_NS6detail17trampoline_kernelINS0_14default_configENS1_35radix_sort_onesweep_config_selectorI12hip_bfloat16NS0_10empty_typeEEEZNS1_34radix_sort_onesweep_global_offsetsIS3_Lb1EPKS5_PS6_mNS0_19identity_decomposerEEE10hipError_tT1_T2_PT3_SG_jT4_jjP12ihipStream_tbEUlT_E_NS1_11comp_targetILNS1_3genE2ELNS1_11target_archE906ELNS1_3gpuE6ELNS1_3repE0EEENS1_52radix_sort_onesweep_histogram_config_static_selectorELNS0_4arch9wavefront6targetE0EEEvSE_
; %bb.0:
	.section	.rodata,"a",@progbits
	.p2align	6, 0x0
	.amdhsa_kernel _ZN7rocprim17ROCPRIM_400000_NS6detail17trampoline_kernelINS0_14default_configENS1_35radix_sort_onesweep_config_selectorI12hip_bfloat16NS0_10empty_typeEEEZNS1_34radix_sort_onesweep_global_offsetsIS3_Lb1EPKS5_PS6_mNS0_19identity_decomposerEEE10hipError_tT1_T2_PT3_SG_jT4_jjP12ihipStream_tbEUlT_E_NS1_11comp_targetILNS1_3genE2ELNS1_11target_archE906ELNS1_3gpuE6ELNS1_3repE0EEENS1_52radix_sort_onesweep_histogram_config_static_selectorELNS0_4arch9wavefront6targetE0EEEvSE_
		.amdhsa_group_segment_fixed_size 0
		.amdhsa_private_segment_fixed_size 0
		.amdhsa_kernarg_size 48
		.amdhsa_user_sgpr_count 2
		.amdhsa_user_sgpr_dispatch_ptr 0
		.amdhsa_user_sgpr_queue_ptr 0
		.amdhsa_user_sgpr_kernarg_segment_ptr 1
		.amdhsa_user_sgpr_dispatch_id 0
		.amdhsa_user_sgpr_kernarg_preload_length 0
		.amdhsa_user_sgpr_kernarg_preload_offset 0
		.amdhsa_user_sgpr_private_segment_size 0
		.amdhsa_wavefront_size32 1
		.amdhsa_uses_dynamic_stack 0
		.amdhsa_enable_private_segment 0
		.amdhsa_system_sgpr_workgroup_id_x 1
		.amdhsa_system_sgpr_workgroup_id_y 0
		.amdhsa_system_sgpr_workgroup_id_z 0
		.amdhsa_system_sgpr_workgroup_info 0
		.amdhsa_system_vgpr_workitem_id 0
		.amdhsa_next_free_vgpr 1
		.amdhsa_next_free_sgpr 1
		.amdhsa_named_barrier_count 0
		.amdhsa_reserve_vcc 0
		.amdhsa_float_round_mode_32 0
		.amdhsa_float_round_mode_16_64 0
		.amdhsa_float_denorm_mode_32 3
		.amdhsa_float_denorm_mode_16_64 3
		.amdhsa_fp16_overflow 0
		.amdhsa_memory_ordered 1
		.amdhsa_forward_progress 1
		.amdhsa_inst_pref_size 0
		.amdhsa_round_robin_scheduling 0
		.amdhsa_exception_fp_ieee_invalid_op 0
		.amdhsa_exception_fp_denorm_src 0
		.amdhsa_exception_fp_ieee_div_zero 0
		.amdhsa_exception_fp_ieee_overflow 0
		.amdhsa_exception_fp_ieee_underflow 0
		.amdhsa_exception_fp_ieee_inexact 0
		.amdhsa_exception_int_div_zero 0
	.end_amdhsa_kernel
	.section	.text._ZN7rocprim17ROCPRIM_400000_NS6detail17trampoline_kernelINS0_14default_configENS1_35radix_sort_onesweep_config_selectorI12hip_bfloat16NS0_10empty_typeEEEZNS1_34radix_sort_onesweep_global_offsetsIS3_Lb1EPKS5_PS6_mNS0_19identity_decomposerEEE10hipError_tT1_T2_PT3_SG_jT4_jjP12ihipStream_tbEUlT_E_NS1_11comp_targetILNS1_3genE2ELNS1_11target_archE906ELNS1_3gpuE6ELNS1_3repE0EEENS1_52radix_sort_onesweep_histogram_config_static_selectorELNS0_4arch9wavefront6targetE0EEEvSE_,"axG",@progbits,_ZN7rocprim17ROCPRIM_400000_NS6detail17trampoline_kernelINS0_14default_configENS1_35radix_sort_onesweep_config_selectorI12hip_bfloat16NS0_10empty_typeEEEZNS1_34radix_sort_onesweep_global_offsetsIS3_Lb1EPKS5_PS6_mNS0_19identity_decomposerEEE10hipError_tT1_T2_PT3_SG_jT4_jjP12ihipStream_tbEUlT_E_NS1_11comp_targetILNS1_3genE2ELNS1_11target_archE906ELNS1_3gpuE6ELNS1_3repE0EEENS1_52radix_sort_onesweep_histogram_config_static_selectorELNS0_4arch9wavefront6targetE0EEEvSE_,comdat
.Lfunc_end1941:
	.size	_ZN7rocprim17ROCPRIM_400000_NS6detail17trampoline_kernelINS0_14default_configENS1_35radix_sort_onesweep_config_selectorI12hip_bfloat16NS0_10empty_typeEEEZNS1_34radix_sort_onesweep_global_offsetsIS3_Lb1EPKS5_PS6_mNS0_19identity_decomposerEEE10hipError_tT1_T2_PT3_SG_jT4_jjP12ihipStream_tbEUlT_E_NS1_11comp_targetILNS1_3genE2ELNS1_11target_archE906ELNS1_3gpuE6ELNS1_3repE0EEENS1_52radix_sort_onesweep_histogram_config_static_selectorELNS0_4arch9wavefront6targetE0EEEvSE_, .Lfunc_end1941-_ZN7rocprim17ROCPRIM_400000_NS6detail17trampoline_kernelINS0_14default_configENS1_35radix_sort_onesweep_config_selectorI12hip_bfloat16NS0_10empty_typeEEEZNS1_34radix_sort_onesweep_global_offsetsIS3_Lb1EPKS5_PS6_mNS0_19identity_decomposerEEE10hipError_tT1_T2_PT3_SG_jT4_jjP12ihipStream_tbEUlT_E_NS1_11comp_targetILNS1_3genE2ELNS1_11target_archE906ELNS1_3gpuE6ELNS1_3repE0EEENS1_52radix_sort_onesweep_histogram_config_static_selectorELNS0_4arch9wavefront6targetE0EEEvSE_
                                        ; -- End function
	.set _ZN7rocprim17ROCPRIM_400000_NS6detail17trampoline_kernelINS0_14default_configENS1_35radix_sort_onesweep_config_selectorI12hip_bfloat16NS0_10empty_typeEEEZNS1_34radix_sort_onesweep_global_offsetsIS3_Lb1EPKS5_PS6_mNS0_19identity_decomposerEEE10hipError_tT1_T2_PT3_SG_jT4_jjP12ihipStream_tbEUlT_E_NS1_11comp_targetILNS1_3genE2ELNS1_11target_archE906ELNS1_3gpuE6ELNS1_3repE0EEENS1_52radix_sort_onesweep_histogram_config_static_selectorELNS0_4arch9wavefront6targetE0EEEvSE_.num_vgpr, 0
	.set _ZN7rocprim17ROCPRIM_400000_NS6detail17trampoline_kernelINS0_14default_configENS1_35radix_sort_onesweep_config_selectorI12hip_bfloat16NS0_10empty_typeEEEZNS1_34radix_sort_onesweep_global_offsetsIS3_Lb1EPKS5_PS6_mNS0_19identity_decomposerEEE10hipError_tT1_T2_PT3_SG_jT4_jjP12ihipStream_tbEUlT_E_NS1_11comp_targetILNS1_3genE2ELNS1_11target_archE906ELNS1_3gpuE6ELNS1_3repE0EEENS1_52radix_sort_onesweep_histogram_config_static_selectorELNS0_4arch9wavefront6targetE0EEEvSE_.num_agpr, 0
	.set _ZN7rocprim17ROCPRIM_400000_NS6detail17trampoline_kernelINS0_14default_configENS1_35radix_sort_onesweep_config_selectorI12hip_bfloat16NS0_10empty_typeEEEZNS1_34radix_sort_onesweep_global_offsetsIS3_Lb1EPKS5_PS6_mNS0_19identity_decomposerEEE10hipError_tT1_T2_PT3_SG_jT4_jjP12ihipStream_tbEUlT_E_NS1_11comp_targetILNS1_3genE2ELNS1_11target_archE906ELNS1_3gpuE6ELNS1_3repE0EEENS1_52radix_sort_onesweep_histogram_config_static_selectorELNS0_4arch9wavefront6targetE0EEEvSE_.numbered_sgpr, 0
	.set _ZN7rocprim17ROCPRIM_400000_NS6detail17trampoline_kernelINS0_14default_configENS1_35radix_sort_onesweep_config_selectorI12hip_bfloat16NS0_10empty_typeEEEZNS1_34radix_sort_onesweep_global_offsetsIS3_Lb1EPKS5_PS6_mNS0_19identity_decomposerEEE10hipError_tT1_T2_PT3_SG_jT4_jjP12ihipStream_tbEUlT_E_NS1_11comp_targetILNS1_3genE2ELNS1_11target_archE906ELNS1_3gpuE6ELNS1_3repE0EEENS1_52radix_sort_onesweep_histogram_config_static_selectorELNS0_4arch9wavefront6targetE0EEEvSE_.num_named_barrier, 0
	.set _ZN7rocprim17ROCPRIM_400000_NS6detail17trampoline_kernelINS0_14default_configENS1_35radix_sort_onesweep_config_selectorI12hip_bfloat16NS0_10empty_typeEEEZNS1_34radix_sort_onesweep_global_offsetsIS3_Lb1EPKS5_PS6_mNS0_19identity_decomposerEEE10hipError_tT1_T2_PT3_SG_jT4_jjP12ihipStream_tbEUlT_E_NS1_11comp_targetILNS1_3genE2ELNS1_11target_archE906ELNS1_3gpuE6ELNS1_3repE0EEENS1_52radix_sort_onesweep_histogram_config_static_selectorELNS0_4arch9wavefront6targetE0EEEvSE_.private_seg_size, 0
	.set _ZN7rocprim17ROCPRIM_400000_NS6detail17trampoline_kernelINS0_14default_configENS1_35radix_sort_onesweep_config_selectorI12hip_bfloat16NS0_10empty_typeEEEZNS1_34radix_sort_onesweep_global_offsetsIS3_Lb1EPKS5_PS6_mNS0_19identity_decomposerEEE10hipError_tT1_T2_PT3_SG_jT4_jjP12ihipStream_tbEUlT_E_NS1_11comp_targetILNS1_3genE2ELNS1_11target_archE906ELNS1_3gpuE6ELNS1_3repE0EEENS1_52radix_sort_onesweep_histogram_config_static_selectorELNS0_4arch9wavefront6targetE0EEEvSE_.uses_vcc, 0
	.set _ZN7rocprim17ROCPRIM_400000_NS6detail17trampoline_kernelINS0_14default_configENS1_35radix_sort_onesweep_config_selectorI12hip_bfloat16NS0_10empty_typeEEEZNS1_34radix_sort_onesweep_global_offsetsIS3_Lb1EPKS5_PS6_mNS0_19identity_decomposerEEE10hipError_tT1_T2_PT3_SG_jT4_jjP12ihipStream_tbEUlT_E_NS1_11comp_targetILNS1_3genE2ELNS1_11target_archE906ELNS1_3gpuE6ELNS1_3repE0EEENS1_52radix_sort_onesweep_histogram_config_static_selectorELNS0_4arch9wavefront6targetE0EEEvSE_.uses_flat_scratch, 0
	.set _ZN7rocprim17ROCPRIM_400000_NS6detail17trampoline_kernelINS0_14default_configENS1_35radix_sort_onesweep_config_selectorI12hip_bfloat16NS0_10empty_typeEEEZNS1_34radix_sort_onesweep_global_offsetsIS3_Lb1EPKS5_PS6_mNS0_19identity_decomposerEEE10hipError_tT1_T2_PT3_SG_jT4_jjP12ihipStream_tbEUlT_E_NS1_11comp_targetILNS1_3genE2ELNS1_11target_archE906ELNS1_3gpuE6ELNS1_3repE0EEENS1_52radix_sort_onesweep_histogram_config_static_selectorELNS0_4arch9wavefront6targetE0EEEvSE_.has_dyn_sized_stack, 0
	.set _ZN7rocprim17ROCPRIM_400000_NS6detail17trampoline_kernelINS0_14default_configENS1_35radix_sort_onesweep_config_selectorI12hip_bfloat16NS0_10empty_typeEEEZNS1_34radix_sort_onesweep_global_offsetsIS3_Lb1EPKS5_PS6_mNS0_19identity_decomposerEEE10hipError_tT1_T2_PT3_SG_jT4_jjP12ihipStream_tbEUlT_E_NS1_11comp_targetILNS1_3genE2ELNS1_11target_archE906ELNS1_3gpuE6ELNS1_3repE0EEENS1_52radix_sort_onesweep_histogram_config_static_selectorELNS0_4arch9wavefront6targetE0EEEvSE_.has_recursion, 0
	.set _ZN7rocprim17ROCPRIM_400000_NS6detail17trampoline_kernelINS0_14default_configENS1_35radix_sort_onesweep_config_selectorI12hip_bfloat16NS0_10empty_typeEEEZNS1_34radix_sort_onesweep_global_offsetsIS3_Lb1EPKS5_PS6_mNS0_19identity_decomposerEEE10hipError_tT1_T2_PT3_SG_jT4_jjP12ihipStream_tbEUlT_E_NS1_11comp_targetILNS1_3genE2ELNS1_11target_archE906ELNS1_3gpuE6ELNS1_3repE0EEENS1_52radix_sort_onesweep_histogram_config_static_selectorELNS0_4arch9wavefront6targetE0EEEvSE_.has_indirect_call, 0
	.section	.AMDGPU.csdata,"",@progbits
; Kernel info:
; codeLenInByte = 0
; TotalNumSgprs: 0
; NumVgprs: 0
; ScratchSize: 0
; MemoryBound: 0
; FloatMode: 240
; IeeeMode: 1
; LDSByteSize: 0 bytes/workgroup (compile time only)
; SGPRBlocks: 0
; VGPRBlocks: 0
; NumSGPRsForWavesPerEU: 1
; NumVGPRsForWavesPerEU: 1
; NamedBarCnt: 0
; Occupancy: 16
; WaveLimiterHint : 0
; COMPUTE_PGM_RSRC2:SCRATCH_EN: 0
; COMPUTE_PGM_RSRC2:USER_SGPR: 2
; COMPUTE_PGM_RSRC2:TRAP_HANDLER: 0
; COMPUTE_PGM_RSRC2:TGID_X_EN: 1
; COMPUTE_PGM_RSRC2:TGID_Y_EN: 0
; COMPUTE_PGM_RSRC2:TGID_Z_EN: 0
; COMPUTE_PGM_RSRC2:TIDIG_COMP_CNT: 0
	.section	.text._ZN7rocprim17ROCPRIM_400000_NS6detail17trampoline_kernelINS0_14default_configENS1_35radix_sort_onesweep_config_selectorI12hip_bfloat16NS0_10empty_typeEEEZNS1_34radix_sort_onesweep_global_offsetsIS3_Lb1EPKS5_PS6_mNS0_19identity_decomposerEEE10hipError_tT1_T2_PT3_SG_jT4_jjP12ihipStream_tbEUlT_E_NS1_11comp_targetILNS1_3genE4ELNS1_11target_archE910ELNS1_3gpuE8ELNS1_3repE0EEENS1_52radix_sort_onesweep_histogram_config_static_selectorELNS0_4arch9wavefront6targetE0EEEvSE_,"axG",@progbits,_ZN7rocprim17ROCPRIM_400000_NS6detail17trampoline_kernelINS0_14default_configENS1_35radix_sort_onesweep_config_selectorI12hip_bfloat16NS0_10empty_typeEEEZNS1_34radix_sort_onesweep_global_offsetsIS3_Lb1EPKS5_PS6_mNS0_19identity_decomposerEEE10hipError_tT1_T2_PT3_SG_jT4_jjP12ihipStream_tbEUlT_E_NS1_11comp_targetILNS1_3genE4ELNS1_11target_archE910ELNS1_3gpuE8ELNS1_3repE0EEENS1_52radix_sort_onesweep_histogram_config_static_selectorELNS0_4arch9wavefront6targetE0EEEvSE_,comdat
	.protected	_ZN7rocprim17ROCPRIM_400000_NS6detail17trampoline_kernelINS0_14default_configENS1_35radix_sort_onesweep_config_selectorI12hip_bfloat16NS0_10empty_typeEEEZNS1_34radix_sort_onesweep_global_offsetsIS3_Lb1EPKS5_PS6_mNS0_19identity_decomposerEEE10hipError_tT1_T2_PT3_SG_jT4_jjP12ihipStream_tbEUlT_E_NS1_11comp_targetILNS1_3genE4ELNS1_11target_archE910ELNS1_3gpuE8ELNS1_3repE0EEENS1_52radix_sort_onesweep_histogram_config_static_selectorELNS0_4arch9wavefront6targetE0EEEvSE_ ; -- Begin function _ZN7rocprim17ROCPRIM_400000_NS6detail17trampoline_kernelINS0_14default_configENS1_35radix_sort_onesweep_config_selectorI12hip_bfloat16NS0_10empty_typeEEEZNS1_34radix_sort_onesweep_global_offsetsIS3_Lb1EPKS5_PS6_mNS0_19identity_decomposerEEE10hipError_tT1_T2_PT3_SG_jT4_jjP12ihipStream_tbEUlT_E_NS1_11comp_targetILNS1_3genE4ELNS1_11target_archE910ELNS1_3gpuE8ELNS1_3repE0EEENS1_52radix_sort_onesweep_histogram_config_static_selectorELNS0_4arch9wavefront6targetE0EEEvSE_
	.globl	_ZN7rocprim17ROCPRIM_400000_NS6detail17trampoline_kernelINS0_14default_configENS1_35radix_sort_onesweep_config_selectorI12hip_bfloat16NS0_10empty_typeEEEZNS1_34radix_sort_onesweep_global_offsetsIS3_Lb1EPKS5_PS6_mNS0_19identity_decomposerEEE10hipError_tT1_T2_PT3_SG_jT4_jjP12ihipStream_tbEUlT_E_NS1_11comp_targetILNS1_3genE4ELNS1_11target_archE910ELNS1_3gpuE8ELNS1_3repE0EEENS1_52radix_sort_onesweep_histogram_config_static_selectorELNS0_4arch9wavefront6targetE0EEEvSE_
	.p2align	8
	.type	_ZN7rocprim17ROCPRIM_400000_NS6detail17trampoline_kernelINS0_14default_configENS1_35radix_sort_onesweep_config_selectorI12hip_bfloat16NS0_10empty_typeEEEZNS1_34radix_sort_onesweep_global_offsetsIS3_Lb1EPKS5_PS6_mNS0_19identity_decomposerEEE10hipError_tT1_T2_PT3_SG_jT4_jjP12ihipStream_tbEUlT_E_NS1_11comp_targetILNS1_3genE4ELNS1_11target_archE910ELNS1_3gpuE8ELNS1_3repE0EEENS1_52radix_sort_onesweep_histogram_config_static_selectorELNS0_4arch9wavefront6targetE0EEEvSE_,@function
_ZN7rocprim17ROCPRIM_400000_NS6detail17trampoline_kernelINS0_14default_configENS1_35radix_sort_onesweep_config_selectorI12hip_bfloat16NS0_10empty_typeEEEZNS1_34radix_sort_onesweep_global_offsetsIS3_Lb1EPKS5_PS6_mNS0_19identity_decomposerEEE10hipError_tT1_T2_PT3_SG_jT4_jjP12ihipStream_tbEUlT_E_NS1_11comp_targetILNS1_3genE4ELNS1_11target_archE910ELNS1_3gpuE8ELNS1_3repE0EEENS1_52radix_sort_onesweep_histogram_config_static_selectorELNS0_4arch9wavefront6targetE0EEEvSE_: ; @_ZN7rocprim17ROCPRIM_400000_NS6detail17trampoline_kernelINS0_14default_configENS1_35radix_sort_onesweep_config_selectorI12hip_bfloat16NS0_10empty_typeEEEZNS1_34radix_sort_onesweep_global_offsetsIS3_Lb1EPKS5_PS6_mNS0_19identity_decomposerEEE10hipError_tT1_T2_PT3_SG_jT4_jjP12ihipStream_tbEUlT_E_NS1_11comp_targetILNS1_3genE4ELNS1_11target_archE910ELNS1_3gpuE8ELNS1_3repE0EEENS1_52radix_sort_onesweep_histogram_config_static_selectorELNS0_4arch9wavefront6targetE0EEEvSE_
; %bb.0:
	.section	.rodata,"a",@progbits
	.p2align	6, 0x0
	.amdhsa_kernel _ZN7rocprim17ROCPRIM_400000_NS6detail17trampoline_kernelINS0_14default_configENS1_35radix_sort_onesweep_config_selectorI12hip_bfloat16NS0_10empty_typeEEEZNS1_34radix_sort_onesweep_global_offsetsIS3_Lb1EPKS5_PS6_mNS0_19identity_decomposerEEE10hipError_tT1_T2_PT3_SG_jT4_jjP12ihipStream_tbEUlT_E_NS1_11comp_targetILNS1_3genE4ELNS1_11target_archE910ELNS1_3gpuE8ELNS1_3repE0EEENS1_52radix_sort_onesweep_histogram_config_static_selectorELNS0_4arch9wavefront6targetE0EEEvSE_
		.amdhsa_group_segment_fixed_size 0
		.amdhsa_private_segment_fixed_size 0
		.amdhsa_kernarg_size 48
		.amdhsa_user_sgpr_count 2
		.amdhsa_user_sgpr_dispatch_ptr 0
		.amdhsa_user_sgpr_queue_ptr 0
		.amdhsa_user_sgpr_kernarg_segment_ptr 1
		.amdhsa_user_sgpr_dispatch_id 0
		.amdhsa_user_sgpr_kernarg_preload_length 0
		.amdhsa_user_sgpr_kernarg_preload_offset 0
		.amdhsa_user_sgpr_private_segment_size 0
		.amdhsa_wavefront_size32 1
		.amdhsa_uses_dynamic_stack 0
		.amdhsa_enable_private_segment 0
		.amdhsa_system_sgpr_workgroup_id_x 1
		.amdhsa_system_sgpr_workgroup_id_y 0
		.amdhsa_system_sgpr_workgroup_id_z 0
		.amdhsa_system_sgpr_workgroup_info 0
		.amdhsa_system_vgpr_workitem_id 0
		.amdhsa_next_free_vgpr 1
		.amdhsa_next_free_sgpr 1
		.amdhsa_named_barrier_count 0
		.amdhsa_reserve_vcc 0
		.amdhsa_float_round_mode_32 0
		.amdhsa_float_round_mode_16_64 0
		.amdhsa_float_denorm_mode_32 3
		.amdhsa_float_denorm_mode_16_64 3
		.amdhsa_fp16_overflow 0
		.amdhsa_memory_ordered 1
		.amdhsa_forward_progress 1
		.amdhsa_inst_pref_size 0
		.amdhsa_round_robin_scheduling 0
		.amdhsa_exception_fp_ieee_invalid_op 0
		.amdhsa_exception_fp_denorm_src 0
		.amdhsa_exception_fp_ieee_div_zero 0
		.amdhsa_exception_fp_ieee_overflow 0
		.amdhsa_exception_fp_ieee_underflow 0
		.amdhsa_exception_fp_ieee_inexact 0
		.amdhsa_exception_int_div_zero 0
	.end_amdhsa_kernel
	.section	.text._ZN7rocprim17ROCPRIM_400000_NS6detail17trampoline_kernelINS0_14default_configENS1_35radix_sort_onesweep_config_selectorI12hip_bfloat16NS0_10empty_typeEEEZNS1_34radix_sort_onesweep_global_offsetsIS3_Lb1EPKS5_PS6_mNS0_19identity_decomposerEEE10hipError_tT1_T2_PT3_SG_jT4_jjP12ihipStream_tbEUlT_E_NS1_11comp_targetILNS1_3genE4ELNS1_11target_archE910ELNS1_3gpuE8ELNS1_3repE0EEENS1_52radix_sort_onesweep_histogram_config_static_selectorELNS0_4arch9wavefront6targetE0EEEvSE_,"axG",@progbits,_ZN7rocprim17ROCPRIM_400000_NS6detail17trampoline_kernelINS0_14default_configENS1_35radix_sort_onesweep_config_selectorI12hip_bfloat16NS0_10empty_typeEEEZNS1_34radix_sort_onesweep_global_offsetsIS3_Lb1EPKS5_PS6_mNS0_19identity_decomposerEEE10hipError_tT1_T2_PT3_SG_jT4_jjP12ihipStream_tbEUlT_E_NS1_11comp_targetILNS1_3genE4ELNS1_11target_archE910ELNS1_3gpuE8ELNS1_3repE0EEENS1_52radix_sort_onesweep_histogram_config_static_selectorELNS0_4arch9wavefront6targetE0EEEvSE_,comdat
.Lfunc_end1942:
	.size	_ZN7rocprim17ROCPRIM_400000_NS6detail17trampoline_kernelINS0_14default_configENS1_35radix_sort_onesweep_config_selectorI12hip_bfloat16NS0_10empty_typeEEEZNS1_34radix_sort_onesweep_global_offsetsIS3_Lb1EPKS5_PS6_mNS0_19identity_decomposerEEE10hipError_tT1_T2_PT3_SG_jT4_jjP12ihipStream_tbEUlT_E_NS1_11comp_targetILNS1_3genE4ELNS1_11target_archE910ELNS1_3gpuE8ELNS1_3repE0EEENS1_52radix_sort_onesweep_histogram_config_static_selectorELNS0_4arch9wavefront6targetE0EEEvSE_, .Lfunc_end1942-_ZN7rocprim17ROCPRIM_400000_NS6detail17trampoline_kernelINS0_14default_configENS1_35radix_sort_onesweep_config_selectorI12hip_bfloat16NS0_10empty_typeEEEZNS1_34radix_sort_onesweep_global_offsetsIS3_Lb1EPKS5_PS6_mNS0_19identity_decomposerEEE10hipError_tT1_T2_PT3_SG_jT4_jjP12ihipStream_tbEUlT_E_NS1_11comp_targetILNS1_3genE4ELNS1_11target_archE910ELNS1_3gpuE8ELNS1_3repE0EEENS1_52radix_sort_onesweep_histogram_config_static_selectorELNS0_4arch9wavefront6targetE0EEEvSE_
                                        ; -- End function
	.set _ZN7rocprim17ROCPRIM_400000_NS6detail17trampoline_kernelINS0_14default_configENS1_35radix_sort_onesweep_config_selectorI12hip_bfloat16NS0_10empty_typeEEEZNS1_34radix_sort_onesweep_global_offsetsIS3_Lb1EPKS5_PS6_mNS0_19identity_decomposerEEE10hipError_tT1_T2_PT3_SG_jT4_jjP12ihipStream_tbEUlT_E_NS1_11comp_targetILNS1_3genE4ELNS1_11target_archE910ELNS1_3gpuE8ELNS1_3repE0EEENS1_52radix_sort_onesweep_histogram_config_static_selectorELNS0_4arch9wavefront6targetE0EEEvSE_.num_vgpr, 0
	.set _ZN7rocprim17ROCPRIM_400000_NS6detail17trampoline_kernelINS0_14default_configENS1_35radix_sort_onesweep_config_selectorI12hip_bfloat16NS0_10empty_typeEEEZNS1_34radix_sort_onesweep_global_offsetsIS3_Lb1EPKS5_PS6_mNS0_19identity_decomposerEEE10hipError_tT1_T2_PT3_SG_jT4_jjP12ihipStream_tbEUlT_E_NS1_11comp_targetILNS1_3genE4ELNS1_11target_archE910ELNS1_3gpuE8ELNS1_3repE0EEENS1_52radix_sort_onesweep_histogram_config_static_selectorELNS0_4arch9wavefront6targetE0EEEvSE_.num_agpr, 0
	.set _ZN7rocprim17ROCPRIM_400000_NS6detail17trampoline_kernelINS0_14default_configENS1_35radix_sort_onesweep_config_selectorI12hip_bfloat16NS0_10empty_typeEEEZNS1_34radix_sort_onesweep_global_offsetsIS3_Lb1EPKS5_PS6_mNS0_19identity_decomposerEEE10hipError_tT1_T2_PT3_SG_jT4_jjP12ihipStream_tbEUlT_E_NS1_11comp_targetILNS1_3genE4ELNS1_11target_archE910ELNS1_3gpuE8ELNS1_3repE0EEENS1_52radix_sort_onesweep_histogram_config_static_selectorELNS0_4arch9wavefront6targetE0EEEvSE_.numbered_sgpr, 0
	.set _ZN7rocprim17ROCPRIM_400000_NS6detail17trampoline_kernelINS0_14default_configENS1_35radix_sort_onesweep_config_selectorI12hip_bfloat16NS0_10empty_typeEEEZNS1_34radix_sort_onesweep_global_offsetsIS3_Lb1EPKS5_PS6_mNS0_19identity_decomposerEEE10hipError_tT1_T2_PT3_SG_jT4_jjP12ihipStream_tbEUlT_E_NS1_11comp_targetILNS1_3genE4ELNS1_11target_archE910ELNS1_3gpuE8ELNS1_3repE0EEENS1_52radix_sort_onesweep_histogram_config_static_selectorELNS0_4arch9wavefront6targetE0EEEvSE_.num_named_barrier, 0
	.set _ZN7rocprim17ROCPRIM_400000_NS6detail17trampoline_kernelINS0_14default_configENS1_35radix_sort_onesweep_config_selectorI12hip_bfloat16NS0_10empty_typeEEEZNS1_34radix_sort_onesweep_global_offsetsIS3_Lb1EPKS5_PS6_mNS0_19identity_decomposerEEE10hipError_tT1_T2_PT3_SG_jT4_jjP12ihipStream_tbEUlT_E_NS1_11comp_targetILNS1_3genE4ELNS1_11target_archE910ELNS1_3gpuE8ELNS1_3repE0EEENS1_52radix_sort_onesweep_histogram_config_static_selectorELNS0_4arch9wavefront6targetE0EEEvSE_.private_seg_size, 0
	.set _ZN7rocprim17ROCPRIM_400000_NS6detail17trampoline_kernelINS0_14default_configENS1_35radix_sort_onesweep_config_selectorI12hip_bfloat16NS0_10empty_typeEEEZNS1_34radix_sort_onesweep_global_offsetsIS3_Lb1EPKS5_PS6_mNS0_19identity_decomposerEEE10hipError_tT1_T2_PT3_SG_jT4_jjP12ihipStream_tbEUlT_E_NS1_11comp_targetILNS1_3genE4ELNS1_11target_archE910ELNS1_3gpuE8ELNS1_3repE0EEENS1_52radix_sort_onesweep_histogram_config_static_selectorELNS0_4arch9wavefront6targetE0EEEvSE_.uses_vcc, 0
	.set _ZN7rocprim17ROCPRIM_400000_NS6detail17trampoline_kernelINS0_14default_configENS1_35radix_sort_onesweep_config_selectorI12hip_bfloat16NS0_10empty_typeEEEZNS1_34radix_sort_onesweep_global_offsetsIS3_Lb1EPKS5_PS6_mNS0_19identity_decomposerEEE10hipError_tT1_T2_PT3_SG_jT4_jjP12ihipStream_tbEUlT_E_NS1_11comp_targetILNS1_3genE4ELNS1_11target_archE910ELNS1_3gpuE8ELNS1_3repE0EEENS1_52radix_sort_onesweep_histogram_config_static_selectorELNS0_4arch9wavefront6targetE0EEEvSE_.uses_flat_scratch, 0
	.set _ZN7rocprim17ROCPRIM_400000_NS6detail17trampoline_kernelINS0_14default_configENS1_35radix_sort_onesweep_config_selectorI12hip_bfloat16NS0_10empty_typeEEEZNS1_34radix_sort_onesweep_global_offsetsIS3_Lb1EPKS5_PS6_mNS0_19identity_decomposerEEE10hipError_tT1_T2_PT3_SG_jT4_jjP12ihipStream_tbEUlT_E_NS1_11comp_targetILNS1_3genE4ELNS1_11target_archE910ELNS1_3gpuE8ELNS1_3repE0EEENS1_52radix_sort_onesweep_histogram_config_static_selectorELNS0_4arch9wavefront6targetE0EEEvSE_.has_dyn_sized_stack, 0
	.set _ZN7rocprim17ROCPRIM_400000_NS6detail17trampoline_kernelINS0_14default_configENS1_35radix_sort_onesweep_config_selectorI12hip_bfloat16NS0_10empty_typeEEEZNS1_34radix_sort_onesweep_global_offsetsIS3_Lb1EPKS5_PS6_mNS0_19identity_decomposerEEE10hipError_tT1_T2_PT3_SG_jT4_jjP12ihipStream_tbEUlT_E_NS1_11comp_targetILNS1_3genE4ELNS1_11target_archE910ELNS1_3gpuE8ELNS1_3repE0EEENS1_52radix_sort_onesweep_histogram_config_static_selectorELNS0_4arch9wavefront6targetE0EEEvSE_.has_recursion, 0
	.set _ZN7rocprim17ROCPRIM_400000_NS6detail17trampoline_kernelINS0_14default_configENS1_35radix_sort_onesweep_config_selectorI12hip_bfloat16NS0_10empty_typeEEEZNS1_34radix_sort_onesweep_global_offsetsIS3_Lb1EPKS5_PS6_mNS0_19identity_decomposerEEE10hipError_tT1_T2_PT3_SG_jT4_jjP12ihipStream_tbEUlT_E_NS1_11comp_targetILNS1_3genE4ELNS1_11target_archE910ELNS1_3gpuE8ELNS1_3repE0EEENS1_52radix_sort_onesweep_histogram_config_static_selectorELNS0_4arch9wavefront6targetE0EEEvSE_.has_indirect_call, 0
	.section	.AMDGPU.csdata,"",@progbits
; Kernel info:
; codeLenInByte = 0
; TotalNumSgprs: 0
; NumVgprs: 0
; ScratchSize: 0
; MemoryBound: 0
; FloatMode: 240
; IeeeMode: 1
; LDSByteSize: 0 bytes/workgroup (compile time only)
; SGPRBlocks: 0
; VGPRBlocks: 0
; NumSGPRsForWavesPerEU: 1
; NumVGPRsForWavesPerEU: 1
; NamedBarCnt: 0
; Occupancy: 16
; WaveLimiterHint : 0
; COMPUTE_PGM_RSRC2:SCRATCH_EN: 0
; COMPUTE_PGM_RSRC2:USER_SGPR: 2
; COMPUTE_PGM_RSRC2:TRAP_HANDLER: 0
; COMPUTE_PGM_RSRC2:TGID_X_EN: 1
; COMPUTE_PGM_RSRC2:TGID_Y_EN: 0
; COMPUTE_PGM_RSRC2:TGID_Z_EN: 0
; COMPUTE_PGM_RSRC2:TIDIG_COMP_CNT: 0
	.section	.text._ZN7rocprim17ROCPRIM_400000_NS6detail17trampoline_kernelINS0_14default_configENS1_35radix_sort_onesweep_config_selectorI12hip_bfloat16NS0_10empty_typeEEEZNS1_34radix_sort_onesweep_global_offsetsIS3_Lb1EPKS5_PS6_mNS0_19identity_decomposerEEE10hipError_tT1_T2_PT3_SG_jT4_jjP12ihipStream_tbEUlT_E_NS1_11comp_targetILNS1_3genE3ELNS1_11target_archE908ELNS1_3gpuE7ELNS1_3repE0EEENS1_52radix_sort_onesweep_histogram_config_static_selectorELNS0_4arch9wavefront6targetE0EEEvSE_,"axG",@progbits,_ZN7rocprim17ROCPRIM_400000_NS6detail17trampoline_kernelINS0_14default_configENS1_35radix_sort_onesweep_config_selectorI12hip_bfloat16NS0_10empty_typeEEEZNS1_34radix_sort_onesweep_global_offsetsIS3_Lb1EPKS5_PS6_mNS0_19identity_decomposerEEE10hipError_tT1_T2_PT3_SG_jT4_jjP12ihipStream_tbEUlT_E_NS1_11comp_targetILNS1_3genE3ELNS1_11target_archE908ELNS1_3gpuE7ELNS1_3repE0EEENS1_52radix_sort_onesweep_histogram_config_static_selectorELNS0_4arch9wavefront6targetE0EEEvSE_,comdat
	.protected	_ZN7rocprim17ROCPRIM_400000_NS6detail17trampoline_kernelINS0_14default_configENS1_35radix_sort_onesweep_config_selectorI12hip_bfloat16NS0_10empty_typeEEEZNS1_34radix_sort_onesweep_global_offsetsIS3_Lb1EPKS5_PS6_mNS0_19identity_decomposerEEE10hipError_tT1_T2_PT3_SG_jT4_jjP12ihipStream_tbEUlT_E_NS1_11comp_targetILNS1_3genE3ELNS1_11target_archE908ELNS1_3gpuE7ELNS1_3repE0EEENS1_52radix_sort_onesweep_histogram_config_static_selectorELNS0_4arch9wavefront6targetE0EEEvSE_ ; -- Begin function _ZN7rocprim17ROCPRIM_400000_NS6detail17trampoline_kernelINS0_14default_configENS1_35radix_sort_onesweep_config_selectorI12hip_bfloat16NS0_10empty_typeEEEZNS1_34radix_sort_onesweep_global_offsetsIS3_Lb1EPKS5_PS6_mNS0_19identity_decomposerEEE10hipError_tT1_T2_PT3_SG_jT4_jjP12ihipStream_tbEUlT_E_NS1_11comp_targetILNS1_3genE3ELNS1_11target_archE908ELNS1_3gpuE7ELNS1_3repE0EEENS1_52radix_sort_onesweep_histogram_config_static_selectorELNS0_4arch9wavefront6targetE0EEEvSE_
	.globl	_ZN7rocprim17ROCPRIM_400000_NS6detail17trampoline_kernelINS0_14default_configENS1_35radix_sort_onesweep_config_selectorI12hip_bfloat16NS0_10empty_typeEEEZNS1_34radix_sort_onesweep_global_offsetsIS3_Lb1EPKS5_PS6_mNS0_19identity_decomposerEEE10hipError_tT1_T2_PT3_SG_jT4_jjP12ihipStream_tbEUlT_E_NS1_11comp_targetILNS1_3genE3ELNS1_11target_archE908ELNS1_3gpuE7ELNS1_3repE0EEENS1_52radix_sort_onesweep_histogram_config_static_selectorELNS0_4arch9wavefront6targetE0EEEvSE_
	.p2align	8
	.type	_ZN7rocprim17ROCPRIM_400000_NS6detail17trampoline_kernelINS0_14default_configENS1_35radix_sort_onesweep_config_selectorI12hip_bfloat16NS0_10empty_typeEEEZNS1_34radix_sort_onesweep_global_offsetsIS3_Lb1EPKS5_PS6_mNS0_19identity_decomposerEEE10hipError_tT1_T2_PT3_SG_jT4_jjP12ihipStream_tbEUlT_E_NS1_11comp_targetILNS1_3genE3ELNS1_11target_archE908ELNS1_3gpuE7ELNS1_3repE0EEENS1_52radix_sort_onesweep_histogram_config_static_selectorELNS0_4arch9wavefront6targetE0EEEvSE_,@function
_ZN7rocprim17ROCPRIM_400000_NS6detail17trampoline_kernelINS0_14default_configENS1_35radix_sort_onesweep_config_selectorI12hip_bfloat16NS0_10empty_typeEEEZNS1_34radix_sort_onesweep_global_offsetsIS3_Lb1EPKS5_PS6_mNS0_19identity_decomposerEEE10hipError_tT1_T2_PT3_SG_jT4_jjP12ihipStream_tbEUlT_E_NS1_11comp_targetILNS1_3genE3ELNS1_11target_archE908ELNS1_3gpuE7ELNS1_3repE0EEENS1_52radix_sort_onesweep_histogram_config_static_selectorELNS0_4arch9wavefront6targetE0EEEvSE_: ; @_ZN7rocprim17ROCPRIM_400000_NS6detail17trampoline_kernelINS0_14default_configENS1_35radix_sort_onesweep_config_selectorI12hip_bfloat16NS0_10empty_typeEEEZNS1_34radix_sort_onesweep_global_offsetsIS3_Lb1EPKS5_PS6_mNS0_19identity_decomposerEEE10hipError_tT1_T2_PT3_SG_jT4_jjP12ihipStream_tbEUlT_E_NS1_11comp_targetILNS1_3genE3ELNS1_11target_archE908ELNS1_3gpuE7ELNS1_3repE0EEENS1_52radix_sort_onesweep_histogram_config_static_selectorELNS0_4arch9wavefront6targetE0EEEvSE_
; %bb.0:
	.section	.rodata,"a",@progbits
	.p2align	6, 0x0
	.amdhsa_kernel _ZN7rocprim17ROCPRIM_400000_NS6detail17trampoline_kernelINS0_14default_configENS1_35radix_sort_onesweep_config_selectorI12hip_bfloat16NS0_10empty_typeEEEZNS1_34radix_sort_onesweep_global_offsetsIS3_Lb1EPKS5_PS6_mNS0_19identity_decomposerEEE10hipError_tT1_T2_PT3_SG_jT4_jjP12ihipStream_tbEUlT_E_NS1_11comp_targetILNS1_3genE3ELNS1_11target_archE908ELNS1_3gpuE7ELNS1_3repE0EEENS1_52radix_sort_onesweep_histogram_config_static_selectorELNS0_4arch9wavefront6targetE0EEEvSE_
		.amdhsa_group_segment_fixed_size 0
		.amdhsa_private_segment_fixed_size 0
		.amdhsa_kernarg_size 48
		.amdhsa_user_sgpr_count 2
		.amdhsa_user_sgpr_dispatch_ptr 0
		.amdhsa_user_sgpr_queue_ptr 0
		.amdhsa_user_sgpr_kernarg_segment_ptr 1
		.amdhsa_user_sgpr_dispatch_id 0
		.amdhsa_user_sgpr_kernarg_preload_length 0
		.amdhsa_user_sgpr_kernarg_preload_offset 0
		.amdhsa_user_sgpr_private_segment_size 0
		.amdhsa_wavefront_size32 1
		.amdhsa_uses_dynamic_stack 0
		.amdhsa_enable_private_segment 0
		.amdhsa_system_sgpr_workgroup_id_x 1
		.amdhsa_system_sgpr_workgroup_id_y 0
		.amdhsa_system_sgpr_workgroup_id_z 0
		.amdhsa_system_sgpr_workgroup_info 0
		.amdhsa_system_vgpr_workitem_id 0
		.amdhsa_next_free_vgpr 1
		.amdhsa_next_free_sgpr 1
		.amdhsa_named_barrier_count 0
		.amdhsa_reserve_vcc 0
		.amdhsa_float_round_mode_32 0
		.amdhsa_float_round_mode_16_64 0
		.amdhsa_float_denorm_mode_32 3
		.amdhsa_float_denorm_mode_16_64 3
		.amdhsa_fp16_overflow 0
		.amdhsa_memory_ordered 1
		.amdhsa_forward_progress 1
		.amdhsa_inst_pref_size 0
		.amdhsa_round_robin_scheduling 0
		.amdhsa_exception_fp_ieee_invalid_op 0
		.amdhsa_exception_fp_denorm_src 0
		.amdhsa_exception_fp_ieee_div_zero 0
		.amdhsa_exception_fp_ieee_overflow 0
		.amdhsa_exception_fp_ieee_underflow 0
		.amdhsa_exception_fp_ieee_inexact 0
		.amdhsa_exception_int_div_zero 0
	.end_amdhsa_kernel
	.section	.text._ZN7rocprim17ROCPRIM_400000_NS6detail17trampoline_kernelINS0_14default_configENS1_35radix_sort_onesweep_config_selectorI12hip_bfloat16NS0_10empty_typeEEEZNS1_34radix_sort_onesweep_global_offsetsIS3_Lb1EPKS5_PS6_mNS0_19identity_decomposerEEE10hipError_tT1_T2_PT3_SG_jT4_jjP12ihipStream_tbEUlT_E_NS1_11comp_targetILNS1_3genE3ELNS1_11target_archE908ELNS1_3gpuE7ELNS1_3repE0EEENS1_52radix_sort_onesweep_histogram_config_static_selectorELNS0_4arch9wavefront6targetE0EEEvSE_,"axG",@progbits,_ZN7rocprim17ROCPRIM_400000_NS6detail17trampoline_kernelINS0_14default_configENS1_35radix_sort_onesweep_config_selectorI12hip_bfloat16NS0_10empty_typeEEEZNS1_34radix_sort_onesweep_global_offsetsIS3_Lb1EPKS5_PS6_mNS0_19identity_decomposerEEE10hipError_tT1_T2_PT3_SG_jT4_jjP12ihipStream_tbEUlT_E_NS1_11comp_targetILNS1_3genE3ELNS1_11target_archE908ELNS1_3gpuE7ELNS1_3repE0EEENS1_52radix_sort_onesweep_histogram_config_static_selectorELNS0_4arch9wavefront6targetE0EEEvSE_,comdat
.Lfunc_end1943:
	.size	_ZN7rocprim17ROCPRIM_400000_NS6detail17trampoline_kernelINS0_14default_configENS1_35radix_sort_onesweep_config_selectorI12hip_bfloat16NS0_10empty_typeEEEZNS1_34radix_sort_onesweep_global_offsetsIS3_Lb1EPKS5_PS6_mNS0_19identity_decomposerEEE10hipError_tT1_T2_PT3_SG_jT4_jjP12ihipStream_tbEUlT_E_NS1_11comp_targetILNS1_3genE3ELNS1_11target_archE908ELNS1_3gpuE7ELNS1_3repE0EEENS1_52radix_sort_onesweep_histogram_config_static_selectorELNS0_4arch9wavefront6targetE0EEEvSE_, .Lfunc_end1943-_ZN7rocprim17ROCPRIM_400000_NS6detail17trampoline_kernelINS0_14default_configENS1_35radix_sort_onesweep_config_selectorI12hip_bfloat16NS0_10empty_typeEEEZNS1_34radix_sort_onesweep_global_offsetsIS3_Lb1EPKS5_PS6_mNS0_19identity_decomposerEEE10hipError_tT1_T2_PT3_SG_jT4_jjP12ihipStream_tbEUlT_E_NS1_11comp_targetILNS1_3genE3ELNS1_11target_archE908ELNS1_3gpuE7ELNS1_3repE0EEENS1_52radix_sort_onesweep_histogram_config_static_selectorELNS0_4arch9wavefront6targetE0EEEvSE_
                                        ; -- End function
	.set _ZN7rocprim17ROCPRIM_400000_NS6detail17trampoline_kernelINS0_14default_configENS1_35radix_sort_onesweep_config_selectorI12hip_bfloat16NS0_10empty_typeEEEZNS1_34radix_sort_onesweep_global_offsetsIS3_Lb1EPKS5_PS6_mNS0_19identity_decomposerEEE10hipError_tT1_T2_PT3_SG_jT4_jjP12ihipStream_tbEUlT_E_NS1_11comp_targetILNS1_3genE3ELNS1_11target_archE908ELNS1_3gpuE7ELNS1_3repE0EEENS1_52radix_sort_onesweep_histogram_config_static_selectorELNS0_4arch9wavefront6targetE0EEEvSE_.num_vgpr, 0
	.set _ZN7rocprim17ROCPRIM_400000_NS6detail17trampoline_kernelINS0_14default_configENS1_35radix_sort_onesweep_config_selectorI12hip_bfloat16NS0_10empty_typeEEEZNS1_34radix_sort_onesweep_global_offsetsIS3_Lb1EPKS5_PS6_mNS0_19identity_decomposerEEE10hipError_tT1_T2_PT3_SG_jT4_jjP12ihipStream_tbEUlT_E_NS1_11comp_targetILNS1_3genE3ELNS1_11target_archE908ELNS1_3gpuE7ELNS1_3repE0EEENS1_52radix_sort_onesweep_histogram_config_static_selectorELNS0_4arch9wavefront6targetE0EEEvSE_.num_agpr, 0
	.set _ZN7rocprim17ROCPRIM_400000_NS6detail17trampoline_kernelINS0_14default_configENS1_35radix_sort_onesweep_config_selectorI12hip_bfloat16NS0_10empty_typeEEEZNS1_34radix_sort_onesweep_global_offsetsIS3_Lb1EPKS5_PS6_mNS0_19identity_decomposerEEE10hipError_tT1_T2_PT3_SG_jT4_jjP12ihipStream_tbEUlT_E_NS1_11comp_targetILNS1_3genE3ELNS1_11target_archE908ELNS1_3gpuE7ELNS1_3repE0EEENS1_52radix_sort_onesweep_histogram_config_static_selectorELNS0_4arch9wavefront6targetE0EEEvSE_.numbered_sgpr, 0
	.set _ZN7rocprim17ROCPRIM_400000_NS6detail17trampoline_kernelINS0_14default_configENS1_35radix_sort_onesweep_config_selectorI12hip_bfloat16NS0_10empty_typeEEEZNS1_34radix_sort_onesweep_global_offsetsIS3_Lb1EPKS5_PS6_mNS0_19identity_decomposerEEE10hipError_tT1_T2_PT3_SG_jT4_jjP12ihipStream_tbEUlT_E_NS1_11comp_targetILNS1_3genE3ELNS1_11target_archE908ELNS1_3gpuE7ELNS1_3repE0EEENS1_52radix_sort_onesweep_histogram_config_static_selectorELNS0_4arch9wavefront6targetE0EEEvSE_.num_named_barrier, 0
	.set _ZN7rocprim17ROCPRIM_400000_NS6detail17trampoline_kernelINS0_14default_configENS1_35radix_sort_onesweep_config_selectorI12hip_bfloat16NS0_10empty_typeEEEZNS1_34radix_sort_onesweep_global_offsetsIS3_Lb1EPKS5_PS6_mNS0_19identity_decomposerEEE10hipError_tT1_T2_PT3_SG_jT4_jjP12ihipStream_tbEUlT_E_NS1_11comp_targetILNS1_3genE3ELNS1_11target_archE908ELNS1_3gpuE7ELNS1_3repE0EEENS1_52radix_sort_onesweep_histogram_config_static_selectorELNS0_4arch9wavefront6targetE0EEEvSE_.private_seg_size, 0
	.set _ZN7rocprim17ROCPRIM_400000_NS6detail17trampoline_kernelINS0_14default_configENS1_35radix_sort_onesweep_config_selectorI12hip_bfloat16NS0_10empty_typeEEEZNS1_34radix_sort_onesweep_global_offsetsIS3_Lb1EPKS5_PS6_mNS0_19identity_decomposerEEE10hipError_tT1_T2_PT3_SG_jT4_jjP12ihipStream_tbEUlT_E_NS1_11comp_targetILNS1_3genE3ELNS1_11target_archE908ELNS1_3gpuE7ELNS1_3repE0EEENS1_52radix_sort_onesweep_histogram_config_static_selectorELNS0_4arch9wavefront6targetE0EEEvSE_.uses_vcc, 0
	.set _ZN7rocprim17ROCPRIM_400000_NS6detail17trampoline_kernelINS0_14default_configENS1_35radix_sort_onesweep_config_selectorI12hip_bfloat16NS0_10empty_typeEEEZNS1_34radix_sort_onesweep_global_offsetsIS3_Lb1EPKS5_PS6_mNS0_19identity_decomposerEEE10hipError_tT1_T2_PT3_SG_jT4_jjP12ihipStream_tbEUlT_E_NS1_11comp_targetILNS1_3genE3ELNS1_11target_archE908ELNS1_3gpuE7ELNS1_3repE0EEENS1_52radix_sort_onesweep_histogram_config_static_selectorELNS0_4arch9wavefront6targetE0EEEvSE_.uses_flat_scratch, 0
	.set _ZN7rocprim17ROCPRIM_400000_NS6detail17trampoline_kernelINS0_14default_configENS1_35radix_sort_onesweep_config_selectorI12hip_bfloat16NS0_10empty_typeEEEZNS1_34radix_sort_onesweep_global_offsetsIS3_Lb1EPKS5_PS6_mNS0_19identity_decomposerEEE10hipError_tT1_T2_PT3_SG_jT4_jjP12ihipStream_tbEUlT_E_NS1_11comp_targetILNS1_3genE3ELNS1_11target_archE908ELNS1_3gpuE7ELNS1_3repE0EEENS1_52radix_sort_onesweep_histogram_config_static_selectorELNS0_4arch9wavefront6targetE0EEEvSE_.has_dyn_sized_stack, 0
	.set _ZN7rocprim17ROCPRIM_400000_NS6detail17trampoline_kernelINS0_14default_configENS1_35radix_sort_onesweep_config_selectorI12hip_bfloat16NS0_10empty_typeEEEZNS1_34radix_sort_onesweep_global_offsetsIS3_Lb1EPKS5_PS6_mNS0_19identity_decomposerEEE10hipError_tT1_T2_PT3_SG_jT4_jjP12ihipStream_tbEUlT_E_NS1_11comp_targetILNS1_3genE3ELNS1_11target_archE908ELNS1_3gpuE7ELNS1_3repE0EEENS1_52radix_sort_onesweep_histogram_config_static_selectorELNS0_4arch9wavefront6targetE0EEEvSE_.has_recursion, 0
	.set _ZN7rocprim17ROCPRIM_400000_NS6detail17trampoline_kernelINS0_14default_configENS1_35radix_sort_onesweep_config_selectorI12hip_bfloat16NS0_10empty_typeEEEZNS1_34radix_sort_onesweep_global_offsetsIS3_Lb1EPKS5_PS6_mNS0_19identity_decomposerEEE10hipError_tT1_T2_PT3_SG_jT4_jjP12ihipStream_tbEUlT_E_NS1_11comp_targetILNS1_3genE3ELNS1_11target_archE908ELNS1_3gpuE7ELNS1_3repE0EEENS1_52radix_sort_onesweep_histogram_config_static_selectorELNS0_4arch9wavefront6targetE0EEEvSE_.has_indirect_call, 0
	.section	.AMDGPU.csdata,"",@progbits
; Kernel info:
; codeLenInByte = 0
; TotalNumSgprs: 0
; NumVgprs: 0
; ScratchSize: 0
; MemoryBound: 0
; FloatMode: 240
; IeeeMode: 1
; LDSByteSize: 0 bytes/workgroup (compile time only)
; SGPRBlocks: 0
; VGPRBlocks: 0
; NumSGPRsForWavesPerEU: 1
; NumVGPRsForWavesPerEU: 1
; NamedBarCnt: 0
; Occupancy: 16
; WaveLimiterHint : 0
; COMPUTE_PGM_RSRC2:SCRATCH_EN: 0
; COMPUTE_PGM_RSRC2:USER_SGPR: 2
; COMPUTE_PGM_RSRC2:TRAP_HANDLER: 0
; COMPUTE_PGM_RSRC2:TGID_X_EN: 1
; COMPUTE_PGM_RSRC2:TGID_Y_EN: 0
; COMPUTE_PGM_RSRC2:TGID_Z_EN: 0
; COMPUTE_PGM_RSRC2:TIDIG_COMP_CNT: 0
	.section	.text._ZN7rocprim17ROCPRIM_400000_NS6detail17trampoline_kernelINS0_14default_configENS1_35radix_sort_onesweep_config_selectorI12hip_bfloat16NS0_10empty_typeEEEZNS1_34radix_sort_onesweep_global_offsetsIS3_Lb1EPKS5_PS6_mNS0_19identity_decomposerEEE10hipError_tT1_T2_PT3_SG_jT4_jjP12ihipStream_tbEUlT_E_NS1_11comp_targetILNS1_3genE10ELNS1_11target_archE1201ELNS1_3gpuE5ELNS1_3repE0EEENS1_52radix_sort_onesweep_histogram_config_static_selectorELNS0_4arch9wavefront6targetE0EEEvSE_,"axG",@progbits,_ZN7rocprim17ROCPRIM_400000_NS6detail17trampoline_kernelINS0_14default_configENS1_35radix_sort_onesweep_config_selectorI12hip_bfloat16NS0_10empty_typeEEEZNS1_34radix_sort_onesweep_global_offsetsIS3_Lb1EPKS5_PS6_mNS0_19identity_decomposerEEE10hipError_tT1_T2_PT3_SG_jT4_jjP12ihipStream_tbEUlT_E_NS1_11comp_targetILNS1_3genE10ELNS1_11target_archE1201ELNS1_3gpuE5ELNS1_3repE0EEENS1_52radix_sort_onesweep_histogram_config_static_selectorELNS0_4arch9wavefront6targetE0EEEvSE_,comdat
	.protected	_ZN7rocprim17ROCPRIM_400000_NS6detail17trampoline_kernelINS0_14default_configENS1_35radix_sort_onesweep_config_selectorI12hip_bfloat16NS0_10empty_typeEEEZNS1_34radix_sort_onesweep_global_offsetsIS3_Lb1EPKS5_PS6_mNS0_19identity_decomposerEEE10hipError_tT1_T2_PT3_SG_jT4_jjP12ihipStream_tbEUlT_E_NS1_11comp_targetILNS1_3genE10ELNS1_11target_archE1201ELNS1_3gpuE5ELNS1_3repE0EEENS1_52radix_sort_onesweep_histogram_config_static_selectorELNS0_4arch9wavefront6targetE0EEEvSE_ ; -- Begin function _ZN7rocprim17ROCPRIM_400000_NS6detail17trampoline_kernelINS0_14default_configENS1_35radix_sort_onesweep_config_selectorI12hip_bfloat16NS0_10empty_typeEEEZNS1_34radix_sort_onesweep_global_offsetsIS3_Lb1EPKS5_PS6_mNS0_19identity_decomposerEEE10hipError_tT1_T2_PT3_SG_jT4_jjP12ihipStream_tbEUlT_E_NS1_11comp_targetILNS1_3genE10ELNS1_11target_archE1201ELNS1_3gpuE5ELNS1_3repE0EEENS1_52radix_sort_onesweep_histogram_config_static_selectorELNS0_4arch9wavefront6targetE0EEEvSE_
	.globl	_ZN7rocprim17ROCPRIM_400000_NS6detail17trampoline_kernelINS0_14default_configENS1_35radix_sort_onesweep_config_selectorI12hip_bfloat16NS0_10empty_typeEEEZNS1_34radix_sort_onesweep_global_offsetsIS3_Lb1EPKS5_PS6_mNS0_19identity_decomposerEEE10hipError_tT1_T2_PT3_SG_jT4_jjP12ihipStream_tbEUlT_E_NS1_11comp_targetILNS1_3genE10ELNS1_11target_archE1201ELNS1_3gpuE5ELNS1_3repE0EEENS1_52radix_sort_onesweep_histogram_config_static_selectorELNS0_4arch9wavefront6targetE0EEEvSE_
	.p2align	8
	.type	_ZN7rocprim17ROCPRIM_400000_NS6detail17trampoline_kernelINS0_14default_configENS1_35radix_sort_onesweep_config_selectorI12hip_bfloat16NS0_10empty_typeEEEZNS1_34radix_sort_onesweep_global_offsetsIS3_Lb1EPKS5_PS6_mNS0_19identity_decomposerEEE10hipError_tT1_T2_PT3_SG_jT4_jjP12ihipStream_tbEUlT_E_NS1_11comp_targetILNS1_3genE10ELNS1_11target_archE1201ELNS1_3gpuE5ELNS1_3repE0EEENS1_52radix_sort_onesweep_histogram_config_static_selectorELNS0_4arch9wavefront6targetE0EEEvSE_,@function
_ZN7rocprim17ROCPRIM_400000_NS6detail17trampoline_kernelINS0_14default_configENS1_35radix_sort_onesweep_config_selectorI12hip_bfloat16NS0_10empty_typeEEEZNS1_34radix_sort_onesweep_global_offsetsIS3_Lb1EPKS5_PS6_mNS0_19identity_decomposerEEE10hipError_tT1_T2_PT3_SG_jT4_jjP12ihipStream_tbEUlT_E_NS1_11comp_targetILNS1_3genE10ELNS1_11target_archE1201ELNS1_3gpuE5ELNS1_3repE0EEENS1_52radix_sort_onesweep_histogram_config_static_selectorELNS0_4arch9wavefront6targetE0EEEvSE_: ; @_ZN7rocprim17ROCPRIM_400000_NS6detail17trampoline_kernelINS0_14default_configENS1_35radix_sort_onesweep_config_selectorI12hip_bfloat16NS0_10empty_typeEEEZNS1_34radix_sort_onesweep_global_offsetsIS3_Lb1EPKS5_PS6_mNS0_19identity_decomposerEEE10hipError_tT1_T2_PT3_SG_jT4_jjP12ihipStream_tbEUlT_E_NS1_11comp_targetILNS1_3genE10ELNS1_11target_archE1201ELNS1_3gpuE5ELNS1_3repE0EEENS1_52radix_sort_onesweep_histogram_config_static_selectorELNS0_4arch9wavefront6targetE0EEEvSE_
; %bb.0:
	.section	.rodata,"a",@progbits
	.p2align	6, 0x0
	.amdhsa_kernel _ZN7rocprim17ROCPRIM_400000_NS6detail17trampoline_kernelINS0_14default_configENS1_35radix_sort_onesweep_config_selectorI12hip_bfloat16NS0_10empty_typeEEEZNS1_34radix_sort_onesweep_global_offsetsIS3_Lb1EPKS5_PS6_mNS0_19identity_decomposerEEE10hipError_tT1_T2_PT3_SG_jT4_jjP12ihipStream_tbEUlT_E_NS1_11comp_targetILNS1_3genE10ELNS1_11target_archE1201ELNS1_3gpuE5ELNS1_3repE0EEENS1_52radix_sort_onesweep_histogram_config_static_selectorELNS0_4arch9wavefront6targetE0EEEvSE_
		.amdhsa_group_segment_fixed_size 0
		.amdhsa_private_segment_fixed_size 0
		.amdhsa_kernarg_size 48
		.amdhsa_user_sgpr_count 2
		.amdhsa_user_sgpr_dispatch_ptr 0
		.amdhsa_user_sgpr_queue_ptr 0
		.amdhsa_user_sgpr_kernarg_segment_ptr 1
		.amdhsa_user_sgpr_dispatch_id 0
		.amdhsa_user_sgpr_kernarg_preload_length 0
		.amdhsa_user_sgpr_kernarg_preload_offset 0
		.amdhsa_user_sgpr_private_segment_size 0
		.amdhsa_wavefront_size32 1
		.amdhsa_uses_dynamic_stack 0
		.amdhsa_enable_private_segment 0
		.amdhsa_system_sgpr_workgroup_id_x 1
		.amdhsa_system_sgpr_workgroup_id_y 0
		.amdhsa_system_sgpr_workgroup_id_z 0
		.amdhsa_system_sgpr_workgroup_info 0
		.amdhsa_system_vgpr_workitem_id 0
		.amdhsa_next_free_vgpr 1
		.amdhsa_next_free_sgpr 1
		.amdhsa_named_barrier_count 0
		.amdhsa_reserve_vcc 0
		.amdhsa_float_round_mode_32 0
		.amdhsa_float_round_mode_16_64 0
		.amdhsa_float_denorm_mode_32 3
		.amdhsa_float_denorm_mode_16_64 3
		.amdhsa_fp16_overflow 0
		.amdhsa_memory_ordered 1
		.amdhsa_forward_progress 1
		.amdhsa_inst_pref_size 0
		.amdhsa_round_robin_scheduling 0
		.amdhsa_exception_fp_ieee_invalid_op 0
		.amdhsa_exception_fp_denorm_src 0
		.amdhsa_exception_fp_ieee_div_zero 0
		.amdhsa_exception_fp_ieee_overflow 0
		.amdhsa_exception_fp_ieee_underflow 0
		.amdhsa_exception_fp_ieee_inexact 0
		.amdhsa_exception_int_div_zero 0
	.end_amdhsa_kernel
	.section	.text._ZN7rocprim17ROCPRIM_400000_NS6detail17trampoline_kernelINS0_14default_configENS1_35radix_sort_onesweep_config_selectorI12hip_bfloat16NS0_10empty_typeEEEZNS1_34radix_sort_onesweep_global_offsetsIS3_Lb1EPKS5_PS6_mNS0_19identity_decomposerEEE10hipError_tT1_T2_PT3_SG_jT4_jjP12ihipStream_tbEUlT_E_NS1_11comp_targetILNS1_3genE10ELNS1_11target_archE1201ELNS1_3gpuE5ELNS1_3repE0EEENS1_52radix_sort_onesweep_histogram_config_static_selectorELNS0_4arch9wavefront6targetE0EEEvSE_,"axG",@progbits,_ZN7rocprim17ROCPRIM_400000_NS6detail17trampoline_kernelINS0_14default_configENS1_35radix_sort_onesweep_config_selectorI12hip_bfloat16NS0_10empty_typeEEEZNS1_34radix_sort_onesweep_global_offsetsIS3_Lb1EPKS5_PS6_mNS0_19identity_decomposerEEE10hipError_tT1_T2_PT3_SG_jT4_jjP12ihipStream_tbEUlT_E_NS1_11comp_targetILNS1_3genE10ELNS1_11target_archE1201ELNS1_3gpuE5ELNS1_3repE0EEENS1_52radix_sort_onesweep_histogram_config_static_selectorELNS0_4arch9wavefront6targetE0EEEvSE_,comdat
.Lfunc_end1944:
	.size	_ZN7rocprim17ROCPRIM_400000_NS6detail17trampoline_kernelINS0_14default_configENS1_35radix_sort_onesweep_config_selectorI12hip_bfloat16NS0_10empty_typeEEEZNS1_34radix_sort_onesweep_global_offsetsIS3_Lb1EPKS5_PS6_mNS0_19identity_decomposerEEE10hipError_tT1_T2_PT3_SG_jT4_jjP12ihipStream_tbEUlT_E_NS1_11comp_targetILNS1_3genE10ELNS1_11target_archE1201ELNS1_3gpuE5ELNS1_3repE0EEENS1_52radix_sort_onesweep_histogram_config_static_selectorELNS0_4arch9wavefront6targetE0EEEvSE_, .Lfunc_end1944-_ZN7rocprim17ROCPRIM_400000_NS6detail17trampoline_kernelINS0_14default_configENS1_35radix_sort_onesweep_config_selectorI12hip_bfloat16NS0_10empty_typeEEEZNS1_34radix_sort_onesweep_global_offsetsIS3_Lb1EPKS5_PS6_mNS0_19identity_decomposerEEE10hipError_tT1_T2_PT3_SG_jT4_jjP12ihipStream_tbEUlT_E_NS1_11comp_targetILNS1_3genE10ELNS1_11target_archE1201ELNS1_3gpuE5ELNS1_3repE0EEENS1_52radix_sort_onesweep_histogram_config_static_selectorELNS0_4arch9wavefront6targetE0EEEvSE_
                                        ; -- End function
	.set _ZN7rocprim17ROCPRIM_400000_NS6detail17trampoline_kernelINS0_14default_configENS1_35radix_sort_onesweep_config_selectorI12hip_bfloat16NS0_10empty_typeEEEZNS1_34radix_sort_onesweep_global_offsetsIS3_Lb1EPKS5_PS6_mNS0_19identity_decomposerEEE10hipError_tT1_T2_PT3_SG_jT4_jjP12ihipStream_tbEUlT_E_NS1_11comp_targetILNS1_3genE10ELNS1_11target_archE1201ELNS1_3gpuE5ELNS1_3repE0EEENS1_52radix_sort_onesweep_histogram_config_static_selectorELNS0_4arch9wavefront6targetE0EEEvSE_.num_vgpr, 0
	.set _ZN7rocprim17ROCPRIM_400000_NS6detail17trampoline_kernelINS0_14default_configENS1_35radix_sort_onesweep_config_selectorI12hip_bfloat16NS0_10empty_typeEEEZNS1_34radix_sort_onesweep_global_offsetsIS3_Lb1EPKS5_PS6_mNS0_19identity_decomposerEEE10hipError_tT1_T2_PT3_SG_jT4_jjP12ihipStream_tbEUlT_E_NS1_11comp_targetILNS1_3genE10ELNS1_11target_archE1201ELNS1_3gpuE5ELNS1_3repE0EEENS1_52radix_sort_onesweep_histogram_config_static_selectorELNS0_4arch9wavefront6targetE0EEEvSE_.num_agpr, 0
	.set _ZN7rocprim17ROCPRIM_400000_NS6detail17trampoline_kernelINS0_14default_configENS1_35radix_sort_onesweep_config_selectorI12hip_bfloat16NS0_10empty_typeEEEZNS1_34radix_sort_onesweep_global_offsetsIS3_Lb1EPKS5_PS6_mNS0_19identity_decomposerEEE10hipError_tT1_T2_PT3_SG_jT4_jjP12ihipStream_tbEUlT_E_NS1_11comp_targetILNS1_3genE10ELNS1_11target_archE1201ELNS1_3gpuE5ELNS1_3repE0EEENS1_52radix_sort_onesweep_histogram_config_static_selectorELNS0_4arch9wavefront6targetE0EEEvSE_.numbered_sgpr, 0
	.set _ZN7rocprim17ROCPRIM_400000_NS6detail17trampoline_kernelINS0_14default_configENS1_35radix_sort_onesweep_config_selectorI12hip_bfloat16NS0_10empty_typeEEEZNS1_34radix_sort_onesweep_global_offsetsIS3_Lb1EPKS5_PS6_mNS0_19identity_decomposerEEE10hipError_tT1_T2_PT3_SG_jT4_jjP12ihipStream_tbEUlT_E_NS1_11comp_targetILNS1_3genE10ELNS1_11target_archE1201ELNS1_3gpuE5ELNS1_3repE0EEENS1_52radix_sort_onesweep_histogram_config_static_selectorELNS0_4arch9wavefront6targetE0EEEvSE_.num_named_barrier, 0
	.set _ZN7rocprim17ROCPRIM_400000_NS6detail17trampoline_kernelINS0_14default_configENS1_35radix_sort_onesweep_config_selectorI12hip_bfloat16NS0_10empty_typeEEEZNS1_34radix_sort_onesweep_global_offsetsIS3_Lb1EPKS5_PS6_mNS0_19identity_decomposerEEE10hipError_tT1_T2_PT3_SG_jT4_jjP12ihipStream_tbEUlT_E_NS1_11comp_targetILNS1_3genE10ELNS1_11target_archE1201ELNS1_3gpuE5ELNS1_3repE0EEENS1_52radix_sort_onesweep_histogram_config_static_selectorELNS0_4arch9wavefront6targetE0EEEvSE_.private_seg_size, 0
	.set _ZN7rocprim17ROCPRIM_400000_NS6detail17trampoline_kernelINS0_14default_configENS1_35radix_sort_onesweep_config_selectorI12hip_bfloat16NS0_10empty_typeEEEZNS1_34radix_sort_onesweep_global_offsetsIS3_Lb1EPKS5_PS6_mNS0_19identity_decomposerEEE10hipError_tT1_T2_PT3_SG_jT4_jjP12ihipStream_tbEUlT_E_NS1_11comp_targetILNS1_3genE10ELNS1_11target_archE1201ELNS1_3gpuE5ELNS1_3repE0EEENS1_52radix_sort_onesweep_histogram_config_static_selectorELNS0_4arch9wavefront6targetE0EEEvSE_.uses_vcc, 0
	.set _ZN7rocprim17ROCPRIM_400000_NS6detail17trampoline_kernelINS0_14default_configENS1_35radix_sort_onesweep_config_selectorI12hip_bfloat16NS0_10empty_typeEEEZNS1_34radix_sort_onesweep_global_offsetsIS3_Lb1EPKS5_PS6_mNS0_19identity_decomposerEEE10hipError_tT1_T2_PT3_SG_jT4_jjP12ihipStream_tbEUlT_E_NS1_11comp_targetILNS1_3genE10ELNS1_11target_archE1201ELNS1_3gpuE5ELNS1_3repE0EEENS1_52radix_sort_onesweep_histogram_config_static_selectorELNS0_4arch9wavefront6targetE0EEEvSE_.uses_flat_scratch, 0
	.set _ZN7rocprim17ROCPRIM_400000_NS6detail17trampoline_kernelINS0_14default_configENS1_35radix_sort_onesweep_config_selectorI12hip_bfloat16NS0_10empty_typeEEEZNS1_34radix_sort_onesweep_global_offsetsIS3_Lb1EPKS5_PS6_mNS0_19identity_decomposerEEE10hipError_tT1_T2_PT3_SG_jT4_jjP12ihipStream_tbEUlT_E_NS1_11comp_targetILNS1_3genE10ELNS1_11target_archE1201ELNS1_3gpuE5ELNS1_3repE0EEENS1_52radix_sort_onesweep_histogram_config_static_selectorELNS0_4arch9wavefront6targetE0EEEvSE_.has_dyn_sized_stack, 0
	.set _ZN7rocprim17ROCPRIM_400000_NS6detail17trampoline_kernelINS0_14default_configENS1_35radix_sort_onesweep_config_selectorI12hip_bfloat16NS0_10empty_typeEEEZNS1_34radix_sort_onesweep_global_offsetsIS3_Lb1EPKS5_PS6_mNS0_19identity_decomposerEEE10hipError_tT1_T2_PT3_SG_jT4_jjP12ihipStream_tbEUlT_E_NS1_11comp_targetILNS1_3genE10ELNS1_11target_archE1201ELNS1_3gpuE5ELNS1_3repE0EEENS1_52radix_sort_onesweep_histogram_config_static_selectorELNS0_4arch9wavefront6targetE0EEEvSE_.has_recursion, 0
	.set _ZN7rocprim17ROCPRIM_400000_NS6detail17trampoline_kernelINS0_14default_configENS1_35radix_sort_onesweep_config_selectorI12hip_bfloat16NS0_10empty_typeEEEZNS1_34radix_sort_onesweep_global_offsetsIS3_Lb1EPKS5_PS6_mNS0_19identity_decomposerEEE10hipError_tT1_T2_PT3_SG_jT4_jjP12ihipStream_tbEUlT_E_NS1_11comp_targetILNS1_3genE10ELNS1_11target_archE1201ELNS1_3gpuE5ELNS1_3repE0EEENS1_52radix_sort_onesweep_histogram_config_static_selectorELNS0_4arch9wavefront6targetE0EEEvSE_.has_indirect_call, 0
	.section	.AMDGPU.csdata,"",@progbits
; Kernel info:
; codeLenInByte = 0
; TotalNumSgprs: 0
; NumVgprs: 0
; ScratchSize: 0
; MemoryBound: 0
; FloatMode: 240
; IeeeMode: 1
; LDSByteSize: 0 bytes/workgroup (compile time only)
; SGPRBlocks: 0
; VGPRBlocks: 0
; NumSGPRsForWavesPerEU: 1
; NumVGPRsForWavesPerEU: 1
; NamedBarCnt: 0
; Occupancy: 16
; WaveLimiterHint : 0
; COMPUTE_PGM_RSRC2:SCRATCH_EN: 0
; COMPUTE_PGM_RSRC2:USER_SGPR: 2
; COMPUTE_PGM_RSRC2:TRAP_HANDLER: 0
; COMPUTE_PGM_RSRC2:TGID_X_EN: 1
; COMPUTE_PGM_RSRC2:TGID_Y_EN: 0
; COMPUTE_PGM_RSRC2:TGID_Z_EN: 0
; COMPUTE_PGM_RSRC2:TIDIG_COMP_CNT: 0
	.section	.text._ZN7rocprim17ROCPRIM_400000_NS6detail17trampoline_kernelINS0_14default_configENS1_35radix_sort_onesweep_config_selectorI12hip_bfloat16NS0_10empty_typeEEEZNS1_34radix_sort_onesweep_global_offsetsIS3_Lb1EPKS5_PS6_mNS0_19identity_decomposerEEE10hipError_tT1_T2_PT3_SG_jT4_jjP12ihipStream_tbEUlT_E_NS1_11comp_targetILNS1_3genE9ELNS1_11target_archE1100ELNS1_3gpuE3ELNS1_3repE0EEENS1_52radix_sort_onesweep_histogram_config_static_selectorELNS0_4arch9wavefront6targetE0EEEvSE_,"axG",@progbits,_ZN7rocprim17ROCPRIM_400000_NS6detail17trampoline_kernelINS0_14default_configENS1_35radix_sort_onesweep_config_selectorI12hip_bfloat16NS0_10empty_typeEEEZNS1_34radix_sort_onesweep_global_offsetsIS3_Lb1EPKS5_PS6_mNS0_19identity_decomposerEEE10hipError_tT1_T2_PT3_SG_jT4_jjP12ihipStream_tbEUlT_E_NS1_11comp_targetILNS1_3genE9ELNS1_11target_archE1100ELNS1_3gpuE3ELNS1_3repE0EEENS1_52radix_sort_onesweep_histogram_config_static_selectorELNS0_4arch9wavefront6targetE0EEEvSE_,comdat
	.protected	_ZN7rocprim17ROCPRIM_400000_NS6detail17trampoline_kernelINS0_14default_configENS1_35radix_sort_onesweep_config_selectorI12hip_bfloat16NS0_10empty_typeEEEZNS1_34radix_sort_onesweep_global_offsetsIS3_Lb1EPKS5_PS6_mNS0_19identity_decomposerEEE10hipError_tT1_T2_PT3_SG_jT4_jjP12ihipStream_tbEUlT_E_NS1_11comp_targetILNS1_3genE9ELNS1_11target_archE1100ELNS1_3gpuE3ELNS1_3repE0EEENS1_52radix_sort_onesweep_histogram_config_static_selectorELNS0_4arch9wavefront6targetE0EEEvSE_ ; -- Begin function _ZN7rocprim17ROCPRIM_400000_NS6detail17trampoline_kernelINS0_14default_configENS1_35radix_sort_onesweep_config_selectorI12hip_bfloat16NS0_10empty_typeEEEZNS1_34radix_sort_onesweep_global_offsetsIS3_Lb1EPKS5_PS6_mNS0_19identity_decomposerEEE10hipError_tT1_T2_PT3_SG_jT4_jjP12ihipStream_tbEUlT_E_NS1_11comp_targetILNS1_3genE9ELNS1_11target_archE1100ELNS1_3gpuE3ELNS1_3repE0EEENS1_52radix_sort_onesweep_histogram_config_static_selectorELNS0_4arch9wavefront6targetE0EEEvSE_
	.globl	_ZN7rocprim17ROCPRIM_400000_NS6detail17trampoline_kernelINS0_14default_configENS1_35radix_sort_onesweep_config_selectorI12hip_bfloat16NS0_10empty_typeEEEZNS1_34radix_sort_onesweep_global_offsetsIS3_Lb1EPKS5_PS6_mNS0_19identity_decomposerEEE10hipError_tT1_T2_PT3_SG_jT4_jjP12ihipStream_tbEUlT_E_NS1_11comp_targetILNS1_3genE9ELNS1_11target_archE1100ELNS1_3gpuE3ELNS1_3repE0EEENS1_52radix_sort_onesweep_histogram_config_static_selectorELNS0_4arch9wavefront6targetE0EEEvSE_
	.p2align	8
	.type	_ZN7rocprim17ROCPRIM_400000_NS6detail17trampoline_kernelINS0_14default_configENS1_35radix_sort_onesweep_config_selectorI12hip_bfloat16NS0_10empty_typeEEEZNS1_34radix_sort_onesweep_global_offsetsIS3_Lb1EPKS5_PS6_mNS0_19identity_decomposerEEE10hipError_tT1_T2_PT3_SG_jT4_jjP12ihipStream_tbEUlT_E_NS1_11comp_targetILNS1_3genE9ELNS1_11target_archE1100ELNS1_3gpuE3ELNS1_3repE0EEENS1_52radix_sort_onesweep_histogram_config_static_selectorELNS0_4arch9wavefront6targetE0EEEvSE_,@function
_ZN7rocprim17ROCPRIM_400000_NS6detail17trampoline_kernelINS0_14default_configENS1_35radix_sort_onesweep_config_selectorI12hip_bfloat16NS0_10empty_typeEEEZNS1_34radix_sort_onesweep_global_offsetsIS3_Lb1EPKS5_PS6_mNS0_19identity_decomposerEEE10hipError_tT1_T2_PT3_SG_jT4_jjP12ihipStream_tbEUlT_E_NS1_11comp_targetILNS1_3genE9ELNS1_11target_archE1100ELNS1_3gpuE3ELNS1_3repE0EEENS1_52radix_sort_onesweep_histogram_config_static_selectorELNS0_4arch9wavefront6targetE0EEEvSE_: ; @_ZN7rocprim17ROCPRIM_400000_NS6detail17trampoline_kernelINS0_14default_configENS1_35radix_sort_onesweep_config_selectorI12hip_bfloat16NS0_10empty_typeEEEZNS1_34radix_sort_onesweep_global_offsetsIS3_Lb1EPKS5_PS6_mNS0_19identity_decomposerEEE10hipError_tT1_T2_PT3_SG_jT4_jjP12ihipStream_tbEUlT_E_NS1_11comp_targetILNS1_3genE9ELNS1_11target_archE1100ELNS1_3gpuE3ELNS1_3repE0EEENS1_52radix_sort_onesweep_histogram_config_static_selectorELNS0_4arch9wavefront6targetE0EEEvSE_
; %bb.0:
	.section	.rodata,"a",@progbits
	.p2align	6, 0x0
	.amdhsa_kernel _ZN7rocprim17ROCPRIM_400000_NS6detail17trampoline_kernelINS0_14default_configENS1_35radix_sort_onesweep_config_selectorI12hip_bfloat16NS0_10empty_typeEEEZNS1_34radix_sort_onesweep_global_offsetsIS3_Lb1EPKS5_PS6_mNS0_19identity_decomposerEEE10hipError_tT1_T2_PT3_SG_jT4_jjP12ihipStream_tbEUlT_E_NS1_11comp_targetILNS1_3genE9ELNS1_11target_archE1100ELNS1_3gpuE3ELNS1_3repE0EEENS1_52radix_sort_onesweep_histogram_config_static_selectorELNS0_4arch9wavefront6targetE0EEEvSE_
		.amdhsa_group_segment_fixed_size 0
		.amdhsa_private_segment_fixed_size 0
		.amdhsa_kernarg_size 48
		.amdhsa_user_sgpr_count 2
		.amdhsa_user_sgpr_dispatch_ptr 0
		.amdhsa_user_sgpr_queue_ptr 0
		.amdhsa_user_sgpr_kernarg_segment_ptr 1
		.amdhsa_user_sgpr_dispatch_id 0
		.amdhsa_user_sgpr_kernarg_preload_length 0
		.amdhsa_user_sgpr_kernarg_preload_offset 0
		.amdhsa_user_sgpr_private_segment_size 0
		.amdhsa_wavefront_size32 1
		.amdhsa_uses_dynamic_stack 0
		.amdhsa_enable_private_segment 0
		.amdhsa_system_sgpr_workgroup_id_x 1
		.amdhsa_system_sgpr_workgroup_id_y 0
		.amdhsa_system_sgpr_workgroup_id_z 0
		.amdhsa_system_sgpr_workgroup_info 0
		.amdhsa_system_vgpr_workitem_id 0
		.amdhsa_next_free_vgpr 1
		.amdhsa_next_free_sgpr 1
		.amdhsa_named_barrier_count 0
		.amdhsa_reserve_vcc 0
		.amdhsa_float_round_mode_32 0
		.amdhsa_float_round_mode_16_64 0
		.amdhsa_float_denorm_mode_32 3
		.amdhsa_float_denorm_mode_16_64 3
		.amdhsa_fp16_overflow 0
		.amdhsa_memory_ordered 1
		.amdhsa_forward_progress 1
		.amdhsa_inst_pref_size 0
		.amdhsa_round_robin_scheduling 0
		.amdhsa_exception_fp_ieee_invalid_op 0
		.amdhsa_exception_fp_denorm_src 0
		.amdhsa_exception_fp_ieee_div_zero 0
		.amdhsa_exception_fp_ieee_overflow 0
		.amdhsa_exception_fp_ieee_underflow 0
		.amdhsa_exception_fp_ieee_inexact 0
		.amdhsa_exception_int_div_zero 0
	.end_amdhsa_kernel
	.section	.text._ZN7rocprim17ROCPRIM_400000_NS6detail17trampoline_kernelINS0_14default_configENS1_35radix_sort_onesweep_config_selectorI12hip_bfloat16NS0_10empty_typeEEEZNS1_34radix_sort_onesweep_global_offsetsIS3_Lb1EPKS5_PS6_mNS0_19identity_decomposerEEE10hipError_tT1_T2_PT3_SG_jT4_jjP12ihipStream_tbEUlT_E_NS1_11comp_targetILNS1_3genE9ELNS1_11target_archE1100ELNS1_3gpuE3ELNS1_3repE0EEENS1_52radix_sort_onesweep_histogram_config_static_selectorELNS0_4arch9wavefront6targetE0EEEvSE_,"axG",@progbits,_ZN7rocprim17ROCPRIM_400000_NS6detail17trampoline_kernelINS0_14default_configENS1_35radix_sort_onesweep_config_selectorI12hip_bfloat16NS0_10empty_typeEEEZNS1_34radix_sort_onesweep_global_offsetsIS3_Lb1EPKS5_PS6_mNS0_19identity_decomposerEEE10hipError_tT1_T2_PT3_SG_jT4_jjP12ihipStream_tbEUlT_E_NS1_11comp_targetILNS1_3genE9ELNS1_11target_archE1100ELNS1_3gpuE3ELNS1_3repE0EEENS1_52radix_sort_onesweep_histogram_config_static_selectorELNS0_4arch9wavefront6targetE0EEEvSE_,comdat
.Lfunc_end1945:
	.size	_ZN7rocprim17ROCPRIM_400000_NS6detail17trampoline_kernelINS0_14default_configENS1_35radix_sort_onesweep_config_selectorI12hip_bfloat16NS0_10empty_typeEEEZNS1_34radix_sort_onesweep_global_offsetsIS3_Lb1EPKS5_PS6_mNS0_19identity_decomposerEEE10hipError_tT1_T2_PT3_SG_jT4_jjP12ihipStream_tbEUlT_E_NS1_11comp_targetILNS1_3genE9ELNS1_11target_archE1100ELNS1_3gpuE3ELNS1_3repE0EEENS1_52radix_sort_onesweep_histogram_config_static_selectorELNS0_4arch9wavefront6targetE0EEEvSE_, .Lfunc_end1945-_ZN7rocprim17ROCPRIM_400000_NS6detail17trampoline_kernelINS0_14default_configENS1_35radix_sort_onesweep_config_selectorI12hip_bfloat16NS0_10empty_typeEEEZNS1_34radix_sort_onesweep_global_offsetsIS3_Lb1EPKS5_PS6_mNS0_19identity_decomposerEEE10hipError_tT1_T2_PT3_SG_jT4_jjP12ihipStream_tbEUlT_E_NS1_11comp_targetILNS1_3genE9ELNS1_11target_archE1100ELNS1_3gpuE3ELNS1_3repE0EEENS1_52radix_sort_onesweep_histogram_config_static_selectorELNS0_4arch9wavefront6targetE0EEEvSE_
                                        ; -- End function
	.set _ZN7rocprim17ROCPRIM_400000_NS6detail17trampoline_kernelINS0_14default_configENS1_35radix_sort_onesweep_config_selectorI12hip_bfloat16NS0_10empty_typeEEEZNS1_34radix_sort_onesweep_global_offsetsIS3_Lb1EPKS5_PS6_mNS0_19identity_decomposerEEE10hipError_tT1_T2_PT3_SG_jT4_jjP12ihipStream_tbEUlT_E_NS1_11comp_targetILNS1_3genE9ELNS1_11target_archE1100ELNS1_3gpuE3ELNS1_3repE0EEENS1_52radix_sort_onesweep_histogram_config_static_selectorELNS0_4arch9wavefront6targetE0EEEvSE_.num_vgpr, 0
	.set _ZN7rocprim17ROCPRIM_400000_NS6detail17trampoline_kernelINS0_14default_configENS1_35radix_sort_onesweep_config_selectorI12hip_bfloat16NS0_10empty_typeEEEZNS1_34radix_sort_onesweep_global_offsetsIS3_Lb1EPKS5_PS6_mNS0_19identity_decomposerEEE10hipError_tT1_T2_PT3_SG_jT4_jjP12ihipStream_tbEUlT_E_NS1_11comp_targetILNS1_3genE9ELNS1_11target_archE1100ELNS1_3gpuE3ELNS1_3repE0EEENS1_52radix_sort_onesweep_histogram_config_static_selectorELNS0_4arch9wavefront6targetE0EEEvSE_.num_agpr, 0
	.set _ZN7rocprim17ROCPRIM_400000_NS6detail17trampoline_kernelINS0_14default_configENS1_35radix_sort_onesweep_config_selectorI12hip_bfloat16NS0_10empty_typeEEEZNS1_34radix_sort_onesweep_global_offsetsIS3_Lb1EPKS5_PS6_mNS0_19identity_decomposerEEE10hipError_tT1_T2_PT3_SG_jT4_jjP12ihipStream_tbEUlT_E_NS1_11comp_targetILNS1_3genE9ELNS1_11target_archE1100ELNS1_3gpuE3ELNS1_3repE0EEENS1_52radix_sort_onesweep_histogram_config_static_selectorELNS0_4arch9wavefront6targetE0EEEvSE_.numbered_sgpr, 0
	.set _ZN7rocprim17ROCPRIM_400000_NS6detail17trampoline_kernelINS0_14default_configENS1_35radix_sort_onesweep_config_selectorI12hip_bfloat16NS0_10empty_typeEEEZNS1_34radix_sort_onesweep_global_offsetsIS3_Lb1EPKS5_PS6_mNS0_19identity_decomposerEEE10hipError_tT1_T2_PT3_SG_jT4_jjP12ihipStream_tbEUlT_E_NS1_11comp_targetILNS1_3genE9ELNS1_11target_archE1100ELNS1_3gpuE3ELNS1_3repE0EEENS1_52radix_sort_onesweep_histogram_config_static_selectorELNS0_4arch9wavefront6targetE0EEEvSE_.num_named_barrier, 0
	.set _ZN7rocprim17ROCPRIM_400000_NS6detail17trampoline_kernelINS0_14default_configENS1_35radix_sort_onesweep_config_selectorI12hip_bfloat16NS0_10empty_typeEEEZNS1_34radix_sort_onesweep_global_offsetsIS3_Lb1EPKS5_PS6_mNS0_19identity_decomposerEEE10hipError_tT1_T2_PT3_SG_jT4_jjP12ihipStream_tbEUlT_E_NS1_11comp_targetILNS1_3genE9ELNS1_11target_archE1100ELNS1_3gpuE3ELNS1_3repE0EEENS1_52radix_sort_onesweep_histogram_config_static_selectorELNS0_4arch9wavefront6targetE0EEEvSE_.private_seg_size, 0
	.set _ZN7rocprim17ROCPRIM_400000_NS6detail17trampoline_kernelINS0_14default_configENS1_35radix_sort_onesweep_config_selectorI12hip_bfloat16NS0_10empty_typeEEEZNS1_34radix_sort_onesweep_global_offsetsIS3_Lb1EPKS5_PS6_mNS0_19identity_decomposerEEE10hipError_tT1_T2_PT3_SG_jT4_jjP12ihipStream_tbEUlT_E_NS1_11comp_targetILNS1_3genE9ELNS1_11target_archE1100ELNS1_3gpuE3ELNS1_3repE0EEENS1_52radix_sort_onesweep_histogram_config_static_selectorELNS0_4arch9wavefront6targetE0EEEvSE_.uses_vcc, 0
	.set _ZN7rocprim17ROCPRIM_400000_NS6detail17trampoline_kernelINS0_14default_configENS1_35radix_sort_onesweep_config_selectorI12hip_bfloat16NS0_10empty_typeEEEZNS1_34radix_sort_onesweep_global_offsetsIS3_Lb1EPKS5_PS6_mNS0_19identity_decomposerEEE10hipError_tT1_T2_PT3_SG_jT4_jjP12ihipStream_tbEUlT_E_NS1_11comp_targetILNS1_3genE9ELNS1_11target_archE1100ELNS1_3gpuE3ELNS1_3repE0EEENS1_52radix_sort_onesweep_histogram_config_static_selectorELNS0_4arch9wavefront6targetE0EEEvSE_.uses_flat_scratch, 0
	.set _ZN7rocprim17ROCPRIM_400000_NS6detail17trampoline_kernelINS0_14default_configENS1_35radix_sort_onesweep_config_selectorI12hip_bfloat16NS0_10empty_typeEEEZNS1_34radix_sort_onesweep_global_offsetsIS3_Lb1EPKS5_PS6_mNS0_19identity_decomposerEEE10hipError_tT1_T2_PT3_SG_jT4_jjP12ihipStream_tbEUlT_E_NS1_11comp_targetILNS1_3genE9ELNS1_11target_archE1100ELNS1_3gpuE3ELNS1_3repE0EEENS1_52radix_sort_onesweep_histogram_config_static_selectorELNS0_4arch9wavefront6targetE0EEEvSE_.has_dyn_sized_stack, 0
	.set _ZN7rocprim17ROCPRIM_400000_NS6detail17trampoline_kernelINS0_14default_configENS1_35radix_sort_onesweep_config_selectorI12hip_bfloat16NS0_10empty_typeEEEZNS1_34radix_sort_onesweep_global_offsetsIS3_Lb1EPKS5_PS6_mNS0_19identity_decomposerEEE10hipError_tT1_T2_PT3_SG_jT4_jjP12ihipStream_tbEUlT_E_NS1_11comp_targetILNS1_3genE9ELNS1_11target_archE1100ELNS1_3gpuE3ELNS1_3repE0EEENS1_52radix_sort_onesweep_histogram_config_static_selectorELNS0_4arch9wavefront6targetE0EEEvSE_.has_recursion, 0
	.set _ZN7rocprim17ROCPRIM_400000_NS6detail17trampoline_kernelINS0_14default_configENS1_35radix_sort_onesweep_config_selectorI12hip_bfloat16NS0_10empty_typeEEEZNS1_34radix_sort_onesweep_global_offsetsIS3_Lb1EPKS5_PS6_mNS0_19identity_decomposerEEE10hipError_tT1_T2_PT3_SG_jT4_jjP12ihipStream_tbEUlT_E_NS1_11comp_targetILNS1_3genE9ELNS1_11target_archE1100ELNS1_3gpuE3ELNS1_3repE0EEENS1_52radix_sort_onesweep_histogram_config_static_selectorELNS0_4arch9wavefront6targetE0EEEvSE_.has_indirect_call, 0
	.section	.AMDGPU.csdata,"",@progbits
; Kernel info:
; codeLenInByte = 0
; TotalNumSgprs: 0
; NumVgprs: 0
; ScratchSize: 0
; MemoryBound: 0
; FloatMode: 240
; IeeeMode: 1
; LDSByteSize: 0 bytes/workgroup (compile time only)
; SGPRBlocks: 0
; VGPRBlocks: 0
; NumSGPRsForWavesPerEU: 1
; NumVGPRsForWavesPerEU: 1
; NamedBarCnt: 0
; Occupancy: 16
; WaveLimiterHint : 0
; COMPUTE_PGM_RSRC2:SCRATCH_EN: 0
; COMPUTE_PGM_RSRC2:USER_SGPR: 2
; COMPUTE_PGM_RSRC2:TRAP_HANDLER: 0
; COMPUTE_PGM_RSRC2:TGID_X_EN: 1
; COMPUTE_PGM_RSRC2:TGID_Y_EN: 0
; COMPUTE_PGM_RSRC2:TGID_Z_EN: 0
; COMPUTE_PGM_RSRC2:TIDIG_COMP_CNT: 0
	.section	.text._ZN7rocprim17ROCPRIM_400000_NS6detail17trampoline_kernelINS0_14default_configENS1_35radix_sort_onesweep_config_selectorI12hip_bfloat16NS0_10empty_typeEEEZNS1_34radix_sort_onesweep_global_offsetsIS3_Lb1EPKS5_PS6_mNS0_19identity_decomposerEEE10hipError_tT1_T2_PT3_SG_jT4_jjP12ihipStream_tbEUlT_E_NS1_11comp_targetILNS1_3genE8ELNS1_11target_archE1030ELNS1_3gpuE2ELNS1_3repE0EEENS1_52radix_sort_onesweep_histogram_config_static_selectorELNS0_4arch9wavefront6targetE0EEEvSE_,"axG",@progbits,_ZN7rocprim17ROCPRIM_400000_NS6detail17trampoline_kernelINS0_14default_configENS1_35radix_sort_onesweep_config_selectorI12hip_bfloat16NS0_10empty_typeEEEZNS1_34radix_sort_onesweep_global_offsetsIS3_Lb1EPKS5_PS6_mNS0_19identity_decomposerEEE10hipError_tT1_T2_PT3_SG_jT4_jjP12ihipStream_tbEUlT_E_NS1_11comp_targetILNS1_3genE8ELNS1_11target_archE1030ELNS1_3gpuE2ELNS1_3repE0EEENS1_52radix_sort_onesweep_histogram_config_static_selectorELNS0_4arch9wavefront6targetE0EEEvSE_,comdat
	.protected	_ZN7rocprim17ROCPRIM_400000_NS6detail17trampoline_kernelINS0_14default_configENS1_35radix_sort_onesweep_config_selectorI12hip_bfloat16NS0_10empty_typeEEEZNS1_34radix_sort_onesweep_global_offsetsIS3_Lb1EPKS5_PS6_mNS0_19identity_decomposerEEE10hipError_tT1_T2_PT3_SG_jT4_jjP12ihipStream_tbEUlT_E_NS1_11comp_targetILNS1_3genE8ELNS1_11target_archE1030ELNS1_3gpuE2ELNS1_3repE0EEENS1_52radix_sort_onesweep_histogram_config_static_selectorELNS0_4arch9wavefront6targetE0EEEvSE_ ; -- Begin function _ZN7rocprim17ROCPRIM_400000_NS6detail17trampoline_kernelINS0_14default_configENS1_35radix_sort_onesweep_config_selectorI12hip_bfloat16NS0_10empty_typeEEEZNS1_34radix_sort_onesweep_global_offsetsIS3_Lb1EPKS5_PS6_mNS0_19identity_decomposerEEE10hipError_tT1_T2_PT3_SG_jT4_jjP12ihipStream_tbEUlT_E_NS1_11comp_targetILNS1_3genE8ELNS1_11target_archE1030ELNS1_3gpuE2ELNS1_3repE0EEENS1_52radix_sort_onesweep_histogram_config_static_selectorELNS0_4arch9wavefront6targetE0EEEvSE_
	.globl	_ZN7rocprim17ROCPRIM_400000_NS6detail17trampoline_kernelINS0_14default_configENS1_35radix_sort_onesweep_config_selectorI12hip_bfloat16NS0_10empty_typeEEEZNS1_34radix_sort_onesweep_global_offsetsIS3_Lb1EPKS5_PS6_mNS0_19identity_decomposerEEE10hipError_tT1_T2_PT3_SG_jT4_jjP12ihipStream_tbEUlT_E_NS1_11comp_targetILNS1_3genE8ELNS1_11target_archE1030ELNS1_3gpuE2ELNS1_3repE0EEENS1_52radix_sort_onesweep_histogram_config_static_selectorELNS0_4arch9wavefront6targetE0EEEvSE_
	.p2align	8
	.type	_ZN7rocprim17ROCPRIM_400000_NS6detail17trampoline_kernelINS0_14default_configENS1_35radix_sort_onesweep_config_selectorI12hip_bfloat16NS0_10empty_typeEEEZNS1_34radix_sort_onesweep_global_offsetsIS3_Lb1EPKS5_PS6_mNS0_19identity_decomposerEEE10hipError_tT1_T2_PT3_SG_jT4_jjP12ihipStream_tbEUlT_E_NS1_11comp_targetILNS1_3genE8ELNS1_11target_archE1030ELNS1_3gpuE2ELNS1_3repE0EEENS1_52radix_sort_onesweep_histogram_config_static_selectorELNS0_4arch9wavefront6targetE0EEEvSE_,@function
_ZN7rocprim17ROCPRIM_400000_NS6detail17trampoline_kernelINS0_14default_configENS1_35radix_sort_onesweep_config_selectorI12hip_bfloat16NS0_10empty_typeEEEZNS1_34radix_sort_onesweep_global_offsetsIS3_Lb1EPKS5_PS6_mNS0_19identity_decomposerEEE10hipError_tT1_T2_PT3_SG_jT4_jjP12ihipStream_tbEUlT_E_NS1_11comp_targetILNS1_3genE8ELNS1_11target_archE1030ELNS1_3gpuE2ELNS1_3repE0EEENS1_52radix_sort_onesweep_histogram_config_static_selectorELNS0_4arch9wavefront6targetE0EEEvSE_: ; @_ZN7rocprim17ROCPRIM_400000_NS6detail17trampoline_kernelINS0_14default_configENS1_35radix_sort_onesweep_config_selectorI12hip_bfloat16NS0_10empty_typeEEEZNS1_34radix_sort_onesweep_global_offsetsIS3_Lb1EPKS5_PS6_mNS0_19identity_decomposerEEE10hipError_tT1_T2_PT3_SG_jT4_jjP12ihipStream_tbEUlT_E_NS1_11comp_targetILNS1_3genE8ELNS1_11target_archE1030ELNS1_3gpuE2ELNS1_3repE0EEENS1_52radix_sort_onesweep_histogram_config_static_selectorELNS0_4arch9wavefront6targetE0EEEvSE_
; %bb.0:
	.section	.rodata,"a",@progbits
	.p2align	6, 0x0
	.amdhsa_kernel _ZN7rocprim17ROCPRIM_400000_NS6detail17trampoline_kernelINS0_14default_configENS1_35radix_sort_onesweep_config_selectorI12hip_bfloat16NS0_10empty_typeEEEZNS1_34radix_sort_onesweep_global_offsetsIS3_Lb1EPKS5_PS6_mNS0_19identity_decomposerEEE10hipError_tT1_T2_PT3_SG_jT4_jjP12ihipStream_tbEUlT_E_NS1_11comp_targetILNS1_3genE8ELNS1_11target_archE1030ELNS1_3gpuE2ELNS1_3repE0EEENS1_52radix_sort_onesweep_histogram_config_static_selectorELNS0_4arch9wavefront6targetE0EEEvSE_
		.amdhsa_group_segment_fixed_size 0
		.amdhsa_private_segment_fixed_size 0
		.amdhsa_kernarg_size 48
		.amdhsa_user_sgpr_count 2
		.amdhsa_user_sgpr_dispatch_ptr 0
		.amdhsa_user_sgpr_queue_ptr 0
		.amdhsa_user_sgpr_kernarg_segment_ptr 1
		.amdhsa_user_sgpr_dispatch_id 0
		.amdhsa_user_sgpr_kernarg_preload_length 0
		.amdhsa_user_sgpr_kernarg_preload_offset 0
		.amdhsa_user_sgpr_private_segment_size 0
		.amdhsa_wavefront_size32 1
		.amdhsa_uses_dynamic_stack 0
		.amdhsa_enable_private_segment 0
		.amdhsa_system_sgpr_workgroup_id_x 1
		.amdhsa_system_sgpr_workgroup_id_y 0
		.amdhsa_system_sgpr_workgroup_id_z 0
		.amdhsa_system_sgpr_workgroup_info 0
		.amdhsa_system_vgpr_workitem_id 0
		.amdhsa_next_free_vgpr 1
		.amdhsa_next_free_sgpr 1
		.amdhsa_named_barrier_count 0
		.amdhsa_reserve_vcc 0
		.amdhsa_float_round_mode_32 0
		.amdhsa_float_round_mode_16_64 0
		.amdhsa_float_denorm_mode_32 3
		.amdhsa_float_denorm_mode_16_64 3
		.amdhsa_fp16_overflow 0
		.amdhsa_memory_ordered 1
		.amdhsa_forward_progress 1
		.amdhsa_inst_pref_size 0
		.amdhsa_round_robin_scheduling 0
		.amdhsa_exception_fp_ieee_invalid_op 0
		.amdhsa_exception_fp_denorm_src 0
		.amdhsa_exception_fp_ieee_div_zero 0
		.amdhsa_exception_fp_ieee_overflow 0
		.amdhsa_exception_fp_ieee_underflow 0
		.amdhsa_exception_fp_ieee_inexact 0
		.amdhsa_exception_int_div_zero 0
	.end_amdhsa_kernel
	.section	.text._ZN7rocprim17ROCPRIM_400000_NS6detail17trampoline_kernelINS0_14default_configENS1_35radix_sort_onesweep_config_selectorI12hip_bfloat16NS0_10empty_typeEEEZNS1_34radix_sort_onesweep_global_offsetsIS3_Lb1EPKS5_PS6_mNS0_19identity_decomposerEEE10hipError_tT1_T2_PT3_SG_jT4_jjP12ihipStream_tbEUlT_E_NS1_11comp_targetILNS1_3genE8ELNS1_11target_archE1030ELNS1_3gpuE2ELNS1_3repE0EEENS1_52radix_sort_onesweep_histogram_config_static_selectorELNS0_4arch9wavefront6targetE0EEEvSE_,"axG",@progbits,_ZN7rocprim17ROCPRIM_400000_NS6detail17trampoline_kernelINS0_14default_configENS1_35radix_sort_onesweep_config_selectorI12hip_bfloat16NS0_10empty_typeEEEZNS1_34radix_sort_onesweep_global_offsetsIS3_Lb1EPKS5_PS6_mNS0_19identity_decomposerEEE10hipError_tT1_T2_PT3_SG_jT4_jjP12ihipStream_tbEUlT_E_NS1_11comp_targetILNS1_3genE8ELNS1_11target_archE1030ELNS1_3gpuE2ELNS1_3repE0EEENS1_52radix_sort_onesweep_histogram_config_static_selectorELNS0_4arch9wavefront6targetE0EEEvSE_,comdat
.Lfunc_end1946:
	.size	_ZN7rocprim17ROCPRIM_400000_NS6detail17trampoline_kernelINS0_14default_configENS1_35radix_sort_onesweep_config_selectorI12hip_bfloat16NS0_10empty_typeEEEZNS1_34radix_sort_onesweep_global_offsetsIS3_Lb1EPKS5_PS6_mNS0_19identity_decomposerEEE10hipError_tT1_T2_PT3_SG_jT4_jjP12ihipStream_tbEUlT_E_NS1_11comp_targetILNS1_3genE8ELNS1_11target_archE1030ELNS1_3gpuE2ELNS1_3repE0EEENS1_52radix_sort_onesweep_histogram_config_static_selectorELNS0_4arch9wavefront6targetE0EEEvSE_, .Lfunc_end1946-_ZN7rocprim17ROCPRIM_400000_NS6detail17trampoline_kernelINS0_14default_configENS1_35radix_sort_onesweep_config_selectorI12hip_bfloat16NS0_10empty_typeEEEZNS1_34radix_sort_onesweep_global_offsetsIS3_Lb1EPKS5_PS6_mNS0_19identity_decomposerEEE10hipError_tT1_T2_PT3_SG_jT4_jjP12ihipStream_tbEUlT_E_NS1_11comp_targetILNS1_3genE8ELNS1_11target_archE1030ELNS1_3gpuE2ELNS1_3repE0EEENS1_52radix_sort_onesweep_histogram_config_static_selectorELNS0_4arch9wavefront6targetE0EEEvSE_
                                        ; -- End function
	.set _ZN7rocprim17ROCPRIM_400000_NS6detail17trampoline_kernelINS0_14default_configENS1_35radix_sort_onesweep_config_selectorI12hip_bfloat16NS0_10empty_typeEEEZNS1_34radix_sort_onesweep_global_offsetsIS3_Lb1EPKS5_PS6_mNS0_19identity_decomposerEEE10hipError_tT1_T2_PT3_SG_jT4_jjP12ihipStream_tbEUlT_E_NS1_11comp_targetILNS1_3genE8ELNS1_11target_archE1030ELNS1_3gpuE2ELNS1_3repE0EEENS1_52radix_sort_onesweep_histogram_config_static_selectorELNS0_4arch9wavefront6targetE0EEEvSE_.num_vgpr, 0
	.set _ZN7rocprim17ROCPRIM_400000_NS6detail17trampoline_kernelINS0_14default_configENS1_35radix_sort_onesweep_config_selectorI12hip_bfloat16NS0_10empty_typeEEEZNS1_34radix_sort_onesweep_global_offsetsIS3_Lb1EPKS5_PS6_mNS0_19identity_decomposerEEE10hipError_tT1_T2_PT3_SG_jT4_jjP12ihipStream_tbEUlT_E_NS1_11comp_targetILNS1_3genE8ELNS1_11target_archE1030ELNS1_3gpuE2ELNS1_3repE0EEENS1_52radix_sort_onesweep_histogram_config_static_selectorELNS0_4arch9wavefront6targetE0EEEvSE_.num_agpr, 0
	.set _ZN7rocprim17ROCPRIM_400000_NS6detail17trampoline_kernelINS0_14default_configENS1_35radix_sort_onesweep_config_selectorI12hip_bfloat16NS0_10empty_typeEEEZNS1_34radix_sort_onesweep_global_offsetsIS3_Lb1EPKS5_PS6_mNS0_19identity_decomposerEEE10hipError_tT1_T2_PT3_SG_jT4_jjP12ihipStream_tbEUlT_E_NS1_11comp_targetILNS1_3genE8ELNS1_11target_archE1030ELNS1_3gpuE2ELNS1_3repE0EEENS1_52radix_sort_onesweep_histogram_config_static_selectorELNS0_4arch9wavefront6targetE0EEEvSE_.numbered_sgpr, 0
	.set _ZN7rocprim17ROCPRIM_400000_NS6detail17trampoline_kernelINS0_14default_configENS1_35radix_sort_onesweep_config_selectorI12hip_bfloat16NS0_10empty_typeEEEZNS1_34radix_sort_onesweep_global_offsetsIS3_Lb1EPKS5_PS6_mNS0_19identity_decomposerEEE10hipError_tT1_T2_PT3_SG_jT4_jjP12ihipStream_tbEUlT_E_NS1_11comp_targetILNS1_3genE8ELNS1_11target_archE1030ELNS1_3gpuE2ELNS1_3repE0EEENS1_52radix_sort_onesweep_histogram_config_static_selectorELNS0_4arch9wavefront6targetE0EEEvSE_.num_named_barrier, 0
	.set _ZN7rocprim17ROCPRIM_400000_NS6detail17trampoline_kernelINS0_14default_configENS1_35radix_sort_onesweep_config_selectorI12hip_bfloat16NS0_10empty_typeEEEZNS1_34radix_sort_onesweep_global_offsetsIS3_Lb1EPKS5_PS6_mNS0_19identity_decomposerEEE10hipError_tT1_T2_PT3_SG_jT4_jjP12ihipStream_tbEUlT_E_NS1_11comp_targetILNS1_3genE8ELNS1_11target_archE1030ELNS1_3gpuE2ELNS1_3repE0EEENS1_52radix_sort_onesweep_histogram_config_static_selectorELNS0_4arch9wavefront6targetE0EEEvSE_.private_seg_size, 0
	.set _ZN7rocprim17ROCPRIM_400000_NS6detail17trampoline_kernelINS0_14default_configENS1_35radix_sort_onesweep_config_selectorI12hip_bfloat16NS0_10empty_typeEEEZNS1_34radix_sort_onesweep_global_offsetsIS3_Lb1EPKS5_PS6_mNS0_19identity_decomposerEEE10hipError_tT1_T2_PT3_SG_jT4_jjP12ihipStream_tbEUlT_E_NS1_11comp_targetILNS1_3genE8ELNS1_11target_archE1030ELNS1_3gpuE2ELNS1_3repE0EEENS1_52radix_sort_onesweep_histogram_config_static_selectorELNS0_4arch9wavefront6targetE0EEEvSE_.uses_vcc, 0
	.set _ZN7rocprim17ROCPRIM_400000_NS6detail17trampoline_kernelINS0_14default_configENS1_35radix_sort_onesweep_config_selectorI12hip_bfloat16NS0_10empty_typeEEEZNS1_34radix_sort_onesweep_global_offsetsIS3_Lb1EPKS5_PS6_mNS0_19identity_decomposerEEE10hipError_tT1_T2_PT3_SG_jT4_jjP12ihipStream_tbEUlT_E_NS1_11comp_targetILNS1_3genE8ELNS1_11target_archE1030ELNS1_3gpuE2ELNS1_3repE0EEENS1_52radix_sort_onesweep_histogram_config_static_selectorELNS0_4arch9wavefront6targetE0EEEvSE_.uses_flat_scratch, 0
	.set _ZN7rocprim17ROCPRIM_400000_NS6detail17trampoline_kernelINS0_14default_configENS1_35radix_sort_onesweep_config_selectorI12hip_bfloat16NS0_10empty_typeEEEZNS1_34radix_sort_onesweep_global_offsetsIS3_Lb1EPKS5_PS6_mNS0_19identity_decomposerEEE10hipError_tT1_T2_PT3_SG_jT4_jjP12ihipStream_tbEUlT_E_NS1_11comp_targetILNS1_3genE8ELNS1_11target_archE1030ELNS1_3gpuE2ELNS1_3repE0EEENS1_52radix_sort_onesweep_histogram_config_static_selectorELNS0_4arch9wavefront6targetE0EEEvSE_.has_dyn_sized_stack, 0
	.set _ZN7rocprim17ROCPRIM_400000_NS6detail17trampoline_kernelINS0_14default_configENS1_35radix_sort_onesweep_config_selectorI12hip_bfloat16NS0_10empty_typeEEEZNS1_34radix_sort_onesweep_global_offsetsIS3_Lb1EPKS5_PS6_mNS0_19identity_decomposerEEE10hipError_tT1_T2_PT3_SG_jT4_jjP12ihipStream_tbEUlT_E_NS1_11comp_targetILNS1_3genE8ELNS1_11target_archE1030ELNS1_3gpuE2ELNS1_3repE0EEENS1_52radix_sort_onesweep_histogram_config_static_selectorELNS0_4arch9wavefront6targetE0EEEvSE_.has_recursion, 0
	.set _ZN7rocprim17ROCPRIM_400000_NS6detail17trampoline_kernelINS0_14default_configENS1_35radix_sort_onesweep_config_selectorI12hip_bfloat16NS0_10empty_typeEEEZNS1_34radix_sort_onesweep_global_offsetsIS3_Lb1EPKS5_PS6_mNS0_19identity_decomposerEEE10hipError_tT1_T2_PT3_SG_jT4_jjP12ihipStream_tbEUlT_E_NS1_11comp_targetILNS1_3genE8ELNS1_11target_archE1030ELNS1_3gpuE2ELNS1_3repE0EEENS1_52radix_sort_onesweep_histogram_config_static_selectorELNS0_4arch9wavefront6targetE0EEEvSE_.has_indirect_call, 0
	.section	.AMDGPU.csdata,"",@progbits
; Kernel info:
; codeLenInByte = 0
; TotalNumSgprs: 0
; NumVgprs: 0
; ScratchSize: 0
; MemoryBound: 0
; FloatMode: 240
; IeeeMode: 1
; LDSByteSize: 0 bytes/workgroup (compile time only)
; SGPRBlocks: 0
; VGPRBlocks: 0
; NumSGPRsForWavesPerEU: 1
; NumVGPRsForWavesPerEU: 1
; NamedBarCnt: 0
; Occupancy: 16
; WaveLimiterHint : 0
; COMPUTE_PGM_RSRC2:SCRATCH_EN: 0
; COMPUTE_PGM_RSRC2:USER_SGPR: 2
; COMPUTE_PGM_RSRC2:TRAP_HANDLER: 0
; COMPUTE_PGM_RSRC2:TGID_X_EN: 1
; COMPUTE_PGM_RSRC2:TGID_Y_EN: 0
; COMPUTE_PGM_RSRC2:TGID_Z_EN: 0
; COMPUTE_PGM_RSRC2:TIDIG_COMP_CNT: 0
	.section	.text._ZN7rocprim17ROCPRIM_400000_NS6detail17trampoline_kernelINS0_14default_configENS1_35radix_sort_onesweep_config_selectorI12hip_bfloat16NS0_10empty_typeEEEZNS1_34radix_sort_onesweep_global_offsetsIS3_Lb1EPKS5_PS6_mNS0_19identity_decomposerEEE10hipError_tT1_T2_PT3_SG_jT4_jjP12ihipStream_tbEUlT_E0_NS1_11comp_targetILNS1_3genE0ELNS1_11target_archE4294967295ELNS1_3gpuE0ELNS1_3repE0EEENS1_52radix_sort_onesweep_histogram_config_static_selectorELNS0_4arch9wavefront6targetE0EEEvSE_,"axG",@progbits,_ZN7rocprim17ROCPRIM_400000_NS6detail17trampoline_kernelINS0_14default_configENS1_35radix_sort_onesweep_config_selectorI12hip_bfloat16NS0_10empty_typeEEEZNS1_34radix_sort_onesweep_global_offsetsIS3_Lb1EPKS5_PS6_mNS0_19identity_decomposerEEE10hipError_tT1_T2_PT3_SG_jT4_jjP12ihipStream_tbEUlT_E0_NS1_11comp_targetILNS1_3genE0ELNS1_11target_archE4294967295ELNS1_3gpuE0ELNS1_3repE0EEENS1_52radix_sort_onesweep_histogram_config_static_selectorELNS0_4arch9wavefront6targetE0EEEvSE_,comdat
	.protected	_ZN7rocprim17ROCPRIM_400000_NS6detail17trampoline_kernelINS0_14default_configENS1_35radix_sort_onesweep_config_selectorI12hip_bfloat16NS0_10empty_typeEEEZNS1_34radix_sort_onesweep_global_offsetsIS3_Lb1EPKS5_PS6_mNS0_19identity_decomposerEEE10hipError_tT1_T2_PT3_SG_jT4_jjP12ihipStream_tbEUlT_E0_NS1_11comp_targetILNS1_3genE0ELNS1_11target_archE4294967295ELNS1_3gpuE0ELNS1_3repE0EEENS1_52radix_sort_onesweep_histogram_config_static_selectorELNS0_4arch9wavefront6targetE0EEEvSE_ ; -- Begin function _ZN7rocprim17ROCPRIM_400000_NS6detail17trampoline_kernelINS0_14default_configENS1_35radix_sort_onesweep_config_selectorI12hip_bfloat16NS0_10empty_typeEEEZNS1_34radix_sort_onesweep_global_offsetsIS3_Lb1EPKS5_PS6_mNS0_19identity_decomposerEEE10hipError_tT1_T2_PT3_SG_jT4_jjP12ihipStream_tbEUlT_E0_NS1_11comp_targetILNS1_3genE0ELNS1_11target_archE4294967295ELNS1_3gpuE0ELNS1_3repE0EEENS1_52radix_sort_onesweep_histogram_config_static_selectorELNS0_4arch9wavefront6targetE0EEEvSE_
	.globl	_ZN7rocprim17ROCPRIM_400000_NS6detail17trampoline_kernelINS0_14default_configENS1_35radix_sort_onesweep_config_selectorI12hip_bfloat16NS0_10empty_typeEEEZNS1_34radix_sort_onesweep_global_offsetsIS3_Lb1EPKS5_PS6_mNS0_19identity_decomposerEEE10hipError_tT1_T2_PT3_SG_jT4_jjP12ihipStream_tbEUlT_E0_NS1_11comp_targetILNS1_3genE0ELNS1_11target_archE4294967295ELNS1_3gpuE0ELNS1_3repE0EEENS1_52radix_sort_onesweep_histogram_config_static_selectorELNS0_4arch9wavefront6targetE0EEEvSE_
	.p2align	8
	.type	_ZN7rocprim17ROCPRIM_400000_NS6detail17trampoline_kernelINS0_14default_configENS1_35radix_sort_onesweep_config_selectorI12hip_bfloat16NS0_10empty_typeEEEZNS1_34radix_sort_onesweep_global_offsetsIS3_Lb1EPKS5_PS6_mNS0_19identity_decomposerEEE10hipError_tT1_T2_PT3_SG_jT4_jjP12ihipStream_tbEUlT_E0_NS1_11comp_targetILNS1_3genE0ELNS1_11target_archE4294967295ELNS1_3gpuE0ELNS1_3repE0EEENS1_52radix_sort_onesweep_histogram_config_static_selectorELNS0_4arch9wavefront6targetE0EEEvSE_,@function
_ZN7rocprim17ROCPRIM_400000_NS6detail17trampoline_kernelINS0_14default_configENS1_35radix_sort_onesweep_config_selectorI12hip_bfloat16NS0_10empty_typeEEEZNS1_34radix_sort_onesweep_global_offsetsIS3_Lb1EPKS5_PS6_mNS0_19identity_decomposerEEE10hipError_tT1_T2_PT3_SG_jT4_jjP12ihipStream_tbEUlT_E0_NS1_11comp_targetILNS1_3genE0ELNS1_11target_archE4294967295ELNS1_3gpuE0ELNS1_3repE0EEENS1_52radix_sort_onesweep_histogram_config_static_selectorELNS0_4arch9wavefront6targetE0EEEvSE_: ; @_ZN7rocprim17ROCPRIM_400000_NS6detail17trampoline_kernelINS0_14default_configENS1_35radix_sort_onesweep_config_selectorI12hip_bfloat16NS0_10empty_typeEEEZNS1_34radix_sort_onesweep_global_offsetsIS3_Lb1EPKS5_PS6_mNS0_19identity_decomposerEEE10hipError_tT1_T2_PT3_SG_jT4_jjP12ihipStream_tbEUlT_E0_NS1_11comp_targetILNS1_3genE0ELNS1_11target_archE4294967295ELNS1_3gpuE0ELNS1_3repE0EEENS1_52radix_sort_onesweep_histogram_config_static_selectorELNS0_4arch9wavefront6targetE0EEEvSE_
; %bb.0:
	s_load_b64 s[0:1], s[0:1], 0x0
	s_bfe_u32 s2, ttmp6, 0x4000c
	s_and_b32 s3, ttmp6, 15
	s_add_co_i32 s2, s2, 1
	s_getreg_b32 s4, hwreg(HW_REG_IB_STS2, 6, 4)
	s_mul_i32 s2, ttmp9, s2
	v_cmp_gt_u32_e32 vcc_lo, 0x100, v0
	s_add_co_i32 s3, s3, s2
	s_cmp_eq_u32 s4, 0
                                        ; implicit-def: $vgpr2_vgpr3
	s_cselect_b32 s2, ttmp9, s3
	s_mov_b32 s3, 0
	s_lshl_b32 s2, s2, 8
	s_delay_alu instid0(SALU_CYCLE_1)
	s_lshl_b64 s[2:3], s[2:3], 3
	s_wait_kmcnt 0x0
	s_add_nc_u64 s[6:7], s[0:1], s[2:3]
	s_and_saveexec_b32 s0, vcc_lo
	s_cbranch_execz .LBB1947_2
; %bb.1:
	global_load_b64 v[2:3], v0, s[6:7] scale_offset
.LBB1947_2:
	s_wait_xcnt 0x0
	s_or_b32 exec_lo, exec_lo, s0
	v_mbcnt_lo_u32_b32 v1, -1, 0
	s_wait_loadcnt 0x0
	v_mov_b32_dpp v6, v2 row_shr:1 row_mask:0xf bank_mask:0xf
	v_mov_b32_dpp v9, v3 row_shr:1 row_mask:0xf bank_mask:0xf
	s_delay_alu instid0(VALU_DEP_3) | instskip(NEXT) | instid1(VALU_DEP_1)
	v_dual_mov_b32 v4, v2 :: v_dual_bitop2_b32 v10, 15, v1 bitop3:0x40
	v_cmp_ne_u32_e64 s0, 0, v10
	s_and_saveexec_b32 s1, s0
; %bb.3:
	v_mov_b32_e32 v8, 0
	s_delay_alu instid0(VALU_DEP_1) | instskip(NEXT) | instid1(VALU_DEP_1)
	v_mov_b32_e32 v7, v8
	v_add_nc_u64_e32 v[4:5], v[2:3], v[6:7]
	s_delay_alu instid0(VALU_DEP_1)
	v_add_nc_u64_e32 v[2:3], v[8:9], v[4:5]
; %bb.4:
	s_or_b32 exec_lo, exec_lo, s1
	v_mov_b32_dpp v6, v4 row_shr:2 row_mask:0xf bank_mask:0xf
	s_delay_alu instid0(VALU_DEP_2)
	v_mov_b32_dpp v9, v3 row_shr:2 row_mask:0xf bank_mask:0xf
	v_cmp_lt_u32_e64 s1, 1, v10
	s_and_saveexec_b32 s2, s1
; %bb.5:
	v_mov_b32_e32 v8, 0
	s_delay_alu instid0(VALU_DEP_1) | instskip(NEXT) | instid1(VALU_DEP_1)
	v_mov_b32_e32 v7, v8
	v_add_nc_u64_e32 v[4:5], v[2:3], v[6:7]
	s_delay_alu instid0(VALU_DEP_1)
	v_add_nc_u64_e32 v[2:3], v[8:9], v[4:5]
; %bb.6:
	s_or_b32 exec_lo, exec_lo, s2
	v_mov_b32_dpp v6, v4 row_shr:4 row_mask:0xf bank_mask:0xf
	s_delay_alu instid0(VALU_DEP_2)
	v_mov_b32_dpp v9, v3 row_shr:4 row_mask:0xf bank_mask:0xf
	v_cmp_lt_u32_e64 s2, 3, v10
	;; [unrolled: 14-line block ×3, first 2 shown]
	s_and_saveexec_b32 s4, s3
; %bb.9:
	v_mov_b32_e32 v8, 0
	s_delay_alu instid0(VALU_DEP_1) | instskip(NEXT) | instid1(VALU_DEP_1)
	v_mov_b32_e32 v7, v8
	v_add_nc_u64_e32 v[4:5], v[2:3], v[6:7]
	s_delay_alu instid0(VALU_DEP_1)
	v_add_nc_u64_e32 v[2:3], v[8:9], v[4:5]
; %bb.10:
	s_or_b32 exec_lo, exec_lo, s4
	ds_swizzle_b32 v4, v4 offset:swizzle(BROADCAST,32,15)
	ds_swizzle_b32 v7, v3 offset:swizzle(BROADCAST,32,15)
	v_and_b32_e32 v5, 16, v1
	s_mov_b32 s5, exec_lo
	s_delay_alu instid0(VALU_DEP_1)
	v_cmpx_ne_u32_e32 0, v5
	s_cbranch_execz .LBB1947_12
; %bb.11:
	v_mov_b32_e32 v6, 0
	s_delay_alu instid0(VALU_DEP_1) | instskip(SKIP_1) | instid1(VALU_DEP_1)
	v_mov_b32_e32 v5, v6
	s_wait_dscnt 0x1
	v_add_nc_u64_e32 v[2:3], v[2:3], v[4:5]
	s_wait_dscnt 0x0
	s_delay_alu instid0(VALU_DEP_1)
	v_add_nc_u64_e32 v[2:3], v[2:3], v[6:7]
.LBB1947_12:
	s_or_b32 exec_lo, exec_lo, s5
	s_wait_dscnt 0x1
	v_dual_lshrrev_b32 v12, 5, v0 :: v_dual_bitop2_b32 v4, 31, v0 bitop3:0x54
	s_mov_b32 s5, exec_lo
	s_delay_alu instid0(VALU_DEP_1)
	v_cmpx_eq_u32_e64 v0, v4
; %bb.13:
	s_delay_alu instid0(VALU_DEP_2)
	v_lshlrev_b32_e32 v4, 3, v12
	ds_store_b64 v4, v[2:3]
; %bb.14:
	s_or_b32 exec_lo, exec_lo, s5
	s_delay_alu instid0(SALU_CYCLE_1)
	s_mov_b32 s5, exec_lo
	s_wait_dscnt 0x0
	s_barrier_signal -1
	s_barrier_wait -1
	v_cmpx_gt_u32_e32 16, v0
	s_cbranch_execz .LBB1947_24
; %bb.15:
	v_lshlrev_b32_e32 v13, 3, v0
	ds_load_b64 v[4:5], v13
	s_wait_dscnt 0x0
	v_mov_b32_dpp v8, v4 row_shr:1 row_mask:0xf bank_mask:0xf
	v_mov_b32_dpp v11, v5 row_shr:1 row_mask:0xf bank_mask:0xf
	v_mov_b32_e32 v6, v4
	s_and_saveexec_b32 s4, s0
; %bb.16:
	v_mov_b32_e32 v10, 0
	s_delay_alu instid0(VALU_DEP_1) | instskip(NEXT) | instid1(VALU_DEP_1)
	v_mov_b32_e32 v9, v10
	v_add_nc_u64_e32 v[6:7], v[4:5], v[8:9]
	s_delay_alu instid0(VALU_DEP_1)
	v_add_nc_u64_e32 v[4:5], v[10:11], v[6:7]
; %bb.17:
	s_or_b32 exec_lo, exec_lo, s4
	v_mov_b32_dpp v8, v6 row_shr:2 row_mask:0xf bank_mask:0xf
	s_delay_alu instid0(VALU_DEP_2)
	v_mov_b32_dpp v11, v5 row_shr:2 row_mask:0xf bank_mask:0xf
	s_and_saveexec_b32 s0, s1
; %bb.18:
	v_mov_b32_e32 v10, 0
	s_delay_alu instid0(VALU_DEP_1) | instskip(NEXT) | instid1(VALU_DEP_1)
	v_mov_b32_e32 v9, v10
	v_add_nc_u64_e32 v[6:7], v[4:5], v[8:9]
	s_delay_alu instid0(VALU_DEP_1)
	v_add_nc_u64_e32 v[4:5], v[10:11], v[6:7]
; %bb.19:
	s_or_b32 exec_lo, exec_lo, s0
	v_mov_b32_dpp v8, v6 row_shr:4 row_mask:0xf bank_mask:0xf
	s_delay_alu instid0(VALU_DEP_2)
	v_mov_b32_dpp v11, v5 row_shr:4 row_mask:0xf bank_mask:0xf
	;; [unrolled: 13-line block ×3, first 2 shown]
	s_and_saveexec_b32 s0, s3
; %bb.22:
	v_mov_b32_e32 v8, 0
	s_delay_alu instid0(VALU_DEP_1) | instskip(NEXT) | instid1(VALU_DEP_1)
	v_mov_b32_e32 v7, v8
	v_add_nc_u64_e32 v[4:5], v[4:5], v[6:7]
	s_delay_alu instid0(VALU_DEP_1)
	v_add_nc_u64_e32 v[4:5], v[4:5], v[8:9]
; %bb.23:
	s_or_b32 exec_lo, exec_lo, s0
	ds_store_b64 v13, v[4:5]
.LBB1947_24:
	s_or_b32 exec_lo, exec_lo, s5
	v_mov_b64_e32 v[4:5], 0
	s_mov_b32 s1, exec_lo
	s_wait_dscnt 0x0
	s_barrier_signal -1
	s_barrier_wait -1
	v_cmpx_lt_u32_e32 31, v0
; %bb.25:
	v_lshl_add_u32 v4, v12, 3, -8
	ds_load_b64 v[4:5], v4
; %bb.26:
	s_or_b32 exec_lo, exec_lo, s1
	v_add_nc_u32_e32 v6, -1, v1
	s_wait_dscnt 0x0
	v_add_nc_u64_e32 v[2:3], v[4:5], v[2:3]
	s_delay_alu instid0(VALU_DEP_2) | instskip(NEXT) | instid1(VALU_DEP_1)
	v_cmp_gt_i32_e64 s0, 0, v6
	v_cndmask_b32_e64 v6, v6, v1, s0
	s_delay_alu instid0(VALU_DEP_1)
	v_lshlrev_b32_e32 v6, 2, v6
	ds_bpermute_b32 v2, v6, v2
	ds_bpermute_b32 v3, v6, v3
	s_and_saveexec_b32 s0, vcc_lo
	s_cbranch_execz .LBB1947_28
; %bb.27:
	v_cmp_eq_u32_e32 vcc_lo, 0, v1
	s_wait_dscnt 0x0
	v_dual_cndmask_b32 v3, v3, v5 :: v_dual_cndmask_b32 v2, v2, v4
	global_store_b64 v0, v[2:3], s[6:7] scale_offset
.LBB1947_28:
	s_endpgm
	.section	.rodata,"a",@progbits
	.p2align	6, 0x0
	.amdhsa_kernel _ZN7rocprim17ROCPRIM_400000_NS6detail17trampoline_kernelINS0_14default_configENS1_35radix_sort_onesweep_config_selectorI12hip_bfloat16NS0_10empty_typeEEEZNS1_34radix_sort_onesweep_global_offsetsIS3_Lb1EPKS5_PS6_mNS0_19identity_decomposerEEE10hipError_tT1_T2_PT3_SG_jT4_jjP12ihipStream_tbEUlT_E0_NS1_11comp_targetILNS1_3genE0ELNS1_11target_archE4294967295ELNS1_3gpuE0ELNS1_3repE0EEENS1_52radix_sort_onesweep_histogram_config_static_selectorELNS0_4arch9wavefront6targetE0EEEvSE_
		.amdhsa_group_segment_fixed_size 128
		.amdhsa_private_segment_fixed_size 0
		.amdhsa_kernarg_size 8
		.amdhsa_user_sgpr_count 2
		.amdhsa_user_sgpr_dispatch_ptr 0
		.amdhsa_user_sgpr_queue_ptr 0
		.amdhsa_user_sgpr_kernarg_segment_ptr 1
		.amdhsa_user_sgpr_dispatch_id 0
		.amdhsa_user_sgpr_kernarg_preload_length 0
		.amdhsa_user_sgpr_kernarg_preload_offset 0
		.amdhsa_user_sgpr_private_segment_size 0
		.amdhsa_wavefront_size32 1
		.amdhsa_uses_dynamic_stack 0
		.amdhsa_enable_private_segment 0
		.amdhsa_system_sgpr_workgroup_id_x 1
		.amdhsa_system_sgpr_workgroup_id_y 0
		.amdhsa_system_sgpr_workgroup_id_z 0
		.amdhsa_system_sgpr_workgroup_info 0
		.amdhsa_system_vgpr_workitem_id 0
		.amdhsa_next_free_vgpr 14
		.amdhsa_next_free_sgpr 8
		.amdhsa_named_barrier_count 0
		.amdhsa_reserve_vcc 1
		.amdhsa_float_round_mode_32 0
		.amdhsa_float_round_mode_16_64 0
		.amdhsa_float_denorm_mode_32 3
		.amdhsa_float_denorm_mode_16_64 3
		.amdhsa_fp16_overflow 0
		.amdhsa_memory_ordered 1
		.amdhsa_forward_progress 1
		.amdhsa_inst_pref_size 7
		.amdhsa_round_robin_scheduling 0
		.amdhsa_exception_fp_ieee_invalid_op 0
		.amdhsa_exception_fp_denorm_src 0
		.amdhsa_exception_fp_ieee_div_zero 0
		.amdhsa_exception_fp_ieee_overflow 0
		.amdhsa_exception_fp_ieee_underflow 0
		.amdhsa_exception_fp_ieee_inexact 0
		.amdhsa_exception_int_div_zero 0
	.end_amdhsa_kernel
	.section	.text._ZN7rocprim17ROCPRIM_400000_NS6detail17trampoline_kernelINS0_14default_configENS1_35radix_sort_onesweep_config_selectorI12hip_bfloat16NS0_10empty_typeEEEZNS1_34radix_sort_onesweep_global_offsetsIS3_Lb1EPKS5_PS6_mNS0_19identity_decomposerEEE10hipError_tT1_T2_PT3_SG_jT4_jjP12ihipStream_tbEUlT_E0_NS1_11comp_targetILNS1_3genE0ELNS1_11target_archE4294967295ELNS1_3gpuE0ELNS1_3repE0EEENS1_52radix_sort_onesweep_histogram_config_static_selectorELNS0_4arch9wavefront6targetE0EEEvSE_,"axG",@progbits,_ZN7rocprim17ROCPRIM_400000_NS6detail17trampoline_kernelINS0_14default_configENS1_35radix_sort_onesweep_config_selectorI12hip_bfloat16NS0_10empty_typeEEEZNS1_34radix_sort_onesweep_global_offsetsIS3_Lb1EPKS5_PS6_mNS0_19identity_decomposerEEE10hipError_tT1_T2_PT3_SG_jT4_jjP12ihipStream_tbEUlT_E0_NS1_11comp_targetILNS1_3genE0ELNS1_11target_archE4294967295ELNS1_3gpuE0ELNS1_3repE0EEENS1_52radix_sort_onesweep_histogram_config_static_selectorELNS0_4arch9wavefront6targetE0EEEvSE_,comdat
.Lfunc_end1947:
	.size	_ZN7rocprim17ROCPRIM_400000_NS6detail17trampoline_kernelINS0_14default_configENS1_35radix_sort_onesweep_config_selectorI12hip_bfloat16NS0_10empty_typeEEEZNS1_34radix_sort_onesweep_global_offsetsIS3_Lb1EPKS5_PS6_mNS0_19identity_decomposerEEE10hipError_tT1_T2_PT3_SG_jT4_jjP12ihipStream_tbEUlT_E0_NS1_11comp_targetILNS1_3genE0ELNS1_11target_archE4294967295ELNS1_3gpuE0ELNS1_3repE0EEENS1_52radix_sort_onesweep_histogram_config_static_selectorELNS0_4arch9wavefront6targetE0EEEvSE_, .Lfunc_end1947-_ZN7rocprim17ROCPRIM_400000_NS6detail17trampoline_kernelINS0_14default_configENS1_35radix_sort_onesweep_config_selectorI12hip_bfloat16NS0_10empty_typeEEEZNS1_34radix_sort_onesweep_global_offsetsIS3_Lb1EPKS5_PS6_mNS0_19identity_decomposerEEE10hipError_tT1_T2_PT3_SG_jT4_jjP12ihipStream_tbEUlT_E0_NS1_11comp_targetILNS1_3genE0ELNS1_11target_archE4294967295ELNS1_3gpuE0ELNS1_3repE0EEENS1_52radix_sort_onesweep_histogram_config_static_selectorELNS0_4arch9wavefront6targetE0EEEvSE_
                                        ; -- End function
	.set _ZN7rocprim17ROCPRIM_400000_NS6detail17trampoline_kernelINS0_14default_configENS1_35radix_sort_onesweep_config_selectorI12hip_bfloat16NS0_10empty_typeEEEZNS1_34radix_sort_onesweep_global_offsetsIS3_Lb1EPKS5_PS6_mNS0_19identity_decomposerEEE10hipError_tT1_T2_PT3_SG_jT4_jjP12ihipStream_tbEUlT_E0_NS1_11comp_targetILNS1_3genE0ELNS1_11target_archE4294967295ELNS1_3gpuE0ELNS1_3repE0EEENS1_52radix_sort_onesweep_histogram_config_static_selectorELNS0_4arch9wavefront6targetE0EEEvSE_.num_vgpr, 14
	.set _ZN7rocprim17ROCPRIM_400000_NS6detail17trampoline_kernelINS0_14default_configENS1_35radix_sort_onesweep_config_selectorI12hip_bfloat16NS0_10empty_typeEEEZNS1_34radix_sort_onesweep_global_offsetsIS3_Lb1EPKS5_PS6_mNS0_19identity_decomposerEEE10hipError_tT1_T2_PT3_SG_jT4_jjP12ihipStream_tbEUlT_E0_NS1_11comp_targetILNS1_3genE0ELNS1_11target_archE4294967295ELNS1_3gpuE0ELNS1_3repE0EEENS1_52radix_sort_onesweep_histogram_config_static_selectorELNS0_4arch9wavefront6targetE0EEEvSE_.num_agpr, 0
	.set _ZN7rocprim17ROCPRIM_400000_NS6detail17trampoline_kernelINS0_14default_configENS1_35radix_sort_onesweep_config_selectorI12hip_bfloat16NS0_10empty_typeEEEZNS1_34radix_sort_onesweep_global_offsetsIS3_Lb1EPKS5_PS6_mNS0_19identity_decomposerEEE10hipError_tT1_T2_PT3_SG_jT4_jjP12ihipStream_tbEUlT_E0_NS1_11comp_targetILNS1_3genE0ELNS1_11target_archE4294967295ELNS1_3gpuE0ELNS1_3repE0EEENS1_52radix_sort_onesweep_histogram_config_static_selectorELNS0_4arch9wavefront6targetE0EEEvSE_.numbered_sgpr, 8
	.set _ZN7rocprim17ROCPRIM_400000_NS6detail17trampoline_kernelINS0_14default_configENS1_35radix_sort_onesweep_config_selectorI12hip_bfloat16NS0_10empty_typeEEEZNS1_34radix_sort_onesweep_global_offsetsIS3_Lb1EPKS5_PS6_mNS0_19identity_decomposerEEE10hipError_tT1_T2_PT3_SG_jT4_jjP12ihipStream_tbEUlT_E0_NS1_11comp_targetILNS1_3genE0ELNS1_11target_archE4294967295ELNS1_3gpuE0ELNS1_3repE0EEENS1_52radix_sort_onesweep_histogram_config_static_selectorELNS0_4arch9wavefront6targetE0EEEvSE_.num_named_barrier, 0
	.set _ZN7rocprim17ROCPRIM_400000_NS6detail17trampoline_kernelINS0_14default_configENS1_35radix_sort_onesweep_config_selectorI12hip_bfloat16NS0_10empty_typeEEEZNS1_34radix_sort_onesweep_global_offsetsIS3_Lb1EPKS5_PS6_mNS0_19identity_decomposerEEE10hipError_tT1_T2_PT3_SG_jT4_jjP12ihipStream_tbEUlT_E0_NS1_11comp_targetILNS1_3genE0ELNS1_11target_archE4294967295ELNS1_3gpuE0ELNS1_3repE0EEENS1_52radix_sort_onesweep_histogram_config_static_selectorELNS0_4arch9wavefront6targetE0EEEvSE_.private_seg_size, 0
	.set _ZN7rocprim17ROCPRIM_400000_NS6detail17trampoline_kernelINS0_14default_configENS1_35radix_sort_onesweep_config_selectorI12hip_bfloat16NS0_10empty_typeEEEZNS1_34radix_sort_onesweep_global_offsetsIS3_Lb1EPKS5_PS6_mNS0_19identity_decomposerEEE10hipError_tT1_T2_PT3_SG_jT4_jjP12ihipStream_tbEUlT_E0_NS1_11comp_targetILNS1_3genE0ELNS1_11target_archE4294967295ELNS1_3gpuE0ELNS1_3repE0EEENS1_52radix_sort_onesweep_histogram_config_static_selectorELNS0_4arch9wavefront6targetE0EEEvSE_.uses_vcc, 1
	.set _ZN7rocprim17ROCPRIM_400000_NS6detail17trampoline_kernelINS0_14default_configENS1_35radix_sort_onesweep_config_selectorI12hip_bfloat16NS0_10empty_typeEEEZNS1_34radix_sort_onesweep_global_offsetsIS3_Lb1EPKS5_PS6_mNS0_19identity_decomposerEEE10hipError_tT1_T2_PT3_SG_jT4_jjP12ihipStream_tbEUlT_E0_NS1_11comp_targetILNS1_3genE0ELNS1_11target_archE4294967295ELNS1_3gpuE0ELNS1_3repE0EEENS1_52radix_sort_onesweep_histogram_config_static_selectorELNS0_4arch9wavefront6targetE0EEEvSE_.uses_flat_scratch, 0
	.set _ZN7rocprim17ROCPRIM_400000_NS6detail17trampoline_kernelINS0_14default_configENS1_35radix_sort_onesweep_config_selectorI12hip_bfloat16NS0_10empty_typeEEEZNS1_34radix_sort_onesweep_global_offsetsIS3_Lb1EPKS5_PS6_mNS0_19identity_decomposerEEE10hipError_tT1_T2_PT3_SG_jT4_jjP12ihipStream_tbEUlT_E0_NS1_11comp_targetILNS1_3genE0ELNS1_11target_archE4294967295ELNS1_3gpuE0ELNS1_3repE0EEENS1_52radix_sort_onesweep_histogram_config_static_selectorELNS0_4arch9wavefront6targetE0EEEvSE_.has_dyn_sized_stack, 0
	.set _ZN7rocprim17ROCPRIM_400000_NS6detail17trampoline_kernelINS0_14default_configENS1_35radix_sort_onesweep_config_selectorI12hip_bfloat16NS0_10empty_typeEEEZNS1_34radix_sort_onesweep_global_offsetsIS3_Lb1EPKS5_PS6_mNS0_19identity_decomposerEEE10hipError_tT1_T2_PT3_SG_jT4_jjP12ihipStream_tbEUlT_E0_NS1_11comp_targetILNS1_3genE0ELNS1_11target_archE4294967295ELNS1_3gpuE0ELNS1_3repE0EEENS1_52radix_sort_onesweep_histogram_config_static_selectorELNS0_4arch9wavefront6targetE0EEEvSE_.has_recursion, 0
	.set _ZN7rocprim17ROCPRIM_400000_NS6detail17trampoline_kernelINS0_14default_configENS1_35radix_sort_onesweep_config_selectorI12hip_bfloat16NS0_10empty_typeEEEZNS1_34radix_sort_onesweep_global_offsetsIS3_Lb1EPKS5_PS6_mNS0_19identity_decomposerEEE10hipError_tT1_T2_PT3_SG_jT4_jjP12ihipStream_tbEUlT_E0_NS1_11comp_targetILNS1_3genE0ELNS1_11target_archE4294967295ELNS1_3gpuE0ELNS1_3repE0EEENS1_52radix_sort_onesweep_histogram_config_static_selectorELNS0_4arch9wavefront6targetE0EEEvSE_.has_indirect_call, 0
	.section	.AMDGPU.csdata,"",@progbits
; Kernel info:
; codeLenInByte = 896
; TotalNumSgprs: 10
; NumVgprs: 14
; ScratchSize: 0
; MemoryBound: 0
; FloatMode: 240
; IeeeMode: 1
; LDSByteSize: 128 bytes/workgroup (compile time only)
; SGPRBlocks: 0
; VGPRBlocks: 0
; NumSGPRsForWavesPerEU: 10
; NumVGPRsForWavesPerEU: 14
; NamedBarCnt: 0
; Occupancy: 16
; WaveLimiterHint : 0
; COMPUTE_PGM_RSRC2:SCRATCH_EN: 0
; COMPUTE_PGM_RSRC2:USER_SGPR: 2
; COMPUTE_PGM_RSRC2:TRAP_HANDLER: 0
; COMPUTE_PGM_RSRC2:TGID_X_EN: 1
; COMPUTE_PGM_RSRC2:TGID_Y_EN: 0
; COMPUTE_PGM_RSRC2:TGID_Z_EN: 0
; COMPUTE_PGM_RSRC2:TIDIG_COMP_CNT: 0
	.section	.text._ZN7rocprim17ROCPRIM_400000_NS6detail17trampoline_kernelINS0_14default_configENS1_35radix_sort_onesweep_config_selectorI12hip_bfloat16NS0_10empty_typeEEEZNS1_34radix_sort_onesweep_global_offsetsIS3_Lb1EPKS5_PS6_mNS0_19identity_decomposerEEE10hipError_tT1_T2_PT3_SG_jT4_jjP12ihipStream_tbEUlT_E0_NS1_11comp_targetILNS1_3genE6ELNS1_11target_archE950ELNS1_3gpuE13ELNS1_3repE0EEENS1_52radix_sort_onesweep_histogram_config_static_selectorELNS0_4arch9wavefront6targetE0EEEvSE_,"axG",@progbits,_ZN7rocprim17ROCPRIM_400000_NS6detail17trampoline_kernelINS0_14default_configENS1_35radix_sort_onesweep_config_selectorI12hip_bfloat16NS0_10empty_typeEEEZNS1_34radix_sort_onesweep_global_offsetsIS3_Lb1EPKS5_PS6_mNS0_19identity_decomposerEEE10hipError_tT1_T2_PT3_SG_jT4_jjP12ihipStream_tbEUlT_E0_NS1_11comp_targetILNS1_3genE6ELNS1_11target_archE950ELNS1_3gpuE13ELNS1_3repE0EEENS1_52radix_sort_onesweep_histogram_config_static_selectorELNS0_4arch9wavefront6targetE0EEEvSE_,comdat
	.protected	_ZN7rocprim17ROCPRIM_400000_NS6detail17trampoline_kernelINS0_14default_configENS1_35radix_sort_onesweep_config_selectorI12hip_bfloat16NS0_10empty_typeEEEZNS1_34radix_sort_onesweep_global_offsetsIS3_Lb1EPKS5_PS6_mNS0_19identity_decomposerEEE10hipError_tT1_T2_PT3_SG_jT4_jjP12ihipStream_tbEUlT_E0_NS1_11comp_targetILNS1_3genE6ELNS1_11target_archE950ELNS1_3gpuE13ELNS1_3repE0EEENS1_52radix_sort_onesweep_histogram_config_static_selectorELNS0_4arch9wavefront6targetE0EEEvSE_ ; -- Begin function _ZN7rocprim17ROCPRIM_400000_NS6detail17trampoline_kernelINS0_14default_configENS1_35radix_sort_onesweep_config_selectorI12hip_bfloat16NS0_10empty_typeEEEZNS1_34radix_sort_onesweep_global_offsetsIS3_Lb1EPKS5_PS6_mNS0_19identity_decomposerEEE10hipError_tT1_T2_PT3_SG_jT4_jjP12ihipStream_tbEUlT_E0_NS1_11comp_targetILNS1_3genE6ELNS1_11target_archE950ELNS1_3gpuE13ELNS1_3repE0EEENS1_52radix_sort_onesweep_histogram_config_static_selectorELNS0_4arch9wavefront6targetE0EEEvSE_
	.globl	_ZN7rocprim17ROCPRIM_400000_NS6detail17trampoline_kernelINS0_14default_configENS1_35radix_sort_onesweep_config_selectorI12hip_bfloat16NS0_10empty_typeEEEZNS1_34radix_sort_onesweep_global_offsetsIS3_Lb1EPKS5_PS6_mNS0_19identity_decomposerEEE10hipError_tT1_T2_PT3_SG_jT4_jjP12ihipStream_tbEUlT_E0_NS1_11comp_targetILNS1_3genE6ELNS1_11target_archE950ELNS1_3gpuE13ELNS1_3repE0EEENS1_52radix_sort_onesweep_histogram_config_static_selectorELNS0_4arch9wavefront6targetE0EEEvSE_
	.p2align	8
	.type	_ZN7rocprim17ROCPRIM_400000_NS6detail17trampoline_kernelINS0_14default_configENS1_35radix_sort_onesweep_config_selectorI12hip_bfloat16NS0_10empty_typeEEEZNS1_34radix_sort_onesweep_global_offsetsIS3_Lb1EPKS5_PS6_mNS0_19identity_decomposerEEE10hipError_tT1_T2_PT3_SG_jT4_jjP12ihipStream_tbEUlT_E0_NS1_11comp_targetILNS1_3genE6ELNS1_11target_archE950ELNS1_3gpuE13ELNS1_3repE0EEENS1_52radix_sort_onesweep_histogram_config_static_selectorELNS0_4arch9wavefront6targetE0EEEvSE_,@function
_ZN7rocprim17ROCPRIM_400000_NS6detail17trampoline_kernelINS0_14default_configENS1_35radix_sort_onesweep_config_selectorI12hip_bfloat16NS0_10empty_typeEEEZNS1_34radix_sort_onesweep_global_offsetsIS3_Lb1EPKS5_PS6_mNS0_19identity_decomposerEEE10hipError_tT1_T2_PT3_SG_jT4_jjP12ihipStream_tbEUlT_E0_NS1_11comp_targetILNS1_3genE6ELNS1_11target_archE950ELNS1_3gpuE13ELNS1_3repE0EEENS1_52radix_sort_onesweep_histogram_config_static_selectorELNS0_4arch9wavefront6targetE0EEEvSE_: ; @_ZN7rocprim17ROCPRIM_400000_NS6detail17trampoline_kernelINS0_14default_configENS1_35radix_sort_onesweep_config_selectorI12hip_bfloat16NS0_10empty_typeEEEZNS1_34radix_sort_onesweep_global_offsetsIS3_Lb1EPKS5_PS6_mNS0_19identity_decomposerEEE10hipError_tT1_T2_PT3_SG_jT4_jjP12ihipStream_tbEUlT_E0_NS1_11comp_targetILNS1_3genE6ELNS1_11target_archE950ELNS1_3gpuE13ELNS1_3repE0EEENS1_52radix_sort_onesweep_histogram_config_static_selectorELNS0_4arch9wavefront6targetE0EEEvSE_
; %bb.0:
	.section	.rodata,"a",@progbits
	.p2align	6, 0x0
	.amdhsa_kernel _ZN7rocprim17ROCPRIM_400000_NS6detail17trampoline_kernelINS0_14default_configENS1_35radix_sort_onesweep_config_selectorI12hip_bfloat16NS0_10empty_typeEEEZNS1_34radix_sort_onesweep_global_offsetsIS3_Lb1EPKS5_PS6_mNS0_19identity_decomposerEEE10hipError_tT1_T2_PT3_SG_jT4_jjP12ihipStream_tbEUlT_E0_NS1_11comp_targetILNS1_3genE6ELNS1_11target_archE950ELNS1_3gpuE13ELNS1_3repE0EEENS1_52radix_sort_onesweep_histogram_config_static_selectorELNS0_4arch9wavefront6targetE0EEEvSE_
		.amdhsa_group_segment_fixed_size 0
		.amdhsa_private_segment_fixed_size 0
		.amdhsa_kernarg_size 8
		.amdhsa_user_sgpr_count 2
		.amdhsa_user_sgpr_dispatch_ptr 0
		.amdhsa_user_sgpr_queue_ptr 0
		.amdhsa_user_sgpr_kernarg_segment_ptr 1
		.amdhsa_user_sgpr_dispatch_id 0
		.amdhsa_user_sgpr_kernarg_preload_length 0
		.amdhsa_user_sgpr_kernarg_preload_offset 0
		.amdhsa_user_sgpr_private_segment_size 0
		.amdhsa_wavefront_size32 1
		.amdhsa_uses_dynamic_stack 0
		.amdhsa_enable_private_segment 0
		.amdhsa_system_sgpr_workgroup_id_x 1
		.amdhsa_system_sgpr_workgroup_id_y 0
		.amdhsa_system_sgpr_workgroup_id_z 0
		.amdhsa_system_sgpr_workgroup_info 0
		.amdhsa_system_vgpr_workitem_id 0
		.amdhsa_next_free_vgpr 1
		.amdhsa_next_free_sgpr 1
		.amdhsa_named_barrier_count 0
		.amdhsa_reserve_vcc 0
		.amdhsa_float_round_mode_32 0
		.amdhsa_float_round_mode_16_64 0
		.amdhsa_float_denorm_mode_32 3
		.amdhsa_float_denorm_mode_16_64 3
		.amdhsa_fp16_overflow 0
		.amdhsa_memory_ordered 1
		.amdhsa_forward_progress 1
		.amdhsa_inst_pref_size 0
		.amdhsa_round_robin_scheduling 0
		.amdhsa_exception_fp_ieee_invalid_op 0
		.amdhsa_exception_fp_denorm_src 0
		.amdhsa_exception_fp_ieee_div_zero 0
		.amdhsa_exception_fp_ieee_overflow 0
		.amdhsa_exception_fp_ieee_underflow 0
		.amdhsa_exception_fp_ieee_inexact 0
		.amdhsa_exception_int_div_zero 0
	.end_amdhsa_kernel
	.section	.text._ZN7rocprim17ROCPRIM_400000_NS6detail17trampoline_kernelINS0_14default_configENS1_35radix_sort_onesweep_config_selectorI12hip_bfloat16NS0_10empty_typeEEEZNS1_34radix_sort_onesweep_global_offsetsIS3_Lb1EPKS5_PS6_mNS0_19identity_decomposerEEE10hipError_tT1_T2_PT3_SG_jT4_jjP12ihipStream_tbEUlT_E0_NS1_11comp_targetILNS1_3genE6ELNS1_11target_archE950ELNS1_3gpuE13ELNS1_3repE0EEENS1_52radix_sort_onesweep_histogram_config_static_selectorELNS0_4arch9wavefront6targetE0EEEvSE_,"axG",@progbits,_ZN7rocprim17ROCPRIM_400000_NS6detail17trampoline_kernelINS0_14default_configENS1_35radix_sort_onesweep_config_selectorI12hip_bfloat16NS0_10empty_typeEEEZNS1_34radix_sort_onesweep_global_offsetsIS3_Lb1EPKS5_PS6_mNS0_19identity_decomposerEEE10hipError_tT1_T2_PT3_SG_jT4_jjP12ihipStream_tbEUlT_E0_NS1_11comp_targetILNS1_3genE6ELNS1_11target_archE950ELNS1_3gpuE13ELNS1_3repE0EEENS1_52radix_sort_onesweep_histogram_config_static_selectorELNS0_4arch9wavefront6targetE0EEEvSE_,comdat
.Lfunc_end1948:
	.size	_ZN7rocprim17ROCPRIM_400000_NS6detail17trampoline_kernelINS0_14default_configENS1_35radix_sort_onesweep_config_selectorI12hip_bfloat16NS0_10empty_typeEEEZNS1_34radix_sort_onesweep_global_offsetsIS3_Lb1EPKS5_PS6_mNS0_19identity_decomposerEEE10hipError_tT1_T2_PT3_SG_jT4_jjP12ihipStream_tbEUlT_E0_NS1_11comp_targetILNS1_3genE6ELNS1_11target_archE950ELNS1_3gpuE13ELNS1_3repE0EEENS1_52radix_sort_onesweep_histogram_config_static_selectorELNS0_4arch9wavefront6targetE0EEEvSE_, .Lfunc_end1948-_ZN7rocprim17ROCPRIM_400000_NS6detail17trampoline_kernelINS0_14default_configENS1_35radix_sort_onesweep_config_selectorI12hip_bfloat16NS0_10empty_typeEEEZNS1_34radix_sort_onesweep_global_offsetsIS3_Lb1EPKS5_PS6_mNS0_19identity_decomposerEEE10hipError_tT1_T2_PT3_SG_jT4_jjP12ihipStream_tbEUlT_E0_NS1_11comp_targetILNS1_3genE6ELNS1_11target_archE950ELNS1_3gpuE13ELNS1_3repE0EEENS1_52radix_sort_onesweep_histogram_config_static_selectorELNS0_4arch9wavefront6targetE0EEEvSE_
                                        ; -- End function
	.set _ZN7rocprim17ROCPRIM_400000_NS6detail17trampoline_kernelINS0_14default_configENS1_35radix_sort_onesweep_config_selectorI12hip_bfloat16NS0_10empty_typeEEEZNS1_34radix_sort_onesweep_global_offsetsIS3_Lb1EPKS5_PS6_mNS0_19identity_decomposerEEE10hipError_tT1_T2_PT3_SG_jT4_jjP12ihipStream_tbEUlT_E0_NS1_11comp_targetILNS1_3genE6ELNS1_11target_archE950ELNS1_3gpuE13ELNS1_3repE0EEENS1_52radix_sort_onesweep_histogram_config_static_selectorELNS0_4arch9wavefront6targetE0EEEvSE_.num_vgpr, 0
	.set _ZN7rocprim17ROCPRIM_400000_NS6detail17trampoline_kernelINS0_14default_configENS1_35radix_sort_onesweep_config_selectorI12hip_bfloat16NS0_10empty_typeEEEZNS1_34radix_sort_onesweep_global_offsetsIS3_Lb1EPKS5_PS6_mNS0_19identity_decomposerEEE10hipError_tT1_T2_PT3_SG_jT4_jjP12ihipStream_tbEUlT_E0_NS1_11comp_targetILNS1_3genE6ELNS1_11target_archE950ELNS1_3gpuE13ELNS1_3repE0EEENS1_52radix_sort_onesweep_histogram_config_static_selectorELNS0_4arch9wavefront6targetE0EEEvSE_.num_agpr, 0
	.set _ZN7rocprim17ROCPRIM_400000_NS6detail17trampoline_kernelINS0_14default_configENS1_35radix_sort_onesweep_config_selectorI12hip_bfloat16NS0_10empty_typeEEEZNS1_34radix_sort_onesweep_global_offsetsIS3_Lb1EPKS5_PS6_mNS0_19identity_decomposerEEE10hipError_tT1_T2_PT3_SG_jT4_jjP12ihipStream_tbEUlT_E0_NS1_11comp_targetILNS1_3genE6ELNS1_11target_archE950ELNS1_3gpuE13ELNS1_3repE0EEENS1_52radix_sort_onesweep_histogram_config_static_selectorELNS0_4arch9wavefront6targetE0EEEvSE_.numbered_sgpr, 0
	.set _ZN7rocprim17ROCPRIM_400000_NS6detail17trampoline_kernelINS0_14default_configENS1_35radix_sort_onesweep_config_selectorI12hip_bfloat16NS0_10empty_typeEEEZNS1_34radix_sort_onesweep_global_offsetsIS3_Lb1EPKS5_PS6_mNS0_19identity_decomposerEEE10hipError_tT1_T2_PT3_SG_jT4_jjP12ihipStream_tbEUlT_E0_NS1_11comp_targetILNS1_3genE6ELNS1_11target_archE950ELNS1_3gpuE13ELNS1_3repE0EEENS1_52radix_sort_onesweep_histogram_config_static_selectorELNS0_4arch9wavefront6targetE0EEEvSE_.num_named_barrier, 0
	.set _ZN7rocprim17ROCPRIM_400000_NS6detail17trampoline_kernelINS0_14default_configENS1_35radix_sort_onesweep_config_selectorI12hip_bfloat16NS0_10empty_typeEEEZNS1_34radix_sort_onesweep_global_offsetsIS3_Lb1EPKS5_PS6_mNS0_19identity_decomposerEEE10hipError_tT1_T2_PT3_SG_jT4_jjP12ihipStream_tbEUlT_E0_NS1_11comp_targetILNS1_3genE6ELNS1_11target_archE950ELNS1_3gpuE13ELNS1_3repE0EEENS1_52radix_sort_onesweep_histogram_config_static_selectorELNS0_4arch9wavefront6targetE0EEEvSE_.private_seg_size, 0
	.set _ZN7rocprim17ROCPRIM_400000_NS6detail17trampoline_kernelINS0_14default_configENS1_35radix_sort_onesweep_config_selectorI12hip_bfloat16NS0_10empty_typeEEEZNS1_34radix_sort_onesweep_global_offsetsIS3_Lb1EPKS5_PS6_mNS0_19identity_decomposerEEE10hipError_tT1_T2_PT3_SG_jT4_jjP12ihipStream_tbEUlT_E0_NS1_11comp_targetILNS1_3genE6ELNS1_11target_archE950ELNS1_3gpuE13ELNS1_3repE0EEENS1_52radix_sort_onesweep_histogram_config_static_selectorELNS0_4arch9wavefront6targetE0EEEvSE_.uses_vcc, 0
	.set _ZN7rocprim17ROCPRIM_400000_NS6detail17trampoline_kernelINS0_14default_configENS1_35radix_sort_onesweep_config_selectorI12hip_bfloat16NS0_10empty_typeEEEZNS1_34radix_sort_onesweep_global_offsetsIS3_Lb1EPKS5_PS6_mNS0_19identity_decomposerEEE10hipError_tT1_T2_PT3_SG_jT4_jjP12ihipStream_tbEUlT_E0_NS1_11comp_targetILNS1_3genE6ELNS1_11target_archE950ELNS1_3gpuE13ELNS1_3repE0EEENS1_52radix_sort_onesweep_histogram_config_static_selectorELNS0_4arch9wavefront6targetE0EEEvSE_.uses_flat_scratch, 0
	.set _ZN7rocprim17ROCPRIM_400000_NS6detail17trampoline_kernelINS0_14default_configENS1_35radix_sort_onesweep_config_selectorI12hip_bfloat16NS0_10empty_typeEEEZNS1_34radix_sort_onesweep_global_offsetsIS3_Lb1EPKS5_PS6_mNS0_19identity_decomposerEEE10hipError_tT1_T2_PT3_SG_jT4_jjP12ihipStream_tbEUlT_E0_NS1_11comp_targetILNS1_3genE6ELNS1_11target_archE950ELNS1_3gpuE13ELNS1_3repE0EEENS1_52radix_sort_onesweep_histogram_config_static_selectorELNS0_4arch9wavefront6targetE0EEEvSE_.has_dyn_sized_stack, 0
	.set _ZN7rocprim17ROCPRIM_400000_NS6detail17trampoline_kernelINS0_14default_configENS1_35radix_sort_onesweep_config_selectorI12hip_bfloat16NS0_10empty_typeEEEZNS1_34radix_sort_onesweep_global_offsetsIS3_Lb1EPKS5_PS6_mNS0_19identity_decomposerEEE10hipError_tT1_T2_PT3_SG_jT4_jjP12ihipStream_tbEUlT_E0_NS1_11comp_targetILNS1_3genE6ELNS1_11target_archE950ELNS1_3gpuE13ELNS1_3repE0EEENS1_52radix_sort_onesweep_histogram_config_static_selectorELNS0_4arch9wavefront6targetE0EEEvSE_.has_recursion, 0
	.set _ZN7rocprim17ROCPRIM_400000_NS6detail17trampoline_kernelINS0_14default_configENS1_35radix_sort_onesweep_config_selectorI12hip_bfloat16NS0_10empty_typeEEEZNS1_34radix_sort_onesweep_global_offsetsIS3_Lb1EPKS5_PS6_mNS0_19identity_decomposerEEE10hipError_tT1_T2_PT3_SG_jT4_jjP12ihipStream_tbEUlT_E0_NS1_11comp_targetILNS1_3genE6ELNS1_11target_archE950ELNS1_3gpuE13ELNS1_3repE0EEENS1_52radix_sort_onesweep_histogram_config_static_selectorELNS0_4arch9wavefront6targetE0EEEvSE_.has_indirect_call, 0
	.section	.AMDGPU.csdata,"",@progbits
; Kernel info:
; codeLenInByte = 0
; TotalNumSgprs: 0
; NumVgprs: 0
; ScratchSize: 0
; MemoryBound: 0
; FloatMode: 240
; IeeeMode: 1
; LDSByteSize: 0 bytes/workgroup (compile time only)
; SGPRBlocks: 0
; VGPRBlocks: 0
; NumSGPRsForWavesPerEU: 1
; NumVGPRsForWavesPerEU: 1
; NamedBarCnt: 0
; Occupancy: 16
; WaveLimiterHint : 0
; COMPUTE_PGM_RSRC2:SCRATCH_EN: 0
; COMPUTE_PGM_RSRC2:USER_SGPR: 2
; COMPUTE_PGM_RSRC2:TRAP_HANDLER: 0
; COMPUTE_PGM_RSRC2:TGID_X_EN: 1
; COMPUTE_PGM_RSRC2:TGID_Y_EN: 0
; COMPUTE_PGM_RSRC2:TGID_Z_EN: 0
; COMPUTE_PGM_RSRC2:TIDIG_COMP_CNT: 0
	.section	.text._ZN7rocprim17ROCPRIM_400000_NS6detail17trampoline_kernelINS0_14default_configENS1_35radix_sort_onesweep_config_selectorI12hip_bfloat16NS0_10empty_typeEEEZNS1_34radix_sort_onesweep_global_offsetsIS3_Lb1EPKS5_PS6_mNS0_19identity_decomposerEEE10hipError_tT1_T2_PT3_SG_jT4_jjP12ihipStream_tbEUlT_E0_NS1_11comp_targetILNS1_3genE5ELNS1_11target_archE942ELNS1_3gpuE9ELNS1_3repE0EEENS1_52radix_sort_onesweep_histogram_config_static_selectorELNS0_4arch9wavefront6targetE0EEEvSE_,"axG",@progbits,_ZN7rocprim17ROCPRIM_400000_NS6detail17trampoline_kernelINS0_14default_configENS1_35radix_sort_onesweep_config_selectorI12hip_bfloat16NS0_10empty_typeEEEZNS1_34radix_sort_onesweep_global_offsetsIS3_Lb1EPKS5_PS6_mNS0_19identity_decomposerEEE10hipError_tT1_T2_PT3_SG_jT4_jjP12ihipStream_tbEUlT_E0_NS1_11comp_targetILNS1_3genE5ELNS1_11target_archE942ELNS1_3gpuE9ELNS1_3repE0EEENS1_52radix_sort_onesweep_histogram_config_static_selectorELNS0_4arch9wavefront6targetE0EEEvSE_,comdat
	.protected	_ZN7rocprim17ROCPRIM_400000_NS6detail17trampoline_kernelINS0_14default_configENS1_35radix_sort_onesweep_config_selectorI12hip_bfloat16NS0_10empty_typeEEEZNS1_34radix_sort_onesweep_global_offsetsIS3_Lb1EPKS5_PS6_mNS0_19identity_decomposerEEE10hipError_tT1_T2_PT3_SG_jT4_jjP12ihipStream_tbEUlT_E0_NS1_11comp_targetILNS1_3genE5ELNS1_11target_archE942ELNS1_3gpuE9ELNS1_3repE0EEENS1_52radix_sort_onesweep_histogram_config_static_selectorELNS0_4arch9wavefront6targetE0EEEvSE_ ; -- Begin function _ZN7rocprim17ROCPRIM_400000_NS6detail17trampoline_kernelINS0_14default_configENS1_35radix_sort_onesweep_config_selectorI12hip_bfloat16NS0_10empty_typeEEEZNS1_34radix_sort_onesweep_global_offsetsIS3_Lb1EPKS5_PS6_mNS0_19identity_decomposerEEE10hipError_tT1_T2_PT3_SG_jT4_jjP12ihipStream_tbEUlT_E0_NS1_11comp_targetILNS1_3genE5ELNS1_11target_archE942ELNS1_3gpuE9ELNS1_3repE0EEENS1_52radix_sort_onesweep_histogram_config_static_selectorELNS0_4arch9wavefront6targetE0EEEvSE_
	.globl	_ZN7rocprim17ROCPRIM_400000_NS6detail17trampoline_kernelINS0_14default_configENS1_35radix_sort_onesweep_config_selectorI12hip_bfloat16NS0_10empty_typeEEEZNS1_34radix_sort_onesweep_global_offsetsIS3_Lb1EPKS5_PS6_mNS0_19identity_decomposerEEE10hipError_tT1_T2_PT3_SG_jT4_jjP12ihipStream_tbEUlT_E0_NS1_11comp_targetILNS1_3genE5ELNS1_11target_archE942ELNS1_3gpuE9ELNS1_3repE0EEENS1_52radix_sort_onesweep_histogram_config_static_selectorELNS0_4arch9wavefront6targetE0EEEvSE_
	.p2align	8
	.type	_ZN7rocprim17ROCPRIM_400000_NS6detail17trampoline_kernelINS0_14default_configENS1_35radix_sort_onesweep_config_selectorI12hip_bfloat16NS0_10empty_typeEEEZNS1_34radix_sort_onesweep_global_offsetsIS3_Lb1EPKS5_PS6_mNS0_19identity_decomposerEEE10hipError_tT1_T2_PT3_SG_jT4_jjP12ihipStream_tbEUlT_E0_NS1_11comp_targetILNS1_3genE5ELNS1_11target_archE942ELNS1_3gpuE9ELNS1_3repE0EEENS1_52radix_sort_onesweep_histogram_config_static_selectorELNS0_4arch9wavefront6targetE0EEEvSE_,@function
_ZN7rocprim17ROCPRIM_400000_NS6detail17trampoline_kernelINS0_14default_configENS1_35radix_sort_onesweep_config_selectorI12hip_bfloat16NS0_10empty_typeEEEZNS1_34radix_sort_onesweep_global_offsetsIS3_Lb1EPKS5_PS6_mNS0_19identity_decomposerEEE10hipError_tT1_T2_PT3_SG_jT4_jjP12ihipStream_tbEUlT_E0_NS1_11comp_targetILNS1_3genE5ELNS1_11target_archE942ELNS1_3gpuE9ELNS1_3repE0EEENS1_52radix_sort_onesweep_histogram_config_static_selectorELNS0_4arch9wavefront6targetE0EEEvSE_: ; @_ZN7rocprim17ROCPRIM_400000_NS6detail17trampoline_kernelINS0_14default_configENS1_35radix_sort_onesweep_config_selectorI12hip_bfloat16NS0_10empty_typeEEEZNS1_34radix_sort_onesweep_global_offsetsIS3_Lb1EPKS5_PS6_mNS0_19identity_decomposerEEE10hipError_tT1_T2_PT3_SG_jT4_jjP12ihipStream_tbEUlT_E0_NS1_11comp_targetILNS1_3genE5ELNS1_11target_archE942ELNS1_3gpuE9ELNS1_3repE0EEENS1_52radix_sort_onesweep_histogram_config_static_selectorELNS0_4arch9wavefront6targetE0EEEvSE_
; %bb.0:
	.section	.rodata,"a",@progbits
	.p2align	6, 0x0
	.amdhsa_kernel _ZN7rocprim17ROCPRIM_400000_NS6detail17trampoline_kernelINS0_14default_configENS1_35radix_sort_onesweep_config_selectorI12hip_bfloat16NS0_10empty_typeEEEZNS1_34radix_sort_onesweep_global_offsetsIS3_Lb1EPKS5_PS6_mNS0_19identity_decomposerEEE10hipError_tT1_T2_PT3_SG_jT4_jjP12ihipStream_tbEUlT_E0_NS1_11comp_targetILNS1_3genE5ELNS1_11target_archE942ELNS1_3gpuE9ELNS1_3repE0EEENS1_52radix_sort_onesweep_histogram_config_static_selectorELNS0_4arch9wavefront6targetE0EEEvSE_
		.amdhsa_group_segment_fixed_size 0
		.amdhsa_private_segment_fixed_size 0
		.amdhsa_kernarg_size 8
		.amdhsa_user_sgpr_count 2
		.amdhsa_user_sgpr_dispatch_ptr 0
		.amdhsa_user_sgpr_queue_ptr 0
		.amdhsa_user_sgpr_kernarg_segment_ptr 1
		.amdhsa_user_sgpr_dispatch_id 0
		.amdhsa_user_sgpr_kernarg_preload_length 0
		.amdhsa_user_sgpr_kernarg_preload_offset 0
		.amdhsa_user_sgpr_private_segment_size 0
		.amdhsa_wavefront_size32 1
		.amdhsa_uses_dynamic_stack 0
		.amdhsa_enable_private_segment 0
		.amdhsa_system_sgpr_workgroup_id_x 1
		.amdhsa_system_sgpr_workgroup_id_y 0
		.amdhsa_system_sgpr_workgroup_id_z 0
		.amdhsa_system_sgpr_workgroup_info 0
		.amdhsa_system_vgpr_workitem_id 0
		.amdhsa_next_free_vgpr 1
		.amdhsa_next_free_sgpr 1
		.amdhsa_named_barrier_count 0
		.amdhsa_reserve_vcc 0
		.amdhsa_float_round_mode_32 0
		.amdhsa_float_round_mode_16_64 0
		.amdhsa_float_denorm_mode_32 3
		.amdhsa_float_denorm_mode_16_64 3
		.amdhsa_fp16_overflow 0
		.amdhsa_memory_ordered 1
		.amdhsa_forward_progress 1
		.amdhsa_inst_pref_size 0
		.amdhsa_round_robin_scheduling 0
		.amdhsa_exception_fp_ieee_invalid_op 0
		.amdhsa_exception_fp_denorm_src 0
		.amdhsa_exception_fp_ieee_div_zero 0
		.amdhsa_exception_fp_ieee_overflow 0
		.amdhsa_exception_fp_ieee_underflow 0
		.amdhsa_exception_fp_ieee_inexact 0
		.amdhsa_exception_int_div_zero 0
	.end_amdhsa_kernel
	.section	.text._ZN7rocprim17ROCPRIM_400000_NS6detail17trampoline_kernelINS0_14default_configENS1_35radix_sort_onesweep_config_selectorI12hip_bfloat16NS0_10empty_typeEEEZNS1_34radix_sort_onesweep_global_offsetsIS3_Lb1EPKS5_PS6_mNS0_19identity_decomposerEEE10hipError_tT1_T2_PT3_SG_jT4_jjP12ihipStream_tbEUlT_E0_NS1_11comp_targetILNS1_3genE5ELNS1_11target_archE942ELNS1_3gpuE9ELNS1_3repE0EEENS1_52radix_sort_onesweep_histogram_config_static_selectorELNS0_4arch9wavefront6targetE0EEEvSE_,"axG",@progbits,_ZN7rocprim17ROCPRIM_400000_NS6detail17trampoline_kernelINS0_14default_configENS1_35radix_sort_onesweep_config_selectorI12hip_bfloat16NS0_10empty_typeEEEZNS1_34radix_sort_onesweep_global_offsetsIS3_Lb1EPKS5_PS6_mNS0_19identity_decomposerEEE10hipError_tT1_T2_PT3_SG_jT4_jjP12ihipStream_tbEUlT_E0_NS1_11comp_targetILNS1_3genE5ELNS1_11target_archE942ELNS1_3gpuE9ELNS1_3repE0EEENS1_52radix_sort_onesweep_histogram_config_static_selectorELNS0_4arch9wavefront6targetE0EEEvSE_,comdat
.Lfunc_end1949:
	.size	_ZN7rocprim17ROCPRIM_400000_NS6detail17trampoline_kernelINS0_14default_configENS1_35radix_sort_onesweep_config_selectorI12hip_bfloat16NS0_10empty_typeEEEZNS1_34radix_sort_onesweep_global_offsetsIS3_Lb1EPKS5_PS6_mNS0_19identity_decomposerEEE10hipError_tT1_T2_PT3_SG_jT4_jjP12ihipStream_tbEUlT_E0_NS1_11comp_targetILNS1_3genE5ELNS1_11target_archE942ELNS1_3gpuE9ELNS1_3repE0EEENS1_52radix_sort_onesweep_histogram_config_static_selectorELNS0_4arch9wavefront6targetE0EEEvSE_, .Lfunc_end1949-_ZN7rocprim17ROCPRIM_400000_NS6detail17trampoline_kernelINS0_14default_configENS1_35radix_sort_onesweep_config_selectorI12hip_bfloat16NS0_10empty_typeEEEZNS1_34radix_sort_onesweep_global_offsetsIS3_Lb1EPKS5_PS6_mNS0_19identity_decomposerEEE10hipError_tT1_T2_PT3_SG_jT4_jjP12ihipStream_tbEUlT_E0_NS1_11comp_targetILNS1_3genE5ELNS1_11target_archE942ELNS1_3gpuE9ELNS1_3repE0EEENS1_52radix_sort_onesweep_histogram_config_static_selectorELNS0_4arch9wavefront6targetE0EEEvSE_
                                        ; -- End function
	.set _ZN7rocprim17ROCPRIM_400000_NS6detail17trampoline_kernelINS0_14default_configENS1_35radix_sort_onesweep_config_selectorI12hip_bfloat16NS0_10empty_typeEEEZNS1_34radix_sort_onesweep_global_offsetsIS3_Lb1EPKS5_PS6_mNS0_19identity_decomposerEEE10hipError_tT1_T2_PT3_SG_jT4_jjP12ihipStream_tbEUlT_E0_NS1_11comp_targetILNS1_3genE5ELNS1_11target_archE942ELNS1_3gpuE9ELNS1_3repE0EEENS1_52radix_sort_onesweep_histogram_config_static_selectorELNS0_4arch9wavefront6targetE0EEEvSE_.num_vgpr, 0
	.set _ZN7rocprim17ROCPRIM_400000_NS6detail17trampoline_kernelINS0_14default_configENS1_35radix_sort_onesweep_config_selectorI12hip_bfloat16NS0_10empty_typeEEEZNS1_34radix_sort_onesweep_global_offsetsIS3_Lb1EPKS5_PS6_mNS0_19identity_decomposerEEE10hipError_tT1_T2_PT3_SG_jT4_jjP12ihipStream_tbEUlT_E0_NS1_11comp_targetILNS1_3genE5ELNS1_11target_archE942ELNS1_3gpuE9ELNS1_3repE0EEENS1_52radix_sort_onesweep_histogram_config_static_selectorELNS0_4arch9wavefront6targetE0EEEvSE_.num_agpr, 0
	.set _ZN7rocprim17ROCPRIM_400000_NS6detail17trampoline_kernelINS0_14default_configENS1_35radix_sort_onesweep_config_selectorI12hip_bfloat16NS0_10empty_typeEEEZNS1_34radix_sort_onesweep_global_offsetsIS3_Lb1EPKS5_PS6_mNS0_19identity_decomposerEEE10hipError_tT1_T2_PT3_SG_jT4_jjP12ihipStream_tbEUlT_E0_NS1_11comp_targetILNS1_3genE5ELNS1_11target_archE942ELNS1_3gpuE9ELNS1_3repE0EEENS1_52radix_sort_onesweep_histogram_config_static_selectorELNS0_4arch9wavefront6targetE0EEEvSE_.numbered_sgpr, 0
	.set _ZN7rocprim17ROCPRIM_400000_NS6detail17trampoline_kernelINS0_14default_configENS1_35radix_sort_onesweep_config_selectorI12hip_bfloat16NS0_10empty_typeEEEZNS1_34radix_sort_onesweep_global_offsetsIS3_Lb1EPKS5_PS6_mNS0_19identity_decomposerEEE10hipError_tT1_T2_PT3_SG_jT4_jjP12ihipStream_tbEUlT_E0_NS1_11comp_targetILNS1_3genE5ELNS1_11target_archE942ELNS1_3gpuE9ELNS1_3repE0EEENS1_52radix_sort_onesweep_histogram_config_static_selectorELNS0_4arch9wavefront6targetE0EEEvSE_.num_named_barrier, 0
	.set _ZN7rocprim17ROCPRIM_400000_NS6detail17trampoline_kernelINS0_14default_configENS1_35radix_sort_onesweep_config_selectorI12hip_bfloat16NS0_10empty_typeEEEZNS1_34radix_sort_onesweep_global_offsetsIS3_Lb1EPKS5_PS6_mNS0_19identity_decomposerEEE10hipError_tT1_T2_PT3_SG_jT4_jjP12ihipStream_tbEUlT_E0_NS1_11comp_targetILNS1_3genE5ELNS1_11target_archE942ELNS1_3gpuE9ELNS1_3repE0EEENS1_52radix_sort_onesweep_histogram_config_static_selectorELNS0_4arch9wavefront6targetE0EEEvSE_.private_seg_size, 0
	.set _ZN7rocprim17ROCPRIM_400000_NS6detail17trampoline_kernelINS0_14default_configENS1_35radix_sort_onesweep_config_selectorI12hip_bfloat16NS0_10empty_typeEEEZNS1_34radix_sort_onesweep_global_offsetsIS3_Lb1EPKS5_PS6_mNS0_19identity_decomposerEEE10hipError_tT1_T2_PT3_SG_jT4_jjP12ihipStream_tbEUlT_E0_NS1_11comp_targetILNS1_3genE5ELNS1_11target_archE942ELNS1_3gpuE9ELNS1_3repE0EEENS1_52radix_sort_onesweep_histogram_config_static_selectorELNS0_4arch9wavefront6targetE0EEEvSE_.uses_vcc, 0
	.set _ZN7rocprim17ROCPRIM_400000_NS6detail17trampoline_kernelINS0_14default_configENS1_35radix_sort_onesweep_config_selectorI12hip_bfloat16NS0_10empty_typeEEEZNS1_34radix_sort_onesweep_global_offsetsIS3_Lb1EPKS5_PS6_mNS0_19identity_decomposerEEE10hipError_tT1_T2_PT3_SG_jT4_jjP12ihipStream_tbEUlT_E0_NS1_11comp_targetILNS1_3genE5ELNS1_11target_archE942ELNS1_3gpuE9ELNS1_3repE0EEENS1_52radix_sort_onesweep_histogram_config_static_selectorELNS0_4arch9wavefront6targetE0EEEvSE_.uses_flat_scratch, 0
	.set _ZN7rocprim17ROCPRIM_400000_NS6detail17trampoline_kernelINS0_14default_configENS1_35radix_sort_onesweep_config_selectorI12hip_bfloat16NS0_10empty_typeEEEZNS1_34radix_sort_onesweep_global_offsetsIS3_Lb1EPKS5_PS6_mNS0_19identity_decomposerEEE10hipError_tT1_T2_PT3_SG_jT4_jjP12ihipStream_tbEUlT_E0_NS1_11comp_targetILNS1_3genE5ELNS1_11target_archE942ELNS1_3gpuE9ELNS1_3repE0EEENS1_52radix_sort_onesweep_histogram_config_static_selectorELNS0_4arch9wavefront6targetE0EEEvSE_.has_dyn_sized_stack, 0
	.set _ZN7rocprim17ROCPRIM_400000_NS6detail17trampoline_kernelINS0_14default_configENS1_35radix_sort_onesweep_config_selectorI12hip_bfloat16NS0_10empty_typeEEEZNS1_34radix_sort_onesweep_global_offsetsIS3_Lb1EPKS5_PS6_mNS0_19identity_decomposerEEE10hipError_tT1_T2_PT3_SG_jT4_jjP12ihipStream_tbEUlT_E0_NS1_11comp_targetILNS1_3genE5ELNS1_11target_archE942ELNS1_3gpuE9ELNS1_3repE0EEENS1_52radix_sort_onesweep_histogram_config_static_selectorELNS0_4arch9wavefront6targetE0EEEvSE_.has_recursion, 0
	.set _ZN7rocprim17ROCPRIM_400000_NS6detail17trampoline_kernelINS0_14default_configENS1_35radix_sort_onesweep_config_selectorI12hip_bfloat16NS0_10empty_typeEEEZNS1_34radix_sort_onesweep_global_offsetsIS3_Lb1EPKS5_PS6_mNS0_19identity_decomposerEEE10hipError_tT1_T2_PT3_SG_jT4_jjP12ihipStream_tbEUlT_E0_NS1_11comp_targetILNS1_3genE5ELNS1_11target_archE942ELNS1_3gpuE9ELNS1_3repE0EEENS1_52radix_sort_onesweep_histogram_config_static_selectorELNS0_4arch9wavefront6targetE0EEEvSE_.has_indirect_call, 0
	.section	.AMDGPU.csdata,"",@progbits
; Kernel info:
; codeLenInByte = 0
; TotalNumSgprs: 0
; NumVgprs: 0
; ScratchSize: 0
; MemoryBound: 0
; FloatMode: 240
; IeeeMode: 1
; LDSByteSize: 0 bytes/workgroup (compile time only)
; SGPRBlocks: 0
; VGPRBlocks: 0
; NumSGPRsForWavesPerEU: 1
; NumVGPRsForWavesPerEU: 1
; NamedBarCnt: 0
; Occupancy: 16
; WaveLimiterHint : 0
; COMPUTE_PGM_RSRC2:SCRATCH_EN: 0
; COMPUTE_PGM_RSRC2:USER_SGPR: 2
; COMPUTE_PGM_RSRC2:TRAP_HANDLER: 0
; COMPUTE_PGM_RSRC2:TGID_X_EN: 1
; COMPUTE_PGM_RSRC2:TGID_Y_EN: 0
; COMPUTE_PGM_RSRC2:TGID_Z_EN: 0
; COMPUTE_PGM_RSRC2:TIDIG_COMP_CNT: 0
	.section	.text._ZN7rocprim17ROCPRIM_400000_NS6detail17trampoline_kernelINS0_14default_configENS1_35radix_sort_onesweep_config_selectorI12hip_bfloat16NS0_10empty_typeEEEZNS1_34radix_sort_onesweep_global_offsetsIS3_Lb1EPKS5_PS6_mNS0_19identity_decomposerEEE10hipError_tT1_T2_PT3_SG_jT4_jjP12ihipStream_tbEUlT_E0_NS1_11comp_targetILNS1_3genE2ELNS1_11target_archE906ELNS1_3gpuE6ELNS1_3repE0EEENS1_52radix_sort_onesweep_histogram_config_static_selectorELNS0_4arch9wavefront6targetE0EEEvSE_,"axG",@progbits,_ZN7rocprim17ROCPRIM_400000_NS6detail17trampoline_kernelINS0_14default_configENS1_35radix_sort_onesweep_config_selectorI12hip_bfloat16NS0_10empty_typeEEEZNS1_34radix_sort_onesweep_global_offsetsIS3_Lb1EPKS5_PS6_mNS0_19identity_decomposerEEE10hipError_tT1_T2_PT3_SG_jT4_jjP12ihipStream_tbEUlT_E0_NS1_11comp_targetILNS1_3genE2ELNS1_11target_archE906ELNS1_3gpuE6ELNS1_3repE0EEENS1_52radix_sort_onesweep_histogram_config_static_selectorELNS0_4arch9wavefront6targetE0EEEvSE_,comdat
	.protected	_ZN7rocprim17ROCPRIM_400000_NS6detail17trampoline_kernelINS0_14default_configENS1_35radix_sort_onesweep_config_selectorI12hip_bfloat16NS0_10empty_typeEEEZNS1_34radix_sort_onesweep_global_offsetsIS3_Lb1EPKS5_PS6_mNS0_19identity_decomposerEEE10hipError_tT1_T2_PT3_SG_jT4_jjP12ihipStream_tbEUlT_E0_NS1_11comp_targetILNS1_3genE2ELNS1_11target_archE906ELNS1_3gpuE6ELNS1_3repE0EEENS1_52radix_sort_onesweep_histogram_config_static_selectorELNS0_4arch9wavefront6targetE0EEEvSE_ ; -- Begin function _ZN7rocprim17ROCPRIM_400000_NS6detail17trampoline_kernelINS0_14default_configENS1_35radix_sort_onesweep_config_selectorI12hip_bfloat16NS0_10empty_typeEEEZNS1_34radix_sort_onesweep_global_offsetsIS3_Lb1EPKS5_PS6_mNS0_19identity_decomposerEEE10hipError_tT1_T2_PT3_SG_jT4_jjP12ihipStream_tbEUlT_E0_NS1_11comp_targetILNS1_3genE2ELNS1_11target_archE906ELNS1_3gpuE6ELNS1_3repE0EEENS1_52radix_sort_onesweep_histogram_config_static_selectorELNS0_4arch9wavefront6targetE0EEEvSE_
	.globl	_ZN7rocprim17ROCPRIM_400000_NS6detail17trampoline_kernelINS0_14default_configENS1_35radix_sort_onesweep_config_selectorI12hip_bfloat16NS0_10empty_typeEEEZNS1_34radix_sort_onesweep_global_offsetsIS3_Lb1EPKS5_PS6_mNS0_19identity_decomposerEEE10hipError_tT1_T2_PT3_SG_jT4_jjP12ihipStream_tbEUlT_E0_NS1_11comp_targetILNS1_3genE2ELNS1_11target_archE906ELNS1_3gpuE6ELNS1_3repE0EEENS1_52radix_sort_onesweep_histogram_config_static_selectorELNS0_4arch9wavefront6targetE0EEEvSE_
	.p2align	8
	.type	_ZN7rocprim17ROCPRIM_400000_NS6detail17trampoline_kernelINS0_14default_configENS1_35radix_sort_onesweep_config_selectorI12hip_bfloat16NS0_10empty_typeEEEZNS1_34radix_sort_onesweep_global_offsetsIS3_Lb1EPKS5_PS6_mNS0_19identity_decomposerEEE10hipError_tT1_T2_PT3_SG_jT4_jjP12ihipStream_tbEUlT_E0_NS1_11comp_targetILNS1_3genE2ELNS1_11target_archE906ELNS1_3gpuE6ELNS1_3repE0EEENS1_52radix_sort_onesweep_histogram_config_static_selectorELNS0_4arch9wavefront6targetE0EEEvSE_,@function
_ZN7rocprim17ROCPRIM_400000_NS6detail17trampoline_kernelINS0_14default_configENS1_35radix_sort_onesweep_config_selectorI12hip_bfloat16NS0_10empty_typeEEEZNS1_34radix_sort_onesweep_global_offsetsIS3_Lb1EPKS5_PS6_mNS0_19identity_decomposerEEE10hipError_tT1_T2_PT3_SG_jT4_jjP12ihipStream_tbEUlT_E0_NS1_11comp_targetILNS1_3genE2ELNS1_11target_archE906ELNS1_3gpuE6ELNS1_3repE0EEENS1_52radix_sort_onesweep_histogram_config_static_selectorELNS0_4arch9wavefront6targetE0EEEvSE_: ; @_ZN7rocprim17ROCPRIM_400000_NS6detail17trampoline_kernelINS0_14default_configENS1_35radix_sort_onesweep_config_selectorI12hip_bfloat16NS0_10empty_typeEEEZNS1_34radix_sort_onesweep_global_offsetsIS3_Lb1EPKS5_PS6_mNS0_19identity_decomposerEEE10hipError_tT1_T2_PT3_SG_jT4_jjP12ihipStream_tbEUlT_E0_NS1_11comp_targetILNS1_3genE2ELNS1_11target_archE906ELNS1_3gpuE6ELNS1_3repE0EEENS1_52radix_sort_onesweep_histogram_config_static_selectorELNS0_4arch9wavefront6targetE0EEEvSE_
; %bb.0:
	.section	.rodata,"a",@progbits
	.p2align	6, 0x0
	.amdhsa_kernel _ZN7rocprim17ROCPRIM_400000_NS6detail17trampoline_kernelINS0_14default_configENS1_35radix_sort_onesweep_config_selectorI12hip_bfloat16NS0_10empty_typeEEEZNS1_34radix_sort_onesweep_global_offsetsIS3_Lb1EPKS5_PS6_mNS0_19identity_decomposerEEE10hipError_tT1_T2_PT3_SG_jT4_jjP12ihipStream_tbEUlT_E0_NS1_11comp_targetILNS1_3genE2ELNS1_11target_archE906ELNS1_3gpuE6ELNS1_3repE0EEENS1_52radix_sort_onesweep_histogram_config_static_selectorELNS0_4arch9wavefront6targetE0EEEvSE_
		.amdhsa_group_segment_fixed_size 0
		.amdhsa_private_segment_fixed_size 0
		.amdhsa_kernarg_size 8
		.amdhsa_user_sgpr_count 2
		.amdhsa_user_sgpr_dispatch_ptr 0
		.amdhsa_user_sgpr_queue_ptr 0
		.amdhsa_user_sgpr_kernarg_segment_ptr 1
		.amdhsa_user_sgpr_dispatch_id 0
		.amdhsa_user_sgpr_kernarg_preload_length 0
		.amdhsa_user_sgpr_kernarg_preload_offset 0
		.amdhsa_user_sgpr_private_segment_size 0
		.amdhsa_wavefront_size32 1
		.amdhsa_uses_dynamic_stack 0
		.amdhsa_enable_private_segment 0
		.amdhsa_system_sgpr_workgroup_id_x 1
		.amdhsa_system_sgpr_workgroup_id_y 0
		.amdhsa_system_sgpr_workgroup_id_z 0
		.amdhsa_system_sgpr_workgroup_info 0
		.amdhsa_system_vgpr_workitem_id 0
		.amdhsa_next_free_vgpr 1
		.amdhsa_next_free_sgpr 1
		.amdhsa_named_barrier_count 0
		.amdhsa_reserve_vcc 0
		.amdhsa_float_round_mode_32 0
		.amdhsa_float_round_mode_16_64 0
		.amdhsa_float_denorm_mode_32 3
		.amdhsa_float_denorm_mode_16_64 3
		.amdhsa_fp16_overflow 0
		.amdhsa_memory_ordered 1
		.amdhsa_forward_progress 1
		.amdhsa_inst_pref_size 0
		.amdhsa_round_robin_scheduling 0
		.amdhsa_exception_fp_ieee_invalid_op 0
		.amdhsa_exception_fp_denorm_src 0
		.amdhsa_exception_fp_ieee_div_zero 0
		.amdhsa_exception_fp_ieee_overflow 0
		.amdhsa_exception_fp_ieee_underflow 0
		.amdhsa_exception_fp_ieee_inexact 0
		.amdhsa_exception_int_div_zero 0
	.end_amdhsa_kernel
	.section	.text._ZN7rocprim17ROCPRIM_400000_NS6detail17trampoline_kernelINS0_14default_configENS1_35radix_sort_onesweep_config_selectorI12hip_bfloat16NS0_10empty_typeEEEZNS1_34radix_sort_onesweep_global_offsetsIS3_Lb1EPKS5_PS6_mNS0_19identity_decomposerEEE10hipError_tT1_T2_PT3_SG_jT4_jjP12ihipStream_tbEUlT_E0_NS1_11comp_targetILNS1_3genE2ELNS1_11target_archE906ELNS1_3gpuE6ELNS1_3repE0EEENS1_52radix_sort_onesweep_histogram_config_static_selectorELNS0_4arch9wavefront6targetE0EEEvSE_,"axG",@progbits,_ZN7rocprim17ROCPRIM_400000_NS6detail17trampoline_kernelINS0_14default_configENS1_35radix_sort_onesweep_config_selectorI12hip_bfloat16NS0_10empty_typeEEEZNS1_34radix_sort_onesweep_global_offsetsIS3_Lb1EPKS5_PS6_mNS0_19identity_decomposerEEE10hipError_tT1_T2_PT3_SG_jT4_jjP12ihipStream_tbEUlT_E0_NS1_11comp_targetILNS1_3genE2ELNS1_11target_archE906ELNS1_3gpuE6ELNS1_3repE0EEENS1_52radix_sort_onesweep_histogram_config_static_selectorELNS0_4arch9wavefront6targetE0EEEvSE_,comdat
.Lfunc_end1950:
	.size	_ZN7rocprim17ROCPRIM_400000_NS6detail17trampoline_kernelINS0_14default_configENS1_35radix_sort_onesweep_config_selectorI12hip_bfloat16NS0_10empty_typeEEEZNS1_34radix_sort_onesweep_global_offsetsIS3_Lb1EPKS5_PS6_mNS0_19identity_decomposerEEE10hipError_tT1_T2_PT3_SG_jT4_jjP12ihipStream_tbEUlT_E0_NS1_11comp_targetILNS1_3genE2ELNS1_11target_archE906ELNS1_3gpuE6ELNS1_3repE0EEENS1_52radix_sort_onesweep_histogram_config_static_selectorELNS0_4arch9wavefront6targetE0EEEvSE_, .Lfunc_end1950-_ZN7rocprim17ROCPRIM_400000_NS6detail17trampoline_kernelINS0_14default_configENS1_35radix_sort_onesweep_config_selectorI12hip_bfloat16NS0_10empty_typeEEEZNS1_34radix_sort_onesweep_global_offsetsIS3_Lb1EPKS5_PS6_mNS0_19identity_decomposerEEE10hipError_tT1_T2_PT3_SG_jT4_jjP12ihipStream_tbEUlT_E0_NS1_11comp_targetILNS1_3genE2ELNS1_11target_archE906ELNS1_3gpuE6ELNS1_3repE0EEENS1_52radix_sort_onesweep_histogram_config_static_selectorELNS0_4arch9wavefront6targetE0EEEvSE_
                                        ; -- End function
	.set _ZN7rocprim17ROCPRIM_400000_NS6detail17trampoline_kernelINS0_14default_configENS1_35radix_sort_onesweep_config_selectorI12hip_bfloat16NS0_10empty_typeEEEZNS1_34radix_sort_onesweep_global_offsetsIS3_Lb1EPKS5_PS6_mNS0_19identity_decomposerEEE10hipError_tT1_T2_PT3_SG_jT4_jjP12ihipStream_tbEUlT_E0_NS1_11comp_targetILNS1_3genE2ELNS1_11target_archE906ELNS1_3gpuE6ELNS1_3repE0EEENS1_52radix_sort_onesweep_histogram_config_static_selectorELNS0_4arch9wavefront6targetE0EEEvSE_.num_vgpr, 0
	.set _ZN7rocprim17ROCPRIM_400000_NS6detail17trampoline_kernelINS0_14default_configENS1_35radix_sort_onesweep_config_selectorI12hip_bfloat16NS0_10empty_typeEEEZNS1_34radix_sort_onesweep_global_offsetsIS3_Lb1EPKS5_PS6_mNS0_19identity_decomposerEEE10hipError_tT1_T2_PT3_SG_jT4_jjP12ihipStream_tbEUlT_E0_NS1_11comp_targetILNS1_3genE2ELNS1_11target_archE906ELNS1_3gpuE6ELNS1_3repE0EEENS1_52radix_sort_onesweep_histogram_config_static_selectorELNS0_4arch9wavefront6targetE0EEEvSE_.num_agpr, 0
	.set _ZN7rocprim17ROCPRIM_400000_NS6detail17trampoline_kernelINS0_14default_configENS1_35radix_sort_onesweep_config_selectorI12hip_bfloat16NS0_10empty_typeEEEZNS1_34radix_sort_onesweep_global_offsetsIS3_Lb1EPKS5_PS6_mNS0_19identity_decomposerEEE10hipError_tT1_T2_PT3_SG_jT4_jjP12ihipStream_tbEUlT_E0_NS1_11comp_targetILNS1_3genE2ELNS1_11target_archE906ELNS1_3gpuE6ELNS1_3repE0EEENS1_52radix_sort_onesweep_histogram_config_static_selectorELNS0_4arch9wavefront6targetE0EEEvSE_.numbered_sgpr, 0
	.set _ZN7rocprim17ROCPRIM_400000_NS6detail17trampoline_kernelINS0_14default_configENS1_35radix_sort_onesweep_config_selectorI12hip_bfloat16NS0_10empty_typeEEEZNS1_34radix_sort_onesweep_global_offsetsIS3_Lb1EPKS5_PS6_mNS0_19identity_decomposerEEE10hipError_tT1_T2_PT3_SG_jT4_jjP12ihipStream_tbEUlT_E0_NS1_11comp_targetILNS1_3genE2ELNS1_11target_archE906ELNS1_3gpuE6ELNS1_3repE0EEENS1_52radix_sort_onesweep_histogram_config_static_selectorELNS0_4arch9wavefront6targetE0EEEvSE_.num_named_barrier, 0
	.set _ZN7rocprim17ROCPRIM_400000_NS6detail17trampoline_kernelINS0_14default_configENS1_35radix_sort_onesweep_config_selectorI12hip_bfloat16NS0_10empty_typeEEEZNS1_34radix_sort_onesweep_global_offsetsIS3_Lb1EPKS5_PS6_mNS0_19identity_decomposerEEE10hipError_tT1_T2_PT3_SG_jT4_jjP12ihipStream_tbEUlT_E0_NS1_11comp_targetILNS1_3genE2ELNS1_11target_archE906ELNS1_3gpuE6ELNS1_3repE0EEENS1_52radix_sort_onesweep_histogram_config_static_selectorELNS0_4arch9wavefront6targetE0EEEvSE_.private_seg_size, 0
	.set _ZN7rocprim17ROCPRIM_400000_NS6detail17trampoline_kernelINS0_14default_configENS1_35radix_sort_onesweep_config_selectorI12hip_bfloat16NS0_10empty_typeEEEZNS1_34radix_sort_onesweep_global_offsetsIS3_Lb1EPKS5_PS6_mNS0_19identity_decomposerEEE10hipError_tT1_T2_PT3_SG_jT4_jjP12ihipStream_tbEUlT_E0_NS1_11comp_targetILNS1_3genE2ELNS1_11target_archE906ELNS1_3gpuE6ELNS1_3repE0EEENS1_52radix_sort_onesweep_histogram_config_static_selectorELNS0_4arch9wavefront6targetE0EEEvSE_.uses_vcc, 0
	.set _ZN7rocprim17ROCPRIM_400000_NS6detail17trampoline_kernelINS0_14default_configENS1_35radix_sort_onesweep_config_selectorI12hip_bfloat16NS0_10empty_typeEEEZNS1_34radix_sort_onesweep_global_offsetsIS3_Lb1EPKS5_PS6_mNS0_19identity_decomposerEEE10hipError_tT1_T2_PT3_SG_jT4_jjP12ihipStream_tbEUlT_E0_NS1_11comp_targetILNS1_3genE2ELNS1_11target_archE906ELNS1_3gpuE6ELNS1_3repE0EEENS1_52radix_sort_onesweep_histogram_config_static_selectorELNS0_4arch9wavefront6targetE0EEEvSE_.uses_flat_scratch, 0
	.set _ZN7rocprim17ROCPRIM_400000_NS6detail17trampoline_kernelINS0_14default_configENS1_35radix_sort_onesweep_config_selectorI12hip_bfloat16NS0_10empty_typeEEEZNS1_34radix_sort_onesweep_global_offsetsIS3_Lb1EPKS5_PS6_mNS0_19identity_decomposerEEE10hipError_tT1_T2_PT3_SG_jT4_jjP12ihipStream_tbEUlT_E0_NS1_11comp_targetILNS1_3genE2ELNS1_11target_archE906ELNS1_3gpuE6ELNS1_3repE0EEENS1_52radix_sort_onesweep_histogram_config_static_selectorELNS0_4arch9wavefront6targetE0EEEvSE_.has_dyn_sized_stack, 0
	.set _ZN7rocprim17ROCPRIM_400000_NS6detail17trampoline_kernelINS0_14default_configENS1_35radix_sort_onesweep_config_selectorI12hip_bfloat16NS0_10empty_typeEEEZNS1_34radix_sort_onesweep_global_offsetsIS3_Lb1EPKS5_PS6_mNS0_19identity_decomposerEEE10hipError_tT1_T2_PT3_SG_jT4_jjP12ihipStream_tbEUlT_E0_NS1_11comp_targetILNS1_3genE2ELNS1_11target_archE906ELNS1_3gpuE6ELNS1_3repE0EEENS1_52radix_sort_onesweep_histogram_config_static_selectorELNS0_4arch9wavefront6targetE0EEEvSE_.has_recursion, 0
	.set _ZN7rocprim17ROCPRIM_400000_NS6detail17trampoline_kernelINS0_14default_configENS1_35radix_sort_onesweep_config_selectorI12hip_bfloat16NS0_10empty_typeEEEZNS1_34radix_sort_onesweep_global_offsetsIS3_Lb1EPKS5_PS6_mNS0_19identity_decomposerEEE10hipError_tT1_T2_PT3_SG_jT4_jjP12ihipStream_tbEUlT_E0_NS1_11comp_targetILNS1_3genE2ELNS1_11target_archE906ELNS1_3gpuE6ELNS1_3repE0EEENS1_52radix_sort_onesweep_histogram_config_static_selectorELNS0_4arch9wavefront6targetE0EEEvSE_.has_indirect_call, 0
	.section	.AMDGPU.csdata,"",@progbits
; Kernel info:
; codeLenInByte = 0
; TotalNumSgprs: 0
; NumVgprs: 0
; ScratchSize: 0
; MemoryBound: 0
; FloatMode: 240
; IeeeMode: 1
; LDSByteSize: 0 bytes/workgroup (compile time only)
; SGPRBlocks: 0
; VGPRBlocks: 0
; NumSGPRsForWavesPerEU: 1
; NumVGPRsForWavesPerEU: 1
; NamedBarCnt: 0
; Occupancy: 16
; WaveLimiterHint : 0
; COMPUTE_PGM_RSRC2:SCRATCH_EN: 0
; COMPUTE_PGM_RSRC2:USER_SGPR: 2
; COMPUTE_PGM_RSRC2:TRAP_HANDLER: 0
; COMPUTE_PGM_RSRC2:TGID_X_EN: 1
; COMPUTE_PGM_RSRC2:TGID_Y_EN: 0
; COMPUTE_PGM_RSRC2:TGID_Z_EN: 0
; COMPUTE_PGM_RSRC2:TIDIG_COMP_CNT: 0
	.section	.text._ZN7rocprim17ROCPRIM_400000_NS6detail17trampoline_kernelINS0_14default_configENS1_35radix_sort_onesweep_config_selectorI12hip_bfloat16NS0_10empty_typeEEEZNS1_34radix_sort_onesweep_global_offsetsIS3_Lb1EPKS5_PS6_mNS0_19identity_decomposerEEE10hipError_tT1_T2_PT3_SG_jT4_jjP12ihipStream_tbEUlT_E0_NS1_11comp_targetILNS1_3genE4ELNS1_11target_archE910ELNS1_3gpuE8ELNS1_3repE0EEENS1_52radix_sort_onesweep_histogram_config_static_selectorELNS0_4arch9wavefront6targetE0EEEvSE_,"axG",@progbits,_ZN7rocprim17ROCPRIM_400000_NS6detail17trampoline_kernelINS0_14default_configENS1_35radix_sort_onesweep_config_selectorI12hip_bfloat16NS0_10empty_typeEEEZNS1_34radix_sort_onesweep_global_offsetsIS3_Lb1EPKS5_PS6_mNS0_19identity_decomposerEEE10hipError_tT1_T2_PT3_SG_jT4_jjP12ihipStream_tbEUlT_E0_NS1_11comp_targetILNS1_3genE4ELNS1_11target_archE910ELNS1_3gpuE8ELNS1_3repE0EEENS1_52radix_sort_onesweep_histogram_config_static_selectorELNS0_4arch9wavefront6targetE0EEEvSE_,comdat
	.protected	_ZN7rocprim17ROCPRIM_400000_NS6detail17trampoline_kernelINS0_14default_configENS1_35radix_sort_onesweep_config_selectorI12hip_bfloat16NS0_10empty_typeEEEZNS1_34radix_sort_onesweep_global_offsetsIS3_Lb1EPKS5_PS6_mNS0_19identity_decomposerEEE10hipError_tT1_T2_PT3_SG_jT4_jjP12ihipStream_tbEUlT_E0_NS1_11comp_targetILNS1_3genE4ELNS1_11target_archE910ELNS1_3gpuE8ELNS1_3repE0EEENS1_52radix_sort_onesweep_histogram_config_static_selectorELNS0_4arch9wavefront6targetE0EEEvSE_ ; -- Begin function _ZN7rocprim17ROCPRIM_400000_NS6detail17trampoline_kernelINS0_14default_configENS1_35radix_sort_onesweep_config_selectorI12hip_bfloat16NS0_10empty_typeEEEZNS1_34radix_sort_onesweep_global_offsetsIS3_Lb1EPKS5_PS6_mNS0_19identity_decomposerEEE10hipError_tT1_T2_PT3_SG_jT4_jjP12ihipStream_tbEUlT_E0_NS1_11comp_targetILNS1_3genE4ELNS1_11target_archE910ELNS1_3gpuE8ELNS1_3repE0EEENS1_52radix_sort_onesweep_histogram_config_static_selectorELNS0_4arch9wavefront6targetE0EEEvSE_
	.globl	_ZN7rocprim17ROCPRIM_400000_NS6detail17trampoline_kernelINS0_14default_configENS1_35radix_sort_onesweep_config_selectorI12hip_bfloat16NS0_10empty_typeEEEZNS1_34radix_sort_onesweep_global_offsetsIS3_Lb1EPKS5_PS6_mNS0_19identity_decomposerEEE10hipError_tT1_T2_PT3_SG_jT4_jjP12ihipStream_tbEUlT_E0_NS1_11comp_targetILNS1_3genE4ELNS1_11target_archE910ELNS1_3gpuE8ELNS1_3repE0EEENS1_52radix_sort_onesweep_histogram_config_static_selectorELNS0_4arch9wavefront6targetE0EEEvSE_
	.p2align	8
	.type	_ZN7rocprim17ROCPRIM_400000_NS6detail17trampoline_kernelINS0_14default_configENS1_35radix_sort_onesweep_config_selectorI12hip_bfloat16NS0_10empty_typeEEEZNS1_34radix_sort_onesweep_global_offsetsIS3_Lb1EPKS5_PS6_mNS0_19identity_decomposerEEE10hipError_tT1_T2_PT3_SG_jT4_jjP12ihipStream_tbEUlT_E0_NS1_11comp_targetILNS1_3genE4ELNS1_11target_archE910ELNS1_3gpuE8ELNS1_3repE0EEENS1_52radix_sort_onesweep_histogram_config_static_selectorELNS0_4arch9wavefront6targetE0EEEvSE_,@function
_ZN7rocprim17ROCPRIM_400000_NS6detail17trampoline_kernelINS0_14default_configENS1_35radix_sort_onesweep_config_selectorI12hip_bfloat16NS0_10empty_typeEEEZNS1_34radix_sort_onesweep_global_offsetsIS3_Lb1EPKS5_PS6_mNS0_19identity_decomposerEEE10hipError_tT1_T2_PT3_SG_jT4_jjP12ihipStream_tbEUlT_E0_NS1_11comp_targetILNS1_3genE4ELNS1_11target_archE910ELNS1_3gpuE8ELNS1_3repE0EEENS1_52radix_sort_onesweep_histogram_config_static_selectorELNS0_4arch9wavefront6targetE0EEEvSE_: ; @_ZN7rocprim17ROCPRIM_400000_NS6detail17trampoline_kernelINS0_14default_configENS1_35radix_sort_onesweep_config_selectorI12hip_bfloat16NS0_10empty_typeEEEZNS1_34radix_sort_onesweep_global_offsetsIS3_Lb1EPKS5_PS6_mNS0_19identity_decomposerEEE10hipError_tT1_T2_PT3_SG_jT4_jjP12ihipStream_tbEUlT_E0_NS1_11comp_targetILNS1_3genE4ELNS1_11target_archE910ELNS1_3gpuE8ELNS1_3repE0EEENS1_52radix_sort_onesweep_histogram_config_static_selectorELNS0_4arch9wavefront6targetE0EEEvSE_
; %bb.0:
	.section	.rodata,"a",@progbits
	.p2align	6, 0x0
	.amdhsa_kernel _ZN7rocprim17ROCPRIM_400000_NS6detail17trampoline_kernelINS0_14default_configENS1_35radix_sort_onesweep_config_selectorI12hip_bfloat16NS0_10empty_typeEEEZNS1_34radix_sort_onesweep_global_offsetsIS3_Lb1EPKS5_PS6_mNS0_19identity_decomposerEEE10hipError_tT1_T2_PT3_SG_jT4_jjP12ihipStream_tbEUlT_E0_NS1_11comp_targetILNS1_3genE4ELNS1_11target_archE910ELNS1_3gpuE8ELNS1_3repE0EEENS1_52radix_sort_onesweep_histogram_config_static_selectorELNS0_4arch9wavefront6targetE0EEEvSE_
		.amdhsa_group_segment_fixed_size 0
		.amdhsa_private_segment_fixed_size 0
		.amdhsa_kernarg_size 8
		.amdhsa_user_sgpr_count 2
		.amdhsa_user_sgpr_dispatch_ptr 0
		.amdhsa_user_sgpr_queue_ptr 0
		.amdhsa_user_sgpr_kernarg_segment_ptr 1
		.amdhsa_user_sgpr_dispatch_id 0
		.amdhsa_user_sgpr_kernarg_preload_length 0
		.amdhsa_user_sgpr_kernarg_preload_offset 0
		.amdhsa_user_sgpr_private_segment_size 0
		.amdhsa_wavefront_size32 1
		.amdhsa_uses_dynamic_stack 0
		.amdhsa_enable_private_segment 0
		.amdhsa_system_sgpr_workgroup_id_x 1
		.amdhsa_system_sgpr_workgroup_id_y 0
		.amdhsa_system_sgpr_workgroup_id_z 0
		.amdhsa_system_sgpr_workgroup_info 0
		.amdhsa_system_vgpr_workitem_id 0
		.amdhsa_next_free_vgpr 1
		.amdhsa_next_free_sgpr 1
		.amdhsa_named_barrier_count 0
		.amdhsa_reserve_vcc 0
		.amdhsa_float_round_mode_32 0
		.amdhsa_float_round_mode_16_64 0
		.amdhsa_float_denorm_mode_32 3
		.amdhsa_float_denorm_mode_16_64 3
		.amdhsa_fp16_overflow 0
		.amdhsa_memory_ordered 1
		.amdhsa_forward_progress 1
		.amdhsa_inst_pref_size 0
		.amdhsa_round_robin_scheduling 0
		.amdhsa_exception_fp_ieee_invalid_op 0
		.amdhsa_exception_fp_denorm_src 0
		.amdhsa_exception_fp_ieee_div_zero 0
		.amdhsa_exception_fp_ieee_overflow 0
		.amdhsa_exception_fp_ieee_underflow 0
		.amdhsa_exception_fp_ieee_inexact 0
		.amdhsa_exception_int_div_zero 0
	.end_amdhsa_kernel
	.section	.text._ZN7rocprim17ROCPRIM_400000_NS6detail17trampoline_kernelINS0_14default_configENS1_35radix_sort_onesweep_config_selectorI12hip_bfloat16NS0_10empty_typeEEEZNS1_34radix_sort_onesweep_global_offsetsIS3_Lb1EPKS5_PS6_mNS0_19identity_decomposerEEE10hipError_tT1_T2_PT3_SG_jT4_jjP12ihipStream_tbEUlT_E0_NS1_11comp_targetILNS1_3genE4ELNS1_11target_archE910ELNS1_3gpuE8ELNS1_3repE0EEENS1_52radix_sort_onesweep_histogram_config_static_selectorELNS0_4arch9wavefront6targetE0EEEvSE_,"axG",@progbits,_ZN7rocprim17ROCPRIM_400000_NS6detail17trampoline_kernelINS0_14default_configENS1_35radix_sort_onesweep_config_selectorI12hip_bfloat16NS0_10empty_typeEEEZNS1_34radix_sort_onesweep_global_offsetsIS3_Lb1EPKS5_PS6_mNS0_19identity_decomposerEEE10hipError_tT1_T2_PT3_SG_jT4_jjP12ihipStream_tbEUlT_E0_NS1_11comp_targetILNS1_3genE4ELNS1_11target_archE910ELNS1_3gpuE8ELNS1_3repE0EEENS1_52radix_sort_onesweep_histogram_config_static_selectorELNS0_4arch9wavefront6targetE0EEEvSE_,comdat
.Lfunc_end1951:
	.size	_ZN7rocprim17ROCPRIM_400000_NS6detail17trampoline_kernelINS0_14default_configENS1_35radix_sort_onesweep_config_selectorI12hip_bfloat16NS0_10empty_typeEEEZNS1_34radix_sort_onesweep_global_offsetsIS3_Lb1EPKS5_PS6_mNS0_19identity_decomposerEEE10hipError_tT1_T2_PT3_SG_jT4_jjP12ihipStream_tbEUlT_E0_NS1_11comp_targetILNS1_3genE4ELNS1_11target_archE910ELNS1_3gpuE8ELNS1_3repE0EEENS1_52radix_sort_onesweep_histogram_config_static_selectorELNS0_4arch9wavefront6targetE0EEEvSE_, .Lfunc_end1951-_ZN7rocprim17ROCPRIM_400000_NS6detail17trampoline_kernelINS0_14default_configENS1_35radix_sort_onesweep_config_selectorI12hip_bfloat16NS0_10empty_typeEEEZNS1_34radix_sort_onesweep_global_offsetsIS3_Lb1EPKS5_PS6_mNS0_19identity_decomposerEEE10hipError_tT1_T2_PT3_SG_jT4_jjP12ihipStream_tbEUlT_E0_NS1_11comp_targetILNS1_3genE4ELNS1_11target_archE910ELNS1_3gpuE8ELNS1_3repE0EEENS1_52radix_sort_onesweep_histogram_config_static_selectorELNS0_4arch9wavefront6targetE0EEEvSE_
                                        ; -- End function
	.set _ZN7rocprim17ROCPRIM_400000_NS6detail17trampoline_kernelINS0_14default_configENS1_35radix_sort_onesweep_config_selectorI12hip_bfloat16NS0_10empty_typeEEEZNS1_34radix_sort_onesweep_global_offsetsIS3_Lb1EPKS5_PS6_mNS0_19identity_decomposerEEE10hipError_tT1_T2_PT3_SG_jT4_jjP12ihipStream_tbEUlT_E0_NS1_11comp_targetILNS1_3genE4ELNS1_11target_archE910ELNS1_3gpuE8ELNS1_3repE0EEENS1_52radix_sort_onesweep_histogram_config_static_selectorELNS0_4arch9wavefront6targetE0EEEvSE_.num_vgpr, 0
	.set _ZN7rocprim17ROCPRIM_400000_NS6detail17trampoline_kernelINS0_14default_configENS1_35radix_sort_onesweep_config_selectorI12hip_bfloat16NS0_10empty_typeEEEZNS1_34radix_sort_onesweep_global_offsetsIS3_Lb1EPKS5_PS6_mNS0_19identity_decomposerEEE10hipError_tT1_T2_PT3_SG_jT4_jjP12ihipStream_tbEUlT_E0_NS1_11comp_targetILNS1_3genE4ELNS1_11target_archE910ELNS1_3gpuE8ELNS1_3repE0EEENS1_52radix_sort_onesweep_histogram_config_static_selectorELNS0_4arch9wavefront6targetE0EEEvSE_.num_agpr, 0
	.set _ZN7rocprim17ROCPRIM_400000_NS6detail17trampoline_kernelINS0_14default_configENS1_35radix_sort_onesweep_config_selectorI12hip_bfloat16NS0_10empty_typeEEEZNS1_34radix_sort_onesweep_global_offsetsIS3_Lb1EPKS5_PS6_mNS0_19identity_decomposerEEE10hipError_tT1_T2_PT3_SG_jT4_jjP12ihipStream_tbEUlT_E0_NS1_11comp_targetILNS1_3genE4ELNS1_11target_archE910ELNS1_3gpuE8ELNS1_3repE0EEENS1_52radix_sort_onesweep_histogram_config_static_selectorELNS0_4arch9wavefront6targetE0EEEvSE_.numbered_sgpr, 0
	.set _ZN7rocprim17ROCPRIM_400000_NS6detail17trampoline_kernelINS0_14default_configENS1_35radix_sort_onesweep_config_selectorI12hip_bfloat16NS0_10empty_typeEEEZNS1_34radix_sort_onesweep_global_offsetsIS3_Lb1EPKS5_PS6_mNS0_19identity_decomposerEEE10hipError_tT1_T2_PT3_SG_jT4_jjP12ihipStream_tbEUlT_E0_NS1_11comp_targetILNS1_3genE4ELNS1_11target_archE910ELNS1_3gpuE8ELNS1_3repE0EEENS1_52radix_sort_onesweep_histogram_config_static_selectorELNS0_4arch9wavefront6targetE0EEEvSE_.num_named_barrier, 0
	.set _ZN7rocprim17ROCPRIM_400000_NS6detail17trampoline_kernelINS0_14default_configENS1_35radix_sort_onesweep_config_selectorI12hip_bfloat16NS0_10empty_typeEEEZNS1_34radix_sort_onesweep_global_offsetsIS3_Lb1EPKS5_PS6_mNS0_19identity_decomposerEEE10hipError_tT1_T2_PT3_SG_jT4_jjP12ihipStream_tbEUlT_E0_NS1_11comp_targetILNS1_3genE4ELNS1_11target_archE910ELNS1_3gpuE8ELNS1_3repE0EEENS1_52radix_sort_onesweep_histogram_config_static_selectorELNS0_4arch9wavefront6targetE0EEEvSE_.private_seg_size, 0
	.set _ZN7rocprim17ROCPRIM_400000_NS6detail17trampoline_kernelINS0_14default_configENS1_35radix_sort_onesweep_config_selectorI12hip_bfloat16NS0_10empty_typeEEEZNS1_34radix_sort_onesweep_global_offsetsIS3_Lb1EPKS5_PS6_mNS0_19identity_decomposerEEE10hipError_tT1_T2_PT3_SG_jT4_jjP12ihipStream_tbEUlT_E0_NS1_11comp_targetILNS1_3genE4ELNS1_11target_archE910ELNS1_3gpuE8ELNS1_3repE0EEENS1_52radix_sort_onesweep_histogram_config_static_selectorELNS0_4arch9wavefront6targetE0EEEvSE_.uses_vcc, 0
	.set _ZN7rocprim17ROCPRIM_400000_NS6detail17trampoline_kernelINS0_14default_configENS1_35radix_sort_onesweep_config_selectorI12hip_bfloat16NS0_10empty_typeEEEZNS1_34radix_sort_onesweep_global_offsetsIS3_Lb1EPKS5_PS6_mNS0_19identity_decomposerEEE10hipError_tT1_T2_PT3_SG_jT4_jjP12ihipStream_tbEUlT_E0_NS1_11comp_targetILNS1_3genE4ELNS1_11target_archE910ELNS1_3gpuE8ELNS1_3repE0EEENS1_52radix_sort_onesweep_histogram_config_static_selectorELNS0_4arch9wavefront6targetE0EEEvSE_.uses_flat_scratch, 0
	.set _ZN7rocprim17ROCPRIM_400000_NS6detail17trampoline_kernelINS0_14default_configENS1_35radix_sort_onesweep_config_selectorI12hip_bfloat16NS0_10empty_typeEEEZNS1_34radix_sort_onesweep_global_offsetsIS3_Lb1EPKS5_PS6_mNS0_19identity_decomposerEEE10hipError_tT1_T2_PT3_SG_jT4_jjP12ihipStream_tbEUlT_E0_NS1_11comp_targetILNS1_3genE4ELNS1_11target_archE910ELNS1_3gpuE8ELNS1_3repE0EEENS1_52radix_sort_onesweep_histogram_config_static_selectorELNS0_4arch9wavefront6targetE0EEEvSE_.has_dyn_sized_stack, 0
	.set _ZN7rocprim17ROCPRIM_400000_NS6detail17trampoline_kernelINS0_14default_configENS1_35radix_sort_onesweep_config_selectorI12hip_bfloat16NS0_10empty_typeEEEZNS1_34radix_sort_onesweep_global_offsetsIS3_Lb1EPKS5_PS6_mNS0_19identity_decomposerEEE10hipError_tT1_T2_PT3_SG_jT4_jjP12ihipStream_tbEUlT_E0_NS1_11comp_targetILNS1_3genE4ELNS1_11target_archE910ELNS1_3gpuE8ELNS1_3repE0EEENS1_52radix_sort_onesweep_histogram_config_static_selectorELNS0_4arch9wavefront6targetE0EEEvSE_.has_recursion, 0
	.set _ZN7rocprim17ROCPRIM_400000_NS6detail17trampoline_kernelINS0_14default_configENS1_35radix_sort_onesweep_config_selectorI12hip_bfloat16NS0_10empty_typeEEEZNS1_34radix_sort_onesweep_global_offsetsIS3_Lb1EPKS5_PS6_mNS0_19identity_decomposerEEE10hipError_tT1_T2_PT3_SG_jT4_jjP12ihipStream_tbEUlT_E0_NS1_11comp_targetILNS1_3genE4ELNS1_11target_archE910ELNS1_3gpuE8ELNS1_3repE0EEENS1_52radix_sort_onesweep_histogram_config_static_selectorELNS0_4arch9wavefront6targetE0EEEvSE_.has_indirect_call, 0
	.section	.AMDGPU.csdata,"",@progbits
; Kernel info:
; codeLenInByte = 0
; TotalNumSgprs: 0
; NumVgprs: 0
; ScratchSize: 0
; MemoryBound: 0
; FloatMode: 240
; IeeeMode: 1
; LDSByteSize: 0 bytes/workgroup (compile time only)
; SGPRBlocks: 0
; VGPRBlocks: 0
; NumSGPRsForWavesPerEU: 1
; NumVGPRsForWavesPerEU: 1
; NamedBarCnt: 0
; Occupancy: 16
; WaveLimiterHint : 0
; COMPUTE_PGM_RSRC2:SCRATCH_EN: 0
; COMPUTE_PGM_RSRC2:USER_SGPR: 2
; COMPUTE_PGM_RSRC2:TRAP_HANDLER: 0
; COMPUTE_PGM_RSRC2:TGID_X_EN: 1
; COMPUTE_PGM_RSRC2:TGID_Y_EN: 0
; COMPUTE_PGM_RSRC2:TGID_Z_EN: 0
; COMPUTE_PGM_RSRC2:TIDIG_COMP_CNT: 0
	.section	.text._ZN7rocprim17ROCPRIM_400000_NS6detail17trampoline_kernelINS0_14default_configENS1_35radix_sort_onesweep_config_selectorI12hip_bfloat16NS0_10empty_typeEEEZNS1_34radix_sort_onesweep_global_offsetsIS3_Lb1EPKS5_PS6_mNS0_19identity_decomposerEEE10hipError_tT1_T2_PT3_SG_jT4_jjP12ihipStream_tbEUlT_E0_NS1_11comp_targetILNS1_3genE3ELNS1_11target_archE908ELNS1_3gpuE7ELNS1_3repE0EEENS1_52radix_sort_onesweep_histogram_config_static_selectorELNS0_4arch9wavefront6targetE0EEEvSE_,"axG",@progbits,_ZN7rocprim17ROCPRIM_400000_NS6detail17trampoline_kernelINS0_14default_configENS1_35radix_sort_onesweep_config_selectorI12hip_bfloat16NS0_10empty_typeEEEZNS1_34radix_sort_onesweep_global_offsetsIS3_Lb1EPKS5_PS6_mNS0_19identity_decomposerEEE10hipError_tT1_T2_PT3_SG_jT4_jjP12ihipStream_tbEUlT_E0_NS1_11comp_targetILNS1_3genE3ELNS1_11target_archE908ELNS1_3gpuE7ELNS1_3repE0EEENS1_52radix_sort_onesweep_histogram_config_static_selectorELNS0_4arch9wavefront6targetE0EEEvSE_,comdat
	.protected	_ZN7rocprim17ROCPRIM_400000_NS6detail17trampoline_kernelINS0_14default_configENS1_35radix_sort_onesweep_config_selectorI12hip_bfloat16NS0_10empty_typeEEEZNS1_34radix_sort_onesweep_global_offsetsIS3_Lb1EPKS5_PS6_mNS0_19identity_decomposerEEE10hipError_tT1_T2_PT3_SG_jT4_jjP12ihipStream_tbEUlT_E0_NS1_11comp_targetILNS1_3genE3ELNS1_11target_archE908ELNS1_3gpuE7ELNS1_3repE0EEENS1_52radix_sort_onesweep_histogram_config_static_selectorELNS0_4arch9wavefront6targetE0EEEvSE_ ; -- Begin function _ZN7rocprim17ROCPRIM_400000_NS6detail17trampoline_kernelINS0_14default_configENS1_35radix_sort_onesweep_config_selectorI12hip_bfloat16NS0_10empty_typeEEEZNS1_34radix_sort_onesweep_global_offsetsIS3_Lb1EPKS5_PS6_mNS0_19identity_decomposerEEE10hipError_tT1_T2_PT3_SG_jT4_jjP12ihipStream_tbEUlT_E0_NS1_11comp_targetILNS1_3genE3ELNS1_11target_archE908ELNS1_3gpuE7ELNS1_3repE0EEENS1_52radix_sort_onesweep_histogram_config_static_selectorELNS0_4arch9wavefront6targetE0EEEvSE_
	.globl	_ZN7rocprim17ROCPRIM_400000_NS6detail17trampoline_kernelINS0_14default_configENS1_35radix_sort_onesweep_config_selectorI12hip_bfloat16NS0_10empty_typeEEEZNS1_34radix_sort_onesweep_global_offsetsIS3_Lb1EPKS5_PS6_mNS0_19identity_decomposerEEE10hipError_tT1_T2_PT3_SG_jT4_jjP12ihipStream_tbEUlT_E0_NS1_11comp_targetILNS1_3genE3ELNS1_11target_archE908ELNS1_3gpuE7ELNS1_3repE0EEENS1_52radix_sort_onesweep_histogram_config_static_selectorELNS0_4arch9wavefront6targetE0EEEvSE_
	.p2align	8
	.type	_ZN7rocprim17ROCPRIM_400000_NS6detail17trampoline_kernelINS0_14default_configENS1_35radix_sort_onesweep_config_selectorI12hip_bfloat16NS0_10empty_typeEEEZNS1_34radix_sort_onesweep_global_offsetsIS3_Lb1EPKS5_PS6_mNS0_19identity_decomposerEEE10hipError_tT1_T2_PT3_SG_jT4_jjP12ihipStream_tbEUlT_E0_NS1_11comp_targetILNS1_3genE3ELNS1_11target_archE908ELNS1_3gpuE7ELNS1_3repE0EEENS1_52radix_sort_onesweep_histogram_config_static_selectorELNS0_4arch9wavefront6targetE0EEEvSE_,@function
_ZN7rocprim17ROCPRIM_400000_NS6detail17trampoline_kernelINS0_14default_configENS1_35radix_sort_onesweep_config_selectorI12hip_bfloat16NS0_10empty_typeEEEZNS1_34radix_sort_onesweep_global_offsetsIS3_Lb1EPKS5_PS6_mNS0_19identity_decomposerEEE10hipError_tT1_T2_PT3_SG_jT4_jjP12ihipStream_tbEUlT_E0_NS1_11comp_targetILNS1_3genE3ELNS1_11target_archE908ELNS1_3gpuE7ELNS1_3repE0EEENS1_52radix_sort_onesweep_histogram_config_static_selectorELNS0_4arch9wavefront6targetE0EEEvSE_: ; @_ZN7rocprim17ROCPRIM_400000_NS6detail17trampoline_kernelINS0_14default_configENS1_35radix_sort_onesweep_config_selectorI12hip_bfloat16NS0_10empty_typeEEEZNS1_34radix_sort_onesweep_global_offsetsIS3_Lb1EPKS5_PS6_mNS0_19identity_decomposerEEE10hipError_tT1_T2_PT3_SG_jT4_jjP12ihipStream_tbEUlT_E0_NS1_11comp_targetILNS1_3genE3ELNS1_11target_archE908ELNS1_3gpuE7ELNS1_3repE0EEENS1_52radix_sort_onesweep_histogram_config_static_selectorELNS0_4arch9wavefront6targetE0EEEvSE_
; %bb.0:
	.section	.rodata,"a",@progbits
	.p2align	6, 0x0
	.amdhsa_kernel _ZN7rocprim17ROCPRIM_400000_NS6detail17trampoline_kernelINS0_14default_configENS1_35radix_sort_onesweep_config_selectorI12hip_bfloat16NS0_10empty_typeEEEZNS1_34radix_sort_onesweep_global_offsetsIS3_Lb1EPKS5_PS6_mNS0_19identity_decomposerEEE10hipError_tT1_T2_PT3_SG_jT4_jjP12ihipStream_tbEUlT_E0_NS1_11comp_targetILNS1_3genE3ELNS1_11target_archE908ELNS1_3gpuE7ELNS1_3repE0EEENS1_52radix_sort_onesweep_histogram_config_static_selectorELNS0_4arch9wavefront6targetE0EEEvSE_
		.amdhsa_group_segment_fixed_size 0
		.amdhsa_private_segment_fixed_size 0
		.amdhsa_kernarg_size 8
		.amdhsa_user_sgpr_count 2
		.amdhsa_user_sgpr_dispatch_ptr 0
		.amdhsa_user_sgpr_queue_ptr 0
		.amdhsa_user_sgpr_kernarg_segment_ptr 1
		.amdhsa_user_sgpr_dispatch_id 0
		.amdhsa_user_sgpr_kernarg_preload_length 0
		.amdhsa_user_sgpr_kernarg_preload_offset 0
		.amdhsa_user_sgpr_private_segment_size 0
		.amdhsa_wavefront_size32 1
		.amdhsa_uses_dynamic_stack 0
		.amdhsa_enable_private_segment 0
		.amdhsa_system_sgpr_workgroup_id_x 1
		.amdhsa_system_sgpr_workgroup_id_y 0
		.amdhsa_system_sgpr_workgroup_id_z 0
		.amdhsa_system_sgpr_workgroup_info 0
		.amdhsa_system_vgpr_workitem_id 0
		.amdhsa_next_free_vgpr 1
		.amdhsa_next_free_sgpr 1
		.amdhsa_named_barrier_count 0
		.amdhsa_reserve_vcc 0
		.amdhsa_float_round_mode_32 0
		.amdhsa_float_round_mode_16_64 0
		.amdhsa_float_denorm_mode_32 3
		.amdhsa_float_denorm_mode_16_64 3
		.amdhsa_fp16_overflow 0
		.amdhsa_memory_ordered 1
		.amdhsa_forward_progress 1
		.amdhsa_inst_pref_size 0
		.amdhsa_round_robin_scheduling 0
		.amdhsa_exception_fp_ieee_invalid_op 0
		.amdhsa_exception_fp_denorm_src 0
		.amdhsa_exception_fp_ieee_div_zero 0
		.amdhsa_exception_fp_ieee_overflow 0
		.amdhsa_exception_fp_ieee_underflow 0
		.amdhsa_exception_fp_ieee_inexact 0
		.amdhsa_exception_int_div_zero 0
	.end_amdhsa_kernel
	.section	.text._ZN7rocprim17ROCPRIM_400000_NS6detail17trampoline_kernelINS0_14default_configENS1_35radix_sort_onesweep_config_selectorI12hip_bfloat16NS0_10empty_typeEEEZNS1_34radix_sort_onesweep_global_offsetsIS3_Lb1EPKS5_PS6_mNS0_19identity_decomposerEEE10hipError_tT1_T2_PT3_SG_jT4_jjP12ihipStream_tbEUlT_E0_NS1_11comp_targetILNS1_3genE3ELNS1_11target_archE908ELNS1_3gpuE7ELNS1_3repE0EEENS1_52radix_sort_onesweep_histogram_config_static_selectorELNS0_4arch9wavefront6targetE0EEEvSE_,"axG",@progbits,_ZN7rocprim17ROCPRIM_400000_NS6detail17trampoline_kernelINS0_14default_configENS1_35radix_sort_onesweep_config_selectorI12hip_bfloat16NS0_10empty_typeEEEZNS1_34radix_sort_onesweep_global_offsetsIS3_Lb1EPKS5_PS6_mNS0_19identity_decomposerEEE10hipError_tT1_T2_PT3_SG_jT4_jjP12ihipStream_tbEUlT_E0_NS1_11comp_targetILNS1_3genE3ELNS1_11target_archE908ELNS1_3gpuE7ELNS1_3repE0EEENS1_52radix_sort_onesweep_histogram_config_static_selectorELNS0_4arch9wavefront6targetE0EEEvSE_,comdat
.Lfunc_end1952:
	.size	_ZN7rocprim17ROCPRIM_400000_NS6detail17trampoline_kernelINS0_14default_configENS1_35radix_sort_onesweep_config_selectorI12hip_bfloat16NS0_10empty_typeEEEZNS1_34radix_sort_onesweep_global_offsetsIS3_Lb1EPKS5_PS6_mNS0_19identity_decomposerEEE10hipError_tT1_T2_PT3_SG_jT4_jjP12ihipStream_tbEUlT_E0_NS1_11comp_targetILNS1_3genE3ELNS1_11target_archE908ELNS1_3gpuE7ELNS1_3repE0EEENS1_52radix_sort_onesweep_histogram_config_static_selectorELNS0_4arch9wavefront6targetE0EEEvSE_, .Lfunc_end1952-_ZN7rocprim17ROCPRIM_400000_NS6detail17trampoline_kernelINS0_14default_configENS1_35radix_sort_onesweep_config_selectorI12hip_bfloat16NS0_10empty_typeEEEZNS1_34radix_sort_onesweep_global_offsetsIS3_Lb1EPKS5_PS6_mNS0_19identity_decomposerEEE10hipError_tT1_T2_PT3_SG_jT4_jjP12ihipStream_tbEUlT_E0_NS1_11comp_targetILNS1_3genE3ELNS1_11target_archE908ELNS1_3gpuE7ELNS1_3repE0EEENS1_52radix_sort_onesweep_histogram_config_static_selectorELNS0_4arch9wavefront6targetE0EEEvSE_
                                        ; -- End function
	.set _ZN7rocprim17ROCPRIM_400000_NS6detail17trampoline_kernelINS0_14default_configENS1_35radix_sort_onesweep_config_selectorI12hip_bfloat16NS0_10empty_typeEEEZNS1_34radix_sort_onesweep_global_offsetsIS3_Lb1EPKS5_PS6_mNS0_19identity_decomposerEEE10hipError_tT1_T2_PT3_SG_jT4_jjP12ihipStream_tbEUlT_E0_NS1_11comp_targetILNS1_3genE3ELNS1_11target_archE908ELNS1_3gpuE7ELNS1_3repE0EEENS1_52radix_sort_onesweep_histogram_config_static_selectorELNS0_4arch9wavefront6targetE0EEEvSE_.num_vgpr, 0
	.set _ZN7rocprim17ROCPRIM_400000_NS6detail17trampoline_kernelINS0_14default_configENS1_35radix_sort_onesweep_config_selectorI12hip_bfloat16NS0_10empty_typeEEEZNS1_34radix_sort_onesweep_global_offsetsIS3_Lb1EPKS5_PS6_mNS0_19identity_decomposerEEE10hipError_tT1_T2_PT3_SG_jT4_jjP12ihipStream_tbEUlT_E0_NS1_11comp_targetILNS1_3genE3ELNS1_11target_archE908ELNS1_3gpuE7ELNS1_3repE0EEENS1_52radix_sort_onesweep_histogram_config_static_selectorELNS0_4arch9wavefront6targetE0EEEvSE_.num_agpr, 0
	.set _ZN7rocprim17ROCPRIM_400000_NS6detail17trampoline_kernelINS0_14default_configENS1_35radix_sort_onesweep_config_selectorI12hip_bfloat16NS0_10empty_typeEEEZNS1_34radix_sort_onesweep_global_offsetsIS3_Lb1EPKS5_PS6_mNS0_19identity_decomposerEEE10hipError_tT1_T2_PT3_SG_jT4_jjP12ihipStream_tbEUlT_E0_NS1_11comp_targetILNS1_3genE3ELNS1_11target_archE908ELNS1_3gpuE7ELNS1_3repE0EEENS1_52radix_sort_onesweep_histogram_config_static_selectorELNS0_4arch9wavefront6targetE0EEEvSE_.numbered_sgpr, 0
	.set _ZN7rocprim17ROCPRIM_400000_NS6detail17trampoline_kernelINS0_14default_configENS1_35radix_sort_onesweep_config_selectorI12hip_bfloat16NS0_10empty_typeEEEZNS1_34radix_sort_onesweep_global_offsetsIS3_Lb1EPKS5_PS6_mNS0_19identity_decomposerEEE10hipError_tT1_T2_PT3_SG_jT4_jjP12ihipStream_tbEUlT_E0_NS1_11comp_targetILNS1_3genE3ELNS1_11target_archE908ELNS1_3gpuE7ELNS1_3repE0EEENS1_52radix_sort_onesweep_histogram_config_static_selectorELNS0_4arch9wavefront6targetE0EEEvSE_.num_named_barrier, 0
	.set _ZN7rocprim17ROCPRIM_400000_NS6detail17trampoline_kernelINS0_14default_configENS1_35radix_sort_onesweep_config_selectorI12hip_bfloat16NS0_10empty_typeEEEZNS1_34radix_sort_onesweep_global_offsetsIS3_Lb1EPKS5_PS6_mNS0_19identity_decomposerEEE10hipError_tT1_T2_PT3_SG_jT4_jjP12ihipStream_tbEUlT_E0_NS1_11comp_targetILNS1_3genE3ELNS1_11target_archE908ELNS1_3gpuE7ELNS1_3repE0EEENS1_52radix_sort_onesweep_histogram_config_static_selectorELNS0_4arch9wavefront6targetE0EEEvSE_.private_seg_size, 0
	.set _ZN7rocprim17ROCPRIM_400000_NS6detail17trampoline_kernelINS0_14default_configENS1_35radix_sort_onesweep_config_selectorI12hip_bfloat16NS0_10empty_typeEEEZNS1_34radix_sort_onesweep_global_offsetsIS3_Lb1EPKS5_PS6_mNS0_19identity_decomposerEEE10hipError_tT1_T2_PT3_SG_jT4_jjP12ihipStream_tbEUlT_E0_NS1_11comp_targetILNS1_3genE3ELNS1_11target_archE908ELNS1_3gpuE7ELNS1_3repE0EEENS1_52radix_sort_onesweep_histogram_config_static_selectorELNS0_4arch9wavefront6targetE0EEEvSE_.uses_vcc, 0
	.set _ZN7rocprim17ROCPRIM_400000_NS6detail17trampoline_kernelINS0_14default_configENS1_35radix_sort_onesweep_config_selectorI12hip_bfloat16NS0_10empty_typeEEEZNS1_34radix_sort_onesweep_global_offsetsIS3_Lb1EPKS5_PS6_mNS0_19identity_decomposerEEE10hipError_tT1_T2_PT3_SG_jT4_jjP12ihipStream_tbEUlT_E0_NS1_11comp_targetILNS1_3genE3ELNS1_11target_archE908ELNS1_3gpuE7ELNS1_3repE0EEENS1_52radix_sort_onesweep_histogram_config_static_selectorELNS0_4arch9wavefront6targetE0EEEvSE_.uses_flat_scratch, 0
	.set _ZN7rocprim17ROCPRIM_400000_NS6detail17trampoline_kernelINS0_14default_configENS1_35radix_sort_onesweep_config_selectorI12hip_bfloat16NS0_10empty_typeEEEZNS1_34radix_sort_onesweep_global_offsetsIS3_Lb1EPKS5_PS6_mNS0_19identity_decomposerEEE10hipError_tT1_T2_PT3_SG_jT4_jjP12ihipStream_tbEUlT_E0_NS1_11comp_targetILNS1_3genE3ELNS1_11target_archE908ELNS1_3gpuE7ELNS1_3repE0EEENS1_52radix_sort_onesweep_histogram_config_static_selectorELNS0_4arch9wavefront6targetE0EEEvSE_.has_dyn_sized_stack, 0
	.set _ZN7rocprim17ROCPRIM_400000_NS6detail17trampoline_kernelINS0_14default_configENS1_35radix_sort_onesweep_config_selectorI12hip_bfloat16NS0_10empty_typeEEEZNS1_34radix_sort_onesweep_global_offsetsIS3_Lb1EPKS5_PS6_mNS0_19identity_decomposerEEE10hipError_tT1_T2_PT3_SG_jT4_jjP12ihipStream_tbEUlT_E0_NS1_11comp_targetILNS1_3genE3ELNS1_11target_archE908ELNS1_3gpuE7ELNS1_3repE0EEENS1_52radix_sort_onesweep_histogram_config_static_selectorELNS0_4arch9wavefront6targetE0EEEvSE_.has_recursion, 0
	.set _ZN7rocprim17ROCPRIM_400000_NS6detail17trampoline_kernelINS0_14default_configENS1_35radix_sort_onesweep_config_selectorI12hip_bfloat16NS0_10empty_typeEEEZNS1_34radix_sort_onesweep_global_offsetsIS3_Lb1EPKS5_PS6_mNS0_19identity_decomposerEEE10hipError_tT1_T2_PT3_SG_jT4_jjP12ihipStream_tbEUlT_E0_NS1_11comp_targetILNS1_3genE3ELNS1_11target_archE908ELNS1_3gpuE7ELNS1_3repE0EEENS1_52radix_sort_onesweep_histogram_config_static_selectorELNS0_4arch9wavefront6targetE0EEEvSE_.has_indirect_call, 0
	.section	.AMDGPU.csdata,"",@progbits
; Kernel info:
; codeLenInByte = 0
; TotalNumSgprs: 0
; NumVgprs: 0
; ScratchSize: 0
; MemoryBound: 0
; FloatMode: 240
; IeeeMode: 1
; LDSByteSize: 0 bytes/workgroup (compile time only)
; SGPRBlocks: 0
; VGPRBlocks: 0
; NumSGPRsForWavesPerEU: 1
; NumVGPRsForWavesPerEU: 1
; NamedBarCnt: 0
; Occupancy: 16
; WaveLimiterHint : 0
; COMPUTE_PGM_RSRC2:SCRATCH_EN: 0
; COMPUTE_PGM_RSRC2:USER_SGPR: 2
; COMPUTE_PGM_RSRC2:TRAP_HANDLER: 0
; COMPUTE_PGM_RSRC2:TGID_X_EN: 1
; COMPUTE_PGM_RSRC2:TGID_Y_EN: 0
; COMPUTE_PGM_RSRC2:TGID_Z_EN: 0
; COMPUTE_PGM_RSRC2:TIDIG_COMP_CNT: 0
	.section	.text._ZN7rocprim17ROCPRIM_400000_NS6detail17trampoline_kernelINS0_14default_configENS1_35radix_sort_onesweep_config_selectorI12hip_bfloat16NS0_10empty_typeEEEZNS1_34radix_sort_onesweep_global_offsetsIS3_Lb1EPKS5_PS6_mNS0_19identity_decomposerEEE10hipError_tT1_T2_PT3_SG_jT4_jjP12ihipStream_tbEUlT_E0_NS1_11comp_targetILNS1_3genE10ELNS1_11target_archE1201ELNS1_3gpuE5ELNS1_3repE0EEENS1_52radix_sort_onesweep_histogram_config_static_selectorELNS0_4arch9wavefront6targetE0EEEvSE_,"axG",@progbits,_ZN7rocprim17ROCPRIM_400000_NS6detail17trampoline_kernelINS0_14default_configENS1_35radix_sort_onesweep_config_selectorI12hip_bfloat16NS0_10empty_typeEEEZNS1_34radix_sort_onesweep_global_offsetsIS3_Lb1EPKS5_PS6_mNS0_19identity_decomposerEEE10hipError_tT1_T2_PT3_SG_jT4_jjP12ihipStream_tbEUlT_E0_NS1_11comp_targetILNS1_3genE10ELNS1_11target_archE1201ELNS1_3gpuE5ELNS1_3repE0EEENS1_52radix_sort_onesweep_histogram_config_static_selectorELNS0_4arch9wavefront6targetE0EEEvSE_,comdat
	.protected	_ZN7rocprim17ROCPRIM_400000_NS6detail17trampoline_kernelINS0_14default_configENS1_35radix_sort_onesweep_config_selectorI12hip_bfloat16NS0_10empty_typeEEEZNS1_34radix_sort_onesweep_global_offsetsIS3_Lb1EPKS5_PS6_mNS0_19identity_decomposerEEE10hipError_tT1_T2_PT3_SG_jT4_jjP12ihipStream_tbEUlT_E0_NS1_11comp_targetILNS1_3genE10ELNS1_11target_archE1201ELNS1_3gpuE5ELNS1_3repE0EEENS1_52radix_sort_onesweep_histogram_config_static_selectorELNS0_4arch9wavefront6targetE0EEEvSE_ ; -- Begin function _ZN7rocprim17ROCPRIM_400000_NS6detail17trampoline_kernelINS0_14default_configENS1_35radix_sort_onesweep_config_selectorI12hip_bfloat16NS0_10empty_typeEEEZNS1_34radix_sort_onesweep_global_offsetsIS3_Lb1EPKS5_PS6_mNS0_19identity_decomposerEEE10hipError_tT1_T2_PT3_SG_jT4_jjP12ihipStream_tbEUlT_E0_NS1_11comp_targetILNS1_3genE10ELNS1_11target_archE1201ELNS1_3gpuE5ELNS1_3repE0EEENS1_52radix_sort_onesweep_histogram_config_static_selectorELNS0_4arch9wavefront6targetE0EEEvSE_
	.globl	_ZN7rocprim17ROCPRIM_400000_NS6detail17trampoline_kernelINS0_14default_configENS1_35radix_sort_onesweep_config_selectorI12hip_bfloat16NS0_10empty_typeEEEZNS1_34radix_sort_onesweep_global_offsetsIS3_Lb1EPKS5_PS6_mNS0_19identity_decomposerEEE10hipError_tT1_T2_PT3_SG_jT4_jjP12ihipStream_tbEUlT_E0_NS1_11comp_targetILNS1_3genE10ELNS1_11target_archE1201ELNS1_3gpuE5ELNS1_3repE0EEENS1_52radix_sort_onesweep_histogram_config_static_selectorELNS0_4arch9wavefront6targetE0EEEvSE_
	.p2align	8
	.type	_ZN7rocprim17ROCPRIM_400000_NS6detail17trampoline_kernelINS0_14default_configENS1_35radix_sort_onesweep_config_selectorI12hip_bfloat16NS0_10empty_typeEEEZNS1_34radix_sort_onesweep_global_offsetsIS3_Lb1EPKS5_PS6_mNS0_19identity_decomposerEEE10hipError_tT1_T2_PT3_SG_jT4_jjP12ihipStream_tbEUlT_E0_NS1_11comp_targetILNS1_3genE10ELNS1_11target_archE1201ELNS1_3gpuE5ELNS1_3repE0EEENS1_52radix_sort_onesweep_histogram_config_static_selectorELNS0_4arch9wavefront6targetE0EEEvSE_,@function
_ZN7rocprim17ROCPRIM_400000_NS6detail17trampoline_kernelINS0_14default_configENS1_35radix_sort_onesweep_config_selectorI12hip_bfloat16NS0_10empty_typeEEEZNS1_34radix_sort_onesweep_global_offsetsIS3_Lb1EPKS5_PS6_mNS0_19identity_decomposerEEE10hipError_tT1_T2_PT3_SG_jT4_jjP12ihipStream_tbEUlT_E0_NS1_11comp_targetILNS1_3genE10ELNS1_11target_archE1201ELNS1_3gpuE5ELNS1_3repE0EEENS1_52radix_sort_onesweep_histogram_config_static_selectorELNS0_4arch9wavefront6targetE0EEEvSE_: ; @_ZN7rocprim17ROCPRIM_400000_NS6detail17trampoline_kernelINS0_14default_configENS1_35radix_sort_onesweep_config_selectorI12hip_bfloat16NS0_10empty_typeEEEZNS1_34radix_sort_onesweep_global_offsetsIS3_Lb1EPKS5_PS6_mNS0_19identity_decomposerEEE10hipError_tT1_T2_PT3_SG_jT4_jjP12ihipStream_tbEUlT_E0_NS1_11comp_targetILNS1_3genE10ELNS1_11target_archE1201ELNS1_3gpuE5ELNS1_3repE0EEENS1_52radix_sort_onesweep_histogram_config_static_selectorELNS0_4arch9wavefront6targetE0EEEvSE_
; %bb.0:
	.section	.rodata,"a",@progbits
	.p2align	6, 0x0
	.amdhsa_kernel _ZN7rocprim17ROCPRIM_400000_NS6detail17trampoline_kernelINS0_14default_configENS1_35radix_sort_onesweep_config_selectorI12hip_bfloat16NS0_10empty_typeEEEZNS1_34radix_sort_onesweep_global_offsetsIS3_Lb1EPKS5_PS6_mNS0_19identity_decomposerEEE10hipError_tT1_T2_PT3_SG_jT4_jjP12ihipStream_tbEUlT_E0_NS1_11comp_targetILNS1_3genE10ELNS1_11target_archE1201ELNS1_3gpuE5ELNS1_3repE0EEENS1_52radix_sort_onesweep_histogram_config_static_selectorELNS0_4arch9wavefront6targetE0EEEvSE_
		.amdhsa_group_segment_fixed_size 0
		.amdhsa_private_segment_fixed_size 0
		.amdhsa_kernarg_size 8
		.amdhsa_user_sgpr_count 2
		.amdhsa_user_sgpr_dispatch_ptr 0
		.amdhsa_user_sgpr_queue_ptr 0
		.amdhsa_user_sgpr_kernarg_segment_ptr 1
		.amdhsa_user_sgpr_dispatch_id 0
		.amdhsa_user_sgpr_kernarg_preload_length 0
		.amdhsa_user_sgpr_kernarg_preload_offset 0
		.amdhsa_user_sgpr_private_segment_size 0
		.amdhsa_wavefront_size32 1
		.amdhsa_uses_dynamic_stack 0
		.amdhsa_enable_private_segment 0
		.amdhsa_system_sgpr_workgroup_id_x 1
		.amdhsa_system_sgpr_workgroup_id_y 0
		.amdhsa_system_sgpr_workgroup_id_z 0
		.amdhsa_system_sgpr_workgroup_info 0
		.amdhsa_system_vgpr_workitem_id 0
		.amdhsa_next_free_vgpr 1
		.amdhsa_next_free_sgpr 1
		.amdhsa_named_barrier_count 0
		.amdhsa_reserve_vcc 0
		.amdhsa_float_round_mode_32 0
		.amdhsa_float_round_mode_16_64 0
		.amdhsa_float_denorm_mode_32 3
		.amdhsa_float_denorm_mode_16_64 3
		.amdhsa_fp16_overflow 0
		.amdhsa_memory_ordered 1
		.amdhsa_forward_progress 1
		.amdhsa_inst_pref_size 0
		.amdhsa_round_robin_scheduling 0
		.amdhsa_exception_fp_ieee_invalid_op 0
		.amdhsa_exception_fp_denorm_src 0
		.amdhsa_exception_fp_ieee_div_zero 0
		.amdhsa_exception_fp_ieee_overflow 0
		.amdhsa_exception_fp_ieee_underflow 0
		.amdhsa_exception_fp_ieee_inexact 0
		.amdhsa_exception_int_div_zero 0
	.end_amdhsa_kernel
	.section	.text._ZN7rocprim17ROCPRIM_400000_NS6detail17trampoline_kernelINS0_14default_configENS1_35radix_sort_onesweep_config_selectorI12hip_bfloat16NS0_10empty_typeEEEZNS1_34radix_sort_onesweep_global_offsetsIS3_Lb1EPKS5_PS6_mNS0_19identity_decomposerEEE10hipError_tT1_T2_PT3_SG_jT4_jjP12ihipStream_tbEUlT_E0_NS1_11comp_targetILNS1_3genE10ELNS1_11target_archE1201ELNS1_3gpuE5ELNS1_3repE0EEENS1_52radix_sort_onesweep_histogram_config_static_selectorELNS0_4arch9wavefront6targetE0EEEvSE_,"axG",@progbits,_ZN7rocprim17ROCPRIM_400000_NS6detail17trampoline_kernelINS0_14default_configENS1_35radix_sort_onesweep_config_selectorI12hip_bfloat16NS0_10empty_typeEEEZNS1_34radix_sort_onesweep_global_offsetsIS3_Lb1EPKS5_PS6_mNS0_19identity_decomposerEEE10hipError_tT1_T2_PT3_SG_jT4_jjP12ihipStream_tbEUlT_E0_NS1_11comp_targetILNS1_3genE10ELNS1_11target_archE1201ELNS1_3gpuE5ELNS1_3repE0EEENS1_52radix_sort_onesweep_histogram_config_static_selectorELNS0_4arch9wavefront6targetE0EEEvSE_,comdat
.Lfunc_end1953:
	.size	_ZN7rocprim17ROCPRIM_400000_NS6detail17trampoline_kernelINS0_14default_configENS1_35radix_sort_onesweep_config_selectorI12hip_bfloat16NS0_10empty_typeEEEZNS1_34radix_sort_onesweep_global_offsetsIS3_Lb1EPKS5_PS6_mNS0_19identity_decomposerEEE10hipError_tT1_T2_PT3_SG_jT4_jjP12ihipStream_tbEUlT_E0_NS1_11comp_targetILNS1_3genE10ELNS1_11target_archE1201ELNS1_3gpuE5ELNS1_3repE0EEENS1_52radix_sort_onesweep_histogram_config_static_selectorELNS0_4arch9wavefront6targetE0EEEvSE_, .Lfunc_end1953-_ZN7rocprim17ROCPRIM_400000_NS6detail17trampoline_kernelINS0_14default_configENS1_35radix_sort_onesweep_config_selectorI12hip_bfloat16NS0_10empty_typeEEEZNS1_34radix_sort_onesweep_global_offsetsIS3_Lb1EPKS5_PS6_mNS0_19identity_decomposerEEE10hipError_tT1_T2_PT3_SG_jT4_jjP12ihipStream_tbEUlT_E0_NS1_11comp_targetILNS1_3genE10ELNS1_11target_archE1201ELNS1_3gpuE5ELNS1_3repE0EEENS1_52radix_sort_onesweep_histogram_config_static_selectorELNS0_4arch9wavefront6targetE0EEEvSE_
                                        ; -- End function
	.set _ZN7rocprim17ROCPRIM_400000_NS6detail17trampoline_kernelINS0_14default_configENS1_35radix_sort_onesweep_config_selectorI12hip_bfloat16NS0_10empty_typeEEEZNS1_34radix_sort_onesweep_global_offsetsIS3_Lb1EPKS5_PS6_mNS0_19identity_decomposerEEE10hipError_tT1_T2_PT3_SG_jT4_jjP12ihipStream_tbEUlT_E0_NS1_11comp_targetILNS1_3genE10ELNS1_11target_archE1201ELNS1_3gpuE5ELNS1_3repE0EEENS1_52radix_sort_onesweep_histogram_config_static_selectorELNS0_4arch9wavefront6targetE0EEEvSE_.num_vgpr, 0
	.set _ZN7rocprim17ROCPRIM_400000_NS6detail17trampoline_kernelINS0_14default_configENS1_35radix_sort_onesweep_config_selectorI12hip_bfloat16NS0_10empty_typeEEEZNS1_34radix_sort_onesweep_global_offsetsIS3_Lb1EPKS5_PS6_mNS0_19identity_decomposerEEE10hipError_tT1_T2_PT3_SG_jT4_jjP12ihipStream_tbEUlT_E0_NS1_11comp_targetILNS1_3genE10ELNS1_11target_archE1201ELNS1_3gpuE5ELNS1_3repE0EEENS1_52radix_sort_onesweep_histogram_config_static_selectorELNS0_4arch9wavefront6targetE0EEEvSE_.num_agpr, 0
	.set _ZN7rocprim17ROCPRIM_400000_NS6detail17trampoline_kernelINS0_14default_configENS1_35radix_sort_onesweep_config_selectorI12hip_bfloat16NS0_10empty_typeEEEZNS1_34radix_sort_onesweep_global_offsetsIS3_Lb1EPKS5_PS6_mNS0_19identity_decomposerEEE10hipError_tT1_T2_PT3_SG_jT4_jjP12ihipStream_tbEUlT_E0_NS1_11comp_targetILNS1_3genE10ELNS1_11target_archE1201ELNS1_3gpuE5ELNS1_3repE0EEENS1_52radix_sort_onesweep_histogram_config_static_selectorELNS0_4arch9wavefront6targetE0EEEvSE_.numbered_sgpr, 0
	.set _ZN7rocprim17ROCPRIM_400000_NS6detail17trampoline_kernelINS0_14default_configENS1_35radix_sort_onesweep_config_selectorI12hip_bfloat16NS0_10empty_typeEEEZNS1_34radix_sort_onesweep_global_offsetsIS3_Lb1EPKS5_PS6_mNS0_19identity_decomposerEEE10hipError_tT1_T2_PT3_SG_jT4_jjP12ihipStream_tbEUlT_E0_NS1_11comp_targetILNS1_3genE10ELNS1_11target_archE1201ELNS1_3gpuE5ELNS1_3repE0EEENS1_52radix_sort_onesweep_histogram_config_static_selectorELNS0_4arch9wavefront6targetE0EEEvSE_.num_named_barrier, 0
	.set _ZN7rocprim17ROCPRIM_400000_NS6detail17trampoline_kernelINS0_14default_configENS1_35radix_sort_onesweep_config_selectorI12hip_bfloat16NS0_10empty_typeEEEZNS1_34radix_sort_onesweep_global_offsetsIS3_Lb1EPKS5_PS6_mNS0_19identity_decomposerEEE10hipError_tT1_T2_PT3_SG_jT4_jjP12ihipStream_tbEUlT_E0_NS1_11comp_targetILNS1_3genE10ELNS1_11target_archE1201ELNS1_3gpuE5ELNS1_3repE0EEENS1_52radix_sort_onesweep_histogram_config_static_selectorELNS0_4arch9wavefront6targetE0EEEvSE_.private_seg_size, 0
	.set _ZN7rocprim17ROCPRIM_400000_NS6detail17trampoline_kernelINS0_14default_configENS1_35radix_sort_onesweep_config_selectorI12hip_bfloat16NS0_10empty_typeEEEZNS1_34radix_sort_onesweep_global_offsetsIS3_Lb1EPKS5_PS6_mNS0_19identity_decomposerEEE10hipError_tT1_T2_PT3_SG_jT4_jjP12ihipStream_tbEUlT_E0_NS1_11comp_targetILNS1_3genE10ELNS1_11target_archE1201ELNS1_3gpuE5ELNS1_3repE0EEENS1_52radix_sort_onesweep_histogram_config_static_selectorELNS0_4arch9wavefront6targetE0EEEvSE_.uses_vcc, 0
	.set _ZN7rocprim17ROCPRIM_400000_NS6detail17trampoline_kernelINS0_14default_configENS1_35radix_sort_onesweep_config_selectorI12hip_bfloat16NS0_10empty_typeEEEZNS1_34radix_sort_onesweep_global_offsetsIS3_Lb1EPKS5_PS6_mNS0_19identity_decomposerEEE10hipError_tT1_T2_PT3_SG_jT4_jjP12ihipStream_tbEUlT_E0_NS1_11comp_targetILNS1_3genE10ELNS1_11target_archE1201ELNS1_3gpuE5ELNS1_3repE0EEENS1_52radix_sort_onesweep_histogram_config_static_selectorELNS0_4arch9wavefront6targetE0EEEvSE_.uses_flat_scratch, 0
	.set _ZN7rocprim17ROCPRIM_400000_NS6detail17trampoline_kernelINS0_14default_configENS1_35radix_sort_onesweep_config_selectorI12hip_bfloat16NS0_10empty_typeEEEZNS1_34radix_sort_onesweep_global_offsetsIS3_Lb1EPKS5_PS6_mNS0_19identity_decomposerEEE10hipError_tT1_T2_PT3_SG_jT4_jjP12ihipStream_tbEUlT_E0_NS1_11comp_targetILNS1_3genE10ELNS1_11target_archE1201ELNS1_3gpuE5ELNS1_3repE0EEENS1_52radix_sort_onesweep_histogram_config_static_selectorELNS0_4arch9wavefront6targetE0EEEvSE_.has_dyn_sized_stack, 0
	.set _ZN7rocprim17ROCPRIM_400000_NS6detail17trampoline_kernelINS0_14default_configENS1_35radix_sort_onesweep_config_selectorI12hip_bfloat16NS0_10empty_typeEEEZNS1_34radix_sort_onesweep_global_offsetsIS3_Lb1EPKS5_PS6_mNS0_19identity_decomposerEEE10hipError_tT1_T2_PT3_SG_jT4_jjP12ihipStream_tbEUlT_E0_NS1_11comp_targetILNS1_3genE10ELNS1_11target_archE1201ELNS1_3gpuE5ELNS1_3repE0EEENS1_52radix_sort_onesweep_histogram_config_static_selectorELNS0_4arch9wavefront6targetE0EEEvSE_.has_recursion, 0
	.set _ZN7rocprim17ROCPRIM_400000_NS6detail17trampoline_kernelINS0_14default_configENS1_35radix_sort_onesweep_config_selectorI12hip_bfloat16NS0_10empty_typeEEEZNS1_34radix_sort_onesweep_global_offsetsIS3_Lb1EPKS5_PS6_mNS0_19identity_decomposerEEE10hipError_tT1_T2_PT3_SG_jT4_jjP12ihipStream_tbEUlT_E0_NS1_11comp_targetILNS1_3genE10ELNS1_11target_archE1201ELNS1_3gpuE5ELNS1_3repE0EEENS1_52radix_sort_onesweep_histogram_config_static_selectorELNS0_4arch9wavefront6targetE0EEEvSE_.has_indirect_call, 0
	.section	.AMDGPU.csdata,"",@progbits
; Kernel info:
; codeLenInByte = 0
; TotalNumSgprs: 0
; NumVgprs: 0
; ScratchSize: 0
; MemoryBound: 0
; FloatMode: 240
; IeeeMode: 1
; LDSByteSize: 0 bytes/workgroup (compile time only)
; SGPRBlocks: 0
; VGPRBlocks: 0
; NumSGPRsForWavesPerEU: 1
; NumVGPRsForWavesPerEU: 1
; NamedBarCnt: 0
; Occupancy: 16
; WaveLimiterHint : 0
; COMPUTE_PGM_RSRC2:SCRATCH_EN: 0
; COMPUTE_PGM_RSRC2:USER_SGPR: 2
; COMPUTE_PGM_RSRC2:TRAP_HANDLER: 0
; COMPUTE_PGM_RSRC2:TGID_X_EN: 1
; COMPUTE_PGM_RSRC2:TGID_Y_EN: 0
; COMPUTE_PGM_RSRC2:TGID_Z_EN: 0
; COMPUTE_PGM_RSRC2:TIDIG_COMP_CNT: 0
	.section	.text._ZN7rocprim17ROCPRIM_400000_NS6detail17trampoline_kernelINS0_14default_configENS1_35radix_sort_onesweep_config_selectorI12hip_bfloat16NS0_10empty_typeEEEZNS1_34radix_sort_onesweep_global_offsetsIS3_Lb1EPKS5_PS6_mNS0_19identity_decomposerEEE10hipError_tT1_T2_PT3_SG_jT4_jjP12ihipStream_tbEUlT_E0_NS1_11comp_targetILNS1_3genE9ELNS1_11target_archE1100ELNS1_3gpuE3ELNS1_3repE0EEENS1_52radix_sort_onesweep_histogram_config_static_selectorELNS0_4arch9wavefront6targetE0EEEvSE_,"axG",@progbits,_ZN7rocprim17ROCPRIM_400000_NS6detail17trampoline_kernelINS0_14default_configENS1_35radix_sort_onesweep_config_selectorI12hip_bfloat16NS0_10empty_typeEEEZNS1_34radix_sort_onesweep_global_offsetsIS3_Lb1EPKS5_PS6_mNS0_19identity_decomposerEEE10hipError_tT1_T2_PT3_SG_jT4_jjP12ihipStream_tbEUlT_E0_NS1_11comp_targetILNS1_3genE9ELNS1_11target_archE1100ELNS1_3gpuE3ELNS1_3repE0EEENS1_52radix_sort_onesweep_histogram_config_static_selectorELNS0_4arch9wavefront6targetE0EEEvSE_,comdat
	.protected	_ZN7rocprim17ROCPRIM_400000_NS6detail17trampoline_kernelINS0_14default_configENS1_35radix_sort_onesweep_config_selectorI12hip_bfloat16NS0_10empty_typeEEEZNS1_34radix_sort_onesweep_global_offsetsIS3_Lb1EPKS5_PS6_mNS0_19identity_decomposerEEE10hipError_tT1_T2_PT3_SG_jT4_jjP12ihipStream_tbEUlT_E0_NS1_11comp_targetILNS1_3genE9ELNS1_11target_archE1100ELNS1_3gpuE3ELNS1_3repE0EEENS1_52radix_sort_onesweep_histogram_config_static_selectorELNS0_4arch9wavefront6targetE0EEEvSE_ ; -- Begin function _ZN7rocprim17ROCPRIM_400000_NS6detail17trampoline_kernelINS0_14default_configENS1_35radix_sort_onesweep_config_selectorI12hip_bfloat16NS0_10empty_typeEEEZNS1_34radix_sort_onesweep_global_offsetsIS3_Lb1EPKS5_PS6_mNS0_19identity_decomposerEEE10hipError_tT1_T2_PT3_SG_jT4_jjP12ihipStream_tbEUlT_E0_NS1_11comp_targetILNS1_3genE9ELNS1_11target_archE1100ELNS1_3gpuE3ELNS1_3repE0EEENS1_52radix_sort_onesweep_histogram_config_static_selectorELNS0_4arch9wavefront6targetE0EEEvSE_
	.globl	_ZN7rocprim17ROCPRIM_400000_NS6detail17trampoline_kernelINS0_14default_configENS1_35radix_sort_onesweep_config_selectorI12hip_bfloat16NS0_10empty_typeEEEZNS1_34radix_sort_onesweep_global_offsetsIS3_Lb1EPKS5_PS6_mNS0_19identity_decomposerEEE10hipError_tT1_T2_PT3_SG_jT4_jjP12ihipStream_tbEUlT_E0_NS1_11comp_targetILNS1_3genE9ELNS1_11target_archE1100ELNS1_3gpuE3ELNS1_3repE0EEENS1_52radix_sort_onesweep_histogram_config_static_selectorELNS0_4arch9wavefront6targetE0EEEvSE_
	.p2align	8
	.type	_ZN7rocprim17ROCPRIM_400000_NS6detail17trampoline_kernelINS0_14default_configENS1_35radix_sort_onesweep_config_selectorI12hip_bfloat16NS0_10empty_typeEEEZNS1_34radix_sort_onesweep_global_offsetsIS3_Lb1EPKS5_PS6_mNS0_19identity_decomposerEEE10hipError_tT1_T2_PT3_SG_jT4_jjP12ihipStream_tbEUlT_E0_NS1_11comp_targetILNS1_3genE9ELNS1_11target_archE1100ELNS1_3gpuE3ELNS1_3repE0EEENS1_52radix_sort_onesweep_histogram_config_static_selectorELNS0_4arch9wavefront6targetE0EEEvSE_,@function
_ZN7rocprim17ROCPRIM_400000_NS6detail17trampoline_kernelINS0_14default_configENS1_35radix_sort_onesweep_config_selectorI12hip_bfloat16NS0_10empty_typeEEEZNS1_34radix_sort_onesweep_global_offsetsIS3_Lb1EPKS5_PS6_mNS0_19identity_decomposerEEE10hipError_tT1_T2_PT3_SG_jT4_jjP12ihipStream_tbEUlT_E0_NS1_11comp_targetILNS1_3genE9ELNS1_11target_archE1100ELNS1_3gpuE3ELNS1_3repE0EEENS1_52radix_sort_onesweep_histogram_config_static_selectorELNS0_4arch9wavefront6targetE0EEEvSE_: ; @_ZN7rocprim17ROCPRIM_400000_NS6detail17trampoline_kernelINS0_14default_configENS1_35radix_sort_onesweep_config_selectorI12hip_bfloat16NS0_10empty_typeEEEZNS1_34radix_sort_onesweep_global_offsetsIS3_Lb1EPKS5_PS6_mNS0_19identity_decomposerEEE10hipError_tT1_T2_PT3_SG_jT4_jjP12ihipStream_tbEUlT_E0_NS1_11comp_targetILNS1_3genE9ELNS1_11target_archE1100ELNS1_3gpuE3ELNS1_3repE0EEENS1_52radix_sort_onesweep_histogram_config_static_selectorELNS0_4arch9wavefront6targetE0EEEvSE_
; %bb.0:
	.section	.rodata,"a",@progbits
	.p2align	6, 0x0
	.amdhsa_kernel _ZN7rocprim17ROCPRIM_400000_NS6detail17trampoline_kernelINS0_14default_configENS1_35radix_sort_onesweep_config_selectorI12hip_bfloat16NS0_10empty_typeEEEZNS1_34radix_sort_onesweep_global_offsetsIS3_Lb1EPKS5_PS6_mNS0_19identity_decomposerEEE10hipError_tT1_T2_PT3_SG_jT4_jjP12ihipStream_tbEUlT_E0_NS1_11comp_targetILNS1_3genE9ELNS1_11target_archE1100ELNS1_3gpuE3ELNS1_3repE0EEENS1_52radix_sort_onesweep_histogram_config_static_selectorELNS0_4arch9wavefront6targetE0EEEvSE_
		.amdhsa_group_segment_fixed_size 0
		.amdhsa_private_segment_fixed_size 0
		.amdhsa_kernarg_size 8
		.amdhsa_user_sgpr_count 2
		.amdhsa_user_sgpr_dispatch_ptr 0
		.amdhsa_user_sgpr_queue_ptr 0
		.amdhsa_user_sgpr_kernarg_segment_ptr 1
		.amdhsa_user_sgpr_dispatch_id 0
		.amdhsa_user_sgpr_kernarg_preload_length 0
		.amdhsa_user_sgpr_kernarg_preload_offset 0
		.amdhsa_user_sgpr_private_segment_size 0
		.amdhsa_wavefront_size32 1
		.amdhsa_uses_dynamic_stack 0
		.amdhsa_enable_private_segment 0
		.amdhsa_system_sgpr_workgroup_id_x 1
		.amdhsa_system_sgpr_workgroup_id_y 0
		.amdhsa_system_sgpr_workgroup_id_z 0
		.amdhsa_system_sgpr_workgroup_info 0
		.amdhsa_system_vgpr_workitem_id 0
		.amdhsa_next_free_vgpr 1
		.amdhsa_next_free_sgpr 1
		.amdhsa_named_barrier_count 0
		.amdhsa_reserve_vcc 0
		.amdhsa_float_round_mode_32 0
		.amdhsa_float_round_mode_16_64 0
		.amdhsa_float_denorm_mode_32 3
		.amdhsa_float_denorm_mode_16_64 3
		.amdhsa_fp16_overflow 0
		.amdhsa_memory_ordered 1
		.amdhsa_forward_progress 1
		.amdhsa_inst_pref_size 0
		.amdhsa_round_robin_scheduling 0
		.amdhsa_exception_fp_ieee_invalid_op 0
		.amdhsa_exception_fp_denorm_src 0
		.amdhsa_exception_fp_ieee_div_zero 0
		.amdhsa_exception_fp_ieee_overflow 0
		.amdhsa_exception_fp_ieee_underflow 0
		.amdhsa_exception_fp_ieee_inexact 0
		.amdhsa_exception_int_div_zero 0
	.end_amdhsa_kernel
	.section	.text._ZN7rocprim17ROCPRIM_400000_NS6detail17trampoline_kernelINS0_14default_configENS1_35radix_sort_onesweep_config_selectorI12hip_bfloat16NS0_10empty_typeEEEZNS1_34radix_sort_onesweep_global_offsetsIS3_Lb1EPKS5_PS6_mNS0_19identity_decomposerEEE10hipError_tT1_T2_PT3_SG_jT4_jjP12ihipStream_tbEUlT_E0_NS1_11comp_targetILNS1_3genE9ELNS1_11target_archE1100ELNS1_3gpuE3ELNS1_3repE0EEENS1_52radix_sort_onesweep_histogram_config_static_selectorELNS0_4arch9wavefront6targetE0EEEvSE_,"axG",@progbits,_ZN7rocprim17ROCPRIM_400000_NS6detail17trampoline_kernelINS0_14default_configENS1_35radix_sort_onesweep_config_selectorI12hip_bfloat16NS0_10empty_typeEEEZNS1_34radix_sort_onesweep_global_offsetsIS3_Lb1EPKS5_PS6_mNS0_19identity_decomposerEEE10hipError_tT1_T2_PT3_SG_jT4_jjP12ihipStream_tbEUlT_E0_NS1_11comp_targetILNS1_3genE9ELNS1_11target_archE1100ELNS1_3gpuE3ELNS1_3repE0EEENS1_52radix_sort_onesweep_histogram_config_static_selectorELNS0_4arch9wavefront6targetE0EEEvSE_,comdat
.Lfunc_end1954:
	.size	_ZN7rocprim17ROCPRIM_400000_NS6detail17trampoline_kernelINS0_14default_configENS1_35radix_sort_onesweep_config_selectorI12hip_bfloat16NS0_10empty_typeEEEZNS1_34radix_sort_onesweep_global_offsetsIS3_Lb1EPKS5_PS6_mNS0_19identity_decomposerEEE10hipError_tT1_T2_PT3_SG_jT4_jjP12ihipStream_tbEUlT_E0_NS1_11comp_targetILNS1_3genE9ELNS1_11target_archE1100ELNS1_3gpuE3ELNS1_3repE0EEENS1_52radix_sort_onesweep_histogram_config_static_selectorELNS0_4arch9wavefront6targetE0EEEvSE_, .Lfunc_end1954-_ZN7rocprim17ROCPRIM_400000_NS6detail17trampoline_kernelINS0_14default_configENS1_35radix_sort_onesweep_config_selectorI12hip_bfloat16NS0_10empty_typeEEEZNS1_34radix_sort_onesweep_global_offsetsIS3_Lb1EPKS5_PS6_mNS0_19identity_decomposerEEE10hipError_tT1_T2_PT3_SG_jT4_jjP12ihipStream_tbEUlT_E0_NS1_11comp_targetILNS1_3genE9ELNS1_11target_archE1100ELNS1_3gpuE3ELNS1_3repE0EEENS1_52radix_sort_onesweep_histogram_config_static_selectorELNS0_4arch9wavefront6targetE0EEEvSE_
                                        ; -- End function
	.set _ZN7rocprim17ROCPRIM_400000_NS6detail17trampoline_kernelINS0_14default_configENS1_35radix_sort_onesweep_config_selectorI12hip_bfloat16NS0_10empty_typeEEEZNS1_34radix_sort_onesweep_global_offsetsIS3_Lb1EPKS5_PS6_mNS0_19identity_decomposerEEE10hipError_tT1_T2_PT3_SG_jT4_jjP12ihipStream_tbEUlT_E0_NS1_11comp_targetILNS1_3genE9ELNS1_11target_archE1100ELNS1_3gpuE3ELNS1_3repE0EEENS1_52radix_sort_onesweep_histogram_config_static_selectorELNS0_4arch9wavefront6targetE0EEEvSE_.num_vgpr, 0
	.set _ZN7rocprim17ROCPRIM_400000_NS6detail17trampoline_kernelINS0_14default_configENS1_35radix_sort_onesweep_config_selectorI12hip_bfloat16NS0_10empty_typeEEEZNS1_34radix_sort_onesweep_global_offsetsIS3_Lb1EPKS5_PS6_mNS0_19identity_decomposerEEE10hipError_tT1_T2_PT3_SG_jT4_jjP12ihipStream_tbEUlT_E0_NS1_11comp_targetILNS1_3genE9ELNS1_11target_archE1100ELNS1_3gpuE3ELNS1_3repE0EEENS1_52radix_sort_onesweep_histogram_config_static_selectorELNS0_4arch9wavefront6targetE0EEEvSE_.num_agpr, 0
	.set _ZN7rocprim17ROCPRIM_400000_NS6detail17trampoline_kernelINS0_14default_configENS1_35radix_sort_onesweep_config_selectorI12hip_bfloat16NS0_10empty_typeEEEZNS1_34radix_sort_onesweep_global_offsetsIS3_Lb1EPKS5_PS6_mNS0_19identity_decomposerEEE10hipError_tT1_T2_PT3_SG_jT4_jjP12ihipStream_tbEUlT_E0_NS1_11comp_targetILNS1_3genE9ELNS1_11target_archE1100ELNS1_3gpuE3ELNS1_3repE0EEENS1_52radix_sort_onesweep_histogram_config_static_selectorELNS0_4arch9wavefront6targetE0EEEvSE_.numbered_sgpr, 0
	.set _ZN7rocprim17ROCPRIM_400000_NS6detail17trampoline_kernelINS0_14default_configENS1_35radix_sort_onesweep_config_selectorI12hip_bfloat16NS0_10empty_typeEEEZNS1_34radix_sort_onesweep_global_offsetsIS3_Lb1EPKS5_PS6_mNS0_19identity_decomposerEEE10hipError_tT1_T2_PT3_SG_jT4_jjP12ihipStream_tbEUlT_E0_NS1_11comp_targetILNS1_3genE9ELNS1_11target_archE1100ELNS1_3gpuE3ELNS1_3repE0EEENS1_52radix_sort_onesweep_histogram_config_static_selectorELNS0_4arch9wavefront6targetE0EEEvSE_.num_named_barrier, 0
	.set _ZN7rocprim17ROCPRIM_400000_NS6detail17trampoline_kernelINS0_14default_configENS1_35radix_sort_onesweep_config_selectorI12hip_bfloat16NS0_10empty_typeEEEZNS1_34radix_sort_onesweep_global_offsetsIS3_Lb1EPKS5_PS6_mNS0_19identity_decomposerEEE10hipError_tT1_T2_PT3_SG_jT4_jjP12ihipStream_tbEUlT_E0_NS1_11comp_targetILNS1_3genE9ELNS1_11target_archE1100ELNS1_3gpuE3ELNS1_3repE0EEENS1_52radix_sort_onesweep_histogram_config_static_selectorELNS0_4arch9wavefront6targetE0EEEvSE_.private_seg_size, 0
	.set _ZN7rocprim17ROCPRIM_400000_NS6detail17trampoline_kernelINS0_14default_configENS1_35radix_sort_onesweep_config_selectorI12hip_bfloat16NS0_10empty_typeEEEZNS1_34radix_sort_onesweep_global_offsetsIS3_Lb1EPKS5_PS6_mNS0_19identity_decomposerEEE10hipError_tT1_T2_PT3_SG_jT4_jjP12ihipStream_tbEUlT_E0_NS1_11comp_targetILNS1_3genE9ELNS1_11target_archE1100ELNS1_3gpuE3ELNS1_3repE0EEENS1_52radix_sort_onesweep_histogram_config_static_selectorELNS0_4arch9wavefront6targetE0EEEvSE_.uses_vcc, 0
	.set _ZN7rocprim17ROCPRIM_400000_NS6detail17trampoline_kernelINS0_14default_configENS1_35radix_sort_onesweep_config_selectorI12hip_bfloat16NS0_10empty_typeEEEZNS1_34radix_sort_onesweep_global_offsetsIS3_Lb1EPKS5_PS6_mNS0_19identity_decomposerEEE10hipError_tT1_T2_PT3_SG_jT4_jjP12ihipStream_tbEUlT_E0_NS1_11comp_targetILNS1_3genE9ELNS1_11target_archE1100ELNS1_3gpuE3ELNS1_3repE0EEENS1_52radix_sort_onesweep_histogram_config_static_selectorELNS0_4arch9wavefront6targetE0EEEvSE_.uses_flat_scratch, 0
	.set _ZN7rocprim17ROCPRIM_400000_NS6detail17trampoline_kernelINS0_14default_configENS1_35radix_sort_onesweep_config_selectorI12hip_bfloat16NS0_10empty_typeEEEZNS1_34radix_sort_onesweep_global_offsetsIS3_Lb1EPKS5_PS6_mNS0_19identity_decomposerEEE10hipError_tT1_T2_PT3_SG_jT4_jjP12ihipStream_tbEUlT_E0_NS1_11comp_targetILNS1_3genE9ELNS1_11target_archE1100ELNS1_3gpuE3ELNS1_3repE0EEENS1_52radix_sort_onesweep_histogram_config_static_selectorELNS0_4arch9wavefront6targetE0EEEvSE_.has_dyn_sized_stack, 0
	.set _ZN7rocprim17ROCPRIM_400000_NS6detail17trampoline_kernelINS0_14default_configENS1_35radix_sort_onesweep_config_selectorI12hip_bfloat16NS0_10empty_typeEEEZNS1_34radix_sort_onesweep_global_offsetsIS3_Lb1EPKS5_PS6_mNS0_19identity_decomposerEEE10hipError_tT1_T2_PT3_SG_jT4_jjP12ihipStream_tbEUlT_E0_NS1_11comp_targetILNS1_3genE9ELNS1_11target_archE1100ELNS1_3gpuE3ELNS1_3repE0EEENS1_52radix_sort_onesweep_histogram_config_static_selectorELNS0_4arch9wavefront6targetE0EEEvSE_.has_recursion, 0
	.set _ZN7rocprim17ROCPRIM_400000_NS6detail17trampoline_kernelINS0_14default_configENS1_35radix_sort_onesweep_config_selectorI12hip_bfloat16NS0_10empty_typeEEEZNS1_34radix_sort_onesweep_global_offsetsIS3_Lb1EPKS5_PS6_mNS0_19identity_decomposerEEE10hipError_tT1_T2_PT3_SG_jT4_jjP12ihipStream_tbEUlT_E0_NS1_11comp_targetILNS1_3genE9ELNS1_11target_archE1100ELNS1_3gpuE3ELNS1_3repE0EEENS1_52radix_sort_onesweep_histogram_config_static_selectorELNS0_4arch9wavefront6targetE0EEEvSE_.has_indirect_call, 0
	.section	.AMDGPU.csdata,"",@progbits
; Kernel info:
; codeLenInByte = 0
; TotalNumSgprs: 0
; NumVgprs: 0
; ScratchSize: 0
; MemoryBound: 0
; FloatMode: 240
; IeeeMode: 1
; LDSByteSize: 0 bytes/workgroup (compile time only)
; SGPRBlocks: 0
; VGPRBlocks: 0
; NumSGPRsForWavesPerEU: 1
; NumVGPRsForWavesPerEU: 1
; NamedBarCnt: 0
; Occupancy: 16
; WaveLimiterHint : 0
; COMPUTE_PGM_RSRC2:SCRATCH_EN: 0
; COMPUTE_PGM_RSRC2:USER_SGPR: 2
; COMPUTE_PGM_RSRC2:TRAP_HANDLER: 0
; COMPUTE_PGM_RSRC2:TGID_X_EN: 1
; COMPUTE_PGM_RSRC2:TGID_Y_EN: 0
; COMPUTE_PGM_RSRC2:TGID_Z_EN: 0
; COMPUTE_PGM_RSRC2:TIDIG_COMP_CNT: 0
	.section	.text._ZN7rocprim17ROCPRIM_400000_NS6detail17trampoline_kernelINS0_14default_configENS1_35radix_sort_onesweep_config_selectorI12hip_bfloat16NS0_10empty_typeEEEZNS1_34radix_sort_onesweep_global_offsetsIS3_Lb1EPKS5_PS6_mNS0_19identity_decomposerEEE10hipError_tT1_T2_PT3_SG_jT4_jjP12ihipStream_tbEUlT_E0_NS1_11comp_targetILNS1_3genE8ELNS1_11target_archE1030ELNS1_3gpuE2ELNS1_3repE0EEENS1_52radix_sort_onesweep_histogram_config_static_selectorELNS0_4arch9wavefront6targetE0EEEvSE_,"axG",@progbits,_ZN7rocprim17ROCPRIM_400000_NS6detail17trampoline_kernelINS0_14default_configENS1_35radix_sort_onesweep_config_selectorI12hip_bfloat16NS0_10empty_typeEEEZNS1_34radix_sort_onesweep_global_offsetsIS3_Lb1EPKS5_PS6_mNS0_19identity_decomposerEEE10hipError_tT1_T2_PT3_SG_jT4_jjP12ihipStream_tbEUlT_E0_NS1_11comp_targetILNS1_3genE8ELNS1_11target_archE1030ELNS1_3gpuE2ELNS1_3repE0EEENS1_52radix_sort_onesweep_histogram_config_static_selectorELNS0_4arch9wavefront6targetE0EEEvSE_,comdat
	.protected	_ZN7rocprim17ROCPRIM_400000_NS6detail17trampoline_kernelINS0_14default_configENS1_35radix_sort_onesweep_config_selectorI12hip_bfloat16NS0_10empty_typeEEEZNS1_34radix_sort_onesweep_global_offsetsIS3_Lb1EPKS5_PS6_mNS0_19identity_decomposerEEE10hipError_tT1_T2_PT3_SG_jT4_jjP12ihipStream_tbEUlT_E0_NS1_11comp_targetILNS1_3genE8ELNS1_11target_archE1030ELNS1_3gpuE2ELNS1_3repE0EEENS1_52radix_sort_onesweep_histogram_config_static_selectorELNS0_4arch9wavefront6targetE0EEEvSE_ ; -- Begin function _ZN7rocprim17ROCPRIM_400000_NS6detail17trampoline_kernelINS0_14default_configENS1_35radix_sort_onesweep_config_selectorI12hip_bfloat16NS0_10empty_typeEEEZNS1_34radix_sort_onesweep_global_offsetsIS3_Lb1EPKS5_PS6_mNS0_19identity_decomposerEEE10hipError_tT1_T2_PT3_SG_jT4_jjP12ihipStream_tbEUlT_E0_NS1_11comp_targetILNS1_3genE8ELNS1_11target_archE1030ELNS1_3gpuE2ELNS1_3repE0EEENS1_52radix_sort_onesweep_histogram_config_static_selectorELNS0_4arch9wavefront6targetE0EEEvSE_
	.globl	_ZN7rocprim17ROCPRIM_400000_NS6detail17trampoline_kernelINS0_14default_configENS1_35radix_sort_onesweep_config_selectorI12hip_bfloat16NS0_10empty_typeEEEZNS1_34radix_sort_onesweep_global_offsetsIS3_Lb1EPKS5_PS6_mNS0_19identity_decomposerEEE10hipError_tT1_T2_PT3_SG_jT4_jjP12ihipStream_tbEUlT_E0_NS1_11comp_targetILNS1_3genE8ELNS1_11target_archE1030ELNS1_3gpuE2ELNS1_3repE0EEENS1_52radix_sort_onesweep_histogram_config_static_selectorELNS0_4arch9wavefront6targetE0EEEvSE_
	.p2align	8
	.type	_ZN7rocprim17ROCPRIM_400000_NS6detail17trampoline_kernelINS0_14default_configENS1_35radix_sort_onesweep_config_selectorI12hip_bfloat16NS0_10empty_typeEEEZNS1_34radix_sort_onesweep_global_offsetsIS3_Lb1EPKS5_PS6_mNS0_19identity_decomposerEEE10hipError_tT1_T2_PT3_SG_jT4_jjP12ihipStream_tbEUlT_E0_NS1_11comp_targetILNS1_3genE8ELNS1_11target_archE1030ELNS1_3gpuE2ELNS1_3repE0EEENS1_52radix_sort_onesweep_histogram_config_static_selectorELNS0_4arch9wavefront6targetE0EEEvSE_,@function
_ZN7rocprim17ROCPRIM_400000_NS6detail17trampoline_kernelINS0_14default_configENS1_35radix_sort_onesweep_config_selectorI12hip_bfloat16NS0_10empty_typeEEEZNS1_34radix_sort_onesweep_global_offsetsIS3_Lb1EPKS5_PS6_mNS0_19identity_decomposerEEE10hipError_tT1_T2_PT3_SG_jT4_jjP12ihipStream_tbEUlT_E0_NS1_11comp_targetILNS1_3genE8ELNS1_11target_archE1030ELNS1_3gpuE2ELNS1_3repE0EEENS1_52radix_sort_onesweep_histogram_config_static_selectorELNS0_4arch9wavefront6targetE0EEEvSE_: ; @_ZN7rocprim17ROCPRIM_400000_NS6detail17trampoline_kernelINS0_14default_configENS1_35radix_sort_onesweep_config_selectorI12hip_bfloat16NS0_10empty_typeEEEZNS1_34radix_sort_onesweep_global_offsetsIS3_Lb1EPKS5_PS6_mNS0_19identity_decomposerEEE10hipError_tT1_T2_PT3_SG_jT4_jjP12ihipStream_tbEUlT_E0_NS1_11comp_targetILNS1_3genE8ELNS1_11target_archE1030ELNS1_3gpuE2ELNS1_3repE0EEENS1_52radix_sort_onesweep_histogram_config_static_selectorELNS0_4arch9wavefront6targetE0EEEvSE_
; %bb.0:
	.section	.rodata,"a",@progbits
	.p2align	6, 0x0
	.amdhsa_kernel _ZN7rocprim17ROCPRIM_400000_NS6detail17trampoline_kernelINS0_14default_configENS1_35radix_sort_onesweep_config_selectorI12hip_bfloat16NS0_10empty_typeEEEZNS1_34radix_sort_onesweep_global_offsetsIS3_Lb1EPKS5_PS6_mNS0_19identity_decomposerEEE10hipError_tT1_T2_PT3_SG_jT4_jjP12ihipStream_tbEUlT_E0_NS1_11comp_targetILNS1_3genE8ELNS1_11target_archE1030ELNS1_3gpuE2ELNS1_3repE0EEENS1_52radix_sort_onesweep_histogram_config_static_selectorELNS0_4arch9wavefront6targetE0EEEvSE_
		.amdhsa_group_segment_fixed_size 0
		.amdhsa_private_segment_fixed_size 0
		.amdhsa_kernarg_size 8
		.amdhsa_user_sgpr_count 2
		.amdhsa_user_sgpr_dispatch_ptr 0
		.amdhsa_user_sgpr_queue_ptr 0
		.amdhsa_user_sgpr_kernarg_segment_ptr 1
		.amdhsa_user_sgpr_dispatch_id 0
		.amdhsa_user_sgpr_kernarg_preload_length 0
		.amdhsa_user_sgpr_kernarg_preload_offset 0
		.amdhsa_user_sgpr_private_segment_size 0
		.amdhsa_wavefront_size32 1
		.amdhsa_uses_dynamic_stack 0
		.amdhsa_enable_private_segment 0
		.amdhsa_system_sgpr_workgroup_id_x 1
		.amdhsa_system_sgpr_workgroup_id_y 0
		.amdhsa_system_sgpr_workgroup_id_z 0
		.amdhsa_system_sgpr_workgroup_info 0
		.amdhsa_system_vgpr_workitem_id 0
		.amdhsa_next_free_vgpr 1
		.amdhsa_next_free_sgpr 1
		.amdhsa_named_barrier_count 0
		.amdhsa_reserve_vcc 0
		.amdhsa_float_round_mode_32 0
		.amdhsa_float_round_mode_16_64 0
		.amdhsa_float_denorm_mode_32 3
		.amdhsa_float_denorm_mode_16_64 3
		.amdhsa_fp16_overflow 0
		.amdhsa_memory_ordered 1
		.amdhsa_forward_progress 1
		.amdhsa_inst_pref_size 0
		.amdhsa_round_robin_scheduling 0
		.amdhsa_exception_fp_ieee_invalid_op 0
		.amdhsa_exception_fp_denorm_src 0
		.amdhsa_exception_fp_ieee_div_zero 0
		.amdhsa_exception_fp_ieee_overflow 0
		.amdhsa_exception_fp_ieee_underflow 0
		.amdhsa_exception_fp_ieee_inexact 0
		.amdhsa_exception_int_div_zero 0
	.end_amdhsa_kernel
	.section	.text._ZN7rocprim17ROCPRIM_400000_NS6detail17trampoline_kernelINS0_14default_configENS1_35radix_sort_onesweep_config_selectorI12hip_bfloat16NS0_10empty_typeEEEZNS1_34radix_sort_onesweep_global_offsetsIS3_Lb1EPKS5_PS6_mNS0_19identity_decomposerEEE10hipError_tT1_T2_PT3_SG_jT4_jjP12ihipStream_tbEUlT_E0_NS1_11comp_targetILNS1_3genE8ELNS1_11target_archE1030ELNS1_3gpuE2ELNS1_3repE0EEENS1_52radix_sort_onesweep_histogram_config_static_selectorELNS0_4arch9wavefront6targetE0EEEvSE_,"axG",@progbits,_ZN7rocprim17ROCPRIM_400000_NS6detail17trampoline_kernelINS0_14default_configENS1_35radix_sort_onesweep_config_selectorI12hip_bfloat16NS0_10empty_typeEEEZNS1_34radix_sort_onesweep_global_offsetsIS3_Lb1EPKS5_PS6_mNS0_19identity_decomposerEEE10hipError_tT1_T2_PT3_SG_jT4_jjP12ihipStream_tbEUlT_E0_NS1_11comp_targetILNS1_3genE8ELNS1_11target_archE1030ELNS1_3gpuE2ELNS1_3repE0EEENS1_52radix_sort_onesweep_histogram_config_static_selectorELNS0_4arch9wavefront6targetE0EEEvSE_,comdat
.Lfunc_end1955:
	.size	_ZN7rocprim17ROCPRIM_400000_NS6detail17trampoline_kernelINS0_14default_configENS1_35radix_sort_onesweep_config_selectorI12hip_bfloat16NS0_10empty_typeEEEZNS1_34radix_sort_onesweep_global_offsetsIS3_Lb1EPKS5_PS6_mNS0_19identity_decomposerEEE10hipError_tT1_T2_PT3_SG_jT4_jjP12ihipStream_tbEUlT_E0_NS1_11comp_targetILNS1_3genE8ELNS1_11target_archE1030ELNS1_3gpuE2ELNS1_3repE0EEENS1_52radix_sort_onesweep_histogram_config_static_selectorELNS0_4arch9wavefront6targetE0EEEvSE_, .Lfunc_end1955-_ZN7rocprim17ROCPRIM_400000_NS6detail17trampoline_kernelINS0_14default_configENS1_35radix_sort_onesweep_config_selectorI12hip_bfloat16NS0_10empty_typeEEEZNS1_34radix_sort_onesweep_global_offsetsIS3_Lb1EPKS5_PS6_mNS0_19identity_decomposerEEE10hipError_tT1_T2_PT3_SG_jT4_jjP12ihipStream_tbEUlT_E0_NS1_11comp_targetILNS1_3genE8ELNS1_11target_archE1030ELNS1_3gpuE2ELNS1_3repE0EEENS1_52radix_sort_onesweep_histogram_config_static_selectorELNS0_4arch9wavefront6targetE0EEEvSE_
                                        ; -- End function
	.set _ZN7rocprim17ROCPRIM_400000_NS6detail17trampoline_kernelINS0_14default_configENS1_35radix_sort_onesweep_config_selectorI12hip_bfloat16NS0_10empty_typeEEEZNS1_34radix_sort_onesweep_global_offsetsIS3_Lb1EPKS5_PS6_mNS0_19identity_decomposerEEE10hipError_tT1_T2_PT3_SG_jT4_jjP12ihipStream_tbEUlT_E0_NS1_11comp_targetILNS1_3genE8ELNS1_11target_archE1030ELNS1_3gpuE2ELNS1_3repE0EEENS1_52radix_sort_onesweep_histogram_config_static_selectorELNS0_4arch9wavefront6targetE0EEEvSE_.num_vgpr, 0
	.set _ZN7rocprim17ROCPRIM_400000_NS6detail17trampoline_kernelINS0_14default_configENS1_35radix_sort_onesweep_config_selectorI12hip_bfloat16NS0_10empty_typeEEEZNS1_34radix_sort_onesweep_global_offsetsIS3_Lb1EPKS5_PS6_mNS0_19identity_decomposerEEE10hipError_tT1_T2_PT3_SG_jT4_jjP12ihipStream_tbEUlT_E0_NS1_11comp_targetILNS1_3genE8ELNS1_11target_archE1030ELNS1_3gpuE2ELNS1_3repE0EEENS1_52radix_sort_onesweep_histogram_config_static_selectorELNS0_4arch9wavefront6targetE0EEEvSE_.num_agpr, 0
	.set _ZN7rocprim17ROCPRIM_400000_NS6detail17trampoline_kernelINS0_14default_configENS1_35radix_sort_onesweep_config_selectorI12hip_bfloat16NS0_10empty_typeEEEZNS1_34radix_sort_onesweep_global_offsetsIS3_Lb1EPKS5_PS6_mNS0_19identity_decomposerEEE10hipError_tT1_T2_PT3_SG_jT4_jjP12ihipStream_tbEUlT_E0_NS1_11comp_targetILNS1_3genE8ELNS1_11target_archE1030ELNS1_3gpuE2ELNS1_3repE0EEENS1_52radix_sort_onesweep_histogram_config_static_selectorELNS0_4arch9wavefront6targetE0EEEvSE_.numbered_sgpr, 0
	.set _ZN7rocprim17ROCPRIM_400000_NS6detail17trampoline_kernelINS0_14default_configENS1_35radix_sort_onesweep_config_selectorI12hip_bfloat16NS0_10empty_typeEEEZNS1_34radix_sort_onesweep_global_offsetsIS3_Lb1EPKS5_PS6_mNS0_19identity_decomposerEEE10hipError_tT1_T2_PT3_SG_jT4_jjP12ihipStream_tbEUlT_E0_NS1_11comp_targetILNS1_3genE8ELNS1_11target_archE1030ELNS1_3gpuE2ELNS1_3repE0EEENS1_52radix_sort_onesweep_histogram_config_static_selectorELNS0_4arch9wavefront6targetE0EEEvSE_.num_named_barrier, 0
	.set _ZN7rocprim17ROCPRIM_400000_NS6detail17trampoline_kernelINS0_14default_configENS1_35radix_sort_onesweep_config_selectorI12hip_bfloat16NS0_10empty_typeEEEZNS1_34radix_sort_onesweep_global_offsetsIS3_Lb1EPKS5_PS6_mNS0_19identity_decomposerEEE10hipError_tT1_T2_PT3_SG_jT4_jjP12ihipStream_tbEUlT_E0_NS1_11comp_targetILNS1_3genE8ELNS1_11target_archE1030ELNS1_3gpuE2ELNS1_3repE0EEENS1_52radix_sort_onesweep_histogram_config_static_selectorELNS0_4arch9wavefront6targetE0EEEvSE_.private_seg_size, 0
	.set _ZN7rocprim17ROCPRIM_400000_NS6detail17trampoline_kernelINS0_14default_configENS1_35radix_sort_onesweep_config_selectorI12hip_bfloat16NS0_10empty_typeEEEZNS1_34radix_sort_onesweep_global_offsetsIS3_Lb1EPKS5_PS6_mNS0_19identity_decomposerEEE10hipError_tT1_T2_PT3_SG_jT4_jjP12ihipStream_tbEUlT_E0_NS1_11comp_targetILNS1_3genE8ELNS1_11target_archE1030ELNS1_3gpuE2ELNS1_3repE0EEENS1_52radix_sort_onesweep_histogram_config_static_selectorELNS0_4arch9wavefront6targetE0EEEvSE_.uses_vcc, 0
	.set _ZN7rocprim17ROCPRIM_400000_NS6detail17trampoline_kernelINS0_14default_configENS1_35radix_sort_onesweep_config_selectorI12hip_bfloat16NS0_10empty_typeEEEZNS1_34radix_sort_onesweep_global_offsetsIS3_Lb1EPKS5_PS6_mNS0_19identity_decomposerEEE10hipError_tT1_T2_PT3_SG_jT4_jjP12ihipStream_tbEUlT_E0_NS1_11comp_targetILNS1_3genE8ELNS1_11target_archE1030ELNS1_3gpuE2ELNS1_3repE0EEENS1_52radix_sort_onesweep_histogram_config_static_selectorELNS0_4arch9wavefront6targetE0EEEvSE_.uses_flat_scratch, 0
	.set _ZN7rocprim17ROCPRIM_400000_NS6detail17trampoline_kernelINS0_14default_configENS1_35radix_sort_onesweep_config_selectorI12hip_bfloat16NS0_10empty_typeEEEZNS1_34radix_sort_onesweep_global_offsetsIS3_Lb1EPKS5_PS6_mNS0_19identity_decomposerEEE10hipError_tT1_T2_PT3_SG_jT4_jjP12ihipStream_tbEUlT_E0_NS1_11comp_targetILNS1_3genE8ELNS1_11target_archE1030ELNS1_3gpuE2ELNS1_3repE0EEENS1_52radix_sort_onesweep_histogram_config_static_selectorELNS0_4arch9wavefront6targetE0EEEvSE_.has_dyn_sized_stack, 0
	.set _ZN7rocprim17ROCPRIM_400000_NS6detail17trampoline_kernelINS0_14default_configENS1_35radix_sort_onesweep_config_selectorI12hip_bfloat16NS0_10empty_typeEEEZNS1_34radix_sort_onesweep_global_offsetsIS3_Lb1EPKS5_PS6_mNS0_19identity_decomposerEEE10hipError_tT1_T2_PT3_SG_jT4_jjP12ihipStream_tbEUlT_E0_NS1_11comp_targetILNS1_3genE8ELNS1_11target_archE1030ELNS1_3gpuE2ELNS1_3repE0EEENS1_52radix_sort_onesweep_histogram_config_static_selectorELNS0_4arch9wavefront6targetE0EEEvSE_.has_recursion, 0
	.set _ZN7rocprim17ROCPRIM_400000_NS6detail17trampoline_kernelINS0_14default_configENS1_35radix_sort_onesweep_config_selectorI12hip_bfloat16NS0_10empty_typeEEEZNS1_34radix_sort_onesweep_global_offsetsIS3_Lb1EPKS5_PS6_mNS0_19identity_decomposerEEE10hipError_tT1_T2_PT3_SG_jT4_jjP12ihipStream_tbEUlT_E0_NS1_11comp_targetILNS1_3genE8ELNS1_11target_archE1030ELNS1_3gpuE2ELNS1_3repE0EEENS1_52radix_sort_onesweep_histogram_config_static_selectorELNS0_4arch9wavefront6targetE0EEEvSE_.has_indirect_call, 0
	.section	.AMDGPU.csdata,"",@progbits
; Kernel info:
; codeLenInByte = 0
; TotalNumSgprs: 0
; NumVgprs: 0
; ScratchSize: 0
; MemoryBound: 0
; FloatMode: 240
; IeeeMode: 1
; LDSByteSize: 0 bytes/workgroup (compile time only)
; SGPRBlocks: 0
; VGPRBlocks: 0
; NumSGPRsForWavesPerEU: 1
; NumVGPRsForWavesPerEU: 1
; NamedBarCnt: 0
; Occupancy: 16
; WaveLimiterHint : 0
; COMPUTE_PGM_RSRC2:SCRATCH_EN: 0
; COMPUTE_PGM_RSRC2:USER_SGPR: 2
; COMPUTE_PGM_RSRC2:TRAP_HANDLER: 0
; COMPUTE_PGM_RSRC2:TGID_X_EN: 1
; COMPUTE_PGM_RSRC2:TGID_Y_EN: 0
; COMPUTE_PGM_RSRC2:TGID_Z_EN: 0
; COMPUTE_PGM_RSRC2:TIDIG_COMP_CNT: 0
	.section	.text._ZN7rocprim17ROCPRIM_400000_NS6detail17trampoline_kernelINS0_14default_configENS1_25transform_config_selectorI12hip_bfloat16Lb1EEEZNS1_14transform_implILb1ES3_S6_PKS5_PS5_NS0_8identityIS5_EEEE10hipError_tT2_T3_mT4_P12ihipStream_tbEUlT_E_NS1_11comp_targetILNS1_3genE0ELNS1_11target_archE4294967295ELNS1_3gpuE0ELNS1_3repE0EEENS1_30default_config_static_selectorELNS0_4arch9wavefront6targetE0EEEvT1_,"axG",@progbits,_ZN7rocprim17ROCPRIM_400000_NS6detail17trampoline_kernelINS0_14default_configENS1_25transform_config_selectorI12hip_bfloat16Lb1EEEZNS1_14transform_implILb1ES3_S6_PKS5_PS5_NS0_8identityIS5_EEEE10hipError_tT2_T3_mT4_P12ihipStream_tbEUlT_E_NS1_11comp_targetILNS1_3genE0ELNS1_11target_archE4294967295ELNS1_3gpuE0ELNS1_3repE0EEENS1_30default_config_static_selectorELNS0_4arch9wavefront6targetE0EEEvT1_,comdat
	.protected	_ZN7rocprim17ROCPRIM_400000_NS6detail17trampoline_kernelINS0_14default_configENS1_25transform_config_selectorI12hip_bfloat16Lb1EEEZNS1_14transform_implILb1ES3_S6_PKS5_PS5_NS0_8identityIS5_EEEE10hipError_tT2_T3_mT4_P12ihipStream_tbEUlT_E_NS1_11comp_targetILNS1_3genE0ELNS1_11target_archE4294967295ELNS1_3gpuE0ELNS1_3repE0EEENS1_30default_config_static_selectorELNS0_4arch9wavefront6targetE0EEEvT1_ ; -- Begin function _ZN7rocprim17ROCPRIM_400000_NS6detail17trampoline_kernelINS0_14default_configENS1_25transform_config_selectorI12hip_bfloat16Lb1EEEZNS1_14transform_implILb1ES3_S6_PKS5_PS5_NS0_8identityIS5_EEEE10hipError_tT2_T3_mT4_P12ihipStream_tbEUlT_E_NS1_11comp_targetILNS1_3genE0ELNS1_11target_archE4294967295ELNS1_3gpuE0ELNS1_3repE0EEENS1_30default_config_static_selectorELNS0_4arch9wavefront6targetE0EEEvT1_
	.globl	_ZN7rocprim17ROCPRIM_400000_NS6detail17trampoline_kernelINS0_14default_configENS1_25transform_config_selectorI12hip_bfloat16Lb1EEEZNS1_14transform_implILb1ES3_S6_PKS5_PS5_NS0_8identityIS5_EEEE10hipError_tT2_T3_mT4_P12ihipStream_tbEUlT_E_NS1_11comp_targetILNS1_3genE0ELNS1_11target_archE4294967295ELNS1_3gpuE0ELNS1_3repE0EEENS1_30default_config_static_selectorELNS0_4arch9wavefront6targetE0EEEvT1_
	.p2align	8
	.type	_ZN7rocprim17ROCPRIM_400000_NS6detail17trampoline_kernelINS0_14default_configENS1_25transform_config_selectorI12hip_bfloat16Lb1EEEZNS1_14transform_implILb1ES3_S6_PKS5_PS5_NS0_8identityIS5_EEEE10hipError_tT2_T3_mT4_P12ihipStream_tbEUlT_E_NS1_11comp_targetILNS1_3genE0ELNS1_11target_archE4294967295ELNS1_3gpuE0ELNS1_3repE0EEENS1_30default_config_static_selectorELNS0_4arch9wavefront6targetE0EEEvT1_,@function
_ZN7rocprim17ROCPRIM_400000_NS6detail17trampoline_kernelINS0_14default_configENS1_25transform_config_selectorI12hip_bfloat16Lb1EEEZNS1_14transform_implILb1ES3_S6_PKS5_PS5_NS0_8identityIS5_EEEE10hipError_tT2_T3_mT4_P12ihipStream_tbEUlT_E_NS1_11comp_targetILNS1_3genE0ELNS1_11target_archE4294967295ELNS1_3gpuE0ELNS1_3repE0EEENS1_30default_config_static_selectorELNS0_4arch9wavefront6targetE0EEEvT1_: ; @_ZN7rocprim17ROCPRIM_400000_NS6detail17trampoline_kernelINS0_14default_configENS1_25transform_config_selectorI12hip_bfloat16Lb1EEEZNS1_14transform_implILb1ES3_S6_PKS5_PS5_NS0_8identityIS5_EEEE10hipError_tT2_T3_mT4_P12ihipStream_tbEUlT_E_NS1_11comp_targetILNS1_3genE0ELNS1_11target_archE4294967295ELNS1_3gpuE0ELNS1_3repE0EEENS1_30default_config_static_selectorELNS0_4arch9wavefront6targetE0EEEvT1_
; %bb.0:
	s_load_b256 s[4:11], s[0:1], 0x0
	s_wait_kmcnt 0x0
	s_load_b32 s9, s[0:1], 0x28
                                        ; kill: killed $sgpr0_sgpr1
	s_wait_xcnt 0x0
	s_bfe_u32 s0, ttmp6, 0x4000c
	s_and_b32 s2, ttmp6, 15
	s_add_co_i32 s0, s0, 1
	s_getreg_b32 s12, hwreg(HW_REG_IB_STS2, 6, 4)
	s_mul_i32 s0, ttmp9, s0
	s_mov_b32 s1, 0
	s_add_co_i32 s0, s2, s0
	s_lshl_b64 s[2:3], s[6:7], 1
	s_cmp_eq_u32 s12, 0
	s_add_nc_u64 s[12:13], s[4:5], s[2:3]
	s_cselect_b32 s14, ttmp9, s0
	s_wait_kmcnt 0x0
	s_add_co_i32 s9, s9, -1
	s_lshl_b32 s0, s14, 9
	s_add_nc_u64 s[4:5], s[10:11], s[2:3]
	s_lshl_b64 s[6:7], s[0:1], 1
	s_mov_b32 s2, -1
	s_cmp_lg_u32 s14, s9
	s_add_nc_u64 s[10:11], s[12:13], s[6:7]
	s_cbranch_scc0 .LBB1956_2
; %bb.1:
	global_load_b64 v[2:3], v0, s[10:11] scale_offset th:TH_LOAD_NT
	s_add_nc_u64 s[12:13], s[4:5], s[6:7]
	s_mov_b32 s2, 0
	s_wait_loadcnt 0x0
	global_store_b64 v0, v[2:3], s[12:13] scale_offset
.LBB1956_2:
	s_and_not1_b32 vcc_lo, exec_lo, s2
	s_cbranch_vccnz .LBB1956_16
; %bb.3:
	s_sub_co_i32 s3, s8, s0
                                        ; implicit-def: $vgpr2
	s_delay_alu instid0(SALU_CYCLE_1)
	v_cmp_gt_u32_e32 vcc_lo, s3, v0
	s_wait_xcnt 0x0
	s_and_saveexec_b32 s0, vcc_lo
	s_cbranch_execz .LBB1956_5
; %bb.4:
	global_load_u16 v2, v0, s[10:11] scale_offset
.LBB1956_5:
	s_wait_xcnt 0x0
	s_or_b32 exec_lo, exec_lo, s0
	v_or_b32_e32 v1, 0x80, v0
                                        ; implicit-def: $vgpr3
	s_delay_alu instid0(VALU_DEP_1)
	v_cmp_gt_u32_e64 s0, s3, v1
	s_and_saveexec_b32 s1, s0
	s_cbranch_execz .LBB1956_7
; %bb.6:
	global_load_u16 v3, v0, s[10:11] offset:256 scale_offset
.LBB1956_7:
	s_wait_xcnt 0x0
	s_or_b32 exec_lo, exec_lo, s1
	v_or_b32_e32 v1, 0x100, v0
                                        ; implicit-def: $vgpr4
	s_delay_alu instid0(VALU_DEP_1)
	v_cmp_gt_u32_e64 s1, s3, v1
	s_and_saveexec_b32 s2, s1
	s_cbranch_execz .LBB1956_9
; %bb.8:
	global_load_u16 v4, v0, s[10:11] offset:512 scale_offset
.LBB1956_9:
	s_wait_xcnt 0x0
	s_or_b32 exec_lo, exec_lo, s2
	v_or_b32_e32 v1, 0x180, v0
	s_delay_alu instid0(VALU_DEP_1) | instskip(SKIP_2) | instid1(SALU_CYCLE_1)
	v_cmp_gt_u32_e64 s2, s3, v1
	v_cmp_le_u32_e64 s3, s3, v1
	s_and_saveexec_b32 s8, s3
	s_xor_b32 s3, exec_lo, s8
	s_delay_alu instid0(SALU_CYCLE_1) | instskip(NEXT) | instid1(SALU_CYCLE_1)
	s_or_saveexec_b32 s3, s3
                                        ; implicit-def: $vgpr5
	s_xor_b32 exec_lo, exec_lo, s3
	s_cbranch_execz .LBB1956_11
; %bb.10:
	global_load_u16 v5, v0, s[10:11] offset:768 scale_offset
.LBB1956_11:
	s_wait_xcnt 0x0
	s_or_b32 exec_lo, exec_lo, s3
	v_dual_mov_b32 v1, 0 :: v_dual_lshlrev_b32 v0, 1, v0
	s_add_nc_u64 s[4:5], s[4:5], s[6:7]
	s_delay_alu instid0(VALU_DEP_1) | instid1(SALU_CYCLE_1)
	v_add_nc_u64_e32 v[0:1], s[4:5], v[0:1]
	s_and_saveexec_b32 s3, vcc_lo
	s_cbranch_execnz .LBB1956_17
; %bb.12:
	s_or_b32 exec_lo, exec_lo, s3
	s_and_saveexec_b32 s3, s0
	s_cbranch_execnz .LBB1956_18
.LBB1956_13:
	s_or_b32 exec_lo, exec_lo, s3
	s_and_saveexec_b32 s0, s1
	s_cbranch_execnz .LBB1956_19
.LBB1956_14:
	s_or_b32 exec_lo, exec_lo, s0
	s_and_saveexec_b32 s0, s2
	s_cbranch_execz .LBB1956_16
.LBB1956_15:
	s_wait_loadcnt 0x0
	global_store_b16 v[0:1], v5, off offset:768
.LBB1956_16:
	s_endpgm
.LBB1956_17:
	s_wait_loadcnt 0x0
	global_store_b16 v[0:1], v2, off
	s_wait_xcnt 0x0
	s_or_b32 exec_lo, exec_lo, s3
	s_and_saveexec_b32 s3, s0
	s_cbranch_execz .LBB1956_13
.LBB1956_18:
	s_wait_loadcnt 0x0
	global_store_b16 v[0:1], v3, off offset:256
	s_wait_xcnt 0x0
	s_or_b32 exec_lo, exec_lo, s3
	s_and_saveexec_b32 s0, s1
	s_cbranch_execz .LBB1956_14
.LBB1956_19:
	s_wait_loadcnt 0x0
	global_store_b16 v[0:1], v4, off offset:512
	s_wait_xcnt 0x0
	s_or_b32 exec_lo, exec_lo, s0
	s_and_saveexec_b32 s0, s2
	s_cbranch_execnz .LBB1956_15
	s_branch .LBB1956_16
	.section	.rodata,"a",@progbits
	.p2align	6, 0x0
	.amdhsa_kernel _ZN7rocprim17ROCPRIM_400000_NS6detail17trampoline_kernelINS0_14default_configENS1_25transform_config_selectorI12hip_bfloat16Lb1EEEZNS1_14transform_implILb1ES3_S6_PKS5_PS5_NS0_8identityIS5_EEEE10hipError_tT2_T3_mT4_P12ihipStream_tbEUlT_E_NS1_11comp_targetILNS1_3genE0ELNS1_11target_archE4294967295ELNS1_3gpuE0ELNS1_3repE0EEENS1_30default_config_static_selectorELNS0_4arch9wavefront6targetE0EEEvT1_
		.amdhsa_group_segment_fixed_size 0
		.amdhsa_private_segment_fixed_size 0
		.amdhsa_kernarg_size 296
		.amdhsa_user_sgpr_count 2
		.amdhsa_user_sgpr_dispatch_ptr 0
		.amdhsa_user_sgpr_queue_ptr 0
		.amdhsa_user_sgpr_kernarg_segment_ptr 1
		.amdhsa_user_sgpr_dispatch_id 0
		.amdhsa_user_sgpr_kernarg_preload_length 0
		.amdhsa_user_sgpr_kernarg_preload_offset 0
		.amdhsa_user_sgpr_private_segment_size 0
		.amdhsa_wavefront_size32 1
		.amdhsa_uses_dynamic_stack 0
		.amdhsa_enable_private_segment 0
		.amdhsa_system_sgpr_workgroup_id_x 1
		.amdhsa_system_sgpr_workgroup_id_y 0
		.amdhsa_system_sgpr_workgroup_id_z 0
		.amdhsa_system_sgpr_workgroup_info 0
		.amdhsa_system_vgpr_workitem_id 0
		.amdhsa_next_free_vgpr 6
		.amdhsa_next_free_sgpr 15
		.amdhsa_named_barrier_count 0
		.amdhsa_reserve_vcc 1
		.amdhsa_float_round_mode_32 0
		.amdhsa_float_round_mode_16_64 0
		.amdhsa_float_denorm_mode_32 3
		.amdhsa_float_denorm_mode_16_64 3
		.amdhsa_fp16_overflow 0
		.amdhsa_memory_ordered 1
		.amdhsa_forward_progress 1
		.amdhsa_inst_pref_size 5
		.amdhsa_round_robin_scheduling 0
		.amdhsa_exception_fp_ieee_invalid_op 0
		.amdhsa_exception_fp_denorm_src 0
		.amdhsa_exception_fp_ieee_div_zero 0
		.amdhsa_exception_fp_ieee_overflow 0
		.amdhsa_exception_fp_ieee_underflow 0
		.amdhsa_exception_fp_ieee_inexact 0
		.amdhsa_exception_int_div_zero 0
	.end_amdhsa_kernel
	.section	.text._ZN7rocprim17ROCPRIM_400000_NS6detail17trampoline_kernelINS0_14default_configENS1_25transform_config_selectorI12hip_bfloat16Lb1EEEZNS1_14transform_implILb1ES3_S6_PKS5_PS5_NS0_8identityIS5_EEEE10hipError_tT2_T3_mT4_P12ihipStream_tbEUlT_E_NS1_11comp_targetILNS1_3genE0ELNS1_11target_archE4294967295ELNS1_3gpuE0ELNS1_3repE0EEENS1_30default_config_static_selectorELNS0_4arch9wavefront6targetE0EEEvT1_,"axG",@progbits,_ZN7rocprim17ROCPRIM_400000_NS6detail17trampoline_kernelINS0_14default_configENS1_25transform_config_selectorI12hip_bfloat16Lb1EEEZNS1_14transform_implILb1ES3_S6_PKS5_PS5_NS0_8identityIS5_EEEE10hipError_tT2_T3_mT4_P12ihipStream_tbEUlT_E_NS1_11comp_targetILNS1_3genE0ELNS1_11target_archE4294967295ELNS1_3gpuE0ELNS1_3repE0EEENS1_30default_config_static_selectorELNS0_4arch9wavefront6targetE0EEEvT1_,comdat
.Lfunc_end1956:
	.size	_ZN7rocprim17ROCPRIM_400000_NS6detail17trampoline_kernelINS0_14default_configENS1_25transform_config_selectorI12hip_bfloat16Lb1EEEZNS1_14transform_implILb1ES3_S6_PKS5_PS5_NS0_8identityIS5_EEEE10hipError_tT2_T3_mT4_P12ihipStream_tbEUlT_E_NS1_11comp_targetILNS1_3genE0ELNS1_11target_archE4294967295ELNS1_3gpuE0ELNS1_3repE0EEENS1_30default_config_static_selectorELNS0_4arch9wavefront6targetE0EEEvT1_, .Lfunc_end1956-_ZN7rocprim17ROCPRIM_400000_NS6detail17trampoline_kernelINS0_14default_configENS1_25transform_config_selectorI12hip_bfloat16Lb1EEEZNS1_14transform_implILb1ES3_S6_PKS5_PS5_NS0_8identityIS5_EEEE10hipError_tT2_T3_mT4_P12ihipStream_tbEUlT_E_NS1_11comp_targetILNS1_3genE0ELNS1_11target_archE4294967295ELNS1_3gpuE0ELNS1_3repE0EEENS1_30default_config_static_selectorELNS0_4arch9wavefront6targetE0EEEvT1_
                                        ; -- End function
	.set _ZN7rocprim17ROCPRIM_400000_NS6detail17trampoline_kernelINS0_14default_configENS1_25transform_config_selectorI12hip_bfloat16Lb1EEEZNS1_14transform_implILb1ES3_S6_PKS5_PS5_NS0_8identityIS5_EEEE10hipError_tT2_T3_mT4_P12ihipStream_tbEUlT_E_NS1_11comp_targetILNS1_3genE0ELNS1_11target_archE4294967295ELNS1_3gpuE0ELNS1_3repE0EEENS1_30default_config_static_selectorELNS0_4arch9wavefront6targetE0EEEvT1_.num_vgpr, 6
	.set _ZN7rocprim17ROCPRIM_400000_NS6detail17trampoline_kernelINS0_14default_configENS1_25transform_config_selectorI12hip_bfloat16Lb1EEEZNS1_14transform_implILb1ES3_S6_PKS5_PS5_NS0_8identityIS5_EEEE10hipError_tT2_T3_mT4_P12ihipStream_tbEUlT_E_NS1_11comp_targetILNS1_3genE0ELNS1_11target_archE4294967295ELNS1_3gpuE0ELNS1_3repE0EEENS1_30default_config_static_selectorELNS0_4arch9wavefront6targetE0EEEvT1_.num_agpr, 0
	.set _ZN7rocprim17ROCPRIM_400000_NS6detail17trampoline_kernelINS0_14default_configENS1_25transform_config_selectorI12hip_bfloat16Lb1EEEZNS1_14transform_implILb1ES3_S6_PKS5_PS5_NS0_8identityIS5_EEEE10hipError_tT2_T3_mT4_P12ihipStream_tbEUlT_E_NS1_11comp_targetILNS1_3genE0ELNS1_11target_archE4294967295ELNS1_3gpuE0ELNS1_3repE0EEENS1_30default_config_static_selectorELNS0_4arch9wavefront6targetE0EEEvT1_.numbered_sgpr, 15
	.set _ZN7rocprim17ROCPRIM_400000_NS6detail17trampoline_kernelINS0_14default_configENS1_25transform_config_selectorI12hip_bfloat16Lb1EEEZNS1_14transform_implILb1ES3_S6_PKS5_PS5_NS0_8identityIS5_EEEE10hipError_tT2_T3_mT4_P12ihipStream_tbEUlT_E_NS1_11comp_targetILNS1_3genE0ELNS1_11target_archE4294967295ELNS1_3gpuE0ELNS1_3repE0EEENS1_30default_config_static_selectorELNS0_4arch9wavefront6targetE0EEEvT1_.num_named_barrier, 0
	.set _ZN7rocprim17ROCPRIM_400000_NS6detail17trampoline_kernelINS0_14default_configENS1_25transform_config_selectorI12hip_bfloat16Lb1EEEZNS1_14transform_implILb1ES3_S6_PKS5_PS5_NS0_8identityIS5_EEEE10hipError_tT2_T3_mT4_P12ihipStream_tbEUlT_E_NS1_11comp_targetILNS1_3genE0ELNS1_11target_archE4294967295ELNS1_3gpuE0ELNS1_3repE0EEENS1_30default_config_static_selectorELNS0_4arch9wavefront6targetE0EEEvT1_.private_seg_size, 0
	.set _ZN7rocprim17ROCPRIM_400000_NS6detail17trampoline_kernelINS0_14default_configENS1_25transform_config_selectorI12hip_bfloat16Lb1EEEZNS1_14transform_implILb1ES3_S6_PKS5_PS5_NS0_8identityIS5_EEEE10hipError_tT2_T3_mT4_P12ihipStream_tbEUlT_E_NS1_11comp_targetILNS1_3genE0ELNS1_11target_archE4294967295ELNS1_3gpuE0ELNS1_3repE0EEENS1_30default_config_static_selectorELNS0_4arch9wavefront6targetE0EEEvT1_.uses_vcc, 1
	.set _ZN7rocprim17ROCPRIM_400000_NS6detail17trampoline_kernelINS0_14default_configENS1_25transform_config_selectorI12hip_bfloat16Lb1EEEZNS1_14transform_implILb1ES3_S6_PKS5_PS5_NS0_8identityIS5_EEEE10hipError_tT2_T3_mT4_P12ihipStream_tbEUlT_E_NS1_11comp_targetILNS1_3genE0ELNS1_11target_archE4294967295ELNS1_3gpuE0ELNS1_3repE0EEENS1_30default_config_static_selectorELNS0_4arch9wavefront6targetE0EEEvT1_.uses_flat_scratch, 0
	.set _ZN7rocprim17ROCPRIM_400000_NS6detail17trampoline_kernelINS0_14default_configENS1_25transform_config_selectorI12hip_bfloat16Lb1EEEZNS1_14transform_implILb1ES3_S6_PKS5_PS5_NS0_8identityIS5_EEEE10hipError_tT2_T3_mT4_P12ihipStream_tbEUlT_E_NS1_11comp_targetILNS1_3genE0ELNS1_11target_archE4294967295ELNS1_3gpuE0ELNS1_3repE0EEENS1_30default_config_static_selectorELNS0_4arch9wavefront6targetE0EEEvT1_.has_dyn_sized_stack, 0
	.set _ZN7rocprim17ROCPRIM_400000_NS6detail17trampoline_kernelINS0_14default_configENS1_25transform_config_selectorI12hip_bfloat16Lb1EEEZNS1_14transform_implILb1ES3_S6_PKS5_PS5_NS0_8identityIS5_EEEE10hipError_tT2_T3_mT4_P12ihipStream_tbEUlT_E_NS1_11comp_targetILNS1_3genE0ELNS1_11target_archE4294967295ELNS1_3gpuE0ELNS1_3repE0EEENS1_30default_config_static_selectorELNS0_4arch9wavefront6targetE0EEEvT1_.has_recursion, 0
	.set _ZN7rocprim17ROCPRIM_400000_NS6detail17trampoline_kernelINS0_14default_configENS1_25transform_config_selectorI12hip_bfloat16Lb1EEEZNS1_14transform_implILb1ES3_S6_PKS5_PS5_NS0_8identityIS5_EEEE10hipError_tT2_T3_mT4_P12ihipStream_tbEUlT_E_NS1_11comp_targetILNS1_3genE0ELNS1_11target_archE4294967295ELNS1_3gpuE0ELNS1_3repE0EEENS1_30default_config_static_selectorELNS0_4arch9wavefront6targetE0EEEvT1_.has_indirect_call, 0
	.section	.AMDGPU.csdata,"",@progbits
; Kernel info:
; codeLenInByte = 548
; TotalNumSgprs: 17
; NumVgprs: 6
; ScratchSize: 0
; MemoryBound: 0
; FloatMode: 240
; IeeeMode: 1
; LDSByteSize: 0 bytes/workgroup (compile time only)
; SGPRBlocks: 0
; VGPRBlocks: 0
; NumSGPRsForWavesPerEU: 17
; NumVGPRsForWavesPerEU: 6
; NamedBarCnt: 0
; Occupancy: 16
; WaveLimiterHint : 0
; COMPUTE_PGM_RSRC2:SCRATCH_EN: 0
; COMPUTE_PGM_RSRC2:USER_SGPR: 2
; COMPUTE_PGM_RSRC2:TRAP_HANDLER: 0
; COMPUTE_PGM_RSRC2:TGID_X_EN: 1
; COMPUTE_PGM_RSRC2:TGID_Y_EN: 0
; COMPUTE_PGM_RSRC2:TGID_Z_EN: 0
; COMPUTE_PGM_RSRC2:TIDIG_COMP_CNT: 0
	.section	.text._ZN7rocprim17ROCPRIM_400000_NS6detail17trampoline_kernelINS0_14default_configENS1_25transform_config_selectorI12hip_bfloat16Lb1EEEZNS1_14transform_implILb1ES3_S6_PKS5_PS5_NS0_8identityIS5_EEEE10hipError_tT2_T3_mT4_P12ihipStream_tbEUlT_E_NS1_11comp_targetILNS1_3genE10ELNS1_11target_archE1201ELNS1_3gpuE5ELNS1_3repE0EEENS1_30default_config_static_selectorELNS0_4arch9wavefront6targetE0EEEvT1_,"axG",@progbits,_ZN7rocprim17ROCPRIM_400000_NS6detail17trampoline_kernelINS0_14default_configENS1_25transform_config_selectorI12hip_bfloat16Lb1EEEZNS1_14transform_implILb1ES3_S6_PKS5_PS5_NS0_8identityIS5_EEEE10hipError_tT2_T3_mT4_P12ihipStream_tbEUlT_E_NS1_11comp_targetILNS1_3genE10ELNS1_11target_archE1201ELNS1_3gpuE5ELNS1_3repE0EEENS1_30default_config_static_selectorELNS0_4arch9wavefront6targetE0EEEvT1_,comdat
	.protected	_ZN7rocprim17ROCPRIM_400000_NS6detail17trampoline_kernelINS0_14default_configENS1_25transform_config_selectorI12hip_bfloat16Lb1EEEZNS1_14transform_implILb1ES3_S6_PKS5_PS5_NS0_8identityIS5_EEEE10hipError_tT2_T3_mT4_P12ihipStream_tbEUlT_E_NS1_11comp_targetILNS1_3genE10ELNS1_11target_archE1201ELNS1_3gpuE5ELNS1_3repE0EEENS1_30default_config_static_selectorELNS0_4arch9wavefront6targetE0EEEvT1_ ; -- Begin function _ZN7rocprim17ROCPRIM_400000_NS6detail17trampoline_kernelINS0_14default_configENS1_25transform_config_selectorI12hip_bfloat16Lb1EEEZNS1_14transform_implILb1ES3_S6_PKS5_PS5_NS0_8identityIS5_EEEE10hipError_tT2_T3_mT4_P12ihipStream_tbEUlT_E_NS1_11comp_targetILNS1_3genE10ELNS1_11target_archE1201ELNS1_3gpuE5ELNS1_3repE0EEENS1_30default_config_static_selectorELNS0_4arch9wavefront6targetE0EEEvT1_
	.globl	_ZN7rocprim17ROCPRIM_400000_NS6detail17trampoline_kernelINS0_14default_configENS1_25transform_config_selectorI12hip_bfloat16Lb1EEEZNS1_14transform_implILb1ES3_S6_PKS5_PS5_NS0_8identityIS5_EEEE10hipError_tT2_T3_mT4_P12ihipStream_tbEUlT_E_NS1_11comp_targetILNS1_3genE10ELNS1_11target_archE1201ELNS1_3gpuE5ELNS1_3repE0EEENS1_30default_config_static_selectorELNS0_4arch9wavefront6targetE0EEEvT1_
	.p2align	8
	.type	_ZN7rocprim17ROCPRIM_400000_NS6detail17trampoline_kernelINS0_14default_configENS1_25transform_config_selectorI12hip_bfloat16Lb1EEEZNS1_14transform_implILb1ES3_S6_PKS5_PS5_NS0_8identityIS5_EEEE10hipError_tT2_T3_mT4_P12ihipStream_tbEUlT_E_NS1_11comp_targetILNS1_3genE10ELNS1_11target_archE1201ELNS1_3gpuE5ELNS1_3repE0EEENS1_30default_config_static_selectorELNS0_4arch9wavefront6targetE0EEEvT1_,@function
_ZN7rocprim17ROCPRIM_400000_NS6detail17trampoline_kernelINS0_14default_configENS1_25transform_config_selectorI12hip_bfloat16Lb1EEEZNS1_14transform_implILb1ES3_S6_PKS5_PS5_NS0_8identityIS5_EEEE10hipError_tT2_T3_mT4_P12ihipStream_tbEUlT_E_NS1_11comp_targetILNS1_3genE10ELNS1_11target_archE1201ELNS1_3gpuE5ELNS1_3repE0EEENS1_30default_config_static_selectorELNS0_4arch9wavefront6targetE0EEEvT1_: ; @_ZN7rocprim17ROCPRIM_400000_NS6detail17trampoline_kernelINS0_14default_configENS1_25transform_config_selectorI12hip_bfloat16Lb1EEEZNS1_14transform_implILb1ES3_S6_PKS5_PS5_NS0_8identityIS5_EEEE10hipError_tT2_T3_mT4_P12ihipStream_tbEUlT_E_NS1_11comp_targetILNS1_3genE10ELNS1_11target_archE1201ELNS1_3gpuE5ELNS1_3repE0EEENS1_30default_config_static_selectorELNS0_4arch9wavefront6targetE0EEEvT1_
; %bb.0:
	.section	.rodata,"a",@progbits
	.p2align	6, 0x0
	.amdhsa_kernel _ZN7rocprim17ROCPRIM_400000_NS6detail17trampoline_kernelINS0_14default_configENS1_25transform_config_selectorI12hip_bfloat16Lb1EEEZNS1_14transform_implILb1ES3_S6_PKS5_PS5_NS0_8identityIS5_EEEE10hipError_tT2_T3_mT4_P12ihipStream_tbEUlT_E_NS1_11comp_targetILNS1_3genE10ELNS1_11target_archE1201ELNS1_3gpuE5ELNS1_3repE0EEENS1_30default_config_static_selectorELNS0_4arch9wavefront6targetE0EEEvT1_
		.amdhsa_group_segment_fixed_size 0
		.amdhsa_private_segment_fixed_size 0
		.amdhsa_kernarg_size 40
		.amdhsa_user_sgpr_count 2
		.amdhsa_user_sgpr_dispatch_ptr 0
		.amdhsa_user_sgpr_queue_ptr 0
		.amdhsa_user_sgpr_kernarg_segment_ptr 1
		.amdhsa_user_sgpr_dispatch_id 0
		.amdhsa_user_sgpr_kernarg_preload_length 0
		.amdhsa_user_sgpr_kernarg_preload_offset 0
		.amdhsa_user_sgpr_private_segment_size 0
		.amdhsa_wavefront_size32 1
		.amdhsa_uses_dynamic_stack 0
		.amdhsa_enable_private_segment 0
		.amdhsa_system_sgpr_workgroup_id_x 1
		.amdhsa_system_sgpr_workgroup_id_y 0
		.amdhsa_system_sgpr_workgroup_id_z 0
		.amdhsa_system_sgpr_workgroup_info 0
		.amdhsa_system_vgpr_workitem_id 0
		.amdhsa_next_free_vgpr 1
		.amdhsa_next_free_sgpr 1
		.amdhsa_named_barrier_count 0
		.amdhsa_reserve_vcc 0
		.amdhsa_float_round_mode_32 0
		.amdhsa_float_round_mode_16_64 0
		.amdhsa_float_denorm_mode_32 3
		.amdhsa_float_denorm_mode_16_64 3
		.amdhsa_fp16_overflow 0
		.amdhsa_memory_ordered 1
		.amdhsa_forward_progress 1
		.amdhsa_inst_pref_size 0
		.amdhsa_round_robin_scheduling 0
		.amdhsa_exception_fp_ieee_invalid_op 0
		.amdhsa_exception_fp_denorm_src 0
		.amdhsa_exception_fp_ieee_div_zero 0
		.amdhsa_exception_fp_ieee_overflow 0
		.amdhsa_exception_fp_ieee_underflow 0
		.amdhsa_exception_fp_ieee_inexact 0
		.amdhsa_exception_int_div_zero 0
	.end_amdhsa_kernel
	.section	.text._ZN7rocprim17ROCPRIM_400000_NS6detail17trampoline_kernelINS0_14default_configENS1_25transform_config_selectorI12hip_bfloat16Lb1EEEZNS1_14transform_implILb1ES3_S6_PKS5_PS5_NS0_8identityIS5_EEEE10hipError_tT2_T3_mT4_P12ihipStream_tbEUlT_E_NS1_11comp_targetILNS1_3genE10ELNS1_11target_archE1201ELNS1_3gpuE5ELNS1_3repE0EEENS1_30default_config_static_selectorELNS0_4arch9wavefront6targetE0EEEvT1_,"axG",@progbits,_ZN7rocprim17ROCPRIM_400000_NS6detail17trampoline_kernelINS0_14default_configENS1_25transform_config_selectorI12hip_bfloat16Lb1EEEZNS1_14transform_implILb1ES3_S6_PKS5_PS5_NS0_8identityIS5_EEEE10hipError_tT2_T3_mT4_P12ihipStream_tbEUlT_E_NS1_11comp_targetILNS1_3genE10ELNS1_11target_archE1201ELNS1_3gpuE5ELNS1_3repE0EEENS1_30default_config_static_selectorELNS0_4arch9wavefront6targetE0EEEvT1_,comdat
.Lfunc_end1957:
	.size	_ZN7rocprim17ROCPRIM_400000_NS6detail17trampoline_kernelINS0_14default_configENS1_25transform_config_selectorI12hip_bfloat16Lb1EEEZNS1_14transform_implILb1ES3_S6_PKS5_PS5_NS0_8identityIS5_EEEE10hipError_tT2_T3_mT4_P12ihipStream_tbEUlT_E_NS1_11comp_targetILNS1_3genE10ELNS1_11target_archE1201ELNS1_3gpuE5ELNS1_3repE0EEENS1_30default_config_static_selectorELNS0_4arch9wavefront6targetE0EEEvT1_, .Lfunc_end1957-_ZN7rocprim17ROCPRIM_400000_NS6detail17trampoline_kernelINS0_14default_configENS1_25transform_config_selectorI12hip_bfloat16Lb1EEEZNS1_14transform_implILb1ES3_S6_PKS5_PS5_NS0_8identityIS5_EEEE10hipError_tT2_T3_mT4_P12ihipStream_tbEUlT_E_NS1_11comp_targetILNS1_3genE10ELNS1_11target_archE1201ELNS1_3gpuE5ELNS1_3repE0EEENS1_30default_config_static_selectorELNS0_4arch9wavefront6targetE0EEEvT1_
                                        ; -- End function
	.set _ZN7rocprim17ROCPRIM_400000_NS6detail17trampoline_kernelINS0_14default_configENS1_25transform_config_selectorI12hip_bfloat16Lb1EEEZNS1_14transform_implILb1ES3_S6_PKS5_PS5_NS0_8identityIS5_EEEE10hipError_tT2_T3_mT4_P12ihipStream_tbEUlT_E_NS1_11comp_targetILNS1_3genE10ELNS1_11target_archE1201ELNS1_3gpuE5ELNS1_3repE0EEENS1_30default_config_static_selectorELNS0_4arch9wavefront6targetE0EEEvT1_.num_vgpr, 0
	.set _ZN7rocprim17ROCPRIM_400000_NS6detail17trampoline_kernelINS0_14default_configENS1_25transform_config_selectorI12hip_bfloat16Lb1EEEZNS1_14transform_implILb1ES3_S6_PKS5_PS5_NS0_8identityIS5_EEEE10hipError_tT2_T3_mT4_P12ihipStream_tbEUlT_E_NS1_11comp_targetILNS1_3genE10ELNS1_11target_archE1201ELNS1_3gpuE5ELNS1_3repE0EEENS1_30default_config_static_selectorELNS0_4arch9wavefront6targetE0EEEvT1_.num_agpr, 0
	.set _ZN7rocprim17ROCPRIM_400000_NS6detail17trampoline_kernelINS0_14default_configENS1_25transform_config_selectorI12hip_bfloat16Lb1EEEZNS1_14transform_implILb1ES3_S6_PKS5_PS5_NS0_8identityIS5_EEEE10hipError_tT2_T3_mT4_P12ihipStream_tbEUlT_E_NS1_11comp_targetILNS1_3genE10ELNS1_11target_archE1201ELNS1_3gpuE5ELNS1_3repE0EEENS1_30default_config_static_selectorELNS0_4arch9wavefront6targetE0EEEvT1_.numbered_sgpr, 0
	.set _ZN7rocprim17ROCPRIM_400000_NS6detail17trampoline_kernelINS0_14default_configENS1_25transform_config_selectorI12hip_bfloat16Lb1EEEZNS1_14transform_implILb1ES3_S6_PKS5_PS5_NS0_8identityIS5_EEEE10hipError_tT2_T3_mT4_P12ihipStream_tbEUlT_E_NS1_11comp_targetILNS1_3genE10ELNS1_11target_archE1201ELNS1_3gpuE5ELNS1_3repE0EEENS1_30default_config_static_selectorELNS0_4arch9wavefront6targetE0EEEvT1_.num_named_barrier, 0
	.set _ZN7rocprim17ROCPRIM_400000_NS6detail17trampoline_kernelINS0_14default_configENS1_25transform_config_selectorI12hip_bfloat16Lb1EEEZNS1_14transform_implILb1ES3_S6_PKS5_PS5_NS0_8identityIS5_EEEE10hipError_tT2_T3_mT4_P12ihipStream_tbEUlT_E_NS1_11comp_targetILNS1_3genE10ELNS1_11target_archE1201ELNS1_3gpuE5ELNS1_3repE0EEENS1_30default_config_static_selectorELNS0_4arch9wavefront6targetE0EEEvT1_.private_seg_size, 0
	.set _ZN7rocprim17ROCPRIM_400000_NS6detail17trampoline_kernelINS0_14default_configENS1_25transform_config_selectorI12hip_bfloat16Lb1EEEZNS1_14transform_implILb1ES3_S6_PKS5_PS5_NS0_8identityIS5_EEEE10hipError_tT2_T3_mT4_P12ihipStream_tbEUlT_E_NS1_11comp_targetILNS1_3genE10ELNS1_11target_archE1201ELNS1_3gpuE5ELNS1_3repE0EEENS1_30default_config_static_selectorELNS0_4arch9wavefront6targetE0EEEvT1_.uses_vcc, 0
	.set _ZN7rocprim17ROCPRIM_400000_NS6detail17trampoline_kernelINS0_14default_configENS1_25transform_config_selectorI12hip_bfloat16Lb1EEEZNS1_14transform_implILb1ES3_S6_PKS5_PS5_NS0_8identityIS5_EEEE10hipError_tT2_T3_mT4_P12ihipStream_tbEUlT_E_NS1_11comp_targetILNS1_3genE10ELNS1_11target_archE1201ELNS1_3gpuE5ELNS1_3repE0EEENS1_30default_config_static_selectorELNS0_4arch9wavefront6targetE0EEEvT1_.uses_flat_scratch, 0
	.set _ZN7rocprim17ROCPRIM_400000_NS6detail17trampoline_kernelINS0_14default_configENS1_25transform_config_selectorI12hip_bfloat16Lb1EEEZNS1_14transform_implILb1ES3_S6_PKS5_PS5_NS0_8identityIS5_EEEE10hipError_tT2_T3_mT4_P12ihipStream_tbEUlT_E_NS1_11comp_targetILNS1_3genE10ELNS1_11target_archE1201ELNS1_3gpuE5ELNS1_3repE0EEENS1_30default_config_static_selectorELNS0_4arch9wavefront6targetE0EEEvT1_.has_dyn_sized_stack, 0
	.set _ZN7rocprim17ROCPRIM_400000_NS6detail17trampoline_kernelINS0_14default_configENS1_25transform_config_selectorI12hip_bfloat16Lb1EEEZNS1_14transform_implILb1ES3_S6_PKS5_PS5_NS0_8identityIS5_EEEE10hipError_tT2_T3_mT4_P12ihipStream_tbEUlT_E_NS1_11comp_targetILNS1_3genE10ELNS1_11target_archE1201ELNS1_3gpuE5ELNS1_3repE0EEENS1_30default_config_static_selectorELNS0_4arch9wavefront6targetE0EEEvT1_.has_recursion, 0
	.set _ZN7rocprim17ROCPRIM_400000_NS6detail17trampoline_kernelINS0_14default_configENS1_25transform_config_selectorI12hip_bfloat16Lb1EEEZNS1_14transform_implILb1ES3_S6_PKS5_PS5_NS0_8identityIS5_EEEE10hipError_tT2_T3_mT4_P12ihipStream_tbEUlT_E_NS1_11comp_targetILNS1_3genE10ELNS1_11target_archE1201ELNS1_3gpuE5ELNS1_3repE0EEENS1_30default_config_static_selectorELNS0_4arch9wavefront6targetE0EEEvT1_.has_indirect_call, 0
	.section	.AMDGPU.csdata,"",@progbits
; Kernel info:
; codeLenInByte = 0
; TotalNumSgprs: 0
; NumVgprs: 0
; ScratchSize: 0
; MemoryBound: 0
; FloatMode: 240
; IeeeMode: 1
; LDSByteSize: 0 bytes/workgroup (compile time only)
; SGPRBlocks: 0
; VGPRBlocks: 0
; NumSGPRsForWavesPerEU: 1
; NumVGPRsForWavesPerEU: 1
; NamedBarCnt: 0
; Occupancy: 16
; WaveLimiterHint : 0
; COMPUTE_PGM_RSRC2:SCRATCH_EN: 0
; COMPUTE_PGM_RSRC2:USER_SGPR: 2
; COMPUTE_PGM_RSRC2:TRAP_HANDLER: 0
; COMPUTE_PGM_RSRC2:TGID_X_EN: 1
; COMPUTE_PGM_RSRC2:TGID_Y_EN: 0
; COMPUTE_PGM_RSRC2:TGID_Z_EN: 0
; COMPUTE_PGM_RSRC2:TIDIG_COMP_CNT: 0
	.section	.text._ZN7rocprim17ROCPRIM_400000_NS6detail17trampoline_kernelINS0_14default_configENS1_25transform_config_selectorI12hip_bfloat16Lb1EEEZNS1_14transform_implILb1ES3_S6_PKS5_PS5_NS0_8identityIS5_EEEE10hipError_tT2_T3_mT4_P12ihipStream_tbEUlT_E_NS1_11comp_targetILNS1_3genE5ELNS1_11target_archE942ELNS1_3gpuE9ELNS1_3repE0EEENS1_30default_config_static_selectorELNS0_4arch9wavefront6targetE0EEEvT1_,"axG",@progbits,_ZN7rocprim17ROCPRIM_400000_NS6detail17trampoline_kernelINS0_14default_configENS1_25transform_config_selectorI12hip_bfloat16Lb1EEEZNS1_14transform_implILb1ES3_S6_PKS5_PS5_NS0_8identityIS5_EEEE10hipError_tT2_T3_mT4_P12ihipStream_tbEUlT_E_NS1_11comp_targetILNS1_3genE5ELNS1_11target_archE942ELNS1_3gpuE9ELNS1_3repE0EEENS1_30default_config_static_selectorELNS0_4arch9wavefront6targetE0EEEvT1_,comdat
	.protected	_ZN7rocprim17ROCPRIM_400000_NS6detail17trampoline_kernelINS0_14default_configENS1_25transform_config_selectorI12hip_bfloat16Lb1EEEZNS1_14transform_implILb1ES3_S6_PKS5_PS5_NS0_8identityIS5_EEEE10hipError_tT2_T3_mT4_P12ihipStream_tbEUlT_E_NS1_11comp_targetILNS1_3genE5ELNS1_11target_archE942ELNS1_3gpuE9ELNS1_3repE0EEENS1_30default_config_static_selectorELNS0_4arch9wavefront6targetE0EEEvT1_ ; -- Begin function _ZN7rocprim17ROCPRIM_400000_NS6detail17trampoline_kernelINS0_14default_configENS1_25transform_config_selectorI12hip_bfloat16Lb1EEEZNS1_14transform_implILb1ES3_S6_PKS5_PS5_NS0_8identityIS5_EEEE10hipError_tT2_T3_mT4_P12ihipStream_tbEUlT_E_NS1_11comp_targetILNS1_3genE5ELNS1_11target_archE942ELNS1_3gpuE9ELNS1_3repE0EEENS1_30default_config_static_selectorELNS0_4arch9wavefront6targetE0EEEvT1_
	.globl	_ZN7rocprim17ROCPRIM_400000_NS6detail17trampoline_kernelINS0_14default_configENS1_25transform_config_selectorI12hip_bfloat16Lb1EEEZNS1_14transform_implILb1ES3_S6_PKS5_PS5_NS0_8identityIS5_EEEE10hipError_tT2_T3_mT4_P12ihipStream_tbEUlT_E_NS1_11comp_targetILNS1_3genE5ELNS1_11target_archE942ELNS1_3gpuE9ELNS1_3repE0EEENS1_30default_config_static_selectorELNS0_4arch9wavefront6targetE0EEEvT1_
	.p2align	8
	.type	_ZN7rocprim17ROCPRIM_400000_NS6detail17trampoline_kernelINS0_14default_configENS1_25transform_config_selectorI12hip_bfloat16Lb1EEEZNS1_14transform_implILb1ES3_S6_PKS5_PS5_NS0_8identityIS5_EEEE10hipError_tT2_T3_mT4_P12ihipStream_tbEUlT_E_NS1_11comp_targetILNS1_3genE5ELNS1_11target_archE942ELNS1_3gpuE9ELNS1_3repE0EEENS1_30default_config_static_selectorELNS0_4arch9wavefront6targetE0EEEvT1_,@function
_ZN7rocprim17ROCPRIM_400000_NS6detail17trampoline_kernelINS0_14default_configENS1_25transform_config_selectorI12hip_bfloat16Lb1EEEZNS1_14transform_implILb1ES3_S6_PKS5_PS5_NS0_8identityIS5_EEEE10hipError_tT2_T3_mT4_P12ihipStream_tbEUlT_E_NS1_11comp_targetILNS1_3genE5ELNS1_11target_archE942ELNS1_3gpuE9ELNS1_3repE0EEENS1_30default_config_static_selectorELNS0_4arch9wavefront6targetE0EEEvT1_: ; @_ZN7rocprim17ROCPRIM_400000_NS6detail17trampoline_kernelINS0_14default_configENS1_25transform_config_selectorI12hip_bfloat16Lb1EEEZNS1_14transform_implILb1ES3_S6_PKS5_PS5_NS0_8identityIS5_EEEE10hipError_tT2_T3_mT4_P12ihipStream_tbEUlT_E_NS1_11comp_targetILNS1_3genE5ELNS1_11target_archE942ELNS1_3gpuE9ELNS1_3repE0EEENS1_30default_config_static_selectorELNS0_4arch9wavefront6targetE0EEEvT1_
; %bb.0:
	.section	.rodata,"a",@progbits
	.p2align	6, 0x0
	.amdhsa_kernel _ZN7rocprim17ROCPRIM_400000_NS6detail17trampoline_kernelINS0_14default_configENS1_25transform_config_selectorI12hip_bfloat16Lb1EEEZNS1_14transform_implILb1ES3_S6_PKS5_PS5_NS0_8identityIS5_EEEE10hipError_tT2_T3_mT4_P12ihipStream_tbEUlT_E_NS1_11comp_targetILNS1_3genE5ELNS1_11target_archE942ELNS1_3gpuE9ELNS1_3repE0EEENS1_30default_config_static_selectorELNS0_4arch9wavefront6targetE0EEEvT1_
		.amdhsa_group_segment_fixed_size 0
		.amdhsa_private_segment_fixed_size 0
		.amdhsa_kernarg_size 40
		.amdhsa_user_sgpr_count 2
		.amdhsa_user_sgpr_dispatch_ptr 0
		.amdhsa_user_sgpr_queue_ptr 0
		.amdhsa_user_sgpr_kernarg_segment_ptr 1
		.amdhsa_user_sgpr_dispatch_id 0
		.amdhsa_user_sgpr_kernarg_preload_length 0
		.amdhsa_user_sgpr_kernarg_preload_offset 0
		.amdhsa_user_sgpr_private_segment_size 0
		.amdhsa_wavefront_size32 1
		.amdhsa_uses_dynamic_stack 0
		.amdhsa_enable_private_segment 0
		.amdhsa_system_sgpr_workgroup_id_x 1
		.amdhsa_system_sgpr_workgroup_id_y 0
		.amdhsa_system_sgpr_workgroup_id_z 0
		.amdhsa_system_sgpr_workgroup_info 0
		.amdhsa_system_vgpr_workitem_id 0
		.amdhsa_next_free_vgpr 1
		.amdhsa_next_free_sgpr 1
		.amdhsa_named_barrier_count 0
		.amdhsa_reserve_vcc 0
		.amdhsa_float_round_mode_32 0
		.amdhsa_float_round_mode_16_64 0
		.amdhsa_float_denorm_mode_32 3
		.amdhsa_float_denorm_mode_16_64 3
		.amdhsa_fp16_overflow 0
		.amdhsa_memory_ordered 1
		.amdhsa_forward_progress 1
		.amdhsa_inst_pref_size 0
		.amdhsa_round_robin_scheduling 0
		.amdhsa_exception_fp_ieee_invalid_op 0
		.amdhsa_exception_fp_denorm_src 0
		.amdhsa_exception_fp_ieee_div_zero 0
		.amdhsa_exception_fp_ieee_overflow 0
		.amdhsa_exception_fp_ieee_underflow 0
		.amdhsa_exception_fp_ieee_inexact 0
		.amdhsa_exception_int_div_zero 0
	.end_amdhsa_kernel
	.section	.text._ZN7rocprim17ROCPRIM_400000_NS6detail17trampoline_kernelINS0_14default_configENS1_25transform_config_selectorI12hip_bfloat16Lb1EEEZNS1_14transform_implILb1ES3_S6_PKS5_PS5_NS0_8identityIS5_EEEE10hipError_tT2_T3_mT4_P12ihipStream_tbEUlT_E_NS1_11comp_targetILNS1_3genE5ELNS1_11target_archE942ELNS1_3gpuE9ELNS1_3repE0EEENS1_30default_config_static_selectorELNS0_4arch9wavefront6targetE0EEEvT1_,"axG",@progbits,_ZN7rocprim17ROCPRIM_400000_NS6detail17trampoline_kernelINS0_14default_configENS1_25transform_config_selectorI12hip_bfloat16Lb1EEEZNS1_14transform_implILb1ES3_S6_PKS5_PS5_NS0_8identityIS5_EEEE10hipError_tT2_T3_mT4_P12ihipStream_tbEUlT_E_NS1_11comp_targetILNS1_3genE5ELNS1_11target_archE942ELNS1_3gpuE9ELNS1_3repE0EEENS1_30default_config_static_selectorELNS0_4arch9wavefront6targetE0EEEvT1_,comdat
.Lfunc_end1958:
	.size	_ZN7rocprim17ROCPRIM_400000_NS6detail17trampoline_kernelINS0_14default_configENS1_25transform_config_selectorI12hip_bfloat16Lb1EEEZNS1_14transform_implILb1ES3_S6_PKS5_PS5_NS0_8identityIS5_EEEE10hipError_tT2_T3_mT4_P12ihipStream_tbEUlT_E_NS1_11comp_targetILNS1_3genE5ELNS1_11target_archE942ELNS1_3gpuE9ELNS1_3repE0EEENS1_30default_config_static_selectorELNS0_4arch9wavefront6targetE0EEEvT1_, .Lfunc_end1958-_ZN7rocprim17ROCPRIM_400000_NS6detail17trampoline_kernelINS0_14default_configENS1_25transform_config_selectorI12hip_bfloat16Lb1EEEZNS1_14transform_implILb1ES3_S6_PKS5_PS5_NS0_8identityIS5_EEEE10hipError_tT2_T3_mT4_P12ihipStream_tbEUlT_E_NS1_11comp_targetILNS1_3genE5ELNS1_11target_archE942ELNS1_3gpuE9ELNS1_3repE0EEENS1_30default_config_static_selectorELNS0_4arch9wavefront6targetE0EEEvT1_
                                        ; -- End function
	.set _ZN7rocprim17ROCPRIM_400000_NS6detail17trampoline_kernelINS0_14default_configENS1_25transform_config_selectorI12hip_bfloat16Lb1EEEZNS1_14transform_implILb1ES3_S6_PKS5_PS5_NS0_8identityIS5_EEEE10hipError_tT2_T3_mT4_P12ihipStream_tbEUlT_E_NS1_11comp_targetILNS1_3genE5ELNS1_11target_archE942ELNS1_3gpuE9ELNS1_3repE0EEENS1_30default_config_static_selectorELNS0_4arch9wavefront6targetE0EEEvT1_.num_vgpr, 0
	.set _ZN7rocprim17ROCPRIM_400000_NS6detail17trampoline_kernelINS0_14default_configENS1_25transform_config_selectorI12hip_bfloat16Lb1EEEZNS1_14transform_implILb1ES3_S6_PKS5_PS5_NS0_8identityIS5_EEEE10hipError_tT2_T3_mT4_P12ihipStream_tbEUlT_E_NS1_11comp_targetILNS1_3genE5ELNS1_11target_archE942ELNS1_3gpuE9ELNS1_3repE0EEENS1_30default_config_static_selectorELNS0_4arch9wavefront6targetE0EEEvT1_.num_agpr, 0
	.set _ZN7rocprim17ROCPRIM_400000_NS6detail17trampoline_kernelINS0_14default_configENS1_25transform_config_selectorI12hip_bfloat16Lb1EEEZNS1_14transform_implILb1ES3_S6_PKS5_PS5_NS0_8identityIS5_EEEE10hipError_tT2_T3_mT4_P12ihipStream_tbEUlT_E_NS1_11comp_targetILNS1_3genE5ELNS1_11target_archE942ELNS1_3gpuE9ELNS1_3repE0EEENS1_30default_config_static_selectorELNS0_4arch9wavefront6targetE0EEEvT1_.numbered_sgpr, 0
	.set _ZN7rocprim17ROCPRIM_400000_NS6detail17trampoline_kernelINS0_14default_configENS1_25transform_config_selectorI12hip_bfloat16Lb1EEEZNS1_14transform_implILb1ES3_S6_PKS5_PS5_NS0_8identityIS5_EEEE10hipError_tT2_T3_mT4_P12ihipStream_tbEUlT_E_NS1_11comp_targetILNS1_3genE5ELNS1_11target_archE942ELNS1_3gpuE9ELNS1_3repE0EEENS1_30default_config_static_selectorELNS0_4arch9wavefront6targetE0EEEvT1_.num_named_barrier, 0
	.set _ZN7rocprim17ROCPRIM_400000_NS6detail17trampoline_kernelINS0_14default_configENS1_25transform_config_selectorI12hip_bfloat16Lb1EEEZNS1_14transform_implILb1ES3_S6_PKS5_PS5_NS0_8identityIS5_EEEE10hipError_tT2_T3_mT4_P12ihipStream_tbEUlT_E_NS1_11comp_targetILNS1_3genE5ELNS1_11target_archE942ELNS1_3gpuE9ELNS1_3repE0EEENS1_30default_config_static_selectorELNS0_4arch9wavefront6targetE0EEEvT1_.private_seg_size, 0
	.set _ZN7rocprim17ROCPRIM_400000_NS6detail17trampoline_kernelINS0_14default_configENS1_25transform_config_selectorI12hip_bfloat16Lb1EEEZNS1_14transform_implILb1ES3_S6_PKS5_PS5_NS0_8identityIS5_EEEE10hipError_tT2_T3_mT4_P12ihipStream_tbEUlT_E_NS1_11comp_targetILNS1_3genE5ELNS1_11target_archE942ELNS1_3gpuE9ELNS1_3repE0EEENS1_30default_config_static_selectorELNS0_4arch9wavefront6targetE0EEEvT1_.uses_vcc, 0
	.set _ZN7rocprim17ROCPRIM_400000_NS6detail17trampoline_kernelINS0_14default_configENS1_25transform_config_selectorI12hip_bfloat16Lb1EEEZNS1_14transform_implILb1ES3_S6_PKS5_PS5_NS0_8identityIS5_EEEE10hipError_tT2_T3_mT4_P12ihipStream_tbEUlT_E_NS1_11comp_targetILNS1_3genE5ELNS1_11target_archE942ELNS1_3gpuE9ELNS1_3repE0EEENS1_30default_config_static_selectorELNS0_4arch9wavefront6targetE0EEEvT1_.uses_flat_scratch, 0
	.set _ZN7rocprim17ROCPRIM_400000_NS6detail17trampoline_kernelINS0_14default_configENS1_25transform_config_selectorI12hip_bfloat16Lb1EEEZNS1_14transform_implILb1ES3_S6_PKS5_PS5_NS0_8identityIS5_EEEE10hipError_tT2_T3_mT4_P12ihipStream_tbEUlT_E_NS1_11comp_targetILNS1_3genE5ELNS1_11target_archE942ELNS1_3gpuE9ELNS1_3repE0EEENS1_30default_config_static_selectorELNS0_4arch9wavefront6targetE0EEEvT1_.has_dyn_sized_stack, 0
	.set _ZN7rocprim17ROCPRIM_400000_NS6detail17trampoline_kernelINS0_14default_configENS1_25transform_config_selectorI12hip_bfloat16Lb1EEEZNS1_14transform_implILb1ES3_S6_PKS5_PS5_NS0_8identityIS5_EEEE10hipError_tT2_T3_mT4_P12ihipStream_tbEUlT_E_NS1_11comp_targetILNS1_3genE5ELNS1_11target_archE942ELNS1_3gpuE9ELNS1_3repE0EEENS1_30default_config_static_selectorELNS0_4arch9wavefront6targetE0EEEvT1_.has_recursion, 0
	.set _ZN7rocprim17ROCPRIM_400000_NS6detail17trampoline_kernelINS0_14default_configENS1_25transform_config_selectorI12hip_bfloat16Lb1EEEZNS1_14transform_implILb1ES3_S6_PKS5_PS5_NS0_8identityIS5_EEEE10hipError_tT2_T3_mT4_P12ihipStream_tbEUlT_E_NS1_11comp_targetILNS1_3genE5ELNS1_11target_archE942ELNS1_3gpuE9ELNS1_3repE0EEENS1_30default_config_static_selectorELNS0_4arch9wavefront6targetE0EEEvT1_.has_indirect_call, 0
	.section	.AMDGPU.csdata,"",@progbits
; Kernel info:
; codeLenInByte = 0
; TotalNumSgprs: 0
; NumVgprs: 0
; ScratchSize: 0
; MemoryBound: 0
; FloatMode: 240
; IeeeMode: 1
; LDSByteSize: 0 bytes/workgroup (compile time only)
; SGPRBlocks: 0
; VGPRBlocks: 0
; NumSGPRsForWavesPerEU: 1
; NumVGPRsForWavesPerEU: 1
; NamedBarCnt: 0
; Occupancy: 16
; WaveLimiterHint : 0
; COMPUTE_PGM_RSRC2:SCRATCH_EN: 0
; COMPUTE_PGM_RSRC2:USER_SGPR: 2
; COMPUTE_PGM_RSRC2:TRAP_HANDLER: 0
; COMPUTE_PGM_RSRC2:TGID_X_EN: 1
; COMPUTE_PGM_RSRC2:TGID_Y_EN: 0
; COMPUTE_PGM_RSRC2:TGID_Z_EN: 0
; COMPUTE_PGM_RSRC2:TIDIG_COMP_CNT: 0
	.section	.text._ZN7rocprim17ROCPRIM_400000_NS6detail17trampoline_kernelINS0_14default_configENS1_25transform_config_selectorI12hip_bfloat16Lb1EEEZNS1_14transform_implILb1ES3_S6_PKS5_PS5_NS0_8identityIS5_EEEE10hipError_tT2_T3_mT4_P12ihipStream_tbEUlT_E_NS1_11comp_targetILNS1_3genE4ELNS1_11target_archE910ELNS1_3gpuE8ELNS1_3repE0EEENS1_30default_config_static_selectorELNS0_4arch9wavefront6targetE0EEEvT1_,"axG",@progbits,_ZN7rocprim17ROCPRIM_400000_NS6detail17trampoline_kernelINS0_14default_configENS1_25transform_config_selectorI12hip_bfloat16Lb1EEEZNS1_14transform_implILb1ES3_S6_PKS5_PS5_NS0_8identityIS5_EEEE10hipError_tT2_T3_mT4_P12ihipStream_tbEUlT_E_NS1_11comp_targetILNS1_3genE4ELNS1_11target_archE910ELNS1_3gpuE8ELNS1_3repE0EEENS1_30default_config_static_selectorELNS0_4arch9wavefront6targetE0EEEvT1_,comdat
	.protected	_ZN7rocprim17ROCPRIM_400000_NS6detail17trampoline_kernelINS0_14default_configENS1_25transform_config_selectorI12hip_bfloat16Lb1EEEZNS1_14transform_implILb1ES3_S6_PKS5_PS5_NS0_8identityIS5_EEEE10hipError_tT2_T3_mT4_P12ihipStream_tbEUlT_E_NS1_11comp_targetILNS1_3genE4ELNS1_11target_archE910ELNS1_3gpuE8ELNS1_3repE0EEENS1_30default_config_static_selectorELNS0_4arch9wavefront6targetE0EEEvT1_ ; -- Begin function _ZN7rocprim17ROCPRIM_400000_NS6detail17trampoline_kernelINS0_14default_configENS1_25transform_config_selectorI12hip_bfloat16Lb1EEEZNS1_14transform_implILb1ES3_S6_PKS5_PS5_NS0_8identityIS5_EEEE10hipError_tT2_T3_mT4_P12ihipStream_tbEUlT_E_NS1_11comp_targetILNS1_3genE4ELNS1_11target_archE910ELNS1_3gpuE8ELNS1_3repE0EEENS1_30default_config_static_selectorELNS0_4arch9wavefront6targetE0EEEvT1_
	.globl	_ZN7rocprim17ROCPRIM_400000_NS6detail17trampoline_kernelINS0_14default_configENS1_25transform_config_selectorI12hip_bfloat16Lb1EEEZNS1_14transform_implILb1ES3_S6_PKS5_PS5_NS0_8identityIS5_EEEE10hipError_tT2_T3_mT4_P12ihipStream_tbEUlT_E_NS1_11comp_targetILNS1_3genE4ELNS1_11target_archE910ELNS1_3gpuE8ELNS1_3repE0EEENS1_30default_config_static_selectorELNS0_4arch9wavefront6targetE0EEEvT1_
	.p2align	8
	.type	_ZN7rocprim17ROCPRIM_400000_NS6detail17trampoline_kernelINS0_14default_configENS1_25transform_config_selectorI12hip_bfloat16Lb1EEEZNS1_14transform_implILb1ES3_S6_PKS5_PS5_NS0_8identityIS5_EEEE10hipError_tT2_T3_mT4_P12ihipStream_tbEUlT_E_NS1_11comp_targetILNS1_3genE4ELNS1_11target_archE910ELNS1_3gpuE8ELNS1_3repE0EEENS1_30default_config_static_selectorELNS0_4arch9wavefront6targetE0EEEvT1_,@function
_ZN7rocprim17ROCPRIM_400000_NS6detail17trampoline_kernelINS0_14default_configENS1_25transform_config_selectorI12hip_bfloat16Lb1EEEZNS1_14transform_implILb1ES3_S6_PKS5_PS5_NS0_8identityIS5_EEEE10hipError_tT2_T3_mT4_P12ihipStream_tbEUlT_E_NS1_11comp_targetILNS1_3genE4ELNS1_11target_archE910ELNS1_3gpuE8ELNS1_3repE0EEENS1_30default_config_static_selectorELNS0_4arch9wavefront6targetE0EEEvT1_: ; @_ZN7rocprim17ROCPRIM_400000_NS6detail17trampoline_kernelINS0_14default_configENS1_25transform_config_selectorI12hip_bfloat16Lb1EEEZNS1_14transform_implILb1ES3_S6_PKS5_PS5_NS0_8identityIS5_EEEE10hipError_tT2_T3_mT4_P12ihipStream_tbEUlT_E_NS1_11comp_targetILNS1_3genE4ELNS1_11target_archE910ELNS1_3gpuE8ELNS1_3repE0EEENS1_30default_config_static_selectorELNS0_4arch9wavefront6targetE0EEEvT1_
; %bb.0:
	.section	.rodata,"a",@progbits
	.p2align	6, 0x0
	.amdhsa_kernel _ZN7rocprim17ROCPRIM_400000_NS6detail17trampoline_kernelINS0_14default_configENS1_25transform_config_selectorI12hip_bfloat16Lb1EEEZNS1_14transform_implILb1ES3_S6_PKS5_PS5_NS0_8identityIS5_EEEE10hipError_tT2_T3_mT4_P12ihipStream_tbEUlT_E_NS1_11comp_targetILNS1_3genE4ELNS1_11target_archE910ELNS1_3gpuE8ELNS1_3repE0EEENS1_30default_config_static_selectorELNS0_4arch9wavefront6targetE0EEEvT1_
		.amdhsa_group_segment_fixed_size 0
		.amdhsa_private_segment_fixed_size 0
		.amdhsa_kernarg_size 40
		.amdhsa_user_sgpr_count 2
		.amdhsa_user_sgpr_dispatch_ptr 0
		.amdhsa_user_sgpr_queue_ptr 0
		.amdhsa_user_sgpr_kernarg_segment_ptr 1
		.amdhsa_user_sgpr_dispatch_id 0
		.amdhsa_user_sgpr_kernarg_preload_length 0
		.amdhsa_user_sgpr_kernarg_preload_offset 0
		.amdhsa_user_sgpr_private_segment_size 0
		.amdhsa_wavefront_size32 1
		.amdhsa_uses_dynamic_stack 0
		.amdhsa_enable_private_segment 0
		.amdhsa_system_sgpr_workgroup_id_x 1
		.amdhsa_system_sgpr_workgroup_id_y 0
		.amdhsa_system_sgpr_workgroup_id_z 0
		.amdhsa_system_sgpr_workgroup_info 0
		.amdhsa_system_vgpr_workitem_id 0
		.amdhsa_next_free_vgpr 1
		.amdhsa_next_free_sgpr 1
		.amdhsa_named_barrier_count 0
		.amdhsa_reserve_vcc 0
		.amdhsa_float_round_mode_32 0
		.amdhsa_float_round_mode_16_64 0
		.amdhsa_float_denorm_mode_32 3
		.amdhsa_float_denorm_mode_16_64 3
		.amdhsa_fp16_overflow 0
		.amdhsa_memory_ordered 1
		.amdhsa_forward_progress 1
		.amdhsa_inst_pref_size 0
		.amdhsa_round_robin_scheduling 0
		.amdhsa_exception_fp_ieee_invalid_op 0
		.amdhsa_exception_fp_denorm_src 0
		.amdhsa_exception_fp_ieee_div_zero 0
		.amdhsa_exception_fp_ieee_overflow 0
		.amdhsa_exception_fp_ieee_underflow 0
		.amdhsa_exception_fp_ieee_inexact 0
		.amdhsa_exception_int_div_zero 0
	.end_amdhsa_kernel
	.section	.text._ZN7rocprim17ROCPRIM_400000_NS6detail17trampoline_kernelINS0_14default_configENS1_25transform_config_selectorI12hip_bfloat16Lb1EEEZNS1_14transform_implILb1ES3_S6_PKS5_PS5_NS0_8identityIS5_EEEE10hipError_tT2_T3_mT4_P12ihipStream_tbEUlT_E_NS1_11comp_targetILNS1_3genE4ELNS1_11target_archE910ELNS1_3gpuE8ELNS1_3repE0EEENS1_30default_config_static_selectorELNS0_4arch9wavefront6targetE0EEEvT1_,"axG",@progbits,_ZN7rocprim17ROCPRIM_400000_NS6detail17trampoline_kernelINS0_14default_configENS1_25transform_config_selectorI12hip_bfloat16Lb1EEEZNS1_14transform_implILb1ES3_S6_PKS5_PS5_NS0_8identityIS5_EEEE10hipError_tT2_T3_mT4_P12ihipStream_tbEUlT_E_NS1_11comp_targetILNS1_3genE4ELNS1_11target_archE910ELNS1_3gpuE8ELNS1_3repE0EEENS1_30default_config_static_selectorELNS0_4arch9wavefront6targetE0EEEvT1_,comdat
.Lfunc_end1959:
	.size	_ZN7rocprim17ROCPRIM_400000_NS6detail17trampoline_kernelINS0_14default_configENS1_25transform_config_selectorI12hip_bfloat16Lb1EEEZNS1_14transform_implILb1ES3_S6_PKS5_PS5_NS0_8identityIS5_EEEE10hipError_tT2_T3_mT4_P12ihipStream_tbEUlT_E_NS1_11comp_targetILNS1_3genE4ELNS1_11target_archE910ELNS1_3gpuE8ELNS1_3repE0EEENS1_30default_config_static_selectorELNS0_4arch9wavefront6targetE0EEEvT1_, .Lfunc_end1959-_ZN7rocprim17ROCPRIM_400000_NS6detail17trampoline_kernelINS0_14default_configENS1_25transform_config_selectorI12hip_bfloat16Lb1EEEZNS1_14transform_implILb1ES3_S6_PKS5_PS5_NS0_8identityIS5_EEEE10hipError_tT2_T3_mT4_P12ihipStream_tbEUlT_E_NS1_11comp_targetILNS1_3genE4ELNS1_11target_archE910ELNS1_3gpuE8ELNS1_3repE0EEENS1_30default_config_static_selectorELNS0_4arch9wavefront6targetE0EEEvT1_
                                        ; -- End function
	.set _ZN7rocprim17ROCPRIM_400000_NS6detail17trampoline_kernelINS0_14default_configENS1_25transform_config_selectorI12hip_bfloat16Lb1EEEZNS1_14transform_implILb1ES3_S6_PKS5_PS5_NS0_8identityIS5_EEEE10hipError_tT2_T3_mT4_P12ihipStream_tbEUlT_E_NS1_11comp_targetILNS1_3genE4ELNS1_11target_archE910ELNS1_3gpuE8ELNS1_3repE0EEENS1_30default_config_static_selectorELNS0_4arch9wavefront6targetE0EEEvT1_.num_vgpr, 0
	.set _ZN7rocprim17ROCPRIM_400000_NS6detail17trampoline_kernelINS0_14default_configENS1_25transform_config_selectorI12hip_bfloat16Lb1EEEZNS1_14transform_implILb1ES3_S6_PKS5_PS5_NS0_8identityIS5_EEEE10hipError_tT2_T3_mT4_P12ihipStream_tbEUlT_E_NS1_11comp_targetILNS1_3genE4ELNS1_11target_archE910ELNS1_3gpuE8ELNS1_3repE0EEENS1_30default_config_static_selectorELNS0_4arch9wavefront6targetE0EEEvT1_.num_agpr, 0
	.set _ZN7rocprim17ROCPRIM_400000_NS6detail17trampoline_kernelINS0_14default_configENS1_25transform_config_selectorI12hip_bfloat16Lb1EEEZNS1_14transform_implILb1ES3_S6_PKS5_PS5_NS0_8identityIS5_EEEE10hipError_tT2_T3_mT4_P12ihipStream_tbEUlT_E_NS1_11comp_targetILNS1_3genE4ELNS1_11target_archE910ELNS1_3gpuE8ELNS1_3repE0EEENS1_30default_config_static_selectorELNS0_4arch9wavefront6targetE0EEEvT1_.numbered_sgpr, 0
	.set _ZN7rocprim17ROCPRIM_400000_NS6detail17trampoline_kernelINS0_14default_configENS1_25transform_config_selectorI12hip_bfloat16Lb1EEEZNS1_14transform_implILb1ES3_S6_PKS5_PS5_NS0_8identityIS5_EEEE10hipError_tT2_T3_mT4_P12ihipStream_tbEUlT_E_NS1_11comp_targetILNS1_3genE4ELNS1_11target_archE910ELNS1_3gpuE8ELNS1_3repE0EEENS1_30default_config_static_selectorELNS0_4arch9wavefront6targetE0EEEvT1_.num_named_barrier, 0
	.set _ZN7rocprim17ROCPRIM_400000_NS6detail17trampoline_kernelINS0_14default_configENS1_25transform_config_selectorI12hip_bfloat16Lb1EEEZNS1_14transform_implILb1ES3_S6_PKS5_PS5_NS0_8identityIS5_EEEE10hipError_tT2_T3_mT4_P12ihipStream_tbEUlT_E_NS1_11comp_targetILNS1_3genE4ELNS1_11target_archE910ELNS1_3gpuE8ELNS1_3repE0EEENS1_30default_config_static_selectorELNS0_4arch9wavefront6targetE0EEEvT1_.private_seg_size, 0
	.set _ZN7rocprim17ROCPRIM_400000_NS6detail17trampoline_kernelINS0_14default_configENS1_25transform_config_selectorI12hip_bfloat16Lb1EEEZNS1_14transform_implILb1ES3_S6_PKS5_PS5_NS0_8identityIS5_EEEE10hipError_tT2_T3_mT4_P12ihipStream_tbEUlT_E_NS1_11comp_targetILNS1_3genE4ELNS1_11target_archE910ELNS1_3gpuE8ELNS1_3repE0EEENS1_30default_config_static_selectorELNS0_4arch9wavefront6targetE0EEEvT1_.uses_vcc, 0
	.set _ZN7rocprim17ROCPRIM_400000_NS6detail17trampoline_kernelINS0_14default_configENS1_25transform_config_selectorI12hip_bfloat16Lb1EEEZNS1_14transform_implILb1ES3_S6_PKS5_PS5_NS0_8identityIS5_EEEE10hipError_tT2_T3_mT4_P12ihipStream_tbEUlT_E_NS1_11comp_targetILNS1_3genE4ELNS1_11target_archE910ELNS1_3gpuE8ELNS1_3repE0EEENS1_30default_config_static_selectorELNS0_4arch9wavefront6targetE0EEEvT1_.uses_flat_scratch, 0
	.set _ZN7rocprim17ROCPRIM_400000_NS6detail17trampoline_kernelINS0_14default_configENS1_25transform_config_selectorI12hip_bfloat16Lb1EEEZNS1_14transform_implILb1ES3_S6_PKS5_PS5_NS0_8identityIS5_EEEE10hipError_tT2_T3_mT4_P12ihipStream_tbEUlT_E_NS1_11comp_targetILNS1_3genE4ELNS1_11target_archE910ELNS1_3gpuE8ELNS1_3repE0EEENS1_30default_config_static_selectorELNS0_4arch9wavefront6targetE0EEEvT1_.has_dyn_sized_stack, 0
	.set _ZN7rocprim17ROCPRIM_400000_NS6detail17trampoline_kernelINS0_14default_configENS1_25transform_config_selectorI12hip_bfloat16Lb1EEEZNS1_14transform_implILb1ES3_S6_PKS5_PS5_NS0_8identityIS5_EEEE10hipError_tT2_T3_mT4_P12ihipStream_tbEUlT_E_NS1_11comp_targetILNS1_3genE4ELNS1_11target_archE910ELNS1_3gpuE8ELNS1_3repE0EEENS1_30default_config_static_selectorELNS0_4arch9wavefront6targetE0EEEvT1_.has_recursion, 0
	.set _ZN7rocprim17ROCPRIM_400000_NS6detail17trampoline_kernelINS0_14default_configENS1_25transform_config_selectorI12hip_bfloat16Lb1EEEZNS1_14transform_implILb1ES3_S6_PKS5_PS5_NS0_8identityIS5_EEEE10hipError_tT2_T3_mT4_P12ihipStream_tbEUlT_E_NS1_11comp_targetILNS1_3genE4ELNS1_11target_archE910ELNS1_3gpuE8ELNS1_3repE0EEENS1_30default_config_static_selectorELNS0_4arch9wavefront6targetE0EEEvT1_.has_indirect_call, 0
	.section	.AMDGPU.csdata,"",@progbits
; Kernel info:
; codeLenInByte = 0
; TotalNumSgprs: 0
; NumVgprs: 0
; ScratchSize: 0
; MemoryBound: 0
; FloatMode: 240
; IeeeMode: 1
; LDSByteSize: 0 bytes/workgroup (compile time only)
; SGPRBlocks: 0
; VGPRBlocks: 0
; NumSGPRsForWavesPerEU: 1
; NumVGPRsForWavesPerEU: 1
; NamedBarCnt: 0
; Occupancy: 16
; WaveLimiterHint : 0
; COMPUTE_PGM_RSRC2:SCRATCH_EN: 0
; COMPUTE_PGM_RSRC2:USER_SGPR: 2
; COMPUTE_PGM_RSRC2:TRAP_HANDLER: 0
; COMPUTE_PGM_RSRC2:TGID_X_EN: 1
; COMPUTE_PGM_RSRC2:TGID_Y_EN: 0
; COMPUTE_PGM_RSRC2:TGID_Z_EN: 0
; COMPUTE_PGM_RSRC2:TIDIG_COMP_CNT: 0
	.section	.text._ZN7rocprim17ROCPRIM_400000_NS6detail17trampoline_kernelINS0_14default_configENS1_25transform_config_selectorI12hip_bfloat16Lb1EEEZNS1_14transform_implILb1ES3_S6_PKS5_PS5_NS0_8identityIS5_EEEE10hipError_tT2_T3_mT4_P12ihipStream_tbEUlT_E_NS1_11comp_targetILNS1_3genE3ELNS1_11target_archE908ELNS1_3gpuE7ELNS1_3repE0EEENS1_30default_config_static_selectorELNS0_4arch9wavefront6targetE0EEEvT1_,"axG",@progbits,_ZN7rocprim17ROCPRIM_400000_NS6detail17trampoline_kernelINS0_14default_configENS1_25transform_config_selectorI12hip_bfloat16Lb1EEEZNS1_14transform_implILb1ES3_S6_PKS5_PS5_NS0_8identityIS5_EEEE10hipError_tT2_T3_mT4_P12ihipStream_tbEUlT_E_NS1_11comp_targetILNS1_3genE3ELNS1_11target_archE908ELNS1_3gpuE7ELNS1_3repE0EEENS1_30default_config_static_selectorELNS0_4arch9wavefront6targetE0EEEvT1_,comdat
	.protected	_ZN7rocprim17ROCPRIM_400000_NS6detail17trampoline_kernelINS0_14default_configENS1_25transform_config_selectorI12hip_bfloat16Lb1EEEZNS1_14transform_implILb1ES3_S6_PKS5_PS5_NS0_8identityIS5_EEEE10hipError_tT2_T3_mT4_P12ihipStream_tbEUlT_E_NS1_11comp_targetILNS1_3genE3ELNS1_11target_archE908ELNS1_3gpuE7ELNS1_3repE0EEENS1_30default_config_static_selectorELNS0_4arch9wavefront6targetE0EEEvT1_ ; -- Begin function _ZN7rocprim17ROCPRIM_400000_NS6detail17trampoline_kernelINS0_14default_configENS1_25transform_config_selectorI12hip_bfloat16Lb1EEEZNS1_14transform_implILb1ES3_S6_PKS5_PS5_NS0_8identityIS5_EEEE10hipError_tT2_T3_mT4_P12ihipStream_tbEUlT_E_NS1_11comp_targetILNS1_3genE3ELNS1_11target_archE908ELNS1_3gpuE7ELNS1_3repE0EEENS1_30default_config_static_selectorELNS0_4arch9wavefront6targetE0EEEvT1_
	.globl	_ZN7rocprim17ROCPRIM_400000_NS6detail17trampoline_kernelINS0_14default_configENS1_25transform_config_selectorI12hip_bfloat16Lb1EEEZNS1_14transform_implILb1ES3_S6_PKS5_PS5_NS0_8identityIS5_EEEE10hipError_tT2_T3_mT4_P12ihipStream_tbEUlT_E_NS1_11comp_targetILNS1_3genE3ELNS1_11target_archE908ELNS1_3gpuE7ELNS1_3repE0EEENS1_30default_config_static_selectorELNS0_4arch9wavefront6targetE0EEEvT1_
	.p2align	8
	.type	_ZN7rocprim17ROCPRIM_400000_NS6detail17trampoline_kernelINS0_14default_configENS1_25transform_config_selectorI12hip_bfloat16Lb1EEEZNS1_14transform_implILb1ES3_S6_PKS5_PS5_NS0_8identityIS5_EEEE10hipError_tT2_T3_mT4_P12ihipStream_tbEUlT_E_NS1_11comp_targetILNS1_3genE3ELNS1_11target_archE908ELNS1_3gpuE7ELNS1_3repE0EEENS1_30default_config_static_selectorELNS0_4arch9wavefront6targetE0EEEvT1_,@function
_ZN7rocprim17ROCPRIM_400000_NS6detail17trampoline_kernelINS0_14default_configENS1_25transform_config_selectorI12hip_bfloat16Lb1EEEZNS1_14transform_implILb1ES3_S6_PKS5_PS5_NS0_8identityIS5_EEEE10hipError_tT2_T3_mT4_P12ihipStream_tbEUlT_E_NS1_11comp_targetILNS1_3genE3ELNS1_11target_archE908ELNS1_3gpuE7ELNS1_3repE0EEENS1_30default_config_static_selectorELNS0_4arch9wavefront6targetE0EEEvT1_: ; @_ZN7rocprim17ROCPRIM_400000_NS6detail17trampoline_kernelINS0_14default_configENS1_25transform_config_selectorI12hip_bfloat16Lb1EEEZNS1_14transform_implILb1ES3_S6_PKS5_PS5_NS0_8identityIS5_EEEE10hipError_tT2_T3_mT4_P12ihipStream_tbEUlT_E_NS1_11comp_targetILNS1_3genE3ELNS1_11target_archE908ELNS1_3gpuE7ELNS1_3repE0EEENS1_30default_config_static_selectorELNS0_4arch9wavefront6targetE0EEEvT1_
; %bb.0:
	.section	.rodata,"a",@progbits
	.p2align	6, 0x0
	.amdhsa_kernel _ZN7rocprim17ROCPRIM_400000_NS6detail17trampoline_kernelINS0_14default_configENS1_25transform_config_selectorI12hip_bfloat16Lb1EEEZNS1_14transform_implILb1ES3_S6_PKS5_PS5_NS0_8identityIS5_EEEE10hipError_tT2_T3_mT4_P12ihipStream_tbEUlT_E_NS1_11comp_targetILNS1_3genE3ELNS1_11target_archE908ELNS1_3gpuE7ELNS1_3repE0EEENS1_30default_config_static_selectorELNS0_4arch9wavefront6targetE0EEEvT1_
		.amdhsa_group_segment_fixed_size 0
		.amdhsa_private_segment_fixed_size 0
		.amdhsa_kernarg_size 40
		.amdhsa_user_sgpr_count 2
		.amdhsa_user_sgpr_dispatch_ptr 0
		.amdhsa_user_sgpr_queue_ptr 0
		.amdhsa_user_sgpr_kernarg_segment_ptr 1
		.amdhsa_user_sgpr_dispatch_id 0
		.amdhsa_user_sgpr_kernarg_preload_length 0
		.amdhsa_user_sgpr_kernarg_preload_offset 0
		.amdhsa_user_sgpr_private_segment_size 0
		.amdhsa_wavefront_size32 1
		.amdhsa_uses_dynamic_stack 0
		.amdhsa_enable_private_segment 0
		.amdhsa_system_sgpr_workgroup_id_x 1
		.amdhsa_system_sgpr_workgroup_id_y 0
		.amdhsa_system_sgpr_workgroup_id_z 0
		.amdhsa_system_sgpr_workgroup_info 0
		.amdhsa_system_vgpr_workitem_id 0
		.amdhsa_next_free_vgpr 1
		.amdhsa_next_free_sgpr 1
		.amdhsa_named_barrier_count 0
		.amdhsa_reserve_vcc 0
		.amdhsa_float_round_mode_32 0
		.amdhsa_float_round_mode_16_64 0
		.amdhsa_float_denorm_mode_32 3
		.amdhsa_float_denorm_mode_16_64 3
		.amdhsa_fp16_overflow 0
		.amdhsa_memory_ordered 1
		.amdhsa_forward_progress 1
		.amdhsa_inst_pref_size 0
		.amdhsa_round_robin_scheduling 0
		.amdhsa_exception_fp_ieee_invalid_op 0
		.amdhsa_exception_fp_denorm_src 0
		.amdhsa_exception_fp_ieee_div_zero 0
		.amdhsa_exception_fp_ieee_overflow 0
		.amdhsa_exception_fp_ieee_underflow 0
		.amdhsa_exception_fp_ieee_inexact 0
		.amdhsa_exception_int_div_zero 0
	.end_amdhsa_kernel
	.section	.text._ZN7rocprim17ROCPRIM_400000_NS6detail17trampoline_kernelINS0_14default_configENS1_25transform_config_selectorI12hip_bfloat16Lb1EEEZNS1_14transform_implILb1ES3_S6_PKS5_PS5_NS0_8identityIS5_EEEE10hipError_tT2_T3_mT4_P12ihipStream_tbEUlT_E_NS1_11comp_targetILNS1_3genE3ELNS1_11target_archE908ELNS1_3gpuE7ELNS1_3repE0EEENS1_30default_config_static_selectorELNS0_4arch9wavefront6targetE0EEEvT1_,"axG",@progbits,_ZN7rocprim17ROCPRIM_400000_NS6detail17trampoline_kernelINS0_14default_configENS1_25transform_config_selectorI12hip_bfloat16Lb1EEEZNS1_14transform_implILb1ES3_S6_PKS5_PS5_NS0_8identityIS5_EEEE10hipError_tT2_T3_mT4_P12ihipStream_tbEUlT_E_NS1_11comp_targetILNS1_3genE3ELNS1_11target_archE908ELNS1_3gpuE7ELNS1_3repE0EEENS1_30default_config_static_selectorELNS0_4arch9wavefront6targetE0EEEvT1_,comdat
.Lfunc_end1960:
	.size	_ZN7rocprim17ROCPRIM_400000_NS6detail17trampoline_kernelINS0_14default_configENS1_25transform_config_selectorI12hip_bfloat16Lb1EEEZNS1_14transform_implILb1ES3_S6_PKS5_PS5_NS0_8identityIS5_EEEE10hipError_tT2_T3_mT4_P12ihipStream_tbEUlT_E_NS1_11comp_targetILNS1_3genE3ELNS1_11target_archE908ELNS1_3gpuE7ELNS1_3repE0EEENS1_30default_config_static_selectorELNS0_4arch9wavefront6targetE0EEEvT1_, .Lfunc_end1960-_ZN7rocprim17ROCPRIM_400000_NS6detail17trampoline_kernelINS0_14default_configENS1_25transform_config_selectorI12hip_bfloat16Lb1EEEZNS1_14transform_implILb1ES3_S6_PKS5_PS5_NS0_8identityIS5_EEEE10hipError_tT2_T3_mT4_P12ihipStream_tbEUlT_E_NS1_11comp_targetILNS1_3genE3ELNS1_11target_archE908ELNS1_3gpuE7ELNS1_3repE0EEENS1_30default_config_static_selectorELNS0_4arch9wavefront6targetE0EEEvT1_
                                        ; -- End function
	.set _ZN7rocprim17ROCPRIM_400000_NS6detail17trampoline_kernelINS0_14default_configENS1_25transform_config_selectorI12hip_bfloat16Lb1EEEZNS1_14transform_implILb1ES3_S6_PKS5_PS5_NS0_8identityIS5_EEEE10hipError_tT2_T3_mT4_P12ihipStream_tbEUlT_E_NS1_11comp_targetILNS1_3genE3ELNS1_11target_archE908ELNS1_3gpuE7ELNS1_3repE0EEENS1_30default_config_static_selectorELNS0_4arch9wavefront6targetE0EEEvT1_.num_vgpr, 0
	.set _ZN7rocprim17ROCPRIM_400000_NS6detail17trampoline_kernelINS0_14default_configENS1_25transform_config_selectorI12hip_bfloat16Lb1EEEZNS1_14transform_implILb1ES3_S6_PKS5_PS5_NS0_8identityIS5_EEEE10hipError_tT2_T3_mT4_P12ihipStream_tbEUlT_E_NS1_11comp_targetILNS1_3genE3ELNS1_11target_archE908ELNS1_3gpuE7ELNS1_3repE0EEENS1_30default_config_static_selectorELNS0_4arch9wavefront6targetE0EEEvT1_.num_agpr, 0
	.set _ZN7rocprim17ROCPRIM_400000_NS6detail17trampoline_kernelINS0_14default_configENS1_25transform_config_selectorI12hip_bfloat16Lb1EEEZNS1_14transform_implILb1ES3_S6_PKS5_PS5_NS0_8identityIS5_EEEE10hipError_tT2_T3_mT4_P12ihipStream_tbEUlT_E_NS1_11comp_targetILNS1_3genE3ELNS1_11target_archE908ELNS1_3gpuE7ELNS1_3repE0EEENS1_30default_config_static_selectorELNS0_4arch9wavefront6targetE0EEEvT1_.numbered_sgpr, 0
	.set _ZN7rocprim17ROCPRIM_400000_NS6detail17trampoline_kernelINS0_14default_configENS1_25transform_config_selectorI12hip_bfloat16Lb1EEEZNS1_14transform_implILb1ES3_S6_PKS5_PS5_NS0_8identityIS5_EEEE10hipError_tT2_T3_mT4_P12ihipStream_tbEUlT_E_NS1_11comp_targetILNS1_3genE3ELNS1_11target_archE908ELNS1_3gpuE7ELNS1_3repE0EEENS1_30default_config_static_selectorELNS0_4arch9wavefront6targetE0EEEvT1_.num_named_barrier, 0
	.set _ZN7rocprim17ROCPRIM_400000_NS6detail17trampoline_kernelINS0_14default_configENS1_25transform_config_selectorI12hip_bfloat16Lb1EEEZNS1_14transform_implILb1ES3_S6_PKS5_PS5_NS0_8identityIS5_EEEE10hipError_tT2_T3_mT4_P12ihipStream_tbEUlT_E_NS1_11comp_targetILNS1_3genE3ELNS1_11target_archE908ELNS1_3gpuE7ELNS1_3repE0EEENS1_30default_config_static_selectorELNS0_4arch9wavefront6targetE0EEEvT1_.private_seg_size, 0
	.set _ZN7rocprim17ROCPRIM_400000_NS6detail17trampoline_kernelINS0_14default_configENS1_25transform_config_selectorI12hip_bfloat16Lb1EEEZNS1_14transform_implILb1ES3_S6_PKS5_PS5_NS0_8identityIS5_EEEE10hipError_tT2_T3_mT4_P12ihipStream_tbEUlT_E_NS1_11comp_targetILNS1_3genE3ELNS1_11target_archE908ELNS1_3gpuE7ELNS1_3repE0EEENS1_30default_config_static_selectorELNS0_4arch9wavefront6targetE0EEEvT1_.uses_vcc, 0
	.set _ZN7rocprim17ROCPRIM_400000_NS6detail17trampoline_kernelINS0_14default_configENS1_25transform_config_selectorI12hip_bfloat16Lb1EEEZNS1_14transform_implILb1ES3_S6_PKS5_PS5_NS0_8identityIS5_EEEE10hipError_tT2_T3_mT4_P12ihipStream_tbEUlT_E_NS1_11comp_targetILNS1_3genE3ELNS1_11target_archE908ELNS1_3gpuE7ELNS1_3repE0EEENS1_30default_config_static_selectorELNS0_4arch9wavefront6targetE0EEEvT1_.uses_flat_scratch, 0
	.set _ZN7rocprim17ROCPRIM_400000_NS6detail17trampoline_kernelINS0_14default_configENS1_25transform_config_selectorI12hip_bfloat16Lb1EEEZNS1_14transform_implILb1ES3_S6_PKS5_PS5_NS0_8identityIS5_EEEE10hipError_tT2_T3_mT4_P12ihipStream_tbEUlT_E_NS1_11comp_targetILNS1_3genE3ELNS1_11target_archE908ELNS1_3gpuE7ELNS1_3repE0EEENS1_30default_config_static_selectorELNS0_4arch9wavefront6targetE0EEEvT1_.has_dyn_sized_stack, 0
	.set _ZN7rocprim17ROCPRIM_400000_NS6detail17trampoline_kernelINS0_14default_configENS1_25transform_config_selectorI12hip_bfloat16Lb1EEEZNS1_14transform_implILb1ES3_S6_PKS5_PS5_NS0_8identityIS5_EEEE10hipError_tT2_T3_mT4_P12ihipStream_tbEUlT_E_NS1_11comp_targetILNS1_3genE3ELNS1_11target_archE908ELNS1_3gpuE7ELNS1_3repE0EEENS1_30default_config_static_selectorELNS0_4arch9wavefront6targetE0EEEvT1_.has_recursion, 0
	.set _ZN7rocprim17ROCPRIM_400000_NS6detail17trampoline_kernelINS0_14default_configENS1_25transform_config_selectorI12hip_bfloat16Lb1EEEZNS1_14transform_implILb1ES3_S6_PKS5_PS5_NS0_8identityIS5_EEEE10hipError_tT2_T3_mT4_P12ihipStream_tbEUlT_E_NS1_11comp_targetILNS1_3genE3ELNS1_11target_archE908ELNS1_3gpuE7ELNS1_3repE0EEENS1_30default_config_static_selectorELNS0_4arch9wavefront6targetE0EEEvT1_.has_indirect_call, 0
	.section	.AMDGPU.csdata,"",@progbits
; Kernel info:
; codeLenInByte = 0
; TotalNumSgprs: 0
; NumVgprs: 0
; ScratchSize: 0
; MemoryBound: 0
; FloatMode: 240
; IeeeMode: 1
; LDSByteSize: 0 bytes/workgroup (compile time only)
; SGPRBlocks: 0
; VGPRBlocks: 0
; NumSGPRsForWavesPerEU: 1
; NumVGPRsForWavesPerEU: 1
; NamedBarCnt: 0
; Occupancy: 16
; WaveLimiterHint : 0
; COMPUTE_PGM_RSRC2:SCRATCH_EN: 0
; COMPUTE_PGM_RSRC2:USER_SGPR: 2
; COMPUTE_PGM_RSRC2:TRAP_HANDLER: 0
; COMPUTE_PGM_RSRC2:TGID_X_EN: 1
; COMPUTE_PGM_RSRC2:TGID_Y_EN: 0
; COMPUTE_PGM_RSRC2:TGID_Z_EN: 0
; COMPUTE_PGM_RSRC2:TIDIG_COMP_CNT: 0
	.section	.text._ZN7rocprim17ROCPRIM_400000_NS6detail17trampoline_kernelINS0_14default_configENS1_25transform_config_selectorI12hip_bfloat16Lb1EEEZNS1_14transform_implILb1ES3_S6_PKS5_PS5_NS0_8identityIS5_EEEE10hipError_tT2_T3_mT4_P12ihipStream_tbEUlT_E_NS1_11comp_targetILNS1_3genE2ELNS1_11target_archE906ELNS1_3gpuE6ELNS1_3repE0EEENS1_30default_config_static_selectorELNS0_4arch9wavefront6targetE0EEEvT1_,"axG",@progbits,_ZN7rocprim17ROCPRIM_400000_NS6detail17trampoline_kernelINS0_14default_configENS1_25transform_config_selectorI12hip_bfloat16Lb1EEEZNS1_14transform_implILb1ES3_S6_PKS5_PS5_NS0_8identityIS5_EEEE10hipError_tT2_T3_mT4_P12ihipStream_tbEUlT_E_NS1_11comp_targetILNS1_3genE2ELNS1_11target_archE906ELNS1_3gpuE6ELNS1_3repE0EEENS1_30default_config_static_selectorELNS0_4arch9wavefront6targetE0EEEvT1_,comdat
	.protected	_ZN7rocprim17ROCPRIM_400000_NS6detail17trampoline_kernelINS0_14default_configENS1_25transform_config_selectorI12hip_bfloat16Lb1EEEZNS1_14transform_implILb1ES3_S6_PKS5_PS5_NS0_8identityIS5_EEEE10hipError_tT2_T3_mT4_P12ihipStream_tbEUlT_E_NS1_11comp_targetILNS1_3genE2ELNS1_11target_archE906ELNS1_3gpuE6ELNS1_3repE0EEENS1_30default_config_static_selectorELNS0_4arch9wavefront6targetE0EEEvT1_ ; -- Begin function _ZN7rocprim17ROCPRIM_400000_NS6detail17trampoline_kernelINS0_14default_configENS1_25transform_config_selectorI12hip_bfloat16Lb1EEEZNS1_14transform_implILb1ES3_S6_PKS5_PS5_NS0_8identityIS5_EEEE10hipError_tT2_T3_mT4_P12ihipStream_tbEUlT_E_NS1_11comp_targetILNS1_3genE2ELNS1_11target_archE906ELNS1_3gpuE6ELNS1_3repE0EEENS1_30default_config_static_selectorELNS0_4arch9wavefront6targetE0EEEvT1_
	.globl	_ZN7rocprim17ROCPRIM_400000_NS6detail17trampoline_kernelINS0_14default_configENS1_25transform_config_selectorI12hip_bfloat16Lb1EEEZNS1_14transform_implILb1ES3_S6_PKS5_PS5_NS0_8identityIS5_EEEE10hipError_tT2_T3_mT4_P12ihipStream_tbEUlT_E_NS1_11comp_targetILNS1_3genE2ELNS1_11target_archE906ELNS1_3gpuE6ELNS1_3repE0EEENS1_30default_config_static_selectorELNS0_4arch9wavefront6targetE0EEEvT1_
	.p2align	8
	.type	_ZN7rocprim17ROCPRIM_400000_NS6detail17trampoline_kernelINS0_14default_configENS1_25transform_config_selectorI12hip_bfloat16Lb1EEEZNS1_14transform_implILb1ES3_S6_PKS5_PS5_NS0_8identityIS5_EEEE10hipError_tT2_T3_mT4_P12ihipStream_tbEUlT_E_NS1_11comp_targetILNS1_3genE2ELNS1_11target_archE906ELNS1_3gpuE6ELNS1_3repE0EEENS1_30default_config_static_selectorELNS0_4arch9wavefront6targetE0EEEvT1_,@function
_ZN7rocprim17ROCPRIM_400000_NS6detail17trampoline_kernelINS0_14default_configENS1_25transform_config_selectorI12hip_bfloat16Lb1EEEZNS1_14transform_implILb1ES3_S6_PKS5_PS5_NS0_8identityIS5_EEEE10hipError_tT2_T3_mT4_P12ihipStream_tbEUlT_E_NS1_11comp_targetILNS1_3genE2ELNS1_11target_archE906ELNS1_3gpuE6ELNS1_3repE0EEENS1_30default_config_static_selectorELNS0_4arch9wavefront6targetE0EEEvT1_: ; @_ZN7rocprim17ROCPRIM_400000_NS6detail17trampoline_kernelINS0_14default_configENS1_25transform_config_selectorI12hip_bfloat16Lb1EEEZNS1_14transform_implILb1ES3_S6_PKS5_PS5_NS0_8identityIS5_EEEE10hipError_tT2_T3_mT4_P12ihipStream_tbEUlT_E_NS1_11comp_targetILNS1_3genE2ELNS1_11target_archE906ELNS1_3gpuE6ELNS1_3repE0EEENS1_30default_config_static_selectorELNS0_4arch9wavefront6targetE0EEEvT1_
; %bb.0:
	.section	.rodata,"a",@progbits
	.p2align	6, 0x0
	.amdhsa_kernel _ZN7rocprim17ROCPRIM_400000_NS6detail17trampoline_kernelINS0_14default_configENS1_25transform_config_selectorI12hip_bfloat16Lb1EEEZNS1_14transform_implILb1ES3_S6_PKS5_PS5_NS0_8identityIS5_EEEE10hipError_tT2_T3_mT4_P12ihipStream_tbEUlT_E_NS1_11comp_targetILNS1_3genE2ELNS1_11target_archE906ELNS1_3gpuE6ELNS1_3repE0EEENS1_30default_config_static_selectorELNS0_4arch9wavefront6targetE0EEEvT1_
		.amdhsa_group_segment_fixed_size 0
		.amdhsa_private_segment_fixed_size 0
		.amdhsa_kernarg_size 40
		.amdhsa_user_sgpr_count 2
		.amdhsa_user_sgpr_dispatch_ptr 0
		.amdhsa_user_sgpr_queue_ptr 0
		.amdhsa_user_sgpr_kernarg_segment_ptr 1
		.amdhsa_user_sgpr_dispatch_id 0
		.amdhsa_user_sgpr_kernarg_preload_length 0
		.amdhsa_user_sgpr_kernarg_preload_offset 0
		.amdhsa_user_sgpr_private_segment_size 0
		.amdhsa_wavefront_size32 1
		.amdhsa_uses_dynamic_stack 0
		.amdhsa_enable_private_segment 0
		.amdhsa_system_sgpr_workgroup_id_x 1
		.amdhsa_system_sgpr_workgroup_id_y 0
		.amdhsa_system_sgpr_workgroup_id_z 0
		.amdhsa_system_sgpr_workgroup_info 0
		.amdhsa_system_vgpr_workitem_id 0
		.amdhsa_next_free_vgpr 1
		.amdhsa_next_free_sgpr 1
		.amdhsa_named_barrier_count 0
		.amdhsa_reserve_vcc 0
		.amdhsa_float_round_mode_32 0
		.amdhsa_float_round_mode_16_64 0
		.amdhsa_float_denorm_mode_32 3
		.amdhsa_float_denorm_mode_16_64 3
		.amdhsa_fp16_overflow 0
		.amdhsa_memory_ordered 1
		.amdhsa_forward_progress 1
		.amdhsa_inst_pref_size 0
		.amdhsa_round_robin_scheduling 0
		.amdhsa_exception_fp_ieee_invalid_op 0
		.amdhsa_exception_fp_denorm_src 0
		.amdhsa_exception_fp_ieee_div_zero 0
		.amdhsa_exception_fp_ieee_overflow 0
		.amdhsa_exception_fp_ieee_underflow 0
		.amdhsa_exception_fp_ieee_inexact 0
		.amdhsa_exception_int_div_zero 0
	.end_amdhsa_kernel
	.section	.text._ZN7rocprim17ROCPRIM_400000_NS6detail17trampoline_kernelINS0_14default_configENS1_25transform_config_selectorI12hip_bfloat16Lb1EEEZNS1_14transform_implILb1ES3_S6_PKS5_PS5_NS0_8identityIS5_EEEE10hipError_tT2_T3_mT4_P12ihipStream_tbEUlT_E_NS1_11comp_targetILNS1_3genE2ELNS1_11target_archE906ELNS1_3gpuE6ELNS1_3repE0EEENS1_30default_config_static_selectorELNS0_4arch9wavefront6targetE0EEEvT1_,"axG",@progbits,_ZN7rocprim17ROCPRIM_400000_NS6detail17trampoline_kernelINS0_14default_configENS1_25transform_config_selectorI12hip_bfloat16Lb1EEEZNS1_14transform_implILb1ES3_S6_PKS5_PS5_NS0_8identityIS5_EEEE10hipError_tT2_T3_mT4_P12ihipStream_tbEUlT_E_NS1_11comp_targetILNS1_3genE2ELNS1_11target_archE906ELNS1_3gpuE6ELNS1_3repE0EEENS1_30default_config_static_selectorELNS0_4arch9wavefront6targetE0EEEvT1_,comdat
.Lfunc_end1961:
	.size	_ZN7rocprim17ROCPRIM_400000_NS6detail17trampoline_kernelINS0_14default_configENS1_25transform_config_selectorI12hip_bfloat16Lb1EEEZNS1_14transform_implILb1ES3_S6_PKS5_PS5_NS0_8identityIS5_EEEE10hipError_tT2_T3_mT4_P12ihipStream_tbEUlT_E_NS1_11comp_targetILNS1_3genE2ELNS1_11target_archE906ELNS1_3gpuE6ELNS1_3repE0EEENS1_30default_config_static_selectorELNS0_4arch9wavefront6targetE0EEEvT1_, .Lfunc_end1961-_ZN7rocprim17ROCPRIM_400000_NS6detail17trampoline_kernelINS0_14default_configENS1_25transform_config_selectorI12hip_bfloat16Lb1EEEZNS1_14transform_implILb1ES3_S6_PKS5_PS5_NS0_8identityIS5_EEEE10hipError_tT2_T3_mT4_P12ihipStream_tbEUlT_E_NS1_11comp_targetILNS1_3genE2ELNS1_11target_archE906ELNS1_3gpuE6ELNS1_3repE0EEENS1_30default_config_static_selectorELNS0_4arch9wavefront6targetE0EEEvT1_
                                        ; -- End function
	.set _ZN7rocprim17ROCPRIM_400000_NS6detail17trampoline_kernelINS0_14default_configENS1_25transform_config_selectorI12hip_bfloat16Lb1EEEZNS1_14transform_implILb1ES3_S6_PKS5_PS5_NS0_8identityIS5_EEEE10hipError_tT2_T3_mT4_P12ihipStream_tbEUlT_E_NS1_11comp_targetILNS1_3genE2ELNS1_11target_archE906ELNS1_3gpuE6ELNS1_3repE0EEENS1_30default_config_static_selectorELNS0_4arch9wavefront6targetE0EEEvT1_.num_vgpr, 0
	.set _ZN7rocprim17ROCPRIM_400000_NS6detail17trampoline_kernelINS0_14default_configENS1_25transform_config_selectorI12hip_bfloat16Lb1EEEZNS1_14transform_implILb1ES3_S6_PKS5_PS5_NS0_8identityIS5_EEEE10hipError_tT2_T3_mT4_P12ihipStream_tbEUlT_E_NS1_11comp_targetILNS1_3genE2ELNS1_11target_archE906ELNS1_3gpuE6ELNS1_3repE0EEENS1_30default_config_static_selectorELNS0_4arch9wavefront6targetE0EEEvT1_.num_agpr, 0
	.set _ZN7rocprim17ROCPRIM_400000_NS6detail17trampoline_kernelINS0_14default_configENS1_25transform_config_selectorI12hip_bfloat16Lb1EEEZNS1_14transform_implILb1ES3_S6_PKS5_PS5_NS0_8identityIS5_EEEE10hipError_tT2_T3_mT4_P12ihipStream_tbEUlT_E_NS1_11comp_targetILNS1_3genE2ELNS1_11target_archE906ELNS1_3gpuE6ELNS1_3repE0EEENS1_30default_config_static_selectorELNS0_4arch9wavefront6targetE0EEEvT1_.numbered_sgpr, 0
	.set _ZN7rocprim17ROCPRIM_400000_NS6detail17trampoline_kernelINS0_14default_configENS1_25transform_config_selectorI12hip_bfloat16Lb1EEEZNS1_14transform_implILb1ES3_S6_PKS5_PS5_NS0_8identityIS5_EEEE10hipError_tT2_T3_mT4_P12ihipStream_tbEUlT_E_NS1_11comp_targetILNS1_3genE2ELNS1_11target_archE906ELNS1_3gpuE6ELNS1_3repE0EEENS1_30default_config_static_selectorELNS0_4arch9wavefront6targetE0EEEvT1_.num_named_barrier, 0
	.set _ZN7rocprim17ROCPRIM_400000_NS6detail17trampoline_kernelINS0_14default_configENS1_25transform_config_selectorI12hip_bfloat16Lb1EEEZNS1_14transform_implILb1ES3_S6_PKS5_PS5_NS0_8identityIS5_EEEE10hipError_tT2_T3_mT4_P12ihipStream_tbEUlT_E_NS1_11comp_targetILNS1_3genE2ELNS1_11target_archE906ELNS1_3gpuE6ELNS1_3repE0EEENS1_30default_config_static_selectorELNS0_4arch9wavefront6targetE0EEEvT1_.private_seg_size, 0
	.set _ZN7rocprim17ROCPRIM_400000_NS6detail17trampoline_kernelINS0_14default_configENS1_25transform_config_selectorI12hip_bfloat16Lb1EEEZNS1_14transform_implILb1ES3_S6_PKS5_PS5_NS0_8identityIS5_EEEE10hipError_tT2_T3_mT4_P12ihipStream_tbEUlT_E_NS1_11comp_targetILNS1_3genE2ELNS1_11target_archE906ELNS1_3gpuE6ELNS1_3repE0EEENS1_30default_config_static_selectorELNS0_4arch9wavefront6targetE0EEEvT1_.uses_vcc, 0
	.set _ZN7rocprim17ROCPRIM_400000_NS6detail17trampoline_kernelINS0_14default_configENS1_25transform_config_selectorI12hip_bfloat16Lb1EEEZNS1_14transform_implILb1ES3_S6_PKS5_PS5_NS0_8identityIS5_EEEE10hipError_tT2_T3_mT4_P12ihipStream_tbEUlT_E_NS1_11comp_targetILNS1_3genE2ELNS1_11target_archE906ELNS1_3gpuE6ELNS1_3repE0EEENS1_30default_config_static_selectorELNS0_4arch9wavefront6targetE0EEEvT1_.uses_flat_scratch, 0
	.set _ZN7rocprim17ROCPRIM_400000_NS6detail17trampoline_kernelINS0_14default_configENS1_25transform_config_selectorI12hip_bfloat16Lb1EEEZNS1_14transform_implILb1ES3_S6_PKS5_PS5_NS0_8identityIS5_EEEE10hipError_tT2_T3_mT4_P12ihipStream_tbEUlT_E_NS1_11comp_targetILNS1_3genE2ELNS1_11target_archE906ELNS1_3gpuE6ELNS1_3repE0EEENS1_30default_config_static_selectorELNS0_4arch9wavefront6targetE0EEEvT1_.has_dyn_sized_stack, 0
	.set _ZN7rocprim17ROCPRIM_400000_NS6detail17trampoline_kernelINS0_14default_configENS1_25transform_config_selectorI12hip_bfloat16Lb1EEEZNS1_14transform_implILb1ES3_S6_PKS5_PS5_NS0_8identityIS5_EEEE10hipError_tT2_T3_mT4_P12ihipStream_tbEUlT_E_NS1_11comp_targetILNS1_3genE2ELNS1_11target_archE906ELNS1_3gpuE6ELNS1_3repE0EEENS1_30default_config_static_selectorELNS0_4arch9wavefront6targetE0EEEvT1_.has_recursion, 0
	.set _ZN7rocprim17ROCPRIM_400000_NS6detail17trampoline_kernelINS0_14default_configENS1_25transform_config_selectorI12hip_bfloat16Lb1EEEZNS1_14transform_implILb1ES3_S6_PKS5_PS5_NS0_8identityIS5_EEEE10hipError_tT2_T3_mT4_P12ihipStream_tbEUlT_E_NS1_11comp_targetILNS1_3genE2ELNS1_11target_archE906ELNS1_3gpuE6ELNS1_3repE0EEENS1_30default_config_static_selectorELNS0_4arch9wavefront6targetE0EEEvT1_.has_indirect_call, 0
	.section	.AMDGPU.csdata,"",@progbits
; Kernel info:
; codeLenInByte = 0
; TotalNumSgprs: 0
; NumVgprs: 0
; ScratchSize: 0
; MemoryBound: 0
; FloatMode: 240
; IeeeMode: 1
; LDSByteSize: 0 bytes/workgroup (compile time only)
; SGPRBlocks: 0
; VGPRBlocks: 0
; NumSGPRsForWavesPerEU: 1
; NumVGPRsForWavesPerEU: 1
; NamedBarCnt: 0
; Occupancy: 16
; WaveLimiterHint : 0
; COMPUTE_PGM_RSRC2:SCRATCH_EN: 0
; COMPUTE_PGM_RSRC2:USER_SGPR: 2
; COMPUTE_PGM_RSRC2:TRAP_HANDLER: 0
; COMPUTE_PGM_RSRC2:TGID_X_EN: 1
; COMPUTE_PGM_RSRC2:TGID_Y_EN: 0
; COMPUTE_PGM_RSRC2:TGID_Z_EN: 0
; COMPUTE_PGM_RSRC2:TIDIG_COMP_CNT: 0
	.section	.text._ZN7rocprim17ROCPRIM_400000_NS6detail17trampoline_kernelINS0_14default_configENS1_25transform_config_selectorI12hip_bfloat16Lb1EEEZNS1_14transform_implILb1ES3_S6_PKS5_PS5_NS0_8identityIS5_EEEE10hipError_tT2_T3_mT4_P12ihipStream_tbEUlT_E_NS1_11comp_targetILNS1_3genE9ELNS1_11target_archE1100ELNS1_3gpuE3ELNS1_3repE0EEENS1_30default_config_static_selectorELNS0_4arch9wavefront6targetE0EEEvT1_,"axG",@progbits,_ZN7rocprim17ROCPRIM_400000_NS6detail17trampoline_kernelINS0_14default_configENS1_25transform_config_selectorI12hip_bfloat16Lb1EEEZNS1_14transform_implILb1ES3_S6_PKS5_PS5_NS0_8identityIS5_EEEE10hipError_tT2_T3_mT4_P12ihipStream_tbEUlT_E_NS1_11comp_targetILNS1_3genE9ELNS1_11target_archE1100ELNS1_3gpuE3ELNS1_3repE0EEENS1_30default_config_static_selectorELNS0_4arch9wavefront6targetE0EEEvT1_,comdat
	.protected	_ZN7rocprim17ROCPRIM_400000_NS6detail17trampoline_kernelINS0_14default_configENS1_25transform_config_selectorI12hip_bfloat16Lb1EEEZNS1_14transform_implILb1ES3_S6_PKS5_PS5_NS0_8identityIS5_EEEE10hipError_tT2_T3_mT4_P12ihipStream_tbEUlT_E_NS1_11comp_targetILNS1_3genE9ELNS1_11target_archE1100ELNS1_3gpuE3ELNS1_3repE0EEENS1_30default_config_static_selectorELNS0_4arch9wavefront6targetE0EEEvT1_ ; -- Begin function _ZN7rocprim17ROCPRIM_400000_NS6detail17trampoline_kernelINS0_14default_configENS1_25transform_config_selectorI12hip_bfloat16Lb1EEEZNS1_14transform_implILb1ES3_S6_PKS5_PS5_NS0_8identityIS5_EEEE10hipError_tT2_T3_mT4_P12ihipStream_tbEUlT_E_NS1_11comp_targetILNS1_3genE9ELNS1_11target_archE1100ELNS1_3gpuE3ELNS1_3repE0EEENS1_30default_config_static_selectorELNS0_4arch9wavefront6targetE0EEEvT1_
	.globl	_ZN7rocprim17ROCPRIM_400000_NS6detail17trampoline_kernelINS0_14default_configENS1_25transform_config_selectorI12hip_bfloat16Lb1EEEZNS1_14transform_implILb1ES3_S6_PKS5_PS5_NS0_8identityIS5_EEEE10hipError_tT2_T3_mT4_P12ihipStream_tbEUlT_E_NS1_11comp_targetILNS1_3genE9ELNS1_11target_archE1100ELNS1_3gpuE3ELNS1_3repE0EEENS1_30default_config_static_selectorELNS0_4arch9wavefront6targetE0EEEvT1_
	.p2align	8
	.type	_ZN7rocprim17ROCPRIM_400000_NS6detail17trampoline_kernelINS0_14default_configENS1_25transform_config_selectorI12hip_bfloat16Lb1EEEZNS1_14transform_implILb1ES3_S6_PKS5_PS5_NS0_8identityIS5_EEEE10hipError_tT2_T3_mT4_P12ihipStream_tbEUlT_E_NS1_11comp_targetILNS1_3genE9ELNS1_11target_archE1100ELNS1_3gpuE3ELNS1_3repE0EEENS1_30default_config_static_selectorELNS0_4arch9wavefront6targetE0EEEvT1_,@function
_ZN7rocprim17ROCPRIM_400000_NS6detail17trampoline_kernelINS0_14default_configENS1_25transform_config_selectorI12hip_bfloat16Lb1EEEZNS1_14transform_implILb1ES3_S6_PKS5_PS5_NS0_8identityIS5_EEEE10hipError_tT2_T3_mT4_P12ihipStream_tbEUlT_E_NS1_11comp_targetILNS1_3genE9ELNS1_11target_archE1100ELNS1_3gpuE3ELNS1_3repE0EEENS1_30default_config_static_selectorELNS0_4arch9wavefront6targetE0EEEvT1_: ; @_ZN7rocprim17ROCPRIM_400000_NS6detail17trampoline_kernelINS0_14default_configENS1_25transform_config_selectorI12hip_bfloat16Lb1EEEZNS1_14transform_implILb1ES3_S6_PKS5_PS5_NS0_8identityIS5_EEEE10hipError_tT2_T3_mT4_P12ihipStream_tbEUlT_E_NS1_11comp_targetILNS1_3genE9ELNS1_11target_archE1100ELNS1_3gpuE3ELNS1_3repE0EEENS1_30default_config_static_selectorELNS0_4arch9wavefront6targetE0EEEvT1_
; %bb.0:
	.section	.rodata,"a",@progbits
	.p2align	6, 0x0
	.amdhsa_kernel _ZN7rocprim17ROCPRIM_400000_NS6detail17trampoline_kernelINS0_14default_configENS1_25transform_config_selectorI12hip_bfloat16Lb1EEEZNS1_14transform_implILb1ES3_S6_PKS5_PS5_NS0_8identityIS5_EEEE10hipError_tT2_T3_mT4_P12ihipStream_tbEUlT_E_NS1_11comp_targetILNS1_3genE9ELNS1_11target_archE1100ELNS1_3gpuE3ELNS1_3repE0EEENS1_30default_config_static_selectorELNS0_4arch9wavefront6targetE0EEEvT1_
		.amdhsa_group_segment_fixed_size 0
		.amdhsa_private_segment_fixed_size 0
		.amdhsa_kernarg_size 40
		.amdhsa_user_sgpr_count 2
		.amdhsa_user_sgpr_dispatch_ptr 0
		.amdhsa_user_sgpr_queue_ptr 0
		.amdhsa_user_sgpr_kernarg_segment_ptr 1
		.amdhsa_user_sgpr_dispatch_id 0
		.amdhsa_user_sgpr_kernarg_preload_length 0
		.amdhsa_user_sgpr_kernarg_preload_offset 0
		.amdhsa_user_sgpr_private_segment_size 0
		.amdhsa_wavefront_size32 1
		.amdhsa_uses_dynamic_stack 0
		.amdhsa_enable_private_segment 0
		.amdhsa_system_sgpr_workgroup_id_x 1
		.amdhsa_system_sgpr_workgroup_id_y 0
		.amdhsa_system_sgpr_workgroup_id_z 0
		.amdhsa_system_sgpr_workgroup_info 0
		.amdhsa_system_vgpr_workitem_id 0
		.amdhsa_next_free_vgpr 1
		.amdhsa_next_free_sgpr 1
		.amdhsa_named_barrier_count 0
		.amdhsa_reserve_vcc 0
		.amdhsa_float_round_mode_32 0
		.amdhsa_float_round_mode_16_64 0
		.amdhsa_float_denorm_mode_32 3
		.amdhsa_float_denorm_mode_16_64 3
		.amdhsa_fp16_overflow 0
		.amdhsa_memory_ordered 1
		.amdhsa_forward_progress 1
		.amdhsa_inst_pref_size 0
		.amdhsa_round_robin_scheduling 0
		.amdhsa_exception_fp_ieee_invalid_op 0
		.amdhsa_exception_fp_denorm_src 0
		.amdhsa_exception_fp_ieee_div_zero 0
		.amdhsa_exception_fp_ieee_overflow 0
		.amdhsa_exception_fp_ieee_underflow 0
		.amdhsa_exception_fp_ieee_inexact 0
		.amdhsa_exception_int_div_zero 0
	.end_amdhsa_kernel
	.section	.text._ZN7rocprim17ROCPRIM_400000_NS6detail17trampoline_kernelINS0_14default_configENS1_25transform_config_selectorI12hip_bfloat16Lb1EEEZNS1_14transform_implILb1ES3_S6_PKS5_PS5_NS0_8identityIS5_EEEE10hipError_tT2_T3_mT4_P12ihipStream_tbEUlT_E_NS1_11comp_targetILNS1_3genE9ELNS1_11target_archE1100ELNS1_3gpuE3ELNS1_3repE0EEENS1_30default_config_static_selectorELNS0_4arch9wavefront6targetE0EEEvT1_,"axG",@progbits,_ZN7rocprim17ROCPRIM_400000_NS6detail17trampoline_kernelINS0_14default_configENS1_25transform_config_selectorI12hip_bfloat16Lb1EEEZNS1_14transform_implILb1ES3_S6_PKS5_PS5_NS0_8identityIS5_EEEE10hipError_tT2_T3_mT4_P12ihipStream_tbEUlT_E_NS1_11comp_targetILNS1_3genE9ELNS1_11target_archE1100ELNS1_3gpuE3ELNS1_3repE0EEENS1_30default_config_static_selectorELNS0_4arch9wavefront6targetE0EEEvT1_,comdat
.Lfunc_end1962:
	.size	_ZN7rocprim17ROCPRIM_400000_NS6detail17trampoline_kernelINS0_14default_configENS1_25transform_config_selectorI12hip_bfloat16Lb1EEEZNS1_14transform_implILb1ES3_S6_PKS5_PS5_NS0_8identityIS5_EEEE10hipError_tT2_T3_mT4_P12ihipStream_tbEUlT_E_NS1_11comp_targetILNS1_3genE9ELNS1_11target_archE1100ELNS1_3gpuE3ELNS1_3repE0EEENS1_30default_config_static_selectorELNS0_4arch9wavefront6targetE0EEEvT1_, .Lfunc_end1962-_ZN7rocprim17ROCPRIM_400000_NS6detail17trampoline_kernelINS0_14default_configENS1_25transform_config_selectorI12hip_bfloat16Lb1EEEZNS1_14transform_implILb1ES3_S6_PKS5_PS5_NS0_8identityIS5_EEEE10hipError_tT2_T3_mT4_P12ihipStream_tbEUlT_E_NS1_11comp_targetILNS1_3genE9ELNS1_11target_archE1100ELNS1_3gpuE3ELNS1_3repE0EEENS1_30default_config_static_selectorELNS0_4arch9wavefront6targetE0EEEvT1_
                                        ; -- End function
	.set _ZN7rocprim17ROCPRIM_400000_NS6detail17trampoline_kernelINS0_14default_configENS1_25transform_config_selectorI12hip_bfloat16Lb1EEEZNS1_14transform_implILb1ES3_S6_PKS5_PS5_NS0_8identityIS5_EEEE10hipError_tT2_T3_mT4_P12ihipStream_tbEUlT_E_NS1_11comp_targetILNS1_3genE9ELNS1_11target_archE1100ELNS1_3gpuE3ELNS1_3repE0EEENS1_30default_config_static_selectorELNS0_4arch9wavefront6targetE0EEEvT1_.num_vgpr, 0
	.set _ZN7rocprim17ROCPRIM_400000_NS6detail17trampoline_kernelINS0_14default_configENS1_25transform_config_selectorI12hip_bfloat16Lb1EEEZNS1_14transform_implILb1ES3_S6_PKS5_PS5_NS0_8identityIS5_EEEE10hipError_tT2_T3_mT4_P12ihipStream_tbEUlT_E_NS1_11comp_targetILNS1_3genE9ELNS1_11target_archE1100ELNS1_3gpuE3ELNS1_3repE0EEENS1_30default_config_static_selectorELNS0_4arch9wavefront6targetE0EEEvT1_.num_agpr, 0
	.set _ZN7rocprim17ROCPRIM_400000_NS6detail17trampoline_kernelINS0_14default_configENS1_25transform_config_selectorI12hip_bfloat16Lb1EEEZNS1_14transform_implILb1ES3_S6_PKS5_PS5_NS0_8identityIS5_EEEE10hipError_tT2_T3_mT4_P12ihipStream_tbEUlT_E_NS1_11comp_targetILNS1_3genE9ELNS1_11target_archE1100ELNS1_3gpuE3ELNS1_3repE0EEENS1_30default_config_static_selectorELNS0_4arch9wavefront6targetE0EEEvT1_.numbered_sgpr, 0
	.set _ZN7rocprim17ROCPRIM_400000_NS6detail17trampoline_kernelINS0_14default_configENS1_25transform_config_selectorI12hip_bfloat16Lb1EEEZNS1_14transform_implILb1ES3_S6_PKS5_PS5_NS0_8identityIS5_EEEE10hipError_tT2_T3_mT4_P12ihipStream_tbEUlT_E_NS1_11comp_targetILNS1_3genE9ELNS1_11target_archE1100ELNS1_3gpuE3ELNS1_3repE0EEENS1_30default_config_static_selectorELNS0_4arch9wavefront6targetE0EEEvT1_.num_named_barrier, 0
	.set _ZN7rocprim17ROCPRIM_400000_NS6detail17trampoline_kernelINS0_14default_configENS1_25transform_config_selectorI12hip_bfloat16Lb1EEEZNS1_14transform_implILb1ES3_S6_PKS5_PS5_NS0_8identityIS5_EEEE10hipError_tT2_T3_mT4_P12ihipStream_tbEUlT_E_NS1_11comp_targetILNS1_3genE9ELNS1_11target_archE1100ELNS1_3gpuE3ELNS1_3repE0EEENS1_30default_config_static_selectorELNS0_4arch9wavefront6targetE0EEEvT1_.private_seg_size, 0
	.set _ZN7rocprim17ROCPRIM_400000_NS6detail17trampoline_kernelINS0_14default_configENS1_25transform_config_selectorI12hip_bfloat16Lb1EEEZNS1_14transform_implILb1ES3_S6_PKS5_PS5_NS0_8identityIS5_EEEE10hipError_tT2_T3_mT4_P12ihipStream_tbEUlT_E_NS1_11comp_targetILNS1_3genE9ELNS1_11target_archE1100ELNS1_3gpuE3ELNS1_3repE0EEENS1_30default_config_static_selectorELNS0_4arch9wavefront6targetE0EEEvT1_.uses_vcc, 0
	.set _ZN7rocprim17ROCPRIM_400000_NS6detail17trampoline_kernelINS0_14default_configENS1_25transform_config_selectorI12hip_bfloat16Lb1EEEZNS1_14transform_implILb1ES3_S6_PKS5_PS5_NS0_8identityIS5_EEEE10hipError_tT2_T3_mT4_P12ihipStream_tbEUlT_E_NS1_11comp_targetILNS1_3genE9ELNS1_11target_archE1100ELNS1_3gpuE3ELNS1_3repE0EEENS1_30default_config_static_selectorELNS0_4arch9wavefront6targetE0EEEvT1_.uses_flat_scratch, 0
	.set _ZN7rocprim17ROCPRIM_400000_NS6detail17trampoline_kernelINS0_14default_configENS1_25transform_config_selectorI12hip_bfloat16Lb1EEEZNS1_14transform_implILb1ES3_S6_PKS5_PS5_NS0_8identityIS5_EEEE10hipError_tT2_T3_mT4_P12ihipStream_tbEUlT_E_NS1_11comp_targetILNS1_3genE9ELNS1_11target_archE1100ELNS1_3gpuE3ELNS1_3repE0EEENS1_30default_config_static_selectorELNS0_4arch9wavefront6targetE0EEEvT1_.has_dyn_sized_stack, 0
	.set _ZN7rocprim17ROCPRIM_400000_NS6detail17trampoline_kernelINS0_14default_configENS1_25transform_config_selectorI12hip_bfloat16Lb1EEEZNS1_14transform_implILb1ES3_S6_PKS5_PS5_NS0_8identityIS5_EEEE10hipError_tT2_T3_mT4_P12ihipStream_tbEUlT_E_NS1_11comp_targetILNS1_3genE9ELNS1_11target_archE1100ELNS1_3gpuE3ELNS1_3repE0EEENS1_30default_config_static_selectorELNS0_4arch9wavefront6targetE0EEEvT1_.has_recursion, 0
	.set _ZN7rocprim17ROCPRIM_400000_NS6detail17trampoline_kernelINS0_14default_configENS1_25transform_config_selectorI12hip_bfloat16Lb1EEEZNS1_14transform_implILb1ES3_S6_PKS5_PS5_NS0_8identityIS5_EEEE10hipError_tT2_T3_mT4_P12ihipStream_tbEUlT_E_NS1_11comp_targetILNS1_3genE9ELNS1_11target_archE1100ELNS1_3gpuE3ELNS1_3repE0EEENS1_30default_config_static_selectorELNS0_4arch9wavefront6targetE0EEEvT1_.has_indirect_call, 0
	.section	.AMDGPU.csdata,"",@progbits
; Kernel info:
; codeLenInByte = 0
; TotalNumSgprs: 0
; NumVgprs: 0
; ScratchSize: 0
; MemoryBound: 0
; FloatMode: 240
; IeeeMode: 1
; LDSByteSize: 0 bytes/workgroup (compile time only)
; SGPRBlocks: 0
; VGPRBlocks: 0
; NumSGPRsForWavesPerEU: 1
; NumVGPRsForWavesPerEU: 1
; NamedBarCnt: 0
; Occupancy: 16
; WaveLimiterHint : 0
; COMPUTE_PGM_RSRC2:SCRATCH_EN: 0
; COMPUTE_PGM_RSRC2:USER_SGPR: 2
; COMPUTE_PGM_RSRC2:TRAP_HANDLER: 0
; COMPUTE_PGM_RSRC2:TGID_X_EN: 1
; COMPUTE_PGM_RSRC2:TGID_Y_EN: 0
; COMPUTE_PGM_RSRC2:TGID_Z_EN: 0
; COMPUTE_PGM_RSRC2:TIDIG_COMP_CNT: 0
	.section	.text._ZN7rocprim17ROCPRIM_400000_NS6detail17trampoline_kernelINS0_14default_configENS1_25transform_config_selectorI12hip_bfloat16Lb1EEEZNS1_14transform_implILb1ES3_S6_PKS5_PS5_NS0_8identityIS5_EEEE10hipError_tT2_T3_mT4_P12ihipStream_tbEUlT_E_NS1_11comp_targetILNS1_3genE8ELNS1_11target_archE1030ELNS1_3gpuE2ELNS1_3repE0EEENS1_30default_config_static_selectorELNS0_4arch9wavefront6targetE0EEEvT1_,"axG",@progbits,_ZN7rocprim17ROCPRIM_400000_NS6detail17trampoline_kernelINS0_14default_configENS1_25transform_config_selectorI12hip_bfloat16Lb1EEEZNS1_14transform_implILb1ES3_S6_PKS5_PS5_NS0_8identityIS5_EEEE10hipError_tT2_T3_mT4_P12ihipStream_tbEUlT_E_NS1_11comp_targetILNS1_3genE8ELNS1_11target_archE1030ELNS1_3gpuE2ELNS1_3repE0EEENS1_30default_config_static_selectorELNS0_4arch9wavefront6targetE0EEEvT1_,comdat
	.protected	_ZN7rocprim17ROCPRIM_400000_NS6detail17trampoline_kernelINS0_14default_configENS1_25transform_config_selectorI12hip_bfloat16Lb1EEEZNS1_14transform_implILb1ES3_S6_PKS5_PS5_NS0_8identityIS5_EEEE10hipError_tT2_T3_mT4_P12ihipStream_tbEUlT_E_NS1_11comp_targetILNS1_3genE8ELNS1_11target_archE1030ELNS1_3gpuE2ELNS1_3repE0EEENS1_30default_config_static_selectorELNS0_4arch9wavefront6targetE0EEEvT1_ ; -- Begin function _ZN7rocprim17ROCPRIM_400000_NS6detail17trampoline_kernelINS0_14default_configENS1_25transform_config_selectorI12hip_bfloat16Lb1EEEZNS1_14transform_implILb1ES3_S6_PKS5_PS5_NS0_8identityIS5_EEEE10hipError_tT2_T3_mT4_P12ihipStream_tbEUlT_E_NS1_11comp_targetILNS1_3genE8ELNS1_11target_archE1030ELNS1_3gpuE2ELNS1_3repE0EEENS1_30default_config_static_selectorELNS0_4arch9wavefront6targetE0EEEvT1_
	.globl	_ZN7rocprim17ROCPRIM_400000_NS6detail17trampoline_kernelINS0_14default_configENS1_25transform_config_selectorI12hip_bfloat16Lb1EEEZNS1_14transform_implILb1ES3_S6_PKS5_PS5_NS0_8identityIS5_EEEE10hipError_tT2_T3_mT4_P12ihipStream_tbEUlT_E_NS1_11comp_targetILNS1_3genE8ELNS1_11target_archE1030ELNS1_3gpuE2ELNS1_3repE0EEENS1_30default_config_static_selectorELNS0_4arch9wavefront6targetE0EEEvT1_
	.p2align	8
	.type	_ZN7rocprim17ROCPRIM_400000_NS6detail17trampoline_kernelINS0_14default_configENS1_25transform_config_selectorI12hip_bfloat16Lb1EEEZNS1_14transform_implILb1ES3_S6_PKS5_PS5_NS0_8identityIS5_EEEE10hipError_tT2_T3_mT4_P12ihipStream_tbEUlT_E_NS1_11comp_targetILNS1_3genE8ELNS1_11target_archE1030ELNS1_3gpuE2ELNS1_3repE0EEENS1_30default_config_static_selectorELNS0_4arch9wavefront6targetE0EEEvT1_,@function
_ZN7rocprim17ROCPRIM_400000_NS6detail17trampoline_kernelINS0_14default_configENS1_25transform_config_selectorI12hip_bfloat16Lb1EEEZNS1_14transform_implILb1ES3_S6_PKS5_PS5_NS0_8identityIS5_EEEE10hipError_tT2_T3_mT4_P12ihipStream_tbEUlT_E_NS1_11comp_targetILNS1_3genE8ELNS1_11target_archE1030ELNS1_3gpuE2ELNS1_3repE0EEENS1_30default_config_static_selectorELNS0_4arch9wavefront6targetE0EEEvT1_: ; @_ZN7rocprim17ROCPRIM_400000_NS6detail17trampoline_kernelINS0_14default_configENS1_25transform_config_selectorI12hip_bfloat16Lb1EEEZNS1_14transform_implILb1ES3_S6_PKS5_PS5_NS0_8identityIS5_EEEE10hipError_tT2_T3_mT4_P12ihipStream_tbEUlT_E_NS1_11comp_targetILNS1_3genE8ELNS1_11target_archE1030ELNS1_3gpuE2ELNS1_3repE0EEENS1_30default_config_static_selectorELNS0_4arch9wavefront6targetE0EEEvT1_
; %bb.0:
	.section	.rodata,"a",@progbits
	.p2align	6, 0x0
	.amdhsa_kernel _ZN7rocprim17ROCPRIM_400000_NS6detail17trampoline_kernelINS0_14default_configENS1_25transform_config_selectorI12hip_bfloat16Lb1EEEZNS1_14transform_implILb1ES3_S6_PKS5_PS5_NS0_8identityIS5_EEEE10hipError_tT2_T3_mT4_P12ihipStream_tbEUlT_E_NS1_11comp_targetILNS1_3genE8ELNS1_11target_archE1030ELNS1_3gpuE2ELNS1_3repE0EEENS1_30default_config_static_selectorELNS0_4arch9wavefront6targetE0EEEvT1_
		.amdhsa_group_segment_fixed_size 0
		.amdhsa_private_segment_fixed_size 0
		.amdhsa_kernarg_size 40
		.amdhsa_user_sgpr_count 2
		.amdhsa_user_sgpr_dispatch_ptr 0
		.amdhsa_user_sgpr_queue_ptr 0
		.amdhsa_user_sgpr_kernarg_segment_ptr 1
		.amdhsa_user_sgpr_dispatch_id 0
		.amdhsa_user_sgpr_kernarg_preload_length 0
		.amdhsa_user_sgpr_kernarg_preload_offset 0
		.amdhsa_user_sgpr_private_segment_size 0
		.amdhsa_wavefront_size32 1
		.amdhsa_uses_dynamic_stack 0
		.amdhsa_enable_private_segment 0
		.amdhsa_system_sgpr_workgroup_id_x 1
		.amdhsa_system_sgpr_workgroup_id_y 0
		.amdhsa_system_sgpr_workgroup_id_z 0
		.amdhsa_system_sgpr_workgroup_info 0
		.amdhsa_system_vgpr_workitem_id 0
		.amdhsa_next_free_vgpr 1
		.amdhsa_next_free_sgpr 1
		.amdhsa_named_barrier_count 0
		.amdhsa_reserve_vcc 0
		.amdhsa_float_round_mode_32 0
		.amdhsa_float_round_mode_16_64 0
		.amdhsa_float_denorm_mode_32 3
		.amdhsa_float_denorm_mode_16_64 3
		.amdhsa_fp16_overflow 0
		.amdhsa_memory_ordered 1
		.amdhsa_forward_progress 1
		.amdhsa_inst_pref_size 0
		.amdhsa_round_robin_scheduling 0
		.amdhsa_exception_fp_ieee_invalid_op 0
		.amdhsa_exception_fp_denorm_src 0
		.amdhsa_exception_fp_ieee_div_zero 0
		.amdhsa_exception_fp_ieee_overflow 0
		.amdhsa_exception_fp_ieee_underflow 0
		.amdhsa_exception_fp_ieee_inexact 0
		.amdhsa_exception_int_div_zero 0
	.end_amdhsa_kernel
	.section	.text._ZN7rocprim17ROCPRIM_400000_NS6detail17trampoline_kernelINS0_14default_configENS1_25transform_config_selectorI12hip_bfloat16Lb1EEEZNS1_14transform_implILb1ES3_S6_PKS5_PS5_NS0_8identityIS5_EEEE10hipError_tT2_T3_mT4_P12ihipStream_tbEUlT_E_NS1_11comp_targetILNS1_3genE8ELNS1_11target_archE1030ELNS1_3gpuE2ELNS1_3repE0EEENS1_30default_config_static_selectorELNS0_4arch9wavefront6targetE0EEEvT1_,"axG",@progbits,_ZN7rocprim17ROCPRIM_400000_NS6detail17trampoline_kernelINS0_14default_configENS1_25transform_config_selectorI12hip_bfloat16Lb1EEEZNS1_14transform_implILb1ES3_S6_PKS5_PS5_NS0_8identityIS5_EEEE10hipError_tT2_T3_mT4_P12ihipStream_tbEUlT_E_NS1_11comp_targetILNS1_3genE8ELNS1_11target_archE1030ELNS1_3gpuE2ELNS1_3repE0EEENS1_30default_config_static_selectorELNS0_4arch9wavefront6targetE0EEEvT1_,comdat
.Lfunc_end1963:
	.size	_ZN7rocprim17ROCPRIM_400000_NS6detail17trampoline_kernelINS0_14default_configENS1_25transform_config_selectorI12hip_bfloat16Lb1EEEZNS1_14transform_implILb1ES3_S6_PKS5_PS5_NS0_8identityIS5_EEEE10hipError_tT2_T3_mT4_P12ihipStream_tbEUlT_E_NS1_11comp_targetILNS1_3genE8ELNS1_11target_archE1030ELNS1_3gpuE2ELNS1_3repE0EEENS1_30default_config_static_selectorELNS0_4arch9wavefront6targetE0EEEvT1_, .Lfunc_end1963-_ZN7rocprim17ROCPRIM_400000_NS6detail17trampoline_kernelINS0_14default_configENS1_25transform_config_selectorI12hip_bfloat16Lb1EEEZNS1_14transform_implILb1ES3_S6_PKS5_PS5_NS0_8identityIS5_EEEE10hipError_tT2_T3_mT4_P12ihipStream_tbEUlT_E_NS1_11comp_targetILNS1_3genE8ELNS1_11target_archE1030ELNS1_3gpuE2ELNS1_3repE0EEENS1_30default_config_static_selectorELNS0_4arch9wavefront6targetE0EEEvT1_
                                        ; -- End function
	.set _ZN7rocprim17ROCPRIM_400000_NS6detail17trampoline_kernelINS0_14default_configENS1_25transform_config_selectorI12hip_bfloat16Lb1EEEZNS1_14transform_implILb1ES3_S6_PKS5_PS5_NS0_8identityIS5_EEEE10hipError_tT2_T3_mT4_P12ihipStream_tbEUlT_E_NS1_11comp_targetILNS1_3genE8ELNS1_11target_archE1030ELNS1_3gpuE2ELNS1_3repE0EEENS1_30default_config_static_selectorELNS0_4arch9wavefront6targetE0EEEvT1_.num_vgpr, 0
	.set _ZN7rocprim17ROCPRIM_400000_NS6detail17trampoline_kernelINS0_14default_configENS1_25transform_config_selectorI12hip_bfloat16Lb1EEEZNS1_14transform_implILb1ES3_S6_PKS5_PS5_NS0_8identityIS5_EEEE10hipError_tT2_T3_mT4_P12ihipStream_tbEUlT_E_NS1_11comp_targetILNS1_3genE8ELNS1_11target_archE1030ELNS1_3gpuE2ELNS1_3repE0EEENS1_30default_config_static_selectorELNS0_4arch9wavefront6targetE0EEEvT1_.num_agpr, 0
	.set _ZN7rocprim17ROCPRIM_400000_NS6detail17trampoline_kernelINS0_14default_configENS1_25transform_config_selectorI12hip_bfloat16Lb1EEEZNS1_14transform_implILb1ES3_S6_PKS5_PS5_NS0_8identityIS5_EEEE10hipError_tT2_T3_mT4_P12ihipStream_tbEUlT_E_NS1_11comp_targetILNS1_3genE8ELNS1_11target_archE1030ELNS1_3gpuE2ELNS1_3repE0EEENS1_30default_config_static_selectorELNS0_4arch9wavefront6targetE0EEEvT1_.numbered_sgpr, 0
	.set _ZN7rocprim17ROCPRIM_400000_NS6detail17trampoline_kernelINS0_14default_configENS1_25transform_config_selectorI12hip_bfloat16Lb1EEEZNS1_14transform_implILb1ES3_S6_PKS5_PS5_NS0_8identityIS5_EEEE10hipError_tT2_T3_mT4_P12ihipStream_tbEUlT_E_NS1_11comp_targetILNS1_3genE8ELNS1_11target_archE1030ELNS1_3gpuE2ELNS1_3repE0EEENS1_30default_config_static_selectorELNS0_4arch9wavefront6targetE0EEEvT1_.num_named_barrier, 0
	.set _ZN7rocprim17ROCPRIM_400000_NS6detail17trampoline_kernelINS0_14default_configENS1_25transform_config_selectorI12hip_bfloat16Lb1EEEZNS1_14transform_implILb1ES3_S6_PKS5_PS5_NS0_8identityIS5_EEEE10hipError_tT2_T3_mT4_P12ihipStream_tbEUlT_E_NS1_11comp_targetILNS1_3genE8ELNS1_11target_archE1030ELNS1_3gpuE2ELNS1_3repE0EEENS1_30default_config_static_selectorELNS0_4arch9wavefront6targetE0EEEvT1_.private_seg_size, 0
	.set _ZN7rocprim17ROCPRIM_400000_NS6detail17trampoline_kernelINS0_14default_configENS1_25transform_config_selectorI12hip_bfloat16Lb1EEEZNS1_14transform_implILb1ES3_S6_PKS5_PS5_NS0_8identityIS5_EEEE10hipError_tT2_T3_mT4_P12ihipStream_tbEUlT_E_NS1_11comp_targetILNS1_3genE8ELNS1_11target_archE1030ELNS1_3gpuE2ELNS1_3repE0EEENS1_30default_config_static_selectorELNS0_4arch9wavefront6targetE0EEEvT1_.uses_vcc, 0
	.set _ZN7rocprim17ROCPRIM_400000_NS6detail17trampoline_kernelINS0_14default_configENS1_25transform_config_selectorI12hip_bfloat16Lb1EEEZNS1_14transform_implILb1ES3_S6_PKS5_PS5_NS0_8identityIS5_EEEE10hipError_tT2_T3_mT4_P12ihipStream_tbEUlT_E_NS1_11comp_targetILNS1_3genE8ELNS1_11target_archE1030ELNS1_3gpuE2ELNS1_3repE0EEENS1_30default_config_static_selectorELNS0_4arch9wavefront6targetE0EEEvT1_.uses_flat_scratch, 0
	.set _ZN7rocprim17ROCPRIM_400000_NS6detail17trampoline_kernelINS0_14default_configENS1_25transform_config_selectorI12hip_bfloat16Lb1EEEZNS1_14transform_implILb1ES3_S6_PKS5_PS5_NS0_8identityIS5_EEEE10hipError_tT2_T3_mT4_P12ihipStream_tbEUlT_E_NS1_11comp_targetILNS1_3genE8ELNS1_11target_archE1030ELNS1_3gpuE2ELNS1_3repE0EEENS1_30default_config_static_selectorELNS0_4arch9wavefront6targetE0EEEvT1_.has_dyn_sized_stack, 0
	.set _ZN7rocprim17ROCPRIM_400000_NS6detail17trampoline_kernelINS0_14default_configENS1_25transform_config_selectorI12hip_bfloat16Lb1EEEZNS1_14transform_implILb1ES3_S6_PKS5_PS5_NS0_8identityIS5_EEEE10hipError_tT2_T3_mT4_P12ihipStream_tbEUlT_E_NS1_11comp_targetILNS1_3genE8ELNS1_11target_archE1030ELNS1_3gpuE2ELNS1_3repE0EEENS1_30default_config_static_selectorELNS0_4arch9wavefront6targetE0EEEvT1_.has_recursion, 0
	.set _ZN7rocprim17ROCPRIM_400000_NS6detail17trampoline_kernelINS0_14default_configENS1_25transform_config_selectorI12hip_bfloat16Lb1EEEZNS1_14transform_implILb1ES3_S6_PKS5_PS5_NS0_8identityIS5_EEEE10hipError_tT2_T3_mT4_P12ihipStream_tbEUlT_E_NS1_11comp_targetILNS1_3genE8ELNS1_11target_archE1030ELNS1_3gpuE2ELNS1_3repE0EEENS1_30default_config_static_selectorELNS0_4arch9wavefront6targetE0EEEvT1_.has_indirect_call, 0
	.section	.AMDGPU.csdata,"",@progbits
; Kernel info:
; codeLenInByte = 0
; TotalNumSgprs: 0
; NumVgprs: 0
; ScratchSize: 0
; MemoryBound: 0
; FloatMode: 240
; IeeeMode: 1
; LDSByteSize: 0 bytes/workgroup (compile time only)
; SGPRBlocks: 0
; VGPRBlocks: 0
; NumSGPRsForWavesPerEU: 1
; NumVGPRsForWavesPerEU: 1
; NamedBarCnt: 0
; Occupancy: 16
; WaveLimiterHint : 0
; COMPUTE_PGM_RSRC2:SCRATCH_EN: 0
; COMPUTE_PGM_RSRC2:USER_SGPR: 2
; COMPUTE_PGM_RSRC2:TRAP_HANDLER: 0
; COMPUTE_PGM_RSRC2:TGID_X_EN: 1
; COMPUTE_PGM_RSRC2:TGID_Y_EN: 0
; COMPUTE_PGM_RSRC2:TGID_Z_EN: 0
; COMPUTE_PGM_RSRC2:TIDIG_COMP_CNT: 0
	.section	.text._ZN7rocprim17ROCPRIM_400000_NS6detail17trampoline_kernelINS0_14default_configENS1_35radix_sort_onesweep_config_selectorI12hip_bfloat16NS0_10empty_typeEEEZZNS1_29radix_sort_onesweep_iterationIS3_Lb1EPKS5_PS5_PS6_SC_mNS0_19identity_decomposerENS1_16block_id_wrapperIjLb1EEEEE10hipError_tT1_PNSt15iterator_traitsISH_E10value_typeET2_T3_PNSI_ISN_E10value_typeET4_T5_PSS_ST_PNS1_23onesweep_lookback_stateEbbT6_jjT7_P12ihipStream_tbENKUlT_T0_SH_SM_E_clISA_SB_SC_SC_EEDaS10_S11_SH_SM_EUlS10_E_NS1_11comp_targetILNS1_3genE0ELNS1_11target_archE4294967295ELNS1_3gpuE0ELNS1_3repE0EEENS1_47radix_sort_onesweep_sort_config_static_selectorELNS0_4arch9wavefront6targetE0EEEvSH_,"axG",@progbits,_ZN7rocprim17ROCPRIM_400000_NS6detail17trampoline_kernelINS0_14default_configENS1_35radix_sort_onesweep_config_selectorI12hip_bfloat16NS0_10empty_typeEEEZZNS1_29radix_sort_onesweep_iterationIS3_Lb1EPKS5_PS5_PS6_SC_mNS0_19identity_decomposerENS1_16block_id_wrapperIjLb1EEEEE10hipError_tT1_PNSt15iterator_traitsISH_E10value_typeET2_T3_PNSI_ISN_E10value_typeET4_T5_PSS_ST_PNS1_23onesweep_lookback_stateEbbT6_jjT7_P12ihipStream_tbENKUlT_T0_SH_SM_E_clISA_SB_SC_SC_EEDaS10_S11_SH_SM_EUlS10_E_NS1_11comp_targetILNS1_3genE0ELNS1_11target_archE4294967295ELNS1_3gpuE0ELNS1_3repE0EEENS1_47radix_sort_onesweep_sort_config_static_selectorELNS0_4arch9wavefront6targetE0EEEvSH_,comdat
	.protected	_ZN7rocprim17ROCPRIM_400000_NS6detail17trampoline_kernelINS0_14default_configENS1_35radix_sort_onesweep_config_selectorI12hip_bfloat16NS0_10empty_typeEEEZZNS1_29radix_sort_onesweep_iterationIS3_Lb1EPKS5_PS5_PS6_SC_mNS0_19identity_decomposerENS1_16block_id_wrapperIjLb1EEEEE10hipError_tT1_PNSt15iterator_traitsISH_E10value_typeET2_T3_PNSI_ISN_E10value_typeET4_T5_PSS_ST_PNS1_23onesweep_lookback_stateEbbT6_jjT7_P12ihipStream_tbENKUlT_T0_SH_SM_E_clISA_SB_SC_SC_EEDaS10_S11_SH_SM_EUlS10_E_NS1_11comp_targetILNS1_3genE0ELNS1_11target_archE4294967295ELNS1_3gpuE0ELNS1_3repE0EEENS1_47radix_sort_onesweep_sort_config_static_selectorELNS0_4arch9wavefront6targetE0EEEvSH_ ; -- Begin function _ZN7rocprim17ROCPRIM_400000_NS6detail17trampoline_kernelINS0_14default_configENS1_35radix_sort_onesweep_config_selectorI12hip_bfloat16NS0_10empty_typeEEEZZNS1_29radix_sort_onesweep_iterationIS3_Lb1EPKS5_PS5_PS6_SC_mNS0_19identity_decomposerENS1_16block_id_wrapperIjLb1EEEEE10hipError_tT1_PNSt15iterator_traitsISH_E10value_typeET2_T3_PNSI_ISN_E10value_typeET4_T5_PSS_ST_PNS1_23onesweep_lookback_stateEbbT6_jjT7_P12ihipStream_tbENKUlT_T0_SH_SM_E_clISA_SB_SC_SC_EEDaS10_S11_SH_SM_EUlS10_E_NS1_11comp_targetILNS1_3genE0ELNS1_11target_archE4294967295ELNS1_3gpuE0ELNS1_3repE0EEENS1_47radix_sort_onesweep_sort_config_static_selectorELNS0_4arch9wavefront6targetE0EEEvSH_
	.globl	_ZN7rocprim17ROCPRIM_400000_NS6detail17trampoline_kernelINS0_14default_configENS1_35radix_sort_onesweep_config_selectorI12hip_bfloat16NS0_10empty_typeEEEZZNS1_29radix_sort_onesweep_iterationIS3_Lb1EPKS5_PS5_PS6_SC_mNS0_19identity_decomposerENS1_16block_id_wrapperIjLb1EEEEE10hipError_tT1_PNSt15iterator_traitsISH_E10value_typeET2_T3_PNSI_ISN_E10value_typeET4_T5_PSS_ST_PNS1_23onesweep_lookback_stateEbbT6_jjT7_P12ihipStream_tbENKUlT_T0_SH_SM_E_clISA_SB_SC_SC_EEDaS10_S11_SH_SM_EUlS10_E_NS1_11comp_targetILNS1_3genE0ELNS1_11target_archE4294967295ELNS1_3gpuE0ELNS1_3repE0EEENS1_47radix_sort_onesweep_sort_config_static_selectorELNS0_4arch9wavefront6targetE0EEEvSH_
	.p2align	8
	.type	_ZN7rocprim17ROCPRIM_400000_NS6detail17trampoline_kernelINS0_14default_configENS1_35radix_sort_onesweep_config_selectorI12hip_bfloat16NS0_10empty_typeEEEZZNS1_29radix_sort_onesweep_iterationIS3_Lb1EPKS5_PS5_PS6_SC_mNS0_19identity_decomposerENS1_16block_id_wrapperIjLb1EEEEE10hipError_tT1_PNSt15iterator_traitsISH_E10value_typeET2_T3_PNSI_ISN_E10value_typeET4_T5_PSS_ST_PNS1_23onesweep_lookback_stateEbbT6_jjT7_P12ihipStream_tbENKUlT_T0_SH_SM_E_clISA_SB_SC_SC_EEDaS10_S11_SH_SM_EUlS10_E_NS1_11comp_targetILNS1_3genE0ELNS1_11target_archE4294967295ELNS1_3gpuE0ELNS1_3repE0EEENS1_47radix_sort_onesweep_sort_config_static_selectorELNS0_4arch9wavefront6targetE0EEEvSH_,@function
_ZN7rocprim17ROCPRIM_400000_NS6detail17trampoline_kernelINS0_14default_configENS1_35radix_sort_onesweep_config_selectorI12hip_bfloat16NS0_10empty_typeEEEZZNS1_29radix_sort_onesweep_iterationIS3_Lb1EPKS5_PS5_PS6_SC_mNS0_19identity_decomposerENS1_16block_id_wrapperIjLb1EEEEE10hipError_tT1_PNSt15iterator_traitsISH_E10value_typeET2_T3_PNSI_ISN_E10value_typeET4_T5_PSS_ST_PNS1_23onesweep_lookback_stateEbbT6_jjT7_P12ihipStream_tbENKUlT_T0_SH_SM_E_clISA_SB_SC_SC_EEDaS10_S11_SH_SM_EUlS10_E_NS1_11comp_targetILNS1_3genE0ELNS1_11target_archE4294967295ELNS1_3gpuE0ELNS1_3repE0EEENS1_47radix_sort_onesweep_sort_config_static_selectorELNS0_4arch9wavefront6targetE0EEEvSH_: ; @_ZN7rocprim17ROCPRIM_400000_NS6detail17trampoline_kernelINS0_14default_configENS1_35radix_sort_onesweep_config_selectorI12hip_bfloat16NS0_10empty_typeEEEZZNS1_29radix_sort_onesweep_iterationIS3_Lb1EPKS5_PS5_PS6_SC_mNS0_19identity_decomposerENS1_16block_id_wrapperIjLb1EEEEE10hipError_tT1_PNSt15iterator_traitsISH_E10value_typeET2_T3_PNSI_ISN_E10value_typeET4_T5_PSS_ST_PNS1_23onesweep_lookback_stateEbbT6_jjT7_P12ihipStream_tbENKUlT_T0_SH_SM_E_clISA_SB_SC_SC_EEDaS10_S11_SH_SM_EUlS10_E_NS1_11comp_targetILNS1_3genE0ELNS1_11target_archE4294967295ELNS1_3gpuE0ELNS1_3repE0EEENS1_47radix_sort_onesweep_sort_config_static_selectorELNS0_4arch9wavefront6targetE0EEEvSH_
; %bb.0:
	s_clause 0x1
	s_load_b128 s[12:15], s[0:1], 0x28
	s_load_b64 s[10:11], s[0:1], 0x38
	v_and_b32_e32 v14, 0x3ff, v0
	s_delay_alu instid0(VALU_DEP_1)
	v_cmp_eq_u32_e64 s2, 0, v14
	s_and_saveexec_b32 s3, s2
	s_cbranch_execz .LBB1964_4
; %bb.1:
	s_mov_b32 s5, exec_lo
	s_mov_b32 s4, exec_lo
	v_mbcnt_lo_u32_b32 v1, s5, 0
                                        ; implicit-def: $vgpr2
	s_delay_alu instid0(VALU_DEP_1)
	v_cmpx_eq_u32_e32 0, v1
	s_cbranch_execz .LBB1964_3
; %bb.2:
	s_load_b64 s[6:7], s[0:1], 0x50
	s_bcnt1_i32_b32 s5, s5
	s_delay_alu instid0(SALU_CYCLE_1)
	v_dual_mov_b32 v2, 0 :: v_dual_mov_b32 v3, s5
	s_wait_xcnt 0x0
	s_wait_kmcnt 0x0
	global_atomic_add_u32 v2, v2, v3, s[6:7] th:TH_ATOMIC_RETURN scope:SCOPE_DEV
.LBB1964_3:
	s_wait_xcnt 0x0
	s_or_b32 exec_lo, exec_lo, s4
	s_wait_loadcnt 0x0
	v_readfirstlane_b32 s4, v2
	s_delay_alu instid0(VALU_DEP_1)
	v_dual_mov_b32 v2, 0 :: v_dual_add_nc_u32 v1, s4, v1
	ds_store_b32 v2, v1 offset:18496
.LBB1964_4:
	s_or_b32 exec_lo, exec_lo, s3
	v_mov_b32_e32 v3, 0
	s_clause 0x2
	s_load_b128 s[16:19], s[0:1], 0x0
	s_load_b32 s3, s[0:1], 0x20
	s_load_b96 s[20:22], s[0:1], 0x44
	s_wait_dscnt 0x0
	s_barrier_signal -1
	s_barrier_wait -1
	ds_load_b32 v1, v3 offset:18496
	v_mbcnt_lo_u32_b32 v15, -1, 0
	v_and_b32_e32 v16, 0x3e0, v14
	s_mov_b32 s4, -1
	s_add_nc_u64 s[26:27], s[0:1], 0x58
	s_getreg_b32 s28, hwreg(HW_REG_IB_STS2, 6, 4)
	s_wait_dscnt 0x0
	s_barrier_signal -1
	s_barrier_wait -1
	s_wait_kmcnt 0x0
	v_cmp_le_u32_e32 vcc_lo, s22, v1
	v_readfirstlane_b32 s23, v1
	s_mul_i32 s24, s23, 0x1800
	s_cbranch_vccz .LBB1964_100
; %bb.5:
	s_mov_b32 s25, 0
	v_mul_u32_u24_e32 v1, 12, v16
	v_lshlrev_b32_e32 v2, 1, v15
	s_lshl_b64 s[4:5], s[24:25], 1
	s_mulk_i32 s22, 0xe800
	s_add_nc_u64 s[4:5], s[16:17], s[4:5]
	v_or_b32_e32 v10, v15, v1
	v_add_nc_u64_e32 v[4:5], s[4:5], v[2:3]
	v_dual_mov_b32 v11, -1 :: v_dual_lshlrev_b32 v2, 1, v1
	v_mov_b32_e32 v1, -1
	s_add_co_i32 s22, s22, s3
	s_mov_b32 s3, exec_lo
	s_delay_alu instid0(VALU_DEP_2)
	v_add_nc_u64_e32 v[2:3], v[4:5], v[2:3]
	v_cmpx_gt_u32_e64 s22, v10
	s_cbranch_execz .LBB1964_7
; %bb.6:
	global_load_u16 v1, v[2:3], off
.LBB1964_7:
	s_wait_xcnt 0x0
	s_or_b32 exec_lo, exec_lo, s3
	v_or_b32_e32 v4, 32, v10
	s_mov_b32 s3, exec_lo
	s_delay_alu instid0(VALU_DEP_1)
	v_cmpx_gt_u32_e64 s22, v4
	s_cbranch_execz .LBB1964_9
; %bb.8:
	global_load_u16 v11, v[2:3], off offset:64
.LBB1964_9:
	s_wait_xcnt 0x0
	s_or_b32 exec_lo, exec_lo, s3
	v_dual_mov_b32 v21, -1 :: v_dual_bitop2_b32 v4, 64, v10 bitop3:0x54
	v_mov_b32_e32 v17, -1
	s_mov_b32 s3, exec_lo
	s_delay_alu instid0(VALU_DEP_2)
	v_cmpx_gt_u32_e64 s22, v4
	s_cbranch_execz .LBB1964_11
; %bb.10:
	global_load_u16 v17, v[2:3], off offset:128
.LBB1964_11:
	s_wait_xcnt 0x0
	s_or_b32 exec_lo, exec_lo, s3
	v_or_b32_e32 v4, 0x60, v10
	s_mov_b32 s3, exec_lo
	s_delay_alu instid0(VALU_DEP_1)
	v_cmpx_gt_u32_e64 s22, v4
	s_cbranch_execz .LBB1964_13
; %bb.12:
	global_load_u16 v21, v[2:3], off offset:192
.LBB1964_13:
	s_wait_xcnt 0x0
	s_or_b32 exec_lo, exec_lo, s3
	v_dual_mov_b32 v25, -1 :: v_dual_add_nc_u32 v4, 0x80, v10
	v_mov_b32_e32 v30, -1
	s_mov_b32 s3, exec_lo
	s_delay_alu instid0(VALU_DEP_2)
	v_cmpx_gt_u32_e64 s22, v4
	s_cbranch_execz .LBB1964_15
; %bb.14:
	global_load_u16 v25, v[2:3], off offset:256
.LBB1964_15:
	s_wait_xcnt 0x0
	s_or_b32 exec_lo, exec_lo, s3
	v_add_nc_u32_e32 v4, 0xa0, v10
	s_mov_b32 s3, exec_lo
	s_delay_alu instid0(VALU_DEP_1)
	v_cmpx_gt_u32_e64 s22, v4
	s_cbranch_execz .LBB1964_17
; %bb.16:
	global_load_u16 v30, v[2:3], off offset:320
.LBB1964_17:
	s_wait_xcnt 0x0
	s_or_b32 exec_lo, exec_lo, s3
	v_dual_mov_b32 v9, -1 :: v_dual_add_nc_u32 v4, 0xc0, v10
	v_mov_b32_e32 v8, -1
	s_mov_b32 s3, exec_lo
	s_delay_alu instid0(VALU_DEP_2)
	v_cmpx_gt_u32_e64 s22, v4
	s_cbranch_execz .LBB1964_19
; %bb.18:
	global_load_u16 v9, v[2:3], off offset:384
.LBB1964_19:
	s_wait_xcnt 0x0
	s_or_b32 exec_lo, exec_lo, s3
	v_add_nc_u32_e32 v4, 0xe0, v10
	;; [unrolled: 21-line block ×3, first 2 shown]
	s_mov_b32 s3, exec_lo
	s_delay_alu instid0(VALU_DEP_1)
	v_cmpx_gt_u32_e64 s22, v4
	s_cbranch_execz .LBB1964_25
; %bb.24:
	global_load_u16 v6, v[2:3], off offset:576
.LBB1964_25:
	s_wait_xcnt 0x0
	s_or_b32 exec_lo, exec_lo, s3
	v_dual_mov_b32 v4, -1 :: v_dual_add_nc_u32 v5, 0x140, v10
	s_delay_alu instid0(VALU_DEP_1)
	v_cmp_gt_u32_e32 vcc_lo, s22, v5
	v_mov_b32_e32 v5, -1
	s_and_saveexec_b32 s3, vcc_lo
	s_cbranch_execz .LBB1964_27
; %bb.26:
	global_load_u16 v5, v[2:3], off offset:640
.LBB1964_27:
	s_wait_xcnt 0x0
	s_or_b32 exec_lo, exec_lo, s3
	v_add_nc_u32_e32 v10, 0x160, v10
	s_mov_b32 s3, exec_lo
	s_delay_alu instid0(VALU_DEP_1)
	v_cmpx_gt_u32_e64 s22, v10
	s_cbranch_execz .LBB1964_29
; %bb.28:
	global_load_u16 v4, v[2:3], off offset:704
.LBB1964_29:
	s_wait_xcnt 0x0
	s_or_b32 exec_lo, exec_lo, s3
	s_wait_loadcnt 0x0
	v_cmp_gt_i16_e32 vcc_lo, 0, v1
	s_clause 0x1
	s_load_b32 s25, s[0:1], 0x58
	s_load_u16 s3, s[0:1], 0x66
	s_bfe_u32 s4, ttmp6, 0x4000c
	s_and_b32 s5, ttmp6, 15
	s_add_co_i32 s4, s4, 1
	v_cndmask_b32_e64 v2, 0x7fff, 0, vcc_lo
	s_mul_i32 s4, ttmp9, s4
	v_bfe_u32 v3, v0, 10, 10
	s_add_co_i32 s5, s5, s4
	s_cmp_eq_u32 s28, 0
	v_xor_b32_e32 v1, v2, v1
	s_cselect_b32 s4, ttmp9, s5
	v_bfe_u32 v10, v0, 20, 10
	s_mov_b32 s5, 0
	s_delay_alu instid0(VALU_DEP_2)
	v_cmp_ne_u16_e32 vcc_lo, 0x8000, v1
	s_wait_kmcnt 0x0
	s_cmp_lt_u32 s4, s25
	v_cndmask_b32_e32 v2, 0x7fff, v1, vcc_lo
	s_cselect_b32 s4, 12, 18
	s_lshl_b32 s6, -1, s21
	v_mad_u32_u24 v3, v10, s3, v3
	s_add_nc_u64 s[4:5], s[26:27], s[4:5]
	v_and_b32_e32 v2, 0xffff, v2
	s_load_u16 s7, s[4:5], 0x0
	s_not_b32 s29, s6
	s_delay_alu instid0(VALU_DEP_1) | instskip(NEXT) | instid1(VALU_DEP_1)
	v_lshrrev_b32_e32 v2, s20, v2
	v_bitop3_b32 v10, v2, 1, s6 bitop3:0x40
	v_bitop3_b32 v13, v2, s6, v2 bitop3:0x30
	s_delay_alu instid0(VALU_DEP_2) | instskip(NEXT) | instid1(VALU_DEP_1)
	v_add_co_u32 v2, s3, v10, -1
	v_cndmask_b32_e64 v10, 0, 1, s3
	s_delay_alu instid0(VALU_DEP_3) | instskip(SKIP_1) | instid1(VALU_DEP_3)
	v_dual_lshlrev_b32 v12, 30, v13 :: v_dual_lshlrev_b32 v18, 29, v13
	v_dual_lshlrev_b32 v19, 28, v13 :: v_dual_lshlrev_b32 v20, 27, v13
	v_cmp_ne_u32_e32 vcc_lo, 0, v10
	s_delay_alu instid0(VALU_DEP_3)
	v_not_b32_e32 v10, v12
	v_cmp_gt_i32_e64 s3, 0, v12
	s_wait_xcnt 0x0
	v_cmp_gt_i32_e64 s4, 0, v18
	v_not_b32_e32 v12, v18
	v_not_b32_e32 v18, v19
	v_ashrrev_i32_e32 v10, 31, v10
	v_cmp_gt_i32_e64 s5, 0, v19
	v_dual_lshlrev_b32 v19, 26, v13 :: v_dual_bitop2_b32 v2, vcc_lo, v2 bitop3:0x14
	s_delay_alu instid0(VALU_DEP_4) | instskip(NEXT) | instid1(VALU_DEP_4)
	v_dual_ashrrev_i32 v12, 31, v12 :: v_dual_ashrrev_i32 v18, 31, v18
	v_xor_b32_e32 v10, s3, v10
	v_not_b32_e32 v22, v20
	v_cmp_gt_i32_e32 vcc_lo, 0, v20
	s_delay_alu instid0(VALU_DEP_4)
	v_xor_b32_e32 v12, s4, v12
	v_xor_b32_e32 v18, s5, v18
	v_cmp_gt_i32_e64 s3, 0, v19
	v_dual_ashrrev_i32 v20, 31, v22 :: v_dual_lshlrev_b32 v22, 25, v13
	v_bitop3_b32 v2, v2, v10, exec_lo bitop3:0x80
	v_not_b32_e32 v10, v19
	v_lshlrev_b32_e32 v19, 24, v13
	s_delay_alu instid0(VALU_DEP_3) | instskip(NEXT) | instid1(VALU_DEP_3)
	v_bitop3_b32 v2, v2, v18, v12 bitop3:0x80
	v_dual_ashrrev_i32 v10, 31, v10 :: v_dual_bitop2_b32 v18, vcc_lo, v20 bitop3:0x14
	v_not_b32_e32 v12, v22
	s_delay_alu instid0(VALU_DEP_4) | instskip(SKIP_1) | instid1(VALU_DEP_4)
	v_not_b32_e32 v20, v19
	v_cmp_gt_i32_e32 vcc_lo, 0, v22
	v_xor_b32_e32 v10, s3, v10
	v_cmp_gt_i32_e64 s3, 0, v19
	v_ashrrev_i32_e32 v22, 31, v12
	v_ashrrev_i32_e32 v19, 31, v20
	s_wait_kmcnt 0x0
	v_mad_u32 v20, v3, s7, v14
	v_bitop3_b32 v2, v2, v10, v18 bitop3:0x80
	v_mul_u32_u24_e32 v12, 36, v14
	v_xor_b32_e32 v3, vcc_lo, v22
	v_dual_mov_b32 v18, 0 :: v_dual_bitop2_b32 v10, s3, v19 bitop3:0x14
	ds_store_2addr_b32 v12, v18, v18 offset0:16 offset1:17
	ds_store_2addr_b32 v12, v18, v18 offset0:18 offset1:19
	;; [unrolled: 1-line block ×4, first 2 shown]
	v_bitop3_b32 v3, v2, v10, v3 bitop3:0x80
	v_lshrrev_b32_e32 v2, 5, v20
	ds_store_b32 v12, v18 offset:96
	s_wait_dscnt 0x0
	s_barrier_signal -1
	v_mbcnt_lo_u32_b32 v10, v3, 0
	v_lshlrev_b32_e32 v2, 2, v2
	v_cmp_ne_u32_e64 s3, 0, v3
	s_barrier_wait -1
	s_delay_alu instid0(VALU_DEP_3) | instskip(NEXT) | instid1(VALU_DEP_3)
	v_cmp_eq_u32_e32 vcc_lo, 0, v10
	v_mad_u32_u24 v13, 0x44, v13, v2
	; wave barrier
	s_and_b32 s4, s3, vcc_lo
	s_delay_alu instid0(SALU_CYCLE_1)
	s_and_saveexec_b32 s3, s4
; %bb.30:
	v_bcnt_u32_b32 v3, v3, 0
	ds_store_b32 v13, v3 offset:64
; %bb.31:
	s_or_b32 exec_lo, exec_lo, s3
	v_cmp_gt_i16_e32 vcc_lo, 0, v11
	; wave barrier
	v_cndmask_b32_e64 v3, 0x7fff, 0, vcc_lo
	s_delay_alu instid0(VALU_DEP_1) | instskip(NEXT) | instid1(VALU_DEP_1)
	v_xor_b32_e32 v11, v3, v11
	v_cmp_ne_u16_e32 vcc_lo, 0x8000, v11
	v_cndmask_b32_e32 v3, 0x7fff, v11, vcc_lo
	s_delay_alu instid0(VALU_DEP_1) | instskip(NEXT) | instid1(VALU_DEP_1)
	v_and_b32_e32 v3, 0xffff, v3
	v_lshrrev_b32_e32 v3, s20, v3
	s_delay_alu instid0(VALU_DEP_1) | instskip(NEXT) | instid1(VALU_DEP_1)
	v_bitop3_b32 v18, v3, 1, s29 bitop3:0x80
	v_add_co_u32 v18, s3, v18, -1
	s_delay_alu instid0(VALU_DEP_1) | instskip(NEXT) | instid1(VALU_DEP_1)
	v_cndmask_b32_e64 v19, 0, 1, s3
	v_cmp_ne_u32_e32 vcc_lo, 0, v19
	s_delay_alu instid0(VALU_DEP_3) | instskip(SKIP_1) | instid1(VALU_DEP_1)
	v_xor_b32_e32 v18, vcc_lo, v18
	v_and_b32_e32 v3, s29, v3
	v_dual_lshlrev_b32 v20, 30, v3 :: v_dual_lshlrev_b32 v22, 29, v3
	v_dual_lshlrev_b32 v23, 28, v3 :: v_dual_lshlrev_b32 v24, 27, v3
	v_lshlrev_b32_e32 v26, 26, v3
	s_delay_alu instid0(VALU_DEP_3)
	v_cmp_gt_i32_e64 s3, 0, v20
	v_not_b32_e32 v19, v20
	v_cmp_gt_i32_e64 s4, 0, v22
	v_not_b32_e32 v20, v22
	v_not_b32_e32 v22, v23
	v_cmp_gt_i32_e64 s5, 0, v23
	v_cmp_gt_i32_e64 s6, 0, v24
	v_not_b32_e32 v23, v24
	v_not_b32_e32 v24, v26
	v_dual_ashrrev_i32 v22, 31, v22 :: v_dual_ashrrev_i32 v19, 31, v19
	v_ashrrev_i32_e32 v20, 31, v20
	s_delay_alu instid0(VALU_DEP_3) | instskip(NEXT) | instid1(VALU_DEP_2)
	v_dual_ashrrev_i32 v24, 31, v24 :: v_dual_lshlrev_b32 v27, 25, v3
	v_dual_lshlrev_b32 v28, 24, v3 :: v_dual_bitop2_b32 v20, s4, v20 bitop3:0x14
	s_delay_alu instid0(VALU_DEP_4)
	v_xor_b32_e32 v22, s5, v22
	v_xor_b32_e32 v19, s3, v19
	v_cmp_gt_i32_e64 s7, 0, v26
	v_cmp_gt_i32_e64 s8, 0, v27
	v_not_b32_e32 v26, v27
	v_not_b32_e32 v27, v28
	v_ashrrev_i32_e32 v23, 31, v23
	v_bitop3_b32 v18, v18, v19, exec_lo bitop3:0x80
	v_cmp_gt_i32_e64 s9, 0, v28
	s_delay_alu instid0(VALU_DEP_4)
	v_dual_ashrrev_i32 v19, 31, v26 :: v_dual_ashrrev_i32 v26, 31, v27
	v_xor_b32_e32 v24, s7, v24
	v_xor_b32_e32 v23, s6, v23
	v_bitop3_b32 v18, v18, v22, v20 bitop3:0x80
	v_mad_u32_u24 v20, 0x44, v3, v2
	v_xor_b32_e32 v3, s8, v19
	v_xor_b32_e32 v19, s9, v26
	s_delay_alu instid0(VALU_DEP_4) | instskip(SKIP_2) | instid1(VALU_DEP_1)
	v_bitop3_b32 v22, v18, v24, v23 bitop3:0x80
	ds_load_b32 v18, v20 offset:64
	; wave barrier
	v_bitop3_b32 v3, v22, v19, v3 bitop3:0x80
	v_mbcnt_lo_u32_b32 v19, v3, 0
	v_cmp_ne_u32_e64 s3, 0, v3
	s_delay_alu instid0(VALU_DEP_2) | instskip(SKIP_1) | instid1(SALU_CYCLE_1)
	v_cmp_eq_u32_e32 vcc_lo, 0, v19
	s_and_b32 s4, s3, vcc_lo
	s_and_saveexec_b32 s3, s4
	s_cbranch_execz .LBB1964_33
; %bb.32:
	s_wait_dscnt 0x0
	v_bcnt_u32_b32 v3, v3, v18
	ds_store_b32 v20, v3 offset:64
.LBB1964_33:
	s_or_b32 exec_lo, exec_lo, s3
	v_cmp_gt_i16_e32 vcc_lo, 0, v17
	; wave barrier
	v_cndmask_b32_e64 v3, 0x7fff, 0, vcc_lo
	s_delay_alu instid0(VALU_DEP_1) | instskip(NEXT) | instid1(VALU_DEP_1)
	v_xor_b32_e32 v17, v3, v17
	v_cmp_ne_u16_e32 vcc_lo, 0x8000, v17
	v_cndmask_b32_e32 v3, 0x7fff, v17, vcc_lo
	s_delay_alu instid0(VALU_DEP_1) | instskip(NEXT) | instid1(VALU_DEP_1)
	v_and_b32_e32 v3, 0xffff, v3
	v_lshrrev_b32_e32 v3, s20, v3
	s_delay_alu instid0(VALU_DEP_1) | instskip(SKIP_1) | instid1(VALU_DEP_2)
	v_bitop3_b32 v22, v3, 1, s29 bitop3:0x80
	v_and_b32_e32 v3, s29, v3
	v_add_co_u32 v22, s3, v22, -1
	s_delay_alu instid0(VALU_DEP_1) | instskip(NEXT) | instid1(VALU_DEP_3)
	v_cndmask_b32_e64 v23, 0, 1, s3
	v_dual_lshlrev_b32 v24, 30, v3 :: v_dual_lshlrev_b32 v26, 29, v3
	v_lshlrev_b32_e32 v27, 28, v3
	s_delay_alu instid0(VALU_DEP_3) | instskip(NEXT) | instid1(VALU_DEP_3)
	v_cmp_ne_u32_e32 vcc_lo, 0, v23
	v_cmp_gt_i32_e64 s3, 0, v24
	v_not_b32_e32 v23, v24
	v_cmp_gt_i32_e64 s4, 0, v26
	v_not_b32_e32 v24, v26
	v_not_b32_e32 v26, v27
	s_delay_alu instid0(VALU_DEP_2) | instskip(NEXT) | instid1(VALU_DEP_2)
	v_dual_ashrrev_i32 v24, 31, v24 :: v_dual_bitop2_b32 v22, vcc_lo, v22 bitop3:0x14
	v_dual_ashrrev_i32 v26, 31, v26 :: v_dual_lshlrev_b32 v28, 27, v3
	v_dual_lshlrev_b32 v29, 26, v3 :: v_dual_lshlrev_b32 v31, 25, v3
	v_cmp_gt_i32_e64 s5, 0, v27
	v_lshlrev_b32_e32 v32, 24, v3
	s_delay_alu instid0(VALU_DEP_4)
	v_cmp_gt_i32_e64 s6, 0, v28
	v_not_b32_e32 v27, v28
	v_not_b32_e32 v28, v29
	v_ashrrev_i32_e32 v23, 31, v23
	v_cmp_gt_i32_e64 s7, 0, v29
	v_cmp_gt_i32_e64 s8, 0, v31
	v_not_b32_e32 v29, v31
	s_delay_alu instid0(VALU_DEP_4) | instskip(SKIP_3) | instid1(VALU_DEP_4)
	v_dual_ashrrev_i32 v28, 31, v28 :: v_dual_bitop2_b32 v23, s3, v23 bitop3:0x14
	v_not_b32_e32 v31, v32
	v_dual_ashrrev_i32 v27, 31, v27 :: v_dual_bitop2_b32 v24, s4, v24 bitop3:0x14
	v_xor_b32_e32 v26, s5, v26
	v_bitop3_b32 v22, v22, v23, exec_lo bitop3:0x80
	v_cmp_gt_i32_e64 s9, 0, v32
	v_dual_ashrrev_i32 v23, 31, v29 :: v_dual_ashrrev_i32 v29, 31, v31
	v_xor_b32_e32 v28, s7, v28
	v_xor_b32_e32 v27, s6, v27
	v_bitop3_b32 v22, v22, v26, v24 bitop3:0x80
	v_mad_u32_u24 v24, 0x44, v3, v2
	v_xor_b32_e32 v3, s8, v23
	v_xor_b32_e32 v23, s9, v29
	s_delay_alu instid0(VALU_DEP_4) | instskip(SKIP_2) | instid1(VALU_DEP_1)
	v_bitop3_b32 v26, v22, v28, v27 bitop3:0x80
	ds_load_b32 v22, v24 offset:64
	; wave barrier
	v_bitop3_b32 v3, v26, v23, v3 bitop3:0x80
	v_mbcnt_lo_u32_b32 v23, v3, 0
	v_cmp_ne_u32_e64 s3, 0, v3
	s_delay_alu instid0(VALU_DEP_2) | instskip(SKIP_1) | instid1(SALU_CYCLE_1)
	v_cmp_eq_u32_e32 vcc_lo, 0, v23
	s_and_b32 s4, s3, vcc_lo
	s_and_saveexec_b32 s3, s4
	s_cbranch_execz .LBB1964_35
; %bb.34:
	s_wait_dscnt 0x0
	v_bcnt_u32_b32 v3, v3, v22
	ds_store_b32 v24, v3 offset:64
.LBB1964_35:
	s_or_b32 exec_lo, exec_lo, s3
	v_cmp_gt_i16_e32 vcc_lo, 0, v21
	; wave barrier
	v_cndmask_b32_e64 v3, 0x7fff, 0, vcc_lo
	s_delay_alu instid0(VALU_DEP_1) | instskip(NEXT) | instid1(VALU_DEP_1)
	v_xor_b32_e32 v21, v3, v21
	v_cmp_ne_u16_e32 vcc_lo, 0x8000, v21
	v_cndmask_b32_e32 v3, 0x7fff, v21, vcc_lo
	s_delay_alu instid0(VALU_DEP_1) | instskip(NEXT) | instid1(VALU_DEP_1)
	v_and_b32_e32 v3, 0xffff, v3
	v_lshrrev_b32_e32 v3, s20, v3
	s_delay_alu instid0(VALU_DEP_1) | instskip(SKIP_1) | instid1(VALU_DEP_2)
	v_bitop3_b32 v26, v3, 1, s29 bitop3:0x80
	v_and_b32_e32 v3, s29, v3
	v_add_co_u32 v26, s3, v26, -1
	s_delay_alu instid0(VALU_DEP_1) | instskip(NEXT) | instid1(VALU_DEP_3)
	v_cndmask_b32_e64 v27, 0, 1, s3
	v_dual_lshlrev_b32 v28, 30, v3 :: v_dual_lshlrev_b32 v29, 29, v3
	v_lshlrev_b32_e32 v31, 28, v3
	s_delay_alu instid0(VALU_DEP_3) | instskip(NEXT) | instid1(VALU_DEP_3)
	v_cmp_ne_u32_e32 vcc_lo, 0, v27
	v_cmp_gt_i32_e64 s3, 0, v28
	v_not_b32_e32 v27, v28
	v_cmp_gt_i32_e64 s4, 0, v29
	v_not_b32_e32 v28, v29
	v_not_b32_e32 v29, v31
	s_delay_alu instid0(VALU_DEP_2) | instskip(NEXT) | instid1(VALU_DEP_2)
	v_dual_ashrrev_i32 v28, 31, v28 :: v_dual_bitop2_b32 v26, vcc_lo, v26 bitop3:0x14
	v_dual_ashrrev_i32 v29, 31, v29 :: v_dual_lshlrev_b32 v32, 27, v3
	v_dual_lshlrev_b32 v33, 26, v3 :: v_dual_lshlrev_b32 v34, 25, v3
	v_lshlrev_b32_e32 v35, 24, v3
	v_cmp_gt_i32_e64 s5, 0, v31
	s_delay_alu instid0(VALU_DEP_4)
	v_cmp_gt_i32_e64 s6, 0, v32
	v_not_b32_e32 v31, v32
	v_not_b32_e32 v32, v33
	v_ashrrev_i32_e32 v27, 31, v27
	v_cmp_gt_i32_e64 s7, 0, v33
	v_cmp_gt_i32_e64 s8, 0, v34
	v_not_b32_e32 v33, v34
	v_not_b32_e32 v34, v35
	v_dual_ashrrev_i32 v32, 31, v32 :: v_dual_bitop2_b32 v27, s3, v27 bitop3:0x14
	v_dual_ashrrev_i32 v31, 31, v31 :: v_dual_bitop2_b32 v28, s4, v28 bitop3:0x14
	v_xor_b32_e32 v29, s5, v29
	v_cmp_gt_i32_e64 s9, 0, v35
	s_delay_alu instid0(VALU_DEP_4) | instskip(NEXT) | instid1(VALU_DEP_4)
	v_bitop3_b32 v26, v26, v27, exec_lo bitop3:0x80
	v_dual_ashrrev_i32 v27, 31, v33 :: v_dual_bitop2_b32 v31, s6, v31 bitop3:0x14
	v_dual_ashrrev_i32 v33, 31, v34 :: v_dual_bitop2_b32 v32, s7, v32 bitop3:0x14
	s_delay_alu instid0(VALU_DEP_3) | instskip(SKIP_1) | instid1(VALU_DEP_4)
	v_bitop3_b32 v26, v26, v29, v28 bitop3:0x80
	v_mad_u32_u24 v28, 0x44, v3, v2
	v_xor_b32_e32 v3, s8, v27
	s_delay_alu instid0(VALU_DEP_4) | instskip(NEXT) | instid1(VALU_DEP_4)
	v_xor_b32_e32 v27, s9, v33
	v_bitop3_b32 v29, v26, v32, v31 bitop3:0x80
	ds_load_b32 v26, v28 offset:64
	; wave barrier
	v_bitop3_b32 v3, v29, v27, v3 bitop3:0x80
	s_delay_alu instid0(VALU_DEP_1) | instskip(SKIP_1) | instid1(VALU_DEP_2)
	v_mbcnt_lo_u32_b32 v27, v3, 0
	v_cmp_ne_u32_e64 s3, 0, v3
	v_cmp_eq_u32_e32 vcc_lo, 0, v27
	s_and_b32 s4, s3, vcc_lo
	s_delay_alu instid0(SALU_CYCLE_1)
	s_and_saveexec_b32 s3, s4
	s_cbranch_execz .LBB1964_37
; %bb.36:
	s_wait_dscnt 0x0
	v_bcnt_u32_b32 v3, v3, v26
	ds_store_b32 v28, v3 offset:64
.LBB1964_37:
	s_or_b32 exec_lo, exec_lo, s3
	v_cmp_gt_i16_e32 vcc_lo, 0, v25
	; wave barrier
	v_cndmask_b32_e64 v3, 0x7fff, 0, vcc_lo
	s_delay_alu instid0(VALU_DEP_1) | instskip(NEXT) | instid1(VALU_DEP_1)
	v_xor_b32_e32 v25, v3, v25
	v_cmp_ne_u16_e32 vcc_lo, 0x8000, v25
	v_cndmask_b32_e32 v3, 0x7fff, v25, vcc_lo
	s_delay_alu instid0(VALU_DEP_1) | instskip(NEXT) | instid1(VALU_DEP_1)
	v_and_b32_e32 v3, 0xffff, v3
	v_lshrrev_b32_e32 v3, s20, v3
	s_delay_alu instid0(VALU_DEP_1) | instskip(SKIP_1) | instid1(VALU_DEP_2)
	v_bitop3_b32 v29, v3, 1, s29 bitop3:0x80
	v_and_b32_e32 v3, s29, v3
	v_add_co_u32 v29, s3, v29, -1
	s_delay_alu instid0(VALU_DEP_1) | instskip(NEXT) | instid1(VALU_DEP_3)
	v_cndmask_b32_e64 v31, 0, 1, s3
	v_dual_lshlrev_b32 v32, 30, v3 :: v_dual_lshlrev_b32 v33, 29, v3
	v_lshlrev_b32_e32 v34, 28, v3
	s_delay_alu instid0(VALU_DEP_3) | instskip(NEXT) | instid1(VALU_DEP_3)
	v_cmp_ne_u32_e32 vcc_lo, 0, v31
	v_cmp_gt_i32_e64 s3, 0, v32
	v_not_b32_e32 v31, v32
	v_cmp_gt_i32_e64 s4, 0, v33
	v_not_b32_e32 v32, v33
	v_not_b32_e32 v33, v34
	s_delay_alu instid0(VALU_DEP_2) | instskip(NEXT) | instid1(VALU_DEP_2)
	v_dual_ashrrev_i32 v32, 31, v32 :: v_dual_bitop2_b32 v29, vcc_lo, v29 bitop3:0x14
	v_dual_ashrrev_i32 v33, 31, v33 :: v_dual_lshlrev_b32 v35, 27, v3
	v_dual_lshlrev_b32 v36, 26, v3 :: v_dual_lshlrev_b32 v37, 25, v3
	v_lshlrev_b32_e32 v38, 24, v3
	v_cmp_gt_i32_e64 s5, 0, v34
	s_delay_alu instid0(VALU_DEP_4)
	v_not_b32_e32 v34, v35
	v_ashrrev_i32_e32 v31, 31, v31
	v_cmp_gt_i32_e64 s6, 0, v35
	v_cmp_gt_i32_e64 s7, 0, v36
	v_not_b32_e32 v35, v36
	v_cmp_gt_i32_e64 s8, 0, v37
	v_not_b32_e32 v36, v37
	v_not_b32_e32 v37, v38
	v_dual_ashrrev_i32 v34, 31, v34 :: v_dual_bitop2_b32 v31, s3, v31 bitop3:0x14
	v_dual_ashrrev_i32 v35, 31, v35 :: v_dual_bitop2_b32 v32, s4, v32 bitop3:0x14
	v_xor_b32_e32 v33, s5, v33
	v_cmp_gt_i32_e64 s9, 0, v38
	s_delay_alu instid0(VALU_DEP_4) | instskip(SKIP_3) | instid1(VALU_DEP_4)
	v_bitop3_b32 v29, v29, v31, exec_lo bitop3:0x80
	v_dual_ashrrev_i32 v31, 31, v36 :: v_dual_ashrrev_i32 v36, 31, v37
	v_xor_b32_e32 v34, s6, v34
	v_xor_b32_e32 v35, s7, v35
	v_bitop3_b32 v29, v29, v33, v32 bitop3:0x80
	v_mad_u32_u24 v32, 0x44, v3, v2
	v_xor_b32_e32 v3, s8, v31
	v_xor_b32_e32 v31, s9, v36
	s_delay_alu instid0(VALU_DEP_4) | instskip(SKIP_2) | instid1(VALU_DEP_1)
	v_bitop3_b32 v33, v29, v35, v34 bitop3:0x80
	ds_load_b32 v29, v32 offset:64
	; wave barrier
	v_bitop3_b32 v3, v33, v31, v3 bitop3:0x80
	v_mbcnt_lo_u32_b32 v31, v3, 0
	v_cmp_ne_u32_e64 s3, 0, v3
	s_delay_alu instid0(VALU_DEP_2) | instskip(SKIP_1) | instid1(SALU_CYCLE_1)
	v_cmp_eq_u32_e32 vcc_lo, 0, v31
	s_and_b32 s4, s3, vcc_lo
	s_and_saveexec_b32 s3, s4
	s_cbranch_execz .LBB1964_39
; %bb.38:
	s_wait_dscnt 0x0
	v_bcnt_u32_b32 v3, v3, v29
	ds_store_b32 v32, v3 offset:64
.LBB1964_39:
	s_or_b32 exec_lo, exec_lo, s3
	v_cmp_gt_i16_e32 vcc_lo, 0, v30
	; wave barrier
	v_cndmask_b32_e64 v3, 0x7fff, 0, vcc_lo
	s_delay_alu instid0(VALU_DEP_1) | instskip(NEXT) | instid1(VALU_DEP_1)
	v_xor_b32_e32 v30, v3, v30
	v_cmp_ne_u16_e32 vcc_lo, 0x8000, v30
	v_cndmask_b32_e32 v3, 0x7fff, v30, vcc_lo
	s_delay_alu instid0(VALU_DEP_1) | instskip(NEXT) | instid1(VALU_DEP_1)
	v_and_b32_e32 v3, 0xffff, v3
	v_lshrrev_b32_e32 v3, s20, v3
	s_delay_alu instid0(VALU_DEP_1) | instskip(SKIP_1) | instid1(VALU_DEP_2)
	v_bitop3_b32 v33, v3, 1, s29 bitop3:0x80
	v_and_b32_e32 v3, s29, v3
	v_add_co_u32 v33, s3, v33, -1
	s_delay_alu instid0(VALU_DEP_1) | instskip(NEXT) | instid1(VALU_DEP_3)
	v_cndmask_b32_e64 v34, 0, 1, s3
	v_lshlrev_b32_e32 v35, 30, v3
	s_delay_alu instid0(VALU_DEP_2) | instskip(NEXT) | instid1(VALU_DEP_2)
	v_cmp_ne_u32_e32 vcc_lo, 0, v34
	v_not_b32_e32 v34, v35
	s_delay_alu instid0(VALU_DEP_1) | instskip(SKIP_4) | instid1(VALU_DEP_4)
	v_dual_ashrrev_i32 v34, 31, v34 :: v_dual_bitop2_b32 v33, vcc_lo, v33 bitop3:0x14
	v_dual_lshlrev_b32 v36, 29, v3 :: v_dual_lshlrev_b32 v37, 28, v3
	v_dual_lshlrev_b32 v38, 27, v3 :: v_dual_lshlrev_b32 v39, 26, v3
	v_lshlrev_b32_e32 v40, 25, v3
	v_cmp_gt_i32_e64 s3, 0, v35
	v_cmp_gt_i32_e64 s4, 0, v36
	v_not_b32_e32 v35, v36
	v_not_b32_e32 v36, v37
	v_lshlrev_b32_e32 v41, 24, v3
	v_cmp_gt_i32_e64 s5, 0, v37
	v_cmp_gt_i32_e64 s6, 0, v38
	v_not_b32_e32 v37, v38
	v_not_b32_e32 v38, v39
	v_dual_ashrrev_i32 v35, 31, v35 :: v_dual_bitop2_b32 v34, s3, v34 bitop3:0x14
	v_ashrrev_i32_e32 v36, 31, v36
	v_cmp_gt_i32_e64 s7, 0, v39
	v_cmp_gt_i32_e64 s8, 0, v40
	v_not_b32_e32 v39, v40
	v_not_b32_e32 v40, v41
	v_dual_ashrrev_i32 v37, 31, v37 :: v_dual_ashrrev_i32 v38, 31, v38
	v_xor_b32_e32 v35, s4, v35
	v_xor_b32_e32 v36, s5, v36
	v_bitop3_b32 v33, v33, v34, exec_lo bitop3:0x80
	v_cmp_gt_i32_e64 s9, 0, v41
	v_dual_ashrrev_i32 v34, 31, v39 :: v_dual_ashrrev_i32 v39, 31, v40
	v_xor_b32_e32 v37, s6, v37
	v_xor_b32_e32 v38, s7, v38
	v_bitop3_b32 v33, v33, v36, v35 bitop3:0x80
	v_mad_u32_u24 v36, 0x44, v3, v2
	v_xor_b32_e32 v3, s8, v34
	v_xor_b32_e32 v34, s9, v39
	s_delay_alu instid0(VALU_DEP_4) | instskip(SKIP_2) | instid1(VALU_DEP_1)
	v_bitop3_b32 v35, v33, v38, v37 bitop3:0x80
	ds_load_b32 v33, v36 offset:64
	; wave barrier
	v_bitop3_b32 v3, v35, v34, v3 bitop3:0x80
	v_mbcnt_lo_u32_b32 v34, v3, 0
	v_cmp_ne_u32_e64 s3, 0, v3
	s_delay_alu instid0(VALU_DEP_2) | instskip(SKIP_1) | instid1(SALU_CYCLE_1)
	v_cmp_eq_u32_e32 vcc_lo, 0, v34
	s_and_b32 s4, s3, vcc_lo
	s_and_saveexec_b32 s3, s4
	s_cbranch_execz .LBB1964_41
; %bb.40:
	s_wait_dscnt 0x0
	v_bcnt_u32_b32 v3, v3, v33
	ds_store_b32 v36, v3 offset:64
.LBB1964_41:
	s_or_b32 exec_lo, exec_lo, s3
	v_cmp_gt_i16_e32 vcc_lo, 0, v9
	; wave barrier
	v_cndmask_b32_e64 v3, 0x7fff, 0, vcc_lo
	s_delay_alu instid0(VALU_DEP_1) | instskip(NEXT) | instid1(VALU_DEP_1)
	v_xor_b32_e32 v35, v3, v9
	v_cmp_ne_u16_e32 vcc_lo, 0x8000, v35
	v_cndmask_b32_e32 v3, 0x7fff, v35, vcc_lo
	s_delay_alu instid0(VALU_DEP_1) | instskip(NEXT) | instid1(VALU_DEP_1)
	v_and_b32_e32 v3, 0xffff, v3
	v_lshrrev_b32_e32 v3, s20, v3
	s_delay_alu instid0(VALU_DEP_1) | instskip(SKIP_1) | instid1(VALU_DEP_2)
	v_bitop3_b32 v9, v3, 1, s29 bitop3:0x80
	v_and_b32_e32 v3, s29, v3
	v_add_co_u32 v9, s3, v9, -1
	s_delay_alu instid0(VALU_DEP_1) | instskip(NEXT) | instid1(VALU_DEP_3)
	v_cndmask_b32_e64 v37, 0, 1, s3
	v_lshlrev_b32_e32 v38, 30, v3
	s_delay_alu instid0(VALU_DEP_2) | instskip(NEXT) | instid1(VALU_DEP_2)
	v_cmp_ne_u32_e32 vcc_lo, 0, v37
	v_not_b32_e32 v37, v38
	v_xor_b32_e32 v9, vcc_lo, v9
	s_delay_alu instid0(VALU_DEP_2) | instskip(SKIP_3) | instid1(VALU_DEP_4)
	v_dual_ashrrev_i32 v37, 31, v37 :: v_dual_lshlrev_b32 v39, 29, v3
	v_dual_lshlrev_b32 v40, 28, v3 :: v_dual_lshlrev_b32 v41, 27, v3
	v_dual_lshlrev_b32 v42, 26, v3 :: v_dual_lshlrev_b32 v43, 25, v3
	v_cmp_gt_i32_e64 s3, 0, v38
	v_cmp_gt_i32_e64 s4, 0, v39
	v_not_b32_e32 v38, v39
	v_not_b32_e32 v39, v40
	v_lshlrev_b32_e32 v44, 24, v3
	v_cmp_gt_i32_e64 s5, 0, v40
	v_cmp_gt_i32_e64 s6, 0, v41
	v_not_b32_e32 v40, v41
	v_not_b32_e32 v41, v42
	v_dual_ashrrev_i32 v38, 31, v38 :: v_dual_ashrrev_i32 v39, 31, v39
	v_xor_b32_e32 v37, s3, v37
	v_cmp_gt_i32_e64 s7, 0, v42
	v_cmp_gt_i32_e64 s8, 0, v43
	v_not_b32_e32 v42, v43
	v_not_b32_e32 v43, v44
	v_dual_ashrrev_i32 v40, 31, v40 :: v_dual_ashrrev_i32 v41, 31, v41
	v_xor_b32_e32 v38, s4, v38
	v_xor_b32_e32 v39, s5, v39
	v_bitop3_b32 v9, v9, v37, exec_lo bitop3:0x80
	v_cmp_gt_i32_e64 s9, 0, v44
	v_dual_ashrrev_i32 v37, 31, v42 :: v_dual_ashrrev_i32 v42, 31, v43
	v_xor_b32_e32 v43, s6, v40
	v_xor_b32_e32 v41, s7, v41
	v_bitop3_b32 v9, v9, v39, v38 bitop3:0x80
	v_mad_u32_u24 v40, 0x44, v3, v2
	v_xor_b32_e32 v3, s8, v37
	v_xor_b32_e32 v37, s9, v42
	s_delay_alu instid0(VALU_DEP_4) | instskip(SKIP_2) | instid1(VALU_DEP_1)
	v_bitop3_b32 v9, v9, v41, v43 bitop3:0x80
	ds_load_b32 v38, v40 offset:64
	; wave barrier
	v_bitop3_b32 v3, v9, v37, v3 bitop3:0x80
	v_mbcnt_lo_u32_b32 v39, v3, 0
	v_cmp_ne_u32_e64 s3, 0, v3
	s_delay_alu instid0(VALU_DEP_2) | instskip(SKIP_1) | instid1(SALU_CYCLE_1)
	v_cmp_eq_u32_e32 vcc_lo, 0, v39
	s_and_b32 s4, s3, vcc_lo
	s_and_saveexec_b32 s3, s4
	s_cbranch_execz .LBB1964_43
; %bb.42:
	s_wait_dscnt 0x0
	v_bcnt_u32_b32 v3, v3, v38
	ds_store_b32 v40, v3 offset:64
.LBB1964_43:
	s_or_b32 exec_lo, exec_lo, s3
	v_cmp_gt_i16_e32 vcc_lo, 0, v8
	; wave barrier
	v_cndmask_b32_e64 v3, 0x7fff, 0, vcc_lo
	s_delay_alu instid0(VALU_DEP_1) | instskip(NEXT) | instid1(VALU_DEP_1)
	v_xor_b32_e32 v37, v3, v8
	v_cmp_ne_u16_e32 vcc_lo, 0x8000, v37
	v_cndmask_b32_e32 v3, 0x7fff, v37, vcc_lo
	s_delay_alu instid0(VALU_DEP_1) | instskip(NEXT) | instid1(VALU_DEP_1)
	v_and_b32_e32 v3, 0xffff, v3
	v_lshrrev_b32_e32 v3, s20, v3
	s_delay_alu instid0(VALU_DEP_1) | instskip(SKIP_1) | instid1(VALU_DEP_2)
	v_bitop3_b32 v8, v3, 1, s29 bitop3:0x80
	v_and_b32_e32 v3, s29, v3
	v_add_co_u32 v8, s3, v8, -1
	s_delay_alu instid0(VALU_DEP_1) | instskip(NEXT) | instid1(VALU_DEP_3)
	v_cndmask_b32_e64 v9, 0, 1, s3
	v_lshlrev_b32_e32 v41, 30, v3
	s_delay_alu instid0(VALU_DEP_2) | instskip(NEXT) | instid1(VALU_DEP_2)
	v_cmp_ne_u32_e32 vcc_lo, 0, v9
	v_not_b32_e32 v9, v41
	s_delay_alu instid0(VALU_DEP_1) | instskip(SKIP_4) | instid1(VALU_DEP_4)
	v_dual_ashrrev_i32 v9, 31, v9 :: v_dual_bitop2_b32 v8, vcc_lo, v8 bitop3:0x14
	v_dual_lshlrev_b32 v42, 29, v3 :: v_dual_lshlrev_b32 v43, 28, v3
	v_dual_lshlrev_b32 v44, 27, v3 :: v_dual_lshlrev_b32 v45, 26, v3
	v_lshlrev_b32_e32 v46, 25, v3
	v_cmp_gt_i32_e64 s3, 0, v41
	v_cmp_gt_i32_e64 s4, 0, v42
	v_not_b32_e32 v41, v42
	v_not_b32_e32 v42, v43
	v_lshlrev_b32_e32 v47, 24, v3
	v_cmp_gt_i32_e64 s5, 0, v43
	v_cmp_gt_i32_e64 s6, 0, v44
	v_not_b32_e32 v43, v44
	v_not_b32_e32 v44, v45
	v_dual_ashrrev_i32 v41, 31, v41 :: v_dual_ashrrev_i32 v42, 31, v42
	v_xor_b32_e32 v9, s3, v9
	v_cmp_gt_i32_e64 s7, 0, v45
	v_cmp_gt_i32_e64 s8, 0, v46
	v_not_b32_e32 v45, v46
	v_not_b32_e32 v46, v47
	v_dual_ashrrev_i32 v43, 31, v43 :: v_dual_ashrrev_i32 v44, 31, v44
	v_xor_b32_e32 v41, s4, v41
	v_xor_b32_e32 v42, s5, v42
	v_bitop3_b32 v8, v8, v9, exec_lo bitop3:0x80
	v_cmp_gt_i32_e64 s9, 0, v47
	v_dual_ashrrev_i32 v9, 31, v45 :: v_dual_ashrrev_i32 v45, 31, v46
	v_xor_b32_e32 v43, s6, v43
	v_xor_b32_e32 v46, s7, v44
	v_bitop3_b32 v8, v8, v42, v41 bitop3:0x80
	v_mad_u32_u24 v44, 0x44, v3, v2
	v_xor_b32_e32 v3, s8, v9
	v_xor_b32_e32 v9, s9, v45
	s_delay_alu instid0(VALU_DEP_4) | instskip(SKIP_2) | instid1(VALU_DEP_1)
	v_bitop3_b32 v8, v8, v46, v43 bitop3:0x80
	ds_load_b32 v42, v44 offset:64
	; wave barrier
	v_bitop3_b32 v3, v8, v9, v3 bitop3:0x80
	v_mbcnt_lo_u32_b32 v43, v3, 0
	v_cmp_ne_u32_e64 s3, 0, v3
	s_delay_alu instid0(VALU_DEP_2) | instskip(SKIP_1) | instid1(SALU_CYCLE_1)
	v_cmp_eq_u32_e32 vcc_lo, 0, v43
	s_and_b32 s4, s3, vcc_lo
	s_and_saveexec_b32 s3, s4
	s_cbranch_execz .LBB1964_45
; %bb.44:
	s_wait_dscnt 0x0
	v_bcnt_u32_b32 v3, v3, v42
	ds_store_b32 v44, v3 offset:64
.LBB1964_45:
	s_or_b32 exec_lo, exec_lo, s3
	v_cmp_gt_i16_e32 vcc_lo, 0, v7
	; wave barrier
	v_cndmask_b32_e64 v3, 0x7fff, 0, vcc_lo
	s_delay_alu instid0(VALU_DEP_1) | instskip(NEXT) | instid1(VALU_DEP_1)
	v_xor_b32_e32 v41, v3, v7
	v_cmp_ne_u16_e32 vcc_lo, 0x8000, v41
	v_cndmask_b32_e32 v3, 0x7fff, v41, vcc_lo
	s_delay_alu instid0(VALU_DEP_1) | instskip(NEXT) | instid1(VALU_DEP_1)
	v_and_b32_e32 v3, 0xffff, v3
	v_lshrrev_b32_e32 v3, s20, v3
	s_delay_alu instid0(VALU_DEP_1) | instskip(SKIP_1) | instid1(VALU_DEP_2)
	v_bitop3_b32 v7, v3, 1, s29 bitop3:0x80
	v_and_b32_e32 v3, s29, v3
	v_add_co_u32 v7, s3, v7, -1
	s_delay_alu instid0(VALU_DEP_1) | instskip(NEXT) | instid1(VALU_DEP_3)
	v_cndmask_b32_e64 v8, 0, 1, s3
	v_dual_lshlrev_b32 v9, 30, v3 :: v_dual_lshlrev_b32 v45, 29, v3
	v_lshlrev_b32_e32 v46, 28, v3
	s_delay_alu instid0(VALU_DEP_3) | instskip(NEXT) | instid1(VALU_DEP_3)
	v_cmp_ne_u32_e32 vcc_lo, 0, v8
	v_cmp_gt_i32_e64 s3, 0, v9
	v_not_b32_e32 v8, v9
	v_cmp_gt_i32_e64 s4, 0, v45
	v_not_b32_e32 v9, v45
	v_not_b32_e32 v45, v46
	s_delay_alu instid0(VALU_DEP_2) | instskip(NEXT) | instid1(VALU_DEP_2)
	v_dual_ashrrev_i32 v8, 31, v8 :: v_dual_ashrrev_i32 v9, 31, v9
	v_dual_ashrrev_i32 v45, 31, v45 :: v_dual_lshlrev_b32 v47, 27, v3
	v_dual_lshlrev_b32 v48, 26, v3 :: v_dual_lshlrev_b32 v49, 25, v3
	s_delay_alu instid0(VALU_DEP_3) | instskip(SKIP_1) | instid1(VALU_DEP_4)
	v_dual_lshlrev_b32 v50, 24, v3 :: v_dual_bitop2_b32 v8, s3, v8 bitop3:0x14
	v_cmp_gt_i32_e64 s5, 0, v46
	v_cmp_gt_i32_e64 s6, 0, v47
	v_not_b32_e32 v46, v47
	v_cmp_gt_i32_e64 s7, 0, v48
	v_not_b32_e32 v47, v48
	v_not_b32_e32 v48, v49
	v_xor_b32_e32 v7, vcc_lo, v7
	v_cmp_gt_i32_e64 s8, 0, v49
	v_not_b32_e32 v49, v50
	v_dual_ashrrev_i32 v46, 31, v46 :: v_dual_ashrrev_i32 v47, 31, v47
	v_xor_b32_e32 v9, s4, v9
	v_xor_b32_e32 v45, s5, v45
	v_bitop3_b32 v7, v7, v8, exec_lo bitop3:0x80
	v_cmp_gt_i32_e64 s9, 0, v50
	v_dual_ashrrev_i32 v8, 31, v48 :: v_dual_ashrrev_i32 v49, 31, v49
	v_xor_b32_e32 v46, s6, v46
	v_xor_b32_e32 v47, s7, v47
	v_bitop3_b32 v7, v7, v45, v9 bitop3:0x80
	v_mad_u32_u24 v48, 0x44, v3, v2
	v_xor_b32_e32 v3, s8, v8
	v_xor_b32_e32 v8, s9, v49
	s_delay_alu instid0(VALU_DEP_4) | instskip(SKIP_2) | instid1(VALU_DEP_1)
	v_bitop3_b32 v7, v7, v47, v46 bitop3:0x80
	ds_load_b32 v46, v48 offset:64
	; wave barrier
	v_bitop3_b32 v3, v7, v8, v3 bitop3:0x80
	v_mbcnt_lo_u32_b32 v47, v3, 0
	v_cmp_ne_u32_e64 s3, 0, v3
	s_delay_alu instid0(VALU_DEP_2) | instskip(SKIP_1) | instid1(SALU_CYCLE_1)
	v_cmp_eq_u32_e32 vcc_lo, 0, v47
	s_and_b32 s4, s3, vcc_lo
	s_and_saveexec_b32 s3, s4
	s_cbranch_execz .LBB1964_47
; %bb.46:
	s_wait_dscnt 0x0
	v_bcnt_u32_b32 v3, v3, v46
	ds_store_b32 v48, v3 offset:64
.LBB1964_47:
	s_or_b32 exec_lo, exec_lo, s3
	v_cmp_gt_i16_e32 vcc_lo, 0, v6
	; wave barrier
	v_cndmask_b32_e64 v3, 0x7fff, 0, vcc_lo
	s_delay_alu instid0(VALU_DEP_1) | instskip(NEXT) | instid1(VALU_DEP_1)
	v_xor_b32_e32 v45, v3, v6
	v_cmp_ne_u16_e32 vcc_lo, 0x8000, v45
	v_cndmask_b32_e32 v3, 0x7fff, v45, vcc_lo
	s_delay_alu instid0(VALU_DEP_1) | instskip(NEXT) | instid1(VALU_DEP_1)
	v_and_b32_e32 v3, 0xffff, v3
	v_lshrrev_b32_e32 v3, s20, v3
	s_delay_alu instid0(VALU_DEP_1) | instskip(SKIP_1) | instid1(VALU_DEP_2)
	v_bitop3_b32 v6, v3, 1, s29 bitop3:0x80
	v_and_b32_e32 v3, s29, v3
	v_add_co_u32 v6, s3, v6, -1
	s_delay_alu instid0(VALU_DEP_1) | instskip(NEXT) | instid1(VALU_DEP_3)
	v_cndmask_b32_e64 v7, 0, 1, s3
	v_dual_lshlrev_b32 v8, 30, v3 :: v_dual_lshlrev_b32 v9, 29, v3
	v_lshlrev_b32_e32 v49, 28, v3
	s_delay_alu instid0(VALU_DEP_3) | instskip(NEXT) | instid1(VALU_DEP_3)
	v_cmp_ne_u32_e32 vcc_lo, 0, v7
	v_cmp_gt_i32_e64 s3, 0, v8
	v_not_b32_e32 v7, v8
	v_cmp_gt_i32_e64 s4, 0, v9
	v_not_b32_e32 v8, v9
	v_not_b32_e32 v9, v49
	s_delay_alu instid0(VALU_DEP_2) | instskip(NEXT) | instid1(VALU_DEP_2)
	v_dual_ashrrev_i32 v8, 31, v8 :: v_dual_bitop2_b32 v6, vcc_lo, v6 bitop3:0x14
	v_dual_ashrrev_i32 v9, 31, v9 :: v_dual_lshlrev_b32 v50, 27, v3
	v_dual_lshlrev_b32 v51, 26, v3 :: v_dual_lshlrev_b32 v52, 25, v3
	v_cmp_gt_i32_e64 s5, 0, v49
	v_lshlrev_b32_e32 v53, 24, v3
	s_delay_alu instid0(VALU_DEP_4) | instskip(SKIP_4) | instid1(VALU_DEP_4)
	v_not_b32_e32 v49, v50
	v_ashrrev_i32_e32 v7, 31, v7
	v_cmp_gt_i32_e64 s6, 0, v50
	v_not_b32_e32 v50, v51
	v_cmp_gt_i32_e64 s7, 0, v51
	v_dual_ashrrev_i32 v49, 31, v49 :: v_dual_bitop2_b32 v7, s3, v7 bitop3:0x14
	v_cmp_gt_i32_e64 s8, 0, v52
	v_not_b32_e32 v51, v52
	v_not_b32_e32 v52, v53
	v_dual_ashrrev_i32 v50, 31, v50 :: v_dual_bitop2_b32 v8, s4, v8 bitop3:0x14
	v_xor_b32_e32 v9, s5, v9
	v_bitop3_b32 v6, v6, v7, exec_lo bitop3:0x80
	v_cmp_gt_i32_e64 s9, 0, v53
	v_dual_ashrrev_i32 v7, 31, v51 :: v_dual_ashrrev_i32 v51, 31, v52
	v_xor_b32_e32 v49, s6, v49
	v_xor_b32_e32 v50, s7, v50
	v_bitop3_b32 v6, v6, v9, v8 bitop3:0x80
	v_mad_u32_u24 v52, 0x44, v3, v2
	v_xor_b32_e32 v3, s8, v7
	v_xor_b32_e32 v7, s9, v51
	s_delay_alu instid0(VALU_DEP_4) | instskip(SKIP_2) | instid1(VALU_DEP_1)
	v_bitop3_b32 v6, v6, v50, v49 bitop3:0x80
	ds_load_b32 v49, v52 offset:64
	; wave barrier
	v_bitop3_b32 v3, v6, v7, v3 bitop3:0x80
	v_mbcnt_lo_u32_b32 v51, v3, 0
	v_cmp_ne_u32_e64 s3, 0, v3
	s_delay_alu instid0(VALU_DEP_2) | instskip(SKIP_1) | instid1(SALU_CYCLE_1)
	v_cmp_eq_u32_e32 vcc_lo, 0, v51
	s_and_b32 s4, s3, vcc_lo
	s_and_saveexec_b32 s3, s4
	s_cbranch_execz .LBB1964_49
; %bb.48:
	s_wait_dscnt 0x0
	v_bcnt_u32_b32 v3, v3, v49
	ds_store_b32 v52, v3 offset:64
.LBB1964_49:
	s_or_b32 exec_lo, exec_lo, s3
	v_cmp_gt_i16_e32 vcc_lo, 0, v5
	; wave barrier
	v_cndmask_b32_e64 v3, 0x7fff, 0, vcc_lo
	s_delay_alu instid0(VALU_DEP_1) | instskip(NEXT) | instid1(VALU_DEP_1)
	v_xor_b32_e32 v50, v3, v5
	v_cmp_ne_u16_e32 vcc_lo, 0x8000, v50
	v_cndmask_b32_e32 v3, 0x7fff, v50, vcc_lo
	s_delay_alu instid0(VALU_DEP_1) | instskip(NEXT) | instid1(VALU_DEP_1)
	v_and_b32_e32 v3, 0xffff, v3
	v_lshrrev_b32_e32 v3, s20, v3
	s_delay_alu instid0(VALU_DEP_1) | instskip(SKIP_1) | instid1(VALU_DEP_2)
	v_bitop3_b32 v5, v3, 1, s29 bitop3:0x80
	v_and_b32_e32 v3, s29, v3
	v_add_co_u32 v5, s3, v5, -1
	s_delay_alu instid0(VALU_DEP_1) | instskip(NEXT) | instid1(VALU_DEP_3)
	v_cndmask_b32_e64 v6, 0, 1, s3
	v_lshlrev_b32_e32 v7, 30, v3
	s_delay_alu instid0(VALU_DEP_2) | instskip(NEXT) | instid1(VALU_DEP_2)
	v_cmp_ne_u32_e32 vcc_lo, 0, v6
	v_not_b32_e32 v6, v7
	s_delay_alu instid0(VALU_DEP_1) | instskip(SKIP_4) | instid1(VALU_DEP_4)
	v_dual_ashrrev_i32 v6, 31, v6 :: v_dual_bitop2_b32 v5, vcc_lo, v5 bitop3:0x14
	v_dual_lshlrev_b32 v8, 29, v3 :: v_dual_lshlrev_b32 v9, 28, v3
	v_dual_lshlrev_b32 v53, 27, v3 :: v_dual_lshlrev_b32 v54, 26, v3
	v_lshlrev_b32_e32 v55, 25, v3
	v_cmp_gt_i32_e64 s3, 0, v7
	v_cmp_gt_i32_e64 s4, 0, v8
	v_not_b32_e32 v7, v8
	v_not_b32_e32 v8, v9
	v_lshlrev_b32_e32 v56, 24, v3
	v_cmp_gt_i32_e64 s5, 0, v9
	v_cmp_gt_i32_e64 s6, 0, v53
	v_not_b32_e32 v9, v53
	v_not_b32_e32 v53, v54
	v_dual_ashrrev_i32 v7, 31, v7 :: v_dual_bitop2_b32 v6, s3, v6 bitop3:0x14
	v_ashrrev_i32_e32 v8, 31, v8
	v_cmp_gt_i32_e64 s7, 0, v54
	v_cmp_gt_i32_e64 s8, 0, v55
	v_not_b32_e32 v54, v55
	v_not_b32_e32 v55, v56
	v_dual_ashrrev_i32 v9, 31, v9 :: v_dual_bitop2_b32 v7, s4, v7 bitop3:0x14
	v_dual_ashrrev_i32 v53, 31, v53 :: v_dual_bitop2_b32 v8, s5, v8 bitop3:0x14
	v_bitop3_b32 v5, v5, v6, exec_lo bitop3:0x80
	v_cmp_gt_i32_e64 s9, 0, v56
	v_dual_ashrrev_i32 v6, 31, v54 :: v_dual_ashrrev_i32 v54, 31, v55
	v_xor_b32_e32 v9, s6, v9
	v_xor_b32_e32 v53, s7, v53
	v_bitop3_b32 v5, v5, v8, v7 bitop3:0x80
	v_mad_u32_u24 v57, 0x44, v3, v2
	v_xor_b32_e32 v3, s8, v6
	v_xor_b32_e32 v6, s9, v54
	s_delay_alu instid0(VALU_DEP_4) | instskip(SKIP_2) | instid1(VALU_DEP_1)
	v_bitop3_b32 v5, v5, v53, v9 bitop3:0x80
	ds_load_b32 v53, v57 offset:64
	; wave barrier
	v_bitop3_b32 v3, v5, v6, v3 bitop3:0x80
	v_mbcnt_lo_u32_b32 v54, v3, 0
	v_cmp_ne_u32_e64 s3, 0, v3
	s_delay_alu instid0(VALU_DEP_2) | instskip(SKIP_1) | instid1(SALU_CYCLE_1)
	v_cmp_eq_u32_e32 vcc_lo, 0, v54
	s_and_b32 s4, s3, vcc_lo
	s_and_saveexec_b32 s3, s4
	s_cbranch_execz .LBB1964_51
; %bb.50:
	s_wait_dscnt 0x0
	v_bcnt_u32_b32 v3, v3, v53
	ds_store_b32 v57, v3 offset:64
.LBB1964_51:
	s_or_b32 exec_lo, exec_lo, s3
	v_cmp_gt_i16_e32 vcc_lo, 0, v4
	; wave barrier
	v_cndmask_b32_e64 v3, 0x7fff, 0, vcc_lo
	s_delay_alu instid0(VALU_DEP_1) | instskip(NEXT) | instid1(VALU_DEP_1)
	v_xor_b32_e32 v55, v3, v4
	v_cmp_ne_u16_e32 vcc_lo, 0x8000, v55
	v_cndmask_b32_e32 v3, 0x7fff, v55, vcc_lo
	s_delay_alu instid0(VALU_DEP_1) | instskip(NEXT) | instid1(VALU_DEP_1)
	v_and_b32_e32 v3, 0xffff, v3
	v_lshrrev_b32_e32 v3, s20, v3
	s_delay_alu instid0(VALU_DEP_1) | instskip(SKIP_1) | instid1(VALU_DEP_2)
	v_bitop3_b32 v4, v3, 1, s29 bitop3:0x80
	v_and_b32_e32 v3, s29, v3
	v_add_co_u32 v4, s3, v4, -1
	s_delay_alu instid0(VALU_DEP_1) | instskip(NEXT) | instid1(VALU_DEP_3)
	v_cndmask_b32_e64 v5, 0, 1, s3
	v_lshlrev_b32_e32 v6, 30, v3
	s_delay_alu instid0(VALU_DEP_2) | instskip(NEXT) | instid1(VALU_DEP_2)
	v_cmp_ne_u32_e32 vcc_lo, 0, v5
	v_not_b32_e32 v5, v6
	s_delay_alu instid0(VALU_DEP_1) | instskip(SKIP_4) | instid1(VALU_DEP_4)
	v_dual_ashrrev_i32 v5, 31, v5 :: v_dual_bitop2_b32 v4, vcc_lo, v4 bitop3:0x14
	v_dual_lshlrev_b32 v7, 29, v3 :: v_dual_lshlrev_b32 v8, 28, v3
	v_dual_lshlrev_b32 v9, 27, v3 :: v_dual_lshlrev_b32 v56, 26, v3
	v_lshlrev_b32_e32 v58, 25, v3
	v_cmp_gt_i32_e64 s3, 0, v6
	v_cmp_gt_i32_e64 s4, 0, v7
	v_not_b32_e32 v6, v7
	v_not_b32_e32 v7, v8
	v_lshlrev_b32_e32 v59, 24, v3
	v_cmp_gt_i32_e64 s5, 0, v8
	v_cmp_gt_i32_e64 s6, 0, v9
	v_not_b32_e32 v8, v9
	v_not_b32_e32 v9, v56
	v_dual_ashrrev_i32 v6, 31, v6 :: v_dual_ashrrev_i32 v7, 31, v7
	v_xor_b32_e32 v5, s3, v5
	v_cmp_gt_i32_e64 s7, 0, v56
	v_cmp_gt_i32_e64 s8, 0, v58
	v_not_b32_e32 v56, v58
	v_not_b32_e32 v58, v59
	v_dual_ashrrev_i32 v8, 31, v8 :: v_dual_ashrrev_i32 v9, 31, v9
	v_xor_b32_e32 v6, s4, v6
	v_xor_b32_e32 v7, s5, v7
	v_bitop3_b32 v4, v4, v5, exec_lo bitop3:0x80
	v_cmp_gt_i32_e64 s9, 0, v59
	v_dual_ashrrev_i32 v5, 31, v56 :: v_dual_ashrrev_i32 v56, 31, v58
	v_xor_b32_e32 v8, s6, v8
	v_xor_b32_e32 v9, s7, v9
	v_bitop3_b32 v4, v4, v7, v6 bitop3:0x80
	v_mad_u32_u24 v59, 0x44, v3, v2
	v_xor_b32_e32 v2, s8, v5
	v_xor_b32_e32 v3, s9, v56
	s_delay_alu instid0(VALU_DEP_4) | instskip(SKIP_2) | instid1(VALU_DEP_1)
	v_bitop3_b32 v4, v4, v9, v8 bitop3:0x80
	ds_load_b32 v56, v59 offset:64
	; wave barrier
	v_bitop3_b32 v2, v4, v3, v2 bitop3:0x80
	v_mbcnt_lo_u32_b32 v58, v2, 0
	v_cmp_ne_u32_e64 s3, 0, v2
	s_delay_alu instid0(VALU_DEP_2) | instskip(SKIP_1) | instid1(SALU_CYCLE_1)
	v_cmp_eq_u32_e32 vcc_lo, 0, v58
	s_and_b32 s4, s3, vcc_lo
	s_and_saveexec_b32 s3, s4
	s_cbranch_execz .LBB1964_53
; %bb.52:
	s_wait_dscnt 0x0
	v_bcnt_u32_b32 v2, v2, v56
	ds_store_b32 v59, v2 offset:64
.LBB1964_53:
	s_or_b32 exec_lo, exec_lo, s3
	; wave barrier
	s_wait_dscnt 0x0
	s_barrier_signal -1
	s_barrier_wait -1
	ds_load_2addr_b32 v[8:9], v12 offset0:16 offset1:17
	ds_load_2addr_b32 v[6:7], v12 offset0:18 offset1:19
	;; [unrolled: 1-line block ×4, first 2 shown]
	ds_load_b32 v60, v12 offset:96
	s_mov_b32 s7, exec_lo
	s_wait_dscnt 0x3
	v_add3_u32 v61, v9, v8, v6
	s_wait_dscnt 0x2
	s_delay_alu instid0(VALU_DEP_1) | instskip(SKIP_1) | instid1(VALU_DEP_1)
	v_add3_u32 v61, v61, v7, v4
	s_wait_dscnt 0x1
	v_add3_u32 v61, v61, v5, v2
	s_wait_dscnt 0x0
	s_delay_alu instid0(VALU_DEP_1) | instskip(SKIP_1) | instid1(VALU_DEP_2)
	v_add3_u32 v60, v61, v3, v60
	v_and_b32_e32 v61, 15, v15
	v_mov_b32_dpp v62, v60 row_shr:1 row_mask:0xf bank_mask:0xf
	s_delay_alu instid0(VALU_DEP_2) | instskip(NEXT) | instid1(VALU_DEP_2)
	v_cmp_eq_u32_e32 vcc_lo, 0, v61
	v_cndmask_b32_e64 v62, v62, 0, vcc_lo
	s_delay_alu instid0(VALU_DEP_1) | instskip(SKIP_3) | instid1(VALU_DEP_4)
	v_add_nc_u32_e32 v60, v62, v60
	v_cmp_lt_u32_e64 s3, 1, v61
	v_cmp_lt_u32_e64 s4, 3, v61
	;; [unrolled: 1-line block ×3, first 2 shown]
	v_mov_b32_dpp v62, v60 row_shr:2 row_mask:0xf bank_mask:0xf
	s_delay_alu instid0(VALU_DEP_1) | instskip(NEXT) | instid1(VALU_DEP_1)
	v_cndmask_b32_e64 v62, 0, v62, s3
	v_add_nc_u32_e32 v60, v60, v62
	s_delay_alu instid0(VALU_DEP_1) | instskip(NEXT) | instid1(VALU_DEP_1)
	v_mov_b32_dpp v62, v60 row_shr:4 row_mask:0xf bank_mask:0xf
	v_cndmask_b32_e64 v62, 0, v62, s4
	s_delay_alu instid0(VALU_DEP_1) | instskip(NEXT) | instid1(VALU_DEP_1)
	v_add_nc_u32_e32 v60, v60, v62
	v_mov_b32_dpp v62, v60 row_shr:8 row_mask:0xf bank_mask:0xf
	s_delay_alu instid0(VALU_DEP_1) | instskip(SKIP_1) | instid1(VALU_DEP_2)
	v_cndmask_b32_e64 v61, 0, v62, s5
	v_bfe_i32 v62, v15, 4, 1
	v_add_nc_u32_e32 v60, v60, v61
	ds_swizzle_b32 v61, v60 offset:swizzle(BROADCAST,32,15)
	s_wait_dscnt 0x0
	v_and_b32_e32 v61, v62, v61
	v_min_u32_e32 v62, 0x1e0, v16
	s_delay_alu instid0(VALU_DEP_2) | instskip(NEXT) | instid1(VALU_DEP_2)
	v_dual_add_nc_u32 v60, v60, v61 :: v_dual_lshrrev_b32 v61, 5, v14
	v_or_b32_e32 v62, 31, v62
	s_delay_alu instid0(VALU_DEP_1)
	v_cmpx_eq_u32_e64 v14, v62
; %bb.54:
	s_delay_alu instid0(VALU_DEP_3)
	v_lshlrev_b32_e32 v62, 2, v61
	ds_store_b32 v62, v60
; %bb.55:
	s_or_b32 exec_lo, exec_lo, s7
	s_delay_alu instid0(SALU_CYCLE_1)
	s_mov_b32 s7, exec_lo
	s_wait_dscnt 0x0
	s_barrier_signal -1
	s_barrier_wait -1
	v_cmpx_gt_u32_e32 16, v14
	s_cbranch_execz .LBB1964_57
; %bb.56:
	v_lshlrev_b32_e32 v62, 2, v14
	ds_load_b32 v63, v62
	s_wait_dscnt 0x0
	v_mov_b32_dpp v64, v63 row_shr:1 row_mask:0xf bank_mask:0xf
	s_delay_alu instid0(VALU_DEP_1) | instskip(NEXT) | instid1(VALU_DEP_1)
	v_cndmask_b32_e64 v64, v64, 0, vcc_lo
	v_add_nc_u32_e32 v63, v64, v63
	s_delay_alu instid0(VALU_DEP_1) | instskip(NEXT) | instid1(VALU_DEP_1)
	v_mov_b32_dpp v64, v63 row_shr:2 row_mask:0xf bank_mask:0xf
	v_cndmask_b32_e64 v64, 0, v64, s3
	s_delay_alu instid0(VALU_DEP_1) | instskip(NEXT) | instid1(VALU_DEP_1)
	v_add_nc_u32_e32 v63, v63, v64
	v_mov_b32_dpp v64, v63 row_shr:4 row_mask:0xf bank_mask:0xf
	s_delay_alu instid0(VALU_DEP_1) | instskip(NEXT) | instid1(VALU_DEP_1)
	v_cndmask_b32_e64 v64, 0, v64, s4
	v_add_nc_u32_e32 v63, v63, v64
	s_delay_alu instid0(VALU_DEP_1) | instskip(NEXT) | instid1(VALU_DEP_1)
	v_mov_b32_dpp v64, v63 row_shr:8 row_mask:0xf bank_mask:0xf
	v_cndmask_b32_e64 v64, 0, v64, s5
	s_delay_alu instid0(VALU_DEP_1)
	v_add_nc_u32_e32 v63, v63, v64
	ds_store_b32 v62, v63
.LBB1964_57:
	s_or_b32 exec_lo, exec_lo, s7
	v_mov_b32_e32 v62, 0
	s_mov_b32 s3, exec_lo
	s_wait_dscnt 0x0
	s_barrier_signal -1
	s_barrier_wait -1
	v_cmpx_lt_u32_e32 31, v14
; %bb.58:
	v_lshl_add_u32 v61, v61, 2, -4
	ds_load_b32 v62, v61
; %bb.59:
	s_or_b32 exec_lo, exec_lo, s3
	v_sub_co_u32 v61, vcc_lo, v15, 1
	s_wait_dscnt 0x0
	v_add_nc_u32_e32 v60, v62, v60
	s_delay_alu instid0(VALU_DEP_2) | instskip(NEXT) | instid1(VALU_DEP_1)
	v_cmp_gt_i32_e64 s3, 0, v61
	v_cndmask_b32_e64 v61, v61, v15, s3
	v_cmp_gt_u32_e64 s3, 0x100, v14
	s_delay_alu instid0(VALU_DEP_2) | instskip(SKIP_4) | instid1(VALU_DEP_2)
	v_lshlrev_b32_e32 v61, 2, v61
	ds_bpermute_b32 v60, v61, v60
	s_wait_dscnt 0x0
	v_cndmask_b32_e32 v60, v60, v62, vcc_lo
	v_cmp_lt_u32_e32 vcc_lo, 0xff, v14
	v_cndmask_b32_e64 v60, v60, 0, s2
	s_delay_alu instid0(VALU_DEP_1) | instskip(NEXT) | instid1(VALU_DEP_1)
	v_add_nc_u32_e32 v8, v60, v8
	v_add_nc_u32_e32 v9, v8, v9
	s_delay_alu instid0(VALU_DEP_1) | instskip(NEXT) | instid1(VALU_DEP_1)
	v_add_nc_u32_e32 v6, v9, v6
	v_add_nc_u32_e32 v7, v6, v7
	;; [unrolled: 3-line block ×4, first 2 shown]
	ds_store_2addr_b32 v12, v60, v8 offset0:16 offset1:17
	ds_store_2addr_b32 v12, v9, v6 offset0:18 offset1:19
	;; [unrolled: 1-line block ×4, first 2 shown]
	ds_store_b32 v12, v3 offset:96
	s_wait_dscnt 0x0
	s_barrier_signal -1
	s_barrier_wait -1
	ds_load_b32 v61, v13 offset:64
	ds_load_b32 v62, v20 offset:64
	;; [unrolled: 1-line block ×12, first 2 shown]
	v_mov_b64_e32 v[2:3], 0
                                        ; implicit-def: $vgpr4
	s_and_saveexec_b32 s5, s3
	s_cbranch_execz .LBB1964_63
; %bb.60:
	v_mul_u32_u24_e32 v2, 0x44, v14
	v_dual_mov_b32 v3, 0x1800 :: v_dual_add_nc_u32 v4, 1, v14
	s_mov_b32 s6, exec_lo
	ds_load_b32 v2, v2 offset:64
	v_cmpx_ne_u32_e32 0x100, v4
; %bb.61:
	v_mul_u32_u24_e32 v3, 0x44, v4
	ds_load_b32 v3, v3 offset:64
; %bb.62:
	s_or_b32 exec_lo, exec_lo, s6
	s_wait_dscnt 0x0
	v_dual_mov_b32 v3, 0 :: v_dual_sub_nc_u32 v4, v3, v2
.LBB1964_63:
	s_or_b32 exec_lo, exec_lo, s5
	v_dual_lshlrev_b32 v10, 1, v10 :: v_dual_lshlrev_b32 v19, 1, v19
	s_wait_dscnt 0xa
	v_lshlrev_b32_e32 v28, 1, v62
	v_dual_lshlrev_b32 v18, 1, v18 :: v_dual_lshlrev_b32 v23, 1, v23
	s_delay_alu instid0(VALU_DEP_3) | instskip(SKIP_2) | instid1(VALU_DEP_3)
	v_lshl_add_u32 v10, v61, 1, v10
	v_lshlrev_b32_e32 v22, 1, v22
	s_wait_dscnt 0x0
	v_add3_u32 v18, v28, v19, v18
	v_lshlrev_b32_e32 v19, 1, v60
	s_barrier_signal -1
	s_barrier_wait -1
	ds_store_b16 v10, v1 offset:2048
	ds_store_b16 v18, v11 offset:2048
	v_lshlrev_b32_e32 v10, 1, v24
	v_add3_u32 v1, v19, v23, v22
	v_dual_lshlrev_b32 v11, 1, v27 :: v_dual_lshlrev_b32 v18, 1, v26
	v_dual_lshlrev_b32 v22, 1, v29 :: v_dual_lshlrev_b32 v23, 1, v34
	;; [unrolled: 1-line block ×6, first 2 shown]
	ds_store_b16 v1, v17 offset:2048
	v_add3_u32 v1, v10, v11, v18
	v_add3_u32 v11, v13, v23, v24
	v_dual_lshlrev_b32 v13, 1, v43 :: v_dual_lshlrev_b32 v17, 1, v42
	v_add3_u32 v10, v19, v20, v22
	v_add3_u32 v12, v12, v26, v27
	ds_store_b16 v1, v21 offset:2048
	ds_store_b16 v10, v25 offset:2048
	;; [unrolled: 1-line block ×4, first 2 shown]
	v_add3_u32 v1, v9, v13, v17
	v_dual_lshlrev_b32 v8, 1, v8 :: v_dual_lshlrev_b32 v9, 1, v47
	v_dual_lshlrev_b32 v10, 1, v46 :: v_dual_lshlrev_b32 v7, 1, v7
	v_dual_lshlrev_b32 v11, 1, v51 :: v_dual_lshlrev_b32 v12, 1, v49
	v_dual_lshlrev_b32 v6, 1, v6 :: v_dual_lshlrev_b32 v17, 1, v53
	v_dual_lshlrev_b32 v13, 1, v54 :: v_dual_lshlrev_b32 v5, 1, v5
	v_dual_lshlrev_b32 v18, 1, v58 :: v_dual_lshlrev_b32 v19, 1, v56
	ds_store_b16 v1, v37 offset:2048
	v_add3_u32 v8, v8, v9, v10
	v_add3_u32 v9, v7, v11, v12
	v_dual_mov_b32 v7, 0 :: v_dual_lshlrev_b32 v1, 3, v14
	v_add3_u32 v6, v6, v13, v17
	v_add3_u32 v5, v5, v18, v19
	ds_store_b16 v8, v41 offset:2048
	ds_store_b16 v9, v45 offset:2048
	ds_store_b16 v6, v50 offset:2048
	ds_store_b16 v5, v55 offset:2048
	s_and_saveexec_b32 s4, s3
	s_cbranch_execz .LBB1964_73
; %bb.64:
	v_lshl_add_u32 v6, s23, 8, v14
	v_dual_mov_b32 v10, 0 :: v_dual_bitop2_b32 v5, 2.0, v4 bitop3:0x54
	s_mov_b32 s5, 0
	s_mov_b32 s6, s23
	s_delay_alu instid0(VALU_DEP_2)
	v_lshl_add_u64 v[8:9], v[6:7], 2, s[10:11]
	global_store_b32 v6, v5, s[10:11] scale_offset scope:SCOPE_DEV
                                        ; implicit-def: $sgpr3
	s_branch .LBB1964_67
.LBB1964_65:                            ;   in Loop: Header=BB1964_67 Depth=1
	s_or_b32 exec_lo, exec_lo, s8
.LBB1964_66:                            ;   in Loop: Header=BB1964_67 Depth=1
	s_delay_alu instid0(SALU_CYCLE_1) | instskip(SKIP_2) | instid1(VALU_DEP_2)
	s_or_b32 exec_lo, exec_lo, s7
	v_and_b32_e32 v6, 0x3fffffff, v5
	v_cmp_gt_i32_e64 s3, -2.0, v5
	v_add_nc_u32_e32 v10, v6, v10
	s_and_b32 s7, exec_lo, s3
	s_delay_alu instid0(SALU_CYCLE_1) | instskip(NEXT) | instid1(SALU_CYCLE_1)
	s_or_b32 s5, s7, s5
	s_and_not1_b32 exec_lo, exec_lo, s5
	s_cbranch_execz .LBB1964_72
.LBB1964_67:                            ; =>This Loop Header: Depth=1
                                        ;     Child Loop BB1964_70 Depth 2
	s_or_b32 s3, s3, exec_lo
	s_cmp_eq_u32 s6, 0
	s_cbranch_scc1 .LBB1964_71
; %bb.68:                               ;   in Loop: Header=BB1964_67 Depth=1
	s_add_co_i32 s6, s6, -1
	s_mov_b32 s7, exec_lo
	s_wait_xcnt 0x0
	v_lshl_or_b32 v6, s6, 8, v14
	global_load_b32 v5, v6, s[10:11] scale_offset scope:SCOPE_DEV
	s_wait_loadcnt 0x0
	v_cmpx_gt_u32_e32 2.0, v5
	s_cbranch_execz .LBB1964_66
; %bb.69:                               ;   in Loop: Header=BB1964_67 Depth=1
	v_lshl_add_u64 v[12:13], v[6:7], 2, s[10:11]
	s_mov_b32 s8, 0
.LBB1964_70:                            ;   Parent Loop BB1964_67 Depth=1
                                        ; =>  This Inner Loop Header: Depth=2
	global_load_b32 v5, v[12:13], off scope:SCOPE_DEV
	s_wait_loadcnt 0x0
	v_cmp_lt_u32_e64 s3, 0x3fffffff, v5
	s_or_b32 s8, s3, s8
	s_wait_xcnt 0x0
	s_and_not1_b32 exec_lo, exec_lo, s8
	s_cbranch_execnz .LBB1964_70
	s_branch .LBB1964_65
.LBB1964_71:                            ;   in Loop: Header=BB1964_67 Depth=1
                                        ; implicit-def: $sgpr6
	s_and_b32 s7, exec_lo, s3
	s_delay_alu instid0(SALU_CYCLE_1)
	s_or_b32 s5, s7, s5
	s_wait_xcnt 0x0
	s_and_not1_b32 exec_lo, exec_lo, s5
	s_cbranch_execnz .LBB1964_67
.LBB1964_72:
	s_or_b32 exec_lo, exec_lo, s5
	v_dual_add_nc_u32 v5, v10, v4 :: v_dual_mov_b32 v11, 0
	s_delay_alu instid0(VALU_DEP_1)
	v_or_b32_e32 v5, 0x80000000, v5
	global_store_b32 v[8:9], v5, off scope:SCOPE_DEV
	global_load_b64 v[6:7], v14, s[12:13] scale_offset
	s_wait_xcnt 0x1
	v_sub_nc_u64_e32 v[8:9], v[10:11], v[2:3]
	s_wait_loadcnt 0x0
	s_delay_alu instid0(VALU_DEP_1)
	v_add_nc_u64_e32 v[6:7], v[8:9], v[6:7]
	ds_store_b64 v1, v[6:7]
.LBB1964_73:
	s_wait_xcnt 0x0
	s_or_b32 exec_lo, exec_lo, s4
	v_mad_i32_i24 v5, v14, -6, v1
	s_mov_b32 s4, exec_lo
	s_wait_storecnt_dscnt 0x0
	s_barrier_signal -1
	s_barrier_wait -1
	v_cmpx_gt_u32_e64 s22, v14
	s_cbranch_execz .LBB1964_75
; %bb.74:
	ds_load_u16 v10, v5 offset:2048
	v_dual_mov_b32 v9, 0 :: v_dual_lshlrev_b32 v8, 1, v14
	s_wait_dscnt 0x0
	v_cmp_ne_u16_e64 s3, 0x8000, v10
	s_delay_alu instid0(VALU_DEP_1) | instskip(SKIP_1) | instid1(VALU_DEP_2)
	v_cndmask_b32_e64 v6, 0x7fff, v10, s3
	v_cmp_gt_i16_e64 s3, 0, v10
	v_and_b32_e32 v6, 0xffff, v6
	s_delay_alu instid0(VALU_DEP_2) | instskip(NEXT) | instid1(VALU_DEP_2)
	v_cndmask_b32_e64 v11, 0x7fff, 0, s3
	v_lshrrev_b32_e32 v6, s20, v6
	s_delay_alu instid0(VALU_DEP_1) | instskip(NEXT) | instid1(VALU_DEP_1)
	v_and_b32_e32 v6, s29, v6
	v_lshlrev_b32_e32 v6, 3, v6
	ds_load_b64 v[6:7], v6
	s_wait_dscnt 0x0
	v_lshl_add_u64 v[6:7], v[6:7], 1, s[18:19]
	s_delay_alu instid0(VALU_DEP_1)
	v_add_nc_u64_e32 v[6:7], v[6:7], v[8:9]
	v_xor_b32_e32 v8, v11, v10
	global_store_b16 v[6:7], v8, off
.LBB1964_75:
	s_wait_xcnt 0x0
	s_or_b32 exec_lo, exec_lo, s4
	v_add_nc_u32_e32 v6, 0x200, v14
	s_mov_b32 s4, exec_lo
	s_delay_alu instid0(VALU_DEP_1)
	v_cmpx_gt_u32_e64 s22, v6
	s_cbranch_execz .LBB1964_77
; %bb.76:
	ds_load_u16 v10, v5 offset:3072
	v_dual_mov_b32 v9, 0 :: v_dual_lshlrev_b32 v8, 1, v14
	s_wait_dscnt 0x0
	v_cmp_ne_u16_e64 s3, 0x8000, v10
	s_delay_alu instid0(VALU_DEP_1) | instskip(SKIP_1) | instid1(VALU_DEP_2)
	v_cndmask_b32_e64 v6, 0x7fff, v10, s3
	v_cmp_gt_i16_e64 s3, 0, v10
	v_and_b32_e32 v6, 0xffff, v6
	s_delay_alu instid0(VALU_DEP_2) | instskip(NEXT) | instid1(VALU_DEP_2)
	v_cndmask_b32_e64 v11, 0x7fff, 0, s3
	v_lshrrev_b32_e32 v6, s20, v6
	s_delay_alu instid0(VALU_DEP_1) | instskip(NEXT) | instid1(VALU_DEP_1)
	v_and_b32_e32 v6, s29, v6
	v_lshlrev_b32_e32 v6, 3, v6
	ds_load_b64 v[6:7], v6
	s_wait_dscnt 0x0
	v_lshl_add_u64 v[6:7], v[6:7], 1, s[18:19]
	s_delay_alu instid0(VALU_DEP_1)
	v_add_nc_u64_e32 v[6:7], v[6:7], v[8:9]
	v_xor_b32_e32 v8, v11, v10
	global_store_b16 v[6:7], v8, off offset:1024
.LBB1964_77:
	s_wait_xcnt 0x0
	s_or_b32 exec_lo, exec_lo, s4
	v_or_b32_e32 v6, 0x400, v14
	s_mov_b32 s4, exec_lo
	s_delay_alu instid0(VALU_DEP_1)
	v_cmpx_gt_u32_e64 s22, v6
	s_cbranch_execz .LBB1964_79
; %bb.78:
	ds_load_u16 v10, v5 offset:4096
	v_dual_mov_b32 v9, 0 :: v_dual_lshlrev_b32 v8, 1, v14
	s_wait_dscnt 0x0
	v_cmp_ne_u16_e64 s3, 0x8000, v10
	s_delay_alu instid0(VALU_DEP_1) | instskip(SKIP_1) | instid1(VALU_DEP_2)
	v_cndmask_b32_e64 v6, 0x7fff, v10, s3
	v_cmp_gt_i16_e64 s3, 0, v10
	v_and_b32_e32 v6, 0xffff, v6
	s_delay_alu instid0(VALU_DEP_2) | instskip(NEXT) | instid1(VALU_DEP_2)
	v_cndmask_b32_e64 v11, 0x7fff, 0, s3
	v_lshrrev_b32_e32 v6, s20, v6
	s_delay_alu instid0(VALU_DEP_1) | instskip(NEXT) | instid1(VALU_DEP_1)
	v_and_b32_e32 v6, s29, v6
	v_lshlrev_b32_e32 v6, 3, v6
	ds_load_b64 v[6:7], v6
	s_wait_dscnt 0x0
	v_lshl_add_u64 v[6:7], v[6:7], 1, s[18:19]
	s_delay_alu instid0(VALU_DEP_1)
	v_add_nc_u64_e32 v[6:7], v[6:7], v[8:9]
	v_xor_b32_e32 v8, v11, v10
	global_store_b16 v[6:7], v8, off offset:2048
.LBB1964_79:
	s_wait_xcnt 0x0
	s_or_b32 exec_lo, exec_lo, s4
	v_add_nc_u32_e32 v6, 0x600, v14
	s_mov_b32 s4, exec_lo
	s_delay_alu instid0(VALU_DEP_1)
	v_cmpx_gt_u32_e64 s22, v6
	s_cbranch_execz .LBB1964_81
; %bb.80:
	ds_load_u16 v10, v5 offset:5120
	v_dual_mov_b32 v9, 0 :: v_dual_lshlrev_b32 v8, 1, v14
	s_wait_dscnt 0x0
	v_cmp_ne_u16_e64 s3, 0x8000, v10
	s_delay_alu instid0(VALU_DEP_1) | instskip(SKIP_1) | instid1(VALU_DEP_2)
	v_cndmask_b32_e64 v6, 0x7fff, v10, s3
	v_cmp_gt_i16_e64 s3, 0, v10
	v_and_b32_e32 v6, 0xffff, v6
	s_delay_alu instid0(VALU_DEP_2) | instskip(NEXT) | instid1(VALU_DEP_2)
	v_cndmask_b32_e64 v11, 0x7fff, 0, s3
	v_lshrrev_b32_e32 v6, s20, v6
	s_delay_alu instid0(VALU_DEP_1) | instskip(NEXT) | instid1(VALU_DEP_1)
	v_and_b32_e32 v6, s29, v6
	v_lshlrev_b32_e32 v6, 3, v6
	ds_load_b64 v[6:7], v6
	s_wait_dscnt 0x0
	v_lshl_add_u64 v[6:7], v[6:7], 1, s[18:19]
	s_delay_alu instid0(VALU_DEP_1)
	v_add_nc_u64_e32 v[6:7], v[6:7], v[8:9]
	v_xor_b32_e32 v8, v11, v10
	global_store_b16 v[6:7], v8, off offset:3072
.LBB1964_81:
	s_wait_xcnt 0x0
	s_or_b32 exec_lo, exec_lo, s4
	v_or_b32_e32 v6, 0x800, v14
	s_mov_b32 s4, exec_lo
	s_delay_alu instid0(VALU_DEP_1)
	v_cmpx_gt_u32_e64 s22, v6
	s_cbranch_execz .LBB1964_83
; %bb.82:
	ds_load_u16 v10, v5 offset:6144
	v_dual_mov_b32 v9, 0 :: v_dual_lshlrev_b32 v8, 1, v14
	s_wait_dscnt 0x0
	v_cmp_ne_u16_e64 s3, 0x8000, v10
	s_delay_alu instid0(VALU_DEP_1) | instskip(SKIP_1) | instid1(VALU_DEP_2)
	v_cndmask_b32_e64 v6, 0x7fff, v10, s3
	v_cmp_gt_i16_e64 s3, 0, v10
	v_and_b32_e32 v6, 0xffff, v6
	s_delay_alu instid0(VALU_DEP_2) | instskip(NEXT) | instid1(VALU_DEP_2)
	v_cndmask_b32_e64 v11, 0x7fff, 0, s3
	v_lshrrev_b32_e32 v6, s20, v6
	s_delay_alu instid0(VALU_DEP_1) | instskip(NEXT) | instid1(VALU_DEP_1)
	v_and_b32_e32 v6, s29, v6
	v_lshlrev_b32_e32 v6, 3, v6
	ds_load_b64 v[6:7], v6
	s_wait_dscnt 0x0
	v_lshl_add_u64 v[6:7], v[6:7], 1, s[18:19]
	s_delay_alu instid0(VALU_DEP_1)
	v_add_nc_u64_e32 v[6:7], v[6:7], v[8:9]
	v_xor_b32_e32 v8, v11, v10
	global_store_b16 v[6:7], v8, off offset:4096
.LBB1964_83:
	;; [unrolled: 60-line block ×3, first 2 shown]
	s_wait_xcnt 0x0
	s_or_b32 exec_lo, exec_lo, s4
	v_add_nc_u32_e32 v6, 0xe00, v14
	s_mov_b32 s4, exec_lo
	s_delay_alu instid0(VALU_DEP_1)
	v_cmpx_gt_u32_e64 s22, v6
	s_cbranch_execz .LBB1964_89
; %bb.88:
	ds_load_u16 v5, v5 offset:9216
	v_dual_mov_b32 v9, 0 :: v_dual_lshlrev_b32 v8, 1, v14
	s_wait_dscnt 0x0
	v_cmp_ne_u16_e64 s3, 0x8000, v5
	s_delay_alu instid0(VALU_DEP_1) | instskip(SKIP_1) | instid1(VALU_DEP_2)
	v_cndmask_b32_e64 v6, 0x7fff, v5, s3
	v_cmp_gt_i16_e64 s3, 0, v5
	v_and_b32_e32 v6, 0xffff, v6
	s_delay_alu instid0(VALU_DEP_2) | instskip(NEXT) | instid1(VALU_DEP_1)
	v_cndmask_b32_e64 v10, 0x7fff, 0, s3
	v_dual_lshrrev_b32 v6, s20, v6 :: v_dual_bitop2_b32 v5, v10, v5 bitop3:0x14
	s_delay_alu instid0(VALU_DEP_1) | instskip(NEXT) | instid1(VALU_DEP_1)
	v_and_b32_e32 v6, s29, v6
	v_lshlrev_b32_e32 v6, 3, v6
	ds_load_b64 v[6:7], v6
	s_wait_dscnt 0x0
	v_lshl_add_u64 v[6:7], v[6:7], 1, s[18:19]
	s_delay_alu instid0(VALU_DEP_1)
	v_add_nc_u64_e32 v[6:7], v[6:7], v[8:9]
	global_store_b16 v[6:7], v5, off offset:7168
.LBB1964_89:
	s_wait_xcnt 0x0
	s_or_b32 exec_lo, exec_lo, s4
	v_or_b32_e32 v5, 0x1000, v14
	s_mov_b32 s4, exec_lo
	s_delay_alu instid0(VALU_DEP_1)
	v_cmpx_gt_u32_e64 s22, v5
	s_cbranch_execz .LBB1964_91
; %bb.90:
	v_lshlrev_b32_e32 v6, 1, v14
	ds_load_u16 v5, v6 offset:10240
	s_wait_dscnt 0x0
	v_cmp_ne_u16_e64 s3, 0x8000, v5
	s_delay_alu instid0(VALU_DEP_1) | instskip(SKIP_1) | instid1(VALU_DEP_2)
	v_cndmask_b32_e64 v7, 0x7fff, v5, s3
	v_cmp_gt_i16_e64 s3, 0, v5
	v_and_b32_e32 v7, 0xffff, v7
	s_delay_alu instid0(VALU_DEP_2) | instskip(NEXT) | instid1(VALU_DEP_1)
	v_cndmask_b32_e64 v10, 0x7fff, 0, s3
	v_dual_lshrrev_b32 v7, s20, v7 :: v_dual_bitop2_b32 v5, v10, v5 bitop3:0x14
	s_delay_alu instid0(VALU_DEP_1) | instskip(NEXT) | instid1(VALU_DEP_1)
	v_and_b32_e32 v7, s29, v7
	v_lshlrev_b32_e32 v7, 3, v7
	ds_load_b64 v[8:9], v7
	v_mov_b32_e32 v7, 0
	s_wait_dscnt 0x0
	v_lshl_add_u64 v[8:9], v[8:9], 1, s[18:19]
	s_delay_alu instid0(VALU_DEP_1)
	v_add_nc_u64_e32 v[6:7], v[8:9], v[6:7]
	global_store_b16 v[6:7], v5, off offset:8192
.LBB1964_91:
	s_wait_xcnt 0x0
	s_or_b32 exec_lo, exec_lo, s4
	v_add_nc_u32_e32 v5, 0x1200, v14
	s_mov_b32 s4, exec_lo
	s_delay_alu instid0(VALU_DEP_1)
	v_cmpx_gt_u32_e64 s22, v5
	s_cbranch_execz .LBB1964_93
; %bb.92:
	v_lshlrev_b32_e32 v6, 1, v14
	ds_load_u16 v5, v6 offset:11264
	s_wait_dscnt 0x0
	v_cmp_ne_u16_e64 s3, 0x8000, v5
	s_delay_alu instid0(VALU_DEP_1) | instskip(SKIP_1) | instid1(VALU_DEP_2)
	v_cndmask_b32_e64 v7, 0x7fff, v5, s3
	v_cmp_gt_i16_e64 s3, 0, v5
	v_and_b32_e32 v7, 0xffff, v7
	s_delay_alu instid0(VALU_DEP_2) | instskip(NEXT) | instid1(VALU_DEP_1)
	v_cndmask_b32_e64 v10, 0x7fff, 0, s3
	v_dual_lshrrev_b32 v7, s20, v7 :: v_dual_bitop2_b32 v5, v10, v5 bitop3:0x14
	s_delay_alu instid0(VALU_DEP_1) | instskip(NEXT) | instid1(VALU_DEP_1)
	v_and_b32_e32 v7, s29, v7
	v_lshlrev_b32_e32 v7, 3, v7
	ds_load_b64 v[8:9], v7
	v_mov_b32_e32 v7, 0
	s_wait_dscnt 0x0
	v_lshl_add_u64 v[8:9], v[8:9], 1, s[18:19]
	s_delay_alu instid0(VALU_DEP_1)
	v_add_nc_u64_e32 v[6:7], v[8:9], v[6:7]
	global_store_b16 v[6:7], v5, off offset:9216
.LBB1964_93:
	s_wait_xcnt 0x0
	s_or_b32 exec_lo, exec_lo, s4
	v_or_b32_e32 v5, 0x1400, v14
	s_mov_b32 s4, exec_lo
	s_delay_alu instid0(VALU_DEP_1)
	v_cmpx_gt_u32_e64 s22, v5
	s_cbranch_execz .LBB1964_95
; %bb.94:
	v_lshlrev_b32_e32 v6, 1, v14
	ds_load_u16 v5, v6 offset:12288
	s_wait_dscnt 0x0
	v_cmp_ne_u16_e64 s3, 0x8000, v5
	s_delay_alu instid0(VALU_DEP_1) | instskip(SKIP_1) | instid1(VALU_DEP_2)
	v_cndmask_b32_e64 v7, 0x7fff, v5, s3
	v_cmp_gt_i16_e64 s3, 0, v5
	v_and_b32_e32 v7, 0xffff, v7
	s_delay_alu instid0(VALU_DEP_2) | instskip(NEXT) | instid1(VALU_DEP_1)
	v_cndmask_b32_e64 v10, 0x7fff, 0, s3
	v_dual_lshrrev_b32 v7, s20, v7 :: v_dual_bitop2_b32 v5, v10, v5 bitop3:0x14
	s_delay_alu instid0(VALU_DEP_1) | instskip(NEXT) | instid1(VALU_DEP_1)
	v_and_b32_e32 v7, s29, v7
	v_lshlrev_b32_e32 v7, 3, v7
	ds_load_b64 v[8:9], v7
	v_mov_b32_e32 v7, 0
	s_wait_dscnt 0x0
	v_lshl_add_u64 v[8:9], v[8:9], 1, s[18:19]
	s_delay_alu instid0(VALU_DEP_1)
	v_add_nc_u64_e32 v[6:7], v[8:9], v[6:7]
	global_store_b16 v[6:7], v5, off offset:10240
.LBB1964_95:
	s_wait_xcnt 0x0
	s_or_b32 exec_lo, exec_lo, s4
	v_add_nc_u32_e32 v5, 0x1600, v14
	s_mov_b32 s4, exec_lo
	s_delay_alu instid0(VALU_DEP_1)
	v_cmpx_gt_u32_e64 s22, v5
	s_cbranch_execz .LBB1964_97
; %bb.96:
	v_lshlrev_b32_e32 v6, 1, v14
	ds_load_u16 v5, v6 offset:13312
	s_wait_dscnt 0x0
	v_cmp_ne_u16_e64 s3, 0x8000, v5
	s_delay_alu instid0(VALU_DEP_1) | instskip(SKIP_1) | instid1(VALU_DEP_2)
	v_cndmask_b32_e64 v7, 0x7fff, v5, s3
	v_cmp_gt_i16_e64 s3, 0, v5
	v_and_b32_e32 v7, 0xffff, v7
	s_delay_alu instid0(VALU_DEP_2) | instskip(NEXT) | instid1(VALU_DEP_1)
	v_cndmask_b32_e64 v10, 0x7fff, 0, s3
	v_dual_lshrrev_b32 v7, s20, v7 :: v_dual_bitop2_b32 v5, v10, v5 bitop3:0x14
	s_delay_alu instid0(VALU_DEP_1) | instskip(NEXT) | instid1(VALU_DEP_1)
	v_and_b32_e32 v7, s29, v7
	v_lshlrev_b32_e32 v7, 3, v7
	ds_load_b64 v[8:9], v7
	v_mov_b32_e32 v7, 0
	s_wait_dscnt 0x0
	v_lshl_add_u64 v[8:9], v[8:9], 1, s[18:19]
	s_delay_alu instid0(VALU_DEP_1)
	v_add_nc_u64_e32 v[6:7], v[8:9], v[6:7]
	global_store_b16 v[6:7], v5, off offset:11264
.LBB1964_97:
	s_wait_xcnt 0x0
	s_or_b32 exec_lo, exec_lo, s4
	s_add_co_i32 s25, s25, -1
	s_delay_alu instid0(SALU_CYCLE_1) | instskip(SKIP_2) | instid1(SALU_CYCLE_1)
	s_cmp_eq_u32 s23, s25
	s_cselect_b32 s3, -1, 0
	s_xor_b32 s4, vcc_lo, -1
	s_and_b32 s4, s4, s3
	s_delay_alu instid0(SALU_CYCLE_1)
	s_and_saveexec_b32 s3, s4
	s_cbranch_execz .LBB1964_99
; %bb.98:
	ds_load_b64 v[6:7], v1
	v_mov_b32_e32 v5, 0
	s_delay_alu instid0(VALU_DEP_1) | instskip(SKIP_1) | instid1(VALU_DEP_1)
	v_add_nc_u64_e32 v[2:3], v[2:3], v[4:5]
	s_wait_dscnt 0x0
	v_add_nc_u64_e32 v[2:3], v[2:3], v[6:7]
	global_store_b64 v14, v[2:3], s[14:15] scale_offset
.LBB1964_99:
	s_wait_xcnt 0x0
	s_or_b32 exec_lo, exec_lo, s3
	s_mov_b32 s4, 0
.LBB1964_100:
	s_delay_alu instid0(SALU_CYCLE_1)
	s_and_b32 vcc_lo, exec_lo, s4
	s_cbranch_vccz .LBB1964_147
; %bb.101:
	s_mov_b32 s25, 0
	v_dual_mov_b32 v9, 0 :: v_dual_lshlrev_b32 v8, 1, v15
	s_lshl_b64 s[4:5], s[24:25], 1
	v_mul_u32_u24_e32 v1, 12, v16
	s_add_nc_u64 s[4:5], s[16:17], s[4:5]
	v_bfe_u32 v12, v0, 10, 10
	v_add_nc_u64_e32 v[2:3], s[4:5], v[8:9]
	v_bfe_u32 v0, v0, 20, 10
	v_lshlrev_b32_e32 v8, 1, v1
	s_delay_alu instid0(VALU_DEP_1)
	v_add_nc_u64_e32 v[18:19], v[2:3], v[8:9]
	s_clause 0xb
	global_load_u16 v8, v[18:19], off
	global_load_u16 v10, v[18:19], off offset:64
	global_load_u16 v13, v[18:19], off offset:128
	;; [unrolled: 1-line block ×11, first 2 shown]
	s_clause 0x1
	s_load_b32 s8, s[0:1], 0x58
	s_load_u16 s3, s[0:1], 0x66
	s_wait_xcnt 0x0
	s_bfe_u32 s0, ttmp6, 0x4000c
	s_and_b32 s1, ttmp6, 15
	s_add_co_i32 s0, s0, 1
	s_delay_alu instid0(SALU_CYCLE_1) | instskip(NEXT) | instid1(SALU_CYCLE_1)
	s_mul_i32 s0, ttmp9, s0
	s_add_co_i32 s1, s1, s0
	s_cmp_eq_u32 s28, 0
	s_cselect_b32 s0, ttmp9, s1
	s_wait_kmcnt 0x0
	s_cmp_lt_u32 s0, s8
	v_mad_u32_u24 v0, v0, s3, v12
	s_cselect_b32 s24, 12, 18
	s_lshl_b32 s9, -1, s21
	s_add_nc_u64 s[0:1], s[26:27], s[24:25]
	s_load_u16 s16, s[0:1], 0x0
	s_wait_kmcnt 0x0
	v_mad_u32 v0, v0, s16, v14
	s_delay_alu instid0(VALU_DEP_1) | instskip(NEXT) | instid1(VALU_DEP_1)
	v_lshrrev_b32_e32 v0, 5, v0
	v_lshlrev_b32_e32 v0, 2, v0
	s_wait_loadcnt 0xb
	v_cmp_gt_i16_e32 vcc_lo, 0, v8
	v_cndmask_b32_e64 v11, 0x7fff, 0, vcc_lo
	s_delay_alu instid0(VALU_DEP_1) | instskip(NEXT) | instid1(VALU_DEP_1)
	v_xor_b32_e32 v8, v11, v8
	v_cmp_ne_u16_e32 vcc_lo, 0x8000, v8
	v_cndmask_b32_e32 v11, 0x7fff, v8, vcc_lo
	s_delay_alu instid0(VALU_DEP_1) | instskip(NEXT) | instid1(VALU_DEP_1)
	v_and_b32_e32 v11, 0xffff, v11
	v_lshrrev_b32_e32 v11, s20, v11
	s_delay_alu instid0(VALU_DEP_1) | instskip(SKIP_2) | instid1(VALU_DEP_2)
	v_bitop3_b32 v12, v11, 1, s9 bitop3:0x40
	v_bitop3_b32 v18, v11, s9, v11 bitop3:0x30
	s_not_b32 s9, s9
	v_add_co_u32 v11, s0, v12, -1
	s_delay_alu instid0(VALU_DEP_1) | instskip(NEXT) | instid1(VALU_DEP_3)
	v_cndmask_b32_e64 v12, 0, 1, s0
	v_dual_lshlrev_b32 v17, 30, v18 :: v_dual_lshlrev_b32 v19, 29, v18
	v_dual_lshlrev_b32 v21, 28, v18 :: v_dual_lshlrev_b32 v22, 27, v18
	s_delay_alu instid0(VALU_DEP_3) | instskip(NEXT) | instid1(VALU_DEP_3)
	v_cmp_ne_u32_e32 vcc_lo, 0, v12
	v_not_b32_e32 v12, v17
	v_dual_lshlrev_b32 v23, 26, v18 :: v_dual_lshlrev_b32 v25, 25, v18
	v_lshlrev_b32_e32 v26, 24, v18
	v_cmp_gt_i32_e64 s0, 0, v17
	v_cmp_gt_i32_e64 s1, 0, v19
	v_not_b32_e32 v17, v19
	v_not_b32_e32 v19, v21
	v_ashrrev_i32_e32 v12, 31, v12
	v_cmp_gt_i32_e64 s3, 0, v21
	v_cmp_gt_i32_e64 s4, 0, v22
	v_not_b32_e32 v21, v22
	v_not_b32_e32 v22, v23
	v_dual_ashrrev_i32 v17, 31, v17 :: v_dual_bitop2_b32 v11, vcc_lo, v11 bitop3:0x14
	v_dual_ashrrev_i32 v19, 31, v19 :: v_dual_bitop2_b32 v12, s0, v12 bitop3:0x14
	v_cmp_gt_i32_e64 s5, 0, v23
	v_cmp_gt_i32_e64 s6, 0, v25
	v_not_b32_e32 v23, v25
	v_not_b32_e32 v25, v26
	v_dual_ashrrev_i32 v21, 31, v21 :: v_dual_ashrrev_i32 v22, 31, v22
	v_xor_b32_e32 v17, s1, v17
	v_xor_b32_e32 v19, s3, v19
	v_bitop3_b32 v11, v11, v12, exec_lo bitop3:0x80
	v_cmp_gt_i32_e64 s7, 0, v26
	v_dual_ashrrev_i32 v12, 31, v23 :: v_dual_ashrrev_i32 v23, 31, v25
	v_xor_b32_e32 v21, s4, v21
	v_xor_b32_e32 v22, s5, v22
	v_bitop3_b32 v11, v11, v19, v17 bitop3:0x80
	s_delay_alu instid0(VALU_DEP_4) | instskip(SKIP_1) | instid1(VALU_DEP_3)
	v_xor_b32_e32 v12, s6, v12
	v_xor_b32_e32 v17, s7, v23
	v_bitop3_b32 v19, v11, v22, v21 bitop3:0x80
	v_mul_u32_u24_e32 v11, 36, v14
	ds_store_2addr_b32 v11, v9, v9 offset0:16 offset1:17
	ds_store_2addr_b32 v11, v9, v9 offset0:18 offset1:19
	;; [unrolled: 1-line block ×4, first 2 shown]
	v_bitop3_b32 v17, v19, v17, v12 bitop3:0x80
	ds_store_b32 v11, v9 offset:96
	v_mad_u32_u24 v12, 0x44, v18, v0
	s_wait_storecnt 0x0
	s_wait_loadcnt_dscnt 0x0
	s_barrier_signal -1
	v_mbcnt_lo_u32_b32 v9, v17, 0
	v_cmp_ne_u32_e64 s0, 0, v17
	s_barrier_wait -1
	s_delay_alu instid0(VALU_DEP_2) | instskip(SKIP_1) | instid1(SALU_CYCLE_1)
	v_cmp_eq_u32_e32 vcc_lo, 0, v9
	; wave barrier
	s_and_b32 s1, s0, vcc_lo
	s_and_saveexec_b32 s0, s1
; %bb.102:
	v_bcnt_u32_b32 v17, v17, 0
	ds_store_b32 v12, v17 offset:64
; %bb.103:
	s_or_b32 exec_lo, exec_lo, s0
	v_cmp_gt_i16_e32 vcc_lo, 0, v10
	; wave barrier
	v_cndmask_b32_e64 v17, 0x7fff, 0, vcc_lo
	s_delay_alu instid0(VALU_DEP_1) | instskip(NEXT) | instid1(VALU_DEP_1)
	v_xor_b32_e32 v10, v17, v10
	v_cmp_ne_u16_e32 vcc_lo, 0x8000, v10
	v_cndmask_b32_e32 v17, 0x7fff, v10, vcc_lo
	s_delay_alu instid0(VALU_DEP_1) | instskip(NEXT) | instid1(VALU_DEP_1)
	v_and_b32_e32 v17, 0xffff, v17
	v_lshrrev_b32_e32 v17, s20, v17
	s_delay_alu instid0(VALU_DEP_1) | instskip(SKIP_1) | instid1(VALU_DEP_2)
	v_bitop3_b32 v18, v17, 1, s9 bitop3:0x80
	v_and_b32_e32 v17, s9, v17
	v_add_co_u32 v18, s0, v18, -1
	s_delay_alu instid0(VALU_DEP_1) | instskip(NEXT) | instid1(VALU_DEP_3)
	v_cndmask_b32_e64 v19, 0, 1, s0
	v_lshlrev_b32_e32 v21, 30, v17
	s_delay_alu instid0(VALU_DEP_2) | instskip(NEXT) | instid1(VALU_DEP_2)
	v_cmp_ne_u32_e32 vcc_lo, 0, v19
	v_not_b32_e32 v19, v21
	s_delay_alu instid0(VALU_DEP_1) | instskip(SKIP_4) | instid1(VALU_DEP_4)
	v_dual_ashrrev_i32 v19, 31, v19 :: v_dual_bitop2_b32 v18, vcc_lo, v18 bitop3:0x14
	v_dual_lshlrev_b32 v22, 29, v17 :: v_dual_lshlrev_b32 v23, 28, v17
	v_dual_lshlrev_b32 v25, 27, v17 :: v_dual_lshlrev_b32 v26, 26, v17
	v_lshlrev_b32_e32 v27, 25, v17
	v_cmp_gt_i32_e64 s0, 0, v21
	v_cmp_gt_i32_e64 s1, 0, v22
	v_not_b32_e32 v21, v22
	v_not_b32_e32 v22, v23
	v_lshlrev_b32_e32 v28, 24, v17
	v_cmp_gt_i32_e64 s3, 0, v23
	v_cmp_gt_i32_e64 s4, 0, v25
	v_not_b32_e32 v23, v25
	v_not_b32_e32 v25, v26
	v_dual_ashrrev_i32 v21, 31, v21 :: v_dual_ashrrev_i32 v22, 31, v22
	v_xor_b32_e32 v19, s0, v19
	v_cmp_gt_i32_e64 s5, 0, v26
	v_cmp_gt_i32_e64 s6, 0, v27
	v_not_b32_e32 v26, v27
	v_not_b32_e32 v27, v28
	v_dual_ashrrev_i32 v23, 31, v23 :: v_dual_bitop2_b32 v21, s1, v21 bitop3:0x14
	v_dual_ashrrev_i32 v25, 31, v25 :: v_dual_bitop2_b32 v22, s3, v22 bitop3:0x14
	s_delay_alu instid0(VALU_DEP_3) | instskip(SKIP_4) | instid1(VALU_DEP_4)
	v_ashrrev_i32_e32 v27, 31, v27
	v_bitop3_b32 v18, v18, v19, exec_lo bitop3:0x80
	v_cmp_gt_i32_e64 s7, 0, v28
	v_dual_ashrrev_i32 v26, 31, v26 :: v_dual_bitop2_b32 v23, s4, v23 bitop3:0x14
	v_xor_b32_e32 v25, s5, v25
	v_bitop3_b32 v18, v18, v22, v21 bitop3:0x80
	v_mad_u32_u24 v19, 0x44, v17, v0
	s_delay_alu instid0(VALU_DEP_4) | instskip(SKIP_1) | instid1(VALU_DEP_4)
	v_xor_b32_e32 v21, s6, v26
	v_xor_b32_e32 v22, s7, v27
	v_bitop3_b32 v18, v18, v25, v23 bitop3:0x80
	ds_load_b32 v17, v19 offset:64
	; wave barrier
	v_bitop3_b32 v21, v18, v22, v21 bitop3:0x80
	s_delay_alu instid0(VALU_DEP_1) | instskip(SKIP_1) | instid1(VALU_DEP_2)
	v_mbcnt_lo_u32_b32 v18, v21, 0
	v_cmp_ne_u32_e64 s0, 0, v21
	v_cmp_eq_u32_e32 vcc_lo, 0, v18
	s_and_b32 s1, s0, vcc_lo
	s_delay_alu instid0(SALU_CYCLE_1)
	s_and_saveexec_b32 s0, s1
	s_cbranch_execz .LBB1964_105
; %bb.104:
	s_wait_dscnt 0x0
	v_bcnt_u32_b32 v21, v21, v17
	ds_store_b32 v19, v21 offset:64
.LBB1964_105:
	s_or_b32 exec_lo, exec_lo, s0
	v_cmp_gt_i16_e32 vcc_lo, 0, v13
	; wave barrier
	v_cndmask_b32_e64 v21, 0x7fff, 0, vcc_lo
	s_delay_alu instid0(VALU_DEP_1) | instskip(NEXT) | instid1(VALU_DEP_1)
	v_xor_b32_e32 v13, v21, v13
	v_cmp_ne_u16_e32 vcc_lo, 0x8000, v13
	v_cndmask_b32_e32 v21, 0x7fff, v13, vcc_lo
	s_delay_alu instid0(VALU_DEP_1) | instskip(NEXT) | instid1(VALU_DEP_1)
	v_and_b32_e32 v21, 0xffff, v21
	v_lshrrev_b32_e32 v21, s20, v21
	s_delay_alu instid0(VALU_DEP_1) | instskip(NEXT) | instid1(VALU_DEP_1)
	v_bitop3_b32 v22, v21, 1, s9 bitop3:0x80
	v_add_co_u32 v22, s0, v22, -1
	s_delay_alu instid0(VALU_DEP_1) | instskip(NEXT) | instid1(VALU_DEP_1)
	v_cndmask_b32_e64 v23, 0, 1, s0
	v_cmp_ne_u32_e32 vcc_lo, 0, v23
	s_delay_alu instid0(VALU_DEP_3) | instskip(SKIP_1) | instid1(VALU_DEP_1)
	v_xor_b32_e32 v22, vcc_lo, v22
	v_and_b32_e32 v21, s9, v21
	v_dual_lshlrev_b32 v25, 30, v21 :: v_dual_lshlrev_b32 v26, 29, v21
	v_dual_lshlrev_b32 v27, 28, v21 :: v_dual_lshlrev_b32 v28, 27, v21
	s_delay_alu instid0(VALU_DEP_2) | instskip(SKIP_1) | instid1(VALU_DEP_4)
	v_cmp_gt_i32_e64 s0, 0, v25
	v_not_b32_e32 v23, v25
	v_cmp_gt_i32_e64 s1, 0, v26
	v_not_b32_e32 v25, v26
	;; [unrolled: 2-line block ×3, first 2 shown]
	v_not_b32_e32 v27, v28
	v_ashrrev_i32_e32 v23, 31, v23
	v_cmp_gt_i32_e64 s4, 0, v28
	s_delay_alu instid0(VALU_DEP_3) | instskip(SKIP_1) | instid1(VALU_DEP_4)
	v_dual_ashrrev_i32 v26, 31, v26 :: v_dual_ashrrev_i32 v27, 31, v27
	v_dual_lshlrev_b32 v29, 26, v21 :: v_dual_lshlrev_b32 v30, 25, v21
	v_dual_lshlrev_b32 v31, 24, v21 :: v_dual_bitop2_b32 v23, s0, v23 bitop3:0x14
	s_delay_alu instid0(VALU_DEP_3) | instskip(NEXT) | instid1(VALU_DEP_3)
	v_xor_b32_e32 v27, s4, v27
	v_not_b32_e32 v28, v29
	v_ashrrev_i32_e32 v25, 31, v25
	v_cmp_gt_i32_e64 s5, 0, v29
	v_cmp_gt_i32_e64 s6, 0, v30
	v_not_b32_e32 v29, v30
	v_not_b32_e32 v30, v31
	v_dual_ashrrev_i32 v28, 31, v28 :: v_dual_bitop2_b32 v25, s1, v25 bitop3:0x14
	s_delay_alu instid0(VALU_DEP_3) | instskip(SKIP_2) | instid1(VALU_DEP_4)
	v_dual_ashrrev_i32 v29, 31, v29 :: v_dual_bitop2_b32 v26, s3, v26 bitop3:0x14
	v_bitop3_b32 v22, v22, v23, exec_lo bitop3:0x80
	v_cmp_gt_i32_e64 s7, 0, v31
	v_dual_ashrrev_i32 v30, 31, v30 :: v_dual_bitop2_b32 v28, s5, v28 bitop3:0x14
	v_mad_u32_u24 v23, 0x44, v21, v0
	s_delay_alu instid0(VALU_DEP_4) | instskip(SKIP_1) | instid1(VALU_DEP_4)
	v_bitop3_b32 v22, v22, v26, v25 bitop3:0x80
	v_xor_b32_e32 v25, s6, v29
	v_xor_b32_e32 v26, s7, v30
	ds_load_b32 v21, v23 offset:64
	v_bitop3_b32 v22, v22, v28, v27 bitop3:0x80
	; wave barrier
	s_delay_alu instid0(VALU_DEP_1) | instskip(NEXT) | instid1(VALU_DEP_1)
	v_bitop3_b32 v25, v22, v26, v25 bitop3:0x80
	v_mbcnt_lo_u32_b32 v22, v25, 0
	v_cmp_ne_u32_e64 s0, 0, v25
	s_delay_alu instid0(VALU_DEP_2) | instskip(SKIP_1) | instid1(SALU_CYCLE_1)
	v_cmp_eq_u32_e32 vcc_lo, 0, v22
	s_and_b32 s1, s0, vcc_lo
	s_and_saveexec_b32 s0, s1
	s_cbranch_execz .LBB1964_107
; %bb.106:
	s_wait_dscnt 0x0
	v_bcnt_u32_b32 v25, v25, v21
	ds_store_b32 v23, v25 offset:64
.LBB1964_107:
	s_or_b32 exec_lo, exec_lo, s0
	v_cmp_gt_i16_e32 vcc_lo, 0, v20
	; wave barrier
	v_cndmask_b32_e64 v25, 0x7fff, 0, vcc_lo
	s_delay_alu instid0(VALU_DEP_1) | instskip(NEXT) | instid1(VALU_DEP_1)
	v_xor_b32_e32 v20, v25, v20
	v_cmp_ne_u16_e32 vcc_lo, 0x8000, v20
	v_cndmask_b32_e32 v25, 0x7fff, v20, vcc_lo
	s_delay_alu instid0(VALU_DEP_1) | instskip(NEXT) | instid1(VALU_DEP_1)
	v_and_b32_e32 v25, 0xffff, v25
	v_lshrrev_b32_e32 v25, s20, v25
	s_delay_alu instid0(VALU_DEP_1) | instskip(SKIP_1) | instid1(VALU_DEP_2)
	v_bitop3_b32 v26, v25, 1, s9 bitop3:0x80
	v_and_b32_e32 v25, s9, v25
	v_add_co_u32 v26, s0, v26, -1
	s_delay_alu instid0(VALU_DEP_1) | instskip(NEXT) | instid1(VALU_DEP_3)
	v_cndmask_b32_e64 v27, 0, 1, s0
	v_lshlrev_b32_e32 v28, 30, v25
	s_delay_alu instid0(VALU_DEP_2) | instskip(NEXT) | instid1(VALU_DEP_2)
	v_cmp_ne_u32_e32 vcc_lo, 0, v27
	v_not_b32_e32 v27, v28
	s_delay_alu instid0(VALU_DEP_1) | instskip(SKIP_4) | instid1(VALU_DEP_4)
	v_dual_ashrrev_i32 v27, 31, v27 :: v_dual_bitop2_b32 v26, vcc_lo, v26 bitop3:0x14
	v_dual_lshlrev_b32 v29, 29, v25 :: v_dual_lshlrev_b32 v30, 28, v25
	v_dual_lshlrev_b32 v31, 27, v25 :: v_dual_lshlrev_b32 v32, 26, v25
	v_lshlrev_b32_e32 v33, 25, v25
	v_cmp_gt_i32_e64 s0, 0, v28
	v_cmp_gt_i32_e64 s1, 0, v29
	v_not_b32_e32 v28, v29
	v_not_b32_e32 v29, v30
	v_lshlrev_b32_e32 v34, 24, v25
	v_cmp_gt_i32_e64 s3, 0, v30
	v_cmp_gt_i32_e64 s4, 0, v31
	v_not_b32_e32 v30, v31
	v_cmp_gt_i32_e64 s5, 0, v32
	v_not_b32_e32 v31, v32
	v_not_b32_e32 v32, v33
	v_dual_ashrrev_i32 v28, 31, v28 :: v_dual_ashrrev_i32 v29, 31, v29
	v_xor_b32_e32 v27, s0, v27
	v_cmp_gt_i32_e64 s6, 0, v33
	v_not_b32_e32 v33, v34
	v_dual_ashrrev_i32 v30, 31, v30 :: v_dual_ashrrev_i32 v31, 31, v31
	v_xor_b32_e32 v28, s1, v28
	v_dual_ashrrev_i32 v32, 31, v32 :: v_dual_bitop2_b32 v29, s3, v29 bitop3:0x14
	v_bitop3_b32 v26, v26, v27, exec_lo bitop3:0x80
	v_cmp_gt_i32_e64 s7, 0, v34
	v_dual_ashrrev_i32 v33, 31, v33 :: v_dual_bitop2_b32 v30, s4, v30 bitop3:0x14
	v_xor_b32_e32 v31, s5, v31
	s_delay_alu instid0(VALU_DEP_4) | instskip(SKIP_3) | instid1(VALU_DEP_4)
	v_bitop3_b32 v26, v26, v29, v28 bitop3:0x80
	v_mad_u32_u24 v27, 0x44, v25, v0
	v_xor_b32_e32 v28, s6, v32
	v_xor_b32_e32 v29, s7, v33
	v_bitop3_b32 v26, v26, v31, v30 bitop3:0x80
	ds_load_b32 v25, v27 offset:64
	; wave barrier
	v_bitop3_b32 v28, v26, v29, v28 bitop3:0x80
	s_delay_alu instid0(VALU_DEP_1) | instskip(SKIP_1) | instid1(VALU_DEP_2)
	v_mbcnt_lo_u32_b32 v26, v28, 0
	v_cmp_ne_u32_e64 s0, 0, v28
	v_cmp_eq_u32_e32 vcc_lo, 0, v26
	s_and_b32 s1, s0, vcc_lo
	s_delay_alu instid0(SALU_CYCLE_1)
	s_and_saveexec_b32 s0, s1
	s_cbranch_execz .LBB1964_109
; %bb.108:
	s_wait_dscnt 0x0
	v_bcnt_u32_b32 v28, v28, v25
	ds_store_b32 v27, v28 offset:64
.LBB1964_109:
	s_or_b32 exec_lo, exec_lo, s0
	v_cmp_gt_i16_e32 vcc_lo, 0, v24
	; wave barrier
	v_cndmask_b32_e64 v28, 0x7fff, 0, vcc_lo
	s_delay_alu instid0(VALU_DEP_1) | instskip(NEXT) | instid1(VALU_DEP_1)
	v_xor_b32_e32 v24, v28, v24
	v_cmp_ne_u16_e32 vcc_lo, 0x8000, v24
	v_cndmask_b32_e32 v28, 0x7fff, v24, vcc_lo
	s_delay_alu instid0(VALU_DEP_1) | instskip(NEXT) | instid1(VALU_DEP_1)
	v_and_b32_e32 v28, 0xffff, v28
	v_lshrrev_b32_e32 v28, s20, v28
	s_delay_alu instid0(VALU_DEP_1) | instskip(NEXT) | instid1(VALU_DEP_1)
	v_bitop3_b32 v29, v28, 1, s9 bitop3:0x80
	v_add_co_u32 v29, s0, v29, -1
	s_delay_alu instid0(VALU_DEP_1) | instskip(NEXT) | instid1(VALU_DEP_1)
	v_cndmask_b32_e64 v30, 0, 1, s0
	v_cmp_ne_u32_e32 vcc_lo, 0, v30
	s_delay_alu instid0(VALU_DEP_3) | instskip(SKIP_1) | instid1(VALU_DEP_1)
	v_xor_b32_e32 v29, vcc_lo, v29
	v_and_b32_e32 v28, s9, v28
	v_dual_lshlrev_b32 v31, 30, v28 :: v_dual_lshlrev_b32 v32, 29, v28
	v_dual_lshlrev_b32 v33, 28, v28 :: v_dual_lshlrev_b32 v34, 27, v28
	s_delay_alu instid0(VALU_DEP_2) | instskip(SKIP_1) | instid1(VALU_DEP_4)
	v_cmp_gt_i32_e64 s0, 0, v31
	v_not_b32_e32 v30, v31
	v_cmp_gt_i32_e64 s1, 0, v32
	v_not_b32_e32 v31, v32
	v_cmp_gt_i32_e64 s3, 0, v33
	v_not_b32_e32 v32, v33
	v_not_b32_e32 v33, v34
	v_ashrrev_i32_e32 v30, 31, v30
	v_cmp_gt_i32_e64 s4, 0, v34
	s_delay_alu instid0(VALU_DEP_3) | instskip(SKIP_1) | instid1(VALU_DEP_4)
	v_dual_ashrrev_i32 v31, 31, v31 :: v_dual_ashrrev_i32 v33, 31, v33
	v_dual_lshlrev_b32 v35, 26, v28 :: v_dual_lshlrev_b32 v36, 25, v28
	v_dual_lshlrev_b32 v37, 24, v28 :: v_dual_bitop2_b32 v30, s0, v30 bitop3:0x14
	s_delay_alu instid0(VALU_DEP_3) | instskip(NEXT) | instid1(VALU_DEP_3)
	v_xor_b32_e32 v33, s4, v33
	v_not_b32_e32 v34, v35
	v_ashrrev_i32_e32 v32, 31, v32
	v_cmp_gt_i32_e64 s5, 0, v35
	v_cmp_gt_i32_e64 s6, 0, v36
	v_not_b32_e32 v35, v36
	v_not_b32_e32 v36, v37
	v_dual_ashrrev_i32 v34, 31, v34 :: v_dual_bitop2_b32 v31, s1, v31 bitop3:0x14
	v_xor_b32_e32 v32, s3, v32
	v_bitop3_b32 v29, v29, v30, exec_lo bitop3:0x80
	v_cmp_gt_i32_e64 s7, 0, v37
	v_dual_ashrrev_i32 v30, 31, v35 :: v_dual_ashrrev_i32 v35, 31, v36
	v_xor_b32_e32 v34, s5, v34
	s_delay_alu instid0(VALU_DEP_4) | instskip(SKIP_1) | instid1(VALU_DEP_4)
	v_bitop3_b32 v29, v29, v32, v31 bitop3:0x80
	v_mad_u32_u24 v31, 0x44, v28, v0
	v_xor_b32_e32 v30, s6, v30
	v_xor_b32_e32 v32, s7, v35
	s_delay_alu instid0(VALU_DEP_4) | instskip(SKIP_2) | instid1(VALU_DEP_1)
	v_bitop3_b32 v29, v29, v34, v33 bitop3:0x80
	ds_load_b32 v28, v31 offset:64
	; wave barrier
	v_bitop3_b32 v29, v29, v32, v30 bitop3:0x80
	v_mbcnt_lo_u32_b32 v30, v29, 0
	v_cmp_ne_u32_e64 s0, 0, v29
	s_delay_alu instid0(VALU_DEP_2) | instskip(SKIP_1) | instid1(SALU_CYCLE_1)
	v_cmp_eq_u32_e32 vcc_lo, 0, v30
	s_and_b32 s1, s0, vcc_lo
	s_and_saveexec_b32 s0, s1
	s_cbranch_execz .LBB1964_111
; %bb.110:
	s_wait_dscnt 0x0
	v_bcnt_u32_b32 v29, v29, v28
	ds_store_b32 v31, v29 offset:64
.LBB1964_111:
	s_or_b32 exec_lo, exec_lo, s0
	v_cmp_gt_i16_e32 vcc_lo, 0, v7
	; wave barrier
	v_cndmask_b32_e64 v29, 0x7fff, 0, vcc_lo
	s_delay_alu instid0(VALU_DEP_1) | instskip(NEXT) | instid1(VALU_DEP_1)
	v_xor_b32_e32 v29, v29, v7
	v_cmp_ne_u16_e32 vcc_lo, 0x8000, v29
	v_cndmask_b32_e32 v7, 0x7fff, v29, vcc_lo
	s_delay_alu instid0(VALU_DEP_1) | instskip(NEXT) | instid1(VALU_DEP_1)
	v_and_b32_e32 v7, 0xffff, v7
	v_lshrrev_b32_e32 v7, s20, v7
	s_delay_alu instid0(VALU_DEP_1) | instskip(SKIP_1) | instid1(VALU_DEP_2)
	v_bitop3_b32 v32, v7, 1, s9 bitop3:0x80
	v_and_b32_e32 v7, s9, v7
	v_add_co_u32 v32, s0, v32, -1
	s_delay_alu instid0(VALU_DEP_1) | instskip(NEXT) | instid1(VALU_DEP_3)
	v_cndmask_b32_e64 v33, 0, 1, s0
	v_lshlrev_b32_e32 v34, 30, v7
	s_delay_alu instid0(VALU_DEP_2) | instskip(NEXT) | instid1(VALU_DEP_2)
	v_cmp_ne_u32_e32 vcc_lo, 0, v33
	v_not_b32_e32 v33, v34
	s_delay_alu instid0(VALU_DEP_1) | instskip(SKIP_4) | instid1(VALU_DEP_4)
	v_dual_ashrrev_i32 v33, 31, v33 :: v_dual_bitop2_b32 v32, vcc_lo, v32 bitop3:0x14
	v_dual_lshlrev_b32 v35, 29, v7 :: v_dual_lshlrev_b32 v36, 28, v7
	v_dual_lshlrev_b32 v37, 27, v7 :: v_dual_lshlrev_b32 v38, 26, v7
	v_lshlrev_b32_e32 v39, 25, v7
	v_cmp_gt_i32_e64 s0, 0, v34
	v_cmp_gt_i32_e64 s1, 0, v35
	v_not_b32_e32 v34, v35
	v_not_b32_e32 v35, v36
	v_lshlrev_b32_e32 v40, 24, v7
	v_cmp_gt_i32_e64 s3, 0, v36
	v_cmp_gt_i32_e64 s4, 0, v37
	v_not_b32_e32 v36, v37
	v_not_b32_e32 v37, v38
	v_dual_ashrrev_i32 v34, 31, v34 :: v_dual_ashrrev_i32 v35, 31, v35
	v_xor_b32_e32 v33, s0, v33
	v_cmp_gt_i32_e64 s5, 0, v38
	v_cmp_gt_i32_e64 s6, 0, v39
	v_not_b32_e32 v38, v39
	v_not_b32_e32 v39, v40
	v_dual_ashrrev_i32 v36, 31, v36 :: v_dual_ashrrev_i32 v37, 31, v37
	v_xor_b32_e32 v34, s1, v34
	v_xor_b32_e32 v35, s3, v35
	v_bitop3_b32 v32, v32, v33, exec_lo bitop3:0x80
	v_cmp_gt_i32_e64 s7, 0, v40
	v_dual_ashrrev_i32 v33, 31, v38 :: v_dual_ashrrev_i32 v38, 31, v39
	v_xor_b32_e32 v36, s4, v36
	v_xor_b32_e32 v37, s5, v37
	v_bitop3_b32 v32, v32, v35, v34 bitop3:0x80
	v_mad_u32_u24 v35, 0x44, v7, v0
	v_xor_b32_e32 v7, s6, v33
	v_xor_b32_e32 v33, s7, v38
	s_delay_alu instid0(VALU_DEP_4) | instskip(SKIP_2) | instid1(VALU_DEP_1)
	v_bitop3_b32 v34, v32, v37, v36 bitop3:0x80
	ds_load_b32 v32, v35 offset:64
	; wave barrier
	v_bitop3_b32 v7, v34, v33, v7 bitop3:0x80
	v_mbcnt_lo_u32_b32 v33, v7, 0
	v_cmp_ne_u32_e64 s0, 0, v7
	s_delay_alu instid0(VALU_DEP_2) | instskip(SKIP_1) | instid1(SALU_CYCLE_1)
	v_cmp_eq_u32_e32 vcc_lo, 0, v33
	s_and_b32 s1, s0, vcc_lo
	s_and_saveexec_b32 s0, s1
	s_cbranch_execz .LBB1964_113
; %bb.112:
	s_wait_dscnt 0x0
	v_bcnt_u32_b32 v7, v7, v32
	ds_store_b32 v35, v7 offset:64
.LBB1964_113:
	s_or_b32 exec_lo, exec_lo, s0
	v_cmp_gt_i16_e32 vcc_lo, 0, v6
	; wave barrier
	v_cndmask_b32_e64 v7, 0x7fff, 0, vcc_lo
	s_delay_alu instid0(VALU_DEP_1) | instskip(NEXT) | instid1(VALU_DEP_1)
	v_xor_b32_e32 v34, v7, v6
	v_cmp_ne_u16_e32 vcc_lo, 0x8000, v34
	v_cndmask_b32_e32 v6, 0x7fff, v34, vcc_lo
	s_delay_alu instid0(VALU_DEP_1) | instskip(NEXT) | instid1(VALU_DEP_1)
	v_and_b32_e32 v6, 0xffff, v6
	v_lshrrev_b32_e32 v6, s20, v6
	s_delay_alu instid0(VALU_DEP_1) | instskip(SKIP_1) | instid1(VALU_DEP_2)
	v_bitop3_b32 v7, v6, 1, s9 bitop3:0x80
	v_and_b32_e32 v6, s9, v6
	v_add_co_u32 v7, s0, v7, -1
	s_delay_alu instid0(VALU_DEP_1) | instskip(NEXT) | instid1(VALU_DEP_3)
	v_cndmask_b32_e64 v36, 0, 1, s0
	v_lshlrev_b32_e32 v37, 30, v6
	s_delay_alu instid0(VALU_DEP_2) | instskip(NEXT) | instid1(VALU_DEP_2)
	v_cmp_ne_u32_e32 vcc_lo, 0, v36
	v_not_b32_e32 v36, v37
	s_delay_alu instid0(VALU_DEP_1) | instskip(SKIP_4) | instid1(VALU_DEP_4)
	v_dual_ashrrev_i32 v36, 31, v36 :: v_dual_bitop2_b32 v7, vcc_lo, v7 bitop3:0x14
	v_dual_lshlrev_b32 v38, 29, v6 :: v_dual_lshlrev_b32 v39, 28, v6
	v_dual_lshlrev_b32 v40, 27, v6 :: v_dual_lshlrev_b32 v41, 26, v6
	v_lshlrev_b32_e32 v42, 25, v6
	v_cmp_gt_i32_e64 s0, 0, v37
	v_cmp_gt_i32_e64 s1, 0, v38
	v_not_b32_e32 v37, v38
	v_not_b32_e32 v38, v39
	v_lshlrev_b32_e32 v43, 24, v6
	v_cmp_gt_i32_e64 s3, 0, v39
	v_cmp_gt_i32_e64 s4, 0, v40
	v_not_b32_e32 v39, v40
	v_not_b32_e32 v40, v41
	v_dual_ashrrev_i32 v37, 31, v37 :: v_dual_ashrrev_i32 v38, 31, v38
	v_xor_b32_e32 v36, s0, v36
	v_cmp_gt_i32_e64 s5, 0, v41
	v_cmp_gt_i32_e64 s6, 0, v42
	v_not_b32_e32 v41, v42
	v_not_b32_e32 v42, v43
	v_dual_ashrrev_i32 v39, 31, v39 :: v_dual_ashrrev_i32 v40, 31, v40
	v_xor_b32_e32 v37, s1, v37
	v_xor_b32_e32 v38, s3, v38
	v_bitop3_b32 v7, v7, v36, exec_lo bitop3:0x80
	v_cmp_gt_i32_e64 s7, 0, v43
	v_dual_ashrrev_i32 v36, 31, v41 :: v_dual_ashrrev_i32 v41, 31, v42
	v_xor_b32_e32 v42, s4, v39
	v_xor_b32_e32 v40, s5, v40
	v_bitop3_b32 v7, v7, v38, v37 bitop3:0x80
	v_mad_u32_u24 v39, 0x44, v6, v0
	v_xor_b32_e32 v6, s6, v36
	v_xor_b32_e32 v36, s7, v41
	s_delay_alu instid0(VALU_DEP_4) | instskip(SKIP_2) | instid1(VALU_DEP_1)
	v_bitop3_b32 v7, v7, v40, v42 bitop3:0x80
	ds_load_b32 v37, v39 offset:64
	; wave barrier
	v_bitop3_b32 v6, v7, v36, v6 bitop3:0x80
	v_mbcnt_lo_u32_b32 v38, v6, 0
	v_cmp_ne_u32_e64 s0, 0, v6
	s_delay_alu instid0(VALU_DEP_2) | instskip(SKIP_1) | instid1(SALU_CYCLE_1)
	v_cmp_eq_u32_e32 vcc_lo, 0, v38
	s_and_b32 s1, s0, vcc_lo
	s_and_saveexec_b32 s0, s1
	s_cbranch_execz .LBB1964_115
; %bb.114:
	s_wait_dscnt 0x0
	v_bcnt_u32_b32 v6, v6, v37
	ds_store_b32 v39, v6 offset:64
.LBB1964_115:
	s_or_b32 exec_lo, exec_lo, s0
	v_cmp_gt_i16_e32 vcc_lo, 0, v5
	; wave barrier
	v_cndmask_b32_e64 v6, 0x7fff, 0, vcc_lo
	s_delay_alu instid0(VALU_DEP_1) | instskip(NEXT) | instid1(VALU_DEP_1)
	v_xor_b32_e32 v36, v6, v5
	v_cmp_ne_u16_e32 vcc_lo, 0x8000, v36
	v_cndmask_b32_e32 v5, 0x7fff, v36, vcc_lo
	s_delay_alu instid0(VALU_DEP_1) | instskip(NEXT) | instid1(VALU_DEP_1)
	v_and_b32_e32 v5, 0xffff, v5
	v_lshrrev_b32_e32 v5, s20, v5
	s_delay_alu instid0(VALU_DEP_1) | instskip(SKIP_1) | instid1(VALU_DEP_2)
	v_bitop3_b32 v6, v5, 1, s9 bitop3:0x80
	v_and_b32_e32 v5, s9, v5
	v_add_co_u32 v6, s0, v6, -1
	s_delay_alu instid0(VALU_DEP_1) | instskip(NEXT) | instid1(VALU_DEP_3)
	v_cndmask_b32_e64 v7, 0, 1, s0
	v_lshlrev_b32_e32 v40, 30, v5
	s_delay_alu instid0(VALU_DEP_2) | instskip(NEXT) | instid1(VALU_DEP_2)
	v_cmp_ne_u32_e32 vcc_lo, 0, v7
	v_not_b32_e32 v7, v40
	s_delay_alu instid0(VALU_DEP_1) | instskip(SKIP_4) | instid1(VALU_DEP_4)
	v_dual_ashrrev_i32 v7, 31, v7 :: v_dual_bitop2_b32 v6, vcc_lo, v6 bitop3:0x14
	v_dual_lshlrev_b32 v41, 29, v5 :: v_dual_lshlrev_b32 v42, 28, v5
	v_dual_lshlrev_b32 v43, 27, v5 :: v_dual_lshlrev_b32 v44, 26, v5
	;; [unrolled: 1-line block ×3, first 2 shown]
	v_cmp_gt_i32_e64 s0, 0, v40
	v_cmp_gt_i32_e64 s1, 0, v41
	v_not_b32_e32 v40, v41
	v_not_b32_e32 v41, v42
	v_cmp_gt_i32_e64 s3, 0, v42
	v_cmp_gt_i32_e64 s4, 0, v43
	v_not_b32_e32 v42, v43
	v_cmp_gt_i32_e64 s5, 0, v44
	v_not_b32_e32 v43, v44
	;; [unrolled: 2-line block ×3, first 2 shown]
	v_not_b32_e32 v45, v46
	v_dual_ashrrev_i32 v40, 31, v40 :: v_dual_ashrrev_i32 v41, 31, v41
	v_dual_ashrrev_i32 v42, 31, v42 :: v_dual_bitop2_b32 v7, s0, v7 bitop3:0x14
	s_delay_alu instid0(VALU_DEP_2) | instskip(NEXT) | instid1(VALU_DEP_3)
	v_dual_ashrrev_i32 v43, 31, v43 :: v_dual_bitop2_b32 v40, s1, v40 bitop3:0x14
	v_xor_b32_e32 v41, s3, v41
	s_delay_alu instid0(VALU_DEP_3)
	v_bitop3_b32 v6, v6, v7, exec_lo bitop3:0x80
	v_cmp_gt_i32_e64 s7, 0, v46
	v_dual_ashrrev_i32 v7, 31, v44 :: v_dual_ashrrev_i32 v44, 31, v45
	v_xor_b32_e32 v42, s4, v42
	v_xor_b32_e32 v45, s5, v43
	v_bitop3_b32 v6, v6, v41, v40 bitop3:0x80
	v_mad_u32_u24 v43, 0x44, v5, v0
	v_xor_b32_e32 v5, s6, v7
	v_xor_b32_e32 v7, s7, v44
	s_delay_alu instid0(VALU_DEP_4) | instskip(SKIP_2) | instid1(VALU_DEP_1)
	v_bitop3_b32 v6, v6, v45, v42 bitop3:0x80
	ds_load_b32 v41, v43 offset:64
	; wave barrier
	v_bitop3_b32 v5, v6, v7, v5 bitop3:0x80
	v_mbcnt_lo_u32_b32 v42, v5, 0
	v_cmp_ne_u32_e64 s0, 0, v5
	s_delay_alu instid0(VALU_DEP_2) | instskip(SKIP_1) | instid1(SALU_CYCLE_1)
	v_cmp_eq_u32_e32 vcc_lo, 0, v42
	s_and_b32 s1, s0, vcc_lo
	s_and_saveexec_b32 s0, s1
	s_cbranch_execz .LBB1964_117
; %bb.116:
	s_wait_dscnt 0x0
	v_bcnt_u32_b32 v5, v5, v41
	ds_store_b32 v43, v5 offset:64
.LBB1964_117:
	s_or_b32 exec_lo, exec_lo, s0
	v_cmp_gt_i16_e32 vcc_lo, 0, v4
	; wave barrier
	v_cndmask_b32_e64 v5, 0x7fff, 0, vcc_lo
	s_delay_alu instid0(VALU_DEP_1) | instskip(NEXT) | instid1(VALU_DEP_1)
	v_xor_b32_e32 v40, v5, v4
	v_cmp_ne_u16_e32 vcc_lo, 0x8000, v40
	v_cndmask_b32_e32 v4, 0x7fff, v40, vcc_lo
	s_delay_alu instid0(VALU_DEP_1) | instskip(NEXT) | instid1(VALU_DEP_1)
	v_and_b32_e32 v4, 0xffff, v4
	v_lshrrev_b32_e32 v4, s20, v4
	s_delay_alu instid0(VALU_DEP_1) | instskip(SKIP_1) | instid1(VALU_DEP_2)
	v_bitop3_b32 v5, v4, 1, s9 bitop3:0x80
	v_and_b32_e32 v4, s9, v4
	v_add_co_u32 v5, s0, v5, -1
	s_delay_alu instid0(VALU_DEP_1) | instskip(NEXT) | instid1(VALU_DEP_3)
	v_cndmask_b32_e64 v6, 0, 1, s0
	v_lshlrev_b32_e32 v7, 30, v4
	s_delay_alu instid0(VALU_DEP_2) | instskip(NEXT) | instid1(VALU_DEP_2)
	v_cmp_ne_u32_e32 vcc_lo, 0, v6
	v_not_b32_e32 v6, v7
	s_delay_alu instid0(VALU_DEP_1) | instskip(SKIP_4) | instid1(VALU_DEP_4)
	v_dual_ashrrev_i32 v6, 31, v6 :: v_dual_bitop2_b32 v5, vcc_lo, v5 bitop3:0x14
	v_dual_lshlrev_b32 v44, 29, v4 :: v_dual_lshlrev_b32 v45, 28, v4
	v_dual_lshlrev_b32 v46, 27, v4 :: v_dual_lshlrev_b32 v47, 26, v4
	v_lshlrev_b32_e32 v48, 25, v4
	v_cmp_gt_i32_e64 s0, 0, v7
	v_cmp_gt_i32_e64 s1, 0, v44
	v_not_b32_e32 v7, v44
	v_not_b32_e32 v44, v45
	v_lshlrev_b32_e32 v49, 24, v4
	v_cmp_gt_i32_e64 s3, 0, v45
	v_cmp_gt_i32_e64 s4, 0, v46
	v_not_b32_e32 v45, v46
	v_not_b32_e32 v46, v47
	v_dual_ashrrev_i32 v7, 31, v7 :: v_dual_ashrrev_i32 v44, 31, v44
	v_xor_b32_e32 v6, s0, v6
	v_cmp_gt_i32_e64 s5, 0, v47
	v_cmp_gt_i32_e64 s6, 0, v48
	v_not_b32_e32 v47, v48
	v_not_b32_e32 v48, v49
	v_dual_ashrrev_i32 v45, 31, v45 :: v_dual_ashrrev_i32 v46, 31, v46
	v_xor_b32_e32 v7, s1, v7
	v_xor_b32_e32 v44, s3, v44
	v_bitop3_b32 v5, v5, v6, exec_lo bitop3:0x80
	v_cmp_gt_i32_e64 s7, 0, v49
	v_dual_ashrrev_i32 v6, 31, v47 :: v_dual_ashrrev_i32 v48, 31, v48
	v_xor_b32_e32 v45, s4, v45
	v_xor_b32_e32 v46, s5, v46
	v_bitop3_b32 v5, v5, v44, v7 bitop3:0x80
	v_mad_u32_u24 v47, 0x44, v4, v0
	v_xor_b32_e32 v4, s6, v6
	v_xor_b32_e32 v6, s7, v48
	s_delay_alu instid0(VALU_DEP_4) | instskip(SKIP_2) | instid1(VALU_DEP_1)
	v_bitop3_b32 v5, v5, v46, v45 bitop3:0x80
	ds_load_b32 v45, v47 offset:64
	; wave barrier
	v_bitop3_b32 v4, v5, v6, v4 bitop3:0x80
	v_mbcnt_lo_u32_b32 v46, v4, 0
	v_cmp_ne_u32_e64 s0, 0, v4
	s_delay_alu instid0(VALU_DEP_2) | instskip(SKIP_1) | instid1(SALU_CYCLE_1)
	v_cmp_eq_u32_e32 vcc_lo, 0, v46
	s_and_b32 s1, s0, vcc_lo
	s_and_saveexec_b32 s0, s1
	s_cbranch_execz .LBB1964_119
; %bb.118:
	s_wait_dscnt 0x0
	v_bcnt_u32_b32 v4, v4, v45
	ds_store_b32 v47, v4 offset:64
.LBB1964_119:
	s_or_b32 exec_lo, exec_lo, s0
	v_cmp_gt_i16_e32 vcc_lo, 0, v3
	; wave barrier
	v_cndmask_b32_e64 v4, 0x7fff, 0, vcc_lo
	s_delay_alu instid0(VALU_DEP_1) | instskip(NEXT) | instid1(VALU_DEP_1)
	v_xor_b32_e32 v44, v4, v3
	v_cmp_ne_u16_e32 vcc_lo, 0x8000, v44
	v_cndmask_b32_e32 v3, 0x7fff, v44, vcc_lo
	s_delay_alu instid0(VALU_DEP_1) | instskip(NEXT) | instid1(VALU_DEP_1)
	v_and_b32_e32 v3, 0xffff, v3
	v_lshrrev_b32_e32 v3, s20, v3
	s_delay_alu instid0(VALU_DEP_1) | instskip(SKIP_1) | instid1(VALU_DEP_2)
	v_bitop3_b32 v4, v3, 1, s9 bitop3:0x80
	v_and_b32_e32 v3, s9, v3
	v_add_co_u32 v4, s0, v4, -1
	s_delay_alu instid0(VALU_DEP_1) | instskip(NEXT) | instid1(VALU_DEP_3)
	v_cndmask_b32_e64 v5, 0, 1, s0
	v_lshlrev_b32_e32 v6, 30, v3
	s_delay_alu instid0(VALU_DEP_2) | instskip(NEXT) | instid1(VALU_DEP_2)
	v_cmp_ne_u32_e32 vcc_lo, 0, v5
	v_not_b32_e32 v5, v6
	s_delay_alu instid0(VALU_DEP_1) | instskip(SKIP_4) | instid1(VALU_DEP_4)
	v_dual_ashrrev_i32 v5, 31, v5 :: v_dual_bitop2_b32 v4, vcc_lo, v4 bitop3:0x14
	v_dual_lshlrev_b32 v7, 29, v3 :: v_dual_lshlrev_b32 v48, 28, v3
	v_dual_lshlrev_b32 v49, 27, v3 :: v_dual_lshlrev_b32 v50, 26, v3
	v_lshlrev_b32_e32 v51, 25, v3
	v_cmp_gt_i32_e64 s0, 0, v6
	v_cmp_gt_i32_e64 s1, 0, v7
	v_not_b32_e32 v6, v7
	v_not_b32_e32 v7, v48
	v_lshlrev_b32_e32 v52, 24, v3
	v_cmp_gt_i32_e64 s3, 0, v48
	v_cmp_gt_i32_e64 s4, 0, v49
	v_not_b32_e32 v48, v49
	v_not_b32_e32 v49, v50
	v_dual_ashrrev_i32 v6, 31, v6 :: v_dual_ashrrev_i32 v7, 31, v7
	v_xor_b32_e32 v5, s0, v5
	v_cmp_gt_i32_e64 s5, 0, v50
	v_cmp_gt_i32_e64 s6, 0, v51
	v_not_b32_e32 v50, v51
	v_not_b32_e32 v51, v52
	v_dual_ashrrev_i32 v48, 31, v48 :: v_dual_ashrrev_i32 v49, 31, v49
	v_xor_b32_e32 v6, s1, v6
	v_xor_b32_e32 v7, s3, v7
	v_bitop3_b32 v4, v4, v5, exec_lo bitop3:0x80
	v_cmp_gt_i32_e64 s7, 0, v52
	v_dual_ashrrev_i32 v5, 31, v50 :: v_dual_ashrrev_i32 v50, 31, v51
	v_xor_b32_e32 v48, s4, v48
	v_xor_b32_e32 v49, s5, v49
	v_bitop3_b32 v4, v4, v7, v6 bitop3:0x80
	v_mad_u32_u24 v51, 0x44, v3, v0
	v_xor_b32_e32 v3, s6, v5
	v_xor_b32_e32 v5, s7, v50
	s_delay_alu instid0(VALU_DEP_4) | instskip(SKIP_2) | instid1(VALU_DEP_1)
	v_bitop3_b32 v4, v4, v49, v48 bitop3:0x80
	ds_load_b32 v48, v51 offset:64
	; wave barrier
	v_bitop3_b32 v3, v4, v5, v3 bitop3:0x80
	v_mbcnt_lo_u32_b32 v50, v3, 0
	v_cmp_ne_u32_e64 s0, 0, v3
	s_delay_alu instid0(VALU_DEP_2) | instskip(SKIP_1) | instid1(SALU_CYCLE_1)
	v_cmp_eq_u32_e32 vcc_lo, 0, v50
	s_and_b32 s1, s0, vcc_lo
	s_and_saveexec_b32 s0, s1
	s_cbranch_execz .LBB1964_121
; %bb.120:
	s_wait_dscnt 0x0
	v_bcnt_u32_b32 v3, v3, v48
	ds_store_b32 v51, v3 offset:64
.LBB1964_121:
	s_or_b32 exec_lo, exec_lo, s0
	v_cmp_gt_i16_e32 vcc_lo, 0, v2
	; wave barrier
	v_cndmask_b32_e64 v3, 0x7fff, 0, vcc_lo
	s_delay_alu instid0(VALU_DEP_1) | instskip(NEXT) | instid1(VALU_DEP_1)
	v_xor_b32_e32 v49, v3, v2
	v_cmp_ne_u16_e32 vcc_lo, 0x8000, v49
	v_cndmask_b32_e32 v2, 0x7fff, v49, vcc_lo
	s_delay_alu instid0(VALU_DEP_1) | instskip(NEXT) | instid1(VALU_DEP_1)
	v_and_b32_e32 v2, 0xffff, v2
	v_lshrrev_b32_e32 v2, s20, v2
	s_delay_alu instid0(VALU_DEP_1) | instskip(SKIP_1) | instid1(VALU_DEP_2)
	v_bitop3_b32 v3, v2, 1, s9 bitop3:0x80
	v_and_b32_e32 v2, s9, v2
	v_add_co_u32 v3, s0, v3, -1
	s_delay_alu instid0(VALU_DEP_1) | instskip(NEXT) | instid1(VALU_DEP_3)
	v_cndmask_b32_e64 v4, 0, 1, s0
	v_lshlrev_b32_e32 v5, 30, v2
	s_delay_alu instid0(VALU_DEP_2) | instskip(NEXT) | instid1(VALU_DEP_2)
	v_cmp_ne_u32_e32 vcc_lo, 0, v4
	v_not_b32_e32 v4, v5
	s_delay_alu instid0(VALU_DEP_1) | instskip(SKIP_4) | instid1(VALU_DEP_4)
	v_dual_ashrrev_i32 v4, 31, v4 :: v_dual_bitop2_b32 v3, vcc_lo, v3 bitop3:0x14
	v_dual_lshlrev_b32 v6, 29, v2 :: v_dual_lshlrev_b32 v7, 28, v2
	v_dual_lshlrev_b32 v52, 27, v2 :: v_dual_lshlrev_b32 v53, 26, v2
	v_dual_lshlrev_b32 v54, 25, v2 :: v_dual_lshlrev_b32 v55, 24, v2
	v_cmp_gt_i32_e64 s0, 0, v5
	v_cmp_gt_i32_e64 s1, 0, v6
	v_not_b32_e32 v5, v6
	v_not_b32_e32 v6, v7
	v_cmp_gt_i32_e64 s3, 0, v7
	v_cmp_gt_i32_e64 s4, 0, v52
	v_not_b32_e32 v7, v52
	v_cmp_gt_i32_e64 s5, 0, v53
	v_not_b32_e32 v52, v53
	;; [unrolled: 2-line block ×3, first 2 shown]
	v_not_b32_e32 v54, v55
	v_dual_ashrrev_i32 v5, 31, v5 :: v_dual_ashrrev_i32 v6, 31, v6
	v_dual_ashrrev_i32 v7, 31, v7 :: v_dual_bitop2_b32 v4, s0, v4 bitop3:0x14
	s_delay_alu instid0(VALU_DEP_2) | instskip(NEXT) | instid1(VALU_DEP_3)
	v_dual_ashrrev_i32 v52, 31, v52 :: v_dual_bitop2_b32 v5, s1, v5 bitop3:0x14
	v_xor_b32_e32 v6, s3, v6
	s_delay_alu instid0(VALU_DEP_3)
	v_bitop3_b32 v3, v3, v4, exec_lo bitop3:0x80
	v_cmp_gt_i32_e64 s7, 0, v55
	v_dual_ashrrev_i32 v4, 31, v53 :: v_dual_ashrrev_i32 v53, 31, v54
	v_xor_b32_e32 v7, s4, v7
	v_xor_b32_e32 v52, s5, v52
	v_bitop3_b32 v3, v3, v6, v5 bitop3:0x80
	v_mad_u32_u24 v56, 0x44, v2, v0
	v_xor_b32_e32 v2, s6, v4
	v_xor_b32_e32 v4, s7, v53
	s_delay_alu instid0(VALU_DEP_4) | instskip(SKIP_2) | instid1(VALU_DEP_1)
	v_bitop3_b32 v3, v3, v52, v7 bitop3:0x80
	ds_load_b32 v52, v56 offset:64
	; wave barrier
	v_bitop3_b32 v2, v3, v4, v2 bitop3:0x80
	v_mbcnt_lo_u32_b32 v53, v2, 0
	v_cmp_ne_u32_e64 s0, 0, v2
	s_delay_alu instid0(VALU_DEP_2) | instskip(SKIP_1) | instid1(SALU_CYCLE_1)
	v_cmp_eq_u32_e32 vcc_lo, 0, v53
	s_and_b32 s1, s0, vcc_lo
	s_and_saveexec_b32 s0, s1
	s_cbranch_execz .LBB1964_123
; %bb.122:
	s_wait_dscnt 0x0
	v_bcnt_u32_b32 v2, v2, v52
	ds_store_b32 v56, v2 offset:64
.LBB1964_123:
	s_or_b32 exec_lo, exec_lo, s0
	v_cmp_gt_i16_e32 vcc_lo, 0, v1
	; wave barrier
	v_cndmask_b32_e64 v2, 0x7fff, 0, vcc_lo
	s_delay_alu instid0(VALU_DEP_1) | instskip(NEXT) | instid1(VALU_DEP_1)
	v_xor_b32_e32 v54, v2, v1
	v_cmp_ne_u16_e32 vcc_lo, 0x8000, v54
	v_cndmask_b32_e32 v1, 0x7fff, v54, vcc_lo
	s_delay_alu instid0(VALU_DEP_1) | instskip(NEXT) | instid1(VALU_DEP_1)
	v_and_b32_e32 v1, 0xffff, v1
	v_lshrrev_b32_e32 v1, s20, v1
	s_delay_alu instid0(VALU_DEP_1) | instskip(SKIP_1) | instid1(VALU_DEP_2)
	v_bitop3_b32 v2, v1, 1, s9 bitop3:0x80
	v_and_b32_e32 v1, s9, v1
	v_add_co_u32 v2, s0, v2, -1
	s_delay_alu instid0(VALU_DEP_1) | instskip(NEXT) | instid1(VALU_DEP_3)
	v_cndmask_b32_e64 v3, 0, 1, s0
	v_lshlrev_b32_e32 v4, 30, v1
	s_delay_alu instid0(VALU_DEP_2) | instskip(NEXT) | instid1(VALU_DEP_2)
	v_cmp_ne_u32_e32 vcc_lo, 0, v3
	v_not_b32_e32 v3, v4
	s_delay_alu instid0(VALU_DEP_1) | instskip(SKIP_4) | instid1(VALU_DEP_4)
	v_dual_ashrrev_i32 v3, 31, v3 :: v_dual_bitop2_b32 v2, vcc_lo, v2 bitop3:0x14
	v_dual_lshlrev_b32 v5, 29, v1 :: v_dual_lshlrev_b32 v6, 28, v1
	v_dual_lshlrev_b32 v7, 27, v1 :: v_dual_lshlrev_b32 v55, 26, v1
	v_lshlrev_b32_e32 v57, 25, v1
	v_cmp_gt_i32_e64 s0, 0, v4
	v_cmp_gt_i32_e64 s1, 0, v5
	v_not_b32_e32 v4, v5
	v_not_b32_e32 v5, v6
	v_lshlrev_b32_e32 v58, 24, v1
	v_cmp_gt_i32_e64 s3, 0, v6
	v_cmp_gt_i32_e64 s4, 0, v7
	v_not_b32_e32 v6, v7
	v_not_b32_e32 v7, v55
	v_dual_ashrrev_i32 v4, 31, v4 :: v_dual_ashrrev_i32 v5, 31, v5
	v_xor_b32_e32 v3, s0, v3
	v_cmp_gt_i32_e64 s5, 0, v55
	v_cmp_gt_i32_e64 s6, 0, v57
	v_not_b32_e32 v55, v57
	v_not_b32_e32 v57, v58
	v_dual_ashrrev_i32 v6, 31, v6 :: v_dual_ashrrev_i32 v7, 31, v7
	v_xor_b32_e32 v4, s1, v4
	v_xor_b32_e32 v5, s3, v5
	v_bitop3_b32 v2, v2, v3, exec_lo bitop3:0x80
	v_cmp_gt_i32_e64 s7, 0, v58
	v_dual_ashrrev_i32 v3, 31, v55 :: v_dual_ashrrev_i32 v55, 31, v57
	v_xor_b32_e32 v6, s4, v6
	v_xor_b32_e32 v7, s5, v7
	v_bitop3_b32 v2, v2, v5, v4 bitop3:0x80
	v_mad_u32_u24 v58, 0x44, v1, v0
	v_xor_b32_e32 v0, s6, v3
	v_xor_b32_e32 v1, s7, v55
	s_delay_alu instid0(VALU_DEP_4) | instskip(SKIP_2) | instid1(VALU_DEP_1)
	v_bitop3_b32 v2, v2, v7, v6 bitop3:0x80
	ds_load_b32 v55, v58 offset:64
	; wave barrier
	v_bitop3_b32 v0, v2, v1, v0 bitop3:0x80
	v_mbcnt_lo_u32_b32 v57, v0, 0
	v_cmp_ne_u32_e64 s0, 0, v0
	s_delay_alu instid0(VALU_DEP_2) | instskip(SKIP_1) | instid1(SALU_CYCLE_1)
	v_cmp_eq_u32_e32 vcc_lo, 0, v57
	s_and_b32 s1, s0, vcc_lo
	s_and_saveexec_b32 s0, s1
	s_cbranch_execz .LBB1964_125
; %bb.124:
	s_wait_dscnt 0x0
	v_bcnt_u32_b32 v0, v0, v55
	ds_store_b32 v58, v0 offset:64
.LBB1964_125:
	s_or_b32 exec_lo, exec_lo, s0
	; wave barrier
	s_wait_dscnt 0x0
	s_barrier_signal -1
	s_barrier_wait -1
	ds_load_2addr_b32 v[6:7], v11 offset0:16 offset1:17
	ds_load_2addr_b32 v[4:5], v11 offset0:18 offset1:19
	;; [unrolled: 1-line block ×4, first 2 shown]
	ds_load_b32 v59, v11 offset:96
	v_min_u32_e32 v16, 0x1e0, v16
	s_mov_b32 s5, exec_lo
	s_delay_alu instid0(VALU_DEP_1) | instskip(SKIP_3) | instid1(VALU_DEP_1)
	v_or_b32_e32 v62, 31, v16
	s_wait_dscnt 0x3
	v_add3_u32 v60, v7, v6, v4
	s_wait_dscnt 0x2
	v_add3_u32 v60, v60, v5, v2
	s_wait_dscnt 0x1
	s_delay_alu instid0(VALU_DEP_1) | instskip(SKIP_1) | instid1(VALU_DEP_1)
	v_add3_u32 v60, v60, v3, v0
	s_wait_dscnt 0x0
	v_add3_u32 v59, v60, v1, v59
	v_and_b32_e32 v60, 15, v15
	s_delay_alu instid0(VALU_DEP_2) | instskip(NEXT) | instid1(VALU_DEP_2)
	v_mov_b32_dpp v61, v59 row_shr:1 row_mask:0xf bank_mask:0xf
	v_cmp_eq_u32_e32 vcc_lo, 0, v60
	v_cmp_lt_u32_e64 s0, 1, v60
	s_delay_alu instid0(VALU_DEP_3) | instskip(NEXT) | instid1(VALU_DEP_1)
	v_cndmask_b32_e64 v61, v61, 0, vcc_lo
	v_add_nc_u32_e32 v59, v61, v59
	s_delay_alu instid0(VALU_DEP_1) | instskip(NEXT) | instid1(VALU_DEP_1)
	v_mov_b32_dpp v61, v59 row_shr:2 row_mask:0xf bank_mask:0xf
	v_cndmask_b32_e64 v61, 0, v61, s0
	v_cmp_lt_u32_e64 s3, 7, v60
	v_cmp_lt_u32_e64 s1, 3, v60
	s_delay_alu instid0(VALU_DEP_3) | instskip(NEXT) | instid1(VALU_DEP_1)
	v_add_nc_u32_e32 v59, v59, v61
	v_mov_b32_dpp v61, v59 row_shr:4 row_mask:0xf bank_mask:0xf
	s_delay_alu instid0(VALU_DEP_1) | instskip(NEXT) | instid1(VALU_DEP_1)
	v_cndmask_b32_e64 v61, 0, v61, s1
	v_add_nc_u32_e32 v59, v59, v61
	s_delay_alu instid0(VALU_DEP_1) | instskip(NEXT) | instid1(VALU_DEP_1)
	v_mov_b32_dpp v61, v59 row_shr:8 row_mask:0xf bank_mask:0xf
	v_cndmask_b32_e64 v60, 0, v61, s3
	v_bfe_i32 v61, v15, 4, 1
	s_delay_alu instid0(VALU_DEP_2) | instskip(SKIP_3) | instid1(VALU_DEP_1)
	v_add_nc_u32_e32 v60, v59, v60
	ds_swizzle_b32 v59, v60 offset:swizzle(BROADCAST,32,15)
	s_wait_dscnt 0x0
	v_dual_lshrrev_b32 v59, 5, v14 :: v_dual_bitop2_b32 v61, v61, v59 bitop3:0x40
	v_add_nc_u32_e32 v16, v60, v61
	v_cmpx_eq_u32_e64 v14, v62
; %bb.126:
	s_delay_alu instid0(VALU_DEP_3)
	v_lshlrev_b32_e32 v60, 2, v59
	ds_store_b32 v60, v16
; %bb.127:
	s_or_b32 exec_lo, exec_lo, s5
	s_delay_alu instid0(SALU_CYCLE_1)
	s_mov_b32 s5, exec_lo
	s_wait_dscnt 0x0
	s_barrier_signal -1
	s_barrier_wait -1
	v_cmpx_gt_u32_e32 16, v14
	s_cbranch_execz .LBB1964_129
; %bb.128:
	v_lshlrev_b32_e32 v60, 2, v14
	ds_load_b32 v61, v60
	s_wait_dscnt 0x0
	v_mov_b32_dpp v62, v61 row_shr:1 row_mask:0xf bank_mask:0xf
	s_delay_alu instid0(VALU_DEP_1) | instskip(NEXT) | instid1(VALU_DEP_1)
	v_cndmask_b32_e64 v62, v62, 0, vcc_lo
	v_add_nc_u32_e32 v61, v62, v61
	s_delay_alu instid0(VALU_DEP_1) | instskip(NEXT) | instid1(VALU_DEP_1)
	v_mov_b32_dpp v62, v61 row_shr:2 row_mask:0xf bank_mask:0xf
	v_cndmask_b32_e64 v62, 0, v62, s0
	s_delay_alu instid0(VALU_DEP_1) | instskip(NEXT) | instid1(VALU_DEP_1)
	v_add_nc_u32_e32 v61, v61, v62
	v_mov_b32_dpp v62, v61 row_shr:4 row_mask:0xf bank_mask:0xf
	s_delay_alu instid0(VALU_DEP_1) | instskip(NEXT) | instid1(VALU_DEP_1)
	v_cndmask_b32_e64 v62, 0, v62, s1
	v_add_nc_u32_e32 v61, v61, v62
	s_delay_alu instid0(VALU_DEP_1) | instskip(NEXT) | instid1(VALU_DEP_1)
	v_mov_b32_dpp v62, v61 row_shr:8 row_mask:0xf bank_mask:0xf
	v_cndmask_b32_e64 v62, 0, v62, s3
	s_delay_alu instid0(VALU_DEP_1)
	v_add_nc_u32_e32 v61, v61, v62
	ds_store_b32 v60, v61
.LBB1964_129:
	s_or_b32 exec_lo, exec_lo, s5
	v_mov_b32_e32 v60, 0
	s_mov_b32 s0, exec_lo
	s_wait_dscnt 0x0
	s_barrier_signal -1
	s_barrier_wait -1
	v_cmpx_lt_u32_e32 31, v14
; %bb.130:
	v_lshl_add_u32 v59, v59, 2, -4
	ds_load_b32 v60, v59
; %bb.131:
	s_or_b32 exec_lo, exec_lo, s0
	v_sub_co_u32 v59, vcc_lo, v15, 1
	s_wait_dscnt 0x0
	v_add_nc_u32_e32 v16, v60, v16
	s_delay_alu instid0(VALU_DEP_2) | instskip(NEXT) | instid1(VALU_DEP_1)
	v_cmp_gt_i32_e64 s0, 0, v59
	v_cndmask_b32_e64 v15, v59, v15, s0
	v_cmp_gt_u32_e64 s0, 0x100, v14
	s_delay_alu instid0(VALU_DEP_2) | instskip(SKIP_4) | instid1(VALU_DEP_2)
	v_lshlrev_b32_e32 v15, 2, v15
	ds_bpermute_b32 v15, v15, v16
	s_wait_dscnt 0x0
	v_cndmask_b32_e32 v15, v15, v60, vcc_lo
	v_cmp_lt_u32_e32 vcc_lo, 0xff, v14
	v_cndmask_b32_e64 v15, v15, 0, s2
	s_delay_alu instid0(VALU_DEP_1) | instskip(NEXT) | instid1(VALU_DEP_1)
	v_add_nc_u32_e32 v6, v15, v6
	v_add_nc_u32_e32 v7, v6, v7
	s_delay_alu instid0(VALU_DEP_1) | instskip(NEXT) | instid1(VALU_DEP_1)
	v_add_nc_u32_e32 v4, v7, v4
	v_add_nc_u32_e32 v5, v4, v5
	;; [unrolled: 3-line block ×4, first 2 shown]
	ds_store_2addr_b32 v11, v15, v6 offset0:16 offset1:17
	ds_store_2addr_b32 v11, v7, v4 offset0:18 offset1:19
	;; [unrolled: 1-line block ×4, first 2 shown]
	ds_store_b32 v11, v1 offset:96
	s_wait_dscnt 0x0
	s_barrier_signal -1
	s_barrier_wait -1
	ds_load_b32 v59, v12 offset:64
	ds_load_b32 v60, v19 offset:64
	;; [unrolled: 1-line block ×12, first 2 shown]
	v_mov_b64_e32 v[0:1], 0
                                        ; implicit-def: $vgpr2
	s_and_saveexec_b32 s2, s0
	s_cbranch_execz .LBB1964_135
; %bb.132:
	v_mul_u32_u24_e32 v0, 0x44, v14
	v_dual_mov_b32 v1, 0x1800 :: v_dual_add_nc_u32 v2, 1, v14
	s_mov_b32 s3, exec_lo
	ds_load_b32 v0, v0 offset:64
	v_cmpx_ne_u32_e32 0x100, v2
; %bb.133:
	v_mul_u32_u24_e32 v1, 0x44, v2
	ds_load_b32 v1, v1 offset:64
; %bb.134:
	s_or_b32 exec_lo, exec_lo, s3
	s_wait_dscnt 0x0
	v_dual_mov_b32 v1, 0 :: v_dual_sub_nc_u32 v2, v1, v0
.LBB1964_135:
	s_or_b32 exec_lo, exec_lo, s2
	s_wait_dscnt 0xa
	v_dual_lshlrev_b32 v9, 1, v9 :: v_dual_lshlrev_b32 v23, 1, v60
	v_dual_lshlrev_b32 v18, 1, v18 :: v_dual_lshlrev_b32 v17, 1, v17
	v_lshlrev_b32_e32 v21, 1, v21
	s_delay_alu instid0(VALU_DEP_3)
	v_lshl_add_u32 v9, v59, 1, v9
	s_wait_dscnt 0x0
	s_barrier_signal -1
	v_add3_u32 v17, v23, v18, v17
	v_dual_lshlrev_b32 v18, 1, v19 :: v_dual_lshlrev_b32 v19, 1, v22
	s_barrier_wait -1
	ds_store_b16 v9, v8 offset:2048
	ds_store_b16 v17, v10 offset:2048
	v_lshlrev_b32_e32 v9, 1, v16
	v_add3_u32 v8, v18, v19, v21
	v_dual_lshlrev_b32 v10, 1, v26 :: v_dual_lshlrev_b32 v16, 1, v25
	v_dual_lshlrev_b32 v18, 1, v28 :: v_dual_lshlrev_b32 v19, 1, v33
	;; [unrolled: 1-line block ×6, first 2 shown]
	ds_store_b16 v8, v13 offset:2048
	v_add3_u32 v8, v9, v10, v16
	v_add3_u32 v10, v12, v19, v21
	v_dual_lshlrev_b32 v12, 1, v42 :: v_dual_lshlrev_b32 v13, 1, v41
	v_add3_u32 v9, v15, v17, v18
	v_add3_u32 v11, v11, v22, v23
	ds_store_b16 v8, v20 offset:2048
	ds_store_b16 v9, v24 offset:2048
	;; [unrolled: 1-line block ×4, first 2 shown]
	v_add3_u32 v7, v7, v12, v13
	v_dual_lshlrev_b32 v6, 1, v6 :: v_dual_lshlrev_b32 v9, 1, v45
	v_dual_lshlrev_b32 v8, 1, v46 :: v_dual_lshlrev_b32 v5, 1, v5
	;; [unrolled: 1-line block ×6, first 2 shown]
	ds_store_b16 v7, v36 offset:2048
	v_add3_u32 v6, v6, v8, v9
	v_add3_u32 v7, v5, v10, v11
	;; [unrolled: 1-line block ×3, first 2 shown]
	v_dual_mov_b32 v5, 0 :: v_dual_lshlrev_b32 v3, 3, v14
	v_add3_u32 v4, v4, v12, v13
	ds_store_b16 v6, v40 offset:2048
	ds_store_b16 v7, v44 offset:2048
	;; [unrolled: 1-line block ×4, first 2 shown]
	s_and_saveexec_b32 s1, s0
	s_cbranch_execz .LBB1964_145
; %bb.136:
	v_lshl_add_u32 v4, s23, 8, v14
	v_dual_mov_b32 v8, 0 :: v_dual_bitop2_b32 v9, 2.0, v2 bitop3:0x54
	s_mov_b32 s2, 0
	s_mov_b32 s3, s23
	s_delay_alu instid0(VALU_DEP_2)
	v_lshl_add_u64 v[6:7], v[4:5], 2, s[10:11]
	global_store_b32 v4, v9, s[10:11] scale_offset scope:SCOPE_DEV
                                        ; implicit-def: $sgpr0
	s_branch .LBB1964_139
.LBB1964_137:                           ;   in Loop: Header=BB1964_139 Depth=1
	s_or_b32 exec_lo, exec_lo, s5
.LBB1964_138:                           ;   in Loop: Header=BB1964_139 Depth=1
	s_delay_alu instid0(SALU_CYCLE_1) | instskip(SKIP_2) | instid1(VALU_DEP_2)
	s_or_b32 exec_lo, exec_lo, s4
	v_and_b32_e32 v4, 0x3fffffff, v9
	v_cmp_gt_i32_e64 s0, -2.0, v9
	v_add_nc_u32_e32 v8, v4, v8
	s_and_b32 s4, exec_lo, s0
	s_delay_alu instid0(SALU_CYCLE_1) | instskip(NEXT) | instid1(SALU_CYCLE_1)
	s_or_b32 s2, s4, s2
	s_and_not1_b32 exec_lo, exec_lo, s2
	s_cbranch_execz .LBB1964_144
.LBB1964_139:                           ; =>This Loop Header: Depth=1
                                        ;     Child Loop BB1964_142 Depth 2
	s_or_b32 s0, s0, exec_lo
	s_cmp_eq_u32 s3, 0
	s_cbranch_scc1 .LBB1964_143
; %bb.140:                              ;   in Loop: Header=BB1964_139 Depth=1
	s_add_co_i32 s3, s3, -1
	s_mov_b32 s4, exec_lo
	s_wait_xcnt 0x0
	v_lshl_or_b32 v4, s3, 8, v14
	global_load_b32 v9, v4, s[10:11] scale_offset scope:SCOPE_DEV
	s_wait_loadcnt 0x0
	v_cmpx_gt_u32_e32 2.0, v9
	s_cbranch_execz .LBB1964_138
; %bb.141:                              ;   in Loop: Header=BB1964_139 Depth=1
	v_lshl_add_u64 v[10:11], v[4:5], 2, s[10:11]
	s_mov_b32 s5, 0
.LBB1964_142:                           ;   Parent Loop BB1964_139 Depth=1
                                        ; =>  This Inner Loop Header: Depth=2
	global_load_b32 v9, v[10:11], off scope:SCOPE_DEV
	s_wait_loadcnt 0x0
	v_cmp_lt_u32_e64 s0, 0x3fffffff, v9
	s_or_b32 s5, s0, s5
	s_wait_xcnt 0x0
	s_and_not1_b32 exec_lo, exec_lo, s5
	s_cbranch_execnz .LBB1964_142
	s_branch .LBB1964_137
.LBB1964_143:                           ;   in Loop: Header=BB1964_139 Depth=1
                                        ; implicit-def: $sgpr3
	s_and_b32 s4, exec_lo, s0
	s_delay_alu instid0(SALU_CYCLE_1)
	s_or_b32 s2, s4, s2
	s_wait_xcnt 0x0
	s_and_not1_b32 exec_lo, exec_lo, s2
	s_cbranch_execnz .LBB1964_139
.LBB1964_144:
	s_or_b32 exec_lo, exec_lo, s2
	v_dual_mov_b32 v9, 0 :: v_dual_add_nc_u32 v4, v8, v2
	s_delay_alu instid0(VALU_DEP_1) | instskip(SKIP_4) | instid1(VALU_DEP_1)
	v_or_b32_e32 v4, 0x80000000, v4
	global_store_b32 v[6:7], v4, off scope:SCOPE_DEV
	global_load_b64 v[4:5], v14, s[12:13] scale_offset
	v_sub_nc_u64_e32 v[6:7], v[8:9], v[0:1]
	s_wait_loadcnt 0x0
	v_add_nc_u64_e32 v[4:5], v[6:7], v[4:5]
	ds_store_b64 v3, v[4:5]
.LBB1964_145:
	s_wait_xcnt 0x0
	s_or_b32 exec_lo, exec_lo, s1
	v_mad_i32_i24 v15, v14, -6, v3
	s_wait_storecnt_dscnt 0x0
	s_barrier_signal -1
	s_barrier_wait -1
	ds_load_u16 v16, v15 offset:2048
	ds_load_u16 v17, v15 offset:3072
	ds_load_u16 v18, v15 offset:4096
	ds_load_u16 v19, v15 offset:5120
	ds_load_u16 v20, v15 offset:6144
	ds_load_u16 v21, v15 offset:7168
	ds_load_u16 v22, v15 offset:8192
	ds_load_u16 v23, v15 offset:9216
	v_dual_mov_b32 v5, 0 :: v_dual_lshlrev_b32 v4, 1, v14
	s_add_co_i32 s8, s8, -1
	s_delay_alu instid0(SALU_CYCLE_1) | instskip(SKIP_2) | instid1(VALU_DEP_1)
	s_cmp_eq_u32 s23, s8
	s_wait_dscnt 0x7
	v_cmp_ne_u16_e64 s0, 0x8000, v16
	v_cndmask_b32_e64 v6, 0x7fff, v16, s0
	v_cmp_gt_i16_e64 s0, 0, v16
	s_delay_alu instid0(VALU_DEP_2) | instskip(NEXT) | instid1(VALU_DEP_2)
	v_and_b32_e32 v6, 0xffff, v6
	v_cndmask_b32_e64 v24, 0x7fff, 0, s0
	s_wait_dscnt 0x6
	v_cmp_ne_u16_e64 s0, 0x8000, v17
	s_delay_alu instid0(VALU_DEP_2) | instskip(NEXT) | instid1(VALU_DEP_2)
	v_xor_b32_e32 v24, v24, v16
	v_cndmask_b32_e64 v7, 0x7fff, v17, s0
	s_wait_dscnt 0x5
	v_cmp_ne_u16_e64 s0, 0x8000, v18
	s_delay_alu instid0(VALU_DEP_2) | instskip(NEXT) | instid1(VALU_DEP_2)
	v_and_b32_e32 v7, 0xffff, v7
	v_cndmask_b32_e64 v8, 0x7fff, v18, s0
	s_wait_dscnt 0x4
	v_cmp_ne_u16_e64 s0, 0x8000, v19
	s_delay_alu instid0(VALU_DEP_3) | instskip(NEXT) | instid1(VALU_DEP_3)
	v_dual_lshrrev_b32 v6, s20, v6 :: v_dual_lshrrev_b32 v7, s20, v7
	v_and_b32_e32 v8, 0xffff, v8
	s_delay_alu instid0(VALU_DEP_3) | instskip(SKIP_1) | instid1(VALU_DEP_4)
	v_cndmask_b32_e64 v9, 0x7fff, v19, s0
	v_cmp_gt_i16_e64 s0, 0, v17
	v_and_b32_e32 v7, s9, v7
	v_and_b32_e32 v6, s9, v6
	s_delay_alu instid0(VALU_DEP_4) | instskip(NEXT) | instid1(VALU_DEP_4)
	v_and_b32_e32 v9, 0xffff, v9
	v_cndmask_b32_e64 v25, 0x7fff, 0, s0
	s_wait_dscnt 0x3
	v_cmp_ne_u16_e64 s0, 0x8000, v20
	v_dual_lshrrev_b32 v8, s20, v8 :: v_dual_lshlrev_b32 v11, 3, v7
	v_dual_lshrrev_b32 v9, s20, v9 :: v_dual_lshlrev_b32 v6, 3, v6
	s_delay_alu instid0(VALU_DEP_3) | instskip(SKIP_1) | instid1(VALU_DEP_2)
	v_cndmask_b32_e64 v10, 0x7fff, v20, s0
	v_cmp_gt_i16_e64 s0, 0, v18
	v_and_b32_e32 v10, 0xffff, v10
	v_and_b32_e32 v8, s9, v8
	;; [unrolled: 1-line block ×3, first 2 shown]
	s_delay_alu instid0(VALU_DEP_4) | instskip(SKIP_1) | instid1(VALU_DEP_4)
	v_cndmask_b32_e64 v27, 0x7fff, 0, s0
	v_cmp_gt_i16_e64 s0, 0, v19
	v_dual_lshrrev_b32 v26, s20, v10 :: v_dual_lshlrev_b32 v10, 3, v8
	s_delay_alu instid0(VALU_DEP_4)
	v_lshlrev_b32_e32 v12, 3, v9
	ds_load_b64 v[6:7], v6
	ds_load_b64 v[8:9], v11
	v_cndmask_b32_e64 v28, 0x7fff, 0, s0
	s_wait_dscnt 0x4
	v_cmp_ne_u16_e64 s0, 0x8000, v21
	v_and_b32_e32 v26, s9, v26
	ds_load_b64 v[10:11], v10
	ds_load_b64 v[12:13], v12
	v_xor_b32_e32 v19, v28, v19
	v_cndmask_b32_e64 v29, 0x7fff, v21, s0
	s_wait_dscnt 0x5
	v_cmp_ne_u16_e64 s0, 0x8000, v22
	v_lshlrev_b32_e32 v26, 3, v26
	s_delay_alu instid0(VALU_DEP_2) | instskip(SKIP_1) | instid1(VALU_DEP_2)
	v_cndmask_b32_e64 v30, 0x7fff, v22, s0
	v_cmp_gt_i16_e64 s0, 0, v20
	v_and_b32_e32 v28, 0xffff, v30
	s_wait_dscnt 0x3
	v_lshl_add_u64 v[6:7], v[6:7], 1, s[18:19]
	v_xor_b32_e32 v18, v27, v18
	v_and_b32_e32 v27, 0xffff, v29
	v_xor_b32_e32 v25, v25, v17
	ds_load_b64 v[16:17], v26
	ds_load_u16 v26, v15 offset:10240
	ds_load_u16 v31, v15 offset:11264
	ds_load_u16 v32, v15 offset:12288
	ds_load_u16 v15, v15 offset:13312
	s_wait_dscnt 0x7
	v_lshl_add_u64 v[8:9], v[8:9], 1, s[18:19]
	s_wait_dscnt 0x6
	v_lshl_add_u64 v[10:11], v[10:11], 1, s[18:19]
	v_add_nc_u64_e32 v[6:7], v[6:7], v[4:5]
	s_wait_dscnt 0x5
	v_lshl_add_u64 v[12:13], v[12:13], 1, s[18:19]
	v_add_nc_u64_e32 v[8:9], v[8:9], v[4:5]
	v_add_nc_u64_e32 v[10:11], v[10:11], v[4:5]
	s_clause 0x1
	global_store_b16 v[6:7], v24, off
	global_store_b16 v[8:9], v25, off offset:1024
	s_wait_xcnt 0x1
	v_cndmask_b32_e64 v6, 0x7fff, 0, s0
	v_cmp_ne_u16_e64 s0, 0x8000, v23
	s_wait_xcnt 0x0
	v_dual_lshrrev_b32 v8, s20, v27 :: v_dual_lshrrev_b32 v9, s20, v28
	global_store_b16 v[10:11], v18, off offset:2048
	v_add_nc_u64_e32 v[12:13], v[12:13], v[4:5]
	s_wait_xcnt 0x0
	v_cndmask_b32_e64 v10, 0x7fff, v23, s0
	s_wait_dscnt 0x3
	v_cmp_ne_u16_e64 s0, 0x8000, v26
	v_and_b32_e32 v8, s9, v8
	v_and_b32_e32 v9, s9, v9
	s_delay_alu instid0(VALU_DEP_3)
	v_cndmask_b32_e64 v11, 0x7fff, v26, s0
	s_wait_dscnt 0x2
	v_cmp_ne_u16_e64 s0, 0x8000, v31
	v_lshlrev_b32_e32 v8, 3, v8
	global_store_b16 v[12:13], v19, off offset:3072
	s_wait_xcnt 0x0
	v_dual_lshlrev_b32 v13, 3, v9 :: v_dual_bitop2_b32 v12, v6, v20 bitop3:0x14
	v_lshl_add_u64 v[6:7], v[16:17], 1, s[18:19]
	v_and_b32_e32 v16, 0xffff, v10
	v_and_b32_e32 v17, 0xffff, v11
	v_cndmask_b32_e64 v18, 0x7fff, v31, s0
	ds_load_b64 v[8:9], v8
	ds_load_b64 v[10:11], v13
	v_cmp_gt_i16_e64 s0, 0, v21
	v_dual_lshrrev_b32 v13, s20, v16 :: v_dual_lshrrev_b32 v16, s20, v17
	v_and_b32_e32 v17, 0xffff, v18
	v_add_nc_u64_e32 v[6:7], v[6:7], v[4:5]
	s_delay_alu instid0(VALU_DEP_4)
	v_cndmask_b32_e64 v18, 0x7fff, 0, s0
	s_wait_dscnt 0x3
	v_cmp_ne_u16_e64 s0, 0x8000, v32
	v_dual_lshrrev_b32 v17, s20, v17 :: v_dual_bitop2_b32 v16, s9, v16 bitop3:0x40
	v_and_b32_e32 v13, s9, v13
	global_store_b16 v[6:7], v12, off offset:4096
	s_wait_xcnt 0x0
	v_dual_lshlrev_b32 v12, 3, v16 :: v_dual_bitop2_b32 v16, s9, v17 bitop3:0x40
	v_cndmask_b32_e64 v17, 0x7fff, v32, s0
	s_wait_dscnt 0x2
	v_cmp_ne_u16_e64 s0, 0x8000, v15
	s_wait_dscnt 0x1
	v_lshl_add_u64 v[8:9], v[8:9], 1, s[18:19]
	v_and_b32_e32 v17, 0xffff, v17
	s_delay_alu instid0(VALU_DEP_3)
	v_cndmask_b32_e64 v19, 0x7fff, v15, s0
	v_cmp_gt_i16_e64 s0, 0, v22
	s_wait_dscnt 0x0
	v_lshl_add_u64 v[10:11], v[10:11], 1, s[18:19]
	v_add_nc_u64_e32 v[8:9], v[8:9], v[4:5]
	v_lshrrev_b32_e32 v20, s20, v17
	v_and_b32_e32 v19, 0xffff, v19
	v_lshlrev_b32_e32 v6, 3, v13
	v_dual_lshlrev_b32 v16, 3, v16 :: v_dual_bitop2_b32 v18, v18, v21 bitop3:0x14
	v_cndmask_b32_e64 v21, 0x7fff, 0, s0
	s_delay_alu instid0(VALU_DEP_4)
	v_lshrrev_b32_e32 v19, s20, v19
	ds_load_b64 v[6:7], v6
	ds_load_b64 v[12:13], v12
	v_add_nc_u64_e32 v[10:11], v[10:11], v[4:5]
	ds_load_b64 v[16:17], v16
	v_xor_b32_e32 v21, v21, v22
	v_and_b32_e32 v19, s9, v19
	v_and_b32_e32 v20, s9, v20
	v_cmp_gt_i16_e64 s0, 0, v23
	s_clause 0x1
	global_store_b16 v[8:9], v18, off offset:5120
	global_store_b16 v[10:11], v21, off offset:6144
	v_dual_lshlrev_b32 v19, 3, v19 :: v_dual_lshlrev_b32 v20, 3, v20
	v_cndmask_b32_e64 v22, 0x7fff, 0, s0
	v_cmp_gt_i16_e64 s0, 0, v26
	s_wait_xcnt 0x0
	ds_load_b64 v[10:11], v19
	ds_load_b64 v[8:9], v20
	v_xor_b32_e32 v18, v22, v23
	v_cndmask_b32_e64 v19, 0x7fff, 0, s0
	v_cmp_gt_i16_e64 s0, 0, v31
	s_wait_dscnt 0x4
	v_lshl_add_u64 v[6:7], v[6:7], 1, s[18:19]
	s_wait_dscnt 0x3
	v_lshl_add_u64 v[12:13], v[12:13], 1, s[18:19]
	;; [unrolled: 2-line block ×3, first 2 shown]
	v_cndmask_b32_e64 v20, 0x7fff, 0, s0
	v_cmp_gt_i16_e64 s0, 0, v32
	v_add_nc_u64_e32 v[6:7], v[6:7], v[4:5]
	v_add_nc_u64_e32 v[12:13], v[12:13], v[4:5]
	;; [unrolled: 1-line block ×3, first 2 shown]
	v_xor_b32_e32 v19, v19, v26
	v_xor_b32_e32 v20, v20, v31
	v_cndmask_b32_e64 v21, 0x7fff, 0, s0
	v_cmp_gt_i16_e64 s0, 0, v15
	s_clause 0x2
	global_store_b16 v[6:7], v18, off offset:7168
	global_store_b16 v[12:13], v19, off offset:8192
	;; [unrolled: 1-line block ×3, first 2 shown]
	s_wait_dscnt 0x0
	s_wait_xcnt 0x2
	v_lshl_add_u64 v[6:7], v[8:9], 1, s[18:19]
	v_lshl_add_u64 v[8:9], v[10:11], 1, s[18:19]
	v_cndmask_b32_e64 v10, 0x7fff, 0, s0
	s_wait_xcnt 0x1
	v_xor_b32_e32 v12, v21, v32
	s_cselect_b32 s0, -1, 0
	v_add_nc_u64_e32 v[6:7], v[6:7], v[4:5]
	v_add_nc_u64_e32 v[8:9], v[8:9], v[4:5]
	v_xor_b32_e32 v4, v10, v15
	s_xor_b32 s1, vcc_lo, -1
	s_delay_alu instid0(SALU_CYCLE_1)
	s_and_b32 s0, s1, s0
	s_clause 0x1
	global_store_b16 v[6:7], v12, off offset:10240
	global_store_b16 v[8:9], v4, off offset:11264
	s_wait_xcnt 0x0
	s_and_saveexec_b32 s1, s0
	s_cbranch_execz .LBB1964_147
; %bb.146:
	ds_load_b64 v[6:7], v3
	v_mov_b32_e32 v3, v5
	s_delay_alu instid0(VALU_DEP_1) | instskip(SKIP_1) | instid1(VALU_DEP_1)
	v_add_nc_u64_e32 v[0:1], v[0:1], v[2:3]
	s_wait_dscnt 0x0
	v_add_nc_u64_e32 v[0:1], v[0:1], v[6:7]
	global_store_b64 v14, v[0:1], s[14:15] scale_offset
.LBB1964_147:
	s_sendmsg sendmsg(MSG_DEALLOC_VGPRS)
	s_endpgm
	.section	.rodata,"a",@progbits
	.p2align	6, 0x0
	.amdhsa_kernel _ZN7rocprim17ROCPRIM_400000_NS6detail17trampoline_kernelINS0_14default_configENS1_35radix_sort_onesweep_config_selectorI12hip_bfloat16NS0_10empty_typeEEEZZNS1_29radix_sort_onesweep_iterationIS3_Lb1EPKS5_PS5_PS6_SC_mNS0_19identity_decomposerENS1_16block_id_wrapperIjLb1EEEEE10hipError_tT1_PNSt15iterator_traitsISH_E10value_typeET2_T3_PNSI_ISN_E10value_typeET4_T5_PSS_ST_PNS1_23onesweep_lookback_stateEbbT6_jjT7_P12ihipStream_tbENKUlT_T0_SH_SM_E_clISA_SB_SC_SC_EEDaS10_S11_SH_SM_EUlS10_E_NS1_11comp_targetILNS1_3genE0ELNS1_11target_archE4294967295ELNS1_3gpuE0ELNS1_3repE0EEENS1_47radix_sort_onesweep_sort_config_static_selectorELNS0_4arch9wavefront6targetE0EEEvSH_
		.amdhsa_group_segment_fixed_size 18504
		.amdhsa_private_segment_fixed_size 0
		.amdhsa_kernarg_size 344
		.amdhsa_user_sgpr_count 2
		.amdhsa_user_sgpr_dispatch_ptr 0
		.amdhsa_user_sgpr_queue_ptr 0
		.amdhsa_user_sgpr_kernarg_segment_ptr 1
		.amdhsa_user_sgpr_dispatch_id 0
		.amdhsa_user_sgpr_kernarg_preload_length 0
		.amdhsa_user_sgpr_kernarg_preload_offset 0
		.amdhsa_user_sgpr_private_segment_size 0
		.amdhsa_wavefront_size32 1
		.amdhsa_uses_dynamic_stack 0
		.amdhsa_enable_private_segment 0
		.amdhsa_system_sgpr_workgroup_id_x 1
		.amdhsa_system_sgpr_workgroup_id_y 0
		.amdhsa_system_sgpr_workgroup_id_z 0
		.amdhsa_system_sgpr_workgroup_info 0
		.amdhsa_system_vgpr_workitem_id 2
		.amdhsa_next_free_vgpr 65
		.amdhsa_next_free_sgpr 30
		.amdhsa_named_barrier_count 0
		.amdhsa_reserve_vcc 1
		.amdhsa_float_round_mode_32 0
		.amdhsa_float_round_mode_16_64 0
		.amdhsa_float_denorm_mode_32 3
		.amdhsa_float_denorm_mode_16_64 3
		.amdhsa_fp16_overflow 0
		.amdhsa_memory_ordered 1
		.amdhsa_forward_progress 1
		.amdhsa_inst_pref_size 148
		.amdhsa_round_robin_scheduling 0
		.amdhsa_exception_fp_ieee_invalid_op 0
		.amdhsa_exception_fp_denorm_src 0
		.amdhsa_exception_fp_ieee_div_zero 0
		.amdhsa_exception_fp_ieee_overflow 0
		.amdhsa_exception_fp_ieee_underflow 0
		.amdhsa_exception_fp_ieee_inexact 0
		.amdhsa_exception_int_div_zero 0
	.end_amdhsa_kernel
	.section	.text._ZN7rocprim17ROCPRIM_400000_NS6detail17trampoline_kernelINS0_14default_configENS1_35radix_sort_onesweep_config_selectorI12hip_bfloat16NS0_10empty_typeEEEZZNS1_29radix_sort_onesweep_iterationIS3_Lb1EPKS5_PS5_PS6_SC_mNS0_19identity_decomposerENS1_16block_id_wrapperIjLb1EEEEE10hipError_tT1_PNSt15iterator_traitsISH_E10value_typeET2_T3_PNSI_ISN_E10value_typeET4_T5_PSS_ST_PNS1_23onesweep_lookback_stateEbbT6_jjT7_P12ihipStream_tbENKUlT_T0_SH_SM_E_clISA_SB_SC_SC_EEDaS10_S11_SH_SM_EUlS10_E_NS1_11comp_targetILNS1_3genE0ELNS1_11target_archE4294967295ELNS1_3gpuE0ELNS1_3repE0EEENS1_47radix_sort_onesweep_sort_config_static_selectorELNS0_4arch9wavefront6targetE0EEEvSH_,"axG",@progbits,_ZN7rocprim17ROCPRIM_400000_NS6detail17trampoline_kernelINS0_14default_configENS1_35radix_sort_onesweep_config_selectorI12hip_bfloat16NS0_10empty_typeEEEZZNS1_29radix_sort_onesweep_iterationIS3_Lb1EPKS5_PS5_PS6_SC_mNS0_19identity_decomposerENS1_16block_id_wrapperIjLb1EEEEE10hipError_tT1_PNSt15iterator_traitsISH_E10value_typeET2_T3_PNSI_ISN_E10value_typeET4_T5_PSS_ST_PNS1_23onesweep_lookback_stateEbbT6_jjT7_P12ihipStream_tbENKUlT_T0_SH_SM_E_clISA_SB_SC_SC_EEDaS10_S11_SH_SM_EUlS10_E_NS1_11comp_targetILNS1_3genE0ELNS1_11target_archE4294967295ELNS1_3gpuE0ELNS1_3repE0EEENS1_47radix_sort_onesweep_sort_config_static_selectorELNS0_4arch9wavefront6targetE0EEEvSH_,comdat
.Lfunc_end1964:
	.size	_ZN7rocprim17ROCPRIM_400000_NS6detail17trampoline_kernelINS0_14default_configENS1_35radix_sort_onesweep_config_selectorI12hip_bfloat16NS0_10empty_typeEEEZZNS1_29radix_sort_onesweep_iterationIS3_Lb1EPKS5_PS5_PS6_SC_mNS0_19identity_decomposerENS1_16block_id_wrapperIjLb1EEEEE10hipError_tT1_PNSt15iterator_traitsISH_E10value_typeET2_T3_PNSI_ISN_E10value_typeET4_T5_PSS_ST_PNS1_23onesweep_lookback_stateEbbT6_jjT7_P12ihipStream_tbENKUlT_T0_SH_SM_E_clISA_SB_SC_SC_EEDaS10_S11_SH_SM_EUlS10_E_NS1_11comp_targetILNS1_3genE0ELNS1_11target_archE4294967295ELNS1_3gpuE0ELNS1_3repE0EEENS1_47radix_sort_onesweep_sort_config_static_selectorELNS0_4arch9wavefront6targetE0EEEvSH_, .Lfunc_end1964-_ZN7rocprim17ROCPRIM_400000_NS6detail17trampoline_kernelINS0_14default_configENS1_35radix_sort_onesweep_config_selectorI12hip_bfloat16NS0_10empty_typeEEEZZNS1_29radix_sort_onesweep_iterationIS3_Lb1EPKS5_PS5_PS6_SC_mNS0_19identity_decomposerENS1_16block_id_wrapperIjLb1EEEEE10hipError_tT1_PNSt15iterator_traitsISH_E10value_typeET2_T3_PNSI_ISN_E10value_typeET4_T5_PSS_ST_PNS1_23onesweep_lookback_stateEbbT6_jjT7_P12ihipStream_tbENKUlT_T0_SH_SM_E_clISA_SB_SC_SC_EEDaS10_S11_SH_SM_EUlS10_E_NS1_11comp_targetILNS1_3genE0ELNS1_11target_archE4294967295ELNS1_3gpuE0ELNS1_3repE0EEENS1_47radix_sort_onesweep_sort_config_static_selectorELNS0_4arch9wavefront6targetE0EEEvSH_
                                        ; -- End function
	.set _ZN7rocprim17ROCPRIM_400000_NS6detail17trampoline_kernelINS0_14default_configENS1_35radix_sort_onesweep_config_selectorI12hip_bfloat16NS0_10empty_typeEEEZZNS1_29radix_sort_onesweep_iterationIS3_Lb1EPKS5_PS5_PS6_SC_mNS0_19identity_decomposerENS1_16block_id_wrapperIjLb1EEEEE10hipError_tT1_PNSt15iterator_traitsISH_E10value_typeET2_T3_PNSI_ISN_E10value_typeET4_T5_PSS_ST_PNS1_23onesweep_lookback_stateEbbT6_jjT7_P12ihipStream_tbENKUlT_T0_SH_SM_E_clISA_SB_SC_SC_EEDaS10_S11_SH_SM_EUlS10_E_NS1_11comp_targetILNS1_3genE0ELNS1_11target_archE4294967295ELNS1_3gpuE0ELNS1_3repE0EEENS1_47radix_sort_onesweep_sort_config_static_selectorELNS0_4arch9wavefront6targetE0EEEvSH_.num_vgpr, 65
	.set _ZN7rocprim17ROCPRIM_400000_NS6detail17trampoline_kernelINS0_14default_configENS1_35radix_sort_onesweep_config_selectorI12hip_bfloat16NS0_10empty_typeEEEZZNS1_29radix_sort_onesweep_iterationIS3_Lb1EPKS5_PS5_PS6_SC_mNS0_19identity_decomposerENS1_16block_id_wrapperIjLb1EEEEE10hipError_tT1_PNSt15iterator_traitsISH_E10value_typeET2_T3_PNSI_ISN_E10value_typeET4_T5_PSS_ST_PNS1_23onesweep_lookback_stateEbbT6_jjT7_P12ihipStream_tbENKUlT_T0_SH_SM_E_clISA_SB_SC_SC_EEDaS10_S11_SH_SM_EUlS10_E_NS1_11comp_targetILNS1_3genE0ELNS1_11target_archE4294967295ELNS1_3gpuE0ELNS1_3repE0EEENS1_47radix_sort_onesweep_sort_config_static_selectorELNS0_4arch9wavefront6targetE0EEEvSH_.num_agpr, 0
	.set _ZN7rocprim17ROCPRIM_400000_NS6detail17trampoline_kernelINS0_14default_configENS1_35radix_sort_onesweep_config_selectorI12hip_bfloat16NS0_10empty_typeEEEZZNS1_29radix_sort_onesweep_iterationIS3_Lb1EPKS5_PS5_PS6_SC_mNS0_19identity_decomposerENS1_16block_id_wrapperIjLb1EEEEE10hipError_tT1_PNSt15iterator_traitsISH_E10value_typeET2_T3_PNSI_ISN_E10value_typeET4_T5_PSS_ST_PNS1_23onesweep_lookback_stateEbbT6_jjT7_P12ihipStream_tbENKUlT_T0_SH_SM_E_clISA_SB_SC_SC_EEDaS10_S11_SH_SM_EUlS10_E_NS1_11comp_targetILNS1_3genE0ELNS1_11target_archE4294967295ELNS1_3gpuE0ELNS1_3repE0EEENS1_47radix_sort_onesweep_sort_config_static_selectorELNS0_4arch9wavefront6targetE0EEEvSH_.numbered_sgpr, 30
	.set _ZN7rocprim17ROCPRIM_400000_NS6detail17trampoline_kernelINS0_14default_configENS1_35radix_sort_onesweep_config_selectorI12hip_bfloat16NS0_10empty_typeEEEZZNS1_29radix_sort_onesweep_iterationIS3_Lb1EPKS5_PS5_PS6_SC_mNS0_19identity_decomposerENS1_16block_id_wrapperIjLb1EEEEE10hipError_tT1_PNSt15iterator_traitsISH_E10value_typeET2_T3_PNSI_ISN_E10value_typeET4_T5_PSS_ST_PNS1_23onesweep_lookback_stateEbbT6_jjT7_P12ihipStream_tbENKUlT_T0_SH_SM_E_clISA_SB_SC_SC_EEDaS10_S11_SH_SM_EUlS10_E_NS1_11comp_targetILNS1_3genE0ELNS1_11target_archE4294967295ELNS1_3gpuE0ELNS1_3repE0EEENS1_47radix_sort_onesweep_sort_config_static_selectorELNS0_4arch9wavefront6targetE0EEEvSH_.num_named_barrier, 0
	.set _ZN7rocprim17ROCPRIM_400000_NS6detail17trampoline_kernelINS0_14default_configENS1_35radix_sort_onesweep_config_selectorI12hip_bfloat16NS0_10empty_typeEEEZZNS1_29radix_sort_onesweep_iterationIS3_Lb1EPKS5_PS5_PS6_SC_mNS0_19identity_decomposerENS1_16block_id_wrapperIjLb1EEEEE10hipError_tT1_PNSt15iterator_traitsISH_E10value_typeET2_T3_PNSI_ISN_E10value_typeET4_T5_PSS_ST_PNS1_23onesweep_lookback_stateEbbT6_jjT7_P12ihipStream_tbENKUlT_T0_SH_SM_E_clISA_SB_SC_SC_EEDaS10_S11_SH_SM_EUlS10_E_NS1_11comp_targetILNS1_3genE0ELNS1_11target_archE4294967295ELNS1_3gpuE0ELNS1_3repE0EEENS1_47radix_sort_onesweep_sort_config_static_selectorELNS0_4arch9wavefront6targetE0EEEvSH_.private_seg_size, 0
	.set _ZN7rocprim17ROCPRIM_400000_NS6detail17trampoline_kernelINS0_14default_configENS1_35radix_sort_onesweep_config_selectorI12hip_bfloat16NS0_10empty_typeEEEZZNS1_29radix_sort_onesweep_iterationIS3_Lb1EPKS5_PS5_PS6_SC_mNS0_19identity_decomposerENS1_16block_id_wrapperIjLb1EEEEE10hipError_tT1_PNSt15iterator_traitsISH_E10value_typeET2_T3_PNSI_ISN_E10value_typeET4_T5_PSS_ST_PNS1_23onesweep_lookback_stateEbbT6_jjT7_P12ihipStream_tbENKUlT_T0_SH_SM_E_clISA_SB_SC_SC_EEDaS10_S11_SH_SM_EUlS10_E_NS1_11comp_targetILNS1_3genE0ELNS1_11target_archE4294967295ELNS1_3gpuE0ELNS1_3repE0EEENS1_47radix_sort_onesweep_sort_config_static_selectorELNS0_4arch9wavefront6targetE0EEEvSH_.uses_vcc, 1
	.set _ZN7rocprim17ROCPRIM_400000_NS6detail17trampoline_kernelINS0_14default_configENS1_35radix_sort_onesweep_config_selectorI12hip_bfloat16NS0_10empty_typeEEEZZNS1_29radix_sort_onesweep_iterationIS3_Lb1EPKS5_PS5_PS6_SC_mNS0_19identity_decomposerENS1_16block_id_wrapperIjLb1EEEEE10hipError_tT1_PNSt15iterator_traitsISH_E10value_typeET2_T3_PNSI_ISN_E10value_typeET4_T5_PSS_ST_PNS1_23onesweep_lookback_stateEbbT6_jjT7_P12ihipStream_tbENKUlT_T0_SH_SM_E_clISA_SB_SC_SC_EEDaS10_S11_SH_SM_EUlS10_E_NS1_11comp_targetILNS1_3genE0ELNS1_11target_archE4294967295ELNS1_3gpuE0ELNS1_3repE0EEENS1_47radix_sort_onesweep_sort_config_static_selectorELNS0_4arch9wavefront6targetE0EEEvSH_.uses_flat_scratch, 0
	.set _ZN7rocprim17ROCPRIM_400000_NS6detail17trampoline_kernelINS0_14default_configENS1_35radix_sort_onesweep_config_selectorI12hip_bfloat16NS0_10empty_typeEEEZZNS1_29radix_sort_onesweep_iterationIS3_Lb1EPKS5_PS5_PS6_SC_mNS0_19identity_decomposerENS1_16block_id_wrapperIjLb1EEEEE10hipError_tT1_PNSt15iterator_traitsISH_E10value_typeET2_T3_PNSI_ISN_E10value_typeET4_T5_PSS_ST_PNS1_23onesweep_lookback_stateEbbT6_jjT7_P12ihipStream_tbENKUlT_T0_SH_SM_E_clISA_SB_SC_SC_EEDaS10_S11_SH_SM_EUlS10_E_NS1_11comp_targetILNS1_3genE0ELNS1_11target_archE4294967295ELNS1_3gpuE0ELNS1_3repE0EEENS1_47radix_sort_onesweep_sort_config_static_selectorELNS0_4arch9wavefront6targetE0EEEvSH_.has_dyn_sized_stack, 0
	.set _ZN7rocprim17ROCPRIM_400000_NS6detail17trampoline_kernelINS0_14default_configENS1_35radix_sort_onesweep_config_selectorI12hip_bfloat16NS0_10empty_typeEEEZZNS1_29radix_sort_onesweep_iterationIS3_Lb1EPKS5_PS5_PS6_SC_mNS0_19identity_decomposerENS1_16block_id_wrapperIjLb1EEEEE10hipError_tT1_PNSt15iterator_traitsISH_E10value_typeET2_T3_PNSI_ISN_E10value_typeET4_T5_PSS_ST_PNS1_23onesweep_lookback_stateEbbT6_jjT7_P12ihipStream_tbENKUlT_T0_SH_SM_E_clISA_SB_SC_SC_EEDaS10_S11_SH_SM_EUlS10_E_NS1_11comp_targetILNS1_3genE0ELNS1_11target_archE4294967295ELNS1_3gpuE0ELNS1_3repE0EEENS1_47radix_sort_onesweep_sort_config_static_selectorELNS0_4arch9wavefront6targetE0EEEvSH_.has_recursion, 0
	.set _ZN7rocprim17ROCPRIM_400000_NS6detail17trampoline_kernelINS0_14default_configENS1_35radix_sort_onesweep_config_selectorI12hip_bfloat16NS0_10empty_typeEEEZZNS1_29radix_sort_onesweep_iterationIS3_Lb1EPKS5_PS5_PS6_SC_mNS0_19identity_decomposerENS1_16block_id_wrapperIjLb1EEEEE10hipError_tT1_PNSt15iterator_traitsISH_E10value_typeET2_T3_PNSI_ISN_E10value_typeET4_T5_PSS_ST_PNS1_23onesweep_lookback_stateEbbT6_jjT7_P12ihipStream_tbENKUlT_T0_SH_SM_E_clISA_SB_SC_SC_EEDaS10_S11_SH_SM_EUlS10_E_NS1_11comp_targetILNS1_3genE0ELNS1_11target_archE4294967295ELNS1_3gpuE0ELNS1_3repE0EEENS1_47radix_sort_onesweep_sort_config_static_selectorELNS0_4arch9wavefront6targetE0EEEvSH_.has_indirect_call, 0
	.section	.AMDGPU.csdata,"",@progbits
; Kernel info:
; codeLenInByte = 18880
; TotalNumSgprs: 32
; NumVgprs: 65
; ScratchSize: 0
; MemoryBound: 0
; FloatMode: 240
; IeeeMode: 1
; LDSByteSize: 18504 bytes/workgroup (compile time only)
; SGPRBlocks: 0
; VGPRBlocks: 4
; NumSGPRsForWavesPerEU: 32
; NumVGPRsForWavesPerEU: 65
; NamedBarCnt: 0
; Occupancy: 12
; WaveLimiterHint : 0
; COMPUTE_PGM_RSRC2:SCRATCH_EN: 0
; COMPUTE_PGM_RSRC2:USER_SGPR: 2
; COMPUTE_PGM_RSRC2:TRAP_HANDLER: 0
; COMPUTE_PGM_RSRC2:TGID_X_EN: 1
; COMPUTE_PGM_RSRC2:TGID_Y_EN: 0
; COMPUTE_PGM_RSRC2:TGID_Z_EN: 0
; COMPUTE_PGM_RSRC2:TIDIG_COMP_CNT: 2
	.section	.text._ZN7rocprim17ROCPRIM_400000_NS6detail17trampoline_kernelINS0_14default_configENS1_35radix_sort_onesweep_config_selectorI12hip_bfloat16NS0_10empty_typeEEEZZNS1_29radix_sort_onesweep_iterationIS3_Lb1EPKS5_PS5_PS6_SC_mNS0_19identity_decomposerENS1_16block_id_wrapperIjLb1EEEEE10hipError_tT1_PNSt15iterator_traitsISH_E10value_typeET2_T3_PNSI_ISN_E10value_typeET4_T5_PSS_ST_PNS1_23onesweep_lookback_stateEbbT6_jjT7_P12ihipStream_tbENKUlT_T0_SH_SM_E_clISA_SB_SC_SC_EEDaS10_S11_SH_SM_EUlS10_E_NS1_11comp_targetILNS1_3genE6ELNS1_11target_archE950ELNS1_3gpuE13ELNS1_3repE0EEENS1_47radix_sort_onesweep_sort_config_static_selectorELNS0_4arch9wavefront6targetE0EEEvSH_,"axG",@progbits,_ZN7rocprim17ROCPRIM_400000_NS6detail17trampoline_kernelINS0_14default_configENS1_35radix_sort_onesweep_config_selectorI12hip_bfloat16NS0_10empty_typeEEEZZNS1_29radix_sort_onesweep_iterationIS3_Lb1EPKS5_PS5_PS6_SC_mNS0_19identity_decomposerENS1_16block_id_wrapperIjLb1EEEEE10hipError_tT1_PNSt15iterator_traitsISH_E10value_typeET2_T3_PNSI_ISN_E10value_typeET4_T5_PSS_ST_PNS1_23onesweep_lookback_stateEbbT6_jjT7_P12ihipStream_tbENKUlT_T0_SH_SM_E_clISA_SB_SC_SC_EEDaS10_S11_SH_SM_EUlS10_E_NS1_11comp_targetILNS1_3genE6ELNS1_11target_archE950ELNS1_3gpuE13ELNS1_3repE0EEENS1_47radix_sort_onesweep_sort_config_static_selectorELNS0_4arch9wavefront6targetE0EEEvSH_,comdat
	.protected	_ZN7rocprim17ROCPRIM_400000_NS6detail17trampoline_kernelINS0_14default_configENS1_35radix_sort_onesweep_config_selectorI12hip_bfloat16NS0_10empty_typeEEEZZNS1_29radix_sort_onesweep_iterationIS3_Lb1EPKS5_PS5_PS6_SC_mNS0_19identity_decomposerENS1_16block_id_wrapperIjLb1EEEEE10hipError_tT1_PNSt15iterator_traitsISH_E10value_typeET2_T3_PNSI_ISN_E10value_typeET4_T5_PSS_ST_PNS1_23onesweep_lookback_stateEbbT6_jjT7_P12ihipStream_tbENKUlT_T0_SH_SM_E_clISA_SB_SC_SC_EEDaS10_S11_SH_SM_EUlS10_E_NS1_11comp_targetILNS1_3genE6ELNS1_11target_archE950ELNS1_3gpuE13ELNS1_3repE0EEENS1_47radix_sort_onesweep_sort_config_static_selectorELNS0_4arch9wavefront6targetE0EEEvSH_ ; -- Begin function _ZN7rocprim17ROCPRIM_400000_NS6detail17trampoline_kernelINS0_14default_configENS1_35radix_sort_onesweep_config_selectorI12hip_bfloat16NS0_10empty_typeEEEZZNS1_29radix_sort_onesweep_iterationIS3_Lb1EPKS5_PS5_PS6_SC_mNS0_19identity_decomposerENS1_16block_id_wrapperIjLb1EEEEE10hipError_tT1_PNSt15iterator_traitsISH_E10value_typeET2_T3_PNSI_ISN_E10value_typeET4_T5_PSS_ST_PNS1_23onesweep_lookback_stateEbbT6_jjT7_P12ihipStream_tbENKUlT_T0_SH_SM_E_clISA_SB_SC_SC_EEDaS10_S11_SH_SM_EUlS10_E_NS1_11comp_targetILNS1_3genE6ELNS1_11target_archE950ELNS1_3gpuE13ELNS1_3repE0EEENS1_47radix_sort_onesweep_sort_config_static_selectorELNS0_4arch9wavefront6targetE0EEEvSH_
	.globl	_ZN7rocprim17ROCPRIM_400000_NS6detail17trampoline_kernelINS0_14default_configENS1_35radix_sort_onesweep_config_selectorI12hip_bfloat16NS0_10empty_typeEEEZZNS1_29radix_sort_onesweep_iterationIS3_Lb1EPKS5_PS5_PS6_SC_mNS0_19identity_decomposerENS1_16block_id_wrapperIjLb1EEEEE10hipError_tT1_PNSt15iterator_traitsISH_E10value_typeET2_T3_PNSI_ISN_E10value_typeET4_T5_PSS_ST_PNS1_23onesweep_lookback_stateEbbT6_jjT7_P12ihipStream_tbENKUlT_T0_SH_SM_E_clISA_SB_SC_SC_EEDaS10_S11_SH_SM_EUlS10_E_NS1_11comp_targetILNS1_3genE6ELNS1_11target_archE950ELNS1_3gpuE13ELNS1_3repE0EEENS1_47radix_sort_onesweep_sort_config_static_selectorELNS0_4arch9wavefront6targetE0EEEvSH_
	.p2align	8
	.type	_ZN7rocprim17ROCPRIM_400000_NS6detail17trampoline_kernelINS0_14default_configENS1_35radix_sort_onesweep_config_selectorI12hip_bfloat16NS0_10empty_typeEEEZZNS1_29radix_sort_onesweep_iterationIS3_Lb1EPKS5_PS5_PS6_SC_mNS0_19identity_decomposerENS1_16block_id_wrapperIjLb1EEEEE10hipError_tT1_PNSt15iterator_traitsISH_E10value_typeET2_T3_PNSI_ISN_E10value_typeET4_T5_PSS_ST_PNS1_23onesweep_lookback_stateEbbT6_jjT7_P12ihipStream_tbENKUlT_T0_SH_SM_E_clISA_SB_SC_SC_EEDaS10_S11_SH_SM_EUlS10_E_NS1_11comp_targetILNS1_3genE6ELNS1_11target_archE950ELNS1_3gpuE13ELNS1_3repE0EEENS1_47radix_sort_onesweep_sort_config_static_selectorELNS0_4arch9wavefront6targetE0EEEvSH_,@function
_ZN7rocprim17ROCPRIM_400000_NS6detail17trampoline_kernelINS0_14default_configENS1_35radix_sort_onesweep_config_selectorI12hip_bfloat16NS0_10empty_typeEEEZZNS1_29radix_sort_onesweep_iterationIS3_Lb1EPKS5_PS5_PS6_SC_mNS0_19identity_decomposerENS1_16block_id_wrapperIjLb1EEEEE10hipError_tT1_PNSt15iterator_traitsISH_E10value_typeET2_T3_PNSI_ISN_E10value_typeET4_T5_PSS_ST_PNS1_23onesweep_lookback_stateEbbT6_jjT7_P12ihipStream_tbENKUlT_T0_SH_SM_E_clISA_SB_SC_SC_EEDaS10_S11_SH_SM_EUlS10_E_NS1_11comp_targetILNS1_3genE6ELNS1_11target_archE950ELNS1_3gpuE13ELNS1_3repE0EEENS1_47radix_sort_onesweep_sort_config_static_selectorELNS0_4arch9wavefront6targetE0EEEvSH_: ; @_ZN7rocprim17ROCPRIM_400000_NS6detail17trampoline_kernelINS0_14default_configENS1_35radix_sort_onesweep_config_selectorI12hip_bfloat16NS0_10empty_typeEEEZZNS1_29radix_sort_onesweep_iterationIS3_Lb1EPKS5_PS5_PS6_SC_mNS0_19identity_decomposerENS1_16block_id_wrapperIjLb1EEEEE10hipError_tT1_PNSt15iterator_traitsISH_E10value_typeET2_T3_PNSI_ISN_E10value_typeET4_T5_PSS_ST_PNS1_23onesweep_lookback_stateEbbT6_jjT7_P12ihipStream_tbENKUlT_T0_SH_SM_E_clISA_SB_SC_SC_EEDaS10_S11_SH_SM_EUlS10_E_NS1_11comp_targetILNS1_3genE6ELNS1_11target_archE950ELNS1_3gpuE13ELNS1_3repE0EEENS1_47radix_sort_onesweep_sort_config_static_selectorELNS0_4arch9wavefront6targetE0EEEvSH_
; %bb.0:
	.section	.rodata,"a",@progbits
	.p2align	6, 0x0
	.amdhsa_kernel _ZN7rocprim17ROCPRIM_400000_NS6detail17trampoline_kernelINS0_14default_configENS1_35radix_sort_onesweep_config_selectorI12hip_bfloat16NS0_10empty_typeEEEZZNS1_29radix_sort_onesweep_iterationIS3_Lb1EPKS5_PS5_PS6_SC_mNS0_19identity_decomposerENS1_16block_id_wrapperIjLb1EEEEE10hipError_tT1_PNSt15iterator_traitsISH_E10value_typeET2_T3_PNSI_ISN_E10value_typeET4_T5_PSS_ST_PNS1_23onesweep_lookback_stateEbbT6_jjT7_P12ihipStream_tbENKUlT_T0_SH_SM_E_clISA_SB_SC_SC_EEDaS10_S11_SH_SM_EUlS10_E_NS1_11comp_targetILNS1_3genE6ELNS1_11target_archE950ELNS1_3gpuE13ELNS1_3repE0EEENS1_47radix_sort_onesweep_sort_config_static_selectorELNS0_4arch9wavefront6targetE0EEEvSH_
		.amdhsa_group_segment_fixed_size 0
		.amdhsa_private_segment_fixed_size 0
		.amdhsa_kernarg_size 88
		.amdhsa_user_sgpr_count 2
		.amdhsa_user_sgpr_dispatch_ptr 0
		.amdhsa_user_sgpr_queue_ptr 0
		.amdhsa_user_sgpr_kernarg_segment_ptr 1
		.amdhsa_user_sgpr_dispatch_id 0
		.amdhsa_user_sgpr_kernarg_preload_length 0
		.amdhsa_user_sgpr_kernarg_preload_offset 0
		.amdhsa_user_sgpr_private_segment_size 0
		.amdhsa_wavefront_size32 1
		.amdhsa_uses_dynamic_stack 0
		.amdhsa_enable_private_segment 0
		.amdhsa_system_sgpr_workgroup_id_x 1
		.amdhsa_system_sgpr_workgroup_id_y 0
		.amdhsa_system_sgpr_workgroup_id_z 0
		.amdhsa_system_sgpr_workgroup_info 0
		.amdhsa_system_vgpr_workitem_id 0
		.amdhsa_next_free_vgpr 1
		.amdhsa_next_free_sgpr 1
		.amdhsa_named_barrier_count 0
		.amdhsa_reserve_vcc 0
		.amdhsa_float_round_mode_32 0
		.amdhsa_float_round_mode_16_64 0
		.amdhsa_float_denorm_mode_32 3
		.amdhsa_float_denorm_mode_16_64 3
		.amdhsa_fp16_overflow 0
		.amdhsa_memory_ordered 1
		.amdhsa_forward_progress 1
		.amdhsa_inst_pref_size 0
		.amdhsa_round_robin_scheduling 0
		.amdhsa_exception_fp_ieee_invalid_op 0
		.amdhsa_exception_fp_denorm_src 0
		.amdhsa_exception_fp_ieee_div_zero 0
		.amdhsa_exception_fp_ieee_overflow 0
		.amdhsa_exception_fp_ieee_underflow 0
		.amdhsa_exception_fp_ieee_inexact 0
		.amdhsa_exception_int_div_zero 0
	.end_amdhsa_kernel
	.section	.text._ZN7rocprim17ROCPRIM_400000_NS6detail17trampoline_kernelINS0_14default_configENS1_35radix_sort_onesweep_config_selectorI12hip_bfloat16NS0_10empty_typeEEEZZNS1_29radix_sort_onesweep_iterationIS3_Lb1EPKS5_PS5_PS6_SC_mNS0_19identity_decomposerENS1_16block_id_wrapperIjLb1EEEEE10hipError_tT1_PNSt15iterator_traitsISH_E10value_typeET2_T3_PNSI_ISN_E10value_typeET4_T5_PSS_ST_PNS1_23onesweep_lookback_stateEbbT6_jjT7_P12ihipStream_tbENKUlT_T0_SH_SM_E_clISA_SB_SC_SC_EEDaS10_S11_SH_SM_EUlS10_E_NS1_11comp_targetILNS1_3genE6ELNS1_11target_archE950ELNS1_3gpuE13ELNS1_3repE0EEENS1_47radix_sort_onesweep_sort_config_static_selectorELNS0_4arch9wavefront6targetE0EEEvSH_,"axG",@progbits,_ZN7rocprim17ROCPRIM_400000_NS6detail17trampoline_kernelINS0_14default_configENS1_35radix_sort_onesweep_config_selectorI12hip_bfloat16NS0_10empty_typeEEEZZNS1_29radix_sort_onesweep_iterationIS3_Lb1EPKS5_PS5_PS6_SC_mNS0_19identity_decomposerENS1_16block_id_wrapperIjLb1EEEEE10hipError_tT1_PNSt15iterator_traitsISH_E10value_typeET2_T3_PNSI_ISN_E10value_typeET4_T5_PSS_ST_PNS1_23onesweep_lookback_stateEbbT6_jjT7_P12ihipStream_tbENKUlT_T0_SH_SM_E_clISA_SB_SC_SC_EEDaS10_S11_SH_SM_EUlS10_E_NS1_11comp_targetILNS1_3genE6ELNS1_11target_archE950ELNS1_3gpuE13ELNS1_3repE0EEENS1_47radix_sort_onesweep_sort_config_static_selectorELNS0_4arch9wavefront6targetE0EEEvSH_,comdat
.Lfunc_end1965:
	.size	_ZN7rocprim17ROCPRIM_400000_NS6detail17trampoline_kernelINS0_14default_configENS1_35radix_sort_onesweep_config_selectorI12hip_bfloat16NS0_10empty_typeEEEZZNS1_29radix_sort_onesweep_iterationIS3_Lb1EPKS5_PS5_PS6_SC_mNS0_19identity_decomposerENS1_16block_id_wrapperIjLb1EEEEE10hipError_tT1_PNSt15iterator_traitsISH_E10value_typeET2_T3_PNSI_ISN_E10value_typeET4_T5_PSS_ST_PNS1_23onesweep_lookback_stateEbbT6_jjT7_P12ihipStream_tbENKUlT_T0_SH_SM_E_clISA_SB_SC_SC_EEDaS10_S11_SH_SM_EUlS10_E_NS1_11comp_targetILNS1_3genE6ELNS1_11target_archE950ELNS1_3gpuE13ELNS1_3repE0EEENS1_47radix_sort_onesweep_sort_config_static_selectorELNS0_4arch9wavefront6targetE0EEEvSH_, .Lfunc_end1965-_ZN7rocprim17ROCPRIM_400000_NS6detail17trampoline_kernelINS0_14default_configENS1_35radix_sort_onesweep_config_selectorI12hip_bfloat16NS0_10empty_typeEEEZZNS1_29radix_sort_onesweep_iterationIS3_Lb1EPKS5_PS5_PS6_SC_mNS0_19identity_decomposerENS1_16block_id_wrapperIjLb1EEEEE10hipError_tT1_PNSt15iterator_traitsISH_E10value_typeET2_T3_PNSI_ISN_E10value_typeET4_T5_PSS_ST_PNS1_23onesweep_lookback_stateEbbT6_jjT7_P12ihipStream_tbENKUlT_T0_SH_SM_E_clISA_SB_SC_SC_EEDaS10_S11_SH_SM_EUlS10_E_NS1_11comp_targetILNS1_3genE6ELNS1_11target_archE950ELNS1_3gpuE13ELNS1_3repE0EEENS1_47radix_sort_onesweep_sort_config_static_selectorELNS0_4arch9wavefront6targetE0EEEvSH_
                                        ; -- End function
	.set _ZN7rocprim17ROCPRIM_400000_NS6detail17trampoline_kernelINS0_14default_configENS1_35radix_sort_onesweep_config_selectorI12hip_bfloat16NS0_10empty_typeEEEZZNS1_29radix_sort_onesweep_iterationIS3_Lb1EPKS5_PS5_PS6_SC_mNS0_19identity_decomposerENS1_16block_id_wrapperIjLb1EEEEE10hipError_tT1_PNSt15iterator_traitsISH_E10value_typeET2_T3_PNSI_ISN_E10value_typeET4_T5_PSS_ST_PNS1_23onesweep_lookback_stateEbbT6_jjT7_P12ihipStream_tbENKUlT_T0_SH_SM_E_clISA_SB_SC_SC_EEDaS10_S11_SH_SM_EUlS10_E_NS1_11comp_targetILNS1_3genE6ELNS1_11target_archE950ELNS1_3gpuE13ELNS1_3repE0EEENS1_47radix_sort_onesweep_sort_config_static_selectorELNS0_4arch9wavefront6targetE0EEEvSH_.num_vgpr, 0
	.set _ZN7rocprim17ROCPRIM_400000_NS6detail17trampoline_kernelINS0_14default_configENS1_35radix_sort_onesweep_config_selectorI12hip_bfloat16NS0_10empty_typeEEEZZNS1_29radix_sort_onesweep_iterationIS3_Lb1EPKS5_PS5_PS6_SC_mNS0_19identity_decomposerENS1_16block_id_wrapperIjLb1EEEEE10hipError_tT1_PNSt15iterator_traitsISH_E10value_typeET2_T3_PNSI_ISN_E10value_typeET4_T5_PSS_ST_PNS1_23onesweep_lookback_stateEbbT6_jjT7_P12ihipStream_tbENKUlT_T0_SH_SM_E_clISA_SB_SC_SC_EEDaS10_S11_SH_SM_EUlS10_E_NS1_11comp_targetILNS1_3genE6ELNS1_11target_archE950ELNS1_3gpuE13ELNS1_3repE0EEENS1_47radix_sort_onesweep_sort_config_static_selectorELNS0_4arch9wavefront6targetE0EEEvSH_.num_agpr, 0
	.set _ZN7rocprim17ROCPRIM_400000_NS6detail17trampoline_kernelINS0_14default_configENS1_35radix_sort_onesweep_config_selectorI12hip_bfloat16NS0_10empty_typeEEEZZNS1_29radix_sort_onesweep_iterationIS3_Lb1EPKS5_PS5_PS6_SC_mNS0_19identity_decomposerENS1_16block_id_wrapperIjLb1EEEEE10hipError_tT1_PNSt15iterator_traitsISH_E10value_typeET2_T3_PNSI_ISN_E10value_typeET4_T5_PSS_ST_PNS1_23onesweep_lookback_stateEbbT6_jjT7_P12ihipStream_tbENKUlT_T0_SH_SM_E_clISA_SB_SC_SC_EEDaS10_S11_SH_SM_EUlS10_E_NS1_11comp_targetILNS1_3genE6ELNS1_11target_archE950ELNS1_3gpuE13ELNS1_3repE0EEENS1_47radix_sort_onesweep_sort_config_static_selectorELNS0_4arch9wavefront6targetE0EEEvSH_.numbered_sgpr, 0
	.set _ZN7rocprim17ROCPRIM_400000_NS6detail17trampoline_kernelINS0_14default_configENS1_35radix_sort_onesweep_config_selectorI12hip_bfloat16NS0_10empty_typeEEEZZNS1_29radix_sort_onesweep_iterationIS3_Lb1EPKS5_PS5_PS6_SC_mNS0_19identity_decomposerENS1_16block_id_wrapperIjLb1EEEEE10hipError_tT1_PNSt15iterator_traitsISH_E10value_typeET2_T3_PNSI_ISN_E10value_typeET4_T5_PSS_ST_PNS1_23onesweep_lookback_stateEbbT6_jjT7_P12ihipStream_tbENKUlT_T0_SH_SM_E_clISA_SB_SC_SC_EEDaS10_S11_SH_SM_EUlS10_E_NS1_11comp_targetILNS1_3genE6ELNS1_11target_archE950ELNS1_3gpuE13ELNS1_3repE0EEENS1_47radix_sort_onesweep_sort_config_static_selectorELNS0_4arch9wavefront6targetE0EEEvSH_.num_named_barrier, 0
	.set _ZN7rocprim17ROCPRIM_400000_NS6detail17trampoline_kernelINS0_14default_configENS1_35radix_sort_onesweep_config_selectorI12hip_bfloat16NS0_10empty_typeEEEZZNS1_29radix_sort_onesweep_iterationIS3_Lb1EPKS5_PS5_PS6_SC_mNS0_19identity_decomposerENS1_16block_id_wrapperIjLb1EEEEE10hipError_tT1_PNSt15iterator_traitsISH_E10value_typeET2_T3_PNSI_ISN_E10value_typeET4_T5_PSS_ST_PNS1_23onesweep_lookback_stateEbbT6_jjT7_P12ihipStream_tbENKUlT_T0_SH_SM_E_clISA_SB_SC_SC_EEDaS10_S11_SH_SM_EUlS10_E_NS1_11comp_targetILNS1_3genE6ELNS1_11target_archE950ELNS1_3gpuE13ELNS1_3repE0EEENS1_47radix_sort_onesweep_sort_config_static_selectorELNS0_4arch9wavefront6targetE0EEEvSH_.private_seg_size, 0
	.set _ZN7rocprim17ROCPRIM_400000_NS6detail17trampoline_kernelINS0_14default_configENS1_35radix_sort_onesweep_config_selectorI12hip_bfloat16NS0_10empty_typeEEEZZNS1_29radix_sort_onesweep_iterationIS3_Lb1EPKS5_PS5_PS6_SC_mNS0_19identity_decomposerENS1_16block_id_wrapperIjLb1EEEEE10hipError_tT1_PNSt15iterator_traitsISH_E10value_typeET2_T3_PNSI_ISN_E10value_typeET4_T5_PSS_ST_PNS1_23onesweep_lookback_stateEbbT6_jjT7_P12ihipStream_tbENKUlT_T0_SH_SM_E_clISA_SB_SC_SC_EEDaS10_S11_SH_SM_EUlS10_E_NS1_11comp_targetILNS1_3genE6ELNS1_11target_archE950ELNS1_3gpuE13ELNS1_3repE0EEENS1_47radix_sort_onesweep_sort_config_static_selectorELNS0_4arch9wavefront6targetE0EEEvSH_.uses_vcc, 0
	.set _ZN7rocprim17ROCPRIM_400000_NS6detail17trampoline_kernelINS0_14default_configENS1_35radix_sort_onesweep_config_selectorI12hip_bfloat16NS0_10empty_typeEEEZZNS1_29radix_sort_onesweep_iterationIS3_Lb1EPKS5_PS5_PS6_SC_mNS0_19identity_decomposerENS1_16block_id_wrapperIjLb1EEEEE10hipError_tT1_PNSt15iterator_traitsISH_E10value_typeET2_T3_PNSI_ISN_E10value_typeET4_T5_PSS_ST_PNS1_23onesweep_lookback_stateEbbT6_jjT7_P12ihipStream_tbENKUlT_T0_SH_SM_E_clISA_SB_SC_SC_EEDaS10_S11_SH_SM_EUlS10_E_NS1_11comp_targetILNS1_3genE6ELNS1_11target_archE950ELNS1_3gpuE13ELNS1_3repE0EEENS1_47radix_sort_onesweep_sort_config_static_selectorELNS0_4arch9wavefront6targetE0EEEvSH_.uses_flat_scratch, 0
	.set _ZN7rocprim17ROCPRIM_400000_NS6detail17trampoline_kernelINS0_14default_configENS1_35radix_sort_onesweep_config_selectorI12hip_bfloat16NS0_10empty_typeEEEZZNS1_29radix_sort_onesweep_iterationIS3_Lb1EPKS5_PS5_PS6_SC_mNS0_19identity_decomposerENS1_16block_id_wrapperIjLb1EEEEE10hipError_tT1_PNSt15iterator_traitsISH_E10value_typeET2_T3_PNSI_ISN_E10value_typeET4_T5_PSS_ST_PNS1_23onesweep_lookback_stateEbbT6_jjT7_P12ihipStream_tbENKUlT_T0_SH_SM_E_clISA_SB_SC_SC_EEDaS10_S11_SH_SM_EUlS10_E_NS1_11comp_targetILNS1_3genE6ELNS1_11target_archE950ELNS1_3gpuE13ELNS1_3repE0EEENS1_47radix_sort_onesweep_sort_config_static_selectorELNS0_4arch9wavefront6targetE0EEEvSH_.has_dyn_sized_stack, 0
	.set _ZN7rocprim17ROCPRIM_400000_NS6detail17trampoline_kernelINS0_14default_configENS1_35radix_sort_onesweep_config_selectorI12hip_bfloat16NS0_10empty_typeEEEZZNS1_29radix_sort_onesweep_iterationIS3_Lb1EPKS5_PS5_PS6_SC_mNS0_19identity_decomposerENS1_16block_id_wrapperIjLb1EEEEE10hipError_tT1_PNSt15iterator_traitsISH_E10value_typeET2_T3_PNSI_ISN_E10value_typeET4_T5_PSS_ST_PNS1_23onesweep_lookback_stateEbbT6_jjT7_P12ihipStream_tbENKUlT_T0_SH_SM_E_clISA_SB_SC_SC_EEDaS10_S11_SH_SM_EUlS10_E_NS1_11comp_targetILNS1_3genE6ELNS1_11target_archE950ELNS1_3gpuE13ELNS1_3repE0EEENS1_47radix_sort_onesweep_sort_config_static_selectorELNS0_4arch9wavefront6targetE0EEEvSH_.has_recursion, 0
	.set _ZN7rocprim17ROCPRIM_400000_NS6detail17trampoline_kernelINS0_14default_configENS1_35radix_sort_onesweep_config_selectorI12hip_bfloat16NS0_10empty_typeEEEZZNS1_29radix_sort_onesweep_iterationIS3_Lb1EPKS5_PS5_PS6_SC_mNS0_19identity_decomposerENS1_16block_id_wrapperIjLb1EEEEE10hipError_tT1_PNSt15iterator_traitsISH_E10value_typeET2_T3_PNSI_ISN_E10value_typeET4_T5_PSS_ST_PNS1_23onesweep_lookback_stateEbbT6_jjT7_P12ihipStream_tbENKUlT_T0_SH_SM_E_clISA_SB_SC_SC_EEDaS10_S11_SH_SM_EUlS10_E_NS1_11comp_targetILNS1_3genE6ELNS1_11target_archE950ELNS1_3gpuE13ELNS1_3repE0EEENS1_47radix_sort_onesweep_sort_config_static_selectorELNS0_4arch9wavefront6targetE0EEEvSH_.has_indirect_call, 0
	.section	.AMDGPU.csdata,"",@progbits
; Kernel info:
; codeLenInByte = 0
; TotalNumSgprs: 0
; NumVgprs: 0
; ScratchSize: 0
; MemoryBound: 0
; FloatMode: 240
; IeeeMode: 1
; LDSByteSize: 0 bytes/workgroup (compile time only)
; SGPRBlocks: 0
; VGPRBlocks: 0
; NumSGPRsForWavesPerEU: 1
; NumVGPRsForWavesPerEU: 1
; NamedBarCnt: 0
; Occupancy: 16
; WaveLimiterHint : 0
; COMPUTE_PGM_RSRC2:SCRATCH_EN: 0
; COMPUTE_PGM_RSRC2:USER_SGPR: 2
; COMPUTE_PGM_RSRC2:TRAP_HANDLER: 0
; COMPUTE_PGM_RSRC2:TGID_X_EN: 1
; COMPUTE_PGM_RSRC2:TGID_Y_EN: 0
; COMPUTE_PGM_RSRC2:TGID_Z_EN: 0
; COMPUTE_PGM_RSRC2:TIDIG_COMP_CNT: 0
	.section	.text._ZN7rocprim17ROCPRIM_400000_NS6detail17trampoline_kernelINS0_14default_configENS1_35radix_sort_onesweep_config_selectorI12hip_bfloat16NS0_10empty_typeEEEZZNS1_29radix_sort_onesweep_iterationIS3_Lb1EPKS5_PS5_PS6_SC_mNS0_19identity_decomposerENS1_16block_id_wrapperIjLb1EEEEE10hipError_tT1_PNSt15iterator_traitsISH_E10value_typeET2_T3_PNSI_ISN_E10value_typeET4_T5_PSS_ST_PNS1_23onesweep_lookback_stateEbbT6_jjT7_P12ihipStream_tbENKUlT_T0_SH_SM_E_clISA_SB_SC_SC_EEDaS10_S11_SH_SM_EUlS10_E_NS1_11comp_targetILNS1_3genE5ELNS1_11target_archE942ELNS1_3gpuE9ELNS1_3repE0EEENS1_47radix_sort_onesweep_sort_config_static_selectorELNS0_4arch9wavefront6targetE0EEEvSH_,"axG",@progbits,_ZN7rocprim17ROCPRIM_400000_NS6detail17trampoline_kernelINS0_14default_configENS1_35radix_sort_onesweep_config_selectorI12hip_bfloat16NS0_10empty_typeEEEZZNS1_29radix_sort_onesweep_iterationIS3_Lb1EPKS5_PS5_PS6_SC_mNS0_19identity_decomposerENS1_16block_id_wrapperIjLb1EEEEE10hipError_tT1_PNSt15iterator_traitsISH_E10value_typeET2_T3_PNSI_ISN_E10value_typeET4_T5_PSS_ST_PNS1_23onesweep_lookback_stateEbbT6_jjT7_P12ihipStream_tbENKUlT_T0_SH_SM_E_clISA_SB_SC_SC_EEDaS10_S11_SH_SM_EUlS10_E_NS1_11comp_targetILNS1_3genE5ELNS1_11target_archE942ELNS1_3gpuE9ELNS1_3repE0EEENS1_47radix_sort_onesweep_sort_config_static_selectorELNS0_4arch9wavefront6targetE0EEEvSH_,comdat
	.protected	_ZN7rocprim17ROCPRIM_400000_NS6detail17trampoline_kernelINS0_14default_configENS1_35radix_sort_onesweep_config_selectorI12hip_bfloat16NS0_10empty_typeEEEZZNS1_29radix_sort_onesweep_iterationIS3_Lb1EPKS5_PS5_PS6_SC_mNS0_19identity_decomposerENS1_16block_id_wrapperIjLb1EEEEE10hipError_tT1_PNSt15iterator_traitsISH_E10value_typeET2_T3_PNSI_ISN_E10value_typeET4_T5_PSS_ST_PNS1_23onesweep_lookback_stateEbbT6_jjT7_P12ihipStream_tbENKUlT_T0_SH_SM_E_clISA_SB_SC_SC_EEDaS10_S11_SH_SM_EUlS10_E_NS1_11comp_targetILNS1_3genE5ELNS1_11target_archE942ELNS1_3gpuE9ELNS1_3repE0EEENS1_47radix_sort_onesweep_sort_config_static_selectorELNS0_4arch9wavefront6targetE0EEEvSH_ ; -- Begin function _ZN7rocprim17ROCPRIM_400000_NS6detail17trampoline_kernelINS0_14default_configENS1_35radix_sort_onesweep_config_selectorI12hip_bfloat16NS0_10empty_typeEEEZZNS1_29radix_sort_onesweep_iterationIS3_Lb1EPKS5_PS5_PS6_SC_mNS0_19identity_decomposerENS1_16block_id_wrapperIjLb1EEEEE10hipError_tT1_PNSt15iterator_traitsISH_E10value_typeET2_T3_PNSI_ISN_E10value_typeET4_T5_PSS_ST_PNS1_23onesweep_lookback_stateEbbT6_jjT7_P12ihipStream_tbENKUlT_T0_SH_SM_E_clISA_SB_SC_SC_EEDaS10_S11_SH_SM_EUlS10_E_NS1_11comp_targetILNS1_3genE5ELNS1_11target_archE942ELNS1_3gpuE9ELNS1_3repE0EEENS1_47radix_sort_onesweep_sort_config_static_selectorELNS0_4arch9wavefront6targetE0EEEvSH_
	.globl	_ZN7rocprim17ROCPRIM_400000_NS6detail17trampoline_kernelINS0_14default_configENS1_35radix_sort_onesweep_config_selectorI12hip_bfloat16NS0_10empty_typeEEEZZNS1_29radix_sort_onesweep_iterationIS3_Lb1EPKS5_PS5_PS6_SC_mNS0_19identity_decomposerENS1_16block_id_wrapperIjLb1EEEEE10hipError_tT1_PNSt15iterator_traitsISH_E10value_typeET2_T3_PNSI_ISN_E10value_typeET4_T5_PSS_ST_PNS1_23onesweep_lookback_stateEbbT6_jjT7_P12ihipStream_tbENKUlT_T0_SH_SM_E_clISA_SB_SC_SC_EEDaS10_S11_SH_SM_EUlS10_E_NS1_11comp_targetILNS1_3genE5ELNS1_11target_archE942ELNS1_3gpuE9ELNS1_3repE0EEENS1_47radix_sort_onesweep_sort_config_static_selectorELNS0_4arch9wavefront6targetE0EEEvSH_
	.p2align	8
	.type	_ZN7rocprim17ROCPRIM_400000_NS6detail17trampoline_kernelINS0_14default_configENS1_35radix_sort_onesweep_config_selectorI12hip_bfloat16NS0_10empty_typeEEEZZNS1_29radix_sort_onesweep_iterationIS3_Lb1EPKS5_PS5_PS6_SC_mNS0_19identity_decomposerENS1_16block_id_wrapperIjLb1EEEEE10hipError_tT1_PNSt15iterator_traitsISH_E10value_typeET2_T3_PNSI_ISN_E10value_typeET4_T5_PSS_ST_PNS1_23onesweep_lookback_stateEbbT6_jjT7_P12ihipStream_tbENKUlT_T0_SH_SM_E_clISA_SB_SC_SC_EEDaS10_S11_SH_SM_EUlS10_E_NS1_11comp_targetILNS1_3genE5ELNS1_11target_archE942ELNS1_3gpuE9ELNS1_3repE0EEENS1_47radix_sort_onesweep_sort_config_static_selectorELNS0_4arch9wavefront6targetE0EEEvSH_,@function
_ZN7rocprim17ROCPRIM_400000_NS6detail17trampoline_kernelINS0_14default_configENS1_35radix_sort_onesweep_config_selectorI12hip_bfloat16NS0_10empty_typeEEEZZNS1_29radix_sort_onesweep_iterationIS3_Lb1EPKS5_PS5_PS6_SC_mNS0_19identity_decomposerENS1_16block_id_wrapperIjLb1EEEEE10hipError_tT1_PNSt15iterator_traitsISH_E10value_typeET2_T3_PNSI_ISN_E10value_typeET4_T5_PSS_ST_PNS1_23onesweep_lookback_stateEbbT6_jjT7_P12ihipStream_tbENKUlT_T0_SH_SM_E_clISA_SB_SC_SC_EEDaS10_S11_SH_SM_EUlS10_E_NS1_11comp_targetILNS1_3genE5ELNS1_11target_archE942ELNS1_3gpuE9ELNS1_3repE0EEENS1_47radix_sort_onesweep_sort_config_static_selectorELNS0_4arch9wavefront6targetE0EEEvSH_: ; @_ZN7rocprim17ROCPRIM_400000_NS6detail17trampoline_kernelINS0_14default_configENS1_35radix_sort_onesweep_config_selectorI12hip_bfloat16NS0_10empty_typeEEEZZNS1_29radix_sort_onesweep_iterationIS3_Lb1EPKS5_PS5_PS6_SC_mNS0_19identity_decomposerENS1_16block_id_wrapperIjLb1EEEEE10hipError_tT1_PNSt15iterator_traitsISH_E10value_typeET2_T3_PNSI_ISN_E10value_typeET4_T5_PSS_ST_PNS1_23onesweep_lookback_stateEbbT6_jjT7_P12ihipStream_tbENKUlT_T0_SH_SM_E_clISA_SB_SC_SC_EEDaS10_S11_SH_SM_EUlS10_E_NS1_11comp_targetILNS1_3genE5ELNS1_11target_archE942ELNS1_3gpuE9ELNS1_3repE0EEENS1_47radix_sort_onesweep_sort_config_static_selectorELNS0_4arch9wavefront6targetE0EEEvSH_
; %bb.0:
	.section	.rodata,"a",@progbits
	.p2align	6, 0x0
	.amdhsa_kernel _ZN7rocprim17ROCPRIM_400000_NS6detail17trampoline_kernelINS0_14default_configENS1_35radix_sort_onesweep_config_selectorI12hip_bfloat16NS0_10empty_typeEEEZZNS1_29radix_sort_onesweep_iterationIS3_Lb1EPKS5_PS5_PS6_SC_mNS0_19identity_decomposerENS1_16block_id_wrapperIjLb1EEEEE10hipError_tT1_PNSt15iterator_traitsISH_E10value_typeET2_T3_PNSI_ISN_E10value_typeET4_T5_PSS_ST_PNS1_23onesweep_lookback_stateEbbT6_jjT7_P12ihipStream_tbENKUlT_T0_SH_SM_E_clISA_SB_SC_SC_EEDaS10_S11_SH_SM_EUlS10_E_NS1_11comp_targetILNS1_3genE5ELNS1_11target_archE942ELNS1_3gpuE9ELNS1_3repE0EEENS1_47radix_sort_onesweep_sort_config_static_selectorELNS0_4arch9wavefront6targetE0EEEvSH_
		.amdhsa_group_segment_fixed_size 0
		.amdhsa_private_segment_fixed_size 0
		.amdhsa_kernarg_size 88
		.amdhsa_user_sgpr_count 2
		.amdhsa_user_sgpr_dispatch_ptr 0
		.amdhsa_user_sgpr_queue_ptr 0
		.amdhsa_user_sgpr_kernarg_segment_ptr 1
		.amdhsa_user_sgpr_dispatch_id 0
		.amdhsa_user_sgpr_kernarg_preload_length 0
		.amdhsa_user_sgpr_kernarg_preload_offset 0
		.amdhsa_user_sgpr_private_segment_size 0
		.amdhsa_wavefront_size32 1
		.amdhsa_uses_dynamic_stack 0
		.amdhsa_enable_private_segment 0
		.amdhsa_system_sgpr_workgroup_id_x 1
		.amdhsa_system_sgpr_workgroup_id_y 0
		.amdhsa_system_sgpr_workgroup_id_z 0
		.amdhsa_system_sgpr_workgroup_info 0
		.amdhsa_system_vgpr_workitem_id 0
		.amdhsa_next_free_vgpr 1
		.amdhsa_next_free_sgpr 1
		.amdhsa_named_barrier_count 0
		.amdhsa_reserve_vcc 0
		.amdhsa_float_round_mode_32 0
		.amdhsa_float_round_mode_16_64 0
		.amdhsa_float_denorm_mode_32 3
		.amdhsa_float_denorm_mode_16_64 3
		.amdhsa_fp16_overflow 0
		.amdhsa_memory_ordered 1
		.amdhsa_forward_progress 1
		.amdhsa_inst_pref_size 0
		.amdhsa_round_robin_scheduling 0
		.amdhsa_exception_fp_ieee_invalid_op 0
		.amdhsa_exception_fp_denorm_src 0
		.amdhsa_exception_fp_ieee_div_zero 0
		.amdhsa_exception_fp_ieee_overflow 0
		.amdhsa_exception_fp_ieee_underflow 0
		.amdhsa_exception_fp_ieee_inexact 0
		.amdhsa_exception_int_div_zero 0
	.end_amdhsa_kernel
	.section	.text._ZN7rocprim17ROCPRIM_400000_NS6detail17trampoline_kernelINS0_14default_configENS1_35radix_sort_onesweep_config_selectorI12hip_bfloat16NS0_10empty_typeEEEZZNS1_29radix_sort_onesweep_iterationIS3_Lb1EPKS5_PS5_PS6_SC_mNS0_19identity_decomposerENS1_16block_id_wrapperIjLb1EEEEE10hipError_tT1_PNSt15iterator_traitsISH_E10value_typeET2_T3_PNSI_ISN_E10value_typeET4_T5_PSS_ST_PNS1_23onesweep_lookback_stateEbbT6_jjT7_P12ihipStream_tbENKUlT_T0_SH_SM_E_clISA_SB_SC_SC_EEDaS10_S11_SH_SM_EUlS10_E_NS1_11comp_targetILNS1_3genE5ELNS1_11target_archE942ELNS1_3gpuE9ELNS1_3repE0EEENS1_47radix_sort_onesweep_sort_config_static_selectorELNS0_4arch9wavefront6targetE0EEEvSH_,"axG",@progbits,_ZN7rocprim17ROCPRIM_400000_NS6detail17trampoline_kernelINS0_14default_configENS1_35radix_sort_onesweep_config_selectorI12hip_bfloat16NS0_10empty_typeEEEZZNS1_29radix_sort_onesweep_iterationIS3_Lb1EPKS5_PS5_PS6_SC_mNS0_19identity_decomposerENS1_16block_id_wrapperIjLb1EEEEE10hipError_tT1_PNSt15iterator_traitsISH_E10value_typeET2_T3_PNSI_ISN_E10value_typeET4_T5_PSS_ST_PNS1_23onesweep_lookback_stateEbbT6_jjT7_P12ihipStream_tbENKUlT_T0_SH_SM_E_clISA_SB_SC_SC_EEDaS10_S11_SH_SM_EUlS10_E_NS1_11comp_targetILNS1_3genE5ELNS1_11target_archE942ELNS1_3gpuE9ELNS1_3repE0EEENS1_47radix_sort_onesweep_sort_config_static_selectorELNS0_4arch9wavefront6targetE0EEEvSH_,comdat
.Lfunc_end1966:
	.size	_ZN7rocprim17ROCPRIM_400000_NS6detail17trampoline_kernelINS0_14default_configENS1_35radix_sort_onesweep_config_selectorI12hip_bfloat16NS0_10empty_typeEEEZZNS1_29radix_sort_onesweep_iterationIS3_Lb1EPKS5_PS5_PS6_SC_mNS0_19identity_decomposerENS1_16block_id_wrapperIjLb1EEEEE10hipError_tT1_PNSt15iterator_traitsISH_E10value_typeET2_T3_PNSI_ISN_E10value_typeET4_T5_PSS_ST_PNS1_23onesweep_lookback_stateEbbT6_jjT7_P12ihipStream_tbENKUlT_T0_SH_SM_E_clISA_SB_SC_SC_EEDaS10_S11_SH_SM_EUlS10_E_NS1_11comp_targetILNS1_3genE5ELNS1_11target_archE942ELNS1_3gpuE9ELNS1_3repE0EEENS1_47radix_sort_onesweep_sort_config_static_selectorELNS0_4arch9wavefront6targetE0EEEvSH_, .Lfunc_end1966-_ZN7rocprim17ROCPRIM_400000_NS6detail17trampoline_kernelINS0_14default_configENS1_35radix_sort_onesweep_config_selectorI12hip_bfloat16NS0_10empty_typeEEEZZNS1_29radix_sort_onesweep_iterationIS3_Lb1EPKS5_PS5_PS6_SC_mNS0_19identity_decomposerENS1_16block_id_wrapperIjLb1EEEEE10hipError_tT1_PNSt15iterator_traitsISH_E10value_typeET2_T3_PNSI_ISN_E10value_typeET4_T5_PSS_ST_PNS1_23onesweep_lookback_stateEbbT6_jjT7_P12ihipStream_tbENKUlT_T0_SH_SM_E_clISA_SB_SC_SC_EEDaS10_S11_SH_SM_EUlS10_E_NS1_11comp_targetILNS1_3genE5ELNS1_11target_archE942ELNS1_3gpuE9ELNS1_3repE0EEENS1_47radix_sort_onesweep_sort_config_static_selectorELNS0_4arch9wavefront6targetE0EEEvSH_
                                        ; -- End function
	.set _ZN7rocprim17ROCPRIM_400000_NS6detail17trampoline_kernelINS0_14default_configENS1_35radix_sort_onesweep_config_selectorI12hip_bfloat16NS0_10empty_typeEEEZZNS1_29radix_sort_onesweep_iterationIS3_Lb1EPKS5_PS5_PS6_SC_mNS0_19identity_decomposerENS1_16block_id_wrapperIjLb1EEEEE10hipError_tT1_PNSt15iterator_traitsISH_E10value_typeET2_T3_PNSI_ISN_E10value_typeET4_T5_PSS_ST_PNS1_23onesweep_lookback_stateEbbT6_jjT7_P12ihipStream_tbENKUlT_T0_SH_SM_E_clISA_SB_SC_SC_EEDaS10_S11_SH_SM_EUlS10_E_NS1_11comp_targetILNS1_3genE5ELNS1_11target_archE942ELNS1_3gpuE9ELNS1_3repE0EEENS1_47radix_sort_onesweep_sort_config_static_selectorELNS0_4arch9wavefront6targetE0EEEvSH_.num_vgpr, 0
	.set _ZN7rocprim17ROCPRIM_400000_NS6detail17trampoline_kernelINS0_14default_configENS1_35radix_sort_onesweep_config_selectorI12hip_bfloat16NS0_10empty_typeEEEZZNS1_29radix_sort_onesweep_iterationIS3_Lb1EPKS5_PS5_PS6_SC_mNS0_19identity_decomposerENS1_16block_id_wrapperIjLb1EEEEE10hipError_tT1_PNSt15iterator_traitsISH_E10value_typeET2_T3_PNSI_ISN_E10value_typeET4_T5_PSS_ST_PNS1_23onesweep_lookback_stateEbbT6_jjT7_P12ihipStream_tbENKUlT_T0_SH_SM_E_clISA_SB_SC_SC_EEDaS10_S11_SH_SM_EUlS10_E_NS1_11comp_targetILNS1_3genE5ELNS1_11target_archE942ELNS1_3gpuE9ELNS1_3repE0EEENS1_47radix_sort_onesweep_sort_config_static_selectorELNS0_4arch9wavefront6targetE0EEEvSH_.num_agpr, 0
	.set _ZN7rocprim17ROCPRIM_400000_NS6detail17trampoline_kernelINS0_14default_configENS1_35radix_sort_onesweep_config_selectorI12hip_bfloat16NS0_10empty_typeEEEZZNS1_29radix_sort_onesweep_iterationIS3_Lb1EPKS5_PS5_PS6_SC_mNS0_19identity_decomposerENS1_16block_id_wrapperIjLb1EEEEE10hipError_tT1_PNSt15iterator_traitsISH_E10value_typeET2_T3_PNSI_ISN_E10value_typeET4_T5_PSS_ST_PNS1_23onesweep_lookback_stateEbbT6_jjT7_P12ihipStream_tbENKUlT_T0_SH_SM_E_clISA_SB_SC_SC_EEDaS10_S11_SH_SM_EUlS10_E_NS1_11comp_targetILNS1_3genE5ELNS1_11target_archE942ELNS1_3gpuE9ELNS1_3repE0EEENS1_47radix_sort_onesweep_sort_config_static_selectorELNS0_4arch9wavefront6targetE0EEEvSH_.numbered_sgpr, 0
	.set _ZN7rocprim17ROCPRIM_400000_NS6detail17trampoline_kernelINS0_14default_configENS1_35radix_sort_onesweep_config_selectorI12hip_bfloat16NS0_10empty_typeEEEZZNS1_29radix_sort_onesweep_iterationIS3_Lb1EPKS5_PS5_PS6_SC_mNS0_19identity_decomposerENS1_16block_id_wrapperIjLb1EEEEE10hipError_tT1_PNSt15iterator_traitsISH_E10value_typeET2_T3_PNSI_ISN_E10value_typeET4_T5_PSS_ST_PNS1_23onesweep_lookback_stateEbbT6_jjT7_P12ihipStream_tbENKUlT_T0_SH_SM_E_clISA_SB_SC_SC_EEDaS10_S11_SH_SM_EUlS10_E_NS1_11comp_targetILNS1_3genE5ELNS1_11target_archE942ELNS1_3gpuE9ELNS1_3repE0EEENS1_47radix_sort_onesweep_sort_config_static_selectorELNS0_4arch9wavefront6targetE0EEEvSH_.num_named_barrier, 0
	.set _ZN7rocprim17ROCPRIM_400000_NS6detail17trampoline_kernelINS0_14default_configENS1_35radix_sort_onesweep_config_selectorI12hip_bfloat16NS0_10empty_typeEEEZZNS1_29radix_sort_onesweep_iterationIS3_Lb1EPKS5_PS5_PS6_SC_mNS0_19identity_decomposerENS1_16block_id_wrapperIjLb1EEEEE10hipError_tT1_PNSt15iterator_traitsISH_E10value_typeET2_T3_PNSI_ISN_E10value_typeET4_T5_PSS_ST_PNS1_23onesweep_lookback_stateEbbT6_jjT7_P12ihipStream_tbENKUlT_T0_SH_SM_E_clISA_SB_SC_SC_EEDaS10_S11_SH_SM_EUlS10_E_NS1_11comp_targetILNS1_3genE5ELNS1_11target_archE942ELNS1_3gpuE9ELNS1_3repE0EEENS1_47radix_sort_onesweep_sort_config_static_selectorELNS0_4arch9wavefront6targetE0EEEvSH_.private_seg_size, 0
	.set _ZN7rocprim17ROCPRIM_400000_NS6detail17trampoline_kernelINS0_14default_configENS1_35radix_sort_onesweep_config_selectorI12hip_bfloat16NS0_10empty_typeEEEZZNS1_29radix_sort_onesweep_iterationIS3_Lb1EPKS5_PS5_PS6_SC_mNS0_19identity_decomposerENS1_16block_id_wrapperIjLb1EEEEE10hipError_tT1_PNSt15iterator_traitsISH_E10value_typeET2_T3_PNSI_ISN_E10value_typeET4_T5_PSS_ST_PNS1_23onesweep_lookback_stateEbbT6_jjT7_P12ihipStream_tbENKUlT_T0_SH_SM_E_clISA_SB_SC_SC_EEDaS10_S11_SH_SM_EUlS10_E_NS1_11comp_targetILNS1_3genE5ELNS1_11target_archE942ELNS1_3gpuE9ELNS1_3repE0EEENS1_47radix_sort_onesweep_sort_config_static_selectorELNS0_4arch9wavefront6targetE0EEEvSH_.uses_vcc, 0
	.set _ZN7rocprim17ROCPRIM_400000_NS6detail17trampoline_kernelINS0_14default_configENS1_35radix_sort_onesweep_config_selectorI12hip_bfloat16NS0_10empty_typeEEEZZNS1_29radix_sort_onesweep_iterationIS3_Lb1EPKS5_PS5_PS6_SC_mNS0_19identity_decomposerENS1_16block_id_wrapperIjLb1EEEEE10hipError_tT1_PNSt15iterator_traitsISH_E10value_typeET2_T3_PNSI_ISN_E10value_typeET4_T5_PSS_ST_PNS1_23onesweep_lookback_stateEbbT6_jjT7_P12ihipStream_tbENKUlT_T0_SH_SM_E_clISA_SB_SC_SC_EEDaS10_S11_SH_SM_EUlS10_E_NS1_11comp_targetILNS1_3genE5ELNS1_11target_archE942ELNS1_3gpuE9ELNS1_3repE0EEENS1_47radix_sort_onesweep_sort_config_static_selectorELNS0_4arch9wavefront6targetE0EEEvSH_.uses_flat_scratch, 0
	.set _ZN7rocprim17ROCPRIM_400000_NS6detail17trampoline_kernelINS0_14default_configENS1_35radix_sort_onesweep_config_selectorI12hip_bfloat16NS0_10empty_typeEEEZZNS1_29radix_sort_onesweep_iterationIS3_Lb1EPKS5_PS5_PS6_SC_mNS0_19identity_decomposerENS1_16block_id_wrapperIjLb1EEEEE10hipError_tT1_PNSt15iterator_traitsISH_E10value_typeET2_T3_PNSI_ISN_E10value_typeET4_T5_PSS_ST_PNS1_23onesweep_lookback_stateEbbT6_jjT7_P12ihipStream_tbENKUlT_T0_SH_SM_E_clISA_SB_SC_SC_EEDaS10_S11_SH_SM_EUlS10_E_NS1_11comp_targetILNS1_3genE5ELNS1_11target_archE942ELNS1_3gpuE9ELNS1_3repE0EEENS1_47radix_sort_onesweep_sort_config_static_selectorELNS0_4arch9wavefront6targetE0EEEvSH_.has_dyn_sized_stack, 0
	.set _ZN7rocprim17ROCPRIM_400000_NS6detail17trampoline_kernelINS0_14default_configENS1_35radix_sort_onesweep_config_selectorI12hip_bfloat16NS0_10empty_typeEEEZZNS1_29radix_sort_onesweep_iterationIS3_Lb1EPKS5_PS5_PS6_SC_mNS0_19identity_decomposerENS1_16block_id_wrapperIjLb1EEEEE10hipError_tT1_PNSt15iterator_traitsISH_E10value_typeET2_T3_PNSI_ISN_E10value_typeET4_T5_PSS_ST_PNS1_23onesweep_lookback_stateEbbT6_jjT7_P12ihipStream_tbENKUlT_T0_SH_SM_E_clISA_SB_SC_SC_EEDaS10_S11_SH_SM_EUlS10_E_NS1_11comp_targetILNS1_3genE5ELNS1_11target_archE942ELNS1_3gpuE9ELNS1_3repE0EEENS1_47radix_sort_onesweep_sort_config_static_selectorELNS0_4arch9wavefront6targetE0EEEvSH_.has_recursion, 0
	.set _ZN7rocprim17ROCPRIM_400000_NS6detail17trampoline_kernelINS0_14default_configENS1_35radix_sort_onesweep_config_selectorI12hip_bfloat16NS0_10empty_typeEEEZZNS1_29radix_sort_onesweep_iterationIS3_Lb1EPKS5_PS5_PS6_SC_mNS0_19identity_decomposerENS1_16block_id_wrapperIjLb1EEEEE10hipError_tT1_PNSt15iterator_traitsISH_E10value_typeET2_T3_PNSI_ISN_E10value_typeET4_T5_PSS_ST_PNS1_23onesweep_lookback_stateEbbT6_jjT7_P12ihipStream_tbENKUlT_T0_SH_SM_E_clISA_SB_SC_SC_EEDaS10_S11_SH_SM_EUlS10_E_NS1_11comp_targetILNS1_3genE5ELNS1_11target_archE942ELNS1_3gpuE9ELNS1_3repE0EEENS1_47radix_sort_onesweep_sort_config_static_selectorELNS0_4arch9wavefront6targetE0EEEvSH_.has_indirect_call, 0
	.section	.AMDGPU.csdata,"",@progbits
; Kernel info:
; codeLenInByte = 0
; TotalNumSgprs: 0
; NumVgprs: 0
; ScratchSize: 0
; MemoryBound: 0
; FloatMode: 240
; IeeeMode: 1
; LDSByteSize: 0 bytes/workgroup (compile time only)
; SGPRBlocks: 0
; VGPRBlocks: 0
; NumSGPRsForWavesPerEU: 1
; NumVGPRsForWavesPerEU: 1
; NamedBarCnt: 0
; Occupancy: 16
; WaveLimiterHint : 0
; COMPUTE_PGM_RSRC2:SCRATCH_EN: 0
; COMPUTE_PGM_RSRC2:USER_SGPR: 2
; COMPUTE_PGM_RSRC2:TRAP_HANDLER: 0
; COMPUTE_PGM_RSRC2:TGID_X_EN: 1
; COMPUTE_PGM_RSRC2:TGID_Y_EN: 0
; COMPUTE_PGM_RSRC2:TGID_Z_EN: 0
; COMPUTE_PGM_RSRC2:TIDIG_COMP_CNT: 0
	.section	.text._ZN7rocprim17ROCPRIM_400000_NS6detail17trampoline_kernelINS0_14default_configENS1_35radix_sort_onesweep_config_selectorI12hip_bfloat16NS0_10empty_typeEEEZZNS1_29radix_sort_onesweep_iterationIS3_Lb1EPKS5_PS5_PS6_SC_mNS0_19identity_decomposerENS1_16block_id_wrapperIjLb1EEEEE10hipError_tT1_PNSt15iterator_traitsISH_E10value_typeET2_T3_PNSI_ISN_E10value_typeET4_T5_PSS_ST_PNS1_23onesweep_lookback_stateEbbT6_jjT7_P12ihipStream_tbENKUlT_T0_SH_SM_E_clISA_SB_SC_SC_EEDaS10_S11_SH_SM_EUlS10_E_NS1_11comp_targetILNS1_3genE2ELNS1_11target_archE906ELNS1_3gpuE6ELNS1_3repE0EEENS1_47radix_sort_onesweep_sort_config_static_selectorELNS0_4arch9wavefront6targetE0EEEvSH_,"axG",@progbits,_ZN7rocprim17ROCPRIM_400000_NS6detail17trampoline_kernelINS0_14default_configENS1_35radix_sort_onesweep_config_selectorI12hip_bfloat16NS0_10empty_typeEEEZZNS1_29radix_sort_onesweep_iterationIS3_Lb1EPKS5_PS5_PS6_SC_mNS0_19identity_decomposerENS1_16block_id_wrapperIjLb1EEEEE10hipError_tT1_PNSt15iterator_traitsISH_E10value_typeET2_T3_PNSI_ISN_E10value_typeET4_T5_PSS_ST_PNS1_23onesweep_lookback_stateEbbT6_jjT7_P12ihipStream_tbENKUlT_T0_SH_SM_E_clISA_SB_SC_SC_EEDaS10_S11_SH_SM_EUlS10_E_NS1_11comp_targetILNS1_3genE2ELNS1_11target_archE906ELNS1_3gpuE6ELNS1_3repE0EEENS1_47radix_sort_onesweep_sort_config_static_selectorELNS0_4arch9wavefront6targetE0EEEvSH_,comdat
	.protected	_ZN7rocprim17ROCPRIM_400000_NS6detail17trampoline_kernelINS0_14default_configENS1_35radix_sort_onesweep_config_selectorI12hip_bfloat16NS0_10empty_typeEEEZZNS1_29radix_sort_onesweep_iterationIS3_Lb1EPKS5_PS5_PS6_SC_mNS0_19identity_decomposerENS1_16block_id_wrapperIjLb1EEEEE10hipError_tT1_PNSt15iterator_traitsISH_E10value_typeET2_T3_PNSI_ISN_E10value_typeET4_T5_PSS_ST_PNS1_23onesweep_lookback_stateEbbT6_jjT7_P12ihipStream_tbENKUlT_T0_SH_SM_E_clISA_SB_SC_SC_EEDaS10_S11_SH_SM_EUlS10_E_NS1_11comp_targetILNS1_3genE2ELNS1_11target_archE906ELNS1_3gpuE6ELNS1_3repE0EEENS1_47radix_sort_onesweep_sort_config_static_selectorELNS0_4arch9wavefront6targetE0EEEvSH_ ; -- Begin function _ZN7rocprim17ROCPRIM_400000_NS6detail17trampoline_kernelINS0_14default_configENS1_35radix_sort_onesweep_config_selectorI12hip_bfloat16NS0_10empty_typeEEEZZNS1_29radix_sort_onesweep_iterationIS3_Lb1EPKS5_PS5_PS6_SC_mNS0_19identity_decomposerENS1_16block_id_wrapperIjLb1EEEEE10hipError_tT1_PNSt15iterator_traitsISH_E10value_typeET2_T3_PNSI_ISN_E10value_typeET4_T5_PSS_ST_PNS1_23onesweep_lookback_stateEbbT6_jjT7_P12ihipStream_tbENKUlT_T0_SH_SM_E_clISA_SB_SC_SC_EEDaS10_S11_SH_SM_EUlS10_E_NS1_11comp_targetILNS1_3genE2ELNS1_11target_archE906ELNS1_3gpuE6ELNS1_3repE0EEENS1_47radix_sort_onesweep_sort_config_static_selectorELNS0_4arch9wavefront6targetE0EEEvSH_
	.globl	_ZN7rocprim17ROCPRIM_400000_NS6detail17trampoline_kernelINS0_14default_configENS1_35radix_sort_onesweep_config_selectorI12hip_bfloat16NS0_10empty_typeEEEZZNS1_29radix_sort_onesweep_iterationIS3_Lb1EPKS5_PS5_PS6_SC_mNS0_19identity_decomposerENS1_16block_id_wrapperIjLb1EEEEE10hipError_tT1_PNSt15iterator_traitsISH_E10value_typeET2_T3_PNSI_ISN_E10value_typeET4_T5_PSS_ST_PNS1_23onesweep_lookback_stateEbbT6_jjT7_P12ihipStream_tbENKUlT_T0_SH_SM_E_clISA_SB_SC_SC_EEDaS10_S11_SH_SM_EUlS10_E_NS1_11comp_targetILNS1_3genE2ELNS1_11target_archE906ELNS1_3gpuE6ELNS1_3repE0EEENS1_47radix_sort_onesweep_sort_config_static_selectorELNS0_4arch9wavefront6targetE0EEEvSH_
	.p2align	8
	.type	_ZN7rocprim17ROCPRIM_400000_NS6detail17trampoline_kernelINS0_14default_configENS1_35radix_sort_onesweep_config_selectorI12hip_bfloat16NS0_10empty_typeEEEZZNS1_29radix_sort_onesweep_iterationIS3_Lb1EPKS5_PS5_PS6_SC_mNS0_19identity_decomposerENS1_16block_id_wrapperIjLb1EEEEE10hipError_tT1_PNSt15iterator_traitsISH_E10value_typeET2_T3_PNSI_ISN_E10value_typeET4_T5_PSS_ST_PNS1_23onesweep_lookback_stateEbbT6_jjT7_P12ihipStream_tbENKUlT_T0_SH_SM_E_clISA_SB_SC_SC_EEDaS10_S11_SH_SM_EUlS10_E_NS1_11comp_targetILNS1_3genE2ELNS1_11target_archE906ELNS1_3gpuE6ELNS1_3repE0EEENS1_47radix_sort_onesweep_sort_config_static_selectorELNS0_4arch9wavefront6targetE0EEEvSH_,@function
_ZN7rocprim17ROCPRIM_400000_NS6detail17trampoline_kernelINS0_14default_configENS1_35radix_sort_onesweep_config_selectorI12hip_bfloat16NS0_10empty_typeEEEZZNS1_29radix_sort_onesweep_iterationIS3_Lb1EPKS5_PS5_PS6_SC_mNS0_19identity_decomposerENS1_16block_id_wrapperIjLb1EEEEE10hipError_tT1_PNSt15iterator_traitsISH_E10value_typeET2_T3_PNSI_ISN_E10value_typeET4_T5_PSS_ST_PNS1_23onesweep_lookback_stateEbbT6_jjT7_P12ihipStream_tbENKUlT_T0_SH_SM_E_clISA_SB_SC_SC_EEDaS10_S11_SH_SM_EUlS10_E_NS1_11comp_targetILNS1_3genE2ELNS1_11target_archE906ELNS1_3gpuE6ELNS1_3repE0EEENS1_47radix_sort_onesweep_sort_config_static_selectorELNS0_4arch9wavefront6targetE0EEEvSH_: ; @_ZN7rocprim17ROCPRIM_400000_NS6detail17trampoline_kernelINS0_14default_configENS1_35radix_sort_onesweep_config_selectorI12hip_bfloat16NS0_10empty_typeEEEZZNS1_29radix_sort_onesweep_iterationIS3_Lb1EPKS5_PS5_PS6_SC_mNS0_19identity_decomposerENS1_16block_id_wrapperIjLb1EEEEE10hipError_tT1_PNSt15iterator_traitsISH_E10value_typeET2_T3_PNSI_ISN_E10value_typeET4_T5_PSS_ST_PNS1_23onesweep_lookback_stateEbbT6_jjT7_P12ihipStream_tbENKUlT_T0_SH_SM_E_clISA_SB_SC_SC_EEDaS10_S11_SH_SM_EUlS10_E_NS1_11comp_targetILNS1_3genE2ELNS1_11target_archE906ELNS1_3gpuE6ELNS1_3repE0EEENS1_47radix_sort_onesweep_sort_config_static_selectorELNS0_4arch9wavefront6targetE0EEEvSH_
; %bb.0:
	.section	.rodata,"a",@progbits
	.p2align	6, 0x0
	.amdhsa_kernel _ZN7rocprim17ROCPRIM_400000_NS6detail17trampoline_kernelINS0_14default_configENS1_35radix_sort_onesweep_config_selectorI12hip_bfloat16NS0_10empty_typeEEEZZNS1_29radix_sort_onesweep_iterationIS3_Lb1EPKS5_PS5_PS6_SC_mNS0_19identity_decomposerENS1_16block_id_wrapperIjLb1EEEEE10hipError_tT1_PNSt15iterator_traitsISH_E10value_typeET2_T3_PNSI_ISN_E10value_typeET4_T5_PSS_ST_PNS1_23onesweep_lookback_stateEbbT6_jjT7_P12ihipStream_tbENKUlT_T0_SH_SM_E_clISA_SB_SC_SC_EEDaS10_S11_SH_SM_EUlS10_E_NS1_11comp_targetILNS1_3genE2ELNS1_11target_archE906ELNS1_3gpuE6ELNS1_3repE0EEENS1_47radix_sort_onesweep_sort_config_static_selectorELNS0_4arch9wavefront6targetE0EEEvSH_
		.amdhsa_group_segment_fixed_size 0
		.amdhsa_private_segment_fixed_size 0
		.amdhsa_kernarg_size 88
		.amdhsa_user_sgpr_count 2
		.amdhsa_user_sgpr_dispatch_ptr 0
		.amdhsa_user_sgpr_queue_ptr 0
		.amdhsa_user_sgpr_kernarg_segment_ptr 1
		.amdhsa_user_sgpr_dispatch_id 0
		.amdhsa_user_sgpr_kernarg_preload_length 0
		.amdhsa_user_sgpr_kernarg_preload_offset 0
		.amdhsa_user_sgpr_private_segment_size 0
		.amdhsa_wavefront_size32 1
		.amdhsa_uses_dynamic_stack 0
		.amdhsa_enable_private_segment 0
		.amdhsa_system_sgpr_workgroup_id_x 1
		.amdhsa_system_sgpr_workgroup_id_y 0
		.amdhsa_system_sgpr_workgroup_id_z 0
		.amdhsa_system_sgpr_workgroup_info 0
		.amdhsa_system_vgpr_workitem_id 0
		.amdhsa_next_free_vgpr 1
		.amdhsa_next_free_sgpr 1
		.amdhsa_named_barrier_count 0
		.amdhsa_reserve_vcc 0
		.amdhsa_float_round_mode_32 0
		.amdhsa_float_round_mode_16_64 0
		.amdhsa_float_denorm_mode_32 3
		.amdhsa_float_denorm_mode_16_64 3
		.amdhsa_fp16_overflow 0
		.amdhsa_memory_ordered 1
		.amdhsa_forward_progress 1
		.amdhsa_inst_pref_size 0
		.amdhsa_round_robin_scheduling 0
		.amdhsa_exception_fp_ieee_invalid_op 0
		.amdhsa_exception_fp_denorm_src 0
		.amdhsa_exception_fp_ieee_div_zero 0
		.amdhsa_exception_fp_ieee_overflow 0
		.amdhsa_exception_fp_ieee_underflow 0
		.amdhsa_exception_fp_ieee_inexact 0
		.amdhsa_exception_int_div_zero 0
	.end_amdhsa_kernel
	.section	.text._ZN7rocprim17ROCPRIM_400000_NS6detail17trampoline_kernelINS0_14default_configENS1_35radix_sort_onesweep_config_selectorI12hip_bfloat16NS0_10empty_typeEEEZZNS1_29radix_sort_onesweep_iterationIS3_Lb1EPKS5_PS5_PS6_SC_mNS0_19identity_decomposerENS1_16block_id_wrapperIjLb1EEEEE10hipError_tT1_PNSt15iterator_traitsISH_E10value_typeET2_T3_PNSI_ISN_E10value_typeET4_T5_PSS_ST_PNS1_23onesweep_lookback_stateEbbT6_jjT7_P12ihipStream_tbENKUlT_T0_SH_SM_E_clISA_SB_SC_SC_EEDaS10_S11_SH_SM_EUlS10_E_NS1_11comp_targetILNS1_3genE2ELNS1_11target_archE906ELNS1_3gpuE6ELNS1_3repE0EEENS1_47radix_sort_onesweep_sort_config_static_selectorELNS0_4arch9wavefront6targetE0EEEvSH_,"axG",@progbits,_ZN7rocprim17ROCPRIM_400000_NS6detail17trampoline_kernelINS0_14default_configENS1_35radix_sort_onesweep_config_selectorI12hip_bfloat16NS0_10empty_typeEEEZZNS1_29radix_sort_onesweep_iterationIS3_Lb1EPKS5_PS5_PS6_SC_mNS0_19identity_decomposerENS1_16block_id_wrapperIjLb1EEEEE10hipError_tT1_PNSt15iterator_traitsISH_E10value_typeET2_T3_PNSI_ISN_E10value_typeET4_T5_PSS_ST_PNS1_23onesweep_lookback_stateEbbT6_jjT7_P12ihipStream_tbENKUlT_T0_SH_SM_E_clISA_SB_SC_SC_EEDaS10_S11_SH_SM_EUlS10_E_NS1_11comp_targetILNS1_3genE2ELNS1_11target_archE906ELNS1_3gpuE6ELNS1_3repE0EEENS1_47radix_sort_onesweep_sort_config_static_selectorELNS0_4arch9wavefront6targetE0EEEvSH_,comdat
.Lfunc_end1967:
	.size	_ZN7rocprim17ROCPRIM_400000_NS6detail17trampoline_kernelINS0_14default_configENS1_35radix_sort_onesweep_config_selectorI12hip_bfloat16NS0_10empty_typeEEEZZNS1_29radix_sort_onesweep_iterationIS3_Lb1EPKS5_PS5_PS6_SC_mNS0_19identity_decomposerENS1_16block_id_wrapperIjLb1EEEEE10hipError_tT1_PNSt15iterator_traitsISH_E10value_typeET2_T3_PNSI_ISN_E10value_typeET4_T5_PSS_ST_PNS1_23onesweep_lookback_stateEbbT6_jjT7_P12ihipStream_tbENKUlT_T0_SH_SM_E_clISA_SB_SC_SC_EEDaS10_S11_SH_SM_EUlS10_E_NS1_11comp_targetILNS1_3genE2ELNS1_11target_archE906ELNS1_3gpuE6ELNS1_3repE0EEENS1_47radix_sort_onesweep_sort_config_static_selectorELNS0_4arch9wavefront6targetE0EEEvSH_, .Lfunc_end1967-_ZN7rocprim17ROCPRIM_400000_NS6detail17trampoline_kernelINS0_14default_configENS1_35radix_sort_onesweep_config_selectorI12hip_bfloat16NS0_10empty_typeEEEZZNS1_29radix_sort_onesweep_iterationIS3_Lb1EPKS5_PS5_PS6_SC_mNS0_19identity_decomposerENS1_16block_id_wrapperIjLb1EEEEE10hipError_tT1_PNSt15iterator_traitsISH_E10value_typeET2_T3_PNSI_ISN_E10value_typeET4_T5_PSS_ST_PNS1_23onesweep_lookback_stateEbbT6_jjT7_P12ihipStream_tbENKUlT_T0_SH_SM_E_clISA_SB_SC_SC_EEDaS10_S11_SH_SM_EUlS10_E_NS1_11comp_targetILNS1_3genE2ELNS1_11target_archE906ELNS1_3gpuE6ELNS1_3repE0EEENS1_47radix_sort_onesweep_sort_config_static_selectorELNS0_4arch9wavefront6targetE0EEEvSH_
                                        ; -- End function
	.set _ZN7rocprim17ROCPRIM_400000_NS6detail17trampoline_kernelINS0_14default_configENS1_35radix_sort_onesweep_config_selectorI12hip_bfloat16NS0_10empty_typeEEEZZNS1_29radix_sort_onesweep_iterationIS3_Lb1EPKS5_PS5_PS6_SC_mNS0_19identity_decomposerENS1_16block_id_wrapperIjLb1EEEEE10hipError_tT1_PNSt15iterator_traitsISH_E10value_typeET2_T3_PNSI_ISN_E10value_typeET4_T5_PSS_ST_PNS1_23onesweep_lookback_stateEbbT6_jjT7_P12ihipStream_tbENKUlT_T0_SH_SM_E_clISA_SB_SC_SC_EEDaS10_S11_SH_SM_EUlS10_E_NS1_11comp_targetILNS1_3genE2ELNS1_11target_archE906ELNS1_3gpuE6ELNS1_3repE0EEENS1_47radix_sort_onesweep_sort_config_static_selectorELNS0_4arch9wavefront6targetE0EEEvSH_.num_vgpr, 0
	.set _ZN7rocprim17ROCPRIM_400000_NS6detail17trampoline_kernelINS0_14default_configENS1_35radix_sort_onesweep_config_selectorI12hip_bfloat16NS0_10empty_typeEEEZZNS1_29radix_sort_onesweep_iterationIS3_Lb1EPKS5_PS5_PS6_SC_mNS0_19identity_decomposerENS1_16block_id_wrapperIjLb1EEEEE10hipError_tT1_PNSt15iterator_traitsISH_E10value_typeET2_T3_PNSI_ISN_E10value_typeET4_T5_PSS_ST_PNS1_23onesweep_lookback_stateEbbT6_jjT7_P12ihipStream_tbENKUlT_T0_SH_SM_E_clISA_SB_SC_SC_EEDaS10_S11_SH_SM_EUlS10_E_NS1_11comp_targetILNS1_3genE2ELNS1_11target_archE906ELNS1_3gpuE6ELNS1_3repE0EEENS1_47radix_sort_onesweep_sort_config_static_selectorELNS0_4arch9wavefront6targetE0EEEvSH_.num_agpr, 0
	.set _ZN7rocprim17ROCPRIM_400000_NS6detail17trampoline_kernelINS0_14default_configENS1_35radix_sort_onesweep_config_selectorI12hip_bfloat16NS0_10empty_typeEEEZZNS1_29radix_sort_onesweep_iterationIS3_Lb1EPKS5_PS5_PS6_SC_mNS0_19identity_decomposerENS1_16block_id_wrapperIjLb1EEEEE10hipError_tT1_PNSt15iterator_traitsISH_E10value_typeET2_T3_PNSI_ISN_E10value_typeET4_T5_PSS_ST_PNS1_23onesweep_lookback_stateEbbT6_jjT7_P12ihipStream_tbENKUlT_T0_SH_SM_E_clISA_SB_SC_SC_EEDaS10_S11_SH_SM_EUlS10_E_NS1_11comp_targetILNS1_3genE2ELNS1_11target_archE906ELNS1_3gpuE6ELNS1_3repE0EEENS1_47radix_sort_onesweep_sort_config_static_selectorELNS0_4arch9wavefront6targetE0EEEvSH_.numbered_sgpr, 0
	.set _ZN7rocprim17ROCPRIM_400000_NS6detail17trampoline_kernelINS0_14default_configENS1_35radix_sort_onesweep_config_selectorI12hip_bfloat16NS0_10empty_typeEEEZZNS1_29radix_sort_onesweep_iterationIS3_Lb1EPKS5_PS5_PS6_SC_mNS0_19identity_decomposerENS1_16block_id_wrapperIjLb1EEEEE10hipError_tT1_PNSt15iterator_traitsISH_E10value_typeET2_T3_PNSI_ISN_E10value_typeET4_T5_PSS_ST_PNS1_23onesweep_lookback_stateEbbT6_jjT7_P12ihipStream_tbENKUlT_T0_SH_SM_E_clISA_SB_SC_SC_EEDaS10_S11_SH_SM_EUlS10_E_NS1_11comp_targetILNS1_3genE2ELNS1_11target_archE906ELNS1_3gpuE6ELNS1_3repE0EEENS1_47radix_sort_onesweep_sort_config_static_selectorELNS0_4arch9wavefront6targetE0EEEvSH_.num_named_barrier, 0
	.set _ZN7rocprim17ROCPRIM_400000_NS6detail17trampoline_kernelINS0_14default_configENS1_35radix_sort_onesweep_config_selectorI12hip_bfloat16NS0_10empty_typeEEEZZNS1_29radix_sort_onesweep_iterationIS3_Lb1EPKS5_PS5_PS6_SC_mNS0_19identity_decomposerENS1_16block_id_wrapperIjLb1EEEEE10hipError_tT1_PNSt15iterator_traitsISH_E10value_typeET2_T3_PNSI_ISN_E10value_typeET4_T5_PSS_ST_PNS1_23onesweep_lookback_stateEbbT6_jjT7_P12ihipStream_tbENKUlT_T0_SH_SM_E_clISA_SB_SC_SC_EEDaS10_S11_SH_SM_EUlS10_E_NS1_11comp_targetILNS1_3genE2ELNS1_11target_archE906ELNS1_3gpuE6ELNS1_3repE0EEENS1_47radix_sort_onesweep_sort_config_static_selectorELNS0_4arch9wavefront6targetE0EEEvSH_.private_seg_size, 0
	.set _ZN7rocprim17ROCPRIM_400000_NS6detail17trampoline_kernelINS0_14default_configENS1_35radix_sort_onesweep_config_selectorI12hip_bfloat16NS0_10empty_typeEEEZZNS1_29radix_sort_onesweep_iterationIS3_Lb1EPKS5_PS5_PS6_SC_mNS0_19identity_decomposerENS1_16block_id_wrapperIjLb1EEEEE10hipError_tT1_PNSt15iterator_traitsISH_E10value_typeET2_T3_PNSI_ISN_E10value_typeET4_T5_PSS_ST_PNS1_23onesweep_lookback_stateEbbT6_jjT7_P12ihipStream_tbENKUlT_T0_SH_SM_E_clISA_SB_SC_SC_EEDaS10_S11_SH_SM_EUlS10_E_NS1_11comp_targetILNS1_3genE2ELNS1_11target_archE906ELNS1_3gpuE6ELNS1_3repE0EEENS1_47radix_sort_onesweep_sort_config_static_selectorELNS0_4arch9wavefront6targetE0EEEvSH_.uses_vcc, 0
	.set _ZN7rocprim17ROCPRIM_400000_NS6detail17trampoline_kernelINS0_14default_configENS1_35radix_sort_onesweep_config_selectorI12hip_bfloat16NS0_10empty_typeEEEZZNS1_29radix_sort_onesweep_iterationIS3_Lb1EPKS5_PS5_PS6_SC_mNS0_19identity_decomposerENS1_16block_id_wrapperIjLb1EEEEE10hipError_tT1_PNSt15iterator_traitsISH_E10value_typeET2_T3_PNSI_ISN_E10value_typeET4_T5_PSS_ST_PNS1_23onesweep_lookback_stateEbbT6_jjT7_P12ihipStream_tbENKUlT_T0_SH_SM_E_clISA_SB_SC_SC_EEDaS10_S11_SH_SM_EUlS10_E_NS1_11comp_targetILNS1_3genE2ELNS1_11target_archE906ELNS1_3gpuE6ELNS1_3repE0EEENS1_47radix_sort_onesweep_sort_config_static_selectorELNS0_4arch9wavefront6targetE0EEEvSH_.uses_flat_scratch, 0
	.set _ZN7rocprim17ROCPRIM_400000_NS6detail17trampoline_kernelINS0_14default_configENS1_35radix_sort_onesweep_config_selectorI12hip_bfloat16NS0_10empty_typeEEEZZNS1_29radix_sort_onesweep_iterationIS3_Lb1EPKS5_PS5_PS6_SC_mNS0_19identity_decomposerENS1_16block_id_wrapperIjLb1EEEEE10hipError_tT1_PNSt15iterator_traitsISH_E10value_typeET2_T3_PNSI_ISN_E10value_typeET4_T5_PSS_ST_PNS1_23onesweep_lookback_stateEbbT6_jjT7_P12ihipStream_tbENKUlT_T0_SH_SM_E_clISA_SB_SC_SC_EEDaS10_S11_SH_SM_EUlS10_E_NS1_11comp_targetILNS1_3genE2ELNS1_11target_archE906ELNS1_3gpuE6ELNS1_3repE0EEENS1_47radix_sort_onesweep_sort_config_static_selectorELNS0_4arch9wavefront6targetE0EEEvSH_.has_dyn_sized_stack, 0
	.set _ZN7rocprim17ROCPRIM_400000_NS6detail17trampoline_kernelINS0_14default_configENS1_35radix_sort_onesweep_config_selectorI12hip_bfloat16NS0_10empty_typeEEEZZNS1_29radix_sort_onesweep_iterationIS3_Lb1EPKS5_PS5_PS6_SC_mNS0_19identity_decomposerENS1_16block_id_wrapperIjLb1EEEEE10hipError_tT1_PNSt15iterator_traitsISH_E10value_typeET2_T3_PNSI_ISN_E10value_typeET4_T5_PSS_ST_PNS1_23onesweep_lookback_stateEbbT6_jjT7_P12ihipStream_tbENKUlT_T0_SH_SM_E_clISA_SB_SC_SC_EEDaS10_S11_SH_SM_EUlS10_E_NS1_11comp_targetILNS1_3genE2ELNS1_11target_archE906ELNS1_3gpuE6ELNS1_3repE0EEENS1_47radix_sort_onesweep_sort_config_static_selectorELNS0_4arch9wavefront6targetE0EEEvSH_.has_recursion, 0
	.set _ZN7rocprim17ROCPRIM_400000_NS6detail17trampoline_kernelINS0_14default_configENS1_35radix_sort_onesweep_config_selectorI12hip_bfloat16NS0_10empty_typeEEEZZNS1_29radix_sort_onesweep_iterationIS3_Lb1EPKS5_PS5_PS6_SC_mNS0_19identity_decomposerENS1_16block_id_wrapperIjLb1EEEEE10hipError_tT1_PNSt15iterator_traitsISH_E10value_typeET2_T3_PNSI_ISN_E10value_typeET4_T5_PSS_ST_PNS1_23onesweep_lookback_stateEbbT6_jjT7_P12ihipStream_tbENKUlT_T0_SH_SM_E_clISA_SB_SC_SC_EEDaS10_S11_SH_SM_EUlS10_E_NS1_11comp_targetILNS1_3genE2ELNS1_11target_archE906ELNS1_3gpuE6ELNS1_3repE0EEENS1_47radix_sort_onesweep_sort_config_static_selectorELNS0_4arch9wavefront6targetE0EEEvSH_.has_indirect_call, 0
	.section	.AMDGPU.csdata,"",@progbits
; Kernel info:
; codeLenInByte = 0
; TotalNumSgprs: 0
; NumVgprs: 0
; ScratchSize: 0
; MemoryBound: 0
; FloatMode: 240
; IeeeMode: 1
; LDSByteSize: 0 bytes/workgroup (compile time only)
; SGPRBlocks: 0
; VGPRBlocks: 0
; NumSGPRsForWavesPerEU: 1
; NumVGPRsForWavesPerEU: 1
; NamedBarCnt: 0
; Occupancy: 16
; WaveLimiterHint : 0
; COMPUTE_PGM_RSRC2:SCRATCH_EN: 0
; COMPUTE_PGM_RSRC2:USER_SGPR: 2
; COMPUTE_PGM_RSRC2:TRAP_HANDLER: 0
; COMPUTE_PGM_RSRC2:TGID_X_EN: 1
; COMPUTE_PGM_RSRC2:TGID_Y_EN: 0
; COMPUTE_PGM_RSRC2:TGID_Z_EN: 0
; COMPUTE_PGM_RSRC2:TIDIG_COMP_CNT: 0
	.section	.text._ZN7rocprim17ROCPRIM_400000_NS6detail17trampoline_kernelINS0_14default_configENS1_35radix_sort_onesweep_config_selectorI12hip_bfloat16NS0_10empty_typeEEEZZNS1_29radix_sort_onesweep_iterationIS3_Lb1EPKS5_PS5_PS6_SC_mNS0_19identity_decomposerENS1_16block_id_wrapperIjLb1EEEEE10hipError_tT1_PNSt15iterator_traitsISH_E10value_typeET2_T3_PNSI_ISN_E10value_typeET4_T5_PSS_ST_PNS1_23onesweep_lookback_stateEbbT6_jjT7_P12ihipStream_tbENKUlT_T0_SH_SM_E_clISA_SB_SC_SC_EEDaS10_S11_SH_SM_EUlS10_E_NS1_11comp_targetILNS1_3genE4ELNS1_11target_archE910ELNS1_3gpuE8ELNS1_3repE0EEENS1_47radix_sort_onesweep_sort_config_static_selectorELNS0_4arch9wavefront6targetE0EEEvSH_,"axG",@progbits,_ZN7rocprim17ROCPRIM_400000_NS6detail17trampoline_kernelINS0_14default_configENS1_35radix_sort_onesweep_config_selectorI12hip_bfloat16NS0_10empty_typeEEEZZNS1_29radix_sort_onesweep_iterationIS3_Lb1EPKS5_PS5_PS6_SC_mNS0_19identity_decomposerENS1_16block_id_wrapperIjLb1EEEEE10hipError_tT1_PNSt15iterator_traitsISH_E10value_typeET2_T3_PNSI_ISN_E10value_typeET4_T5_PSS_ST_PNS1_23onesweep_lookback_stateEbbT6_jjT7_P12ihipStream_tbENKUlT_T0_SH_SM_E_clISA_SB_SC_SC_EEDaS10_S11_SH_SM_EUlS10_E_NS1_11comp_targetILNS1_3genE4ELNS1_11target_archE910ELNS1_3gpuE8ELNS1_3repE0EEENS1_47radix_sort_onesweep_sort_config_static_selectorELNS0_4arch9wavefront6targetE0EEEvSH_,comdat
	.protected	_ZN7rocprim17ROCPRIM_400000_NS6detail17trampoline_kernelINS0_14default_configENS1_35radix_sort_onesweep_config_selectorI12hip_bfloat16NS0_10empty_typeEEEZZNS1_29radix_sort_onesweep_iterationIS3_Lb1EPKS5_PS5_PS6_SC_mNS0_19identity_decomposerENS1_16block_id_wrapperIjLb1EEEEE10hipError_tT1_PNSt15iterator_traitsISH_E10value_typeET2_T3_PNSI_ISN_E10value_typeET4_T5_PSS_ST_PNS1_23onesweep_lookback_stateEbbT6_jjT7_P12ihipStream_tbENKUlT_T0_SH_SM_E_clISA_SB_SC_SC_EEDaS10_S11_SH_SM_EUlS10_E_NS1_11comp_targetILNS1_3genE4ELNS1_11target_archE910ELNS1_3gpuE8ELNS1_3repE0EEENS1_47radix_sort_onesweep_sort_config_static_selectorELNS0_4arch9wavefront6targetE0EEEvSH_ ; -- Begin function _ZN7rocprim17ROCPRIM_400000_NS6detail17trampoline_kernelINS0_14default_configENS1_35radix_sort_onesweep_config_selectorI12hip_bfloat16NS0_10empty_typeEEEZZNS1_29radix_sort_onesweep_iterationIS3_Lb1EPKS5_PS5_PS6_SC_mNS0_19identity_decomposerENS1_16block_id_wrapperIjLb1EEEEE10hipError_tT1_PNSt15iterator_traitsISH_E10value_typeET2_T3_PNSI_ISN_E10value_typeET4_T5_PSS_ST_PNS1_23onesweep_lookback_stateEbbT6_jjT7_P12ihipStream_tbENKUlT_T0_SH_SM_E_clISA_SB_SC_SC_EEDaS10_S11_SH_SM_EUlS10_E_NS1_11comp_targetILNS1_3genE4ELNS1_11target_archE910ELNS1_3gpuE8ELNS1_3repE0EEENS1_47radix_sort_onesweep_sort_config_static_selectorELNS0_4arch9wavefront6targetE0EEEvSH_
	.globl	_ZN7rocprim17ROCPRIM_400000_NS6detail17trampoline_kernelINS0_14default_configENS1_35radix_sort_onesweep_config_selectorI12hip_bfloat16NS0_10empty_typeEEEZZNS1_29radix_sort_onesweep_iterationIS3_Lb1EPKS5_PS5_PS6_SC_mNS0_19identity_decomposerENS1_16block_id_wrapperIjLb1EEEEE10hipError_tT1_PNSt15iterator_traitsISH_E10value_typeET2_T3_PNSI_ISN_E10value_typeET4_T5_PSS_ST_PNS1_23onesweep_lookback_stateEbbT6_jjT7_P12ihipStream_tbENKUlT_T0_SH_SM_E_clISA_SB_SC_SC_EEDaS10_S11_SH_SM_EUlS10_E_NS1_11comp_targetILNS1_3genE4ELNS1_11target_archE910ELNS1_3gpuE8ELNS1_3repE0EEENS1_47radix_sort_onesweep_sort_config_static_selectorELNS0_4arch9wavefront6targetE0EEEvSH_
	.p2align	8
	.type	_ZN7rocprim17ROCPRIM_400000_NS6detail17trampoline_kernelINS0_14default_configENS1_35radix_sort_onesweep_config_selectorI12hip_bfloat16NS0_10empty_typeEEEZZNS1_29radix_sort_onesweep_iterationIS3_Lb1EPKS5_PS5_PS6_SC_mNS0_19identity_decomposerENS1_16block_id_wrapperIjLb1EEEEE10hipError_tT1_PNSt15iterator_traitsISH_E10value_typeET2_T3_PNSI_ISN_E10value_typeET4_T5_PSS_ST_PNS1_23onesweep_lookback_stateEbbT6_jjT7_P12ihipStream_tbENKUlT_T0_SH_SM_E_clISA_SB_SC_SC_EEDaS10_S11_SH_SM_EUlS10_E_NS1_11comp_targetILNS1_3genE4ELNS1_11target_archE910ELNS1_3gpuE8ELNS1_3repE0EEENS1_47radix_sort_onesweep_sort_config_static_selectorELNS0_4arch9wavefront6targetE0EEEvSH_,@function
_ZN7rocprim17ROCPRIM_400000_NS6detail17trampoline_kernelINS0_14default_configENS1_35radix_sort_onesweep_config_selectorI12hip_bfloat16NS0_10empty_typeEEEZZNS1_29radix_sort_onesweep_iterationIS3_Lb1EPKS5_PS5_PS6_SC_mNS0_19identity_decomposerENS1_16block_id_wrapperIjLb1EEEEE10hipError_tT1_PNSt15iterator_traitsISH_E10value_typeET2_T3_PNSI_ISN_E10value_typeET4_T5_PSS_ST_PNS1_23onesweep_lookback_stateEbbT6_jjT7_P12ihipStream_tbENKUlT_T0_SH_SM_E_clISA_SB_SC_SC_EEDaS10_S11_SH_SM_EUlS10_E_NS1_11comp_targetILNS1_3genE4ELNS1_11target_archE910ELNS1_3gpuE8ELNS1_3repE0EEENS1_47radix_sort_onesweep_sort_config_static_selectorELNS0_4arch9wavefront6targetE0EEEvSH_: ; @_ZN7rocprim17ROCPRIM_400000_NS6detail17trampoline_kernelINS0_14default_configENS1_35radix_sort_onesweep_config_selectorI12hip_bfloat16NS0_10empty_typeEEEZZNS1_29radix_sort_onesweep_iterationIS3_Lb1EPKS5_PS5_PS6_SC_mNS0_19identity_decomposerENS1_16block_id_wrapperIjLb1EEEEE10hipError_tT1_PNSt15iterator_traitsISH_E10value_typeET2_T3_PNSI_ISN_E10value_typeET4_T5_PSS_ST_PNS1_23onesweep_lookback_stateEbbT6_jjT7_P12ihipStream_tbENKUlT_T0_SH_SM_E_clISA_SB_SC_SC_EEDaS10_S11_SH_SM_EUlS10_E_NS1_11comp_targetILNS1_3genE4ELNS1_11target_archE910ELNS1_3gpuE8ELNS1_3repE0EEENS1_47radix_sort_onesweep_sort_config_static_selectorELNS0_4arch9wavefront6targetE0EEEvSH_
; %bb.0:
	.section	.rodata,"a",@progbits
	.p2align	6, 0x0
	.amdhsa_kernel _ZN7rocprim17ROCPRIM_400000_NS6detail17trampoline_kernelINS0_14default_configENS1_35radix_sort_onesweep_config_selectorI12hip_bfloat16NS0_10empty_typeEEEZZNS1_29radix_sort_onesweep_iterationIS3_Lb1EPKS5_PS5_PS6_SC_mNS0_19identity_decomposerENS1_16block_id_wrapperIjLb1EEEEE10hipError_tT1_PNSt15iterator_traitsISH_E10value_typeET2_T3_PNSI_ISN_E10value_typeET4_T5_PSS_ST_PNS1_23onesweep_lookback_stateEbbT6_jjT7_P12ihipStream_tbENKUlT_T0_SH_SM_E_clISA_SB_SC_SC_EEDaS10_S11_SH_SM_EUlS10_E_NS1_11comp_targetILNS1_3genE4ELNS1_11target_archE910ELNS1_3gpuE8ELNS1_3repE0EEENS1_47radix_sort_onesweep_sort_config_static_selectorELNS0_4arch9wavefront6targetE0EEEvSH_
		.amdhsa_group_segment_fixed_size 0
		.amdhsa_private_segment_fixed_size 0
		.amdhsa_kernarg_size 88
		.amdhsa_user_sgpr_count 2
		.amdhsa_user_sgpr_dispatch_ptr 0
		.amdhsa_user_sgpr_queue_ptr 0
		.amdhsa_user_sgpr_kernarg_segment_ptr 1
		.amdhsa_user_sgpr_dispatch_id 0
		.amdhsa_user_sgpr_kernarg_preload_length 0
		.amdhsa_user_sgpr_kernarg_preload_offset 0
		.amdhsa_user_sgpr_private_segment_size 0
		.amdhsa_wavefront_size32 1
		.amdhsa_uses_dynamic_stack 0
		.amdhsa_enable_private_segment 0
		.amdhsa_system_sgpr_workgroup_id_x 1
		.amdhsa_system_sgpr_workgroup_id_y 0
		.amdhsa_system_sgpr_workgroup_id_z 0
		.amdhsa_system_sgpr_workgroup_info 0
		.amdhsa_system_vgpr_workitem_id 0
		.amdhsa_next_free_vgpr 1
		.amdhsa_next_free_sgpr 1
		.amdhsa_named_barrier_count 0
		.amdhsa_reserve_vcc 0
		.amdhsa_float_round_mode_32 0
		.amdhsa_float_round_mode_16_64 0
		.amdhsa_float_denorm_mode_32 3
		.amdhsa_float_denorm_mode_16_64 3
		.amdhsa_fp16_overflow 0
		.amdhsa_memory_ordered 1
		.amdhsa_forward_progress 1
		.amdhsa_inst_pref_size 0
		.amdhsa_round_robin_scheduling 0
		.amdhsa_exception_fp_ieee_invalid_op 0
		.amdhsa_exception_fp_denorm_src 0
		.amdhsa_exception_fp_ieee_div_zero 0
		.amdhsa_exception_fp_ieee_overflow 0
		.amdhsa_exception_fp_ieee_underflow 0
		.amdhsa_exception_fp_ieee_inexact 0
		.amdhsa_exception_int_div_zero 0
	.end_amdhsa_kernel
	.section	.text._ZN7rocprim17ROCPRIM_400000_NS6detail17trampoline_kernelINS0_14default_configENS1_35radix_sort_onesweep_config_selectorI12hip_bfloat16NS0_10empty_typeEEEZZNS1_29radix_sort_onesweep_iterationIS3_Lb1EPKS5_PS5_PS6_SC_mNS0_19identity_decomposerENS1_16block_id_wrapperIjLb1EEEEE10hipError_tT1_PNSt15iterator_traitsISH_E10value_typeET2_T3_PNSI_ISN_E10value_typeET4_T5_PSS_ST_PNS1_23onesweep_lookback_stateEbbT6_jjT7_P12ihipStream_tbENKUlT_T0_SH_SM_E_clISA_SB_SC_SC_EEDaS10_S11_SH_SM_EUlS10_E_NS1_11comp_targetILNS1_3genE4ELNS1_11target_archE910ELNS1_3gpuE8ELNS1_3repE0EEENS1_47radix_sort_onesweep_sort_config_static_selectorELNS0_4arch9wavefront6targetE0EEEvSH_,"axG",@progbits,_ZN7rocprim17ROCPRIM_400000_NS6detail17trampoline_kernelINS0_14default_configENS1_35radix_sort_onesweep_config_selectorI12hip_bfloat16NS0_10empty_typeEEEZZNS1_29radix_sort_onesweep_iterationIS3_Lb1EPKS5_PS5_PS6_SC_mNS0_19identity_decomposerENS1_16block_id_wrapperIjLb1EEEEE10hipError_tT1_PNSt15iterator_traitsISH_E10value_typeET2_T3_PNSI_ISN_E10value_typeET4_T5_PSS_ST_PNS1_23onesweep_lookback_stateEbbT6_jjT7_P12ihipStream_tbENKUlT_T0_SH_SM_E_clISA_SB_SC_SC_EEDaS10_S11_SH_SM_EUlS10_E_NS1_11comp_targetILNS1_3genE4ELNS1_11target_archE910ELNS1_3gpuE8ELNS1_3repE0EEENS1_47radix_sort_onesweep_sort_config_static_selectorELNS0_4arch9wavefront6targetE0EEEvSH_,comdat
.Lfunc_end1968:
	.size	_ZN7rocprim17ROCPRIM_400000_NS6detail17trampoline_kernelINS0_14default_configENS1_35radix_sort_onesweep_config_selectorI12hip_bfloat16NS0_10empty_typeEEEZZNS1_29radix_sort_onesweep_iterationIS3_Lb1EPKS5_PS5_PS6_SC_mNS0_19identity_decomposerENS1_16block_id_wrapperIjLb1EEEEE10hipError_tT1_PNSt15iterator_traitsISH_E10value_typeET2_T3_PNSI_ISN_E10value_typeET4_T5_PSS_ST_PNS1_23onesweep_lookback_stateEbbT6_jjT7_P12ihipStream_tbENKUlT_T0_SH_SM_E_clISA_SB_SC_SC_EEDaS10_S11_SH_SM_EUlS10_E_NS1_11comp_targetILNS1_3genE4ELNS1_11target_archE910ELNS1_3gpuE8ELNS1_3repE0EEENS1_47radix_sort_onesweep_sort_config_static_selectorELNS0_4arch9wavefront6targetE0EEEvSH_, .Lfunc_end1968-_ZN7rocprim17ROCPRIM_400000_NS6detail17trampoline_kernelINS0_14default_configENS1_35radix_sort_onesweep_config_selectorI12hip_bfloat16NS0_10empty_typeEEEZZNS1_29radix_sort_onesweep_iterationIS3_Lb1EPKS5_PS5_PS6_SC_mNS0_19identity_decomposerENS1_16block_id_wrapperIjLb1EEEEE10hipError_tT1_PNSt15iterator_traitsISH_E10value_typeET2_T3_PNSI_ISN_E10value_typeET4_T5_PSS_ST_PNS1_23onesweep_lookback_stateEbbT6_jjT7_P12ihipStream_tbENKUlT_T0_SH_SM_E_clISA_SB_SC_SC_EEDaS10_S11_SH_SM_EUlS10_E_NS1_11comp_targetILNS1_3genE4ELNS1_11target_archE910ELNS1_3gpuE8ELNS1_3repE0EEENS1_47radix_sort_onesweep_sort_config_static_selectorELNS0_4arch9wavefront6targetE0EEEvSH_
                                        ; -- End function
	.set _ZN7rocprim17ROCPRIM_400000_NS6detail17trampoline_kernelINS0_14default_configENS1_35radix_sort_onesweep_config_selectorI12hip_bfloat16NS0_10empty_typeEEEZZNS1_29radix_sort_onesweep_iterationIS3_Lb1EPKS5_PS5_PS6_SC_mNS0_19identity_decomposerENS1_16block_id_wrapperIjLb1EEEEE10hipError_tT1_PNSt15iterator_traitsISH_E10value_typeET2_T3_PNSI_ISN_E10value_typeET4_T5_PSS_ST_PNS1_23onesweep_lookback_stateEbbT6_jjT7_P12ihipStream_tbENKUlT_T0_SH_SM_E_clISA_SB_SC_SC_EEDaS10_S11_SH_SM_EUlS10_E_NS1_11comp_targetILNS1_3genE4ELNS1_11target_archE910ELNS1_3gpuE8ELNS1_3repE0EEENS1_47radix_sort_onesweep_sort_config_static_selectorELNS0_4arch9wavefront6targetE0EEEvSH_.num_vgpr, 0
	.set _ZN7rocprim17ROCPRIM_400000_NS6detail17trampoline_kernelINS0_14default_configENS1_35radix_sort_onesweep_config_selectorI12hip_bfloat16NS0_10empty_typeEEEZZNS1_29radix_sort_onesweep_iterationIS3_Lb1EPKS5_PS5_PS6_SC_mNS0_19identity_decomposerENS1_16block_id_wrapperIjLb1EEEEE10hipError_tT1_PNSt15iterator_traitsISH_E10value_typeET2_T3_PNSI_ISN_E10value_typeET4_T5_PSS_ST_PNS1_23onesweep_lookback_stateEbbT6_jjT7_P12ihipStream_tbENKUlT_T0_SH_SM_E_clISA_SB_SC_SC_EEDaS10_S11_SH_SM_EUlS10_E_NS1_11comp_targetILNS1_3genE4ELNS1_11target_archE910ELNS1_3gpuE8ELNS1_3repE0EEENS1_47radix_sort_onesweep_sort_config_static_selectorELNS0_4arch9wavefront6targetE0EEEvSH_.num_agpr, 0
	.set _ZN7rocprim17ROCPRIM_400000_NS6detail17trampoline_kernelINS0_14default_configENS1_35radix_sort_onesweep_config_selectorI12hip_bfloat16NS0_10empty_typeEEEZZNS1_29radix_sort_onesweep_iterationIS3_Lb1EPKS5_PS5_PS6_SC_mNS0_19identity_decomposerENS1_16block_id_wrapperIjLb1EEEEE10hipError_tT1_PNSt15iterator_traitsISH_E10value_typeET2_T3_PNSI_ISN_E10value_typeET4_T5_PSS_ST_PNS1_23onesweep_lookback_stateEbbT6_jjT7_P12ihipStream_tbENKUlT_T0_SH_SM_E_clISA_SB_SC_SC_EEDaS10_S11_SH_SM_EUlS10_E_NS1_11comp_targetILNS1_3genE4ELNS1_11target_archE910ELNS1_3gpuE8ELNS1_3repE0EEENS1_47radix_sort_onesweep_sort_config_static_selectorELNS0_4arch9wavefront6targetE0EEEvSH_.numbered_sgpr, 0
	.set _ZN7rocprim17ROCPRIM_400000_NS6detail17trampoline_kernelINS0_14default_configENS1_35radix_sort_onesweep_config_selectorI12hip_bfloat16NS0_10empty_typeEEEZZNS1_29radix_sort_onesweep_iterationIS3_Lb1EPKS5_PS5_PS6_SC_mNS0_19identity_decomposerENS1_16block_id_wrapperIjLb1EEEEE10hipError_tT1_PNSt15iterator_traitsISH_E10value_typeET2_T3_PNSI_ISN_E10value_typeET4_T5_PSS_ST_PNS1_23onesweep_lookback_stateEbbT6_jjT7_P12ihipStream_tbENKUlT_T0_SH_SM_E_clISA_SB_SC_SC_EEDaS10_S11_SH_SM_EUlS10_E_NS1_11comp_targetILNS1_3genE4ELNS1_11target_archE910ELNS1_3gpuE8ELNS1_3repE0EEENS1_47radix_sort_onesweep_sort_config_static_selectorELNS0_4arch9wavefront6targetE0EEEvSH_.num_named_barrier, 0
	.set _ZN7rocprim17ROCPRIM_400000_NS6detail17trampoline_kernelINS0_14default_configENS1_35radix_sort_onesweep_config_selectorI12hip_bfloat16NS0_10empty_typeEEEZZNS1_29radix_sort_onesweep_iterationIS3_Lb1EPKS5_PS5_PS6_SC_mNS0_19identity_decomposerENS1_16block_id_wrapperIjLb1EEEEE10hipError_tT1_PNSt15iterator_traitsISH_E10value_typeET2_T3_PNSI_ISN_E10value_typeET4_T5_PSS_ST_PNS1_23onesweep_lookback_stateEbbT6_jjT7_P12ihipStream_tbENKUlT_T0_SH_SM_E_clISA_SB_SC_SC_EEDaS10_S11_SH_SM_EUlS10_E_NS1_11comp_targetILNS1_3genE4ELNS1_11target_archE910ELNS1_3gpuE8ELNS1_3repE0EEENS1_47radix_sort_onesweep_sort_config_static_selectorELNS0_4arch9wavefront6targetE0EEEvSH_.private_seg_size, 0
	.set _ZN7rocprim17ROCPRIM_400000_NS6detail17trampoline_kernelINS0_14default_configENS1_35radix_sort_onesweep_config_selectorI12hip_bfloat16NS0_10empty_typeEEEZZNS1_29radix_sort_onesweep_iterationIS3_Lb1EPKS5_PS5_PS6_SC_mNS0_19identity_decomposerENS1_16block_id_wrapperIjLb1EEEEE10hipError_tT1_PNSt15iterator_traitsISH_E10value_typeET2_T3_PNSI_ISN_E10value_typeET4_T5_PSS_ST_PNS1_23onesweep_lookback_stateEbbT6_jjT7_P12ihipStream_tbENKUlT_T0_SH_SM_E_clISA_SB_SC_SC_EEDaS10_S11_SH_SM_EUlS10_E_NS1_11comp_targetILNS1_3genE4ELNS1_11target_archE910ELNS1_3gpuE8ELNS1_3repE0EEENS1_47radix_sort_onesweep_sort_config_static_selectorELNS0_4arch9wavefront6targetE0EEEvSH_.uses_vcc, 0
	.set _ZN7rocprim17ROCPRIM_400000_NS6detail17trampoline_kernelINS0_14default_configENS1_35radix_sort_onesweep_config_selectorI12hip_bfloat16NS0_10empty_typeEEEZZNS1_29radix_sort_onesweep_iterationIS3_Lb1EPKS5_PS5_PS6_SC_mNS0_19identity_decomposerENS1_16block_id_wrapperIjLb1EEEEE10hipError_tT1_PNSt15iterator_traitsISH_E10value_typeET2_T3_PNSI_ISN_E10value_typeET4_T5_PSS_ST_PNS1_23onesweep_lookback_stateEbbT6_jjT7_P12ihipStream_tbENKUlT_T0_SH_SM_E_clISA_SB_SC_SC_EEDaS10_S11_SH_SM_EUlS10_E_NS1_11comp_targetILNS1_3genE4ELNS1_11target_archE910ELNS1_3gpuE8ELNS1_3repE0EEENS1_47radix_sort_onesweep_sort_config_static_selectorELNS0_4arch9wavefront6targetE0EEEvSH_.uses_flat_scratch, 0
	.set _ZN7rocprim17ROCPRIM_400000_NS6detail17trampoline_kernelINS0_14default_configENS1_35radix_sort_onesweep_config_selectorI12hip_bfloat16NS0_10empty_typeEEEZZNS1_29radix_sort_onesweep_iterationIS3_Lb1EPKS5_PS5_PS6_SC_mNS0_19identity_decomposerENS1_16block_id_wrapperIjLb1EEEEE10hipError_tT1_PNSt15iterator_traitsISH_E10value_typeET2_T3_PNSI_ISN_E10value_typeET4_T5_PSS_ST_PNS1_23onesweep_lookback_stateEbbT6_jjT7_P12ihipStream_tbENKUlT_T0_SH_SM_E_clISA_SB_SC_SC_EEDaS10_S11_SH_SM_EUlS10_E_NS1_11comp_targetILNS1_3genE4ELNS1_11target_archE910ELNS1_3gpuE8ELNS1_3repE0EEENS1_47radix_sort_onesweep_sort_config_static_selectorELNS0_4arch9wavefront6targetE0EEEvSH_.has_dyn_sized_stack, 0
	.set _ZN7rocprim17ROCPRIM_400000_NS6detail17trampoline_kernelINS0_14default_configENS1_35radix_sort_onesweep_config_selectorI12hip_bfloat16NS0_10empty_typeEEEZZNS1_29radix_sort_onesweep_iterationIS3_Lb1EPKS5_PS5_PS6_SC_mNS0_19identity_decomposerENS1_16block_id_wrapperIjLb1EEEEE10hipError_tT1_PNSt15iterator_traitsISH_E10value_typeET2_T3_PNSI_ISN_E10value_typeET4_T5_PSS_ST_PNS1_23onesweep_lookback_stateEbbT6_jjT7_P12ihipStream_tbENKUlT_T0_SH_SM_E_clISA_SB_SC_SC_EEDaS10_S11_SH_SM_EUlS10_E_NS1_11comp_targetILNS1_3genE4ELNS1_11target_archE910ELNS1_3gpuE8ELNS1_3repE0EEENS1_47radix_sort_onesweep_sort_config_static_selectorELNS0_4arch9wavefront6targetE0EEEvSH_.has_recursion, 0
	.set _ZN7rocprim17ROCPRIM_400000_NS6detail17trampoline_kernelINS0_14default_configENS1_35radix_sort_onesweep_config_selectorI12hip_bfloat16NS0_10empty_typeEEEZZNS1_29radix_sort_onesweep_iterationIS3_Lb1EPKS5_PS5_PS6_SC_mNS0_19identity_decomposerENS1_16block_id_wrapperIjLb1EEEEE10hipError_tT1_PNSt15iterator_traitsISH_E10value_typeET2_T3_PNSI_ISN_E10value_typeET4_T5_PSS_ST_PNS1_23onesweep_lookback_stateEbbT6_jjT7_P12ihipStream_tbENKUlT_T0_SH_SM_E_clISA_SB_SC_SC_EEDaS10_S11_SH_SM_EUlS10_E_NS1_11comp_targetILNS1_3genE4ELNS1_11target_archE910ELNS1_3gpuE8ELNS1_3repE0EEENS1_47radix_sort_onesweep_sort_config_static_selectorELNS0_4arch9wavefront6targetE0EEEvSH_.has_indirect_call, 0
	.section	.AMDGPU.csdata,"",@progbits
; Kernel info:
; codeLenInByte = 0
; TotalNumSgprs: 0
; NumVgprs: 0
; ScratchSize: 0
; MemoryBound: 0
; FloatMode: 240
; IeeeMode: 1
; LDSByteSize: 0 bytes/workgroup (compile time only)
; SGPRBlocks: 0
; VGPRBlocks: 0
; NumSGPRsForWavesPerEU: 1
; NumVGPRsForWavesPerEU: 1
; NamedBarCnt: 0
; Occupancy: 16
; WaveLimiterHint : 0
; COMPUTE_PGM_RSRC2:SCRATCH_EN: 0
; COMPUTE_PGM_RSRC2:USER_SGPR: 2
; COMPUTE_PGM_RSRC2:TRAP_HANDLER: 0
; COMPUTE_PGM_RSRC2:TGID_X_EN: 1
; COMPUTE_PGM_RSRC2:TGID_Y_EN: 0
; COMPUTE_PGM_RSRC2:TGID_Z_EN: 0
; COMPUTE_PGM_RSRC2:TIDIG_COMP_CNT: 0
	.section	.text._ZN7rocprim17ROCPRIM_400000_NS6detail17trampoline_kernelINS0_14default_configENS1_35radix_sort_onesweep_config_selectorI12hip_bfloat16NS0_10empty_typeEEEZZNS1_29radix_sort_onesweep_iterationIS3_Lb1EPKS5_PS5_PS6_SC_mNS0_19identity_decomposerENS1_16block_id_wrapperIjLb1EEEEE10hipError_tT1_PNSt15iterator_traitsISH_E10value_typeET2_T3_PNSI_ISN_E10value_typeET4_T5_PSS_ST_PNS1_23onesweep_lookback_stateEbbT6_jjT7_P12ihipStream_tbENKUlT_T0_SH_SM_E_clISA_SB_SC_SC_EEDaS10_S11_SH_SM_EUlS10_E_NS1_11comp_targetILNS1_3genE3ELNS1_11target_archE908ELNS1_3gpuE7ELNS1_3repE0EEENS1_47radix_sort_onesweep_sort_config_static_selectorELNS0_4arch9wavefront6targetE0EEEvSH_,"axG",@progbits,_ZN7rocprim17ROCPRIM_400000_NS6detail17trampoline_kernelINS0_14default_configENS1_35radix_sort_onesweep_config_selectorI12hip_bfloat16NS0_10empty_typeEEEZZNS1_29radix_sort_onesweep_iterationIS3_Lb1EPKS5_PS5_PS6_SC_mNS0_19identity_decomposerENS1_16block_id_wrapperIjLb1EEEEE10hipError_tT1_PNSt15iterator_traitsISH_E10value_typeET2_T3_PNSI_ISN_E10value_typeET4_T5_PSS_ST_PNS1_23onesweep_lookback_stateEbbT6_jjT7_P12ihipStream_tbENKUlT_T0_SH_SM_E_clISA_SB_SC_SC_EEDaS10_S11_SH_SM_EUlS10_E_NS1_11comp_targetILNS1_3genE3ELNS1_11target_archE908ELNS1_3gpuE7ELNS1_3repE0EEENS1_47radix_sort_onesweep_sort_config_static_selectorELNS0_4arch9wavefront6targetE0EEEvSH_,comdat
	.protected	_ZN7rocprim17ROCPRIM_400000_NS6detail17trampoline_kernelINS0_14default_configENS1_35radix_sort_onesweep_config_selectorI12hip_bfloat16NS0_10empty_typeEEEZZNS1_29radix_sort_onesweep_iterationIS3_Lb1EPKS5_PS5_PS6_SC_mNS0_19identity_decomposerENS1_16block_id_wrapperIjLb1EEEEE10hipError_tT1_PNSt15iterator_traitsISH_E10value_typeET2_T3_PNSI_ISN_E10value_typeET4_T5_PSS_ST_PNS1_23onesweep_lookback_stateEbbT6_jjT7_P12ihipStream_tbENKUlT_T0_SH_SM_E_clISA_SB_SC_SC_EEDaS10_S11_SH_SM_EUlS10_E_NS1_11comp_targetILNS1_3genE3ELNS1_11target_archE908ELNS1_3gpuE7ELNS1_3repE0EEENS1_47radix_sort_onesweep_sort_config_static_selectorELNS0_4arch9wavefront6targetE0EEEvSH_ ; -- Begin function _ZN7rocprim17ROCPRIM_400000_NS6detail17trampoline_kernelINS0_14default_configENS1_35radix_sort_onesweep_config_selectorI12hip_bfloat16NS0_10empty_typeEEEZZNS1_29radix_sort_onesweep_iterationIS3_Lb1EPKS5_PS5_PS6_SC_mNS0_19identity_decomposerENS1_16block_id_wrapperIjLb1EEEEE10hipError_tT1_PNSt15iterator_traitsISH_E10value_typeET2_T3_PNSI_ISN_E10value_typeET4_T5_PSS_ST_PNS1_23onesweep_lookback_stateEbbT6_jjT7_P12ihipStream_tbENKUlT_T0_SH_SM_E_clISA_SB_SC_SC_EEDaS10_S11_SH_SM_EUlS10_E_NS1_11comp_targetILNS1_3genE3ELNS1_11target_archE908ELNS1_3gpuE7ELNS1_3repE0EEENS1_47radix_sort_onesweep_sort_config_static_selectorELNS0_4arch9wavefront6targetE0EEEvSH_
	.globl	_ZN7rocprim17ROCPRIM_400000_NS6detail17trampoline_kernelINS0_14default_configENS1_35radix_sort_onesweep_config_selectorI12hip_bfloat16NS0_10empty_typeEEEZZNS1_29radix_sort_onesweep_iterationIS3_Lb1EPKS5_PS5_PS6_SC_mNS0_19identity_decomposerENS1_16block_id_wrapperIjLb1EEEEE10hipError_tT1_PNSt15iterator_traitsISH_E10value_typeET2_T3_PNSI_ISN_E10value_typeET4_T5_PSS_ST_PNS1_23onesweep_lookback_stateEbbT6_jjT7_P12ihipStream_tbENKUlT_T0_SH_SM_E_clISA_SB_SC_SC_EEDaS10_S11_SH_SM_EUlS10_E_NS1_11comp_targetILNS1_3genE3ELNS1_11target_archE908ELNS1_3gpuE7ELNS1_3repE0EEENS1_47radix_sort_onesweep_sort_config_static_selectorELNS0_4arch9wavefront6targetE0EEEvSH_
	.p2align	8
	.type	_ZN7rocprim17ROCPRIM_400000_NS6detail17trampoline_kernelINS0_14default_configENS1_35radix_sort_onesweep_config_selectorI12hip_bfloat16NS0_10empty_typeEEEZZNS1_29radix_sort_onesweep_iterationIS3_Lb1EPKS5_PS5_PS6_SC_mNS0_19identity_decomposerENS1_16block_id_wrapperIjLb1EEEEE10hipError_tT1_PNSt15iterator_traitsISH_E10value_typeET2_T3_PNSI_ISN_E10value_typeET4_T5_PSS_ST_PNS1_23onesweep_lookback_stateEbbT6_jjT7_P12ihipStream_tbENKUlT_T0_SH_SM_E_clISA_SB_SC_SC_EEDaS10_S11_SH_SM_EUlS10_E_NS1_11comp_targetILNS1_3genE3ELNS1_11target_archE908ELNS1_3gpuE7ELNS1_3repE0EEENS1_47radix_sort_onesweep_sort_config_static_selectorELNS0_4arch9wavefront6targetE0EEEvSH_,@function
_ZN7rocprim17ROCPRIM_400000_NS6detail17trampoline_kernelINS0_14default_configENS1_35radix_sort_onesweep_config_selectorI12hip_bfloat16NS0_10empty_typeEEEZZNS1_29radix_sort_onesweep_iterationIS3_Lb1EPKS5_PS5_PS6_SC_mNS0_19identity_decomposerENS1_16block_id_wrapperIjLb1EEEEE10hipError_tT1_PNSt15iterator_traitsISH_E10value_typeET2_T3_PNSI_ISN_E10value_typeET4_T5_PSS_ST_PNS1_23onesweep_lookback_stateEbbT6_jjT7_P12ihipStream_tbENKUlT_T0_SH_SM_E_clISA_SB_SC_SC_EEDaS10_S11_SH_SM_EUlS10_E_NS1_11comp_targetILNS1_3genE3ELNS1_11target_archE908ELNS1_3gpuE7ELNS1_3repE0EEENS1_47radix_sort_onesweep_sort_config_static_selectorELNS0_4arch9wavefront6targetE0EEEvSH_: ; @_ZN7rocprim17ROCPRIM_400000_NS6detail17trampoline_kernelINS0_14default_configENS1_35radix_sort_onesweep_config_selectorI12hip_bfloat16NS0_10empty_typeEEEZZNS1_29radix_sort_onesweep_iterationIS3_Lb1EPKS5_PS5_PS6_SC_mNS0_19identity_decomposerENS1_16block_id_wrapperIjLb1EEEEE10hipError_tT1_PNSt15iterator_traitsISH_E10value_typeET2_T3_PNSI_ISN_E10value_typeET4_T5_PSS_ST_PNS1_23onesweep_lookback_stateEbbT6_jjT7_P12ihipStream_tbENKUlT_T0_SH_SM_E_clISA_SB_SC_SC_EEDaS10_S11_SH_SM_EUlS10_E_NS1_11comp_targetILNS1_3genE3ELNS1_11target_archE908ELNS1_3gpuE7ELNS1_3repE0EEENS1_47radix_sort_onesweep_sort_config_static_selectorELNS0_4arch9wavefront6targetE0EEEvSH_
; %bb.0:
	.section	.rodata,"a",@progbits
	.p2align	6, 0x0
	.amdhsa_kernel _ZN7rocprim17ROCPRIM_400000_NS6detail17trampoline_kernelINS0_14default_configENS1_35radix_sort_onesweep_config_selectorI12hip_bfloat16NS0_10empty_typeEEEZZNS1_29radix_sort_onesweep_iterationIS3_Lb1EPKS5_PS5_PS6_SC_mNS0_19identity_decomposerENS1_16block_id_wrapperIjLb1EEEEE10hipError_tT1_PNSt15iterator_traitsISH_E10value_typeET2_T3_PNSI_ISN_E10value_typeET4_T5_PSS_ST_PNS1_23onesweep_lookback_stateEbbT6_jjT7_P12ihipStream_tbENKUlT_T0_SH_SM_E_clISA_SB_SC_SC_EEDaS10_S11_SH_SM_EUlS10_E_NS1_11comp_targetILNS1_3genE3ELNS1_11target_archE908ELNS1_3gpuE7ELNS1_3repE0EEENS1_47radix_sort_onesweep_sort_config_static_selectorELNS0_4arch9wavefront6targetE0EEEvSH_
		.amdhsa_group_segment_fixed_size 0
		.amdhsa_private_segment_fixed_size 0
		.amdhsa_kernarg_size 88
		.amdhsa_user_sgpr_count 2
		.amdhsa_user_sgpr_dispatch_ptr 0
		.amdhsa_user_sgpr_queue_ptr 0
		.amdhsa_user_sgpr_kernarg_segment_ptr 1
		.amdhsa_user_sgpr_dispatch_id 0
		.amdhsa_user_sgpr_kernarg_preload_length 0
		.amdhsa_user_sgpr_kernarg_preload_offset 0
		.amdhsa_user_sgpr_private_segment_size 0
		.amdhsa_wavefront_size32 1
		.amdhsa_uses_dynamic_stack 0
		.amdhsa_enable_private_segment 0
		.amdhsa_system_sgpr_workgroup_id_x 1
		.amdhsa_system_sgpr_workgroup_id_y 0
		.amdhsa_system_sgpr_workgroup_id_z 0
		.amdhsa_system_sgpr_workgroup_info 0
		.amdhsa_system_vgpr_workitem_id 0
		.amdhsa_next_free_vgpr 1
		.amdhsa_next_free_sgpr 1
		.amdhsa_named_barrier_count 0
		.amdhsa_reserve_vcc 0
		.amdhsa_float_round_mode_32 0
		.amdhsa_float_round_mode_16_64 0
		.amdhsa_float_denorm_mode_32 3
		.amdhsa_float_denorm_mode_16_64 3
		.amdhsa_fp16_overflow 0
		.amdhsa_memory_ordered 1
		.amdhsa_forward_progress 1
		.amdhsa_inst_pref_size 0
		.amdhsa_round_robin_scheduling 0
		.amdhsa_exception_fp_ieee_invalid_op 0
		.amdhsa_exception_fp_denorm_src 0
		.amdhsa_exception_fp_ieee_div_zero 0
		.amdhsa_exception_fp_ieee_overflow 0
		.amdhsa_exception_fp_ieee_underflow 0
		.amdhsa_exception_fp_ieee_inexact 0
		.amdhsa_exception_int_div_zero 0
	.end_amdhsa_kernel
	.section	.text._ZN7rocprim17ROCPRIM_400000_NS6detail17trampoline_kernelINS0_14default_configENS1_35radix_sort_onesweep_config_selectorI12hip_bfloat16NS0_10empty_typeEEEZZNS1_29radix_sort_onesweep_iterationIS3_Lb1EPKS5_PS5_PS6_SC_mNS0_19identity_decomposerENS1_16block_id_wrapperIjLb1EEEEE10hipError_tT1_PNSt15iterator_traitsISH_E10value_typeET2_T3_PNSI_ISN_E10value_typeET4_T5_PSS_ST_PNS1_23onesweep_lookback_stateEbbT6_jjT7_P12ihipStream_tbENKUlT_T0_SH_SM_E_clISA_SB_SC_SC_EEDaS10_S11_SH_SM_EUlS10_E_NS1_11comp_targetILNS1_3genE3ELNS1_11target_archE908ELNS1_3gpuE7ELNS1_3repE0EEENS1_47radix_sort_onesweep_sort_config_static_selectorELNS0_4arch9wavefront6targetE0EEEvSH_,"axG",@progbits,_ZN7rocprim17ROCPRIM_400000_NS6detail17trampoline_kernelINS0_14default_configENS1_35radix_sort_onesweep_config_selectorI12hip_bfloat16NS0_10empty_typeEEEZZNS1_29radix_sort_onesweep_iterationIS3_Lb1EPKS5_PS5_PS6_SC_mNS0_19identity_decomposerENS1_16block_id_wrapperIjLb1EEEEE10hipError_tT1_PNSt15iterator_traitsISH_E10value_typeET2_T3_PNSI_ISN_E10value_typeET4_T5_PSS_ST_PNS1_23onesweep_lookback_stateEbbT6_jjT7_P12ihipStream_tbENKUlT_T0_SH_SM_E_clISA_SB_SC_SC_EEDaS10_S11_SH_SM_EUlS10_E_NS1_11comp_targetILNS1_3genE3ELNS1_11target_archE908ELNS1_3gpuE7ELNS1_3repE0EEENS1_47radix_sort_onesweep_sort_config_static_selectorELNS0_4arch9wavefront6targetE0EEEvSH_,comdat
.Lfunc_end1969:
	.size	_ZN7rocprim17ROCPRIM_400000_NS6detail17trampoline_kernelINS0_14default_configENS1_35radix_sort_onesweep_config_selectorI12hip_bfloat16NS0_10empty_typeEEEZZNS1_29radix_sort_onesweep_iterationIS3_Lb1EPKS5_PS5_PS6_SC_mNS0_19identity_decomposerENS1_16block_id_wrapperIjLb1EEEEE10hipError_tT1_PNSt15iterator_traitsISH_E10value_typeET2_T3_PNSI_ISN_E10value_typeET4_T5_PSS_ST_PNS1_23onesweep_lookback_stateEbbT6_jjT7_P12ihipStream_tbENKUlT_T0_SH_SM_E_clISA_SB_SC_SC_EEDaS10_S11_SH_SM_EUlS10_E_NS1_11comp_targetILNS1_3genE3ELNS1_11target_archE908ELNS1_3gpuE7ELNS1_3repE0EEENS1_47radix_sort_onesweep_sort_config_static_selectorELNS0_4arch9wavefront6targetE0EEEvSH_, .Lfunc_end1969-_ZN7rocprim17ROCPRIM_400000_NS6detail17trampoline_kernelINS0_14default_configENS1_35radix_sort_onesweep_config_selectorI12hip_bfloat16NS0_10empty_typeEEEZZNS1_29radix_sort_onesweep_iterationIS3_Lb1EPKS5_PS5_PS6_SC_mNS0_19identity_decomposerENS1_16block_id_wrapperIjLb1EEEEE10hipError_tT1_PNSt15iterator_traitsISH_E10value_typeET2_T3_PNSI_ISN_E10value_typeET4_T5_PSS_ST_PNS1_23onesweep_lookback_stateEbbT6_jjT7_P12ihipStream_tbENKUlT_T0_SH_SM_E_clISA_SB_SC_SC_EEDaS10_S11_SH_SM_EUlS10_E_NS1_11comp_targetILNS1_3genE3ELNS1_11target_archE908ELNS1_3gpuE7ELNS1_3repE0EEENS1_47radix_sort_onesweep_sort_config_static_selectorELNS0_4arch9wavefront6targetE0EEEvSH_
                                        ; -- End function
	.set _ZN7rocprim17ROCPRIM_400000_NS6detail17trampoline_kernelINS0_14default_configENS1_35radix_sort_onesweep_config_selectorI12hip_bfloat16NS0_10empty_typeEEEZZNS1_29radix_sort_onesweep_iterationIS3_Lb1EPKS5_PS5_PS6_SC_mNS0_19identity_decomposerENS1_16block_id_wrapperIjLb1EEEEE10hipError_tT1_PNSt15iterator_traitsISH_E10value_typeET2_T3_PNSI_ISN_E10value_typeET4_T5_PSS_ST_PNS1_23onesweep_lookback_stateEbbT6_jjT7_P12ihipStream_tbENKUlT_T0_SH_SM_E_clISA_SB_SC_SC_EEDaS10_S11_SH_SM_EUlS10_E_NS1_11comp_targetILNS1_3genE3ELNS1_11target_archE908ELNS1_3gpuE7ELNS1_3repE0EEENS1_47radix_sort_onesweep_sort_config_static_selectorELNS0_4arch9wavefront6targetE0EEEvSH_.num_vgpr, 0
	.set _ZN7rocprim17ROCPRIM_400000_NS6detail17trampoline_kernelINS0_14default_configENS1_35radix_sort_onesweep_config_selectorI12hip_bfloat16NS0_10empty_typeEEEZZNS1_29radix_sort_onesweep_iterationIS3_Lb1EPKS5_PS5_PS6_SC_mNS0_19identity_decomposerENS1_16block_id_wrapperIjLb1EEEEE10hipError_tT1_PNSt15iterator_traitsISH_E10value_typeET2_T3_PNSI_ISN_E10value_typeET4_T5_PSS_ST_PNS1_23onesweep_lookback_stateEbbT6_jjT7_P12ihipStream_tbENKUlT_T0_SH_SM_E_clISA_SB_SC_SC_EEDaS10_S11_SH_SM_EUlS10_E_NS1_11comp_targetILNS1_3genE3ELNS1_11target_archE908ELNS1_3gpuE7ELNS1_3repE0EEENS1_47radix_sort_onesweep_sort_config_static_selectorELNS0_4arch9wavefront6targetE0EEEvSH_.num_agpr, 0
	.set _ZN7rocprim17ROCPRIM_400000_NS6detail17trampoline_kernelINS0_14default_configENS1_35radix_sort_onesweep_config_selectorI12hip_bfloat16NS0_10empty_typeEEEZZNS1_29radix_sort_onesweep_iterationIS3_Lb1EPKS5_PS5_PS6_SC_mNS0_19identity_decomposerENS1_16block_id_wrapperIjLb1EEEEE10hipError_tT1_PNSt15iterator_traitsISH_E10value_typeET2_T3_PNSI_ISN_E10value_typeET4_T5_PSS_ST_PNS1_23onesweep_lookback_stateEbbT6_jjT7_P12ihipStream_tbENKUlT_T0_SH_SM_E_clISA_SB_SC_SC_EEDaS10_S11_SH_SM_EUlS10_E_NS1_11comp_targetILNS1_3genE3ELNS1_11target_archE908ELNS1_3gpuE7ELNS1_3repE0EEENS1_47radix_sort_onesweep_sort_config_static_selectorELNS0_4arch9wavefront6targetE0EEEvSH_.numbered_sgpr, 0
	.set _ZN7rocprim17ROCPRIM_400000_NS6detail17trampoline_kernelINS0_14default_configENS1_35radix_sort_onesweep_config_selectorI12hip_bfloat16NS0_10empty_typeEEEZZNS1_29radix_sort_onesweep_iterationIS3_Lb1EPKS5_PS5_PS6_SC_mNS0_19identity_decomposerENS1_16block_id_wrapperIjLb1EEEEE10hipError_tT1_PNSt15iterator_traitsISH_E10value_typeET2_T3_PNSI_ISN_E10value_typeET4_T5_PSS_ST_PNS1_23onesweep_lookback_stateEbbT6_jjT7_P12ihipStream_tbENKUlT_T0_SH_SM_E_clISA_SB_SC_SC_EEDaS10_S11_SH_SM_EUlS10_E_NS1_11comp_targetILNS1_3genE3ELNS1_11target_archE908ELNS1_3gpuE7ELNS1_3repE0EEENS1_47radix_sort_onesweep_sort_config_static_selectorELNS0_4arch9wavefront6targetE0EEEvSH_.num_named_barrier, 0
	.set _ZN7rocprim17ROCPRIM_400000_NS6detail17trampoline_kernelINS0_14default_configENS1_35radix_sort_onesweep_config_selectorI12hip_bfloat16NS0_10empty_typeEEEZZNS1_29radix_sort_onesweep_iterationIS3_Lb1EPKS5_PS5_PS6_SC_mNS0_19identity_decomposerENS1_16block_id_wrapperIjLb1EEEEE10hipError_tT1_PNSt15iterator_traitsISH_E10value_typeET2_T3_PNSI_ISN_E10value_typeET4_T5_PSS_ST_PNS1_23onesweep_lookback_stateEbbT6_jjT7_P12ihipStream_tbENKUlT_T0_SH_SM_E_clISA_SB_SC_SC_EEDaS10_S11_SH_SM_EUlS10_E_NS1_11comp_targetILNS1_3genE3ELNS1_11target_archE908ELNS1_3gpuE7ELNS1_3repE0EEENS1_47radix_sort_onesweep_sort_config_static_selectorELNS0_4arch9wavefront6targetE0EEEvSH_.private_seg_size, 0
	.set _ZN7rocprim17ROCPRIM_400000_NS6detail17trampoline_kernelINS0_14default_configENS1_35radix_sort_onesweep_config_selectorI12hip_bfloat16NS0_10empty_typeEEEZZNS1_29radix_sort_onesweep_iterationIS3_Lb1EPKS5_PS5_PS6_SC_mNS0_19identity_decomposerENS1_16block_id_wrapperIjLb1EEEEE10hipError_tT1_PNSt15iterator_traitsISH_E10value_typeET2_T3_PNSI_ISN_E10value_typeET4_T5_PSS_ST_PNS1_23onesweep_lookback_stateEbbT6_jjT7_P12ihipStream_tbENKUlT_T0_SH_SM_E_clISA_SB_SC_SC_EEDaS10_S11_SH_SM_EUlS10_E_NS1_11comp_targetILNS1_3genE3ELNS1_11target_archE908ELNS1_3gpuE7ELNS1_3repE0EEENS1_47radix_sort_onesweep_sort_config_static_selectorELNS0_4arch9wavefront6targetE0EEEvSH_.uses_vcc, 0
	.set _ZN7rocprim17ROCPRIM_400000_NS6detail17trampoline_kernelINS0_14default_configENS1_35radix_sort_onesweep_config_selectorI12hip_bfloat16NS0_10empty_typeEEEZZNS1_29radix_sort_onesweep_iterationIS3_Lb1EPKS5_PS5_PS6_SC_mNS0_19identity_decomposerENS1_16block_id_wrapperIjLb1EEEEE10hipError_tT1_PNSt15iterator_traitsISH_E10value_typeET2_T3_PNSI_ISN_E10value_typeET4_T5_PSS_ST_PNS1_23onesweep_lookback_stateEbbT6_jjT7_P12ihipStream_tbENKUlT_T0_SH_SM_E_clISA_SB_SC_SC_EEDaS10_S11_SH_SM_EUlS10_E_NS1_11comp_targetILNS1_3genE3ELNS1_11target_archE908ELNS1_3gpuE7ELNS1_3repE0EEENS1_47radix_sort_onesweep_sort_config_static_selectorELNS0_4arch9wavefront6targetE0EEEvSH_.uses_flat_scratch, 0
	.set _ZN7rocprim17ROCPRIM_400000_NS6detail17trampoline_kernelINS0_14default_configENS1_35radix_sort_onesweep_config_selectorI12hip_bfloat16NS0_10empty_typeEEEZZNS1_29radix_sort_onesweep_iterationIS3_Lb1EPKS5_PS5_PS6_SC_mNS0_19identity_decomposerENS1_16block_id_wrapperIjLb1EEEEE10hipError_tT1_PNSt15iterator_traitsISH_E10value_typeET2_T3_PNSI_ISN_E10value_typeET4_T5_PSS_ST_PNS1_23onesweep_lookback_stateEbbT6_jjT7_P12ihipStream_tbENKUlT_T0_SH_SM_E_clISA_SB_SC_SC_EEDaS10_S11_SH_SM_EUlS10_E_NS1_11comp_targetILNS1_3genE3ELNS1_11target_archE908ELNS1_3gpuE7ELNS1_3repE0EEENS1_47radix_sort_onesweep_sort_config_static_selectorELNS0_4arch9wavefront6targetE0EEEvSH_.has_dyn_sized_stack, 0
	.set _ZN7rocprim17ROCPRIM_400000_NS6detail17trampoline_kernelINS0_14default_configENS1_35radix_sort_onesweep_config_selectorI12hip_bfloat16NS0_10empty_typeEEEZZNS1_29radix_sort_onesweep_iterationIS3_Lb1EPKS5_PS5_PS6_SC_mNS0_19identity_decomposerENS1_16block_id_wrapperIjLb1EEEEE10hipError_tT1_PNSt15iterator_traitsISH_E10value_typeET2_T3_PNSI_ISN_E10value_typeET4_T5_PSS_ST_PNS1_23onesweep_lookback_stateEbbT6_jjT7_P12ihipStream_tbENKUlT_T0_SH_SM_E_clISA_SB_SC_SC_EEDaS10_S11_SH_SM_EUlS10_E_NS1_11comp_targetILNS1_3genE3ELNS1_11target_archE908ELNS1_3gpuE7ELNS1_3repE0EEENS1_47radix_sort_onesweep_sort_config_static_selectorELNS0_4arch9wavefront6targetE0EEEvSH_.has_recursion, 0
	.set _ZN7rocprim17ROCPRIM_400000_NS6detail17trampoline_kernelINS0_14default_configENS1_35radix_sort_onesweep_config_selectorI12hip_bfloat16NS0_10empty_typeEEEZZNS1_29radix_sort_onesweep_iterationIS3_Lb1EPKS5_PS5_PS6_SC_mNS0_19identity_decomposerENS1_16block_id_wrapperIjLb1EEEEE10hipError_tT1_PNSt15iterator_traitsISH_E10value_typeET2_T3_PNSI_ISN_E10value_typeET4_T5_PSS_ST_PNS1_23onesweep_lookback_stateEbbT6_jjT7_P12ihipStream_tbENKUlT_T0_SH_SM_E_clISA_SB_SC_SC_EEDaS10_S11_SH_SM_EUlS10_E_NS1_11comp_targetILNS1_3genE3ELNS1_11target_archE908ELNS1_3gpuE7ELNS1_3repE0EEENS1_47radix_sort_onesweep_sort_config_static_selectorELNS0_4arch9wavefront6targetE0EEEvSH_.has_indirect_call, 0
	.section	.AMDGPU.csdata,"",@progbits
; Kernel info:
; codeLenInByte = 0
; TotalNumSgprs: 0
; NumVgprs: 0
; ScratchSize: 0
; MemoryBound: 0
; FloatMode: 240
; IeeeMode: 1
; LDSByteSize: 0 bytes/workgroup (compile time only)
; SGPRBlocks: 0
; VGPRBlocks: 0
; NumSGPRsForWavesPerEU: 1
; NumVGPRsForWavesPerEU: 1
; NamedBarCnt: 0
; Occupancy: 16
; WaveLimiterHint : 0
; COMPUTE_PGM_RSRC2:SCRATCH_EN: 0
; COMPUTE_PGM_RSRC2:USER_SGPR: 2
; COMPUTE_PGM_RSRC2:TRAP_HANDLER: 0
; COMPUTE_PGM_RSRC2:TGID_X_EN: 1
; COMPUTE_PGM_RSRC2:TGID_Y_EN: 0
; COMPUTE_PGM_RSRC2:TGID_Z_EN: 0
; COMPUTE_PGM_RSRC2:TIDIG_COMP_CNT: 0
	.section	.text._ZN7rocprim17ROCPRIM_400000_NS6detail17trampoline_kernelINS0_14default_configENS1_35radix_sort_onesweep_config_selectorI12hip_bfloat16NS0_10empty_typeEEEZZNS1_29radix_sort_onesweep_iterationIS3_Lb1EPKS5_PS5_PS6_SC_mNS0_19identity_decomposerENS1_16block_id_wrapperIjLb1EEEEE10hipError_tT1_PNSt15iterator_traitsISH_E10value_typeET2_T3_PNSI_ISN_E10value_typeET4_T5_PSS_ST_PNS1_23onesweep_lookback_stateEbbT6_jjT7_P12ihipStream_tbENKUlT_T0_SH_SM_E_clISA_SB_SC_SC_EEDaS10_S11_SH_SM_EUlS10_E_NS1_11comp_targetILNS1_3genE10ELNS1_11target_archE1201ELNS1_3gpuE5ELNS1_3repE0EEENS1_47radix_sort_onesweep_sort_config_static_selectorELNS0_4arch9wavefront6targetE0EEEvSH_,"axG",@progbits,_ZN7rocprim17ROCPRIM_400000_NS6detail17trampoline_kernelINS0_14default_configENS1_35radix_sort_onesweep_config_selectorI12hip_bfloat16NS0_10empty_typeEEEZZNS1_29radix_sort_onesweep_iterationIS3_Lb1EPKS5_PS5_PS6_SC_mNS0_19identity_decomposerENS1_16block_id_wrapperIjLb1EEEEE10hipError_tT1_PNSt15iterator_traitsISH_E10value_typeET2_T3_PNSI_ISN_E10value_typeET4_T5_PSS_ST_PNS1_23onesweep_lookback_stateEbbT6_jjT7_P12ihipStream_tbENKUlT_T0_SH_SM_E_clISA_SB_SC_SC_EEDaS10_S11_SH_SM_EUlS10_E_NS1_11comp_targetILNS1_3genE10ELNS1_11target_archE1201ELNS1_3gpuE5ELNS1_3repE0EEENS1_47radix_sort_onesweep_sort_config_static_selectorELNS0_4arch9wavefront6targetE0EEEvSH_,comdat
	.protected	_ZN7rocprim17ROCPRIM_400000_NS6detail17trampoline_kernelINS0_14default_configENS1_35radix_sort_onesweep_config_selectorI12hip_bfloat16NS0_10empty_typeEEEZZNS1_29radix_sort_onesweep_iterationIS3_Lb1EPKS5_PS5_PS6_SC_mNS0_19identity_decomposerENS1_16block_id_wrapperIjLb1EEEEE10hipError_tT1_PNSt15iterator_traitsISH_E10value_typeET2_T3_PNSI_ISN_E10value_typeET4_T5_PSS_ST_PNS1_23onesweep_lookback_stateEbbT6_jjT7_P12ihipStream_tbENKUlT_T0_SH_SM_E_clISA_SB_SC_SC_EEDaS10_S11_SH_SM_EUlS10_E_NS1_11comp_targetILNS1_3genE10ELNS1_11target_archE1201ELNS1_3gpuE5ELNS1_3repE0EEENS1_47radix_sort_onesweep_sort_config_static_selectorELNS0_4arch9wavefront6targetE0EEEvSH_ ; -- Begin function _ZN7rocprim17ROCPRIM_400000_NS6detail17trampoline_kernelINS0_14default_configENS1_35radix_sort_onesweep_config_selectorI12hip_bfloat16NS0_10empty_typeEEEZZNS1_29radix_sort_onesweep_iterationIS3_Lb1EPKS5_PS5_PS6_SC_mNS0_19identity_decomposerENS1_16block_id_wrapperIjLb1EEEEE10hipError_tT1_PNSt15iterator_traitsISH_E10value_typeET2_T3_PNSI_ISN_E10value_typeET4_T5_PSS_ST_PNS1_23onesweep_lookback_stateEbbT6_jjT7_P12ihipStream_tbENKUlT_T0_SH_SM_E_clISA_SB_SC_SC_EEDaS10_S11_SH_SM_EUlS10_E_NS1_11comp_targetILNS1_3genE10ELNS1_11target_archE1201ELNS1_3gpuE5ELNS1_3repE0EEENS1_47radix_sort_onesweep_sort_config_static_selectorELNS0_4arch9wavefront6targetE0EEEvSH_
	.globl	_ZN7rocprim17ROCPRIM_400000_NS6detail17trampoline_kernelINS0_14default_configENS1_35radix_sort_onesweep_config_selectorI12hip_bfloat16NS0_10empty_typeEEEZZNS1_29radix_sort_onesweep_iterationIS3_Lb1EPKS5_PS5_PS6_SC_mNS0_19identity_decomposerENS1_16block_id_wrapperIjLb1EEEEE10hipError_tT1_PNSt15iterator_traitsISH_E10value_typeET2_T3_PNSI_ISN_E10value_typeET4_T5_PSS_ST_PNS1_23onesweep_lookback_stateEbbT6_jjT7_P12ihipStream_tbENKUlT_T0_SH_SM_E_clISA_SB_SC_SC_EEDaS10_S11_SH_SM_EUlS10_E_NS1_11comp_targetILNS1_3genE10ELNS1_11target_archE1201ELNS1_3gpuE5ELNS1_3repE0EEENS1_47radix_sort_onesweep_sort_config_static_selectorELNS0_4arch9wavefront6targetE0EEEvSH_
	.p2align	8
	.type	_ZN7rocprim17ROCPRIM_400000_NS6detail17trampoline_kernelINS0_14default_configENS1_35radix_sort_onesweep_config_selectorI12hip_bfloat16NS0_10empty_typeEEEZZNS1_29radix_sort_onesweep_iterationIS3_Lb1EPKS5_PS5_PS6_SC_mNS0_19identity_decomposerENS1_16block_id_wrapperIjLb1EEEEE10hipError_tT1_PNSt15iterator_traitsISH_E10value_typeET2_T3_PNSI_ISN_E10value_typeET4_T5_PSS_ST_PNS1_23onesweep_lookback_stateEbbT6_jjT7_P12ihipStream_tbENKUlT_T0_SH_SM_E_clISA_SB_SC_SC_EEDaS10_S11_SH_SM_EUlS10_E_NS1_11comp_targetILNS1_3genE10ELNS1_11target_archE1201ELNS1_3gpuE5ELNS1_3repE0EEENS1_47radix_sort_onesweep_sort_config_static_selectorELNS0_4arch9wavefront6targetE0EEEvSH_,@function
_ZN7rocprim17ROCPRIM_400000_NS6detail17trampoline_kernelINS0_14default_configENS1_35radix_sort_onesweep_config_selectorI12hip_bfloat16NS0_10empty_typeEEEZZNS1_29radix_sort_onesweep_iterationIS3_Lb1EPKS5_PS5_PS6_SC_mNS0_19identity_decomposerENS1_16block_id_wrapperIjLb1EEEEE10hipError_tT1_PNSt15iterator_traitsISH_E10value_typeET2_T3_PNSI_ISN_E10value_typeET4_T5_PSS_ST_PNS1_23onesweep_lookback_stateEbbT6_jjT7_P12ihipStream_tbENKUlT_T0_SH_SM_E_clISA_SB_SC_SC_EEDaS10_S11_SH_SM_EUlS10_E_NS1_11comp_targetILNS1_3genE10ELNS1_11target_archE1201ELNS1_3gpuE5ELNS1_3repE0EEENS1_47radix_sort_onesweep_sort_config_static_selectorELNS0_4arch9wavefront6targetE0EEEvSH_: ; @_ZN7rocprim17ROCPRIM_400000_NS6detail17trampoline_kernelINS0_14default_configENS1_35radix_sort_onesweep_config_selectorI12hip_bfloat16NS0_10empty_typeEEEZZNS1_29radix_sort_onesweep_iterationIS3_Lb1EPKS5_PS5_PS6_SC_mNS0_19identity_decomposerENS1_16block_id_wrapperIjLb1EEEEE10hipError_tT1_PNSt15iterator_traitsISH_E10value_typeET2_T3_PNSI_ISN_E10value_typeET4_T5_PSS_ST_PNS1_23onesweep_lookback_stateEbbT6_jjT7_P12ihipStream_tbENKUlT_T0_SH_SM_E_clISA_SB_SC_SC_EEDaS10_S11_SH_SM_EUlS10_E_NS1_11comp_targetILNS1_3genE10ELNS1_11target_archE1201ELNS1_3gpuE5ELNS1_3repE0EEENS1_47radix_sort_onesweep_sort_config_static_selectorELNS0_4arch9wavefront6targetE0EEEvSH_
; %bb.0:
	.section	.rodata,"a",@progbits
	.p2align	6, 0x0
	.amdhsa_kernel _ZN7rocprim17ROCPRIM_400000_NS6detail17trampoline_kernelINS0_14default_configENS1_35radix_sort_onesweep_config_selectorI12hip_bfloat16NS0_10empty_typeEEEZZNS1_29radix_sort_onesweep_iterationIS3_Lb1EPKS5_PS5_PS6_SC_mNS0_19identity_decomposerENS1_16block_id_wrapperIjLb1EEEEE10hipError_tT1_PNSt15iterator_traitsISH_E10value_typeET2_T3_PNSI_ISN_E10value_typeET4_T5_PSS_ST_PNS1_23onesweep_lookback_stateEbbT6_jjT7_P12ihipStream_tbENKUlT_T0_SH_SM_E_clISA_SB_SC_SC_EEDaS10_S11_SH_SM_EUlS10_E_NS1_11comp_targetILNS1_3genE10ELNS1_11target_archE1201ELNS1_3gpuE5ELNS1_3repE0EEENS1_47radix_sort_onesweep_sort_config_static_selectorELNS0_4arch9wavefront6targetE0EEEvSH_
		.amdhsa_group_segment_fixed_size 0
		.amdhsa_private_segment_fixed_size 0
		.amdhsa_kernarg_size 88
		.amdhsa_user_sgpr_count 2
		.amdhsa_user_sgpr_dispatch_ptr 0
		.amdhsa_user_sgpr_queue_ptr 0
		.amdhsa_user_sgpr_kernarg_segment_ptr 1
		.amdhsa_user_sgpr_dispatch_id 0
		.amdhsa_user_sgpr_kernarg_preload_length 0
		.amdhsa_user_sgpr_kernarg_preload_offset 0
		.amdhsa_user_sgpr_private_segment_size 0
		.amdhsa_wavefront_size32 1
		.amdhsa_uses_dynamic_stack 0
		.amdhsa_enable_private_segment 0
		.amdhsa_system_sgpr_workgroup_id_x 1
		.amdhsa_system_sgpr_workgroup_id_y 0
		.amdhsa_system_sgpr_workgroup_id_z 0
		.amdhsa_system_sgpr_workgroup_info 0
		.amdhsa_system_vgpr_workitem_id 0
		.amdhsa_next_free_vgpr 1
		.amdhsa_next_free_sgpr 1
		.amdhsa_named_barrier_count 0
		.amdhsa_reserve_vcc 0
		.amdhsa_float_round_mode_32 0
		.amdhsa_float_round_mode_16_64 0
		.amdhsa_float_denorm_mode_32 3
		.amdhsa_float_denorm_mode_16_64 3
		.amdhsa_fp16_overflow 0
		.amdhsa_memory_ordered 1
		.amdhsa_forward_progress 1
		.amdhsa_inst_pref_size 0
		.amdhsa_round_robin_scheduling 0
		.amdhsa_exception_fp_ieee_invalid_op 0
		.amdhsa_exception_fp_denorm_src 0
		.amdhsa_exception_fp_ieee_div_zero 0
		.amdhsa_exception_fp_ieee_overflow 0
		.amdhsa_exception_fp_ieee_underflow 0
		.amdhsa_exception_fp_ieee_inexact 0
		.amdhsa_exception_int_div_zero 0
	.end_amdhsa_kernel
	.section	.text._ZN7rocprim17ROCPRIM_400000_NS6detail17trampoline_kernelINS0_14default_configENS1_35radix_sort_onesweep_config_selectorI12hip_bfloat16NS0_10empty_typeEEEZZNS1_29radix_sort_onesweep_iterationIS3_Lb1EPKS5_PS5_PS6_SC_mNS0_19identity_decomposerENS1_16block_id_wrapperIjLb1EEEEE10hipError_tT1_PNSt15iterator_traitsISH_E10value_typeET2_T3_PNSI_ISN_E10value_typeET4_T5_PSS_ST_PNS1_23onesweep_lookback_stateEbbT6_jjT7_P12ihipStream_tbENKUlT_T0_SH_SM_E_clISA_SB_SC_SC_EEDaS10_S11_SH_SM_EUlS10_E_NS1_11comp_targetILNS1_3genE10ELNS1_11target_archE1201ELNS1_3gpuE5ELNS1_3repE0EEENS1_47radix_sort_onesweep_sort_config_static_selectorELNS0_4arch9wavefront6targetE0EEEvSH_,"axG",@progbits,_ZN7rocprim17ROCPRIM_400000_NS6detail17trampoline_kernelINS0_14default_configENS1_35radix_sort_onesweep_config_selectorI12hip_bfloat16NS0_10empty_typeEEEZZNS1_29radix_sort_onesweep_iterationIS3_Lb1EPKS5_PS5_PS6_SC_mNS0_19identity_decomposerENS1_16block_id_wrapperIjLb1EEEEE10hipError_tT1_PNSt15iterator_traitsISH_E10value_typeET2_T3_PNSI_ISN_E10value_typeET4_T5_PSS_ST_PNS1_23onesweep_lookback_stateEbbT6_jjT7_P12ihipStream_tbENKUlT_T0_SH_SM_E_clISA_SB_SC_SC_EEDaS10_S11_SH_SM_EUlS10_E_NS1_11comp_targetILNS1_3genE10ELNS1_11target_archE1201ELNS1_3gpuE5ELNS1_3repE0EEENS1_47radix_sort_onesweep_sort_config_static_selectorELNS0_4arch9wavefront6targetE0EEEvSH_,comdat
.Lfunc_end1970:
	.size	_ZN7rocprim17ROCPRIM_400000_NS6detail17trampoline_kernelINS0_14default_configENS1_35radix_sort_onesweep_config_selectorI12hip_bfloat16NS0_10empty_typeEEEZZNS1_29radix_sort_onesweep_iterationIS3_Lb1EPKS5_PS5_PS6_SC_mNS0_19identity_decomposerENS1_16block_id_wrapperIjLb1EEEEE10hipError_tT1_PNSt15iterator_traitsISH_E10value_typeET2_T3_PNSI_ISN_E10value_typeET4_T5_PSS_ST_PNS1_23onesweep_lookback_stateEbbT6_jjT7_P12ihipStream_tbENKUlT_T0_SH_SM_E_clISA_SB_SC_SC_EEDaS10_S11_SH_SM_EUlS10_E_NS1_11comp_targetILNS1_3genE10ELNS1_11target_archE1201ELNS1_3gpuE5ELNS1_3repE0EEENS1_47radix_sort_onesweep_sort_config_static_selectorELNS0_4arch9wavefront6targetE0EEEvSH_, .Lfunc_end1970-_ZN7rocprim17ROCPRIM_400000_NS6detail17trampoline_kernelINS0_14default_configENS1_35radix_sort_onesweep_config_selectorI12hip_bfloat16NS0_10empty_typeEEEZZNS1_29radix_sort_onesweep_iterationIS3_Lb1EPKS5_PS5_PS6_SC_mNS0_19identity_decomposerENS1_16block_id_wrapperIjLb1EEEEE10hipError_tT1_PNSt15iterator_traitsISH_E10value_typeET2_T3_PNSI_ISN_E10value_typeET4_T5_PSS_ST_PNS1_23onesweep_lookback_stateEbbT6_jjT7_P12ihipStream_tbENKUlT_T0_SH_SM_E_clISA_SB_SC_SC_EEDaS10_S11_SH_SM_EUlS10_E_NS1_11comp_targetILNS1_3genE10ELNS1_11target_archE1201ELNS1_3gpuE5ELNS1_3repE0EEENS1_47radix_sort_onesweep_sort_config_static_selectorELNS0_4arch9wavefront6targetE0EEEvSH_
                                        ; -- End function
	.set _ZN7rocprim17ROCPRIM_400000_NS6detail17trampoline_kernelINS0_14default_configENS1_35radix_sort_onesweep_config_selectorI12hip_bfloat16NS0_10empty_typeEEEZZNS1_29radix_sort_onesweep_iterationIS3_Lb1EPKS5_PS5_PS6_SC_mNS0_19identity_decomposerENS1_16block_id_wrapperIjLb1EEEEE10hipError_tT1_PNSt15iterator_traitsISH_E10value_typeET2_T3_PNSI_ISN_E10value_typeET4_T5_PSS_ST_PNS1_23onesweep_lookback_stateEbbT6_jjT7_P12ihipStream_tbENKUlT_T0_SH_SM_E_clISA_SB_SC_SC_EEDaS10_S11_SH_SM_EUlS10_E_NS1_11comp_targetILNS1_3genE10ELNS1_11target_archE1201ELNS1_3gpuE5ELNS1_3repE0EEENS1_47radix_sort_onesweep_sort_config_static_selectorELNS0_4arch9wavefront6targetE0EEEvSH_.num_vgpr, 0
	.set _ZN7rocprim17ROCPRIM_400000_NS6detail17trampoline_kernelINS0_14default_configENS1_35radix_sort_onesweep_config_selectorI12hip_bfloat16NS0_10empty_typeEEEZZNS1_29radix_sort_onesweep_iterationIS3_Lb1EPKS5_PS5_PS6_SC_mNS0_19identity_decomposerENS1_16block_id_wrapperIjLb1EEEEE10hipError_tT1_PNSt15iterator_traitsISH_E10value_typeET2_T3_PNSI_ISN_E10value_typeET4_T5_PSS_ST_PNS1_23onesweep_lookback_stateEbbT6_jjT7_P12ihipStream_tbENKUlT_T0_SH_SM_E_clISA_SB_SC_SC_EEDaS10_S11_SH_SM_EUlS10_E_NS1_11comp_targetILNS1_3genE10ELNS1_11target_archE1201ELNS1_3gpuE5ELNS1_3repE0EEENS1_47radix_sort_onesweep_sort_config_static_selectorELNS0_4arch9wavefront6targetE0EEEvSH_.num_agpr, 0
	.set _ZN7rocprim17ROCPRIM_400000_NS6detail17trampoline_kernelINS0_14default_configENS1_35radix_sort_onesweep_config_selectorI12hip_bfloat16NS0_10empty_typeEEEZZNS1_29radix_sort_onesweep_iterationIS3_Lb1EPKS5_PS5_PS6_SC_mNS0_19identity_decomposerENS1_16block_id_wrapperIjLb1EEEEE10hipError_tT1_PNSt15iterator_traitsISH_E10value_typeET2_T3_PNSI_ISN_E10value_typeET4_T5_PSS_ST_PNS1_23onesweep_lookback_stateEbbT6_jjT7_P12ihipStream_tbENKUlT_T0_SH_SM_E_clISA_SB_SC_SC_EEDaS10_S11_SH_SM_EUlS10_E_NS1_11comp_targetILNS1_3genE10ELNS1_11target_archE1201ELNS1_3gpuE5ELNS1_3repE0EEENS1_47radix_sort_onesweep_sort_config_static_selectorELNS0_4arch9wavefront6targetE0EEEvSH_.numbered_sgpr, 0
	.set _ZN7rocprim17ROCPRIM_400000_NS6detail17trampoline_kernelINS0_14default_configENS1_35radix_sort_onesweep_config_selectorI12hip_bfloat16NS0_10empty_typeEEEZZNS1_29radix_sort_onesweep_iterationIS3_Lb1EPKS5_PS5_PS6_SC_mNS0_19identity_decomposerENS1_16block_id_wrapperIjLb1EEEEE10hipError_tT1_PNSt15iterator_traitsISH_E10value_typeET2_T3_PNSI_ISN_E10value_typeET4_T5_PSS_ST_PNS1_23onesweep_lookback_stateEbbT6_jjT7_P12ihipStream_tbENKUlT_T0_SH_SM_E_clISA_SB_SC_SC_EEDaS10_S11_SH_SM_EUlS10_E_NS1_11comp_targetILNS1_3genE10ELNS1_11target_archE1201ELNS1_3gpuE5ELNS1_3repE0EEENS1_47radix_sort_onesweep_sort_config_static_selectorELNS0_4arch9wavefront6targetE0EEEvSH_.num_named_barrier, 0
	.set _ZN7rocprim17ROCPRIM_400000_NS6detail17trampoline_kernelINS0_14default_configENS1_35radix_sort_onesweep_config_selectorI12hip_bfloat16NS0_10empty_typeEEEZZNS1_29radix_sort_onesweep_iterationIS3_Lb1EPKS5_PS5_PS6_SC_mNS0_19identity_decomposerENS1_16block_id_wrapperIjLb1EEEEE10hipError_tT1_PNSt15iterator_traitsISH_E10value_typeET2_T3_PNSI_ISN_E10value_typeET4_T5_PSS_ST_PNS1_23onesweep_lookback_stateEbbT6_jjT7_P12ihipStream_tbENKUlT_T0_SH_SM_E_clISA_SB_SC_SC_EEDaS10_S11_SH_SM_EUlS10_E_NS1_11comp_targetILNS1_3genE10ELNS1_11target_archE1201ELNS1_3gpuE5ELNS1_3repE0EEENS1_47radix_sort_onesweep_sort_config_static_selectorELNS0_4arch9wavefront6targetE0EEEvSH_.private_seg_size, 0
	.set _ZN7rocprim17ROCPRIM_400000_NS6detail17trampoline_kernelINS0_14default_configENS1_35radix_sort_onesweep_config_selectorI12hip_bfloat16NS0_10empty_typeEEEZZNS1_29radix_sort_onesweep_iterationIS3_Lb1EPKS5_PS5_PS6_SC_mNS0_19identity_decomposerENS1_16block_id_wrapperIjLb1EEEEE10hipError_tT1_PNSt15iterator_traitsISH_E10value_typeET2_T3_PNSI_ISN_E10value_typeET4_T5_PSS_ST_PNS1_23onesweep_lookback_stateEbbT6_jjT7_P12ihipStream_tbENKUlT_T0_SH_SM_E_clISA_SB_SC_SC_EEDaS10_S11_SH_SM_EUlS10_E_NS1_11comp_targetILNS1_3genE10ELNS1_11target_archE1201ELNS1_3gpuE5ELNS1_3repE0EEENS1_47radix_sort_onesweep_sort_config_static_selectorELNS0_4arch9wavefront6targetE0EEEvSH_.uses_vcc, 0
	.set _ZN7rocprim17ROCPRIM_400000_NS6detail17trampoline_kernelINS0_14default_configENS1_35radix_sort_onesweep_config_selectorI12hip_bfloat16NS0_10empty_typeEEEZZNS1_29radix_sort_onesweep_iterationIS3_Lb1EPKS5_PS5_PS6_SC_mNS0_19identity_decomposerENS1_16block_id_wrapperIjLb1EEEEE10hipError_tT1_PNSt15iterator_traitsISH_E10value_typeET2_T3_PNSI_ISN_E10value_typeET4_T5_PSS_ST_PNS1_23onesweep_lookback_stateEbbT6_jjT7_P12ihipStream_tbENKUlT_T0_SH_SM_E_clISA_SB_SC_SC_EEDaS10_S11_SH_SM_EUlS10_E_NS1_11comp_targetILNS1_3genE10ELNS1_11target_archE1201ELNS1_3gpuE5ELNS1_3repE0EEENS1_47radix_sort_onesweep_sort_config_static_selectorELNS0_4arch9wavefront6targetE0EEEvSH_.uses_flat_scratch, 0
	.set _ZN7rocprim17ROCPRIM_400000_NS6detail17trampoline_kernelINS0_14default_configENS1_35radix_sort_onesweep_config_selectorI12hip_bfloat16NS0_10empty_typeEEEZZNS1_29radix_sort_onesweep_iterationIS3_Lb1EPKS5_PS5_PS6_SC_mNS0_19identity_decomposerENS1_16block_id_wrapperIjLb1EEEEE10hipError_tT1_PNSt15iterator_traitsISH_E10value_typeET2_T3_PNSI_ISN_E10value_typeET4_T5_PSS_ST_PNS1_23onesweep_lookback_stateEbbT6_jjT7_P12ihipStream_tbENKUlT_T0_SH_SM_E_clISA_SB_SC_SC_EEDaS10_S11_SH_SM_EUlS10_E_NS1_11comp_targetILNS1_3genE10ELNS1_11target_archE1201ELNS1_3gpuE5ELNS1_3repE0EEENS1_47radix_sort_onesweep_sort_config_static_selectorELNS0_4arch9wavefront6targetE0EEEvSH_.has_dyn_sized_stack, 0
	.set _ZN7rocprim17ROCPRIM_400000_NS6detail17trampoline_kernelINS0_14default_configENS1_35radix_sort_onesweep_config_selectorI12hip_bfloat16NS0_10empty_typeEEEZZNS1_29radix_sort_onesweep_iterationIS3_Lb1EPKS5_PS5_PS6_SC_mNS0_19identity_decomposerENS1_16block_id_wrapperIjLb1EEEEE10hipError_tT1_PNSt15iterator_traitsISH_E10value_typeET2_T3_PNSI_ISN_E10value_typeET4_T5_PSS_ST_PNS1_23onesweep_lookback_stateEbbT6_jjT7_P12ihipStream_tbENKUlT_T0_SH_SM_E_clISA_SB_SC_SC_EEDaS10_S11_SH_SM_EUlS10_E_NS1_11comp_targetILNS1_3genE10ELNS1_11target_archE1201ELNS1_3gpuE5ELNS1_3repE0EEENS1_47radix_sort_onesweep_sort_config_static_selectorELNS0_4arch9wavefront6targetE0EEEvSH_.has_recursion, 0
	.set _ZN7rocprim17ROCPRIM_400000_NS6detail17trampoline_kernelINS0_14default_configENS1_35radix_sort_onesweep_config_selectorI12hip_bfloat16NS0_10empty_typeEEEZZNS1_29radix_sort_onesweep_iterationIS3_Lb1EPKS5_PS5_PS6_SC_mNS0_19identity_decomposerENS1_16block_id_wrapperIjLb1EEEEE10hipError_tT1_PNSt15iterator_traitsISH_E10value_typeET2_T3_PNSI_ISN_E10value_typeET4_T5_PSS_ST_PNS1_23onesweep_lookback_stateEbbT6_jjT7_P12ihipStream_tbENKUlT_T0_SH_SM_E_clISA_SB_SC_SC_EEDaS10_S11_SH_SM_EUlS10_E_NS1_11comp_targetILNS1_3genE10ELNS1_11target_archE1201ELNS1_3gpuE5ELNS1_3repE0EEENS1_47radix_sort_onesweep_sort_config_static_selectorELNS0_4arch9wavefront6targetE0EEEvSH_.has_indirect_call, 0
	.section	.AMDGPU.csdata,"",@progbits
; Kernel info:
; codeLenInByte = 0
; TotalNumSgprs: 0
; NumVgprs: 0
; ScratchSize: 0
; MemoryBound: 0
; FloatMode: 240
; IeeeMode: 1
; LDSByteSize: 0 bytes/workgroup (compile time only)
; SGPRBlocks: 0
; VGPRBlocks: 0
; NumSGPRsForWavesPerEU: 1
; NumVGPRsForWavesPerEU: 1
; NamedBarCnt: 0
; Occupancy: 16
; WaveLimiterHint : 0
; COMPUTE_PGM_RSRC2:SCRATCH_EN: 0
; COMPUTE_PGM_RSRC2:USER_SGPR: 2
; COMPUTE_PGM_RSRC2:TRAP_HANDLER: 0
; COMPUTE_PGM_RSRC2:TGID_X_EN: 1
; COMPUTE_PGM_RSRC2:TGID_Y_EN: 0
; COMPUTE_PGM_RSRC2:TGID_Z_EN: 0
; COMPUTE_PGM_RSRC2:TIDIG_COMP_CNT: 0
	.section	.text._ZN7rocprim17ROCPRIM_400000_NS6detail17trampoline_kernelINS0_14default_configENS1_35radix_sort_onesweep_config_selectorI12hip_bfloat16NS0_10empty_typeEEEZZNS1_29radix_sort_onesweep_iterationIS3_Lb1EPKS5_PS5_PS6_SC_mNS0_19identity_decomposerENS1_16block_id_wrapperIjLb1EEEEE10hipError_tT1_PNSt15iterator_traitsISH_E10value_typeET2_T3_PNSI_ISN_E10value_typeET4_T5_PSS_ST_PNS1_23onesweep_lookback_stateEbbT6_jjT7_P12ihipStream_tbENKUlT_T0_SH_SM_E_clISA_SB_SC_SC_EEDaS10_S11_SH_SM_EUlS10_E_NS1_11comp_targetILNS1_3genE9ELNS1_11target_archE1100ELNS1_3gpuE3ELNS1_3repE0EEENS1_47radix_sort_onesweep_sort_config_static_selectorELNS0_4arch9wavefront6targetE0EEEvSH_,"axG",@progbits,_ZN7rocprim17ROCPRIM_400000_NS6detail17trampoline_kernelINS0_14default_configENS1_35radix_sort_onesweep_config_selectorI12hip_bfloat16NS0_10empty_typeEEEZZNS1_29radix_sort_onesweep_iterationIS3_Lb1EPKS5_PS5_PS6_SC_mNS0_19identity_decomposerENS1_16block_id_wrapperIjLb1EEEEE10hipError_tT1_PNSt15iterator_traitsISH_E10value_typeET2_T3_PNSI_ISN_E10value_typeET4_T5_PSS_ST_PNS1_23onesweep_lookback_stateEbbT6_jjT7_P12ihipStream_tbENKUlT_T0_SH_SM_E_clISA_SB_SC_SC_EEDaS10_S11_SH_SM_EUlS10_E_NS1_11comp_targetILNS1_3genE9ELNS1_11target_archE1100ELNS1_3gpuE3ELNS1_3repE0EEENS1_47radix_sort_onesweep_sort_config_static_selectorELNS0_4arch9wavefront6targetE0EEEvSH_,comdat
	.protected	_ZN7rocprim17ROCPRIM_400000_NS6detail17trampoline_kernelINS0_14default_configENS1_35radix_sort_onesweep_config_selectorI12hip_bfloat16NS0_10empty_typeEEEZZNS1_29radix_sort_onesweep_iterationIS3_Lb1EPKS5_PS5_PS6_SC_mNS0_19identity_decomposerENS1_16block_id_wrapperIjLb1EEEEE10hipError_tT1_PNSt15iterator_traitsISH_E10value_typeET2_T3_PNSI_ISN_E10value_typeET4_T5_PSS_ST_PNS1_23onesweep_lookback_stateEbbT6_jjT7_P12ihipStream_tbENKUlT_T0_SH_SM_E_clISA_SB_SC_SC_EEDaS10_S11_SH_SM_EUlS10_E_NS1_11comp_targetILNS1_3genE9ELNS1_11target_archE1100ELNS1_3gpuE3ELNS1_3repE0EEENS1_47radix_sort_onesweep_sort_config_static_selectorELNS0_4arch9wavefront6targetE0EEEvSH_ ; -- Begin function _ZN7rocprim17ROCPRIM_400000_NS6detail17trampoline_kernelINS0_14default_configENS1_35radix_sort_onesweep_config_selectorI12hip_bfloat16NS0_10empty_typeEEEZZNS1_29radix_sort_onesweep_iterationIS3_Lb1EPKS5_PS5_PS6_SC_mNS0_19identity_decomposerENS1_16block_id_wrapperIjLb1EEEEE10hipError_tT1_PNSt15iterator_traitsISH_E10value_typeET2_T3_PNSI_ISN_E10value_typeET4_T5_PSS_ST_PNS1_23onesweep_lookback_stateEbbT6_jjT7_P12ihipStream_tbENKUlT_T0_SH_SM_E_clISA_SB_SC_SC_EEDaS10_S11_SH_SM_EUlS10_E_NS1_11comp_targetILNS1_3genE9ELNS1_11target_archE1100ELNS1_3gpuE3ELNS1_3repE0EEENS1_47radix_sort_onesweep_sort_config_static_selectorELNS0_4arch9wavefront6targetE0EEEvSH_
	.globl	_ZN7rocprim17ROCPRIM_400000_NS6detail17trampoline_kernelINS0_14default_configENS1_35radix_sort_onesweep_config_selectorI12hip_bfloat16NS0_10empty_typeEEEZZNS1_29radix_sort_onesweep_iterationIS3_Lb1EPKS5_PS5_PS6_SC_mNS0_19identity_decomposerENS1_16block_id_wrapperIjLb1EEEEE10hipError_tT1_PNSt15iterator_traitsISH_E10value_typeET2_T3_PNSI_ISN_E10value_typeET4_T5_PSS_ST_PNS1_23onesweep_lookback_stateEbbT6_jjT7_P12ihipStream_tbENKUlT_T0_SH_SM_E_clISA_SB_SC_SC_EEDaS10_S11_SH_SM_EUlS10_E_NS1_11comp_targetILNS1_3genE9ELNS1_11target_archE1100ELNS1_3gpuE3ELNS1_3repE0EEENS1_47radix_sort_onesweep_sort_config_static_selectorELNS0_4arch9wavefront6targetE0EEEvSH_
	.p2align	8
	.type	_ZN7rocprim17ROCPRIM_400000_NS6detail17trampoline_kernelINS0_14default_configENS1_35radix_sort_onesweep_config_selectorI12hip_bfloat16NS0_10empty_typeEEEZZNS1_29radix_sort_onesweep_iterationIS3_Lb1EPKS5_PS5_PS6_SC_mNS0_19identity_decomposerENS1_16block_id_wrapperIjLb1EEEEE10hipError_tT1_PNSt15iterator_traitsISH_E10value_typeET2_T3_PNSI_ISN_E10value_typeET4_T5_PSS_ST_PNS1_23onesweep_lookback_stateEbbT6_jjT7_P12ihipStream_tbENKUlT_T0_SH_SM_E_clISA_SB_SC_SC_EEDaS10_S11_SH_SM_EUlS10_E_NS1_11comp_targetILNS1_3genE9ELNS1_11target_archE1100ELNS1_3gpuE3ELNS1_3repE0EEENS1_47radix_sort_onesweep_sort_config_static_selectorELNS0_4arch9wavefront6targetE0EEEvSH_,@function
_ZN7rocprim17ROCPRIM_400000_NS6detail17trampoline_kernelINS0_14default_configENS1_35radix_sort_onesweep_config_selectorI12hip_bfloat16NS0_10empty_typeEEEZZNS1_29radix_sort_onesweep_iterationIS3_Lb1EPKS5_PS5_PS6_SC_mNS0_19identity_decomposerENS1_16block_id_wrapperIjLb1EEEEE10hipError_tT1_PNSt15iterator_traitsISH_E10value_typeET2_T3_PNSI_ISN_E10value_typeET4_T5_PSS_ST_PNS1_23onesweep_lookback_stateEbbT6_jjT7_P12ihipStream_tbENKUlT_T0_SH_SM_E_clISA_SB_SC_SC_EEDaS10_S11_SH_SM_EUlS10_E_NS1_11comp_targetILNS1_3genE9ELNS1_11target_archE1100ELNS1_3gpuE3ELNS1_3repE0EEENS1_47radix_sort_onesweep_sort_config_static_selectorELNS0_4arch9wavefront6targetE0EEEvSH_: ; @_ZN7rocprim17ROCPRIM_400000_NS6detail17trampoline_kernelINS0_14default_configENS1_35radix_sort_onesweep_config_selectorI12hip_bfloat16NS0_10empty_typeEEEZZNS1_29radix_sort_onesweep_iterationIS3_Lb1EPKS5_PS5_PS6_SC_mNS0_19identity_decomposerENS1_16block_id_wrapperIjLb1EEEEE10hipError_tT1_PNSt15iterator_traitsISH_E10value_typeET2_T3_PNSI_ISN_E10value_typeET4_T5_PSS_ST_PNS1_23onesweep_lookback_stateEbbT6_jjT7_P12ihipStream_tbENKUlT_T0_SH_SM_E_clISA_SB_SC_SC_EEDaS10_S11_SH_SM_EUlS10_E_NS1_11comp_targetILNS1_3genE9ELNS1_11target_archE1100ELNS1_3gpuE3ELNS1_3repE0EEENS1_47radix_sort_onesweep_sort_config_static_selectorELNS0_4arch9wavefront6targetE0EEEvSH_
; %bb.0:
	.section	.rodata,"a",@progbits
	.p2align	6, 0x0
	.amdhsa_kernel _ZN7rocprim17ROCPRIM_400000_NS6detail17trampoline_kernelINS0_14default_configENS1_35radix_sort_onesweep_config_selectorI12hip_bfloat16NS0_10empty_typeEEEZZNS1_29radix_sort_onesweep_iterationIS3_Lb1EPKS5_PS5_PS6_SC_mNS0_19identity_decomposerENS1_16block_id_wrapperIjLb1EEEEE10hipError_tT1_PNSt15iterator_traitsISH_E10value_typeET2_T3_PNSI_ISN_E10value_typeET4_T5_PSS_ST_PNS1_23onesweep_lookback_stateEbbT6_jjT7_P12ihipStream_tbENKUlT_T0_SH_SM_E_clISA_SB_SC_SC_EEDaS10_S11_SH_SM_EUlS10_E_NS1_11comp_targetILNS1_3genE9ELNS1_11target_archE1100ELNS1_3gpuE3ELNS1_3repE0EEENS1_47radix_sort_onesweep_sort_config_static_selectorELNS0_4arch9wavefront6targetE0EEEvSH_
		.amdhsa_group_segment_fixed_size 0
		.amdhsa_private_segment_fixed_size 0
		.amdhsa_kernarg_size 88
		.amdhsa_user_sgpr_count 2
		.amdhsa_user_sgpr_dispatch_ptr 0
		.amdhsa_user_sgpr_queue_ptr 0
		.amdhsa_user_sgpr_kernarg_segment_ptr 1
		.amdhsa_user_sgpr_dispatch_id 0
		.amdhsa_user_sgpr_kernarg_preload_length 0
		.amdhsa_user_sgpr_kernarg_preload_offset 0
		.amdhsa_user_sgpr_private_segment_size 0
		.amdhsa_wavefront_size32 1
		.amdhsa_uses_dynamic_stack 0
		.amdhsa_enable_private_segment 0
		.amdhsa_system_sgpr_workgroup_id_x 1
		.amdhsa_system_sgpr_workgroup_id_y 0
		.amdhsa_system_sgpr_workgroup_id_z 0
		.amdhsa_system_sgpr_workgroup_info 0
		.amdhsa_system_vgpr_workitem_id 0
		.amdhsa_next_free_vgpr 1
		.amdhsa_next_free_sgpr 1
		.amdhsa_named_barrier_count 0
		.amdhsa_reserve_vcc 0
		.amdhsa_float_round_mode_32 0
		.amdhsa_float_round_mode_16_64 0
		.amdhsa_float_denorm_mode_32 3
		.amdhsa_float_denorm_mode_16_64 3
		.amdhsa_fp16_overflow 0
		.amdhsa_memory_ordered 1
		.amdhsa_forward_progress 1
		.amdhsa_inst_pref_size 0
		.amdhsa_round_robin_scheduling 0
		.amdhsa_exception_fp_ieee_invalid_op 0
		.amdhsa_exception_fp_denorm_src 0
		.amdhsa_exception_fp_ieee_div_zero 0
		.amdhsa_exception_fp_ieee_overflow 0
		.amdhsa_exception_fp_ieee_underflow 0
		.amdhsa_exception_fp_ieee_inexact 0
		.amdhsa_exception_int_div_zero 0
	.end_amdhsa_kernel
	.section	.text._ZN7rocprim17ROCPRIM_400000_NS6detail17trampoline_kernelINS0_14default_configENS1_35radix_sort_onesweep_config_selectorI12hip_bfloat16NS0_10empty_typeEEEZZNS1_29radix_sort_onesweep_iterationIS3_Lb1EPKS5_PS5_PS6_SC_mNS0_19identity_decomposerENS1_16block_id_wrapperIjLb1EEEEE10hipError_tT1_PNSt15iterator_traitsISH_E10value_typeET2_T3_PNSI_ISN_E10value_typeET4_T5_PSS_ST_PNS1_23onesweep_lookback_stateEbbT6_jjT7_P12ihipStream_tbENKUlT_T0_SH_SM_E_clISA_SB_SC_SC_EEDaS10_S11_SH_SM_EUlS10_E_NS1_11comp_targetILNS1_3genE9ELNS1_11target_archE1100ELNS1_3gpuE3ELNS1_3repE0EEENS1_47radix_sort_onesweep_sort_config_static_selectorELNS0_4arch9wavefront6targetE0EEEvSH_,"axG",@progbits,_ZN7rocprim17ROCPRIM_400000_NS6detail17trampoline_kernelINS0_14default_configENS1_35radix_sort_onesweep_config_selectorI12hip_bfloat16NS0_10empty_typeEEEZZNS1_29radix_sort_onesweep_iterationIS3_Lb1EPKS5_PS5_PS6_SC_mNS0_19identity_decomposerENS1_16block_id_wrapperIjLb1EEEEE10hipError_tT1_PNSt15iterator_traitsISH_E10value_typeET2_T3_PNSI_ISN_E10value_typeET4_T5_PSS_ST_PNS1_23onesweep_lookback_stateEbbT6_jjT7_P12ihipStream_tbENKUlT_T0_SH_SM_E_clISA_SB_SC_SC_EEDaS10_S11_SH_SM_EUlS10_E_NS1_11comp_targetILNS1_3genE9ELNS1_11target_archE1100ELNS1_3gpuE3ELNS1_3repE0EEENS1_47radix_sort_onesweep_sort_config_static_selectorELNS0_4arch9wavefront6targetE0EEEvSH_,comdat
.Lfunc_end1971:
	.size	_ZN7rocprim17ROCPRIM_400000_NS6detail17trampoline_kernelINS0_14default_configENS1_35radix_sort_onesweep_config_selectorI12hip_bfloat16NS0_10empty_typeEEEZZNS1_29radix_sort_onesweep_iterationIS3_Lb1EPKS5_PS5_PS6_SC_mNS0_19identity_decomposerENS1_16block_id_wrapperIjLb1EEEEE10hipError_tT1_PNSt15iterator_traitsISH_E10value_typeET2_T3_PNSI_ISN_E10value_typeET4_T5_PSS_ST_PNS1_23onesweep_lookback_stateEbbT6_jjT7_P12ihipStream_tbENKUlT_T0_SH_SM_E_clISA_SB_SC_SC_EEDaS10_S11_SH_SM_EUlS10_E_NS1_11comp_targetILNS1_3genE9ELNS1_11target_archE1100ELNS1_3gpuE3ELNS1_3repE0EEENS1_47radix_sort_onesweep_sort_config_static_selectorELNS0_4arch9wavefront6targetE0EEEvSH_, .Lfunc_end1971-_ZN7rocprim17ROCPRIM_400000_NS6detail17trampoline_kernelINS0_14default_configENS1_35radix_sort_onesweep_config_selectorI12hip_bfloat16NS0_10empty_typeEEEZZNS1_29radix_sort_onesweep_iterationIS3_Lb1EPKS5_PS5_PS6_SC_mNS0_19identity_decomposerENS1_16block_id_wrapperIjLb1EEEEE10hipError_tT1_PNSt15iterator_traitsISH_E10value_typeET2_T3_PNSI_ISN_E10value_typeET4_T5_PSS_ST_PNS1_23onesweep_lookback_stateEbbT6_jjT7_P12ihipStream_tbENKUlT_T0_SH_SM_E_clISA_SB_SC_SC_EEDaS10_S11_SH_SM_EUlS10_E_NS1_11comp_targetILNS1_3genE9ELNS1_11target_archE1100ELNS1_3gpuE3ELNS1_3repE0EEENS1_47radix_sort_onesweep_sort_config_static_selectorELNS0_4arch9wavefront6targetE0EEEvSH_
                                        ; -- End function
	.set _ZN7rocprim17ROCPRIM_400000_NS6detail17trampoline_kernelINS0_14default_configENS1_35radix_sort_onesweep_config_selectorI12hip_bfloat16NS0_10empty_typeEEEZZNS1_29radix_sort_onesweep_iterationIS3_Lb1EPKS5_PS5_PS6_SC_mNS0_19identity_decomposerENS1_16block_id_wrapperIjLb1EEEEE10hipError_tT1_PNSt15iterator_traitsISH_E10value_typeET2_T3_PNSI_ISN_E10value_typeET4_T5_PSS_ST_PNS1_23onesweep_lookback_stateEbbT6_jjT7_P12ihipStream_tbENKUlT_T0_SH_SM_E_clISA_SB_SC_SC_EEDaS10_S11_SH_SM_EUlS10_E_NS1_11comp_targetILNS1_3genE9ELNS1_11target_archE1100ELNS1_3gpuE3ELNS1_3repE0EEENS1_47radix_sort_onesweep_sort_config_static_selectorELNS0_4arch9wavefront6targetE0EEEvSH_.num_vgpr, 0
	.set _ZN7rocprim17ROCPRIM_400000_NS6detail17trampoline_kernelINS0_14default_configENS1_35radix_sort_onesweep_config_selectorI12hip_bfloat16NS0_10empty_typeEEEZZNS1_29radix_sort_onesweep_iterationIS3_Lb1EPKS5_PS5_PS6_SC_mNS0_19identity_decomposerENS1_16block_id_wrapperIjLb1EEEEE10hipError_tT1_PNSt15iterator_traitsISH_E10value_typeET2_T3_PNSI_ISN_E10value_typeET4_T5_PSS_ST_PNS1_23onesweep_lookback_stateEbbT6_jjT7_P12ihipStream_tbENKUlT_T0_SH_SM_E_clISA_SB_SC_SC_EEDaS10_S11_SH_SM_EUlS10_E_NS1_11comp_targetILNS1_3genE9ELNS1_11target_archE1100ELNS1_3gpuE3ELNS1_3repE0EEENS1_47radix_sort_onesweep_sort_config_static_selectorELNS0_4arch9wavefront6targetE0EEEvSH_.num_agpr, 0
	.set _ZN7rocprim17ROCPRIM_400000_NS6detail17trampoline_kernelINS0_14default_configENS1_35radix_sort_onesweep_config_selectorI12hip_bfloat16NS0_10empty_typeEEEZZNS1_29radix_sort_onesweep_iterationIS3_Lb1EPKS5_PS5_PS6_SC_mNS0_19identity_decomposerENS1_16block_id_wrapperIjLb1EEEEE10hipError_tT1_PNSt15iterator_traitsISH_E10value_typeET2_T3_PNSI_ISN_E10value_typeET4_T5_PSS_ST_PNS1_23onesweep_lookback_stateEbbT6_jjT7_P12ihipStream_tbENKUlT_T0_SH_SM_E_clISA_SB_SC_SC_EEDaS10_S11_SH_SM_EUlS10_E_NS1_11comp_targetILNS1_3genE9ELNS1_11target_archE1100ELNS1_3gpuE3ELNS1_3repE0EEENS1_47radix_sort_onesweep_sort_config_static_selectorELNS0_4arch9wavefront6targetE0EEEvSH_.numbered_sgpr, 0
	.set _ZN7rocprim17ROCPRIM_400000_NS6detail17trampoline_kernelINS0_14default_configENS1_35radix_sort_onesweep_config_selectorI12hip_bfloat16NS0_10empty_typeEEEZZNS1_29radix_sort_onesweep_iterationIS3_Lb1EPKS5_PS5_PS6_SC_mNS0_19identity_decomposerENS1_16block_id_wrapperIjLb1EEEEE10hipError_tT1_PNSt15iterator_traitsISH_E10value_typeET2_T3_PNSI_ISN_E10value_typeET4_T5_PSS_ST_PNS1_23onesweep_lookback_stateEbbT6_jjT7_P12ihipStream_tbENKUlT_T0_SH_SM_E_clISA_SB_SC_SC_EEDaS10_S11_SH_SM_EUlS10_E_NS1_11comp_targetILNS1_3genE9ELNS1_11target_archE1100ELNS1_3gpuE3ELNS1_3repE0EEENS1_47radix_sort_onesweep_sort_config_static_selectorELNS0_4arch9wavefront6targetE0EEEvSH_.num_named_barrier, 0
	.set _ZN7rocprim17ROCPRIM_400000_NS6detail17trampoline_kernelINS0_14default_configENS1_35radix_sort_onesweep_config_selectorI12hip_bfloat16NS0_10empty_typeEEEZZNS1_29radix_sort_onesweep_iterationIS3_Lb1EPKS5_PS5_PS6_SC_mNS0_19identity_decomposerENS1_16block_id_wrapperIjLb1EEEEE10hipError_tT1_PNSt15iterator_traitsISH_E10value_typeET2_T3_PNSI_ISN_E10value_typeET4_T5_PSS_ST_PNS1_23onesweep_lookback_stateEbbT6_jjT7_P12ihipStream_tbENKUlT_T0_SH_SM_E_clISA_SB_SC_SC_EEDaS10_S11_SH_SM_EUlS10_E_NS1_11comp_targetILNS1_3genE9ELNS1_11target_archE1100ELNS1_3gpuE3ELNS1_3repE0EEENS1_47radix_sort_onesweep_sort_config_static_selectorELNS0_4arch9wavefront6targetE0EEEvSH_.private_seg_size, 0
	.set _ZN7rocprim17ROCPRIM_400000_NS6detail17trampoline_kernelINS0_14default_configENS1_35radix_sort_onesweep_config_selectorI12hip_bfloat16NS0_10empty_typeEEEZZNS1_29radix_sort_onesweep_iterationIS3_Lb1EPKS5_PS5_PS6_SC_mNS0_19identity_decomposerENS1_16block_id_wrapperIjLb1EEEEE10hipError_tT1_PNSt15iterator_traitsISH_E10value_typeET2_T3_PNSI_ISN_E10value_typeET4_T5_PSS_ST_PNS1_23onesweep_lookback_stateEbbT6_jjT7_P12ihipStream_tbENKUlT_T0_SH_SM_E_clISA_SB_SC_SC_EEDaS10_S11_SH_SM_EUlS10_E_NS1_11comp_targetILNS1_3genE9ELNS1_11target_archE1100ELNS1_3gpuE3ELNS1_3repE0EEENS1_47radix_sort_onesweep_sort_config_static_selectorELNS0_4arch9wavefront6targetE0EEEvSH_.uses_vcc, 0
	.set _ZN7rocprim17ROCPRIM_400000_NS6detail17trampoline_kernelINS0_14default_configENS1_35radix_sort_onesweep_config_selectorI12hip_bfloat16NS0_10empty_typeEEEZZNS1_29radix_sort_onesweep_iterationIS3_Lb1EPKS5_PS5_PS6_SC_mNS0_19identity_decomposerENS1_16block_id_wrapperIjLb1EEEEE10hipError_tT1_PNSt15iterator_traitsISH_E10value_typeET2_T3_PNSI_ISN_E10value_typeET4_T5_PSS_ST_PNS1_23onesweep_lookback_stateEbbT6_jjT7_P12ihipStream_tbENKUlT_T0_SH_SM_E_clISA_SB_SC_SC_EEDaS10_S11_SH_SM_EUlS10_E_NS1_11comp_targetILNS1_3genE9ELNS1_11target_archE1100ELNS1_3gpuE3ELNS1_3repE0EEENS1_47radix_sort_onesweep_sort_config_static_selectorELNS0_4arch9wavefront6targetE0EEEvSH_.uses_flat_scratch, 0
	.set _ZN7rocprim17ROCPRIM_400000_NS6detail17trampoline_kernelINS0_14default_configENS1_35radix_sort_onesweep_config_selectorI12hip_bfloat16NS0_10empty_typeEEEZZNS1_29radix_sort_onesweep_iterationIS3_Lb1EPKS5_PS5_PS6_SC_mNS0_19identity_decomposerENS1_16block_id_wrapperIjLb1EEEEE10hipError_tT1_PNSt15iterator_traitsISH_E10value_typeET2_T3_PNSI_ISN_E10value_typeET4_T5_PSS_ST_PNS1_23onesweep_lookback_stateEbbT6_jjT7_P12ihipStream_tbENKUlT_T0_SH_SM_E_clISA_SB_SC_SC_EEDaS10_S11_SH_SM_EUlS10_E_NS1_11comp_targetILNS1_3genE9ELNS1_11target_archE1100ELNS1_3gpuE3ELNS1_3repE0EEENS1_47radix_sort_onesweep_sort_config_static_selectorELNS0_4arch9wavefront6targetE0EEEvSH_.has_dyn_sized_stack, 0
	.set _ZN7rocprim17ROCPRIM_400000_NS6detail17trampoline_kernelINS0_14default_configENS1_35radix_sort_onesweep_config_selectorI12hip_bfloat16NS0_10empty_typeEEEZZNS1_29radix_sort_onesweep_iterationIS3_Lb1EPKS5_PS5_PS6_SC_mNS0_19identity_decomposerENS1_16block_id_wrapperIjLb1EEEEE10hipError_tT1_PNSt15iterator_traitsISH_E10value_typeET2_T3_PNSI_ISN_E10value_typeET4_T5_PSS_ST_PNS1_23onesweep_lookback_stateEbbT6_jjT7_P12ihipStream_tbENKUlT_T0_SH_SM_E_clISA_SB_SC_SC_EEDaS10_S11_SH_SM_EUlS10_E_NS1_11comp_targetILNS1_3genE9ELNS1_11target_archE1100ELNS1_3gpuE3ELNS1_3repE0EEENS1_47radix_sort_onesweep_sort_config_static_selectorELNS0_4arch9wavefront6targetE0EEEvSH_.has_recursion, 0
	.set _ZN7rocprim17ROCPRIM_400000_NS6detail17trampoline_kernelINS0_14default_configENS1_35radix_sort_onesweep_config_selectorI12hip_bfloat16NS0_10empty_typeEEEZZNS1_29radix_sort_onesweep_iterationIS3_Lb1EPKS5_PS5_PS6_SC_mNS0_19identity_decomposerENS1_16block_id_wrapperIjLb1EEEEE10hipError_tT1_PNSt15iterator_traitsISH_E10value_typeET2_T3_PNSI_ISN_E10value_typeET4_T5_PSS_ST_PNS1_23onesweep_lookback_stateEbbT6_jjT7_P12ihipStream_tbENKUlT_T0_SH_SM_E_clISA_SB_SC_SC_EEDaS10_S11_SH_SM_EUlS10_E_NS1_11comp_targetILNS1_3genE9ELNS1_11target_archE1100ELNS1_3gpuE3ELNS1_3repE0EEENS1_47radix_sort_onesweep_sort_config_static_selectorELNS0_4arch9wavefront6targetE0EEEvSH_.has_indirect_call, 0
	.section	.AMDGPU.csdata,"",@progbits
; Kernel info:
; codeLenInByte = 0
; TotalNumSgprs: 0
; NumVgprs: 0
; ScratchSize: 0
; MemoryBound: 0
; FloatMode: 240
; IeeeMode: 1
; LDSByteSize: 0 bytes/workgroup (compile time only)
; SGPRBlocks: 0
; VGPRBlocks: 0
; NumSGPRsForWavesPerEU: 1
; NumVGPRsForWavesPerEU: 1
; NamedBarCnt: 0
; Occupancy: 16
; WaveLimiterHint : 0
; COMPUTE_PGM_RSRC2:SCRATCH_EN: 0
; COMPUTE_PGM_RSRC2:USER_SGPR: 2
; COMPUTE_PGM_RSRC2:TRAP_HANDLER: 0
; COMPUTE_PGM_RSRC2:TGID_X_EN: 1
; COMPUTE_PGM_RSRC2:TGID_Y_EN: 0
; COMPUTE_PGM_RSRC2:TGID_Z_EN: 0
; COMPUTE_PGM_RSRC2:TIDIG_COMP_CNT: 0
	.section	.text._ZN7rocprim17ROCPRIM_400000_NS6detail17trampoline_kernelINS0_14default_configENS1_35radix_sort_onesweep_config_selectorI12hip_bfloat16NS0_10empty_typeEEEZZNS1_29radix_sort_onesweep_iterationIS3_Lb1EPKS5_PS5_PS6_SC_mNS0_19identity_decomposerENS1_16block_id_wrapperIjLb1EEEEE10hipError_tT1_PNSt15iterator_traitsISH_E10value_typeET2_T3_PNSI_ISN_E10value_typeET4_T5_PSS_ST_PNS1_23onesweep_lookback_stateEbbT6_jjT7_P12ihipStream_tbENKUlT_T0_SH_SM_E_clISA_SB_SC_SC_EEDaS10_S11_SH_SM_EUlS10_E_NS1_11comp_targetILNS1_3genE8ELNS1_11target_archE1030ELNS1_3gpuE2ELNS1_3repE0EEENS1_47radix_sort_onesweep_sort_config_static_selectorELNS0_4arch9wavefront6targetE0EEEvSH_,"axG",@progbits,_ZN7rocprim17ROCPRIM_400000_NS6detail17trampoline_kernelINS0_14default_configENS1_35radix_sort_onesweep_config_selectorI12hip_bfloat16NS0_10empty_typeEEEZZNS1_29radix_sort_onesweep_iterationIS3_Lb1EPKS5_PS5_PS6_SC_mNS0_19identity_decomposerENS1_16block_id_wrapperIjLb1EEEEE10hipError_tT1_PNSt15iterator_traitsISH_E10value_typeET2_T3_PNSI_ISN_E10value_typeET4_T5_PSS_ST_PNS1_23onesweep_lookback_stateEbbT6_jjT7_P12ihipStream_tbENKUlT_T0_SH_SM_E_clISA_SB_SC_SC_EEDaS10_S11_SH_SM_EUlS10_E_NS1_11comp_targetILNS1_3genE8ELNS1_11target_archE1030ELNS1_3gpuE2ELNS1_3repE0EEENS1_47radix_sort_onesweep_sort_config_static_selectorELNS0_4arch9wavefront6targetE0EEEvSH_,comdat
	.protected	_ZN7rocprim17ROCPRIM_400000_NS6detail17trampoline_kernelINS0_14default_configENS1_35radix_sort_onesweep_config_selectorI12hip_bfloat16NS0_10empty_typeEEEZZNS1_29radix_sort_onesweep_iterationIS3_Lb1EPKS5_PS5_PS6_SC_mNS0_19identity_decomposerENS1_16block_id_wrapperIjLb1EEEEE10hipError_tT1_PNSt15iterator_traitsISH_E10value_typeET2_T3_PNSI_ISN_E10value_typeET4_T5_PSS_ST_PNS1_23onesweep_lookback_stateEbbT6_jjT7_P12ihipStream_tbENKUlT_T0_SH_SM_E_clISA_SB_SC_SC_EEDaS10_S11_SH_SM_EUlS10_E_NS1_11comp_targetILNS1_3genE8ELNS1_11target_archE1030ELNS1_3gpuE2ELNS1_3repE0EEENS1_47radix_sort_onesweep_sort_config_static_selectorELNS0_4arch9wavefront6targetE0EEEvSH_ ; -- Begin function _ZN7rocprim17ROCPRIM_400000_NS6detail17trampoline_kernelINS0_14default_configENS1_35radix_sort_onesweep_config_selectorI12hip_bfloat16NS0_10empty_typeEEEZZNS1_29radix_sort_onesweep_iterationIS3_Lb1EPKS5_PS5_PS6_SC_mNS0_19identity_decomposerENS1_16block_id_wrapperIjLb1EEEEE10hipError_tT1_PNSt15iterator_traitsISH_E10value_typeET2_T3_PNSI_ISN_E10value_typeET4_T5_PSS_ST_PNS1_23onesweep_lookback_stateEbbT6_jjT7_P12ihipStream_tbENKUlT_T0_SH_SM_E_clISA_SB_SC_SC_EEDaS10_S11_SH_SM_EUlS10_E_NS1_11comp_targetILNS1_3genE8ELNS1_11target_archE1030ELNS1_3gpuE2ELNS1_3repE0EEENS1_47radix_sort_onesweep_sort_config_static_selectorELNS0_4arch9wavefront6targetE0EEEvSH_
	.globl	_ZN7rocprim17ROCPRIM_400000_NS6detail17trampoline_kernelINS0_14default_configENS1_35radix_sort_onesweep_config_selectorI12hip_bfloat16NS0_10empty_typeEEEZZNS1_29radix_sort_onesweep_iterationIS3_Lb1EPKS5_PS5_PS6_SC_mNS0_19identity_decomposerENS1_16block_id_wrapperIjLb1EEEEE10hipError_tT1_PNSt15iterator_traitsISH_E10value_typeET2_T3_PNSI_ISN_E10value_typeET4_T5_PSS_ST_PNS1_23onesweep_lookback_stateEbbT6_jjT7_P12ihipStream_tbENKUlT_T0_SH_SM_E_clISA_SB_SC_SC_EEDaS10_S11_SH_SM_EUlS10_E_NS1_11comp_targetILNS1_3genE8ELNS1_11target_archE1030ELNS1_3gpuE2ELNS1_3repE0EEENS1_47radix_sort_onesweep_sort_config_static_selectorELNS0_4arch9wavefront6targetE0EEEvSH_
	.p2align	8
	.type	_ZN7rocprim17ROCPRIM_400000_NS6detail17trampoline_kernelINS0_14default_configENS1_35radix_sort_onesweep_config_selectorI12hip_bfloat16NS0_10empty_typeEEEZZNS1_29radix_sort_onesweep_iterationIS3_Lb1EPKS5_PS5_PS6_SC_mNS0_19identity_decomposerENS1_16block_id_wrapperIjLb1EEEEE10hipError_tT1_PNSt15iterator_traitsISH_E10value_typeET2_T3_PNSI_ISN_E10value_typeET4_T5_PSS_ST_PNS1_23onesweep_lookback_stateEbbT6_jjT7_P12ihipStream_tbENKUlT_T0_SH_SM_E_clISA_SB_SC_SC_EEDaS10_S11_SH_SM_EUlS10_E_NS1_11comp_targetILNS1_3genE8ELNS1_11target_archE1030ELNS1_3gpuE2ELNS1_3repE0EEENS1_47radix_sort_onesweep_sort_config_static_selectorELNS0_4arch9wavefront6targetE0EEEvSH_,@function
_ZN7rocprim17ROCPRIM_400000_NS6detail17trampoline_kernelINS0_14default_configENS1_35radix_sort_onesweep_config_selectorI12hip_bfloat16NS0_10empty_typeEEEZZNS1_29radix_sort_onesweep_iterationIS3_Lb1EPKS5_PS5_PS6_SC_mNS0_19identity_decomposerENS1_16block_id_wrapperIjLb1EEEEE10hipError_tT1_PNSt15iterator_traitsISH_E10value_typeET2_T3_PNSI_ISN_E10value_typeET4_T5_PSS_ST_PNS1_23onesweep_lookback_stateEbbT6_jjT7_P12ihipStream_tbENKUlT_T0_SH_SM_E_clISA_SB_SC_SC_EEDaS10_S11_SH_SM_EUlS10_E_NS1_11comp_targetILNS1_3genE8ELNS1_11target_archE1030ELNS1_3gpuE2ELNS1_3repE0EEENS1_47radix_sort_onesweep_sort_config_static_selectorELNS0_4arch9wavefront6targetE0EEEvSH_: ; @_ZN7rocprim17ROCPRIM_400000_NS6detail17trampoline_kernelINS0_14default_configENS1_35radix_sort_onesweep_config_selectorI12hip_bfloat16NS0_10empty_typeEEEZZNS1_29radix_sort_onesweep_iterationIS3_Lb1EPKS5_PS5_PS6_SC_mNS0_19identity_decomposerENS1_16block_id_wrapperIjLb1EEEEE10hipError_tT1_PNSt15iterator_traitsISH_E10value_typeET2_T3_PNSI_ISN_E10value_typeET4_T5_PSS_ST_PNS1_23onesweep_lookback_stateEbbT6_jjT7_P12ihipStream_tbENKUlT_T0_SH_SM_E_clISA_SB_SC_SC_EEDaS10_S11_SH_SM_EUlS10_E_NS1_11comp_targetILNS1_3genE8ELNS1_11target_archE1030ELNS1_3gpuE2ELNS1_3repE0EEENS1_47radix_sort_onesweep_sort_config_static_selectorELNS0_4arch9wavefront6targetE0EEEvSH_
; %bb.0:
	.section	.rodata,"a",@progbits
	.p2align	6, 0x0
	.amdhsa_kernel _ZN7rocprim17ROCPRIM_400000_NS6detail17trampoline_kernelINS0_14default_configENS1_35radix_sort_onesweep_config_selectorI12hip_bfloat16NS0_10empty_typeEEEZZNS1_29radix_sort_onesweep_iterationIS3_Lb1EPKS5_PS5_PS6_SC_mNS0_19identity_decomposerENS1_16block_id_wrapperIjLb1EEEEE10hipError_tT1_PNSt15iterator_traitsISH_E10value_typeET2_T3_PNSI_ISN_E10value_typeET4_T5_PSS_ST_PNS1_23onesweep_lookback_stateEbbT6_jjT7_P12ihipStream_tbENKUlT_T0_SH_SM_E_clISA_SB_SC_SC_EEDaS10_S11_SH_SM_EUlS10_E_NS1_11comp_targetILNS1_3genE8ELNS1_11target_archE1030ELNS1_3gpuE2ELNS1_3repE0EEENS1_47radix_sort_onesweep_sort_config_static_selectorELNS0_4arch9wavefront6targetE0EEEvSH_
		.amdhsa_group_segment_fixed_size 0
		.amdhsa_private_segment_fixed_size 0
		.amdhsa_kernarg_size 88
		.amdhsa_user_sgpr_count 2
		.amdhsa_user_sgpr_dispatch_ptr 0
		.amdhsa_user_sgpr_queue_ptr 0
		.amdhsa_user_sgpr_kernarg_segment_ptr 1
		.amdhsa_user_sgpr_dispatch_id 0
		.amdhsa_user_sgpr_kernarg_preload_length 0
		.amdhsa_user_sgpr_kernarg_preload_offset 0
		.amdhsa_user_sgpr_private_segment_size 0
		.amdhsa_wavefront_size32 1
		.amdhsa_uses_dynamic_stack 0
		.amdhsa_enable_private_segment 0
		.amdhsa_system_sgpr_workgroup_id_x 1
		.amdhsa_system_sgpr_workgroup_id_y 0
		.amdhsa_system_sgpr_workgroup_id_z 0
		.amdhsa_system_sgpr_workgroup_info 0
		.amdhsa_system_vgpr_workitem_id 0
		.amdhsa_next_free_vgpr 1
		.amdhsa_next_free_sgpr 1
		.amdhsa_named_barrier_count 0
		.amdhsa_reserve_vcc 0
		.amdhsa_float_round_mode_32 0
		.amdhsa_float_round_mode_16_64 0
		.amdhsa_float_denorm_mode_32 3
		.amdhsa_float_denorm_mode_16_64 3
		.amdhsa_fp16_overflow 0
		.amdhsa_memory_ordered 1
		.amdhsa_forward_progress 1
		.amdhsa_inst_pref_size 0
		.amdhsa_round_robin_scheduling 0
		.amdhsa_exception_fp_ieee_invalid_op 0
		.amdhsa_exception_fp_denorm_src 0
		.amdhsa_exception_fp_ieee_div_zero 0
		.amdhsa_exception_fp_ieee_overflow 0
		.amdhsa_exception_fp_ieee_underflow 0
		.amdhsa_exception_fp_ieee_inexact 0
		.amdhsa_exception_int_div_zero 0
	.end_amdhsa_kernel
	.section	.text._ZN7rocprim17ROCPRIM_400000_NS6detail17trampoline_kernelINS0_14default_configENS1_35radix_sort_onesweep_config_selectorI12hip_bfloat16NS0_10empty_typeEEEZZNS1_29radix_sort_onesweep_iterationIS3_Lb1EPKS5_PS5_PS6_SC_mNS0_19identity_decomposerENS1_16block_id_wrapperIjLb1EEEEE10hipError_tT1_PNSt15iterator_traitsISH_E10value_typeET2_T3_PNSI_ISN_E10value_typeET4_T5_PSS_ST_PNS1_23onesweep_lookback_stateEbbT6_jjT7_P12ihipStream_tbENKUlT_T0_SH_SM_E_clISA_SB_SC_SC_EEDaS10_S11_SH_SM_EUlS10_E_NS1_11comp_targetILNS1_3genE8ELNS1_11target_archE1030ELNS1_3gpuE2ELNS1_3repE0EEENS1_47radix_sort_onesweep_sort_config_static_selectorELNS0_4arch9wavefront6targetE0EEEvSH_,"axG",@progbits,_ZN7rocprim17ROCPRIM_400000_NS6detail17trampoline_kernelINS0_14default_configENS1_35radix_sort_onesweep_config_selectorI12hip_bfloat16NS0_10empty_typeEEEZZNS1_29radix_sort_onesweep_iterationIS3_Lb1EPKS5_PS5_PS6_SC_mNS0_19identity_decomposerENS1_16block_id_wrapperIjLb1EEEEE10hipError_tT1_PNSt15iterator_traitsISH_E10value_typeET2_T3_PNSI_ISN_E10value_typeET4_T5_PSS_ST_PNS1_23onesweep_lookback_stateEbbT6_jjT7_P12ihipStream_tbENKUlT_T0_SH_SM_E_clISA_SB_SC_SC_EEDaS10_S11_SH_SM_EUlS10_E_NS1_11comp_targetILNS1_3genE8ELNS1_11target_archE1030ELNS1_3gpuE2ELNS1_3repE0EEENS1_47radix_sort_onesweep_sort_config_static_selectorELNS0_4arch9wavefront6targetE0EEEvSH_,comdat
.Lfunc_end1972:
	.size	_ZN7rocprim17ROCPRIM_400000_NS6detail17trampoline_kernelINS0_14default_configENS1_35radix_sort_onesweep_config_selectorI12hip_bfloat16NS0_10empty_typeEEEZZNS1_29radix_sort_onesweep_iterationIS3_Lb1EPKS5_PS5_PS6_SC_mNS0_19identity_decomposerENS1_16block_id_wrapperIjLb1EEEEE10hipError_tT1_PNSt15iterator_traitsISH_E10value_typeET2_T3_PNSI_ISN_E10value_typeET4_T5_PSS_ST_PNS1_23onesweep_lookback_stateEbbT6_jjT7_P12ihipStream_tbENKUlT_T0_SH_SM_E_clISA_SB_SC_SC_EEDaS10_S11_SH_SM_EUlS10_E_NS1_11comp_targetILNS1_3genE8ELNS1_11target_archE1030ELNS1_3gpuE2ELNS1_3repE0EEENS1_47radix_sort_onesweep_sort_config_static_selectorELNS0_4arch9wavefront6targetE0EEEvSH_, .Lfunc_end1972-_ZN7rocprim17ROCPRIM_400000_NS6detail17trampoline_kernelINS0_14default_configENS1_35radix_sort_onesweep_config_selectorI12hip_bfloat16NS0_10empty_typeEEEZZNS1_29radix_sort_onesweep_iterationIS3_Lb1EPKS5_PS5_PS6_SC_mNS0_19identity_decomposerENS1_16block_id_wrapperIjLb1EEEEE10hipError_tT1_PNSt15iterator_traitsISH_E10value_typeET2_T3_PNSI_ISN_E10value_typeET4_T5_PSS_ST_PNS1_23onesweep_lookback_stateEbbT6_jjT7_P12ihipStream_tbENKUlT_T0_SH_SM_E_clISA_SB_SC_SC_EEDaS10_S11_SH_SM_EUlS10_E_NS1_11comp_targetILNS1_3genE8ELNS1_11target_archE1030ELNS1_3gpuE2ELNS1_3repE0EEENS1_47radix_sort_onesweep_sort_config_static_selectorELNS0_4arch9wavefront6targetE0EEEvSH_
                                        ; -- End function
	.set _ZN7rocprim17ROCPRIM_400000_NS6detail17trampoline_kernelINS0_14default_configENS1_35radix_sort_onesweep_config_selectorI12hip_bfloat16NS0_10empty_typeEEEZZNS1_29radix_sort_onesweep_iterationIS3_Lb1EPKS5_PS5_PS6_SC_mNS0_19identity_decomposerENS1_16block_id_wrapperIjLb1EEEEE10hipError_tT1_PNSt15iterator_traitsISH_E10value_typeET2_T3_PNSI_ISN_E10value_typeET4_T5_PSS_ST_PNS1_23onesweep_lookback_stateEbbT6_jjT7_P12ihipStream_tbENKUlT_T0_SH_SM_E_clISA_SB_SC_SC_EEDaS10_S11_SH_SM_EUlS10_E_NS1_11comp_targetILNS1_3genE8ELNS1_11target_archE1030ELNS1_3gpuE2ELNS1_3repE0EEENS1_47radix_sort_onesweep_sort_config_static_selectorELNS0_4arch9wavefront6targetE0EEEvSH_.num_vgpr, 0
	.set _ZN7rocprim17ROCPRIM_400000_NS6detail17trampoline_kernelINS0_14default_configENS1_35radix_sort_onesweep_config_selectorI12hip_bfloat16NS0_10empty_typeEEEZZNS1_29radix_sort_onesweep_iterationIS3_Lb1EPKS5_PS5_PS6_SC_mNS0_19identity_decomposerENS1_16block_id_wrapperIjLb1EEEEE10hipError_tT1_PNSt15iterator_traitsISH_E10value_typeET2_T3_PNSI_ISN_E10value_typeET4_T5_PSS_ST_PNS1_23onesweep_lookback_stateEbbT6_jjT7_P12ihipStream_tbENKUlT_T0_SH_SM_E_clISA_SB_SC_SC_EEDaS10_S11_SH_SM_EUlS10_E_NS1_11comp_targetILNS1_3genE8ELNS1_11target_archE1030ELNS1_3gpuE2ELNS1_3repE0EEENS1_47radix_sort_onesweep_sort_config_static_selectorELNS0_4arch9wavefront6targetE0EEEvSH_.num_agpr, 0
	.set _ZN7rocprim17ROCPRIM_400000_NS6detail17trampoline_kernelINS0_14default_configENS1_35radix_sort_onesweep_config_selectorI12hip_bfloat16NS0_10empty_typeEEEZZNS1_29radix_sort_onesweep_iterationIS3_Lb1EPKS5_PS5_PS6_SC_mNS0_19identity_decomposerENS1_16block_id_wrapperIjLb1EEEEE10hipError_tT1_PNSt15iterator_traitsISH_E10value_typeET2_T3_PNSI_ISN_E10value_typeET4_T5_PSS_ST_PNS1_23onesweep_lookback_stateEbbT6_jjT7_P12ihipStream_tbENKUlT_T0_SH_SM_E_clISA_SB_SC_SC_EEDaS10_S11_SH_SM_EUlS10_E_NS1_11comp_targetILNS1_3genE8ELNS1_11target_archE1030ELNS1_3gpuE2ELNS1_3repE0EEENS1_47radix_sort_onesweep_sort_config_static_selectorELNS0_4arch9wavefront6targetE0EEEvSH_.numbered_sgpr, 0
	.set _ZN7rocprim17ROCPRIM_400000_NS6detail17trampoline_kernelINS0_14default_configENS1_35radix_sort_onesweep_config_selectorI12hip_bfloat16NS0_10empty_typeEEEZZNS1_29radix_sort_onesweep_iterationIS3_Lb1EPKS5_PS5_PS6_SC_mNS0_19identity_decomposerENS1_16block_id_wrapperIjLb1EEEEE10hipError_tT1_PNSt15iterator_traitsISH_E10value_typeET2_T3_PNSI_ISN_E10value_typeET4_T5_PSS_ST_PNS1_23onesweep_lookback_stateEbbT6_jjT7_P12ihipStream_tbENKUlT_T0_SH_SM_E_clISA_SB_SC_SC_EEDaS10_S11_SH_SM_EUlS10_E_NS1_11comp_targetILNS1_3genE8ELNS1_11target_archE1030ELNS1_3gpuE2ELNS1_3repE0EEENS1_47radix_sort_onesweep_sort_config_static_selectorELNS0_4arch9wavefront6targetE0EEEvSH_.num_named_barrier, 0
	.set _ZN7rocprim17ROCPRIM_400000_NS6detail17trampoline_kernelINS0_14default_configENS1_35radix_sort_onesweep_config_selectorI12hip_bfloat16NS0_10empty_typeEEEZZNS1_29radix_sort_onesweep_iterationIS3_Lb1EPKS5_PS5_PS6_SC_mNS0_19identity_decomposerENS1_16block_id_wrapperIjLb1EEEEE10hipError_tT1_PNSt15iterator_traitsISH_E10value_typeET2_T3_PNSI_ISN_E10value_typeET4_T5_PSS_ST_PNS1_23onesweep_lookback_stateEbbT6_jjT7_P12ihipStream_tbENKUlT_T0_SH_SM_E_clISA_SB_SC_SC_EEDaS10_S11_SH_SM_EUlS10_E_NS1_11comp_targetILNS1_3genE8ELNS1_11target_archE1030ELNS1_3gpuE2ELNS1_3repE0EEENS1_47radix_sort_onesweep_sort_config_static_selectorELNS0_4arch9wavefront6targetE0EEEvSH_.private_seg_size, 0
	.set _ZN7rocprim17ROCPRIM_400000_NS6detail17trampoline_kernelINS0_14default_configENS1_35radix_sort_onesweep_config_selectorI12hip_bfloat16NS0_10empty_typeEEEZZNS1_29radix_sort_onesweep_iterationIS3_Lb1EPKS5_PS5_PS6_SC_mNS0_19identity_decomposerENS1_16block_id_wrapperIjLb1EEEEE10hipError_tT1_PNSt15iterator_traitsISH_E10value_typeET2_T3_PNSI_ISN_E10value_typeET4_T5_PSS_ST_PNS1_23onesweep_lookback_stateEbbT6_jjT7_P12ihipStream_tbENKUlT_T0_SH_SM_E_clISA_SB_SC_SC_EEDaS10_S11_SH_SM_EUlS10_E_NS1_11comp_targetILNS1_3genE8ELNS1_11target_archE1030ELNS1_3gpuE2ELNS1_3repE0EEENS1_47radix_sort_onesweep_sort_config_static_selectorELNS0_4arch9wavefront6targetE0EEEvSH_.uses_vcc, 0
	.set _ZN7rocprim17ROCPRIM_400000_NS6detail17trampoline_kernelINS0_14default_configENS1_35radix_sort_onesweep_config_selectorI12hip_bfloat16NS0_10empty_typeEEEZZNS1_29radix_sort_onesweep_iterationIS3_Lb1EPKS5_PS5_PS6_SC_mNS0_19identity_decomposerENS1_16block_id_wrapperIjLb1EEEEE10hipError_tT1_PNSt15iterator_traitsISH_E10value_typeET2_T3_PNSI_ISN_E10value_typeET4_T5_PSS_ST_PNS1_23onesweep_lookback_stateEbbT6_jjT7_P12ihipStream_tbENKUlT_T0_SH_SM_E_clISA_SB_SC_SC_EEDaS10_S11_SH_SM_EUlS10_E_NS1_11comp_targetILNS1_3genE8ELNS1_11target_archE1030ELNS1_3gpuE2ELNS1_3repE0EEENS1_47radix_sort_onesweep_sort_config_static_selectorELNS0_4arch9wavefront6targetE0EEEvSH_.uses_flat_scratch, 0
	.set _ZN7rocprim17ROCPRIM_400000_NS6detail17trampoline_kernelINS0_14default_configENS1_35radix_sort_onesweep_config_selectorI12hip_bfloat16NS0_10empty_typeEEEZZNS1_29radix_sort_onesweep_iterationIS3_Lb1EPKS5_PS5_PS6_SC_mNS0_19identity_decomposerENS1_16block_id_wrapperIjLb1EEEEE10hipError_tT1_PNSt15iterator_traitsISH_E10value_typeET2_T3_PNSI_ISN_E10value_typeET4_T5_PSS_ST_PNS1_23onesweep_lookback_stateEbbT6_jjT7_P12ihipStream_tbENKUlT_T0_SH_SM_E_clISA_SB_SC_SC_EEDaS10_S11_SH_SM_EUlS10_E_NS1_11comp_targetILNS1_3genE8ELNS1_11target_archE1030ELNS1_3gpuE2ELNS1_3repE0EEENS1_47radix_sort_onesweep_sort_config_static_selectorELNS0_4arch9wavefront6targetE0EEEvSH_.has_dyn_sized_stack, 0
	.set _ZN7rocprim17ROCPRIM_400000_NS6detail17trampoline_kernelINS0_14default_configENS1_35radix_sort_onesweep_config_selectorI12hip_bfloat16NS0_10empty_typeEEEZZNS1_29radix_sort_onesweep_iterationIS3_Lb1EPKS5_PS5_PS6_SC_mNS0_19identity_decomposerENS1_16block_id_wrapperIjLb1EEEEE10hipError_tT1_PNSt15iterator_traitsISH_E10value_typeET2_T3_PNSI_ISN_E10value_typeET4_T5_PSS_ST_PNS1_23onesweep_lookback_stateEbbT6_jjT7_P12ihipStream_tbENKUlT_T0_SH_SM_E_clISA_SB_SC_SC_EEDaS10_S11_SH_SM_EUlS10_E_NS1_11comp_targetILNS1_3genE8ELNS1_11target_archE1030ELNS1_3gpuE2ELNS1_3repE0EEENS1_47radix_sort_onesweep_sort_config_static_selectorELNS0_4arch9wavefront6targetE0EEEvSH_.has_recursion, 0
	.set _ZN7rocprim17ROCPRIM_400000_NS6detail17trampoline_kernelINS0_14default_configENS1_35radix_sort_onesweep_config_selectorI12hip_bfloat16NS0_10empty_typeEEEZZNS1_29radix_sort_onesweep_iterationIS3_Lb1EPKS5_PS5_PS6_SC_mNS0_19identity_decomposerENS1_16block_id_wrapperIjLb1EEEEE10hipError_tT1_PNSt15iterator_traitsISH_E10value_typeET2_T3_PNSI_ISN_E10value_typeET4_T5_PSS_ST_PNS1_23onesweep_lookback_stateEbbT6_jjT7_P12ihipStream_tbENKUlT_T0_SH_SM_E_clISA_SB_SC_SC_EEDaS10_S11_SH_SM_EUlS10_E_NS1_11comp_targetILNS1_3genE8ELNS1_11target_archE1030ELNS1_3gpuE2ELNS1_3repE0EEENS1_47radix_sort_onesweep_sort_config_static_selectorELNS0_4arch9wavefront6targetE0EEEvSH_.has_indirect_call, 0
	.section	.AMDGPU.csdata,"",@progbits
; Kernel info:
; codeLenInByte = 0
; TotalNumSgprs: 0
; NumVgprs: 0
; ScratchSize: 0
; MemoryBound: 0
; FloatMode: 240
; IeeeMode: 1
; LDSByteSize: 0 bytes/workgroup (compile time only)
; SGPRBlocks: 0
; VGPRBlocks: 0
; NumSGPRsForWavesPerEU: 1
; NumVGPRsForWavesPerEU: 1
; NamedBarCnt: 0
; Occupancy: 16
; WaveLimiterHint : 0
; COMPUTE_PGM_RSRC2:SCRATCH_EN: 0
; COMPUTE_PGM_RSRC2:USER_SGPR: 2
; COMPUTE_PGM_RSRC2:TRAP_HANDLER: 0
; COMPUTE_PGM_RSRC2:TGID_X_EN: 1
; COMPUTE_PGM_RSRC2:TGID_Y_EN: 0
; COMPUTE_PGM_RSRC2:TGID_Z_EN: 0
; COMPUTE_PGM_RSRC2:TIDIG_COMP_CNT: 0
	.section	.text._ZN7rocprim17ROCPRIM_400000_NS6detail17trampoline_kernelINS0_14default_configENS1_35radix_sort_onesweep_config_selectorI12hip_bfloat16NS0_10empty_typeEEEZZNS1_29radix_sort_onesweep_iterationIS3_Lb1EPKS5_PS5_PS6_SC_mNS0_19identity_decomposerENS1_16block_id_wrapperIjLb1EEEEE10hipError_tT1_PNSt15iterator_traitsISH_E10value_typeET2_T3_PNSI_ISN_E10value_typeET4_T5_PSS_ST_PNS1_23onesweep_lookback_stateEbbT6_jjT7_P12ihipStream_tbENKUlT_T0_SH_SM_E_clISB_SB_SC_SC_EEDaS10_S11_SH_SM_EUlS10_E_NS1_11comp_targetILNS1_3genE0ELNS1_11target_archE4294967295ELNS1_3gpuE0ELNS1_3repE0EEENS1_47radix_sort_onesweep_sort_config_static_selectorELNS0_4arch9wavefront6targetE0EEEvSH_,"axG",@progbits,_ZN7rocprim17ROCPRIM_400000_NS6detail17trampoline_kernelINS0_14default_configENS1_35radix_sort_onesweep_config_selectorI12hip_bfloat16NS0_10empty_typeEEEZZNS1_29radix_sort_onesweep_iterationIS3_Lb1EPKS5_PS5_PS6_SC_mNS0_19identity_decomposerENS1_16block_id_wrapperIjLb1EEEEE10hipError_tT1_PNSt15iterator_traitsISH_E10value_typeET2_T3_PNSI_ISN_E10value_typeET4_T5_PSS_ST_PNS1_23onesweep_lookback_stateEbbT6_jjT7_P12ihipStream_tbENKUlT_T0_SH_SM_E_clISB_SB_SC_SC_EEDaS10_S11_SH_SM_EUlS10_E_NS1_11comp_targetILNS1_3genE0ELNS1_11target_archE4294967295ELNS1_3gpuE0ELNS1_3repE0EEENS1_47radix_sort_onesweep_sort_config_static_selectorELNS0_4arch9wavefront6targetE0EEEvSH_,comdat
	.protected	_ZN7rocprim17ROCPRIM_400000_NS6detail17trampoline_kernelINS0_14default_configENS1_35radix_sort_onesweep_config_selectorI12hip_bfloat16NS0_10empty_typeEEEZZNS1_29radix_sort_onesweep_iterationIS3_Lb1EPKS5_PS5_PS6_SC_mNS0_19identity_decomposerENS1_16block_id_wrapperIjLb1EEEEE10hipError_tT1_PNSt15iterator_traitsISH_E10value_typeET2_T3_PNSI_ISN_E10value_typeET4_T5_PSS_ST_PNS1_23onesweep_lookback_stateEbbT6_jjT7_P12ihipStream_tbENKUlT_T0_SH_SM_E_clISB_SB_SC_SC_EEDaS10_S11_SH_SM_EUlS10_E_NS1_11comp_targetILNS1_3genE0ELNS1_11target_archE4294967295ELNS1_3gpuE0ELNS1_3repE0EEENS1_47radix_sort_onesweep_sort_config_static_selectorELNS0_4arch9wavefront6targetE0EEEvSH_ ; -- Begin function _ZN7rocprim17ROCPRIM_400000_NS6detail17trampoline_kernelINS0_14default_configENS1_35radix_sort_onesweep_config_selectorI12hip_bfloat16NS0_10empty_typeEEEZZNS1_29radix_sort_onesweep_iterationIS3_Lb1EPKS5_PS5_PS6_SC_mNS0_19identity_decomposerENS1_16block_id_wrapperIjLb1EEEEE10hipError_tT1_PNSt15iterator_traitsISH_E10value_typeET2_T3_PNSI_ISN_E10value_typeET4_T5_PSS_ST_PNS1_23onesweep_lookback_stateEbbT6_jjT7_P12ihipStream_tbENKUlT_T0_SH_SM_E_clISB_SB_SC_SC_EEDaS10_S11_SH_SM_EUlS10_E_NS1_11comp_targetILNS1_3genE0ELNS1_11target_archE4294967295ELNS1_3gpuE0ELNS1_3repE0EEENS1_47radix_sort_onesweep_sort_config_static_selectorELNS0_4arch9wavefront6targetE0EEEvSH_
	.globl	_ZN7rocprim17ROCPRIM_400000_NS6detail17trampoline_kernelINS0_14default_configENS1_35radix_sort_onesweep_config_selectorI12hip_bfloat16NS0_10empty_typeEEEZZNS1_29radix_sort_onesweep_iterationIS3_Lb1EPKS5_PS5_PS6_SC_mNS0_19identity_decomposerENS1_16block_id_wrapperIjLb1EEEEE10hipError_tT1_PNSt15iterator_traitsISH_E10value_typeET2_T3_PNSI_ISN_E10value_typeET4_T5_PSS_ST_PNS1_23onesweep_lookback_stateEbbT6_jjT7_P12ihipStream_tbENKUlT_T0_SH_SM_E_clISB_SB_SC_SC_EEDaS10_S11_SH_SM_EUlS10_E_NS1_11comp_targetILNS1_3genE0ELNS1_11target_archE4294967295ELNS1_3gpuE0ELNS1_3repE0EEENS1_47radix_sort_onesweep_sort_config_static_selectorELNS0_4arch9wavefront6targetE0EEEvSH_
	.p2align	8
	.type	_ZN7rocprim17ROCPRIM_400000_NS6detail17trampoline_kernelINS0_14default_configENS1_35radix_sort_onesweep_config_selectorI12hip_bfloat16NS0_10empty_typeEEEZZNS1_29radix_sort_onesweep_iterationIS3_Lb1EPKS5_PS5_PS6_SC_mNS0_19identity_decomposerENS1_16block_id_wrapperIjLb1EEEEE10hipError_tT1_PNSt15iterator_traitsISH_E10value_typeET2_T3_PNSI_ISN_E10value_typeET4_T5_PSS_ST_PNS1_23onesweep_lookback_stateEbbT6_jjT7_P12ihipStream_tbENKUlT_T0_SH_SM_E_clISB_SB_SC_SC_EEDaS10_S11_SH_SM_EUlS10_E_NS1_11comp_targetILNS1_3genE0ELNS1_11target_archE4294967295ELNS1_3gpuE0ELNS1_3repE0EEENS1_47radix_sort_onesweep_sort_config_static_selectorELNS0_4arch9wavefront6targetE0EEEvSH_,@function
_ZN7rocprim17ROCPRIM_400000_NS6detail17trampoline_kernelINS0_14default_configENS1_35radix_sort_onesweep_config_selectorI12hip_bfloat16NS0_10empty_typeEEEZZNS1_29radix_sort_onesweep_iterationIS3_Lb1EPKS5_PS5_PS6_SC_mNS0_19identity_decomposerENS1_16block_id_wrapperIjLb1EEEEE10hipError_tT1_PNSt15iterator_traitsISH_E10value_typeET2_T3_PNSI_ISN_E10value_typeET4_T5_PSS_ST_PNS1_23onesweep_lookback_stateEbbT6_jjT7_P12ihipStream_tbENKUlT_T0_SH_SM_E_clISB_SB_SC_SC_EEDaS10_S11_SH_SM_EUlS10_E_NS1_11comp_targetILNS1_3genE0ELNS1_11target_archE4294967295ELNS1_3gpuE0ELNS1_3repE0EEENS1_47radix_sort_onesweep_sort_config_static_selectorELNS0_4arch9wavefront6targetE0EEEvSH_: ; @_ZN7rocprim17ROCPRIM_400000_NS6detail17trampoline_kernelINS0_14default_configENS1_35radix_sort_onesweep_config_selectorI12hip_bfloat16NS0_10empty_typeEEEZZNS1_29radix_sort_onesweep_iterationIS3_Lb1EPKS5_PS5_PS6_SC_mNS0_19identity_decomposerENS1_16block_id_wrapperIjLb1EEEEE10hipError_tT1_PNSt15iterator_traitsISH_E10value_typeET2_T3_PNSI_ISN_E10value_typeET4_T5_PSS_ST_PNS1_23onesweep_lookback_stateEbbT6_jjT7_P12ihipStream_tbENKUlT_T0_SH_SM_E_clISB_SB_SC_SC_EEDaS10_S11_SH_SM_EUlS10_E_NS1_11comp_targetILNS1_3genE0ELNS1_11target_archE4294967295ELNS1_3gpuE0ELNS1_3repE0EEENS1_47radix_sort_onesweep_sort_config_static_selectorELNS0_4arch9wavefront6targetE0EEEvSH_
; %bb.0:
	s_clause 0x1
	s_load_b128 s[12:15], s[0:1], 0x28
	s_load_b64 s[10:11], s[0:1], 0x38
	v_and_b32_e32 v14, 0x3ff, v0
	s_delay_alu instid0(VALU_DEP_1)
	v_cmp_eq_u32_e64 s2, 0, v14
	s_and_saveexec_b32 s3, s2
	s_cbranch_execz .LBB1973_4
; %bb.1:
	s_mov_b32 s5, exec_lo
	s_mov_b32 s4, exec_lo
	v_mbcnt_lo_u32_b32 v1, s5, 0
                                        ; implicit-def: $vgpr2
	s_delay_alu instid0(VALU_DEP_1)
	v_cmpx_eq_u32_e32 0, v1
	s_cbranch_execz .LBB1973_3
; %bb.2:
	s_load_b64 s[6:7], s[0:1], 0x50
	s_bcnt1_i32_b32 s5, s5
	s_delay_alu instid0(SALU_CYCLE_1)
	v_dual_mov_b32 v2, 0 :: v_dual_mov_b32 v3, s5
	s_wait_xcnt 0x0
	s_wait_kmcnt 0x0
	global_atomic_add_u32 v2, v2, v3, s[6:7] th:TH_ATOMIC_RETURN scope:SCOPE_DEV
.LBB1973_3:
	s_wait_xcnt 0x0
	s_or_b32 exec_lo, exec_lo, s4
	s_wait_loadcnt 0x0
	v_readfirstlane_b32 s4, v2
	s_delay_alu instid0(VALU_DEP_1)
	v_dual_mov_b32 v2, 0 :: v_dual_add_nc_u32 v1, s4, v1
	ds_store_b32 v2, v1 offset:18496
.LBB1973_4:
	s_or_b32 exec_lo, exec_lo, s3
	v_mov_b32_e32 v3, 0
	s_clause 0x2
	s_load_b128 s[16:19], s[0:1], 0x0
	s_load_b32 s3, s[0:1], 0x20
	s_load_b96 s[20:22], s[0:1], 0x44
	s_wait_dscnt 0x0
	s_barrier_signal -1
	s_barrier_wait -1
	ds_load_b32 v1, v3 offset:18496
	v_mbcnt_lo_u32_b32 v15, -1, 0
	v_and_b32_e32 v16, 0x3e0, v14
	s_mov_b32 s4, -1
	s_add_nc_u64 s[26:27], s[0:1], 0x58
	s_getreg_b32 s28, hwreg(HW_REG_IB_STS2, 6, 4)
	s_wait_dscnt 0x0
	s_barrier_signal -1
	s_barrier_wait -1
	s_wait_kmcnt 0x0
	v_cmp_le_u32_e32 vcc_lo, s22, v1
	v_readfirstlane_b32 s23, v1
	s_mul_i32 s24, s23, 0x1800
	s_cbranch_vccz .LBB1973_100
; %bb.5:
	s_mov_b32 s25, 0
	v_mul_u32_u24_e32 v1, 12, v16
	v_lshlrev_b32_e32 v2, 1, v15
	s_lshl_b64 s[4:5], s[24:25], 1
	s_mulk_i32 s22, 0xe800
	s_add_nc_u64 s[4:5], s[16:17], s[4:5]
	v_or_b32_e32 v10, v15, v1
	v_add_nc_u64_e32 v[4:5], s[4:5], v[2:3]
	v_dual_mov_b32 v11, -1 :: v_dual_lshlrev_b32 v2, 1, v1
	v_mov_b32_e32 v1, -1
	s_add_co_i32 s22, s22, s3
	s_mov_b32 s3, exec_lo
	s_delay_alu instid0(VALU_DEP_2)
	v_add_nc_u64_e32 v[2:3], v[4:5], v[2:3]
	v_cmpx_gt_u32_e64 s22, v10
	s_cbranch_execz .LBB1973_7
; %bb.6:
	global_load_u16 v1, v[2:3], off
.LBB1973_7:
	s_wait_xcnt 0x0
	s_or_b32 exec_lo, exec_lo, s3
	v_or_b32_e32 v4, 32, v10
	s_mov_b32 s3, exec_lo
	s_delay_alu instid0(VALU_DEP_1)
	v_cmpx_gt_u32_e64 s22, v4
	s_cbranch_execz .LBB1973_9
; %bb.8:
	global_load_u16 v11, v[2:3], off offset:64
.LBB1973_9:
	s_wait_xcnt 0x0
	s_or_b32 exec_lo, exec_lo, s3
	v_dual_mov_b32 v21, -1 :: v_dual_bitop2_b32 v4, 64, v10 bitop3:0x54
	v_mov_b32_e32 v17, -1
	s_mov_b32 s3, exec_lo
	s_delay_alu instid0(VALU_DEP_2)
	v_cmpx_gt_u32_e64 s22, v4
	s_cbranch_execz .LBB1973_11
; %bb.10:
	global_load_u16 v17, v[2:3], off offset:128
.LBB1973_11:
	s_wait_xcnt 0x0
	s_or_b32 exec_lo, exec_lo, s3
	v_or_b32_e32 v4, 0x60, v10
	s_mov_b32 s3, exec_lo
	s_delay_alu instid0(VALU_DEP_1)
	v_cmpx_gt_u32_e64 s22, v4
	s_cbranch_execz .LBB1973_13
; %bb.12:
	global_load_u16 v21, v[2:3], off offset:192
.LBB1973_13:
	s_wait_xcnt 0x0
	s_or_b32 exec_lo, exec_lo, s3
	v_dual_mov_b32 v25, -1 :: v_dual_add_nc_u32 v4, 0x80, v10
	v_mov_b32_e32 v30, -1
	s_mov_b32 s3, exec_lo
	s_delay_alu instid0(VALU_DEP_2)
	v_cmpx_gt_u32_e64 s22, v4
	s_cbranch_execz .LBB1973_15
; %bb.14:
	global_load_u16 v25, v[2:3], off offset:256
.LBB1973_15:
	s_wait_xcnt 0x0
	s_or_b32 exec_lo, exec_lo, s3
	v_add_nc_u32_e32 v4, 0xa0, v10
	s_mov_b32 s3, exec_lo
	s_delay_alu instid0(VALU_DEP_1)
	v_cmpx_gt_u32_e64 s22, v4
	s_cbranch_execz .LBB1973_17
; %bb.16:
	global_load_u16 v30, v[2:3], off offset:320
.LBB1973_17:
	s_wait_xcnt 0x0
	s_or_b32 exec_lo, exec_lo, s3
	v_dual_mov_b32 v9, -1 :: v_dual_add_nc_u32 v4, 0xc0, v10
	v_mov_b32_e32 v8, -1
	s_mov_b32 s3, exec_lo
	s_delay_alu instid0(VALU_DEP_2)
	v_cmpx_gt_u32_e64 s22, v4
	s_cbranch_execz .LBB1973_19
; %bb.18:
	global_load_u16 v9, v[2:3], off offset:384
.LBB1973_19:
	s_wait_xcnt 0x0
	s_or_b32 exec_lo, exec_lo, s3
	v_add_nc_u32_e32 v4, 0xe0, v10
	;; [unrolled: 21-line block ×3, first 2 shown]
	s_mov_b32 s3, exec_lo
	s_delay_alu instid0(VALU_DEP_1)
	v_cmpx_gt_u32_e64 s22, v4
	s_cbranch_execz .LBB1973_25
; %bb.24:
	global_load_u16 v6, v[2:3], off offset:576
.LBB1973_25:
	s_wait_xcnt 0x0
	s_or_b32 exec_lo, exec_lo, s3
	v_dual_mov_b32 v4, -1 :: v_dual_add_nc_u32 v5, 0x140, v10
	s_delay_alu instid0(VALU_DEP_1)
	v_cmp_gt_u32_e32 vcc_lo, s22, v5
	v_mov_b32_e32 v5, -1
	s_and_saveexec_b32 s3, vcc_lo
	s_cbranch_execz .LBB1973_27
; %bb.26:
	global_load_u16 v5, v[2:3], off offset:640
.LBB1973_27:
	s_wait_xcnt 0x0
	s_or_b32 exec_lo, exec_lo, s3
	v_add_nc_u32_e32 v10, 0x160, v10
	s_mov_b32 s3, exec_lo
	s_delay_alu instid0(VALU_DEP_1)
	v_cmpx_gt_u32_e64 s22, v10
	s_cbranch_execz .LBB1973_29
; %bb.28:
	global_load_u16 v4, v[2:3], off offset:704
.LBB1973_29:
	s_wait_xcnt 0x0
	s_or_b32 exec_lo, exec_lo, s3
	s_wait_loadcnt 0x0
	v_cmp_gt_i16_e32 vcc_lo, 0, v1
	s_clause 0x1
	s_load_b32 s25, s[0:1], 0x58
	s_load_u16 s3, s[0:1], 0x66
	s_bfe_u32 s4, ttmp6, 0x4000c
	s_and_b32 s5, ttmp6, 15
	s_add_co_i32 s4, s4, 1
	v_cndmask_b32_e64 v2, 0x7fff, 0, vcc_lo
	s_mul_i32 s4, ttmp9, s4
	v_bfe_u32 v3, v0, 10, 10
	s_add_co_i32 s5, s5, s4
	s_cmp_eq_u32 s28, 0
	v_xor_b32_e32 v1, v2, v1
	s_cselect_b32 s4, ttmp9, s5
	v_bfe_u32 v10, v0, 20, 10
	s_mov_b32 s5, 0
	s_delay_alu instid0(VALU_DEP_2)
	v_cmp_ne_u16_e32 vcc_lo, 0x8000, v1
	s_wait_kmcnt 0x0
	s_cmp_lt_u32 s4, s25
	v_cndmask_b32_e32 v2, 0x7fff, v1, vcc_lo
	s_cselect_b32 s4, 12, 18
	s_lshl_b32 s6, -1, s21
	v_mad_u32_u24 v3, v10, s3, v3
	s_add_nc_u64 s[4:5], s[26:27], s[4:5]
	v_and_b32_e32 v2, 0xffff, v2
	s_load_u16 s7, s[4:5], 0x0
	s_not_b32 s29, s6
	s_delay_alu instid0(VALU_DEP_1) | instskip(NEXT) | instid1(VALU_DEP_1)
	v_lshrrev_b32_e32 v2, s20, v2
	v_bitop3_b32 v10, v2, 1, s6 bitop3:0x40
	v_bitop3_b32 v13, v2, s6, v2 bitop3:0x30
	s_delay_alu instid0(VALU_DEP_2) | instskip(NEXT) | instid1(VALU_DEP_1)
	v_add_co_u32 v2, s3, v10, -1
	v_cndmask_b32_e64 v10, 0, 1, s3
	s_delay_alu instid0(VALU_DEP_3) | instskip(SKIP_1) | instid1(VALU_DEP_3)
	v_dual_lshlrev_b32 v12, 30, v13 :: v_dual_lshlrev_b32 v18, 29, v13
	v_dual_lshlrev_b32 v19, 28, v13 :: v_dual_lshlrev_b32 v20, 27, v13
	v_cmp_ne_u32_e32 vcc_lo, 0, v10
	s_delay_alu instid0(VALU_DEP_3)
	v_not_b32_e32 v10, v12
	v_cmp_gt_i32_e64 s3, 0, v12
	s_wait_xcnt 0x0
	v_cmp_gt_i32_e64 s4, 0, v18
	v_not_b32_e32 v12, v18
	v_not_b32_e32 v18, v19
	v_ashrrev_i32_e32 v10, 31, v10
	v_cmp_gt_i32_e64 s5, 0, v19
	v_dual_lshlrev_b32 v19, 26, v13 :: v_dual_bitop2_b32 v2, vcc_lo, v2 bitop3:0x14
	s_delay_alu instid0(VALU_DEP_4) | instskip(NEXT) | instid1(VALU_DEP_4)
	v_dual_ashrrev_i32 v12, 31, v12 :: v_dual_ashrrev_i32 v18, 31, v18
	v_xor_b32_e32 v10, s3, v10
	v_not_b32_e32 v22, v20
	v_cmp_gt_i32_e32 vcc_lo, 0, v20
	s_delay_alu instid0(VALU_DEP_4)
	v_xor_b32_e32 v12, s4, v12
	v_xor_b32_e32 v18, s5, v18
	v_cmp_gt_i32_e64 s3, 0, v19
	v_dual_ashrrev_i32 v20, 31, v22 :: v_dual_lshlrev_b32 v22, 25, v13
	v_bitop3_b32 v2, v2, v10, exec_lo bitop3:0x80
	v_not_b32_e32 v10, v19
	v_lshlrev_b32_e32 v19, 24, v13
	s_delay_alu instid0(VALU_DEP_3) | instskip(NEXT) | instid1(VALU_DEP_3)
	v_bitop3_b32 v2, v2, v18, v12 bitop3:0x80
	v_dual_ashrrev_i32 v10, 31, v10 :: v_dual_bitop2_b32 v18, vcc_lo, v20 bitop3:0x14
	v_not_b32_e32 v12, v22
	s_delay_alu instid0(VALU_DEP_4) | instskip(SKIP_1) | instid1(VALU_DEP_4)
	v_not_b32_e32 v20, v19
	v_cmp_gt_i32_e32 vcc_lo, 0, v22
	v_xor_b32_e32 v10, s3, v10
	v_cmp_gt_i32_e64 s3, 0, v19
	v_ashrrev_i32_e32 v22, 31, v12
	v_ashrrev_i32_e32 v19, 31, v20
	s_wait_kmcnt 0x0
	v_mad_u32 v20, v3, s7, v14
	v_bitop3_b32 v2, v2, v10, v18 bitop3:0x80
	v_mul_u32_u24_e32 v12, 36, v14
	v_xor_b32_e32 v3, vcc_lo, v22
	v_dual_mov_b32 v18, 0 :: v_dual_bitop2_b32 v10, s3, v19 bitop3:0x14
	ds_store_2addr_b32 v12, v18, v18 offset0:16 offset1:17
	ds_store_2addr_b32 v12, v18, v18 offset0:18 offset1:19
	;; [unrolled: 1-line block ×4, first 2 shown]
	v_bitop3_b32 v3, v2, v10, v3 bitop3:0x80
	v_lshrrev_b32_e32 v2, 5, v20
	ds_store_b32 v12, v18 offset:96
	s_wait_dscnt 0x0
	s_barrier_signal -1
	v_mbcnt_lo_u32_b32 v10, v3, 0
	v_lshlrev_b32_e32 v2, 2, v2
	v_cmp_ne_u32_e64 s3, 0, v3
	s_barrier_wait -1
	s_delay_alu instid0(VALU_DEP_3) | instskip(NEXT) | instid1(VALU_DEP_3)
	v_cmp_eq_u32_e32 vcc_lo, 0, v10
	v_mad_u32_u24 v13, 0x44, v13, v2
	; wave barrier
	s_and_b32 s4, s3, vcc_lo
	s_delay_alu instid0(SALU_CYCLE_1)
	s_and_saveexec_b32 s3, s4
; %bb.30:
	v_bcnt_u32_b32 v3, v3, 0
	ds_store_b32 v13, v3 offset:64
; %bb.31:
	s_or_b32 exec_lo, exec_lo, s3
	v_cmp_gt_i16_e32 vcc_lo, 0, v11
	; wave barrier
	v_cndmask_b32_e64 v3, 0x7fff, 0, vcc_lo
	s_delay_alu instid0(VALU_DEP_1) | instskip(NEXT) | instid1(VALU_DEP_1)
	v_xor_b32_e32 v11, v3, v11
	v_cmp_ne_u16_e32 vcc_lo, 0x8000, v11
	v_cndmask_b32_e32 v3, 0x7fff, v11, vcc_lo
	s_delay_alu instid0(VALU_DEP_1) | instskip(NEXT) | instid1(VALU_DEP_1)
	v_and_b32_e32 v3, 0xffff, v3
	v_lshrrev_b32_e32 v3, s20, v3
	s_delay_alu instid0(VALU_DEP_1) | instskip(NEXT) | instid1(VALU_DEP_1)
	v_bitop3_b32 v18, v3, 1, s29 bitop3:0x80
	v_add_co_u32 v18, s3, v18, -1
	s_delay_alu instid0(VALU_DEP_1) | instskip(NEXT) | instid1(VALU_DEP_1)
	v_cndmask_b32_e64 v19, 0, 1, s3
	v_cmp_ne_u32_e32 vcc_lo, 0, v19
	s_delay_alu instid0(VALU_DEP_3) | instskip(SKIP_1) | instid1(VALU_DEP_1)
	v_xor_b32_e32 v18, vcc_lo, v18
	v_and_b32_e32 v3, s29, v3
	v_dual_lshlrev_b32 v20, 30, v3 :: v_dual_lshlrev_b32 v22, 29, v3
	v_dual_lshlrev_b32 v23, 28, v3 :: v_dual_lshlrev_b32 v24, 27, v3
	v_lshlrev_b32_e32 v26, 26, v3
	s_delay_alu instid0(VALU_DEP_3)
	v_cmp_gt_i32_e64 s3, 0, v20
	v_not_b32_e32 v19, v20
	v_cmp_gt_i32_e64 s4, 0, v22
	v_not_b32_e32 v20, v22
	v_not_b32_e32 v22, v23
	v_cmp_gt_i32_e64 s5, 0, v23
	v_cmp_gt_i32_e64 s6, 0, v24
	v_not_b32_e32 v23, v24
	v_not_b32_e32 v24, v26
	v_dual_ashrrev_i32 v22, 31, v22 :: v_dual_ashrrev_i32 v19, 31, v19
	v_ashrrev_i32_e32 v20, 31, v20
	s_delay_alu instid0(VALU_DEP_3) | instskip(NEXT) | instid1(VALU_DEP_2)
	v_dual_ashrrev_i32 v24, 31, v24 :: v_dual_lshlrev_b32 v27, 25, v3
	v_dual_lshlrev_b32 v28, 24, v3 :: v_dual_bitop2_b32 v20, s4, v20 bitop3:0x14
	s_delay_alu instid0(VALU_DEP_4)
	v_xor_b32_e32 v22, s5, v22
	v_xor_b32_e32 v19, s3, v19
	v_cmp_gt_i32_e64 s7, 0, v26
	v_cmp_gt_i32_e64 s8, 0, v27
	v_not_b32_e32 v26, v27
	v_not_b32_e32 v27, v28
	v_ashrrev_i32_e32 v23, 31, v23
	v_bitop3_b32 v18, v18, v19, exec_lo bitop3:0x80
	v_cmp_gt_i32_e64 s9, 0, v28
	s_delay_alu instid0(VALU_DEP_4)
	v_dual_ashrrev_i32 v19, 31, v26 :: v_dual_ashrrev_i32 v26, 31, v27
	v_xor_b32_e32 v24, s7, v24
	v_xor_b32_e32 v23, s6, v23
	v_bitop3_b32 v18, v18, v22, v20 bitop3:0x80
	v_mad_u32_u24 v20, 0x44, v3, v2
	v_xor_b32_e32 v3, s8, v19
	v_xor_b32_e32 v19, s9, v26
	s_delay_alu instid0(VALU_DEP_4) | instskip(SKIP_2) | instid1(VALU_DEP_1)
	v_bitop3_b32 v22, v18, v24, v23 bitop3:0x80
	ds_load_b32 v18, v20 offset:64
	; wave barrier
	v_bitop3_b32 v3, v22, v19, v3 bitop3:0x80
	v_mbcnt_lo_u32_b32 v19, v3, 0
	v_cmp_ne_u32_e64 s3, 0, v3
	s_delay_alu instid0(VALU_DEP_2) | instskip(SKIP_1) | instid1(SALU_CYCLE_1)
	v_cmp_eq_u32_e32 vcc_lo, 0, v19
	s_and_b32 s4, s3, vcc_lo
	s_and_saveexec_b32 s3, s4
	s_cbranch_execz .LBB1973_33
; %bb.32:
	s_wait_dscnt 0x0
	v_bcnt_u32_b32 v3, v3, v18
	ds_store_b32 v20, v3 offset:64
.LBB1973_33:
	s_or_b32 exec_lo, exec_lo, s3
	v_cmp_gt_i16_e32 vcc_lo, 0, v17
	; wave barrier
	v_cndmask_b32_e64 v3, 0x7fff, 0, vcc_lo
	s_delay_alu instid0(VALU_DEP_1) | instskip(NEXT) | instid1(VALU_DEP_1)
	v_xor_b32_e32 v17, v3, v17
	v_cmp_ne_u16_e32 vcc_lo, 0x8000, v17
	v_cndmask_b32_e32 v3, 0x7fff, v17, vcc_lo
	s_delay_alu instid0(VALU_DEP_1) | instskip(NEXT) | instid1(VALU_DEP_1)
	v_and_b32_e32 v3, 0xffff, v3
	v_lshrrev_b32_e32 v3, s20, v3
	s_delay_alu instid0(VALU_DEP_1) | instskip(SKIP_1) | instid1(VALU_DEP_2)
	v_bitop3_b32 v22, v3, 1, s29 bitop3:0x80
	v_and_b32_e32 v3, s29, v3
	v_add_co_u32 v22, s3, v22, -1
	s_delay_alu instid0(VALU_DEP_1) | instskip(NEXT) | instid1(VALU_DEP_3)
	v_cndmask_b32_e64 v23, 0, 1, s3
	v_dual_lshlrev_b32 v24, 30, v3 :: v_dual_lshlrev_b32 v26, 29, v3
	v_lshlrev_b32_e32 v27, 28, v3
	s_delay_alu instid0(VALU_DEP_3) | instskip(NEXT) | instid1(VALU_DEP_3)
	v_cmp_ne_u32_e32 vcc_lo, 0, v23
	v_cmp_gt_i32_e64 s3, 0, v24
	v_not_b32_e32 v23, v24
	v_cmp_gt_i32_e64 s4, 0, v26
	v_not_b32_e32 v24, v26
	v_not_b32_e32 v26, v27
	s_delay_alu instid0(VALU_DEP_2) | instskip(NEXT) | instid1(VALU_DEP_2)
	v_dual_ashrrev_i32 v24, 31, v24 :: v_dual_bitop2_b32 v22, vcc_lo, v22 bitop3:0x14
	v_dual_ashrrev_i32 v26, 31, v26 :: v_dual_lshlrev_b32 v28, 27, v3
	v_dual_lshlrev_b32 v29, 26, v3 :: v_dual_lshlrev_b32 v31, 25, v3
	v_cmp_gt_i32_e64 s5, 0, v27
	v_lshlrev_b32_e32 v32, 24, v3
	s_delay_alu instid0(VALU_DEP_4)
	v_cmp_gt_i32_e64 s6, 0, v28
	v_not_b32_e32 v27, v28
	v_not_b32_e32 v28, v29
	v_ashrrev_i32_e32 v23, 31, v23
	v_cmp_gt_i32_e64 s7, 0, v29
	v_cmp_gt_i32_e64 s8, 0, v31
	v_not_b32_e32 v29, v31
	s_delay_alu instid0(VALU_DEP_4) | instskip(SKIP_3) | instid1(VALU_DEP_4)
	v_dual_ashrrev_i32 v28, 31, v28 :: v_dual_bitop2_b32 v23, s3, v23 bitop3:0x14
	v_not_b32_e32 v31, v32
	v_dual_ashrrev_i32 v27, 31, v27 :: v_dual_bitop2_b32 v24, s4, v24 bitop3:0x14
	v_xor_b32_e32 v26, s5, v26
	v_bitop3_b32 v22, v22, v23, exec_lo bitop3:0x80
	v_cmp_gt_i32_e64 s9, 0, v32
	v_dual_ashrrev_i32 v23, 31, v29 :: v_dual_ashrrev_i32 v29, 31, v31
	v_xor_b32_e32 v28, s7, v28
	v_xor_b32_e32 v27, s6, v27
	v_bitop3_b32 v22, v22, v26, v24 bitop3:0x80
	v_mad_u32_u24 v24, 0x44, v3, v2
	v_xor_b32_e32 v3, s8, v23
	v_xor_b32_e32 v23, s9, v29
	s_delay_alu instid0(VALU_DEP_4) | instskip(SKIP_2) | instid1(VALU_DEP_1)
	v_bitop3_b32 v26, v22, v28, v27 bitop3:0x80
	ds_load_b32 v22, v24 offset:64
	; wave barrier
	v_bitop3_b32 v3, v26, v23, v3 bitop3:0x80
	v_mbcnt_lo_u32_b32 v23, v3, 0
	v_cmp_ne_u32_e64 s3, 0, v3
	s_delay_alu instid0(VALU_DEP_2) | instskip(SKIP_1) | instid1(SALU_CYCLE_1)
	v_cmp_eq_u32_e32 vcc_lo, 0, v23
	s_and_b32 s4, s3, vcc_lo
	s_and_saveexec_b32 s3, s4
	s_cbranch_execz .LBB1973_35
; %bb.34:
	s_wait_dscnt 0x0
	v_bcnt_u32_b32 v3, v3, v22
	ds_store_b32 v24, v3 offset:64
.LBB1973_35:
	s_or_b32 exec_lo, exec_lo, s3
	v_cmp_gt_i16_e32 vcc_lo, 0, v21
	; wave barrier
	v_cndmask_b32_e64 v3, 0x7fff, 0, vcc_lo
	s_delay_alu instid0(VALU_DEP_1) | instskip(NEXT) | instid1(VALU_DEP_1)
	v_xor_b32_e32 v21, v3, v21
	v_cmp_ne_u16_e32 vcc_lo, 0x8000, v21
	v_cndmask_b32_e32 v3, 0x7fff, v21, vcc_lo
	s_delay_alu instid0(VALU_DEP_1) | instskip(NEXT) | instid1(VALU_DEP_1)
	v_and_b32_e32 v3, 0xffff, v3
	v_lshrrev_b32_e32 v3, s20, v3
	s_delay_alu instid0(VALU_DEP_1) | instskip(SKIP_1) | instid1(VALU_DEP_2)
	v_bitop3_b32 v26, v3, 1, s29 bitop3:0x80
	v_and_b32_e32 v3, s29, v3
	v_add_co_u32 v26, s3, v26, -1
	s_delay_alu instid0(VALU_DEP_1) | instskip(NEXT) | instid1(VALU_DEP_3)
	v_cndmask_b32_e64 v27, 0, 1, s3
	v_dual_lshlrev_b32 v28, 30, v3 :: v_dual_lshlrev_b32 v29, 29, v3
	v_lshlrev_b32_e32 v31, 28, v3
	s_delay_alu instid0(VALU_DEP_3) | instskip(NEXT) | instid1(VALU_DEP_3)
	v_cmp_ne_u32_e32 vcc_lo, 0, v27
	v_cmp_gt_i32_e64 s3, 0, v28
	v_not_b32_e32 v27, v28
	v_cmp_gt_i32_e64 s4, 0, v29
	v_not_b32_e32 v28, v29
	v_not_b32_e32 v29, v31
	s_delay_alu instid0(VALU_DEP_2) | instskip(NEXT) | instid1(VALU_DEP_2)
	v_dual_ashrrev_i32 v28, 31, v28 :: v_dual_bitop2_b32 v26, vcc_lo, v26 bitop3:0x14
	v_dual_ashrrev_i32 v29, 31, v29 :: v_dual_lshlrev_b32 v32, 27, v3
	v_dual_lshlrev_b32 v33, 26, v3 :: v_dual_lshlrev_b32 v34, 25, v3
	v_lshlrev_b32_e32 v35, 24, v3
	v_cmp_gt_i32_e64 s5, 0, v31
	s_delay_alu instid0(VALU_DEP_4)
	v_cmp_gt_i32_e64 s6, 0, v32
	v_not_b32_e32 v31, v32
	v_not_b32_e32 v32, v33
	v_ashrrev_i32_e32 v27, 31, v27
	v_cmp_gt_i32_e64 s7, 0, v33
	v_cmp_gt_i32_e64 s8, 0, v34
	v_not_b32_e32 v33, v34
	v_not_b32_e32 v34, v35
	v_dual_ashrrev_i32 v32, 31, v32 :: v_dual_bitop2_b32 v27, s3, v27 bitop3:0x14
	v_dual_ashrrev_i32 v31, 31, v31 :: v_dual_bitop2_b32 v28, s4, v28 bitop3:0x14
	v_xor_b32_e32 v29, s5, v29
	v_cmp_gt_i32_e64 s9, 0, v35
	s_delay_alu instid0(VALU_DEP_4) | instskip(NEXT) | instid1(VALU_DEP_4)
	v_bitop3_b32 v26, v26, v27, exec_lo bitop3:0x80
	v_dual_ashrrev_i32 v27, 31, v33 :: v_dual_bitop2_b32 v31, s6, v31 bitop3:0x14
	v_dual_ashrrev_i32 v33, 31, v34 :: v_dual_bitop2_b32 v32, s7, v32 bitop3:0x14
	s_delay_alu instid0(VALU_DEP_3) | instskip(SKIP_1) | instid1(VALU_DEP_4)
	v_bitop3_b32 v26, v26, v29, v28 bitop3:0x80
	v_mad_u32_u24 v28, 0x44, v3, v2
	v_xor_b32_e32 v3, s8, v27
	s_delay_alu instid0(VALU_DEP_4) | instskip(NEXT) | instid1(VALU_DEP_4)
	v_xor_b32_e32 v27, s9, v33
	v_bitop3_b32 v29, v26, v32, v31 bitop3:0x80
	ds_load_b32 v26, v28 offset:64
	; wave barrier
	v_bitop3_b32 v3, v29, v27, v3 bitop3:0x80
	s_delay_alu instid0(VALU_DEP_1) | instskip(SKIP_1) | instid1(VALU_DEP_2)
	v_mbcnt_lo_u32_b32 v27, v3, 0
	v_cmp_ne_u32_e64 s3, 0, v3
	v_cmp_eq_u32_e32 vcc_lo, 0, v27
	s_and_b32 s4, s3, vcc_lo
	s_delay_alu instid0(SALU_CYCLE_1)
	s_and_saveexec_b32 s3, s4
	s_cbranch_execz .LBB1973_37
; %bb.36:
	s_wait_dscnt 0x0
	v_bcnt_u32_b32 v3, v3, v26
	ds_store_b32 v28, v3 offset:64
.LBB1973_37:
	s_or_b32 exec_lo, exec_lo, s3
	v_cmp_gt_i16_e32 vcc_lo, 0, v25
	; wave barrier
	v_cndmask_b32_e64 v3, 0x7fff, 0, vcc_lo
	s_delay_alu instid0(VALU_DEP_1) | instskip(NEXT) | instid1(VALU_DEP_1)
	v_xor_b32_e32 v25, v3, v25
	v_cmp_ne_u16_e32 vcc_lo, 0x8000, v25
	v_cndmask_b32_e32 v3, 0x7fff, v25, vcc_lo
	s_delay_alu instid0(VALU_DEP_1) | instskip(NEXT) | instid1(VALU_DEP_1)
	v_and_b32_e32 v3, 0xffff, v3
	v_lshrrev_b32_e32 v3, s20, v3
	s_delay_alu instid0(VALU_DEP_1) | instskip(SKIP_1) | instid1(VALU_DEP_2)
	v_bitop3_b32 v29, v3, 1, s29 bitop3:0x80
	v_and_b32_e32 v3, s29, v3
	v_add_co_u32 v29, s3, v29, -1
	s_delay_alu instid0(VALU_DEP_1) | instskip(NEXT) | instid1(VALU_DEP_3)
	v_cndmask_b32_e64 v31, 0, 1, s3
	v_dual_lshlrev_b32 v32, 30, v3 :: v_dual_lshlrev_b32 v33, 29, v3
	v_lshlrev_b32_e32 v34, 28, v3
	s_delay_alu instid0(VALU_DEP_3) | instskip(NEXT) | instid1(VALU_DEP_3)
	v_cmp_ne_u32_e32 vcc_lo, 0, v31
	v_cmp_gt_i32_e64 s3, 0, v32
	v_not_b32_e32 v31, v32
	v_cmp_gt_i32_e64 s4, 0, v33
	v_not_b32_e32 v32, v33
	v_not_b32_e32 v33, v34
	s_delay_alu instid0(VALU_DEP_2) | instskip(NEXT) | instid1(VALU_DEP_2)
	v_dual_ashrrev_i32 v32, 31, v32 :: v_dual_bitop2_b32 v29, vcc_lo, v29 bitop3:0x14
	v_dual_ashrrev_i32 v33, 31, v33 :: v_dual_lshlrev_b32 v35, 27, v3
	v_dual_lshlrev_b32 v36, 26, v3 :: v_dual_lshlrev_b32 v37, 25, v3
	v_lshlrev_b32_e32 v38, 24, v3
	v_cmp_gt_i32_e64 s5, 0, v34
	s_delay_alu instid0(VALU_DEP_4)
	v_not_b32_e32 v34, v35
	v_ashrrev_i32_e32 v31, 31, v31
	v_cmp_gt_i32_e64 s6, 0, v35
	v_cmp_gt_i32_e64 s7, 0, v36
	v_not_b32_e32 v35, v36
	v_cmp_gt_i32_e64 s8, 0, v37
	v_not_b32_e32 v36, v37
	v_not_b32_e32 v37, v38
	v_dual_ashrrev_i32 v34, 31, v34 :: v_dual_bitop2_b32 v31, s3, v31 bitop3:0x14
	v_dual_ashrrev_i32 v35, 31, v35 :: v_dual_bitop2_b32 v32, s4, v32 bitop3:0x14
	v_xor_b32_e32 v33, s5, v33
	v_cmp_gt_i32_e64 s9, 0, v38
	s_delay_alu instid0(VALU_DEP_4) | instskip(SKIP_3) | instid1(VALU_DEP_4)
	v_bitop3_b32 v29, v29, v31, exec_lo bitop3:0x80
	v_dual_ashrrev_i32 v31, 31, v36 :: v_dual_ashrrev_i32 v36, 31, v37
	v_xor_b32_e32 v34, s6, v34
	v_xor_b32_e32 v35, s7, v35
	v_bitop3_b32 v29, v29, v33, v32 bitop3:0x80
	v_mad_u32_u24 v32, 0x44, v3, v2
	v_xor_b32_e32 v3, s8, v31
	v_xor_b32_e32 v31, s9, v36
	s_delay_alu instid0(VALU_DEP_4) | instskip(SKIP_2) | instid1(VALU_DEP_1)
	v_bitop3_b32 v33, v29, v35, v34 bitop3:0x80
	ds_load_b32 v29, v32 offset:64
	; wave barrier
	v_bitop3_b32 v3, v33, v31, v3 bitop3:0x80
	v_mbcnt_lo_u32_b32 v31, v3, 0
	v_cmp_ne_u32_e64 s3, 0, v3
	s_delay_alu instid0(VALU_DEP_2) | instskip(SKIP_1) | instid1(SALU_CYCLE_1)
	v_cmp_eq_u32_e32 vcc_lo, 0, v31
	s_and_b32 s4, s3, vcc_lo
	s_and_saveexec_b32 s3, s4
	s_cbranch_execz .LBB1973_39
; %bb.38:
	s_wait_dscnt 0x0
	v_bcnt_u32_b32 v3, v3, v29
	ds_store_b32 v32, v3 offset:64
.LBB1973_39:
	s_or_b32 exec_lo, exec_lo, s3
	v_cmp_gt_i16_e32 vcc_lo, 0, v30
	; wave barrier
	v_cndmask_b32_e64 v3, 0x7fff, 0, vcc_lo
	s_delay_alu instid0(VALU_DEP_1) | instskip(NEXT) | instid1(VALU_DEP_1)
	v_xor_b32_e32 v30, v3, v30
	v_cmp_ne_u16_e32 vcc_lo, 0x8000, v30
	v_cndmask_b32_e32 v3, 0x7fff, v30, vcc_lo
	s_delay_alu instid0(VALU_DEP_1) | instskip(NEXT) | instid1(VALU_DEP_1)
	v_and_b32_e32 v3, 0xffff, v3
	v_lshrrev_b32_e32 v3, s20, v3
	s_delay_alu instid0(VALU_DEP_1) | instskip(SKIP_1) | instid1(VALU_DEP_2)
	v_bitop3_b32 v33, v3, 1, s29 bitop3:0x80
	v_and_b32_e32 v3, s29, v3
	v_add_co_u32 v33, s3, v33, -1
	s_delay_alu instid0(VALU_DEP_1) | instskip(NEXT) | instid1(VALU_DEP_3)
	v_cndmask_b32_e64 v34, 0, 1, s3
	v_lshlrev_b32_e32 v35, 30, v3
	s_delay_alu instid0(VALU_DEP_2) | instskip(NEXT) | instid1(VALU_DEP_2)
	v_cmp_ne_u32_e32 vcc_lo, 0, v34
	v_not_b32_e32 v34, v35
	s_delay_alu instid0(VALU_DEP_1) | instskip(SKIP_4) | instid1(VALU_DEP_4)
	v_dual_ashrrev_i32 v34, 31, v34 :: v_dual_bitop2_b32 v33, vcc_lo, v33 bitop3:0x14
	v_dual_lshlrev_b32 v36, 29, v3 :: v_dual_lshlrev_b32 v37, 28, v3
	v_dual_lshlrev_b32 v38, 27, v3 :: v_dual_lshlrev_b32 v39, 26, v3
	v_lshlrev_b32_e32 v40, 25, v3
	v_cmp_gt_i32_e64 s3, 0, v35
	v_cmp_gt_i32_e64 s4, 0, v36
	v_not_b32_e32 v35, v36
	v_not_b32_e32 v36, v37
	v_lshlrev_b32_e32 v41, 24, v3
	v_cmp_gt_i32_e64 s5, 0, v37
	v_cmp_gt_i32_e64 s6, 0, v38
	v_not_b32_e32 v37, v38
	v_not_b32_e32 v38, v39
	v_dual_ashrrev_i32 v35, 31, v35 :: v_dual_bitop2_b32 v34, s3, v34 bitop3:0x14
	v_ashrrev_i32_e32 v36, 31, v36
	v_cmp_gt_i32_e64 s7, 0, v39
	v_cmp_gt_i32_e64 s8, 0, v40
	v_not_b32_e32 v39, v40
	v_not_b32_e32 v40, v41
	v_dual_ashrrev_i32 v37, 31, v37 :: v_dual_ashrrev_i32 v38, 31, v38
	v_xor_b32_e32 v35, s4, v35
	v_xor_b32_e32 v36, s5, v36
	v_bitop3_b32 v33, v33, v34, exec_lo bitop3:0x80
	v_cmp_gt_i32_e64 s9, 0, v41
	v_dual_ashrrev_i32 v34, 31, v39 :: v_dual_ashrrev_i32 v39, 31, v40
	v_xor_b32_e32 v37, s6, v37
	v_xor_b32_e32 v38, s7, v38
	v_bitop3_b32 v33, v33, v36, v35 bitop3:0x80
	v_mad_u32_u24 v36, 0x44, v3, v2
	v_xor_b32_e32 v3, s8, v34
	v_xor_b32_e32 v34, s9, v39
	s_delay_alu instid0(VALU_DEP_4) | instskip(SKIP_2) | instid1(VALU_DEP_1)
	v_bitop3_b32 v35, v33, v38, v37 bitop3:0x80
	ds_load_b32 v33, v36 offset:64
	; wave barrier
	v_bitop3_b32 v3, v35, v34, v3 bitop3:0x80
	v_mbcnt_lo_u32_b32 v34, v3, 0
	v_cmp_ne_u32_e64 s3, 0, v3
	s_delay_alu instid0(VALU_DEP_2) | instskip(SKIP_1) | instid1(SALU_CYCLE_1)
	v_cmp_eq_u32_e32 vcc_lo, 0, v34
	s_and_b32 s4, s3, vcc_lo
	s_and_saveexec_b32 s3, s4
	s_cbranch_execz .LBB1973_41
; %bb.40:
	s_wait_dscnt 0x0
	v_bcnt_u32_b32 v3, v3, v33
	ds_store_b32 v36, v3 offset:64
.LBB1973_41:
	s_or_b32 exec_lo, exec_lo, s3
	v_cmp_gt_i16_e32 vcc_lo, 0, v9
	; wave barrier
	v_cndmask_b32_e64 v3, 0x7fff, 0, vcc_lo
	s_delay_alu instid0(VALU_DEP_1) | instskip(NEXT) | instid1(VALU_DEP_1)
	v_xor_b32_e32 v35, v3, v9
	v_cmp_ne_u16_e32 vcc_lo, 0x8000, v35
	v_cndmask_b32_e32 v3, 0x7fff, v35, vcc_lo
	s_delay_alu instid0(VALU_DEP_1) | instskip(NEXT) | instid1(VALU_DEP_1)
	v_and_b32_e32 v3, 0xffff, v3
	v_lshrrev_b32_e32 v3, s20, v3
	s_delay_alu instid0(VALU_DEP_1) | instskip(SKIP_1) | instid1(VALU_DEP_2)
	v_bitop3_b32 v9, v3, 1, s29 bitop3:0x80
	v_and_b32_e32 v3, s29, v3
	v_add_co_u32 v9, s3, v9, -1
	s_delay_alu instid0(VALU_DEP_1) | instskip(NEXT) | instid1(VALU_DEP_3)
	v_cndmask_b32_e64 v37, 0, 1, s3
	v_lshlrev_b32_e32 v38, 30, v3
	s_delay_alu instid0(VALU_DEP_2) | instskip(NEXT) | instid1(VALU_DEP_2)
	v_cmp_ne_u32_e32 vcc_lo, 0, v37
	v_not_b32_e32 v37, v38
	v_xor_b32_e32 v9, vcc_lo, v9
	s_delay_alu instid0(VALU_DEP_2) | instskip(SKIP_3) | instid1(VALU_DEP_4)
	v_dual_ashrrev_i32 v37, 31, v37 :: v_dual_lshlrev_b32 v39, 29, v3
	v_dual_lshlrev_b32 v40, 28, v3 :: v_dual_lshlrev_b32 v41, 27, v3
	v_dual_lshlrev_b32 v42, 26, v3 :: v_dual_lshlrev_b32 v43, 25, v3
	v_cmp_gt_i32_e64 s3, 0, v38
	v_cmp_gt_i32_e64 s4, 0, v39
	v_not_b32_e32 v38, v39
	v_not_b32_e32 v39, v40
	v_lshlrev_b32_e32 v44, 24, v3
	v_cmp_gt_i32_e64 s5, 0, v40
	v_cmp_gt_i32_e64 s6, 0, v41
	v_not_b32_e32 v40, v41
	v_not_b32_e32 v41, v42
	v_dual_ashrrev_i32 v38, 31, v38 :: v_dual_ashrrev_i32 v39, 31, v39
	v_xor_b32_e32 v37, s3, v37
	v_cmp_gt_i32_e64 s7, 0, v42
	v_cmp_gt_i32_e64 s8, 0, v43
	v_not_b32_e32 v42, v43
	v_not_b32_e32 v43, v44
	v_dual_ashrrev_i32 v40, 31, v40 :: v_dual_ashrrev_i32 v41, 31, v41
	v_xor_b32_e32 v38, s4, v38
	v_xor_b32_e32 v39, s5, v39
	v_bitop3_b32 v9, v9, v37, exec_lo bitop3:0x80
	v_cmp_gt_i32_e64 s9, 0, v44
	v_dual_ashrrev_i32 v37, 31, v42 :: v_dual_ashrrev_i32 v42, 31, v43
	v_xor_b32_e32 v43, s6, v40
	v_xor_b32_e32 v41, s7, v41
	v_bitop3_b32 v9, v9, v39, v38 bitop3:0x80
	v_mad_u32_u24 v40, 0x44, v3, v2
	v_xor_b32_e32 v3, s8, v37
	v_xor_b32_e32 v37, s9, v42
	s_delay_alu instid0(VALU_DEP_4) | instskip(SKIP_2) | instid1(VALU_DEP_1)
	v_bitop3_b32 v9, v9, v41, v43 bitop3:0x80
	ds_load_b32 v38, v40 offset:64
	; wave barrier
	v_bitop3_b32 v3, v9, v37, v3 bitop3:0x80
	v_mbcnt_lo_u32_b32 v39, v3, 0
	v_cmp_ne_u32_e64 s3, 0, v3
	s_delay_alu instid0(VALU_DEP_2) | instskip(SKIP_1) | instid1(SALU_CYCLE_1)
	v_cmp_eq_u32_e32 vcc_lo, 0, v39
	s_and_b32 s4, s3, vcc_lo
	s_and_saveexec_b32 s3, s4
	s_cbranch_execz .LBB1973_43
; %bb.42:
	s_wait_dscnt 0x0
	v_bcnt_u32_b32 v3, v3, v38
	ds_store_b32 v40, v3 offset:64
.LBB1973_43:
	s_or_b32 exec_lo, exec_lo, s3
	v_cmp_gt_i16_e32 vcc_lo, 0, v8
	; wave barrier
	v_cndmask_b32_e64 v3, 0x7fff, 0, vcc_lo
	s_delay_alu instid0(VALU_DEP_1) | instskip(NEXT) | instid1(VALU_DEP_1)
	v_xor_b32_e32 v37, v3, v8
	v_cmp_ne_u16_e32 vcc_lo, 0x8000, v37
	v_cndmask_b32_e32 v3, 0x7fff, v37, vcc_lo
	s_delay_alu instid0(VALU_DEP_1) | instskip(NEXT) | instid1(VALU_DEP_1)
	v_and_b32_e32 v3, 0xffff, v3
	v_lshrrev_b32_e32 v3, s20, v3
	s_delay_alu instid0(VALU_DEP_1) | instskip(SKIP_1) | instid1(VALU_DEP_2)
	v_bitop3_b32 v8, v3, 1, s29 bitop3:0x80
	v_and_b32_e32 v3, s29, v3
	v_add_co_u32 v8, s3, v8, -1
	s_delay_alu instid0(VALU_DEP_1) | instskip(NEXT) | instid1(VALU_DEP_3)
	v_cndmask_b32_e64 v9, 0, 1, s3
	v_lshlrev_b32_e32 v41, 30, v3
	s_delay_alu instid0(VALU_DEP_2) | instskip(NEXT) | instid1(VALU_DEP_2)
	v_cmp_ne_u32_e32 vcc_lo, 0, v9
	v_not_b32_e32 v9, v41
	s_delay_alu instid0(VALU_DEP_1) | instskip(SKIP_4) | instid1(VALU_DEP_4)
	v_dual_ashrrev_i32 v9, 31, v9 :: v_dual_bitop2_b32 v8, vcc_lo, v8 bitop3:0x14
	v_dual_lshlrev_b32 v42, 29, v3 :: v_dual_lshlrev_b32 v43, 28, v3
	v_dual_lshlrev_b32 v44, 27, v3 :: v_dual_lshlrev_b32 v45, 26, v3
	v_lshlrev_b32_e32 v46, 25, v3
	v_cmp_gt_i32_e64 s3, 0, v41
	v_cmp_gt_i32_e64 s4, 0, v42
	v_not_b32_e32 v41, v42
	v_not_b32_e32 v42, v43
	v_lshlrev_b32_e32 v47, 24, v3
	v_cmp_gt_i32_e64 s5, 0, v43
	v_cmp_gt_i32_e64 s6, 0, v44
	v_not_b32_e32 v43, v44
	v_not_b32_e32 v44, v45
	v_dual_ashrrev_i32 v41, 31, v41 :: v_dual_ashrrev_i32 v42, 31, v42
	v_xor_b32_e32 v9, s3, v9
	v_cmp_gt_i32_e64 s7, 0, v45
	v_cmp_gt_i32_e64 s8, 0, v46
	v_not_b32_e32 v45, v46
	v_not_b32_e32 v46, v47
	v_dual_ashrrev_i32 v43, 31, v43 :: v_dual_ashrrev_i32 v44, 31, v44
	v_xor_b32_e32 v41, s4, v41
	v_xor_b32_e32 v42, s5, v42
	v_bitop3_b32 v8, v8, v9, exec_lo bitop3:0x80
	v_cmp_gt_i32_e64 s9, 0, v47
	v_dual_ashrrev_i32 v9, 31, v45 :: v_dual_ashrrev_i32 v45, 31, v46
	v_xor_b32_e32 v43, s6, v43
	v_xor_b32_e32 v46, s7, v44
	v_bitop3_b32 v8, v8, v42, v41 bitop3:0x80
	v_mad_u32_u24 v44, 0x44, v3, v2
	v_xor_b32_e32 v3, s8, v9
	v_xor_b32_e32 v9, s9, v45
	s_delay_alu instid0(VALU_DEP_4) | instskip(SKIP_2) | instid1(VALU_DEP_1)
	v_bitop3_b32 v8, v8, v46, v43 bitop3:0x80
	ds_load_b32 v42, v44 offset:64
	; wave barrier
	v_bitop3_b32 v3, v8, v9, v3 bitop3:0x80
	v_mbcnt_lo_u32_b32 v43, v3, 0
	v_cmp_ne_u32_e64 s3, 0, v3
	s_delay_alu instid0(VALU_DEP_2) | instskip(SKIP_1) | instid1(SALU_CYCLE_1)
	v_cmp_eq_u32_e32 vcc_lo, 0, v43
	s_and_b32 s4, s3, vcc_lo
	s_and_saveexec_b32 s3, s4
	s_cbranch_execz .LBB1973_45
; %bb.44:
	s_wait_dscnt 0x0
	v_bcnt_u32_b32 v3, v3, v42
	ds_store_b32 v44, v3 offset:64
.LBB1973_45:
	s_or_b32 exec_lo, exec_lo, s3
	v_cmp_gt_i16_e32 vcc_lo, 0, v7
	; wave barrier
	v_cndmask_b32_e64 v3, 0x7fff, 0, vcc_lo
	s_delay_alu instid0(VALU_DEP_1) | instskip(NEXT) | instid1(VALU_DEP_1)
	v_xor_b32_e32 v41, v3, v7
	v_cmp_ne_u16_e32 vcc_lo, 0x8000, v41
	v_cndmask_b32_e32 v3, 0x7fff, v41, vcc_lo
	s_delay_alu instid0(VALU_DEP_1) | instskip(NEXT) | instid1(VALU_DEP_1)
	v_and_b32_e32 v3, 0xffff, v3
	v_lshrrev_b32_e32 v3, s20, v3
	s_delay_alu instid0(VALU_DEP_1) | instskip(SKIP_1) | instid1(VALU_DEP_2)
	v_bitop3_b32 v7, v3, 1, s29 bitop3:0x80
	v_and_b32_e32 v3, s29, v3
	v_add_co_u32 v7, s3, v7, -1
	s_delay_alu instid0(VALU_DEP_1) | instskip(NEXT) | instid1(VALU_DEP_3)
	v_cndmask_b32_e64 v8, 0, 1, s3
	v_dual_lshlrev_b32 v9, 30, v3 :: v_dual_lshlrev_b32 v45, 29, v3
	v_lshlrev_b32_e32 v46, 28, v3
	s_delay_alu instid0(VALU_DEP_3) | instskip(NEXT) | instid1(VALU_DEP_3)
	v_cmp_ne_u32_e32 vcc_lo, 0, v8
	v_cmp_gt_i32_e64 s3, 0, v9
	v_not_b32_e32 v8, v9
	v_cmp_gt_i32_e64 s4, 0, v45
	v_not_b32_e32 v9, v45
	v_not_b32_e32 v45, v46
	s_delay_alu instid0(VALU_DEP_2) | instskip(NEXT) | instid1(VALU_DEP_2)
	v_dual_ashrrev_i32 v8, 31, v8 :: v_dual_ashrrev_i32 v9, 31, v9
	v_dual_ashrrev_i32 v45, 31, v45 :: v_dual_lshlrev_b32 v47, 27, v3
	v_dual_lshlrev_b32 v48, 26, v3 :: v_dual_lshlrev_b32 v49, 25, v3
	s_delay_alu instid0(VALU_DEP_3) | instskip(SKIP_1) | instid1(VALU_DEP_4)
	v_dual_lshlrev_b32 v50, 24, v3 :: v_dual_bitop2_b32 v8, s3, v8 bitop3:0x14
	v_cmp_gt_i32_e64 s5, 0, v46
	v_cmp_gt_i32_e64 s6, 0, v47
	v_not_b32_e32 v46, v47
	v_cmp_gt_i32_e64 s7, 0, v48
	v_not_b32_e32 v47, v48
	v_not_b32_e32 v48, v49
	v_xor_b32_e32 v7, vcc_lo, v7
	v_cmp_gt_i32_e64 s8, 0, v49
	v_not_b32_e32 v49, v50
	v_dual_ashrrev_i32 v46, 31, v46 :: v_dual_ashrrev_i32 v47, 31, v47
	v_xor_b32_e32 v9, s4, v9
	v_xor_b32_e32 v45, s5, v45
	v_bitop3_b32 v7, v7, v8, exec_lo bitop3:0x80
	v_cmp_gt_i32_e64 s9, 0, v50
	v_dual_ashrrev_i32 v8, 31, v48 :: v_dual_ashrrev_i32 v49, 31, v49
	v_xor_b32_e32 v46, s6, v46
	v_xor_b32_e32 v47, s7, v47
	v_bitop3_b32 v7, v7, v45, v9 bitop3:0x80
	v_mad_u32_u24 v48, 0x44, v3, v2
	v_xor_b32_e32 v3, s8, v8
	v_xor_b32_e32 v8, s9, v49
	s_delay_alu instid0(VALU_DEP_4) | instskip(SKIP_2) | instid1(VALU_DEP_1)
	v_bitop3_b32 v7, v7, v47, v46 bitop3:0x80
	ds_load_b32 v46, v48 offset:64
	; wave barrier
	v_bitop3_b32 v3, v7, v8, v3 bitop3:0x80
	v_mbcnt_lo_u32_b32 v47, v3, 0
	v_cmp_ne_u32_e64 s3, 0, v3
	s_delay_alu instid0(VALU_DEP_2) | instskip(SKIP_1) | instid1(SALU_CYCLE_1)
	v_cmp_eq_u32_e32 vcc_lo, 0, v47
	s_and_b32 s4, s3, vcc_lo
	s_and_saveexec_b32 s3, s4
	s_cbranch_execz .LBB1973_47
; %bb.46:
	s_wait_dscnt 0x0
	v_bcnt_u32_b32 v3, v3, v46
	ds_store_b32 v48, v3 offset:64
.LBB1973_47:
	s_or_b32 exec_lo, exec_lo, s3
	v_cmp_gt_i16_e32 vcc_lo, 0, v6
	; wave barrier
	v_cndmask_b32_e64 v3, 0x7fff, 0, vcc_lo
	s_delay_alu instid0(VALU_DEP_1) | instskip(NEXT) | instid1(VALU_DEP_1)
	v_xor_b32_e32 v45, v3, v6
	v_cmp_ne_u16_e32 vcc_lo, 0x8000, v45
	v_cndmask_b32_e32 v3, 0x7fff, v45, vcc_lo
	s_delay_alu instid0(VALU_DEP_1) | instskip(NEXT) | instid1(VALU_DEP_1)
	v_and_b32_e32 v3, 0xffff, v3
	v_lshrrev_b32_e32 v3, s20, v3
	s_delay_alu instid0(VALU_DEP_1) | instskip(SKIP_1) | instid1(VALU_DEP_2)
	v_bitop3_b32 v6, v3, 1, s29 bitop3:0x80
	v_and_b32_e32 v3, s29, v3
	v_add_co_u32 v6, s3, v6, -1
	s_delay_alu instid0(VALU_DEP_1) | instskip(NEXT) | instid1(VALU_DEP_3)
	v_cndmask_b32_e64 v7, 0, 1, s3
	v_dual_lshlrev_b32 v8, 30, v3 :: v_dual_lshlrev_b32 v9, 29, v3
	v_lshlrev_b32_e32 v49, 28, v3
	s_delay_alu instid0(VALU_DEP_3) | instskip(NEXT) | instid1(VALU_DEP_3)
	v_cmp_ne_u32_e32 vcc_lo, 0, v7
	v_cmp_gt_i32_e64 s3, 0, v8
	v_not_b32_e32 v7, v8
	v_cmp_gt_i32_e64 s4, 0, v9
	v_not_b32_e32 v8, v9
	v_not_b32_e32 v9, v49
	s_delay_alu instid0(VALU_DEP_2) | instskip(NEXT) | instid1(VALU_DEP_2)
	v_dual_ashrrev_i32 v8, 31, v8 :: v_dual_bitop2_b32 v6, vcc_lo, v6 bitop3:0x14
	v_dual_ashrrev_i32 v9, 31, v9 :: v_dual_lshlrev_b32 v50, 27, v3
	v_dual_lshlrev_b32 v51, 26, v3 :: v_dual_lshlrev_b32 v52, 25, v3
	v_cmp_gt_i32_e64 s5, 0, v49
	v_lshlrev_b32_e32 v53, 24, v3
	s_delay_alu instid0(VALU_DEP_4) | instskip(SKIP_4) | instid1(VALU_DEP_4)
	v_not_b32_e32 v49, v50
	v_ashrrev_i32_e32 v7, 31, v7
	v_cmp_gt_i32_e64 s6, 0, v50
	v_not_b32_e32 v50, v51
	v_cmp_gt_i32_e64 s7, 0, v51
	v_dual_ashrrev_i32 v49, 31, v49 :: v_dual_bitop2_b32 v7, s3, v7 bitop3:0x14
	v_cmp_gt_i32_e64 s8, 0, v52
	v_not_b32_e32 v51, v52
	v_not_b32_e32 v52, v53
	v_dual_ashrrev_i32 v50, 31, v50 :: v_dual_bitop2_b32 v8, s4, v8 bitop3:0x14
	v_xor_b32_e32 v9, s5, v9
	v_bitop3_b32 v6, v6, v7, exec_lo bitop3:0x80
	v_cmp_gt_i32_e64 s9, 0, v53
	v_dual_ashrrev_i32 v7, 31, v51 :: v_dual_ashrrev_i32 v51, 31, v52
	v_xor_b32_e32 v49, s6, v49
	v_xor_b32_e32 v50, s7, v50
	v_bitop3_b32 v6, v6, v9, v8 bitop3:0x80
	v_mad_u32_u24 v52, 0x44, v3, v2
	v_xor_b32_e32 v3, s8, v7
	v_xor_b32_e32 v7, s9, v51
	s_delay_alu instid0(VALU_DEP_4) | instskip(SKIP_2) | instid1(VALU_DEP_1)
	v_bitop3_b32 v6, v6, v50, v49 bitop3:0x80
	ds_load_b32 v49, v52 offset:64
	; wave barrier
	v_bitop3_b32 v3, v6, v7, v3 bitop3:0x80
	v_mbcnt_lo_u32_b32 v51, v3, 0
	v_cmp_ne_u32_e64 s3, 0, v3
	s_delay_alu instid0(VALU_DEP_2) | instskip(SKIP_1) | instid1(SALU_CYCLE_1)
	v_cmp_eq_u32_e32 vcc_lo, 0, v51
	s_and_b32 s4, s3, vcc_lo
	s_and_saveexec_b32 s3, s4
	s_cbranch_execz .LBB1973_49
; %bb.48:
	s_wait_dscnt 0x0
	v_bcnt_u32_b32 v3, v3, v49
	ds_store_b32 v52, v3 offset:64
.LBB1973_49:
	s_or_b32 exec_lo, exec_lo, s3
	v_cmp_gt_i16_e32 vcc_lo, 0, v5
	; wave barrier
	v_cndmask_b32_e64 v3, 0x7fff, 0, vcc_lo
	s_delay_alu instid0(VALU_DEP_1) | instskip(NEXT) | instid1(VALU_DEP_1)
	v_xor_b32_e32 v50, v3, v5
	v_cmp_ne_u16_e32 vcc_lo, 0x8000, v50
	v_cndmask_b32_e32 v3, 0x7fff, v50, vcc_lo
	s_delay_alu instid0(VALU_DEP_1) | instskip(NEXT) | instid1(VALU_DEP_1)
	v_and_b32_e32 v3, 0xffff, v3
	v_lshrrev_b32_e32 v3, s20, v3
	s_delay_alu instid0(VALU_DEP_1) | instskip(SKIP_1) | instid1(VALU_DEP_2)
	v_bitop3_b32 v5, v3, 1, s29 bitop3:0x80
	v_and_b32_e32 v3, s29, v3
	v_add_co_u32 v5, s3, v5, -1
	s_delay_alu instid0(VALU_DEP_1) | instskip(NEXT) | instid1(VALU_DEP_3)
	v_cndmask_b32_e64 v6, 0, 1, s3
	v_lshlrev_b32_e32 v7, 30, v3
	s_delay_alu instid0(VALU_DEP_2) | instskip(NEXT) | instid1(VALU_DEP_2)
	v_cmp_ne_u32_e32 vcc_lo, 0, v6
	v_not_b32_e32 v6, v7
	s_delay_alu instid0(VALU_DEP_1) | instskip(SKIP_4) | instid1(VALU_DEP_4)
	v_dual_ashrrev_i32 v6, 31, v6 :: v_dual_bitop2_b32 v5, vcc_lo, v5 bitop3:0x14
	v_dual_lshlrev_b32 v8, 29, v3 :: v_dual_lshlrev_b32 v9, 28, v3
	v_dual_lshlrev_b32 v53, 27, v3 :: v_dual_lshlrev_b32 v54, 26, v3
	v_lshlrev_b32_e32 v55, 25, v3
	v_cmp_gt_i32_e64 s3, 0, v7
	v_cmp_gt_i32_e64 s4, 0, v8
	v_not_b32_e32 v7, v8
	v_not_b32_e32 v8, v9
	v_lshlrev_b32_e32 v56, 24, v3
	v_cmp_gt_i32_e64 s5, 0, v9
	v_cmp_gt_i32_e64 s6, 0, v53
	v_not_b32_e32 v9, v53
	v_not_b32_e32 v53, v54
	v_dual_ashrrev_i32 v7, 31, v7 :: v_dual_bitop2_b32 v6, s3, v6 bitop3:0x14
	v_ashrrev_i32_e32 v8, 31, v8
	v_cmp_gt_i32_e64 s7, 0, v54
	v_cmp_gt_i32_e64 s8, 0, v55
	v_not_b32_e32 v54, v55
	v_not_b32_e32 v55, v56
	v_dual_ashrrev_i32 v9, 31, v9 :: v_dual_bitop2_b32 v7, s4, v7 bitop3:0x14
	v_dual_ashrrev_i32 v53, 31, v53 :: v_dual_bitop2_b32 v8, s5, v8 bitop3:0x14
	v_bitop3_b32 v5, v5, v6, exec_lo bitop3:0x80
	v_cmp_gt_i32_e64 s9, 0, v56
	v_dual_ashrrev_i32 v6, 31, v54 :: v_dual_ashrrev_i32 v54, 31, v55
	v_xor_b32_e32 v9, s6, v9
	v_xor_b32_e32 v53, s7, v53
	v_bitop3_b32 v5, v5, v8, v7 bitop3:0x80
	v_mad_u32_u24 v57, 0x44, v3, v2
	v_xor_b32_e32 v3, s8, v6
	v_xor_b32_e32 v6, s9, v54
	s_delay_alu instid0(VALU_DEP_4) | instskip(SKIP_2) | instid1(VALU_DEP_1)
	v_bitop3_b32 v5, v5, v53, v9 bitop3:0x80
	ds_load_b32 v53, v57 offset:64
	; wave barrier
	v_bitop3_b32 v3, v5, v6, v3 bitop3:0x80
	v_mbcnt_lo_u32_b32 v54, v3, 0
	v_cmp_ne_u32_e64 s3, 0, v3
	s_delay_alu instid0(VALU_DEP_2) | instskip(SKIP_1) | instid1(SALU_CYCLE_1)
	v_cmp_eq_u32_e32 vcc_lo, 0, v54
	s_and_b32 s4, s3, vcc_lo
	s_and_saveexec_b32 s3, s4
	s_cbranch_execz .LBB1973_51
; %bb.50:
	s_wait_dscnt 0x0
	v_bcnt_u32_b32 v3, v3, v53
	ds_store_b32 v57, v3 offset:64
.LBB1973_51:
	s_or_b32 exec_lo, exec_lo, s3
	v_cmp_gt_i16_e32 vcc_lo, 0, v4
	; wave barrier
	v_cndmask_b32_e64 v3, 0x7fff, 0, vcc_lo
	s_delay_alu instid0(VALU_DEP_1) | instskip(NEXT) | instid1(VALU_DEP_1)
	v_xor_b32_e32 v55, v3, v4
	v_cmp_ne_u16_e32 vcc_lo, 0x8000, v55
	v_cndmask_b32_e32 v3, 0x7fff, v55, vcc_lo
	s_delay_alu instid0(VALU_DEP_1) | instskip(NEXT) | instid1(VALU_DEP_1)
	v_and_b32_e32 v3, 0xffff, v3
	v_lshrrev_b32_e32 v3, s20, v3
	s_delay_alu instid0(VALU_DEP_1) | instskip(SKIP_1) | instid1(VALU_DEP_2)
	v_bitop3_b32 v4, v3, 1, s29 bitop3:0x80
	v_and_b32_e32 v3, s29, v3
	v_add_co_u32 v4, s3, v4, -1
	s_delay_alu instid0(VALU_DEP_1) | instskip(NEXT) | instid1(VALU_DEP_3)
	v_cndmask_b32_e64 v5, 0, 1, s3
	v_lshlrev_b32_e32 v6, 30, v3
	s_delay_alu instid0(VALU_DEP_2) | instskip(NEXT) | instid1(VALU_DEP_2)
	v_cmp_ne_u32_e32 vcc_lo, 0, v5
	v_not_b32_e32 v5, v6
	s_delay_alu instid0(VALU_DEP_1) | instskip(SKIP_4) | instid1(VALU_DEP_4)
	v_dual_ashrrev_i32 v5, 31, v5 :: v_dual_bitop2_b32 v4, vcc_lo, v4 bitop3:0x14
	v_dual_lshlrev_b32 v7, 29, v3 :: v_dual_lshlrev_b32 v8, 28, v3
	v_dual_lshlrev_b32 v9, 27, v3 :: v_dual_lshlrev_b32 v56, 26, v3
	v_lshlrev_b32_e32 v58, 25, v3
	v_cmp_gt_i32_e64 s3, 0, v6
	v_cmp_gt_i32_e64 s4, 0, v7
	v_not_b32_e32 v6, v7
	v_not_b32_e32 v7, v8
	v_lshlrev_b32_e32 v59, 24, v3
	v_cmp_gt_i32_e64 s5, 0, v8
	v_cmp_gt_i32_e64 s6, 0, v9
	v_not_b32_e32 v8, v9
	v_not_b32_e32 v9, v56
	v_dual_ashrrev_i32 v6, 31, v6 :: v_dual_ashrrev_i32 v7, 31, v7
	v_xor_b32_e32 v5, s3, v5
	v_cmp_gt_i32_e64 s7, 0, v56
	v_cmp_gt_i32_e64 s8, 0, v58
	v_not_b32_e32 v56, v58
	v_not_b32_e32 v58, v59
	v_dual_ashrrev_i32 v8, 31, v8 :: v_dual_ashrrev_i32 v9, 31, v9
	v_xor_b32_e32 v6, s4, v6
	v_xor_b32_e32 v7, s5, v7
	v_bitop3_b32 v4, v4, v5, exec_lo bitop3:0x80
	v_cmp_gt_i32_e64 s9, 0, v59
	v_dual_ashrrev_i32 v5, 31, v56 :: v_dual_ashrrev_i32 v56, 31, v58
	v_xor_b32_e32 v8, s6, v8
	v_xor_b32_e32 v9, s7, v9
	v_bitop3_b32 v4, v4, v7, v6 bitop3:0x80
	v_mad_u32_u24 v59, 0x44, v3, v2
	v_xor_b32_e32 v2, s8, v5
	v_xor_b32_e32 v3, s9, v56
	s_delay_alu instid0(VALU_DEP_4) | instskip(SKIP_2) | instid1(VALU_DEP_1)
	v_bitop3_b32 v4, v4, v9, v8 bitop3:0x80
	ds_load_b32 v56, v59 offset:64
	; wave barrier
	v_bitop3_b32 v2, v4, v3, v2 bitop3:0x80
	v_mbcnt_lo_u32_b32 v58, v2, 0
	v_cmp_ne_u32_e64 s3, 0, v2
	s_delay_alu instid0(VALU_DEP_2) | instskip(SKIP_1) | instid1(SALU_CYCLE_1)
	v_cmp_eq_u32_e32 vcc_lo, 0, v58
	s_and_b32 s4, s3, vcc_lo
	s_and_saveexec_b32 s3, s4
	s_cbranch_execz .LBB1973_53
; %bb.52:
	s_wait_dscnt 0x0
	v_bcnt_u32_b32 v2, v2, v56
	ds_store_b32 v59, v2 offset:64
.LBB1973_53:
	s_or_b32 exec_lo, exec_lo, s3
	; wave barrier
	s_wait_dscnt 0x0
	s_barrier_signal -1
	s_barrier_wait -1
	ds_load_2addr_b32 v[8:9], v12 offset0:16 offset1:17
	ds_load_2addr_b32 v[6:7], v12 offset0:18 offset1:19
	;; [unrolled: 1-line block ×4, first 2 shown]
	ds_load_b32 v60, v12 offset:96
	s_mov_b32 s7, exec_lo
	s_wait_dscnt 0x3
	v_add3_u32 v61, v9, v8, v6
	s_wait_dscnt 0x2
	s_delay_alu instid0(VALU_DEP_1) | instskip(SKIP_1) | instid1(VALU_DEP_1)
	v_add3_u32 v61, v61, v7, v4
	s_wait_dscnt 0x1
	v_add3_u32 v61, v61, v5, v2
	s_wait_dscnt 0x0
	s_delay_alu instid0(VALU_DEP_1) | instskip(SKIP_1) | instid1(VALU_DEP_2)
	v_add3_u32 v60, v61, v3, v60
	v_and_b32_e32 v61, 15, v15
	v_mov_b32_dpp v62, v60 row_shr:1 row_mask:0xf bank_mask:0xf
	s_delay_alu instid0(VALU_DEP_2) | instskip(NEXT) | instid1(VALU_DEP_2)
	v_cmp_eq_u32_e32 vcc_lo, 0, v61
	v_cndmask_b32_e64 v62, v62, 0, vcc_lo
	s_delay_alu instid0(VALU_DEP_1) | instskip(SKIP_3) | instid1(VALU_DEP_4)
	v_add_nc_u32_e32 v60, v62, v60
	v_cmp_lt_u32_e64 s3, 1, v61
	v_cmp_lt_u32_e64 s4, 3, v61
	;; [unrolled: 1-line block ×3, first 2 shown]
	v_mov_b32_dpp v62, v60 row_shr:2 row_mask:0xf bank_mask:0xf
	s_delay_alu instid0(VALU_DEP_1) | instskip(NEXT) | instid1(VALU_DEP_1)
	v_cndmask_b32_e64 v62, 0, v62, s3
	v_add_nc_u32_e32 v60, v60, v62
	s_delay_alu instid0(VALU_DEP_1) | instskip(NEXT) | instid1(VALU_DEP_1)
	v_mov_b32_dpp v62, v60 row_shr:4 row_mask:0xf bank_mask:0xf
	v_cndmask_b32_e64 v62, 0, v62, s4
	s_delay_alu instid0(VALU_DEP_1) | instskip(NEXT) | instid1(VALU_DEP_1)
	v_add_nc_u32_e32 v60, v60, v62
	v_mov_b32_dpp v62, v60 row_shr:8 row_mask:0xf bank_mask:0xf
	s_delay_alu instid0(VALU_DEP_1) | instskip(SKIP_1) | instid1(VALU_DEP_2)
	v_cndmask_b32_e64 v61, 0, v62, s5
	v_bfe_i32 v62, v15, 4, 1
	v_add_nc_u32_e32 v60, v60, v61
	ds_swizzle_b32 v61, v60 offset:swizzle(BROADCAST,32,15)
	s_wait_dscnt 0x0
	v_and_b32_e32 v61, v62, v61
	v_min_u32_e32 v62, 0x1e0, v16
	s_delay_alu instid0(VALU_DEP_2) | instskip(NEXT) | instid1(VALU_DEP_2)
	v_dual_add_nc_u32 v60, v60, v61 :: v_dual_lshrrev_b32 v61, 5, v14
	v_or_b32_e32 v62, 31, v62
	s_delay_alu instid0(VALU_DEP_1)
	v_cmpx_eq_u32_e64 v14, v62
; %bb.54:
	s_delay_alu instid0(VALU_DEP_3)
	v_lshlrev_b32_e32 v62, 2, v61
	ds_store_b32 v62, v60
; %bb.55:
	s_or_b32 exec_lo, exec_lo, s7
	s_delay_alu instid0(SALU_CYCLE_1)
	s_mov_b32 s7, exec_lo
	s_wait_dscnt 0x0
	s_barrier_signal -1
	s_barrier_wait -1
	v_cmpx_gt_u32_e32 16, v14
	s_cbranch_execz .LBB1973_57
; %bb.56:
	v_lshlrev_b32_e32 v62, 2, v14
	ds_load_b32 v63, v62
	s_wait_dscnt 0x0
	v_mov_b32_dpp v64, v63 row_shr:1 row_mask:0xf bank_mask:0xf
	s_delay_alu instid0(VALU_DEP_1) | instskip(NEXT) | instid1(VALU_DEP_1)
	v_cndmask_b32_e64 v64, v64, 0, vcc_lo
	v_add_nc_u32_e32 v63, v64, v63
	s_delay_alu instid0(VALU_DEP_1) | instskip(NEXT) | instid1(VALU_DEP_1)
	v_mov_b32_dpp v64, v63 row_shr:2 row_mask:0xf bank_mask:0xf
	v_cndmask_b32_e64 v64, 0, v64, s3
	s_delay_alu instid0(VALU_DEP_1) | instskip(NEXT) | instid1(VALU_DEP_1)
	v_add_nc_u32_e32 v63, v63, v64
	v_mov_b32_dpp v64, v63 row_shr:4 row_mask:0xf bank_mask:0xf
	s_delay_alu instid0(VALU_DEP_1) | instskip(NEXT) | instid1(VALU_DEP_1)
	v_cndmask_b32_e64 v64, 0, v64, s4
	v_add_nc_u32_e32 v63, v63, v64
	s_delay_alu instid0(VALU_DEP_1) | instskip(NEXT) | instid1(VALU_DEP_1)
	v_mov_b32_dpp v64, v63 row_shr:8 row_mask:0xf bank_mask:0xf
	v_cndmask_b32_e64 v64, 0, v64, s5
	s_delay_alu instid0(VALU_DEP_1)
	v_add_nc_u32_e32 v63, v63, v64
	ds_store_b32 v62, v63
.LBB1973_57:
	s_or_b32 exec_lo, exec_lo, s7
	v_mov_b32_e32 v62, 0
	s_mov_b32 s3, exec_lo
	s_wait_dscnt 0x0
	s_barrier_signal -1
	s_barrier_wait -1
	v_cmpx_lt_u32_e32 31, v14
; %bb.58:
	v_lshl_add_u32 v61, v61, 2, -4
	ds_load_b32 v62, v61
; %bb.59:
	s_or_b32 exec_lo, exec_lo, s3
	v_sub_co_u32 v61, vcc_lo, v15, 1
	s_wait_dscnt 0x0
	v_add_nc_u32_e32 v60, v62, v60
	s_delay_alu instid0(VALU_DEP_2) | instskip(NEXT) | instid1(VALU_DEP_1)
	v_cmp_gt_i32_e64 s3, 0, v61
	v_cndmask_b32_e64 v61, v61, v15, s3
	v_cmp_gt_u32_e64 s3, 0x100, v14
	s_delay_alu instid0(VALU_DEP_2) | instskip(SKIP_4) | instid1(VALU_DEP_2)
	v_lshlrev_b32_e32 v61, 2, v61
	ds_bpermute_b32 v60, v61, v60
	s_wait_dscnt 0x0
	v_cndmask_b32_e32 v60, v60, v62, vcc_lo
	v_cmp_lt_u32_e32 vcc_lo, 0xff, v14
	v_cndmask_b32_e64 v60, v60, 0, s2
	s_delay_alu instid0(VALU_DEP_1) | instskip(NEXT) | instid1(VALU_DEP_1)
	v_add_nc_u32_e32 v8, v60, v8
	v_add_nc_u32_e32 v9, v8, v9
	s_delay_alu instid0(VALU_DEP_1) | instskip(NEXT) | instid1(VALU_DEP_1)
	v_add_nc_u32_e32 v6, v9, v6
	v_add_nc_u32_e32 v7, v6, v7
	s_delay_alu instid0(VALU_DEP_1) | instskip(NEXT) | instid1(VALU_DEP_1)
	v_add_nc_u32_e32 v4, v7, v4
	v_add_nc_u32_e32 v5, v4, v5
	s_delay_alu instid0(VALU_DEP_1) | instskip(NEXT) | instid1(VALU_DEP_1)
	v_add_nc_u32_e32 v2, v5, v2
	v_add_nc_u32_e32 v3, v2, v3
	ds_store_2addr_b32 v12, v60, v8 offset0:16 offset1:17
	ds_store_2addr_b32 v12, v9, v6 offset0:18 offset1:19
	;; [unrolled: 1-line block ×4, first 2 shown]
	ds_store_b32 v12, v3 offset:96
	s_wait_dscnt 0x0
	s_barrier_signal -1
	s_barrier_wait -1
	ds_load_b32 v61, v13 offset:64
	ds_load_b32 v62, v20 offset:64
	;; [unrolled: 1-line block ×12, first 2 shown]
	v_mov_b64_e32 v[2:3], 0
                                        ; implicit-def: $vgpr4
	s_and_saveexec_b32 s5, s3
	s_cbranch_execz .LBB1973_63
; %bb.60:
	v_mul_u32_u24_e32 v2, 0x44, v14
	v_dual_mov_b32 v3, 0x1800 :: v_dual_add_nc_u32 v4, 1, v14
	s_mov_b32 s6, exec_lo
	ds_load_b32 v2, v2 offset:64
	v_cmpx_ne_u32_e32 0x100, v4
; %bb.61:
	v_mul_u32_u24_e32 v3, 0x44, v4
	ds_load_b32 v3, v3 offset:64
; %bb.62:
	s_or_b32 exec_lo, exec_lo, s6
	s_wait_dscnt 0x0
	v_dual_mov_b32 v3, 0 :: v_dual_sub_nc_u32 v4, v3, v2
.LBB1973_63:
	s_or_b32 exec_lo, exec_lo, s5
	v_dual_lshlrev_b32 v10, 1, v10 :: v_dual_lshlrev_b32 v19, 1, v19
	s_wait_dscnt 0xa
	v_lshlrev_b32_e32 v28, 1, v62
	v_dual_lshlrev_b32 v18, 1, v18 :: v_dual_lshlrev_b32 v23, 1, v23
	s_delay_alu instid0(VALU_DEP_3) | instskip(SKIP_2) | instid1(VALU_DEP_3)
	v_lshl_add_u32 v10, v61, 1, v10
	v_lshlrev_b32_e32 v22, 1, v22
	s_wait_dscnt 0x0
	v_add3_u32 v18, v28, v19, v18
	v_lshlrev_b32_e32 v19, 1, v60
	s_barrier_signal -1
	s_barrier_wait -1
	ds_store_b16 v10, v1 offset:2048
	ds_store_b16 v18, v11 offset:2048
	v_lshlrev_b32_e32 v10, 1, v24
	v_add3_u32 v1, v19, v23, v22
	v_dual_lshlrev_b32 v11, 1, v27 :: v_dual_lshlrev_b32 v18, 1, v26
	v_dual_lshlrev_b32 v22, 1, v29 :: v_dual_lshlrev_b32 v23, 1, v34
	;; [unrolled: 1-line block ×6, first 2 shown]
	ds_store_b16 v1, v17 offset:2048
	v_add3_u32 v1, v10, v11, v18
	v_add3_u32 v11, v13, v23, v24
	v_dual_lshlrev_b32 v13, 1, v43 :: v_dual_lshlrev_b32 v17, 1, v42
	v_add3_u32 v10, v19, v20, v22
	v_add3_u32 v12, v12, v26, v27
	ds_store_b16 v1, v21 offset:2048
	ds_store_b16 v10, v25 offset:2048
	;; [unrolled: 1-line block ×4, first 2 shown]
	v_add3_u32 v1, v9, v13, v17
	v_dual_lshlrev_b32 v8, 1, v8 :: v_dual_lshlrev_b32 v9, 1, v47
	v_dual_lshlrev_b32 v10, 1, v46 :: v_dual_lshlrev_b32 v7, 1, v7
	v_dual_lshlrev_b32 v11, 1, v51 :: v_dual_lshlrev_b32 v12, 1, v49
	v_dual_lshlrev_b32 v6, 1, v6 :: v_dual_lshlrev_b32 v17, 1, v53
	v_dual_lshlrev_b32 v13, 1, v54 :: v_dual_lshlrev_b32 v5, 1, v5
	v_dual_lshlrev_b32 v18, 1, v58 :: v_dual_lshlrev_b32 v19, 1, v56
	ds_store_b16 v1, v37 offset:2048
	v_add3_u32 v8, v8, v9, v10
	v_add3_u32 v9, v7, v11, v12
	v_dual_mov_b32 v7, 0 :: v_dual_lshlrev_b32 v1, 3, v14
	v_add3_u32 v6, v6, v13, v17
	v_add3_u32 v5, v5, v18, v19
	ds_store_b16 v8, v41 offset:2048
	ds_store_b16 v9, v45 offset:2048
	;; [unrolled: 1-line block ×4, first 2 shown]
	s_and_saveexec_b32 s4, s3
	s_cbranch_execz .LBB1973_73
; %bb.64:
	v_lshl_add_u32 v6, s23, 8, v14
	v_dual_mov_b32 v10, 0 :: v_dual_bitop2_b32 v5, 2.0, v4 bitop3:0x54
	s_mov_b32 s5, 0
	s_mov_b32 s6, s23
	s_delay_alu instid0(VALU_DEP_2)
	v_lshl_add_u64 v[8:9], v[6:7], 2, s[10:11]
	global_store_b32 v6, v5, s[10:11] scale_offset scope:SCOPE_DEV
                                        ; implicit-def: $sgpr3
	s_branch .LBB1973_67
.LBB1973_65:                            ;   in Loop: Header=BB1973_67 Depth=1
	s_or_b32 exec_lo, exec_lo, s8
.LBB1973_66:                            ;   in Loop: Header=BB1973_67 Depth=1
	s_delay_alu instid0(SALU_CYCLE_1) | instskip(SKIP_2) | instid1(VALU_DEP_2)
	s_or_b32 exec_lo, exec_lo, s7
	v_and_b32_e32 v6, 0x3fffffff, v5
	v_cmp_gt_i32_e64 s3, -2.0, v5
	v_add_nc_u32_e32 v10, v6, v10
	s_and_b32 s7, exec_lo, s3
	s_delay_alu instid0(SALU_CYCLE_1) | instskip(NEXT) | instid1(SALU_CYCLE_1)
	s_or_b32 s5, s7, s5
	s_and_not1_b32 exec_lo, exec_lo, s5
	s_cbranch_execz .LBB1973_72
.LBB1973_67:                            ; =>This Loop Header: Depth=1
                                        ;     Child Loop BB1973_70 Depth 2
	s_or_b32 s3, s3, exec_lo
	s_cmp_eq_u32 s6, 0
	s_cbranch_scc1 .LBB1973_71
; %bb.68:                               ;   in Loop: Header=BB1973_67 Depth=1
	s_add_co_i32 s6, s6, -1
	s_mov_b32 s7, exec_lo
	s_wait_xcnt 0x0
	v_lshl_or_b32 v6, s6, 8, v14
	global_load_b32 v5, v6, s[10:11] scale_offset scope:SCOPE_DEV
	s_wait_loadcnt 0x0
	v_cmpx_gt_u32_e32 2.0, v5
	s_cbranch_execz .LBB1973_66
; %bb.69:                               ;   in Loop: Header=BB1973_67 Depth=1
	v_lshl_add_u64 v[12:13], v[6:7], 2, s[10:11]
	s_mov_b32 s8, 0
.LBB1973_70:                            ;   Parent Loop BB1973_67 Depth=1
                                        ; =>  This Inner Loop Header: Depth=2
	global_load_b32 v5, v[12:13], off scope:SCOPE_DEV
	s_wait_loadcnt 0x0
	v_cmp_lt_u32_e64 s3, 0x3fffffff, v5
	s_or_b32 s8, s3, s8
	s_wait_xcnt 0x0
	s_and_not1_b32 exec_lo, exec_lo, s8
	s_cbranch_execnz .LBB1973_70
	s_branch .LBB1973_65
.LBB1973_71:                            ;   in Loop: Header=BB1973_67 Depth=1
                                        ; implicit-def: $sgpr6
	s_and_b32 s7, exec_lo, s3
	s_delay_alu instid0(SALU_CYCLE_1)
	s_or_b32 s5, s7, s5
	s_wait_xcnt 0x0
	s_and_not1_b32 exec_lo, exec_lo, s5
	s_cbranch_execnz .LBB1973_67
.LBB1973_72:
	s_or_b32 exec_lo, exec_lo, s5
	v_dual_add_nc_u32 v5, v10, v4 :: v_dual_mov_b32 v11, 0
	s_delay_alu instid0(VALU_DEP_1)
	v_or_b32_e32 v5, 0x80000000, v5
	global_store_b32 v[8:9], v5, off scope:SCOPE_DEV
	global_load_b64 v[6:7], v14, s[12:13] scale_offset
	s_wait_xcnt 0x1
	v_sub_nc_u64_e32 v[8:9], v[10:11], v[2:3]
	s_wait_loadcnt 0x0
	s_delay_alu instid0(VALU_DEP_1)
	v_add_nc_u64_e32 v[6:7], v[8:9], v[6:7]
	ds_store_b64 v1, v[6:7]
.LBB1973_73:
	s_wait_xcnt 0x0
	s_or_b32 exec_lo, exec_lo, s4
	v_mad_i32_i24 v5, v14, -6, v1
	s_mov_b32 s4, exec_lo
	s_wait_storecnt_dscnt 0x0
	s_barrier_signal -1
	s_barrier_wait -1
	v_cmpx_gt_u32_e64 s22, v14
	s_cbranch_execz .LBB1973_75
; %bb.74:
	ds_load_u16 v10, v5 offset:2048
	v_dual_mov_b32 v9, 0 :: v_dual_lshlrev_b32 v8, 1, v14
	s_wait_dscnt 0x0
	v_cmp_ne_u16_e64 s3, 0x8000, v10
	s_delay_alu instid0(VALU_DEP_1) | instskip(SKIP_1) | instid1(VALU_DEP_2)
	v_cndmask_b32_e64 v6, 0x7fff, v10, s3
	v_cmp_gt_i16_e64 s3, 0, v10
	v_and_b32_e32 v6, 0xffff, v6
	s_delay_alu instid0(VALU_DEP_2) | instskip(NEXT) | instid1(VALU_DEP_2)
	v_cndmask_b32_e64 v11, 0x7fff, 0, s3
	v_lshrrev_b32_e32 v6, s20, v6
	s_delay_alu instid0(VALU_DEP_1) | instskip(NEXT) | instid1(VALU_DEP_1)
	v_and_b32_e32 v6, s29, v6
	v_lshlrev_b32_e32 v6, 3, v6
	ds_load_b64 v[6:7], v6
	s_wait_dscnt 0x0
	v_lshl_add_u64 v[6:7], v[6:7], 1, s[18:19]
	s_delay_alu instid0(VALU_DEP_1)
	v_add_nc_u64_e32 v[6:7], v[6:7], v[8:9]
	v_xor_b32_e32 v8, v11, v10
	global_store_b16 v[6:7], v8, off
.LBB1973_75:
	s_wait_xcnt 0x0
	s_or_b32 exec_lo, exec_lo, s4
	v_add_nc_u32_e32 v6, 0x200, v14
	s_mov_b32 s4, exec_lo
	s_delay_alu instid0(VALU_DEP_1)
	v_cmpx_gt_u32_e64 s22, v6
	s_cbranch_execz .LBB1973_77
; %bb.76:
	ds_load_u16 v10, v5 offset:3072
	v_dual_mov_b32 v9, 0 :: v_dual_lshlrev_b32 v8, 1, v14
	s_wait_dscnt 0x0
	v_cmp_ne_u16_e64 s3, 0x8000, v10
	s_delay_alu instid0(VALU_DEP_1) | instskip(SKIP_1) | instid1(VALU_DEP_2)
	v_cndmask_b32_e64 v6, 0x7fff, v10, s3
	v_cmp_gt_i16_e64 s3, 0, v10
	v_and_b32_e32 v6, 0xffff, v6
	s_delay_alu instid0(VALU_DEP_2) | instskip(NEXT) | instid1(VALU_DEP_2)
	v_cndmask_b32_e64 v11, 0x7fff, 0, s3
	v_lshrrev_b32_e32 v6, s20, v6
	s_delay_alu instid0(VALU_DEP_1) | instskip(NEXT) | instid1(VALU_DEP_1)
	v_and_b32_e32 v6, s29, v6
	v_lshlrev_b32_e32 v6, 3, v6
	ds_load_b64 v[6:7], v6
	s_wait_dscnt 0x0
	v_lshl_add_u64 v[6:7], v[6:7], 1, s[18:19]
	s_delay_alu instid0(VALU_DEP_1)
	v_add_nc_u64_e32 v[6:7], v[6:7], v[8:9]
	v_xor_b32_e32 v8, v11, v10
	global_store_b16 v[6:7], v8, off offset:1024
.LBB1973_77:
	s_wait_xcnt 0x0
	s_or_b32 exec_lo, exec_lo, s4
	v_or_b32_e32 v6, 0x400, v14
	s_mov_b32 s4, exec_lo
	s_delay_alu instid0(VALU_DEP_1)
	v_cmpx_gt_u32_e64 s22, v6
	s_cbranch_execz .LBB1973_79
; %bb.78:
	ds_load_u16 v10, v5 offset:4096
	v_dual_mov_b32 v9, 0 :: v_dual_lshlrev_b32 v8, 1, v14
	s_wait_dscnt 0x0
	v_cmp_ne_u16_e64 s3, 0x8000, v10
	s_delay_alu instid0(VALU_DEP_1) | instskip(SKIP_1) | instid1(VALU_DEP_2)
	v_cndmask_b32_e64 v6, 0x7fff, v10, s3
	v_cmp_gt_i16_e64 s3, 0, v10
	v_and_b32_e32 v6, 0xffff, v6
	s_delay_alu instid0(VALU_DEP_2) | instskip(NEXT) | instid1(VALU_DEP_2)
	v_cndmask_b32_e64 v11, 0x7fff, 0, s3
	v_lshrrev_b32_e32 v6, s20, v6
	s_delay_alu instid0(VALU_DEP_1) | instskip(NEXT) | instid1(VALU_DEP_1)
	v_and_b32_e32 v6, s29, v6
	v_lshlrev_b32_e32 v6, 3, v6
	ds_load_b64 v[6:7], v6
	s_wait_dscnt 0x0
	v_lshl_add_u64 v[6:7], v[6:7], 1, s[18:19]
	s_delay_alu instid0(VALU_DEP_1)
	v_add_nc_u64_e32 v[6:7], v[6:7], v[8:9]
	v_xor_b32_e32 v8, v11, v10
	global_store_b16 v[6:7], v8, off offset:2048
.LBB1973_79:
	s_wait_xcnt 0x0
	s_or_b32 exec_lo, exec_lo, s4
	v_add_nc_u32_e32 v6, 0x600, v14
	s_mov_b32 s4, exec_lo
	s_delay_alu instid0(VALU_DEP_1)
	v_cmpx_gt_u32_e64 s22, v6
	s_cbranch_execz .LBB1973_81
; %bb.80:
	ds_load_u16 v10, v5 offset:5120
	v_dual_mov_b32 v9, 0 :: v_dual_lshlrev_b32 v8, 1, v14
	s_wait_dscnt 0x0
	v_cmp_ne_u16_e64 s3, 0x8000, v10
	s_delay_alu instid0(VALU_DEP_1) | instskip(SKIP_1) | instid1(VALU_DEP_2)
	v_cndmask_b32_e64 v6, 0x7fff, v10, s3
	v_cmp_gt_i16_e64 s3, 0, v10
	v_and_b32_e32 v6, 0xffff, v6
	s_delay_alu instid0(VALU_DEP_2) | instskip(NEXT) | instid1(VALU_DEP_2)
	v_cndmask_b32_e64 v11, 0x7fff, 0, s3
	v_lshrrev_b32_e32 v6, s20, v6
	s_delay_alu instid0(VALU_DEP_1) | instskip(NEXT) | instid1(VALU_DEP_1)
	v_and_b32_e32 v6, s29, v6
	v_lshlrev_b32_e32 v6, 3, v6
	ds_load_b64 v[6:7], v6
	s_wait_dscnt 0x0
	v_lshl_add_u64 v[6:7], v[6:7], 1, s[18:19]
	s_delay_alu instid0(VALU_DEP_1)
	v_add_nc_u64_e32 v[6:7], v[6:7], v[8:9]
	v_xor_b32_e32 v8, v11, v10
	global_store_b16 v[6:7], v8, off offset:3072
.LBB1973_81:
	s_wait_xcnt 0x0
	s_or_b32 exec_lo, exec_lo, s4
	v_or_b32_e32 v6, 0x800, v14
	s_mov_b32 s4, exec_lo
	s_delay_alu instid0(VALU_DEP_1)
	v_cmpx_gt_u32_e64 s22, v6
	s_cbranch_execz .LBB1973_83
; %bb.82:
	ds_load_u16 v10, v5 offset:6144
	v_dual_mov_b32 v9, 0 :: v_dual_lshlrev_b32 v8, 1, v14
	s_wait_dscnt 0x0
	v_cmp_ne_u16_e64 s3, 0x8000, v10
	s_delay_alu instid0(VALU_DEP_1) | instskip(SKIP_1) | instid1(VALU_DEP_2)
	v_cndmask_b32_e64 v6, 0x7fff, v10, s3
	v_cmp_gt_i16_e64 s3, 0, v10
	v_and_b32_e32 v6, 0xffff, v6
	s_delay_alu instid0(VALU_DEP_2) | instskip(NEXT) | instid1(VALU_DEP_2)
	v_cndmask_b32_e64 v11, 0x7fff, 0, s3
	v_lshrrev_b32_e32 v6, s20, v6
	s_delay_alu instid0(VALU_DEP_1) | instskip(NEXT) | instid1(VALU_DEP_1)
	v_and_b32_e32 v6, s29, v6
	v_lshlrev_b32_e32 v6, 3, v6
	ds_load_b64 v[6:7], v6
	s_wait_dscnt 0x0
	v_lshl_add_u64 v[6:7], v[6:7], 1, s[18:19]
	s_delay_alu instid0(VALU_DEP_1)
	v_add_nc_u64_e32 v[6:7], v[6:7], v[8:9]
	v_xor_b32_e32 v8, v11, v10
	global_store_b16 v[6:7], v8, off offset:4096
.LBB1973_83:
	;; [unrolled: 60-line block ×3, first 2 shown]
	s_wait_xcnt 0x0
	s_or_b32 exec_lo, exec_lo, s4
	v_add_nc_u32_e32 v6, 0xe00, v14
	s_mov_b32 s4, exec_lo
	s_delay_alu instid0(VALU_DEP_1)
	v_cmpx_gt_u32_e64 s22, v6
	s_cbranch_execz .LBB1973_89
; %bb.88:
	ds_load_u16 v5, v5 offset:9216
	v_dual_mov_b32 v9, 0 :: v_dual_lshlrev_b32 v8, 1, v14
	s_wait_dscnt 0x0
	v_cmp_ne_u16_e64 s3, 0x8000, v5
	s_delay_alu instid0(VALU_DEP_1) | instskip(SKIP_1) | instid1(VALU_DEP_2)
	v_cndmask_b32_e64 v6, 0x7fff, v5, s3
	v_cmp_gt_i16_e64 s3, 0, v5
	v_and_b32_e32 v6, 0xffff, v6
	s_delay_alu instid0(VALU_DEP_2) | instskip(NEXT) | instid1(VALU_DEP_1)
	v_cndmask_b32_e64 v10, 0x7fff, 0, s3
	v_dual_lshrrev_b32 v6, s20, v6 :: v_dual_bitop2_b32 v5, v10, v5 bitop3:0x14
	s_delay_alu instid0(VALU_DEP_1) | instskip(NEXT) | instid1(VALU_DEP_1)
	v_and_b32_e32 v6, s29, v6
	v_lshlrev_b32_e32 v6, 3, v6
	ds_load_b64 v[6:7], v6
	s_wait_dscnt 0x0
	v_lshl_add_u64 v[6:7], v[6:7], 1, s[18:19]
	s_delay_alu instid0(VALU_DEP_1)
	v_add_nc_u64_e32 v[6:7], v[6:7], v[8:9]
	global_store_b16 v[6:7], v5, off offset:7168
.LBB1973_89:
	s_wait_xcnt 0x0
	s_or_b32 exec_lo, exec_lo, s4
	v_or_b32_e32 v5, 0x1000, v14
	s_mov_b32 s4, exec_lo
	s_delay_alu instid0(VALU_DEP_1)
	v_cmpx_gt_u32_e64 s22, v5
	s_cbranch_execz .LBB1973_91
; %bb.90:
	v_lshlrev_b32_e32 v6, 1, v14
	ds_load_u16 v5, v6 offset:10240
	s_wait_dscnt 0x0
	v_cmp_ne_u16_e64 s3, 0x8000, v5
	s_delay_alu instid0(VALU_DEP_1) | instskip(SKIP_1) | instid1(VALU_DEP_2)
	v_cndmask_b32_e64 v7, 0x7fff, v5, s3
	v_cmp_gt_i16_e64 s3, 0, v5
	v_and_b32_e32 v7, 0xffff, v7
	s_delay_alu instid0(VALU_DEP_2) | instskip(NEXT) | instid1(VALU_DEP_1)
	v_cndmask_b32_e64 v10, 0x7fff, 0, s3
	v_dual_lshrrev_b32 v7, s20, v7 :: v_dual_bitop2_b32 v5, v10, v5 bitop3:0x14
	s_delay_alu instid0(VALU_DEP_1) | instskip(NEXT) | instid1(VALU_DEP_1)
	v_and_b32_e32 v7, s29, v7
	v_lshlrev_b32_e32 v7, 3, v7
	ds_load_b64 v[8:9], v7
	v_mov_b32_e32 v7, 0
	s_wait_dscnt 0x0
	v_lshl_add_u64 v[8:9], v[8:9], 1, s[18:19]
	s_delay_alu instid0(VALU_DEP_1)
	v_add_nc_u64_e32 v[6:7], v[8:9], v[6:7]
	global_store_b16 v[6:7], v5, off offset:8192
.LBB1973_91:
	s_wait_xcnt 0x0
	s_or_b32 exec_lo, exec_lo, s4
	v_add_nc_u32_e32 v5, 0x1200, v14
	s_mov_b32 s4, exec_lo
	s_delay_alu instid0(VALU_DEP_1)
	v_cmpx_gt_u32_e64 s22, v5
	s_cbranch_execz .LBB1973_93
; %bb.92:
	v_lshlrev_b32_e32 v6, 1, v14
	ds_load_u16 v5, v6 offset:11264
	s_wait_dscnt 0x0
	v_cmp_ne_u16_e64 s3, 0x8000, v5
	s_delay_alu instid0(VALU_DEP_1) | instskip(SKIP_1) | instid1(VALU_DEP_2)
	v_cndmask_b32_e64 v7, 0x7fff, v5, s3
	v_cmp_gt_i16_e64 s3, 0, v5
	v_and_b32_e32 v7, 0xffff, v7
	s_delay_alu instid0(VALU_DEP_2) | instskip(NEXT) | instid1(VALU_DEP_1)
	v_cndmask_b32_e64 v10, 0x7fff, 0, s3
	v_dual_lshrrev_b32 v7, s20, v7 :: v_dual_bitop2_b32 v5, v10, v5 bitop3:0x14
	s_delay_alu instid0(VALU_DEP_1) | instskip(NEXT) | instid1(VALU_DEP_1)
	v_and_b32_e32 v7, s29, v7
	v_lshlrev_b32_e32 v7, 3, v7
	ds_load_b64 v[8:9], v7
	v_mov_b32_e32 v7, 0
	s_wait_dscnt 0x0
	v_lshl_add_u64 v[8:9], v[8:9], 1, s[18:19]
	s_delay_alu instid0(VALU_DEP_1)
	v_add_nc_u64_e32 v[6:7], v[8:9], v[6:7]
	global_store_b16 v[6:7], v5, off offset:9216
.LBB1973_93:
	s_wait_xcnt 0x0
	s_or_b32 exec_lo, exec_lo, s4
	v_or_b32_e32 v5, 0x1400, v14
	s_mov_b32 s4, exec_lo
	s_delay_alu instid0(VALU_DEP_1)
	v_cmpx_gt_u32_e64 s22, v5
	s_cbranch_execz .LBB1973_95
; %bb.94:
	v_lshlrev_b32_e32 v6, 1, v14
	ds_load_u16 v5, v6 offset:12288
	s_wait_dscnt 0x0
	v_cmp_ne_u16_e64 s3, 0x8000, v5
	s_delay_alu instid0(VALU_DEP_1) | instskip(SKIP_1) | instid1(VALU_DEP_2)
	v_cndmask_b32_e64 v7, 0x7fff, v5, s3
	v_cmp_gt_i16_e64 s3, 0, v5
	v_and_b32_e32 v7, 0xffff, v7
	s_delay_alu instid0(VALU_DEP_2) | instskip(NEXT) | instid1(VALU_DEP_1)
	v_cndmask_b32_e64 v10, 0x7fff, 0, s3
	v_dual_lshrrev_b32 v7, s20, v7 :: v_dual_bitop2_b32 v5, v10, v5 bitop3:0x14
	s_delay_alu instid0(VALU_DEP_1) | instskip(NEXT) | instid1(VALU_DEP_1)
	v_and_b32_e32 v7, s29, v7
	v_lshlrev_b32_e32 v7, 3, v7
	ds_load_b64 v[8:9], v7
	v_mov_b32_e32 v7, 0
	s_wait_dscnt 0x0
	v_lshl_add_u64 v[8:9], v[8:9], 1, s[18:19]
	s_delay_alu instid0(VALU_DEP_1)
	v_add_nc_u64_e32 v[6:7], v[8:9], v[6:7]
	global_store_b16 v[6:7], v5, off offset:10240
.LBB1973_95:
	s_wait_xcnt 0x0
	s_or_b32 exec_lo, exec_lo, s4
	v_add_nc_u32_e32 v5, 0x1600, v14
	s_mov_b32 s4, exec_lo
	s_delay_alu instid0(VALU_DEP_1)
	v_cmpx_gt_u32_e64 s22, v5
	s_cbranch_execz .LBB1973_97
; %bb.96:
	v_lshlrev_b32_e32 v6, 1, v14
	ds_load_u16 v5, v6 offset:13312
	s_wait_dscnt 0x0
	v_cmp_ne_u16_e64 s3, 0x8000, v5
	s_delay_alu instid0(VALU_DEP_1) | instskip(SKIP_1) | instid1(VALU_DEP_2)
	v_cndmask_b32_e64 v7, 0x7fff, v5, s3
	v_cmp_gt_i16_e64 s3, 0, v5
	v_and_b32_e32 v7, 0xffff, v7
	s_delay_alu instid0(VALU_DEP_2) | instskip(NEXT) | instid1(VALU_DEP_1)
	v_cndmask_b32_e64 v10, 0x7fff, 0, s3
	v_dual_lshrrev_b32 v7, s20, v7 :: v_dual_bitop2_b32 v5, v10, v5 bitop3:0x14
	s_delay_alu instid0(VALU_DEP_1) | instskip(NEXT) | instid1(VALU_DEP_1)
	v_and_b32_e32 v7, s29, v7
	v_lshlrev_b32_e32 v7, 3, v7
	ds_load_b64 v[8:9], v7
	v_mov_b32_e32 v7, 0
	s_wait_dscnt 0x0
	v_lshl_add_u64 v[8:9], v[8:9], 1, s[18:19]
	s_delay_alu instid0(VALU_DEP_1)
	v_add_nc_u64_e32 v[6:7], v[8:9], v[6:7]
	global_store_b16 v[6:7], v5, off offset:11264
.LBB1973_97:
	s_wait_xcnt 0x0
	s_or_b32 exec_lo, exec_lo, s4
	s_add_co_i32 s25, s25, -1
	s_delay_alu instid0(SALU_CYCLE_1) | instskip(SKIP_2) | instid1(SALU_CYCLE_1)
	s_cmp_eq_u32 s23, s25
	s_cselect_b32 s3, -1, 0
	s_xor_b32 s4, vcc_lo, -1
	s_and_b32 s4, s4, s3
	s_delay_alu instid0(SALU_CYCLE_1)
	s_and_saveexec_b32 s3, s4
	s_cbranch_execz .LBB1973_99
; %bb.98:
	ds_load_b64 v[6:7], v1
	v_mov_b32_e32 v5, 0
	s_delay_alu instid0(VALU_DEP_1) | instskip(SKIP_1) | instid1(VALU_DEP_1)
	v_add_nc_u64_e32 v[2:3], v[2:3], v[4:5]
	s_wait_dscnt 0x0
	v_add_nc_u64_e32 v[2:3], v[2:3], v[6:7]
	global_store_b64 v14, v[2:3], s[14:15] scale_offset
.LBB1973_99:
	s_wait_xcnt 0x0
	s_or_b32 exec_lo, exec_lo, s3
	s_mov_b32 s4, 0
.LBB1973_100:
	s_delay_alu instid0(SALU_CYCLE_1)
	s_and_b32 vcc_lo, exec_lo, s4
	s_cbranch_vccz .LBB1973_147
; %bb.101:
	s_mov_b32 s25, 0
	v_dual_mov_b32 v9, 0 :: v_dual_lshlrev_b32 v8, 1, v15
	s_lshl_b64 s[4:5], s[24:25], 1
	v_mul_u32_u24_e32 v1, 12, v16
	s_add_nc_u64 s[4:5], s[16:17], s[4:5]
	v_bfe_u32 v12, v0, 10, 10
	v_add_nc_u64_e32 v[2:3], s[4:5], v[8:9]
	v_bfe_u32 v0, v0, 20, 10
	v_lshlrev_b32_e32 v8, 1, v1
	s_delay_alu instid0(VALU_DEP_1)
	v_add_nc_u64_e32 v[18:19], v[2:3], v[8:9]
	s_clause 0xb
	global_load_u16 v8, v[18:19], off
	global_load_u16 v10, v[18:19], off offset:64
	global_load_u16 v13, v[18:19], off offset:128
	;; [unrolled: 1-line block ×11, first 2 shown]
	s_clause 0x1
	s_load_b32 s8, s[0:1], 0x58
	s_load_u16 s3, s[0:1], 0x66
	s_wait_xcnt 0x0
	s_bfe_u32 s0, ttmp6, 0x4000c
	s_and_b32 s1, ttmp6, 15
	s_add_co_i32 s0, s0, 1
	s_delay_alu instid0(SALU_CYCLE_1) | instskip(NEXT) | instid1(SALU_CYCLE_1)
	s_mul_i32 s0, ttmp9, s0
	s_add_co_i32 s1, s1, s0
	s_cmp_eq_u32 s28, 0
	s_cselect_b32 s0, ttmp9, s1
	s_wait_kmcnt 0x0
	s_cmp_lt_u32 s0, s8
	v_mad_u32_u24 v0, v0, s3, v12
	s_cselect_b32 s24, 12, 18
	s_lshl_b32 s9, -1, s21
	s_add_nc_u64 s[0:1], s[26:27], s[24:25]
	s_load_u16 s16, s[0:1], 0x0
	s_wait_kmcnt 0x0
	v_mad_u32 v0, v0, s16, v14
	s_delay_alu instid0(VALU_DEP_1) | instskip(NEXT) | instid1(VALU_DEP_1)
	v_lshrrev_b32_e32 v0, 5, v0
	v_lshlrev_b32_e32 v0, 2, v0
	s_wait_loadcnt 0xb
	v_cmp_gt_i16_e32 vcc_lo, 0, v8
	v_cndmask_b32_e64 v11, 0x7fff, 0, vcc_lo
	s_delay_alu instid0(VALU_DEP_1) | instskip(NEXT) | instid1(VALU_DEP_1)
	v_xor_b32_e32 v8, v11, v8
	v_cmp_ne_u16_e32 vcc_lo, 0x8000, v8
	v_cndmask_b32_e32 v11, 0x7fff, v8, vcc_lo
	s_delay_alu instid0(VALU_DEP_1) | instskip(NEXT) | instid1(VALU_DEP_1)
	v_and_b32_e32 v11, 0xffff, v11
	v_lshrrev_b32_e32 v11, s20, v11
	s_delay_alu instid0(VALU_DEP_1) | instskip(SKIP_2) | instid1(VALU_DEP_2)
	v_bitop3_b32 v12, v11, 1, s9 bitop3:0x40
	v_bitop3_b32 v18, v11, s9, v11 bitop3:0x30
	s_not_b32 s9, s9
	v_add_co_u32 v11, s0, v12, -1
	s_delay_alu instid0(VALU_DEP_1) | instskip(NEXT) | instid1(VALU_DEP_3)
	v_cndmask_b32_e64 v12, 0, 1, s0
	v_dual_lshlrev_b32 v17, 30, v18 :: v_dual_lshlrev_b32 v19, 29, v18
	v_dual_lshlrev_b32 v21, 28, v18 :: v_dual_lshlrev_b32 v22, 27, v18
	s_delay_alu instid0(VALU_DEP_3) | instskip(NEXT) | instid1(VALU_DEP_3)
	v_cmp_ne_u32_e32 vcc_lo, 0, v12
	v_not_b32_e32 v12, v17
	v_dual_lshlrev_b32 v23, 26, v18 :: v_dual_lshlrev_b32 v25, 25, v18
	v_lshlrev_b32_e32 v26, 24, v18
	v_cmp_gt_i32_e64 s0, 0, v17
	v_cmp_gt_i32_e64 s1, 0, v19
	v_not_b32_e32 v17, v19
	v_not_b32_e32 v19, v21
	v_ashrrev_i32_e32 v12, 31, v12
	v_cmp_gt_i32_e64 s3, 0, v21
	v_cmp_gt_i32_e64 s4, 0, v22
	v_not_b32_e32 v21, v22
	v_not_b32_e32 v22, v23
	v_dual_ashrrev_i32 v17, 31, v17 :: v_dual_bitop2_b32 v11, vcc_lo, v11 bitop3:0x14
	v_dual_ashrrev_i32 v19, 31, v19 :: v_dual_bitop2_b32 v12, s0, v12 bitop3:0x14
	v_cmp_gt_i32_e64 s5, 0, v23
	v_cmp_gt_i32_e64 s6, 0, v25
	v_not_b32_e32 v23, v25
	v_not_b32_e32 v25, v26
	v_dual_ashrrev_i32 v21, 31, v21 :: v_dual_ashrrev_i32 v22, 31, v22
	v_xor_b32_e32 v17, s1, v17
	v_xor_b32_e32 v19, s3, v19
	v_bitop3_b32 v11, v11, v12, exec_lo bitop3:0x80
	v_cmp_gt_i32_e64 s7, 0, v26
	v_dual_ashrrev_i32 v12, 31, v23 :: v_dual_ashrrev_i32 v23, 31, v25
	v_xor_b32_e32 v21, s4, v21
	v_xor_b32_e32 v22, s5, v22
	v_bitop3_b32 v11, v11, v19, v17 bitop3:0x80
	s_delay_alu instid0(VALU_DEP_4) | instskip(SKIP_1) | instid1(VALU_DEP_3)
	v_xor_b32_e32 v12, s6, v12
	v_xor_b32_e32 v17, s7, v23
	v_bitop3_b32 v19, v11, v22, v21 bitop3:0x80
	v_mul_u32_u24_e32 v11, 36, v14
	ds_store_2addr_b32 v11, v9, v9 offset0:16 offset1:17
	ds_store_2addr_b32 v11, v9, v9 offset0:18 offset1:19
	;; [unrolled: 1-line block ×4, first 2 shown]
	v_bitop3_b32 v17, v19, v17, v12 bitop3:0x80
	ds_store_b32 v11, v9 offset:96
	v_mad_u32_u24 v12, 0x44, v18, v0
	s_wait_storecnt 0x0
	s_wait_loadcnt_dscnt 0x0
	s_barrier_signal -1
	v_mbcnt_lo_u32_b32 v9, v17, 0
	v_cmp_ne_u32_e64 s0, 0, v17
	s_barrier_wait -1
	s_delay_alu instid0(VALU_DEP_2) | instskip(SKIP_1) | instid1(SALU_CYCLE_1)
	v_cmp_eq_u32_e32 vcc_lo, 0, v9
	; wave barrier
	s_and_b32 s1, s0, vcc_lo
	s_and_saveexec_b32 s0, s1
; %bb.102:
	v_bcnt_u32_b32 v17, v17, 0
	ds_store_b32 v12, v17 offset:64
; %bb.103:
	s_or_b32 exec_lo, exec_lo, s0
	v_cmp_gt_i16_e32 vcc_lo, 0, v10
	; wave barrier
	v_cndmask_b32_e64 v17, 0x7fff, 0, vcc_lo
	s_delay_alu instid0(VALU_DEP_1) | instskip(NEXT) | instid1(VALU_DEP_1)
	v_xor_b32_e32 v10, v17, v10
	v_cmp_ne_u16_e32 vcc_lo, 0x8000, v10
	v_cndmask_b32_e32 v17, 0x7fff, v10, vcc_lo
	s_delay_alu instid0(VALU_DEP_1) | instskip(NEXT) | instid1(VALU_DEP_1)
	v_and_b32_e32 v17, 0xffff, v17
	v_lshrrev_b32_e32 v17, s20, v17
	s_delay_alu instid0(VALU_DEP_1) | instskip(SKIP_1) | instid1(VALU_DEP_2)
	v_bitop3_b32 v18, v17, 1, s9 bitop3:0x80
	v_and_b32_e32 v17, s9, v17
	v_add_co_u32 v18, s0, v18, -1
	s_delay_alu instid0(VALU_DEP_1) | instskip(NEXT) | instid1(VALU_DEP_3)
	v_cndmask_b32_e64 v19, 0, 1, s0
	v_lshlrev_b32_e32 v21, 30, v17
	s_delay_alu instid0(VALU_DEP_2) | instskip(NEXT) | instid1(VALU_DEP_2)
	v_cmp_ne_u32_e32 vcc_lo, 0, v19
	v_not_b32_e32 v19, v21
	s_delay_alu instid0(VALU_DEP_1) | instskip(SKIP_4) | instid1(VALU_DEP_4)
	v_dual_ashrrev_i32 v19, 31, v19 :: v_dual_bitop2_b32 v18, vcc_lo, v18 bitop3:0x14
	v_dual_lshlrev_b32 v22, 29, v17 :: v_dual_lshlrev_b32 v23, 28, v17
	v_dual_lshlrev_b32 v25, 27, v17 :: v_dual_lshlrev_b32 v26, 26, v17
	v_lshlrev_b32_e32 v27, 25, v17
	v_cmp_gt_i32_e64 s0, 0, v21
	v_cmp_gt_i32_e64 s1, 0, v22
	v_not_b32_e32 v21, v22
	v_not_b32_e32 v22, v23
	v_lshlrev_b32_e32 v28, 24, v17
	v_cmp_gt_i32_e64 s3, 0, v23
	v_cmp_gt_i32_e64 s4, 0, v25
	v_not_b32_e32 v23, v25
	v_not_b32_e32 v25, v26
	v_dual_ashrrev_i32 v21, 31, v21 :: v_dual_ashrrev_i32 v22, 31, v22
	v_xor_b32_e32 v19, s0, v19
	v_cmp_gt_i32_e64 s5, 0, v26
	v_cmp_gt_i32_e64 s6, 0, v27
	v_not_b32_e32 v26, v27
	v_not_b32_e32 v27, v28
	v_dual_ashrrev_i32 v23, 31, v23 :: v_dual_bitop2_b32 v21, s1, v21 bitop3:0x14
	v_dual_ashrrev_i32 v25, 31, v25 :: v_dual_bitop2_b32 v22, s3, v22 bitop3:0x14
	s_delay_alu instid0(VALU_DEP_3) | instskip(SKIP_4) | instid1(VALU_DEP_4)
	v_ashrrev_i32_e32 v27, 31, v27
	v_bitop3_b32 v18, v18, v19, exec_lo bitop3:0x80
	v_cmp_gt_i32_e64 s7, 0, v28
	v_dual_ashrrev_i32 v26, 31, v26 :: v_dual_bitop2_b32 v23, s4, v23 bitop3:0x14
	v_xor_b32_e32 v25, s5, v25
	v_bitop3_b32 v18, v18, v22, v21 bitop3:0x80
	v_mad_u32_u24 v19, 0x44, v17, v0
	s_delay_alu instid0(VALU_DEP_4) | instskip(SKIP_1) | instid1(VALU_DEP_4)
	v_xor_b32_e32 v21, s6, v26
	v_xor_b32_e32 v22, s7, v27
	v_bitop3_b32 v18, v18, v25, v23 bitop3:0x80
	ds_load_b32 v17, v19 offset:64
	; wave barrier
	v_bitop3_b32 v21, v18, v22, v21 bitop3:0x80
	s_delay_alu instid0(VALU_DEP_1) | instskip(SKIP_1) | instid1(VALU_DEP_2)
	v_mbcnt_lo_u32_b32 v18, v21, 0
	v_cmp_ne_u32_e64 s0, 0, v21
	v_cmp_eq_u32_e32 vcc_lo, 0, v18
	s_and_b32 s1, s0, vcc_lo
	s_delay_alu instid0(SALU_CYCLE_1)
	s_and_saveexec_b32 s0, s1
	s_cbranch_execz .LBB1973_105
; %bb.104:
	s_wait_dscnt 0x0
	v_bcnt_u32_b32 v21, v21, v17
	ds_store_b32 v19, v21 offset:64
.LBB1973_105:
	s_or_b32 exec_lo, exec_lo, s0
	v_cmp_gt_i16_e32 vcc_lo, 0, v13
	; wave barrier
	v_cndmask_b32_e64 v21, 0x7fff, 0, vcc_lo
	s_delay_alu instid0(VALU_DEP_1) | instskip(NEXT) | instid1(VALU_DEP_1)
	v_xor_b32_e32 v13, v21, v13
	v_cmp_ne_u16_e32 vcc_lo, 0x8000, v13
	v_cndmask_b32_e32 v21, 0x7fff, v13, vcc_lo
	s_delay_alu instid0(VALU_DEP_1) | instskip(NEXT) | instid1(VALU_DEP_1)
	v_and_b32_e32 v21, 0xffff, v21
	v_lshrrev_b32_e32 v21, s20, v21
	s_delay_alu instid0(VALU_DEP_1) | instskip(NEXT) | instid1(VALU_DEP_1)
	v_bitop3_b32 v22, v21, 1, s9 bitop3:0x80
	v_add_co_u32 v22, s0, v22, -1
	s_delay_alu instid0(VALU_DEP_1) | instskip(NEXT) | instid1(VALU_DEP_1)
	v_cndmask_b32_e64 v23, 0, 1, s0
	v_cmp_ne_u32_e32 vcc_lo, 0, v23
	s_delay_alu instid0(VALU_DEP_3) | instskip(SKIP_1) | instid1(VALU_DEP_1)
	v_xor_b32_e32 v22, vcc_lo, v22
	v_and_b32_e32 v21, s9, v21
	v_dual_lshlrev_b32 v25, 30, v21 :: v_dual_lshlrev_b32 v26, 29, v21
	v_dual_lshlrev_b32 v27, 28, v21 :: v_dual_lshlrev_b32 v28, 27, v21
	s_delay_alu instid0(VALU_DEP_2) | instskip(SKIP_1) | instid1(VALU_DEP_4)
	v_cmp_gt_i32_e64 s0, 0, v25
	v_not_b32_e32 v23, v25
	v_cmp_gt_i32_e64 s1, 0, v26
	v_not_b32_e32 v25, v26
	;; [unrolled: 2-line block ×3, first 2 shown]
	v_not_b32_e32 v27, v28
	v_ashrrev_i32_e32 v23, 31, v23
	v_cmp_gt_i32_e64 s4, 0, v28
	s_delay_alu instid0(VALU_DEP_3) | instskip(SKIP_1) | instid1(VALU_DEP_4)
	v_dual_ashrrev_i32 v26, 31, v26 :: v_dual_ashrrev_i32 v27, 31, v27
	v_dual_lshlrev_b32 v29, 26, v21 :: v_dual_lshlrev_b32 v30, 25, v21
	v_dual_lshlrev_b32 v31, 24, v21 :: v_dual_bitop2_b32 v23, s0, v23 bitop3:0x14
	s_delay_alu instid0(VALU_DEP_3) | instskip(NEXT) | instid1(VALU_DEP_3)
	v_xor_b32_e32 v27, s4, v27
	v_not_b32_e32 v28, v29
	v_ashrrev_i32_e32 v25, 31, v25
	v_cmp_gt_i32_e64 s5, 0, v29
	v_cmp_gt_i32_e64 s6, 0, v30
	v_not_b32_e32 v29, v30
	v_not_b32_e32 v30, v31
	v_dual_ashrrev_i32 v28, 31, v28 :: v_dual_bitop2_b32 v25, s1, v25 bitop3:0x14
	s_delay_alu instid0(VALU_DEP_3) | instskip(SKIP_2) | instid1(VALU_DEP_4)
	v_dual_ashrrev_i32 v29, 31, v29 :: v_dual_bitop2_b32 v26, s3, v26 bitop3:0x14
	v_bitop3_b32 v22, v22, v23, exec_lo bitop3:0x80
	v_cmp_gt_i32_e64 s7, 0, v31
	v_dual_ashrrev_i32 v30, 31, v30 :: v_dual_bitop2_b32 v28, s5, v28 bitop3:0x14
	v_mad_u32_u24 v23, 0x44, v21, v0
	s_delay_alu instid0(VALU_DEP_4) | instskip(SKIP_1) | instid1(VALU_DEP_4)
	v_bitop3_b32 v22, v22, v26, v25 bitop3:0x80
	v_xor_b32_e32 v25, s6, v29
	v_xor_b32_e32 v26, s7, v30
	ds_load_b32 v21, v23 offset:64
	v_bitop3_b32 v22, v22, v28, v27 bitop3:0x80
	; wave barrier
	s_delay_alu instid0(VALU_DEP_1) | instskip(NEXT) | instid1(VALU_DEP_1)
	v_bitop3_b32 v25, v22, v26, v25 bitop3:0x80
	v_mbcnt_lo_u32_b32 v22, v25, 0
	v_cmp_ne_u32_e64 s0, 0, v25
	s_delay_alu instid0(VALU_DEP_2) | instskip(SKIP_1) | instid1(SALU_CYCLE_1)
	v_cmp_eq_u32_e32 vcc_lo, 0, v22
	s_and_b32 s1, s0, vcc_lo
	s_and_saveexec_b32 s0, s1
	s_cbranch_execz .LBB1973_107
; %bb.106:
	s_wait_dscnt 0x0
	v_bcnt_u32_b32 v25, v25, v21
	ds_store_b32 v23, v25 offset:64
.LBB1973_107:
	s_or_b32 exec_lo, exec_lo, s0
	v_cmp_gt_i16_e32 vcc_lo, 0, v20
	; wave barrier
	v_cndmask_b32_e64 v25, 0x7fff, 0, vcc_lo
	s_delay_alu instid0(VALU_DEP_1) | instskip(NEXT) | instid1(VALU_DEP_1)
	v_xor_b32_e32 v20, v25, v20
	v_cmp_ne_u16_e32 vcc_lo, 0x8000, v20
	v_cndmask_b32_e32 v25, 0x7fff, v20, vcc_lo
	s_delay_alu instid0(VALU_DEP_1) | instskip(NEXT) | instid1(VALU_DEP_1)
	v_and_b32_e32 v25, 0xffff, v25
	v_lshrrev_b32_e32 v25, s20, v25
	s_delay_alu instid0(VALU_DEP_1) | instskip(SKIP_1) | instid1(VALU_DEP_2)
	v_bitop3_b32 v26, v25, 1, s9 bitop3:0x80
	v_and_b32_e32 v25, s9, v25
	v_add_co_u32 v26, s0, v26, -1
	s_delay_alu instid0(VALU_DEP_1) | instskip(NEXT) | instid1(VALU_DEP_3)
	v_cndmask_b32_e64 v27, 0, 1, s0
	v_lshlrev_b32_e32 v28, 30, v25
	s_delay_alu instid0(VALU_DEP_2) | instskip(NEXT) | instid1(VALU_DEP_2)
	v_cmp_ne_u32_e32 vcc_lo, 0, v27
	v_not_b32_e32 v27, v28
	s_delay_alu instid0(VALU_DEP_1) | instskip(SKIP_4) | instid1(VALU_DEP_4)
	v_dual_ashrrev_i32 v27, 31, v27 :: v_dual_bitop2_b32 v26, vcc_lo, v26 bitop3:0x14
	v_dual_lshlrev_b32 v29, 29, v25 :: v_dual_lshlrev_b32 v30, 28, v25
	v_dual_lshlrev_b32 v31, 27, v25 :: v_dual_lshlrev_b32 v32, 26, v25
	v_lshlrev_b32_e32 v33, 25, v25
	v_cmp_gt_i32_e64 s0, 0, v28
	v_cmp_gt_i32_e64 s1, 0, v29
	v_not_b32_e32 v28, v29
	v_not_b32_e32 v29, v30
	v_lshlrev_b32_e32 v34, 24, v25
	v_cmp_gt_i32_e64 s3, 0, v30
	v_cmp_gt_i32_e64 s4, 0, v31
	v_not_b32_e32 v30, v31
	v_cmp_gt_i32_e64 s5, 0, v32
	v_not_b32_e32 v31, v32
	v_not_b32_e32 v32, v33
	v_dual_ashrrev_i32 v28, 31, v28 :: v_dual_ashrrev_i32 v29, 31, v29
	v_xor_b32_e32 v27, s0, v27
	v_cmp_gt_i32_e64 s6, 0, v33
	v_not_b32_e32 v33, v34
	v_dual_ashrrev_i32 v30, 31, v30 :: v_dual_ashrrev_i32 v31, 31, v31
	v_xor_b32_e32 v28, s1, v28
	v_dual_ashrrev_i32 v32, 31, v32 :: v_dual_bitop2_b32 v29, s3, v29 bitop3:0x14
	v_bitop3_b32 v26, v26, v27, exec_lo bitop3:0x80
	v_cmp_gt_i32_e64 s7, 0, v34
	v_dual_ashrrev_i32 v33, 31, v33 :: v_dual_bitop2_b32 v30, s4, v30 bitop3:0x14
	v_xor_b32_e32 v31, s5, v31
	s_delay_alu instid0(VALU_DEP_4) | instskip(SKIP_3) | instid1(VALU_DEP_4)
	v_bitop3_b32 v26, v26, v29, v28 bitop3:0x80
	v_mad_u32_u24 v27, 0x44, v25, v0
	v_xor_b32_e32 v28, s6, v32
	v_xor_b32_e32 v29, s7, v33
	v_bitop3_b32 v26, v26, v31, v30 bitop3:0x80
	ds_load_b32 v25, v27 offset:64
	; wave barrier
	v_bitop3_b32 v28, v26, v29, v28 bitop3:0x80
	s_delay_alu instid0(VALU_DEP_1) | instskip(SKIP_1) | instid1(VALU_DEP_2)
	v_mbcnt_lo_u32_b32 v26, v28, 0
	v_cmp_ne_u32_e64 s0, 0, v28
	v_cmp_eq_u32_e32 vcc_lo, 0, v26
	s_and_b32 s1, s0, vcc_lo
	s_delay_alu instid0(SALU_CYCLE_1)
	s_and_saveexec_b32 s0, s1
	s_cbranch_execz .LBB1973_109
; %bb.108:
	s_wait_dscnt 0x0
	v_bcnt_u32_b32 v28, v28, v25
	ds_store_b32 v27, v28 offset:64
.LBB1973_109:
	s_or_b32 exec_lo, exec_lo, s0
	v_cmp_gt_i16_e32 vcc_lo, 0, v24
	; wave barrier
	v_cndmask_b32_e64 v28, 0x7fff, 0, vcc_lo
	s_delay_alu instid0(VALU_DEP_1) | instskip(NEXT) | instid1(VALU_DEP_1)
	v_xor_b32_e32 v24, v28, v24
	v_cmp_ne_u16_e32 vcc_lo, 0x8000, v24
	v_cndmask_b32_e32 v28, 0x7fff, v24, vcc_lo
	s_delay_alu instid0(VALU_DEP_1) | instskip(NEXT) | instid1(VALU_DEP_1)
	v_and_b32_e32 v28, 0xffff, v28
	v_lshrrev_b32_e32 v28, s20, v28
	s_delay_alu instid0(VALU_DEP_1) | instskip(NEXT) | instid1(VALU_DEP_1)
	v_bitop3_b32 v29, v28, 1, s9 bitop3:0x80
	v_add_co_u32 v29, s0, v29, -1
	s_delay_alu instid0(VALU_DEP_1) | instskip(NEXT) | instid1(VALU_DEP_1)
	v_cndmask_b32_e64 v30, 0, 1, s0
	v_cmp_ne_u32_e32 vcc_lo, 0, v30
	s_delay_alu instid0(VALU_DEP_3) | instskip(SKIP_1) | instid1(VALU_DEP_1)
	v_xor_b32_e32 v29, vcc_lo, v29
	v_and_b32_e32 v28, s9, v28
	v_dual_lshlrev_b32 v31, 30, v28 :: v_dual_lshlrev_b32 v32, 29, v28
	v_dual_lshlrev_b32 v33, 28, v28 :: v_dual_lshlrev_b32 v34, 27, v28
	s_delay_alu instid0(VALU_DEP_2) | instskip(SKIP_1) | instid1(VALU_DEP_4)
	v_cmp_gt_i32_e64 s0, 0, v31
	v_not_b32_e32 v30, v31
	v_cmp_gt_i32_e64 s1, 0, v32
	v_not_b32_e32 v31, v32
	;; [unrolled: 2-line block ×3, first 2 shown]
	v_not_b32_e32 v33, v34
	v_ashrrev_i32_e32 v30, 31, v30
	v_cmp_gt_i32_e64 s4, 0, v34
	s_delay_alu instid0(VALU_DEP_3) | instskip(SKIP_1) | instid1(VALU_DEP_4)
	v_dual_ashrrev_i32 v31, 31, v31 :: v_dual_ashrrev_i32 v33, 31, v33
	v_dual_lshlrev_b32 v35, 26, v28 :: v_dual_lshlrev_b32 v36, 25, v28
	v_dual_lshlrev_b32 v37, 24, v28 :: v_dual_bitop2_b32 v30, s0, v30 bitop3:0x14
	s_delay_alu instid0(VALU_DEP_3) | instskip(NEXT) | instid1(VALU_DEP_3)
	v_xor_b32_e32 v33, s4, v33
	v_not_b32_e32 v34, v35
	v_ashrrev_i32_e32 v32, 31, v32
	v_cmp_gt_i32_e64 s5, 0, v35
	v_cmp_gt_i32_e64 s6, 0, v36
	v_not_b32_e32 v35, v36
	v_not_b32_e32 v36, v37
	v_dual_ashrrev_i32 v34, 31, v34 :: v_dual_bitop2_b32 v31, s1, v31 bitop3:0x14
	v_xor_b32_e32 v32, s3, v32
	v_bitop3_b32 v29, v29, v30, exec_lo bitop3:0x80
	v_cmp_gt_i32_e64 s7, 0, v37
	v_dual_ashrrev_i32 v30, 31, v35 :: v_dual_ashrrev_i32 v35, 31, v36
	v_xor_b32_e32 v34, s5, v34
	s_delay_alu instid0(VALU_DEP_4) | instskip(SKIP_1) | instid1(VALU_DEP_4)
	v_bitop3_b32 v29, v29, v32, v31 bitop3:0x80
	v_mad_u32_u24 v31, 0x44, v28, v0
	v_xor_b32_e32 v30, s6, v30
	v_xor_b32_e32 v32, s7, v35
	s_delay_alu instid0(VALU_DEP_4) | instskip(SKIP_2) | instid1(VALU_DEP_1)
	v_bitop3_b32 v29, v29, v34, v33 bitop3:0x80
	ds_load_b32 v28, v31 offset:64
	; wave barrier
	v_bitop3_b32 v29, v29, v32, v30 bitop3:0x80
	v_mbcnt_lo_u32_b32 v30, v29, 0
	v_cmp_ne_u32_e64 s0, 0, v29
	s_delay_alu instid0(VALU_DEP_2) | instskip(SKIP_1) | instid1(SALU_CYCLE_1)
	v_cmp_eq_u32_e32 vcc_lo, 0, v30
	s_and_b32 s1, s0, vcc_lo
	s_and_saveexec_b32 s0, s1
	s_cbranch_execz .LBB1973_111
; %bb.110:
	s_wait_dscnt 0x0
	v_bcnt_u32_b32 v29, v29, v28
	ds_store_b32 v31, v29 offset:64
.LBB1973_111:
	s_or_b32 exec_lo, exec_lo, s0
	v_cmp_gt_i16_e32 vcc_lo, 0, v7
	; wave barrier
	v_cndmask_b32_e64 v29, 0x7fff, 0, vcc_lo
	s_delay_alu instid0(VALU_DEP_1) | instskip(NEXT) | instid1(VALU_DEP_1)
	v_xor_b32_e32 v29, v29, v7
	v_cmp_ne_u16_e32 vcc_lo, 0x8000, v29
	v_cndmask_b32_e32 v7, 0x7fff, v29, vcc_lo
	s_delay_alu instid0(VALU_DEP_1) | instskip(NEXT) | instid1(VALU_DEP_1)
	v_and_b32_e32 v7, 0xffff, v7
	v_lshrrev_b32_e32 v7, s20, v7
	s_delay_alu instid0(VALU_DEP_1) | instskip(SKIP_1) | instid1(VALU_DEP_2)
	v_bitop3_b32 v32, v7, 1, s9 bitop3:0x80
	v_and_b32_e32 v7, s9, v7
	v_add_co_u32 v32, s0, v32, -1
	s_delay_alu instid0(VALU_DEP_1) | instskip(NEXT) | instid1(VALU_DEP_3)
	v_cndmask_b32_e64 v33, 0, 1, s0
	v_lshlrev_b32_e32 v34, 30, v7
	s_delay_alu instid0(VALU_DEP_2) | instskip(NEXT) | instid1(VALU_DEP_2)
	v_cmp_ne_u32_e32 vcc_lo, 0, v33
	v_not_b32_e32 v33, v34
	s_delay_alu instid0(VALU_DEP_1) | instskip(SKIP_4) | instid1(VALU_DEP_4)
	v_dual_ashrrev_i32 v33, 31, v33 :: v_dual_bitop2_b32 v32, vcc_lo, v32 bitop3:0x14
	v_dual_lshlrev_b32 v35, 29, v7 :: v_dual_lshlrev_b32 v36, 28, v7
	v_dual_lshlrev_b32 v37, 27, v7 :: v_dual_lshlrev_b32 v38, 26, v7
	v_lshlrev_b32_e32 v39, 25, v7
	v_cmp_gt_i32_e64 s0, 0, v34
	v_cmp_gt_i32_e64 s1, 0, v35
	v_not_b32_e32 v34, v35
	v_not_b32_e32 v35, v36
	v_lshlrev_b32_e32 v40, 24, v7
	v_cmp_gt_i32_e64 s3, 0, v36
	v_cmp_gt_i32_e64 s4, 0, v37
	v_not_b32_e32 v36, v37
	v_not_b32_e32 v37, v38
	v_dual_ashrrev_i32 v34, 31, v34 :: v_dual_ashrrev_i32 v35, 31, v35
	v_xor_b32_e32 v33, s0, v33
	v_cmp_gt_i32_e64 s5, 0, v38
	v_cmp_gt_i32_e64 s6, 0, v39
	v_not_b32_e32 v38, v39
	v_not_b32_e32 v39, v40
	v_dual_ashrrev_i32 v36, 31, v36 :: v_dual_ashrrev_i32 v37, 31, v37
	v_xor_b32_e32 v34, s1, v34
	v_xor_b32_e32 v35, s3, v35
	v_bitop3_b32 v32, v32, v33, exec_lo bitop3:0x80
	v_cmp_gt_i32_e64 s7, 0, v40
	v_dual_ashrrev_i32 v33, 31, v38 :: v_dual_ashrrev_i32 v38, 31, v39
	v_xor_b32_e32 v36, s4, v36
	v_xor_b32_e32 v37, s5, v37
	v_bitop3_b32 v32, v32, v35, v34 bitop3:0x80
	v_mad_u32_u24 v35, 0x44, v7, v0
	v_xor_b32_e32 v7, s6, v33
	v_xor_b32_e32 v33, s7, v38
	s_delay_alu instid0(VALU_DEP_4) | instskip(SKIP_2) | instid1(VALU_DEP_1)
	v_bitop3_b32 v34, v32, v37, v36 bitop3:0x80
	ds_load_b32 v32, v35 offset:64
	; wave barrier
	v_bitop3_b32 v7, v34, v33, v7 bitop3:0x80
	v_mbcnt_lo_u32_b32 v33, v7, 0
	v_cmp_ne_u32_e64 s0, 0, v7
	s_delay_alu instid0(VALU_DEP_2) | instskip(SKIP_1) | instid1(SALU_CYCLE_1)
	v_cmp_eq_u32_e32 vcc_lo, 0, v33
	s_and_b32 s1, s0, vcc_lo
	s_and_saveexec_b32 s0, s1
	s_cbranch_execz .LBB1973_113
; %bb.112:
	s_wait_dscnt 0x0
	v_bcnt_u32_b32 v7, v7, v32
	ds_store_b32 v35, v7 offset:64
.LBB1973_113:
	s_or_b32 exec_lo, exec_lo, s0
	v_cmp_gt_i16_e32 vcc_lo, 0, v6
	; wave barrier
	v_cndmask_b32_e64 v7, 0x7fff, 0, vcc_lo
	s_delay_alu instid0(VALU_DEP_1) | instskip(NEXT) | instid1(VALU_DEP_1)
	v_xor_b32_e32 v34, v7, v6
	v_cmp_ne_u16_e32 vcc_lo, 0x8000, v34
	v_cndmask_b32_e32 v6, 0x7fff, v34, vcc_lo
	s_delay_alu instid0(VALU_DEP_1) | instskip(NEXT) | instid1(VALU_DEP_1)
	v_and_b32_e32 v6, 0xffff, v6
	v_lshrrev_b32_e32 v6, s20, v6
	s_delay_alu instid0(VALU_DEP_1) | instskip(SKIP_1) | instid1(VALU_DEP_2)
	v_bitop3_b32 v7, v6, 1, s9 bitop3:0x80
	v_and_b32_e32 v6, s9, v6
	v_add_co_u32 v7, s0, v7, -1
	s_delay_alu instid0(VALU_DEP_1) | instskip(NEXT) | instid1(VALU_DEP_3)
	v_cndmask_b32_e64 v36, 0, 1, s0
	v_lshlrev_b32_e32 v37, 30, v6
	s_delay_alu instid0(VALU_DEP_2) | instskip(NEXT) | instid1(VALU_DEP_2)
	v_cmp_ne_u32_e32 vcc_lo, 0, v36
	v_not_b32_e32 v36, v37
	s_delay_alu instid0(VALU_DEP_1) | instskip(SKIP_4) | instid1(VALU_DEP_4)
	v_dual_ashrrev_i32 v36, 31, v36 :: v_dual_bitop2_b32 v7, vcc_lo, v7 bitop3:0x14
	v_dual_lshlrev_b32 v38, 29, v6 :: v_dual_lshlrev_b32 v39, 28, v6
	v_dual_lshlrev_b32 v40, 27, v6 :: v_dual_lshlrev_b32 v41, 26, v6
	v_lshlrev_b32_e32 v42, 25, v6
	v_cmp_gt_i32_e64 s0, 0, v37
	v_cmp_gt_i32_e64 s1, 0, v38
	v_not_b32_e32 v37, v38
	v_not_b32_e32 v38, v39
	v_lshlrev_b32_e32 v43, 24, v6
	v_cmp_gt_i32_e64 s3, 0, v39
	v_cmp_gt_i32_e64 s4, 0, v40
	v_not_b32_e32 v39, v40
	v_not_b32_e32 v40, v41
	v_dual_ashrrev_i32 v37, 31, v37 :: v_dual_ashrrev_i32 v38, 31, v38
	v_xor_b32_e32 v36, s0, v36
	v_cmp_gt_i32_e64 s5, 0, v41
	v_cmp_gt_i32_e64 s6, 0, v42
	v_not_b32_e32 v41, v42
	v_not_b32_e32 v42, v43
	v_dual_ashrrev_i32 v39, 31, v39 :: v_dual_ashrrev_i32 v40, 31, v40
	v_xor_b32_e32 v37, s1, v37
	v_xor_b32_e32 v38, s3, v38
	v_bitop3_b32 v7, v7, v36, exec_lo bitop3:0x80
	v_cmp_gt_i32_e64 s7, 0, v43
	v_dual_ashrrev_i32 v36, 31, v41 :: v_dual_ashrrev_i32 v41, 31, v42
	v_xor_b32_e32 v42, s4, v39
	v_xor_b32_e32 v40, s5, v40
	v_bitop3_b32 v7, v7, v38, v37 bitop3:0x80
	v_mad_u32_u24 v39, 0x44, v6, v0
	v_xor_b32_e32 v6, s6, v36
	v_xor_b32_e32 v36, s7, v41
	s_delay_alu instid0(VALU_DEP_4) | instskip(SKIP_2) | instid1(VALU_DEP_1)
	v_bitop3_b32 v7, v7, v40, v42 bitop3:0x80
	ds_load_b32 v37, v39 offset:64
	; wave barrier
	v_bitop3_b32 v6, v7, v36, v6 bitop3:0x80
	v_mbcnt_lo_u32_b32 v38, v6, 0
	v_cmp_ne_u32_e64 s0, 0, v6
	s_delay_alu instid0(VALU_DEP_2) | instskip(SKIP_1) | instid1(SALU_CYCLE_1)
	v_cmp_eq_u32_e32 vcc_lo, 0, v38
	s_and_b32 s1, s0, vcc_lo
	s_and_saveexec_b32 s0, s1
	s_cbranch_execz .LBB1973_115
; %bb.114:
	s_wait_dscnt 0x0
	v_bcnt_u32_b32 v6, v6, v37
	ds_store_b32 v39, v6 offset:64
.LBB1973_115:
	s_or_b32 exec_lo, exec_lo, s0
	v_cmp_gt_i16_e32 vcc_lo, 0, v5
	; wave barrier
	v_cndmask_b32_e64 v6, 0x7fff, 0, vcc_lo
	s_delay_alu instid0(VALU_DEP_1) | instskip(NEXT) | instid1(VALU_DEP_1)
	v_xor_b32_e32 v36, v6, v5
	v_cmp_ne_u16_e32 vcc_lo, 0x8000, v36
	v_cndmask_b32_e32 v5, 0x7fff, v36, vcc_lo
	s_delay_alu instid0(VALU_DEP_1) | instskip(NEXT) | instid1(VALU_DEP_1)
	v_and_b32_e32 v5, 0xffff, v5
	v_lshrrev_b32_e32 v5, s20, v5
	s_delay_alu instid0(VALU_DEP_1) | instskip(SKIP_1) | instid1(VALU_DEP_2)
	v_bitop3_b32 v6, v5, 1, s9 bitop3:0x80
	v_and_b32_e32 v5, s9, v5
	v_add_co_u32 v6, s0, v6, -1
	s_delay_alu instid0(VALU_DEP_1) | instskip(NEXT) | instid1(VALU_DEP_3)
	v_cndmask_b32_e64 v7, 0, 1, s0
	v_lshlrev_b32_e32 v40, 30, v5
	s_delay_alu instid0(VALU_DEP_2) | instskip(NEXT) | instid1(VALU_DEP_2)
	v_cmp_ne_u32_e32 vcc_lo, 0, v7
	v_not_b32_e32 v7, v40
	s_delay_alu instid0(VALU_DEP_1) | instskip(SKIP_4) | instid1(VALU_DEP_4)
	v_dual_ashrrev_i32 v7, 31, v7 :: v_dual_bitop2_b32 v6, vcc_lo, v6 bitop3:0x14
	v_dual_lshlrev_b32 v41, 29, v5 :: v_dual_lshlrev_b32 v42, 28, v5
	v_dual_lshlrev_b32 v43, 27, v5 :: v_dual_lshlrev_b32 v44, 26, v5
	;; [unrolled: 1-line block ×3, first 2 shown]
	v_cmp_gt_i32_e64 s0, 0, v40
	v_cmp_gt_i32_e64 s1, 0, v41
	v_not_b32_e32 v40, v41
	v_not_b32_e32 v41, v42
	v_cmp_gt_i32_e64 s3, 0, v42
	v_cmp_gt_i32_e64 s4, 0, v43
	v_not_b32_e32 v42, v43
	v_cmp_gt_i32_e64 s5, 0, v44
	v_not_b32_e32 v43, v44
	;; [unrolled: 2-line block ×3, first 2 shown]
	v_not_b32_e32 v45, v46
	v_dual_ashrrev_i32 v40, 31, v40 :: v_dual_ashrrev_i32 v41, 31, v41
	v_dual_ashrrev_i32 v42, 31, v42 :: v_dual_bitop2_b32 v7, s0, v7 bitop3:0x14
	s_delay_alu instid0(VALU_DEP_2) | instskip(NEXT) | instid1(VALU_DEP_3)
	v_dual_ashrrev_i32 v43, 31, v43 :: v_dual_bitop2_b32 v40, s1, v40 bitop3:0x14
	v_xor_b32_e32 v41, s3, v41
	s_delay_alu instid0(VALU_DEP_3)
	v_bitop3_b32 v6, v6, v7, exec_lo bitop3:0x80
	v_cmp_gt_i32_e64 s7, 0, v46
	v_dual_ashrrev_i32 v7, 31, v44 :: v_dual_ashrrev_i32 v44, 31, v45
	v_xor_b32_e32 v42, s4, v42
	v_xor_b32_e32 v45, s5, v43
	v_bitop3_b32 v6, v6, v41, v40 bitop3:0x80
	v_mad_u32_u24 v43, 0x44, v5, v0
	v_xor_b32_e32 v5, s6, v7
	v_xor_b32_e32 v7, s7, v44
	s_delay_alu instid0(VALU_DEP_4) | instskip(SKIP_2) | instid1(VALU_DEP_1)
	v_bitop3_b32 v6, v6, v45, v42 bitop3:0x80
	ds_load_b32 v41, v43 offset:64
	; wave barrier
	v_bitop3_b32 v5, v6, v7, v5 bitop3:0x80
	v_mbcnt_lo_u32_b32 v42, v5, 0
	v_cmp_ne_u32_e64 s0, 0, v5
	s_delay_alu instid0(VALU_DEP_2) | instskip(SKIP_1) | instid1(SALU_CYCLE_1)
	v_cmp_eq_u32_e32 vcc_lo, 0, v42
	s_and_b32 s1, s0, vcc_lo
	s_and_saveexec_b32 s0, s1
	s_cbranch_execz .LBB1973_117
; %bb.116:
	s_wait_dscnt 0x0
	v_bcnt_u32_b32 v5, v5, v41
	ds_store_b32 v43, v5 offset:64
.LBB1973_117:
	s_or_b32 exec_lo, exec_lo, s0
	v_cmp_gt_i16_e32 vcc_lo, 0, v4
	; wave barrier
	v_cndmask_b32_e64 v5, 0x7fff, 0, vcc_lo
	s_delay_alu instid0(VALU_DEP_1) | instskip(NEXT) | instid1(VALU_DEP_1)
	v_xor_b32_e32 v40, v5, v4
	v_cmp_ne_u16_e32 vcc_lo, 0x8000, v40
	v_cndmask_b32_e32 v4, 0x7fff, v40, vcc_lo
	s_delay_alu instid0(VALU_DEP_1) | instskip(NEXT) | instid1(VALU_DEP_1)
	v_and_b32_e32 v4, 0xffff, v4
	v_lshrrev_b32_e32 v4, s20, v4
	s_delay_alu instid0(VALU_DEP_1) | instskip(SKIP_1) | instid1(VALU_DEP_2)
	v_bitop3_b32 v5, v4, 1, s9 bitop3:0x80
	v_and_b32_e32 v4, s9, v4
	v_add_co_u32 v5, s0, v5, -1
	s_delay_alu instid0(VALU_DEP_1) | instskip(NEXT) | instid1(VALU_DEP_3)
	v_cndmask_b32_e64 v6, 0, 1, s0
	v_lshlrev_b32_e32 v7, 30, v4
	s_delay_alu instid0(VALU_DEP_2) | instskip(NEXT) | instid1(VALU_DEP_2)
	v_cmp_ne_u32_e32 vcc_lo, 0, v6
	v_not_b32_e32 v6, v7
	s_delay_alu instid0(VALU_DEP_1) | instskip(SKIP_4) | instid1(VALU_DEP_4)
	v_dual_ashrrev_i32 v6, 31, v6 :: v_dual_bitop2_b32 v5, vcc_lo, v5 bitop3:0x14
	v_dual_lshlrev_b32 v44, 29, v4 :: v_dual_lshlrev_b32 v45, 28, v4
	v_dual_lshlrev_b32 v46, 27, v4 :: v_dual_lshlrev_b32 v47, 26, v4
	v_lshlrev_b32_e32 v48, 25, v4
	v_cmp_gt_i32_e64 s0, 0, v7
	v_cmp_gt_i32_e64 s1, 0, v44
	v_not_b32_e32 v7, v44
	v_not_b32_e32 v44, v45
	v_lshlrev_b32_e32 v49, 24, v4
	v_cmp_gt_i32_e64 s3, 0, v45
	v_cmp_gt_i32_e64 s4, 0, v46
	v_not_b32_e32 v45, v46
	v_not_b32_e32 v46, v47
	v_dual_ashrrev_i32 v7, 31, v7 :: v_dual_ashrrev_i32 v44, 31, v44
	v_xor_b32_e32 v6, s0, v6
	v_cmp_gt_i32_e64 s5, 0, v47
	v_cmp_gt_i32_e64 s6, 0, v48
	v_not_b32_e32 v47, v48
	v_not_b32_e32 v48, v49
	v_dual_ashrrev_i32 v45, 31, v45 :: v_dual_ashrrev_i32 v46, 31, v46
	v_xor_b32_e32 v7, s1, v7
	v_xor_b32_e32 v44, s3, v44
	v_bitop3_b32 v5, v5, v6, exec_lo bitop3:0x80
	v_cmp_gt_i32_e64 s7, 0, v49
	v_dual_ashrrev_i32 v6, 31, v47 :: v_dual_ashrrev_i32 v48, 31, v48
	v_xor_b32_e32 v45, s4, v45
	v_xor_b32_e32 v46, s5, v46
	v_bitop3_b32 v5, v5, v44, v7 bitop3:0x80
	v_mad_u32_u24 v47, 0x44, v4, v0
	v_xor_b32_e32 v4, s6, v6
	v_xor_b32_e32 v6, s7, v48
	s_delay_alu instid0(VALU_DEP_4) | instskip(SKIP_2) | instid1(VALU_DEP_1)
	v_bitop3_b32 v5, v5, v46, v45 bitop3:0x80
	ds_load_b32 v45, v47 offset:64
	; wave barrier
	v_bitop3_b32 v4, v5, v6, v4 bitop3:0x80
	v_mbcnt_lo_u32_b32 v46, v4, 0
	v_cmp_ne_u32_e64 s0, 0, v4
	s_delay_alu instid0(VALU_DEP_2) | instskip(SKIP_1) | instid1(SALU_CYCLE_1)
	v_cmp_eq_u32_e32 vcc_lo, 0, v46
	s_and_b32 s1, s0, vcc_lo
	s_and_saveexec_b32 s0, s1
	s_cbranch_execz .LBB1973_119
; %bb.118:
	s_wait_dscnt 0x0
	v_bcnt_u32_b32 v4, v4, v45
	ds_store_b32 v47, v4 offset:64
.LBB1973_119:
	s_or_b32 exec_lo, exec_lo, s0
	v_cmp_gt_i16_e32 vcc_lo, 0, v3
	; wave barrier
	v_cndmask_b32_e64 v4, 0x7fff, 0, vcc_lo
	s_delay_alu instid0(VALU_DEP_1) | instskip(NEXT) | instid1(VALU_DEP_1)
	v_xor_b32_e32 v44, v4, v3
	v_cmp_ne_u16_e32 vcc_lo, 0x8000, v44
	v_cndmask_b32_e32 v3, 0x7fff, v44, vcc_lo
	s_delay_alu instid0(VALU_DEP_1) | instskip(NEXT) | instid1(VALU_DEP_1)
	v_and_b32_e32 v3, 0xffff, v3
	v_lshrrev_b32_e32 v3, s20, v3
	s_delay_alu instid0(VALU_DEP_1) | instskip(SKIP_1) | instid1(VALU_DEP_2)
	v_bitop3_b32 v4, v3, 1, s9 bitop3:0x80
	v_and_b32_e32 v3, s9, v3
	v_add_co_u32 v4, s0, v4, -1
	s_delay_alu instid0(VALU_DEP_1) | instskip(NEXT) | instid1(VALU_DEP_3)
	v_cndmask_b32_e64 v5, 0, 1, s0
	v_lshlrev_b32_e32 v6, 30, v3
	s_delay_alu instid0(VALU_DEP_2) | instskip(NEXT) | instid1(VALU_DEP_2)
	v_cmp_ne_u32_e32 vcc_lo, 0, v5
	v_not_b32_e32 v5, v6
	s_delay_alu instid0(VALU_DEP_1) | instskip(SKIP_4) | instid1(VALU_DEP_4)
	v_dual_ashrrev_i32 v5, 31, v5 :: v_dual_bitop2_b32 v4, vcc_lo, v4 bitop3:0x14
	v_dual_lshlrev_b32 v7, 29, v3 :: v_dual_lshlrev_b32 v48, 28, v3
	v_dual_lshlrev_b32 v49, 27, v3 :: v_dual_lshlrev_b32 v50, 26, v3
	v_lshlrev_b32_e32 v51, 25, v3
	v_cmp_gt_i32_e64 s0, 0, v6
	v_cmp_gt_i32_e64 s1, 0, v7
	v_not_b32_e32 v6, v7
	v_not_b32_e32 v7, v48
	v_lshlrev_b32_e32 v52, 24, v3
	v_cmp_gt_i32_e64 s3, 0, v48
	v_cmp_gt_i32_e64 s4, 0, v49
	v_not_b32_e32 v48, v49
	v_not_b32_e32 v49, v50
	v_dual_ashrrev_i32 v6, 31, v6 :: v_dual_ashrrev_i32 v7, 31, v7
	v_xor_b32_e32 v5, s0, v5
	v_cmp_gt_i32_e64 s5, 0, v50
	v_cmp_gt_i32_e64 s6, 0, v51
	v_not_b32_e32 v50, v51
	v_not_b32_e32 v51, v52
	v_dual_ashrrev_i32 v48, 31, v48 :: v_dual_ashrrev_i32 v49, 31, v49
	v_xor_b32_e32 v6, s1, v6
	v_xor_b32_e32 v7, s3, v7
	v_bitop3_b32 v4, v4, v5, exec_lo bitop3:0x80
	v_cmp_gt_i32_e64 s7, 0, v52
	v_dual_ashrrev_i32 v5, 31, v50 :: v_dual_ashrrev_i32 v50, 31, v51
	v_xor_b32_e32 v48, s4, v48
	v_xor_b32_e32 v49, s5, v49
	v_bitop3_b32 v4, v4, v7, v6 bitop3:0x80
	v_mad_u32_u24 v51, 0x44, v3, v0
	v_xor_b32_e32 v3, s6, v5
	v_xor_b32_e32 v5, s7, v50
	s_delay_alu instid0(VALU_DEP_4) | instskip(SKIP_2) | instid1(VALU_DEP_1)
	v_bitop3_b32 v4, v4, v49, v48 bitop3:0x80
	ds_load_b32 v48, v51 offset:64
	; wave barrier
	v_bitop3_b32 v3, v4, v5, v3 bitop3:0x80
	v_mbcnt_lo_u32_b32 v50, v3, 0
	v_cmp_ne_u32_e64 s0, 0, v3
	s_delay_alu instid0(VALU_DEP_2) | instskip(SKIP_1) | instid1(SALU_CYCLE_1)
	v_cmp_eq_u32_e32 vcc_lo, 0, v50
	s_and_b32 s1, s0, vcc_lo
	s_and_saveexec_b32 s0, s1
	s_cbranch_execz .LBB1973_121
; %bb.120:
	s_wait_dscnt 0x0
	v_bcnt_u32_b32 v3, v3, v48
	ds_store_b32 v51, v3 offset:64
.LBB1973_121:
	s_or_b32 exec_lo, exec_lo, s0
	v_cmp_gt_i16_e32 vcc_lo, 0, v2
	; wave barrier
	v_cndmask_b32_e64 v3, 0x7fff, 0, vcc_lo
	s_delay_alu instid0(VALU_DEP_1) | instskip(NEXT) | instid1(VALU_DEP_1)
	v_xor_b32_e32 v49, v3, v2
	v_cmp_ne_u16_e32 vcc_lo, 0x8000, v49
	v_cndmask_b32_e32 v2, 0x7fff, v49, vcc_lo
	s_delay_alu instid0(VALU_DEP_1) | instskip(NEXT) | instid1(VALU_DEP_1)
	v_and_b32_e32 v2, 0xffff, v2
	v_lshrrev_b32_e32 v2, s20, v2
	s_delay_alu instid0(VALU_DEP_1) | instskip(SKIP_1) | instid1(VALU_DEP_2)
	v_bitop3_b32 v3, v2, 1, s9 bitop3:0x80
	v_and_b32_e32 v2, s9, v2
	v_add_co_u32 v3, s0, v3, -1
	s_delay_alu instid0(VALU_DEP_1) | instskip(NEXT) | instid1(VALU_DEP_3)
	v_cndmask_b32_e64 v4, 0, 1, s0
	v_lshlrev_b32_e32 v5, 30, v2
	s_delay_alu instid0(VALU_DEP_2) | instskip(NEXT) | instid1(VALU_DEP_2)
	v_cmp_ne_u32_e32 vcc_lo, 0, v4
	v_not_b32_e32 v4, v5
	s_delay_alu instid0(VALU_DEP_1) | instskip(SKIP_4) | instid1(VALU_DEP_4)
	v_dual_ashrrev_i32 v4, 31, v4 :: v_dual_bitop2_b32 v3, vcc_lo, v3 bitop3:0x14
	v_dual_lshlrev_b32 v6, 29, v2 :: v_dual_lshlrev_b32 v7, 28, v2
	v_dual_lshlrev_b32 v52, 27, v2 :: v_dual_lshlrev_b32 v53, 26, v2
	;; [unrolled: 1-line block ×3, first 2 shown]
	v_cmp_gt_i32_e64 s0, 0, v5
	v_cmp_gt_i32_e64 s1, 0, v6
	v_not_b32_e32 v5, v6
	v_not_b32_e32 v6, v7
	v_cmp_gt_i32_e64 s3, 0, v7
	v_cmp_gt_i32_e64 s4, 0, v52
	v_not_b32_e32 v7, v52
	v_cmp_gt_i32_e64 s5, 0, v53
	v_not_b32_e32 v52, v53
	;; [unrolled: 2-line block ×3, first 2 shown]
	v_not_b32_e32 v54, v55
	v_dual_ashrrev_i32 v5, 31, v5 :: v_dual_ashrrev_i32 v6, 31, v6
	v_dual_ashrrev_i32 v7, 31, v7 :: v_dual_bitop2_b32 v4, s0, v4 bitop3:0x14
	s_delay_alu instid0(VALU_DEP_2) | instskip(NEXT) | instid1(VALU_DEP_3)
	v_dual_ashrrev_i32 v52, 31, v52 :: v_dual_bitop2_b32 v5, s1, v5 bitop3:0x14
	v_xor_b32_e32 v6, s3, v6
	s_delay_alu instid0(VALU_DEP_3)
	v_bitop3_b32 v3, v3, v4, exec_lo bitop3:0x80
	v_cmp_gt_i32_e64 s7, 0, v55
	v_dual_ashrrev_i32 v4, 31, v53 :: v_dual_ashrrev_i32 v53, 31, v54
	v_xor_b32_e32 v7, s4, v7
	v_xor_b32_e32 v52, s5, v52
	v_bitop3_b32 v3, v3, v6, v5 bitop3:0x80
	v_mad_u32_u24 v56, 0x44, v2, v0
	v_xor_b32_e32 v2, s6, v4
	v_xor_b32_e32 v4, s7, v53
	s_delay_alu instid0(VALU_DEP_4) | instskip(SKIP_2) | instid1(VALU_DEP_1)
	v_bitop3_b32 v3, v3, v52, v7 bitop3:0x80
	ds_load_b32 v52, v56 offset:64
	; wave barrier
	v_bitop3_b32 v2, v3, v4, v2 bitop3:0x80
	v_mbcnt_lo_u32_b32 v53, v2, 0
	v_cmp_ne_u32_e64 s0, 0, v2
	s_delay_alu instid0(VALU_DEP_2) | instskip(SKIP_1) | instid1(SALU_CYCLE_1)
	v_cmp_eq_u32_e32 vcc_lo, 0, v53
	s_and_b32 s1, s0, vcc_lo
	s_and_saveexec_b32 s0, s1
	s_cbranch_execz .LBB1973_123
; %bb.122:
	s_wait_dscnt 0x0
	v_bcnt_u32_b32 v2, v2, v52
	ds_store_b32 v56, v2 offset:64
.LBB1973_123:
	s_or_b32 exec_lo, exec_lo, s0
	v_cmp_gt_i16_e32 vcc_lo, 0, v1
	; wave barrier
	v_cndmask_b32_e64 v2, 0x7fff, 0, vcc_lo
	s_delay_alu instid0(VALU_DEP_1) | instskip(NEXT) | instid1(VALU_DEP_1)
	v_xor_b32_e32 v54, v2, v1
	v_cmp_ne_u16_e32 vcc_lo, 0x8000, v54
	v_cndmask_b32_e32 v1, 0x7fff, v54, vcc_lo
	s_delay_alu instid0(VALU_DEP_1) | instskip(NEXT) | instid1(VALU_DEP_1)
	v_and_b32_e32 v1, 0xffff, v1
	v_lshrrev_b32_e32 v1, s20, v1
	s_delay_alu instid0(VALU_DEP_1) | instskip(SKIP_1) | instid1(VALU_DEP_2)
	v_bitop3_b32 v2, v1, 1, s9 bitop3:0x80
	v_and_b32_e32 v1, s9, v1
	v_add_co_u32 v2, s0, v2, -1
	s_delay_alu instid0(VALU_DEP_1) | instskip(NEXT) | instid1(VALU_DEP_3)
	v_cndmask_b32_e64 v3, 0, 1, s0
	v_lshlrev_b32_e32 v4, 30, v1
	s_delay_alu instid0(VALU_DEP_2) | instskip(NEXT) | instid1(VALU_DEP_2)
	v_cmp_ne_u32_e32 vcc_lo, 0, v3
	v_not_b32_e32 v3, v4
	s_delay_alu instid0(VALU_DEP_1) | instskip(SKIP_4) | instid1(VALU_DEP_4)
	v_dual_ashrrev_i32 v3, 31, v3 :: v_dual_bitop2_b32 v2, vcc_lo, v2 bitop3:0x14
	v_dual_lshlrev_b32 v5, 29, v1 :: v_dual_lshlrev_b32 v6, 28, v1
	v_dual_lshlrev_b32 v7, 27, v1 :: v_dual_lshlrev_b32 v55, 26, v1
	v_lshlrev_b32_e32 v57, 25, v1
	v_cmp_gt_i32_e64 s0, 0, v4
	v_cmp_gt_i32_e64 s1, 0, v5
	v_not_b32_e32 v4, v5
	v_not_b32_e32 v5, v6
	v_lshlrev_b32_e32 v58, 24, v1
	v_cmp_gt_i32_e64 s3, 0, v6
	v_cmp_gt_i32_e64 s4, 0, v7
	v_not_b32_e32 v6, v7
	v_not_b32_e32 v7, v55
	v_dual_ashrrev_i32 v4, 31, v4 :: v_dual_ashrrev_i32 v5, 31, v5
	v_xor_b32_e32 v3, s0, v3
	v_cmp_gt_i32_e64 s5, 0, v55
	v_cmp_gt_i32_e64 s6, 0, v57
	v_not_b32_e32 v55, v57
	v_not_b32_e32 v57, v58
	v_dual_ashrrev_i32 v6, 31, v6 :: v_dual_ashrrev_i32 v7, 31, v7
	v_xor_b32_e32 v4, s1, v4
	v_xor_b32_e32 v5, s3, v5
	v_bitop3_b32 v2, v2, v3, exec_lo bitop3:0x80
	v_cmp_gt_i32_e64 s7, 0, v58
	v_dual_ashrrev_i32 v3, 31, v55 :: v_dual_ashrrev_i32 v55, 31, v57
	v_xor_b32_e32 v6, s4, v6
	v_xor_b32_e32 v7, s5, v7
	v_bitop3_b32 v2, v2, v5, v4 bitop3:0x80
	v_mad_u32_u24 v58, 0x44, v1, v0
	v_xor_b32_e32 v0, s6, v3
	v_xor_b32_e32 v1, s7, v55
	s_delay_alu instid0(VALU_DEP_4) | instskip(SKIP_2) | instid1(VALU_DEP_1)
	v_bitop3_b32 v2, v2, v7, v6 bitop3:0x80
	ds_load_b32 v55, v58 offset:64
	; wave barrier
	v_bitop3_b32 v0, v2, v1, v0 bitop3:0x80
	v_mbcnt_lo_u32_b32 v57, v0, 0
	v_cmp_ne_u32_e64 s0, 0, v0
	s_delay_alu instid0(VALU_DEP_2) | instskip(SKIP_1) | instid1(SALU_CYCLE_1)
	v_cmp_eq_u32_e32 vcc_lo, 0, v57
	s_and_b32 s1, s0, vcc_lo
	s_and_saveexec_b32 s0, s1
	s_cbranch_execz .LBB1973_125
; %bb.124:
	s_wait_dscnt 0x0
	v_bcnt_u32_b32 v0, v0, v55
	ds_store_b32 v58, v0 offset:64
.LBB1973_125:
	s_or_b32 exec_lo, exec_lo, s0
	; wave barrier
	s_wait_dscnt 0x0
	s_barrier_signal -1
	s_barrier_wait -1
	ds_load_2addr_b32 v[6:7], v11 offset0:16 offset1:17
	ds_load_2addr_b32 v[4:5], v11 offset0:18 offset1:19
	;; [unrolled: 1-line block ×4, first 2 shown]
	ds_load_b32 v59, v11 offset:96
	v_min_u32_e32 v16, 0x1e0, v16
	s_mov_b32 s5, exec_lo
	s_delay_alu instid0(VALU_DEP_1) | instskip(SKIP_3) | instid1(VALU_DEP_1)
	v_or_b32_e32 v62, 31, v16
	s_wait_dscnt 0x3
	v_add3_u32 v60, v7, v6, v4
	s_wait_dscnt 0x2
	v_add3_u32 v60, v60, v5, v2
	s_wait_dscnt 0x1
	s_delay_alu instid0(VALU_DEP_1) | instskip(SKIP_1) | instid1(VALU_DEP_1)
	v_add3_u32 v60, v60, v3, v0
	s_wait_dscnt 0x0
	v_add3_u32 v59, v60, v1, v59
	v_and_b32_e32 v60, 15, v15
	s_delay_alu instid0(VALU_DEP_2) | instskip(NEXT) | instid1(VALU_DEP_2)
	v_mov_b32_dpp v61, v59 row_shr:1 row_mask:0xf bank_mask:0xf
	v_cmp_eq_u32_e32 vcc_lo, 0, v60
	v_cmp_lt_u32_e64 s0, 1, v60
	s_delay_alu instid0(VALU_DEP_3) | instskip(NEXT) | instid1(VALU_DEP_1)
	v_cndmask_b32_e64 v61, v61, 0, vcc_lo
	v_add_nc_u32_e32 v59, v61, v59
	s_delay_alu instid0(VALU_DEP_1) | instskip(NEXT) | instid1(VALU_DEP_1)
	v_mov_b32_dpp v61, v59 row_shr:2 row_mask:0xf bank_mask:0xf
	v_cndmask_b32_e64 v61, 0, v61, s0
	v_cmp_lt_u32_e64 s3, 7, v60
	v_cmp_lt_u32_e64 s1, 3, v60
	s_delay_alu instid0(VALU_DEP_3) | instskip(NEXT) | instid1(VALU_DEP_1)
	v_add_nc_u32_e32 v59, v59, v61
	v_mov_b32_dpp v61, v59 row_shr:4 row_mask:0xf bank_mask:0xf
	s_delay_alu instid0(VALU_DEP_1) | instskip(NEXT) | instid1(VALU_DEP_1)
	v_cndmask_b32_e64 v61, 0, v61, s1
	v_add_nc_u32_e32 v59, v59, v61
	s_delay_alu instid0(VALU_DEP_1) | instskip(NEXT) | instid1(VALU_DEP_1)
	v_mov_b32_dpp v61, v59 row_shr:8 row_mask:0xf bank_mask:0xf
	v_cndmask_b32_e64 v60, 0, v61, s3
	v_bfe_i32 v61, v15, 4, 1
	s_delay_alu instid0(VALU_DEP_2) | instskip(SKIP_3) | instid1(VALU_DEP_1)
	v_add_nc_u32_e32 v60, v59, v60
	ds_swizzle_b32 v59, v60 offset:swizzle(BROADCAST,32,15)
	s_wait_dscnt 0x0
	v_dual_lshrrev_b32 v59, 5, v14 :: v_dual_bitop2_b32 v61, v61, v59 bitop3:0x40
	v_add_nc_u32_e32 v16, v60, v61
	v_cmpx_eq_u32_e64 v14, v62
; %bb.126:
	s_delay_alu instid0(VALU_DEP_3)
	v_lshlrev_b32_e32 v60, 2, v59
	ds_store_b32 v60, v16
; %bb.127:
	s_or_b32 exec_lo, exec_lo, s5
	s_delay_alu instid0(SALU_CYCLE_1)
	s_mov_b32 s5, exec_lo
	s_wait_dscnt 0x0
	s_barrier_signal -1
	s_barrier_wait -1
	v_cmpx_gt_u32_e32 16, v14
	s_cbranch_execz .LBB1973_129
; %bb.128:
	v_lshlrev_b32_e32 v60, 2, v14
	ds_load_b32 v61, v60
	s_wait_dscnt 0x0
	v_mov_b32_dpp v62, v61 row_shr:1 row_mask:0xf bank_mask:0xf
	s_delay_alu instid0(VALU_DEP_1) | instskip(NEXT) | instid1(VALU_DEP_1)
	v_cndmask_b32_e64 v62, v62, 0, vcc_lo
	v_add_nc_u32_e32 v61, v62, v61
	s_delay_alu instid0(VALU_DEP_1) | instskip(NEXT) | instid1(VALU_DEP_1)
	v_mov_b32_dpp v62, v61 row_shr:2 row_mask:0xf bank_mask:0xf
	v_cndmask_b32_e64 v62, 0, v62, s0
	s_delay_alu instid0(VALU_DEP_1) | instskip(NEXT) | instid1(VALU_DEP_1)
	v_add_nc_u32_e32 v61, v61, v62
	v_mov_b32_dpp v62, v61 row_shr:4 row_mask:0xf bank_mask:0xf
	s_delay_alu instid0(VALU_DEP_1) | instskip(NEXT) | instid1(VALU_DEP_1)
	v_cndmask_b32_e64 v62, 0, v62, s1
	v_add_nc_u32_e32 v61, v61, v62
	s_delay_alu instid0(VALU_DEP_1) | instskip(NEXT) | instid1(VALU_DEP_1)
	v_mov_b32_dpp v62, v61 row_shr:8 row_mask:0xf bank_mask:0xf
	v_cndmask_b32_e64 v62, 0, v62, s3
	s_delay_alu instid0(VALU_DEP_1)
	v_add_nc_u32_e32 v61, v61, v62
	ds_store_b32 v60, v61
.LBB1973_129:
	s_or_b32 exec_lo, exec_lo, s5
	v_mov_b32_e32 v60, 0
	s_mov_b32 s0, exec_lo
	s_wait_dscnt 0x0
	s_barrier_signal -1
	s_barrier_wait -1
	v_cmpx_lt_u32_e32 31, v14
; %bb.130:
	v_lshl_add_u32 v59, v59, 2, -4
	ds_load_b32 v60, v59
; %bb.131:
	s_or_b32 exec_lo, exec_lo, s0
	v_sub_co_u32 v59, vcc_lo, v15, 1
	s_wait_dscnt 0x0
	v_add_nc_u32_e32 v16, v60, v16
	s_delay_alu instid0(VALU_DEP_2) | instskip(NEXT) | instid1(VALU_DEP_1)
	v_cmp_gt_i32_e64 s0, 0, v59
	v_cndmask_b32_e64 v15, v59, v15, s0
	v_cmp_gt_u32_e64 s0, 0x100, v14
	s_delay_alu instid0(VALU_DEP_2) | instskip(SKIP_4) | instid1(VALU_DEP_2)
	v_lshlrev_b32_e32 v15, 2, v15
	ds_bpermute_b32 v15, v15, v16
	s_wait_dscnt 0x0
	v_cndmask_b32_e32 v15, v15, v60, vcc_lo
	v_cmp_lt_u32_e32 vcc_lo, 0xff, v14
	v_cndmask_b32_e64 v15, v15, 0, s2
	s_delay_alu instid0(VALU_DEP_1) | instskip(NEXT) | instid1(VALU_DEP_1)
	v_add_nc_u32_e32 v6, v15, v6
	v_add_nc_u32_e32 v7, v6, v7
	s_delay_alu instid0(VALU_DEP_1) | instskip(NEXT) | instid1(VALU_DEP_1)
	v_add_nc_u32_e32 v4, v7, v4
	v_add_nc_u32_e32 v5, v4, v5
	;; [unrolled: 3-line block ×4, first 2 shown]
	ds_store_2addr_b32 v11, v15, v6 offset0:16 offset1:17
	ds_store_2addr_b32 v11, v7, v4 offset0:18 offset1:19
	;; [unrolled: 1-line block ×4, first 2 shown]
	ds_store_b32 v11, v1 offset:96
	s_wait_dscnt 0x0
	s_barrier_signal -1
	s_barrier_wait -1
	ds_load_b32 v59, v12 offset:64
	ds_load_b32 v60, v19 offset:64
	;; [unrolled: 1-line block ×12, first 2 shown]
	v_mov_b64_e32 v[0:1], 0
                                        ; implicit-def: $vgpr2
	s_and_saveexec_b32 s2, s0
	s_cbranch_execz .LBB1973_135
; %bb.132:
	v_mul_u32_u24_e32 v0, 0x44, v14
	v_dual_mov_b32 v1, 0x1800 :: v_dual_add_nc_u32 v2, 1, v14
	s_mov_b32 s3, exec_lo
	ds_load_b32 v0, v0 offset:64
	v_cmpx_ne_u32_e32 0x100, v2
; %bb.133:
	v_mul_u32_u24_e32 v1, 0x44, v2
	ds_load_b32 v1, v1 offset:64
; %bb.134:
	s_or_b32 exec_lo, exec_lo, s3
	s_wait_dscnt 0x0
	v_dual_mov_b32 v1, 0 :: v_dual_sub_nc_u32 v2, v1, v0
.LBB1973_135:
	s_or_b32 exec_lo, exec_lo, s2
	s_wait_dscnt 0xa
	v_dual_lshlrev_b32 v9, 1, v9 :: v_dual_lshlrev_b32 v23, 1, v60
	v_dual_lshlrev_b32 v18, 1, v18 :: v_dual_lshlrev_b32 v17, 1, v17
	v_lshlrev_b32_e32 v21, 1, v21
	s_delay_alu instid0(VALU_DEP_3)
	v_lshl_add_u32 v9, v59, 1, v9
	s_wait_dscnt 0x0
	s_barrier_signal -1
	v_add3_u32 v17, v23, v18, v17
	v_dual_lshlrev_b32 v18, 1, v19 :: v_dual_lshlrev_b32 v19, 1, v22
	s_barrier_wait -1
	ds_store_b16 v9, v8 offset:2048
	ds_store_b16 v17, v10 offset:2048
	v_lshlrev_b32_e32 v9, 1, v16
	v_add3_u32 v8, v18, v19, v21
	v_dual_lshlrev_b32 v10, 1, v26 :: v_dual_lshlrev_b32 v16, 1, v25
	v_dual_lshlrev_b32 v18, 1, v28 :: v_dual_lshlrev_b32 v19, 1, v33
	;; [unrolled: 1-line block ×6, first 2 shown]
	ds_store_b16 v8, v13 offset:2048
	v_add3_u32 v8, v9, v10, v16
	v_add3_u32 v10, v12, v19, v21
	v_dual_lshlrev_b32 v12, 1, v42 :: v_dual_lshlrev_b32 v13, 1, v41
	v_add3_u32 v9, v15, v17, v18
	v_add3_u32 v11, v11, v22, v23
	ds_store_b16 v8, v20 offset:2048
	ds_store_b16 v9, v24 offset:2048
	;; [unrolled: 1-line block ×4, first 2 shown]
	v_add3_u32 v7, v7, v12, v13
	v_dual_lshlrev_b32 v6, 1, v6 :: v_dual_lshlrev_b32 v9, 1, v45
	v_dual_lshlrev_b32 v8, 1, v46 :: v_dual_lshlrev_b32 v5, 1, v5
	;; [unrolled: 1-line block ×6, first 2 shown]
	ds_store_b16 v7, v36 offset:2048
	v_add3_u32 v6, v6, v8, v9
	v_add3_u32 v7, v5, v10, v11
	;; [unrolled: 1-line block ×3, first 2 shown]
	v_dual_mov_b32 v5, 0 :: v_dual_lshlrev_b32 v3, 3, v14
	v_add3_u32 v4, v4, v12, v13
	ds_store_b16 v6, v40 offset:2048
	ds_store_b16 v7, v44 offset:2048
	;; [unrolled: 1-line block ×4, first 2 shown]
	s_and_saveexec_b32 s1, s0
	s_cbranch_execz .LBB1973_145
; %bb.136:
	v_lshl_add_u32 v4, s23, 8, v14
	v_dual_mov_b32 v8, 0 :: v_dual_bitop2_b32 v9, 2.0, v2 bitop3:0x54
	s_mov_b32 s2, 0
	s_mov_b32 s3, s23
	s_delay_alu instid0(VALU_DEP_2)
	v_lshl_add_u64 v[6:7], v[4:5], 2, s[10:11]
	global_store_b32 v4, v9, s[10:11] scale_offset scope:SCOPE_DEV
                                        ; implicit-def: $sgpr0
	s_branch .LBB1973_139
.LBB1973_137:                           ;   in Loop: Header=BB1973_139 Depth=1
	s_or_b32 exec_lo, exec_lo, s5
.LBB1973_138:                           ;   in Loop: Header=BB1973_139 Depth=1
	s_delay_alu instid0(SALU_CYCLE_1) | instskip(SKIP_2) | instid1(VALU_DEP_2)
	s_or_b32 exec_lo, exec_lo, s4
	v_and_b32_e32 v4, 0x3fffffff, v9
	v_cmp_gt_i32_e64 s0, -2.0, v9
	v_add_nc_u32_e32 v8, v4, v8
	s_and_b32 s4, exec_lo, s0
	s_delay_alu instid0(SALU_CYCLE_1) | instskip(NEXT) | instid1(SALU_CYCLE_1)
	s_or_b32 s2, s4, s2
	s_and_not1_b32 exec_lo, exec_lo, s2
	s_cbranch_execz .LBB1973_144
.LBB1973_139:                           ; =>This Loop Header: Depth=1
                                        ;     Child Loop BB1973_142 Depth 2
	s_or_b32 s0, s0, exec_lo
	s_cmp_eq_u32 s3, 0
	s_cbranch_scc1 .LBB1973_143
; %bb.140:                              ;   in Loop: Header=BB1973_139 Depth=1
	s_add_co_i32 s3, s3, -1
	s_mov_b32 s4, exec_lo
	s_wait_xcnt 0x0
	v_lshl_or_b32 v4, s3, 8, v14
	global_load_b32 v9, v4, s[10:11] scale_offset scope:SCOPE_DEV
	s_wait_loadcnt 0x0
	v_cmpx_gt_u32_e32 2.0, v9
	s_cbranch_execz .LBB1973_138
; %bb.141:                              ;   in Loop: Header=BB1973_139 Depth=1
	v_lshl_add_u64 v[10:11], v[4:5], 2, s[10:11]
	s_mov_b32 s5, 0
.LBB1973_142:                           ;   Parent Loop BB1973_139 Depth=1
                                        ; =>  This Inner Loop Header: Depth=2
	global_load_b32 v9, v[10:11], off scope:SCOPE_DEV
	s_wait_loadcnt 0x0
	v_cmp_lt_u32_e64 s0, 0x3fffffff, v9
	s_or_b32 s5, s0, s5
	s_wait_xcnt 0x0
	s_and_not1_b32 exec_lo, exec_lo, s5
	s_cbranch_execnz .LBB1973_142
	s_branch .LBB1973_137
.LBB1973_143:                           ;   in Loop: Header=BB1973_139 Depth=1
                                        ; implicit-def: $sgpr3
	s_and_b32 s4, exec_lo, s0
	s_delay_alu instid0(SALU_CYCLE_1)
	s_or_b32 s2, s4, s2
	s_wait_xcnt 0x0
	s_and_not1_b32 exec_lo, exec_lo, s2
	s_cbranch_execnz .LBB1973_139
.LBB1973_144:
	s_or_b32 exec_lo, exec_lo, s2
	v_dual_mov_b32 v9, 0 :: v_dual_add_nc_u32 v4, v8, v2
	s_delay_alu instid0(VALU_DEP_1) | instskip(SKIP_4) | instid1(VALU_DEP_1)
	v_or_b32_e32 v4, 0x80000000, v4
	global_store_b32 v[6:7], v4, off scope:SCOPE_DEV
	global_load_b64 v[4:5], v14, s[12:13] scale_offset
	v_sub_nc_u64_e32 v[6:7], v[8:9], v[0:1]
	s_wait_loadcnt 0x0
	v_add_nc_u64_e32 v[4:5], v[6:7], v[4:5]
	ds_store_b64 v3, v[4:5]
.LBB1973_145:
	s_wait_xcnt 0x0
	s_or_b32 exec_lo, exec_lo, s1
	v_mad_i32_i24 v15, v14, -6, v3
	s_wait_storecnt_dscnt 0x0
	s_barrier_signal -1
	s_barrier_wait -1
	ds_load_u16 v16, v15 offset:2048
	ds_load_u16 v17, v15 offset:3072
	ds_load_u16 v18, v15 offset:4096
	ds_load_u16 v19, v15 offset:5120
	ds_load_u16 v20, v15 offset:6144
	ds_load_u16 v21, v15 offset:7168
	ds_load_u16 v22, v15 offset:8192
	ds_load_u16 v23, v15 offset:9216
	v_dual_mov_b32 v5, 0 :: v_dual_lshlrev_b32 v4, 1, v14
	s_add_co_i32 s8, s8, -1
	s_delay_alu instid0(SALU_CYCLE_1) | instskip(SKIP_2) | instid1(VALU_DEP_1)
	s_cmp_eq_u32 s23, s8
	s_wait_dscnt 0x7
	v_cmp_ne_u16_e64 s0, 0x8000, v16
	v_cndmask_b32_e64 v6, 0x7fff, v16, s0
	v_cmp_gt_i16_e64 s0, 0, v16
	s_delay_alu instid0(VALU_DEP_2) | instskip(NEXT) | instid1(VALU_DEP_2)
	v_and_b32_e32 v6, 0xffff, v6
	v_cndmask_b32_e64 v24, 0x7fff, 0, s0
	s_wait_dscnt 0x6
	v_cmp_ne_u16_e64 s0, 0x8000, v17
	s_delay_alu instid0(VALU_DEP_2) | instskip(NEXT) | instid1(VALU_DEP_2)
	v_xor_b32_e32 v24, v24, v16
	v_cndmask_b32_e64 v7, 0x7fff, v17, s0
	s_wait_dscnt 0x5
	v_cmp_ne_u16_e64 s0, 0x8000, v18
	s_delay_alu instid0(VALU_DEP_2) | instskip(NEXT) | instid1(VALU_DEP_2)
	v_and_b32_e32 v7, 0xffff, v7
	v_cndmask_b32_e64 v8, 0x7fff, v18, s0
	s_wait_dscnt 0x4
	v_cmp_ne_u16_e64 s0, 0x8000, v19
	s_delay_alu instid0(VALU_DEP_3) | instskip(NEXT) | instid1(VALU_DEP_3)
	v_dual_lshrrev_b32 v6, s20, v6 :: v_dual_lshrrev_b32 v7, s20, v7
	v_and_b32_e32 v8, 0xffff, v8
	s_delay_alu instid0(VALU_DEP_3) | instskip(SKIP_1) | instid1(VALU_DEP_4)
	v_cndmask_b32_e64 v9, 0x7fff, v19, s0
	v_cmp_gt_i16_e64 s0, 0, v17
	v_and_b32_e32 v7, s9, v7
	v_and_b32_e32 v6, s9, v6
	s_delay_alu instid0(VALU_DEP_4) | instskip(NEXT) | instid1(VALU_DEP_4)
	v_and_b32_e32 v9, 0xffff, v9
	v_cndmask_b32_e64 v25, 0x7fff, 0, s0
	s_wait_dscnt 0x3
	v_cmp_ne_u16_e64 s0, 0x8000, v20
	v_dual_lshrrev_b32 v8, s20, v8 :: v_dual_lshlrev_b32 v11, 3, v7
	v_dual_lshrrev_b32 v9, s20, v9 :: v_dual_lshlrev_b32 v6, 3, v6
	s_delay_alu instid0(VALU_DEP_3) | instskip(SKIP_1) | instid1(VALU_DEP_2)
	v_cndmask_b32_e64 v10, 0x7fff, v20, s0
	v_cmp_gt_i16_e64 s0, 0, v18
	v_and_b32_e32 v10, 0xffff, v10
	v_and_b32_e32 v8, s9, v8
	;; [unrolled: 1-line block ×3, first 2 shown]
	s_delay_alu instid0(VALU_DEP_4) | instskip(SKIP_1) | instid1(VALU_DEP_4)
	v_cndmask_b32_e64 v27, 0x7fff, 0, s0
	v_cmp_gt_i16_e64 s0, 0, v19
	v_dual_lshrrev_b32 v26, s20, v10 :: v_dual_lshlrev_b32 v10, 3, v8
	s_delay_alu instid0(VALU_DEP_4)
	v_lshlrev_b32_e32 v12, 3, v9
	ds_load_b64 v[6:7], v6
	ds_load_b64 v[8:9], v11
	v_cndmask_b32_e64 v28, 0x7fff, 0, s0
	s_wait_dscnt 0x4
	v_cmp_ne_u16_e64 s0, 0x8000, v21
	v_and_b32_e32 v26, s9, v26
	ds_load_b64 v[10:11], v10
	ds_load_b64 v[12:13], v12
	v_xor_b32_e32 v19, v28, v19
	v_cndmask_b32_e64 v29, 0x7fff, v21, s0
	s_wait_dscnt 0x5
	v_cmp_ne_u16_e64 s0, 0x8000, v22
	v_lshlrev_b32_e32 v26, 3, v26
	s_delay_alu instid0(VALU_DEP_2) | instskip(SKIP_1) | instid1(VALU_DEP_2)
	v_cndmask_b32_e64 v30, 0x7fff, v22, s0
	v_cmp_gt_i16_e64 s0, 0, v20
	v_and_b32_e32 v28, 0xffff, v30
	s_wait_dscnt 0x3
	v_lshl_add_u64 v[6:7], v[6:7], 1, s[18:19]
	v_xor_b32_e32 v18, v27, v18
	v_and_b32_e32 v27, 0xffff, v29
	v_xor_b32_e32 v25, v25, v17
	ds_load_b64 v[16:17], v26
	ds_load_u16 v26, v15 offset:10240
	ds_load_u16 v31, v15 offset:11264
	;; [unrolled: 1-line block ×4, first 2 shown]
	s_wait_dscnt 0x7
	v_lshl_add_u64 v[8:9], v[8:9], 1, s[18:19]
	s_wait_dscnt 0x6
	v_lshl_add_u64 v[10:11], v[10:11], 1, s[18:19]
	v_add_nc_u64_e32 v[6:7], v[6:7], v[4:5]
	s_wait_dscnt 0x5
	v_lshl_add_u64 v[12:13], v[12:13], 1, s[18:19]
	v_add_nc_u64_e32 v[8:9], v[8:9], v[4:5]
	v_add_nc_u64_e32 v[10:11], v[10:11], v[4:5]
	s_clause 0x1
	global_store_b16 v[6:7], v24, off
	global_store_b16 v[8:9], v25, off offset:1024
	s_wait_xcnt 0x1
	v_cndmask_b32_e64 v6, 0x7fff, 0, s0
	v_cmp_ne_u16_e64 s0, 0x8000, v23
	s_wait_xcnt 0x0
	v_dual_lshrrev_b32 v8, s20, v27 :: v_dual_lshrrev_b32 v9, s20, v28
	global_store_b16 v[10:11], v18, off offset:2048
	v_add_nc_u64_e32 v[12:13], v[12:13], v[4:5]
	s_wait_xcnt 0x0
	v_cndmask_b32_e64 v10, 0x7fff, v23, s0
	s_wait_dscnt 0x3
	v_cmp_ne_u16_e64 s0, 0x8000, v26
	v_and_b32_e32 v8, s9, v8
	v_and_b32_e32 v9, s9, v9
	s_delay_alu instid0(VALU_DEP_3)
	v_cndmask_b32_e64 v11, 0x7fff, v26, s0
	s_wait_dscnt 0x2
	v_cmp_ne_u16_e64 s0, 0x8000, v31
	v_lshlrev_b32_e32 v8, 3, v8
	global_store_b16 v[12:13], v19, off offset:3072
	s_wait_xcnt 0x0
	v_dual_lshlrev_b32 v13, 3, v9 :: v_dual_bitop2_b32 v12, v6, v20 bitop3:0x14
	v_lshl_add_u64 v[6:7], v[16:17], 1, s[18:19]
	v_and_b32_e32 v16, 0xffff, v10
	v_and_b32_e32 v17, 0xffff, v11
	v_cndmask_b32_e64 v18, 0x7fff, v31, s0
	ds_load_b64 v[8:9], v8
	ds_load_b64 v[10:11], v13
	v_cmp_gt_i16_e64 s0, 0, v21
	v_dual_lshrrev_b32 v13, s20, v16 :: v_dual_lshrrev_b32 v16, s20, v17
	v_and_b32_e32 v17, 0xffff, v18
	v_add_nc_u64_e32 v[6:7], v[6:7], v[4:5]
	s_delay_alu instid0(VALU_DEP_4)
	v_cndmask_b32_e64 v18, 0x7fff, 0, s0
	s_wait_dscnt 0x3
	v_cmp_ne_u16_e64 s0, 0x8000, v32
	v_dual_lshrrev_b32 v17, s20, v17 :: v_dual_bitop2_b32 v16, s9, v16 bitop3:0x40
	v_and_b32_e32 v13, s9, v13
	global_store_b16 v[6:7], v12, off offset:4096
	s_wait_xcnt 0x0
	v_dual_lshlrev_b32 v12, 3, v16 :: v_dual_bitop2_b32 v16, s9, v17 bitop3:0x40
	v_cndmask_b32_e64 v17, 0x7fff, v32, s0
	s_wait_dscnt 0x2
	v_cmp_ne_u16_e64 s0, 0x8000, v15
	s_wait_dscnt 0x1
	v_lshl_add_u64 v[8:9], v[8:9], 1, s[18:19]
	v_and_b32_e32 v17, 0xffff, v17
	s_delay_alu instid0(VALU_DEP_3)
	v_cndmask_b32_e64 v19, 0x7fff, v15, s0
	v_cmp_gt_i16_e64 s0, 0, v22
	s_wait_dscnt 0x0
	v_lshl_add_u64 v[10:11], v[10:11], 1, s[18:19]
	v_add_nc_u64_e32 v[8:9], v[8:9], v[4:5]
	v_lshrrev_b32_e32 v20, s20, v17
	v_and_b32_e32 v19, 0xffff, v19
	v_lshlrev_b32_e32 v6, 3, v13
	v_dual_lshlrev_b32 v16, 3, v16 :: v_dual_bitop2_b32 v18, v18, v21 bitop3:0x14
	v_cndmask_b32_e64 v21, 0x7fff, 0, s0
	s_delay_alu instid0(VALU_DEP_4)
	v_lshrrev_b32_e32 v19, s20, v19
	ds_load_b64 v[6:7], v6
	ds_load_b64 v[12:13], v12
	v_add_nc_u64_e32 v[10:11], v[10:11], v[4:5]
	ds_load_b64 v[16:17], v16
	v_xor_b32_e32 v21, v21, v22
	v_and_b32_e32 v19, s9, v19
	v_and_b32_e32 v20, s9, v20
	v_cmp_gt_i16_e64 s0, 0, v23
	s_clause 0x1
	global_store_b16 v[8:9], v18, off offset:5120
	global_store_b16 v[10:11], v21, off offset:6144
	v_dual_lshlrev_b32 v19, 3, v19 :: v_dual_lshlrev_b32 v20, 3, v20
	v_cndmask_b32_e64 v22, 0x7fff, 0, s0
	v_cmp_gt_i16_e64 s0, 0, v26
	s_wait_xcnt 0x0
	ds_load_b64 v[10:11], v19
	ds_load_b64 v[8:9], v20
	v_xor_b32_e32 v18, v22, v23
	v_cndmask_b32_e64 v19, 0x7fff, 0, s0
	v_cmp_gt_i16_e64 s0, 0, v31
	s_wait_dscnt 0x4
	v_lshl_add_u64 v[6:7], v[6:7], 1, s[18:19]
	s_wait_dscnt 0x3
	v_lshl_add_u64 v[12:13], v[12:13], 1, s[18:19]
	;; [unrolled: 2-line block ×3, first 2 shown]
	v_cndmask_b32_e64 v20, 0x7fff, 0, s0
	v_cmp_gt_i16_e64 s0, 0, v32
	v_add_nc_u64_e32 v[6:7], v[6:7], v[4:5]
	v_add_nc_u64_e32 v[12:13], v[12:13], v[4:5]
	;; [unrolled: 1-line block ×3, first 2 shown]
	v_xor_b32_e32 v19, v19, v26
	v_xor_b32_e32 v20, v20, v31
	v_cndmask_b32_e64 v21, 0x7fff, 0, s0
	v_cmp_gt_i16_e64 s0, 0, v15
	s_clause 0x2
	global_store_b16 v[6:7], v18, off offset:7168
	global_store_b16 v[12:13], v19, off offset:8192
	;; [unrolled: 1-line block ×3, first 2 shown]
	s_wait_dscnt 0x0
	s_wait_xcnt 0x2
	v_lshl_add_u64 v[6:7], v[8:9], 1, s[18:19]
	v_lshl_add_u64 v[8:9], v[10:11], 1, s[18:19]
	v_cndmask_b32_e64 v10, 0x7fff, 0, s0
	s_wait_xcnt 0x1
	v_xor_b32_e32 v12, v21, v32
	s_cselect_b32 s0, -1, 0
	v_add_nc_u64_e32 v[6:7], v[6:7], v[4:5]
	v_add_nc_u64_e32 v[8:9], v[8:9], v[4:5]
	v_xor_b32_e32 v4, v10, v15
	s_xor_b32 s1, vcc_lo, -1
	s_delay_alu instid0(SALU_CYCLE_1)
	s_and_b32 s0, s1, s0
	s_clause 0x1
	global_store_b16 v[6:7], v12, off offset:10240
	global_store_b16 v[8:9], v4, off offset:11264
	s_wait_xcnt 0x0
	s_and_saveexec_b32 s1, s0
	s_cbranch_execz .LBB1973_147
; %bb.146:
	ds_load_b64 v[6:7], v3
	v_mov_b32_e32 v3, v5
	s_delay_alu instid0(VALU_DEP_1) | instskip(SKIP_1) | instid1(VALU_DEP_1)
	v_add_nc_u64_e32 v[0:1], v[0:1], v[2:3]
	s_wait_dscnt 0x0
	v_add_nc_u64_e32 v[0:1], v[0:1], v[6:7]
	global_store_b64 v14, v[0:1], s[14:15] scale_offset
.LBB1973_147:
	s_sendmsg sendmsg(MSG_DEALLOC_VGPRS)
	s_endpgm
	.section	.rodata,"a",@progbits
	.p2align	6, 0x0
	.amdhsa_kernel _ZN7rocprim17ROCPRIM_400000_NS6detail17trampoline_kernelINS0_14default_configENS1_35radix_sort_onesweep_config_selectorI12hip_bfloat16NS0_10empty_typeEEEZZNS1_29radix_sort_onesweep_iterationIS3_Lb1EPKS5_PS5_PS6_SC_mNS0_19identity_decomposerENS1_16block_id_wrapperIjLb1EEEEE10hipError_tT1_PNSt15iterator_traitsISH_E10value_typeET2_T3_PNSI_ISN_E10value_typeET4_T5_PSS_ST_PNS1_23onesweep_lookback_stateEbbT6_jjT7_P12ihipStream_tbENKUlT_T0_SH_SM_E_clISB_SB_SC_SC_EEDaS10_S11_SH_SM_EUlS10_E_NS1_11comp_targetILNS1_3genE0ELNS1_11target_archE4294967295ELNS1_3gpuE0ELNS1_3repE0EEENS1_47radix_sort_onesweep_sort_config_static_selectorELNS0_4arch9wavefront6targetE0EEEvSH_
		.amdhsa_group_segment_fixed_size 18504
		.amdhsa_private_segment_fixed_size 0
		.amdhsa_kernarg_size 344
		.amdhsa_user_sgpr_count 2
		.amdhsa_user_sgpr_dispatch_ptr 0
		.amdhsa_user_sgpr_queue_ptr 0
		.amdhsa_user_sgpr_kernarg_segment_ptr 1
		.amdhsa_user_sgpr_dispatch_id 0
		.amdhsa_user_sgpr_kernarg_preload_length 0
		.amdhsa_user_sgpr_kernarg_preload_offset 0
		.amdhsa_user_sgpr_private_segment_size 0
		.amdhsa_wavefront_size32 1
		.amdhsa_uses_dynamic_stack 0
		.amdhsa_enable_private_segment 0
		.amdhsa_system_sgpr_workgroup_id_x 1
		.amdhsa_system_sgpr_workgroup_id_y 0
		.amdhsa_system_sgpr_workgroup_id_z 0
		.amdhsa_system_sgpr_workgroup_info 0
		.amdhsa_system_vgpr_workitem_id 2
		.amdhsa_next_free_vgpr 65
		.amdhsa_next_free_sgpr 30
		.amdhsa_named_barrier_count 0
		.amdhsa_reserve_vcc 1
		.amdhsa_float_round_mode_32 0
		.amdhsa_float_round_mode_16_64 0
		.amdhsa_float_denorm_mode_32 3
		.amdhsa_float_denorm_mode_16_64 3
		.amdhsa_fp16_overflow 0
		.amdhsa_memory_ordered 1
		.amdhsa_forward_progress 1
		.amdhsa_inst_pref_size 148
		.amdhsa_round_robin_scheduling 0
		.amdhsa_exception_fp_ieee_invalid_op 0
		.amdhsa_exception_fp_denorm_src 0
		.amdhsa_exception_fp_ieee_div_zero 0
		.amdhsa_exception_fp_ieee_overflow 0
		.amdhsa_exception_fp_ieee_underflow 0
		.amdhsa_exception_fp_ieee_inexact 0
		.amdhsa_exception_int_div_zero 0
	.end_amdhsa_kernel
	.section	.text._ZN7rocprim17ROCPRIM_400000_NS6detail17trampoline_kernelINS0_14default_configENS1_35radix_sort_onesweep_config_selectorI12hip_bfloat16NS0_10empty_typeEEEZZNS1_29radix_sort_onesweep_iterationIS3_Lb1EPKS5_PS5_PS6_SC_mNS0_19identity_decomposerENS1_16block_id_wrapperIjLb1EEEEE10hipError_tT1_PNSt15iterator_traitsISH_E10value_typeET2_T3_PNSI_ISN_E10value_typeET4_T5_PSS_ST_PNS1_23onesweep_lookback_stateEbbT6_jjT7_P12ihipStream_tbENKUlT_T0_SH_SM_E_clISB_SB_SC_SC_EEDaS10_S11_SH_SM_EUlS10_E_NS1_11comp_targetILNS1_3genE0ELNS1_11target_archE4294967295ELNS1_3gpuE0ELNS1_3repE0EEENS1_47radix_sort_onesweep_sort_config_static_selectorELNS0_4arch9wavefront6targetE0EEEvSH_,"axG",@progbits,_ZN7rocprim17ROCPRIM_400000_NS6detail17trampoline_kernelINS0_14default_configENS1_35radix_sort_onesweep_config_selectorI12hip_bfloat16NS0_10empty_typeEEEZZNS1_29radix_sort_onesweep_iterationIS3_Lb1EPKS5_PS5_PS6_SC_mNS0_19identity_decomposerENS1_16block_id_wrapperIjLb1EEEEE10hipError_tT1_PNSt15iterator_traitsISH_E10value_typeET2_T3_PNSI_ISN_E10value_typeET4_T5_PSS_ST_PNS1_23onesweep_lookback_stateEbbT6_jjT7_P12ihipStream_tbENKUlT_T0_SH_SM_E_clISB_SB_SC_SC_EEDaS10_S11_SH_SM_EUlS10_E_NS1_11comp_targetILNS1_3genE0ELNS1_11target_archE4294967295ELNS1_3gpuE0ELNS1_3repE0EEENS1_47radix_sort_onesweep_sort_config_static_selectorELNS0_4arch9wavefront6targetE0EEEvSH_,comdat
.Lfunc_end1973:
	.size	_ZN7rocprim17ROCPRIM_400000_NS6detail17trampoline_kernelINS0_14default_configENS1_35radix_sort_onesweep_config_selectorI12hip_bfloat16NS0_10empty_typeEEEZZNS1_29radix_sort_onesweep_iterationIS3_Lb1EPKS5_PS5_PS6_SC_mNS0_19identity_decomposerENS1_16block_id_wrapperIjLb1EEEEE10hipError_tT1_PNSt15iterator_traitsISH_E10value_typeET2_T3_PNSI_ISN_E10value_typeET4_T5_PSS_ST_PNS1_23onesweep_lookback_stateEbbT6_jjT7_P12ihipStream_tbENKUlT_T0_SH_SM_E_clISB_SB_SC_SC_EEDaS10_S11_SH_SM_EUlS10_E_NS1_11comp_targetILNS1_3genE0ELNS1_11target_archE4294967295ELNS1_3gpuE0ELNS1_3repE0EEENS1_47radix_sort_onesweep_sort_config_static_selectorELNS0_4arch9wavefront6targetE0EEEvSH_, .Lfunc_end1973-_ZN7rocprim17ROCPRIM_400000_NS6detail17trampoline_kernelINS0_14default_configENS1_35radix_sort_onesweep_config_selectorI12hip_bfloat16NS0_10empty_typeEEEZZNS1_29radix_sort_onesweep_iterationIS3_Lb1EPKS5_PS5_PS6_SC_mNS0_19identity_decomposerENS1_16block_id_wrapperIjLb1EEEEE10hipError_tT1_PNSt15iterator_traitsISH_E10value_typeET2_T3_PNSI_ISN_E10value_typeET4_T5_PSS_ST_PNS1_23onesweep_lookback_stateEbbT6_jjT7_P12ihipStream_tbENKUlT_T0_SH_SM_E_clISB_SB_SC_SC_EEDaS10_S11_SH_SM_EUlS10_E_NS1_11comp_targetILNS1_3genE0ELNS1_11target_archE4294967295ELNS1_3gpuE0ELNS1_3repE0EEENS1_47radix_sort_onesweep_sort_config_static_selectorELNS0_4arch9wavefront6targetE0EEEvSH_
                                        ; -- End function
	.set _ZN7rocprim17ROCPRIM_400000_NS6detail17trampoline_kernelINS0_14default_configENS1_35radix_sort_onesweep_config_selectorI12hip_bfloat16NS0_10empty_typeEEEZZNS1_29radix_sort_onesweep_iterationIS3_Lb1EPKS5_PS5_PS6_SC_mNS0_19identity_decomposerENS1_16block_id_wrapperIjLb1EEEEE10hipError_tT1_PNSt15iterator_traitsISH_E10value_typeET2_T3_PNSI_ISN_E10value_typeET4_T5_PSS_ST_PNS1_23onesweep_lookback_stateEbbT6_jjT7_P12ihipStream_tbENKUlT_T0_SH_SM_E_clISB_SB_SC_SC_EEDaS10_S11_SH_SM_EUlS10_E_NS1_11comp_targetILNS1_3genE0ELNS1_11target_archE4294967295ELNS1_3gpuE0ELNS1_3repE0EEENS1_47radix_sort_onesweep_sort_config_static_selectorELNS0_4arch9wavefront6targetE0EEEvSH_.num_vgpr, 65
	.set _ZN7rocprim17ROCPRIM_400000_NS6detail17trampoline_kernelINS0_14default_configENS1_35radix_sort_onesweep_config_selectorI12hip_bfloat16NS0_10empty_typeEEEZZNS1_29radix_sort_onesweep_iterationIS3_Lb1EPKS5_PS5_PS6_SC_mNS0_19identity_decomposerENS1_16block_id_wrapperIjLb1EEEEE10hipError_tT1_PNSt15iterator_traitsISH_E10value_typeET2_T3_PNSI_ISN_E10value_typeET4_T5_PSS_ST_PNS1_23onesweep_lookback_stateEbbT6_jjT7_P12ihipStream_tbENKUlT_T0_SH_SM_E_clISB_SB_SC_SC_EEDaS10_S11_SH_SM_EUlS10_E_NS1_11comp_targetILNS1_3genE0ELNS1_11target_archE4294967295ELNS1_3gpuE0ELNS1_3repE0EEENS1_47radix_sort_onesweep_sort_config_static_selectorELNS0_4arch9wavefront6targetE0EEEvSH_.num_agpr, 0
	.set _ZN7rocprim17ROCPRIM_400000_NS6detail17trampoline_kernelINS0_14default_configENS1_35radix_sort_onesweep_config_selectorI12hip_bfloat16NS0_10empty_typeEEEZZNS1_29radix_sort_onesweep_iterationIS3_Lb1EPKS5_PS5_PS6_SC_mNS0_19identity_decomposerENS1_16block_id_wrapperIjLb1EEEEE10hipError_tT1_PNSt15iterator_traitsISH_E10value_typeET2_T3_PNSI_ISN_E10value_typeET4_T5_PSS_ST_PNS1_23onesweep_lookback_stateEbbT6_jjT7_P12ihipStream_tbENKUlT_T0_SH_SM_E_clISB_SB_SC_SC_EEDaS10_S11_SH_SM_EUlS10_E_NS1_11comp_targetILNS1_3genE0ELNS1_11target_archE4294967295ELNS1_3gpuE0ELNS1_3repE0EEENS1_47radix_sort_onesweep_sort_config_static_selectorELNS0_4arch9wavefront6targetE0EEEvSH_.numbered_sgpr, 30
	.set _ZN7rocprim17ROCPRIM_400000_NS6detail17trampoline_kernelINS0_14default_configENS1_35radix_sort_onesweep_config_selectorI12hip_bfloat16NS0_10empty_typeEEEZZNS1_29radix_sort_onesweep_iterationIS3_Lb1EPKS5_PS5_PS6_SC_mNS0_19identity_decomposerENS1_16block_id_wrapperIjLb1EEEEE10hipError_tT1_PNSt15iterator_traitsISH_E10value_typeET2_T3_PNSI_ISN_E10value_typeET4_T5_PSS_ST_PNS1_23onesweep_lookback_stateEbbT6_jjT7_P12ihipStream_tbENKUlT_T0_SH_SM_E_clISB_SB_SC_SC_EEDaS10_S11_SH_SM_EUlS10_E_NS1_11comp_targetILNS1_3genE0ELNS1_11target_archE4294967295ELNS1_3gpuE0ELNS1_3repE0EEENS1_47radix_sort_onesweep_sort_config_static_selectorELNS0_4arch9wavefront6targetE0EEEvSH_.num_named_barrier, 0
	.set _ZN7rocprim17ROCPRIM_400000_NS6detail17trampoline_kernelINS0_14default_configENS1_35radix_sort_onesweep_config_selectorI12hip_bfloat16NS0_10empty_typeEEEZZNS1_29radix_sort_onesweep_iterationIS3_Lb1EPKS5_PS5_PS6_SC_mNS0_19identity_decomposerENS1_16block_id_wrapperIjLb1EEEEE10hipError_tT1_PNSt15iterator_traitsISH_E10value_typeET2_T3_PNSI_ISN_E10value_typeET4_T5_PSS_ST_PNS1_23onesweep_lookback_stateEbbT6_jjT7_P12ihipStream_tbENKUlT_T0_SH_SM_E_clISB_SB_SC_SC_EEDaS10_S11_SH_SM_EUlS10_E_NS1_11comp_targetILNS1_3genE0ELNS1_11target_archE4294967295ELNS1_3gpuE0ELNS1_3repE0EEENS1_47radix_sort_onesweep_sort_config_static_selectorELNS0_4arch9wavefront6targetE0EEEvSH_.private_seg_size, 0
	.set _ZN7rocprim17ROCPRIM_400000_NS6detail17trampoline_kernelINS0_14default_configENS1_35radix_sort_onesweep_config_selectorI12hip_bfloat16NS0_10empty_typeEEEZZNS1_29radix_sort_onesweep_iterationIS3_Lb1EPKS5_PS5_PS6_SC_mNS0_19identity_decomposerENS1_16block_id_wrapperIjLb1EEEEE10hipError_tT1_PNSt15iterator_traitsISH_E10value_typeET2_T3_PNSI_ISN_E10value_typeET4_T5_PSS_ST_PNS1_23onesweep_lookback_stateEbbT6_jjT7_P12ihipStream_tbENKUlT_T0_SH_SM_E_clISB_SB_SC_SC_EEDaS10_S11_SH_SM_EUlS10_E_NS1_11comp_targetILNS1_3genE0ELNS1_11target_archE4294967295ELNS1_3gpuE0ELNS1_3repE0EEENS1_47radix_sort_onesweep_sort_config_static_selectorELNS0_4arch9wavefront6targetE0EEEvSH_.uses_vcc, 1
	.set _ZN7rocprim17ROCPRIM_400000_NS6detail17trampoline_kernelINS0_14default_configENS1_35radix_sort_onesweep_config_selectorI12hip_bfloat16NS0_10empty_typeEEEZZNS1_29radix_sort_onesweep_iterationIS3_Lb1EPKS5_PS5_PS6_SC_mNS0_19identity_decomposerENS1_16block_id_wrapperIjLb1EEEEE10hipError_tT1_PNSt15iterator_traitsISH_E10value_typeET2_T3_PNSI_ISN_E10value_typeET4_T5_PSS_ST_PNS1_23onesweep_lookback_stateEbbT6_jjT7_P12ihipStream_tbENKUlT_T0_SH_SM_E_clISB_SB_SC_SC_EEDaS10_S11_SH_SM_EUlS10_E_NS1_11comp_targetILNS1_3genE0ELNS1_11target_archE4294967295ELNS1_3gpuE0ELNS1_3repE0EEENS1_47radix_sort_onesweep_sort_config_static_selectorELNS0_4arch9wavefront6targetE0EEEvSH_.uses_flat_scratch, 0
	.set _ZN7rocprim17ROCPRIM_400000_NS6detail17trampoline_kernelINS0_14default_configENS1_35radix_sort_onesweep_config_selectorI12hip_bfloat16NS0_10empty_typeEEEZZNS1_29radix_sort_onesweep_iterationIS3_Lb1EPKS5_PS5_PS6_SC_mNS0_19identity_decomposerENS1_16block_id_wrapperIjLb1EEEEE10hipError_tT1_PNSt15iterator_traitsISH_E10value_typeET2_T3_PNSI_ISN_E10value_typeET4_T5_PSS_ST_PNS1_23onesweep_lookback_stateEbbT6_jjT7_P12ihipStream_tbENKUlT_T0_SH_SM_E_clISB_SB_SC_SC_EEDaS10_S11_SH_SM_EUlS10_E_NS1_11comp_targetILNS1_3genE0ELNS1_11target_archE4294967295ELNS1_3gpuE0ELNS1_3repE0EEENS1_47radix_sort_onesweep_sort_config_static_selectorELNS0_4arch9wavefront6targetE0EEEvSH_.has_dyn_sized_stack, 0
	.set _ZN7rocprim17ROCPRIM_400000_NS6detail17trampoline_kernelINS0_14default_configENS1_35radix_sort_onesweep_config_selectorI12hip_bfloat16NS0_10empty_typeEEEZZNS1_29radix_sort_onesweep_iterationIS3_Lb1EPKS5_PS5_PS6_SC_mNS0_19identity_decomposerENS1_16block_id_wrapperIjLb1EEEEE10hipError_tT1_PNSt15iterator_traitsISH_E10value_typeET2_T3_PNSI_ISN_E10value_typeET4_T5_PSS_ST_PNS1_23onesweep_lookback_stateEbbT6_jjT7_P12ihipStream_tbENKUlT_T0_SH_SM_E_clISB_SB_SC_SC_EEDaS10_S11_SH_SM_EUlS10_E_NS1_11comp_targetILNS1_3genE0ELNS1_11target_archE4294967295ELNS1_3gpuE0ELNS1_3repE0EEENS1_47radix_sort_onesweep_sort_config_static_selectorELNS0_4arch9wavefront6targetE0EEEvSH_.has_recursion, 0
	.set _ZN7rocprim17ROCPRIM_400000_NS6detail17trampoline_kernelINS0_14default_configENS1_35radix_sort_onesweep_config_selectorI12hip_bfloat16NS0_10empty_typeEEEZZNS1_29radix_sort_onesweep_iterationIS3_Lb1EPKS5_PS5_PS6_SC_mNS0_19identity_decomposerENS1_16block_id_wrapperIjLb1EEEEE10hipError_tT1_PNSt15iterator_traitsISH_E10value_typeET2_T3_PNSI_ISN_E10value_typeET4_T5_PSS_ST_PNS1_23onesweep_lookback_stateEbbT6_jjT7_P12ihipStream_tbENKUlT_T0_SH_SM_E_clISB_SB_SC_SC_EEDaS10_S11_SH_SM_EUlS10_E_NS1_11comp_targetILNS1_3genE0ELNS1_11target_archE4294967295ELNS1_3gpuE0ELNS1_3repE0EEENS1_47radix_sort_onesweep_sort_config_static_selectorELNS0_4arch9wavefront6targetE0EEEvSH_.has_indirect_call, 0
	.section	.AMDGPU.csdata,"",@progbits
; Kernel info:
; codeLenInByte = 18880
; TotalNumSgprs: 32
; NumVgprs: 65
; ScratchSize: 0
; MemoryBound: 0
; FloatMode: 240
; IeeeMode: 1
; LDSByteSize: 18504 bytes/workgroup (compile time only)
; SGPRBlocks: 0
; VGPRBlocks: 4
; NumSGPRsForWavesPerEU: 32
; NumVGPRsForWavesPerEU: 65
; NamedBarCnt: 0
; Occupancy: 12
; WaveLimiterHint : 0
; COMPUTE_PGM_RSRC2:SCRATCH_EN: 0
; COMPUTE_PGM_RSRC2:USER_SGPR: 2
; COMPUTE_PGM_RSRC2:TRAP_HANDLER: 0
; COMPUTE_PGM_RSRC2:TGID_X_EN: 1
; COMPUTE_PGM_RSRC2:TGID_Y_EN: 0
; COMPUTE_PGM_RSRC2:TGID_Z_EN: 0
; COMPUTE_PGM_RSRC2:TIDIG_COMP_CNT: 2
	.section	.text._ZN7rocprim17ROCPRIM_400000_NS6detail17trampoline_kernelINS0_14default_configENS1_35radix_sort_onesweep_config_selectorI12hip_bfloat16NS0_10empty_typeEEEZZNS1_29radix_sort_onesweep_iterationIS3_Lb1EPKS5_PS5_PS6_SC_mNS0_19identity_decomposerENS1_16block_id_wrapperIjLb1EEEEE10hipError_tT1_PNSt15iterator_traitsISH_E10value_typeET2_T3_PNSI_ISN_E10value_typeET4_T5_PSS_ST_PNS1_23onesweep_lookback_stateEbbT6_jjT7_P12ihipStream_tbENKUlT_T0_SH_SM_E_clISB_SB_SC_SC_EEDaS10_S11_SH_SM_EUlS10_E_NS1_11comp_targetILNS1_3genE6ELNS1_11target_archE950ELNS1_3gpuE13ELNS1_3repE0EEENS1_47radix_sort_onesweep_sort_config_static_selectorELNS0_4arch9wavefront6targetE0EEEvSH_,"axG",@progbits,_ZN7rocprim17ROCPRIM_400000_NS6detail17trampoline_kernelINS0_14default_configENS1_35radix_sort_onesweep_config_selectorI12hip_bfloat16NS0_10empty_typeEEEZZNS1_29radix_sort_onesweep_iterationIS3_Lb1EPKS5_PS5_PS6_SC_mNS0_19identity_decomposerENS1_16block_id_wrapperIjLb1EEEEE10hipError_tT1_PNSt15iterator_traitsISH_E10value_typeET2_T3_PNSI_ISN_E10value_typeET4_T5_PSS_ST_PNS1_23onesweep_lookback_stateEbbT6_jjT7_P12ihipStream_tbENKUlT_T0_SH_SM_E_clISB_SB_SC_SC_EEDaS10_S11_SH_SM_EUlS10_E_NS1_11comp_targetILNS1_3genE6ELNS1_11target_archE950ELNS1_3gpuE13ELNS1_3repE0EEENS1_47radix_sort_onesweep_sort_config_static_selectorELNS0_4arch9wavefront6targetE0EEEvSH_,comdat
	.protected	_ZN7rocprim17ROCPRIM_400000_NS6detail17trampoline_kernelINS0_14default_configENS1_35radix_sort_onesweep_config_selectorI12hip_bfloat16NS0_10empty_typeEEEZZNS1_29radix_sort_onesweep_iterationIS3_Lb1EPKS5_PS5_PS6_SC_mNS0_19identity_decomposerENS1_16block_id_wrapperIjLb1EEEEE10hipError_tT1_PNSt15iterator_traitsISH_E10value_typeET2_T3_PNSI_ISN_E10value_typeET4_T5_PSS_ST_PNS1_23onesweep_lookback_stateEbbT6_jjT7_P12ihipStream_tbENKUlT_T0_SH_SM_E_clISB_SB_SC_SC_EEDaS10_S11_SH_SM_EUlS10_E_NS1_11comp_targetILNS1_3genE6ELNS1_11target_archE950ELNS1_3gpuE13ELNS1_3repE0EEENS1_47radix_sort_onesweep_sort_config_static_selectorELNS0_4arch9wavefront6targetE0EEEvSH_ ; -- Begin function _ZN7rocprim17ROCPRIM_400000_NS6detail17trampoline_kernelINS0_14default_configENS1_35radix_sort_onesweep_config_selectorI12hip_bfloat16NS0_10empty_typeEEEZZNS1_29radix_sort_onesweep_iterationIS3_Lb1EPKS5_PS5_PS6_SC_mNS0_19identity_decomposerENS1_16block_id_wrapperIjLb1EEEEE10hipError_tT1_PNSt15iterator_traitsISH_E10value_typeET2_T3_PNSI_ISN_E10value_typeET4_T5_PSS_ST_PNS1_23onesweep_lookback_stateEbbT6_jjT7_P12ihipStream_tbENKUlT_T0_SH_SM_E_clISB_SB_SC_SC_EEDaS10_S11_SH_SM_EUlS10_E_NS1_11comp_targetILNS1_3genE6ELNS1_11target_archE950ELNS1_3gpuE13ELNS1_3repE0EEENS1_47radix_sort_onesweep_sort_config_static_selectorELNS0_4arch9wavefront6targetE0EEEvSH_
	.globl	_ZN7rocprim17ROCPRIM_400000_NS6detail17trampoline_kernelINS0_14default_configENS1_35radix_sort_onesweep_config_selectorI12hip_bfloat16NS0_10empty_typeEEEZZNS1_29radix_sort_onesweep_iterationIS3_Lb1EPKS5_PS5_PS6_SC_mNS0_19identity_decomposerENS1_16block_id_wrapperIjLb1EEEEE10hipError_tT1_PNSt15iterator_traitsISH_E10value_typeET2_T3_PNSI_ISN_E10value_typeET4_T5_PSS_ST_PNS1_23onesweep_lookback_stateEbbT6_jjT7_P12ihipStream_tbENKUlT_T0_SH_SM_E_clISB_SB_SC_SC_EEDaS10_S11_SH_SM_EUlS10_E_NS1_11comp_targetILNS1_3genE6ELNS1_11target_archE950ELNS1_3gpuE13ELNS1_3repE0EEENS1_47radix_sort_onesweep_sort_config_static_selectorELNS0_4arch9wavefront6targetE0EEEvSH_
	.p2align	8
	.type	_ZN7rocprim17ROCPRIM_400000_NS6detail17trampoline_kernelINS0_14default_configENS1_35radix_sort_onesweep_config_selectorI12hip_bfloat16NS0_10empty_typeEEEZZNS1_29radix_sort_onesweep_iterationIS3_Lb1EPKS5_PS5_PS6_SC_mNS0_19identity_decomposerENS1_16block_id_wrapperIjLb1EEEEE10hipError_tT1_PNSt15iterator_traitsISH_E10value_typeET2_T3_PNSI_ISN_E10value_typeET4_T5_PSS_ST_PNS1_23onesweep_lookback_stateEbbT6_jjT7_P12ihipStream_tbENKUlT_T0_SH_SM_E_clISB_SB_SC_SC_EEDaS10_S11_SH_SM_EUlS10_E_NS1_11comp_targetILNS1_3genE6ELNS1_11target_archE950ELNS1_3gpuE13ELNS1_3repE0EEENS1_47radix_sort_onesweep_sort_config_static_selectorELNS0_4arch9wavefront6targetE0EEEvSH_,@function
_ZN7rocprim17ROCPRIM_400000_NS6detail17trampoline_kernelINS0_14default_configENS1_35radix_sort_onesweep_config_selectorI12hip_bfloat16NS0_10empty_typeEEEZZNS1_29radix_sort_onesweep_iterationIS3_Lb1EPKS5_PS5_PS6_SC_mNS0_19identity_decomposerENS1_16block_id_wrapperIjLb1EEEEE10hipError_tT1_PNSt15iterator_traitsISH_E10value_typeET2_T3_PNSI_ISN_E10value_typeET4_T5_PSS_ST_PNS1_23onesweep_lookback_stateEbbT6_jjT7_P12ihipStream_tbENKUlT_T0_SH_SM_E_clISB_SB_SC_SC_EEDaS10_S11_SH_SM_EUlS10_E_NS1_11comp_targetILNS1_3genE6ELNS1_11target_archE950ELNS1_3gpuE13ELNS1_3repE0EEENS1_47radix_sort_onesweep_sort_config_static_selectorELNS0_4arch9wavefront6targetE0EEEvSH_: ; @_ZN7rocprim17ROCPRIM_400000_NS6detail17trampoline_kernelINS0_14default_configENS1_35radix_sort_onesweep_config_selectorI12hip_bfloat16NS0_10empty_typeEEEZZNS1_29radix_sort_onesweep_iterationIS3_Lb1EPKS5_PS5_PS6_SC_mNS0_19identity_decomposerENS1_16block_id_wrapperIjLb1EEEEE10hipError_tT1_PNSt15iterator_traitsISH_E10value_typeET2_T3_PNSI_ISN_E10value_typeET4_T5_PSS_ST_PNS1_23onesweep_lookback_stateEbbT6_jjT7_P12ihipStream_tbENKUlT_T0_SH_SM_E_clISB_SB_SC_SC_EEDaS10_S11_SH_SM_EUlS10_E_NS1_11comp_targetILNS1_3genE6ELNS1_11target_archE950ELNS1_3gpuE13ELNS1_3repE0EEENS1_47radix_sort_onesweep_sort_config_static_selectorELNS0_4arch9wavefront6targetE0EEEvSH_
; %bb.0:
	.section	.rodata,"a",@progbits
	.p2align	6, 0x0
	.amdhsa_kernel _ZN7rocprim17ROCPRIM_400000_NS6detail17trampoline_kernelINS0_14default_configENS1_35radix_sort_onesweep_config_selectorI12hip_bfloat16NS0_10empty_typeEEEZZNS1_29radix_sort_onesweep_iterationIS3_Lb1EPKS5_PS5_PS6_SC_mNS0_19identity_decomposerENS1_16block_id_wrapperIjLb1EEEEE10hipError_tT1_PNSt15iterator_traitsISH_E10value_typeET2_T3_PNSI_ISN_E10value_typeET4_T5_PSS_ST_PNS1_23onesweep_lookback_stateEbbT6_jjT7_P12ihipStream_tbENKUlT_T0_SH_SM_E_clISB_SB_SC_SC_EEDaS10_S11_SH_SM_EUlS10_E_NS1_11comp_targetILNS1_3genE6ELNS1_11target_archE950ELNS1_3gpuE13ELNS1_3repE0EEENS1_47radix_sort_onesweep_sort_config_static_selectorELNS0_4arch9wavefront6targetE0EEEvSH_
		.amdhsa_group_segment_fixed_size 0
		.amdhsa_private_segment_fixed_size 0
		.amdhsa_kernarg_size 88
		.amdhsa_user_sgpr_count 2
		.amdhsa_user_sgpr_dispatch_ptr 0
		.amdhsa_user_sgpr_queue_ptr 0
		.amdhsa_user_sgpr_kernarg_segment_ptr 1
		.amdhsa_user_sgpr_dispatch_id 0
		.amdhsa_user_sgpr_kernarg_preload_length 0
		.amdhsa_user_sgpr_kernarg_preload_offset 0
		.amdhsa_user_sgpr_private_segment_size 0
		.amdhsa_wavefront_size32 1
		.amdhsa_uses_dynamic_stack 0
		.amdhsa_enable_private_segment 0
		.amdhsa_system_sgpr_workgroup_id_x 1
		.amdhsa_system_sgpr_workgroup_id_y 0
		.amdhsa_system_sgpr_workgroup_id_z 0
		.amdhsa_system_sgpr_workgroup_info 0
		.amdhsa_system_vgpr_workitem_id 0
		.amdhsa_next_free_vgpr 1
		.amdhsa_next_free_sgpr 1
		.amdhsa_named_barrier_count 0
		.amdhsa_reserve_vcc 0
		.amdhsa_float_round_mode_32 0
		.amdhsa_float_round_mode_16_64 0
		.amdhsa_float_denorm_mode_32 3
		.amdhsa_float_denorm_mode_16_64 3
		.amdhsa_fp16_overflow 0
		.amdhsa_memory_ordered 1
		.amdhsa_forward_progress 1
		.amdhsa_inst_pref_size 0
		.amdhsa_round_robin_scheduling 0
		.amdhsa_exception_fp_ieee_invalid_op 0
		.amdhsa_exception_fp_denorm_src 0
		.amdhsa_exception_fp_ieee_div_zero 0
		.amdhsa_exception_fp_ieee_overflow 0
		.amdhsa_exception_fp_ieee_underflow 0
		.amdhsa_exception_fp_ieee_inexact 0
		.amdhsa_exception_int_div_zero 0
	.end_amdhsa_kernel
	.section	.text._ZN7rocprim17ROCPRIM_400000_NS6detail17trampoline_kernelINS0_14default_configENS1_35radix_sort_onesweep_config_selectorI12hip_bfloat16NS0_10empty_typeEEEZZNS1_29radix_sort_onesweep_iterationIS3_Lb1EPKS5_PS5_PS6_SC_mNS0_19identity_decomposerENS1_16block_id_wrapperIjLb1EEEEE10hipError_tT1_PNSt15iterator_traitsISH_E10value_typeET2_T3_PNSI_ISN_E10value_typeET4_T5_PSS_ST_PNS1_23onesweep_lookback_stateEbbT6_jjT7_P12ihipStream_tbENKUlT_T0_SH_SM_E_clISB_SB_SC_SC_EEDaS10_S11_SH_SM_EUlS10_E_NS1_11comp_targetILNS1_3genE6ELNS1_11target_archE950ELNS1_3gpuE13ELNS1_3repE0EEENS1_47radix_sort_onesweep_sort_config_static_selectorELNS0_4arch9wavefront6targetE0EEEvSH_,"axG",@progbits,_ZN7rocprim17ROCPRIM_400000_NS6detail17trampoline_kernelINS0_14default_configENS1_35radix_sort_onesweep_config_selectorI12hip_bfloat16NS0_10empty_typeEEEZZNS1_29radix_sort_onesweep_iterationIS3_Lb1EPKS5_PS5_PS6_SC_mNS0_19identity_decomposerENS1_16block_id_wrapperIjLb1EEEEE10hipError_tT1_PNSt15iterator_traitsISH_E10value_typeET2_T3_PNSI_ISN_E10value_typeET4_T5_PSS_ST_PNS1_23onesweep_lookback_stateEbbT6_jjT7_P12ihipStream_tbENKUlT_T0_SH_SM_E_clISB_SB_SC_SC_EEDaS10_S11_SH_SM_EUlS10_E_NS1_11comp_targetILNS1_3genE6ELNS1_11target_archE950ELNS1_3gpuE13ELNS1_3repE0EEENS1_47radix_sort_onesweep_sort_config_static_selectorELNS0_4arch9wavefront6targetE0EEEvSH_,comdat
.Lfunc_end1974:
	.size	_ZN7rocprim17ROCPRIM_400000_NS6detail17trampoline_kernelINS0_14default_configENS1_35radix_sort_onesweep_config_selectorI12hip_bfloat16NS0_10empty_typeEEEZZNS1_29radix_sort_onesweep_iterationIS3_Lb1EPKS5_PS5_PS6_SC_mNS0_19identity_decomposerENS1_16block_id_wrapperIjLb1EEEEE10hipError_tT1_PNSt15iterator_traitsISH_E10value_typeET2_T3_PNSI_ISN_E10value_typeET4_T5_PSS_ST_PNS1_23onesweep_lookback_stateEbbT6_jjT7_P12ihipStream_tbENKUlT_T0_SH_SM_E_clISB_SB_SC_SC_EEDaS10_S11_SH_SM_EUlS10_E_NS1_11comp_targetILNS1_3genE6ELNS1_11target_archE950ELNS1_3gpuE13ELNS1_3repE0EEENS1_47radix_sort_onesweep_sort_config_static_selectorELNS0_4arch9wavefront6targetE0EEEvSH_, .Lfunc_end1974-_ZN7rocprim17ROCPRIM_400000_NS6detail17trampoline_kernelINS0_14default_configENS1_35radix_sort_onesweep_config_selectorI12hip_bfloat16NS0_10empty_typeEEEZZNS1_29radix_sort_onesweep_iterationIS3_Lb1EPKS5_PS5_PS6_SC_mNS0_19identity_decomposerENS1_16block_id_wrapperIjLb1EEEEE10hipError_tT1_PNSt15iterator_traitsISH_E10value_typeET2_T3_PNSI_ISN_E10value_typeET4_T5_PSS_ST_PNS1_23onesweep_lookback_stateEbbT6_jjT7_P12ihipStream_tbENKUlT_T0_SH_SM_E_clISB_SB_SC_SC_EEDaS10_S11_SH_SM_EUlS10_E_NS1_11comp_targetILNS1_3genE6ELNS1_11target_archE950ELNS1_3gpuE13ELNS1_3repE0EEENS1_47radix_sort_onesweep_sort_config_static_selectorELNS0_4arch9wavefront6targetE0EEEvSH_
                                        ; -- End function
	.set _ZN7rocprim17ROCPRIM_400000_NS6detail17trampoline_kernelINS0_14default_configENS1_35radix_sort_onesweep_config_selectorI12hip_bfloat16NS0_10empty_typeEEEZZNS1_29radix_sort_onesweep_iterationIS3_Lb1EPKS5_PS5_PS6_SC_mNS0_19identity_decomposerENS1_16block_id_wrapperIjLb1EEEEE10hipError_tT1_PNSt15iterator_traitsISH_E10value_typeET2_T3_PNSI_ISN_E10value_typeET4_T5_PSS_ST_PNS1_23onesweep_lookback_stateEbbT6_jjT7_P12ihipStream_tbENKUlT_T0_SH_SM_E_clISB_SB_SC_SC_EEDaS10_S11_SH_SM_EUlS10_E_NS1_11comp_targetILNS1_3genE6ELNS1_11target_archE950ELNS1_3gpuE13ELNS1_3repE0EEENS1_47radix_sort_onesweep_sort_config_static_selectorELNS0_4arch9wavefront6targetE0EEEvSH_.num_vgpr, 0
	.set _ZN7rocprim17ROCPRIM_400000_NS6detail17trampoline_kernelINS0_14default_configENS1_35radix_sort_onesweep_config_selectorI12hip_bfloat16NS0_10empty_typeEEEZZNS1_29radix_sort_onesweep_iterationIS3_Lb1EPKS5_PS5_PS6_SC_mNS0_19identity_decomposerENS1_16block_id_wrapperIjLb1EEEEE10hipError_tT1_PNSt15iterator_traitsISH_E10value_typeET2_T3_PNSI_ISN_E10value_typeET4_T5_PSS_ST_PNS1_23onesweep_lookback_stateEbbT6_jjT7_P12ihipStream_tbENKUlT_T0_SH_SM_E_clISB_SB_SC_SC_EEDaS10_S11_SH_SM_EUlS10_E_NS1_11comp_targetILNS1_3genE6ELNS1_11target_archE950ELNS1_3gpuE13ELNS1_3repE0EEENS1_47radix_sort_onesweep_sort_config_static_selectorELNS0_4arch9wavefront6targetE0EEEvSH_.num_agpr, 0
	.set _ZN7rocprim17ROCPRIM_400000_NS6detail17trampoline_kernelINS0_14default_configENS1_35radix_sort_onesweep_config_selectorI12hip_bfloat16NS0_10empty_typeEEEZZNS1_29radix_sort_onesweep_iterationIS3_Lb1EPKS5_PS5_PS6_SC_mNS0_19identity_decomposerENS1_16block_id_wrapperIjLb1EEEEE10hipError_tT1_PNSt15iterator_traitsISH_E10value_typeET2_T3_PNSI_ISN_E10value_typeET4_T5_PSS_ST_PNS1_23onesweep_lookback_stateEbbT6_jjT7_P12ihipStream_tbENKUlT_T0_SH_SM_E_clISB_SB_SC_SC_EEDaS10_S11_SH_SM_EUlS10_E_NS1_11comp_targetILNS1_3genE6ELNS1_11target_archE950ELNS1_3gpuE13ELNS1_3repE0EEENS1_47radix_sort_onesweep_sort_config_static_selectorELNS0_4arch9wavefront6targetE0EEEvSH_.numbered_sgpr, 0
	.set _ZN7rocprim17ROCPRIM_400000_NS6detail17trampoline_kernelINS0_14default_configENS1_35radix_sort_onesweep_config_selectorI12hip_bfloat16NS0_10empty_typeEEEZZNS1_29radix_sort_onesweep_iterationIS3_Lb1EPKS5_PS5_PS6_SC_mNS0_19identity_decomposerENS1_16block_id_wrapperIjLb1EEEEE10hipError_tT1_PNSt15iterator_traitsISH_E10value_typeET2_T3_PNSI_ISN_E10value_typeET4_T5_PSS_ST_PNS1_23onesweep_lookback_stateEbbT6_jjT7_P12ihipStream_tbENKUlT_T0_SH_SM_E_clISB_SB_SC_SC_EEDaS10_S11_SH_SM_EUlS10_E_NS1_11comp_targetILNS1_3genE6ELNS1_11target_archE950ELNS1_3gpuE13ELNS1_3repE0EEENS1_47radix_sort_onesweep_sort_config_static_selectorELNS0_4arch9wavefront6targetE0EEEvSH_.num_named_barrier, 0
	.set _ZN7rocprim17ROCPRIM_400000_NS6detail17trampoline_kernelINS0_14default_configENS1_35radix_sort_onesweep_config_selectorI12hip_bfloat16NS0_10empty_typeEEEZZNS1_29radix_sort_onesweep_iterationIS3_Lb1EPKS5_PS5_PS6_SC_mNS0_19identity_decomposerENS1_16block_id_wrapperIjLb1EEEEE10hipError_tT1_PNSt15iterator_traitsISH_E10value_typeET2_T3_PNSI_ISN_E10value_typeET4_T5_PSS_ST_PNS1_23onesweep_lookback_stateEbbT6_jjT7_P12ihipStream_tbENKUlT_T0_SH_SM_E_clISB_SB_SC_SC_EEDaS10_S11_SH_SM_EUlS10_E_NS1_11comp_targetILNS1_3genE6ELNS1_11target_archE950ELNS1_3gpuE13ELNS1_3repE0EEENS1_47radix_sort_onesweep_sort_config_static_selectorELNS0_4arch9wavefront6targetE0EEEvSH_.private_seg_size, 0
	.set _ZN7rocprim17ROCPRIM_400000_NS6detail17trampoline_kernelINS0_14default_configENS1_35radix_sort_onesweep_config_selectorI12hip_bfloat16NS0_10empty_typeEEEZZNS1_29radix_sort_onesweep_iterationIS3_Lb1EPKS5_PS5_PS6_SC_mNS0_19identity_decomposerENS1_16block_id_wrapperIjLb1EEEEE10hipError_tT1_PNSt15iterator_traitsISH_E10value_typeET2_T3_PNSI_ISN_E10value_typeET4_T5_PSS_ST_PNS1_23onesweep_lookback_stateEbbT6_jjT7_P12ihipStream_tbENKUlT_T0_SH_SM_E_clISB_SB_SC_SC_EEDaS10_S11_SH_SM_EUlS10_E_NS1_11comp_targetILNS1_3genE6ELNS1_11target_archE950ELNS1_3gpuE13ELNS1_3repE0EEENS1_47radix_sort_onesweep_sort_config_static_selectorELNS0_4arch9wavefront6targetE0EEEvSH_.uses_vcc, 0
	.set _ZN7rocprim17ROCPRIM_400000_NS6detail17trampoline_kernelINS0_14default_configENS1_35radix_sort_onesweep_config_selectorI12hip_bfloat16NS0_10empty_typeEEEZZNS1_29radix_sort_onesweep_iterationIS3_Lb1EPKS5_PS5_PS6_SC_mNS0_19identity_decomposerENS1_16block_id_wrapperIjLb1EEEEE10hipError_tT1_PNSt15iterator_traitsISH_E10value_typeET2_T3_PNSI_ISN_E10value_typeET4_T5_PSS_ST_PNS1_23onesweep_lookback_stateEbbT6_jjT7_P12ihipStream_tbENKUlT_T0_SH_SM_E_clISB_SB_SC_SC_EEDaS10_S11_SH_SM_EUlS10_E_NS1_11comp_targetILNS1_3genE6ELNS1_11target_archE950ELNS1_3gpuE13ELNS1_3repE0EEENS1_47radix_sort_onesweep_sort_config_static_selectorELNS0_4arch9wavefront6targetE0EEEvSH_.uses_flat_scratch, 0
	.set _ZN7rocprim17ROCPRIM_400000_NS6detail17trampoline_kernelINS0_14default_configENS1_35radix_sort_onesweep_config_selectorI12hip_bfloat16NS0_10empty_typeEEEZZNS1_29radix_sort_onesweep_iterationIS3_Lb1EPKS5_PS5_PS6_SC_mNS0_19identity_decomposerENS1_16block_id_wrapperIjLb1EEEEE10hipError_tT1_PNSt15iterator_traitsISH_E10value_typeET2_T3_PNSI_ISN_E10value_typeET4_T5_PSS_ST_PNS1_23onesweep_lookback_stateEbbT6_jjT7_P12ihipStream_tbENKUlT_T0_SH_SM_E_clISB_SB_SC_SC_EEDaS10_S11_SH_SM_EUlS10_E_NS1_11comp_targetILNS1_3genE6ELNS1_11target_archE950ELNS1_3gpuE13ELNS1_3repE0EEENS1_47radix_sort_onesweep_sort_config_static_selectorELNS0_4arch9wavefront6targetE0EEEvSH_.has_dyn_sized_stack, 0
	.set _ZN7rocprim17ROCPRIM_400000_NS6detail17trampoline_kernelINS0_14default_configENS1_35radix_sort_onesweep_config_selectorI12hip_bfloat16NS0_10empty_typeEEEZZNS1_29radix_sort_onesweep_iterationIS3_Lb1EPKS5_PS5_PS6_SC_mNS0_19identity_decomposerENS1_16block_id_wrapperIjLb1EEEEE10hipError_tT1_PNSt15iterator_traitsISH_E10value_typeET2_T3_PNSI_ISN_E10value_typeET4_T5_PSS_ST_PNS1_23onesweep_lookback_stateEbbT6_jjT7_P12ihipStream_tbENKUlT_T0_SH_SM_E_clISB_SB_SC_SC_EEDaS10_S11_SH_SM_EUlS10_E_NS1_11comp_targetILNS1_3genE6ELNS1_11target_archE950ELNS1_3gpuE13ELNS1_3repE0EEENS1_47radix_sort_onesweep_sort_config_static_selectorELNS0_4arch9wavefront6targetE0EEEvSH_.has_recursion, 0
	.set _ZN7rocprim17ROCPRIM_400000_NS6detail17trampoline_kernelINS0_14default_configENS1_35radix_sort_onesweep_config_selectorI12hip_bfloat16NS0_10empty_typeEEEZZNS1_29radix_sort_onesweep_iterationIS3_Lb1EPKS5_PS5_PS6_SC_mNS0_19identity_decomposerENS1_16block_id_wrapperIjLb1EEEEE10hipError_tT1_PNSt15iterator_traitsISH_E10value_typeET2_T3_PNSI_ISN_E10value_typeET4_T5_PSS_ST_PNS1_23onesweep_lookback_stateEbbT6_jjT7_P12ihipStream_tbENKUlT_T0_SH_SM_E_clISB_SB_SC_SC_EEDaS10_S11_SH_SM_EUlS10_E_NS1_11comp_targetILNS1_3genE6ELNS1_11target_archE950ELNS1_3gpuE13ELNS1_3repE0EEENS1_47radix_sort_onesweep_sort_config_static_selectorELNS0_4arch9wavefront6targetE0EEEvSH_.has_indirect_call, 0
	.section	.AMDGPU.csdata,"",@progbits
; Kernel info:
; codeLenInByte = 0
; TotalNumSgprs: 0
; NumVgprs: 0
; ScratchSize: 0
; MemoryBound: 0
; FloatMode: 240
; IeeeMode: 1
; LDSByteSize: 0 bytes/workgroup (compile time only)
; SGPRBlocks: 0
; VGPRBlocks: 0
; NumSGPRsForWavesPerEU: 1
; NumVGPRsForWavesPerEU: 1
; NamedBarCnt: 0
; Occupancy: 16
; WaveLimiterHint : 0
; COMPUTE_PGM_RSRC2:SCRATCH_EN: 0
; COMPUTE_PGM_RSRC2:USER_SGPR: 2
; COMPUTE_PGM_RSRC2:TRAP_HANDLER: 0
; COMPUTE_PGM_RSRC2:TGID_X_EN: 1
; COMPUTE_PGM_RSRC2:TGID_Y_EN: 0
; COMPUTE_PGM_RSRC2:TGID_Z_EN: 0
; COMPUTE_PGM_RSRC2:TIDIG_COMP_CNT: 0
	.section	.text._ZN7rocprim17ROCPRIM_400000_NS6detail17trampoline_kernelINS0_14default_configENS1_35radix_sort_onesweep_config_selectorI12hip_bfloat16NS0_10empty_typeEEEZZNS1_29radix_sort_onesweep_iterationIS3_Lb1EPKS5_PS5_PS6_SC_mNS0_19identity_decomposerENS1_16block_id_wrapperIjLb1EEEEE10hipError_tT1_PNSt15iterator_traitsISH_E10value_typeET2_T3_PNSI_ISN_E10value_typeET4_T5_PSS_ST_PNS1_23onesweep_lookback_stateEbbT6_jjT7_P12ihipStream_tbENKUlT_T0_SH_SM_E_clISB_SB_SC_SC_EEDaS10_S11_SH_SM_EUlS10_E_NS1_11comp_targetILNS1_3genE5ELNS1_11target_archE942ELNS1_3gpuE9ELNS1_3repE0EEENS1_47radix_sort_onesweep_sort_config_static_selectorELNS0_4arch9wavefront6targetE0EEEvSH_,"axG",@progbits,_ZN7rocprim17ROCPRIM_400000_NS6detail17trampoline_kernelINS0_14default_configENS1_35radix_sort_onesweep_config_selectorI12hip_bfloat16NS0_10empty_typeEEEZZNS1_29radix_sort_onesweep_iterationIS3_Lb1EPKS5_PS5_PS6_SC_mNS0_19identity_decomposerENS1_16block_id_wrapperIjLb1EEEEE10hipError_tT1_PNSt15iterator_traitsISH_E10value_typeET2_T3_PNSI_ISN_E10value_typeET4_T5_PSS_ST_PNS1_23onesweep_lookback_stateEbbT6_jjT7_P12ihipStream_tbENKUlT_T0_SH_SM_E_clISB_SB_SC_SC_EEDaS10_S11_SH_SM_EUlS10_E_NS1_11comp_targetILNS1_3genE5ELNS1_11target_archE942ELNS1_3gpuE9ELNS1_3repE0EEENS1_47radix_sort_onesweep_sort_config_static_selectorELNS0_4arch9wavefront6targetE0EEEvSH_,comdat
	.protected	_ZN7rocprim17ROCPRIM_400000_NS6detail17trampoline_kernelINS0_14default_configENS1_35radix_sort_onesweep_config_selectorI12hip_bfloat16NS0_10empty_typeEEEZZNS1_29radix_sort_onesweep_iterationIS3_Lb1EPKS5_PS5_PS6_SC_mNS0_19identity_decomposerENS1_16block_id_wrapperIjLb1EEEEE10hipError_tT1_PNSt15iterator_traitsISH_E10value_typeET2_T3_PNSI_ISN_E10value_typeET4_T5_PSS_ST_PNS1_23onesweep_lookback_stateEbbT6_jjT7_P12ihipStream_tbENKUlT_T0_SH_SM_E_clISB_SB_SC_SC_EEDaS10_S11_SH_SM_EUlS10_E_NS1_11comp_targetILNS1_3genE5ELNS1_11target_archE942ELNS1_3gpuE9ELNS1_3repE0EEENS1_47radix_sort_onesweep_sort_config_static_selectorELNS0_4arch9wavefront6targetE0EEEvSH_ ; -- Begin function _ZN7rocprim17ROCPRIM_400000_NS6detail17trampoline_kernelINS0_14default_configENS1_35radix_sort_onesweep_config_selectorI12hip_bfloat16NS0_10empty_typeEEEZZNS1_29radix_sort_onesweep_iterationIS3_Lb1EPKS5_PS5_PS6_SC_mNS0_19identity_decomposerENS1_16block_id_wrapperIjLb1EEEEE10hipError_tT1_PNSt15iterator_traitsISH_E10value_typeET2_T3_PNSI_ISN_E10value_typeET4_T5_PSS_ST_PNS1_23onesweep_lookback_stateEbbT6_jjT7_P12ihipStream_tbENKUlT_T0_SH_SM_E_clISB_SB_SC_SC_EEDaS10_S11_SH_SM_EUlS10_E_NS1_11comp_targetILNS1_3genE5ELNS1_11target_archE942ELNS1_3gpuE9ELNS1_3repE0EEENS1_47radix_sort_onesweep_sort_config_static_selectorELNS0_4arch9wavefront6targetE0EEEvSH_
	.globl	_ZN7rocprim17ROCPRIM_400000_NS6detail17trampoline_kernelINS0_14default_configENS1_35radix_sort_onesweep_config_selectorI12hip_bfloat16NS0_10empty_typeEEEZZNS1_29radix_sort_onesweep_iterationIS3_Lb1EPKS5_PS5_PS6_SC_mNS0_19identity_decomposerENS1_16block_id_wrapperIjLb1EEEEE10hipError_tT1_PNSt15iterator_traitsISH_E10value_typeET2_T3_PNSI_ISN_E10value_typeET4_T5_PSS_ST_PNS1_23onesweep_lookback_stateEbbT6_jjT7_P12ihipStream_tbENKUlT_T0_SH_SM_E_clISB_SB_SC_SC_EEDaS10_S11_SH_SM_EUlS10_E_NS1_11comp_targetILNS1_3genE5ELNS1_11target_archE942ELNS1_3gpuE9ELNS1_3repE0EEENS1_47radix_sort_onesweep_sort_config_static_selectorELNS0_4arch9wavefront6targetE0EEEvSH_
	.p2align	8
	.type	_ZN7rocprim17ROCPRIM_400000_NS6detail17trampoline_kernelINS0_14default_configENS1_35radix_sort_onesweep_config_selectorI12hip_bfloat16NS0_10empty_typeEEEZZNS1_29radix_sort_onesweep_iterationIS3_Lb1EPKS5_PS5_PS6_SC_mNS0_19identity_decomposerENS1_16block_id_wrapperIjLb1EEEEE10hipError_tT1_PNSt15iterator_traitsISH_E10value_typeET2_T3_PNSI_ISN_E10value_typeET4_T5_PSS_ST_PNS1_23onesweep_lookback_stateEbbT6_jjT7_P12ihipStream_tbENKUlT_T0_SH_SM_E_clISB_SB_SC_SC_EEDaS10_S11_SH_SM_EUlS10_E_NS1_11comp_targetILNS1_3genE5ELNS1_11target_archE942ELNS1_3gpuE9ELNS1_3repE0EEENS1_47radix_sort_onesweep_sort_config_static_selectorELNS0_4arch9wavefront6targetE0EEEvSH_,@function
_ZN7rocprim17ROCPRIM_400000_NS6detail17trampoline_kernelINS0_14default_configENS1_35radix_sort_onesweep_config_selectorI12hip_bfloat16NS0_10empty_typeEEEZZNS1_29radix_sort_onesweep_iterationIS3_Lb1EPKS5_PS5_PS6_SC_mNS0_19identity_decomposerENS1_16block_id_wrapperIjLb1EEEEE10hipError_tT1_PNSt15iterator_traitsISH_E10value_typeET2_T3_PNSI_ISN_E10value_typeET4_T5_PSS_ST_PNS1_23onesweep_lookback_stateEbbT6_jjT7_P12ihipStream_tbENKUlT_T0_SH_SM_E_clISB_SB_SC_SC_EEDaS10_S11_SH_SM_EUlS10_E_NS1_11comp_targetILNS1_3genE5ELNS1_11target_archE942ELNS1_3gpuE9ELNS1_3repE0EEENS1_47radix_sort_onesweep_sort_config_static_selectorELNS0_4arch9wavefront6targetE0EEEvSH_: ; @_ZN7rocprim17ROCPRIM_400000_NS6detail17trampoline_kernelINS0_14default_configENS1_35radix_sort_onesweep_config_selectorI12hip_bfloat16NS0_10empty_typeEEEZZNS1_29radix_sort_onesweep_iterationIS3_Lb1EPKS5_PS5_PS6_SC_mNS0_19identity_decomposerENS1_16block_id_wrapperIjLb1EEEEE10hipError_tT1_PNSt15iterator_traitsISH_E10value_typeET2_T3_PNSI_ISN_E10value_typeET4_T5_PSS_ST_PNS1_23onesweep_lookback_stateEbbT6_jjT7_P12ihipStream_tbENKUlT_T0_SH_SM_E_clISB_SB_SC_SC_EEDaS10_S11_SH_SM_EUlS10_E_NS1_11comp_targetILNS1_3genE5ELNS1_11target_archE942ELNS1_3gpuE9ELNS1_3repE0EEENS1_47radix_sort_onesweep_sort_config_static_selectorELNS0_4arch9wavefront6targetE0EEEvSH_
; %bb.0:
	.section	.rodata,"a",@progbits
	.p2align	6, 0x0
	.amdhsa_kernel _ZN7rocprim17ROCPRIM_400000_NS6detail17trampoline_kernelINS0_14default_configENS1_35radix_sort_onesweep_config_selectorI12hip_bfloat16NS0_10empty_typeEEEZZNS1_29radix_sort_onesweep_iterationIS3_Lb1EPKS5_PS5_PS6_SC_mNS0_19identity_decomposerENS1_16block_id_wrapperIjLb1EEEEE10hipError_tT1_PNSt15iterator_traitsISH_E10value_typeET2_T3_PNSI_ISN_E10value_typeET4_T5_PSS_ST_PNS1_23onesweep_lookback_stateEbbT6_jjT7_P12ihipStream_tbENKUlT_T0_SH_SM_E_clISB_SB_SC_SC_EEDaS10_S11_SH_SM_EUlS10_E_NS1_11comp_targetILNS1_3genE5ELNS1_11target_archE942ELNS1_3gpuE9ELNS1_3repE0EEENS1_47radix_sort_onesweep_sort_config_static_selectorELNS0_4arch9wavefront6targetE0EEEvSH_
		.amdhsa_group_segment_fixed_size 0
		.amdhsa_private_segment_fixed_size 0
		.amdhsa_kernarg_size 88
		.amdhsa_user_sgpr_count 2
		.amdhsa_user_sgpr_dispatch_ptr 0
		.amdhsa_user_sgpr_queue_ptr 0
		.amdhsa_user_sgpr_kernarg_segment_ptr 1
		.amdhsa_user_sgpr_dispatch_id 0
		.amdhsa_user_sgpr_kernarg_preload_length 0
		.amdhsa_user_sgpr_kernarg_preload_offset 0
		.amdhsa_user_sgpr_private_segment_size 0
		.amdhsa_wavefront_size32 1
		.amdhsa_uses_dynamic_stack 0
		.amdhsa_enable_private_segment 0
		.amdhsa_system_sgpr_workgroup_id_x 1
		.amdhsa_system_sgpr_workgroup_id_y 0
		.amdhsa_system_sgpr_workgroup_id_z 0
		.amdhsa_system_sgpr_workgroup_info 0
		.amdhsa_system_vgpr_workitem_id 0
		.amdhsa_next_free_vgpr 1
		.amdhsa_next_free_sgpr 1
		.amdhsa_named_barrier_count 0
		.amdhsa_reserve_vcc 0
		.amdhsa_float_round_mode_32 0
		.amdhsa_float_round_mode_16_64 0
		.amdhsa_float_denorm_mode_32 3
		.amdhsa_float_denorm_mode_16_64 3
		.amdhsa_fp16_overflow 0
		.amdhsa_memory_ordered 1
		.amdhsa_forward_progress 1
		.amdhsa_inst_pref_size 0
		.amdhsa_round_robin_scheduling 0
		.amdhsa_exception_fp_ieee_invalid_op 0
		.amdhsa_exception_fp_denorm_src 0
		.amdhsa_exception_fp_ieee_div_zero 0
		.amdhsa_exception_fp_ieee_overflow 0
		.amdhsa_exception_fp_ieee_underflow 0
		.amdhsa_exception_fp_ieee_inexact 0
		.amdhsa_exception_int_div_zero 0
	.end_amdhsa_kernel
	.section	.text._ZN7rocprim17ROCPRIM_400000_NS6detail17trampoline_kernelINS0_14default_configENS1_35radix_sort_onesweep_config_selectorI12hip_bfloat16NS0_10empty_typeEEEZZNS1_29radix_sort_onesweep_iterationIS3_Lb1EPKS5_PS5_PS6_SC_mNS0_19identity_decomposerENS1_16block_id_wrapperIjLb1EEEEE10hipError_tT1_PNSt15iterator_traitsISH_E10value_typeET2_T3_PNSI_ISN_E10value_typeET4_T5_PSS_ST_PNS1_23onesweep_lookback_stateEbbT6_jjT7_P12ihipStream_tbENKUlT_T0_SH_SM_E_clISB_SB_SC_SC_EEDaS10_S11_SH_SM_EUlS10_E_NS1_11comp_targetILNS1_3genE5ELNS1_11target_archE942ELNS1_3gpuE9ELNS1_3repE0EEENS1_47radix_sort_onesweep_sort_config_static_selectorELNS0_4arch9wavefront6targetE0EEEvSH_,"axG",@progbits,_ZN7rocprim17ROCPRIM_400000_NS6detail17trampoline_kernelINS0_14default_configENS1_35radix_sort_onesweep_config_selectorI12hip_bfloat16NS0_10empty_typeEEEZZNS1_29radix_sort_onesweep_iterationIS3_Lb1EPKS5_PS5_PS6_SC_mNS0_19identity_decomposerENS1_16block_id_wrapperIjLb1EEEEE10hipError_tT1_PNSt15iterator_traitsISH_E10value_typeET2_T3_PNSI_ISN_E10value_typeET4_T5_PSS_ST_PNS1_23onesweep_lookback_stateEbbT6_jjT7_P12ihipStream_tbENKUlT_T0_SH_SM_E_clISB_SB_SC_SC_EEDaS10_S11_SH_SM_EUlS10_E_NS1_11comp_targetILNS1_3genE5ELNS1_11target_archE942ELNS1_3gpuE9ELNS1_3repE0EEENS1_47radix_sort_onesweep_sort_config_static_selectorELNS0_4arch9wavefront6targetE0EEEvSH_,comdat
.Lfunc_end1975:
	.size	_ZN7rocprim17ROCPRIM_400000_NS6detail17trampoline_kernelINS0_14default_configENS1_35radix_sort_onesweep_config_selectorI12hip_bfloat16NS0_10empty_typeEEEZZNS1_29radix_sort_onesweep_iterationIS3_Lb1EPKS5_PS5_PS6_SC_mNS0_19identity_decomposerENS1_16block_id_wrapperIjLb1EEEEE10hipError_tT1_PNSt15iterator_traitsISH_E10value_typeET2_T3_PNSI_ISN_E10value_typeET4_T5_PSS_ST_PNS1_23onesweep_lookback_stateEbbT6_jjT7_P12ihipStream_tbENKUlT_T0_SH_SM_E_clISB_SB_SC_SC_EEDaS10_S11_SH_SM_EUlS10_E_NS1_11comp_targetILNS1_3genE5ELNS1_11target_archE942ELNS1_3gpuE9ELNS1_3repE0EEENS1_47radix_sort_onesweep_sort_config_static_selectorELNS0_4arch9wavefront6targetE0EEEvSH_, .Lfunc_end1975-_ZN7rocprim17ROCPRIM_400000_NS6detail17trampoline_kernelINS0_14default_configENS1_35radix_sort_onesweep_config_selectorI12hip_bfloat16NS0_10empty_typeEEEZZNS1_29radix_sort_onesweep_iterationIS3_Lb1EPKS5_PS5_PS6_SC_mNS0_19identity_decomposerENS1_16block_id_wrapperIjLb1EEEEE10hipError_tT1_PNSt15iterator_traitsISH_E10value_typeET2_T3_PNSI_ISN_E10value_typeET4_T5_PSS_ST_PNS1_23onesweep_lookback_stateEbbT6_jjT7_P12ihipStream_tbENKUlT_T0_SH_SM_E_clISB_SB_SC_SC_EEDaS10_S11_SH_SM_EUlS10_E_NS1_11comp_targetILNS1_3genE5ELNS1_11target_archE942ELNS1_3gpuE9ELNS1_3repE0EEENS1_47radix_sort_onesweep_sort_config_static_selectorELNS0_4arch9wavefront6targetE0EEEvSH_
                                        ; -- End function
	.set _ZN7rocprim17ROCPRIM_400000_NS6detail17trampoline_kernelINS0_14default_configENS1_35radix_sort_onesweep_config_selectorI12hip_bfloat16NS0_10empty_typeEEEZZNS1_29radix_sort_onesweep_iterationIS3_Lb1EPKS5_PS5_PS6_SC_mNS0_19identity_decomposerENS1_16block_id_wrapperIjLb1EEEEE10hipError_tT1_PNSt15iterator_traitsISH_E10value_typeET2_T3_PNSI_ISN_E10value_typeET4_T5_PSS_ST_PNS1_23onesweep_lookback_stateEbbT6_jjT7_P12ihipStream_tbENKUlT_T0_SH_SM_E_clISB_SB_SC_SC_EEDaS10_S11_SH_SM_EUlS10_E_NS1_11comp_targetILNS1_3genE5ELNS1_11target_archE942ELNS1_3gpuE9ELNS1_3repE0EEENS1_47radix_sort_onesweep_sort_config_static_selectorELNS0_4arch9wavefront6targetE0EEEvSH_.num_vgpr, 0
	.set _ZN7rocprim17ROCPRIM_400000_NS6detail17trampoline_kernelINS0_14default_configENS1_35radix_sort_onesweep_config_selectorI12hip_bfloat16NS0_10empty_typeEEEZZNS1_29radix_sort_onesweep_iterationIS3_Lb1EPKS5_PS5_PS6_SC_mNS0_19identity_decomposerENS1_16block_id_wrapperIjLb1EEEEE10hipError_tT1_PNSt15iterator_traitsISH_E10value_typeET2_T3_PNSI_ISN_E10value_typeET4_T5_PSS_ST_PNS1_23onesweep_lookback_stateEbbT6_jjT7_P12ihipStream_tbENKUlT_T0_SH_SM_E_clISB_SB_SC_SC_EEDaS10_S11_SH_SM_EUlS10_E_NS1_11comp_targetILNS1_3genE5ELNS1_11target_archE942ELNS1_3gpuE9ELNS1_3repE0EEENS1_47radix_sort_onesweep_sort_config_static_selectorELNS0_4arch9wavefront6targetE0EEEvSH_.num_agpr, 0
	.set _ZN7rocprim17ROCPRIM_400000_NS6detail17trampoline_kernelINS0_14default_configENS1_35radix_sort_onesweep_config_selectorI12hip_bfloat16NS0_10empty_typeEEEZZNS1_29radix_sort_onesweep_iterationIS3_Lb1EPKS5_PS5_PS6_SC_mNS0_19identity_decomposerENS1_16block_id_wrapperIjLb1EEEEE10hipError_tT1_PNSt15iterator_traitsISH_E10value_typeET2_T3_PNSI_ISN_E10value_typeET4_T5_PSS_ST_PNS1_23onesweep_lookback_stateEbbT6_jjT7_P12ihipStream_tbENKUlT_T0_SH_SM_E_clISB_SB_SC_SC_EEDaS10_S11_SH_SM_EUlS10_E_NS1_11comp_targetILNS1_3genE5ELNS1_11target_archE942ELNS1_3gpuE9ELNS1_3repE0EEENS1_47radix_sort_onesweep_sort_config_static_selectorELNS0_4arch9wavefront6targetE0EEEvSH_.numbered_sgpr, 0
	.set _ZN7rocprim17ROCPRIM_400000_NS6detail17trampoline_kernelINS0_14default_configENS1_35radix_sort_onesweep_config_selectorI12hip_bfloat16NS0_10empty_typeEEEZZNS1_29radix_sort_onesweep_iterationIS3_Lb1EPKS5_PS5_PS6_SC_mNS0_19identity_decomposerENS1_16block_id_wrapperIjLb1EEEEE10hipError_tT1_PNSt15iterator_traitsISH_E10value_typeET2_T3_PNSI_ISN_E10value_typeET4_T5_PSS_ST_PNS1_23onesweep_lookback_stateEbbT6_jjT7_P12ihipStream_tbENKUlT_T0_SH_SM_E_clISB_SB_SC_SC_EEDaS10_S11_SH_SM_EUlS10_E_NS1_11comp_targetILNS1_3genE5ELNS1_11target_archE942ELNS1_3gpuE9ELNS1_3repE0EEENS1_47radix_sort_onesweep_sort_config_static_selectorELNS0_4arch9wavefront6targetE0EEEvSH_.num_named_barrier, 0
	.set _ZN7rocprim17ROCPRIM_400000_NS6detail17trampoline_kernelINS0_14default_configENS1_35radix_sort_onesweep_config_selectorI12hip_bfloat16NS0_10empty_typeEEEZZNS1_29radix_sort_onesweep_iterationIS3_Lb1EPKS5_PS5_PS6_SC_mNS0_19identity_decomposerENS1_16block_id_wrapperIjLb1EEEEE10hipError_tT1_PNSt15iterator_traitsISH_E10value_typeET2_T3_PNSI_ISN_E10value_typeET4_T5_PSS_ST_PNS1_23onesweep_lookback_stateEbbT6_jjT7_P12ihipStream_tbENKUlT_T0_SH_SM_E_clISB_SB_SC_SC_EEDaS10_S11_SH_SM_EUlS10_E_NS1_11comp_targetILNS1_3genE5ELNS1_11target_archE942ELNS1_3gpuE9ELNS1_3repE0EEENS1_47radix_sort_onesweep_sort_config_static_selectorELNS0_4arch9wavefront6targetE0EEEvSH_.private_seg_size, 0
	.set _ZN7rocprim17ROCPRIM_400000_NS6detail17trampoline_kernelINS0_14default_configENS1_35radix_sort_onesweep_config_selectorI12hip_bfloat16NS0_10empty_typeEEEZZNS1_29radix_sort_onesweep_iterationIS3_Lb1EPKS5_PS5_PS6_SC_mNS0_19identity_decomposerENS1_16block_id_wrapperIjLb1EEEEE10hipError_tT1_PNSt15iterator_traitsISH_E10value_typeET2_T3_PNSI_ISN_E10value_typeET4_T5_PSS_ST_PNS1_23onesweep_lookback_stateEbbT6_jjT7_P12ihipStream_tbENKUlT_T0_SH_SM_E_clISB_SB_SC_SC_EEDaS10_S11_SH_SM_EUlS10_E_NS1_11comp_targetILNS1_3genE5ELNS1_11target_archE942ELNS1_3gpuE9ELNS1_3repE0EEENS1_47radix_sort_onesweep_sort_config_static_selectorELNS0_4arch9wavefront6targetE0EEEvSH_.uses_vcc, 0
	.set _ZN7rocprim17ROCPRIM_400000_NS6detail17trampoline_kernelINS0_14default_configENS1_35radix_sort_onesweep_config_selectorI12hip_bfloat16NS0_10empty_typeEEEZZNS1_29radix_sort_onesweep_iterationIS3_Lb1EPKS5_PS5_PS6_SC_mNS0_19identity_decomposerENS1_16block_id_wrapperIjLb1EEEEE10hipError_tT1_PNSt15iterator_traitsISH_E10value_typeET2_T3_PNSI_ISN_E10value_typeET4_T5_PSS_ST_PNS1_23onesweep_lookback_stateEbbT6_jjT7_P12ihipStream_tbENKUlT_T0_SH_SM_E_clISB_SB_SC_SC_EEDaS10_S11_SH_SM_EUlS10_E_NS1_11comp_targetILNS1_3genE5ELNS1_11target_archE942ELNS1_3gpuE9ELNS1_3repE0EEENS1_47radix_sort_onesweep_sort_config_static_selectorELNS0_4arch9wavefront6targetE0EEEvSH_.uses_flat_scratch, 0
	.set _ZN7rocprim17ROCPRIM_400000_NS6detail17trampoline_kernelINS0_14default_configENS1_35radix_sort_onesweep_config_selectorI12hip_bfloat16NS0_10empty_typeEEEZZNS1_29radix_sort_onesweep_iterationIS3_Lb1EPKS5_PS5_PS6_SC_mNS0_19identity_decomposerENS1_16block_id_wrapperIjLb1EEEEE10hipError_tT1_PNSt15iterator_traitsISH_E10value_typeET2_T3_PNSI_ISN_E10value_typeET4_T5_PSS_ST_PNS1_23onesweep_lookback_stateEbbT6_jjT7_P12ihipStream_tbENKUlT_T0_SH_SM_E_clISB_SB_SC_SC_EEDaS10_S11_SH_SM_EUlS10_E_NS1_11comp_targetILNS1_3genE5ELNS1_11target_archE942ELNS1_3gpuE9ELNS1_3repE0EEENS1_47radix_sort_onesweep_sort_config_static_selectorELNS0_4arch9wavefront6targetE0EEEvSH_.has_dyn_sized_stack, 0
	.set _ZN7rocprim17ROCPRIM_400000_NS6detail17trampoline_kernelINS0_14default_configENS1_35radix_sort_onesweep_config_selectorI12hip_bfloat16NS0_10empty_typeEEEZZNS1_29radix_sort_onesweep_iterationIS3_Lb1EPKS5_PS5_PS6_SC_mNS0_19identity_decomposerENS1_16block_id_wrapperIjLb1EEEEE10hipError_tT1_PNSt15iterator_traitsISH_E10value_typeET2_T3_PNSI_ISN_E10value_typeET4_T5_PSS_ST_PNS1_23onesweep_lookback_stateEbbT6_jjT7_P12ihipStream_tbENKUlT_T0_SH_SM_E_clISB_SB_SC_SC_EEDaS10_S11_SH_SM_EUlS10_E_NS1_11comp_targetILNS1_3genE5ELNS1_11target_archE942ELNS1_3gpuE9ELNS1_3repE0EEENS1_47radix_sort_onesweep_sort_config_static_selectorELNS0_4arch9wavefront6targetE0EEEvSH_.has_recursion, 0
	.set _ZN7rocprim17ROCPRIM_400000_NS6detail17trampoline_kernelINS0_14default_configENS1_35radix_sort_onesweep_config_selectorI12hip_bfloat16NS0_10empty_typeEEEZZNS1_29radix_sort_onesweep_iterationIS3_Lb1EPKS5_PS5_PS6_SC_mNS0_19identity_decomposerENS1_16block_id_wrapperIjLb1EEEEE10hipError_tT1_PNSt15iterator_traitsISH_E10value_typeET2_T3_PNSI_ISN_E10value_typeET4_T5_PSS_ST_PNS1_23onesweep_lookback_stateEbbT6_jjT7_P12ihipStream_tbENKUlT_T0_SH_SM_E_clISB_SB_SC_SC_EEDaS10_S11_SH_SM_EUlS10_E_NS1_11comp_targetILNS1_3genE5ELNS1_11target_archE942ELNS1_3gpuE9ELNS1_3repE0EEENS1_47radix_sort_onesweep_sort_config_static_selectorELNS0_4arch9wavefront6targetE0EEEvSH_.has_indirect_call, 0
	.section	.AMDGPU.csdata,"",@progbits
; Kernel info:
; codeLenInByte = 0
; TotalNumSgprs: 0
; NumVgprs: 0
; ScratchSize: 0
; MemoryBound: 0
; FloatMode: 240
; IeeeMode: 1
; LDSByteSize: 0 bytes/workgroup (compile time only)
; SGPRBlocks: 0
; VGPRBlocks: 0
; NumSGPRsForWavesPerEU: 1
; NumVGPRsForWavesPerEU: 1
; NamedBarCnt: 0
; Occupancy: 16
; WaveLimiterHint : 0
; COMPUTE_PGM_RSRC2:SCRATCH_EN: 0
; COMPUTE_PGM_RSRC2:USER_SGPR: 2
; COMPUTE_PGM_RSRC2:TRAP_HANDLER: 0
; COMPUTE_PGM_RSRC2:TGID_X_EN: 1
; COMPUTE_PGM_RSRC2:TGID_Y_EN: 0
; COMPUTE_PGM_RSRC2:TGID_Z_EN: 0
; COMPUTE_PGM_RSRC2:TIDIG_COMP_CNT: 0
	.section	.text._ZN7rocprim17ROCPRIM_400000_NS6detail17trampoline_kernelINS0_14default_configENS1_35radix_sort_onesweep_config_selectorI12hip_bfloat16NS0_10empty_typeEEEZZNS1_29radix_sort_onesweep_iterationIS3_Lb1EPKS5_PS5_PS6_SC_mNS0_19identity_decomposerENS1_16block_id_wrapperIjLb1EEEEE10hipError_tT1_PNSt15iterator_traitsISH_E10value_typeET2_T3_PNSI_ISN_E10value_typeET4_T5_PSS_ST_PNS1_23onesweep_lookback_stateEbbT6_jjT7_P12ihipStream_tbENKUlT_T0_SH_SM_E_clISB_SB_SC_SC_EEDaS10_S11_SH_SM_EUlS10_E_NS1_11comp_targetILNS1_3genE2ELNS1_11target_archE906ELNS1_3gpuE6ELNS1_3repE0EEENS1_47radix_sort_onesweep_sort_config_static_selectorELNS0_4arch9wavefront6targetE0EEEvSH_,"axG",@progbits,_ZN7rocprim17ROCPRIM_400000_NS6detail17trampoline_kernelINS0_14default_configENS1_35radix_sort_onesweep_config_selectorI12hip_bfloat16NS0_10empty_typeEEEZZNS1_29radix_sort_onesweep_iterationIS3_Lb1EPKS5_PS5_PS6_SC_mNS0_19identity_decomposerENS1_16block_id_wrapperIjLb1EEEEE10hipError_tT1_PNSt15iterator_traitsISH_E10value_typeET2_T3_PNSI_ISN_E10value_typeET4_T5_PSS_ST_PNS1_23onesweep_lookback_stateEbbT6_jjT7_P12ihipStream_tbENKUlT_T0_SH_SM_E_clISB_SB_SC_SC_EEDaS10_S11_SH_SM_EUlS10_E_NS1_11comp_targetILNS1_3genE2ELNS1_11target_archE906ELNS1_3gpuE6ELNS1_3repE0EEENS1_47radix_sort_onesweep_sort_config_static_selectorELNS0_4arch9wavefront6targetE0EEEvSH_,comdat
	.protected	_ZN7rocprim17ROCPRIM_400000_NS6detail17trampoline_kernelINS0_14default_configENS1_35radix_sort_onesweep_config_selectorI12hip_bfloat16NS0_10empty_typeEEEZZNS1_29radix_sort_onesweep_iterationIS3_Lb1EPKS5_PS5_PS6_SC_mNS0_19identity_decomposerENS1_16block_id_wrapperIjLb1EEEEE10hipError_tT1_PNSt15iterator_traitsISH_E10value_typeET2_T3_PNSI_ISN_E10value_typeET4_T5_PSS_ST_PNS1_23onesweep_lookback_stateEbbT6_jjT7_P12ihipStream_tbENKUlT_T0_SH_SM_E_clISB_SB_SC_SC_EEDaS10_S11_SH_SM_EUlS10_E_NS1_11comp_targetILNS1_3genE2ELNS1_11target_archE906ELNS1_3gpuE6ELNS1_3repE0EEENS1_47radix_sort_onesweep_sort_config_static_selectorELNS0_4arch9wavefront6targetE0EEEvSH_ ; -- Begin function _ZN7rocprim17ROCPRIM_400000_NS6detail17trampoline_kernelINS0_14default_configENS1_35radix_sort_onesweep_config_selectorI12hip_bfloat16NS0_10empty_typeEEEZZNS1_29radix_sort_onesweep_iterationIS3_Lb1EPKS5_PS5_PS6_SC_mNS0_19identity_decomposerENS1_16block_id_wrapperIjLb1EEEEE10hipError_tT1_PNSt15iterator_traitsISH_E10value_typeET2_T3_PNSI_ISN_E10value_typeET4_T5_PSS_ST_PNS1_23onesweep_lookback_stateEbbT6_jjT7_P12ihipStream_tbENKUlT_T0_SH_SM_E_clISB_SB_SC_SC_EEDaS10_S11_SH_SM_EUlS10_E_NS1_11comp_targetILNS1_3genE2ELNS1_11target_archE906ELNS1_3gpuE6ELNS1_3repE0EEENS1_47radix_sort_onesweep_sort_config_static_selectorELNS0_4arch9wavefront6targetE0EEEvSH_
	.globl	_ZN7rocprim17ROCPRIM_400000_NS6detail17trampoline_kernelINS0_14default_configENS1_35radix_sort_onesweep_config_selectorI12hip_bfloat16NS0_10empty_typeEEEZZNS1_29radix_sort_onesweep_iterationIS3_Lb1EPKS5_PS5_PS6_SC_mNS0_19identity_decomposerENS1_16block_id_wrapperIjLb1EEEEE10hipError_tT1_PNSt15iterator_traitsISH_E10value_typeET2_T3_PNSI_ISN_E10value_typeET4_T5_PSS_ST_PNS1_23onesweep_lookback_stateEbbT6_jjT7_P12ihipStream_tbENKUlT_T0_SH_SM_E_clISB_SB_SC_SC_EEDaS10_S11_SH_SM_EUlS10_E_NS1_11comp_targetILNS1_3genE2ELNS1_11target_archE906ELNS1_3gpuE6ELNS1_3repE0EEENS1_47radix_sort_onesweep_sort_config_static_selectorELNS0_4arch9wavefront6targetE0EEEvSH_
	.p2align	8
	.type	_ZN7rocprim17ROCPRIM_400000_NS6detail17trampoline_kernelINS0_14default_configENS1_35radix_sort_onesweep_config_selectorI12hip_bfloat16NS0_10empty_typeEEEZZNS1_29radix_sort_onesweep_iterationIS3_Lb1EPKS5_PS5_PS6_SC_mNS0_19identity_decomposerENS1_16block_id_wrapperIjLb1EEEEE10hipError_tT1_PNSt15iterator_traitsISH_E10value_typeET2_T3_PNSI_ISN_E10value_typeET4_T5_PSS_ST_PNS1_23onesweep_lookback_stateEbbT6_jjT7_P12ihipStream_tbENKUlT_T0_SH_SM_E_clISB_SB_SC_SC_EEDaS10_S11_SH_SM_EUlS10_E_NS1_11comp_targetILNS1_3genE2ELNS1_11target_archE906ELNS1_3gpuE6ELNS1_3repE0EEENS1_47radix_sort_onesweep_sort_config_static_selectorELNS0_4arch9wavefront6targetE0EEEvSH_,@function
_ZN7rocprim17ROCPRIM_400000_NS6detail17trampoline_kernelINS0_14default_configENS1_35radix_sort_onesweep_config_selectorI12hip_bfloat16NS0_10empty_typeEEEZZNS1_29radix_sort_onesweep_iterationIS3_Lb1EPKS5_PS5_PS6_SC_mNS0_19identity_decomposerENS1_16block_id_wrapperIjLb1EEEEE10hipError_tT1_PNSt15iterator_traitsISH_E10value_typeET2_T3_PNSI_ISN_E10value_typeET4_T5_PSS_ST_PNS1_23onesweep_lookback_stateEbbT6_jjT7_P12ihipStream_tbENKUlT_T0_SH_SM_E_clISB_SB_SC_SC_EEDaS10_S11_SH_SM_EUlS10_E_NS1_11comp_targetILNS1_3genE2ELNS1_11target_archE906ELNS1_3gpuE6ELNS1_3repE0EEENS1_47radix_sort_onesweep_sort_config_static_selectorELNS0_4arch9wavefront6targetE0EEEvSH_: ; @_ZN7rocprim17ROCPRIM_400000_NS6detail17trampoline_kernelINS0_14default_configENS1_35radix_sort_onesweep_config_selectorI12hip_bfloat16NS0_10empty_typeEEEZZNS1_29radix_sort_onesweep_iterationIS3_Lb1EPKS5_PS5_PS6_SC_mNS0_19identity_decomposerENS1_16block_id_wrapperIjLb1EEEEE10hipError_tT1_PNSt15iterator_traitsISH_E10value_typeET2_T3_PNSI_ISN_E10value_typeET4_T5_PSS_ST_PNS1_23onesweep_lookback_stateEbbT6_jjT7_P12ihipStream_tbENKUlT_T0_SH_SM_E_clISB_SB_SC_SC_EEDaS10_S11_SH_SM_EUlS10_E_NS1_11comp_targetILNS1_3genE2ELNS1_11target_archE906ELNS1_3gpuE6ELNS1_3repE0EEENS1_47radix_sort_onesweep_sort_config_static_selectorELNS0_4arch9wavefront6targetE0EEEvSH_
; %bb.0:
	.section	.rodata,"a",@progbits
	.p2align	6, 0x0
	.amdhsa_kernel _ZN7rocprim17ROCPRIM_400000_NS6detail17trampoline_kernelINS0_14default_configENS1_35radix_sort_onesweep_config_selectorI12hip_bfloat16NS0_10empty_typeEEEZZNS1_29radix_sort_onesweep_iterationIS3_Lb1EPKS5_PS5_PS6_SC_mNS0_19identity_decomposerENS1_16block_id_wrapperIjLb1EEEEE10hipError_tT1_PNSt15iterator_traitsISH_E10value_typeET2_T3_PNSI_ISN_E10value_typeET4_T5_PSS_ST_PNS1_23onesweep_lookback_stateEbbT6_jjT7_P12ihipStream_tbENKUlT_T0_SH_SM_E_clISB_SB_SC_SC_EEDaS10_S11_SH_SM_EUlS10_E_NS1_11comp_targetILNS1_3genE2ELNS1_11target_archE906ELNS1_3gpuE6ELNS1_3repE0EEENS1_47radix_sort_onesweep_sort_config_static_selectorELNS0_4arch9wavefront6targetE0EEEvSH_
		.amdhsa_group_segment_fixed_size 0
		.amdhsa_private_segment_fixed_size 0
		.amdhsa_kernarg_size 88
		.amdhsa_user_sgpr_count 2
		.amdhsa_user_sgpr_dispatch_ptr 0
		.amdhsa_user_sgpr_queue_ptr 0
		.amdhsa_user_sgpr_kernarg_segment_ptr 1
		.amdhsa_user_sgpr_dispatch_id 0
		.amdhsa_user_sgpr_kernarg_preload_length 0
		.amdhsa_user_sgpr_kernarg_preload_offset 0
		.amdhsa_user_sgpr_private_segment_size 0
		.amdhsa_wavefront_size32 1
		.amdhsa_uses_dynamic_stack 0
		.amdhsa_enable_private_segment 0
		.amdhsa_system_sgpr_workgroup_id_x 1
		.amdhsa_system_sgpr_workgroup_id_y 0
		.amdhsa_system_sgpr_workgroup_id_z 0
		.amdhsa_system_sgpr_workgroup_info 0
		.amdhsa_system_vgpr_workitem_id 0
		.amdhsa_next_free_vgpr 1
		.amdhsa_next_free_sgpr 1
		.amdhsa_named_barrier_count 0
		.amdhsa_reserve_vcc 0
		.amdhsa_float_round_mode_32 0
		.amdhsa_float_round_mode_16_64 0
		.amdhsa_float_denorm_mode_32 3
		.amdhsa_float_denorm_mode_16_64 3
		.amdhsa_fp16_overflow 0
		.amdhsa_memory_ordered 1
		.amdhsa_forward_progress 1
		.amdhsa_inst_pref_size 0
		.amdhsa_round_robin_scheduling 0
		.amdhsa_exception_fp_ieee_invalid_op 0
		.amdhsa_exception_fp_denorm_src 0
		.amdhsa_exception_fp_ieee_div_zero 0
		.amdhsa_exception_fp_ieee_overflow 0
		.amdhsa_exception_fp_ieee_underflow 0
		.amdhsa_exception_fp_ieee_inexact 0
		.amdhsa_exception_int_div_zero 0
	.end_amdhsa_kernel
	.section	.text._ZN7rocprim17ROCPRIM_400000_NS6detail17trampoline_kernelINS0_14default_configENS1_35radix_sort_onesweep_config_selectorI12hip_bfloat16NS0_10empty_typeEEEZZNS1_29radix_sort_onesweep_iterationIS3_Lb1EPKS5_PS5_PS6_SC_mNS0_19identity_decomposerENS1_16block_id_wrapperIjLb1EEEEE10hipError_tT1_PNSt15iterator_traitsISH_E10value_typeET2_T3_PNSI_ISN_E10value_typeET4_T5_PSS_ST_PNS1_23onesweep_lookback_stateEbbT6_jjT7_P12ihipStream_tbENKUlT_T0_SH_SM_E_clISB_SB_SC_SC_EEDaS10_S11_SH_SM_EUlS10_E_NS1_11comp_targetILNS1_3genE2ELNS1_11target_archE906ELNS1_3gpuE6ELNS1_3repE0EEENS1_47radix_sort_onesweep_sort_config_static_selectorELNS0_4arch9wavefront6targetE0EEEvSH_,"axG",@progbits,_ZN7rocprim17ROCPRIM_400000_NS6detail17trampoline_kernelINS0_14default_configENS1_35radix_sort_onesweep_config_selectorI12hip_bfloat16NS0_10empty_typeEEEZZNS1_29radix_sort_onesweep_iterationIS3_Lb1EPKS5_PS5_PS6_SC_mNS0_19identity_decomposerENS1_16block_id_wrapperIjLb1EEEEE10hipError_tT1_PNSt15iterator_traitsISH_E10value_typeET2_T3_PNSI_ISN_E10value_typeET4_T5_PSS_ST_PNS1_23onesweep_lookback_stateEbbT6_jjT7_P12ihipStream_tbENKUlT_T0_SH_SM_E_clISB_SB_SC_SC_EEDaS10_S11_SH_SM_EUlS10_E_NS1_11comp_targetILNS1_3genE2ELNS1_11target_archE906ELNS1_3gpuE6ELNS1_3repE0EEENS1_47radix_sort_onesweep_sort_config_static_selectorELNS0_4arch9wavefront6targetE0EEEvSH_,comdat
.Lfunc_end1976:
	.size	_ZN7rocprim17ROCPRIM_400000_NS6detail17trampoline_kernelINS0_14default_configENS1_35radix_sort_onesweep_config_selectorI12hip_bfloat16NS0_10empty_typeEEEZZNS1_29radix_sort_onesweep_iterationIS3_Lb1EPKS5_PS5_PS6_SC_mNS0_19identity_decomposerENS1_16block_id_wrapperIjLb1EEEEE10hipError_tT1_PNSt15iterator_traitsISH_E10value_typeET2_T3_PNSI_ISN_E10value_typeET4_T5_PSS_ST_PNS1_23onesweep_lookback_stateEbbT6_jjT7_P12ihipStream_tbENKUlT_T0_SH_SM_E_clISB_SB_SC_SC_EEDaS10_S11_SH_SM_EUlS10_E_NS1_11comp_targetILNS1_3genE2ELNS1_11target_archE906ELNS1_3gpuE6ELNS1_3repE0EEENS1_47radix_sort_onesweep_sort_config_static_selectorELNS0_4arch9wavefront6targetE0EEEvSH_, .Lfunc_end1976-_ZN7rocprim17ROCPRIM_400000_NS6detail17trampoline_kernelINS0_14default_configENS1_35radix_sort_onesweep_config_selectorI12hip_bfloat16NS0_10empty_typeEEEZZNS1_29radix_sort_onesweep_iterationIS3_Lb1EPKS5_PS5_PS6_SC_mNS0_19identity_decomposerENS1_16block_id_wrapperIjLb1EEEEE10hipError_tT1_PNSt15iterator_traitsISH_E10value_typeET2_T3_PNSI_ISN_E10value_typeET4_T5_PSS_ST_PNS1_23onesweep_lookback_stateEbbT6_jjT7_P12ihipStream_tbENKUlT_T0_SH_SM_E_clISB_SB_SC_SC_EEDaS10_S11_SH_SM_EUlS10_E_NS1_11comp_targetILNS1_3genE2ELNS1_11target_archE906ELNS1_3gpuE6ELNS1_3repE0EEENS1_47radix_sort_onesweep_sort_config_static_selectorELNS0_4arch9wavefront6targetE0EEEvSH_
                                        ; -- End function
	.set _ZN7rocprim17ROCPRIM_400000_NS6detail17trampoline_kernelINS0_14default_configENS1_35radix_sort_onesweep_config_selectorI12hip_bfloat16NS0_10empty_typeEEEZZNS1_29radix_sort_onesweep_iterationIS3_Lb1EPKS5_PS5_PS6_SC_mNS0_19identity_decomposerENS1_16block_id_wrapperIjLb1EEEEE10hipError_tT1_PNSt15iterator_traitsISH_E10value_typeET2_T3_PNSI_ISN_E10value_typeET4_T5_PSS_ST_PNS1_23onesweep_lookback_stateEbbT6_jjT7_P12ihipStream_tbENKUlT_T0_SH_SM_E_clISB_SB_SC_SC_EEDaS10_S11_SH_SM_EUlS10_E_NS1_11comp_targetILNS1_3genE2ELNS1_11target_archE906ELNS1_3gpuE6ELNS1_3repE0EEENS1_47radix_sort_onesweep_sort_config_static_selectorELNS0_4arch9wavefront6targetE0EEEvSH_.num_vgpr, 0
	.set _ZN7rocprim17ROCPRIM_400000_NS6detail17trampoline_kernelINS0_14default_configENS1_35radix_sort_onesweep_config_selectorI12hip_bfloat16NS0_10empty_typeEEEZZNS1_29radix_sort_onesweep_iterationIS3_Lb1EPKS5_PS5_PS6_SC_mNS0_19identity_decomposerENS1_16block_id_wrapperIjLb1EEEEE10hipError_tT1_PNSt15iterator_traitsISH_E10value_typeET2_T3_PNSI_ISN_E10value_typeET4_T5_PSS_ST_PNS1_23onesweep_lookback_stateEbbT6_jjT7_P12ihipStream_tbENKUlT_T0_SH_SM_E_clISB_SB_SC_SC_EEDaS10_S11_SH_SM_EUlS10_E_NS1_11comp_targetILNS1_3genE2ELNS1_11target_archE906ELNS1_3gpuE6ELNS1_3repE0EEENS1_47radix_sort_onesweep_sort_config_static_selectorELNS0_4arch9wavefront6targetE0EEEvSH_.num_agpr, 0
	.set _ZN7rocprim17ROCPRIM_400000_NS6detail17trampoline_kernelINS0_14default_configENS1_35radix_sort_onesweep_config_selectorI12hip_bfloat16NS0_10empty_typeEEEZZNS1_29radix_sort_onesweep_iterationIS3_Lb1EPKS5_PS5_PS6_SC_mNS0_19identity_decomposerENS1_16block_id_wrapperIjLb1EEEEE10hipError_tT1_PNSt15iterator_traitsISH_E10value_typeET2_T3_PNSI_ISN_E10value_typeET4_T5_PSS_ST_PNS1_23onesweep_lookback_stateEbbT6_jjT7_P12ihipStream_tbENKUlT_T0_SH_SM_E_clISB_SB_SC_SC_EEDaS10_S11_SH_SM_EUlS10_E_NS1_11comp_targetILNS1_3genE2ELNS1_11target_archE906ELNS1_3gpuE6ELNS1_3repE0EEENS1_47radix_sort_onesweep_sort_config_static_selectorELNS0_4arch9wavefront6targetE0EEEvSH_.numbered_sgpr, 0
	.set _ZN7rocprim17ROCPRIM_400000_NS6detail17trampoline_kernelINS0_14default_configENS1_35radix_sort_onesweep_config_selectorI12hip_bfloat16NS0_10empty_typeEEEZZNS1_29radix_sort_onesweep_iterationIS3_Lb1EPKS5_PS5_PS6_SC_mNS0_19identity_decomposerENS1_16block_id_wrapperIjLb1EEEEE10hipError_tT1_PNSt15iterator_traitsISH_E10value_typeET2_T3_PNSI_ISN_E10value_typeET4_T5_PSS_ST_PNS1_23onesweep_lookback_stateEbbT6_jjT7_P12ihipStream_tbENKUlT_T0_SH_SM_E_clISB_SB_SC_SC_EEDaS10_S11_SH_SM_EUlS10_E_NS1_11comp_targetILNS1_3genE2ELNS1_11target_archE906ELNS1_3gpuE6ELNS1_3repE0EEENS1_47radix_sort_onesweep_sort_config_static_selectorELNS0_4arch9wavefront6targetE0EEEvSH_.num_named_barrier, 0
	.set _ZN7rocprim17ROCPRIM_400000_NS6detail17trampoline_kernelINS0_14default_configENS1_35radix_sort_onesweep_config_selectorI12hip_bfloat16NS0_10empty_typeEEEZZNS1_29radix_sort_onesweep_iterationIS3_Lb1EPKS5_PS5_PS6_SC_mNS0_19identity_decomposerENS1_16block_id_wrapperIjLb1EEEEE10hipError_tT1_PNSt15iterator_traitsISH_E10value_typeET2_T3_PNSI_ISN_E10value_typeET4_T5_PSS_ST_PNS1_23onesweep_lookback_stateEbbT6_jjT7_P12ihipStream_tbENKUlT_T0_SH_SM_E_clISB_SB_SC_SC_EEDaS10_S11_SH_SM_EUlS10_E_NS1_11comp_targetILNS1_3genE2ELNS1_11target_archE906ELNS1_3gpuE6ELNS1_3repE0EEENS1_47radix_sort_onesweep_sort_config_static_selectorELNS0_4arch9wavefront6targetE0EEEvSH_.private_seg_size, 0
	.set _ZN7rocprim17ROCPRIM_400000_NS6detail17trampoline_kernelINS0_14default_configENS1_35radix_sort_onesweep_config_selectorI12hip_bfloat16NS0_10empty_typeEEEZZNS1_29radix_sort_onesweep_iterationIS3_Lb1EPKS5_PS5_PS6_SC_mNS0_19identity_decomposerENS1_16block_id_wrapperIjLb1EEEEE10hipError_tT1_PNSt15iterator_traitsISH_E10value_typeET2_T3_PNSI_ISN_E10value_typeET4_T5_PSS_ST_PNS1_23onesweep_lookback_stateEbbT6_jjT7_P12ihipStream_tbENKUlT_T0_SH_SM_E_clISB_SB_SC_SC_EEDaS10_S11_SH_SM_EUlS10_E_NS1_11comp_targetILNS1_3genE2ELNS1_11target_archE906ELNS1_3gpuE6ELNS1_3repE0EEENS1_47radix_sort_onesweep_sort_config_static_selectorELNS0_4arch9wavefront6targetE0EEEvSH_.uses_vcc, 0
	.set _ZN7rocprim17ROCPRIM_400000_NS6detail17trampoline_kernelINS0_14default_configENS1_35radix_sort_onesweep_config_selectorI12hip_bfloat16NS0_10empty_typeEEEZZNS1_29radix_sort_onesweep_iterationIS3_Lb1EPKS5_PS5_PS6_SC_mNS0_19identity_decomposerENS1_16block_id_wrapperIjLb1EEEEE10hipError_tT1_PNSt15iterator_traitsISH_E10value_typeET2_T3_PNSI_ISN_E10value_typeET4_T5_PSS_ST_PNS1_23onesweep_lookback_stateEbbT6_jjT7_P12ihipStream_tbENKUlT_T0_SH_SM_E_clISB_SB_SC_SC_EEDaS10_S11_SH_SM_EUlS10_E_NS1_11comp_targetILNS1_3genE2ELNS1_11target_archE906ELNS1_3gpuE6ELNS1_3repE0EEENS1_47radix_sort_onesweep_sort_config_static_selectorELNS0_4arch9wavefront6targetE0EEEvSH_.uses_flat_scratch, 0
	.set _ZN7rocprim17ROCPRIM_400000_NS6detail17trampoline_kernelINS0_14default_configENS1_35radix_sort_onesweep_config_selectorI12hip_bfloat16NS0_10empty_typeEEEZZNS1_29radix_sort_onesweep_iterationIS3_Lb1EPKS5_PS5_PS6_SC_mNS0_19identity_decomposerENS1_16block_id_wrapperIjLb1EEEEE10hipError_tT1_PNSt15iterator_traitsISH_E10value_typeET2_T3_PNSI_ISN_E10value_typeET4_T5_PSS_ST_PNS1_23onesweep_lookback_stateEbbT6_jjT7_P12ihipStream_tbENKUlT_T0_SH_SM_E_clISB_SB_SC_SC_EEDaS10_S11_SH_SM_EUlS10_E_NS1_11comp_targetILNS1_3genE2ELNS1_11target_archE906ELNS1_3gpuE6ELNS1_3repE0EEENS1_47radix_sort_onesweep_sort_config_static_selectorELNS0_4arch9wavefront6targetE0EEEvSH_.has_dyn_sized_stack, 0
	.set _ZN7rocprim17ROCPRIM_400000_NS6detail17trampoline_kernelINS0_14default_configENS1_35radix_sort_onesweep_config_selectorI12hip_bfloat16NS0_10empty_typeEEEZZNS1_29radix_sort_onesweep_iterationIS3_Lb1EPKS5_PS5_PS6_SC_mNS0_19identity_decomposerENS1_16block_id_wrapperIjLb1EEEEE10hipError_tT1_PNSt15iterator_traitsISH_E10value_typeET2_T3_PNSI_ISN_E10value_typeET4_T5_PSS_ST_PNS1_23onesweep_lookback_stateEbbT6_jjT7_P12ihipStream_tbENKUlT_T0_SH_SM_E_clISB_SB_SC_SC_EEDaS10_S11_SH_SM_EUlS10_E_NS1_11comp_targetILNS1_3genE2ELNS1_11target_archE906ELNS1_3gpuE6ELNS1_3repE0EEENS1_47radix_sort_onesweep_sort_config_static_selectorELNS0_4arch9wavefront6targetE0EEEvSH_.has_recursion, 0
	.set _ZN7rocprim17ROCPRIM_400000_NS6detail17trampoline_kernelINS0_14default_configENS1_35radix_sort_onesweep_config_selectorI12hip_bfloat16NS0_10empty_typeEEEZZNS1_29radix_sort_onesweep_iterationIS3_Lb1EPKS5_PS5_PS6_SC_mNS0_19identity_decomposerENS1_16block_id_wrapperIjLb1EEEEE10hipError_tT1_PNSt15iterator_traitsISH_E10value_typeET2_T3_PNSI_ISN_E10value_typeET4_T5_PSS_ST_PNS1_23onesweep_lookback_stateEbbT6_jjT7_P12ihipStream_tbENKUlT_T0_SH_SM_E_clISB_SB_SC_SC_EEDaS10_S11_SH_SM_EUlS10_E_NS1_11comp_targetILNS1_3genE2ELNS1_11target_archE906ELNS1_3gpuE6ELNS1_3repE0EEENS1_47radix_sort_onesweep_sort_config_static_selectorELNS0_4arch9wavefront6targetE0EEEvSH_.has_indirect_call, 0
	.section	.AMDGPU.csdata,"",@progbits
; Kernel info:
; codeLenInByte = 0
; TotalNumSgprs: 0
; NumVgprs: 0
; ScratchSize: 0
; MemoryBound: 0
; FloatMode: 240
; IeeeMode: 1
; LDSByteSize: 0 bytes/workgroup (compile time only)
; SGPRBlocks: 0
; VGPRBlocks: 0
; NumSGPRsForWavesPerEU: 1
; NumVGPRsForWavesPerEU: 1
; NamedBarCnt: 0
; Occupancy: 16
; WaveLimiterHint : 0
; COMPUTE_PGM_RSRC2:SCRATCH_EN: 0
; COMPUTE_PGM_RSRC2:USER_SGPR: 2
; COMPUTE_PGM_RSRC2:TRAP_HANDLER: 0
; COMPUTE_PGM_RSRC2:TGID_X_EN: 1
; COMPUTE_PGM_RSRC2:TGID_Y_EN: 0
; COMPUTE_PGM_RSRC2:TGID_Z_EN: 0
; COMPUTE_PGM_RSRC2:TIDIG_COMP_CNT: 0
	.section	.text._ZN7rocprim17ROCPRIM_400000_NS6detail17trampoline_kernelINS0_14default_configENS1_35radix_sort_onesweep_config_selectorI12hip_bfloat16NS0_10empty_typeEEEZZNS1_29radix_sort_onesweep_iterationIS3_Lb1EPKS5_PS5_PS6_SC_mNS0_19identity_decomposerENS1_16block_id_wrapperIjLb1EEEEE10hipError_tT1_PNSt15iterator_traitsISH_E10value_typeET2_T3_PNSI_ISN_E10value_typeET4_T5_PSS_ST_PNS1_23onesweep_lookback_stateEbbT6_jjT7_P12ihipStream_tbENKUlT_T0_SH_SM_E_clISB_SB_SC_SC_EEDaS10_S11_SH_SM_EUlS10_E_NS1_11comp_targetILNS1_3genE4ELNS1_11target_archE910ELNS1_3gpuE8ELNS1_3repE0EEENS1_47radix_sort_onesweep_sort_config_static_selectorELNS0_4arch9wavefront6targetE0EEEvSH_,"axG",@progbits,_ZN7rocprim17ROCPRIM_400000_NS6detail17trampoline_kernelINS0_14default_configENS1_35radix_sort_onesweep_config_selectorI12hip_bfloat16NS0_10empty_typeEEEZZNS1_29radix_sort_onesweep_iterationIS3_Lb1EPKS5_PS5_PS6_SC_mNS0_19identity_decomposerENS1_16block_id_wrapperIjLb1EEEEE10hipError_tT1_PNSt15iterator_traitsISH_E10value_typeET2_T3_PNSI_ISN_E10value_typeET4_T5_PSS_ST_PNS1_23onesweep_lookback_stateEbbT6_jjT7_P12ihipStream_tbENKUlT_T0_SH_SM_E_clISB_SB_SC_SC_EEDaS10_S11_SH_SM_EUlS10_E_NS1_11comp_targetILNS1_3genE4ELNS1_11target_archE910ELNS1_3gpuE8ELNS1_3repE0EEENS1_47radix_sort_onesweep_sort_config_static_selectorELNS0_4arch9wavefront6targetE0EEEvSH_,comdat
	.protected	_ZN7rocprim17ROCPRIM_400000_NS6detail17trampoline_kernelINS0_14default_configENS1_35radix_sort_onesweep_config_selectorI12hip_bfloat16NS0_10empty_typeEEEZZNS1_29radix_sort_onesweep_iterationIS3_Lb1EPKS5_PS5_PS6_SC_mNS0_19identity_decomposerENS1_16block_id_wrapperIjLb1EEEEE10hipError_tT1_PNSt15iterator_traitsISH_E10value_typeET2_T3_PNSI_ISN_E10value_typeET4_T5_PSS_ST_PNS1_23onesweep_lookback_stateEbbT6_jjT7_P12ihipStream_tbENKUlT_T0_SH_SM_E_clISB_SB_SC_SC_EEDaS10_S11_SH_SM_EUlS10_E_NS1_11comp_targetILNS1_3genE4ELNS1_11target_archE910ELNS1_3gpuE8ELNS1_3repE0EEENS1_47radix_sort_onesweep_sort_config_static_selectorELNS0_4arch9wavefront6targetE0EEEvSH_ ; -- Begin function _ZN7rocprim17ROCPRIM_400000_NS6detail17trampoline_kernelINS0_14default_configENS1_35radix_sort_onesweep_config_selectorI12hip_bfloat16NS0_10empty_typeEEEZZNS1_29radix_sort_onesweep_iterationIS3_Lb1EPKS5_PS5_PS6_SC_mNS0_19identity_decomposerENS1_16block_id_wrapperIjLb1EEEEE10hipError_tT1_PNSt15iterator_traitsISH_E10value_typeET2_T3_PNSI_ISN_E10value_typeET4_T5_PSS_ST_PNS1_23onesweep_lookback_stateEbbT6_jjT7_P12ihipStream_tbENKUlT_T0_SH_SM_E_clISB_SB_SC_SC_EEDaS10_S11_SH_SM_EUlS10_E_NS1_11comp_targetILNS1_3genE4ELNS1_11target_archE910ELNS1_3gpuE8ELNS1_3repE0EEENS1_47radix_sort_onesweep_sort_config_static_selectorELNS0_4arch9wavefront6targetE0EEEvSH_
	.globl	_ZN7rocprim17ROCPRIM_400000_NS6detail17trampoline_kernelINS0_14default_configENS1_35radix_sort_onesweep_config_selectorI12hip_bfloat16NS0_10empty_typeEEEZZNS1_29radix_sort_onesweep_iterationIS3_Lb1EPKS5_PS5_PS6_SC_mNS0_19identity_decomposerENS1_16block_id_wrapperIjLb1EEEEE10hipError_tT1_PNSt15iterator_traitsISH_E10value_typeET2_T3_PNSI_ISN_E10value_typeET4_T5_PSS_ST_PNS1_23onesweep_lookback_stateEbbT6_jjT7_P12ihipStream_tbENKUlT_T0_SH_SM_E_clISB_SB_SC_SC_EEDaS10_S11_SH_SM_EUlS10_E_NS1_11comp_targetILNS1_3genE4ELNS1_11target_archE910ELNS1_3gpuE8ELNS1_3repE0EEENS1_47radix_sort_onesweep_sort_config_static_selectorELNS0_4arch9wavefront6targetE0EEEvSH_
	.p2align	8
	.type	_ZN7rocprim17ROCPRIM_400000_NS6detail17trampoline_kernelINS0_14default_configENS1_35radix_sort_onesweep_config_selectorI12hip_bfloat16NS0_10empty_typeEEEZZNS1_29radix_sort_onesweep_iterationIS3_Lb1EPKS5_PS5_PS6_SC_mNS0_19identity_decomposerENS1_16block_id_wrapperIjLb1EEEEE10hipError_tT1_PNSt15iterator_traitsISH_E10value_typeET2_T3_PNSI_ISN_E10value_typeET4_T5_PSS_ST_PNS1_23onesweep_lookback_stateEbbT6_jjT7_P12ihipStream_tbENKUlT_T0_SH_SM_E_clISB_SB_SC_SC_EEDaS10_S11_SH_SM_EUlS10_E_NS1_11comp_targetILNS1_3genE4ELNS1_11target_archE910ELNS1_3gpuE8ELNS1_3repE0EEENS1_47radix_sort_onesweep_sort_config_static_selectorELNS0_4arch9wavefront6targetE0EEEvSH_,@function
_ZN7rocprim17ROCPRIM_400000_NS6detail17trampoline_kernelINS0_14default_configENS1_35radix_sort_onesweep_config_selectorI12hip_bfloat16NS0_10empty_typeEEEZZNS1_29radix_sort_onesweep_iterationIS3_Lb1EPKS5_PS5_PS6_SC_mNS0_19identity_decomposerENS1_16block_id_wrapperIjLb1EEEEE10hipError_tT1_PNSt15iterator_traitsISH_E10value_typeET2_T3_PNSI_ISN_E10value_typeET4_T5_PSS_ST_PNS1_23onesweep_lookback_stateEbbT6_jjT7_P12ihipStream_tbENKUlT_T0_SH_SM_E_clISB_SB_SC_SC_EEDaS10_S11_SH_SM_EUlS10_E_NS1_11comp_targetILNS1_3genE4ELNS1_11target_archE910ELNS1_3gpuE8ELNS1_3repE0EEENS1_47radix_sort_onesweep_sort_config_static_selectorELNS0_4arch9wavefront6targetE0EEEvSH_: ; @_ZN7rocprim17ROCPRIM_400000_NS6detail17trampoline_kernelINS0_14default_configENS1_35radix_sort_onesweep_config_selectorI12hip_bfloat16NS0_10empty_typeEEEZZNS1_29radix_sort_onesweep_iterationIS3_Lb1EPKS5_PS5_PS6_SC_mNS0_19identity_decomposerENS1_16block_id_wrapperIjLb1EEEEE10hipError_tT1_PNSt15iterator_traitsISH_E10value_typeET2_T3_PNSI_ISN_E10value_typeET4_T5_PSS_ST_PNS1_23onesweep_lookback_stateEbbT6_jjT7_P12ihipStream_tbENKUlT_T0_SH_SM_E_clISB_SB_SC_SC_EEDaS10_S11_SH_SM_EUlS10_E_NS1_11comp_targetILNS1_3genE4ELNS1_11target_archE910ELNS1_3gpuE8ELNS1_3repE0EEENS1_47radix_sort_onesweep_sort_config_static_selectorELNS0_4arch9wavefront6targetE0EEEvSH_
; %bb.0:
	.section	.rodata,"a",@progbits
	.p2align	6, 0x0
	.amdhsa_kernel _ZN7rocprim17ROCPRIM_400000_NS6detail17trampoline_kernelINS0_14default_configENS1_35radix_sort_onesweep_config_selectorI12hip_bfloat16NS0_10empty_typeEEEZZNS1_29radix_sort_onesweep_iterationIS3_Lb1EPKS5_PS5_PS6_SC_mNS0_19identity_decomposerENS1_16block_id_wrapperIjLb1EEEEE10hipError_tT1_PNSt15iterator_traitsISH_E10value_typeET2_T3_PNSI_ISN_E10value_typeET4_T5_PSS_ST_PNS1_23onesweep_lookback_stateEbbT6_jjT7_P12ihipStream_tbENKUlT_T0_SH_SM_E_clISB_SB_SC_SC_EEDaS10_S11_SH_SM_EUlS10_E_NS1_11comp_targetILNS1_3genE4ELNS1_11target_archE910ELNS1_3gpuE8ELNS1_3repE0EEENS1_47radix_sort_onesweep_sort_config_static_selectorELNS0_4arch9wavefront6targetE0EEEvSH_
		.amdhsa_group_segment_fixed_size 0
		.amdhsa_private_segment_fixed_size 0
		.amdhsa_kernarg_size 88
		.amdhsa_user_sgpr_count 2
		.amdhsa_user_sgpr_dispatch_ptr 0
		.amdhsa_user_sgpr_queue_ptr 0
		.amdhsa_user_sgpr_kernarg_segment_ptr 1
		.amdhsa_user_sgpr_dispatch_id 0
		.amdhsa_user_sgpr_kernarg_preload_length 0
		.amdhsa_user_sgpr_kernarg_preload_offset 0
		.amdhsa_user_sgpr_private_segment_size 0
		.amdhsa_wavefront_size32 1
		.amdhsa_uses_dynamic_stack 0
		.amdhsa_enable_private_segment 0
		.amdhsa_system_sgpr_workgroup_id_x 1
		.amdhsa_system_sgpr_workgroup_id_y 0
		.amdhsa_system_sgpr_workgroup_id_z 0
		.amdhsa_system_sgpr_workgroup_info 0
		.amdhsa_system_vgpr_workitem_id 0
		.amdhsa_next_free_vgpr 1
		.amdhsa_next_free_sgpr 1
		.amdhsa_named_barrier_count 0
		.amdhsa_reserve_vcc 0
		.amdhsa_float_round_mode_32 0
		.amdhsa_float_round_mode_16_64 0
		.amdhsa_float_denorm_mode_32 3
		.amdhsa_float_denorm_mode_16_64 3
		.amdhsa_fp16_overflow 0
		.amdhsa_memory_ordered 1
		.amdhsa_forward_progress 1
		.amdhsa_inst_pref_size 0
		.amdhsa_round_robin_scheduling 0
		.amdhsa_exception_fp_ieee_invalid_op 0
		.amdhsa_exception_fp_denorm_src 0
		.amdhsa_exception_fp_ieee_div_zero 0
		.amdhsa_exception_fp_ieee_overflow 0
		.amdhsa_exception_fp_ieee_underflow 0
		.amdhsa_exception_fp_ieee_inexact 0
		.amdhsa_exception_int_div_zero 0
	.end_amdhsa_kernel
	.section	.text._ZN7rocprim17ROCPRIM_400000_NS6detail17trampoline_kernelINS0_14default_configENS1_35radix_sort_onesweep_config_selectorI12hip_bfloat16NS0_10empty_typeEEEZZNS1_29radix_sort_onesweep_iterationIS3_Lb1EPKS5_PS5_PS6_SC_mNS0_19identity_decomposerENS1_16block_id_wrapperIjLb1EEEEE10hipError_tT1_PNSt15iterator_traitsISH_E10value_typeET2_T3_PNSI_ISN_E10value_typeET4_T5_PSS_ST_PNS1_23onesweep_lookback_stateEbbT6_jjT7_P12ihipStream_tbENKUlT_T0_SH_SM_E_clISB_SB_SC_SC_EEDaS10_S11_SH_SM_EUlS10_E_NS1_11comp_targetILNS1_3genE4ELNS1_11target_archE910ELNS1_3gpuE8ELNS1_3repE0EEENS1_47radix_sort_onesweep_sort_config_static_selectorELNS0_4arch9wavefront6targetE0EEEvSH_,"axG",@progbits,_ZN7rocprim17ROCPRIM_400000_NS6detail17trampoline_kernelINS0_14default_configENS1_35radix_sort_onesweep_config_selectorI12hip_bfloat16NS0_10empty_typeEEEZZNS1_29radix_sort_onesweep_iterationIS3_Lb1EPKS5_PS5_PS6_SC_mNS0_19identity_decomposerENS1_16block_id_wrapperIjLb1EEEEE10hipError_tT1_PNSt15iterator_traitsISH_E10value_typeET2_T3_PNSI_ISN_E10value_typeET4_T5_PSS_ST_PNS1_23onesweep_lookback_stateEbbT6_jjT7_P12ihipStream_tbENKUlT_T0_SH_SM_E_clISB_SB_SC_SC_EEDaS10_S11_SH_SM_EUlS10_E_NS1_11comp_targetILNS1_3genE4ELNS1_11target_archE910ELNS1_3gpuE8ELNS1_3repE0EEENS1_47radix_sort_onesweep_sort_config_static_selectorELNS0_4arch9wavefront6targetE0EEEvSH_,comdat
.Lfunc_end1977:
	.size	_ZN7rocprim17ROCPRIM_400000_NS6detail17trampoline_kernelINS0_14default_configENS1_35radix_sort_onesweep_config_selectorI12hip_bfloat16NS0_10empty_typeEEEZZNS1_29radix_sort_onesweep_iterationIS3_Lb1EPKS5_PS5_PS6_SC_mNS0_19identity_decomposerENS1_16block_id_wrapperIjLb1EEEEE10hipError_tT1_PNSt15iterator_traitsISH_E10value_typeET2_T3_PNSI_ISN_E10value_typeET4_T5_PSS_ST_PNS1_23onesweep_lookback_stateEbbT6_jjT7_P12ihipStream_tbENKUlT_T0_SH_SM_E_clISB_SB_SC_SC_EEDaS10_S11_SH_SM_EUlS10_E_NS1_11comp_targetILNS1_3genE4ELNS1_11target_archE910ELNS1_3gpuE8ELNS1_3repE0EEENS1_47radix_sort_onesweep_sort_config_static_selectorELNS0_4arch9wavefront6targetE0EEEvSH_, .Lfunc_end1977-_ZN7rocprim17ROCPRIM_400000_NS6detail17trampoline_kernelINS0_14default_configENS1_35radix_sort_onesweep_config_selectorI12hip_bfloat16NS0_10empty_typeEEEZZNS1_29radix_sort_onesweep_iterationIS3_Lb1EPKS5_PS5_PS6_SC_mNS0_19identity_decomposerENS1_16block_id_wrapperIjLb1EEEEE10hipError_tT1_PNSt15iterator_traitsISH_E10value_typeET2_T3_PNSI_ISN_E10value_typeET4_T5_PSS_ST_PNS1_23onesweep_lookback_stateEbbT6_jjT7_P12ihipStream_tbENKUlT_T0_SH_SM_E_clISB_SB_SC_SC_EEDaS10_S11_SH_SM_EUlS10_E_NS1_11comp_targetILNS1_3genE4ELNS1_11target_archE910ELNS1_3gpuE8ELNS1_3repE0EEENS1_47radix_sort_onesweep_sort_config_static_selectorELNS0_4arch9wavefront6targetE0EEEvSH_
                                        ; -- End function
	.set _ZN7rocprim17ROCPRIM_400000_NS6detail17trampoline_kernelINS0_14default_configENS1_35radix_sort_onesweep_config_selectorI12hip_bfloat16NS0_10empty_typeEEEZZNS1_29radix_sort_onesweep_iterationIS3_Lb1EPKS5_PS5_PS6_SC_mNS0_19identity_decomposerENS1_16block_id_wrapperIjLb1EEEEE10hipError_tT1_PNSt15iterator_traitsISH_E10value_typeET2_T3_PNSI_ISN_E10value_typeET4_T5_PSS_ST_PNS1_23onesweep_lookback_stateEbbT6_jjT7_P12ihipStream_tbENKUlT_T0_SH_SM_E_clISB_SB_SC_SC_EEDaS10_S11_SH_SM_EUlS10_E_NS1_11comp_targetILNS1_3genE4ELNS1_11target_archE910ELNS1_3gpuE8ELNS1_3repE0EEENS1_47radix_sort_onesweep_sort_config_static_selectorELNS0_4arch9wavefront6targetE0EEEvSH_.num_vgpr, 0
	.set _ZN7rocprim17ROCPRIM_400000_NS6detail17trampoline_kernelINS0_14default_configENS1_35radix_sort_onesweep_config_selectorI12hip_bfloat16NS0_10empty_typeEEEZZNS1_29radix_sort_onesweep_iterationIS3_Lb1EPKS5_PS5_PS6_SC_mNS0_19identity_decomposerENS1_16block_id_wrapperIjLb1EEEEE10hipError_tT1_PNSt15iterator_traitsISH_E10value_typeET2_T3_PNSI_ISN_E10value_typeET4_T5_PSS_ST_PNS1_23onesweep_lookback_stateEbbT6_jjT7_P12ihipStream_tbENKUlT_T0_SH_SM_E_clISB_SB_SC_SC_EEDaS10_S11_SH_SM_EUlS10_E_NS1_11comp_targetILNS1_3genE4ELNS1_11target_archE910ELNS1_3gpuE8ELNS1_3repE0EEENS1_47radix_sort_onesweep_sort_config_static_selectorELNS0_4arch9wavefront6targetE0EEEvSH_.num_agpr, 0
	.set _ZN7rocprim17ROCPRIM_400000_NS6detail17trampoline_kernelINS0_14default_configENS1_35radix_sort_onesweep_config_selectorI12hip_bfloat16NS0_10empty_typeEEEZZNS1_29radix_sort_onesweep_iterationIS3_Lb1EPKS5_PS5_PS6_SC_mNS0_19identity_decomposerENS1_16block_id_wrapperIjLb1EEEEE10hipError_tT1_PNSt15iterator_traitsISH_E10value_typeET2_T3_PNSI_ISN_E10value_typeET4_T5_PSS_ST_PNS1_23onesweep_lookback_stateEbbT6_jjT7_P12ihipStream_tbENKUlT_T0_SH_SM_E_clISB_SB_SC_SC_EEDaS10_S11_SH_SM_EUlS10_E_NS1_11comp_targetILNS1_3genE4ELNS1_11target_archE910ELNS1_3gpuE8ELNS1_3repE0EEENS1_47radix_sort_onesweep_sort_config_static_selectorELNS0_4arch9wavefront6targetE0EEEvSH_.numbered_sgpr, 0
	.set _ZN7rocprim17ROCPRIM_400000_NS6detail17trampoline_kernelINS0_14default_configENS1_35radix_sort_onesweep_config_selectorI12hip_bfloat16NS0_10empty_typeEEEZZNS1_29radix_sort_onesweep_iterationIS3_Lb1EPKS5_PS5_PS6_SC_mNS0_19identity_decomposerENS1_16block_id_wrapperIjLb1EEEEE10hipError_tT1_PNSt15iterator_traitsISH_E10value_typeET2_T3_PNSI_ISN_E10value_typeET4_T5_PSS_ST_PNS1_23onesweep_lookback_stateEbbT6_jjT7_P12ihipStream_tbENKUlT_T0_SH_SM_E_clISB_SB_SC_SC_EEDaS10_S11_SH_SM_EUlS10_E_NS1_11comp_targetILNS1_3genE4ELNS1_11target_archE910ELNS1_3gpuE8ELNS1_3repE0EEENS1_47radix_sort_onesweep_sort_config_static_selectorELNS0_4arch9wavefront6targetE0EEEvSH_.num_named_barrier, 0
	.set _ZN7rocprim17ROCPRIM_400000_NS6detail17trampoline_kernelINS0_14default_configENS1_35radix_sort_onesweep_config_selectorI12hip_bfloat16NS0_10empty_typeEEEZZNS1_29radix_sort_onesweep_iterationIS3_Lb1EPKS5_PS5_PS6_SC_mNS0_19identity_decomposerENS1_16block_id_wrapperIjLb1EEEEE10hipError_tT1_PNSt15iterator_traitsISH_E10value_typeET2_T3_PNSI_ISN_E10value_typeET4_T5_PSS_ST_PNS1_23onesweep_lookback_stateEbbT6_jjT7_P12ihipStream_tbENKUlT_T0_SH_SM_E_clISB_SB_SC_SC_EEDaS10_S11_SH_SM_EUlS10_E_NS1_11comp_targetILNS1_3genE4ELNS1_11target_archE910ELNS1_3gpuE8ELNS1_3repE0EEENS1_47radix_sort_onesweep_sort_config_static_selectorELNS0_4arch9wavefront6targetE0EEEvSH_.private_seg_size, 0
	.set _ZN7rocprim17ROCPRIM_400000_NS6detail17trampoline_kernelINS0_14default_configENS1_35radix_sort_onesweep_config_selectorI12hip_bfloat16NS0_10empty_typeEEEZZNS1_29radix_sort_onesweep_iterationIS3_Lb1EPKS5_PS5_PS6_SC_mNS0_19identity_decomposerENS1_16block_id_wrapperIjLb1EEEEE10hipError_tT1_PNSt15iterator_traitsISH_E10value_typeET2_T3_PNSI_ISN_E10value_typeET4_T5_PSS_ST_PNS1_23onesweep_lookback_stateEbbT6_jjT7_P12ihipStream_tbENKUlT_T0_SH_SM_E_clISB_SB_SC_SC_EEDaS10_S11_SH_SM_EUlS10_E_NS1_11comp_targetILNS1_3genE4ELNS1_11target_archE910ELNS1_3gpuE8ELNS1_3repE0EEENS1_47radix_sort_onesweep_sort_config_static_selectorELNS0_4arch9wavefront6targetE0EEEvSH_.uses_vcc, 0
	.set _ZN7rocprim17ROCPRIM_400000_NS6detail17trampoline_kernelINS0_14default_configENS1_35radix_sort_onesweep_config_selectorI12hip_bfloat16NS0_10empty_typeEEEZZNS1_29radix_sort_onesweep_iterationIS3_Lb1EPKS5_PS5_PS6_SC_mNS0_19identity_decomposerENS1_16block_id_wrapperIjLb1EEEEE10hipError_tT1_PNSt15iterator_traitsISH_E10value_typeET2_T3_PNSI_ISN_E10value_typeET4_T5_PSS_ST_PNS1_23onesweep_lookback_stateEbbT6_jjT7_P12ihipStream_tbENKUlT_T0_SH_SM_E_clISB_SB_SC_SC_EEDaS10_S11_SH_SM_EUlS10_E_NS1_11comp_targetILNS1_3genE4ELNS1_11target_archE910ELNS1_3gpuE8ELNS1_3repE0EEENS1_47radix_sort_onesweep_sort_config_static_selectorELNS0_4arch9wavefront6targetE0EEEvSH_.uses_flat_scratch, 0
	.set _ZN7rocprim17ROCPRIM_400000_NS6detail17trampoline_kernelINS0_14default_configENS1_35radix_sort_onesweep_config_selectorI12hip_bfloat16NS0_10empty_typeEEEZZNS1_29radix_sort_onesweep_iterationIS3_Lb1EPKS5_PS5_PS6_SC_mNS0_19identity_decomposerENS1_16block_id_wrapperIjLb1EEEEE10hipError_tT1_PNSt15iterator_traitsISH_E10value_typeET2_T3_PNSI_ISN_E10value_typeET4_T5_PSS_ST_PNS1_23onesweep_lookback_stateEbbT6_jjT7_P12ihipStream_tbENKUlT_T0_SH_SM_E_clISB_SB_SC_SC_EEDaS10_S11_SH_SM_EUlS10_E_NS1_11comp_targetILNS1_3genE4ELNS1_11target_archE910ELNS1_3gpuE8ELNS1_3repE0EEENS1_47radix_sort_onesweep_sort_config_static_selectorELNS0_4arch9wavefront6targetE0EEEvSH_.has_dyn_sized_stack, 0
	.set _ZN7rocprim17ROCPRIM_400000_NS6detail17trampoline_kernelINS0_14default_configENS1_35radix_sort_onesweep_config_selectorI12hip_bfloat16NS0_10empty_typeEEEZZNS1_29radix_sort_onesweep_iterationIS3_Lb1EPKS5_PS5_PS6_SC_mNS0_19identity_decomposerENS1_16block_id_wrapperIjLb1EEEEE10hipError_tT1_PNSt15iterator_traitsISH_E10value_typeET2_T3_PNSI_ISN_E10value_typeET4_T5_PSS_ST_PNS1_23onesweep_lookback_stateEbbT6_jjT7_P12ihipStream_tbENKUlT_T0_SH_SM_E_clISB_SB_SC_SC_EEDaS10_S11_SH_SM_EUlS10_E_NS1_11comp_targetILNS1_3genE4ELNS1_11target_archE910ELNS1_3gpuE8ELNS1_3repE0EEENS1_47radix_sort_onesweep_sort_config_static_selectorELNS0_4arch9wavefront6targetE0EEEvSH_.has_recursion, 0
	.set _ZN7rocprim17ROCPRIM_400000_NS6detail17trampoline_kernelINS0_14default_configENS1_35radix_sort_onesweep_config_selectorI12hip_bfloat16NS0_10empty_typeEEEZZNS1_29radix_sort_onesweep_iterationIS3_Lb1EPKS5_PS5_PS6_SC_mNS0_19identity_decomposerENS1_16block_id_wrapperIjLb1EEEEE10hipError_tT1_PNSt15iterator_traitsISH_E10value_typeET2_T3_PNSI_ISN_E10value_typeET4_T5_PSS_ST_PNS1_23onesweep_lookback_stateEbbT6_jjT7_P12ihipStream_tbENKUlT_T0_SH_SM_E_clISB_SB_SC_SC_EEDaS10_S11_SH_SM_EUlS10_E_NS1_11comp_targetILNS1_3genE4ELNS1_11target_archE910ELNS1_3gpuE8ELNS1_3repE0EEENS1_47radix_sort_onesweep_sort_config_static_selectorELNS0_4arch9wavefront6targetE0EEEvSH_.has_indirect_call, 0
	.section	.AMDGPU.csdata,"",@progbits
; Kernel info:
; codeLenInByte = 0
; TotalNumSgprs: 0
; NumVgprs: 0
; ScratchSize: 0
; MemoryBound: 0
; FloatMode: 240
; IeeeMode: 1
; LDSByteSize: 0 bytes/workgroup (compile time only)
; SGPRBlocks: 0
; VGPRBlocks: 0
; NumSGPRsForWavesPerEU: 1
; NumVGPRsForWavesPerEU: 1
; NamedBarCnt: 0
; Occupancy: 16
; WaveLimiterHint : 0
; COMPUTE_PGM_RSRC2:SCRATCH_EN: 0
; COMPUTE_PGM_RSRC2:USER_SGPR: 2
; COMPUTE_PGM_RSRC2:TRAP_HANDLER: 0
; COMPUTE_PGM_RSRC2:TGID_X_EN: 1
; COMPUTE_PGM_RSRC2:TGID_Y_EN: 0
; COMPUTE_PGM_RSRC2:TGID_Z_EN: 0
; COMPUTE_PGM_RSRC2:TIDIG_COMP_CNT: 0
	.section	.text._ZN7rocprim17ROCPRIM_400000_NS6detail17trampoline_kernelINS0_14default_configENS1_35radix_sort_onesweep_config_selectorI12hip_bfloat16NS0_10empty_typeEEEZZNS1_29radix_sort_onesweep_iterationIS3_Lb1EPKS5_PS5_PS6_SC_mNS0_19identity_decomposerENS1_16block_id_wrapperIjLb1EEEEE10hipError_tT1_PNSt15iterator_traitsISH_E10value_typeET2_T3_PNSI_ISN_E10value_typeET4_T5_PSS_ST_PNS1_23onesweep_lookback_stateEbbT6_jjT7_P12ihipStream_tbENKUlT_T0_SH_SM_E_clISB_SB_SC_SC_EEDaS10_S11_SH_SM_EUlS10_E_NS1_11comp_targetILNS1_3genE3ELNS1_11target_archE908ELNS1_3gpuE7ELNS1_3repE0EEENS1_47radix_sort_onesweep_sort_config_static_selectorELNS0_4arch9wavefront6targetE0EEEvSH_,"axG",@progbits,_ZN7rocprim17ROCPRIM_400000_NS6detail17trampoline_kernelINS0_14default_configENS1_35radix_sort_onesweep_config_selectorI12hip_bfloat16NS0_10empty_typeEEEZZNS1_29radix_sort_onesweep_iterationIS3_Lb1EPKS5_PS5_PS6_SC_mNS0_19identity_decomposerENS1_16block_id_wrapperIjLb1EEEEE10hipError_tT1_PNSt15iterator_traitsISH_E10value_typeET2_T3_PNSI_ISN_E10value_typeET4_T5_PSS_ST_PNS1_23onesweep_lookback_stateEbbT6_jjT7_P12ihipStream_tbENKUlT_T0_SH_SM_E_clISB_SB_SC_SC_EEDaS10_S11_SH_SM_EUlS10_E_NS1_11comp_targetILNS1_3genE3ELNS1_11target_archE908ELNS1_3gpuE7ELNS1_3repE0EEENS1_47radix_sort_onesweep_sort_config_static_selectorELNS0_4arch9wavefront6targetE0EEEvSH_,comdat
	.protected	_ZN7rocprim17ROCPRIM_400000_NS6detail17trampoline_kernelINS0_14default_configENS1_35radix_sort_onesweep_config_selectorI12hip_bfloat16NS0_10empty_typeEEEZZNS1_29radix_sort_onesweep_iterationIS3_Lb1EPKS5_PS5_PS6_SC_mNS0_19identity_decomposerENS1_16block_id_wrapperIjLb1EEEEE10hipError_tT1_PNSt15iterator_traitsISH_E10value_typeET2_T3_PNSI_ISN_E10value_typeET4_T5_PSS_ST_PNS1_23onesweep_lookback_stateEbbT6_jjT7_P12ihipStream_tbENKUlT_T0_SH_SM_E_clISB_SB_SC_SC_EEDaS10_S11_SH_SM_EUlS10_E_NS1_11comp_targetILNS1_3genE3ELNS1_11target_archE908ELNS1_3gpuE7ELNS1_3repE0EEENS1_47radix_sort_onesweep_sort_config_static_selectorELNS0_4arch9wavefront6targetE0EEEvSH_ ; -- Begin function _ZN7rocprim17ROCPRIM_400000_NS6detail17trampoline_kernelINS0_14default_configENS1_35radix_sort_onesweep_config_selectorI12hip_bfloat16NS0_10empty_typeEEEZZNS1_29radix_sort_onesweep_iterationIS3_Lb1EPKS5_PS5_PS6_SC_mNS0_19identity_decomposerENS1_16block_id_wrapperIjLb1EEEEE10hipError_tT1_PNSt15iterator_traitsISH_E10value_typeET2_T3_PNSI_ISN_E10value_typeET4_T5_PSS_ST_PNS1_23onesweep_lookback_stateEbbT6_jjT7_P12ihipStream_tbENKUlT_T0_SH_SM_E_clISB_SB_SC_SC_EEDaS10_S11_SH_SM_EUlS10_E_NS1_11comp_targetILNS1_3genE3ELNS1_11target_archE908ELNS1_3gpuE7ELNS1_3repE0EEENS1_47radix_sort_onesweep_sort_config_static_selectorELNS0_4arch9wavefront6targetE0EEEvSH_
	.globl	_ZN7rocprim17ROCPRIM_400000_NS6detail17trampoline_kernelINS0_14default_configENS1_35radix_sort_onesweep_config_selectorI12hip_bfloat16NS0_10empty_typeEEEZZNS1_29radix_sort_onesweep_iterationIS3_Lb1EPKS5_PS5_PS6_SC_mNS0_19identity_decomposerENS1_16block_id_wrapperIjLb1EEEEE10hipError_tT1_PNSt15iterator_traitsISH_E10value_typeET2_T3_PNSI_ISN_E10value_typeET4_T5_PSS_ST_PNS1_23onesweep_lookback_stateEbbT6_jjT7_P12ihipStream_tbENKUlT_T0_SH_SM_E_clISB_SB_SC_SC_EEDaS10_S11_SH_SM_EUlS10_E_NS1_11comp_targetILNS1_3genE3ELNS1_11target_archE908ELNS1_3gpuE7ELNS1_3repE0EEENS1_47radix_sort_onesweep_sort_config_static_selectorELNS0_4arch9wavefront6targetE0EEEvSH_
	.p2align	8
	.type	_ZN7rocprim17ROCPRIM_400000_NS6detail17trampoline_kernelINS0_14default_configENS1_35radix_sort_onesweep_config_selectorI12hip_bfloat16NS0_10empty_typeEEEZZNS1_29radix_sort_onesweep_iterationIS3_Lb1EPKS5_PS5_PS6_SC_mNS0_19identity_decomposerENS1_16block_id_wrapperIjLb1EEEEE10hipError_tT1_PNSt15iterator_traitsISH_E10value_typeET2_T3_PNSI_ISN_E10value_typeET4_T5_PSS_ST_PNS1_23onesweep_lookback_stateEbbT6_jjT7_P12ihipStream_tbENKUlT_T0_SH_SM_E_clISB_SB_SC_SC_EEDaS10_S11_SH_SM_EUlS10_E_NS1_11comp_targetILNS1_3genE3ELNS1_11target_archE908ELNS1_3gpuE7ELNS1_3repE0EEENS1_47radix_sort_onesweep_sort_config_static_selectorELNS0_4arch9wavefront6targetE0EEEvSH_,@function
_ZN7rocprim17ROCPRIM_400000_NS6detail17trampoline_kernelINS0_14default_configENS1_35radix_sort_onesweep_config_selectorI12hip_bfloat16NS0_10empty_typeEEEZZNS1_29radix_sort_onesweep_iterationIS3_Lb1EPKS5_PS5_PS6_SC_mNS0_19identity_decomposerENS1_16block_id_wrapperIjLb1EEEEE10hipError_tT1_PNSt15iterator_traitsISH_E10value_typeET2_T3_PNSI_ISN_E10value_typeET4_T5_PSS_ST_PNS1_23onesweep_lookback_stateEbbT6_jjT7_P12ihipStream_tbENKUlT_T0_SH_SM_E_clISB_SB_SC_SC_EEDaS10_S11_SH_SM_EUlS10_E_NS1_11comp_targetILNS1_3genE3ELNS1_11target_archE908ELNS1_3gpuE7ELNS1_3repE0EEENS1_47radix_sort_onesweep_sort_config_static_selectorELNS0_4arch9wavefront6targetE0EEEvSH_: ; @_ZN7rocprim17ROCPRIM_400000_NS6detail17trampoline_kernelINS0_14default_configENS1_35radix_sort_onesweep_config_selectorI12hip_bfloat16NS0_10empty_typeEEEZZNS1_29radix_sort_onesweep_iterationIS3_Lb1EPKS5_PS5_PS6_SC_mNS0_19identity_decomposerENS1_16block_id_wrapperIjLb1EEEEE10hipError_tT1_PNSt15iterator_traitsISH_E10value_typeET2_T3_PNSI_ISN_E10value_typeET4_T5_PSS_ST_PNS1_23onesweep_lookback_stateEbbT6_jjT7_P12ihipStream_tbENKUlT_T0_SH_SM_E_clISB_SB_SC_SC_EEDaS10_S11_SH_SM_EUlS10_E_NS1_11comp_targetILNS1_3genE3ELNS1_11target_archE908ELNS1_3gpuE7ELNS1_3repE0EEENS1_47radix_sort_onesweep_sort_config_static_selectorELNS0_4arch9wavefront6targetE0EEEvSH_
; %bb.0:
	.section	.rodata,"a",@progbits
	.p2align	6, 0x0
	.amdhsa_kernel _ZN7rocprim17ROCPRIM_400000_NS6detail17trampoline_kernelINS0_14default_configENS1_35radix_sort_onesweep_config_selectorI12hip_bfloat16NS0_10empty_typeEEEZZNS1_29radix_sort_onesweep_iterationIS3_Lb1EPKS5_PS5_PS6_SC_mNS0_19identity_decomposerENS1_16block_id_wrapperIjLb1EEEEE10hipError_tT1_PNSt15iterator_traitsISH_E10value_typeET2_T3_PNSI_ISN_E10value_typeET4_T5_PSS_ST_PNS1_23onesweep_lookback_stateEbbT6_jjT7_P12ihipStream_tbENKUlT_T0_SH_SM_E_clISB_SB_SC_SC_EEDaS10_S11_SH_SM_EUlS10_E_NS1_11comp_targetILNS1_3genE3ELNS1_11target_archE908ELNS1_3gpuE7ELNS1_3repE0EEENS1_47radix_sort_onesweep_sort_config_static_selectorELNS0_4arch9wavefront6targetE0EEEvSH_
		.amdhsa_group_segment_fixed_size 0
		.amdhsa_private_segment_fixed_size 0
		.amdhsa_kernarg_size 88
		.amdhsa_user_sgpr_count 2
		.amdhsa_user_sgpr_dispatch_ptr 0
		.amdhsa_user_sgpr_queue_ptr 0
		.amdhsa_user_sgpr_kernarg_segment_ptr 1
		.amdhsa_user_sgpr_dispatch_id 0
		.amdhsa_user_sgpr_kernarg_preload_length 0
		.amdhsa_user_sgpr_kernarg_preload_offset 0
		.amdhsa_user_sgpr_private_segment_size 0
		.amdhsa_wavefront_size32 1
		.amdhsa_uses_dynamic_stack 0
		.amdhsa_enable_private_segment 0
		.amdhsa_system_sgpr_workgroup_id_x 1
		.amdhsa_system_sgpr_workgroup_id_y 0
		.amdhsa_system_sgpr_workgroup_id_z 0
		.amdhsa_system_sgpr_workgroup_info 0
		.amdhsa_system_vgpr_workitem_id 0
		.amdhsa_next_free_vgpr 1
		.amdhsa_next_free_sgpr 1
		.amdhsa_named_barrier_count 0
		.amdhsa_reserve_vcc 0
		.amdhsa_float_round_mode_32 0
		.amdhsa_float_round_mode_16_64 0
		.amdhsa_float_denorm_mode_32 3
		.amdhsa_float_denorm_mode_16_64 3
		.amdhsa_fp16_overflow 0
		.amdhsa_memory_ordered 1
		.amdhsa_forward_progress 1
		.amdhsa_inst_pref_size 0
		.amdhsa_round_robin_scheduling 0
		.amdhsa_exception_fp_ieee_invalid_op 0
		.amdhsa_exception_fp_denorm_src 0
		.amdhsa_exception_fp_ieee_div_zero 0
		.amdhsa_exception_fp_ieee_overflow 0
		.amdhsa_exception_fp_ieee_underflow 0
		.amdhsa_exception_fp_ieee_inexact 0
		.amdhsa_exception_int_div_zero 0
	.end_amdhsa_kernel
	.section	.text._ZN7rocprim17ROCPRIM_400000_NS6detail17trampoline_kernelINS0_14default_configENS1_35radix_sort_onesweep_config_selectorI12hip_bfloat16NS0_10empty_typeEEEZZNS1_29radix_sort_onesweep_iterationIS3_Lb1EPKS5_PS5_PS6_SC_mNS0_19identity_decomposerENS1_16block_id_wrapperIjLb1EEEEE10hipError_tT1_PNSt15iterator_traitsISH_E10value_typeET2_T3_PNSI_ISN_E10value_typeET4_T5_PSS_ST_PNS1_23onesweep_lookback_stateEbbT6_jjT7_P12ihipStream_tbENKUlT_T0_SH_SM_E_clISB_SB_SC_SC_EEDaS10_S11_SH_SM_EUlS10_E_NS1_11comp_targetILNS1_3genE3ELNS1_11target_archE908ELNS1_3gpuE7ELNS1_3repE0EEENS1_47radix_sort_onesweep_sort_config_static_selectorELNS0_4arch9wavefront6targetE0EEEvSH_,"axG",@progbits,_ZN7rocprim17ROCPRIM_400000_NS6detail17trampoline_kernelINS0_14default_configENS1_35radix_sort_onesweep_config_selectorI12hip_bfloat16NS0_10empty_typeEEEZZNS1_29radix_sort_onesweep_iterationIS3_Lb1EPKS5_PS5_PS6_SC_mNS0_19identity_decomposerENS1_16block_id_wrapperIjLb1EEEEE10hipError_tT1_PNSt15iterator_traitsISH_E10value_typeET2_T3_PNSI_ISN_E10value_typeET4_T5_PSS_ST_PNS1_23onesweep_lookback_stateEbbT6_jjT7_P12ihipStream_tbENKUlT_T0_SH_SM_E_clISB_SB_SC_SC_EEDaS10_S11_SH_SM_EUlS10_E_NS1_11comp_targetILNS1_3genE3ELNS1_11target_archE908ELNS1_3gpuE7ELNS1_3repE0EEENS1_47radix_sort_onesweep_sort_config_static_selectorELNS0_4arch9wavefront6targetE0EEEvSH_,comdat
.Lfunc_end1978:
	.size	_ZN7rocprim17ROCPRIM_400000_NS6detail17trampoline_kernelINS0_14default_configENS1_35radix_sort_onesweep_config_selectorI12hip_bfloat16NS0_10empty_typeEEEZZNS1_29radix_sort_onesweep_iterationIS3_Lb1EPKS5_PS5_PS6_SC_mNS0_19identity_decomposerENS1_16block_id_wrapperIjLb1EEEEE10hipError_tT1_PNSt15iterator_traitsISH_E10value_typeET2_T3_PNSI_ISN_E10value_typeET4_T5_PSS_ST_PNS1_23onesweep_lookback_stateEbbT6_jjT7_P12ihipStream_tbENKUlT_T0_SH_SM_E_clISB_SB_SC_SC_EEDaS10_S11_SH_SM_EUlS10_E_NS1_11comp_targetILNS1_3genE3ELNS1_11target_archE908ELNS1_3gpuE7ELNS1_3repE0EEENS1_47radix_sort_onesweep_sort_config_static_selectorELNS0_4arch9wavefront6targetE0EEEvSH_, .Lfunc_end1978-_ZN7rocprim17ROCPRIM_400000_NS6detail17trampoline_kernelINS0_14default_configENS1_35radix_sort_onesweep_config_selectorI12hip_bfloat16NS0_10empty_typeEEEZZNS1_29radix_sort_onesweep_iterationIS3_Lb1EPKS5_PS5_PS6_SC_mNS0_19identity_decomposerENS1_16block_id_wrapperIjLb1EEEEE10hipError_tT1_PNSt15iterator_traitsISH_E10value_typeET2_T3_PNSI_ISN_E10value_typeET4_T5_PSS_ST_PNS1_23onesweep_lookback_stateEbbT6_jjT7_P12ihipStream_tbENKUlT_T0_SH_SM_E_clISB_SB_SC_SC_EEDaS10_S11_SH_SM_EUlS10_E_NS1_11comp_targetILNS1_3genE3ELNS1_11target_archE908ELNS1_3gpuE7ELNS1_3repE0EEENS1_47radix_sort_onesweep_sort_config_static_selectorELNS0_4arch9wavefront6targetE0EEEvSH_
                                        ; -- End function
	.set _ZN7rocprim17ROCPRIM_400000_NS6detail17trampoline_kernelINS0_14default_configENS1_35radix_sort_onesweep_config_selectorI12hip_bfloat16NS0_10empty_typeEEEZZNS1_29radix_sort_onesweep_iterationIS3_Lb1EPKS5_PS5_PS6_SC_mNS0_19identity_decomposerENS1_16block_id_wrapperIjLb1EEEEE10hipError_tT1_PNSt15iterator_traitsISH_E10value_typeET2_T3_PNSI_ISN_E10value_typeET4_T5_PSS_ST_PNS1_23onesweep_lookback_stateEbbT6_jjT7_P12ihipStream_tbENKUlT_T0_SH_SM_E_clISB_SB_SC_SC_EEDaS10_S11_SH_SM_EUlS10_E_NS1_11comp_targetILNS1_3genE3ELNS1_11target_archE908ELNS1_3gpuE7ELNS1_3repE0EEENS1_47radix_sort_onesweep_sort_config_static_selectorELNS0_4arch9wavefront6targetE0EEEvSH_.num_vgpr, 0
	.set _ZN7rocprim17ROCPRIM_400000_NS6detail17trampoline_kernelINS0_14default_configENS1_35radix_sort_onesweep_config_selectorI12hip_bfloat16NS0_10empty_typeEEEZZNS1_29radix_sort_onesweep_iterationIS3_Lb1EPKS5_PS5_PS6_SC_mNS0_19identity_decomposerENS1_16block_id_wrapperIjLb1EEEEE10hipError_tT1_PNSt15iterator_traitsISH_E10value_typeET2_T3_PNSI_ISN_E10value_typeET4_T5_PSS_ST_PNS1_23onesweep_lookback_stateEbbT6_jjT7_P12ihipStream_tbENKUlT_T0_SH_SM_E_clISB_SB_SC_SC_EEDaS10_S11_SH_SM_EUlS10_E_NS1_11comp_targetILNS1_3genE3ELNS1_11target_archE908ELNS1_3gpuE7ELNS1_3repE0EEENS1_47radix_sort_onesweep_sort_config_static_selectorELNS0_4arch9wavefront6targetE0EEEvSH_.num_agpr, 0
	.set _ZN7rocprim17ROCPRIM_400000_NS6detail17trampoline_kernelINS0_14default_configENS1_35radix_sort_onesweep_config_selectorI12hip_bfloat16NS0_10empty_typeEEEZZNS1_29radix_sort_onesweep_iterationIS3_Lb1EPKS5_PS5_PS6_SC_mNS0_19identity_decomposerENS1_16block_id_wrapperIjLb1EEEEE10hipError_tT1_PNSt15iterator_traitsISH_E10value_typeET2_T3_PNSI_ISN_E10value_typeET4_T5_PSS_ST_PNS1_23onesweep_lookback_stateEbbT6_jjT7_P12ihipStream_tbENKUlT_T0_SH_SM_E_clISB_SB_SC_SC_EEDaS10_S11_SH_SM_EUlS10_E_NS1_11comp_targetILNS1_3genE3ELNS1_11target_archE908ELNS1_3gpuE7ELNS1_3repE0EEENS1_47radix_sort_onesweep_sort_config_static_selectorELNS0_4arch9wavefront6targetE0EEEvSH_.numbered_sgpr, 0
	.set _ZN7rocprim17ROCPRIM_400000_NS6detail17trampoline_kernelINS0_14default_configENS1_35radix_sort_onesweep_config_selectorI12hip_bfloat16NS0_10empty_typeEEEZZNS1_29radix_sort_onesweep_iterationIS3_Lb1EPKS5_PS5_PS6_SC_mNS0_19identity_decomposerENS1_16block_id_wrapperIjLb1EEEEE10hipError_tT1_PNSt15iterator_traitsISH_E10value_typeET2_T3_PNSI_ISN_E10value_typeET4_T5_PSS_ST_PNS1_23onesweep_lookback_stateEbbT6_jjT7_P12ihipStream_tbENKUlT_T0_SH_SM_E_clISB_SB_SC_SC_EEDaS10_S11_SH_SM_EUlS10_E_NS1_11comp_targetILNS1_3genE3ELNS1_11target_archE908ELNS1_3gpuE7ELNS1_3repE0EEENS1_47radix_sort_onesweep_sort_config_static_selectorELNS0_4arch9wavefront6targetE0EEEvSH_.num_named_barrier, 0
	.set _ZN7rocprim17ROCPRIM_400000_NS6detail17trampoline_kernelINS0_14default_configENS1_35radix_sort_onesweep_config_selectorI12hip_bfloat16NS0_10empty_typeEEEZZNS1_29radix_sort_onesweep_iterationIS3_Lb1EPKS5_PS5_PS6_SC_mNS0_19identity_decomposerENS1_16block_id_wrapperIjLb1EEEEE10hipError_tT1_PNSt15iterator_traitsISH_E10value_typeET2_T3_PNSI_ISN_E10value_typeET4_T5_PSS_ST_PNS1_23onesweep_lookback_stateEbbT6_jjT7_P12ihipStream_tbENKUlT_T0_SH_SM_E_clISB_SB_SC_SC_EEDaS10_S11_SH_SM_EUlS10_E_NS1_11comp_targetILNS1_3genE3ELNS1_11target_archE908ELNS1_3gpuE7ELNS1_3repE0EEENS1_47radix_sort_onesweep_sort_config_static_selectorELNS0_4arch9wavefront6targetE0EEEvSH_.private_seg_size, 0
	.set _ZN7rocprim17ROCPRIM_400000_NS6detail17trampoline_kernelINS0_14default_configENS1_35radix_sort_onesweep_config_selectorI12hip_bfloat16NS0_10empty_typeEEEZZNS1_29radix_sort_onesweep_iterationIS3_Lb1EPKS5_PS5_PS6_SC_mNS0_19identity_decomposerENS1_16block_id_wrapperIjLb1EEEEE10hipError_tT1_PNSt15iterator_traitsISH_E10value_typeET2_T3_PNSI_ISN_E10value_typeET4_T5_PSS_ST_PNS1_23onesweep_lookback_stateEbbT6_jjT7_P12ihipStream_tbENKUlT_T0_SH_SM_E_clISB_SB_SC_SC_EEDaS10_S11_SH_SM_EUlS10_E_NS1_11comp_targetILNS1_3genE3ELNS1_11target_archE908ELNS1_3gpuE7ELNS1_3repE0EEENS1_47radix_sort_onesweep_sort_config_static_selectorELNS0_4arch9wavefront6targetE0EEEvSH_.uses_vcc, 0
	.set _ZN7rocprim17ROCPRIM_400000_NS6detail17trampoline_kernelINS0_14default_configENS1_35radix_sort_onesweep_config_selectorI12hip_bfloat16NS0_10empty_typeEEEZZNS1_29radix_sort_onesweep_iterationIS3_Lb1EPKS5_PS5_PS6_SC_mNS0_19identity_decomposerENS1_16block_id_wrapperIjLb1EEEEE10hipError_tT1_PNSt15iterator_traitsISH_E10value_typeET2_T3_PNSI_ISN_E10value_typeET4_T5_PSS_ST_PNS1_23onesweep_lookback_stateEbbT6_jjT7_P12ihipStream_tbENKUlT_T0_SH_SM_E_clISB_SB_SC_SC_EEDaS10_S11_SH_SM_EUlS10_E_NS1_11comp_targetILNS1_3genE3ELNS1_11target_archE908ELNS1_3gpuE7ELNS1_3repE0EEENS1_47radix_sort_onesweep_sort_config_static_selectorELNS0_4arch9wavefront6targetE0EEEvSH_.uses_flat_scratch, 0
	.set _ZN7rocprim17ROCPRIM_400000_NS6detail17trampoline_kernelINS0_14default_configENS1_35radix_sort_onesweep_config_selectorI12hip_bfloat16NS0_10empty_typeEEEZZNS1_29radix_sort_onesweep_iterationIS3_Lb1EPKS5_PS5_PS6_SC_mNS0_19identity_decomposerENS1_16block_id_wrapperIjLb1EEEEE10hipError_tT1_PNSt15iterator_traitsISH_E10value_typeET2_T3_PNSI_ISN_E10value_typeET4_T5_PSS_ST_PNS1_23onesweep_lookback_stateEbbT6_jjT7_P12ihipStream_tbENKUlT_T0_SH_SM_E_clISB_SB_SC_SC_EEDaS10_S11_SH_SM_EUlS10_E_NS1_11comp_targetILNS1_3genE3ELNS1_11target_archE908ELNS1_3gpuE7ELNS1_3repE0EEENS1_47radix_sort_onesweep_sort_config_static_selectorELNS0_4arch9wavefront6targetE0EEEvSH_.has_dyn_sized_stack, 0
	.set _ZN7rocprim17ROCPRIM_400000_NS6detail17trampoline_kernelINS0_14default_configENS1_35radix_sort_onesweep_config_selectorI12hip_bfloat16NS0_10empty_typeEEEZZNS1_29radix_sort_onesweep_iterationIS3_Lb1EPKS5_PS5_PS6_SC_mNS0_19identity_decomposerENS1_16block_id_wrapperIjLb1EEEEE10hipError_tT1_PNSt15iterator_traitsISH_E10value_typeET2_T3_PNSI_ISN_E10value_typeET4_T5_PSS_ST_PNS1_23onesweep_lookback_stateEbbT6_jjT7_P12ihipStream_tbENKUlT_T0_SH_SM_E_clISB_SB_SC_SC_EEDaS10_S11_SH_SM_EUlS10_E_NS1_11comp_targetILNS1_3genE3ELNS1_11target_archE908ELNS1_3gpuE7ELNS1_3repE0EEENS1_47radix_sort_onesweep_sort_config_static_selectorELNS0_4arch9wavefront6targetE0EEEvSH_.has_recursion, 0
	.set _ZN7rocprim17ROCPRIM_400000_NS6detail17trampoline_kernelINS0_14default_configENS1_35radix_sort_onesweep_config_selectorI12hip_bfloat16NS0_10empty_typeEEEZZNS1_29radix_sort_onesweep_iterationIS3_Lb1EPKS5_PS5_PS6_SC_mNS0_19identity_decomposerENS1_16block_id_wrapperIjLb1EEEEE10hipError_tT1_PNSt15iterator_traitsISH_E10value_typeET2_T3_PNSI_ISN_E10value_typeET4_T5_PSS_ST_PNS1_23onesweep_lookback_stateEbbT6_jjT7_P12ihipStream_tbENKUlT_T0_SH_SM_E_clISB_SB_SC_SC_EEDaS10_S11_SH_SM_EUlS10_E_NS1_11comp_targetILNS1_3genE3ELNS1_11target_archE908ELNS1_3gpuE7ELNS1_3repE0EEENS1_47radix_sort_onesweep_sort_config_static_selectorELNS0_4arch9wavefront6targetE0EEEvSH_.has_indirect_call, 0
	.section	.AMDGPU.csdata,"",@progbits
; Kernel info:
; codeLenInByte = 0
; TotalNumSgprs: 0
; NumVgprs: 0
; ScratchSize: 0
; MemoryBound: 0
; FloatMode: 240
; IeeeMode: 1
; LDSByteSize: 0 bytes/workgroup (compile time only)
; SGPRBlocks: 0
; VGPRBlocks: 0
; NumSGPRsForWavesPerEU: 1
; NumVGPRsForWavesPerEU: 1
; NamedBarCnt: 0
; Occupancy: 16
; WaveLimiterHint : 0
; COMPUTE_PGM_RSRC2:SCRATCH_EN: 0
; COMPUTE_PGM_RSRC2:USER_SGPR: 2
; COMPUTE_PGM_RSRC2:TRAP_HANDLER: 0
; COMPUTE_PGM_RSRC2:TGID_X_EN: 1
; COMPUTE_PGM_RSRC2:TGID_Y_EN: 0
; COMPUTE_PGM_RSRC2:TGID_Z_EN: 0
; COMPUTE_PGM_RSRC2:TIDIG_COMP_CNT: 0
	.section	.text._ZN7rocprim17ROCPRIM_400000_NS6detail17trampoline_kernelINS0_14default_configENS1_35radix_sort_onesweep_config_selectorI12hip_bfloat16NS0_10empty_typeEEEZZNS1_29radix_sort_onesweep_iterationIS3_Lb1EPKS5_PS5_PS6_SC_mNS0_19identity_decomposerENS1_16block_id_wrapperIjLb1EEEEE10hipError_tT1_PNSt15iterator_traitsISH_E10value_typeET2_T3_PNSI_ISN_E10value_typeET4_T5_PSS_ST_PNS1_23onesweep_lookback_stateEbbT6_jjT7_P12ihipStream_tbENKUlT_T0_SH_SM_E_clISB_SB_SC_SC_EEDaS10_S11_SH_SM_EUlS10_E_NS1_11comp_targetILNS1_3genE10ELNS1_11target_archE1201ELNS1_3gpuE5ELNS1_3repE0EEENS1_47radix_sort_onesweep_sort_config_static_selectorELNS0_4arch9wavefront6targetE0EEEvSH_,"axG",@progbits,_ZN7rocprim17ROCPRIM_400000_NS6detail17trampoline_kernelINS0_14default_configENS1_35radix_sort_onesweep_config_selectorI12hip_bfloat16NS0_10empty_typeEEEZZNS1_29radix_sort_onesweep_iterationIS3_Lb1EPKS5_PS5_PS6_SC_mNS0_19identity_decomposerENS1_16block_id_wrapperIjLb1EEEEE10hipError_tT1_PNSt15iterator_traitsISH_E10value_typeET2_T3_PNSI_ISN_E10value_typeET4_T5_PSS_ST_PNS1_23onesweep_lookback_stateEbbT6_jjT7_P12ihipStream_tbENKUlT_T0_SH_SM_E_clISB_SB_SC_SC_EEDaS10_S11_SH_SM_EUlS10_E_NS1_11comp_targetILNS1_3genE10ELNS1_11target_archE1201ELNS1_3gpuE5ELNS1_3repE0EEENS1_47radix_sort_onesweep_sort_config_static_selectorELNS0_4arch9wavefront6targetE0EEEvSH_,comdat
	.protected	_ZN7rocprim17ROCPRIM_400000_NS6detail17trampoline_kernelINS0_14default_configENS1_35radix_sort_onesweep_config_selectorI12hip_bfloat16NS0_10empty_typeEEEZZNS1_29radix_sort_onesweep_iterationIS3_Lb1EPKS5_PS5_PS6_SC_mNS0_19identity_decomposerENS1_16block_id_wrapperIjLb1EEEEE10hipError_tT1_PNSt15iterator_traitsISH_E10value_typeET2_T3_PNSI_ISN_E10value_typeET4_T5_PSS_ST_PNS1_23onesweep_lookback_stateEbbT6_jjT7_P12ihipStream_tbENKUlT_T0_SH_SM_E_clISB_SB_SC_SC_EEDaS10_S11_SH_SM_EUlS10_E_NS1_11comp_targetILNS1_3genE10ELNS1_11target_archE1201ELNS1_3gpuE5ELNS1_3repE0EEENS1_47radix_sort_onesweep_sort_config_static_selectorELNS0_4arch9wavefront6targetE0EEEvSH_ ; -- Begin function _ZN7rocprim17ROCPRIM_400000_NS6detail17trampoline_kernelINS0_14default_configENS1_35radix_sort_onesweep_config_selectorI12hip_bfloat16NS0_10empty_typeEEEZZNS1_29radix_sort_onesweep_iterationIS3_Lb1EPKS5_PS5_PS6_SC_mNS0_19identity_decomposerENS1_16block_id_wrapperIjLb1EEEEE10hipError_tT1_PNSt15iterator_traitsISH_E10value_typeET2_T3_PNSI_ISN_E10value_typeET4_T5_PSS_ST_PNS1_23onesweep_lookback_stateEbbT6_jjT7_P12ihipStream_tbENKUlT_T0_SH_SM_E_clISB_SB_SC_SC_EEDaS10_S11_SH_SM_EUlS10_E_NS1_11comp_targetILNS1_3genE10ELNS1_11target_archE1201ELNS1_3gpuE5ELNS1_3repE0EEENS1_47radix_sort_onesweep_sort_config_static_selectorELNS0_4arch9wavefront6targetE0EEEvSH_
	.globl	_ZN7rocprim17ROCPRIM_400000_NS6detail17trampoline_kernelINS0_14default_configENS1_35radix_sort_onesweep_config_selectorI12hip_bfloat16NS0_10empty_typeEEEZZNS1_29radix_sort_onesweep_iterationIS3_Lb1EPKS5_PS5_PS6_SC_mNS0_19identity_decomposerENS1_16block_id_wrapperIjLb1EEEEE10hipError_tT1_PNSt15iterator_traitsISH_E10value_typeET2_T3_PNSI_ISN_E10value_typeET4_T5_PSS_ST_PNS1_23onesweep_lookback_stateEbbT6_jjT7_P12ihipStream_tbENKUlT_T0_SH_SM_E_clISB_SB_SC_SC_EEDaS10_S11_SH_SM_EUlS10_E_NS1_11comp_targetILNS1_3genE10ELNS1_11target_archE1201ELNS1_3gpuE5ELNS1_3repE0EEENS1_47radix_sort_onesweep_sort_config_static_selectorELNS0_4arch9wavefront6targetE0EEEvSH_
	.p2align	8
	.type	_ZN7rocprim17ROCPRIM_400000_NS6detail17trampoline_kernelINS0_14default_configENS1_35radix_sort_onesweep_config_selectorI12hip_bfloat16NS0_10empty_typeEEEZZNS1_29radix_sort_onesweep_iterationIS3_Lb1EPKS5_PS5_PS6_SC_mNS0_19identity_decomposerENS1_16block_id_wrapperIjLb1EEEEE10hipError_tT1_PNSt15iterator_traitsISH_E10value_typeET2_T3_PNSI_ISN_E10value_typeET4_T5_PSS_ST_PNS1_23onesweep_lookback_stateEbbT6_jjT7_P12ihipStream_tbENKUlT_T0_SH_SM_E_clISB_SB_SC_SC_EEDaS10_S11_SH_SM_EUlS10_E_NS1_11comp_targetILNS1_3genE10ELNS1_11target_archE1201ELNS1_3gpuE5ELNS1_3repE0EEENS1_47radix_sort_onesweep_sort_config_static_selectorELNS0_4arch9wavefront6targetE0EEEvSH_,@function
_ZN7rocprim17ROCPRIM_400000_NS6detail17trampoline_kernelINS0_14default_configENS1_35radix_sort_onesweep_config_selectorI12hip_bfloat16NS0_10empty_typeEEEZZNS1_29radix_sort_onesweep_iterationIS3_Lb1EPKS5_PS5_PS6_SC_mNS0_19identity_decomposerENS1_16block_id_wrapperIjLb1EEEEE10hipError_tT1_PNSt15iterator_traitsISH_E10value_typeET2_T3_PNSI_ISN_E10value_typeET4_T5_PSS_ST_PNS1_23onesweep_lookback_stateEbbT6_jjT7_P12ihipStream_tbENKUlT_T0_SH_SM_E_clISB_SB_SC_SC_EEDaS10_S11_SH_SM_EUlS10_E_NS1_11comp_targetILNS1_3genE10ELNS1_11target_archE1201ELNS1_3gpuE5ELNS1_3repE0EEENS1_47radix_sort_onesweep_sort_config_static_selectorELNS0_4arch9wavefront6targetE0EEEvSH_: ; @_ZN7rocprim17ROCPRIM_400000_NS6detail17trampoline_kernelINS0_14default_configENS1_35radix_sort_onesweep_config_selectorI12hip_bfloat16NS0_10empty_typeEEEZZNS1_29radix_sort_onesweep_iterationIS3_Lb1EPKS5_PS5_PS6_SC_mNS0_19identity_decomposerENS1_16block_id_wrapperIjLb1EEEEE10hipError_tT1_PNSt15iterator_traitsISH_E10value_typeET2_T3_PNSI_ISN_E10value_typeET4_T5_PSS_ST_PNS1_23onesweep_lookback_stateEbbT6_jjT7_P12ihipStream_tbENKUlT_T0_SH_SM_E_clISB_SB_SC_SC_EEDaS10_S11_SH_SM_EUlS10_E_NS1_11comp_targetILNS1_3genE10ELNS1_11target_archE1201ELNS1_3gpuE5ELNS1_3repE0EEENS1_47radix_sort_onesweep_sort_config_static_selectorELNS0_4arch9wavefront6targetE0EEEvSH_
; %bb.0:
	.section	.rodata,"a",@progbits
	.p2align	6, 0x0
	.amdhsa_kernel _ZN7rocprim17ROCPRIM_400000_NS6detail17trampoline_kernelINS0_14default_configENS1_35radix_sort_onesweep_config_selectorI12hip_bfloat16NS0_10empty_typeEEEZZNS1_29radix_sort_onesweep_iterationIS3_Lb1EPKS5_PS5_PS6_SC_mNS0_19identity_decomposerENS1_16block_id_wrapperIjLb1EEEEE10hipError_tT1_PNSt15iterator_traitsISH_E10value_typeET2_T3_PNSI_ISN_E10value_typeET4_T5_PSS_ST_PNS1_23onesweep_lookback_stateEbbT6_jjT7_P12ihipStream_tbENKUlT_T0_SH_SM_E_clISB_SB_SC_SC_EEDaS10_S11_SH_SM_EUlS10_E_NS1_11comp_targetILNS1_3genE10ELNS1_11target_archE1201ELNS1_3gpuE5ELNS1_3repE0EEENS1_47radix_sort_onesweep_sort_config_static_selectorELNS0_4arch9wavefront6targetE0EEEvSH_
		.amdhsa_group_segment_fixed_size 0
		.amdhsa_private_segment_fixed_size 0
		.amdhsa_kernarg_size 88
		.amdhsa_user_sgpr_count 2
		.amdhsa_user_sgpr_dispatch_ptr 0
		.amdhsa_user_sgpr_queue_ptr 0
		.amdhsa_user_sgpr_kernarg_segment_ptr 1
		.amdhsa_user_sgpr_dispatch_id 0
		.amdhsa_user_sgpr_kernarg_preload_length 0
		.amdhsa_user_sgpr_kernarg_preload_offset 0
		.amdhsa_user_sgpr_private_segment_size 0
		.amdhsa_wavefront_size32 1
		.amdhsa_uses_dynamic_stack 0
		.amdhsa_enable_private_segment 0
		.amdhsa_system_sgpr_workgroup_id_x 1
		.amdhsa_system_sgpr_workgroup_id_y 0
		.amdhsa_system_sgpr_workgroup_id_z 0
		.amdhsa_system_sgpr_workgroup_info 0
		.amdhsa_system_vgpr_workitem_id 0
		.amdhsa_next_free_vgpr 1
		.amdhsa_next_free_sgpr 1
		.amdhsa_named_barrier_count 0
		.amdhsa_reserve_vcc 0
		.amdhsa_float_round_mode_32 0
		.amdhsa_float_round_mode_16_64 0
		.amdhsa_float_denorm_mode_32 3
		.amdhsa_float_denorm_mode_16_64 3
		.amdhsa_fp16_overflow 0
		.amdhsa_memory_ordered 1
		.amdhsa_forward_progress 1
		.amdhsa_inst_pref_size 0
		.amdhsa_round_robin_scheduling 0
		.amdhsa_exception_fp_ieee_invalid_op 0
		.amdhsa_exception_fp_denorm_src 0
		.amdhsa_exception_fp_ieee_div_zero 0
		.amdhsa_exception_fp_ieee_overflow 0
		.amdhsa_exception_fp_ieee_underflow 0
		.amdhsa_exception_fp_ieee_inexact 0
		.amdhsa_exception_int_div_zero 0
	.end_amdhsa_kernel
	.section	.text._ZN7rocprim17ROCPRIM_400000_NS6detail17trampoline_kernelINS0_14default_configENS1_35radix_sort_onesweep_config_selectorI12hip_bfloat16NS0_10empty_typeEEEZZNS1_29radix_sort_onesweep_iterationIS3_Lb1EPKS5_PS5_PS6_SC_mNS0_19identity_decomposerENS1_16block_id_wrapperIjLb1EEEEE10hipError_tT1_PNSt15iterator_traitsISH_E10value_typeET2_T3_PNSI_ISN_E10value_typeET4_T5_PSS_ST_PNS1_23onesweep_lookback_stateEbbT6_jjT7_P12ihipStream_tbENKUlT_T0_SH_SM_E_clISB_SB_SC_SC_EEDaS10_S11_SH_SM_EUlS10_E_NS1_11comp_targetILNS1_3genE10ELNS1_11target_archE1201ELNS1_3gpuE5ELNS1_3repE0EEENS1_47radix_sort_onesweep_sort_config_static_selectorELNS0_4arch9wavefront6targetE0EEEvSH_,"axG",@progbits,_ZN7rocprim17ROCPRIM_400000_NS6detail17trampoline_kernelINS0_14default_configENS1_35radix_sort_onesweep_config_selectorI12hip_bfloat16NS0_10empty_typeEEEZZNS1_29radix_sort_onesweep_iterationIS3_Lb1EPKS5_PS5_PS6_SC_mNS0_19identity_decomposerENS1_16block_id_wrapperIjLb1EEEEE10hipError_tT1_PNSt15iterator_traitsISH_E10value_typeET2_T3_PNSI_ISN_E10value_typeET4_T5_PSS_ST_PNS1_23onesweep_lookback_stateEbbT6_jjT7_P12ihipStream_tbENKUlT_T0_SH_SM_E_clISB_SB_SC_SC_EEDaS10_S11_SH_SM_EUlS10_E_NS1_11comp_targetILNS1_3genE10ELNS1_11target_archE1201ELNS1_3gpuE5ELNS1_3repE0EEENS1_47radix_sort_onesweep_sort_config_static_selectorELNS0_4arch9wavefront6targetE0EEEvSH_,comdat
.Lfunc_end1979:
	.size	_ZN7rocprim17ROCPRIM_400000_NS6detail17trampoline_kernelINS0_14default_configENS1_35radix_sort_onesweep_config_selectorI12hip_bfloat16NS0_10empty_typeEEEZZNS1_29radix_sort_onesweep_iterationIS3_Lb1EPKS5_PS5_PS6_SC_mNS0_19identity_decomposerENS1_16block_id_wrapperIjLb1EEEEE10hipError_tT1_PNSt15iterator_traitsISH_E10value_typeET2_T3_PNSI_ISN_E10value_typeET4_T5_PSS_ST_PNS1_23onesweep_lookback_stateEbbT6_jjT7_P12ihipStream_tbENKUlT_T0_SH_SM_E_clISB_SB_SC_SC_EEDaS10_S11_SH_SM_EUlS10_E_NS1_11comp_targetILNS1_3genE10ELNS1_11target_archE1201ELNS1_3gpuE5ELNS1_3repE0EEENS1_47radix_sort_onesweep_sort_config_static_selectorELNS0_4arch9wavefront6targetE0EEEvSH_, .Lfunc_end1979-_ZN7rocprim17ROCPRIM_400000_NS6detail17trampoline_kernelINS0_14default_configENS1_35radix_sort_onesweep_config_selectorI12hip_bfloat16NS0_10empty_typeEEEZZNS1_29radix_sort_onesweep_iterationIS3_Lb1EPKS5_PS5_PS6_SC_mNS0_19identity_decomposerENS1_16block_id_wrapperIjLb1EEEEE10hipError_tT1_PNSt15iterator_traitsISH_E10value_typeET2_T3_PNSI_ISN_E10value_typeET4_T5_PSS_ST_PNS1_23onesweep_lookback_stateEbbT6_jjT7_P12ihipStream_tbENKUlT_T0_SH_SM_E_clISB_SB_SC_SC_EEDaS10_S11_SH_SM_EUlS10_E_NS1_11comp_targetILNS1_3genE10ELNS1_11target_archE1201ELNS1_3gpuE5ELNS1_3repE0EEENS1_47radix_sort_onesweep_sort_config_static_selectorELNS0_4arch9wavefront6targetE0EEEvSH_
                                        ; -- End function
	.set _ZN7rocprim17ROCPRIM_400000_NS6detail17trampoline_kernelINS0_14default_configENS1_35radix_sort_onesweep_config_selectorI12hip_bfloat16NS0_10empty_typeEEEZZNS1_29radix_sort_onesweep_iterationIS3_Lb1EPKS5_PS5_PS6_SC_mNS0_19identity_decomposerENS1_16block_id_wrapperIjLb1EEEEE10hipError_tT1_PNSt15iterator_traitsISH_E10value_typeET2_T3_PNSI_ISN_E10value_typeET4_T5_PSS_ST_PNS1_23onesweep_lookback_stateEbbT6_jjT7_P12ihipStream_tbENKUlT_T0_SH_SM_E_clISB_SB_SC_SC_EEDaS10_S11_SH_SM_EUlS10_E_NS1_11comp_targetILNS1_3genE10ELNS1_11target_archE1201ELNS1_3gpuE5ELNS1_3repE0EEENS1_47radix_sort_onesweep_sort_config_static_selectorELNS0_4arch9wavefront6targetE0EEEvSH_.num_vgpr, 0
	.set _ZN7rocprim17ROCPRIM_400000_NS6detail17trampoline_kernelINS0_14default_configENS1_35radix_sort_onesweep_config_selectorI12hip_bfloat16NS0_10empty_typeEEEZZNS1_29radix_sort_onesweep_iterationIS3_Lb1EPKS5_PS5_PS6_SC_mNS0_19identity_decomposerENS1_16block_id_wrapperIjLb1EEEEE10hipError_tT1_PNSt15iterator_traitsISH_E10value_typeET2_T3_PNSI_ISN_E10value_typeET4_T5_PSS_ST_PNS1_23onesweep_lookback_stateEbbT6_jjT7_P12ihipStream_tbENKUlT_T0_SH_SM_E_clISB_SB_SC_SC_EEDaS10_S11_SH_SM_EUlS10_E_NS1_11comp_targetILNS1_3genE10ELNS1_11target_archE1201ELNS1_3gpuE5ELNS1_3repE0EEENS1_47radix_sort_onesweep_sort_config_static_selectorELNS0_4arch9wavefront6targetE0EEEvSH_.num_agpr, 0
	.set _ZN7rocprim17ROCPRIM_400000_NS6detail17trampoline_kernelINS0_14default_configENS1_35radix_sort_onesweep_config_selectorI12hip_bfloat16NS0_10empty_typeEEEZZNS1_29radix_sort_onesweep_iterationIS3_Lb1EPKS5_PS5_PS6_SC_mNS0_19identity_decomposerENS1_16block_id_wrapperIjLb1EEEEE10hipError_tT1_PNSt15iterator_traitsISH_E10value_typeET2_T3_PNSI_ISN_E10value_typeET4_T5_PSS_ST_PNS1_23onesweep_lookback_stateEbbT6_jjT7_P12ihipStream_tbENKUlT_T0_SH_SM_E_clISB_SB_SC_SC_EEDaS10_S11_SH_SM_EUlS10_E_NS1_11comp_targetILNS1_3genE10ELNS1_11target_archE1201ELNS1_3gpuE5ELNS1_3repE0EEENS1_47radix_sort_onesweep_sort_config_static_selectorELNS0_4arch9wavefront6targetE0EEEvSH_.numbered_sgpr, 0
	.set _ZN7rocprim17ROCPRIM_400000_NS6detail17trampoline_kernelINS0_14default_configENS1_35radix_sort_onesweep_config_selectorI12hip_bfloat16NS0_10empty_typeEEEZZNS1_29radix_sort_onesweep_iterationIS3_Lb1EPKS5_PS5_PS6_SC_mNS0_19identity_decomposerENS1_16block_id_wrapperIjLb1EEEEE10hipError_tT1_PNSt15iterator_traitsISH_E10value_typeET2_T3_PNSI_ISN_E10value_typeET4_T5_PSS_ST_PNS1_23onesweep_lookback_stateEbbT6_jjT7_P12ihipStream_tbENKUlT_T0_SH_SM_E_clISB_SB_SC_SC_EEDaS10_S11_SH_SM_EUlS10_E_NS1_11comp_targetILNS1_3genE10ELNS1_11target_archE1201ELNS1_3gpuE5ELNS1_3repE0EEENS1_47radix_sort_onesweep_sort_config_static_selectorELNS0_4arch9wavefront6targetE0EEEvSH_.num_named_barrier, 0
	.set _ZN7rocprim17ROCPRIM_400000_NS6detail17trampoline_kernelINS0_14default_configENS1_35radix_sort_onesweep_config_selectorI12hip_bfloat16NS0_10empty_typeEEEZZNS1_29radix_sort_onesweep_iterationIS3_Lb1EPKS5_PS5_PS6_SC_mNS0_19identity_decomposerENS1_16block_id_wrapperIjLb1EEEEE10hipError_tT1_PNSt15iterator_traitsISH_E10value_typeET2_T3_PNSI_ISN_E10value_typeET4_T5_PSS_ST_PNS1_23onesweep_lookback_stateEbbT6_jjT7_P12ihipStream_tbENKUlT_T0_SH_SM_E_clISB_SB_SC_SC_EEDaS10_S11_SH_SM_EUlS10_E_NS1_11comp_targetILNS1_3genE10ELNS1_11target_archE1201ELNS1_3gpuE5ELNS1_3repE0EEENS1_47radix_sort_onesweep_sort_config_static_selectorELNS0_4arch9wavefront6targetE0EEEvSH_.private_seg_size, 0
	.set _ZN7rocprim17ROCPRIM_400000_NS6detail17trampoline_kernelINS0_14default_configENS1_35radix_sort_onesweep_config_selectorI12hip_bfloat16NS0_10empty_typeEEEZZNS1_29radix_sort_onesweep_iterationIS3_Lb1EPKS5_PS5_PS6_SC_mNS0_19identity_decomposerENS1_16block_id_wrapperIjLb1EEEEE10hipError_tT1_PNSt15iterator_traitsISH_E10value_typeET2_T3_PNSI_ISN_E10value_typeET4_T5_PSS_ST_PNS1_23onesweep_lookback_stateEbbT6_jjT7_P12ihipStream_tbENKUlT_T0_SH_SM_E_clISB_SB_SC_SC_EEDaS10_S11_SH_SM_EUlS10_E_NS1_11comp_targetILNS1_3genE10ELNS1_11target_archE1201ELNS1_3gpuE5ELNS1_3repE0EEENS1_47radix_sort_onesweep_sort_config_static_selectorELNS0_4arch9wavefront6targetE0EEEvSH_.uses_vcc, 0
	.set _ZN7rocprim17ROCPRIM_400000_NS6detail17trampoline_kernelINS0_14default_configENS1_35radix_sort_onesweep_config_selectorI12hip_bfloat16NS0_10empty_typeEEEZZNS1_29radix_sort_onesweep_iterationIS3_Lb1EPKS5_PS5_PS6_SC_mNS0_19identity_decomposerENS1_16block_id_wrapperIjLb1EEEEE10hipError_tT1_PNSt15iterator_traitsISH_E10value_typeET2_T3_PNSI_ISN_E10value_typeET4_T5_PSS_ST_PNS1_23onesweep_lookback_stateEbbT6_jjT7_P12ihipStream_tbENKUlT_T0_SH_SM_E_clISB_SB_SC_SC_EEDaS10_S11_SH_SM_EUlS10_E_NS1_11comp_targetILNS1_3genE10ELNS1_11target_archE1201ELNS1_3gpuE5ELNS1_3repE0EEENS1_47radix_sort_onesweep_sort_config_static_selectorELNS0_4arch9wavefront6targetE0EEEvSH_.uses_flat_scratch, 0
	.set _ZN7rocprim17ROCPRIM_400000_NS6detail17trampoline_kernelINS0_14default_configENS1_35radix_sort_onesweep_config_selectorI12hip_bfloat16NS0_10empty_typeEEEZZNS1_29radix_sort_onesweep_iterationIS3_Lb1EPKS5_PS5_PS6_SC_mNS0_19identity_decomposerENS1_16block_id_wrapperIjLb1EEEEE10hipError_tT1_PNSt15iterator_traitsISH_E10value_typeET2_T3_PNSI_ISN_E10value_typeET4_T5_PSS_ST_PNS1_23onesweep_lookback_stateEbbT6_jjT7_P12ihipStream_tbENKUlT_T0_SH_SM_E_clISB_SB_SC_SC_EEDaS10_S11_SH_SM_EUlS10_E_NS1_11comp_targetILNS1_3genE10ELNS1_11target_archE1201ELNS1_3gpuE5ELNS1_3repE0EEENS1_47radix_sort_onesweep_sort_config_static_selectorELNS0_4arch9wavefront6targetE0EEEvSH_.has_dyn_sized_stack, 0
	.set _ZN7rocprim17ROCPRIM_400000_NS6detail17trampoline_kernelINS0_14default_configENS1_35radix_sort_onesweep_config_selectorI12hip_bfloat16NS0_10empty_typeEEEZZNS1_29radix_sort_onesweep_iterationIS3_Lb1EPKS5_PS5_PS6_SC_mNS0_19identity_decomposerENS1_16block_id_wrapperIjLb1EEEEE10hipError_tT1_PNSt15iterator_traitsISH_E10value_typeET2_T3_PNSI_ISN_E10value_typeET4_T5_PSS_ST_PNS1_23onesweep_lookback_stateEbbT6_jjT7_P12ihipStream_tbENKUlT_T0_SH_SM_E_clISB_SB_SC_SC_EEDaS10_S11_SH_SM_EUlS10_E_NS1_11comp_targetILNS1_3genE10ELNS1_11target_archE1201ELNS1_3gpuE5ELNS1_3repE0EEENS1_47radix_sort_onesweep_sort_config_static_selectorELNS0_4arch9wavefront6targetE0EEEvSH_.has_recursion, 0
	.set _ZN7rocprim17ROCPRIM_400000_NS6detail17trampoline_kernelINS0_14default_configENS1_35radix_sort_onesweep_config_selectorI12hip_bfloat16NS0_10empty_typeEEEZZNS1_29radix_sort_onesweep_iterationIS3_Lb1EPKS5_PS5_PS6_SC_mNS0_19identity_decomposerENS1_16block_id_wrapperIjLb1EEEEE10hipError_tT1_PNSt15iterator_traitsISH_E10value_typeET2_T3_PNSI_ISN_E10value_typeET4_T5_PSS_ST_PNS1_23onesweep_lookback_stateEbbT6_jjT7_P12ihipStream_tbENKUlT_T0_SH_SM_E_clISB_SB_SC_SC_EEDaS10_S11_SH_SM_EUlS10_E_NS1_11comp_targetILNS1_3genE10ELNS1_11target_archE1201ELNS1_3gpuE5ELNS1_3repE0EEENS1_47radix_sort_onesweep_sort_config_static_selectorELNS0_4arch9wavefront6targetE0EEEvSH_.has_indirect_call, 0
	.section	.AMDGPU.csdata,"",@progbits
; Kernel info:
; codeLenInByte = 0
; TotalNumSgprs: 0
; NumVgprs: 0
; ScratchSize: 0
; MemoryBound: 0
; FloatMode: 240
; IeeeMode: 1
; LDSByteSize: 0 bytes/workgroup (compile time only)
; SGPRBlocks: 0
; VGPRBlocks: 0
; NumSGPRsForWavesPerEU: 1
; NumVGPRsForWavesPerEU: 1
; NamedBarCnt: 0
; Occupancy: 16
; WaveLimiterHint : 0
; COMPUTE_PGM_RSRC2:SCRATCH_EN: 0
; COMPUTE_PGM_RSRC2:USER_SGPR: 2
; COMPUTE_PGM_RSRC2:TRAP_HANDLER: 0
; COMPUTE_PGM_RSRC2:TGID_X_EN: 1
; COMPUTE_PGM_RSRC2:TGID_Y_EN: 0
; COMPUTE_PGM_RSRC2:TGID_Z_EN: 0
; COMPUTE_PGM_RSRC2:TIDIG_COMP_CNT: 0
	.section	.text._ZN7rocprim17ROCPRIM_400000_NS6detail17trampoline_kernelINS0_14default_configENS1_35radix_sort_onesweep_config_selectorI12hip_bfloat16NS0_10empty_typeEEEZZNS1_29radix_sort_onesweep_iterationIS3_Lb1EPKS5_PS5_PS6_SC_mNS0_19identity_decomposerENS1_16block_id_wrapperIjLb1EEEEE10hipError_tT1_PNSt15iterator_traitsISH_E10value_typeET2_T3_PNSI_ISN_E10value_typeET4_T5_PSS_ST_PNS1_23onesweep_lookback_stateEbbT6_jjT7_P12ihipStream_tbENKUlT_T0_SH_SM_E_clISB_SB_SC_SC_EEDaS10_S11_SH_SM_EUlS10_E_NS1_11comp_targetILNS1_3genE9ELNS1_11target_archE1100ELNS1_3gpuE3ELNS1_3repE0EEENS1_47radix_sort_onesweep_sort_config_static_selectorELNS0_4arch9wavefront6targetE0EEEvSH_,"axG",@progbits,_ZN7rocprim17ROCPRIM_400000_NS6detail17trampoline_kernelINS0_14default_configENS1_35radix_sort_onesweep_config_selectorI12hip_bfloat16NS0_10empty_typeEEEZZNS1_29radix_sort_onesweep_iterationIS3_Lb1EPKS5_PS5_PS6_SC_mNS0_19identity_decomposerENS1_16block_id_wrapperIjLb1EEEEE10hipError_tT1_PNSt15iterator_traitsISH_E10value_typeET2_T3_PNSI_ISN_E10value_typeET4_T5_PSS_ST_PNS1_23onesweep_lookback_stateEbbT6_jjT7_P12ihipStream_tbENKUlT_T0_SH_SM_E_clISB_SB_SC_SC_EEDaS10_S11_SH_SM_EUlS10_E_NS1_11comp_targetILNS1_3genE9ELNS1_11target_archE1100ELNS1_3gpuE3ELNS1_3repE0EEENS1_47radix_sort_onesweep_sort_config_static_selectorELNS0_4arch9wavefront6targetE0EEEvSH_,comdat
	.protected	_ZN7rocprim17ROCPRIM_400000_NS6detail17trampoline_kernelINS0_14default_configENS1_35radix_sort_onesweep_config_selectorI12hip_bfloat16NS0_10empty_typeEEEZZNS1_29radix_sort_onesweep_iterationIS3_Lb1EPKS5_PS5_PS6_SC_mNS0_19identity_decomposerENS1_16block_id_wrapperIjLb1EEEEE10hipError_tT1_PNSt15iterator_traitsISH_E10value_typeET2_T3_PNSI_ISN_E10value_typeET4_T5_PSS_ST_PNS1_23onesweep_lookback_stateEbbT6_jjT7_P12ihipStream_tbENKUlT_T0_SH_SM_E_clISB_SB_SC_SC_EEDaS10_S11_SH_SM_EUlS10_E_NS1_11comp_targetILNS1_3genE9ELNS1_11target_archE1100ELNS1_3gpuE3ELNS1_3repE0EEENS1_47radix_sort_onesweep_sort_config_static_selectorELNS0_4arch9wavefront6targetE0EEEvSH_ ; -- Begin function _ZN7rocprim17ROCPRIM_400000_NS6detail17trampoline_kernelINS0_14default_configENS1_35radix_sort_onesweep_config_selectorI12hip_bfloat16NS0_10empty_typeEEEZZNS1_29radix_sort_onesweep_iterationIS3_Lb1EPKS5_PS5_PS6_SC_mNS0_19identity_decomposerENS1_16block_id_wrapperIjLb1EEEEE10hipError_tT1_PNSt15iterator_traitsISH_E10value_typeET2_T3_PNSI_ISN_E10value_typeET4_T5_PSS_ST_PNS1_23onesweep_lookback_stateEbbT6_jjT7_P12ihipStream_tbENKUlT_T0_SH_SM_E_clISB_SB_SC_SC_EEDaS10_S11_SH_SM_EUlS10_E_NS1_11comp_targetILNS1_3genE9ELNS1_11target_archE1100ELNS1_3gpuE3ELNS1_3repE0EEENS1_47radix_sort_onesweep_sort_config_static_selectorELNS0_4arch9wavefront6targetE0EEEvSH_
	.globl	_ZN7rocprim17ROCPRIM_400000_NS6detail17trampoline_kernelINS0_14default_configENS1_35radix_sort_onesweep_config_selectorI12hip_bfloat16NS0_10empty_typeEEEZZNS1_29radix_sort_onesweep_iterationIS3_Lb1EPKS5_PS5_PS6_SC_mNS0_19identity_decomposerENS1_16block_id_wrapperIjLb1EEEEE10hipError_tT1_PNSt15iterator_traitsISH_E10value_typeET2_T3_PNSI_ISN_E10value_typeET4_T5_PSS_ST_PNS1_23onesweep_lookback_stateEbbT6_jjT7_P12ihipStream_tbENKUlT_T0_SH_SM_E_clISB_SB_SC_SC_EEDaS10_S11_SH_SM_EUlS10_E_NS1_11comp_targetILNS1_3genE9ELNS1_11target_archE1100ELNS1_3gpuE3ELNS1_3repE0EEENS1_47radix_sort_onesweep_sort_config_static_selectorELNS0_4arch9wavefront6targetE0EEEvSH_
	.p2align	8
	.type	_ZN7rocprim17ROCPRIM_400000_NS6detail17trampoline_kernelINS0_14default_configENS1_35radix_sort_onesweep_config_selectorI12hip_bfloat16NS0_10empty_typeEEEZZNS1_29radix_sort_onesweep_iterationIS3_Lb1EPKS5_PS5_PS6_SC_mNS0_19identity_decomposerENS1_16block_id_wrapperIjLb1EEEEE10hipError_tT1_PNSt15iterator_traitsISH_E10value_typeET2_T3_PNSI_ISN_E10value_typeET4_T5_PSS_ST_PNS1_23onesweep_lookback_stateEbbT6_jjT7_P12ihipStream_tbENKUlT_T0_SH_SM_E_clISB_SB_SC_SC_EEDaS10_S11_SH_SM_EUlS10_E_NS1_11comp_targetILNS1_3genE9ELNS1_11target_archE1100ELNS1_3gpuE3ELNS1_3repE0EEENS1_47radix_sort_onesweep_sort_config_static_selectorELNS0_4arch9wavefront6targetE0EEEvSH_,@function
_ZN7rocprim17ROCPRIM_400000_NS6detail17trampoline_kernelINS0_14default_configENS1_35radix_sort_onesweep_config_selectorI12hip_bfloat16NS0_10empty_typeEEEZZNS1_29radix_sort_onesweep_iterationIS3_Lb1EPKS5_PS5_PS6_SC_mNS0_19identity_decomposerENS1_16block_id_wrapperIjLb1EEEEE10hipError_tT1_PNSt15iterator_traitsISH_E10value_typeET2_T3_PNSI_ISN_E10value_typeET4_T5_PSS_ST_PNS1_23onesweep_lookback_stateEbbT6_jjT7_P12ihipStream_tbENKUlT_T0_SH_SM_E_clISB_SB_SC_SC_EEDaS10_S11_SH_SM_EUlS10_E_NS1_11comp_targetILNS1_3genE9ELNS1_11target_archE1100ELNS1_3gpuE3ELNS1_3repE0EEENS1_47radix_sort_onesweep_sort_config_static_selectorELNS0_4arch9wavefront6targetE0EEEvSH_: ; @_ZN7rocprim17ROCPRIM_400000_NS6detail17trampoline_kernelINS0_14default_configENS1_35radix_sort_onesweep_config_selectorI12hip_bfloat16NS0_10empty_typeEEEZZNS1_29radix_sort_onesweep_iterationIS3_Lb1EPKS5_PS5_PS6_SC_mNS0_19identity_decomposerENS1_16block_id_wrapperIjLb1EEEEE10hipError_tT1_PNSt15iterator_traitsISH_E10value_typeET2_T3_PNSI_ISN_E10value_typeET4_T5_PSS_ST_PNS1_23onesweep_lookback_stateEbbT6_jjT7_P12ihipStream_tbENKUlT_T0_SH_SM_E_clISB_SB_SC_SC_EEDaS10_S11_SH_SM_EUlS10_E_NS1_11comp_targetILNS1_3genE9ELNS1_11target_archE1100ELNS1_3gpuE3ELNS1_3repE0EEENS1_47radix_sort_onesweep_sort_config_static_selectorELNS0_4arch9wavefront6targetE0EEEvSH_
; %bb.0:
	.section	.rodata,"a",@progbits
	.p2align	6, 0x0
	.amdhsa_kernel _ZN7rocprim17ROCPRIM_400000_NS6detail17trampoline_kernelINS0_14default_configENS1_35radix_sort_onesweep_config_selectorI12hip_bfloat16NS0_10empty_typeEEEZZNS1_29radix_sort_onesweep_iterationIS3_Lb1EPKS5_PS5_PS6_SC_mNS0_19identity_decomposerENS1_16block_id_wrapperIjLb1EEEEE10hipError_tT1_PNSt15iterator_traitsISH_E10value_typeET2_T3_PNSI_ISN_E10value_typeET4_T5_PSS_ST_PNS1_23onesweep_lookback_stateEbbT6_jjT7_P12ihipStream_tbENKUlT_T0_SH_SM_E_clISB_SB_SC_SC_EEDaS10_S11_SH_SM_EUlS10_E_NS1_11comp_targetILNS1_3genE9ELNS1_11target_archE1100ELNS1_3gpuE3ELNS1_3repE0EEENS1_47radix_sort_onesweep_sort_config_static_selectorELNS0_4arch9wavefront6targetE0EEEvSH_
		.amdhsa_group_segment_fixed_size 0
		.amdhsa_private_segment_fixed_size 0
		.amdhsa_kernarg_size 88
		.amdhsa_user_sgpr_count 2
		.amdhsa_user_sgpr_dispatch_ptr 0
		.amdhsa_user_sgpr_queue_ptr 0
		.amdhsa_user_sgpr_kernarg_segment_ptr 1
		.amdhsa_user_sgpr_dispatch_id 0
		.amdhsa_user_sgpr_kernarg_preload_length 0
		.amdhsa_user_sgpr_kernarg_preload_offset 0
		.amdhsa_user_sgpr_private_segment_size 0
		.amdhsa_wavefront_size32 1
		.amdhsa_uses_dynamic_stack 0
		.amdhsa_enable_private_segment 0
		.amdhsa_system_sgpr_workgroup_id_x 1
		.amdhsa_system_sgpr_workgroup_id_y 0
		.amdhsa_system_sgpr_workgroup_id_z 0
		.amdhsa_system_sgpr_workgroup_info 0
		.amdhsa_system_vgpr_workitem_id 0
		.amdhsa_next_free_vgpr 1
		.amdhsa_next_free_sgpr 1
		.amdhsa_named_barrier_count 0
		.amdhsa_reserve_vcc 0
		.amdhsa_float_round_mode_32 0
		.amdhsa_float_round_mode_16_64 0
		.amdhsa_float_denorm_mode_32 3
		.amdhsa_float_denorm_mode_16_64 3
		.amdhsa_fp16_overflow 0
		.amdhsa_memory_ordered 1
		.amdhsa_forward_progress 1
		.amdhsa_inst_pref_size 0
		.amdhsa_round_robin_scheduling 0
		.amdhsa_exception_fp_ieee_invalid_op 0
		.amdhsa_exception_fp_denorm_src 0
		.amdhsa_exception_fp_ieee_div_zero 0
		.amdhsa_exception_fp_ieee_overflow 0
		.amdhsa_exception_fp_ieee_underflow 0
		.amdhsa_exception_fp_ieee_inexact 0
		.amdhsa_exception_int_div_zero 0
	.end_amdhsa_kernel
	.section	.text._ZN7rocprim17ROCPRIM_400000_NS6detail17trampoline_kernelINS0_14default_configENS1_35radix_sort_onesweep_config_selectorI12hip_bfloat16NS0_10empty_typeEEEZZNS1_29radix_sort_onesweep_iterationIS3_Lb1EPKS5_PS5_PS6_SC_mNS0_19identity_decomposerENS1_16block_id_wrapperIjLb1EEEEE10hipError_tT1_PNSt15iterator_traitsISH_E10value_typeET2_T3_PNSI_ISN_E10value_typeET4_T5_PSS_ST_PNS1_23onesweep_lookback_stateEbbT6_jjT7_P12ihipStream_tbENKUlT_T0_SH_SM_E_clISB_SB_SC_SC_EEDaS10_S11_SH_SM_EUlS10_E_NS1_11comp_targetILNS1_3genE9ELNS1_11target_archE1100ELNS1_3gpuE3ELNS1_3repE0EEENS1_47radix_sort_onesweep_sort_config_static_selectorELNS0_4arch9wavefront6targetE0EEEvSH_,"axG",@progbits,_ZN7rocprim17ROCPRIM_400000_NS6detail17trampoline_kernelINS0_14default_configENS1_35radix_sort_onesweep_config_selectorI12hip_bfloat16NS0_10empty_typeEEEZZNS1_29radix_sort_onesweep_iterationIS3_Lb1EPKS5_PS5_PS6_SC_mNS0_19identity_decomposerENS1_16block_id_wrapperIjLb1EEEEE10hipError_tT1_PNSt15iterator_traitsISH_E10value_typeET2_T3_PNSI_ISN_E10value_typeET4_T5_PSS_ST_PNS1_23onesweep_lookback_stateEbbT6_jjT7_P12ihipStream_tbENKUlT_T0_SH_SM_E_clISB_SB_SC_SC_EEDaS10_S11_SH_SM_EUlS10_E_NS1_11comp_targetILNS1_3genE9ELNS1_11target_archE1100ELNS1_3gpuE3ELNS1_3repE0EEENS1_47radix_sort_onesweep_sort_config_static_selectorELNS0_4arch9wavefront6targetE0EEEvSH_,comdat
.Lfunc_end1980:
	.size	_ZN7rocprim17ROCPRIM_400000_NS6detail17trampoline_kernelINS0_14default_configENS1_35radix_sort_onesweep_config_selectorI12hip_bfloat16NS0_10empty_typeEEEZZNS1_29radix_sort_onesweep_iterationIS3_Lb1EPKS5_PS5_PS6_SC_mNS0_19identity_decomposerENS1_16block_id_wrapperIjLb1EEEEE10hipError_tT1_PNSt15iterator_traitsISH_E10value_typeET2_T3_PNSI_ISN_E10value_typeET4_T5_PSS_ST_PNS1_23onesweep_lookback_stateEbbT6_jjT7_P12ihipStream_tbENKUlT_T0_SH_SM_E_clISB_SB_SC_SC_EEDaS10_S11_SH_SM_EUlS10_E_NS1_11comp_targetILNS1_3genE9ELNS1_11target_archE1100ELNS1_3gpuE3ELNS1_3repE0EEENS1_47radix_sort_onesweep_sort_config_static_selectorELNS0_4arch9wavefront6targetE0EEEvSH_, .Lfunc_end1980-_ZN7rocprim17ROCPRIM_400000_NS6detail17trampoline_kernelINS0_14default_configENS1_35radix_sort_onesweep_config_selectorI12hip_bfloat16NS0_10empty_typeEEEZZNS1_29radix_sort_onesweep_iterationIS3_Lb1EPKS5_PS5_PS6_SC_mNS0_19identity_decomposerENS1_16block_id_wrapperIjLb1EEEEE10hipError_tT1_PNSt15iterator_traitsISH_E10value_typeET2_T3_PNSI_ISN_E10value_typeET4_T5_PSS_ST_PNS1_23onesweep_lookback_stateEbbT6_jjT7_P12ihipStream_tbENKUlT_T0_SH_SM_E_clISB_SB_SC_SC_EEDaS10_S11_SH_SM_EUlS10_E_NS1_11comp_targetILNS1_3genE9ELNS1_11target_archE1100ELNS1_3gpuE3ELNS1_3repE0EEENS1_47radix_sort_onesweep_sort_config_static_selectorELNS0_4arch9wavefront6targetE0EEEvSH_
                                        ; -- End function
	.set _ZN7rocprim17ROCPRIM_400000_NS6detail17trampoline_kernelINS0_14default_configENS1_35radix_sort_onesweep_config_selectorI12hip_bfloat16NS0_10empty_typeEEEZZNS1_29radix_sort_onesweep_iterationIS3_Lb1EPKS5_PS5_PS6_SC_mNS0_19identity_decomposerENS1_16block_id_wrapperIjLb1EEEEE10hipError_tT1_PNSt15iterator_traitsISH_E10value_typeET2_T3_PNSI_ISN_E10value_typeET4_T5_PSS_ST_PNS1_23onesweep_lookback_stateEbbT6_jjT7_P12ihipStream_tbENKUlT_T0_SH_SM_E_clISB_SB_SC_SC_EEDaS10_S11_SH_SM_EUlS10_E_NS1_11comp_targetILNS1_3genE9ELNS1_11target_archE1100ELNS1_3gpuE3ELNS1_3repE0EEENS1_47radix_sort_onesweep_sort_config_static_selectorELNS0_4arch9wavefront6targetE0EEEvSH_.num_vgpr, 0
	.set _ZN7rocprim17ROCPRIM_400000_NS6detail17trampoline_kernelINS0_14default_configENS1_35radix_sort_onesweep_config_selectorI12hip_bfloat16NS0_10empty_typeEEEZZNS1_29radix_sort_onesweep_iterationIS3_Lb1EPKS5_PS5_PS6_SC_mNS0_19identity_decomposerENS1_16block_id_wrapperIjLb1EEEEE10hipError_tT1_PNSt15iterator_traitsISH_E10value_typeET2_T3_PNSI_ISN_E10value_typeET4_T5_PSS_ST_PNS1_23onesweep_lookback_stateEbbT6_jjT7_P12ihipStream_tbENKUlT_T0_SH_SM_E_clISB_SB_SC_SC_EEDaS10_S11_SH_SM_EUlS10_E_NS1_11comp_targetILNS1_3genE9ELNS1_11target_archE1100ELNS1_3gpuE3ELNS1_3repE0EEENS1_47radix_sort_onesweep_sort_config_static_selectorELNS0_4arch9wavefront6targetE0EEEvSH_.num_agpr, 0
	.set _ZN7rocprim17ROCPRIM_400000_NS6detail17trampoline_kernelINS0_14default_configENS1_35radix_sort_onesweep_config_selectorI12hip_bfloat16NS0_10empty_typeEEEZZNS1_29radix_sort_onesweep_iterationIS3_Lb1EPKS5_PS5_PS6_SC_mNS0_19identity_decomposerENS1_16block_id_wrapperIjLb1EEEEE10hipError_tT1_PNSt15iterator_traitsISH_E10value_typeET2_T3_PNSI_ISN_E10value_typeET4_T5_PSS_ST_PNS1_23onesweep_lookback_stateEbbT6_jjT7_P12ihipStream_tbENKUlT_T0_SH_SM_E_clISB_SB_SC_SC_EEDaS10_S11_SH_SM_EUlS10_E_NS1_11comp_targetILNS1_3genE9ELNS1_11target_archE1100ELNS1_3gpuE3ELNS1_3repE0EEENS1_47radix_sort_onesweep_sort_config_static_selectorELNS0_4arch9wavefront6targetE0EEEvSH_.numbered_sgpr, 0
	.set _ZN7rocprim17ROCPRIM_400000_NS6detail17trampoline_kernelINS0_14default_configENS1_35radix_sort_onesweep_config_selectorI12hip_bfloat16NS0_10empty_typeEEEZZNS1_29radix_sort_onesweep_iterationIS3_Lb1EPKS5_PS5_PS6_SC_mNS0_19identity_decomposerENS1_16block_id_wrapperIjLb1EEEEE10hipError_tT1_PNSt15iterator_traitsISH_E10value_typeET2_T3_PNSI_ISN_E10value_typeET4_T5_PSS_ST_PNS1_23onesweep_lookback_stateEbbT6_jjT7_P12ihipStream_tbENKUlT_T0_SH_SM_E_clISB_SB_SC_SC_EEDaS10_S11_SH_SM_EUlS10_E_NS1_11comp_targetILNS1_3genE9ELNS1_11target_archE1100ELNS1_3gpuE3ELNS1_3repE0EEENS1_47radix_sort_onesweep_sort_config_static_selectorELNS0_4arch9wavefront6targetE0EEEvSH_.num_named_barrier, 0
	.set _ZN7rocprim17ROCPRIM_400000_NS6detail17trampoline_kernelINS0_14default_configENS1_35radix_sort_onesweep_config_selectorI12hip_bfloat16NS0_10empty_typeEEEZZNS1_29radix_sort_onesweep_iterationIS3_Lb1EPKS5_PS5_PS6_SC_mNS0_19identity_decomposerENS1_16block_id_wrapperIjLb1EEEEE10hipError_tT1_PNSt15iterator_traitsISH_E10value_typeET2_T3_PNSI_ISN_E10value_typeET4_T5_PSS_ST_PNS1_23onesweep_lookback_stateEbbT6_jjT7_P12ihipStream_tbENKUlT_T0_SH_SM_E_clISB_SB_SC_SC_EEDaS10_S11_SH_SM_EUlS10_E_NS1_11comp_targetILNS1_3genE9ELNS1_11target_archE1100ELNS1_3gpuE3ELNS1_3repE0EEENS1_47radix_sort_onesweep_sort_config_static_selectorELNS0_4arch9wavefront6targetE0EEEvSH_.private_seg_size, 0
	.set _ZN7rocprim17ROCPRIM_400000_NS6detail17trampoline_kernelINS0_14default_configENS1_35radix_sort_onesweep_config_selectorI12hip_bfloat16NS0_10empty_typeEEEZZNS1_29radix_sort_onesweep_iterationIS3_Lb1EPKS5_PS5_PS6_SC_mNS0_19identity_decomposerENS1_16block_id_wrapperIjLb1EEEEE10hipError_tT1_PNSt15iterator_traitsISH_E10value_typeET2_T3_PNSI_ISN_E10value_typeET4_T5_PSS_ST_PNS1_23onesweep_lookback_stateEbbT6_jjT7_P12ihipStream_tbENKUlT_T0_SH_SM_E_clISB_SB_SC_SC_EEDaS10_S11_SH_SM_EUlS10_E_NS1_11comp_targetILNS1_3genE9ELNS1_11target_archE1100ELNS1_3gpuE3ELNS1_3repE0EEENS1_47radix_sort_onesweep_sort_config_static_selectorELNS0_4arch9wavefront6targetE0EEEvSH_.uses_vcc, 0
	.set _ZN7rocprim17ROCPRIM_400000_NS6detail17trampoline_kernelINS0_14default_configENS1_35radix_sort_onesweep_config_selectorI12hip_bfloat16NS0_10empty_typeEEEZZNS1_29radix_sort_onesweep_iterationIS3_Lb1EPKS5_PS5_PS6_SC_mNS0_19identity_decomposerENS1_16block_id_wrapperIjLb1EEEEE10hipError_tT1_PNSt15iterator_traitsISH_E10value_typeET2_T3_PNSI_ISN_E10value_typeET4_T5_PSS_ST_PNS1_23onesweep_lookback_stateEbbT6_jjT7_P12ihipStream_tbENKUlT_T0_SH_SM_E_clISB_SB_SC_SC_EEDaS10_S11_SH_SM_EUlS10_E_NS1_11comp_targetILNS1_3genE9ELNS1_11target_archE1100ELNS1_3gpuE3ELNS1_3repE0EEENS1_47radix_sort_onesweep_sort_config_static_selectorELNS0_4arch9wavefront6targetE0EEEvSH_.uses_flat_scratch, 0
	.set _ZN7rocprim17ROCPRIM_400000_NS6detail17trampoline_kernelINS0_14default_configENS1_35radix_sort_onesweep_config_selectorI12hip_bfloat16NS0_10empty_typeEEEZZNS1_29radix_sort_onesweep_iterationIS3_Lb1EPKS5_PS5_PS6_SC_mNS0_19identity_decomposerENS1_16block_id_wrapperIjLb1EEEEE10hipError_tT1_PNSt15iterator_traitsISH_E10value_typeET2_T3_PNSI_ISN_E10value_typeET4_T5_PSS_ST_PNS1_23onesweep_lookback_stateEbbT6_jjT7_P12ihipStream_tbENKUlT_T0_SH_SM_E_clISB_SB_SC_SC_EEDaS10_S11_SH_SM_EUlS10_E_NS1_11comp_targetILNS1_3genE9ELNS1_11target_archE1100ELNS1_3gpuE3ELNS1_3repE0EEENS1_47radix_sort_onesweep_sort_config_static_selectorELNS0_4arch9wavefront6targetE0EEEvSH_.has_dyn_sized_stack, 0
	.set _ZN7rocprim17ROCPRIM_400000_NS6detail17trampoline_kernelINS0_14default_configENS1_35radix_sort_onesweep_config_selectorI12hip_bfloat16NS0_10empty_typeEEEZZNS1_29radix_sort_onesweep_iterationIS3_Lb1EPKS5_PS5_PS6_SC_mNS0_19identity_decomposerENS1_16block_id_wrapperIjLb1EEEEE10hipError_tT1_PNSt15iterator_traitsISH_E10value_typeET2_T3_PNSI_ISN_E10value_typeET4_T5_PSS_ST_PNS1_23onesweep_lookback_stateEbbT6_jjT7_P12ihipStream_tbENKUlT_T0_SH_SM_E_clISB_SB_SC_SC_EEDaS10_S11_SH_SM_EUlS10_E_NS1_11comp_targetILNS1_3genE9ELNS1_11target_archE1100ELNS1_3gpuE3ELNS1_3repE0EEENS1_47radix_sort_onesweep_sort_config_static_selectorELNS0_4arch9wavefront6targetE0EEEvSH_.has_recursion, 0
	.set _ZN7rocprim17ROCPRIM_400000_NS6detail17trampoline_kernelINS0_14default_configENS1_35radix_sort_onesweep_config_selectorI12hip_bfloat16NS0_10empty_typeEEEZZNS1_29radix_sort_onesweep_iterationIS3_Lb1EPKS5_PS5_PS6_SC_mNS0_19identity_decomposerENS1_16block_id_wrapperIjLb1EEEEE10hipError_tT1_PNSt15iterator_traitsISH_E10value_typeET2_T3_PNSI_ISN_E10value_typeET4_T5_PSS_ST_PNS1_23onesweep_lookback_stateEbbT6_jjT7_P12ihipStream_tbENKUlT_T0_SH_SM_E_clISB_SB_SC_SC_EEDaS10_S11_SH_SM_EUlS10_E_NS1_11comp_targetILNS1_3genE9ELNS1_11target_archE1100ELNS1_3gpuE3ELNS1_3repE0EEENS1_47radix_sort_onesweep_sort_config_static_selectorELNS0_4arch9wavefront6targetE0EEEvSH_.has_indirect_call, 0
	.section	.AMDGPU.csdata,"",@progbits
; Kernel info:
; codeLenInByte = 0
; TotalNumSgprs: 0
; NumVgprs: 0
; ScratchSize: 0
; MemoryBound: 0
; FloatMode: 240
; IeeeMode: 1
; LDSByteSize: 0 bytes/workgroup (compile time only)
; SGPRBlocks: 0
; VGPRBlocks: 0
; NumSGPRsForWavesPerEU: 1
; NumVGPRsForWavesPerEU: 1
; NamedBarCnt: 0
; Occupancy: 16
; WaveLimiterHint : 0
; COMPUTE_PGM_RSRC2:SCRATCH_EN: 0
; COMPUTE_PGM_RSRC2:USER_SGPR: 2
; COMPUTE_PGM_RSRC2:TRAP_HANDLER: 0
; COMPUTE_PGM_RSRC2:TGID_X_EN: 1
; COMPUTE_PGM_RSRC2:TGID_Y_EN: 0
; COMPUTE_PGM_RSRC2:TGID_Z_EN: 0
; COMPUTE_PGM_RSRC2:TIDIG_COMP_CNT: 0
	.section	.text._ZN7rocprim17ROCPRIM_400000_NS6detail17trampoline_kernelINS0_14default_configENS1_35radix_sort_onesweep_config_selectorI12hip_bfloat16NS0_10empty_typeEEEZZNS1_29radix_sort_onesweep_iterationIS3_Lb1EPKS5_PS5_PS6_SC_mNS0_19identity_decomposerENS1_16block_id_wrapperIjLb1EEEEE10hipError_tT1_PNSt15iterator_traitsISH_E10value_typeET2_T3_PNSI_ISN_E10value_typeET4_T5_PSS_ST_PNS1_23onesweep_lookback_stateEbbT6_jjT7_P12ihipStream_tbENKUlT_T0_SH_SM_E_clISB_SB_SC_SC_EEDaS10_S11_SH_SM_EUlS10_E_NS1_11comp_targetILNS1_3genE8ELNS1_11target_archE1030ELNS1_3gpuE2ELNS1_3repE0EEENS1_47radix_sort_onesweep_sort_config_static_selectorELNS0_4arch9wavefront6targetE0EEEvSH_,"axG",@progbits,_ZN7rocprim17ROCPRIM_400000_NS6detail17trampoline_kernelINS0_14default_configENS1_35radix_sort_onesweep_config_selectorI12hip_bfloat16NS0_10empty_typeEEEZZNS1_29radix_sort_onesweep_iterationIS3_Lb1EPKS5_PS5_PS6_SC_mNS0_19identity_decomposerENS1_16block_id_wrapperIjLb1EEEEE10hipError_tT1_PNSt15iterator_traitsISH_E10value_typeET2_T3_PNSI_ISN_E10value_typeET4_T5_PSS_ST_PNS1_23onesweep_lookback_stateEbbT6_jjT7_P12ihipStream_tbENKUlT_T0_SH_SM_E_clISB_SB_SC_SC_EEDaS10_S11_SH_SM_EUlS10_E_NS1_11comp_targetILNS1_3genE8ELNS1_11target_archE1030ELNS1_3gpuE2ELNS1_3repE0EEENS1_47radix_sort_onesweep_sort_config_static_selectorELNS0_4arch9wavefront6targetE0EEEvSH_,comdat
	.protected	_ZN7rocprim17ROCPRIM_400000_NS6detail17trampoline_kernelINS0_14default_configENS1_35radix_sort_onesweep_config_selectorI12hip_bfloat16NS0_10empty_typeEEEZZNS1_29radix_sort_onesweep_iterationIS3_Lb1EPKS5_PS5_PS6_SC_mNS0_19identity_decomposerENS1_16block_id_wrapperIjLb1EEEEE10hipError_tT1_PNSt15iterator_traitsISH_E10value_typeET2_T3_PNSI_ISN_E10value_typeET4_T5_PSS_ST_PNS1_23onesweep_lookback_stateEbbT6_jjT7_P12ihipStream_tbENKUlT_T0_SH_SM_E_clISB_SB_SC_SC_EEDaS10_S11_SH_SM_EUlS10_E_NS1_11comp_targetILNS1_3genE8ELNS1_11target_archE1030ELNS1_3gpuE2ELNS1_3repE0EEENS1_47radix_sort_onesweep_sort_config_static_selectorELNS0_4arch9wavefront6targetE0EEEvSH_ ; -- Begin function _ZN7rocprim17ROCPRIM_400000_NS6detail17trampoline_kernelINS0_14default_configENS1_35radix_sort_onesweep_config_selectorI12hip_bfloat16NS0_10empty_typeEEEZZNS1_29radix_sort_onesweep_iterationIS3_Lb1EPKS5_PS5_PS6_SC_mNS0_19identity_decomposerENS1_16block_id_wrapperIjLb1EEEEE10hipError_tT1_PNSt15iterator_traitsISH_E10value_typeET2_T3_PNSI_ISN_E10value_typeET4_T5_PSS_ST_PNS1_23onesweep_lookback_stateEbbT6_jjT7_P12ihipStream_tbENKUlT_T0_SH_SM_E_clISB_SB_SC_SC_EEDaS10_S11_SH_SM_EUlS10_E_NS1_11comp_targetILNS1_3genE8ELNS1_11target_archE1030ELNS1_3gpuE2ELNS1_3repE0EEENS1_47radix_sort_onesweep_sort_config_static_selectorELNS0_4arch9wavefront6targetE0EEEvSH_
	.globl	_ZN7rocprim17ROCPRIM_400000_NS6detail17trampoline_kernelINS0_14default_configENS1_35radix_sort_onesweep_config_selectorI12hip_bfloat16NS0_10empty_typeEEEZZNS1_29radix_sort_onesweep_iterationIS3_Lb1EPKS5_PS5_PS6_SC_mNS0_19identity_decomposerENS1_16block_id_wrapperIjLb1EEEEE10hipError_tT1_PNSt15iterator_traitsISH_E10value_typeET2_T3_PNSI_ISN_E10value_typeET4_T5_PSS_ST_PNS1_23onesweep_lookback_stateEbbT6_jjT7_P12ihipStream_tbENKUlT_T0_SH_SM_E_clISB_SB_SC_SC_EEDaS10_S11_SH_SM_EUlS10_E_NS1_11comp_targetILNS1_3genE8ELNS1_11target_archE1030ELNS1_3gpuE2ELNS1_3repE0EEENS1_47radix_sort_onesweep_sort_config_static_selectorELNS0_4arch9wavefront6targetE0EEEvSH_
	.p2align	8
	.type	_ZN7rocprim17ROCPRIM_400000_NS6detail17trampoline_kernelINS0_14default_configENS1_35radix_sort_onesweep_config_selectorI12hip_bfloat16NS0_10empty_typeEEEZZNS1_29radix_sort_onesweep_iterationIS3_Lb1EPKS5_PS5_PS6_SC_mNS0_19identity_decomposerENS1_16block_id_wrapperIjLb1EEEEE10hipError_tT1_PNSt15iterator_traitsISH_E10value_typeET2_T3_PNSI_ISN_E10value_typeET4_T5_PSS_ST_PNS1_23onesweep_lookback_stateEbbT6_jjT7_P12ihipStream_tbENKUlT_T0_SH_SM_E_clISB_SB_SC_SC_EEDaS10_S11_SH_SM_EUlS10_E_NS1_11comp_targetILNS1_3genE8ELNS1_11target_archE1030ELNS1_3gpuE2ELNS1_3repE0EEENS1_47radix_sort_onesweep_sort_config_static_selectorELNS0_4arch9wavefront6targetE0EEEvSH_,@function
_ZN7rocprim17ROCPRIM_400000_NS6detail17trampoline_kernelINS0_14default_configENS1_35radix_sort_onesweep_config_selectorI12hip_bfloat16NS0_10empty_typeEEEZZNS1_29radix_sort_onesweep_iterationIS3_Lb1EPKS5_PS5_PS6_SC_mNS0_19identity_decomposerENS1_16block_id_wrapperIjLb1EEEEE10hipError_tT1_PNSt15iterator_traitsISH_E10value_typeET2_T3_PNSI_ISN_E10value_typeET4_T5_PSS_ST_PNS1_23onesweep_lookback_stateEbbT6_jjT7_P12ihipStream_tbENKUlT_T0_SH_SM_E_clISB_SB_SC_SC_EEDaS10_S11_SH_SM_EUlS10_E_NS1_11comp_targetILNS1_3genE8ELNS1_11target_archE1030ELNS1_3gpuE2ELNS1_3repE0EEENS1_47radix_sort_onesweep_sort_config_static_selectorELNS0_4arch9wavefront6targetE0EEEvSH_: ; @_ZN7rocprim17ROCPRIM_400000_NS6detail17trampoline_kernelINS0_14default_configENS1_35radix_sort_onesweep_config_selectorI12hip_bfloat16NS0_10empty_typeEEEZZNS1_29radix_sort_onesweep_iterationIS3_Lb1EPKS5_PS5_PS6_SC_mNS0_19identity_decomposerENS1_16block_id_wrapperIjLb1EEEEE10hipError_tT1_PNSt15iterator_traitsISH_E10value_typeET2_T3_PNSI_ISN_E10value_typeET4_T5_PSS_ST_PNS1_23onesweep_lookback_stateEbbT6_jjT7_P12ihipStream_tbENKUlT_T0_SH_SM_E_clISB_SB_SC_SC_EEDaS10_S11_SH_SM_EUlS10_E_NS1_11comp_targetILNS1_3genE8ELNS1_11target_archE1030ELNS1_3gpuE2ELNS1_3repE0EEENS1_47radix_sort_onesweep_sort_config_static_selectorELNS0_4arch9wavefront6targetE0EEEvSH_
; %bb.0:
	.section	.rodata,"a",@progbits
	.p2align	6, 0x0
	.amdhsa_kernel _ZN7rocprim17ROCPRIM_400000_NS6detail17trampoline_kernelINS0_14default_configENS1_35radix_sort_onesweep_config_selectorI12hip_bfloat16NS0_10empty_typeEEEZZNS1_29radix_sort_onesweep_iterationIS3_Lb1EPKS5_PS5_PS6_SC_mNS0_19identity_decomposerENS1_16block_id_wrapperIjLb1EEEEE10hipError_tT1_PNSt15iterator_traitsISH_E10value_typeET2_T3_PNSI_ISN_E10value_typeET4_T5_PSS_ST_PNS1_23onesweep_lookback_stateEbbT6_jjT7_P12ihipStream_tbENKUlT_T0_SH_SM_E_clISB_SB_SC_SC_EEDaS10_S11_SH_SM_EUlS10_E_NS1_11comp_targetILNS1_3genE8ELNS1_11target_archE1030ELNS1_3gpuE2ELNS1_3repE0EEENS1_47radix_sort_onesweep_sort_config_static_selectorELNS0_4arch9wavefront6targetE0EEEvSH_
		.amdhsa_group_segment_fixed_size 0
		.amdhsa_private_segment_fixed_size 0
		.amdhsa_kernarg_size 88
		.amdhsa_user_sgpr_count 2
		.amdhsa_user_sgpr_dispatch_ptr 0
		.amdhsa_user_sgpr_queue_ptr 0
		.amdhsa_user_sgpr_kernarg_segment_ptr 1
		.amdhsa_user_sgpr_dispatch_id 0
		.amdhsa_user_sgpr_kernarg_preload_length 0
		.amdhsa_user_sgpr_kernarg_preload_offset 0
		.amdhsa_user_sgpr_private_segment_size 0
		.amdhsa_wavefront_size32 1
		.amdhsa_uses_dynamic_stack 0
		.amdhsa_enable_private_segment 0
		.amdhsa_system_sgpr_workgroup_id_x 1
		.amdhsa_system_sgpr_workgroup_id_y 0
		.amdhsa_system_sgpr_workgroup_id_z 0
		.amdhsa_system_sgpr_workgroup_info 0
		.amdhsa_system_vgpr_workitem_id 0
		.amdhsa_next_free_vgpr 1
		.amdhsa_next_free_sgpr 1
		.amdhsa_named_barrier_count 0
		.amdhsa_reserve_vcc 0
		.amdhsa_float_round_mode_32 0
		.amdhsa_float_round_mode_16_64 0
		.amdhsa_float_denorm_mode_32 3
		.amdhsa_float_denorm_mode_16_64 3
		.amdhsa_fp16_overflow 0
		.amdhsa_memory_ordered 1
		.amdhsa_forward_progress 1
		.amdhsa_inst_pref_size 0
		.amdhsa_round_robin_scheduling 0
		.amdhsa_exception_fp_ieee_invalid_op 0
		.amdhsa_exception_fp_denorm_src 0
		.amdhsa_exception_fp_ieee_div_zero 0
		.amdhsa_exception_fp_ieee_overflow 0
		.amdhsa_exception_fp_ieee_underflow 0
		.amdhsa_exception_fp_ieee_inexact 0
		.amdhsa_exception_int_div_zero 0
	.end_amdhsa_kernel
	.section	.text._ZN7rocprim17ROCPRIM_400000_NS6detail17trampoline_kernelINS0_14default_configENS1_35radix_sort_onesweep_config_selectorI12hip_bfloat16NS0_10empty_typeEEEZZNS1_29radix_sort_onesweep_iterationIS3_Lb1EPKS5_PS5_PS6_SC_mNS0_19identity_decomposerENS1_16block_id_wrapperIjLb1EEEEE10hipError_tT1_PNSt15iterator_traitsISH_E10value_typeET2_T3_PNSI_ISN_E10value_typeET4_T5_PSS_ST_PNS1_23onesweep_lookback_stateEbbT6_jjT7_P12ihipStream_tbENKUlT_T0_SH_SM_E_clISB_SB_SC_SC_EEDaS10_S11_SH_SM_EUlS10_E_NS1_11comp_targetILNS1_3genE8ELNS1_11target_archE1030ELNS1_3gpuE2ELNS1_3repE0EEENS1_47radix_sort_onesweep_sort_config_static_selectorELNS0_4arch9wavefront6targetE0EEEvSH_,"axG",@progbits,_ZN7rocprim17ROCPRIM_400000_NS6detail17trampoline_kernelINS0_14default_configENS1_35radix_sort_onesweep_config_selectorI12hip_bfloat16NS0_10empty_typeEEEZZNS1_29radix_sort_onesweep_iterationIS3_Lb1EPKS5_PS5_PS6_SC_mNS0_19identity_decomposerENS1_16block_id_wrapperIjLb1EEEEE10hipError_tT1_PNSt15iterator_traitsISH_E10value_typeET2_T3_PNSI_ISN_E10value_typeET4_T5_PSS_ST_PNS1_23onesweep_lookback_stateEbbT6_jjT7_P12ihipStream_tbENKUlT_T0_SH_SM_E_clISB_SB_SC_SC_EEDaS10_S11_SH_SM_EUlS10_E_NS1_11comp_targetILNS1_3genE8ELNS1_11target_archE1030ELNS1_3gpuE2ELNS1_3repE0EEENS1_47radix_sort_onesweep_sort_config_static_selectorELNS0_4arch9wavefront6targetE0EEEvSH_,comdat
.Lfunc_end1981:
	.size	_ZN7rocprim17ROCPRIM_400000_NS6detail17trampoline_kernelINS0_14default_configENS1_35radix_sort_onesweep_config_selectorI12hip_bfloat16NS0_10empty_typeEEEZZNS1_29radix_sort_onesweep_iterationIS3_Lb1EPKS5_PS5_PS6_SC_mNS0_19identity_decomposerENS1_16block_id_wrapperIjLb1EEEEE10hipError_tT1_PNSt15iterator_traitsISH_E10value_typeET2_T3_PNSI_ISN_E10value_typeET4_T5_PSS_ST_PNS1_23onesweep_lookback_stateEbbT6_jjT7_P12ihipStream_tbENKUlT_T0_SH_SM_E_clISB_SB_SC_SC_EEDaS10_S11_SH_SM_EUlS10_E_NS1_11comp_targetILNS1_3genE8ELNS1_11target_archE1030ELNS1_3gpuE2ELNS1_3repE0EEENS1_47radix_sort_onesweep_sort_config_static_selectorELNS0_4arch9wavefront6targetE0EEEvSH_, .Lfunc_end1981-_ZN7rocprim17ROCPRIM_400000_NS6detail17trampoline_kernelINS0_14default_configENS1_35radix_sort_onesweep_config_selectorI12hip_bfloat16NS0_10empty_typeEEEZZNS1_29radix_sort_onesweep_iterationIS3_Lb1EPKS5_PS5_PS6_SC_mNS0_19identity_decomposerENS1_16block_id_wrapperIjLb1EEEEE10hipError_tT1_PNSt15iterator_traitsISH_E10value_typeET2_T3_PNSI_ISN_E10value_typeET4_T5_PSS_ST_PNS1_23onesweep_lookback_stateEbbT6_jjT7_P12ihipStream_tbENKUlT_T0_SH_SM_E_clISB_SB_SC_SC_EEDaS10_S11_SH_SM_EUlS10_E_NS1_11comp_targetILNS1_3genE8ELNS1_11target_archE1030ELNS1_3gpuE2ELNS1_3repE0EEENS1_47radix_sort_onesweep_sort_config_static_selectorELNS0_4arch9wavefront6targetE0EEEvSH_
                                        ; -- End function
	.set _ZN7rocprim17ROCPRIM_400000_NS6detail17trampoline_kernelINS0_14default_configENS1_35radix_sort_onesweep_config_selectorI12hip_bfloat16NS0_10empty_typeEEEZZNS1_29radix_sort_onesweep_iterationIS3_Lb1EPKS5_PS5_PS6_SC_mNS0_19identity_decomposerENS1_16block_id_wrapperIjLb1EEEEE10hipError_tT1_PNSt15iterator_traitsISH_E10value_typeET2_T3_PNSI_ISN_E10value_typeET4_T5_PSS_ST_PNS1_23onesweep_lookback_stateEbbT6_jjT7_P12ihipStream_tbENKUlT_T0_SH_SM_E_clISB_SB_SC_SC_EEDaS10_S11_SH_SM_EUlS10_E_NS1_11comp_targetILNS1_3genE8ELNS1_11target_archE1030ELNS1_3gpuE2ELNS1_3repE0EEENS1_47radix_sort_onesweep_sort_config_static_selectorELNS0_4arch9wavefront6targetE0EEEvSH_.num_vgpr, 0
	.set _ZN7rocprim17ROCPRIM_400000_NS6detail17trampoline_kernelINS0_14default_configENS1_35radix_sort_onesweep_config_selectorI12hip_bfloat16NS0_10empty_typeEEEZZNS1_29radix_sort_onesweep_iterationIS3_Lb1EPKS5_PS5_PS6_SC_mNS0_19identity_decomposerENS1_16block_id_wrapperIjLb1EEEEE10hipError_tT1_PNSt15iterator_traitsISH_E10value_typeET2_T3_PNSI_ISN_E10value_typeET4_T5_PSS_ST_PNS1_23onesweep_lookback_stateEbbT6_jjT7_P12ihipStream_tbENKUlT_T0_SH_SM_E_clISB_SB_SC_SC_EEDaS10_S11_SH_SM_EUlS10_E_NS1_11comp_targetILNS1_3genE8ELNS1_11target_archE1030ELNS1_3gpuE2ELNS1_3repE0EEENS1_47radix_sort_onesweep_sort_config_static_selectorELNS0_4arch9wavefront6targetE0EEEvSH_.num_agpr, 0
	.set _ZN7rocprim17ROCPRIM_400000_NS6detail17trampoline_kernelINS0_14default_configENS1_35radix_sort_onesweep_config_selectorI12hip_bfloat16NS0_10empty_typeEEEZZNS1_29radix_sort_onesweep_iterationIS3_Lb1EPKS5_PS5_PS6_SC_mNS0_19identity_decomposerENS1_16block_id_wrapperIjLb1EEEEE10hipError_tT1_PNSt15iterator_traitsISH_E10value_typeET2_T3_PNSI_ISN_E10value_typeET4_T5_PSS_ST_PNS1_23onesweep_lookback_stateEbbT6_jjT7_P12ihipStream_tbENKUlT_T0_SH_SM_E_clISB_SB_SC_SC_EEDaS10_S11_SH_SM_EUlS10_E_NS1_11comp_targetILNS1_3genE8ELNS1_11target_archE1030ELNS1_3gpuE2ELNS1_3repE0EEENS1_47radix_sort_onesweep_sort_config_static_selectorELNS0_4arch9wavefront6targetE0EEEvSH_.numbered_sgpr, 0
	.set _ZN7rocprim17ROCPRIM_400000_NS6detail17trampoline_kernelINS0_14default_configENS1_35radix_sort_onesweep_config_selectorI12hip_bfloat16NS0_10empty_typeEEEZZNS1_29radix_sort_onesweep_iterationIS3_Lb1EPKS5_PS5_PS6_SC_mNS0_19identity_decomposerENS1_16block_id_wrapperIjLb1EEEEE10hipError_tT1_PNSt15iterator_traitsISH_E10value_typeET2_T3_PNSI_ISN_E10value_typeET4_T5_PSS_ST_PNS1_23onesweep_lookback_stateEbbT6_jjT7_P12ihipStream_tbENKUlT_T0_SH_SM_E_clISB_SB_SC_SC_EEDaS10_S11_SH_SM_EUlS10_E_NS1_11comp_targetILNS1_3genE8ELNS1_11target_archE1030ELNS1_3gpuE2ELNS1_3repE0EEENS1_47radix_sort_onesweep_sort_config_static_selectorELNS0_4arch9wavefront6targetE0EEEvSH_.num_named_barrier, 0
	.set _ZN7rocprim17ROCPRIM_400000_NS6detail17trampoline_kernelINS0_14default_configENS1_35radix_sort_onesweep_config_selectorI12hip_bfloat16NS0_10empty_typeEEEZZNS1_29radix_sort_onesweep_iterationIS3_Lb1EPKS5_PS5_PS6_SC_mNS0_19identity_decomposerENS1_16block_id_wrapperIjLb1EEEEE10hipError_tT1_PNSt15iterator_traitsISH_E10value_typeET2_T3_PNSI_ISN_E10value_typeET4_T5_PSS_ST_PNS1_23onesweep_lookback_stateEbbT6_jjT7_P12ihipStream_tbENKUlT_T0_SH_SM_E_clISB_SB_SC_SC_EEDaS10_S11_SH_SM_EUlS10_E_NS1_11comp_targetILNS1_3genE8ELNS1_11target_archE1030ELNS1_3gpuE2ELNS1_3repE0EEENS1_47radix_sort_onesweep_sort_config_static_selectorELNS0_4arch9wavefront6targetE0EEEvSH_.private_seg_size, 0
	.set _ZN7rocprim17ROCPRIM_400000_NS6detail17trampoline_kernelINS0_14default_configENS1_35radix_sort_onesweep_config_selectorI12hip_bfloat16NS0_10empty_typeEEEZZNS1_29radix_sort_onesweep_iterationIS3_Lb1EPKS5_PS5_PS6_SC_mNS0_19identity_decomposerENS1_16block_id_wrapperIjLb1EEEEE10hipError_tT1_PNSt15iterator_traitsISH_E10value_typeET2_T3_PNSI_ISN_E10value_typeET4_T5_PSS_ST_PNS1_23onesweep_lookback_stateEbbT6_jjT7_P12ihipStream_tbENKUlT_T0_SH_SM_E_clISB_SB_SC_SC_EEDaS10_S11_SH_SM_EUlS10_E_NS1_11comp_targetILNS1_3genE8ELNS1_11target_archE1030ELNS1_3gpuE2ELNS1_3repE0EEENS1_47radix_sort_onesweep_sort_config_static_selectorELNS0_4arch9wavefront6targetE0EEEvSH_.uses_vcc, 0
	.set _ZN7rocprim17ROCPRIM_400000_NS6detail17trampoline_kernelINS0_14default_configENS1_35radix_sort_onesweep_config_selectorI12hip_bfloat16NS0_10empty_typeEEEZZNS1_29radix_sort_onesweep_iterationIS3_Lb1EPKS5_PS5_PS6_SC_mNS0_19identity_decomposerENS1_16block_id_wrapperIjLb1EEEEE10hipError_tT1_PNSt15iterator_traitsISH_E10value_typeET2_T3_PNSI_ISN_E10value_typeET4_T5_PSS_ST_PNS1_23onesweep_lookback_stateEbbT6_jjT7_P12ihipStream_tbENKUlT_T0_SH_SM_E_clISB_SB_SC_SC_EEDaS10_S11_SH_SM_EUlS10_E_NS1_11comp_targetILNS1_3genE8ELNS1_11target_archE1030ELNS1_3gpuE2ELNS1_3repE0EEENS1_47radix_sort_onesweep_sort_config_static_selectorELNS0_4arch9wavefront6targetE0EEEvSH_.uses_flat_scratch, 0
	.set _ZN7rocprim17ROCPRIM_400000_NS6detail17trampoline_kernelINS0_14default_configENS1_35radix_sort_onesweep_config_selectorI12hip_bfloat16NS0_10empty_typeEEEZZNS1_29radix_sort_onesweep_iterationIS3_Lb1EPKS5_PS5_PS6_SC_mNS0_19identity_decomposerENS1_16block_id_wrapperIjLb1EEEEE10hipError_tT1_PNSt15iterator_traitsISH_E10value_typeET2_T3_PNSI_ISN_E10value_typeET4_T5_PSS_ST_PNS1_23onesweep_lookback_stateEbbT6_jjT7_P12ihipStream_tbENKUlT_T0_SH_SM_E_clISB_SB_SC_SC_EEDaS10_S11_SH_SM_EUlS10_E_NS1_11comp_targetILNS1_3genE8ELNS1_11target_archE1030ELNS1_3gpuE2ELNS1_3repE0EEENS1_47radix_sort_onesweep_sort_config_static_selectorELNS0_4arch9wavefront6targetE0EEEvSH_.has_dyn_sized_stack, 0
	.set _ZN7rocprim17ROCPRIM_400000_NS6detail17trampoline_kernelINS0_14default_configENS1_35radix_sort_onesweep_config_selectorI12hip_bfloat16NS0_10empty_typeEEEZZNS1_29radix_sort_onesweep_iterationIS3_Lb1EPKS5_PS5_PS6_SC_mNS0_19identity_decomposerENS1_16block_id_wrapperIjLb1EEEEE10hipError_tT1_PNSt15iterator_traitsISH_E10value_typeET2_T3_PNSI_ISN_E10value_typeET4_T5_PSS_ST_PNS1_23onesweep_lookback_stateEbbT6_jjT7_P12ihipStream_tbENKUlT_T0_SH_SM_E_clISB_SB_SC_SC_EEDaS10_S11_SH_SM_EUlS10_E_NS1_11comp_targetILNS1_3genE8ELNS1_11target_archE1030ELNS1_3gpuE2ELNS1_3repE0EEENS1_47radix_sort_onesweep_sort_config_static_selectorELNS0_4arch9wavefront6targetE0EEEvSH_.has_recursion, 0
	.set _ZN7rocprim17ROCPRIM_400000_NS6detail17trampoline_kernelINS0_14default_configENS1_35radix_sort_onesweep_config_selectorI12hip_bfloat16NS0_10empty_typeEEEZZNS1_29radix_sort_onesweep_iterationIS3_Lb1EPKS5_PS5_PS6_SC_mNS0_19identity_decomposerENS1_16block_id_wrapperIjLb1EEEEE10hipError_tT1_PNSt15iterator_traitsISH_E10value_typeET2_T3_PNSI_ISN_E10value_typeET4_T5_PSS_ST_PNS1_23onesweep_lookback_stateEbbT6_jjT7_P12ihipStream_tbENKUlT_T0_SH_SM_E_clISB_SB_SC_SC_EEDaS10_S11_SH_SM_EUlS10_E_NS1_11comp_targetILNS1_3genE8ELNS1_11target_archE1030ELNS1_3gpuE2ELNS1_3repE0EEENS1_47radix_sort_onesweep_sort_config_static_selectorELNS0_4arch9wavefront6targetE0EEEvSH_.has_indirect_call, 0
	.section	.AMDGPU.csdata,"",@progbits
; Kernel info:
; codeLenInByte = 0
; TotalNumSgprs: 0
; NumVgprs: 0
; ScratchSize: 0
; MemoryBound: 0
; FloatMode: 240
; IeeeMode: 1
; LDSByteSize: 0 bytes/workgroup (compile time only)
; SGPRBlocks: 0
; VGPRBlocks: 0
; NumSGPRsForWavesPerEU: 1
; NumVGPRsForWavesPerEU: 1
; NamedBarCnt: 0
; Occupancy: 16
; WaveLimiterHint : 0
; COMPUTE_PGM_RSRC2:SCRATCH_EN: 0
; COMPUTE_PGM_RSRC2:USER_SGPR: 2
; COMPUTE_PGM_RSRC2:TRAP_HANDLER: 0
; COMPUTE_PGM_RSRC2:TGID_X_EN: 1
; COMPUTE_PGM_RSRC2:TGID_Y_EN: 0
; COMPUTE_PGM_RSRC2:TGID_Z_EN: 0
; COMPUTE_PGM_RSRC2:TIDIG_COMP_CNT: 0
	.section	.text._ZN7rocprim17ROCPRIM_400000_NS6detail17trampoline_kernelINS0_14default_configENS1_35radix_sort_onesweep_config_selectorI12hip_bfloat16NS0_10empty_typeEEEZZNS1_29radix_sort_onesweep_iterationIS3_Lb1EPKS5_PS5_PS6_SC_mNS0_19identity_decomposerENS1_16block_id_wrapperIjLb0EEEEE10hipError_tT1_PNSt15iterator_traitsISH_E10value_typeET2_T3_PNSI_ISN_E10value_typeET4_T5_PSS_ST_PNS1_23onesweep_lookback_stateEbbT6_jjT7_P12ihipStream_tbENKUlT_T0_SH_SM_E_clISA_SB_SC_SC_EEDaS10_S11_SH_SM_EUlS10_E_NS1_11comp_targetILNS1_3genE0ELNS1_11target_archE4294967295ELNS1_3gpuE0ELNS1_3repE0EEENS1_47radix_sort_onesweep_sort_config_static_selectorELNS0_4arch9wavefront6targetE0EEEvSH_,"axG",@progbits,_ZN7rocprim17ROCPRIM_400000_NS6detail17trampoline_kernelINS0_14default_configENS1_35radix_sort_onesweep_config_selectorI12hip_bfloat16NS0_10empty_typeEEEZZNS1_29radix_sort_onesweep_iterationIS3_Lb1EPKS5_PS5_PS6_SC_mNS0_19identity_decomposerENS1_16block_id_wrapperIjLb0EEEEE10hipError_tT1_PNSt15iterator_traitsISH_E10value_typeET2_T3_PNSI_ISN_E10value_typeET4_T5_PSS_ST_PNS1_23onesweep_lookback_stateEbbT6_jjT7_P12ihipStream_tbENKUlT_T0_SH_SM_E_clISA_SB_SC_SC_EEDaS10_S11_SH_SM_EUlS10_E_NS1_11comp_targetILNS1_3genE0ELNS1_11target_archE4294967295ELNS1_3gpuE0ELNS1_3repE0EEENS1_47radix_sort_onesweep_sort_config_static_selectorELNS0_4arch9wavefront6targetE0EEEvSH_,comdat
	.protected	_ZN7rocprim17ROCPRIM_400000_NS6detail17trampoline_kernelINS0_14default_configENS1_35radix_sort_onesweep_config_selectorI12hip_bfloat16NS0_10empty_typeEEEZZNS1_29radix_sort_onesweep_iterationIS3_Lb1EPKS5_PS5_PS6_SC_mNS0_19identity_decomposerENS1_16block_id_wrapperIjLb0EEEEE10hipError_tT1_PNSt15iterator_traitsISH_E10value_typeET2_T3_PNSI_ISN_E10value_typeET4_T5_PSS_ST_PNS1_23onesweep_lookback_stateEbbT6_jjT7_P12ihipStream_tbENKUlT_T0_SH_SM_E_clISA_SB_SC_SC_EEDaS10_S11_SH_SM_EUlS10_E_NS1_11comp_targetILNS1_3genE0ELNS1_11target_archE4294967295ELNS1_3gpuE0ELNS1_3repE0EEENS1_47radix_sort_onesweep_sort_config_static_selectorELNS0_4arch9wavefront6targetE0EEEvSH_ ; -- Begin function _ZN7rocprim17ROCPRIM_400000_NS6detail17trampoline_kernelINS0_14default_configENS1_35radix_sort_onesweep_config_selectorI12hip_bfloat16NS0_10empty_typeEEEZZNS1_29radix_sort_onesweep_iterationIS3_Lb1EPKS5_PS5_PS6_SC_mNS0_19identity_decomposerENS1_16block_id_wrapperIjLb0EEEEE10hipError_tT1_PNSt15iterator_traitsISH_E10value_typeET2_T3_PNSI_ISN_E10value_typeET4_T5_PSS_ST_PNS1_23onesweep_lookback_stateEbbT6_jjT7_P12ihipStream_tbENKUlT_T0_SH_SM_E_clISA_SB_SC_SC_EEDaS10_S11_SH_SM_EUlS10_E_NS1_11comp_targetILNS1_3genE0ELNS1_11target_archE4294967295ELNS1_3gpuE0ELNS1_3repE0EEENS1_47radix_sort_onesweep_sort_config_static_selectorELNS0_4arch9wavefront6targetE0EEEvSH_
	.globl	_ZN7rocprim17ROCPRIM_400000_NS6detail17trampoline_kernelINS0_14default_configENS1_35radix_sort_onesweep_config_selectorI12hip_bfloat16NS0_10empty_typeEEEZZNS1_29radix_sort_onesweep_iterationIS3_Lb1EPKS5_PS5_PS6_SC_mNS0_19identity_decomposerENS1_16block_id_wrapperIjLb0EEEEE10hipError_tT1_PNSt15iterator_traitsISH_E10value_typeET2_T3_PNSI_ISN_E10value_typeET4_T5_PSS_ST_PNS1_23onesweep_lookback_stateEbbT6_jjT7_P12ihipStream_tbENKUlT_T0_SH_SM_E_clISA_SB_SC_SC_EEDaS10_S11_SH_SM_EUlS10_E_NS1_11comp_targetILNS1_3genE0ELNS1_11target_archE4294967295ELNS1_3gpuE0ELNS1_3repE0EEENS1_47radix_sort_onesweep_sort_config_static_selectorELNS0_4arch9wavefront6targetE0EEEvSH_
	.p2align	8
	.type	_ZN7rocprim17ROCPRIM_400000_NS6detail17trampoline_kernelINS0_14default_configENS1_35radix_sort_onesweep_config_selectorI12hip_bfloat16NS0_10empty_typeEEEZZNS1_29radix_sort_onesweep_iterationIS3_Lb1EPKS5_PS5_PS6_SC_mNS0_19identity_decomposerENS1_16block_id_wrapperIjLb0EEEEE10hipError_tT1_PNSt15iterator_traitsISH_E10value_typeET2_T3_PNSI_ISN_E10value_typeET4_T5_PSS_ST_PNS1_23onesweep_lookback_stateEbbT6_jjT7_P12ihipStream_tbENKUlT_T0_SH_SM_E_clISA_SB_SC_SC_EEDaS10_S11_SH_SM_EUlS10_E_NS1_11comp_targetILNS1_3genE0ELNS1_11target_archE4294967295ELNS1_3gpuE0ELNS1_3repE0EEENS1_47radix_sort_onesweep_sort_config_static_selectorELNS0_4arch9wavefront6targetE0EEEvSH_,@function
_ZN7rocprim17ROCPRIM_400000_NS6detail17trampoline_kernelINS0_14default_configENS1_35radix_sort_onesweep_config_selectorI12hip_bfloat16NS0_10empty_typeEEEZZNS1_29radix_sort_onesweep_iterationIS3_Lb1EPKS5_PS5_PS6_SC_mNS0_19identity_decomposerENS1_16block_id_wrapperIjLb0EEEEE10hipError_tT1_PNSt15iterator_traitsISH_E10value_typeET2_T3_PNSI_ISN_E10value_typeET4_T5_PSS_ST_PNS1_23onesweep_lookback_stateEbbT6_jjT7_P12ihipStream_tbENKUlT_T0_SH_SM_E_clISA_SB_SC_SC_EEDaS10_S11_SH_SM_EUlS10_E_NS1_11comp_targetILNS1_3genE0ELNS1_11target_archE4294967295ELNS1_3gpuE0ELNS1_3repE0EEENS1_47radix_sort_onesweep_sort_config_static_selectorELNS0_4arch9wavefront6targetE0EEEvSH_: ; @_ZN7rocprim17ROCPRIM_400000_NS6detail17trampoline_kernelINS0_14default_configENS1_35radix_sort_onesweep_config_selectorI12hip_bfloat16NS0_10empty_typeEEEZZNS1_29radix_sort_onesweep_iterationIS3_Lb1EPKS5_PS5_PS6_SC_mNS0_19identity_decomposerENS1_16block_id_wrapperIjLb0EEEEE10hipError_tT1_PNSt15iterator_traitsISH_E10value_typeET2_T3_PNSI_ISN_E10value_typeET4_T5_PSS_ST_PNS1_23onesweep_lookback_stateEbbT6_jjT7_P12ihipStream_tbENKUlT_T0_SH_SM_E_clISA_SB_SC_SC_EEDaS10_S11_SH_SM_EUlS10_E_NS1_11comp_targetILNS1_3genE0ELNS1_11target_archE4294967295ELNS1_3gpuE0ELNS1_3repE0EEENS1_47radix_sort_onesweep_sort_config_static_selectorELNS0_4arch9wavefront6targetE0EEEvSH_
; %bb.0:
	s_clause 0x3
	s_load_b96 s[20:22], s[0:1], 0x44
	s_load_b64 s[10:11], s[0:1], 0x38
	s_load_b128 s[16:19], s[0:1], 0x0
	s_load_b128 s[12:15], s[0:1], 0x28
	s_bfe_u32 s2, ttmp6, 0x4000c
	s_and_b32 s3, ttmp6, 15
	s_add_co_i32 s2, s2, 1
	s_getreg_b32 s4, hwreg(HW_REG_IB_STS2, 6, 4)
	s_mul_i32 s5, ttmp9, s2
	v_mbcnt_lo_u32_b32 v14, -1, 0
	s_add_co_i32 s3, s3, s5
	s_cmp_eq_u32 s4, 0
	v_and_b32_e32 v15, 0x1e0, v0
	s_cselect_b32 s9, ttmp9, s3
	s_mov_b32 s25, 0
	s_mov_b32 s2, -1
	s_mul_i32 s24, s9, 0x1800
	s_add_nc_u64 s[26:27], s[0:1], 0x58
	s_wait_kmcnt 0x0
	s_cmp_ge_u32 s9, s22
	s_cbranch_scc0 .LBB1982_96
; %bb.1:
	s_load_b32 s4, s[0:1], 0x20
	v_dual_mov_b32 v3, 0 :: v_dual_lshlrev_b32 v2, 1, v14
	s_lshl_b64 s[2:3], s[24:25], 1
	v_mul_u32_u24_e32 v1, 12, v15
	s_add_nc_u64 s[2:3], s[16:17], s[2:3]
	v_dual_mov_b32 v12, -1 :: v_dual_mov_b32 v10, -1
	v_add_nc_u64_e32 v[4:5], s[2:3], v[2:3]
	s_delay_alu instid0(VALU_DEP_3) | instskip(SKIP_1) | instid1(VALU_DEP_1)
	v_dual_lshlrev_b32 v2, 1, v1 :: v_dual_bitop2_b32 v1, v14, v1 bitop3:0x54
	s_mul_i32 s2, s22, 0xffffe800
	v_add_nc_u64_e32 v[2:3], v[4:5], v[2:3]
	s_wait_kmcnt 0x0
	s_add_co_i32 s22, s4, s2
	s_mov_b32 s2, exec_lo
	v_cmpx_gt_u32_e64 s22, v1
	s_cbranch_execz .LBB1982_3
; %bb.2:
	global_load_u16 v10, v[2:3], off
.LBB1982_3:
	s_wait_xcnt 0x0
	s_or_b32 exec_lo, exec_lo, s2
	v_or_b32_e32 v4, 32, v1
	s_mov_b32 s2, exec_lo
	s_delay_alu instid0(VALU_DEP_1)
	v_cmpx_gt_u32_e64 s22, v4
	s_cbranch_execz .LBB1982_5
; %bb.4:
	global_load_u16 v12, v[2:3], off offset:64
.LBB1982_5:
	s_wait_xcnt 0x0
	s_or_b32 exec_lo, exec_lo, s2
	v_dual_mov_b32 v21, -1 :: v_dual_bitop2_b32 v4, 64, v1 bitop3:0x54
	v_mov_b32_e32 v17, -1
	s_mov_b32 s2, exec_lo
	s_delay_alu instid0(VALU_DEP_2)
	v_cmpx_gt_u32_e64 s22, v4
	s_cbranch_execz .LBB1982_7
; %bb.6:
	global_load_u16 v17, v[2:3], off offset:128
.LBB1982_7:
	s_wait_xcnt 0x0
	s_or_b32 exec_lo, exec_lo, s2
	v_or_b32_e32 v4, 0x60, v1
	s_mov_b32 s2, exec_lo
	s_delay_alu instid0(VALU_DEP_1)
	v_cmpx_gt_u32_e64 s22, v4
	s_cbranch_execz .LBB1982_9
; %bb.8:
	global_load_u16 v21, v[2:3], off offset:192
.LBB1982_9:
	s_wait_xcnt 0x0
	s_or_b32 exec_lo, exec_lo, s2
	v_dual_mov_b32 v25, -1 :: v_dual_add_nc_u32 v4, 0x80, v1
	v_mov_b32_e32 v30, -1
	s_mov_b32 s2, exec_lo
	s_delay_alu instid0(VALU_DEP_2)
	v_cmpx_gt_u32_e64 s22, v4
	s_cbranch_execz .LBB1982_11
; %bb.10:
	global_load_u16 v25, v[2:3], off offset:256
.LBB1982_11:
	s_wait_xcnt 0x0
	s_or_b32 exec_lo, exec_lo, s2
	v_add_nc_u32_e32 v4, 0xa0, v1
	s_mov_b32 s2, exec_lo
	s_delay_alu instid0(VALU_DEP_1)
	v_cmpx_gt_u32_e64 s22, v4
	s_cbranch_execz .LBB1982_13
; %bb.12:
	global_load_u16 v30, v[2:3], off offset:320
.LBB1982_13:
	s_wait_xcnt 0x0
	s_or_b32 exec_lo, exec_lo, s2
	v_dual_mov_b32 v9, -1 :: v_dual_add_nc_u32 v4, 0xc0, v1
	v_mov_b32_e32 v8, -1
	s_mov_b32 s2, exec_lo
	s_delay_alu instid0(VALU_DEP_2)
	v_cmpx_gt_u32_e64 s22, v4
	s_cbranch_execz .LBB1982_15
; %bb.14:
	global_load_u16 v9, v[2:3], off offset:384
.LBB1982_15:
	s_wait_xcnt 0x0
	s_or_b32 exec_lo, exec_lo, s2
	v_add_nc_u32_e32 v4, 0xe0, v1
	;; [unrolled: 21-line block ×3, first 2 shown]
	s_mov_b32 s2, exec_lo
	s_delay_alu instid0(VALU_DEP_1)
	v_cmpx_gt_u32_e64 s22, v4
	s_cbranch_execz .LBB1982_21
; %bb.20:
	global_load_u16 v6, v[2:3], off offset:576
.LBB1982_21:
	s_wait_xcnt 0x0
	s_or_b32 exec_lo, exec_lo, s2
	v_dual_mov_b32 v4, -1 :: v_dual_add_nc_u32 v5, 0x140, v1
	s_delay_alu instid0(VALU_DEP_1)
	v_cmp_gt_u32_e32 vcc_lo, s22, v5
	v_mov_b32_e32 v5, -1
	s_and_saveexec_b32 s2, vcc_lo
	s_cbranch_execz .LBB1982_23
; %bb.22:
	global_load_u16 v5, v[2:3], off offset:640
.LBB1982_23:
	s_wait_xcnt 0x0
	s_or_b32 exec_lo, exec_lo, s2
	v_add_nc_u32_e32 v11, 0x160, v1
	v_and_b32_e32 v1, 0x3ff, v0
	s_mov_b32 s2, exec_lo
	s_delay_alu instid0(VALU_DEP_2)
	v_cmpx_gt_u32_e64 s22, v11
	s_cbranch_execz .LBB1982_25
; %bb.24:
	global_load_u16 v4, v[2:3], off offset:704
.LBB1982_25:
	s_wait_xcnt 0x0
	s_or_b32 exec_lo, exec_lo, s2
	s_wait_loadcnt 0x0
	v_cmp_gt_i16_e32 vcc_lo, 0, v10
	s_clause 0x1
	s_load_b32 s23, s[0:1], 0x58
	s_load_u16 s4, s[0:1], 0x66
	v_bfe_u32 v3, v0, 10, 10
	v_bfe_u32 v11, v0, 20, 10
	s_mov_b32 s3, 0
	v_cndmask_b32_e64 v2, 0x7fff, 0, vcc_lo
	s_delay_alu instid0(VALU_DEP_1) | instskip(NEXT) | instid1(VALU_DEP_1)
	v_xor_b32_e32 v10, v2, v10
	v_cmp_ne_u16_e32 vcc_lo, 0x8000, v10
	s_wait_kmcnt 0x0
	s_cmp_lt_u32 s9, s23
	v_cndmask_b32_e32 v2, 0x7fff, v10, vcc_lo
	s_cselect_b32 s2, 12, 18
	s_lshl_b32 s7, -1, s21
	v_mad_u32_u24 v3, v11, s4, v3
	s_add_nc_u64 s[2:3], s[26:27], s[2:3]
	v_and_b32_e32 v2, 0xffff, v2
	s_load_u16 s8, s[2:3], 0x0
	s_not_b32 s25, s7
	s_delay_alu instid0(VALU_DEP_1) | instskip(NEXT) | instid1(VALU_DEP_1)
	v_lshrrev_b32_e32 v2, s20, v2
	v_bitop3_b32 v16, v2, s7, v2 bitop3:0x30
	s_delay_alu instid0(VALU_DEP_1) | instskip(SKIP_4) | instid1(VALU_DEP_3)
	v_lshlrev_b32_e32 v18, 29, v16
	v_bitop3_b32 v11, v2, 1, s7 bitop3:0x40
	v_dual_lshlrev_b32 v13, 30, v16 :: v_dual_lshlrev_b32 v19, 28, v16
	v_dual_lshlrev_b32 v20, 27, v16 :: v_dual_lshlrev_b32 v22, 26, v16
	s_wait_xcnt 0x0
	v_add_co_u32 v2, s2, v11, -1
	s_delay_alu instid0(VALU_DEP_1) | instskip(SKIP_3) | instid1(VALU_DEP_4)
	v_cndmask_b32_e64 v11, 0, 1, s2
	v_cmp_gt_i32_e64 s2, 0, v13
	v_cmp_gt_i32_e64 s3, 0, v18
	v_dual_lshlrev_b32 v23, 25, v16 :: v_dual_lshlrev_b32 v24, 24, v16
	v_cmp_ne_u32_e32 vcc_lo, 0, v11
	v_not_b32_e32 v11, v13
	v_not_b32_e32 v13, v18
	;; [unrolled: 1-line block ×3, first 2 shown]
	v_cmp_gt_i32_e64 s4, 0, v19
	v_cmp_gt_i32_e64 s5, 0, v20
	v_dual_ashrrev_i32 v11, 31, v11 :: v_dual_bitop2_b32 v2, vcc_lo, v2 bitop3:0x14
	v_not_b32_e32 v19, v20
	v_not_b32_e32 v20, v22
	v_dual_ashrrev_i32 v13, 31, v13 :: v_dual_ashrrev_i32 v18, 31, v18
	s_delay_alu instid0(VALU_DEP_4) | instskip(SKIP_1) | instid1(VALU_DEP_3)
	v_xor_b32_e32 v11, s2, v11
	v_cmp_gt_i32_e64 s6, 0, v22
	v_dual_ashrrev_i32 v19, 31, v19 :: v_dual_bitop2_b32 v13, s3, v13 bitop3:0x14
	v_ashrrev_i32_e32 v20, 31, v20
	s_delay_alu instid0(VALU_DEP_4)
	v_bitop3_b32 v2, v2, v11, exec_lo bitop3:0x80
	v_not_b32_e32 v11, v23
	v_xor_b32_e32 v18, s4, v18
	v_not_b32_e32 v22, v24
	v_xor_b32_e32 v19, s5, v19
	v_xor_b32_e32 v20, s6, v20
	v_cmp_gt_i32_e32 vcc_lo, 0, v23
	v_ashrrev_i32_e32 v11, 31, v11
	v_bitop3_b32 v2, v2, v18, v13 bitop3:0x80
	v_cmp_gt_i32_e64 s2, 0, v24
	v_ashrrev_i32_e32 v13, 31, v22
	s_wait_kmcnt 0x0
	v_mad_u32 v22, v3, s8, v1
	v_mov_b32_e32 v18, 0
	v_bitop3_b32 v2, v2, v20, v19 bitop3:0x80
	v_xor_b32_e32 v3, vcc_lo, v11
	v_xor_b32_e32 v11, s2, v13
	v_mul_u32_u24_e32 v13, 36, v1
	ds_store_2addr_b32 v13, v18, v18 offset0:16 offset1:17
	ds_store_2addr_b32 v13, v18, v18 offset0:18 offset1:19
	;; [unrolled: 1-line block ×4, first 2 shown]
	v_bitop3_b32 v3, v2, v11, v3 bitop3:0x80
	v_lshrrev_b32_e32 v2, 5, v22
	ds_store_b32 v13, v18 offset:96
	s_wait_dscnt 0x0
	s_barrier_signal -1
	v_mbcnt_lo_u32_b32 v11, v3, 0
	v_lshlrev_b32_e32 v2, 2, v2
	v_cmp_ne_u32_e64 s2, 0, v3
	s_barrier_wait -1
	s_delay_alu instid0(VALU_DEP_3) | instskip(NEXT) | instid1(VALU_DEP_3)
	v_cmp_eq_u32_e32 vcc_lo, 0, v11
	v_mad_u32_u24 v16, 0x44, v16, v2
	; wave barrier
	s_and_b32 s3, s2, vcc_lo
	s_delay_alu instid0(SALU_CYCLE_1)
	s_and_saveexec_b32 s2, s3
; %bb.26:
	v_bcnt_u32_b32 v3, v3, 0
	ds_store_b32 v16, v3 offset:64
; %bb.27:
	s_or_b32 exec_lo, exec_lo, s2
	v_cmp_gt_i16_e32 vcc_lo, 0, v12
	; wave barrier
	v_cndmask_b32_e64 v3, 0x7fff, 0, vcc_lo
	s_delay_alu instid0(VALU_DEP_1) | instskip(NEXT) | instid1(VALU_DEP_1)
	v_xor_b32_e32 v12, v3, v12
	v_cmp_ne_u16_e32 vcc_lo, 0x8000, v12
	v_cndmask_b32_e32 v3, 0x7fff, v12, vcc_lo
	s_delay_alu instid0(VALU_DEP_1) | instskip(NEXT) | instid1(VALU_DEP_1)
	v_and_b32_e32 v3, 0xffff, v3
	v_lshrrev_b32_e32 v3, s20, v3
	s_delay_alu instid0(VALU_DEP_1) | instskip(SKIP_1) | instid1(VALU_DEP_2)
	v_bitop3_b32 v18, v3, 1, s25 bitop3:0x80
	v_and_b32_e32 v3, s25, v3
	v_add_co_u32 v18, s2, v18, -1
	s_delay_alu instid0(VALU_DEP_1) | instskip(NEXT) | instid1(VALU_DEP_3)
	v_cndmask_b32_e64 v19, 0, 1, s2
	v_dual_lshlrev_b32 v20, 30, v3 :: v_dual_lshlrev_b32 v22, 29, v3
	s_delay_alu instid0(VALU_DEP_2) | instskip(NEXT) | instid1(VALU_DEP_2)
	v_cmp_ne_u32_e32 vcc_lo, 0, v19
	v_cmp_gt_i32_e64 s2, 0, v20
	v_not_b32_e32 v19, v20
	s_delay_alu instid0(VALU_DEP_4) | instskip(SKIP_1) | instid1(VALU_DEP_2)
	v_not_b32_e32 v20, v22
	v_cmp_gt_i32_e64 s3, 0, v22
	v_dual_ashrrev_i32 v20, 31, v20 :: v_dual_bitop2_b32 v18, vcc_lo, v18 bitop3:0x14
	v_dual_lshlrev_b32 v23, 28, v3 :: v_dual_lshlrev_b32 v24, 27, v3
	v_dual_lshlrev_b32 v26, 26, v3 :: v_dual_lshlrev_b32 v27, 25, v3
	v_lshlrev_b32_e32 v28, 24, v3
	s_delay_alu instid0(VALU_DEP_3) | instskip(SKIP_4) | instid1(VALU_DEP_4)
	v_cmp_gt_i32_e64 s4, 0, v23
	v_not_b32_e32 v22, v23
	v_cmp_gt_i32_e64 s5, 0, v24
	v_not_b32_e32 v23, v24
	v_not_b32_e32 v24, v26
	v_dual_ashrrev_i32 v19, 31, v19 :: v_dual_ashrrev_i32 v22, 31, v22
	v_cmp_gt_i32_e64 s6, 0, v26
	v_cmp_gt_i32_e64 s7, 0, v27
	s_delay_alu instid0(VALU_DEP_3)
	v_dual_ashrrev_i32 v24, 31, v24 :: v_dual_bitop2_b32 v19, s2, v19 bitop3:0x14
	v_not_b32_e32 v26, v27
	v_not_b32_e32 v27, v28
	v_dual_ashrrev_i32 v23, 31, v23 :: v_dual_bitop2_b32 v20, s3, v20 bitop3:0x14
	v_xor_b32_e32 v22, s4, v22
	v_bitop3_b32 v18, v18, v19, exec_lo bitop3:0x80
	v_cmp_gt_i32_e64 s8, 0, v28
	s_delay_alu instid0(VALU_DEP_4) | instskip(SKIP_1) | instid1(VALU_DEP_4)
	v_dual_ashrrev_i32 v19, 31, v26 :: v_dual_bitop2_b32 v23, s5, v23 bitop3:0x14
	v_dual_ashrrev_i32 v26, 31, v27 :: v_dual_bitop2_b32 v24, s6, v24 bitop3:0x14
	v_bitop3_b32 v18, v18, v22, v20 bitop3:0x80
	v_mad_u32_u24 v20, 0x44, v3, v2
	s_delay_alu instid0(VALU_DEP_4) | instskip(NEXT) | instid1(VALU_DEP_4)
	v_xor_b32_e32 v3, s7, v19
	v_xor_b32_e32 v19, s8, v26
	s_delay_alu instid0(VALU_DEP_4) | instskip(SKIP_2) | instid1(VALU_DEP_1)
	v_bitop3_b32 v22, v18, v24, v23 bitop3:0x80
	ds_load_b32 v18, v20 offset:64
	; wave barrier
	v_bitop3_b32 v3, v22, v19, v3 bitop3:0x80
	v_mbcnt_lo_u32_b32 v19, v3, 0
	v_cmp_ne_u32_e64 s2, 0, v3
	s_delay_alu instid0(VALU_DEP_2) | instskip(SKIP_1) | instid1(SALU_CYCLE_1)
	v_cmp_eq_u32_e32 vcc_lo, 0, v19
	s_and_b32 s3, s2, vcc_lo
	s_and_saveexec_b32 s2, s3
	s_cbranch_execz .LBB1982_29
; %bb.28:
	s_wait_dscnt 0x0
	v_bcnt_u32_b32 v3, v3, v18
	ds_store_b32 v20, v3 offset:64
.LBB1982_29:
	s_or_b32 exec_lo, exec_lo, s2
	v_cmp_gt_i16_e32 vcc_lo, 0, v17
	; wave barrier
	v_cndmask_b32_e64 v3, 0x7fff, 0, vcc_lo
	s_delay_alu instid0(VALU_DEP_1) | instskip(NEXT) | instid1(VALU_DEP_1)
	v_xor_b32_e32 v17, v3, v17
	v_cmp_ne_u16_e32 vcc_lo, 0x8000, v17
	v_cndmask_b32_e32 v3, 0x7fff, v17, vcc_lo
	s_delay_alu instid0(VALU_DEP_1) | instskip(NEXT) | instid1(VALU_DEP_1)
	v_and_b32_e32 v3, 0xffff, v3
	v_lshrrev_b32_e32 v3, s20, v3
	s_delay_alu instid0(VALU_DEP_1) | instskip(SKIP_1) | instid1(VALU_DEP_2)
	v_bitop3_b32 v22, v3, 1, s25 bitop3:0x80
	v_and_b32_e32 v3, s25, v3
	v_add_co_u32 v22, s2, v22, -1
	s_delay_alu instid0(VALU_DEP_1) | instskip(NEXT) | instid1(VALU_DEP_3)
	v_cndmask_b32_e64 v23, 0, 1, s2
	v_dual_lshlrev_b32 v24, 30, v3 :: v_dual_lshlrev_b32 v26, 29, v3
	v_lshlrev_b32_e32 v27, 28, v3
	s_delay_alu instid0(VALU_DEP_3) | instskip(NEXT) | instid1(VALU_DEP_3)
	v_cmp_ne_u32_e32 vcc_lo, 0, v23
	v_cmp_gt_i32_e64 s2, 0, v24
	v_not_b32_e32 v23, v24
	v_cmp_gt_i32_e64 s3, 0, v26
	v_not_b32_e32 v24, v26
	v_not_b32_e32 v26, v27
	s_delay_alu instid0(VALU_DEP_2) | instskip(NEXT) | instid1(VALU_DEP_2)
	v_dual_ashrrev_i32 v24, 31, v24 :: v_dual_bitop2_b32 v22, vcc_lo, v22 bitop3:0x14
	v_dual_ashrrev_i32 v26, 31, v26 :: v_dual_lshlrev_b32 v28, 27, v3
	v_dual_lshlrev_b32 v29, 26, v3 :: v_dual_lshlrev_b32 v31, 25, v3
	v_cmp_gt_i32_e64 s4, 0, v27
	v_lshlrev_b32_e32 v32, 24, v3
	s_delay_alu instid0(VALU_DEP_4)
	v_cmp_gt_i32_e64 s5, 0, v28
	v_not_b32_e32 v27, v28
	v_not_b32_e32 v28, v29
	v_ashrrev_i32_e32 v23, 31, v23
	v_cmp_gt_i32_e64 s6, 0, v29
	v_cmp_gt_i32_e64 s7, 0, v31
	v_not_b32_e32 v29, v31
	s_delay_alu instid0(VALU_DEP_4) | instskip(SKIP_3) | instid1(VALU_DEP_4)
	v_dual_ashrrev_i32 v28, 31, v28 :: v_dual_bitop2_b32 v23, s2, v23 bitop3:0x14
	v_not_b32_e32 v31, v32
	v_dual_ashrrev_i32 v27, 31, v27 :: v_dual_bitop2_b32 v24, s3, v24 bitop3:0x14
	v_xor_b32_e32 v26, s4, v26
	v_bitop3_b32 v22, v22, v23, exec_lo bitop3:0x80
	v_cmp_gt_i32_e64 s8, 0, v32
	v_dual_ashrrev_i32 v23, 31, v29 :: v_dual_ashrrev_i32 v29, 31, v31
	v_xor_b32_e32 v28, s6, v28
	v_xor_b32_e32 v27, s5, v27
	v_bitop3_b32 v22, v22, v26, v24 bitop3:0x80
	v_mad_u32_u24 v24, 0x44, v3, v2
	v_xor_b32_e32 v3, s7, v23
	v_xor_b32_e32 v23, s8, v29
	s_delay_alu instid0(VALU_DEP_4) | instskip(SKIP_2) | instid1(VALU_DEP_1)
	v_bitop3_b32 v26, v22, v28, v27 bitop3:0x80
	ds_load_b32 v22, v24 offset:64
	; wave barrier
	v_bitop3_b32 v3, v26, v23, v3 bitop3:0x80
	v_mbcnt_lo_u32_b32 v23, v3, 0
	v_cmp_ne_u32_e64 s2, 0, v3
	s_delay_alu instid0(VALU_DEP_2) | instskip(SKIP_1) | instid1(SALU_CYCLE_1)
	v_cmp_eq_u32_e32 vcc_lo, 0, v23
	s_and_b32 s3, s2, vcc_lo
	s_and_saveexec_b32 s2, s3
	s_cbranch_execz .LBB1982_31
; %bb.30:
	s_wait_dscnt 0x0
	v_bcnt_u32_b32 v3, v3, v22
	ds_store_b32 v24, v3 offset:64
.LBB1982_31:
	s_or_b32 exec_lo, exec_lo, s2
	v_cmp_gt_i16_e32 vcc_lo, 0, v21
	; wave barrier
	v_cndmask_b32_e64 v3, 0x7fff, 0, vcc_lo
	s_delay_alu instid0(VALU_DEP_1) | instskip(NEXT) | instid1(VALU_DEP_1)
	v_xor_b32_e32 v21, v3, v21
	v_cmp_ne_u16_e32 vcc_lo, 0x8000, v21
	v_cndmask_b32_e32 v3, 0x7fff, v21, vcc_lo
	s_delay_alu instid0(VALU_DEP_1) | instskip(NEXT) | instid1(VALU_DEP_1)
	v_and_b32_e32 v3, 0xffff, v3
	v_lshrrev_b32_e32 v3, s20, v3
	s_delay_alu instid0(VALU_DEP_1) | instskip(SKIP_1) | instid1(VALU_DEP_2)
	v_bitop3_b32 v26, v3, 1, s25 bitop3:0x80
	v_and_b32_e32 v3, s25, v3
	v_add_co_u32 v26, s2, v26, -1
	s_delay_alu instid0(VALU_DEP_1) | instskip(NEXT) | instid1(VALU_DEP_3)
	v_cndmask_b32_e64 v27, 0, 1, s2
	v_dual_lshlrev_b32 v28, 30, v3 :: v_dual_lshlrev_b32 v29, 29, v3
	v_lshlrev_b32_e32 v31, 28, v3
	s_delay_alu instid0(VALU_DEP_3) | instskip(NEXT) | instid1(VALU_DEP_3)
	v_cmp_ne_u32_e32 vcc_lo, 0, v27
	v_cmp_gt_i32_e64 s2, 0, v28
	v_not_b32_e32 v27, v28
	v_cmp_gt_i32_e64 s3, 0, v29
	v_not_b32_e32 v28, v29
	v_not_b32_e32 v29, v31
	s_delay_alu instid0(VALU_DEP_2) | instskip(NEXT) | instid1(VALU_DEP_2)
	v_dual_ashrrev_i32 v28, 31, v28 :: v_dual_bitop2_b32 v26, vcc_lo, v26 bitop3:0x14
	v_dual_ashrrev_i32 v29, 31, v29 :: v_dual_lshlrev_b32 v32, 27, v3
	v_dual_lshlrev_b32 v33, 26, v3 :: v_dual_lshlrev_b32 v34, 25, v3
	v_lshlrev_b32_e32 v35, 24, v3
	v_cmp_gt_i32_e64 s4, 0, v31
	s_delay_alu instid0(VALU_DEP_4)
	v_cmp_gt_i32_e64 s5, 0, v32
	v_not_b32_e32 v31, v32
	v_not_b32_e32 v32, v33
	v_ashrrev_i32_e32 v27, 31, v27
	v_cmp_gt_i32_e64 s6, 0, v33
	v_cmp_gt_i32_e64 s7, 0, v34
	v_not_b32_e32 v33, v34
	v_not_b32_e32 v34, v35
	v_dual_ashrrev_i32 v32, 31, v32 :: v_dual_bitop2_b32 v27, s2, v27 bitop3:0x14
	v_dual_ashrrev_i32 v31, 31, v31 :: v_dual_bitop2_b32 v28, s3, v28 bitop3:0x14
	v_xor_b32_e32 v29, s4, v29
	v_cmp_gt_i32_e64 s8, 0, v35
	s_delay_alu instid0(VALU_DEP_4) | instskip(NEXT) | instid1(VALU_DEP_4)
	v_bitop3_b32 v26, v26, v27, exec_lo bitop3:0x80
	v_dual_ashrrev_i32 v27, 31, v33 :: v_dual_bitop2_b32 v31, s5, v31 bitop3:0x14
	v_dual_ashrrev_i32 v33, 31, v34 :: v_dual_bitop2_b32 v32, s6, v32 bitop3:0x14
	s_delay_alu instid0(VALU_DEP_3) | instskip(SKIP_1) | instid1(VALU_DEP_4)
	v_bitop3_b32 v26, v26, v29, v28 bitop3:0x80
	v_mad_u32_u24 v28, 0x44, v3, v2
	v_xor_b32_e32 v3, s7, v27
	s_delay_alu instid0(VALU_DEP_4) | instskip(NEXT) | instid1(VALU_DEP_4)
	v_xor_b32_e32 v27, s8, v33
	v_bitop3_b32 v29, v26, v32, v31 bitop3:0x80
	ds_load_b32 v26, v28 offset:64
	; wave barrier
	v_bitop3_b32 v3, v29, v27, v3 bitop3:0x80
	s_delay_alu instid0(VALU_DEP_1) | instskip(SKIP_1) | instid1(VALU_DEP_2)
	v_mbcnt_lo_u32_b32 v27, v3, 0
	v_cmp_ne_u32_e64 s2, 0, v3
	v_cmp_eq_u32_e32 vcc_lo, 0, v27
	s_and_b32 s3, s2, vcc_lo
	s_delay_alu instid0(SALU_CYCLE_1)
	s_and_saveexec_b32 s2, s3
	s_cbranch_execz .LBB1982_33
; %bb.32:
	s_wait_dscnt 0x0
	v_bcnt_u32_b32 v3, v3, v26
	ds_store_b32 v28, v3 offset:64
.LBB1982_33:
	s_or_b32 exec_lo, exec_lo, s2
	v_cmp_gt_i16_e32 vcc_lo, 0, v25
	; wave barrier
	v_cndmask_b32_e64 v3, 0x7fff, 0, vcc_lo
	s_delay_alu instid0(VALU_DEP_1) | instskip(NEXT) | instid1(VALU_DEP_1)
	v_xor_b32_e32 v25, v3, v25
	v_cmp_ne_u16_e32 vcc_lo, 0x8000, v25
	v_cndmask_b32_e32 v3, 0x7fff, v25, vcc_lo
	s_delay_alu instid0(VALU_DEP_1) | instskip(NEXT) | instid1(VALU_DEP_1)
	v_and_b32_e32 v3, 0xffff, v3
	v_lshrrev_b32_e32 v3, s20, v3
	s_delay_alu instid0(VALU_DEP_1) | instskip(SKIP_1) | instid1(VALU_DEP_2)
	v_bitop3_b32 v29, v3, 1, s25 bitop3:0x80
	v_and_b32_e32 v3, s25, v3
	v_add_co_u32 v29, s2, v29, -1
	s_delay_alu instid0(VALU_DEP_1) | instskip(NEXT) | instid1(VALU_DEP_3)
	v_cndmask_b32_e64 v31, 0, 1, s2
	v_dual_lshlrev_b32 v32, 30, v3 :: v_dual_lshlrev_b32 v33, 29, v3
	v_lshlrev_b32_e32 v34, 28, v3
	s_delay_alu instid0(VALU_DEP_3) | instskip(NEXT) | instid1(VALU_DEP_3)
	v_cmp_ne_u32_e32 vcc_lo, 0, v31
	v_cmp_gt_i32_e64 s2, 0, v32
	v_not_b32_e32 v31, v32
	v_cmp_gt_i32_e64 s3, 0, v33
	v_not_b32_e32 v32, v33
	v_not_b32_e32 v33, v34
	s_delay_alu instid0(VALU_DEP_2) | instskip(NEXT) | instid1(VALU_DEP_2)
	v_dual_ashrrev_i32 v32, 31, v32 :: v_dual_bitop2_b32 v29, vcc_lo, v29 bitop3:0x14
	v_dual_ashrrev_i32 v33, 31, v33 :: v_dual_lshlrev_b32 v35, 27, v3
	v_dual_lshlrev_b32 v36, 26, v3 :: v_dual_lshlrev_b32 v37, 25, v3
	v_lshlrev_b32_e32 v38, 24, v3
	v_cmp_gt_i32_e64 s4, 0, v34
	s_delay_alu instid0(VALU_DEP_4)
	v_not_b32_e32 v34, v35
	v_ashrrev_i32_e32 v31, 31, v31
	v_cmp_gt_i32_e64 s5, 0, v35
	v_cmp_gt_i32_e64 s6, 0, v36
	v_not_b32_e32 v35, v36
	v_cmp_gt_i32_e64 s7, 0, v37
	v_not_b32_e32 v36, v37
	v_not_b32_e32 v37, v38
	v_dual_ashrrev_i32 v34, 31, v34 :: v_dual_bitop2_b32 v31, s2, v31 bitop3:0x14
	v_dual_ashrrev_i32 v35, 31, v35 :: v_dual_bitop2_b32 v32, s3, v32 bitop3:0x14
	v_xor_b32_e32 v33, s4, v33
	v_cmp_gt_i32_e64 s8, 0, v38
	s_delay_alu instid0(VALU_DEP_4) | instskip(SKIP_3) | instid1(VALU_DEP_4)
	v_bitop3_b32 v29, v29, v31, exec_lo bitop3:0x80
	v_dual_ashrrev_i32 v31, 31, v36 :: v_dual_ashrrev_i32 v36, 31, v37
	v_xor_b32_e32 v34, s5, v34
	v_xor_b32_e32 v35, s6, v35
	v_bitop3_b32 v29, v29, v33, v32 bitop3:0x80
	v_mad_u32_u24 v32, 0x44, v3, v2
	v_xor_b32_e32 v3, s7, v31
	v_xor_b32_e32 v31, s8, v36
	s_delay_alu instid0(VALU_DEP_4) | instskip(SKIP_2) | instid1(VALU_DEP_1)
	v_bitop3_b32 v33, v29, v35, v34 bitop3:0x80
	ds_load_b32 v29, v32 offset:64
	; wave barrier
	v_bitop3_b32 v3, v33, v31, v3 bitop3:0x80
	v_mbcnt_lo_u32_b32 v31, v3, 0
	v_cmp_ne_u32_e64 s2, 0, v3
	s_delay_alu instid0(VALU_DEP_2) | instskip(SKIP_1) | instid1(SALU_CYCLE_1)
	v_cmp_eq_u32_e32 vcc_lo, 0, v31
	s_and_b32 s3, s2, vcc_lo
	s_and_saveexec_b32 s2, s3
	s_cbranch_execz .LBB1982_35
; %bb.34:
	s_wait_dscnt 0x0
	v_bcnt_u32_b32 v3, v3, v29
	ds_store_b32 v32, v3 offset:64
.LBB1982_35:
	s_or_b32 exec_lo, exec_lo, s2
	v_cmp_gt_i16_e32 vcc_lo, 0, v30
	; wave barrier
	v_cndmask_b32_e64 v3, 0x7fff, 0, vcc_lo
	s_delay_alu instid0(VALU_DEP_1) | instskip(NEXT) | instid1(VALU_DEP_1)
	v_xor_b32_e32 v30, v3, v30
	v_cmp_ne_u16_e32 vcc_lo, 0x8000, v30
	v_cndmask_b32_e32 v3, 0x7fff, v30, vcc_lo
	s_delay_alu instid0(VALU_DEP_1) | instskip(NEXT) | instid1(VALU_DEP_1)
	v_and_b32_e32 v3, 0xffff, v3
	v_lshrrev_b32_e32 v3, s20, v3
	s_delay_alu instid0(VALU_DEP_1) | instskip(SKIP_1) | instid1(VALU_DEP_2)
	v_bitop3_b32 v33, v3, 1, s25 bitop3:0x80
	v_and_b32_e32 v3, s25, v3
	v_add_co_u32 v33, s2, v33, -1
	s_delay_alu instid0(VALU_DEP_1) | instskip(NEXT) | instid1(VALU_DEP_3)
	v_cndmask_b32_e64 v34, 0, 1, s2
	v_lshlrev_b32_e32 v35, 30, v3
	s_delay_alu instid0(VALU_DEP_2) | instskip(NEXT) | instid1(VALU_DEP_2)
	v_cmp_ne_u32_e32 vcc_lo, 0, v34
	v_not_b32_e32 v34, v35
	s_delay_alu instid0(VALU_DEP_1) | instskip(SKIP_4) | instid1(VALU_DEP_4)
	v_dual_ashrrev_i32 v34, 31, v34 :: v_dual_bitop2_b32 v33, vcc_lo, v33 bitop3:0x14
	v_dual_lshlrev_b32 v36, 29, v3 :: v_dual_lshlrev_b32 v37, 28, v3
	v_dual_lshlrev_b32 v38, 27, v3 :: v_dual_lshlrev_b32 v39, 26, v3
	v_lshlrev_b32_e32 v40, 25, v3
	v_cmp_gt_i32_e64 s2, 0, v35
	v_cmp_gt_i32_e64 s3, 0, v36
	v_not_b32_e32 v35, v36
	v_not_b32_e32 v36, v37
	v_lshlrev_b32_e32 v41, 24, v3
	v_cmp_gt_i32_e64 s4, 0, v37
	v_cmp_gt_i32_e64 s5, 0, v38
	v_not_b32_e32 v37, v38
	v_not_b32_e32 v38, v39
	v_dual_ashrrev_i32 v35, 31, v35 :: v_dual_bitop2_b32 v34, s2, v34 bitop3:0x14
	v_ashrrev_i32_e32 v36, 31, v36
	v_cmp_gt_i32_e64 s6, 0, v39
	v_cmp_gt_i32_e64 s7, 0, v40
	v_not_b32_e32 v39, v40
	v_not_b32_e32 v40, v41
	v_dual_ashrrev_i32 v37, 31, v37 :: v_dual_ashrrev_i32 v38, 31, v38
	v_xor_b32_e32 v35, s3, v35
	v_xor_b32_e32 v36, s4, v36
	v_bitop3_b32 v33, v33, v34, exec_lo bitop3:0x80
	v_cmp_gt_i32_e64 s8, 0, v41
	v_dual_ashrrev_i32 v34, 31, v39 :: v_dual_ashrrev_i32 v39, 31, v40
	v_xor_b32_e32 v37, s5, v37
	v_xor_b32_e32 v38, s6, v38
	v_bitop3_b32 v33, v33, v36, v35 bitop3:0x80
	v_mad_u32_u24 v36, 0x44, v3, v2
	v_xor_b32_e32 v3, s7, v34
	v_xor_b32_e32 v34, s8, v39
	s_delay_alu instid0(VALU_DEP_4) | instskip(SKIP_2) | instid1(VALU_DEP_1)
	v_bitop3_b32 v35, v33, v38, v37 bitop3:0x80
	ds_load_b32 v33, v36 offset:64
	; wave barrier
	v_bitop3_b32 v3, v35, v34, v3 bitop3:0x80
	v_mbcnt_lo_u32_b32 v34, v3, 0
	v_cmp_ne_u32_e64 s2, 0, v3
	s_delay_alu instid0(VALU_DEP_2) | instskip(SKIP_1) | instid1(SALU_CYCLE_1)
	v_cmp_eq_u32_e32 vcc_lo, 0, v34
	s_and_b32 s3, s2, vcc_lo
	s_and_saveexec_b32 s2, s3
	s_cbranch_execz .LBB1982_37
; %bb.36:
	s_wait_dscnt 0x0
	v_bcnt_u32_b32 v3, v3, v33
	ds_store_b32 v36, v3 offset:64
.LBB1982_37:
	s_or_b32 exec_lo, exec_lo, s2
	v_cmp_gt_i16_e32 vcc_lo, 0, v9
	; wave barrier
	v_cndmask_b32_e64 v3, 0x7fff, 0, vcc_lo
	s_delay_alu instid0(VALU_DEP_1) | instskip(NEXT) | instid1(VALU_DEP_1)
	v_xor_b32_e32 v35, v3, v9
	v_cmp_ne_u16_e32 vcc_lo, 0x8000, v35
	v_cndmask_b32_e32 v3, 0x7fff, v35, vcc_lo
	s_delay_alu instid0(VALU_DEP_1) | instskip(NEXT) | instid1(VALU_DEP_1)
	v_and_b32_e32 v3, 0xffff, v3
	v_lshrrev_b32_e32 v3, s20, v3
	s_delay_alu instid0(VALU_DEP_1) | instskip(SKIP_1) | instid1(VALU_DEP_2)
	v_bitop3_b32 v9, v3, 1, s25 bitop3:0x80
	v_and_b32_e32 v3, s25, v3
	v_add_co_u32 v9, s2, v9, -1
	s_delay_alu instid0(VALU_DEP_1) | instskip(NEXT) | instid1(VALU_DEP_3)
	v_cndmask_b32_e64 v37, 0, 1, s2
	v_lshlrev_b32_e32 v38, 30, v3
	s_delay_alu instid0(VALU_DEP_2) | instskip(NEXT) | instid1(VALU_DEP_2)
	v_cmp_ne_u32_e32 vcc_lo, 0, v37
	v_not_b32_e32 v37, v38
	v_xor_b32_e32 v9, vcc_lo, v9
	s_delay_alu instid0(VALU_DEP_2) | instskip(SKIP_3) | instid1(VALU_DEP_4)
	v_dual_ashrrev_i32 v37, 31, v37 :: v_dual_lshlrev_b32 v39, 29, v3
	v_dual_lshlrev_b32 v40, 28, v3 :: v_dual_lshlrev_b32 v41, 27, v3
	v_dual_lshlrev_b32 v42, 26, v3 :: v_dual_lshlrev_b32 v43, 25, v3
	v_cmp_gt_i32_e64 s2, 0, v38
	v_cmp_gt_i32_e64 s3, 0, v39
	v_not_b32_e32 v38, v39
	v_not_b32_e32 v39, v40
	v_lshlrev_b32_e32 v44, 24, v3
	v_cmp_gt_i32_e64 s4, 0, v40
	v_cmp_gt_i32_e64 s5, 0, v41
	v_not_b32_e32 v40, v41
	v_not_b32_e32 v41, v42
	v_dual_ashrrev_i32 v38, 31, v38 :: v_dual_ashrrev_i32 v39, 31, v39
	v_xor_b32_e32 v37, s2, v37
	v_cmp_gt_i32_e64 s6, 0, v42
	v_cmp_gt_i32_e64 s7, 0, v43
	v_not_b32_e32 v42, v43
	v_not_b32_e32 v43, v44
	v_dual_ashrrev_i32 v40, 31, v40 :: v_dual_ashrrev_i32 v41, 31, v41
	v_xor_b32_e32 v38, s3, v38
	v_xor_b32_e32 v39, s4, v39
	v_bitop3_b32 v9, v9, v37, exec_lo bitop3:0x80
	v_cmp_gt_i32_e64 s8, 0, v44
	v_dual_ashrrev_i32 v37, 31, v42 :: v_dual_ashrrev_i32 v42, 31, v43
	v_xor_b32_e32 v43, s5, v40
	v_xor_b32_e32 v41, s6, v41
	v_bitop3_b32 v9, v9, v39, v38 bitop3:0x80
	v_mad_u32_u24 v40, 0x44, v3, v2
	v_xor_b32_e32 v3, s7, v37
	v_xor_b32_e32 v37, s8, v42
	s_delay_alu instid0(VALU_DEP_4) | instskip(SKIP_2) | instid1(VALU_DEP_1)
	v_bitop3_b32 v9, v9, v41, v43 bitop3:0x80
	ds_load_b32 v38, v40 offset:64
	; wave barrier
	v_bitop3_b32 v3, v9, v37, v3 bitop3:0x80
	v_mbcnt_lo_u32_b32 v39, v3, 0
	v_cmp_ne_u32_e64 s2, 0, v3
	s_delay_alu instid0(VALU_DEP_2) | instskip(SKIP_1) | instid1(SALU_CYCLE_1)
	v_cmp_eq_u32_e32 vcc_lo, 0, v39
	s_and_b32 s3, s2, vcc_lo
	s_and_saveexec_b32 s2, s3
	s_cbranch_execz .LBB1982_39
; %bb.38:
	s_wait_dscnt 0x0
	v_bcnt_u32_b32 v3, v3, v38
	ds_store_b32 v40, v3 offset:64
.LBB1982_39:
	s_or_b32 exec_lo, exec_lo, s2
	v_cmp_gt_i16_e32 vcc_lo, 0, v8
	; wave barrier
	v_cndmask_b32_e64 v3, 0x7fff, 0, vcc_lo
	s_delay_alu instid0(VALU_DEP_1) | instskip(NEXT) | instid1(VALU_DEP_1)
	v_xor_b32_e32 v37, v3, v8
	v_cmp_ne_u16_e32 vcc_lo, 0x8000, v37
	v_cndmask_b32_e32 v3, 0x7fff, v37, vcc_lo
	s_delay_alu instid0(VALU_DEP_1) | instskip(NEXT) | instid1(VALU_DEP_1)
	v_and_b32_e32 v3, 0xffff, v3
	v_lshrrev_b32_e32 v3, s20, v3
	s_delay_alu instid0(VALU_DEP_1) | instskip(SKIP_1) | instid1(VALU_DEP_2)
	v_bitop3_b32 v8, v3, 1, s25 bitop3:0x80
	v_and_b32_e32 v3, s25, v3
	v_add_co_u32 v8, s2, v8, -1
	s_delay_alu instid0(VALU_DEP_1) | instskip(NEXT) | instid1(VALU_DEP_3)
	v_cndmask_b32_e64 v9, 0, 1, s2
	v_lshlrev_b32_e32 v41, 30, v3
	s_delay_alu instid0(VALU_DEP_2) | instskip(NEXT) | instid1(VALU_DEP_2)
	v_cmp_ne_u32_e32 vcc_lo, 0, v9
	v_not_b32_e32 v9, v41
	s_delay_alu instid0(VALU_DEP_1) | instskip(SKIP_4) | instid1(VALU_DEP_4)
	v_dual_ashrrev_i32 v9, 31, v9 :: v_dual_bitop2_b32 v8, vcc_lo, v8 bitop3:0x14
	v_dual_lshlrev_b32 v42, 29, v3 :: v_dual_lshlrev_b32 v43, 28, v3
	v_dual_lshlrev_b32 v44, 27, v3 :: v_dual_lshlrev_b32 v45, 26, v3
	v_lshlrev_b32_e32 v46, 25, v3
	v_cmp_gt_i32_e64 s2, 0, v41
	v_cmp_gt_i32_e64 s3, 0, v42
	v_not_b32_e32 v41, v42
	v_not_b32_e32 v42, v43
	v_lshlrev_b32_e32 v47, 24, v3
	v_cmp_gt_i32_e64 s4, 0, v43
	v_cmp_gt_i32_e64 s5, 0, v44
	v_not_b32_e32 v43, v44
	v_not_b32_e32 v44, v45
	v_dual_ashrrev_i32 v41, 31, v41 :: v_dual_ashrrev_i32 v42, 31, v42
	v_xor_b32_e32 v9, s2, v9
	v_cmp_gt_i32_e64 s6, 0, v45
	v_cmp_gt_i32_e64 s7, 0, v46
	v_not_b32_e32 v45, v46
	v_not_b32_e32 v46, v47
	v_dual_ashrrev_i32 v43, 31, v43 :: v_dual_ashrrev_i32 v44, 31, v44
	v_xor_b32_e32 v41, s3, v41
	v_xor_b32_e32 v42, s4, v42
	v_bitop3_b32 v8, v8, v9, exec_lo bitop3:0x80
	v_cmp_gt_i32_e64 s8, 0, v47
	v_dual_ashrrev_i32 v9, 31, v45 :: v_dual_ashrrev_i32 v45, 31, v46
	v_xor_b32_e32 v43, s5, v43
	v_xor_b32_e32 v46, s6, v44
	v_bitop3_b32 v8, v8, v42, v41 bitop3:0x80
	v_mad_u32_u24 v44, 0x44, v3, v2
	v_xor_b32_e32 v3, s7, v9
	v_xor_b32_e32 v9, s8, v45
	s_delay_alu instid0(VALU_DEP_4) | instskip(SKIP_2) | instid1(VALU_DEP_1)
	v_bitop3_b32 v8, v8, v46, v43 bitop3:0x80
	ds_load_b32 v42, v44 offset:64
	; wave barrier
	v_bitop3_b32 v3, v8, v9, v3 bitop3:0x80
	v_mbcnt_lo_u32_b32 v43, v3, 0
	v_cmp_ne_u32_e64 s2, 0, v3
	s_delay_alu instid0(VALU_DEP_2) | instskip(SKIP_1) | instid1(SALU_CYCLE_1)
	v_cmp_eq_u32_e32 vcc_lo, 0, v43
	s_and_b32 s3, s2, vcc_lo
	s_and_saveexec_b32 s2, s3
	s_cbranch_execz .LBB1982_41
; %bb.40:
	s_wait_dscnt 0x0
	v_bcnt_u32_b32 v3, v3, v42
	ds_store_b32 v44, v3 offset:64
.LBB1982_41:
	s_or_b32 exec_lo, exec_lo, s2
	v_cmp_gt_i16_e32 vcc_lo, 0, v7
	; wave barrier
	v_cndmask_b32_e64 v3, 0x7fff, 0, vcc_lo
	s_delay_alu instid0(VALU_DEP_1) | instskip(NEXT) | instid1(VALU_DEP_1)
	v_xor_b32_e32 v41, v3, v7
	v_cmp_ne_u16_e32 vcc_lo, 0x8000, v41
	v_cndmask_b32_e32 v3, 0x7fff, v41, vcc_lo
	s_delay_alu instid0(VALU_DEP_1) | instskip(NEXT) | instid1(VALU_DEP_1)
	v_and_b32_e32 v3, 0xffff, v3
	v_lshrrev_b32_e32 v3, s20, v3
	s_delay_alu instid0(VALU_DEP_1) | instskip(SKIP_1) | instid1(VALU_DEP_2)
	v_bitop3_b32 v7, v3, 1, s25 bitop3:0x80
	v_and_b32_e32 v3, s25, v3
	v_add_co_u32 v7, s2, v7, -1
	s_delay_alu instid0(VALU_DEP_1) | instskip(NEXT) | instid1(VALU_DEP_3)
	v_cndmask_b32_e64 v8, 0, 1, s2
	v_dual_lshlrev_b32 v9, 30, v3 :: v_dual_lshlrev_b32 v45, 29, v3
	v_lshlrev_b32_e32 v46, 28, v3
	s_delay_alu instid0(VALU_DEP_3) | instskip(NEXT) | instid1(VALU_DEP_3)
	v_cmp_ne_u32_e32 vcc_lo, 0, v8
	v_cmp_gt_i32_e64 s2, 0, v9
	v_not_b32_e32 v8, v9
	v_cmp_gt_i32_e64 s3, 0, v45
	v_not_b32_e32 v9, v45
	v_not_b32_e32 v45, v46
	s_delay_alu instid0(VALU_DEP_2) | instskip(NEXT) | instid1(VALU_DEP_2)
	v_dual_ashrrev_i32 v8, 31, v8 :: v_dual_ashrrev_i32 v9, 31, v9
	v_dual_ashrrev_i32 v45, 31, v45 :: v_dual_lshlrev_b32 v47, 27, v3
	v_dual_lshlrev_b32 v48, 26, v3 :: v_dual_lshlrev_b32 v49, 25, v3
	s_delay_alu instid0(VALU_DEP_3) | instskip(SKIP_1) | instid1(VALU_DEP_4)
	v_dual_lshlrev_b32 v50, 24, v3 :: v_dual_bitop2_b32 v8, s2, v8 bitop3:0x14
	v_cmp_gt_i32_e64 s4, 0, v46
	v_cmp_gt_i32_e64 s5, 0, v47
	v_not_b32_e32 v46, v47
	v_cmp_gt_i32_e64 s6, 0, v48
	v_not_b32_e32 v47, v48
	v_not_b32_e32 v48, v49
	v_xor_b32_e32 v7, vcc_lo, v7
	v_cmp_gt_i32_e64 s7, 0, v49
	v_not_b32_e32 v49, v50
	v_dual_ashrrev_i32 v46, 31, v46 :: v_dual_ashrrev_i32 v47, 31, v47
	v_xor_b32_e32 v9, s3, v9
	v_xor_b32_e32 v45, s4, v45
	v_bitop3_b32 v7, v7, v8, exec_lo bitop3:0x80
	v_cmp_gt_i32_e64 s8, 0, v50
	v_dual_ashrrev_i32 v8, 31, v48 :: v_dual_ashrrev_i32 v49, 31, v49
	v_xor_b32_e32 v46, s5, v46
	v_xor_b32_e32 v47, s6, v47
	v_bitop3_b32 v7, v7, v45, v9 bitop3:0x80
	v_mad_u32_u24 v48, 0x44, v3, v2
	v_xor_b32_e32 v3, s7, v8
	v_xor_b32_e32 v8, s8, v49
	s_delay_alu instid0(VALU_DEP_4) | instskip(SKIP_2) | instid1(VALU_DEP_1)
	v_bitop3_b32 v7, v7, v47, v46 bitop3:0x80
	ds_load_b32 v46, v48 offset:64
	; wave barrier
	v_bitop3_b32 v3, v7, v8, v3 bitop3:0x80
	v_mbcnt_lo_u32_b32 v47, v3, 0
	v_cmp_ne_u32_e64 s2, 0, v3
	s_delay_alu instid0(VALU_DEP_2) | instskip(SKIP_1) | instid1(SALU_CYCLE_1)
	v_cmp_eq_u32_e32 vcc_lo, 0, v47
	s_and_b32 s3, s2, vcc_lo
	s_and_saveexec_b32 s2, s3
	s_cbranch_execz .LBB1982_43
; %bb.42:
	s_wait_dscnt 0x0
	v_bcnt_u32_b32 v3, v3, v46
	ds_store_b32 v48, v3 offset:64
.LBB1982_43:
	s_or_b32 exec_lo, exec_lo, s2
	v_cmp_gt_i16_e32 vcc_lo, 0, v6
	; wave barrier
	v_cndmask_b32_e64 v3, 0x7fff, 0, vcc_lo
	s_delay_alu instid0(VALU_DEP_1) | instskip(NEXT) | instid1(VALU_DEP_1)
	v_xor_b32_e32 v45, v3, v6
	v_cmp_ne_u16_e32 vcc_lo, 0x8000, v45
	v_cndmask_b32_e32 v3, 0x7fff, v45, vcc_lo
	s_delay_alu instid0(VALU_DEP_1) | instskip(NEXT) | instid1(VALU_DEP_1)
	v_and_b32_e32 v3, 0xffff, v3
	v_lshrrev_b32_e32 v3, s20, v3
	s_delay_alu instid0(VALU_DEP_1) | instskip(SKIP_1) | instid1(VALU_DEP_2)
	v_bitop3_b32 v6, v3, 1, s25 bitop3:0x80
	v_and_b32_e32 v3, s25, v3
	v_add_co_u32 v6, s2, v6, -1
	s_delay_alu instid0(VALU_DEP_1) | instskip(NEXT) | instid1(VALU_DEP_3)
	v_cndmask_b32_e64 v7, 0, 1, s2
	v_dual_lshlrev_b32 v8, 30, v3 :: v_dual_lshlrev_b32 v9, 29, v3
	v_lshlrev_b32_e32 v49, 28, v3
	s_delay_alu instid0(VALU_DEP_3) | instskip(NEXT) | instid1(VALU_DEP_3)
	v_cmp_ne_u32_e32 vcc_lo, 0, v7
	v_cmp_gt_i32_e64 s2, 0, v8
	v_not_b32_e32 v7, v8
	v_cmp_gt_i32_e64 s3, 0, v9
	v_not_b32_e32 v8, v9
	v_not_b32_e32 v9, v49
	s_delay_alu instid0(VALU_DEP_2) | instskip(NEXT) | instid1(VALU_DEP_2)
	v_dual_ashrrev_i32 v8, 31, v8 :: v_dual_bitop2_b32 v6, vcc_lo, v6 bitop3:0x14
	v_dual_ashrrev_i32 v9, 31, v9 :: v_dual_lshlrev_b32 v50, 27, v3
	v_dual_lshlrev_b32 v51, 26, v3 :: v_dual_lshlrev_b32 v52, 25, v3
	v_cmp_gt_i32_e64 s4, 0, v49
	v_lshlrev_b32_e32 v53, 24, v3
	s_delay_alu instid0(VALU_DEP_4) | instskip(SKIP_4) | instid1(VALU_DEP_4)
	v_not_b32_e32 v49, v50
	v_ashrrev_i32_e32 v7, 31, v7
	v_cmp_gt_i32_e64 s5, 0, v50
	v_not_b32_e32 v50, v51
	v_cmp_gt_i32_e64 s6, 0, v51
	v_dual_ashrrev_i32 v49, 31, v49 :: v_dual_bitop2_b32 v7, s2, v7 bitop3:0x14
	v_cmp_gt_i32_e64 s7, 0, v52
	v_not_b32_e32 v51, v52
	v_not_b32_e32 v52, v53
	v_dual_ashrrev_i32 v50, 31, v50 :: v_dual_bitop2_b32 v8, s3, v8 bitop3:0x14
	v_xor_b32_e32 v9, s4, v9
	v_bitop3_b32 v6, v6, v7, exec_lo bitop3:0x80
	v_cmp_gt_i32_e64 s8, 0, v53
	v_dual_ashrrev_i32 v7, 31, v51 :: v_dual_ashrrev_i32 v51, 31, v52
	v_xor_b32_e32 v49, s5, v49
	v_xor_b32_e32 v50, s6, v50
	v_bitop3_b32 v6, v6, v9, v8 bitop3:0x80
	v_mad_u32_u24 v52, 0x44, v3, v2
	v_xor_b32_e32 v3, s7, v7
	v_xor_b32_e32 v7, s8, v51
	s_delay_alu instid0(VALU_DEP_4) | instskip(SKIP_2) | instid1(VALU_DEP_1)
	v_bitop3_b32 v6, v6, v50, v49 bitop3:0x80
	ds_load_b32 v49, v52 offset:64
	; wave barrier
	v_bitop3_b32 v3, v6, v7, v3 bitop3:0x80
	v_mbcnt_lo_u32_b32 v51, v3, 0
	v_cmp_ne_u32_e64 s2, 0, v3
	s_delay_alu instid0(VALU_DEP_2) | instskip(SKIP_1) | instid1(SALU_CYCLE_1)
	v_cmp_eq_u32_e32 vcc_lo, 0, v51
	s_and_b32 s3, s2, vcc_lo
	s_and_saveexec_b32 s2, s3
	s_cbranch_execz .LBB1982_45
; %bb.44:
	s_wait_dscnt 0x0
	v_bcnt_u32_b32 v3, v3, v49
	ds_store_b32 v52, v3 offset:64
.LBB1982_45:
	s_or_b32 exec_lo, exec_lo, s2
	v_cmp_gt_i16_e32 vcc_lo, 0, v5
	; wave barrier
	v_cndmask_b32_e64 v3, 0x7fff, 0, vcc_lo
	s_delay_alu instid0(VALU_DEP_1) | instskip(NEXT) | instid1(VALU_DEP_1)
	v_xor_b32_e32 v50, v3, v5
	v_cmp_ne_u16_e32 vcc_lo, 0x8000, v50
	v_cndmask_b32_e32 v3, 0x7fff, v50, vcc_lo
	s_delay_alu instid0(VALU_DEP_1) | instskip(NEXT) | instid1(VALU_DEP_1)
	v_and_b32_e32 v3, 0xffff, v3
	v_lshrrev_b32_e32 v3, s20, v3
	s_delay_alu instid0(VALU_DEP_1) | instskip(SKIP_1) | instid1(VALU_DEP_2)
	v_bitop3_b32 v5, v3, 1, s25 bitop3:0x80
	v_and_b32_e32 v3, s25, v3
	v_add_co_u32 v5, s2, v5, -1
	s_delay_alu instid0(VALU_DEP_1) | instskip(NEXT) | instid1(VALU_DEP_3)
	v_cndmask_b32_e64 v6, 0, 1, s2
	v_lshlrev_b32_e32 v7, 30, v3
	s_delay_alu instid0(VALU_DEP_2) | instskip(NEXT) | instid1(VALU_DEP_2)
	v_cmp_ne_u32_e32 vcc_lo, 0, v6
	v_not_b32_e32 v6, v7
	s_delay_alu instid0(VALU_DEP_1) | instskip(SKIP_4) | instid1(VALU_DEP_4)
	v_dual_ashrrev_i32 v6, 31, v6 :: v_dual_bitop2_b32 v5, vcc_lo, v5 bitop3:0x14
	v_dual_lshlrev_b32 v8, 29, v3 :: v_dual_lshlrev_b32 v9, 28, v3
	v_dual_lshlrev_b32 v53, 27, v3 :: v_dual_lshlrev_b32 v54, 26, v3
	v_lshlrev_b32_e32 v55, 25, v3
	v_cmp_gt_i32_e64 s2, 0, v7
	v_cmp_gt_i32_e64 s3, 0, v8
	v_not_b32_e32 v7, v8
	v_not_b32_e32 v8, v9
	v_lshlrev_b32_e32 v56, 24, v3
	v_cmp_gt_i32_e64 s4, 0, v9
	v_cmp_gt_i32_e64 s5, 0, v53
	v_not_b32_e32 v9, v53
	v_not_b32_e32 v53, v54
	v_dual_ashrrev_i32 v7, 31, v7 :: v_dual_bitop2_b32 v6, s2, v6 bitop3:0x14
	v_ashrrev_i32_e32 v8, 31, v8
	v_cmp_gt_i32_e64 s6, 0, v54
	v_cmp_gt_i32_e64 s7, 0, v55
	v_not_b32_e32 v54, v55
	v_not_b32_e32 v55, v56
	v_dual_ashrrev_i32 v9, 31, v9 :: v_dual_bitop2_b32 v7, s3, v7 bitop3:0x14
	v_dual_ashrrev_i32 v53, 31, v53 :: v_dual_bitop2_b32 v8, s4, v8 bitop3:0x14
	v_bitop3_b32 v5, v5, v6, exec_lo bitop3:0x80
	v_cmp_gt_i32_e64 s8, 0, v56
	v_dual_ashrrev_i32 v6, 31, v54 :: v_dual_ashrrev_i32 v54, 31, v55
	v_xor_b32_e32 v9, s5, v9
	v_xor_b32_e32 v53, s6, v53
	v_bitop3_b32 v5, v5, v8, v7 bitop3:0x80
	v_mad_u32_u24 v57, 0x44, v3, v2
	v_xor_b32_e32 v3, s7, v6
	v_xor_b32_e32 v6, s8, v54
	s_delay_alu instid0(VALU_DEP_4) | instskip(SKIP_2) | instid1(VALU_DEP_1)
	v_bitop3_b32 v5, v5, v53, v9 bitop3:0x80
	ds_load_b32 v53, v57 offset:64
	; wave barrier
	v_bitop3_b32 v3, v5, v6, v3 bitop3:0x80
	v_mbcnt_lo_u32_b32 v54, v3, 0
	v_cmp_ne_u32_e64 s2, 0, v3
	s_delay_alu instid0(VALU_DEP_2) | instskip(SKIP_1) | instid1(SALU_CYCLE_1)
	v_cmp_eq_u32_e32 vcc_lo, 0, v54
	s_and_b32 s3, s2, vcc_lo
	s_and_saveexec_b32 s2, s3
	s_cbranch_execz .LBB1982_47
; %bb.46:
	s_wait_dscnt 0x0
	v_bcnt_u32_b32 v3, v3, v53
	ds_store_b32 v57, v3 offset:64
.LBB1982_47:
	s_or_b32 exec_lo, exec_lo, s2
	v_cmp_gt_i16_e32 vcc_lo, 0, v4
	; wave barrier
	v_cndmask_b32_e64 v3, 0x7fff, 0, vcc_lo
	s_delay_alu instid0(VALU_DEP_1) | instskip(NEXT) | instid1(VALU_DEP_1)
	v_xor_b32_e32 v55, v3, v4
	v_cmp_ne_u16_e32 vcc_lo, 0x8000, v55
	v_cndmask_b32_e32 v3, 0x7fff, v55, vcc_lo
	s_delay_alu instid0(VALU_DEP_1) | instskip(NEXT) | instid1(VALU_DEP_1)
	v_and_b32_e32 v3, 0xffff, v3
	v_lshrrev_b32_e32 v3, s20, v3
	s_delay_alu instid0(VALU_DEP_1) | instskip(SKIP_1) | instid1(VALU_DEP_2)
	v_bitop3_b32 v4, v3, 1, s25 bitop3:0x80
	v_and_b32_e32 v3, s25, v3
	v_add_co_u32 v4, s2, v4, -1
	s_delay_alu instid0(VALU_DEP_1) | instskip(NEXT) | instid1(VALU_DEP_3)
	v_cndmask_b32_e64 v5, 0, 1, s2
	v_lshlrev_b32_e32 v6, 30, v3
	s_delay_alu instid0(VALU_DEP_2) | instskip(NEXT) | instid1(VALU_DEP_2)
	v_cmp_ne_u32_e32 vcc_lo, 0, v5
	v_not_b32_e32 v5, v6
	s_delay_alu instid0(VALU_DEP_1) | instskip(SKIP_4) | instid1(VALU_DEP_4)
	v_dual_ashrrev_i32 v5, 31, v5 :: v_dual_bitop2_b32 v4, vcc_lo, v4 bitop3:0x14
	v_dual_lshlrev_b32 v7, 29, v3 :: v_dual_lshlrev_b32 v8, 28, v3
	v_dual_lshlrev_b32 v9, 27, v3 :: v_dual_lshlrev_b32 v56, 26, v3
	v_lshlrev_b32_e32 v58, 25, v3
	v_cmp_gt_i32_e64 s2, 0, v6
	v_cmp_gt_i32_e64 s3, 0, v7
	v_not_b32_e32 v6, v7
	v_not_b32_e32 v7, v8
	v_lshlrev_b32_e32 v59, 24, v3
	v_cmp_gt_i32_e64 s4, 0, v8
	v_cmp_gt_i32_e64 s5, 0, v9
	v_not_b32_e32 v8, v9
	v_not_b32_e32 v9, v56
	v_dual_ashrrev_i32 v6, 31, v6 :: v_dual_ashrrev_i32 v7, 31, v7
	v_xor_b32_e32 v5, s2, v5
	v_cmp_gt_i32_e64 s6, 0, v56
	v_cmp_gt_i32_e64 s7, 0, v58
	v_not_b32_e32 v56, v58
	v_not_b32_e32 v58, v59
	v_dual_ashrrev_i32 v8, 31, v8 :: v_dual_ashrrev_i32 v9, 31, v9
	v_xor_b32_e32 v6, s3, v6
	v_xor_b32_e32 v7, s4, v7
	v_bitop3_b32 v4, v4, v5, exec_lo bitop3:0x80
	v_cmp_gt_i32_e64 s8, 0, v59
	v_dual_ashrrev_i32 v5, 31, v56 :: v_dual_ashrrev_i32 v56, 31, v58
	v_xor_b32_e32 v8, s5, v8
	v_xor_b32_e32 v9, s6, v9
	v_bitop3_b32 v4, v4, v7, v6 bitop3:0x80
	v_mad_u32_u24 v59, 0x44, v3, v2
	v_xor_b32_e32 v2, s7, v5
	v_xor_b32_e32 v3, s8, v56
	s_delay_alu instid0(VALU_DEP_4) | instskip(SKIP_2) | instid1(VALU_DEP_1)
	v_bitop3_b32 v4, v4, v9, v8 bitop3:0x80
	ds_load_b32 v56, v59 offset:64
	; wave barrier
	v_bitop3_b32 v2, v4, v3, v2 bitop3:0x80
	v_mbcnt_lo_u32_b32 v58, v2, 0
	v_cmp_ne_u32_e64 s2, 0, v2
	s_delay_alu instid0(VALU_DEP_2) | instskip(SKIP_1) | instid1(SALU_CYCLE_1)
	v_cmp_eq_u32_e32 vcc_lo, 0, v58
	s_and_b32 s3, s2, vcc_lo
	s_and_saveexec_b32 s2, s3
	s_cbranch_execz .LBB1982_49
; %bb.48:
	s_wait_dscnt 0x0
	v_bcnt_u32_b32 v2, v2, v56
	ds_store_b32 v59, v2 offset:64
.LBB1982_49:
	s_or_b32 exec_lo, exec_lo, s2
	; wave barrier
	s_wait_dscnt 0x0
	s_barrier_signal -1
	s_barrier_wait -1
	ds_load_2addr_b32 v[8:9], v13 offset0:16 offset1:17
	ds_load_2addr_b32 v[6:7], v13 offset0:18 offset1:19
	;; [unrolled: 1-line block ×4, first 2 shown]
	ds_load_b32 v60, v13 offset:96
	s_mov_b32 s6, exec_lo
	s_wait_dscnt 0x3
	v_add3_u32 v61, v9, v8, v6
	s_wait_dscnt 0x2
	s_delay_alu instid0(VALU_DEP_1) | instskip(SKIP_1) | instid1(VALU_DEP_1)
	v_add3_u32 v61, v61, v7, v4
	s_wait_dscnt 0x1
	v_add3_u32 v61, v61, v5, v2
	s_wait_dscnt 0x0
	s_delay_alu instid0(VALU_DEP_1) | instskip(SKIP_1) | instid1(VALU_DEP_2)
	v_add3_u32 v60, v61, v3, v60
	v_and_b32_e32 v61, 15, v14
	v_mov_b32_dpp v62, v60 row_shr:1 row_mask:0xf bank_mask:0xf
	s_delay_alu instid0(VALU_DEP_2) | instskip(NEXT) | instid1(VALU_DEP_2)
	v_cmp_eq_u32_e32 vcc_lo, 0, v61
	v_cndmask_b32_e64 v62, v62, 0, vcc_lo
	s_delay_alu instid0(VALU_DEP_1) | instskip(SKIP_3) | instid1(VALU_DEP_4)
	v_add_nc_u32_e32 v60, v62, v60
	v_cmp_lt_u32_e64 s2, 1, v61
	v_cmp_lt_u32_e64 s3, 3, v61
	;; [unrolled: 1-line block ×3, first 2 shown]
	v_mov_b32_dpp v62, v60 row_shr:2 row_mask:0xf bank_mask:0xf
	s_delay_alu instid0(VALU_DEP_1) | instskip(NEXT) | instid1(VALU_DEP_1)
	v_cndmask_b32_e64 v62, 0, v62, s2
	v_add_nc_u32_e32 v60, v60, v62
	s_delay_alu instid0(VALU_DEP_1) | instskip(NEXT) | instid1(VALU_DEP_1)
	v_mov_b32_dpp v62, v60 row_shr:4 row_mask:0xf bank_mask:0xf
	v_cndmask_b32_e64 v62, 0, v62, s3
	s_delay_alu instid0(VALU_DEP_1) | instskip(NEXT) | instid1(VALU_DEP_1)
	v_add_nc_u32_e32 v60, v60, v62
	v_mov_b32_dpp v62, v60 row_shr:8 row_mask:0xf bank_mask:0xf
	s_delay_alu instid0(VALU_DEP_1) | instskip(SKIP_1) | instid1(VALU_DEP_2)
	v_cndmask_b32_e64 v61, 0, v62, s4
	v_bfe_i32 v62, v14, 4, 1
	v_add_nc_u32_e32 v60, v60, v61
	ds_swizzle_b32 v61, v60 offset:swizzle(BROADCAST,32,15)
	s_wait_dscnt 0x0
	v_and_b32_e32 v61, v62, v61
	v_min_u32_e32 v62, 0x1e0, v15
	s_delay_alu instid0(VALU_DEP_1) | instskip(SKIP_1) | instid1(VALU_DEP_2)
	v_dual_add_nc_u32 v60, v60, v61 :: v_dual_bitop2_b32 v62, 31, v62 bitop3:0x54
	v_lshrrev_b32_e32 v61, 5, v1
	v_cmpx_eq_u32_e64 v1, v62
; %bb.50:
	s_delay_alu instid0(VALU_DEP_2)
	v_lshlrev_b32_e32 v62, 2, v61
	ds_store_b32 v62, v60
; %bb.51:
	s_or_b32 exec_lo, exec_lo, s6
	s_delay_alu instid0(SALU_CYCLE_1)
	s_mov_b32 s6, exec_lo
	s_wait_dscnt 0x0
	s_barrier_signal -1
	s_barrier_wait -1
	v_cmpx_gt_u32_e32 16, v1
	s_cbranch_execz .LBB1982_53
; %bb.52:
	v_lshlrev_b32_e32 v62, 2, v1
	ds_load_b32 v63, v62
	s_wait_dscnt 0x0
	v_mov_b32_dpp v64, v63 row_shr:1 row_mask:0xf bank_mask:0xf
	s_delay_alu instid0(VALU_DEP_1) | instskip(NEXT) | instid1(VALU_DEP_1)
	v_cndmask_b32_e64 v64, v64, 0, vcc_lo
	v_add_nc_u32_e32 v63, v64, v63
	s_delay_alu instid0(VALU_DEP_1) | instskip(NEXT) | instid1(VALU_DEP_1)
	v_mov_b32_dpp v64, v63 row_shr:2 row_mask:0xf bank_mask:0xf
	v_cndmask_b32_e64 v64, 0, v64, s2
	s_delay_alu instid0(VALU_DEP_1) | instskip(NEXT) | instid1(VALU_DEP_1)
	v_add_nc_u32_e32 v63, v63, v64
	v_mov_b32_dpp v64, v63 row_shr:4 row_mask:0xf bank_mask:0xf
	s_delay_alu instid0(VALU_DEP_1) | instskip(NEXT) | instid1(VALU_DEP_1)
	v_cndmask_b32_e64 v64, 0, v64, s3
	v_add_nc_u32_e32 v63, v63, v64
	s_delay_alu instid0(VALU_DEP_1) | instskip(NEXT) | instid1(VALU_DEP_1)
	v_mov_b32_dpp v64, v63 row_shr:8 row_mask:0xf bank_mask:0xf
	v_cndmask_b32_e64 v64, 0, v64, s4
	s_delay_alu instid0(VALU_DEP_1)
	v_add_nc_u32_e32 v63, v63, v64
	ds_store_b32 v62, v63
.LBB1982_53:
	s_or_b32 exec_lo, exec_lo, s6
	v_mov_b32_e32 v62, 0
	s_mov_b32 s2, exec_lo
	s_wait_dscnt 0x0
	s_barrier_signal -1
	s_barrier_wait -1
	v_cmpx_lt_u32_e32 31, v1
; %bb.54:
	v_lshl_add_u32 v61, v61, 2, -4
	ds_load_b32 v62, v61
; %bb.55:
	s_or_b32 exec_lo, exec_lo, s2
	v_sub_co_u32 v61, vcc_lo, v14, 1
	s_wait_dscnt 0x0
	v_add_nc_u32_e32 v60, v62, v60
	s_delay_alu instid0(VALU_DEP_2) | instskip(NEXT) | instid1(VALU_DEP_1)
	v_cmp_gt_i32_e64 s2, 0, v61
	v_cndmask_b32_e64 v61, v61, v14, s2
	v_cmp_gt_u32_e64 s2, 0x100, v1
	s_delay_alu instid0(VALU_DEP_2) | instskip(SKIP_4) | instid1(VALU_DEP_2)
	v_lshlrev_b32_e32 v61, 2, v61
	ds_bpermute_b32 v60, v61, v60
	s_wait_dscnt 0x0
	v_cndmask_b32_e32 v60, v60, v62, vcc_lo
	v_cmp_ne_u32_e32 vcc_lo, 0, v1
	v_cndmask_b32_e32 v60, 0, v60, vcc_lo
	v_cmp_lt_u32_e32 vcc_lo, 0xff, v1
	s_delay_alu instid0(VALU_DEP_2) | instskip(NEXT) | instid1(VALU_DEP_1)
	v_add_nc_u32_e32 v8, v60, v8
	v_add_nc_u32_e32 v9, v8, v9
	s_delay_alu instid0(VALU_DEP_1) | instskip(NEXT) | instid1(VALU_DEP_1)
	v_add_nc_u32_e32 v6, v9, v6
	v_add_nc_u32_e32 v7, v6, v7
	s_delay_alu instid0(VALU_DEP_1) | instskip(NEXT) | instid1(VALU_DEP_1)
	;; [unrolled: 3-line block ×3, first 2 shown]
	v_add_nc_u32_e32 v2, v5, v2
	v_add_nc_u32_e32 v3, v2, v3
	ds_store_2addr_b32 v13, v60, v8 offset0:16 offset1:17
	ds_store_2addr_b32 v13, v9, v6 offset0:18 offset1:19
	;; [unrolled: 1-line block ×4, first 2 shown]
	ds_store_b32 v13, v3 offset:96
	s_wait_dscnt 0x0
	s_barrier_signal -1
	s_barrier_wait -1
	ds_load_b32 v61, v16 offset:64
	ds_load_b32 v62, v20 offset:64
	;; [unrolled: 1-line block ×12, first 2 shown]
	v_mov_b64_e32 v[2:3], 0
                                        ; implicit-def: $vgpr4
	s_and_saveexec_b32 s4, s2
	s_cbranch_execz .LBB1982_59
; %bb.56:
	v_mul_u32_u24_e32 v2, 0x44, v1
	v_dual_mov_b32 v3, 0x1800 :: v_dual_add_nc_u32 v4, 1, v1
	s_mov_b32 s5, exec_lo
	ds_load_b32 v2, v2 offset:64
	v_cmpx_ne_u32_e32 0x100, v4
; %bb.57:
	v_mul_u32_u24_e32 v3, 0x44, v4
	ds_load_b32 v3, v3 offset:64
; %bb.58:
	s_or_b32 exec_lo, exec_lo, s5
	s_wait_dscnt 0x0
	v_dual_mov_b32 v3, 0 :: v_dual_sub_nc_u32 v4, v3, v2
.LBB1982_59:
	s_or_b32 exec_lo, exec_lo, s4
	s_wait_dscnt 0xa
	v_dual_lshlrev_b32 v11, 1, v11 :: v_dual_lshlrev_b32 v28, 1, v62
	v_dual_lshlrev_b32 v19, 1, v19 :: v_dual_lshlrev_b32 v18, 1, v18
	v_lshlrev_b32_e32 v22, 1, v22
	s_delay_alu instid0(VALU_DEP_3)
	v_lshl_add_u32 v11, v61, 1, v11
	v_lshlrev_b32_e32 v23, 1, v23
	s_wait_dscnt 0x0
	v_add3_u32 v18, v28, v19, v18
	v_lshlrev_b32_e32 v19, 1, v60
	s_barrier_signal -1
	s_barrier_wait -1
	ds_store_b16 v11, v10 offset:2048
	ds_store_b16 v18, v12 offset:2048
	v_lshlrev_b32_e32 v11, 1, v24
	v_add3_u32 v10, v19, v23, v22
	v_dual_lshlrev_b32 v12, 1, v27 :: v_dual_lshlrev_b32 v18, 1, v26
	v_dual_lshlrev_b32 v22, 1, v29 :: v_dual_lshlrev_b32 v16, 1, v16
	;; [unrolled: 1-line block ×6, first 2 shown]
	ds_store_b16 v10, v17 offset:2048
	v_add3_u32 v10, v11, v12, v18
	v_add3_u32 v12, v16, v23, v24
	v_dual_lshlrev_b32 v16, 1, v43 :: v_dual_lshlrev_b32 v17, 1, v42
	v_add3_u32 v11, v19, v20, v22
	v_add3_u32 v13, v13, v26, v27
	ds_store_b16 v10, v21 offset:2048
	ds_store_b16 v11, v25 offset:2048
	;; [unrolled: 1-line block ×4, first 2 shown]
	v_add3_u32 v9, v9, v16, v17
	v_dual_lshlrev_b32 v8, 1, v8 :: v_dual_lshlrev_b32 v10, 1, v47
	v_dual_lshlrev_b32 v11, 1, v46 :: v_dual_lshlrev_b32 v7, 1, v7
	;; [unrolled: 1-line block ×6, first 2 shown]
	ds_store_b16 v9, v37 offset:2048
	v_add3_u32 v8, v8, v10, v11
	v_add3_u32 v9, v7, v12, v13
	;; [unrolled: 1-line block ×3, first 2 shown]
	v_dual_mov_b32 v7, 0 :: v_dual_lshlrev_b32 v5, 3, v1
	v_add3_u32 v6, v6, v16, v17
	ds_store_b16 v8, v41 offset:2048
	ds_store_b16 v9, v45 offset:2048
	;; [unrolled: 1-line block ×4, first 2 shown]
	s_and_saveexec_b32 s3, s2
	s_cbranch_execz .LBB1982_69
; %bb.60:
	v_lshl_add_u32 v6, s9, 8, v1
	v_dual_mov_b32 v10, 0 :: v_dual_bitop2_b32 v11, 2.0, v4 bitop3:0x54
	s_mov_b32 s4, 0
	s_mov_b32 s5, s9
	s_delay_alu instid0(VALU_DEP_2)
	v_lshl_add_u64 v[8:9], v[6:7], 2, s[10:11]
	global_store_b32 v6, v11, s[10:11] scale_offset scope:SCOPE_DEV
                                        ; implicit-def: $sgpr2
	s_branch .LBB1982_63
.LBB1982_61:                            ;   in Loop: Header=BB1982_63 Depth=1
	s_or_b32 exec_lo, exec_lo, s7
.LBB1982_62:                            ;   in Loop: Header=BB1982_63 Depth=1
	s_delay_alu instid0(SALU_CYCLE_1) | instskip(SKIP_2) | instid1(VALU_DEP_2)
	s_or_b32 exec_lo, exec_lo, s6
	v_and_b32_e32 v6, 0x3fffffff, v11
	v_cmp_gt_i32_e64 s2, -2.0, v11
	v_add_nc_u32_e32 v10, v6, v10
	s_and_b32 s6, exec_lo, s2
	s_delay_alu instid0(SALU_CYCLE_1) | instskip(NEXT) | instid1(SALU_CYCLE_1)
	s_or_b32 s4, s6, s4
	s_and_not1_b32 exec_lo, exec_lo, s4
	s_cbranch_execz .LBB1982_68
.LBB1982_63:                            ; =>This Loop Header: Depth=1
                                        ;     Child Loop BB1982_66 Depth 2
	s_or_b32 s2, s2, exec_lo
	s_cmp_eq_u32 s5, 0
	s_cbranch_scc1 .LBB1982_67
; %bb.64:                               ;   in Loop: Header=BB1982_63 Depth=1
	s_add_co_i32 s5, s5, -1
	s_mov_b32 s6, exec_lo
	s_wait_xcnt 0x0
	v_lshl_or_b32 v6, s5, 8, v1
	global_load_b32 v11, v6, s[10:11] scale_offset scope:SCOPE_DEV
	s_wait_loadcnt 0x0
	v_cmpx_gt_u32_e32 2.0, v11
	s_cbranch_execz .LBB1982_62
; %bb.65:                               ;   in Loop: Header=BB1982_63 Depth=1
	v_lshl_add_u64 v[12:13], v[6:7], 2, s[10:11]
	s_mov_b32 s7, 0
.LBB1982_66:                            ;   Parent Loop BB1982_63 Depth=1
                                        ; =>  This Inner Loop Header: Depth=2
	global_load_b32 v11, v[12:13], off scope:SCOPE_DEV
	s_wait_loadcnt 0x0
	v_cmp_lt_u32_e64 s2, 0x3fffffff, v11
	s_or_b32 s7, s2, s7
	s_wait_xcnt 0x0
	s_and_not1_b32 exec_lo, exec_lo, s7
	s_cbranch_execnz .LBB1982_66
	s_branch .LBB1982_61
.LBB1982_67:                            ;   in Loop: Header=BB1982_63 Depth=1
                                        ; implicit-def: $sgpr5
	s_and_b32 s6, exec_lo, s2
	s_delay_alu instid0(SALU_CYCLE_1)
	s_or_b32 s4, s6, s4
	s_wait_xcnt 0x0
	s_and_not1_b32 exec_lo, exec_lo, s4
	s_cbranch_execnz .LBB1982_63
.LBB1982_68:
	s_or_b32 exec_lo, exec_lo, s4
	v_dual_mov_b32 v11, 0 :: v_dual_add_nc_u32 v6, v10, v4
	s_delay_alu instid0(VALU_DEP_1) | instskip(SKIP_4) | instid1(VALU_DEP_1)
	v_or_b32_e32 v6, 0x80000000, v6
	global_store_b32 v[8:9], v6, off scope:SCOPE_DEV
	global_load_b64 v[6:7], v1, s[12:13] scale_offset
	v_sub_nc_u64_e32 v[8:9], v[10:11], v[2:3]
	s_wait_loadcnt 0x0
	v_add_nc_u64_e32 v[6:7], v[8:9], v[6:7]
	ds_store_b64 v5, v[6:7]
.LBB1982_69:
	s_wait_xcnt 0x0
	s_or_b32 exec_lo, exec_lo, s3
	v_mad_i32_i24 v8, v1, -6, v5
	v_lshlrev_b32_e32 v6, 1, v1
	s_mov_b32 s3, exec_lo
	s_wait_storecnt_dscnt 0x0
	s_barrier_signal -1
	s_barrier_wait -1
	v_cmpx_gt_u32_e64 s22, v1
	s_cbranch_execz .LBB1982_71
; %bb.70:
	ds_load_u16 v9, v8 offset:2048
	s_wait_dscnt 0x0
	v_cmp_ne_u16_e64 s2, 0x8000, v9
	s_delay_alu instid0(VALU_DEP_1) | instskip(SKIP_1) | instid1(VALU_DEP_2)
	v_cndmask_b32_e64 v7, 0x7fff, v9, s2
	v_cmp_gt_i16_e64 s2, 0, v9
	v_and_b32_e32 v7, 0xffff, v7
	s_delay_alu instid0(VALU_DEP_2) | instskip(NEXT) | instid1(VALU_DEP_2)
	v_cndmask_b32_e64 v12, 0x7fff, 0, s2
	v_lshrrev_b32_e32 v7, s20, v7
	s_delay_alu instid0(VALU_DEP_1) | instskip(NEXT) | instid1(VALU_DEP_1)
	v_and_b32_e32 v7, s25, v7
	v_lshlrev_b32_e32 v7, 3, v7
	ds_load_b64 v[10:11], v7
	v_mov_b32_e32 v7, 0
	s_wait_dscnt 0x0
	v_lshl_add_u64 v[10:11], v[10:11], 1, s[18:19]
	s_delay_alu instid0(VALU_DEP_1)
	v_add_nc_u64_e32 v[10:11], v[10:11], v[6:7]
	v_xor_b32_e32 v7, v12, v9
	global_store_b16 v[10:11], v7, off
.LBB1982_71:
	s_wait_xcnt 0x0
	s_or_b32 exec_lo, exec_lo, s3
	v_add_nc_u32_e32 v7, 0x200, v1
	s_mov_b32 s3, exec_lo
	s_delay_alu instid0(VALU_DEP_1)
	v_cmpx_gt_u32_e64 s22, v7
	s_cbranch_execz .LBB1982_73
; %bb.72:
	ds_load_u16 v9, v8 offset:3072
	s_wait_dscnt 0x0
	v_cmp_ne_u16_e64 s2, 0x8000, v9
	s_delay_alu instid0(VALU_DEP_1) | instskip(SKIP_1) | instid1(VALU_DEP_2)
	v_cndmask_b32_e64 v7, 0x7fff, v9, s2
	v_cmp_gt_i16_e64 s2, 0, v9
	v_and_b32_e32 v7, 0xffff, v7
	s_delay_alu instid0(VALU_DEP_2) | instskip(NEXT) | instid1(VALU_DEP_2)
	v_cndmask_b32_e64 v12, 0x7fff, 0, s2
	v_lshrrev_b32_e32 v7, s20, v7
	s_delay_alu instid0(VALU_DEP_1) | instskip(NEXT) | instid1(VALU_DEP_1)
	v_and_b32_e32 v7, s25, v7
	v_lshlrev_b32_e32 v7, 3, v7
	ds_load_b64 v[10:11], v7
	v_mov_b32_e32 v7, 0
	s_wait_dscnt 0x0
	v_lshl_add_u64 v[10:11], v[10:11], 1, s[18:19]
	s_delay_alu instid0(VALU_DEP_1)
	v_add_nc_u64_e32 v[10:11], v[10:11], v[6:7]
	v_xor_b32_e32 v7, v12, v9
	global_store_b16 v[10:11], v7, off offset:1024
.LBB1982_73:
	s_wait_xcnt 0x0
	s_or_b32 exec_lo, exec_lo, s3
	v_or_b32_e32 v7, 0x400, v1
	s_mov_b32 s3, exec_lo
	s_delay_alu instid0(VALU_DEP_1)
	v_cmpx_gt_u32_e64 s22, v7
	s_cbranch_execz .LBB1982_75
; %bb.74:
	ds_load_u16 v9, v8 offset:4096
	s_wait_dscnt 0x0
	v_cmp_ne_u16_e64 s2, 0x8000, v9
	s_delay_alu instid0(VALU_DEP_1) | instskip(SKIP_1) | instid1(VALU_DEP_2)
	v_cndmask_b32_e64 v7, 0x7fff, v9, s2
	v_cmp_gt_i16_e64 s2, 0, v9
	v_and_b32_e32 v7, 0xffff, v7
	s_delay_alu instid0(VALU_DEP_2) | instskip(NEXT) | instid1(VALU_DEP_2)
	v_cndmask_b32_e64 v12, 0x7fff, 0, s2
	v_lshrrev_b32_e32 v7, s20, v7
	s_delay_alu instid0(VALU_DEP_1) | instskip(NEXT) | instid1(VALU_DEP_1)
	v_and_b32_e32 v7, s25, v7
	v_lshlrev_b32_e32 v7, 3, v7
	ds_load_b64 v[10:11], v7
	v_mov_b32_e32 v7, 0
	s_wait_dscnt 0x0
	v_lshl_add_u64 v[10:11], v[10:11], 1, s[18:19]
	s_delay_alu instid0(VALU_DEP_1)
	v_add_nc_u64_e32 v[10:11], v[10:11], v[6:7]
	v_xor_b32_e32 v7, v12, v9
	global_store_b16 v[10:11], v7, off offset:2048
.LBB1982_75:
	s_wait_xcnt 0x0
	s_or_b32 exec_lo, exec_lo, s3
	v_add_nc_u32_e32 v7, 0x600, v1
	s_mov_b32 s3, exec_lo
	s_delay_alu instid0(VALU_DEP_1)
	v_cmpx_gt_u32_e64 s22, v7
	s_cbranch_execz .LBB1982_77
; %bb.76:
	ds_load_u16 v9, v8 offset:5120
	s_wait_dscnt 0x0
	v_cmp_ne_u16_e64 s2, 0x8000, v9
	s_delay_alu instid0(VALU_DEP_1) | instskip(SKIP_1) | instid1(VALU_DEP_2)
	v_cndmask_b32_e64 v7, 0x7fff, v9, s2
	v_cmp_gt_i16_e64 s2, 0, v9
	v_and_b32_e32 v7, 0xffff, v7
	s_delay_alu instid0(VALU_DEP_2) | instskip(NEXT) | instid1(VALU_DEP_2)
	v_cndmask_b32_e64 v12, 0x7fff, 0, s2
	v_lshrrev_b32_e32 v7, s20, v7
	s_delay_alu instid0(VALU_DEP_1) | instskip(NEXT) | instid1(VALU_DEP_1)
	v_and_b32_e32 v7, s25, v7
	v_lshlrev_b32_e32 v7, 3, v7
	ds_load_b64 v[10:11], v7
	v_mov_b32_e32 v7, 0
	s_wait_dscnt 0x0
	v_lshl_add_u64 v[10:11], v[10:11], 1, s[18:19]
	s_delay_alu instid0(VALU_DEP_1)
	v_add_nc_u64_e32 v[10:11], v[10:11], v[6:7]
	v_xor_b32_e32 v7, v12, v9
	global_store_b16 v[10:11], v7, off offset:3072
.LBB1982_77:
	s_wait_xcnt 0x0
	s_or_b32 exec_lo, exec_lo, s3
	v_or_b32_e32 v7, 0x800, v1
	s_mov_b32 s3, exec_lo
	s_delay_alu instid0(VALU_DEP_1)
	v_cmpx_gt_u32_e64 s22, v7
	s_cbranch_execz .LBB1982_79
; %bb.78:
	ds_load_u16 v9, v8 offset:6144
	s_wait_dscnt 0x0
	v_cmp_ne_u16_e64 s2, 0x8000, v9
	s_delay_alu instid0(VALU_DEP_1) | instskip(SKIP_1) | instid1(VALU_DEP_2)
	v_cndmask_b32_e64 v7, 0x7fff, v9, s2
	v_cmp_gt_i16_e64 s2, 0, v9
	v_and_b32_e32 v7, 0xffff, v7
	s_delay_alu instid0(VALU_DEP_2) | instskip(NEXT) | instid1(VALU_DEP_2)
	v_cndmask_b32_e64 v12, 0x7fff, 0, s2
	v_lshrrev_b32_e32 v7, s20, v7
	s_delay_alu instid0(VALU_DEP_1) | instskip(NEXT) | instid1(VALU_DEP_1)
	v_and_b32_e32 v7, s25, v7
	v_lshlrev_b32_e32 v7, 3, v7
	ds_load_b64 v[10:11], v7
	v_mov_b32_e32 v7, 0
	s_wait_dscnt 0x0
	v_lshl_add_u64 v[10:11], v[10:11], 1, s[18:19]
	s_delay_alu instid0(VALU_DEP_1)
	v_add_nc_u64_e32 v[10:11], v[10:11], v[6:7]
	v_xor_b32_e32 v7, v12, v9
	global_store_b16 v[10:11], v7, off offset:4096
.LBB1982_79:
	;; [unrolled: 60-line block ×5, first 2 shown]
	s_wait_xcnt 0x0
	s_or_b32 exec_lo, exec_lo, s3
	v_add_nc_u32_e32 v7, 0x1600, v1
	s_mov_b32 s3, exec_lo
	s_delay_alu instid0(VALU_DEP_1)
	v_cmpx_gt_u32_e64 s22, v7
	s_cbranch_execz .LBB1982_93
; %bb.92:
	ds_load_u16 v10, v6 offset:13312
	s_wait_dscnt 0x0
	v_cmp_ne_u16_e64 s2, 0x8000, v10
	s_delay_alu instid0(VALU_DEP_1) | instskip(SKIP_1) | instid1(VALU_DEP_2)
	v_cndmask_b32_e64 v7, 0x7fff, v10, s2
	v_cmp_gt_i16_e64 s2, 0, v10
	v_and_b32_e32 v7, 0xffff, v7
	s_delay_alu instid0(VALU_DEP_2) | instskip(NEXT) | instid1(VALU_DEP_2)
	v_cndmask_b32_e64 v11, 0x7fff, 0, s2
	v_lshrrev_b32_e32 v7, s20, v7
	s_delay_alu instid0(VALU_DEP_1) | instskip(NEXT) | instid1(VALU_DEP_1)
	v_and_b32_e32 v7, s25, v7
	v_lshlrev_b32_e32 v7, 3, v7
	ds_load_b64 v[8:9], v7
	v_mov_b32_e32 v7, 0
	s_wait_dscnt 0x0
	v_lshl_add_u64 v[8:9], v[8:9], 1, s[18:19]
	s_delay_alu instid0(VALU_DEP_1)
	v_add_nc_u64_e32 v[6:7], v[8:9], v[6:7]
	v_xor_b32_e32 v8, v11, v10
	global_store_b16 v[6:7], v8, off offset:11264
.LBB1982_93:
	s_wait_xcnt 0x0
	s_or_b32 exec_lo, exec_lo, s3
	s_add_co_i32 s23, s23, -1
	s_delay_alu instid0(SALU_CYCLE_1) | instskip(SKIP_2) | instid1(SALU_CYCLE_1)
	s_cmp_eq_u32 s9, s23
	s_cselect_b32 s2, -1, 0
	s_xor_b32 s3, vcc_lo, -1
	s_and_b32 s3, s3, s2
	s_delay_alu instid0(SALU_CYCLE_1)
	s_and_saveexec_b32 s2, s3
	s_cbranch_execz .LBB1982_95
; %bb.94:
	ds_load_b64 v[6:7], v5
	v_mov_b32_e32 v5, 0
	s_delay_alu instid0(VALU_DEP_1) | instskip(SKIP_1) | instid1(VALU_DEP_1)
	v_add_nc_u64_e32 v[2:3], v[2:3], v[4:5]
	s_wait_dscnt 0x0
	v_add_nc_u64_e32 v[2:3], v[2:3], v[6:7]
	global_store_b64 v1, v[2:3], s[14:15] scale_offset
.LBB1982_95:
	s_wait_xcnt 0x0
	s_or_b32 exec_lo, exec_lo, s2
	s_mov_b32 s2, 0
.LBB1982_96:
	s_delay_alu instid0(SALU_CYCLE_1)
	s_and_b32 vcc_lo, exec_lo, s2
	s_cbranch_vccz .LBB1982_143
; %bb.97:
	s_mov_b32 s25, 0
	v_dual_mov_b32 v9, 0 :: v_dual_lshlrev_b32 v8, 1, v14
	s_lshl_b64 s[2:3], s[24:25], 1
	v_mul_u32_u24_e32 v1, 12, v15
	s_add_nc_u64 s[2:3], s[16:17], s[2:3]
	v_bfe_u32 v17, v0, 20, 10
	v_add_nc_u64_e32 v[2:3], s[2:3], v[8:9]
	s_delay_alu instid0(VALU_DEP_3) | instskip(NEXT) | instid1(VALU_DEP_1)
	v_lshlrev_b32_e32 v8, 1, v1
	v_add_nc_u64_e32 v[12:13], v[2:3], v[8:9]
	s_clause 0xb
	global_load_u16 v8, v[12:13], off
	global_load_u16 v10, v[12:13], off offset:64
	global_load_u16 v16, v[12:13], off offset:128
	global_load_u16 v20, v[12:13], off offset:192
	global_load_u16 v24, v[12:13], off offset:256
	global_load_u16 v7, v[12:13], off offset:320
	global_load_u16 v6, v[12:13], off offset:384
	global_load_u16 v5, v[12:13], off offset:448
	global_load_u16 v4, v[12:13], off offset:512
	global_load_u16 v3, v[12:13], off offset:576
	global_load_u16 v2, v[12:13], off offset:640
	global_load_u16 v1, v[12:13], off offset:704
	s_clause 0x1
	s_load_b32 s7, s[0:1], 0x58
	s_load_u16 s2, s[0:1], 0x66
	v_bfe_u32 v13, v0, 10, 10
	v_and_b32_e32 v12, 0x3ff, v0
	s_wait_kmcnt 0x0
	s_cmp_lt_u32 s9, s7
	s_delay_alu instid0(VALU_DEP_2)
	v_mad_u32_u24 v0, v17, s2, v13
	s_cselect_b32 s24, 12, 18
	s_lshl_b32 s8, -1, s21
	s_add_nc_u64 s[0:1], s[26:27], s[24:25]
	s_load_u16 s16, s[0:1], 0x0
	s_wait_kmcnt 0x0
	v_mad_u32 v0, v0, s16, v12
	s_delay_alu instid0(VALU_DEP_1) | instskip(NEXT) | instid1(VALU_DEP_1)
	v_lshrrev_b32_e32 v0, 5, v0
	v_lshlrev_b32_e32 v0, 2, v0
	s_wait_loadcnt 0xb
	v_cmp_gt_i16_e32 vcc_lo, 0, v8
	v_cndmask_b32_e64 v11, 0x7fff, 0, vcc_lo
	s_delay_alu instid0(VALU_DEP_1) | instskip(NEXT) | instid1(VALU_DEP_1)
	v_xor_b32_e32 v8, v11, v8
	v_cmp_ne_u16_e32 vcc_lo, 0x8000, v8
	v_cndmask_b32_e32 v11, 0x7fff, v8, vcc_lo
	s_delay_alu instid0(VALU_DEP_1) | instskip(NEXT) | instid1(VALU_DEP_1)
	v_and_b32_e32 v11, 0xffff, v11
	v_lshrrev_b32_e32 v11, s20, v11
	s_delay_alu instid0(VALU_DEP_1) | instskip(SKIP_2) | instid1(VALU_DEP_2)
	v_bitop3_b32 v13, v11, 1, s8 bitop3:0x40
	v_bitop3_b32 v18, v11, s8, v11 bitop3:0x30
	s_not_b32 s8, s8
	v_add_co_u32 v11, s0, v13, -1
	s_delay_alu instid0(VALU_DEP_1) | instskip(NEXT) | instid1(VALU_DEP_3)
	v_cndmask_b32_e64 v13, 0, 1, s0
	v_dual_lshlrev_b32 v17, 30, v18 :: v_dual_lshlrev_b32 v19, 29, v18
	v_dual_lshlrev_b32 v21, 28, v18 :: v_dual_lshlrev_b32 v22, 27, v18
	s_delay_alu instid0(VALU_DEP_3) | instskip(NEXT) | instid1(VALU_DEP_3)
	v_cmp_ne_u32_e32 vcc_lo, 0, v13
	v_not_b32_e32 v13, v17
	v_dual_lshlrev_b32 v23, 26, v18 :: v_dual_lshlrev_b32 v25, 25, v18
	v_lshlrev_b32_e32 v26, 24, v18
	v_cmp_gt_i32_e64 s0, 0, v17
	v_cmp_gt_i32_e64 s1, 0, v19
	v_not_b32_e32 v17, v19
	v_not_b32_e32 v19, v21
	v_ashrrev_i32_e32 v13, 31, v13
	v_cmp_gt_i32_e64 s2, 0, v21
	v_cmp_gt_i32_e64 s3, 0, v22
	v_not_b32_e32 v21, v22
	v_not_b32_e32 v22, v23
	v_dual_ashrrev_i32 v17, 31, v17 :: v_dual_bitop2_b32 v11, vcc_lo, v11 bitop3:0x14
	v_dual_ashrrev_i32 v19, 31, v19 :: v_dual_bitop2_b32 v13, s0, v13 bitop3:0x14
	v_cmp_gt_i32_e64 s4, 0, v23
	v_cmp_gt_i32_e64 s5, 0, v25
	v_not_b32_e32 v23, v25
	v_not_b32_e32 v25, v26
	v_dual_ashrrev_i32 v21, 31, v21 :: v_dual_ashrrev_i32 v22, 31, v22
	v_xor_b32_e32 v17, s1, v17
	v_xor_b32_e32 v19, s2, v19
	v_bitop3_b32 v11, v11, v13, exec_lo bitop3:0x80
	v_cmp_gt_i32_e64 s6, 0, v26
	v_dual_ashrrev_i32 v13, 31, v23 :: v_dual_ashrrev_i32 v23, 31, v25
	v_xor_b32_e32 v21, s3, v21
	v_xor_b32_e32 v22, s4, v22
	v_bitop3_b32 v11, v11, v19, v17 bitop3:0x80
	s_delay_alu instid0(VALU_DEP_4) | instskip(SKIP_1) | instid1(VALU_DEP_3)
	v_xor_b32_e32 v13, s5, v13
	v_xor_b32_e32 v17, s6, v23
	v_bitop3_b32 v19, v11, v22, v21 bitop3:0x80
	v_mul_u32_u24_e32 v11, 36, v12
	ds_store_2addr_b32 v11, v9, v9 offset0:16 offset1:17
	ds_store_2addr_b32 v11, v9, v9 offset0:18 offset1:19
	ds_store_2addr_b32 v11, v9, v9 offset0:20 offset1:21
	ds_store_2addr_b32 v11, v9, v9 offset0:22 offset1:23
	v_bitop3_b32 v17, v19, v17, v13 bitop3:0x80
	ds_store_b32 v11, v9 offset:96
	v_mad_u32_u24 v13, 0x44, v18, v0
	s_wait_storecnt 0x0
	s_wait_loadcnt_dscnt 0x0
	s_barrier_signal -1
	v_mbcnt_lo_u32_b32 v9, v17, 0
	v_cmp_ne_u32_e64 s0, 0, v17
	s_barrier_wait -1
	s_delay_alu instid0(VALU_DEP_2) | instskip(SKIP_1) | instid1(SALU_CYCLE_1)
	v_cmp_eq_u32_e32 vcc_lo, 0, v9
	; wave barrier
	s_and_b32 s1, s0, vcc_lo
	s_and_saveexec_b32 s0, s1
; %bb.98:
	v_bcnt_u32_b32 v17, v17, 0
	ds_store_b32 v13, v17 offset:64
; %bb.99:
	s_or_b32 exec_lo, exec_lo, s0
	v_cmp_gt_i16_e32 vcc_lo, 0, v10
	; wave barrier
	v_cndmask_b32_e64 v17, 0x7fff, 0, vcc_lo
	s_delay_alu instid0(VALU_DEP_1) | instskip(NEXT) | instid1(VALU_DEP_1)
	v_xor_b32_e32 v10, v17, v10
	v_cmp_ne_u16_e32 vcc_lo, 0x8000, v10
	v_cndmask_b32_e32 v17, 0x7fff, v10, vcc_lo
	s_delay_alu instid0(VALU_DEP_1) | instskip(NEXT) | instid1(VALU_DEP_1)
	v_and_b32_e32 v17, 0xffff, v17
	v_lshrrev_b32_e32 v17, s20, v17
	s_delay_alu instid0(VALU_DEP_1) | instskip(SKIP_1) | instid1(VALU_DEP_2)
	v_bitop3_b32 v18, v17, 1, s8 bitop3:0x80
	v_and_b32_e32 v17, s8, v17
	v_add_co_u32 v18, s0, v18, -1
	s_delay_alu instid0(VALU_DEP_1) | instskip(NEXT) | instid1(VALU_DEP_3)
	v_cndmask_b32_e64 v19, 0, 1, s0
	v_lshlrev_b32_e32 v21, 30, v17
	s_delay_alu instid0(VALU_DEP_2) | instskip(NEXT) | instid1(VALU_DEP_2)
	v_cmp_ne_u32_e32 vcc_lo, 0, v19
	v_not_b32_e32 v19, v21
	s_delay_alu instid0(VALU_DEP_1) | instskip(SKIP_4) | instid1(VALU_DEP_4)
	v_dual_ashrrev_i32 v19, 31, v19 :: v_dual_bitop2_b32 v18, vcc_lo, v18 bitop3:0x14
	v_dual_lshlrev_b32 v22, 29, v17 :: v_dual_lshlrev_b32 v23, 28, v17
	v_dual_lshlrev_b32 v25, 27, v17 :: v_dual_lshlrev_b32 v26, 26, v17
	v_lshlrev_b32_e32 v27, 25, v17
	v_cmp_gt_i32_e64 s0, 0, v21
	v_cmp_gt_i32_e64 s1, 0, v22
	v_not_b32_e32 v21, v22
	v_not_b32_e32 v22, v23
	v_lshlrev_b32_e32 v28, 24, v17
	v_cmp_gt_i32_e64 s2, 0, v23
	v_cmp_gt_i32_e64 s3, 0, v25
	v_not_b32_e32 v23, v25
	v_not_b32_e32 v25, v26
	v_dual_ashrrev_i32 v21, 31, v21 :: v_dual_ashrrev_i32 v22, 31, v22
	v_xor_b32_e32 v19, s0, v19
	v_cmp_gt_i32_e64 s4, 0, v26
	v_cmp_gt_i32_e64 s5, 0, v27
	v_not_b32_e32 v26, v27
	v_not_b32_e32 v27, v28
	v_dual_ashrrev_i32 v23, 31, v23 :: v_dual_bitop2_b32 v21, s1, v21 bitop3:0x14
	v_dual_ashrrev_i32 v25, 31, v25 :: v_dual_bitop2_b32 v22, s2, v22 bitop3:0x14
	s_delay_alu instid0(VALU_DEP_3) | instskip(SKIP_4) | instid1(VALU_DEP_4)
	v_ashrrev_i32_e32 v27, 31, v27
	v_bitop3_b32 v18, v18, v19, exec_lo bitop3:0x80
	v_cmp_gt_i32_e64 s6, 0, v28
	v_dual_ashrrev_i32 v26, 31, v26 :: v_dual_bitop2_b32 v23, s3, v23 bitop3:0x14
	v_xor_b32_e32 v25, s4, v25
	v_bitop3_b32 v18, v18, v22, v21 bitop3:0x80
	v_mad_u32_u24 v19, 0x44, v17, v0
	s_delay_alu instid0(VALU_DEP_4) | instskip(SKIP_1) | instid1(VALU_DEP_4)
	v_xor_b32_e32 v21, s5, v26
	v_xor_b32_e32 v22, s6, v27
	v_bitop3_b32 v18, v18, v25, v23 bitop3:0x80
	ds_load_b32 v17, v19 offset:64
	; wave barrier
	v_bitop3_b32 v21, v18, v22, v21 bitop3:0x80
	s_delay_alu instid0(VALU_DEP_1) | instskip(SKIP_1) | instid1(VALU_DEP_2)
	v_mbcnt_lo_u32_b32 v18, v21, 0
	v_cmp_ne_u32_e64 s0, 0, v21
	v_cmp_eq_u32_e32 vcc_lo, 0, v18
	s_and_b32 s1, s0, vcc_lo
	s_delay_alu instid0(SALU_CYCLE_1)
	s_and_saveexec_b32 s0, s1
	s_cbranch_execz .LBB1982_101
; %bb.100:
	s_wait_dscnt 0x0
	v_bcnt_u32_b32 v21, v21, v17
	ds_store_b32 v19, v21 offset:64
.LBB1982_101:
	s_or_b32 exec_lo, exec_lo, s0
	v_cmp_gt_i16_e32 vcc_lo, 0, v16
	; wave barrier
	v_cndmask_b32_e64 v21, 0x7fff, 0, vcc_lo
	s_delay_alu instid0(VALU_DEP_1) | instskip(NEXT) | instid1(VALU_DEP_1)
	v_xor_b32_e32 v16, v21, v16
	v_cmp_ne_u16_e32 vcc_lo, 0x8000, v16
	v_cndmask_b32_e32 v21, 0x7fff, v16, vcc_lo
	s_delay_alu instid0(VALU_DEP_1) | instskip(NEXT) | instid1(VALU_DEP_1)
	v_and_b32_e32 v21, 0xffff, v21
	v_lshrrev_b32_e32 v21, s20, v21
	s_delay_alu instid0(VALU_DEP_1) | instskip(SKIP_1) | instid1(VALU_DEP_2)
	v_bitop3_b32 v22, v21, 1, s8 bitop3:0x80
	v_and_b32_e32 v21, s8, v21
	v_add_co_u32 v22, s0, v22, -1
	s_delay_alu instid0(VALU_DEP_1) | instskip(NEXT) | instid1(VALU_DEP_3)
	v_cndmask_b32_e64 v23, 0, 1, s0
	v_lshlrev_b32_e32 v25, 30, v21
	s_delay_alu instid0(VALU_DEP_2) | instskip(NEXT) | instid1(VALU_DEP_2)
	v_cmp_ne_u32_e32 vcc_lo, 0, v23
	v_not_b32_e32 v23, v25
	s_delay_alu instid0(VALU_DEP_1) | instskip(SKIP_4) | instid1(VALU_DEP_4)
	v_dual_ashrrev_i32 v23, 31, v23 :: v_dual_bitop2_b32 v22, vcc_lo, v22 bitop3:0x14
	v_dual_lshlrev_b32 v26, 29, v21 :: v_dual_lshlrev_b32 v27, 28, v21
	v_dual_lshlrev_b32 v28, 27, v21 :: v_dual_lshlrev_b32 v29, 26, v21
	v_lshlrev_b32_e32 v30, 25, v21
	v_cmp_gt_i32_e64 s0, 0, v25
	v_cmp_gt_i32_e64 s1, 0, v26
	v_not_b32_e32 v25, v26
	v_not_b32_e32 v26, v27
	v_lshlrev_b32_e32 v31, 24, v21
	v_cmp_gt_i32_e64 s2, 0, v27
	v_cmp_gt_i32_e64 s3, 0, v28
	v_not_b32_e32 v27, v28
	v_not_b32_e32 v28, v29
	v_dual_ashrrev_i32 v25, 31, v25 :: v_dual_bitop2_b32 v23, s0, v23 bitop3:0x14
	v_ashrrev_i32_e32 v26, 31, v26
	v_cmp_gt_i32_e64 s4, 0, v29
	v_cmp_gt_i32_e64 s5, 0, v30
	v_not_b32_e32 v29, v30
	v_not_b32_e32 v30, v31
	v_dual_ashrrev_i32 v27, 31, v27 :: v_dual_ashrrev_i32 v28, 31, v28
	v_xor_b32_e32 v25, s1, v25
	s_delay_alu instid0(VALU_DEP_4) | instskip(SKIP_4) | instid1(VALU_DEP_4)
	v_dual_ashrrev_i32 v29, 31, v29 :: v_dual_bitop2_b32 v26, s2, v26 bitop3:0x14
	v_bitop3_b32 v22, v22, v23, exec_lo bitop3:0x80
	v_cmp_gt_i32_e64 s6, 0, v31
	v_dual_ashrrev_i32 v30, 31, v30 :: v_dual_bitop2_b32 v27, s3, v27 bitop3:0x14
	v_xor_b32_e32 v28, s4, v28
	v_bitop3_b32 v22, v22, v26, v25 bitop3:0x80
	v_mad_u32_u24 v23, 0x44, v21, v0
	v_xor_b32_e32 v25, s5, v29
	v_xor_b32_e32 v26, s6, v30
	s_delay_alu instid0(VALU_DEP_4) | instskip(SKIP_2) | instid1(VALU_DEP_1)
	v_bitop3_b32 v22, v22, v28, v27 bitop3:0x80
	ds_load_b32 v21, v23 offset:64
	; wave barrier
	v_bitop3_b32 v25, v22, v26, v25 bitop3:0x80
	v_mbcnt_lo_u32_b32 v22, v25, 0
	v_cmp_ne_u32_e64 s0, 0, v25
	s_delay_alu instid0(VALU_DEP_2) | instskip(SKIP_1) | instid1(SALU_CYCLE_1)
	v_cmp_eq_u32_e32 vcc_lo, 0, v22
	s_and_b32 s1, s0, vcc_lo
	s_and_saveexec_b32 s0, s1
	s_cbranch_execz .LBB1982_103
; %bb.102:
	s_wait_dscnt 0x0
	v_bcnt_u32_b32 v25, v25, v21
	ds_store_b32 v23, v25 offset:64
.LBB1982_103:
	s_or_b32 exec_lo, exec_lo, s0
	v_cmp_gt_i16_e32 vcc_lo, 0, v20
	; wave barrier
	v_cndmask_b32_e64 v25, 0x7fff, 0, vcc_lo
	s_delay_alu instid0(VALU_DEP_1) | instskip(NEXT) | instid1(VALU_DEP_1)
	v_xor_b32_e32 v20, v25, v20
	v_cmp_ne_u16_e32 vcc_lo, 0x8000, v20
	v_cndmask_b32_e32 v25, 0x7fff, v20, vcc_lo
	s_delay_alu instid0(VALU_DEP_1) | instskip(NEXT) | instid1(VALU_DEP_1)
	v_and_b32_e32 v25, 0xffff, v25
	v_lshrrev_b32_e32 v25, s20, v25
	s_delay_alu instid0(VALU_DEP_1) | instskip(SKIP_1) | instid1(VALU_DEP_2)
	v_bitop3_b32 v26, v25, 1, s8 bitop3:0x80
	v_and_b32_e32 v25, s8, v25
	v_add_co_u32 v26, s0, v26, -1
	s_delay_alu instid0(VALU_DEP_1) | instskip(NEXT) | instid1(VALU_DEP_3)
	v_cndmask_b32_e64 v27, 0, 1, s0
	v_lshlrev_b32_e32 v28, 30, v25
	s_delay_alu instid0(VALU_DEP_2) | instskip(NEXT) | instid1(VALU_DEP_2)
	v_cmp_ne_u32_e32 vcc_lo, 0, v27
	v_not_b32_e32 v27, v28
	s_delay_alu instid0(VALU_DEP_1) | instskip(SKIP_4) | instid1(VALU_DEP_4)
	v_dual_ashrrev_i32 v27, 31, v27 :: v_dual_bitop2_b32 v26, vcc_lo, v26 bitop3:0x14
	v_dual_lshlrev_b32 v29, 29, v25 :: v_dual_lshlrev_b32 v30, 28, v25
	v_dual_lshlrev_b32 v31, 27, v25 :: v_dual_lshlrev_b32 v32, 26, v25
	v_lshlrev_b32_e32 v33, 25, v25
	v_cmp_gt_i32_e64 s0, 0, v28
	v_cmp_gt_i32_e64 s1, 0, v29
	v_not_b32_e32 v28, v29
	v_not_b32_e32 v29, v30
	v_lshlrev_b32_e32 v34, 24, v25
	v_cmp_gt_i32_e64 s2, 0, v30
	v_cmp_gt_i32_e64 s3, 0, v31
	v_not_b32_e32 v30, v31
	v_cmp_gt_i32_e64 s4, 0, v32
	v_not_b32_e32 v31, v32
	v_not_b32_e32 v32, v33
	v_dual_ashrrev_i32 v28, 31, v28 :: v_dual_ashrrev_i32 v29, 31, v29
	v_xor_b32_e32 v27, s0, v27
	v_cmp_gt_i32_e64 s5, 0, v33
	v_not_b32_e32 v33, v34
	v_dual_ashrrev_i32 v30, 31, v30 :: v_dual_ashrrev_i32 v31, 31, v31
	v_xor_b32_e32 v28, s1, v28
	v_dual_ashrrev_i32 v32, 31, v32 :: v_dual_bitop2_b32 v29, s2, v29 bitop3:0x14
	v_bitop3_b32 v26, v26, v27, exec_lo bitop3:0x80
	v_cmp_gt_i32_e64 s6, 0, v34
	v_dual_ashrrev_i32 v33, 31, v33 :: v_dual_bitop2_b32 v30, s3, v30 bitop3:0x14
	v_xor_b32_e32 v31, s4, v31
	s_delay_alu instid0(VALU_DEP_4) | instskip(SKIP_3) | instid1(VALU_DEP_4)
	v_bitop3_b32 v26, v26, v29, v28 bitop3:0x80
	v_mad_u32_u24 v27, 0x44, v25, v0
	v_xor_b32_e32 v28, s5, v32
	v_xor_b32_e32 v29, s6, v33
	v_bitop3_b32 v26, v26, v31, v30 bitop3:0x80
	ds_load_b32 v25, v27 offset:64
	; wave barrier
	v_bitop3_b32 v28, v26, v29, v28 bitop3:0x80
	s_delay_alu instid0(VALU_DEP_1) | instskip(SKIP_1) | instid1(VALU_DEP_2)
	v_mbcnt_lo_u32_b32 v26, v28, 0
	v_cmp_ne_u32_e64 s0, 0, v28
	v_cmp_eq_u32_e32 vcc_lo, 0, v26
	s_and_b32 s1, s0, vcc_lo
	s_delay_alu instid0(SALU_CYCLE_1)
	s_and_saveexec_b32 s0, s1
	s_cbranch_execz .LBB1982_105
; %bb.104:
	s_wait_dscnt 0x0
	v_bcnt_u32_b32 v28, v28, v25
	ds_store_b32 v27, v28 offset:64
.LBB1982_105:
	s_or_b32 exec_lo, exec_lo, s0
	v_cmp_gt_i16_e32 vcc_lo, 0, v24
	; wave barrier
	v_cndmask_b32_e64 v28, 0x7fff, 0, vcc_lo
	s_delay_alu instid0(VALU_DEP_1) | instskip(NEXT) | instid1(VALU_DEP_1)
	v_xor_b32_e32 v24, v28, v24
	v_cmp_ne_u16_e32 vcc_lo, 0x8000, v24
	v_cndmask_b32_e32 v28, 0x7fff, v24, vcc_lo
	s_delay_alu instid0(VALU_DEP_1) | instskip(NEXT) | instid1(VALU_DEP_1)
	v_and_b32_e32 v28, 0xffff, v28
	v_lshrrev_b32_e32 v28, s20, v28
	s_delay_alu instid0(VALU_DEP_1) | instskip(NEXT) | instid1(VALU_DEP_1)
	v_bitop3_b32 v29, v28, 1, s8 bitop3:0x80
	v_add_co_u32 v29, s0, v29, -1
	s_delay_alu instid0(VALU_DEP_1) | instskip(NEXT) | instid1(VALU_DEP_1)
	v_cndmask_b32_e64 v30, 0, 1, s0
	v_cmp_ne_u32_e32 vcc_lo, 0, v30
	s_delay_alu instid0(VALU_DEP_3) | instskip(SKIP_1) | instid1(VALU_DEP_1)
	v_xor_b32_e32 v29, vcc_lo, v29
	v_and_b32_e32 v28, s8, v28
	v_dual_lshlrev_b32 v31, 30, v28 :: v_dual_lshlrev_b32 v32, 29, v28
	v_dual_lshlrev_b32 v33, 28, v28 :: v_dual_lshlrev_b32 v34, 27, v28
	s_delay_alu instid0(VALU_DEP_2) | instskip(SKIP_1) | instid1(VALU_DEP_4)
	v_cmp_gt_i32_e64 s0, 0, v31
	v_not_b32_e32 v30, v31
	v_cmp_gt_i32_e64 s1, 0, v32
	v_not_b32_e32 v31, v32
	;; [unrolled: 2-line block ×3, first 2 shown]
	v_not_b32_e32 v33, v34
	v_ashrrev_i32_e32 v30, 31, v30
	v_cmp_gt_i32_e64 s3, 0, v34
	s_delay_alu instid0(VALU_DEP_3) | instskip(SKIP_1) | instid1(VALU_DEP_4)
	v_dual_ashrrev_i32 v31, 31, v31 :: v_dual_ashrrev_i32 v33, 31, v33
	v_dual_lshlrev_b32 v35, 26, v28 :: v_dual_lshlrev_b32 v36, 25, v28
	v_dual_lshlrev_b32 v37, 24, v28 :: v_dual_bitop2_b32 v30, s0, v30 bitop3:0x14
	s_delay_alu instid0(VALU_DEP_3) | instskip(NEXT) | instid1(VALU_DEP_3)
	v_xor_b32_e32 v33, s3, v33
	v_not_b32_e32 v34, v35
	v_ashrrev_i32_e32 v32, 31, v32
	v_cmp_gt_i32_e64 s4, 0, v35
	v_cmp_gt_i32_e64 s5, 0, v36
	v_not_b32_e32 v35, v36
	v_not_b32_e32 v36, v37
	v_dual_ashrrev_i32 v34, 31, v34 :: v_dual_bitop2_b32 v31, s1, v31 bitop3:0x14
	v_xor_b32_e32 v32, s2, v32
	v_bitop3_b32 v29, v29, v30, exec_lo bitop3:0x80
	v_cmp_gt_i32_e64 s6, 0, v37
	v_dual_ashrrev_i32 v30, 31, v35 :: v_dual_ashrrev_i32 v35, 31, v36
	v_xor_b32_e32 v34, s4, v34
	s_delay_alu instid0(VALU_DEP_4) | instskip(SKIP_1) | instid1(VALU_DEP_4)
	v_bitop3_b32 v29, v29, v32, v31 bitop3:0x80
	v_mad_u32_u24 v31, 0x44, v28, v0
	v_xor_b32_e32 v30, s5, v30
	v_xor_b32_e32 v32, s6, v35
	s_delay_alu instid0(VALU_DEP_4) | instskip(SKIP_2) | instid1(VALU_DEP_1)
	v_bitop3_b32 v29, v29, v34, v33 bitop3:0x80
	ds_load_b32 v28, v31 offset:64
	; wave barrier
	v_bitop3_b32 v29, v29, v32, v30 bitop3:0x80
	v_mbcnt_lo_u32_b32 v30, v29, 0
	v_cmp_ne_u32_e64 s0, 0, v29
	s_delay_alu instid0(VALU_DEP_2) | instskip(SKIP_1) | instid1(SALU_CYCLE_1)
	v_cmp_eq_u32_e32 vcc_lo, 0, v30
	s_and_b32 s1, s0, vcc_lo
	s_and_saveexec_b32 s0, s1
	s_cbranch_execz .LBB1982_107
; %bb.106:
	s_wait_dscnt 0x0
	v_bcnt_u32_b32 v29, v29, v28
	ds_store_b32 v31, v29 offset:64
.LBB1982_107:
	s_or_b32 exec_lo, exec_lo, s0
	v_cmp_gt_i16_e32 vcc_lo, 0, v7
	; wave barrier
	v_cndmask_b32_e64 v29, 0x7fff, 0, vcc_lo
	s_delay_alu instid0(VALU_DEP_1) | instskip(NEXT) | instid1(VALU_DEP_1)
	v_xor_b32_e32 v29, v29, v7
	v_cmp_ne_u16_e32 vcc_lo, 0x8000, v29
	v_cndmask_b32_e32 v7, 0x7fff, v29, vcc_lo
	s_delay_alu instid0(VALU_DEP_1) | instskip(NEXT) | instid1(VALU_DEP_1)
	v_and_b32_e32 v7, 0xffff, v7
	v_lshrrev_b32_e32 v7, s20, v7
	s_delay_alu instid0(VALU_DEP_1) | instskip(SKIP_1) | instid1(VALU_DEP_2)
	v_bitop3_b32 v32, v7, 1, s8 bitop3:0x80
	v_and_b32_e32 v7, s8, v7
	v_add_co_u32 v32, s0, v32, -1
	s_delay_alu instid0(VALU_DEP_1) | instskip(NEXT) | instid1(VALU_DEP_3)
	v_cndmask_b32_e64 v33, 0, 1, s0
	v_lshlrev_b32_e32 v34, 30, v7
	s_delay_alu instid0(VALU_DEP_2) | instskip(NEXT) | instid1(VALU_DEP_2)
	v_cmp_ne_u32_e32 vcc_lo, 0, v33
	v_not_b32_e32 v33, v34
	s_delay_alu instid0(VALU_DEP_1) | instskip(SKIP_4) | instid1(VALU_DEP_4)
	v_dual_ashrrev_i32 v33, 31, v33 :: v_dual_bitop2_b32 v32, vcc_lo, v32 bitop3:0x14
	v_dual_lshlrev_b32 v35, 29, v7 :: v_dual_lshlrev_b32 v36, 28, v7
	v_dual_lshlrev_b32 v37, 27, v7 :: v_dual_lshlrev_b32 v38, 26, v7
	v_lshlrev_b32_e32 v39, 25, v7
	v_cmp_gt_i32_e64 s0, 0, v34
	v_cmp_gt_i32_e64 s1, 0, v35
	v_not_b32_e32 v34, v35
	v_not_b32_e32 v35, v36
	v_lshlrev_b32_e32 v40, 24, v7
	v_cmp_gt_i32_e64 s2, 0, v36
	v_cmp_gt_i32_e64 s3, 0, v37
	v_not_b32_e32 v36, v37
	v_not_b32_e32 v37, v38
	v_dual_ashrrev_i32 v34, 31, v34 :: v_dual_ashrrev_i32 v35, 31, v35
	v_xor_b32_e32 v33, s0, v33
	v_cmp_gt_i32_e64 s4, 0, v38
	v_cmp_gt_i32_e64 s5, 0, v39
	v_not_b32_e32 v38, v39
	v_not_b32_e32 v39, v40
	v_dual_ashrrev_i32 v36, 31, v36 :: v_dual_ashrrev_i32 v37, 31, v37
	v_xor_b32_e32 v34, s1, v34
	v_xor_b32_e32 v35, s2, v35
	v_bitop3_b32 v32, v32, v33, exec_lo bitop3:0x80
	v_cmp_gt_i32_e64 s6, 0, v40
	v_dual_ashrrev_i32 v33, 31, v38 :: v_dual_ashrrev_i32 v38, 31, v39
	v_xor_b32_e32 v36, s3, v36
	v_xor_b32_e32 v37, s4, v37
	v_bitop3_b32 v32, v32, v35, v34 bitop3:0x80
	v_mad_u32_u24 v35, 0x44, v7, v0
	v_xor_b32_e32 v7, s5, v33
	v_xor_b32_e32 v33, s6, v38
	s_delay_alu instid0(VALU_DEP_4) | instskip(SKIP_2) | instid1(VALU_DEP_1)
	v_bitop3_b32 v34, v32, v37, v36 bitop3:0x80
	ds_load_b32 v32, v35 offset:64
	; wave barrier
	v_bitop3_b32 v7, v34, v33, v7 bitop3:0x80
	v_mbcnt_lo_u32_b32 v33, v7, 0
	v_cmp_ne_u32_e64 s0, 0, v7
	s_delay_alu instid0(VALU_DEP_2) | instskip(SKIP_1) | instid1(SALU_CYCLE_1)
	v_cmp_eq_u32_e32 vcc_lo, 0, v33
	s_and_b32 s1, s0, vcc_lo
	s_and_saveexec_b32 s0, s1
	s_cbranch_execz .LBB1982_109
; %bb.108:
	s_wait_dscnt 0x0
	v_bcnt_u32_b32 v7, v7, v32
	ds_store_b32 v35, v7 offset:64
.LBB1982_109:
	s_or_b32 exec_lo, exec_lo, s0
	v_cmp_gt_i16_e32 vcc_lo, 0, v6
	; wave barrier
	v_cndmask_b32_e64 v7, 0x7fff, 0, vcc_lo
	s_delay_alu instid0(VALU_DEP_1) | instskip(NEXT) | instid1(VALU_DEP_1)
	v_xor_b32_e32 v34, v7, v6
	v_cmp_ne_u16_e32 vcc_lo, 0x8000, v34
	v_cndmask_b32_e32 v6, 0x7fff, v34, vcc_lo
	s_delay_alu instid0(VALU_DEP_1) | instskip(NEXT) | instid1(VALU_DEP_1)
	v_and_b32_e32 v6, 0xffff, v6
	v_lshrrev_b32_e32 v6, s20, v6
	s_delay_alu instid0(VALU_DEP_1) | instskip(SKIP_1) | instid1(VALU_DEP_2)
	v_bitop3_b32 v7, v6, 1, s8 bitop3:0x80
	v_and_b32_e32 v6, s8, v6
	v_add_co_u32 v7, s0, v7, -1
	s_delay_alu instid0(VALU_DEP_1) | instskip(NEXT) | instid1(VALU_DEP_3)
	v_cndmask_b32_e64 v36, 0, 1, s0
	v_lshlrev_b32_e32 v37, 30, v6
	s_delay_alu instid0(VALU_DEP_2) | instskip(NEXT) | instid1(VALU_DEP_2)
	v_cmp_ne_u32_e32 vcc_lo, 0, v36
	v_not_b32_e32 v36, v37
	s_delay_alu instid0(VALU_DEP_1) | instskip(SKIP_4) | instid1(VALU_DEP_4)
	v_dual_ashrrev_i32 v36, 31, v36 :: v_dual_bitop2_b32 v7, vcc_lo, v7 bitop3:0x14
	v_dual_lshlrev_b32 v38, 29, v6 :: v_dual_lshlrev_b32 v39, 28, v6
	v_dual_lshlrev_b32 v40, 27, v6 :: v_dual_lshlrev_b32 v41, 26, v6
	v_lshlrev_b32_e32 v42, 25, v6
	v_cmp_gt_i32_e64 s0, 0, v37
	v_cmp_gt_i32_e64 s1, 0, v38
	v_not_b32_e32 v37, v38
	v_not_b32_e32 v38, v39
	v_lshlrev_b32_e32 v43, 24, v6
	v_cmp_gt_i32_e64 s2, 0, v39
	v_cmp_gt_i32_e64 s3, 0, v40
	v_not_b32_e32 v39, v40
	v_not_b32_e32 v40, v41
	v_dual_ashrrev_i32 v37, 31, v37 :: v_dual_ashrrev_i32 v38, 31, v38
	v_xor_b32_e32 v36, s0, v36
	v_cmp_gt_i32_e64 s4, 0, v41
	v_cmp_gt_i32_e64 s5, 0, v42
	v_not_b32_e32 v41, v42
	v_not_b32_e32 v42, v43
	v_dual_ashrrev_i32 v39, 31, v39 :: v_dual_ashrrev_i32 v40, 31, v40
	v_xor_b32_e32 v37, s1, v37
	v_xor_b32_e32 v38, s2, v38
	v_bitop3_b32 v7, v7, v36, exec_lo bitop3:0x80
	v_cmp_gt_i32_e64 s6, 0, v43
	v_dual_ashrrev_i32 v36, 31, v41 :: v_dual_ashrrev_i32 v41, 31, v42
	v_xor_b32_e32 v42, s3, v39
	v_xor_b32_e32 v40, s4, v40
	v_bitop3_b32 v7, v7, v38, v37 bitop3:0x80
	v_mad_u32_u24 v39, 0x44, v6, v0
	v_xor_b32_e32 v6, s5, v36
	v_xor_b32_e32 v36, s6, v41
	s_delay_alu instid0(VALU_DEP_4) | instskip(SKIP_2) | instid1(VALU_DEP_1)
	v_bitop3_b32 v7, v7, v40, v42 bitop3:0x80
	ds_load_b32 v37, v39 offset:64
	; wave barrier
	v_bitop3_b32 v6, v7, v36, v6 bitop3:0x80
	v_mbcnt_lo_u32_b32 v38, v6, 0
	v_cmp_ne_u32_e64 s0, 0, v6
	s_delay_alu instid0(VALU_DEP_2) | instskip(SKIP_1) | instid1(SALU_CYCLE_1)
	v_cmp_eq_u32_e32 vcc_lo, 0, v38
	s_and_b32 s1, s0, vcc_lo
	s_and_saveexec_b32 s0, s1
	s_cbranch_execz .LBB1982_111
; %bb.110:
	s_wait_dscnt 0x0
	v_bcnt_u32_b32 v6, v6, v37
	ds_store_b32 v39, v6 offset:64
.LBB1982_111:
	s_or_b32 exec_lo, exec_lo, s0
	v_cmp_gt_i16_e32 vcc_lo, 0, v5
	; wave barrier
	v_cndmask_b32_e64 v6, 0x7fff, 0, vcc_lo
	s_delay_alu instid0(VALU_DEP_1) | instskip(NEXT) | instid1(VALU_DEP_1)
	v_xor_b32_e32 v36, v6, v5
	v_cmp_ne_u16_e32 vcc_lo, 0x8000, v36
	v_cndmask_b32_e32 v5, 0x7fff, v36, vcc_lo
	s_delay_alu instid0(VALU_DEP_1) | instskip(NEXT) | instid1(VALU_DEP_1)
	v_and_b32_e32 v5, 0xffff, v5
	v_lshrrev_b32_e32 v5, s20, v5
	s_delay_alu instid0(VALU_DEP_1) | instskip(SKIP_1) | instid1(VALU_DEP_2)
	v_bitop3_b32 v6, v5, 1, s8 bitop3:0x80
	v_and_b32_e32 v5, s8, v5
	v_add_co_u32 v6, s0, v6, -1
	s_delay_alu instid0(VALU_DEP_1) | instskip(NEXT) | instid1(VALU_DEP_3)
	v_cndmask_b32_e64 v7, 0, 1, s0
	v_lshlrev_b32_e32 v40, 30, v5
	s_delay_alu instid0(VALU_DEP_2) | instskip(NEXT) | instid1(VALU_DEP_2)
	v_cmp_ne_u32_e32 vcc_lo, 0, v7
	v_not_b32_e32 v7, v40
	s_delay_alu instid0(VALU_DEP_1) | instskip(SKIP_4) | instid1(VALU_DEP_4)
	v_dual_ashrrev_i32 v7, 31, v7 :: v_dual_bitop2_b32 v6, vcc_lo, v6 bitop3:0x14
	v_dual_lshlrev_b32 v41, 29, v5 :: v_dual_lshlrev_b32 v42, 28, v5
	v_dual_lshlrev_b32 v43, 27, v5 :: v_dual_lshlrev_b32 v44, 26, v5
	;; [unrolled: 1-line block ×3, first 2 shown]
	v_cmp_gt_i32_e64 s0, 0, v40
	v_cmp_gt_i32_e64 s1, 0, v41
	v_not_b32_e32 v40, v41
	v_not_b32_e32 v41, v42
	v_cmp_gt_i32_e64 s2, 0, v42
	v_cmp_gt_i32_e64 s3, 0, v43
	v_not_b32_e32 v42, v43
	v_cmp_gt_i32_e64 s4, 0, v44
	v_not_b32_e32 v43, v44
	v_cmp_gt_i32_e64 s5, 0, v45
	v_not_b32_e32 v44, v45
	v_not_b32_e32 v45, v46
	v_dual_ashrrev_i32 v40, 31, v40 :: v_dual_ashrrev_i32 v41, 31, v41
	v_dual_ashrrev_i32 v42, 31, v42 :: v_dual_bitop2_b32 v7, s0, v7 bitop3:0x14
	s_delay_alu instid0(VALU_DEP_2) | instskip(NEXT) | instid1(VALU_DEP_3)
	v_dual_ashrrev_i32 v43, 31, v43 :: v_dual_bitop2_b32 v40, s1, v40 bitop3:0x14
	v_xor_b32_e32 v41, s2, v41
	s_delay_alu instid0(VALU_DEP_3)
	v_bitop3_b32 v6, v6, v7, exec_lo bitop3:0x80
	v_cmp_gt_i32_e64 s6, 0, v46
	v_dual_ashrrev_i32 v7, 31, v44 :: v_dual_ashrrev_i32 v44, 31, v45
	v_xor_b32_e32 v42, s3, v42
	v_xor_b32_e32 v45, s4, v43
	v_bitop3_b32 v6, v6, v41, v40 bitop3:0x80
	v_mad_u32_u24 v43, 0x44, v5, v0
	v_xor_b32_e32 v5, s5, v7
	v_xor_b32_e32 v7, s6, v44
	s_delay_alu instid0(VALU_DEP_4) | instskip(SKIP_2) | instid1(VALU_DEP_1)
	v_bitop3_b32 v6, v6, v45, v42 bitop3:0x80
	ds_load_b32 v41, v43 offset:64
	; wave barrier
	v_bitop3_b32 v5, v6, v7, v5 bitop3:0x80
	v_mbcnt_lo_u32_b32 v42, v5, 0
	v_cmp_ne_u32_e64 s0, 0, v5
	s_delay_alu instid0(VALU_DEP_2) | instskip(SKIP_1) | instid1(SALU_CYCLE_1)
	v_cmp_eq_u32_e32 vcc_lo, 0, v42
	s_and_b32 s1, s0, vcc_lo
	s_and_saveexec_b32 s0, s1
	s_cbranch_execz .LBB1982_113
; %bb.112:
	s_wait_dscnt 0x0
	v_bcnt_u32_b32 v5, v5, v41
	ds_store_b32 v43, v5 offset:64
.LBB1982_113:
	s_or_b32 exec_lo, exec_lo, s0
	v_cmp_gt_i16_e32 vcc_lo, 0, v4
	; wave barrier
	v_cndmask_b32_e64 v5, 0x7fff, 0, vcc_lo
	s_delay_alu instid0(VALU_DEP_1) | instskip(NEXT) | instid1(VALU_DEP_1)
	v_xor_b32_e32 v40, v5, v4
	v_cmp_ne_u16_e32 vcc_lo, 0x8000, v40
	v_cndmask_b32_e32 v4, 0x7fff, v40, vcc_lo
	s_delay_alu instid0(VALU_DEP_1) | instskip(NEXT) | instid1(VALU_DEP_1)
	v_and_b32_e32 v4, 0xffff, v4
	v_lshrrev_b32_e32 v4, s20, v4
	s_delay_alu instid0(VALU_DEP_1) | instskip(SKIP_1) | instid1(VALU_DEP_2)
	v_bitop3_b32 v5, v4, 1, s8 bitop3:0x80
	v_and_b32_e32 v4, s8, v4
	v_add_co_u32 v5, s0, v5, -1
	s_delay_alu instid0(VALU_DEP_1) | instskip(NEXT) | instid1(VALU_DEP_3)
	v_cndmask_b32_e64 v6, 0, 1, s0
	v_lshlrev_b32_e32 v7, 30, v4
	s_delay_alu instid0(VALU_DEP_2) | instskip(NEXT) | instid1(VALU_DEP_2)
	v_cmp_ne_u32_e32 vcc_lo, 0, v6
	v_not_b32_e32 v6, v7
	s_delay_alu instid0(VALU_DEP_1) | instskip(SKIP_4) | instid1(VALU_DEP_4)
	v_dual_ashrrev_i32 v6, 31, v6 :: v_dual_bitop2_b32 v5, vcc_lo, v5 bitop3:0x14
	v_dual_lshlrev_b32 v44, 29, v4 :: v_dual_lshlrev_b32 v45, 28, v4
	v_dual_lshlrev_b32 v46, 27, v4 :: v_dual_lshlrev_b32 v47, 26, v4
	v_lshlrev_b32_e32 v48, 25, v4
	v_cmp_gt_i32_e64 s0, 0, v7
	v_cmp_gt_i32_e64 s1, 0, v44
	v_not_b32_e32 v7, v44
	v_not_b32_e32 v44, v45
	v_lshlrev_b32_e32 v49, 24, v4
	v_cmp_gt_i32_e64 s2, 0, v45
	v_cmp_gt_i32_e64 s3, 0, v46
	v_not_b32_e32 v45, v46
	v_not_b32_e32 v46, v47
	v_dual_ashrrev_i32 v7, 31, v7 :: v_dual_ashrrev_i32 v44, 31, v44
	v_xor_b32_e32 v6, s0, v6
	v_cmp_gt_i32_e64 s4, 0, v47
	v_cmp_gt_i32_e64 s5, 0, v48
	v_not_b32_e32 v47, v48
	v_not_b32_e32 v48, v49
	v_dual_ashrrev_i32 v45, 31, v45 :: v_dual_ashrrev_i32 v46, 31, v46
	v_xor_b32_e32 v7, s1, v7
	v_xor_b32_e32 v44, s2, v44
	v_bitop3_b32 v5, v5, v6, exec_lo bitop3:0x80
	v_cmp_gt_i32_e64 s6, 0, v49
	v_dual_ashrrev_i32 v6, 31, v47 :: v_dual_ashrrev_i32 v48, 31, v48
	v_xor_b32_e32 v45, s3, v45
	v_xor_b32_e32 v46, s4, v46
	v_bitop3_b32 v5, v5, v44, v7 bitop3:0x80
	v_mad_u32_u24 v47, 0x44, v4, v0
	v_xor_b32_e32 v4, s5, v6
	v_xor_b32_e32 v6, s6, v48
	s_delay_alu instid0(VALU_DEP_4) | instskip(SKIP_2) | instid1(VALU_DEP_1)
	v_bitop3_b32 v5, v5, v46, v45 bitop3:0x80
	ds_load_b32 v45, v47 offset:64
	; wave barrier
	v_bitop3_b32 v4, v5, v6, v4 bitop3:0x80
	v_mbcnt_lo_u32_b32 v46, v4, 0
	v_cmp_ne_u32_e64 s0, 0, v4
	s_delay_alu instid0(VALU_DEP_2) | instskip(SKIP_1) | instid1(SALU_CYCLE_1)
	v_cmp_eq_u32_e32 vcc_lo, 0, v46
	s_and_b32 s1, s0, vcc_lo
	s_and_saveexec_b32 s0, s1
	s_cbranch_execz .LBB1982_115
; %bb.114:
	s_wait_dscnt 0x0
	v_bcnt_u32_b32 v4, v4, v45
	ds_store_b32 v47, v4 offset:64
.LBB1982_115:
	s_or_b32 exec_lo, exec_lo, s0
	v_cmp_gt_i16_e32 vcc_lo, 0, v3
	; wave barrier
	v_cndmask_b32_e64 v4, 0x7fff, 0, vcc_lo
	s_delay_alu instid0(VALU_DEP_1) | instskip(NEXT) | instid1(VALU_DEP_1)
	v_xor_b32_e32 v44, v4, v3
	v_cmp_ne_u16_e32 vcc_lo, 0x8000, v44
	v_cndmask_b32_e32 v3, 0x7fff, v44, vcc_lo
	s_delay_alu instid0(VALU_DEP_1) | instskip(NEXT) | instid1(VALU_DEP_1)
	v_and_b32_e32 v3, 0xffff, v3
	v_lshrrev_b32_e32 v3, s20, v3
	s_delay_alu instid0(VALU_DEP_1) | instskip(SKIP_1) | instid1(VALU_DEP_2)
	v_bitop3_b32 v4, v3, 1, s8 bitop3:0x80
	v_and_b32_e32 v3, s8, v3
	v_add_co_u32 v4, s0, v4, -1
	s_delay_alu instid0(VALU_DEP_1) | instskip(NEXT) | instid1(VALU_DEP_3)
	v_cndmask_b32_e64 v5, 0, 1, s0
	v_lshlrev_b32_e32 v6, 30, v3
	s_delay_alu instid0(VALU_DEP_2) | instskip(NEXT) | instid1(VALU_DEP_2)
	v_cmp_ne_u32_e32 vcc_lo, 0, v5
	v_not_b32_e32 v5, v6
	s_delay_alu instid0(VALU_DEP_1) | instskip(SKIP_4) | instid1(VALU_DEP_4)
	v_dual_ashrrev_i32 v5, 31, v5 :: v_dual_bitop2_b32 v4, vcc_lo, v4 bitop3:0x14
	v_dual_lshlrev_b32 v7, 29, v3 :: v_dual_lshlrev_b32 v48, 28, v3
	v_dual_lshlrev_b32 v49, 27, v3 :: v_dual_lshlrev_b32 v50, 26, v3
	v_lshlrev_b32_e32 v51, 25, v3
	v_cmp_gt_i32_e64 s0, 0, v6
	v_cmp_gt_i32_e64 s1, 0, v7
	v_not_b32_e32 v6, v7
	v_not_b32_e32 v7, v48
	v_lshlrev_b32_e32 v52, 24, v3
	v_cmp_gt_i32_e64 s2, 0, v48
	v_cmp_gt_i32_e64 s3, 0, v49
	v_not_b32_e32 v48, v49
	v_not_b32_e32 v49, v50
	v_dual_ashrrev_i32 v6, 31, v6 :: v_dual_ashrrev_i32 v7, 31, v7
	v_xor_b32_e32 v5, s0, v5
	v_cmp_gt_i32_e64 s4, 0, v50
	v_cmp_gt_i32_e64 s5, 0, v51
	v_not_b32_e32 v50, v51
	v_not_b32_e32 v51, v52
	v_dual_ashrrev_i32 v48, 31, v48 :: v_dual_ashrrev_i32 v49, 31, v49
	v_xor_b32_e32 v6, s1, v6
	v_xor_b32_e32 v7, s2, v7
	v_bitop3_b32 v4, v4, v5, exec_lo bitop3:0x80
	v_cmp_gt_i32_e64 s6, 0, v52
	v_dual_ashrrev_i32 v5, 31, v50 :: v_dual_ashrrev_i32 v50, 31, v51
	v_xor_b32_e32 v48, s3, v48
	v_xor_b32_e32 v49, s4, v49
	v_bitop3_b32 v4, v4, v7, v6 bitop3:0x80
	v_mad_u32_u24 v51, 0x44, v3, v0
	v_xor_b32_e32 v3, s5, v5
	v_xor_b32_e32 v5, s6, v50
	s_delay_alu instid0(VALU_DEP_4) | instskip(SKIP_2) | instid1(VALU_DEP_1)
	v_bitop3_b32 v4, v4, v49, v48 bitop3:0x80
	ds_load_b32 v48, v51 offset:64
	; wave barrier
	v_bitop3_b32 v3, v4, v5, v3 bitop3:0x80
	v_mbcnt_lo_u32_b32 v50, v3, 0
	v_cmp_ne_u32_e64 s0, 0, v3
	s_delay_alu instid0(VALU_DEP_2) | instskip(SKIP_1) | instid1(SALU_CYCLE_1)
	v_cmp_eq_u32_e32 vcc_lo, 0, v50
	s_and_b32 s1, s0, vcc_lo
	s_and_saveexec_b32 s0, s1
	s_cbranch_execz .LBB1982_117
; %bb.116:
	s_wait_dscnt 0x0
	v_bcnt_u32_b32 v3, v3, v48
	ds_store_b32 v51, v3 offset:64
.LBB1982_117:
	s_or_b32 exec_lo, exec_lo, s0
	v_cmp_gt_i16_e32 vcc_lo, 0, v2
	; wave barrier
	v_cndmask_b32_e64 v3, 0x7fff, 0, vcc_lo
	s_delay_alu instid0(VALU_DEP_1) | instskip(NEXT) | instid1(VALU_DEP_1)
	v_xor_b32_e32 v49, v3, v2
	v_cmp_ne_u16_e32 vcc_lo, 0x8000, v49
	v_cndmask_b32_e32 v2, 0x7fff, v49, vcc_lo
	s_delay_alu instid0(VALU_DEP_1) | instskip(NEXT) | instid1(VALU_DEP_1)
	v_and_b32_e32 v2, 0xffff, v2
	v_lshrrev_b32_e32 v2, s20, v2
	s_delay_alu instid0(VALU_DEP_1) | instskip(SKIP_1) | instid1(VALU_DEP_2)
	v_bitop3_b32 v3, v2, 1, s8 bitop3:0x80
	v_and_b32_e32 v2, s8, v2
	v_add_co_u32 v3, s0, v3, -1
	s_delay_alu instid0(VALU_DEP_1) | instskip(NEXT) | instid1(VALU_DEP_3)
	v_cndmask_b32_e64 v4, 0, 1, s0
	v_lshlrev_b32_e32 v5, 30, v2
	s_delay_alu instid0(VALU_DEP_2) | instskip(NEXT) | instid1(VALU_DEP_2)
	v_cmp_ne_u32_e32 vcc_lo, 0, v4
	v_not_b32_e32 v4, v5
	s_delay_alu instid0(VALU_DEP_1) | instskip(SKIP_4) | instid1(VALU_DEP_4)
	v_dual_ashrrev_i32 v4, 31, v4 :: v_dual_bitop2_b32 v3, vcc_lo, v3 bitop3:0x14
	v_dual_lshlrev_b32 v6, 29, v2 :: v_dual_lshlrev_b32 v7, 28, v2
	v_dual_lshlrev_b32 v52, 27, v2 :: v_dual_lshlrev_b32 v53, 26, v2
	;; [unrolled: 1-line block ×3, first 2 shown]
	v_cmp_gt_i32_e64 s0, 0, v5
	v_cmp_gt_i32_e64 s1, 0, v6
	v_not_b32_e32 v5, v6
	v_not_b32_e32 v6, v7
	v_cmp_gt_i32_e64 s2, 0, v7
	v_cmp_gt_i32_e64 s3, 0, v52
	v_not_b32_e32 v7, v52
	v_cmp_gt_i32_e64 s4, 0, v53
	v_not_b32_e32 v52, v53
	;; [unrolled: 2-line block ×3, first 2 shown]
	v_not_b32_e32 v54, v55
	v_dual_ashrrev_i32 v5, 31, v5 :: v_dual_ashrrev_i32 v6, 31, v6
	v_dual_ashrrev_i32 v7, 31, v7 :: v_dual_bitop2_b32 v4, s0, v4 bitop3:0x14
	s_delay_alu instid0(VALU_DEP_2) | instskip(NEXT) | instid1(VALU_DEP_3)
	v_dual_ashrrev_i32 v52, 31, v52 :: v_dual_bitop2_b32 v5, s1, v5 bitop3:0x14
	v_xor_b32_e32 v6, s2, v6
	s_delay_alu instid0(VALU_DEP_3)
	v_bitop3_b32 v3, v3, v4, exec_lo bitop3:0x80
	v_cmp_gt_i32_e64 s6, 0, v55
	v_dual_ashrrev_i32 v4, 31, v53 :: v_dual_ashrrev_i32 v53, 31, v54
	v_xor_b32_e32 v7, s3, v7
	v_xor_b32_e32 v52, s4, v52
	v_bitop3_b32 v3, v3, v6, v5 bitop3:0x80
	v_mad_u32_u24 v56, 0x44, v2, v0
	v_xor_b32_e32 v2, s5, v4
	v_xor_b32_e32 v4, s6, v53
	s_delay_alu instid0(VALU_DEP_4) | instskip(SKIP_2) | instid1(VALU_DEP_1)
	v_bitop3_b32 v3, v3, v52, v7 bitop3:0x80
	ds_load_b32 v52, v56 offset:64
	; wave barrier
	v_bitop3_b32 v2, v3, v4, v2 bitop3:0x80
	v_mbcnt_lo_u32_b32 v53, v2, 0
	v_cmp_ne_u32_e64 s0, 0, v2
	s_delay_alu instid0(VALU_DEP_2) | instskip(SKIP_1) | instid1(SALU_CYCLE_1)
	v_cmp_eq_u32_e32 vcc_lo, 0, v53
	s_and_b32 s1, s0, vcc_lo
	s_and_saveexec_b32 s0, s1
	s_cbranch_execz .LBB1982_119
; %bb.118:
	s_wait_dscnt 0x0
	v_bcnt_u32_b32 v2, v2, v52
	ds_store_b32 v56, v2 offset:64
.LBB1982_119:
	s_or_b32 exec_lo, exec_lo, s0
	v_cmp_gt_i16_e32 vcc_lo, 0, v1
	; wave barrier
	v_cndmask_b32_e64 v2, 0x7fff, 0, vcc_lo
	s_delay_alu instid0(VALU_DEP_1) | instskip(NEXT) | instid1(VALU_DEP_1)
	v_xor_b32_e32 v54, v2, v1
	v_cmp_ne_u16_e32 vcc_lo, 0x8000, v54
	v_cndmask_b32_e32 v1, 0x7fff, v54, vcc_lo
	s_delay_alu instid0(VALU_DEP_1) | instskip(NEXT) | instid1(VALU_DEP_1)
	v_and_b32_e32 v1, 0xffff, v1
	v_lshrrev_b32_e32 v1, s20, v1
	s_delay_alu instid0(VALU_DEP_1) | instskip(SKIP_1) | instid1(VALU_DEP_2)
	v_bitop3_b32 v2, v1, 1, s8 bitop3:0x80
	v_and_b32_e32 v1, s8, v1
	v_add_co_u32 v2, s0, v2, -1
	s_delay_alu instid0(VALU_DEP_1) | instskip(NEXT) | instid1(VALU_DEP_3)
	v_cndmask_b32_e64 v3, 0, 1, s0
	v_lshlrev_b32_e32 v4, 30, v1
	s_delay_alu instid0(VALU_DEP_2) | instskip(NEXT) | instid1(VALU_DEP_2)
	v_cmp_ne_u32_e32 vcc_lo, 0, v3
	v_not_b32_e32 v3, v4
	s_delay_alu instid0(VALU_DEP_1) | instskip(SKIP_4) | instid1(VALU_DEP_4)
	v_dual_ashrrev_i32 v3, 31, v3 :: v_dual_bitop2_b32 v2, vcc_lo, v2 bitop3:0x14
	v_dual_lshlrev_b32 v5, 29, v1 :: v_dual_lshlrev_b32 v6, 28, v1
	v_dual_lshlrev_b32 v7, 27, v1 :: v_dual_lshlrev_b32 v55, 26, v1
	v_lshlrev_b32_e32 v57, 25, v1
	v_cmp_gt_i32_e64 s0, 0, v4
	v_cmp_gt_i32_e64 s1, 0, v5
	v_not_b32_e32 v4, v5
	v_not_b32_e32 v5, v6
	v_lshlrev_b32_e32 v58, 24, v1
	v_cmp_gt_i32_e64 s2, 0, v6
	v_cmp_gt_i32_e64 s3, 0, v7
	v_not_b32_e32 v6, v7
	v_not_b32_e32 v7, v55
	v_dual_ashrrev_i32 v4, 31, v4 :: v_dual_ashrrev_i32 v5, 31, v5
	v_xor_b32_e32 v3, s0, v3
	v_cmp_gt_i32_e64 s4, 0, v55
	v_cmp_gt_i32_e64 s5, 0, v57
	v_not_b32_e32 v55, v57
	v_not_b32_e32 v57, v58
	v_dual_ashrrev_i32 v6, 31, v6 :: v_dual_ashrrev_i32 v7, 31, v7
	v_xor_b32_e32 v4, s1, v4
	v_xor_b32_e32 v5, s2, v5
	v_bitop3_b32 v2, v2, v3, exec_lo bitop3:0x80
	v_cmp_gt_i32_e64 s6, 0, v58
	v_dual_ashrrev_i32 v3, 31, v55 :: v_dual_ashrrev_i32 v55, 31, v57
	v_xor_b32_e32 v6, s3, v6
	v_xor_b32_e32 v7, s4, v7
	v_bitop3_b32 v2, v2, v5, v4 bitop3:0x80
	v_mad_u32_u24 v58, 0x44, v1, v0
	v_xor_b32_e32 v0, s5, v3
	v_xor_b32_e32 v1, s6, v55
	s_delay_alu instid0(VALU_DEP_4) | instskip(SKIP_2) | instid1(VALU_DEP_1)
	v_bitop3_b32 v2, v2, v7, v6 bitop3:0x80
	ds_load_b32 v55, v58 offset:64
	; wave barrier
	v_bitop3_b32 v0, v2, v1, v0 bitop3:0x80
	v_mbcnt_lo_u32_b32 v57, v0, 0
	v_cmp_ne_u32_e64 s0, 0, v0
	s_delay_alu instid0(VALU_DEP_2) | instskip(SKIP_1) | instid1(SALU_CYCLE_1)
	v_cmp_eq_u32_e32 vcc_lo, 0, v57
	s_and_b32 s1, s0, vcc_lo
	s_and_saveexec_b32 s0, s1
	s_cbranch_execz .LBB1982_121
; %bb.120:
	s_wait_dscnt 0x0
	v_bcnt_u32_b32 v0, v0, v55
	ds_store_b32 v58, v0 offset:64
.LBB1982_121:
	s_or_b32 exec_lo, exec_lo, s0
	; wave barrier
	s_wait_dscnt 0x0
	s_barrier_signal -1
	s_barrier_wait -1
	ds_load_2addr_b32 v[6:7], v11 offset0:16 offset1:17
	ds_load_2addr_b32 v[4:5], v11 offset0:18 offset1:19
	;; [unrolled: 1-line block ×4, first 2 shown]
	ds_load_b32 v59, v11 offset:96
	v_min_u32_e32 v15, 0x1e0, v15
	s_mov_b32 s4, exec_lo
	s_wait_dscnt 0x3
	v_add3_u32 v60, v7, v6, v4
	s_wait_dscnt 0x2
	s_delay_alu instid0(VALU_DEP_1) | instskip(SKIP_1) | instid1(VALU_DEP_1)
	v_add3_u32 v60, v60, v5, v2
	s_wait_dscnt 0x1
	v_add3_u32 v60, v60, v3, v0
	s_wait_dscnt 0x0
	s_delay_alu instid0(VALU_DEP_1) | instskip(SKIP_1) | instid1(VALU_DEP_2)
	v_add3_u32 v59, v60, v1, v59
	v_and_b32_e32 v60, 15, v14
	v_mov_b32_dpp v61, v59 row_shr:1 row_mask:0xf bank_mask:0xf
	s_delay_alu instid0(VALU_DEP_2) | instskip(NEXT) | instid1(VALU_DEP_2)
	v_cmp_eq_u32_e32 vcc_lo, 0, v60
	v_cndmask_b32_e64 v61, v61, 0, vcc_lo
	s_delay_alu instid0(VALU_DEP_1) | instskip(SKIP_3) | instid1(VALU_DEP_4)
	v_add_nc_u32_e32 v59, v61, v59
	v_cmp_lt_u32_e64 s0, 1, v60
	v_cmp_lt_u32_e64 s1, 3, v60
	;; [unrolled: 1-line block ×3, first 2 shown]
	v_mov_b32_dpp v61, v59 row_shr:2 row_mask:0xf bank_mask:0xf
	s_delay_alu instid0(VALU_DEP_1) | instskip(NEXT) | instid1(VALU_DEP_1)
	v_cndmask_b32_e64 v61, 0, v61, s0
	v_add_nc_u32_e32 v59, v59, v61
	s_delay_alu instid0(VALU_DEP_1) | instskip(NEXT) | instid1(VALU_DEP_1)
	v_mov_b32_dpp v61, v59 row_shr:4 row_mask:0xf bank_mask:0xf
	v_cndmask_b32_e64 v61, 0, v61, s1
	s_delay_alu instid0(VALU_DEP_1) | instskip(NEXT) | instid1(VALU_DEP_1)
	v_add_nc_u32_e32 v59, v59, v61
	v_mov_b32_dpp v61, v59 row_shr:8 row_mask:0xf bank_mask:0xf
	s_delay_alu instid0(VALU_DEP_1) | instskip(SKIP_1) | instid1(VALU_DEP_2)
	v_cndmask_b32_e64 v60, 0, v61, s2
	v_bfe_i32 v61, v14, 4, 1
	v_add_nc_u32_e32 v60, v59, v60
	ds_swizzle_b32 v59, v60 offset:swizzle(BROADCAST,32,15)
	s_wait_dscnt 0x0
	v_dual_lshrrev_b32 v59, 5, v12 :: v_dual_bitop2_b32 v61, v61, v59 bitop3:0x40
	s_delay_alu instid0(VALU_DEP_1) | instskip(NEXT) | instid1(VALU_DEP_1)
	v_dual_add_nc_u32 v15, v60, v61 :: v_dual_bitop2_b32 v62, 31, v15 bitop3:0x54
	v_cmpx_eq_u32_e64 v12, v62
; %bb.122:
	s_delay_alu instid0(VALU_DEP_3)
	v_lshlrev_b32_e32 v60, 2, v59
	ds_store_b32 v60, v15
; %bb.123:
	s_or_b32 exec_lo, exec_lo, s4
	s_delay_alu instid0(SALU_CYCLE_1)
	s_mov_b32 s4, exec_lo
	s_wait_dscnt 0x0
	s_barrier_signal -1
	s_barrier_wait -1
	v_cmpx_gt_u32_e32 16, v12
	s_cbranch_execz .LBB1982_125
; %bb.124:
	v_lshlrev_b32_e32 v60, 2, v12
	ds_load_b32 v61, v60
	s_wait_dscnt 0x0
	v_mov_b32_dpp v62, v61 row_shr:1 row_mask:0xf bank_mask:0xf
	s_delay_alu instid0(VALU_DEP_1) | instskip(NEXT) | instid1(VALU_DEP_1)
	v_cndmask_b32_e64 v62, v62, 0, vcc_lo
	v_add_nc_u32_e32 v61, v62, v61
	s_delay_alu instid0(VALU_DEP_1) | instskip(NEXT) | instid1(VALU_DEP_1)
	v_mov_b32_dpp v62, v61 row_shr:2 row_mask:0xf bank_mask:0xf
	v_cndmask_b32_e64 v62, 0, v62, s0
	s_delay_alu instid0(VALU_DEP_1) | instskip(NEXT) | instid1(VALU_DEP_1)
	v_add_nc_u32_e32 v61, v61, v62
	v_mov_b32_dpp v62, v61 row_shr:4 row_mask:0xf bank_mask:0xf
	s_delay_alu instid0(VALU_DEP_1) | instskip(NEXT) | instid1(VALU_DEP_1)
	v_cndmask_b32_e64 v62, 0, v62, s1
	v_add_nc_u32_e32 v61, v61, v62
	s_delay_alu instid0(VALU_DEP_1) | instskip(NEXT) | instid1(VALU_DEP_1)
	v_mov_b32_dpp v62, v61 row_shr:8 row_mask:0xf bank_mask:0xf
	v_cndmask_b32_e64 v62, 0, v62, s2
	s_delay_alu instid0(VALU_DEP_1)
	v_add_nc_u32_e32 v61, v61, v62
	ds_store_b32 v60, v61
.LBB1982_125:
	s_or_b32 exec_lo, exec_lo, s4
	v_mov_b32_e32 v60, 0
	s_mov_b32 s0, exec_lo
	s_wait_dscnt 0x0
	s_barrier_signal -1
	s_barrier_wait -1
	v_cmpx_lt_u32_e32 31, v12
; %bb.126:
	v_lshl_add_u32 v59, v59, 2, -4
	ds_load_b32 v60, v59
; %bb.127:
	s_or_b32 exec_lo, exec_lo, s0
	v_sub_co_u32 v59, vcc_lo, v14, 1
	s_wait_dscnt 0x0
	v_add_nc_u32_e32 v15, v60, v15
	s_delay_alu instid0(VALU_DEP_2) | instskip(NEXT) | instid1(VALU_DEP_1)
	v_cmp_gt_i32_e64 s0, 0, v59
	v_cndmask_b32_e64 v14, v59, v14, s0
	v_cmp_gt_u32_e64 s0, 0x100, v12
	s_delay_alu instid0(VALU_DEP_2) | instskip(SKIP_4) | instid1(VALU_DEP_2)
	v_lshlrev_b32_e32 v14, 2, v14
	ds_bpermute_b32 v14, v14, v15
	s_wait_dscnt 0x0
	v_cndmask_b32_e32 v14, v14, v60, vcc_lo
	v_cmp_ne_u32_e32 vcc_lo, 0, v12
	v_cndmask_b32_e32 v14, 0, v14, vcc_lo
	v_cmp_lt_u32_e32 vcc_lo, 0xff, v12
	s_delay_alu instid0(VALU_DEP_2) | instskip(NEXT) | instid1(VALU_DEP_1)
	v_add_nc_u32_e32 v6, v14, v6
	v_add_nc_u32_e32 v7, v6, v7
	s_delay_alu instid0(VALU_DEP_1) | instskip(NEXT) | instid1(VALU_DEP_1)
	v_add_nc_u32_e32 v4, v7, v4
	v_add_nc_u32_e32 v5, v4, v5
	s_delay_alu instid0(VALU_DEP_1) | instskip(NEXT) | instid1(VALU_DEP_1)
	;; [unrolled: 3-line block ×3, first 2 shown]
	v_add_nc_u32_e32 v0, v3, v0
	v_add_nc_u32_e32 v1, v0, v1
	ds_store_2addr_b32 v11, v14, v6 offset0:16 offset1:17
	ds_store_2addr_b32 v11, v7, v4 offset0:18 offset1:19
	ds_store_2addr_b32 v11, v5, v2 offset0:20 offset1:21
	ds_store_2addr_b32 v11, v3, v0 offset0:22 offset1:23
	ds_store_b32 v11, v1 offset:96
	s_wait_dscnt 0x0
	s_barrier_signal -1
	s_barrier_wait -1
	ds_load_b32 v59, v13 offset:64
	ds_load_b32 v60, v19 offset:64
	;; [unrolled: 1-line block ×12, first 2 shown]
	v_mov_b64_e32 v[0:1], 0
                                        ; implicit-def: $vgpr2
	s_and_saveexec_b32 s2, s0
	s_cbranch_execz .LBB1982_131
; %bb.128:
	v_mul_u32_u24_e32 v0, 0x44, v12
	v_dual_mov_b32 v1, 0x1800 :: v_dual_add_nc_u32 v2, 1, v12
	s_mov_b32 s3, exec_lo
	ds_load_b32 v0, v0 offset:64
	v_cmpx_ne_u32_e32 0x100, v2
; %bb.129:
	v_mul_u32_u24_e32 v1, 0x44, v2
	ds_load_b32 v1, v1 offset:64
; %bb.130:
	s_or_b32 exec_lo, exec_lo, s3
	s_wait_dscnt 0x0
	v_dual_mov_b32 v1, 0 :: v_dual_sub_nc_u32 v2, v1, v0
.LBB1982_131:
	s_or_b32 exec_lo, exec_lo, s2
	s_wait_dscnt 0xa
	v_dual_lshlrev_b32 v9, 1, v9 :: v_dual_lshlrev_b32 v23, 1, v60
	v_dual_lshlrev_b32 v18, 1, v18 :: v_dual_lshlrev_b32 v17, 1, v17
	v_lshlrev_b32_e32 v21, 1, v21
	s_delay_alu instid0(VALU_DEP_3)
	v_lshl_add_u32 v9, v59, 1, v9
	s_wait_dscnt 0x0
	s_barrier_signal -1
	v_add3_u32 v17, v23, v18, v17
	v_dual_lshlrev_b32 v18, 1, v19 :: v_dual_lshlrev_b32 v19, 1, v22
	s_barrier_wait -1
	ds_store_b16 v9, v8 offset:2048
	ds_store_b16 v17, v10 offset:2048
	v_lshlrev_b32_e32 v9, 1, v15
	v_add3_u32 v8, v18, v19, v21
	v_dual_lshlrev_b32 v10, 1, v26 :: v_dual_lshlrev_b32 v15, 1, v25
	v_dual_lshlrev_b32 v14, 1, v14 :: v_dual_lshlrev_b32 v18, 1, v28
	;; [unrolled: 1-line block ×6, first 2 shown]
	ds_store_b16 v8, v16 offset:2048
	v_add3_u32 v8, v9, v10, v15
	v_add3_u32 v9, v14, v17, v18
	;; [unrolled: 1-line block ×3, first 2 shown]
	v_dual_lshlrev_b32 v13, 1, v42 :: v_dual_lshlrev_b32 v14, 1, v41
	v_add3_u32 v11, v11, v22, v23
	ds_store_b16 v8, v20 offset:2048
	ds_store_b16 v9, v24 offset:2048
	;; [unrolled: 1-line block ×4, first 2 shown]
	v_dual_lshlrev_b32 v6, 1, v6 :: v_dual_lshlrev_b32 v9, 1, v45
	v_add3_u32 v7, v7, v13, v14
	v_dual_lshlrev_b32 v8, 1, v46 :: v_dual_lshlrev_b32 v5, 1, v5
	v_dual_lshlrev_b32 v10, 1, v50 :: v_dual_lshlrev_b32 v11, 1, v48
	;; [unrolled: 1-line block ×5, first 2 shown]
	ds_store_b16 v7, v36 offset:2048
	v_add3_u32 v6, v6, v8, v9
	v_add3_u32 v7, v5, v10, v11
	;; [unrolled: 1-line block ×3, first 2 shown]
	v_dual_mov_b32 v5, 0 :: v_dual_lshlrev_b32 v3, 3, v12
	v_add3_u32 v4, v4, v13, v14
	ds_store_b16 v6, v40 offset:2048
	ds_store_b16 v7, v44 offset:2048
	;; [unrolled: 1-line block ×4, first 2 shown]
	s_and_saveexec_b32 s1, s0
	s_cbranch_execz .LBB1982_141
; %bb.132:
	v_lshl_add_u32 v4, s9, 8, v12
	v_dual_mov_b32 v8, 0 :: v_dual_bitop2_b32 v9, 2.0, v2 bitop3:0x54
	s_mov_b32 s2, 0
	s_mov_b32 s3, s9
	s_delay_alu instid0(VALU_DEP_2)
	v_lshl_add_u64 v[6:7], v[4:5], 2, s[10:11]
	global_store_b32 v4, v9, s[10:11] scale_offset scope:SCOPE_DEV
                                        ; implicit-def: $sgpr0
	s_branch .LBB1982_135
.LBB1982_133:                           ;   in Loop: Header=BB1982_135 Depth=1
	s_or_b32 exec_lo, exec_lo, s5
.LBB1982_134:                           ;   in Loop: Header=BB1982_135 Depth=1
	s_delay_alu instid0(SALU_CYCLE_1) | instskip(SKIP_2) | instid1(VALU_DEP_2)
	s_or_b32 exec_lo, exec_lo, s4
	v_and_b32_e32 v4, 0x3fffffff, v9
	v_cmp_gt_i32_e64 s0, -2.0, v9
	v_add_nc_u32_e32 v8, v4, v8
	s_and_b32 s4, exec_lo, s0
	s_delay_alu instid0(SALU_CYCLE_1) | instskip(NEXT) | instid1(SALU_CYCLE_1)
	s_or_b32 s2, s4, s2
	s_and_not1_b32 exec_lo, exec_lo, s2
	s_cbranch_execz .LBB1982_140
.LBB1982_135:                           ; =>This Loop Header: Depth=1
                                        ;     Child Loop BB1982_138 Depth 2
	s_or_b32 s0, s0, exec_lo
	s_cmp_eq_u32 s3, 0
	s_cbranch_scc1 .LBB1982_139
; %bb.136:                              ;   in Loop: Header=BB1982_135 Depth=1
	s_add_co_i32 s3, s3, -1
	s_mov_b32 s4, exec_lo
	s_wait_xcnt 0x0
	v_lshl_or_b32 v4, s3, 8, v12
	global_load_b32 v9, v4, s[10:11] scale_offset scope:SCOPE_DEV
	s_wait_loadcnt 0x0
	v_cmpx_gt_u32_e32 2.0, v9
	s_cbranch_execz .LBB1982_134
; %bb.137:                              ;   in Loop: Header=BB1982_135 Depth=1
	v_lshl_add_u64 v[10:11], v[4:5], 2, s[10:11]
	s_mov_b32 s5, 0
.LBB1982_138:                           ;   Parent Loop BB1982_135 Depth=1
                                        ; =>  This Inner Loop Header: Depth=2
	global_load_b32 v9, v[10:11], off scope:SCOPE_DEV
	s_wait_loadcnt 0x0
	v_cmp_lt_u32_e64 s0, 0x3fffffff, v9
	s_or_b32 s5, s0, s5
	s_wait_xcnt 0x0
	s_and_not1_b32 exec_lo, exec_lo, s5
	s_cbranch_execnz .LBB1982_138
	s_branch .LBB1982_133
.LBB1982_139:                           ;   in Loop: Header=BB1982_135 Depth=1
                                        ; implicit-def: $sgpr3
	s_and_b32 s4, exec_lo, s0
	s_delay_alu instid0(SALU_CYCLE_1)
	s_or_b32 s2, s4, s2
	s_wait_xcnt 0x0
	s_and_not1_b32 exec_lo, exec_lo, s2
	s_cbranch_execnz .LBB1982_135
.LBB1982_140:
	s_or_b32 exec_lo, exec_lo, s2
	v_dual_mov_b32 v9, 0 :: v_dual_add_nc_u32 v4, v8, v2
	s_delay_alu instid0(VALU_DEP_1) | instskip(SKIP_4) | instid1(VALU_DEP_1)
	v_or_b32_e32 v4, 0x80000000, v4
	global_store_b32 v[6:7], v4, off scope:SCOPE_DEV
	global_load_b64 v[4:5], v12, s[12:13] scale_offset
	v_sub_nc_u64_e32 v[6:7], v[8:9], v[0:1]
	s_wait_loadcnt 0x0
	v_add_nc_u64_e32 v[4:5], v[6:7], v[4:5]
	ds_store_b64 v3, v[4:5]
.LBB1982_141:
	s_wait_xcnt 0x0
	s_or_b32 exec_lo, exec_lo, s1
	v_mad_i32_i24 v13, v12, -6, v3
	s_wait_storecnt_dscnt 0x0
	s_barrier_signal -1
	s_barrier_wait -1
	ds_load_u16 v16, v13 offset:2048
	ds_load_u16 v17, v13 offset:3072
	;; [unrolled: 1-line block ×8, first 2 shown]
	v_dual_mov_b32 v5, 0 :: v_dual_lshlrev_b32 v4, 1, v12
	s_add_co_i32 s7, s7, -1
	s_delay_alu instid0(SALU_CYCLE_1) | instskip(SKIP_2) | instid1(VALU_DEP_1)
	s_cmp_eq_u32 s9, s7
	s_wait_dscnt 0x7
	v_cmp_ne_u16_e64 s0, 0x8000, v16
	v_cndmask_b32_e64 v6, 0x7fff, v16, s0
	v_cmp_gt_i16_e64 s0, 0, v16
	s_delay_alu instid0(VALU_DEP_2) | instskip(NEXT) | instid1(VALU_DEP_2)
	v_and_b32_e32 v6, 0xffff, v6
	v_cndmask_b32_e64 v24, 0x7fff, 0, s0
	s_wait_dscnt 0x6
	v_cmp_ne_u16_e64 s0, 0x8000, v17
	s_delay_alu instid0(VALU_DEP_2) | instskip(NEXT) | instid1(VALU_DEP_2)
	v_xor_b32_e32 v24, v24, v16
	v_cndmask_b32_e64 v7, 0x7fff, v17, s0
	s_wait_dscnt 0x5
	v_cmp_ne_u16_e64 s0, 0x8000, v18
	s_delay_alu instid0(VALU_DEP_2) | instskip(NEXT) | instid1(VALU_DEP_2)
	v_and_b32_e32 v7, 0xffff, v7
	v_cndmask_b32_e64 v8, 0x7fff, v18, s0
	s_wait_dscnt 0x4
	v_cmp_ne_u16_e64 s0, 0x8000, v19
	s_delay_alu instid0(VALU_DEP_3) | instskip(NEXT) | instid1(VALU_DEP_3)
	v_dual_lshrrev_b32 v6, s20, v6 :: v_dual_lshrrev_b32 v7, s20, v7
	v_and_b32_e32 v8, 0xffff, v8
	s_delay_alu instid0(VALU_DEP_3) | instskip(SKIP_1) | instid1(VALU_DEP_4)
	v_cndmask_b32_e64 v9, 0x7fff, v19, s0
	v_cmp_gt_i16_e64 s0, 0, v17
	v_and_b32_e32 v7, s8, v7
	v_and_b32_e32 v6, s8, v6
	s_delay_alu instid0(VALU_DEP_4) | instskip(NEXT) | instid1(VALU_DEP_4)
	v_and_b32_e32 v9, 0xffff, v9
	v_cndmask_b32_e64 v25, 0x7fff, 0, s0
	s_wait_dscnt 0x3
	v_cmp_ne_u16_e64 s0, 0x8000, v20
	v_dual_lshrrev_b32 v8, s20, v8 :: v_dual_lshlrev_b32 v11, 3, v7
	v_dual_lshrrev_b32 v9, s20, v9 :: v_dual_lshlrev_b32 v6, 3, v6
	s_delay_alu instid0(VALU_DEP_3) | instskip(SKIP_1) | instid1(VALU_DEP_2)
	v_cndmask_b32_e64 v10, 0x7fff, v20, s0
	v_cmp_gt_i16_e64 s0, 0, v18
	v_and_b32_e32 v10, 0xffff, v10
	v_and_b32_e32 v8, s8, v8
	;; [unrolled: 1-line block ×3, first 2 shown]
	s_delay_alu instid0(VALU_DEP_4) | instskip(SKIP_1) | instid1(VALU_DEP_4)
	v_cndmask_b32_e64 v27, 0x7fff, 0, s0
	v_cmp_gt_i16_e64 s0, 0, v19
	v_dual_lshrrev_b32 v26, s20, v10 :: v_dual_lshlrev_b32 v10, 3, v8
	s_delay_alu instid0(VALU_DEP_4)
	v_lshlrev_b32_e32 v14, 3, v9
	ds_load_b64 v[6:7], v6
	ds_load_b64 v[8:9], v11
	v_cndmask_b32_e64 v28, 0x7fff, 0, s0
	s_wait_dscnt 0x4
	v_cmp_ne_u16_e64 s0, 0x8000, v21
	v_and_b32_e32 v26, s8, v26
	ds_load_b64 v[10:11], v10
	ds_load_b64 v[14:15], v14
	v_xor_b32_e32 v19, v28, v19
	v_cndmask_b32_e64 v29, 0x7fff, v21, s0
	s_wait_dscnt 0x5
	v_cmp_ne_u16_e64 s0, 0x8000, v22
	v_lshlrev_b32_e32 v26, 3, v26
	s_delay_alu instid0(VALU_DEP_2) | instskip(SKIP_1) | instid1(VALU_DEP_2)
	v_cndmask_b32_e64 v30, 0x7fff, v22, s0
	v_cmp_gt_i16_e64 s0, 0, v20
	v_and_b32_e32 v28, 0xffff, v30
	s_wait_dscnt 0x3
	v_lshl_add_u64 v[6:7], v[6:7], 1, s[18:19]
	v_xor_b32_e32 v18, v27, v18
	v_and_b32_e32 v27, 0xffff, v29
	v_xor_b32_e32 v25, v25, v17
	ds_load_b64 v[16:17], v26
	ds_load_u16 v26, v13 offset:10240
	ds_load_u16 v31, v13 offset:11264
	;; [unrolled: 1-line block ×4, first 2 shown]
	s_wait_dscnt 0x7
	v_lshl_add_u64 v[8:9], v[8:9], 1, s[18:19]
	s_wait_dscnt 0x6
	v_lshl_add_u64 v[10:11], v[10:11], 1, s[18:19]
	v_add_nc_u64_e32 v[6:7], v[6:7], v[4:5]
	s_wait_dscnt 0x5
	v_lshl_add_u64 v[14:15], v[14:15], 1, s[18:19]
	v_add_nc_u64_e32 v[8:9], v[8:9], v[4:5]
	v_add_nc_u64_e32 v[10:11], v[10:11], v[4:5]
	s_clause 0x1
	global_store_b16 v[6:7], v24, off
	global_store_b16 v[8:9], v25, off offset:1024
	s_wait_xcnt 0x1
	v_cndmask_b32_e64 v6, 0x7fff, 0, s0
	v_cmp_ne_u16_e64 s0, 0x8000, v23
	s_wait_xcnt 0x0
	v_dual_lshrrev_b32 v8, s20, v27 :: v_dual_lshrrev_b32 v9, s20, v28
	global_store_b16 v[10:11], v18, off offset:2048
	v_add_nc_u64_e32 v[14:15], v[14:15], v[4:5]
	s_wait_xcnt 0x0
	v_cndmask_b32_e64 v10, 0x7fff, v23, s0
	s_wait_dscnt 0x3
	v_cmp_ne_u16_e64 s0, 0x8000, v26
	v_and_b32_e32 v8, s8, v8
	v_and_b32_e32 v9, s8, v9
	s_delay_alu instid0(VALU_DEP_3)
	v_cndmask_b32_e64 v11, 0x7fff, v26, s0
	s_wait_dscnt 0x2
	v_cmp_ne_u16_e64 s0, 0x8000, v31
	v_lshlrev_b32_e32 v8, 3, v8
	global_store_b16 v[14:15], v19, off offset:3072
	s_wait_xcnt 0x0
	v_dual_lshlrev_b32 v15, 3, v9 :: v_dual_bitop2_b32 v14, v6, v20 bitop3:0x14
	v_lshl_add_u64 v[6:7], v[16:17], 1, s[18:19]
	v_and_b32_e32 v16, 0xffff, v10
	v_and_b32_e32 v17, 0xffff, v11
	v_cndmask_b32_e64 v18, 0x7fff, v31, s0
	ds_load_b64 v[8:9], v8
	ds_load_b64 v[10:11], v15
	v_cmp_gt_i16_e64 s0, 0, v21
	v_dual_lshrrev_b32 v15, s20, v16 :: v_dual_lshrrev_b32 v16, s20, v17
	v_and_b32_e32 v17, 0xffff, v18
	v_add_nc_u64_e32 v[6:7], v[6:7], v[4:5]
	s_delay_alu instid0(VALU_DEP_4) | instskip(NEXT) | instid1(VALU_DEP_4)
	v_cndmask_b32_e64 v18, 0x7fff, 0, s0
	v_and_b32_e32 v15, s8, v15
	s_wait_dscnt 0x3
	v_cmp_ne_u16_e64 s0, 0x8000, v32
	v_dual_lshrrev_b32 v17, s20, v17 :: v_dual_bitop2_b32 v16, s8, v16 bitop3:0x40
	global_store_b16 v[6:7], v14, off offset:4096
	s_wait_xcnt 0x0
	v_dual_lshlrev_b32 v6, 3, v15 :: v_dual_bitop2_b32 v18, v18, v21 bitop3:0x14
	v_dual_lshlrev_b32 v14, 3, v16 :: v_dual_bitop2_b32 v16, s8, v17 bitop3:0x40
	v_cndmask_b32_e64 v17, 0x7fff, v32, s0
	s_wait_dscnt 0x2
	v_cmp_ne_u16_e64 s0, 0x8000, v13
	s_wait_dscnt 0x1
	v_lshl_add_u64 v[8:9], v[8:9], 1, s[18:19]
	s_wait_dscnt 0x0
	v_lshl_add_u64 v[10:11], v[10:11], 1, s[18:19]
	ds_load_b64 v[6:7], v6
	ds_load_b64 v[14:15], v14
	v_and_b32_e32 v17, 0xffff, v17
	v_cndmask_b32_e64 v19, 0x7fff, v13, s0
	v_cmp_gt_i16_e64 s0, 0, v22
	v_add_nc_u64_e32 v[8:9], v[8:9], v[4:5]
	v_add_nc_u64_e32 v[10:11], v[10:11], v[4:5]
	v_lshrrev_b32_e32 v20, s20, v17
	v_and_b32_e32 v19, 0xffff, v19
	v_lshlrev_b32_e32 v16, 3, v16
	v_cndmask_b32_e64 v21, 0x7fff, 0, s0
	v_cmp_gt_i16_e64 s0, 0, v23
	s_delay_alu instid0(VALU_DEP_4)
	v_lshrrev_b32_e32 v19, s20, v19
	ds_load_b64 v[16:17], v16
	v_xor_b32_e32 v21, v21, v22
	s_clause 0x1
	global_store_b16 v[8:9], v18, off offset:5120
	global_store_b16 v[10:11], v21, off offset:6144
	v_and_b32_e32 v19, s8, v19
	v_and_b32_e32 v20, s8, v20
	v_cndmask_b32_e64 v22, 0x7fff, 0, s0
	v_cmp_gt_i16_e64 s0, 0, v26
	s_wait_dscnt 0x2
	v_lshl_add_u64 v[6:7], v[6:7], 1, s[18:19]
	v_dual_lshlrev_b32 v19, 3, v19 :: v_dual_lshlrev_b32 v20, 3, v20
	s_wait_dscnt 0x1
	v_lshl_add_u64 v[14:15], v[14:15], 1, s[18:19]
	s_wait_xcnt 0x1
	v_xor_b32_e32 v18, v22, v23
	v_add_nc_u64_e32 v[6:7], v[6:7], v[4:5]
	s_wait_xcnt 0x0
	ds_load_b64 v[10:11], v19
	ds_load_b64 v[8:9], v20
	v_cndmask_b32_e64 v19, 0x7fff, 0, s0
	v_cmp_gt_i16_e64 s0, 0, v31
	s_wait_dscnt 0x2
	v_lshl_add_u64 v[16:17], v[16:17], 1, s[18:19]
	v_add_nc_u64_e32 v[14:15], v[14:15], v[4:5]
	v_xor_b32_e32 v19, v19, v26
	v_cndmask_b32_e64 v20, 0x7fff, 0, s0
	v_cmp_gt_i16_e64 s0, 0, v32
	v_add_nc_u64_e32 v[16:17], v[16:17], v[4:5]
	s_delay_alu instid0(VALU_DEP_3) | instskip(NEXT) | instid1(VALU_DEP_3)
	v_xor_b32_e32 v20, v20, v31
	v_cndmask_b32_e64 v21, 0x7fff, 0, s0
	v_cmp_gt_i16_e64 s0, 0, v13
	s_clause 0x2
	global_store_b16 v[6:7], v18, off offset:7168
	global_store_b16 v[14:15], v19, off offset:8192
	;; [unrolled: 1-line block ×3, first 2 shown]
	s_wait_xcnt 0x1
	v_xor_b32_e32 v14, v21, v32
	s_wait_dscnt 0x0
	v_lshl_add_u64 v[6:7], v[8:9], 1, s[18:19]
	v_lshl_add_u64 v[8:9], v[10:11], 1, s[18:19]
	v_cndmask_b32_e64 v10, 0x7fff, 0, s0
	s_cselect_b32 s0, -1, 0
	s_xor_b32 s1, vcc_lo, -1
	v_add_nc_u64_e32 v[6:7], v[6:7], v[4:5]
	v_add_nc_u64_e32 v[8:9], v[8:9], v[4:5]
	v_xor_b32_e32 v4, v10, v13
	s_and_b32 s0, s1, s0
	s_clause 0x1
	global_store_b16 v[6:7], v14, off offset:10240
	global_store_b16 v[8:9], v4, off offset:11264
	s_wait_xcnt 0x0
	s_and_saveexec_b32 s1, s0
	s_cbranch_execz .LBB1982_143
; %bb.142:
	ds_load_b64 v[6:7], v3
	v_mov_b32_e32 v3, v5
	s_delay_alu instid0(VALU_DEP_1) | instskip(SKIP_1) | instid1(VALU_DEP_1)
	v_add_nc_u64_e32 v[0:1], v[0:1], v[2:3]
	s_wait_dscnt 0x0
	v_add_nc_u64_e32 v[0:1], v[0:1], v[6:7]
	global_store_b64 v12, v[0:1], s[14:15] scale_offset
.LBB1982_143:
	s_sendmsg sendmsg(MSG_DEALLOC_VGPRS)
	s_endpgm
	.section	.rodata,"a",@progbits
	.p2align	6, 0x0
	.amdhsa_kernel _ZN7rocprim17ROCPRIM_400000_NS6detail17trampoline_kernelINS0_14default_configENS1_35radix_sort_onesweep_config_selectorI12hip_bfloat16NS0_10empty_typeEEEZZNS1_29radix_sort_onesweep_iterationIS3_Lb1EPKS5_PS5_PS6_SC_mNS0_19identity_decomposerENS1_16block_id_wrapperIjLb0EEEEE10hipError_tT1_PNSt15iterator_traitsISH_E10value_typeET2_T3_PNSI_ISN_E10value_typeET4_T5_PSS_ST_PNS1_23onesweep_lookback_stateEbbT6_jjT7_P12ihipStream_tbENKUlT_T0_SH_SM_E_clISA_SB_SC_SC_EEDaS10_S11_SH_SM_EUlS10_E_NS1_11comp_targetILNS1_3genE0ELNS1_11target_archE4294967295ELNS1_3gpuE0ELNS1_3repE0EEENS1_47radix_sort_onesweep_sort_config_static_selectorELNS0_4arch9wavefront6targetE0EEEvSH_
		.amdhsa_group_segment_fixed_size 18504
		.amdhsa_private_segment_fixed_size 0
		.amdhsa_kernarg_size 344
		.amdhsa_user_sgpr_count 2
		.amdhsa_user_sgpr_dispatch_ptr 0
		.amdhsa_user_sgpr_queue_ptr 0
		.amdhsa_user_sgpr_kernarg_segment_ptr 1
		.amdhsa_user_sgpr_dispatch_id 0
		.amdhsa_user_sgpr_kernarg_preload_length 0
		.amdhsa_user_sgpr_kernarg_preload_offset 0
		.amdhsa_user_sgpr_private_segment_size 0
		.amdhsa_wavefront_size32 1
		.amdhsa_uses_dynamic_stack 0
		.amdhsa_enable_private_segment 0
		.amdhsa_system_sgpr_workgroup_id_x 1
		.amdhsa_system_sgpr_workgroup_id_y 0
		.amdhsa_system_sgpr_workgroup_id_z 0
		.amdhsa_system_sgpr_workgroup_info 0
		.amdhsa_system_vgpr_workitem_id 2
		.amdhsa_next_free_vgpr 65
		.amdhsa_next_free_sgpr 28
		.amdhsa_named_barrier_count 0
		.amdhsa_reserve_vcc 1
		.amdhsa_float_round_mode_32 0
		.amdhsa_float_round_mode_16_64 0
		.amdhsa_float_denorm_mode_32 3
		.amdhsa_float_denorm_mode_16_64 3
		.amdhsa_fp16_overflow 0
		.amdhsa_memory_ordered 1
		.amdhsa_forward_progress 1
		.amdhsa_inst_pref_size 146
		.amdhsa_round_robin_scheduling 0
		.amdhsa_exception_fp_ieee_invalid_op 0
		.amdhsa_exception_fp_denorm_src 0
		.amdhsa_exception_fp_ieee_div_zero 0
		.amdhsa_exception_fp_ieee_overflow 0
		.amdhsa_exception_fp_ieee_underflow 0
		.amdhsa_exception_fp_ieee_inexact 0
		.amdhsa_exception_int_div_zero 0
	.end_amdhsa_kernel
	.section	.text._ZN7rocprim17ROCPRIM_400000_NS6detail17trampoline_kernelINS0_14default_configENS1_35radix_sort_onesweep_config_selectorI12hip_bfloat16NS0_10empty_typeEEEZZNS1_29radix_sort_onesweep_iterationIS3_Lb1EPKS5_PS5_PS6_SC_mNS0_19identity_decomposerENS1_16block_id_wrapperIjLb0EEEEE10hipError_tT1_PNSt15iterator_traitsISH_E10value_typeET2_T3_PNSI_ISN_E10value_typeET4_T5_PSS_ST_PNS1_23onesweep_lookback_stateEbbT6_jjT7_P12ihipStream_tbENKUlT_T0_SH_SM_E_clISA_SB_SC_SC_EEDaS10_S11_SH_SM_EUlS10_E_NS1_11comp_targetILNS1_3genE0ELNS1_11target_archE4294967295ELNS1_3gpuE0ELNS1_3repE0EEENS1_47radix_sort_onesweep_sort_config_static_selectorELNS0_4arch9wavefront6targetE0EEEvSH_,"axG",@progbits,_ZN7rocprim17ROCPRIM_400000_NS6detail17trampoline_kernelINS0_14default_configENS1_35radix_sort_onesweep_config_selectorI12hip_bfloat16NS0_10empty_typeEEEZZNS1_29radix_sort_onesweep_iterationIS3_Lb1EPKS5_PS5_PS6_SC_mNS0_19identity_decomposerENS1_16block_id_wrapperIjLb0EEEEE10hipError_tT1_PNSt15iterator_traitsISH_E10value_typeET2_T3_PNSI_ISN_E10value_typeET4_T5_PSS_ST_PNS1_23onesweep_lookback_stateEbbT6_jjT7_P12ihipStream_tbENKUlT_T0_SH_SM_E_clISA_SB_SC_SC_EEDaS10_S11_SH_SM_EUlS10_E_NS1_11comp_targetILNS1_3genE0ELNS1_11target_archE4294967295ELNS1_3gpuE0ELNS1_3repE0EEENS1_47radix_sort_onesweep_sort_config_static_selectorELNS0_4arch9wavefront6targetE0EEEvSH_,comdat
.Lfunc_end1982:
	.size	_ZN7rocprim17ROCPRIM_400000_NS6detail17trampoline_kernelINS0_14default_configENS1_35radix_sort_onesweep_config_selectorI12hip_bfloat16NS0_10empty_typeEEEZZNS1_29radix_sort_onesweep_iterationIS3_Lb1EPKS5_PS5_PS6_SC_mNS0_19identity_decomposerENS1_16block_id_wrapperIjLb0EEEEE10hipError_tT1_PNSt15iterator_traitsISH_E10value_typeET2_T3_PNSI_ISN_E10value_typeET4_T5_PSS_ST_PNS1_23onesweep_lookback_stateEbbT6_jjT7_P12ihipStream_tbENKUlT_T0_SH_SM_E_clISA_SB_SC_SC_EEDaS10_S11_SH_SM_EUlS10_E_NS1_11comp_targetILNS1_3genE0ELNS1_11target_archE4294967295ELNS1_3gpuE0ELNS1_3repE0EEENS1_47radix_sort_onesweep_sort_config_static_selectorELNS0_4arch9wavefront6targetE0EEEvSH_, .Lfunc_end1982-_ZN7rocprim17ROCPRIM_400000_NS6detail17trampoline_kernelINS0_14default_configENS1_35radix_sort_onesweep_config_selectorI12hip_bfloat16NS0_10empty_typeEEEZZNS1_29radix_sort_onesweep_iterationIS3_Lb1EPKS5_PS5_PS6_SC_mNS0_19identity_decomposerENS1_16block_id_wrapperIjLb0EEEEE10hipError_tT1_PNSt15iterator_traitsISH_E10value_typeET2_T3_PNSI_ISN_E10value_typeET4_T5_PSS_ST_PNS1_23onesweep_lookback_stateEbbT6_jjT7_P12ihipStream_tbENKUlT_T0_SH_SM_E_clISA_SB_SC_SC_EEDaS10_S11_SH_SM_EUlS10_E_NS1_11comp_targetILNS1_3genE0ELNS1_11target_archE4294967295ELNS1_3gpuE0ELNS1_3repE0EEENS1_47radix_sort_onesweep_sort_config_static_selectorELNS0_4arch9wavefront6targetE0EEEvSH_
                                        ; -- End function
	.set _ZN7rocprim17ROCPRIM_400000_NS6detail17trampoline_kernelINS0_14default_configENS1_35radix_sort_onesweep_config_selectorI12hip_bfloat16NS0_10empty_typeEEEZZNS1_29radix_sort_onesweep_iterationIS3_Lb1EPKS5_PS5_PS6_SC_mNS0_19identity_decomposerENS1_16block_id_wrapperIjLb0EEEEE10hipError_tT1_PNSt15iterator_traitsISH_E10value_typeET2_T3_PNSI_ISN_E10value_typeET4_T5_PSS_ST_PNS1_23onesweep_lookback_stateEbbT6_jjT7_P12ihipStream_tbENKUlT_T0_SH_SM_E_clISA_SB_SC_SC_EEDaS10_S11_SH_SM_EUlS10_E_NS1_11comp_targetILNS1_3genE0ELNS1_11target_archE4294967295ELNS1_3gpuE0ELNS1_3repE0EEENS1_47radix_sort_onesweep_sort_config_static_selectorELNS0_4arch9wavefront6targetE0EEEvSH_.num_vgpr, 65
	.set _ZN7rocprim17ROCPRIM_400000_NS6detail17trampoline_kernelINS0_14default_configENS1_35radix_sort_onesweep_config_selectorI12hip_bfloat16NS0_10empty_typeEEEZZNS1_29radix_sort_onesweep_iterationIS3_Lb1EPKS5_PS5_PS6_SC_mNS0_19identity_decomposerENS1_16block_id_wrapperIjLb0EEEEE10hipError_tT1_PNSt15iterator_traitsISH_E10value_typeET2_T3_PNSI_ISN_E10value_typeET4_T5_PSS_ST_PNS1_23onesweep_lookback_stateEbbT6_jjT7_P12ihipStream_tbENKUlT_T0_SH_SM_E_clISA_SB_SC_SC_EEDaS10_S11_SH_SM_EUlS10_E_NS1_11comp_targetILNS1_3genE0ELNS1_11target_archE4294967295ELNS1_3gpuE0ELNS1_3repE0EEENS1_47radix_sort_onesweep_sort_config_static_selectorELNS0_4arch9wavefront6targetE0EEEvSH_.num_agpr, 0
	.set _ZN7rocprim17ROCPRIM_400000_NS6detail17trampoline_kernelINS0_14default_configENS1_35radix_sort_onesweep_config_selectorI12hip_bfloat16NS0_10empty_typeEEEZZNS1_29radix_sort_onesweep_iterationIS3_Lb1EPKS5_PS5_PS6_SC_mNS0_19identity_decomposerENS1_16block_id_wrapperIjLb0EEEEE10hipError_tT1_PNSt15iterator_traitsISH_E10value_typeET2_T3_PNSI_ISN_E10value_typeET4_T5_PSS_ST_PNS1_23onesweep_lookback_stateEbbT6_jjT7_P12ihipStream_tbENKUlT_T0_SH_SM_E_clISA_SB_SC_SC_EEDaS10_S11_SH_SM_EUlS10_E_NS1_11comp_targetILNS1_3genE0ELNS1_11target_archE4294967295ELNS1_3gpuE0ELNS1_3repE0EEENS1_47radix_sort_onesweep_sort_config_static_selectorELNS0_4arch9wavefront6targetE0EEEvSH_.numbered_sgpr, 28
	.set _ZN7rocprim17ROCPRIM_400000_NS6detail17trampoline_kernelINS0_14default_configENS1_35radix_sort_onesweep_config_selectorI12hip_bfloat16NS0_10empty_typeEEEZZNS1_29radix_sort_onesweep_iterationIS3_Lb1EPKS5_PS5_PS6_SC_mNS0_19identity_decomposerENS1_16block_id_wrapperIjLb0EEEEE10hipError_tT1_PNSt15iterator_traitsISH_E10value_typeET2_T3_PNSI_ISN_E10value_typeET4_T5_PSS_ST_PNS1_23onesweep_lookback_stateEbbT6_jjT7_P12ihipStream_tbENKUlT_T0_SH_SM_E_clISA_SB_SC_SC_EEDaS10_S11_SH_SM_EUlS10_E_NS1_11comp_targetILNS1_3genE0ELNS1_11target_archE4294967295ELNS1_3gpuE0ELNS1_3repE0EEENS1_47radix_sort_onesweep_sort_config_static_selectorELNS0_4arch9wavefront6targetE0EEEvSH_.num_named_barrier, 0
	.set _ZN7rocprim17ROCPRIM_400000_NS6detail17trampoline_kernelINS0_14default_configENS1_35radix_sort_onesweep_config_selectorI12hip_bfloat16NS0_10empty_typeEEEZZNS1_29radix_sort_onesweep_iterationIS3_Lb1EPKS5_PS5_PS6_SC_mNS0_19identity_decomposerENS1_16block_id_wrapperIjLb0EEEEE10hipError_tT1_PNSt15iterator_traitsISH_E10value_typeET2_T3_PNSI_ISN_E10value_typeET4_T5_PSS_ST_PNS1_23onesweep_lookback_stateEbbT6_jjT7_P12ihipStream_tbENKUlT_T0_SH_SM_E_clISA_SB_SC_SC_EEDaS10_S11_SH_SM_EUlS10_E_NS1_11comp_targetILNS1_3genE0ELNS1_11target_archE4294967295ELNS1_3gpuE0ELNS1_3repE0EEENS1_47radix_sort_onesweep_sort_config_static_selectorELNS0_4arch9wavefront6targetE0EEEvSH_.private_seg_size, 0
	.set _ZN7rocprim17ROCPRIM_400000_NS6detail17trampoline_kernelINS0_14default_configENS1_35radix_sort_onesweep_config_selectorI12hip_bfloat16NS0_10empty_typeEEEZZNS1_29radix_sort_onesweep_iterationIS3_Lb1EPKS5_PS5_PS6_SC_mNS0_19identity_decomposerENS1_16block_id_wrapperIjLb0EEEEE10hipError_tT1_PNSt15iterator_traitsISH_E10value_typeET2_T3_PNSI_ISN_E10value_typeET4_T5_PSS_ST_PNS1_23onesweep_lookback_stateEbbT6_jjT7_P12ihipStream_tbENKUlT_T0_SH_SM_E_clISA_SB_SC_SC_EEDaS10_S11_SH_SM_EUlS10_E_NS1_11comp_targetILNS1_3genE0ELNS1_11target_archE4294967295ELNS1_3gpuE0ELNS1_3repE0EEENS1_47radix_sort_onesweep_sort_config_static_selectorELNS0_4arch9wavefront6targetE0EEEvSH_.uses_vcc, 1
	.set _ZN7rocprim17ROCPRIM_400000_NS6detail17trampoline_kernelINS0_14default_configENS1_35radix_sort_onesweep_config_selectorI12hip_bfloat16NS0_10empty_typeEEEZZNS1_29radix_sort_onesweep_iterationIS3_Lb1EPKS5_PS5_PS6_SC_mNS0_19identity_decomposerENS1_16block_id_wrapperIjLb0EEEEE10hipError_tT1_PNSt15iterator_traitsISH_E10value_typeET2_T3_PNSI_ISN_E10value_typeET4_T5_PSS_ST_PNS1_23onesweep_lookback_stateEbbT6_jjT7_P12ihipStream_tbENKUlT_T0_SH_SM_E_clISA_SB_SC_SC_EEDaS10_S11_SH_SM_EUlS10_E_NS1_11comp_targetILNS1_3genE0ELNS1_11target_archE4294967295ELNS1_3gpuE0ELNS1_3repE0EEENS1_47radix_sort_onesweep_sort_config_static_selectorELNS0_4arch9wavefront6targetE0EEEvSH_.uses_flat_scratch, 0
	.set _ZN7rocprim17ROCPRIM_400000_NS6detail17trampoline_kernelINS0_14default_configENS1_35radix_sort_onesweep_config_selectorI12hip_bfloat16NS0_10empty_typeEEEZZNS1_29radix_sort_onesweep_iterationIS3_Lb1EPKS5_PS5_PS6_SC_mNS0_19identity_decomposerENS1_16block_id_wrapperIjLb0EEEEE10hipError_tT1_PNSt15iterator_traitsISH_E10value_typeET2_T3_PNSI_ISN_E10value_typeET4_T5_PSS_ST_PNS1_23onesweep_lookback_stateEbbT6_jjT7_P12ihipStream_tbENKUlT_T0_SH_SM_E_clISA_SB_SC_SC_EEDaS10_S11_SH_SM_EUlS10_E_NS1_11comp_targetILNS1_3genE0ELNS1_11target_archE4294967295ELNS1_3gpuE0ELNS1_3repE0EEENS1_47radix_sort_onesweep_sort_config_static_selectorELNS0_4arch9wavefront6targetE0EEEvSH_.has_dyn_sized_stack, 0
	.set _ZN7rocprim17ROCPRIM_400000_NS6detail17trampoline_kernelINS0_14default_configENS1_35radix_sort_onesweep_config_selectorI12hip_bfloat16NS0_10empty_typeEEEZZNS1_29radix_sort_onesweep_iterationIS3_Lb1EPKS5_PS5_PS6_SC_mNS0_19identity_decomposerENS1_16block_id_wrapperIjLb0EEEEE10hipError_tT1_PNSt15iterator_traitsISH_E10value_typeET2_T3_PNSI_ISN_E10value_typeET4_T5_PSS_ST_PNS1_23onesweep_lookback_stateEbbT6_jjT7_P12ihipStream_tbENKUlT_T0_SH_SM_E_clISA_SB_SC_SC_EEDaS10_S11_SH_SM_EUlS10_E_NS1_11comp_targetILNS1_3genE0ELNS1_11target_archE4294967295ELNS1_3gpuE0ELNS1_3repE0EEENS1_47radix_sort_onesweep_sort_config_static_selectorELNS0_4arch9wavefront6targetE0EEEvSH_.has_recursion, 0
	.set _ZN7rocprim17ROCPRIM_400000_NS6detail17trampoline_kernelINS0_14default_configENS1_35radix_sort_onesweep_config_selectorI12hip_bfloat16NS0_10empty_typeEEEZZNS1_29radix_sort_onesweep_iterationIS3_Lb1EPKS5_PS5_PS6_SC_mNS0_19identity_decomposerENS1_16block_id_wrapperIjLb0EEEEE10hipError_tT1_PNSt15iterator_traitsISH_E10value_typeET2_T3_PNSI_ISN_E10value_typeET4_T5_PSS_ST_PNS1_23onesweep_lookback_stateEbbT6_jjT7_P12ihipStream_tbENKUlT_T0_SH_SM_E_clISA_SB_SC_SC_EEDaS10_S11_SH_SM_EUlS10_E_NS1_11comp_targetILNS1_3genE0ELNS1_11target_archE4294967295ELNS1_3gpuE0ELNS1_3repE0EEENS1_47radix_sort_onesweep_sort_config_static_selectorELNS0_4arch9wavefront6targetE0EEEvSH_.has_indirect_call, 0
	.section	.AMDGPU.csdata,"",@progbits
; Kernel info:
; codeLenInByte = 18604
; TotalNumSgprs: 30
; NumVgprs: 65
; ScratchSize: 0
; MemoryBound: 0
; FloatMode: 240
; IeeeMode: 1
; LDSByteSize: 18504 bytes/workgroup (compile time only)
; SGPRBlocks: 0
; VGPRBlocks: 4
; NumSGPRsForWavesPerEU: 30
; NumVGPRsForWavesPerEU: 65
; NamedBarCnt: 0
; Occupancy: 12
; WaveLimiterHint : 0
; COMPUTE_PGM_RSRC2:SCRATCH_EN: 0
; COMPUTE_PGM_RSRC2:USER_SGPR: 2
; COMPUTE_PGM_RSRC2:TRAP_HANDLER: 0
; COMPUTE_PGM_RSRC2:TGID_X_EN: 1
; COMPUTE_PGM_RSRC2:TGID_Y_EN: 0
; COMPUTE_PGM_RSRC2:TGID_Z_EN: 0
; COMPUTE_PGM_RSRC2:TIDIG_COMP_CNT: 2
	.section	.text._ZN7rocprim17ROCPRIM_400000_NS6detail17trampoline_kernelINS0_14default_configENS1_35radix_sort_onesweep_config_selectorI12hip_bfloat16NS0_10empty_typeEEEZZNS1_29radix_sort_onesweep_iterationIS3_Lb1EPKS5_PS5_PS6_SC_mNS0_19identity_decomposerENS1_16block_id_wrapperIjLb0EEEEE10hipError_tT1_PNSt15iterator_traitsISH_E10value_typeET2_T3_PNSI_ISN_E10value_typeET4_T5_PSS_ST_PNS1_23onesweep_lookback_stateEbbT6_jjT7_P12ihipStream_tbENKUlT_T0_SH_SM_E_clISA_SB_SC_SC_EEDaS10_S11_SH_SM_EUlS10_E_NS1_11comp_targetILNS1_3genE6ELNS1_11target_archE950ELNS1_3gpuE13ELNS1_3repE0EEENS1_47radix_sort_onesweep_sort_config_static_selectorELNS0_4arch9wavefront6targetE0EEEvSH_,"axG",@progbits,_ZN7rocprim17ROCPRIM_400000_NS6detail17trampoline_kernelINS0_14default_configENS1_35radix_sort_onesweep_config_selectorI12hip_bfloat16NS0_10empty_typeEEEZZNS1_29radix_sort_onesweep_iterationIS3_Lb1EPKS5_PS5_PS6_SC_mNS0_19identity_decomposerENS1_16block_id_wrapperIjLb0EEEEE10hipError_tT1_PNSt15iterator_traitsISH_E10value_typeET2_T3_PNSI_ISN_E10value_typeET4_T5_PSS_ST_PNS1_23onesweep_lookback_stateEbbT6_jjT7_P12ihipStream_tbENKUlT_T0_SH_SM_E_clISA_SB_SC_SC_EEDaS10_S11_SH_SM_EUlS10_E_NS1_11comp_targetILNS1_3genE6ELNS1_11target_archE950ELNS1_3gpuE13ELNS1_3repE0EEENS1_47radix_sort_onesweep_sort_config_static_selectorELNS0_4arch9wavefront6targetE0EEEvSH_,comdat
	.protected	_ZN7rocprim17ROCPRIM_400000_NS6detail17trampoline_kernelINS0_14default_configENS1_35radix_sort_onesweep_config_selectorI12hip_bfloat16NS0_10empty_typeEEEZZNS1_29radix_sort_onesweep_iterationIS3_Lb1EPKS5_PS5_PS6_SC_mNS0_19identity_decomposerENS1_16block_id_wrapperIjLb0EEEEE10hipError_tT1_PNSt15iterator_traitsISH_E10value_typeET2_T3_PNSI_ISN_E10value_typeET4_T5_PSS_ST_PNS1_23onesweep_lookback_stateEbbT6_jjT7_P12ihipStream_tbENKUlT_T0_SH_SM_E_clISA_SB_SC_SC_EEDaS10_S11_SH_SM_EUlS10_E_NS1_11comp_targetILNS1_3genE6ELNS1_11target_archE950ELNS1_3gpuE13ELNS1_3repE0EEENS1_47radix_sort_onesweep_sort_config_static_selectorELNS0_4arch9wavefront6targetE0EEEvSH_ ; -- Begin function _ZN7rocprim17ROCPRIM_400000_NS6detail17trampoline_kernelINS0_14default_configENS1_35radix_sort_onesweep_config_selectorI12hip_bfloat16NS0_10empty_typeEEEZZNS1_29radix_sort_onesweep_iterationIS3_Lb1EPKS5_PS5_PS6_SC_mNS0_19identity_decomposerENS1_16block_id_wrapperIjLb0EEEEE10hipError_tT1_PNSt15iterator_traitsISH_E10value_typeET2_T3_PNSI_ISN_E10value_typeET4_T5_PSS_ST_PNS1_23onesweep_lookback_stateEbbT6_jjT7_P12ihipStream_tbENKUlT_T0_SH_SM_E_clISA_SB_SC_SC_EEDaS10_S11_SH_SM_EUlS10_E_NS1_11comp_targetILNS1_3genE6ELNS1_11target_archE950ELNS1_3gpuE13ELNS1_3repE0EEENS1_47radix_sort_onesweep_sort_config_static_selectorELNS0_4arch9wavefront6targetE0EEEvSH_
	.globl	_ZN7rocprim17ROCPRIM_400000_NS6detail17trampoline_kernelINS0_14default_configENS1_35radix_sort_onesweep_config_selectorI12hip_bfloat16NS0_10empty_typeEEEZZNS1_29radix_sort_onesweep_iterationIS3_Lb1EPKS5_PS5_PS6_SC_mNS0_19identity_decomposerENS1_16block_id_wrapperIjLb0EEEEE10hipError_tT1_PNSt15iterator_traitsISH_E10value_typeET2_T3_PNSI_ISN_E10value_typeET4_T5_PSS_ST_PNS1_23onesweep_lookback_stateEbbT6_jjT7_P12ihipStream_tbENKUlT_T0_SH_SM_E_clISA_SB_SC_SC_EEDaS10_S11_SH_SM_EUlS10_E_NS1_11comp_targetILNS1_3genE6ELNS1_11target_archE950ELNS1_3gpuE13ELNS1_3repE0EEENS1_47radix_sort_onesweep_sort_config_static_selectorELNS0_4arch9wavefront6targetE0EEEvSH_
	.p2align	8
	.type	_ZN7rocprim17ROCPRIM_400000_NS6detail17trampoline_kernelINS0_14default_configENS1_35radix_sort_onesweep_config_selectorI12hip_bfloat16NS0_10empty_typeEEEZZNS1_29radix_sort_onesweep_iterationIS3_Lb1EPKS5_PS5_PS6_SC_mNS0_19identity_decomposerENS1_16block_id_wrapperIjLb0EEEEE10hipError_tT1_PNSt15iterator_traitsISH_E10value_typeET2_T3_PNSI_ISN_E10value_typeET4_T5_PSS_ST_PNS1_23onesweep_lookback_stateEbbT6_jjT7_P12ihipStream_tbENKUlT_T0_SH_SM_E_clISA_SB_SC_SC_EEDaS10_S11_SH_SM_EUlS10_E_NS1_11comp_targetILNS1_3genE6ELNS1_11target_archE950ELNS1_3gpuE13ELNS1_3repE0EEENS1_47radix_sort_onesweep_sort_config_static_selectorELNS0_4arch9wavefront6targetE0EEEvSH_,@function
_ZN7rocprim17ROCPRIM_400000_NS6detail17trampoline_kernelINS0_14default_configENS1_35radix_sort_onesweep_config_selectorI12hip_bfloat16NS0_10empty_typeEEEZZNS1_29radix_sort_onesweep_iterationIS3_Lb1EPKS5_PS5_PS6_SC_mNS0_19identity_decomposerENS1_16block_id_wrapperIjLb0EEEEE10hipError_tT1_PNSt15iterator_traitsISH_E10value_typeET2_T3_PNSI_ISN_E10value_typeET4_T5_PSS_ST_PNS1_23onesweep_lookback_stateEbbT6_jjT7_P12ihipStream_tbENKUlT_T0_SH_SM_E_clISA_SB_SC_SC_EEDaS10_S11_SH_SM_EUlS10_E_NS1_11comp_targetILNS1_3genE6ELNS1_11target_archE950ELNS1_3gpuE13ELNS1_3repE0EEENS1_47radix_sort_onesweep_sort_config_static_selectorELNS0_4arch9wavefront6targetE0EEEvSH_: ; @_ZN7rocprim17ROCPRIM_400000_NS6detail17trampoline_kernelINS0_14default_configENS1_35radix_sort_onesweep_config_selectorI12hip_bfloat16NS0_10empty_typeEEEZZNS1_29radix_sort_onesweep_iterationIS3_Lb1EPKS5_PS5_PS6_SC_mNS0_19identity_decomposerENS1_16block_id_wrapperIjLb0EEEEE10hipError_tT1_PNSt15iterator_traitsISH_E10value_typeET2_T3_PNSI_ISN_E10value_typeET4_T5_PSS_ST_PNS1_23onesweep_lookback_stateEbbT6_jjT7_P12ihipStream_tbENKUlT_T0_SH_SM_E_clISA_SB_SC_SC_EEDaS10_S11_SH_SM_EUlS10_E_NS1_11comp_targetILNS1_3genE6ELNS1_11target_archE950ELNS1_3gpuE13ELNS1_3repE0EEENS1_47radix_sort_onesweep_sort_config_static_selectorELNS0_4arch9wavefront6targetE0EEEvSH_
; %bb.0:
	.section	.rodata,"a",@progbits
	.p2align	6, 0x0
	.amdhsa_kernel _ZN7rocprim17ROCPRIM_400000_NS6detail17trampoline_kernelINS0_14default_configENS1_35radix_sort_onesweep_config_selectorI12hip_bfloat16NS0_10empty_typeEEEZZNS1_29radix_sort_onesweep_iterationIS3_Lb1EPKS5_PS5_PS6_SC_mNS0_19identity_decomposerENS1_16block_id_wrapperIjLb0EEEEE10hipError_tT1_PNSt15iterator_traitsISH_E10value_typeET2_T3_PNSI_ISN_E10value_typeET4_T5_PSS_ST_PNS1_23onesweep_lookback_stateEbbT6_jjT7_P12ihipStream_tbENKUlT_T0_SH_SM_E_clISA_SB_SC_SC_EEDaS10_S11_SH_SM_EUlS10_E_NS1_11comp_targetILNS1_3genE6ELNS1_11target_archE950ELNS1_3gpuE13ELNS1_3repE0EEENS1_47radix_sort_onesweep_sort_config_static_selectorELNS0_4arch9wavefront6targetE0EEEvSH_
		.amdhsa_group_segment_fixed_size 0
		.amdhsa_private_segment_fixed_size 0
		.amdhsa_kernarg_size 88
		.amdhsa_user_sgpr_count 2
		.amdhsa_user_sgpr_dispatch_ptr 0
		.amdhsa_user_sgpr_queue_ptr 0
		.amdhsa_user_sgpr_kernarg_segment_ptr 1
		.amdhsa_user_sgpr_dispatch_id 0
		.amdhsa_user_sgpr_kernarg_preload_length 0
		.amdhsa_user_sgpr_kernarg_preload_offset 0
		.amdhsa_user_sgpr_private_segment_size 0
		.amdhsa_wavefront_size32 1
		.amdhsa_uses_dynamic_stack 0
		.amdhsa_enable_private_segment 0
		.amdhsa_system_sgpr_workgroup_id_x 1
		.amdhsa_system_sgpr_workgroup_id_y 0
		.amdhsa_system_sgpr_workgroup_id_z 0
		.amdhsa_system_sgpr_workgroup_info 0
		.amdhsa_system_vgpr_workitem_id 0
		.amdhsa_next_free_vgpr 1
		.amdhsa_next_free_sgpr 1
		.amdhsa_named_barrier_count 0
		.amdhsa_reserve_vcc 0
		.amdhsa_float_round_mode_32 0
		.amdhsa_float_round_mode_16_64 0
		.amdhsa_float_denorm_mode_32 3
		.amdhsa_float_denorm_mode_16_64 3
		.amdhsa_fp16_overflow 0
		.amdhsa_memory_ordered 1
		.amdhsa_forward_progress 1
		.amdhsa_inst_pref_size 0
		.amdhsa_round_robin_scheduling 0
		.amdhsa_exception_fp_ieee_invalid_op 0
		.amdhsa_exception_fp_denorm_src 0
		.amdhsa_exception_fp_ieee_div_zero 0
		.amdhsa_exception_fp_ieee_overflow 0
		.amdhsa_exception_fp_ieee_underflow 0
		.amdhsa_exception_fp_ieee_inexact 0
		.amdhsa_exception_int_div_zero 0
	.end_amdhsa_kernel
	.section	.text._ZN7rocprim17ROCPRIM_400000_NS6detail17trampoline_kernelINS0_14default_configENS1_35radix_sort_onesweep_config_selectorI12hip_bfloat16NS0_10empty_typeEEEZZNS1_29radix_sort_onesweep_iterationIS3_Lb1EPKS5_PS5_PS6_SC_mNS0_19identity_decomposerENS1_16block_id_wrapperIjLb0EEEEE10hipError_tT1_PNSt15iterator_traitsISH_E10value_typeET2_T3_PNSI_ISN_E10value_typeET4_T5_PSS_ST_PNS1_23onesweep_lookback_stateEbbT6_jjT7_P12ihipStream_tbENKUlT_T0_SH_SM_E_clISA_SB_SC_SC_EEDaS10_S11_SH_SM_EUlS10_E_NS1_11comp_targetILNS1_3genE6ELNS1_11target_archE950ELNS1_3gpuE13ELNS1_3repE0EEENS1_47radix_sort_onesweep_sort_config_static_selectorELNS0_4arch9wavefront6targetE0EEEvSH_,"axG",@progbits,_ZN7rocprim17ROCPRIM_400000_NS6detail17trampoline_kernelINS0_14default_configENS1_35radix_sort_onesweep_config_selectorI12hip_bfloat16NS0_10empty_typeEEEZZNS1_29radix_sort_onesweep_iterationIS3_Lb1EPKS5_PS5_PS6_SC_mNS0_19identity_decomposerENS1_16block_id_wrapperIjLb0EEEEE10hipError_tT1_PNSt15iterator_traitsISH_E10value_typeET2_T3_PNSI_ISN_E10value_typeET4_T5_PSS_ST_PNS1_23onesweep_lookback_stateEbbT6_jjT7_P12ihipStream_tbENKUlT_T0_SH_SM_E_clISA_SB_SC_SC_EEDaS10_S11_SH_SM_EUlS10_E_NS1_11comp_targetILNS1_3genE6ELNS1_11target_archE950ELNS1_3gpuE13ELNS1_3repE0EEENS1_47radix_sort_onesweep_sort_config_static_selectorELNS0_4arch9wavefront6targetE0EEEvSH_,comdat
.Lfunc_end1983:
	.size	_ZN7rocprim17ROCPRIM_400000_NS6detail17trampoline_kernelINS0_14default_configENS1_35radix_sort_onesweep_config_selectorI12hip_bfloat16NS0_10empty_typeEEEZZNS1_29radix_sort_onesweep_iterationIS3_Lb1EPKS5_PS5_PS6_SC_mNS0_19identity_decomposerENS1_16block_id_wrapperIjLb0EEEEE10hipError_tT1_PNSt15iterator_traitsISH_E10value_typeET2_T3_PNSI_ISN_E10value_typeET4_T5_PSS_ST_PNS1_23onesweep_lookback_stateEbbT6_jjT7_P12ihipStream_tbENKUlT_T0_SH_SM_E_clISA_SB_SC_SC_EEDaS10_S11_SH_SM_EUlS10_E_NS1_11comp_targetILNS1_3genE6ELNS1_11target_archE950ELNS1_3gpuE13ELNS1_3repE0EEENS1_47radix_sort_onesweep_sort_config_static_selectorELNS0_4arch9wavefront6targetE0EEEvSH_, .Lfunc_end1983-_ZN7rocprim17ROCPRIM_400000_NS6detail17trampoline_kernelINS0_14default_configENS1_35radix_sort_onesweep_config_selectorI12hip_bfloat16NS0_10empty_typeEEEZZNS1_29radix_sort_onesweep_iterationIS3_Lb1EPKS5_PS5_PS6_SC_mNS0_19identity_decomposerENS1_16block_id_wrapperIjLb0EEEEE10hipError_tT1_PNSt15iterator_traitsISH_E10value_typeET2_T3_PNSI_ISN_E10value_typeET4_T5_PSS_ST_PNS1_23onesweep_lookback_stateEbbT6_jjT7_P12ihipStream_tbENKUlT_T0_SH_SM_E_clISA_SB_SC_SC_EEDaS10_S11_SH_SM_EUlS10_E_NS1_11comp_targetILNS1_3genE6ELNS1_11target_archE950ELNS1_3gpuE13ELNS1_3repE0EEENS1_47radix_sort_onesweep_sort_config_static_selectorELNS0_4arch9wavefront6targetE0EEEvSH_
                                        ; -- End function
	.set _ZN7rocprim17ROCPRIM_400000_NS6detail17trampoline_kernelINS0_14default_configENS1_35radix_sort_onesweep_config_selectorI12hip_bfloat16NS0_10empty_typeEEEZZNS1_29radix_sort_onesweep_iterationIS3_Lb1EPKS5_PS5_PS6_SC_mNS0_19identity_decomposerENS1_16block_id_wrapperIjLb0EEEEE10hipError_tT1_PNSt15iterator_traitsISH_E10value_typeET2_T3_PNSI_ISN_E10value_typeET4_T5_PSS_ST_PNS1_23onesweep_lookback_stateEbbT6_jjT7_P12ihipStream_tbENKUlT_T0_SH_SM_E_clISA_SB_SC_SC_EEDaS10_S11_SH_SM_EUlS10_E_NS1_11comp_targetILNS1_3genE6ELNS1_11target_archE950ELNS1_3gpuE13ELNS1_3repE0EEENS1_47radix_sort_onesweep_sort_config_static_selectorELNS0_4arch9wavefront6targetE0EEEvSH_.num_vgpr, 0
	.set _ZN7rocprim17ROCPRIM_400000_NS6detail17trampoline_kernelINS0_14default_configENS1_35radix_sort_onesweep_config_selectorI12hip_bfloat16NS0_10empty_typeEEEZZNS1_29radix_sort_onesweep_iterationIS3_Lb1EPKS5_PS5_PS6_SC_mNS0_19identity_decomposerENS1_16block_id_wrapperIjLb0EEEEE10hipError_tT1_PNSt15iterator_traitsISH_E10value_typeET2_T3_PNSI_ISN_E10value_typeET4_T5_PSS_ST_PNS1_23onesweep_lookback_stateEbbT6_jjT7_P12ihipStream_tbENKUlT_T0_SH_SM_E_clISA_SB_SC_SC_EEDaS10_S11_SH_SM_EUlS10_E_NS1_11comp_targetILNS1_3genE6ELNS1_11target_archE950ELNS1_3gpuE13ELNS1_3repE0EEENS1_47radix_sort_onesweep_sort_config_static_selectorELNS0_4arch9wavefront6targetE0EEEvSH_.num_agpr, 0
	.set _ZN7rocprim17ROCPRIM_400000_NS6detail17trampoline_kernelINS0_14default_configENS1_35radix_sort_onesweep_config_selectorI12hip_bfloat16NS0_10empty_typeEEEZZNS1_29radix_sort_onesweep_iterationIS3_Lb1EPKS5_PS5_PS6_SC_mNS0_19identity_decomposerENS1_16block_id_wrapperIjLb0EEEEE10hipError_tT1_PNSt15iterator_traitsISH_E10value_typeET2_T3_PNSI_ISN_E10value_typeET4_T5_PSS_ST_PNS1_23onesweep_lookback_stateEbbT6_jjT7_P12ihipStream_tbENKUlT_T0_SH_SM_E_clISA_SB_SC_SC_EEDaS10_S11_SH_SM_EUlS10_E_NS1_11comp_targetILNS1_3genE6ELNS1_11target_archE950ELNS1_3gpuE13ELNS1_3repE0EEENS1_47radix_sort_onesweep_sort_config_static_selectorELNS0_4arch9wavefront6targetE0EEEvSH_.numbered_sgpr, 0
	.set _ZN7rocprim17ROCPRIM_400000_NS6detail17trampoline_kernelINS0_14default_configENS1_35radix_sort_onesweep_config_selectorI12hip_bfloat16NS0_10empty_typeEEEZZNS1_29radix_sort_onesweep_iterationIS3_Lb1EPKS5_PS5_PS6_SC_mNS0_19identity_decomposerENS1_16block_id_wrapperIjLb0EEEEE10hipError_tT1_PNSt15iterator_traitsISH_E10value_typeET2_T3_PNSI_ISN_E10value_typeET4_T5_PSS_ST_PNS1_23onesweep_lookback_stateEbbT6_jjT7_P12ihipStream_tbENKUlT_T0_SH_SM_E_clISA_SB_SC_SC_EEDaS10_S11_SH_SM_EUlS10_E_NS1_11comp_targetILNS1_3genE6ELNS1_11target_archE950ELNS1_3gpuE13ELNS1_3repE0EEENS1_47radix_sort_onesweep_sort_config_static_selectorELNS0_4arch9wavefront6targetE0EEEvSH_.num_named_barrier, 0
	.set _ZN7rocprim17ROCPRIM_400000_NS6detail17trampoline_kernelINS0_14default_configENS1_35radix_sort_onesweep_config_selectorI12hip_bfloat16NS0_10empty_typeEEEZZNS1_29radix_sort_onesweep_iterationIS3_Lb1EPKS5_PS5_PS6_SC_mNS0_19identity_decomposerENS1_16block_id_wrapperIjLb0EEEEE10hipError_tT1_PNSt15iterator_traitsISH_E10value_typeET2_T3_PNSI_ISN_E10value_typeET4_T5_PSS_ST_PNS1_23onesweep_lookback_stateEbbT6_jjT7_P12ihipStream_tbENKUlT_T0_SH_SM_E_clISA_SB_SC_SC_EEDaS10_S11_SH_SM_EUlS10_E_NS1_11comp_targetILNS1_3genE6ELNS1_11target_archE950ELNS1_3gpuE13ELNS1_3repE0EEENS1_47radix_sort_onesweep_sort_config_static_selectorELNS0_4arch9wavefront6targetE0EEEvSH_.private_seg_size, 0
	.set _ZN7rocprim17ROCPRIM_400000_NS6detail17trampoline_kernelINS0_14default_configENS1_35radix_sort_onesweep_config_selectorI12hip_bfloat16NS0_10empty_typeEEEZZNS1_29radix_sort_onesweep_iterationIS3_Lb1EPKS5_PS5_PS6_SC_mNS0_19identity_decomposerENS1_16block_id_wrapperIjLb0EEEEE10hipError_tT1_PNSt15iterator_traitsISH_E10value_typeET2_T3_PNSI_ISN_E10value_typeET4_T5_PSS_ST_PNS1_23onesweep_lookback_stateEbbT6_jjT7_P12ihipStream_tbENKUlT_T0_SH_SM_E_clISA_SB_SC_SC_EEDaS10_S11_SH_SM_EUlS10_E_NS1_11comp_targetILNS1_3genE6ELNS1_11target_archE950ELNS1_3gpuE13ELNS1_3repE0EEENS1_47radix_sort_onesweep_sort_config_static_selectorELNS0_4arch9wavefront6targetE0EEEvSH_.uses_vcc, 0
	.set _ZN7rocprim17ROCPRIM_400000_NS6detail17trampoline_kernelINS0_14default_configENS1_35radix_sort_onesweep_config_selectorI12hip_bfloat16NS0_10empty_typeEEEZZNS1_29radix_sort_onesweep_iterationIS3_Lb1EPKS5_PS5_PS6_SC_mNS0_19identity_decomposerENS1_16block_id_wrapperIjLb0EEEEE10hipError_tT1_PNSt15iterator_traitsISH_E10value_typeET2_T3_PNSI_ISN_E10value_typeET4_T5_PSS_ST_PNS1_23onesweep_lookback_stateEbbT6_jjT7_P12ihipStream_tbENKUlT_T0_SH_SM_E_clISA_SB_SC_SC_EEDaS10_S11_SH_SM_EUlS10_E_NS1_11comp_targetILNS1_3genE6ELNS1_11target_archE950ELNS1_3gpuE13ELNS1_3repE0EEENS1_47radix_sort_onesweep_sort_config_static_selectorELNS0_4arch9wavefront6targetE0EEEvSH_.uses_flat_scratch, 0
	.set _ZN7rocprim17ROCPRIM_400000_NS6detail17trampoline_kernelINS0_14default_configENS1_35radix_sort_onesweep_config_selectorI12hip_bfloat16NS0_10empty_typeEEEZZNS1_29radix_sort_onesweep_iterationIS3_Lb1EPKS5_PS5_PS6_SC_mNS0_19identity_decomposerENS1_16block_id_wrapperIjLb0EEEEE10hipError_tT1_PNSt15iterator_traitsISH_E10value_typeET2_T3_PNSI_ISN_E10value_typeET4_T5_PSS_ST_PNS1_23onesweep_lookback_stateEbbT6_jjT7_P12ihipStream_tbENKUlT_T0_SH_SM_E_clISA_SB_SC_SC_EEDaS10_S11_SH_SM_EUlS10_E_NS1_11comp_targetILNS1_3genE6ELNS1_11target_archE950ELNS1_3gpuE13ELNS1_3repE0EEENS1_47radix_sort_onesweep_sort_config_static_selectorELNS0_4arch9wavefront6targetE0EEEvSH_.has_dyn_sized_stack, 0
	.set _ZN7rocprim17ROCPRIM_400000_NS6detail17trampoline_kernelINS0_14default_configENS1_35radix_sort_onesweep_config_selectorI12hip_bfloat16NS0_10empty_typeEEEZZNS1_29radix_sort_onesweep_iterationIS3_Lb1EPKS5_PS5_PS6_SC_mNS0_19identity_decomposerENS1_16block_id_wrapperIjLb0EEEEE10hipError_tT1_PNSt15iterator_traitsISH_E10value_typeET2_T3_PNSI_ISN_E10value_typeET4_T5_PSS_ST_PNS1_23onesweep_lookback_stateEbbT6_jjT7_P12ihipStream_tbENKUlT_T0_SH_SM_E_clISA_SB_SC_SC_EEDaS10_S11_SH_SM_EUlS10_E_NS1_11comp_targetILNS1_3genE6ELNS1_11target_archE950ELNS1_3gpuE13ELNS1_3repE0EEENS1_47radix_sort_onesweep_sort_config_static_selectorELNS0_4arch9wavefront6targetE0EEEvSH_.has_recursion, 0
	.set _ZN7rocprim17ROCPRIM_400000_NS6detail17trampoline_kernelINS0_14default_configENS1_35radix_sort_onesweep_config_selectorI12hip_bfloat16NS0_10empty_typeEEEZZNS1_29radix_sort_onesweep_iterationIS3_Lb1EPKS5_PS5_PS6_SC_mNS0_19identity_decomposerENS1_16block_id_wrapperIjLb0EEEEE10hipError_tT1_PNSt15iterator_traitsISH_E10value_typeET2_T3_PNSI_ISN_E10value_typeET4_T5_PSS_ST_PNS1_23onesweep_lookback_stateEbbT6_jjT7_P12ihipStream_tbENKUlT_T0_SH_SM_E_clISA_SB_SC_SC_EEDaS10_S11_SH_SM_EUlS10_E_NS1_11comp_targetILNS1_3genE6ELNS1_11target_archE950ELNS1_3gpuE13ELNS1_3repE0EEENS1_47radix_sort_onesweep_sort_config_static_selectorELNS0_4arch9wavefront6targetE0EEEvSH_.has_indirect_call, 0
	.section	.AMDGPU.csdata,"",@progbits
; Kernel info:
; codeLenInByte = 0
; TotalNumSgprs: 0
; NumVgprs: 0
; ScratchSize: 0
; MemoryBound: 0
; FloatMode: 240
; IeeeMode: 1
; LDSByteSize: 0 bytes/workgroup (compile time only)
; SGPRBlocks: 0
; VGPRBlocks: 0
; NumSGPRsForWavesPerEU: 1
; NumVGPRsForWavesPerEU: 1
; NamedBarCnt: 0
; Occupancy: 16
; WaveLimiterHint : 0
; COMPUTE_PGM_RSRC2:SCRATCH_EN: 0
; COMPUTE_PGM_RSRC2:USER_SGPR: 2
; COMPUTE_PGM_RSRC2:TRAP_HANDLER: 0
; COMPUTE_PGM_RSRC2:TGID_X_EN: 1
; COMPUTE_PGM_RSRC2:TGID_Y_EN: 0
; COMPUTE_PGM_RSRC2:TGID_Z_EN: 0
; COMPUTE_PGM_RSRC2:TIDIG_COMP_CNT: 0
	.section	.text._ZN7rocprim17ROCPRIM_400000_NS6detail17trampoline_kernelINS0_14default_configENS1_35radix_sort_onesweep_config_selectorI12hip_bfloat16NS0_10empty_typeEEEZZNS1_29radix_sort_onesweep_iterationIS3_Lb1EPKS5_PS5_PS6_SC_mNS0_19identity_decomposerENS1_16block_id_wrapperIjLb0EEEEE10hipError_tT1_PNSt15iterator_traitsISH_E10value_typeET2_T3_PNSI_ISN_E10value_typeET4_T5_PSS_ST_PNS1_23onesweep_lookback_stateEbbT6_jjT7_P12ihipStream_tbENKUlT_T0_SH_SM_E_clISA_SB_SC_SC_EEDaS10_S11_SH_SM_EUlS10_E_NS1_11comp_targetILNS1_3genE5ELNS1_11target_archE942ELNS1_3gpuE9ELNS1_3repE0EEENS1_47radix_sort_onesweep_sort_config_static_selectorELNS0_4arch9wavefront6targetE0EEEvSH_,"axG",@progbits,_ZN7rocprim17ROCPRIM_400000_NS6detail17trampoline_kernelINS0_14default_configENS1_35radix_sort_onesweep_config_selectorI12hip_bfloat16NS0_10empty_typeEEEZZNS1_29radix_sort_onesweep_iterationIS3_Lb1EPKS5_PS5_PS6_SC_mNS0_19identity_decomposerENS1_16block_id_wrapperIjLb0EEEEE10hipError_tT1_PNSt15iterator_traitsISH_E10value_typeET2_T3_PNSI_ISN_E10value_typeET4_T5_PSS_ST_PNS1_23onesweep_lookback_stateEbbT6_jjT7_P12ihipStream_tbENKUlT_T0_SH_SM_E_clISA_SB_SC_SC_EEDaS10_S11_SH_SM_EUlS10_E_NS1_11comp_targetILNS1_3genE5ELNS1_11target_archE942ELNS1_3gpuE9ELNS1_3repE0EEENS1_47radix_sort_onesweep_sort_config_static_selectorELNS0_4arch9wavefront6targetE0EEEvSH_,comdat
	.protected	_ZN7rocprim17ROCPRIM_400000_NS6detail17trampoline_kernelINS0_14default_configENS1_35radix_sort_onesweep_config_selectorI12hip_bfloat16NS0_10empty_typeEEEZZNS1_29radix_sort_onesweep_iterationIS3_Lb1EPKS5_PS5_PS6_SC_mNS0_19identity_decomposerENS1_16block_id_wrapperIjLb0EEEEE10hipError_tT1_PNSt15iterator_traitsISH_E10value_typeET2_T3_PNSI_ISN_E10value_typeET4_T5_PSS_ST_PNS1_23onesweep_lookback_stateEbbT6_jjT7_P12ihipStream_tbENKUlT_T0_SH_SM_E_clISA_SB_SC_SC_EEDaS10_S11_SH_SM_EUlS10_E_NS1_11comp_targetILNS1_3genE5ELNS1_11target_archE942ELNS1_3gpuE9ELNS1_3repE0EEENS1_47radix_sort_onesweep_sort_config_static_selectorELNS0_4arch9wavefront6targetE0EEEvSH_ ; -- Begin function _ZN7rocprim17ROCPRIM_400000_NS6detail17trampoline_kernelINS0_14default_configENS1_35radix_sort_onesweep_config_selectorI12hip_bfloat16NS0_10empty_typeEEEZZNS1_29radix_sort_onesweep_iterationIS3_Lb1EPKS5_PS5_PS6_SC_mNS0_19identity_decomposerENS1_16block_id_wrapperIjLb0EEEEE10hipError_tT1_PNSt15iterator_traitsISH_E10value_typeET2_T3_PNSI_ISN_E10value_typeET4_T5_PSS_ST_PNS1_23onesweep_lookback_stateEbbT6_jjT7_P12ihipStream_tbENKUlT_T0_SH_SM_E_clISA_SB_SC_SC_EEDaS10_S11_SH_SM_EUlS10_E_NS1_11comp_targetILNS1_3genE5ELNS1_11target_archE942ELNS1_3gpuE9ELNS1_3repE0EEENS1_47radix_sort_onesweep_sort_config_static_selectorELNS0_4arch9wavefront6targetE0EEEvSH_
	.globl	_ZN7rocprim17ROCPRIM_400000_NS6detail17trampoline_kernelINS0_14default_configENS1_35radix_sort_onesweep_config_selectorI12hip_bfloat16NS0_10empty_typeEEEZZNS1_29radix_sort_onesweep_iterationIS3_Lb1EPKS5_PS5_PS6_SC_mNS0_19identity_decomposerENS1_16block_id_wrapperIjLb0EEEEE10hipError_tT1_PNSt15iterator_traitsISH_E10value_typeET2_T3_PNSI_ISN_E10value_typeET4_T5_PSS_ST_PNS1_23onesweep_lookback_stateEbbT6_jjT7_P12ihipStream_tbENKUlT_T0_SH_SM_E_clISA_SB_SC_SC_EEDaS10_S11_SH_SM_EUlS10_E_NS1_11comp_targetILNS1_3genE5ELNS1_11target_archE942ELNS1_3gpuE9ELNS1_3repE0EEENS1_47radix_sort_onesweep_sort_config_static_selectorELNS0_4arch9wavefront6targetE0EEEvSH_
	.p2align	8
	.type	_ZN7rocprim17ROCPRIM_400000_NS6detail17trampoline_kernelINS0_14default_configENS1_35radix_sort_onesweep_config_selectorI12hip_bfloat16NS0_10empty_typeEEEZZNS1_29radix_sort_onesweep_iterationIS3_Lb1EPKS5_PS5_PS6_SC_mNS0_19identity_decomposerENS1_16block_id_wrapperIjLb0EEEEE10hipError_tT1_PNSt15iterator_traitsISH_E10value_typeET2_T3_PNSI_ISN_E10value_typeET4_T5_PSS_ST_PNS1_23onesweep_lookback_stateEbbT6_jjT7_P12ihipStream_tbENKUlT_T0_SH_SM_E_clISA_SB_SC_SC_EEDaS10_S11_SH_SM_EUlS10_E_NS1_11comp_targetILNS1_3genE5ELNS1_11target_archE942ELNS1_3gpuE9ELNS1_3repE0EEENS1_47radix_sort_onesweep_sort_config_static_selectorELNS0_4arch9wavefront6targetE0EEEvSH_,@function
_ZN7rocprim17ROCPRIM_400000_NS6detail17trampoline_kernelINS0_14default_configENS1_35radix_sort_onesweep_config_selectorI12hip_bfloat16NS0_10empty_typeEEEZZNS1_29radix_sort_onesweep_iterationIS3_Lb1EPKS5_PS5_PS6_SC_mNS0_19identity_decomposerENS1_16block_id_wrapperIjLb0EEEEE10hipError_tT1_PNSt15iterator_traitsISH_E10value_typeET2_T3_PNSI_ISN_E10value_typeET4_T5_PSS_ST_PNS1_23onesweep_lookback_stateEbbT6_jjT7_P12ihipStream_tbENKUlT_T0_SH_SM_E_clISA_SB_SC_SC_EEDaS10_S11_SH_SM_EUlS10_E_NS1_11comp_targetILNS1_3genE5ELNS1_11target_archE942ELNS1_3gpuE9ELNS1_3repE0EEENS1_47radix_sort_onesweep_sort_config_static_selectorELNS0_4arch9wavefront6targetE0EEEvSH_: ; @_ZN7rocprim17ROCPRIM_400000_NS6detail17trampoline_kernelINS0_14default_configENS1_35radix_sort_onesweep_config_selectorI12hip_bfloat16NS0_10empty_typeEEEZZNS1_29radix_sort_onesweep_iterationIS3_Lb1EPKS5_PS5_PS6_SC_mNS0_19identity_decomposerENS1_16block_id_wrapperIjLb0EEEEE10hipError_tT1_PNSt15iterator_traitsISH_E10value_typeET2_T3_PNSI_ISN_E10value_typeET4_T5_PSS_ST_PNS1_23onesweep_lookback_stateEbbT6_jjT7_P12ihipStream_tbENKUlT_T0_SH_SM_E_clISA_SB_SC_SC_EEDaS10_S11_SH_SM_EUlS10_E_NS1_11comp_targetILNS1_3genE5ELNS1_11target_archE942ELNS1_3gpuE9ELNS1_3repE0EEENS1_47radix_sort_onesweep_sort_config_static_selectorELNS0_4arch9wavefront6targetE0EEEvSH_
; %bb.0:
	.section	.rodata,"a",@progbits
	.p2align	6, 0x0
	.amdhsa_kernel _ZN7rocprim17ROCPRIM_400000_NS6detail17trampoline_kernelINS0_14default_configENS1_35radix_sort_onesweep_config_selectorI12hip_bfloat16NS0_10empty_typeEEEZZNS1_29radix_sort_onesweep_iterationIS3_Lb1EPKS5_PS5_PS6_SC_mNS0_19identity_decomposerENS1_16block_id_wrapperIjLb0EEEEE10hipError_tT1_PNSt15iterator_traitsISH_E10value_typeET2_T3_PNSI_ISN_E10value_typeET4_T5_PSS_ST_PNS1_23onesweep_lookback_stateEbbT6_jjT7_P12ihipStream_tbENKUlT_T0_SH_SM_E_clISA_SB_SC_SC_EEDaS10_S11_SH_SM_EUlS10_E_NS1_11comp_targetILNS1_3genE5ELNS1_11target_archE942ELNS1_3gpuE9ELNS1_3repE0EEENS1_47radix_sort_onesweep_sort_config_static_selectorELNS0_4arch9wavefront6targetE0EEEvSH_
		.amdhsa_group_segment_fixed_size 0
		.amdhsa_private_segment_fixed_size 0
		.amdhsa_kernarg_size 88
		.amdhsa_user_sgpr_count 2
		.amdhsa_user_sgpr_dispatch_ptr 0
		.amdhsa_user_sgpr_queue_ptr 0
		.amdhsa_user_sgpr_kernarg_segment_ptr 1
		.amdhsa_user_sgpr_dispatch_id 0
		.amdhsa_user_sgpr_kernarg_preload_length 0
		.amdhsa_user_sgpr_kernarg_preload_offset 0
		.amdhsa_user_sgpr_private_segment_size 0
		.amdhsa_wavefront_size32 1
		.amdhsa_uses_dynamic_stack 0
		.amdhsa_enable_private_segment 0
		.amdhsa_system_sgpr_workgroup_id_x 1
		.amdhsa_system_sgpr_workgroup_id_y 0
		.amdhsa_system_sgpr_workgroup_id_z 0
		.amdhsa_system_sgpr_workgroup_info 0
		.amdhsa_system_vgpr_workitem_id 0
		.amdhsa_next_free_vgpr 1
		.amdhsa_next_free_sgpr 1
		.amdhsa_named_barrier_count 0
		.amdhsa_reserve_vcc 0
		.amdhsa_float_round_mode_32 0
		.amdhsa_float_round_mode_16_64 0
		.amdhsa_float_denorm_mode_32 3
		.amdhsa_float_denorm_mode_16_64 3
		.amdhsa_fp16_overflow 0
		.amdhsa_memory_ordered 1
		.amdhsa_forward_progress 1
		.amdhsa_inst_pref_size 0
		.amdhsa_round_robin_scheduling 0
		.amdhsa_exception_fp_ieee_invalid_op 0
		.amdhsa_exception_fp_denorm_src 0
		.amdhsa_exception_fp_ieee_div_zero 0
		.amdhsa_exception_fp_ieee_overflow 0
		.amdhsa_exception_fp_ieee_underflow 0
		.amdhsa_exception_fp_ieee_inexact 0
		.amdhsa_exception_int_div_zero 0
	.end_amdhsa_kernel
	.section	.text._ZN7rocprim17ROCPRIM_400000_NS6detail17trampoline_kernelINS0_14default_configENS1_35radix_sort_onesweep_config_selectorI12hip_bfloat16NS0_10empty_typeEEEZZNS1_29radix_sort_onesweep_iterationIS3_Lb1EPKS5_PS5_PS6_SC_mNS0_19identity_decomposerENS1_16block_id_wrapperIjLb0EEEEE10hipError_tT1_PNSt15iterator_traitsISH_E10value_typeET2_T3_PNSI_ISN_E10value_typeET4_T5_PSS_ST_PNS1_23onesweep_lookback_stateEbbT6_jjT7_P12ihipStream_tbENKUlT_T0_SH_SM_E_clISA_SB_SC_SC_EEDaS10_S11_SH_SM_EUlS10_E_NS1_11comp_targetILNS1_3genE5ELNS1_11target_archE942ELNS1_3gpuE9ELNS1_3repE0EEENS1_47radix_sort_onesweep_sort_config_static_selectorELNS0_4arch9wavefront6targetE0EEEvSH_,"axG",@progbits,_ZN7rocprim17ROCPRIM_400000_NS6detail17trampoline_kernelINS0_14default_configENS1_35radix_sort_onesweep_config_selectorI12hip_bfloat16NS0_10empty_typeEEEZZNS1_29radix_sort_onesweep_iterationIS3_Lb1EPKS5_PS5_PS6_SC_mNS0_19identity_decomposerENS1_16block_id_wrapperIjLb0EEEEE10hipError_tT1_PNSt15iterator_traitsISH_E10value_typeET2_T3_PNSI_ISN_E10value_typeET4_T5_PSS_ST_PNS1_23onesweep_lookback_stateEbbT6_jjT7_P12ihipStream_tbENKUlT_T0_SH_SM_E_clISA_SB_SC_SC_EEDaS10_S11_SH_SM_EUlS10_E_NS1_11comp_targetILNS1_3genE5ELNS1_11target_archE942ELNS1_3gpuE9ELNS1_3repE0EEENS1_47radix_sort_onesweep_sort_config_static_selectorELNS0_4arch9wavefront6targetE0EEEvSH_,comdat
.Lfunc_end1984:
	.size	_ZN7rocprim17ROCPRIM_400000_NS6detail17trampoline_kernelINS0_14default_configENS1_35radix_sort_onesweep_config_selectorI12hip_bfloat16NS0_10empty_typeEEEZZNS1_29radix_sort_onesweep_iterationIS3_Lb1EPKS5_PS5_PS6_SC_mNS0_19identity_decomposerENS1_16block_id_wrapperIjLb0EEEEE10hipError_tT1_PNSt15iterator_traitsISH_E10value_typeET2_T3_PNSI_ISN_E10value_typeET4_T5_PSS_ST_PNS1_23onesweep_lookback_stateEbbT6_jjT7_P12ihipStream_tbENKUlT_T0_SH_SM_E_clISA_SB_SC_SC_EEDaS10_S11_SH_SM_EUlS10_E_NS1_11comp_targetILNS1_3genE5ELNS1_11target_archE942ELNS1_3gpuE9ELNS1_3repE0EEENS1_47radix_sort_onesweep_sort_config_static_selectorELNS0_4arch9wavefront6targetE0EEEvSH_, .Lfunc_end1984-_ZN7rocprim17ROCPRIM_400000_NS6detail17trampoline_kernelINS0_14default_configENS1_35radix_sort_onesweep_config_selectorI12hip_bfloat16NS0_10empty_typeEEEZZNS1_29radix_sort_onesweep_iterationIS3_Lb1EPKS5_PS5_PS6_SC_mNS0_19identity_decomposerENS1_16block_id_wrapperIjLb0EEEEE10hipError_tT1_PNSt15iterator_traitsISH_E10value_typeET2_T3_PNSI_ISN_E10value_typeET4_T5_PSS_ST_PNS1_23onesweep_lookback_stateEbbT6_jjT7_P12ihipStream_tbENKUlT_T0_SH_SM_E_clISA_SB_SC_SC_EEDaS10_S11_SH_SM_EUlS10_E_NS1_11comp_targetILNS1_3genE5ELNS1_11target_archE942ELNS1_3gpuE9ELNS1_3repE0EEENS1_47radix_sort_onesweep_sort_config_static_selectorELNS0_4arch9wavefront6targetE0EEEvSH_
                                        ; -- End function
	.set _ZN7rocprim17ROCPRIM_400000_NS6detail17trampoline_kernelINS0_14default_configENS1_35radix_sort_onesweep_config_selectorI12hip_bfloat16NS0_10empty_typeEEEZZNS1_29radix_sort_onesweep_iterationIS3_Lb1EPKS5_PS5_PS6_SC_mNS0_19identity_decomposerENS1_16block_id_wrapperIjLb0EEEEE10hipError_tT1_PNSt15iterator_traitsISH_E10value_typeET2_T3_PNSI_ISN_E10value_typeET4_T5_PSS_ST_PNS1_23onesweep_lookback_stateEbbT6_jjT7_P12ihipStream_tbENKUlT_T0_SH_SM_E_clISA_SB_SC_SC_EEDaS10_S11_SH_SM_EUlS10_E_NS1_11comp_targetILNS1_3genE5ELNS1_11target_archE942ELNS1_3gpuE9ELNS1_3repE0EEENS1_47radix_sort_onesweep_sort_config_static_selectorELNS0_4arch9wavefront6targetE0EEEvSH_.num_vgpr, 0
	.set _ZN7rocprim17ROCPRIM_400000_NS6detail17trampoline_kernelINS0_14default_configENS1_35radix_sort_onesweep_config_selectorI12hip_bfloat16NS0_10empty_typeEEEZZNS1_29radix_sort_onesweep_iterationIS3_Lb1EPKS5_PS5_PS6_SC_mNS0_19identity_decomposerENS1_16block_id_wrapperIjLb0EEEEE10hipError_tT1_PNSt15iterator_traitsISH_E10value_typeET2_T3_PNSI_ISN_E10value_typeET4_T5_PSS_ST_PNS1_23onesweep_lookback_stateEbbT6_jjT7_P12ihipStream_tbENKUlT_T0_SH_SM_E_clISA_SB_SC_SC_EEDaS10_S11_SH_SM_EUlS10_E_NS1_11comp_targetILNS1_3genE5ELNS1_11target_archE942ELNS1_3gpuE9ELNS1_3repE0EEENS1_47radix_sort_onesweep_sort_config_static_selectorELNS0_4arch9wavefront6targetE0EEEvSH_.num_agpr, 0
	.set _ZN7rocprim17ROCPRIM_400000_NS6detail17trampoline_kernelINS0_14default_configENS1_35radix_sort_onesweep_config_selectorI12hip_bfloat16NS0_10empty_typeEEEZZNS1_29radix_sort_onesweep_iterationIS3_Lb1EPKS5_PS5_PS6_SC_mNS0_19identity_decomposerENS1_16block_id_wrapperIjLb0EEEEE10hipError_tT1_PNSt15iterator_traitsISH_E10value_typeET2_T3_PNSI_ISN_E10value_typeET4_T5_PSS_ST_PNS1_23onesweep_lookback_stateEbbT6_jjT7_P12ihipStream_tbENKUlT_T0_SH_SM_E_clISA_SB_SC_SC_EEDaS10_S11_SH_SM_EUlS10_E_NS1_11comp_targetILNS1_3genE5ELNS1_11target_archE942ELNS1_3gpuE9ELNS1_3repE0EEENS1_47radix_sort_onesweep_sort_config_static_selectorELNS0_4arch9wavefront6targetE0EEEvSH_.numbered_sgpr, 0
	.set _ZN7rocprim17ROCPRIM_400000_NS6detail17trampoline_kernelINS0_14default_configENS1_35radix_sort_onesweep_config_selectorI12hip_bfloat16NS0_10empty_typeEEEZZNS1_29radix_sort_onesweep_iterationIS3_Lb1EPKS5_PS5_PS6_SC_mNS0_19identity_decomposerENS1_16block_id_wrapperIjLb0EEEEE10hipError_tT1_PNSt15iterator_traitsISH_E10value_typeET2_T3_PNSI_ISN_E10value_typeET4_T5_PSS_ST_PNS1_23onesweep_lookback_stateEbbT6_jjT7_P12ihipStream_tbENKUlT_T0_SH_SM_E_clISA_SB_SC_SC_EEDaS10_S11_SH_SM_EUlS10_E_NS1_11comp_targetILNS1_3genE5ELNS1_11target_archE942ELNS1_3gpuE9ELNS1_3repE0EEENS1_47radix_sort_onesweep_sort_config_static_selectorELNS0_4arch9wavefront6targetE0EEEvSH_.num_named_barrier, 0
	.set _ZN7rocprim17ROCPRIM_400000_NS6detail17trampoline_kernelINS0_14default_configENS1_35radix_sort_onesweep_config_selectorI12hip_bfloat16NS0_10empty_typeEEEZZNS1_29radix_sort_onesweep_iterationIS3_Lb1EPKS5_PS5_PS6_SC_mNS0_19identity_decomposerENS1_16block_id_wrapperIjLb0EEEEE10hipError_tT1_PNSt15iterator_traitsISH_E10value_typeET2_T3_PNSI_ISN_E10value_typeET4_T5_PSS_ST_PNS1_23onesweep_lookback_stateEbbT6_jjT7_P12ihipStream_tbENKUlT_T0_SH_SM_E_clISA_SB_SC_SC_EEDaS10_S11_SH_SM_EUlS10_E_NS1_11comp_targetILNS1_3genE5ELNS1_11target_archE942ELNS1_3gpuE9ELNS1_3repE0EEENS1_47radix_sort_onesweep_sort_config_static_selectorELNS0_4arch9wavefront6targetE0EEEvSH_.private_seg_size, 0
	.set _ZN7rocprim17ROCPRIM_400000_NS6detail17trampoline_kernelINS0_14default_configENS1_35radix_sort_onesweep_config_selectorI12hip_bfloat16NS0_10empty_typeEEEZZNS1_29radix_sort_onesweep_iterationIS3_Lb1EPKS5_PS5_PS6_SC_mNS0_19identity_decomposerENS1_16block_id_wrapperIjLb0EEEEE10hipError_tT1_PNSt15iterator_traitsISH_E10value_typeET2_T3_PNSI_ISN_E10value_typeET4_T5_PSS_ST_PNS1_23onesweep_lookback_stateEbbT6_jjT7_P12ihipStream_tbENKUlT_T0_SH_SM_E_clISA_SB_SC_SC_EEDaS10_S11_SH_SM_EUlS10_E_NS1_11comp_targetILNS1_3genE5ELNS1_11target_archE942ELNS1_3gpuE9ELNS1_3repE0EEENS1_47radix_sort_onesweep_sort_config_static_selectorELNS0_4arch9wavefront6targetE0EEEvSH_.uses_vcc, 0
	.set _ZN7rocprim17ROCPRIM_400000_NS6detail17trampoline_kernelINS0_14default_configENS1_35radix_sort_onesweep_config_selectorI12hip_bfloat16NS0_10empty_typeEEEZZNS1_29radix_sort_onesweep_iterationIS3_Lb1EPKS5_PS5_PS6_SC_mNS0_19identity_decomposerENS1_16block_id_wrapperIjLb0EEEEE10hipError_tT1_PNSt15iterator_traitsISH_E10value_typeET2_T3_PNSI_ISN_E10value_typeET4_T5_PSS_ST_PNS1_23onesweep_lookback_stateEbbT6_jjT7_P12ihipStream_tbENKUlT_T0_SH_SM_E_clISA_SB_SC_SC_EEDaS10_S11_SH_SM_EUlS10_E_NS1_11comp_targetILNS1_3genE5ELNS1_11target_archE942ELNS1_3gpuE9ELNS1_3repE0EEENS1_47radix_sort_onesweep_sort_config_static_selectorELNS0_4arch9wavefront6targetE0EEEvSH_.uses_flat_scratch, 0
	.set _ZN7rocprim17ROCPRIM_400000_NS6detail17trampoline_kernelINS0_14default_configENS1_35radix_sort_onesweep_config_selectorI12hip_bfloat16NS0_10empty_typeEEEZZNS1_29radix_sort_onesweep_iterationIS3_Lb1EPKS5_PS5_PS6_SC_mNS0_19identity_decomposerENS1_16block_id_wrapperIjLb0EEEEE10hipError_tT1_PNSt15iterator_traitsISH_E10value_typeET2_T3_PNSI_ISN_E10value_typeET4_T5_PSS_ST_PNS1_23onesweep_lookback_stateEbbT6_jjT7_P12ihipStream_tbENKUlT_T0_SH_SM_E_clISA_SB_SC_SC_EEDaS10_S11_SH_SM_EUlS10_E_NS1_11comp_targetILNS1_3genE5ELNS1_11target_archE942ELNS1_3gpuE9ELNS1_3repE0EEENS1_47radix_sort_onesweep_sort_config_static_selectorELNS0_4arch9wavefront6targetE0EEEvSH_.has_dyn_sized_stack, 0
	.set _ZN7rocprim17ROCPRIM_400000_NS6detail17trampoline_kernelINS0_14default_configENS1_35radix_sort_onesweep_config_selectorI12hip_bfloat16NS0_10empty_typeEEEZZNS1_29radix_sort_onesweep_iterationIS3_Lb1EPKS5_PS5_PS6_SC_mNS0_19identity_decomposerENS1_16block_id_wrapperIjLb0EEEEE10hipError_tT1_PNSt15iterator_traitsISH_E10value_typeET2_T3_PNSI_ISN_E10value_typeET4_T5_PSS_ST_PNS1_23onesweep_lookback_stateEbbT6_jjT7_P12ihipStream_tbENKUlT_T0_SH_SM_E_clISA_SB_SC_SC_EEDaS10_S11_SH_SM_EUlS10_E_NS1_11comp_targetILNS1_3genE5ELNS1_11target_archE942ELNS1_3gpuE9ELNS1_3repE0EEENS1_47radix_sort_onesweep_sort_config_static_selectorELNS0_4arch9wavefront6targetE0EEEvSH_.has_recursion, 0
	.set _ZN7rocprim17ROCPRIM_400000_NS6detail17trampoline_kernelINS0_14default_configENS1_35radix_sort_onesweep_config_selectorI12hip_bfloat16NS0_10empty_typeEEEZZNS1_29radix_sort_onesweep_iterationIS3_Lb1EPKS5_PS5_PS6_SC_mNS0_19identity_decomposerENS1_16block_id_wrapperIjLb0EEEEE10hipError_tT1_PNSt15iterator_traitsISH_E10value_typeET2_T3_PNSI_ISN_E10value_typeET4_T5_PSS_ST_PNS1_23onesweep_lookback_stateEbbT6_jjT7_P12ihipStream_tbENKUlT_T0_SH_SM_E_clISA_SB_SC_SC_EEDaS10_S11_SH_SM_EUlS10_E_NS1_11comp_targetILNS1_3genE5ELNS1_11target_archE942ELNS1_3gpuE9ELNS1_3repE0EEENS1_47radix_sort_onesweep_sort_config_static_selectorELNS0_4arch9wavefront6targetE0EEEvSH_.has_indirect_call, 0
	.section	.AMDGPU.csdata,"",@progbits
; Kernel info:
; codeLenInByte = 0
; TotalNumSgprs: 0
; NumVgprs: 0
; ScratchSize: 0
; MemoryBound: 0
; FloatMode: 240
; IeeeMode: 1
; LDSByteSize: 0 bytes/workgroup (compile time only)
; SGPRBlocks: 0
; VGPRBlocks: 0
; NumSGPRsForWavesPerEU: 1
; NumVGPRsForWavesPerEU: 1
; NamedBarCnt: 0
; Occupancy: 16
; WaveLimiterHint : 0
; COMPUTE_PGM_RSRC2:SCRATCH_EN: 0
; COMPUTE_PGM_RSRC2:USER_SGPR: 2
; COMPUTE_PGM_RSRC2:TRAP_HANDLER: 0
; COMPUTE_PGM_RSRC2:TGID_X_EN: 1
; COMPUTE_PGM_RSRC2:TGID_Y_EN: 0
; COMPUTE_PGM_RSRC2:TGID_Z_EN: 0
; COMPUTE_PGM_RSRC2:TIDIG_COMP_CNT: 0
	.section	.text._ZN7rocprim17ROCPRIM_400000_NS6detail17trampoline_kernelINS0_14default_configENS1_35radix_sort_onesweep_config_selectorI12hip_bfloat16NS0_10empty_typeEEEZZNS1_29radix_sort_onesweep_iterationIS3_Lb1EPKS5_PS5_PS6_SC_mNS0_19identity_decomposerENS1_16block_id_wrapperIjLb0EEEEE10hipError_tT1_PNSt15iterator_traitsISH_E10value_typeET2_T3_PNSI_ISN_E10value_typeET4_T5_PSS_ST_PNS1_23onesweep_lookback_stateEbbT6_jjT7_P12ihipStream_tbENKUlT_T0_SH_SM_E_clISA_SB_SC_SC_EEDaS10_S11_SH_SM_EUlS10_E_NS1_11comp_targetILNS1_3genE2ELNS1_11target_archE906ELNS1_3gpuE6ELNS1_3repE0EEENS1_47radix_sort_onesweep_sort_config_static_selectorELNS0_4arch9wavefront6targetE0EEEvSH_,"axG",@progbits,_ZN7rocprim17ROCPRIM_400000_NS6detail17trampoline_kernelINS0_14default_configENS1_35radix_sort_onesweep_config_selectorI12hip_bfloat16NS0_10empty_typeEEEZZNS1_29radix_sort_onesweep_iterationIS3_Lb1EPKS5_PS5_PS6_SC_mNS0_19identity_decomposerENS1_16block_id_wrapperIjLb0EEEEE10hipError_tT1_PNSt15iterator_traitsISH_E10value_typeET2_T3_PNSI_ISN_E10value_typeET4_T5_PSS_ST_PNS1_23onesweep_lookback_stateEbbT6_jjT7_P12ihipStream_tbENKUlT_T0_SH_SM_E_clISA_SB_SC_SC_EEDaS10_S11_SH_SM_EUlS10_E_NS1_11comp_targetILNS1_3genE2ELNS1_11target_archE906ELNS1_3gpuE6ELNS1_3repE0EEENS1_47radix_sort_onesweep_sort_config_static_selectorELNS0_4arch9wavefront6targetE0EEEvSH_,comdat
	.protected	_ZN7rocprim17ROCPRIM_400000_NS6detail17trampoline_kernelINS0_14default_configENS1_35radix_sort_onesweep_config_selectorI12hip_bfloat16NS0_10empty_typeEEEZZNS1_29radix_sort_onesweep_iterationIS3_Lb1EPKS5_PS5_PS6_SC_mNS0_19identity_decomposerENS1_16block_id_wrapperIjLb0EEEEE10hipError_tT1_PNSt15iterator_traitsISH_E10value_typeET2_T3_PNSI_ISN_E10value_typeET4_T5_PSS_ST_PNS1_23onesweep_lookback_stateEbbT6_jjT7_P12ihipStream_tbENKUlT_T0_SH_SM_E_clISA_SB_SC_SC_EEDaS10_S11_SH_SM_EUlS10_E_NS1_11comp_targetILNS1_3genE2ELNS1_11target_archE906ELNS1_3gpuE6ELNS1_3repE0EEENS1_47radix_sort_onesweep_sort_config_static_selectorELNS0_4arch9wavefront6targetE0EEEvSH_ ; -- Begin function _ZN7rocprim17ROCPRIM_400000_NS6detail17trampoline_kernelINS0_14default_configENS1_35radix_sort_onesweep_config_selectorI12hip_bfloat16NS0_10empty_typeEEEZZNS1_29radix_sort_onesweep_iterationIS3_Lb1EPKS5_PS5_PS6_SC_mNS0_19identity_decomposerENS1_16block_id_wrapperIjLb0EEEEE10hipError_tT1_PNSt15iterator_traitsISH_E10value_typeET2_T3_PNSI_ISN_E10value_typeET4_T5_PSS_ST_PNS1_23onesweep_lookback_stateEbbT6_jjT7_P12ihipStream_tbENKUlT_T0_SH_SM_E_clISA_SB_SC_SC_EEDaS10_S11_SH_SM_EUlS10_E_NS1_11comp_targetILNS1_3genE2ELNS1_11target_archE906ELNS1_3gpuE6ELNS1_3repE0EEENS1_47radix_sort_onesweep_sort_config_static_selectorELNS0_4arch9wavefront6targetE0EEEvSH_
	.globl	_ZN7rocprim17ROCPRIM_400000_NS6detail17trampoline_kernelINS0_14default_configENS1_35radix_sort_onesweep_config_selectorI12hip_bfloat16NS0_10empty_typeEEEZZNS1_29radix_sort_onesweep_iterationIS3_Lb1EPKS5_PS5_PS6_SC_mNS0_19identity_decomposerENS1_16block_id_wrapperIjLb0EEEEE10hipError_tT1_PNSt15iterator_traitsISH_E10value_typeET2_T3_PNSI_ISN_E10value_typeET4_T5_PSS_ST_PNS1_23onesweep_lookback_stateEbbT6_jjT7_P12ihipStream_tbENKUlT_T0_SH_SM_E_clISA_SB_SC_SC_EEDaS10_S11_SH_SM_EUlS10_E_NS1_11comp_targetILNS1_3genE2ELNS1_11target_archE906ELNS1_3gpuE6ELNS1_3repE0EEENS1_47radix_sort_onesweep_sort_config_static_selectorELNS0_4arch9wavefront6targetE0EEEvSH_
	.p2align	8
	.type	_ZN7rocprim17ROCPRIM_400000_NS6detail17trampoline_kernelINS0_14default_configENS1_35radix_sort_onesweep_config_selectorI12hip_bfloat16NS0_10empty_typeEEEZZNS1_29radix_sort_onesweep_iterationIS3_Lb1EPKS5_PS5_PS6_SC_mNS0_19identity_decomposerENS1_16block_id_wrapperIjLb0EEEEE10hipError_tT1_PNSt15iterator_traitsISH_E10value_typeET2_T3_PNSI_ISN_E10value_typeET4_T5_PSS_ST_PNS1_23onesweep_lookback_stateEbbT6_jjT7_P12ihipStream_tbENKUlT_T0_SH_SM_E_clISA_SB_SC_SC_EEDaS10_S11_SH_SM_EUlS10_E_NS1_11comp_targetILNS1_3genE2ELNS1_11target_archE906ELNS1_3gpuE6ELNS1_3repE0EEENS1_47radix_sort_onesweep_sort_config_static_selectorELNS0_4arch9wavefront6targetE0EEEvSH_,@function
_ZN7rocprim17ROCPRIM_400000_NS6detail17trampoline_kernelINS0_14default_configENS1_35radix_sort_onesweep_config_selectorI12hip_bfloat16NS0_10empty_typeEEEZZNS1_29radix_sort_onesweep_iterationIS3_Lb1EPKS5_PS5_PS6_SC_mNS0_19identity_decomposerENS1_16block_id_wrapperIjLb0EEEEE10hipError_tT1_PNSt15iterator_traitsISH_E10value_typeET2_T3_PNSI_ISN_E10value_typeET4_T5_PSS_ST_PNS1_23onesweep_lookback_stateEbbT6_jjT7_P12ihipStream_tbENKUlT_T0_SH_SM_E_clISA_SB_SC_SC_EEDaS10_S11_SH_SM_EUlS10_E_NS1_11comp_targetILNS1_3genE2ELNS1_11target_archE906ELNS1_3gpuE6ELNS1_3repE0EEENS1_47radix_sort_onesweep_sort_config_static_selectorELNS0_4arch9wavefront6targetE0EEEvSH_: ; @_ZN7rocprim17ROCPRIM_400000_NS6detail17trampoline_kernelINS0_14default_configENS1_35radix_sort_onesweep_config_selectorI12hip_bfloat16NS0_10empty_typeEEEZZNS1_29radix_sort_onesweep_iterationIS3_Lb1EPKS5_PS5_PS6_SC_mNS0_19identity_decomposerENS1_16block_id_wrapperIjLb0EEEEE10hipError_tT1_PNSt15iterator_traitsISH_E10value_typeET2_T3_PNSI_ISN_E10value_typeET4_T5_PSS_ST_PNS1_23onesweep_lookback_stateEbbT6_jjT7_P12ihipStream_tbENKUlT_T0_SH_SM_E_clISA_SB_SC_SC_EEDaS10_S11_SH_SM_EUlS10_E_NS1_11comp_targetILNS1_3genE2ELNS1_11target_archE906ELNS1_3gpuE6ELNS1_3repE0EEENS1_47radix_sort_onesweep_sort_config_static_selectorELNS0_4arch9wavefront6targetE0EEEvSH_
; %bb.0:
	.section	.rodata,"a",@progbits
	.p2align	6, 0x0
	.amdhsa_kernel _ZN7rocprim17ROCPRIM_400000_NS6detail17trampoline_kernelINS0_14default_configENS1_35radix_sort_onesweep_config_selectorI12hip_bfloat16NS0_10empty_typeEEEZZNS1_29radix_sort_onesweep_iterationIS3_Lb1EPKS5_PS5_PS6_SC_mNS0_19identity_decomposerENS1_16block_id_wrapperIjLb0EEEEE10hipError_tT1_PNSt15iterator_traitsISH_E10value_typeET2_T3_PNSI_ISN_E10value_typeET4_T5_PSS_ST_PNS1_23onesweep_lookback_stateEbbT6_jjT7_P12ihipStream_tbENKUlT_T0_SH_SM_E_clISA_SB_SC_SC_EEDaS10_S11_SH_SM_EUlS10_E_NS1_11comp_targetILNS1_3genE2ELNS1_11target_archE906ELNS1_3gpuE6ELNS1_3repE0EEENS1_47radix_sort_onesweep_sort_config_static_selectorELNS0_4arch9wavefront6targetE0EEEvSH_
		.amdhsa_group_segment_fixed_size 0
		.amdhsa_private_segment_fixed_size 0
		.amdhsa_kernarg_size 88
		.amdhsa_user_sgpr_count 2
		.amdhsa_user_sgpr_dispatch_ptr 0
		.amdhsa_user_sgpr_queue_ptr 0
		.amdhsa_user_sgpr_kernarg_segment_ptr 1
		.amdhsa_user_sgpr_dispatch_id 0
		.amdhsa_user_sgpr_kernarg_preload_length 0
		.amdhsa_user_sgpr_kernarg_preload_offset 0
		.amdhsa_user_sgpr_private_segment_size 0
		.amdhsa_wavefront_size32 1
		.amdhsa_uses_dynamic_stack 0
		.amdhsa_enable_private_segment 0
		.amdhsa_system_sgpr_workgroup_id_x 1
		.amdhsa_system_sgpr_workgroup_id_y 0
		.amdhsa_system_sgpr_workgroup_id_z 0
		.amdhsa_system_sgpr_workgroup_info 0
		.amdhsa_system_vgpr_workitem_id 0
		.amdhsa_next_free_vgpr 1
		.amdhsa_next_free_sgpr 1
		.amdhsa_named_barrier_count 0
		.amdhsa_reserve_vcc 0
		.amdhsa_float_round_mode_32 0
		.amdhsa_float_round_mode_16_64 0
		.amdhsa_float_denorm_mode_32 3
		.amdhsa_float_denorm_mode_16_64 3
		.amdhsa_fp16_overflow 0
		.amdhsa_memory_ordered 1
		.amdhsa_forward_progress 1
		.amdhsa_inst_pref_size 0
		.amdhsa_round_robin_scheduling 0
		.amdhsa_exception_fp_ieee_invalid_op 0
		.amdhsa_exception_fp_denorm_src 0
		.amdhsa_exception_fp_ieee_div_zero 0
		.amdhsa_exception_fp_ieee_overflow 0
		.amdhsa_exception_fp_ieee_underflow 0
		.amdhsa_exception_fp_ieee_inexact 0
		.amdhsa_exception_int_div_zero 0
	.end_amdhsa_kernel
	.section	.text._ZN7rocprim17ROCPRIM_400000_NS6detail17trampoline_kernelINS0_14default_configENS1_35radix_sort_onesweep_config_selectorI12hip_bfloat16NS0_10empty_typeEEEZZNS1_29radix_sort_onesweep_iterationIS3_Lb1EPKS5_PS5_PS6_SC_mNS0_19identity_decomposerENS1_16block_id_wrapperIjLb0EEEEE10hipError_tT1_PNSt15iterator_traitsISH_E10value_typeET2_T3_PNSI_ISN_E10value_typeET4_T5_PSS_ST_PNS1_23onesweep_lookback_stateEbbT6_jjT7_P12ihipStream_tbENKUlT_T0_SH_SM_E_clISA_SB_SC_SC_EEDaS10_S11_SH_SM_EUlS10_E_NS1_11comp_targetILNS1_3genE2ELNS1_11target_archE906ELNS1_3gpuE6ELNS1_3repE0EEENS1_47radix_sort_onesweep_sort_config_static_selectorELNS0_4arch9wavefront6targetE0EEEvSH_,"axG",@progbits,_ZN7rocprim17ROCPRIM_400000_NS6detail17trampoline_kernelINS0_14default_configENS1_35radix_sort_onesweep_config_selectorI12hip_bfloat16NS0_10empty_typeEEEZZNS1_29radix_sort_onesweep_iterationIS3_Lb1EPKS5_PS5_PS6_SC_mNS0_19identity_decomposerENS1_16block_id_wrapperIjLb0EEEEE10hipError_tT1_PNSt15iterator_traitsISH_E10value_typeET2_T3_PNSI_ISN_E10value_typeET4_T5_PSS_ST_PNS1_23onesweep_lookback_stateEbbT6_jjT7_P12ihipStream_tbENKUlT_T0_SH_SM_E_clISA_SB_SC_SC_EEDaS10_S11_SH_SM_EUlS10_E_NS1_11comp_targetILNS1_3genE2ELNS1_11target_archE906ELNS1_3gpuE6ELNS1_3repE0EEENS1_47radix_sort_onesweep_sort_config_static_selectorELNS0_4arch9wavefront6targetE0EEEvSH_,comdat
.Lfunc_end1985:
	.size	_ZN7rocprim17ROCPRIM_400000_NS6detail17trampoline_kernelINS0_14default_configENS1_35radix_sort_onesweep_config_selectorI12hip_bfloat16NS0_10empty_typeEEEZZNS1_29radix_sort_onesweep_iterationIS3_Lb1EPKS5_PS5_PS6_SC_mNS0_19identity_decomposerENS1_16block_id_wrapperIjLb0EEEEE10hipError_tT1_PNSt15iterator_traitsISH_E10value_typeET2_T3_PNSI_ISN_E10value_typeET4_T5_PSS_ST_PNS1_23onesweep_lookback_stateEbbT6_jjT7_P12ihipStream_tbENKUlT_T0_SH_SM_E_clISA_SB_SC_SC_EEDaS10_S11_SH_SM_EUlS10_E_NS1_11comp_targetILNS1_3genE2ELNS1_11target_archE906ELNS1_3gpuE6ELNS1_3repE0EEENS1_47radix_sort_onesweep_sort_config_static_selectorELNS0_4arch9wavefront6targetE0EEEvSH_, .Lfunc_end1985-_ZN7rocprim17ROCPRIM_400000_NS6detail17trampoline_kernelINS0_14default_configENS1_35radix_sort_onesweep_config_selectorI12hip_bfloat16NS0_10empty_typeEEEZZNS1_29radix_sort_onesweep_iterationIS3_Lb1EPKS5_PS5_PS6_SC_mNS0_19identity_decomposerENS1_16block_id_wrapperIjLb0EEEEE10hipError_tT1_PNSt15iterator_traitsISH_E10value_typeET2_T3_PNSI_ISN_E10value_typeET4_T5_PSS_ST_PNS1_23onesweep_lookback_stateEbbT6_jjT7_P12ihipStream_tbENKUlT_T0_SH_SM_E_clISA_SB_SC_SC_EEDaS10_S11_SH_SM_EUlS10_E_NS1_11comp_targetILNS1_3genE2ELNS1_11target_archE906ELNS1_3gpuE6ELNS1_3repE0EEENS1_47radix_sort_onesweep_sort_config_static_selectorELNS0_4arch9wavefront6targetE0EEEvSH_
                                        ; -- End function
	.set _ZN7rocprim17ROCPRIM_400000_NS6detail17trampoline_kernelINS0_14default_configENS1_35radix_sort_onesweep_config_selectorI12hip_bfloat16NS0_10empty_typeEEEZZNS1_29radix_sort_onesweep_iterationIS3_Lb1EPKS5_PS5_PS6_SC_mNS0_19identity_decomposerENS1_16block_id_wrapperIjLb0EEEEE10hipError_tT1_PNSt15iterator_traitsISH_E10value_typeET2_T3_PNSI_ISN_E10value_typeET4_T5_PSS_ST_PNS1_23onesweep_lookback_stateEbbT6_jjT7_P12ihipStream_tbENKUlT_T0_SH_SM_E_clISA_SB_SC_SC_EEDaS10_S11_SH_SM_EUlS10_E_NS1_11comp_targetILNS1_3genE2ELNS1_11target_archE906ELNS1_3gpuE6ELNS1_3repE0EEENS1_47radix_sort_onesweep_sort_config_static_selectorELNS0_4arch9wavefront6targetE0EEEvSH_.num_vgpr, 0
	.set _ZN7rocprim17ROCPRIM_400000_NS6detail17trampoline_kernelINS0_14default_configENS1_35radix_sort_onesweep_config_selectorI12hip_bfloat16NS0_10empty_typeEEEZZNS1_29radix_sort_onesweep_iterationIS3_Lb1EPKS5_PS5_PS6_SC_mNS0_19identity_decomposerENS1_16block_id_wrapperIjLb0EEEEE10hipError_tT1_PNSt15iterator_traitsISH_E10value_typeET2_T3_PNSI_ISN_E10value_typeET4_T5_PSS_ST_PNS1_23onesweep_lookback_stateEbbT6_jjT7_P12ihipStream_tbENKUlT_T0_SH_SM_E_clISA_SB_SC_SC_EEDaS10_S11_SH_SM_EUlS10_E_NS1_11comp_targetILNS1_3genE2ELNS1_11target_archE906ELNS1_3gpuE6ELNS1_3repE0EEENS1_47radix_sort_onesweep_sort_config_static_selectorELNS0_4arch9wavefront6targetE0EEEvSH_.num_agpr, 0
	.set _ZN7rocprim17ROCPRIM_400000_NS6detail17trampoline_kernelINS0_14default_configENS1_35radix_sort_onesweep_config_selectorI12hip_bfloat16NS0_10empty_typeEEEZZNS1_29radix_sort_onesweep_iterationIS3_Lb1EPKS5_PS5_PS6_SC_mNS0_19identity_decomposerENS1_16block_id_wrapperIjLb0EEEEE10hipError_tT1_PNSt15iterator_traitsISH_E10value_typeET2_T3_PNSI_ISN_E10value_typeET4_T5_PSS_ST_PNS1_23onesweep_lookback_stateEbbT6_jjT7_P12ihipStream_tbENKUlT_T0_SH_SM_E_clISA_SB_SC_SC_EEDaS10_S11_SH_SM_EUlS10_E_NS1_11comp_targetILNS1_3genE2ELNS1_11target_archE906ELNS1_3gpuE6ELNS1_3repE0EEENS1_47radix_sort_onesweep_sort_config_static_selectorELNS0_4arch9wavefront6targetE0EEEvSH_.numbered_sgpr, 0
	.set _ZN7rocprim17ROCPRIM_400000_NS6detail17trampoline_kernelINS0_14default_configENS1_35radix_sort_onesweep_config_selectorI12hip_bfloat16NS0_10empty_typeEEEZZNS1_29radix_sort_onesweep_iterationIS3_Lb1EPKS5_PS5_PS6_SC_mNS0_19identity_decomposerENS1_16block_id_wrapperIjLb0EEEEE10hipError_tT1_PNSt15iterator_traitsISH_E10value_typeET2_T3_PNSI_ISN_E10value_typeET4_T5_PSS_ST_PNS1_23onesweep_lookback_stateEbbT6_jjT7_P12ihipStream_tbENKUlT_T0_SH_SM_E_clISA_SB_SC_SC_EEDaS10_S11_SH_SM_EUlS10_E_NS1_11comp_targetILNS1_3genE2ELNS1_11target_archE906ELNS1_3gpuE6ELNS1_3repE0EEENS1_47radix_sort_onesweep_sort_config_static_selectorELNS0_4arch9wavefront6targetE0EEEvSH_.num_named_barrier, 0
	.set _ZN7rocprim17ROCPRIM_400000_NS6detail17trampoline_kernelINS0_14default_configENS1_35radix_sort_onesweep_config_selectorI12hip_bfloat16NS0_10empty_typeEEEZZNS1_29radix_sort_onesweep_iterationIS3_Lb1EPKS5_PS5_PS6_SC_mNS0_19identity_decomposerENS1_16block_id_wrapperIjLb0EEEEE10hipError_tT1_PNSt15iterator_traitsISH_E10value_typeET2_T3_PNSI_ISN_E10value_typeET4_T5_PSS_ST_PNS1_23onesweep_lookback_stateEbbT6_jjT7_P12ihipStream_tbENKUlT_T0_SH_SM_E_clISA_SB_SC_SC_EEDaS10_S11_SH_SM_EUlS10_E_NS1_11comp_targetILNS1_3genE2ELNS1_11target_archE906ELNS1_3gpuE6ELNS1_3repE0EEENS1_47radix_sort_onesweep_sort_config_static_selectorELNS0_4arch9wavefront6targetE0EEEvSH_.private_seg_size, 0
	.set _ZN7rocprim17ROCPRIM_400000_NS6detail17trampoline_kernelINS0_14default_configENS1_35radix_sort_onesweep_config_selectorI12hip_bfloat16NS0_10empty_typeEEEZZNS1_29radix_sort_onesweep_iterationIS3_Lb1EPKS5_PS5_PS6_SC_mNS0_19identity_decomposerENS1_16block_id_wrapperIjLb0EEEEE10hipError_tT1_PNSt15iterator_traitsISH_E10value_typeET2_T3_PNSI_ISN_E10value_typeET4_T5_PSS_ST_PNS1_23onesweep_lookback_stateEbbT6_jjT7_P12ihipStream_tbENKUlT_T0_SH_SM_E_clISA_SB_SC_SC_EEDaS10_S11_SH_SM_EUlS10_E_NS1_11comp_targetILNS1_3genE2ELNS1_11target_archE906ELNS1_3gpuE6ELNS1_3repE0EEENS1_47radix_sort_onesweep_sort_config_static_selectorELNS0_4arch9wavefront6targetE0EEEvSH_.uses_vcc, 0
	.set _ZN7rocprim17ROCPRIM_400000_NS6detail17trampoline_kernelINS0_14default_configENS1_35radix_sort_onesweep_config_selectorI12hip_bfloat16NS0_10empty_typeEEEZZNS1_29radix_sort_onesweep_iterationIS3_Lb1EPKS5_PS5_PS6_SC_mNS0_19identity_decomposerENS1_16block_id_wrapperIjLb0EEEEE10hipError_tT1_PNSt15iterator_traitsISH_E10value_typeET2_T3_PNSI_ISN_E10value_typeET4_T5_PSS_ST_PNS1_23onesweep_lookback_stateEbbT6_jjT7_P12ihipStream_tbENKUlT_T0_SH_SM_E_clISA_SB_SC_SC_EEDaS10_S11_SH_SM_EUlS10_E_NS1_11comp_targetILNS1_3genE2ELNS1_11target_archE906ELNS1_3gpuE6ELNS1_3repE0EEENS1_47radix_sort_onesweep_sort_config_static_selectorELNS0_4arch9wavefront6targetE0EEEvSH_.uses_flat_scratch, 0
	.set _ZN7rocprim17ROCPRIM_400000_NS6detail17trampoline_kernelINS0_14default_configENS1_35radix_sort_onesweep_config_selectorI12hip_bfloat16NS0_10empty_typeEEEZZNS1_29radix_sort_onesweep_iterationIS3_Lb1EPKS5_PS5_PS6_SC_mNS0_19identity_decomposerENS1_16block_id_wrapperIjLb0EEEEE10hipError_tT1_PNSt15iterator_traitsISH_E10value_typeET2_T3_PNSI_ISN_E10value_typeET4_T5_PSS_ST_PNS1_23onesweep_lookback_stateEbbT6_jjT7_P12ihipStream_tbENKUlT_T0_SH_SM_E_clISA_SB_SC_SC_EEDaS10_S11_SH_SM_EUlS10_E_NS1_11comp_targetILNS1_3genE2ELNS1_11target_archE906ELNS1_3gpuE6ELNS1_3repE0EEENS1_47radix_sort_onesweep_sort_config_static_selectorELNS0_4arch9wavefront6targetE0EEEvSH_.has_dyn_sized_stack, 0
	.set _ZN7rocprim17ROCPRIM_400000_NS6detail17trampoline_kernelINS0_14default_configENS1_35radix_sort_onesweep_config_selectorI12hip_bfloat16NS0_10empty_typeEEEZZNS1_29radix_sort_onesweep_iterationIS3_Lb1EPKS5_PS5_PS6_SC_mNS0_19identity_decomposerENS1_16block_id_wrapperIjLb0EEEEE10hipError_tT1_PNSt15iterator_traitsISH_E10value_typeET2_T3_PNSI_ISN_E10value_typeET4_T5_PSS_ST_PNS1_23onesweep_lookback_stateEbbT6_jjT7_P12ihipStream_tbENKUlT_T0_SH_SM_E_clISA_SB_SC_SC_EEDaS10_S11_SH_SM_EUlS10_E_NS1_11comp_targetILNS1_3genE2ELNS1_11target_archE906ELNS1_3gpuE6ELNS1_3repE0EEENS1_47radix_sort_onesweep_sort_config_static_selectorELNS0_4arch9wavefront6targetE0EEEvSH_.has_recursion, 0
	.set _ZN7rocprim17ROCPRIM_400000_NS6detail17trampoline_kernelINS0_14default_configENS1_35radix_sort_onesweep_config_selectorI12hip_bfloat16NS0_10empty_typeEEEZZNS1_29radix_sort_onesweep_iterationIS3_Lb1EPKS5_PS5_PS6_SC_mNS0_19identity_decomposerENS1_16block_id_wrapperIjLb0EEEEE10hipError_tT1_PNSt15iterator_traitsISH_E10value_typeET2_T3_PNSI_ISN_E10value_typeET4_T5_PSS_ST_PNS1_23onesweep_lookback_stateEbbT6_jjT7_P12ihipStream_tbENKUlT_T0_SH_SM_E_clISA_SB_SC_SC_EEDaS10_S11_SH_SM_EUlS10_E_NS1_11comp_targetILNS1_3genE2ELNS1_11target_archE906ELNS1_3gpuE6ELNS1_3repE0EEENS1_47radix_sort_onesweep_sort_config_static_selectorELNS0_4arch9wavefront6targetE0EEEvSH_.has_indirect_call, 0
	.section	.AMDGPU.csdata,"",@progbits
; Kernel info:
; codeLenInByte = 0
; TotalNumSgprs: 0
; NumVgprs: 0
; ScratchSize: 0
; MemoryBound: 0
; FloatMode: 240
; IeeeMode: 1
; LDSByteSize: 0 bytes/workgroup (compile time only)
; SGPRBlocks: 0
; VGPRBlocks: 0
; NumSGPRsForWavesPerEU: 1
; NumVGPRsForWavesPerEU: 1
; NamedBarCnt: 0
; Occupancy: 16
; WaveLimiterHint : 0
; COMPUTE_PGM_RSRC2:SCRATCH_EN: 0
; COMPUTE_PGM_RSRC2:USER_SGPR: 2
; COMPUTE_PGM_RSRC2:TRAP_HANDLER: 0
; COMPUTE_PGM_RSRC2:TGID_X_EN: 1
; COMPUTE_PGM_RSRC2:TGID_Y_EN: 0
; COMPUTE_PGM_RSRC2:TGID_Z_EN: 0
; COMPUTE_PGM_RSRC2:TIDIG_COMP_CNT: 0
	.section	.text._ZN7rocprim17ROCPRIM_400000_NS6detail17trampoline_kernelINS0_14default_configENS1_35radix_sort_onesweep_config_selectorI12hip_bfloat16NS0_10empty_typeEEEZZNS1_29radix_sort_onesweep_iterationIS3_Lb1EPKS5_PS5_PS6_SC_mNS0_19identity_decomposerENS1_16block_id_wrapperIjLb0EEEEE10hipError_tT1_PNSt15iterator_traitsISH_E10value_typeET2_T3_PNSI_ISN_E10value_typeET4_T5_PSS_ST_PNS1_23onesweep_lookback_stateEbbT6_jjT7_P12ihipStream_tbENKUlT_T0_SH_SM_E_clISA_SB_SC_SC_EEDaS10_S11_SH_SM_EUlS10_E_NS1_11comp_targetILNS1_3genE4ELNS1_11target_archE910ELNS1_3gpuE8ELNS1_3repE0EEENS1_47radix_sort_onesweep_sort_config_static_selectorELNS0_4arch9wavefront6targetE0EEEvSH_,"axG",@progbits,_ZN7rocprim17ROCPRIM_400000_NS6detail17trampoline_kernelINS0_14default_configENS1_35radix_sort_onesweep_config_selectorI12hip_bfloat16NS0_10empty_typeEEEZZNS1_29radix_sort_onesweep_iterationIS3_Lb1EPKS5_PS5_PS6_SC_mNS0_19identity_decomposerENS1_16block_id_wrapperIjLb0EEEEE10hipError_tT1_PNSt15iterator_traitsISH_E10value_typeET2_T3_PNSI_ISN_E10value_typeET4_T5_PSS_ST_PNS1_23onesweep_lookback_stateEbbT6_jjT7_P12ihipStream_tbENKUlT_T0_SH_SM_E_clISA_SB_SC_SC_EEDaS10_S11_SH_SM_EUlS10_E_NS1_11comp_targetILNS1_3genE4ELNS1_11target_archE910ELNS1_3gpuE8ELNS1_3repE0EEENS1_47radix_sort_onesweep_sort_config_static_selectorELNS0_4arch9wavefront6targetE0EEEvSH_,comdat
	.protected	_ZN7rocprim17ROCPRIM_400000_NS6detail17trampoline_kernelINS0_14default_configENS1_35radix_sort_onesweep_config_selectorI12hip_bfloat16NS0_10empty_typeEEEZZNS1_29radix_sort_onesweep_iterationIS3_Lb1EPKS5_PS5_PS6_SC_mNS0_19identity_decomposerENS1_16block_id_wrapperIjLb0EEEEE10hipError_tT1_PNSt15iterator_traitsISH_E10value_typeET2_T3_PNSI_ISN_E10value_typeET4_T5_PSS_ST_PNS1_23onesweep_lookback_stateEbbT6_jjT7_P12ihipStream_tbENKUlT_T0_SH_SM_E_clISA_SB_SC_SC_EEDaS10_S11_SH_SM_EUlS10_E_NS1_11comp_targetILNS1_3genE4ELNS1_11target_archE910ELNS1_3gpuE8ELNS1_3repE0EEENS1_47radix_sort_onesweep_sort_config_static_selectorELNS0_4arch9wavefront6targetE0EEEvSH_ ; -- Begin function _ZN7rocprim17ROCPRIM_400000_NS6detail17trampoline_kernelINS0_14default_configENS1_35radix_sort_onesweep_config_selectorI12hip_bfloat16NS0_10empty_typeEEEZZNS1_29radix_sort_onesweep_iterationIS3_Lb1EPKS5_PS5_PS6_SC_mNS0_19identity_decomposerENS1_16block_id_wrapperIjLb0EEEEE10hipError_tT1_PNSt15iterator_traitsISH_E10value_typeET2_T3_PNSI_ISN_E10value_typeET4_T5_PSS_ST_PNS1_23onesweep_lookback_stateEbbT6_jjT7_P12ihipStream_tbENKUlT_T0_SH_SM_E_clISA_SB_SC_SC_EEDaS10_S11_SH_SM_EUlS10_E_NS1_11comp_targetILNS1_3genE4ELNS1_11target_archE910ELNS1_3gpuE8ELNS1_3repE0EEENS1_47radix_sort_onesweep_sort_config_static_selectorELNS0_4arch9wavefront6targetE0EEEvSH_
	.globl	_ZN7rocprim17ROCPRIM_400000_NS6detail17trampoline_kernelINS0_14default_configENS1_35radix_sort_onesweep_config_selectorI12hip_bfloat16NS0_10empty_typeEEEZZNS1_29radix_sort_onesweep_iterationIS3_Lb1EPKS5_PS5_PS6_SC_mNS0_19identity_decomposerENS1_16block_id_wrapperIjLb0EEEEE10hipError_tT1_PNSt15iterator_traitsISH_E10value_typeET2_T3_PNSI_ISN_E10value_typeET4_T5_PSS_ST_PNS1_23onesweep_lookback_stateEbbT6_jjT7_P12ihipStream_tbENKUlT_T0_SH_SM_E_clISA_SB_SC_SC_EEDaS10_S11_SH_SM_EUlS10_E_NS1_11comp_targetILNS1_3genE4ELNS1_11target_archE910ELNS1_3gpuE8ELNS1_3repE0EEENS1_47radix_sort_onesweep_sort_config_static_selectorELNS0_4arch9wavefront6targetE0EEEvSH_
	.p2align	8
	.type	_ZN7rocprim17ROCPRIM_400000_NS6detail17trampoline_kernelINS0_14default_configENS1_35radix_sort_onesweep_config_selectorI12hip_bfloat16NS0_10empty_typeEEEZZNS1_29radix_sort_onesweep_iterationIS3_Lb1EPKS5_PS5_PS6_SC_mNS0_19identity_decomposerENS1_16block_id_wrapperIjLb0EEEEE10hipError_tT1_PNSt15iterator_traitsISH_E10value_typeET2_T3_PNSI_ISN_E10value_typeET4_T5_PSS_ST_PNS1_23onesweep_lookback_stateEbbT6_jjT7_P12ihipStream_tbENKUlT_T0_SH_SM_E_clISA_SB_SC_SC_EEDaS10_S11_SH_SM_EUlS10_E_NS1_11comp_targetILNS1_3genE4ELNS1_11target_archE910ELNS1_3gpuE8ELNS1_3repE0EEENS1_47radix_sort_onesweep_sort_config_static_selectorELNS0_4arch9wavefront6targetE0EEEvSH_,@function
_ZN7rocprim17ROCPRIM_400000_NS6detail17trampoline_kernelINS0_14default_configENS1_35radix_sort_onesweep_config_selectorI12hip_bfloat16NS0_10empty_typeEEEZZNS1_29radix_sort_onesweep_iterationIS3_Lb1EPKS5_PS5_PS6_SC_mNS0_19identity_decomposerENS1_16block_id_wrapperIjLb0EEEEE10hipError_tT1_PNSt15iterator_traitsISH_E10value_typeET2_T3_PNSI_ISN_E10value_typeET4_T5_PSS_ST_PNS1_23onesweep_lookback_stateEbbT6_jjT7_P12ihipStream_tbENKUlT_T0_SH_SM_E_clISA_SB_SC_SC_EEDaS10_S11_SH_SM_EUlS10_E_NS1_11comp_targetILNS1_3genE4ELNS1_11target_archE910ELNS1_3gpuE8ELNS1_3repE0EEENS1_47radix_sort_onesweep_sort_config_static_selectorELNS0_4arch9wavefront6targetE0EEEvSH_: ; @_ZN7rocprim17ROCPRIM_400000_NS6detail17trampoline_kernelINS0_14default_configENS1_35radix_sort_onesweep_config_selectorI12hip_bfloat16NS0_10empty_typeEEEZZNS1_29radix_sort_onesweep_iterationIS3_Lb1EPKS5_PS5_PS6_SC_mNS0_19identity_decomposerENS1_16block_id_wrapperIjLb0EEEEE10hipError_tT1_PNSt15iterator_traitsISH_E10value_typeET2_T3_PNSI_ISN_E10value_typeET4_T5_PSS_ST_PNS1_23onesweep_lookback_stateEbbT6_jjT7_P12ihipStream_tbENKUlT_T0_SH_SM_E_clISA_SB_SC_SC_EEDaS10_S11_SH_SM_EUlS10_E_NS1_11comp_targetILNS1_3genE4ELNS1_11target_archE910ELNS1_3gpuE8ELNS1_3repE0EEENS1_47radix_sort_onesweep_sort_config_static_selectorELNS0_4arch9wavefront6targetE0EEEvSH_
; %bb.0:
	.section	.rodata,"a",@progbits
	.p2align	6, 0x0
	.amdhsa_kernel _ZN7rocprim17ROCPRIM_400000_NS6detail17trampoline_kernelINS0_14default_configENS1_35radix_sort_onesweep_config_selectorI12hip_bfloat16NS0_10empty_typeEEEZZNS1_29radix_sort_onesweep_iterationIS3_Lb1EPKS5_PS5_PS6_SC_mNS0_19identity_decomposerENS1_16block_id_wrapperIjLb0EEEEE10hipError_tT1_PNSt15iterator_traitsISH_E10value_typeET2_T3_PNSI_ISN_E10value_typeET4_T5_PSS_ST_PNS1_23onesweep_lookback_stateEbbT6_jjT7_P12ihipStream_tbENKUlT_T0_SH_SM_E_clISA_SB_SC_SC_EEDaS10_S11_SH_SM_EUlS10_E_NS1_11comp_targetILNS1_3genE4ELNS1_11target_archE910ELNS1_3gpuE8ELNS1_3repE0EEENS1_47radix_sort_onesweep_sort_config_static_selectorELNS0_4arch9wavefront6targetE0EEEvSH_
		.amdhsa_group_segment_fixed_size 0
		.amdhsa_private_segment_fixed_size 0
		.amdhsa_kernarg_size 88
		.amdhsa_user_sgpr_count 2
		.amdhsa_user_sgpr_dispatch_ptr 0
		.amdhsa_user_sgpr_queue_ptr 0
		.amdhsa_user_sgpr_kernarg_segment_ptr 1
		.amdhsa_user_sgpr_dispatch_id 0
		.amdhsa_user_sgpr_kernarg_preload_length 0
		.amdhsa_user_sgpr_kernarg_preload_offset 0
		.amdhsa_user_sgpr_private_segment_size 0
		.amdhsa_wavefront_size32 1
		.amdhsa_uses_dynamic_stack 0
		.amdhsa_enable_private_segment 0
		.amdhsa_system_sgpr_workgroup_id_x 1
		.amdhsa_system_sgpr_workgroup_id_y 0
		.amdhsa_system_sgpr_workgroup_id_z 0
		.amdhsa_system_sgpr_workgroup_info 0
		.amdhsa_system_vgpr_workitem_id 0
		.amdhsa_next_free_vgpr 1
		.amdhsa_next_free_sgpr 1
		.amdhsa_named_barrier_count 0
		.amdhsa_reserve_vcc 0
		.amdhsa_float_round_mode_32 0
		.amdhsa_float_round_mode_16_64 0
		.amdhsa_float_denorm_mode_32 3
		.amdhsa_float_denorm_mode_16_64 3
		.amdhsa_fp16_overflow 0
		.amdhsa_memory_ordered 1
		.amdhsa_forward_progress 1
		.amdhsa_inst_pref_size 0
		.amdhsa_round_robin_scheduling 0
		.amdhsa_exception_fp_ieee_invalid_op 0
		.amdhsa_exception_fp_denorm_src 0
		.amdhsa_exception_fp_ieee_div_zero 0
		.amdhsa_exception_fp_ieee_overflow 0
		.amdhsa_exception_fp_ieee_underflow 0
		.amdhsa_exception_fp_ieee_inexact 0
		.amdhsa_exception_int_div_zero 0
	.end_amdhsa_kernel
	.section	.text._ZN7rocprim17ROCPRIM_400000_NS6detail17trampoline_kernelINS0_14default_configENS1_35radix_sort_onesweep_config_selectorI12hip_bfloat16NS0_10empty_typeEEEZZNS1_29radix_sort_onesweep_iterationIS3_Lb1EPKS5_PS5_PS6_SC_mNS0_19identity_decomposerENS1_16block_id_wrapperIjLb0EEEEE10hipError_tT1_PNSt15iterator_traitsISH_E10value_typeET2_T3_PNSI_ISN_E10value_typeET4_T5_PSS_ST_PNS1_23onesweep_lookback_stateEbbT6_jjT7_P12ihipStream_tbENKUlT_T0_SH_SM_E_clISA_SB_SC_SC_EEDaS10_S11_SH_SM_EUlS10_E_NS1_11comp_targetILNS1_3genE4ELNS1_11target_archE910ELNS1_3gpuE8ELNS1_3repE0EEENS1_47radix_sort_onesweep_sort_config_static_selectorELNS0_4arch9wavefront6targetE0EEEvSH_,"axG",@progbits,_ZN7rocprim17ROCPRIM_400000_NS6detail17trampoline_kernelINS0_14default_configENS1_35radix_sort_onesweep_config_selectorI12hip_bfloat16NS0_10empty_typeEEEZZNS1_29radix_sort_onesweep_iterationIS3_Lb1EPKS5_PS5_PS6_SC_mNS0_19identity_decomposerENS1_16block_id_wrapperIjLb0EEEEE10hipError_tT1_PNSt15iterator_traitsISH_E10value_typeET2_T3_PNSI_ISN_E10value_typeET4_T5_PSS_ST_PNS1_23onesweep_lookback_stateEbbT6_jjT7_P12ihipStream_tbENKUlT_T0_SH_SM_E_clISA_SB_SC_SC_EEDaS10_S11_SH_SM_EUlS10_E_NS1_11comp_targetILNS1_3genE4ELNS1_11target_archE910ELNS1_3gpuE8ELNS1_3repE0EEENS1_47radix_sort_onesweep_sort_config_static_selectorELNS0_4arch9wavefront6targetE0EEEvSH_,comdat
.Lfunc_end1986:
	.size	_ZN7rocprim17ROCPRIM_400000_NS6detail17trampoline_kernelINS0_14default_configENS1_35radix_sort_onesweep_config_selectorI12hip_bfloat16NS0_10empty_typeEEEZZNS1_29radix_sort_onesweep_iterationIS3_Lb1EPKS5_PS5_PS6_SC_mNS0_19identity_decomposerENS1_16block_id_wrapperIjLb0EEEEE10hipError_tT1_PNSt15iterator_traitsISH_E10value_typeET2_T3_PNSI_ISN_E10value_typeET4_T5_PSS_ST_PNS1_23onesweep_lookback_stateEbbT6_jjT7_P12ihipStream_tbENKUlT_T0_SH_SM_E_clISA_SB_SC_SC_EEDaS10_S11_SH_SM_EUlS10_E_NS1_11comp_targetILNS1_3genE4ELNS1_11target_archE910ELNS1_3gpuE8ELNS1_3repE0EEENS1_47radix_sort_onesweep_sort_config_static_selectorELNS0_4arch9wavefront6targetE0EEEvSH_, .Lfunc_end1986-_ZN7rocprim17ROCPRIM_400000_NS6detail17trampoline_kernelINS0_14default_configENS1_35radix_sort_onesweep_config_selectorI12hip_bfloat16NS0_10empty_typeEEEZZNS1_29radix_sort_onesweep_iterationIS3_Lb1EPKS5_PS5_PS6_SC_mNS0_19identity_decomposerENS1_16block_id_wrapperIjLb0EEEEE10hipError_tT1_PNSt15iterator_traitsISH_E10value_typeET2_T3_PNSI_ISN_E10value_typeET4_T5_PSS_ST_PNS1_23onesweep_lookback_stateEbbT6_jjT7_P12ihipStream_tbENKUlT_T0_SH_SM_E_clISA_SB_SC_SC_EEDaS10_S11_SH_SM_EUlS10_E_NS1_11comp_targetILNS1_3genE4ELNS1_11target_archE910ELNS1_3gpuE8ELNS1_3repE0EEENS1_47radix_sort_onesweep_sort_config_static_selectorELNS0_4arch9wavefront6targetE0EEEvSH_
                                        ; -- End function
	.set _ZN7rocprim17ROCPRIM_400000_NS6detail17trampoline_kernelINS0_14default_configENS1_35radix_sort_onesweep_config_selectorI12hip_bfloat16NS0_10empty_typeEEEZZNS1_29radix_sort_onesweep_iterationIS3_Lb1EPKS5_PS5_PS6_SC_mNS0_19identity_decomposerENS1_16block_id_wrapperIjLb0EEEEE10hipError_tT1_PNSt15iterator_traitsISH_E10value_typeET2_T3_PNSI_ISN_E10value_typeET4_T5_PSS_ST_PNS1_23onesweep_lookback_stateEbbT6_jjT7_P12ihipStream_tbENKUlT_T0_SH_SM_E_clISA_SB_SC_SC_EEDaS10_S11_SH_SM_EUlS10_E_NS1_11comp_targetILNS1_3genE4ELNS1_11target_archE910ELNS1_3gpuE8ELNS1_3repE0EEENS1_47radix_sort_onesweep_sort_config_static_selectorELNS0_4arch9wavefront6targetE0EEEvSH_.num_vgpr, 0
	.set _ZN7rocprim17ROCPRIM_400000_NS6detail17trampoline_kernelINS0_14default_configENS1_35radix_sort_onesweep_config_selectorI12hip_bfloat16NS0_10empty_typeEEEZZNS1_29radix_sort_onesweep_iterationIS3_Lb1EPKS5_PS5_PS6_SC_mNS0_19identity_decomposerENS1_16block_id_wrapperIjLb0EEEEE10hipError_tT1_PNSt15iterator_traitsISH_E10value_typeET2_T3_PNSI_ISN_E10value_typeET4_T5_PSS_ST_PNS1_23onesweep_lookback_stateEbbT6_jjT7_P12ihipStream_tbENKUlT_T0_SH_SM_E_clISA_SB_SC_SC_EEDaS10_S11_SH_SM_EUlS10_E_NS1_11comp_targetILNS1_3genE4ELNS1_11target_archE910ELNS1_3gpuE8ELNS1_3repE0EEENS1_47radix_sort_onesweep_sort_config_static_selectorELNS0_4arch9wavefront6targetE0EEEvSH_.num_agpr, 0
	.set _ZN7rocprim17ROCPRIM_400000_NS6detail17trampoline_kernelINS0_14default_configENS1_35radix_sort_onesweep_config_selectorI12hip_bfloat16NS0_10empty_typeEEEZZNS1_29radix_sort_onesweep_iterationIS3_Lb1EPKS5_PS5_PS6_SC_mNS0_19identity_decomposerENS1_16block_id_wrapperIjLb0EEEEE10hipError_tT1_PNSt15iterator_traitsISH_E10value_typeET2_T3_PNSI_ISN_E10value_typeET4_T5_PSS_ST_PNS1_23onesweep_lookback_stateEbbT6_jjT7_P12ihipStream_tbENKUlT_T0_SH_SM_E_clISA_SB_SC_SC_EEDaS10_S11_SH_SM_EUlS10_E_NS1_11comp_targetILNS1_3genE4ELNS1_11target_archE910ELNS1_3gpuE8ELNS1_3repE0EEENS1_47radix_sort_onesweep_sort_config_static_selectorELNS0_4arch9wavefront6targetE0EEEvSH_.numbered_sgpr, 0
	.set _ZN7rocprim17ROCPRIM_400000_NS6detail17trampoline_kernelINS0_14default_configENS1_35radix_sort_onesweep_config_selectorI12hip_bfloat16NS0_10empty_typeEEEZZNS1_29radix_sort_onesweep_iterationIS3_Lb1EPKS5_PS5_PS6_SC_mNS0_19identity_decomposerENS1_16block_id_wrapperIjLb0EEEEE10hipError_tT1_PNSt15iterator_traitsISH_E10value_typeET2_T3_PNSI_ISN_E10value_typeET4_T5_PSS_ST_PNS1_23onesweep_lookback_stateEbbT6_jjT7_P12ihipStream_tbENKUlT_T0_SH_SM_E_clISA_SB_SC_SC_EEDaS10_S11_SH_SM_EUlS10_E_NS1_11comp_targetILNS1_3genE4ELNS1_11target_archE910ELNS1_3gpuE8ELNS1_3repE0EEENS1_47radix_sort_onesweep_sort_config_static_selectorELNS0_4arch9wavefront6targetE0EEEvSH_.num_named_barrier, 0
	.set _ZN7rocprim17ROCPRIM_400000_NS6detail17trampoline_kernelINS0_14default_configENS1_35radix_sort_onesweep_config_selectorI12hip_bfloat16NS0_10empty_typeEEEZZNS1_29radix_sort_onesweep_iterationIS3_Lb1EPKS5_PS5_PS6_SC_mNS0_19identity_decomposerENS1_16block_id_wrapperIjLb0EEEEE10hipError_tT1_PNSt15iterator_traitsISH_E10value_typeET2_T3_PNSI_ISN_E10value_typeET4_T5_PSS_ST_PNS1_23onesweep_lookback_stateEbbT6_jjT7_P12ihipStream_tbENKUlT_T0_SH_SM_E_clISA_SB_SC_SC_EEDaS10_S11_SH_SM_EUlS10_E_NS1_11comp_targetILNS1_3genE4ELNS1_11target_archE910ELNS1_3gpuE8ELNS1_3repE0EEENS1_47radix_sort_onesweep_sort_config_static_selectorELNS0_4arch9wavefront6targetE0EEEvSH_.private_seg_size, 0
	.set _ZN7rocprim17ROCPRIM_400000_NS6detail17trampoline_kernelINS0_14default_configENS1_35radix_sort_onesweep_config_selectorI12hip_bfloat16NS0_10empty_typeEEEZZNS1_29radix_sort_onesweep_iterationIS3_Lb1EPKS5_PS5_PS6_SC_mNS0_19identity_decomposerENS1_16block_id_wrapperIjLb0EEEEE10hipError_tT1_PNSt15iterator_traitsISH_E10value_typeET2_T3_PNSI_ISN_E10value_typeET4_T5_PSS_ST_PNS1_23onesweep_lookback_stateEbbT6_jjT7_P12ihipStream_tbENKUlT_T0_SH_SM_E_clISA_SB_SC_SC_EEDaS10_S11_SH_SM_EUlS10_E_NS1_11comp_targetILNS1_3genE4ELNS1_11target_archE910ELNS1_3gpuE8ELNS1_3repE0EEENS1_47radix_sort_onesweep_sort_config_static_selectorELNS0_4arch9wavefront6targetE0EEEvSH_.uses_vcc, 0
	.set _ZN7rocprim17ROCPRIM_400000_NS6detail17trampoline_kernelINS0_14default_configENS1_35radix_sort_onesweep_config_selectorI12hip_bfloat16NS0_10empty_typeEEEZZNS1_29radix_sort_onesweep_iterationIS3_Lb1EPKS5_PS5_PS6_SC_mNS0_19identity_decomposerENS1_16block_id_wrapperIjLb0EEEEE10hipError_tT1_PNSt15iterator_traitsISH_E10value_typeET2_T3_PNSI_ISN_E10value_typeET4_T5_PSS_ST_PNS1_23onesweep_lookback_stateEbbT6_jjT7_P12ihipStream_tbENKUlT_T0_SH_SM_E_clISA_SB_SC_SC_EEDaS10_S11_SH_SM_EUlS10_E_NS1_11comp_targetILNS1_3genE4ELNS1_11target_archE910ELNS1_3gpuE8ELNS1_3repE0EEENS1_47radix_sort_onesweep_sort_config_static_selectorELNS0_4arch9wavefront6targetE0EEEvSH_.uses_flat_scratch, 0
	.set _ZN7rocprim17ROCPRIM_400000_NS6detail17trampoline_kernelINS0_14default_configENS1_35radix_sort_onesweep_config_selectorI12hip_bfloat16NS0_10empty_typeEEEZZNS1_29radix_sort_onesweep_iterationIS3_Lb1EPKS5_PS5_PS6_SC_mNS0_19identity_decomposerENS1_16block_id_wrapperIjLb0EEEEE10hipError_tT1_PNSt15iterator_traitsISH_E10value_typeET2_T3_PNSI_ISN_E10value_typeET4_T5_PSS_ST_PNS1_23onesweep_lookback_stateEbbT6_jjT7_P12ihipStream_tbENKUlT_T0_SH_SM_E_clISA_SB_SC_SC_EEDaS10_S11_SH_SM_EUlS10_E_NS1_11comp_targetILNS1_3genE4ELNS1_11target_archE910ELNS1_3gpuE8ELNS1_3repE0EEENS1_47radix_sort_onesweep_sort_config_static_selectorELNS0_4arch9wavefront6targetE0EEEvSH_.has_dyn_sized_stack, 0
	.set _ZN7rocprim17ROCPRIM_400000_NS6detail17trampoline_kernelINS0_14default_configENS1_35radix_sort_onesweep_config_selectorI12hip_bfloat16NS0_10empty_typeEEEZZNS1_29radix_sort_onesweep_iterationIS3_Lb1EPKS5_PS5_PS6_SC_mNS0_19identity_decomposerENS1_16block_id_wrapperIjLb0EEEEE10hipError_tT1_PNSt15iterator_traitsISH_E10value_typeET2_T3_PNSI_ISN_E10value_typeET4_T5_PSS_ST_PNS1_23onesweep_lookback_stateEbbT6_jjT7_P12ihipStream_tbENKUlT_T0_SH_SM_E_clISA_SB_SC_SC_EEDaS10_S11_SH_SM_EUlS10_E_NS1_11comp_targetILNS1_3genE4ELNS1_11target_archE910ELNS1_3gpuE8ELNS1_3repE0EEENS1_47radix_sort_onesweep_sort_config_static_selectorELNS0_4arch9wavefront6targetE0EEEvSH_.has_recursion, 0
	.set _ZN7rocprim17ROCPRIM_400000_NS6detail17trampoline_kernelINS0_14default_configENS1_35radix_sort_onesweep_config_selectorI12hip_bfloat16NS0_10empty_typeEEEZZNS1_29radix_sort_onesweep_iterationIS3_Lb1EPKS5_PS5_PS6_SC_mNS0_19identity_decomposerENS1_16block_id_wrapperIjLb0EEEEE10hipError_tT1_PNSt15iterator_traitsISH_E10value_typeET2_T3_PNSI_ISN_E10value_typeET4_T5_PSS_ST_PNS1_23onesweep_lookback_stateEbbT6_jjT7_P12ihipStream_tbENKUlT_T0_SH_SM_E_clISA_SB_SC_SC_EEDaS10_S11_SH_SM_EUlS10_E_NS1_11comp_targetILNS1_3genE4ELNS1_11target_archE910ELNS1_3gpuE8ELNS1_3repE0EEENS1_47radix_sort_onesweep_sort_config_static_selectorELNS0_4arch9wavefront6targetE0EEEvSH_.has_indirect_call, 0
	.section	.AMDGPU.csdata,"",@progbits
; Kernel info:
; codeLenInByte = 0
; TotalNumSgprs: 0
; NumVgprs: 0
; ScratchSize: 0
; MemoryBound: 0
; FloatMode: 240
; IeeeMode: 1
; LDSByteSize: 0 bytes/workgroup (compile time only)
; SGPRBlocks: 0
; VGPRBlocks: 0
; NumSGPRsForWavesPerEU: 1
; NumVGPRsForWavesPerEU: 1
; NamedBarCnt: 0
; Occupancy: 16
; WaveLimiterHint : 0
; COMPUTE_PGM_RSRC2:SCRATCH_EN: 0
; COMPUTE_PGM_RSRC2:USER_SGPR: 2
; COMPUTE_PGM_RSRC2:TRAP_HANDLER: 0
; COMPUTE_PGM_RSRC2:TGID_X_EN: 1
; COMPUTE_PGM_RSRC2:TGID_Y_EN: 0
; COMPUTE_PGM_RSRC2:TGID_Z_EN: 0
; COMPUTE_PGM_RSRC2:TIDIG_COMP_CNT: 0
	.section	.text._ZN7rocprim17ROCPRIM_400000_NS6detail17trampoline_kernelINS0_14default_configENS1_35radix_sort_onesweep_config_selectorI12hip_bfloat16NS0_10empty_typeEEEZZNS1_29radix_sort_onesweep_iterationIS3_Lb1EPKS5_PS5_PS6_SC_mNS0_19identity_decomposerENS1_16block_id_wrapperIjLb0EEEEE10hipError_tT1_PNSt15iterator_traitsISH_E10value_typeET2_T3_PNSI_ISN_E10value_typeET4_T5_PSS_ST_PNS1_23onesweep_lookback_stateEbbT6_jjT7_P12ihipStream_tbENKUlT_T0_SH_SM_E_clISA_SB_SC_SC_EEDaS10_S11_SH_SM_EUlS10_E_NS1_11comp_targetILNS1_3genE3ELNS1_11target_archE908ELNS1_3gpuE7ELNS1_3repE0EEENS1_47radix_sort_onesweep_sort_config_static_selectorELNS0_4arch9wavefront6targetE0EEEvSH_,"axG",@progbits,_ZN7rocprim17ROCPRIM_400000_NS6detail17trampoline_kernelINS0_14default_configENS1_35radix_sort_onesweep_config_selectorI12hip_bfloat16NS0_10empty_typeEEEZZNS1_29radix_sort_onesweep_iterationIS3_Lb1EPKS5_PS5_PS6_SC_mNS0_19identity_decomposerENS1_16block_id_wrapperIjLb0EEEEE10hipError_tT1_PNSt15iterator_traitsISH_E10value_typeET2_T3_PNSI_ISN_E10value_typeET4_T5_PSS_ST_PNS1_23onesweep_lookback_stateEbbT6_jjT7_P12ihipStream_tbENKUlT_T0_SH_SM_E_clISA_SB_SC_SC_EEDaS10_S11_SH_SM_EUlS10_E_NS1_11comp_targetILNS1_3genE3ELNS1_11target_archE908ELNS1_3gpuE7ELNS1_3repE0EEENS1_47radix_sort_onesweep_sort_config_static_selectorELNS0_4arch9wavefront6targetE0EEEvSH_,comdat
	.protected	_ZN7rocprim17ROCPRIM_400000_NS6detail17trampoline_kernelINS0_14default_configENS1_35radix_sort_onesweep_config_selectorI12hip_bfloat16NS0_10empty_typeEEEZZNS1_29radix_sort_onesweep_iterationIS3_Lb1EPKS5_PS5_PS6_SC_mNS0_19identity_decomposerENS1_16block_id_wrapperIjLb0EEEEE10hipError_tT1_PNSt15iterator_traitsISH_E10value_typeET2_T3_PNSI_ISN_E10value_typeET4_T5_PSS_ST_PNS1_23onesweep_lookback_stateEbbT6_jjT7_P12ihipStream_tbENKUlT_T0_SH_SM_E_clISA_SB_SC_SC_EEDaS10_S11_SH_SM_EUlS10_E_NS1_11comp_targetILNS1_3genE3ELNS1_11target_archE908ELNS1_3gpuE7ELNS1_3repE0EEENS1_47radix_sort_onesweep_sort_config_static_selectorELNS0_4arch9wavefront6targetE0EEEvSH_ ; -- Begin function _ZN7rocprim17ROCPRIM_400000_NS6detail17trampoline_kernelINS0_14default_configENS1_35radix_sort_onesweep_config_selectorI12hip_bfloat16NS0_10empty_typeEEEZZNS1_29radix_sort_onesweep_iterationIS3_Lb1EPKS5_PS5_PS6_SC_mNS0_19identity_decomposerENS1_16block_id_wrapperIjLb0EEEEE10hipError_tT1_PNSt15iterator_traitsISH_E10value_typeET2_T3_PNSI_ISN_E10value_typeET4_T5_PSS_ST_PNS1_23onesweep_lookback_stateEbbT6_jjT7_P12ihipStream_tbENKUlT_T0_SH_SM_E_clISA_SB_SC_SC_EEDaS10_S11_SH_SM_EUlS10_E_NS1_11comp_targetILNS1_3genE3ELNS1_11target_archE908ELNS1_3gpuE7ELNS1_3repE0EEENS1_47radix_sort_onesweep_sort_config_static_selectorELNS0_4arch9wavefront6targetE0EEEvSH_
	.globl	_ZN7rocprim17ROCPRIM_400000_NS6detail17trampoline_kernelINS0_14default_configENS1_35radix_sort_onesweep_config_selectorI12hip_bfloat16NS0_10empty_typeEEEZZNS1_29radix_sort_onesweep_iterationIS3_Lb1EPKS5_PS5_PS6_SC_mNS0_19identity_decomposerENS1_16block_id_wrapperIjLb0EEEEE10hipError_tT1_PNSt15iterator_traitsISH_E10value_typeET2_T3_PNSI_ISN_E10value_typeET4_T5_PSS_ST_PNS1_23onesweep_lookback_stateEbbT6_jjT7_P12ihipStream_tbENKUlT_T0_SH_SM_E_clISA_SB_SC_SC_EEDaS10_S11_SH_SM_EUlS10_E_NS1_11comp_targetILNS1_3genE3ELNS1_11target_archE908ELNS1_3gpuE7ELNS1_3repE0EEENS1_47radix_sort_onesweep_sort_config_static_selectorELNS0_4arch9wavefront6targetE0EEEvSH_
	.p2align	8
	.type	_ZN7rocprim17ROCPRIM_400000_NS6detail17trampoline_kernelINS0_14default_configENS1_35radix_sort_onesweep_config_selectorI12hip_bfloat16NS0_10empty_typeEEEZZNS1_29radix_sort_onesweep_iterationIS3_Lb1EPKS5_PS5_PS6_SC_mNS0_19identity_decomposerENS1_16block_id_wrapperIjLb0EEEEE10hipError_tT1_PNSt15iterator_traitsISH_E10value_typeET2_T3_PNSI_ISN_E10value_typeET4_T5_PSS_ST_PNS1_23onesweep_lookback_stateEbbT6_jjT7_P12ihipStream_tbENKUlT_T0_SH_SM_E_clISA_SB_SC_SC_EEDaS10_S11_SH_SM_EUlS10_E_NS1_11comp_targetILNS1_3genE3ELNS1_11target_archE908ELNS1_3gpuE7ELNS1_3repE0EEENS1_47radix_sort_onesweep_sort_config_static_selectorELNS0_4arch9wavefront6targetE0EEEvSH_,@function
_ZN7rocprim17ROCPRIM_400000_NS6detail17trampoline_kernelINS0_14default_configENS1_35radix_sort_onesweep_config_selectorI12hip_bfloat16NS0_10empty_typeEEEZZNS1_29radix_sort_onesweep_iterationIS3_Lb1EPKS5_PS5_PS6_SC_mNS0_19identity_decomposerENS1_16block_id_wrapperIjLb0EEEEE10hipError_tT1_PNSt15iterator_traitsISH_E10value_typeET2_T3_PNSI_ISN_E10value_typeET4_T5_PSS_ST_PNS1_23onesweep_lookback_stateEbbT6_jjT7_P12ihipStream_tbENKUlT_T0_SH_SM_E_clISA_SB_SC_SC_EEDaS10_S11_SH_SM_EUlS10_E_NS1_11comp_targetILNS1_3genE3ELNS1_11target_archE908ELNS1_3gpuE7ELNS1_3repE0EEENS1_47radix_sort_onesweep_sort_config_static_selectorELNS0_4arch9wavefront6targetE0EEEvSH_: ; @_ZN7rocprim17ROCPRIM_400000_NS6detail17trampoline_kernelINS0_14default_configENS1_35radix_sort_onesweep_config_selectorI12hip_bfloat16NS0_10empty_typeEEEZZNS1_29radix_sort_onesweep_iterationIS3_Lb1EPKS5_PS5_PS6_SC_mNS0_19identity_decomposerENS1_16block_id_wrapperIjLb0EEEEE10hipError_tT1_PNSt15iterator_traitsISH_E10value_typeET2_T3_PNSI_ISN_E10value_typeET4_T5_PSS_ST_PNS1_23onesweep_lookback_stateEbbT6_jjT7_P12ihipStream_tbENKUlT_T0_SH_SM_E_clISA_SB_SC_SC_EEDaS10_S11_SH_SM_EUlS10_E_NS1_11comp_targetILNS1_3genE3ELNS1_11target_archE908ELNS1_3gpuE7ELNS1_3repE0EEENS1_47radix_sort_onesweep_sort_config_static_selectorELNS0_4arch9wavefront6targetE0EEEvSH_
; %bb.0:
	.section	.rodata,"a",@progbits
	.p2align	6, 0x0
	.amdhsa_kernel _ZN7rocprim17ROCPRIM_400000_NS6detail17trampoline_kernelINS0_14default_configENS1_35radix_sort_onesweep_config_selectorI12hip_bfloat16NS0_10empty_typeEEEZZNS1_29radix_sort_onesweep_iterationIS3_Lb1EPKS5_PS5_PS6_SC_mNS0_19identity_decomposerENS1_16block_id_wrapperIjLb0EEEEE10hipError_tT1_PNSt15iterator_traitsISH_E10value_typeET2_T3_PNSI_ISN_E10value_typeET4_T5_PSS_ST_PNS1_23onesweep_lookback_stateEbbT6_jjT7_P12ihipStream_tbENKUlT_T0_SH_SM_E_clISA_SB_SC_SC_EEDaS10_S11_SH_SM_EUlS10_E_NS1_11comp_targetILNS1_3genE3ELNS1_11target_archE908ELNS1_3gpuE7ELNS1_3repE0EEENS1_47radix_sort_onesweep_sort_config_static_selectorELNS0_4arch9wavefront6targetE0EEEvSH_
		.amdhsa_group_segment_fixed_size 0
		.amdhsa_private_segment_fixed_size 0
		.amdhsa_kernarg_size 88
		.amdhsa_user_sgpr_count 2
		.amdhsa_user_sgpr_dispatch_ptr 0
		.amdhsa_user_sgpr_queue_ptr 0
		.amdhsa_user_sgpr_kernarg_segment_ptr 1
		.amdhsa_user_sgpr_dispatch_id 0
		.amdhsa_user_sgpr_kernarg_preload_length 0
		.amdhsa_user_sgpr_kernarg_preload_offset 0
		.amdhsa_user_sgpr_private_segment_size 0
		.amdhsa_wavefront_size32 1
		.amdhsa_uses_dynamic_stack 0
		.amdhsa_enable_private_segment 0
		.amdhsa_system_sgpr_workgroup_id_x 1
		.amdhsa_system_sgpr_workgroup_id_y 0
		.amdhsa_system_sgpr_workgroup_id_z 0
		.amdhsa_system_sgpr_workgroup_info 0
		.amdhsa_system_vgpr_workitem_id 0
		.amdhsa_next_free_vgpr 1
		.amdhsa_next_free_sgpr 1
		.amdhsa_named_barrier_count 0
		.amdhsa_reserve_vcc 0
		.amdhsa_float_round_mode_32 0
		.amdhsa_float_round_mode_16_64 0
		.amdhsa_float_denorm_mode_32 3
		.amdhsa_float_denorm_mode_16_64 3
		.amdhsa_fp16_overflow 0
		.amdhsa_memory_ordered 1
		.amdhsa_forward_progress 1
		.amdhsa_inst_pref_size 0
		.amdhsa_round_robin_scheduling 0
		.amdhsa_exception_fp_ieee_invalid_op 0
		.amdhsa_exception_fp_denorm_src 0
		.amdhsa_exception_fp_ieee_div_zero 0
		.amdhsa_exception_fp_ieee_overflow 0
		.amdhsa_exception_fp_ieee_underflow 0
		.amdhsa_exception_fp_ieee_inexact 0
		.amdhsa_exception_int_div_zero 0
	.end_amdhsa_kernel
	.section	.text._ZN7rocprim17ROCPRIM_400000_NS6detail17trampoline_kernelINS0_14default_configENS1_35radix_sort_onesweep_config_selectorI12hip_bfloat16NS0_10empty_typeEEEZZNS1_29radix_sort_onesweep_iterationIS3_Lb1EPKS5_PS5_PS6_SC_mNS0_19identity_decomposerENS1_16block_id_wrapperIjLb0EEEEE10hipError_tT1_PNSt15iterator_traitsISH_E10value_typeET2_T3_PNSI_ISN_E10value_typeET4_T5_PSS_ST_PNS1_23onesweep_lookback_stateEbbT6_jjT7_P12ihipStream_tbENKUlT_T0_SH_SM_E_clISA_SB_SC_SC_EEDaS10_S11_SH_SM_EUlS10_E_NS1_11comp_targetILNS1_3genE3ELNS1_11target_archE908ELNS1_3gpuE7ELNS1_3repE0EEENS1_47radix_sort_onesweep_sort_config_static_selectorELNS0_4arch9wavefront6targetE0EEEvSH_,"axG",@progbits,_ZN7rocprim17ROCPRIM_400000_NS6detail17trampoline_kernelINS0_14default_configENS1_35radix_sort_onesweep_config_selectorI12hip_bfloat16NS0_10empty_typeEEEZZNS1_29radix_sort_onesweep_iterationIS3_Lb1EPKS5_PS5_PS6_SC_mNS0_19identity_decomposerENS1_16block_id_wrapperIjLb0EEEEE10hipError_tT1_PNSt15iterator_traitsISH_E10value_typeET2_T3_PNSI_ISN_E10value_typeET4_T5_PSS_ST_PNS1_23onesweep_lookback_stateEbbT6_jjT7_P12ihipStream_tbENKUlT_T0_SH_SM_E_clISA_SB_SC_SC_EEDaS10_S11_SH_SM_EUlS10_E_NS1_11comp_targetILNS1_3genE3ELNS1_11target_archE908ELNS1_3gpuE7ELNS1_3repE0EEENS1_47radix_sort_onesweep_sort_config_static_selectorELNS0_4arch9wavefront6targetE0EEEvSH_,comdat
.Lfunc_end1987:
	.size	_ZN7rocprim17ROCPRIM_400000_NS6detail17trampoline_kernelINS0_14default_configENS1_35radix_sort_onesweep_config_selectorI12hip_bfloat16NS0_10empty_typeEEEZZNS1_29radix_sort_onesweep_iterationIS3_Lb1EPKS5_PS5_PS6_SC_mNS0_19identity_decomposerENS1_16block_id_wrapperIjLb0EEEEE10hipError_tT1_PNSt15iterator_traitsISH_E10value_typeET2_T3_PNSI_ISN_E10value_typeET4_T5_PSS_ST_PNS1_23onesweep_lookback_stateEbbT6_jjT7_P12ihipStream_tbENKUlT_T0_SH_SM_E_clISA_SB_SC_SC_EEDaS10_S11_SH_SM_EUlS10_E_NS1_11comp_targetILNS1_3genE3ELNS1_11target_archE908ELNS1_3gpuE7ELNS1_3repE0EEENS1_47radix_sort_onesweep_sort_config_static_selectorELNS0_4arch9wavefront6targetE0EEEvSH_, .Lfunc_end1987-_ZN7rocprim17ROCPRIM_400000_NS6detail17trampoline_kernelINS0_14default_configENS1_35radix_sort_onesweep_config_selectorI12hip_bfloat16NS0_10empty_typeEEEZZNS1_29radix_sort_onesweep_iterationIS3_Lb1EPKS5_PS5_PS6_SC_mNS0_19identity_decomposerENS1_16block_id_wrapperIjLb0EEEEE10hipError_tT1_PNSt15iterator_traitsISH_E10value_typeET2_T3_PNSI_ISN_E10value_typeET4_T5_PSS_ST_PNS1_23onesweep_lookback_stateEbbT6_jjT7_P12ihipStream_tbENKUlT_T0_SH_SM_E_clISA_SB_SC_SC_EEDaS10_S11_SH_SM_EUlS10_E_NS1_11comp_targetILNS1_3genE3ELNS1_11target_archE908ELNS1_3gpuE7ELNS1_3repE0EEENS1_47radix_sort_onesweep_sort_config_static_selectorELNS0_4arch9wavefront6targetE0EEEvSH_
                                        ; -- End function
	.set _ZN7rocprim17ROCPRIM_400000_NS6detail17trampoline_kernelINS0_14default_configENS1_35radix_sort_onesweep_config_selectorI12hip_bfloat16NS0_10empty_typeEEEZZNS1_29radix_sort_onesweep_iterationIS3_Lb1EPKS5_PS5_PS6_SC_mNS0_19identity_decomposerENS1_16block_id_wrapperIjLb0EEEEE10hipError_tT1_PNSt15iterator_traitsISH_E10value_typeET2_T3_PNSI_ISN_E10value_typeET4_T5_PSS_ST_PNS1_23onesweep_lookback_stateEbbT6_jjT7_P12ihipStream_tbENKUlT_T0_SH_SM_E_clISA_SB_SC_SC_EEDaS10_S11_SH_SM_EUlS10_E_NS1_11comp_targetILNS1_3genE3ELNS1_11target_archE908ELNS1_3gpuE7ELNS1_3repE0EEENS1_47radix_sort_onesweep_sort_config_static_selectorELNS0_4arch9wavefront6targetE0EEEvSH_.num_vgpr, 0
	.set _ZN7rocprim17ROCPRIM_400000_NS6detail17trampoline_kernelINS0_14default_configENS1_35radix_sort_onesweep_config_selectorI12hip_bfloat16NS0_10empty_typeEEEZZNS1_29radix_sort_onesweep_iterationIS3_Lb1EPKS5_PS5_PS6_SC_mNS0_19identity_decomposerENS1_16block_id_wrapperIjLb0EEEEE10hipError_tT1_PNSt15iterator_traitsISH_E10value_typeET2_T3_PNSI_ISN_E10value_typeET4_T5_PSS_ST_PNS1_23onesweep_lookback_stateEbbT6_jjT7_P12ihipStream_tbENKUlT_T0_SH_SM_E_clISA_SB_SC_SC_EEDaS10_S11_SH_SM_EUlS10_E_NS1_11comp_targetILNS1_3genE3ELNS1_11target_archE908ELNS1_3gpuE7ELNS1_3repE0EEENS1_47radix_sort_onesweep_sort_config_static_selectorELNS0_4arch9wavefront6targetE0EEEvSH_.num_agpr, 0
	.set _ZN7rocprim17ROCPRIM_400000_NS6detail17trampoline_kernelINS0_14default_configENS1_35radix_sort_onesweep_config_selectorI12hip_bfloat16NS0_10empty_typeEEEZZNS1_29radix_sort_onesweep_iterationIS3_Lb1EPKS5_PS5_PS6_SC_mNS0_19identity_decomposerENS1_16block_id_wrapperIjLb0EEEEE10hipError_tT1_PNSt15iterator_traitsISH_E10value_typeET2_T3_PNSI_ISN_E10value_typeET4_T5_PSS_ST_PNS1_23onesweep_lookback_stateEbbT6_jjT7_P12ihipStream_tbENKUlT_T0_SH_SM_E_clISA_SB_SC_SC_EEDaS10_S11_SH_SM_EUlS10_E_NS1_11comp_targetILNS1_3genE3ELNS1_11target_archE908ELNS1_3gpuE7ELNS1_3repE0EEENS1_47radix_sort_onesweep_sort_config_static_selectorELNS0_4arch9wavefront6targetE0EEEvSH_.numbered_sgpr, 0
	.set _ZN7rocprim17ROCPRIM_400000_NS6detail17trampoline_kernelINS0_14default_configENS1_35radix_sort_onesweep_config_selectorI12hip_bfloat16NS0_10empty_typeEEEZZNS1_29radix_sort_onesweep_iterationIS3_Lb1EPKS5_PS5_PS6_SC_mNS0_19identity_decomposerENS1_16block_id_wrapperIjLb0EEEEE10hipError_tT1_PNSt15iterator_traitsISH_E10value_typeET2_T3_PNSI_ISN_E10value_typeET4_T5_PSS_ST_PNS1_23onesweep_lookback_stateEbbT6_jjT7_P12ihipStream_tbENKUlT_T0_SH_SM_E_clISA_SB_SC_SC_EEDaS10_S11_SH_SM_EUlS10_E_NS1_11comp_targetILNS1_3genE3ELNS1_11target_archE908ELNS1_3gpuE7ELNS1_3repE0EEENS1_47radix_sort_onesweep_sort_config_static_selectorELNS0_4arch9wavefront6targetE0EEEvSH_.num_named_barrier, 0
	.set _ZN7rocprim17ROCPRIM_400000_NS6detail17trampoline_kernelINS0_14default_configENS1_35radix_sort_onesweep_config_selectorI12hip_bfloat16NS0_10empty_typeEEEZZNS1_29radix_sort_onesweep_iterationIS3_Lb1EPKS5_PS5_PS6_SC_mNS0_19identity_decomposerENS1_16block_id_wrapperIjLb0EEEEE10hipError_tT1_PNSt15iterator_traitsISH_E10value_typeET2_T3_PNSI_ISN_E10value_typeET4_T5_PSS_ST_PNS1_23onesweep_lookback_stateEbbT6_jjT7_P12ihipStream_tbENKUlT_T0_SH_SM_E_clISA_SB_SC_SC_EEDaS10_S11_SH_SM_EUlS10_E_NS1_11comp_targetILNS1_3genE3ELNS1_11target_archE908ELNS1_3gpuE7ELNS1_3repE0EEENS1_47radix_sort_onesweep_sort_config_static_selectorELNS0_4arch9wavefront6targetE0EEEvSH_.private_seg_size, 0
	.set _ZN7rocprim17ROCPRIM_400000_NS6detail17trampoline_kernelINS0_14default_configENS1_35radix_sort_onesweep_config_selectorI12hip_bfloat16NS0_10empty_typeEEEZZNS1_29radix_sort_onesweep_iterationIS3_Lb1EPKS5_PS5_PS6_SC_mNS0_19identity_decomposerENS1_16block_id_wrapperIjLb0EEEEE10hipError_tT1_PNSt15iterator_traitsISH_E10value_typeET2_T3_PNSI_ISN_E10value_typeET4_T5_PSS_ST_PNS1_23onesweep_lookback_stateEbbT6_jjT7_P12ihipStream_tbENKUlT_T0_SH_SM_E_clISA_SB_SC_SC_EEDaS10_S11_SH_SM_EUlS10_E_NS1_11comp_targetILNS1_3genE3ELNS1_11target_archE908ELNS1_3gpuE7ELNS1_3repE0EEENS1_47radix_sort_onesweep_sort_config_static_selectorELNS0_4arch9wavefront6targetE0EEEvSH_.uses_vcc, 0
	.set _ZN7rocprim17ROCPRIM_400000_NS6detail17trampoline_kernelINS0_14default_configENS1_35radix_sort_onesweep_config_selectorI12hip_bfloat16NS0_10empty_typeEEEZZNS1_29radix_sort_onesweep_iterationIS3_Lb1EPKS5_PS5_PS6_SC_mNS0_19identity_decomposerENS1_16block_id_wrapperIjLb0EEEEE10hipError_tT1_PNSt15iterator_traitsISH_E10value_typeET2_T3_PNSI_ISN_E10value_typeET4_T5_PSS_ST_PNS1_23onesweep_lookback_stateEbbT6_jjT7_P12ihipStream_tbENKUlT_T0_SH_SM_E_clISA_SB_SC_SC_EEDaS10_S11_SH_SM_EUlS10_E_NS1_11comp_targetILNS1_3genE3ELNS1_11target_archE908ELNS1_3gpuE7ELNS1_3repE0EEENS1_47radix_sort_onesweep_sort_config_static_selectorELNS0_4arch9wavefront6targetE0EEEvSH_.uses_flat_scratch, 0
	.set _ZN7rocprim17ROCPRIM_400000_NS6detail17trampoline_kernelINS0_14default_configENS1_35radix_sort_onesweep_config_selectorI12hip_bfloat16NS0_10empty_typeEEEZZNS1_29radix_sort_onesweep_iterationIS3_Lb1EPKS5_PS5_PS6_SC_mNS0_19identity_decomposerENS1_16block_id_wrapperIjLb0EEEEE10hipError_tT1_PNSt15iterator_traitsISH_E10value_typeET2_T3_PNSI_ISN_E10value_typeET4_T5_PSS_ST_PNS1_23onesweep_lookback_stateEbbT6_jjT7_P12ihipStream_tbENKUlT_T0_SH_SM_E_clISA_SB_SC_SC_EEDaS10_S11_SH_SM_EUlS10_E_NS1_11comp_targetILNS1_3genE3ELNS1_11target_archE908ELNS1_3gpuE7ELNS1_3repE0EEENS1_47radix_sort_onesweep_sort_config_static_selectorELNS0_4arch9wavefront6targetE0EEEvSH_.has_dyn_sized_stack, 0
	.set _ZN7rocprim17ROCPRIM_400000_NS6detail17trampoline_kernelINS0_14default_configENS1_35radix_sort_onesweep_config_selectorI12hip_bfloat16NS0_10empty_typeEEEZZNS1_29radix_sort_onesweep_iterationIS3_Lb1EPKS5_PS5_PS6_SC_mNS0_19identity_decomposerENS1_16block_id_wrapperIjLb0EEEEE10hipError_tT1_PNSt15iterator_traitsISH_E10value_typeET2_T3_PNSI_ISN_E10value_typeET4_T5_PSS_ST_PNS1_23onesweep_lookback_stateEbbT6_jjT7_P12ihipStream_tbENKUlT_T0_SH_SM_E_clISA_SB_SC_SC_EEDaS10_S11_SH_SM_EUlS10_E_NS1_11comp_targetILNS1_3genE3ELNS1_11target_archE908ELNS1_3gpuE7ELNS1_3repE0EEENS1_47radix_sort_onesweep_sort_config_static_selectorELNS0_4arch9wavefront6targetE0EEEvSH_.has_recursion, 0
	.set _ZN7rocprim17ROCPRIM_400000_NS6detail17trampoline_kernelINS0_14default_configENS1_35radix_sort_onesweep_config_selectorI12hip_bfloat16NS0_10empty_typeEEEZZNS1_29radix_sort_onesweep_iterationIS3_Lb1EPKS5_PS5_PS6_SC_mNS0_19identity_decomposerENS1_16block_id_wrapperIjLb0EEEEE10hipError_tT1_PNSt15iterator_traitsISH_E10value_typeET2_T3_PNSI_ISN_E10value_typeET4_T5_PSS_ST_PNS1_23onesweep_lookback_stateEbbT6_jjT7_P12ihipStream_tbENKUlT_T0_SH_SM_E_clISA_SB_SC_SC_EEDaS10_S11_SH_SM_EUlS10_E_NS1_11comp_targetILNS1_3genE3ELNS1_11target_archE908ELNS1_3gpuE7ELNS1_3repE0EEENS1_47radix_sort_onesweep_sort_config_static_selectorELNS0_4arch9wavefront6targetE0EEEvSH_.has_indirect_call, 0
	.section	.AMDGPU.csdata,"",@progbits
; Kernel info:
; codeLenInByte = 0
; TotalNumSgprs: 0
; NumVgprs: 0
; ScratchSize: 0
; MemoryBound: 0
; FloatMode: 240
; IeeeMode: 1
; LDSByteSize: 0 bytes/workgroup (compile time only)
; SGPRBlocks: 0
; VGPRBlocks: 0
; NumSGPRsForWavesPerEU: 1
; NumVGPRsForWavesPerEU: 1
; NamedBarCnt: 0
; Occupancy: 16
; WaveLimiterHint : 0
; COMPUTE_PGM_RSRC2:SCRATCH_EN: 0
; COMPUTE_PGM_RSRC2:USER_SGPR: 2
; COMPUTE_PGM_RSRC2:TRAP_HANDLER: 0
; COMPUTE_PGM_RSRC2:TGID_X_EN: 1
; COMPUTE_PGM_RSRC2:TGID_Y_EN: 0
; COMPUTE_PGM_RSRC2:TGID_Z_EN: 0
; COMPUTE_PGM_RSRC2:TIDIG_COMP_CNT: 0
	.section	.text._ZN7rocprim17ROCPRIM_400000_NS6detail17trampoline_kernelINS0_14default_configENS1_35radix_sort_onesweep_config_selectorI12hip_bfloat16NS0_10empty_typeEEEZZNS1_29radix_sort_onesweep_iterationIS3_Lb1EPKS5_PS5_PS6_SC_mNS0_19identity_decomposerENS1_16block_id_wrapperIjLb0EEEEE10hipError_tT1_PNSt15iterator_traitsISH_E10value_typeET2_T3_PNSI_ISN_E10value_typeET4_T5_PSS_ST_PNS1_23onesweep_lookback_stateEbbT6_jjT7_P12ihipStream_tbENKUlT_T0_SH_SM_E_clISA_SB_SC_SC_EEDaS10_S11_SH_SM_EUlS10_E_NS1_11comp_targetILNS1_3genE10ELNS1_11target_archE1201ELNS1_3gpuE5ELNS1_3repE0EEENS1_47radix_sort_onesweep_sort_config_static_selectorELNS0_4arch9wavefront6targetE0EEEvSH_,"axG",@progbits,_ZN7rocprim17ROCPRIM_400000_NS6detail17trampoline_kernelINS0_14default_configENS1_35radix_sort_onesweep_config_selectorI12hip_bfloat16NS0_10empty_typeEEEZZNS1_29radix_sort_onesweep_iterationIS3_Lb1EPKS5_PS5_PS6_SC_mNS0_19identity_decomposerENS1_16block_id_wrapperIjLb0EEEEE10hipError_tT1_PNSt15iterator_traitsISH_E10value_typeET2_T3_PNSI_ISN_E10value_typeET4_T5_PSS_ST_PNS1_23onesweep_lookback_stateEbbT6_jjT7_P12ihipStream_tbENKUlT_T0_SH_SM_E_clISA_SB_SC_SC_EEDaS10_S11_SH_SM_EUlS10_E_NS1_11comp_targetILNS1_3genE10ELNS1_11target_archE1201ELNS1_3gpuE5ELNS1_3repE0EEENS1_47radix_sort_onesweep_sort_config_static_selectorELNS0_4arch9wavefront6targetE0EEEvSH_,comdat
	.protected	_ZN7rocprim17ROCPRIM_400000_NS6detail17trampoline_kernelINS0_14default_configENS1_35radix_sort_onesweep_config_selectorI12hip_bfloat16NS0_10empty_typeEEEZZNS1_29radix_sort_onesweep_iterationIS3_Lb1EPKS5_PS5_PS6_SC_mNS0_19identity_decomposerENS1_16block_id_wrapperIjLb0EEEEE10hipError_tT1_PNSt15iterator_traitsISH_E10value_typeET2_T3_PNSI_ISN_E10value_typeET4_T5_PSS_ST_PNS1_23onesweep_lookback_stateEbbT6_jjT7_P12ihipStream_tbENKUlT_T0_SH_SM_E_clISA_SB_SC_SC_EEDaS10_S11_SH_SM_EUlS10_E_NS1_11comp_targetILNS1_3genE10ELNS1_11target_archE1201ELNS1_3gpuE5ELNS1_3repE0EEENS1_47radix_sort_onesweep_sort_config_static_selectorELNS0_4arch9wavefront6targetE0EEEvSH_ ; -- Begin function _ZN7rocprim17ROCPRIM_400000_NS6detail17trampoline_kernelINS0_14default_configENS1_35radix_sort_onesweep_config_selectorI12hip_bfloat16NS0_10empty_typeEEEZZNS1_29radix_sort_onesweep_iterationIS3_Lb1EPKS5_PS5_PS6_SC_mNS0_19identity_decomposerENS1_16block_id_wrapperIjLb0EEEEE10hipError_tT1_PNSt15iterator_traitsISH_E10value_typeET2_T3_PNSI_ISN_E10value_typeET4_T5_PSS_ST_PNS1_23onesweep_lookback_stateEbbT6_jjT7_P12ihipStream_tbENKUlT_T0_SH_SM_E_clISA_SB_SC_SC_EEDaS10_S11_SH_SM_EUlS10_E_NS1_11comp_targetILNS1_3genE10ELNS1_11target_archE1201ELNS1_3gpuE5ELNS1_3repE0EEENS1_47radix_sort_onesweep_sort_config_static_selectorELNS0_4arch9wavefront6targetE0EEEvSH_
	.globl	_ZN7rocprim17ROCPRIM_400000_NS6detail17trampoline_kernelINS0_14default_configENS1_35radix_sort_onesweep_config_selectorI12hip_bfloat16NS0_10empty_typeEEEZZNS1_29radix_sort_onesweep_iterationIS3_Lb1EPKS5_PS5_PS6_SC_mNS0_19identity_decomposerENS1_16block_id_wrapperIjLb0EEEEE10hipError_tT1_PNSt15iterator_traitsISH_E10value_typeET2_T3_PNSI_ISN_E10value_typeET4_T5_PSS_ST_PNS1_23onesweep_lookback_stateEbbT6_jjT7_P12ihipStream_tbENKUlT_T0_SH_SM_E_clISA_SB_SC_SC_EEDaS10_S11_SH_SM_EUlS10_E_NS1_11comp_targetILNS1_3genE10ELNS1_11target_archE1201ELNS1_3gpuE5ELNS1_3repE0EEENS1_47radix_sort_onesweep_sort_config_static_selectorELNS0_4arch9wavefront6targetE0EEEvSH_
	.p2align	8
	.type	_ZN7rocprim17ROCPRIM_400000_NS6detail17trampoline_kernelINS0_14default_configENS1_35radix_sort_onesweep_config_selectorI12hip_bfloat16NS0_10empty_typeEEEZZNS1_29radix_sort_onesweep_iterationIS3_Lb1EPKS5_PS5_PS6_SC_mNS0_19identity_decomposerENS1_16block_id_wrapperIjLb0EEEEE10hipError_tT1_PNSt15iterator_traitsISH_E10value_typeET2_T3_PNSI_ISN_E10value_typeET4_T5_PSS_ST_PNS1_23onesweep_lookback_stateEbbT6_jjT7_P12ihipStream_tbENKUlT_T0_SH_SM_E_clISA_SB_SC_SC_EEDaS10_S11_SH_SM_EUlS10_E_NS1_11comp_targetILNS1_3genE10ELNS1_11target_archE1201ELNS1_3gpuE5ELNS1_3repE0EEENS1_47radix_sort_onesweep_sort_config_static_selectorELNS0_4arch9wavefront6targetE0EEEvSH_,@function
_ZN7rocprim17ROCPRIM_400000_NS6detail17trampoline_kernelINS0_14default_configENS1_35radix_sort_onesweep_config_selectorI12hip_bfloat16NS0_10empty_typeEEEZZNS1_29radix_sort_onesweep_iterationIS3_Lb1EPKS5_PS5_PS6_SC_mNS0_19identity_decomposerENS1_16block_id_wrapperIjLb0EEEEE10hipError_tT1_PNSt15iterator_traitsISH_E10value_typeET2_T3_PNSI_ISN_E10value_typeET4_T5_PSS_ST_PNS1_23onesweep_lookback_stateEbbT6_jjT7_P12ihipStream_tbENKUlT_T0_SH_SM_E_clISA_SB_SC_SC_EEDaS10_S11_SH_SM_EUlS10_E_NS1_11comp_targetILNS1_3genE10ELNS1_11target_archE1201ELNS1_3gpuE5ELNS1_3repE0EEENS1_47radix_sort_onesweep_sort_config_static_selectorELNS0_4arch9wavefront6targetE0EEEvSH_: ; @_ZN7rocprim17ROCPRIM_400000_NS6detail17trampoline_kernelINS0_14default_configENS1_35radix_sort_onesweep_config_selectorI12hip_bfloat16NS0_10empty_typeEEEZZNS1_29radix_sort_onesweep_iterationIS3_Lb1EPKS5_PS5_PS6_SC_mNS0_19identity_decomposerENS1_16block_id_wrapperIjLb0EEEEE10hipError_tT1_PNSt15iterator_traitsISH_E10value_typeET2_T3_PNSI_ISN_E10value_typeET4_T5_PSS_ST_PNS1_23onesweep_lookback_stateEbbT6_jjT7_P12ihipStream_tbENKUlT_T0_SH_SM_E_clISA_SB_SC_SC_EEDaS10_S11_SH_SM_EUlS10_E_NS1_11comp_targetILNS1_3genE10ELNS1_11target_archE1201ELNS1_3gpuE5ELNS1_3repE0EEENS1_47radix_sort_onesweep_sort_config_static_selectorELNS0_4arch9wavefront6targetE0EEEvSH_
; %bb.0:
	.section	.rodata,"a",@progbits
	.p2align	6, 0x0
	.amdhsa_kernel _ZN7rocprim17ROCPRIM_400000_NS6detail17trampoline_kernelINS0_14default_configENS1_35radix_sort_onesweep_config_selectorI12hip_bfloat16NS0_10empty_typeEEEZZNS1_29radix_sort_onesweep_iterationIS3_Lb1EPKS5_PS5_PS6_SC_mNS0_19identity_decomposerENS1_16block_id_wrapperIjLb0EEEEE10hipError_tT1_PNSt15iterator_traitsISH_E10value_typeET2_T3_PNSI_ISN_E10value_typeET4_T5_PSS_ST_PNS1_23onesweep_lookback_stateEbbT6_jjT7_P12ihipStream_tbENKUlT_T0_SH_SM_E_clISA_SB_SC_SC_EEDaS10_S11_SH_SM_EUlS10_E_NS1_11comp_targetILNS1_3genE10ELNS1_11target_archE1201ELNS1_3gpuE5ELNS1_3repE0EEENS1_47radix_sort_onesweep_sort_config_static_selectorELNS0_4arch9wavefront6targetE0EEEvSH_
		.amdhsa_group_segment_fixed_size 0
		.amdhsa_private_segment_fixed_size 0
		.amdhsa_kernarg_size 88
		.amdhsa_user_sgpr_count 2
		.amdhsa_user_sgpr_dispatch_ptr 0
		.amdhsa_user_sgpr_queue_ptr 0
		.amdhsa_user_sgpr_kernarg_segment_ptr 1
		.amdhsa_user_sgpr_dispatch_id 0
		.amdhsa_user_sgpr_kernarg_preload_length 0
		.amdhsa_user_sgpr_kernarg_preload_offset 0
		.amdhsa_user_sgpr_private_segment_size 0
		.amdhsa_wavefront_size32 1
		.amdhsa_uses_dynamic_stack 0
		.amdhsa_enable_private_segment 0
		.amdhsa_system_sgpr_workgroup_id_x 1
		.amdhsa_system_sgpr_workgroup_id_y 0
		.amdhsa_system_sgpr_workgroup_id_z 0
		.amdhsa_system_sgpr_workgroup_info 0
		.amdhsa_system_vgpr_workitem_id 0
		.amdhsa_next_free_vgpr 1
		.amdhsa_next_free_sgpr 1
		.amdhsa_named_barrier_count 0
		.amdhsa_reserve_vcc 0
		.amdhsa_float_round_mode_32 0
		.amdhsa_float_round_mode_16_64 0
		.amdhsa_float_denorm_mode_32 3
		.amdhsa_float_denorm_mode_16_64 3
		.amdhsa_fp16_overflow 0
		.amdhsa_memory_ordered 1
		.amdhsa_forward_progress 1
		.amdhsa_inst_pref_size 0
		.amdhsa_round_robin_scheduling 0
		.amdhsa_exception_fp_ieee_invalid_op 0
		.amdhsa_exception_fp_denorm_src 0
		.amdhsa_exception_fp_ieee_div_zero 0
		.amdhsa_exception_fp_ieee_overflow 0
		.amdhsa_exception_fp_ieee_underflow 0
		.amdhsa_exception_fp_ieee_inexact 0
		.amdhsa_exception_int_div_zero 0
	.end_amdhsa_kernel
	.section	.text._ZN7rocprim17ROCPRIM_400000_NS6detail17trampoline_kernelINS0_14default_configENS1_35radix_sort_onesweep_config_selectorI12hip_bfloat16NS0_10empty_typeEEEZZNS1_29radix_sort_onesweep_iterationIS3_Lb1EPKS5_PS5_PS6_SC_mNS0_19identity_decomposerENS1_16block_id_wrapperIjLb0EEEEE10hipError_tT1_PNSt15iterator_traitsISH_E10value_typeET2_T3_PNSI_ISN_E10value_typeET4_T5_PSS_ST_PNS1_23onesweep_lookback_stateEbbT6_jjT7_P12ihipStream_tbENKUlT_T0_SH_SM_E_clISA_SB_SC_SC_EEDaS10_S11_SH_SM_EUlS10_E_NS1_11comp_targetILNS1_3genE10ELNS1_11target_archE1201ELNS1_3gpuE5ELNS1_3repE0EEENS1_47radix_sort_onesweep_sort_config_static_selectorELNS0_4arch9wavefront6targetE0EEEvSH_,"axG",@progbits,_ZN7rocprim17ROCPRIM_400000_NS6detail17trampoline_kernelINS0_14default_configENS1_35radix_sort_onesweep_config_selectorI12hip_bfloat16NS0_10empty_typeEEEZZNS1_29radix_sort_onesweep_iterationIS3_Lb1EPKS5_PS5_PS6_SC_mNS0_19identity_decomposerENS1_16block_id_wrapperIjLb0EEEEE10hipError_tT1_PNSt15iterator_traitsISH_E10value_typeET2_T3_PNSI_ISN_E10value_typeET4_T5_PSS_ST_PNS1_23onesweep_lookback_stateEbbT6_jjT7_P12ihipStream_tbENKUlT_T0_SH_SM_E_clISA_SB_SC_SC_EEDaS10_S11_SH_SM_EUlS10_E_NS1_11comp_targetILNS1_3genE10ELNS1_11target_archE1201ELNS1_3gpuE5ELNS1_3repE0EEENS1_47radix_sort_onesweep_sort_config_static_selectorELNS0_4arch9wavefront6targetE0EEEvSH_,comdat
.Lfunc_end1988:
	.size	_ZN7rocprim17ROCPRIM_400000_NS6detail17trampoline_kernelINS0_14default_configENS1_35radix_sort_onesweep_config_selectorI12hip_bfloat16NS0_10empty_typeEEEZZNS1_29radix_sort_onesweep_iterationIS3_Lb1EPKS5_PS5_PS6_SC_mNS0_19identity_decomposerENS1_16block_id_wrapperIjLb0EEEEE10hipError_tT1_PNSt15iterator_traitsISH_E10value_typeET2_T3_PNSI_ISN_E10value_typeET4_T5_PSS_ST_PNS1_23onesweep_lookback_stateEbbT6_jjT7_P12ihipStream_tbENKUlT_T0_SH_SM_E_clISA_SB_SC_SC_EEDaS10_S11_SH_SM_EUlS10_E_NS1_11comp_targetILNS1_3genE10ELNS1_11target_archE1201ELNS1_3gpuE5ELNS1_3repE0EEENS1_47radix_sort_onesweep_sort_config_static_selectorELNS0_4arch9wavefront6targetE0EEEvSH_, .Lfunc_end1988-_ZN7rocprim17ROCPRIM_400000_NS6detail17trampoline_kernelINS0_14default_configENS1_35radix_sort_onesweep_config_selectorI12hip_bfloat16NS0_10empty_typeEEEZZNS1_29radix_sort_onesweep_iterationIS3_Lb1EPKS5_PS5_PS6_SC_mNS0_19identity_decomposerENS1_16block_id_wrapperIjLb0EEEEE10hipError_tT1_PNSt15iterator_traitsISH_E10value_typeET2_T3_PNSI_ISN_E10value_typeET4_T5_PSS_ST_PNS1_23onesweep_lookback_stateEbbT6_jjT7_P12ihipStream_tbENKUlT_T0_SH_SM_E_clISA_SB_SC_SC_EEDaS10_S11_SH_SM_EUlS10_E_NS1_11comp_targetILNS1_3genE10ELNS1_11target_archE1201ELNS1_3gpuE5ELNS1_3repE0EEENS1_47radix_sort_onesweep_sort_config_static_selectorELNS0_4arch9wavefront6targetE0EEEvSH_
                                        ; -- End function
	.set _ZN7rocprim17ROCPRIM_400000_NS6detail17trampoline_kernelINS0_14default_configENS1_35radix_sort_onesweep_config_selectorI12hip_bfloat16NS0_10empty_typeEEEZZNS1_29radix_sort_onesweep_iterationIS3_Lb1EPKS5_PS5_PS6_SC_mNS0_19identity_decomposerENS1_16block_id_wrapperIjLb0EEEEE10hipError_tT1_PNSt15iterator_traitsISH_E10value_typeET2_T3_PNSI_ISN_E10value_typeET4_T5_PSS_ST_PNS1_23onesweep_lookback_stateEbbT6_jjT7_P12ihipStream_tbENKUlT_T0_SH_SM_E_clISA_SB_SC_SC_EEDaS10_S11_SH_SM_EUlS10_E_NS1_11comp_targetILNS1_3genE10ELNS1_11target_archE1201ELNS1_3gpuE5ELNS1_3repE0EEENS1_47radix_sort_onesweep_sort_config_static_selectorELNS0_4arch9wavefront6targetE0EEEvSH_.num_vgpr, 0
	.set _ZN7rocprim17ROCPRIM_400000_NS6detail17trampoline_kernelINS0_14default_configENS1_35radix_sort_onesweep_config_selectorI12hip_bfloat16NS0_10empty_typeEEEZZNS1_29radix_sort_onesweep_iterationIS3_Lb1EPKS5_PS5_PS6_SC_mNS0_19identity_decomposerENS1_16block_id_wrapperIjLb0EEEEE10hipError_tT1_PNSt15iterator_traitsISH_E10value_typeET2_T3_PNSI_ISN_E10value_typeET4_T5_PSS_ST_PNS1_23onesweep_lookback_stateEbbT6_jjT7_P12ihipStream_tbENKUlT_T0_SH_SM_E_clISA_SB_SC_SC_EEDaS10_S11_SH_SM_EUlS10_E_NS1_11comp_targetILNS1_3genE10ELNS1_11target_archE1201ELNS1_3gpuE5ELNS1_3repE0EEENS1_47radix_sort_onesweep_sort_config_static_selectorELNS0_4arch9wavefront6targetE0EEEvSH_.num_agpr, 0
	.set _ZN7rocprim17ROCPRIM_400000_NS6detail17trampoline_kernelINS0_14default_configENS1_35radix_sort_onesweep_config_selectorI12hip_bfloat16NS0_10empty_typeEEEZZNS1_29radix_sort_onesweep_iterationIS3_Lb1EPKS5_PS5_PS6_SC_mNS0_19identity_decomposerENS1_16block_id_wrapperIjLb0EEEEE10hipError_tT1_PNSt15iterator_traitsISH_E10value_typeET2_T3_PNSI_ISN_E10value_typeET4_T5_PSS_ST_PNS1_23onesweep_lookback_stateEbbT6_jjT7_P12ihipStream_tbENKUlT_T0_SH_SM_E_clISA_SB_SC_SC_EEDaS10_S11_SH_SM_EUlS10_E_NS1_11comp_targetILNS1_3genE10ELNS1_11target_archE1201ELNS1_3gpuE5ELNS1_3repE0EEENS1_47radix_sort_onesweep_sort_config_static_selectorELNS0_4arch9wavefront6targetE0EEEvSH_.numbered_sgpr, 0
	.set _ZN7rocprim17ROCPRIM_400000_NS6detail17trampoline_kernelINS0_14default_configENS1_35radix_sort_onesweep_config_selectorI12hip_bfloat16NS0_10empty_typeEEEZZNS1_29radix_sort_onesweep_iterationIS3_Lb1EPKS5_PS5_PS6_SC_mNS0_19identity_decomposerENS1_16block_id_wrapperIjLb0EEEEE10hipError_tT1_PNSt15iterator_traitsISH_E10value_typeET2_T3_PNSI_ISN_E10value_typeET4_T5_PSS_ST_PNS1_23onesweep_lookback_stateEbbT6_jjT7_P12ihipStream_tbENKUlT_T0_SH_SM_E_clISA_SB_SC_SC_EEDaS10_S11_SH_SM_EUlS10_E_NS1_11comp_targetILNS1_3genE10ELNS1_11target_archE1201ELNS1_3gpuE5ELNS1_3repE0EEENS1_47radix_sort_onesweep_sort_config_static_selectorELNS0_4arch9wavefront6targetE0EEEvSH_.num_named_barrier, 0
	.set _ZN7rocprim17ROCPRIM_400000_NS6detail17trampoline_kernelINS0_14default_configENS1_35radix_sort_onesweep_config_selectorI12hip_bfloat16NS0_10empty_typeEEEZZNS1_29radix_sort_onesweep_iterationIS3_Lb1EPKS5_PS5_PS6_SC_mNS0_19identity_decomposerENS1_16block_id_wrapperIjLb0EEEEE10hipError_tT1_PNSt15iterator_traitsISH_E10value_typeET2_T3_PNSI_ISN_E10value_typeET4_T5_PSS_ST_PNS1_23onesweep_lookback_stateEbbT6_jjT7_P12ihipStream_tbENKUlT_T0_SH_SM_E_clISA_SB_SC_SC_EEDaS10_S11_SH_SM_EUlS10_E_NS1_11comp_targetILNS1_3genE10ELNS1_11target_archE1201ELNS1_3gpuE5ELNS1_3repE0EEENS1_47radix_sort_onesweep_sort_config_static_selectorELNS0_4arch9wavefront6targetE0EEEvSH_.private_seg_size, 0
	.set _ZN7rocprim17ROCPRIM_400000_NS6detail17trampoline_kernelINS0_14default_configENS1_35radix_sort_onesweep_config_selectorI12hip_bfloat16NS0_10empty_typeEEEZZNS1_29radix_sort_onesweep_iterationIS3_Lb1EPKS5_PS5_PS6_SC_mNS0_19identity_decomposerENS1_16block_id_wrapperIjLb0EEEEE10hipError_tT1_PNSt15iterator_traitsISH_E10value_typeET2_T3_PNSI_ISN_E10value_typeET4_T5_PSS_ST_PNS1_23onesweep_lookback_stateEbbT6_jjT7_P12ihipStream_tbENKUlT_T0_SH_SM_E_clISA_SB_SC_SC_EEDaS10_S11_SH_SM_EUlS10_E_NS1_11comp_targetILNS1_3genE10ELNS1_11target_archE1201ELNS1_3gpuE5ELNS1_3repE0EEENS1_47radix_sort_onesweep_sort_config_static_selectorELNS0_4arch9wavefront6targetE0EEEvSH_.uses_vcc, 0
	.set _ZN7rocprim17ROCPRIM_400000_NS6detail17trampoline_kernelINS0_14default_configENS1_35radix_sort_onesweep_config_selectorI12hip_bfloat16NS0_10empty_typeEEEZZNS1_29radix_sort_onesweep_iterationIS3_Lb1EPKS5_PS5_PS6_SC_mNS0_19identity_decomposerENS1_16block_id_wrapperIjLb0EEEEE10hipError_tT1_PNSt15iterator_traitsISH_E10value_typeET2_T3_PNSI_ISN_E10value_typeET4_T5_PSS_ST_PNS1_23onesweep_lookback_stateEbbT6_jjT7_P12ihipStream_tbENKUlT_T0_SH_SM_E_clISA_SB_SC_SC_EEDaS10_S11_SH_SM_EUlS10_E_NS1_11comp_targetILNS1_3genE10ELNS1_11target_archE1201ELNS1_3gpuE5ELNS1_3repE0EEENS1_47radix_sort_onesweep_sort_config_static_selectorELNS0_4arch9wavefront6targetE0EEEvSH_.uses_flat_scratch, 0
	.set _ZN7rocprim17ROCPRIM_400000_NS6detail17trampoline_kernelINS0_14default_configENS1_35radix_sort_onesweep_config_selectorI12hip_bfloat16NS0_10empty_typeEEEZZNS1_29radix_sort_onesweep_iterationIS3_Lb1EPKS5_PS5_PS6_SC_mNS0_19identity_decomposerENS1_16block_id_wrapperIjLb0EEEEE10hipError_tT1_PNSt15iterator_traitsISH_E10value_typeET2_T3_PNSI_ISN_E10value_typeET4_T5_PSS_ST_PNS1_23onesweep_lookback_stateEbbT6_jjT7_P12ihipStream_tbENKUlT_T0_SH_SM_E_clISA_SB_SC_SC_EEDaS10_S11_SH_SM_EUlS10_E_NS1_11comp_targetILNS1_3genE10ELNS1_11target_archE1201ELNS1_3gpuE5ELNS1_3repE0EEENS1_47radix_sort_onesweep_sort_config_static_selectorELNS0_4arch9wavefront6targetE0EEEvSH_.has_dyn_sized_stack, 0
	.set _ZN7rocprim17ROCPRIM_400000_NS6detail17trampoline_kernelINS0_14default_configENS1_35radix_sort_onesweep_config_selectorI12hip_bfloat16NS0_10empty_typeEEEZZNS1_29radix_sort_onesweep_iterationIS3_Lb1EPKS5_PS5_PS6_SC_mNS0_19identity_decomposerENS1_16block_id_wrapperIjLb0EEEEE10hipError_tT1_PNSt15iterator_traitsISH_E10value_typeET2_T3_PNSI_ISN_E10value_typeET4_T5_PSS_ST_PNS1_23onesweep_lookback_stateEbbT6_jjT7_P12ihipStream_tbENKUlT_T0_SH_SM_E_clISA_SB_SC_SC_EEDaS10_S11_SH_SM_EUlS10_E_NS1_11comp_targetILNS1_3genE10ELNS1_11target_archE1201ELNS1_3gpuE5ELNS1_3repE0EEENS1_47radix_sort_onesweep_sort_config_static_selectorELNS0_4arch9wavefront6targetE0EEEvSH_.has_recursion, 0
	.set _ZN7rocprim17ROCPRIM_400000_NS6detail17trampoline_kernelINS0_14default_configENS1_35radix_sort_onesweep_config_selectorI12hip_bfloat16NS0_10empty_typeEEEZZNS1_29radix_sort_onesweep_iterationIS3_Lb1EPKS5_PS5_PS6_SC_mNS0_19identity_decomposerENS1_16block_id_wrapperIjLb0EEEEE10hipError_tT1_PNSt15iterator_traitsISH_E10value_typeET2_T3_PNSI_ISN_E10value_typeET4_T5_PSS_ST_PNS1_23onesweep_lookback_stateEbbT6_jjT7_P12ihipStream_tbENKUlT_T0_SH_SM_E_clISA_SB_SC_SC_EEDaS10_S11_SH_SM_EUlS10_E_NS1_11comp_targetILNS1_3genE10ELNS1_11target_archE1201ELNS1_3gpuE5ELNS1_3repE0EEENS1_47radix_sort_onesweep_sort_config_static_selectorELNS0_4arch9wavefront6targetE0EEEvSH_.has_indirect_call, 0
	.section	.AMDGPU.csdata,"",@progbits
; Kernel info:
; codeLenInByte = 0
; TotalNumSgprs: 0
; NumVgprs: 0
; ScratchSize: 0
; MemoryBound: 0
; FloatMode: 240
; IeeeMode: 1
; LDSByteSize: 0 bytes/workgroup (compile time only)
; SGPRBlocks: 0
; VGPRBlocks: 0
; NumSGPRsForWavesPerEU: 1
; NumVGPRsForWavesPerEU: 1
; NamedBarCnt: 0
; Occupancy: 16
; WaveLimiterHint : 0
; COMPUTE_PGM_RSRC2:SCRATCH_EN: 0
; COMPUTE_PGM_RSRC2:USER_SGPR: 2
; COMPUTE_PGM_RSRC2:TRAP_HANDLER: 0
; COMPUTE_PGM_RSRC2:TGID_X_EN: 1
; COMPUTE_PGM_RSRC2:TGID_Y_EN: 0
; COMPUTE_PGM_RSRC2:TGID_Z_EN: 0
; COMPUTE_PGM_RSRC2:TIDIG_COMP_CNT: 0
	.section	.text._ZN7rocprim17ROCPRIM_400000_NS6detail17trampoline_kernelINS0_14default_configENS1_35radix_sort_onesweep_config_selectorI12hip_bfloat16NS0_10empty_typeEEEZZNS1_29radix_sort_onesweep_iterationIS3_Lb1EPKS5_PS5_PS6_SC_mNS0_19identity_decomposerENS1_16block_id_wrapperIjLb0EEEEE10hipError_tT1_PNSt15iterator_traitsISH_E10value_typeET2_T3_PNSI_ISN_E10value_typeET4_T5_PSS_ST_PNS1_23onesweep_lookback_stateEbbT6_jjT7_P12ihipStream_tbENKUlT_T0_SH_SM_E_clISA_SB_SC_SC_EEDaS10_S11_SH_SM_EUlS10_E_NS1_11comp_targetILNS1_3genE9ELNS1_11target_archE1100ELNS1_3gpuE3ELNS1_3repE0EEENS1_47radix_sort_onesweep_sort_config_static_selectorELNS0_4arch9wavefront6targetE0EEEvSH_,"axG",@progbits,_ZN7rocprim17ROCPRIM_400000_NS6detail17trampoline_kernelINS0_14default_configENS1_35radix_sort_onesweep_config_selectorI12hip_bfloat16NS0_10empty_typeEEEZZNS1_29radix_sort_onesweep_iterationIS3_Lb1EPKS5_PS5_PS6_SC_mNS0_19identity_decomposerENS1_16block_id_wrapperIjLb0EEEEE10hipError_tT1_PNSt15iterator_traitsISH_E10value_typeET2_T3_PNSI_ISN_E10value_typeET4_T5_PSS_ST_PNS1_23onesweep_lookback_stateEbbT6_jjT7_P12ihipStream_tbENKUlT_T0_SH_SM_E_clISA_SB_SC_SC_EEDaS10_S11_SH_SM_EUlS10_E_NS1_11comp_targetILNS1_3genE9ELNS1_11target_archE1100ELNS1_3gpuE3ELNS1_3repE0EEENS1_47radix_sort_onesweep_sort_config_static_selectorELNS0_4arch9wavefront6targetE0EEEvSH_,comdat
	.protected	_ZN7rocprim17ROCPRIM_400000_NS6detail17trampoline_kernelINS0_14default_configENS1_35radix_sort_onesweep_config_selectorI12hip_bfloat16NS0_10empty_typeEEEZZNS1_29radix_sort_onesweep_iterationIS3_Lb1EPKS5_PS5_PS6_SC_mNS0_19identity_decomposerENS1_16block_id_wrapperIjLb0EEEEE10hipError_tT1_PNSt15iterator_traitsISH_E10value_typeET2_T3_PNSI_ISN_E10value_typeET4_T5_PSS_ST_PNS1_23onesweep_lookback_stateEbbT6_jjT7_P12ihipStream_tbENKUlT_T0_SH_SM_E_clISA_SB_SC_SC_EEDaS10_S11_SH_SM_EUlS10_E_NS1_11comp_targetILNS1_3genE9ELNS1_11target_archE1100ELNS1_3gpuE3ELNS1_3repE0EEENS1_47radix_sort_onesweep_sort_config_static_selectorELNS0_4arch9wavefront6targetE0EEEvSH_ ; -- Begin function _ZN7rocprim17ROCPRIM_400000_NS6detail17trampoline_kernelINS0_14default_configENS1_35radix_sort_onesweep_config_selectorI12hip_bfloat16NS0_10empty_typeEEEZZNS1_29radix_sort_onesweep_iterationIS3_Lb1EPKS5_PS5_PS6_SC_mNS0_19identity_decomposerENS1_16block_id_wrapperIjLb0EEEEE10hipError_tT1_PNSt15iterator_traitsISH_E10value_typeET2_T3_PNSI_ISN_E10value_typeET4_T5_PSS_ST_PNS1_23onesweep_lookback_stateEbbT6_jjT7_P12ihipStream_tbENKUlT_T0_SH_SM_E_clISA_SB_SC_SC_EEDaS10_S11_SH_SM_EUlS10_E_NS1_11comp_targetILNS1_3genE9ELNS1_11target_archE1100ELNS1_3gpuE3ELNS1_3repE0EEENS1_47radix_sort_onesweep_sort_config_static_selectorELNS0_4arch9wavefront6targetE0EEEvSH_
	.globl	_ZN7rocprim17ROCPRIM_400000_NS6detail17trampoline_kernelINS0_14default_configENS1_35radix_sort_onesweep_config_selectorI12hip_bfloat16NS0_10empty_typeEEEZZNS1_29radix_sort_onesweep_iterationIS3_Lb1EPKS5_PS5_PS6_SC_mNS0_19identity_decomposerENS1_16block_id_wrapperIjLb0EEEEE10hipError_tT1_PNSt15iterator_traitsISH_E10value_typeET2_T3_PNSI_ISN_E10value_typeET4_T5_PSS_ST_PNS1_23onesweep_lookback_stateEbbT6_jjT7_P12ihipStream_tbENKUlT_T0_SH_SM_E_clISA_SB_SC_SC_EEDaS10_S11_SH_SM_EUlS10_E_NS1_11comp_targetILNS1_3genE9ELNS1_11target_archE1100ELNS1_3gpuE3ELNS1_3repE0EEENS1_47radix_sort_onesweep_sort_config_static_selectorELNS0_4arch9wavefront6targetE0EEEvSH_
	.p2align	8
	.type	_ZN7rocprim17ROCPRIM_400000_NS6detail17trampoline_kernelINS0_14default_configENS1_35radix_sort_onesweep_config_selectorI12hip_bfloat16NS0_10empty_typeEEEZZNS1_29radix_sort_onesweep_iterationIS3_Lb1EPKS5_PS5_PS6_SC_mNS0_19identity_decomposerENS1_16block_id_wrapperIjLb0EEEEE10hipError_tT1_PNSt15iterator_traitsISH_E10value_typeET2_T3_PNSI_ISN_E10value_typeET4_T5_PSS_ST_PNS1_23onesweep_lookback_stateEbbT6_jjT7_P12ihipStream_tbENKUlT_T0_SH_SM_E_clISA_SB_SC_SC_EEDaS10_S11_SH_SM_EUlS10_E_NS1_11comp_targetILNS1_3genE9ELNS1_11target_archE1100ELNS1_3gpuE3ELNS1_3repE0EEENS1_47radix_sort_onesweep_sort_config_static_selectorELNS0_4arch9wavefront6targetE0EEEvSH_,@function
_ZN7rocprim17ROCPRIM_400000_NS6detail17trampoline_kernelINS0_14default_configENS1_35radix_sort_onesweep_config_selectorI12hip_bfloat16NS0_10empty_typeEEEZZNS1_29radix_sort_onesweep_iterationIS3_Lb1EPKS5_PS5_PS6_SC_mNS0_19identity_decomposerENS1_16block_id_wrapperIjLb0EEEEE10hipError_tT1_PNSt15iterator_traitsISH_E10value_typeET2_T3_PNSI_ISN_E10value_typeET4_T5_PSS_ST_PNS1_23onesweep_lookback_stateEbbT6_jjT7_P12ihipStream_tbENKUlT_T0_SH_SM_E_clISA_SB_SC_SC_EEDaS10_S11_SH_SM_EUlS10_E_NS1_11comp_targetILNS1_3genE9ELNS1_11target_archE1100ELNS1_3gpuE3ELNS1_3repE0EEENS1_47radix_sort_onesweep_sort_config_static_selectorELNS0_4arch9wavefront6targetE0EEEvSH_: ; @_ZN7rocprim17ROCPRIM_400000_NS6detail17trampoline_kernelINS0_14default_configENS1_35radix_sort_onesweep_config_selectorI12hip_bfloat16NS0_10empty_typeEEEZZNS1_29radix_sort_onesweep_iterationIS3_Lb1EPKS5_PS5_PS6_SC_mNS0_19identity_decomposerENS1_16block_id_wrapperIjLb0EEEEE10hipError_tT1_PNSt15iterator_traitsISH_E10value_typeET2_T3_PNSI_ISN_E10value_typeET4_T5_PSS_ST_PNS1_23onesweep_lookback_stateEbbT6_jjT7_P12ihipStream_tbENKUlT_T0_SH_SM_E_clISA_SB_SC_SC_EEDaS10_S11_SH_SM_EUlS10_E_NS1_11comp_targetILNS1_3genE9ELNS1_11target_archE1100ELNS1_3gpuE3ELNS1_3repE0EEENS1_47radix_sort_onesweep_sort_config_static_selectorELNS0_4arch9wavefront6targetE0EEEvSH_
; %bb.0:
	.section	.rodata,"a",@progbits
	.p2align	6, 0x0
	.amdhsa_kernel _ZN7rocprim17ROCPRIM_400000_NS6detail17trampoline_kernelINS0_14default_configENS1_35radix_sort_onesweep_config_selectorI12hip_bfloat16NS0_10empty_typeEEEZZNS1_29radix_sort_onesweep_iterationIS3_Lb1EPKS5_PS5_PS6_SC_mNS0_19identity_decomposerENS1_16block_id_wrapperIjLb0EEEEE10hipError_tT1_PNSt15iterator_traitsISH_E10value_typeET2_T3_PNSI_ISN_E10value_typeET4_T5_PSS_ST_PNS1_23onesweep_lookback_stateEbbT6_jjT7_P12ihipStream_tbENKUlT_T0_SH_SM_E_clISA_SB_SC_SC_EEDaS10_S11_SH_SM_EUlS10_E_NS1_11comp_targetILNS1_3genE9ELNS1_11target_archE1100ELNS1_3gpuE3ELNS1_3repE0EEENS1_47radix_sort_onesweep_sort_config_static_selectorELNS0_4arch9wavefront6targetE0EEEvSH_
		.amdhsa_group_segment_fixed_size 0
		.amdhsa_private_segment_fixed_size 0
		.amdhsa_kernarg_size 88
		.amdhsa_user_sgpr_count 2
		.amdhsa_user_sgpr_dispatch_ptr 0
		.amdhsa_user_sgpr_queue_ptr 0
		.amdhsa_user_sgpr_kernarg_segment_ptr 1
		.amdhsa_user_sgpr_dispatch_id 0
		.amdhsa_user_sgpr_kernarg_preload_length 0
		.amdhsa_user_sgpr_kernarg_preload_offset 0
		.amdhsa_user_sgpr_private_segment_size 0
		.amdhsa_wavefront_size32 1
		.amdhsa_uses_dynamic_stack 0
		.amdhsa_enable_private_segment 0
		.amdhsa_system_sgpr_workgroup_id_x 1
		.amdhsa_system_sgpr_workgroup_id_y 0
		.amdhsa_system_sgpr_workgroup_id_z 0
		.amdhsa_system_sgpr_workgroup_info 0
		.amdhsa_system_vgpr_workitem_id 0
		.amdhsa_next_free_vgpr 1
		.amdhsa_next_free_sgpr 1
		.amdhsa_named_barrier_count 0
		.amdhsa_reserve_vcc 0
		.amdhsa_float_round_mode_32 0
		.amdhsa_float_round_mode_16_64 0
		.amdhsa_float_denorm_mode_32 3
		.amdhsa_float_denorm_mode_16_64 3
		.amdhsa_fp16_overflow 0
		.amdhsa_memory_ordered 1
		.amdhsa_forward_progress 1
		.amdhsa_inst_pref_size 0
		.amdhsa_round_robin_scheduling 0
		.amdhsa_exception_fp_ieee_invalid_op 0
		.amdhsa_exception_fp_denorm_src 0
		.amdhsa_exception_fp_ieee_div_zero 0
		.amdhsa_exception_fp_ieee_overflow 0
		.amdhsa_exception_fp_ieee_underflow 0
		.amdhsa_exception_fp_ieee_inexact 0
		.amdhsa_exception_int_div_zero 0
	.end_amdhsa_kernel
	.section	.text._ZN7rocprim17ROCPRIM_400000_NS6detail17trampoline_kernelINS0_14default_configENS1_35radix_sort_onesweep_config_selectorI12hip_bfloat16NS0_10empty_typeEEEZZNS1_29radix_sort_onesweep_iterationIS3_Lb1EPKS5_PS5_PS6_SC_mNS0_19identity_decomposerENS1_16block_id_wrapperIjLb0EEEEE10hipError_tT1_PNSt15iterator_traitsISH_E10value_typeET2_T3_PNSI_ISN_E10value_typeET4_T5_PSS_ST_PNS1_23onesweep_lookback_stateEbbT6_jjT7_P12ihipStream_tbENKUlT_T0_SH_SM_E_clISA_SB_SC_SC_EEDaS10_S11_SH_SM_EUlS10_E_NS1_11comp_targetILNS1_3genE9ELNS1_11target_archE1100ELNS1_3gpuE3ELNS1_3repE0EEENS1_47radix_sort_onesweep_sort_config_static_selectorELNS0_4arch9wavefront6targetE0EEEvSH_,"axG",@progbits,_ZN7rocprim17ROCPRIM_400000_NS6detail17trampoline_kernelINS0_14default_configENS1_35radix_sort_onesweep_config_selectorI12hip_bfloat16NS0_10empty_typeEEEZZNS1_29radix_sort_onesweep_iterationIS3_Lb1EPKS5_PS5_PS6_SC_mNS0_19identity_decomposerENS1_16block_id_wrapperIjLb0EEEEE10hipError_tT1_PNSt15iterator_traitsISH_E10value_typeET2_T3_PNSI_ISN_E10value_typeET4_T5_PSS_ST_PNS1_23onesweep_lookback_stateEbbT6_jjT7_P12ihipStream_tbENKUlT_T0_SH_SM_E_clISA_SB_SC_SC_EEDaS10_S11_SH_SM_EUlS10_E_NS1_11comp_targetILNS1_3genE9ELNS1_11target_archE1100ELNS1_3gpuE3ELNS1_3repE0EEENS1_47radix_sort_onesweep_sort_config_static_selectorELNS0_4arch9wavefront6targetE0EEEvSH_,comdat
.Lfunc_end1989:
	.size	_ZN7rocprim17ROCPRIM_400000_NS6detail17trampoline_kernelINS0_14default_configENS1_35radix_sort_onesweep_config_selectorI12hip_bfloat16NS0_10empty_typeEEEZZNS1_29radix_sort_onesweep_iterationIS3_Lb1EPKS5_PS5_PS6_SC_mNS0_19identity_decomposerENS1_16block_id_wrapperIjLb0EEEEE10hipError_tT1_PNSt15iterator_traitsISH_E10value_typeET2_T3_PNSI_ISN_E10value_typeET4_T5_PSS_ST_PNS1_23onesweep_lookback_stateEbbT6_jjT7_P12ihipStream_tbENKUlT_T0_SH_SM_E_clISA_SB_SC_SC_EEDaS10_S11_SH_SM_EUlS10_E_NS1_11comp_targetILNS1_3genE9ELNS1_11target_archE1100ELNS1_3gpuE3ELNS1_3repE0EEENS1_47radix_sort_onesweep_sort_config_static_selectorELNS0_4arch9wavefront6targetE0EEEvSH_, .Lfunc_end1989-_ZN7rocprim17ROCPRIM_400000_NS6detail17trampoline_kernelINS0_14default_configENS1_35radix_sort_onesweep_config_selectorI12hip_bfloat16NS0_10empty_typeEEEZZNS1_29radix_sort_onesweep_iterationIS3_Lb1EPKS5_PS5_PS6_SC_mNS0_19identity_decomposerENS1_16block_id_wrapperIjLb0EEEEE10hipError_tT1_PNSt15iterator_traitsISH_E10value_typeET2_T3_PNSI_ISN_E10value_typeET4_T5_PSS_ST_PNS1_23onesweep_lookback_stateEbbT6_jjT7_P12ihipStream_tbENKUlT_T0_SH_SM_E_clISA_SB_SC_SC_EEDaS10_S11_SH_SM_EUlS10_E_NS1_11comp_targetILNS1_3genE9ELNS1_11target_archE1100ELNS1_3gpuE3ELNS1_3repE0EEENS1_47radix_sort_onesweep_sort_config_static_selectorELNS0_4arch9wavefront6targetE0EEEvSH_
                                        ; -- End function
	.set _ZN7rocprim17ROCPRIM_400000_NS6detail17trampoline_kernelINS0_14default_configENS1_35radix_sort_onesweep_config_selectorI12hip_bfloat16NS0_10empty_typeEEEZZNS1_29radix_sort_onesweep_iterationIS3_Lb1EPKS5_PS5_PS6_SC_mNS0_19identity_decomposerENS1_16block_id_wrapperIjLb0EEEEE10hipError_tT1_PNSt15iterator_traitsISH_E10value_typeET2_T3_PNSI_ISN_E10value_typeET4_T5_PSS_ST_PNS1_23onesweep_lookback_stateEbbT6_jjT7_P12ihipStream_tbENKUlT_T0_SH_SM_E_clISA_SB_SC_SC_EEDaS10_S11_SH_SM_EUlS10_E_NS1_11comp_targetILNS1_3genE9ELNS1_11target_archE1100ELNS1_3gpuE3ELNS1_3repE0EEENS1_47radix_sort_onesweep_sort_config_static_selectorELNS0_4arch9wavefront6targetE0EEEvSH_.num_vgpr, 0
	.set _ZN7rocprim17ROCPRIM_400000_NS6detail17trampoline_kernelINS0_14default_configENS1_35radix_sort_onesweep_config_selectorI12hip_bfloat16NS0_10empty_typeEEEZZNS1_29radix_sort_onesweep_iterationIS3_Lb1EPKS5_PS5_PS6_SC_mNS0_19identity_decomposerENS1_16block_id_wrapperIjLb0EEEEE10hipError_tT1_PNSt15iterator_traitsISH_E10value_typeET2_T3_PNSI_ISN_E10value_typeET4_T5_PSS_ST_PNS1_23onesweep_lookback_stateEbbT6_jjT7_P12ihipStream_tbENKUlT_T0_SH_SM_E_clISA_SB_SC_SC_EEDaS10_S11_SH_SM_EUlS10_E_NS1_11comp_targetILNS1_3genE9ELNS1_11target_archE1100ELNS1_3gpuE3ELNS1_3repE0EEENS1_47radix_sort_onesweep_sort_config_static_selectorELNS0_4arch9wavefront6targetE0EEEvSH_.num_agpr, 0
	.set _ZN7rocprim17ROCPRIM_400000_NS6detail17trampoline_kernelINS0_14default_configENS1_35radix_sort_onesweep_config_selectorI12hip_bfloat16NS0_10empty_typeEEEZZNS1_29radix_sort_onesweep_iterationIS3_Lb1EPKS5_PS5_PS6_SC_mNS0_19identity_decomposerENS1_16block_id_wrapperIjLb0EEEEE10hipError_tT1_PNSt15iterator_traitsISH_E10value_typeET2_T3_PNSI_ISN_E10value_typeET4_T5_PSS_ST_PNS1_23onesweep_lookback_stateEbbT6_jjT7_P12ihipStream_tbENKUlT_T0_SH_SM_E_clISA_SB_SC_SC_EEDaS10_S11_SH_SM_EUlS10_E_NS1_11comp_targetILNS1_3genE9ELNS1_11target_archE1100ELNS1_3gpuE3ELNS1_3repE0EEENS1_47radix_sort_onesweep_sort_config_static_selectorELNS0_4arch9wavefront6targetE0EEEvSH_.numbered_sgpr, 0
	.set _ZN7rocprim17ROCPRIM_400000_NS6detail17trampoline_kernelINS0_14default_configENS1_35radix_sort_onesweep_config_selectorI12hip_bfloat16NS0_10empty_typeEEEZZNS1_29radix_sort_onesweep_iterationIS3_Lb1EPKS5_PS5_PS6_SC_mNS0_19identity_decomposerENS1_16block_id_wrapperIjLb0EEEEE10hipError_tT1_PNSt15iterator_traitsISH_E10value_typeET2_T3_PNSI_ISN_E10value_typeET4_T5_PSS_ST_PNS1_23onesweep_lookback_stateEbbT6_jjT7_P12ihipStream_tbENKUlT_T0_SH_SM_E_clISA_SB_SC_SC_EEDaS10_S11_SH_SM_EUlS10_E_NS1_11comp_targetILNS1_3genE9ELNS1_11target_archE1100ELNS1_3gpuE3ELNS1_3repE0EEENS1_47radix_sort_onesweep_sort_config_static_selectorELNS0_4arch9wavefront6targetE0EEEvSH_.num_named_barrier, 0
	.set _ZN7rocprim17ROCPRIM_400000_NS6detail17trampoline_kernelINS0_14default_configENS1_35radix_sort_onesweep_config_selectorI12hip_bfloat16NS0_10empty_typeEEEZZNS1_29radix_sort_onesweep_iterationIS3_Lb1EPKS5_PS5_PS6_SC_mNS0_19identity_decomposerENS1_16block_id_wrapperIjLb0EEEEE10hipError_tT1_PNSt15iterator_traitsISH_E10value_typeET2_T3_PNSI_ISN_E10value_typeET4_T5_PSS_ST_PNS1_23onesweep_lookback_stateEbbT6_jjT7_P12ihipStream_tbENKUlT_T0_SH_SM_E_clISA_SB_SC_SC_EEDaS10_S11_SH_SM_EUlS10_E_NS1_11comp_targetILNS1_3genE9ELNS1_11target_archE1100ELNS1_3gpuE3ELNS1_3repE0EEENS1_47radix_sort_onesweep_sort_config_static_selectorELNS0_4arch9wavefront6targetE0EEEvSH_.private_seg_size, 0
	.set _ZN7rocprim17ROCPRIM_400000_NS6detail17trampoline_kernelINS0_14default_configENS1_35radix_sort_onesweep_config_selectorI12hip_bfloat16NS0_10empty_typeEEEZZNS1_29radix_sort_onesweep_iterationIS3_Lb1EPKS5_PS5_PS6_SC_mNS0_19identity_decomposerENS1_16block_id_wrapperIjLb0EEEEE10hipError_tT1_PNSt15iterator_traitsISH_E10value_typeET2_T3_PNSI_ISN_E10value_typeET4_T5_PSS_ST_PNS1_23onesweep_lookback_stateEbbT6_jjT7_P12ihipStream_tbENKUlT_T0_SH_SM_E_clISA_SB_SC_SC_EEDaS10_S11_SH_SM_EUlS10_E_NS1_11comp_targetILNS1_3genE9ELNS1_11target_archE1100ELNS1_3gpuE3ELNS1_3repE0EEENS1_47radix_sort_onesweep_sort_config_static_selectorELNS0_4arch9wavefront6targetE0EEEvSH_.uses_vcc, 0
	.set _ZN7rocprim17ROCPRIM_400000_NS6detail17trampoline_kernelINS0_14default_configENS1_35radix_sort_onesweep_config_selectorI12hip_bfloat16NS0_10empty_typeEEEZZNS1_29radix_sort_onesweep_iterationIS3_Lb1EPKS5_PS5_PS6_SC_mNS0_19identity_decomposerENS1_16block_id_wrapperIjLb0EEEEE10hipError_tT1_PNSt15iterator_traitsISH_E10value_typeET2_T3_PNSI_ISN_E10value_typeET4_T5_PSS_ST_PNS1_23onesweep_lookback_stateEbbT6_jjT7_P12ihipStream_tbENKUlT_T0_SH_SM_E_clISA_SB_SC_SC_EEDaS10_S11_SH_SM_EUlS10_E_NS1_11comp_targetILNS1_3genE9ELNS1_11target_archE1100ELNS1_3gpuE3ELNS1_3repE0EEENS1_47radix_sort_onesweep_sort_config_static_selectorELNS0_4arch9wavefront6targetE0EEEvSH_.uses_flat_scratch, 0
	.set _ZN7rocprim17ROCPRIM_400000_NS6detail17trampoline_kernelINS0_14default_configENS1_35radix_sort_onesweep_config_selectorI12hip_bfloat16NS0_10empty_typeEEEZZNS1_29radix_sort_onesweep_iterationIS3_Lb1EPKS5_PS5_PS6_SC_mNS0_19identity_decomposerENS1_16block_id_wrapperIjLb0EEEEE10hipError_tT1_PNSt15iterator_traitsISH_E10value_typeET2_T3_PNSI_ISN_E10value_typeET4_T5_PSS_ST_PNS1_23onesweep_lookback_stateEbbT6_jjT7_P12ihipStream_tbENKUlT_T0_SH_SM_E_clISA_SB_SC_SC_EEDaS10_S11_SH_SM_EUlS10_E_NS1_11comp_targetILNS1_3genE9ELNS1_11target_archE1100ELNS1_3gpuE3ELNS1_3repE0EEENS1_47radix_sort_onesweep_sort_config_static_selectorELNS0_4arch9wavefront6targetE0EEEvSH_.has_dyn_sized_stack, 0
	.set _ZN7rocprim17ROCPRIM_400000_NS6detail17trampoline_kernelINS0_14default_configENS1_35radix_sort_onesweep_config_selectorI12hip_bfloat16NS0_10empty_typeEEEZZNS1_29radix_sort_onesweep_iterationIS3_Lb1EPKS5_PS5_PS6_SC_mNS0_19identity_decomposerENS1_16block_id_wrapperIjLb0EEEEE10hipError_tT1_PNSt15iterator_traitsISH_E10value_typeET2_T3_PNSI_ISN_E10value_typeET4_T5_PSS_ST_PNS1_23onesweep_lookback_stateEbbT6_jjT7_P12ihipStream_tbENKUlT_T0_SH_SM_E_clISA_SB_SC_SC_EEDaS10_S11_SH_SM_EUlS10_E_NS1_11comp_targetILNS1_3genE9ELNS1_11target_archE1100ELNS1_3gpuE3ELNS1_3repE0EEENS1_47radix_sort_onesweep_sort_config_static_selectorELNS0_4arch9wavefront6targetE0EEEvSH_.has_recursion, 0
	.set _ZN7rocprim17ROCPRIM_400000_NS6detail17trampoline_kernelINS0_14default_configENS1_35radix_sort_onesweep_config_selectorI12hip_bfloat16NS0_10empty_typeEEEZZNS1_29radix_sort_onesweep_iterationIS3_Lb1EPKS5_PS5_PS6_SC_mNS0_19identity_decomposerENS1_16block_id_wrapperIjLb0EEEEE10hipError_tT1_PNSt15iterator_traitsISH_E10value_typeET2_T3_PNSI_ISN_E10value_typeET4_T5_PSS_ST_PNS1_23onesweep_lookback_stateEbbT6_jjT7_P12ihipStream_tbENKUlT_T0_SH_SM_E_clISA_SB_SC_SC_EEDaS10_S11_SH_SM_EUlS10_E_NS1_11comp_targetILNS1_3genE9ELNS1_11target_archE1100ELNS1_3gpuE3ELNS1_3repE0EEENS1_47radix_sort_onesweep_sort_config_static_selectorELNS0_4arch9wavefront6targetE0EEEvSH_.has_indirect_call, 0
	.section	.AMDGPU.csdata,"",@progbits
; Kernel info:
; codeLenInByte = 0
; TotalNumSgprs: 0
; NumVgprs: 0
; ScratchSize: 0
; MemoryBound: 0
; FloatMode: 240
; IeeeMode: 1
; LDSByteSize: 0 bytes/workgroup (compile time only)
; SGPRBlocks: 0
; VGPRBlocks: 0
; NumSGPRsForWavesPerEU: 1
; NumVGPRsForWavesPerEU: 1
; NamedBarCnt: 0
; Occupancy: 16
; WaveLimiterHint : 0
; COMPUTE_PGM_RSRC2:SCRATCH_EN: 0
; COMPUTE_PGM_RSRC2:USER_SGPR: 2
; COMPUTE_PGM_RSRC2:TRAP_HANDLER: 0
; COMPUTE_PGM_RSRC2:TGID_X_EN: 1
; COMPUTE_PGM_RSRC2:TGID_Y_EN: 0
; COMPUTE_PGM_RSRC2:TGID_Z_EN: 0
; COMPUTE_PGM_RSRC2:TIDIG_COMP_CNT: 0
	.section	.text._ZN7rocprim17ROCPRIM_400000_NS6detail17trampoline_kernelINS0_14default_configENS1_35radix_sort_onesweep_config_selectorI12hip_bfloat16NS0_10empty_typeEEEZZNS1_29radix_sort_onesweep_iterationIS3_Lb1EPKS5_PS5_PS6_SC_mNS0_19identity_decomposerENS1_16block_id_wrapperIjLb0EEEEE10hipError_tT1_PNSt15iterator_traitsISH_E10value_typeET2_T3_PNSI_ISN_E10value_typeET4_T5_PSS_ST_PNS1_23onesweep_lookback_stateEbbT6_jjT7_P12ihipStream_tbENKUlT_T0_SH_SM_E_clISA_SB_SC_SC_EEDaS10_S11_SH_SM_EUlS10_E_NS1_11comp_targetILNS1_3genE8ELNS1_11target_archE1030ELNS1_3gpuE2ELNS1_3repE0EEENS1_47radix_sort_onesweep_sort_config_static_selectorELNS0_4arch9wavefront6targetE0EEEvSH_,"axG",@progbits,_ZN7rocprim17ROCPRIM_400000_NS6detail17trampoline_kernelINS0_14default_configENS1_35radix_sort_onesweep_config_selectorI12hip_bfloat16NS0_10empty_typeEEEZZNS1_29radix_sort_onesweep_iterationIS3_Lb1EPKS5_PS5_PS6_SC_mNS0_19identity_decomposerENS1_16block_id_wrapperIjLb0EEEEE10hipError_tT1_PNSt15iterator_traitsISH_E10value_typeET2_T3_PNSI_ISN_E10value_typeET4_T5_PSS_ST_PNS1_23onesweep_lookback_stateEbbT6_jjT7_P12ihipStream_tbENKUlT_T0_SH_SM_E_clISA_SB_SC_SC_EEDaS10_S11_SH_SM_EUlS10_E_NS1_11comp_targetILNS1_3genE8ELNS1_11target_archE1030ELNS1_3gpuE2ELNS1_3repE0EEENS1_47radix_sort_onesweep_sort_config_static_selectorELNS0_4arch9wavefront6targetE0EEEvSH_,comdat
	.protected	_ZN7rocprim17ROCPRIM_400000_NS6detail17trampoline_kernelINS0_14default_configENS1_35radix_sort_onesweep_config_selectorI12hip_bfloat16NS0_10empty_typeEEEZZNS1_29radix_sort_onesweep_iterationIS3_Lb1EPKS5_PS5_PS6_SC_mNS0_19identity_decomposerENS1_16block_id_wrapperIjLb0EEEEE10hipError_tT1_PNSt15iterator_traitsISH_E10value_typeET2_T3_PNSI_ISN_E10value_typeET4_T5_PSS_ST_PNS1_23onesweep_lookback_stateEbbT6_jjT7_P12ihipStream_tbENKUlT_T0_SH_SM_E_clISA_SB_SC_SC_EEDaS10_S11_SH_SM_EUlS10_E_NS1_11comp_targetILNS1_3genE8ELNS1_11target_archE1030ELNS1_3gpuE2ELNS1_3repE0EEENS1_47radix_sort_onesweep_sort_config_static_selectorELNS0_4arch9wavefront6targetE0EEEvSH_ ; -- Begin function _ZN7rocprim17ROCPRIM_400000_NS6detail17trampoline_kernelINS0_14default_configENS1_35radix_sort_onesweep_config_selectorI12hip_bfloat16NS0_10empty_typeEEEZZNS1_29radix_sort_onesweep_iterationIS3_Lb1EPKS5_PS5_PS6_SC_mNS0_19identity_decomposerENS1_16block_id_wrapperIjLb0EEEEE10hipError_tT1_PNSt15iterator_traitsISH_E10value_typeET2_T3_PNSI_ISN_E10value_typeET4_T5_PSS_ST_PNS1_23onesweep_lookback_stateEbbT6_jjT7_P12ihipStream_tbENKUlT_T0_SH_SM_E_clISA_SB_SC_SC_EEDaS10_S11_SH_SM_EUlS10_E_NS1_11comp_targetILNS1_3genE8ELNS1_11target_archE1030ELNS1_3gpuE2ELNS1_3repE0EEENS1_47radix_sort_onesweep_sort_config_static_selectorELNS0_4arch9wavefront6targetE0EEEvSH_
	.globl	_ZN7rocprim17ROCPRIM_400000_NS6detail17trampoline_kernelINS0_14default_configENS1_35radix_sort_onesweep_config_selectorI12hip_bfloat16NS0_10empty_typeEEEZZNS1_29radix_sort_onesweep_iterationIS3_Lb1EPKS5_PS5_PS6_SC_mNS0_19identity_decomposerENS1_16block_id_wrapperIjLb0EEEEE10hipError_tT1_PNSt15iterator_traitsISH_E10value_typeET2_T3_PNSI_ISN_E10value_typeET4_T5_PSS_ST_PNS1_23onesweep_lookback_stateEbbT6_jjT7_P12ihipStream_tbENKUlT_T0_SH_SM_E_clISA_SB_SC_SC_EEDaS10_S11_SH_SM_EUlS10_E_NS1_11comp_targetILNS1_3genE8ELNS1_11target_archE1030ELNS1_3gpuE2ELNS1_3repE0EEENS1_47radix_sort_onesweep_sort_config_static_selectorELNS0_4arch9wavefront6targetE0EEEvSH_
	.p2align	8
	.type	_ZN7rocprim17ROCPRIM_400000_NS6detail17trampoline_kernelINS0_14default_configENS1_35radix_sort_onesweep_config_selectorI12hip_bfloat16NS0_10empty_typeEEEZZNS1_29radix_sort_onesweep_iterationIS3_Lb1EPKS5_PS5_PS6_SC_mNS0_19identity_decomposerENS1_16block_id_wrapperIjLb0EEEEE10hipError_tT1_PNSt15iterator_traitsISH_E10value_typeET2_T3_PNSI_ISN_E10value_typeET4_T5_PSS_ST_PNS1_23onesweep_lookback_stateEbbT6_jjT7_P12ihipStream_tbENKUlT_T0_SH_SM_E_clISA_SB_SC_SC_EEDaS10_S11_SH_SM_EUlS10_E_NS1_11comp_targetILNS1_3genE8ELNS1_11target_archE1030ELNS1_3gpuE2ELNS1_3repE0EEENS1_47radix_sort_onesweep_sort_config_static_selectorELNS0_4arch9wavefront6targetE0EEEvSH_,@function
_ZN7rocprim17ROCPRIM_400000_NS6detail17trampoline_kernelINS0_14default_configENS1_35radix_sort_onesweep_config_selectorI12hip_bfloat16NS0_10empty_typeEEEZZNS1_29radix_sort_onesweep_iterationIS3_Lb1EPKS5_PS5_PS6_SC_mNS0_19identity_decomposerENS1_16block_id_wrapperIjLb0EEEEE10hipError_tT1_PNSt15iterator_traitsISH_E10value_typeET2_T3_PNSI_ISN_E10value_typeET4_T5_PSS_ST_PNS1_23onesweep_lookback_stateEbbT6_jjT7_P12ihipStream_tbENKUlT_T0_SH_SM_E_clISA_SB_SC_SC_EEDaS10_S11_SH_SM_EUlS10_E_NS1_11comp_targetILNS1_3genE8ELNS1_11target_archE1030ELNS1_3gpuE2ELNS1_3repE0EEENS1_47radix_sort_onesweep_sort_config_static_selectorELNS0_4arch9wavefront6targetE0EEEvSH_: ; @_ZN7rocprim17ROCPRIM_400000_NS6detail17trampoline_kernelINS0_14default_configENS1_35radix_sort_onesweep_config_selectorI12hip_bfloat16NS0_10empty_typeEEEZZNS1_29radix_sort_onesweep_iterationIS3_Lb1EPKS5_PS5_PS6_SC_mNS0_19identity_decomposerENS1_16block_id_wrapperIjLb0EEEEE10hipError_tT1_PNSt15iterator_traitsISH_E10value_typeET2_T3_PNSI_ISN_E10value_typeET4_T5_PSS_ST_PNS1_23onesweep_lookback_stateEbbT6_jjT7_P12ihipStream_tbENKUlT_T0_SH_SM_E_clISA_SB_SC_SC_EEDaS10_S11_SH_SM_EUlS10_E_NS1_11comp_targetILNS1_3genE8ELNS1_11target_archE1030ELNS1_3gpuE2ELNS1_3repE0EEENS1_47radix_sort_onesweep_sort_config_static_selectorELNS0_4arch9wavefront6targetE0EEEvSH_
; %bb.0:
	.section	.rodata,"a",@progbits
	.p2align	6, 0x0
	.amdhsa_kernel _ZN7rocprim17ROCPRIM_400000_NS6detail17trampoline_kernelINS0_14default_configENS1_35radix_sort_onesweep_config_selectorI12hip_bfloat16NS0_10empty_typeEEEZZNS1_29radix_sort_onesweep_iterationIS3_Lb1EPKS5_PS5_PS6_SC_mNS0_19identity_decomposerENS1_16block_id_wrapperIjLb0EEEEE10hipError_tT1_PNSt15iterator_traitsISH_E10value_typeET2_T3_PNSI_ISN_E10value_typeET4_T5_PSS_ST_PNS1_23onesweep_lookback_stateEbbT6_jjT7_P12ihipStream_tbENKUlT_T0_SH_SM_E_clISA_SB_SC_SC_EEDaS10_S11_SH_SM_EUlS10_E_NS1_11comp_targetILNS1_3genE8ELNS1_11target_archE1030ELNS1_3gpuE2ELNS1_3repE0EEENS1_47radix_sort_onesweep_sort_config_static_selectorELNS0_4arch9wavefront6targetE0EEEvSH_
		.amdhsa_group_segment_fixed_size 0
		.amdhsa_private_segment_fixed_size 0
		.amdhsa_kernarg_size 88
		.amdhsa_user_sgpr_count 2
		.amdhsa_user_sgpr_dispatch_ptr 0
		.amdhsa_user_sgpr_queue_ptr 0
		.amdhsa_user_sgpr_kernarg_segment_ptr 1
		.amdhsa_user_sgpr_dispatch_id 0
		.amdhsa_user_sgpr_kernarg_preload_length 0
		.amdhsa_user_sgpr_kernarg_preload_offset 0
		.amdhsa_user_sgpr_private_segment_size 0
		.amdhsa_wavefront_size32 1
		.amdhsa_uses_dynamic_stack 0
		.amdhsa_enable_private_segment 0
		.amdhsa_system_sgpr_workgroup_id_x 1
		.amdhsa_system_sgpr_workgroup_id_y 0
		.amdhsa_system_sgpr_workgroup_id_z 0
		.amdhsa_system_sgpr_workgroup_info 0
		.amdhsa_system_vgpr_workitem_id 0
		.amdhsa_next_free_vgpr 1
		.amdhsa_next_free_sgpr 1
		.amdhsa_named_barrier_count 0
		.amdhsa_reserve_vcc 0
		.amdhsa_float_round_mode_32 0
		.amdhsa_float_round_mode_16_64 0
		.amdhsa_float_denorm_mode_32 3
		.amdhsa_float_denorm_mode_16_64 3
		.amdhsa_fp16_overflow 0
		.amdhsa_memory_ordered 1
		.amdhsa_forward_progress 1
		.amdhsa_inst_pref_size 0
		.amdhsa_round_robin_scheduling 0
		.amdhsa_exception_fp_ieee_invalid_op 0
		.amdhsa_exception_fp_denorm_src 0
		.amdhsa_exception_fp_ieee_div_zero 0
		.amdhsa_exception_fp_ieee_overflow 0
		.amdhsa_exception_fp_ieee_underflow 0
		.amdhsa_exception_fp_ieee_inexact 0
		.amdhsa_exception_int_div_zero 0
	.end_amdhsa_kernel
	.section	.text._ZN7rocprim17ROCPRIM_400000_NS6detail17trampoline_kernelINS0_14default_configENS1_35radix_sort_onesweep_config_selectorI12hip_bfloat16NS0_10empty_typeEEEZZNS1_29radix_sort_onesweep_iterationIS3_Lb1EPKS5_PS5_PS6_SC_mNS0_19identity_decomposerENS1_16block_id_wrapperIjLb0EEEEE10hipError_tT1_PNSt15iterator_traitsISH_E10value_typeET2_T3_PNSI_ISN_E10value_typeET4_T5_PSS_ST_PNS1_23onesweep_lookback_stateEbbT6_jjT7_P12ihipStream_tbENKUlT_T0_SH_SM_E_clISA_SB_SC_SC_EEDaS10_S11_SH_SM_EUlS10_E_NS1_11comp_targetILNS1_3genE8ELNS1_11target_archE1030ELNS1_3gpuE2ELNS1_3repE0EEENS1_47radix_sort_onesweep_sort_config_static_selectorELNS0_4arch9wavefront6targetE0EEEvSH_,"axG",@progbits,_ZN7rocprim17ROCPRIM_400000_NS6detail17trampoline_kernelINS0_14default_configENS1_35radix_sort_onesweep_config_selectorI12hip_bfloat16NS0_10empty_typeEEEZZNS1_29radix_sort_onesweep_iterationIS3_Lb1EPKS5_PS5_PS6_SC_mNS0_19identity_decomposerENS1_16block_id_wrapperIjLb0EEEEE10hipError_tT1_PNSt15iterator_traitsISH_E10value_typeET2_T3_PNSI_ISN_E10value_typeET4_T5_PSS_ST_PNS1_23onesweep_lookback_stateEbbT6_jjT7_P12ihipStream_tbENKUlT_T0_SH_SM_E_clISA_SB_SC_SC_EEDaS10_S11_SH_SM_EUlS10_E_NS1_11comp_targetILNS1_3genE8ELNS1_11target_archE1030ELNS1_3gpuE2ELNS1_3repE0EEENS1_47radix_sort_onesweep_sort_config_static_selectorELNS0_4arch9wavefront6targetE0EEEvSH_,comdat
.Lfunc_end1990:
	.size	_ZN7rocprim17ROCPRIM_400000_NS6detail17trampoline_kernelINS0_14default_configENS1_35radix_sort_onesweep_config_selectorI12hip_bfloat16NS0_10empty_typeEEEZZNS1_29radix_sort_onesweep_iterationIS3_Lb1EPKS5_PS5_PS6_SC_mNS0_19identity_decomposerENS1_16block_id_wrapperIjLb0EEEEE10hipError_tT1_PNSt15iterator_traitsISH_E10value_typeET2_T3_PNSI_ISN_E10value_typeET4_T5_PSS_ST_PNS1_23onesweep_lookback_stateEbbT6_jjT7_P12ihipStream_tbENKUlT_T0_SH_SM_E_clISA_SB_SC_SC_EEDaS10_S11_SH_SM_EUlS10_E_NS1_11comp_targetILNS1_3genE8ELNS1_11target_archE1030ELNS1_3gpuE2ELNS1_3repE0EEENS1_47radix_sort_onesweep_sort_config_static_selectorELNS0_4arch9wavefront6targetE0EEEvSH_, .Lfunc_end1990-_ZN7rocprim17ROCPRIM_400000_NS6detail17trampoline_kernelINS0_14default_configENS1_35radix_sort_onesweep_config_selectorI12hip_bfloat16NS0_10empty_typeEEEZZNS1_29radix_sort_onesweep_iterationIS3_Lb1EPKS5_PS5_PS6_SC_mNS0_19identity_decomposerENS1_16block_id_wrapperIjLb0EEEEE10hipError_tT1_PNSt15iterator_traitsISH_E10value_typeET2_T3_PNSI_ISN_E10value_typeET4_T5_PSS_ST_PNS1_23onesweep_lookback_stateEbbT6_jjT7_P12ihipStream_tbENKUlT_T0_SH_SM_E_clISA_SB_SC_SC_EEDaS10_S11_SH_SM_EUlS10_E_NS1_11comp_targetILNS1_3genE8ELNS1_11target_archE1030ELNS1_3gpuE2ELNS1_3repE0EEENS1_47radix_sort_onesweep_sort_config_static_selectorELNS0_4arch9wavefront6targetE0EEEvSH_
                                        ; -- End function
	.set _ZN7rocprim17ROCPRIM_400000_NS6detail17trampoline_kernelINS0_14default_configENS1_35radix_sort_onesweep_config_selectorI12hip_bfloat16NS0_10empty_typeEEEZZNS1_29radix_sort_onesweep_iterationIS3_Lb1EPKS5_PS5_PS6_SC_mNS0_19identity_decomposerENS1_16block_id_wrapperIjLb0EEEEE10hipError_tT1_PNSt15iterator_traitsISH_E10value_typeET2_T3_PNSI_ISN_E10value_typeET4_T5_PSS_ST_PNS1_23onesweep_lookback_stateEbbT6_jjT7_P12ihipStream_tbENKUlT_T0_SH_SM_E_clISA_SB_SC_SC_EEDaS10_S11_SH_SM_EUlS10_E_NS1_11comp_targetILNS1_3genE8ELNS1_11target_archE1030ELNS1_3gpuE2ELNS1_3repE0EEENS1_47radix_sort_onesweep_sort_config_static_selectorELNS0_4arch9wavefront6targetE0EEEvSH_.num_vgpr, 0
	.set _ZN7rocprim17ROCPRIM_400000_NS6detail17trampoline_kernelINS0_14default_configENS1_35radix_sort_onesweep_config_selectorI12hip_bfloat16NS0_10empty_typeEEEZZNS1_29radix_sort_onesweep_iterationIS3_Lb1EPKS5_PS5_PS6_SC_mNS0_19identity_decomposerENS1_16block_id_wrapperIjLb0EEEEE10hipError_tT1_PNSt15iterator_traitsISH_E10value_typeET2_T3_PNSI_ISN_E10value_typeET4_T5_PSS_ST_PNS1_23onesweep_lookback_stateEbbT6_jjT7_P12ihipStream_tbENKUlT_T0_SH_SM_E_clISA_SB_SC_SC_EEDaS10_S11_SH_SM_EUlS10_E_NS1_11comp_targetILNS1_3genE8ELNS1_11target_archE1030ELNS1_3gpuE2ELNS1_3repE0EEENS1_47radix_sort_onesweep_sort_config_static_selectorELNS0_4arch9wavefront6targetE0EEEvSH_.num_agpr, 0
	.set _ZN7rocprim17ROCPRIM_400000_NS6detail17trampoline_kernelINS0_14default_configENS1_35radix_sort_onesweep_config_selectorI12hip_bfloat16NS0_10empty_typeEEEZZNS1_29radix_sort_onesweep_iterationIS3_Lb1EPKS5_PS5_PS6_SC_mNS0_19identity_decomposerENS1_16block_id_wrapperIjLb0EEEEE10hipError_tT1_PNSt15iterator_traitsISH_E10value_typeET2_T3_PNSI_ISN_E10value_typeET4_T5_PSS_ST_PNS1_23onesweep_lookback_stateEbbT6_jjT7_P12ihipStream_tbENKUlT_T0_SH_SM_E_clISA_SB_SC_SC_EEDaS10_S11_SH_SM_EUlS10_E_NS1_11comp_targetILNS1_3genE8ELNS1_11target_archE1030ELNS1_3gpuE2ELNS1_3repE0EEENS1_47radix_sort_onesweep_sort_config_static_selectorELNS0_4arch9wavefront6targetE0EEEvSH_.numbered_sgpr, 0
	.set _ZN7rocprim17ROCPRIM_400000_NS6detail17trampoline_kernelINS0_14default_configENS1_35radix_sort_onesweep_config_selectorI12hip_bfloat16NS0_10empty_typeEEEZZNS1_29radix_sort_onesweep_iterationIS3_Lb1EPKS5_PS5_PS6_SC_mNS0_19identity_decomposerENS1_16block_id_wrapperIjLb0EEEEE10hipError_tT1_PNSt15iterator_traitsISH_E10value_typeET2_T3_PNSI_ISN_E10value_typeET4_T5_PSS_ST_PNS1_23onesweep_lookback_stateEbbT6_jjT7_P12ihipStream_tbENKUlT_T0_SH_SM_E_clISA_SB_SC_SC_EEDaS10_S11_SH_SM_EUlS10_E_NS1_11comp_targetILNS1_3genE8ELNS1_11target_archE1030ELNS1_3gpuE2ELNS1_3repE0EEENS1_47radix_sort_onesweep_sort_config_static_selectorELNS0_4arch9wavefront6targetE0EEEvSH_.num_named_barrier, 0
	.set _ZN7rocprim17ROCPRIM_400000_NS6detail17trampoline_kernelINS0_14default_configENS1_35radix_sort_onesweep_config_selectorI12hip_bfloat16NS0_10empty_typeEEEZZNS1_29radix_sort_onesweep_iterationIS3_Lb1EPKS5_PS5_PS6_SC_mNS0_19identity_decomposerENS1_16block_id_wrapperIjLb0EEEEE10hipError_tT1_PNSt15iterator_traitsISH_E10value_typeET2_T3_PNSI_ISN_E10value_typeET4_T5_PSS_ST_PNS1_23onesweep_lookback_stateEbbT6_jjT7_P12ihipStream_tbENKUlT_T0_SH_SM_E_clISA_SB_SC_SC_EEDaS10_S11_SH_SM_EUlS10_E_NS1_11comp_targetILNS1_3genE8ELNS1_11target_archE1030ELNS1_3gpuE2ELNS1_3repE0EEENS1_47radix_sort_onesweep_sort_config_static_selectorELNS0_4arch9wavefront6targetE0EEEvSH_.private_seg_size, 0
	.set _ZN7rocprim17ROCPRIM_400000_NS6detail17trampoline_kernelINS0_14default_configENS1_35radix_sort_onesweep_config_selectorI12hip_bfloat16NS0_10empty_typeEEEZZNS1_29radix_sort_onesweep_iterationIS3_Lb1EPKS5_PS5_PS6_SC_mNS0_19identity_decomposerENS1_16block_id_wrapperIjLb0EEEEE10hipError_tT1_PNSt15iterator_traitsISH_E10value_typeET2_T3_PNSI_ISN_E10value_typeET4_T5_PSS_ST_PNS1_23onesweep_lookback_stateEbbT6_jjT7_P12ihipStream_tbENKUlT_T0_SH_SM_E_clISA_SB_SC_SC_EEDaS10_S11_SH_SM_EUlS10_E_NS1_11comp_targetILNS1_3genE8ELNS1_11target_archE1030ELNS1_3gpuE2ELNS1_3repE0EEENS1_47radix_sort_onesweep_sort_config_static_selectorELNS0_4arch9wavefront6targetE0EEEvSH_.uses_vcc, 0
	.set _ZN7rocprim17ROCPRIM_400000_NS6detail17trampoline_kernelINS0_14default_configENS1_35radix_sort_onesweep_config_selectorI12hip_bfloat16NS0_10empty_typeEEEZZNS1_29radix_sort_onesweep_iterationIS3_Lb1EPKS5_PS5_PS6_SC_mNS0_19identity_decomposerENS1_16block_id_wrapperIjLb0EEEEE10hipError_tT1_PNSt15iterator_traitsISH_E10value_typeET2_T3_PNSI_ISN_E10value_typeET4_T5_PSS_ST_PNS1_23onesweep_lookback_stateEbbT6_jjT7_P12ihipStream_tbENKUlT_T0_SH_SM_E_clISA_SB_SC_SC_EEDaS10_S11_SH_SM_EUlS10_E_NS1_11comp_targetILNS1_3genE8ELNS1_11target_archE1030ELNS1_3gpuE2ELNS1_3repE0EEENS1_47radix_sort_onesweep_sort_config_static_selectorELNS0_4arch9wavefront6targetE0EEEvSH_.uses_flat_scratch, 0
	.set _ZN7rocprim17ROCPRIM_400000_NS6detail17trampoline_kernelINS0_14default_configENS1_35radix_sort_onesweep_config_selectorI12hip_bfloat16NS0_10empty_typeEEEZZNS1_29radix_sort_onesweep_iterationIS3_Lb1EPKS5_PS5_PS6_SC_mNS0_19identity_decomposerENS1_16block_id_wrapperIjLb0EEEEE10hipError_tT1_PNSt15iterator_traitsISH_E10value_typeET2_T3_PNSI_ISN_E10value_typeET4_T5_PSS_ST_PNS1_23onesweep_lookback_stateEbbT6_jjT7_P12ihipStream_tbENKUlT_T0_SH_SM_E_clISA_SB_SC_SC_EEDaS10_S11_SH_SM_EUlS10_E_NS1_11comp_targetILNS1_3genE8ELNS1_11target_archE1030ELNS1_3gpuE2ELNS1_3repE0EEENS1_47radix_sort_onesweep_sort_config_static_selectorELNS0_4arch9wavefront6targetE0EEEvSH_.has_dyn_sized_stack, 0
	.set _ZN7rocprim17ROCPRIM_400000_NS6detail17trampoline_kernelINS0_14default_configENS1_35radix_sort_onesweep_config_selectorI12hip_bfloat16NS0_10empty_typeEEEZZNS1_29radix_sort_onesweep_iterationIS3_Lb1EPKS5_PS5_PS6_SC_mNS0_19identity_decomposerENS1_16block_id_wrapperIjLb0EEEEE10hipError_tT1_PNSt15iterator_traitsISH_E10value_typeET2_T3_PNSI_ISN_E10value_typeET4_T5_PSS_ST_PNS1_23onesweep_lookback_stateEbbT6_jjT7_P12ihipStream_tbENKUlT_T0_SH_SM_E_clISA_SB_SC_SC_EEDaS10_S11_SH_SM_EUlS10_E_NS1_11comp_targetILNS1_3genE8ELNS1_11target_archE1030ELNS1_3gpuE2ELNS1_3repE0EEENS1_47radix_sort_onesweep_sort_config_static_selectorELNS0_4arch9wavefront6targetE0EEEvSH_.has_recursion, 0
	.set _ZN7rocprim17ROCPRIM_400000_NS6detail17trampoline_kernelINS0_14default_configENS1_35radix_sort_onesweep_config_selectorI12hip_bfloat16NS0_10empty_typeEEEZZNS1_29radix_sort_onesweep_iterationIS3_Lb1EPKS5_PS5_PS6_SC_mNS0_19identity_decomposerENS1_16block_id_wrapperIjLb0EEEEE10hipError_tT1_PNSt15iterator_traitsISH_E10value_typeET2_T3_PNSI_ISN_E10value_typeET4_T5_PSS_ST_PNS1_23onesweep_lookback_stateEbbT6_jjT7_P12ihipStream_tbENKUlT_T0_SH_SM_E_clISA_SB_SC_SC_EEDaS10_S11_SH_SM_EUlS10_E_NS1_11comp_targetILNS1_3genE8ELNS1_11target_archE1030ELNS1_3gpuE2ELNS1_3repE0EEENS1_47radix_sort_onesweep_sort_config_static_selectorELNS0_4arch9wavefront6targetE0EEEvSH_.has_indirect_call, 0
	.section	.AMDGPU.csdata,"",@progbits
; Kernel info:
; codeLenInByte = 0
; TotalNumSgprs: 0
; NumVgprs: 0
; ScratchSize: 0
; MemoryBound: 0
; FloatMode: 240
; IeeeMode: 1
; LDSByteSize: 0 bytes/workgroup (compile time only)
; SGPRBlocks: 0
; VGPRBlocks: 0
; NumSGPRsForWavesPerEU: 1
; NumVGPRsForWavesPerEU: 1
; NamedBarCnt: 0
; Occupancy: 16
; WaveLimiterHint : 0
; COMPUTE_PGM_RSRC2:SCRATCH_EN: 0
; COMPUTE_PGM_RSRC2:USER_SGPR: 2
; COMPUTE_PGM_RSRC2:TRAP_HANDLER: 0
; COMPUTE_PGM_RSRC2:TGID_X_EN: 1
; COMPUTE_PGM_RSRC2:TGID_Y_EN: 0
; COMPUTE_PGM_RSRC2:TGID_Z_EN: 0
; COMPUTE_PGM_RSRC2:TIDIG_COMP_CNT: 0
	.section	.text._ZN7rocprim17ROCPRIM_400000_NS6detail17trampoline_kernelINS0_14default_configENS1_35radix_sort_onesweep_config_selectorI12hip_bfloat16NS0_10empty_typeEEEZZNS1_29radix_sort_onesweep_iterationIS3_Lb1EPKS5_PS5_PS6_SC_mNS0_19identity_decomposerENS1_16block_id_wrapperIjLb0EEEEE10hipError_tT1_PNSt15iterator_traitsISH_E10value_typeET2_T3_PNSI_ISN_E10value_typeET4_T5_PSS_ST_PNS1_23onesweep_lookback_stateEbbT6_jjT7_P12ihipStream_tbENKUlT_T0_SH_SM_E_clISB_SB_SC_SC_EEDaS10_S11_SH_SM_EUlS10_E_NS1_11comp_targetILNS1_3genE0ELNS1_11target_archE4294967295ELNS1_3gpuE0ELNS1_3repE0EEENS1_47radix_sort_onesweep_sort_config_static_selectorELNS0_4arch9wavefront6targetE0EEEvSH_,"axG",@progbits,_ZN7rocprim17ROCPRIM_400000_NS6detail17trampoline_kernelINS0_14default_configENS1_35radix_sort_onesweep_config_selectorI12hip_bfloat16NS0_10empty_typeEEEZZNS1_29radix_sort_onesweep_iterationIS3_Lb1EPKS5_PS5_PS6_SC_mNS0_19identity_decomposerENS1_16block_id_wrapperIjLb0EEEEE10hipError_tT1_PNSt15iterator_traitsISH_E10value_typeET2_T3_PNSI_ISN_E10value_typeET4_T5_PSS_ST_PNS1_23onesweep_lookback_stateEbbT6_jjT7_P12ihipStream_tbENKUlT_T0_SH_SM_E_clISB_SB_SC_SC_EEDaS10_S11_SH_SM_EUlS10_E_NS1_11comp_targetILNS1_3genE0ELNS1_11target_archE4294967295ELNS1_3gpuE0ELNS1_3repE0EEENS1_47radix_sort_onesweep_sort_config_static_selectorELNS0_4arch9wavefront6targetE0EEEvSH_,comdat
	.protected	_ZN7rocprim17ROCPRIM_400000_NS6detail17trampoline_kernelINS0_14default_configENS1_35radix_sort_onesweep_config_selectorI12hip_bfloat16NS0_10empty_typeEEEZZNS1_29radix_sort_onesweep_iterationIS3_Lb1EPKS5_PS5_PS6_SC_mNS0_19identity_decomposerENS1_16block_id_wrapperIjLb0EEEEE10hipError_tT1_PNSt15iterator_traitsISH_E10value_typeET2_T3_PNSI_ISN_E10value_typeET4_T5_PSS_ST_PNS1_23onesweep_lookback_stateEbbT6_jjT7_P12ihipStream_tbENKUlT_T0_SH_SM_E_clISB_SB_SC_SC_EEDaS10_S11_SH_SM_EUlS10_E_NS1_11comp_targetILNS1_3genE0ELNS1_11target_archE4294967295ELNS1_3gpuE0ELNS1_3repE0EEENS1_47radix_sort_onesweep_sort_config_static_selectorELNS0_4arch9wavefront6targetE0EEEvSH_ ; -- Begin function _ZN7rocprim17ROCPRIM_400000_NS6detail17trampoline_kernelINS0_14default_configENS1_35radix_sort_onesweep_config_selectorI12hip_bfloat16NS0_10empty_typeEEEZZNS1_29radix_sort_onesweep_iterationIS3_Lb1EPKS5_PS5_PS6_SC_mNS0_19identity_decomposerENS1_16block_id_wrapperIjLb0EEEEE10hipError_tT1_PNSt15iterator_traitsISH_E10value_typeET2_T3_PNSI_ISN_E10value_typeET4_T5_PSS_ST_PNS1_23onesweep_lookback_stateEbbT6_jjT7_P12ihipStream_tbENKUlT_T0_SH_SM_E_clISB_SB_SC_SC_EEDaS10_S11_SH_SM_EUlS10_E_NS1_11comp_targetILNS1_3genE0ELNS1_11target_archE4294967295ELNS1_3gpuE0ELNS1_3repE0EEENS1_47radix_sort_onesweep_sort_config_static_selectorELNS0_4arch9wavefront6targetE0EEEvSH_
	.globl	_ZN7rocprim17ROCPRIM_400000_NS6detail17trampoline_kernelINS0_14default_configENS1_35radix_sort_onesweep_config_selectorI12hip_bfloat16NS0_10empty_typeEEEZZNS1_29radix_sort_onesweep_iterationIS3_Lb1EPKS5_PS5_PS6_SC_mNS0_19identity_decomposerENS1_16block_id_wrapperIjLb0EEEEE10hipError_tT1_PNSt15iterator_traitsISH_E10value_typeET2_T3_PNSI_ISN_E10value_typeET4_T5_PSS_ST_PNS1_23onesweep_lookback_stateEbbT6_jjT7_P12ihipStream_tbENKUlT_T0_SH_SM_E_clISB_SB_SC_SC_EEDaS10_S11_SH_SM_EUlS10_E_NS1_11comp_targetILNS1_3genE0ELNS1_11target_archE4294967295ELNS1_3gpuE0ELNS1_3repE0EEENS1_47radix_sort_onesweep_sort_config_static_selectorELNS0_4arch9wavefront6targetE0EEEvSH_
	.p2align	8
	.type	_ZN7rocprim17ROCPRIM_400000_NS6detail17trampoline_kernelINS0_14default_configENS1_35radix_sort_onesweep_config_selectorI12hip_bfloat16NS0_10empty_typeEEEZZNS1_29radix_sort_onesweep_iterationIS3_Lb1EPKS5_PS5_PS6_SC_mNS0_19identity_decomposerENS1_16block_id_wrapperIjLb0EEEEE10hipError_tT1_PNSt15iterator_traitsISH_E10value_typeET2_T3_PNSI_ISN_E10value_typeET4_T5_PSS_ST_PNS1_23onesweep_lookback_stateEbbT6_jjT7_P12ihipStream_tbENKUlT_T0_SH_SM_E_clISB_SB_SC_SC_EEDaS10_S11_SH_SM_EUlS10_E_NS1_11comp_targetILNS1_3genE0ELNS1_11target_archE4294967295ELNS1_3gpuE0ELNS1_3repE0EEENS1_47radix_sort_onesweep_sort_config_static_selectorELNS0_4arch9wavefront6targetE0EEEvSH_,@function
_ZN7rocprim17ROCPRIM_400000_NS6detail17trampoline_kernelINS0_14default_configENS1_35radix_sort_onesweep_config_selectorI12hip_bfloat16NS0_10empty_typeEEEZZNS1_29radix_sort_onesweep_iterationIS3_Lb1EPKS5_PS5_PS6_SC_mNS0_19identity_decomposerENS1_16block_id_wrapperIjLb0EEEEE10hipError_tT1_PNSt15iterator_traitsISH_E10value_typeET2_T3_PNSI_ISN_E10value_typeET4_T5_PSS_ST_PNS1_23onesweep_lookback_stateEbbT6_jjT7_P12ihipStream_tbENKUlT_T0_SH_SM_E_clISB_SB_SC_SC_EEDaS10_S11_SH_SM_EUlS10_E_NS1_11comp_targetILNS1_3genE0ELNS1_11target_archE4294967295ELNS1_3gpuE0ELNS1_3repE0EEENS1_47radix_sort_onesweep_sort_config_static_selectorELNS0_4arch9wavefront6targetE0EEEvSH_: ; @_ZN7rocprim17ROCPRIM_400000_NS6detail17trampoline_kernelINS0_14default_configENS1_35radix_sort_onesweep_config_selectorI12hip_bfloat16NS0_10empty_typeEEEZZNS1_29radix_sort_onesweep_iterationIS3_Lb1EPKS5_PS5_PS6_SC_mNS0_19identity_decomposerENS1_16block_id_wrapperIjLb0EEEEE10hipError_tT1_PNSt15iterator_traitsISH_E10value_typeET2_T3_PNSI_ISN_E10value_typeET4_T5_PSS_ST_PNS1_23onesweep_lookback_stateEbbT6_jjT7_P12ihipStream_tbENKUlT_T0_SH_SM_E_clISB_SB_SC_SC_EEDaS10_S11_SH_SM_EUlS10_E_NS1_11comp_targetILNS1_3genE0ELNS1_11target_archE4294967295ELNS1_3gpuE0ELNS1_3repE0EEENS1_47radix_sort_onesweep_sort_config_static_selectorELNS0_4arch9wavefront6targetE0EEEvSH_
; %bb.0:
	s_clause 0x3
	s_load_b96 s[20:22], s[0:1], 0x44
	s_load_b64 s[10:11], s[0:1], 0x38
	s_load_b128 s[16:19], s[0:1], 0x0
	s_load_b128 s[12:15], s[0:1], 0x28
	s_bfe_u32 s2, ttmp6, 0x4000c
	s_and_b32 s3, ttmp6, 15
	s_add_co_i32 s2, s2, 1
	s_getreg_b32 s4, hwreg(HW_REG_IB_STS2, 6, 4)
	s_mul_i32 s5, ttmp9, s2
	v_mbcnt_lo_u32_b32 v14, -1, 0
	s_add_co_i32 s3, s3, s5
	s_cmp_eq_u32 s4, 0
	v_and_b32_e32 v15, 0x1e0, v0
	s_cselect_b32 s9, ttmp9, s3
	s_mov_b32 s25, 0
	s_mov_b32 s2, -1
	s_mul_i32 s24, s9, 0x1800
	s_add_nc_u64 s[26:27], s[0:1], 0x58
	s_wait_kmcnt 0x0
	s_cmp_ge_u32 s9, s22
	s_cbranch_scc0 .LBB1991_96
; %bb.1:
	s_load_b32 s4, s[0:1], 0x20
	v_dual_mov_b32 v3, 0 :: v_dual_lshlrev_b32 v2, 1, v14
	s_lshl_b64 s[2:3], s[24:25], 1
	v_mul_u32_u24_e32 v1, 12, v15
	s_add_nc_u64 s[2:3], s[16:17], s[2:3]
	v_dual_mov_b32 v12, -1 :: v_dual_mov_b32 v10, -1
	v_add_nc_u64_e32 v[4:5], s[2:3], v[2:3]
	s_delay_alu instid0(VALU_DEP_3) | instskip(SKIP_1) | instid1(VALU_DEP_1)
	v_dual_lshlrev_b32 v2, 1, v1 :: v_dual_bitop2_b32 v1, v14, v1 bitop3:0x54
	s_mul_i32 s2, s22, 0xffffe800
	v_add_nc_u64_e32 v[2:3], v[4:5], v[2:3]
	s_wait_kmcnt 0x0
	s_add_co_i32 s22, s4, s2
	s_mov_b32 s2, exec_lo
	v_cmpx_gt_u32_e64 s22, v1
	s_cbranch_execz .LBB1991_3
; %bb.2:
	global_load_u16 v10, v[2:3], off
.LBB1991_3:
	s_wait_xcnt 0x0
	s_or_b32 exec_lo, exec_lo, s2
	v_or_b32_e32 v4, 32, v1
	s_mov_b32 s2, exec_lo
	s_delay_alu instid0(VALU_DEP_1)
	v_cmpx_gt_u32_e64 s22, v4
	s_cbranch_execz .LBB1991_5
; %bb.4:
	global_load_u16 v12, v[2:3], off offset:64
.LBB1991_5:
	s_wait_xcnt 0x0
	s_or_b32 exec_lo, exec_lo, s2
	v_dual_mov_b32 v21, -1 :: v_dual_bitop2_b32 v4, 64, v1 bitop3:0x54
	v_mov_b32_e32 v17, -1
	s_mov_b32 s2, exec_lo
	s_delay_alu instid0(VALU_DEP_2)
	v_cmpx_gt_u32_e64 s22, v4
	s_cbranch_execz .LBB1991_7
; %bb.6:
	global_load_u16 v17, v[2:3], off offset:128
.LBB1991_7:
	s_wait_xcnt 0x0
	s_or_b32 exec_lo, exec_lo, s2
	v_or_b32_e32 v4, 0x60, v1
	s_mov_b32 s2, exec_lo
	s_delay_alu instid0(VALU_DEP_1)
	v_cmpx_gt_u32_e64 s22, v4
	s_cbranch_execz .LBB1991_9
; %bb.8:
	global_load_u16 v21, v[2:3], off offset:192
.LBB1991_9:
	s_wait_xcnt 0x0
	s_or_b32 exec_lo, exec_lo, s2
	v_dual_mov_b32 v25, -1 :: v_dual_add_nc_u32 v4, 0x80, v1
	v_mov_b32_e32 v30, -1
	s_mov_b32 s2, exec_lo
	s_delay_alu instid0(VALU_DEP_2)
	v_cmpx_gt_u32_e64 s22, v4
	s_cbranch_execz .LBB1991_11
; %bb.10:
	global_load_u16 v25, v[2:3], off offset:256
.LBB1991_11:
	s_wait_xcnt 0x0
	s_or_b32 exec_lo, exec_lo, s2
	v_add_nc_u32_e32 v4, 0xa0, v1
	s_mov_b32 s2, exec_lo
	s_delay_alu instid0(VALU_DEP_1)
	v_cmpx_gt_u32_e64 s22, v4
	s_cbranch_execz .LBB1991_13
; %bb.12:
	global_load_u16 v30, v[2:3], off offset:320
.LBB1991_13:
	s_wait_xcnt 0x0
	s_or_b32 exec_lo, exec_lo, s2
	v_dual_mov_b32 v9, -1 :: v_dual_add_nc_u32 v4, 0xc0, v1
	v_mov_b32_e32 v8, -1
	s_mov_b32 s2, exec_lo
	s_delay_alu instid0(VALU_DEP_2)
	v_cmpx_gt_u32_e64 s22, v4
	s_cbranch_execz .LBB1991_15
; %bb.14:
	global_load_u16 v9, v[2:3], off offset:384
.LBB1991_15:
	s_wait_xcnt 0x0
	s_or_b32 exec_lo, exec_lo, s2
	v_add_nc_u32_e32 v4, 0xe0, v1
	;; [unrolled: 21-line block ×3, first 2 shown]
	s_mov_b32 s2, exec_lo
	s_delay_alu instid0(VALU_DEP_1)
	v_cmpx_gt_u32_e64 s22, v4
	s_cbranch_execz .LBB1991_21
; %bb.20:
	global_load_u16 v6, v[2:3], off offset:576
.LBB1991_21:
	s_wait_xcnt 0x0
	s_or_b32 exec_lo, exec_lo, s2
	v_dual_mov_b32 v4, -1 :: v_dual_add_nc_u32 v5, 0x140, v1
	s_delay_alu instid0(VALU_DEP_1)
	v_cmp_gt_u32_e32 vcc_lo, s22, v5
	v_mov_b32_e32 v5, -1
	s_and_saveexec_b32 s2, vcc_lo
	s_cbranch_execz .LBB1991_23
; %bb.22:
	global_load_u16 v5, v[2:3], off offset:640
.LBB1991_23:
	s_wait_xcnt 0x0
	s_or_b32 exec_lo, exec_lo, s2
	v_add_nc_u32_e32 v11, 0x160, v1
	v_and_b32_e32 v1, 0x3ff, v0
	s_mov_b32 s2, exec_lo
	s_delay_alu instid0(VALU_DEP_2)
	v_cmpx_gt_u32_e64 s22, v11
	s_cbranch_execz .LBB1991_25
; %bb.24:
	global_load_u16 v4, v[2:3], off offset:704
.LBB1991_25:
	s_wait_xcnt 0x0
	s_or_b32 exec_lo, exec_lo, s2
	s_wait_loadcnt 0x0
	v_cmp_gt_i16_e32 vcc_lo, 0, v10
	s_clause 0x1
	s_load_b32 s23, s[0:1], 0x58
	s_load_u16 s4, s[0:1], 0x66
	v_bfe_u32 v3, v0, 10, 10
	v_bfe_u32 v11, v0, 20, 10
	s_mov_b32 s3, 0
	v_cndmask_b32_e64 v2, 0x7fff, 0, vcc_lo
	s_delay_alu instid0(VALU_DEP_1) | instskip(NEXT) | instid1(VALU_DEP_1)
	v_xor_b32_e32 v10, v2, v10
	v_cmp_ne_u16_e32 vcc_lo, 0x8000, v10
	s_wait_kmcnt 0x0
	s_cmp_lt_u32 s9, s23
	v_cndmask_b32_e32 v2, 0x7fff, v10, vcc_lo
	s_cselect_b32 s2, 12, 18
	s_lshl_b32 s7, -1, s21
	v_mad_u32_u24 v3, v11, s4, v3
	s_add_nc_u64 s[2:3], s[26:27], s[2:3]
	v_and_b32_e32 v2, 0xffff, v2
	s_load_u16 s8, s[2:3], 0x0
	s_not_b32 s25, s7
	s_delay_alu instid0(VALU_DEP_1) | instskip(NEXT) | instid1(VALU_DEP_1)
	v_lshrrev_b32_e32 v2, s20, v2
	v_bitop3_b32 v16, v2, s7, v2 bitop3:0x30
	s_delay_alu instid0(VALU_DEP_1) | instskip(SKIP_4) | instid1(VALU_DEP_3)
	v_lshlrev_b32_e32 v18, 29, v16
	v_bitop3_b32 v11, v2, 1, s7 bitop3:0x40
	v_dual_lshlrev_b32 v13, 30, v16 :: v_dual_lshlrev_b32 v19, 28, v16
	v_dual_lshlrev_b32 v20, 27, v16 :: v_dual_lshlrev_b32 v22, 26, v16
	s_wait_xcnt 0x0
	v_add_co_u32 v2, s2, v11, -1
	s_delay_alu instid0(VALU_DEP_1) | instskip(SKIP_3) | instid1(VALU_DEP_4)
	v_cndmask_b32_e64 v11, 0, 1, s2
	v_cmp_gt_i32_e64 s2, 0, v13
	v_cmp_gt_i32_e64 s3, 0, v18
	v_dual_lshlrev_b32 v23, 25, v16 :: v_dual_lshlrev_b32 v24, 24, v16
	v_cmp_ne_u32_e32 vcc_lo, 0, v11
	v_not_b32_e32 v11, v13
	v_not_b32_e32 v13, v18
	;; [unrolled: 1-line block ×3, first 2 shown]
	v_cmp_gt_i32_e64 s4, 0, v19
	v_cmp_gt_i32_e64 s5, 0, v20
	v_dual_ashrrev_i32 v11, 31, v11 :: v_dual_bitop2_b32 v2, vcc_lo, v2 bitop3:0x14
	v_not_b32_e32 v19, v20
	v_not_b32_e32 v20, v22
	v_dual_ashrrev_i32 v13, 31, v13 :: v_dual_ashrrev_i32 v18, 31, v18
	s_delay_alu instid0(VALU_DEP_4) | instskip(SKIP_1) | instid1(VALU_DEP_3)
	v_xor_b32_e32 v11, s2, v11
	v_cmp_gt_i32_e64 s6, 0, v22
	v_dual_ashrrev_i32 v19, 31, v19 :: v_dual_bitop2_b32 v13, s3, v13 bitop3:0x14
	v_ashrrev_i32_e32 v20, 31, v20
	s_delay_alu instid0(VALU_DEP_4)
	v_bitop3_b32 v2, v2, v11, exec_lo bitop3:0x80
	v_not_b32_e32 v11, v23
	v_xor_b32_e32 v18, s4, v18
	v_not_b32_e32 v22, v24
	v_xor_b32_e32 v19, s5, v19
	v_xor_b32_e32 v20, s6, v20
	v_cmp_gt_i32_e32 vcc_lo, 0, v23
	v_ashrrev_i32_e32 v11, 31, v11
	v_bitop3_b32 v2, v2, v18, v13 bitop3:0x80
	v_cmp_gt_i32_e64 s2, 0, v24
	v_ashrrev_i32_e32 v13, 31, v22
	s_wait_kmcnt 0x0
	v_mad_u32 v22, v3, s8, v1
	v_mov_b32_e32 v18, 0
	v_bitop3_b32 v2, v2, v20, v19 bitop3:0x80
	v_xor_b32_e32 v3, vcc_lo, v11
	v_xor_b32_e32 v11, s2, v13
	v_mul_u32_u24_e32 v13, 36, v1
	ds_store_2addr_b32 v13, v18, v18 offset0:16 offset1:17
	ds_store_2addr_b32 v13, v18, v18 offset0:18 offset1:19
	;; [unrolled: 1-line block ×4, first 2 shown]
	v_bitop3_b32 v3, v2, v11, v3 bitop3:0x80
	v_lshrrev_b32_e32 v2, 5, v22
	ds_store_b32 v13, v18 offset:96
	s_wait_dscnt 0x0
	s_barrier_signal -1
	v_mbcnt_lo_u32_b32 v11, v3, 0
	v_lshlrev_b32_e32 v2, 2, v2
	v_cmp_ne_u32_e64 s2, 0, v3
	s_barrier_wait -1
	s_delay_alu instid0(VALU_DEP_3) | instskip(NEXT) | instid1(VALU_DEP_3)
	v_cmp_eq_u32_e32 vcc_lo, 0, v11
	v_mad_u32_u24 v16, 0x44, v16, v2
	; wave barrier
	s_and_b32 s3, s2, vcc_lo
	s_delay_alu instid0(SALU_CYCLE_1)
	s_and_saveexec_b32 s2, s3
; %bb.26:
	v_bcnt_u32_b32 v3, v3, 0
	ds_store_b32 v16, v3 offset:64
; %bb.27:
	s_or_b32 exec_lo, exec_lo, s2
	v_cmp_gt_i16_e32 vcc_lo, 0, v12
	; wave barrier
	v_cndmask_b32_e64 v3, 0x7fff, 0, vcc_lo
	s_delay_alu instid0(VALU_DEP_1) | instskip(NEXT) | instid1(VALU_DEP_1)
	v_xor_b32_e32 v12, v3, v12
	v_cmp_ne_u16_e32 vcc_lo, 0x8000, v12
	v_cndmask_b32_e32 v3, 0x7fff, v12, vcc_lo
	s_delay_alu instid0(VALU_DEP_1) | instskip(NEXT) | instid1(VALU_DEP_1)
	v_and_b32_e32 v3, 0xffff, v3
	v_lshrrev_b32_e32 v3, s20, v3
	s_delay_alu instid0(VALU_DEP_1) | instskip(SKIP_1) | instid1(VALU_DEP_2)
	v_bitop3_b32 v18, v3, 1, s25 bitop3:0x80
	v_and_b32_e32 v3, s25, v3
	v_add_co_u32 v18, s2, v18, -1
	s_delay_alu instid0(VALU_DEP_1) | instskip(NEXT) | instid1(VALU_DEP_3)
	v_cndmask_b32_e64 v19, 0, 1, s2
	v_dual_lshlrev_b32 v20, 30, v3 :: v_dual_lshlrev_b32 v22, 29, v3
	s_delay_alu instid0(VALU_DEP_2) | instskip(NEXT) | instid1(VALU_DEP_2)
	v_cmp_ne_u32_e32 vcc_lo, 0, v19
	v_cmp_gt_i32_e64 s2, 0, v20
	v_not_b32_e32 v19, v20
	s_delay_alu instid0(VALU_DEP_4) | instskip(SKIP_1) | instid1(VALU_DEP_2)
	v_not_b32_e32 v20, v22
	v_cmp_gt_i32_e64 s3, 0, v22
	v_dual_ashrrev_i32 v20, 31, v20 :: v_dual_bitop2_b32 v18, vcc_lo, v18 bitop3:0x14
	v_dual_lshlrev_b32 v23, 28, v3 :: v_dual_lshlrev_b32 v24, 27, v3
	v_dual_lshlrev_b32 v26, 26, v3 :: v_dual_lshlrev_b32 v27, 25, v3
	v_lshlrev_b32_e32 v28, 24, v3
	s_delay_alu instid0(VALU_DEP_3) | instskip(SKIP_4) | instid1(VALU_DEP_4)
	v_cmp_gt_i32_e64 s4, 0, v23
	v_not_b32_e32 v22, v23
	v_cmp_gt_i32_e64 s5, 0, v24
	v_not_b32_e32 v23, v24
	v_not_b32_e32 v24, v26
	v_dual_ashrrev_i32 v19, 31, v19 :: v_dual_ashrrev_i32 v22, 31, v22
	v_cmp_gt_i32_e64 s6, 0, v26
	v_cmp_gt_i32_e64 s7, 0, v27
	s_delay_alu instid0(VALU_DEP_3)
	v_dual_ashrrev_i32 v24, 31, v24 :: v_dual_bitop2_b32 v19, s2, v19 bitop3:0x14
	v_not_b32_e32 v26, v27
	v_not_b32_e32 v27, v28
	v_dual_ashrrev_i32 v23, 31, v23 :: v_dual_bitop2_b32 v20, s3, v20 bitop3:0x14
	v_xor_b32_e32 v22, s4, v22
	v_bitop3_b32 v18, v18, v19, exec_lo bitop3:0x80
	v_cmp_gt_i32_e64 s8, 0, v28
	s_delay_alu instid0(VALU_DEP_4) | instskip(SKIP_1) | instid1(VALU_DEP_4)
	v_dual_ashrrev_i32 v19, 31, v26 :: v_dual_bitop2_b32 v23, s5, v23 bitop3:0x14
	v_dual_ashrrev_i32 v26, 31, v27 :: v_dual_bitop2_b32 v24, s6, v24 bitop3:0x14
	v_bitop3_b32 v18, v18, v22, v20 bitop3:0x80
	v_mad_u32_u24 v20, 0x44, v3, v2
	s_delay_alu instid0(VALU_DEP_4) | instskip(NEXT) | instid1(VALU_DEP_4)
	v_xor_b32_e32 v3, s7, v19
	v_xor_b32_e32 v19, s8, v26
	s_delay_alu instid0(VALU_DEP_4) | instskip(SKIP_2) | instid1(VALU_DEP_1)
	v_bitop3_b32 v22, v18, v24, v23 bitop3:0x80
	ds_load_b32 v18, v20 offset:64
	; wave barrier
	v_bitop3_b32 v3, v22, v19, v3 bitop3:0x80
	v_mbcnt_lo_u32_b32 v19, v3, 0
	v_cmp_ne_u32_e64 s2, 0, v3
	s_delay_alu instid0(VALU_DEP_2) | instskip(SKIP_1) | instid1(SALU_CYCLE_1)
	v_cmp_eq_u32_e32 vcc_lo, 0, v19
	s_and_b32 s3, s2, vcc_lo
	s_and_saveexec_b32 s2, s3
	s_cbranch_execz .LBB1991_29
; %bb.28:
	s_wait_dscnt 0x0
	v_bcnt_u32_b32 v3, v3, v18
	ds_store_b32 v20, v3 offset:64
.LBB1991_29:
	s_or_b32 exec_lo, exec_lo, s2
	v_cmp_gt_i16_e32 vcc_lo, 0, v17
	; wave barrier
	v_cndmask_b32_e64 v3, 0x7fff, 0, vcc_lo
	s_delay_alu instid0(VALU_DEP_1) | instskip(NEXT) | instid1(VALU_DEP_1)
	v_xor_b32_e32 v17, v3, v17
	v_cmp_ne_u16_e32 vcc_lo, 0x8000, v17
	v_cndmask_b32_e32 v3, 0x7fff, v17, vcc_lo
	s_delay_alu instid0(VALU_DEP_1) | instskip(NEXT) | instid1(VALU_DEP_1)
	v_and_b32_e32 v3, 0xffff, v3
	v_lshrrev_b32_e32 v3, s20, v3
	s_delay_alu instid0(VALU_DEP_1) | instskip(SKIP_1) | instid1(VALU_DEP_2)
	v_bitop3_b32 v22, v3, 1, s25 bitop3:0x80
	v_and_b32_e32 v3, s25, v3
	v_add_co_u32 v22, s2, v22, -1
	s_delay_alu instid0(VALU_DEP_1) | instskip(NEXT) | instid1(VALU_DEP_3)
	v_cndmask_b32_e64 v23, 0, 1, s2
	v_dual_lshlrev_b32 v24, 30, v3 :: v_dual_lshlrev_b32 v26, 29, v3
	v_lshlrev_b32_e32 v27, 28, v3
	s_delay_alu instid0(VALU_DEP_3) | instskip(NEXT) | instid1(VALU_DEP_3)
	v_cmp_ne_u32_e32 vcc_lo, 0, v23
	v_cmp_gt_i32_e64 s2, 0, v24
	v_not_b32_e32 v23, v24
	v_cmp_gt_i32_e64 s3, 0, v26
	v_not_b32_e32 v24, v26
	v_not_b32_e32 v26, v27
	s_delay_alu instid0(VALU_DEP_2) | instskip(NEXT) | instid1(VALU_DEP_2)
	v_dual_ashrrev_i32 v24, 31, v24 :: v_dual_bitop2_b32 v22, vcc_lo, v22 bitop3:0x14
	v_dual_ashrrev_i32 v26, 31, v26 :: v_dual_lshlrev_b32 v28, 27, v3
	v_dual_lshlrev_b32 v29, 26, v3 :: v_dual_lshlrev_b32 v31, 25, v3
	v_cmp_gt_i32_e64 s4, 0, v27
	v_lshlrev_b32_e32 v32, 24, v3
	s_delay_alu instid0(VALU_DEP_4)
	v_cmp_gt_i32_e64 s5, 0, v28
	v_not_b32_e32 v27, v28
	v_not_b32_e32 v28, v29
	v_ashrrev_i32_e32 v23, 31, v23
	v_cmp_gt_i32_e64 s6, 0, v29
	v_cmp_gt_i32_e64 s7, 0, v31
	v_not_b32_e32 v29, v31
	s_delay_alu instid0(VALU_DEP_4) | instskip(SKIP_3) | instid1(VALU_DEP_4)
	v_dual_ashrrev_i32 v28, 31, v28 :: v_dual_bitop2_b32 v23, s2, v23 bitop3:0x14
	v_not_b32_e32 v31, v32
	v_dual_ashrrev_i32 v27, 31, v27 :: v_dual_bitop2_b32 v24, s3, v24 bitop3:0x14
	v_xor_b32_e32 v26, s4, v26
	v_bitop3_b32 v22, v22, v23, exec_lo bitop3:0x80
	v_cmp_gt_i32_e64 s8, 0, v32
	v_dual_ashrrev_i32 v23, 31, v29 :: v_dual_ashrrev_i32 v29, 31, v31
	v_xor_b32_e32 v28, s6, v28
	v_xor_b32_e32 v27, s5, v27
	v_bitop3_b32 v22, v22, v26, v24 bitop3:0x80
	v_mad_u32_u24 v24, 0x44, v3, v2
	v_xor_b32_e32 v3, s7, v23
	v_xor_b32_e32 v23, s8, v29
	s_delay_alu instid0(VALU_DEP_4) | instskip(SKIP_2) | instid1(VALU_DEP_1)
	v_bitop3_b32 v26, v22, v28, v27 bitop3:0x80
	ds_load_b32 v22, v24 offset:64
	; wave barrier
	v_bitop3_b32 v3, v26, v23, v3 bitop3:0x80
	v_mbcnt_lo_u32_b32 v23, v3, 0
	v_cmp_ne_u32_e64 s2, 0, v3
	s_delay_alu instid0(VALU_DEP_2) | instskip(SKIP_1) | instid1(SALU_CYCLE_1)
	v_cmp_eq_u32_e32 vcc_lo, 0, v23
	s_and_b32 s3, s2, vcc_lo
	s_and_saveexec_b32 s2, s3
	s_cbranch_execz .LBB1991_31
; %bb.30:
	s_wait_dscnt 0x0
	v_bcnt_u32_b32 v3, v3, v22
	ds_store_b32 v24, v3 offset:64
.LBB1991_31:
	s_or_b32 exec_lo, exec_lo, s2
	v_cmp_gt_i16_e32 vcc_lo, 0, v21
	; wave barrier
	v_cndmask_b32_e64 v3, 0x7fff, 0, vcc_lo
	s_delay_alu instid0(VALU_DEP_1) | instskip(NEXT) | instid1(VALU_DEP_1)
	v_xor_b32_e32 v21, v3, v21
	v_cmp_ne_u16_e32 vcc_lo, 0x8000, v21
	v_cndmask_b32_e32 v3, 0x7fff, v21, vcc_lo
	s_delay_alu instid0(VALU_DEP_1) | instskip(NEXT) | instid1(VALU_DEP_1)
	v_and_b32_e32 v3, 0xffff, v3
	v_lshrrev_b32_e32 v3, s20, v3
	s_delay_alu instid0(VALU_DEP_1) | instskip(SKIP_1) | instid1(VALU_DEP_2)
	v_bitop3_b32 v26, v3, 1, s25 bitop3:0x80
	v_and_b32_e32 v3, s25, v3
	v_add_co_u32 v26, s2, v26, -1
	s_delay_alu instid0(VALU_DEP_1) | instskip(NEXT) | instid1(VALU_DEP_3)
	v_cndmask_b32_e64 v27, 0, 1, s2
	v_dual_lshlrev_b32 v28, 30, v3 :: v_dual_lshlrev_b32 v29, 29, v3
	v_lshlrev_b32_e32 v31, 28, v3
	s_delay_alu instid0(VALU_DEP_3) | instskip(NEXT) | instid1(VALU_DEP_3)
	v_cmp_ne_u32_e32 vcc_lo, 0, v27
	v_cmp_gt_i32_e64 s2, 0, v28
	v_not_b32_e32 v27, v28
	v_cmp_gt_i32_e64 s3, 0, v29
	v_not_b32_e32 v28, v29
	v_not_b32_e32 v29, v31
	s_delay_alu instid0(VALU_DEP_2) | instskip(NEXT) | instid1(VALU_DEP_2)
	v_dual_ashrrev_i32 v28, 31, v28 :: v_dual_bitop2_b32 v26, vcc_lo, v26 bitop3:0x14
	v_dual_ashrrev_i32 v29, 31, v29 :: v_dual_lshlrev_b32 v32, 27, v3
	v_dual_lshlrev_b32 v33, 26, v3 :: v_dual_lshlrev_b32 v34, 25, v3
	v_lshlrev_b32_e32 v35, 24, v3
	v_cmp_gt_i32_e64 s4, 0, v31
	s_delay_alu instid0(VALU_DEP_4)
	v_cmp_gt_i32_e64 s5, 0, v32
	v_not_b32_e32 v31, v32
	v_not_b32_e32 v32, v33
	v_ashrrev_i32_e32 v27, 31, v27
	v_cmp_gt_i32_e64 s6, 0, v33
	v_cmp_gt_i32_e64 s7, 0, v34
	v_not_b32_e32 v33, v34
	v_not_b32_e32 v34, v35
	v_dual_ashrrev_i32 v32, 31, v32 :: v_dual_bitop2_b32 v27, s2, v27 bitop3:0x14
	v_dual_ashrrev_i32 v31, 31, v31 :: v_dual_bitop2_b32 v28, s3, v28 bitop3:0x14
	v_xor_b32_e32 v29, s4, v29
	v_cmp_gt_i32_e64 s8, 0, v35
	s_delay_alu instid0(VALU_DEP_4) | instskip(NEXT) | instid1(VALU_DEP_4)
	v_bitop3_b32 v26, v26, v27, exec_lo bitop3:0x80
	v_dual_ashrrev_i32 v27, 31, v33 :: v_dual_bitop2_b32 v31, s5, v31 bitop3:0x14
	v_dual_ashrrev_i32 v33, 31, v34 :: v_dual_bitop2_b32 v32, s6, v32 bitop3:0x14
	s_delay_alu instid0(VALU_DEP_3) | instskip(SKIP_1) | instid1(VALU_DEP_4)
	v_bitop3_b32 v26, v26, v29, v28 bitop3:0x80
	v_mad_u32_u24 v28, 0x44, v3, v2
	v_xor_b32_e32 v3, s7, v27
	s_delay_alu instid0(VALU_DEP_4) | instskip(NEXT) | instid1(VALU_DEP_4)
	v_xor_b32_e32 v27, s8, v33
	v_bitop3_b32 v29, v26, v32, v31 bitop3:0x80
	ds_load_b32 v26, v28 offset:64
	; wave barrier
	v_bitop3_b32 v3, v29, v27, v3 bitop3:0x80
	s_delay_alu instid0(VALU_DEP_1) | instskip(SKIP_1) | instid1(VALU_DEP_2)
	v_mbcnt_lo_u32_b32 v27, v3, 0
	v_cmp_ne_u32_e64 s2, 0, v3
	v_cmp_eq_u32_e32 vcc_lo, 0, v27
	s_and_b32 s3, s2, vcc_lo
	s_delay_alu instid0(SALU_CYCLE_1)
	s_and_saveexec_b32 s2, s3
	s_cbranch_execz .LBB1991_33
; %bb.32:
	s_wait_dscnt 0x0
	v_bcnt_u32_b32 v3, v3, v26
	ds_store_b32 v28, v3 offset:64
.LBB1991_33:
	s_or_b32 exec_lo, exec_lo, s2
	v_cmp_gt_i16_e32 vcc_lo, 0, v25
	; wave barrier
	v_cndmask_b32_e64 v3, 0x7fff, 0, vcc_lo
	s_delay_alu instid0(VALU_DEP_1) | instskip(NEXT) | instid1(VALU_DEP_1)
	v_xor_b32_e32 v25, v3, v25
	v_cmp_ne_u16_e32 vcc_lo, 0x8000, v25
	v_cndmask_b32_e32 v3, 0x7fff, v25, vcc_lo
	s_delay_alu instid0(VALU_DEP_1) | instskip(NEXT) | instid1(VALU_DEP_1)
	v_and_b32_e32 v3, 0xffff, v3
	v_lshrrev_b32_e32 v3, s20, v3
	s_delay_alu instid0(VALU_DEP_1) | instskip(SKIP_1) | instid1(VALU_DEP_2)
	v_bitop3_b32 v29, v3, 1, s25 bitop3:0x80
	v_and_b32_e32 v3, s25, v3
	v_add_co_u32 v29, s2, v29, -1
	s_delay_alu instid0(VALU_DEP_1) | instskip(NEXT) | instid1(VALU_DEP_3)
	v_cndmask_b32_e64 v31, 0, 1, s2
	v_dual_lshlrev_b32 v32, 30, v3 :: v_dual_lshlrev_b32 v33, 29, v3
	v_lshlrev_b32_e32 v34, 28, v3
	s_delay_alu instid0(VALU_DEP_3) | instskip(NEXT) | instid1(VALU_DEP_3)
	v_cmp_ne_u32_e32 vcc_lo, 0, v31
	v_cmp_gt_i32_e64 s2, 0, v32
	v_not_b32_e32 v31, v32
	v_cmp_gt_i32_e64 s3, 0, v33
	v_not_b32_e32 v32, v33
	v_not_b32_e32 v33, v34
	s_delay_alu instid0(VALU_DEP_2) | instskip(NEXT) | instid1(VALU_DEP_2)
	v_dual_ashrrev_i32 v32, 31, v32 :: v_dual_bitop2_b32 v29, vcc_lo, v29 bitop3:0x14
	v_dual_ashrrev_i32 v33, 31, v33 :: v_dual_lshlrev_b32 v35, 27, v3
	v_dual_lshlrev_b32 v36, 26, v3 :: v_dual_lshlrev_b32 v37, 25, v3
	v_lshlrev_b32_e32 v38, 24, v3
	v_cmp_gt_i32_e64 s4, 0, v34
	s_delay_alu instid0(VALU_DEP_4)
	v_not_b32_e32 v34, v35
	v_ashrrev_i32_e32 v31, 31, v31
	v_cmp_gt_i32_e64 s5, 0, v35
	v_cmp_gt_i32_e64 s6, 0, v36
	v_not_b32_e32 v35, v36
	v_cmp_gt_i32_e64 s7, 0, v37
	v_not_b32_e32 v36, v37
	v_not_b32_e32 v37, v38
	v_dual_ashrrev_i32 v34, 31, v34 :: v_dual_bitop2_b32 v31, s2, v31 bitop3:0x14
	v_dual_ashrrev_i32 v35, 31, v35 :: v_dual_bitop2_b32 v32, s3, v32 bitop3:0x14
	v_xor_b32_e32 v33, s4, v33
	v_cmp_gt_i32_e64 s8, 0, v38
	s_delay_alu instid0(VALU_DEP_4) | instskip(SKIP_3) | instid1(VALU_DEP_4)
	v_bitop3_b32 v29, v29, v31, exec_lo bitop3:0x80
	v_dual_ashrrev_i32 v31, 31, v36 :: v_dual_ashrrev_i32 v36, 31, v37
	v_xor_b32_e32 v34, s5, v34
	v_xor_b32_e32 v35, s6, v35
	v_bitop3_b32 v29, v29, v33, v32 bitop3:0x80
	v_mad_u32_u24 v32, 0x44, v3, v2
	v_xor_b32_e32 v3, s7, v31
	v_xor_b32_e32 v31, s8, v36
	s_delay_alu instid0(VALU_DEP_4) | instskip(SKIP_2) | instid1(VALU_DEP_1)
	v_bitop3_b32 v33, v29, v35, v34 bitop3:0x80
	ds_load_b32 v29, v32 offset:64
	; wave barrier
	v_bitop3_b32 v3, v33, v31, v3 bitop3:0x80
	v_mbcnt_lo_u32_b32 v31, v3, 0
	v_cmp_ne_u32_e64 s2, 0, v3
	s_delay_alu instid0(VALU_DEP_2) | instskip(SKIP_1) | instid1(SALU_CYCLE_1)
	v_cmp_eq_u32_e32 vcc_lo, 0, v31
	s_and_b32 s3, s2, vcc_lo
	s_and_saveexec_b32 s2, s3
	s_cbranch_execz .LBB1991_35
; %bb.34:
	s_wait_dscnt 0x0
	v_bcnt_u32_b32 v3, v3, v29
	ds_store_b32 v32, v3 offset:64
.LBB1991_35:
	s_or_b32 exec_lo, exec_lo, s2
	v_cmp_gt_i16_e32 vcc_lo, 0, v30
	; wave barrier
	v_cndmask_b32_e64 v3, 0x7fff, 0, vcc_lo
	s_delay_alu instid0(VALU_DEP_1) | instskip(NEXT) | instid1(VALU_DEP_1)
	v_xor_b32_e32 v30, v3, v30
	v_cmp_ne_u16_e32 vcc_lo, 0x8000, v30
	v_cndmask_b32_e32 v3, 0x7fff, v30, vcc_lo
	s_delay_alu instid0(VALU_DEP_1) | instskip(NEXT) | instid1(VALU_DEP_1)
	v_and_b32_e32 v3, 0xffff, v3
	v_lshrrev_b32_e32 v3, s20, v3
	s_delay_alu instid0(VALU_DEP_1) | instskip(SKIP_1) | instid1(VALU_DEP_2)
	v_bitop3_b32 v33, v3, 1, s25 bitop3:0x80
	v_and_b32_e32 v3, s25, v3
	v_add_co_u32 v33, s2, v33, -1
	s_delay_alu instid0(VALU_DEP_1) | instskip(NEXT) | instid1(VALU_DEP_3)
	v_cndmask_b32_e64 v34, 0, 1, s2
	v_lshlrev_b32_e32 v35, 30, v3
	s_delay_alu instid0(VALU_DEP_2) | instskip(NEXT) | instid1(VALU_DEP_2)
	v_cmp_ne_u32_e32 vcc_lo, 0, v34
	v_not_b32_e32 v34, v35
	s_delay_alu instid0(VALU_DEP_1) | instskip(SKIP_4) | instid1(VALU_DEP_4)
	v_dual_ashrrev_i32 v34, 31, v34 :: v_dual_bitop2_b32 v33, vcc_lo, v33 bitop3:0x14
	v_dual_lshlrev_b32 v36, 29, v3 :: v_dual_lshlrev_b32 v37, 28, v3
	v_dual_lshlrev_b32 v38, 27, v3 :: v_dual_lshlrev_b32 v39, 26, v3
	v_lshlrev_b32_e32 v40, 25, v3
	v_cmp_gt_i32_e64 s2, 0, v35
	v_cmp_gt_i32_e64 s3, 0, v36
	v_not_b32_e32 v35, v36
	v_not_b32_e32 v36, v37
	v_lshlrev_b32_e32 v41, 24, v3
	v_cmp_gt_i32_e64 s4, 0, v37
	v_cmp_gt_i32_e64 s5, 0, v38
	v_not_b32_e32 v37, v38
	v_not_b32_e32 v38, v39
	v_dual_ashrrev_i32 v35, 31, v35 :: v_dual_bitop2_b32 v34, s2, v34 bitop3:0x14
	v_ashrrev_i32_e32 v36, 31, v36
	v_cmp_gt_i32_e64 s6, 0, v39
	v_cmp_gt_i32_e64 s7, 0, v40
	v_not_b32_e32 v39, v40
	v_not_b32_e32 v40, v41
	v_dual_ashrrev_i32 v37, 31, v37 :: v_dual_ashrrev_i32 v38, 31, v38
	v_xor_b32_e32 v35, s3, v35
	v_xor_b32_e32 v36, s4, v36
	v_bitop3_b32 v33, v33, v34, exec_lo bitop3:0x80
	v_cmp_gt_i32_e64 s8, 0, v41
	v_dual_ashrrev_i32 v34, 31, v39 :: v_dual_ashrrev_i32 v39, 31, v40
	v_xor_b32_e32 v37, s5, v37
	v_xor_b32_e32 v38, s6, v38
	v_bitop3_b32 v33, v33, v36, v35 bitop3:0x80
	v_mad_u32_u24 v36, 0x44, v3, v2
	v_xor_b32_e32 v3, s7, v34
	v_xor_b32_e32 v34, s8, v39
	s_delay_alu instid0(VALU_DEP_4) | instskip(SKIP_2) | instid1(VALU_DEP_1)
	v_bitop3_b32 v35, v33, v38, v37 bitop3:0x80
	ds_load_b32 v33, v36 offset:64
	; wave barrier
	v_bitop3_b32 v3, v35, v34, v3 bitop3:0x80
	v_mbcnt_lo_u32_b32 v34, v3, 0
	v_cmp_ne_u32_e64 s2, 0, v3
	s_delay_alu instid0(VALU_DEP_2) | instskip(SKIP_1) | instid1(SALU_CYCLE_1)
	v_cmp_eq_u32_e32 vcc_lo, 0, v34
	s_and_b32 s3, s2, vcc_lo
	s_and_saveexec_b32 s2, s3
	s_cbranch_execz .LBB1991_37
; %bb.36:
	s_wait_dscnt 0x0
	v_bcnt_u32_b32 v3, v3, v33
	ds_store_b32 v36, v3 offset:64
.LBB1991_37:
	s_or_b32 exec_lo, exec_lo, s2
	v_cmp_gt_i16_e32 vcc_lo, 0, v9
	; wave barrier
	v_cndmask_b32_e64 v3, 0x7fff, 0, vcc_lo
	s_delay_alu instid0(VALU_DEP_1) | instskip(NEXT) | instid1(VALU_DEP_1)
	v_xor_b32_e32 v35, v3, v9
	v_cmp_ne_u16_e32 vcc_lo, 0x8000, v35
	v_cndmask_b32_e32 v3, 0x7fff, v35, vcc_lo
	s_delay_alu instid0(VALU_DEP_1) | instskip(NEXT) | instid1(VALU_DEP_1)
	v_and_b32_e32 v3, 0xffff, v3
	v_lshrrev_b32_e32 v3, s20, v3
	s_delay_alu instid0(VALU_DEP_1) | instskip(SKIP_1) | instid1(VALU_DEP_2)
	v_bitop3_b32 v9, v3, 1, s25 bitop3:0x80
	v_and_b32_e32 v3, s25, v3
	v_add_co_u32 v9, s2, v9, -1
	s_delay_alu instid0(VALU_DEP_1) | instskip(NEXT) | instid1(VALU_DEP_3)
	v_cndmask_b32_e64 v37, 0, 1, s2
	v_lshlrev_b32_e32 v38, 30, v3
	s_delay_alu instid0(VALU_DEP_2) | instskip(NEXT) | instid1(VALU_DEP_2)
	v_cmp_ne_u32_e32 vcc_lo, 0, v37
	v_not_b32_e32 v37, v38
	v_xor_b32_e32 v9, vcc_lo, v9
	s_delay_alu instid0(VALU_DEP_2) | instskip(SKIP_3) | instid1(VALU_DEP_4)
	v_dual_ashrrev_i32 v37, 31, v37 :: v_dual_lshlrev_b32 v39, 29, v3
	v_dual_lshlrev_b32 v40, 28, v3 :: v_dual_lshlrev_b32 v41, 27, v3
	v_dual_lshlrev_b32 v42, 26, v3 :: v_dual_lshlrev_b32 v43, 25, v3
	v_cmp_gt_i32_e64 s2, 0, v38
	v_cmp_gt_i32_e64 s3, 0, v39
	v_not_b32_e32 v38, v39
	v_not_b32_e32 v39, v40
	v_lshlrev_b32_e32 v44, 24, v3
	v_cmp_gt_i32_e64 s4, 0, v40
	v_cmp_gt_i32_e64 s5, 0, v41
	v_not_b32_e32 v40, v41
	v_not_b32_e32 v41, v42
	v_dual_ashrrev_i32 v38, 31, v38 :: v_dual_ashrrev_i32 v39, 31, v39
	v_xor_b32_e32 v37, s2, v37
	v_cmp_gt_i32_e64 s6, 0, v42
	v_cmp_gt_i32_e64 s7, 0, v43
	v_not_b32_e32 v42, v43
	v_not_b32_e32 v43, v44
	v_dual_ashrrev_i32 v40, 31, v40 :: v_dual_ashrrev_i32 v41, 31, v41
	v_xor_b32_e32 v38, s3, v38
	v_xor_b32_e32 v39, s4, v39
	v_bitop3_b32 v9, v9, v37, exec_lo bitop3:0x80
	v_cmp_gt_i32_e64 s8, 0, v44
	v_dual_ashrrev_i32 v37, 31, v42 :: v_dual_ashrrev_i32 v42, 31, v43
	v_xor_b32_e32 v43, s5, v40
	v_xor_b32_e32 v41, s6, v41
	v_bitop3_b32 v9, v9, v39, v38 bitop3:0x80
	v_mad_u32_u24 v40, 0x44, v3, v2
	v_xor_b32_e32 v3, s7, v37
	v_xor_b32_e32 v37, s8, v42
	s_delay_alu instid0(VALU_DEP_4) | instskip(SKIP_2) | instid1(VALU_DEP_1)
	v_bitop3_b32 v9, v9, v41, v43 bitop3:0x80
	ds_load_b32 v38, v40 offset:64
	; wave barrier
	v_bitop3_b32 v3, v9, v37, v3 bitop3:0x80
	v_mbcnt_lo_u32_b32 v39, v3, 0
	v_cmp_ne_u32_e64 s2, 0, v3
	s_delay_alu instid0(VALU_DEP_2) | instskip(SKIP_1) | instid1(SALU_CYCLE_1)
	v_cmp_eq_u32_e32 vcc_lo, 0, v39
	s_and_b32 s3, s2, vcc_lo
	s_and_saveexec_b32 s2, s3
	s_cbranch_execz .LBB1991_39
; %bb.38:
	s_wait_dscnt 0x0
	v_bcnt_u32_b32 v3, v3, v38
	ds_store_b32 v40, v3 offset:64
.LBB1991_39:
	s_or_b32 exec_lo, exec_lo, s2
	v_cmp_gt_i16_e32 vcc_lo, 0, v8
	; wave barrier
	v_cndmask_b32_e64 v3, 0x7fff, 0, vcc_lo
	s_delay_alu instid0(VALU_DEP_1) | instskip(NEXT) | instid1(VALU_DEP_1)
	v_xor_b32_e32 v37, v3, v8
	v_cmp_ne_u16_e32 vcc_lo, 0x8000, v37
	v_cndmask_b32_e32 v3, 0x7fff, v37, vcc_lo
	s_delay_alu instid0(VALU_DEP_1) | instskip(NEXT) | instid1(VALU_DEP_1)
	v_and_b32_e32 v3, 0xffff, v3
	v_lshrrev_b32_e32 v3, s20, v3
	s_delay_alu instid0(VALU_DEP_1) | instskip(SKIP_1) | instid1(VALU_DEP_2)
	v_bitop3_b32 v8, v3, 1, s25 bitop3:0x80
	v_and_b32_e32 v3, s25, v3
	v_add_co_u32 v8, s2, v8, -1
	s_delay_alu instid0(VALU_DEP_1) | instskip(NEXT) | instid1(VALU_DEP_3)
	v_cndmask_b32_e64 v9, 0, 1, s2
	v_lshlrev_b32_e32 v41, 30, v3
	s_delay_alu instid0(VALU_DEP_2) | instskip(NEXT) | instid1(VALU_DEP_2)
	v_cmp_ne_u32_e32 vcc_lo, 0, v9
	v_not_b32_e32 v9, v41
	s_delay_alu instid0(VALU_DEP_1) | instskip(SKIP_4) | instid1(VALU_DEP_4)
	v_dual_ashrrev_i32 v9, 31, v9 :: v_dual_bitop2_b32 v8, vcc_lo, v8 bitop3:0x14
	v_dual_lshlrev_b32 v42, 29, v3 :: v_dual_lshlrev_b32 v43, 28, v3
	v_dual_lshlrev_b32 v44, 27, v3 :: v_dual_lshlrev_b32 v45, 26, v3
	v_lshlrev_b32_e32 v46, 25, v3
	v_cmp_gt_i32_e64 s2, 0, v41
	v_cmp_gt_i32_e64 s3, 0, v42
	v_not_b32_e32 v41, v42
	v_not_b32_e32 v42, v43
	v_lshlrev_b32_e32 v47, 24, v3
	v_cmp_gt_i32_e64 s4, 0, v43
	v_cmp_gt_i32_e64 s5, 0, v44
	v_not_b32_e32 v43, v44
	v_not_b32_e32 v44, v45
	v_dual_ashrrev_i32 v41, 31, v41 :: v_dual_ashrrev_i32 v42, 31, v42
	v_xor_b32_e32 v9, s2, v9
	v_cmp_gt_i32_e64 s6, 0, v45
	v_cmp_gt_i32_e64 s7, 0, v46
	v_not_b32_e32 v45, v46
	v_not_b32_e32 v46, v47
	v_dual_ashrrev_i32 v43, 31, v43 :: v_dual_ashrrev_i32 v44, 31, v44
	v_xor_b32_e32 v41, s3, v41
	v_xor_b32_e32 v42, s4, v42
	v_bitop3_b32 v8, v8, v9, exec_lo bitop3:0x80
	v_cmp_gt_i32_e64 s8, 0, v47
	v_dual_ashrrev_i32 v9, 31, v45 :: v_dual_ashrrev_i32 v45, 31, v46
	v_xor_b32_e32 v43, s5, v43
	v_xor_b32_e32 v46, s6, v44
	v_bitop3_b32 v8, v8, v42, v41 bitop3:0x80
	v_mad_u32_u24 v44, 0x44, v3, v2
	v_xor_b32_e32 v3, s7, v9
	v_xor_b32_e32 v9, s8, v45
	s_delay_alu instid0(VALU_DEP_4) | instskip(SKIP_2) | instid1(VALU_DEP_1)
	v_bitop3_b32 v8, v8, v46, v43 bitop3:0x80
	ds_load_b32 v42, v44 offset:64
	; wave barrier
	v_bitop3_b32 v3, v8, v9, v3 bitop3:0x80
	v_mbcnt_lo_u32_b32 v43, v3, 0
	v_cmp_ne_u32_e64 s2, 0, v3
	s_delay_alu instid0(VALU_DEP_2) | instskip(SKIP_1) | instid1(SALU_CYCLE_1)
	v_cmp_eq_u32_e32 vcc_lo, 0, v43
	s_and_b32 s3, s2, vcc_lo
	s_and_saveexec_b32 s2, s3
	s_cbranch_execz .LBB1991_41
; %bb.40:
	s_wait_dscnt 0x0
	v_bcnt_u32_b32 v3, v3, v42
	ds_store_b32 v44, v3 offset:64
.LBB1991_41:
	s_or_b32 exec_lo, exec_lo, s2
	v_cmp_gt_i16_e32 vcc_lo, 0, v7
	; wave barrier
	v_cndmask_b32_e64 v3, 0x7fff, 0, vcc_lo
	s_delay_alu instid0(VALU_DEP_1) | instskip(NEXT) | instid1(VALU_DEP_1)
	v_xor_b32_e32 v41, v3, v7
	v_cmp_ne_u16_e32 vcc_lo, 0x8000, v41
	v_cndmask_b32_e32 v3, 0x7fff, v41, vcc_lo
	s_delay_alu instid0(VALU_DEP_1) | instskip(NEXT) | instid1(VALU_DEP_1)
	v_and_b32_e32 v3, 0xffff, v3
	v_lshrrev_b32_e32 v3, s20, v3
	s_delay_alu instid0(VALU_DEP_1) | instskip(SKIP_1) | instid1(VALU_DEP_2)
	v_bitop3_b32 v7, v3, 1, s25 bitop3:0x80
	v_and_b32_e32 v3, s25, v3
	v_add_co_u32 v7, s2, v7, -1
	s_delay_alu instid0(VALU_DEP_1) | instskip(NEXT) | instid1(VALU_DEP_3)
	v_cndmask_b32_e64 v8, 0, 1, s2
	v_dual_lshlrev_b32 v9, 30, v3 :: v_dual_lshlrev_b32 v45, 29, v3
	v_lshlrev_b32_e32 v46, 28, v3
	s_delay_alu instid0(VALU_DEP_3) | instskip(NEXT) | instid1(VALU_DEP_3)
	v_cmp_ne_u32_e32 vcc_lo, 0, v8
	v_cmp_gt_i32_e64 s2, 0, v9
	v_not_b32_e32 v8, v9
	v_cmp_gt_i32_e64 s3, 0, v45
	v_not_b32_e32 v9, v45
	v_not_b32_e32 v45, v46
	s_delay_alu instid0(VALU_DEP_2) | instskip(NEXT) | instid1(VALU_DEP_2)
	v_dual_ashrrev_i32 v8, 31, v8 :: v_dual_ashrrev_i32 v9, 31, v9
	v_dual_ashrrev_i32 v45, 31, v45 :: v_dual_lshlrev_b32 v47, 27, v3
	v_dual_lshlrev_b32 v48, 26, v3 :: v_dual_lshlrev_b32 v49, 25, v3
	s_delay_alu instid0(VALU_DEP_3) | instskip(SKIP_1) | instid1(VALU_DEP_4)
	v_dual_lshlrev_b32 v50, 24, v3 :: v_dual_bitop2_b32 v8, s2, v8 bitop3:0x14
	v_cmp_gt_i32_e64 s4, 0, v46
	v_cmp_gt_i32_e64 s5, 0, v47
	v_not_b32_e32 v46, v47
	v_cmp_gt_i32_e64 s6, 0, v48
	v_not_b32_e32 v47, v48
	v_not_b32_e32 v48, v49
	v_xor_b32_e32 v7, vcc_lo, v7
	v_cmp_gt_i32_e64 s7, 0, v49
	v_not_b32_e32 v49, v50
	v_dual_ashrrev_i32 v46, 31, v46 :: v_dual_ashrrev_i32 v47, 31, v47
	v_xor_b32_e32 v9, s3, v9
	v_xor_b32_e32 v45, s4, v45
	v_bitop3_b32 v7, v7, v8, exec_lo bitop3:0x80
	v_cmp_gt_i32_e64 s8, 0, v50
	v_dual_ashrrev_i32 v8, 31, v48 :: v_dual_ashrrev_i32 v49, 31, v49
	v_xor_b32_e32 v46, s5, v46
	v_xor_b32_e32 v47, s6, v47
	v_bitop3_b32 v7, v7, v45, v9 bitop3:0x80
	v_mad_u32_u24 v48, 0x44, v3, v2
	v_xor_b32_e32 v3, s7, v8
	v_xor_b32_e32 v8, s8, v49
	s_delay_alu instid0(VALU_DEP_4) | instskip(SKIP_2) | instid1(VALU_DEP_1)
	v_bitop3_b32 v7, v7, v47, v46 bitop3:0x80
	ds_load_b32 v46, v48 offset:64
	; wave barrier
	v_bitop3_b32 v3, v7, v8, v3 bitop3:0x80
	v_mbcnt_lo_u32_b32 v47, v3, 0
	v_cmp_ne_u32_e64 s2, 0, v3
	s_delay_alu instid0(VALU_DEP_2) | instskip(SKIP_1) | instid1(SALU_CYCLE_1)
	v_cmp_eq_u32_e32 vcc_lo, 0, v47
	s_and_b32 s3, s2, vcc_lo
	s_and_saveexec_b32 s2, s3
	s_cbranch_execz .LBB1991_43
; %bb.42:
	s_wait_dscnt 0x0
	v_bcnt_u32_b32 v3, v3, v46
	ds_store_b32 v48, v3 offset:64
.LBB1991_43:
	s_or_b32 exec_lo, exec_lo, s2
	v_cmp_gt_i16_e32 vcc_lo, 0, v6
	; wave barrier
	v_cndmask_b32_e64 v3, 0x7fff, 0, vcc_lo
	s_delay_alu instid0(VALU_DEP_1) | instskip(NEXT) | instid1(VALU_DEP_1)
	v_xor_b32_e32 v45, v3, v6
	v_cmp_ne_u16_e32 vcc_lo, 0x8000, v45
	v_cndmask_b32_e32 v3, 0x7fff, v45, vcc_lo
	s_delay_alu instid0(VALU_DEP_1) | instskip(NEXT) | instid1(VALU_DEP_1)
	v_and_b32_e32 v3, 0xffff, v3
	v_lshrrev_b32_e32 v3, s20, v3
	s_delay_alu instid0(VALU_DEP_1) | instskip(SKIP_1) | instid1(VALU_DEP_2)
	v_bitop3_b32 v6, v3, 1, s25 bitop3:0x80
	v_and_b32_e32 v3, s25, v3
	v_add_co_u32 v6, s2, v6, -1
	s_delay_alu instid0(VALU_DEP_1) | instskip(NEXT) | instid1(VALU_DEP_3)
	v_cndmask_b32_e64 v7, 0, 1, s2
	v_dual_lshlrev_b32 v8, 30, v3 :: v_dual_lshlrev_b32 v9, 29, v3
	v_lshlrev_b32_e32 v49, 28, v3
	s_delay_alu instid0(VALU_DEP_3) | instskip(NEXT) | instid1(VALU_DEP_3)
	v_cmp_ne_u32_e32 vcc_lo, 0, v7
	v_cmp_gt_i32_e64 s2, 0, v8
	v_not_b32_e32 v7, v8
	v_cmp_gt_i32_e64 s3, 0, v9
	v_not_b32_e32 v8, v9
	v_not_b32_e32 v9, v49
	s_delay_alu instid0(VALU_DEP_2) | instskip(NEXT) | instid1(VALU_DEP_2)
	v_dual_ashrrev_i32 v8, 31, v8 :: v_dual_bitop2_b32 v6, vcc_lo, v6 bitop3:0x14
	v_dual_ashrrev_i32 v9, 31, v9 :: v_dual_lshlrev_b32 v50, 27, v3
	v_dual_lshlrev_b32 v51, 26, v3 :: v_dual_lshlrev_b32 v52, 25, v3
	v_cmp_gt_i32_e64 s4, 0, v49
	v_lshlrev_b32_e32 v53, 24, v3
	s_delay_alu instid0(VALU_DEP_4) | instskip(SKIP_4) | instid1(VALU_DEP_4)
	v_not_b32_e32 v49, v50
	v_ashrrev_i32_e32 v7, 31, v7
	v_cmp_gt_i32_e64 s5, 0, v50
	v_not_b32_e32 v50, v51
	v_cmp_gt_i32_e64 s6, 0, v51
	v_dual_ashrrev_i32 v49, 31, v49 :: v_dual_bitop2_b32 v7, s2, v7 bitop3:0x14
	v_cmp_gt_i32_e64 s7, 0, v52
	v_not_b32_e32 v51, v52
	v_not_b32_e32 v52, v53
	v_dual_ashrrev_i32 v50, 31, v50 :: v_dual_bitop2_b32 v8, s3, v8 bitop3:0x14
	v_xor_b32_e32 v9, s4, v9
	v_bitop3_b32 v6, v6, v7, exec_lo bitop3:0x80
	v_cmp_gt_i32_e64 s8, 0, v53
	v_dual_ashrrev_i32 v7, 31, v51 :: v_dual_ashrrev_i32 v51, 31, v52
	v_xor_b32_e32 v49, s5, v49
	v_xor_b32_e32 v50, s6, v50
	v_bitop3_b32 v6, v6, v9, v8 bitop3:0x80
	v_mad_u32_u24 v52, 0x44, v3, v2
	v_xor_b32_e32 v3, s7, v7
	v_xor_b32_e32 v7, s8, v51
	s_delay_alu instid0(VALU_DEP_4) | instskip(SKIP_2) | instid1(VALU_DEP_1)
	v_bitop3_b32 v6, v6, v50, v49 bitop3:0x80
	ds_load_b32 v49, v52 offset:64
	; wave barrier
	v_bitop3_b32 v3, v6, v7, v3 bitop3:0x80
	v_mbcnt_lo_u32_b32 v51, v3, 0
	v_cmp_ne_u32_e64 s2, 0, v3
	s_delay_alu instid0(VALU_DEP_2) | instskip(SKIP_1) | instid1(SALU_CYCLE_1)
	v_cmp_eq_u32_e32 vcc_lo, 0, v51
	s_and_b32 s3, s2, vcc_lo
	s_and_saveexec_b32 s2, s3
	s_cbranch_execz .LBB1991_45
; %bb.44:
	s_wait_dscnt 0x0
	v_bcnt_u32_b32 v3, v3, v49
	ds_store_b32 v52, v3 offset:64
.LBB1991_45:
	s_or_b32 exec_lo, exec_lo, s2
	v_cmp_gt_i16_e32 vcc_lo, 0, v5
	; wave barrier
	v_cndmask_b32_e64 v3, 0x7fff, 0, vcc_lo
	s_delay_alu instid0(VALU_DEP_1) | instskip(NEXT) | instid1(VALU_DEP_1)
	v_xor_b32_e32 v50, v3, v5
	v_cmp_ne_u16_e32 vcc_lo, 0x8000, v50
	v_cndmask_b32_e32 v3, 0x7fff, v50, vcc_lo
	s_delay_alu instid0(VALU_DEP_1) | instskip(NEXT) | instid1(VALU_DEP_1)
	v_and_b32_e32 v3, 0xffff, v3
	v_lshrrev_b32_e32 v3, s20, v3
	s_delay_alu instid0(VALU_DEP_1) | instskip(SKIP_1) | instid1(VALU_DEP_2)
	v_bitop3_b32 v5, v3, 1, s25 bitop3:0x80
	v_and_b32_e32 v3, s25, v3
	v_add_co_u32 v5, s2, v5, -1
	s_delay_alu instid0(VALU_DEP_1) | instskip(NEXT) | instid1(VALU_DEP_3)
	v_cndmask_b32_e64 v6, 0, 1, s2
	v_lshlrev_b32_e32 v7, 30, v3
	s_delay_alu instid0(VALU_DEP_2) | instskip(NEXT) | instid1(VALU_DEP_2)
	v_cmp_ne_u32_e32 vcc_lo, 0, v6
	v_not_b32_e32 v6, v7
	s_delay_alu instid0(VALU_DEP_1) | instskip(SKIP_4) | instid1(VALU_DEP_4)
	v_dual_ashrrev_i32 v6, 31, v6 :: v_dual_bitop2_b32 v5, vcc_lo, v5 bitop3:0x14
	v_dual_lshlrev_b32 v8, 29, v3 :: v_dual_lshlrev_b32 v9, 28, v3
	v_dual_lshlrev_b32 v53, 27, v3 :: v_dual_lshlrev_b32 v54, 26, v3
	v_lshlrev_b32_e32 v55, 25, v3
	v_cmp_gt_i32_e64 s2, 0, v7
	v_cmp_gt_i32_e64 s3, 0, v8
	v_not_b32_e32 v7, v8
	v_not_b32_e32 v8, v9
	v_lshlrev_b32_e32 v56, 24, v3
	v_cmp_gt_i32_e64 s4, 0, v9
	v_cmp_gt_i32_e64 s5, 0, v53
	v_not_b32_e32 v9, v53
	v_not_b32_e32 v53, v54
	v_dual_ashrrev_i32 v7, 31, v7 :: v_dual_bitop2_b32 v6, s2, v6 bitop3:0x14
	v_ashrrev_i32_e32 v8, 31, v8
	v_cmp_gt_i32_e64 s6, 0, v54
	v_cmp_gt_i32_e64 s7, 0, v55
	v_not_b32_e32 v54, v55
	v_not_b32_e32 v55, v56
	v_dual_ashrrev_i32 v9, 31, v9 :: v_dual_bitop2_b32 v7, s3, v7 bitop3:0x14
	v_dual_ashrrev_i32 v53, 31, v53 :: v_dual_bitop2_b32 v8, s4, v8 bitop3:0x14
	v_bitop3_b32 v5, v5, v6, exec_lo bitop3:0x80
	v_cmp_gt_i32_e64 s8, 0, v56
	v_dual_ashrrev_i32 v6, 31, v54 :: v_dual_ashrrev_i32 v54, 31, v55
	v_xor_b32_e32 v9, s5, v9
	v_xor_b32_e32 v53, s6, v53
	v_bitop3_b32 v5, v5, v8, v7 bitop3:0x80
	v_mad_u32_u24 v57, 0x44, v3, v2
	v_xor_b32_e32 v3, s7, v6
	v_xor_b32_e32 v6, s8, v54
	s_delay_alu instid0(VALU_DEP_4) | instskip(SKIP_2) | instid1(VALU_DEP_1)
	v_bitop3_b32 v5, v5, v53, v9 bitop3:0x80
	ds_load_b32 v53, v57 offset:64
	; wave barrier
	v_bitop3_b32 v3, v5, v6, v3 bitop3:0x80
	v_mbcnt_lo_u32_b32 v54, v3, 0
	v_cmp_ne_u32_e64 s2, 0, v3
	s_delay_alu instid0(VALU_DEP_2) | instskip(SKIP_1) | instid1(SALU_CYCLE_1)
	v_cmp_eq_u32_e32 vcc_lo, 0, v54
	s_and_b32 s3, s2, vcc_lo
	s_and_saveexec_b32 s2, s3
	s_cbranch_execz .LBB1991_47
; %bb.46:
	s_wait_dscnt 0x0
	v_bcnt_u32_b32 v3, v3, v53
	ds_store_b32 v57, v3 offset:64
.LBB1991_47:
	s_or_b32 exec_lo, exec_lo, s2
	v_cmp_gt_i16_e32 vcc_lo, 0, v4
	; wave barrier
	v_cndmask_b32_e64 v3, 0x7fff, 0, vcc_lo
	s_delay_alu instid0(VALU_DEP_1) | instskip(NEXT) | instid1(VALU_DEP_1)
	v_xor_b32_e32 v55, v3, v4
	v_cmp_ne_u16_e32 vcc_lo, 0x8000, v55
	v_cndmask_b32_e32 v3, 0x7fff, v55, vcc_lo
	s_delay_alu instid0(VALU_DEP_1) | instskip(NEXT) | instid1(VALU_DEP_1)
	v_and_b32_e32 v3, 0xffff, v3
	v_lshrrev_b32_e32 v3, s20, v3
	s_delay_alu instid0(VALU_DEP_1) | instskip(SKIP_1) | instid1(VALU_DEP_2)
	v_bitop3_b32 v4, v3, 1, s25 bitop3:0x80
	v_and_b32_e32 v3, s25, v3
	v_add_co_u32 v4, s2, v4, -1
	s_delay_alu instid0(VALU_DEP_1) | instskip(NEXT) | instid1(VALU_DEP_3)
	v_cndmask_b32_e64 v5, 0, 1, s2
	v_lshlrev_b32_e32 v6, 30, v3
	s_delay_alu instid0(VALU_DEP_2) | instskip(NEXT) | instid1(VALU_DEP_2)
	v_cmp_ne_u32_e32 vcc_lo, 0, v5
	v_not_b32_e32 v5, v6
	s_delay_alu instid0(VALU_DEP_1) | instskip(SKIP_4) | instid1(VALU_DEP_4)
	v_dual_ashrrev_i32 v5, 31, v5 :: v_dual_bitop2_b32 v4, vcc_lo, v4 bitop3:0x14
	v_dual_lshlrev_b32 v7, 29, v3 :: v_dual_lshlrev_b32 v8, 28, v3
	v_dual_lshlrev_b32 v9, 27, v3 :: v_dual_lshlrev_b32 v56, 26, v3
	v_lshlrev_b32_e32 v58, 25, v3
	v_cmp_gt_i32_e64 s2, 0, v6
	v_cmp_gt_i32_e64 s3, 0, v7
	v_not_b32_e32 v6, v7
	v_not_b32_e32 v7, v8
	v_lshlrev_b32_e32 v59, 24, v3
	v_cmp_gt_i32_e64 s4, 0, v8
	v_cmp_gt_i32_e64 s5, 0, v9
	v_not_b32_e32 v8, v9
	v_not_b32_e32 v9, v56
	v_dual_ashrrev_i32 v6, 31, v6 :: v_dual_ashrrev_i32 v7, 31, v7
	v_xor_b32_e32 v5, s2, v5
	v_cmp_gt_i32_e64 s6, 0, v56
	v_cmp_gt_i32_e64 s7, 0, v58
	v_not_b32_e32 v56, v58
	v_not_b32_e32 v58, v59
	v_dual_ashrrev_i32 v8, 31, v8 :: v_dual_ashrrev_i32 v9, 31, v9
	v_xor_b32_e32 v6, s3, v6
	v_xor_b32_e32 v7, s4, v7
	v_bitop3_b32 v4, v4, v5, exec_lo bitop3:0x80
	v_cmp_gt_i32_e64 s8, 0, v59
	v_dual_ashrrev_i32 v5, 31, v56 :: v_dual_ashrrev_i32 v56, 31, v58
	v_xor_b32_e32 v8, s5, v8
	v_xor_b32_e32 v9, s6, v9
	v_bitop3_b32 v4, v4, v7, v6 bitop3:0x80
	v_mad_u32_u24 v59, 0x44, v3, v2
	v_xor_b32_e32 v2, s7, v5
	v_xor_b32_e32 v3, s8, v56
	s_delay_alu instid0(VALU_DEP_4) | instskip(SKIP_2) | instid1(VALU_DEP_1)
	v_bitop3_b32 v4, v4, v9, v8 bitop3:0x80
	ds_load_b32 v56, v59 offset:64
	; wave barrier
	v_bitop3_b32 v2, v4, v3, v2 bitop3:0x80
	v_mbcnt_lo_u32_b32 v58, v2, 0
	v_cmp_ne_u32_e64 s2, 0, v2
	s_delay_alu instid0(VALU_DEP_2) | instskip(SKIP_1) | instid1(SALU_CYCLE_1)
	v_cmp_eq_u32_e32 vcc_lo, 0, v58
	s_and_b32 s3, s2, vcc_lo
	s_and_saveexec_b32 s2, s3
	s_cbranch_execz .LBB1991_49
; %bb.48:
	s_wait_dscnt 0x0
	v_bcnt_u32_b32 v2, v2, v56
	ds_store_b32 v59, v2 offset:64
.LBB1991_49:
	s_or_b32 exec_lo, exec_lo, s2
	; wave barrier
	s_wait_dscnt 0x0
	s_barrier_signal -1
	s_barrier_wait -1
	ds_load_2addr_b32 v[8:9], v13 offset0:16 offset1:17
	ds_load_2addr_b32 v[6:7], v13 offset0:18 offset1:19
	;; [unrolled: 1-line block ×4, first 2 shown]
	ds_load_b32 v60, v13 offset:96
	s_mov_b32 s6, exec_lo
	s_wait_dscnt 0x3
	v_add3_u32 v61, v9, v8, v6
	s_wait_dscnt 0x2
	s_delay_alu instid0(VALU_DEP_1) | instskip(SKIP_1) | instid1(VALU_DEP_1)
	v_add3_u32 v61, v61, v7, v4
	s_wait_dscnt 0x1
	v_add3_u32 v61, v61, v5, v2
	s_wait_dscnt 0x0
	s_delay_alu instid0(VALU_DEP_1) | instskip(SKIP_1) | instid1(VALU_DEP_2)
	v_add3_u32 v60, v61, v3, v60
	v_and_b32_e32 v61, 15, v14
	v_mov_b32_dpp v62, v60 row_shr:1 row_mask:0xf bank_mask:0xf
	s_delay_alu instid0(VALU_DEP_2) | instskip(NEXT) | instid1(VALU_DEP_2)
	v_cmp_eq_u32_e32 vcc_lo, 0, v61
	v_cndmask_b32_e64 v62, v62, 0, vcc_lo
	s_delay_alu instid0(VALU_DEP_1) | instskip(SKIP_3) | instid1(VALU_DEP_4)
	v_add_nc_u32_e32 v60, v62, v60
	v_cmp_lt_u32_e64 s2, 1, v61
	v_cmp_lt_u32_e64 s3, 3, v61
	;; [unrolled: 1-line block ×3, first 2 shown]
	v_mov_b32_dpp v62, v60 row_shr:2 row_mask:0xf bank_mask:0xf
	s_delay_alu instid0(VALU_DEP_1) | instskip(NEXT) | instid1(VALU_DEP_1)
	v_cndmask_b32_e64 v62, 0, v62, s2
	v_add_nc_u32_e32 v60, v60, v62
	s_delay_alu instid0(VALU_DEP_1) | instskip(NEXT) | instid1(VALU_DEP_1)
	v_mov_b32_dpp v62, v60 row_shr:4 row_mask:0xf bank_mask:0xf
	v_cndmask_b32_e64 v62, 0, v62, s3
	s_delay_alu instid0(VALU_DEP_1) | instskip(NEXT) | instid1(VALU_DEP_1)
	v_add_nc_u32_e32 v60, v60, v62
	v_mov_b32_dpp v62, v60 row_shr:8 row_mask:0xf bank_mask:0xf
	s_delay_alu instid0(VALU_DEP_1) | instskip(SKIP_1) | instid1(VALU_DEP_2)
	v_cndmask_b32_e64 v61, 0, v62, s4
	v_bfe_i32 v62, v14, 4, 1
	v_add_nc_u32_e32 v60, v60, v61
	ds_swizzle_b32 v61, v60 offset:swizzle(BROADCAST,32,15)
	s_wait_dscnt 0x0
	v_and_b32_e32 v61, v62, v61
	v_min_u32_e32 v62, 0x1e0, v15
	s_delay_alu instid0(VALU_DEP_1) | instskip(SKIP_1) | instid1(VALU_DEP_2)
	v_dual_add_nc_u32 v60, v60, v61 :: v_dual_bitop2_b32 v62, 31, v62 bitop3:0x54
	v_lshrrev_b32_e32 v61, 5, v1
	v_cmpx_eq_u32_e64 v1, v62
; %bb.50:
	s_delay_alu instid0(VALU_DEP_2)
	v_lshlrev_b32_e32 v62, 2, v61
	ds_store_b32 v62, v60
; %bb.51:
	s_or_b32 exec_lo, exec_lo, s6
	s_delay_alu instid0(SALU_CYCLE_1)
	s_mov_b32 s6, exec_lo
	s_wait_dscnt 0x0
	s_barrier_signal -1
	s_barrier_wait -1
	v_cmpx_gt_u32_e32 16, v1
	s_cbranch_execz .LBB1991_53
; %bb.52:
	v_lshlrev_b32_e32 v62, 2, v1
	ds_load_b32 v63, v62
	s_wait_dscnt 0x0
	v_mov_b32_dpp v64, v63 row_shr:1 row_mask:0xf bank_mask:0xf
	s_delay_alu instid0(VALU_DEP_1) | instskip(NEXT) | instid1(VALU_DEP_1)
	v_cndmask_b32_e64 v64, v64, 0, vcc_lo
	v_add_nc_u32_e32 v63, v64, v63
	s_delay_alu instid0(VALU_DEP_1) | instskip(NEXT) | instid1(VALU_DEP_1)
	v_mov_b32_dpp v64, v63 row_shr:2 row_mask:0xf bank_mask:0xf
	v_cndmask_b32_e64 v64, 0, v64, s2
	s_delay_alu instid0(VALU_DEP_1) | instskip(NEXT) | instid1(VALU_DEP_1)
	v_add_nc_u32_e32 v63, v63, v64
	v_mov_b32_dpp v64, v63 row_shr:4 row_mask:0xf bank_mask:0xf
	s_delay_alu instid0(VALU_DEP_1) | instskip(NEXT) | instid1(VALU_DEP_1)
	v_cndmask_b32_e64 v64, 0, v64, s3
	v_add_nc_u32_e32 v63, v63, v64
	s_delay_alu instid0(VALU_DEP_1) | instskip(NEXT) | instid1(VALU_DEP_1)
	v_mov_b32_dpp v64, v63 row_shr:8 row_mask:0xf bank_mask:0xf
	v_cndmask_b32_e64 v64, 0, v64, s4
	s_delay_alu instid0(VALU_DEP_1)
	v_add_nc_u32_e32 v63, v63, v64
	ds_store_b32 v62, v63
.LBB1991_53:
	s_or_b32 exec_lo, exec_lo, s6
	v_mov_b32_e32 v62, 0
	s_mov_b32 s2, exec_lo
	s_wait_dscnt 0x0
	s_barrier_signal -1
	s_barrier_wait -1
	v_cmpx_lt_u32_e32 31, v1
; %bb.54:
	v_lshl_add_u32 v61, v61, 2, -4
	ds_load_b32 v62, v61
; %bb.55:
	s_or_b32 exec_lo, exec_lo, s2
	v_sub_co_u32 v61, vcc_lo, v14, 1
	s_wait_dscnt 0x0
	v_add_nc_u32_e32 v60, v62, v60
	s_delay_alu instid0(VALU_DEP_2) | instskip(NEXT) | instid1(VALU_DEP_1)
	v_cmp_gt_i32_e64 s2, 0, v61
	v_cndmask_b32_e64 v61, v61, v14, s2
	v_cmp_gt_u32_e64 s2, 0x100, v1
	s_delay_alu instid0(VALU_DEP_2) | instskip(SKIP_4) | instid1(VALU_DEP_2)
	v_lshlrev_b32_e32 v61, 2, v61
	ds_bpermute_b32 v60, v61, v60
	s_wait_dscnt 0x0
	v_cndmask_b32_e32 v60, v60, v62, vcc_lo
	v_cmp_ne_u32_e32 vcc_lo, 0, v1
	v_cndmask_b32_e32 v60, 0, v60, vcc_lo
	v_cmp_lt_u32_e32 vcc_lo, 0xff, v1
	s_delay_alu instid0(VALU_DEP_2) | instskip(NEXT) | instid1(VALU_DEP_1)
	v_add_nc_u32_e32 v8, v60, v8
	v_add_nc_u32_e32 v9, v8, v9
	s_delay_alu instid0(VALU_DEP_1) | instskip(NEXT) | instid1(VALU_DEP_1)
	v_add_nc_u32_e32 v6, v9, v6
	v_add_nc_u32_e32 v7, v6, v7
	s_delay_alu instid0(VALU_DEP_1) | instskip(NEXT) | instid1(VALU_DEP_1)
	;; [unrolled: 3-line block ×3, first 2 shown]
	v_add_nc_u32_e32 v2, v5, v2
	v_add_nc_u32_e32 v3, v2, v3
	ds_store_2addr_b32 v13, v60, v8 offset0:16 offset1:17
	ds_store_2addr_b32 v13, v9, v6 offset0:18 offset1:19
	;; [unrolled: 1-line block ×4, first 2 shown]
	ds_store_b32 v13, v3 offset:96
	s_wait_dscnt 0x0
	s_barrier_signal -1
	s_barrier_wait -1
	ds_load_b32 v61, v16 offset:64
	ds_load_b32 v62, v20 offset:64
	;; [unrolled: 1-line block ×12, first 2 shown]
	v_mov_b64_e32 v[2:3], 0
                                        ; implicit-def: $vgpr4
	s_and_saveexec_b32 s4, s2
	s_cbranch_execz .LBB1991_59
; %bb.56:
	v_mul_u32_u24_e32 v2, 0x44, v1
	v_dual_mov_b32 v3, 0x1800 :: v_dual_add_nc_u32 v4, 1, v1
	s_mov_b32 s5, exec_lo
	ds_load_b32 v2, v2 offset:64
	v_cmpx_ne_u32_e32 0x100, v4
; %bb.57:
	v_mul_u32_u24_e32 v3, 0x44, v4
	ds_load_b32 v3, v3 offset:64
; %bb.58:
	s_or_b32 exec_lo, exec_lo, s5
	s_wait_dscnt 0x0
	v_dual_mov_b32 v3, 0 :: v_dual_sub_nc_u32 v4, v3, v2
.LBB1991_59:
	s_or_b32 exec_lo, exec_lo, s4
	s_wait_dscnt 0xa
	v_dual_lshlrev_b32 v11, 1, v11 :: v_dual_lshlrev_b32 v28, 1, v62
	v_dual_lshlrev_b32 v19, 1, v19 :: v_dual_lshlrev_b32 v18, 1, v18
	v_lshlrev_b32_e32 v22, 1, v22
	s_delay_alu instid0(VALU_DEP_3)
	v_lshl_add_u32 v11, v61, 1, v11
	v_lshlrev_b32_e32 v23, 1, v23
	s_wait_dscnt 0x0
	v_add3_u32 v18, v28, v19, v18
	v_lshlrev_b32_e32 v19, 1, v60
	s_barrier_signal -1
	s_barrier_wait -1
	ds_store_b16 v11, v10 offset:2048
	ds_store_b16 v18, v12 offset:2048
	v_lshlrev_b32_e32 v11, 1, v24
	v_add3_u32 v10, v19, v23, v22
	v_dual_lshlrev_b32 v12, 1, v27 :: v_dual_lshlrev_b32 v18, 1, v26
	v_dual_lshlrev_b32 v22, 1, v29 :: v_dual_lshlrev_b32 v16, 1, v16
	;; [unrolled: 1-line block ×6, first 2 shown]
	ds_store_b16 v10, v17 offset:2048
	v_add3_u32 v10, v11, v12, v18
	v_add3_u32 v12, v16, v23, v24
	v_dual_lshlrev_b32 v16, 1, v43 :: v_dual_lshlrev_b32 v17, 1, v42
	v_add3_u32 v11, v19, v20, v22
	v_add3_u32 v13, v13, v26, v27
	ds_store_b16 v10, v21 offset:2048
	ds_store_b16 v11, v25 offset:2048
	ds_store_b16 v12, v30 offset:2048
	ds_store_b16 v13, v35 offset:2048
	v_add3_u32 v9, v9, v16, v17
	v_dual_lshlrev_b32 v8, 1, v8 :: v_dual_lshlrev_b32 v10, 1, v47
	v_dual_lshlrev_b32 v11, 1, v46 :: v_dual_lshlrev_b32 v7, 1, v7
	;; [unrolled: 1-line block ×6, first 2 shown]
	ds_store_b16 v9, v37 offset:2048
	v_add3_u32 v8, v8, v10, v11
	v_add3_u32 v9, v7, v12, v13
	;; [unrolled: 1-line block ×3, first 2 shown]
	v_dual_mov_b32 v7, 0 :: v_dual_lshlrev_b32 v5, 3, v1
	v_add3_u32 v6, v6, v16, v17
	ds_store_b16 v8, v41 offset:2048
	ds_store_b16 v9, v45 offset:2048
	;; [unrolled: 1-line block ×4, first 2 shown]
	s_and_saveexec_b32 s3, s2
	s_cbranch_execz .LBB1991_69
; %bb.60:
	v_lshl_add_u32 v6, s9, 8, v1
	v_dual_mov_b32 v10, 0 :: v_dual_bitop2_b32 v11, 2.0, v4 bitop3:0x54
	s_mov_b32 s4, 0
	s_mov_b32 s5, s9
	s_delay_alu instid0(VALU_DEP_2)
	v_lshl_add_u64 v[8:9], v[6:7], 2, s[10:11]
	global_store_b32 v6, v11, s[10:11] scale_offset scope:SCOPE_DEV
                                        ; implicit-def: $sgpr2
	s_branch .LBB1991_63
.LBB1991_61:                            ;   in Loop: Header=BB1991_63 Depth=1
	s_or_b32 exec_lo, exec_lo, s7
.LBB1991_62:                            ;   in Loop: Header=BB1991_63 Depth=1
	s_delay_alu instid0(SALU_CYCLE_1) | instskip(SKIP_2) | instid1(VALU_DEP_2)
	s_or_b32 exec_lo, exec_lo, s6
	v_and_b32_e32 v6, 0x3fffffff, v11
	v_cmp_gt_i32_e64 s2, -2.0, v11
	v_add_nc_u32_e32 v10, v6, v10
	s_and_b32 s6, exec_lo, s2
	s_delay_alu instid0(SALU_CYCLE_1) | instskip(NEXT) | instid1(SALU_CYCLE_1)
	s_or_b32 s4, s6, s4
	s_and_not1_b32 exec_lo, exec_lo, s4
	s_cbranch_execz .LBB1991_68
.LBB1991_63:                            ; =>This Loop Header: Depth=1
                                        ;     Child Loop BB1991_66 Depth 2
	s_or_b32 s2, s2, exec_lo
	s_cmp_eq_u32 s5, 0
	s_cbranch_scc1 .LBB1991_67
; %bb.64:                               ;   in Loop: Header=BB1991_63 Depth=1
	s_add_co_i32 s5, s5, -1
	s_mov_b32 s6, exec_lo
	s_wait_xcnt 0x0
	v_lshl_or_b32 v6, s5, 8, v1
	global_load_b32 v11, v6, s[10:11] scale_offset scope:SCOPE_DEV
	s_wait_loadcnt 0x0
	v_cmpx_gt_u32_e32 2.0, v11
	s_cbranch_execz .LBB1991_62
; %bb.65:                               ;   in Loop: Header=BB1991_63 Depth=1
	v_lshl_add_u64 v[12:13], v[6:7], 2, s[10:11]
	s_mov_b32 s7, 0
.LBB1991_66:                            ;   Parent Loop BB1991_63 Depth=1
                                        ; =>  This Inner Loop Header: Depth=2
	global_load_b32 v11, v[12:13], off scope:SCOPE_DEV
	s_wait_loadcnt 0x0
	v_cmp_lt_u32_e64 s2, 0x3fffffff, v11
	s_or_b32 s7, s2, s7
	s_wait_xcnt 0x0
	s_and_not1_b32 exec_lo, exec_lo, s7
	s_cbranch_execnz .LBB1991_66
	s_branch .LBB1991_61
.LBB1991_67:                            ;   in Loop: Header=BB1991_63 Depth=1
                                        ; implicit-def: $sgpr5
	s_and_b32 s6, exec_lo, s2
	s_delay_alu instid0(SALU_CYCLE_1)
	s_or_b32 s4, s6, s4
	s_wait_xcnt 0x0
	s_and_not1_b32 exec_lo, exec_lo, s4
	s_cbranch_execnz .LBB1991_63
.LBB1991_68:
	s_or_b32 exec_lo, exec_lo, s4
	v_dual_mov_b32 v11, 0 :: v_dual_add_nc_u32 v6, v10, v4
	s_delay_alu instid0(VALU_DEP_1) | instskip(SKIP_4) | instid1(VALU_DEP_1)
	v_or_b32_e32 v6, 0x80000000, v6
	global_store_b32 v[8:9], v6, off scope:SCOPE_DEV
	global_load_b64 v[6:7], v1, s[12:13] scale_offset
	v_sub_nc_u64_e32 v[8:9], v[10:11], v[2:3]
	s_wait_loadcnt 0x0
	v_add_nc_u64_e32 v[6:7], v[8:9], v[6:7]
	ds_store_b64 v5, v[6:7]
.LBB1991_69:
	s_wait_xcnt 0x0
	s_or_b32 exec_lo, exec_lo, s3
	v_mad_i32_i24 v8, v1, -6, v5
	v_lshlrev_b32_e32 v6, 1, v1
	s_mov_b32 s3, exec_lo
	s_wait_storecnt_dscnt 0x0
	s_barrier_signal -1
	s_barrier_wait -1
	v_cmpx_gt_u32_e64 s22, v1
	s_cbranch_execz .LBB1991_71
; %bb.70:
	ds_load_u16 v9, v8 offset:2048
	s_wait_dscnt 0x0
	v_cmp_ne_u16_e64 s2, 0x8000, v9
	s_delay_alu instid0(VALU_DEP_1) | instskip(SKIP_1) | instid1(VALU_DEP_2)
	v_cndmask_b32_e64 v7, 0x7fff, v9, s2
	v_cmp_gt_i16_e64 s2, 0, v9
	v_and_b32_e32 v7, 0xffff, v7
	s_delay_alu instid0(VALU_DEP_2) | instskip(NEXT) | instid1(VALU_DEP_2)
	v_cndmask_b32_e64 v12, 0x7fff, 0, s2
	v_lshrrev_b32_e32 v7, s20, v7
	s_delay_alu instid0(VALU_DEP_1) | instskip(NEXT) | instid1(VALU_DEP_1)
	v_and_b32_e32 v7, s25, v7
	v_lshlrev_b32_e32 v7, 3, v7
	ds_load_b64 v[10:11], v7
	v_mov_b32_e32 v7, 0
	s_wait_dscnt 0x0
	v_lshl_add_u64 v[10:11], v[10:11], 1, s[18:19]
	s_delay_alu instid0(VALU_DEP_1)
	v_add_nc_u64_e32 v[10:11], v[10:11], v[6:7]
	v_xor_b32_e32 v7, v12, v9
	global_store_b16 v[10:11], v7, off
.LBB1991_71:
	s_wait_xcnt 0x0
	s_or_b32 exec_lo, exec_lo, s3
	v_add_nc_u32_e32 v7, 0x200, v1
	s_mov_b32 s3, exec_lo
	s_delay_alu instid0(VALU_DEP_1)
	v_cmpx_gt_u32_e64 s22, v7
	s_cbranch_execz .LBB1991_73
; %bb.72:
	ds_load_u16 v9, v8 offset:3072
	s_wait_dscnt 0x0
	v_cmp_ne_u16_e64 s2, 0x8000, v9
	s_delay_alu instid0(VALU_DEP_1) | instskip(SKIP_1) | instid1(VALU_DEP_2)
	v_cndmask_b32_e64 v7, 0x7fff, v9, s2
	v_cmp_gt_i16_e64 s2, 0, v9
	v_and_b32_e32 v7, 0xffff, v7
	s_delay_alu instid0(VALU_DEP_2) | instskip(NEXT) | instid1(VALU_DEP_2)
	v_cndmask_b32_e64 v12, 0x7fff, 0, s2
	v_lshrrev_b32_e32 v7, s20, v7
	s_delay_alu instid0(VALU_DEP_1) | instskip(NEXT) | instid1(VALU_DEP_1)
	v_and_b32_e32 v7, s25, v7
	v_lshlrev_b32_e32 v7, 3, v7
	ds_load_b64 v[10:11], v7
	v_mov_b32_e32 v7, 0
	s_wait_dscnt 0x0
	v_lshl_add_u64 v[10:11], v[10:11], 1, s[18:19]
	s_delay_alu instid0(VALU_DEP_1)
	v_add_nc_u64_e32 v[10:11], v[10:11], v[6:7]
	v_xor_b32_e32 v7, v12, v9
	global_store_b16 v[10:11], v7, off offset:1024
.LBB1991_73:
	s_wait_xcnt 0x0
	s_or_b32 exec_lo, exec_lo, s3
	v_or_b32_e32 v7, 0x400, v1
	s_mov_b32 s3, exec_lo
	s_delay_alu instid0(VALU_DEP_1)
	v_cmpx_gt_u32_e64 s22, v7
	s_cbranch_execz .LBB1991_75
; %bb.74:
	ds_load_u16 v9, v8 offset:4096
	s_wait_dscnt 0x0
	v_cmp_ne_u16_e64 s2, 0x8000, v9
	s_delay_alu instid0(VALU_DEP_1) | instskip(SKIP_1) | instid1(VALU_DEP_2)
	v_cndmask_b32_e64 v7, 0x7fff, v9, s2
	v_cmp_gt_i16_e64 s2, 0, v9
	v_and_b32_e32 v7, 0xffff, v7
	s_delay_alu instid0(VALU_DEP_2) | instskip(NEXT) | instid1(VALU_DEP_2)
	v_cndmask_b32_e64 v12, 0x7fff, 0, s2
	v_lshrrev_b32_e32 v7, s20, v7
	s_delay_alu instid0(VALU_DEP_1) | instskip(NEXT) | instid1(VALU_DEP_1)
	v_and_b32_e32 v7, s25, v7
	v_lshlrev_b32_e32 v7, 3, v7
	ds_load_b64 v[10:11], v7
	v_mov_b32_e32 v7, 0
	s_wait_dscnt 0x0
	v_lshl_add_u64 v[10:11], v[10:11], 1, s[18:19]
	s_delay_alu instid0(VALU_DEP_1)
	v_add_nc_u64_e32 v[10:11], v[10:11], v[6:7]
	v_xor_b32_e32 v7, v12, v9
	global_store_b16 v[10:11], v7, off offset:2048
.LBB1991_75:
	s_wait_xcnt 0x0
	s_or_b32 exec_lo, exec_lo, s3
	v_add_nc_u32_e32 v7, 0x600, v1
	s_mov_b32 s3, exec_lo
	s_delay_alu instid0(VALU_DEP_1)
	v_cmpx_gt_u32_e64 s22, v7
	s_cbranch_execz .LBB1991_77
; %bb.76:
	ds_load_u16 v9, v8 offset:5120
	s_wait_dscnt 0x0
	v_cmp_ne_u16_e64 s2, 0x8000, v9
	s_delay_alu instid0(VALU_DEP_1) | instskip(SKIP_1) | instid1(VALU_DEP_2)
	v_cndmask_b32_e64 v7, 0x7fff, v9, s2
	v_cmp_gt_i16_e64 s2, 0, v9
	v_and_b32_e32 v7, 0xffff, v7
	s_delay_alu instid0(VALU_DEP_2) | instskip(NEXT) | instid1(VALU_DEP_2)
	v_cndmask_b32_e64 v12, 0x7fff, 0, s2
	v_lshrrev_b32_e32 v7, s20, v7
	s_delay_alu instid0(VALU_DEP_1) | instskip(NEXT) | instid1(VALU_DEP_1)
	v_and_b32_e32 v7, s25, v7
	v_lshlrev_b32_e32 v7, 3, v7
	ds_load_b64 v[10:11], v7
	v_mov_b32_e32 v7, 0
	s_wait_dscnt 0x0
	v_lshl_add_u64 v[10:11], v[10:11], 1, s[18:19]
	s_delay_alu instid0(VALU_DEP_1)
	v_add_nc_u64_e32 v[10:11], v[10:11], v[6:7]
	v_xor_b32_e32 v7, v12, v9
	global_store_b16 v[10:11], v7, off offset:3072
.LBB1991_77:
	s_wait_xcnt 0x0
	s_or_b32 exec_lo, exec_lo, s3
	v_or_b32_e32 v7, 0x800, v1
	s_mov_b32 s3, exec_lo
	s_delay_alu instid0(VALU_DEP_1)
	v_cmpx_gt_u32_e64 s22, v7
	s_cbranch_execz .LBB1991_79
; %bb.78:
	ds_load_u16 v9, v8 offset:6144
	s_wait_dscnt 0x0
	v_cmp_ne_u16_e64 s2, 0x8000, v9
	s_delay_alu instid0(VALU_DEP_1) | instskip(SKIP_1) | instid1(VALU_DEP_2)
	v_cndmask_b32_e64 v7, 0x7fff, v9, s2
	v_cmp_gt_i16_e64 s2, 0, v9
	v_and_b32_e32 v7, 0xffff, v7
	s_delay_alu instid0(VALU_DEP_2) | instskip(NEXT) | instid1(VALU_DEP_2)
	v_cndmask_b32_e64 v12, 0x7fff, 0, s2
	v_lshrrev_b32_e32 v7, s20, v7
	s_delay_alu instid0(VALU_DEP_1) | instskip(NEXT) | instid1(VALU_DEP_1)
	v_and_b32_e32 v7, s25, v7
	v_lshlrev_b32_e32 v7, 3, v7
	ds_load_b64 v[10:11], v7
	v_mov_b32_e32 v7, 0
	s_wait_dscnt 0x0
	v_lshl_add_u64 v[10:11], v[10:11], 1, s[18:19]
	s_delay_alu instid0(VALU_DEP_1)
	v_add_nc_u64_e32 v[10:11], v[10:11], v[6:7]
	v_xor_b32_e32 v7, v12, v9
	global_store_b16 v[10:11], v7, off offset:4096
.LBB1991_79:
	;; [unrolled: 60-line block ×5, first 2 shown]
	s_wait_xcnt 0x0
	s_or_b32 exec_lo, exec_lo, s3
	v_add_nc_u32_e32 v7, 0x1600, v1
	s_mov_b32 s3, exec_lo
	s_delay_alu instid0(VALU_DEP_1)
	v_cmpx_gt_u32_e64 s22, v7
	s_cbranch_execz .LBB1991_93
; %bb.92:
	ds_load_u16 v10, v6 offset:13312
	s_wait_dscnt 0x0
	v_cmp_ne_u16_e64 s2, 0x8000, v10
	s_delay_alu instid0(VALU_DEP_1) | instskip(SKIP_1) | instid1(VALU_DEP_2)
	v_cndmask_b32_e64 v7, 0x7fff, v10, s2
	v_cmp_gt_i16_e64 s2, 0, v10
	v_and_b32_e32 v7, 0xffff, v7
	s_delay_alu instid0(VALU_DEP_2) | instskip(NEXT) | instid1(VALU_DEP_2)
	v_cndmask_b32_e64 v11, 0x7fff, 0, s2
	v_lshrrev_b32_e32 v7, s20, v7
	s_delay_alu instid0(VALU_DEP_1) | instskip(NEXT) | instid1(VALU_DEP_1)
	v_and_b32_e32 v7, s25, v7
	v_lshlrev_b32_e32 v7, 3, v7
	ds_load_b64 v[8:9], v7
	v_mov_b32_e32 v7, 0
	s_wait_dscnt 0x0
	v_lshl_add_u64 v[8:9], v[8:9], 1, s[18:19]
	s_delay_alu instid0(VALU_DEP_1)
	v_add_nc_u64_e32 v[6:7], v[8:9], v[6:7]
	v_xor_b32_e32 v8, v11, v10
	global_store_b16 v[6:7], v8, off offset:11264
.LBB1991_93:
	s_wait_xcnt 0x0
	s_or_b32 exec_lo, exec_lo, s3
	s_add_co_i32 s23, s23, -1
	s_delay_alu instid0(SALU_CYCLE_1) | instskip(SKIP_2) | instid1(SALU_CYCLE_1)
	s_cmp_eq_u32 s9, s23
	s_cselect_b32 s2, -1, 0
	s_xor_b32 s3, vcc_lo, -1
	s_and_b32 s3, s3, s2
	s_delay_alu instid0(SALU_CYCLE_1)
	s_and_saveexec_b32 s2, s3
	s_cbranch_execz .LBB1991_95
; %bb.94:
	ds_load_b64 v[6:7], v5
	v_mov_b32_e32 v5, 0
	s_delay_alu instid0(VALU_DEP_1) | instskip(SKIP_1) | instid1(VALU_DEP_1)
	v_add_nc_u64_e32 v[2:3], v[2:3], v[4:5]
	s_wait_dscnt 0x0
	v_add_nc_u64_e32 v[2:3], v[2:3], v[6:7]
	global_store_b64 v1, v[2:3], s[14:15] scale_offset
.LBB1991_95:
	s_wait_xcnt 0x0
	s_or_b32 exec_lo, exec_lo, s2
	s_mov_b32 s2, 0
.LBB1991_96:
	s_delay_alu instid0(SALU_CYCLE_1)
	s_and_b32 vcc_lo, exec_lo, s2
	s_cbranch_vccz .LBB1991_143
; %bb.97:
	s_mov_b32 s25, 0
	v_dual_mov_b32 v9, 0 :: v_dual_lshlrev_b32 v8, 1, v14
	s_lshl_b64 s[2:3], s[24:25], 1
	v_mul_u32_u24_e32 v1, 12, v15
	s_add_nc_u64 s[2:3], s[16:17], s[2:3]
	v_bfe_u32 v17, v0, 20, 10
	v_add_nc_u64_e32 v[2:3], s[2:3], v[8:9]
	s_delay_alu instid0(VALU_DEP_3) | instskip(NEXT) | instid1(VALU_DEP_1)
	v_lshlrev_b32_e32 v8, 1, v1
	v_add_nc_u64_e32 v[12:13], v[2:3], v[8:9]
	s_clause 0xb
	global_load_u16 v8, v[12:13], off
	global_load_u16 v10, v[12:13], off offset:64
	global_load_u16 v16, v[12:13], off offset:128
	;; [unrolled: 1-line block ×11, first 2 shown]
	s_clause 0x1
	s_load_b32 s7, s[0:1], 0x58
	s_load_u16 s2, s[0:1], 0x66
	v_bfe_u32 v13, v0, 10, 10
	v_and_b32_e32 v12, 0x3ff, v0
	s_wait_kmcnt 0x0
	s_cmp_lt_u32 s9, s7
	s_delay_alu instid0(VALU_DEP_2)
	v_mad_u32_u24 v0, v17, s2, v13
	s_cselect_b32 s24, 12, 18
	s_lshl_b32 s8, -1, s21
	s_add_nc_u64 s[0:1], s[26:27], s[24:25]
	s_load_u16 s16, s[0:1], 0x0
	s_wait_kmcnt 0x0
	v_mad_u32 v0, v0, s16, v12
	s_delay_alu instid0(VALU_DEP_1) | instskip(NEXT) | instid1(VALU_DEP_1)
	v_lshrrev_b32_e32 v0, 5, v0
	v_lshlrev_b32_e32 v0, 2, v0
	s_wait_loadcnt 0xb
	v_cmp_gt_i16_e32 vcc_lo, 0, v8
	v_cndmask_b32_e64 v11, 0x7fff, 0, vcc_lo
	s_delay_alu instid0(VALU_DEP_1) | instskip(NEXT) | instid1(VALU_DEP_1)
	v_xor_b32_e32 v8, v11, v8
	v_cmp_ne_u16_e32 vcc_lo, 0x8000, v8
	v_cndmask_b32_e32 v11, 0x7fff, v8, vcc_lo
	s_delay_alu instid0(VALU_DEP_1) | instskip(NEXT) | instid1(VALU_DEP_1)
	v_and_b32_e32 v11, 0xffff, v11
	v_lshrrev_b32_e32 v11, s20, v11
	s_delay_alu instid0(VALU_DEP_1) | instskip(SKIP_2) | instid1(VALU_DEP_2)
	v_bitop3_b32 v13, v11, 1, s8 bitop3:0x40
	v_bitop3_b32 v18, v11, s8, v11 bitop3:0x30
	s_not_b32 s8, s8
	v_add_co_u32 v11, s0, v13, -1
	s_delay_alu instid0(VALU_DEP_1) | instskip(NEXT) | instid1(VALU_DEP_3)
	v_cndmask_b32_e64 v13, 0, 1, s0
	v_dual_lshlrev_b32 v17, 30, v18 :: v_dual_lshlrev_b32 v19, 29, v18
	v_dual_lshlrev_b32 v21, 28, v18 :: v_dual_lshlrev_b32 v22, 27, v18
	s_delay_alu instid0(VALU_DEP_3) | instskip(NEXT) | instid1(VALU_DEP_3)
	v_cmp_ne_u32_e32 vcc_lo, 0, v13
	v_not_b32_e32 v13, v17
	v_dual_lshlrev_b32 v23, 26, v18 :: v_dual_lshlrev_b32 v25, 25, v18
	v_lshlrev_b32_e32 v26, 24, v18
	v_cmp_gt_i32_e64 s0, 0, v17
	v_cmp_gt_i32_e64 s1, 0, v19
	v_not_b32_e32 v17, v19
	v_not_b32_e32 v19, v21
	v_ashrrev_i32_e32 v13, 31, v13
	v_cmp_gt_i32_e64 s2, 0, v21
	v_cmp_gt_i32_e64 s3, 0, v22
	v_not_b32_e32 v21, v22
	v_not_b32_e32 v22, v23
	v_dual_ashrrev_i32 v17, 31, v17 :: v_dual_bitop2_b32 v11, vcc_lo, v11 bitop3:0x14
	v_dual_ashrrev_i32 v19, 31, v19 :: v_dual_bitop2_b32 v13, s0, v13 bitop3:0x14
	v_cmp_gt_i32_e64 s4, 0, v23
	v_cmp_gt_i32_e64 s5, 0, v25
	v_not_b32_e32 v23, v25
	v_not_b32_e32 v25, v26
	v_dual_ashrrev_i32 v21, 31, v21 :: v_dual_ashrrev_i32 v22, 31, v22
	v_xor_b32_e32 v17, s1, v17
	v_xor_b32_e32 v19, s2, v19
	v_bitop3_b32 v11, v11, v13, exec_lo bitop3:0x80
	v_cmp_gt_i32_e64 s6, 0, v26
	v_dual_ashrrev_i32 v13, 31, v23 :: v_dual_ashrrev_i32 v23, 31, v25
	v_xor_b32_e32 v21, s3, v21
	v_xor_b32_e32 v22, s4, v22
	v_bitop3_b32 v11, v11, v19, v17 bitop3:0x80
	s_delay_alu instid0(VALU_DEP_4) | instskip(SKIP_1) | instid1(VALU_DEP_3)
	v_xor_b32_e32 v13, s5, v13
	v_xor_b32_e32 v17, s6, v23
	v_bitop3_b32 v19, v11, v22, v21 bitop3:0x80
	v_mul_u32_u24_e32 v11, 36, v12
	ds_store_2addr_b32 v11, v9, v9 offset0:16 offset1:17
	ds_store_2addr_b32 v11, v9, v9 offset0:18 offset1:19
	;; [unrolled: 1-line block ×4, first 2 shown]
	v_bitop3_b32 v17, v19, v17, v13 bitop3:0x80
	ds_store_b32 v11, v9 offset:96
	v_mad_u32_u24 v13, 0x44, v18, v0
	s_wait_storecnt 0x0
	s_wait_loadcnt_dscnt 0x0
	s_barrier_signal -1
	v_mbcnt_lo_u32_b32 v9, v17, 0
	v_cmp_ne_u32_e64 s0, 0, v17
	s_barrier_wait -1
	s_delay_alu instid0(VALU_DEP_2) | instskip(SKIP_1) | instid1(SALU_CYCLE_1)
	v_cmp_eq_u32_e32 vcc_lo, 0, v9
	; wave barrier
	s_and_b32 s1, s0, vcc_lo
	s_and_saveexec_b32 s0, s1
; %bb.98:
	v_bcnt_u32_b32 v17, v17, 0
	ds_store_b32 v13, v17 offset:64
; %bb.99:
	s_or_b32 exec_lo, exec_lo, s0
	v_cmp_gt_i16_e32 vcc_lo, 0, v10
	; wave barrier
	v_cndmask_b32_e64 v17, 0x7fff, 0, vcc_lo
	s_delay_alu instid0(VALU_DEP_1) | instskip(NEXT) | instid1(VALU_DEP_1)
	v_xor_b32_e32 v10, v17, v10
	v_cmp_ne_u16_e32 vcc_lo, 0x8000, v10
	v_cndmask_b32_e32 v17, 0x7fff, v10, vcc_lo
	s_delay_alu instid0(VALU_DEP_1) | instskip(NEXT) | instid1(VALU_DEP_1)
	v_and_b32_e32 v17, 0xffff, v17
	v_lshrrev_b32_e32 v17, s20, v17
	s_delay_alu instid0(VALU_DEP_1) | instskip(SKIP_1) | instid1(VALU_DEP_2)
	v_bitop3_b32 v18, v17, 1, s8 bitop3:0x80
	v_and_b32_e32 v17, s8, v17
	v_add_co_u32 v18, s0, v18, -1
	s_delay_alu instid0(VALU_DEP_1) | instskip(NEXT) | instid1(VALU_DEP_3)
	v_cndmask_b32_e64 v19, 0, 1, s0
	v_lshlrev_b32_e32 v21, 30, v17
	s_delay_alu instid0(VALU_DEP_2) | instskip(NEXT) | instid1(VALU_DEP_2)
	v_cmp_ne_u32_e32 vcc_lo, 0, v19
	v_not_b32_e32 v19, v21
	s_delay_alu instid0(VALU_DEP_1) | instskip(SKIP_4) | instid1(VALU_DEP_4)
	v_dual_ashrrev_i32 v19, 31, v19 :: v_dual_bitop2_b32 v18, vcc_lo, v18 bitop3:0x14
	v_dual_lshlrev_b32 v22, 29, v17 :: v_dual_lshlrev_b32 v23, 28, v17
	v_dual_lshlrev_b32 v25, 27, v17 :: v_dual_lshlrev_b32 v26, 26, v17
	v_lshlrev_b32_e32 v27, 25, v17
	v_cmp_gt_i32_e64 s0, 0, v21
	v_cmp_gt_i32_e64 s1, 0, v22
	v_not_b32_e32 v21, v22
	v_not_b32_e32 v22, v23
	v_lshlrev_b32_e32 v28, 24, v17
	v_cmp_gt_i32_e64 s2, 0, v23
	v_cmp_gt_i32_e64 s3, 0, v25
	v_not_b32_e32 v23, v25
	v_not_b32_e32 v25, v26
	v_dual_ashrrev_i32 v21, 31, v21 :: v_dual_ashrrev_i32 v22, 31, v22
	v_xor_b32_e32 v19, s0, v19
	v_cmp_gt_i32_e64 s4, 0, v26
	v_cmp_gt_i32_e64 s5, 0, v27
	v_not_b32_e32 v26, v27
	v_not_b32_e32 v27, v28
	v_dual_ashrrev_i32 v23, 31, v23 :: v_dual_bitop2_b32 v21, s1, v21 bitop3:0x14
	v_dual_ashrrev_i32 v25, 31, v25 :: v_dual_bitop2_b32 v22, s2, v22 bitop3:0x14
	s_delay_alu instid0(VALU_DEP_3) | instskip(SKIP_4) | instid1(VALU_DEP_4)
	v_ashrrev_i32_e32 v27, 31, v27
	v_bitop3_b32 v18, v18, v19, exec_lo bitop3:0x80
	v_cmp_gt_i32_e64 s6, 0, v28
	v_dual_ashrrev_i32 v26, 31, v26 :: v_dual_bitop2_b32 v23, s3, v23 bitop3:0x14
	v_xor_b32_e32 v25, s4, v25
	v_bitop3_b32 v18, v18, v22, v21 bitop3:0x80
	v_mad_u32_u24 v19, 0x44, v17, v0
	s_delay_alu instid0(VALU_DEP_4) | instskip(SKIP_1) | instid1(VALU_DEP_4)
	v_xor_b32_e32 v21, s5, v26
	v_xor_b32_e32 v22, s6, v27
	v_bitop3_b32 v18, v18, v25, v23 bitop3:0x80
	ds_load_b32 v17, v19 offset:64
	; wave barrier
	v_bitop3_b32 v21, v18, v22, v21 bitop3:0x80
	s_delay_alu instid0(VALU_DEP_1) | instskip(SKIP_1) | instid1(VALU_DEP_2)
	v_mbcnt_lo_u32_b32 v18, v21, 0
	v_cmp_ne_u32_e64 s0, 0, v21
	v_cmp_eq_u32_e32 vcc_lo, 0, v18
	s_and_b32 s1, s0, vcc_lo
	s_delay_alu instid0(SALU_CYCLE_1)
	s_and_saveexec_b32 s0, s1
	s_cbranch_execz .LBB1991_101
; %bb.100:
	s_wait_dscnt 0x0
	v_bcnt_u32_b32 v21, v21, v17
	ds_store_b32 v19, v21 offset:64
.LBB1991_101:
	s_or_b32 exec_lo, exec_lo, s0
	v_cmp_gt_i16_e32 vcc_lo, 0, v16
	; wave barrier
	v_cndmask_b32_e64 v21, 0x7fff, 0, vcc_lo
	s_delay_alu instid0(VALU_DEP_1) | instskip(NEXT) | instid1(VALU_DEP_1)
	v_xor_b32_e32 v16, v21, v16
	v_cmp_ne_u16_e32 vcc_lo, 0x8000, v16
	v_cndmask_b32_e32 v21, 0x7fff, v16, vcc_lo
	s_delay_alu instid0(VALU_DEP_1) | instskip(NEXT) | instid1(VALU_DEP_1)
	v_and_b32_e32 v21, 0xffff, v21
	v_lshrrev_b32_e32 v21, s20, v21
	s_delay_alu instid0(VALU_DEP_1) | instskip(SKIP_1) | instid1(VALU_DEP_2)
	v_bitop3_b32 v22, v21, 1, s8 bitop3:0x80
	v_and_b32_e32 v21, s8, v21
	v_add_co_u32 v22, s0, v22, -1
	s_delay_alu instid0(VALU_DEP_1) | instskip(NEXT) | instid1(VALU_DEP_3)
	v_cndmask_b32_e64 v23, 0, 1, s0
	v_lshlrev_b32_e32 v25, 30, v21
	s_delay_alu instid0(VALU_DEP_2) | instskip(NEXT) | instid1(VALU_DEP_2)
	v_cmp_ne_u32_e32 vcc_lo, 0, v23
	v_not_b32_e32 v23, v25
	s_delay_alu instid0(VALU_DEP_1) | instskip(SKIP_4) | instid1(VALU_DEP_4)
	v_dual_ashrrev_i32 v23, 31, v23 :: v_dual_bitop2_b32 v22, vcc_lo, v22 bitop3:0x14
	v_dual_lshlrev_b32 v26, 29, v21 :: v_dual_lshlrev_b32 v27, 28, v21
	v_dual_lshlrev_b32 v28, 27, v21 :: v_dual_lshlrev_b32 v29, 26, v21
	v_lshlrev_b32_e32 v30, 25, v21
	v_cmp_gt_i32_e64 s0, 0, v25
	v_cmp_gt_i32_e64 s1, 0, v26
	v_not_b32_e32 v25, v26
	v_not_b32_e32 v26, v27
	v_lshlrev_b32_e32 v31, 24, v21
	v_cmp_gt_i32_e64 s2, 0, v27
	v_cmp_gt_i32_e64 s3, 0, v28
	v_not_b32_e32 v27, v28
	v_not_b32_e32 v28, v29
	v_dual_ashrrev_i32 v25, 31, v25 :: v_dual_bitop2_b32 v23, s0, v23 bitop3:0x14
	v_ashrrev_i32_e32 v26, 31, v26
	v_cmp_gt_i32_e64 s4, 0, v29
	v_cmp_gt_i32_e64 s5, 0, v30
	v_not_b32_e32 v29, v30
	v_not_b32_e32 v30, v31
	v_dual_ashrrev_i32 v27, 31, v27 :: v_dual_ashrrev_i32 v28, 31, v28
	v_xor_b32_e32 v25, s1, v25
	s_delay_alu instid0(VALU_DEP_4) | instskip(SKIP_4) | instid1(VALU_DEP_4)
	v_dual_ashrrev_i32 v29, 31, v29 :: v_dual_bitop2_b32 v26, s2, v26 bitop3:0x14
	v_bitop3_b32 v22, v22, v23, exec_lo bitop3:0x80
	v_cmp_gt_i32_e64 s6, 0, v31
	v_dual_ashrrev_i32 v30, 31, v30 :: v_dual_bitop2_b32 v27, s3, v27 bitop3:0x14
	v_xor_b32_e32 v28, s4, v28
	v_bitop3_b32 v22, v22, v26, v25 bitop3:0x80
	v_mad_u32_u24 v23, 0x44, v21, v0
	v_xor_b32_e32 v25, s5, v29
	v_xor_b32_e32 v26, s6, v30
	s_delay_alu instid0(VALU_DEP_4) | instskip(SKIP_2) | instid1(VALU_DEP_1)
	v_bitop3_b32 v22, v22, v28, v27 bitop3:0x80
	ds_load_b32 v21, v23 offset:64
	; wave barrier
	v_bitop3_b32 v25, v22, v26, v25 bitop3:0x80
	v_mbcnt_lo_u32_b32 v22, v25, 0
	v_cmp_ne_u32_e64 s0, 0, v25
	s_delay_alu instid0(VALU_DEP_2) | instskip(SKIP_1) | instid1(SALU_CYCLE_1)
	v_cmp_eq_u32_e32 vcc_lo, 0, v22
	s_and_b32 s1, s0, vcc_lo
	s_and_saveexec_b32 s0, s1
	s_cbranch_execz .LBB1991_103
; %bb.102:
	s_wait_dscnt 0x0
	v_bcnt_u32_b32 v25, v25, v21
	ds_store_b32 v23, v25 offset:64
.LBB1991_103:
	s_or_b32 exec_lo, exec_lo, s0
	v_cmp_gt_i16_e32 vcc_lo, 0, v20
	; wave barrier
	v_cndmask_b32_e64 v25, 0x7fff, 0, vcc_lo
	s_delay_alu instid0(VALU_DEP_1) | instskip(NEXT) | instid1(VALU_DEP_1)
	v_xor_b32_e32 v20, v25, v20
	v_cmp_ne_u16_e32 vcc_lo, 0x8000, v20
	v_cndmask_b32_e32 v25, 0x7fff, v20, vcc_lo
	s_delay_alu instid0(VALU_DEP_1) | instskip(NEXT) | instid1(VALU_DEP_1)
	v_and_b32_e32 v25, 0xffff, v25
	v_lshrrev_b32_e32 v25, s20, v25
	s_delay_alu instid0(VALU_DEP_1) | instskip(SKIP_1) | instid1(VALU_DEP_2)
	v_bitop3_b32 v26, v25, 1, s8 bitop3:0x80
	v_and_b32_e32 v25, s8, v25
	v_add_co_u32 v26, s0, v26, -1
	s_delay_alu instid0(VALU_DEP_1) | instskip(NEXT) | instid1(VALU_DEP_3)
	v_cndmask_b32_e64 v27, 0, 1, s0
	v_lshlrev_b32_e32 v28, 30, v25
	s_delay_alu instid0(VALU_DEP_2) | instskip(NEXT) | instid1(VALU_DEP_2)
	v_cmp_ne_u32_e32 vcc_lo, 0, v27
	v_not_b32_e32 v27, v28
	s_delay_alu instid0(VALU_DEP_1) | instskip(SKIP_4) | instid1(VALU_DEP_4)
	v_dual_ashrrev_i32 v27, 31, v27 :: v_dual_bitop2_b32 v26, vcc_lo, v26 bitop3:0x14
	v_dual_lshlrev_b32 v29, 29, v25 :: v_dual_lshlrev_b32 v30, 28, v25
	v_dual_lshlrev_b32 v31, 27, v25 :: v_dual_lshlrev_b32 v32, 26, v25
	v_lshlrev_b32_e32 v33, 25, v25
	v_cmp_gt_i32_e64 s0, 0, v28
	v_cmp_gt_i32_e64 s1, 0, v29
	v_not_b32_e32 v28, v29
	v_not_b32_e32 v29, v30
	v_lshlrev_b32_e32 v34, 24, v25
	v_cmp_gt_i32_e64 s2, 0, v30
	v_cmp_gt_i32_e64 s3, 0, v31
	v_not_b32_e32 v30, v31
	v_cmp_gt_i32_e64 s4, 0, v32
	v_not_b32_e32 v31, v32
	v_not_b32_e32 v32, v33
	v_dual_ashrrev_i32 v28, 31, v28 :: v_dual_ashrrev_i32 v29, 31, v29
	v_xor_b32_e32 v27, s0, v27
	v_cmp_gt_i32_e64 s5, 0, v33
	v_not_b32_e32 v33, v34
	v_dual_ashrrev_i32 v30, 31, v30 :: v_dual_ashrrev_i32 v31, 31, v31
	v_xor_b32_e32 v28, s1, v28
	v_dual_ashrrev_i32 v32, 31, v32 :: v_dual_bitop2_b32 v29, s2, v29 bitop3:0x14
	v_bitop3_b32 v26, v26, v27, exec_lo bitop3:0x80
	v_cmp_gt_i32_e64 s6, 0, v34
	v_dual_ashrrev_i32 v33, 31, v33 :: v_dual_bitop2_b32 v30, s3, v30 bitop3:0x14
	v_xor_b32_e32 v31, s4, v31
	s_delay_alu instid0(VALU_DEP_4) | instskip(SKIP_3) | instid1(VALU_DEP_4)
	v_bitop3_b32 v26, v26, v29, v28 bitop3:0x80
	v_mad_u32_u24 v27, 0x44, v25, v0
	v_xor_b32_e32 v28, s5, v32
	v_xor_b32_e32 v29, s6, v33
	v_bitop3_b32 v26, v26, v31, v30 bitop3:0x80
	ds_load_b32 v25, v27 offset:64
	; wave barrier
	v_bitop3_b32 v28, v26, v29, v28 bitop3:0x80
	s_delay_alu instid0(VALU_DEP_1) | instskip(SKIP_1) | instid1(VALU_DEP_2)
	v_mbcnt_lo_u32_b32 v26, v28, 0
	v_cmp_ne_u32_e64 s0, 0, v28
	v_cmp_eq_u32_e32 vcc_lo, 0, v26
	s_and_b32 s1, s0, vcc_lo
	s_delay_alu instid0(SALU_CYCLE_1)
	s_and_saveexec_b32 s0, s1
	s_cbranch_execz .LBB1991_105
; %bb.104:
	s_wait_dscnt 0x0
	v_bcnt_u32_b32 v28, v28, v25
	ds_store_b32 v27, v28 offset:64
.LBB1991_105:
	s_or_b32 exec_lo, exec_lo, s0
	v_cmp_gt_i16_e32 vcc_lo, 0, v24
	; wave barrier
	v_cndmask_b32_e64 v28, 0x7fff, 0, vcc_lo
	s_delay_alu instid0(VALU_DEP_1) | instskip(NEXT) | instid1(VALU_DEP_1)
	v_xor_b32_e32 v24, v28, v24
	v_cmp_ne_u16_e32 vcc_lo, 0x8000, v24
	v_cndmask_b32_e32 v28, 0x7fff, v24, vcc_lo
	s_delay_alu instid0(VALU_DEP_1) | instskip(NEXT) | instid1(VALU_DEP_1)
	v_and_b32_e32 v28, 0xffff, v28
	v_lshrrev_b32_e32 v28, s20, v28
	s_delay_alu instid0(VALU_DEP_1) | instskip(NEXT) | instid1(VALU_DEP_1)
	v_bitop3_b32 v29, v28, 1, s8 bitop3:0x80
	v_add_co_u32 v29, s0, v29, -1
	s_delay_alu instid0(VALU_DEP_1) | instskip(NEXT) | instid1(VALU_DEP_1)
	v_cndmask_b32_e64 v30, 0, 1, s0
	v_cmp_ne_u32_e32 vcc_lo, 0, v30
	s_delay_alu instid0(VALU_DEP_3) | instskip(SKIP_1) | instid1(VALU_DEP_1)
	v_xor_b32_e32 v29, vcc_lo, v29
	v_and_b32_e32 v28, s8, v28
	v_dual_lshlrev_b32 v31, 30, v28 :: v_dual_lshlrev_b32 v32, 29, v28
	v_dual_lshlrev_b32 v33, 28, v28 :: v_dual_lshlrev_b32 v34, 27, v28
	s_delay_alu instid0(VALU_DEP_2) | instskip(SKIP_1) | instid1(VALU_DEP_4)
	v_cmp_gt_i32_e64 s0, 0, v31
	v_not_b32_e32 v30, v31
	v_cmp_gt_i32_e64 s1, 0, v32
	v_not_b32_e32 v31, v32
	;; [unrolled: 2-line block ×3, first 2 shown]
	v_not_b32_e32 v33, v34
	v_ashrrev_i32_e32 v30, 31, v30
	v_cmp_gt_i32_e64 s3, 0, v34
	s_delay_alu instid0(VALU_DEP_3) | instskip(SKIP_1) | instid1(VALU_DEP_4)
	v_dual_ashrrev_i32 v31, 31, v31 :: v_dual_ashrrev_i32 v33, 31, v33
	v_dual_lshlrev_b32 v35, 26, v28 :: v_dual_lshlrev_b32 v36, 25, v28
	v_dual_lshlrev_b32 v37, 24, v28 :: v_dual_bitop2_b32 v30, s0, v30 bitop3:0x14
	s_delay_alu instid0(VALU_DEP_3) | instskip(NEXT) | instid1(VALU_DEP_3)
	v_xor_b32_e32 v33, s3, v33
	v_not_b32_e32 v34, v35
	v_ashrrev_i32_e32 v32, 31, v32
	v_cmp_gt_i32_e64 s4, 0, v35
	v_cmp_gt_i32_e64 s5, 0, v36
	v_not_b32_e32 v35, v36
	v_not_b32_e32 v36, v37
	v_dual_ashrrev_i32 v34, 31, v34 :: v_dual_bitop2_b32 v31, s1, v31 bitop3:0x14
	v_xor_b32_e32 v32, s2, v32
	v_bitop3_b32 v29, v29, v30, exec_lo bitop3:0x80
	v_cmp_gt_i32_e64 s6, 0, v37
	v_dual_ashrrev_i32 v30, 31, v35 :: v_dual_ashrrev_i32 v35, 31, v36
	v_xor_b32_e32 v34, s4, v34
	s_delay_alu instid0(VALU_DEP_4) | instskip(SKIP_1) | instid1(VALU_DEP_4)
	v_bitop3_b32 v29, v29, v32, v31 bitop3:0x80
	v_mad_u32_u24 v31, 0x44, v28, v0
	v_xor_b32_e32 v30, s5, v30
	v_xor_b32_e32 v32, s6, v35
	s_delay_alu instid0(VALU_DEP_4) | instskip(SKIP_2) | instid1(VALU_DEP_1)
	v_bitop3_b32 v29, v29, v34, v33 bitop3:0x80
	ds_load_b32 v28, v31 offset:64
	; wave barrier
	v_bitop3_b32 v29, v29, v32, v30 bitop3:0x80
	v_mbcnt_lo_u32_b32 v30, v29, 0
	v_cmp_ne_u32_e64 s0, 0, v29
	s_delay_alu instid0(VALU_DEP_2) | instskip(SKIP_1) | instid1(SALU_CYCLE_1)
	v_cmp_eq_u32_e32 vcc_lo, 0, v30
	s_and_b32 s1, s0, vcc_lo
	s_and_saveexec_b32 s0, s1
	s_cbranch_execz .LBB1991_107
; %bb.106:
	s_wait_dscnt 0x0
	v_bcnt_u32_b32 v29, v29, v28
	ds_store_b32 v31, v29 offset:64
.LBB1991_107:
	s_or_b32 exec_lo, exec_lo, s0
	v_cmp_gt_i16_e32 vcc_lo, 0, v7
	; wave barrier
	v_cndmask_b32_e64 v29, 0x7fff, 0, vcc_lo
	s_delay_alu instid0(VALU_DEP_1) | instskip(NEXT) | instid1(VALU_DEP_1)
	v_xor_b32_e32 v29, v29, v7
	v_cmp_ne_u16_e32 vcc_lo, 0x8000, v29
	v_cndmask_b32_e32 v7, 0x7fff, v29, vcc_lo
	s_delay_alu instid0(VALU_DEP_1) | instskip(NEXT) | instid1(VALU_DEP_1)
	v_and_b32_e32 v7, 0xffff, v7
	v_lshrrev_b32_e32 v7, s20, v7
	s_delay_alu instid0(VALU_DEP_1) | instskip(SKIP_1) | instid1(VALU_DEP_2)
	v_bitop3_b32 v32, v7, 1, s8 bitop3:0x80
	v_and_b32_e32 v7, s8, v7
	v_add_co_u32 v32, s0, v32, -1
	s_delay_alu instid0(VALU_DEP_1) | instskip(NEXT) | instid1(VALU_DEP_3)
	v_cndmask_b32_e64 v33, 0, 1, s0
	v_lshlrev_b32_e32 v34, 30, v7
	s_delay_alu instid0(VALU_DEP_2) | instskip(NEXT) | instid1(VALU_DEP_2)
	v_cmp_ne_u32_e32 vcc_lo, 0, v33
	v_not_b32_e32 v33, v34
	s_delay_alu instid0(VALU_DEP_1) | instskip(SKIP_4) | instid1(VALU_DEP_4)
	v_dual_ashrrev_i32 v33, 31, v33 :: v_dual_bitop2_b32 v32, vcc_lo, v32 bitop3:0x14
	v_dual_lshlrev_b32 v35, 29, v7 :: v_dual_lshlrev_b32 v36, 28, v7
	v_dual_lshlrev_b32 v37, 27, v7 :: v_dual_lshlrev_b32 v38, 26, v7
	v_lshlrev_b32_e32 v39, 25, v7
	v_cmp_gt_i32_e64 s0, 0, v34
	v_cmp_gt_i32_e64 s1, 0, v35
	v_not_b32_e32 v34, v35
	v_not_b32_e32 v35, v36
	v_lshlrev_b32_e32 v40, 24, v7
	v_cmp_gt_i32_e64 s2, 0, v36
	v_cmp_gt_i32_e64 s3, 0, v37
	v_not_b32_e32 v36, v37
	v_not_b32_e32 v37, v38
	v_dual_ashrrev_i32 v34, 31, v34 :: v_dual_ashrrev_i32 v35, 31, v35
	v_xor_b32_e32 v33, s0, v33
	v_cmp_gt_i32_e64 s4, 0, v38
	v_cmp_gt_i32_e64 s5, 0, v39
	v_not_b32_e32 v38, v39
	v_not_b32_e32 v39, v40
	v_dual_ashrrev_i32 v36, 31, v36 :: v_dual_ashrrev_i32 v37, 31, v37
	v_xor_b32_e32 v34, s1, v34
	v_xor_b32_e32 v35, s2, v35
	v_bitop3_b32 v32, v32, v33, exec_lo bitop3:0x80
	v_cmp_gt_i32_e64 s6, 0, v40
	v_dual_ashrrev_i32 v33, 31, v38 :: v_dual_ashrrev_i32 v38, 31, v39
	v_xor_b32_e32 v36, s3, v36
	v_xor_b32_e32 v37, s4, v37
	v_bitop3_b32 v32, v32, v35, v34 bitop3:0x80
	v_mad_u32_u24 v35, 0x44, v7, v0
	v_xor_b32_e32 v7, s5, v33
	v_xor_b32_e32 v33, s6, v38
	s_delay_alu instid0(VALU_DEP_4) | instskip(SKIP_2) | instid1(VALU_DEP_1)
	v_bitop3_b32 v34, v32, v37, v36 bitop3:0x80
	ds_load_b32 v32, v35 offset:64
	; wave barrier
	v_bitop3_b32 v7, v34, v33, v7 bitop3:0x80
	v_mbcnt_lo_u32_b32 v33, v7, 0
	v_cmp_ne_u32_e64 s0, 0, v7
	s_delay_alu instid0(VALU_DEP_2) | instskip(SKIP_1) | instid1(SALU_CYCLE_1)
	v_cmp_eq_u32_e32 vcc_lo, 0, v33
	s_and_b32 s1, s0, vcc_lo
	s_and_saveexec_b32 s0, s1
	s_cbranch_execz .LBB1991_109
; %bb.108:
	s_wait_dscnt 0x0
	v_bcnt_u32_b32 v7, v7, v32
	ds_store_b32 v35, v7 offset:64
.LBB1991_109:
	s_or_b32 exec_lo, exec_lo, s0
	v_cmp_gt_i16_e32 vcc_lo, 0, v6
	; wave barrier
	v_cndmask_b32_e64 v7, 0x7fff, 0, vcc_lo
	s_delay_alu instid0(VALU_DEP_1) | instskip(NEXT) | instid1(VALU_DEP_1)
	v_xor_b32_e32 v34, v7, v6
	v_cmp_ne_u16_e32 vcc_lo, 0x8000, v34
	v_cndmask_b32_e32 v6, 0x7fff, v34, vcc_lo
	s_delay_alu instid0(VALU_DEP_1) | instskip(NEXT) | instid1(VALU_DEP_1)
	v_and_b32_e32 v6, 0xffff, v6
	v_lshrrev_b32_e32 v6, s20, v6
	s_delay_alu instid0(VALU_DEP_1) | instskip(SKIP_1) | instid1(VALU_DEP_2)
	v_bitop3_b32 v7, v6, 1, s8 bitop3:0x80
	v_and_b32_e32 v6, s8, v6
	v_add_co_u32 v7, s0, v7, -1
	s_delay_alu instid0(VALU_DEP_1) | instskip(NEXT) | instid1(VALU_DEP_3)
	v_cndmask_b32_e64 v36, 0, 1, s0
	v_lshlrev_b32_e32 v37, 30, v6
	s_delay_alu instid0(VALU_DEP_2) | instskip(NEXT) | instid1(VALU_DEP_2)
	v_cmp_ne_u32_e32 vcc_lo, 0, v36
	v_not_b32_e32 v36, v37
	s_delay_alu instid0(VALU_DEP_1) | instskip(SKIP_4) | instid1(VALU_DEP_4)
	v_dual_ashrrev_i32 v36, 31, v36 :: v_dual_bitop2_b32 v7, vcc_lo, v7 bitop3:0x14
	v_dual_lshlrev_b32 v38, 29, v6 :: v_dual_lshlrev_b32 v39, 28, v6
	v_dual_lshlrev_b32 v40, 27, v6 :: v_dual_lshlrev_b32 v41, 26, v6
	v_lshlrev_b32_e32 v42, 25, v6
	v_cmp_gt_i32_e64 s0, 0, v37
	v_cmp_gt_i32_e64 s1, 0, v38
	v_not_b32_e32 v37, v38
	v_not_b32_e32 v38, v39
	v_lshlrev_b32_e32 v43, 24, v6
	v_cmp_gt_i32_e64 s2, 0, v39
	v_cmp_gt_i32_e64 s3, 0, v40
	v_not_b32_e32 v39, v40
	v_not_b32_e32 v40, v41
	v_dual_ashrrev_i32 v37, 31, v37 :: v_dual_ashrrev_i32 v38, 31, v38
	v_xor_b32_e32 v36, s0, v36
	v_cmp_gt_i32_e64 s4, 0, v41
	v_cmp_gt_i32_e64 s5, 0, v42
	v_not_b32_e32 v41, v42
	v_not_b32_e32 v42, v43
	v_dual_ashrrev_i32 v39, 31, v39 :: v_dual_ashrrev_i32 v40, 31, v40
	v_xor_b32_e32 v37, s1, v37
	v_xor_b32_e32 v38, s2, v38
	v_bitop3_b32 v7, v7, v36, exec_lo bitop3:0x80
	v_cmp_gt_i32_e64 s6, 0, v43
	v_dual_ashrrev_i32 v36, 31, v41 :: v_dual_ashrrev_i32 v41, 31, v42
	v_xor_b32_e32 v42, s3, v39
	v_xor_b32_e32 v40, s4, v40
	v_bitop3_b32 v7, v7, v38, v37 bitop3:0x80
	v_mad_u32_u24 v39, 0x44, v6, v0
	v_xor_b32_e32 v6, s5, v36
	v_xor_b32_e32 v36, s6, v41
	s_delay_alu instid0(VALU_DEP_4) | instskip(SKIP_2) | instid1(VALU_DEP_1)
	v_bitop3_b32 v7, v7, v40, v42 bitop3:0x80
	ds_load_b32 v37, v39 offset:64
	; wave barrier
	v_bitop3_b32 v6, v7, v36, v6 bitop3:0x80
	v_mbcnt_lo_u32_b32 v38, v6, 0
	v_cmp_ne_u32_e64 s0, 0, v6
	s_delay_alu instid0(VALU_DEP_2) | instskip(SKIP_1) | instid1(SALU_CYCLE_1)
	v_cmp_eq_u32_e32 vcc_lo, 0, v38
	s_and_b32 s1, s0, vcc_lo
	s_and_saveexec_b32 s0, s1
	s_cbranch_execz .LBB1991_111
; %bb.110:
	s_wait_dscnt 0x0
	v_bcnt_u32_b32 v6, v6, v37
	ds_store_b32 v39, v6 offset:64
.LBB1991_111:
	s_or_b32 exec_lo, exec_lo, s0
	v_cmp_gt_i16_e32 vcc_lo, 0, v5
	; wave barrier
	v_cndmask_b32_e64 v6, 0x7fff, 0, vcc_lo
	s_delay_alu instid0(VALU_DEP_1) | instskip(NEXT) | instid1(VALU_DEP_1)
	v_xor_b32_e32 v36, v6, v5
	v_cmp_ne_u16_e32 vcc_lo, 0x8000, v36
	v_cndmask_b32_e32 v5, 0x7fff, v36, vcc_lo
	s_delay_alu instid0(VALU_DEP_1) | instskip(NEXT) | instid1(VALU_DEP_1)
	v_and_b32_e32 v5, 0xffff, v5
	v_lshrrev_b32_e32 v5, s20, v5
	s_delay_alu instid0(VALU_DEP_1) | instskip(SKIP_1) | instid1(VALU_DEP_2)
	v_bitop3_b32 v6, v5, 1, s8 bitop3:0x80
	v_and_b32_e32 v5, s8, v5
	v_add_co_u32 v6, s0, v6, -1
	s_delay_alu instid0(VALU_DEP_1) | instskip(NEXT) | instid1(VALU_DEP_3)
	v_cndmask_b32_e64 v7, 0, 1, s0
	v_lshlrev_b32_e32 v40, 30, v5
	s_delay_alu instid0(VALU_DEP_2) | instskip(NEXT) | instid1(VALU_DEP_2)
	v_cmp_ne_u32_e32 vcc_lo, 0, v7
	v_not_b32_e32 v7, v40
	s_delay_alu instid0(VALU_DEP_1) | instskip(SKIP_4) | instid1(VALU_DEP_4)
	v_dual_ashrrev_i32 v7, 31, v7 :: v_dual_bitop2_b32 v6, vcc_lo, v6 bitop3:0x14
	v_dual_lshlrev_b32 v41, 29, v5 :: v_dual_lshlrev_b32 v42, 28, v5
	v_dual_lshlrev_b32 v43, 27, v5 :: v_dual_lshlrev_b32 v44, 26, v5
	;; [unrolled: 1-line block ×3, first 2 shown]
	v_cmp_gt_i32_e64 s0, 0, v40
	v_cmp_gt_i32_e64 s1, 0, v41
	v_not_b32_e32 v40, v41
	v_not_b32_e32 v41, v42
	v_cmp_gt_i32_e64 s2, 0, v42
	v_cmp_gt_i32_e64 s3, 0, v43
	v_not_b32_e32 v42, v43
	v_cmp_gt_i32_e64 s4, 0, v44
	v_not_b32_e32 v43, v44
	;; [unrolled: 2-line block ×3, first 2 shown]
	v_not_b32_e32 v45, v46
	v_dual_ashrrev_i32 v40, 31, v40 :: v_dual_ashrrev_i32 v41, 31, v41
	v_dual_ashrrev_i32 v42, 31, v42 :: v_dual_bitop2_b32 v7, s0, v7 bitop3:0x14
	s_delay_alu instid0(VALU_DEP_2) | instskip(NEXT) | instid1(VALU_DEP_3)
	v_dual_ashrrev_i32 v43, 31, v43 :: v_dual_bitop2_b32 v40, s1, v40 bitop3:0x14
	v_xor_b32_e32 v41, s2, v41
	s_delay_alu instid0(VALU_DEP_3)
	v_bitop3_b32 v6, v6, v7, exec_lo bitop3:0x80
	v_cmp_gt_i32_e64 s6, 0, v46
	v_dual_ashrrev_i32 v7, 31, v44 :: v_dual_ashrrev_i32 v44, 31, v45
	v_xor_b32_e32 v42, s3, v42
	v_xor_b32_e32 v45, s4, v43
	v_bitop3_b32 v6, v6, v41, v40 bitop3:0x80
	v_mad_u32_u24 v43, 0x44, v5, v0
	v_xor_b32_e32 v5, s5, v7
	v_xor_b32_e32 v7, s6, v44
	s_delay_alu instid0(VALU_DEP_4) | instskip(SKIP_2) | instid1(VALU_DEP_1)
	v_bitop3_b32 v6, v6, v45, v42 bitop3:0x80
	ds_load_b32 v41, v43 offset:64
	; wave barrier
	v_bitop3_b32 v5, v6, v7, v5 bitop3:0x80
	v_mbcnt_lo_u32_b32 v42, v5, 0
	v_cmp_ne_u32_e64 s0, 0, v5
	s_delay_alu instid0(VALU_DEP_2) | instskip(SKIP_1) | instid1(SALU_CYCLE_1)
	v_cmp_eq_u32_e32 vcc_lo, 0, v42
	s_and_b32 s1, s0, vcc_lo
	s_and_saveexec_b32 s0, s1
	s_cbranch_execz .LBB1991_113
; %bb.112:
	s_wait_dscnt 0x0
	v_bcnt_u32_b32 v5, v5, v41
	ds_store_b32 v43, v5 offset:64
.LBB1991_113:
	s_or_b32 exec_lo, exec_lo, s0
	v_cmp_gt_i16_e32 vcc_lo, 0, v4
	; wave barrier
	v_cndmask_b32_e64 v5, 0x7fff, 0, vcc_lo
	s_delay_alu instid0(VALU_DEP_1) | instskip(NEXT) | instid1(VALU_DEP_1)
	v_xor_b32_e32 v40, v5, v4
	v_cmp_ne_u16_e32 vcc_lo, 0x8000, v40
	v_cndmask_b32_e32 v4, 0x7fff, v40, vcc_lo
	s_delay_alu instid0(VALU_DEP_1) | instskip(NEXT) | instid1(VALU_DEP_1)
	v_and_b32_e32 v4, 0xffff, v4
	v_lshrrev_b32_e32 v4, s20, v4
	s_delay_alu instid0(VALU_DEP_1) | instskip(SKIP_1) | instid1(VALU_DEP_2)
	v_bitop3_b32 v5, v4, 1, s8 bitop3:0x80
	v_and_b32_e32 v4, s8, v4
	v_add_co_u32 v5, s0, v5, -1
	s_delay_alu instid0(VALU_DEP_1) | instskip(NEXT) | instid1(VALU_DEP_3)
	v_cndmask_b32_e64 v6, 0, 1, s0
	v_lshlrev_b32_e32 v7, 30, v4
	s_delay_alu instid0(VALU_DEP_2) | instskip(NEXT) | instid1(VALU_DEP_2)
	v_cmp_ne_u32_e32 vcc_lo, 0, v6
	v_not_b32_e32 v6, v7
	s_delay_alu instid0(VALU_DEP_1) | instskip(SKIP_4) | instid1(VALU_DEP_4)
	v_dual_ashrrev_i32 v6, 31, v6 :: v_dual_bitop2_b32 v5, vcc_lo, v5 bitop3:0x14
	v_dual_lshlrev_b32 v44, 29, v4 :: v_dual_lshlrev_b32 v45, 28, v4
	v_dual_lshlrev_b32 v46, 27, v4 :: v_dual_lshlrev_b32 v47, 26, v4
	v_lshlrev_b32_e32 v48, 25, v4
	v_cmp_gt_i32_e64 s0, 0, v7
	v_cmp_gt_i32_e64 s1, 0, v44
	v_not_b32_e32 v7, v44
	v_not_b32_e32 v44, v45
	v_lshlrev_b32_e32 v49, 24, v4
	v_cmp_gt_i32_e64 s2, 0, v45
	v_cmp_gt_i32_e64 s3, 0, v46
	v_not_b32_e32 v45, v46
	v_not_b32_e32 v46, v47
	v_dual_ashrrev_i32 v7, 31, v7 :: v_dual_ashrrev_i32 v44, 31, v44
	v_xor_b32_e32 v6, s0, v6
	v_cmp_gt_i32_e64 s4, 0, v47
	v_cmp_gt_i32_e64 s5, 0, v48
	v_not_b32_e32 v47, v48
	v_not_b32_e32 v48, v49
	v_dual_ashrrev_i32 v45, 31, v45 :: v_dual_ashrrev_i32 v46, 31, v46
	v_xor_b32_e32 v7, s1, v7
	v_xor_b32_e32 v44, s2, v44
	v_bitop3_b32 v5, v5, v6, exec_lo bitop3:0x80
	v_cmp_gt_i32_e64 s6, 0, v49
	v_dual_ashrrev_i32 v6, 31, v47 :: v_dual_ashrrev_i32 v48, 31, v48
	v_xor_b32_e32 v45, s3, v45
	v_xor_b32_e32 v46, s4, v46
	v_bitop3_b32 v5, v5, v44, v7 bitop3:0x80
	v_mad_u32_u24 v47, 0x44, v4, v0
	v_xor_b32_e32 v4, s5, v6
	v_xor_b32_e32 v6, s6, v48
	s_delay_alu instid0(VALU_DEP_4) | instskip(SKIP_2) | instid1(VALU_DEP_1)
	v_bitop3_b32 v5, v5, v46, v45 bitop3:0x80
	ds_load_b32 v45, v47 offset:64
	; wave barrier
	v_bitop3_b32 v4, v5, v6, v4 bitop3:0x80
	v_mbcnt_lo_u32_b32 v46, v4, 0
	v_cmp_ne_u32_e64 s0, 0, v4
	s_delay_alu instid0(VALU_DEP_2) | instskip(SKIP_1) | instid1(SALU_CYCLE_1)
	v_cmp_eq_u32_e32 vcc_lo, 0, v46
	s_and_b32 s1, s0, vcc_lo
	s_and_saveexec_b32 s0, s1
	s_cbranch_execz .LBB1991_115
; %bb.114:
	s_wait_dscnt 0x0
	v_bcnt_u32_b32 v4, v4, v45
	ds_store_b32 v47, v4 offset:64
.LBB1991_115:
	s_or_b32 exec_lo, exec_lo, s0
	v_cmp_gt_i16_e32 vcc_lo, 0, v3
	; wave barrier
	v_cndmask_b32_e64 v4, 0x7fff, 0, vcc_lo
	s_delay_alu instid0(VALU_DEP_1) | instskip(NEXT) | instid1(VALU_DEP_1)
	v_xor_b32_e32 v44, v4, v3
	v_cmp_ne_u16_e32 vcc_lo, 0x8000, v44
	v_cndmask_b32_e32 v3, 0x7fff, v44, vcc_lo
	s_delay_alu instid0(VALU_DEP_1) | instskip(NEXT) | instid1(VALU_DEP_1)
	v_and_b32_e32 v3, 0xffff, v3
	v_lshrrev_b32_e32 v3, s20, v3
	s_delay_alu instid0(VALU_DEP_1) | instskip(SKIP_1) | instid1(VALU_DEP_2)
	v_bitop3_b32 v4, v3, 1, s8 bitop3:0x80
	v_and_b32_e32 v3, s8, v3
	v_add_co_u32 v4, s0, v4, -1
	s_delay_alu instid0(VALU_DEP_1) | instskip(NEXT) | instid1(VALU_DEP_3)
	v_cndmask_b32_e64 v5, 0, 1, s0
	v_lshlrev_b32_e32 v6, 30, v3
	s_delay_alu instid0(VALU_DEP_2) | instskip(NEXT) | instid1(VALU_DEP_2)
	v_cmp_ne_u32_e32 vcc_lo, 0, v5
	v_not_b32_e32 v5, v6
	s_delay_alu instid0(VALU_DEP_1) | instskip(SKIP_4) | instid1(VALU_DEP_4)
	v_dual_ashrrev_i32 v5, 31, v5 :: v_dual_bitop2_b32 v4, vcc_lo, v4 bitop3:0x14
	v_dual_lshlrev_b32 v7, 29, v3 :: v_dual_lshlrev_b32 v48, 28, v3
	v_dual_lshlrev_b32 v49, 27, v3 :: v_dual_lshlrev_b32 v50, 26, v3
	v_lshlrev_b32_e32 v51, 25, v3
	v_cmp_gt_i32_e64 s0, 0, v6
	v_cmp_gt_i32_e64 s1, 0, v7
	v_not_b32_e32 v6, v7
	v_not_b32_e32 v7, v48
	v_lshlrev_b32_e32 v52, 24, v3
	v_cmp_gt_i32_e64 s2, 0, v48
	v_cmp_gt_i32_e64 s3, 0, v49
	v_not_b32_e32 v48, v49
	v_not_b32_e32 v49, v50
	v_dual_ashrrev_i32 v6, 31, v6 :: v_dual_ashrrev_i32 v7, 31, v7
	v_xor_b32_e32 v5, s0, v5
	v_cmp_gt_i32_e64 s4, 0, v50
	v_cmp_gt_i32_e64 s5, 0, v51
	v_not_b32_e32 v50, v51
	v_not_b32_e32 v51, v52
	v_dual_ashrrev_i32 v48, 31, v48 :: v_dual_ashrrev_i32 v49, 31, v49
	v_xor_b32_e32 v6, s1, v6
	v_xor_b32_e32 v7, s2, v7
	v_bitop3_b32 v4, v4, v5, exec_lo bitop3:0x80
	v_cmp_gt_i32_e64 s6, 0, v52
	v_dual_ashrrev_i32 v5, 31, v50 :: v_dual_ashrrev_i32 v50, 31, v51
	v_xor_b32_e32 v48, s3, v48
	v_xor_b32_e32 v49, s4, v49
	v_bitop3_b32 v4, v4, v7, v6 bitop3:0x80
	v_mad_u32_u24 v51, 0x44, v3, v0
	v_xor_b32_e32 v3, s5, v5
	v_xor_b32_e32 v5, s6, v50
	s_delay_alu instid0(VALU_DEP_4) | instskip(SKIP_2) | instid1(VALU_DEP_1)
	v_bitop3_b32 v4, v4, v49, v48 bitop3:0x80
	ds_load_b32 v48, v51 offset:64
	; wave barrier
	v_bitop3_b32 v3, v4, v5, v3 bitop3:0x80
	v_mbcnt_lo_u32_b32 v50, v3, 0
	v_cmp_ne_u32_e64 s0, 0, v3
	s_delay_alu instid0(VALU_DEP_2) | instskip(SKIP_1) | instid1(SALU_CYCLE_1)
	v_cmp_eq_u32_e32 vcc_lo, 0, v50
	s_and_b32 s1, s0, vcc_lo
	s_and_saveexec_b32 s0, s1
	s_cbranch_execz .LBB1991_117
; %bb.116:
	s_wait_dscnt 0x0
	v_bcnt_u32_b32 v3, v3, v48
	ds_store_b32 v51, v3 offset:64
.LBB1991_117:
	s_or_b32 exec_lo, exec_lo, s0
	v_cmp_gt_i16_e32 vcc_lo, 0, v2
	; wave barrier
	v_cndmask_b32_e64 v3, 0x7fff, 0, vcc_lo
	s_delay_alu instid0(VALU_DEP_1) | instskip(NEXT) | instid1(VALU_DEP_1)
	v_xor_b32_e32 v49, v3, v2
	v_cmp_ne_u16_e32 vcc_lo, 0x8000, v49
	v_cndmask_b32_e32 v2, 0x7fff, v49, vcc_lo
	s_delay_alu instid0(VALU_DEP_1) | instskip(NEXT) | instid1(VALU_DEP_1)
	v_and_b32_e32 v2, 0xffff, v2
	v_lshrrev_b32_e32 v2, s20, v2
	s_delay_alu instid0(VALU_DEP_1) | instskip(SKIP_1) | instid1(VALU_DEP_2)
	v_bitop3_b32 v3, v2, 1, s8 bitop3:0x80
	v_and_b32_e32 v2, s8, v2
	v_add_co_u32 v3, s0, v3, -1
	s_delay_alu instid0(VALU_DEP_1) | instskip(NEXT) | instid1(VALU_DEP_3)
	v_cndmask_b32_e64 v4, 0, 1, s0
	v_lshlrev_b32_e32 v5, 30, v2
	s_delay_alu instid0(VALU_DEP_2) | instskip(NEXT) | instid1(VALU_DEP_2)
	v_cmp_ne_u32_e32 vcc_lo, 0, v4
	v_not_b32_e32 v4, v5
	s_delay_alu instid0(VALU_DEP_1) | instskip(SKIP_4) | instid1(VALU_DEP_4)
	v_dual_ashrrev_i32 v4, 31, v4 :: v_dual_bitop2_b32 v3, vcc_lo, v3 bitop3:0x14
	v_dual_lshlrev_b32 v6, 29, v2 :: v_dual_lshlrev_b32 v7, 28, v2
	v_dual_lshlrev_b32 v52, 27, v2 :: v_dual_lshlrev_b32 v53, 26, v2
	;; [unrolled: 1-line block ×3, first 2 shown]
	v_cmp_gt_i32_e64 s0, 0, v5
	v_cmp_gt_i32_e64 s1, 0, v6
	v_not_b32_e32 v5, v6
	v_not_b32_e32 v6, v7
	v_cmp_gt_i32_e64 s2, 0, v7
	v_cmp_gt_i32_e64 s3, 0, v52
	v_not_b32_e32 v7, v52
	v_cmp_gt_i32_e64 s4, 0, v53
	v_not_b32_e32 v52, v53
	;; [unrolled: 2-line block ×3, first 2 shown]
	v_not_b32_e32 v54, v55
	v_dual_ashrrev_i32 v5, 31, v5 :: v_dual_ashrrev_i32 v6, 31, v6
	v_dual_ashrrev_i32 v7, 31, v7 :: v_dual_bitop2_b32 v4, s0, v4 bitop3:0x14
	s_delay_alu instid0(VALU_DEP_2) | instskip(NEXT) | instid1(VALU_DEP_3)
	v_dual_ashrrev_i32 v52, 31, v52 :: v_dual_bitop2_b32 v5, s1, v5 bitop3:0x14
	v_xor_b32_e32 v6, s2, v6
	s_delay_alu instid0(VALU_DEP_3)
	v_bitop3_b32 v3, v3, v4, exec_lo bitop3:0x80
	v_cmp_gt_i32_e64 s6, 0, v55
	v_dual_ashrrev_i32 v4, 31, v53 :: v_dual_ashrrev_i32 v53, 31, v54
	v_xor_b32_e32 v7, s3, v7
	v_xor_b32_e32 v52, s4, v52
	v_bitop3_b32 v3, v3, v6, v5 bitop3:0x80
	v_mad_u32_u24 v56, 0x44, v2, v0
	v_xor_b32_e32 v2, s5, v4
	v_xor_b32_e32 v4, s6, v53
	s_delay_alu instid0(VALU_DEP_4) | instskip(SKIP_2) | instid1(VALU_DEP_1)
	v_bitop3_b32 v3, v3, v52, v7 bitop3:0x80
	ds_load_b32 v52, v56 offset:64
	; wave barrier
	v_bitop3_b32 v2, v3, v4, v2 bitop3:0x80
	v_mbcnt_lo_u32_b32 v53, v2, 0
	v_cmp_ne_u32_e64 s0, 0, v2
	s_delay_alu instid0(VALU_DEP_2) | instskip(SKIP_1) | instid1(SALU_CYCLE_1)
	v_cmp_eq_u32_e32 vcc_lo, 0, v53
	s_and_b32 s1, s0, vcc_lo
	s_and_saveexec_b32 s0, s1
	s_cbranch_execz .LBB1991_119
; %bb.118:
	s_wait_dscnt 0x0
	v_bcnt_u32_b32 v2, v2, v52
	ds_store_b32 v56, v2 offset:64
.LBB1991_119:
	s_or_b32 exec_lo, exec_lo, s0
	v_cmp_gt_i16_e32 vcc_lo, 0, v1
	; wave barrier
	v_cndmask_b32_e64 v2, 0x7fff, 0, vcc_lo
	s_delay_alu instid0(VALU_DEP_1) | instskip(NEXT) | instid1(VALU_DEP_1)
	v_xor_b32_e32 v54, v2, v1
	v_cmp_ne_u16_e32 vcc_lo, 0x8000, v54
	v_cndmask_b32_e32 v1, 0x7fff, v54, vcc_lo
	s_delay_alu instid0(VALU_DEP_1) | instskip(NEXT) | instid1(VALU_DEP_1)
	v_and_b32_e32 v1, 0xffff, v1
	v_lshrrev_b32_e32 v1, s20, v1
	s_delay_alu instid0(VALU_DEP_1) | instskip(SKIP_1) | instid1(VALU_DEP_2)
	v_bitop3_b32 v2, v1, 1, s8 bitop3:0x80
	v_and_b32_e32 v1, s8, v1
	v_add_co_u32 v2, s0, v2, -1
	s_delay_alu instid0(VALU_DEP_1) | instskip(NEXT) | instid1(VALU_DEP_3)
	v_cndmask_b32_e64 v3, 0, 1, s0
	v_lshlrev_b32_e32 v4, 30, v1
	s_delay_alu instid0(VALU_DEP_2) | instskip(NEXT) | instid1(VALU_DEP_2)
	v_cmp_ne_u32_e32 vcc_lo, 0, v3
	v_not_b32_e32 v3, v4
	s_delay_alu instid0(VALU_DEP_1) | instskip(SKIP_4) | instid1(VALU_DEP_4)
	v_dual_ashrrev_i32 v3, 31, v3 :: v_dual_bitop2_b32 v2, vcc_lo, v2 bitop3:0x14
	v_dual_lshlrev_b32 v5, 29, v1 :: v_dual_lshlrev_b32 v6, 28, v1
	v_dual_lshlrev_b32 v7, 27, v1 :: v_dual_lshlrev_b32 v55, 26, v1
	v_lshlrev_b32_e32 v57, 25, v1
	v_cmp_gt_i32_e64 s0, 0, v4
	v_cmp_gt_i32_e64 s1, 0, v5
	v_not_b32_e32 v4, v5
	v_not_b32_e32 v5, v6
	v_lshlrev_b32_e32 v58, 24, v1
	v_cmp_gt_i32_e64 s2, 0, v6
	v_cmp_gt_i32_e64 s3, 0, v7
	v_not_b32_e32 v6, v7
	v_not_b32_e32 v7, v55
	v_dual_ashrrev_i32 v4, 31, v4 :: v_dual_ashrrev_i32 v5, 31, v5
	v_xor_b32_e32 v3, s0, v3
	v_cmp_gt_i32_e64 s4, 0, v55
	v_cmp_gt_i32_e64 s5, 0, v57
	v_not_b32_e32 v55, v57
	v_not_b32_e32 v57, v58
	v_dual_ashrrev_i32 v6, 31, v6 :: v_dual_ashrrev_i32 v7, 31, v7
	v_xor_b32_e32 v4, s1, v4
	v_xor_b32_e32 v5, s2, v5
	v_bitop3_b32 v2, v2, v3, exec_lo bitop3:0x80
	v_cmp_gt_i32_e64 s6, 0, v58
	v_dual_ashrrev_i32 v3, 31, v55 :: v_dual_ashrrev_i32 v55, 31, v57
	v_xor_b32_e32 v6, s3, v6
	v_xor_b32_e32 v7, s4, v7
	v_bitop3_b32 v2, v2, v5, v4 bitop3:0x80
	v_mad_u32_u24 v58, 0x44, v1, v0
	v_xor_b32_e32 v0, s5, v3
	v_xor_b32_e32 v1, s6, v55
	s_delay_alu instid0(VALU_DEP_4) | instskip(SKIP_2) | instid1(VALU_DEP_1)
	v_bitop3_b32 v2, v2, v7, v6 bitop3:0x80
	ds_load_b32 v55, v58 offset:64
	; wave barrier
	v_bitop3_b32 v0, v2, v1, v0 bitop3:0x80
	v_mbcnt_lo_u32_b32 v57, v0, 0
	v_cmp_ne_u32_e64 s0, 0, v0
	s_delay_alu instid0(VALU_DEP_2) | instskip(SKIP_1) | instid1(SALU_CYCLE_1)
	v_cmp_eq_u32_e32 vcc_lo, 0, v57
	s_and_b32 s1, s0, vcc_lo
	s_and_saveexec_b32 s0, s1
	s_cbranch_execz .LBB1991_121
; %bb.120:
	s_wait_dscnt 0x0
	v_bcnt_u32_b32 v0, v0, v55
	ds_store_b32 v58, v0 offset:64
.LBB1991_121:
	s_or_b32 exec_lo, exec_lo, s0
	; wave barrier
	s_wait_dscnt 0x0
	s_barrier_signal -1
	s_barrier_wait -1
	ds_load_2addr_b32 v[6:7], v11 offset0:16 offset1:17
	ds_load_2addr_b32 v[4:5], v11 offset0:18 offset1:19
	;; [unrolled: 1-line block ×4, first 2 shown]
	ds_load_b32 v59, v11 offset:96
	v_min_u32_e32 v15, 0x1e0, v15
	s_mov_b32 s4, exec_lo
	s_wait_dscnt 0x3
	v_add3_u32 v60, v7, v6, v4
	s_wait_dscnt 0x2
	s_delay_alu instid0(VALU_DEP_1) | instskip(SKIP_1) | instid1(VALU_DEP_1)
	v_add3_u32 v60, v60, v5, v2
	s_wait_dscnt 0x1
	v_add3_u32 v60, v60, v3, v0
	s_wait_dscnt 0x0
	s_delay_alu instid0(VALU_DEP_1) | instskip(SKIP_1) | instid1(VALU_DEP_2)
	v_add3_u32 v59, v60, v1, v59
	v_and_b32_e32 v60, 15, v14
	v_mov_b32_dpp v61, v59 row_shr:1 row_mask:0xf bank_mask:0xf
	s_delay_alu instid0(VALU_DEP_2) | instskip(NEXT) | instid1(VALU_DEP_2)
	v_cmp_eq_u32_e32 vcc_lo, 0, v60
	v_cndmask_b32_e64 v61, v61, 0, vcc_lo
	s_delay_alu instid0(VALU_DEP_1) | instskip(SKIP_3) | instid1(VALU_DEP_4)
	v_add_nc_u32_e32 v59, v61, v59
	v_cmp_lt_u32_e64 s0, 1, v60
	v_cmp_lt_u32_e64 s1, 3, v60
	;; [unrolled: 1-line block ×3, first 2 shown]
	v_mov_b32_dpp v61, v59 row_shr:2 row_mask:0xf bank_mask:0xf
	s_delay_alu instid0(VALU_DEP_1) | instskip(NEXT) | instid1(VALU_DEP_1)
	v_cndmask_b32_e64 v61, 0, v61, s0
	v_add_nc_u32_e32 v59, v59, v61
	s_delay_alu instid0(VALU_DEP_1) | instskip(NEXT) | instid1(VALU_DEP_1)
	v_mov_b32_dpp v61, v59 row_shr:4 row_mask:0xf bank_mask:0xf
	v_cndmask_b32_e64 v61, 0, v61, s1
	s_delay_alu instid0(VALU_DEP_1) | instskip(NEXT) | instid1(VALU_DEP_1)
	v_add_nc_u32_e32 v59, v59, v61
	v_mov_b32_dpp v61, v59 row_shr:8 row_mask:0xf bank_mask:0xf
	s_delay_alu instid0(VALU_DEP_1) | instskip(SKIP_1) | instid1(VALU_DEP_2)
	v_cndmask_b32_e64 v60, 0, v61, s2
	v_bfe_i32 v61, v14, 4, 1
	v_add_nc_u32_e32 v60, v59, v60
	ds_swizzle_b32 v59, v60 offset:swizzle(BROADCAST,32,15)
	s_wait_dscnt 0x0
	v_dual_lshrrev_b32 v59, 5, v12 :: v_dual_bitop2_b32 v61, v61, v59 bitop3:0x40
	s_delay_alu instid0(VALU_DEP_1) | instskip(NEXT) | instid1(VALU_DEP_1)
	v_dual_add_nc_u32 v15, v60, v61 :: v_dual_bitop2_b32 v62, 31, v15 bitop3:0x54
	v_cmpx_eq_u32_e64 v12, v62
; %bb.122:
	s_delay_alu instid0(VALU_DEP_3)
	v_lshlrev_b32_e32 v60, 2, v59
	ds_store_b32 v60, v15
; %bb.123:
	s_or_b32 exec_lo, exec_lo, s4
	s_delay_alu instid0(SALU_CYCLE_1)
	s_mov_b32 s4, exec_lo
	s_wait_dscnt 0x0
	s_barrier_signal -1
	s_barrier_wait -1
	v_cmpx_gt_u32_e32 16, v12
	s_cbranch_execz .LBB1991_125
; %bb.124:
	v_lshlrev_b32_e32 v60, 2, v12
	ds_load_b32 v61, v60
	s_wait_dscnt 0x0
	v_mov_b32_dpp v62, v61 row_shr:1 row_mask:0xf bank_mask:0xf
	s_delay_alu instid0(VALU_DEP_1) | instskip(NEXT) | instid1(VALU_DEP_1)
	v_cndmask_b32_e64 v62, v62, 0, vcc_lo
	v_add_nc_u32_e32 v61, v62, v61
	s_delay_alu instid0(VALU_DEP_1) | instskip(NEXT) | instid1(VALU_DEP_1)
	v_mov_b32_dpp v62, v61 row_shr:2 row_mask:0xf bank_mask:0xf
	v_cndmask_b32_e64 v62, 0, v62, s0
	s_delay_alu instid0(VALU_DEP_1) | instskip(NEXT) | instid1(VALU_DEP_1)
	v_add_nc_u32_e32 v61, v61, v62
	v_mov_b32_dpp v62, v61 row_shr:4 row_mask:0xf bank_mask:0xf
	s_delay_alu instid0(VALU_DEP_1) | instskip(NEXT) | instid1(VALU_DEP_1)
	v_cndmask_b32_e64 v62, 0, v62, s1
	v_add_nc_u32_e32 v61, v61, v62
	s_delay_alu instid0(VALU_DEP_1) | instskip(NEXT) | instid1(VALU_DEP_1)
	v_mov_b32_dpp v62, v61 row_shr:8 row_mask:0xf bank_mask:0xf
	v_cndmask_b32_e64 v62, 0, v62, s2
	s_delay_alu instid0(VALU_DEP_1)
	v_add_nc_u32_e32 v61, v61, v62
	ds_store_b32 v60, v61
.LBB1991_125:
	s_or_b32 exec_lo, exec_lo, s4
	v_mov_b32_e32 v60, 0
	s_mov_b32 s0, exec_lo
	s_wait_dscnt 0x0
	s_barrier_signal -1
	s_barrier_wait -1
	v_cmpx_lt_u32_e32 31, v12
; %bb.126:
	v_lshl_add_u32 v59, v59, 2, -4
	ds_load_b32 v60, v59
; %bb.127:
	s_or_b32 exec_lo, exec_lo, s0
	v_sub_co_u32 v59, vcc_lo, v14, 1
	s_wait_dscnt 0x0
	v_add_nc_u32_e32 v15, v60, v15
	s_delay_alu instid0(VALU_DEP_2) | instskip(NEXT) | instid1(VALU_DEP_1)
	v_cmp_gt_i32_e64 s0, 0, v59
	v_cndmask_b32_e64 v14, v59, v14, s0
	v_cmp_gt_u32_e64 s0, 0x100, v12
	s_delay_alu instid0(VALU_DEP_2) | instskip(SKIP_4) | instid1(VALU_DEP_2)
	v_lshlrev_b32_e32 v14, 2, v14
	ds_bpermute_b32 v14, v14, v15
	s_wait_dscnt 0x0
	v_cndmask_b32_e32 v14, v14, v60, vcc_lo
	v_cmp_ne_u32_e32 vcc_lo, 0, v12
	v_cndmask_b32_e32 v14, 0, v14, vcc_lo
	v_cmp_lt_u32_e32 vcc_lo, 0xff, v12
	s_delay_alu instid0(VALU_DEP_2) | instskip(NEXT) | instid1(VALU_DEP_1)
	v_add_nc_u32_e32 v6, v14, v6
	v_add_nc_u32_e32 v7, v6, v7
	s_delay_alu instid0(VALU_DEP_1) | instskip(NEXT) | instid1(VALU_DEP_1)
	v_add_nc_u32_e32 v4, v7, v4
	v_add_nc_u32_e32 v5, v4, v5
	s_delay_alu instid0(VALU_DEP_1) | instskip(NEXT) | instid1(VALU_DEP_1)
	;; [unrolled: 3-line block ×3, first 2 shown]
	v_add_nc_u32_e32 v0, v3, v0
	v_add_nc_u32_e32 v1, v0, v1
	ds_store_2addr_b32 v11, v14, v6 offset0:16 offset1:17
	ds_store_2addr_b32 v11, v7, v4 offset0:18 offset1:19
	ds_store_2addr_b32 v11, v5, v2 offset0:20 offset1:21
	ds_store_2addr_b32 v11, v3, v0 offset0:22 offset1:23
	ds_store_b32 v11, v1 offset:96
	s_wait_dscnt 0x0
	s_barrier_signal -1
	s_barrier_wait -1
	ds_load_b32 v59, v13 offset:64
	ds_load_b32 v60, v19 offset:64
	;; [unrolled: 1-line block ×12, first 2 shown]
	v_mov_b64_e32 v[0:1], 0
                                        ; implicit-def: $vgpr2
	s_and_saveexec_b32 s2, s0
	s_cbranch_execz .LBB1991_131
; %bb.128:
	v_mul_u32_u24_e32 v0, 0x44, v12
	v_dual_mov_b32 v1, 0x1800 :: v_dual_add_nc_u32 v2, 1, v12
	s_mov_b32 s3, exec_lo
	ds_load_b32 v0, v0 offset:64
	v_cmpx_ne_u32_e32 0x100, v2
; %bb.129:
	v_mul_u32_u24_e32 v1, 0x44, v2
	ds_load_b32 v1, v1 offset:64
; %bb.130:
	s_or_b32 exec_lo, exec_lo, s3
	s_wait_dscnt 0x0
	v_dual_mov_b32 v1, 0 :: v_dual_sub_nc_u32 v2, v1, v0
.LBB1991_131:
	s_or_b32 exec_lo, exec_lo, s2
	s_wait_dscnt 0xa
	v_dual_lshlrev_b32 v9, 1, v9 :: v_dual_lshlrev_b32 v23, 1, v60
	v_dual_lshlrev_b32 v18, 1, v18 :: v_dual_lshlrev_b32 v17, 1, v17
	v_lshlrev_b32_e32 v21, 1, v21
	s_delay_alu instid0(VALU_DEP_3)
	v_lshl_add_u32 v9, v59, 1, v9
	s_wait_dscnt 0x0
	s_barrier_signal -1
	v_add3_u32 v17, v23, v18, v17
	v_dual_lshlrev_b32 v18, 1, v19 :: v_dual_lshlrev_b32 v19, 1, v22
	s_barrier_wait -1
	ds_store_b16 v9, v8 offset:2048
	ds_store_b16 v17, v10 offset:2048
	v_lshlrev_b32_e32 v9, 1, v15
	v_add3_u32 v8, v18, v19, v21
	v_dual_lshlrev_b32 v10, 1, v26 :: v_dual_lshlrev_b32 v15, 1, v25
	v_dual_lshlrev_b32 v14, 1, v14 :: v_dual_lshlrev_b32 v18, 1, v28
	;; [unrolled: 1-line block ×6, first 2 shown]
	ds_store_b16 v8, v16 offset:2048
	v_add3_u32 v8, v9, v10, v15
	v_add3_u32 v9, v14, v17, v18
	;; [unrolled: 1-line block ×3, first 2 shown]
	v_dual_lshlrev_b32 v13, 1, v42 :: v_dual_lshlrev_b32 v14, 1, v41
	v_add3_u32 v11, v11, v22, v23
	ds_store_b16 v8, v20 offset:2048
	ds_store_b16 v9, v24 offset:2048
	ds_store_b16 v10, v29 offset:2048
	ds_store_b16 v11, v34 offset:2048
	v_dual_lshlrev_b32 v6, 1, v6 :: v_dual_lshlrev_b32 v9, 1, v45
	v_add3_u32 v7, v7, v13, v14
	v_dual_lshlrev_b32 v8, 1, v46 :: v_dual_lshlrev_b32 v5, 1, v5
	v_dual_lshlrev_b32 v10, 1, v50 :: v_dual_lshlrev_b32 v11, 1, v48
	v_dual_lshlrev_b32 v14, 1, v52 :: v_dual_lshlrev_b32 v3, 1, v3
	v_dual_lshlrev_b32 v15, 1, v57 :: v_dual_lshlrev_b32 v16, 1, v55
	v_dual_lshlrev_b32 v4, 1, v4 :: v_dual_lshlrev_b32 v13, 1, v53
	ds_store_b16 v7, v36 offset:2048
	v_add3_u32 v6, v6, v8, v9
	v_add3_u32 v7, v5, v10, v11
	;; [unrolled: 1-line block ×3, first 2 shown]
	v_dual_mov_b32 v5, 0 :: v_dual_lshlrev_b32 v3, 3, v12
	v_add3_u32 v4, v4, v13, v14
	ds_store_b16 v6, v40 offset:2048
	ds_store_b16 v7, v44 offset:2048
	ds_store_b16 v4, v49 offset:2048
	ds_store_b16 v8, v54 offset:2048
	s_and_saveexec_b32 s1, s0
	s_cbranch_execz .LBB1991_141
; %bb.132:
	v_lshl_add_u32 v4, s9, 8, v12
	v_dual_mov_b32 v8, 0 :: v_dual_bitop2_b32 v9, 2.0, v2 bitop3:0x54
	s_mov_b32 s2, 0
	s_mov_b32 s3, s9
	s_delay_alu instid0(VALU_DEP_2)
	v_lshl_add_u64 v[6:7], v[4:5], 2, s[10:11]
	global_store_b32 v4, v9, s[10:11] scale_offset scope:SCOPE_DEV
                                        ; implicit-def: $sgpr0
	s_branch .LBB1991_135
.LBB1991_133:                           ;   in Loop: Header=BB1991_135 Depth=1
	s_or_b32 exec_lo, exec_lo, s5
.LBB1991_134:                           ;   in Loop: Header=BB1991_135 Depth=1
	s_delay_alu instid0(SALU_CYCLE_1) | instskip(SKIP_2) | instid1(VALU_DEP_2)
	s_or_b32 exec_lo, exec_lo, s4
	v_and_b32_e32 v4, 0x3fffffff, v9
	v_cmp_gt_i32_e64 s0, -2.0, v9
	v_add_nc_u32_e32 v8, v4, v8
	s_and_b32 s4, exec_lo, s0
	s_delay_alu instid0(SALU_CYCLE_1) | instskip(NEXT) | instid1(SALU_CYCLE_1)
	s_or_b32 s2, s4, s2
	s_and_not1_b32 exec_lo, exec_lo, s2
	s_cbranch_execz .LBB1991_140
.LBB1991_135:                           ; =>This Loop Header: Depth=1
                                        ;     Child Loop BB1991_138 Depth 2
	s_or_b32 s0, s0, exec_lo
	s_cmp_eq_u32 s3, 0
	s_cbranch_scc1 .LBB1991_139
; %bb.136:                              ;   in Loop: Header=BB1991_135 Depth=1
	s_add_co_i32 s3, s3, -1
	s_mov_b32 s4, exec_lo
	s_wait_xcnt 0x0
	v_lshl_or_b32 v4, s3, 8, v12
	global_load_b32 v9, v4, s[10:11] scale_offset scope:SCOPE_DEV
	s_wait_loadcnt 0x0
	v_cmpx_gt_u32_e32 2.0, v9
	s_cbranch_execz .LBB1991_134
; %bb.137:                              ;   in Loop: Header=BB1991_135 Depth=1
	v_lshl_add_u64 v[10:11], v[4:5], 2, s[10:11]
	s_mov_b32 s5, 0
.LBB1991_138:                           ;   Parent Loop BB1991_135 Depth=1
                                        ; =>  This Inner Loop Header: Depth=2
	global_load_b32 v9, v[10:11], off scope:SCOPE_DEV
	s_wait_loadcnt 0x0
	v_cmp_lt_u32_e64 s0, 0x3fffffff, v9
	s_or_b32 s5, s0, s5
	s_wait_xcnt 0x0
	s_and_not1_b32 exec_lo, exec_lo, s5
	s_cbranch_execnz .LBB1991_138
	s_branch .LBB1991_133
.LBB1991_139:                           ;   in Loop: Header=BB1991_135 Depth=1
                                        ; implicit-def: $sgpr3
	s_and_b32 s4, exec_lo, s0
	s_delay_alu instid0(SALU_CYCLE_1)
	s_or_b32 s2, s4, s2
	s_wait_xcnt 0x0
	s_and_not1_b32 exec_lo, exec_lo, s2
	s_cbranch_execnz .LBB1991_135
.LBB1991_140:
	s_or_b32 exec_lo, exec_lo, s2
	v_dual_mov_b32 v9, 0 :: v_dual_add_nc_u32 v4, v8, v2
	s_delay_alu instid0(VALU_DEP_1) | instskip(SKIP_4) | instid1(VALU_DEP_1)
	v_or_b32_e32 v4, 0x80000000, v4
	global_store_b32 v[6:7], v4, off scope:SCOPE_DEV
	global_load_b64 v[4:5], v12, s[12:13] scale_offset
	v_sub_nc_u64_e32 v[6:7], v[8:9], v[0:1]
	s_wait_loadcnt 0x0
	v_add_nc_u64_e32 v[4:5], v[6:7], v[4:5]
	ds_store_b64 v3, v[4:5]
.LBB1991_141:
	s_wait_xcnt 0x0
	s_or_b32 exec_lo, exec_lo, s1
	v_mad_i32_i24 v13, v12, -6, v3
	s_wait_storecnt_dscnt 0x0
	s_barrier_signal -1
	s_barrier_wait -1
	ds_load_u16 v16, v13 offset:2048
	ds_load_u16 v17, v13 offset:3072
	;; [unrolled: 1-line block ×8, first 2 shown]
	v_dual_mov_b32 v5, 0 :: v_dual_lshlrev_b32 v4, 1, v12
	s_add_co_i32 s7, s7, -1
	s_delay_alu instid0(SALU_CYCLE_1) | instskip(SKIP_2) | instid1(VALU_DEP_1)
	s_cmp_eq_u32 s9, s7
	s_wait_dscnt 0x7
	v_cmp_ne_u16_e64 s0, 0x8000, v16
	v_cndmask_b32_e64 v6, 0x7fff, v16, s0
	v_cmp_gt_i16_e64 s0, 0, v16
	s_delay_alu instid0(VALU_DEP_2) | instskip(NEXT) | instid1(VALU_DEP_2)
	v_and_b32_e32 v6, 0xffff, v6
	v_cndmask_b32_e64 v24, 0x7fff, 0, s0
	s_wait_dscnt 0x6
	v_cmp_ne_u16_e64 s0, 0x8000, v17
	s_delay_alu instid0(VALU_DEP_2) | instskip(NEXT) | instid1(VALU_DEP_2)
	v_xor_b32_e32 v24, v24, v16
	v_cndmask_b32_e64 v7, 0x7fff, v17, s0
	s_wait_dscnt 0x5
	v_cmp_ne_u16_e64 s0, 0x8000, v18
	s_delay_alu instid0(VALU_DEP_2) | instskip(NEXT) | instid1(VALU_DEP_2)
	v_and_b32_e32 v7, 0xffff, v7
	v_cndmask_b32_e64 v8, 0x7fff, v18, s0
	s_wait_dscnt 0x4
	v_cmp_ne_u16_e64 s0, 0x8000, v19
	s_delay_alu instid0(VALU_DEP_3) | instskip(NEXT) | instid1(VALU_DEP_3)
	v_dual_lshrrev_b32 v6, s20, v6 :: v_dual_lshrrev_b32 v7, s20, v7
	v_and_b32_e32 v8, 0xffff, v8
	s_delay_alu instid0(VALU_DEP_3) | instskip(SKIP_1) | instid1(VALU_DEP_4)
	v_cndmask_b32_e64 v9, 0x7fff, v19, s0
	v_cmp_gt_i16_e64 s0, 0, v17
	v_and_b32_e32 v7, s8, v7
	v_and_b32_e32 v6, s8, v6
	s_delay_alu instid0(VALU_DEP_4) | instskip(NEXT) | instid1(VALU_DEP_4)
	v_and_b32_e32 v9, 0xffff, v9
	v_cndmask_b32_e64 v25, 0x7fff, 0, s0
	s_wait_dscnt 0x3
	v_cmp_ne_u16_e64 s0, 0x8000, v20
	v_dual_lshrrev_b32 v8, s20, v8 :: v_dual_lshlrev_b32 v11, 3, v7
	v_dual_lshrrev_b32 v9, s20, v9 :: v_dual_lshlrev_b32 v6, 3, v6
	s_delay_alu instid0(VALU_DEP_3) | instskip(SKIP_1) | instid1(VALU_DEP_2)
	v_cndmask_b32_e64 v10, 0x7fff, v20, s0
	v_cmp_gt_i16_e64 s0, 0, v18
	v_and_b32_e32 v10, 0xffff, v10
	v_and_b32_e32 v8, s8, v8
	v_and_b32_e32 v9, s8, v9
	s_delay_alu instid0(VALU_DEP_4) | instskip(SKIP_1) | instid1(VALU_DEP_4)
	v_cndmask_b32_e64 v27, 0x7fff, 0, s0
	v_cmp_gt_i16_e64 s0, 0, v19
	v_dual_lshrrev_b32 v26, s20, v10 :: v_dual_lshlrev_b32 v10, 3, v8
	s_delay_alu instid0(VALU_DEP_4)
	v_lshlrev_b32_e32 v14, 3, v9
	ds_load_b64 v[6:7], v6
	ds_load_b64 v[8:9], v11
	v_cndmask_b32_e64 v28, 0x7fff, 0, s0
	s_wait_dscnt 0x4
	v_cmp_ne_u16_e64 s0, 0x8000, v21
	v_and_b32_e32 v26, s8, v26
	ds_load_b64 v[10:11], v10
	ds_load_b64 v[14:15], v14
	v_xor_b32_e32 v19, v28, v19
	v_cndmask_b32_e64 v29, 0x7fff, v21, s0
	s_wait_dscnt 0x5
	v_cmp_ne_u16_e64 s0, 0x8000, v22
	v_lshlrev_b32_e32 v26, 3, v26
	s_delay_alu instid0(VALU_DEP_2) | instskip(SKIP_1) | instid1(VALU_DEP_2)
	v_cndmask_b32_e64 v30, 0x7fff, v22, s0
	v_cmp_gt_i16_e64 s0, 0, v20
	v_and_b32_e32 v28, 0xffff, v30
	s_wait_dscnt 0x3
	v_lshl_add_u64 v[6:7], v[6:7], 1, s[18:19]
	v_xor_b32_e32 v18, v27, v18
	v_and_b32_e32 v27, 0xffff, v29
	v_xor_b32_e32 v25, v25, v17
	ds_load_b64 v[16:17], v26
	ds_load_u16 v26, v13 offset:10240
	ds_load_u16 v31, v13 offset:11264
	;; [unrolled: 1-line block ×4, first 2 shown]
	s_wait_dscnt 0x7
	v_lshl_add_u64 v[8:9], v[8:9], 1, s[18:19]
	s_wait_dscnt 0x6
	v_lshl_add_u64 v[10:11], v[10:11], 1, s[18:19]
	v_add_nc_u64_e32 v[6:7], v[6:7], v[4:5]
	s_wait_dscnt 0x5
	v_lshl_add_u64 v[14:15], v[14:15], 1, s[18:19]
	v_add_nc_u64_e32 v[8:9], v[8:9], v[4:5]
	v_add_nc_u64_e32 v[10:11], v[10:11], v[4:5]
	s_clause 0x1
	global_store_b16 v[6:7], v24, off
	global_store_b16 v[8:9], v25, off offset:1024
	s_wait_xcnt 0x1
	v_cndmask_b32_e64 v6, 0x7fff, 0, s0
	v_cmp_ne_u16_e64 s0, 0x8000, v23
	s_wait_xcnt 0x0
	v_dual_lshrrev_b32 v8, s20, v27 :: v_dual_lshrrev_b32 v9, s20, v28
	global_store_b16 v[10:11], v18, off offset:2048
	v_add_nc_u64_e32 v[14:15], v[14:15], v[4:5]
	s_wait_xcnt 0x0
	v_cndmask_b32_e64 v10, 0x7fff, v23, s0
	s_wait_dscnt 0x3
	v_cmp_ne_u16_e64 s0, 0x8000, v26
	v_and_b32_e32 v8, s8, v8
	v_and_b32_e32 v9, s8, v9
	s_delay_alu instid0(VALU_DEP_3)
	v_cndmask_b32_e64 v11, 0x7fff, v26, s0
	s_wait_dscnt 0x2
	v_cmp_ne_u16_e64 s0, 0x8000, v31
	v_lshlrev_b32_e32 v8, 3, v8
	global_store_b16 v[14:15], v19, off offset:3072
	s_wait_xcnt 0x0
	v_dual_lshlrev_b32 v15, 3, v9 :: v_dual_bitop2_b32 v14, v6, v20 bitop3:0x14
	v_lshl_add_u64 v[6:7], v[16:17], 1, s[18:19]
	v_and_b32_e32 v16, 0xffff, v10
	v_and_b32_e32 v17, 0xffff, v11
	v_cndmask_b32_e64 v18, 0x7fff, v31, s0
	ds_load_b64 v[8:9], v8
	ds_load_b64 v[10:11], v15
	v_cmp_gt_i16_e64 s0, 0, v21
	v_dual_lshrrev_b32 v15, s20, v16 :: v_dual_lshrrev_b32 v16, s20, v17
	v_and_b32_e32 v17, 0xffff, v18
	v_add_nc_u64_e32 v[6:7], v[6:7], v[4:5]
	s_delay_alu instid0(VALU_DEP_4) | instskip(NEXT) | instid1(VALU_DEP_4)
	v_cndmask_b32_e64 v18, 0x7fff, 0, s0
	v_and_b32_e32 v15, s8, v15
	s_wait_dscnt 0x3
	v_cmp_ne_u16_e64 s0, 0x8000, v32
	v_dual_lshrrev_b32 v17, s20, v17 :: v_dual_bitop2_b32 v16, s8, v16 bitop3:0x40
	global_store_b16 v[6:7], v14, off offset:4096
	s_wait_xcnt 0x0
	v_dual_lshlrev_b32 v6, 3, v15 :: v_dual_bitop2_b32 v18, v18, v21 bitop3:0x14
	v_dual_lshlrev_b32 v14, 3, v16 :: v_dual_bitop2_b32 v16, s8, v17 bitop3:0x40
	v_cndmask_b32_e64 v17, 0x7fff, v32, s0
	s_wait_dscnt 0x2
	v_cmp_ne_u16_e64 s0, 0x8000, v13
	s_wait_dscnt 0x1
	v_lshl_add_u64 v[8:9], v[8:9], 1, s[18:19]
	s_wait_dscnt 0x0
	v_lshl_add_u64 v[10:11], v[10:11], 1, s[18:19]
	ds_load_b64 v[6:7], v6
	ds_load_b64 v[14:15], v14
	v_and_b32_e32 v17, 0xffff, v17
	v_cndmask_b32_e64 v19, 0x7fff, v13, s0
	v_cmp_gt_i16_e64 s0, 0, v22
	v_add_nc_u64_e32 v[8:9], v[8:9], v[4:5]
	v_add_nc_u64_e32 v[10:11], v[10:11], v[4:5]
	v_lshrrev_b32_e32 v20, s20, v17
	v_and_b32_e32 v19, 0xffff, v19
	v_lshlrev_b32_e32 v16, 3, v16
	v_cndmask_b32_e64 v21, 0x7fff, 0, s0
	v_cmp_gt_i16_e64 s0, 0, v23
	s_delay_alu instid0(VALU_DEP_4)
	v_lshrrev_b32_e32 v19, s20, v19
	ds_load_b64 v[16:17], v16
	v_xor_b32_e32 v21, v21, v22
	s_clause 0x1
	global_store_b16 v[8:9], v18, off offset:5120
	global_store_b16 v[10:11], v21, off offset:6144
	v_and_b32_e32 v19, s8, v19
	v_and_b32_e32 v20, s8, v20
	v_cndmask_b32_e64 v22, 0x7fff, 0, s0
	v_cmp_gt_i16_e64 s0, 0, v26
	s_wait_dscnt 0x2
	v_lshl_add_u64 v[6:7], v[6:7], 1, s[18:19]
	v_dual_lshlrev_b32 v19, 3, v19 :: v_dual_lshlrev_b32 v20, 3, v20
	s_wait_dscnt 0x1
	v_lshl_add_u64 v[14:15], v[14:15], 1, s[18:19]
	s_wait_xcnt 0x1
	v_xor_b32_e32 v18, v22, v23
	v_add_nc_u64_e32 v[6:7], v[6:7], v[4:5]
	s_wait_xcnt 0x0
	ds_load_b64 v[10:11], v19
	ds_load_b64 v[8:9], v20
	v_cndmask_b32_e64 v19, 0x7fff, 0, s0
	v_cmp_gt_i16_e64 s0, 0, v31
	s_wait_dscnt 0x2
	v_lshl_add_u64 v[16:17], v[16:17], 1, s[18:19]
	v_add_nc_u64_e32 v[14:15], v[14:15], v[4:5]
	v_xor_b32_e32 v19, v19, v26
	v_cndmask_b32_e64 v20, 0x7fff, 0, s0
	v_cmp_gt_i16_e64 s0, 0, v32
	v_add_nc_u64_e32 v[16:17], v[16:17], v[4:5]
	s_delay_alu instid0(VALU_DEP_3) | instskip(NEXT) | instid1(VALU_DEP_3)
	v_xor_b32_e32 v20, v20, v31
	v_cndmask_b32_e64 v21, 0x7fff, 0, s0
	v_cmp_gt_i16_e64 s0, 0, v13
	s_clause 0x2
	global_store_b16 v[6:7], v18, off offset:7168
	global_store_b16 v[14:15], v19, off offset:8192
	;; [unrolled: 1-line block ×3, first 2 shown]
	s_wait_xcnt 0x1
	v_xor_b32_e32 v14, v21, v32
	s_wait_dscnt 0x0
	v_lshl_add_u64 v[6:7], v[8:9], 1, s[18:19]
	v_lshl_add_u64 v[8:9], v[10:11], 1, s[18:19]
	v_cndmask_b32_e64 v10, 0x7fff, 0, s0
	s_cselect_b32 s0, -1, 0
	s_xor_b32 s1, vcc_lo, -1
	v_add_nc_u64_e32 v[6:7], v[6:7], v[4:5]
	v_add_nc_u64_e32 v[8:9], v[8:9], v[4:5]
	v_xor_b32_e32 v4, v10, v13
	s_and_b32 s0, s1, s0
	s_clause 0x1
	global_store_b16 v[6:7], v14, off offset:10240
	global_store_b16 v[8:9], v4, off offset:11264
	s_wait_xcnt 0x0
	s_and_saveexec_b32 s1, s0
	s_cbranch_execz .LBB1991_143
; %bb.142:
	ds_load_b64 v[6:7], v3
	v_mov_b32_e32 v3, v5
	s_delay_alu instid0(VALU_DEP_1) | instskip(SKIP_1) | instid1(VALU_DEP_1)
	v_add_nc_u64_e32 v[0:1], v[0:1], v[2:3]
	s_wait_dscnt 0x0
	v_add_nc_u64_e32 v[0:1], v[0:1], v[6:7]
	global_store_b64 v12, v[0:1], s[14:15] scale_offset
.LBB1991_143:
	s_sendmsg sendmsg(MSG_DEALLOC_VGPRS)
	s_endpgm
	.section	.rodata,"a",@progbits
	.p2align	6, 0x0
	.amdhsa_kernel _ZN7rocprim17ROCPRIM_400000_NS6detail17trampoline_kernelINS0_14default_configENS1_35radix_sort_onesweep_config_selectorI12hip_bfloat16NS0_10empty_typeEEEZZNS1_29radix_sort_onesweep_iterationIS3_Lb1EPKS5_PS5_PS6_SC_mNS0_19identity_decomposerENS1_16block_id_wrapperIjLb0EEEEE10hipError_tT1_PNSt15iterator_traitsISH_E10value_typeET2_T3_PNSI_ISN_E10value_typeET4_T5_PSS_ST_PNS1_23onesweep_lookback_stateEbbT6_jjT7_P12ihipStream_tbENKUlT_T0_SH_SM_E_clISB_SB_SC_SC_EEDaS10_S11_SH_SM_EUlS10_E_NS1_11comp_targetILNS1_3genE0ELNS1_11target_archE4294967295ELNS1_3gpuE0ELNS1_3repE0EEENS1_47radix_sort_onesweep_sort_config_static_selectorELNS0_4arch9wavefront6targetE0EEEvSH_
		.amdhsa_group_segment_fixed_size 18504
		.amdhsa_private_segment_fixed_size 0
		.amdhsa_kernarg_size 344
		.amdhsa_user_sgpr_count 2
		.amdhsa_user_sgpr_dispatch_ptr 0
		.amdhsa_user_sgpr_queue_ptr 0
		.amdhsa_user_sgpr_kernarg_segment_ptr 1
		.amdhsa_user_sgpr_dispatch_id 0
		.amdhsa_user_sgpr_kernarg_preload_length 0
		.amdhsa_user_sgpr_kernarg_preload_offset 0
		.amdhsa_user_sgpr_private_segment_size 0
		.amdhsa_wavefront_size32 1
		.amdhsa_uses_dynamic_stack 0
		.amdhsa_enable_private_segment 0
		.amdhsa_system_sgpr_workgroup_id_x 1
		.amdhsa_system_sgpr_workgroup_id_y 0
		.amdhsa_system_sgpr_workgroup_id_z 0
		.amdhsa_system_sgpr_workgroup_info 0
		.amdhsa_system_vgpr_workitem_id 2
		.amdhsa_next_free_vgpr 65
		.amdhsa_next_free_sgpr 28
		.amdhsa_named_barrier_count 0
		.amdhsa_reserve_vcc 1
		.amdhsa_float_round_mode_32 0
		.amdhsa_float_round_mode_16_64 0
		.amdhsa_float_denorm_mode_32 3
		.amdhsa_float_denorm_mode_16_64 3
		.amdhsa_fp16_overflow 0
		.amdhsa_memory_ordered 1
		.amdhsa_forward_progress 1
		.amdhsa_inst_pref_size 146
		.amdhsa_round_robin_scheduling 0
		.amdhsa_exception_fp_ieee_invalid_op 0
		.amdhsa_exception_fp_denorm_src 0
		.amdhsa_exception_fp_ieee_div_zero 0
		.amdhsa_exception_fp_ieee_overflow 0
		.amdhsa_exception_fp_ieee_underflow 0
		.amdhsa_exception_fp_ieee_inexact 0
		.amdhsa_exception_int_div_zero 0
	.end_amdhsa_kernel
	.section	.text._ZN7rocprim17ROCPRIM_400000_NS6detail17trampoline_kernelINS0_14default_configENS1_35radix_sort_onesweep_config_selectorI12hip_bfloat16NS0_10empty_typeEEEZZNS1_29radix_sort_onesweep_iterationIS3_Lb1EPKS5_PS5_PS6_SC_mNS0_19identity_decomposerENS1_16block_id_wrapperIjLb0EEEEE10hipError_tT1_PNSt15iterator_traitsISH_E10value_typeET2_T3_PNSI_ISN_E10value_typeET4_T5_PSS_ST_PNS1_23onesweep_lookback_stateEbbT6_jjT7_P12ihipStream_tbENKUlT_T0_SH_SM_E_clISB_SB_SC_SC_EEDaS10_S11_SH_SM_EUlS10_E_NS1_11comp_targetILNS1_3genE0ELNS1_11target_archE4294967295ELNS1_3gpuE0ELNS1_3repE0EEENS1_47radix_sort_onesweep_sort_config_static_selectorELNS0_4arch9wavefront6targetE0EEEvSH_,"axG",@progbits,_ZN7rocprim17ROCPRIM_400000_NS6detail17trampoline_kernelINS0_14default_configENS1_35radix_sort_onesweep_config_selectorI12hip_bfloat16NS0_10empty_typeEEEZZNS1_29radix_sort_onesweep_iterationIS3_Lb1EPKS5_PS5_PS6_SC_mNS0_19identity_decomposerENS1_16block_id_wrapperIjLb0EEEEE10hipError_tT1_PNSt15iterator_traitsISH_E10value_typeET2_T3_PNSI_ISN_E10value_typeET4_T5_PSS_ST_PNS1_23onesweep_lookback_stateEbbT6_jjT7_P12ihipStream_tbENKUlT_T0_SH_SM_E_clISB_SB_SC_SC_EEDaS10_S11_SH_SM_EUlS10_E_NS1_11comp_targetILNS1_3genE0ELNS1_11target_archE4294967295ELNS1_3gpuE0ELNS1_3repE0EEENS1_47radix_sort_onesweep_sort_config_static_selectorELNS0_4arch9wavefront6targetE0EEEvSH_,comdat
.Lfunc_end1991:
	.size	_ZN7rocprim17ROCPRIM_400000_NS6detail17trampoline_kernelINS0_14default_configENS1_35radix_sort_onesweep_config_selectorI12hip_bfloat16NS0_10empty_typeEEEZZNS1_29radix_sort_onesweep_iterationIS3_Lb1EPKS5_PS5_PS6_SC_mNS0_19identity_decomposerENS1_16block_id_wrapperIjLb0EEEEE10hipError_tT1_PNSt15iterator_traitsISH_E10value_typeET2_T3_PNSI_ISN_E10value_typeET4_T5_PSS_ST_PNS1_23onesweep_lookback_stateEbbT6_jjT7_P12ihipStream_tbENKUlT_T0_SH_SM_E_clISB_SB_SC_SC_EEDaS10_S11_SH_SM_EUlS10_E_NS1_11comp_targetILNS1_3genE0ELNS1_11target_archE4294967295ELNS1_3gpuE0ELNS1_3repE0EEENS1_47radix_sort_onesweep_sort_config_static_selectorELNS0_4arch9wavefront6targetE0EEEvSH_, .Lfunc_end1991-_ZN7rocprim17ROCPRIM_400000_NS6detail17trampoline_kernelINS0_14default_configENS1_35radix_sort_onesweep_config_selectorI12hip_bfloat16NS0_10empty_typeEEEZZNS1_29radix_sort_onesweep_iterationIS3_Lb1EPKS5_PS5_PS6_SC_mNS0_19identity_decomposerENS1_16block_id_wrapperIjLb0EEEEE10hipError_tT1_PNSt15iterator_traitsISH_E10value_typeET2_T3_PNSI_ISN_E10value_typeET4_T5_PSS_ST_PNS1_23onesweep_lookback_stateEbbT6_jjT7_P12ihipStream_tbENKUlT_T0_SH_SM_E_clISB_SB_SC_SC_EEDaS10_S11_SH_SM_EUlS10_E_NS1_11comp_targetILNS1_3genE0ELNS1_11target_archE4294967295ELNS1_3gpuE0ELNS1_3repE0EEENS1_47radix_sort_onesweep_sort_config_static_selectorELNS0_4arch9wavefront6targetE0EEEvSH_
                                        ; -- End function
	.set _ZN7rocprim17ROCPRIM_400000_NS6detail17trampoline_kernelINS0_14default_configENS1_35radix_sort_onesweep_config_selectorI12hip_bfloat16NS0_10empty_typeEEEZZNS1_29radix_sort_onesweep_iterationIS3_Lb1EPKS5_PS5_PS6_SC_mNS0_19identity_decomposerENS1_16block_id_wrapperIjLb0EEEEE10hipError_tT1_PNSt15iterator_traitsISH_E10value_typeET2_T3_PNSI_ISN_E10value_typeET4_T5_PSS_ST_PNS1_23onesweep_lookback_stateEbbT6_jjT7_P12ihipStream_tbENKUlT_T0_SH_SM_E_clISB_SB_SC_SC_EEDaS10_S11_SH_SM_EUlS10_E_NS1_11comp_targetILNS1_3genE0ELNS1_11target_archE4294967295ELNS1_3gpuE0ELNS1_3repE0EEENS1_47radix_sort_onesweep_sort_config_static_selectorELNS0_4arch9wavefront6targetE0EEEvSH_.num_vgpr, 65
	.set _ZN7rocprim17ROCPRIM_400000_NS6detail17trampoline_kernelINS0_14default_configENS1_35radix_sort_onesweep_config_selectorI12hip_bfloat16NS0_10empty_typeEEEZZNS1_29radix_sort_onesweep_iterationIS3_Lb1EPKS5_PS5_PS6_SC_mNS0_19identity_decomposerENS1_16block_id_wrapperIjLb0EEEEE10hipError_tT1_PNSt15iterator_traitsISH_E10value_typeET2_T3_PNSI_ISN_E10value_typeET4_T5_PSS_ST_PNS1_23onesweep_lookback_stateEbbT6_jjT7_P12ihipStream_tbENKUlT_T0_SH_SM_E_clISB_SB_SC_SC_EEDaS10_S11_SH_SM_EUlS10_E_NS1_11comp_targetILNS1_3genE0ELNS1_11target_archE4294967295ELNS1_3gpuE0ELNS1_3repE0EEENS1_47radix_sort_onesweep_sort_config_static_selectorELNS0_4arch9wavefront6targetE0EEEvSH_.num_agpr, 0
	.set _ZN7rocprim17ROCPRIM_400000_NS6detail17trampoline_kernelINS0_14default_configENS1_35radix_sort_onesweep_config_selectorI12hip_bfloat16NS0_10empty_typeEEEZZNS1_29radix_sort_onesweep_iterationIS3_Lb1EPKS5_PS5_PS6_SC_mNS0_19identity_decomposerENS1_16block_id_wrapperIjLb0EEEEE10hipError_tT1_PNSt15iterator_traitsISH_E10value_typeET2_T3_PNSI_ISN_E10value_typeET4_T5_PSS_ST_PNS1_23onesweep_lookback_stateEbbT6_jjT7_P12ihipStream_tbENKUlT_T0_SH_SM_E_clISB_SB_SC_SC_EEDaS10_S11_SH_SM_EUlS10_E_NS1_11comp_targetILNS1_3genE0ELNS1_11target_archE4294967295ELNS1_3gpuE0ELNS1_3repE0EEENS1_47radix_sort_onesweep_sort_config_static_selectorELNS0_4arch9wavefront6targetE0EEEvSH_.numbered_sgpr, 28
	.set _ZN7rocprim17ROCPRIM_400000_NS6detail17trampoline_kernelINS0_14default_configENS1_35radix_sort_onesweep_config_selectorI12hip_bfloat16NS0_10empty_typeEEEZZNS1_29radix_sort_onesweep_iterationIS3_Lb1EPKS5_PS5_PS6_SC_mNS0_19identity_decomposerENS1_16block_id_wrapperIjLb0EEEEE10hipError_tT1_PNSt15iterator_traitsISH_E10value_typeET2_T3_PNSI_ISN_E10value_typeET4_T5_PSS_ST_PNS1_23onesweep_lookback_stateEbbT6_jjT7_P12ihipStream_tbENKUlT_T0_SH_SM_E_clISB_SB_SC_SC_EEDaS10_S11_SH_SM_EUlS10_E_NS1_11comp_targetILNS1_3genE0ELNS1_11target_archE4294967295ELNS1_3gpuE0ELNS1_3repE0EEENS1_47radix_sort_onesweep_sort_config_static_selectorELNS0_4arch9wavefront6targetE0EEEvSH_.num_named_barrier, 0
	.set _ZN7rocprim17ROCPRIM_400000_NS6detail17trampoline_kernelINS0_14default_configENS1_35radix_sort_onesweep_config_selectorI12hip_bfloat16NS0_10empty_typeEEEZZNS1_29radix_sort_onesweep_iterationIS3_Lb1EPKS5_PS5_PS6_SC_mNS0_19identity_decomposerENS1_16block_id_wrapperIjLb0EEEEE10hipError_tT1_PNSt15iterator_traitsISH_E10value_typeET2_T3_PNSI_ISN_E10value_typeET4_T5_PSS_ST_PNS1_23onesweep_lookback_stateEbbT6_jjT7_P12ihipStream_tbENKUlT_T0_SH_SM_E_clISB_SB_SC_SC_EEDaS10_S11_SH_SM_EUlS10_E_NS1_11comp_targetILNS1_3genE0ELNS1_11target_archE4294967295ELNS1_3gpuE0ELNS1_3repE0EEENS1_47radix_sort_onesweep_sort_config_static_selectorELNS0_4arch9wavefront6targetE0EEEvSH_.private_seg_size, 0
	.set _ZN7rocprim17ROCPRIM_400000_NS6detail17trampoline_kernelINS0_14default_configENS1_35radix_sort_onesweep_config_selectorI12hip_bfloat16NS0_10empty_typeEEEZZNS1_29radix_sort_onesweep_iterationIS3_Lb1EPKS5_PS5_PS6_SC_mNS0_19identity_decomposerENS1_16block_id_wrapperIjLb0EEEEE10hipError_tT1_PNSt15iterator_traitsISH_E10value_typeET2_T3_PNSI_ISN_E10value_typeET4_T5_PSS_ST_PNS1_23onesweep_lookback_stateEbbT6_jjT7_P12ihipStream_tbENKUlT_T0_SH_SM_E_clISB_SB_SC_SC_EEDaS10_S11_SH_SM_EUlS10_E_NS1_11comp_targetILNS1_3genE0ELNS1_11target_archE4294967295ELNS1_3gpuE0ELNS1_3repE0EEENS1_47radix_sort_onesweep_sort_config_static_selectorELNS0_4arch9wavefront6targetE0EEEvSH_.uses_vcc, 1
	.set _ZN7rocprim17ROCPRIM_400000_NS6detail17trampoline_kernelINS0_14default_configENS1_35radix_sort_onesweep_config_selectorI12hip_bfloat16NS0_10empty_typeEEEZZNS1_29radix_sort_onesweep_iterationIS3_Lb1EPKS5_PS5_PS6_SC_mNS0_19identity_decomposerENS1_16block_id_wrapperIjLb0EEEEE10hipError_tT1_PNSt15iterator_traitsISH_E10value_typeET2_T3_PNSI_ISN_E10value_typeET4_T5_PSS_ST_PNS1_23onesweep_lookback_stateEbbT6_jjT7_P12ihipStream_tbENKUlT_T0_SH_SM_E_clISB_SB_SC_SC_EEDaS10_S11_SH_SM_EUlS10_E_NS1_11comp_targetILNS1_3genE0ELNS1_11target_archE4294967295ELNS1_3gpuE0ELNS1_3repE0EEENS1_47radix_sort_onesweep_sort_config_static_selectorELNS0_4arch9wavefront6targetE0EEEvSH_.uses_flat_scratch, 0
	.set _ZN7rocprim17ROCPRIM_400000_NS6detail17trampoline_kernelINS0_14default_configENS1_35radix_sort_onesweep_config_selectorI12hip_bfloat16NS0_10empty_typeEEEZZNS1_29radix_sort_onesweep_iterationIS3_Lb1EPKS5_PS5_PS6_SC_mNS0_19identity_decomposerENS1_16block_id_wrapperIjLb0EEEEE10hipError_tT1_PNSt15iterator_traitsISH_E10value_typeET2_T3_PNSI_ISN_E10value_typeET4_T5_PSS_ST_PNS1_23onesweep_lookback_stateEbbT6_jjT7_P12ihipStream_tbENKUlT_T0_SH_SM_E_clISB_SB_SC_SC_EEDaS10_S11_SH_SM_EUlS10_E_NS1_11comp_targetILNS1_3genE0ELNS1_11target_archE4294967295ELNS1_3gpuE0ELNS1_3repE0EEENS1_47radix_sort_onesweep_sort_config_static_selectorELNS0_4arch9wavefront6targetE0EEEvSH_.has_dyn_sized_stack, 0
	.set _ZN7rocprim17ROCPRIM_400000_NS6detail17trampoline_kernelINS0_14default_configENS1_35radix_sort_onesweep_config_selectorI12hip_bfloat16NS0_10empty_typeEEEZZNS1_29radix_sort_onesweep_iterationIS3_Lb1EPKS5_PS5_PS6_SC_mNS0_19identity_decomposerENS1_16block_id_wrapperIjLb0EEEEE10hipError_tT1_PNSt15iterator_traitsISH_E10value_typeET2_T3_PNSI_ISN_E10value_typeET4_T5_PSS_ST_PNS1_23onesweep_lookback_stateEbbT6_jjT7_P12ihipStream_tbENKUlT_T0_SH_SM_E_clISB_SB_SC_SC_EEDaS10_S11_SH_SM_EUlS10_E_NS1_11comp_targetILNS1_3genE0ELNS1_11target_archE4294967295ELNS1_3gpuE0ELNS1_3repE0EEENS1_47radix_sort_onesweep_sort_config_static_selectorELNS0_4arch9wavefront6targetE0EEEvSH_.has_recursion, 0
	.set _ZN7rocprim17ROCPRIM_400000_NS6detail17trampoline_kernelINS0_14default_configENS1_35radix_sort_onesweep_config_selectorI12hip_bfloat16NS0_10empty_typeEEEZZNS1_29radix_sort_onesweep_iterationIS3_Lb1EPKS5_PS5_PS6_SC_mNS0_19identity_decomposerENS1_16block_id_wrapperIjLb0EEEEE10hipError_tT1_PNSt15iterator_traitsISH_E10value_typeET2_T3_PNSI_ISN_E10value_typeET4_T5_PSS_ST_PNS1_23onesweep_lookback_stateEbbT6_jjT7_P12ihipStream_tbENKUlT_T0_SH_SM_E_clISB_SB_SC_SC_EEDaS10_S11_SH_SM_EUlS10_E_NS1_11comp_targetILNS1_3genE0ELNS1_11target_archE4294967295ELNS1_3gpuE0ELNS1_3repE0EEENS1_47radix_sort_onesweep_sort_config_static_selectorELNS0_4arch9wavefront6targetE0EEEvSH_.has_indirect_call, 0
	.section	.AMDGPU.csdata,"",@progbits
; Kernel info:
; codeLenInByte = 18604
; TotalNumSgprs: 30
; NumVgprs: 65
; ScratchSize: 0
; MemoryBound: 0
; FloatMode: 240
; IeeeMode: 1
; LDSByteSize: 18504 bytes/workgroup (compile time only)
; SGPRBlocks: 0
; VGPRBlocks: 4
; NumSGPRsForWavesPerEU: 30
; NumVGPRsForWavesPerEU: 65
; NamedBarCnt: 0
; Occupancy: 12
; WaveLimiterHint : 0
; COMPUTE_PGM_RSRC2:SCRATCH_EN: 0
; COMPUTE_PGM_RSRC2:USER_SGPR: 2
; COMPUTE_PGM_RSRC2:TRAP_HANDLER: 0
; COMPUTE_PGM_RSRC2:TGID_X_EN: 1
; COMPUTE_PGM_RSRC2:TGID_Y_EN: 0
; COMPUTE_PGM_RSRC2:TGID_Z_EN: 0
; COMPUTE_PGM_RSRC2:TIDIG_COMP_CNT: 2
	.section	.text._ZN7rocprim17ROCPRIM_400000_NS6detail17trampoline_kernelINS0_14default_configENS1_35radix_sort_onesweep_config_selectorI12hip_bfloat16NS0_10empty_typeEEEZZNS1_29radix_sort_onesweep_iterationIS3_Lb1EPKS5_PS5_PS6_SC_mNS0_19identity_decomposerENS1_16block_id_wrapperIjLb0EEEEE10hipError_tT1_PNSt15iterator_traitsISH_E10value_typeET2_T3_PNSI_ISN_E10value_typeET4_T5_PSS_ST_PNS1_23onesweep_lookback_stateEbbT6_jjT7_P12ihipStream_tbENKUlT_T0_SH_SM_E_clISB_SB_SC_SC_EEDaS10_S11_SH_SM_EUlS10_E_NS1_11comp_targetILNS1_3genE6ELNS1_11target_archE950ELNS1_3gpuE13ELNS1_3repE0EEENS1_47radix_sort_onesweep_sort_config_static_selectorELNS0_4arch9wavefront6targetE0EEEvSH_,"axG",@progbits,_ZN7rocprim17ROCPRIM_400000_NS6detail17trampoline_kernelINS0_14default_configENS1_35radix_sort_onesweep_config_selectorI12hip_bfloat16NS0_10empty_typeEEEZZNS1_29radix_sort_onesweep_iterationIS3_Lb1EPKS5_PS5_PS6_SC_mNS0_19identity_decomposerENS1_16block_id_wrapperIjLb0EEEEE10hipError_tT1_PNSt15iterator_traitsISH_E10value_typeET2_T3_PNSI_ISN_E10value_typeET4_T5_PSS_ST_PNS1_23onesweep_lookback_stateEbbT6_jjT7_P12ihipStream_tbENKUlT_T0_SH_SM_E_clISB_SB_SC_SC_EEDaS10_S11_SH_SM_EUlS10_E_NS1_11comp_targetILNS1_3genE6ELNS1_11target_archE950ELNS1_3gpuE13ELNS1_3repE0EEENS1_47radix_sort_onesweep_sort_config_static_selectorELNS0_4arch9wavefront6targetE0EEEvSH_,comdat
	.protected	_ZN7rocprim17ROCPRIM_400000_NS6detail17trampoline_kernelINS0_14default_configENS1_35radix_sort_onesweep_config_selectorI12hip_bfloat16NS0_10empty_typeEEEZZNS1_29radix_sort_onesweep_iterationIS3_Lb1EPKS5_PS5_PS6_SC_mNS0_19identity_decomposerENS1_16block_id_wrapperIjLb0EEEEE10hipError_tT1_PNSt15iterator_traitsISH_E10value_typeET2_T3_PNSI_ISN_E10value_typeET4_T5_PSS_ST_PNS1_23onesweep_lookback_stateEbbT6_jjT7_P12ihipStream_tbENKUlT_T0_SH_SM_E_clISB_SB_SC_SC_EEDaS10_S11_SH_SM_EUlS10_E_NS1_11comp_targetILNS1_3genE6ELNS1_11target_archE950ELNS1_3gpuE13ELNS1_3repE0EEENS1_47radix_sort_onesweep_sort_config_static_selectorELNS0_4arch9wavefront6targetE0EEEvSH_ ; -- Begin function _ZN7rocprim17ROCPRIM_400000_NS6detail17trampoline_kernelINS0_14default_configENS1_35radix_sort_onesweep_config_selectorI12hip_bfloat16NS0_10empty_typeEEEZZNS1_29radix_sort_onesweep_iterationIS3_Lb1EPKS5_PS5_PS6_SC_mNS0_19identity_decomposerENS1_16block_id_wrapperIjLb0EEEEE10hipError_tT1_PNSt15iterator_traitsISH_E10value_typeET2_T3_PNSI_ISN_E10value_typeET4_T5_PSS_ST_PNS1_23onesweep_lookback_stateEbbT6_jjT7_P12ihipStream_tbENKUlT_T0_SH_SM_E_clISB_SB_SC_SC_EEDaS10_S11_SH_SM_EUlS10_E_NS1_11comp_targetILNS1_3genE6ELNS1_11target_archE950ELNS1_3gpuE13ELNS1_3repE0EEENS1_47radix_sort_onesweep_sort_config_static_selectorELNS0_4arch9wavefront6targetE0EEEvSH_
	.globl	_ZN7rocprim17ROCPRIM_400000_NS6detail17trampoline_kernelINS0_14default_configENS1_35radix_sort_onesweep_config_selectorI12hip_bfloat16NS0_10empty_typeEEEZZNS1_29radix_sort_onesweep_iterationIS3_Lb1EPKS5_PS5_PS6_SC_mNS0_19identity_decomposerENS1_16block_id_wrapperIjLb0EEEEE10hipError_tT1_PNSt15iterator_traitsISH_E10value_typeET2_T3_PNSI_ISN_E10value_typeET4_T5_PSS_ST_PNS1_23onesweep_lookback_stateEbbT6_jjT7_P12ihipStream_tbENKUlT_T0_SH_SM_E_clISB_SB_SC_SC_EEDaS10_S11_SH_SM_EUlS10_E_NS1_11comp_targetILNS1_3genE6ELNS1_11target_archE950ELNS1_3gpuE13ELNS1_3repE0EEENS1_47radix_sort_onesweep_sort_config_static_selectorELNS0_4arch9wavefront6targetE0EEEvSH_
	.p2align	8
	.type	_ZN7rocprim17ROCPRIM_400000_NS6detail17trampoline_kernelINS0_14default_configENS1_35radix_sort_onesweep_config_selectorI12hip_bfloat16NS0_10empty_typeEEEZZNS1_29radix_sort_onesweep_iterationIS3_Lb1EPKS5_PS5_PS6_SC_mNS0_19identity_decomposerENS1_16block_id_wrapperIjLb0EEEEE10hipError_tT1_PNSt15iterator_traitsISH_E10value_typeET2_T3_PNSI_ISN_E10value_typeET4_T5_PSS_ST_PNS1_23onesweep_lookback_stateEbbT6_jjT7_P12ihipStream_tbENKUlT_T0_SH_SM_E_clISB_SB_SC_SC_EEDaS10_S11_SH_SM_EUlS10_E_NS1_11comp_targetILNS1_3genE6ELNS1_11target_archE950ELNS1_3gpuE13ELNS1_3repE0EEENS1_47radix_sort_onesweep_sort_config_static_selectorELNS0_4arch9wavefront6targetE0EEEvSH_,@function
_ZN7rocprim17ROCPRIM_400000_NS6detail17trampoline_kernelINS0_14default_configENS1_35radix_sort_onesweep_config_selectorI12hip_bfloat16NS0_10empty_typeEEEZZNS1_29radix_sort_onesweep_iterationIS3_Lb1EPKS5_PS5_PS6_SC_mNS0_19identity_decomposerENS1_16block_id_wrapperIjLb0EEEEE10hipError_tT1_PNSt15iterator_traitsISH_E10value_typeET2_T3_PNSI_ISN_E10value_typeET4_T5_PSS_ST_PNS1_23onesweep_lookback_stateEbbT6_jjT7_P12ihipStream_tbENKUlT_T0_SH_SM_E_clISB_SB_SC_SC_EEDaS10_S11_SH_SM_EUlS10_E_NS1_11comp_targetILNS1_3genE6ELNS1_11target_archE950ELNS1_3gpuE13ELNS1_3repE0EEENS1_47radix_sort_onesweep_sort_config_static_selectorELNS0_4arch9wavefront6targetE0EEEvSH_: ; @_ZN7rocprim17ROCPRIM_400000_NS6detail17trampoline_kernelINS0_14default_configENS1_35radix_sort_onesweep_config_selectorI12hip_bfloat16NS0_10empty_typeEEEZZNS1_29radix_sort_onesweep_iterationIS3_Lb1EPKS5_PS5_PS6_SC_mNS0_19identity_decomposerENS1_16block_id_wrapperIjLb0EEEEE10hipError_tT1_PNSt15iterator_traitsISH_E10value_typeET2_T3_PNSI_ISN_E10value_typeET4_T5_PSS_ST_PNS1_23onesweep_lookback_stateEbbT6_jjT7_P12ihipStream_tbENKUlT_T0_SH_SM_E_clISB_SB_SC_SC_EEDaS10_S11_SH_SM_EUlS10_E_NS1_11comp_targetILNS1_3genE6ELNS1_11target_archE950ELNS1_3gpuE13ELNS1_3repE0EEENS1_47radix_sort_onesweep_sort_config_static_selectorELNS0_4arch9wavefront6targetE0EEEvSH_
; %bb.0:
	.section	.rodata,"a",@progbits
	.p2align	6, 0x0
	.amdhsa_kernel _ZN7rocprim17ROCPRIM_400000_NS6detail17trampoline_kernelINS0_14default_configENS1_35radix_sort_onesweep_config_selectorI12hip_bfloat16NS0_10empty_typeEEEZZNS1_29radix_sort_onesweep_iterationIS3_Lb1EPKS5_PS5_PS6_SC_mNS0_19identity_decomposerENS1_16block_id_wrapperIjLb0EEEEE10hipError_tT1_PNSt15iterator_traitsISH_E10value_typeET2_T3_PNSI_ISN_E10value_typeET4_T5_PSS_ST_PNS1_23onesweep_lookback_stateEbbT6_jjT7_P12ihipStream_tbENKUlT_T0_SH_SM_E_clISB_SB_SC_SC_EEDaS10_S11_SH_SM_EUlS10_E_NS1_11comp_targetILNS1_3genE6ELNS1_11target_archE950ELNS1_3gpuE13ELNS1_3repE0EEENS1_47radix_sort_onesweep_sort_config_static_selectorELNS0_4arch9wavefront6targetE0EEEvSH_
		.amdhsa_group_segment_fixed_size 0
		.amdhsa_private_segment_fixed_size 0
		.amdhsa_kernarg_size 88
		.amdhsa_user_sgpr_count 2
		.amdhsa_user_sgpr_dispatch_ptr 0
		.amdhsa_user_sgpr_queue_ptr 0
		.amdhsa_user_sgpr_kernarg_segment_ptr 1
		.amdhsa_user_sgpr_dispatch_id 0
		.amdhsa_user_sgpr_kernarg_preload_length 0
		.amdhsa_user_sgpr_kernarg_preload_offset 0
		.amdhsa_user_sgpr_private_segment_size 0
		.amdhsa_wavefront_size32 1
		.amdhsa_uses_dynamic_stack 0
		.amdhsa_enable_private_segment 0
		.amdhsa_system_sgpr_workgroup_id_x 1
		.amdhsa_system_sgpr_workgroup_id_y 0
		.amdhsa_system_sgpr_workgroup_id_z 0
		.amdhsa_system_sgpr_workgroup_info 0
		.amdhsa_system_vgpr_workitem_id 0
		.amdhsa_next_free_vgpr 1
		.amdhsa_next_free_sgpr 1
		.amdhsa_named_barrier_count 0
		.amdhsa_reserve_vcc 0
		.amdhsa_float_round_mode_32 0
		.amdhsa_float_round_mode_16_64 0
		.amdhsa_float_denorm_mode_32 3
		.amdhsa_float_denorm_mode_16_64 3
		.amdhsa_fp16_overflow 0
		.amdhsa_memory_ordered 1
		.amdhsa_forward_progress 1
		.amdhsa_inst_pref_size 0
		.amdhsa_round_robin_scheduling 0
		.amdhsa_exception_fp_ieee_invalid_op 0
		.amdhsa_exception_fp_denorm_src 0
		.amdhsa_exception_fp_ieee_div_zero 0
		.amdhsa_exception_fp_ieee_overflow 0
		.amdhsa_exception_fp_ieee_underflow 0
		.amdhsa_exception_fp_ieee_inexact 0
		.amdhsa_exception_int_div_zero 0
	.end_amdhsa_kernel
	.section	.text._ZN7rocprim17ROCPRIM_400000_NS6detail17trampoline_kernelINS0_14default_configENS1_35radix_sort_onesweep_config_selectorI12hip_bfloat16NS0_10empty_typeEEEZZNS1_29radix_sort_onesweep_iterationIS3_Lb1EPKS5_PS5_PS6_SC_mNS0_19identity_decomposerENS1_16block_id_wrapperIjLb0EEEEE10hipError_tT1_PNSt15iterator_traitsISH_E10value_typeET2_T3_PNSI_ISN_E10value_typeET4_T5_PSS_ST_PNS1_23onesweep_lookback_stateEbbT6_jjT7_P12ihipStream_tbENKUlT_T0_SH_SM_E_clISB_SB_SC_SC_EEDaS10_S11_SH_SM_EUlS10_E_NS1_11comp_targetILNS1_3genE6ELNS1_11target_archE950ELNS1_3gpuE13ELNS1_3repE0EEENS1_47radix_sort_onesweep_sort_config_static_selectorELNS0_4arch9wavefront6targetE0EEEvSH_,"axG",@progbits,_ZN7rocprim17ROCPRIM_400000_NS6detail17trampoline_kernelINS0_14default_configENS1_35radix_sort_onesweep_config_selectorI12hip_bfloat16NS0_10empty_typeEEEZZNS1_29radix_sort_onesweep_iterationIS3_Lb1EPKS5_PS5_PS6_SC_mNS0_19identity_decomposerENS1_16block_id_wrapperIjLb0EEEEE10hipError_tT1_PNSt15iterator_traitsISH_E10value_typeET2_T3_PNSI_ISN_E10value_typeET4_T5_PSS_ST_PNS1_23onesweep_lookback_stateEbbT6_jjT7_P12ihipStream_tbENKUlT_T0_SH_SM_E_clISB_SB_SC_SC_EEDaS10_S11_SH_SM_EUlS10_E_NS1_11comp_targetILNS1_3genE6ELNS1_11target_archE950ELNS1_3gpuE13ELNS1_3repE0EEENS1_47radix_sort_onesweep_sort_config_static_selectorELNS0_4arch9wavefront6targetE0EEEvSH_,comdat
.Lfunc_end1992:
	.size	_ZN7rocprim17ROCPRIM_400000_NS6detail17trampoline_kernelINS0_14default_configENS1_35radix_sort_onesweep_config_selectorI12hip_bfloat16NS0_10empty_typeEEEZZNS1_29radix_sort_onesweep_iterationIS3_Lb1EPKS5_PS5_PS6_SC_mNS0_19identity_decomposerENS1_16block_id_wrapperIjLb0EEEEE10hipError_tT1_PNSt15iterator_traitsISH_E10value_typeET2_T3_PNSI_ISN_E10value_typeET4_T5_PSS_ST_PNS1_23onesweep_lookback_stateEbbT6_jjT7_P12ihipStream_tbENKUlT_T0_SH_SM_E_clISB_SB_SC_SC_EEDaS10_S11_SH_SM_EUlS10_E_NS1_11comp_targetILNS1_3genE6ELNS1_11target_archE950ELNS1_3gpuE13ELNS1_3repE0EEENS1_47radix_sort_onesweep_sort_config_static_selectorELNS0_4arch9wavefront6targetE0EEEvSH_, .Lfunc_end1992-_ZN7rocprim17ROCPRIM_400000_NS6detail17trampoline_kernelINS0_14default_configENS1_35radix_sort_onesweep_config_selectorI12hip_bfloat16NS0_10empty_typeEEEZZNS1_29radix_sort_onesweep_iterationIS3_Lb1EPKS5_PS5_PS6_SC_mNS0_19identity_decomposerENS1_16block_id_wrapperIjLb0EEEEE10hipError_tT1_PNSt15iterator_traitsISH_E10value_typeET2_T3_PNSI_ISN_E10value_typeET4_T5_PSS_ST_PNS1_23onesweep_lookback_stateEbbT6_jjT7_P12ihipStream_tbENKUlT_T0_SH_SM_E_clISB_SB_SC_SC_EEDaS10_S11_SH_SM_EUlS10_E_NS1_11comp_targetILNS1_3genE6ELNS1_11target_archE950ELNS1_3gpuE13ELNS1_3repE0EEENS1_47radix_sort_onesweep_sort_config_static_selectorELNS0_4arch9wavefront6targetE0EEEvSH_
                                        ; -- End function
	.set _ZN7rocprim17ROCPRIM_400000_NS6detail17trampoline_kernelINS0_14default_configENS1_35radix_sort_onesweep_config_selectorI12hip_bfloat16NS0_10empty_typeEEEZZNS1_29radix_sort_onesweep_iterationIS3_Lb1EPKS5_PS5_PS6_SC_mNS0_19identity_decomposerENS1_16block_id_wrapperIjLb0EEEEE10hipError_tT1_PNSt15iterator_traitsISH_E10value_typeET2_T3_PNSI_ISN_E10value_typeET4_T5_PSS_ST_PNS1_23onesweep_lookback_stateEbbT6_jjT7_P12ihipStream_tbENKUlT_T0_SH_SM_E_clISB_SB_SC_SC_EEDaS10_S11_SH_SM_EUlS10_E_NS1_11comp_targetILNS1_3genE6ELNS1_11target_archE950ELNS1_3gpuE13ELNS1_3repE0EEENS1_47radix_sort_onesweep_sort_config_static_selectorELNS0_4arch9wavefront6targetE0EEEvSH_.num_vgpr, 0
	.set _ZN7rocprim17ROCPRIM_400000_NS6detail17trampoline_kernelINS0_14default_configENS1_35radix_sort_onesweep_config_selectorI12hip_bfloat16NS0_10empty_typeEEEZZNS1_29radix_sort_onesweep_iterationIS3_Lb1EPKS5_PS5_PS6_SC_mNS0_19identity_decomposerENS1_16block_id_wrapperIjLb0EEEEE10hipError_tT1_PNSt15iterator_traitsISH_E10value_typeET2_T3_PNSI_ISN_E10value_typeET4_T5_PSS_ST_PNS1_23onesweep_lookback_stateEbbT6_jjT7_P12ihipStream_tbENKUlT_T0_SH_SM_E_clISB_SB_SC_SC_EEDaS10_S11_SH_SM_EUlS10_E_NS1_11comp_targetILNS1_3genE6ELNS1_11target_archE950ELNS1_3gpuE13ELNS1_3repE0EEENS1_47radix_sort_onesweep_sort_config_static_selectorELNS0_4arch9wavefront6targetE0EEEvSH_.num_agpr, 0
	.set _ZN7rocprim17ROCPRIM_400000_NS6detail17trampoline_kernelINS0_14default_configENS1_35radix_sort_onesweep_config_selectorI12hip_bfloat16NS0_10empty_typeEEEZZNS1_29radix_sort_onesweep_iterationIS3_Lb1EPKS5_PS5_PS6_SC_mNS0_19identity_decomposerENS1_16block_id_wrapperIjLb0EEEEE10hipError_tT1_PNSt15iterator_traitsISH_E10value_typeET2_T3_PNSI_ISN_E10value_typeET4_T5_PSS_ST_PNS1_23onesweep_lookback_stateEbbT6_jjT7_P12ihipStream_tbENKUlT_T0_SH_SM_E_clISB_SB_SC_SC_EEDaS10_S11_SH_SM_EUlS10_E_NS1_11comp_targetILNS1_3genE6ELNS1_11target_archE950ELNS1_3gpuE13ELNS1_3repE0EEENS1_47radix_sort_onesweep_sort_config_static_selectorELNS0_4arch9wavefront6targetE0EEEvSH_.numbered_sgpr, 0
	.set _ZN7rocprim17ROCPRIM_400000_NS6detail17trampoline_kernelINS0_14default_configENS1_35radix_sort_onesweep_config_selectorI12hip_bfloat16NS0_10empty_typeEEEZZNS1_29radix_sort_onesweep_iterationIS3_Lb1EPKS5_PS5_PS6_SC_mNS0_19identity_decomposerENS1_16block_id_wrapperIjLb0EEEEE10hipError_tT1_PNSt15iterator_traitsISH_E10value_typeET2_T3_PNSI_ISN_E10value_typeET4_T5_PSS_ST_PNS1_23onesweep_lookback_stateEbbT6_jjT7_P12ihipStream_tbENKUlT_T0_SH_SM_E_clISB_SB_SC_SC_EEDaS10_S11_SH_SM_EUlS10_E_NS1_11comp_targetILNS1_3genE6ELNS1_11target_archE950ELNS1_3gpuE13ELNS1_3repE0EEENS1_47radix_sort_onesweep_sort_config_static_selectorELNS0_4arch9wavefront6targetE0EEEvSH_.num_named_barrier, 0
	.set _ZN7rocprim17ROCPRIM_400000_NS6detail17trampoline_kernelINS0_14default_configENS1_35radix_sort_onesweep_config_selectorI12hip_bfloat16NS0_10empty_typeEEEZZNS1_29radix_sort_onesweep_iterationIS3_Lb1EPKS5_PS5_PS6_SC_mNS0_19identity_decomposerENS1_16block_id_wrapperIjLb0EEEEE10hipError_tT1_PNSt15iterator_traitsISH_E10value_typeET2_T3_PNSI_ISN_E10value_typeET4_T5_PSS_ST_PNS1_23onesweep_lookback_stateEbbT6_jjT7_P12ihipStream_tbENKUlT_T0_SH_SM_E_clISB_SB_SC_SC_EEDaS10_S11_SH_SM_EUlS10_E_NS1_11comp_targetILNS1_3genE6ELNS1_11target_archE950ELNS1_3gpuE13ELNS1_3repE0EEENS1_47radix_sort_onesweep_sort_config_static_selectorELNS0_4arch9wavefront6targetE0EEEvSH_.private_seg_size, 0
	.set _ZN7rocprim17ROCPRIM_400000_NS6detail17trampoline_kernelINS0_14default_configENS1_35radix_sort_onesweep_config_selectorI12hip_bfloat16NS0_10empty_typeEEEZZNS1_29radix_sort_onesweep_iterationIS3_Lb1EPKS5_PS5_PS6_SC_mNS0_19identity_decomposerENS1_16block_id_wrapperIjLb0EEEEE10hipError_tT1_PNSt15iterator_traitsISH_E10value_typeET2_T3_PNSI_ISN_E10value_typeET4_T5_PSS_ST_PNS1_23onesweep_lookback_stateEbbT6_jjT7_P12ihipStream_tbENKUlT_T0_SH_SM_E_clISB_SB_SC_SC_EEDaS10_S11_SH_SM_EUlS10_E_NS1_11comp_targetILNS1_3genE6ELNS1_11target_archE950ELNS1_3gpuE13ELNS1_3repE0EEENS1_47radix_sort_onesweep_sort_config_static_selectorELNS0_4arch9wavefront6targetE0EEEvSH_.uses_vcc, 0
	.set _ZN7rocprim17ROCPRIM_400000_NS6detail17trampoline_kernelINS0_14default_configENS1_35radix_sort_onesweep_config_selectorI12hip_bfloat16NS0_10empty_typeEEEZZNS1_29radix_sort_onesweep_iterationIS3_Lb1EPKS5_PS5_PS6_SC_mNS0_19identity_decomposerENS1_16block_id_wrapperIjLb0EEEEE10hipError_tT1_PNSt15iterator_traitsISH_E10value_typeET2_T3_PNSI_ISN_E10value_typeET4_T5_PSS_ST_PNS1_23onesweep_lookback_stateEbbT6_jjT7_P12ihipStream_tbENKUlT_T0_SH_SM_E_clISB_SB_SC_SC_EEDaS10_S11_SH_SM_EUlS10_E_NS1_11comp_targetILNS1_3genE6ELNS1_11target_archE950ELNS1_3gpuE13ELNS1_3repE0EEENS1_47radix_sort_onesweep_sort_config_static_selectorELNS0_4arch9wavefront6targetE0EEEvSH_.uses_flat_scratch, 0
	.set _ZN7rocprim17ROCPRIM_400000_NS6detail17trampoline_kernelINS0_14default_configENS1_35radix_sort_onesweep_config_selectorI12hip_bfloat16NS0_10empty_typeEEEZZNS1_29radix_sort_onesweep_iterationIS3_Lb1EPKS5_PS5_PS6_SC_mNS0_19identity_decomposerENS1_16block_id_wrapperIjLb0EEEEE10hipError_tT1_PNSt15iterator_traitsISH_E10value_typeET2_T3_PNSI_ISN_E10value_typeET4_T5_PSS_ST_PNS1_23onesweep_lookback_stateEbbT6_jjT7_P12ihipStream_tbENKUlT_T0_SH_SM_E_clISB_SB_SC_SC_EEDaS10_S11_SH_SM_EUlS10_E_NS1_11comp_targetILNS1_3genE6ELNS1_11target_archE950ELNS1_3gpuE13ELNS1_3repE0EEENS1_47radix_sort_onesweep_sort_config_static_selectorELNS0_4arch9wavefront6targetE0EEEvSH_.has_dyn_sized_stack, 0
	.set _ZN7rocprim17ROCPRIM_400000_NS6detail17trampoline_kernelINS0_14default_configENS1_35radix_sort_onesweep_config_selectorI12hip_bfloat16NS0_10empty_typeEEEZZNS1_29radix_sort_onesweep_iterationIS3_Lb1EPKS5_PS5_PS6_SC_mNS0_19identity_decomposerENS1_16block_id_wrapperIjLb0EEEEE10hipError_tT1_PNSt15iterator_traitsISH_E10value_typeET2_T3_PNSI_ISN_E10value_typeET4_T5_PSS_ST_PNS1_23onesweep_lookback_stateEbbT6_jjT7_P12ihipStream_tbENKUlT_T0_SH_SM_E_clISB_SB_SC_SC_EEDaS10_S11_SH_SM_EUlS10_E_NS1_11comp_targetILNS1_3genE6ELNS1_11target_archE950ELNS1_3gpuE13ELNS1_3repE0EEENS1_47radix_sort_onesweep_sort_config_static_selectorELNS0_4arch9wavefront6targetE0EEEvSH_.has_recursion, 0
	.set _ZN7rocprim17ROCPRIM_400000_NS6detail17trampoline_kernelINS0_14default_configENS1_35radix_sort_onesweep_config_selectorI12hip_bfloat16NS0_10empty_typeEEEZZNS1_29radix_sort_onesweep_iterationIS3_Lb1EPKS5_PS5_PS6_SC_mNS0_19identity_decomposerENS1_16block_id_wrapperIjLb0EEEEE10hipError_tT1_PNSt15iterator_traitsISH_E10value_typeET2_T3_PNSI_ISN_E10value_typeET4_T5_PSS_ST_PNS1_23onesweep_lookback_stateEbbT6_jjT7_P12ihipStream_tbENKUlT_T0_SH_SM_E_clISB_SB_SC_SC_EEDaS10_S11_SH_SM_EUlS10_E_NS1_11comp_targetILNS1_3genE6ELNS1_11target_archE950ELNS1_3gpuE13ELNS1_3repE0EEENS1_47radix_sort_onesweep_sort_config_static_selectorELNS0_4arch9wavefront6targetE0EEEvSH_.has_indirect_call, 0
	.section	.AMDGPU.csdata,"",@progbits
; Kernel info:
; codeLenInByte = 0
; TotalNumSgprs: 0
; NumVgprs: 0
; ScratchSize: 0
; MemoryBound: 0
; FloatMode: 240
; IeeeMode: 1
; LDSByteSize: 0 bytes/workgroup (compile time only)
; SGPRBlocks: 0
; VGPRBlocks: 0
; NumSGPRsForWavesPerEU: 1
; NumVGPRsForWavesPerEU: 1
; NamedBarCnt: 0
; Occupancy: 16
; WaveLimiterHint : 0
; COMPUTE_PGM_RSRC2:SCRATCH_EN: 0
; COMPUTE_PGM_RSRC2:USER_SGPR: 2
; COMPUTE_PGM_RSRC2:TRAP_HANDLER: 0
; COMPUTE_PGM_RSRC2:TGID_X_EN: 1
; COMPUTE_PGM_RSRC2:TGID_Y_EN: 0
; COMPUTE_PGM_RSRC2:TGID_Z_EN: 0
; COMPUTE_PGM_RSRC2:TIDIG_COMP_CNT: 0
	.section	.text._ZN7rocprim17ROCPRIM_400000_NS6detail17trampoline_kernelINS0_14default_configENS1_35radix_sort_onesweep_config_selectorI12hip_bfloat16NS0_10empty_typeEEEZZNS1_29radix_sort_onesweep_iterationIS3_Lb1EPKS5_PS5_PS6_SC_mNS0_19identity_decomposerENS1_16block_id_wrapperIjLb0EEEEE10hipError_tT1_PNSt15iterator_traitsISH_E10value_typeET2_T3_PNSI_ISN_E10value_typeET4_T5_PSS_ST_PNS1_23onesweep_lookback_stateEbbT6_jjT7_P12ihipStream_tbENKUlT_T0_SH_SM_E_clISB_SB_SC_SC_EEDaS10_S11_SH_SM_EUlS10_E_NS1_11comp_targetILNS1_3genE5ELNS1_11target_archE942ELNS1_3gpuE9ELNS1_3repE0EEENS1_47radix_sort_onesweep_sort_config_static_selectorELNS0_4arch9wavefront6targetE0EEEvSH_,"axG",@progbits,_ZN7rocprim17ROCPRIM_400000_NS6detail17trampoline_kernelINS0_14default_configENS1_35radix_sort_onesweep_config_selectorI12hip_bfloat16NS0_10empty_typeEEEZZNS1_29radix_sort_onesweep_iterationIS3_Lb1EPKS5_PS5_PS6_SC_mNS0_19identity_decomposerENS1_16block_id_wrapperIjLb0EEEEE10hipError_tT1_PNSt15iterator_traitsISH_E10value_typeET2_T3_PNSI_ISN_E10value_typeET4_T5_PSS_ST_PNS1_23onesweep_lookback_stateEbbT6_jjT7_P12ihipStream_tbENKUlT_T0_SH_SM_E_clISB_SB_SC_SC_EEDaS10_S11_SH_SM_EUlS10_E_NS1_11comp_targetILNS1_3genE5ELNS1_11target_archE942ELNS1_3gpuE9ELNS1_3repE0EEENS1_47radix_sort_onesweep_sort_config_static_selectorELNS0_4arch9wavefront6targetE0EEEvSH_,comdat
	.protected	_ZN7rocprim17ROCPRIM_400000_NS6detail17trampoline_kernelINS0_14default_configENS1_35radix_sort_onesweep_config_selectorI12hip_bfloat16NS0_10empty_typeEEEZZNS1_29radix_sort_onesweep_iterationIS3_Lb1EPKS5_PS5_PS6_SC_mNS0_19identity_decomposerENS1_16block_id_wrapperIjLb0EEEEE10hipError_tT1_PNSt15iterator_traitsISH_E10value_typeET2_T3_PNSI_ISN_E10value_typeET4_T5_PSS_ST_PNS1_23onesweep_lookback_stateEbbT6_jjT7_P12ihipStream_tbENKUlT_T0_SH_SM_E_clISB_SB_SC_SC_EEDaS10_S11_SH_SM_EUlS10_E_NS1_11comp_targetILNS1_3genE5ELNS1_11target_archE942ELNS1_3gpuE9ELNS1_3repE0EEENS1_47radix_sort_onesweep_sort_config_static_selectorELNS0_4arch9wavefront6targetE0EEEvSH_ ; -- Begin function _ZN7rocprim17ROCPRIM_400000_NS6detail17trampoline_kernelINS0_14default_configENS1_35radix_sort_onesweep_config_selectorI12hip_bfloat16NS0_10empty_typeEEEZZNS1_29radix_sort_onesweep_iterationIS3_Lb1EPKS5_PS5_PS6_SC_mNS0_19identity_decomposerENS1_16block_id_wrapperIjLb0EEEEE10hipError_tT1_PNSt15iterator_traitsISH_E10value_typeET2_T3_PNSI_ISN_E10value_typeET4_T5_PSS_ST_PNS1_23onesweep_lookback_stateEbbT6_jjT7_P12ihipStream_tbENKUlT_T0_SH_SM_E_clISB_SB_SC_SC_EEDaS10_S11_SH_SM_EUlS10_E_NS1_11comp_targetILNS1_3genE5ELNS1_11target_archE942ELNS1_3gpuE9ELNS1_3repE0EEENS1_47radix_sort_onesweep_sort_config_static_selectorELNS0_4arch9wavefront6targetE0EEEvSH_
	.globl	_ZN7rocprim17ROCPRIM_400000_NS6detail17trampoline_kernelINS0_14default_configENS1_35radix_sort_onesweep_config_selectorI12hip_bfloat16NS0_10empty_typeEEEZZNS1_29radix_sort_onesweep_iterationIS3_Lb1EPKS5_PS5_PS6_SC_mNS0_19identity_decomposerENS1_16block_id_wrapperIjLb0EEEEE10hipError_tT1_PNSt15iterator_traitsISH_E10value_typeET2_T3_PNSI_ISN_E10value_typeET4_T5_PSS_ST_PNS1_23onesweep_lookback_stateEbbT6_jjT7_P12ihipStream_tbENKUlT_T0_SH_SM_E_clISB_SB_SC_SC_EEDaS10_S11_SH_SM_EUlS10_E_NS1_11comp_targetILNS1_3genE5ELNS1_11target_archE942ELNS1_3gpuE9ELNS1_3repE0EEENS1_47radix_sort_onesweep_sort_config_static_selectorELNS0_4arch9wavefront6targetE0EEEvSH_
	.p2align	8
	.type	_ZN7rocprim17ROCPRIM_400000_NS6detail17trampoline_kernelINS0_14default_configENS1_35radix_sort_onesweep_config_selectorI12hip_bfloat16NS0_10empty_typeEEEZZNS1_29radix_sort_onesweep_iterationIS3_Lb1EPKS5_PS5_PS6_SC_mNS0_19identity_decomposerENS1_16block_id_wrapperIjLb0EEEEE10hipError_tT1_PNSt15iterator_traitsISH_E10value_typeET2_T3_PNSI_ISN_E10value_typeET4_T5_PSS_ST_PNS1_23onesweep_lookback_stateEbbT6_jjT7_P12ihipStream_tbENKUlT_T0_SH_SM_E_clISB_SB_SC_SC_EEDaS10_S11_SH_SM_EUlS10_E_NS1_11comp_targetILNS1_3genE5ELNS1_11target_archE942ELNS1_3gpuE9ELNS1_3repE0EEENS1_47radix_sort_onesweep_sort_config_static_selectorELNS0_4arch9wavefront6targetE0EEEvSH_,@function
_ZN7rocprim17ROCPRIM_400000_NS6detail17trampoline_kernelINS0_14default_configENS1_35radix_sort_onesweep_config_selectorI12hip_bfloat16NS0_10empty_typeEEEZZNS1_29radix_sort_onesweep_iterationIS3_Lb1EPKS5_PS5_PS6_SC_mNS0_19identity_decomposerENS1_16block_id_wrapperIjLb0EEEEE10hipError_tT1_PNSt15iterator_traitsISH_E10value_typeET2_T3_PNSI_ISN_E10value_typeET4_T5_PSS_ST_PNS1_23onesweep_lookback_stateEbbT6_jjT7_P12ihipStream_tbENKUlT_T0_SH_SM_E_clISB_SB_SC_SC_EEDaS10_S11_SH_SM_EUlS10_E_NS1_11comp_targetILNS1_3genE5ELNS1_11target_archE942ELNS1_3gpuE9ELNS1_3repE0EEENS1_47radix_sort_onesweep_sort_config_static_selectorELNS0_4arch9wavefront6targetE0EEEvSH_: ; @_ZN7rocprim17ROCPRIM_400000_NS6detail17trampoline_kernelINS0_14default_configENS1_35radix_sort_onesweep_config_selectorI12hip_bfloat16NS0_10empty_typeEEEZZNS1_29radix_sort_onesweep_iterationIS3_Lb1EPKS5_PS5_PS6_SC_mNS0_19identity_decomposerENS1_16block_id_wrapperIjLb0EEEEE10hipError_tT1_PNSt15iterator_traitsISH_E10value_typeET2_T3_PNSI_ISN_E10value_typeET4_T5_PSS_ST_PNS1_23onesweep_lookback_stateEbbT6_jjT7_P12ihipStream_tbENKUlT_T0_SH_SM_E_clISB_SB_SC_SC_EEDaS10_S11_SH_SM_EUlS10_E_NS1_11comp_targetILNS1_3genE5ELNS1_11target_archE942ELNS1_3gpuE9ELNS1_3repE0EEENS1_47radix_sort_onesweep_sort_config_static_selectorELNS0_4arch9wavefront6targetE0EEEvSH_
; %bb.0:
	.section	.rodata,"a",@progbits
	.p2align	6, 0x0
	.amdhsa_kernel _ZN7rocprim17ROCPRIM_400000_NS6detail17trampoline_kernelINS0_14default_configENS1_35radix_sort_onesweep_config_selectorI12hip_bfloat16NS0_10empty_typeEEEZZNS1_29radix_sort_onesweep_iterationIS3_Lb1EPKS5_PS5_PS6_SC_mNS0_19identity_decomposerENS1_16block_id_wrapperIjLb0EEEEE10hipError_tT1_PNSt15iterator_traitsISH_E10value_typeET2_T3_PNSI_ISN_E10value_typeET4_T5_PSS_ST_PNS1_23onesweep_lookback_stateEbbT6_jjT7_P12ihipStream_tbENKUlT_T0_SH_SM_E_clISB_SB_SC_SC_EEDaS10_S11_SH_SM_EUlS10_E_NS1_11comp_targetILNS1_3genE5ELNS1_11target_archE942ELNS1_3gpuE9ELNS1_3repE0EEENS1_47radix_sort_onesweep_sort_config_static_selectorELNS0_4arch9wavefront6targetE0EEEvSH_
		.amdhsa_group_segment_fixed_size 0
		.amdhsa_private_segment_fixed_size 0
		.amdhsa_kernarg_size 88
		.amdhsa_user_sgpr_count 2
		.amdhsa_user_sgpr_dispatch_ptr 0
		.amdhsa_user_sgpr_queue_ptr 0
		.amdhsa_user_sgpr_kernarg_segment_ptr 1
		.amdhsa_user_sgpr_dispatch_id 0
		.amdhsa_user_sgpr_kernarg_preload_length 0
		.amdhsa_user_sgpr_kernarg_preload_offset 0
		.amdhsa_user_sgpr_private_segment_size 0
		.amdhsa_wavefront_size32 1
		.amdhsa_uses_dynamic_stack 0
		.amdhsa_enable_private_segment 0
		.amdhsa_system_sgpr_workgroup_id_x 1
		.amdhsa_system_sgpr_workgroup_id_y 0
		.amdhsa_system_sgpr_workgroup_id_z 0
		.amdhsa_system_sgpr_workgroup_info 0
		.amdhsa_system_vgpr_workitem_id 0
		.amdhsa_next_free_vgpr 1
		.amdhsa_next_free_sgpr 1
		.amdhsa_named_barrier_count 0
		.amdhsa_reserve_vcc 0
		.amdhsa_float_round_mode_32 0
		.amdhsa_float_round_mode_16_64 0
		.amdhsa_float_denorm_mode_32 3
		.amdhsa_float_denorm_mode_16_64 3
		.amdhsa_fp16_overflow 0
		.amdhsa_memory_ordered 1
		.amdhsa_forward_progress 1
		.amdhsa_inst_pref_size 0
		.amdhsa_round_robin_scheduling 0
		.amdhsa_exception_fp_ieee_invalid_op 0
		.amdhsa_exception_fp_denorm_src 0
		.amdhsa_exception_fp_ieee_div_zero 0
		.amdhsa_exception_fp_ieee_overflow 0
		.amdhsa_exception_fp_ieee_underflow 0
		.amdhsa_exception_fp_ieee_inexact 0
		.amdhsa_exception_int_div_zero 0
	.end_amdhsa_kernel
	.section	.text._ZN7rocprim17ROCPRIM_400000_NS6detail17trampoline_kernelINS0_14default_configENS1_35radix_sort_onesweep_config_selectorI12hip_bfloat16NS0_10empty_typeEEEZZNS1_29radix_sort_onesweep_iterationIS3_Lb1EPKS5_PS5_PS6_SC_mNS0_19identity_decomposerENS1_16block_id_wrapperIjLb0EEEEE10hipError_tT1_PNSt15iterator_traitsISH_E10value_typeET2_T3_PNSI_ISN_E10value_typeET4_T5_PSS_ST_PNS1_23onesweep_lookback_stateEbbT6_jjT7_P12ihipStream_tbENKUlT_T0_SH_SM_E_clISB_SB_SC_SC_EEDaS10_S11_SH_SM_EUlS10_E_NS1_11comp_targetILNS1_3genE5ELNS1_11target_archE942ELNS1_3gpuE9ELNS1_3repE0EEENS1_47radix_sort_onesweep_sort_config_static_selectorELNS0_4arch9wavefront6targetE0EEEvSH_,"axG",@progbits,_ZN7rocprim17ROCPRIM_400000_NS6detail17trampoline_kernelINS0_14default_configENS1_35radix_sort_onesweep_config_selectorI12hip_bfloat16NS0_10empty_typeEEEZZNS1_29radix_sort_onesweep_iterationIS3_Lb1EPKS5_PS5_PS6_SC_mNS0_19identity_decomposerENS1_16block_id_wrapperIjLb0EEEEE10hipError_tT1_PNSt15iterator_traitsISH_E10value_typeET2_T3_PNSI_ISN_E10value_typeET4_T5_PSS_ST_PNS1_23onesweep_lookback_stateEbbT6_jjT7_P12ihipStream_tbENKUlT_T0_SH_SM_E_clISB_SB_SC_SC_EEDaS10_S11_SH_SM_EUlS10_E_NS1_11comp_targetILNS1_3genE5ELNS1_11target_archE942ELNS1_3gpuE9ELNS1_3repE0EEENS1_47radix_sort_onesweep_sort_config_static_selectorELNS0_4arch9wavefront6targetE0EEEvSH_,comdat
.Lfunc_end1993:
	.size	_ZN7rocprim17ROCPRIM_400000_NS6detail17trampoline_kernelINS0_14default_configENS1_35radix_sort_onesweep_config_selectorI12hip_bfloat16NS0_10empty_typeEEEZZNS1_29radix_sort_onesweep_iterationIS3_Lb1EPKS5_PS5_PS6_SC_mNS0_19identity_decomposerENS1_16block_id_wrapperIjLb0EEEEE10hipError_tT1_PNSt15iterator_traitsISH_E10value_typeET2_T3_PNSI_ISN_E10value_typeET4_T5_PSS_ST_PNS1_23onesweep_lookback_stateEbbT6_jjT7_P12ihipStream_tbENKUlT_T0_SH_SM_E_clISB_SB_SC_SC_EEDaS10_S11_SH_SM_EUlS10_E_NS1_11comp_targetILNS1_3genE5ELNS1_11target_archE942ELNS1_3gpuE9ELNS1_3repE0EEENS1_47radix_sort_onesweep_sort_config_static_selectorELNS0_4arch9wavefront6targetE0EEEvSH_, .Lfunc_end1993-_ZN7rocprim17ROCPRIM_400000_NS6detail17trampoline_kernelINS0_14default_configENS1_35radix_sort_onesweep_config_selectorI12hip_bfloat16NS0_10empty_typeEEEZZNS1_29radix_sort_onesweep_iterationIS3_Lb1EPKS5_PS5_PS6_SC_mNS0_19identity_decomposerENS1_16block_id_wrapperIjLb0EEEEE10hipError_tT1_PNSt15iterator_traitsISH_E10value_typeET2_T3_PNSI_ISN_E10value_typeET4_T5_PSS_ST_PNS1_23onesweep_lookback_stateEbbT6_jjT7_P12ihipStream_tbENKUlT_T0_SH_SM_E_clISB_SB_SC_SC_EEDaS10_S11_SH_SM_EUlS10_E_NS1_11comp_targetILNS1_3genE5ELNS1_11target_archE942ELNS1_3gpuE9ELNS1_3repE0EEENS1_47radix_sort_onesweep_sort_config_static_selectorELNS0_4arch9wavefront6targetE0EEEvSH_
                                        ; -- End function
	.set _ZN7rocprim17ROCPRIM_400000_NS6detail17trampoline_kernelINS0_14default_configENS1_35radix_sort_onesweep_config_selectorI12hip_bfloat16NS0_10empty_typeEEEZZNS1_29radix_sort_onesweep_iterationIS3_Lb1EPKS5_PS5_PS6_SC_mNS0_19identity_decomposerENS1_16block_id_wrapperIjLb0EEEEE10hipError_tT1_PNSt15iterator_traitsISH_E10value_typeET2_T3_PNSI_ISN_E10value_typeET4_T5_PSS_ST_PNS1_23onesweep_lookback_stateEbbT6_jjT7_P12ihipStream_tbENKUlT_T0_SH_SM_E_clISB_SB_SC_SC_EEDaS10_S11_SH_SM_EUlS10_E_NS1_11comp_targetILNS1_3genE5ELNS1_11target_archE942ELNS1_3gpuE9ELNS1_3repE0EEENS1_47radix_sort_onesweep_sort_config_static_selectorELNS0_4arch9wavefront6targetE0EEEvSH_.num_vgpr, 0
	.set _ZN7rocprim17ROCPRIM_400000_NS6detail17trampoline_kernelINS0_14default_configENS1_35radix_sort_onesweep_config_selectorI12hip_bfloat16NS0_10empty_typeEEEZZNS1_29radix_sort_onesweep_iterationIS3_Lb1EPKS5_PS5_PS6_SC_mNS0_19identity_decomposerENS1_16block_id_wrapperIjLb0EEEEE10hipError_tT1_PNSt15iterator_traitsISH_E10value_typeET2_T3_PNSI_ISN_E10value_typeET4_T5_PSS_ST_PNS1_23onesweep_lookback_stateEbbT6_jjT7_P12ihipStream_tbENKUlT_T0_SH_SM_E_clISB_SB_SC_SC_EEDaS10_S11_SH_SM_EUlS10_E_NS1_11comp_targetILNS1_3genE5ELNS1_11target_archE942ELNS1_3gpuE9ELNS1_3repE0EEENS1_47radix_sort_onesweep_sort_config_static_selectorELNS0_4arch9wavefront6targetE0EEEvSH_.num_agpr, 0
	.set _ZN7rocprim17ROCPRIM_400000_NS6detail17trampoline_kernelINS0_14default_configENS1_35radix_sort_onesweep_config_selectorI12hip_bfloat16NS0_10empty_typeEEEZZNS1_29radix_sort_onesweep_iterationIS3_Lb1EPKS5_PS5_PS6_SC_mNS0_19identity_decomposerENS1_16block_id_wrapperIjLb0EEEEE10hipError_tT1_PNSt15iterator_traitsISH_E10value_typeET2_T3_PNSI_ISN_E10value_typeET4_T5_PSS_ST_PNS1_23onesweep_lookback_stateEbbT6_jjT7_P12ihipStream_tbENKUlT_T0_SH_SM_E_clISB_SB_SC_SC_EEDaS10_S11_SH_SM_EUlS10_E_NS1_11comp_targetILNS1_3genE5ELNS1_11target_archE942ELNS1_3gpuE9ELNS1_3repE0EEENS1_47radix_sort_onesweep_sort_config_static_selectorELNS0_4arch9wavefront6targetE0EEEvSH_.numbered_sgpr, 0
	.set _ZN7rocprim17ROCPRIM_400000_NS6detail17trampoline_kernelINS0_14default_configENS1_35radix_sort_onesweep_config_selectorI12hip_bfloat16NS0_10empty_typeEEEZZNS1_29radix_sort_onesweep_iterationIS3_Lb1EPKS5_PS5_PS6_SC_mNS0_19identity_decomposerENS1_16block_id_wrapperIjLb0EEEEE10hipError_tT1_PNSt15iterator_traitsISH_E10value_typeET2_T3_PNSI_ISN_E10value_typeET4_T5_PSS_ST_PNS1_23onesweep_lookback_stateEbbT6_jjT7_P12ihipStream_tbENKUlT_T0_SH_SM_E_clISB_SB_SC_SC_EEDaS10_S11_SH_SM_EUlS10_E_NS1_11comp_targetILNS1_3genE5ELNS1_11target_archE942ELNS1_3gpuE9ELNS1_3repE0EEENS1_47radix_sort_onesweep_sort_config_static_selectorELNS0_4arch9wavefront6targetE0EEEvSH_.num_named_barrier, 0
	.set _ZN7rocprim17ROCPRIM_400000_NS6detail17trampoline_kernelINS0_14default_configENS1_35radix_sort_onesweep_config_selectorI12hip_bfloat16NS0_10empty_typeEEEZZNS1_29radix_sort_onesweep_iterationIS3_Lb1EPKS5_PS5_PS6_SC_mNS0_19identity_decomposerENS1_16block_id_wrapperIjLb0EEEEE10hipError_tT1_PNSt15iterator_traitsISH_E10value_typeET2_T3_PNSI_ISN_E10value_typeET4_T5_PSS_ST_PNS1_23onesweep_lookback_stateEbbT6_jjT7_P12ihipStream_tbENKUlT_T0_SH_SM_E_clISB_SB_SC_SC_EEDaS10_S11_SH_SM_EUlS10_E_NS1_11comp_targetILNS1_3genE5ELNS1_11target_archE942ELNS1_3gpuE9ELNS1_3repE0EEENS1_47radix_sort_onesweep_sort_config_static_selectorELNS0_4arch9wavefront6targetE0EEEvSH_.private_seg_size, 0
	.set _ZN7rocprim17ROCPRIM_400000_NS6detail17trampoline_kernelINS0_14default_configENS1_35radix_sort_onesweep_config_selectorI12hip_bfloat16NS0_10empty_typeEEEZZNS1_29radix_sort_onesweep_iterationIS3_Lb1EPKS5_PS5_PS6_SC_mNS0_19identity_decomposerENS1_16block_id_wrapperIjLb0EEEEE10hipError_tT1_PNSt15iterator_traitsISH_E10value_typeET2_T3_PNSI_ISN_E10value_typeET4_T5_PSS_ST_PNS1_23onesweep_lookback_stateEbbT6_jjT7_P12ihipStream_tbENKUlT_T0_SH_SM_E_clISB_SB_SC_SC_EEDaS10_S11_SH_SM_EUlS10_E_NS1_11comp_targetILNS1_3genE5ELNS1_11target_archE942ELNS1_3gpuE9ELNS1_3repE0EEENS1_47radix_sort_onesweep_sort_config_static_selectorELNS0_4arch9wavefront6targetE0EEEvSH_.uses_vcc, 0
	.set _ZN7rocprim17ROCPRIM_400000_NS6detail17trampoline_kernelINS0_14default_configENS1_35radix_sort_onesweep_config_selectorI12hip_bfloat16NS0_10empty_typeEEEZZNS1_29radix_sort_onesweep_iterationIS3_Lb1EPKS5_PS5_PS6_SC_mNS0_19identity_decomposerENS1_16block_id_wrapperIjLb0EEEEE10hipError_tT1_PNSt15iterator_traitsISH_E10value_typeET2_T3_PNSI_ISN_E10value_typeET4_T5_PSS_ST_PNS1_23onesweep_lookback_stateEbbT6_jjT7_P12ihipStream_tbENKUlT_T0_SH_SM_E_clISB_SB_SC_SC_EEDaS10_S11_SH_SM_EUlS10_E_NS1_11comp_targetILNS1_3genE5ELNS1_11target_archE942ELNS1_3gpuE9ELNS1_3repE0EEENS1_47radix_sort_onesweep_sort_config_static_selectorELNS0_4arch9wavefront6targetE0EEEvSH_.uses_flat_scratch, 0
	.set _ZN7rocprim17ROCPRIM_400000_NS6detail17trampoline_kernelINS0_14default_configENS1_35radix_sort_onesweep_config_selectorI12hip_bfloat16NS0_10empty_typeEEEZZNS1_29radix_sort_onesweep_iterationIS3_Lb1EPKS5_PS5_PS6_SC_mNS0_19identity_decomposerENS1_16block_id_wrapperIjLb0EEEEE10hipError_tT1_PNSt15iterator_traitsISH_E10value_typeET2_T3_PNSI_ISN_E10value_typeET4_T5_PSS_ST_PNS1_23onesweep_lookback_stateEbbT6_jjT7_P12ihipStream_tbENKUlT_T0_SH_SM_E_clISB_SB_SC_SC_EEDaS10_S11_SH_SM_EUlS10_E_NS1_11comp_targetILNS1_3genE5ELNS1_11target_archE942ELNS1_3gpuE9ELNS1_3repE0EEENS1_47radix_sort_onesweep_sort_config_static_selectorELNS0_4arch9wavefront6targetE0EEEvSH_.has_dyn_sized_stack, 0
	.set _ZN7rocprim17ROCPRIM_400000_NS6detail17trampoline_kernelINS0_14default_configENS1_35radix_sort_onesweep_config_selectorI12hip_bfloat16NS0_10empty_typeEEEZZNS1_29radix_sort_onesweep_iterationIS3_Lb1EPKS5_PS5_PS6_SC_mNS0_19identity_decomposerENS1_16block_id_wrapperIjLb0EEEEE10hipError_tT1_PNSt15iterator_traitsISH_E10value_typeET2_T3_PNSI_ISN_E10value_typeET4_T5_PSS_ST_PNS1_23onesweep_lookback_stateEbbT6_jjT7_P12ihipStream_tbENKUlT_T0_SH_SM_E_clISB_SB_SC_SC_EEDaS10_S11_SH_SM_EUlS10_E_NS1_11comp_targetILNS1_3genE5ELNS1_11target_archE942ELNS1_3gpuE9ELNS1_3repE0EEENS1_47radix_sort_onesweep_sort_config_static_selectorELNS0_4arch9wavefront6targetE0EEEvSH_.has_recursion, 0
	.set _ZN7rocprim17ROCPRIM_400000_NS6detail17trampoline_kernelINS0_14default_configENS1_35radix_sort_onesweep_config_selectorI12hip_bfloat16NS0_10empty_typeEEEZZNS1_29radix_sort_onesweep_iterationIS3_Lb1EPKS5_PS5_PS6_SC_mNS0_19identity_decomposerENS1_16block_id_wrapperIjLb0EEEEE10hipError_tT1_PNSt15iterator_traitsISH_E10value_typeET2_T3_PNSI_ISN_E10value_typeET4_T5_PSS_ST_PNS1_23onesweep_lookback_stateEbbT6_jjT7_P12ihipStream_tbENKUlT_T0_SH_SM_E_clISB_SB_SC_SC_EEDaS10_S11_SH_SM_EUlS10_E_NS1_11comp_targetILNS1_3genE5ELNS1_11target_archE942ELNS1_3gpuE9ELNS1_3repE0EEENS1_47radix_sort_onesweep_sort_config_static_selectorELNS0_4arch9wavefront6targetE0EEEvSH_.has_indirect_call, 0
	.section	.AMDGPU.csdata,"",@progbits
; Kernel info:
; codeLenInByte = 0
; TotalNumSgprs: 0
; NumVgprs: 0
; ScratchSize: 0
; MemoryBound: 0
; FloatMode: 240
; IeeeMode: 1
; LDSByteSize: 0 bytes/workgroup (compile time only)
; SGPRBlocks: 0
; VGPRBlocks: 0
; NumSGPRsForWavesPerEU: 1
; NumVGPRsForWavesPerEU: 1
; NamedBarCnt: 0
; Occupancy: 16
; WaveLimiterHint : 0
; COMPUTE_PGM_RSRC2:SCRATCH_EN: 0
; COMPUTE_PGM_RSRC2:USER_SGPR: 2
; COMPUTE_PGM_RSRC2:TRAP_HANDLER: 0
; COMPUTE_PGM_RSRC2:TGID_X_EN: 1
; COMPUTE_PGM_RSRC2:TGID_Y_EN: 0
; COMPUTE_PGM_RSRC2:TGID_Z_EN: 0
; COMPUTE_PGM_RSRC2:TIDIG_COMP_CNT: 0
	.section	.text._ZN7rocprim17ROCPRIM_400000_NS6detail17trampoline_kernelINS0_14default_configENS1_35radix_sort_onesweep_config_selectorI12hip_bfloat16NS0_10empty_typeEEEZZNS1_29radix_sort_onesweep_iterationIS3_Lb1EPKS5_PS5_PS6_SC_mNS0_19identity_decomposerENS1_16block_id_wrapperIjLb0EEEEE10hipError_tT1_PNSt15iterator_traitsISH_E10value_typeET2_T3_PNSI_ISN_E10value_typeET4_T5_PSS_ST_PNS1_23onesweep_lookback_stateEbbT6_jjT7_P12ihipStream_tbENKUlT_T0_SH_SM_E_clISB_SB_SC_SC_EEDaS10_S11_SH_SM_EUlS10_E_NS1_11comp_targetILNS1_3genE2ELNS1_11target_archE906ELNS1_3gpuE6ELNS1_3repE0EEENS1_47radix_sort_onesweep_sort_config_static_selectorELNS0_4arch9wavefront6targetE0EEEvSH_,"axG",@progbits,_ZN7rocprim17ROCPRIM_400000_NS6detail17trampoline_kernelINS0_14default_configENS1_35radix_sort_onesweep_config_selectorI12hip_bfloat16NS0_10empty_typeEEEZZNS1_29radix_sort_onesweep_iterationIS3_Lb1EPKS5_PS5_PS6_SC_mNS0_19identity_decomposerENS1_16block_id_wrapperIjLb0EEEEE10hipError_tT1_PNSt15iterator_traitsISH_E10value_typeET2_T3_PNSI_ISN_E10value_typeET4_T5_PSS_ST_PNS1_23onesweep_lookback_stateEbbT6_jjT7_P12ihipStream_tbENKUlT_T0_SH_SM_E_clISB_SB_SC_SC_EEDaS10_S11_SH_SM_EUlS10_E_NS1_11comp_targetILNS1_3genE2ELNS1_11target_archE906ELNS1_3gpuE6ELNS1_3repE0EEENS1_47radix_sort_onesweep_sort_config_static_selectorELNS0_4arch9wavefront6targetE0EEEvSH_,comdat
	.protected	_ZN7rocprim17ROCPRIM_400000_NS6detail17trampoline_kernelINS0_14default_configENS1_35radix_sort_onesweep_config_selectorI12hip_bfloat16NS0_10empty_typeEEEZZNS1_29radix_sort_onesweep_iterationIS3_Lb1EPKS5_PS5_PS6_SC_mNS0_19identity_decomposerENS1_16block_id_wrapperIjLb0EEEEE10hipError_tT1_PNSt15iterator_traitsISH_E10value_typeET2_T3_PNSI_ISN_E10value_typeET4_T5_PSS_ST_PNS1_23onesweep_lookback_stateEbbT6_jjT7_P12ihipStream_tbENKUlT_T0_SH_SM_E_clISB_SB_SC_SC_EEDaS10_S11_SH_SM_EUlS10_E_NS1_11comp_targetILNS1_3genE2ELNS1_11target_archE906ELNS1_3gpuE6ELNS1_3repE0EEENS1_47radix_sort_onesweep_sort_config_static_selectorELNS0_4arch9wavefront6targetE0EEEvSH_ ; -- Begin function _ZN7rocprim17ROCPRIM_400000_NS6detail17trampoline_kernelINS0_14default_configENS1_35radix_sort_onesweep_config_selectorI12hip_bfloat16NS0_10empty_typeEEEZZNS1_29radix_sort_onesweep_iterationIS3_Lb1EPKS5_PS5_PS6_SC_mNS0_19identity_decomposerENS1_16block_id_wrapperIjLb0EEEEE10hipError_tT1_PNSt15iterator_traitsISH_E10value_typeET2_T3_PNSI_ISN_E10value_typeET4_T5_PSS_ST_PNS1_23onesweep_lookback_stateEbbT6_jjT7_P12ihipStream_tbENKUlT_T0_SH_SM_E_clISB_SB_SC_SC_EEDaS10_S11_SH_SM_EUlS10_E_NS1_11comp_targetILNS1_3genE2ELNS1_11target_archE906ELNS1_3gpuE6ELNS1_3repE0EEENS1_47radix_sort_onesweep_sort_config_static_selectorELNS0_4arch9wavefront6targetE0EEEvSH_
	.globl	_ZN7rocprim17ROCPRIM_400000_NS6detail17trampoline_kernelINS0_14default_configENS1_35radix_sort_onesweep_config_selectorI12hip_bfloat16NS0_10empty_typeEEEZZNS1_29radix_sort_onesweep_iterationIS3_Lb1EPKS5_PS5_PS6_SC_mNS0_19identity_decomposerENS1_16block_id_wrapperIjLb0EEEEE10hipError_tT1_PNSt15iterator_traitsISH_E10value_typeET2_T3_PNSI_ISN_E10value_typeET4_T5_PSS_ST_PNS1_23onesweep_lookback_stateEbbT6_jjT7_P12ihipStream_tbENKUlT_T0_SH_SM_E_clISB_SB_SC_SC_EEDaS10_S11_SH_SM_EUlS10_E_NS1_11comp_targetILNS1_3genE2ELNS1_11target_archE906ELNS1_3gpuE6ELNS1_3repE0EEENS1_47radix_sort_onesweep_sort_config_static_selectorELNS0_4arch9wavefront6targetE0EEEvSH_
	.p2align	8
	.type	_ZN7rocprim17ROCPRIM_400000_NS6detail17trampoline_kernelINS0_14default_configENS1_35radix_sort_onesweep_config_selectorI12hip_bfloat16NS0_10empty_typeEEEZZNS1_29radix_sort_onesweep_iterationIS3_Lb1EPKS5_PS5_PS6_SC_mNS0_19identity_decomposerENS1_16block_id_wrapperIjLb0EEEEE10hipError_tT1_PNSt15iterator_traitsISH_E10value_typeET2_T3_PNSI_ISN_E10value_typeET4_T5_PSS_ST_PNS1_23onesweep_lookback_stateEbbT6_jjT7_P12ihipStream_tbENKUlT_T0_SH_SM_E_clISB_SB_SC_SC_EEDaS10_S11_SH_SM_EUlS10_E_NS1_11comp_targetILNS1_3genE2ELNS1_11target_archE906ELNS1_3gpuE6ELNS1_3repE0EEENS1_47radix_sort_onesweep_sort_config_static_selectorELNS0_4arch9wavefront6targetE0EEEvSH_,@function
_ZN7rocprim17ROCPRIM_400000_NS6detail17trampoline_kernelINS0_14default_configENS1_35radix_sort_onesweep_config_selectorI12hip_bfloat16NS0_10empty_typeEEEZZNS1_29radix_sort_onesweep_iterationIS3_Lb1EPKS5_PS5_PS6_SC_mNS0_19identity_decomposerENS1_16block_id_wrapperIjLb0EEEEE10hipError_tT1_PNSt15iterator_traitsISH_E10value_typeET2_T3_PNSI_ISN_E10value_typeET4_T5_PSS_ST_PNS1_23onesweep_lookback_stateEbbT6_jjT7_P12ihipStream_tbENKUlT_T0_SH_SM_E_clISB_SB_SC_SC_EEDaS10_S11_SH_SM_EUlS10_E_NS1_11comp_targetILNS1_3genE2ELNS1_11target_archE906ELNS1_3gpuE6ELNS1_3repE0EEENS1_47radix_sort_onesweep_sort_config_static_selectorELNS0_4arch9wavefront6targetE0EEEvSH_: ; @_ZN7rocprim17ROCPRIM_400000_NS6detail17trampoline_kernelINS0_14default_configENS1_35radix_sort_onesweep_config_selectorI12hip_bfloat16NS0_10empty_typeEEEZZNS1_29radix_sort_onesweep_iterationIS3_Lb1EPKS5_PS5_PS6_SC_mNS0_19identity_decomposerENS1_16block_id_wrapperIjLb0EEEEE10hipError_tT1_PNSt15iterator_traitsISH_E10value_typeET2_T3_PNSI_ISN_E10value_typeET4_T5_PSS_ST_PNS1_23onesweep_lookback_stateEbbT6_jjT7_P12ihipStream_tbENKUlT_T0_SH_SM_E_clISB_SB_SC_SC_EEDaS10_S11_SH_SM_EUlS10_E_NS1_11comp_targetILNS1_3genE2ELNS1_11target_archE906ELNS1_3gpuE6ELNS1_3repE0EEENS1_47radix_sort_onesweep_sort_config_static_selectorELNS0_4arch9wavefront6targetE0EEEvSH_
; %bb.0:
	.section	.rodata,"a",@progbits
	.p2align	6, 0x0
	.amdhsa_kernel _ZN7rocprim17ROCPRIM_400000_NS6detail17trampoline_kernelINS0_14default_configENS1_35radix_sort_onesweep_config_selectorI12hip_bfloat16NS0_10empty_typeEEEZZNS1_29radix_sort_onesweep_iterationIS3_Lb1EPKS5_PS5_PS6_SC_mNS0_19identity_decomposerENS1_16block_id_wrapperIjLb0EEEEE10hipError_tT1_PNSt15iterator_traitsISH_E10value_typeET2_T3_PNSI_ISN_E10value_typeET4_T5_PSS_ST_PNS1_23onesweep_lookback_stateEbbT6_jjT7_P12ihipStream_tbENKUlT_T0_SH_SM_E_clISB_SB_SC_SC_EEDaS10_S11_SH_SM_EUlS10_E_NS1_11comp_targetILNS1_3genE2ELNS1_11target_archE906ELNS1_3gpuE6ELNS1_3repE0EEENS1_47radix_sort_onesweep_sort_config_static_selectorELNS0_4arch9wavefront6targetE0EEEvSH_
		.amdhsa_group_segment_fixed_size 0
		.amdhsa_private_segment_fixed_size 0
		.amdhsa_kernarg_size 88
		.amdhsa_user_sgpr_count 2
		.amdhsa_user_sgpr_dispatch_ptr 0
		.amdhsa_user_sgpr_queue_ptr 0
		.amdhsa_user_sgpr_kernarg_segment_ptr 1
		.amdhsa_user_sgpr_dispatch_id 0
		.amdhsa_user_sgpr_kernarg_preload_length 0
		.amdhsa_user_sgpr_kernarg_preload_offset 0
		.amdhsa_user_sgpr_private_segment_size 0
		.amdhsa_wavefront_size32 1
		.amdhsa_uses_dynamic_stack 0
		.amdhsa_enable_private_segment 0
		.amdhsa_system_sgpr_workgroup_id_x 1
		.amdhsa_system_sgpr_workgroup_id_y 0
		.amdhsa_system_sgpr_workgroup_id_z 0
		.amdhsa_system_sgpr_workgroup_info 0
		.amdhsa_system_vgpr_workitem_id 0
		.amdhsa_next_free_vgpr 1
		.amdhsa_next_free_sgpr 1
		.amdhsa_named_barrier_count 0
		.amdhsa_reserve_vcc 0
		.amdhsa_float_round_mode_32 0
		.amdhsa_float_round_mode_16_64 0
		.amdhsa_float_denorm_mode_32 3
		.amdhsa_float_denorm_mode_16_64 3
		.amdhsa_fp16_overflow 0
		.amdhsa_memory_ordered 1
		.amdhsa_forward_progress 1
		.amdhsa_inst_pref_size 0
		.amdhsa_round_robin_scheduling 0
		.amdhsa_exception_fp_ieee_invalid_op 0
		.amdhsa_exception_fp_denorm_src 0
		.amdhsa_exception_fp_ieee_div_zero 0
		.amdhsa_exception_fp_ieee_overflow 0
		.amdhsa_exception_fp_ieee_underflow 0
		.amdhsa_exception_fp_ieee_inexact 0
		.amdhsa_exception_int_div_zero 0
	.end_amdhsa_kernel
	.section	.text._ZN7rocprim17ROCPRIM_400000_NS6detail17trampoline_kernelINS0_14default_configENS1_35radix_sort_onesweep_config_selectorI12hip_bfloat16NS0_10empty_typeEEEZZNS1_29radix_sort_onesweep_iterationIS3_Lb1EPKS5_PS5_PS6_SC_mNS0_19identity_decomposerENS1_16block_id_wrapperIjLb0EEEEE10hipError_tT1_PNSt15iterator_traitsISH_E10value_typeET2_T3_PNSI_ISN_E10value_typeET4_T5_PSS_ST_PNS1_23onesweep_lookback_stateEbbT6_jjT7_P12ihipStream_tbENKUlT_T0_SH_SM_E_clISB_SB_SC_SC_EEDaS10_S11_SH_SM_EUlS10_E_NS1_11comp_targetILNS1_3genE2ELNS1_11target_archE906ELNS1_3gpuE6ELNS1_3repE0EEENS1_47radix_sort_onesweep_sort_config_static_selectorELNS0_4arch9wavefront6targetE0EEEvSH_,"axG",@progbits,_ZN7rocprim17ROCPRIM_400000_NS6detail17trampoline_kernelINS0_14default_configENS1_35radix_sort_onesweep_config_selectorI12hip_bfloat16NS0_10empty_typeEEEZZNS1_29radix_sort_onesweep_iterationIS3_Lb1EPKS5_PS5_PS6_SC_mNS0_19identity_decomposerENS1_16block_id_wrapperIjLb0EEEEE10hipError_tT1_PNSt15iterator_traitsISH_E10value_typeET2_T3_PNSI_ISN_E10value_typeET4_T5_PSS_ST_PNS1_23onesweep_lookback_stateEbbT6_jjT7_P12ihipStream_tbENKUlT_T0_SH_SM_E_clISB_SB_SC_SC_EEDaS10_S11_SH_SM_EUlS10_E_NS1_11comp_targetILNS1_3genE2ELNS1_11target_archE906ELNS1_3gpuE6ELNS1_3repE0EEENS1_47radix_sort_onesweep_sort_config_static_selectorELNS0_4arch9wavefront6targetE0EEEvSH_,comdat
.Lfunc_end1994:
	.size	_ZN7rocprim17ROCPRIM_400000_NS6detail17trampoline_kernelINS0_14default_configENS1_35radix_sort_onesweep_config_selectorI12hip_bfloat16NS0_10empty_typeEEEZZNS1_29radix_sort_onesweep_iterationIS3_Lb1EPKS5_PS5_PS6_SC_mNS0_19identity_decomposerENS1_16block_id_wrapperIjLb0EEEEE10hipError_tT1_PNSt15iterator_traitsISH_E10value_typeET2_T3_PNSI_ISN_E10value_typeET4_T5_PSS_ST_PNS1_23onesweep_lookback_stateEbbT6_jjT7_P12ihipStream_tbENKUlT_T0_SH_SM_E_clISB_SB_SC_SC_EEDaS10_S11_SH_SM_EUlS10_E_NS1_11comp_targetILNS1_3genE2ELNS1_11target_archE906ELNS1_3gpuE6ELNS1_3repE0EEENS1_47radix_sort_onesweep_sort_config_static_selectorELNS0_4arch9wavefront6targetE0EEEvSH_, .Lfunc_end1994-_ZN7rocprim17ROCPRIM_400000_NS6detail17trampoline_kernelINS0_14default_configENS1_35radix_sort_onesweep_config_selectorI12hip_bfloat16NS0_10empty_typeEEEZZNS1_29radix_sort_onesweep_iterationIS3_Lb1EPKS5_PS5_PS6_SC_mNS0_19identity_decomposerENS1_16block_id_wrapperIjLb0EEEEE10hipError_tT1_PNSt15iterator_traitsISH_E10value_typeET2_T3_PNSI_ISN_E10value_typeET4_T5_PSS_ST_PNS1_23onesweep_lookback_stateEbbT6_jjT7_P12ihipStream_tbENKUlT_T0_SH_SM_E_clISB_SB_SC_SC_EEDaS10_S11_SH_SM_EUlS10_E_NS1_11comp_targetILNS1_3genE2ELNS1_11target_archE906ELNS1_3gpuE6ELNS1_3repE0EEENS1_47radix_sort_onesweep_sort_config_static_selectorELNS0_4arch9wavefront6targetE0EEEvSH_
                                        ; -- End function
	.set _ZN7rocprim17ROCPRIM_400000_NS6detail17trampoline_kernelINS0_14default_configENS1_35radix_sort_onesweep_config_selectorI12hip_bfloat16NS0_10empty_typeEEEZZNS1_29radix_sort_onesweep_iterationIS3_Lb1EPKS5_PS5_PS6_SC_mNS0_19identity_decomposerENS1_16block_id_wrapperIjLb0EEEEE10hipError_tT1_PNSt15iterator_traitsISH_E10value_typeET2_T3_PNSI_ISN_E10value_typeET4_T5_PSS_ST_PNS1_23onesweep_lookback_stateEbbT6_jjT7_P12ihipStream_tbENKUlT_T0_SH_SM_E_clISB_SB_SC_SC_EEDaS10_S11_SH_SM_EUlS10_E_NS1_11comp_targetILNS1_3genE2ELNS1_11target_archE906ELNS1_3gpuE6ELNS1_3repE0EEENS1_47radix_sort_onesweep_sort_config_static_selectorELNS0_4arch9wavefront6targetE0EEEvSH_.num_vgpr, 0
	.set _ZN7rocprim17ROCPRIM_400000_NS6detail17trampoline_kernelINS0_14default_configENS1_35radix_sort_onesweep_config_selectorI12hip_bfloat16NS0_10empty_typeEEEZZNS1_29radix_sort_onesweep_iterationIS3_Lb1EPKS5_PS5_PS6_SC_mNS0_19identity_decomposerENS1_16block_id_wrapperIjLb0EEEEE10hipError_tT1_PNSt15iterator_traitsISH_E10value_typeET2_T3_PNSI_ISN_E10value_typeET4_T5_PSS_ST_PNS1_23onesweep_lookback_stateEbbT6_jjT7_P12ihipStream_tbENKUlT_T0_SH_SM_E_clISB_SB_SC_SC_EEDaS10_S11_SH_SM_EUlS10_E_NS1_11comp_targetILNS1_3genE2ELNS1_11target_archE906ELNS1_3gpuE6ELNS1_3repE0EEENS1_47radix_sort_onesweep_sort_config_static_selectorELNS0_4arch9wavefront6targetE0EEEvSH_.num_agpr, 0
	.set _ZN7rocprim17ROCPRIM_400000_NS6detail17trampoline_kernelINS0_14default_configENS1_35radix_sort_onesweep_config_selectorI12hip_bfloat16NS0_10empty_typeEEEZZNS1_29radix_sort_onesweep_iterationIS3_Lb1EPKS5_PS5_PS6_SC_mNS0_19identity_decomposerENS1_16block_id_wrapperIjLb0EEEEE10hipError_tT1_PNSt15iterator_traitsISH_E10value_typeET2_T3_PNSI_ISN_E10value_typeET4_T5_PSS_ST_PNS1_23onesweep_lookback_stateEbbT6_jjT7_P12ihipStream_tbENKUlT_T0_SH_SM_E_clISB_SB_SC_SC_EEDaS10_S11_SH_SM_EUlS10_E_NS1_11comp_targetILNS1_3genE2ELNS1_11target_archE906ELNS1_3gpuE6ELNS1_3repE0EEENS1_47radix_sort_onesweep_sort_config_static_selectorELNS0_4arch9wavefront6targetE0EEEvSH_.numbered_sgpr, 0
	.set _ZN7rocprim17ROCPRIM_400000_NS6detail17trampoline_kernelINS0_14default_configENS1_35radix_sort_onesweep_config_selectorI12hip_bfloat16NS0_10empty_typeEEEZZNS1_29radix_sort_onesweep_iterationIS3_Lb1EPKS5_PS5_PS6_SC_mNS0_19identity_decomposerENS1_16block_id_wrapperIjLb0EEEEE10hipError_tT1_PNSt15iterator_traitsISH_E10value_typeET2_T3_PNSI_ISN_E10value_typeET4_T5_PSS_ST_PNS1_23onesweep_lookback_stateEbbT6_jjT7_P12ihipStream_tbENKUlT_T0_SH_SM_E_clISB_SB_SC_SC_EEDaS10_S11_SH_SM_EUlS10_E_NS1_11comp_targetILNS1_3genE2ELNS1_11target_archE906ELNS1_3gpuE6ELNS1_3repE0EEENS1_47radix_sort_onesweep_sort_config_static_selectorELNS0_4arch9wavefront6targetE0EEEvSH_.num_named_barrier, 0
	.set _ZN7rocprim17ROCPRIM_400000_NS6detail17trampoline_kernelINS0_14default_configENS1_35radix_sort_onesweep_config_selectorI12hip_bfloat16NS0_10empty_typeEEEZZNS1_29radix_sort_onesweep_iterationIS3_Lb1EPKS5_PS5_PS6_SC_mNS0_19identity_decomposerENS1_16block_id_wrapperIjLb0EEEEE10hipError_tT1_PNSt15iterator_traitsISH_E10value_typeET2_T3_PNSI_ISN_E10value_typeET4_T5_PSS_ST_PNS1_23onesweep_lookback_stateEbbT6_jjT7_P12ihipStream_tbENKUlT_T0_SH_SM_E_clISB_SB_SC_SC_EEDaS10_S11_SH_SM_EUlS10_E_NS1_11comp_targetILNS1_3genE2ELNS1_11target_archE906ELNS1_3gpuE6ELNS1_3repE0EEENS1_47radix_sort_onesweep_sort_config_static_selectorELNS0_4arch9wavefront6targetE0EEEvSH_.private_seg_size, 0
	.set _ZN7rocprim17ROCPRIM_400000_NS6detail17trampoline_kernelINS0_14default_configENS1_35radix_sort_onesweep_config_selectorI12hip_bfloat16NS0_10empty_typeEEEZZNS1_29radix_sort_onesweep_iterationIS3_Lb1EPKS5_PS5_PS6_SC_mNS0_19identity_decomposerENS1_16block_id_wrapperIjLb0EEEEE10hipError_tT1_PNSt15iterator_traitsISH_E10value_typeET2_T3_PNSI_ISN_E10value_typeET4_T5_PSS_ST_PNS1_23onesweep_lookback_stateEbbT6_jjT7_P12ihipStream_tbENKUlT_T0_SH_SM_E_clISB_SB_SC_SC_EEDaS10_S11_SH_SM_EUlS10_E_NS1_11comp_targetILNS1_3genE2ELNS1_11target_archE906ELNS1_3gpuE6ELNS1_3repE0EEENS1_47radix_sort_onesweep_sort_config_static_selectorELNS0_4arch9wavefront6targetE0EEEvSH_.uses_vcc, 0
	.set _ZN7rocprim17ROCPRIM_400000_NS6detail17trampoline_kernelINS0_14default_configENS1_35radix_sort_onesweep_config_selectorI12hip_bfloat16NS0_10empty_typeEEEZZNS1_29radix_sort_onesweep_iterationIS3_Lb1EPKS5_PS5_PS6_SC_mNS0_19identity_decomposerENS1_16block_id_wrapperIjLb0EEEEE10hipError_tT1_PNSt15iterator_traitsISH_E10value_typeET2_T3_PNSI_ISN_E10value_typeET4_T5_PSS_ST_PNS1_23onesweep_lookback_stateEbbT6_jjT7_P12ihipStream_tbENKUlT_T0_SH_SM_E_clISB_SB_SC_SC_EEDaS10_S11_SH_SM_EUlS10_E_NS1_11comp_targetILNS1_3genE2ELNS1_11target_archE906ELNS1_3gpuE6ELNS1_3repE0EEENS1_47radix_sort_onesweep_sort_config_static_selectorELNS0_4arch9wavefront6targetE0EEEvSH_.uses_flat_scratch, 0
	.set _ZN7rocprim17ROCPRIM_400000_NS6detail17trampoline_kernelINS0_14default_configENS1_35radix_sort_onesweep_config_selectorI12hip_bfloat16NS0_10empty_typeEEEZZNS1_29radix_sort_onesweep_iterationIS3_Lb1EPKS5_PS5_PS6_SC_mNS0_19identity_decomposerENS1_16block_id_wrapperIjLb0EEEEE10hipError_tT1_PNSt15iterator_traitsISH_E10value_typeET2_T3_PNSI_ISN_E10value_typeET4_T5_PSS_ST_PNS1_23onesweep_lookback_stateEbbT6_jjT7_P12ihipStream_tbENKUlT_T0_SH_SM_E_clISB_SB_SC_SC_EEDaS10_S11_SH_SM_EUlS10_E_NS1_11comp_targetILNS1_3genE2ELNS1_11target_archE906ELNS1_3gpuE6ELNS1_3repE0EEENS1_47radix_sort_onesweep_sort_config_static_selectorELNS0_4arch9wavefront6targetE0EEEvSH_.has_dyn_sized_stack, 0
	.set _ZN7rocprim17ROCPRIM_400000_NS6detail17trampoline_kernelINS0_14default_configENS1_35radix_sort_onesweep_config_selectorI12hip_bfloat16NS0_10empty_typeEEEZZNS1_29radix_sort_onesweep_iterationIS3_Lb1EPKS5_PS5_PS6_SC_mNS0_19identity_decomposerENS1_16block_id_wrapperIjLb0EEEEE10hipError_tT1_PNSt15iterator_traitsISH_E10value_typeET2_T3_PNSI_ISN_E10value_typeET4_T5_PSS_ST_PNS1_23onesweep_lookback_stateEbbT6_jjT7_P12ihipStream_tbENKUlT_T0_SH_SM_E_clISB_SB_SC_SC_EEDaS10_S11_SH_SM_EUlS10_E_NS1_11comp_targetILNS1_3genE2ELNS1_11target_archE906ELNS1_3gpuE6ELNS1_3repE0EEENS1_47radix_sort_onesweep_sort_config_static_selectorELNS0_4arch9wavefront6targetE0EEEvSH_.has_recursion, 0
	.set _ZN7rocprim17ROCPRIM_400000_NS6detail17trampoline_kernelINS0_14default_configENS1_35radix_sort_onesweep_config_selectorI12hip_bfloat16NS0_10empty_typeEEEZZNS1_29radix_sort_onesweep_iterationIS3_Lb1EPKS5_PS5_PS6_SC_mNS0_19identity_decomposerENS1_16block_id_wrapperIjLb0EEEEE10hipError_tT1_PNSt15iterator_traitsISH_E10value_typeET2_T3_PNSI_ISN_E10value_typeET4_T5_PSS_ST_PNS1_23onesweep_lookback_stateEbbT6_jjT7_P12ihipStream_tbENKUlT_T0_SH_SM_E_clISB_SB_SC_SC_EEDaS10_S11_SH_SM_EUlS10_E_NS1_11comp_targetILNS1_3genE2ELNS1_11target_archE906ELNS1_3gpuE6ELNS1_3repE0EEENS1_47radix_sort_onesweep_sort_config_static_selectorELNS0_4arch9wavefront6targetE0EEEvSH_.has_indirect_call, 0
	.section	.AMDGPU.csdata,"",@progbits
; Kernel info:
; codeLenInByte = 0
; TotalNumSgprs: 0
; NumVgprs: 0
; ScratchSize: 0
; MemoryBound: 0
; FloatMode: 240
; IeeeMode: 1
; LDSByteSize: 0 bytes/workgroup (compile time only)
; SGPRBlocks: 0
; VGPRBlocks: 0
; NumSGPRsForWavesPerEU: 1
; NumVGPRsForWavesPerEU: 1
; NamedBarCnt: 0
; Occupancy: 16
; WaveLimiterHint : 0
; COMPUTE_PGM_RSRC2:SCRATCH_EN: 0
; COMPUTE_PGM_RSRC2:USER_SGPR: 2
; COMPUTE_PGM_RSRC2:TRAP_HANDLER: 0
; COMPUTE_PGM_RSRC2:TGID_X_EN: 1
; COMPUTE_PGM_RSRC2:TGID_Y_EN: 0
; COMPUTE_PGM_RSRC2:TGID_Z_EN: 0
; COMPUTE_PGM_RSRC2:TIDIG_COMP_CNT: 0
	.section	.text._ZN7rocprim17ROCPRIM_400000_NS6detail17trampoline_kernelINS0_14default_configENS1_35radix_sort_onesweep_config_selectorI12hip_bfloat16NS0_10empty_typeEEEZZNS1_29radix_sort_onesweep_iterationIS3_Lb1EPKS5_PS5_PS6_SC_mNS0_19identity_decomposerENS1_16block_id_wrapperIjLb0EEEEE10hipError_tT1_PNSt15iterator_traitsISH_E10value_typeET2_T3_PNSI_ISN_E10value_typeET4_T5_PSS_ST_PNS1_23onesweep_lookback_stateEbbT6_jjT7_P12ihipStream_tbENKUlT_T0_SH_SM_E_clISB_SB_SC_SC_EEDaS10_S11_SH_SM_EUlS10_E_NS1_11comp_targetILNS1_3genE4ELNS1_11target_archE910ELNS1_3gpuE8ELNS1_3repE0EEENS1_47radix_sort_onesweep_sort_config_static_selectorELNS0_4arch9wavefront6targetE0EEEvSH_,"axG",@progbits,_ZN7rocprim17ROCPRIM_400000_NS6detail17trampoline_kernelINS0_14default_configENS1_35radix_sort_onesweep_config_selectorI12hip_bfloat16NS0_10empty_typeEEEZZNS1_29radix_sort_onesweep_iterationIS3_Lb1EPKS5_PS5_PS6_SC_mNS0_19identity_decomposerENS1_16block_id_wrapperIjLb0EEEEE10hipError_tT1_PNSt15iterator_traitsISH_E10value_typeET2_T3_PNSI_ISN_E10value_typeET4_T5_PSS_ST_PNS1_23onesweep_lookback_stateEbbT6_jjT7_P12ihipStream_tbENKUlT_T0_SH_SM_E_clISB_SB_SC_SC_EEDaS10_S11_SH_SM_EUlS10_E_NS1_11comp_targetILNS1_3genE4ELNS1_11target_archE910ELNS1_3gpuE8ELNS1_3repE0EEENS1_47radix_sort_onesweep_sort_config_static_selectorELNS0_4arch9wavefront6targetE0EEEvSH_,comdat
	.protected	_ZN7rocprim17ROCPRIM_400000_NS6detail17trampoline_kernelINS0_14default_configENS1_35radix_sort_onesweep_config_selectorI12hip_bfloat16NS0_10empty_typeEEEZZNS1_29radix_sort_onesweep_iterationIS3_Lb1EPKS5_PS5_PS6_SC_mNS0_19identity_decomposerENS1_16block_id_wrapperIjLb0EEEEE10hipError_tT1_PNSt15iterator_traitsISH_E10value_typeET2_T3_PNSI_ISN_E10value_typeET4_T5_PSS_ST_PNS1_23onesweep_lookback_stateEbbT6_jjT7_P12ihipStream_tbENKUlT_T0_SH_SM_E_clISB_SB_SC_SC_EEDaS10_S11_SH_SM_EUlS10_E_NS1_11comp_targetILNS1_3genE4ELNS1_11target_archE910ELNS1_3gpuE8ELNS1_3repE0EEENS1_47radix_sort_onesweep_sort_config_static_selectorELNS0_4arch9wavefront6targetE0EEEvSH_ ; -- Begin function _ZN7rocprim17ROCPRIM_400000_NS6detail17trampoline_kernelINS0_14default_configENS1_35radix_sort_onesweep_config_selectorI12hip_bfloat16NS0_10empty_typeEEEZZNS1_29radix_sort_onesweep_iterationIS3_Lb1EPKS5_PS5_PS6_SC_mNS0_19identity_decomposerENS1_16block_id_wrapperIjLb0EEEEE10hipError_tT1_PNSt15iterator_traitsISH_E10value_typeET2_T3_PNSI_ISN_E10value_typeET4_T5_PSS_ST_PNS1_23onesweep_lookback_stateEbbT6_jjT7_P12ihipStream_tbENKUlT_T0_SH_SM_E_clISB_SB_SC_SC_EEDaS10_S11_SH_SM_EUlS10_E_NS1_11comp_targetILNS1_3genE4ELNS1_11target_archE910ELNS1_3gpuE8ELNS1_3repE0EEENS1_47radix_sort_onesweep_sort_config_static_selectorELNS0_4arch9wavefront6targetE0EEEvSH_
	.globl	_ZN7rocprim17ROCPRIM_400000_NS6detail17trampoline_kernelINS0_14default_configENS1_35radix_sort_onesweep_config_selectorI12hip_bfloat16NS0_10empty_typeEEEZZNS1_29radix_sort_onesweep_iterationIS3_Lb1EPKS5_PS5_PS6_SC_mNS0_19identity_decomposerENS1_16block_id_wrapperIjLb0EEEEE10hipError_tT1_PNSt15iterator_traitsISH_E10value_typeET2_T3_PNSI_ISN_E10value_typeET4_T5_PSS_ST_PNS1_23onesweep_lookback_stateEbbT6_jjT7_P12ihipStream_tbENKUlT_T0_SH_SM_E_clISB_SB_SC_SC_EEDaS10_S11_SH_SM_EUlS10_E_NS1_11comp_targetILNS1_3genE4ELNS1_11target_archE910ELNS1_3gpuE8ELNS1_3repE0EEENS1_47radix_sort_onesweep_sort_config_static_selectorELNS0_4arch9wavefront6targetE0EEEvSH_
	.p2align	8
	.type	_ZN7rocprim17ROCPRIM_400000_NS6detail17trampoline_kernelINS0_14default_configENS1_35radix_sort_onesweep_config_selectorI12hip_bfloat16NS0_10empty_typeEEEZZNS1_29radix_sort_onesweep_iterationIS3_Lb1EPKS5_PS5_PS6_SC_mNS0_19identity_decomposerENS1_16block_id_wrapperIjLb0EEEEE10hipError_tT1_PNSt15iterator_traitsISH_E10value_typeET2_T3_PNSI_ISN_E10value_typeET4_T5_PSS_ST_PNS1_23onesweep_lookback_stateEbbT6_jjT7_P12ihipStream_tbENKUlT_T0_SH_SM_E_clISB_SB_SC_SC_EEDaS10_S11_SH_SM_EUlS10_E_NS1_11comp_targetILNS1_3genE4ELNS1_11target_archE910ELNS1_3gpuE8ELNS1_3repE0EEENS1_47radix_sort_onesweep_sort_config_static_selectorELNS0_4arch9wavefront6targetE0EEEvSH_,@function
_ZN7rocprim17ROCPRIM_400000_NS6detail17trampoline_kernelINS0_14default_configENS1_35radix_sort_onesweep_config_selectorI12hip_bfloat16NS0_10empty_typeEEEZZNS1_29radix_sort_onesweep_iterationIS3_Lb1EPKS5_PS5_PS6_SC_mNS0_19identity_decomposerENS1_16block_id_wrapperIjLb0EEEEE10hipError_tT1_PNSt15iterator_traitsISH_E10value_typeET2_T3_PNSI_ISN_E10value_typeET4_T5_PSS_ST_PNS1_23onesweep_lookback_stateEbbT6_jjT7_P12ihipStream_tbENKUlT_T0_SH_SM_E_clISB_SB_SC_SC_EEDaS10_S11_SH_SM_EUlS10_E_NS1_11comp_targetILNS1_3genE4ELNS1_11target_archE910ELNS1_3gpuE8ELNS1_3repE0EEENS1_47radix_sort_onesweep_sort_config_static_selectorELNS0_4arch9wavefront6targetE0EEEvSH_: ; @_ZN7rocprim17ROCPRIM_400000_NS6detail17trampoline_kernelINS0_14default_configENS1_35radix_sort_onesweep_config_selectorI12hip_bfloat16NS0_10empty_typeEEEZZNS1_29radix_sort_onesweep_iterationIS3_Lb1EPKS5_PS5_PS6_SC_mNS0_19identity_decomposerENS1_16block_id_wrapperIjLb0EEEEE10hipError_tT1_PNSt15iterator_traitsISH_E10value_typeET2_T3_PNSI_ISN_E10value_typeET4_T5_PSS_ST_PNS1_23onesweep_lookback_stateEbbT6_jjT7_P12ihipStream_tbENKUlT_T0_SH_SM_E_clISB_SB_SC_SC_EEDaS10_S11_SH_SM_EUlS10_E_NS1_11comp_targetILNS1_3genE4ELNS1_11target_archE910ELNS1_3gpuE8ELNS1_3repE0EEENS1_47radix_sort_onesweep_sort_config_static_selectorELNS0_4arch9wavefront6targetE0EEEvSH_
; %bb.0:
	.section	.rodata,"a",@progbits
	.p2align	6, 0x0
	.amdhsa_kernel _ZN7rocprim17ROCPRIM_400000_NS6detail17trampoline_kernelINS0_14default_configENS1_35radix_sort_onesweep_config_selectorI12hip_bfloat16NS0_10empty_typeEEEZZNS1_29radix_sort_onesweep_iterationIS3_Lb1EPKS5_PS5_PS6_SC_mNS0_19identity_decomposerENS1_16block_id_wrapperIjLb0EEEEE10hipError_tT1_PNSt15iterator_traitsISH_E10value_typeET2_T3_PNSI_ISN_E10value_typeET4_T5_PSS_ST_PNS1_23onesweep_lookback_stateEbbT6_jjT7_P12ihipStream_tbENKUlT_T0_SH_SM_E_clISB_SB_SC_SC_EEDaS10_S11_SH_SM_EUlS10_E_NS1_11comp_targetILNS1_3genE4ELNS1_11target_archE910ELNS1_3gpuE8ELNS1_3repE0EEENS1_47radix_sort_onesweep_sort_config_static_selectorELNS0_4arch9wavefront6targetE0EEEvSH_
		.amdhsa_group_segment_fixed_size 0
		.amdhsa_private_segment_fixed_size 0
		.amdhsa_kernarg_size 88
		.amdhsa_user_sgpr_count 2
		.amdhsa_user_sgpr_dispatch_ptr 0
		.amdhsa_user_sgpr_queue_ptr 0
		.amdhsa_user_sgpr_kernarg_segment_ptr 1
		.amdhsa_user_sgpr_dispatch_id 0
		.amdhsa_user_sgpr_kernarg_preload_length 0
		.amdhsa_user_sgpr_kernarg_preload_offset 0
		.amdhsa_user_sgpr_private_segment_size 0
		.amdhsa_wavefront_size32 1
		.amdhsa_uses_dynamic_stack 0
		.amdhsa_enable_private_segment 0
		.amdhsa_system_sgpr_workgroup_id_x 1
		.amdhsa_system_sgpr_workgroup_id_y 0
		.amdhsa_system_sgpr_workgroup_id_z 0
		.amdhsa_system_sgpr_workgroup_info 0
		.amdhsa_system_vgpr_workitem_id 0
		.amdhsa_next_free_vgpr 1
		.amdhsa_next_free_sgpr 1
		.amdhsa_named_barrier_count 0
		.amdhsa_reserve_vcc 0
		.amdhsa_float_round_mode_32 0
		.amdhsa_float_round_mode_16_64 0
		.amdhsa_float_denorm_mode_32 3
		.amdhsa_float_denorm_mode_16_64 3
		.amdhsa_fp16_overflow 0
		.amdhsa_memory_ordered 1
		.amdhsa_forward_progress 1
		.amdhsa_inst_pref_size 0
		.amdhsa_round_robin_scheduling 0
		.amdhsa_exception_fp_ieee_invalid_op 0
		.amdhsa_exception_fp_denorm_src 0
		.amdhsa_exception_fp_ieee_div_zero 0
		.amdhsa_exception_fp_ieee_overflow 0
		.amdhsa_exception_fp_ieee_underflow 0
		.amdhsa_exception_fp_ieee_inexact 0
		.amdhsa_exception_int_div_zero 0
	.end_amdhsa_kernel
	.section	.text._ZN7rocprim17ROCPRIM_400000_NS6detail17trampoline_kernelINS0_14default_configENS1_35radix_sort_onesweep_config_selectorI12hip_bfloat16NS0_10empty_typeEEEZZNS1_29radix_sort_onesweep_iterationIS3_Lb1EPKS5_PS5_PS6_SC_mNS0_19identity_decomposerENS1_16block_id_wrapperIjLb0EEEEE10hipError_tT1_PNSt15iterator_traitsISH_E10value_typeET2_T3_PNSI_ISN_E10value_typeET4_T5_PSS_ST_PNS1_23onesweep_lookback_stateEbbT6_jjT7_P12ihipStream_tbENKUlT_T0_SH_SM_E_clISB_SB_SC_SC_EEDaS10_S11_SH_SM_EUlS10_E_NS1_11comp_targetILNS1_3genE4ELNS1_11target_archE910ELNS1_3gpuE8ELNS1_3repE0EEENS1_47radix_sort_onesweep_sort_config_static_selectorELNS0_4arch9wavefront6targetE0EEEvSH_,"axG",@progbits,_ZN7rocprim17ROCPRIM_400000_NS6detail17trampoline_kernelINS0_14default_configENS1_35radix_sort_onesweep_config_selectorI12hip_bfloat16NS0_10empty_typeEEEZZNS1_29radix_sort_onesweep_iterationIS3_Lb1EPKS5_PS5_PS6_SC_mNS0_19identity_decomposerENS1_16block_id_wrapperIjLb0EEEEE10hipError_tT1_PNSt15iterator_traitsISH_E10value_typeET2_T3_PNSI_ISN_E10value_typeET4_T5_PSS_ST_PNS1_23onesweep_lookback_stateEbbT6_jjT7_P12ihipStream_tbENKUlT_T0_SH_SM_E_clISB_SB_SC_SC_EEDaS10_S11_SH_SM_EUlS10_E_NS1_11comp_targetILNS1_3genE4ELNS1_11target_archE910ELNS1_3gpuE8ELNS1_3repE0EEENS1_47radix_sort_onesweep_sort_config_static_selectorELNS0_4arch9wavefront6targetE0EEEvSH_,comdat
.Lfunc_end1995:
	.size	_ZN7rocprim17ROCPRIM_400000_NS6detail17trampoline_kernelINS0_14default_configENS1_35radix_sort_onesweep_config_selectorI12hip_bfloat16NS0_10empty_typeEEEZZNS1_29radix_sort_onesweep_iterationIS3_Lb1EPKS5_PS5_PS6_SC_mNS0_19identity_decomposerENS1_16block_id_wrapperIjLb0EEEEE10hipError_tT1_PNSt15iterator_traitsISH_E10value_typeET2_T3_PNSI_ISN_E10value_typeET4_T5_PSS_ST_PNS1_23onesweep_lookback_stateEbbT6_jjT7_P12ihipStream_tbENKUlT_T0_SH_SM_E_clISB_SB_SC_SC_EEDaS10_S11_SH_SM_EUlS10_E_NS1_11comp_targetILNS1_3genE4ELNS1_11target_archE910ELNS1_3gpuE8ELNS1_3repE0EEENS1_47radix_sort_onesweep_sort_config_static_selectorELNS0_4arch9wavefront6targetE0EEEvSH_, .Lfunc_end1995-_ZN7rocprim17ROCPRIM_400000_NS6detail17trampoline_kernelINS0_14default_configENS1_35radix_sort_onesweep_config_selectorI12hip_bfloat16NS0_10empty_typeEEEZZNS1_29radix_sort_onesweep_iterationIS3_Lb1EPKS5_PS5_PS6_SC_mNS0_19identity_decomposerENS1_16block_id_wrapperIjLb0EEEEE10hipError_tT1_PNSt15iterator_traitsISH_E10value_typeET2_T3_PNSI_ISN_E10value_typeET4_T5_PSS_ST_PNS1_23onesweep_lookback_stateEbbT6_jjT7_P12ihipStream_tbENKUlT_T0_SH_SM_E_clISB_SB_SC_SC_EEDaS10_S11_SH_SM_EUlS10_E_NS1_11comp_targetILNS1_3genE4ELNS1_11target_archE910ELNS1_3gpuE8ELNS1_3repE0EEENS1_47radix_sort_onesweep_sort_config_static_selectorELNS0_4arch9wavefront6targetE0EEEvSH_
                                        ; -- End function
	.set _ZN7rocprim17ROCPRIM_400000_NS6detail17trampoline_kernelINS0_14default_configENS1_35radix_sort_onesweep_config_selectorI12hip_bfloat16NS0_10empty_typeEEEZZNS1_29radix_sort_onesweep_iterationIS3_Lb1EPKS5_PS5_PS6_SC_mNS0_19identity_decomposerENS1_16block_id_wrapperIjLb0EEEEE10hipError_tT1_PNSt15iterator_traitsISH_E10value_typeET2_T3_PNSI_ISN_E10value_typeET4_T5_PSS_ST_PNS1_23onesweep_lookback_stateEbbT6_jjT7_P12ihipStream_tbENKUlT_T0_SH_SM_E_clISB_SB_SC_SC_EEDaS10_S11_SH_SM_EUlS10_E_NS1_11comp_targetILNS1_3genE4ELNS1_11target_archE910ELNS1_3gpuE8ELNS1_3repE0EEENS1_47radix_sort_onesweep_sort_config_static_selectorELNS0_4arch9wavefront6targetE0EEEvSH_.num_vgpr, 0
	.set _ZN7rocprim17ROCPRIM_400000_NS6detail17trampoline_kernelINS0_14default_configENS1_35radix_sort_onesweep_config_selectorI12hip_bfloat16NS0_10empty_typeEEEZZNS1_29radix_sort_onesweep_iterationIS3_Lb1EPKS5_PS5_PS6_SC_mNS0_19identity_decomposerENS1_16block_id_wrapperIjLb0EEEEE10hipError_tT1_PNSt15iterator_traitsISH_E10value_typeET2_T3_PNSI_ISN_E10value_typeET4_T5_PSS_ST_PNS1_23onesweep_lookback_stateEbbT6_jjT7_P12ihipStream_tbENKUlT_T0_SH_SM_E_clISB_SB_SC_SC_EEDaS10_S11_SH_SM_EUlS10_E_NS1_11comp_targetILNS1_3genE4ELNS1_11target_archE910ELNS1_3gpuE8ELNS1_3repE0EEENS1_47radix_sort_onesweep_sort_config_static_selectorELNS0_4arch9wavefront6targetE0EEEvSH_.num_agpr, 0
	.set _ZN7rocprim17ROCPRIM_400000_NS6detail17trampoline_kernelINS0_14default_configENS1_35radix_sort_onesweep_config_selectorI12hip_bfloat16NS0_10empty_typeEEEZZNS1_29radix_sort_onesweep_iterationIS3_Lb1EPKS5_PS5_PS6_SC_mNS0_19identity_decomposerENS1_16block_id_wrapperIjLb0EEEEE10hipError_tT1_PNSt15iterator_traitsISH_E10value_typeET2_T3_PNSI_ISN_E10value_typeET4_T5_PSS_ST_PNS1_23onesweep_lookback_stateEbbT6_jjT7_P12ihipStream_tbENKUlT_T0_SH_SM_E_clISB_SB_SC_SC_EEDaS10_S11_SH_SM_EUlS10_E_NS1_11comp_targetILNS1_3genE4ELNS1_11target_archE910ELNS1_3gpuE8ELNS1_3repE0EEENS1_47radix_sort_onesweep_sort_config_static_selectorELNS0_4arch9wavefront6targetE0EEEvSH_.numbered_sgpr, 0
	.set _ZN7rocprim17ROCPRIM_400000_NS6detail17trampoline_kernelINS0_14default_configENS1_35radix_sort_onesweep_config_selectorI12hip_bfloat16NS0_10empty_typeEEEZZNS1_29radix_sort_onesweep_iterationIS3_Lb1EPKS5_PS5_PS6_SC_mNS0_19identity_decomposerENS1_16block_id_wrapperIjLb0EEEEE10hipError_tT1_PNSt15iterator_traitsISH_E10value_typeET2_T3_PNSI_ISN_E10value_typeET4_T5_PSS_ST_PNS1_23onesweep_lookback_stateEbbT6_jjT7_P12ihipStream_tbENKUlT_T0_SH_SM_E_clISB_SB_SC_SC_EEDaS10_S11_SH_SM_EUlS10_E_NS1_11comp_targetILNS1_3genE4ELNS1_11target_archE910ELNS1_3gpuE8ELNS1_3repE0EEENS1_47radix_sort_onesweep_sort_config_static_selectorELNS0_4arch9wavefront6targetE0EEEvSH_.num_named_barrier, 0
	.set _ZN7rocprim17ROCPRIM_400000_NS6detail17trampoline_kernelINS0_14default_configENS1_35radix_sort_onesweep_config_selectorI12hip_bfloat16NS0_10empty_typeEEEZZNS1_29radix_sort_onesweep_iterationIS3_Lb1EPKS5_PS5_PS6_SC_mNS0_19identity_decomposerENS1_16block_id_wrapperIjLb0EEEEE10hipError_tT1_PNSt15iterator_traitsISH_E10value_typeET2_T3_PNSI_ISN_E10value_typeET4_T5_PSS_ST_PNS1_23onesweep_lookback_stateEbbT6_jjT7_P12ihipStream_tbENKUlT_T0_SH_SM_E_clISB_SB_SC_SC_EEDaS10_S11_SH_SM_EUlS10_E_NS1_11comp_targetILNS1_3genE4ELNS1_11target_archE910ELNS1_3gpuE8ELNS1_3repE0EEENS1_47radix_sort_onesweep_sort_config_static_selectorELNS0_4arch9wavefront6targetE0EEEvSH_.private_seg_size, 0
	.set _ZN7rocprim17ROCPRIM_400000_NS6detail17trampoline_kernelINS0_14default_configENS1_35radix_sort_onesweep_config_selectorI12hip_bfloat16NS0_10empty_typeEEEZZNS1_29radix_sort_onesweep_iterationIS3_Lb1EPKS5_PS5_PS6_SC_mNS0_19identity_decomposerENS1_16block_id_wrapperIjLb0EEEEE10hipError_tT1_PNSt15iterator_traitsISH_E10value_typeET2_T3_PNSI_ISN_E10value_typeET4_T5_PSS_ST_PNS1_23onesweep_lookback_stateEbbT6_jjT7_P12ihipStream_tbENKUlT_T0_SH_SM_E_clISB_SB_SC_SC_EEDaS10_S11_SH_SM_EUlS10_E_NS1_11comp_targetILNS1_3genE4ELNS1_11target_archE910ELNS1_3gpuE8ELNS1_3repE0EEENS1_47radix_sort_onesweep_sort_config_static_selectorELNS0_4arch9wavefront6targetE0EEEvSH_.uses_vcc, 0
	.set _ZN7rocprim17ROCPRIM_400000_NS6detail17trampoline_kernelINS0_14default_configENS1_35radix_sort_onesweep_config_selectorI12hip_bfloat16NS0_10empty_typeEEEZZNS1_29radix_sort_onesweep_iterationIS3_Lb1EPKS5_PS5_PS6_SC_mNS0_19identity_decomposerENS1_16block_id_wrapperIjLb0EEEEE10hipError_tT1_PNSt15iterator_traitsISH_E10value_typeET2_T3_PNSI_ISN_E10value_typeET4_T5_PSS_ST_PNS1_23onesweep_lookback_stateEbbT6_jjT7_P12ihipStream_tbENKUlT_T0_SH_SM_E_clISB_SB_SC_SC_EEDaS10_S11_SH_SM_EUlS10_E_NS1_11comp_targetILNS1_3genE4ELNS1_11target_archE910ELNS1_3gpuE8ELNS1_3repE0EEENS1_47radix_sort_onesweep_sort_config_static_selectorELNS0_4arch9wavefront6targetE0EEEvSH_.uses_flat_scratch, 0
	.set _ZN7rocprim17ROCPRIM_400000_NS6detail17trampoline_kernelINS0_14default_configENS1_35radix_sort_onesweep_config_selectorI12hip_bfloat16NS0_10empty_typeEEEZZNS1_29radix_sort_onesweep_iterationIS3_Lb1EPKS5_PS5_PS6_SC_mNS0_19identity_decomposerENS1_16block_id_wrapperIjLb0EEEEE10hipError_tT1_PNSt15iterator_traitsISH_E10value_typeET2_T3_PNSI_ISN_E10value_typeET4_T5_PSS_ST_PNS1_23onesweep_lookback_stateEbbT6_jjT7_P12ihipStream_tbENKUlT_T0_SH_SM_E_clISB_SB_SC_SC_EEDaS10_S11_SH_SM_EUlS10_E_NS1_11comp_targetILNS1_3genE4ELNS1_11target_archE910ELNS1_3gpuE8ELNS1_3repE0EEENS1_47radix_sort_onesweep_sort_config_static_selectorELNS0_4arch9wavefront6targetE0EEEvSH_.has_dyn_sized_stack, 0
	.set _ZN7rocprim17ROCPRIM_400000_NS6detail17trampoline_kernelINS0_14default_configENS1_35radix_sort_onesweep_config_selectorI12hip_bfloat16NS0_10empty_typeEEEZZNS1_29radix_sort_onesweep_iterationIS3_Lb1EPKS5_PS5_PS6_SC_mNS0_19identity_decomposerENS1_16block_id_wrapperIjLb0EEEEE10hipError_tT1_PNSt15iterator_traitsISH_E10value_typeET2_T3_PNSI_ISN_E10value_typeET4_T5_PSS_ST_PNS1_23onesweep_lookback_stateEbbT6_jjT7_P12ihipStream_tbENKUlT_T0_SH_SM_E_clISB_SB_SC_SC_EEDaS10_S11_SH_SM_EUlS10_E_NS1_11comp_targetILNS1_3genE4ELNS1_11target_archE910ELNS1_3gpuE8ELNS1_3repE0EEENS1_47radix_sort_onesweep_sort_config_static_selectorELNS0_4arch9wavefront6targetE0EEEvSH_.has_recursion, 0
	.set _ZN7rocprim17ROCPRIM_400000_NS6detail17trampoline_kernelINS0_14default_configENS1_35radix_sort_onesweep_config_selectorI12hip_bfloat16NS0_10empty_typeEEEZZNS1_29radix_sort_onesweep_iterationIS3_Lb1EPKS5_PS5_PS6_SC_mNS0_19identity_decomposerENS1_16block_id_wrapperIjLb0EEEEE10hipError_tT1_PNSt15iterator_traitsISH_E10value_typeET2_T3_PNSI_ISN_E10value_typeET4_T5_PSS_ST_PNS1_23onesweep_lookback_stateEbbT6_jjT7_P12ihipStream_tbENKUlT_T0_SH_SM_E_clISB_SB_SC_SC_EEDaS10_S11_SH_SM_EUlS10_E_NS1_11comp_targetILNS1_3genE4ELNS1_11target_archE910ELNS1_3gpuE8ELNS1_3repE0EEENS1_47radix_sort_onesweep_sort_config_static_selectorELNS0_4arch9wavefront6targetE0EEEvSH_.has_indirect_call, 0
	.section	.AMDGPU.csdata,"",@progbits
; Kernel info:
; codeLenInByte = 0
; TotalNumSgprs: 0
; NumVgprs: 0
; ScratchSize: 0
; MemoryBound: 0
; FloatMode: 240
; IeeeMode: 1
; LDSByteSize: 0 bytes/workgroup (compile time only)
; SGPRBlocks: 0
; VGPRBlocks: 0
; NumSGPRsForWavesPerEU: 1
; NumVGPRsForWavesPerEU: 1
; NamedBarCnt: 0
; Occupancy: 16
; WaveLimiterHint : 0
; COMPUTE_PGM_RSRC2:SCRATCH_EN: 0
; COMPUTE_PGM_RSRC2:USER_SGPR: 2
; COMPUTE_PGM_RSRC2:TRAP_HANDLER: 0
; COMPUTE_PGM_RSRC2:TGID_X_EN: 1
; COMPUTE_PGM_RSRC2:TGID_Y_EN: 0
; COMPUTE_PGM_RSRC2:TGID_Z_EN: 0
; COMPUTE_PGM_RSRC2:TIDIG_COMP_CNT: 0
	.section	.text._ZN7rocprim17ROCPRIM_400000_NS6detail17trampoline_kernelINS0_14default_configENS1_35radix_sort_onesweep_config_selectorI12hip_bfloat16NS0_10empty_typeEEEZZNS1_29radix_sort_onesweep_iterationIS3_Lb1EPKS5_PS5_PS6_SC_mNS0_19identity_decomposerENS1_16block_id_wrapperIjLb0EEEEE10hipError_tT1_PNSt15iterator_traitsISH_E10value_typeET2_T3_PNSI_ISN_E10value_typeET4_T5_PSS_ST_PNS1_23onesweep_lookback_stateEbbT6_jjT7_P12ihipStream_tbENKUlT_T0_SH_SM_E_clISB_SB_SC_SC_EEDaS10_S11_SH_SM_EUlS10_E_NS1_11comp_targetILNS1_3genE3ELNS1_11target_archE908ELNS1_3gpuE7ELNS1_3repE0EEENS1_47radix_sort_onesweep_sort_config_static_selectorELNS0_4arch9wavefront6targetE0EEEvSH_,"axG",@progbits,_ZN7rocprim17ROCPRIM_400000_NS6detail17trampoline_kernelINS0_14default_configENS1_35radix_sort_onesweep_config_selectorI12hip_bfloat16NS0_10empty_typeEEEZZNS1_29radix_sort_onesweep_iterationIS3_Lb1EPKS5_PS5_PS6_SC_mNS0_19identity_decomposerENS1_16block_id_wrapperIjLb0EEEEE10hipError_tT1_PNSt15iterator_traitsISH_E10value_typeET2_T3_PNSI_ISN_E10value_typeET4_T5_PSS_ST_PNS1_23onesweep_lookback_stateEbbT6_jjT7_P12ihipStream_tbENKUlT_T0_SH_SM_E_clISB_SB_SC_SC_EEDaS10_S11_SH_SM_EUlS10_E_NS1_11comp_targetILNS1_3genE3ELNS1_11target_archE908ELNS1_3gpuE7ELNS1_3repE0EEENS1_47radix_sort_onesweep_sort_config_static_selectorELNS0_4arch9wavefront6targetE0EEEvSH_,comdat
	.protected	_ZN7rocprim17ROCPRIM_400000_NS6detail17trampoline_kernelINS0_14default_configENS1_35radix_sort_onesweep_config_selectorI12hip_bfloat16NS0_10empty_typeEEEZZNS1_29radix_sort_onesweep_iterationIS3_Lb1EPKS5_PS5_PS6_SC_mNS0_19identity_decomposerENS1_16block_id_wrapperIjLb0EEEEE10hipError_tT1_PNSt15iterator_traitsISH_E10value_typeET2_T3_PNSI_ISN_E10value_typeET4_T5_PSS_ST_PNS1_23onesweep_lookback_stateEbbT6_jjT7_P12ihipStream_tbENKUlT_T0_SH_SM_E_clISB_SB_SC_SC_EEDaS10_S11_SH_SM_EUlS10_E_NS1_11comp_targetILNS1_3genE3ELNS1_11target_archE908ELNS1_3gpuE7ELNS1_3repE0EEENS1_47radix_sort_onesweep_sort_config_static_selectorELNS0_4arch9wavefront6targetE0EEEvSH_ ; -- Begin function _ZN7rocprim17ROCPRIM_400000_NS6detail17trampoline_kernelINS0_14default_configENS1_35radix_sort_onesweep_config_selectorI12hip_bfloat16NS0_10empty_typeEEEZZNS1_29radix_sort_onesweep_iterationIS3_Lb1EPKS5_PS5_PS6_SC_mNS0_19identity_decomposerENS1_16block_id_wrapperIjLb0EEEEE10hipError_tT1_PNSt15iterator_traitsISH_E10value_typeET2_T3_PNSI_ISN_E10value_typeET4_T5_PSS_ST_PNS1_23onesweep_lookback_stateEbbT6_jjT7_P12ihipStream_tbENKUlT_T0_SH_SM_E_clISB_SB_SC_SC_EEDaS10_S11_SH_SM_EUlS10_E_NS1_11comp_targetILNS1_3genE3ELNS1_11target_archE908ELNS1_3gpuE7ELNS1_3repE0EEENS1_47radix_sort_onesweep_sort_config_static_selectorELNS0_4arch9wavefront6targetE0EEEvSH_
	.globl	_ZN7rocprim17ROCPRIM_400000_NS6detail17trampoline_kernelINS0_14default_configENS1_35radix_sort_onesweep_config_selectorI12hip_bfloat16NS0_10empty_typeEEEZZNS1_29radix_sort_onesweep_iterationIS3_Lb1EPKS5_PS5_PS6_SC_mNS0_19identity_decomposerENS1_16block_id_wrapperIjLb0EEEEE10hipError_tT1_PNSt15iterator_traitsISH_E10value_typeET2_T3_PNSI_ISN_E10value_typeET4_T5_PSS_ST_PNS1_23onesweep_lookback_stateEbbT6_jjT7_P12ihipStream_tbENKUlT_T0_SH_SM_E_clISB_SB_SC_SC_EEDaS10_S11_SH_SM_EUlS10_E_NS1_11comp_targetILNS1_3genE3ELNS1_11target_archE908ELNS1_3gpuE7ELNS1_3repE0EEENS1_47radix_sort_onesweep_sort_config_static_selectorELNS0_4arch9wavefront6targetE0EEEvSH_
	.p2align	8
	.type	_ZN7rocprim17ROCPRIM_400000_NS6detail17trampoline_kernelINS0_14default_configENS1_35radix_sort_onesweep_config_selectorI12hip_bfloat16NS0_10empty_typeEEEZZNS1_29radix_sort_onesweep_iterationIS3_Lb1EPKS5_PS5_PS6_SC_mNS0_19identity_decomposerENS1_16block_id_wrapperIjLb0EEEEE10hipError_tT1_PNSt15iterator_traitsISH_E10value_typeET2_T3_PNSI_ISN_E10value_typeET4_T5_PSS_ST_PNS1_23onesweep_lookback_stateEbbT6_jjT7_P12ihipStream_tbENKUlT_T0_SH_SM_E_clISB_SB_SC_SC_EEDaS10_S11_SH_SM_EUlS10_E_NS1_11comp_targetILNS1_3genE3ELNS1_11target_archE908ELNS1_3gpuE7ELNS1_3repE0EEENS1_47radix_sort_onesweep_sort_config_static_selectorELNS0_4arch9wavefront6targetE0EEEvSH_,@function
_ZN7rocprim17ROCPRIM_400000_NS6detail17trampoline_kernelINS0_14default_configENS1_35radix_sort_onesweep_config_selectorI12hip_bfloat16NS0_10empty_typeEEEZZNS1_29radix_sort_onesweep_iterationIS3_Lb1EPKS5_PS5_PS6_SC_mNS0_19identity_decomposerENS1_16block_id_wrapperIjLb0EEEEE10hipError_tT1_PNSt15iterator_traitsISH_E10value_typeET2_T3_PNSI_ISN_E10value_typeET4_T5_PSS_ST_PNS1_23onesweep_lookback_stateEbbT6_jjT7_P12ihipStream_tbENKUlT_T0_SH_SM_E_clISB_SB_SC_SC_EEDaS10_S11_SH_SM_EUlS10_E_NS1_11comp_targetILNS1_3genE3ELNS1_11target_archE908ELNS1_3gpuE7ELNS1_3repE0EEENS1_47radix_sort_onesweep_sort_config_static_selectorELNS0_4arch9wavefront6targetE0EEEvSH_: ; @_ZN7rocprim17ROCPRIM_400000_NS6detail17trampoline_kernelINS0_14default_configENS1_35radix_sort_onesweep_config_selectorI12hip_bfloat16NS0_10empty_typeEEEZZNS1_29radix_sort_onesweep_iterationIS3_Lb1EPKS5_PS5_PS6_SC_mNS0_19identity_decomposerENS1_16block_id_wrapperIjLb0EEEEE10hipError_tT1_PNSt15iterator_traitsISH_E10value_typeET2_T3_PNSI_ISN_E10value_typeET4_T5_PSS_ST_PNS1_23onesweep_lookback_stateEbbT6_jjT7_P12ihipStream_tbENKUlT_T0_SH_SM_E_clISB_SB_SC_SC_EEDaS10_S11_SH_SM_EUlS10_E_NS1_11comp_targetILNS1_3genE3ELNS1_11target_archE908ELNS1_3gpuE7ELNS1_3repE0EEENS1_47radix_sort_onesweep_sort_config_static_selectorELNS0_4arch9wavefront6targetE0EEEvSH_
; %bb.0:
	.section	.rodata,"a",@progbits
	.p2align	6, 0x0
	.amdhsa_kernel _ZN7rocprim17ROCPRIM_400000_NS6detail17trampoline_kernelINS0_14default_configENS1_35radix_sort_onesweep_config_selectorI12hip_bfloat16NS0_10empty_typeEEEZZNS1_29radix_sort_onesweep_iterationIS3_Lb1EPKS5_PS5_PS6_SC_mNS0_19identity_decomposerENS1_16block_id_wrapperIjLb0EEEEE10hipError_tT1_PNSt15iterator_traitsISH_E10value_typeET2_T3_PNSI_ISN_E10value_typeET4_T5_PSS_ST_PNS1_23onesweep_lookback_stateEbbT6_jjT7_P12ihipStream_tbENKUlT_T0_SH_SM_E_clISB_SB_SC_SC_EEDaS10_S11_SH_SM_EUlS10_E_NS1_11comp_targetILNS1_3genE3ELNS1_11target_archE908ELNS1_3gpuE7ELNS1_3repE0EEENS1_47radix_sort_onesweep_sort_config_static_selectorELNS0_4arch9wavefront6targetE0EEEvSH_
		.amdhsa_group_segment_fixed_size 0
		.amdhsa_private_segment_fixed_size 0
		.amdhsa_kernarg_size 88
		.amdhsa_user_sgpr_count 2
		.amdhsa_user_sgpr_dispatch_ptr 0
		.amdhsa_user_sgpr_queue_ptr 0
		.amdhsa_user_sgpr_kernarg_segment_ptr 1
		.amdhsa_user_sgpr_dispatch_id 0
		.amdhsa_user_sgpr_kernarg_preload_length 0
		.amdhsa_user_sgpr_kernarg_preload_offset 0
		.amdhsa_user_sgpr_private_segment_size 0
		.amdhsa_wavefront_size32 1
		.amdhsa_uses_dynamic_stack 0
		.amdhsa_enable_private_segment 0
		.amdhsa_system_sgpr_workgroup_id_x 1
		.amdhsa_system_sgpr_workgroup_id_y 0
		.amdhsa_system_sgpr_workgroup_id_z 0
		.amdhsa_system_sgpr_workgroup_info 0
		.amdhsa_system_vgpr_workitem_id 0
		.amdhsa_next_free_vgpr 1
		.amdhsa_next_free_sgpr 1
		.amdhsa_named_barrier_count 0
		.amdhsa_reserve_vcc 0
		.amdhsa_float_round_mode_32 0
		.amdhsa_float_round_mode_16_64 0
		.amdhsa_float_denorm_mode_32 3
		.amdhsa_float_denorm_mode_16_64 3
		.amdhsa_fp16_overflow 0
		.amdhsa_memory_ordered 1
		.amdhsa_forward_progress 1
		.amdhsa_inst_pref_size 0
		.amdhsa_round_robin_scheduling 0
		.amdhsa_exception_fp_ieee_invalid_op 0
		.amdhsa_exception_fp_denorm_src 0
		.amdhsa_exception_fp_ieee_div_zero 0
		.amdhsa_exception_fp_ieee_overflow 0
		.amdhsa_exception_fp_ieee_underflow 0
		.amdhsa_exception_fp_ieee_inexact 0
		.amdhsa_exception_int_div_zero 0
	.end_amdhsa_kernel
	.section	.text._ZN7rocprim17ROCPRIM_400000_NS6detail17trampoline_kernelINS0_14default_configENS1_35radix_sort_onesweep_config_selectorI12hip_bfloat16NS0_10empty_typeEEEZZNS1_29radix_sort_onesweep_iterationIS3_Lb1EPKS5_PS5_PS6_SC_mNS0_19identity_decomposerENS1_16block_id_wrapperIjLb0EEEEE10hipError_tT1_PNSt15iterator_traitsISH_E10value_typeET2_T3_PNSI_ISN_E10value_typeET4_T5_PSS_ST_PNS1_23onesweep_lookback_stateEbbT6_jjT7_P12ihipStream_tbENKUlT_T0_SH_SM_E_clISB_SB_SC_SC_EEDaS10_S11_SH_SM_EUlS10_E_NS1_11comp_targetILNS1_3genE3ELNS1_11target_archE908ELNS1_3gpuE7ELNS1_3repE0EEENS1_47radix_sort_onesweep_sort_config_static_selectorELNS0_4arch9wavefront6targetE0EEEvSH_,"axG",@progbits,_ZN7rocprim17ROCPRIM_400000_NS6detail17trampoline_kernelINS0_14default_configENS1_35radix_sort_onesweep_config_selectorI12hip_bfloat16NS0_10empty_typeEEEZZNS1_29radix_sort_onesweep_iterationIS3_Lb1EPKS5_PS5_PS6_SC_mNS0_19identity_decomposerENS1_16block_id_wrapperIjLb0EEEEE10hipError_tT1_PNSt15iterator_traitsISH_E10value_typeET2_T3_PNSI_ISN_E10value_typeET4_T5_PSS_ST_PNS1_23onesweep_lookback_stateEbbT6_jjT7_P12ihipStream_tbENKUlT_T0_SH_SM_E_clISB_SB_SC_SC_EEDaS10_S11_SH_SM_EUlS10_E_NS1_11comp_targetILNS1_3genE3ELNS1_11target_archE908ELNS1_3gpuE7ELNS1_3repE0EEENS1_47radix_sort_onesweep_sort_config_static_selectorELNS0_4arch9wavefront6targetE0EEEvSH_,comdat
.Lfunc_end1996:
	.size	_ZN7rocprim17ROCPRIM_400000_NS6detail17trampoline_kernelINS0_14default_configENS1_35radix_sort_onesweep_config_selectorI12hip_bfloat16NS0_10empty_typeEEEZZNS1_29radix_sort_onesweep_iterationIS3_Lb1EPKS5_PS5_PS6_SC_mNS0_19identity_decomposerENS1_16block_id_wrapperIjLb0EEEEE10hipError_tT1_PNSt15iterator_traitsISH_E10value_typeET2_T3_PNSI_ISN_E10value_typeET4_T5_PSS_ST_PNS1_23onesweep_lookback_stateEbbT6_jjT7_P12ihipStream_tbENKUlT_T0_SH_SM_E_clISB_SB_SC_SC_EEDaS10_S11_SH_SM_EUlS10_E_NS1_11comp_targetILNS1_3genE3ELNS1_11target_archE908ELNS1_3gpuE7ELNS1_3repE0EEENS1_47radix_sort_onesweep_sort_config_static_selectorELNS0_4arch9wavefront6targetE0EEEvSH_, .Lfunc_end1996-_ZN7rocprim17ROCPRIM_400000_NS6detail17trampoline_kernelINS0_14default_configENS1_35radix_sort_onesweep_config_selectorI12hip_bfloat16NS0_10empty_typeEEEZZNS1_29radix_sort_onesweep_iterationIS3_Lb1EPKS5_PS5_PS6_SC_mNS0_19identity_decomposerENS1_16block_id_wrapperIjLb0EEEEE10hipError_tT1_PNSt15iterator_traitsISH_E10value_typeET2_T3_PNSI_ISN_E10value_typeET4_T5_PSS_ST_PNS1_23onesweep_lookback_stateEbbT6_jjT7_P12ihipStream_tbENKUlT_T0_SH_SM_E_clISB_SB_SC_SC_EEDaS10_S11_SH_SM_EUlS10_E_NS1_11comp_targetILNS1_3genE3ELNS1_11target_archE908ELNS1_3gpuE7ELNS1_3repE0EEENS1_47radix_sort_onesweep_sort_config_static_selectorELNS0_4arch9wavefront6targetE0EEEvSH_
                                        ; -- End function
	.set _ZN7rocprim17ROCPRIM_400000_NS6detail17trampoline_kernelINS0_14default_configENS1_35radix_sort_onesweep_config_selectorI12hip_bfloat16NS0_10empty_typeEEEZZNS1_29radix_sort_onesweep_iterationIS3_Lb1EPKS5_PS5_PS6_SC_mNS0_19identity_decomposerENS1_16block_id_wrapperIjLb0EEEEE10hipError_tT1_PNSt15iterator_traitsISH_E10value_typeET2_T3_PNSI_ISN_E10value_typeET4_T5_PSS_ST_PNS1_23onesweep_lookback_stateEbbT6_jjT7_P12ihipStream_tbENKUlT_T0_SH_SM_E_clISB_SB_SC_SC_EEDaS10_S11_SH_SM_EUlS10_E_NS1_11comp_targetILNS1_3genE3ELNS1_11target_archE908ELNS1_3gpuE7ELNS1_3repE0EEENS1_47radix_sort_onesweep_sort_config_static_selectorELNS0_4arch9wavefront6targetE0EEEvSH_.num_vgpr, 0
	.set _ZN7rocprim17ROCPRIM_400000_NS6detail17trampoline_kernelINS0_14default_configENS1_35radix_sort_onesweep_config_selectorI12hip_bfloat16NS0_10empty_typeEEEZZNS1_29radix_sort_onesweep_iterationIS3_Lb1EPKS5_PS5_PS6_SC_mNS0_19identity_decomposerENS1_16block_id_wrapperIjLb0EEEEE10hipError_tT1_PNSt15iterator_traitsISH_E10value_typeET2_T3_PNSI_ISN_E10value_typeET4_T5_PSS_ST_PNS1_23onesweep_lookback_stateEbbT6_jjT7_P12ihipStream_tbENKUlT_T0_SH_SM_E_clISB_SB_SC_SC_EEDaS10_S11_SH_SM_EUlS10_E_NS1_11comp_targetILNS1_3genE3ELNS1_11target_archE908ELNS1_3gpuE7ELNS1_3repE0EEENS1_47radix_sort_onesweep_sort_config_static_selectorELNS0_4arch9wavefront6targetE0EEEvSH_.num_agpr, 0
	.set _ZN7rocprim17ROCPRIM_400000_NS6detail17trampoline_kernelINS0_14default_configENS1_35radix_sort_onesweep_config_selectorI12hip_bfloat16NS0_10empty_typeEEEZZNS1_29radix_sort_onesweep_iterationIS3_Lb1EPKS5_PS5_PS6_SC_mNS0_19identity_decomposerENS1_16block_id_wrapperIjLb0EEEEE10hipError_tT1_PNSt15iterator_traitsISH_E10value_typeET2_T3_PNSI_ISN_E10value_typeET4_T5_PSS_ST_PNS1_23onesweep_lookback_stateEbbT6_jjT7_P12ihipStream_tbENKUlT_T0_SH_SM_E_clISB_SB_SC_SC_EEDaS10_S11_SH_SM_EUlS10_E_NS1_11comp_targetILNS1_3genE3ELNS1_11target_archE908ELNS1_3gpuE7ELNS1_3repE0EEENS1_47radix_sort_onesweep_sort_config_static_selectorELNS0_4arch9wavefront6targetE0EEEvSH_.numbered_sgpr, 0
	.set _ZN7rocprim17ROCPRIM_400000_NS6detail17trampoline_kernelINS0_14default_configENS1_35radix_sort_onesweep_config_selectorI12hip_bfloat16NS0_10empty_typeEEEZZNS1_29radix_sort_onesweep_iterationIS3_Lb1EPKS5_PS5_PS6_SC_mNS0_19identity_decomposerENS1_16block_id_wrapperIjLb0EEEEE10hipError_tT1_PNSt15iterator_traitsISH_E10value_typeET2_T3_PNSI_ISN_E10value_typeET4_T5_PSS_ST_PNS1_23onesweep_lookback_stateEbbT6_jjT7_P12ihipStream_tbENKUlT_T0_SH_SM_E_clISB_SB_SC_SC_EEDaS10_S11_SH_SM_EUlS10_E_NS1_11comp_targetILNS1_3genE3ELNS1_11target_archE908ELNS1_3gpuE7ELNS1_3repE0EEENS1_47radix_sort_onesweep_sort_config_static_selectorELNS0_4arch9wavefront6targetE0EEEvSH_.num_named_barrier, 0
	.set _ZN7rocprim17ROCPRIM_400000_NS6detail17trampoline_kernelINS0_14default_configENS1_35radix_sort_onesweep_config_selectorI12hip_bfloat16NS0_10empty_typeEEEZZNS1_29radix_sort_onesweep_iterationIS3_Lb1EPKS5_PS5_PS6_SC_mNS0_19identity_decomposerENS1_16block_id_wrapperIjLb0EEEEE10hipError_tT1_PNSt15iterator_traitsISH_E10value_typeET2_T3_PNSI_ISN_E10value_typeET4_T5_PSS_ST_PNS1_23onesweep_lookback_stateEbbT6_jjT7_P12ihipStream_tbENKUlT_T0_SH_SM_E_clISB_SB_SC_SC_EEDaS10_S11_SH_SM_EUlS10_E_NS1_11comp_targetILNS1_3genE3ELNS1_11target_archE908ELNS1_3gpuE7ELNS1_3repE0EEENS1_47radix_sort_onesweep_sort_config_static_selectorELNS0_4arch9wavefront6targetE0EEEvSH_.private_seg_size, 0
	.set _ZN7rocprim17ROCPRIM_400000_NS6detail17trampoline_kernelINS0_14default_configENS1_35radix_sort_onesweep_config_selectorI12hip_bfloat16NS0_10empty_typeEEEZZNS1_29radix_sort_onesweep_iterationIS3_Lb1EPKS5_PS5_PS6_SC_mNS0_19identity_decomposerENS1_16block_id_wrapperIjLb0EEEEE10hipError_tT1_PNSt15iterator_traitsISH_E10value_typeET2_T3_PNSI_ISN_E10value_typeET4_T5_PSS_ST_PNS1_23onesweep_lookback_stateEbbT6_jjT7_P12ihipStream_tbENKUlT_T0_SH_SM_E_clISB_SB_SC_SC_EEDaS10_S11_SH_SM_EUlS10_E_NS1_11comp_targetILNS1_3genE3ELNS1_11target_archE908ELNS1_3gpuE7ELNS1_3repE0EEENS1_47radix_sort_onesweep_sort_config_static_selectorELNS0_4arch9wavefront6targetE0EEEvSH_.uses_vcc, 0
	.set _ZN7rocprim17ROCPRIM_400000_NS6detail17trampoline_kernelINS0_14default_configENS1_35radix_sort_onesweep_config_selectorI12hip_bfloat16NS0_10empty_typeEEEZZNS1_29radix_sort_onesweep_iterationIS3_Lb1EPKS5_PS5_PS6_SC_mNS0_19identity_decomposerENS1_16block_id_wrapperIjLb0EEEEE10hipError_tT1_PNSt15iterator_traitsISH_E10value_typeET2_T3_PNSI_ISN_E10value_typeET4_T5_PSS_ST_PNS1_23onesweep_lookback_stateEbbT6_jjT7_P12ihipStream_tbENKUlT_T0_SH_SM_E_clISB_SB_SC_SC_EEDaS10_S11_SH_SM_EUlS10_E_NS1_11comp_targetILNS1_3genE3ELNS1_11target_archE908ELNS1_3gpuE7ELNS1_3repE0EEENS1_47radix_sort_onesweep_sort_config_static_selectorELNS0_4arch9wavefront6targetE0EEEvSH_.uses_flat_scratch, 0
	.set _ZN7rocprim17ROCPRIM_400000_NS6detail17trampoline_kernelINS0_14default_configENS1_35radix_sort_onesweep_config_selectorI12hip_bfloat16NS0_10empty_typeEEEZZNS1_29radix_sort_onesweep_iterationIS3_Lb1EPKS5_PS5_PS6_SC_mNS0_19identity_decomposerENS1_16block_id_wrapperIjLb0EEEEE10hipError_tT1_PNSt15iterator_traitsISH_E10value_typeET2_T3_PNSI_ISN_E10value_typeET4_T5_PSS_ST_PNS1_23onesweep_lookback_stateEbbT6_jjT7_P12ihipStream_tbENKUlT_T0_SH_SM_E_clISB_SB_SC_SC_EEDaS10_S11_SH_SM_EUlS10_E_NS1_11comp_targetILNS1_3genE3ELNS1_11target_archE908ELNS1_3gpuE7ELNS1_3repE0EEENS1_47radix_sort_onesweep_sort_config_static_selectorELNS0_4arch9wavefront6targetE0EEEvSH_.has_dyn_sized_stack, 0
	.set _ZN7rocprim17ROCPRIM_400000_NS6detail17trampoline_kernelINS0_14default_configENS1_35radix_sort_onesweep_config_selectorI12hip_bfloat16NS0_10empty_typeEEEZZNS1_29radix_sort_onesweep_iterationIS3_Lb1EPKS5_PS5_PS6_SC_mNS0_19identity_decomposerENS1_16block_id_wrapperIjLb0EEEEE10hipError_tT1_PNSt15iterator_traitsISH_E10value_typeET2_T3_PNSI_ISN_E10value_typeET4_T5_PSS_ST_PNS1_23onesweep_lookback_stateEbbT6_jjT7_P12ihipStream_tbENKUlT_T0_SH_SM_E_clISB_SB_SC_SC_EEDaS10_S11_SH_SM_EUlS10_E_NS1_11comp_targetILNS1_3genE3ELNS1_11target_archE908ELNS1_3gpuE7ELNS1_3repE0EEENS1_47radix_sort_onesweep_sort_config_static_selectorELNS0_4arch9wavefront6targetE0EEEvSH_.has_recursion, 0
	.set _ZN7rocprim17ROCPRIM_400000_NS6detail17trampoline_kernelINS0_14default_configENS1_35radix_sort_onesweep_config_selectorI12hip_bfloat16NS0_10empty_typeEEEZZNS1_29radix_sort_onesweep_iterationIS3_Lb1EPKS5_PS5_PS6_SC_mNS0_19identity_decomposerENS1_16block_id_wrapperIjLb0EEEEE10hipError_tT1_PNSt15iterator_traitsISH_E10value_typeET2_T3_PNSI_ISN_E10value_typeET4_T5_PSS_ST_PNS1_23onesweep_lookback_stateEbbT6_jjT7_P12ihipStream_tbENKUlT_T0_SH_SM_E_clISB_SB_SC_SC_EEDaS10_S11_SH_SM_EUlS10_E_NS1_11comp_targetILNS1_3genE3ELNS1_11target_archE908ELNS1_3gpuE7ELNS1_3repE0EEENS1_47radix_sort_onesweep_sort_config_static_selectorELNS0_4arch9wavefront6targetE0EEEvSH_.has_indirect_call, 0
	.section	.AMDGPU.csdata,"",@progbits
; Kernel info:
; codeLenInByte = 0
; TotalNumSgprs: 0
; NumVgprs: 0
; ScratchSize: 0
; MemoryBound: 0
; FloatMode: 240
; IeeeMode: 1
; LDSByteSize: 0 bytes/workgroup (compile time only)
; SGPRBlocks: 0
; VGPRBlocks: 0
; NumSGPRsForWavesPerEU: 1
; NumVGPRsForWavesPerEU: 1
; NamedBarCnt: 0
; Occupancy: 16
; WaveLimiterHint : 0
; COMPUTE_PGM_RSRC2:SCRATCH_EN: 0
; COMPUTE_PGM_RSRC2:USER_SGPR: 2
; COMPUTE_PGM_RSRC2:TRAP_HANDLER: 0
; COMPUTE_PGM_RSRC2:TGID_X_EN: 1
; COMPUTE_PGM_RSRC2:TGID_Y_EN: 0
; COMPUTE_PGM_RSRC2:TGID_Z_EN: 0
; COMPUTE_PGM_RSRC2:TIDIG_COMP_CNT: 0
	.section	.text._ZN7rocprim17ROCPRIM_400000_NS6detail17trampoline_kernelINS0_14default_configENS1_35radix_sort_onesweep_config_selectorI12hip_bfloat16NS0_10empty_typeEEEZZNS1_29radix_sort_onesweep_iterationIS3_Lb1EPKS5_PS5_PS6_SC_mNS0_19identity_decomposerENS1_16block_id_wrapperIjLb0EEEEE10hipError_tT1_PNSt15iterator_traitsISH_E10value_typeET2_T3_PNSI_ISN_E10value_typeET4_T5_PSS_ST_PNS1_23onesweep_lookback_stateEbbT6_jjT7_P12ihipStream_tbENKUlT_T0_SH_SM_E_clISB_SB_SC_SC_EEDaS10_S11_SH_SM_EUlS10_E_NS1_11comp_targetILNS1_3genE10ELNS1_11target_archE1201ELNS1_3gpuE5ELNS1_3repE0EEENS1_47radix_sort_onesweep_sort_config_static_selectorELNS0_4arch9wavefront6targetE0EEEvSH_,"axG",@progbits,_ZN7rocprim17ROCPRIM_400000_NS6detail17trampoline_kernelINS0_14default_configENS1_35radix_sort_onesweep_config_selectorI12hip_bfloat16NS0_10empty_typeEEEZZNS1_29radix_sort_onesweep_iterationIS3_Lb1EPKS5_PS5_PS6_SC_mNS0_19identity_decomposerENS1_16block_id_wrapperIjLb0EEEEE10hipError_tT1_PNSt15iterator_traitsISH_E10value_typeET2_T3_PNSI_ISN_E10value_typeET4_T5_PSS_ST_PNS1_23onesweep_lookback_stateEbbT6_jjT7_P12ihipStream_tbENKUlT_T0_SH_SM_E_clISB_SB_SC_SC_EEDaS10_S11_SH_SM_EUlS10_E_NS1_11comp_targetILNS1_3genE10ELNS1_11target_archE1201ELNS1_3gpuE5ELNS1_3repE0EEENS1_47radix_sort_onesweep_sort_config_static_selectorELNS0_4arch9wavefront6targetE0EEEvSH_,comdat
	.protected	_ZN7rocprim17ROCPRIM_400000_NS6detail17trampoline_kernelINS0_14default_configENS1_35radix_sort_onesweep_config_selectorI12hip_bfloat16NS0_10empty_typeEEEZZNS1_29radix_sort_onesweep_iterationIS3_Lb1EPKS5_PS5_PS6_SC_mNS0_19identity_decomposerENS1_16block_id_wrapperIjLb0EEEEE10hipError_tT1_PNSt15iterator_traitsISH_E10value_typeET2_T3_PNSI_ISN_E10value_typeET4_T5_PSS_ST_PNS1_23onesweep_lookback_stateEbbT6_jjT7_P12ihipStream_tbENKUlT_T0_SH_SM_E_clISB_SB_SC_SC_EEDaS10_S11_SH_SM_EUlS10_E_NS1_11comp_targetILNS1_3genE10ELNS1_11target_archE1201ELNS1_3gpuE5ELNS1_3repE0EEENS1_47radix_sort_onesweep_sort_config_static_selectorELNS0_4arch9wavefront6targetE0EEEvSH_ ; -- Begin function _ZN7rocprim17ROCPRIM_400000_NS6detail17trampoline_kernelINS0_14default_configENS1_35radix_sort_onesweep_config_selectorI12hip_bfloat16NS0_10empty_typeEEEZZNS1_29radix_sort_onesweep_iterationIS3_Lb1EPKS5_PS5_PS6_SC_mNS0_19identity_decomposerENS1_16block_id_wrapperIjLb0EEEEE10hipError_tT1_PNSt15iterator_traitsISH_E10value_typeET2_T3_PNSI_ISN_E10value_typeET4_T5_PSS_ST_PNS1_23onesweep_lookback_stateEbbT6_jjT7_P12ihipStream_tbENKUlT_T0_SH_SM_E_clISB_SB_SC_SC_EEDaS10_S11_SH_SM_EUlS10_E_NS1_11comp_targetILNS1_3genE10ELNS1_11target_archE1201ELNS1_3gpuE5ELNS1_3repE0EEENS1_47radix_sort_onesweep_sort_config_static_selectorELNS0_4arch9wavefront6targetE0EEEvSH_
	.globl	_ZN7rocprim17ROCPRIM_400000_NS6detail17trampoline_kernelINS0_14default_configENS1_35radix_sort_onesweep_config_selectorI12hip_bfloat16NS0_10empty_typeEEEZZNS1_29radix_sort_onesweep_iterationIS3_Lb1EPKS5_PS5_PS6_SC_mNS0_19identity_decomposerENS1_16block_id_wrapperIjLb0EEEEE10hipError_tT1_PNSt15iterator_traitsISH_E10value_typeET2_T3_PNSI_ISN_E10value_typeET4_T5_PSS_ST_PNS1_23onesweep_lookback_stateEbbT6_jjT7_P12ihipStream_tbENKUlT_T0_SH_SM_E_clISB_SB_SC_SC_EEDaS10_S11_SH_SM_EUlS10_E_NS1_11comp_targetILNS1_3genE10ELNS1_11target_archE1201ELNS1_3gpuE5ELNS1_3repE0EEENS1_47radix_sort_onesweep_sort_config_static_selectorELNS0_4arch9wavefront6targetE0EEEvSH_
	.p2align	8
	.type	_ZN7rocprim17ROCPRIM_400000_NS6detail17trampoline_kernelINS0_14default_configENS1_35radix_sort_onesweep_config_selectorI12hip_bfloat16NS0_10empty_typeEEEZZNS1_29radix_sort_onesweep_iterationIS3_Lb1EPKS5_PS5_PS6_SC_mNS0_19identity_decomposerENS1_16block_id_wrapperIjLb0EEEEE10hipError_tT1_PNSt15iterator_traitsISH_E10value_typeET2_T3_PNSI_ISN_E10value_typeET4_T5_PSS_ST_PNS1_23onesweep_lookback_stateEbbT6_jjT7_P12ihipStream_tbENKUlT_T0_SH_SM_E_clISB_SB_SC_SC_EEDaS10_S11_SH_SM_EUlS10_E_NS1_11comp_targetILNS1_3genE10ELNS1_11target_archE1201ELNS1_3gpuE5ELNS1_3repE0EEENS1_47radix_sort_onesweep_sort_config_static_selectorELNS0_4arch9wavefront6targetE0EEEvSH_,@function
_ZN7rocprim17ROCPRIM_400000_NS6detail17trampoline_kernelINS0_14default_configENS1_35radix_sort_onesweep_config_selectorI12hip_bfloat16NS0_10empty_typeEEEZZNS1_29radix_sort_onesweep_iterationIS3_Lb1EPKS5_PS5_PS6_SC_mNS0_19identity_decomposerENS1_16block_id_wrapperIjLb0EEEEE10hipError_tT1_PNSt15iterator_traitsISH_E10value_typeET2_T3_PNSI_ISN_E10value_typeET4_T5_PSS_ST_PNS1_23onesweep_lookback_stateEbbT6_jjT7_P12ihipStream_tbENKUlT_T0_SH_SM_E_clISB_SB_SC_SC_EEDaS10_S11_SH_SM_EUlS10_E_NS1_11comp_targetILNS1_3genE10ELNS1_11target_archE1201ELNS1_3gpuE5ELNS1_3repE0EEENS1_47radix_sort_onesweep_sort_config_static_selectorELNS0_4arch9wavefront6targetE0EEEvSH_: ; @_ZN7rocprim17ROCPRIM_400000_NS6detail17trampoline_kernelINS0_14default_configENS1_35radix_sort_onesweep_config_selectorI12hip_bfloat16NS0_10empty_typeEEEZZNS1_29radix_sort_onesweep_iterationIS3_Lb1EPKS5_PS5_PS6_SC_mNS0_19identity_decomposerENS1_16block_id_wrapperIjLb0EEEEE10hipError_tT1_PNSt15iterator_traitsISH_E10value_typeET2_T3_PNSI_ISN_E10value_typeET4_T5_PSS_ST_PNS1_23onesweep_lookback_stateEbbT6_jjT7_P12ihipStream_tbENKUlT_T0_SH_SM_E_clISB_SB_SC_SC_EEDaS10_S11_SH_SM_EUlS10_E_NS1_11comp_targetILNS1_3genE10ELNS1_11target_archE1201ELNS1_3gpuE5ELNS1_3repE0EEENS1_47radix_sort_onesweep_sort_config_static_selectorELNS0_4arch9wavefront6targetE0EEEvSH_
; %bb.0:
	.section	.rodata,"a",@progbits
	.p2align	6, 0x0
	.amdhsa_kernel _ZN7rocprim17ROCPRIM_400000_NS6detail17trampoline_kernelINS0_14default_configENS1_35radix_sort_onesweep_config_selectorI12hip_bfloat16NS0_10empty_typeEEEZZNS1_29radix_sort_onesweep_iterationIS3_Lb1EPKS5_PS5_PS6_SC_mNS0_19identity_decomposerENS1_16block_id_wrapperIjLb0EEEEE10hipError_tT1_PNSt15iterator_traitsISH_E10value_typeET2_T3_PNSI_ISN_E10value_typeET4_T5_PSS_ST_PNS1_23onesweep_lookback_stateEbbT6_jjT7_P12ihipStream_tbENKUlT_T0_SH_SM_E_clISB_SB_SC_SC_EEDaS10_S11_SH_SM_EUlS10_E_NS1_11comp_targetILNS1_3genE10ELNS1_11target_archE1201ELNS1_3gpuE5ELNS1_3repE0EEENS1_47radix_sort_onesweep_sort_config_static_selectorELNS0_4arch9wavefront6targetE0EEEvSH_
		.amdhsa_group_segment_fixed_size 0
		.amdhsa_private_segment_fixed_size 0
		.amdhsa_kernarg_size 88
		.amdhsa_user_sgpr_count 2
		.amdhsa_user_sgpr_dispatch_ptr 0
		.amdhsa_user_sgpr_queue_ptr 0
		.amdhsa_user_sgpr_kernarg_segment_ptr 1
		.amdhsa_user_sgpr_dispatch_id 0
		.amdhsa_user_sgpr_kernarg_preload_length 0
		.amdhsa_user_sgpr_kernarg_preload_offset 0
		.amdhsa_user_sgpr_private_segment_size 0
		.amdhsa_wavefront_size32 1
		.amdhsa_uses_dynamic_stack 0
		.amdhsa_enable_private_segment 0
		.amdhsa_system_sgpr_workgroup_id_x 1
		.amdhsa_system_sgpr_workgroup_id_y 0
		.amdhsa_system_sgpr_workgroup_id_z 0
		.amdhsa_system_sgpr_workgroup_info 0
		.amdhsa_system_vgpr_workitem_id 0
		.amdhsa_next_free_vgpr 1
		.amdhsa_next_free_sgpr 1
		.amdhsa_named_barrier_count 0
		.amdhsa_reserve_vcc 0
		.amdhsa_float_round_mode_32 0
		.amdhsa_float_round_mode_16_64 0
		.amdhsa_float_denorm_mode_32 3
		.amdhsa_float_denorm_mode_16_64 3
		.amdhsa_fp16_overflow 0
		.amdhsa_memory_ordered 1
		.amdhsa_forward_progress 1
		.amdhsa_inst_pref_size 0
		.amdhsa_round_robin_scheduling 0
		.amdhsa_exception_fp_ieee_invalid_op 0
		.amdhsa_exception_fp_denorm_src 0
		.amdhsa_exception_fp_ieee_div_zero 0
		.amdhsa_exception_fp_ieee_overflow 0
		.amdhsa_exception_fp_ieee_underflow 0
		.amdhsa_exception_fp_ieee_inexact 0
		.amdhsa_exception_int_div_zero 0
	.end_amdhsa_kernel
	.section	.text._ZN7rocprim17ROCPRIM_400000_NS6detail17trampoline_kernelINS0_14default_configENS1_35radix_sort_onesweep_config_selectorI12hip_bfloat16NS0_10empty_typeEEEZZNS1_29radix_sort_onesweep_iterationIS3_Lb1EPKS5_PS5_PS6_SC_mNS0_19identity_decomposerENS1_16block_id_wrapperIjLb0EEEEE10hipError_tT1_PNSt15iterator_traitsISH_E10value_typeET2_T3_PNSI_ISN_E10value_typeET4_T5_PSS_ST_PNS1_23onesweep_lookback_stateEbbT6_jjT7_P12ihipStream_tbENKUlT_T0_SH_SM_E_clISB_SB_SC_SC_EEDaS10_S11_SH_SM_EUlS10_E_NS1_11comp_targetILNS1_3genE10ELNS1_11target_archE1201ELNS1_3gpuE5ELNS1_3repE0EEENS1_47radix_sort_onesweep_sort_config_static_selectorELNS0_4arch9wavefront6targetE0EEEvSH_,"axG",@progbits,_ZN7rocprim17ROCPRIM_400000_NS6detail17trampoline_kernelINS0_14default_configENS1_35radix_sort_onesweep_config_selectorI12hip_bfloat16NS0_10empty_typeEEEZZNS1_29radix_sort_onesweep_iterationIS3_Lb1EPKS5_PS5_PS6_SC_mNS0_19identity_decomposerENS1_16block_id_wrapperIjLb0EEEEE10hipError_tT1_PNSt15iterator_traitsISH_E10value_typeET2_T3_PNSI_ISN_E10value_typeET4_T5_PSS_ST_PNS1_23onesweep_lookback_stateEbbT6_jjT7_P12ihipStream_tbENKUlT_T0_SH_SM_E_clISB_SB_SC_SC_EEDaS10_S11_SH_SM_EUlS10_E_NS1_11comp_targetILNS1_3genE10ELNS1_11target_archE1201ELNS1_3gpuE5ELNS1_3repE0EEENS1_47radix_sort_onesweep_sort_config_static_selectorELNS0_4arch9wavefront6targetE0EEEvSH_,comdat
.Lfunc_end1997:
	.size	_ZN7rocprim17ROCPRIM_400000_NS6detail17trampoline_kernelINS0_14default_configENS1_35radix_sort_onesweep_config_selectorI12hip_bfloat16NS0_10empty_typeEEEZZNS1_29radix_sort_onesweep_iterationIS3_Lb1EPKS5_PS5_PS6_SC_mNS0_19identity_decomposerENS1_16block_id_wrapperIjLb0EEEEE10hipError_tT1_PNSt15iterator_traitsISH_E10value_typeET2_T3_PNSI_ISN_E10value_typeET4_T5_PSS_ST_PNS1_23onesweep_lookback_stateEbbT6_jjT7_P12ihipStream_tbENKUlT_T0_SH_SM_E_clISB_SB_SC_SC_EEDaS10_S11_SH_SM_EUlS10_E_NS1_11comp_targetILNS1_3genE10ELNS1_11target_archE1201ELNS1_3gpuE5ELNS1_3repE0EEENS1_47radix_sort_onesweep_sort_config_static_selectorELNS0_4arch9wavefront6targetE0EEEvSH_, .Lfunc_end1997-_ZN7rocprim17ROCPRIM_400000_NS6detail17trampoline_kernelINS0_14default_configENS1_35radix_sort_onesweep_config_selectorI12hip_bfloat16NS0_10empty_typeEEEZZNS1_29radix_sort_onesweep_iterationIS3_Lb1EPKS5_PS5_PS6_SC_mNS0_19identity_decomposerENS1_16block_id_wrapperIjLb0EEEEE10hipError_tT1_PNSt15iterator_traitsISH_E10value_typeET2_T3_PNSI_ISN_E10value_typeET4_T5_PSS_ST_PNS1_23onesweep_lookback_stateEbbT6_jjT7_P12ihipStream_tbENKUlT_T0_SH_SM_E_clISB_SB_SC_SC_EEDaS10_S11_SH_SM_EUlS10_E_NS1_11comp_targetILNS1_3genE10ELNS1_11target_archE1201ELNS1_3gpuE5ELNS1_3repE0EEENS1_47radix_sort_onesweep_sort_config_static_selectorELNS0_4arch9wavefront6targetE0EEEvSH_
                                        ; -- End function
	.set _ZN7rocprim17ROCPRIM_400000_NS6detail17trampoline_kernelINS0_14default_configENS1_35radix_sort_onesweep_config_selectorI12hip_bfloat16NS0_10empty_typeEEEZZNS1_29radix_sort_onesweep_iterationIS3_Lb1EPKS5_PS5_PS6_SC_mNS0_19identity_decomposerENS1_16block_id_wrapperIjLb0EEEEE10hipError_tT1_PNSt15iterator_traitsISH_E10value_typeET2_T3_PNSI_ISN_E10value_typeET4_T5_PSS_ST_PNS1_23onesweep_lookback_stateEbbT6_jjT7_P12ihipStream_tbENKUlT_T0_SH_SM_E_clISB_SB_SC_SC_EEDaS10_S11_SH_SM_EUlS10_E_NS1_11comp_targetILNS1_3genE10ELNS1_11target_archE1201ELNS1_3gpuE5ELNS1_3repE0EEENS1_47radix_sort_onesweep_sort_config_static_selectorELNS0_4arch9wavefront6targetE0EEEvSH_.num_vgpr, 0
	.set _ZN7rocprim17ROCPRIM_400000_NS6detail17trampoline_kernelINS0_14default_configENS1_35radix_sort_onesweep_config_selectorI12hip_bfloat16NS0_10empty_typeEEEZZNS1_29radix_sort_onesweep_iterationIS3_Lb1EPKS5_PS5_PS6_SC_mNS0_19identity_decomposerENS1_16block_id_wrapperIjLb0EEEEE10hipError_tT1_PNSt15iterator_traitsISH_E10value_typeET2_T3_PNSI_ISN_E10value_typeET4_T5_PSS_ST_PNS1_23onesweep_lookback_stateEbbT6_jjT7_P12ihipStream_tbENKUlT_T0_SH_SM_E_clISB_SB_SC_SC_EEDaS10_S11_SH_SM_EUlS10_E_NS1_11comp_targetILNS1_3genE10ELNS1_11target_archE1201ELNS1_3gpuE5ELNS1_3repE0EEENS1_47radix_sort_onesweep_sort_config_static_selectorELNS0_4arch9wavefront6targetE0EEEvSH_.num_agpr, 0
	.set _ZN7rocprim17ROCPRIM_400000_NS6detail17trampoline_kernelINS0_14default_configENS1_35radix_sort_onesweep_config_selectorI12hip_bfloat16NS0_10empty_typeEEEZZNS1_29radix_sort_onesweep_iterationIS3_Lb1EPKS5_PS5_PS6_SC_mNS0_19identity_decomposerENS1_16block_id_wrapperIjLb0EEEEE10hipError_tT1_PNSt15iterator_traitsISH_E10value_typeET2_T3_PNSI_ISN_E10value_typeET4_T5_PSS_ST_PNS1_23onesweep_lookback_stateEbbT6_jjT7_P12ihipStream_tbENKUlT_T0_SH_SM_E_clISB_SB_SC_SC_EEDaS10_S11_SH_SM_EUlS10_E_NS1_11comp_targetILNS1_3genE10ELNS1_11target_archE1201ELNS1_3gpuE5ELNS1_3repE0EEENS1_47radix_sort_onesweep_sort_config_static_selectorELNS0_4arch9wavefront6targetE0EEEvSH_.numbered_sgpr, 0
	.set _ZN7rocprim17ROCPRIM_400000_NS6detail17trampoline_kernelINS0_14default_configENS1_35radix_sort_onesweep_config_selectorI12hip_bfloat16NS0_10empty_typeEEEZZNS1_29radix_sort_onesweep_iterationIS3_Lb1EPKS5_PS5_PS6_SC_mNS0_19identity_decomposerENS1_16block_id_wrapperIjLb0EEEEE10hipError_tT1_PNSt15iterator_traitsISH_E10value_typeET2_T3_PNSI_ISN_E10value_typeET4_T5_PSS_ST_PNS1_23onesweep_lookback_stateEbbT6_jjT7_P12ihipStream_tbENKUlT_T0_SH_SM_E_clISB_SB_SC_SC_EEDaS10_S11_SH_SM_EUlS10_E_NS1_11comp_targetILNS1_3genE10ELNS1_11target_archE1201ELNS1_3gpuE5ELNS1_3repE0EEENS1_47radix_sort_onesweep_sort_config_static_selectorELNS0_4arch9wavefront6targetE0EEEvSH_.num_named_barrier, 0
	.set _ZN7rocprim17ROCPRIM_400000_NS6detail17trampoline_kernelINS0_14default_configENS1_35radix_sort_onesweep_config_selectorI12hip_bfloat16NS0_10empty_typeEEEZZNS1_29radix_sort_onesweep_iterationIS3_Lb1EPKS5_PS5_PS6_SC_mNS0_19identity_decomposerENS1_16block_id_wrapperIjLb0EEEEE10hipError_tT1_PNSt15iterator_traitsISH_E10value_typeET2_T3_PNSI_ISN_E10value_typeET4_T5_PSS_ST_PNS1_23onesweep_lookback_stateEbbT6_jjT7_P12ihipStream_tbENKUlT_T0_SH_SM_E_clISB_SB_SC_SC_EEDaS10_S11_SH_SM_EUlS10_E_NS1_11comp_targetILNS1_3genE10ELNS1_11target_archE1201ELNS1_3gpuE5ELNS1_3repE0EEENS1_47radix_sort_onesweep_sort_config_static_selectorELNS0_4arch9wavefront6targetE0EEEvSH_.private_seg_size, 0
	.set _ZN7rocprim17ROCPRIM_400000_NS6detail17trampoline_kernelINS0_14default_configENS1_35radix_sort_onesweep_config_selectorI12hip_bfloat16NS0_10empty_typeEEEZZNS1_29radix_sort_onesweep_iterationIS3_Lb1EPKS5_PS5_PS6_SC_mNS0_19identity_decomposerENS1_16block_id_wrapperIjLb0EEEEE10hipError_tT1_PNSt15iterator_traitsISH_E10value_typeET2_T3_PNSI_ISN_E10value_typeET4_T5_PSS_ST_PNS1_23onesweep_lookback_stateEbbT6_jjT7_P12ihipStream_tbENKUlT_T0_SH_SM_E_clISB_SB_SC_SC_EEDaS10_S11_SH_SM_EUlS10_E_NS1_11comp_targetILNS1_3genE10ELNS1_11target_archE1201ELNS1_3gpuE5ELNS1_3repE0EEENS1_47radix_sort_onesweep_sort_config_static_selectorELNS0_4arch9wavefront6targetE0EEEvSH_.uses_vcc, 0
	.set _ZN7rocprim17ROCPRIM_400000_NS6detail17trampoline_kernelINS0_14default_configENS1_35radix_sort_onesweep_config_selectorI12hip_bfloat16NS0_10empty_typeEEEZZNS1_29radix_sort_onesweep_iterationIS3_Lb1EPKS5_PS5_PS6_SC_mNS0_19identity_decomposerENS1_16block_id_wrapperIjLb0EEEEE10hipError_tT1_PNSt15iterator_traitsISH_E10value_typeET2_T3_PNSI_ISN_E10value_typeET4_T5_PSS_ST_PNS1_23onesweep_lookback_stateEbbT6_jjT7_P12ihipStream_tbENKUlT_T0_SH_SM_E_clISB_SB_SC_SC_EEDaS10_S11_SH_SM_EUlS10_E_NS1_11comp_targetILNS1_3genE10ELNS1_11target_archE1201ELNS1_3gpuE5ELNS1_3repE0EEENS1_47radix_sort_onesweep_sort_config_static_selectorELNS0_4arch9wavefront6targetE0EEEvSH_.uses_flat_scratch, 0
	.set _ZN7rocprim17ROCPRIM_400000_NS6detail17trampoline_kernelINS0_14default_configENS1_35radix_sort_onesweep_config_selectorI12hip_bfloat16NS0_10empty_typeEEEZZNS1_29radix_sort_onesweep_iterationIS3_Lb1EPKS5_PS5_PS6_SC_mNS0_19identity_decomposerENS1_16block_id_wrapperIjLb0EEEEE10hipError_tT1_PNSt15iterator_traitsISH_E10value_typeET2_T3_PNSI_ISN_E10value_typeET4_T5_PSS_ST_PNS1_23onesweep_lookback_stateEbbT6_jjT7_P12ihipStream_tbENKUlT_T0_SH_SM_E_clISB_SB_SC_SC_EEDaS10_S11_SH_SM_EUlS10_E_NS1_11comp_targetILNS1_3genE10ELNS1_11target_archE1201ELNS1_3gpuE5ELNS1_3repE0EEENS1_47radix_sort_onesweep_sort_config_static_selectorELNS0_4arch9wavefront6targetE0EEEvSH_.has_dyn_sized_stack, 0
	.set _ZN7rocprim17ROCPRIM_400000_NS6detail17trampoline_kernelINS0_14default_configENS1_35radix_sort_onesweep_config_selectorI12hip_bfloat16NS0_10empty_typeEEEZZNS1_29radix_sort_onesweep_iterationIS3_Lb1EPKS5_PS5_PS6_SC_mNS0_19identity_decomposerENS1_16block_id_wrapperIjLb0EEEEE10hipError_tT1_PNSt15iterator_traitsISH_E10value_typeET2_T3_PNSI_ISN_E10value_typeET4_T5_PSS_ST_PNS1_23onesweep_lookback_stateEbbT6_jjT7_P12ihipStream_tbENKUlT_T0_SH_SM_E_clISB_SB_SC_SC_EEDaS10_S11_SH_SM_EUlS10_E_NS1_11comp_targetILNS1_3genE10ELNS1_11target_archE1201ELNS1_3gpuE5ELNS1_3repE0EEENS1_47radix_sort_onesweep_sort_config_static_selectorELNS0_4arch9wavefront6targetE0EEEvSH_.has_recursion, 0
	.set _ZN7rocprim17ROCPRIM_400000_NS6detail17trampoline_kernelINS0_14default_configENS1_35radix_sort_onesweep_config_selectorI12hip_bfloat16NS0_10empty_typeEEEZZNS1_29radix_sort_onesweep_iterationIS3_Lb1EPKS5_PS5_PS6_SC_mNS0_19identity_decomposerENS1_16block_id_wrapperIjLb0EEEEE10hipError_tT1_PNSt15iterator_traitsISH_E10value_typeET2_T3_PNSI_ISN_E10value_typeET4_T5_PSS_ST_PNS1_23onesweep_lookback_stateEbbT6_jjT7_P12ihipStream_tbENKUlT_T0_SH_SM_E_clISB_SB_SC_SC_EEDaS10_S11_SH_SM_EUlS10_E_NS1_11comp_targetILNS1_3genE10ELNS1_11target_archE1201ELNS1_3gpuE5ELNS1_3repE0EEENS1_47radix_sort_onesweep_sort_config_static_selectorELNS0_4arch9wavefront6targetE0EEEvSH_.has_indirect_call, 0
	.section	.AMDGPU.csdata,"",@progbits
; Kernel info:
; codeLenInByte = 0
; TotalNumSgprs: 0
; NumVgprs: 0
; ScratchSize: 0
; MemoryBound: 0
; FloatMode: 240
; IeeeMode: 1
; LDSByteSize: 0 bytes/workgroup (compile time only)
; SGPRBlocks: 0
; VGPRBlocks: 0
; NumSGPRsForWavesPerEU: 1
; NumVGPRsForWavesPerEU: 1
; NamedBarCnt: 0
; Occupancy: 16
; WaveLimiterHint : 0
; COMPUTE_PGM_RSRC2:SCRATCH_EN: 0
; COMPUTE_PGM_RSRC2:USER_SGPR: 2
; COMPUTE_PGM_RSRC2:TRAP_HANDLER: 0
; COMPUTE_PGM_RSRC2:TGID_X_EN: 1
; COMPUTE_PGM_RSRC2:TGID_Y_EN: 0
; COMPUTE_PGM_RSRC2:TGID_Z_EN: 0
; COMPUTE_PGM_RSRC2:TIDIG_COMP_CNT: 0
	.section	.text._ZN7rocprim17ROCPRIM_400000_NS6detail17trampoline_kernelINS0_14default_configENS1_35radix_sort_onesweep_config_selectorI12hip_bfloat16NS0_10empty_typeEEEZZNS1_29radix_sort_onesweep_iterationIS3_Lb1EPKS5_PS5_PS6_SC_mNS0_19identity_decomposerENS1_16block_id_wrapperIjLb0EEEEE10hipError_tT1_PNSt15iterator_traitsISH_E10value_typeET2_T3_PNSI_ISN_E10value_typeET4_T5_PSS_ST_PNS1_23onesweep_lookback_stateEbbT6_jjT7_P12ihipStream_tbENKUlT_T0_SH_SM_E_clISB_SB_SC_SC_EEDaS10_S11_SH_SM_EUlS10_E_NS1_11comp_targetILNS1_3genE9ELNS1_11target_archE1100ELNS1_3gpuE3ELNS1_3repE0EEENS1_47radix_sort_onesweep_sort_config_static_selectorELNS0_4arch9wavefront6targetE0EEEvSH_,"axG",@progbits,_ZN7rocprim17ROCPRIM_400000_NS6detail17trampoline_kernelINS0_14default_configENS1_35radix_sort_onesweep_config_selectorI12hip_bfloat16NS0_10empty_typeEEEZZNS1_29radix_sort_onesweep_iterationIS3_Lb1EPKS5_PS5_PS6_SC_mNS0_19identity_decomposerENS1_16block_id_wrapperIjLb0EEEEE10hipError_tT1_PNSt15iterator_traitsISH_E10value_typeET2_T3_PNSI_ISN_E10value_typeET4_T5_PSS_ST_PNS1_23onesweep_lookback_stateEbbT6_jjT7_P12ihipStream_tbENKUlT_T0_SH_SM_E_clISB_SB_SC_SC_EEDaS10_S11_SH_SM_EUlS10_E_NS1_11comp_targetILNS1_3genE9ELNS1_11target_archE1100ELNS1_3gpuE3ELNS1_3repE0EEENS1_47radix_sort_onesweep_sort_config_static_selectorELNS0_4arch9wavefront6targetE0EEEvSH_,comdat
	.protected	_ZN7rocprim17ROCPRIM_400000_NS6detail17trampoline_kernelINS0_14default_configENS1_35radix_sort_onesweep_config_selectorI12hip_bfloat16NS0_10empty_typeEEEZZNS1_29radix_sort_onesweep_iterationIS3_Lb1EPKS5_PS5_PS6_SC_mNS0_19identity_decomposerENS1_16block_id_wrapperIjLb0EEEEE10hipError_tT1_PNSt15iterator_traitsISH_E10value_typeET2_T3_PNSI_ISN_E10value_typeET4_T5_PSS_ST_PNS1_23onesweep_lookback_stateEbbT6_jjT7_P12ihipStream_tbENKUlT_T0_SH_SM_E_clISB_SB_SC_SC_EEDaS10_S11_SH_SM_EUlS10_E_NS1_11comp_targetILNS1_3genE9ELNS1_11target_archE1100ELNS1_3gpuE3ELNS1_3repE0EEENS1_47radix_sort_onesweep_sort_config_static_selectorELNS0_4arch9wavefront6targetE0EEEvSH_ ; -- Begin function _ZN7rocprim17ROCPRIM_400000_NS6detail17trampoline_kernelINS0_14default_configENS1_35radix_sort_onesweep_config_selectorI12hip_bfloat16NS0_10empty_typeEEEZZNS1_29radix_sort_onesweep_iterationIS3_Lb1EPKS5_PS5_PS6_SC_mNS0_19identity_decomposerENS1_16block_id_wrapperIjLb0EEEEE10hipError_tT1_PNSt15iterator_traitsISH_E10value_typeET2_T3_PNSI_ISN_E10value_typeET4_T5_PSS_ST_PNS1_23onesweep_lookback_stateEbbT6_jjT7_P12ihipStream_tbENKUlT_T0_SH_SM_E_clISB_SB_SC_SC_EEDaS10_S11_SH_SM_EUlS10_E_NS1_11comp_targetILNS1_3genE9ELNS1_11target_archE1100ELNS1_3gpuE3ELNS1_3repE0EEENS1_47radix_sort_onesweep_sort_config_static_selectorELNS0_4arch9wavefront6targetE0EEEvSH_
	.globl	_ZN7rocprim17ROCPRIM_400000_NS6detail17trampoline_kernelINS0_14default_configENS1_35radix_sort_onesweep_config_selectorI12hip_bfloat16NS0_10empty_typeEEEZZNS1_29radix_sort_onesweep_iterationIS3_Lb1EPKS5_PS5_PS6_SC_mNS0_19identity_decomposerENS1_16block_id_wrapperIjLb0EEEEE10hipError_tT1_PNSt15iterator_traitsISH_E10value_typeET2_T3_PNSI_ISN_E10value_typeET4_T5_PSS_ST_PNS1_23onesweep_lookback_stateEbbT6_jjT7_P12ihipStream_tbENKUlT_T0_SH_SM_E_clISB_SB_SC_SC_EEDaS10_S11_SH_SM_EUlS10_E_NS1_11comp_targetILNS1_3genE9ELNS1_11target_archE1100ELNS1_3gpuE3ELNS1_3repE0EEENS1_47radix_sort_onesweep_sort_config_static_selectorELNS0_4arch9wavefront6targetE0EEEvSH_
	.p2align	8
	.type	_ZN7rocprim17ROCPRIM_400000_NS6detail17trampoline_kernelINS0_14default_configENS1_35radix_sort_onesweep_config_selectorI12hip_bfloat16NS0_10empty_typeEEEZZNS1_29radix_sort_onesweep_iterationIS3_Lb1EPKS5_PS5_PS6_SC_mNS0_19identity_decomposerENS1_16block_id_wrapperIjLb0EEEEE10hipError_tT1_PNSt15iterator_traitsISH_E10value_typeET2_T3_PNSI_ISN_E10value_typeET4_T5_PSS_ST_PNS1_23onesweep_lookback_stateEbbT6_jjT7_P12ihipStream_tbENKUlT_T0_SH_SM_E_clISB_SB_SC_SC_EEDaS10_S11_SH_SM_EUlS10_E_NS1_11comp_targetILNS1_3genE9ELNS1_11target_archE1100ELNS1_3gpuE3ELNS1_3repE0EEENS1_47radix_sort_onesweep_sort_config_static_selectorELNS0_4arch9wavefront6targetE0EEEvSH_,@function
_ZN7rocprim17ROCPRIM_400000_NS6detail17trampoline_kernelINS0_14default_configENS1_35radix_sort_onesweep_config_selectorI12hip_bfloat16NS0_10empty_typeEEEZZNS1_29radix_sort_onesweep_iterationIS3_Lb1EPKS5_PS5_PS6_SC_mNS0_19identity_decomposerENS1_16block_id_wrapperIjLb0EEEEE10hipError_tT1_PNSt15iterator_traitsISH_E10value_typeET2_T3_PNSI_ISN_E10value_typeET4_T5_PSS_ST_PNS1_23onesweep_lookback_stateEbbT6_jjT7_P12ihipStream_tbENKUlT_T0_SH_SM_E_clISB_SB_SC_SC_EEDaS10_S11_SH_SM_EUlS10_E_NS1_11comp_targetILNS1_3genE9ELNS1_11target_archE1100ELNS1_3gpuE3ELNS1_3repE0EEENS1_47radix_sort_onesweep_sort_config_static_selectorELNS0_4arch9wavefront6targetE0EEEvSH_: ; @_ZN7rocprim17ROCPRIM_400000_NS6detail17trampoline_kernelINS0_14default_configENS1_35radix_sort_onesweep_config_selectorI12hip_bfloat16NS0_10empty_typeEEEZZNS1_29radix_sort_onesweep_iterationIS3_Lb1EPKS5_PS5_PS6_SC_mNS0_19identity_decomposerENS1_16block_id_wrapperIjLb0EEEEE10hipError_tT1_PNSt15iterator_traitsISH_E10value_typeET2_T3_PNSI_ISN_E10value_typeET4_T5_PSS_ST_PNS1_23onesweep_lookback_stateEbbT6_jjT7_P12ihipStream_tbENKUlT_T0_SH_SM_E_clISB_SB_SC_SC_EEDaS10_S11_SH_SM_EUlS10_E_NS1_11comp_targetILNS1_3genE9ELNS1_11target_archE1100ELNS1_3gpuE3ELNS1_3repE0EEENS1_47radix_sort_onesweep_sort_config_static_selectorELNS0_4arch9wavefront6targetE0EEEvSH_
; %bb.0:
	.section	.rodata,"a",@progbits
	.p2align	6, 0x0
	.amdhsa_kernel _ZN7rocprim17ROCPRIM_400000_NS6detail17trampoline_kernelINS0_14default_configENS1_35radix_sort_onesweep_config_selectorI12hip_bfloat16NS0_10empty_typeEEEZZNS1_29radix_sort_onesweep_iterationIS3_Lb1EPKS5_PS5_PS6_SC_mNS0_19identity_decomposerENS1_16block_id_wrapperIjLb0EEEEE10hipError_tT1_PNSt15iterator_traitsISH_E10value_typeET2_T3_PNSI_ISN_E10value_typeET4_T5_PSS_ST_PNS1_23onesweep_lookback_stateEbbT6_jjT7_P12ihipStream_tbENKUlT_T0_SH_SM_E_clISB_SB_SC_SC_EEDaS10_S11_SH_SM_EUlS10_E_NS1_11comp_targetILNS1_3genE9ELNS1_11target_archE1100ELNS1_3gpuE3ELNS1_3repE0EEENS1_47radix_sort_onesweep_sort_config_static_selectorELNS0_4arch9wavefront6targetE0EEEvSH_
		.amdhsa_group_segment_fixed_size 0
		.amdhsa_private_segment_fixed_size 0
		.amdhsa_kernarg_size 88
		.amdhsa_user_sgpr_count 2
		.amdhsa_user_sgpr_dispatch_ptr 0
		.amdhsa_user_sgpr_queue_ptr 0
		.amdhsa_user_sgpr_kernarg_segment_ptr 1
		.amdhsa_user_sgpr_dispatch_id 0
		.amdhsa_user_sgpr_kernarg_preload_length 0
		.amdhsa_user_sgpr_kernarg_preload_offset 0
		.amdhsa_user_sgpr_private_segment_size 0
		.amdhsa_wavefront_size32 1
		.amdhsa_uses_dynamic_stack 0
		.amdhsa_enable_private_segment 0
		.amdhsa_system_sgpr_workgroup_id_x 1
		.amdhsa_system_sgpr_workgroup_id_y 0
		.amdhsa_system_sgpr_workgroup_id_z 0
		.amdhsa_system_sgpr_workgroup_info 0
		.amdhsa_system_vgpr_workitem_id 0
		.amdhsa_next_free_vgpr 1
		.amdhsa_next_free_sgpr 1
		.amdhsa_named_barrier_count 0
		.amdhsa_reserve_vcc 0
		.amdhsa_float_round_mode_32 0
		.amdhsa_float_round_mode_16_64 0
		.amdhsa_float_denorm_mode_32 3
		.amdhsa_float_denorm_mode_16_64 3
		.amdhsa_fp16_overflow 0
		.amdhsa_memory_ordered 1
		.amdhsa_forward_progress 1
		.amdhsa_inst_pref_size 0
		.amdhsa_round_robin_scheduling 0
		.amdhsa_exception_fp_ieee_invalid_op 0
		.amdhsa_exception_fp_denorm_src 0
		.amdhsa_exception_fp_ieee_div_zero 0
		.amdhsa_exception_fp_ieee_overflow 0
		.amdhsa_exception_fp_ieee_underflow 0
		.amdhsa_exception_fp_ieee_inexact 0
		.amdhsa_exception_int_div_zero 0
	.end_amdhsa_kernel
	.section	.text._ZN7rocprim17ROCPRIM_400000_NS6detail17trampoline_kernelINS0_14default_configENS1_35radix_sort_onesweep_config_selectorI12hip_bfloat16NS0_10empty_typeEEEZZNS1_29radix_sort_onesweep_iterationIS3_Lb1EPKS5_PS5_PS6_SC_mNS0_19identity_decomposerENS1_16block_id_wrapperIjLb0EEEEE10hipError_tT1_PNSt15iterator_traitsISH_E10value_typeET2_T3_PNSI_ISN_E10value_typeET4_T5_PSS_ST_PNS1_23onesweep_lookback_stateEbbT6_jjT7_P12ihipStream_tbENKUlT_T0_SH_SM_E_clISB_SB_SC_SC_EEDaS10_S11_SH_SM_EUlS10_E_NS1_11comp_targetILNS1_3genE9ELNS1_11target_archE1100ELNS1_3gpuE3ELNS1_3repE0EEENS1_47radix_sort_onesweep_sort_config_static_selectorELNS0_4arch9wavefront6targetE0EEEvSH_,"axG",@progbits,_ZN7rocprim17ROCPRIM_400000_NS6detail17trampoline_kernelINS0_14default_configENS1_35radix_sort_onesweep_config_selectorI12hip_bfloat16NS0_10empty_typeEEEZZNS1_29radix_sort_onesweep_iterationIS3_Lb1EPKS5_PS5_PS6_SC_mNS0_19identity_decomposerENS1_16block_id_wrapperIjLb0EEEEE10hipError_tT1_PNSt15iterator_traitsISH_E10value_typeET2_T3_PNSI_ISN_E10value_typeET4_T5_PSS_ST_PNS1_23onesweep_lookback_stateEbbT6_jjT7_P12ihipStream_tbENKUlT_T0_SH_SM_E_clISB_SB_SC_SC_EEDaS10_S11_SH_SM_EUlS10_E_NS1_11comp_targetILNS1_3genE9ELNS1_11target_archE1100ELNS1_3gpuE3ELNS1_3repE0EEENS1_47radix_sort_onesweep_sort_config_static_selectorELNS0_4arch9wavefront6targetE0EEEvSH_,comdat
.Lfunc_end1998:
	.size	_ZN7rocprim17ROCPRIM_400000_NS6detail17trampoline_kernelINS0_14default_configENS1_35radix_sort_onesweep_config_selectorI12hip_bfloat16NS0_10empty_typeEEEZZNS1_29radix_sort_onesweep_iterationIS3_Lb1EPKS5_PS5_PS6_SC_mNS0_19identity_decomposerENS1_16block_id_wrapperIjLb0EEEEE10hipError_tT1_PNSt15iterator_traitsISH_E10value_typeET2_T3_PNSI_ISN_E10value_typeET4_T5_PSS_ST_PNS1_23onesweep_lookback_stateEbbT6_jjT7_P12ihipStream_tbENKUlT_T0_SH_SM_E_clISB_SB_SC_SC_EEDaS10_S11_SH_SM_EUlS10_E_NS1_11comp_targetILNS1_3genE9ELNS1_11target_archE1100ELNS1_3gpuE3ELNS1_3repE0EEENS1_47radix_sort_onesweep_sort_config_static_selectorELNS0_4arch9wavefront6targetE0EEEvSH_, .Lfunc_end1998-_ZN7rocprim17ROCPRIM_400000_NS6detail17trampoline_kernelINS0_14default_configENS1_35radix_sort_onesweep_config_selectorI12hip_bfloat16NS0_10empty_typeEEEZZNS1_29radix_sort_onesweep_iterationIS3_Lb1EPKS5_PS5_PS6_SC_mNS0_19identity_decomposerENS1_16block_id_wrapperIjLb0EEEEE10hipError_tT1_PNSt15iterator_traitsISH_E10value_typeET2_T3_PNSI_ISN_E10value_typeET4_T5_PSS_ST_PNS1_23onesweep_lookback_stateEbbT6_jjT7_P12ihipStream_tbENKUlT_T0_SH_SM_E_clISB_SB_SC_SC_EEDaS10_S11_SH_SM_EUlS10_E_NS1_11comp_targetILNS1_3genE9ELNS1_11target_archE1100ELNS1_3gpuE3ELNS1_3repE0EEENS1_47radix_sort_onesweep_sort_config_static_selectorELNS0_4arch9wavefront6targetE0EEEvSH_
                                        ; -- End function
	.set _ZN7rocprim17ROCPRIM_400000_NS6detail17trampoline_kernelINS0_14default_configENS1_35radix_sort_onesweep_config_selectorI12hip_bfloat16NS0_10empty_typeEEEZZNS1_29radix_sort_onesweep_iterationIS3_Lb1EPKS5_PS5_PS6_SC_mNS0_19identity_decomposerENS1_16block_id_wrapperIjLb0EEEEE10hipError_tT1_PNSt15iterator_traitsISH_E10value_typeET2_T3_PNSI_ISN_E10value_typeET4_T5_PSS_ST_PNS1_23onesweep_lookback_stateEbbT6_jjT7_P12ihipStream_tbENKUlT_T0_SH_SM_E_clISB_SB_SC_SC_EEDaS10_S11_SH_SM_EUlS10_E_NS1_11comp_targetILNS1_3genE9ELNS1_11target_archE1100ELNS1_3gpuE3ELNS1_3repE0EEENS1_47radix_sort_onesweep_sort_config_static_selectorELNS0_4arch9wavefront6targetE0EEEvSH_.num_vgpr, 0
	.set _ZN7rocprim17ROCPRIM_400000_NS6detail17trampoline_kernelINS0_14default_configENS1_35radix_sort_onesweep_config_selectorI12hip_bfloat16NS0_10empty_typeEEEZZNS1_29radix_sort_onesweep_iterationIS3_Lb1EPKS5_PS5_PS6_SC_mNS0_19identity_decomposerENS1_16block_id_wrapperIjLb0EEEEE10hipError_tT1_PNSt15iterator_traitsISH_E10value_typeET2_T3_PNSI_ISN_E10value_typeET4_T5_PSS_ST_PNS1_23onesweep_lookback_stateEbbT6_jjT7_P12ihipStream_tbENKUlT_T0_SH_SM_E_clISB_SB_SC_SC_EEDaS10_S11_SH_SM_EUlS10_E_NS1_11comp_targetILNS1_3genE9ELNS1_11target_archE1100ELNS1_3gpuE3ELNS1_3repE0EEENS1_47radix_sort_onesweep_sort_config_static_selectorELNS0_4arch9wavefront6targetE0EEEvSH_.num_agpr, 0
	.set _ZN7rocprim17ROCPRIM_400000_NS6detail17trampoline_kernelINS0_14default_configENS1_35radix_sort_onesweep_config_selectorI12hip_bfloat16NS0_10empty_typeEEEZZNS1_29radix_sort_onesweep_iterationIS3_Lb1EPKS5_PS5_PS6_SC_mNS0_19identity_decomposerENS1_16block_id_wrapperIjLb0EEEEE10hipError_tT1_PNSt15iterator_traitsISH_E10value_typeET2_T3_PNSI_ISN_E10value_typeET4_T5_PSS_ST_PNS1_23onesweep_lookback_stateEbbT6_jjT7_P12ihipStream_tbENKUlT_T0_SH_SM_E_clISB_SB_SC_SC_EEDaS10_S11_SH_SM_EUlS10_E_NS1_11comp_targetILNS1_3genE9ELNS1_11target_archE1100ELNS1_3gpuE3ELNS1_3repE0EEENS1_47radix_sort_onesweep_sort_config_static_selectorELNS0_4arch9wavefront6targetE0EEEvSH_.numbered_sgpr, 0
	.set _ZN7rocprim17ROCPRIM_400000_NS6detail17trampoline_kernelINS0_14default_configENS1_35radix_sort_onesweep_config_selectorI12hip_bfloat16NS0_10empty_typeEEEZZNS1_29radix_sort_onesweep_iterationIS3_Lb1EPKS5_PS5_PS6_SC_mNS0_19identity_decomposerENS1_16block_id_wrapperIjLb0EEEEE10hipError_tT1_PNSt15iterator_traitsISH_E10value_typeET2_T3_PNSI_ISN_E10value_typeET4_T5_PSS_ST_PNS1_23onesweep_lookback_stateEbbT6_jjT7_P12ihipStream_tbENKUlT_T0_SH_SM_E_clISB_SB_SC_SC_EEDaS10_S11_SH_SM_EUlS10_E_NS1_11comp_targetILNS1_3genE9ELNS1_11target_archE1100ELNS1_3gpuE3ELNS1_3repE0EEENS1_47radix_sort_onesweep_sort_config_static_selectorELNS0_4arch9wavefront6targetE0EEEvSH_.num_named_barrier, 0
	.set _ZN7rocprim17ROCPRIM_400000_NS6detail17trampoline_kernelINS0_14default_configENS1_35radix_sort_onesweep_config_selectorI12hip_bfloat16NS0_10empty_typeEEEZZNS1_29radix_sort_onesweep_iterationIS3_Lb1EPKS5_PS5_PS6_SC_mNS0_19identity_decomposerENS1_16block_id_wrapperIjLb0EEEEE10hipError_tT1_PNSt15iterator_traitsISH_E10value_typeET2_T3_PNSI_ISN_E10value_typeET4_T5_PSS_ST_PNS1_23onesweep_lookback_stateEbbT6_jjT7_P12ihipStream_tbENKUlT_T0_SH_SM_E_clISB_SB_SC_SC_EEDaS10_S11_SH_SM_EUlS10_E_NS1_11comp_targetILNS1_3genE9ELNS1_11target_archE1100ELNS1_3gpuE3ELNS1_3repE0EEENS1_47radix_sort_onesweep_sort_config_static_selectorELNS0_4arch9wavefront6targetE0EEEvSH_.private_seg_size, 0
	.set _ZN7rocprim17ROCPRIM_400000_NS6detail17trampoline_kernelINS0_14default_configENS1_35radix_sort_onesweep_config_selectorI12hip_bfloat16NS0_10empty_typeEEEZZNS1_29radix_sort_onesweep_iterationIS3_Lb1EPKS5_PS5_PS6_SC_mNS0_19identity_decomposerENS1_16block_id_wrapperIjLb0EEEEE10hipError_tT1_PNSt15iterator_traitsISH_E10value_typeET2_T3_PNSI_ISN_E10value_typeET4_T5_PSS_ST_PNS1_23onesweep_lookback_stateEbbT6_jjT7_P12ihipStream_tbENKUlT_T0_SH_SM_E_clISB_SB_SC_SC_EEDaS10_S11_SH_SM_EUlS10_E_NS1_11comp_targetILNS1_3genE9ELNS1_11target_archE1100ELNS1_3gpuE3ELNS1_3repE0EEENS1_47radix_sort_onesweep_sort_config_static_selectorELNS0_4arch9wavefront6targetE0EEEvSH_.uses_vcc, 0
	.set _ZN7rocprim17ROCPRIM_400000_NS6detail17trampoline_kernelINS0_14default_configENS1_35radix_sort_onesweep_config_selectorI12hip_bfloat16NS0_10empty_typeEEEZZNS1_29radix_sort_onesweep_iterationIS3_Lb1EPKS5_PS5_PS6_SC_mNS0_19identity_decomposerENS1_16block_id_wrapperIjLb0EEEEE10hipError_tT1_PNSt15iterator_traitsISH_E10value_typeET2_T3_PNSI_ISN_E10value_typeET4_T5_PSS_ST_PNS1_23onesweep_lookback_stateEbbT6_jjT7_P12ihipStream_tbENKUlT_T0_SH_SM_E_clISB_SB_SC_SC_EEDaS10_S11_SH_SM_EUlS10_E_NS1_11comp_targetILNS1_3genE9ELNS1_11target_archE1100ELNS1_3gpuE3ELNS1_3repE0EEENS1_47radix_sort_onesweep_sort_config_static_selectorELNS0_4arch9wavefront6targetE0EEEvSH_.uses_flat_scratch, 0
	.set _ZN7rocprim17ROCPRIM_400000_NS6detail17trampoline_kernelINS0_14default_configENS1_35radix_sort_onesweep_config_selectorI12hip_bfloat16NS0_10empty_typeEEEZZNS1_29radix_sort_onesweep_iterationIS3_Lb1EPKS5_PS5_PS6_SC_mNS0_19identity_decomposerENS1_16block_id_wrapperIjLb0EEEEE10hipError_tT1_PNSt15iterator_traitsISH_E10value_typeET2_T3_PNSI_ISN_E10value_typeET4_T5_PSS_ST_PNS1_23onesweep_lookback_stateEbbT6_jjT7_P12ihipStream_tbENKUlT_T0_SH_SM_E_clISB_SB_SC_SC_EEDaS10_S11_SH_SM_EUlS10_E_NS1_11comp_targetILNS1_3genE9ELNS1_11target_archE1100ELNS1_3gpuE3ELNS1_3repE0EEENS1_47radix_sort_onesweep_sort_config_static_selectorELNS0_4arch9wavefront6targetE0EEEvSH_.has_dyn_sized_stack, 0
	.set _ZN7rocprim17ROCPRIM_400000_NS6detail17trampoline_kernelINS0_14default_configENS1_35radix_sort_onesweep_config_selectorI12hip_bfloat16NS0_10empty_typeEEEZZNS1_29radix_sort_onesweep_iterationIS3_Lb1EPKS5_PS5_PS6_SC_mNS0_19identity_decomposerENS1_16block_id_wrapperIjLb0EEEEE10hipError_tT1_PNSt15iterator_traitsISH_E10value_typeET2_T3_PNSI_ISN_E10value_typeET4_T5_PSS_ST_PNS1_23onesweep_lookback_stateEbbT6_jjT7_P12ihipStream_tbENKUlT_T0_SH_SM_E_clISB_SB_SC_SC_EEDaS10_S11_SH_SM_EUlS10_E_NS1_11comp_targetILNS1_3genE9ELNS1_11target_archE1100ELNS1_3gpuE3ELNS1_3repE0EEENS1_47radix_sort_onesweep_sort_config_static_selectorELNS0_4arch9wavefront6targetE0EEEvSH_.has_recursion, 0
	.set _ZN7rocprim17ROCPRIM_400000_NS6detail17trampoline_kernelINS0_14default_configENS1_35radix_sort_onesweep_config_selectorI12hip_bfloat16NS0_10empty_typeEEEZZNS1_29radix_sort_onesweep_iterationIS3_Lb1EPKS5_PS5_PS6_SC_mNS0_19identity_decomposerENS1_16block_id_wrapperIjLb0EEEEE10hipError_tT1_PNSt15iterator_traitsISH_E10value_typeET2_T3_PNSI_ISN_E10value_typeET4_T5_PSS_ST_PNS1_23onesweep_lookback_stateEbbT6_jjT7_P12ihipStream_tbENKUlT_T0_SH_SM_E_clISB_SB_SC_SC_EEDaS10_S11_SH_SM_EUlS10_E_NS1_11comp_targetILNS1_3genE9ELNS1_11target_archE1100ELNS1_3gpuE3ELNS1_3repE0EEENS1_47radix_sort_onesweep_sort_config_static_selectorELNS0_4arch9wavefront6targetE0EEEvSH_.has_indirect_call, 0
	.section	.AMDGPU.csdata,"",@progbits
; Kernel info:
; codeLenInByte = 0
; TotalNumSgprs: 0
; NumVgprs: 0
; ScratchSize: 0
; MemoryBound: 0
; FloatMode: 240
; IeeeMode: 1
; LDSByteSize: 0 bytes/workgroup (compile time only)
; SGPRBlocks: 0
; VGPRBlocks: 0
; NumSGPRsForWavesPerEU: 1
; NumVGPRsForWavesPerEU: 1
; NamedBarCnt: 0
; Occupancy: 16
; WaveLimiterHint : 0
; COMPUTE_PGM_RSRC2:SCRATCH_EN: 0
; COMPUTE_PGM_RSRC2:USER_SGPR: 2
; COMPUTE_PGM_RSRC2:TRAP_HANDLER: 0
; COMPUTE_PGM_RSRC2:TGID_X_EN: 1
; COMPUTE_PGM_RSRC2:TGID_Y_EN: 0
; COMPUTE_PGM_RSRC2:TGID_Z_EN: 0
; COMPUTE_PGM_RSRC2:TIDIG_COMP_CNT: 0
	.section	.text._ZN7rocprim17ROCPRIM_400000_NS6detail17trampoline_kernelINS0_14default_configENS1_35radix_sort_onesweep_config_selectorI12hip_bfloat16NS0_10empty_typeEEEZZNS1_29radix_sort_onesweep_iterationIS3_Lb1EPKS5_PS5_PS6_SC_mNS0_19identity_decomposerENS1_16block_id_wrapperIjLb0EEEEE10hipError_tT1_PNSt15iterator_traitsISH_E10value_typeET2_T3_PNSI_ISN_E10value_typeET4_T5_PSS_ST_PNS1_23onesweep_lookback_stateEbbT6_jjT7_P12ihipStream_tbENKUlT_T0_SH_SM_E_clISB_SB_SC_SC_EEDaS10_S11_SH_SM_EUlS10_E_NS1_11comp_targetILNS1_3genE8ELNS1_11target_archE1030ELNS1_3gpuE2ELNS1_3repE0EEENS1_47radix_sort_onesweep_sort_config_static_selectorELNS0_4arch9wavefront6targetE0EEEvSH_,"axG",@progbits,_ZN7rocprim17ROCPRIM_400000_NS6detail17trampoline_kernelINS0_14default_configENS1_35radix_sort_onesweep_config_selectorI12hip_bfloat16NS0_10empty_typeEEEZZNS1_29radix_sort_onesweep_iterationIS3_Lb1EPKS5_PS5_PS6_SC_mNS0_19identity_decomposerENS1_16block_id_wrapperIjLb0EEEEE10hipError_tT1_PNSt15iterator_traitsISH_E10value_typeET2_T3_PNSI_ISN_E10value_typeET4_T5_PSS_ST_PNS1_23onesweep_lookback_stateEbbT6_jjT7_P12ihipStream_tbENKUlT_T0_SH_SM_E_clISB_SB_SC_SC_EEDaS10_S11_SH_SM_EUlS10_E_NS1_11comp_targetILNS1_3genE8ELNS1_11target_archE1030ELNS1_3gpuE2ELNS1_3repE0EEENS1_47radix_sort_onesweep_sort_config_static_selectorELNS0_4arch9wavefront6targetE0EEEvSH_,comdat
	.protected	_ZN7rocprim17ROCPRIM_400000_NS6detail17trampoline_kernelINS0_14default_configENS1_35radix_sort_onesweep_config_selectorI12hip_bfloat16NS0_10empty_typeEEEZZNS1_29radix_sort_onesweep_iterationIS3_Lb1EPKS5_PS5_PS6_SC_mNS0_19identity_decomposerENS1_16block_id_wrapperIjLb0EEEEE10hipError_tT1_PNSt15iterator_traitsISH_E10value_typeET2_T3_PNSI_ISN_E10value_typeET4_T5_PSS_ST_PNS1_23onesweep_lookback_stateEbbT6_jjT7_P12ihipStream_tbENKUlT_T0_SH_SM_E_clISB_SB_SC_SC_EEDaS10_S11_SH_SM_EUlS10_E_NS1_11comp_targetILNS1_3genE8ELNS1_11target_archE1030ELNS1_3gpuE2ELNS1_3repE0EEENS1_47radix_sort_onesweep_sort_config_static_selectorELNS0_4arch9wavefront6targetE0EEEvSH_ ; -- Begin function _ZN7rocprim17ROCPRIM_400000_NS6detail17trampoline_kernelINS0_14default_configENS1_35radix_sort_onesweep_config_selectorI12hip_bfloat16NS0_10empty_typeEEEZZNS1_29radix_sort_onesweep_iterationIS3_Lb1EPKS5_PS5_PS6_SC_mNS0_19identity_decomposerENS1_16block_id_wrapperIjLb0EEEEE10hipError_tT1_PNSt15iterator_traitsISH_E10value_typeET2_T3_PNSI_ISN_E10value_typeET4_T5_PSS_ST_PNS1_23onesweep_lookback_stateEbbT6_jjT7_P12ihipStream_tbENKUlT_T0_SH_SM_E_clISB_SB_SC_SC_EEDaS10_S11_SH_SM_EUlS10_E_NS1_11comp_targetILNS1_3genE8ELNS1_11target_archE1030ELNS1_3gpuE2ELNS1_3repE0EEENS1_47radix_sort_onesweep_sort_config_static_selectorELNS0_4arch9wavefront6targetE0EEEvSH_
	.globl	_ZN7rocprim17ROCPRIM_400000_NS6detail17trampoline_kernelINS0_14default_configENS1_35radix_sort_onesweep_config_selectorI12hip_bfloat16NS0_10empty_typeEEEZZNS1_29radix_sort_onesweep_iterationIS3_Lb1EPKS5_PS5_PS6_SC_mNS0_19identity_decomposerENS1_16block_id_wrapperIjLb0EEEEE10hipError_tT1_PNSt15iterator_traitsISH_E10value_typeET2_T3_PNSI_ISN_E10value_typeET4_T5_PSS_ST_PNS1_23onesweep_lookback_stateEbbT6_jjT7_P12ihipStream_tbENKUlT_T0_SH_SM_E_clISB_SB_SC_SC_EEDaS10_S11_SH_SM_EUlS10_E_NS1_11comp_targetILNS1_3genE8ELNS1_11target_archE1030ELNS1_3gpuE2ELNS1_3repE0EEENS1_47radix_sort_onesweep_sort_config_static_selectorELNS0_4arch9wavefront6targetE0EEEvSH_
	.p2align	8
	.type	_ZN7rocprim17ROCPRIM_400000_NS6detail17trampoline_kernelINS0_14default_configENS1_35radix_sort_onesweep_config_selectorI12hip_bfloat16NS0_10empty_typeEEEZZNS1_29radix_sort_onesweep_iterationIS3_Lb1EPKS5_PS5_PS6_SC_mNS0_19identity_decomposerENS1_16block_id_wrapperIjLb0EEEEE10hipError_tT1_PNSt15iterator_traitsISH_E10value_typeET2_T3_PNSI_ISN_E10value_typeET4_T5_PSS_ST_PNS1_23onesweep_lookback_stateEbbT6_jjT7_P12ihipStream_tbENKUlT_T0_SH_SM_E_clISB_SB_SC_SC_EEDaS10_S11_SH_SM_EUlS10_E_NS1_11comp_targetILNS1_3genE8ELNS1_11target_archE1030ELNS1_3gpuE2ELNS1_3repE0EEENS1_47radix_sort_onesweep_sort_config_static_selectorELNS0_4arch9wavefront6targetE0EEEvSH_,@function
_ZN7rocprim17ROCPRIM_400000_NS6detail17trampoline_kernelINS0_14default_configENS1_35radix_sort_onesweep_config_selectorI12hip_bfloat16NS0_10empty_typeEEEZZNS1_29radix_sort_onesweep_iterationIS3_Lb1EPKS5_PS5_PS6_SC_mNS0_19identity_decomposerENS1_16block_id_wrapperIjLb0EEEEE10hipError_tT1_PNSt15iterator_traitsISH_E10value_typeET2_T3_PNSI_ISN_E10value_typeET4_T5_PSS_ST_PNS1_23onesweep_lookback_stateEbbT6_jjT7_P12ihipStream_tbENKUlT_T0_SH_SM_E_clISB_SB_SC_SC_EEDaS10_S11_SH_SM_EUlS10_E_NS1_11comp_targetILNS1_3genE8ELNS1_11target_archE1030ELNS1_3gpuE2ELNS1_3repE0EEENS1_47radix_sort_onesweep_sort_config_static_selectorELNS0_4arch9wavefront6targetE0EEEvSH_: ; @_ZN7rocprim17ROCPRIM_400000_NS6detail17trampoline_kernelINS0_14default_configENS1_35radix_sort_onesweep_config_selectorI12hip_bfloat16NS0_10empty_typeEEEZZNS1_29radix_sort_onesweep_iterationIS3_Lb1EPKS5_PS5_PS6_SC_mNS0_19identity_decomposerENS1_16block_id_wrapperIjLb0EEEEE10hipError_tT1_PNSt15iterator_traitsISH_E10value_typeET2_T3_PNSI_ISN_E10value_typeET4_T5_PSS_ST_PNS1_23onesweep_lookback_stateEbbT6_jjT7_P12ihipStream_tbENKUlT_T0_SH_SM_E_clISB_SB_SC_SC_EEDaS10_S11_SH_SM_EUlS10_E_NS1_11comp_targetILNS1_3genE8ELNS1_11target_archE1030ELNS1_3gpuE2ELNS1_3repE0EEENS1_47radix_sort_onesweep_sort_config_static_selectorELNS0_4arch9wavefront6targetE0EEEvSH_
; %bb.0:
	.section	.rodata,"a",@progbits
	.p2align	6, 0x0
	.amdhsa_kernel _ZN7rocprim17ROCPRIM_400000_NS6detail17trampoline_kernelINS0_14default_configENS1_35radix_sort_onesweep_config_selectorI12hip_bfloat16NS0_10empty_typeEEEZZNS1_29radix_sort_onesweep_iterationIS3_Lb1EPKS5_PS5_PS6_SC_mNS0_19identity_decomposerENS1_16block_id_wrapperIjLb0EEEEE10hipError_tT1_PNSt15iterator_traitsISH_E10value_typeET2_T3_PNSI_ISN_E10value_typeET4_T5_PSS_ST_PNS1_23onesweep_lookback_stateEbbT6_jjT7_P12ihipStream_tbENKUlT_T0_SH_SM_E_clISB_SB_SC_SC_EEDaS10_S11_SH_SM_EUlS10_E_NS1_11comp_targetILNS1_3genE8ELNS1_11target_archE1030ELNS1_3gpuE2ELNS1_3repE0EEENS1_47radix_sort_onesweep_sort_config_static_selectorELNS0_4arch9wavefront6targetE0EEEvSH_
		.amdhsa_group_segment_fixed_size 0
		.amdhsa_private_segment_fixed_size 0
		.amdhsa_kernarg_size 88
		.amdhsa_user_sgpr_count 2
		.amdhsa_user_sgpr_dispatch_ptr 0
		.amdhsa_user_sgpr_queue_ptr 0
		.amdhsa_user_sgpr_kernarg_segment_ptr 1
		.amdhsa_user_sgpr_dispatch_id 0
		.amdhsa_user_sgpr_kernarg_preload_length 0
		.amdhsa_user_sgpr_kernarg_preload_offset 0
		.amdhsa_user_sgpr_private_segment_size 0
		.amdhsa_wavefront_size32 1
		.amdhsa_uses_dynamic_stack 0
		.amdhsa_enable_private_segment 0
		.amdhsa_system_sgpr_workgroup_id_x 1
		.amdhsa_system_sgpr_workgroup_id_y 0
		.amdhsa_system_sgpr_workgroup_id_z 0
		.amdhsa_system_sgpr_workgroup_info 0
		.amdhsa_system_vgpr_workitem_id 0
		.amdhsa_next_free_vgpr 1
		.amdhsa_next_free_sgpr 1
		.amdhsa_named_barrier_count 0
		.amdhsa_reserve_vcc 0
		.amdhsa_float_round_mode_32 0
		.amdhsa_float_round_mode_16_64 0
		.amdhsa_float_denorm_mode_32 3
		.amdhsa_float_denorm_mode_16_64 3
		.amdhsa_fp16_overflow 0
		.amdhsa_memory_ordered 1
		.amdhsa_forward_progress 1
		.amdhsa_inst_pref_size 0
		.amdhsa_round_robin_scheduling 0
		.amdhsa_exception_fp_ieee_invalid_op 0
		.amdhsa_exception_fp_denorm_src 0
		.amdhsa_exception_fp_ieee_div_zero 0
		.amdhsa_exception_fp_ieee_overflow 0
		.amdhsa_exception_fp_ieee_underflow 0
		.amdhsa_exception_fp_ieee_inexact 0
		.amdhsa_exception_int_div_zero 0
	.end_amdhsa_kernel
	.section	.text._ZN7rocprim17ROCPRIM_400000_NS6detail17trampoline_kernelINS0_14default_configENS1_35radix_sort_onesweep_config_selectorI12hip_bfloat16NS0_10empty_typeEEEZZNS1_29radix_sort_onesweep_iterationIS3_Lb1EPKS5_PS5_PS6_SC_mNS0_19identity_decomposerENS1_16block_id_wrapperIjLb0EEEEE10hipError_tT1_PNSt15iterator_traitsISH_E10value_typeET2_T3_PNSI_ISN_E10value_typeET4_T5_PSS_ST_PNS1_23onesweep_lookback_stateEbbT6_jjT7_P12ihipStream_tbENKUlT_T0_SH_SM_E_clISB_SB_SC_SC_EEDaS10_S11_SH_SM_EUlS10_E_NS1_11comp_targetILNS1_3genE8ELNS1_11target_archE1030ELNS1_3gpuE2ELNS1_3repE0EEENS1_47radix_sort_onesweep_sort_config_static_selectorELNS0_4arch9wavefront6targetE0EEEvSH_,"axG",@progbits,_ZN7rocprim17ROCPRIM_400000_NS6detail17trampoline_kernelINS0_14default_configENS1_35radix_sort_onesweep_config_selectorI12hip_bfloat16NS0_10empty_typeEEEZZNS1_29radix_sort_onesweep_iterationIS3_Lb1EPKS5_PS5_PS6_SC_mNS0_19identity_decomposerENS1_16block_id_wrapperIjLb0EEEEE10hipError_tT1_PNSt15iterator_traitsISH_E10value_typeET2_T3_PNSI_ISN_E10value_typeET4_T5_PSS_ST_PNS1_23onesweep_lookback_stateEbbT6_jjT7_P12ihipStream_tbENKUlT_T0_SH_SM_E_clISB_SB_SC_SC_EEDaS10_S11_SH_SM_EUlS10_E_NS1_11comp_targetILNS1_3genE8ELNS1_11target_archE1030ELNS1_3gpuE2ELNS1_3repE0EEENS1_47radix_sort_onesweep_sort_config_static_selectorELNS0_4arch9wavefront6targetE0EEEvSH_,comdat
.Lfunc_end1999:
	.size	_ZN7rocprim17ROCPRIM_400000_NS6detail17trampoline_kernelINS0_14default_configENS1_35radix_sort_onesweep_config_selectorI12hip_bfloat16NS0_10empty_typeEEEZZNS1_29radix_sort_onesweep_iterationIS3_Lb1EPKS5_PS5_PS6_SC_mNS0_19identity_decomposerENS1_16block_id_wrapperIjLb0EEEEE10hipError_tT1_PNSt15iterator_traitsISH_E10value_typeET2_T3_PNSI_ISN_E10value_typeET4_T5_PSS_ST_PNS1_23onesweep_lookback_stateEbbT6_jjT7_P12ihipStream_tbENKUlT_T0_SH_SM_E_clISB_SB_SC_SC_EEDaS10_S11_SH_SM_EUlS10_E_NS1_11comp_targetILNS1_3genE8ELNS1_11target_archE1030ELNS1_3gpuE2ELNS1_3repE0EEENS1_47radix_sort_onesweep_sort_config_static_selectorELNS0_4arch9wavefront6targetE0EEEvSH_, .Lfunc_end1999-_ZN7rocprim17ROCPRIM_400000_NS6detail17trampoline_kernelINS0_14default_configENS1_35radix_sort_onesweep_config_selectorI12hip_bfloat16NS0_10empty_typeEEEZZNS1_29radix_sort_onesweep_iterationIS3_Lb1EPKS5_PS5_PS6_SC_mNS0_19identity_decomposerENS1_16block_id_wrapperIjLb0EEEEE10hipError_tT1_PNSt15iterator_traitsISH_E10value_typeET2_T3_PNSI_ISN_E10value_typeET4_T5_PSS_ST_PNS1_23onesweep_lookback_stateEbbT6_jjT7_P12ihipStream_tbENKUlT_T0_SH_SM_E_clISB_SB_SC_SC_EEDaS10_S11_SH_SM_EUlS10_E_NS1_11comp_targetILNS1_3genE8ELNS1_11target_archE1030ELNS1_3gpuE2ELNS1_3repE0EEENS1_47radix_sort_onesweep_sort_config_static_selectorELNS0_4arch9wavefront6targetE0EEEvSH_
                                        ; -- End function
	.set _ZN7rocprim17ROCPRIM_400000_NS6detail17trampoline_kernelINS0_14default_configENS1_35radix_sort_onesweep_config_selectorI12hip_bfloat16NS0_10empty_typeEEEZZNS1_29radix_sort_onesweep_iterationIS3_Lb1EPKS5_PS5_PS6_SC_mNS0_19identity_decomposerENS1_16block_id_wrapperIjLb0EEEEE10hipError_tT1_PNSt15iterator_traitsISH_E10value_typeET2_T3_PNSI_ISN_E10value_typeET4_T5_PSS_ST_PNS1_23onesweep_lookback_stateEbbT6_jjT7_P12ihipStream_tbENKUlT_T0_SH_SM_E_clISB_SB_SC_SC_EEDaS10_S11_SH_SM_EUlS10_E_NS1_11comp_targetILNS1_3genE8ELNS1_11target_archE1030ELNS1_3gpuE2ELNS1_3repE0EEENS1_47radix_sort_onesweep_sort_config_static_selectorELNS0_4arch9wavefront6targetE0EEEvSH_.num_vgpr, 0
	.set _ZN7rocprim17ROCPRIM_400000_NS6detail17trampoline_kernelINS0_14default_configENS1_35radix_sort_onesweep_config_selectorI12hip_bfloat16NS0_10empty_typeEEEZZNS1_29radix_sort_onesweep_iterationIS3_Lb1EPKS5_PS5_PS6_SC_mNS0_19identity_decomposerENS1_16block_id_wrapperIjLb0EEEEE10hipError_tT1_PNSt15iterator_traitsISH_E10value_typeET2_T3_PNSI_ISN_E10value_typeET4_T5_PSS_ST_PNS1_23onesweep_lookback_stateEbbT6_jjT7_P12ihipStream_tbENKUlT_T0_SH_SM_E_clISB_SB_SC_SC_EEDaS10_S11_SH_SM_EUlS10_E_NS1_11comp_targetILNS1_3genE8ELNS1_11target_archE1030ELNS1_3gpuE2ELNS1_3repE0EEENS1_47radix_sort_onesweep_sort_config_static_selectorELNS0_4arch9wavefront6targetE0EEEvSH_.num_agpr, 0
	.set _ZN7rocprim17ROCPRIM_400000_NS6detail17trampoline_kernelINS0_14default_configENS1_35radix_sort_onesweep_config_selectorI12hip_bfloat16NS0_10empty_typeEEEZZNS1_29radix_sort_onesweep_iterationIS3_Lb1EPKS5_PS5_PS6_SC_mNS0_19identity_decomposerENS1_16block_id_wrapperIjLb0EEEEE10hipError_tT1_PNSt15iterator_traitsISH_E10value_typeET2_T3_PNSI_ISN_E10value_typeET4_T5_PSS_ST_PNS1_23onesweep_lookback_stateEbbT6_jjT7_P12ihipStream_tbENKUlT_T0_SH_SM_E_clISB_SB_SC_SC_EEDaS10_S11_SH_SM_EUlS10_E_NS1_11comp_targetILNS1_3genE8ELNS1_11target_archE1030ELNS1_3gpuE2ELNS1_3repE0EEENS1_47radix_sort_onesweep_sort_config_static_selectorELNS0_4arch9wavefront6targetE0EEEvSH_.numbered_sgpr, 0
	.set _ZN7rocprim17ROCPRIM_400000_NS6detail17trampoline_kernelINS0_14default_configENS1_35radix_sort_onesweep_config_selectorI12hip_bfloat16NS0_10empty_typeEEEZZNS1_29radix_sort_onesweep_iterationIS3_Lb1EPKS5_PS5_PS6_SC_mNS0_19identity_decomposerENS1_16block_id_wrapperIjLb0EEEEE10hipError_tT1_PNSt15iterator_traitsISH_E10value_typeET2_T3_PNSI_ISN_E10value_typeET4_T5_PSS_ST_PNS1_23onesweep_lookback_stateEbbT6_jjT7_P12ihipStream_tbENKUlT_T0_SH_SM_E_clISB_SB_SC_SC_EEDaS10_S11_SH_SM_EUlS10_E_NS1_11comp_targetILNS1_3genE8ELNS1_11target_archE1030ELNS1_3gpuE2ELNS1_3repE0EEENS1_47radix_sort_onesweep_sort_config_static_selectorELNS0_4arch9wavefront6targetE0EEEvSH_.num_named_barrier, 0
	.set _ZN7rocprim17ROCPRIM_400000_NS6detail17trampoline_kernelINS0_14default_configENS1_35radix_sort_onesweep_config_selectorI12hip_bfloat16NS0_10empty_typeEEEZZNS1_29radix_sort_onesweep_iterationIS3_Lb1EPKS5_PS5_PS6_SC_mNS0_19identity_decomposerENS1_16block_id_wrapperIjLb0EEEEE10hipError_tT1_PNSt15iterator_traitsISH_E10value_typeET2_T3_PNSI_ISN_E10value_typeET4_T5_PSS_ST_PNS1_23onesweep_lookback_stateEbbT6_jjT7_P12ihipStream_tbENKUlT_T0_SH_SM_E_clISB_SB_SC_SC_EEDaS10_S11_SH_SM_EUlS10_E_NS1_11comp_targetILNS1_3genE8ELNS1_11target_archE1030ELNS1_3gpuE2ELNS1_3repE0EEENS1_47radix_sort_onesweep_sort_config_static_selectorELNS0_4arch9wavefront6targetE0EEEvSH_.private_seg_size, 0
	.set _ZN7rocprim17ROCPRIM_400000_NS6detail17trampoline_kernelINS0_14default_configENS1_35radix_sort_onesweep_config_selectorI12hip_bfloat16NS0_10empty_typeEEEZZNS1_29radix_sort_onesweep_iterationIS3_Lb1EPKS5_PS5_PS6_SC_mNS0_19identity_decomposerENS1_16block_id_wrapperIjLb0EEEEE10hipError_tT1_PNSt15iterator_traitsISH_E10value_typeET2_T3_PNSI_ISN_E10value_typeET4_T5_PSS_ST_PNS1_23onesweep_lookback_stateEbbT6_jjT7_P12ihipStream_tbENKUlT_T0_SH_SM_E_clISB_SB_SC_SC_EEDaS10_S11_SH_SM_EUlS10_E_NS1_11comp_targetILNS1_3genE8ELNS1_11target_archE1030ELNS1_3gpuE2ELNS1_3repE0EEENS1_47radix_sort_onesweep_sort_config_static_selectorELNS0_4arch9wavefront6targetE0EEEvSH_.uses_vcc, 0
	.set _ZN7rocprim17ROCPRIM_400000_NS6detail17trampoline_kernelINS0_14default_configENS1_35radix_sort_onesweep_config_selectorI12hip_bfloat16NS0_10empty_typeEEEZZNS1_29radix_sort_onesweep_iterationIS3_Lb1EPKS5_PS5_PS6_SC_mNS0_19identity_decomposerENS1_16block_id_wrapperIjLb0EEEEE10hipError_tT1_PNSt15iterator_traitsISH_E10value_typeET2_T3_PNSI_ISN_E10value_typeET4_T5_PSS_ST_PNS1_23onesweep_lookback_stateEbbT6_jjT7_P12ihipStream_tbENKUlT_T0_SH_SM_E_clISB_SB_SC_SC_EEDaS10_S11_SH_SM_EUlS10_E_NS1_11comp_targetILNS1_3genE8ELNS1_11target_archE1030ELNS1_3gpuE2ELNS1_3repE0EEENS1_47radix_sort_onesweep_sort_config_static_selectorELNS0_4arch9wavefront6targetE0EEEvSH_.uses_flat_scratch, 0
	.set _ZN7rocprim17ROCPRIM_400000_NS6detail17trampoline_kernelINS0_14default_configENS1_35radix_sort_onesweep_config_selectorI12hip_bfloat16NS0_10empty_typeEEEZZNS1_29radix_sort_onesweep_iterationIS3_Lb1EPKS5_PS5_PS6_SC_mNS0_19identity_decomposerENS1_16block_id_wrapperIjLb0EEEEE10hipError_tT1_PNSt15iterator_traitsISH_E10value_typeET2_T3_PNSI_ISN_E10value_typeET4_T5_PSS_ST_PNS1_23onesweep_lookback_stateEbbT6_jjT7_P12ihipStream_tbENKUlT_T0_SH_SM_E_clISB_SB_SC_SC_EEDaS10_S11_SH_SM_EUlS10_E_NS1_11comp_targetILNS1_3genE8ELNS1_11target_archE1030ELNS1_3gpuE2ELNS1_3repE0EEENS1_47radix_sort_onesweep_sort_config_static_selectorELNS0_4arch9wavefront6targetE0EEEvSH_.has_dyn_sized_stack, 0
	.set _ZN7rocprim17ROCPRIM_400000_NS6detail17trampoline_kernelINS0_14default_configENS1_35radix_sort_onesweep_config_selectorI12hip_bfloat16NS0_10empty_typeEEEZZNS1_29radix_sort_onesweep_iterationIS3_Lb1EPKS5_PS5_PS6_SC_mNS0_19identity_decomposerENS1_16block_id_wrapperIjLb0EEEEE10hipError_tT1_PNSt15iterator_traitsISH_E10value_typeET2_T3_PNSI_ISN_E10value_typeET4_T5_PSS_ST_PNS1_23onesweep_lookback_stateEbbT6_jjT7_P12ihipStream_tbENKUlT_T0_SH_SM_E_clISB_SB_SC_SC_EEDaS10_S11_SH_SM_EUlS10_E_NS1_11comp_targetILNS1_3genE8ELNS1_11target_archE1030ELNS1_3gpuE2ELNS1_3repE0EEENS1_47radix_sort_onesweep_sort_config_static_selectorELNS0_4arch9wavefront6targetE0EEEvSH_.has_recursion, 0
	.set _ZN7rocprim17ROCPRIM_400000_NS6detail17trampoline_kernelINS0_14default_configENS1_35radix_sort_onesweep_config_selectorI12hip_bfloat16NS0_10empty_typeEEEZZNS1_29radix_sort_onesweep_iterationIS3_Lb1EPKS5_PS5_PS6_SC_mNS0_19identity_decomposerENS1_16block_id_wrapperIjLb0EEEEE10hipError_tT1_PNSt15iterator_traitsISH_E10value_typeET2_T3_PNSI_ISN_E10value_typeET4_T5_PSS_ST_PNS1_23onesweep_lookback_stateEbbT6_jjT7_P12ihipStream_tbENKUlT_T0_SH_SM_E_clISB_SB_SC_SC_EEDaS10_S11_SH_SM_EUlS10_E_NS1_11comp_targetILNS1_3genE8ELNS1_11target_archE1030ELNS1_3gpuE2ELNS1_3repE0EEENS1_47radix_sort_onesweep_sort_config_static_selectorELNS0_4arch9wavefront6targetE0EEEvSH_.has_indirect_call, 0
	.section	.AMDGPU.csdata,"",@progbits
; Kernel info:
; codeLenInByte = 0
; TotalNumSgprs: 0
; NumVgprs: 0
; ScratchSize: 0
; MemoryBound: 0
; FloatMode: 240
; IeeeMode: 1
; LDSByteSize: 0 bytes/workgroup (compile time only)
; SGPRBlocks: 0
; VGPRBlocks: 0
; NumSGPRsForWavesPerEU: 1
; NumVGPRsForWavesPerEU: 1
; NamedBarCnt: 0
; Occupancy: 16
; WaveLimiterHint : 0
; COMPUTE_PGM_RSRC2:SCRATCH_EN: 0
; COMPUTE_PGM_RSRC2:USER_SGPR: 2
; COMPUTE_PGM_RSRC2:TRAP_HANDLER: 0
; COMPUTE_PGM_RSRC2:TGID_X_EN: 1
; COMPUTE_PGM_RSRC2:TGID_Y_EN: 0
; COMPUTE_PGM_RSRC2:TGID_Z_EN: 0
; COMPUTE_PGM_RSRC2:TIDIG_COMP_CNT: 0
	.section	.text._ZN7rocprim17ROCPRIM_400000_NS6detail17trampoline_kernelINS0_13kernel_configILj256ELj4ELj4294967295EEENS1_37radix_sort_block_sort_config_selectorI12hip_bfloat16NS0_10empty_typeEEEZNS1_21radix_sort_block_sortIS4_Lb0EPKS6_PS6_PS7_SD_NS0_19identity_decomposerEEE10hipError_tT1_T2_T3_T4_jRjT5_jjP12ihipStream_tbEUlT_E_NS1_11comp_targetILNS1_3genE0ELNS1_11target_archE4294967295ELNS1_3gpuE0ELNS1_3repE0EEENS1_44radix_sort_block_sort_config_static_selectorELNS0_4arch9wavefront6targetE0EEEvSG_,"axG",@progbits,_ZN7rocprim17ROCPRIM_400000_NS6detail17trampoline_kernelINS0_13kernel_configILj256ELj4ELj4294967295EEENS1_37radix_sort_block_sort_config_selectorI12hip_bfloat16NS0_10empty_typeEEEZNS1_21radix_sort_block_sortIS4_Lb0EPKS6_PS6_PS7_SD_NS0_19identity_decomposerEEE10hipError_tT1_T2_T3_T4_jRjT5_jjP12ihipStream_tbEUlT_E_NS1_11comp_targetILNS1_3genE0ELNS1_11target_archE4294967295ELNS1_3gpuE0ELNS1_3repE0EEENS1_44radix_sort_block_sort_config_static_selectorELNS0_4arch9wavefront6targetE0EEEvSG_,comdat
	.protected	_ZN7rocprim17ROCPRIM_400000_NS6detail17trampoline_kernelINS0_13kernel_configILj256ELj4ELj4294967295EEENS1_37radix_sort_block_sort_config_selectorI12hip_bfloat16NS0_10empty_typeEEEZNS1_21radix_sort_block_sortIS4_Lb0EPKS6_PS6_PS7_SD_NS0_19identity_decomposerEEE10hipError_tT1_T2_T3_T4_jRjT5_jjP12ihipStream_tbEUlT_E_NS1_11comp_targetILNS1_3genE0ELNS1_11target_archE4294967295ELNS1_3gpuE0ELNS1_3repE0EEENS1_44radix_sort_block_sort_config_static_selectorELNS0_4arch9wavefront6targetE0EEEvSG_ ; -- Begin function _ZN7rocprim17ROCPRIM_400000_NS6detail17trampoline_kernelINS0_13kernel_configILj256ELj4ELj4294967295EEENS1_37radix_sort_block_sort_config_selectorI12hip_bfloat16NS0_10empty_typeEEEZNS1_21radix_sort_block_sortIS4_Lb0EPKS6_PS6_PS7_SD_NS0_19identity_decomposerEEE10hipError_tT1_T2_T3_T4_jRjT5_jjP12ihipStream_tbEUlT_E_NS1_11comp_targetILNS1_3genE0ELNS1_11target_archE4294967295ELNS1_3gpuE0ELNS1_3repE0EEENS1_44radix_sort_block_sort_config_static_selectorELNS0_4arch9wavefront6targetE0EEEvSG_
	.globl	_ZN7rocprim17ROCPRIM_400000_NS6detail17trampoline_kernelINS0_13kernel_configILj256ELj4ELj4294967295EEENS1_37radix_sort_block_sort_config_selectorI12hip_bfloat16NS0_10empty_typeEEEZNS1_21radix_sort_block_sortIS4_Lb0EPKS6_PS6_PS7_SD_NS0_19identity_decomposerEEE10hipError_tT1_T2_T3_T4_jRjT5_jjP12ihipStream_tbEUlT_E_NS1_11comp_targetILNS1_3genE0ELNS1_11target_archE4294967295ELNS1_3gpuE0ELNS1_3repE0EEENS1_44radix_sort_block_sort_config_static_selectorELNS0_4arch9wavefront6targetE0EEEvSG_
	.p2align	8
	.type	_ZN7rocprim17ROCPRIM_400000_NS6detail17trampoline_kernelINS0_13kernel_configILj256ELj4ELj4294967295EEENS1_37radix_sort_block_sort_config_selectorI12hip_bfloat16NS0_10empty_typeEEEZNS1_21radix_sort_block_sortIS4_Lb0EPKS6_PS6_PS7_SD_NS0_19identity_decomposerEEE10hipError_tT1_T2_T3_T4_jRjT5_jjP12ihipStream_tbEUlT_E_NS1_11comp_targetILNS1_3genE0ELNS1_11target_archE4294967295ELNS1_3gpuE0ELNS1_3repE0EEENS1_44radix_sort_block_sort_config_static_selectorELNS0_4arch9wavefront6targetE0EEEvSG_,@function
_ZN7rocprim17ROCPRIM_400000_NS6detail17trampoline_kernelINS0_13kernel_configILj256ELj4ELj4294967295EEENS1_37radix_sort_block_sort_config_selectorI12hip_bfloat16NS0_10empty_typeEEEZNS1_21radix_sort_block_sortIS4_Lb0EPKS6_PS6_PS7_SD_NS0_19identity_decomposerEEE10hipError_tT1_T2_T3_T4_jRjT5_jjP12ihipStream_tbEUlT_E_NS1_11comp_targetILNS1_3genE0ELNS1_11target_archE4294967295ELNS1_3gpuE0ELNS1_3repE0EEENS1_44radix_sort_block_sort_config_static_selectorELNS0_4arch9wavefront6targetE0EEEvSG_: ; @_ZN7rocprim17ROCPRIM_400000_NS6detail17trampoline_kernelINS0_13kernel_configILj256ELj4ELj4294967295EEENS1_37radix_sort_block_sort_config_selectorI12hip_bfloat16NS0_10empty_typeEEEZNS1_21radix_sort_block_sortIS4_Lb0EPKS6_PS6_PS7_SD_NS0_19identity_decomposerEEE10hipError_tT1_T2_T3_T4_jRjT5_jjP12ihipStream_tbEUlT_E_NS1_11comp_targetILNS1_3genE0ELNS1_11target_archE4294967295ELNS1_3gpuE0ELNS1_3repE0EEENS1_44radix_sort_block_sort_config_static_selectorELNS0_4arch9wavefront6targetE0EEEvSG_
; %bb.0:
	s_clause 0x1
	s_load_b32 s4, s[0:1], 0x20
	s_load_b128 s[20:23], s[0:1], 0x0
	s_bfe_u32 s5, ttmp6, 0x4000c
	s_and_b32 s2, ttmp6, 15
	s_add_co_i32 s5, s5, 1
	s_getreg_b32 s6, hwreg(HW_REG_IB_STS2, 6, 4)
	s_mul_i32 s5, ttmp9, s5
	v_and_b32_e32 v12, 0x3ff, v0
	s_add_co_i32 s2, s2, s5
	s_cmp_eq_u32 s6, 0
	v_mbcnt_lo_u32_b32 v1, -1, 0
	s_cselect_b32 s5, ttmp9, s2
	v_dual_mov_b32 v3, 0 :: v_dual_lshlrev_b32 v4, 2, v12
	s_lshl_b32 s2, s5, 10
	s_mov_b32 s3, 0
	v_lshlrev_b32_e32 v2, 1, v1
                                        ; implicit-def: $vgpr6
                                        ; implicit-def: $vgpr7
	s_delay_alu instid0(VALU_DEP_2) | instskip(SKIP_2) | instid1(SALU_CYCLE_1)
	v_and_b32_e32 v8, 0x380, v4
	s_wait_kmcnt 0x0
	s_lshr_b32 s8, s4, 10
	s_cmp_lg_u32 s5, s8
	s_cselect_b32 s27, -1, 0
	s_lshl_b64 s[24:25], s[2:3], 1
	s_cmp_eq_u32 s5, s8
	s_add_nc_u64 s[6:7], s[20:21], s[24:25]
	s_mov_b32 s5, -1
	v_add_nc_u64_e32 v[4:5], s[6:7], v[2:3]
	v_lshlrev_b32_e32 v2, 1, v8
	s_delay_alu instid0(VALU_DEP_1)
	v_add_nc_u64_e32 v[4:5], v[4:5], v[2:3]
                                        ; implicit-def: $vgpr3
	s_cbranch_scc0 .LBB2000_26
; %bb.1:
	s_load_b64 s[20:21], s[0:1], 0x28
	s_and_not1_b32 vcc_lo, exec_lo, s5
	s_sub_co_i32 s26, s4, s2
	s_cbranch_vccz .LBB2000_27
.LBB2000_2:
	v_mov_b32_e32 v8, 0x7fff
	s_and_saveexec_b32 s2, s3
	s_cbranch_execz .LBB2000_4
.LBB2000_3:
	global_load_u16 v8, v[4:5], off offset:192
.LBB2000_4:
	s_wait_xcnt 0x0
	s_or_b32 exec_lo, exec_lo, s2
	s_load_b32 s3, s[0:1], 0x3c
	s_wait_loadcnt 0x2
	v_cmp_lt_i16_e32 vcc_lo, -1, v6
	v_bfe_u32 v5, v0, 10, 10
	v_bfe_u32 v0, v0, 20, 10
	v_and_b32_e32 v16, 0x3e0, v12
	s_get_pc_i64 s[4:5]
	s_add_nc_u64 s[4:5], s[4:5], _ZN7rocprim17ROCPRIM_400000_NS16block_radix_sortI12hip_bfloat16Lj256ELj4ENS0_10empty_typeELj1ELj1ELj0ELNS0_26block_radix_rank_algorithmE1ELNS0_18block_padding_hintE2ELNS0_4arch9wavefront6targetE0EE19radix_bits_per_passE@rel64+4
	v_cndmask_b32_e64 v4, -1, 0xffff8000, vcc_lo
	s_wait_loadcnt 0x0
	v_cmp_lt_i16_e32 vcc_lo, -1, v3
	s_load_b32 s28, s[4:5], 0x0
	v_dual_lshrrev_b32 v18, 3, v12 :: v_dual_bitop2_b32 v15, 16, v1 bitop3:0x40
	v_dual_lshlrev_b32 v13, 5, v12 :: v_dual_bitop2_b32 v14, 15, v1 bitop3:0x40
	v_cndmask_b32_e64 v9, -1, 0xffff8000, vcc_lo
	v_cmp_lt_i16_e32 vcc_lo, -1, v7
	s_mov_b32 s14, 0
	v_cmp_eq_u32_e64 s7, 0, v15
	s_mov_b32 s15, s14
	s_mov_b32 s16, s14
	v_cndmask_b32_e64 v10, -1, 0xffff8000, vcc_lo
	s_wait_kmcnt 0x0
	s_lshr_b32 s2, s3, 16
	v_cmp_lt_i16_e32 vcc_lo, -1, v8
	v_mad_u32_u24 v0, v0, s2, v5
	v_sub_co_u32 v17, s2, v1, 1
	s_and_b32 s3, s3, 0xffff
	v_cndmask_b32_e64 v11, -1, 0xffff8000, vcc_lo
	v_mad_u32 v20, v0, s3, v12
	v_cmp_gt_i32_e32 vcc_lo, 0, v17
	v_xor_b32_e32 v5, v4, v6
	v_min_u32_e32 v6, 0xe0, v16
	v_and_b32_e32 v19, 7, v1
	v_and_b32_e32 v16, 0x7c, v18
	s_mov_b32 s17, s14
	v_cmp_gt_u32_e64 s0, 8, v12
	v_or_b32_e32 v6, 31, v6
	v_cmp_lt_u32_e64 s1, 31, v12
	v_cmp_eq_u32_e64 s3, 0, v14
	v_cmp_lt_u32_e64 s4, 1, v14
	v_cmp_lt_u32_e64 s5, 3, v14
	v_cmp_eq_u32_e64 s8, v12, v6
	v_mul_i32_i24_e32 v6, 0xffffffe4, v12
	v_dual_cndmask_b32 v8, v17, v1, vcc_lo :: v_dual_bitop2_b32 v4, v11, v8 bitop3:0x14
	v_xor_b32_e32 v0, v9, v3
	v_dual_add_nc_u32 v17, -4, v16 :: v_dual_bitop2_b32 v3, v10, v7 bitop3:0x14
	v_lshrrev_b32_e32 v7, 3, v20
	s_delay_alu instid0(VALU_DEP_4)
	v_lshlrev_b32_e32 v15, 2, v8
	v_mov_b64_e32 v[8:9], s[14:15]
	v_mov_b64_e32 v[10:11], s[16:17]
	v_cmp_lt_u32_e64 s6, 7, v14
	v_and_b32_e32 v14, 0x1ffffffc, v7
	v_cmp_eq_u32_e64 s9, 0, v12
	v_cmp_eq_u32_e64 s10, 0, v19
	v_cmp_lt_u32_e64 s11, 1, v19
	v_cmp_lt_u32_e64 s12, 3, v19
	v_lshl_add_u32 v18, v1, 1, v2
	v_add_nc_u32_e32 v19, v13, v6
	s_add_co_i32 s29, s21, s20
	s_branch .LBB2000_6
.LBB2000_5:                             ;   in Loop: Header=BB2000_6 Depth=1
	s_and_not1_b32 vcc_lo, exec_lo, s13
	s_cbranch_vccz .LBB2000_22
.LBB2000_6:                             ; =>This Inner Loop Header: Depth=1
	v_mov_b32_e32 v20, v5
	s_min_u32 s13, s28, s21
	ds_store_2addr_b64 v13, v[8:9], v[10:11] offset0:4 offset1:5
	ds_store_2addr_b64 v13, v[8:9], v[10:11] offset0:6 offset1:7
	s_lshl_b32 s30, -1, s13
	s_wait_dscnt 0x0
	v_cmp_ne_u16_e32 vcc_lo, 0x7fff, v20
	s_barrier_signal -1
	s_barrier_wait -1
	v_cndmask_b32_e32 v1, 0xffff8000, v20, vcc_lo
	; wave barrier
	s_delay_alu instid0(VALU_DEP_1) | instskip(NEXT) | instid1(VALU_DEP_1)
	v_and_b32_e32 v1, 0xffff, v1
	v_lshrrev_b32_e32 v1, s20, v1
	s_delay_alu instid0(VALU_DEP_1) | instskip(SKIP_1) | instid1(VALU_DEP_2)
	v_bitop3_b32 v2, v1, 1, s30 bitop3:0x40
	v_bitop3_b32 v5, v1, s30, v1 bitop3:0x30
	v_add_co_u32 v1, s13, v2, -1
	s_delay_alu instid0(VALU_DEP_1) | instskip(NEXT) | instid1(VALU_DEP_3)
	v_cndmask_b32_e64 v2, 0, 1, s13
	v_dual_lshlrev_b32 v6, 30, v5 :: v_dual_lshlrev_b32 v7, 29, v5
	v_dual_lshlrev_b32 v21, 28, v5 :: v_dual_lshlrev_b32 v22, 27, v5
	v_lshlrev_b32_e32 v23, 26, v5
	s_delay_alu instid0(VALU_DEP_4) | instskip(NEXT) | instid1(VALU_DEP_4)
	v_cmp_ne_u32_e32 vcc_lo, 0, v2
	v_not_b32_e32 v2, v6
	v_cmp_gt_i32_e64 s13, 0, v6
	v_cmp_gt_i32_e64 s14, 0, v7
	v_not_b32_e32 v6, v7
	v_not_b32_e32 v7, v21
	v_dual_ashrrev_i32 v2, 31, v2 :: v_dual_bitop2_b32 v1, vcc_lo, v1 bitop3:0x14
	v_dual_lshlrev_b32 v24, 25, v5 :: v_dual_lshlrev_b32 v25, 24, v5
	v_cmp_gt_i32_e64 s15, 0, v21
	v_cmp_gt_i32_e64 s16, 0, v22
	v_not_b32_e32 v21, v22
	v_not_b32_e32 v22, v23
	v_dual_ashrrev_i32 v6, 31, v6 :: v_dual_ashrrev_i32 v7, 31, v7
	s_delay_alu instid0(VALU_DEP_3)
	v_dual_ashrrev_i32 v21, 31, v21 :: v_dual_bitop2_b32 v2, s13, v2 bitop3:0x14
	v_cmp_gt_i32_e64 s17, 0, v23
	v_cmp_gt_i32_e64 s18, 0, v24
	v_not_b32_e32 v23, v24
	v_not_b32_e32 v24, v25
	v_dual_ashrrev_i32 v22, 31, v22 :: v_dual_bitop2_b32 v7, s15, v7 bitop3:0x14
	v_xor_b32_e32 v6, s14, v6
	v_bitop3_b32 v1, v1, v2, exec_lo bitop3:0x80
	v_cmp_gt_i32_e64 s19, 0, v25
	v_dual_ashrrev_i32 v2, 31, v23 :: v_dual_ashrrev_i32 v23, 31, v24
	v_xor_b32_e32 v21, s16, v21
	v_xor_b32_e32 v22, s17, v22
	v_bitop3_b32 v1, v1, v7, v6 bitop3:0x80
	s_delay_alu instid0(VALU_DEP_4) | instskip(SKIP_2) | instid1(VALU_DEP_4)
	v_xor_b32_e32 v2, s18, v2
	v_dual_mov_b32 v23, v0 :: v_dual_bitop2_b32 v6, s19, v23 bitop3:0x14
	v_lshlrev_b32_e32 v0, 5, v5
	v_bitop3_b32 v1, v1, v22, v21 bitop3:0x80
	v_dual_mov_b32 v22, v3 :: v_dual_mov_b32 v21, v4
	s_delay_alu instid0(VALU_DEP_3) | instskip(NEXT) | instid1(VALU_DEP_3)
	v_add_nc_u32_e32 v25, v14, v0
	v_bitop3_b32 v1, v1, v6, v2 bitop3:0x80
	s_delay_alu instid0(VALU_DEP_1) | instskip(SKIP_1) | instid1(VALU_DEP_2)
	v_mbcnt_lo_u32_b32 v24, v1, 0
	v_cmp_ne_u32_e64 s13, 0, v1
	v_cmp_eq_u32_e32 vcc_lo, 0, v24
	s_and_b32 s14, s13, vcc_lo
	s_delay_alu instid0(SALU_CYCLE_1)
	s_and_saveexec_b32 s13, s14
; %bb.7:                                ;   in Loop: Header=BB2000_6 Depth=1
	v_bcnt_u32_b32 v0, v1, 0
	ds_store_b32 v25, v0 offset:32
; %bb.8:                                ;   in Loop: Header=BB2000_6 Depth=1
	s_or_b32 exec_lo, exec_lo, s13
	v_cmp_ne_u16_e32 vcc_lo, 0x7fff, v23
	s_not_b32 s19, s30
	; wave barrier
	v_cndmask_b32_e32 v0, 0xffff8000, v23, vcc_lo
	s_delay_alu instid0(VALU_DEP_1) | instskip(NEXT) | instid1(VALU_DEP_1)
	v_and_b32_e32 v0, 0xffff, v0
	v_lshrrev_b32_e32 v0, s20, v0
	s_delay_alu instid0(VALU_DEP_1) | instskip(NEXT) | instid1(VALU_DEP_1)
	v_and_b32_e32 v1, s19, v0
	v_lshlrev_b32_e32 v2, 5, v1
	v_bitop3_b32 v0, v0, 1, s19 bitop3:0x80
	v_lshlrev_b32_e32 v4, 30, v1
	s_delay_alu instid0(VALU_DEP_2) | instskip(NEXT) | instid1(VALU_DEP_1)
	v_add_co_u32 v0, s13, v0, -1
	v_cndmask_b32_e64 v3, 0, 1, s13
	s_delay_alu instid0(VALU_DEP_1) | instskip(NEXT) | instid1(VALU_DEP_4)
	v_cmp_ne_u32_e32 vcc_lo, 0, v3
	v_not_b32_e32 v3, v4
	s_delay_alu instid0(VALU_DEP_1) | instskip(SKIP_3) | instid1(VALU_DEP_4)
	v_dual_ashrrev_i32 v3, 31, v3 :: v_dual_lshlrev_b32 v5, 29, v1
	v_dual_lshlrev_b32 v6, 28, v1 :: v_dual_lshlrev_b32 v7, 27, v1
	v_lshlrev_b32_e32 v26, 26, v1
	v_cmp_gt_i32_e64 s13, 0, v4
	v_cmp_gt_i32_e64 s14, 0, v5
	v_not_b32_e32 v4, v5
	v_not_b32_e32 v5, v6
	v_dual_lshlrev_b32 v27, 25, v1 :: v_dual_lshlrev_b32 v1, 24, v1
	v_cmp_gt_i32_e64 s15, 0, v6
	v_cmp_gt_i32_e64 s16, 0, v7
	v_not_b32_e32 v6, v7
	v_not_b32_e32 v7, v26
	v_dual_ashrrev_i32 v5, 31, v5 :: v_dual_bitop2_b32 v0, vcc_lo, v0 bitop3:0x14
	v_dual_ashrrev_i32 v4, 31, v4 :: v_dual_bitop2_b32 v3, s13, v3 bitop3:0x14
	v_cmp_gt_i32_e64 s17, 0, v26
	v_not_b32_e32 v26, v27
	v_dual_ashrrev_i32 v6, 31, v6 :: v_dual_ashrrev_i32 v7, 31, v7
	s_delay_alu instid0(VALU_DEP_4)
	v_xor_b32_e32 v4, s14, v4
	v_bitop3_b32 v0, v0, v3, exec_lo bitop3:0x80
	v_not_b32_e32 v3, v1
	v_xor_b32_e32 v5, s15, v5
	v_cmp_gt_i32_e64 s18, 0, v27
	v_ashrrev_i32_e32 v26, 31, v26
	v_xor_b32_e32 v6, s16, v6
	v_dual_add_nc_u32 v27, v14, v2 :: v_dual_bitop2_b32 v7, s17, v7 bitop3:0x14
	v_cmp_gt_i32_e32 vcc_lo, 0, v1
	v_ashrrev_i32_e32 v1, 31, v3
	v_bitop3_b32 v0, v0, v5, v4 bitop3:0x80
	v_xor_b32_e32 v2, s18, v26
	ds_load_b32 v26, v27 offset:32
	v_xor_b32_e32 v1, vcc_lo, v1
	v_bitop3_b32 v0, v0, v7, v6 bitop3:0x80
	; wave barrier
	s_delay_alu instid0(VALU_DEP_1) | instskip(NEXT) | instid1(VALU_DEP_1)
	v_bitop3_b32 v0, v0, v1, v2 bitop3:0x80
	v_mbcnt_lo_u32_b32 v28, v0, 0
	v_cmp_ne_u32_e64 s13, 0, v0
	s_delay_alu instid0(VALU_DEP_2) | instskip(SKIP_1) | instid1(SALU_CYCLE_1)
	v_cmp_eq_u32_e32 vcc_lo, 0, v28
	s_and_b32 s14, s13, vcc_lo
	s_and_saveexec_b32 s13, s14
	s_cbranch_execz .LBB2000_10
; %bb.9:                                ;   in Loop: Header=BB2000_6 Depth=1
	s_wait_dscnt 0x0
	v_bcnt_u32_b32 v0, v0, v26
	ds_store_b32 v27, v0 offset:32
.LBB2000_10:                            ;   in Loop: Header=BB2000_6 Depth=1
	s_or_b32 exec_lo, exec_lo, s13
	v_cmp_ne_u16_e32 vcc_lo, 0x7fff, v22
	; wave barrier
	v_cndmask_b32_e32 v0, 0xffff8000, v22, vcc_lo
	s_delay_alu instid0(VALU_DEP_1) | instskip(NEXT) | instid1(VALU_DEP_1)
	v_and_b32_e32 v0, 0xffff, v0
	v_lshrrev_b32_e32 v0, s20, v0
	s_delay_alu instid0(VALU_DEP_1) | instskip(NEXT) | instid1(VALU_DEP_1)
	v_and_b32_e32 v1, s19, v0
	v_lshlrev_b32_e32 v2, 5, v1
	v_bitop3_b32 v0, v0, 1, s19 bitop3:0x80
	v_lshlrev_b32_e32 v4, 30, v1
	s_delay_alu instid0(VALU_DEP_2) | instskip(NEXT) | instid1(VALU_DEP_1)
	v_add_co_u32 v0, s13, v0, -1
	v_cndmask_b32_e64 v3, 0, 1, s13
	s_delay_alu instid0(VALU_DEP_1) | instskip(NEXT) | instid1(VALU_DEP_4)
	v_cmp_ne_u32_e32 vcc_lo, 0, v3
	v_not_b32_e32 v3, v4
	s_delay_alu instid0(VALU_DEP_1)
	v_dual_ashrrev_i32 v3, 31, v3 :: v_dual_lshlrev_b32 v5, 29, v1
	v_dual_lshlrev_b32 v6, 28, v1 :: v_dual_lshlrev_b32 v7, 27, v1
	v_dual_lshlrev_b32 v29, 26, v1 :: v_dual_lshlrev_b32 v30, 25, v1
	v_lshlrev_b32_e32 v1, 24, v1
	v_cmp_gt_i32_e64 s13, 0, v4
	v_cmp_gt_i32_e64 s14, 0, v5
	v_not_b32_e32 v4, v5
	v_not_b32_e32 v5, v6
	v_cmp_gt_i32_e64 s15, 0, v6
	v_cmp_gt_i32_e64 s16, 0, v7
	v_not_b32_e32 v6, v7
	v_cmp_gt_i32_e64 s17, 0, v29
	v_not_b32_e32 v7, v29
	v_not_b32_e32 v29, v30
	v_dual_ashrrev_i32 v5, 31, v5 :: v_dual_bitop2_b32 v0, vcc_lo, v0 bitop3:0x14
	v_dual_ashrrev_i32 v4, 31, v4 :: v_dual_ashrrev_i32 v6, 31, v6
	v_xor_b32_e32 v3, s13, v3
	v_not_b32_e32 v31, v1
	s_delay_alu instid0(VALU_DEP_3) | instskip(SKIP_1) | instid1(VALU_DEP_4)
	v_dual_ashrrev_i32 v7, 31, v7 :: v_dual_bitop2_b32 v4, s14, v4 bitop3:0x14
	v_xor_b32_e32 v5, s15, v5
	v_bitop3_b32 v0, v0, v3, exec_lo bitop3:0x80
	v_xor_b32_e32 v6, s16, v6
	s_delay_alu instid0(VALU_DEP_4)
	v_xor_b32_e32 v3, s17, v7
	v_cmp_gt_i32_e32 vcc_lo, 0, v30
	v_ashrrev_i32_e32 v7, 31, v29
	v_cmp_gt_i32_e64 s13, 0, v1
	v_ashrrev_i32_e32 v1, 31, v31
	v_bitop3_b32 v0, v0, v5, v4 bitop3:0x80
	s_delay_alu instid0(VALU_DEP_4) | instskip(NEXT) | instid1(VALU_DEP_3)
	v_dual_add_nc_u32 v31, v14, v2 :: v_dual_bitop2_b32 v2, vcc_lo, v7 bitop3:0x14
	v_xor_b32_e32 v1, s13, v1
	s_delay_alu instid0(VALU_DEP_3) | instskip(SKIP_2) | instid1(VALU_DEP_1)
	v_bitop3_b32 v0, v0, v3, v6 bitop3:0x80
	ds_load_b32 v29, v31 offset:32
	; wave barrier
	v_bitop3_b32 v0, v0, v1, v2 bitop3:0x80
	v_mbcnt_lo_u32_b32 v30, v0, 0
	v_cmp_ne_u32_e64 s13, 0, v0
	s_delay_alu instid0(VALU_DEP_2) | instskip(SKIP_1) | instid1(SALU_CYCLE_1)
	v_cmp_eq_u32_e32 vcc_lo, 0, v30
	s_and_b32 s14, s13, vcc_lo
	s_and_saveexec_b32 s13, s14
	s_cbranch_execz .LBB2000_12
; %bb.11:                               ;   in Loop: Header=BB2000_6 Depth=1
	s_wait_dscnt 0x0
	v_bcnt_u32_b32 v0, v0, v29
	ds_store_b32 v31, v0 offset:32
.LBB2000_12:                            ;   in Loop: Header=BB2000_6 Depth=1
	s_or_b32 exec_lo, exec_lo, s13
	v_cmp_ne_u16_e32 vcc_lo, 0x7fff, v21
	; wave barrier
	v_cndmask_b32_e32 v0, 0xffff8000, v21, vcc_lo
	s_delay_alu instid0(VALU_DEP_1) | instskip(NEXT) | instid1(VALU_DEP_1)
	v_and_b32_e32 v0, 0xffff, v0
	v_lshrrev_b32_e32 v0, s20, v0
	s_delay_alu instid0(VALU_DEP_1) | instskip(NEXT) | instid1(VALU_DEP_1)
	v_and_b32_e32 v1, s19, v0
	v_lshlrev_b32_e32 v2, 5, v1
	v_bitop3_b32 v0, v0, 1, s19 bitop3:0x80
	v_dual_lshlrev_b32 v4, 30, v1 :: v_dual_lshlrev_b32 v5, 29, v1
	v_lshlrev_b32_e32 v6, 28, v1
	s_delay_alu instid0(VALU_DEP_3) | instskip(NEXT) | instid1(VALU_DEP_1)
	v_add_co_u32 v0, s13, v0, -1
	v_cndmask_b32_e64 v3, 0, 1, s13
	s_delay_alu instid0(VALU_DEP_4) | instskip(SKIP_1) | instid1(VALU_DEP_3)
	v_cmp_gt_i32_e64 s13, 0, v4
	v_cmp_gt_i32_e64 s14, 0, v5
	v_cmp_ne_u32_e32 vcc_lo, 0, v3
	v_not_b32_e32 v3, v4
	v_not_b32_e32 v4, v5
	;; [unrolled: 1-line block ×3, first 2 shown]
	s_delay_alu instid0(VALU_DEP_3) | instskip(NEXT) | instid1(VALU_DEP_2)
	v_dual_ashrrev_i32 v3, 31, v3 :: v_dual_bitop2_b32 v0, vcc_lo, v0 bitop3:0x14
	v_ashrrev_i32_e32 v5, 31, v5
	v_dual_lshlrev_b32 v7, 27, v1 :: v_dual_lshlrev_b32 v32, 26, v1
	v_dual_lshlrev_b32 v33, 25, v1 :: v_dual_lshlrev_b32 v1, 24, v1
	v_cmp_gt_i32_e64 s15, 0, v6
	s_delay_alu instid0(VALU_DEP_3) | instskip(SKIP_4) | instid1(VALU_DEP_4)
	v_cmp_gt_i32_e64 s16, 0, v7
	v_not_b32_e32 v6, v7
	v_cmp_gt_i32_e64 s17, 0, v32
	v_not_b32_e32 v7, v32
	v_not_b32_e32 v32, v33
	v_dual_ashrrev_i32 v4, 31, v4 :: v_dual_ashrrev_i32 v6, 31, v6
	v_xor_b32_e32 v3, s13, v3
	v_not_b32_e32 v34, v1
	s_delay_alu instid0(VALU_DEP_3) | instskip(SKIP_1) | instid1(VALU_DEP_4)
	v_dual_ashrrev_i32 v7, 31, v7 :: v_dual_bitop2_b32 v4, s14, v4 bitop3:0x14
	v_xor_b32_e32 v5, s15, v5
	v_bitop3_b32 v0, v0, v3, exec_lo bitop3:0x80
	v_xor_b32_e32 v6, s16, v6
	s_delay_alu instid0(VALU_DEP_4)
	v_xor_b32_e32 v3, s17, v7
	v_cmp_gt_i32_e32 vcc_lo, 0, v33
	v_ashrrev_i32_e32 v7, 31, v32
	v_cmp_gt_i32_e64 s13, 0, v1
	v_ashrrev_i32_e32 v1, 31, v34
	v_bitop3_b32 v0, v0, v5, v4 bitop3:0x80
	s_delay_alu instid0(VALU_DEP_4) | instskip(NEXT) | instid1(VALU_DEP_3)
	v_dual_add_nc_u32 v34, v14, v2 :: v_dual_bitop2_b32 v2, vcc_lo, v7 bitop3:0x14
	v_xor_b32_e32 v1, s13, v1
	s_delay_alu instid0(VALU_DEP_3) | instskip(SKIP_2) | instid1(VALU_DEP_1)
	v_bitop3_b32 v0, v0, v3, v6 bitop3:0x80
	ds_load_b32 v32, v34 offset:32
	; wave barrier
	v_bitop3_b32 v0, v0, v1, v2 bitop3:0x80
	v_mbcnt_lo_u32_b32 v33, v0, 0
	v_cmp_ne_u32_e64 s13, 0, v0
	s_delay_alu instid0(VALU_DEP_2) | instskip(SKIP_1) | instid1(SALU_CYCLE_1)
	v_cmp_eq_u32_e32 vcc_lo, 0, v33
	s_and_b32 s14, s13, vcc_lo
	s_and_saveexec_b32 s13, s14
	s_cbranch_execz .LBB2000_14
; %bb.13:                               ;   in Loop: Header=BB2000_6 Depth=1
	s_wait_dscnt 0x0
	v_bcnt_u32_b32 v0, v0, v32
	ds_store_b32 v34, v0 offset:32
.LBB2000_14:                            ;   in Loop: Header=BB2000_6 Depth=1
	s_or_b32 exec_lo, exec_lo, s13
	; wave barrier
	s_wait_dscnt 0x0
	s_barrier_signal -1
	s_barrier_wait -1
	ds_load_2addr_b64 v[4:7], v13 offset0:4 offset1:5
	ds_load_2addr_b64 v[0:3], v13 offset0:6 offset1:7
	s_wait_dscnt 0x1
	v_add_nc_u32_e32 v35, v5, v4
	s_delay_alu instid0(VALU_DEP_1) | instskip(SKIP_1) | instid1(VALU_DEP_1)
	v_add3_u32 v35, v35, v6, v7
	s_wait_dscnt 0x0
	v_add3_u32 v35, v35, v0, v1
	s_delay_alu instid0(VALU_DEP_1) | instskip(NEXT) | instid1(VALU_DEP_1)
	v_add3_u32 v3, v35, v2, v3
	v_mov_b32_dpp v35, v3 row_shr:1 row_mask:0xf bank_mask:0xf
	s_delay_alu instid0(VALU_DEP_1) | instskip(NEXT) | instid1(VALU_DEP_1)
	v_cndmask_b32_e64 v35, v35, 0, s3
	v_add_nc_u32_e32 v3, v35, v3
	s_delay_alu instid0(VALU_DEP_1) | instskip(NEXT) | instid1(VALU_DEP_1)
	v_mov_b32_dpp v35, v3 row_shr:2 row_mask:0xf bank_mask:0xf
	v_cndmask_b32_e64 v35, 0, v35, s4
	s_delay_alu instid0(VALU_DEP_1) | instskip(NEXT) | instid1(VALU_DEP_1)
	v_add_nc_u32_e32 v3, v3, v35
	v_mov_b32_dpp v35, v3 row_shr:4 row_mask:0xf bank_mask:0xf
	s_delay_alu instid0(VALU_DEP_1) | instskip(NEXT) | instid1(VALU_DEP_1)
	v_cndmask_b32_e64 v35, 0, v35, s5
	v_add_nc_u32_e32 v3, v3, v35
	s_delay_alu instid0(VALU_DEP_1) | instskip(NEXT) | instid1(VALU_DEP_1)
	v_mov_b32_dpp v35, v3 row_shr:8 row_mask:0xf bank_mask:0xf
	v_cndmask_b32_e64 v35, 0, v35, s6
	s_delay_alu instid0(VALU_DEP_1) | instskip(SKIP_3) | instid1(VALU_DEP_1)
	v_add_nc_u32_e32 v3, v3, v35
	ds_swizzle_b32 v35, v3 offset:swizzle(BROADCAST,32,15)
	s_wait_dscnt 0x0
	v_cndmask_b32_e64 v35, v35, 0, s7
	v_add_nc_u32_e32 v3, v3, v35
	s_and_saveexec_b32 s13, s8
; %bb.15:                               ;   in Loop: Header=BB2000_6 Depth=1
	ds_store_b32 v16, v3
; %bb.16:                               ;   in Loop: Header=BB2000_6 Depth=1
	s_or_b32 exec_lo, exec_lo, s13
	s_wait_dscnt 0x0
	s_barrier_signal -1
	s_barrier_wait -1
	s_and_saveexec_b32 s13, s0
	s_cbranch_execz .LBB2000_18
; %bb.17:                               ;   in Loop: Header=BB2000_6 Depth=1
	ds_load_b32 v35, v19
	s_wait_dscnt 0x0
	v_mov_b32_dpp v36, v35 row_shr:1 row_mask:0xf bank_mask:0xf
	s_delay_alu instid0(VALU_DEP_1) | instskip(NEXT) | instid1(VALU_DEP_1)
	v_cndmask_b32_e64 v36, v36, 0, s10
	v_add_nc_u32_e32 v35, v36, v35
	s_delay_alu instid0(VALU_DEP_1) | instskip(NEXT) | instid1(VALU_DEP_1)
	v_mov_b32_dpp v36, v35 row_shr:2 row_mask:0xf bank_mask:0xf
	v_cndmask_b32_e64 v36, 0, v36, s11
	s_delay_alu instid0(VALU_DEP_1) | instskip(NEXT) | instid1(VALU_DEP_1)
	v_add_nc_u32_e32 v35, v35, v36
	v_mov_b32_dpp v36, v35 row_shr:4 row_mask:0xf bank_mask:0xf
	s_delay_alu instid0(VALU_DEP_1) | instskip(NEXT) | instid1(VALU_DEP_1)
	v_cndmask_b32_e64 v36, 0, v36, s12
	v_add_nc_u32_e32 v35, v35, v36
	ds_store_b32 v19, v35
.LBB2000_18:                            ;   in Loop: Header=BB2000_6 Depth=1
	s_or_b32 exec_lo, exec_lo, s13
	v_mov_b32_e32 v35, 0
	s_wait_dscnt 0x0
	s_barrier_signal -1
	s_barrier_wait -1
	s_and_saveexec_b32 s13, s1
; %bb.19:                               ;   in Loop: Header=BB2000_6 Depth=1
	ds_load_b32 v35, v17
; %bb.20:                               ;   in Loop: Header=BB2000_6 Depth=1
	s_or_b32 exec_lo, exec_lo, s13
	s_wait_dscnt 0x0
	v_add_nc_u32_e32 v3, v35, v3
	s_add_co_i32 s20, s20, 8
	s_mov_b32 s13, -1
	s_cmp_ge_u32 s20, s29
	ds_bpermute_b32 v3, v15, v3
	s_wait_dscnt 0x0
	v_cndmask_b32_e64 v3, v3, v35, s2
	s_delay_alu instid0(VALU_DEP_1) | instskip(NEXT) | instid1(VALU_DEP_1)
	v_cndmask_b32_e64 v36, v3, 0, s9
	v_add_nc_u32_e32 v37, v36, v4
	s_delay_alu instid0(VALU_DEP_1) | instskip(NEXT) | instid1(VALU_DEP_1)
	v_add_nc_u32_e32 v4, v37, v5
	v_add_nc_u32_e32 v5, v4, v6
	s_delay_alu instid0(VALU_DEP_1) | instskip(NEXT) | instid1(VALU_DEP_1)
	v_add_nc_u32_e32 v6, v5, v7
	;; [unrolled: 3-line block ×3, first 2 shown]
	v_add_nc_u32_e32 v1, v0, v2
	ds_store_2addr_b64 v13, v[36:37], v[4:5] offset0:4 offset1:5
	ds_store_2addr_b64 v13, v[6:7], v[0:1] offset0:6 offset1:7
	s_wait_dscnt 0x0
	s_barrier_signal -1
	s_barrier_wait -1
	ds_load_b32 v0, v27 offset:32
	ds_load_b32 v1, v31 offset:32
	;; [unrolled: 1-line block ×4, first 2 shown]
	v_lshlrev_b32_e32 v4, 1, v24
	v_dual_lshlrev_b32 v5, 1, v28 :: v_dual_lshlrev_b32 v6, 1, v26
	v_dual_lshlrev_b32 v7, 1, v30 :: v_dual_lshlrev_b32 v24, 1, v29
	;; [unrolled: 1-line block ×3, first 2 shown]
	s_wait_dscnt 0x0
	v_dual_lshlrev_b32 v0, 1, v0 :: v_dual_lshlrev_b32 v27, 1, v1
	v_lshlrev_b32_e32 v28, 1, v2
	v_lshl_add_u32 v1, v3, 1, v4
                                        ; implicit-def: $vgpr4
                                        ; implicit-def: $vgpr3
	s_delay_alu instid0(VALU_DEP_3) | instskip(NEXT) | instid1(VALU_DEP_4)
	v_add3_u32 v2, v5, v6, v0
	v_add3_u32 v6, v7, v24, v27
	s_delay_alu instid0(VALU_DEP_4)
	v_add3_u32 v7, v25, v26, v28
                                        ; implicit-def: $vgpr5
                                        ; implicit-def: $vgpr0
	s_cbranch_scc1 .LBB2000_5
; %bb.21:                               ;   in Loop: Header=BB2000_6 Depth=1
	s_barrier_signal -1
	s_barrier_wait -1
	ds_store_b16 v1, v20
	ds_store_b16 v2, v23
	;; [unrolled: 1-line block ×4, first 2 shown]
	s_wait_dscnt 0x0
	s_barrier_signal -1
	s_barrier_wait -1
	ds_load_u16 v5, v18
	ds_load_u16 v0, v18 offset:64
	ds_load_u16 v3, v18 offset:128
	;; [unrolled: 1-line block ×3, first 2 shown]
	s_add_co_i32 s21, s21, -8
	s_mov_b32 s13, 0
	s_wait_dscnt 0x0
	s_barrier_signal -1
	s_barrier_wait -1
	s_branch .LBB2000_5
.LBB2000_22:
	v_lshlrev_b32_e32 v0, 1, v12
	s_barrier_signal -1
	s_barrier_wait -1
	ds_store_b16 v1, v20
	ds_store_b16 v2, v23
	;; [unrolled: 1-line block ×4, first 2 shown]
	s_wait_dscnt 0x0
	s_barrier_signal -1
	s_barrier_wait -1
	v_mov_b32_e32 v1, 0
	ds_load_u16 v3, v0
	ds_load_u16 v4, v0 offset:512
	ds_load_u16 v6, v0 offset:1024
	;; [unrolled: 1-line block ×3, first 2 shown]
	s_add_nc_u64 s[0:1], s[22:23], s[24:25]
	s_delay_alu instid0(SALU_CYCLE_1)
	v_add_nc_u64_e32 v[0:1], s[0:1], v[0:1]
	s_mov_b32 s1, -1
	s_mov_b32 s0, 0
	s_wait_dscnt 0x3
	v_cmp_lt_i16_e32 vcc_lo, -1, v3
	v_cndmask_b32_e64 v5, 0xffff8000, -1, vcc_lo
	s_wait_dscnt 0x2
	v_cmp_lt_i16_e32 vcc_lo, -1, v4
	s_delay_alu instid0(VALU_DEP_2) | instskip(SKIP_3) | instid1(VALU_DEP_2)
	v_xor_b32_e32 v5, v5, v3
	v_cndmask_b32_e64 v7, 0xffff8000, -1, vcc_lo
	s_wait_dscnt 0x1
	v_cmp_lt_i16_e32 vcc_lo, -1, v6
	v_xor_b32_e32 v4, v7, v4
	v_cndmask_b32_e64 v8, 0xffff8000, -1, vcc_lo
	s_and_not1_b32 vcc_lo, exec_lo, s27
	s_delay_alu instid0(VALU_DEP_1)
	v_xor_b32_e32 v3, v8, v6
	s_cbranch_vccz .LBB2000_34
; %bb.23:
	s_and_not1_b32 vcc_lo, exec_lo, s1
	s_cbranch_vccz .LBB2000_35
.LBB2000_24:
	s_wait_xcnt 0x0
	s_and_saveexec_b32 s1, s0
	s_cbranch_execnz .LBB2000_42
.LBB2000_25:
	s_endpgm
.LBB2000_26:
	s_clause 0x2
	global_load_u16 v6, v[4:5], off
	global_load_u16 v3, v[4:5], off offset:64
	global_load_u16 v7, v[4:5], off offset:128
	s_mov_b32 s3, -1
	s_load_b64 s[20:21], s[0:1], 0x28
	s_sub_co_i32 s26, s4, s2
	s_cbranch_execnz .LBB2000_2
.LBB2000_27:
	v_or_b32_e32 v8, v1, v8
	s_wait_loadcnt 0x1
	v_dual_mov_b32 v3, 0x7fff :: v_dual_mov_b32 v6, 0x7fff
	s_mov_b32 s2, exec_lo
	s_delay_alu instid0(VALU_DEP_2)
	v_cmpx_gt_u32_e64 s26, v8
	s_cbranch_execz .LBB2000_29
; %bb.28:
	global_load_u16 v6, v[4:5], off
.LBB2000_29:
	s_wait_xcnt 0x0
	s_or_b32 exec_lo, exec_lo, s2
	s_wait_loadcnt 0x0
	v_or_b32_e32 v7, 32, v8
	s_mov_b32 s2, exec_lo
	s_delay_alu instid0(VALU_DEP_1)
	v_cmpx_gt_u32_e64 s26, v7
	s_cbranch_execz .LBB2000_31
; %bb.30:
	global_load_u16 v3, v[4:5], off offset:64
.LBB2000_31:
	s_wait_xcnt 0x0
	s_or_b32 exec_lo, exec_lo, s2
	v_or_b32_e32 v7, 64, v8
	s_delay_alu instid0(VALU_DEP_1)
	v_cmp_gt_u32_e32 vcc_lo, s26, v7
	v_mov_b32_e32 v7, 0x7fff
	s_and_saveexec_b32 s2, vcc_lo
	s_cbranch_execz .LBB2000_33
; %bb.32:
	global_load_u16 v7, v[4:5], off offset:128
.LBB2000_33:
	s_wait_xcnt 0x0
	s_or_b32 exec_lo, exec_lo, s2
	v_or_b32_e32 v8, 0x60, v8
	s_delay_alu instid0(VALU_DEP_1)
	v_cmp_gt_u32_e64 s3, s26, v8
	v_mov_b32_e32 v8, 0x7fff
	s_and_saveexec_b32 s2, s3
	s_cbranch_execnz .LBB2000_3
	s_branch .LBB2000_4
.LBB2000_34:
	s_mov_b32 s0, -1
	s_clause 0x2
	global_store_b16 v[0:1], v5, off
	global_store_b16 v[0:1], v4, off offset:512
	global_store_b16 v[0:1], v3, off offset:1024
	s_cbranch_execnz .LBB2000_24
.LBB2000_35:
	s_mov_b32 s0, exec_lo
	s_wait_xcnt 0x0
	v_cmpx_gt_u32_e64 s26, v12
	s_cbranch_execz .LBB2000_37
; %bb.36:
	global_store_b16 v[0:1], v5, off
.LBB2000_37:
	s_wait_xcnt 0x0
	s_or_b32 exec_lo, exec_lo, s0
	v_add_nc_u32_e32 v5, 0x100, v12
	s_mov_b32 s0, exec_lo
	s_delay_alu instid0(VALU_DEP_1)
	v_cmpx_gt_u32_e64 s26, v5
	s_cbranch_execz .LBB2000_39
; %bb.38:
	global_store_b16 v[0:1], v4, off offset:512
.LBB2000_39:
	s_wait_xcnt 0x0
	s_or_b32 exec_lo, exec_lo, s0
	v_add_nc_u32_e32 v4, 0x200, v12
	s_mov_b32 s0, exec_lo
	s_delay_alu instid0(VALU_DEP_1)
	v_cmpx_gt_u32_e64 s26, v4
	s_cbranch_execz .LBB2000_41
; %bb.40:
	global_store_b16 v[0:1], v3, off offset:1024
.LBB2000_41:
	s_wait_xcnt 0x0
	s_or_b32 exec_lo, exec_lo, s0
	v_add_nc_u32_e32 v3, 0x300, v12
	s_delay_alu instid0(VALU_DEP_1)
	v_cmp_gt_u32_e64 s0, s26, v3
	s_and_saveexec_b32 s1, s0
	s_cbranch_execz .LBB2000_25
.LBB2000_42:
	s_wait_dscnt 0x0
	v_cmp_lt_i16_e32 vcc_lo, -1, v2
	v_cndmask_b32_e64 v3, 0xffff8000, -1, vcc_lo
	s_delay_alu instid0(VALU_DEP_1)
	v_xor_b32_e32 v2, v3, v2
	global_store_b16 v[0:1], v2, off offset:1536
	s_endpgm
	.section	.rodata,"a",@progbits
	.p2align	6, 0x0
	.amdhsa_kernel _ZN7rocprim17ROCPRIM_400000_NS6detail17trampoline_kernelINS0_13kernel_configILj256ELj4ELj4294967295EEENS1_37radix_sort_block_sort_config_selectorI12hip_bfloat16NS0_10empty_typeEEEZNS1_21radix_sort_block_sortIS4_Lb0EPKS6_PS6_PS7_SD_NS0_19identity_decomposerEEE10hipError_tT1_T2_T3_T4_jRjT5_jjP12ihipStream_tbEUlT_E_NS1_11comp_targetILNS1_3genE0ELNS1_11target_archE4294967295ELNS1_3gpuE0ELNS1_3repE0EEENS1_44radix_sort_block_sort_config_static_selectorELNS0_4arch9wavefront6targetE0EEEvSG_
		.amdhsa_group_segment_fixed_size 8224
		.amdhsa_private_segment_fixed_size 0
		.amdhsa_kernarg_size 304
		.amdhsa_user_sgpr_count 2
		.amdhsa_user_sgpr_dispatch_ptr 0
		.amdhsa_user_sgpr_queue_ptr 0
		.amdhsa_user_sgpr_kernarg_segment_ptr 1
		.amdhsa_user_sgpr_dispatch_id 0
		.amdhsa_user_sgpr_kernarg_preload_length 0
		.amdhsa_user_sgpr_kernarg_preload_offset 0
		.amdhsa_user_sgpr_private_segment_size 0
		.amdhsa_wavefront_size32 1
		.amdhsa_uses_dynamic_stack 0
		.amdhsa_enable_private_segment 0
		.amdhsa_system_sgpr_workgroup_id_x 1
		.amdhsa_system_sgpr_workgroup_id_y 0
		.amdhsa_system_sgpr_workgroup_id_z 0
		.amdhsa_system_sgpr_workgroup_info 0
		.amdhsa_system_vgpr_workitem_id 2
		.amdhsa_next_free_vgpr 38
		.amdhsa_next_free_sgpr 31
		.amdhsa_named_barrier_count 0
		.amdhsa_reserve_vcc 1
		.amdhsa_float_round_mode_32 0
		.amdhsa_float_round_mode_16_64 0
		.amdhsa_float_denorm_mode_32 3
		.amdhsa_float_denorm_mode_16_64 3
		.amdhsa_fp16_overflow 0
		.amdhsa_memory_ordered 1
		.amdhsa_forward_progress 1
		.amdhsa_inst_pref_size 30
		.amdhsa_round_robin_scheduling 0
		.amdhsa_exception_fp_ieee_invalid_op 0
		.amdhsa_exception_fp_denorm_src 0
		.amdhsa_exception_fp_ieee_div_zero 0
		.amdhsa_exception_fp_ieee_overflow 0
		.amdhsa_exception_fp_ieee_underflow 0
		.amdhsa_exception_fp_ieee_inexact 0
		.amdhsa_exception_int_div_zero 0
	.end_amdhsa_kernel
	.section	.text._ZN7rocprim17ROCPRIM_400000_NS6detail17trampoline_kernelINS0_13kernel_configILj256ELj4ELj4294967295EEENS1_37radix_sort_block_sort_config_selectorI12hip_bfloat16NS0_10empty_typeEEEZNS1_21radix_sort_block_sortIS4_Lb0EPKS6_PS6_PS7_SD_NS0_19identity_decomposerEEE10hipError_tT1_T2_T3_T4_jRjT5_jjP12ihipStream_tbEUlT_E_NS1_11comp_targetILNS1_3genE0ELNS1_11target_archE4294967295ELNS1_3gpuE0ELNS1_3repE0EEENS1_44radix_sort_block_sort_config_static_selectorELNS0_4arch9wavefront6targetE0EEEvSG_,"axG",@progbits,_ZN7rocprim17ROCPRIM_400000_NS6detail17trampoline_kernelINS0_13kernel_configILj256ELj4ELj4294967295EEENS1_37radix_sort_block_sort_config_selectorI12hip_bfloat16NS0_10empty_typeEEEZNS1_21radix_sort_block_sortIS4_Lb0EPKS6_PS6_PS7_SD_NS0_19identity_decomposerEEE10hipError_tT1_T2_T3_T4_jRjT5_jjP12ihipStream_tbEUlT_E_NS1_11comp_targetILNS1_3genE0ELNS1_11target_archE4294967295ELNS1_3gpuE0ELNS1_3repE0EEENS1_44radix_sort_block_sort_config_static_selectorELNS0_4arch9wavefront6targetE0EEEvSG_,comdat
.Lfunc_end2000:
	.size	_ZN7rocprim17ROCPRIM_400000_NS6detail17trampoline_kernelINS0_13kernel_configILj256ELj4ELj4294967295EEENS1_37radix_sort_block_sort_config_selectorI12hip_bfloat16NS0_10empty_typeEEEZNS1_21radix_sort_block_sortIS4_Lb0EPKS6_PS6_PS7_SD_NS0_19identity_decomposerEEE10hipError_tT1_T2_T3_T4_jRjT5_jjP12ihipStream_tbEUlT_E_NS1_11comp_targetILNS1_3genE0ELNS1_11target_archE4294967295ELNS1_3gpuE0ELNS1_3repE0EEENS1_44radix_sort_block_sort_config_static_selectorELNS0_4arch9wavefront6targetE0EEEvSG_, .Lfunc_end2000-_ZN7rocprim17ROCPRIM_400000_NS6detail17trampoline_kernelINS0_13kernel_configILj256ELj4ELj4294967295EEENS1_37radix_sort_block_sort_config_selectorI12hip_bfloat16NS0_10empty_typeEEEZNS1_21radix_sort_block_sortIS4_Lb0EPKS6_PS6_PS7_SD_NS0_19identity_decomposerEEE10hipError_tT1_T2_T3_T4_jRjT5_jjP12ihipStream_tbEUlT_E_NS1_11comp_targetILNS1_3genE0ELNS1_11target_archE4294967295ELNS1_3gpuE0ELNS1_3repE0EEENS1_44radix_sort_block_sort_config_static_selectorELNS0_4arch9wavefront6targetE0EEEvSG_
                                        ; -- End function
	.set _ZN7rocprim17ROCPRIM_400000_NS6detail17trampoline_kernelINS0_13kernel_configILj256ELj4ELj4294967295EEENS1_37radix_sort_block_sort_config_selectorI12hip_bfloat16NS0_10empty_typeEEEZNS1_21radix_sort_block_sortIS4_Lb0EPKS6_PS6_PS7_SD_NS0_19identity_decomposerEEE10hipError_tT1_T2_T3_T4_jRjT5_jjP12ihipStream_tbEUlT_E_NS1_11comp_targetILNS1_3genE0ELNS1_11target_archE4294967295ELNS1_3gpuE0ELNS1_3repE0EEENS1_44radix_sort_block_sort_config_static_selectorELNS0_4arch9wavefront6targetE0EEEvSG_.num_vgpr, 38
	.set _ZN7rocprim17ROCPRIM_400000_NS6detail17trampoline_kernelINS0_13kernel_configILj256ELj4ELj4294967295EEENS1_37radix_sort_block_sort_config_selectorI12hip_bfloat16NS0_10empty_typeEEEZNS1_21radix_sort_block_sortIS4_Lb0EPKS6_PS6_PS7_SD_NS0_19identity_decomposerEEE10hipError_tT1_T2_T3_T4_jRjT5_jjP12ihipStream_tbEUlT_E_NS1_11comp_targetILNS1_3genE0ELNS1_11target_archE4294967295ELNS1_3gpuE0ELNS1_3repE0EEENS1_44radix_sort_block_sort_config_static_selectorELNS0_4arch9wavefront6targetE0EEEvSG_.num_agpr, 0
	.set _ZN7rocprim17ROCPRIM_400000_NS6detail17trampoline_kernelINS0_13kernel_configILj256ELj4ELj4294967295EEENS1_37radix_sort_block_sort_config_selectorI12hip_bfloat16NS0_10empty_typeEEEZNS1_21radix_sort_block_sortIS4_Lb0EPKS6_PS6_PS7_SD_NS0_19identity_decomposerEEE10hipError_tT1_T2_T3_T4_jRjT5_jjP12ihipStream_tbEUlT_E_NS1_11comp_targetILNS1_3genE0ELNS1_11target_archE4294967295ELNS1_3gpuE0ELNS1_3repE0EEENS1_44radix_sort_block_sort_config_static_selectorELNS0_4arch9wavefront6targetE0EEEvSG_.numbered_sgpr, 31
	.set _ZN7rocprim17ROCPRIM_400000_NS6detail17trampoline_kernelINS0_13kernel_configILj256ELj4ELj4294967295EEENS1_37radix_sort_block_sort_config_selectorI12hip_bfloat16NS0_10empty_typeEEEZNS1_21radix_sort_block_sortIS4_Lb0EPKS6_PS6_PS7_SD_NS0_19identity_decomposerEEE10hipError_tT1_T2_T3_T4_jRjT5_jjP12ihipStream_tbEUlT_E_NS1_11comp_targetILNS1_3genE0ELNS1_11target_archE4294967295ELNS1_3gpuE0ELNS1_3repE0EEENS1_44radix_sort_block_sort_config_static_selectorELNS0_4arch9wavefront6targetE0EEEvSG_.num_named_barrier, 0
	.set _ZN7rocprim17ROCPRIM_400000_NS6detail17trampoline_kernelINS0_13kernel_configILj256ELj4ELj4294967295EEENS1_37radix_sort_block_sort_config_selectorI12hip_bfloat16NS0_10empty_typeEEEZNS1_21radix_sort_block_sortIS4_Lb0EPKS6_PS6_PS7_SD_NS0_19identity_decomposerEEE10hipError_tT1_T2_T3_T4_jRjT5_jjP12ihipStream_tbEUlT_E_NS1_11comp_targetILNS1_3genE0ELNS1_11target_archE4294967295ELNS1_3gpuE0ELNS1_3repE0EEENS1_44radix_sort_block_sort_config_static_selectorELNS0_4arch9wavefront6targetE0EEEvSG_.private_seg_size, 0
	.set _ZN7rocprim17ROCPRIM_400000_NS6detail17trampoline_kernelINS0_13kernel_configILj256ELj4ELj4294967295EEENS1_37radix_sort_block_sort_config_selectorI12hip_bfloat16NS0_10empty_typeEEEZNS1_21radix_sort_block_sortIS4_Lb0EPKS6_PS6_PS7_SD_NS0_19identity_decomposerEEE10hipError_tT1_T2_T3_T4_jRjT5_jjP12ihipStream_tbEUlT_E_NS1_11comp_targetILNS1_3genE0ELNS1_11target_archE4294967295ELNS1_3gpuE0ELNS1_3repE0EEENS1_44radix_sort_block_sort_config_static_selectorELNS0_4arch9wavefront6targetE0EEEvSG_.uses_vcc, 1
	.set _ZN7rocprim17ROCPRIM_400000_NS6detail17trampoline_kernelINS0_13kernel_configILj256ELj4ELj4294967295EEENS1_37radix_sort_block_sort_config_selectorI12hip_bfloat16NS0_10empty_typeEEEZNS1_21radix_sort_block_sortIS4_Lb0EPKS6_PS6_PS7_SD_NS0_19identity_decomposerEEE10hipError_tT1_T2_T3_T4_jRjT5_jjP12ihipStream_tbEUlT_E_NS1_11comp_targetILNS1_3genE0ELNS1_11target_archE4294967295ELNS1_3gpuE0ELNS1_3repE0EEENS1_44radix_sort_block_sort_config_static_selectorELNS0_4arch9wavefront6targetE0EEEvSG_.uses_flat_scratch, 0
	.set _ZN7rocprim17ROCPRIM_400000_NS6detail17trampoline_kernelINS0_13kernel_configILj256ELj4ELj4294967295EEENS1_37radix_sort_block_sort_config_selectorI12hip_bfloat16NS0_10empty_typeEEEZNS1_21radix_sort_block_sortIS4_Lb0EPKS6_PS6_PS7_SD_NS0_19identity_decomposerEEE10hipError_tT1_T2_T3_T4_jRjT5_jjP12ihipStream_tbEUlT_E_NS1_11comp_targetILNS1_3genE0ELNS1_11target_archE4294967295ELNS1_3gpuE0ELNS1_3repE0EEENS1_44radix_sort_block_sort_config_static_selectorELNS0_4arch9wavefront6targetE0EEEvSG_.has_dyn_sized_stack, 0
	.set _ZN7rocprim17ROCPRIM_400000_NS6detail17trampoline_kernelINS0_13kernel_configILj256ELj4ELj4294967295EEENS1_37radix_sort_block_sort_config_selectorI12hip_bfloat16NS0_10empty_typeEEEZNS1_21radix_sort_block_sortIS4_Lb0EPKS6_PS6_PS7_SD_NS0_19identity_decomposerEEE10hipError_tT1_T2_T3_T4_jRjT5_jjP12ihipStream_tbEUlT_E_NS1_11comp_targetILNS1_3genE0ELNS1_11target_archE4294967295ELNS1_3gpuE0ELNS1_3repE0EEENS1_44radix_sort_block_sort_config_static_selectorELNS0_4arch9wavefront6targetE0EEEvSG_.has_recursion, 0
	.set _ZN7rocprim17ROCPRIM_400000_NS6detail17trampoline_kernelINS0_13kernel_configILj256ELj4ELj4294967295EEENS1_37radix_sort_block_sort_config_selectorI12hip_bfloat16NS0_10empty_typeEEEZNS1_21radix_sort_block_sortIS4_Lb0EPKS6_PS6_PS7_SD_NS0_19identity_decomposerEEE10hipError_tT1_T2_T3_T4_jRjT5_jjP12ihipStream_tbEUlT_E_NS1_11comp_targetILNS1_3genE0ELNS1_11target_archE4294967295ELNS1_3gpuE0ELNS1_3repE0EEENS1_44radix_sort_block_sort_config_static_selectorELNS0_4arch9wavefront6targetE0EEEvSG_.has_indirect_call, 0
	.section	.AMDGPU.csdata,"",@progbits
; Kernel info:
; codeLenInByte = 3756
; TotalNumSgprs: 33
; NumVgprs: 38
; ScratchSize: 0
; MemoryBound: 0
; FloatMode: 240
; IeeeMode: 1
; LDSByteSize: 8224 bytes/workgroup (compile time only)
; SGPRBlocks: 0
; VGPRBlocks: 2
; NumSGPRsForWavesPerEU: 33
; NumVGPRsForWavesPerEU: 38
; NamedBarCnt: 0
; Occupancy: 16
; WaveLimiterHint : 1
; COMPUTE_PGM_RSRC2:SCRATCH_EN: 0
; COMPUTE_PGM_RSRC2:USER_SGPR: 2
; COMPUTE_PGM_RSRC2:TRAP_HANDLER: 0
; COMPUTE_PGM_RSRC2:TGID_X_EN: 1
; COMPUTE_PGM_RSRC2:TGID_Y_EN: 0
; COMPUTE_PGM_RSRC2:TGID_Z_EN: 0
; COMPUTE_PGM_RSRC2:TIDIG_COMP_CNT: 2
	.section	.text._ZN7rocprim17ROCPRIM_400000_NS6detail17trampoline_kernelINS0_13kernel_configILj256ELj4ELj4294967295EEENS1_37radix_sort_block_sort_config_selectorI12hip_bfloat16NS0_10empty_typeEEEZNS1_21radix_sort_block_sortIS4_Lb0EPKS6_PS6_PS7_SD_NS0_19identity_decomposerEEE10hipError_tT1_T2_T3_T4_jRjT5_jjP12ihipStream_tbEUlT_E_NS1_11comp_targetILNS1_3genE5ELNS1_11target_archE942ELNS1_3gpuE9ELNS1_3repE0EEENS1_44radix_sort_block_sort_config_static_selectorELNS0_4arch9wavefront6targetE0EEEvSG_,"axG",@progbits,_ZN7rocprim17ROCPRIM_400000_NS6detail17trampoline_kernelINS0_13kernel_configILj256ELj4ELj4294967295EEENS1_37radix_sort_block_sort_config_selectorI12hip_bfloat16NS0_10empty_typeEEEZNS1_21radix_sort_block_sortIS4_Lb0EPKS6_PS6_PS7_SD_NS0_19identity_decomposerEEE10hipError_tT1_T2_T3_T4_jRjT5_jjP12ihipStream_tbEUlT_E_NS1_11comp_targetILNS1_3genE5ELNS1_11target_archE942ELNS1_3gpuE9ELNS1_3repE0EEENS1_44radix_sort_block_sort_config_static_selectorELNS0_4arch9wavefront6targetE0EEEvSG_,comdat
	.protected	_ZN7rocprim17ROCPRIM_400000_NS6detail17trampoline_kernelINS0_13kernel_configILj256ELj4ELj4294967295EEENS1_37radix_sort_block_sort_config_selectorI12hip_bfloat16NS0_10empty_typeEEEZNS1_21radix_sort_block_sortIS4_Lb0EPKS6_PS6_PS7_SD_NS0_19identity_decomposerEEE10hipError_tT1_T2_T3_T4_jRjT5_jjP12ihipStream_tbEUlT_E_NS1_11comp_targetILNS1_3genE5ELNS1_11target_archE942ELNS1_3gpuE9ELNS1_3repE0EEENS1_44radix_sort_block_sort_config_static_selectorELNS0_4arch9wavefront6targetE0EEEvSG_ ; -- Begin function _ZN7rocprim17ROCPRIM_400000_NS6detail17trampoline_kernelINS0_13kernel_configILj256ELj4ELj4294967295EEENS1_37radix_sort_block_sort_config_selectorI12hip_bfloat16NS0_10empty_typeEEEZNS1_21radix_sort_block_sortIS4_Lb0EPKS6_PS6_PS7_SD_NS0_19identity_decomposerEEE10hipError_tT1_T2_T3_T4_jRjT5_jjP12ihipStream_tbEUlT_E_NS1_11comp_targetILNS1_3genE5ELNS1_11target_archE942ELNS1_3gpuE9ELNS1_3repE0EEENS1_44radix_sort_block_sort_config_static_selectorELNS0_4arch9wavefront6targetE0EEEvSG_
	.globl	_ZN7rocprim17ROCPRIM_400000_NS6detail17trampoline_kernelINS0_13kernel_configILj256ELj4ELj4294967295EEENS1_37radix_sort_block_sort_config_selectorI12hip_bfloat16NS0_10empty_typeEEEZNS1_21radix_sort_block_sortIS4_Lb0EPKS6_PS6_PS7_SD_NS0_19identity_decomposerEEE10hipError_tT1_T2_T3_T4_jRjT5_jjP12ihipStream_tbEUlT_E_NS1_11comp_targetILNS1_3genE5ELNS1_11target_archE942ELNS1_3gpuE9ELNS1_3repE0EEENS1_44radix_sort_block_sort_config_static_selectorELNS0_4arch9wavefront6targetE0EEEvSG_
	.p2align	8
	.type	_ZN7rocprim17ROCPRIM_400000_NS6detail17trampoline_kernelINS0_13kernel_configILj256ELj4ELj4294967295EEENS1_37radix_sort_block_sort_config_selectorI12hip_bfloat16NS0_10empty_typeEEEZNS1_21radix_sort_block_sortIS4_Lb0EPKS6_PS6_PS7_SD_NS0_19identity_decomposerEEE10hipError_tT1_T2_T3_T4_jRjT5_jjP12ihipStream_tbEUlT_E_NS1_11comp_targetILNS1_3genE5ELNS1_11target_archE942ELNS1_3gpuE9ELNS1_3repE0EEENS1_44radix_sort_block_sort_config_static_selectorELNS0_4arch9wavefront6targetE0EEEvSG_,@function
_ZN7rocprim17ROCPRIM_400000_NS6detail17trampoline_kernelINS0_13kernel_configILj256ELj4ELj4294967295EEENS1_37radix_sort_block_sort_config_selectorI12hip_bfloat16NS0_10empty_typeEEEZNS1_21radix_sort_block_sortIS4_Lb0EPKS6_PS6_PS7_SD_NS0_19identity_decomposerEEE10hipError_tT1_T2_T3_T4_jRjT5_jjP12ihipStream_tbEUlT_E_NS1_11comp_targetILNS1_3genE5ELNS1_11target_archE942ELNS1_3gpuE9ELNS1_3repE0EEENS1_44radix_sort_block_sort_config_static_selectorELNS0_4arch9wavefront6targetE0EEEvSG_: ; @_ZN7rocprim17ROCPRIM_400000_NS6detail17trampoline_kernelINS0_13kernel_configILj256ELj4ELj4294967295EEENS1_37radix_sort_block_sort_config_selectorI12hip_bfloat16NS0_10empty_typeEEEZNS1_21radix_sort_block_sortIS4_Lb0EPKS6_PS6_PS7_SD_NS0_19identity_decomposerEEE10hipError_tT1_T2_T3_T4_jRjT5_jjP12ihipStream_tbEUlT_E_NS1_11comp_targetILNS1_3genE5ELNS1_11target_archE942ELNS1_3gpuE9ELNS1_3repE0EEENS1_44radix_sort_block_sort_config_static_selectorELNS0_4arch9wavefront6targetE0EEEvSG_
; %bb.0:
	.section	.rodata,"a",@progbits
	.p2align	6, 0x0
	.amdhsa_kernel _ZN7rocprim17ROCPRIM_400000_NS6detail17trampoline_kernelINS0_13kernel_configILj256ELj4ELj4294967295EEENS1_37radix_sort_block_sort_config_selectorI12hip_bfloat16NS0_10empty_typeEEEZNS1_21radix_sort_block_sortIS4_Lb0EPKS6_PS6_PS7_SD_NS0_19identity_decomposerEEE10hipError_tT1_T2_T3_T4_jRjT5_jjP12ihipStream_tbEUlT_E_NS1_11comp_targetILNS1_3genE5ELNS1_11target_archE942ELNS1_3gpuE9ELNS1_3repE0EEENS1_44radix_sort_block_sort_config_static_selectorELNS0_4arch9wavefront6targetE0EEEvSG_
		.amdhsa_group_segment_fixed_size 0
		.amdhsa_private_segment_fixed_size 0
		.amdhsa_kernarg_size 48
		.amdhsa_user_sgpr_count 2
		.amdhsa_user_sgpr_dispatch_ptr 0
		.amdhsa_user_sgpr_queue_ptr 0
		.amdhsa_user_sgpr_kernarg_segment_ptr 1
		.amdhsa_user_sgpr_dispatch_id 0
		.amdhsa_user_sgpr_kernarg_preload_length 0
		.amdhsa_user_sgpr_kernarg_preload_offset 0
		.amdhsa_user_sgpr_private_segment_size 0
		.amdhsa_wavefront_size32 1
		.amdhsa_uses_dynamic_stack 0
		.amdhsa_enable_private_segment 0
		.amdhsa_system_sgpr_workgroup_id_x 1
		.amdhsa_system_sgpr_workgroup_id_y 0
		.amdhsa_system_sgpr_workgroup_id_z 0
		.amdhsa_system_sgpr_workgroup_info 0
		.amdhsa_system_vgpr_workitem_id 0
		.amdhsa_next_free_vgpr 1
		.amdhsa_next_free_sgpr 1
		.amdhsa_named_barrier_count 0
		.amdhsa_reserve_vcc 0
		.amdhsa_float_round_mode_32 0
		.amdhsa_float_round_mode_16_64 0
		.amdhsa_float_denorm_mode_32 3
		.amdhsa_float_denorm_mode_16_64 3
		.amdhsa_fp16_overflow 0
		.amdhsa_memory_ordered 1
		.amdhsa_forward_progress 1
		.amdhsa_inst_pref_size 0
		.amdhsa_round_robin_scheduling 0
		.amdhsa_exception_fp_ieee_invalid_op 0
		.amdhsa_exception_fp_denorm_src 0
		.amdhsa_exception_fp_ieee_div_zero 0
		.amdhsa_exception_fp_ieee_overflow 0
		.amdhsa_exception_fp_ieee_underflow 0
		.amdhsa_exception_fp_ieee_inexact 0
		.amdhsa_exception_int_div_zero 0
	.end_amdhsa_kernel
	.section	.text._ZN7rocprim17ROCPRIM_400000_NS6detail17trampoline_kernelINS0_13kernel_configILj256ELj4ELj4294967295EEENS1_37radix_sort_block_sort_config_selectorI12hip_bfloat16NS0_10empty_typeEEEZNS1_21radix_sort_block_sortIS4_Lb0EPKS6_PS6_PS7_SD_NS0_19identity_decomposerEEE10hipError_tT1_T2_T3_T4_jRjT5_jjP12ihipStream_tbEUlT_E_NS1_11comp_targetILNS1_3genE5ELNS1_11target_archE942ELNS1_3gpuE9ELNS1_3repE0EEENS1_44radix_sort_block_sort_config_static_selectorELNS0_4arch9wavefront6targetE0EEEvSG_,"axG",@progbits,_ZN7rocprim17ROCPRIM_400000_NS6detail17trampoline_kernelINS0_13kernel_configILj256ELj4ELj4294967295EEENS1_37radix_sort_block_sort_config_selectorI12hip_bfloat16NS0_10empty_typeEEEZNS1_21radix_sort_block_sortIS4_Lb0EPKS6_PS6_PS7_SD_NS0_19identity_decomposerEEE10hipError_tT1_T2_T3_T4_jRjT5_jjP12ihipStream_tbEUlT_E_NS1_11comp_targetILNS1_3genE5ELNS1_11target_archE942ELNS1_3gpuE9ELNS1_3repE0EEENS1_44radix_sort_block_sort_config_static_selectorELNS0_4arch9wavefront6targetE0EEEvSG_,comdat
.Lfunc_end2001:
	.size	_ZN7rocprim17ROCPRIM_400000_NS6detail17trampoline_kernelINS0_13kernel_configILj256ELj4ELj4294967295EEENS1_37radix_sort_block_sort_config_selectorI12hip_bfloat16NS0_10empty_typeEEEZNS1_21radix_sort_block_sortIS4_Lb0EPKS6_PS6_PS7_SD_NS0_19identity_decomposerEEE10hipError_tT1_T2_T3_T4_jRjT5_jjP12ihipStream_tbEUlT_E_NS1_11comp_targetILNS1_3genE5ELNS1_11target_archE942ELNS1_3gpuE9ELNS1_3repE0EEENS1_44radix_sort_block_sort_config_static_selectorELNS0_4arch9wavefront6targetE0EEEvSG_, .Lfunc_end2001-_ZN7rocprim17ROCPRIM_400000_NS6detail17trampoline_kernelINS0_13kernel_configILj256ELj4ELj4294967295EEENS1_37radix_sort_block_sort_config_selectorI12hip_bfloat16NS0_10empty_typeEEEZNS1_21radix_sort_block_sortIS4_Lb0EPKS6_PS6_PS7_SD_NS0_19identity_decomposerEEE10hipError_tT1_T2_T3_T4_jRjT5_jjP12ihipStream_tbEUlT_E_NS1_11comp_targetILNS1_3genE5ELNS1_11target_archE942ELNS1_3gpuE9ELNS1_3repE0EEENS1_44radix_sort_block_sort_config_static_selectorELNS0_4arch9wavefront6targetE0EEEvSG_
                                        ; -- End function
	.set _ZN7rocprim17ROCPRIM_400000_NS6detail17trampoline_kernelINS0_13kernel_configILj256ELj4ELj4294967295EEENS1_37radix_sort_block_sort_config_selectorI12hip_bfloat16NS0_10empty_typeEEEZNS1_21radix_sort_block_sortIS4_Lb0EPKS6_PS6_PS7_SD_NS0_19identity_decomposerEEE10hipError_tT1_T2_T3_T4_jRjT5_jjP12ihipStream_tbEUlT_E_NS1_11comp_targetILNS1_3genE5ELNS1_11target_archE942ELNS1_3gpuE9ELNS1_3repE0EEENS1_44radix_sort_block_sort_config_static_selectorELNS0_4arch9wavefront6targetE0EEEvSG_.num_vgpr, 0
	.set _ZN7rocprim17ROCPRIM_400000_NS6detail17trampoline_kernelINS0_13kernel_configILj256ELj4ELj4294967295EEENS1_37radix_sort_block_sort_config_selectorI12hip_bfloat16NS0_10empty_typeEEEZNS1_21radix_sort_block_sortIS4_Lb0EPKS6_PS6_PS7_SD_NS0_19identity_decomposerEEE10hipError_tT1_T2_T3_T4_jRjT5_jjP12ihipStream_tbEUlT_E_NS1_11comp_targetILNS1_3genE5ELNS1_11target_archE942ELNS1_3gpuE9ELNS1_3repE0EEENS1_44radix_sort_block_sort_config_static_selectorELNS0_4arch9wavefront6targetE0EEEvSG_.num_agpr, 0
	.set _ZN7rocprim17ROCPRIM_400000_NS6detail17trampoline_kernelINS0_13kernel_configILj256ELj4ELj4294967295EEENS1_37radix_sort_block_sort_config_selectorI12hip_bfloat16NS0_10empty_typeEEEZNS1_21radix_sort_block_sortIS4_Lb0EPKS6_PS6_PS7_SD_NS0_19identity_decomposerEEE10hipError_tT1_T2_T3_T4_jRjT5_jjP12ihipStream_tbEUlT_E_NS1_11comp_targetILNS1_3genE5ELNS1_11target_archE942ELNS1_3gpuE9ELNS1_3repE0EEENS1_44radix_sort_block_sort_config_static_selectorELNS0_4arch9wavefront6targetE0EEEvSG_.numbered_sgpr, 0
	.set _ZN7rocprim17ROCPRIM_400000_NS6detail17trampoline_kernelINS0_13kernel_configILj256ELj4ELj4294967295EEENS1_37radix_sort_block_sort_config_selectorI12hip_bfloat16NS0_10empty_typeEEEZNS1_21radix_sort_block_sortIS4_Lb0EPKS6_PS6_PS7_SD_NS0_19identity_decomposerEEE10hipError_tT1_T2_T3_T4_jRjT5_jjP12ihipStream_tbEUlT_E_NS1_11comp_targetILNS1_3genE5ELNS1_11target_archE942ELNS1_3gpuE9ELNS1_3repE0EEENS1_44radix_sort_block_sort_config_static_selectorELNS0_4arch9wavefront6targetE0EEEvSG_.num_named_barrier, 0
	.set _ZN7rocprim17ROCPRIM_400000_NS6detail17trampoline_kernelINS0_13kernel_configILj256ELj4ELj4294967295EEENS1_37radix_sort_block_sort_config_selectorI12hip_bfloat16NS0_10empty_typeEEEZNS1_21radix_sort_block_sortIS4_Lb0EPKS6_PS6_PS7_SD_NS0_19identity_decomposerEEE10hipError_tT1_T2_T3_T4_jRjT5_jjP12ihipStream_tbEUlT_E_NS1_11comp_targetILNS1_3genE5ELNS1_11target_archE942ELNS1_3gpuE9ELNS1_3repE0EEENS1_44radix_sort_block_sort_config_static_selectorELNS0_4arch9wavefront6targetE0EEEvSG_.private_seg_size, 0
	.set _ZN7rocprim17ROCPRIM_400000_NS6detail17trampoline_kernelINS0_13kernel_configILj256ELj4ELj4294967295EEENS1_37radix_sort_block_sort_config_selectorI12hip_bfloat16NS0_10empty_typeEEEZNS1_21radix_sort_block_sortIS4_Lb0EPKS6_PS6_PS7_SD_NS0_19identity_decomposerEEE10hipError_tT1_T2_T3_T4_jRjT5_jjP12ihipStream_tbEUlT_E_NS1_11comp_targetILNS1_3genE5ELNS1_11target_archE942ELNS1_3gpuE9ELNS1_3repE0EEENS1_44radix_sort_block_sort_config_static_selectorELNS0_4arch9wavefront6targetE0EEEvSG_.uses_vcc, 0
	.set _ZN7rocprim17ROCPRIM_400000_NS6detail17trampoline_kernelINS0_13kernel_configILj256ELj4ELj4294967295EEENS1_37radix_sort_block_sort_config_selectorI12hip_bfloat16NS0_10empty_typeEEEZNS1_21radix_sort_block_sortIS4_Lb0EPKS6_PS6_PS7_SD_NS0_19identity_decomposerEEE10hipError_tT1_T2_T3_T4_jRjT5_jjP12ihipStream_tbEUlT_E_NS1_11comp_targetILNS1_3genE5ELNS1_11target_archE942ELNS1_3gpuE9ELNS1_3repE0EEENS1_44radix_sort_block_sort_config_static_selectorELNS0_4arch9wavefront6targetE0EEEvSG_.uses_flat_scratch, 0
	.set _ZN7rocprim17ROCPRIM_400000_NS6detail17trampoline_kernelINS0_13kernel_configILj256ELj4ELj4294967295EEENS1_37radix_sort_block_sort_config_selectorI12hip_bfloat16NS0_10empty_typeEEEZNS1_21radix_sort_block_sortIS4_Lb0EPKS6_PS6_PS7_SD_NS0_19identity_decomposerEEE10hipError_tT1_T2_T3_T4_jRjT5_jjP12ihipStream_tbEUlT_E_NS1_11comp_targetILNS1_3genE5ELNS1_11target_archE942ELNS1_3gpuE9ELNS1_3repE0EEENS1_44radix_sort_block_sort_config_static_selectorELNS0_4arch9wavefront6targetE0EEEvSG_.has_dyn_sized_stack, 0
	.set _ZN7rocprim17ROCPRIM_400000_NS6detail17trampoline_kernelINS0_13kernel_configILj256ELj4ELj4294967295EEENS1_37radix_sort_block_sort_config_selectorI12hip_bfloat16NS0_10empty_typeEEEZNS1_21radix_sort_block_sortIS4_Lb0EPKS6_PS6_PS7_SD_NS0_19identity_decomposerEEE10hipError_tT1_T2_T3_T4_jRjT5_jjP12ihipStream_tbEUlT_E_NS1_11comp_targetILNS1_3genE5ELNS1_11target_archE942ELNS1_3gpuE9ELNS1_3repE0EEENS1_44radix_sort_block_sort_config_static_selectorELNS0_4arch9wavefront6targetE0EEEvSG_.has_recursion, 0
	.set _ZN7rocprim17ROCPRIM_400000_NS6detail17trampoline_kernelINS0_13kernel_configILj256ELj4ELj4294967295EEENS1_37radix_sort_block_sort_config_selectorI12hip_bfloat16NS0_10empty_typeEEEZNS1_21radix_sort_block_sortIS4_Lb0EPKS6_PS6_PS7_SD_NS0_19identity_decomposerEEE10hipError_tT1_T2_T3_T4_jRjT5_jjP12ihipStream_tbEUlT_E_NS1_11comp_targetILNS1_3genE5ELNS1_11target_archE942ELNS1_3gpuE9ELNS1_3repE0EEENS1_44radix_sort_block_sort_config_static_selectorELNS0_4arch9wavefront6targetE0EEEvSG_.has_indirect_call, 0
	.section	.AMDGPU.csdata,"",@progbits
; Kernel info:
; codeLenInByte = 0
; TotalNumSgprs: 0
; NumVgprs: 0
; ScratchSize: 0
; MemoryBound: 0
; FloatMode: 240
; IeeeMode: 1
; LDSByteSize: 0 bytes/workgroup (compile time only)
; SGPRBlocks: 0
; VGPRBlocks: 0
; NumSGPRsForWavesPerEU: 1
; NumVGPRsForWavesPerEU: 1
; NamedBarCnt: 0
; Occupancy: 16
; WaveLimiterHint : 0
; COMPUTE_PGM_RSRC2:SCRATCH_EN: 0
; COMPUTE_PGM_RSRC2:USER_SGPR: 2
; COMPUTE_PGM_RSRC2:TRAP_HANDLER: 0
; COMPUTE_PGM_RSRC2:TGID_X_EN: 1
; COMPUTE_PGM_RSRC2:TGID_Y_EN: 0
; COMPUTE_PGM_RSRC2:TGID_Z_EN: 0
; COMPUTE_PGM_RSRC2:TIDIG_COMP_CNT: 0
	.section	.text._ZN7rocprim17ROCPRIM_400000_NS6detail17trampoline_kernelINS0_13kernel_configILj256ELj4ELj4294967295EEENS1_37radix_sort_block_sort_config_selectorI12hip_bfloat16NS0_10empty_typeEEEZNS1_21radix_sort_block_sortIS4_Lb0EPKS6_PS6_PS7_SD_NS0_19identity_decomposerEEE10hipError_tT1_T2_T3_T4_jRjT5_jjP12ihipStream_tbEUlT_E_NS1_11comp_targetILNS1_3genE4ELNS1_11target_archE910ELNS1_3gpuE8ELNS1_3repE0EEENS1_44radix_sort_block_sort_config_static_selectorELNS0_4arch9wavefront6targetE0EEEvSG_,"axG",@progbits,_ZN7rocprim17ROCPRIM_400000_NS6detail17trampoline_kernelINS0_13kernel_configILj256ELj4ELj4294967295EEENS1_37radix_sort_block_sort_config_selectorI12hip_bfloat16NS0_10empty_typeEEEZNS1_21radix_sort_block_sortIS4_Lb0EPKS6_PS6_PS7_SD_NS0_19identity_decomposerEEE10hipError_tT1_T2_T3_T4_jRjT5_jjP12ihipStream_tbEUlT_E_NS1_11comp_targetILNS1_3genE4ELNS1_11target_archE910ELNS1_3gpuE8ELNS1_3repE0EEENS1_44radix_sort_block_sort_config_static_selectorELNS0_4arch9wavefront6targetE0EEEvSG_,comdat
	.protected	_ZN7rocprim17ROCPRIM_400000_NS6detail17trampoline_kernelINS0_13kernel_configILj256ELj4ELj4294967295EEENS1_37radix_sort_block_sort_config_selectorI12hip_bfloat16NS0_10empty_typeEEEZNS1_21radix_sort_block_sortIS4_Lb0EPKS6_PS6_PS7_SD_NS0_19identity_decomposerEEE10hipError_tT1_T2_T3_T4_jRjT5_jjP12ihipStream_tbEUlT_E_NS1_11comp_targetILNS1_3genE4ELNS1_11target_archE910ELNS1_3gpuE8ELNS1_3repE0EEENS1_44radix_sort_block_sort_config_static_selectorELNS0_4arch9wavefront6targetE0EEEvSG_ ; -- Begin function _ZN7rocprim17ROCPRIM_400000_NS6detail17trampoline_kernelINS0_13kernel_configILj256ELj4ELj4294967295EEENS1_37radix_sort_block_sort_config_selectorI12hip_bfloat16NS0_10empty_typeEEEZNS1_21radix_sort_block_sortIS4_Lb0EPKS6_PS6_PS7_SD_NS0_19identity_decomposerEEE10hipError_tT1_T2_T3_T4_jRjT5_jjP12ihipStream_tbEUlT_E_NS1_11comp_targetILNS1_3genE4ELNS1_11target_archE910ELNS1_3gpuE8ELNS1_3repE0EEENS1_44radix_sort_block_sort_config_static_selectorELNS0_4arch9wavefront6targetE0EEEvSG_
	.globl	_ZN7rocprim17ROCPRIM_400000_NS6detail17trampoline_kernelINS0_13kernel_configILj256ELj4ELj4294967295EEENS1_37radix_sort_block_sort_config_selectorI12hip_bfloat16NS0_10empty_typeEEEZNS1_21radix_sort_block_sortIS4_Lb0EPKS6_PS6_PS7_SD_NS0_19identity_decomposerEEE10hipError_tT1_T2_T3_T4_jRjT5_jjP12ihipStream_tbEUlT_E_NS1_11comp_targetILNS1_3genE4ELNS1_11target_archE910ELNS1_3gpuE8ELNS1_3repE0EEENS1_44radix_sort_block_sort_config_static_selectorELNS0_4arch9wavefront6targetE0EEEvSG_
	.p2align	8
	.type	_ZN7rocprim17ROCPRIM_400000_NS6detail17trampoline_kernelINS0_13kernel_configILj256ELj4ELj4294967295EEENS1_37radix_sort_block_sort_config_selectorI12hip_bfloat16NS0_10empty_typeEEEZNS1_21radix_sort_block_sortIS4_Lb0EPKS6_PS6_PS7_SD_NS0_19identity_decomposerEEE10hipError_tT1_T2_T3_T4_jRjT5_jjP12ihipStream_tbEUlT_E_NS1_11comp_targetILNS1_3genE4ELNS1_11target_archE910ELNS1_3gpuE8ELNS1_3repE0EEENS1_44radix_sort_block_sort_config_static_selectorELNS0_4arch9wavefront6targetE0EEEvSG_,@function
_ZN7rocprim17ROCPRIM_400000_NS6detail17trampoline_kernelINS0_13kernel_configILj256ELj4ELj4294967295EEENS1_37radix_sort_block_sort_config_selectorI12hip_bfloat16NS0_10empty_typeEEEZNS1_21radix_sort_block_sortIS4_Lb0EPKS6_PS6_PS7_SD_NS0_19identity_decomposerEEE10hipError_tT1_T2_T3_T4_jRjT5_jjP12ihipStream_tbEUlT_E_NS1_11comp_targetILNS1_3genE4ELNS1_11target_archE910ELNS1_3gpuE8ELNS1_3repE0EEENS1_44radix_sort_block_sort_config_static_selectorELNS0_4arch9wavefront6targetE0EEEvSG_: ; @_ZN7rocprim17ROCPRIM_400000_NS6detail17trampoline_kernelINS0_13kernel_configILj256ELj4ELj4294967295EEENS1_37radix_sort_block_sort_config_selectorI12hip_bfloat16NS0_10empty_typeEEEZNS1_21radix_sort_block_sortIS4_Lb0EPKS6_PS6_PS7_SD_NS0_19identity_decomposerEEE10hipError_tT1_T2_T3_T4_jRjT5_jjP12ihipStream_tbEUlT_E_NS1_11comp_targetILNS1_3genE4ELNS1_11target_archE910ELNS1_3gpuE8ELNS1_3repE0EEENS1_44radix_sort_block_sort_config_static_selectorELNS0_4arch9wavefront6targetE0EEEvSG_
; %bb.0:
	.section	.rodata,"a",@progbits
	.p2align	6, 0x0
	.amdhsa_kernel _ZN7rocprim17ROCPRIM_400000_NS6detail17trampoline_kernelINS0_13kernel_configILj256ELj4ELj4294967295EEENS1_37radix_sort_block_sort_config_selectorI12hip_bfloat16NS0_10empty_typeEEEZNS1_21radix_sort_block_sortIS4_Lb0EPKS6_PS6_PS7_SD_NS0_19identity_decomposerEEE10hipError_tT1_T2_T3_T4_jRjT5_jjP12ihipStream_tbEUlT_E_NS1_11comp_targetILNS1_3genE4ELNS1_11target_archE910ELNS1_3gpuE8ELNS1_3repE0EEENS1_44radix_sort_block_sort_config_static_selectorELNS0_4arch9wavefront6targetE0EEEvSG_
		.amdhsa_group_segment_fixed_size 0
		.amdhsa_private_segment_fixed_size 0
		.amdhsa_kernarg_size 48
		.amdhsa_user_sgpr_count 2
		.amdhsa_user_sgpr_dispatch_ptr 0
		.amdhsa_user_sgpr_queue_ptr 0
		.amdhsa_user_sgpr_kernarg_segment_ptr 1
		.amdhsa_user_sgpr_dispatch_id 0
		.amdhsa_user_sgpr_kernarg_preload_length 0
		.amdhsa_user_sgpr_kernarg_preload_offset 0
		.amdhsa_user_sgpr_private_segment_size 0
		.amdhsa_wavefront_size32 1
		.amdhsa_uses_dynamic_stack 0
		.amdhsa_enable_private_segment 0
		.amdhsa_system_sgpr_workgroup_id_x 1
		.amdhsa_system_sgpr_workgroup_id_y 0
		.amdhsa_system_sgpr_workgroup_id_z 0
		.amdhsa_system_sgpr_workgroup_info 0
		.amdhsa_system_vgpr_workitem_id 0
		.amdhsa_next_free_vgpr 1
		.amdhsa_next_free_sgpr 1
		.amdhsa_named_barrier_count 0
		.amdhsa_reserve_vcc 0
		.amdhsa_float_round_mode_32 0
		.amdhsa_float_round_mode_16_64 0
		.amdhsa_float_denorm_mode_32 3
		.amdhsa_float_denorm_mode_16_64 3
		.amdhsa_fp16_overflow 0
		.amdhsa_memory_ordered 1
		.amdhsa_forward_progress 1
		.amdhsa_inst_pref_size 0
		.amdhsa_round_robin_scheduling 0
		.amdhsa_exception_fp_ieee_invalid_op 0
		.amdhsa_exception_fp_denorm_src 0
		.amdhsa_exception_fp_ieee_div_zero 0
		.amdhsa_exception_fp_ieee_overflow 0
		.amdhsa_exception_fp_ieee_underflow 0
		.amdhsa_exception_fp_ieee_inexact 0
		.amdhsa_exception_int_div_zero 0
	.end_amdhsa_kernel
	.section	.text._ZN7rocprim17ROCPRIM_400000_NS6detail17trampoline_kernelINS0_13kernel_configILj256ELj4ELj4294967295EEENS1_37radix_sort_block_sort_config_selectorI12hip_bfloat16NS0_10empty_typeEEEZNS1_21radix_sort_block_sortIS4_Lb0EPKS6_PS6_PS7_SD_NS0_19identity_decomposerEEE10hipError_tT1_T2_T3_T4_jRjT5_jjP12ihipStream_tbEUlT_E_NS1_11comp_targetILNS1_3genE4ELNS1_11target_archE910ELNS1_3gpuE8ELNS1_3repE0EEENS1_44radix_sort_block_sort_config_static_selectorELNS0_4arch9wavefront6targetE0EEEvSG_,"axG",@progbits,_ZN7rocprim17ROCPRIM_400000_NS6detail17trampoline_kernelINS0_13kernel_configILj256ELj4ELj4294967295EEENS1_37radix_sort_block_sort_config_selectorI12hip_bfloat16NS0_10empty_typeEEEZNS1_21radix_sort_block_sortIS4_Lb0EPKS6_PS6_PS7_SD_NS0_19identity_decomposerEEE10hipError_tT1_T2_T3_T4_jRjT5_jjP12ihipStream_tbEUlT_E_NS1_11comp_targetILNS1_3genE4ELNS1_11target_archE910ELNS1_3gpuE8ELNS1_3repE0EEENS1_44radix_sort_block_sort_config_static_selectorELNS0_4arch9wavefront6targetE0EEEvSG_,comdat
.Lfunc_end2002:
	.size	_ZN7rocprim17ROCPRIM_400000_NS6detail17trampoline_kernelINS0_13kernel_configILj256ELj4ELj4294967295EEENS1_37radix_sort_block_sort_config_selectorI12hip_bfloat16NS0_10empty_typeEEEZNS1_21radix_sort_block_sortIS4_Lb0EPKS6_PS6_PS7_SD_NS0_19identity_decomposerEEE10hipError_tT1_T2_T3_T4_jRjT5_jjP12ihipStream_tbEUlT_E_NS1_11comp_targetILNS1_3genE4ELNS1_11target_archE910ELNS1_3gpuE8ELNS1_3repE0EEENS1_44radix_sort_block_sort_config_static_selectorELNS0_4arch9wavefront6targetE0EEEvSG_, .Lfunc_end2002-_ZN7rocprim17ROCPRIM_400000_NS6detail17trampoline_kernelINS0_13kernel_configILj256ELj4ELj4294967295EEENS1_37radix_sort_block_sort_config_selectorI12hip_bfloat16NS0_10empty_typeEEEZNS1_21radix_sort_block_sortIS4_Lb0EPKS6_PS6_PS7_SD_NS0_19identity_decomposerEEE10hipError_tT1_T2_T3_T4_jRjT5_jjP12ihipStream_tbEUlT_E_NS1_11comp_targetILNS1_3genE4ELNS1_11target_archE910ELNS1_3gpuE8ELNS1_3repE0EEENS1_44radix_sort_block_sort_config_static_selectorELNS0_4arch9wavefront6targetE0EEEvSG_
                                        ; -- End function
	.set _ZN7rocprim17ROCPRIM_400000_NS6detail17trampoline_kernelINS0_13kernel_configILj256ELj4ELj4294967295EEENS1_37radix_sort_block_sort_config_selectorI12hip_bfloat16NS0_10empty_typeEEEZNS1_21radix_sort_block_sortIS4_Lb0EPKS6_PS6_PS7_SD_NS0_19identity_decomposerEEE10hipError_tT1_T2_T3_T4_jRjT5_jjP12ihipStream_tbEUlT_E_NS1_11comp_targetILNS1_3genE4ELNS1_11target_archE910ELNS1_3gpuE8ELNS1_3repE0EEENS1_44radix_sort_block_sort_config_static_selectorELNS0_4arch9wavefront6targetE0EEEvSG_.num_vgpr, 0
	.set _ZN7rocprim17ROCPRIM_400000_NS6detail17trampoline_kernelINS0_13kernel_configILj256ELj4ELj4294967295EEENS1_37radix_sort_block_sort_config_selectorI12hip_bfloat16NS0_10empty_typeEEEZNS1_21radix_sort_block_sortIS4_Lb0EPKS6_PS6_PS7_SD_NS0_19identity_decomposerEEE10hipError_tT1_T2_T3_T4_jRjT5_jjP12ihipStream_tbEUlT_E_NS1_11comp_targetILNS1_3genE4ELNS1_11target_archE910ELNS1_3gpuE8ELNS1_3repE0EEENS1_44radix_sort_block_sort_config_static_selectorELNS0_4arch9wavefront6targetE0EEEvSG_.num_agpr, 0
	.set _ZN7rocprim17ROCPRIM_400000_NS6detail17trampoline_kernelINS0_13kernel_configILj256ELj4ELj4294967295EEENS1_37radix_sort_block_sort_config_selectorI12hip_bfloat16NS0_10empty_typeEEEZNS1_21radix_sort_block_sortIS4_Lb0EPKS6_PS6_PS7_SD_NS0_19identity_decomposerEEE10hipError_tT1_T2_T3_T4_jRjT5_jjP12ihipStream_tbEUlT_E_NS1_11comp_targetILNS1_3genE4ELNS1_11target_archE910ELNS1_3gpuE8ELNS1_3repE0EEENS1_44radix_sort_block_sort_config_static_selectorELNS0_4arch9wavefront6targetE0EEEvSG_.numbered_sgpr, 0
	.set _ZN7rocprim17ROCPRIM_400000_NS6detail17trampoline_kernelINS0_13kernel_configILj256ELj4ELj4294967295EEENS1_37radix_sort_block_sort_config_selectorI12hip_bfloat16NS0_10empty_typeEEEZNS1_21radix_sort_block_sortIS4_Lb0EPKS6_PS6_PS7_SD_NS0_19identity_decomposerEEE10hipError_tT1_T2_T3_T4_jRjT5_jjP12ihipStream_tbEUlT_E_NS1_11comp_targetILNS1_3genE4ELNS1_11target_archE910ELNS1_3gpuE8ELNS1_3repE0EEENS1_44radix_sort_block_sort_config_static_selectorELNS0_4arch9wavefront6targetE0EEEvSG_.num_named_barrier, 0
	.set _ZN7rocprim17ROCPRIM_400000_NS6detail17trampoline_kernelINS0_13kernel_configILj256ELj4ELj4294967295EEENS1_37radix_sort_block_sort_config_selectorI12hip_bfloat16NS0_10empty_typeEEEZNS1_21radix_sort_block_sortIS4_Lb0EPKS6_PS6_PS7_SD_NS0_19identity_decomposerEEE10hipError_tT1_T2_T3_T4_jRjT5_jjP12ihipStream_tbEUlT_E_NS1_11comp_targetILNS1_3genE4ELNS1_11target_archE910ELNS1_3gpuE8ELNS1_3repE0EEENS1_44radix_sort_block_sort_config_static_selectorELNS0_4arch9wavefront6targetE0EEEvSG_.private_seg_size, 0
	.set _ZN7rocprim17ROCPRIM_400000_NS6detail17trampoline_kernelINS0_13kernel_configILj256ELj4ELj4294967295EEENS1_37radix_sort_block_sort_config_selectorI12hip_bfloat16NS0_10empty_typeEEEZNS1_21radix_sort_block_sortIS4_Lb0EPKS6_PS6_PS7_SD_NS0_19identity_decomposerEEE10hipError_tT1_T2_T3_T4_jRjT5_jjP12ihipStream_tbEUlT_E_NS1_11comp_targetILNS1_3genE4ELNS1_11target_archE910ELNS1_3gpuE8ELNS1_3repE0EEENS1_44radix_sort_block_sort_config_static_selectorELNS0_4arch9wavefront6targetE0EEEvSG_.uses_vcc, 0
	.set _ZN7rocprim17ROCPRIM_400000_NS6detail17trampoline_kernelINS0_13kernel_configILj256ELj4ELj4294967295EEENS1_37radix_sort_block_sort_config_selectorI12hip_bfloat16NS0_10empty_typeEEEZNS1_21radix_sort_block_sortIS4_Lb0EPKS6_PS6_PS7_SD_NS0_19identity_decomposerEEE10hipError_tT1_T2_T3_T4_jRjT5_jjP12ihipStream_tbEUlT_E_NS1_11comp_targetILNS1_3genE4ELNS1_11target_archE910ELNS1_3gpuE8ELNS1_3repE0EEENS1_44radix_sort_block_sort_config_static_selectorELNS0_4arch9wavefront6targetE0EEEvSG_.uses_flat_scratch, 0
	.set _ZN7rocprim17ROCPRIM_400000_NS6detail17trampoline_kernelINS0_13kernel_configILj256ELj4ELj4294967295EEENS1_37radix_sort_block_sort_config_selectorI12hip_bfloat16NS0_10empty_typeEEEZNS1_21radix_sort_block_sortIS4_Lb0EPKS6_PS6_PS7_SD_NS0_19identity_decomposerEEE10hipError_tT1_T2_T3_T4_jRjT5_jjP12ihipStream_tbEUlT_E_NS1_11comp_targetILNS1_3genE4ELNS1_11target_archE910ELNS1_3gpuE8ELNS1_3repE0EEENS1_44radix_sort_block_sort_config_static_selectorELNS0_4arch9wavefront6targetE0EEEvSG_.has_dyn_sized_stack, 0
	.set _ZN7rocprim17ROCPRIM_400000_NS6detail17trampoline_kernelINS0_13kernel_configILj256ELj4ELj4294967295EEENS1_37radix_sort_block_sort_config_selectorI12hip_bfloat16NS0_10empty_typeEEEZNS1_21radix_sort_block_sortIS4_Lb0EPKS6_PS6_PS7_SD_NS0_19identity_decomposerEEE10hipError_tT1_T2_T3_T4_jRjT5_jjP12ihipStream_tbEUlT_E_NS1_11comp_targetILNS1_3genE4ELNS1_11target_archE910ELNS1_3gpuE8ELNS1_3repE0EEENS1_44radix_sort_block_sort_config_static_selectorELNS0_4arch9wavefront6targetE0EEEvSG_.has_recursion, 0
	.set _ZN7rocprim17ROCPRIM_400000_NS6detail17trampoline_kernelINS0_13kernel_configILj256ELj4ELj4294967295EEENS1_37radix_sort_block_sort_config_selectorI12hip_bfloat16NS0_10empty_typeEEEZNS1_21radix_sort_block_sortIS4_Lb0EPKS6_PS6_PS7_SD_NS0_19identity_decomposerEEE10hipError_tT1_T2_T3_T4_jRjT5_jjP12ihipStream_tbEUlT_E_NS1_11comp_targetILNS1_3genE4ELNS1_11target_archE910ELNS1_3gpuE8ELNS1_3repE0EEENS1_44radix_sort_block_sort_config_static_selectorELNS0_4arch9wavefront6targetE0EEEvSG_.has_indirect_call, 0
	.section	.AMDGPU.csdata,"",@progbits
; Kernel info:
; codeLenInByte = 0
; TotalNumSgprs: 0
; NumVgprs: 0
; ScratchSize: 0
; MemoryBound: 0
; FloatMode: 240
; IeeeMode: 1
; LDSByteSize: 0 bytes/workgroup (compile time only)
; SGPRBlocks: 0
; VGPRBlocks: 0
; NumSGPRsForWavesPerEU: 1
; NumVGPRsForWavesPerEU: 1
; NamedBarCnt: 0
; Occupancy: 16
; WaveLimiterHint : 0
; COMPUTE_PGM_RSRC2:SCRATCH_EN: 0
; COMPUTE_PGM_RSRC2:USER_SGPR: 2
; COMPUTE_PGM_RSRC2:TRAP_HANDLER: 0
; COMPUTE_PGM_RSRC2:TGID_X_EN: 1
; COMPUTE_PGM_RSRC2:TGID_Y_EN: 0
; COMPUTE_PGM_RSRC2:TGID_Z_EN: 0
; COMPUTE_PGM_RSRC2:TIDIG_COMP_CNT: 0
	.section	.text._ZN7rocprim17ROCPRIM_400000_NS6detail17trampoline_kernelINS0_13kernel_configILj256ELj4ELj4294967295EEENS1_37radix_sort_block_sort_config_selectorI12hip_bfloat16NS0_10empty_typeEEEZNS1_21radix_sort_block_sortIS4_Lb0EPKS6_PS6_PS7_SD_NS0_19identity_decomposerEEE10hipError_tT1_T2_T3_T4_jRjT5_jjP12ihipStream_tbEUlT_E_NS1_11comp_targetILNS1_3genE3ELNS1_11target_archE908ELNS1_3gpuE7ELNS1_3repE0EEENS1_44radix_sort_block_sort_config_static_selectorELNS0_4arch9wavefront6targetE0EEEvSG_,"axG",@progbits,_ZN7rocprim17ROCPRIM_400000_NS6detail17trampoline_kernelINS0_13kernel_configILj256ELj4ELj4294967295EEENS1_37radix_sort_block_sort_config_selectorI12hip_bfloat16NS0_10empty_typeEEEZNS1_21radix_sort_block_sortIS4_Lb0EPKS6_PS6_PS7_SD_NS0_19identity_decomposerEEE10hipError_tT1_T2_T3_T4_jRjT5_jjP12ihipStream_tbEUlT_E_NS1_11comp_targetILNS1_3genE3ELNS1_11target_archE908ELNS1_3gpuE7ELNS1_3repE0EEENS1_44radix_sort_block_sort_config_static_selectorELNS0_4arch9wavefront6targetE0EEEvSG_,comdat
	.protected	_ZN7rocprim17ROCPRIM_400000_NS6detail17trampoline_kernelINS0_13kernel_configILj256ELj4ELj4294967295EEENS1_37radix_sort_block_sort_config_selectorI12hip_bfloat16NS0_10empty_typeEEEZNS1_21radix_sort_block_sortIS4_Lb0EPKS6_PS6_PS7_SD_NS0_19identity_decomposerEEE10hipError_tT1_T2_T3_T4_jRjT5_jjP12ihipStream_tbEUlT_E_NS1_11comp_targetILNS1_3genE3ELNS1_11target_archE908ELNS1_3gpuE7ELNS1_3repE0EEENS1_44radix_sort_block_sort_config_static_selectorELNS0_4arch9wavefront6targetE0EEEvSG_ ; -- Begin function _ZN7rocprim17ROCPRIM_400000_NS6detail17trampoline_kernelINS0_13kernel_configILj256ELj4ELj4294967295EEENS1_37radix_sort_block_sort_config_selectorI12hip_bfloat16NS0_10empty_typeEEEZNS1_21radix_sort_block_sortIS4_Lb0EPKS6_PS6_PS7_SD_NS0_19identity_decomposerEEE10hipError_tT1_T2_T3_T4_jRjT5_jjP12ihipStream_tbEUlT_E_NS1_11comp_targetILNS1_3genE3ELNS1_11target_archE908ELNS1_3gpuE7ELNS1_3repE0EEENS1_44radix_sort_block_sort_config_static_selectorELNS0_4arch9wavefront6targetE0EEEvSG_
	.globl	_ZN7rocprim17ROCPRIM_400000_NS6detail17trampoline_kernelINS0_13kernel_configILj256ELj4ELj4294967295EEENS1_37radix_sort_block_sort_config_selectorI12hip_bfloat16NS0_10empty_typeEEEZNS1_21radix_sort_block_sortIS4_Lb0EPKS6_PS6_PS7_SD_NS0_19identity_decomposerEEE10hipError_tT1_T2_T3_T4_jRjT5_jjP12ihipStream_tbEUlT_E_NS1_11comp_targetILNS1_3genE3ELNS1_11target_archE908ELNS1_3gpuE7ELNS1_3repE0EEENS1_44radix_sort_block_sort_config_static_selectorELNS0_4arch9wavefront6targetE0EEEvSG_
	.p2align	8
	.type	_ZN7rocprim17ROCPRIM_400000_NS6detail17trampoline_kernelINS0_13kernel_configILj256ELj4ELj4294967295EEENS1_37radix_sort_block_sort_config_selectorI12hip_bfloat16NS0_10empty_typeEEEZNS1_21radix_sort_block_sortIS4_Lb0EPKS6_PS6_PS7_SD_NS0_19identity_decomposerEEE10hipError_tT1_T2_T3_T4_jRjT5_jjP12ihipStream_tbEUlT_E_NS1_11comp_targetILNS1_3genE3ELNS1_11target_archE908ELNS1_3gpuE7ELNS1_3repE0EEENS1_44radix_sort_block_sort_config_static_selectorELNS0_4arch9wavefront6targetE0EEEvSG_,@function
_ZN7rocprim17ROCPRIM_400000_NS6detail17trampoline_kernelINS0_13kernel_configILj256ELj4ELj4294967295EEENS1_37radix_sort_block_sort_config_selectorI12hip_bfloat16NS0_10empty_typeEEEZNS1_21radix_sort_block_sortIS4_Lb0EPKS6_PS6_PS7_SD_NS0_19identity_decomposerEEE10hipError_tT1_T2_T3_T4_jRjT5_jjP12ihipStream_tbEUlT_E_NS1_11comp_targetILNS1_3genE3ELNS1_11target_archE908ELNS1_3gpuE7ELNS1_3repE0EEENS1_44radix_sort_block_sort_config_static_selectorELNS0_4arch9wavefront6targetE0EEEvSG_: ; @_ZN7rocprim17ROCPRIM_400000_NS6detail17trampoline_kernelINS0_13kernel_configILj256ELj4ELj4294967295EEENS1_37radix_sort_block_sort_config_selectorI12hip_bfloat16NS0_10empty_typeEEEZNS1_21radix_sort_block_sortIS4_Lb0EPKS6_PS6_PS7_SD_NS0_19identity_decomposerEEE10hipError_tT1_T2_T3_T4_jRjT5_jjP12ihipStream_tbEUlT_E_NS1_11comp_targetILNS1_3genE3ELNS1_11target_archE908ELNS1_3gpuE7ELNS1_3repE0EEENS1_44radix_sort_block_sort_config_static_selectorELNS0_4arch9wavefront6targetE0EEEvSG_
; %bb.0:
	.section	.rodata,"a",@progbits
	.p2align	6, 0x0
	.amdhsa_kernel _ZN7rocprim17ROCPRIM_400000_NS6detail17trampoline_kernelINS0_13kernel_configILj256ELj4ELj4294967295EEENS1_37radix_sort_block_sort_config_selectorI12hip_bfloat16NS0_10empty_typeEEEZNS1_21radix_sort_block_sortIS4_Lb0EPKS6_PS6_PS7_SD_NS0_19identity_decomposerEEE10hipError_tT1_T2_T3_T4_jRjT5_jjP12ihipStream_tbEUlT_E_NS1_11comp_targetILNS1_3genE3ELNS1_11target_archE908ELNS1_3gpuE7ELNS1_3repE0EEENS1_44radix_sort_block_sort_config_static_selectorELNS0_4arch9wavefront6targetE0EEEvSG_
		.amdhsa_group_segment_fixed_size 0
		.amdhsa_private_segment_fixed_size 0
		.amdhsa_kernarg_size 48
		.amdhsa_user_sgpr_count 2
		.amdhsa_user_sgpr_dispatch_ptr 0
		.amdhsa_user_sgpr_queue_ptr 0
		.amdhsa_user_sgpr_kernarg_segment_ptr 1
		.amdhsa_user_sgpr_dispatch_id 0
		.amdhsa_user_sgpr_kernarg_preload_length 0
		.amdhsa_user_sgpr_kernarg_preload_offset 0
		.amdhsa_user_sgpr_private_segment_size 0
		.amdhsa_wavefront_size32 1
		.amdhsa_uses_dynamic_stack 0
		.amdhsa_enable_private_segment 0
		.amdhsa_system_sgpr_workgroup_id_x 1
		.amdhsa_system_sgpr_workgroup_id_y 0
		.amdhsa_system_sgpr_workgroup_id_z 0
		.amdhsa_system_sgpr_workgroup_info 0
		.amdhsa_system_vgpr_workitem_id 0
		.amdhsa_next_free_vgpr 1
		.amdhsa_next_free_sgpr 1
		.amdhsa_named_barrier_count 0
		.amdhsa_reserve_vcc 0
		.amdhsa_float_round_mode_32 0
		.amdhsa_float_round_mode_16_64 0
		.amdhsa_float_denorm_mode_32 3
		.amdhsa_float_denorm_mode_16_64 3
		.amdhsa_fp16_overflow 0
		.amdhsa_memory_ordered 1
		.amdhsa_forward_progress 1
		.amdhsa_inst_pref_size 0
		.amdhsa_round_robin_scheduling 0
		.amdhsa_exception_fp_ieee_invalid_op 0
		.amdhsa_exception_fp_denorm_src 0
		.amdhsa_exception_fp_ieee_div_zero 0
		.amdhsa_exception_fp_ieee_overflow 0
		.amdhsa_exception_fp_ieee_underflow 0
		.amdhsa_exception_fp_ieee_inexact 0
		.amdhsa_exception_int_div_zero 0
	.end_amdhsa_kernel
	.section	.text._ZN7rocprim17ROCPRIM_400000_NS6detail17trampoline_kernelINS0_13kernel_configILj256ELj4ELj4294967295EEENS1_37radix_sort_block_sort_config_selectorI12hip_bfloat16NS0_10empty_typeEEEZNS1_21radix_sort_block_sortIS4_Lb0EPKS6_PS6_PS7_SD_NS0_19identity_decomposerEEE10hipError_tT1_T2_T3_T4_jRjT5_jjP12ihipStream_tbEUlT_E_NS1_11comp_targetILNS1_3genE3ELNS1_11target_archE908ELNS1_3gpuE7ELNS1_3repE0EEENS1_44radix_sort_block_sort_config_static_selectorELNS0_4arch9wavefront6targetE0EEEvSG_,"axG",@progbits,_ZN7rocprim17ROCPRIM_400000_NS6detail17trampoline_kernelINS0_13kernel_configILj256ELj4ELj4294967295EEENS1_37radix_sort_block_sort_config_selectorI12hip_bfloat16NS0_10empty_typeEEEZNS1_21radix_sort_block_sortIS4_Lb0EPKS6_PS6_PS7_SD_NS0_19identity_decomposerEEE10hipError_tT1_T2_T3_T4_jRjT5_jjP12ihipStream_tbEUlT_E_NS1_11comp_targetILNS1_3genE3ELNS1_11target_archE908ELNS1_3gpuE7ELNS1_3repE0EEENS1_44radix_sort_block_sort_config_static_selectorELNS0_4arch9wavefront6targetE0EEEvSG_,comdat
.Lfunc_end2003:
	.size	_ZN7rocprim17ROCPRIM_400000_NS6detail17trampoline_kernelINS0_13kernel_configILj256ELj4ELj4294967295EEENS1_37radix_sort_block_sort_config_selectorI12hip_bfloat16NS0_10empty_typeEEEZNS1_21radix_sort_block_sortIS4_Lb0EPKS6_PS6_PS7_SD_NS0_19identity_decomposerEEE10hipError_tT1_T2_T3_T4_jRjT5_jjP12ihipStream_tbEUlT_E_NS1_11comp_targetILNS1_3genE3ELNS1_11target_archE908ELNS1_3gpuE7ELNS1_3repE0EEENS1_44radix_sort_block_sort_config_static_selectorELNS0_4arch9wavefront6targetE0EEEvSG_, .Lfunc_end2003-_ZN7rocprim17ROCPRIM_400000_NS6detail17trampoline_kernelINS0_13kernel_configILj256ELj4ELj4294967295EEENS1_37radix_sort_block_sort_config_selectorI12hip_bfloat16NS0_10empty_typeEEEZNS1_21radix_sort_block_sortIS4_Lb0EPKS6_PS6_PS7_SD_NS0_19identity_decomposerEEE10hipError_tT1_T2_T3_T4_jRjT5_jjP12ihipStream_tbEUlT_E_NS1_11comp_targetILNS1_3genE3ELNS1_11target_archE908ELNS1_3gpuE7ELNS1_3repE0EEENS1_44radix_sort_block_sort_config_static_selectorELNS0_4arch9wavefront6targetE0EEEvSG_
                                        ; -- End function
	.set _ZN7rocprim17ROCPRIM_400000_NS6detail17trampoline_kernelINS0_13kernel_configILj256ELj4ELj4294967295EEENS1_37radix_sort_block_sort_config_selectorI12hip_bfloat16NS0_10empty_typeEEEZNS1_21radix_sort_block_sortIS4_Lb0EPKS6_PS6_PS7_SD_NS0_19identity_decomposerEEE10hipError_tT1_T2_T3_T4_jRjT5_jjP12ihipStream_tbEUlT_E_NS1_11comp_targetILNS1_3genE3ELNS1_11target_archE908ELNS1_3gpuE7ELNS1_3repE0EEENS1_44radix_sort_block_sort_config_static_selectorELNS0_4arch9wavefront6targetE0EEEvSG_.num_vgpr, 0
	.set _ZN7rocprim17ROCPRIM_400000_NS6detail17trampoline_kernelINS0_13kernel_configILj256ELj4ELj4294967295EEENS1_37radix_sort_block_sort_config_selectorI12hip_bfloat16NS0_10empty_typeEEEZNS1_21radix_sort_block_sortIS4_Lb0EPKS6_PS6_PS7_SD_NS0_19identity_decomposerEEE10hipError_tT1_T2_T3_T4_jRjT5_jjP12ihipStream_tbEUlT_E_NS1_11comp_targetILNS1_3genE3ELNS1_11target_archE908ELNS1_3gpuE7ELNS1_3repE0EEENS1_44radix_sort_block_sort_config_static_selectorELNS0_4arch9wavefront6targetE0EEEvSG_.num_agpr, 0
	.set _ZN7rocprim17ROCPRIM_400000_NS6detail17trampoline_kernelINS0_13kernel_configILj256ELj4ELj4294967295EEENS1_37radix_sort_block_sort_config_selectorI12hip_bfloat16NS0_10empty_typeEEEZNS1_21radix_sort_block_sortIS4_Lb0EPKS6_PS6_PS7_SD_NS0_19identity_decomposerEEE10hipError_tT1_T2_T3_T4_jRjT5_jjP12ihipStream_tbEUlT_E_NS1_11comp_targetILNS1_3genE3ELNS1_11target_archE908ELNS1_3gpuE7ELNS1_3repE0EEENS1_44radix_sort_block_sort_config_static_selectorELNS0_4arch9wavefront6targetE0EEEvSG_.numbered_sgpr, 0
	.set _ZN7rocprim17ROCPRIM_400000_NS6detail17trampoline_kernelINS0_13kernel_configILj256ELj4ELj4294967295EEENS1_37radix_sort_block_sort_config_selectorI12hip_bfloat16NS0_10empty_typeEEEZNS1_21radix_sort_block_sortIS4_Lb0EPKS6_PS6_PS7_SD_NS0_19identity_decomposerEEE10hipError_tT1_T2_T3_T4_jRjT5_jjP12ihipStream_tbEUlT_E_NS1_11comp_targetILNS1_3genE3ELNS1_11target_archE908ELNS1_3gpuE7ELNS1_3repE0EEENS1_44radix_sort_block_sort_config_static_selectorELNS0_4arch9wavefront6targetE0EEEvSG_.num_named_barrier, 0
	.set _ZN7rocprim17ROCPRIM_400000_NS6detail17trampoline_kernelINS0_13kernel_configILj256ELj4ELj4294967295EEENS1_37radix_sort_block_sort_config_selectorI12hip_bfloat16NS0_10empty_typeEEEZNS1_21radix_sort_block_sortIS4_Lb0EPKS6_PS6_PS7_SD_NS0_19identity_decomposerEEE10hipError_tT1_T2_T3_T4_jRjT5_jjP12ihipStream_tbEUlT_E_NS1_11comp_targetILNS1_3genE3ELNS1_11target_archE908ELNS1_3gpuE7ELNS1_3repE0EEENS1_44radix_sort_block_sort_config_static_selectorELNS0_4arch9wavefront6targetE0EEEvSG_.private_seg_size, 0
	.set _ZN7rocprim17ROCPRIM_400000_NS6detail17trampoline_kernelINS0_13kernel_configILj256ELj4ELj4294967295EEENS1_37radix_sort_block_sort_config_selectorI12hip_bfloat16NS0_10empty_typeEEEZNS1_21radix_sort_block_sortIS4_Lb0EPKS6_PS6_PS7_SD_NS0_19identity_decomposerEEE10hipError_tT1_T2_T3_T4_jRjT5_jjP12ihipStream_tbEUlT_E_NS1_11comp_targetILNS1_3genE3ELNS1_11target_archE908ELNS1_3gpuE7ELNS1_3repE0EEENS1_44radix_sort_block_sort_config_static_selectorELNS0_4arch9wavefront6targetE0EEEvSG_.uses_vcc, 0
	.set _ZN7rocprim17ROCPRIM_400000_NS6detail17trampoline_kernelINS0_13kernel_configILj256ELj4ELj4294967295EEENS1_37radix_sort_block_sort_config_selectorI12hip_bfloat16NS0_10empty_typeEEEZNS1_21radix_sort_block_sortIS4_Lb0EPKS6_PS6_PS7_SD_NS0_19identity_decomposerEEE10hipError_tT1_T2_T3_T4_jRjT5_jjP12ihipStream_tbEUlT_E_NS1_11comp_targetILNS1_3genE3ELNS1_11target_archE908ELNS1_3gpuE7ELNS1_3repE0EEENS1_44radix_sort_block_sort_config_static_selectorELNS0_4arch9wavefront6targetE0EEEvSG_.uses_flat_scratch, 0
	.set _ZN7rocprim17ROCPRIM_400000_NS6detail17trampoline_kernelINS0_13kernel_configILj256ELj4ELj4294967295EEENS1_37radix_sort_block_sort_config_selectorI12hip_bfloat16NS0_10empty_typeEEEZNS1_21radix_sort_block_sortIS4_Lb0EPKS6_PS6_PS7_SD_NS0_19identity_decomposerEEE10hipError_tT1_T2_T3_T4_jRjT5_jjP12ihipStream_tbEUlT_E_NS1_11comp_targetILNS1_3genE3ELNS1_11target_archE908ELNS1_3gpuE7ELNS1_3repE0EEENS1_44radix_sort_block_sort_config_static_selectorELNS0_4arch9wavefront6targetE0EEEvSG_.has_dyn_sized_stack, 0
	.set _ZN7rocprim17ROCPRIM_400000_NS6detail17trampoline_kernelINS0_13kernel_configILj256ELj4ELj4294967295EEENS1_37radix_sort_block_sort_config_selectorI12hip_bfloat16NS0_10empty_typeEEEZNS1_21radix_sort_block_sortIS4_Lb0EPKS6_PS6_PS7_SD_NS0_19identity_decomposerEEE10hipError_tT1_T2_T3_T4_jRjT5_jjP12ihipStream_tbEUlT_E_NS1_11comp_targetILNS1_3genE3ELNS1_11target_archE908ELNS1_3gpuE7ELNS1_3repE0EEENS1_44radix_sort_block_sort_config_static_selectorELNS0_4arch9wavefront6targetE0EEEvSG_.has_recursion, 0
	.set _ZN7rocprim17ROCPRIM_400000_NS6detail17trampoline_kernelINS0_13kernel_configILj256ELj4ELj4294967295EEENS1_37radix_sort_block_sort_config_selectorI12hip_bfloat16NS0_10empty_typeEEEZNS1_21radix_sort_block_sortIS4_Lb0EPKS6_PS6_PS7_SD_NS0_19identity_decomposerEEE10hipError_tT1_T2_T3_T4_jRjT5_jjP12ihipStream_tbEUlT_E_NS1_11comp_targetILNS1_3genE3ELNS1_11target_archE908ELNS1_3gpuE7ELNS1_3repE0EEENS1_44radix_sort_block_sort_config_static_selectorELNS0_4arch9wavefront6targetE0EEEvSG_.has_indirect_call, 0
	.section	.AMDGPU.csdata,"",@progbits
; Kernel info:
; codeLenInByte = 0
; TotalNumSgprs: 0
; NumVgprs: 0
; ScratchSize: 0
; MemoryBound: 0
; FloatMode: 240
; IeeeMode: 1
; LDSByteSize: 0 bytes/workgroup (compile time only)
; SGPRBlocks: 0
; VGPRBlocks: 0
; NumSGPRsForWavesPerEU: 1
; NumVGPRsForWavesPerEU: 1
; NamedBarCnt: 0
; Occupancy: 16
; WaveLimiterHint : 0
; COMPUTE_PGM_RSRC2:SCRATCH_EN: 0
; COMPUTE_PGM_RSRC2:USER_SGPR: 2
; COMPUTE_PGM_RSRC2:TRAP_HANDLER: 0
; COMPUTE_PGM_RSRC2:TGID_X_EN: 1
; COMPUTE_PGM_RSRC2:TGID_Y_EN: 0
; COMPUTE_PGM_RSRC2:TGID_Z_EN: 0
; COMPUTE_PGM_RSRC2:TIDIG_COMP_CNT: 0
	.section	.text._ZN7rocprim17ROCPRIM_400000_NS6detail17trampoline_kernelINS0_13kernel_configILj256ELj4ELj4294967295EEENS1_37radix_sort_block_sort_config_selectorI12hip_bfloat16NS0_10empty_typeEEEZNS1_21radix_sort_block_sortIS4_Lb0EPKS6_PS6_PS7_SD_NS0_19identity_decomposerEEE10hipError_tT1_T2_T3_T4_jRjT5_jjP12ihipStream_tbEUlT_E_NS1_11comp_targetILNS1_3genE2ELNS1_11target_archE906ELNS1_3gpuE6ELNS1_3repE0EEENS1_44radix_sort_block_sort_config_static_selectorELNS0_4arch9wavefront6targetE0EEEvSG_,"axG",@progbits,_ZN7rocprim17ROCPRIM_400000_NS6detail17trampoline_kernelINS0_13kernel_configILj256ELj4ELj4294967295EEENS1_37radix_sort_block_sort_config_selectorI12hip_bfloat16NS0_10empty_typeEEEZNS1_21radix_sort_block_sortIS4_Lb0EPKS6_PS6_PS7_SD_NS0_19identity_decomposerEEE10hipError_tT1_T2_T3_T4_jRjT5_jjP12ihipStream_tbEUlT_E_NS1_11comp_targetILNS1_3genE2ELNS1_11target_archE906ELNS1_3gpuE6ELNS1_3repE0EEENS1_44radix_sort_block_sort_config_static_selectorELNS0_4arch9wavefront6targetE0EEEvSG_,comdat
	.protected	_ZN7rocprim17ROCPRIM_400000_NS6detail17trampoline_kernelINS0_13kernel_configILj256ELj4ELj4294967295EEENS1_37radix_sort_block_sort_config_selectorI12hip_bfloat16NS0_10empty_typeEEEZNS1_21radix_sort_block_sortIS4_Lb0EPKS6_PS6_PS7_SD_NS0_19identity_decomposerEEE10hipError_tT1_T2_T3_T4_jRjT5_jjP12ihipStream_tbEUlT_E_NS1_11comp_targetILNS1_3genE2ELNS1_11target_archE906ELNS1_3gpuE6ELNS1_3repE0EEENS1_44radix_sort_block_sort_config_static_selectorELNS0_4arch9wavefront6targetE0EEEvSG_ ; -- Begin function _ZN7rocprim17ROCPRIM_400000_NS6detail17trampoline_kernelINS0_13kernel_configILj256ELj4ELj4294967295EEENS1_37radix_sort_block_sort_config_selectorI12hip_bfloat16NS0_10empty_typeEEEZNS1_21radix_sort_block_sortIS4_Lb0EPKS6_PS6_PS7_SD_NS0_19identity_decomposerEEE10hipError_tT1_T2_T3_T4_jRjT5_jjP12ihipStream_tbEUlT_E_NS1_11comp_targetILNS1_3genE2ELNS1_11target_archE906ELNS1_3gpuE6ELNS1_3repE0EEENS1_44radix_sort_block_sort_config_static_selectorELNS0_4arch9wavefront6targetE0EEEvSG_
	.globl	_ZN7rocprim17ROCPRIM_400000_NS6detail17trampoline_kernelINS0_13kernel_configILj256ELj4ELj4294967295EEENS1_37radix_sort_block_sort_config_selectorI12hip_bfloat16NS0_10empty_typeEEEZNS1_21radix_sort_block_sortIS4_Lb0EPKS6_PS6_PS7_SD_NS0_19identity_decomposerEEE10hipError_tT1_T2_T3_T4_jRjT5_jjP12ihipStream_tbEUlT_E_NS1_11comp_targetILNS1_3genE2ELNS1_11target_archE906ELNS1_3gpuE6ELNS1_3repE0EEENS1_44radix_sort_block_sort_config_static_selectorELNS0_4arch9wavefront6targetE0EEEvSG_
	.p2align	8
	.type	_ZN7rocprim17ROCPRIM_400000_NS6detail17trampoline_kernelINS0_13kernel_configILj256ELj4ELj4294967295EEENS1_37radix_sort_block_sort_config_selectorI12hip_bfloat16NS0_10empty_typeEEEZNS1_21radix_sort_block_sortIS4_Lb0EPKS6_PS6_PS7_SD_NS0_19identity_decomposerEEE10hipError_tT1_T2_T3_T4_jRjT5_jjP12ihipStream_tbEUlT_E_NS1_11comp_targetILNS1_3genE2ELNS1_11target_archE906ELNS1_3gpuE6ELNS1_3repE0EEENS1_44radix_sort_block_sort_config_static_selectorELNS0_4arch9wavefront6targetE0EEEvSG_,@function
_ZN7rocprim17ROCPRIM_400000_NS6detail17trampoline_kernelINS0_13kernel_configILj256ELj4ELj4294967295EEENS1_37radix_sort_block_sort_config_selectorI12hip_bfloat16NS0_10empty_typeEEEZNS1_21radix_sort_block_sortIS4_Lb0EPKS6_PS6_PS7_SD_NS0_19identity_decomposerEEE10hipError_tT1_T2_T3_T4_jRjT5_jjP12ihipStream_tbEUlT_E_NS1_11comp_targetILNS1_3genE2ELNS1_11target_archE906ELNS1_3gpuE6ELNS1_3repE0EEENS1_44radix_sort_block_sort_config_static_selectorELNS0_4arch9wavefront6targetE0EEEvSG_: ; @_ZN7rocprim17ROCPRIM_400000_NS6detail17trampoline_kernelINS0_13kernel_configILj256ELj4ELj4294967295EEENS1_37radix_sort_block_sort_config_selectorI12hip_bfloat16NS0_10empty_typeEEEZNS1_21radix_sort_block_sortIS4_Lb0EPKS6_PS6_PS7_SD_NS0_19identity_decomposerEEE10hipError_tT1_T2_T3_T4_jRjT5_jjP12ihipStream_tbEUlT_E_NS1_11comp_targetILNS1_3genE2ELNS1_11target_archE906ELNS1_3gpuE6ELNS1_3repE0EEENS1_44radix_sort_block_sort_config_static_selectorELNS0_4arch9wavefront6targetE0EEEvSG_
; %bb.0:
	.section	.rodata,"a",@progbits
	.p2align	6, 0x0
	.amdhsa_kernel _ZN7rocprim17ROCPRIM_400000_NS6detail17trampoline_kernelINS0_13kernel_configILj256ELj4ELj4294967295EEENS1_37radix_sort_block_sort_config_selectorI12hip_bfloat16NS0_10empty_typeEEEZNS1_21radix_sort_block_sortIS4_Lb0EPKS6_PS6_PS7_SD_NS0_19identity_decomposerEEE10hipError_tT1_T2_T3_T4_jRjT5_jjP12ihipStream_tbEUlT_E_NS1_11comp_targetILNS1_3genE2ELNS1_11target_archE906ELNS1_3gpuE6ELNS1_3repE0EEENS1_44radix_sort_block_sort_config_static_selectorELNS0_4arch9wavefront6targetE0EEEvSG_
		.amdhsa_group_segment_fixed_size 0
		.amdhsa_private_segment_fixed_size 0
		.amdhsa_kernarg_size 48
		.amdhsa_user_sgpr_count 2
		.amdhsa_user_sgpr_dispatch_ptr 0
		.amdhsa_user_sgpr_queue_ptr 0
		.amdhsa_user_sgpr_kernarg_segment_ptr 1
		.amdhsa_user_sgpr_dispatch_id 0
		.amdhsa_user_sgpr_kernarg_preload_length 0
		.amdhsa_user_sgpr_kernarg_preload_offset 0
		.amdhsa_user_sgpr_private_segment_size 0
		.amdhsa_wavefront_size32 1
		.amdhsa_uses_dynamic_stack 0
		.amdhsa_enable_private_segment 0
		.amdhsa_system_sgpr_workgroup_id_x 1
		.amdhsa_system_sgpr_workgroup_id_y 0
		.amdhsa_system_sgpr_workgroup_id_z 0
		.amdhsa_system_sgpr_workgroup_info 0
		.amdhsa_system_vgpr_workitem_id 0
		.amdhsa_next_free_vgpr 1
		.amdhsa_next_free_sgpr 1
		.amdhsa_named_barrier_count 0
		.amdhsa_reserve_vcc 0
		.amdhsa_float_round_mode_32 0
		.amdhsa_float_round_mode_16_64 0
		.amdhsa_float_denorm_mode_32 3
		.amdhsa_float_denorm_mode_16_64 3
		.amdhsa_fp16_overflow 0
		.amdhsa_memory_ordered 1
		.amdhsa_forward_progress 1
		.amdhsa_inst_pref_size 0
		.amdhsa_round_robin_scheduling 0
		.amdhsa_exception_fp_ieee_invalid_op 0
		.amdhsa_exception_fp_denorm_src 0
		.amdhsa_exception_fp_ieee_div_zero 0
		.amdhsa_exception_fp_ieee_overflow 0
		.amdhsa_exception_fp_ieee_underflow 0
		.amdhsa_exception_fp_ieee_inexact 0
		.amdhsa_exception_int_div_zero 0
	.end_amdhsa_kernel
	.section	.text._ZN7rocprim17ROCPRIM_400000_NS6detail17trampoline_kernelINS0_13kernel_configILj256ELj4ELj4294967295EEENS1_37radix_sort_block_sort_config_selectorI12hip_bfloat16NS0_10empty_typeEEEZNS1_21radix_sort_block_sortIS4_Lb0EPKS6_PS6_PS7_SD_NS0_19identity_decomposerEEE10hipError_tT1_T2_T3_T4_jRjT5_jjP12ihipStream_tbEUlT_E_NS1_11comp_targetILNS1_3genE2ELNS1_11target_archE906ELNS1_3gpuE6ELNS1_3repE0EEENS1_44radix_sort_block_sort_config_static_selectorELNS0_4arch9wavefront6targetE0EEEvSG_,"axG",@progbits,_ZN7rocprim17ROCPRIM_400000_NS6detail17trampoline_kernelINS0_13kernel_configILj256ELj4ELj4294967295EEENS1_37radix_sort_block_sort_config_selectorI12hip_bfloat16NS0_10empty_typeEEEZNS1_21radix_sort_block_sortIS4_Lb0EPKS6_PS6_PS7_SD_NS0_19identity_decomposerEEE10hipError_tT1_T2_T3_T4_jRjT5_jjP12ihipStream_tbEUlT_E_NS1_11comp_targetILNS1_3genE2ELNS1_11target_archE906ELNS1_3gpuE6ELNS1_3repE0EEENS1_44radix_sort_block_sort_config_static_selectorELNS0_4arch9wavefront6targetE0EEEvSG_,comdat
.Lfunc_end2004:
	.size	_ZN7rocprim17ROCPRIM_400000_NS6detail17trampoline_kernelINS0_13kernel_configILj256ELj4ELj4294967295EEENS1_37radix_sort_block_sort_config_selectorI12hip_bfloat16NS0_10empty_typeEEEZNS1_21radix_sort_block_sortIS4_Lb0EPKS6_PS6_PS7_SD_NS0_19identity_decomposerEEE10hipError_tT1_T2_T3_T4_jRjT5_jjP12ihipStream_tbEUlT_E_NS1_11comp_targetILNS1_3genE2ELNS1_11target_archE906ELNS1_3gpuE6ELNS1_3repE0EEENS1_44radix_sort_block_sort_config_static_selectorELNS0_4arch9wavefront6targetE0EEEvSG_, .Lfunc_end2004-_ZN7rocprim17ROCPRIM_400000_NS6detail17trampoline_kernelINS0_13kernel_configILj256ELj4ELj4294967295EEENS1_37radix_sort_block_sort_config_selectorI12hip_bfloat16NS0_10empty_typeEEEZNS1_21radix_sort_block_sortIS4_Lb0EPKS6_PS6_PS7_SD_NS0_19identity_decomposerEEE10hipError_tT1_T2_T3_T4_jRjT5_jjP12ihipStream_tbEUlT_E_NS1_11comp_targetILNS1_3genE2ELNS1_11target_archE906ELNS1_3gpuE6ELNS1_3repE0EEENS1_44radix_sort_block_sort_config_static_selectorELNS0_4arch9wavefront6targetE0EEEvSG_
                                        ; -- End function
	.set _ZN7rocprim17ROCPRIM_400000_NS6detail17trampoline_kernelINS0_13kernel_configILj256ELj4ELj4294967295EEENS1_37radix_sort_block_sort_config_selectorI12hip_bfloat16NS0_10empty_typeEEEZNS1_21radix_sort_block_sortIS4_Lb0EPKS6_PS6_PS7_SD_NS0_19identity_decomposerEEE10hipError_tT1_T2_T3_T4_jRjT5_jjP12ihipStream_tbEUlT_E_NS1_11comp_targetILNS1_3genE2ELNS1_11target_archE906ELNS1_3gpuE6ELNS1_3repE0EEENS1_44radix_sort_block_sort_config_static_selectorELNS0_4arch9wavefront6targetE0EEEvSG_.num_vgpr, 0
	.set _ZN7rocprim17ROCPRIM_400000_NS6detail17trampoline_kernelINS0_13kernel_configILj256ELj4ELj4294967295EEENS1_37radix_sort_block_sort_config_selectorI12hip_bfloat16NS0_10empty_typeEEEZNS1_21radix_sort_block_sortIS4_Lb0EPKS6_PS6_PS7_SD_NS0_19identity_decomposerEEE10hipError_tT1_T2_T3_T4_jRjT5_jjP12ihipStream_tbEUlT_E_NS1_11comp_targetILNS1_3genE2ELNS1_11target_archE906ELNS1_3gpuE6ELNS1_3repE0EEENS1_44radix_sort_block_sort_config_static_selectorELNS0_4arch9wavefront6targetE0EEEvSG_.num_agpr, 0
	.set _ZN7rocprim17ROCPRIM_400000_NS6detail17trampoline_kernelINS0_13kernel_configILj256ELj4ELj4294967295EEENS1_37radix_sort_block_sort_config_selectorI12hip_bfloat16NS0_10empty_typeEEEZNS1_21radix_sort_block_sortIS4_Lb0EPKS6_PS6_PS7_SD_NS0_19identity_decomposerEEE10hipError_tT1_T2_T3_T4_jRjT5_jjP12ihipStream_tbEUlT_E_NS1_11comp_targetILNS1_3genE2ELNS1_11target_archE906ELNS1_3gpuE6ELNS1_3repE0EEENS1_44radix_sort_block_sort_config_static_selectorELNS0_4arch9wavefront6targetE0EEEvSG_.numbered_sgpr, 0
	.set _ZN7rocprim17ROCPRIM_400000_NS6detail17trampoline_kernelINS0_13kernel_configILj256ELj4ELj4294967295EEENS1_37radix_sort_block_sort_config_selectorI12hip_bfloat16NS0_10empty_typeEEEZNS1_21radix_sort_block_sortIS4_Lb0EPKS6_PS6_PS7_SD_NS0_19identity_decomposerEEE10hipError_tT1_T2_T3_T4_jRjT5_jjP12ihipStream_tbEUlT_E_NS1_11comp_targetILNS1_3genE2ELNS1_11target_archE906ELNS1_3gpuE6ELNS1_3repE0EEENS1_44radix_sort_block_sort_config_static_selectorELNS0_4arch9wavefront6targetE0EEEvSG_.num_named_barrier, 0
	.set _ZN7rocprim17ROCPRIM_400000_NS6detail17trampoline_kernelINS0_13kernel_configILj256ELj4ELj4294967295EEENS1_37radix_sort_block_sort_config_selectorI12hip_bfloat16NS0_10empty_typeEEEZNS1_21radix_sort_block_sortIS4_Lb0EPKS6_PS6_PS7_SD_NS0_19identity_decomposerEEE10hipError_tT1_T2_T3_T4_jRjT5_jjP12ihipStream_tbEUlT_E_NS1_11comp_targetILNS1_3genE2ELNS1_11target_archE906ELNS1_3gpuE6ELNS1_3repE0EEENS1_44radix_sort_block_sort_config_static_selectorELNS0_4arch9wavefront6targetE0EEEvSG_.private_seg_size, 0
	.set _ZN7rocprim17ROCPRIM_400000_NS6detail17trampoline_kernelINS0_13kernel_configILj256ELj4ELj4294967295EEENS1_37radix_sort_block_sort_config_selectorI12hip_bfloat16NS0_10empty_typeEEEZNS1_21radix_sort_block_sortIS4_Lb0EPKS6_PS6_PS7_SD_NS0_19identity_decomposerEEE10hipError_tT1_T2_T3_T4_jRjT5_jjP12ihipStream_tbEUlT_E_NS1_11comp_targetILNS1_3genE2ELNS1_11target_archE906ELNS1_3gpuE6ELNS1_3repE0EEENS1_44radix_sort_block_sort_config_static_selectorELNS0_4arch9wavefront6targetE0EEEvSG_.uses_vcc, 0
	.set _ZN7rocprim17ROCPRIM_400000_NS6detail17trampoline_kernelINS0_13kernel_configILj256ELj4ELj4294967295EEENS1_37radix_sort_block_sort_config_selectorI12hip_bfloat16NS0_10empty_typeEEEZNS1_21radix_sort_block_sortIS4_Lb0EPKS6_PS6_PS7_SD_NS0_19identity_decomposerEEE10hipError_tT1_T2_T3_T4_jRjT5_jjP12ihipStream_tbEUlT_E_NS1_11comp_targetILNS1_3genE2ELNS1_11target_archE906ELNS1_3gpuE6ELNS1_3repE0EEENS1_44radix_sort_block_sort_config_static_selectorELNS0_4arch9wavefront6targetE0EEEvSG_.uses_flat_scratch, 0
	.set _ZN7rocprim17ROCPRIM_400000_NS6detail17trampoline_kernelINS0_13kernel_configILj256ELj4ELj4294967295EEENS1_37radix_sort_block_sort_config_selectorI12hip_bfloat16NS0_10empty_typeEEEZNS1_21radix_sort_block_sortIS4_Lb0EPKS6_PS6_PS7_SD_NS0_19identity_decomposerEEE10hipError_tT1_T2_T3_T4_jRjT5_jjP12ihipStream_tbEUlT_E_NS1_11comp_targetILNS1_3genE2ELNS1_11target_archE906ELNS1_3gpuE6ELNS1_3repE0EEENS1_44radix_sort_block_sort_config_static_selectorELNS0_4arch9wavefront6targetE0EEEvSG_.has_dyn_sized_stack, 0
	.set _ZN7rocprim17ROCPRIM_400000_NS6detail17trampoline_kernelINS0_13kernel_configILj256ELj4ELj4294967295EEENS1_37radix_sort_block_sort_config_selectorI12hip_bfloat16NS0_10empty_typeEEEZNS1_21radix_sort_block_sortIS4_Lb0EPKS6_PS6_PS7_SD_NS0_19identity_decomposerEEE10hipError_tT1_T2_T3_T4_jRjT5_jjP12ihipStream_tbEUlT_E_NS1_11comp_targetILNS1_3genE2ELNS1_11target_archE906ELNS1_3gpuE6ELNS1_3repE0EEENS1_44radix_sort_block_sort_config_static_selectorELNS0_4arch9wavefront6targetE0EEEvSG_.has_recursion, 0
	.set _ZN7rocprim17ROCPRIM_400000_NS6detail17trampoline_kernelINS0_13kernel_configILj256ELj4ELj4294967295EEENS1_37radix_sort_block_sort_config_selectorI12hip_bfloat16NS0_10empty_typeEEEZNS1_21radix_sort_block_sortIS4_Lb0EPKS6_PS6_PS7_SD_NS0_19identity_decomposerEEE10hipError_tT1_T2_T3_T4_jRjT5_jjP12ihipStream_tbEUlT_E_NS1_11comp_targetILNS1_3genE2ELNS1_11target_archE906ELNS1_3gpuE6ELNS1_3repE0EEENS1_44radix_sort_block_sort_config_static_selectorELNS0_4arch9wavefront6targetE0EEEvSG_.has_indirect_call, 0
	.section	.AMDGPU.csdata,"",@progbits
; Kernel info:
; codeLenInByte = 0
; TotalNumSgprs: 0
; NumVgprs: 0
; ScratchSize: 0
; MemoryBound: 0
; FloatMode: 240
; IeeeMode: 1
; LDSByteSize: 0 bytes/workgroup (compile time only)
; SGPRBlocks: 0
; VGPRBlocks: 0
; NumSGPRsForWavesPerEU: 1
; NumVGPRsForWavesPerEU: 1
; NamedBarCnt: 0
; Occupancy: 16
; WaveLimiterHint : 0
; COMPUTE_PGM_RSRC2:SCRATCH_EN: 0
; COMPUTE_PGM_RSRC2:USER_SGPR: 2
; COMPUTE_PGM_RSRC2:TRAP_HANDLER: 0
; COMPUTE_PGM_RSRC2:TGID_X_EN: 1
; COMPUTE_PGM_RSRC2:TGID_Y_EN: 0
; COMPUTE_PGM_RSRC2:TGID_Z_EN: 0
; COMPUTE_PGM_RSRC2:TIDIG_COMP_CNT: 0
	.section	.text._ZN7rocprim17ROCPRIM_400000_NS6detail17trampoline_kernelINS0_13kernel_configILj256ELj4ELj4294967295EEENS1_37radix_sort_block_sort_config_selectorI12hip_bfloat16NS0_10empty_typeEEEZNS1_21radix_sort_block_sortIS4_Lb0EPKS6_PS6_PS7_SD_NS0_19identity_decomposerEEE10hipError_tT1_T2_T3_T4_jRjT5_jjP12ihipStream_tbEUlT_E_NS1_11comp_targetILNS1_3genE10ELNS1_11target_archE1201ELNS1_3gpuE5ELNS1_3repE0EEENS1_44radix_sort_block_sort_config_static_selectorELNS0_4arch9wavefront6targetE0EEEvSG_,"axG",@progbits,_ZN7rocprim17ROCPRIM_400000_NS6detail17trampoline_kernelINS0_13kernel_configILj256ELj4ELj4294967295EEENS1_37radix_sort_block_sort_config_selectorI12hip_bfloat16NS0_10empty_typeEEEZNS1_21radix_sort_block_sortIS4_Lb0EPKS6_PS6_PS7_SD_NS0_19identity_decomposerEEE10hipError_tT1_T2_T3_T4_jRjT5_jjP12ihipStream_tbEUlT_E_NS1_11comp_targetILNS1_3genE10ELNS1_11target_archE1201ELNS1_3gpuE5ELNS1_3repE0EEENS1_44radix_sort_block_sort_config_static_selectorELNS0_4arch9wavefront6targetE0EEEvSG_,comdat
	.protected	_ZN7rocprim17ROCPRIM_400000_NS6detail17trampoline_kernelINS0_13kernel_configILj256ELj4ELj4294967295EEENS1_37radix_sort_block_sort_config_selectorI12hip_bfloat16NS0_10empty_typeEEEZNS1_21radix_sort_block_sortIS4_Lb0EPKS6_PS6_PS7_SD_NS0_19identity_decomposerEEE10hipError_tT1_T2_T3_T4_jRjT5_jjP12ihipStream_tbEUlT_E_NS1_11comp_targetILNS1_3genE10ELNS1_11target_archE1201ELNS1_3gpuE5ELNS1_3repE0EEENS1_44radix_sort_block_sort_config_static_selectorELNS0_4arch9wavefront6targetE0EEEvSG_ ; -- Begin function _ZN7rocprim17ROCPRIM_400000_NS6detail17trampoline_kernelINS0_13kernel_configILj256ELj4ELj4294967295EEENS1_37radix_sort_block_sort_config_selectorI12hip_bfloat16NS0_10empty_typeEEEZNS1_21radix_sort_block_sortIS4_Lb0EPKS6_PS6_PS7_SD_NS0_19identity_decomposerEEE10hipError_tT1_T2_T3_T4_jRjT5_jjP12ihipStream_tbEUlT_E_NS1_11comp_targetILNS1_3genE10ELNS1_11target_archE1201ELNS1_3gpuE5ELNS1_3repE0EEENS1_44radix_sort_block_sort_config_static_selectorELNS0_4arch9wavefront6targetE0EEEvSG_
	.globl	_ZN7rocprim17ROCPRIM_400000_NS6detail17trampoline_kernelINS0_13kernel_configILj256ELj4ELj4294967295EEENS1_37radix_sort_block_sort_config_selectorI12hip_bfloat16NS0_10empty_typeEEEZNS1_21radix_sort_block_sortIS4_Lb0EPKS6_PS6_PS7_SD_NS0_19identity_decomposerEEE10hipError_tT1_T2_T3_T4_jRjT5_jjP12ihipStream_tbEUlT_E_NS1_11comp_targetILNS1_3genE10ELNS1_11target_archE1201ELNS1_3gpuE5ELNS1_3repE0EEENS1_44radix_sort_block_sort_config_static_selectorELNS0_4arch9wavefront6targetE0EEEvSG_
	.p2align	8
	.type	_ZN7rocprim17ROCPRIM_400000_NS6detail17trampoline_kernelINS0_13kernel_configILj256ELj4ELj4294967295EEENS1_37radix_sort_block_sort_config_selectorI12hip_bfloat16NS0_10empty_typeEEEZNS1_21radix_sort_block_sortIS4_Lb0EPKS6_PS6_PS7_SD_NS0_19identity_decomposerEEE10hipError_tT1_T2_T3_T4_jRjT5_jjP12ihipStream_tbEUlT_E_NS1_11comp_targetILNS1_3genE10ELNS1_11target_archE1201ELNS1_3gpuE5ELNS1_3repE0EEENS1_44radix_sort_block_sort_config_static_selectorELNS0_4arch9wavefront6targetE0EEEvSG_,@function
_ZN7rocprim17ROCPRIM_400000_NS6detail17trampoline_kernelINS0_13kernel_configILj256ELj4ELj4294967295EEENS1_37radix_sort_block_sort_config_selectorI12hip_bfloat16NS0_10empty_typeEEEZNS1_21radix_sort_block_sortIS4_Lb0EPKS6_PS6_PS7_SD_NS0_19identity_decomposerEEE10hipError_tT1_T2_T3_T4_jRjT5_jjP12ihipStream_tbEUlT_E_NS1_11comp_targetILNS1_3genE10ELNS1_11target_archE1201ELNS1_3gpuE5ELNS1_3repE0EEENS1_44radix_sort_block_sort_config_static_selectorELNS0_4arch9wavefront6targetE0EEEvSG_: ; @_ZN7rocprim17ROCPRIM_400000_NS6detail17trampoline_kernelINS0_13kernel_configILj256ELj4ELj4294967295EEENS1_37radix_sort_block_sort_config_selectorI12hip_bfloat16NS0_10empty_typeEEEZNS1_21radix_sort_block_sortIS4_Lb0EPKS6_PS6_PS7_SD_NS0_19identity_decomposerEEE10hipError_tT1_T2_T3_T4_jRjT5_jjP12ihipStream_tbEUlT_E_NS1_11comp_targetILNS1_3genE10ELNS1_11target_archE1201ELNS1_3gpuE5ELNS1_3repE0EEENS1_44radix_sort_block_sort_config_static_selectorELNS0_4arch9wavefront6targetE0EEEvSG_
; %bb.0:
	.section	.rodata,"a",@progbits
	.p2align	6, 0x0
	.amdhsa_kernel _ZN7rocprim17ROCPRIM_400000_NS6detail17trampoline_kernelINS0_13kernel_configILj256ELj4ELj4294967295EEENS1_37radix_sort_block_sort_config_selectorI12hip_bfloat16NS0_10empty_typeEEEZNS1_21radix_sort_block_sortIS4_Lb0EPKS6_PS6_PS7_SD_NS0_19identity_decomposerEEE10hipError_tT1_T2_T3_T4_jRjT5_jjP12ihipStream_tbEUlT_E_NS1_11comp_targetILNS1_3genE10ELNS1_11target_archE1201ELNS1_3gpuE5ELNS1_3repE0EEENS1_44radix_sort_block_sort_config_static_selectorELNS0_4arch9wavefront6targetE0EEEvSG_
		.amdhsa_group_segment_fixed_size 0
		.amdhsa_private_segment_fixed_size 0
		.amdhsa_kernarg_size 48
		.amdhsa_user_sgpr_count 2
		.amdhsa_user_sgpr_dispatch_ptr 0
		.amdhsa_user_sgpr_queue_ptr 0
		.amdhsa_user_sgpr_kernarg_segment_ptr 1
		.amdhsa_user_sgpr_dispatch_id 0
		.amdhsa_user_sgpr_kernarg_preload_length 0
		.amdhsa_user_sgpr_kernarg_preload_offset 0
		.amdhsa_user_sgpr_private_segment_size 0
		.amdhsa_wavefront_size32 1
		.amdhsa_uses_dynamic_stack 0
		.amdhsa_enable_private_segment 0
		.amdhsa_system_sgpr_workgroup_id_x 1
		.amdhsa_system_sgpr_workgroup_id_y 0
		.amdhsa_system_sgpr_workgroup_id_z 0
		.amdhsa_system_sgpr_workgroup_info 0
		.amdhsa_system_vgpr_workitem_id 0
		.amdhsa_next_free_vgpr 1
		.amdhsa_next_free_sgpr 1
		.amdhsa_named_barrier_count 0
		.amdhsa_reserve_vcc 0
		.amdhsa_float_round_mode_32 0
		.amdhsa_float_round_mode_16_64 0
		.amdhsa_float_denorm_mode_32 3
		.amdhsa_float_denorm_mode_16_64 3
		.amdhsa_fp16_overflow 0
		.amdhsa_memory_ordered 1
		.amdhsa_forward_progress 1
		.amdhsa_inst_pref_size 0
		.amdhsa_round_robin_scheduling 0
		.amdhsa_exception_fp_ieee_invalid_op 0
		.amdhsa_exception_fp_denorm_src 0
		.amdhsa_exception_fp_ieee_div_zero 0
		.amdhsa_exception_fp_ieee_overflow 0
		.amdhsa_exception_fp_ieee_underflow 0
		.amdhsa_exception_fp_ieee_inexact 0
		.amdhsa_exception_int_div_zero 0
	.end_amdhsa_kernel
	.section	.text._ZN7rocprim17ROCPRIM_400000_NS6detail17trampoline_kernelINS0_13kernel_configILj256ELj4ELj4294967295EEENS1_37radix_sort_block_sort_config_selectorI12hip_bfloat16NS0_10empty_typeEEEZNS1_21radix_sort_block_sortIS4_Lb0EPKS6_PS6_PS7_SD_NS0_19identity_decomposerEEE10hipError_tT1_T2_T3_T4_jRjT5_jjP12ihipStream_tbEUlT_E_NS1_11comp_targetILNS1_3genE10ELNS1_11target_archE1201ELNS1_3gpuE5ELNS1_3repE0EEENS1_44radix_sort_block_sort_config_static_selectorELNS0_4arch9wavefront6targetE0EEEvSG_,"axG",@progbits,_ZN7rocprim17ROCPRIM_400000_NS6detail17trampoline_kernelINS0_13kernel_configILj256ELj4ELj4294967295EEENS1_37radix_sort_block_sort_config_selectorI12hip_bfloat16NS0_10empty_typeEEEZNS1_21radix_sort_block_sortIS4_Lb0EPKS6_PS6_PS7_SD_NS0_19identity_decomposerEEE10hipError_tT1_T2_T3_T4_jRjT5_jjP12ihipStream_tbEUlT_E_NS1_11comp_targetILNS1_3genE10ELNS1_11target_archE1201ELNS1_3gpuE5ELNS1_3repE0EEENS1_44radix_sort_block_sort_config_static_selectorELNS0_4arch9wavefront6targetE0EEEvSG_,comdat
.Lfunc_end2005:
	.size	_ZN7rocprim17ROCPRIM_400000_NS6detail17trampoline_kernelINS0_13kernel_configILj256ELj4ELj4294967295EEENS1_37radix_sort_block_sort_config_selectorI12hip_bfloat16NS0_10empty_typeEEEZNS1_21radix_sort_block_sortIS4_Lb0EPKS6_PS6_PS7_SD_NS0_19identity_decomposerEEE10hipError_tT1_T2_T3_T4_jRjT5_jjP12ihipStream_tbEUlT_E_NS1_11comp_targetILNS1_3genE10ELNS1_11target_archE1201ELNS1_3gpuE5ELNS1_3repE0EEENS1_44radix_sort_block_sort_config_static_selectorELNS0_4arch9wavefront6targetE0EEEvSG_, .Lfunc_end2005-_ZN7rocprim17ROCPRIM_400000_NS6detail17trampoline_kernelINS0_13kernel_configILj256ELj4ELj4294967295EEENS1_37radix_sort_block_sort_config_selectorI12hip_bfloat16NS0_10empty_typeEEEZNS1_21radix_sort_block_sortIS4_Lb0EPKS6_PS6_PS7_SD_NS0_19identity_decomposerEEE10hipError_tT1_T2_T3_T4_jRjT5_jjP12ihipStream_tbEUlT_E_NS1_11comp_targetILNS1_3genE10ELNS1_11target_archE1201ELNS1_3gpuE5ELNS1_3repE0EEENS1_44radix_sort_block_sort_config_static_selectorELNS0_4arch9wavefront6targetE0EEEvSG_
                                        ; -- End function
	.set _ZN7rocprim17ROCPRIM_400000_NS6detail17trampoline_kernelINS0_13kernel_configILj256ELj4ELj4294967295EEENS1_37radix_sort_block_sort_config_selectorI12hip_bfloat16NS0_10empty_typeEEEZNS1_21radix_sort_block_sortIS4_Lb0EPKS6_PS6_PS7_SD_NS0_19identity_decomposerEEE10hipError_tT1_T2_T3_T4_jRjT5_jjP12ihipStream_tbEUlT_E_NS1_11comp_targetILNS1_3genE10ELNS1_11target_archE1201ELNS1_3gpuE5ELNS1_3repE0EEENS1_44radix_sort_block_sort_config_static_selectorELNS0_4arch9wavefront6targetE0EEEvSG_.num_vgpr, 0
	.set _ZN7rocprim17ROCPRIM_400000_NS6detail17trampoline_kernelINS0_13kernel_configILj256ELj4ELj4294967295EEENS1_37radix_sort_block_sort_config_selectorI12hip_bfloat16NS0_10empty_typeEEEZNS1_21radix_sort_block_sortIS4_Lb0EPKS6_PS6_PS7_SD_NS0_19identity_decomposerEEE10hipError_tT1_T2_T3_T4_jRjT5_jjP12ihipStream_tbEUlT_E_NS1_11comp_targetILNS1_3genE10ELNS1_11target_archE1201ELNS1_3gpuE5ELNS1_3repE0EEENS1_44radix_sort_block_sort_config_static_selectorELNS0_4arch9wavefront6targetE0EEEvSG_.num_agpr, 0
	.set _ZN7rocprim17ROCPRIM_400000_NS6detail17trampoline_kernelINS0_13kernel_configILj256ELj4ELj4294967295EEENS1_37radix_sort_block_sort_config_selectorI12hip_bfloat16NS0_10empty_typeEEEZNS1_21radix_sort_block_sortIS4_Lb0EPKS6_PS6_PS7_SD_NS0_19identity_decomposerEEE10hipError_tT1_T2_T3_T4_jRjT5_jjP12ihipStream_tbEUlT_E_NS1_11comp_targetILNS1_3genE10ELNS1_11target_archE1201ELNS1_3gpuE5ELNS1_3repE0EEENS1_44radix_sort_block_sort_config_static_selectorELNS0_4arch9wavefront6targetE0EEEvSG_.numbered_sgpr, 0
	.set _ZN7rocprim17ROCPRIM_400000_NS6detail17trampoline_kernelINS0_13kernel_configILj256ELj4ELj4294967295EEENS1_37radix_sort_block_sort_config_selectorI12hip_bfloat16NS0_10empty_typeEEEZNS1_21radix_sort_block_sortIS4_Lb0EPKS6_PS6_PS7_SD_NS0_19identity_decomposerEEE10hipError_tT1_T2_T3_T4_jRjT5_jjP12ihipStream_tbEUlT_E_NS1_11comp_targetILNS1_3genE10ELNS1_11target_archE1201ELNS1_3gpuE5ELNS1_3repE0EEENS1_44radix_sort_block_sort_config_static_selectorELNS0_4arch9wavefront6targetE0EEEvSG_.num_named_barrier, 0
	.set _ZN7rocprim17ROCPRIM_400000_NS6detail17trampoline_kernelINS0_13kernel_configILj256ELj4ELj4294967295EEENS1_37radix_sort_block_sort_config_selectorI12hip_bfloat16NS0_10empty_typeEEEZNS1_21radix_sort_block_sortIS4_Lb0EPKS6_PS6_PS7_SD_NS0_19identity_decomposerEEE10hipError_tT1_T2_T3_T4_jRjT5_jjP12ihipStream_tbEUlT_E_NS1_11comp_targetILNS1_3genE10ELNS1_11target_archE1201ELNS1_3gpuE5ELNS1_3repE0EEENS1_44radix_sort_block_sort_config_static_selectorELNS0_4arch9wavefront6targetE0EEEvSG_.private_seg_size, 0
	.set _ZN7rocprim17ROCPRIM_400000_NS6detail17trampoline_kernelINS0_13kernel_configILj256ELj4ELj4294967295EEENS1_37radix_sort_block_sort_config_selectorI12hip_bfloat16NS0_10empty_typeEEEZNS1_21radix_sort_block_sortIS4_Lb0EPKS6_PS6_PS7_SD_NS0_19identity_decomposerEEE10hipError_tT1_T2_T3_T4_jRjT5_jjP12ihipStream_tbEUlT_E_NS1_11comp_targetILNS1_3genE10ELNS1_11target_archE1201ELNS1_3gpuE5ELNS1_3repE0EEENS1_44radix_sort_block_sort_config_static_selectorELNS0_4arch9wavefront6targetE0EEEvSG_.uses_vcc, 0
	.set _ZN7rocprim17ROCPRIM_400000_NS6detail17trampoline_kernelINS0_13kernel_configILj256ELj4ELj4294967295EEENS1_37radix_sort_block_sort_config_selectorI12hip_bfloat16NS0_10empty_typeEEEZNS1_21radix_sort_block_sortIS4_Lb0EPKS6_PS6_PS7_SD_NS0_19identity_decomposerEEE10hipError_tT1_T2_T3_T4_jRjT5_jjP12ihipStream_tbEUlT_E_NS1_11comp_targetILNS1_3genE10ELNS1_11target_archE1201ELNS1_3gpuE5ELNS1_3repE0EEENS1_44radix_sort_block_sort_config_static_selectorELNS0_4arch9wavefront6targetE0EEEvSG_.uses_flat_scratch, 0
	.set _ZN7rocprim17ROCPRIM_400000_NS6detail17trampoline_kernelINS0_13kernel_configILj256ELj4ELj4294967295EEENS1_37radix_sort_block_sort_config_selectorI12hip_bfloat16NS0_10empty_typeEEEZNS1_21radix_sort_block_sortIS4_Lb0EPKS6_PS6_PS7_SD_NS0_19identity_decomposerEEE10hipError_tT1_T2_T3_T4_jRjT5_jjP12ihipStream_tbEUlT_E_NS1_11comp_targetILNS1_3genE10ELNS1_11target_archE1201ELNS1_3gpuE5ELNS1_3repE0EEENS1_44radix_sort_block_sort_config_static_selectorELNS0_4arch9wavefront6targetE0EEEvSG_.has_dyn_sized_stack, 0
	.set _ZN7rocprim17ROCPRIM_400000_NS6detail17trampoline_kernelINS0_13kernel_configILj256ELj4ELj4294967295EEENS1_37radix_sort_block_sort_config_selectorI12hip_bfloat16NS0_10empty_typeEEEZNS1_21radix_sort_block_sortIS4_Lb0EPKS6_PS6_PS7_SD_NS0_19identity_decomposerEEE10hipError_tT1_T2_T3_T4_jRjT5_jjP12ihipStream_tbEUlT_E_NS1_11comp_targetILNS1_3genE10ELNS1_11target_archE1201ELNS1_3gpuE5ELNS1_3repE0EEENS1_44radix_sort_block_sort_config_static_selectorELNS0_4arch9wavefront6targetE0EEEvSG_.has_recursion, 0
	.set _ZN7rocprim17ROCPRIM_400000_NS6detail17trampoline_kernelINS0_13kernel_configILj256ELj4ELj4294967295EEENS1_37radix_sort_block_sort_config_selectorI12hip_bfloat16NS0_10empty_typeEEEZNS1_21radix_sort_block_sortIS4_Lb0EPKS6_PS6_PS7_SD_NS0_19identity_decomposerEEE10hipError_tT1_T2_T3_T4_jRjT5_jjP12ihipStream_tbEUlT_E_NS1_11comp_targetILNS1_3genE10ELNS1_11target_archE1201ELNS1_3gpuE5ELNS1_3repE0EEENS1_44radix_sort_block_sort_config_static_selectorELNS0_4arch9wavefront6targetE0EEEvSG_.has_indirect_call, 0
	.section	.AMDGPU.csdata,"",@progbits
; Kernel info:
; codeLenInByte = 0
; TotalNumSgprs: 0
; NumVgprs: 0
; ScratchSize: 0
; MemoryBound: 0
; FloatMode: 240
; IeeeMode: 1
; LDSByteSize: 0 bytes/workgroup (compile time only)
; SGPRBlocks: 0
; VGPRBlocks: 0
; NumSGPRsForWavesPerEU: 1
; NumVGPRsForWavesPerEU: 1
; NamedBarCnt: 0
; Occupancy: 16
; WaveLimiterHint : 0
; COMPUTE_PGM_RSRC2:SCRATCH_EN: 0
; COMPUTE_PGM_RSRC2:USER_SGPR: 2
; COMPUTE_PGM_RSRC2:TRAP_HANDLER: 0
; COMPUTE_PGM_RSRC2:TGID_X_EN: 1
; COMPUTE_PGM_RSRC2:TGID_Y_EN: 0
; COMPUTE_PGM_RSRC2:TGID_Z_EN: 0
; COMPUTE_PGM_RSRC2:TIDIG_COMP_CNT: 0
	.section	.text._ZN7rocprim17ROCPRIM_400000_NS6detail17trampoline_kernelINS0_13kernel_configILj256ELj4ELj4294967295EEENS1_37radix_sort_block_sort_config_selectorI12hip_bfloat16NS0_10empty_typeEEEZNS1_21radix_sort_block_sortIS4_Lb0EPKS6_PS6_PS7_SD_NS0_19identity_decomposerEEE10hipError_tT1_T2_T3_T4_jRjT5_jjP12ihipStream_tbEUlT_E_NS1_11comp_targetILNS1_3genE10ELNS1_11target_archE1200ELNS1_3gpuE4ELNS1_3repE0EEENS1_44radix_sort_block_sort_config_static_selectorELNS0_4arch9wavefront6targetE0EEEvSG_,"axG",@progbits,_ZN7rocprim17ROCPRIM_400000_NS6detail17trampoline_kernelINS0_13kernel_configILj256ELj4ELj4294967295EEENS1_37radix_sort_block_sort_config_selectorI12hip_bfloat16NS0_10empty_typeEEEZNS1_21radix_sort_block_sortIS4_Lb0EPKS6_PS6_PS7_SD_NS0_19identity_decomposerEEE10hipError_tT1_T2_T3_T4_jRjT5_jjP12ihipStream_tbEUlT_E_NS1_11comp_targetILNS1_3genE10ELNS1_11target_archE1200ELNS1_3gpuE4ELNS1_3repE0EEENS1_44radix_sort_block_sort_config_static_selectorELNS0_4arch9wavefront6targetE0EEEvSG_,comdat
	.protected	_ZN7rocprim17ROCPRIM_400000_NS6detail17trampoline_kernelINS0_13kernel_configILj256ELj4ELj4294967295EEENS1_37radix_sort_block_sort_config_selectorI12hip_bfloat16NS0_10empty_typeEEEZNS1_21radix_sort_block_sortIS4_Lb0EPKS6_PS6_PS7_SD_NS0_19identity_decomposerEEE10hipError_tT1_T2_T3_T4_jRjT5_jjP12ihipStream_tbEUlT_E_NS1_11comp_targetILNS1_3genE10ELNS1_11target_archE1200ELNS1_3gpuE4ELNS1_3repE0EEENS1_44radix_sort_block_sort_config_static_selectorELNS0_4arch9wavefront6targetE0EEEvSG_ ; -- Begin function _ZN7rocprim17ROCPRIM_400000_NS6detail17trampoline_kernelINS0_13kernel_configILj256ELj4ELj4294967295EEENS1_37radix_sort_block_sort_config_selectorI12hip_bfloat16NS0_10empty_typeEEEZNS1_21radix_sort_block_sortIS4_Lb0EPKS6_PS6_PS7_SD_NS0_19identity_decomposerEEE10hipError_tT1_T2_T3_T4_jRjT5_jjP12ihipStream_tbEUlT_E_NS1_11comp_targetILNS1_3genE10ELNS1_11target_archE1200ELNS1_3gpuE4ELNS1_3repE0EEENS1_44radix_sort_block_sort_config_static_selectorELNS0_4arch9wavefront6targetE0EEEvSG_
	.globl	_ZN7rocprim17ROCPRIM_400000_NS6detail17trampoline_kernelINS0_13kernel_configILj256ELj4ELj4294967295EEENS1_37radix_sort_block_sort_config_selectorI12hip_bfloat16NS0_10empty_typeEEEZNS1_21radix_sort_block_sortIS4_Lb0EPKS6_PS6_PS7_SD_NS0_19identity_decomposerEEE10hipError_tT1_T2_T3_T4_jRjT5_jjP12ihipStream_tbEUlT_E_NS1_11comp_targetILNS1_3genE10ELNS1_11target_archE1200ELNS1_3gpuE4ELNS1_3repE0EEENS1_44radix_sort_block_sort_config_static_selectorELNS0_4arch9wavefront6targetE0EEEvSG_
	.p2align	8
	.type	_ZN7rocprim17ROCPRIM_400000_NS6detail17trampoline_kernelINS0_13kernel_configILj256ELj4ELj4294967295EEENS1_37radix_sort_block_sort_config_selectorI12hip_bfloat16NS0_10empty_typeEEEZNS1_21radix_sort_block_sortIS4_Lb0EPKS6_PS6_PS7_SD_NS0_19identity_decomposerEEE10hipError_tT1_T2_T3_T4_jRjT5_jjP12ihipStream_tbEUlT_E_NS1_11comp_targetILNS1_3genE10ELNS1_11target_archE1200ELNS1_3gpuE4ELNS1_3repE0EEENS1_44radix_sort_block_sort_config_static_selectorELNS0_4arch9wavefront6targetE0EEEvSG_,@function
_ZN7rocprim17ROCPRIM_400000_NS6detail17trampoline_kernelINS0_13kernel_configILj256ELj4ELj4294967295EEENS1_37radix_sort_block_sort_config_selectorI12hip_bfloat16NS0_10empty_typeEEEZNS1_21radix_sort_block_sortIS4_Lb0EPKS6_PS6_PS7_SD_NS0_19identity_decomposerEEE10hipError_tT1_T2_T3_T4_jRjT5_jjP12ihipStream_tbEUlT_E_NS1_11comp_targetILNS1_3genE10ELNS1_11target_archE1200ELNS1_3gpuE4ELNS1_3repE0EEENS1_44radix_sort_block_sort_config_static_selectorELNS0_4arch9wavefront6targetE0EEEvSG_: ; @_ZN7rocprim17ROCPRIM_400000_NS6detail17trampoline_kernelINS0_13kernel_configILj256ELj4ELj4294967295EEENS1_37radix_sort_block_sort_config_selectorI12hip_bfloat16NS0_10empty_typeEEEZNS1_21radix_sort_block_sortIS4_Lb0EPKS6_PS6_PS7_SD_NS0_19identity_decomposerEEE10hipError_tT1_T2_T3_T4_jRjT5_jjP12ihipStream_tbEUlT_E_NS1_11comp_targetILNS1_3genE10ELNS1_11target_archE1200ELNS1_3gpuE4ELNS1_3repE0EEENS1_44radix_sort_block_sort_config_static_selectorELNS0_4arch9wavefront6targetE0EEEvSG_
; %bb.0:
	.section	.rodata,"a",@progbits
	.p2align	6, 0x0
	.amdhsa_kernel _ZN7rocprim17ROCPRIM_400000_NS6detail17trampoline_kernelINS0_13kernel_configILj256ELj4ELj4294967295EEENS1_37radix_sort_block_sort_config_selectorI12hip_bfloat16NS0_10empty_typeEEEZNS1_21radix_sort_block_sortIS4_Lb0EPKS6_PS6_PS7_SD_NS0_19identity_decomposerEEE10hipError_tT1_T2_T3_T4_jRjT5_jjP12ihipStream_tbEUlT_E_NS1_11comp_targetILNS1_3genE10ELNS1_11target_archE1200ELNS1_3gpuE4ELNS1_3repE0EEENS1_44radix_sort_block_sort_config_static_selectorELNS0_4arch9wavefront6targetE0EEEvSG_
		.amdhsa_group_segment_fixed_size 0
		.amdhsa_private_segment_fixed_size 0
		.amdhsa_kernarg_size 48
		.amdhsa_user_sgpr_count 2
		.amdhsa_user_sgpr_dispatch_ptr 0
		.amdhsa_user_sgpr_queue_ptr 0
		.amdhsa_user_sgpr_kernarg_segment_ptr 1
		.amdhsa_user_sgpr_dispatch_id 0
		.amdhsa_user_sgpr_kernarg_preload_length 0
		.amdhsa_user_sgpr_kernarg_preload_offset 0
		.amdhsa_user_sgpr_private_segment_size 0
		.amdhsa_wavefront_size32 1
		.amdhsa_uses_dynamic_stack 0
		.amdhsa_enable_private_segment 0
		.amdhsa_system_sgpr_workgroup_id_x 1
		.amdhsa_system_sgpr_workgroup_id_y 0
		.amdhsa_system_sgpr_workgroup_id_z 0
		.amdhsa_system_sgpr_workgroup_info 0
		.amdhsa_system_vgpr_workitem_id 0
		.amdhsa_next_free_vgpr 1
		.amdhsa_next_free_sgpr 1
		.amdhsa_named_barrier_count 0
		.amdhsa_reserve_vcc 0
		.amdhsa_float_round_mode_32 0
		.amdhsa_float_round_mode_16_64 0
		.amdhsa_float_denorm_mode_32 3
		.amdhsa_float_denorm_mode_16_64 3
		.amdhsa_fp16_overflow 0
		.amdhsa_memory_ordered 1
		.amdhsa_forward_progress 1
		.amdhsa_inst_pref_size 0
		.amdhsa_round_robin_scheduling 0
		.amdhsa_exception_fp_ieee_invalid_op 0
		.amdhsa_exception_fp_denorm_src 0
		.amdhsa_exception_fp_ieee_div_zero 0
		.amdhsa_exception_fp_ieee_overflow 0
		.amdhsa_exception_fp_ieee_underflow 0
		.amdhsa_exception_fp_ieee_inexact 0
		.amdhsa_exception_int_div_zero 0
	.end_amdhsa_kernel
	.section	.text._ZN7rocprim17ROCPRIM_400000_NS6detail17trampoline_kernelINS0_13kernel_configILj256ELj4ELj4294967295EEENS1_37radix_sort_block_sort_config_selectorI12hip_bfloat16NS0_10empty_typeEEEZNS1_21radix_sort_block_sortIS4_Lb0EPKS6_PS6_PS7_SD_NS0_19identity_decomposerEEE10hipError_tT1_T2_T3_T4_jRjT5_jjP12ihipStream_tbEUlT_E_NS1_11comp_targetILNS1_3genE10ELNS1_11target_archE1200ELNS1_3gpuE4ELNS1_3repE0EEENS1_44radix_sort_block_sort_config_static_selectorELNS0_4arch9wavefront6targetE0EEEvSG_,"axG",@progbits,_ZN7rocprim17ROCPRIM_400000_NS6detail17trampoline_kernelINS0_13kernel_configILj256ELj4ELj4294967295EEENS1_37radix_sort_block_sort_config_selectorI12hip_bfloat16NS0_10empty_typeEEEZNS1_21radix_sort_block_sortIS4_Lb0EPKS6_PS6_PS7_SD_NS0_19identity_decomposerEEE10hipError_tT1_T2_T3_T4_jRjT5_jjP12ihipStream_tbEUlT_E_NS1_11comp_targetILNS1_3genE10ELNS1_11target_archE1200ELNS1_3gpuE4ELNS1_3repE0EEENS1_44radix_sort_block_sort_config_static_selectorELNS0_4arch9wavefront6targetE0EEEvSG_,comdat
.Lfunc_end2006:
	.size	_ZN7rocprim17ROCPRIM_400000_NS6detail17trampoline_kernelINS0_13kernel_configILj256ELj4ELj4294967295EEENS1_37radix_sort_block_sort_config_selectorI12hip_bfloat16NS0_10empty_typeEEEZNS1_21radix_sort_block_sortIS4_Lb0EPKS6_PS6_PS7_SD_NS0_19identity_decomposerEEE10hipError_tT1_T2_T3_T4_jRjT5_jjP12ihipStream_tbEUlT_E_NS1_11comp_targetILNS1_3genE10ELNS1_11target_archE1200ELNS1_3gpuE4ELNS1_3repE0EEENS1_44radix_sort_block_sort_config_static_selectorELNS0_4arch9wavefront6targetE0EEEvSG_, .Lfunc_end2006-_ZN7rocprim17ROCPRIM_400000_NS6detail17trampoline_kernelINS0_13kernel_configILj256ELj4ELj4294967295EEENS1_37radix_sort_block_sort_config_selectorI12hip_bfloat16NS0_10empty_typeEEEZNS1_21radix_sort_block_sortIS4_Lb0EPKS6_PS6_PS7_SD_NS0_19identity_decomposerEEE10hipError_tT1_T2_T3_T4_jRjT5_jjP12ihipStream_tbEUlT_E_NS1_11comp_targetILNS1_3genE10ELNS1_11target_archE1200ELNS1_3gpuE4ELNS1_3repE0EEENS1_44radix_sort_block_sort_config_static_selectorELNS0_4arch9wavefront6targetE0EEEvSG_
                                        ; -- End function
	.set _ZN7rocprim17ROCPRIM_400000_NS6detail17trampoline_kernelINS0_13kernel_configILj256ELj4ELj4294967295EEENS1_37radix_sort_block_sort_config_selectorI12hip_bfloat16NS0_10empty_typeEEEZNS1_21radix_sort_block_sortIS4_Lb0EPKS6_PS6_PS7_SD_NS0_19identity_decomposerEEE10hipError_tT1_T2_T3_T4_jRjT5_jjP12ihipStream_tbEUlT_E_NS1_11comp_targetILNS1_3genE10ELNS1_11target_archE1200ELNS1_3gpuE4ELNS1_3repE0EEENS1_44radix_sort_block_sort_config_static_selectorELNS0_4arch9wavefront6targetE0EEEvSG_.num_vgpr, 0
	.set _ZN7rocprim17ROCPRIM_400000_NS6detail17trampoline_kernelINS0_13kernel_configILj256ELj4ELj4294967295EEENS1_37radix_sort_block_sort_config_selectorI12hip_bfloat16NS0_10empty_typeEEEZNS1_21radix_sort_block_sortIS4_Lb0EPKS6_PS6_PS7_SD_NS0_19identity_decomposerEEE10hipError_tT1_T2_T3_T4_jRjT5_jjP12ihipStream_tbEUlT_E_NS1_11comp_targetILNS1_3genE10ELNS1_11target_archE1200ELNS1_3gpuE4ELNS1_3repE0EEENS1_44radix_sort_block_sort_config_static_selectorELNS0_4arch9wavefront6targetE0EEEvSG_.num_agpr, 0
	.set _ZN7rocprim17ROCPRIM_400000_NS6detail17trampoline_kernelINS0_13kernel_configILj256ELj4ELj4294967295EEENS1_37radix_sort_block_sort_config_selectorI12hip_bfloat16NS0_10empty_typeEEEZNS1_21radix_sort_block_sortIS4_Lb0EPKS6_PS6_PS7_SD_NS0_19identity_decomposerEEE10hipError_tT1_T2_T3_T4_jRjT5_jjP12ihipStream_tbEUlT_E_NS1_11comp_targetILNS1_3genE10ELNS1_11target_archE1200ELNS1_3gpuE4ELNS1_3repE0EEENS1_44radix_sort_block_sort_config_static_selectorELNS0_4arch9wavefront6targetE0EEEvSG_.numbered_sgpr, 0
	.set _ZN7rocprim17ROCPRIM_400000_NS6detail17trampoline_kernelINS0_13kernel_configILj256ELj4ELj4294967295EEENS1_37radix_sort_block_sort_config_selectorI12hip_bfloat16NS0_10empty_typeEEEZNS1_21radix_sort_block_sortIS4_Lb0EPKS6_PS6_PS7_SD_NS0_19identity_decomposerEEE10hipError_tT1_T2_T3_T4_jRjT5_jjP12ihipStream_tbEUlT_E_NS1_11comp_targetILNS1_3genE10ELNS1_11target_archE1200ELNS1_3gpuE4ELNS1_3repE0EEENS1_44radix_sort_block_sort_config_static_selectorELNS0_4arch9wavefront6targetE0EEEvSG_.num_named_barrier, 0
	.set _ZN7rocprim17ROCPRIM_400000_NS6detail17trampoline_kernelINS0_13kernel_configILj256ELj4ELj4294967295EEENS1_37radix_sort_block_sort_config_selectorI12hip_bfloat16NS0_10empty_typeEEEZNS1_21radix_sort_block_sortIS4_Lb0EPKS6_PS6_PS7_SD_NS0_19identity_decomposerEEE10hipError_tT1_T2_T3_T4_jRjT5_jjP12ihipStream_tbEUlT_E_NS1_11comp_targetILNS1_3genE10ELNS1_11target_archE1200ELNS1_3gpuE4ELNS1_3repE0EEENS1_44radix_sort_block_sort_config_static_selectorELNS0_4arch9wavefront6targetE0EEEvSG_.private_seg_size, 0
	.set _ZN7rocprim17ROCPRIM_400000_NS6detail17trampoline_kernelINS0_13kernel_configILj256ELj4ELj4294967295EEENS1_37radix_sort_block_sort_config_selectorI12hip_bfloat16NS0_10empty_typeEEEZNS1_21radix_sort_block_sortIS4_Lb0EPKS6_PS6_PS7_SD_NS0_19identity_decomposerEEE10hipError_tT1_T2_T3_T4_jRjT5_jjP12ihipStream_tbEUlT_E_NS1_11comp_targetILNS1_3genE10ELNS1_11target_archE1200ELNS1_3gpuE4ELNS1_3repE0EEENS1_44radix_sort_block_sort_config_static_selectorELNS0_4arch9wavefront6targetE0EEEvSG_.uses_vcc, 0
	.set _ZN7rocprim17ROCPRIM_400000_NS6detail17trampoline_kernelINS0_13kernel_configILj256ELj4ELj4294967295EEENS1_37radix_sort_block_sort_config_selectorI12hip_bfloat16NS0_10empty_typeEEEZNS1_21radix_sort_block_sortIS4_Lb0EPKS6_PS6_PS7_SD_NS0_19identity_decomposerEEE10hipError_tT1_T2_T3_T4_jRjT5_jjP12ihipStream_tbEUlT_E_NS1_11comp_targetILNS1_3genE10ELNS1_11target_archE1200ELNS1_3gpuE4ELNS1_3repE0EEENS1_44radix_sort_block_sort_config_static_selectorELNS0_4arch9wavefront6targetE0EEEvSG_.uses_flat_scratch, 0
	.set _ZN7rocprim17ROCPRIM_400000_NS6detail17trampoline_kernelINS0_13kernel_configILj256ELj4ELj4294967295EEENS1_37radix_sort_block_sort_config_selectorI12hip_bfloat16NS0_10empty_typeEEEZNS1_21radix_sort_block_sortIS4_Lb0EPKS6_PS6_PS7_SD_NS0_19identity_decomposerEEE10hipError_tT1_T2_T3_T4_jRjT5_jjP12ihipStream_tbEUlT_E_NS1_11comp_targetILNS1_3genE10ELNS1_11target_archE1200ELNS1_3gpuE4ELNS1_3repE0EEENS1_44radix_sort_block_sort_config_static_selectorELNS0_4arch9wavefront6targetE0EEEvSG_.has_dyn_sized_stack, 0
	.set _ZN7rocprim17ROCPRIM_400000_NS6detail17trampoline_kernelINS0_13kernel_configILj256ELj4ELj4294967295EEENS1_37radix_sort_block_sort_config_selectorI12hip_bfloat16NS0_10empty_typeEEEZNS1_21radix_sort_block_sortIS4_Lb0EPKS6_PS6_PS7_SD_NS0_19identity_decomposerEEE10hipError_tT1_T2_T3_T4_jRjT5_jjP12ihipStream_tbEUlT_E_NS1_11comp_targetILNS1_3genE10ELNS1_11target_archE1200ELNS1_3gpuE4ELNS1_3repE0EEENS1_44radix_sort_block_sort_config_static_selectorELNS0_4arch9wavefront6targetE0EEEvSG_.has_recursion, 0
	.set _ZN7rocprim17ROCPRIM_400000_NS6detail17trampoline_kernelINS0_13kernel_configILj256ELj4ELj4294967295EEENS1_37radix_sort_block_sort_config_selectorI12hip_bfloat16NS0_10empty_typeEEEZNS1_21radix_sort_block_sortIS4_Lb0EPKS6_PS6_PS7_SD_NS0_19identity_decomposerEEE10hipError_tT1_T2_T3_T4_jRjT5_jjP12ihipStream_tbEUlT_E_NS1_11comp_targetILNS1_3genE10ELNS1_11target_archE1200ELNS1_3gpuE4ELNS1_3repE0EEENS1_44radix_sort_block_sort_config_static_selectorELNS0_4arch9wavefront6targetE0EEEvSG_.has_indirect_call, 0
	.section	.AMDGPU.csdata,"",@progbits
; Kernel info:
; codeLenInByte = 0
; TotalNumSgprs: 0
; NumVgprs: 0
; ScratchSize: 0
; MemoryBound: 0
; FloatMode: 240
; IeeeMode: 1
; LDSByteSize: 0 bytes/workgroup (compile time only)
; SGPRBlocks: 0
; VGPRBlocks: 0
; NumSGPRsForWavesPerEU: 1
; NumVGPRsForWavesPerEU: 1
; NamedBarCnt: 0
; Occupancy: 16
; WaveLimiterHint : 0
; COMPUTE_PGM_RSRC2:SCRATCH_EN: 0
; COMPUTE_PGM_RSRC2:USER_SGPR: 2
; COMPUTE_PGM_RSRC2:TRAP_HANDLER: 0
; COMPUTE_PGM_RSRC2:TGID_X_EN: 1
; COMPUTE_PGM_RSRC2:TGID_Y_EN: 0
; COMPUTE_PGM_RSRC2:TGID_Z_EN: 0
; COMPUTE_PGM_RSRC2:TIDIG_COMP_CNT: 0
	.section	.text._ZN7rocprim17ROCPRIM_400000_NS6detail17trampoline_kernelINS0_13kernel_configILj256ELj4ELj4294967295EEENS1_37radix_sort_block_sort_config_selectorI12hip_bfloat16NS0_10empty_typeEEEZNS1_21radix_sort_block_sortIS4_Lb0EPKS6_PS6_PS7_SD_NS0_19identity_decomposerEEE10hipError_tT1_T2_T3_T4_jRjT5_jjP12ihipStream_tbEUlT_E_NS1_11comp_targetILNS1_3genE9ELNS1_11target_archE1100ELNS1_3gpuE3ELNS1_3repE0EEENS1_44radix_sort_block_sort_config_static_selectorELNS0_4arch9wavefront6targetE0EEEvSG_,"axG",@progbits,_ZN7rocprim17ROCPRIM_400000_NS6detail17trampoline_kernelINS0_13kernel_configILj256ELj4ELj4294967295EEENS1_37radix_sort_block_sort_config_selectorI12hip_bfloat16NS0_10empty_typeEEEZNS1_21radix_sort_block_sortIS4_Lb0EPKS6_PS6_PS7_SD_NS0_19identity_decomposerEEE10hipError_tT1_T2_T3_T4_jRjT5_jjP12ihipStream_tbEUlT_E_NS1_11comp_targetILNS1_3genE9ELNS1_11target_archE1100ELNS1_3gpuE3ELNS1_3repE0EEENS1_44radix_sort_block_sort_config_static_selectorELNS0_4arch9wavefront6targetE0EEEvSG_,comdat
	.protected	_ZN7rocprim17ROCPRIM_400000_NS6detail17trampoline_kernelINS0_13kernel_configILj256ELj4ELj4294967295EEENS1_37radix_sort_block_sort_config_selectorI12hip_bfloat16NS0_10empty_typeEEEZNS1_21radix_sort_block_sortIS4_Lb0EPKS6_PS6_PS7_SD_NS0_19identity_decomposerEEE10hipError_tT1_T2_T3_T4_jRjT5_jjP12ihipStream_tbEUlT_E_NS1_11comp_targetILNS1_3genE9ELNS1_11target_archE1100ELNS1_3gpuE3ELNS1_3repE0EEENS1_44radix_sort_block_sort_config_static_selectorELNS0_4arch9wavefront6targetE0EEEvSG_ ; -- Begin function _ZN7rocprim17ROCPRIM_400000_NS6detail17trampoline_kernelINS0_13kernel_configILj256ELj4ELj4294967295EEENS1_37radix_sort_block_sort_config_selectorI12hip_bfloat16NS0_10empty_typeEEEZNS1_21radix_sort_block_sortIS4_Lb0EPKS6_PS6_PS7_SD_NS0_19identity_decomposerEEE10hipError_tT1_T2_T3_T4_jRjT5_jjP12ihipStream_tbEUlT_E_NS1_11comp_targetILNS1_3genE9ELNS1_11target_archE1100ELNS1_3gpuE3ELNS1_3repE0EEENS1_44radix_sort_block_sort_config_static_selectorELNS0_4arch9wavefront6targetE0EEEvSG_
	.globl	_ZN7rocprim17ROCPRIM_400000_NS6detail17trampoline_kernelINS0_13kernel_configILj256ELj4ELj4294967295EEENS1_37radix_sort_block_sort_config_selectorI12hip_bfloat16NS0_10empty_typeEEEZNS1_21radix_sort_block_sortIS4_Lb0EPKS6_PS6_PS7_SD_NS0_19identity_decomposerEEE10hipError_tT1_T2_T3_T4_jRjT5_jjP12ihipStream_tbEUlT_E_NS1_11comp_targetILNS1_3genE9ELNS1_11target_archE1100ELNS1_3gpuE3ELNS1_3repE0EEENS1_44radix_sort_block_sort_config_static_selectorELNS0_4arch9wavefront6targetE0EEEvSG_
	.p2align	8
	.type	_ZN7rocprim17ROCPRIM_400000_NS6detail17trampoline_kernelINS0_13kernel_configILj256ELj4ELj4294967295EEENS1_37radix_sort_block_sort_config_selectorI12hip_bfloat16NS0_10empty_typeEEEZNS1_21radix_sort_block_sortIS4_Lb0EPKS6_PS6_PS7_SD_NS0_19identity_decomposerEEE10hipError_tT1_T2_T3_T4_jRjT5_jjP12ihipStream_tbEUlT_E_NS1_11comp_targetILNS1_3genE9ELNS1_11target_archE1100ELNS1_3gpuE3ELNS1_3repE0EEENS1_44radix_sort_block_sort_config_static_selectorELNS0_4arch9wavefront6targetE0EEEvSG_,@function
_ZN7rocprim17ROCPRIM_400000_NS6detail17trampoline_kernelINS0_13kernel_configILj256ELj4ELj4294967295EEENS1_37radix_sort_block_sort_config_selectorI12hip_bfloat16NS0_10empty_typeEEEZNS1_21radix_sort_block_sortIS4_Lb0EPKS6_PS6_PS7_SD_NS0_19identity_decomposerEEE10hipError_tT1_T2_T3_T4_jRjT5_jjP12ihipStream_tbEUlT_E_NS1_11comp_targetILNS1_3genE9ELNS1_11target_archE1100ELNS1_3gpuE3ELNS1_3repE0EEENS1_44radix_sort_block_sort_config_static_selectorELNS0_4arch9wavefront6targetE0EEEvSG_: ; @_ZN7rocprim17ROCPRIM_400000_NS6detail17trampoline_kernelINS0_13kernel_configILj256ELj4ELj4294967295EEENS1_37radix_sort_block_sort_config_selectorI12hip_bfloat16NS0_10empty_typeEEEZNS1_21radix_sort_block_sortIS4_Lb0EPKS6_PS6_PS7_SD_NS0_19identity_decomposerEEE10hipError_tT1_T2_T3_T4_jRjT5_jjP12ihipStream_tbEUlT_E_NS1_11comp_targetILNS1_3genE9ELNS1_11target_archE1100ELNS1_3gpuE3ELNS1_3repE0EEENS1_44radix_sort_block_sort_config_static_selectorELNS0_4arch9wavefront6targetE0EEEvSG_
; %bb.0:
	.section	.rodata,"a",@progbits
	.p2align	6, 0x0
	.amdhsa_kernel _ZN7rocprim17ROCPRIM_400000_NS6detail17trampoline_kernelINS0_13kernel_configILj256ELj4ELj4294967295EEENS1_37radix_sort_block_sort_config_selectorI12hip_bfloat16NS0_10empty_typeEEEZNS1_21radix_sort_block_sortIS4_Lb0EPKS6_PS6_PS7_SD_NS0_19identity_decomposerEEE10hipError_tT1_T2_T3_T4_jRjT5_jjP12ihipStream_tbEUlT_E_NS1_11comp_targetILNS1_3genE9ELNS1_11target_archE1100ELNS1_3gpuE3ELNS1_3repE0EEENS1_44radix_sort_block_sort_config_static_selectorELNS0_4arch9wavefront6targetE0EEEvSG_
		.amdhsa_group_segment_fixed_size 0
		.amdhsa_private_segment_fixed_size 0
		.amdhsa_kernarg_size 48
		.amdhsa_user_sgpr_count 2
		.amdhsa_user_sgpr_dispatch_ptr 0
		.amdhsa_user_sgpr_queue_ptr 0
		.amdhsa_user_sgpr_kernarg_segment_ptr 1
		.amdhsa_user_sgpr_dispatch_id 0
		.amdhsa_user_sgpr_kernarg_preload_length 0
		.amdhsa_user_sgpr_kernarg_preload_offset 0
		.amdhsa_user_sgpr_private_segment_size 0
		.amdhsa_wavefront_size32 1
		.amdhsa_uses_dynamic_stack 0
		.amdhsa_enable_private_segment 0
		.amdhsa_system_sgpr_workgroup_id_x 1
		.amdhsa_system_sgpr_workgroup_id_y 0
		.amdhsa_system_sgpr_workgroup_id_z 0
		.amdhsa_system_sgpr_workgroup_info 0
		.amdhsa_system_vgpr_workitem_id 0
		.amdhsa_next_free_vgpr 1
		.amdhsa_next_free_sgpr 1
		.amdhsa_named_barrier_count 0
		.amdhsa_reserve_vcc 0
		.amdhsa_float_round_mode_32 0
		.amdhsa_float_round_mode_16_64 0
		.amdhsa_float_denorm_mode_32 3
		.amdhsa_float_denorm_mode_16_64 3
		.amdhsa_fp16_overflow 0
		.amdhsa_memory_ordered 1
		.amdhsa_forward_progress 1
		.amdhsa_inst_pref_size 0
		.amdhsa_round_robin_scheduling 0
		.amdhsa_exception_fp_ieee_invalid_op 0
		.amdhsa_exception_fp_denorm_src 0
		.amdhsa_exception_fp_ieee_div_zero 0
		.amdhsa_exception_fp_ieee_overflow 0
		.amdhsa_exception_fp_ieee_underflow 0
		.amdhsa_exception_fp_ieee_inexact 0
		.amdhsa_exception_int_div_zero 0
	.end_amdhsa_kernel
	.section	.text._ZN7rocprim17ROCPRIM_400000_NS6detail17trampoline_kernelINS0_13kernel_configILj256ELj4ELj4294967295EEENS1_37radix_sort_block_sort_config_selectorI12hip_bfloat16NS0_10empty_typeEEEZNS1_21radix_sort_block_sortIS4_Lb0EPKS6_PS6_PS7_SD_NS0_19identity_decomposerEEE10hipError_tT1_T2_T3_T4_jRjT5_jjP12ihipStream_tbEUlT_E_NS1_11comp_targetILNS1_3genE9ELNS1_11target_archE1100ELNS1_3gpuE3ELNS1_3repE0EEENS1_44radix_sort_block_sort_config_static_selectorELNS0_4arch9wavefront6targetE0EEEvSG_,"axG",@progbits,_ZN7rocprim17ROCPRIM_400000_NS6detail17trampoline_kernelINS0_13kernel_configILj256ELj4ELj4294967295EEENS1_37radix_sort_block_sort_config_selectorI12hip_bfloat16NS0_10empty_typeEEEZNS1_21radix_sort_block_sortIS4_Lb0EPKS6_PS6_PS7_SD_NS0_19identity_decomposerEEE10hipError_tT1_T2_T3_T4_jRjT5_jjP12ihipStream_tbEUlT_E_NS1_11comp_targetILNS1_3genE9ELNS1_11target_archE1100ELNS1_3gpuE3ELNS1_3repE0EEENS1_44radix_sort_block_sort_config_static_selectorELNS0_4arch9wavefront6targetE0EEEvSG_,comdat
.Lfunc_end2007:
	.size	_ZN7rocprim17ROCPRIM_400000_NS6detail17trampoline_kernelINS0_13kernel_configILj256ELj4ELj4294967295EEENS1_37radix_sort_block_sort_config_selectorI12hip_bfloat16NS0_10empty_typeEEEZNS1_21radix_sort_block_sortIS4_Lb0EPKS6_PS6_PS7_SD_NS0_19identity_decomposerEEE10hipError_tT1_T2_T3_T4_jRjT5_jjP12ihipStream_tbEUlT_E_NS1_11comp_targetILNS1_3genE9ELNS1_11target_archE1100ELNS1_3gpuE3ELNS1_3repE0EEENS1_44radix_sort_block_sort_config_static_selectorELNS0_4arch9wavefront6targetE0EEEvSG_, .Lfunc_end2007-_ZN7rocprim17ROCPRIM_400000_NS6detail17trampoline_kernelINS0_13kernel_configILj256ELj4ELj4294967295EEENS1_37radix_sort_block_sort_config_selectorI12hip_bfloat16NS0_10empty_typeEEEZNS1_21radix_sort_block_sortIS4_Lb0EPKS6_PS6_PS7_SD_NS0_19identity_decomposerEEE10hipError_tT1_T2_T3_T4_jRjT5_jjP12ihipStream_tbEUlT_E_NS1_11comp_targetILNS1_3genE9ELNS1_11target_archE1100ELNS1_3gpuE3ELNS1_3repE0EEENS1_44radix_sort_block_sort_config_static_selectorELNS0_4arch9wavefront6targetE0EEEvSG_
                                        ; -- End function
	.set _ZN7rocprim17ROCPRIM_400000_NS6detail17trampoline_kernelINS0_13kernel_configILj256ELj4ELj4294967295EEENS1_37radix_sort_block_sort_config_selectorI12hip_bfloat16NS0_10empty_typeEEEZNS1_21radix_sort_block_sortIS4_Lb0EPKS6_PS6_PS7_SD_NS0_19identity_decomposerEEE10hipError_tT1_T2_T3_T4_jRjT5_jjP12ihipStream_tbEUlT_E_NS1_11comp_targetILNS1_3genE9ELNS1_11target_archE1100ELNS1_3gpuE3ELNS1_3repE0EEENS1_44radix_sort_block_sort_config_static_selectorELNS0_4arch9wavefront6targetE0EEEvSG_.num_vgpr, 0
	.set _ZN7rocprim17ROCPRIM_400000_NS6detail17trampoline_kernelINS0_13kernel_configILj256ELj4ELj4294967295EEENS1_37radix_sort_block_sort_config_selectorI12hip_bfloat16NS0_10empty_typeEEEZNS1_21radix_sort_block_sortIS4_Lb0EPKS6_PS6_PS7_SD_NS0_19identity_decomposerEEE10hipError_tT1_T2_T3_T4_jRjT5_jjP12ihipStream_tbEUlT_E_NS1_11comp_targetILNS1_3genE9ELNS1_11target_archE1100ELNS1_3gpuE3ELNS1_3repE0EEENS1_44radix_sort_block_sort_config_static_selectorELNS0_4arch9wavefront6targetE0EEEvSG_.num_agpr, 0
	.set _ZN7rocprim17ROCPRIM_400000_NS6detail17trampoline_kernelINS0_13kernel_configILj256ELj4ELj4294967295EEENS1_37radix_sort_block_sort_config_selectorI12hip_bfloat16NS0_10empty_typeEEEZNS1_21radix_sort_block_sortIS4_Lb0EPKS6_PS6_PS7_SD_NS0_19identity_decomposerEEE10hipError_tT1_T2_T3_T4_jRjT5_jjP12ihipStream_tbEUlT_E_NS1_11comp_targetILNS1_3genE9ELNS1_11target_archE1100ELNS1_3gpuE3ELNS1_3repE0EEENS1_44radix_sort_block_sort_config_static_selectorELNS0_4arch9wavefront6targetE0EEEvSG_.numbered_sgpr, 0
	.set _ZN7rocprim17ROCPRIM_400000_NS6detail17trampoline_kernelINS0_13kernel_configILj256ELj4ELj4294967295EEENS1_37radix_sort_block_sort_config_selectorI12hip_bfloat16NS0_10empty_typeEEEZNS1_21radix_sort_block_sortIS4_Lb0EPKS6_PS6_PS7_SD_NS0_19identity_decomposerEEE10hipError_tT1_T2_T3_T4_jRjT5_jjP12ihipStream_tbEUlT_E_NS1_11comp_targetILNS1_3genE9ELNS1_11target_archE1100ELNS1_3gpuE3ELNS1_3repE0EEENS1_44radix_sort_block_sort_config_static_selectorELNS0_4arch9wavefront6targetE0EEEvSG_.num_named_barrier, 0
	.set _ZN7rocprim17ROCPRIM_400000_NS6detail17trampoline_kernelINS0_13kernel_configILj256ELj4ELj4294967295EEENS1_37radix_sort_block_sort_config_selectorI12hip_bfloat16NS0_10empty_typeEEEZNS1_21radix_sort_block_sortIS4_Lb0EPKS6_PS6_PS7_SD_NS0_19identity_decomposerEEE10hipError_tT1_T2_T3_T4_jRjT5_jjP12ihipStream_tbEUlT_E_NS1_11comp_targetILNS1_3genE9ELNS1_11target_archE1100ELNS1_3gpuE3ELNS1_3repE0EEENS1_44radix_sort_block_sort_config_static_selectorELNS0_4arch9wavefront6targetE0EEEvSG_.private_seg_size, 0
	.set _ZN7rocprim17ROCPRIM_400000_NS6detail17trampoline_kernelINS0_13kernel_configILj256ELj4ELj4294967295EEENS1_37radix_sort_block_sort_config_selectorI12hip_bfloat16NS0_10empty_typeEEEZNS1_21radix_sort_block_sortIS4_Lb0EPKS6_PS6_PS7_SD_NS0_19identity_decomposerEEE10hipError_tT1_T2_T3_T4_jRjT5_jjP12ihipStream_tbEUlT_E_NS1_11comp_targetILNS1_3genE9ELNS1_11target_archE1100ELNS1_3gpuE3ELNS1_3repE0EEENS1_44radix_sort_block_sort_config_static_selectorELNS0_4arch9wavefront6targetE0EEEvSG_.uses_vcc, 0
	.set _ZN7rocprim17ROCPRIM_400000_NS6detail17trampoline_kernelINS0_13kernel_configILj256ELj4ELj4294967295EEENS1_37radix_sort_block_sort_config_selectorI12hip_bfloat16NS0_10empty_typeEEEZNS1_21radix_sort_block_sortIS4_Lb0EPKS6_PS6_PS7_SD_NS0_19identity_decomposerEEE10hipError_tT1_T2_T3_T4_jRjT5_jjP12ihipStream_tbEUlT_E_NS1_11comp_targetILNS1_3genE9ELNS1_11target_archE1100ELNS1_3gpuE3ELNS1_3repE0EEENS1_44radix_sort_block_sort_config_static_selectorELNS0_4arch9wavefront6targetE0EEEvSG_.uses_flat_scratch, 0
	.set _ZN7rocprim17ROCPRIM_400000_NS6detail17trampoline_kernelINS0_13kernel_configILj256ELj4ELj4294967295EEENS1_37radix_sort_block_sort_config_selectorI12hip_bfloat16NS0_10empty_typeEEEZNS1_21radix_sort_block_sortIS4_Lb0EPKS6_PS6_PS7_SD_NS0_19identity_decomposerEEE10hipError_tT1_T2_T3_T4_jRjT5_jjP12ihipStream_tbEUlT_E_NS1_11comp_targetILNS1_3genE9ELNS1_11target_archE1100ELNS1_3gpuE3ELNS1_3repE0EEENS1_44radix_sort_block_sort_config_static_selectorELNS0_4arch9wavefront6targetE0EEEvSG_.has_dyn_sized_stack, 0
	.set _ZN7rocprim17ROCPRIM_400000_NS6detail17trampoline_kernelINS0_13kernel_configILj256ELj4ELj4294967295EEENS1_37radix_sort_block_sort_config_selectorI12hip_bfloat16NS0_10empty_typeEEEZNS1_21radix_sort_block_sortIS4_Lb0EPKS6_PS6_PS7_SD_NS0_19identity_decomposerEEE10hipError_tT1_T2_T3_T4_jRjT5_jjP12ihipStream_tbEUlT_E_NS1_11comp_targetILNS1_3genE9ELNS1_11target_archE1100ELNS1_3gpuE3ELNS1_3repE0EEENS1_44radix_sort_block_sort_config_static_selectorELNS0_4arch9wavefront6targetE0EEEvSG_.has_recursion, 0
	.set _ZN7rocprim17ROCPRIM_400000_NS6detail17trampoline_kernelINS0_13kernel_configILj256ELj4ELj4294967295EEENS1_37radix_sort_block_sort_config_selectorI12hip_bfloat16NS0_10empty_typeEEEZNS1_21radix_sort_block_sortIS4_Lb0EPKS6_PS6_PS7_SD_NS0_19identity_decomposerEEE10hipError_tT1_T2_T3_T4_jRjT5_jjP12ihipStream_tbEUlT_E_NS1_11comp_targetILNS1_3genE9ELNS1_11target_archE1100ELNS1_3gpuE3ELNS1_3repE0EEENS1_44radix_sort_block_sort_config_static_selectorELNS0_4arch9wavefront6targetE0EEEvSG_.has_indirect_call, 0
	.section	.AMDGPU.csdata,"",@progbits
; Kernel info:
; codeLenInByte = 0
; TotalNumSgprs: 0
; NumVgprs: 0
; ScratchSize: 0
; MemoryBound: 0
; FloatMode: 240
; IeeeMode: 1
; LDSByteSize: 0 bytes/workgroup (compile time only)
; SGPRBlocks: 0
; VGPRBlocks: 0
; NumSGPRsForWavesPerEU: 1
; NumVGPRsForWavesPerEU: 1
; NamedBarCnt: 0
; Occupancy: 16
; WaveLimiterHint : 0
; COMPUTE_PGM_RSRC2:SCRATCH_EN: 0
; COMPUTE_PGM_RSRC2:USER_SGPR: 2
; COMPUTE_PGM_RSRC2:TRAP_HANDLER: 0
; COMPUTE_PGM_RSRC2:TGID_X_EN: 1
; COMPUTE_PGM_RSRC2:TGID_Y_EN: 0
; COMPUTE_PGM_RSRC2:TGID_Z_EN: 0
; COMPUTE_PGM_RSRC2:TIDIG_COMP_CNT: 0
	.section	.text._ZN7rocprim17ROCPRIM_400000_NS6detail17trampoline_kernelINS0_13kernel_configILj256ELj4ELj4294967295EEENS1_37radix_sort_block_sort_config_selectorI12hip_bfloat16NS0_10empty_typeEEEZNS1_21radix_sort_block_sortIS4_Lb0EPKS6_PS6_PS7_SD_NS0_19identity_decomposerEEE10hipError_tT1_T2_T3_T4_jRjT5_jjP12ihipStream_tbEUlT_E_NS1_11comp_targetILNS1_3genE8ELNS1_11target_archE1030ELNS1_3gpuE2ELNS1_3repE0EEENS1_44radix_sort_block_sort_config_static_selectorELNS0_4arch9wavefront6targetE0EEEvSG_,"axG",@progbits,_ZN7rocprim17ROCPRIM_400000_NS6detail17trampoline_kernelINS0_13kernel_configILj256ELj4ELj4294967295EEENS1_37radix_sort_block_sort_config_selectorI12hip_bfloat16NS0_10empty_typeEEEZNS1_21radix_sort_block_sortIS4_Lb0EPKS6_PS6_PS7_SD_NS0_19identity_decomposerEEE10hipError_tT1_T2_T3_T4_jRjT5_jjP12ihipStream_tbEUlT_E_NS1_11comp_targetILNS1_3genE8ELNS1_11target_archE1030ELNS1_3gpuE2ELNS1_3repE0EEENS1_44radix_sort_block_sort_config_static_selectorELNS0_4arch9wavefront6targetE0EEEvSG_,comdat
	.protected	_ZN7rocprim17ROCPRIM_400000_NS6detail17trampoline_kernelINS0_13kernel_configILj256ELj4ELj4294967295EEENS1_37radix_sort_block_sort_config_selectorI12hip_bfloat16NS0_10empty_typeEEEZNS1_21radix_sort_block_sortIS4_Lb0EPKS6_PS6_PS7_SD_NS0_19identity_decomposerEEE10hipError_tT1_T2_T3_T4_jRjT5_jjP12ihipStream_tbEUlT_E_NS1_11comp_targetILNS1_3genE8ELNS1_11target_archE1030ELNS1_3gpuE2ELNS1_3repE0EEENS1_44radix_sort_block_sort_config_static_selectorELNS0_4arch9wavefront6targetE0EEEvSG_ ; -- Begin function _ZN7rocprim17ROCPRIM_400000_NS6detail17trampoline_kernelINS0_13kernel_configILj256ELj4ELj4294967295EEENS1_37radix_sort_block_sort_config_selectorI12hip_bfloat16NS0_10empty_typeEEEZNS1_21radix_sort_block_sortIS4_Lb0EPKS6_PS6_PS7_SD_NS0_19identity_decomposerEEE10hipError_tT1_T2_T3_T4_jRjT5_jjP12ihipStream_tbEUlT_E_NS1_11comp_targetILNS1_3genE8ELNS1_11target_archE1030ELNS1_3gpuE2ELNS1_3repE0EEENS1_44radix_sort_block_sort_config_static_selectorELNS0_4arch9wavefront6targetE0EEEvSG_
	.globl	_ZN7rocprim17ROCPRIM_400000_NS6detail17trampoline_kernelINS0_13kernel_configILj256ELj4ELj4294967295EEENS1_37radix_sort_block_sort_config_selectorI12hip_bfloat16NS0_10empty_typeEEEZNS1_21radix_sort_block_sortIS4_Lb0EPKS6_PS6_PS7_SD_NS0_19identity_decomposerEEE10hipError_tT1_T2_T3_T4_jRjT5_jjP12ihipStream_tbEUlT_E_NS1_11comp_targetILNS1_3genE8ELNS1_11target_archE1030ELNS1_3gpuE2ELNS1_3repE0EEENS1_44radix_sort_block_sort_config_static_selectorELNS0_4arch9wavefront6targetE0EEEvSG_
	.p2align	8
	.type	_ZN7rocprim17ROCPRIM_400000_NS6detail17trampoline_kernelINS0_13kernel_configILj256ELj4ELj4294967295EEENS1_37radix_sort_block_sort_config_selectorI12hip_bfloat16NS0_10empty_typeEEEZNS1_21radix_sort_block_sortIS4_Lb0EPKS6_PS6_PS7_SD_NS0_19identity_decomposerEEE10hipError_tT1_T2_T3_T4_jRjT5_jjP12ihipStream_tbEUlT_E_NS1_11comp_targetILNS1_3genE8ELNS1_11target_archE1030ELNS1_3gpuE2ELNS1_3repE0EEENS1_44radix_sort_block_sort_config_static_selectorELNS0_4arch9wavefront6targetE0EEEvSG_,@function
_ZN7rocprim17ROCPRIM_400000_NS6detail17trampoline_kernelINS0_13kernel_configILj256ELj4ELj4294967295EEENS1_37radix_sort_block_sort_config_selectorI12hip_bfloat16NS0_10empty_typeEEEZNS1_21radix_sort_block_sortIS4_Lb0EPKS6_PS6_PS7_SD_NS0_19identity_decomposerEEE10hipError_tT1_T2_T3_T4_jRjT5_jjP12ihipStream_tbEUlT_E_NS1_11comp_targetILNS1_3genE8ELNS1_11target_archE1030ELNS1_3gpuE2ELNS1_3repE0EEENS1_44radix_sort_block_sort_config_static_selectorELNS0_4arch9wavefront6targetE0EEEvSG_: ; @_ZN7rocprim17ROCPRIM_400000_NS6detail17trampoline_kernelINS0_13kernel_configILj256ELj4ELj4294967295EEENS1_37radix_sort_block_sort_config_selectorI12hip_bfloat16NS0_10empty_typeEEEZNS1_21radix_sort_block_sortIS4_Lb0EPKS6_PS6_PS7_SD_NS0_19identity_decomposerEEE10hipError_tT1_T2_T3_T4_jRjT5_jjP12ihipStream_tbEUlT_E_NS1_11comp_targetILNS1_3genE8ELNS1_11target_archE1030ELNS1_3gpuE2ELNS1_3repE0EEENS1_44radix_sort_block_sort_config_static_selectorELNS0_4arch9wavefront6targetE0EEEvSG_
; %bb.0:
	.section	.rodata,"a",@progbits
	.p2align	6, 0x0
	.amdhsa_kernel _ZN7rocprim17ROCPRIM_400000_NS6detail17trampoline_kernelINS0_13kernel_configILj256ELj4ELj4294967295EEENS1_37radix_sort_block_sort_config_selectorI12hip_bfloat16NS0_10empty_typeEEEZNS1_21radix_sort_block_sortIS4_Lb0EPKS6_PS6_PS7_SD_NS0_19identity_decomposerEEE10hipError_tT1_T2_T3_T4_jRjT5_jjP12ihipStream_tbEUlT_E_NS1_11comp_targetILNS1_3genE8ELNS1_11target_archE1030ELNS1_3gpuE2ELNS1_3repE0EEENS1_44radix_sort_block_sort_config_static_selectorELNS0_4arch9wavefront6targetE0EEEvSG_
		.amdhsa_group_segment_fixed_size 0
		.amdhsa_private_segment_fixed_size 0
		.amdhsa_kernarg_size 48
		.amdhsa_user_sgpr_count 2
		.amdhsa_user_sgpr_dispatch_ptr 0
		.amdhsa_user_sgpr_queue_ptr 0
		.amdhsa_user_sgpr_kernarg_segment_ptr 1
		.amdhsa_user_sgpr_dispatch_id 0
		.amdhsa_user_sgpr_kernarg_preload_length 0
		.amdhsa_user_sgpr_kernarg_preload_offset 0
		.amdhsa_user_sgpr_private_segment_size 0
		.amdhsa_wavefront_size32 1
		.amdhsa_uses_dynamic_stack 0
		.amdhsa_enable_private_segment 0
		.amdhsa_system_sgpr_workgroup_id_x 1
		.amdhsa_system_sgpr_workgroup_id_y 0
		.amdhsa_system_sgpr_workgroup_id_z 0
		.amdhsa_system_sgpr_workgroup_info 0
		.amdhsa_system_vgpr_workitem_id 0
		.amdhsa_next_free_vgpr 1
		.amdhsa_next_free_sgpr 1
		.amdhsa_named_barrier_count 0
		.amdhsa_reserve_vcc 0
		.amdhsa_float_round_mode_32 0
		.amdhsa_float_round_mode_16_64 0
		.amdhsa_float_denorm_mode_32 3
		.amdhsa_float_denorm_mode_16_64 3
		.amdhsa_fp16_overflow 0
		.amdhsa_memory_ordered 1
		.amdhsa_forward_progress 1
		.amdhsa_inst_pref_size 0
		.amdhsa_round_robin_scheduling 0
		.amdhsa_exception_fp_ieee_invalid_op 0
		.amdhsa_exception_fp_denorm_src 0
		.amdhsa_exception_fp_ieee_div_zero 0
		.amdhsa_exception_fp_ieee_overflow 0
		.amdhsa_exception_fp_ieee_underflow 0
		.amdhsa_exception_fp_ieee_inexact 0
		.amdhsa_exception_int_div_zero 0
	.end_amdhsa_kernel
	.section	.text._ZN7rocprim17ROCPRIM_400000_NS6detail17trampoline_kernelINS0_13kernel_configILj256ELj4ELj4294967295EEENS1_37radix_sort_block_sort_config_selectorI12hip_bfloat16NS0_10empty_typeEEEZNS1_21radix_sort_block_sortIS4_Lb0EPKS6_PS6_PS7_SD_NS0_19identity_decomposerEEE10hipError_tT1_T2_T3_T4_jRjT5_jjP12ihipStream_tbEUlT_E_NS1_11comp_targetILNS1_3genE8ELNS1_11target_archE1030ELNS1_3gpuE2ELNS1_3repE0EEENS1_44radix_sort_block_sort_config_static_selectorELNS0_4arch9wavefront6targetE0EEEvSG_,"axG",@progbits,_ZN7rocprim17ROCPRIM_400000_NS6detail17trampoline_kernelINS0_13kernel_configILj256ELj4ELj4294967295EEENS1_37radix_sort_block_sort_config_selectorI12hip_bfloat16NS0_10empty_typeEEEZNS1_21radix_sort_block_sortIS4_Lb0EPKS6_PS6_PS7_SD_NS0_19identity_decomposerEEE10hipError_tT1_T2_T3_T4_jRjT5_jjP12ihipStream_tbEUlT_E_NS1_11comp_targetILNS1_3genE8ELNS1_11target_archE1030ELNS1_3gpuE2ELNS1_3repE0EEENS1_44radix_sort_block_sort_config_static_selectorELNS0_4arch9wavefront6targetE0EEEvSG_,comdat
.Lfunc_end2008:
	.size	_ZN7rocprim17ROCPRIM_400000_NS6detail17trampoline_kernelINS0_13kernel_configILj256ELj4ELj4294967295EEENS1_37radix_sort_block_sort_config_selectorI12hip_bfloat16NS0_10empty_typeEEEZNS1_21radix_sort_block_sortIS4_Lb0EPKS6_PS6_PS7_SD_NS0_19identity_decomposerEEE10hipError_tT1_T2_T3_T4_jRjT5_jjP12ihipStream_tbEUlT_E_NS1_11comp_targetILNS1_3genE8ELNS1_11target_archE1030ELNS1_3gpuE2ELNS1_3repE0EEENS1_44radix_sort_block_sort_config_static_selectorELNS0_4arch9wavefront6targetE0EEEvSG_, .Lfunc_end2008-_ZN7rocprim17ROCPRIM_400000_NS6detail17trampoline_kernelINS0_13kernel_configILj256ELj4ELj4294967295EEENS1_37radix_sort_block_sort_config_selectorI12hip_bfloat16NS0_10empty_typeEEEZNS1_21radix_sort_block_sortIS4_Lb0EPKS6_PS6_PS7_SD_NS0_19identity_decomposerEEE10hipError_tT1_T2_T3_T4_jRjT5_jjP12ihipStream_tbEUlT_E_NS1_11comp_targetILNS1_3genE8ELNS1_11target_archE1030ELNS1_3gpuE2ELNS1_3repE0EEENS1_44radix_sort_block_sort_config_static_selectorELNS0_4arch9wavefront6targetE0EEEvSG_
                                        ; -- End function
	.set _ZN7rocprim17ROCPRIM_400000_NS6detail17trampoline_kernelINS0_13kernel_configILj256ELj4ELj4294967295EEENS1_37radix_sort_block_sort_config_selectorI12hip_bfloat16NS0_10empty_typeEEEZNS1_21radix_sort_block_sortIS4_Lb0EPKS6_PS6_PS7_SD_NS0_19identity_decomposerEEE10hipError_tT1_T2_T3_T4_jRjT5_jjP12ihipStream_tbEUlT_E_NS1_11comp_targetILNS1_3genE8ELNS1_11target_archE1030ELNS1_3gpuE2ELNS1_3repE0EEENS1_44radix_sort_block_sort_config_static_selectorELNS0_4arch9wavefront6targetE0EEEvSG_.num_vgpr, 0
	.set _ZN7rocprim17ROCPRIM_400000_NS6detail17trampoline_kernelINS0_13kernel_configILj256ELj4ELj4294967295EEENS1_37radix_sort_block_sort_config_selectorI12hip_bfloat16NS0_10empty_typeEEEZNS1_21radix_sort_block_sortIS4_Lb0EPKS6_PS6_PS7_SD_NS0_19identity_decomposerEEE10hipError_tT1_T2_T3_T4_jRjT5_jjP12ihipStream_tbEUlT_E_NS1_11comp_targetILNS1_3genE8ELNS1_11target_archE1030ELNS1_3gpuE2ELNS1_3repE0EEENS1_44radix_sort_block_sort_config_static_selectorELNS0_4arch9wavefront6targetE0EEEvSG_.num_agpr, 0
	.set _ZN7rocprim17ROCPRIM_400000_NS6detail17trampoline_kernelINS0_13kernel_configILj256ELj4ELj4294967295EEENS1_37radix_sort_block_sort_config_selectorI12hip_bfloat16NS0_10empty_typeEEEZNS1_21radix_sort_block_sortIS4_Lb0EPKS6_PS6_PS7_SD_NS0_19identity_decomposerEEE10hipError_tT1_T2_T3_T4_jRjT5_jjP12ihipStream_tbEUlT_E_NS1_11comp_targetILNS1_3genE8ELNS1_11target_archE1030ELNS1_3gpuE2ELNS1_3repE0EEENS1_44radix_sort_block_sort_config_static_selectorELNS0_4arch9wavefront6targetE0EEEvSG_.numbered_sgpr, 0
	.set _ZN7rocprim17ROCPRIM_400000_NS6detail17trampoline_kernelINS0_13kernel_configILj256ELj4ELj4294967295EEENS1_37radix_sort_block_sort_config_selectorI12hip_bfloat16NS0_10empty_typeEEEZNS1_21radix_sort_block_sortIS4_Lb0EPKS6_PS6_PS7_SD_NS0_19identity_decomposerEEE10hipError_tT1_T2_T3_T4_jRjT5_jjP12ihipStream_tbEUlT_E_NS1_11comp_targetILNS1_3genE8ELNS1_11target_archE1030ELNS1_3gpuE2ELNS1_3repE0EEENS1_44radix_sort_block_sort_config_static_selectorELNS0_4arch9wavefront6targetE0EEEvSG_.num_named_barrier, 0
	.set _ZN7rocprim17ROCPRIM_400000_NS6detail17trampoline_kernelINS0_13kernel_configILj256ELj4ELj4294967295EEENS1_37radix_sort_block_sort_config_selectorI12hip_bfloat16NS0_10empty_typeEEEZNS1_21radix_sort_block_sortIS4_Lb0EPKS6_PS6_PS7_SD_NS0_19identity_decomposerEEE10hipError_tT1_T2_T3_T4_jRjT5_jjP12ihipStream_tbEUlT_E_NS1_11comp_targetILNS1_3genE8ELNS1_11target_archE1030ELNS1_3gpuE2ELNS1_3repE0EEENS1_44radix_sort_block_sort_config_static_selectorELNS0_4arch9wavefront6targetE0EEEvSG_.private_seg_size, 0
	.set _ZN7rocprim17ROCPRIM_400000_NS6detail17trampoline_kernelINS0_13kernel_configILj256ELj4ELj4294967295EEENS1_37radix_sort_block_sort_config_selectorI12hip_bfloat16NS0_10empty_typeEEEZNS1_21radix_sort_block_sortIS4_Lb0EPKS6_PS6_PS7_SD_NS0_19identity_decomposerEEE10hipError_tT1_T2_T3_T4_jRjT5_jjP12ihipStream_tbEUlT_E_NS1_11comp_targetILNS1_3genE8ELNS1_11target_archE1030ELNS1_3gpuE2ELNS1_3repE0EEENS1_44radix_sort_block_sort_config_static_selectorELNS0_4arch9wavefront6targetE0EEEvSG_.uses_vcc, 0
	.set _ZN7rocprim17ROCPRIM_400000_NS6detail17trampoline_kernelINS0_13kernel_configILj256ELj4ELj4294967295EEENS1_37radix_sort_block_sort_config_selectorI12hip_bfloat16NS0_10empty_typeEEEZNS1_21radix_sort_block_sortIS4_Lb0EPKS6_PS6_PS7_SD_NS0_19identity_decomposerEEE10hipError_tT1_T2_T3_T4_jRjT5_jjP12ihipStream_tbEUlT_E_NS1_11comp_targetILNS1_3genE8ELNS1_11target_archE1030ELNS1_3gpuE2ELNS1_3repE0EEENS1_44radix_sort_block_sort_config_static_selectorELNS0_4arch9wavefront6targetE0EEEvSG_.uses_flat_scratch, 0
	.set _ZN7rocprim17ROCPRIM_400000_NS6detail17trampoline_kernelINS0_13kernel_configILj256ELj4ELj4294967295EEENS1_37radix_sort_block_sort_config_selectorI12hip_bfloat16NS0_10empty_typeEEEZNS1_21radix_sort_block_sortIS4_Lb0EPKS6_PS6_PS7_SD_NS0_19identity_decomposerEEE10hipError_tT1_T2_T3_T4_jRjT5_jjP12ihipStream_tbEUlT_E_NS1_11comp_targetILNS1_3genE8ELNS1_11target_archE1030ELNS1_3gpuE2ELNS1_3repE0EEENS1_44radix_sort_block_sort_config_static_selectorELNS0_4arch9wavefront6targetE0EEEvSG_.has_dyn_sized_stack, 0
	.set _ZN7rocprim17ROCPRIM_400000_NS6detail17trampoline_kernelINS0_13kernel_configILj256ELj4ELj4294967295EEENS1_37radix_sort_block_sort_config_selectorI12hip_bfloat16NS0_10empty_typeEEEZNS1_21radix_sort_block_sortIS4_Lb0EPKS6_PS6_PS7_SD_NS0_19identity_decomposerEEE10hipError_tT1_T2_T3_T4_jRjT5_jjP12ihipStream_tbEUlT_E_NS1_11comp_targetILNS1_3genE8ELNS1_11target_archE1030ELNS1_3gpuE2ELNS1_3repE0EEENS1_44radix_sort_block_sort_config_static_selectorELNS0_4arch9wavefront6targetE0EEEvSG_.has_recursion, 0
	.set _ZN7rocprim17ROCPRIM_400000_NS6detail17trampoline_kernelINS0_13kernel_configILj256ELj4ELj4294967295EEENS1_37radix_sort_block_sort_config_selectorI12hip_bfloat16NS0_10empty_typeEEEZNS1_21radix_sort_block_sortIS4_Lb0EPKS6_PS6_PS7_SD_NS0_19identity_decomposerEEE10hipError_tT1_T2_T3_T4_jRjT5_jjP12ihipStream_tbEUlT_E_NS1_11comp_targetILNS1_3genE8ELNS1_11target_archE1030ELNS1_3gpuE2ELNS1_3repE0EEENS1_44radix_sort_block_sort_config_static_selectorELNS0_4arch9wavefront6targetE0EEEvSG_.has_indirect_call, 0
	.section	.AMDGPU.csdata,"",@progbits
; Kernel info:
; codeLenInByte = 0
; TotalNumSgprs: 0
; NumVgprs: 0
; ScratchSize: 0
; MemoryBound: 0
; FloatMode: 240
; IeeeMode: 1
; LDSByteSize: 0 bytes/workgroup (compile time only)
; SGPRBlocks: 0
; VGPRBlocks: 0
; NumSGPRsForWavesPerEU: 1
; NumVGPRsForWavesPerEU: 1
; NamedBarCnt: 0
; Occupancy: 16
; WaveLimiterHint : 0
; COMPUTE_PGM_RSRC2:SCRATCH_EN: 0
; COMPUTE_PGM_RSRC2:USER_SGPR: 2
; COMPUTE_PGM_RSRC2:TRAP_HANDLER: 0
; COMPUTE_PGM_RSRC2:TGID_X_EN: 1
; COMPUTE_PGM_RSRC2:TGID_Y_EN: 0
; COMPUTE_PGM_RSRC2:TGID_Z_EN: 0
; COMPUTE_PGM_RSRC2:TIDIG_COMP_CNT: 0
	.section	.text._ZN7rocprim17ROCPRIM_400000_NS6detail17trampoline_kernelINS0_14default_configENS1_38merge_sort_block_merge_config_selectorI12hip_bfloat16NS0_10empty_typeEEEZZNS1_27merge_sort_block_merge_implIS3_PS5_PS6_jNS1_19radix_merge_compareILb0ELb0ES5_NS0_19identity_decomposerEEEEE10hipError_tT0_T1_T2_jT3_P12ihipStream_tbPNSt15iterator_traitsISF_E10value_typeEPNSL_ISG_E10value_typeEPSH_NS1_7vsmem_tEENKUlT_SF_SG_SH_E_clIS9_S9_SA_SA_EESE_SU_SF_SG_SH_EUlSU_E_NS1_11comp_targetILNS1_3genE0ELNS1_11target_archE4294967295ELNS1_3gpuE0ELNS1_3repE0EEENS1_48merge_mergepath_partition_config_static_selectorELNS0_4arch9wavefront6targetE0EEEvSG_,"axG",@progbits,_ZN7rocprim17ROCPRIM_400000_NS6detail17trampoline_kernelINS0_14default_configENS1_38merge_sort_block_merge_config_selectorI12hip_bfloat16NS0_10empty_typeEEEZZNS1_27merge_sort_block_merge_implIS3_PS5_PS6_jNS1_19radix_merge_compareILb0ELb0ES5_NS0_19identity_decomposerEEEEE10hipError_tT0_T1_T2_jT3_P12ihipStream_tbPNSt15iterator_traitsISF_E10value_typeEPNSL_ISG_E10value_typeEPSH_NS1_7vsmem_tEENKUlT_SF_SG_SH_E_clIS9_S9_SA_SA_EESE_SU_SF_SG_SH_EUlSU_E_NS1_11comp_targetILNS1_3genE0ELNS1_11target_archE4294967295ELNS1_3gpuE0ELNS1_3repE0EEENS1_48merge_mergepath_partition_config_static_selectorELNS0_4arch9wavefront6targetE0EEEvSG_,comdat
	.protected	_ZN7rocprim17ROCPRIM_400000_NS6detail17trampoline_kernelINS0_14default_configENS1_38merge_sort_block_merge_config_selectorI12hip_bfloat16NS0_10empty_typeEEEZZNS1_27merge_sort_block_merge_implIS3_PS5_PS6_jNS1_19radix_merge_compareILb0ELb0ES5_NS0_19identity_decomposerEEEEE10hipError_tT0_T1_T2_jT3_P12ihipStream_tbPNSt15iterator_traitsISF_E10value_typeEPNSL_ISG_E10value_typeEPSH_NS1_7vsmem_tEENKUlT_SF_SG_SH_E_clIS9_S9_SA_SA_EESE_SU_SF_SG_SH_EUlSU_E_NS1_11comp_targetILNS1_3genE0ELNS1_11target_archE4294967295ELNS1_3gpuE0ELNS1_3repE0EEENS1_48merge_mergepath_partition_config_static_selectorELNS0_4arch9wavefront6targetE0EEEvSG_ ; -- Begin function _ZN7rocprim17ROCPRIM_400000_NS6detail17trampoline_kernelINS0_14default_configENS1_38merge_sort_block_merge_config_selectorI12hip_bfloat16NS0_10empty_typeEEEZZNS1_27merge_sort_block_merge_implIS3_PS5_PS6_jNS1_19radix_merge_compareILb0ELb0ES5_NS0_19identity_decomposerEEEEE10hipError_tT0_T1_T2_jT3_P12ihipStream_tbPNSt15iterator_traitsISF_E10value_typeEPNSL_ISG_E10value_typeEPSH_NS1_7vsmem_tEENKUlT_SF_SG_SH_E_clIS9_S9_SA_SA_EESE_SU_SF_SG_SH_EUlSU_E_NS1_11comp_targetILNS1_3genE0ELNS1_11target_archE4294967295ELNS1_3gpuE0ELNS1_3repE0EEENS1_48merge_mergepath_partition_config_static_selectorELNS0_4arch9wavefront6targetE0EEEvSG_
	.globl	_ZN7rocprim17ROCPRIM_400000_NS6detail17trampoline_kernelINS0_14default_configENS1_38merge_sort_block_merge_config_selectorI12hip_bfloat16NS0_10empty_typeEEEZZNS1_27merge_sort_block_merge_implIS3_PS5_PS6_jNS1_19radix_merge_compareILb0ELb0ES5_NS0_19identity_decomposerEEEEE10hipError_tT0_T1_T2_jT3_P12ihipStream_tbPNSt15iterator_traitsISF_E10value_typeEPNSL_ISG_E10value_typeEPSH_NS1_7vsmem_tEENKUlT_SF_SG_SH_E_clIS9_S9_SA_SA_EESE_SU_SF_SG_SH_EUlSU_E_NS1_11comp_targetILNS1_3genE0ELNS1_11target_archE4294967295ELNS1_3gpuE0ELNS1_3repE0EEENS1_48merge_mergepath_partition_config_static_selectorELNS0_4arch9wavefront6targetE0EEEvSG_
	.p2align	8
	.type	_ZN7rocprim17ROCPRIM_400000_NS6detail17trampoline_kernelINS0_14default_configENS1_38merge_sort_block_merge_config_selectorI12hip_bfloat16NS0_10empty_typeEEEZZNS1_27merge_sort_block_merge_implIS3_PS5_PS6_jNS1_19radix_merge_compareILb0ELb0ES5_NS0_19identity_decomposerEEEEE10hipError_tT0_T1_T2_jT3_P12ihipStream_tbPNSt15iterator_traitsISF_E10value_typeEPNSL_ISG_E10value_typeEPSH_NS1_7vsmem_tEENKUlT_SF_SG_SH_E_clIS9_S9_SA_SA_EESE_SU_SF_SG_SH_EUlSU_E_NS1_11comp_targetILNS1_3genE0ELNS1_11target_archE4294967295ELNS1_3gpuE0ELNS1_3repE0EEENS1_48merge_mergepath_partition_config_static_selectorELNS0_4arch9wavefront6targetE0EEEvSG_,@function
_ZN7rocprim17ROCPRIM_400000_NS6detail17trampoline_kernelINS0_14default_configENS1_38merge_sort_block_merge_config_selectorI12hip_bfloat16NS0_10empty_typeEEEZZNS1_27merge_sort_block_merge_implIS3_PS5_PS6_jNS1_19radix_merge_compareILb0ELb0ES5_NS0_19identity_decomposerEEEEE10hipError_tT0_T1_T2_jT3_P12ihipStream_tbPNSt15iterator_traitsISF_E10value_typeEPNSL_ISG_E10value_typeEPSH_NS1_7vsmem_tEENKUlT_SF_SG_SH_E_clIS9_S9_SA_SA_EESE_SU_SF_SG_SH_EUlSU_E_NS1_11comp_targetILNS1_3genE0ELNS1_11target_archE4294967295ELNS1_3gpuE0ELNS1_3repE0EEENS1_48merge_mergepath_partition_config_static_selectorELNS0_4arch9wavefront6targetE0EEEvSG_: ; @_ZN7rocprim17ROCPRIM_400000_NS6detail17trampoline_kernelINS0_14default_configENS1_38merge_sort_block_merge_config_selectorI12hip_bfloat16NS0_10empty_typeEEEZZNS1_27merge_sort_block_merge_implIS3_PS5_PS6_jNS1_19radix_merge_compareILb0ELb0ES5_NS0_19identity_decomposerEEEEE10hipError_tT0_T1_T2_jT3_P12ihipStream_tbPNSt15iterator_traitsISF_E10value_typeEPNSL_ISG_E10value_typeEPSH_NS1_7vsmem_tEENKUlT_SF_SG_SH_E_clIS9_S9_SA_SA_EESE_SU_SF_SG_SH_EUlSU_E_NS1_11comp_targetILNS1_3genE0ELNS1_11target_archE4294967295ELNS1_3gpuE0ELNS1_3repE0EEENS1_48merge_mergepath_partition_config_static_selectorELNS0_4arch9wavefront6targetE0EEEvSG_
; %bb.0:
	s_load_b32 s2, s[0:1], 0x0
	s_bfe_u32 s3, ttmp6, 0x4000c
	s_and_b32 s4, ttmp6, 15
	s_add_co_i32 s3, s3, 1
	s_getreg_b32 s5, hwreg(HW_REG_IB_STS2, 6, 4)
	s_mul_i32 s3, ttmp9, s3
	s_delay_alu instid0(SALU_CYCLE_1) | instskip(SKIP_2) | instid1(SALU_CYCLE_1)
	s_add_co_i32 s4, s4, s3
	s_cmp_eq_u32 s5, 0
	s_cselect_b32 s3, ttmp9, s4
	v_lshl_or_b32 v8, s3, 7, v0
	s_wait_kmcnt 0x0
	s_delay_alu instid0(VALU_DEP_1)
	v_cmp_gt_u32_e32 vcc_lo, s2, v8
	s_and_saveexec_b32 s2, vcc_lo
	s_cbranch_execz .LBB2009_14
; %bb.1:
	s_load_b64 s[2:3], s[0:1], 0x4
	s_wait_kmcnt 0x0
	s_lshr_b32 s4, s2, 9
	s_delay_alu instid0(SALU_CYCLE_1) | instskip(NEXT) | instid1(SALU_CYCLE_1)
	s_and_b32 s4, s4, 0x7ffffe
	s_sub_co_i32 s5, 0, s4
	s_add_co_i32 s4, s4, -1
	s_delay_alu instid0(SALU_CYCLE_1) | instskip(SKIP_2) | instid1(VALU_DEP_1)
	v_and_b32_e32 v1, s4, v8
	v_and_b32_e32 v0, s5, v8
	s_mov_b32 s4, exec_lo
	v_dual_lshlrev_b32 v1, 10, v1 :: v_dual_lshlrev_b32 v0, 10, v0
	s_delay_alu instid0(VALU_DEP_1) | instskip(SKIP_1) | instid1(VALU_DEP_2)
	v_add_min_u32_e64 v2, v0, s2, s3
	v_min_u32_e32 v0, s3, v0
	v_add_min_u32_e64 v3, v2, s2, s3
	s_load_b64 s[2:3], s[0:1], 0x20
	s_delay_alu instid0(VALU_DEP_1) | instskip(NEXT) | instid1(VALU_DEP_1)
	v_dual_sub_nc_u32 v4, v3, v0 :: v_dual_sub_nc_u32 v3, v3, v2
	v_min_u32_e32 v10, v4, v1
	v_sub_nc_u32_e32 v1, v2, v0
	s_delay_alu instid0(VALU_DEP_2) | instskip(NEXT) | instid1(VALU_DEP_2)
	v_sub_nc_u32_e64 v9, v10, v3 clamp
	v_min_u32_e32 v11, v10, v1
	s_delay_alu instid0(VALU_DEP_1)
	v_cmpx_lt_u32_e64 v9, v11
	s_cbranch_execz .LBB2009_13
; %bb.2:
	s_wait_xcnt 0x0
	s_load_b64 s[0:1], s[0:1], 0x10
	v_mov_b32_e32 v3, 0
	s_delay_alu instid0(VALU_DEP_1) | instskip(SKIP_1) | instid1(VALU_DEP_1)
	v_mov_b32_e32 v1, v3
	s_wait_kmcnt 0x0
	v_lshl_add_u64 v[4:5], v[0:1], 1, s[0:1]
	v_lshl_add_u64 v[6:7], v[2:3], 1, s[0:1]
	s_mov_b32 s0, 0
	s_branch .LBB2009_4
.LBB2009_3:                             ;   in Loop: Header=BB2009_4 Depth=1
	s_or_b32 exec_lo, exec_lo, s1
	v_cmp_lt_i32_e32 vcc_lo, -1, v2
	s_delay_alu instid0(VALU_DEP_2) | instskip(SKIP_3) | instid1(VALU_DEP_1)
	v_perm_b32 v2, v12, v2, 0x7060302
	v_cndmask_b32_e64 v13, -1, 0xffff8000, vcc_lo
	v_cmp_lt_i32_e32 vcc_lo, -1, v12
	v_cndmask_b32_e64 v14, -1, 0xffff8000, vcc_lo
	v_perm_b32 v12, v14, v13, 0x5040100
	s_delay_alu instid0(VALU_DEP_1) | instskip(NEXT) | instid1(VALU_DEP_1)
	v_dual_add_nc_u32 v13, 1, v1 :: v_dual_bitop2_b32 v2, v12, v2 bitop3:0x14
	v_lshrrev_b32_e32 v12, 16, v2
	s_delay_alu instid0(VALU_DEP_1) | instskip(SKIP_1) | instid1(VALU_DEP_4)
	v_cmp_gt_u16_e32 vcc_lo, v2, v12
	v_cndmask_b32_e32 v11, v11, v1, vcc_lo
	v_cndmask_b32_e32 v9, v13, v9, vcc_lo
	s_delay_alu instid0(VALU_DEP_1) | instskip(SKIP_1) | instid1(SALU_CYCLE_1)
	v_cmp_ge_u32_e32 vcc_lo, v9, v11
	s_or_b32 s0, vcc_lo, s0
	s_and_not1_b32 exec_lo, exec_lo, s0
	s_cbranch_execz .LBB2009_12
.LBB2009_4:                             ; =>This Inner Loop Header: Depth=1
	v_add_nc_u32_e32 v1, v11, v9
	s_delay_alu instid0(VALU_DEP_1) | instskip(NEXT) | instid1(VALU_DEP_1)
	v_and_b32_e32 v2, -2, v1
	v_add_nc_u64_e32 v[12:13], v[4:5], v[2:3]
	global_load_u16 v2, v[12:13], off
	s_wait_loadcnt 0x0
	v_dual_mov_b32 v13, v3 :: v_dual_lshlrev_b32 v2, 16, v2
	v_lshrrev_b32_e32 v1, 1, v1
	s_delay_alu instid0(VALU_DEP_1) | instskip(NEXT) | instid1(VALU_DEP_1)
	v_xad_u32 v12, v1, -1, v10
	v_lshl_add_u64 v[12:13], v[12:13], 1, v[6:7]
	global_load_u16 v12, v[12:13], off
	s_wait_xcnt 0x0
	v_add_f32_e32 v13, 0, v2
	s_delay_alu instid0(VALU_DEP_1) | instskip(NEXT) | instid1(VALU_DEP_1)
	v_and_b32_e32 v2, 0x7f800000, v13
	v_cmp_ne_u32_e32 vcc_lo, 0x7f800000, v2
                                        ; implicit-def: $vgpr2
	s_and_saveexec_b32 s1, vcc_lo
	s_delay_alu instid0(SALU_CYCLE_1)
	s_xor_b32 s1, exec_lo, s1
; %bb.5:                                ;   in Loop: Header=BB2009_4 Depth=1
	v_bfe_u32 v2, v13, 16, 1
	s_delay_alu instid0(VALU_DEP_1)
	v_add3_u32 v2, v13, v2, 0x7fff
                                        ; implicit-def: $vgpr13
; %bb.6:                                ;   in Loop: Header=BB2009_4 Depth=1
	s_and_not1_saveexec_b32 s1, s1
; %bb.7:                                ;   in Loop: Header=BB2009_4 Depth=1
	v_and_b32_e32 v2, 0xffff, v13
	v_or_b32_e32 v14, 0x10000, v13
	s_delay_alu instid0(VALU_DEP_2) | instskip(NEXT) | instid1(VALU_DEP_2)
	v_cmp_eq_u32_e32 vcc_lo, 0, v2
	v_cndmask_b32_e32 v2, v14, v13, vcc_lo
; %bb.8:                                ;   in Loop: Header=BB2009_4 Depth=1
	s_or_b32 exec_lo, exec_lo, s1
	s_wait_loadcnt 0x0
	v_lshlrev_b32_e32 v12, 16, v12
	s_delay_alu instid0(VALU_DEP_1) | instskip(NEXT) | instid1(VALU_DEP_1)
	v_add_f32_e32 v13, 0, v12
	v_and_b32_e32 v12, 0x7f800000, v13
	s_delay_alu instid0(VALU_DEP_1) | instskip(SKIP_1) | instid1(SALU_CYCLE_1)
	v_cmp_ne_u32_e32 vcc_lo, 0x7f800000, v12
                                        ; implicit-def: $vgpr12
	s_and_saveexec_b32 s1, vcc_lo
	s_xor_b32 s1, exec_lo, s1
; %bb.9:                                ;   in Loop: Header=BB2009_4 Depth=1
	v_bfe_u32 v12, v13, 16, 1
	s_delay_alu instid0(VALU_DEP_1)
	v_add3_u32 v12, v13, v12, 0x7fff
                                        ; implicit-def: $vgpr13
; %bb.10:                               ;   in Loop: Header=BB2009_4 Depth=1
	s_and_not1_saveexec_b32 s1, s1
	s_cbranch_execz .LBB2009_3
; %bb.11:                               ;   in Loop: Header=BB2009_4 Depth=1
	v_and_b32_e32 v12, 0xffff, v13
	v_or_b32_e32 v14, 0x10000, v13
	s_delay_alu instid0(VALU_DEP_2) | instskip(NEXT) | instid1(VALU_DEP_2)
	v_cmp_eq_u32_e32 vcc_lo, 0, v12
	v_cndmask_b32_e32 v12, v14, v13, vcc_lo
	s_branch .LBB2009_3
.LBB2009_12:
	s_or_b32 exec_lo, exec_lo, s0
.LBB2009_13:
	s_delay_alu instid0(SALU_CYCLE_1)
	s_or_b32 exec_lo, exec_lo, s4
	v_add_nc_u32_e32 v0, v9, v0
	s_wait_kmcnt 0x0
	global_store_b32 v8, v0, s[2:3] scale_offset
.LBB2009_14:
	s_endpgm
	.section	.rodata,"a",@progbits
	.p2align	6, 0x0
	.amdhsa_kernel _ZN7rocprim17ROCPRIM_400000_NS6detail17trampoline_kernelINS0_14default_configENS1_38merge_sort_block_merge_config_selectorI12hip_bfloat16NS0_10empty_typeEEEZZNS1_27merge_sort_block_merge_implIS3_PS5_PS6_jNS1_19radix_merge_compareILb0ELb0ES5_NS0_19identity_decomposerEEEEE10hipError_tT0_T1_T2_jT3_P12ihipStream_tbPNSt15iterator_traitsISF_E10value_typeEPNSL_ISG_E10value_typeEPSH_NS1_7vsmem_tEENKUlT_SF_SG_SH_E_clIS9_S9_SA_SA_EESE_SU_SF_SG_SH_EUlSU_E_NS1_11comp_targetILNS1_3genE0ELNS1_11target_archE4294967295ELNS1_3gpuE0ELNS1_3repE0EEENS1_48merge_mergepath_partition_config_static_selectorELNS0_4arch9wavefront6targetE0EEEvSG_
		.amdhsa_group_segment_fixed_size 0
		.amdhsa_private_segment_fixed_size 0
		.amdhsa_kernarg_size 40
		.amdhsa_user_sgpr_count 2
		.amdhsa_user_sgpr_dispatch_ptr 0
		.amdhsa_user_sgpr_queue_ptr 0
		.amdhsa_user_sgpr_kernarg_segment_ptr 1
		.amdhsa_user_sgpr_dispatch_id 0
		.amdhsa_user_sgpr_kernarg_preload_length 0
		.amdhsa_user_sgpr_kernarg_preload_offset 0
		.amdhsa_user_sgpr_private_segment_size 0
		.amdhsa_wavefront_size32 1
		.amdhsa_uses_dynamic_stack 0
		.amdhsa_enable_private_segment 0
		.amdhsa_system_sgpr_workgroup_id_x 1
		.amdhsa_system_sgpr_workgroup_id_y 0
		.amdhsa_system_sgpr_workgroup_id_z 0
		.amdhsa_system_sgpr_workgroup_info 0
		.amdhsa_system_vgpr_workitem_id 0
		.amdhsa_next_free_vgpr 15
		.amdhsa_next_free_sgpr 6
		.amdhsa_named_barrier_count 0
		.amdhsa_reserve_vcc 1
		.amdhsa_float_round_mode_32 0
		.amdhsa_float_round_mode_16_64 0
		.amdhsa_float_denorm_mode_32 3
		.amdhsa_float_denorm_mode_16_64 3
		.amdhsa_fp16_overflow 0
		.amdhsa_memory_ordered 1
		.amdhsa_forward_progress 1
		.amdhsa_inst_pref_size 6
		.amdhsa_round_robin_scheduling 0
		.amdhsa_exception_fp_ieee_invalid_op 0
		.amdhsa_exception_fp_denorm_src 0
		.amdhsa_exception_fp_ieee_div_zero 0
		.amdhsa_exception_fp_ieee_overflow 0
		.amdhsa_exception_fp_ieee_underflow 0
		.amdhsa_exception_fp_ieee_inexact 0
		.amdhsa_exception_int_div_zero 0
	.end_amdhsa_kernel
	.section	.text._ZN7rocprim17ROCPRIM_400000_NS6detail17trampoline_kernelINS0_14default_configENS1_38merge_sort_block_merge_config_selectorI12hip_bfloat16NS0_10empty_typeEEEZZNS1_27merge_sort_block_merge_implIS3_PS5_PS6_jNS1_19radix_merge_compareILb0ELb0ES5_NS0_19identity_decomposerEEEEE10hipError_tT0_T1_T2_jT3_P12ihipStream_tbPNSt15iterator_traitsISF_E10value_typeEPNSL_ISG_E10value_typeEPSH_NS1_7vsmem_tEENKUlT_SF_SG_SH_E_clIS9_S9_SA_SA_EESE_SU_SF_SG_SH_EUlSU_E_NS1_11comp_targetILNS1_3genE0ELNS1_11target_archE4294967295ELNS1_3gpuE0ELNS1_3repE0EEENS1_48merge_mergepath_partition_config_static_selectorELNS0_4arch9wavefront6targetE0EEEvSG_,"axG",@progbits,_ZN7rocprim17ROCPRIM_400000_NS6detail17trampoline_kernelINS0_14default_configENS1_38merge_sort_block_merge_config_selectorI12hip_bfloat16NS0_10empty_typeEEEZZNS1_27merge_sort_block_merge_implIS3_PS5_PS6_jNS1_19radix_merge_compareILb0ELb0ES5_NS0_19identity_decomposerEEEEE10hipError_tT0_T1_T2_jT3_P12ihipStream_tbPNSt15iterator_traitsISF_E10value_typeEPNSL_ISG_E10value_typeEPSH_NS1_7vsmem_tEENKUlT_SF_SG_SH_E_clIS9_S9_SA_SA_EESE_SU_SF_SG_SH_EUlSU_E_NS1_11comp_targetILNS1_3genE0ELNS1_11target_archE4294967295ELNS1_3gpuE0ELNS1_3repE0EEENS1_48merge_mergepath_partition_config_static_selectorELNS0_4arch9wavefront6targetE0EEEvSG_,comdat
.Lfunc_end2009:
	.size	_ZN7rocprim17ROCPRIM_400000_NS6detail17trampoline_kernelINS0_14default_configENS1_38merge_sort_block_merge_config_selectorI12hip_bfloat16NS0_10empty_typeEEEZZNS1_27merge_sort_block_merge_implIS3_PS5_PS6_jNS1_19radix_merge_compareILb0ELb0ES5_NS0_19identity_decomposerEEEEE10hipError_tT0_T1_T2_jT3_P12ihipStream_tbPNSt15iterator_traitsISF_E10value_typeEPNSL_ISG_E10value_typeEPSH_NS1_7vsmem_tEENKUlT_SF_SG_SH_E_clIS9_S9_SA_SA_EESE_SU_SF_SG_SH_EUlSU_E_NS1_11comp_targetILNS1_3genE0ELNS1_11target_archE4294967295ELNS1_3gpuE0ELNS1_3repE0EEENS1_48merge_mergepath_partition_config_static_selectorELNS0_4arch9wavefront6targetE0EEEvSG_, .Lfunc_end2009-_ZN7rocprim17ROCPRIM_400000_NS6detail17trampoline_kernelINS0_14default_configENS1_38merge_sort_block_merge_config_selectorI12hip_bfloat16NS0_10empty_typeEEEZZNS1_27merge_sort_block_merge_implIS3_PS5_PS6_jNS1_19radix_merge_compareILb0ELb0ES5_NS0_19identity_decomposerEEEEE10hipError_tT0_T1_T2_jT3_P12ihipStream_tbPNSt15iterator_traitsISF_E10value_typeEPNSL_ISG_E10value_typeEPSH_NS1_7vsmem_tEENKUlT_SF_SG_SH_E_clIS9_S9_SA_SA_EESE_SU_SF_SG_SH_EUlSU_E_NS1_11comp_targetILNS1_3genE0ELNS1_11target_archE4294967295ELNS1_3gpuE0ELNS1_3repE0EEENS1_48merge_mergepath_partition_config_static_selectorELNS0_4arch9wavefront6targetE0EEEvSG_
                                        ; -- End function
	.set _ZN7rocprim17ROCPRIM_400000_NS6detail17trampoline_kernelINS0_14default_configENS1_38merge_sort_block_merge_config_selectorI12hip_bfloat16NS0_10empty_typeEEEZZNS1_27merge_sort_block_merge_implIS3_PS5_PS6_jNS1_19radix_merge_compareILb0ELb0ES5_NS0_19identity_decomposerEEEEE10hipError_tT0_T1_T2_jT3_P12ihipStream_tbPNSt15iterator_traitsISF_E10value_typeEPNSL_ISG_E10value_typeEPSH_NS1_7vsmem_tEENKUlT_SF_SG_SH_E_clIS9_S9_SA_SA_EESE_SU_SF_SG_SH_EUlSU_E_NS1_11comp_targetILNS1_3genE0ELNS1_11target_archE4294967295ELNS1_3gpuE0ELNS1_3repE0EEENS1_48merge_mergepath_partition_config_static_selectorELNS0_4arch9wavefront6targetE0EEEvSG_.num_vgpr, 15
	.set _ZN7rocprim17ROCPRIM_400000_NS6detail17trampoline_kernelINS0_14default_configENS1_38merge_sort_block_merge_config_selectorI12hip_bfloat16NS0_10empty_typeEEEZZNS1_27merge_sort_block_merge_implIS3_PS5_PS6_jNS1_19radix_merge_compareILb0ELb0ES5_NS0_19identity_decomposerEEEEE10hipError_tT0_T1_T2_jT3_P12ihipStream_tbPNSt15iterator_traitsISF_E10value_typeEPNSL_ISG_E10value_typeEPSH_NS1_7vsmem_tEENKUlT_SF_SG_SH_E_clIS9_S9_SA_SA_EESE_SU_SF_SG_SH_EUlSU_E_NS1_11comp_targetILNS1_3genE0ELNS1_11target_archE4294967295ELNS1_3gpuE0ELNS1_3repE0EEENS1_48merge_mergepath_partition_config_static_selectorELNS0_4arch9wavefront6targetE0EEEvSG_.num_agpr, 0
	.set _ZN7rocprim17ROCPRIM_400000_NS6detail17trampoline_kernelINS0_14default_configENS1_38merge_sort_block_merge_config_selectorI12hip_bfloat16NS0_10empty_typeEEEZZNS1_27merge_sort_block_merge_implIS3_PS5_PS6_jNS1_19radix_merge_compareILb0ELb0ES5_NS0_19identity_decomposerEEEEE10hipError_tT0_T1_T2_jT3_P12ihipStream_tbPNSt15iterator_traitsISF_E10value_typeEPNSL_ISG_E10value_typeEPSH_NS1_7vsmem_tEENKUlT_SF_SG_SH_E_clIS9_S9_SA_SA_EESE_SU_SF_SG_SH_EUlSU_E_NS1_11comp_targetILNS1_3genE0ELNS1_11target_archE4294967295ELNS1_3gpuE0ELNS1_3repE0EEENS1_48merge_mergepath_partition_config_static_selectorELNS0_4arch9wavefront6targetE0EEEvSG_.numbered_sgpr, 6
	.set _ZN7rocprim17ROCPRIM_400000_NS6detail17trampoline_kernelINS0_14default_configENS1_38merge_sort_block_merge_config_selectorI12hip_bfloat16NS0_10empty_typeEEEZZNS1_27merge_sort_block_merge_implIS3_PS5_PS6_jNS1_19radix_merge_compareILb0ELb0ES5_NS0_19identity_decomposerEEEEE10hipError_tT0_T1_T2_jT3_P12ihipStream_tbPNSt15iterator_traitsISF_E10value_typeEPNSL_ISG_E10value_typeEPSH_NS1_7vsmem_tEENKUlT_SF_SG_SH_E_clIS9_S9_SA_SA_EESE_SU_SF_SG_SH_EUlSU_E_NS1_11comp_targetILNS1_3genE0ELNS1_11target_archE4294967295ELNS1_3gpuE0ELNS1_3repE0EEENS1_48merge_mergepath_partition_config_static_selectorELNS0_4arch9wavefront6targetE0EEEvSG_.num_named_barrier, 0
	.set _ZN7rocprim17ROCPRIM_400000_NS6detail17trampoline_kernelINS0_14default_configENS1_38merge_sort_block_merge_config_selectorI12hip_bfloat16NS0_10empty_typeEEEZZNS1_27merge_sort_block_merge_implIS3_PS5_PS6_jNS1_19radix_merge_compareILb0ELb0ES5_NS0_19identity_decomposerEEEEE10hipError_tT0_T1_T2_jT3_P12ihipStream_tbPNSt15iterator_traitsISF_E10value_typeEPNSL_ISG_E10value_typeEPSH_NS1_7vsmem_tEENKUlT_SF_SG_SH_E_clIS9_S9_SA_SA_EESE_SU_SF_SG_SH_EUlSU_E_NS1_11comp_targetILNS1_3genE0ELNS1_11target_archE4294967295ELNS1_3gpuE0ELNS1_3repE0EEENS1_48merge_mergepath_partition_config_static_selectorELNS0_4arch9wavefront6targetE0EEEvSG_.private_seg_size, 0
	.set _ZN7rocprim17ROCPRIM_400000_NS6detail17trampoline_kernelINS0_14default_configENS1_38merge_sort_block_merge_config_selectorI12hip_bfloat16NS0_10empty_typeEEEZZNS1_27merge_sort_block_merge_implIS3_PS5_PS6_jNS1_19radix_merge_compareILb0ELb0ES5_NS0_19identity_decomposerEEEEE10hipError_tT0_T1_T2_jT3_P12ihipStream_tbPNSt15iterator_traitsISF_E10value_typeEPNSL_ISG_E10value_typeEPSH_NS1_7vsmem_tEENKUlT_SF_SG_SH_E_clIS9_S9_SA_SA_EESE_SU_SF_SG_SH_EUlSU_E_NS1_11comp_targetILNS1_3genE0ELNS1_11target_archE4294967295ELNS1_3gpuE0ELNS1_3repE0EEENS1_48merge_mergepath_partition_config_static_selectorELNS0_4arch9wavefront6targetE0EEEvSG_.uses_vcc, 1
	.set _ZN7rocprim17ROCPRIM_400000_NS6detail17trampoline_kernelINS0_14default_configENS1_38merge_sort_block_merge_config_selectorI12hip_bfloat16NS0_10empty_typeEEEZZNS1_27merge_sort_block_merge_implIS3_PS5_PS6_jNS1_19radix_merge_compareILb0ELb0ES5_NS0_19identity_decomposerEEEEE10hipError_tT0_T1_T2_jT3_P12ihipStream_tbPNSt15iterator_traitsISF_E10value_typeEPNSL_ISG_E10value_typeEPSH_NS1_7vsmem_tEENKUlT_SF_SG_SH_E_clIS9_S9_SA_SA_EESE_SU_SF_SG_SH_EUlSU_E_NS1_11comp_targetILNS1_3genE0ELNS1_11target_archE4294967295ELNS1_3gpuE0ELNS1_3repE0EEENS1_48merge_mergepath_partition_config_static_selectorELNS0_4arch9wavefront6targetE0EEEvSG_.uses_flat_scratch, 0
	.set _ZN7rocprim17ROCPRIM_400000_NS6detail17trampoline_kernelINS0_14default_configENS1_38merge_sort_block_merge_config_selectorI12hip_bfloat16NS0_10empty_typeEEEZZNS1_27merge_sort_block_merge_implIS3_PS5_PS6_jNS1_19radix_merge_compareILb0ELb0ES5_NS0_19identity_decomposerEEEEE10hipError_tT0_T1_T2_jT3_P12ihipStream_tbPNSt15iterator_traitsISF_E10value_typeEPNSL_ISG_E10value_typeEPSH_NS1_7vsmem_tEENKUlT_SF_SG_SH_E_clIS9_S9_SA_SA_EESE_SU_SF_SG_SH_EUlSU_E_NS1_11comp_targetILNS1_3genE0ELNS1_11target_archE4294967295ELNS1_3gpuE0ELNS1_3repE0EEENS1_48merge_mergepath_partition_config_static_selectorELNS0_4arch9wavefront6targetE0EEEvSG_.has_dyn_sized_stack, 0
	.set _ZN7rocprim17ROCPRIM_400000_NS6detail17trampoline_kernelINS0_14default_configENS1_38merge_sort_block_merge_config_selectorI12hip_bfloat16NS0_10empty_typeEEEZZNS1_27merge_sort_block_merge_implIS3_PS5_PS6_jNS1_19radix_merge_compareILb0ELb0ES5_NS0_19identity_decomposerEEEEE10hipError_tT0_T1_T2_jT3_P12ihipStream_tbPNSt15iterator_traitsISF_E10value_typeEPNSL_ISG_E10value_typeEPSH_NS1_7vsmem_tEENKUlT_SF_SG_SH_E_clIS9_S9_SA_SA_EESE_SU_SF_SG_SH_EUlSU_E_NS1_11comp_targetILNS1_3genE0ELNS1_11target_archE4294967295ELNS1_3gpuE0ELNS1_3repE0EEENS1_48merge_mergepath_partition_config_static_selectorELNS0_4arch9wavefront6targetE0EEEvSG_.has_recursion, 0
	.set _ZN7rocprim17ROCPRIM_400000_NS6detail17trampoline_kernelINS0_14default_configENS1_38merge_sort_block_merge_config_selectorI12hip_bfloat16NS0_10empty_typeEEEZZNS1_27merge_sort_block_merge_implIS3_PS5_PS6_jNS1_19radix_merge_compareILb0ELb0ES5_NS0_19identity_decomposerEEEEE10hipError_tT0_T1_T2_jT3_P12ihipStream_tbPNSt15iterator_traitsISF_E10value_typeEPNSL_ISG_E10value_typeEPSH_NS1_7vsmem_tEENKUlT_SF_SG_SH_E_clIS9_S9_SA_SA_EESE_SU_SF_SG_SH_EUlSU_E_NS1_11comp_targetILNS1_3genE0ELNS1_11target_archE4294967295ELNS1_3gpuE0ELNS1_3repE0EEENS1_48merge_mergepath_partition_config_static_selectorELNS0_4arch9wavefront6targetE0EEEvSG_.has_indirect_call, 0
	.section	.AMDGPU.csdata,"",@progbits
; Kernel info:
; codeLenInByte = 720
; TotalNumSgprs: 8
; NumVgprs: 15
; ScratchSize: 0
; MemoryBound: 0
; FloatMode: 240
; IeeeMode: 1
; LDSByteSize: 0 bytes/workgroup (compile time only)
; SGPRBlocks: 0
; VGPRBlocks: 0
; NumSGPRsForWavesPerEU: 8
; NumVGPRsForWavesPerEU: 15
; NamedBarCnt: 0
; Occupancy: 16
; WaveLimiterHint : 0
; COMPUTE_PGM_RSRC2:SCRATCH_EN: 0
; COMPUTE_PGM_RSRC2:USER_SGPR: 2
; COMPUTE_PGM_RSRC2:TRAP_HANDLER: 0
; COMPUTE_PGM_RSRC2:TGID_X_EN: 1
; COMPUTE_PGM_RSRC2:TGID_Y_EN: 0
; COMPUTE_PGM_RSRC2:TGID_Z_EN: 0
; COMPUTE_PGM_RSRC2:TIDIG_COMP_CNT: 0
	.section	.text._ZN7rocprim17ROCPRIM_400000_NS6detail17trampoline_kernelINS0_14default_configENS1_38merge_sort_block_merge_config_selectorI12hip_bfloat16NS0_10empty_typeEEEZZNS1_27merge_sort_block_merge_implIS3_PS5_PS6_jNS1_19radix_merge_compareILb0ELb0ES5_NS0_19identity_decomposerEEEEE10hipError_tT0_T1_T2_jT3_P12ihipStream_tbPNSt15iterator_traitsISF_E10value_typeEPNSL_ISG_E10value_typeEPSH_NS1_7vsmem_tEENKUlT_SF_SG_SH_E_clIS9_S9_SA_SA_EESE_SU_SF_SG_SH_EUlSU_E_NS1_11comp_targetILNS1_3genE10ELNS1_11target_archE1201ELNS1_3gpuE5ELNS1_3repE0EEENS1_48merge_mergepath_partition_config_static_selectorELNS0_4arch9wavefront6targetE0EEEvSG_,"axG",@progbits,_ZN7rocprim17ROCPRIM_400000_NS6detail17trampoline_kernelINS0_14default_configENS1_38merge_sort_block_merge_config_selectorI12hip_bfloat16NS0_10empty_typeEEEZZNS1_27merge_sort_block_merge_implIS3_PS5_PS6_jNS1_19radix_merge_compareILb0ELb0ES5_NS0_19identity_decomposerEEEEE10hipError_tT0_T1_T2_jT3_P12ihipStream_tbPNSt15iterator_traitsISF_E10value_typeEPNSL_ISG_E10value_typeEPSH_NS1_7vsmem_tEENKUlT_SF_SG_SH_E_clIS9_S9_SA_SA_EESE_SU_SF_SG_SH_EUlSU_E_NS1_11comp_targetILNS1_3genE10ELNS1_11target_archE1201ELNS1_3gpuE5ELNS1_3repE0EEENS1_48merge_mergepath_partition_config_static_selectorELNS0_4arch9wavefront6targetE0EEEvSG_,comdat
	.protected	_ZN7rocprim17ROCPRIM_400000_NS6detail17trampoline_kernelINS0_14default_configENS1_38merge_sort_block_merge_config_selectorI12hip_bfloat16NS0_10empty_typeEEEZZNS1_27merge_sort_block_merge_implIS3_PS5_PS6_jNS1_19radix_merge_compareILb0ELb0ES5_NS0_19identity_decomposerEEEEE10hipError_tT0_T1_T2_jT3_P12ihipStream_tbPNSt15iterator_traitsISF_E10value_typeEPNSL_ISG_E10value_typeEPSH_NS1_7vsmem_tEENKUlT_SF_SG_SH_E_clIS9_S9_SA_SA_EESE_SU_SF_SG_SH_EUlSU_E_NS1_11comp_targetILNS1_3genE10ELNS1_11target_archE1201ELNS1_3gpuE5ELNS1_3repE0EEENS1_48merge_mergepath_partition_config_static_selectorELNS0_4arch9wavefront6targetE0EEEvSG_ ; -- Begin function _ZN7rocprim17ROCPRIM_400000_NS6detail17trampoline_kernelINS0_14default_configENS1_38merge_sort_block_merge_config_selectorI12hip_bfloat16NS0_10empty_typeEEEZZNS1_27merge_sort_block_merge_implIS3_PS5_PS6_jNS1_19radix_merge_compareILb0ELb0ES5_NS0_19identity_decomposerEEEEE10hipError_tT0_T1_T2_jT3_P12ihipStream_tbPNSt15iterator_traitsISF_E10value_typeEPNSL_ISG_E10value_typeEPSH_NS1_7vsmem_tEENKUlT_SF_SG_SH_E_clIS9_S9_SA_SA_EESE_SU_SF_SG_SH_EUlSU_E_NS1_11comp_targetILNS1_3genE10ELNS1_11target_archE1201ELNS1_3gpuE5ELNS1_3repE0EEENS1_48merge_mergepath_partition_config_static_selectorELNS0_4arch9wavefront6targetE0EEEvSG_
	.globl	_ZN7rocprim17ROCPRIM_400000_NS6detail17trampoline_kernelINS0_14default_configENS1_38merge_sort_block_merge_config_selectorI12hip_bfloat16NS0_10empty_typeEEEZZNS1_27merge_sort_block_merge_implIS3_PS5_PS6_jNS1_19radix_merge_compareILb0ELb0ES5_NS0_19identity_decomposerEEEEE10hipError_tT0_T1_T2_jT3_P12ihipStream_tbPNSt15iterator_traitsISF_E10value_typeEPNSL_ISG_E10value_typeEPSH_NS1_7vsmem_tEENKUlT_SF_SG_SH_E_clIS9_S9_SA_SA_EESE_SU_SF_SG_SH_EUlSU_E_NS1_11comp_targetILNS1_3genE10ELNS1_11target_archE1201ELNS1_3gpuE5ELNS1_3repE0EEENS1_48merge_mergepath_partition_config_static_selectorELNS0_4arch9wavefront6targetE0EEEvSG_
	.p2align	8
	.type	_ZN7rocprim17ROCPRIM_400000_NS6detail17trampoline_kernelINS0_14default_configENS1_38merge_sort_block_merge_config_selectorI12hip_bfloat16NS0_10empty_typeEEEZZNS1_27merge_sort_block_merge_implIS3_PS5_PS6_jNS1_19radix_merge_compareILb0ELb0ES5_NS0_19identity_decomposerEEEEE10hipError_tT0_T1_T2_jT3_P12ihipStream_tbPNSt15iterator_traitsISF_E10value_typeEPNSL_ISG_E10value_typeEPSH_NS1_7vsmem_tEENKUlT_SF_SG_SH_E_clIS9_S9_SA_SA_EESE_SU_SF_SG_SH_EUlSU_E_NS1_11comp_targetILNS1_3genE10ELNS1_11target_archE1201ELNS1_3gpuE5ELNS1_3repE0EEENS1_48merge_mergepath_partition_config_static_selectorELNS0_4arch9wavefront6targetE0EEEvSG_,@function
_ZN7rocprim17ROCPRIM_400000_NS6detail17trampoline_kernelINS0_14default_configENS1_38merge_sort_block_merge_config_selectorI12hip_bfloat16NS0_10empty_typeEEEZZNS1_27merge_sort_block_merge_implIS3_PS5_PS6_jNS1_19radix_merge_compareILb0ELb0ES5_NS0_19identity_decomposerEEEEE10hipError_tT0_T1_T2_jT3_P12ihipStream_tbPNSt15iterator_traitsISF_E10value_typeEPNSL_ISG_E10value_typeEPSH_NS1_7vsmem_tEENKUlT_SF_SG_SH_E_clIS9_S9_SA_SA_EESE_SU_SF_SG_SH_EUlSU_E_NS1_11comp_targetILNS1_3genE10ELNS1_11target_archE1201ELNS1_3gpuE5ELNS1_3repE0EEENS1_48merge_mergepath_partition_config_static_selectorELNS0_4arch9wavefront6targetE0EEEvSG_: ; @_ZN7rocprim17ROCPRIM_400000_NS6detail17trampoline_kernelINS0_14default_configENS1_38merge_sort_block_merge_config_selectorI12hip_bfloat16NS0_10empty_typeEEEZZNS1_27merge_sort_block_merge_implIS3_PS5_PS6_jNS1_19radix_merge_compareILb0ELb0ES5_NS0_19identity_decomposerEEEEE10hipError_tT0_T1_T2_jT3_P12ihipStream_tbPNSt15iterator_traitsISF_E10value_typeEPNSL_ISG_E10value_typeEPSH_NS1_7vsmem_tEENKUlT_SF_SG_SH_E_clIS9_S9_SA_SA_EESE_SU_SF_SG_SH_EUlSU_E_NS1_11comp_targetILNS1_3genE10ELNS1_11target_archE1201ELNS1_3gpuE5ELNS1_3repE0EEENS1_48merge_mergepath_partition_config_static_selectorELNS0_4arch9wavefront6targetE0EEEvSG_
; %bb.0:
	.section	.rodata,"a",@progbits
	.p2align	6, 0x0
	.amdhsa_kernel _ZN7rocprim17ROCPRIM_400000_NS6detail17trampoline_kernelINS0_14default_configENS1_38merge_sort_block_merge_config_selectorI12hip_bfloat16NS0_10empty_typeEEEZZNS1_27merge_sort_block_merge_implIS3_PS5_PS6_jNS1_19radix_merge_compareILb0ELb0ES5_NS0_19identity_decomposerEEEEE10hipError_tT0_T1_T2_jT3_P12ihipStream_tbPNSt15iterator_traitsISF_E10value_typeEPNSL_ISG_E10value_typeEPSH_NS1_7vsmem_tEENKUlT_SF_SG_SH_E_clIS9_S9_SA_SA_EESE_SU_SF_SG_SH_EUlSU_E_NS1_11comp_targetILNS1_3genE10ELNS1_11target_archE1201ELNS1_3gpuE5ELNS1_3repE0EEENS1_48merge_mergepath_partition_config_static_selectorELNS0_4arch9wavefront6targetE0EEEvSG_
		.amdhsa_group_segment_fixed_size 0
		.amdhsa_private_segment_fixed_size 0
		.amdhsa_kernarg_size 40
		.amdhsa_user_sgpr_count 2
		.amdhsa_user_sgpr_dispatch_ptr 0
		.amdhsa_user_sgpr_queue_ptr 0
		.amdhsa_user_sgpr_kernarg_segment_ptr 1
		.amdhsa_user_sgpr_dispatch_id 0
		.amdhsa_user_sgpr_kernarg_preload_length 0
		.amdhsa_user_sgpr_kernarg_preload_offset 0
		.amdhsa_user_sgpr_private_segment_size 0
		.amdhsa_wavefront_size32 1
		.amdhsa_uses_dynamic_stack 0
		.amdhsa_enable_private_segment 0
		.amdhsa_system_sgpr_workgroup_id_x 1
		.amdhsa_system_sgpr_workgroup_id_y 0
		.amdhsa_system_sgpr_workgroup_id_z 0
		.amdhsa_system_sgpr_workgroup_info 0
		.amdhsa_system_vgpr_workitem_id 0
		.amdhsa_next_free_vgpr 1
		.amdhsa_next_free_sgpr 1
		.amdhsa_named_barrier_count 0
		.amdhsa_reserve_vcc 0
		.amdhsa_float_round_mode_32 0
		.amdhsa_float_round_mode_16_64 0
		.amdhsa_float_denorm_mode_32 3
		.amdhsa_float_denorm_mode_16_64 3
		.amdhsa_fp16_overflow 0
		.amdhsa_memory_ordered 1
		.amdhsa_forward_progress 1
		.amdhsa_inst_pref_size 0
		.amdhsa_round_robin_scheduling 0
		.amdhsa_exception_fp_ieee_invalid_op 0
		.amdhsa_exception_fp_denorm_src 0
		.amdhsa_exception_fp_ieee_div_zero 0
		.amdhsa_exception_fp_ieee_overflow 0
		.amdhsa_exception_fp_ieee_underflow 0
		.amdhsa_exception_fp_ieee_inexact 0
		.amdhsa_exception_int_div_zero 0
	.end_amdhsa_kernel
	.section	.text._ZN7rocprim17ROCPRIM_400000_NS6detail17trampoline_kernelINS0_14default_configENS1_38merge_sort_block_merge_config_selectorI12hip_bfloat16NS0_10empty_typeEEEZZNS1_27merge_sort_block_merge_implIS3_PS5_PS6_jNS1_19radix_merge_compareILb0ELb0ES5_NS0_19identity_decomposerEEEEE10hipError_tT0_T1_T2_jT3_P12ihipStream_tbPNSt15iterator_traitsISF_E10value_typeEPNSL_ISG_E10value_typeEPSH_NS1_7vsmem_tEENKUlT_SF_SG_SH_E_clIS9_S9_SA_SA_EESE_SU_SF_SG_SH_EUlSU_E_NS1_11comp_targetILNS1_3genE10ELNS1_11target_archE1201ELNS1_3gpuE5ELNS1_3repE0EEENS1_48merge_mergepath_partition_config_static_selectorELNS0_4arch9wavefront6targetE0EEEvSG_,"axG",@progbits,_ZN7rocprim17ROCPRIM_400000_NS6detail17trampoline_kernelINS0_14default_configENS1_38merge_sort_block_merge_config_selectorI12hip_bfloat16NS0_10empty_typeEEEZZNS1_27merge_sort_block_merge_implIS3_PS5_PS6_jNS1_19radix_merge_compareILb0ELb0ES5_NS0_19identity_decomposerEEEEE10hipError_tT0_T1_T2_jT3_P12ihipStream_tbPNSt15iterator_traitsISF_E10value_typeEPNSL_ISG_E10value_typeEPSH_NS1_7vsmem_tEENKUlT_SF_SG_SH_E_clIS9_S9_SA_SA_EESE_SU_SF_SG_SH_EUlSU_E_NS1_11comp_targetILNS1_3genE10ELNS1_11target_archE1201ELNS1_3gpuE5ELNS1_3repE0EEENS1_48merge_mergepath_partition_config_static_selectorELNS0_4arch9wavefront6targetE0EEEvSG_,comdat
.Lfunc_end2010:
	.size	_ZN7rocprim17ROCPRIM_400000_NS6detail17trampoline_kernelINS0_14default_configENS1_38merge_sort_block_merge_config_selectorI12hip_bfloat16NS0_10empty_typeEEEZZNS1_27merge_sort_block_merge_implIS3_PS5_PS6_jNS1_19radix_merge_compareILb0ELb0ES5_NS0_19identity_decomposerEEEEE10hipError_tT0_T1_T2_jT3_P12ihipStream_tbPNSt15iterator_traitsISF_E10value_typeEPNSL_ISG_E10value_typeEPSH_NS1_7vsmem_tEENKUlT_SF_SG_SH_E_clIS9_S9_SA_SA_EESE_SU_SF_SG_SH_EUlSU_E_NS1_11comp_targetILNS1_3genE10ELNS1_11target_archE1201ELNS1_3gpuE5ELNS1_3repE0EEENS1_48merge_mergepath_partition_config_static_selectorELNS0_4arch9wavefront6targetE0EEEvSG_, .Lfunc_end2010-_ZN7rocprim17ROCPRIM_400000_NS6detail17trampoline_kernelINS0_14default_configENS1_38merge_sort_block_merge_config_selectorI12hip_bfloat16NS0_10empty_typeEEEZZNS1_27merge_sort_block_merge_implIS3_PS5_PS6_jNS1_19radix_merge_compareILb0ELb0ES5_NS0_19identity_decomposerEEEEE10hipError_tT0_T1_T2_jT3_P12ihipStream_tbPNSt15iterator_traitsISF_E10value_typeEPNSL_ISG_E10value_typeEPSH_NS1_7vsmem_tEENKUlT_SF_SG_SH_E_clIS9_S9_SA_SA_EESE_SU_SF_SG_SH_EUlSU_E_NS1_11comp_targetILNS1_3genE10ELNS1_11target_archE1201ELNS1_3gpuE5ELNS1_3repE0EEENS1_48merge_mergepath_partition_config_static_selectorELNS0_4arch9wavefront6targetE0EEEvSG_
                                        ; -- End function
	.set _ZN7rocprim17ROCPRIM_400000_NS6detail17trampoline_kernelINS0_14default_configENS1_38merge_sort_block_merge_config_selectorI12hip_bfloat16NS0_10empty_typeEEEZZNS1_27merge_sort_block_merge_implIS3_PS5_PS6_jNS1_19radix_merge_compareILb0ELb0ES5_NS0_19identity_decomposerEEEEE10hipError_tT0_T1_T2_jT3_P12ihipStream_tbPNSt15iterator_traitsISF_E10value_typeEPNSL_ISG_E10value_typeEPSH_NS1_7vsmem_tEENKUlT_SF_SG_SH_E_clIS9_S9_SA_SA_EESE_SU_SF_SG_SH_EUlSU_E_NS1_11comp_targetILNS1_3genE10ELNS1_11target_archE1201ELNS1_3gpuE5ELNS1_3repE0EEENS1_48merge_mergepath_partition_config_static_selectorELNS0_4arch9wavefront6targetE0EEEvSG_.num_vgpr, 0
	.set _ZN7rocprim17ROCPRIM_400000_NS6detail17trampoline_kernelINS0_14default_configENS1_38merge_sort_block_merge_config_selectorI12hip_bfloat16NS0_10empty_typeEEEZZNS1_27merge_sort_block_merge_implIS3_PS5_PS6_jNS1_19radix_merge_compareILb0ELb0ES5_NS0_19identity_decomposerEEEEE10hipError_tT0_T1_T2_jT3_P12ihipStream_tbPNSt15iterator_traitsISF_E10value_typeEPNSL_ISG_E10value_typeEPSH_NS1_7vsmem_tEENKUlT_SF_SG_SH_E_clIS9_S9_SA_SA_EESE_SU_SF_SG_SH_EUlSU_E_NS1_11comp_targetILNS1_3genE10ELNS1_11target_archE1201ELNS1_3gpuE5ELNS1_3repE0EEENS1_48merge_mergepath_partition_config_static_selectorELNS0_4arch9wavefront6targetE0EEEvSG_.num_agpr, 0
	.set _ZN7rocprim17ROCPRIM_400000_NS6detail17trampoline_kernelINS0_14default_configENS1_38merge_sort_block_merge_config_selectorI12hip_bfloat16NS0_10empty_typeEEEZZNS1_27merge_sort_block_merge_implIS3_PS5_PS6_jNS1_19radix_merge_compareILb0ELb0ES5_NS0_19identity_decomposerEEEEE10hipError_tT0_T1_T2_jT3_P12ihipStream_tbPNSt15iterator_traitsISF_E10value_typeEPNSL_ISG_E10value_typeEPSH_NS1_7vsmem_tEENKUlT_SF_SG_SH_E_clIS9_S9_SA_SA_EESE_SU_SF_SG_SH_EUlSU_E_NS1_11comp_targetILNS1_3genE10ELNS1_11target_archE1201ELNS1_3gpuE5ELNS1_3repE0EEENS1_48merge_mergepath_partition_config_static_selectorELNS0_4arch9wavefront6targetE0EEEvSG_.numbered_sgpr, 0
	.set _ZN7rocprim17ROCPRIM_400000_NS6detail17trampoline_kernelINS0_14default_configENS1_38merge_sort_block_merge_config_selectorI12hip_bfloat16NS0_10empty_typeEEEZZNS1_27merge_sort_block_merge_implIS3_PS5_PS6_jNS1_19radix_merge_compareILb0ELb0ES5_NS0_19identity_decomposerEEEEE10hipError_tT0_T1_T2_jT3_P12ihipStream_tbPNSt15iterator_traitsISF_E10value_typeEPNSL_ISG_E10value_typeEPSH_NS1_7vsmem_tEENKUlT_SF_SG_SH_E_clIS9_S9_SA_SA_EESE_SU_SF_SG_SH_EUlSU_E_NS1_11comp_targetILNS1_3genE10ELNS1_11target_archE1201ELNS1_3gpuE5ELNS1_3repE0EEENS1_48merge_mergepath_partition_config_static_selectorELNS0_4arch9wavefront6targetE0EEEvSG_.num_named_barrier, 0
	.set _ZN7rocprim17ROCPRIM_400000_NS6detail17trampoline_kernelINS0_14default_configENS1_38merge_sort_block_merge_config_selectorI12hip_bfloat16NS0_10empty_typeEEEZZNS1_27merge_sort_block_merge_implIS3_PS5_PS6_jNS1_19radix_merge_compareILb0ELb0ES5_NS0_19identity_decomposerEEEEE10hipError_tT0_T1_T2_jT3_P12ihipStream_tbPNSt15iterator_traitsISF_E10value_typeEPNSL_ISG_E10value_typeEPSH_NS1_7vsmem_tEENKUlT_SF_SG_SH_E_clIS9_S9_SA_SA_EESE_SU_SF_SG_SH_EUlSU_E_NS1_11comp_targetILNS1_3genE10ELNS1_11target_archE1201ELNS1_3gpuE5ELNS1_3repE0EEENS1_48merge_mergepath_partition_config_static_selectorELNS0_4arch9wavefront6targetE0EEEvSG_.private_seg_size, 0
	.set _ZN7rocprim17ROCPRIM_400000_NS6detail17trampoline_kernelINS0_14default_configENS1_38merge_sort_block_merge_config_selectorI12hip_bfloat16NS0_10empty_typeEEEZZNS1_27merge_sort_block_merge_implIS3_PS5_PS6_jNS1_19radix_merge_compareILb0ELb0ES5_NS0_19identity_decomposerEEEEE10hipError_tT0_T1_T2_jT3_P12ihipStream_tbPNSt15iterator_traitsISF_E10value_typeEPNSL_ISG_E10value_typeEPSH_NS1_7vsmem_tEENKUlT_SF_SG_SH_E_clIS9_S9_SA_SA_EESE_SU_SF_SG_SH_EUlSU_E_NS1_11comp_targetILNS1_3genE10ELNS1_11target_archE1201ELNS1_3gpuE5ELNS1_3repE0EEENS1_48merge_mergepath_partition_config_static_selectorELNS0_4arch9wavefront6targetE0EEEvSG_.uses_vcc, 0
	.set _ZN7rocprim17ROCPRIM_400000_NS6detail17trampoline_kernelINS0_14default_configENS1_38merge_sort_block_merge_config_selectorI12hip_bfloat16NS0_10empty_typeEEEZZNS1_27merge_sort_block_merge_implIS3_PS5_PS6_jNS1_19radix_merge_compareILb0ELb0ES5_NS0_19identity_decomposerEEEEE10hipError_tT0_T1_T2_jT3_P12ihipStream_tbPNSt15iterator_traitsISF_E10value_typeEPNSL_ISG_E10value_typeEPSH_NS1_7vsmem_tEENKUlT_SF_SG_SH_E_clIS9_S9_SA_SA_EESE_SU_SF_SG_SH_EUlSU_E_NS1_11comp_targetILNS1_3genE10ELNS1_11target_archE1201ELNS1_3gpuE5ELNS1_3repE0EEENS1_48merge_mergepath_partition_config_static_selectorELNS0_4arch9wavefront6targetE0EEEvSG_.uses_flat_scratch, 0
	.set _ZN7rocprim17ROCPRIM_400000_NS6detail17trampoline_kernelINS0_14default_configENS1_38merge_sort_block_merge_config_selectorI12hip_bfloat16NS0_10empty_typeEEEZZNS1_27merge_sort_block_merge_implIS3_PS5_PS6_jNS1_19radix_merge_compareILb0ELb0ES5_NS0_19identity_decomposerEEEEE10hipError_tT0_T1_T2_jT3_P12ihipStream_tbPNSt15iterator_traitsISF_E10value_typeEPNSL_ISG_E10value_typeEPSH_NS1_7vsmem_tEENKUlT_SF_SG_SH_E_clIS9_S9_SA_SA_EESE_SU_SF_SG_SH_EUlSU_E_NS1_11comp_targetILNS1_3genE10ELNS1_11target_archE1201ELNS1_3gpuE5ELNS1_3repE0EEENS1_48merge_mergepath_partition_config_static_selectorELNS0_4arch9wavefront6targetE0EEEvSG_.has_dyn_sized_stack, 0
	.set _ZN7rocprim17ROCPRIM_400000_NS6detail17trampoline_kernelINS0_14default_configENS1_38merge_sort_block_merge_config_selectorI12hip_bfloat16NS0_10empty_typeEEEZZNS1_27merge_sort_block_merge_implIS3_PS5_PS6_jNS1_19radix_merge_compareILb0ELb0ES5_NS0_19identity_decomposerEEEEE10hipError_tT0_T1_T2_jT3_P12ihipStream_tbPNSt15iterator_traitsISF_E10value_typeEPNSL_ISG_E10value_typeEPSH_NS1_7vsmem_tEENKUlT_SF_SG_SH_E_clIS9_S9_SA_SA_EESE_SU_SF_SG_SH_EUlSU_E_NS1_11comp_targetILNS1_3genE10ELNS1_11target_archE1201ELNS1_3gpuE5ELNS1_3repE0EEENS1_48merge_mergepath_partition_config_static_selectorELNS0_4arch9wavefront6targetE0EEEvSG_.has_recursion, 0
	.set _ZN7rocprim17ROCPRIM_400000_NS6detail17trampoline_kernelINS0_14default_configENS1_38merge_sort_block_merge_config_selectorI12hip_bfloat16NS0_10empty_typeEEEZZNS1_27merge_sort_block_merge_implIS3_PS5_PS6_jNS1_19radix_merge_compareILb0ELb0ES5_NS0_19identity_decomposerEEEEE10hipError_tT0_T1_T2_jT3_P12ihipStream_tbPNSt15iterator_traitsISF_E10value_typeEPNSL_ISG_E10value_typeEPSH_NS1_7vsmem_tEENKUlT_SF_SG_SH_E_clIS9_S9_SA_SA_EESE_SU_SF_SG_SH_EUlSU_E_NS1_11comp_targetILNS1_3genE10ELNS1_11target_archE1201ELNS1_3gpuE5ELNS1_3repE0EEENS1_48merge_mergepath_partition_config_static_selectorELNS0_4arch9wavefront6targetE0EEEvSG_.has_indirect_call, 0
	.section	.AMDGPU.csdata,"",@progbits
; Kernel info:
; codeLenInByte = 0
; TotalNumSgprs: 0
; NumVgprs: 0
; ScratchSize: 0
; MemoryBound: 0
; FloatMode: 240
; IeeeMode: 1
; LDSByteSize: 0 bytes/workgroup (compile time only)
; SGPRBlocks: 0
; VGPRBlocks: 0
; NumSGPRsForWavesPerEU: 1
; NumVGPRsForWavesPerEU: 1
; NamedBarCnt: 0
; Occupancy: 16
; WaveLimiterHint : 0
; COMPUTE_PGM_RSRC2:SCRATCH_EN: 0
; COMPUTE_PGM_RSRC2:USER_SGPR: 2
; COMPUTE_PGM_RSRC2:TRAP_HANDLER: 0
; COMPUTE_PGM_RSRC2:TGID_X_EN: 1
; COMPUTE_PGM_RSRC2:TGID_Y_EN: 0
; COMPUTE_PGM_RSRC2:TGID_Z_EN: 0
; COMPUTE_PGM_RSRC2:TIDIG_COMP_CNT: 0
	.section	.text._ZN7rocprim17ROCPRIM_400000_NS6detail17trampoline_kernelINS0_14default_configENS1_38merge_sort_block_merge_config_selectorI12hip_bfloat16NS0_10empty_typeEEEZZNS1_27merge_sort_block_merge_implIS3_PS5_PS6_jNS1_19radix_merge_compareILb0ELb0ES5_NS0_19identity_decomposerEEEEE10hipError_tT0_T1_T2_jT3_P12ihipStream_tbPNSt15iterator_traitsISF_E10value_typeEPNSL_ISG_E10value_typeEPSH_NS1_7vsmem_tEENKUlT_SF_SG_SH_E_clIS9_S9_SA_SA_EESE_SU_SF_SG_SH_EUlSU_E_NS1_11comp_targetILNS1_3genE5ELNS1_11target_archE942ELNS1_3gpuE9ELNS1_3repE0EEENS1_48merge_mergepath_partition_config_static_selectorELNS0_4arch9wavefront6targetE0EEEvSG_,"axG",@progbits,_ZN7rocprim17ROCPRIM_400000_NS6detail17trampoline_kernelINS0_14default_configENS1_38merge_sort_block_merge_config_selectorI12hip_bfloat16NS0_10empty_typeEEEZZNS1_27merge_sort_block_merge_implIS3_PS5_PS6_jNS1_19radix_merge_compareILb0ELb0ES5_NS0_19identity_decomposerEEEEE10hipError_tT0_T1_T2_jT3_P12ihipStream_tbPNSt15iterator_traitsISF_E10value_typeEPNSL_ISG_E10value_typeEPSH_NS1_7vsmem_tEENKUlT_SF_SG_SH_E_clIS9_S9_SA_SA_EESE_SU_SF_SG_SH_EUlSU_E_NS1_11comp_targetILNS1_3genE5ELNS1_11target_archE942ELNS1_3gpuE9ELNS1_3repE0EEENS1_48merge_mergepath_partition_config_static_selectorELNS0_4arch9wavefront6targetE0EEEvSG_,comdat
	.protected	_ZN7rocprim17ROCPRIM_400000_NS6detail17trampoline_kernelINS0_14default_configENS1_38merge_sort_block_merge_config_selectorI12hip_bfloat16NS0_10empty_typeEEEZZNS1_27merge_sort_block_merge_implIS3_PS5_PS6_jNS1_19radix_merge_compareILb0ELb0ES5_NS0_19identity_decomposerEEEEE10hipError_tT0_T1_T2_jT3_P12ihipStream_tbPNSt15iterator_traitsISF_E10value_typeEPNSL_ISG_E10value_typeEPSH_NS1_7vsmem_tEENKUlT_SF_SG_SH_E_clIS9_S9_SA_SA_EESE_SU_SF_SG_SH_EUlSU_E_NS1_11comp_targetILNS1_3genE5ELNS1_11target_archE942ELNS1_3gpuE9ELNS1_3repE0EEENS1_48merge_mergepath_partition_config_static_selectorELNS0_4arch9wavefront6targetE0EEEvSG_ ; -- Begin function _ZN7rocprim17ROCPRIM_400000_NS6detail17trampoline_kernelINS0_14default_configENS1_38merge_sort_block_merge_config_selectorI12hip_bfloat16NS0_10empty_typeEEEZZNS1_27merge_sort_block_merge_implIS3_PS5_PS6_jNS1_19radix_merge_compareILb0ELb0ES5_NS0_19identity_decomposerEEEEE10hipError_tT0_T1_T2_jT3_P12ihipStream_tbPNSt15iterator_traitsISF_E10value_typeEPNSL_ISG_E10value_typeEPSH_NS1_7vsmem_tEENKUlT_SF_SG_SH_E_clIS9_S9_SA_SA_EESE_SU_SF_SG_SH_EUlSU_E_NS1_11comp_targetILNS1_3genE5ELNS1_11target_archE942ELNS1_3gpuE9ELNS1_3repE0EEENS1_48merge_mergepath_partition_config_static_selectorELNS0_4arch9wavefront6targetE0EEEvSG_
	.globl	_ZN7rocprim17ROCPRIM_400000_NS6detail17trampoline_kernelINS0_14default_configENS1_38merge_sort_block_merge_config_selectorI12hip_bfloat16NS0_10empty_typeEEEZZNS1_27merge_sort_block_merge_implIS3_PS5_PS6_jNS1_19radix_merge_compareILb0ELb0ES5_NS0_19identity_decomposerEEEEE10hipError_tT0_T1_T2_jT3_P12ihipStream_tbPNSt15iterator_traitsISF_E10value_typeEPNSL_ISG_E10value_typeEPSH_NS1_7vsmem_tEENKUlT_SF_SG_SH_E_clIS9_S9_SA_SA_EESE_SU_SF_SG_SH_EUlSU_E_NS1_11comp_targetILNS1_3genE5ELNS1_11target_archE942ELNS1_3gpuE9ELNS1_3repE0EEENS1_48merge_mergepath_partition_config_static_selectorELNS0_4arch9wavefront6targetE0EEEvSG_
	.p2align	8
	.type	_ZN7rocprim17ROCPRIM_400000_NS6detail17trampoline_kernelINS0_14default_configENS1_38merge_sort_block_merge_config_selectorI12hip_bfloat16NS0_10empty_typeEEEZZNS1_27merge_sort_block_merge_implIS3_PS5_PS6_jNS1_19radix_merge_compareILb0ELb0ES5_NS0_19identity_decomposerEEEEE10hipError_tT0_T1_T2_jT3_P12ihipStream_tbPNSt15iterator_traitsISF_E10value_typeEPNSL_ISG_E10value_typeEPSH_NS1_7vsmem_tEENKUlT_SF_SG_SH_E_clIS9_S9_SA_SA_EESE_SU_SF_SG_SH_EUlSU_E_NS1_11comp_targetILNS1_3genE5ELNS1_11target_archE942ELNS1_3gpuE9ELNS1_3repE0EEENS1_48merge_mergepath_partition_config_static_selectorELNS0_4arch9wavefront6targetE0EEEvSG_,@function
_ZN7rocprim17ROCPRIM_400000_NS6detail17trampoline_kernelINS0_14default_configENS1_38merge_sort_block_merge_config_selectorI12hip_bfloat16NS0_10empty_typeEEEZZNS1_27merge_sort_block_merge_implIS3_PS5_PS6_jNS1_19radix_merge_compareILb0ELb0ES5_NS0_19identity_decomposerEEEEE10hipError_tT0_T1_T2_jT3_P12ihipStream_tbPNSt15iterator_traitsISF_E10value_typeEPNSL_ISG_E10value_typeEPSH_NS1_7vsmem_tEENKUlT_SF_SG_SH_E_clIS9_S9_SA_SA_EESE_SU_SF_SG_SH_EUlSU_E_NS1_11comp_targetILNS1_3genE5ELNS1_11target_archE942ELNS1_3gpuE9ELNS1_3repE0EEENS1_48merge_mergepath_partition_config_static_selectorELNS0_4arch9wavefront6targetE0EEEvSG_: ; @_ZN7rocprim17ROCPRIM_400000_NS6detail17trampoline_kernelINS0_14default_configENS1_38merge_sort_block_merge_config_selectorI12hip_bfloat16NS0_10empty_typeEEEZZNS1_27merge_sort_block_merge_implIS3_PS5_PS6_jNS1_19radix_merge_compareILb0ELb0ES5_NS0_19identity_decomposerEEEEE10hipError_tT0_T1_T2_jT3_P12ihipStream_tbPNSt15iterator_traitsISF_E10value_typeEPNSL_ISG_E10value_typeEPSH_NS1_7vsmem_tEENKUlT_SF_SG_SH_E_clIS9_S9_SA_SA_EESE_SU_SF_SG_SH_EUlSU_E_NS1_11comp_targetILNS1_3genE5ELNS1_11target_archE942ELNS1_3gpuE9ELNS1_3repE0EEENS1_48merge_mergepath_partition_config_static_selectorELNS0_4arch9wavefront6targetE0EEEvSG_
; %bb.0:
	.section	.rodata,"a",@progbits
	.p2align	6, 0x0
	.amdhsa_kernel _ZN7rocprim17ROCPRIM_400000_NS6detail17trampoline_kernelINS0_14default_configENS1_38merge_sort_block_merge_config_selectorI12hip_bfloat16NS0_10empty_typeEEEZZNS1_27merge_sort_block_merge_implIS3_PS5_PS6_jNS1_19radix_merge_compareILb0ELb0ES5_NS0_19identity_decomposerEEEEE10hipError_tT0_T1_T2_jT3_P12ihipStream_tbPNSt15iterator_traitsISF_E10value_typeEPNSL_ISG_E10value_typeEPSH_NS1_7vsmem_tEENKUlT_SF_SG_SH_E_clIS9_S9_SA_SA_EESE_SU_SF_SG_SH_EUlSU_E_NS1_11comp_targetILNS1_3genE5ELNS1_11target_archE942ELNS1_3gpuE9ELNS1_3repE0EEENS1_48merge_mergepath_partition_config_static_selectorELNS0_4arch9wavefront6targetE0EEEvSG_
		.amdhsa_group_segment_fixed_size 0
		.amdhsa_private_segment_fixed_size 0
		.amdhsa_kernarg_size 40
		.amdhsa_user_sgpr_count 2
		.amdhsa_user_sgpr_dispatch_ptr 0
		.amdhsa_user_sgpr_queue_ptr 0
		.amdhsa_user_sgpr_kernarg_segment_ptr 1
		.amdhsa_user_sgpr_dispatch_id 0
		.amdhsa_user_sgpr_kernarg_preload_length 0
		.amdhsa_user_sgpr_kernarg_preload_offset 0
		.amdhsa_user_sgpr_private_segment_size 0
		.amdhsa_wavefront_size32 1
		.amdhsa_uses_dynamic_stack 0
		.amdhsa_enable_private_segment 0
		.amdhsa_system_sgpr_workgroup_id_x 1
		.amdhsa_system_sgpr_workgroup_id_y 0
		.amdhsa_system_sgpr_workgroup_id_z 0
		.amdhsa_system_sgpr_workgroup_info 0
		.amdhsa_system_vgpr_workitem_id 0
		.amdhsa_next_free_vgpr 1
		.amdhsa_next_free_sgpr 1
		.amdhsa_named_barrier_count 0
		.amdhsa_reserve_vcc 0
		.amdhsa_float_round_mode_32 0
		.amdhsa_float_round_mode_16_64 0
		.amdhsa_float_denorm_mode_32 3
		.amdhsa_float_denorm_mode_16_64 3
		.amdhsa_fp16_overflow 0
		.amdhsa_memory_ordered 1
		.amdhsa_forward_progress 1
		.amdhsa_inst_pref_size 0
		.amdhsa_round_robin_scheduling 0
		.amdhsa_exception_fp_ieee_invalid_op 0
		.amdhsa_exception_fp_denorm_src 0
		.amdhsa_exception_fp_ieee_div_zero 0
		.amdhsa_exception_fp_ieee_overflow 0
		.amdhsa_exception_fp_ieee_underflow 0
		.amdhsa_exception_fp_ieee_inexact 0
		.amdhsa_exception_int_div_zero 0
	.end_amdhsa_kernel
	.section	.text._ZN7rocprim17ROCPRIM_400000_NS6detail17trampoline_kernelINS0_14default_configENS1_38merge_sort_block_merge_config_selectorI12hip_bfloat16NS0_10empty_typeEEEZZNS1_27merge_sort_block_merge_implIS3_PS5_PS6_jNS1_19radix_merge_compareILb0ELb0ES5_NS0_19identity_decomposerEEEEE10hipError_tT0_T1_T2_jT3_P12ihipStream_tbPNSt15iterator_traitsISF_E10value_typeEPNSL_ISG_E10value_typeEPSH_NS1_7vsmem_tEENKUlT_SF_SG_SH_E_clIS9_S9_SA_SA_EESE_SU_SF_SG_SH_EUlSU_E_NS1_11comp_targetILNS1_3genE5ELNS1_11target_archE942ELNS1_3gpuE9ELNS1_3repE0EEENS1_48merge_mergepath_partition_config_static_selectorELNS0_4arch9wavefront6targetE0EEEvSG_,"axG",@progbits,_ZN7rocprim17ROCPRIM_400000_NS6detail17trampoline_kernelINS0_14default_configENS1_38merge_sort_block_merge_config_selectorI12hip_bfloat16NS0_10empty_typeEEEZZNS1_27merge_sort_block_merge_implIS3_PS5_PS6_jNS1_19radix_merge_compareILb0ELb0ES5_NS0_19identity_decomposerEEEEE10hipError_tT0_T1_T2_jT3_P12ihipStream_tbPNSt15iterator_traitsISF_E10value_typeEPNSL_ISG_E10value_typeEPSH_NS1_7vsmem_tEENKUlT_SF_SG_SH_E_clIS9_S9_SA_SA_EESE_SU_SF_SG_SH_EUlSU_E_NS1_11comp_targetILNS1_3genE5ELNS1_11target_archE942ELNS1_3gpuE9ELNS1_3repE0EEENS1_48merge_mergepath_partition_config_static_selectorELNS0_4arch9wavefront6targetE0EEEvSG_,comdat
.Lfunc_end2011:
	.size	_ZN7rocprim17ROCPRIM_400000_NS6detail17trampoline_kernelINS0_14default_configENS1_38merge_sort_block_merge_config_selectorI12hip_bfloat16NS0_10empty_typeEEEZZNS1_27merge_sort_block_merge_implIS3_PS5_PS6_jNS1_19radix_merge_compareILb0ELb0ES5_NS0_19identity_decomposerEEEEE10hipError_tT0_T1_T2_jT3_P12ihipStream_tbPNSt15iterator_traitsISF_E10value_typeEPNSL_ISG_E10value_typeEPSH_NS1_7vsmem_tEENKUlT_SF_SG_SH_E_clIS9_S9_SA_SA_EESE_SU_SF_SG_SH_EUlSU_E_NS1_11comp_targetILNS1_3genE5ELNS1_11target_archE942ELNS1_3gpuE9ELNS1_3repE0EEENS1_48merge_mergepath_partition_config_static_selectorELNS0_4arch9wavefront6targetE0EEEvSG_, .Lfunc_end2011-_ZN7rocprim17ROCPRIM_400000_NS6detail17trampoline_kernelINS0_14default_configENS1_38merge_sort_block_merge_config_selectorI12hip_bfloat16NS0_10empty_typeEEEZZNS1_27merge_sort_block_merge_implIS3_PS5_PS6_jNS1_19radix_merge_compareILb0ELb0ES5_NS0_19identity_decomposerEEEEE10hipError_tT0_T1_T2_jT3_P12ihipStream_tbPNSt15iterator_traitsISF_E10value_typeEPNSL_ISG_E10value_typeEPSH_NS1_7vsmem_tEENKUlT_SF_SG_SH_E_clIS9_S9_SA_SA_EESE_SU_SF_SG_SH_EUlSU_E_NS1_11comp_targetILNS1_3genE5ELNS1_11target_archE942ELNS1_3gpuE9ELNS1_3repE0EEENS1_48merge_mergepath_partition_config_static_selectorELNS0_4arch9wavefront6targetE0EEEvSG_
                                        ; -- End function
	.set _ZN7rocprim17ROCPRIM_400000_NS6detail17trampoline_kernelINS0_14default_configENS1_38merge_sort_block_merge_config_selectorI12hip_bfloat16NS0_10empty_typeEEEZZNS1_27merge_sort_block_merge_implIS3_PS5_PS6_jNS1_19radix_merge_compareILb0ELb0ES5_NS0_19identity_decomposerEEEEE10hipError_tT0_T1_T2_jT3_P12ihipStream_tbPNSt15iterator_traitsISF_E10value_typeEPNSL_ISG_E10value_typeEPSH_NS1_7vsmem_tEENKUlT_SF_SG_SH_E_clIS9_S9_SA_SA_EESE_SU_SF_SG_SH_EUlSU_E_NS1_11comp_targetILNS1_3genE5ELNS1_11target_archE942ELNS1_3gpuE9ELNS1_3repE0EEENS1_48merge_mergepath_partition_config_static_selectorELNS0_4arch9wavefront6targetE0EEEvSG_.num_vgpr, 0
	.set _ZN7rocprim17ROCPRIM_400000_NS6detail17trampoline_kernelINS0_14default_configENS1_38merge_sort_block_merge_config_selectorI12hip_bfloat16NS0_10empty_typeEEEZZNS1_27merge_sort_block_merge_implIS3_PS5_PS6_jNS1_19radix_merge_compareILb0ELb0ES5_NS0_19identity_decomposerEEEEE10hipError_tT0_T1_T2_jT3_P12ihipStream_tbPNSt15iterator_traitsISF_E10value_typeEPNSL_ISG_E10value_typeEPSH_NS1_7vsmem_tEENKUlT_SF_SG_SH_E_clIS9_S9_SA_SA_EESE_SU_SF_SG_SH_EUlSU_E_NS1_11comp_targetILNS1_3genE5ELNS1_11target_archE942ELNS1_3gpuE9ELNS1_3repE0EEENS1_48merge_mergepath_partition_config_static_selectorELNS0_4arch9wavefront6targetE0EEEvSG_.num_agpr, 0
	.set _ZN7rocprim17ROCPRIM_400000_NS6detail17trampoline_kernelINS0_14default_configENS1_38merge_sort_block_merge_config_selectorI12hip_bfloat16NS0_10empty_typeEEEZZNS1_27merge_sort_block_merge_implIS3_PS5_PS6_jNS1_19radix_merge_compareILb0ELb0ES5_NS0_19identity_decomposerEEEEE10hipError_tT0_T1_T2_jT3_P12ihipStream_tbPNSt15iterator_traitsISF_E10value_typeEPNSL_ISG_E10value_typeEPSH_NS1_7vsmem_tEENKUlT_SF_SG_SH_E_clIS9_S9_SA_SA_EESE_SU_SF_SG_SH_EUlSU_E_NS1_11comp_targetILNS1_3genE5ELNS1_11target_archE942ELNS1_3gpuE9ELNS1_3repE0EEENS1_48merge_mergepath_partition_config_static_selectorELNS0_4arch9wavefront6targetE0EEEvSG_.numbered_sgpr, 0
	.set _ZN7rocprim17ROCPRIM_400000_NS6detail17trampoline_kernelINS0_14default_configENS1_38merge_sort_block_merge_config_selectorI12hip_bfloat16NS0_10empty_typeEEEZZNS1_27merge_sort_block_merge_implIS3_PS5_PS6_jNS1_19radix_merge_compareILb0ELb0ES5_NS0_19identity_decomposerEEEEE10hipError_tT0_T1_T2_jT3_P12ihipStream_tbPNSt15iterator_traitsISF_E10value_typeEPNSL_ISG_E10value_typeEPSH_NS1_7vsmem_tEENKUlT_SF_SG_SH_E_clIS9_S9_SA_SA_EESE_SU_SF_SG_SH_EUlSU_E_NS1_11comp_targetILNS1_3genE5ELNS1_11target_archE942ELNS1_3gpuE9ELNS1_3repE0EEENS1_48merge_mergepath_partition_config_static_selectorELNS0_4arch9wavefront6targetE0EEEvSG_.num_named_barrier, 0
	.set _ZN7rocprim17ROCPRIM_400000_NS6detail17trampoline_kernelINS0_14default_configENS1_38merge_sort_block_merge_config_selectorI12hip_bfloat16NS0_10empty_typeEEEZZNS1_27merge_sort_block_merge_implIS3_PS5_PS6_jNS1_19radix_merge_compareILb0ELb0ES5_NS0_19identity_decomposerEEEEE10hipError_tT0_T1_T2_jT3_P12ihipStream_tbPNSt15iterator_traitsISF_E10value_typeEPNSL_ISG_E10value_typeEPSH_NS1_7vsmem_tEENKUlT_SF_SG_SH_E_clIS9_S9_SA_SA_EESE_SU_SF_SG_SH_EUlSU_E_NS1_11comp_targetILNS1_3genE5ELNS1_11target_archE942ELNS1_3gpuE9ELNS1_3repE0EEENS1_48merge_mergepath_partition_config_static_selectorELNS0_4arch9wavefront6targetE0EEEvSG_.private_seg_size, 0
	.set _ZN7rocprim17ROCPRIM_400000_NS6detail17trampoline_kernelINS0_14default_configENS1_38merge_sort_block_merge_config_selectorI12hip_bfloat16NS0_10empty_typeEEEZZNS1_27merge_sort_block_merge_implIS3_PS5_PS6_jNS1_19radix_merge_compareILb0ELb0ES5_NS0_19identity_decomposerEEEEE10hipError_tT0_T1_T2_jT3_P12ihipStream_tbPNSt15iterator_traitsISF_E10value_typeEPNSL_ISG_E10value_typeEPSH_NS1_7vsmem_tEENKUlT_SF_SG_SH_E_clIS9_S9_SA_SA_EESE_SU_SF_SG_SH_EUlSU_E_NS1_11comp_targetILNS1_3genE5ELNS1_11target_archE942ELNS1_3gpuE9ELNS1_3repE0EEENS1_48merge_mergepath_partition_config_static_selectorELNS0_4arch9wavefront6targetE0EEEvSG_.uses_vcc, 0
	.set _ZN7rocprim17ROCPRIM_400000_NS6detail17trampoline_kernelINS0_14default_configENS1_38merge_sort_block_merge_config_selectorI12hip_bfloat16NS0_10empty_typeEEEZZNS1_27merge_sort_block_merge_implIS3_PS5_PS6_jNS1_19radix_merge_compareILb0ELb0ES5_NS0_19identity_decomposerEEEEE10hipError_tT0_T1_T2_jT3_P12ihipStream_tbPNSt15iterator_traitsISF_E10value_typeEPNSL_ISG_E10value_typeEPSH_NS1_7vsmem_tEENKUlT_SF_SG_SH_E_clIS9_S9_SA_SA_EESE_SU_SF_SG_SH_EUlSU_E_NS1_11comp_targetILNS1_3genE5ELNS1_11target_archE942ELNS1_3gpuE9ELNS1_3repE0EEENS1_48merge_mergepath_partition_config_static_selectorELNS0_4arch9wavefront6targetE0EEEvSG_.uses_flat_scratch, 0
	.set _ZN7rocprim17ROCPRIM_400000_NS6detail17trampoline_kernelINS0_14default_configENS1_38merge_sort_block_merge_config_selectorI12hip_bfloat16NS0_10empty_typeEEEZZNS1_27merge_sort_block_merge_implIS3_PS5_PS6_jNS1_19radix_merge_compareILb0ELb0ES5_NS0_19identity_decomposerEEEEE10hipError_tT0_T1_T2_jT3_P12ihipStream_tbPNSt15iterator_traitsISF_E10value_typeEPNSL_ISG_E10value_typeEPSH_NS1_7vsmem_tEENKUlT_SF_SG_SH_E_clIS9_S9_SA_SA_EESE_SU_SF_SG_SH_EUlSU_E_NS1_11comp_targetILNS1_3genE5ELNS1_11target_archE942ELNS1_3gpuE9ELNS1_3repE0EEENS1_48merge_mergepath_partition_config_static_selectorELNS0_4arch9wavefront6targetE0EEEvSG_.has_dyn_sized_stack, 0
	.set _ZN7rocprim17ROCPRIM_400000_NS6detail17trampoline_kernelINS0_14default_configENS1_38merge_sort_block_merge_config_selectorI12hip_bfloat16NS0_10empty_typeEEEZZNS1_27merge_sort_block_merge_implIS3_PS5_PS6_jNS1_19radix_merge_compareILb0ELb0ES5_NS0_19identity_decomposerEEEEE10hipError_tT0_T1_T2_jT3_P12ihipStream_tbPNSt15iterator_traitsISF_E10value_typeEPNSL_ISG_E10value_typeEPSH_NS1_7vsmem_tEENKUlT_SF_SG_SH_E_clIS9_S9_SA_SA_EESE_SU_SF_SG_SH_EUlSU_E_NS1_11comp_targetILNS1_3genE5ELNS1_11target_archE942ELNS1_3gpuE9ELNS1_3repE0EEENS1_48merge_mergepath_partition_config_static_selectorELNS0_4arch9wavefront6targetE0EEEvSG_.has_recursion, 0
	.set _ZN7rocprim17ROCPRIM_400000_NS6detail17trampoline_kernelINS0_14default_configENS1_38merge_sort_block_merge_config_selectorI12hip_bfloat16NS0_10empty_typeEEEZZNS1_27merge_sort_block_merge_implIS3_PS5_PS6_jNS1_19radix_merge_compareILb0ELb0ES5_NS0_19identity_decomposerEEEEE10hipError_tT0_T1_T2_jT3_P12ihipStream_tbPNSt15iterator_traitsISF_E10value_typeEPNSL_ISG_E10value_typeEPSH_NS1_7vsmem_tEENKUlT_SF_SG_SH_E_clIS9_S9_SA_SA_EESE_SU_SF_SG_SH_EUlSU_E_NS1_11comp_targetILNS1_3genE5ELNS1_11target_archE942ELNS1_3gpuE9ELNS1_3repE0EEENS1_48merge_mergepath_partition_config_static_selectorELNS0_4arch9wavefront6targetE0EEEvSG_.has_indirect_call, 0
	.section	.AMDGPU.csdata,"",@progbits
; Kernel info:
; codeLenInByte = 0
; TotalNumSgprs: 0
; NumVgprs: 0
; ScratchSize: 0
; MemoryBound: 0
; FloatMode: 240
; IeeeMode: 1
; LDSByteSize: 0 bytes/workgroup (compile time only)
; SGPRBlocks: 0
; VGPRBlocks: 0
; NumSGPRsForWavesPerEU: 1
; NumVGPRsForWavesPerEU: 1
; NamedBarCnt: 0
; Occupancy: 16
; WaveLimiterHint : 0
; COMPUTE_PGM_RSRC2:SCRATCH_EN: 0
; COMPUTE_PGM_RSRC2:USER_SGPR: 2
; COMPUTE_PGM_RSRC2:TRAP_HANDLER: 0
; COMPUTE_PGM_RSRC2:TGID_X_EN: 1
; COMPUTE_PGM_RSRC2:TGID_Y_EN: 0
; COMPUTE_PGM_RSRC2:TGID_Z_EN: 0
; COMPUTE_PGM_RSRC2:TIDIG_COMP_CNT: 0
	.section	.text._ZN7rocprim17ROCPRIM_400000_NS6detail17trampoline_kernelINS0_14default_configENS1_38merge_sort_block_merge_config_selectorI12hip_bfloat16NS0_10empty_typeEEEZZNS1_27merge_sort_block_merge_implIS3_PS5_PS6_jNS1_19radix_merge_compareILb0ELb0ES5_NS0_19identity_decomposerEEEEE10hipError_tT0_T1_T2_jT3_P12ihipStream_tbPNSt15iterator_traitsISF_E10value_typeEPNSL_ISG_E10value_typeEPSH_NS1_7vsmem_tEENKUlT_SF_SG_SH_E_clIS9_S9_SA_SA_EESE_SU_SF_SG_SH_EUlSU_E_NS1_11comp_targetILNS1_3genE4ELNS1_11target_archE910ELNS1_3gpuE8ELNS1_3repE0EEENS1_48merge_mergepath_partition_config_static_selectorELNS0_4arch9wavefront6targetE0EEEvSG_,"axG",@progbits,_ZN7rocprim17ROCPRIM_400000_NS6detail17trampoline_kernelINS0_14default_configENS1_38merge_sort_block_merge_config_selectorI12hip_bfloat16NS0_10empty_typeEEEZZNS1_27merge_sort_block_merge_implIS3_PS5_PS6_jNS1_19radix_merge_compareILb0ELb0ES5_NS0_19identity_decomposerEEEEE10hipError_tT0_T1_T2_jT3_P12ihipStream_tbPNSt15iterator_traitsISF_E10value_typeEPNSL_ISG_E10value_typeEPSH_NS1_7vsmem_tEENKUlT_SF_SG_SH_E_clIS9_S9_SA_SA_EESE_SU_SF_SG_SH_EUlSU_E_NS1_11comp_targetILNS1_3genE4ELNS1_11target_archE910ELNS1_3gpuE8ELNS1_3repE0EEENS1_48merge_mergepath_partition_config_static_selectorELNS0_4arch9wavefront6targetE0EEEvSG_,comdat
	.protected	_ZN7rocprim17ROCPRIM_400000_NS6detail17trampoline_kernelINS0_14default_configENS1_38merge_sort_block_merge_config_selectorI12hip_bfloat16NS0_10empty_typeEEEZZNS1_27merge_sort_block_merge_implIS3_PS5_PS6_jNS1_19radix_merge_compareILb0ELb0ES5_NS0_19identity_decomposerEEEEE10hipError_tT0_T1_T2_jT3_P12ihipStream_tbPNSt15iterator_traitsISF_E10value_typeEPNSL_ISG_E10value_typeEPSH_NS1_7vsmem_tEENKUlT_SF_SG_SH_E_clIS9_S9_SA_SA_EESE_SU_SF_SG_SH_EUlSU_E_NS1_11comp_targetILNS1_3genE4ELNS1_11target_archE910ELNS1_3gpuE8ELNS1_3repE0EEENS1_48merge_mergepath_partition_config_static_selectorELNS0_4arch9wavefront6targetE0EEEvSG_ ; -- Begin function _ZN7rocprim17ROCPRIM_400000_NS6detail17trampoline_kernelINS0_14default_configENS1_38merge_sort_block_merge_config_selectorI12hip_bfloat16NS0_10empty_typeEEEZZNS1_27merge_sort_block_merge_implIS3_PS5_PS6_jNS1_19radix_merge_compareILb0ELb0ES5_NS0_19identity_decomposerEEEEE10hipError_tT0_T1_T2_jT3_P12ihipStream_tbPNSt15iterator_traitsISF_E10value_typeEPNSL_ISG_E10value_typeEPSH_NS1_7vsmem_tEENKUlT_SF_SG_SH_E_clIS9_S9_SA_SA_EESE_SU_SF_SG_SH_EUlSU_E_NS1_11comp_targetILNS1_3genE4ELNS1_11target_archE910ELNS1_3gpuE8ELNS1_3repE0EEENS1_48merge_mergepath_partition_config_static_selectorELNS0_4arch9wavefront6targetE0EEEvSG_
	.globl	_ZN7rocprim17ROCPRIM_400000_NS6detail17trampoline_kernelINS0_14default_configENS1_38merge_sort_block_merge_config_selectorI12hip_bfloat16NS0_10empty_typeEEEZZNS1_27merge_sort_block_merge_implIS3_PS5_PS6_jNS1_19radix_merge_compareILb0ELb0ES5_NS0_19identity_decomposerEEEEE10hipError_tT0_T1_T2_jT3_P12ihipStream_tbPNSt15iterator_traitsISF_E10value_typeEPNSL_ISG_E10value_typeEPSH_NS1_7vsmem_tEENKUlT_SF_SG_SH_E_clIS9_S9_SA_SA_EESE_SU_SF_SG_SH_EUlSU_E_NS1_11comp_targetILNS1_3genE4ELNS1_11target_archE910ELNS1_3gpuE8ELNS1_3repE0EEENS1_48merge_mergepath_partition_config_static_selectorELNS0_4arch9wavefront6targetE0EEEvSG_
	.p2align	8
	.type	_ZN7rocprim17ROCPRIM_400000_NS6detail17trampoline_kernelINS0_14default_configENS1_38merge_sort_block_merge_config_selectorI12hip_bfloat16NS0_10empty_typeEEEZZNS1_27merge_sort_block_merge_implIS3_PS5_PS6_jNS1_19radix_merge_compareILb0ELb0ES5_NS0_19identity_decomposerEEEEE10hipError_tT0_T1_T2_jT3_P12ihipStream_tbPNSt15iterator_traitsISF_E10value_typeEPNSL_ISG_E10value_typeEPSH_NS1_7vsmem_tEENKUlT_SF_SG_SH_E_clIS9_S9_SA_SA_EESE_SU_SF_SG_SH_EUlSU_E_NS1_11comp_targetILNS1_3genE4ELNS1_11target_archE910ELNS1_3gpuE8ELNS1_3repE0EEENS1_48merge_mergepath_partition_config_static_selectorELNS0_4arch9wavefront6targetE0EEEvSG_,@function
_ZN7rocprim17ROCPRIM_400000_NS6detail17trampoline_kernelINS0_14default_configENS1_38merge_sort_block_merge_config_selectorI12hip_bfloat16NS0_10empty_typeEEEZZNS1_27merge_sort_block_merge_implIS3_PS5_PS6_jNS1_19radix_merge_compareILb0ELb0ES5_NS0_19identity_decomposerEEEEE10hipError_tT0_T1_T2_jT3_P12ihipStream_tbPNSt15iterator_traitsISF_E10value_typeEPNSL_ISG_E10value_typeEPSH_NS1_7vsmem_tEENKUlT_SF_SG_SH_E_clIS9_S9_SA_SA_EESE_SU_SF_SG_SH_EUlSU_E_NS1_11comp_targetILNS1_3genE4ELNS1_11target_archE910ELNS1_3gpuE8ELNS1_3repE0EEENS1_48merge_mergepath_partition_config_static_selectorELNS0_4arch9wavefront6targetE0EEEvSG_: ; @_ZN7rocprim17ROCPRIM_400000_NS6detail17trampoline_kernelINS0_14default_configENS1_38merge_sort_block_merge_config_selectorI12hip_bfloat16NS0_10empty_typeEEEZZNS1_27merge_sort_block_merge_implIS3_PS5_PS6_jNS1_19radix_merge_compareILb0ELb0ES5_NS0_19identity_decomposerEEEEE10hipError_tT0_T1_T2_jT3_P12ihipStream_tbPNSt15iterator_traitsISF_E10value_typeEPNSL_ISG_E10value_typeEPSH_NS1_7vsmem_tEENKUlT_SF_SG_SH_E_clIS9_S9_SA_SA_EESE_SU_SF_SG_SH_EUlSU_E_NS1_11comp_targetILNS1_3genE4ELNS1_11target_archE910ELNS1_3gpuE8ELNS1_3repE0EEENS1_48merge_mergepath_partition_config_static_selectorELNS0_4arch9wavefront6targetE0EEEvSG_
; %bb.0:
	.section	.rodata,"a",@progbits
	.p2align	6, 0x0
	.amdhsa_kernel _ZN7rocprim17ROCPRIM_400000_NS6detail17trampoline_kernelINS0_14default_configENS1_38merge_sort_block_merge_config_selectorI12hip_bfloat16NS0_10empty_typeEEEZZNS1_27merge_sort_block_merge_implIS3_PS5_PS6_jNS1_19radix_merge_compareILb0ELb0ES5_NS0_19identity_decomposerEEEEE10hipError_tT0_T1_T2_jT3_P12ihipStream_tbPNSt15iterator_traitsISF_E10value_typeEPNSL_ISG_E10value_typeEPSH_NS1_7vsmem_tEENKUlT_SF_SG_SH_E_clIS9_S9_SA_SA_EESE_SU_SF_SG_SH_EUlSU_E_NS1_11comp_targetILNS1_3genE4ELNS1_11target_archE910ELNS1_3gpuE8ELNS1_3repE0EEENS1_48merge_mergepath_partition_config_static_selectorELNS0_4arch9wavefront6targetE0EEEvSG_
		.amdhsa_group_segment_fixed_size 0
		.amdhsa_private_segment_fixed_size 0
		.amdhsa_kernarg_size 40
		.amdhsa_user_sgpr_count 2
		.amdhsa_user_sgpr_dispatch_ptr 0
		.amdhsa_user_sgpr_queue_ptr 0
		.amdhsa_user_sgpr_kernarg_segment_ptr 1
		.amdhsa_user_sgpr_dispatch_id 0
		.amdhsa_user_sgpr_kernarg_preload_length 0
		.amdhsa_user_sgpr_kernarg_preload_offset 0
		.amdhsa_user_sgpr_private_segment_size 0
		.amdhsa_wavefront_size32 1
		.amdhsa_uses_dynamic_stack 0
		.amdhsa_enable_private_segment 0
		.amdhsa_system_sgpr_workgroup_id_x 1
		.amdhsa_system_sgpr_workgroup_id_y 0
		.amdhsa_system_sgpr_workgroup_id_z 0
		.amdhsa_system_sgpr_workgroup_info 0
		.amdhsa_system_vgpr_workitem_id 0
		.amdhsa_next_free_vgpr 1
		.amdhsa_next_free_sgpr 1
		.amdhsa_named_barrier_count 0
		.amdhsa_reserve_vcc 0
		.amdhsa_float_round_mode_32 0
		.amdhsa_float_round_mode_16_64 0
		.amdhsa_float_denorm_mode_32 3
		.amdhsa_float_denorm_mode_16_64 3
		.amdhsa_fp16_overflow 0
		.amdhsa_memory_ordered 1
		.amdhsa_forward_progress 1
		.amdhsa_inst_pref_size 0
		.amdhsa_round_robin_scheduling 0
		.amdhsa_exception_fp_ieee_invalid_op 0
		.amdhsa_exception_fp_denorm_src 0
		.amdhsa_exception_fp_ieee_div_zero 0
		.amdhsa_exception_fp_ieee_overflow 0
		.amdhsa_exception_fp_ieee_underflow 0
		.amdhsa_exception_fp_ieee_inexact 0
		.amdhsa_exception_int_div_zero 0
	.end_amdhsa_kernel
	.section	.text._ZN7rocprim17ROCPRIM_400000_NS6detail17trampoline_kernelINS0_14default_configENS1_38merge_sort_block_merge_config_selectorI12hip_bfloat16NS0_10empty_typeEEEZZNS1_27merge_sort_block_merge_implIS3_PS5_PS6_jNS1_19radix_merge_compareILb0ELb0ES5_NS0_19identity_decomposerEEEEE10hipError_tT0_T1_T2_jT3_P12ihipStream_tbPNSt15iterator_traitsISF_E10value_typeEPNSL_ISG_E10value_typeEPSH_NS1_7vsmem_tEENKUlT_SF_SG_SH_E_clIS9_S9_SA_SA_EESE_SU_SF_SG_SH_EUlSU_E_NS1_11comp_targetILNS1_3genE4ELNS1_11target_archE910ELNS1_3gpuE8ELNS1_3repE0EEENS1_48merge_mergepath_partition_config_static_selectorELNS0_4arch9wavefront6targetE0EEEvSG_,"axG",@progbits,_ZN7rocprim17ROCPRIM_400000_NS6detail17trampoline_kernelINS0_14default_configENS1_38merge_sort_block_merge_config_selectorI12hip_bfloat16NS0_10empty_typeEEEZZNS1_27merge_sort_block_merge_implIS3_PS5_PS6_jNS1_19radix_merge_compareILb0ELb0ES5_NS0_19identity_decomposerEEEEE10hipError_tT0_T1_T2_jT3_P12ihipStream_tbPNSt15iterator_traitsISF_E10value_typeEPNSL_ISG_E10value_typeEPSH_NS1_7vsmem_tEENKUlT_SF_SG_SH_E_clIS9_S9_SA_SA_EESE_SU_SF_SG_SH_EUlSU_E_NS1_11comp_targetILNS1_3genE4ELNS1_11target_archE910ELNS1_3gpuE8ELNS1_3repE0EEENS1_48merge_mergepath_partition_config_static_selectorELNS0_4arch9wavefront6targetE0EEEvSG_,comdat
.Lfunc_end2012:
	.size	_ZN7rocprim17ROCPRIM_400000_NS6detail17trampoline_kernelINS0_14default_configENS1_38merge_sort_block_merge_config_selectorI12hip_bfloat16NS0_10empty_typeEEEZZNS1_27merge_sort_block_merge_implIS3_PS5_PS6_jNS1_19radix_merge_compareILb0ELb0ES5_NS0_19identity_decomposerEEEEE10hipError_tT0_T1_T2_jT3_P12ihipStream_tbPNSt15iterator_traitsISF_E10value_typeEPNSL_ISG_E10value_typeEPSH_NS1_7vsmem_tEENKUlT_SF_SG_SH_E_clIS9_S9_SA_SA_EESE_SU_SF_SG_SH_EUlSU_E_NS1_11comp_targetILNS1_3genE4ELNS1_11target_archE910ELNS1_3gpuE8ELNS1_3repE0EEENS1_48merge_mergepath_partition_config_static_selectorELNS0_4arch9wavefront6targetE0EEEvSG_, .Lfunc_end2012-_ZN7rocprim17ROCPRIM_400000_NS6detail17trampoline_kernelINS0_14default_configENS1_38merge_sort_block_merge_config_selectorI12hip_bfloat16NS0_10empty_typeEEEZZNS1_27merge_sort_block_merge_implIS3_PS5_PS6_jNS1_19radix_merge_compareILb0ELb0ES5_NS0_19identity_decomposerEEEEE10hipError_tT0_T1_T2_jT3_P12ihipStream_tbPNSt15iterator_traitsISF_E10value_typeEPNSL_ISG_E10value_typeEPSH_NS1_7vsmem_tEENKUlT_SF_SG_SH_E_clIS9_S9_SA_SA_EESE_SU_SF_SG_SH_EUlSU_E_NS1_11comp_targetILNS1_3genE4ELNS1_11target_archE910ELNS1_3gpuE8ELNS1_3repE0EEENS1_48merge_mergepath_partition_config_static_selectorELNS0_4arch9wavefront6targetE0EEEvSG_
                                        ; -- End function
	.set _ZN7rocprim17ROCPRIM_400000_NS6detail17trampoline_kernelINS0_14default_configENS1_38merge_sort_block_merge_config_selectorI12hip_bfloat16NS0_10empty_typeEEEZZNS1_27merge_sort_block_merge_implIS3_PS5_PS6_jNS1_19radix_merge_compareILb0ELb0ES5_NS0_19identity_decomposerEEEEE10hipError_tT0_T1_T2_jT3_P12ihipStream_tbPNSt15iterator_traitsISF_E10value_typeEPNSL_ISG_E10value_typeEPSH_NS1_7vsmem_tEENKUlT_SF_SG_SH_E_clIS9_S9_SA_SA_EESE_SU_SF_SG_SH_EUlSU_E_NS1_11comp_targetILNS1_3genE4ELNS1_11target_archE910ELNS1_3gpuE8ELNS1_3repE0EEENS1_48merge_mergepath_partition_config_static_selectorELNS0_4arch9wavefront6targetE0EEEvSG_.num_vgpr, 0
	.set _ZN7rocprim17ROCPRIM_400000_NS6detail17trampoline_kernelINS0_14default_configENS1_38merge_sort_block_merge_config_selectorI12hip_bfloat16NS0_10empty_typeEEEZZNS1_27merge_sort_block_merge_implIS3_PS5_PS6_jNS1_19radix_merge_compareILb0ELb0ES5_NS0_19identity_decomposerEEEEE10hipError_tT0_T1_T2_jT3_P12ihipStream_tbPNSt15iterator_traitsISF_E10value_typeEPNSL_ISG_E10value_typeEPSH_NS1_7vsmem_tEENKUlT_SF_SG_SH_E_clIS9_S9_SA_SA_EESE_SU_SF_SG_SH_EUlSU_E_NS1_11comp_targetILNS1_3genE4ELNS1_11target_archE910ELNS1_3gpuE8ELNS1_3repE0EEENS1_48merge_mergepath_partition_config_static_selectorELNS0_4arch9wavefront6targetE0EEEvSG_.num_agpr, 0
	.set _ZN7rocprim17ROCPRIM_400000_NS6detail17trampoline_kernelINS0_14default_configENS1_38merge_sort_block_merge_config_selectorI12hip_bfloat16NS0_10empty_typeEEEZZNS1_27merge_sort_block_merge_implIS3_PS5_PS6_jNS1_19radix_merge_compareILb0ELb0ES5_NS0_19identity_decomposerEEEEE10hipError_tT0_T1_T2_jT3_P12ihipStream_tbPNSt15iterator_traitsISF_E10value_typeEPNSL_ISG_E10value_typeEPSH_NS1_7vsmem_tEENKUlT_SF_SG_SH_E_clIS9_S9_SA_SA_EESE_SU_SF_SG_SH_EUlSU_E_NS1_11comp_targetILNS1_3genE4ELNS1_11target_archE910ELNS1_3gpuE8ELNS1_3repE0EEENS1_48merge_mergepath_partition_config_static_selectorELNS0_4arch9wavefront6targetE0EEEvSG_.numbered_sgpr, 0
	.set _ZN7rocprim17ROCPRIM_400000_NS6detail17trampoline_kernelINS0_14default_configENS1_38merge_sort_block_merge_config_selectorI12hip_bfloat16NS0_10empty_typeEEEZZNS1_27merge_sort_block_merge_implIS3_PS5_PS6_jNS1_19radix_merge_compareILb0ELb0ES5_NS0_19identity_decomposerEEEEE10hipError_tT0_T1_T2_jT3_P12ihipStream_tbPNSt15iterator_traitsISF_E10value_typeEPNSL_ISG_E10value_typeEPSH_NS1_7vsmem_tEENKUlT_SF_SG_SH_E_clIS9_S9_SA_SA_EESE_SU_SF_SG_SH_EUlSU_E_NS1_11comp_targetILNS1_3genE4ELNS1_11target_archE910ELNS1_3gpuE8ELNS1_3repE0EEENS1_48merge_mergepath_partition_config_static_selectorELNS0_4arch9wavefront6targetE0EEEvSG_.num_named_barrier, 0
	.set _ZN7rocprim17ROCPRIM_400000_NS6detail17trampoline_kernelINS0_14default_configENS1_38merge_sort_block_merge_config_selectorI12hip_bfloat16NS0_10empty_typeEEEZZNS1_27merge_sort_block_merge_implIS3_PS5_PS6_jNS1_19radix_merge_compareILb0ELb0ES5_NS0_19identity_decomposerEEEEE10hipError_tT0_T1_T2_jT3_P12ihipStream_tbPNSt15iterator_traitsISF_E10value_typeEPNSL_ISG_E10value_typeEPSH_NS1_7vsmem_tEENKUlT_SF_SG_SH_E_clIS9_S9_SA_SA_EESE_SU_SF_SG_SH_EUlSU_E_NS1_11comp_targetILNS1_3genE4ELNS1_11target_archE910ELNS1_3gpuE8ELNS1_3repE0EEENS1_48merge_mergepath_partition_config_static_selectorELNS0_4arch9wavefront6targetE0EEEvSG_.private_seg_size, 0
	.set _ZN7rocprim17ROCPRIM_400000_NS6detail17trampoline_kernelINS0_14default_configENS1_38merge_sort_block_merge_config_selectorI12hip_bfloat16NS0_10empty_typeEEEZZNS1_27merge_sort_block_merge_implIS3_PS5_PS6_jNS1_19radix_merge_compareILb0ELb0ES5_NS0_19identity_decomposerEEEEE10hipError_tT0_T1_T2_jT3_P12ihipStream_tbPNSt15iterator_traitsISF_E10value_typeEPNSL_ISG_E10value_typeEPSH_NS1_7vsmem_tEENKUlT_SF_SG_SH_E_clIS9_S9_SA_SA_EESE_SU_SF_SG_SH_EUlSU_E_NS1_11comp_targetILNS1_3genE4ELNS1_11target_archE910ELNS1_3gpuE8ELNS1_3repE0EEENS1_48merge_mergepath_partition_config_static_selectorELNS0_4arch9wavefront6targetE0EEEvSG_.uses_vcc, 0
	.set _ZN7rocprim17ROCPRIM_400000_NS6detail17trampoline_kernelINS0_14default_configENS1_38merge_sort_block_merge_config_selectorI12hip_bfloat16NS0_10empty_typeEEEZZNS1_27merge_sort_block_merge_implIS3_PS5_PS6_jNS1_19radix_merge_compareILb0ELb0ES5_NS0_19identity_decomposerEEEEE10hipError_tT0_T1_T2_jT3_P12ihipStream_tbPNSt15iterator_traitsISF_E10value_typeEPNSL_ISG_E10value_typeEPSH_NS1_7vsmem_tEENKUlT_SF_SG_SH_E_clIS9_S9_SA_SA_EESE_SU_SF_SG_SH_EUlSU_E_NS1_11comp_targetILNS1_3genE4ELNS1_11target_archE910ELNS1_3gpuE8ELNS1_3repE0EEENS1_48merge_mergepath_partition_config_static_selectorELNS0_4arch9wavefront6targetE0EEEvSG_.uses_flat_scratch, 0
	.set _ZN7rocprim17ROCPRIM_400000_NS6detail17trampoline_kernelINS0_14default_configENS1_38merge_sort_block_merge_config_selectorI12hip_bfloat16NS0_10empty_typeEEEZZNS1_27merge_sort_block_merge_implIS3_PS5_PS6_jNS1_19radix_merge_compareILb0ELb0ES5_NS0_19identity_decomposerEEEEE10hipError_tT0_T1_T2_jT3_P12ihipStream_tbPNSt15iterator_traitsISF_E10value_typeEPNSL_ISG_E10value_typeEPSH_NS1_7vsmem_tEENKUlT_SF_SG_SH_E_clIS9_S9_SA_SA_EESE_SU_SF_SG_SH_EUlSU_E_NS1_11comp_targetILNS1_3genE4ELNS1_11target_archE910ELNS1_3gpuE8ELNS1_3repE0EEENS1_48merge_mergepath_partition_config_static_selectorELNS0_4arch9wavefront6targetE0EEEvSG_.has_dyn_sized_stack, 0
	.set _ZN7rocprim17ROCPRIM_400000_NS6detail17trampoline_kernelINS0_14default_configENS1_38merge_sort_block_merge_config_selectorI12hip_bfloat16NS0_10empty_typeEEEZZNS1_27merge_sort_block_merge_implIS3_PS5_PS6_jNS1_19radix_merge_compareILb0ELb0ES5_NS0_19identity_decomposerEEEEE10hipError_tT0_T1_T2_jT3_P12ihipStream_tbPNSt15iterator_traitsISF_E10value_typeEPNSL_ISG_E10value_typeEPSH_NS1_7vsmem_tEENKUlT_SF_SG_SH_E_clIS9_S9_SA_SA_EESE_SU_SF_SG_SH_EUlSU_E_NS1_11comp_targetILNS1_3genE4ELNS1_11target_archE910ELNS1_3gpuE8ELNS1_3repE0EEENS1_48merge_mergepath_partition_config_static_selectorELNS0_4arch9wavefront6targetE0EEEvSG_.has_recursion, 0
	.set _ZN7rocprim17ROCPRIM_400000_NS6detail17trampoline_kernelINS0_14default_configENS1_38merge_sort_block_merge_config_selectorI12hip_bfloat16NS0_10empty_typeEEEZZNS1_27merge_sort_block_merge_implIS3_PS5_PS6_jNS1_19radix_merge_compareILb0ELb0ES5_NS0_19identity_decomposerEEEEE10hipError_tT0_T1_T2_jT3_P12ihipStream_tbPNSt15iterator_traitsISF_E10value_typeEPNSL_ISG_E10value_typeEPSH_NS1_7vsmem_tEENKUlT_SF_SG_SH_E_clIS9_S9_SA_SA_EESE_SU_SF_SG_SH_EUlSU_E_NS1_11comp_targetILNS1_3genE4ELNS1_11target_archE910ELNS1_3gpuE8ELNS1_3repE0EEENS1_48merge_mergepath_partition_config_static_selectorELNS0_4arch9wavefront6targetE0EEEvSG_.has_indirect_call, 0
	.section	.AMDGPU.csdata,"",@progbits
; Kernel info:
; codeLenInByte = 0
; TotalNumSgprs: 0
; NumVgprs: 0
; ScratchSize: 0
; MemoryBound: 0
; FloatMode: 240
; IeeeMode: 1
; LDSByteSize: 0 bytes/workgroup (compile time only)
; SGPRBlocks: 0
; VGPRBlocks: 0
; NumSGPRsForWavesPerEU: 1
; NumVGPRsForWavesPerEU: 1
; NamedBarCnt: 0
; Occupancy: 16
; WaveLimiterHint : 0
; COMPUTE_PGM_RSRC2:SCRATCH_EN: 0
; COMPUTE_PGM_RSRC2:USER_SGPR: 2
; COMPUTE_PGM_RSRC2:TRAP_HANDLER: 0
; COMPUTE_PGM_RSRC2:TGID_X_EN: 1
; COMPUTE_PGM_RSRC2:TGID_Y_EN: 0
; COMPUTE_PGM_RSRC2:TGID_Z_EN: 0
; COMPUTE_PGM_RSRC2:TIDIG_COMP_CNT: 0
	.section	.text._ZN7rocprim17ROCPRIM_400000_NS6detail17trampoline_kernelINS0_14default_configENS1_38merge_sort_block_merge_config_selectorI12hip_bfloat16NS0_10empty_typeEEEZZNS1_27merge_sort_block_merge_implIS3_PS5_PS6_jNS1_19radix_merge_compareILb0ELb0ES5_NS0_19identity_decomposerEEEEE10hipError_tT0_T1_T2_jT3_P12ihipStream_tbPNSt15iterator_traitsISF_E10value_typeEPNSL_ISG_E10value_typeEPSH_NS1_7vsmem_tEENKUlT_SF_SG_SH_E_clIS9_S9_SA_SA_EESE_SU_SF_SG_SH_EUlSU_E_NS1_11comp_targetILNS1_3genE3ELNS1_11target_archE908ELNS1_3gpuE7ELNS1_3repE0EEENS1_48merge_mergepath_partition_config_static_selectorELNS0_4arch9wavefront6targetE0EEEvSG_,"axG",@progbits,_ZN7rocprim17ROCPRIM_400000_NS6detail17trampoline_kernelINS0_14default_configENS1_38merge_sort_block_merge_config_selectorI12hip_bfloat16NS0_10empty_typeEEEZZNS1_27merge_sort_block_merge_implIS3_PS5_PS6_jNS1_19radix_merge_compareILb0ELb0ES5_NS0_19identity_decomposerEEEEE10hipError_tT0_T1_T2_jT3_P12ihipStream_tbPNSt15iterator_traitsISF_E10value_typeEPNSL_ISG_E10value_typeEPSH_NS1_7vsmem_tEENKUlT_SF_SG_SH_E_clIS9_S9_SA_SA_EESE_SU_SF_SG_SH_EUlSU_E_NS1_11comp_targetILNS1_3genE3ELNS1_11target_archE908ELNS1_3gpuE7ELNS1_3repE0EEENS1_48merge_mergepath_partition_config_static_selectorELNS0_4arch9wavefront6targetE0EEEvSG_,comdat
	.protected	_ZN7rocprim17ROCPRIM_400000_NS6detail17trampoline_kernelINS0_14default_configENS1_38merge_sort_block_merge_config_selectorI12hip_bfloat16NS0_10empty_typeEEEZZNS1_27merge_sort_block_merge_implIS3_PS5_PS6_jNS1_19radix_merge_compareILb0ELb0ES5_NS0_19identity_decomposerEEEEE10hipError_tT0_T1_T2_jT3_P12ihipStream_tbPNSt15iterator_traitsISF_E10value_typeEPNSL_ISG_E10value_typeEPSH_NS1_7vsmem_tEENKUlT_SF_SG_SH_E_clIS9_S9_SA_SA_EESE_SU_SF_SG_SH_EUlSU_E_NS1_11comp_targetILNS1_3genE3ELNS1_11target_archE908ELNS1_3gpuE7ELNS1_3repE0EEENS1_48merge_mergepath_partition_config_static_selectorELNS0_4arch9wavefront6targetE0EEEvSG_ ; -- Begin function _ZN7rocprim17ROCPRIM_400000_NS6detail17trampoline_kernelINS0_14default_configENS1_38merge_sort_block_merge_config_selectorI12hip_bfloat16NS0_10empty_typeEEEZZNS1_27merge_sort_block_merge_implIS3_PS5_PS6_jNS1_19radix_merge_compareILb0ELb0ES5_NS0_19identity_decomposerEEEEE10hipError_tT0_T1_T2_jT3_P12ihipStream_tbPNSt15iterator_traitsISF_E10value_typeEPNSL_ISG_E10value_typeEPSH_NS1_7vsmem_tEENKUlT_SF_SG_SH_E_clIS9_S9_SA_SA_EESE_SU_SF_SG_SH_EUlSU_E_NS1_11comp_targetILNS1_3genE3ELNS1_11target_archE908ELNS1_3gpuE7ELNS1_3repE0EEENS1_48merge_mergepath_partition_config_static_selectorELNS0_4arch9wavefront6targetE0EEEvSG_
	.globl	_ZN7rocprim17ROCPRIM_400000_NS6detail17trampoline_kernelINS0_14default_configENS1_38merge_sort_block_merge_config_selectorI12hip_bfloat16NS0_10empty_typeEEEZZNS1_27merge_sort_block_merge_implIS3_PS5_PS6_jNS1_19radix_merge_compareILb0ELb0ES5_NS0_19identity_decomposerEEEEE10hipError_tT0_T1_T2_jT3_P12ihipStream_tbPNSt15iterator_traitsISF_E10value_typeEPNSL_ISG_E10value_typeEPSH_NS1_7vsmem_tEENKUlT_SF_SG_SH_E_clIS9_S9_SA_SA_EESE_SU_SF_SG_SH_EUlSU_E_NS1_11comp_targetILNS1_3genE3ELNS1_11target_archE908ELNS1_3gpuE7ELNS1_3repE0EEENS1_48merge_mergepath_partition_config_static_selectorELNS0_4arch9wavefront6targetE0EEEvSG_
	.p2align	8
	.type	_ZN7rocprim17ROCPRIM_400000_NS6detail17trampoline_kernelINS0_14default_configENS1_38merge_sort_block_merge_config_selectorI12hip_bfloat16NS0_10empty_typeEEEZZNS1_27merge_sort_block_merge_implIS3_PS5_PS6_jNS1_19radix_merge_compareILb0ELb0ES5_NS0_19identity_decomposerEEEEE10hipError_tT0_T1_T2_jT3_P12ihipStream_tbPNSt15iterator_traitsISF_E10value_typeEPNSL_ISG_E10value_typeEPSH_NS1_7vsmem_tEENKUlT_SF_SG_SH_E_clIS9_S9_SA_SA_EESE_SU_SF_SG_SH_EUlSU_E_NS1_11comp_targetILNS1_3genE3ELNS1_11target_archE908ELNS1_3gpuE7ELNS1_3repE0EEENS1_48merge_mergepath_partition_config_static_selectorELNS0_4arch9wavefront6targetE0EEEvSG_,@function
_ZN7rocprim17ROCPRIM_400000_NS6detail17trampoline_kernelINS0_14default_configENS1_38merge_sort_block_merge_config_selectorI12hip_bfloat16NS0_10empty_typeEEEZZNS1_27merge_sort_block_merge_implIS3_PS5_PS6_jNS1_19radix_merge_compareILb0ELb0ES5_NS0_19identity_decomposerEEEEE10hipError_tT0_T1_T2_jT3_P12ihipStream_tbPNSt15iterator_traitsISF_E10value_typeEPNSL_ISG_E10value_typeEPSH_NS1_7vsmem_tEENKUlT_SF_SG_SH_E_clIS9_S9_SA_SA_EESE_SU_SF_SG_SH_EUlSU_E_NS1_11comp_targetILNS1_3genE3ELNS1_11target_archE908ELNS1_3gpuE7ELNS1_3repE0EEENS1_48merge_mergepath_partition_config_static_selectorELNS0_4arch9wavefront6targetE0EEEvSG_: ; @_ZN7rocprim17ROCPRIM_400000_NS6detail17trampoline_kernelINS0_14default_configENS1_38merge_sort_block_merge_config_selectorI12hip_bfloat16NS0_10empty_typeEEEZZNS1_27merge_sort_block_merge_implIS3_PS5_PS6_jNS1_19radix_merge_compareILb0ELb0ES5_NS0_19identity_decomposerEEEEE10hipError_tT0_T1_T2_jT3_P12ihipStream_tbPNSt15iterator_traitsISF_E10value_typeEPNSL_ISG_E10value_typeEPSH_NS1_7vsmem_tEENKUlT_SF_SG_SH_E_clIS9_S9_SA_SA_EESE_SU_SF_SG_SH_EUlSU_E_NS1_11comp_targetILNS1_3genE3ELNS1_11target_archE908ELNS1_3gpuE7ELNS1_3repE0EEENS1_48merge_mergepath_partition_config_static_selectorELNS0_4arch9wavefront6targetE0EEEvSG_
; %bb.0:
	.section	.rodata,"a",@progbits
	.p2align	6, 0x0
	.amdhsa_kernel _ZN7rocprim17ROCPRIM_400000_NS6detail17trampoline_kernelINS0_14default_configENS1_38merge_sort_block_merge_config_selectorI12hip_bfloat16NS0_10empty_typeEEEZZNS1_27merge_sort_block_merge_implIS3_PS5_PS6_jNS1_19radix_merge_compareILb0ELb0ES5_NS0_19identity_decomposerEEEEE10hipError_tT0_T1_T2_jT3_P12ihipStream_tbPNSt15iterator_traitsISF_E10value_typeEPNSL_ISG_E10value_typeEPSH_NS1_7vsmem_tEENKUlT_SF_SG_SH_E_clIS9_S9_SA_SA_EESE_SU_SF_SG_SH_EUlSU_E_NS1_11comp_targetILNS1_3genE3ELNS1_11target_archE908ELNS1_3gpuE7ELNS1_3repE0EEENS1_48merge_mergepath_partition_config_static_selectorELNS0_4arch9wavefront6targetE0EEEvSG_
		.amdhsa_group_segment_fixed_size 0
		.amdhsa_private_segment_fixed_size 0
		.amdhsa_kernarg_size 40
		.amdhsa_user_sgpr_count 2
		.amdhsa_user_sgpr_dispatch_ptr 0
		.amdhsa_user_sgpr_queue_ptr 0
		.amdhsa_user_sgpr_kernarg_segment_ptr 1
		.amdhsa_user_sgpr_dispatch_id 0
		.amdhsa_user_sgpr_kernarg_preload_length 0
		.amdhsa_user_sgpr_kernarg_preload_offset 0
		.amdhsa_user_sgpr_private_segment_size 0
		.amdhsa_wavefront_size32 1
		.amdhsa_uses_dynamic_stack 0
		.amdhsa_enable_private_segment 0
		.amdhsa_system_sgpr_workgroup_id_x 1
		.amdhsa_system_sgpr_workgroup_id_y 0
		.amdhsa_system_sgpr_workgroup_id_z 0
		.amdhsa_system_sgpr_workgroup_info 0
		.amdhsa_system_vgpr_workitem_id 0
		.amdhsa_next_free_vgpr 1
		.amdhsa_next_free_sgpr 1
		.amdhsa_named_barrier_count 0
		.amdhsa_reserve_vcc 0
		.amdhsa_float_round_mode_32 0
		.amdhsa_float_round_mode_16_64 0
		.amdhsa_float_denorm_mode_32 3
		.amdhsa_float_denorm_mode_16_64 3
		.amdhsa_fp16_overflow 0
		.amdhsa_memory_ordered 1
		.amdhsa_forward_progress 1
		.amdhsa_inst_pref_size 0
		.amdhsa_round_robin_scheduling 0
		.amdhsa_exception_fp_ieee_invalid_op 0
		.amdhsa_exception_fp_denorm_src 0
		.amdhsa_exception_fp_ieee_div_zero 0
		.amdhsa_exception_fp_ieee_overflow 0
		.amdhsa_exception_fp_ieee_underflow 0
		.amdhsa_exception_fp_ieee_inexact 0
		.amdhsa_exception_int_div_zero 0
	.end_amdhsa_kernel
	.section	.text._ZN7rocprim17ROCPRIM_400000_NS6detail17trampoline_kernelINS0_14default_configENS1_38merge_sort_block_merge_config_selectorI12hip_bfloat16NS0_10empty_typeEEEZZNS1_27merge_sort_block_merge_implIS3_PS5_PS6_jNS1_19radix_merge_compareILb0ELb0ES5_NS0_19identity_decomposerEEEEE10hipError_tT0_T1_T2_jT3_P12ihipStream_tbPNSt15iterator_traitsISF_E10value_typeEPNSL_ISG_E10value_typeEPSH_NS1_7vsmem_tEENKUlT_SF_SG_SH_E_clIS9_S9_SA_SA_EESE_SU_SF_SG_SH_EUlSU_E_NS1_11comp_targetILNS1_3genE3ELNS1_11target_archE908ELNS1_3gpuE7ELNS1_3repE0EEENS1_48merge_mergepath_partition_config_static_selectorELNS0_4arch9wavefront6targetE0EEEvSG_,"axG",@progbits,_ZN7rocprim17ROCPRIM_400000_NS6detail17trampoline_kernelINS0_14default_configENS1_38merge_sort_block_merge_config_selectorI12hip_bfloat16NS0_10empty_typeEEEZZNS1_27merge_sort_block_merge_implIS3_PS5_PS6_jNS1_19radix_merge_compareILb0ELb0ES5_NS0_19identity_decomposerEEEEE10hipError_tT0_T1_T2_jT3_P12ihipStream_tbPNSt15iterator_traitsISF_E10value_typeEPNSL_ISG_E10value_typeEPSH_NS1_7vsmem_tEENKUlT_SF_SG_SH_E_clIS9_S9_SA_SA_EESE_SU_SF_SG_SH_EUlSU_E_NS1_11comp_targetILNS1_3genE3ELNS1_11target_archE908ELNS1_3gpuE7ELNS1_3repE0EEENS1_48merge_mergepath_partition_config_static_selectorELNS0_4arch9wavefront6targetE0EEEvSG_,comdat
.Lfunc_end2013:
	.size	_ZN7rocprim17ROCPRIM_400000_NS6detail17trampoline_kernelINS0_14default_configENS1_38merge_sort_block_merge_config_selectorI12hip_bfloat16NS0_10empty_typeEEEZZNS1_27merge_sort_block_merge_implIS3_PS5_PS6_jNS1_19radix_merge_compareILb0ELb0ES5_NS0_19identity_decomposerEEEEE10hipError_tT0_T1_T2_jT3_P12ihipStream_tbPNSt15iterator_traitsISF_E10value_typeEPNSL_ISG_E10value_typeEPSH_NS1_7vsmem_tEENKUlT_SF_SG_SH_E_clIS9_S9_SA_SA_EESE_SU_SF_SG_SH_EUlSU_E_NS1_11comp_targetILNS1_3genE3ELNS1_11target_archE908ELNS1_3gpuE7ELNS1_3repE0EEENS1_48merge_mergepath_partition_config_static_selectorELNS0_4arch9wavefront6targetE0EEEvSG_, .Lfunc_end2013-_ZN7rocprim17ROCPRIM_400000_NS6detail17trampoline_kernelINS0_14default_configENS1_38merge_sort_block_merge_config_selectorI12hip_bfloat16NS0_10empty_typeEEEZZNS1_27merge_sort_block_merge_implIS3_PS5_PS6_jNS1_19radix_merge_compareILb0ELb0ES5_NS0_19identity_decomposerEEEEE10hipError_tT0_T1_T2_jT3_P12ihipStream_tbPNSt15iterator_traitsISF_E10value_typeEPNSL_ISG_E10value_typeEPSH_NS1_7vsmem_tEENKUlT_SF_SG_SH_E_clIS9_S9_SA_SA_EESE_SU_SF_SG_SH_EUlSU_E_NS1_11comp_targetILNS1_3genE3ELNS1_11target_archE908ELNS1_3gpuE7ELNS1_3repE0EEENS1_48merge_mergepath_partition_config_static_selectorELNS0_4arch9wavefront6targetE0EEEvSG_
                                        ; -- End function
	.set _ZN7rocprim17ROCPRIM_400000_NS6detail17trampoline_kernelINS0_14default_configENS1_38merge_sort_block_merge_config_selectorI12hip_bfloat16NS0_10empty_typeEEEZZNS1_27merge_sort_block_merge_implIS3_PS5_PS6_jNS1_19radix_merge_compareILb0ELb0ES5_NS0_19identity_decomposerEEEEE10hipError_tT0_T1_T2_jT3_P12ihipStream_tbPNSt15iterator_traitsISF_E10value_typeEPNSL_ISG_E10value_typeEPSH_NS1_7vsmem_tEENKUlT_SF_SG_SH_E_clIS9_S9_SA_SA_EESE_SU_SF_SG_SH_EUlSU_E_NS1_11comp_targetILNS1_3genE3ELNS1_11target_archE908ELNS1_3gpuE7ELNS1_3repE0EEENS1_48merge_mergepath_partition_config_static_selectorELNS0_4arch9wavefront6targetE0EEEvSG_.num_vgpr, 0
	.set _ZN7rocprim17ROCPRIM_400000_NS6detail17trampoline_kernelINS0_14default_configENS1_38merge_sort_block_merge_config_selectorI12hip_bfloat16NS0_10empty_typeEEEZZNS1_27merge_sort_block_merge_implIS3_PS5_PS6_jNS1_19radix_merge_compareILb0ELb0ES5_NS0_19identity_decomposerEEEEE10hipError_tT0_T1_T2_jT3_P12ihipStream_tbPNSt15iterator_traitsISF_E10value_typeEPNSL_ISG_E10value_typeEPSH_NS1_7vsmem_tEENKUlT_SF_SG_SH_E_clIS9_S9_SA_SA_EESE_SU_SF_SG_SH_EUlSU_E_NS1_11comp_targetILNS1_3genE3ELNS1_11target_archE908ELNS1_3gpuE7ELNS1_3repE0EEENS1_48merge_mergepath_partition_config_static_selectorELNS0_4arch9wavefront6targetE0EEEvSG_.num_agpr, 0
	.set _ZN7rocprim17ROCPRIM_400000_NS6detail17trampoline_kernelINS0_14default_configENS1_38merge_sort_block_merge_config_selectorI12hip_bfloat16NS0_10empty_typeEEEZZNS1_27merge_sort_block_merge_implIS3_PS5_PS6_jNS1_19radix_merge_compareILb0ELb0ES5_NS0_19identity_decomposerEEEEE10hipError_tT0_T1_T2_jT3_P12ihipStream_tbPNSt15iterator_traitsISF_E10value_typeEPNSL_ISG_E10value_typeEPSH_NS1_7vsmem_tEENKUlT_SF_SG_SH_E_clIS9_S9_SA_SA_EESE_SU_SF_SG_SH_EUlSU_E_NS1_11comp_targetILNS1_3genE3ELNS1_11target_archE908ELNS1_3gpuE7ELNS1_3repE0EEENS1_48merge_mergepath_partition_config_static_selectorELNS0_4arch9wavefront6targetE0EEEvSG_.numbered_sgpr, 0
	.set _ZN7rocprim17ROCPRIM_400000_NS6detail17trampoline_kernelINS0_14default_configENS1_38merge_sort_block_merge_config_selectorI12hip_bfloat16NS0_10empty_typeEEEZZNS1_27merge_sort_block_merge_implIS3_PS5_PS6_jNS1_19radix_merge_compareILb0ELb0ES5_NS0_19identity_decomposerEEEEE10hipError_tT0_T1_T2_jT3_P12ihipStream_tbPNSt15iterator_traitsISF_E10value_typeEPNSL_ISG_E10value_typeEPSH_NS1_7vsmem_tEENKUlT_SF_SG_SH_E_clIS9_S9_SA_SA_EESE_SU_SF_SG_SH_EUlSU_E_NS1_11comp_targetILNS1_3genE3ELNS1_11target_archE908ELNS1_3gpuE7ELNS1_3repE0EEENS1_48merge_mergepath_partition_config_static_selectorELNS0_4arch9wavefront6targetE0EEEvSG_.num_named_barrier, 0
	.set _ZN7rocprim17ROCPRIM_400000_NS6detail17trampoline_kernelINS0_14default_configENS1_38merge_sort_block_merge_config_selectorI12hip_bfloat16NS0_10empty_typeEEEZZNS1_27merge_sort_block_merge_implIS3_PS5_PS6_jNS1_19radix_merge_compareILb0ELb0ES5_NS0_19identity_decomposerEEEEE10hipError_tT0_T1_T2_jT3_P12ihipStream_tbPNSt15iterator_traitsISF_E10value_typeEPNSL_ISG_E10value_typeEPSH_NS1_7vsmem_tEENKUlT_SF_SG_SH_E_clIS9_S9_SA_SA_EESE_SU_SF_SG_SH_EUlSU_E_NS1_11comp_targetILNS1_3genE3ELNS1_11target_archE908ELNS1_3gpuE7ELNS1_3repE0EEENS1_48merge_mergepath_partition_config_static_selectorELNS0_4arch9wavefront6targetE0EEEvSG_.private_seg_size, 0
	.set _ZN7rocprim17ROCPRIM_400000_NS6detail17trampoline_kernelINS0_14default_configENS1_38merge_sort_block_merge_config_selectorI12hip_bfloat16NS0_10empty_typeEEEZZNS1_27merge_sort_block_merge_implIS3_PS5_PS6_jNS1_19radix_merge_compareILb0ELb0ES5_NS0_19identity_decomposerEEEEE10hipError_tT0_T1_T2_jT3_P12ihipStream_tbPNSt15iterator_traitsISF_E10value_typeEPNSL_ISG_E10value_typeEPSH_NS1_7vsmem_tEENKUlT_SF_SG_SH_E_clIS9_S9_SA_SA_EESE_SU_SF_SG_SH_EUlSU_E_NS1_11comp_targetILNS1_3genE3ELNS1_11target_archE908ELNS1_3gpuE7ELNS1_3repE0EEENS1_48merge_mergepath_partition_config_static_selectorELNS0_4arch9wavefront6targetE0EEEvSG_.uses_vcc, 0
	.set _ZN7rocprim17ROCPRIM_400000_NS6detail17trampoline_kernelINS0_14default_configENS1_38merge_sort_block_merge_config_selectorI12hip_bfloat16NS0_10empty_typeEEEZZNS1_27merge_sort_block_merge_implIS3_PS5_PS6_jNS1_19radix_merge_compareILb0ELb0ES5_NS0_19identity_decomposerEEEEE10hipError_tT0_T1_T2_jT3_P12ihipStream_tbPNSt15iterator_traitsISF_E10value_typeEPNSL_ISG_E10value_typeEPSH_NS1_7vsmem_tEENKUlT_SF_SG_SH_E_clIS9_S9_SA_SA_EESE_SU_SF_SG_SH_EUlSU_E_NS1_11comp_targetILNS1_3genE3ELNS1_11target_archE908ELNS1_3gpuE7ELNS1_3repE0EEENS1_48merge_mergepath_partition_config_static_selectorELNS0_4arch9wavefront6targetE0EEEvSG_.uses_flat_scratch, 0
	.set _ZN7rocprim17ROCPRIM_400000_NS6detail17trampoline_kernelINS0_14default_configENS1_38merge_sort_block_merge_config_selectorI12hip_bfloat16NS0_10empty_typeEEEZZNS1_27merge_sort_block_merge_implIS3_PS5_PS6_jNS1_19radix_merge_compareILb0ELb0ES5_NS0_19identity_decomposerEEEEE10hipError_tT0_T1_T2_jT3_P12ihipStream_tbPNSt15iterator_traitsISF_E10value_typeEPNSL_ISG_E10value_typeEPSH_NS1_7vsmem_tEENKUlT_SF_SG_SH_E_clIS9_S9_SA_SA_EESE_SU_SF_SG_SH_EUlSU_E_NS1_11comp_targetILNS1_3genE3ELNS1_11target_archE908ELNS1_3gpuE7ELNS1_3repE0EEENS1_48merge_mergepath_partition_config_static_selectorELNS0_4arch9wavefront6targetE0EEEvSG_.has_dyn_sized_stack, 0
	.set _ZN7rocprim17ROCPRIM_400000_NS6detail17trampoline_kernelINS0_14default_configENS1_38merge_sort_block_merge_config_selectorI12hip_bfloat16NS0_10empty_typeEEEZZNS1_27merge_sort_block_merge_implIS3_PS5_PS6_jNS1_19radix_merge_compareILb0ELb0ES5_NS0_19identity_decomposerEEEEE10hipError_tT0_T1_T2_jT3_P12ihipStream_tbPNSt15iterator_traitsISF_E10value_typeEPNSL_ISG_E10value_typeEPSH_NS1_7vsmem_tEENKUlT_SF_SG_SH_E_clIS9_S9_SA_SA_EESE_SU_SF_SG_SH_EUlSU_E_NS1_11comp_targetILNS1_3genE3ELNS1_11target_archE908ELNS1_3gpuE7ELNS1_3repE0EEENS1_48merge_mergepath_partition_config_static_selectorELNS0_4arch9wavefront6targetE0EEEvSG_.has_recursion, 0
	.set _ZN7rocprim17ROCPRIM_400000_NS6detail17trampoline_kernelINS0_14default_configENS1_38merge_sort_block_merge_config_selectorI12hip_bfloat16NS0_10empty_typeEEEZZNS1_27merge_sort_block_merge_implIS3_PS5_PS6_jNS1_19radix_merge_compareILb0ELb0ES5_NS0_19identity_decomposerEEEEE10hipError_tT0_T1_T2_jT3_P12ihipStream_tbPNSt15iterator_traitsISF_E10value_typeEPNSL_ISG_E10value_typeEPSH_NS1_7vsmem_tEENKUlT_SF_SG_SH_E_clIS9_S9_SA_SA_EESE_SU_SF_SG_SH_EUlSU_E_NS1_11comp_targetILNS1_3genE3ELNS1_11target_archE908ELNS1_3gpuE7ELNS1_3repE0EEENS1_48merge_mergepath_partition_config_static_selectorELNS0_4arch9wavefront6targetE0EEEvSG_.has_indirect_call, 0
	.section	.AMDGPU.csdata,"",@progbits
; Kernel info:
; codeLenInByte = 0
; TotalNumSgprs: 0
; NumVgprs: 0
; ScratchSize: 0
; MemoryBound: 0
; FloatMode: 240
; IeeeMode: 1
; LDSByteSize: 0 bytes/workgroup (compile time only)
; SGPRBlocks: 0
; VGPRBlocks: 0
; NumSGPRsForWavesPerEU: 1
; NumVGPRsForWavesPerEU: 1
; NamedBarCnt: 0
; Occupancy: 16
; WaveLimiterHint : 0
; COMPUTE_PGM_RSRC2:SCRATCH_EN: 0
; COMPUTE_PGM_RSRC2:USER_SGPR: 2
; COMPUTE_PGM_RSRC2:TRAP_HANDLER: 0
; COMPUTE_PGM_RSRC2:TGID_X_EN: 1
; COMPUTE_PGM_RSRC2:TGID_Y_EN: 0
; COMPUTE_PGM_RSRC2:TGID_Z_EN: 0
; COMPUTE_PGM_RSRC2:TIDIG_COMP_CNT: 0
	.section	.text._ZN7rocprim17ROCPRIM_400000_NS6detail17trampoline_kernelINS0_14default_configENS1_38merge_sort_block_merge_config_selectorI12hip_bfloat16NS0_10empty_typeEEEZZNS1_27merge_sort_block_merge_implIS3_PS5_PS6_jNS1_19radix_merge_compareILb0ELb0ES5_NS0_19identity_decomposerEEEEE10hipError_tT0_T1_T2_jT3_P12ihipStream_tbPNSt15iterator_traitsISF_E10value_typeEPNSL_ISG_E10value_typeEPSH_NS1_7vsmem_tEENKUlT_SF_SG_SH_E_clIS9_S9_SA_SA_EESE_SU_SF_SG_SH_EUlSU_E_NS1_11comp_targetILNS1_3genE2ELNS1_11target_archE906ELNS1_3gpuE6ELNS1_3repE0EEENS1_48merge_mergepath_partition_config_static_selectorELNS0_4arch9wavefront6targetE0EEEvSG_,"axG",@progbits,_ZN7rocprim17ROCPRIM_400000_NS6detail17trampoline_kernelINS0_14default_configENS1_38merge_sort_block_merge_config_selectorI12hip_bfloat16NS0_10empty_typeEEEZZNS1_27merge_sort_block_merge_implIS3_PS5_PS6_jNS1_19radix_merge_compareILb0ELb0ES5_NS0_19identity_decomposerEEEEE10hipError_tT0_T1_T2_jT3_P12ihipStream_tbPNSt15iterator_traitsISF_E10value_typeEPNSL_ISG_E10value_typeEPSH_NS1_7vsmem_tEENKUlT_SF_SG_SH_E_clIS9_S9_SA_SA_EESE_SU_SF_SG_SH_EUlSU_E_NS1_11comp_targetILNS1_3genE2ELNS1_11target_archE906ELNS1_3gpuE6ELNS1_3repE0EEENS1_48merge_mergepath_partition_config_static_selectorELNS0_4arch9wavefront6targetE0EEEvSG_,comdat
	.protected	_ZN7rocprim17ROCPRIM_400000_NS6detail17trampoline_kernelINS0_14default_configENS1_38merge_sort_block_merge_config_selectorI12hip_bfloat16NS0_10empty_typeEEEZZNS1_27merge_sort_block_merge_implIS3_PS5_PS6_jNS1_19radix_merge_compareILb0ELb0ES5_NS0_19identity_decomposerEEEEE10hipError_tT0_T1_T2_jT3_P12ihipStream_tbPNSt15iterator_traitsISF_E10value_typeEPNSL_ISG_E10value_typeEPSH_NS1_7vsmem_tEENKUlT_SF_SG_SH_E_clIS9_S9_SA_SA_EESE_SU_SF_SG_SH_EUlSU_E_NS1_11comp_targetILNS1_3genE2ELNS1_11target_archE906ELNS1_3gpuE6ELNS1_3repE0EEENS1_48merge_mergepath_partition_config_static_selectorELNS0_4arch9wavefront6targetE0EEEvSG_ ; -- Begin function _ZN7rocprim17ROCPRIM_400000_NS6detail17trampoline_kernelINS0_14default_configENS1_38merge_sort_block_merge_config_selectorI12hip_bfloat16NS0_10empty_typeEEEZZNS1_27merge_sort_block_merge_implIS3_PS5_PS6_jNS1_19radix_merge_compareILb0ELb0ES5_NS0_19identity_decomposerEEEEE10hipError_tT0_T1_T2_jT3_P12ihipStream_tbPNSt15iterator_traitsISF_E10value_typeEPNSL_ISG_E10value_typeEPSH_NS1_7vsmem_tEENKUlT_SF_SG_SH_E_clIS9_S9_SA_SA_EESE_SU_SF_SG_SH_EUlSU_E_NS1_11comp_targetILNS1_3genE2ELNS1_11target_archE906ELNS1_3gpuE6ELNS1_3repE0EEENS1_48merge_mergepath_partition_config_static_selectorELNS0_4arch9wavefront6targetE0EEEvSG_
	.globl	_ZN7rocprim17ROCPRIM_400000_NS6detail17trampoline_kernelINS0_14default_configENS1_38merge_sort_block_merge_config_selectorI12hip_bfloat16NS0_10empty_typeEEEZZNS1_27merge_sort_block_merge_implIS3_PS5_PS6_jNS1_19radix_merge_compareILb0ELb0ES5_NS0_19identity_decomposerEEEEE10hipError_tT0_T1_T2_jT3_P12ihipStream_tbPNSt15iterator_traitsISF_E10value_typeEPNSL_ISG_E10value_typeEPSH_NS1_7vsmem_tEENKUlT_SF_SG_SH_E_clIS9_S9_SA_SA_EESE_SU_SF_SG_SH_EUlSU_E_NS1_11comp_targetILNS1_3genE2ELNS1_11target_archE906ELNS1_3gpuE6ELNS1_3repE0EEENS1_48merge_mergepath_partition_config_static_selectorELNS0_4arch9wavefront6targetE0EEEvSG_
	.p2align	8
	.type	_ZN7rocprim17ROCPRIM_400000_NS6detail17trampoline_kernelINS0_14default_configENS1_38merge_sort_block_merge_config_selectorI12hip_bfloat16NS0_10empty_typeEEEZZNS1_27merge_sort_block_merge_implIS3_PS5_PS6_jNS1_19radix_merge_compareILb0ELb0ES5_NS0_19identity_decomposerEEEEE10hipError_tT0_T1_T2_jT3_P12ihipStream_tbPNSt15iterator_traitsISF_E10value_typeEPNSL_ISG_E10value_typeEPSH_NS1_7vsmem_tEENKUlT_SF_SG_SH_E_clIS9_S9_SA_SA_EESE_SU_SF_SG_SH_EUlSU_E_NS1_11comp_targetILNS1_3genE2ELNS1_11target_archE906ELNS1_3gpuE6ELNS1_3repE0EEENS1_48merge_mergepath_partition_config_static_selectorELNS0_4arch9wavefront6targetE0EEEvSG_,@function
_ZN7rocprim17ROCPRIM_400000_NS6detail17trampoline_kernelINS0_14default_configENS1_38merge_sort_block_merge_config_selectorI12hip_bfloat16NS0_10empty_typeEEEZZNS1_27merge_sort_block_merge_implIS3_PS5_PS6_jNS1_19radix_merge_compareILb0ELb0ES5_NS0_19identity_decomposerEEEEE10hipError_tT0_T1_T2_jT3_P12ihipStream_tbPNSt15iterator_traitsISF_E10value_typeEPNSL_ISG_E10value_typeEPSH_NS1_7vsmem_tEENKUlT_SF_SG_SH_E_clIS9_S9_SA_SA_EESE_SU_SF_SG_SH_EUlSU_E_NS1_11comp_targetILNS1_3genE2ELNS1_11target_archE906ELNS1_3gpuE6ELNS1_3repE0EEENS1_48merge_mergepath_partition_config_static_selectorELNS0_4arch9wavefront6targetE0EEEvSG_: ; @_ZN7rocprim17ROCPRIM_400000_NS6detail17trampoline_kernelINS0_14default_configENS1_38merge_sort_block_merge_config_selectorI12hip_bfloat16NS0_10empty_typeEEEZZNS1_27merge_sort_block_merge_implIS3_PS5_PS6_jNS1_19radix_merge_compareILb0ELb0ES5_NS0_19identity_decomposerEEEEE10hipError_tT0_T1_T2_jT3_P12ihipStream_tbPNSt15iterator_traitsISF_E10value_typeEPNSL_ISG_E10value_typeEPSH_NS1_7vsmem_tEENKUlT_SF_SG_SH_E_clIS9_S9_SA_SA_EESE_SU_SF_SG_SH_EUlSU_E_NS1_11comp_targetILNS1_3genE2ELNS1_11target_archE906ELNS1_3gpuE6ELNS1_3repE0EEENS1_48merge_mergepath_partition_config_static_selectorELNS0_4arch9wavefront6targetE0EEEvSG_
; %bb.0:
	.section	.rodata,"a",@progbits
	.p2align	6, 0x0
	.amdhsa_kernel _ZN7rocprim17ROCPRIM_400000_NS6detail17trampoline_kernelINS0_14default_configENS1_38merge_sort_block_merge_config_selectorI12hip_bfloat16NS0_10empty_typeEEEZZNS1_27merge_sort_block_merge_implIS3_PS5_PS6_jNS1_19radix_merge_compareILb0ELb0ES5_NS0_19identity_decomposerEEEEE10hipError_tT0_T1_T2_jT3_P12ihipStream_tbPNSt15iterator_traitsISF_E10value_typeEPNSL_ISG_E10value_typeEPSH_NS1_7vsmem_tEENKUlT_SF_SG_SH_E_clIS9_S9_SA_SA_EESE_SU_SF_SG_SH_EUlSU_E_NS1_11comp_targetILNS1_3genE2ELNS1_11target_archE906ELNS1_3gpuE6ELNS1_3repE0EEENS1_48merge_mergepath_partition_config_static_selectorELNS0_4arch9wavefront6targetE0EEEvSG_
		.amdhsa_group_segment_fixed_size 0
		.amdhsa_private_segment_fixed_size 0
		.amdhsa_kernarg_size 40
		.amdhsa_user_sgpr_count 2
		.amdhsa_user_sgpr_dispatch_ptr 0
		.amdhsa_user_sgpr_queue_ptr 0
		.amdhsa_user_sgpr_kernarg_segment_ptr 1
		.amdhsa_user_sgpr_dispatch_id 0
		.amdhsa_user_sgpr_kernarg_preload_length 0
		.amdhsa_user_sgpr_kernarg_preload_offset 0
		.amdhsa_user_sgpr_private_segment_size 0
		.amdhsa_wavefront_size32 1
		.amdhsa_uses_dynamic_stack 0
		.amdhsa_enable_private_segment 0
		.amdhsa_system_sgpr_workgroup_id_x 1
		.amdhsa_system_sgpr_workgroup_id_y 0
		.amdhsa_system_sgpr_workgroup_id_z 0
		.amdhsa_system_sgpr_workgroup_info 0
		.amdhsa_system_vgpr_workitem_id 0
		.amdhsa_next_free_vgpr 1
		.amdhsa_next_free_sgpr 1
		.amdhsa_named_barrier_count 0
		.amdhsa_reserve_vcc 0
		.amdhsa_float_round_mode_32 0
		.amdhsa_float_round_mode_16_64 0
		.amdhsa_float_denorm_mode_32 3
		.amdhsa_float_denorm_mode_16_64 3
		.amdhsa_fp16_overflow 0
		.amdhsa_memory_ordered 1
		.amdhsa_forward_progress 1
		.amdhsa_inst_pref_size 0
		.amdhsa_round_robin_scheduling 0
		.amdhsa_exception_fp_ieee_invalid_op 0
		.amdhsa_exception_fp_denorm_src 0
		.amdhsa_exception_fp_ieee_div_zero 0
		.amdhsa_exception_fp_ieee_overflow 0
		.amdhsa_exception_fp_ieee_underflow 0
		.amdhsa_exception_fp_ieee_inexact 0
		.amdhsa_exception_int_div_zero 0
	.end_amdhsa_kernel
	.section	.text._ZN7rocprim17ROCPRIM_400000_NS6detail17trampoline_kernelINS0_14default_configENS1_38merge_sort_block_merge_config_selectorI12hip_bfloat16NS0_10empty_typeEEEZZNS1_27merge_sort_block_merge_implIS3_PS5_PS6_jNS1_19radix_merge_compareILb0ELb0ES5_NS0_19identity_decomposerEEEEE10hipError_tT0_T1_T2_jT3_P12ihipStream_tbPNSt15iterator_traitsISF_E10value_typeEPNSL_ISG_E10value_typeEPSH_NS1_7vsmem_tEENKUlT_SF_SG_SH_E_clIS9_S9_SA_SA_EESE_SU_SF_SG_SH_EUlSU_E_NS1_11comp_targetILNS1_3genE2ELNS1_11target_archE906ELNS1_3gpuE6ELNS1_3repE0EEENS1_48merge_mergepath_partition_config_static_selectorELNS0_4arch9wavefront6targetE0EEEvSG_,"axG",@progbits,_ZN7rocprim17ROCPRIM_400000_NS6detail17trampoline_kernelINS0_14default_configENS1_38merge_sort_block_merge_config_selectorI12hip_bfloat16NS0_10empty_typeEEEZZNS1_27merge_sort_block_merge_implIS3_PS5_PS6_jNS1_19radix_merge_compareILb0ELb0ES5_NS0_19identity_decomposerEEEEE10hipError_tT0_T1_T2_jT3_P12ihipStream_tbPNSt15iterator_traitsISF_E10value_typeEPNSL_ISG_E10value_typeEPSH_NS1_7vsmem_tEENKUlT_SF_SG_SH_E_clIS9_S9_SA_SA_EESE_SU_SF_SG_SH_EUlSU_E_NS1_11comp_targetILNS1_3genE2ELNS1_11target_archE906ELNS1_3gpuE6ELNS1_3repE0EEENS1_48merge_mergepath_partition_config_static_selectorELNS0_4arch9wavefront6targetE0EEEvSG_,comdat
.Lfunc_end2014:
	.size	_ZN7rocprim17ROCPRIM_400000_NS6detail17trampoline_kernelINS0_14default_configENS1_38merge_sort_block_merge_config_selectorI12hip_bfloat16NS0_10empty_typeEEEZZNS1_27merge_sort_block_merge_implIS3_PS5_PS6_jNS1_19radix_merge_compareILb0ELb0ES5_NS0_19identity_decomposerEEEEE10hipError_tT0_T1_T2_jT3_P12ihipStream_tbPNSt15iterator_traitsISF_E10value_typeEPNSL_ISG_E10value_typeEPSH_NS1_7vsmem_tEENKUlT_SF_SG_SH_E_clIS9_S9_SA_SA_EESE_SU_SF_SG_SH_EUlSU_E_NS1_11comp_targetILNS1_3genE2ELNS1_11target_archE906ELNS1_3gpuE6ELNS1_3repE0EEENS1_48merge_mergepath_partition_config_static_selectorELNS0_4arch9wavefront6targetE0EEEvSG_, .Lfunc_end2014-_ZN7rocprim17ROCPRIM_400000_NS6detail17trampoline_kernelINS0_14default_configENS1_38merge_sort_block_merge_config_selectorI12hip_bfloat16NS0_10empty_typeEEEZZNS1_27merge_sort_block_merge_implIS3_PS5_PS6_jNS1_19radix_merge_compareILb0ELb0ES5_NS0_19identity_decomposerEEEEE10hipError_tT0_T1_T2_jT3_P12ihipStream_tbPNSt15iterator_traitsISF_E10value_typeEPNSL_ISG_E10value_typeEPSH_NS1_7vsmem_tEENKUlT_SF_SG_SH_E_clIS9_S9_SA_SA_EESE_SU_SF_SG_SH_EUlSU_E_NS1_11comp_targetILNS1_3genE2ELNS1_11target_archE906ELNS1_3gpuE6ELNS1_3repE0EEENS1_48merge_mergepath_partition_config_static_selectorELNS0_4arch9wavefront6targetE0EEEvSG_
                                        ; -- End function
	.set _ZN7rocprim17ROCPRIM_400000_NS6detail17trampoline_kernelINS0_14default_configENS1_38merge_sort_block_merge_config_selectorI12hip_bfloat16NS0_10empty_typeEEEZZNS1_27merge_sort_block_merge_implIS3_PS5_PS6_jNS1_19radix_merge_compareILb0ELb0ES5_NS0_19identity_decomposerEEEEE10hipError_tT0_T1_T2_jT3_P12ihipStream_tbPNSt15iterator_traitsISF_E10value_typeEPNSL_ISG_E10value_typeEPSH_NS1_7vsmem_tEENKUlT_SF_SG_SH_E_clIS9_S9_SA_SA_EESE_SU_SF_SG_SH_EUlSU_E_NS1_11comp_targetILNS1_3genE2ELNS1_11target_archE906ELNS1_3gpuE6ELNS1_3repE0EEENS1_48merge_mergepath_partition_config_static_selectorELNS0_4arch9wavefront6targetE0EEEvSG_.num_vgpr, 0
	.set _ZN7rocprim17ROCPRIM_400000_NS6detail17trampoline_kernelINS0_14default_configENS1_38merge_sort_block_merge_config_selectorI12hip_bfloat16NS0_10empty_typeEEEZZNS1_27merge_sort_block_merge_implIS3_PS5_PS6_jNS1_19radix_merge_compareILb0ELb0ES5_NS0_19identity_decomposerEEEEE10hipError_tT0_T1_T2_jT3_P12ihipStream_tbPNSt15iterator_traitsISF_E10value_typeEPNSL_ISG_E10value_typeEPSH_NS1_7vsmem_tEENKUlT_SF_SG_SH_E_clIS9_S9_SA_SA_EESE_SU_SF_SG_SH_EUlSU_E_NS1_11comp_targetILNS1_3genE2ELNS1_11target_archE906ELNS1_3gpuE6ELNS1_3repE0EEENS1_48merge_mergepath_partition_config_static_selectorELNS0_4arch9wavefront6targetE0EEEvSG_.num_agpr, 0
	.set _ZN7rocprim17ROCPRIM_400000_NS6detail17trampoline_kernelINS0_14default_configENS1_38merge_sort_block_merge_config_selectorI12hip_bfloat16NS0_10empty_typeEEEZZNS1_27merge_sort_block_merge_implIS3_PS5_PS6_jNS1_19radix_merge_compareILb0ELb0ES5_NS0_19identity_decomposerEEEEE10hipError_tT0_T1_T2_jT3_P12ihipStream_tbPNSt15iterator_traitsISF_E10value_typeEPNSL_ISG_E10value_typeEPSH_NS1_7vsmem_tEENKUlT_SF_SG_SH_E_clIS9_S9_SA_SA_EESE_SU_SF_SG_SH_EUlSU_E_NS1_11comp_targetILNS1_3genE2ELNS1_11target_archE906ELNS1_3gpuE6ELNS1_3repE0EEENS1_48merge_mergepath_partition_config_static_selectorELNS0_4arch9wavefront6targetE0EEEvSG_.numbered_sgpr, 0
	.set _ZN7rocprim17ROCPRIM_400000_NS6detail17trampoline_kernelINS0_14default_configENS1_38merge_sort_block_merge_config_selectorI12hip_bfloat16NS0_10empty_typeEEEZZNS1_27merge_sort_block_merge_implIS3_PS5_PS6_jNS1_19radix_merge_compareILb0ELb0ES5_NS0_19identity_decomposerEEEEE10hipError_tT0_T1_T2_jT3_P12ihipStream_tbPNSt15iterator_traitsISF_E10value_typeEPNSL_ISG_E10value_typeEPSH_NS1_7vsmem_tEENKUlT_SF_SG_SH_E_clIS9_S9_SA_SA_EESE_SU_SF_SG_SH_EUlSU_E_NS1_11comp_targetILNS1_3genE2ELNS1_11target_archE906ELNS1_3gpuE6ELNS1_3repE0EEENS1_48merge_mergepath_partition_config_static_selectorELNS0_4arch9wavefront6targetE0EEEvSG_.num_named_barrier, 0
	.set _ZN7rocprim17ROCPRIM_400000_NS6detail17trampoline_kernelINS0_14default_configENS1_38merge_sort_block_merge_config_selectorI12hip_bfloat16NS0_10empty_typeEEEZZNS1_27merge_sort_block_merge_implIS3_PS5_PS6_jNS1_19radix_merge_compareILb0ELb0ES5_NS0_19identity_decomposerEEEEE10hipError_tT0_T1_T2_jT3_P12ihipStream_tbPNSt15iterator_traitsISF_E10value_typeEPNSL_ISG_E10value_typeEPSH_NS1_7vsmem_tEENKUlT_SF_SG_SH_E_clIS9_S9_SA_SA_EESE_SU_SF_SG_SH_EUlSU_E_NS1_11comp_targetILNS1_3genE2ELNS1_11target_archE906ELNS1_3gpuE6ELNS1_3repE0EEENS1_48merge_mergepath_partition_config_static_selectorELNS0_4arch9wavefront6targetE0EEEvSG_.private_seg_size, 0
	.set _ZN7rocprim17ROCPRIM_400000_NS6detail17trampoline_kernelINS0_14default_configENS1_38merge_sort_block_merge_config_selectorI12hip_bfloat16NS0_10empty_typeEEEZZNS1_27merge_sort_block_merge_implIS3_PS5_PS6_jNS1_19radix_merge_compareILb0ELb0ES5_NS0_19identity_decomposerEEEEE10hipError_tT0_T1_T2_jT3_P12ihipStream_tbPNSt15iterator_traitsISF_E10value_typeEPNSL_ISG_E10value_typeEPSH_NS1_7vsmem_tEENKUlT_SF_SG_SH_E_clIS9_S9_SA_SA_EESE_SU_SF_SG_SH_EUlSU_E_NS1_11comp_targetILNS1_3genE2ELNS1_11target_archE906ELNS1_3gpuE6ELNS1_3repE0EEENS1_48merge_mergepath_partition_config_static_selectorELNS0_4arch9wavefront6targetE0EEEvSG_.uses_vcc, 0
	.set _ZN7rocprim17ROCPRIM_400000_NS6detail17trampoline_kernelINS0_14default_configENS1_38merge_sort_block_merge_config_selectorI12hip_bfloat16NS0_10empty_typeEEEZZNS1_27merge_sort_block_merge_implIS3_PS5_PS6_jNS1_19radix_merge_compareILb0ELb0ES5_NS0_19identity_decomposerEEEEE10hipError_tT0_T1_T2_jT3_P12ihipStream_tbPNSt15iterator_traitsISF_E10value_typeEPNSL_ISG_E10value_typeEPSH_NS1_7vsmem_tEENKUlT_SF_SG_SH_E_clIS9_S9_SA_SA_EESE_SU_SF_SG_SH_EUlSU_E_NS1_11comp_targetILNS1_3genE2ELNS1_11target_archE906ELNS1_3gpuE6ELNS1_3repE0EEENS1_48merge_mergepath_partition_config_static_selectorELNS0_4arch9wavefront6targetE0EEEvSG_.uses_flat_scratch, 0
	.set _ZN7rocprim17ROCPRIM_400000_NS6detail17trampoline_kernelINS0_14default_configENS1_38merge_sort_block_merge_config_selectorI12hip_bfloat16NS0_10empty_typeEEEZZNS1_27merge_sort_block_merge_implIS3_PS5_PS6_jNS1_19radix_merge_compareILb0ELb0ES5_NS0_19identity_decomposerEEEEE10hipError_tT0_T1_T2_jT3_P12ihipStream_tbPNSt15iterator_traitsISF_E10value_typeEPNSL_ISG_E10value_typeEPSH_NS1_7vsmem_tEENKUlT_SF_SG_SH_E_clIS9_S9_SA_SA_EESE_SU_SF_SG_SH_EUlSU_E_NS1_11comp_targetILNS1_3genE2ELNS1_11target_archE906ELNS1_3gpuE6ELNS1_3repE0EEENS1_48merge_mergepath_partition_config_static_selectorELNS0_4arch9wavefront6targetE0EEEvSG_.has_dyn_sized_stack, 0
	.set _ZN7rocprim17ROCPRIM_400000_NS6detail17trampoline_kernelINS0_14default_configENS1_38merge_sort_block_merge_config_selectorI12hip_bfloat16NS0_10empty_typeEEEZZNS1_27merge_sort_block_merge_implIS3_PS5_PS6_jNS1_19radix_merge_compareILb0ELb0ES5_NS0_19identity_decomposerEEEEE10hipError_tT0_T1_T2_jT3_P12ihipStream_tbPNSt15iterator_traitsISF_E10value_typeEPNSL_ISG_E10value_typeEPSH_NS1_7vsmem_tEENKUlT_SF_SG_SH_E_clIS9_S9_SA_SA_EESE_SU_SF_SG_SH_EUlSU_E_NS1_11comp_targetILNS1_3genE2ELNS1_11target_archE906ELNS1_3gpuE6ELNS1_3repE0EEENS1_48merge_mergepath_partition_config_static_selectorELNS0_4arch9wavefront6targetE0EEEvSG_.has_recursion, 0
	.set _ZN7rocprim17ROCPRIM_400000_NS6detail17trampoline_kernelINS0_14default_configENS1_38merge_sort_block_merge_config_selectorI12hip_bfloat16NS0_10empty_typeEEEZZNS1_27merge_sort_block_merge_implIS3_PS5_PS6_jNS1_19radix_merge_compareILb0ELb0ES5_NS0_19identity_decomposerEEEEE10hipError_tT0_T1_T2_jT3_P12ihipStream_tbPNSt15iterator_traitsISF_E10value_typeEPNSL_ISG_E10value_typeEPSH_NS1_7vsmem_tEENKUlT_SF_SG_SH_E_clIS9_S9_SA_SA_EESE_SU_SF_SG_SH_EUlSU_E_NS1_11comp_targetILNS1_3genE2ELNS1_11target_archE906ELNS1_3gpuE6ELNS1_3repE0EEENS1_48merge_mergepath_partition_config_static_selectorELNS0_4arch9wavefront6targetE0EEEvSG_.has_indirect_call, 0
	.section	.AMDGPU.csdata,"",@progbits
; Kernel info:
; codeLenInByte = 0
; TotalNumSgprs: 0
; NumVgprs: 0
; ScratchSize: 0
; MemoryBound: 0
; FloatMode: 240
; IeeeMode: 1
; LDSByteSize: 0 bytes/workgroup (compile time only)
; SGPRBlocks: 0
; VGPRBlocks: 0
; NumSGPRsForWavesPerEU: 1
; NumVGPRsForWavesPerEU: 1
; NamedBarCnt: 0
; Occupancy: 16
; WaveLimiterHint : 0
; COMPUTE_PGM_RSRC2:SCRATCH_EN: 0
; COMPUTE_PGM_RSRC2:USER_SGPR: 2
; COMPUTE_PGM_RSRC2:TRAP_HANDLER: 0
; COMPUTE_PGM_RSRC2:TGID_X_EN: 1
; COMPUTE_PGM_RSRC2:TGID_Y_EN: 0
; COMPUTE_PGM_RSRC2:TGID_Z_EN: 0
; COMPUTE_PGM_RSRC2:TIDIG_COMP_CNT: 0
	.section	.text._ZN7rocprim17ROCPRIM_400000_NS6detail17trampoline_kernelINS0_14default_configENS1_38merge_sort_block_merge_config_selectorI12hip_bfloat16NS0_10empty_typeEEEZZNS1_27merge_sort_block_merge_implIS3_PS5_PS6_jNS1_19radix_merge_compareILb0ELb0ES5_NS0_19identity_decomposerEEEEE10hipError_tT0_T1_T2_jT3_P12ihipStream_tbPNSt15iterator_traitsISF_E10value_typeEPNSL_ISG_E10value_typeEPSH_NS1_7vsmem_tEENKUlT_SF_SG_SH_E_clIS9_S9_SA_SA_EESE_SU_SF_SG_SH_EUlSU_E_NS1_11comp_targetILNS1_3genE9ELNS1_11target_archE1100ELNS1_3gpuE3ELNS1_3repE0EEENS1_48merge_mergepath_partition_config_static_selectorELNS0_4arch9wavefront6targetE0EEEvSG_,"axG",@progbits,_ZN7rocprim17ROCPRIM_400000_NS6detail17trampoline_kernelINS0_14default_configENS1_38merge_sort_block_merge_config_selectorI12hip_bfloat16NS0_10empty_typeEEEZZNS1_27merge_sort_block_merge_implIS3_PS5_PS6_jNS1_19radix_merge_compareILb0ELb0ES5_NS0_19identity_decomposerEEEEE10hipError_tT0_T1_T2_jT3_P12ihipStream_tbPNSt15iterator_traitsISF_E10value_typeEPNSL_ISG_E10value_typeEPSH_NS1_7vsmem_tEENKUlT_SF_SG_SH_E_clIS9_S9_SA_SA_EESE_SU_SF_SG_SH_EUlSU_E_NS1_11comp_targetILNS1_3genE9ELNS1_11target_archE1100ELNS1_3gpuE3ELNS1_3repE0EEENS1_48merge_mergepath_partition_config_static_selectorELNS0_4arch9wavefront6targetE0EEEvSG_,comdat
	.protected	_ZN7rocprim17ROCPRIM_400000_NS6detail17trampoline_kernelINS0_14default_configENS1_38merge_sort_block_merge_config_selectorI12hip_bfloat16NS0_10empty_typeEEEZZNS1_27merge_sort_block_merge_implIS3_PS5_PS6_jNS1_19radix_merge_compareILb0ELb0ES5_NS0_19identity_decomposerEEEEE10hipError_tT0_T1_T2_jT3_P12ihipStream_tbPNSt15iterator_traitsISF_E10value_typeEPNSL_ISG_E10value_typeEPSH_NS1_7vsmem_tEENKUlT_SF_SG_SH_E_clIS9_S9_SA_SA_EESE_SU_SF_SG_SH_EUlSU_E_NS1_11comp_targetILNS1_3genE9ELNS1_11target_archE1100ELNS1_3gpuE3ELNS1_3repE0EEENS1_48merge_mergepath_partition_config_static_selectorELNS0_4arch9wavefront6targetE0EEEvSG_ ; -- Begin function _ZN7rocprim17ROCPRIM_400000_NS6detail17trampoline_kernelINS0_14default_configENS1_38merge_sort_block_merge_config_selectorI12hip_bfloat16NS0_10empty_typeEEEZZNS1_27merge_sort_block_merge_implIS3_PS5_PS6_jNS1_19radix_merge_compareILb0ELb0ES5_NS0_19identity_decomposerEEEEE10hipError_tT0_T1_T2_jT3_P12ihipStream_tbPNSt15iterator_traitsISF_E10value_typeEPNSL_ISG_E10value_typeEPSH_NS1_7vsmem_tEENKUlT_SF_SG_SH_E_clIS9_S9_SA_SA_EESE_SU_SF_SG_SH_EUlSU_E_NS1_11comp_targetILNS1_3genE9ELNS1_11target_archE1100ELNS1_3gpuE3ELNS1_3repE0EEENS1_48merge_mergepath_partition_config_static_selectorELNS0_4arch9wavefront6targetE0EEEvSG_
	.globl	_ZN7rocprim17ROCPRIM_400000_NS6detail17trampoline_kernelINS0_14default_configENS1_38merge_sort_block_merge_config_selectorI12hip_bfloat16NS0_10empty_typeEEEZZNS1_27merge_sort_block_merge_implIS3_PS5_PS6_jNS1_19radix_merge_compareILb0ELb0ES5_NS0_19identity_decomposerEEEEE10hipError_tT0_T1_T2_jT3_P12ihipStream_tbPNSt15iterator_traitsISF_E10value_typeEPNSL_ISG_E10value_typeEPSH_NS1_7vsmem_tEENKUlT_SF_SG_SH_E_clIS9_S9_SA_SA_EESE_SU_SF_SG_SH_EUlSU_E_NS1_11comp_targetILNS1_3genE9ELNS1_11target_archE1100ELNS1_3gpuE3ELNS1_3repE0EEENS1_48merge_mergepath_partition_config_static_selectorELNS0_4arch9wavefront6targetE0EEEvSG_
	.p2align	8
	.type	_ZN7rocprim17ROCPRIM_400000_NS6detail17trampoline_kernelINS0_14default_configENS1_38merge_sort_block_merge_config_selectorI12hip_bfloat16NS0_10empty_typeEEEZZNS1_27merge_sort_block_merge_implIS3_PS5_PS6_jNS1_19radix_merge_compareILb0ELb0ES5_NS0_19identity_decomposerEEEEE10hipError_tT0_T1_T2_jT3_P12ihipStream_tbPNSt15iterator_traitsISF_E10value_typeEPNSL_ISG_E10value_typeEPSH_NS1_7vsmem_tEENKUlT_SF_SG_SH_E_clIS9_S9_SA_SA_EESE_SU_SF_SG_SH_EUlSU_E_NS1_11comp_targetILNS1_3genE9ELNS1_11target_archE1100ELNS1_3gpuE3ELNS1_3repE0EEENS1_48merge_mergepath_partition_config_static_selectorELNS0_4arch9wavefront6targetE0EEEvSG_,@function
_ZN7rocprim17ROCPRIM_400000_NS6detail17trampoline_kernelINS0_14default_configENS1_38merge_sort_block_merge_config_selectorI12hip_bfloat16NS0_10empty_typeEEEZZNS1_27merge_sort_block_merge_implIS3_PS5_PS6_jNS1_19radix_merge_compareILb0ELb0ES5_NS0_19identity_decomposerEEEEE10hipError_tT0_T1_T2_jT3_P12ihipStream_tbPNSt15iterator_traitsISF_E10value_typeEPNSL_ISG_E10value_typeEPSH_NS1_7vsmem_tEENKUlT_SF_SG_SH_E_clIS9_S9_SA_SA_EESE_SU_SF_SG_SH_EUlSU_E_NS1_11comp_targetILNS1_3genE9ELNS1_11target_archE1100ELNS1_3gpuE3ELNS1_3repE0EEENS1_48merge_mergepath_partition_config_static_selectorELNS0_4arch9wavefront6targetE0EEEvSG_: ; @_ZN7rocprim17ROCPRIM_400000_NS6detail17trampoline_kernelINS0_14default_configENS1_38merge_sort_block_merge_config_selectorI12hip_bfloat16NS0_10empty_typeEEEZZNS1_27merge_sort_block_merge_implIS3_PS5_PS6_jNS1_19radix_merge_compareILb0ELb0ES5_NS0_19identity_decomposerEEEEE10hipError_tT0_T1_T2_jT3_P12ihipStream_tbPNSt15iterator_traitsISF_E10value_typeEPNSL_ISG_E10value_typeEPSH_NS1_7vsmem_tEENKUlT_SF_SG_SH_E_clIS9_S9_SA_SA_EESE_SU_SF_SG_SH_EUlSU_E_NS1_11comp_targetILNS1_3genE9ELNS1_11target_archE1100ELNS1_3gpuE3ELNS1_3repE0EEENS1_48merge_mergepath_partition_config_static_selectorELNS0_4arch9wavefront6targetE0EEEvSG_
; %bb.0:
	.section	.rodata,"a",@progbits
	.p2align	6, 0x0
	.amdhsa_kernel _ZN7rocprim17ROCPRIM_400000_NS6detail17trampoline_kernelINS0_14default_configENS1_38merge_sort_block_merge_config_selectorI12hip_bfloat16NS0_10empty_typeEEEZZNS1_27merge_sort_block_merge_implIS3_PS5_PS6_jNS1_19radix_merge_compareILb0ELb0ES5_NS0_19identity_decomposerEEEEE10hipError_tT0_T1_T2_jT3_P12ihipStream_tbPNSt15iterator_traitsISF_E10value_typeEPNSL_ISG_E10value_typeEPSH_NS1_7vsmem_tEENKUlT_SF_SG_SH_E_clIS9_S9_SA_SA_EESE_SU_SF_SG_SH_EUlSU_E_NS1_11comp_targetILNS1_3genE9ELNS1_11target_archE1100ELNS1_3gpuE3ELNS1_3repE0EEENS1_48merge_mergepath_partition_config_static_selectorELNS0_4arch9wavefront6targetE0EEEvSG_
		.amdhsa_group_segment_fixed_size 0
		.amdhsa_private_segment_fixed_size 0
		.amdhsa_kernarg_size 40
		.amdhsa_user_sgpr_count 2
		.amdhsa_user_sgpr_dispatch_ptr 0
		.amdhsa_user_sgpr_queue_ptr 0
		.amdhsa_user_sgpr_kernarg_segment_ptr 1
		.amdhsa_user_sgpr_dispatch_id 0
		.amdhsa_user_sgpr_kernarg_preload_length 0
		.amdhsa_user_sgpr_kernarg_preload_offset 0
		.amdhsa_user_sgpr_private_segment_size 0
		.amdhsa_wavefront_size32 1
		.amdhsa_uses_dynamic_stack 0
		.amdhsa_enable_private_segment 0
		.amdhsa_system_sgpr_workgroup_id_x 1
		.amdhsa_system_sgpr_workgroup_id_y 0
		.amdhsa_system_sgpr_workgroup_id_z 0
		.amdhsa_system_sgpr_workgroup_info 0
		.amdhsa_system_vgpr_workitem_id 0
		.amdhsa_next_free_vgpr 1
		.amdhsa_next_free_sgpr 1
		.amdhsa_named_barrier_count 0
		.amdhsa_reserve_vcc 0
		.amdhsa_float_round_mode_32 0
		.amdhsa_float_round_mode_16_64 0
		.amdhsa_float_denorm_mode_32 3
		.amdhsa_float_denorm_mode_16_64 3
		.amdhsa_fp16_overflow 0
		.amdhsa_memory_ordered 1
		.amdhsa_forward_progress 1
		.amdhsa_inst_pref_size 0
		.amdhsa_round_robin_scheduling 0
		.amdhsa_exception_fp_ieee_invalid_op 0
		.amdhsa_exception_fp_denorm_src 0
		.amdhsa_exception_fp_ieee_div_zero 0
		.amdhsa_exception_fp_ieee_overflow 0
		.amdhsa_exception_fp_ieee_underflow 0
		.amdhsa_exception_fp_ieee_inexact 0
		.amdhsa_exception_int_div_zero 0
	.end_amdhsa_kernel
	.section	.text._ZN7rocprim17ROCPRIM_400000_NS6detail17trampoline_kernelINS0_14default_configENS1_38merge_sort_block_merge_config_selectorI12hip_bfloat16NS0_10empty_typeEEEZZNS1_27merge_sort_block_merge_implIS3_PS5_PS6_jNS1_19radix_merge_compareILb0ELb0ES5_NS0_19identity_decomposerEEEEE10hipError_tT0_T1_T2_jT3_P12ihipStream_tbPNSt15iterator_traitsISF_E10value_typeEPNSL_ISG_E10value_typeEPSH_NS1_7vsmem_tEENKUlT_SF_SG_SH_E_clIS9_S9_SA_SA_EESE_SU_SF_SG_SH_EUlSU_E_NS1_11comp_targetILNS1_3genE9ELNS1_11target_archE1100ELNS1_3gpuE3ELNS1_3repE0EEENS1_48merge_mergepath_partition_config_static_selectorELNS0_4arch9wavefront6targetE0EEEvSG_,"axG",@progbits,_ZN7rocprim17ROCPRIM_400000_NS6detail17trampoline_kernelINS0_14default_configENS1_38merge_sort_block_merge_config_selectorI12hip_bfloat16NS0_10empty_typeEEEZZNS1_27merge_sort_block_merge_implIS3_PS5_PS6_jNS1_19radix_merge_compareILb0ELb0ES5_NS0_19identity_decomposerEEEEE10hipError_tT0_T1_T2_jT3_P12ihipStream_tbPNSt15iterator_traitsISF_E10value_typeEPNSL_ISG_E10value_typeEPSH_NS1_7vsmem_tEENKUlT_SF_SG_SH_E_clIS9_S9_SA_SA_EESE_SU_SF_SG_SH_EUlSU_E_NS1_11comp_targetILNS1_3genE9ELNS1_11target_archE1100ELNS1_3gpuE3ELNS1_3repE0EEENS1_48merge_mergepath_partition_config_static_selectorELNS0_4arch9wavefront6targetE0EEEvSG_,comdat
.Lfunc_end2015:
	.size	_ZN7rocprim17ROCPRIM_400000_NS6detail17trampoline_kernelINS0_14default_configENS1_38merge_sort_block_merge_config_selectorI12hip_bfloat16NS0_10empty_typeEEEZZNS1_27merge_sort_block_merge_implIS3_PS5_PS6_jNS1_19radix_merge_compareILb0ELb0ES5_NS0_19identity_decomposerEEEEE10hipError_tT0_T1_T2_jT3_P12ihipStream_tbPNSt15iterator_traitsISF_E10value_typeEPNSL_ISG_E10value_typeEPSH_NS1_7vsmem_tEENKUlT_SF_SG_SH_E_clIS9_S9_SA_SA_EESE_SU_SF_SG_SH_EUlSU_E_NS1_11comp_targetILNS1_3genE9ELNS1_11target_archE1100ELNS1_3gpuE3ELNS1_3repE0EEENS1_48merge_mergepath_partition_config_static_selectorELNS0_4arch9wavefront6targetE0EEEvSG_, .Lfunc_end2015-_ZN7rocprim17ROCPRIM_400000_NS6detail17trampoline_kernelINS0_14default_configENS1_38merge_sort_block_merge_config_selectorI12hip_bfloat16NS0_10empty_typeEEEZZNS1_27merge_sort_block_merge_implIS3_PS5_PS6_jNS1_19radix_merge_compareILb0ELb0ES5_NS0_19identity_decomposerEEEEE10hipError_tT0_T1_T2_jT3_P12ihipStream_tbPNSt15iterator_traitsISF_E10value_typeEPNSL_ISG_E10value_typeEPSH_NS1_7vsmem_tEENKUlT_SF_SG_SH_E_clIS9_S9_SA_SA_EESE_SU_SF_SG_SH_EUlSU_E_NS1_11comp_targetILNS1_3genE9ELNS1_11target_archE1100ELNS1_3gpuE3ELNS1_3repE0EEENS1_48merge_mergepath_partition_config_static_selectorELNS0_4arch9wavefront6targetE0EEEvSG_
                                        ; -- End function
	.set _ZN7rocprim17ROCPRIM_400000_NS6detail17trampoline_kernelINS0_14default_configENS1_38merge_sort_block_merge_config_selectorI12hip_bfloat16NS0_10empty_typeEEEZZNS1_27merge_sort_block_merge_implIS3_PS5_PS6_jNS1_19radix_merge_compareILb0ELb0ES5_NS0_19identity_decomposerEEEEE10hipError_tT0_T1_T2_jT3_P12ihipStream_tbPNSt15iterator_traitsISF_E10value_typeEPNSL_ISG_E10value_typeEPSH_NS1_7vsmem_tEENKUlT_SF_SG_SH_E_clIS9_S9_SA_SA_EESE_SU_SF_SG_SH_EUlSU_E_NS1_11comp_targetILNS1_3genE9ELNS1_11target_archE1100ELNS1_3gpuE3ELNS1_3repE0EEENS1_48merge_mergepath_partition_config_static_selectorELNS0_4arch9wavefront6targetE0EEEvSG_.num_vgpr, 0
	.set _ZN7rocprim17ROCPRIM_400000_NS6detail17trampoline_kernelINS0_14default_configENS1_38merge_sort_block_merge_config_selectorI12hip_bfloat16NS0_10empty_typeEEEZZNS1_27merge_sort_block_merge_implIS3_PS5_PS6_jNS1_19radix_merge_compareILb0ELb0ES5_NS0_19identity_decomposerEEEEE10hipError_tT0_T1_T2_jT3_P12ihipStream_tbPNSt15iterator_traitsISF_E10value_typeEPNSL_ISG_E10value_typeEPSH_NS1_7vsmem_tEENKUlT_SF_SG_SH_E_clIS9_S9_SA_SA_EESE_SU_SF_SG_SH_EUlSU_E_NS1_11comp_targetILNS1_3genE9ELNS1_11target_archE1100ELNS1_3gpuE3ELNS1_3repE0EEENS1_48merge_mergepath_partition_config_static_selectorELNS0_4arch9wavefront6targetE0EEEvSG_.num_agpr, 0
	.set _ZN7rocprim17ROCPRIM_400000_NS6detail17trampoline_kernelINS0_14default_configENS1_38merge_sort_block_merge_config_selectorI12hip_bfloat16NS0_10empty_typeEEEZZNS1_27merge_sort_block_merge_implIS3_PS5_PS6_jNS1_19radix_merge_compareILb0ELb0ES5_NS0_19identity_decomposerEEEEE10hipError_tT0_T1_T2_jT3_P12ihipStream_tbPNSt15iterator_traitsISF_E10value_typeEPNSL_ISG_E10value_typeEPSH_NS1_7vsmem_tEENKUlT_SF_SG_SH_E_clIS9_S9_SA_SA_EESE_SU_SF_SG_SH_EUlSU_E_NS1_11comp_targetILNS1_3genE9ELNS1_11target_archE1100ELNS1_3gpuE3ELNS1_3repE0EEENS1_48merge_mergepath_partition_config_static_selectorELNS0_4arch9wavefront6targetE0EEEvSG_.numbered_sgpr, 0
	.set _ZN7rocprim17ROCPRIM_400000_NS6detail17trampoline_kernelINS0_14default_configENS1_38merge_sort_block_merge_config_selectorI12hip_bfloat16NS0_10empty_typeEEEZZNS1_27merge_sort_block_merge_implIS3_PS5_PS6_jNS1_19radix_merge_compareILb0ELb0ES5_NS0_19identity_decomposerEEEEE10hipError_tT0_T1_T2_jT3_P12ihipStream_tbPNSt15iterator_traitsISF_E10value_typeEPNSL_ISG_E10value_typeEPSH_NS1_7vsmem_tEENKUlT_SF_SG_SH_E_clIS9_S9_SA_SA_EESE_SU_SF_SG_SH_EUlSU_E_NS1_11comp_targetILNS1_3genE9ELNS1_11target_archE1100ELNS1_3gpuE3ELNS1_3repE0EEENS1_48merge_mergepath_partition_config_static_selectorELNS0_4arch9wavefront6targetE0EEEvSG_.num_named_barrier, 0
	.set _ZN7rocprim17ROCPRIM_400000_NS6detail17trampoline_kernelINS0_14default_configENS1_38merge_sort_block_merge_config_selectorI12hip_bfloat16NS0_10empty_typeEEEZZNS1_27merge_sort_block_merge_implIS3_PS5_PS6_jNS1_19radix_merge_compareILb0ELb0ES5_NS0_19identity_decomposerEEEEE10hipError_tT0_T1_T2_jT3_P12ihipStream_tbPNSt15iterator_traitsISF_E10value_typeEPNSL_ISG_E10value_typeEPSH_NS1_7vsmem_tEENKUlT_SF_SG_SH_E_clIS9_S9_SA_SA_EESE_SU_SF_SG_SH_EUlSU_E_NS1_11comp_targetILNS1_3genE9ELNS1_11target_archE1100ELNS1_3gpuE3ELNS1_3repE0EEENS1_48merge_mergepath_partition_config_static_selectorELNS0_4arch9wavefront6targetE0EEEvSG_.private_seg_size, 0
	.set _ZN7rocprim17ROCPRIM_400000_NS6detail17trampoline_kernelINS0_14default_configENS1_38merge_sort_block_merge_config_selectorI12hip_bfloat16NS0_10empty_typeEEEZZNS1_27merge_sort_block_merge_implIS3_PS5_PS6_jNS1_19radix_merge_compareILb0ELb0ES5_NS0_19identity_decomposerEEEEE10hipError_tT0_T1_T2_jT3_P12ihipStream_tbPNSt15iterator_traitsISF_E10value_typeEPNSL_ISG_E10value_typeEPSH_NS1_7vsmem_tEENKUlT_SF_SG_SH_E_clIS9_S9_SA_SA_EESE_SU_SF_SG_SH_EUlSU_E_NS1_11comp_targetILNS1_3genE9ELNS1_11target_archE1100ELNS1_3gpuE3ELNS1_3repE0EEENS1_48merge_mergepath_partition_config_static_selectorELNS0_4arch9wavefront6targetE0EEEvSG_.uses_vcc, 0
	.set _ZN7rocprim17ROCPRIM_400000_NS6detail17trampoline_kernelINS0_14default_configENS1_38merge_sort_block_merge_config_selectorI12hip_bfloat16NS0_10empty_typeEEEZZNS1_27merge_sort_block_merge_implIS3_PS5_PS6_jNS1_19radix_merge_compareILb0ELb0ES5_NS0_19identity_decomposerEEEEE10hipError_tT0_T1_T2_jT3_P12ihipStream_tbPNSt15iterator_traitsISF_E10value_typeEPNSL_ISG_E10value_typeEPSH_NS1_7vsmem_tEENKUlT_SF_SG_SH_E_clIS9_S9_SA_SA_EESE_SU_SF_SG_SH_EUlSU_E_NS1_11comp_targetILNS1_3genE9ELNS1_11target_archE1100ELNS1_3gpuE3ELNS1_3repE0EEENS1_48merge_mergepath_partition_config_static_selectorELNS0_4arch9wavefront6targetE0EEEvSG_.uses_flat_scratch, 0
	.set _ZN7rocprim17ROCPRIM_400000_NS6detail17trampoline_kernelINS0_14default_configENS1_38merge_sort_block_merge_config_selectorI12hip_bfloat16NS0_10empty_typeEEEZZNS1_27merge_sort_block_merge_implIS3_PS5_PS6_jNS1_19radix_merge_compareILb0ELb0ES5_NS0_19identity_decomposerEEEEE10hipError_tT0_T1_T2_jT3_P12ihipStream_tbPNSt15iterator_traitsISF_E10value_typeEPNSL_ISG_E10value_typeEPSH_NS1_7vsmem_tEENKUlT_SF_SG_SH_E_clIS9_S9_SA_SA_EESE_SU_SF_SG_SH_EUlSU_E_NS1_11comp_targetILNS1_3genE9ELNS1_11target_archE1100ELNS1_3gpuE3ELNS1_3repE0EEENS1_48merge_mergepath_partition_config_static_selectorELNS0_4arch9wavefront6targetE0EEEvSG_.has_dyn_sized_stack, 0
	.set _ZN7rocprim17ROCPRIM_400000_NS6detail17trampoline_kernelINS0_14default_configENS1_38merge_sort_block_merge_config_selectorI12hip_bfloat16NS0_10empty_typeEEEZZNS1_27merge_sort_block_merge_implIS3_PS5_PS6_jNS1_19radix_merge_compareILb0ELb0ES5_NS0_19identity_decomposerEEEEE10hipError_tT0_T1_T2_jT3_P12ihipStream_tbPNSt15iterator_traitsISF_E10value_typeEPNSL_ISG_E10value_typeEPSH_NS1_7vsmem_tEENKUlT_SF_SG_SH_E_clIS9_S9_SA_SA_EESE_SU_SF_SG_SH_EUlSU_E_NS1_11comp_targetILNS1_3genE9ELNS1_11target_archE1100ELNS1_3gpuE3ELNS1_3repE0EEENS1_48merge_mergepath_partition_config_static_selectorELNS0_4arch9wavefront6targetE0EEEvSG_.has_recursion, 0
	.set _ZN7rocprim17ROCPRIM_400000_NS6detail17trampoline_kernelINS0_14default_configENS1_38merge_sort_block_merge_config_selectorI12hip_bfloat16NS0_10empty_typeEEEZZNS1_27merge_sort_block_merge_implIS3_PS5_PS6_jNS1_19radix_merge_compareILb0ELb0ES5_NS0_19identity_decomposerEEEEE10hipError_tT0_T1_T2_jT3_P12ihipStream_tbPNSt15iterator_traitsISF_E10value_typeEPNSL_ISG_E10value_typeEPSH_NS1_7vsmem_tEENKUlT_SF_SG_SH_E_clIS9_S9_SA_SA_EESE_SU_SF_SG_SH_EUlSU_E_NS1_11comp_targetILNS1_3genE9ELNS1_11target_archE1100ELNS1_3gpuE3ELNS1_3repE0EEENS1_48merge_mergepath_partition_config_static_selectorELNS0_4arch9wavefront6targetE0EEEvSG_.has_indirect_call, 0
	.section	.AMDGPU.csdata,"",@progbits
; Kernel info:
; codeLenInByte = 0
; TotalNumSgprs: 0
; NumVgprs: 0
; ScratchSize: 0
; MemoryBound: 0
; FloatMode: 240
; IeeeMode: 1
; LDSByteSize: 0 bytes/workgroup (compile time only)
; SGPRBlocks: 0
; VGPRBlocks: 0
; NumSGPRsForWavesPerEU: 1
; NumVGPRsForWavesPerEU: 1
; NamedBarCnt: 0
; Occupancy: 16
; WaveLimiterHint : 0
; COMPUTE_PGM_RSRC2:SCRATCH_EN: 0
; COMPUTE_PGM_RSRC2:USER_SGPR: 2
; COMPUTE_PGM_RSRC2:TRAP_HANDLER: 0
; COMPUTE_PGM_RSRC2:TGID_X_EN: 1
; COMPUTE_PGM_RSRC2:TGID_Y_EN: 0
; COMPUTE_PGM_RSRC2:TGID_Z_EN: 0
; COMPUTE_PGM_RSRC2:TIDIG_COMP_CNT: 0
	.section	.text._ZN7rocprim17ROCPRIM_400000_NS6detail17trampoline_kernelINS0_14default_configENS1_38merge_sort_block_merge_config_selectorI12hip_bfloat16NS0_10empty_typeEEEZZNS1_27merge_sort_block_merge_implIS3_PS5_PS6_jNS1_19radix_merge_compareILb0ELb0ES5_NS0_19identity_decomposerEEEEE10hipError_tT0_T1_T2_jT3_P12ihipStream_tbPNSt15iterator_traitsISF_E10value_typeEPNSL_ISG_E10value_typeEPSH_NS1_7vsmem_tEENKUlT_SF_SG_SH_E_clIS9_S9_SA_SA_EESE_SU_SF_SG_SH_EUlSU_E_NS1_11comp_targetILNS1_3genE8ELNS1_11target_archE1030ELNS1_3gpuE2ELNS1_3repE0EEENS1_48merge_mergepath_partition_config_static_selectorELNS0_4arch9wavefront6targetE0EEEvSG_,"axG",@progbits,_ZN7rocprim17ROCPRIM_400000_NS6detail17trampoline_kernelINS0_14default_configENS1_38merge_sort_block_merge_config_selectorI12hip_bfloat16NS0_10empty_typeEEEZZNS1_27merge_sort_block_merge_implIS3_PS5_PS6_jNS1_19radix_merge_compareILb0ELb0ES5_NS0_19identity_decomposerEEEEE10hipError_tT0_T1_T2_jT3_P12ihipStream_tbPNSt15iterator_traitsISF_E10value_typeEPNSL_ISG_E10value_typeEPSH_NS1_7vsmem_tEENKUlT_SF_SG_SH_E_clIS9_S9_SA_SA_EESE_SU_SF_SG_SH_EUlSU_E_NS1_11comp_targetILNS1_3genE8ELNS1_11target_archE1030ELNS1_3gpuE2ELNS1_3repE0EEENS1_48merge_mergepath_partition_config_static_selectorELNS0_4arch9wavefront6targetE0EEEvSG_,comdat
	.protected	_ZN7rocprim17ROCPRIM_400000_NS6detail17trampoline_kernelINS0_14default_configENS1_38merge_sort_block_merge_config_selectorI12hip_bfloat16NS0_10empty_typeEEEZZNS1_27merge_sort_block_merge_implIS3_PS5_PS6_jNS1_19radix_merge_compareILb0ELb0ES5_NS0_19identity_decomposerEEEEE10hipError_tT0_T1_T2_jT3_P12ihipStream_tbPNSt15iterator_traitsISF_E10value_typeEPNSL_ISG_E10value_typeEPSH_NS1_7vsmem_tEENKUlT_SF_SG_SH_E_clIS9_S9_SA_SA_EESE_SU_SF_SG_SH_EUlSU_E_NS1_11comp_targetILNS1_3genE8ELNS1_11target_archE1030ELNS1_3gpuE2ELNS1_3repE0EEENS1_48merge_mergepath_partition_config_static_selectorELNS0_4arch9wavefront6targetE0EEEvSG_ ; -- Begin function _ZN7rocprim17ROCPRIM_400000_NS6detail17trampoline_kernelINS0_14default_configENS1_38merge_sort_block_merge_config_selectorI12hip_bfloat16NS0_10empty_typeEEEZZNS1_27merge_sort_block_merge_implIS3_PS5_PS6_jNS1_19radix_merge_compareILb0ELb0ES5_NS0_19identity_decomposerEEEEE10hipError_tT0_T1_T2_jT3_P12ihipStream_tbPNSt15iterator_traitsISF_E10value_typeEPNSL_ISG_E10value_typeEPSH_NS1_7vsmem_tEENKUlT_SF_SG_SH_E_clIS9_S9_SA_SA_EESE_SU_SF_SG_SH_EUlSU_E_NS1_11comp_targetILNS1_3genE8ELNS1_11target_archE1030ELNS1_3gpuE2ELNS1_3repE0EEENS1_48merge_mergepath_partition_config_static_selectorELNS0_4arch9wavefront6targetE0EEEvSG_
	.globl	_ZN7rocprim17ROCPRIM_400000_NS6detail17trampoline_kernelINS0_14default_configENS1_38merge_sort_block_merge_config_selectorI12hip_bfloat16NS0_10empty_typeEEEZZNS1_27merge_sort_block_merge_implIS3_PS5_PS6_jNS1_19radix_merge_compareILb0ELb0ES5_NS0_19identity_decomposerEEEEE10hipError_tT0_T1_T2_jT3_P12ihipStream_tbPNSt15iterator_traitsISF_E10value_typeEPNSL_ISG_E10value_typeEPSH_NS1_7vsmem_tEENKUlT_SF_SG_SH_E_clIS9_S9_SA_SA_EESE_SU_SF_SG_SH_EUlSU_E_NS1_11comp_targetILNS1_3genE8ELNS1_11target_archE1030ELNS1_3gpuE2ELNS1_3repE0EEENS1_48merge_mergepath_partition_config_static_selectorELNS0_4arch9wavefront6targetE0EEEvSG_
	.p2align	8
	.type	_ZN7rocprim17ROCPRIM_400000_NS6detail17trampoline_kernelINS0_14default_configENS1_38merge_sort_block_merge_config_selectorI12hip_bfloat16NS0_10empty_typeEEEZZNS1_27merge_sort_block_merge_implIS3_PS5_PS6_jNS1_19radix_merge_compareILb0ELb0ES5_NS0_19identity_decomposerEEEEE10hipError_tT0_T1_T2_jT3_P12ihipStream_tbPNSt15iterator_traitsISF_E10value_typeEPNSL_ISG_E10value_typeEPSH_NS1_7vsmem_tEENKUlT_SF_SG_SH_E_clIS9_S9_SA_SA_EESE_SU_SF_SG_SH_EUlSU_E_NS1_11comp_targetILNS1_3genE8ELNS1_11target_archE1030ELNS1_3gpuE2ELNS1_3repE0EEENS1_48merge_mergepath_partition_config_static_selectorELNS0_4arch9wavefront6targetE0EEEvSG_,@function
_ZN7rocprim17ROCPRIM_400000_NS6detail17trampoline_kernelINS0_14default_configENS1_38merge_sort_block_merge_config_selectorI12hip_bfloat16NS0_10empty_typeEEEZZNS1_27merge_sort_block_merge_implIS3_PS5_PS6_jNS1_19radix_merge_compareILb0ELb0ES5_NS0_19identity_decomposerEEEEE10hipError_tT0_T1_T2_jT3_P12ihipStream_tbPNSt15iterator_traitsISF_E10value_typeEPNSL_ISG_E10value_typeEPSH_NS1_7vsmem_tEENKUlT_SF_SG_SH_E_clIS9_S9_SA_SA_EESE_SU_SF_SG_SH_EUlSU_E_NS1_11comp_targetILNS1_3genE8ELNS1_11target_archE1030ELNS1_3gpuE2ELNS1_3repE0EEENS1_48merge_mergepath_partition_config_static_selectorELNS0_4arch9wavefront6targetE0EEEvSG_: ; @_ZN7rocprim17ROCPRIM_400000_NS6detail17trampoline_kernelINS0_14default_configENS1_38merge_sort_block_merge_config_selectorI12hip_bfloat16NS0_10empty_typeEEEZZNS1_27merge_sort_block_merge_implIS3_PS5_PS6_jNS1_19radix_merge_compareILb0ELb0ES5_NS0_19identity_decomposerEEEEE10hipError_tT0_T1_T2_jT3_P12ihipStream_tbPNSt15iterator_traitsISF_E10value_typeEPNSL_ISG_E10value_typeEPSH_NS1_7vsmem_tEENKUlT_SF_SG_SH_E_clIS9_S9_SA_SA_EESE_SU_SF_SG_SH_EUlSU_E_NS1_11comp_targetILNS1_3genE8ELNS1_11target_archE1030ELNS1_3gpuE2ELNS1_3repE0EEENS1_48merge_mergepath_partition_config_static_selectorELNS0_4arch9wavefront6targetE0EEEvSG_
; %bb.0:
	.section	.rodata,"a",@progbits
	.p2align	6, 0x0
	.amdhsa_kernel _ZN7rocprim17ROCPRIM_400000_NS6detail17trampoline_kernelINS0_14default_configENS1_38merge_sort_block_merge_config_selectorI12hip_bfloat16NS0_10empty_typeEEEZZNS1_27merge_sort_block_merge_implIS3_PS5_PS6_jNS1_19radix_merge_compareILb0ELb0ES5_NS0_19identity_decomposerEEEEE10hipError_tT0_T1_T2_jT3_P12ihipStream_tbPNSt15iterator_traitsISF_E10value_typeEPNSL_ISG_E10value_typeEPSH_NS1_7vsmem_tEENKUlT_SF_SG_SH_E_clIS9_S9_SA_SA_EESE_SU_SF_SG_SH_EUlSU_E_NS1_11comp_targetILNS1_3genE8ELNS1_11target_archE1030ELNS1_3gpuE2ELNS1_3repE0EEENS1_48merge_mergepath_partition_config_static_selectorELNS0_4arch9wavefront6targetE0EEEvSG_
		.amdhsa_group_segment_fixed_size 0
		.amdhsa_private_segment_fixed_size 0
		.amdhsa_kernarg_size 40
		.amdhsa_user_sgpr_count 2
		.amdhsa_user_sgpr_dispatch_ptr 0
		.amdhsa_user_sgpr_queue_ptr 0
		.amdhsa_user_sgpr_kernarg_segment_ptr 1
		.amdhsa_user_sgpr_dispatch_id 0
		.amdhsa_user_sgpr_kernarg_preload_length 0
		.amdhsa_user_sgpr_kernarg_preload_offset 0
		.amdhsa_user_sgpr_private_segment_size 0
		.amdhsa_wavefront_size32 1
		.amdhsa_uses_dynamic_stack 0
		.amdhsa_enable_private_segment 0
		.amdhsa_system_sgpr_workgroup_id_x 1
		.amdhsa_system_sgpr_workgroup_id_y 0
		.amdhsa_system_sgpr_workgroup_id_z 0
		.amdhsa_system_sgpr_workgroup_info 0
		.amdhsa_system_vgpr_workitem_id 0
		.amdhsa_next_free_vgpr 1
		.amdhsa_next_free_sgpr 1
		.amdhsa_named_barrier_count 0
		.amdhsa_reserve_vcc 0
		.amdhsa_float_round_mode_32 0
		.amdhsa_float_round_mode_16_64 0
		.amdhsa_float_denorm_mode_32 3
		.amdhsa_float_denorm_mode_16_64 3
		.amdhsa_fp16_overflow 0
		.amdhsa_memory_ordered 1
		.amdhsa_forward_progress 1
		.amdhsa_inst_pref_size 0
		.amdhsa_round_robin_scheduling 0
		.amdhsa_exception_fp_ieee_invalid_op 0
		.amdhsa_exception_fp_denorm_src 0
		.amdhsa_exception_fp_ieee_div_zero 0
		.amdhsa_exception_fp_ieee_overflow 0
		.amdhsa_exception_fp_ieee_underflow 0
		.amdhsa_exception_fp_ieee_inexact 0
		.amdhsa_exception_int_div_zero 0
	.end_amdhsa_kernel
	.section	.text._ZN7rocprim17ROCPRIM_400000_NS6detail17trampoline_kernelINS0_14default_configENS1_38merge_sort_block_merge_config_selectorI12hip_bfloat16NS0_10empty_typeEEEZZNS1_27merge_sort_block_merge_implIS3_PS5_PS6_jNS1_19radix_merge_compareILb0ELb0ES5_NS0_19identity_decomposerEEEEE10hipError_tT0_T1_T2_jT3_P12ihipStream_tbPNSt15iterator_traitsISF_E10value_typeEPNSL_ISG_E10value_typeEPSH_NS1_7vsmem_tEENKUlT_SF_SG_SH_E_clIS9_S9_SA_SA_EESE_SU_SF_SG_SH_EUlSU_E_NS1_11comp_targetILNS1_3genE8ELNS1_11target_archE1030ELNS1_3gpuE2ELNS1_3repE0EEENS1_48merge_mergepath_partition_config_static_selectorELNS0_4arch9wavefront6targetE0EEEvSG_,"axG",@progbits,_ZN7rocprim17ROCPRIM_400000_NS6detail17trampoline_kernelINS0_14default_configENS1_38merge_sort_block_merge_config_selectorI12hip_bfloat16NS0_10empty_typeEEEZZNS1_27merge_sort_block_merge_implIS3_PS5_PS6_jNS1_19radix_merge_compareILb0ELb0ES5_NS0_19identity_decomposerEEEEE10hipError_tT0_T1_T2_jT3_P12ihipStream_tbPNSt15iterator_traitsISF_E10value_typeEPNSL_ISG_E10value_typeEPSH_NS1_7vsmem_tEENKUlT_SF_SG_SH_E_clIS9_S9_SA_SA_EESE_SU_SF_SG_SH_EUlSU_E_NS1_11comp_targetILNS1_3genE8ELNS1_11target_archE1030ELNS1_3gpuE2ELNS1_3repE0EEENS1_48merge_mergepath_partition_config_static_selectorELNS0_4arch9wavefront6targetE0EEEvSG_,comdat
.Lfunc_end2016:
	.size	_ZN7rocprim17ROCPRIM_400000_NS6detail17trampoline_kernelINS0_14default_configENS1_38merge_sort_block_merge_config_selectorI12hip_bfloat16NS0_10empty_typeEEEZZNS1_27merge_sort_block_merge_implIS3_PS5_PS6_jNS1_19radix_merge_compareILb0ELb0ES5_NS0_19identity_decomposerEEEEE10hipError_tT0_T1_T2_jT3_P12ihipStream_tbPNSt15iterator_traitsISF_E10value_typeEPNSL_ISG_E10value_typeEPSH_NS1_7vsmem_tEENKUlT_SF_SG_SH_E_clIS9_S9_SA_SA_EESE_SU_SF_SG_SH_EUlSU_E_NS1_11comp_targetILNS1_3genE8ELNS1_11target_archE1030ELNS1_3gpuE2ELNS1_3repE0EEENS1_48merge_mergepath_partition_config_static_selectorELNS0_4arch9wavefront6targetE0EEEvSG_, .Lfunc_end2016-_ZN7rocprim17ROCPRIM_400000_NS6detail17trampoline_kernelINS0_14default_configENS1_38merge_sort_block_merge_config_selectorI12hip_bfloat16NS0_10empty_typeEEEZZNS1_27merge_sort_block_merge_implIS3_PS5_PS6_jNS1_19radix_merge_compareILb0ELb0ES5_NS0_19identity_decomposerEEEEE10hipError_tT0_T1_T2_jT3_P12ihipStream_tbPNSt15iterator_traitsISF_E10value_typeEPNSL_ISG_E10value_typeEPSH_NS1_7vsmem_tEENKUlT_SF_SG_SH_E_clIS9_S9_SA_SA_EESE_SU_SF_SG_SH_EUlSU_E_NS1_11comp_targetILNS1_3genE8ELNS1_11target_archE1030ELNS1_3gpuE2ELNS1_3repE0EEENS1_48merge_mergepath_partition_config_static_selectorELNS0_4arch9wavefront6targetE0EEEvSG_
                                        ; -- End function
	.set _ZN7rocprim17ROCPRIM_400000_NS6detail17trampoline_kernelINS0_14default_configENS1_38merge_sort_block_merge_config_selectorI12hip_bfloat16NS0_10empty_typeEEEZZNS1_27merge_sort_block_merge_implIS3_PS5_PS6_jNS1_19radix_merge_compareILb0ELb0ES5_NS0_19identity_decomposerEEEEE10hipError_tT0_T1_T2_jT3_P12ihipStream_tbPNSt15iterator_traitsISF_E10value_typeEPNSL_ISG_E10value_typeEPSH_NS1_7vsmem_tEENKUlT_SF_SG_SH_E_clIS9_S9_SA_SA_EESE_SU_SF_SG_SH_EUlSU_E_NS1_11comp_targetILNS1_3genE8ELNS1_11target_archE1030ELNS1_3gpuE2ELNS1_3repE0EEENS1_48merge_mergepath_partition_config_static_selectorELNS0_4arch9wavefront6targetE0EEEvSG_.num_vgpr, 0
	.set _ZN7rocprim17ROCPRIM_400000_NS6detail17trampoline_kernelINS0_14default_configENS1_38merge_sort_block_merge_config_selectorI12hip_bfloat16NS0_10empty_typeEEEZZNS1_27merge_sort_block_merge_implIS3_PS5_PS6_jNS1_19radix_merge_compareILb0ELb0ES5_NS0_19identity_decomposerEEEEE10hipError_tT0_T1_T2_jT3_P12ihipStream_tbPNSt15iterator_traitsISF_E10value_typeEPNSL_ISG_E10value_typeEPSH_NS1_7vsmem_tEENKUlT_SF_SG_SH_E_clIS9_S9_SA_SA_EESE_SU_SF_SG_SH_EUlSU_E_NS1_11comp_targetILNS1_3genE8ELNS1_11target_archE1030ELNS1_3gpuE2ELNS1_3repE0EEENS1_48merge_mergepath_partition_config_static_selectorELNS0_4arch9wavefront6targetE0EEEvSG_.num_agpr, 0
	.set _ZN7rocprim17ROCPRIM_400000_NS6detail17trampoline_kernelINS0_14default_configENS1_38merge_sort_block_merge_config_selectorI12hip_bfloat16NS0_10empty_typeEEEZZNS1_27merge_sort_block_merge_implIS3_PS5_PS6_jNS1_19radix_merge_compareILb0ELb0ES5_NS0_19identity_decomposerEEEEE10hipError_tT0_T1_T2_jT3_P12ihipStream_tbPNSt15iterator_traitsISF_E10value_typeEPNSL_ISG_E10value_typeEPSH_NS1_7vsmem_tEENKUlT_SF_SG_SH_E_clIS9_S9_SA_SA_EESE_SU_SF_SG_SH_EUlSU_E_NS1_11comp_targetILNS1_3genE8ELNS1_11target_archE1030ELNS1_3gpuE2ELNS1_3repE0EEENS1_48merge_mergepath_partition_config_static_selectorELNS0_4arch9wavefront6targetE0EEEvSG_.numbered_sgpr, 0
	.set _ZN7rocprim17ROCPRIM_400000_NS6detail17trampoline_kernelINS0_14default_configENS1_38merge_sort_block_merge_config_selectorI12hip_bfloat16NS0_10empty_typeEEEZZNS1_27merge_sort_block_merge_implIS3_PS5_PS6_jNS1_19radix_merge_compareILb0ELb0ES5_NS0_19identity_decomposerEEEEE10hipError_tT0_T1_T2_jT3_P12ihipStream_tbPNSt15iterator_traitsISF_E10value_typeEPNSL_ISG_E10value_typeEPSH_NS1_7vsmem_tEENKUlT_SF_SG_SH_E_clIS9_S9_SA_SA_EESE_SU_SF_SG_SH_EUlSU_E_NS1_11comp_targetILNS1_3genE8ELNS1_11target_archE1030ELNS1_3gpuE2ELNS1_3repE0EEENS1_48merge_mergepath_partition_config_static_selectorELNS0_4arch9wavefront6targetE0EEEvSG_.num_named_barrier, 0
	.set _ZN7rocprim17ROCPRIM_400000_NS6detail17trampoline_kernelINS0_14default_configENS1_38merge_sort_block_merge_config_selectorI12hip_bfloat16NS0_10empty_typeEEEZZNS1_27merge_sort_block_merge_implIS3_PS5_PS6_jNS1_19radix_merge_compareILb0ELb0ES5_NS0_19identity_decomposerEEEEE10hipError_tT0_T1_T2_jT3_P12ihipStream_tbPNSt15iterator_traitsISF_E10value_typeEPNSL_ISG_E10value_typeEPSH_NS1_7vsmem_tEENKUlT_SF_SG_SH_E_clIS9_S9_SA_SA_EESE_SU_SF_SG_SH_EUlSU_E_NS1_11comp_targetILNS1_3genE8ELNS1_11target_archE1030ELNS1_3gpuE2ELNS1_3repE0EEENS1_48merge_mergepath_partition_config_static_selectorELNS0_4arch9wavefront6targetE0EEEvSG_.private_seg_size, 0
	.set _ZN7rocprim17ROCPRIM_400000_NS6detail17trampoline_kernelINS0_14default_configENS1_38merge_sort_block_merge_config_selectorI12hip_bfloat16NS0_10empty_typeEEEZZNS1_27merge_sort_block_merge_implIS3_PS5_PS6_jNS1_19radix_merge_compareILb0ELb0ES5_NS0_19identity_decomposerEEEEE10hipError_tT0_T1_T2_jT3_P12ihipStream_tbPNSt15iterator_traitsISF_E10value_typeEPNSL_ISG_E10value_typeEPSH_NS1_7vsmem_tEENKUlT_SF_SG_SH_E_clIS9_S9_SA_SA_EESE_SU_SF_SG_SH_EUlSU_E_NS1_11comp_targetILNS1_3genE8ELNS1_11target_archE1030ELNS1_3gpuE2ELNS1_3repE0EEENS1_48merge_mergepath_partition_config_static_selectorELNS0_4arch9wavefront6targetE0EEEvSG_.uses_vcc, 0
	.set _ZN7rocprim17ROCPRIM_400000_NS6detail17trampoline_kernelINS0_14default_configENS1_38merge_sort_block_merge_config_selectorI12hip_bfloat16NS0_10empty_typeEEEZZNS1_27merge_sort_block_merge_implIS3_PS5_PS6_jNS1_19radix_merge_compareILb0ELb0ES5_NS0_19identity_decomposerEEEEE10hipError_tT0_T1_T2_jT3_P12ihipStream_tbPNSt15iterator_traitsISF_E10value_typeEPNSL_ISG_E10value_typeEPSH_NS1_7vsmem_tEENKUlT_SF_SG_SH_E_clIS9_S9_SA_SA_EESE_SU_SF_SG_SH_EUlSU_E_NS1_11comp_targetILNS1_3genE8ELNS1_11target_archE1030ELNS1_3gpuE2ELNS1_3repE0EEENS1_48merge_mergepath_partition_config_static_selectorELNS0_4arch9wavefront6targetE0EEEvSG_.uses_flat_scratch, 0
	.set _ZN7rocprim17ROCPRIM_400000_NS6detail17trampoline_kernelINS0_14default_configENS1_38merge_sort_block_merge_config_selectorI12hip_bfloat16NS0_10empty_typeEEEZZNS1_27merge_sort_block_merge_implIS3_PS5_PS6_jNS1_19radix_merge_compareILb0ELb0ES5_NS0_19identity_decomposerEEEEE10hipError_tT0_T1_T2_jT3_P12ihipStream_tbPNSt15iterator_traitsISF_E10value_typeEPNSL_ISG_E10value_typeEPSH_NS1_7vsmem_tEENKUlT_SF_SG_SH_E_clIS9_S9_SA_SA_EESE_SU_SF_SG_SH_EUlSU_E_NS1_11comp_targetILNS1_3genE8ELNS1_11target_archE1030ELNS1_3gpuE2ELNS1_3repE0EEENS1_48merge_mergepath_partition_config_static_selectorELNS0_4arch9wavefront6targetE0EEEvSG_.has_dyn_sized_stack, 0
	.set _ZN7rocprim17ROCPRIM_400000_NS6detail17trampoline_kernelINS0_14default_configENS1_38merge_sort_block_merge_config_selectorI12hip_bfloat16NS0_10empty_typeEEEZZNS1_27merge_sort_block_merge_implIS3_PS5_PS6_jNS1_19radix_merge_compareILb0ELb0ES5_NS0_19identity_decomposerEEEEE10hipError_tT0_T1_T2_jT3_P12ihipStream_tbPNSt15iterator_traitsISF_E10value_typeEPNSL_ISG_E10value_typeEPSH_NS1_7vsmem_tEENKUlT_SF_SG_SH_E_clIS9_S9_SA_SA_EESE_SU_SF_SG_SH_EUlSU_E_NS1_11comp_targetILNS1_3genE8ELNS1_11target_archE1030ELNS1_3gpuE2ELNS1_3repE0EEENS1_48merge_mergepath_partition_config_static_selectorELNS0_4arch9wavefront6targetE0EEEvSG_.has_recursion, 0
	.set _ZN7rocprim17ROCPRIM_400000_NS6detail17trampoline_kernelINS0_14default_configENS1_38merge_sort_block_merge_config_selectorI12hip_bfloat16NS0_10empty_typeEEEZZNS1_27merge_sort_block_merge_implIS3_PS5_PS6_jNS1_19radix_merge_compareILb0ELb0ES5_NS0_19identity_decomposerEEEEE10hipError_tT0_T1_T2_jT3_P12ihipStream_tbPNSt15iterator_traitsISF_E10value_typeEPNSL_ISG_E10value_typeEPSH_NS1_7vsmem_tEENKUlT_SF_SG_SH_E_clIS9_S9_SA_SA_EESE_SU_SF_SG_SH_EUlSU_E_NS1_11comp_targetILNS1_3genE8ELNS1_11target_archE1030ELNS1_3gpuE2ELNS1_3repE0EEENS1_48merge_mergepath_partition_config_static_selectorELNS0_4arch9wavefront6targetE0EEEvSG_.has_indirect_call, 0
	.section	.AMDGPU.csdata,"",@progbits
; Kernel info:
; codeLenInByte = 0
; TotalNumSgprs: 0
; NumVgprs: 0
; ScratchSize: 0
; MemoryBound: 0
; FloatMode: 240
; IeeeMode: 1
; LDSByteSize: 0 bytes/workgroup (compile time only)
; SGPRBlocks: 0
; VGPRBlocks: 0
; NumSGPRsForWavesPerEU: 1
; NumVGPRsForWavesPerEU: 1
; NamedBarCnt: 0
; Occupancy: 16
; WaveLimiterHint : 0
; COMPUTE_PGM_RSRC2:SCRATCH_EN: 0
; COMPUTE_PGM_RSRC2:USER_SGPR: 2
; COMPUTE_PGM_RSRC2:TRAP_HANDLER: 0
; COMPUTE_PGM_RSRC2:TGID_X_EN: 1
; COMPUTE_PGM_RSRC2:TGID_Y_EN: 0
; COMPUTE_PGM_RSRC2:TGID_Z_EN: 0
; COMPUTE_PGM_RSRC2:TIDIG_COMP_CNT: 0
	.section	.text._ZN7rocprim17ROCPRIM_400000_NS6detail17trampoline_kernelINS0_14default_configENS1_38merge_sort_block_merge_config_selectorI12hip_bfloat16NS0_10empty_typeEEEZZNS1_27merge_sort_block_merge_implIS3_PS5_PS6_jNS1_19radix_merge_compareILb0ELb0ES5_NS0_19identity_decomposerEEEEE10hipError_tT0_T1_T2_jT3_P12ihipStream_tbPNSt15iterator_traitsISF_E10value_typeEPNSL_ISG_E10value_typeEPSH_NS1_7vsmem_tEENKUlT_SF_SG_SH_E_clIS9_S9_SA_SA_EESE_SU_SF_SG_SH_EUlSU_E0_NS1_11comp_targetILNS1_3genE0ELNS1_11target_archE4294967295ELNS1_3gpuE0ELNS1_3repE0EEENS1_38merge_mergepath_config_static_selectorELNS0_4arch9wavefront6targetE0EEEvSG_,"axG",@progbits,_ZN7rocprim17ROCPRIM_400000_NS6detail17trampoline_kernelINS0_14default_configENS1_38merge_sort_block_merge_config_selectorI12hip_bfloat16NS0_10empty_typeEEEZZNS1_27merge_sort_block_merge_implIS3_PS5_PS6_jNS1_19radix_merge_compareILb0ELb0ES5_NS0_19identity_decomposerEEEEE10hipError_tT0_T1_T2_jT3_P12ihipStream_tbPNSt15iterator_traitsISF_E10value_typeEPNSL_ISG_E10value_typeEPSH_NS1_7vsmem_tEENKUlT_SF_SG_SH_E_clIS9_S9_SA_SA_EESE_SU_SF_SG_SH_EUlSU_E0_NS1_11comp_targetILNS1_3genE0ELNS1_11target_archE4294967295ELNS1_3gpuE0ELNS1_3repE0EEENS1_38merge_mergepath_config_static_selectorELNS0_4arch9wavefront6targetE0EEEvSG_,comdat
	.protected	_ZN7rocprim17ROCPRIM_400000_NS6detail17trampoline_kernelINS0_14default_configENS1_38merge_sort_block_merge_config_selectorI12hip_bfloat16NS0_10empty_typeEEEZZNS1_27merge_sort_block_merge_implIS3_PS5_PS6_jNS1_19radix_merge_compareILb0ELb0ES5_NS0_19identity_decomposerEEEEE10hipError_tT0_T1_T2_jT3_P12ihipStream_tbPNSt15iterator_traitsISF_E10value_typeEPNSL_ISG_E10value_typeEPSH_NS1_7vsmem_tEENKUlT_SF_SG_SH_E_clIS9_S9_SA_SA_EESE_SU_SF_SG_SH_EUlSU_E0_NS1_11comp_targetILNS1_3genE0ELNS1_11target_archE4294967295ELNS1_3gpuE0ELNS1_3repE0EEENS1_38merge_mergepath_config_static_selectorELNS0_4arch9wavefront6targetE0EEEvSG_ ; -- Begin function _ZN7rocprim17ROCPRIM_400000_NS6detail17trampoline_kernelINS0_14default_configENS1_38merge_sort_block_merge_config_selectorI12hip_bfloat16NS0_10empty_typeEEEZZNS1_27merge_sort_block_merge_implIS3_PS5_PS6_jNS1_19radix_merge_compareILb0ELb0ES5_NS0_19identity_decomposerEEEEE10hipError_tT0_T1_T2_jT3_P12ihipStream_tbPNSt15iterator_traitsISF_E10value_typeEPNSL_ISG_E10value_typeEPSH_NS1_7vsmem_tEENKUlT_SF_SG_SH_E_clIS9_S9_SA_SA_EESE_SU_SF_SG_SH_EUlSU_E0_NS1_11comp_targetILNS1_3genE0ELNS1_11target_archE4294967295ELNS1_3gpuE0ELNS1_3repE0EEENS1_38merge_mergepath_config_static_selectorELNS0_4arch9wavefront6targetE0EEEvSG_
	.globl	_ZN7rocprim17ROCPRIM_400000_NS6detail17trampoline_kernelINS0_14default_configENS1_38merge_sort_block_merge_config_selectorI12hip_bfloat16NS0_10empty_typeEEEZZNS1_27merge_sort_block_merge_implIS3_PS5_PS6_jNS1_19radix_merge_compareILb0ELb0ES5_NS0_19identity_decomposerEEEEE10hipError_tT0_T1_T2_jT3_P12ihipStream_tbPNSt15iterator_traitsISF_E10value_typeEPNSL_ISG_E10value_typeEPSH_NS1_7vsmem_tEENKUlT_SF_SG_SH_E_clIS9_S9_SA_SA_EESE_SU_SF_SG_SH_EUlSU_E0_NS1_11comp_targetILNS1_3genE0ELNS1_11target_archE4294967295ELNS1_3gpuE0ELNS1_3repE0EEENS1_38merge_mergepath_config_static_selectorELNS0_4arch9wavefront6targetE0EEEvSG_
	.p2align	8
	.type	_ZN7rocprim17ROCPRIM_400000_NS6detail17trampoline_kernelINS0_14default_configENS1_38merge_sort_block_merge_config_selectorI12hip_bfloat16NS0_10empty_typeEEEZZNS1_27merge_sort_block_merge_implIS3_PS5_PS6_jNS1_19radix_merge_compareILb0ELb0ES5_NS0_19identity_decomposerEEEEE10hipError_tT0_T1_T2_jT3_P12ihipStream_tbPNSt15iterator_traitsISF_E10value_typeEPNSL_ISG_E10value_typeEPSH_NS1_7vsmem_tEENKUlT_SF_SG_SH_E_clIS9_S9_SA_SA_EESE_SU_SF_SG_SH_EUlSU_E0_NS1_11comp_targetILNS1_3genE0ELNS1_11target_archE4294967295ELNS1_3gpuE0ELNS1_3repE0EEENS1_38merge_mergepath_config_static_selectorELNS0_4arch9wavefront6targetE0EEEvSG_,@function
_ZN7rocprim17ROCPRIM_400000_NS6detail17trampoline_kernelINS0_14default_configENS1_38merge_sort_block_merge_config_selectorI12hip_bfloat16NS0_10empty_typeEEEZZNS1_27merge_sort_block_merge_implIS3_PS5_PS6_jNS1_19radix_merge_compareILb0ELb0ES5_NS0_19identity_decomposerEEEEE10hipError_tT0_T1_T2_jT3_P12ihipStream_tbPNSt15iterator_traitsISF_E10value_typeEPNSL_ISG_E10value_typeEPSH_NS1_7vsmem_tEENKUlT_SF_SG_SH_E_clIS9_S9_SA_SA_EESE_SU_SF_SG_SH_EUlSU_E0_NS1_11comp_targetILNS1_3genE0ELNS1_11target_archE4294967295ELNS1_3gpuE0ELNS1_3repE0EEENS1_38merge_mergepath_config_static_selectorELNS0_4arch9wavefront6targetE0EEEvSG_: ; @_ZN7rocprim17ROCPRIM_400000_NS6detail17trampoline_kernelINS0_14default_configENS1_38merge_sort_block_merge_config_selectorI12hip_bfloat16NS0_10empty_typeEEEZZNS1_27merge_sort_block_merge_implIS3_PS5_PS6_jNS1_19radix_merge_compareILb0ELb0ES5_NS0_19identity_decomposerEEEEE10hipError_tT0_T1_T2_jT3_P12ihipStream_tbPNSt15iterator_traitsISF_E10value_typeEPNSL_ISG_E10value_typeEPSH_NS1_7vsmem_tEENKUlT_SF_SG_SH_E_clIS9_S9_SA_SA_EESE_SU_SF_SG_SH_EUlSU_E0_NS1_11comp_targetILNS1_3genE0ELNS1_11target_archE4294967295ELNS1_3gpuE0ELNS1_3repE0EEENS1_38merge_mergepath_config_static_selectorELNS0_4arch9wavefront6targetE0EEEvSG_
; %bb.0:
	s_bfe_u32 s2, ttmp6, 0x40010
	s_and_b32 s4, ttmp7, 0xffff
	s_add_co_i32 s5, s2, 1
	s_clause 0x1
	s_load_b32 s6, s[0:1], 0x30
	s_load_b64 s[2:3], s[0:1], 0x40
	s_bfe_u32 s8, ttmp6, 0x4000c
	s_mul_i32 s5, s4, s5
	s_bfe_u32 s7, ttmp6, 0x40004
	s_add_co_i32 s8, s8, 1
	s_bfe_u32 s9, ttmp6, 0x40014
	s_add_co_i32 s7, s7, s5
	s_and_b32 s5, ttmp6, 15
	s_mul_i32 s8, ttmp9, s8
	s_lshr_b32 s10, ttmp7, 16
	s_add_co_i32 s9, s9, 1
	s_add_co_i32 s5, s5, s8
	s_mul_i32 s8, s10, s9
	s_bfe_u32 s9, ttmp6, 0x40008
	s_getreg_b32 s11, hwreg(HW_REG_IB_STS2, 6, 4)
	s_add_co_i32 s9, s9, s8
	s_cmp_eq_u32 s11, 0
	s_cselect_b32 s8, s10, s9
	s_cselect_b32 s4, s4, s7
	s_wait_kmcnt 0x0
	s_mul_i32 s8, s3, s8
	s_cselect_b32 s3, ttmp9, s5
	s_add_co_i32 s4, s8, s4
	s_mov_b32 s5, 0
	s_mul_i32 s4, s4, s2
	s_delay_alu instid0(SALU_CYCLE_1) | instskip(NEXT) | instid1(SALU_CYCLE_1)
	s_add_co_i32 s4, s4, s3
	s_cmp_ge_u32 s4, s6
	s_cbranch_scc1 .LBB2017_147
; %bb.1:
	v_mov_b32_e32 v3, 0
	s_add_nc_u64 s[10:11], s[0:1], 64
	global_load_b32 v1, v3, s[10:11] offset:14
	s_clause 0x2
	s_load_b64 s[6:7], s[0:1], 0x28
	s_load_b64 s[8:9], s[0:1], 0x38
	;; [unrolled: 1-line block ×3, first 2 shown]
	s_wait_kmcnt 0x0
	s_lshr_b32 s15, s6, 10
	s_delay_alu instid0(SALU_CYCLE_1) | instskip(SKIP_2) | instid1(SALU_CYCLE_1)
	s_cmp_lg_u32 s4, s15
	s_cselect_b32 s14, -1, 0
	s_lshl_b64 s[12:13], s[4:5], 2
	s_add_nc_u64 s[8:9], s[8:9], s[12:13]
	s_load_b64 s[12:13], s[8:9], 0x0
	s_wait_xcnt 0x0
	s_lshr_b32 s8, s7, 9
	s_delay_alu instid0(SALU_CYCLE_1) | instskip(NEXT) | instid1(SALU_CYCLE_1)
	s_and_b32 s8, s8, 0x7ffffe
	s_sub_co_i32 s9, 0, s8
	s_lshl_b32 s8, s4, 10
	s_and_b32 s18, s4, s9
	s_or_b32 s9, s4, s9
	s_lshl_b32 s19, s18, 11
	s_lshl_b32 s18, s18, 10
	s_add_co_i32 s19, s19, s7
	s_sub_co_i32 s20, s8, s18
	s_sub_co_i32 s18, s19, s18
	s_add_co_i32 s19, s19, s20
	s_min_u32 s20, s6, s18
	s_add_co_i32 s7, s18, s7
	s_wait_kmcnt 0x0
	s_sub_co_i32 s18, s19, s12
	s_sub_co_i32 s19, s19, s13
	s_min_u32 s18, s6, s18
	s_add_co_i32 s21, s19, 0x400
	s_cmp_eq_u32 s9, -1
	s_mov_b32 s19, s5
	s_cselect_b32 s7, s7, s21
	s_cselect_b32 s9, s20, s13
	s_mov_b32 s13, s5
	s_lshl_b64 s[20:21], s[18:19], 1
	s_min_u32 s19, s7, s6
	s_sub_co_i32 s7, s9, s12
	s_lshl_b64 s[12:13], s[12:13], 1
	s_sub_co_i32 s9, s19, s18
	s_cmp_lt_u32 s3, s2
	s_mov_b32 s3, s5
	s_cselect_b32 s2, 12, 18
	s_add_nc_u64 s[12:13], s[16:17], s[12:13]
	s_add_nc_u64 s[2:3], s[10:11], s[2:3]
	s_cmp_eq_u32 s4, s15
	s_load_u16 s2, s[2:3], 0x0
	s_add_nc_u64 s[10:11], s[16:17], s[20:21]
	s_wait_loadcnt 0x0
	v_lshrrev_b32_e32 v2, 16, v1
	v_and_b32_e32 v1, 0xffff, v1
	s_delay_alu instid0(VALU_DEP_1) | instskip(SKIP_2) | instid1(VALU_DEP_2)
	v_mul_lo_u32 v1, v1, v2
	v_lshlrev_b32_e32 v2, 1, v0
	s_wait_kmcnt 0x0
	v_mul_lo_u32 v1, v1, s2
	s_mov_b32 s2, -1
	s_delay_alu instid0(VALU_DEP_1) | instskip(NEXT) | instid1(VALU_DEP_1)
	v_add_nc_u32_e32 v6, v1, v0
	v_add_nc_u32_e32 v4, v6, v1
	s_cbranch_scc1 .LBB2017_3
; %bb.2:
	v_sub_co_u32 v10, vcc_lo, v0, s7
	v_dual_mov_b32 v11, v3 :: v_dual_mov_b32 v7, v3
	v_add_nc_u64_e32 v[8:9], s[12:13], v[2:3]
	v_sub_co_u32 v14, s2, v6, s7
	s_delay_alu instid0(VALU_DEP_3) | instskip(SKIP_3) | instid1(VALU_DEP_4)
	v_lshl_add_u64 v[10:11], v[10:11], 1, s[10:11]
	v_dual_mov_b32 v15, v3 :: v_dual_mov_b32 v5, v3
	v_lshl_add_u64 v[12:13], v[6:7], 1, s[12:13]
	v_dual_mov_b32 v17, v3 :: v_dual_add_nc_u32 v18, v4, v1
	v_dual_cndmask_b32 v9, v11, v9 :: v_dual_cndmask_b32 v8, v10, v8
	s_delay_alu instid0(VALU_DEP_4) | instskip(SKIP_3) | instid1(VALU_DEP_4)
	v_lshl_add_u64 v[10:11], v[14:15], 1, s[10:11]
	v_sub_co_u32 v16, vcc_lo, v4, s7
	v_mov_b32_e32 v19, v3
	v_lshl_add_u64 v[14:15], v[4:5], 1, s[12:13]
	v_dual_cndmask_b32 v11, v11, v13, s2 :: v_dual_cndmask_b32 v10, v10, v12, s2
	s_delay_alu instid0(VALU_DEP_4) | instskip(NEXT) | instid1(VALU_DEP_4)
	v_lshl_add_u64 v[12:13], v[16:17], 1, s[10:11]
	v_lshl_add_u64 v[16:17], v[18:19], 1, s[12:13]
	v_sub_co_u32 v20, s2, v18, s7
	v_dual_mov_b32 v21, v3 :: v_dual_add_nc_u32 v18, v18, v1
	global_load_u16 v7, v[10:11], off
	s_wait_xcnt 0x0
	v_dual_cndmask_b32 v11, v13, v15 :: v_dual_cndmask_b32 v10, v12, v14
	v_lshl_add_u64 v[12:13], v[20:21], 1, s[10:11]
	v_lshl_add_u64 v[14:15], v[18:19], 1, s[12:13]
	v_sub_co_u32 v20, vcc_lo, v18, s7
	v_add_nc_u32_e32 v18, v18, v1
	global_load_u16 v8, v[8:9], off
	global_load_u16 v9, v[10:11], off
	s_wait_xcnt 0x0
	v_lshl_add_u64 v[10:11], v[20:21], 1, s[10:11]
	v_dual_mov_b32 v23, v3 :: v_dual_add_nc_u32 v20, v18, v1
	v_dual_cndmask_b32 v17, v13, v17, s2 :: v_dual_cndmask_b32 v16, v12, v16, s2
	v_lshl_add_u64 v[12:13], v[18:19], 1, s[12:13]
	v_sub_co_u32 v18, s2, v18, s7
	s_delay_alu instid0(VALU_DEP_4) | instskip(SKIP_2) | instid1(VALU_DEP_3)
	v_dual_cndmask_b32 v29, v11, v15 :: v_dual_add_nc_u32 v22, v20, v1
	v_lshl_add_u64 v[24:25], v[20:21], 1, s[12:13]
	v_sub_co_u32 v20, s3, v20, s7
	v_lshl_add_u64 v[26:27], v[22:23], 1, s[12:13]
	v_sub_co_u32 v22, s4, v22, s7
	v_lshl_add_u64 v[18:19], v[18:19], 1, s[10:11]
	s_delay_alu instid0(VALU_DEP_4) | instskip(SKIP_1) | instid1(VALU_DEP_4)
	v_lshl_add_u64 v[20:21], v[20:21], 1, s[10:11]
	v_cndmask_b32_e32 v28, v10, v14, vcc_lo
	v_lshl_add_u64 v[10:11], v[22:23], 1, s[10:11]
	s_delay_alu instid0(VALU_DEP_4) | instskip(NEXT) | instid1(VALU_DEP_4)
	v_dual_cndmask_b32 v19, v19, v13, s2 :: v_dual_cndmask_b32 v18, v18, v12, s2
	v_dual_cndmask_b32 v21, v21, v25, s3 :: v_dual_cndmask_b32 v20, v20, v24, s3
	s_delay_alu instid0(VALU_DEP_3)
	v_dual_cndmask_b32 v23, v11, v27, s4 :: v_dual_cndmask_b32 v22, v10, v26, s4
	global_load_u16 v10, v[16:17], off
	global_load_u16 v11, v[28:29], off
	;; [unrolled: 1-line block ×5, first 2 shown]
	s_add_co_i32 s4, s9, s7
	s_cbranch_execz .LBB2017_4
	s_branch .LBB2017_21
.LBB2017_3:
                                        ; implicit-def: $vgpr13
                                        ; implicit-def: $vgpr3
                                        ; implicit-def: $vgpr14
                                        ; implicit-def: $vgpr11
                                        ; implicit-def: $vgpr10
                                        ; implicit-def: $vgpr9
                                        ; implicit-def: $vgpr7
                                        ; implicit-def: $vgpr8
                                        ; implicit-def: $sgpr4
	s_and_not1_b32 vcc_lo, exec_lo, s2
	s_cbranch_vccnz .LBB2017_21
.LBB2017_4:
	s_add_co_i32 s4, s9, s7
	s_mov_b32 s2, exec_lo
                                        ; implicit-def: $vgpr8
	s_wait_xcnt 0x0
	v_cmpx_gt_u32_e64 s4, v0
	s_cbranch_execz .LBB2017_6
; %bb.5:
	s_wait_loadcnt 0x4
	v_sub_co_u32 v10, vcc_lo, v0, s7
	s_wait_loadcnt 0x1
	v_mov_b32_e32 v3, 0
	s_delay_alu instid0(VALU_DEP_1) | instskip(SKIP_1) | instid1(VALU_DEP_1)
	v_add_nc_u64_e32 v[8:9], s[12:13], v[2:3]
	v_mov_b32_e32 v11, v3
	v_lshl_add_u64 v[10:11], v[10:11], 1, s[10:11]
	s_delay_alu instid0(VALU_DEP_1)
	v_dual_cndmask_b32 v9, v11, v9 :: v_dual_cndmask_b32 v8, v10, v8
	global_load_u16 v8, v[8:9], off
.LBB2017_6:
	s_wait_xcnt 0x0
	s_or_b32 exec_lo, exec_lo, s2
	s_delay_alu instid0(SALU_CYCLE_1)
	s_mov_b32 s2, exec_lo
                                        ; implicit-def: $vgpr7
	v_cmpx_gt_u32_e64 s4, v6
	s_cbranch_execz .LBB2017_8
; %bb.7:
	s_wait_loadcnt 0x7
	v_mov_b32_e32 v7, 0
	s_wait_loadcnt 0x3
	s_delay_alu instid0(VALU_DEP_1) | instskip(SKIP_1) | instid1(VALU_DEP_1)
	v_lshl_add_u64 v[10:11], v[6:7], 1, s[12:13]
	v_sub_co_u32 v6, vcc_lo, v6, s7
	v_lshl_add_u64 v[6:7], v[6:7], 1, s[10:11]
	s_delay_alu instid0(VALU_DEP_1)
	v_dual_cndmask_b32 v7, v7, v11 :: v_dual_cndmask_b32 v6, v6, v10
	global_load_u16 v7, v[6:7], off
.LBB2017_8:
	s_wait_xcnt 0x0
	s_or_b32 exec_lo, exec_lo, s2
	s_delay_alu instid0(SALU_CYCLE_1)
	s_mov_b32 s2, exec_lo
                                        ; implicit-def: $vgpr9
	v_cmpx_gt_u32_e64 s4, v4
	s_cbranch_execz .LBB2017_10
; %bb.9:
	v_sub_co_u32 v12, vcc_lo, v4, s7
	v_mov_b32_e32 v5, 0
	s_wait_loadcnt 0x3
	s_delay_alu instid0(VALU_DEP_1) | instskip(SKIP_2) | instid1(VALU_DEP_1)
	v_lshl_add_u64 v[10:11], v[4:5], 1, s[12:13]
	s_wait_loadcnt 0x0
	v_mov_b32_e32 v13, v5
	v_lshl_add_u64 v[12:13], v[12:13], 1, s[10:11]
	s_delay_alu instid0(VALU_DEP_1)
	v_dual_cndmask_b32 v11, v13, v11 :: v_dual_cndmask_b32 v10, v12, v10
	global_load_u16 v9, v[10:11], off
.LBB2017_10:
	s_wait_xcnt 0x0
	s_or_b32 exec_lo, exec_lo, s2
	v_add_nc_u32_e32 v4, v4, v1
	s_mov_b32 s2, exec_lo
                                        ; implicit-def: $vgpr10
	s_delay_alu instid0(VALU_DEP_1)
	v_cmpx_gt_u32_e64 s4, v4
	s_cbranch_execz .LBB2017_12
; %bb.11:
	v_sub_co_u32 v12, vcc_lo, v4, s7
	v_mov_b32_e32 v5, 0
	s_wait_loadcnt 0x3
	s_delay_alu instid0(VALU_DEP_1) | instskip(SKIP_2) | instid1(VALU_DEP_1)
	v_lshl_add_u64 v[10:11], v[4:5], 1, s[12:13]
	s_wait_loadcnt 0x0
	v_mov_b32_e32 v13, v5
	v_lshl_add_u64 v[12:13], v[12:13], 1, s[10:11]
	s_delay_alu instid0(VALU_DEP_1)
	v_dual_cndmask_b32 v11, v13, v11 :: v_dual_cndmask_b32 v10, v12, v10
	global_load_u16 v10, v[10:11], off
.LBB2017_12:
	s_wait_xcnt 0x0
	s_or_b32 exec_lo, exec_lo, s2
	v_add_nc_u32_e32 v4, v4, v1
	s_mov_b32 s2, exec_lo
                                        ; implicit-def: $vgpr11
	s_delay_alu instid0(VALU_DEP_1)
	v_cmpx_gt_u32_e64 s4, v4
	s_cbranch_execz .LBB2017_14
; %bb.13:
	s_wait_loadcnt 0x2
	v_sub_co_u32 v14, vcc_lo, v4, s7
	v_mov_b32_e32 v5, 0
	s_wait_loadcnt 0x0
	s_delay_alu instid0(VALU_DEP_1) | instskip(SKIP_1) | instid1(VALU_DEP_1)
	v_lshl_add_u64 v[12:13], v[4:5], 1, s[12:13]
	v_mov_b32_e32 v15, v5
	v_lshl_add_u64 v[14:15], v[14:15], 1, s[10:11]
	s_delay_alu instid0(VALU_DEP_1)
	v_dual_cndmask_b32 v13, v15, v13 :: v_dual_cndmask_b32 v12, v14, v12
	global_load_u16 v11, v[12:13], off
.LBB2017_14:
	s_wait_xcnt 0x0
	s_or_b32 exec_lo, exec_lo, s2
	v_add_nc_u32_e32 v4, v4, v1
	s_mov_b32 s2, exec_lo
                                        ; implicit-def: $vgpr14
	s_delay_alu instid0(VALU_DEP_1)
	v_cmpx_gt_u32_e64 s4, v4
	s_cbranch_execz .LBB2017_16
; %bb.15:
	s_wait_loadcnt 0x2
	v_sub_co_u32 v14, vcc_lo, v4, s7
	v_mov_b32_e32 v5, 0
	s_wait_loadcnt 0x0
	s_delay_alu instid0(VALU_DEP_1) | instskip(SKIP_1) | instid1(VALU_DEP_1)
	v_lshl_add_u64 v[12:13], v[4:5], 1, s[12:13]
	v_mov_b32_e32 v15, v5
	v_lshl_add_u64 v[14:15], v[14:15], 1, s[10:11]
	s_delay_alu instid0(VALU_DEP_1)
	v_dual_cndmask_b32 v13, v15, v13 :: v_dual_cndmask_b32 v12, v14, v12
	global_load_u16 v14, v[12:13], off
.LBB2017_16:
	s_wait_xcnt 0x0
	s_or_b32 exec_lo, exec_lo, s2
	v_add_nc_u32_e32 v4, v4, v1
	s_mov_b32 s2, exec_lo
                                        ; implicit-def: $vgpr3
	s_delay_alu instid0(VALU_DEP_1)
	v_cmpx_gt_u32_e64 s4, v4
	s_cbranch_execz .LBB2017_18
; %bb.17:
	v_sub_co_u32 v16, vcc_lo, v4, s7
	v_mov_b32_e32 v5, 0
	s_wait_loadcnt 0x0
	s_delay_alu instid0(VALU_DEP_1) | instskip(SKIP_1) | instid1(VALU_DEP_1)
	v_lshl_add_u64 v[12:13], v[4:5], 1, s[12:13]
	v_mov_b32_e32 v17, v5
	v_lshl_add_u64 v[16:17], v[16:17], 1, s[10:11]
	s_delay_alu instid0(VALU_DEP_1)
	v_dual_cndmask_b32 v13, v17, v13 :: v_dual_cndmask_b32 v12, v16, v12
	global_load_u16 v3, v[12:13], off
.LBB2017_18:
	s_wait_xcnt 0x0
	s_or_b32 exec_lo, exec_lo, s2
	v_add_nc_u32_e32 v4, v4, v1
	s_mov_b32 s2, exec_lo
                                        ; implicit-def: $vgpr13
	s_delay_alu instid0(VALU_DEP_1)
	v_cmpx_gt_u32_e64 s4, v4
	s_cbranch_execz .LBB2017_20
; %bb.19:
	v_mov_b32_e32 v5, 0
	s_wait_loadcnt 0x0
	s_delay_alu instid0(VALU_DEP_1) | instskip(SKIP_1) | instid1(VALU_DEP_1)
	v_lshl_add_u64 v[12:13], v[4:5], 1, s[12:13]
	v_sub_co_u32 v4, vcc_lo, v4, s7
	v_lshl_add_u64 v[4:5], v[4:5], 1, s[10:11]
	s_delay_alu instid0(VALU_DEP_1)
	v_dual_cndmask_b32 v5, v5, v13 :: v_dual_cndmask_b32 v4, v4, v12
	global_load_u16 v13, v[4:5], off
.LBB2017_20:
	s_wait_xcnt 0x0
	s_or_b32 exec_lo, exec_lo, s2
.LBB2017_21:
	s_load_b64 s[2:3], s[0:1], 0x10
	v_lshlrev_b32_e32 v1, 3, v0
	s_wait_xcnt 0x0
	s_mov_b32 s0, exec_lo
	s_wait_loadcnt 0x0
	ds_store_b16 v2, v8
	ds_store_b16 v2, v7 offset:256
	ds_store_b16 v2, v9 offset:512
	;; [unrolled: 1-line block ×7, first 2 shown]
	s_wait_dscnt 0x0
	s_barrier_signal -1
	v_min_u32_e32 v4, s4, v1
	s_barrier_wait -1
	s_delay_alu instid0(VALU_DEP_1) | instskip(SKIP_1) | instid1(VALU_DEP_1)
	v_sub_nc_u32_e64 v5, v4, s9 clamp
	v_min_u32_e32 v6, s7, v4
	v_cmpx_lt_u32_e64 v5, v6
	s_cbranch_execz .LBB2017_33
; %bb.22:
	v_lshlrev_b32_e32 v12, 1, v4
	s_mov_b32 s1, 0
	s_delay_alu instid0(VALU_DEP_1)
	v_lshl_add_u32 v12, s7, 1, v12
	s_branch .LBB2017_24
.LBB2017_23:                            ;   in Loop: Header=BB2017_24 Depth=1
	s_or_b32 exec_lo, exec_lo, s5
	v_cmp_lt_i32_e32 vcc_lo, -1, v16
	s_delay_alu instid0(VALU_DEP_2) | instskip(SKIP_3) | instid1(VALU_DEP_1)
	v_perm_b32 v16, v17, v16, 0x7060302
	v_cndmask_b32_e64 v18, -1, 0xffff8000, vcc_lo
	v_cmp_lt_i32_e32 vcc_lo, -1, v17
	v_cndmask_b32_e64 v19, -1, 0xffff8000, vcc_lo
	v_perm_b32 v17, v19, v18, 0x5040100
	s_delay_alu instid0(VALU_DEP_1) | instskip(NEXT) | instid1(VALU_DEP_1)
	v_dual_add_nc_u32 v18, 1, v15 :: v_dual_bitop2_b32 v16, v17, v16 bitop3:0x14
	v_lshrrev_b32_e32 v17, 16, v16
	s_delay_alu instid0(VALU_DEP_1) | instskip(SKIP_1) | instid1(VALU_DEP_4)
	v_cmp_gt_u16_e32 vcc_lo, v16, v17
	v_cndmask_b32_e32 v6, v6, v15, vcc_lo
	v_cndmask_b32_e32 v5, v18, v5, vcc_lo
	s_delay_alu instid0(VALU_DEP_1) | instskip(SKIP_1) | instid1(SALU_CYCLE_1)
	v_cmp_ge_u32_e32 vcc_lo, v5, v6
	s_or_b32 s1, vcc_lo, s1
	s_and_not1_b32 exec_lo, exec_lo, s1
	s_cbranch_execz .LBB2017_32
.LBB2017_24:                            ; =>This Inner Loop Header: Depth=1
	v_add_nc_u32_e32 v15, v6, v5
	s_delay_alu instid0(VALU_DEP_1) | instskip(SKIP_2) | instid1(VALU_DEP_1)
	v_dual_lshrrev_b32 v15, 1, v15 :: v_dual_bitop2_b32 v16, -2, v15 bitop3:0x40
	ds_load_u16 v16, v16
	v_not_b32_e32 v17, v15
	v_lshl_add_u32 v17, v17, 1, v12
	ds_load_u16 v17, v17
	s_wait_dscnt 0x1
	v_lshlrev_b32_e32 v16, 16, v16
	s_delay_alu instid0(VALU_DEP_1) | instskip(NEXT) | instid1(VALU_DEP_1)
	v_add_f32_e32 v18, 0, v16
	v_and_b32_e32 v16, 0x7f800000, v18
	s_delay_alu instid0(VALU_DEP_1) | instskip(SKIP_1) | instid1(SALU_CYCLE_1)
	v_cmp_ne_u32_e32 vcc_lo, 0x7f800000, v16
                                        ; implicit-def: $vgpr16
	s_and_saveexec_b32 s5, vcc_lo
	s_xor_b32 s5, exec_lo, s5
; %bb.25:                               ;   in Loop: Header=BB2017_24 Depth=1
	v_bfe_u32 v16, v18, 16, 1
	s_delay_alu instid0(VALU_DEP_1)
	v_add3_u32 v16, v18, v16, 0x7fff
                                        ; implicit-def: $vgpr18
; %bb.26:                               ;   in Loop: Header=BB2017_24 Depth=1
	s_and_not1_saveexec_b32 s5, s5
; %bb.27:                               ;   in Loop: Header=BB2017_24 Depth=1
	v_and_b32_e32 v16, 0xffff, v18
	v_or_b32_e32 v19, 0x10000, v18
	s_delay_alu instid0(VALU_DEP_2) | instskip(NEXT) | instid1(VALU_DEP_2)
	v_cmp_eq_u32_e32 vcc_lo, 0, v16
	v_cndmask_b32_e32 v16, v19, v18, vcc_lo
; %bb.28:                               ;   in Loop: Header=BB2017_24 Depth=1
	s_or_b32 exec_lo, exec_lo, s5
	s_wait_dscnt 0x0
	v_lshlrev_b32_e32 v17, 16, v17
	s_delay_alu instid0(VALU_DEP_1) | instskip(NEXT) | instid1(VALU_DEP_1)
	v_add_f32_e32 v18, 0, v17
	v_and_b32_e32 v17, 0x7f800000, v18
	s_delay_alu instid0(VALU_DEP_1) | instskip(SKIP_1) | instid1(SALU_CYCLE_1)
	v_cmp_ne_u32_e32 vcc_lo, 0x7f800000, v17
                                        ; implicit-def: $vgpr17
	s_and_saveexec_b32 s5, vcc_lo
	s_xor_b32 s5, exec_lo, s5
; %bb.29:                               ;   in Loop: Header=BB2017_24 Depth=1
	v_bfe_u32 v17, v18, 16, 1
	s_delay_alu instid0(VALU_DEP_1)
	v_add3_u32 v17, v18, v17, 0x7fff
                                        ; implicit-def: $vgpr18
; %bb.30:                               ;   in Loop: Header=BB2017_24 Depth=1
	s_and_not1_saveexec_b32 s5, s5
	s_cbranch_execz .LBB2017_23
; %bb.31:                               ;   in Loop: Header=BB2017_24 Depth=1
	v_and_b32_e32 v17, 0xffff, v18
	v_or_b32_e32 v19, 0x10000, v18
	s_delay_alu instid0(VALU_DEP_2) | instskip(NEXT) | instid1(VALU_DEP_2)
	v_cmp_eq_u32_e32 vcc_lo, 0, v17
	v_cndmask_b32_e32 v17, v19, v18, vcc_lo
	s_branch .LBB2017_23
.LBB2017_32:
	s_or_b32 exec_lo, exec_lo, s1
.LBB2017_33:
	s_delay_alu instid0(SALU_CYCLE_1) | instskip(SKIP_2) | instid1(VALU_DEP_2)
	s_or_b32 exec_lo, exec_lo, s0
	v_sub_nc_u32_e32 v4, v4, v5
	v_cmp_ge_u32_e32 vcc_lo, s7, v5
	v_add_nc_u32_e32 v6, s7, v4
	s_delay_alu instid0(VALU_DEP_1) | instskip(SKIP_1) | instid1(SALU_CYCLE_1)
	v_cmp_ge_u32_e64 s0, s4, v6
	s_or_b32 s0, vcc_lo, s0
	s_and_saveexec_b32 s1, s0
	s_cbranch_execz .LBB2017_133
; %bb.34:
	s_mov_b32 s5, exec_lo
	v_cmp_le_u32_e32 vcc_lo, s7, v5
                                        ; implicit-def: $vgpr3
	v_cmpx_gt_u32_e64 s7, v5
; %bb.35:
	v_lshlrev_b32_e32 v3, 1, v5
	ds_load_u16 v3, v3
; %bb.36:
	s_or_b32 exec_lo, exec_lo, s5
	v_cmp_le_u32_e64 s5, s4, v6
	s_mov_b32 s9, exec_lo
                                        ; implicit-def: $vgpr4
	v_cmpx_gt_u32_e64 s4, v6
; %bb.37:
	v_lshlrev_b32_e32 v4, 1, v6
	ds_load_u16 v4, v4
; %bb.38:
	s_or_b32 exec_lo, exec_lo, s9
	s_nor_b32 s9, vcc_lo, s5
	s_delay_alu instid0(SALU_CYCLE_1)
	s_and_saveexec_b32 s0, s9
	s_cbranch_execz .LBB2017_48
; %bb.39:
	s_wait_dscnt 0x0
	v_lshlrev_b32_e32 v7, 16, v3
	s_delay_alu instid0(VALU_DEP_1) | instskip(NEXT) | instid1(VALU_DEP_1)
	v_add_f32_e32 v8, 0, v7
	v_and_b32_e32 v7, 0x7f800000, v8
	s_delay_alu instid0(VALU_DEP_1) | instskip(SKIP_1) | instid1(SALU_CYCLE_1)
	v_cmp_ne_u32_e32 vcc_lo, 0x7f800000, v7
                                        ; implicit-def: $vgpr7
	s_and_saveexec_b32 s9, vcc_lo
	s_xor_b32 s9, exec_lo, s9
; %bb.40:
	v_bfe_u32 v7, v8, 16, 1
	s_delay_alu instid0(VALU_DEP_1)
	v_add3_u32 v7, v8, v7, 0x7fff
                                        ; implicit-def: $vgpr8
; %bb.41:
	s_and_not1_saveexec_b32 s9, s9
; %bb.42:
	v_and_b32_e32 v7, 0xffff, v8
	v_or_b32_e32 v9, 0x10000, v8
	s_delay_alu instid0(VALU_DEP_2) | instskip(NEXT) | instid1(VALU_DEP_2)
	v_cmp_eq_u32_e32 vcc_lo, 0, v7
	v_cndmask_b32_e32 v7, v9, v8, vcc_lo
; %bb.43:
	s_or_b32 exec_lo, exec_lo, s9
	v_lshlrev_b32_e32 v8, 16, v4
	s_delay_alu instid0(VALU_DEP_1) | instskip(NEXT) | instid1(VALU_DEP_1)
	v_add_f32_e32 v9, 0, v8
	v_and_b32_e32 v8, 0x7f800000, v9
	s_delay_alu instid0(VALU_DEP_1) | instskip(SKIP_1) | instid1(SALU_CYCLE_1)
	v_cmp_ne_u32_e32 vcc_lo, 0x7f800000, v8
                                        ; implicit-def: $vgpr8
	s_and_saveexec_b32 s9, vcc_lo
	s_xor_b32 s9, exec_lo, s9
; %bb.44:
	v_bfe_u32 v8, v9, 16, 1
	s_delay_alu instid0(VALU_DEP_1)
	v_add3_u32 v8, v9, v8, 0x7fff
                                        ; implicit-def: $vgpr9
; %bb.45:
	s_and_not1_saveexec_b32 s9, s9
; %bb.46:
	v_and_b32_e32 v8, 0xffff, v9
	v_or_b32_e32 v10, 0x10000, v9
	s_delay_alu instid0(VALU_DEP_2) | instskip(NEXT) | instid1(VALU_DEP_2)
	v_cmp_eq_u32_e32 vcc_lo, 0, v8
	v_cndmask_b32_e32 v8, v10, v9, vcc_lo
; %bb.47:
	s_or_b32 exec_lo, exec_lo, s9
	v_cmp_lt_i32_e32 vcc_lo, -1, v7
	s_delay_alu instid0(VALU_DEP_2) | instskip(SKIP_4) | instid1(VALU_DEP_1)
	v_perm_b32 v7, v8, v7, 0x7060302
	s_and_not1_b32 s5, s5, exec_lo
	v_cndmask_b32_e64 v9, -1, 0xffff8000, vcc_lo
	v_cmp_lt_i32_e32 vcc_lo, -1, v8
	v_cndmask_b32_e64 v10, -1, 0xffff8000, vcc_lo
	v_perm_b32 v8, v10, v9, 0x5040100
	s_delay_alu instid0(VALU_DEP_1) | instskip(NEXT) | instid1(VALU_DEP_1)
	v_xor_b32_e32 v7, v8, v7
	v_lshrrev_b32_e32 v8, 16, v7
	s_delay_alu instid0(VALU_DEP_1) | instskip(SKIP_1) | instid1(SALU_CYCLE_1)
	v_cmp_le_u16_e32 vcc_lo, v7, v8
	s_and_b32 s9, vcc_lo, exec_lo
	s_or_b32 s5, s5, s9
.LBB2017_48:
	s_or_b32 exec_lo, exec_lo, s0
	v_dual_mov_b32 v7, s7 :: v_dual_cndmask_b32 v8, v6, v5, s5
	s_mov_b32 s9, -1
	s_mov_b32 s0, -1
	s_mov_b32 s10, exec_lo
	s_delay_alu instid0(VALU_DEP_1) | instskip(NEXT) | instid1(VALU_DEP_1)
	v_dual_cndmask_b32 v7, s4, v7, s5 :: v_dual_add_nc_u32 v8, 1, v8
	v_add_min_u32_e64 v7, v7, -1, v8
	s_delay_alu instid0(VALU_DEP_1) | instskip(SKIP_4) | instid1(VALU_DEP_2)
	v_lshlrev_b32_e32 v7, 1, v7
	ds_load_u16 v9, v7
	v_dual_cndmask_b32 v7, v8, v6, s5 :: v_dual_cndmask_b32 v8, v5, v8, s5
	s_wait_dscnt 0x0
	v_dual_cndmask_b32 v5, v9, v4, s5 :: v_dual_cndmask_b32 v6, v3, v9, s5
	v_cmpx_gt_u32_e64 s4, v7
	s_cbranch_execz .LBB2017_60
; %bb.49:
	s_mov_b32 s11, 0
	s_mov_b32 s0, exec_lo
	v_cmpx_gt_u32_e64 s7, v8
	s_cbranch_execz .LBB2017_59
; %bb.50:
	v_lshlrev_b32_e32 v9, 16, v6
	s_delay_alu instid0(VALU_DEP_1) | instskip(NEXT) | instid1(VALU_DEP_1)
	v_add_f32_e32 v10, 0, v9
	v_and_b32_e32 v9, 0x7f800000, v10
	s_delay_alu instid0(VALU_DEP_1) | instskip(SKIP_1) | instid1(SALU_CYCLE_1)
	v_cmp_ne_u32_e32 vcc_lo, 0x7f800000, v9
                                        ; implicit-def: $vgpr9
	s_and_saveexec_b32 s11, vcc_lo
	s_xor_b32 s11, exec_lo, s11
; %bb.51:
	v_bfe_u32 v9, v10, 16, 1
	s_delay_alu instid0(VALU_DEP_1)
	v_add3_u32 v9, v10, v9, 0x7fff
                                        ; implicit-def: $vgpr10
; %bb.52:
	s_and_not1_saveexec_b32 s11, s11
; %bb.53:
	v_and_b32_e32 v9, 0xffff, v10
	v_or_b32_e32 v11, 0x10000, v10
	s_delay_alu instid0(VALU_DEP_2) | instskip(NEXT) | instid1(VALU_DEP_2)
	v_cmp_eq_u32_e32 vcc_lo, 0, v9
	v_cndmask_b32_e32 v9, v11, v10, vcc_lo
; %bb.54:
	s_or_b32 exec_lo, exec_lo, s11
	v_lshlrev_b32_e32 v10, 16, v5
	s_delay_alu instid0(VALU_DEP_1) | instskip(NEXT) | instid1(VALU_DEP_1)
	v_add_f32_e32 v11, 0, v10
	v_and_b32_e32 v10, 0x7f800000, v11
	s_delay_alu instid0(VALU_DEP_1) | instskip(SKIP_1) | instid1(SALU_CYCLE_1)
	v_cmp_ne_u32_e32 vcc_lo, 0x7f800000, v10
                                        ; implicit-def: $vgpr10
	s_and_saveexec_b32 s11, vcc_lo
	s_xor_b32 s11, exec_lo, s11
; %bb.55:
	v_bfe_u32 v10, v11, 16, 1
	s_delay_alu instid0(VALU_DEP_1)
	v_add3_u32 v10, v11, v10, 0x7fff
                                        ; implicit-def: $vgpr11
; %bb.56:
	s_and_not1_saveexec_b32 s11, s11
; %bb.57:
	v_and_b32_e32 v10, 0xffff, v11
	v_or_b32_e32 v12, 0x10000, v11
	s_delay_alu instid0(VALU_DEP_2) | instskip(NEXT) | instid1(VALU_DEP_2)
	v_cmp_eq_u32_e32 vcc_lo, 0, v10
	v_cndmask_b32_e32 v10, v12, v11, vcc_lo
; %bb.58:
	s_or_b32 exec_lo, exec_lo, s11
	v_cmp_lt_i32_e32 vcc_lo, -1, v9
	s_delay_alu instid0(VALU_DEP_2) | instskip(SKIP_3) | instid1(VALU_DEP_1)
	v_perm_b32 v9, v10, v9, 0x7060302
	v_cndmask_b32_e64 v11, -1, 0xffff8000, vcc_lo
	v_cmp_lt_i32_e32 vcc_lo, -1, v10
	v_cndmask_b32_e64 v12, -1, 0xffff8000, vcc_lo
	v_perm_b32 v10, v12, v11, 0x5040100
	s_delay_alu instid0(VALU_DEP_1) | instskip(NEXT) | instid1(VALU_DEP_1)
	v_xor_b32_e32 v9, v10, v9
	v_lshrrev_b32_e32 v10, 16, v9
	s_delay_alu instid0(VALU_DEP_1)
	v_cmp_le_u16_e32 vcc_lo, v9, v10
	s_and_b32 s11, vcc_lo, exec_lo
.LBB2017_59:
	s_or_b32 exec_lo, exec_lo, s0
	s_delay_alu instid0(SALU_CYCLE_1)
	s_or_not1_b32 s0, s11, exec_lo
.LBB2017_60:
	s_or_b32 exec_lo, exec_lo, s10
	v_dual_mov_b32 v9, s7 :: v_dual_cndmask_b32 v10, v7, v8, s0
	s_mov_b32 s10, exec_lo
	s_delay_alu instid0(VALU_DEP_1) | instskip(NEXT) | instid1(VALU_DEP_1)
	v_dual_cndmask_b32 v9, s4, v9, s0 :: v_dual_add_nc_u32 v10, 1, v10
	v_add_min_u32_e64 v9, v9, -1, v10
	s_delay_alu instid0(VALU_DEP_1) | instskip(SKIP_4) | instid1(VALU_DEP_2)
	v_lshlrev_b32_e32 v9, 1, v9
	ds_load_u16 v11, v9
	v_dual_cndmask_b32 v9, v10, v7, s0 :: v_dual_cndmask_b32 v10, v8, v10, s0
	s_wait_dscnt 0x0
	v_dual_cndmask_b32 v7, v11, v5, s0 :: v_dual_cndmask_b32 v8, v6, v11, s0
	v_cmpx_gt_u32_e64 s4, v9
	s_cbranch_execz .LBB2017_72
; %bb.61:
	s_mov_b32 s11, 0
	s_mov_b32 s9, exec_lo
	v_cmpx_gt_u32_e64 s7, v10
	s_cbranch_execz .LBB2017_71
; %bb.62:
	v_lshlrev_b32_e32 v11, 16, v8
	s_delay_alu instid0(VALU_DEP_1) | instskip(NEXT) | instid1(VALU_DEP_1)
	v_add_f32_e32 v12, 0, v11
	v_and_b32_e32 v11, 0x7f800000, v12
	s_delay_alu instid0(VALU_DEP_1) | instskip(SKIP_1) | instid1(SALU_CYCLE_1)
	v_cmp_ne_u32_e32 vcc_lo, 0x7f800000, v11
                                        ; implicit-def: $vgpr11
	s_and_saveexec_b32 s11, vcc_lo
	s_xor_b32 s11, exec_lo, s11
; %bb.63:
	v_bfe_u32 v11, v12, 16, 1
	s_delay_alu instid0(VALU_DEP_1)
	v_add3_u32 v11, v12, v11, 0x7fff
                                        ; implicit-def: $vgpr12
; %bb.64:
	s_and_not1_saveexec_b32 s11, s11
; %bb.65:
	v_and_b32_e32 v11, 0xffff, v12
	v_or_b32_e32 v13, 0x10000, v12
	s_delay_alu instid0(VALU_DEP_2) | instskip(NEXT) | instid1(VALU_DEP_2)
	v_cmp_eq_u32_e32 vcc_lo, 0, v11
	v_cndmask_b32_e32 v11, v13, v12, vcc_lo
; %bb.66:
	s_or_b32 exec_lo, exec_lo, s11
	v_lshlrev_b32_e32 v12, 16, v7
	s_delay_alu instid0(VALU_DEP_1) | instskip(NEXT) | instid1(VALU_DEP_1)
	v_add_f32_e32 v13, 0, v12
	v_and_b32_e32 v12, 0x7f800000, v13
	s_delay_alu instid0(VALU_DEP_1) | instskip(SKIP_1) | instid1(SALU_CYCLE_1)
	v_cmp_ne_u32_e32 vcc_lo, 0x7f800000, v12
                                        ; implicit-def: $vgpr12
	s_and_saveexec_b32 s11, vcc_lo
	s_xor_b32 s11, exec_lo, s11
; %bb.67:
	v_bfe_u32 v12, v13, 16, 1
	s_delay_alu instid0(VALU_DEP_1)
	v_add3_u32 v12, v13, v12, 0x7fff
                                        ; implicit-def: $vgpr13
; %bb.68:
	s_and_not1_saveexec_b32 s11, s11
; %bb.69:
	v_and_b32_e32 v12, 0xffff, v13
	v_or_b32_e32 v14, 0x10000, v13
	s_delay_alu instid0(VALU_DEP_2) | instskip(NEXT) | instid1(VALU_DEP_2)
	v_cmp_eq_u32_e32 vcc_lo, 0, v12
	v_cndmask_b32_e32 v12, v14, v13, vcc_lo
; %bb.70:
	s_or_b32 exec_lo, exec_lo, s11
	v_cmp_lt_i32_e32 vcc_lo, -1, v11
	s_delay_alu instid0(VALU_DEP_2) | instskip(SKIP_3) | instid1(VALU_DEP_1)
	v_perm_b32 v11, v12, v11, 0x7060302
	v_cndmask_b32_e64 v13, -1, 0xffff8000, vcc_lo
	v_cmp_lt_i32_e32 vcc_lo, -1, v12
	v_cndmask_b32_e64 v14, -1, 0xffff8000, vcc_lo
	v_perm_b32 v12, v14, v13, 0x5040100
	s_delay_alu instid0(VALU_DEP_1) | instskip(NEXT) | instid1(VALU_DEP_1)
	v_xor_b32_e32 v11, v12, v11
	v_lshrrev_b32_e32 v12, 16, v11
	s_delay_alu instid0(VALU_DEP_1)
	v_cmp_le_u16_e32 vcc_lo, v11, v12
	s_and_b32 s11, vcc_lo, exec_lo
.LBB2017_71:
	s_or_b32 exec_lo, exec_lo, s9
	s_delay_alu instid0(SALU_CYCLE_1)
	s_or_not1_b32 s9, s11, exec_lo
.LBB2017_72:
	s_or_b32 exec_lo, exec_lo, s10
	v_dual_mov_b32 v11, s7 :: v_dual_cndmask_b32 v12, v9, v10, s9
	s_mov_b32 s11, -1
	s_mov_b32 s10, -1
	s_mov_b32 s12, exec_lo
	s_delay_alu instid0(VALU_DEP_1) | instskip(NEXT) | instid1(VALU_DEP_1)
	v_dual_cndmask_b32 v11, s4, v11, s9 :: v_dual_add_nc_u32 v12, 1, v12
	v_add_min_u32_e64 v11, v11, -1, v12
	s_delay_alu instid0(VALU_DEP_1) | instskip(SKIP_4) | instid1(VALU_DEP_2)
	v_lshlrev_b32_e32 v11, 1, v11
	ds_load_u16 v13, v11
	v_dual_cndmask_b32 v11, v12, v9, s9 :: v_dual_cndmask_b32 v12, v10, v12, s9
	s_wait_dscnt 0x0
	v_dual_cndmask_b32 v9, v13, v7, s9 :: v_dual_cndmask_b32 v10, v8, v13, s9
	v_cmpx_gt_u32_e64 s4, v11
	s_cbranch_execz .LBB2017_84
; %bb.73:
	s_mov_b32 s13, 0
	s_mov_b32 s10, exec_lo
	v_cmpx_gt_u32_e64 s7, v12
	s_cbranch_execz .LBB2017_83
; %bb.74:
	v_lshlrev_b32_e32 v13, 16, v10
	s_delay_alu instid0(VALU_DEP_1) | instskip(NEXT) | instid1(VALU_DEP_1)
	v_add_f32_e32 v14, 0, v13
	v_and_b32_e32 v13, 0x7f800000, v14
	s_delay_alu instid0(VALU_DEP_1) | instskip(SKIP_1) | instid1(SALU_CYCLE_1)
	v_cmp_ne_u32_e32 vcc_lo, 0x7f800000, v13
                                        ; implicit-def: $vgpr13
	s_and_saveexec_b32 s13, vcc_lo
	s_xor_b32 s13, exec_lo, s13
; %bb.75:
	v_bfe_u32 v13, v14, 16, 1
	s_delay_alu instid0(VALU_DEP_1)
	v_add3_u32 v13, v14, v13, 0x7fff
                                        ; implicit-def: $vgpr14
; %bb.76:
	s_and_not1_saveexec_b32 s13, s13
; %bb.77:
	v_and_b32_e32 v13, 0xffff, v14
	v_or_b32_e32 v15, 0x10000, v14
	s_delay_alu instid0(VALU_DEP_2) | instskip(NEXT) | instid1(VALU_DEP_2)
	v_cmp_eq_u32_e32 vcc_lo, 0, v13
	v_cndmask_b32_e32 v13, v15, v14, vcc_lo
; %bb.78:
	s_or_b32 exec_lo, exec_lo, s13
	v_lshlrev_b32_e32 v14, 16, v9
	s_delay_alu instid0(VALU_DEP_1) | instskip(NEXT) | instid1(VALU_DEP_1)
	v_add_f32_e32 v15, 0, v14
	v_and_b32_e32 v14, 0x7f800000, v15
	s_delay_alu instid0(VALU_DEP_1) | instskip(SKIP_1) | instid1(SALU_CYCLE_1)
	v_cmp_ne_u32_e32 vcc_lo, 0x7f800000, v14
                                        ; implicit-def: $vgpr14
	s_and_saveexec_b32 s13, vcc_lo
	s_xor_b32 s13, exec_lo, s13
; %bb.79:
	v_bfe_u32 v14, v15, 16, 1
	s_delay_alu instid0(VALU_DEP_1)
	v_add3_u32 v14, v15, v14, 0x7fff
                                        ; implicit-def: $vgpr15
; %bb.80:
	s_and_not1_saveexec_b32 s13, s13
; %bb.81:
	v_and_b32_e32 v14, 0xffff, v15
	v_or_b32_e32 v16, 0x10000, v15
	s_delay_alu instid0(VALU_DEP_2) | instskip(NEXT) | instid1(VALU_DEP_2)
	v_cmp_eq_u32_e32 vcc_lo, 0, v14
	v_cndmask_b32_e32 v14, v16, v15, vcc_lo
; %bb.82:
	s_or_b32 exec_lo, exec_lo, s13
	v_cmp_lt_i32_e32 vcc_lo, -1, v13
	s_delay_alu instid0(VALU_DEP_2) | instskip(SKIP_3) | instid1(VALU_DEP_1)
	v_perm_b32 v13, v14, v13, 0x7060302
	v_cndmask_b32_e64 v15, -1, 0xffff8000, vcc_lo
	v_cmp_lt_i32_e32 vcc_lo, -1, v14
	v_cndmask_b32_e64 v16, -1, 0xffff8000, vcc_lo
	v_perm_b32 v14, v16, v15, 0x5040100
	s_delay_alu instid0(VALU_DEP_1) | instskip(NEXT) | instid1(VALU_DEP_1)
	v_xor_b32_e32 v13, v14, v13
	v_lshrrev_b32_e32 v14, 16, v13
	s_delay_alu instid0(VALU_DEP_1)
	v_cmp_le_u16_e32 vcc_lo, v13, v14
	s_and_b32 s13, vcc_lo, exec_lo
.LBB2017_83:
	s_or_b32 exec_lo, exec_lo, s10
	s_delay_alu instid0(SALU_CYCLE_1)
	s_or_not1_b32 s10, s13, exec_lo
.LBB2017_84:
	s_or_b32 exec_lo, exec_lo, s12
	v_dual_mov_b32 v13, s7 :: v_dual_cndmask_b32 v14, v11, v12, s10
	s_mov_b32 s12, exec_lo
	s_delay_alu instid0(VALU_DEP_1) | instskip(NEXT) | instid1(VALU_DEP_1)
	v_dual_cndmask_b32 v13, s4, v13, s10 :: v_dual_add_nc_u32 v14, 1, v14
	v_add_min_u32_e64 v13, v13, -1, v14
	s_delay_alu instid0(VALU_DEP_1) | instskip(SKIP_4) | instid1(VALU_DEP_2)
	v_lshlrev_b32_e32 v13, 1, v13
	ds_load_u16 v15, v13
	v_dual_cndmask_b32 v13, v14, v11, s10 :: v_dual_cndmask_b32 v14, v12, v14, s10
	s_wait_dscnt 0x0
	v_dual_cndmask_b32 v11, v15, v9, s10 :: v_dual_cndmask_b32 v12, v10, v15, s10
	v_cmpx_gt_u32_e64 s4, v13
	s_cbranch_execz .LBB2017_96
; %bb.85:
	s_mov_b32 s13, 0
	s_mov_b32 s11, exec_lo
	v_cmpx_gt_u32_e64 s7, v14
	s_cbranch_execz .LBB2017_95
; %bb.86:
	v_lshlrev_b32_e32 v15, 16, v12
	s_delay_alu instid0(VALU_DEP_1) | instskip(NEXT) | instid1(VALU_DEP_1)
	v_add_f32_e32 v16, 0, v15
	v_and_b32_e32 v15, 0x7f800000, v16
	s_delay_alu instid0(VALU_DEP_1) | instskip(SKIP_1) | instid1(SALU_CYCLE_1)
	v_cmp_ne_u32_e32 vcc_lo, 0x7f800000, v15
                                        ; implicit-def: $vgpr15
	s_and_saveexec_b32 s13, vcc_lo
	s_xor_b32 s13, exec_lo, s13
; %bb.87:
	v_bfe_u32 v15, v16, 16, 1
	s_delay_alu instid0(VALU_DEP_1)
	v_add3_u32 v15, v16, v15, 0x7fff
                                        ; implicit-def: $vgpr16
; %bb.88:
	s_and_not1_saveexec_b32 s13, s13
; %bb.89:
	v_and_b32_e32 v15, 0xffff, v16
	v_or_b32_e32 v17, 0x10000, v16
	s_delay_alu instid0(VALU_DEP_2) | instskip(NEXT) | instid1(VALU_DEP_2)
	v_cmp_eq_u32_e32 vcc_lo, 0, v15
	v_cndmask_b32_e32 v15, v17, v16, vcc_lo
; %bb.90:
	s_or_b32 exec_lo, exec_lo, s13
	v_lshlrev_b32_e32 v16, 16, v11
	s_delay_alu instid0(VALU_DEP_1) | instskip(NEXT) | instid1(VALU_DEP_1)
	v_add_f32_e32 v17, 0, v16
	v_and_b32_e32 v16, 0x7f800000, v17
	s_delay_alu instid0(VALU_DEP_1) | instskip(SKIP_1) | instid1(SALU_CYCLE_1)
	v_cmp_ne_u32_e32 vcc_lo, 0x7f800000, v16
                                        ; implicit-def: $vgpr16
	s_and_saveexec_b32 s13, vcc_lo
	s_xor_b32 s13, exec_lo, s13
; %bb.91:
	v_bfe_u32 v16, v17, 16, 1
	s_delay_alu instid0(VALU_DEP_1)
	v_add3_u32 v16, v17, v16, 0x7fff
                                        ; implicit-def: $vgpr17
; %bb.92:
	s_and_not1_saveexec_b32 s13, s13
; %bb.93:
	v_and_b32_e32 v16, 0xffff, v17
	v_or_b32_e32 v18, 0x10000, v17
	s_delay_alu instid0(VALU_DEP_2) | instskip(NEXT) | instid1(VALU_DEP_2)
	v_cmp_eq_u32_e32 vcc_lo, 0, v16
	v_cndmask_b32_e32 v16, v18, v17, vcc_lo
; %bb.94:
	s_or_b32 exec_lo, exec_lo, s13
	v_cmp_lt_i32_e32 vcc_lo, -1, v15
	s_delay_alu instid0(VALU_DEP_2) | instskip(SKIP_3) | instid1(VALU_DEP_1)
	v_perm_b32 v15, v16, v15, 0x7060302
	v_cndmask_b32_e64 v17, -1, 0xffff8000, vcc_lo
	v_cmp_lt_i32_e32 vcc_lo, -1, v16
	v_cndmask_b32_e64 v18, -1, 0xffff8000, vcc_lo
	v_perm_b32 v16, v18, v17, 0x5040100
	s_delay_alu instid0(VALU_DEP_1) | instskip(NEXT) | instid1(VALU_DEP_1)
	v_xor_b32_e32 v15, v16, v15
	v_lshrrev_b32_e32 v16, 16, v15
	s_delay_alu instid0(VALU_DEP_1)
	v_cmp_le_u16_e32 vcc_lo, v15, v16
	s_and_b32 s13, vcc_lo, exec_lo
.LBB2017_95:
	s_or_b32 exec_lo, exec_lo, s11
	s_delay_alu instid0(SALU_CYCLE_1)
	s_or_not1_b32 s11, s13, exec_lo
.LBB2017_96:
	s_or_b32 exec_lo, exec_lo, s12
	v_dual_mov_b32 v15, s7 :: v_dual_cndmask_b32 v16, v13, v14, s11
	s_mov_b32 s12, -1
	s_mov_b32 s13, -1
	s_mov_b32 s15, exec_lo
	s_delay_alu instid0(VALU_DEP_1) | instskip(NEXT) | instid1(VALU_DEP_1)
	v_dual_cndmask_b32 v15, s4, v15, s11 :: v_dual_add_nc_u32 v16, 1, v16
	v_add_min_u32_e64 v15, v15, -1, v16
	s_delay_alu instid0(VALU_DEP_1)
	v_dual_cndmask_b32 v13, v16, v13, s11 :: v_dual_lshlrev_b32 v15, 1, v15
	ds_load_u16 v15, v15
	s_wait_dscnt 0x0
	v_dual_cndmask_b32 v16, v14, v16, s11 :: v_dual_cndmask_b32 v14, v15, v11, s11
	v_cndmask_b32_e64 v15, v12, v15, s11
	v_cmpx_gt_u32_e64 s4, v13
	s_cbranch_execz .LBB2017_108
; %bb.97:
	s_mov_b32 s16, 0
	s_mov_b32 s13, exec_lo
	v_cmpx_gt_u32_e64 s7, v16
	s_cbranch_execz .LBB2017_107
; %bb.98:
	v_lshlrev_b32_e32 v17, 16, v15
	s_delay_alu instid0(VALU_DEP_1) | instskip(NEXT) | instid1(VALU_DEP_1)
	v_add_f32_e32 v18, 0, v17
	v_and_b32_e32 v17, 0x7f800000, v18
	s_delay_alu instid0(VALU_DEP_1) | instskip(SKIP_1) | instid1(SALU_CYCLE_1)
	v_cmp_ne_u32_e32 vcc_lo, 0x7f800000, v17
                                        ; implicit-def: $vgpr17
	s_and_saveexec_b32 s16, vcc_lo
	s_xor_b32 s16, exec_lo, s16
; %bb.99:
	v_bfe_u32 v17, v18, 16, 1
	s_delay_alu instid0(VALU_DEP_1)
	v_add3_u32 v17, v18, v17, 0x7fff
                                        ; implicit-def: $vgpr18
; %bb.100:
	s_and_not1_saveexec_b32 s16, s16
; %bb.101:
	v_and_b32_e32 v17, 0xffff, v18
	v_or_b32_e32 v19, 0x10000, v18
	s_delay_alu instid0(VALU_DEP_2) | instskip(NEXT) | instid1(VALU_DEP_2)
	v_cmp_eq_u32_e32 vcc_lo, 0, v17
	v_cndmask_b32_e32 v17, v19, v18, vcc_lo
; %bb.102:
	s_or_b32 exec_lo, exec_lo, s16
	v_lshlrev_b32_e32 v18, 16, v14
	s_delay_alu instid0(VALU_DEP_1) | instskip(NEXT) | instid1(VALU_DEP_1)
	v_add_f32_e32 v19, 0, v18
	v_and_b32_e32 v18, 0x7f800000, v19
	s_delay_alu instid0(VALU_DEP_1) | instskip(SKIP_1) | instid1(SALU_CYCLE_1)
	v_cmp_ne_u32_e32 vcc_lo, 0x7f800000, v18
                                        ; implicit-def: $vgpr18
	s_and_saveexec_b32 s16, vcc_lo
	s_xor_b32 s16, exec_lo, s16
; %bb.103:
	v_bfe_u32 v18, v19, 16, 1
	s_delay_alu instid0(VALU_DEP_1)
	v_add3_u32 v18, v19, v18, 0x7fff
                                        ; implicit-def: $vgpr19
; %bb.104:
	s_and_not1_saveexec_b32 s16, s16
; %bb.105:
	v_and_b32_e32 v18, 0xffff, v19
	v_or_b32_e32 v20, 0x10000, v19
	s_delay_alu instid0(VALU_DEP_2) | instskip(NEXT) | instid1(VALU_DEP_2)
	v_cmp_eq_u32_e32 vcc_lo, 0, v18
	v_cndmask_b32_e32 v18, v20, v19, vcc_lo
; %bb.106:
	s_or_b32 exec_lo, exec_lo, s16
	v_cmp_lt_i32_e32 vcc_lo, -1, v17
	s_delay_alu instid0(VALU_DEP_2) | instskip(SKIP_3) | instid1(VALU_DEP_1)
	v_perm_b32 v17, v18, v17, 0x7060302
	v_cndmask_b32_e64 v19, -1, 0xffff8000, vcc_lo
	v_cmp_lt_i32_e32 vcc_lo, -1, v18
	v_cndmask_b32_e64 v20, -1, 0xffff8000, vcc_lo
	v_perm_b32 v18, v20, v19, 0x5040100
	s_delay_alu instid0(VALU_DEP_1) | instskip(NEXT) | instid1(VALU_DEP_1)
	v_xor_b32_e32 v17, v18, v17
	v_lshrrev_b32_e32 v18, 16, v17
	s_delay_alu instid0(VALU_DEP_1)
	v_cmp_le_u16_e32 vcc_lo, v17, v18
	s_and_b32 s16, vcc_lo, exec_lo
.LBB2017_107:
	s_or_b32 exec_lo, exec_lo, s13
	s_delay_alu instid0(SALU_CYCLE_1)
	s_or_not1_b32 s13, s16, exec_lo
.LBB2017_108:
	s_or_b32 exec_lo, exec_lo, s15
	v_dual_mov_b32 v17, s7 :: v_dual_cndmask_b32 v18, v13, v16, s13
	s_mov_b32 s15, exec_lo
	s_delay_alu instid0(VALU_DEP_1) | instskip(NEXT) | instid1(VALU_DEP_1)
	v_dual_cndmask_b32 v17, s4, v17, s13 :: v_dual_add_nc_u32 v18, 1, v18
	v_add_min_u32_e64 v17, v17, -1, v18
	v_dual_cndmask_b32 v13, v18, v13, s13 :: v_dual_cndmask_b32 v18, v16, v18, s13
	s_delay_alu instid0(VALU_DEP_2)
	v_lshlrev_b32_e32 v17, 1, v17
	ds_load_u16 v17, v17
	s_wait_dscnt 0x0
	v_dual_cndmask_b32 v16, v17, v14, s13 :: v_dual_cndmask_b32 v17, v15, v17, s13
	v_cmpx_gt_u32_e64 s4, v13
	s_cbranch_execz .LBB2017_120
; %bb.109:
	s_mov_b32 s16, 0
	s_mov_b32 s12, exec_lo
	v_cmpx_gt_u32_e64 s7, v18
	s_cbranch_execz .LBB2017_119
; %bb.110:
	v_lshlrev_b32_e32 v19, 16, v17
	s_delay_alu instid0(VALU_DEP_1) | instskip(NEXT) | instid1(VALU_DEP_1)
	v_add_f32_e32 v20, 0, v19
	v_and_b32_e32 v19, 0x7f800000, v20
	s_delay_alu instid0(VALU_DEP_1) | instskip(SKIP_1) | instid1(SALU_CYCLE_1)
	v_cmp_ne_u32_e32 vcc_lo, 0x7f800000, v19
                                        ; implicit-def: $vgpr19
	s_and_saveexec_b32 s16, vcc_lo
	s_xor_b32 s16, exec_lo, s16
; %bb.111:
	v_bfe_u32 v19, v20, 16, 1
	s_delay_alu instid0(VALU_DEP_1)
	v_add3_u32 v19, v20, v19, 0x7fff
                                        ; implicit-def: $vgpr20
; %bb.112:
	s_and_not1_saveexec_b32 s16, s16
; %bb.113:
	v_and_b32_e32 v19, 0xffff, v20
	v_or_b32_e32 v21, 0x10000, v20
	s_delay_alu instid0(VALU_DEP_2) | instskip(NEXT) | instid1(VALU_DEP_2)
	v_cmp_eq_u32_e32 vcc_lo, 0, v19
	v_cndmask_b32_e32 v19, v21, v20, vcc_lo
; %bb.114:
	s_or_b32 exec_lo, exec_lo, s16
	v_lshlrev_b32_e32 v20, 16, v16
	s_delay_alu instid0(VALU_DEP_1) | instskip(NEXT) | instid1(VALU_DEP_1)
	v_add_f32_e32 v21, 0, v20
	v_and_b32_e32 v20, 0x7f800000, v21
	s_delay_alu instid0(VALU_DEP_1) | instskip(SKIP_1) | instid1(SALU_CYCLE_1)
	v_cmp_ne_u32_e32 vcc_lo, 0x7f800000, v20
                                        ; implicit-def: $vgpr20
	s_and_saveexec_b32 s16, vcc_lo
	s_xor_b32 s16, exec_lo, s16
; %bb.115:
	v_bfe_u32 v20, v21, 16, 1
	s_delay_alu instid0(VALU_DEP_1)
	v_add3_u32 v20, v21, v20, 0x7fff
                                        ; implicit-def: $vgpr21
; %bb.116:
	s_and_not1_saveexec_b32 s16, s16
; %bb.117:
	v_and_b32_e32 v20, 0xffff, v21
	v_or_b32_e32 v22, 0x10000, v21
	s_delay_alu instid0(VALU_DEP_2) | instskip(NEXT) | instid1(VALU_DEP_2)
	v_cmp_eq_u32_e32 vcc_lo, 0, v20
	v_cndmask_b32_e32 v20, v22, v21, vcc_lo
; %bb.118:
	s_or_b32 exec_lo, exec_lo, s16
	v_cmp_lt_i32_e32 vcc_lo, -1, v19
	s_delay_alu instid0(VALU_DEP_2) | instskip(SKIP_3) | instid1(VALU_DEP_1)
	v_perm_b32 v19, v20, v19, 0x7060302
	v_cndmask_b32_e64 v21, -1, 0xffff8000, vcc_lo
	v_cmp_lt_i32_e32 vcc_lo, -1, v20
	v_cndmask_b32_e64 v22, -1, 0xffff8000, vcc_lo
	v_perm_b32 v20, v22, v21, 0x5040100
	s_delay_alu instid0(VALU_DEP_1) | instskip(NEXT) | instid1(VALU_DEP_1)
	v_xor_b32_e32 v19, v20, v19
	v_lshrrev_b32_e32 v20, 16, v19
	s_delay_alu instid0(VALU_DEP_1)
	v_cmp_le_u16_e32 vcc_lo, v19, v20
	s_and_b32 s16, vcc_lo, exec_lo
.LBB2017_119:
	s_or_b32 exec_lo, exec_lo, s12
	s_delay_alu instid0(SALU_CYCLE_1)
	s_or_not1_b32 s12, s16, exec_lo
.LBB2017_120:
	s_or_b32 exec_lo, exec_lo, s15
	v_dual_mov_b32 v19, s7 :: v_dual_cndmask_b32 v20, v13, v18, s12
	s_delay_alu instid0(VALU_DEP_1) | instskip(NEXT) | instid1(VALU_DEP_1)
	v_dual_cndmask_b32 v21, s4, v19, s12 :: v_dual_add_nc_u32 v19, 1, v20
	v_add_min_u32_e64 v20, v21, -1, v19
	s_delay_alu instid0(VALU_DEP_1) | instskip(NEXT) | instid1(VALU_DEP_1)
	v_dual_cndmask_b32 v21, v19, v13, s12 :: v_dual_lshlrev_b32 v20, 1, v20
	v_cmp_gt_u32_e32 vcc_lo, s4, v21
	ds_load_u16 v20, v20
	s_wait_dscnt 0x0
	v_cndmask_b32_e64 v13, v17, v20, s12
	s_and_saveexec_b32 s4, vcc_lo
	s_cbranch_execz .LBB2017_132
; %bb.121:
	v_dual_cndmask_b32 v19, v18, v19, s12 :: v_dual_cndmask_b32 v18, v20, v16, s12
	s_delay_alu instid0(VALU_DEP_1)
	v_cmp_gt_u32_e32 vcc_lo, s7, v19
	s_and_saveexec_b32 s7, vcc_lo
	s_cbranch_execz .LBB2017_131
; %bb.122:
	v_lshlrev_b32_e32 v19, 16, v13
	s_delay_alu instid0(VALU_DEP_1) | instskip(NEXT) | instid1(VALU_DEP_1)
	v_add_f32_e32 v20, 0, v19
	v_and_b32_e32 v19, 0x7f800000, v20
	s_delay_alu instid0(VALU_DEP_1) | instskip(SKIP_1) | instid1(SALU_CYCLE_1)
	v_cmp_ne_u32_e32 vcc_lo, 0x7f800000, v19
                                        ; implicit-def: $vgpr19
	s_and_saveexec_b32 s15, vcc_lo
	s_xor_b32 s15, exec_lo, s15
; %bb.123:
	v_bfe_u32 v19, v20, 16, 1
	s_delay_alu instid0(VALU_DEP_1)
	v_add3_u32 v19, v20, v19, 0x7fff
                                        ; implicit-def: $vgpr20
; %bb.124:
	s_and_not1_saveexec_b32 s15, s15
; %bb.125:
	v_and_b32_e32 v19, 0xffff, v20
	v_or_b32_e32 v21, 0x10000, v20
	s_delay_alu instid0(VALU_DEP_2) | instskip(NEXT) | instid1(VALU_DEP_2)
	v_cmp_eq_u32_e32 vcc_lo, 0, v19
	v_cndmask_b32_e32 v19, v21, v20, vcc_lo
; %bb.126:
	s_or_b32 exec_lo, exec_lo, s15
	v_lshlrev_b32_e32 v20, 16, v18
	s_delay_alu instid0(VALU_DEP_1) | instskip(NEXT) | instid1(VALU_DEP_1)
	v_add_f32_e32 v21, 0, v20
	v_and_b32_e32 v20, 0x7f800000, v21
	s_delay_alu instid0(VALU_DEP_1) | instskip(SKIP_1) | instid1(SALU_CYCLE_1)
	v_cmp_ne_u32_e32 vcc_lo, 0x7f800000, v20
                                        ; implicit-def: $vgpr20
	s_and_saveexec_b32 s15, vcc_lo
	s_xor_b32 s15, exec_lo, s15
; %bb.127:
	v_bfe_u32 v20, v21, 16, 1
	s_delay_alu instid0(VALU_DEP_1)
	v_add3_u32 v20, v21, v20, 0x7fff
                                        ; implicit-def: $vgpr21
; %bb.128:
	s_and_not1_saveexec_b32 s15, s15
; %bb.129:
	v_and_b32_e32 v20, 0xffff, v21
	v_or_b32_e32 v22, 0x10000, v21
	s_delay_alu instid0(VALU_DEP_2) | instskip(NEXT) | instid1(VALU_DEP_2)
	v_cmp_eq_u32_e32 vcc_lo, 0, v20
	v_cndmask_b32_e32 v20, v22, v21, vcc_lo
; %bb.130:
	s_or_b32 exec_lo, exec_lo, s15
	v_cmp_lt_i32_e32 vcc_lo, -1, v19
	s_delay_alu instid0(VALU_DEP_2) | instskip(SKIP_3) | instid1(VALU_DEP_1)
	v_perm_b32 v19, v20, v19, 0x7060302
	v_cndmask_b32_e64 v21, -1, 0xffff8000, vcc_lo
	v_cmp_lt_i32_e32 vcc_lo, -1, v20
	v_cndmask_b32_e64 v22, -1, 0xffff8000, vcc_lo
	v_perm_b32 v20, v22, v21, 0x5040100
	s_delay_alu instid0(VALU_DEP_1) | instskip(NEXT) | instid1(VALU_DEP_1)
	v_xor_b32_e32 v19, v20, v19
	v_lshrrev_b32_e32 v20, 16, v19
	s_delay_alu instid0(VALU_DEP_1)
	v_cmp_gt_u16_e32 vcc_lo, v19, v20
	v_cndmask_b32_e32 v18, v13, v18, vcc_lo
.LBB2017_131:
	s_or_b32 exec_lo, exec_lo, s7
	s_delay_alu instid0(VALU_DEP_1)
	v_mov_b32_e32 v13, v18
.LBB2017_132:
	s_or_b32 exec_lo, exec_lo, s4
	v_dual_cndmask_b32 v14, v14, v15, s13 :: v_dual_cndmask_b32 v11, v11, v12, s11
	v_dual_cndmask_b32 v10, v9, v10, s10 :: v_dual_cndmask_b32 v9, v7, v8, s9
	v_dual_cndmask_b32 v7, v5, v6, s0 :: v_dual_cndmask_b32 v8, v4, v3, s5
	v_cndmask_b32_e64 v3, v16, v17, s12
.LBB2017_133:
	s_or_b32 exec_lo, exec_lo, s1
	v_dual_lshrrev_b32 v4, 1, v0 :: v_dual_lshrrev_b32 v6, 4, v0
	v_or_b32_e32 v15, 0x80, v0
	v_or_b32_e32 v12, 0x100, v0
	v_perm_b32 v5, v7, v8, 0x5040100
	s_delay_alu instid0(VALU_DEP_4) | instskip(NEXT) | instid1(VALU_DEP_4)
	v_and_b32_e32 v4, 60, v4
	v_dual_lshrrev_b32 v7, 4, v15 :: v_dual_bitop2_b32 v6, 4, v6 bitop3:0x40
	s_delay_alu instid0(VALU_DEP_4) | instskip(SKIP_1) | instid1(VALU_DEP_4)
	v_lshrrev_b32_e32 v8, 4, v12
	v_perm_b32 v3, v13, v3, 0x5040100
	v_lshl_add_u32 v1, v1, 1, v4
	v_perm_b32 v4, v10, v9, 0x5040100
	v_perm_b32 v10, v14, v11, 0x5040100
	v_and_b32_e32 v7, 12, v7
	v_or_b32_e32 v9, 0x180, v0
	s_barrier_signal -1
	s_barrier_wait -1
	s_barrier_signal -1
	s_barrier_wait -1
	ds_store_2addr_b32 v1, v5, v4 offset1:1
	ds_store_2addr_b32 v1, v10, v3 offset0:2 offset1:3
	v_dual_add_nc_u32 v10, v6, v2 :: v_dual_bitop2_b32 v8, 20, v8 bitop3:0x40
	v_dual_add_nc_u32 v11, v7, v2 :: v_dual_lshrrev_b32 v1, 4, v9
	v_or_b32_e32 v7, 0x280, v0
	v_or_b32_e32 v6, 0x300, v0
	s_delay_alu instid0(VALU_DEP_4) | instskip(SKIP_4) | instid1(VALU_DEP_3)
	v_add_nc_u32_e32 v13, v8, v2
	v_or_b32_e32 v8, 0x200, v0
	v_and_b32_e32 v3, 28, v1
	v_or_b32_e32 v1, 0x380, v0
	v_dual_lshrrev_b32 v5, 4, v7 :: v_dual_lshrrev_b32 v16, 4, v6
	v_dual_lshrrev_b32 v4, 4, v8 :: v_dual_add_nc_u32 v14, v3, v2
	s_delay_alu instid0(VALU_DEP_3) | instskip(SKIP_1) | instid1(VALU_DEP_2)
	v_lshrrev_b32_e32 v17, 4, v1
	s_mov_b32 s9, 0
	v_dual_mov_b32 v3, 0 :: v_dual_bitop2_b32 v4, 36, v4 bitop3:0x40
	v_and_b32_e32 v5, 44, v5
	s_lshl_b64 s[0:1], s[8:9], 1
	v_and_b32_e32 v18, 52, v16
	v_and_b32_e32 v19, 60, v17
	s_wait_kmcnt 0x0
	s_add_nc_u64 s[0:1], s[2:3], s[0:1]
	v_dual_add_nc_u32 v16, v4, v2 :: v_dual_add_nc_u32 v17, v5, v2
	v_add_nc_u64_e32 v[4:5], s[0:1], v[2:3]
	v_dual_add_nc_u32 v18, v18, v2 :: v_dual_add_nc_u32 v19, v19, v2
	s_and_b32 vcc_lo, exec_lo, s14
	s_wait_dscnt 0x0
	s_cbranch_vccz .LBB2017_135
; %bb.134:
	s_barrier_signal -1
	s_barrier_wait -1
	ds_load_u16 v3, v10
	ds_load_u16 v20, v11 offset:256
	ds_load_u16 v21, v13 offset:512
	;; [unrolled: 1-line block ×7, first 2 shown]
	s_mov_b32 s9, -1
	s_wait_dscnt 0x7
	global_store_b16 v[4:5], v3, off
	s_wait_dscnt 0x6
	global_store_b16 v[4:5], v20, off offset:256
	s_wait_dscnt 0x5
	global_store_b16 v[4:5], v21, off offset:512
	;; [unrolled: 2-line block ×6, first 2 shown]
	s_cbranch_execz .LBB2017_136
	s_branch .LBB2017_145
.LBB2017_135:
                                        ; implicit-def: $vgpr2
.LBB2017_136:
	s_barrier_signal -1
	s_barrier_wait -1
	s_wait_storecnt_dscnt 0x0
	s_wait_xcnt 0x4
	ds_load_u16 v21, v11 offset:256
	ds_load_u16 v20, v13 offset:512
	;; [unrolled: 1-line block ×7, first 2 shown]
	s_sub_co_i32 s0, s6, s8
	s_mov_b32 s1, exec_lo
	s_wait_xcnt 0x0
	v_cmpx_gt_u32_e64 s0, v0
	s_cbranch_execz .LBB2017_148
; %bb.137:
	ds_load_u16 v0, v10
	s_wait_dscnt 0x0
	global_store_b16 v[4:5], v0, off
	s_wait_xcnt 0x0
	s_or_b32 exec_lo, exec_lo, s1
	s_delay_alu instid0(SALU_CYCLE_1)
	s_mov_b32 s1, exec_lo
	v_cmpx_gt_u32_e64 s0, v15
	s_cbranch_execnz .LBB2017_149
.LBB2017_138:
	s_or_b32 exec_lo, exec_lo, s1
	s_delay_alu instid0(SALU_CYCLE_1)
	s_mov_b32 s1, exec_lo
	v_cmpx_gt_u32_e64 s0, v12
	s_cbranch_execz .LBB2017_150
.LBB2017_139:
	s_wait_dscnt 0x5
	global_store_b16 v[4:5], v20, off offset:512
	s_wait_xcnt 0x0
	s_or_b32 exec_lo, exec_lo, s1
	s_delay_alu instid0(SALU_CYCLE_1)
	s_mov_b32 s1, exec_lo
	v_cmpx_gt_u32_e64 s0, v9
	s_cbranch_execnz .LBB2017_151
.LBB2017_140:
	s_or_b32 exec_lo, exec_lo, s1
	s_delay_alu instid0(SALU_CYCLE_1)
	s_mov_b32 s1, exec_lo
	v_cmpx_gt_u32_e64 s0, v8
	s_cbranch_execz .LBB2017_152
.LBB2017_141:
	s_wait_dscnt 0x3
	global_store_b16 v[4:5], v13, off offset:1024
	s_wait_xcnt 0x0
	s_or_b32 exec_lo, exec_lo, s1
	s_delay_alu instid0(SALU_CYCLE_1)
	s_mov_b32 s1, exec_lo
	v_cmpx_gt_u32_e64 s0, v7
	s_cbranch_execnz .LBB2017_153
.LBB2017_142:
	s_or_b32 exec_lo, exec_lo, s1
	s_delay_alu instid0(SALU_CYCLE_1)
	s_mov_b32 s1, exec_lo
	v_cmpx_gt_u32_e64 s0, v6
	s_cbranch_execz .LBB2017_144
.LBB2017_143:
	s_wait_dscnt 0x1
	global_store_b16 v[4:5], v3, off offset:1536
.LBB2017_144:
	s_wait_xcnt 0x0
	s_or_b32 exec_lo, exec_lo, s1
	v_cmp_gt_u32_e64 s9, s0, v1
.LBB2017_145:
	s_wait_xcnt 0x0
	s_delay_alu instid0(VALU_DEP_1)
	s_and_saveexec_b32 s0, s9
	s_cbranch_execz .LBB2017_147
; %bb.146:
	s_wait_dscnt 0x0
	global_store_b16 v[4:5], v2, off offset:1792
.LBB2017_147:
	s_endpgm
.LBB2017_148:
	s_or_b32 exec_lo, exec_lo, s1
	s_delay_alu instid0(SALU_CYCLE_1)
	s_mov_b32 s1, exec_lo
	v_cmpx_gt_u32_e64 s0, v15
	s_cbranch_execz .LBB2017_138
.LBB2017_149:
	s_wait_dscnt 0x6
	global_store_b16 v[4:5], v21, off offset:256
	s_wait_xcnt 0x0
	s_or_b32 exec_lo, exec_lo, s1
	s_delay_alu instid0(SALU_CYCLE_1)
	s_mov_b32 s1, exec_lo
	v_cmpx_gt_u32_e64 s0, v12
	s_cbranch_execnz .LBB2017_139
.LBB2017_150:
	s_or_b32 exec_lo, exec_lo, s1
	s_delay_alu instid0(SALU_CYCLE_1)
	s_mov_b32 s1, exec_lo
	v_cmpx_gt_u32_e64 s0, v9
	s_cbranch_execz .LBB2017_140
.LBB2017_151:
	s_wait_dscnt 0x4
	global_store_b16 v[4:5], v14, off offset:768
	s_wait_xcnt 0x0
	s_or_b32 exec_lo, exec_lo, s1
	s_delay_alu instid0(SALU_CYCLE_1)
	s_mov_b32 s1, exec_lo
	v_cmpx_gt_u32_e64 s0, v8
	s_cbranch_execnz .LBB2017_141
.LBB2017_152:
	s_or_b32 exec_lo, exec_lo, s1
	s_delay_alu instid0(SALU_CYCLE_1)
	s_mov_b32 s1, exec_lo
	v_cmpx_gt_u32_e64 s0, v7
	s_cbranch_execz .LBB2017_142
.LBB2017_153:
	s_wait_dscnt 0x2
	global_store_b16 v[4:5], v11, off offset:1280
	s_wait_xcnt 0x0
	s_or_b32 exec_lo, exec_lo, s1
	s_delay_alu instid0(SALU_CYCLE_1)
	s_mov_b32 s1, exec_lo
	v_cmpx_gt_u32_e64 s0, v6
	s_cbranch_execnz .LBB2017_143
	s_branch .LBB2017_144
	.section	.rodata,"a",@progbits
	.p2align	6, 0x0
	.amdhsa_kernel _ZN7rocprim17ROCPRIM_400000_NS6detail17trampoline_kernelINS0_14default_configENS1_38merge_sort_block_merge_config_selectorI12hip_bfloat16NS0_10empty_typeEEEZZNS1_27merge_sort_block_merge_implIS3_PS5_PS6_jNS1_19radix_merge_compareILb0ELb0ES5_NS0_19identity_decomposerEEEEE10hipError_tT0_T1_T2_jT3_P12ihipStream_tbPNSt15iterator_traitsISF_E10value_typeEPNSL_ISG_E10value_typeEPSH_NS1_7vsmem_tEENKUlT_SF_SG_SH_E_clIS9_S9_SA_SA_EESE_SU_SF_SG_SH_EUlSU_E0_NS1_11comp_targetILNS1_3genE0ELNS1_11target_archE4294967295ELNS1_3gpuE0ELNS1_3repE0EEENS1_38merge_mergepath_config_static_selectorELNS0_4arch9wavefront6targetE0EEEvSG_
		.amdhsa_group_segment_fixed_size 2112
		.amdhsa_private_segment_fixed_size 0
		.amdhsa_kernarg_size 320
		.amdhsa_user_sgpr_count 2
		.amdhsa_user_sgpr_dispatch_ptr 0
		.amdhsa_user_sgpr_queue_ptr 0
		.amdhsa_user_sgpr_kernarg_segment_ptr 1
		.amdhsa_user_sgpr_dispatch_id 0
		.amdhsa_user_sgpr_kernarg_preload_length 0
		.amdhsa_user_sgpr_kernarg_preload_offset 0
		.amdhsa_user_sgpr_private_segment_size 0
		.amdhsa_wavefront_size32 1
		.amdhsa_uses_dynamic_stack 0
		.amdhsa_enable_private_segment 0
		.amdhsa_system_sgpr_workgroup_id_x 1
		.amdhsa_system_sgpr_workgroup_id_y 1
		.amdhsa_system_sgpr_workgroup_id_z 1
		.amdhsa_system_sgpr_workgroup_info 0
		.amdhsa_system_vgpr_workitem_id 0
		.amdhsa_next_free_vgpr 30
		.amdhsa_next_free_sgpr 22
		.amdhsa_named_barrier_count 0
		.amdhsa_reserve_vcc 1
		.amdhsa_float_round_mode_32 0
		.amdhsa_float_round_mode_16_64 0
		.amdhsa_float_denorm_mode_32 3
		.amdhsa_float_denorm_mode_16_64 3
		.amdhsa_fp16_overflow 0
		.amdhsa_memory_ordered 1
		.amdhsa_forward_progress 1
		.amdhsa_inst_pref_size 54
		.amdhsa_round_robin_scheduling 0
		.amdhsa_exception_fp_ieee_invalid_op 0
		.amdhsa_exception_fp_denorm_src 0
		.amdhsa_exception_fp_ieee_div_zero 0
		.amdhsa_exception_fp_ieee_overflow 0
		.amdhsa_exception_fp_ieee_underflow 0
		.amdhsa_exception_fp_ieee_inexact 0
		.amdhsa_exception_int_div_zero 0
	.end_amdhsa_kernel
	.section	.text._ZN7rocprim17ROCPRIM_400000_NS6detail17trampoline_kernelINS0_14default_configENS1_38merge_sort_block_merge_config_selectorI12hip_bfloat16NS0_10empty_typeEEEZZNS1_27merge_sort_block_merge_implIS3_PS5_PS6_jNS1_19radix_merge_compareILb0ELb0ES5_NS0_19identity_decomposerEEEEE10hipError_tT0_T1_T2_jT3_P12ihipStream_tbPNSt15iterator_traitsISF_E10value_typeEPNSL_ISG_E10value_typeEPSH_NS1_7vsmem_tEENKUlT_SF_SG_SH_E_clIS9_S9_SA_SA_EESE_SU_SF_SG_SH_EUlSU_E0_NS1_11comp_targetILNS1_3genE0ELNS1_11target_archE4294967295ELNS1_3gpuE0ELNS1_3repE0EEENS1_38merge_mergepath_config_static_selectorELNS0_4arch9wavefront6targetE0EEEvSG_,"axG",@progbits,_ZN7rocprim17ROCPRIM_400000_NS6detail17trampoline_kernelINS0_14default_configENS1_38merge_sort_block_merge_config_selectorI12hip_bfloat16NS0_10empty_typeEEEZZNS1_27merge_sort_block_merge_implIS3_PS5_PS6_jNS1_19radix_merge_compareILb0ELb0ES5_NS0_19identity_decomposerEEEEE10hipError_tT0_T1_T2_jT3_P12ihipStream_tbPNSt15iterator_traitsISF_E10value_typeEPNSL_ISG_E10value_typeEPSH_NS1_7vsmem_tEENKUlT_SF_SG_SH_E_clIS9_S9_SA_SA_EESE_SU_SF_SG_SH_EUlSU_E0_NS1_11comp_targetILNS1_3genE0ELNS1_11target_archE4294967295ELNS1_3gpuE0ELNS1_3repE0EEENS1_38merge_mergepath_config_static_selectorELNS0_4arch9wavefront6targetE0EEEvSG_,comdat
.Lfunc_end2017:
	.size	_ZN7rocprim17ROCPRIM_400000_NS6detail17trampoline_kernelINS0_14default_configENS1_38merge_sort_block_merge_config_selectorI12hip_bfloat16NS0_10empty_typeEEEZZNS1_27merge_sort_block_merge_implIS3_PS5_PS6_jNS1_19radix_merge_compareILb0ELb0ES5_NS0_19identity_decomposerEEEEE10hipError_tT0_T1_T2_jT3_P12ihipStream_tbPNSt15iterator_traitsISF_E10value_typeEPNSL_ISG_E10value_typeEPSH_NS1_7vsmem_tEENKUlT_SF_SG_SH_E_clIS9_S9_SA_SA_EESE_SU_SF_SG_SH_EUlSU_E0_NS1_11comp_targetILNS1_3genE0ELNS1_11target_archE4294967295ELNS1_3gpuE0ELNS1_3repE0EEENS1_38merge_mergepath_config_static_selectorELNS0_4arch9wavefront6targetE0EEEvSG_, .Lfunc_end2017-_ZN7rocprim17ROCPRIM_400000_NS6detail17trampoline_kernelINS0_14default_configENS1_38merge_sort_block_merge_config_selectorI12hip_bfloat16NS0_10empty_typeEEEZZNS1_27merge_sort_block_merge_implIS3_PS5_PS6_jNS1_19radix_merge_compareILb0ELb0ES5_NS0_19identity_decomposerEEEEE10hipError_tT0_T1_T2_jT3_P12ihipStream_tbPNSt15iterator_traitsISF_E10value_typeEPNSL_ISG_E10value_typeEPSH_NS1_7vsmem_tEENKUlT_SF_SG_SH_E_clIS9_S9_SA_SA_EESE_SU_SF_SG_SH_EUlSU_E0_NS1_11comp_targetILNS1_3genE0ELNS1_11target_archE4294967295ELNS1_3gpuE0ELNS1_3repE0EEENS1_38merge_mergepath_config_static_selectorELNS0_4arch9wavefront6targetE0EEEvSG_
                                        ; -- End function
	.set _ZN7rocprim17ROCPRIM_400000_NS6detail17trampoline_kernelINS0_14default_configENS1_38merge_sort_block_merge_config_selectorI12hip_bfloat16NS0_10empty_typeEEEZZNS1_27merge_sort_block_merge_implIS3_PS5_PS6_jNS1_19radix_merge_compareILb0ELb0ES5_NS0_19identity_decomposerEEEEE10hipError_tT0_T1_T2_jT3_P12ihipStream_tbPNSt15iterator_traitsISF_E10value_typeEPNSL_ISG_E10value_typeEPSH_NS1_7vsmem_tEENKUlT_SF_SG_SH_E_clIS9_S9_SA_SA_EESE_SU_SF_SG_SH_EUlSU_E0_NS1_11comp_targetILNS1_3genE0ELNS1_11target_archE4294967295ELNS1_3gpuE0ELNS1_3repE0EEENS1_38merge_mergepath_config_static_selectorELNS0_4arch9wavefront6targetE0EEEvSG_.num_vgpr, 30
	.set _ZN7rocprim17ROCPRIM_400000_NS6detail17trampoline_kernelINS0_14default_configENS1_38merge_sort_block_merge_config_selectorI12hip_bfloat16NS0_10empty_typeEEEZZNS1_27merge_sort_block_merge_implIS3_PS5_PS6_jNS1_19radix_merge_compareILb0ELb0ES5_NS0_19identity_decomposerEEEEE10hipError_tT0_T1_T2_jT3_P12ihipStream_tbPNSt15iterator_traitsISF_E10value_typeEPNSL_ISG_E10value_typeEPSH_NS1_7vsmem_tEENKUlT_SF_SG_SH_E_clIS9_S9_SA_SA_EESE_SU_SF_SG_SH_EUlSU_E0_NS1_11comp_targetILNS1_3genE0ELNS1_11target_archE4294967295ELNS1_3gpuE0ELNS1_3repE0EEENS1_38merge_mergepath_config_static_selectorELNS0_4arch9wavefront6targetE0EEEvSG_.num_agpr, 0
	.set _ZN7rocprim17ROCPRIM_400000_NS6detail17trampoline_kernelINS0_14default_configENS1_38merge_sort_block_merge_config_selectorI12hip_bfloat16NS0_10empty_typeEEEZZNS1_27merge_sort_block_merge_implIS3_PS5_PS6_jNS1_19radix_merge_compareILb0ELb0ES5_NS0_19identity_decomposerEEEEE10hipError_tT0_T1_T2_jT3_P12ihipStream_tbPNSt15iterator_traitsISF_E10value_typeEPNSL_ISG_E10value_typeEPSH_NS1_7vsmem_tEENKUlT_SF_SG_SH_E_clIS9_S9_SA_SA_EESE_SU_SF_SG_SH_EUlSU_E0_NS1_11comp_targetILNS1_3genE0ELNS1_11target_archE4294967295ELNS1_3gpuE0ELNS1_3repE0EEENS1_38merge_mergepath_config_static_selectorELNS0_4arch9wavefront6targetE0EEEvSG_.numbered_sgpr, 22
	.set _ZN7rocprim17ROCPRIM_400000_NS6detail17trampoline_kernelINS0_14default_configENS1_38merge_sort_block_merge_config_selectorI12hip_bfloat16NS0_10empty_typeEEEZZNS1_27merge_sort_block_merge_implIS3_PS5_PS6_jNS1_19radix_merge_compareILb0ELb0ES5_NS0_19identity_decomposerEEEEE10hipError_tT0_T1_T2_jT3_P12ihipStream_tbPNSt15iterator_traitsISF_E10value_typeEPNSL_ISG_E10value_typeEPSH_NS1_7vsmem_tEENKUlT_SF_SG_SH_E_clIS9_S9_SA_SA_EESE_SU_SF_SG_SH_EUlSU_E0_NS1_11comp_targetILNS1_3genE0ELNS1_11target_archE4294967295ELNS1_3gpuE0ELNS1_3repE0EEENS1_38merge_mergepath_config_static_selectorELNS0_4arch9wavefront6targetE0EEEvSG_.num_named_barrier, 0
	.set _ZN7rocprim17ROCPRIM_400000_NS6detail17trampoline_kernelINS0_14default_configENS1_38merge_sort_block_merge_config_selectorI12hip_bfloat16NS0_10empty_typeEEEZZNS1_27merge_sort_block_merge_implIS3_PS5_PS6_jNS1_19radix_merge_compareILb0ELb0ES5_NS0_19identity_decomposerEEEEE10hipError_tT0_T1_T2_jT3_P12ihipStream_tbPNSt15iterator_traitsISF_E10value_typeEPNSL_ISG_E10value_typeEPSH_NS1_7vsmem_tEENKUlT_SF_SG_SH_E_clIS9_S9_SA_SA_EESE_SU_SF_SG_SH_EUlSU_E0_NS1_11comp_targetILNS1_3genE0ELNS1_11target_archE4294967295ELNS1_3gpuE0ELNS1_3repE0EEENS1_38merge_mergepath_config_static_selectorELNS0_4arch9wavefront6targetE0EEEvSG_.private_seg_size, 0
	.set _ZN7rocprim17ROCPRIM_400000_NS6detail17trampoline_kernelINS0_14default_configENS1_38merge_sort_block_merge_config_selectorI12hip_bfloat16NS0_10empty_typeEEEZZNS1_27merge_sort_block_merge_implIS3_PS5_PS6_jNS1_19radix_merge_compareILb0ELb0ES5_NS0_19identity_decomposerEEEEE10hipError_tT0_T1_T2_jT3_P12ihipStream_tbPNSt15iterator_traitsISF_E10value_typeEPNSL_ISG_E10value_typeEPSH_NS1_7vsmem_tEENKUlT_SF_SG_SH_E_clIS9_S9_SA_SA_EESE_SU_SF_SG_SH_EUlSU_E0_NS1_11comp_targetILNS1_3genE0ELNS1_11target_archE4294967295ELNS1_3gpuE0ELNS1_3repE0EEENS1_38merge_mergepath_config_static_selectorELNS0_4arch9wavefront6targetE0EEEvSG_.uses_vcc, 1
	.set _ZN7rocprim17ROCPRIM_400000_NS6detail17trampoline_kernelINS0_14default_configENS1_38merge_sort_block_merge_config_selectorI12hip_bfloat16NS0_10empty_typeEEEZZNS1_27merge_sort_block_merge_implIS3_PS5_PS6_jNS1_19radix_merge_compareILb0ELb0ES5_NS0_19identity_decomposerEEEEE10hipError_tT0_T1_T2_jT3_P12ihipStream_tbPNSt15iterator_traitsISF_E10value_typeEPNSL_ISG_E10value_typeEPSH_NS1_7vsmem_tEENKUlT_SF_SG_SH_E_clIS9_S9_SA_SA_EESE_SU_SF_SG_SH_EUlSU_E0_NS1_11comp_targetILNS1_3genE0ELNS1_11target_archE4294967295ELNS1_3gpuE0ELNS1_3repE0EEENS1_38merge_mergepath_config_static_selectorELNS0_4arch9wavefront6targetE0EEEvSG_.uses_flat_scratch, 0
	.set _ZN7rocprim17ROCPRIM_400000_NS6detail17trampoline_kernelINS0_14default_configENS1_38merge_sort_block_merge_config_selectorI12hip_bfloat16NS0_10empty_typeEEEZZNS1_27merge_sort_block_merge_implIS3_PS5_PS6_jNS1_19radix_merge_compareILb0ELb0ES5_NS0_19identity_decomposerEEEEE10hipError_tT0_T1_T2_jT3_P12ihipStream_tbPNSt15iterator_traitsISF_E10value_typeEPNSL_ISG_E10value_typeEPSH_NS1_7vsmem_tEENKUlT_SF_SG_SH_E_clIS9_S9_SA_SA_EESE_SU_SF_SG_SH_EUlSU_E0_NS1_11comp_targetILNS1_3genE0ELNS1_11target_archE4294967295ELNS1_3gpuE0ELNS1_3repE0EEENS1_38merge_mergepath_config_static_selectorELNS0_4arch9wavefront6targetE0EEEvSG_.has_dyn_sized_stack, 0
	.set _ZN7rocprim17ROCPRIM_400000_NS6detail17trampoline_kernelINS0_14default_configENS1_38merge_sort_block_merge_config_selectorI12hip_bfloat16NS0_10empty_typeEEEZZNS1_27merge_sort_block_merge_implIS3_PS5_PS6_jNS1_19radix_merge_compareILb0ELb0ES5_NS0_19identity_decomposerEEEEE10hipError_tT0_T1_T2_jT3_P12ihipStream_tbPNSt15iterator_traitsISF_E10value_typeEPNSL_ISG_E10value_typeEPSH_NS1_7vsmem_tEENKUlT_SF_SG_SH_E_clIS9_S9_SA_SA_EESE_SU_SF_SG_SH_EUlSU_E0_NS1_11comp_targetILNS1_3genE0ELNS1_11target_archE4294967295ELNS1_3gpuE0ELNS1_3repE0EEENS1_38merge_mergepath_config_static_selectorELNS0_4arch9wavefront6targetE0EEEvSG_.has_recursion, 0
	.set _ZN7rocprim17ROCPRIM_400000_NS6detail17trampoline_kernelINS0_14default_configENS1_38merge_sort_block_merge_config_selectorI12hip_bfloat16NS0_10empty_typeEEEZZNS1_27merge_sort_block_merge_implIS3_PS5_PS6_jNS1_19radix_merge_compareILb0ELb0ES5_NS0_19identity_decomposerEEEEE10hipError_tT0_T1_T2_jT3_P12ihipStream_tbPNSt15iterator_traitsISF_E10value_typeEPNSL_ISG_E10value_typeEPSH_NS1_7vsmem_tEENKUlT_SF_SG_SH_E_clIS9_S9_SA_SA_EESE_SU_SF_SG_SH_EUlSU_E0_NS1_11comp_targetILNS1_3genE0ELNS1_11target_archE4294967295ELNS1_3gpuE0ELNS1_3repE0EEENS1_38merge_mergepath_config_static_selectorELNS0_4arch9wavefront6targetE0EEEvSG_.has_indirect_call, 0
	.section	.AMDGPU.csdata,"",@progbits
; Kernel info:
; codeLenInByte = 6808
; TotalNumSgprs: 24
; NumVgprs: 30
; ScratchSize: 0
; MemoryBound: 0
; FloatMode: 240
; IeeeMode: 1
; LDSByteSize: 2112 bytes/workgroup (compile time only)
; SGPRBlocks: 0
; VGPRBlocks: 1
; NumSGPRsForWavesPerEU: 24
; NumVGPRsForWavesPerEU: 30
; NamedBarCnt: 0
; Occupancy: 16
; WaveLimiterHint : 1
; COMPUTE_PGM_RSRC2:SCRATCH_EN: 0
; COMPUTE_PGM_RSRC2:USER_SGPR: 2
; COMPUTE_PGM_RSRC2:TRAP_HANDLER: 0
; COMPUTE_PGM_RSRC2:TGID_X_EN: 1
; COMPUTE_PGM_RSRC2:TGID_Y_EN: 1
; COMPUTE_PGM_RSRC2:TGID_Z_EN: 1
; COMPUTE_PGM_RSRC2:TIDIG_COMP_CNT: 0
	.section	.text._ZN7rocprim17ROCPRIM_400000_NS6detail17trampoline_kernelINS0_14default_configENS1_38merge_sort_block_merge_config_selectorI12hip_bfloat16NS0_10empty_typeEEEZZNS1_27merge_sort_block_merge_implIS3_PS5_PS6_jNS1_19radix_merge_compareILb0ELb0ES5_NS0_19identity_decomposerEEEEE10hipError_tT0_T1_T2_jT3_P12ihipStream_tbPNSt15iterator_traitsISF_E10value_typeEPNSL_ISG_E10value_typeEPSH_NS1_7vsmem_tEENKUlT_SF_SG_SH_E_clIS9_S9_SA_SA_EESE_SU_SF_SG_SH_EUlSU_E0_NS1_11comp_targetILNS1_3genE10ELNS1_11target_archE1201ELNS1_3gpuE5ELNS1_3repE0EEENS1_38merge_mergepath_config_static_selectorELNS0_4arch9wavefront6targetE0EEEvSG_,"axG",@progbits,_ZN7rocprim17ROCPRIM_400000_NS6detail17trampoline_kernelINS0_14default_configENS1_38merge_sort_block_merge_config_selectorI12hip_bfloat16NS0_10empty_typeEEEZZNS1_27merge_sort_block_merge_implIS3_PS5_PS6_jNS1_19radix_merge_compareILb0ELb0ES5_NS0_19identity_decomposerEEEEE10hipError_tT0_T1_T2_jT3_P12ihipStream_tbPNSt15iterator_traitsISF_E10value_typeEPNSL_ISG_E10value_typeEPSH_NS1_7vsmem_tEENKUlT_SF_SG_SH_E_clIS9_S9_SA_SA_EESE_SU_SF_SG_SH_EUlSU_E0_NS1_11comp_targetILNS1_3genE10ELNS1_11target_archE1201ELNS1_3gpuE5ELNS1_3repE0EEENS1_38merge_mergepath_config_static_selectorELNS0_4arch9wavefront6targetE0EEEvSG_,comdat
	.protected	_ZN7rocprim17ROCPRIM_400000_NS6detail17trampoline_kernelINS0_14default_configENS1_38merge_sort_block_merge_config_selectorI12hip_bfloat16NS0_10empty_typeEEEZZNS1_27merge_sort_block_merge_implIS3_PS5_PS6_jNS1_19radix_merge_compareILb0ELb0ES5_NS0_19identity_decomposerEEEEE10hipError_tT0_T1_T2_jT3_P12ihipStream_tbPNSt15iterator_traitsISF_E10value_typeEPNSL_ISG_E10value_typeEPSH_NS1_7vsmem_tEENKUlT_SF_SG_SH_E_clIS9_S9_SA_SA_EESE_SU_SF_SG_SH_EUlSU_E0_NS1_11comp_targetILNS1_3genE10ELNS1_11target_archE1201ELNS1_3gpuE5ELNS1_3repE0EEENS1_38merge_mergepath_config_static_selectorELNS0_4arch9wavefront6targetE0EEEvSG_ ; -- Begin function _ZN7rocprim17ROCPRIM_400000_NS6detail17trampoline_kernelINS0_14default_configENS1_38merge_sort_block_merge_config_selectorI12hip_bfloat16NS0_10empty_typeEEEZZNS1_27merge_sort_block_merge_implIS3_PS5_PS6_jNS1_19radix_merge_compareILb0ELb0ES5_NS0_19identity_decomposerEEEEE10hipError_tT0_T1_T2_jT3_P12ihipStream_tbPNSt15iterator_traitsISF_E10value_typeEPNSL_ISG_E10value_typeEPSH_NS1_7vsmem_tEENKUlT_SF_SG_SH_E_clIS9_S9_SA_SA_EESE_SU_SF_SG_SH_EUlSU_E0_NS1_11comp_targetILNS1_3genE10ELNS1_11target_archE1201ELNS1_3gpuE5ELNS1_3repE0EEENS1_38merge_mergepath_config_static_selectorELNS0_4arch9wavefront6targetE0EEEvSG_
	.globl	_ZN7rocprim17ROCPRIM_400000_NS6detail17trampoline_kernelINS0_14default_configENS1_38merge_sort_block_merge_config_selectorI12hip_bfloat16NS0_10empty_typeEEEZZNS1_27merge_sort_block_merge_implIS3_PS5_PS6_jNS1_19radix_merge_compareILb0ELb0ES5_NS0_19identity_decomposerEEEEE10hipError_tT0_T1_T2_jT3_P12ihipStream_tbPNSt15iterator_traitsISF_E10value_typeEPNSL_ISG_E10value_typeEPSH_NS1_7vsmem_tEENKUlT_SF_SG_SH_E_clIS9_S9_SA_SA_EESE_SU_SF_SG_SH_EUlSU_E0_NS1_11comp_targetILNS1_3genE10ELNS1_11target_archE1201ELNS1_3gpuE5ELNS1_3repE0EEENS1_38merge_mergepath_config_static_selectorELNS0_4arch9wavefront6targetE0EEEvSG_
	.p2align	8
	.type	_ZN7rocprim17ROCPRIM_400000_NS6detail17trampoline_kernelINS0_14default_configENS1_38merge_sort_block_merge_config_selectorI12hip_bfloat16NS0_10empty_typeEEEZZNS1_27merge_sort_block_merge_implIS3_PS5_PS6_jNS1_19radix_merge_compareILb0ELb0ES5_NS0_19identity_decomposerEEEEE10hipError_tT0_T1_T2_jT3_P12ihipStream_tbPNSt15iterator_traitsISF_E10value_typeEPNSL_ISG_E10value_typeEPSH_NS1_7vsmem_tEENKUlT_SF_SG_SH_E_clIS9_S9_SA_SA_EESE_SU_SF_SG_SH_EUlSU_E0_NS1_11comp_targetILNS1_3genE10ELNS1_11target_archE1201ELNS1_3gpuE5ELNS1_3repE0EEENS1_38merge_mergepath_config_static_selectorELNS0_4arch9wavefront6targetE0EEEvSG_,@function
_ZN7rocprim17ROCPRIM_400000_NS6detail17trampoline_kernelINS0_14default_configENS1_38merge_sort_block_merge_config_selectorI12hip_bfloat16NS0_10empty_typeEEEZZNS1_27merge_sort_block_merge_implIS3_PS5_PS6_jNS1_19radix_merge_compareILb0ELb0ES5_NS0_19identity_decomposerEEEEE10hipError_tT0_T1_T2_jT3_P12ihipStream_tbPNSt15iterator_traitsISF_E10value_typeEPNSL_ISG_E10value_typeEPSH_NS1_7vsmem_tEENKUlT_SF_SG_SH_E_clIS9_S9_SA_SA_EESE_SU_SF_SG_SH_EUlSU_E0_NS1_11comp_targetILNS1_3genE10ELNS1_11target_archE1201ELNS1_3gpuE5ELNS1_3repE0EEENS1_38merge_mergepath_config_static_selectorELNS0_4arch9wavefront6targetE0EEEvSG_: ; @_ZN7rocprim17ROCPRIM_400000_NS6detail17trampoline_kernelINS0_14default_configENS1_38merge_sort_block_merge_config_selectorI12hip_bfloat16NS0_10empty_typeEEEZZNS1_27merge_sort_block_merge_implIS3_PS5_PS6_jNS1_19radix_merge_compareILb0ELb0ES5_NS0_19identity_decomposerEEEEE10hipError_tT0_T1_T2_jT3_P12ihipStream_tbPNSt15iterator_traitsISF_E10value_typeEPNSL_ISG_E10value_typeEPSH_NS1_7vsmem_tEENKUlT_SF_SG_SH_E_clIS9_S9_SA_SA_EESE_SU_SF_SG_SH_EUlSU_E0_NS1_11comp_targetILNS1_3genE10ELNS1_11target_archE1201ELNS1_3gpuE5ELNS1_3repE0EEENS1_38merge_mergepath_config_static_selectorELNS0_4arch9wavefront6targetE0EEEvSG_
; %bb.0:
	.section	.rodata,"a",@progbits
	.p2align	6, 0x0
	.amdhsa_kernel _ZN7rocprim17ROCPRIM_400000_NS6detail17trampoline_kernelINS0_14default_configENS1_38merge_sort_block_merge_config_selectorI12hip_bfloat16NS0_10empty_typeEEEZZNS1_27merge_sort_block_merge_implIS3_PS5_PS6_jNS1_19radix_merge_compareILb0ELb0ES5_NS0_19identity_decomposerEEEEE10hipError_tT0_T1_T2_jT3_P12ihipStream_tbPNSt15iterator_traitsISF_E10value_typeEPNSL_ISG_E10value_typeEPSH_NS1_7vsmem_tEENKUlT_SF_SG_SH_E_clIS9_S9_SA_SA_EESE_SU_SF_SG_SH_EUlSU_E0_NS1_11comp_targetILNS1_3genE10ELNS1_11target_archE1201ELNS1_3gpuE5ELNS1_3repE0EEENS1_38merge_mergepath_config_static_selectorELNS0_4arch9wavefront6targetE0EEEvSG_
		.amdhsa_group_segment_fixed_size 0
		.amdhsa_private_segment_fixed_size 0
		.amdhsa_kernarg_size 64
		.amdhsa_user_sgpr_count 2
		.amdhsa_user_sgpr_dispatch_ptr 0
		.amdhsa_user_sgpr_queue_ptr 0
		.amdhsa_user_sgpr_kernarg_segment_ptr 1
		.amdhsa_user_sgpr_dispatch_id 0
		.amdhsa_user_sgpr_kernarg_preload_length 0
		.amdhsa_user_sgpr_kernarg_preload_offset 0
		.amdhsa_user_sgpr_private_segment_size 0
		.amdhsa_wavefront_size32 1
		.amdhsa_uses_dynamic_stack 0
		.amdhsa_enable_private_segment 0
		.amdhsa_system_sgpr_workgroup_id_x 1
		.amdhsa_system_sgpr_workgroup_id_y 0
		.amdhsa_system_sgpr_workgroup_id_z 0
		.amdhsa_system_sgpr_workgroup_info 0
		.amdhsa_system_vgpr_workitem_id 0
		.amdhsa_next_free_vgpr 1
		.amdhsa_next_free_sgpr 1
		.amdhsa_named_barrier_count 0
		.amdhsa_reserve_vcc 0
		.amdhsa_float_round_mode_32 0
		.amdhsa_float_round_mode_16_64 0
		.amdhsa_float_denorm_mode_32 3
		.amdhsa_float_denorm_mode_16_64 3
		.amdhsa_fp16_overflow 0
		.amdhsa_memory_ordered 1
		.amdhsa_forward_progress 1
		.amdhsa_inst_pref_size 0
		.amdhsa_round_robin_scheduling 0
		.amdhsa_exception_fp_ieee_invalid_op 0
		.amdhsa_exception_fp_denorm_src 0
		.amdhsa_exception_fp_ieee_div_zero 0
		.amdhsa_exception_fp_ieee_overflow 0
		.amdhsa_exception_fp_ieee_underflow 0
		.amdhsa_exception_fp_ieee_inexact 0
		.amdhsa_exception_int_div_zero 0
	.end_amdhsa_kernel
	.section	.text._ZN7rocprim17ROCPRIM_400000_NS6detail17trampoline_kernelINS0_14default_configENS1_38merge_sort_block_merge_config_selectorI12hip_bfloat16NS0_10empty_typeEEEZZNS1_27merge_sort_block_merge_implIS3_PS5_PS6_jNS1_19radix_merge_compareILb0ELb0ES5_NS0_19identity_decomposerEEEEE10hipError_tT0_T1_T2_jT3_P12ihipStream_tbPNSt15iterator_traitsISF_E10value_typeEPNSL_ISG_E10value_typeEPSH_NS1_7vsmem_tEENKUlT_SF_SG_SH_E_clIS9_S9_SA_SA_EESE_SU_SF_SG_SH_EUlSU_E0_NS1_11comp_targetILNS1_3genE10ELNS1_11target_archE1201ELNS1_3gpuE5ELNS1_3repE0EEENS1_38merge_mergepath_config_static_selectorELNS0_4arch9wavefront6targetE0EEEvSG_,"axG",@progbits,_ZN7rocprim17ROCPRIM_400000_NS6detail17trampoline_kernelINS0_14default_configENS1_38merge_sort_block_merge_config_selectorI12hip_bfloat16NS0_10empty_typeEEEZZNS1_27merge_sort_block_merge_implIS3_PS5_PS6_jNS1_19radix_merge_compareILb0ELb0ES5_NS0_19identity_decomposerEEEEE10hipError_tT0_T1_T2_jT3_P12ihipStream_tbPNSt15iterator_traitsISF_E10value_typeEPNSL_ISG_E10value_typeEPSH_NS1_7vsmem_tEENKUlT_SF_SG_SH_E_clIS9_S9_SA_SA_EESE_SU_SF_SG_SH_EUlSU_E0_NS1_11comp_targetILNS1_3genE10ELNS1_11target_archE1201ELNS1_3gpuE5ELNS1_3repE0EEENS1_38merge_mergepath_config_static_selectorELNS0_4arch9wavefront6targetE0EEEvSG_,comdat
.Lfunc_end2018:
	.size	_ZN7rocprim17ROCPRIM_400000_NS6detail17trampoline_kernelINS0_14default_configENS1_38merge_sort_block_merge_config_selectorI12hip_bfloat16NS0_10empty_typeEEEZZNS1_27merge_sort_block_merge_implIS3_PS5_PS6_jNS1_19radix_merge_compareILb0ELb0ES5_NS0_19identity_decomposerEEEEE10hipError_tT0_T1_T2_jT3_P12ihipStream_tbPNSt15iterator_traitsISF_E10value_typeEPNSL_ISG_E10value_typeEPSH_NS1_7vsmem_tEENKUlT_SF_SG_SH_E_clIS9_S9_SA_SA_EESE_SU_SF_SG_SH_EUlSU_E0_NS1_11comp_targetILNS1_3genE10ELNS1_11target_archE1201ELNS1_3gpuE5ELNS1_3repE0EEENS1_38merge_mergepath_config_static_selectorELNS0_4arch9wavefront6targetE0EEEvSG_, .Lfunc_end2018-_ZN7rocprim17ROCPRIM_400000_NS6detail17trampoline_kernelINS0_14default_configENS1_38merge_sort_block_merge_config_selectorI12hip_bfloat16NS0_10empty_typeEEEZZNS1_27merge_sort_block_merge_implIS3_PS5_PS6_jNS1_19radix_merge_compareILb0ELb0ES5_NS0_19identity_decomposerEEEEE10hipError_tT0_T1_T2_jT3_P12ihipStream_tbPNSt15iterator_traitsISF_E10value_typeEPNSL_ISG_E10value_typeEPSH_NS1_7vsmem_tEENKUlT_SF_SG_SH_E_clIS9_S9_SA_SA_EESE_SU_SF_SG_SH_EUlSU_E0_NS1_11comp_targetILNS1_3genE10ELNS1_11target_archE1201ELNS1_3gpuE5ELNS1_3repE0EEENS1_38merge_mergepath_config_static_selectorELNS0_4arch9wavefront6targetE0EEEvSG_
                                        ; -- End function
	.set _ZN7rocprim17ROCPRIM_400000_NS6detail17trampoline_kernelINS0_14default_configENS1_38merge_sort_block_merge_config_selectorI12hip_bfloat16NS0_10empty_typeEEEZZNS1_27merge_sort_block_merge_implIS3_PS5_PS6_jNS1_19radix_merge_compareILb0ELb0ES5_NS0_19identity_decomposerEEEEE10hipError_tT0_T1_T2_jT3_P12ihipStream_tbPNSt15iterator_traitsISF_E10value_typeEPNSL_ISG_E10value_typeEPSH_NS1_7vsmem_tEENKUlT_SF_SG_SH_E_clIS9_S9_SA_SA_EESE_SU_SF_SG_SH_EUlSU_E0_NS1_11comp_targetILNS1_3genE10ELNS1_11target_archE1201ELNS1_3gpuE5ELNS1_3repE0EEENS1_38merge_mergepath_config_static_selectorELNS0_4arch9wavefront6targetE0EEEvSG_.num_vgpr, 0
	.set _ZN7rocprim17ROCPRIM_400000_NS6detail17trampoline_kernelINS0_14default_configENS1_38merge_sort_block_merge_config_selectorI12hip_bfloat16NS0_10empty_typeEEEZZNS1_27merge_sort_block_merge_implIS3_PS5_PS6_jNS1_19radix_merge_compareILb0ELb0ES5_NS0_19identity_decomposerEEEEE10hipError_tT0_T1_T2_jT3_P12ihipStream_tbPNSt15iterator_traitsISF_E10value_typeEPNSL_ISG_E10value_typeEPSH_NS1_7vsmem_tEENKUlT_SF_SG_SH_E_clIS9_S9_SA_SA_EESE_SU_SF_SG_SH_EUlSU_E0_NS1_11comp_targetILNS1_3genE10ELNS1_11target_archE1201ELNS1_3gpuE5ELNS1_3repE0EEENS1_38merge_mergepath_config_static_selectorELNS0_4arch9wavefront6targetE0EEEvSG_.num_agpr, 0
	.set _ZN7rocprim17ROCPRIM_400000_NS6detail17trampoline_kernelINS0_14default_configENS1_38merge_sort_block_merge_config_selectorI12hip_bfloat16NS0_10empty_typeEEEZZNS1_27merge_sort_block_merge_implIS3_PS5_PS6_jNS1_19radix_merge_compareILb0ELb0ES5_NS0_19identity_decomposerEEEEE10hipError_tT0_T1_T2_jT3_P12ihipStream_tbPNSt15iterator_traitsISF_E10value_typeEPNSL_ISG_E10value_typeEPSH_NS1_7vsmem_tEENKUlT_SF_SG_SH_E_clIS9_S9_SA_SA_EESE_SU_SF_SG_SH_EUlSU_E0_NS1_11comp_targetILNS1_3genE10ELNS1_11target_archE1201ELNS1_3gpuE5ELNS1_3repE0EEENS1_38merge_mergepath_config_static_selectorELNS0_4arch9wavefront6targetE0EEEvSG_.numbered_sgpr, 0
	.set _ZN7rocprim17ROCPRIM_400000_NS6detail17trampoline_kernelINS0_14default_configENS1_38merge_sort_block_merge_config_selectorI12hip_bfloat16NS0_10empty_typeEEEZZNS1_27merge_sort_block_merge_implIS3_PS5_PS6_jNS1_19radix_merge_compareILb0ELb0ES5_NS0_19identity_decomposerEEEEE10hipError_tT0_T1_T2_jT3_P12ihipStream_tbPNSt15iterator_traitsISF_E10value_typeEPNSL_ISG_E10value_typeEPSH_NS1_7vsmem_tEENKUlT_SF_SG_SH_E_clIS9_S9_SA_SA_EESE_SU_SF_SG_SH_EUlSU_E0_NS1_11comp_targetILNS1_3genE10ELNS1_11target_archE1201ELNS1_3gpuE5ELNS1_3repE0EEENS1_38merge_mergepath_config_static_selectorELNS0_4arch9wavefront6targetE0EEEvSG_.num_named_barrier, 0
	.set _ZN7rocprim17ROCPRIM_400000_NS6detail17trampoline_kernelINS0_14default_configENS1_38merge_sort_block_merge_config_selectorI12hip_bfloat16NS0_10empty_typeEEEZZNS1_27merge_sort_block_merge_implIS3_PS5_PS6_jNS1_19radix_merge_compareILb0ELb0ES5_NS0_19identity_decomposerEEEEE10hipError_tT0_T1_T2_jT3_P12ihipStream_tbPNSt15iterator_traitsISF_E10value_typeEPNSL_ISG_E10value_typeEPSH_NS1_7vsmem_tEENKUlT_SF_SG_SH_E_clIS9_S9_SA_SA_EESE_SU_SF_SG_SH_EUlSU_E0_NS1_11comp_targetILNS1_3genE10ELNS1_11target_archE1201ELNS1_3gpuE5ELNS1_3repE0EEENS1_38merge_mergepath_config_static_selectorELNS0_4arch9wavefront6targetE0EEEvSG_.private_seg_size, 0
	.set _ZN7rocprim17ROCPRIM_400000_NS6detail17trampoline_kernelINS0_14default_configENS1_38merge_sort_block_merge_config_selectorI12hip_bfloat16NS0_10empty_typeEEEZZNS1_27merge_sort_block_merge_implIS3_PS5_PS6_jNS1_19radix_merge_compareILb0ELb0ES5_NS0_19identity_decomposerEEEEE10hipError_tT0_T1_T2_jT3_P12ihipStream_tbPNSt15iterator_traitsISF_E10value_typeEPNSL_ISG_E10value_typeEPSH_NS1_7vsmem_tEENKUlT_SF_SG_SH_E_clIS9_S9_SA_SA_EESE_SU_SF_SG_SH_EUlSU_E0_NS1_11comp_targetILNS1_3genE10ELNS1_11target_archE1201ELNS1_3gpuE5ELNS1_3repE0EEENS1_38merge_mergepath_config_static_selectorELNS0_4arch9wavefront6targetE0EEEvSG_.uses_vcc, 0
	.set _ZN7rocprim17ROCPRIM_400000_NS6detail17trampoline_kernelINS0_14default_configENS1_38merge_sort_block_merge_config_selectorI12hip_bfloat16NS0_10empty_typeEEEZZNS1_27merge_sort_block_merge_implIS3_PS5_PS6_jNS1_19radix_merge_compareILb0ELb0ES5_NS0_19identity_decomposerEEEEE10hipError_tT0_T1_T2_jT3_P12ihipStream_tbPNSt15iterator_traitsISF_E10value_typeEPNSL_ISG_E10value_typeEPSH_NS1_7vsmem_tEENKUlT_SF_SG_SH_E_clIS9_S9_SA_SA_EESE_SU_SF_SG_SH_EUlSU_E0_NS1_11comp_targetILNS1_3genE10ELNS1_11target_archE1201ELNS1_3gpuE5ELNS1_3repE0EEENS1_38merge_mergepath_config_static_selectorELNS0_4arch9wavefront6targetE0EEEvSG_.uses_flat_scratch, 0
	.set _ZN7rocprim17ROCPRIM_400000_NS6detail17trampoline_kernelINS0_14default_configENS1_38merge_sort_block_merge_config_selectorI12hip_bfloat16NS0_10empty_typeEEEZZNS1_27merge_sort_block_merge_implIS3_PS5_PS6_jNS1_19radix_merge_compareILb0ELb0ES5_NS0_19identity_decomposerEEEEE10hipError_tT0_T1_T2_jT3_P12ihipStream_tbPNSt15iterator_traitsISF_E10value_typeEPNSL_ISG_E10value_typeEPSH_NS1_7vsmem_tEENKUlT_SF_SG_SH_E_clIS9_S9_SA_SA_EESE_SU_SF_SG_SH_EUlSU_E0_NS1_11comp_targetILNS1_3genE10ELNS1_11target_archE1201ELNS1_3gpuE5ELNS1_3repE0EEENS1_38merge_mergepath_config_static_selectorELNS0_4arch9wavefront6targetE0EEEvSG_.has_dyn_sized_stack, 0
	.set _ZN7rocprim17ROCPRIM_400000_NS6detail17trampoline_kernelINS0_14default_configENS1_38merge_sort_block_merge_config_selectorI12hip_bfloat16NS0_10empty_typeEEEZZNS1_27merge_sort_block_merge_implIS3_PS5_PS6_jNS1_19radix_merge_compareILb0ELb0ES5_NS0_19identity_decomposerEEEEE10hipError_tT0_T1_T2_jT3_P12ihipStream_tbPNSt15iterator_traitsISF_E10value_typeEPNSL_ISG_E10value_typeEPSH_NS1_7vsmem_tEENKUlT_SF_SG_SH_E_clIS9_S9_SA_SA_EESE_SU_SF_SG_SH_EUlSU_E0_NS1_11comp_targetILNS1_3genE10ELNS1_11target_archE1201ELNS1_3gpuE5ELNS1_3repE0EEENS1_38merge_mergepath_config_static_selectorELNS0_4arch9wavefront6targetE0EEEvSG_.has_recursion, 0
	.set _ZN7rocprim17ROCPRIM_400000_NS6detail17trampoline_kernelINS0_14default_configENS1_38merge_sort_block_merge_config_selectorI12hip_bfloat16NS0_10empty_typeEEEZZNS1_27merge_sort_block_merge_implIS3_PS5_PS6_jNS1_19radix_merge_compareILb0ELb0ES5_NS0_19identity_decomposerEEEEE10hipError_tT0_T1_T2_jT3_P12ihipStream_tbPNSt15iterator_traitsISF_E10value_typeEPNSL_ISG_E10value_typeEPSH_NS1_7vsmem_tEENKUlT_SF_SG_SH_E_clIS9_S9_SA_SA_EESE_SU_SF_SG_SH_EUlSU_E0_NS1_11comp_targetILNS1_3genE10ELNS1_11target_archE1201ELNS1_3gpuE5ELNS1_3repE0EEENS1_38merge_mergepath_config_static_selectorELNS0_4arch9wavefront6targetE0EEEvSG_.has_indirect_call, 0
	.section	.AMDGPU.csdata,"",@progbits
; Kernel info:
; codeLenInByte = 0
; TotalNumSgprs: 0
; NumVgprs: 0
; ScratchSize: 0
; MemoryBound: 0
; FloatMode: 240
; IeeeMode: 1
; LDSByteSize: 0 bytes/workgroup (compile time only)
; SGPRBlocks: 0
; VGPRBlocks: 0
; NumSGPRsForWavesPerEU: 1
; NumVGPRsForWavesPerEU: 1
; NamedBarCnt: 0
; Occupancy: 16
; WaveLimiterHint : 0
; COMPUTE_PGM_RSRC2:SCRATCH_EN: 0
; COMPUTE_PGM_RSRC2:USER_SGPR: 2
; COMPUTE_PGM_RSRC2:TRAP_HANDLER: 0
; COMPUTE_PGM_RSRC2:TGID_X_EN: 1
; COMPUTE_PGM_RSRC2:TGID_Y_EN: 0
; COMPUTE_PGM_RSRC2:TGID_Z_EN: 0
; COMPUTE_PGM_RSRC2:TIDIG_COMP_CNT: 0
	.section	.text._ZN7rocprim17ROCPRIM_400000_NS6detail17trampoline_kernelINS0_14default_configENS1_38merge_sort_block_merge_config_selectorI12hip_bfloat16NS0_10empty_typeEEEZZNS1_27merge_sort_block_merge_implIS3_PS5_PS6_jNS1_19radix_merge_compareILb0ELb0ES5_NS0_19identity_decomposerEEEEE10hipError_tT0_T1_T2_jT3_P12ihipStream_tbPNSt15iterator_traitsISF_E10value_typeEPNSL_ISG_E10value_typeEPSH_NS1_7vsmem_tEENKUlT_SF_SG_SH_E_clIS9_S9_SA_SA_EESE_SU_SF_SG_SH_EUlSU_E0_NS1_11comp_targetILNS1_3genE5ELNS1_11target_archE942ELNS1_3gpuE9ELNS1_3repE0EEENS1_38merge_mergepath_config_static_selectorELNS0_4arch9wavefront6targetE0EEEvSG_,"axG",@progbits,_ZN7rocprim17ROCPRIM_400000_NS6detail17trampoline_kernelINS0_14default_configENS1_38merge_sort_block_merge_config_selectorI12hip_bfloat16NS0_10empty_typeEEEZZNS1_27merge_sort_block_merge_implIS3_PS5_PS6_jNS1_19radix_merge_compareILb0ELb0ES5_NS0_19identity_decomposerEEEEE10hipError_tT0_T1_T2_jT3_P12ihipStream_tbPNSt15iterator_traitsISF_E10value_typeEPNSL_ISG_E10value_typeEPSH_NS1_7vsmem_tEENKUlT_SF_SG_SH_E_clIS9_S9_SA_SA_EESE_SU_SF_SG_SH_EUlSU_E0_NS1_11comp_targetILNS1_3genE5ELNS1_11target_archE942ELNS1_3gpuE9ELNS1_3repE0EEENS1_38merge_mergepath_config_static_selectorELNS0_4arch9wavefront6targetE0EEEvSG_,comdat
	.protected	_ZN7rocprim17ROCPRIM_400000_NS6detail17trampoline_kernelINS0_14default_configENS1_38merge_sort_block_merge_config_selectorI12hip_bfloat16NS0_10empty_typeEEEZZNS1_27merge_sort_block_merge_implIS3_PS5_PS6_jNS1_19radix_merge_compareILb0ELb0ES5_NS0_19identity_decomposerEEEEE10hipError_tT0_T1_T2_jT3_P12ihipStream_tbPNSt15iterator_traitsISF_E10value_typeEPNSL_ISG_E10value_typeEPSH_NS1_7vsmem_tEENKUlT_SF_SG_SH_E_clIS9_S9_SA_SA_EESE_SU_SF_SG_SH_EUlSU_E0_NS1_11comp_targetILNS1_3genE5ELNS1_11target_archE942ELNS1_3gpuE9ELNS1_3repE0EEENS1_38merge_mergepath_config_static_selectorELNS0_4arch9wavefront6targetE0EEEvSG_ ; -- Begin function _ZN7rocprim17ROCPRIM_400000_NS6detail17trampoline_kernelINS0_14default_configENS1_38merge_sort_block_merge_config_selectorI12hip_bfloat16NS0_10empty_typeEEEZZNS1_27merge_sort_block_merge_implIS3_PS5_PS6_jNS1_19radix_merge_compareILb0ELb0ES5_NS0_19identity_decomposerEEEEE10hipError_tT0_T1_T2_jT3_P12ihipStream_tbPNSt15iterator_traitsISF_E10value_typeEPNSL_ISG_E10value_typeEPSH_NS1_7vsmem_tEENKUlT_SF_SG_SH_E_clIS9_S9_SA_SA_EESE_SU_SF_SG_SH_EUlSU_E0_NS1_11comp_targetILNS1_3genE5ELNS1_11target_archE942ELNS1_3gpuE9ELNS1_3repE0EEENS1_38merge_mergepath_config_static_selectorELNS0_4arch9wavefront6targetE0EEEvSG_
	.globl	_ZN7rocprim17ROCPRIM_400000_NS6detail17trampoline_kernelINS0_14default_configENS1_38merge_sort_block_merge_config_selectorI12hip_bfloat16NS0_10empty_typeEEEZZNS1_27merge_sort_block_merge_implIS3_PS5_PS6_jNS1_19radix_merge_compareILb0ELb0ES5_NS0_19identity_decomposerEEEEE10hipError_tT0_T1_T2_jT3_P12ihipStream_tbPNSt15iterator_traitsISF_E10value_typeEPNSL_ISG_E10value_typeEPSH_NS1_7vsmem_tEENKUlT_SF_SG_SH_E_clIS9_S9_SA_SA_EESE_SU_SF_SG_SH_EUlSU_E0_NS1_11comp_targetILNS1_3genE5ELNS1_11target_archE942ELNS1_3gpuE9ELNS1_3repE0EEENS1_38merge_mergepath_config_static_selectorELNS0_4arch9wavefront6targetE0EEEvSG_
	.p2align	8
	.type	_ZN7rocprim17ROCPRIM_400000_NS6detail17trampoline_kernelINS0_14default_configENS1_38merge_sort_block_merge_config_selectorI12hip_bfloat16NS0_10empty_typeEEEZZNS1_27merge_sort_block_merge_implIS3_PS5_PS6_jNS1_19radix_merge_compareILb0ELb0ES5_NS0_19identity_decomposerEEEEE10hipError_tT0_T1_T2_jT3_P12ihipStream_tbPNSt15iterator_traitsISF_E10value_typeEPNSL_ISG_E10value_typeEPSH_NS1_7vsmem_tEENKUlT_SF_SG_SH_E_clIS9_S9_SA_SA_EESE_SU_SF_SG_SH_EUlSU_E0_NS1_11comp_targetILNS1_3genE5ELNS1_11target_archE942ELNS1_3gpuE9ELNS1_3repE0EEENS1_38merge_mergepath_config_static_selectorELNS0_4arch9wavefront6targetE0EEEvSG_,@function
_ZN7rocprim17ROCPRIM_400000_NS6detail17trampoline_kernelINS0_14default_configENS1_38merge_sort_block_merge_config_selectorI12hip_bfloat16NS0_10empty_typeEEEZZNS1_27merge_sort_block_merge_implIS3_PS5_PS6_jNS1_19radix_merge_compareILb0ELb0ES5_NS0_19identity_decomposerEEEEE10hipError_tT0_T1_T2_jT3_P12ihipStream_tbPNSt15iterator_traitsISF_E10value_typeEPNSL_ISG_E10value_typeEPSH_NS1_7vsmem_tEENKUlT_SF_SG_SH_E_clIS9_S9_SA_SA_EESE_SU_SF_SG_SH_EUlSU_E0_NS1_11comp_targetILNS1_3genE5ELNS1_11target_archE942ELNS1_3gpuE9ELNS1_3repE0EEENS1_38merge_mergepath_config_static_selectorELNS0_4arch9wavefront6targetE0EEEvSG_: ; @_ZN7rocprim17ROCPRIM_400000_NS6detail17trampoline_kernelINS0_14default_configENS1_38merge_sort_block_merge_config_selectorI12hip_bfloat16NS0_10empty_typeEEEZZNS1_27merge_sort_block_merge_implIS3_PS5_PS6_jNS1_19radix_merge_compareILb0ELb0ES5_NS0_19identity_decomposerEEEEE10hipError_tT0_T1_T2_jT3_P12ihipStream_tbPNSt15iterator_traitsISF_E10value_typeEPNSL_ISG_E10value_typeEPSH_NS1_7vsmem_tEENKUlT_SF_SG_SH_E_clIS9_S9_SA_SA_EESE_SU_SF_SG_SH_EUlSU_E0_NS1_11comp_targetILNS1_3genE5ELNS1_11target_archE942ELNS1_3gpuE9ELNS1_3repE0EEENS1_38merge_mergepath_config_static_selectorELNS0_4arch9wavefront6targetE0EEEvSG_
; %bb.0:
	.section	.rodata,"a",@progbits
	.p2align	6, 0x0
	.amdhsa_kernel _ZN7rocprim17ROCPRIM_400000_NS6detail17trampoline_kernelINS0_14default_configENS1_38merge_sort_block_merge_config_selectorI12hip_bfloat16NS0_10empty_typeEEEZZNS1_27merge_sort_block_merge_implIS3_PS5_PS6_jNS1_19radix_merge_compareILb0ELb0ES5_NS0_19identity_decomposerEEEEE10hipError_tT0_T1_T2_jT3_P12ihipStream_tbPNSt15iterator_traitsISF_E10value_typeEPNSL_ISG_E10value_typeEPSH_NS1_7vsmem_tEENKUlT_SF_SG_SH_E_clIS9_S9_SA_SA_EESE_SU_SF_SG_SH_EUlSU_E0_NS1_11comp_targetILNS1_3genE5ELNS1_11target_archE942ELNS1_3gpuE9ELNS1_3repE0EEENS1_38merge_mergepath_config_static_selectorELNS0_4arch9wavefront6targetE0EEEvSG_
		.amdhsa_group_segment_fixed_size 0
		.amdhsa_private_segment_fixed_size 0
		.amdhsa_kernarg_size 64
		.amdhsa_user_sgpr_count 2
		.amdhsa_user_sgpr_dispatch_ptr 0
		.amdhsa_user_sgpr_queue_ptr 0
		.amdhsa_user_sgpr_kernarg_segment_ptr 1
		.amdhsa_user_sgpr_dispatch_id 0
		.amdhsa_user_sgpr_kernarg_preload_length 0
		.amdhsa_user_sgpr_kernarg_preload_offset 0
		.amdhsa_user_sgpr_private_segment_size 0
		.amdhsa_wavefront_size32 1
		.amdhsa_uses_dynamic_stack 0
		.amdhsa_enable_private_segment 0
		.amdhsa_system_sgpr_workgroup_id_x 1
		.amdhsa_system_sgpr_workgroup_id_y 0
		.amdhsa_system_sgpr_workgroup_id_z 0
		.amdhsa_system_sgpr_workgroup_info 0
		.amdhsa_system_vgpr_workitem_id 0
		.amdhsa_next_free_vgpr 1
		.amdhsa_next_free_sgpr 1
		.amdhsa_named_barrier_count 0
		.amdhsa_reserve_vcc 0
		.amdhsa_float_round_mode_32 0
		.amdhsa_float_round_mode_16_64 0
		.amdhsa_float_denorm_mode_32 3
		.amdhsa_float_denorm_mode_16_64 3
		.amdhsa_fp16_overflow 0
		.amdhsa_memory_ordered 1
		.amdhsa_forward_progress 1
		.amdhsa_inst_pref_size 0
		.amdhsa_round_robin_scheduling 0
		.amdhsa_exception_fp_ieee_invalid_op 0
		.amdhsa_exception_fp_denorm_src 0
		.amdhsa_exception_fp_ieee_div_zero 0
		.amdhsa_exception_fp_ieee_overflow 0
		.amdhsa_exception_fp_ieee_underflow 0
		.amdhsa_exception_fp_ieee_inexact 0
		.amdhsa_exception_int_div_zero 0
	.end_amdhsa_kernel
	.section	.text._ZN7rocprim17ROCPRIM_400000_NS6detail17trampoline_kernelINS0_14default_configENS1_38merge_sort_block_merge_config_selectorI12hip_bfloat16NS0_10empty_typeEEEZZNS1_27merge_sort_block_merge_implIS3_PS5_PS6_jNS1_19radix_merge_compareILb0ELb0ES5_NS0_19identity_decomposerEEEEE10hipError_tT0_T1_T2_jT3_P12ihipStream_tbPNSt15iterator_traitsISF_E10value_typeEPNSL_ISG_E10value_typeEPSH_NS1_7vsmem_tEENKUlT_SF_SG_SH_E_clIS9_S9_SA_SA_EESE_SU_SF_SG_SH_EUlSU_E0_NS1_11comp_targetILNS1_3genE5ELNS1_11target_archE942ELNS1_3gpuE9ELNS1_3repE0EEENS1_38merge_mergepath_config_static_selectorELNS0_4arch9wavefront6targetE0EEEvSG_,"axG",@progbits,_ZN7rocprim17ROCPRIM_400000_NS6detail17trampoline_kernelINS0_14default_configENS1_38merge_sort_block_merge_config_selectorI12hip_bfloat16NS0_10empty_typeEEEZZNS1_27merge_sort_block_merge_implIS3_PS5_PS6_jNS1_19radix_merge_compareILb0ELb0ES5_NS0_19identity_decomposerEEEEE10hipError_tT0_T1_T2_jT3_P12ihipStream_tbPNSt15iterator_traitsISF_E10value_typeEPNSL_ISG_E10value_typeEPSH_NS1_7vsmem_tEENKUlT_SF_SG_SH_E_clIS9_S9_SA_SA_EESE_SU_SF_SG_SH_EUlSU_E0_NS1_11comp_targetILNS1_3genE5ELNS1_11target_archE942ELNS1_3gpuE9ELNS1_3repE0EEENS1_38merge_mergepath_config_static_selectorELNS0_4arch9wavefront6targetE0EEEvSG_,comdat
.Lfunc_end2019:
	.size	_ZN7rocprim17ROCPRIM_400000_NS6detail17trampoline_kernelINS0_14default_configENS1_38merge_sort_block_merge_config_selectorI12hip_bfloat16NS0_10empty_typeEEEZZNS1_27merge_sort_block_merge_implIS3_PS5_PS6_jNS1_19radix_merge_compareILb0ELb0ES5_NS0_19identity_decomposerEEEEE10hipError_tT0_T1_T2_jT3_P12ihipStream_tbPNSt15iterator_traitsISF_E10value_typeEPNSL_ISG_E10value_typeEPSH_NS1_7vsmem_tEENKUlT_SF_SG_SH_E_clIS9_S9_SA_SA_EESE_SU_SF_SG_SH_EUlSU_E0_NS1_11comp_targetILNS1_3genE5ELNS1_11target_archE942ELNS1_3gpuE9ELNS1_3repE0EEENS1_38merge_mergepath_config_static_selectorELNS0_4arch9wavefront6targetE0EEEvSG_, .Lfunc_end2019-_ZN7rocprim17ROCPRIM_400000_NS6detail17trampoline_kernelINS0_14default_configENS1_38merge_sort_block_merge_config_selectorI12hip_bfloat16NS0_10empty_typeEEEZZNS1_27merge_sort_block_merge_implIS3_PS5_PS6_jNS1_19radix_merge_compareILb0ELb0ES5_NS0_19identity_decomposerEEEEE10hipError_tT0_T1_T2_jT3_P12ihipStream_tbPNSt15iterator_traitsISF_E10value_typeEPNSL_ISG_E10value_typeEPSH_NS1_7vsmem_tEENKUlT_SF_SG_SH_E_clIS9_S9_SA_SA_EESE_SU_SF_SG_SH_EUlSU_E0_NS1_11comp_targetILNS1_3genE5ELNS1_11target_archE942ELNS1_3gpuE9ELNS1_3repE0EEENS1_38merge_mergepath_config_static_selectorELNS0_4arch9wavefront6targetE0EEEvSG_
                                        ; -- End function
	.set _ZN7rocprim17ROCPRIM_400000_NS6detail17trampoline_kernelINS0_14default_configENS1_38merge_sort_block_merge_config_selectorI12hip_bfloat16NS0_10empty_typeEEEZZNS1_27merge_sort_block_merge_implIS3_PS5_PS6_jNS1_19radix_merge_compareILb0ELb0ES5_NS0_19identity_decomposerEEEEE10hipError_tT0_T1_T2_jT3_P12ihipStream_tbPNSt15iterator_traitsISF_E10value_typeEPNSL_ISG_E10value_typeEPSH_NS1_7vsmem_tEENKUlT_SF_SG_SH_E_clIS9_S9_SA_SA_EESE_SU_SF_SG_SH_EUlSU_E0_NS1_11comp_targetILNS1_3genE5ELNS1_11target_archE942ELNS1_3gpuE9ELNS1_3repE0EEENS1_38merge_mergepath_config_static_selectorELNS0_4arch9wavefront6targetE0EEEvSG_.num_vgpr, 0
	.set _ZN7rocprim17ROCPRIM_400000_NS6detail17trampoline_kernelINS0_14default_configENS1_38merge_sort_block_merge_config_selectorI12hip_bfloat16NS0_10empty_typeEEEZZNS1_27merge_sort_block_merge_implIS3_PS5_PS6_jNS1_19radix_merge_compareILb0ELb0ES5_NS0_19identity_decomposerEEEEE10hipError_tT0_T1_T2_jT3_P12ihipStream_tbPNSt15iterator_traitsISF_E10value_typeEPNSL_ISG_E10value_typeEPSH_NS1_7vsmem_tEENKUlT_SF_SG_SH_E_clIS9_S9_SA_SA_EESE_SU_SF_SG_SH_EUlSU_E0_NS1_11comp_targetILNS1_3genE5ELNS1_11target_archE942ELNS1_3gpuE9ELNS1_3repE0EEENS1_38merge_mergepath_config_static_selectorELNS0_4arch9wavefront6targetE0EEEvSG_.num_agpr, 0
	.set _ZN7rocprim17ROCPRIM_400000_NS6detail17trampoline_kernelINS0_14default_configENS1_38merge_sort_block_merge_config_selectorI12hip_bfloat16NS0_10empty_typeEEEZZNS1_27merge_sort_block_merge_implIS3_PS5_PS6_jNS1_19radix_merge_compareILb0ELb0ES5_NS0_19identity_decomposerEEEEE10hipError_tT0_T1_T2_jT3_P12ihipStream_tbPNSt15iterator_traitsISF_E10value_typeEPNSL_ISG_E10value_typeEPSH_NS1_7vsmem_tEENKUlT_SF_SG_SH_E_clIS9_S9_SA_SA_EESE_SU_SF_SG_SH_EUlSU_E0_NS1_11comp_targetILNS1_3genE5ELNS1_11target_archE942ELNS1_3gpuE9ELNS1_3repE0EEENS1_38merge_mergepath_config_static_selectorELNS0_4arch9wavefront6targetE0EEEvSG_.numbered_sgpr, 0
	.set _ZN7rocprim17ROCPRIM_400000_NS6detail17trampoline_kernelINS0_14default_configENS1_38merge_sort_block_merge_config_selectorI12hip_bfloat16NS0_10empty_typeEEEZZNS1_27merge_sort_block_merge_implIS3_PS5_PS6_jNS1_19radix_merge_compareILb0ELb0ES5_NS0_19identity_decomposerEEEEE10hipError_tT0_T1_T2_jT3_P12ihipStream_tbPNSt15iterator_traitsISF_E10value_typeEPNSL_ISG_E10value_typeEPSH_NS1_7vsmem_tEENKUlT_SF_SG_SH_E_clIS9_S9_SA_SA_EESE_SU_SF_SG_SH_EUlSU_E0_NS1_11comp_targetILNS1_3genE5ELNS1_11target_archE942ELNS1_3gpuE9ELNS1_3repE0EEENS1_38merge_mergepath_config_static_selectorELNS0_4arch9wavefront6targetE0EEEvSG_.num_named_barrier, 0
	.set _ZN7rocprim17ROCPRIM_400000_NS6detail17trampoline_kernelINS0_14default_configENS1_38merge_sort_block_merge_config_selectorI12hip_bfloat16NS0_10empty_typeEEEZZNS1_27merge_sort_block_merge_implIS3_PS5_PS6_jNS1_19radix_merge_compareILb0ELb0ES5_NS0_19identity_decomposerEEEEE10hipError_tT0_T1_T2_jT3_P12ihipStream_tbPNSt15iterator_traitsISF_E10value_typeEPNSL_ISG_E10value_typeEPSH_NS1_7vsmem_tEENKUlT_SF_SG_SH_E_clIS9_S9_SA_SA_EESE_SU_SF_SG_SH_EUlSU_E0_NS1_11comp_targetILNS1_3genE5ELNS1_11target_archE942ELNS1_3gpuE9ELNS1_3repE0EEENS1_38merge_mergepath_config_static_selectorELNS0_4arch9wavefront6targetE0EEEvSG_.private_seg_size, 0
	.set _ZN7rocprim17ROCPRIM_400000_NS6detail17trampoline_kernelINS0_14default_configENS1_38merge_sort_block_merge_config_selectorI12hip_bfloat16NS0_10empty_typeEEEZZNS1_27merge_sort_block_merge_implIS3_PS5_PS6_jNS1_19radix_merge_compareILb0ELb0ES5_NS0_19identity_decomposerEEEEE10hipError_tT0_T1_T2_jT3_P12ihipStream_tbPNSt15iterator_traitsISF_E10value_typeEPNSL_ISG_E10value_typeEPSH_NS1_7vsmem_tEENKUlT_SF_SG_SH_E_clIS9_S9_SA_SA_EESE_SU_SF_SG_SH_EUlSU_E0_NS1_11comp_targetILNS1_3genE5ELNS1_11target_archE942ELNS1_3gpuE9ELNS1_3repE0EEENS1_38merge_mergepath_config_static_selectorELNS0_4arch9wavefront6targetE0EEEvSG_.uses_vcc, 0
	.set _ZN7rocprim17ROCPRIM_400000_NS6detail17trampoline_kernelINS0_14default_configENS1_38merge_sort_block_merge_config_selectorI12hip_bfloat16NS0_10empty_typeEEEZZNS1_27merge_sort_block_merge_implIS3_PS5_PS6_jNS1_19radix_merge_compareILb0ELb0ES5_NS0_19identity_decomposerEEEEE10hipError_tT0_T1_T2_jT3_P12ihipStream_tbPNSt15iterator_traitsISF_E10value_typeEPNSL_ISG_E10value_typeEPSH_NS1_7vsmem_tEENKUlT_SF_SG_SH_E_clIS9_S9_SA_SA_EESE_SU_SF_SG_SH_EUlSU_E0_NS1_11comp_targetILNS1_3genE5ELNS1_11target_archE942ELNS1_3gpuE9ELNS1_3repE0EEENS1_38merge_mergepath_config_static_selectorELNS0_4arch9wavefront6targetE0EEEvSG_.uses_flat_scratch, 0
	.set _ZN7rocprim17ROCPRIM_400000_NS6detail17trampoline_kernelINS0_14default_configENS1_38merge_sort_block_merge_config_selectorI12hip_bfloat16NS0_10empty_typeEEEZZNS1_27merge_sort_block_merge_implIS3_PS5_PS6_jNS1_19radix_merge_compareILb0ELb0ES5_NS0_19identity_decomposerEEEEE10hipError_tT0_T1_T2_jT3_P12ihipStream_tbPNSt15iterator_traitsISF_E10value_typeEPNSL_ISG_E10value_typeEPSH_NS1_7vsmem_tEENKUlT_SF_SG_SH_E_clIS9_S9_SA_SA_EESE_SU_SF_SG_SH_EUlSU_E0_NS1_11comp_targetILNS1_3genE5ELNS1_11target_archE942ELNS1_3gpuE9ELNS1_3repE0EEENS1_38merge_mergepath_config_static_selectorELNS0_4arch9wavefront6targetE0EEEvSG_.has_dyn_sized_stack, 0
	.set _ZN7rocprim17ROCPRIM_400000_NS6detail17trampoline_kernelINS0_14default_configENS1_38merge_sort_block_merge_config_selectorI12hip_bfloat16NS0_10empty_typeEEEZZNS1_27merge_sort_block_merge_implIS3_PS5_PS6_jNS1_19radix_merge_compareILb0ELb0ES5_NS0_19identity_decomposerEEEEE10hipError_tT0_T1_T2_jT3_P12ihipStream_tbPNSt15iterator_traitsISF_E10value_typeEPNSL_ISG_E10value_typeEPSH_NS1_7vsmem_tEENKUlT_SF_SG_SH_E_clIS9_S9_SA_SA_EESE_SU_SF_SG_SH_EUlSU_E0_NS1_11comp_targetILNS1_3genE5ELNS1_11target_archE942ELNS1_3gpuE9ELNS1_3repE0EEENS1_38merge_mergepath_config_static_selectorELNS0_4arch9wavefront6targetE0EEEvSG_.has_recursion, 0
	.set _ZN7rocprim17ROCPRIM_400000_NS6detail17trampoline_kernelINS0_14default_configENS1_38merge_sort_block_merge_config_selectorI12hip_bfloat16NS0_10empty_typeEEEZZNS1_27merge_sort_block_merge_implIS3_PS5_PS6_jNS1_19radix_merge_compareILb0ELb0ES5_NS0_19identity_decomposerEEEEE10hipError_tT0_T1_T2_jT3_P12ihipStream_tbPNSt15iterator_traitsISF_E10value_typeEPNSL_ISG_E10value_typeEPSH_NS1_7vsmem_tEENKUlT_SF_SG_SH_E_clIS9_S9_SA_SA_EESE_SU_SF_SG_SH_EUlSU_E0_NS1_11comp_targetILNS1_3genE5ELNS1_11target_archE942ELNS1_3gpuE9ELNS1_3repE0EEENS1_38merge_mergepath_config_static_selectorELNS0_4arch9wavefront6targetE0EEEvSG_.has_indirect_call, 0
	.section	.AMDGPU.csdata,"",@progbits
; Kernel info:
; codeLenInByte = 0
; TotalNumSgprs: 0
; NumVgprs: 0
; ScratchSize: 0
; MemoryBound: 0
; FloatMode: 240
; IeeeMode: 1
; LDSByteSize: 0 bytes/workgroup (compile time only)
; SGPRBlocks: 0
; VGPRBlocks: 0
; NumSGPRsForWavesPerEU: 1
; NumVGPRsForWavesPerEU: 1
; NamedBarCnt: 0
; Occupancy: 16
; WaveLimiterHint : 0
; COMPUTE_PGM_RSRC2:SCRATCH_EN: 0
; COMPUTE_PGM_RSRC2:USER_SGPR: 2
; COMPUTE_PGM_RSRC2:TRAP_HANDLER: 0
; COMPUTE_PGM_RSRC2:TGID_X_EN: 1
; COMPUTE_PGM_RSRC2:TGID_Y_EN: 0
; COMPUTE_PGM_RSRC2:TGID_Z_EN: 0
; COMPUTE_PGM_RSRC2:TIDIG_COMP_CNT: 0
	.section	.text._ZN7rocprim17ROCPRIM_400000_NS6detail17trampoline_kernelINS0_14default_configENS1_38merge_sort_block_merge_config_selectorI12hip_bfloat16NS0_10empty_typeEEEZZNS1_27merge_sort_block_merge_implIS3_PS5_PS6_jNS1_19radix_merge_compareILb0ELb0ES5_NS0_19identity_decomposerEEEEE10hipError_tT0_T1_T2_jT3_P12ihipStream_tbPNSt15iterator_traitsISF_E10value_typeEPNSL_ISG_E10value_typeEPSH_NS1_7vsmem_tEENKUlT_SF_SG_SH_E_clIS9_S9_SA_SA_EESE_SU_SF_SG_SH_EUlSU_E0_NS1_11comp_targetILNS1_3genE4ELNS1_11target_archE910ELNS1_3gpuE8ELNS1_3repE0EEENS1_38merge_mergepath_config_static_selectorELNS0_4arch9wavefront6targetE0EEEvSG_,"axG",@progbits,_ZN7rocprim17ROCPRIM_400000_NS6detail17trampoline_kernelINS0_14default_configENS1_38merge_sort_block_merge_config_selectorI12hip_bfloat16NS0_10empty_typeEEEZZNS1_27merge_sort_block_merge_implIS3_PS5_PS6_jNS1_19radix_merge_compareILb0ELb0ES5_NS0_19identity_decomposerEEEEE10hipError_tT0_T1_T2_jT3_P12ihipStream_tbPNSt15iterator_traitsISF_E10value_typeEPNSL_ISG_E10value_typeEPSH_NS1_7vsmem_tEENKUlT_SF_SG_SH_E_clIS9_S9_SA_SA_EESE_SU_SF_SG_SH_EUlSU_E0_NS1_11comp_targetILNS1_3genE4ELNS1_11target_archE910ELNS1_3gpuE8ELNS1_3repE0EEENS1_38merge_mergepath_config_static_selectorELNS0_4arch9wavefront6targetE0EEEvSG_,comdat
	.protected	_ZN7rocprim17ROCPRIM_400000_NS6detail17trampoline_kernelINS0_14default_configENS1_38merge_sort_block_merge_config_selectorI12hip_bfloat16NS0_10empty_typeEEEZZNS1_27merge_sort_block_merge_implIS3_PS5_PS6_jNS1_19radix_merge_compareILb0ELb0ES5_NS0_19identity_decomposerEEEEE10hipError_tT0_T1_T2_jT3_P12ihipStream_tbPNSt15iterator_traitsISF_E10value_typeEPNSL_ISG_E10value_typeEPSH_NS1_7vsmem_tEENKUlT_SF_SG_SH_E_clIS9_S9_SA_SA_EESE_SU_SF_SG_SH_EUlSU_E0_NS1_11comp_targetILNS1_3genE4ELNS1_11target_archE910ELNS1_3gpuE8ELNS1_3repE0EEENS1_38merge_mergepath_config_static_selectorELNS0_4arch9wavefront6targetE0EEEvSG_ ; -- Begin function _ZN7rocprim17ROCPRIM_400000_NS6detail17trampoline_kernelINS0_14default_configENS1_38merge_sort_block_merge_config_selectorI12hip_bfloat16NS0_10empty_typeEEEZZNS1_27merge_sort_block_merge_implIS3_PS5_PS6_jNS1_19radix_merge_compareILb0ELb0ES5_NS0_19identity_decomposerEEEEE10hipError_tT0_T1_T2_jT3_P12ihipStream_tbPNSt15iterator_traitsISF_E10value_typeEPNSL_ISG_E10value_typeEPSH_NS1_7vsmem_tEENKUlT_SF_SG_SH_E_clIS9_S9_SA_SA_EESE_SU_SF_SG_SH_EUlSU_E0_NS1_11comp_targetILNS1_3genE4ELNS1_11target_archE910ELNS1_3gpuE8ELNS1_3repE0EEENS1_38merge_mergepath_config_static_selectorELNS0_4arch9wavefront6targetE0EEEvSG_
	.globl	_ZN7rocprim17ROCPRIM_400000_NS6detail17trampoline_kernelINS0_14default_configENS1_38merge_sort_block_merge_config_selectorI12hip_bfloat16NS0_10empty_typeEEEZZNS1_27merge_sort_block_merge_implIS3_PS5_PS6_jNS1_19radix_merge_compareILb0ELb0ES5_NS0_19identity_decomposerEEEEE10hipError_tT0_T1_T2_jT3_P12ihipStream_tbPNSt15iterator_traitsISF_E10value_typeEPNSL_ISG_E10value_typeEPSH_NS1_7vsmem_tEENKUlT_SF_SG_SH_E_clIS9_S9_SA_SA_EESE_SU_SF_SG_SH_EUlSU_E0_NS1_11comp_targetILNS1_3genE4ELNS1_11target_archE910ELNS1_3gpuE8ELNS1_3repE0EEENS1_38merge_mergepath_config_static_selectorELNS0_4arch9wavefront6targetE0EEEvSG_
	.p2align	8
	.type	_ZN7rocprim17ROCPRIM_400000_NS6detail17trampoline_kernelINS0_14default_configENS1_38merge_sort_block_merge_config_selectorI12hip_bfloat16NS0_10empty_typeEEEZZNS1_27merge_sort_block_merge_implIS3_PS5_PS6_jNS1_19radix_merge_compareILb0ELb0ES5_NS0_19identity_decomposerEEEEE10hipError_tT0_T1_T2_jT3_P12ihipStream_tbPNSt15iterator_traitsISF_E10value_typeEPNSL_ISG_E10value_typeEPSH_NS1_7vsmem_tEENKUlT_SF_SG_SH_E_clIS9_S9_SA_SA_EESE_SU_SF_SG_SH_EUlSU_E0_NS1_11comp_targetILNS1_3genE4ELNS1_11target_archE910ELNS1_3gpuE8ELNS1_3repE0EEENS1_38merge_mergepath_config_static_selectorELNS0_4arch9wavefront6targetE0EEEvSG_,@function
_ZN7rocprim17ROCPRIM_400000_NS6detail17trampoline_kernelINS0_14default_configENS1_38merge_sort_block_merge_config_selectorI12hip_bfloat16NS0_10empty_typeEEEZZNS1_27merge_sort_block_merge_implIS3_PS5_PS6_jNS1_19radix_merge_compareILb0ELb0ES5_NS0_19identity_decomposerEEEEE10hipError_tT0_T1_T2_jT3_P12ihipStream_tbPNSt15iterator_traitsISF_E10value_typeEPNSL_ISG_E10value_typeEPSH_NS1_7vsmem_tEENKUlT_SF_SG_SH_E_clIS9_S9_SA_SA_EESE_SU_SF_SG_SH_EUlSU_E0_NS1_11comp_targetILNS1_3genE4ELNS1_11target_archE910ELNS1_3gpuE8ELNS1_3repE0EEENS1_38merge_mergepath_config_static_selectorELNS0_4arch9wavefront6targetE0EEEvSG_: ; @_ZN7rocprim17ROCPRIM_400000_NS6detail17trampoline_kernelINS0_14default_configENS1_38merge_sort_block_merge_config_selectorI12hip_bfloat16NS0_10empty_typeEEEZZNS1_27merge_sort_block_merge_implIS3_PS5_PS6_jNS1_19radix_merge_compareILb0ELb0ES5_NS0_19identity_decomposerEEEEE10hipError_tT0_T1_T2_jT3_P12ihipStream_tbPNSt15iterator_traitsISF_E10value_typeEPNSL_ISG_E10value_typeEPSH_NS1_7vsmem_tEENKUlT_SF_SG_SH_E_clIS9_S9_SA_SA_EESE_SU_SF_SG_SH_EUlSU_E0_NS1_11comp_targetILNS1_3genE4ELNS1_11target_archE910ELNS1_3gpuE8ELNS1_3repE0EEENS1_38merge_mergepath_config_static_selectorELNS0_4arch9wavefront6targetE0EEEvSG_
; %bb.0:
	.section	.rodata,"a",@progbits
	.p2align	6, 0x0
	.amdhsa_kernel _ZN7rocprim17ROCPRIM_400000_NS6detail17trampoline_kernelINS0_14default_configENS1_38merge_sort_block_merge_config_selectorI12hip_bfloat16NS0_10empty_typeEEEZZNS1_27merge_sort_block_merge_implIS3_PS5_PS6_jNS1_19radix_merge_compareILb0ELb0ES5_NS0_19identity_decomposerEEEEE10hipError_tT0_T1_T2_jT3_P12ihipStream_tbPNSt15iterator_traitsISF_E10value_typeEPNSL_ISG_E10value_typeEPSH_NS1_7vsmem_tEENKUlT_SF_SG_SH_E_clIS9_S9_SA_SA_EESE_SU_SF_SG_SH_EUlSU_E0_NS1_11comp_targetILNS1_3genE4ELNS1_11target_archE910ELNS1_3gpuE8ELNS1_3repE0EEENS1_38merge_mergepath_config_static_selectorELNS0_4arch9wavefront6targetE0EEEvSG_
		.amdhsa_group_segment_fixed_size 0
		.amdhsa_private_segment_fixed_size 0
		.amdhsa_kernarg_size 64
		.amdhsa_user_sgpr_count 2
		.amdhsa_user_sgpr_dispatch_ptr 0
		.amdhsa_user_sgpr_queue_ptr 0
		.amdhsa_user_sgpr_kernarg_segment_ptr 1
		.amdhsa_user_sgpr_dispatch_id 0
		.amdhsa_user_sgpr_kernarg_preload_length 0
		.amdhsa_user_sgpr_kernarg_preload_offset 0
		.amdhsa_user_sgpr_private_segment_size 0
		.amdhsa_wavefront_size32 1
		.amdhsa_uses_dynamic_stack 0
		.amdhsa_enable_private_segment 0
		.amdhsa_system_sgpr_workgroup_id_x 1
		.amdhsa_system_sgpr_workgroup_id_y 0
		.amdhsa_system_sgpr_workgroup_id_z 0
		.amdhsa_system_sgpr_workgroup_info 0
		.amdhsa_system_vgpr_workitem_id 0
		.amdhsa_next_free_vgpr 1
		.amdhsa_next_free_sgpr 1
		.amdhsa_named_barrier_count 0
		.amdhsa_reserve_vcc 0
		.amdhsa_float_round_mode_32 0
		.amdhsa_float_round_mode_16_64 0
		.amdhsa_float_denorm_mode_32 3
		.amdhsa_float_denorm_mode_16_64 3
		.amdhsa_fp16_overflow 0
		.amdhsa_memory_ordered 1
		.amdhsa_forward_progress 1
		.amdhsa_inst_pref_size 0
		.amdhsa_round_robin_scheduling 0
		.amdhsa_exception_fp_ieee_invalid_op 0
		.amdhsa_exception_fp_denorm_src 0
		.amdhsa_exception_fp_ieee_div_zero 0
		.amdhsa_exception_fp_ieee_overflow 0
		.amdhsa_exception_fp_ieee_underflow 0
		.amdhsa_exception_fp_ieee_inexact 0
		.amdhsa_exception_int_div_zero 0
	.end_amdhsa_kernel
	.section	.text._ZN7rocprim17ROCPRIM_400000_NS6detail17trampoline_kernelINS0_14default_configENS1_38merge_sort_block_merge_config_selectorI12hip_bfloat16NS0_10empty_typeEEEZZNS1_27merge_sort_block_merge_implIS3_PS5_PS6_jNS1_19radix_merge_compareILb0ELb0ES5_NS0_19identity_decomposerEEEEE10hipError_tT0_T1_T2_jT3_P12ihipStream_tbPNSt15iterator_traitsISF_E10value_typeEPNSL_ISG_E10value_typeEPSH_NS1_7vsmem_tEENKUlT_SF_SG_SH_E_clIS9_S9_SA_SA_EESE_SU_SF_SG_SH_EUlSU_E0_NS1_11comp_targetILNS1_3genE4ELNS1_11target_archE910ELNS1_3gpuE8ELNS1_3repE0EEENS1_38merge_mergepath_config_static_selectorELNS0_4arch9wavefront6targetE0EEEvSG_,"axG",@progbits,_ZN7rocprim17ROCPRIM_400000_NS6detail17trampoline_kernelINS0_14default_configENS1_38merge_sort_block_merge_config_selectorI12hip_bfloat16NS0_10empty_typeEEEZZNS1_27merge_sort_block_merge_implIS3_PS5_PS6_jNS1_19radix_merge_compareILb0ELb0ES5_NS0_19identity_decomposerEEEEE10hipError_tT0_T1_T2_jT3_P12ihipStream_tbPNSt15iterator_traitsISF_E10value_typeEPNSL_ISG_E10value_typeEPSH_NS1_7vsmem_tEENKUlT_SF_SG_SH_E_clIS9_S9_SA_SA_EESE_SU_SF_SG_SH_EUlSU_E0_NS1_11comp_targetILNS1_3genE4ELNS1_11target_archE910ELNS1_3gpuE8ELNS1_3repE0EEENS1_38merge_mergepath_config_static_selectorELNS0_4arch9wavefront6targetE0EEEvSG_,comdat
.Lfunc_end2020:
	.size	_ZN7rocprim17ROCPRIM_400000_NS6detail17trampoline_kernelINS0_14default_configENS1_38merge_sort_block_merge_config_selectorI12hip_bfloat16NS0_10empty_typeEEEZZNS1_27merge_sort_block_merge_implIS3_PS5_PS6_jNS1_19radix_merge_compareILb0ELb0ES5_NS0_19identity_decomposerEEEEE10hipError_tT0_T1_T2_jT3_P12ihipStream_tbPNSt15iterator_traitsISF_E10value_typeEPNSL_ISG_E10value_typeEPSH_NS1_7vsmem_tEENKUlT_SF_SG_SH_E_clIS9_S9_SA_SA_EESE_SU_SF_SG_SH_EUlSU_E0_NS1_11comp_targetILNS1_3genE4ELNS1_11target_archE910ELNS1_3gpuE8ELNS1_3repE0EEENS1_38merge_mergepath_config_static_selectorELNS0_4arch9wavefront6targetE0EEEvSG_, .Lfunc_end2020-_ZN7rocprim17ROCPRIM_400000_NS6detail17trampoline_kernelINS0_14default_configENS1_38merge_sort_block_merge_config_selectorI12hip_bfloat16NS0_10empty_typeEEEZZNS1_27merge_sort_block_merge_implIS3_PS5_PS6_jNS1_19radix_merge_compareILb0ELb0ES5_NS0_19identity_decomposerEEEEE10hipError_tT0_T1_T2_jT3_P12ihipStream_tbPNSt15iterator_traitsISF_E10value_typeEPNSL_ISG_E10value_typeEPSH_NS1_7vsmem_tEENKUlT_SF_SG_SH_E_clIS9_S9_SA_SA_EESE_SU_SF_SG_SH_EUlSU_E0_NS1_11comp_targetILNS1_3genE4ELNS1_11target_archE910ELNS1_3gpuE8ELNS1_3repE0EEENS1_38merge_mergepath_config_static_selectorELNS0_4arch9wavefront6targetE0EEEvSG_
                                        ; -- End function
	.set _ZN7rocprim17ROCPRIM_400000_NS6detail17trampoline_kernelINS0_14default_configENS1_38merge_sort_block_merge_config_selectorI12hip_bfloat16NS0_10empty_typeEEEZZNS1_27merge_sort_block_merge_implIS3_PS5_PS6_jNS1_19radix_merge_compareILb0ELb0ES5_NS0_19identity_decomposerEEEEE10hipError_tT0_T1_T2_jT3_P12ihipStream_tbPNSt15iterator_traitsISF_E10value_typeEPNSL_ISG_E10value_typeEPSH_NS1_7vsmem_tEENKUlT_SF_SG_SH_E_clIS9_S9_SA_SA_EESE_SU_SF_SG_SH_EUlSU_E0_NS1_11comp_targetILNS1_3genE4ELNS1_11target_archE910ELNS1_3gpuE8ELNS1_3repE0EEENS1_38merge_mergepath_config_static_selectorELNS0_4arch9wavefront6targetE0EEEvSG_.num_vgpr, 0
	.set _ZN7rocprim17ROCPRIM_400000_NS6detail17trampoline_kernelINS0_14default_configENS1_38merge_sort_block_merge_config_selectorI12hip_bfloat16NS0_10empty_typeEEEZZNS1_27merge_sort_block_merge_implIS3_PS5_PS6_jNS1_19radix_merge_compareILb0ELb0ES5_NS0_19identity_decomposerEEEEE10hipError_tT0_T1_T2_jT3_P12ihipStream_tbPNSt15iterator_traitsISF_E10value_typeEPNSL_ISG_E10value_typeEPSH_NS1_7vsmem_tEENKUlT_SF_SG_SH_E_clIS9_S9_SA_SA_EESE_SU_SF_SG_SH_EUlSU_E0_NS1_11comp_targetILNS1_3genE4ELNS1_11target_archE910ELNS1_3gpuE8ELNS1_3repE0EEENS1_38merge_mergepath_config_static_selectorELNS0_4arch9wavefront6targetE0EEEvSG_.num_agpr, 0
	.set _ZN7rocprim17ROCPRIM_400000_NS6detail17trampoline_kernelINS0_14default_configENS1_38merge_sort_block_merge_config_selectorI12hip_bfloat16NS0_10empty_typeEEEZZNS1_27merge_sort_block_merge_implIS3_PS5_PS6_jNS1_19radix_merge_compareILb0ELb0ES5_NS0_19identity_decomposerEEEEE10hipError_tT0_T1_T2_jT3_P12ihipStream_tbPNSt15iterator_traitsISF_E10value_typeEPNSL_ISG_E10value_typeEPSH_NS1_7vsmem_tEENKUlT_SF_SG_SH_E_clIS9_S9_SA_SA_EESE_SU_SF_SG_SH_EUlSU_E0_NS1_11comp_targetILNS1_3genE4ELNS1_11target_archE910ELNS1_3gpuE8ELNS1_3repE0EEENS1_38merge_mergepath_config_static_selectorELNS0_4arch9wavefront6targetE0EEEvSG_.numbered_sgpr, 0
	.set _ZN7rocprim17ROCPRIM_400000_NS6detail17trampoline_kernelINS0_14default_configENS1_38merge_sort_block_merge_config_selectorI12hip_bfloat16NS0_10empty_typeEEEZZNS1_27merge_sort_block_merge_implIS3_PS5_PS6_jNS1_19radix_merge_compareILb0ELb0ES5_NS0_19identity_decomposerEEEEE10hipError_tT0_T1_T2_jT3_P12ihipStream_tbPNSt15iterator_traitsISF_E10value_typeEPNSL_ISG_E10value_typeEPSH_NS1_7vsmem_tEENKUlT_SF_SG_SH_E_clIS9_S9_SA_SA_EESE_SU_SF_SG_SH_EUlSU_E0_NS1_11comp_targetILNS1_3genE4ELNS1_11target_archE910ELNS1_3gpuE8ELNS1_3repE0EEENS1_38merge_mergepath_config_static_selectorELNS0_4arch9wavefront6targetE0EEEvSG_.num_named_barrier, 0
	.set _ZN7rocprim17ROCPRIM_400000_NS6detail17trampoline_kernelINS0_14default_configENS1_38merge_sort_block_merge_config_selectorI12hip_bfloat16NS0_10empty_typeEEEZZNS1_27merge_sort_block_merge_implIS3_PS5_PS6_jNS1_19radix_merge_compareILb0ELb0ES5_NS0_19identity_decomposerEEEEE10hipError_tT0_T1_T2_jT3_P12ihipStream_tbPNSt15iterator_traitsISF_E10value_typeEPNSL_ISG_E10value_typeEPSH_NS1_7vsmem_tEENKUlT_SF_SG_SH_E_clIS9_S9_SA_SA_EESE_SU_SF_SG_SH_EUlSU_E0_NS1_11comp_targetILNS1_3genE4ELNS1_11target_archE910ELNS1_3gpuE8ELNS1_3repE0EEENS1_38merge_mergepath_config_static_selectorELNS0_4arch9wavefront6targetE0EEEvSG_.private_seg_size, 0
	.set _ZN7rocprim17ROCPRIM_400000_NS6detail17trampoline_kernelINS0_14default_configENS1_38merge_sort_block_merge_config_selectorI12hip_bfloat16NS0_10empty_typeEEEZZNS1_27merge_sort_block_merge_implIS3_PS5_PS6_jNS1_19radix_merge_compareILb0ELb0ES5_NS0_19identity_decomposerEEEEE10hipError_tT0_T1_T2_jT3_P12ihipStream_tbPNSt15iterator_traitsISF_E10value_typeEPNSL_ISG_E10value_typeEPSH_NS1_7vsmem_tEENKUlT_SF_SG_SH_E_clIS9_S9_SA_SA_EESE_SU_SF_SG_SH_EUlSU_E0_NS1_11comp_targetILNS1_3genE4ELNS1_11target_archE910ELNS1_3gpuE8ELNS1_3repE0EEENS1_38merge_mergepath_config_static_selectorELNS0_4arch9wavefront6targetE0EEEvSG_.uses_vcc, 0
	.set _ZN7rocprim17ROCPRIM_400000_NS6detail17trampoline_kernelINS0_14default_configENS1_38merge_sort_block_merge_config_selectorI12hip_bfloat16NS0_10empty_typeEEEZZNS1_27merge_sort_block_merge_implIS3_PS5_PS6_jNS1_19radix_merge_compareILb0ELb0ES5_NS0_19identity_decomposerEEEEE10hipError_tT0_T1_T2_jT3_P12ihipStream_tbPNSt15iterator_traitsISF_E10value_typeEPNSL_ISG_E10value_typeEPSH_NS1_7vsmem_tEENKUlT_SF_SG_SH_E_clIS9_S9_SA_SA_EESE_SU_SF_SG_SH_EUlSU_E0_NS1_11comp_targetILNS1_3genE4ELNS1_11target_archE910ELNS1_3gpuE8ELNS1_3repE0EEENS1_38merge_mergepath_config_static_selectorELNS0_4arch9wavefront6targetE0EEEvSG_.uses_flat_scratch, 0
	.set _ZN7rocprim17ROCPRIM_400000_NS6detail17trampoline_kernelINS0_14default_configENS1_38merge_sort_block_merge_config_selectorI12hip_bfloat16NS0_10empty_typeEEEZZNS1_27merge_sort_block_merge_implIS3_PS5_PS6_jNS1_19radix_merge_compareILb0ELb0ES5_NS0_19identity_decomposerEEEEE10hipError_tT0_T1_T2_jT3_P12ihipStream_tbPNSt15iterator_traitsISF_E10value_typeEPNSL_ISG_E10value_typeEPSH_NS1_7vsmem_tEENKUlT_SF_SG_SH_E_clIS9_S9_SA_SA_EESE_SU_SF_SG_SH_EUlSU_E0_NS1_11comp_targetILNS1_3genE4ELNS1_11target_archE910ELNS1_3gpuE8ELNS1_3repE0EEENS1_38merge_mergepath_config_static_selectorELNS0_4arch9wavefront6targetE0EEEvSG_.has_dyn_sized_stack, 0
	.set _ZN7rocprim17ROCPRIM_400000_NS6detail17trampoline_kernelINS0_14default_configENS1_38merge_sort_block_merge_config_selectorI12hip_bfloat16NS0_10empty_typeEEEZZNS1_27merge_sort_block_merge_implIS3_PS5_PS6_jNS1_19radix_merge_compareILb0ELb0ES5_NS0_19identity_decomposerEEEEE10hipError_tT0_T1_T2_jT3_P12ihipStream_tbPNSt15iterator_traitsISF_E10value_typeEPNSL_ISG_E10value_typeEPSH_NS1_7vsmem_tEENKUlT_SF_SG_SH_E_clIS9_S9_SA_SA_EESE_SU_SF_SG_SH_EUlSU_E0_NS1_11comp_targetILNS1_3genE4ELNS1_11target_archE910ELNS1_3gpuE8ELNS1_3repE0EEENS1_38merge_mergepath_config_static_selectorELNS0_4arch9wavefront6targetE0EEEvSG_.has_recursion, 0
	.set _ZN7rocprim17ROCPRIM_400000_NS6detail17trampoline_kernelINS0_14default_configENS1_38merge_sort_block_merge_config_selectorI12hip_bfloat16NS0_10empty_typeEEEZZNS1_27merge_sort_block_merge_implIS3_PS5_PS6_jNS1_19radix_merge_compareILb0ELb0ES5_NS0_19identity_decomposerEEEEE10hipError_tT0_T1_T2_jT3_P12ihipStream_tbPNSt15iterator_traitsISF_E10value_typeEPNSL_ISG_E10value_typeEPSH_NS1_7vsmem_tEENKUlT_SF_SG_SH_E_clIS9_S9_SA_SA_EESE_SU_SF_SG_SH_EUlSU_E0_NS1_11comp_targetILNS1_3genE4ELNS1_11target_archE910ELNS1_3gpuE8ELNS1_3repE0EEENS1_38merge_mergepath_config_static_selectorELNS0_4arch9wavefront6targetE0EEEvSG_.has_indirect_call, 0
	.section	.AMDGPU.csdata,"",@progbits
; Kernel info:
; codeLenInByte = 0
; TotalNumSgprs: 0
; NumVgprs: 0
; ScratchSize: 0
; MemoryBound: 0
; FloatMode: 240
; IeeeMode: 1
; LDSByteSize: 0 bytes/workgroup (compile time only)
; SGPRBlocks: 0
; VGPRBlocks: 0
; NumSGPRsForWavesPerEU: 1
; NumVGPRsForWavesPerEU: 1
; NamedBarCnt: 0
; Occupancy: 16
; WaveLimiterHint : 0
; COMPUTE_PGM_RSRC2:SCRATCH_EN: 0
; COMPUTE_PGM_RSRC2:USER_SGPR: 2
; COMPUTE_PGM_RSRC2:TRAP_HANDLER: 0
; COMPUTE_PGM_RSRC2:TGID_X_EN: 1
; COMPUTE_PGM_RSRC2:TGID_Y_EN: 0
; COMPUTE_PGM_RSRC2:TGID_Z_EN: 0
; COMPUTE_PGM_RSRC2:TIDIG_COMP_CNT: 0
	.section	.text._ZN7rocprim17ROCPRIM_400000_NS6detail17trampoline_kernelINS0_14default_configENS1_38merge_sort_block_merge_config_selectorI12hip_bfloat16NS0_10empty_typeEEEZZNS1_27merge_sort_block_merge_implIS3_PS5_PS6_jNS1_19radix_merge_compareILb0ELb0ES5_NS0_19identity_decomposerEEEEE10hipError_tT0_T1_T2_jT3_P12ihipStream_tbPNSt15iterator_traitsISF_E10value_typeEPNSL_ISG_E10value_typeEPSH_NS1_7vsmem_tEENKUlT_SF_SG_SH_E_clIS9_S9_SA_SA_EESE_SU_SF_SG_SH_EUlSU_E0_NS1_11comp_targetILNS1_3genE3ELNS1_11target_archE908ELNS1_3gpuE7ELNS1_3repE0EEENS1_38merge_mergepath_config_static_selectorELNS0_4arch9wavefront6targetE0EEEvSG_,"axG",@progbits,_ZN7rocprim17ROCPRIM_400000_NS6detail17trampoline_kernelINS0_14default_configENS1_38merge_sort_block_merge_config_selectorI12hip_bfloat16NS0_10empty_typeEEEZZNS1_27merge_sort_block_merge_implIS3_PS5_PS6_jNS1_19radix_merge_compareILb0ELb0ES5_NS0_19identity_decomposerEEEEE10hipError_tT0_T1_T2_jT3_P12ihipStream_tbPNSt15iterator_traitsISF_E10value_typeEPNSL_ISG_E10value_typeEPSH_NS1_7vsmem_tEENKUlT_SF_SG_SH_E_clIS9_S9_SA_SA_EESE_SU_SF_SG_SH_EUlSU_E0_NS1_11comp_targetILNS1_3genE3ELNS1_11target_archE908ELNS1_3gpuE7ELNS1_3repE0EEENS1_38merge_mergepath_config_static_selectorELNS0_4arch9wavefront6targetE0EEEvSG_,comdat
	.protected	_ZN7rocprim17ROCPRIM_400000_NS6detail17trampoline_kernelINS0_14default_configENS1_38merge_sort_block_merge_config_selectorI12hip_bfloat16NS0_10empty_typeEEEZZNS1_27merge_sort_block_merge_implIS3_PS5_PS6_jNS1_19radix_merge_compareILb0ELb0ES5_NS0_19identity_decomposerEEEEE10hipError_tT0_T1_T2_jT3_P12ihipStream_tbPNSt15iterator_traitsISF_E10value_typeEPNSL_ISG_E10value_typeEPSH_NS1_7vsmem_tEENKUlT_SF_SG_SH_E_clIS9_S9_SA_SA_EESE_SU_SF_SG_SH_EUlSU_E0_NS1_11comp_targetILNS1_3genE3ELNS1_11target_archE908ELNS1_3gpuE7ELNS1_3repE0EEENS1_38merge_mergepath_config_static_selectorELNS0_4arch9wavefront6targetE0EEEvSG_ ; -- Begin function _ZN7rocprim17ROCPRIM_400000_NS6detail17trampoline_kernelINS0_14default_configENS1_38merge_sort_block_merge_config_selectorI12hip_bfloat16NS0_10empty_typeEEEZZNS1_27merge_sort_block_merge_implIS3_PS5_PS6_jNS1_19radix_merge_compareILb0ELb0ES5_NS0_19identity_decomposerEEEEE10hipError_tT0_T1_T2_jT3_P12ihipStream_tbPNSt15iterator_traitsISF_E10value_typeEPNSL_ISG_E10value_typeEPSH_NS1_7vsmem_tEENKUlT_SF_SG_SH_E_clIS9_S9_SA_SA_EESE_SU_SF_SG_SH_EUlSU_E0_NS1_11comp_targetILNS1_3genE3ELNS1_11target_archE908ELNS1_3gpuE7ELNS1_3repE0EEENS1_38merge_mergepath_config_static_selectorELNS0_4arch9wavefront6targetE0EEEvSG_
	.globl	_ZN7rocprim17ROCPRIM_400000_NS6detail17trampoline_kernelINS0_14default_configENS1_38merge_sort_block_merge_config_selectorI12hip_bfloat16NS0_10empty_typeEEEZZNS1_27merge_sort_block_merge_implIS3_PS5_PS6_jNS1_19radix_merge_compareILb0ELb0ES5_NS0_19identity_decomposerEEEEE10hipError_tT0_T1_T2_jT3_P12ihipStream_tbPNSt15iterator_traitsISF_E10value_typeEPNSL_ISG_E10value_typeEPSH_NS1_7vsmem_tEENKUlT_SF_SG_SH_E_clIS9_S9_SA_SA_EESE_SU_SF_SG_SH_EUlSU_E0_NS1_11comp_targetILNS1_3genE3ELNS1_11target_archE908ELNS1_3gpuE7ELNS1_3repE0EEENS1_38merge_mergepath_config_static_selectorELNS0_4arch9wavefront6targetE0EEEvSG_
	.p2align	8
	.type	_ZN7rocprim17ROCPRIM_400000_NS6detail17trampoline_kernelINS0_14default_configENS1_38merge_sort_block_merge_config_selectorI12hip_bfloat16NS0_10empty_typeEEEZZNS1_27merge_sort_block_merge_implIS3_PS5_PS6_jNS1_19radix_merge_compareILb0ELb0ES5_NS0_19identity_decomposerEEEEE10hipError_tT0_T1_T2_jT3_P12ihipStream_tbPNSt15iterator_traitsISF_E10value_typeEPNSL_ISG_E10value_typeEPSH_NS1_7vsmem_tEENKUlT_SF_SG_SH_E_clIS9_S9_SA_SA_EESE_SU_SF_SG_SH_EUlSU_E0_NS1_11comp_targetILNS1_3genE3ELNS1_11target_archE908ELNS1_3gpuE7ELNS1_3repE0EEENS1_38merge_mergepath_config_static_selectorELNS0_4arch9wavefront6targetE0EEEvSG_,@function
_ZN7rocprim17ROCPRIM_400000_NS6detail17trampoline_kernelINS0_14default_configENS1_38merge_sort_block_merge_config_selectorI12hip_bfloat16NS0_10empty_typeEEEZZNS1_27merge_sort_block_merge_implIS3_PS5_PS6_jNS1_19radix_merge_compareILb0ELb0ES5_NS0_19identity_decomposerEEEEE10hipError_tT0_T1_T2_jT3_P12ihipStream_tbPNSt15iterator_traitsISF_E10value_typeEPNSL_ISG_E10value_typeEPSH_NS1_7vsmem_tEENKUlT_SF_SG_SH_E_clIS9_S9_SA_SA_EESE_SU_SF_SG_SH_EUlSU_E0_NS1_11comp_targetILNS1_3genE3ELNS1_11target_archE908ELNS1_3gpuE7ELNS1_3repE0EEENS1_38merge_mergepath_config_static_selectorELNS0_4arch9wavefront6targetE0EEEvSG_: ; @_ZN7rocprim17ROCPRIM_400000_NS6detail17trampoline_kernelINS0_14default_configENS1_38merge_sort_block_merge_config_selectorI12hip_bfloat16NS0_10empty_typeEEEZZNS1_27merge_sort_block_merge_implIS3_PS5_PS6_jNS1_19radix_merge_compareILb0ELb0ES5_NS0_19identity_decomposerEEEEE10hipError_tT0_T1_T2_jT3_P12ihipStream_tbPNSt15iterator_traitsISF_E10value_typeEPNSL_ISG_E10value_typeEPSH_NS1_7vsmem_tEENKUlT_SF_SG_SH_E_clIS9_S9_SA_SA_EESE_SU_SF_SG_SH_EUlSU_E0_NS1_11comp_targetILNS1_3genE3ELNS1_11target_archE908ELNS1_3gpuE7ELNS1_3repE0EEENS1_38merge_mergepath_config_static_selectorELNS0_4arch9wavefront6targetE0EEEvSG_
; %bb.0:
	.section	.rodata,"a",@progbits
	.p2align	6, 0x0
	.amdhsa_kernel _ZN7rocprim17ROCPRIM_400000_NS6detail17trampoline_kernelINS0_14default_configENS1_38merge_sort_block_merge_config_selectorI12hip_bfloat16NS0_10empty_typeEEEZZNS1_27merge_sort_block_merge_implIS3_PS5_PS6_jNS1_19radix_merge_compareILb0ELb0ES5_NS0_19identity_decomposerEEEEE10hipError_tT0_T1_T2_jT3_P12ihipStream_tbPNSt15iterator_traitsISF_E10value_typeEPNSL_ISG_E10value_typeEPSH_NS1_7vsmem_tEENKUlT_SF_SG_SH_E_clIS9_S9_SA_SA_EESE_SU_SF_SG_SH_EUlSU_E0_NS1_11comp_targetILNS1_3genE3ELNS1_11target_archE908ELNS1_3gpuE7ELNS1_3repE0EEENS1_38merge_mergepath_config_static_selectorELNS0_4arch9wavefront6targetE0EEEvSG_
		.amdhsa_group_segment_fixed_size 0
		.amdhsa_private_segment_fixed_size 0
		.amdhsa_kernarg_size 64
		.amdhsa_user_sgpr_count 2
		.amdhsa_user_sgpr_dispatch_ptr 0
		.amdhsa_user_sgpr_queue_ptr 0
		.amdhsa_user_sgpr_kernarg_segment_ptr 1
		.amdhsa_user_sgpr_dispatch_id 0
		.amdhsa_user_sgpr_kernarg_preload_length 0
		.amdhsa_user_sgpr_kernarg_preload_offset 0
		.amdhsa_user_sgpr_private_segment_size 0
		.amdhsa_wavefront_size32 1
		.amdhsa_uses_dynamic_stack 0
		.amdhsa_enable_private_segment 0
		.amdhsa_system_sgpr_workgroup_id_x 1
		.amdhsa_system_sgpr_workgroup_id_y 0
		.amdhsa_system_sgpr_workgroup_id_z 0
		.amdhsa_system_sgpr_workgroup_info 0
		.amdhsa_system_vgpr_workitem_id 0
		.amdhsa_next_free_vgpr 1
		.amdhsa_next_free_sgpr 1
		.amdhsa_named_barrier_count 0
		.amdhsa_reserve_vcc 0
		.amdhsa_float_round_mode_32 0
		.amdhsa_float_round_mode_16_64 0
		.amdhsa_float_denorm_mode_32 3
		.amdhsa_float_denorm_mode_16_64 3
		.amdhsa_fp16_overflow 0
		.amdhsa_memory_ordered 1
		.amdhsa_forward_progress 1
		.amdhsa_inst_pref_size 0
		.amdhsa_round_robin_scheduling 0
		.amdhsa_exception_fp_ieee_invalid_op 0
		.amdhsa_exception_fp_denorm_src 0
		.amdhsa_exception_fp_ieee_div_zero 0
		.amdhsa_exception_fp_ieee_overflow 0
		.amdhsa_exception_fp_ieee_underflow 0
		.amdhsa_exception_fp_ieee_inexact 0
		.amdhsa_exception_int_div_zero 0
	.end_amdhsa_kernel
	.section	.text._ZN7rocprim17ROCPRIM_400000_NS6detail17trampoline_kernelINS0_14default_configENS1_38merge_sort_block_merge_config_selectorI12hip_bfloat16NS0_10empty_typeEEEZZNS1_27merge_sort_block_merge_implIS3_PS5_PS6_jNS1_19radix_merge_compareILb0ELb0ES5_NS0_19identity_decomposerEEEEE10hipError_tT0_T1_T2_jT3_P12ihipStream_tbPNSt15iterator_traitsISF_E10value_typeEPNSL_ISG_E10value_typeEPSH_NS1_7vsmem_tEENKUlT_SF_SG_SH_E_clIS9_S9_SA_SA_EESE_SU_SF_SG_SH_EUlSU_E0_NS1_11comp_targetILNS1_3genE3ELNS1_11target_archE908ELNS1_3gpuE7ELNS1_3repE0EEENS1_38merge_mergepath_config_static_selectorELNS0_4arch9wavefront6targetE0EEEvSG_,"axG",@progbits,_ZN7rocprim17ROCPRIM_400000_NS6detail17trampoline_kernelINS0_14default_configENS1_38merge_sort_block_merge_config_selectorI12hip_bfloat16NS0_10empty_typeEEEZZNS1_27merge_sort_block_merge_implIS3_PS5_PS6_jNS1_19radix_merge_compareILb0ELb0ES5_NS0_19identity_decomposerEEEEE10hipError_tT0_T1_T2_jT3_P12ihipStream_tbPNSt15iterator_traitsISF_E10value_typeEPNSL_ISG_E10value_typeEPSH_NS1_7vsmem_tEENKUlT_SF_SG_SH_E_clIS9_S9_SA_SA_EESE_SU_SF_SG_SH_EUlSU_E0_NS1_11comp_targetILNS1_3genE3ELNS1_11target_archE908ELNS1_3gpuE7ELNS1_3repE0EEENS1_38merge_mergepath_config_static_selectorELNS0_4arch9wavefront6targetE0EEEvSG_,comdat
.Lfunc_end2021:
	.size	_ZN7rocprim17ROCPRIM_400000_NS6detail17trampoline_kernelINS0_14default_configENS1_38merge_sort_block_merge_config_selectorI12hip_bfloat16NS0_10empty_typeEEEZZNS1_27merge_sort_block_merge_implIS3_PS5_PS6_jNS1_19radix_merge_compareILb0ELb0ES5_NS0_19identity_decomposerEEEEE10hipError_tT0_T1_T2_jT3_P12ihipStream_tbPNSt15iterator_traitsISF_E10value_typeEPNSL_ISG_E10value_typeEPSH_NS1_7vsmem_tEENKUlT_SF_SG_SH_E_clIS9_S9_SA_SA_EESE_SU_SF_SG_SH_EUlSU_E0_NS1_11comp_targetILNS1_3genE3ELNS1_11target_archE908ELNS1_3gpuE7ELNS1_3repE0EEENS1_38merge_mergepath_config_static_selectorELNS0_4arch9wavefront6targetE0EEEvSG_, .Lfunc_end2021-_ZN7rocprim17ROCPRIM_400000_NS6detail17trampoline_kernelINS0_14default_configENS1_38merge_sort_block_merge_config_selectorI12hip_bfloat16NS0_10empty_typeEEEZZNS1_27merge_sort_block_merge_implIS3_PS5_PS6_jNS1_19radix_merge_compareILb0ELb0ES5_NS0_19identity_decomposerEEEEE10hipError_tT0_T1_T2_jT3_P12ihipStream_tbPNSt15iterator_traitsISF_E10value_typeEPNSL_ISG_E10value_typeEPSH_NS1_7vsmem_tEENKUlT_SF_SG_SH_E_clIS9_S9_SA_SA_EESE_SU_SF_SG_SH_EUlSU_E0_NS1_11comp_targetILNS1_3genE3ELNS1_11target_archE908ELNS1_3gpuE7ELNS1_3repE0EEENS1_38merge_mergepath_config_static_selectorELNS0_4arch9wavefront6targetE0EEEvSG_
                                        ; -- End function
	.set _ZN7rocprim17ROCPRIM_400000_NS6detail17trampoline_kernelINS0_14default_configENS1_38merge_sort_block_merge_config_selectorI12hip_bfloat16NS0_10empty_typeEEEZZNS1_27merge_sort_block_merge_implIS3_PS5_PS6_jNS1_19radix_merge_compareILb0ELb0ES5_NS0_19identity_decomposerEEEEE10hipError_tT0_T1_T2_jT3_P12ihipStream_tbPNSt15iterator_traitsISF_E10value_typeEPNSL_ISG_E10value_typeEPSH_NS1_7vsmem_tEENKUlT_SF_SG_SH_E_clIS9_S9_SA_SA_EESE_SU_SF_SG_SH_EUlSU_E0_NS1_11comp_targetILNS1_3genE3ELNS1_11target_archE908ELNS1_3gpuE7ELNS1_3repE0EEENS1_38merge_mergepath_config_static_selectorELNS0_4arch9wavefront6targetE0EEEvSG_.num_vgpr, 0
	.set _ZN7rocprim17ROCPRIM_400000_NS6detail17trampoline_kernelINS0_14default_configENS1_38merge_sort_block_merge_config_selectorI12hip_bfloat16NS0_10empty_typeEEEZZNS1_27merge_sort_block_merge_implIS3_PS5_PS6_jNS1_19radix_merge_compareILb0ELb0ES5_NS0_19identity_decomposerEEEEE10hipError_tT0_T1_T2_jT3_P12ihipStream_tbPNSt15iterator_traitsISF_E10value_typeEPNSL_ISG_E10value_typeEPSH_NS1_7vsmem_tEENKUlT_SF_SG_SH_E_clIS9_S9_SA_SA_EESE_SU_SF_SG_SH_EUlSU_E0_NS1_11comp_targetILNS1_3genE3ELNS1_11target_archE908ELNS1_3gpuE7ELNS1_3repE0EEENS1_38merge_mergepath_config_static_selectorELNS0_4arch9wavefront6targetE0EEEvSG_.num_agpr, 0
	.set _ZN7rocprim17ROCPRIM_400000_NS6detail17trampoline_kernelINS0_14default_configENS1_38merge_sort_block_merge_config_selectorI12hip_bfloat16NS0_10empty_typeEEEZZNS1_27merge_sort_block_merge_implIS3_PS5_PS6_jNS1_19radix_merge_compareILb0ELb0ES5_NS0_19identity_decomposerEEEEE10hipError_tT0_T1_T2_jT3_P12ihipStream_tbPNSt15iterator_traitsISF_E10value_typeEPNSL_ISG_E10value_typeEPSH_NS1_7vsmem_tEENKUlT_SF_SG_SH_E_clIS9_S9_SA_SA_EESE_SU_SF_SG_SH_EUlSU_E0_NS1_11comp_targetILNS1_3genE3ELNS1_11target_archE908ELNS1_3gpuE7ELNS1_3repE0EEENS1_38merge_mergepath_config_static_selectorELNS0_4arch9wavefront6targetE0EEEvSG_.numbered_sgpr, 0
	.set _ZN7rocprim17ROCPRIM_400000_NS6detail17trampoline_kernelINS0_14default_configENS1_38merge_sort_block_merge_config_selectorI12hip_bfloat16NS0_10empty_typeEEEZZNS1_27merge_sort_block_merge_implIS3_PS5_PS6_jNS1_19radix_merge_compareILb0ELb0ES5_NS0_19identity_decomposerEEEEE10hipError_tT0_T1_T2_jT3_P12ihipStream_tbPNSt15iterator_traitsISF_E10value_typeEPNSL_ISG_E10value_typeEPSH_NS1_7vsmem_tEENKUlT_SF_SG_SH_E_clIS9_S9_SA_SA_EESE_SU_SF_SG_SH_EUlSU_E0_NS1_11comp_targetILNS1_3genE3ELNS1_11target_archE908ELNS1_3gpuE7ELNS1_3repE0EEENS1_38merge_mergepath_config_static_selectorELNS0_4arch9wavefront6targetE0EEEvSG_.num_named_barrier, 0
	.set _ZN7rocprim17ROCPRIM_400000_NS6detail17trampoline_kernelINS0_14default_configENS1_38merge_sort_block_merge_config_selectorI12hip_bfloat16NS0_10empty_typeEEEZZNS1_27merge_sort_block_merge_implIS3_PS5_PS6_jNS1_19radix_merge_compareILb0ELb0ES5_NS0_19identity_decomposerEEEEE10hipError_tT0_T1_T2_jT3_P12ihipStream_tbPNSt15iterator_traitsISF_E10value_typeEPNSL_ISG_E10value_typeEPSH_NS1_7vsmem_tEENKUlT_SF_SG_SH_E_clIS9_S9_SA_SA_EESE_SU_SF_SG_SH_EUlSU_E0_NS1_11comp_targetILNS1_3genE3ELNS1_11target_archE908ELNS1_3gpuE7ELNS1_3repE0EEENS1_38merge_mergepath_config_static_selectorELNS0_4arch9wavefront6targetE0EEEvSG_.private_seg_size, 0
	.set _ZN7rocprim17ROCPRIM_400000_NS6detail17trampoline_kernelINS0_14default_configENS1_38merge_sort_block_merge_config_selectorI12hip_bfloat16NS0_10empty_typeEEEZZNS1_27merge_sort_block_merge_implIS3_PS5_PS6_jNS1_19radix_merge_compareILb0ELb0ES5_NS0_19identity_decomposerEEEEE10hipError_tT0_T1_T2_jT3_P12ihipStream_tbPNSt15iterator_traitsISF_E10value_typeEPNSL_ISG_E10value_typeEPSH_NS1_7vsmem_tEENKUlT_SF_SG_SH_E_clIS9_S9_SA_SA_EESE_SU_SF_SG_SH_EUlSU_E0_NS1_11comp_targetILNS1_3genE3ELNS1_11target_archE908ELNS1_3gpuE7ELNS1_3repE0EEENS1_38merge_mergepath_config_static_selectorELNS0_4arch9wavefront6targetE0EEEvSG_.uses_vcc, 0
	.set _ZN7rocprim17ROCPRIM_400000_NS6detail17trampoline_kernelINS0_14default_configENS1_38merge_sort_block_merge_config_selectorI12hip_bfloat16NS0_10empty_typeEEEZZNS1_27merge_sort_block_merge_implIS3_PS5_PS6_jNS1_19radix_merge_compareILb0ELb0ES5_NS0_19identity_decomposerEEEEE10hipError_tT0_T1_T2_jT3_P12ihipStream_tbPNSt15iterator_traitsISF_E10value_typeEPNSL_ISG_E10value_typeEPSH_NS1_7vsmem_tEENKUlT_SF_SG_SH_E_clIS9_S9_SA_SA_EESE_SU_SF_SG_SH_EUlSU_E0_NS1_11comp_targetILNS1_3genE3ELNS1_11target_archE908ELNS1_3gpuE7ELNS1_3repE0EEENS1_38merge_mergepath_config_static_selectorELNS0_4arch9wavefront6targetE0EEEvSG_.uses_flat_scratch, 0
	.set _ZN7rocprim17ROCPRIM_400000_NS6detail17trampoline_kernelINS0_14default_configENS1_38merge_sort_block_merge_config_selectorI12hip_bfloat16NS0_10empty_typeEEEZZNS1_27merge_sort_block_merge_implIS3_PS5_PS6_jNS1_19radix_merge_compareILb0ELb0ES5_NS0_19identity_decomposerEEEEE10hipError_tT0_T1_T2_jT3_P12ihipStream_tbPNSt15iterator_traitsISF_E10value_typeEPNSL_ISG_E10value_typeEPSH_NS1_7vsmem_tEENKUlT_SF_SG_SH_E_clIS9_S9_SA_SA_EESE_SU_SF_SG_SH_EUlSU_E0_NS1_11comp_targetILNS1_3genE3ELNS1_11target_archE908ELNS1_3gpuE7ELNS1_3repE0EEENS1_38merge_mergepath_config_static_selectorELNS0_4arch9wavefront6targetE0EEEvSG_.has_dyn_sized_stack, 0
	.set _ZN7rocprim17ROCPRIM_400000_NS6detail17trampoline_kernelINS0_14default_configENS1_38merge_sort_block_merge_config_selectorI12hip_bfloat16NS0_10empty_typeEEEZZNS1_27merge_sort_block_merge_implIS3_PS5_PS6_jNS1_19radix_merge_compareILb0ELb0ES5_NS0_19identity_decomposerEEEEE10hipError_tT0_T1_T2_jT3_P12ihipStream_tbPNSt15iterator_traitsISF_E10value_typeEPNSL_ISG_E10value_typeEPSH_NS1_7vsmem_tEENKUlT_SF_SG_SH_E_clIS9_S9_SA_SA_EESE_SU_SF_SG_SH_EUlSU_E0_NS1_11comp_targetILNS1_3genE3ELNS1_11target_archE908ELNS1_3gpuE7ELNS1_3repE0EEENS1_38merge_mergepath_config_static_selectorELNS0_4arch9wavefront6targetE0EEEvSG_.has_recursion, 0
	.set _ZN7rocprim17ROCPRIM_400000_NS6detail17trampoline_kernelINS0_14default_configENS1_38merge_sort_block_merge_config_selectorI12hip_bfloat16NS0_10empty_typeEEEZZNS1_27merge_sort_block_merge_implIS3_PS5_PS6_jNS1_19radix_merge_compareILb0ELb0ES5_NS0_19identity_decomposerEEEEE10hipError_tT0_T1_T2_jT3_P12ihipStream_tbPNSt15iterator_traitsISF_E10value_typeEPNSL_ISG_E10value_typeEPSH_NS1_7vsmem_tEENKUlT_SF_SG_SH_E_clIS9_S9_SA_SA_EESE_SU_SF_SG_SH_EUlSU_E0_NS1_11comp_targetILNS1_3genE3ELNS1_11target_archE908ELNS1_3gpuE7ELNS1_3repE0EEENS1_38merge_mergepath_config_static_selectorELNS0_4arch9wavefront6targetE0EEEvSG_.has_indirect_call, 0
	.section	.AMDGPU.csdata,"",@progbits
; Kernel info:
; codeLenInByte = 0
; TotalNumSgprs: 0
; NumVgprs: 0
; ScratchSize: 0
; MemoryBound: 0
; FloatMode: 240
; IeeeMode: 1
; LDSByteSize: 0 bytes/workgroup (compile time only)
; SGPRBlocks: 0
; VGPRBlocks: 0
; NumSGPRsForWavesPerEU: 1
; NumVGPRsForWavesPerEU: 1
; NamedBarCnt: 0
; Occupancy: 16
; WaveLimiterHint : 0
; COMPUTE_PGM_RSRC2:SCRATCH_EN: 0
; COMPUTE_PGM_RSRC2:USER_SGPR: 2
; COMPUTE_PGM_RSRC2:TRAP_HANDLER: 0
; COMPUTE_PGM_RSRC2:TGID_X_EN: 1
; COMPUTE_PGM_RSRC2:TGID_Y_EN: 0
; COMPUTE_PGM_RSRC2:TGID_Z_EN: 0
; COMPUTE_PGM_RSRC2:TIDIG_COMP_CNT: 0
	.section	.text._ZN7rocprim17ROCPRIM_400000_NS6detail17trampoline_kernelINS0_14default_configENS1_38merge_sort_block_merge_config_selectorI12hip_bfloat16NS0_10empty_typeEEEZZNS1_27merge_sort_block_merge_implIS3_PS5_PS6_jNS1_19radix_merge_compareILb0ELb0ES5_NS0_19identity_decomposerEEEEE10hipError_tT0_T1_T2_jT3_P12ihipStream_tbPNSt15iterator_traitsISF_E10value_typeEPNSL_ISG_E10value_typeEPSH_NS1_7vsmem_tEENKUlT_SF_SG_SH_E_clIS9_S9_SA_SA_EESE_SU_SF_SG_SH_EUlSU_E0_NS1_11comp_targetILNS1_3genE2ELNS1_11target_archE906ELNS1_3gpuE6ELNS1_3repE0EEENS1_38merge_mergepath_config_static_selectorELNS0_4arch9wavefront6targetE0EEEvSG_,"axG",@progbits,_ZN7rocprim17ROCPRIM_400000_NS6detail17trampoline_kernelINS0_14default_configENS1_38merge_sort_block_merge_config_selectorI12hip_bfloat16NS0_10empty_typeEEEZZNS1_27merge_sort_block_merge_implIS3_PS5_PS6_jNS1_19radix_merge_compareILb0ELb0ES5_NS0_19identity_decomposerEEEEE10hipError_tT0_T1_T2_jT3_P12ihipStream_tbPNSt15iterator_traitsISF_E10value_typeEPNSL_ISG_E10value_typeEPSH_NS1_7vsmem_tEENKUlT_SF_SG_SH_E_clIS9_S9_SA_SA_EESE_SU_SF_SG_SH_EUlSU_E0_NS1_11comp_targetILNS1_3genE2ELNS1_11target_archE906ELNS1_3gpuE6ELNS1_3repE0EEENS1_38merge_mergepath_config_static_selectorELNS0_4arch9wavefront6targetE0EEEvSG_,comdat
	.protected	_ZN7rocprim17ROCPRIM_400000_NS6detail17trampoline_kernelINS0_14default_configENS1_38merge_sort_block_merge_config_selectorI12hip_bfloat16NS0_10empty_typeEEEZZNS1_27merge_sort_block_merge_implIS3_PS5_PS6_jNS1_19radix_merge_compareILb0ELb0ES5_NS0_19identity_decomposerEEEEE10hipError_tT0_T1_T2_jT3_P12ihipStream_tbPNSt15iterator_traitsISF_E10value_typeEPNSL_ISG_E10value_typeEPSH_NS1_7vsmem_tEENKUlT_SF_SG_SH_E_clIS9_S9_SA_SA_EESE_SU_SF_SG_SH_EUlSU_E0_NS1_11comp_targetILNS1_3genE2ELNS1_11target_archE906ELNS1_3gpuE6ELNS1_3repE0EEENS1_38merge_mergepath_config_static_selectorELNS0_4arch9wavefront6targetE0EEEvSG_ ; -- Begin function _ZN7rocprim17ROCPRIM_400000_NS6detail17trampoline_kernelINS0_14default_configENS1_38merge_sort_block_merge_config_selectorI12hip_bfloat16NS0_10empty_typeEEEZZNS1_27merge_sort_block_merge_implIS3_PS5_PS6_jNS1_19radix_merge_compareILb0ELb0ES5_NS0_19identity_decomposerEEEEE10hipError_tT0_T1_T2_jT3_P12ihipStream_tbPNSt15iterator_traitsISF_E10value_typeEPNSL_ISG_E10value_typeEPSH_NS1_7vsmem_tEENKUlT_SF_SG_SH_E_clIS9_S9_SA_SA_EESE_SU_SF_SG_SH_EUlSU_E0_NS1_11comp_targetILNS1_3genE2ELNS1_11target_archE906ELNS1_3gpuE6ELNS1_3repE0EEENS1_38merge_mergepath_config_static_selectorELNS0_4arch9wavefront6targetE0EEEvSG_
	.globl	_ZN7rocprim17ROCPRIM_400000_NS6detail17trampoline_kernelINS0_14default_configENS1_38merge_sort_block_merge_config_selectorI12hip_bfloat16NS0_10empty_typeEEEZZNS1_27merge_sort_block_merge_implIS3_PS5_PS6_jNS1_19radix_merge_compareILb0ELb0ES5_NS0_19identity_decomposerEEEEE10hipError_tT0_T1_T2_jT3_P12ihipStream_tbPNSt15iterator_traitsISF_E10value_typeEPNSL_ISG_E10value_typeEPSH_NS1_7vsmem_tEENKUlT_SF_SG_SH_E_clIS9_S9_SA_SA_EESE_SU_SF_SG_SH_EUlSU_E0_NS1_11comp_targetILNS1_3genE2ELNS1_11target_archE906ELNS1_3gpuE6ELNS1_3repE0EEENS1_38merge_mergepath_config_static_selectorELNS0_4arch9wavefront6targetE0EEEvSG_
	.p2align	8
	.type	_ZN7rocprim17ROCPRIM_400000_NS6detail17trampoline_kernelINS0_14default_configENS1_38merge_sort_block_merge_config_selectorI12hip_bfloat16NS0_10empty_typeEEEZZNS1_27merge_sort_block_merge_implIS3_PS5_PS6_jNS1_19radix_merge_compareILb0ELb0ES5_NS0_19identity_decomposerEEEEE10hipError_tT0_T1_T2_jT3_P12ihipStream_tbPNSt15iterator_traitsISF_E10value_typeEPNSL_ISG_E10value_typeEPSH_NS1_7vsmem_tEENKUlT_SF_SG_SH_E_clIS9_S9_SA_SA_EESE_SU_SF_SG_SH_EUlSU_E0_NS1_11comp_targetILNS1_3genE2ELNS1_11target_archE906ELNS1_3gpuE6ELNS1_3repE0EEENS1_38merge_mergepath_config_static_selectorELNS0_4arch9wavefront6targetE0EEEvSG_,@function
_ZN7rocprim17ROCPRIM_400000_NS6detail17trampoline_kernelINS0_14default_configENS1_38merge_sort_block_merge_config_selectorI12hip_bfloat16NS0_10empty_typeEEEZZNS1_27merge_sort_block_merge_implIS3_PS5_PS6_jNS1_19radix_merge_compareILb0ELb0ES5_NS0_19identity_decomposerEEEEE10hipError_tT0_T1_T2_jT3_P12ihipStream_tbPNSt15iterator_traitsISF_E10value_typeEPNSL_ISG_E10value_typeEPSH_NS1_7vsmem_tEENKUlT_SF_SG_SH_E_clIS9_S9_SA_SA_EESE_SU_SF_SG_SH_EUlSU_E0_NS1_11comp_targetILNS1_3genE2ELNS1_11target_archE906ELNS1_3gpuE6ELNS1_3repE0EEENS1_38merge_mergepath_config_static_selectorELNS0_4arch9wavefront6targetE0EEEvSG_: ; @_ZN7rocprim17ROCPRIM_400000_NS6detail17trampoline_kernelINS0_14default_configENS1_38merge_sort_block_merge_config_selectorI12hip_bfloat16NS0_10empty_typeEEEZZNS1_27merge_sort_block_merge_implIS3_PS5_PS6_jNS1_19radix_merge_compareILb0ELb0ES5_NS0_19identity_decomposerEEEEE10hipError_tT0_T1_T2_jT3_P12ihipStream_tbPNSt15iterator_traitsISF_E10value_typeEPNSL_ISG_E10value_typeEPSH_NS1_7vsmem_tEENKUlT_SF_SG_SH_E_clIS9_S9_SA_SA_EESE_SU_SF_SG_SH_EUlSU_E0_NS1_11comp_targetILNS1_3genE2ELNS1_11target_archE906ELNS1_3gpuE6ELNS1_3repE0EEENS1_38merge_mergepath_config_static_selectorELNS0_4arch9wavefront6targetE0EEEvSG_
; %bb.0:
	.section	.rodata,"a",@progbits
	.p2align	6, 0x0
	.amdhsa_kernel _ZN7rocprim17ROCPRIM_400000_NS6detail17trampoline_kernelINS0_14default_configENS1_38merge_sort_block_merge_config_selectorI12hip_bfloat16NS0_10empty_typeEEEZZNS1_27merge_sort_block_merge_implIS3_PS5_PS6_jNS1_19radix_merge_compareILb0ELb0ES5_NS0_19identity_decomposerEEEEE10hipError_tT0_T1_T2_jT3_P12ihipStream_tbPNSt15iterator_traitsISF_E10value_typeEPNSL_ISG_E10value_typeEPSH_NS1_7vsmem_tEENKUlT_SF_SG_SH_E_clIS9_S9_SA_SA_EESE_SU_SF_SG_SH_EUlSU_E0_NS1_11comp_targetILNS1_3genE2ELNS1_11target_archE906ELNS1_3gpuE6ELNS1_3repE0EEENS1_38merge_mergepath_config_static_selectorELNS0_4arch9wavefront6targetE0EEEvSG_
		.amdhsa_group_segment_fixed_size 0
		.amdhsa_private_segment_fixed_size 0
		.amdhsa_kernarg_size 64
		.amdhsa_user_sgpr_count 2
		.amdhsa_user_sgpr_dispatch_ptr 0
		.amdhsa_user_sgpr_queue_ptr 0
		.amdhsa_user_sgpr_kernarg_segment_ptr 1
		.amdhsa_user_sgpr_dispatch_id 0
		.amdhsa_user_sgpr_kernarg_preload_length 0
		.amdhsa_user_sgpr_kernarg_preload_offset 0
		.amdhsa_user_sgpr_private_segment_size 0
		.amdhsa_wavefront_size32 1
		.amdhsa_uses_dynamic_stack 0
		.amdhsa_enable_private_segment 0
		.amdhsa_system_sgpr_workgroup_id_x 1
		.amdhsa_system_sgpr_workgroup_id_y 0
		.amdhsa_system_sgpr_workgroup_id_z 0
		.amdhsa_system_sgpr_workgroup_info 0
		.amdhsa_system_vgpr_workitem_id 0
		.amdhsa_next_free_vgpr 1
		.amdhsa_next_free_sgpr 1
		.amdhsa_named_barrier_count 0
		.amdhsa_reserve_vcc 0
		.amdhsa_float_round_mode_32 0
		.amdhsa_float_round_mode_16_64 0
		.amdhsa_float_denorm_mode_32 3
		.amdhsa_float_denorm_mode_16_64 3
		.amdhsa_fp16_overflow 0
		.amdhsa_memory_ordered 1
		.amdhsa_forward_progress 1
		.amdhsa_inst_pref_size 0
		.amdhsa_round_robin_scheduling 0
		.amdhsa_exception_fp_ieee_invalid_op 0
		.amdhsa_exception_fp_denorm_src 0
		.amdhsa_exception_fp_ieee_div_zero 0
		.amdhsa_exception_fp_ieee_overflow 0
		.amdhsa_exception_fp_ieee_underflow 0
		.amdhsa_exception_fp_ieee_inexact 0
		.amdhsa_exception_int_div_zero 0
	.end_amdhsa_kernel
	.section	.text._ZN7rocprim17ROCPRIM_400000_NS6detail17trampoline_kernelINS0_14default_configENS1_38merge_sort_block_merge_config_selectorI12hip_bfloat16NS0_10empty_typeEEEZZNS1_27merge_sort_block_merge_implIS3_PS5_PS6_jNS1_19radix_merge_compareILb0ELb0ES5_NS0_19identity_decomposerEEEEE10hipError_tT0_T1_T2_jT3_P12ihipStream_tbPNSt15iterator_traitsISF_E10value_typeEPNSL_ISG_E10value_typeEPSH_NS1_7vsmem_tEENKUlT_SF_SG_SH_E_clIS9_S9_SA_SA_EESE_SU_SF_SG_SH_EUlSU_E0_NS1_11comp_targetILNS1_3genE2ELNS1_11target_archE906ELNS1_3gpuE6ELNS1_3repE0EEENS1_38merge_mergepath_config_static_selectorELNS0_4arch9wavefront6targetE0EEEvSG_,"axG",@progbits,_ZN7rocprim17ROCPRIM_400000_NS6detail17trampoline_kernelINS0_14default_configENS1_38merge_sort_block_merge_config_selectorI12hip_bfloat16NS0_10empty_typeEEEZZNS1_27merge_sort_block_merge_implIS3_PS5_PS6_jNS1_19radix_merge_compareILb0ELb0ES5_NS0_19identity_decomposerEEEEE10hipError_tT0_T1_T2_jT3_P12ihipStream_tbPNSt15iterator_traitsISF_E10value_typeEPNSL_ISG_E10value_typeEPSH_NS1_7vsmem_tEENKUlT_SF_SG_SH_E_clIS9_S9_SA_SA_EESE_SU_SF_SG_SH_EUlSU_E0_NS1_11comp_targetILNS1_3genE2ELNS1_11target_archE906ELNS1_3gpuE6ELNS1_3repE0EEENS1_38merge_mergepath_config_static_selectorELNS0_4arch9wavefront6targetE0EEEvSG_,comdat
.Lfunc_end2022:
	.size	_ZN7rocprim17ROCPRIM_400000_NS6detail17trampoline_kernelINS0_14default_configENS1_38merge_sort_block_merge_config_selectorI12hip_bfloat16NS0_10empty_typeEEEZZNS1_27merge_sort_block_merge_implIS3_PS5_PS6_jNS1_19radix_merge_compareILb0ELb0ES5_NS0_19identity_decomposerEEEEE10hipError_tT0_T1_T2_jT3_P12ihipStream_tbPNSt15iterator_traitsISF_E10value_typeEPNSL_ISG_E10value_typeEPSH_NS1_7vsmem_tEENKUlT_SF_SG_SH_E_clIS9_S9_SA_SA_EESE_SU_SF_SG_SH_EUlSU_E0_NS1_11comp_targetILNS1_3genE2ELNS1_11target_archE906ELNS1_3gpuE6ELNS1_3repE0EEENS1_38merge_mergepath_config_static_selectorELNS0_4arch9wavefront6targetE0EEEvSG_, .Lfunc_end2022-_ZN7rocprim17ROCPRIM_400000_NS6detail17trampoline_kernelINS0_14default_configENS1_38merge_sort_block_merge_config_selectorI12hip_bfloat16NS0_10empty_typeEEEZZNS1_27merge_sort_block_merge_implIS3_PS5_PS6_jNS1_19radix_merge_compareILb0ELb0ES5_NS0_19identity_decomposerEEEEE10hipError_tT0_T1_T2_jT3_P12ihipStream_tbPNSt15iterator_traitsISF_E10value_typeEPNSL_ISG_E10value_typeEPSH_NS1_7vsmem_tEENKUlT_SF_SG_SH_E_clIS9_S9_SA_SA_EESE_SU_SF_SG_SH_EUlSU_E0_NS1_11comp_targetILNS1_3genE2ELNS1_11target_archE906ELNS1_3gpuE6ELNS1_3repE0EEENS1_38merge_mergepath_config_static_selectorELNS0_4arch9wavefront6targetE0EEEvSG_
                                        ; -- End function
	.set _ZN7rocprim17ROCPRIM_400000_NS6detail17trampoline_kernelINS0_14default_configENS1_38merge_sort_block_merge_config_selectorI12hip_bfloat16NS0_10empty_typeEEEZZNS1_27merge_sort_block_merge_implIS3_PS5_PS6_jNS1_19radix_merge_compareILb0ELb0ES5_NS0_19identity_decomposerEEEEE10hipError_tT0_T1_T2_jT3_P12ihipStream_tbPNSt15iterator_traitsISF_E10value_typeEPNSL_ISG_E10value_typeEPSH_NS1_7vsmem_tEENKUlT_SF_SG_SH_E_clIS9_S9_SA_SA_EESE_SU_SF_SG_SH_EUlSU_E0_NS1_11comp_targetILNS1_3genE2ELNS1_11target_archE906ELNS1_3gpuE6ELNS1_3repE0EEENS1_38merge_mergepath_config_static_selectorELNS0_4arch9wavefront6targetE0EEEvSG_.num_vgpr, 0
	.set _ZN7rocprim17ROCPRIM_400000_NS6detail17trampoline_kernelINS0_14default_configENS1_38merge_sort_block_merge_config_selectorI12hip_bfloat16NS0_10empty_typeEEEZZNS1_27merge_sort_block_merge_implIS3_PS5_PS6_jNS1_19radix_merge_compareILb0ELb0ES5_NS0_19identity_decomposerEEEEE10hipError_tT0_T1_T2_jT3_P12ihipStream_tbPNSt15iterator_traitsISF_E10value_typeEPNSL_ISG_E10value_typeEPSH_NS1_7vsmem_tEENKUlT_SF_SG_SH_E_clIS9_S9_SA_SA_EESE_SU_SF_SG_SH_EUlSU_E0_NS1_11comp_targetILNS1_3genE2ELNS1_11target_archE906ELNS1_3gpuE6ELNS1_3repE0EEENS1_38merge_mergepath_config_static_selectorELNS0_4arch9wavefront6targetE0EEEvSG_.num_agpr, 0
	.set _ZN7rocprim17ROCPRIM_400000_NS6detail17trampoline_kernelINS0_14default_configENS1_38merge_sort_block_merge_config_selectorI12hip_bfloat16NS0_10empty_typeEEEZZNS1_27merge_sort_block_merge_implIS3_PS5_PS6_jNS1_19radix_merge_compareILb0ELb0ES5_NS0_19identity_decomposerEEEEE10hipError_tT0_T1_T2_jT3_P12ihipStream_tbPNSt15iterator_traitsISF_E10value_typeEPNSL_ISG_E10value_typeEPSH_NS1_7vsmem_tEENKUlT_SF_SG_SH_E_clIS9_S9_SA_SA_EESE_SU_SF_SG_SH_EUlSU_E0_NS1_11comp_targetILNS1_3genE2ELNS1_11target_archE906ELNS1_3gpuE6ELNS1_3repE0EEENS1_38merge_mergepath_config_static_selectorELNS0_4arch9wavefront6targetE0EEEvSG_.numbered_sgpr, 0
	.set _ZN7rocprim17ROCPRIM_400000_NS6detail17trampoline_kernelINS0_14default_configENS1_38merge_sort_block_merge_config_selectorI12hip_bfloat16NS0_10empty_typeEEEZZNS1_27merge_sort_block_merge_implIS3_PS5_PS6_jNS1_19radix_merge_compareILb0ELb0ES5_NS0_19identity_decomposerEEEEE10hipError_tT0_T1_T2_jT3_P12ihipStream_tbPNSt15iterator_traitsISF_E10value_typeEPNSL_ISG_E10value_typeEPSH_NS1_7vsmem_tEENKUlT_SF_SG_SH_E_clIS9_S9_SA_SA_EESE_SU_SF_SG_SH_EUlSU_E0_NS1_11comp_targetILNS1_3genE2ELNS1_11target_archE906ELNS1_3gpuE6ELNS1_3repE0EEENS1_38merge_mergepath_config_static_selectorELNS0_4arch9wavefront6targetE0EEEvSG_.num_named_barrier, 0
	.set _ZN7rocprim17ROCPRIM_400000_NS6detail17trampoline_kernelINS0_14default_configENS1_38merge_sort_block_merge_config_selectorI12hip_bfloat16NS0_10empty_typeEEEZZNS1_27merge_sort_block_merge_implIS3_PS5_PS6_jNS1_19radix_merge_compareILb0ELb0ES5_NS0_19identity_decomposerEEEEE10hipError_tT0_T1_T2_jT3_P12ihipStream_tbPNSt15iterator_traitsISF_E10value_typeEPNSL_ISG_E10value_typeEPSH_NS1_7vsmem_tEENKUlT_SF_SG_SH_E_clIS9_S9_SA_SA_EESE_SU_SF_SG_SH_EUlSU_E0_NS1_11comp_targetILNS1_3genE2ELNS1_11target_archE906ELNS1_3gpuE6ELNS1_3repE0EEENS1_38merge_mergepath_config_static_selectorELNS0_4arch9wavefront6targetE0EEEvSG_.private_seg_size, 0
	.set _ZN7rocprim17ROCPRIM_400000_NS6detail17trampoline_kernelINS0_14default_configENS1_38merge_sort_block_merge_config_selectorI12hip_bfloat16NS0_10empty_typeEEEZZNS1_27merge_sort_block_merge_implIS3_PS5_PS6_jNS1_19radix_merge_compareILb0ELb0ES5_NS0_19identity_decomposerEEEEE10hipError_tT0_T1_T2_jT3_P12ihipStream_tbPNSt15iterator_traitsISF_E10value_typeEPNSL_ISG_E10value_typeEPSH_NS1_7vsmem_tEENKUlT_SF_SG_SH_E_clIS9_S9_SA_SA_EESE_SU_SF_SG_SH_EUlSU_E0_NS1_11comp_targetILNS1_3genE2ELNS1_11target_archE906ELNS1_3gpuE6ELNS1_3repE0EEENS1_38merge_mergepath_config_static_selectorELNS0_4arch9wavefront6targetE0EEEvSG_.uses_vcc, 0
	.set _ZN7rocprim17ROCPRIM_400000_NS6detail17trampoline_kernelINS0_14default_configENS1_38merge_sort_block_merge_config_selectorI12hip_bfloat16NS0_10empty_typeEEEZZNS1_27merge_sort_block_merge_implIS3_PS5_PS6_jNS1_19radix_merge_compareILb0ELb0ES5_NS0_19identity_decomposerEEEEE10hipError_tT0_T1_T2_jT3_P12ihipStream_tbPNSt15iterator_traitsISF_E10value_typeEPNSL_ISG_E10value_typeEPSH_NS1_7vsmem_tEENKUlT_SF_SG_SH_E_clIS9_S9_SA_SA_EESE_SU_SF_SG_SH_EUlSU_E0_NS1_11comp_targetILNS1_3genE2ELNS1_11target_archE906ELNS1_3gpuE6ELNS1_3repE0EEENS1_38merge_mergepath_config_static_selectorELNS0_4arch9wavefront6targetE0EEEvSG_.uses_flat_scratch, 0
	.set _ZN7rocprim17ROCPRIM_400000_NS6detail17trampoline_kernelINS0_14default_configENS1_38merge_sort_block_merge_config_selectorI12hip_bfloat16NS0_10empty_typeEEEZZNS1_27merge_sort_block_merge_implIS3_PS5_PS6_jNS1_19radix_merge_compareILb0ELb0ES5_NS0_19identity_decomposerEEEEE10hipError_tT0_T1_T2_jT3_P12ihipStream_tbPNSt15iterator_traitsISF_E10value_typeEPNSL_ISG_E10value_typeEPSH_NS1_7vsmem_tEENKUlT_SF_SG_SH_E_clIS9_S9_SA_SA_EESE_SU_SF_SG_SH_EUlSU_E0_NS1_11comp_targetILNS1_3genE2ELNS1_11target_archE906ELNS1_3gpuE6ELNS1_3repE0EEENS1_38merge_mergepath_config_static_selectorELNS0_4arch9wavefront6targetE0EEEvSG_.has_dyn_sized_stack, 0
	.set _ZN7rocprim17ROCPRIM_400000_NS6detail17trampoline_kernelINS0_14default_configENS1_38merge_sort_block_merge_config_selectorI12hip_bfloat16NS0_10empty_typeEEEZZNS1_27merge_sort_block_merge_implIS3_PS5_PS6_jNS1_19radix_merge_compareILb0ELb0ES5_NS0_19identity_decomposerEEEEE10hipError_tT0_T1_T2_jT3_P12ihipStream_tbPNSt15iterator_traitsISF_E10value_typeEPNSL_ISG_E10value_typeEPSH_NS1_7vsmem_tEENKUlT_SF_SG_SH_E_clIS9_S9_SA_SA_EESE_SU_SF_SG_SH_EUlSU_E0_NS1_11comp_targetILNS1_3genE2ELNS1_11target_archE906ELNS1_3gpuE6ELNS1_3repE0EEENS1_38merge_mergepath_config_static_selectorELNS0_4arch9wavefront6targetE0EEEvSG_.has_recursion, 0
	.set _ZN7rocprim17ROCPRIM_400000_NS6detail17trampoline_kernelINS0_14default_configENS1_38merge_sort_block_merge_config_selectorI12hip_bfloat16NS0_10empty_typeEEEZZNS1_27merge_sort_block_merge_implIS3_PS5_PS6_jNS1_19radix_merge_compareILb0ELb0ES5_NS0_19identity_decomposerEEEEE10hipError_tT0_T1_T2_jT3_P12ihipStream_tbPNSt15iterator_traitsISF_E10value_typeEPNSL_ISG_E10value_typeEPSH_NS1_7vsmem_tEENKUlT_SF_SG_SH_E_clIS9_S9_SA_SA_EESE_SU_SF_SG_SH_EUlSU_E0_NS1_11comp_targetILNS1_3genE2ELNS1_11target_archE906ELNS1_3gpuE6ELNS1_3repE0EEENS1_38merge_mergepath_config_static_selectorELNS0_4arch9wavefront6targetE0EEEvSG_.has_indirect_call, 0
	.section	.AMDGPU.csdata,"",@progbits
; Kernel info:
; codeLenInByte = 0
; TotalNumSgprs: 0
; NumVgprs: 0
; ScratchSize: 0
; MemoryBound: 0
; FloatMode: 240
; IeeeMode: 1
; LDSByteSize: 0 bytes/workgroup (compile time only)
; SGPRBlocks: 0
; VGPRBlocks: 0
; NumSGPRsForWavesPerEU: 1
; NumVGPRsForWavesPerEU: 1
; NamedBarCnt: 0
; Occupancy: 16
; WaveLimiterHint : 0
; COMPUTE_PGM_RSRC2:SCRATCH_EN: 0
; COMPUTE_PGM_RSRC2:USER_SGPR: 2
; COMPUTE_PGM_RSRC2:TRAP_HANDLER: 0
; COMPUTE_PGM_RSRC2:TGID_X_EN: 1
; COMPUTE_PGM_RSRC2:TGID_Y_EN: 0
; COMPUTE_PGM_RSRC2:TGID_Z_EN: 0
; COMPUTE_PGM_RSRC2:TIDIG_COMP_CNT: 0
	.section	.text._ZN7rocprim17ROCPRIM_400000_NS6detail17trampoline_kernelINS0_14default_configENS1_38merge_sort_block_merge_config_selectorI12hip_bfloat16NS0_10empty_typeEEEZZNS1_27merge_sort_block_merge_implIS3_PS5_PS6_jNS1_19radix_merge_compareILb0ELb0ES5_NS0_19identity_decomposerEEEEE10hipError_tT0_T1_T2_jT3_P12ihipStream_tbPNSt15iterator_traitsISF_E10value_typeEPNSL_ISG_E10value_typeEPSH_NS1_7vsmem_tEENKUlT_SF_SG_SH_E_clIS9_S9_SA_SA_EESE_SU_SF_SG_SH_EUlSU_E0_NS1_11comp_targetILNS1_3genE9ELNS1_11target_archE1100ELNS1_3gpuE3ELNS1_3repE0EEENS1_38merge_mergepath_config_static_selectorELNS0_4arch9wavefront6targetE0EEEvSG_,"axG",@progbits,_ZN7rocprim17ROCPRIM_400000_NS6detail17trampoline_kernelINS0_14default_configENS1_38merge_sort_block_merge_config_selectorI12hip_bfloat16NS0_10empty_typeEEEZZNS1_27merge_sort_block_merge_implIS3_PS5_PS6_jNS1_19radix_merge_compareILb0ELb0ES5_NS0_19identity_decomposerEEEEE10hipError_tT0_T1_T2_jT3_P12ihipStream_tbPNSt15iterator_traitsISF_E10value_typeEPNSL_ISG_E10value_typeEPSH_NS1_7vsmem_tEENKUlT_SF_SG_SH_E_clIS9_S9_SA_SA_EESE_SU_SF_SG_SH_EUlSU_E0_NS1_11comp_targetILNS1_3genE9ELNS1_11target_archE1100ELNS1_3gpuE3ELNS1_3repE0EEENS1_38merge_mergepath_config_static_selectorELNS0_4arch9wavefront6targetE0EEEvSG_,comdat
	.protected	_ZN7rocprim17ROCPRIM_400000_NS6detail17trampoline_kernelINS0_14default_configENS1_38merge_sort_block_merge_config_selectorI12hip_bfloat16NS0_10empty_typeEEEZZNS1_27merge_sort_block_merge_implIS3_PS5_PS6_jNS1_19radix_merge_compareILb0ELb0ES5_NS0_19identity_decomposerEEEEE10hipError_tT0_T1_T2_jT3_P12ihipStream_tbPNSt15iterator_traitsISF_E10value_typeEPNSL_ISG_E10value_typeEPSH_NS1_7vsmem_tEENKUlT_SF_SG_SH_E_clIS9_S9_SA_SA_EESE_SU_SF_SG_SH_EUlSU_E0_NS1_11comp_targetILNS1_3genE9ELNS1_11target_archE1100ELNS1_3gpuE3ELNS1_3repE0EEENS1_38merge_mergepath_config_static_selectorELNS0_4arch9wavefront6targetE0EEEvSG_ ; -- Begin function _ZN7rocprim17ROCPRIM_400000_NS6detail17trampoline_kernelINS0_14default_configENS1_38merge_sort_block_merge_config_selectorI12hip_bfloat16NS0_10empty_typeEEEZZNS1_27merge_sort_block_merge_implIS3_PS5_PS6_jNS1_19radix_merge_compareILb0ELb0ES5_NS0_19identity_decomposerEEEEE10hipError_tT0_T1_T2_jT3_P12ihipStream_tbPNSt15iterator_traitsISF_E10value_typeEPNSL_ISG_E10value_typeEPSH_NS1_7vsmem_tEENKUlT_SF_SG_SH_E_clIS9_S9_SA_SA_EESE_SU_SF_SG_SH_EUlSU_E0_NS1_11comp_targetILNS1_3genE9ELNS1_11target_archE1100ELNS1_3gpuE3ELNS1_3repE0EEENS1_38merge_mergepath_config_static_selectorELNS0_4arch9wavefront6targetE0EEEvSG_
	.globl	_ZN7rocprim17ROCPRIM_400000_NS6detail17trampoline_kernelINS0_14default_configENS1_38merge_sort_block_merge_config_selectorI12hip_bfloat16NS0_10empty_typeEEEZZNS1_27merge_sort_block_merge_implIS3_PS5_PS6_jNS1_19radix_merge_compareILb0ELb0ES5_NS0_19identity_decomposerEEEEE10hipError_tT0_T1_T2_jT3_P12ihipStream_tbPNSt15iterator_traitsISF_E10value_typeEPNSL_ISG_E10value_typeEPSH_NS1_7vsmem_tEENKUlT_SF_SG_SH_E_clIS9_S9_SA_SA_EESE_SU_SF_SG_SH_EUlSU_E0_NS1_11comp_targetILNS1_3genE9ELNS1_11target_archE1100ELNS1_3gpuE3ELNS1_3repE0EEENS1_38merge_mergepath_config_static_selectorELNS0_4arch9wavefront6targetE0EEEvSG_
	.p2align	8
	.type	_ZN7rocprim17ROCPRIM_400000_NS6detail17trampoline_kernelINS0_14default_configENS1_38merge_sort_block_merge_config_selectorI12hip_bfloat16NS0_10empty_typeEEEZZNS1_27merge_sort_block_merge_implIS3_PS5_PS6_jNS1_19radix_merge_compareILb0ELb0ES5_NS0_19identity_decomposerEEEEE10hipError_tT0_T1_T2_jT3_P12ihipStream_tbPNSt15iterator_traitsISF_E10value_typeEPNSL_ISG_E10value_typeEPSH_NS1_7vsmem_tEENKUlT_SF_SG_SH_E_clIS9_S9_SA_SA_EESE_SU_SF_SG_SH_EUlSU_E0_NS1_11comp_targetILNS1_3genE9ELNS1_11target_archE1100ELNS1_3gpuE3ELNS1_3repE0EEENS1_38merge_mergepath_config_static_selectorELNS0_4arch9wavefront6targetE0EEEvSG_,@function
_ZN7rocprim17ROCPRIM_400000_NS6detail17trampoline_kernelINS0_14default_configENS1_38merge_sort_block_merge_config_selectorI12hip_bfloat16NS0_10empty_typeEEEZZNS1_27merge_sort_block_merge_implIS3_PS5_PS6_jNS1_19radix_merge_compareILb0ELb0ES5_NS0_19identity_decomposerEEEEE10hipError_tT0_T1_T2_jT3_P12ihipStream_tbPNSt15iterator_traitsISF_E10value_typeEPNSL_ISG_E10value_typeEPSH_NS1_7vsmem_tEENKUlT_SF_SG_SH_E_clIS9_S9_SA_SA_EESE_SU_SF_SG_SH_EUlSU_E0_NS1_11comp_targetILNS1_3genE9ELNS1_11target_archE1100ELNS1_3gpuE3ELNS1_3repE0EEENS1_38merge_mergepath_config_static_selectorELNS0_4arch9wavefront6targetE0EEEvSG_: ; @_ZN7rocprim17ROCPRIM_400000_NS6detail17trampoline_kernelINS0_14default_configENS1_38merge_sort_block_merge_config_selectorI12hip_bfloat16NS0_10empty_typeEEEZZNS1_27merge_sort_block_merge_implIS3_PS5_PS6_jNS1_19radix_merge_compareILb0ELb0ES5_NS0_19identity_decomposerEEEEE10hipError_tT0_T1_T2_jT3_P12ihipStream_tbPNSt15iterator_traitsISF_E10value_typeEPNSL_ISG_E10value_typeEPSH_NS1_7vsmem_tEENKUlT_SF_SG_SH_E_clIS9_S9_SA_SA_EESE_SU_SF_SG_SH_EUlSU_E0_NS1_11comp_targetILNS1_3genE9ELNS1_11target_archE1100ELNS1_3gpuE3ELNS1_3repE0EEENS1_38merge_mergepath_config_static_selectorELNS0_4arch9wavefront6targetE0EEEvSG_
; %bb.0:
	.section	.rodata,"a",@progbits
	.p2align	6, 0x0
	.amdhsa_kernel _ZN7rocprim17ROCPRIM_400000_NS6detail17trampoline_kernelINS0_14default_configENS1_38merge_sort_block_merge_config_selectorI12hip_bfloat16NS0_10empty_typeEEEZZNS1_27merge_sort_block_merge_implIS3_PS5_PS6_jNS1_19radix_merge_compareILb0ELb0ES5_NS0_19identity_decomposerEEEEE10hipError_tT0_T1_T2_jT3_P12ihipStream_tbPNSt15iterator_traitsISF_E10value_typeEPNSL_ISG_E10value_typeEPSH_NS1_7vsmem_tEENKUlT_SF_SG_SH_E_clIS9_S9_SA_SA_EESE_SU_SF_SG_SH_EUlSU_E0_NS1_11comp_targetILNS1_3genE9ELNS1_11target_archE1100ELNS1_3gpuE3ELNS1_3repE0EEENS1_38merge_mergepath_config_static_selectorELNS0_4arch9wavefront6targetE0EEEvSG_
		.amdhsa_group_segment_fixed_size 0
		.amdhsa_private_segment_fixed_size 0
		.amdhsa_kernarg_size 64
		.amdhsa_user_sgpr_count 2
		.amdhsa_user_sgpr_dispatch_ptr 0
		.amdhsa_user_sgpr_queue_ptr 0
		.amdhsa_user_sgpr_kernarg_segment_ptr 1
		.amdhsa_user_sgpr_dispatch_id 0
		.amdhsa_user_sgpr_kernarg_preload_length 0
		.amdhsa_user_sgpr_kernarg_preload_offset 0
		.amdhsa_user_sgpr_private_segment_size 0
		.amdhsa_wavefront_size32 1
		.amdhsa_uses_dynamic_stack 0
		.amdhsa_enable_private_segment 0
		.amdhsa_system_sgpr_workgroup_id_x 1
		.amdhsa_system_sgpr_workgroup_id_y 0
		.amdhsa_system_sgpr_workgroup_id_z 0
		.amdhsa_system_sgpr_workgroup_info 0
		.amdhsa_system_vgpr_workitem_id 0
		.amdhsa_next_free_vgpr 1
		.amdhsa_next_free_sgpr 1
		.amdhsa_named_barrier_count 0
		.amdhsa_reserve_vcc 0
		.amdhsa_float_round_mode_32 0
		.amdhsa_float_round_mode_16_64 0
		.amdhsa_float_denorm_mode_32 3
		.amdhsa_float_denorm_mode_16_64 3
		.amdhsa_fp16_overflow 0
		.amdhsa_memory_ordered 1
		.amdhsa_forward_progress 1
		.amdhsa_inst_pref_size 0
		.amdhsa_round_robin_scheduling 0
		.amdhsa_exception_fp_ieee_invalid_op 0
		.amdhsa_exception_fp_denorm_src 0
		.amdhsa_exception_fp_ieee_div_zero 0
		.amdhsa_exception_fp_ieee_overflow 0
		.amdhsa_exception_fp_ieee_underflow 0
		.amdhsa_exception_fp_ieee_inexact 0
		.amdhsa_exception_int_div_zero 0
	.end_amdhsa_kernel
	.section	.text._ZN7rocprim17ROCPRIM_400000_NS6detail17trampoline_kernelINS0_14default_configENS1_38merge_sort_block_merge_config_selectorI12hip_bfloat16NS0_10empty_typeEEEZZNS1_27merge_sort_block_merge_implIS3_PS5_PS6_jNS1_19radix_merge_compareILb0ELb0ES5_NS0_19identity_decomposerEEEEE10hipError_tT0_T1_T2_jT3_P12ihipStream_tbPNSt15iterator_traitsISF_E10value_typeEPNSL_ISG_E10value_typeEPSH_NS1_7vsmem_tEENKUlT_SF_SG_SH_E_clIS9_S9_SA_SA_EESE_SU_SF_SG_SH_EUlSU_E0_NS1_11comp_targetILNS1_3genE9ELNS1_11target_archE1100ELNS1_3gpuE3ELNS1_3repE0EEENS1_38merge_mergepath_config_static_selectorELNS0_4arch9wavefront6targetE0EEEvSG_,"axG",@progbits,_ZN7rocprim17ROCPRIM_400000_NS6detail17trampoline_kernelINS0_14default_configENS1_38merge_sort_block_merge_config_selectorI12hip_bfloat16NS0_10empty_typeEEEZZNS1_27merge_sort_block_merge_implIS3_PS5_PS6_jNS1_19radix_merge_compareILb0ELb0ES5_NS0_19identity_decomposerEEEEE10hipError_tT0_T1_T2_jT3_P12ihipStream_tbPNSt15iterator_traitsISF_E10value_typeEPNSL_ISG_E10value_typeEPSH_NS1_7vsmem_tEENKUlT_SF_SG_SH_E_clIS9_S9_SA_SA_EESE_SU_SF_SG_SH_EUlSU_E0_NS1_11comp_targetILNS1_3genE9ELNS1_11target_archE1100ELNS1_3gpuE3ELNS1_3repE0EEENS1_38merge_mergepath_config_static_selectorELNS0_4arch9wavefront6targetE0EEEvSG_,comdat
.Lfunc_end2023:
	.size	_ZN7rocprim17ROCPRIM_400000_NS6detail17trampoline_kernelINS0_14default_configENS1_38merge_sort_block_merge_config_selectorI12hip_bfloat16NS0_10empty_typeEEEZZNS1_27merge_sort_block_merge_implIS3_PS5_PS6_jNS1_19radix_merge_compareILb0ELb0ES5_NS0_19identity_decomposerEEEEE10hipError_tT0_T1_T2_jT3_P12ihipStream_tbPNSt15iterator_traitsISF_E10value_typeEPNSL_ISG_E10value_typeEPSH_NS1_7vsmem_tEENKUlT_SF_SG_SH_E_clIS9_S9_SA_SA_EESE_SU_SF_SG_SH_EUlSU_E0_NS1_11comp_targetILNS1_3genE9ELNS1_11target_archE1100ELNS1_3gpuE3ELNS1_3repE0EEENS1_38merge_mergepath_config_static_selectorELNS0_4arch9wavefront6targetE0EEEvSG_, .Lfunc_end2023-_ZN7rocprim17ROCPRIM_400000_NS6detail17trampoline_kernelINS0_14default_configENS1_38merge_sort_block_merge_config_selectorI12hip_bfloat16NS0_10empty_typeEEEZZNS1_27merge_sort_block_merge_implIS3_PS5_PS6_jNS1_19radix_merge_compareILb0ELb0ES5_NS0_19identity_decomposerEEEEE10hipError_tT0_T1_T2_jT3_P12ihipStream_tbPNSt15iterator_traitsISF_E10value_typeEPNSL_ISG_E10value_typeEPSH_NS1_7vsmem_tEENKUlT_SF_SG_SH_E_clIS9_S9_SA_SA_EESE_SU_SF_SG_SH_EUlSU_E0_NS1_11comp_targetILNS1_3genE9ELNS1_11target_archE1100ELNS1_3gpuE3ELNS1_3repE0EEENS1_38merge_mergepath_config_static_selectorELNS0_4arch9wavefront6targetE0EEEvSG_
                                        ; -- End function
	.set _ZN7rocprim17ROCPRIM_400000_NS6detail17trampoline_kernelINS0_14default_configENS1_38merge_sort_block_merge_config_selectorI12hip_bfloat16NS0_10empty_typeEEEZZNS1_27merge_sort_block_merge_implIS3_PS5_PS6_jNS1_19radix_merge_compareILb0ELb0ES5_NS0_19identity_decomposerEEEEE10hipError_tT0_T1_T2_jT3_P12ihipStream_tbPNSt15iterator_traitsISF_E10value_typeEPNSL_ISG_E10value_typeEPSH_NS1_7vsmem_tEENKUlT_SF_SG_SH_E_clIS9_S9_SA_SA_EESE_SU_SF_SG_SH_EUlSU_E0_NS1_11comp_targetILNS1_3genE9ELNS1_11target_archE1100ELNS1_3gpuE3ELNS1_3repE0EEENS1_38merge_mergepath_config_static_selectorELNS0_4arch9wavefront6targetE0EEEvSG_.num_vgpr, 0
	.set _ZN7rocprim17ROCPRIM_400000_NS6detail17trampoline_kernelINS0_14default_configENS1_38merge_sort_block_merge_config_selectorI12hip_bfloat16NS0_10empty_typeEEEZZNS1_27merge_sort_block_merge_implIS3_PS5_PS6_jNS1_19radix_merge_compareILb0ELb0ES5_NS0_19identity_decomposerEEEEE10hipError_tT0_T1_T2_jT3_P12ihipStream_tbPNSt15iterator_traitsISF_E10value_typeEPNSL_ISG_E10value_typeEPSH_NS1_7vsmem_tEENKUlT_SF_SG_SH_E_clIS9_S9_SA_SA_EESE_SU_SF_SG_SH_EUlSU_E0_NS1_11comp_targetILNS1_3genE9ELNS1_11target_archE1100ELNS1_3gpuE3ELNS1_3repE0EEENS1_38merge_mergepath_config_static_selectorELNS0_4arch9wavefront6targetE0EEEvSG_.num_agpr, 0
	.set _ZN7rocprim17ROCPRIM_400000_NS6detail17trampoline_kernelINS0_14default_configENS1_38merge_sort_block_merge_config_selectorI12hip_bfloat16NS0_10empty_typeEEEZZNS1_27merge_sort_block_merge_implIS3_PS5_PS6_jNS1_19radix_merge_compareILb0ELb0ES5_NS0_19identity_decomposerEEEEE10hipError_tT0_T1_T2_jT3_P12ihipStream_tbPNSt15iterator_traitsISF_E10value_typeEPNSL_ISG_E10value_typeEPSH_NS1_7vsmem_tEENKUlT_SF_SG_SH_E_clIS9_S9_SA_SA_EESE_SU_SF_SG_SH_EUlSU_E0_NS1_11comp_targetILNS1_3genE9ELNS1_11target_archE1100ELNS1_3gpuE3ELNS1_3repE0EEENS1_38merge_mergepath_config_static_selectorELNS0_4arch9wavefront6targetE0EEEvSG_.numbered_sgpr, 0
	.set _ZN7rocprim17ROCPRIM_400000_NS6detail17trampoline_kernelINS0_14default_configENS1_38merge_sort_block_merge_config_selectorI12hip_bfloat16NS0_10empty_typeEEEZZNS1_27merge_sort_block_merge_implIS3_PS5_PS6_jNS1_19radix_merge_compareILb0ELb0ES5_NS0_19identity_decomposerEEEEE10hipError_tT0_T1_T2_jT3_P12ihipStream_tbPNSt15iterator_traitsISF_E10value_typeEPNSL_ISG_E10value_typeEPSH_NS1_7vsmem_tEENKUlT_SF_SG_SH_E_clIS9_S9_SA_SA_EESE_SU_SF_SG_SH_EUlSU_E0_NS1_11comp_targetILNS1_3genE9ELNS1_11target_archE1100ELNS1_3gpuE3ELNS1_3repE0EEENS1_38merge_mergepath_config_static_selectorELNS0_4arch9wavefront6targetE0EEEvSG_.num_named_barrier, 0
	.set _ZN7rocprim17ROCPRIM_400000_NS6detail17trampoline_kernelINS0_14default_configENS1_38merge_sort_block_merge_config_selectorI12hip_bfloat16NS0_10empty_typeEEEZZNS1_27merge_sort_block_merge_implIS3_PS5_PS6_jNS1_19radix_merge_compareILb0ELb0ES5_NS0_19identity_decomposerEEEEE10hipError_tT0_T1_T2_jT3_P12ihipStream_tbPNSt15iterator_traitsISF_E10value_typeEPNSL_ISG_E10value_typeEPSH_NS1_7vsmem_tEENKUlT_SF_SG_SH_E_clIS9_S9_SA_SA_EESE_SU_SF_SG_SH_EUlSU_E0_NS1_11comp_targetILNS1_3genE9ELNS1_11target_archE1100ELNS1_3gpuE3ELNS1_3repE0EEENS1_38merge_mergepath_config_static_selectorELNS0_4arch9wavefront6targetE0EEEvSG_.private_seg_size, 0
	.set _ZN7rocprim17ROCPRIM_400000_NS6detail17trampoline_kernelINS0_14default_configENS1_38merge_sort_block_merge_config_selectorI12hip_bfloat16NS0_10empty_typeEEEZZNS1_27merge_sort_block_merge_implIS3_PS5_PS6_jNS1_19radix_merge_compareILb0ELb0ES5_NS0_19identity_decomposerEEEEE10hipError_tT0_T1_T2_jT3_P12ihipStream_tbPNSt15iterator_traitsISF_E10value_typeEPNSL_ISG_E10value_typeEPSH_NS1_7vsmem_tEENKUlT_SF_SG_SH_E_clIS9_S9_SA_SA_EESE_SU_SF_SG_SH_EUlSU_E0_NS1_11comp_targetILNS1_3genE9ELNS1_11target_archE1100ELNS1_3gpuE3ELNS1_3repE0EEENS1_38merge_mergepath_config_static_selectorELNS0_4arch9wavefront6targetE0EEEvSG_.uses_vcc, 0
	.set _ZN7rocprim17ROCPRIM_400000_NS6detail17trampoline_kernelINS0_14default_configENS1_38merge_sort_block_merge_config_selectorI12hip_bfloat16NS0_10empty_typeEEEZZNS1_27merge_sort_block_merge_implIS3_PS5_PS6_jNS1_19radix_merge_compareILb0ELb0ES5_NS0_19identity_decomposerEEEEE10hipError_tT0_T1_T2_jT3_P12ihipStream_tbPNSt15iterator_traitsISF_E10value_typeEPNSL_ISG_E10value_typeEPSH_NS1_7vsmem_tEENKUlT_SF_SG_SH_E_clIS9_S9_SA_SA_EESE_SU_SF_SG_SH_EUlSU_E0_NS1_11comp_targetILNS1_3genE9ELNS1_11target_archE1100ELNS1_3gpuE3ELNS1_3repE0EEENS1_38merge_mergepath_config_static_selectorELNS0_4arch9wavefront6targetE0EEEvSG_.uses_flat_scratch, 0
	.set _ZN7rocprim17ROCPRIM_400000_NS6detail17trampoline_kernelINS0_14default_configENS1_38merge_sort_block_merge_config_selectorI12hip_bfloat16NS0_10empty_typeEEEZZNS1_27merge_sort_block_merge_implIS3_PS5_PS6_jNS1_19radix_merge_compareILb0ELb0ES5_NS0_19identity_decomposerEEEEE10hipError_tT0_T1_T2_jT3_P12ihipStream_tbPNSt15iterator_traitsISF_E10value_typeEPNSL_ISG_E10value_typeEPSH_NS1_7vsmem_tEENKUlT_SF_SG_SH_E_clIS9_S9_SA_SA_EESE_SU_SF_SG_SH_EUlSU_E0_NS1_11comp_targetILNS1_3genE9ELNS1_11target_archE1100ELNS1_3gpuE3ELNS1_3repE0EEENS1_38merge_mergepath_config_static_selectorELNS0_4arch9wavefront6targetE0EEEvSG_.has_dyn_sized_stack, 0
	.set _ZN7rocprim17ROCPRIM_400000_NS6detail17trampoline_kernelINS0_14default_configENS1_38merge_sort_block_merge_config_selectorI12hip_bfloat16NS0_10empty_typeEEEZZNS1_27merge_sort_block_merge_implIS3_PS5_PS6_jNS1_19radix_merge_compareILb0ELb0ES5_NS0_19identity_decomposerEEEEE10hipError_tT0_T1_T2_jT3_P12ihipStream_tbPNSt15iterator_traitsISF_E10value_typeEPNSL_ISG_E10value_typeEPSH_NS1_7vsmem_tEENKUlT_SF_SG_SH_E_clIS9_S9_SA_SA_EESE_SU_SF_SG_SH_EUlSU_E0_NS1_11comp_targetILNS1_3genE9ELNS1_11target_archE1100ELNS1_3gpuE3ELNS1_3repE0EEENS1_38merge_mergepath_config_static_selectorELNS0_4arch9wavefront6targetE0EEEvSG_.has_recursion, 0
	.set _ZN7rocprim17ROCPRIM_400000_NS6detail17trampoline_kernelINS0_14default_configENS1_38merge_sort_block_merge_config_selectorI12hip_bfloat16NS0_10empty_typeEEEZZNS1_27merge_sort_block_merge_implIS3_PS5_PS6_jNS1_19radix_merge_compareILb0ELb0ES5_NS0_19identity_decomposerEEEEE10hipError_tT0_T1_T2_jT3_P12ihipStream_tbPNSt15iterator_traitsISF_E10value_typeEPNSL_ISG_E10value_typeEPSH_NS1_7vsmem_tEENKUlT_SF_SG_SH_E_clIS9_S9_SA_SA_EESE_SU_SF_SG_SH_EUlSU_E0_NS1_11comp_targetILNS1_3genE9ELNS1_11target_archE1100ELNS1_3gpuE3ELNS1_3repE0EEENS1_38merge_mergepath_config_static_selectorELNS0_4arch9wavefront6targetE0EEEvSG_.has_indirect_call, 0
	.section	.AMDGPU.csdata,"",@progbits
; Kernel info:
; codeLenInByte = 0
; TotalNumSgprs: 0
; NumVgprs: 0
; ScratchSize: 0
; MemoryBound: 0
; FloatMode: 240
; IeeeMode: 1
; LDSByteSize: 0 bytes/workgroup (compile time only)
; SGPRBlocks: 0
; VGPRBlocks: 0
; NumSGPRsForWavesPerEU: 1
; NumVGPRsForWavesPerEU: 1
; NamedBarCnt: 0
; Occupancy: 16
; WaveLimiterHint : 0
; COMPUTE_PGM_RSRC2:SCRATCH_EN: 0
; COMPUTE_PGM_RSRC2:USER_SGPR: 2
; COMPUTE_PGM_RSRC2:TRAP_HANDLER: 0
; COMPUTE_PGM_RSRC2:TGID_X_EN: 1
; COMPUTE_PGM_RSRC2:TGID_Y_EN: 0
; COMPUTE_PGM_RSRC2:TGID_Z_EN: 0
; COMPUTE_PGM_RSRC2:TIDIG_COMP_CNT: 0
	.section	.text._ZN7rocprim17ROCPRIM_400000_NS6detail17trampoline_kernelINS0_14default_configENS1_38merge_sort_block_merge_config_selectorI12hip_bfloat16NS0_10empty_typeEEEZZNS1_27merge_sort_block_merge_implIS3_PS5_PS6_jNS1_19radix_merge_compareILb0ELb0ES5_NS0_19identity_decomposerEEEEE10hipError_tT0_T1_T2_jT3_P12ihipStream_tbPNSt15iterator_traitsISF_E10value_typeEPNSL_ISG_E10value_typeEPSH_NS1_7vsmem_tEENKUlT_SF_SG_SH_E_clIS9_S9_SA_SA_EESE_SU_SF_SG_SH_EUlSU_E0_NS1_11comp_targetILNS1_3genE8ELNS1_11target_archE1030ELNS1_3gpuE2ELNS1_3repE0EEENS1_38merge_mergepath_config_static_selectorELNS0_4arch9wavefront6targetE0EEEvSG_,"axG",@progbits,_ZN7rocprim17ROCPRIM_400000_NS6detail17trampoline_kernelINS0_14default_configENS1_38merge_sort_block_merge_config_selectorI12hip_bfloat16NS0_10empty_typeEEEZZNS1_27merge_sort_block_merge_implIS3_PS5_PS6_jNS1_19radix_merge_compareILb0ELb0ES5_NS0_19identity_decomposerEEEEE10hipError_tT0_T1_T2_jT3_P12ihipStream_tbPNSt15iterator_traitsISF_E10value_typeEPNSL_ISG_E10value_typeEPSH_NS1_7vsmem_tEENKUlT_SF_SG_SH_E_clIS9_S9_SA_SA_EESE_SU_SF_SG_SH_EUlSU_E0_NS1_11comp_targetILNS1_3genE8ELNS1_11target_archE1030ELNS1_3gpuE2ELNS1_3repE0EEENS1_38merge_mergepath_config_static_selectorELNS0_4arch9wavefront6targetE0EEEvSG_,comdat
	.protected	_ZN7rocprim17ROCPRIM_400000_NS6detail17trampoline_kernelINS0_14default_configENS1_38merge_sort_block_merge_config_selectorI12hip_bfloat16NS0_10empty_typeEEEZZNS1_27merge_sort_block_merge_implIS3_PS5_PS6_jNS1_19radix_merge_compareILb0ELb0ES5_NS0_19identity_decomposerEEEEE10hipError_tT0_T1_T2_jT3_P12ihipStream_tbPNSt15iterator_traitsISF_E10value_typeEPNSL_ISG_E10value_typeEPSH_NS1_7vsmem_tEENKUlT_SF_SG_SH_E_clIS9_S9_SA_SA_EESE_SU_SF_SG_SH_EUlSU_E0_NS1_11comp_targetILNS1_3genE8ELNS1_11target_archE1030ELNS1_3gpuE2ELNS1_3repE0EEENS1_38merge_mergepath_config_static_selectorELNS0_4arch9wavefront6targetE0EEEvSG_ ; -- Begin function _ZN7rocprim17ROCPRIM_400000_NS6detail17trampoline_kernelINS0_14default_configENS1_38merge_sort_block_merge_config_selectorI12hip_bfloat16NS0_10empty_typeEEEZZNS1_27merge_sort_block_merge_implIS3_PS5_PS6_jNS1_19radix_merge_compareILb0ELb0ES5_NS0_19identity_decomposerEEEEE10hipError_tT0_T1_T2_jT3_P12ihipStream_tbPNSt15iterator_traitsISF_E10value_typeEPNSL_ISG_E10value_typeEPSH_NS1_7vsmem_tEENKUlT_SF_SG_SH_E_clIS9_S9_SA_SA_EESE_SU_SF_SG_SH_EUlSU_E0_NS1_11comp_targetILNS1_3genE8ELNS1_11target_archE1030ELNS1_3gpuE2ELNS1_3repE0EEENS1_38merge_mergepath_config_static_selectorELNS0_4arch9wavefront6targetE0EEEvSG_
	.globl	_ZN7rocprim17ROCPRIM_400000_NS6detail17trampoline_kernelINS0_14default_configENS1_38merge_sort_block_merge_config_selectorI12hip_bfloat16NS0_10empty_typeEEEZZNS1_27merge_sort_block_merge_implIS3_PS5_PS6_jNS1_19radix_merge_compareILb0ELb0ES5_NS0_19identity_decomposerEEEEE10hipError_tT0_T1_T2_jT3_P12ihipStream_tbPNSt15iterator_traitsISF_E10value_typeEPNSL_ISG_E10value_typeEPSH_NS1_7vsmem_tEENKUlT_SF_SG_SH_E_clIS9_S9_SA_SA_EESE_SU_SF_SG_SH_EUlSU_E0_NS1_11comp_targetILNS1_3genE8ELNS1_11target_archE1030ELNS1_3gpuE2ELNS1_3repE0EEENS1_38merge_mergepath_config_static_selectorELNS0_4arch9wavefront6targetE0EEEvSG_
	.p2align	8
	.type	_ZN7rocprim17ROCPRIM_400000_NS6detail17trampoline_kernelINS0_14default_configENS1_38merge_sort_block_merge_config_selectorI12hip_bfloat16NS0_10empty_typeEEEZZNS1_27merge_sort_block_merge_implIS3_PS5_PS6_jNS1_19radix_merge_compareILb0ELb0ES5_NS0_19identity_decomposerEEEEE10hipError_tT0_T1_T2_jT3_P12ihipStream_tbPNSt15iterator_traitsISF_E10value_typeEPNSL_ISG_E10value_typeEPSH_NS1_7vsmem_tEENKUlT_SF_SG_SH_E_clIS9_S9_SA_SA_EESE_SU_SF_SG_SH_EUlSU_E0_NS1_11comp_targetILNS1_3genE8ELNS1_11target_archE1030ELNS1_3gpuE2ELNS1_3repE0EEENS1_38merge_mergepath_config_static_selectorELNS0_4arch9wavefront6targetE0EEEvSG_,@function
_ZN7rocprim17ROCPRIM_400000_NS6detail17trampoline_kernelINS0_14default_configENS1_38merge_sort_block_merge_config_selectorI12hip_bfloat16NS0_10empty_typeEEEZZNS1_27merge_sort_block_merge_implIS3_PS5_PS6_jNS1_19radix_merge_compareILb0ELb0ES5_NS0_19identity_decomposerEEEEE10hipError_tT0_T1_T2_jT3_P12ihipStream_tbPNSt15iterator_traitsISF_E10value_typeEPNSL_ISG_E10value_typeEPSH_NS1_7vsmem_tEENKUlT_SF_SG_SH_E_clIS9_S9_SA_SA_EESE_SU_SF_SG_SH_EUlSU_E0_NS1_11comp_targetILNS1_3genE8ELNS1_11target_archE1030ELNS1_3gpuE2ELNS1_3repE0EEENS1_38merge_mergepath_config_static_selectorELNS0_4arch9wavefront6targetE0EEEvSG_: ; @_ZN7rocprim17ROCPRIM_400000_NS6detail17trampoline_kernelINS0_14default_configENS1_38merge_sort_block_merge_config_selectorI12hip_bfloat16NS0_10empty_typeEEEZZNS1_27merge_sort_block_merge_implIS3_PS5_PS6_jNS1_19radix_merge_compareILb0ELb0ES5_NS0_19identity_decomposerEEEEE10hipError_tT0_T1_T2_jT3_P12ihipStream_tbPNSt15iterator_traitsISF_E10value_typeEPNSL_ISG_E10value_typeEPSH_NS1_7vsmem_tEENKUlT_SF_SG_SH_E_clIS9_S9_SA_SA_EESE_SU_SF_SG_SH_EUlSU_E0_NS1_11comp_targetILNS1_3genE8ELNS1_11target_archE1030ELNS1_3gpuE2ELNS1_3repE0EEENS1_38merge_mergepath_config_static_selectorELNS0_4arch9wavefront6targetE0EEEvSG_
; %bb.0:
	.section	.rodata,"a",@progbits
	.p2align	6, 0x0
	.amdhsa_kernel _ZN7rocprim17ROCPRIM_400000_NS6detail17trampoline_kernelINS0_14default_configENS1_38merge_sort_block_merge_config_selectorI12hip_bfloat16NS0_10empty_typeEEEZZNS1_27merge_sort_block_merge_implIS3_PS5_PS6_jNS1_19radix_merge_compareILb0ELb0ES5_NS0_19identity_decomposerEEEEE10hipError_tT0_T1_T2_jT3_P12ihipStream_tbPNSt15iterator_traitsISF_E10value_typeEPNSL_ISG_E10value_typeEPSH_NS1_7vsmem_tEENKUlT_SF_SG_SH_E_clIS9_S9_SA_SA_EESE_SU_SF_SG_SH_EUlSU_E0_NS1_11comp_targetILNS1_3genE8ELNS1_11target_archE1030ELNS1_3gpuE2ELNS1_3repE0EEENS1_38merge_mergepath_config_static_selectorELNS0_4arch9wavefront6targetE0EEEvSG_
		.amdhsa_group_segment_fixed_size 0
		.amdhsa_private_segment_fixed_size 0
		.amdhsa_kernarg_size 64
		.amdhsa_user_sgpr_count 2
		.amdhsa_user_sgpr_dispatch_ptr 0
		.amdhsa_user_sgpr_queue_ptr 0
		.amdhsa_user_sgpr_kernarg_segment_ptr 1
		.amdhsa_user_sgpr_dispatch_id 0
		.amdhsa_user_sgpr_kernarg_preload_length 0
		.amdhsa_user_sgpr_kernarg_preload_offset 0
		.amdhsa_user_sgpr_private_segment_size 0
		.amdhsa_wavefront_size32 1
		.amdhsa_uses_dynamic_stack 0
		.amdhsa_enable_private_segment 0
		.amdhsa_system_sgpr_workgroup_id_x 1
		.amdhsa_system_sgpr_workgroup_id_y 0
		.amdhsa_system_sgpr_workgroup_id_z 0
		.amdhsa_system_sgpr_workgroup_info 0
		.amdhsa_system_vgpr_workitem_id 0
		.amdhsa_next_free_vgpr 1
		.amdhsa_next_free_sgpr 1
		.amdhsa_named_barrier_count 0
		.amdhsa_reserve_vcc 0
		.amdhsa_float_round_mode_32 0
		.amdhsa_float_round_mode_16_64 0
		.amdhsa_float_denorm_mode_32 3
		.amdhsa_float_denorm_mode_16_64 3
		.amdhsa_fp16_overflow 0
		.amdhsa_memory_ordered 1
		.amdhsa_forward_progress 1
		.amdhsa_inst_pref_size 0
		.amdhsa_round_robin_scheduling 0
		.amdhsa_exception_fp_ieee_invalid_op 0
		.amdhsa_exception_fp_denorm_src 0
		.amdhsa_exception_fp_ieee_div_zero 0
		.amdhsa_exception_fp_ieee_overflow 0
		.amdhsa_exception_fp_ieee_underflow 0
		.amdhsa_exception_fp_ieee_inexact 0
		.amdhsa_exception_int_div_zero 0
	.end_amdhsa_kernel
	.section	.text._ZN7rocprim17ROCPRIM_400000_NS6detail17trampoline_kernelINS0_14default_configENS1_38merge_sort_block_merge_config_selectorI12hip_bfloat16NS0_10empty_typeEEEZZNS1_27merge_sort_block_merge_implIS3_PS5_PS6_jNS1_19radix_merge_compareILb0ELb0ES5_NS0_19identity_decomposerEEEEE10hipError_tT0_T1_T2_jT3_P12ihipStream_tbPNSt15iterator_traitsISF_E10value_typeEPNSL_ISG_E10value_typeEPSH_NS1_7vsmem_tEENKUlT_SF_SG_SH_E_clIS9_S9_SA_SA_EESE_SU_SF_SG_SH_EUlSU_E0_NS1_11comp_targetILNS1_3genE8ELNS1_11target_archE1030ELNS1_3gpuE2ELNS1_3repE0EEENS1_38merge_mergepath_config_static_selectorELNS0_4arch9wavefront6targetE0EEEvSG_,"axG",@progbits,_ZN7rocprim17ROCPRIM_400000_NS6detail17trampoline_kernelINS0_14default_configENS1_38merge_sort_block_merge_config_selectorI12hip_bfloat16NS0_10empty_typeEEEZZNS1_27merge_sort_block_merge_implIS3_PS5_PS6_jNS1_19radix_merge_compareILb0ELb0ES5_NS0_19identity_decomposerEEEEE10hipError_tT0_T1_T2_jT3_P12ihipStream_tbPNSt15iterator_traitsISF_E10value_typeEPNSL_ISG_E10value_typeEPSH_NS1_7vsmem_tEENKUlT_SF_SG_SH_E_clIS9_S9_SA_SA_EESE_SU_SF_SG_SH_EUlSU_E0_NS1_11comp_targetILNS1_3genE8ELNS1_11target_archE1030ELNS1_3gpuE2ELNS1_3repE0EEENS1_38merge_mergepath_config_static_selectorELNS0_4arch9wavefront6targetE0EEEvSG_,comdat
.Lfunc_end2024:
	.size	_ZN7rocprim17ROCPRIM_400000_NS6detail17trampoline_kernelINS0_14default_configENS1_38merge_sort_block_merge_config_selectorI12hip_bfloat16NS0_10empty_typeEEEZZNS1_27merge_sort_block_merge_implIS3_PS5_PS6_jNS1_19radix_merge_compareILb0ELb0ES5_NS0_19identity_decomposerEEEEE10hipError_tT0_T1_T2_jT3_P12ihipStream_tbPNSt15iterator_traitsISF_E10value_typeEPNSL_ISG_E10value_typeEPSH_NS1_7vsmem_tEENKUlT_SF_SG_SH_E_clIS9_S9_SA_SA_EESE_SU_SF_SG_SH_EUlSU_E0_NS1_11comp_targetILNS1_3genE8ELNS1_11target_archE1030ELNS1_3gpuE2ELNS1_3repE0EEENS1_38merge_mergepath_config_static_selectorELNS0_4arch9wavefront6targetE0EEEvSG_, .Lfunc_end2024-_ZN7rocprim17ROCPRIM_400000_NS6detail17trampoline_kernelINS0_14default_configENS1_38merge_sort_block_merge_config_selectorI12hip_bfloat16NS0_10empty_typeEEEZZNS1_27merge_sort_block_merge_implIS3_PS5_PS6_jNS1_19radix_merge_compareILb0ELb0ES5_NS0_19identity_decomposerEEEEE10hipError_tT0_T1_T2_jT3_P12ihipStream_tbPNSt15iterator_traitsISF_E10value_typeEPNSL_ISG_E10value_typeEPSH_NS1_7vsmem_tEENKUlT_SF_SG_SH_E_clIS9_S9_SA_SA_EESE_SU_SF_SG_SH_EUlSU_E0_NS1_11comp_targetILNS1_3genE8ELNS1_11target_archE1030ELNS1_3gpuE2ELNS1_3repE0EEENS1_38merge_mergepath_config_static_selectorELNS0_4arch9wavefront6targetE0EEEvSG_
                                        ; -- End function
	.set _ZN7rocprim17ROCPRIM_400000_NS6detail17trampoline_kernelINS0_14default_configENS1_38merge_sort_block_merge_config_selectorI12hip_bfloat16NS0_10empty_typeEEEZZNS1_27merge_sort_block_merge_implIS3_PS5_PS6_jNS1_19radix_merge_compareILb0ELb0ES5_NS0_19identity_decomposerEEEEE10hipError_tT0_T1_T2_jT3_P12ihipStream_tbPNSt15iterator_traitsISF_E10value_typeEPNSL_ISG_E10value_typeEPSH_NS1_7vsmem_tEENKUlT_SF_SG_SH_E_clIS9_S9_SA_SA_EESE_SU_SF_SG_SH_EUlSU_E0_NS1_11comp_targetILNS1_3genE8ELNS1_11target_archE1030ELNS1_3gpuE2ELNS1_3repE0EEENS1_38merge_mergepath_config_static_selectorELNS0_4arch9wavefront6targetE0EEEvSG_.num_vgpr, 0
	.set _ZN7rocprim17ROCPRIM_400000_NS6detail17trampoline_kernelINS0_14default_configENS1_38merge_sort_block_merge_config_selectorI12hip_bfloat16NS0_10empty_typeEEEZZNS1_27merge_sort_block_merge_implIS3_PS5_PS6_jNS1_19radix_merge_compareILb0ELb0ES5_NS0_19identity_decomposerEEEEE10hipError_tT0_T1_T2_jT3_P12ihipStream_tbPNSt15iterator_traitsISF_E10value_typeEPNSL_ISG_E10value_typeEPSH_NS1_7vsmem_tEENKUlT_SF_SG_SH_E_clIS9_S9_SA_SA_EESE_SU_SF_SG_SH_EUlSU_E0_NS1_11comp_targetILNS1_3genE8ELNS1_11target_archE1030ELNS1_3gpuE2ELNS1_3repE0EEENS1_38merge_mergepath_config_static_selectorELNS0_4arch9wavefront6targetE0EEEvSG_.num_agpr, 0
	.set _ZN7rocprim17ROCPRIM_400000_NS6detail17trampoline_kernelINS0_14default_configENS1_38merge_sort_block_merge_config_selectorI12hip_bfloat16NS0_10empty_typeEEEZZNS1_27merge_sort_block_merge_implIS3_PS5_PS6_jNS1_19radix_merge_compareILb0ELb0ES5_NS0_19identity_decomposerEEEEE10hipError_tT0_T1_T2_jT3_P12ihipStream_tbPNSt15iterator_traitsISF_E10value_typeEPNSL_ISG_E10value_typeEPSH_NS1_7vsmem_tEENKUlT_SF_SG_SH_E_clIS9_S9_SA_SA_EESE_SU_SF_SG_SH_EUlSU_E0_NS1_11comp_targetILNS1_3genE8ELNS1_11target_archE1030ELNS1_3gpuE2ELNS1_3repE0EEENS1_38merge_mergepath_config_static_selectorELNS0_4arch9wavefront6targetE0EEEvSG_.numbered_sgpr, 0
	.set _ZN7rocprim17ROCPRIM_400000_NS6detail17trampoline_kernelINS0_14default_configENS1_38merge_sort_block_merge_config_selectorI12hip_bfloat16NS0_10empty_typeEEEZZNS1_27merge_sort_block_merge_implIS3_PS5_PS6_jNS1_19radix_merge_compareILb0ELb0ES5_NS0_19identity_decomposerEEEEE10hipError_tT0_T1_T2_jT3_P12ihipStream_tbPNSt15iterator_traitsISF_E10value_typeEPNSL_ISG_E10value_typeEPSH_NS1_7vsmem_tEENKUlT_SF_SG_SH_E_clIS9_S9_SA_SA_EESE_SU_SF_SG_SH_EUlSU_E0_NS1_11comp_targetILNS1_3genE8ELNS1_11target_archE1030ELNS1_3gpuE2ELNS1_3repE0EEENS1_38merge_mergepath_config_static_selectorELNS0_4arch9wavefront6targetE0EEEvSG_.num_named_barrier, 0
	.set _ZN7rocprim17ROCPRIM_400000_NS6detail17trampoline_kernelINS0_14default_configENS1_38merge_sort_block_merge_config_selectorI12hip_bfloat16NS0_10empty_typeEEEZZNS1_27merge_sort_block_merge_implIS3_PS5_PS6_jNS1_19radix_merge_compareILb0ELb0ES5_NS0_19identity_decomposerEEEEE10hipError_tT0_T1_T2_jT3_P12ihipStream_tbPNSt15iterator_traitsISF_E10value_typeEPNSL_ISG_E10value_typeEPSH_NS1_7vsmem_tEENKUlT_SF_SG_SH_E_clIS9_S9_SA_SA_EESE_SU_SF_SG_SH_EUlSU_E0_NS1_11comp_targetILNS1_3genE8ELNS1_11target_archE1030ELNS1_3gpuE2ELNS1_3repE0EEENS1_38merge_mergepath_config_static_selectorELNS0_4arch9wavefront6targetE0EEEvSG_.private_seg_size, 0
	.set _ZN7rocprim17ROCPRIM_400000_NS6detail17trampoline_kernelINS0_14default_configENS1_38merge_sort_block_merge_config_selectorI12hip_bfloat16NS0_10empty_typeEEEZZNS1_27merge_sort_block_merge_implIS3_PS5_PS6_jNS1_19radix_merge_compareILb0ELb0ES5_NS0_19identity_decomposerEEEEE10hipError_tT0_T1_T2_jT3_P12ihipStream_tbPNSt15iterator_traitsISF_E10value_typeEPNSL_ISG_E10value_typeEPSH_NS1_7vsmem_tEENKUlT_SF_SG_SH_E_clIS9_S9_SA_SA_EESE_SU_SF_SG_SH_EUlSU_E0_NS1_11comp_targetILNS1_3genE8ELNS1_11target_archE1030ELNS1_3gpuE2ELNS1_3repE0EEENS1_38merge_mergepath_config_static_selectorELNS0_4arch9wavefront6targetE0EEEvSG_.uses_vcc, 0
	.set _ZN7rocprim17ROCPRIM_400000_NS6detail17trampoline_kernelINS0_14default_configENS1_38merge_sort_block_merge_config_selectorI12hip_bfloat16NS0_10empty_typeEEEZZNS1_27merge_sort_block_merge_implIS3_PS5_PS6_jNS1_19radix_merge_compareILb0ELb0ES5_NS0_19identity_decomposerEEEEE10hipError_tT0_T1_T2_jT3_P12ihipStream_tbPNSt15iterator_traitsISF_E10value_typeEPNSL_ISG_E10value_typeEPSH_NS1_7vsmem_tEENKUlT_SF_SG_SH_E_clIS9_S9_SA_SA_EESE_SU_SF_SG_SH_EUlSU_E0_NS1_11comp_targetILNS1_3genE8ELNS1_11target_archE1030ELNS1_3gpuE2ELNS1_3repE0EEENS1_38merge_mergepath_config_static_selectorELNS0_4arch9wavefront6targetE0EEEvSG_.uses_flat_scratch, 0
	.set _ZN7rocprim17ROCPRIM_400000_NS6detail17trampoline_kernelINS0_14default_configENS1_38merge_sort_block_merge_config_selectorI12hip_bfloat16NS0_10empty_typeEEEZZNS1_27merge_sort_block_merge_implIS3_PS5_PS6_jNS1_19radix_merge_compareILb0ELb0ES5_NS0_19identity_decomposerEEEEE10hipError_tT0_T1_T2_jT3_P12ihipStream_tbPNSt15iterator_traitsISF_E10value_typeEPNSL_ISG_E10value_typeEPSH_NS1_7vsmem_tEENKUlT_SF_SG_SH_E_clIS9_S9_SA_SA_EESE_SU_SF_SG_SH_EUlSU_E0_NS1_11comp_targetILNS1_3genE8ELNS1_11target_archE1030ELNS1_3gpuE2ELNS1_3repE0EEENS1_38merge_mergepath_config_static_selectorELNS0_4arch9wavefront6targetE0EEEvSG_.has_dyn_sized_stack, 0
	.set _ZN7rocprim17ROCPRIM_400000_NS6detail17trampoline_kernelINS0_14default_configENS1_38merge_sort_block_merge_config_selectorI12hip_bfloat16NS0_10empty_typeEEEZZNS1_27merge_sort_block_merge_implIS3_PS5_PS6_jNS1_19radix_merge_compareILb0ELb0ES5_NS0_19identity_decomposerEEEEE10hipError_tT0_T1_T2_jT3_P12ihipStream_tbPNSt15iterator_traitsISF_E10value_typeEPNSL_ISG_E10value_typeEPSH_NS1_7vsmem_tEENKUlT_SF_SG_SH_E_clIS9_S9_SA_SA_EESE_SU_SF_SG_SH_EUlSU_E0_NS1_11comp_targetILNS1_3genE8ELNS1_11target_archE1030ELNS1_3gpuE2ELNS1_3repE0EEENS1_38merge_mergepath_config_static_selectorELNS0_4arch9wavefront6targetE0EEEvSG_.has_recursion, 0
	.set _ZN7rocprim17ROCPRIM_400000_NS6detail17trampoline_kernelINS0_14default_configENS1_38merge_sort_block_merge_config_selectorI12hip_bfloat16NS0_10empty_typeEEEZZNS1_27merge_sort_block_merge_implIS3_PS5_PS6_jNS1_19radix_merge_compareILb0ELb0ES5_NS0_19identity_decomposerEEEEE10hipError_tT0_T1_T2_jT3_P12ihipStream_tbPNSt15iterator_traitsISF_E10value_typeEPNSL_ISG_E10value_typeEPSH_NS1_7vsmem_tEENKUlT_SF_SG_SH_E_clIS9_S9_SA_SA_EESE_SU_SF_SG_SH_EUlSU_E0_NS1_11comp_targetILNS1_3genE8ELNS1_11target_archE1030ELNS1_3gpuE2ELNS1_3repE0EEENS1_38merge_mergepath_config_static_selectorELNS0_4arch9wavefront6targetE0EEEvSG_.has_indirect_call, 0
	.section	.AMDGPU.csdata,"",@progbits
; Kernel info:
; codeLenInByte = 0
; TotalNumSgprs: 0
; NumVgprs: 0
; ScratchSize: 0
; MemoryBound: 0
; FloatMode: 240
; IeeeMode: 1
; LDSByteSize: 0 bytes/workgroup (compile time only)
; SGPRBlocks: 0
; VGPRBlocks: 0
; NumSGPRsForWavesPerEU: 1
; NumVGPRsForWavesPerEU: 1
; NamedBarCnt: 0
; Occupancy: 16
; WaveLimiterHint : 0
; COMPUTE_PGM_RSRC2:SCRATCH_EN: 0
; COMPUTE_PGM_RSRC2:USER_SGPR: 2
; COMPUTE_PGM_RSRC2:TRAP_HANDLER: 0
; COMPUTE_PGM_RSRC2:TGID_X_EN: 1
; COMPUTE_PGM_RSRC2:TGID_Y_EN: 0
; COMPUTE_PGM_RSRC2:TGID_Z_EN: 0
; COMPUTE_PGM_RSRC2:TIDIG_COMP_CNT: 0
	.section	.text._ZN7rocprim17ROCPRIM_400000_NS6detail17trampoline_kernelINS0_14default_configENS1_38merge_sort_block_merge_config_selectorI12hip_bfloat16NS0_10empty_typeEEEZZNS1_27merge_sort_block_merge_implIS3_PS5_PS6_jNS1_19radix_merge_compareILb0ELb0ES5_NS0_19identity_decomposerEEEEE10hipError_tT0_T1_T2_jT3_P12ihipStream_tbPNSt15iterator_traitsISF_E10value_typeEPNSL_ISG_E10value_typeEPSH_NS1_7vsmem_tEENKUlT_SF_SG_SH_E_clIS9_S9_SA_SA_EESE_SU_SF_SG_SH_EUlSU_E1_NS1_11comp_targetILNS1_3genE0ELNS1_11target_archE4294967295ELNS1_3gpuE0ELNS1_3repE0EEENS1_36merge_oddeven_config_static_selectorELNS0_4arch9wavefront6targetE0EEEvSG_,"axG",@progbits,_ZN7rocprim17ROCPRIM_400000_NS6detail17trampoline_kernelINS0_14default_configENS1_38merge_sort_block_merge_config_selectorI12hip_bfloat16NS0_10empty_typeEEEZZNS1_27merge_sort_block_merge_implIS3_PS5_PS6_jNS1_19radix_merge_compareILb0ELb0ES5_NS0_19identity_decomposerEEEEE10hipError_tT0_T1_T2_jT3_P12ihipStream_tbPNSt15iterator_traitsISF_E10value_typeEPNSL_ISG_E10value_typeEPSH_NS1_7vsmem_tEENKUlT_SF_SG_SH_E_clIS9_S9_SA_SA_EESE_SU_SF_SG_SH_EUlSU_E1_NS1_11comp_targetILNS1_3genE0ELNS1_11target_archE4294967295ELNS1_3gpuE0ELNS1_3repE0EEENS1_36merge_oddeven_config_static_selectorELNS0_4arch9wavefront6targetE0EEEvSG_,comdat
	.protected	_ZN7rocprim17ROCPRIM_400000_NS6detail17trampoline_kernelINS0_14default_configENS1_38merge_sort_block_merge_config_selectorI12hip_bfloat16NS0_10empty_typeEEEZZNS1_27merge_sort_block_merge_implIS3_PS5_PS6_jNS1_19radix_merge_compareILb0ELb0ES5_NS0_19identity_decomposerEEEEE10hipError_tT0_T1_T2_jT3_P12ihipStream_tbPNSt15iterator_traitsISF_E10value_typeEPNSL_ISG_E10value_typeEPSH_NS1_7vsmem_tEENKUlT_SF_SG_SH_E_clIS9_S9_SA_SA_EESE_SU_SF_SG_SH_EUlSU_E1_NS1_11comp_targetILNS1_3genE0ELNS1_11target_archE4294967295ELNS1_3gpuE0ELNS1_3repE0EEENS1_36merge_oddeven_config_static_selectorELNS0_4arch9wavefront6targetE0EEEvSG_ ; -- Begin function _ZN7rocprim17ROCPRIM_400000_NS6detail17trampoline_kernelINS0_14default_configENS1_38merge_sort_block_merge_config_selectorI12hip_bfloat16NS0_10empty_typeEEEZZNS1_27merge_sort_block_merge_implIS3_PS5_PS6_jNS1_19radix_merge_compareILb0ELb0ES5_NS0_19identity_decomposerEEEEE10hipError_tT0_T1_T2_jT3_P12ihipStream_tbPNSt15iterator_traitsISF_E10value_typeEPNSL_ISG_E10value_typeEPSH_NS1_7vsmem_tEENKUlT_SF_SG_SH_E_clIS9_S9_SA_SA_EESE_SU_SF_SG_SH_EUlSU_E1_NS1_11comp_targetILNS1_3genE0ELNS1_11target_archE4294967295ELNS1_3gpuE0ELNS1_3repE0EEENS1_36merge_oddeven_config_static_selectorELNS0_4arch9wavefront6targetE0EEEvSG_
	.globl	_ZN7rocprim17ROCPRIM_400000_NS6detail17trampoline_kernelINS0_14default_configENS1_38merge_sort_block_merge_config_selectorI12hip_bfloat16NS0_10empty_typeEEEZZNS1_27merge_sort_block_merge_implIS3_PS5_PS6_jNS1_19radix_merge_compareILb0ELb0ES5_NS0_19identity_decomposerEEEEE10hipError_tT0_T1_T2_jT3_P12ihipStream_tbPNSt15iterator_traitsISF_E10value_typeEPNSL_ISG_E10value_typeEPSH_NS1_7vsmem_tEENKUlT_SF_SG_SH_E_clIS9_S9_SA_SA_EESE_SU_SF_SG_SH_EUlSU_E1_NS1_11comp_targetILNS1_3genE0ELNS1_11target_archE4294967295ELNS1_3gpuE0ELNS1_3repE0EEENS1_36merge_oddeven_config_static_selectorELNS0_4arch9wavefront6targetE0EEEvSG_
	.p2align	8
	.type	_ZN7rocprim17ROCPRIM_400000_NS6detail17trampoline_kernelINS0_14default_configENS1_38merge_sort_block_merge_config_selectorI12hip_bfloat16NS0_10empty_typeEEEZZNS1_27merge_sort_block_merge_implIS3_PS5_PS6_jNS1_19radix_merge_compareILb0ELb0ES5_NS0_19identity_decomposerEEEEE10hipError_tT0_T1_T2_jT3_P12ihipStream_tbPNSt15iterator_traitsISF_E10value_typeEPNSL_ISG_E10value_typeEPSH_NS1_7vsmem_tEENKUlT_SF_SG_SH_E_clIS9_S9_SA_SA_EESE_SU_SF_SG_SH_EUlSU_E1_NS1_11comp_targetILNS1_3genE0ELNS1_11target_archE4294967295ELNS1_3gpuE0ELNS1_3repE0EEENS1_36merge_oddeven_config_static_selectorELNS0_4arch9wavefront6targetE0EEEvSG_,@function
_ZN7rocprim17ROCPRIM_400000_NS6detail17trampoline_kernelINS0_14default_configENS1_38merge_sort_block_merge_config_selectorI12hip_bfloat16NS0_10empty_typeEEEZZNS1_27merge_sort_block_merge_implIS3_PS5_PS6_jNS1_19radix_merge_compareILb0ELb0ES5_NS0_19identity_decomposerEEEEE10hipError_tT0_T1_T2_jT3_P12ihipStream_tbPNSt15iterator_traitsISF_E10value_typeEPNSL_ISG_E10value_typeEPSH_NS1_7vsmem_tEENKUlT_SF_SG_SH_E_clIS9_S9_SA_SA_EESE_SU_SF_SG_SH_EUlSU_E1_NS1_11comp_targetILNS1_3genE0ELNS1_11target_archE4294967295ELNS1_3gpuE0ELNS1_3repE0EEENS1_36merge_oddeven_config_static_selectorELNS0_4arch9wavefront6targetE0EEEvSG_: ; @_ZN7rocprim17ROCPRIM_400000_NS6detail17trampoline_kernelINS0_14default_configENS1_38merge_sort_block_merge_config_selectorI12hip_bfloat16NS0_10empty_typeEEEZZNS1_27merge_sort_block_merge_implIS3_PS5_PS6_jNS1_19radix_merge_compareILb0ELb0ES5_NS0_19identity_decomposerEEEEE10hipError_tT0_T1_T2_jT3_P12ihipStream_tbPNSt15iterator_traitsISF_E10value_typeEPNSL_ISG_E10value_typeEPSH_NS1_7vsmem_tEENKUlT_SF_SG_SH_E_clIS9_S9_SA_SA_EESE_SU_SF_SG_SH_EUlSU_E1_NS1_11comp_targetILNS1_3genE0ELNS1_11target_archE4294967295ELNS1_3gpuE0ELNS1_3repE0EEENS1_36merge_oddeven_config_static_selectorELNS0_4arch9wavefront6targetE0EEEvSG_
; %bb.0:
	s_load_b32 s10, s[0:1], 0x20
	s_bfe_u32 s2, ttmp6, 0x4000c
	s_and_b32 s3, ttmp6, 15
	s_add_co_i32 s2, s2, 1
	s_getreg_b32 s4, hwreg(HW_REG_IB_STS2, 6, 4)
	s_mul_i32 s2, ttmp9, s2
	s_mov_b32 s9, 0
	s_add_co_i32 s3, s3, s2
	s_cmp_eq_u32 s4, 0
	s_cselect_b32 s3, ttmp9, s3
	s_wait_kmcnt 0x0
	s_lshr_b32 s2, s10, 8
	s_delay_alu instid0(SALU_CYCLE_1) | instskip(SKIP_4) | instid1(SALU_CYCLE_1)
	s_cmp_lg_u32 s3, s2
	s_cselect_b32 s12, -1, 0
	s_cmp_eq_u32 s3, s2
	s_cselect_b32 s11, -1, 0
	s_lshl_b32 s8, s3, 8
	s_sub_co_i32 s2, s10, s8
	s_delay_alu instid0(SALU_CYCLE_1) | instskip(SKIP_1) | instid1(SALU_CYCLE_1)
	v_cmp_gt_u32_e64 s2, s2, v0
	s_or_b32 s4, s12, s2
	s_and_saveexec_b32 s5, s4
	s_cbranch_execz .LBB2025_44
; %bb.1:
	s_load_b128 s[4:7], s[0:1], 0x0
	s_lshl_b64 s[14:15], s[8:9], 1
	s_wait_xcnt 0x0
	s_load_b32 s0, s[0:1], 0x24
	v_add_nc_u32_e32 v2, s8, v0
	s_wait_kmcnt 0x0
	s_add_nc_u64 s[14:15], s[4:5], s[14:15]
	s_lshr_b32 s1, s0, 8
	global_load_u16 v1, v0, s[14:15] scale_offset
	s_sub_co_i32 s13, 0, s1
	s_delay_alu instid0(SALU_CYCLE_1) | instskip(SKIP_2) | instid1(SALU_CYCLE_1)
	s_and_b32 s3, s3, s13
	s_wait_xcnt 0x0
	s_and_b32 s14, s3, s1
	s_cmp_lg_u32 s14, 0
	s_cselect_b32 s1, -1, 0
	s_lshl_b32 s13, s3, 8
	s_sub_co_i32 s3, 0, s0
	s_cmp_eq_u32 s14, 0
	s_cselect_b32 s3, s0, s3
	s_delay_alu instid0(SALU_CYCLE_1) | instskip(NEXT) | instid1(SALU_CYCLE_1)
	s_add_co_i32 s3, s3, s13
	s_cmp_gt_u32 s10, s3
	s_cbranch_scc1 .LBB2025_3
; %bb.2:
	v_cmp_gt_u32_e32 vcc_lo, s10, v2
	s_or_b32 s9, vcc_lo, s12
	s_delay_alu instid0(SALU_CYCLE_1)
	s_and_b32 s9, s9, exec_lo
	s_cbranch_execz .LBB2025_4
	s_branch .LBB2025_42
.LBB2025_3:
.LBB2025_4:
	s_min_u32 s8, s3, s10
	s_and_b32 vcc_lo, exec_lo, s11
	s_add_co_i32 s12, s13, s8
	s_add_co_i32 s0, s8, s0
	v_subrev_nc_u32_e32 v0, s12, v2
	s_min_u32 s12, s13, s8
	s_min_u32 s10, s0, s10
	s_delay_alu instid0(VALU_DEP_1)
	v_add_nc_u32_e32 v0, s12, v0
	s_cbranch_vccz .LBB2025_21
; %bb.5:
                                        ; implicit-def: $vgpr2
	s_and_saveexec_b32 s11, s2
	s_cbranch_execz .LBB2025_24
; %bb.6:
	v_mov_b32_e32 v2, s8
	s_cmp_ge_u32 s3, s10
	s_cbranch_scc1 .LBB2025_23
; %bb.7:
	s_wait_loadcnt 0x0
	v_lshlrev_b32_e32 v2, 16, v1
	s_mov_b32 s2, 0
	s_delay_alu instid0(VALU_DEP_1) | instskip(NEXT) | instid1(VALU_DEP_1)
	v_add_f32_e32 v2, 0, v2
	v_and_b32_e32 v4, 0xffff, v2
	v_bfe_u32 v3, v2, 16, 1
	v_or_b32_e32 v5, 0x10000, v2
	v_and_b32_e32 v6, 0x7f800000, v2
	s_delay_alu instid0(VALU_DEP_4) | instskip(NEXT) | instid1(VALU_DEP_4)
	v_cmp_eq_u32_e32 vcc_lo, 0, v4
	v_add3_u32 v3, v2, v3, 0x7fff
	s_delay_alu instid0(VALU_DEP_4) | instskip(NEXT) | instid1(VALU_DEP_4)
	v_cndmask_b32_e32 v2, v5, v2, vcc_lo
	v_cmp_eq_u32_e32 vcc_lo, 0x7f800000, v6
	s_delay_alu instid0(VALU_DEP_2) | instskip(NEXT) | instid1(VALU_DEP_1)
	v_dual_cndmask_b32 v2, v3, v2 :: v_dual_mov_b32 v3, s10
	v_cmp_lt_i32_e32 vcc_lo, -1, v2
	v_dual_lshrrev_b32 v4, 16, v2 :: v_dual_mov_b32 v2, s8
	v_cndmask_b32_e64 v5, -1, 0xffff8000, vcc_lo
	s_delay_alu instid0(VALU_DEP_1)
	v_xor_b32_e32 v4, v5, v4
	s_branch .LBB2025_10
.LBB2025_8:                             ;   in Loop: Header=BB2025_10 Depth=1
	s_or_b32 exec_lo, exec_lo, s0
	s_delay_alu instid0(VALU_DEP_1) | instskip(SKIP_2) | instid1(VALU_DEP_1)
	v_cmp_lt_i32_e32 vcc_lo, -1, v7
	v_lshrrev_b32_e32 v6, 16, v7
	v_cndmask_b32_e64 v7, -1, 0xffff8000, vcc_lo
	v_xor_b32_e32 v6, v7, v6
	s_delay_alu instid0(VALU_DEP_1)
	v_cmp_gt_u16_e64 s12, v4, v6
.LBB2025_9:                             ;   in Loop: Header=BB2025_10 Depth=1
	v_lshrrev_b32_e32 v5, 1, v5
	s_delay_alu instid0(VALU_DEP_1) | instskip(NEXT) | instid1(VALU_DEP_1)
	v_add_nc_u32_e32 v6, 1, v5
	v_dual_cndmask_b32 v2, v2, v6, s12 :: v_dual_cndmask_b32 v3, v5, v3, s12
	s_delay_alu instid0(VALU_DEP_1) | instskip(SKIP_1) | instid1(SALU_CYCLE_1)
	v_cmp_ge_u32_e32 vcc_lo, v2, v3
	s_or_b32 s2, vcc_lo, s2
	s_and_not1_b32 exec_lo, exec_lo, s2
	s_cbranch_execz .LBB2025_22
.LBB2025_10:                            ; =>This Inner Loop Header: Depth=1
	s_delay_alu instid0(VALU_DEP_3) | instskip(SKIP_2) | instid1(VALU_DEP_1)
	v_add_nc_u32_e32 v5, v2, v3
	s_and_not1_b32 vcc_lo, exec_lo, s1
	s_mov_b32 s13, -1
                                        ; implicit-def: $sgpr12
	v_and_b32_e32 v6, -2, v5
	global_load_u16 v6, v6, s[4:5]
	s_wait_loadcnt 0x0
	v_lshlrev_b32_e32 v6, 16, v6
	s_delay_alu instid0(VALU_DEP_1) | instskip(NEXT) | instid1(VALU_DEP_1)
	v_add_f32_e32 v6, 0, v6
	v_and_b32_e32 v7, 0x7f800000, v6
	s_delay_alu instid0(VALU_DEP_1)
	v_cmp_ne_u32_e64 s0, 0x7f800000, v7
	s_cbranch_vccnz .LBB2025_16
; %bb.11:                               ;   in Loop: Header=BB2025_10 Depth=1
                                        ; implicit-def: $vgpr7
	s_and_saveexec_b32 s12, s0
	s_delay_alu instid0(SALU_CYCLE_1)
	s_xor_b32 s12, exec_lo, s12
; %bb.12:                               ;   in Loop: Header=BB2025_10 Depth=1
	v_bfe_u32 v7, v6, 16, 1
	s_delay_alu instid0(VALU_DEP_1)
	v_add3_u32 v7, v6, v7, 0x7fff
; %bb.13:                               ;   in Loop: Header=BB2025_10 Depth=1
	s_and_not1_saveexec_b32 s12, s12
; %bb.14:                               ;   in Loop: Header=BB2025_10 Depth=1
	v_and_b32_e32 v7, 0xffff, v6
	v_or_b32_e32 v8, 0x10000, v6
	s_delay_alu instid0(VALU_DEP_2) | instskip(NEXT) | instid1(VALU_DEP_2)
	v_cmp_eq_u32_e32 vcc_lo, 0, v7
	v_cndmask_b32_e32 v7, v8, v6, vcc_lo
; %bb.15:                               ;   in Loop: Header=BB2025_10 Depth=1
	s_or_b32 exec_lo, exec_lo, s12
	s_delay_alu instid0(VALU_DEP_1) | instskip(SKIP_3) | instid1(VALU_DEP_1)
	v_cmp_lt_i32_e32 vcc_lo, -1, v7
	v_lshrrev_b32_e32 v8, 16, v7
	s_mov_b32 s13, 0
	v_cndmask_b32_e64 v7, -1, 0xffff8000, vcc_lo
	v_xor_b32_e32 v7, v7, v8
	s_delay_alu instid0(VALU_DEP_1)
	v_cmp_le_u16_e64 s12, v7, v4
.LBB2025_16:                            ;   in Loop: Header=BB2025_10 Depth=1
	s_and_b32 vcc_lo, exec_lo, s13
	s_cbranch_vccz .LBB2025_9
; %bb.17:                               ;   in Loop: Header=BB2025_10 Depth=1
                                        ; implicit-def: $vgpr7
	s_and_saveexec_b32 s12, s0
	s_delay_alu instid0(SALU_CYCLE_1)
	s_xor_b32 s0, exec_lo, s12
; %bb.18:                               ;   in Loop: Header=BB2025_10 Depth=1
	v_bfe_u32 v7, v6, 16, 1
	s_delay_alu instid0(VALU_DEP_1)
	v_add3_u32 v7, v6, v7, 0x7fff
                                        ; implicit-def: $vgpr6
; %bb.19:                               ;   in Loop: Header=BB2025_10 Depth=1
	s_and_not1_saveexec_b32 s0, s0
	s_cbranch_execz .LBB2025_8
; %bb.20:                               ;   in Loop: Header=BB2025_10 Depth=1
	v_and_b32_e32 v7, 0xffff, v6
	v_or_b32_e32 v8, 0x10000, v6
	s_delay_alu instid0(VALU_DEP_2) | instskip(NEXT) | instid1(VALU_DEP_2)
	v_cmp_eq_u32_e32 vcc_lo, 0, v7
	v_cndmask_b32_e32 v7, v8, v6, vcc_lo
	s_branch .LBB2025_8
.LBB2025_21:
                                        ; implicit-def: $vgpr2
	s_cbranch_execnz .LBB2025_25
	s_branch .LBB2025_42
.LBB2025_22:
	s_or_b32 exec_lo, exec_lo, s2
.LBB2025_23:
	s_delay_alu instid0(VALU_DEP_1)
	v_add_nc_u32_e32 v2, v2, v0
	s_or_b32 s9, s9, exec_lo
.LBB2025_24:
	s_or_b32 exec_lo, exec_lo, s11
	s_branch .LBB2025_42
.LBB2025_25:
	v_mov_b32_e32 v2, s8
	s_cmp_ge_u32 s3, s10
	s_cbranch_scc1 .LBB2025_41
; %bb.26:
	s_wait_loadcnt 0x0
	v_lshlrev_b32_e32 v2, 16, v1
	s_mov_b32 s2, 0
	s_delay_alu instid0(VALU_DEP_1) | instskip(NEXT) | instid1(VALU_DEP_1)
	v_add_f32_e32 v2, 0, v2
	v_and_b32_e32 v3, 0xffff, v2
	v_or_b32_e32 v4, 0x10000, v2
	v_bfe_u32 v5, v2, 16, 1
	v_and_b32_e32 v6, 0x7f800000, v2
	s_delay_alu instid0(VALU_DEP_4) | instskip(NEXT) | instid1(VALU_DEP_4)
	v_cmp_eq_u32_e32 vcc_lo, 0, v3
	v_cndmask_b32_e32 v3, v4, v2, vcc_lo
	s_delay_alu instid0(VALU_DEP_4) | instskip(NEXT) | instid1(VALU_DEP_4)
	v_add3_u32 v2, v2, v5, 0x7fff
	v_cmp_eq_u32_e32 vcc_lo, 0x7f800000, v6
	s_delay_alu instid0(VALU_DEP_2) | instskip(NEXT) | instid1(VALU_DEP_1)
	v_dual_cndmask_b32 v2, v2, v3 :: v_dual_mov_b32 v3, s10
	v_cmp_lt_i32_e32 vcc_lo, -1, v2
	v_dual_lshrrev_b32 v4, 16, v2 :: v_dual_mov_b32 v2, s8
	v_cndmask_b32_e64 v5, -1, 0xffff8000, vcc_lo
	s_delay_alu instid0(VALU_DEP_1)
	v_xor_b32_e32 v4, v5, v4
	s_branch .LBB2025_29
.LBB2025_27:                            ;   in Loop: Header=BB2025_29 Depth=1
	s_or_b32 exec_lo, exec_lo, s0
	s_delay_alu instid0(VALU_DEP_1) | instskip(SKIP_2) | instid1(VALU_DEP_1)
	v_cmp_lt_i32_e32 vcc_lo, -1, v7
	v_lshrrev_b32_e32 v6, 16, v7
	v_cndmask_b32_e64 v7, -1, 0xffff8000, vcc_lo
	v_xor_b32_e32 v6, v7, v6
	s_delay_alu instid0(VALU_DEP_1)
	v_cmp_gt_u16_e64 s3, v4, v6
.LBB2025_28:                            ;   in Loop: Header=BB2025_29 Depth=1
	v_lshrrev_b32_e32 v5, 1, v5
	s_delay_alu instid0(VALU_DEP_1) | instskip(NEXT) | instid1(VALU_DEP_1)
	v_add_nc_u32_e32 v6, 1, v5
	v_dual_cndmask_b32 v2, v2, v6, s3 :: v_dual_cndmask_b32 v3, v5, v3, s3
	s_delay_alu instid0(VALU_DEP_1) | instskip(SKIP_1) | instid1(SALU_CYCLE_1)
	v_cmp_ge_u32_e32 vcc_lo, v2, v3
	s_or_b32 s2, vcc_lo, s2
	s_and_not1_b32 exec_lo, exec_lo, s2
	s_cbranch_execz .LBB2025_40
.LBB2025_29:                            ; =>This Inner Loop Header: Depth=1
	s_delay_alu instid0(VALU_DEP_3) | instskip(SKIP_2) | instid1(VALU_DEP_1)
	v_add_nc_u32_e32 v5, v2, v3
	s_and_not1_b32 vcc_lo, exec_lo, s1
	s_mov_b32 s8, -1
                                        ; implicit-def: $sgpr3
	v_and_b32_e32 v6, -2, v5
	global_load_u16 v6, v6, s[4:5]
	s_wait_loadcnt 0x0
	v_lshlrev_b32_e32 v6, 16, v6
	s_delay_alu instid0(VALU_DEP_1) | instskip(NEXT) | instid1(VALU_DEP_1)
	v_add_f32_e32 v6, 0, v6
	v_and_b32_e32 v7, 0x7f800000, v6
	s_delay_alu instid0(VALU_DEP_1)
	v_cmp_ne_u32_e64 s0, 0x7f800000, v7
	s_cbranch_vccnz .LBB2025_35
; %bb.30:                               ;   in Loop: Header=BB2025_29 Depth=1
                                        ; implicit-def: $vgpr7
	s_and_saveexec_b32 s3, s0
	s_delay_alu instid0(SALU_CYCLE_1)
	s_xor_b32 s3, exec_lo, s3
; %bb.31:                               ;   in Loop: Header=BB2025_29 Depth=1
	v_bfe_u32 v7, v6, 16, 1
	s_delay_alu instid0(VALU_DEP_1)
	v_add3_u32 v7, v6, v7, 0x7fff
; %bb.32:                               ;   in Loop: Header=BB2025_29 Depth=1
	s_and_not1_saveexec_b32 s3, s3
; %bb.33:                               ;   in Loop: Header=BB2025_29 Depth=1
	v_and_b32_e32 v7, 0xffff, v6
	v_or_b32_e32 v8, 0x10000, v6
	s_delay_alu instid0(VALU_DEP_2) | instskip(NEXT) | instid1(VALU_DEP_2)
	v_cmp_eq_u32_e32 vcc_lo, 0, v7
	v_cndmask_b32_e32 v7, v8, v6, vcc_lo
; %bb.34:                               ;   in Loop: Header=BB2025_29 Depth=1
	s_or_b32 exec_lo, exec_lo, s3
	s_delay_alu instid0(VALU_DEP_1) | instskip(SKIP_3) | instid1(VALU_DEP_1)
	v_cmp_lt_i32_e32 vcc_lo, -1, v7
	v_lshrrev_b32_e32 v8, 16, v7
	s_mov_b32 s8, 0
	v_cndmask_b32_e64 v7, -1, 0xffff8000, vcc_lo
	v_xor_b32_e32 v7, v7, v8
	s_delay_alu instid0(VALU_DEP_1)
	v_cmp_le_u16_e64 s3, v7, v4
.LBB2025_35:                            ;   in Loop: Header=BB2025_29 Depth=1
	s_and_b32 vcc_lo, exec_lo, s8
	s_cbranch_vccz .LBB2025_28
; %bb.36:                               ;   in Loop: Header=BB2025_29 Depth=1
                                        ; implicit-def: $vgpr7
	s_and_saveexec_b32 s3, s0
	s_delay_alu instid0(SALU_CYCLE_1)
	s_xor_b32 s0, exec_lo, s3
; %bb.37:                               ;   in Loop: Header=BB2025_29 Depth=1
	v_bfe_u32 v7, v6, 16, 1
	s_delay_alu instid0(VALU_DEP_1)
	v_add3_u32 v7, v6, v7, 0x7fff
                                        ; implicit-def: $vgpr6
; %bb.38:                               ;   in Loop: Header=BB2025_29 Depth=1
	s_and_not1_saveexec_b32 s0, s0
	s_cbranch_execz .LBB2025_27
; %bb.39:                               ;   in Loop: Header=BB2025_29 Depth=1
	v_and_b32_e32 v7, 0xffff, v6
	v_or_b32_e32 v8, 0x10000, v6
	s_delay_alu instid0(VALU_DEP_2) | instskip(NEXT) | instid1(VALU_DEP_2)
	v_cmp_eq_u32_e32 vcc_lo, 0, v7
	v_cndmask_b32_e32 v7, v8, v6, vcc_lo
	s_branch .LBB2025_27
.LBB2025_40:
	s_or_b32 exec_lo, exec_lo, s2
.LBB2025_41:
	s_delay_alu instid0(VALU_DEP_1)
	v_add_nc_u32_e32 v2, v2, v0
	s_mov_b32 s9, -1
.LBB2025_42:
	s_delay_alu instid0(SALU_CYCLE_1)
	s_and_b32 exec_lo, exec_lo, s9
	s_cbranch_execz .LBB2025_44
; %bb.43:
	s_wait_loadcnt 0x0
	global_store_b16 v2, v1, s[6:7] scale_offset
.LBB2025_44:
	s_endpgm
	.section	.rodata,"a",@progbits
	.p2align	6, 0x0
	.amdhsa_kernel _ZN7rocprim17ROCPRIM_400000_NS6detail17trampoline_kernelINS0_14default_configENS1_38merge_sort_block_merge_config_selectorI12hip_bfloat16NS0_10empty_typeEEEZZNS1_27merge_sort_block_merge_implIS3_PS5_PS6_jNS1_19radix_merge_compareILb0ELb0ES5_NS0_19identity_decomposerEEEEE10hipError_tT0_T1_T2_jT3_P12ihipStream_tbPNSt15iterator_traitsISF_E10value_typeEPNSL_ISG_E10value_typeEPSH_NS1_7vsmem_tEENKUlT_SF_SG_SH_E_clIS9_S9_SA_SA_EESE_SU_SF_SG_SH_EUlSU_E1_NS1_11comp_targetILNS1_3genE0ELNS1_11target_archE4294967295ELNS1_3gpuE0ELNS1_3repE0EEENS1_36merge_oddeven_config_static_selectorELNS0_4arch9wavefront6targetE0EEEvSG_
		.amdhsa_group_segment_fixed_size 0
		.amdhsa_private_segment_fixed_size 0
		.amdhsa_kernarg_size 48
		.amdhsa_user_sgpr_count 2
		.amdhsa_user_sgpr_dispatch_ptr 0
		.amdhsa_user_sgpr_queue_ptr 0
		.amdhsa_user_sgpr_kernarg_segment_ptr 1
		.amdhsa_user_sgpr_dispatch_id 0
		.amdhsa_user_sgpr_kernarg_preload_length 0
		.amdhsa_user_sgpr_kernarg_preload_offset 0
		.amdhsa_user_sgpr_private_segment_size 0
		.amdhsa_wavefront_size32 1
		.amdhsa_uses_dynamic_stack 0
		.amdhsa_enable_private_segment 0
		.amdhsa_system_sgpr_workgroup_id_x 1
		.amdhsa_system_sgpr_workgroup_id_y 0
		.amdhsa_system_sgpr_workgroup_id_z 0
		.amdhsa_system_sgpr_workgroup_info 0
		.amdhsa_system_vgpr_workitem_id 0
		.amdhsa_next_free_vgpr 9
		.amdhsa_next_free_sgpr 16
		.amdhsa_named_barrier_count 0
		.amdhsa_reserve_vcc 1
		.amdhsa_float_round_mode_32 0
		.amdhsa_float_round_mode_16_64 0
		.amdhsa_float_denorm_mode_32 3
		.amdhsa_float_denorm_mode_16_64 3
		.amdhsa_fp16_overflow 0
		.amdhsa_memory_ordered 1
		.amdhsa_forward_progress 1
		.amdhsa_inst_pref_size 11
		.amdhsa_round_robin_scheduling 0
		.amdhsa_exception_fp_ieee_invalid_op 0
		.amdhsa_exception_fp_denorm_src 0
		.amdhsa_exception_fp_ieee_div_zero 0
		.amdhsa_exception_fp_ieee_overflow 0
		.amdhsa_exception_fp_ieee_underflow 0
		.amdhsa_exception_fp_ieee_inexact 0
		.amdhsa_exception_int_div_zero 0
	.end_amdhsa_kernel
	.section	.text._ZN7rocprim17ROCPRIM_400000_NS6detail17trampoline_kernelINS0_14default_configENS1_38merge_sort_block_merge_config_selectorI12hip_bfloat16NS0_10empty_typeEEEZZNS1_27merge_sort_block_merge_implIS3_PS5_PS6_jNS1_19radix_merge_compareILb0ELb0ES5_NS0_19identity_decomposerEEEEE10hipError_tT0_T1_T2_jT3_P12ihipStream_tbPNSt15iterator_traitsISF_E10value_typeEPNSL_ISG_E10value_typeEPSH_NS1_7vsmem_tEENKUlT_SF_SG_SH_E_clIS9_S9_SA_SA_EESE_SU_SF_SG_SH_EUlSU_E1_NS1_11comp_targetILNS1_3genE0ELNS1_11target_archE4294967295ELNS1_3gpuE0ELNS1_3repE0EEENS1_36merge_oddeven_config_static_selectorELNS0_4arch9wavefront6targetE0EEEvSG_,"axG",@progbits,_ZN7rocprim17ROCPRIM_400000_NS6detail17trampoline_kernelINS0_14default_configENS1_38merge_sort_block_merge_config_selectorI12hip_bfloat16NS0_10empty_typeEEEZZNS1_27merge_sort_block_merge_implIS3_PS5_PS6_jNS1_19radix_merge_compareILb0ELb0ES5_NS0_19identity_decomposerEEEEE10hipError_tT0_T1_T2_jT3_P12ihipStream_tbPNSt15iterator_traitsISF_E10value_typeEPNSL_ISG_E10value_typeEPSH_NS1_7vsmem_tEENKUlT_SF_SG_SH_E_clIS9_S9_SA_SA_EESE_SU_SF_SG_SH_EUlSU_E1_NS1_11comp_targetILNS1_3genE0ELNS1_11target_archE4294967295ELNS1_3gpuE0ELNS1_3repE0EEENS1_36merge_oddeven_config_static_selectorELNS0_4arch9wavefront6targetE0EEEvSG_,comdat
.Lfunc_end2025:
	.size	_ZN7rocprim17ROCPRIM_400000_NS6detail17trampoline_kernelINS0_14default_configENS1_38merge_sort_block_merge_config_selectorI12hip_bfloat16NS0_10empty_typeEEEZZNS1_27merge_sort_block_merge_implIS3_PS5_PS6_jNS1_19radix_merge_compareILb0ELb0ES5_NS0_19identity_decomposerEEEEE10hipError_tT0_T1_T2_jT3_P12ihipStream_tbPNSt15iterator_traitsISF_E10value_typeEPNSL_ISG_E10value_typeEPSH_NS1_7vsmem_tEENKUlT_SF_SG_SH_E_clIS9_S9_SA_SA_EESE_SU_SF_SG_SH_EUlSU_E1_NS1_11comp_targetILNS1_3genE0ELNS1_11target_archE4294967295ELNS1_3gpuE0ELNS1_3repE0EEENS1_36merge_oddeven_config_static_selectorELNS0_4arch9wavefront6targetE0EEEvSG_, .Lfunc_end2025-_ZN7rocprim17ROCPRIM_400000_NS6detail17trampoline_kernelINS0_14default_configENS1_38merge_sort_block_merge_config_selectorI12hip_bfloat16NS0_10empty_typeEEEZZNS1_27merge_sort_block_merge_implIS3_PS5_PS6_jNS1_19radix_merge_compareILb0ELb0ES5_NS0_19identity_decomposerEEEEE10hipError_tT0_T1_T2_jT3_P12ihipStream_tbPNSt15iterator_traitsISF_E10value_typeEPNSL_ISG_E10value_typeEPSH_NS1_7vsmem_tEENKUlT_SF_SG_SH_E_clIS9_S9_SA_SA_EESE_SU_SF_SG_SH_EUlSU_E1_NS1_11comp_targetILNS1_3genE0ELNS1_11target_archE4294967295ELNS1_3gpuE0ELNS1_3repE0EEENS1_36merge_oddeven_config_static_selectorELNS0_4arch9wavefront6targetE0EEEvSG_
                                        ; -- End function
	.set _ZN7rocprim17ROCPRIM_400000_NS6detail17trampoline_kernelINS0_14default_configENS1_38merge_sort_block_merge_config_selectorI12hip_bfloat16NS0_10empty_typeEEEZZNS1_27merge_sort_block_merge_implIS3_PS5_PS6_jNS1_19radix_merge_compareILb0ELb0ES5_NS0_19identity_decomposerEEEEE10hipError_tT0_T1_T2_jT3_P12ihipStream_tbPNSt15iterator_traitsISF_E10value_typeEPNSL_ISG_E10value_typeEPSH_NS1_7vsmem_tEENKUlT_SF_SG_SH_E_clIS9_S9_SA_SA_EESE_SU_SF_SG_SH_EUlSU_E1_NS1_11comp_targetILNS1_3genE0ELNS1_11target_archE4294967295ELNS1_3gpuE0ELNS1_3repE0EEENS1_36merge_oddeven_config_static_selectorELNS0_4arch9wavefront6targetE0EEEvSG_.num_vgpr, 9
	.set _ZN7rocprim17ROCPRIM_400000_NS6detail17trampoline_kernelINS0_14default_configENS1_38merge_sort_block_merge_config_selectorI12hip_bfloat16NS0_10empty_typeEEEZZNS1_27merge_sort_block_merge_implIS3_PS5_PS6_jNS1_19radix_merge_compareILb0ELb0ES5_NS0_19identity_decomposerEEEEE10hipError_tT0_T1_T2_jT3_P12ihipStream_tbPNSt15iterator_traitsISF_E10value_typeEPNSL_ISG_E10value_typeEPSH_NS1_7vsmem_tEENKUlT_SF_SG_SH_E_clIS9_S9_SA_SA_EESE_SU_SF_SG_SH_EUlSU_E1_NS1_11comp_targetILNS1_3genE0ELNS1_11target_archE4294967295ELNS1_3gpuE0ELNS1_3repE0EEENS1_36merge_oddeven_config_static_selectorELNS0_4arch9wavefront6targetE0EEEvSG_.num_agpr, 0
	.set _ZN7rocprim17ROCPRIM_400000_NS6detail17trampoline_kernelINS0_14default_configENS1_38merge_sort_block_merge_config_selectorI12hip_bfloat16NS0_10empty_typeEEEZZNS1_27merge_sort_block_merge_implIS3_PS5_PS6_jNS1_19radix_merge_compareILb0ELb0ES5_NS0_19identity_decomposerEEEEE10hipError_tT0_T1_T2_jT3_P12ihipStream_tbPNSt15iterator_traitsISF_E10value_typeEPNSL_ISG_E10value_typeEPSH_NS1_7vsmem_tEENKUlT_SF_SG_SH_E_clIS9_S9_SA_SA_EESE_SU_SF_SG_SH_EUlSU_E1_NS1_11comp_targetILNS1_3genE0ELNS1_11target_archE4294967295ELNS1_3gpuE0ELNS1_3repE0EEENS1_36merge_oddeven_config_static_selectorELNS0_4arch9wavefront6targetE0EEEvSG_.numbered_sgpr, 16
	.set _ZN7rocprim17ROCPRIM_400000_NS6detail17trampoline_kernelINS0_14default_configENS1_38merge_sort_block_merge_config_selectorI12hip_bfloat16NS0_10empty_typeEEEZZNS1_27merge_sort_block_merge_implIS3_PS5_PS6_jNS1_19radix_merge_compareILb0ELb0ES5_NS0_19identity_decomposerEEEEE10hipError_tT0_T1_T2_jT3_P12ihipStream_tbPNSt15iterator_traitsISF_E10value_typeEPNSL_ISG_E10value_typeEPSH_NS1_7vsmem_tEENKUlT_SF_SG_SH_E_clIS9_S9_SA_SA_EESE_SU_SF_SG_SH_EUlSU_E1_NS1_11comp_targetILNS1_3genE0ELNS1_11target_archE4294967295ELNS1_3gpuE0ELNS1_3repE0EEENS1_36merge_oddeven_config_static_selectorELNS0_4arch9wavefront6targetE0EEEvSG_.num_named_barrier, 0
	.set _ZN7rocprim17ROCPRIM_400000_NS6detail17trampoline_kernelINS0_14default_configENS1_38merge_sort_block_merge_config_selectorI12hip_bfloat16NS0_10empty_typeEEEZZNS1_27merge_sort_block_merge_implIS3_PS5_PS6_jNS1_19radix_merge_compareILb0ELb0ES5_NS0_19identity_decomposerEEEEE10hipError_tT0_T1_T2_jT3_P12ihipStream_tbPNSt15iterator_traitsISF_E10value_typeEPNSL_ISG_E10value_typeEPSH_NS1_7vsmem_tEENKUlT_SF_SG_SH_E_clIS9_S9_SA_SA_EESE_SU_SF_SG_SH_EUlSU_E1_NS1_11comp_targetILNS1_3genE0ELNS1_11target_archE4294967295ELNS1_3gpuE0ELNS1_3repE0EEENS1_36merge_oddeven_config_static_selectorELNS0_4arch9wavefront6targetE0EEEvSG_.private_seg_size, 0
	.set _ZN7rocprim17ROCPRIM_400000_NS6detail17trampoline_kernelINS0_14default_configENS1_38merge_sort_block_merge_config_selectorI12hip_bfloat16NS0_10empty_typeEEEZZNS1_27merge_sort_block_merge_implIS3_PS5_PS6_jNS1_19radix_merge_compareILb0ELb0ES5_NS0_19identity_decomposerEEEEE10hipError_tT0_T1_T2_jT3_P12ihipStream_tbPNSt15iterator_traitsISF_E10value_typeEPNSL_ISG_E10value_typeEPSH_NS1_7vsmem_tEENKUlT_SF_SG_SH_E_clIS9_S9_SA_SA_EESE_SU_SF_SG_SH_EUlSU_E1_NS1_11comp_targetILNS1_3genE0ELNS1_11target_archE4294967295ELNS1_3gpuE0ELNS1_3repE0EEENS1_36merge_oddeven_config_static_selectorELNS0_4arch9wavefront6targetE0EEEvSG_.uses_vcc, 1
	.set _ZN7rocprim17ROCPRIM_400000_NS6detail17trampoline_kernelINS0_14default_configENS1_38merge_sort_block_merge_config_selectorI12hip_bfloat16NS0_10empty_typeEEEZZNS1_27merge_sort_block_merge_implIS3_PS5_PS6_jNS1_19radix_merge_compareILb0ELb0ES5_NS0_19identity_decomposerEEEEE10hipError_tT0_T1_T2_jT3_P12ihipStream_tbPNSt15iterator_traitsISF_E10value_typeEPNSL_ISG_E10value_typeEPSH_NS1_7vsmem_tEENKUlT_SF_SG_SH_E_clIS9_S9_SA_SA_EESE_SU_SF_SG_SH_EUlSU_E1_NS1_11comp_targetILNS1_3genE0ELNS1_11target_archE4294967295ELNS1_3gpuE0ELNS1_3repE0EEENS1_36merge_oddeven_config_static_selectorELNS0_4arch9wavefront6targetE0EEEvSG_.uses_flat_scratch, 0
	.set _ZN7rocprim17ROCPRIM_400000_NS6detail17trampoline_kernelINS0_14default_configENS1_38merge_sort_block_merge_config_selectorI12hip_bfloat16NS0_10empty_typeEEEZZNS1_27merge_sort_block_merge_implIS3_PS5_PS6_jNS1_19radix_merge_compareILb0ELb0ES5_NS0_19identity_decomposerEEEEE10hipError_tT0_T1_T2_jT3_P12ihipStream_tbPNSt15iterator_traitsISF_E10value_typeEPNSL_ISG_E10value_typeEPSH_NS1_7vsmem_tEENKUlT_SF_SG_SH_E_clIS9_S9_SA_SA_EESE_SU_SF_SG_SH_EUlSU_E1_NS1_11comp_targetILNS1_3genE0ELNS1_11target_archE4294967295ELNS1_3gpuE0ELNS1_3repE0EEENS1_36merge_oddeven_config_static_selectorELNS0_4arch9wavefront6targetE0EEEvSG_.has_dyn_sized_stack, 0
	.set _ZN7rocprim17ROCPRIM_400000_NS6detail17trampoline_kernelINS0_14default_configENS1_38merge_sort_block_merge_config_selectorI12hip_bfloat16NS0_10empty_typeEEEZZNS1_27merge_sort_block_merge_implIS3_PS5_PS6_jNS1_19radix_merge_compareILb0ELb0ES5_NS0_19identity_decomposerEEEEE10hipError_tT0_T1_T2_jT3_P12ihipStream_tbPNSt15iterator_traitsISF_E10value_typeEPNSL_ISG_E10value_typeEPSH_NS1_7vsmem_tEENKUlT_SF_SG_SH_E_clIS9_S9_SA_SA_EESE_SU_SF_SG_SH_EUlSU_E1_NS1_11comp_targetILNS1_3genE0ELNS1_11target_archE4294967295ELNS1_3gpuE0ELNS1_3repE0EEENS1_36merge_oddeven_config_static_selectorELNS0_4arch9wavefront6targetE0EEEvSG_.has_recursion, 0
	.set _ZN7rocprim17ROCPRIM_400000_NS6detail17trampoline_kernelINS0_14default_configENS1_38merge_sort_block_merge_config_selectorI12hip_bfloat16NS0_10empty_typeEEEZZNS1_27merge_sort_block_merge_implIS3_PS5_PS6_jNS1_19radix_merge_compareILb0ELb0ES5_NS0_19identity_decomposerEEEEE10hipError_tT0_T1_T2_jT3_P12ihipStream_tbPNSt15iterator_traitsISF_E10value_typeEPNSL_ISG_E10value_typeEPSH_NS1_7vsmem_tEENKUlT_SF_SG_SH_E_clIS9_S9_SA_SA_EESE_SU_SF_SG_SH_EUlSU_E1_NS1_11comp_targetILNS1_3genE0ELNS1_11target_archE4294967295ELNS1_3gpuE0ELNS1_3repE0EEENS1_36merge_oddeven_config_static_selectorELNS0_4arch9wavefront6targetE0EEEvSG_.has_indirect_call, 0
	.section	.AMDGPU.csdata,"",@progbits
; Kernel info:
; codeLenInByte = 1404
; TotalNumSgprs: 18
; NumVgprs: 9
; ScratchSize: 0
; MemoryBound: 0
; FloatMode: 240
; IeeeMode: 1
; LDSByteSize: 0 bytes/workgroup (compile time only)
; SGPRBlocks: 0
; VGPRBlocks: 0
; NumSGPRsForWavesPerEU: 18
; NumVGPRsForWavesPerEU: 9
; NamedBarCnt: 0
; Occupancy: 16
; WaveLimiterHint : 0
; COMPUTE_PGM_RSRC2:SCRATCH_EN: 0
; COMPUTE_PGM_RSRC2:USER_SGPR: 2
; COMPUTE_PGM_RSRC2:TRAP_HANDLER: 0
; COMPUTE_PGM_RSRC2:TGID_X_EN: 1
; COMPUTE_PGM_RSRC2:TGID_Y_EN: 0
; COMPUTE_PGM_RSRC2:TGID_Z_EN: 0
; COMPUTE_PGM_RSRC2:TIDIG_COMP_CNT: 0
	.section	.text._ZN7rocprim17ROCPRIM_400000_NS6detail17trampoline_kernelINS0_14default_configENS1_38merge_sort_block_merge_config_selectorI12hip_bfloat16NS0_10empty_typeEEEZZNS1_27merge_sort_block_merge_implIS3_PS5_PS6_jNS1_19radix_merge_compareILb0ELb0ES5_NS0_19identity_decomposerEEEEE10hipError_tT0_T1_T2_jT3_P12ihipStream_tbPNSt15iterator_traitsISF_E10value_typeEPNSL_ISG_E10value_typeEPSH_NS1_7vsmem_tEENKUlT_SF_SG_SH_E_clIS9_S9_SA_SA_EESE_SU_SF_SG_SH_EUlSU_E1_NS1_11comp_targetILNS1_3genE10ELNS1_11target_archE1201ELNS1_3gpuE5ELNS1_3repE0EEENS1_36merge_oddeven_config_static_selectorELNS0_4arch9wavefront6targetE0EEEvSG_,"axG",@progbits,_ZN7rocprim17ROCPRIM_400000_NS6detail17trampoline_kernelINS0_14default_configENS1_38merge_sort_block_merge_config_selectorI12hip_bfloat16NS0_10empty_typeEEEZZNS1_27merge_sort_block_merge_implIS3_PS5_PS6_jNS1_19radix_merge_compareILb0ELb0ES5_NS0_19identity_decomposerEEEEE10hipError_tT0_T1_T2_jT3_P12ihipStream_tbPNSt15iterator_traitsISF_E10value_typeEPNSL_ISG_E10value_typeEPSH_NS1_7vsmem_tEENKUlT_SF_SG_SH_E_clIS9_S9_SA_SA_EESE_SU_SF_SG_SH_EUlSU_E1_NS1_11comp_targetILNS1_3genE10ELNS1_11target_archE1201ELNS1_3gpuE5ELNS1_3repE0EEENS1_36merge_oddeven_config_static_selectorELNS0_4arch9wavefront6targetE0EEEvSG_,comdat
	.protected	_ZN7rocprim17ROCPRIM_400000_NS6detail17trampoline_kernelINS0_14default_configENS1_38merge_sort_block_merge_config_selectorI12hip_bfloat16NS0_10empty_typeEEEZZNS1_27merge_sort_block_merge_implIS3_PS5_PS6_jNS1_19radix_merge_compareILb0ELb0ES5_NS0_19identity_decomposerEEEEE10hipError_tT0_T1_T2_jT3_P12ihipStream_tbPNSt15iterator_traitsISF_E10value_typeEPNSL_ISG_E10value_typeEPSH_NS1_7vsmem_tEENKUlT_SF_SG_SH_E_clIS9_S9_SA_SA_EESE_SU_SF_SG_SH_EUlSU_E1_NS1_11comp_targetILNS1_3genE10ELNS1_11target_archE1201ELNS1_3gpuE5ELNS1_3repE0EEENS1_36merge_oddeven_config_static_selectorELNS0_4arch9wavefront6targetE0EEEvSG_ ; -- Begin function _ZN7rocprim17ROCPRIM_400000_NS6detail17trampoline_kernelINS0_14default_configENS1_38merge_sort_block_merge_config_selectorI12hip_bfloat16NS0_10empty_typeEEEZZNS1_27merge_sort_block_merge_implIS3_PS5_PS6_jNS1_19radix_merge_compareILb0ELb0ES5_NS0_19identity_decomposerEEEEE10hipError_tT0_T1_T2_jT3_P12ihipStream_tbPNSt15iterator_traitsISF_E10value_typeEPNSL_ISG_E10value_typeEPSH_NS1_7vsmem_tEENKUlT_SF_SG_SH_E_clIS9_S9_SA_SA_EESE_SU_SF_SG_SH_EUlSU_E1_NS1_11comp_targetILNS1_3genE10ELNS1_11target_archE1201ELNS1_3gpuE5ELNS1_3repE0EEENS1_36merge_oddeven_config_static_selectorELNS0_4arch9wavefront6targetE0EEEvSG_
	.globl	_ZN7rocprim17ROCPRIM_400000_NS6detail17trampoline_kernelINS0_14default_configENS1_38merge_sort_block_merge_config_selectorI12hip_bfloat16NS0_10empty_typeEEEZZNS1_27merge_sort_block_merge_implIS3_PS5_PS6_jNS1_19radix_merge_compareILb0ELb0ES5_NS0_19identity_decomposerEEEEE10hipError_tT0_T1_T2_jT3_P12ihipStream_tbPNSt15iterator_traitsISF_E10value_typeEPNSL_ISG_E10value_typeEPSH_NS1_7vsmem_tEENKUlT_SF_SG_SH_E_clIS9_S9_SA_SA_EESE_SU_SF_SG_SH_EUlSU_E1_NS1_11comp_targetILNS1_3genE10ELNS1_11target_archE1201ELNS1_3gpuE5ELNS1_3repE0EEENS1_36merge_oddeven_config_static_selectorELNS0_4arch9wavefront6targetE0EEEvSG_
	.p2align	8
	.type	_ZN7rocprim17ROCPRIM_400000_NS6detail17trampoline_kernelINS0_14default_configENS1_38merge_sort_block_merge_config_selectorI12hip_bfloat16NS0_10empty_typeEEEZZNS1_27merge_sort_block_merge_implIS3_PS5_PS6_jNS1_19radix_merge_compareILb0ELb0ES5_NS0_19identity_decomposerEEEEE10hipError_tT0_T1_T2_jT3_P12ihipStream_tbPNSt15iterator_traitsISF_E10value_typeEPNSL_ISG_E10value_typeEPSH_NS1_7vsmem_tEENKUlT_SF_SG_SH_E_clIS9_S9_SA_SA_EESE_SU_SF_SG_SH_EUlSU_E1_NS1_11comp_targetILNS1_3genE10ELNS1_11target_archE1201ELNS1_3gpuE5ELNS1_3repE0EEENS1_36merge_oddeven_config_static_selectorELNS0_4arch9wavefront6targetE0EEEvSG_,@function
_ZN7rocprim17ROCPRIM_400000_NS6detail17trampoline_kernelINS0_14default_configENS1_38merge_sort_block_merge_config_selectorI12hip_bfloat16NS0_10empty_typeEEEZZNS1_27merge_sort_block_merge_implIS3_PS5_PS6_jNS1_19radix_merge_compareILb0ELb0ES5_NS0_19identity_decomposerEEEEE10hipError_tT0_T1_T2_jT3_P12ihipStream_tbPNSt15iterator_traitsISF_E10value_typeEPNSL_ISG_E10value_typeEPSH_NS1_7vsmem_tEENKUlT_SF_SG_SH_E_clIS9_S9_SA_SA_EESE_SU_SF_SG_SH_EUlSU_E1_NS1_11comp_targetILNS1_3genE10ELNS1_11target_archE1201ELNS1_3gpuE5ELNS1_3repE0EEENS1_36merge_oddeven_config_static_selectorELNS0_4arch9wavefront6targetE0EEEvSG_: ; @_ZN7rocprim17ROCPRIM_400000_NS6detail17trampoline_kernelINS0_14default_configENS1_38merge_sort_block_merge_config_selectorI12hip_bfloat16NS0_10empty_typeEEEZZNS1_27merge_sort_block_merge_implIS3_PS5_PS6_jNS1_19radix_merge_compareILb0ELb0ES5_NS0_19identity_decomposerEEEEE10hipError_tT0_T1_T2_jT3_P12ihipStream_tbPNSt15iterator_traitsISF_E10value_typeEPNSL_ISG_E10value_typeEPSH_NS1_7vsmem_tEENKUlT_SF_SG_SH_E_clIS9_S9_SA_SA_EESE_SU_SF_SG_SH_EUlSU_E1_NS1_11comp_targetILNS1_3genE10ELNS1_11target_archE1201ELNS1_3gpuE5ELNS1_3repE0EEENS1_36merge_oddeven_config_static_selectorELNS0_4arch9wavefront6targetE0EEEvSG_
; %bb.0:
	.section	.rodata,"a",@progbits
	.p2align	6, 0x0
	.amdhsa_kernel _ZN7rocprim17ROCPRIM_400000_NS6detail17trampoline_kernelINS0_14default_configENS1_38merge_sort_block_merge_config_selectorI12hip_bfloat16NS0_10empty_typeEEEZZNS1_27merge_sort_block_merge_implIS3_PS5_PS6_jNS1_19radix_merge_compareILb0ELb0ES5_NS0_19identity_decomposerEEEEE10hipError_tT0_T1_T2_jT3_P12ihipStream_tbPNSt15iterator_traitsISF_E10value_typeEPNSL_ISG_E10value_typeEPSH_NS1_7vsmem_tEENKUlT_SF_SG_SH_E_clIS9_S9_SA_SA_EESE_SU_SF_SG_SH_EUlSU_E1_NS1_11comp_targetILNS1_3genE10ELNS1_11target_archE1201ELNS1_3gpuE5ELNS1_3repE0EEENS1_36merge_oddeven_config_static_selectorELNS0_4arch9wavefront6targetE0EEEvSG_
		.amdhsa_group_segment_fixed_size 0
		.amdhsa_private_segment_fixed_size 0
		.amdhsa_kernarg_size 48
		.amdhsa_user_sgpr_count 2
		.amdhsa_user_sgpr_dispatch_ptr 0
		.amdhsa_user_sgpr_queue_ptr 0
		.amdhsa_user_sgpr_kernarg_segment_ptr 1
		.amdhsa_user_sgpr_dispatch_id 0
		.amdhsa_user_sgpr_kernarg_preload_length 0
		.amdhsa_user_sgpr_kernarg_preload_offset 0
		.amdhsa_user_sgpr_private_segment_size 0
		.amdhsa_wavefront_size32 1
		.amdhsa_uses_dynamic_stack 0
		.amdhsa_enable_private_segment 0
		.amdhsa_system_sgpr_workgroup_id_x 1
		.amdhsa_system_sgpr_workgroup_id_y 0
		.amdhsa_system_sgpr_workgroup_id_z 0
		.amdhsa_system_sgpr_workgroup_info 0
		.amdhsa_system_vgpr_workitem_id 0
		.amdhsa_next_free_vgpr 1
		.amdhsa_next_free_sgpr 1
		.amdhsa_named_barrier_count 0
		.amdhsa_reserve_vcc 0
		.amdhsa_float_round_mode_32 0
		.amdhsa_float_round_mode_16_64 0
		.amdhsa_float_denorm_mode_32 3
		.amdhsa_float_denorm_mode_16_64 3
		.amdhsa_fp16_overflow 0
		.amdhsa_memory_ordered 1
		.amdhsa_forward_progress 1
		.amdhsa_inst_pref_size 0
		.amdhsa_round_robin_scheduling 0
		.amdhsa_exception_fp_ieee_invalid_op 0
		.amdhsa_exception_fp_denorm_src 0
		.amdhsa_exception_fp_ieee_div_zero 0
		.amdhsa_exception_fp_ieee_overflow 0
		.amdhsa_exception_fp_ieee_underflow 0
		.amdhsa_exception_fp_ieee_inexact 0
		.amdhsa_exception_int_div_zero 0
	.end_amdhsa_kernel
	.section	.text._ZN7rocprim17ROCPRIM_400000_NS6detail17trampoline_kernelINS0_14default_configENS1_38merge_sort_block_merge_config_selectorI12hip_bfloat16NS0_10empty_typeEEEZZNS1_27merge_sort_block_merge_implIS3_PS5_PS6_jNS1_19radix_merge_compareILb0ELb0ES5_NS0_19identity_decomposerEEEEE10hipError_tT0_T1_T2_jT3_P12ihipStream_tbPNSt15iterator_traitsISF_E10value_typeEPNSL_ISG_E10value_typeEPSH_NS1_7vsmem_tEENKUlT_SF_SG_SH_E_clIS9_S9_SA_SA_EESE_SU_SF_SG_SH_EUlSU_E1_NS1_11comp_targetILNS1_3genE10ELNS1_11target_archE1201ELNS1_3gpuE5ELNS1_3repE0EEENS1_36merge_oddeven_config_static_selectorELNS0_4arch9wavefront6targetE0EEEvSG_,"axG",@progbits,_ZN7rocprim17ROCPRIM_400000_NS6detail17trampoline_kernelINS0_14default_configENS1_38merge_sort_block_merge_config_selectorI12hip_bfloat16NS0_10empty_typeEEEZZNS1_27merge_sort_block_merge_implIS3_PS5_PS6_jNS1_19radix_merge_compareILb0ELb0ES5_NS0_19identity_decomposerEEEEE10hipError_tT0_T1_T2_jT3_P12ihipStream_tbPNSt15iterator_traitsISF_E10value_typeEPNSL_ISG_E10value_typeEPSH_NS1_7vsmem_tEENKUlT_SF_SG_SH_E_clIS9_S9_SA_SA_EESE_SU_SF_SG_SH_EUlSU_E1_NS1_11comp_targetILNS1_3genE10ELNS1_11target_archE1201ELNS1_3gpuE5ELNS1_3repE0EEENS1_36merge_oddeven_config_static_selectorELNS0_4arch9wavefront6targetE0EEEvSG_,comdat
.Lfunc_end2026:
	.size	_ZN7rocprim17ROCPRIM_400000_NS6detail17trampoline_kernelINS0_14default_configENS1_38merge_sort_block_merge_config_selectorI12hip_bfloat16NS0_10empty_typeEEEZZNS1_27merge_sort_block_merge_implIS3_PS5_PS6_jNS1_19radix_merge_compareILb0ELb0ES5_NS0_19identity_decomposerEEEEE10hipError_tT0_T1_T2_jT3_P12ihipStream_tbPNSt15iterator_traitsISF_E10value_typeEPNSL_ISG_E10value_typeEPSH_NS1_7vsmem_tEENKUlT_SF_SG_SH_E_clIS9_S9_SA_SA_EESE_SU_SF_SG_SH_EUlSU_E1_NS1_11comp_targetILNS1_3genE10ELNS1_11target_archE1201ELNS1_3gpuE5ELNS1_3repE0EEENS1_36merge_oddeven_config_static_selectorELNS0_4arch9wavefront6targetE0EEEvSG_, .Lfunc_end2026-_ZN7rocprim17ROCPRIM_400000_NS6detail17trampoline_kernelINS0_14default_configENS1_38merge_sort_block_merge_config_selectorI12hip_bfloat16NS0_10empty_typeEEEZZNS1_27merge_sort_block_merge_implIS3_PS5_PS6_jNS1_19radix_merge_compareILb0ELb0ES5_NS0_19identity_decomposerEEEEE10hipError_tT0_T1_T2_jT3_P12ihipStream_tbPNSt15iterator_traitsISF_E10value_typeEPNSL_ISG_E10value_typeEPSH_NS1_7vsmem_tEENKUlT_SF_SG_SH_E_clIS9_S9_SA_SA_EESE_SU_SF_SG_SH_EUlSU_E1_NS1_11comp_targetILNS1_3genE10ELNS1_11target_archE1201ELNS1_3gpuE5ELNS1_3repE0EEENS1_36merge_oddeven_config_static_selectorELNS0_4arch9wavefront6targetE0EEEvSG_
                                        ; -- End function
	.set _ZN7rocprim17ROCPRIM_400000_NS6detail17trampoline_kernelINS0_14default_configENS1_38merge_sort_block_merge_config_selectorI12hip_bfloat16NS0_10empty_typeEEEZZNS1_27merge_sort_block_merge_implIS3_PS5_PS6_jNS1_19radix_merge_compareILb0ELb0ES5_NS0_19identity_decomposerEEEEE10hipError_tT0_T1_T2_jT3_P12ihipStream_tbPNSt15iterator_traitsISF_E10value_typeEPNSL_ISG_E10value_typeEPSH_NS1_7vsmem_tEENKUlT_SF_SG_SH_E_clIS9_S9_SA_SA_EESE_SU_SF_SG_SH_EUlSU_E1_NS1_11comp_targetILNS1_3genE10ELNS1_11target_archE1201ELNS1_3gpuE5ELNS1_3repE0EEENS1_36merge_oddeven_config_static_selectorELNS0_4arch9wavefront6targetE0EEEvSG_.num_vgpr, 0
	.set _ZN7rocprim17ROCPRIM_400000_NS6detail17trampoline_kernelINS0_14default_configENS1_38merge_sort_block_merge_config_selectorI12hip_bfloat16NS0_10empty_typeEEEZZNS1_27merge_sort_block_merge_implIS3_PS5_PS6_jNS1_19radix_merge_compareILb0ELb0ES5_NS0_19identity_decomposerEEEEE10hipError_tT0_T1_T2_jT3_P12ihipStream_tbPNSt15iterator_traitsISF_E10value_typeEPNSL_ISG_E10value_typeEPSH_NS1_7vsmem_tEENKUlT_SF_SG_SH_E_clIS9_S9_SA_SA_EESE_SU_SF_SG_SH_EUlSU_E1_NS1_11comp_targetILNS1_3genE10ELNS1_11target_archE1201ELNS1_3gpuE5ELNS1_3repE0EEENS1_36merge_oddeven_config_static_selectorELNS0_4arch9wavefront6targetE0EEEvSG_.num_agpr, 0
	.set _ZN7rocprim17ROCPRIM_400000_NS6detail17trampoline_kernelINS0_14default_configENS1_38merge_sort_block_merge_config_selectorI12hip_bfloat16NS0_10empty_typeEEEZZNS1_27merge_sort_block_merge_implIS3_PS5_PS6_jNS1_19radix_merge_compareILb0ELb0ES5_NS0_19identity_decomposerEEEEE10hipError_tT0_T1_T2_jT3_P12ihipStream_tbPNSt15iterator_traitsISF_E10value_typeEPNSL_ISG_E10value_typeEPSH_NS1_7vsmem_tEENKUlT_SF_SG_SH_E_clIS9_S9_SA_SA_EESE_SU_SF_SG_SH_EUlSU_E1_NS1_11comp_targetILNS1_3genE10ELNS1_11target_archE1201ELNS1_3gpuE5ELNS1_3repE0EEENS1_36merge_oddeven_config_static_selectorELNS0_4arch9wavefront6targetE0EEEvSG_.numbered_sgpr, 0
	.set _ZN7rocprim17ROCPRIM_400000_NS6detail17trampoline_kernelINS0_14default_configENS1_38merge_sort_block_merge_config_selectorI12hip_bfloat16NS0_10empty_typeEEEZZNS1_27merge_sort_block_merge_implIS3_PS5_PS6_jNS1_19radix_merge_compareILb0ELb0ES5_NS0_19identity_decomposerEEEEE10hipError_tT0_T1_T2_jT3_P12ihipStream_tbPNSt15iterator_traitsISF_E10value_typeEPNSL_ISG_E10value_typeEPSH_NS1_7vsmem_tEENKUlT_SF_SG_SH_E_clIS9_S9_SA_SA_EESE_SU_SF_SG_SH_EUlSU_E1_NS1_11comp_targetILNS1_3genE10ELNS1_11target_archE1201ELNS1_3gpuE5ELNS1_3repE0EEENS1_36merge_oddeven_config_static_selectorELNS0_4arch9wavefront6targetE0EEEvSG_.num_named_barrier, 0
	.set _ZN7rocprim17ROCPRIM_400000_NS6detail17trampoline_kernelINS0_14default_configENS1_38merge_sort_block_merge_config_selectorI12hip_bfloat16NS0_10empty_typeEEEZZNS1_27merge_sort_block_merge_implIS3_PS5_PS6_jNS1_19radix_merge_compareILb0ELb0ES5_NS0_19identity_decomposerEEEEE10hipError_tT0_T1_T2_jT3_P12ihipStream_tbPNSt15iterator_traitsISF_E10value_typeEPNSL_ISG_E10value_typeEPSH_NS1_7vsmem_tEENKUlT_SF_SG_SH_E_clIS9_S9_SA_SA_EESE_SU_SF_SG_SH_EUlSU_E1_NS1_11comp_targetILNS1_3genE10ELNS1_11target_archE1201ELNS1_3gpuE5ELNS1_3repE0EEENS1_36merge_oddeven_config_static_selectorELNS0_4arch9wavefront6targetE0EEEvSG_.private_seg_size, 0
	.set _ZN7rocprim17ROCPRIM_400000_NS6detail17trampoline_kernelINS0_14default_configENS1_38merge_sort_block_merge_config_selectorI12hip_bfloat16NS0_10empty_typeEEEZZNS1_27merge_sort_block_merge_implIS3_PS5_PS6_jNS1_19radix_merge_compareILb0ELb0ES5_NS0_19identity_decomposerEEEEE10hipError_tT0_T1_T2_jT3_P12ihipStream_tbPNSt15iterator_traitsISF_E10value_typeEPNSL_ISG_E10value_typeEPSH_NS1_7vsmem_tEENKUlT_SF_SG_SH_E_clIS9_S9_SA_SA_EESE_SU_SF_SG_SH_EUlSU_E1_NS1_11comp_targetILNS1_3genE10ELNS1_11target_archE1201ELNS1_3gpuE5ELNS1_3repE0EEENS1_36merge_oddeven_config_static_selectorELNS0_4arch9wavefront6targetE0EEEvSG_.uses_vcc, 0
	.set _ZN7rocprim17ROCPRIM_400000_NS6detail17trampoline_kernelINS0_14default_configENS1_38merge_sort_block_merge_config_selectorI12hip_bfloat16NS0_10empty_typeEEEZZNS1_27merge_sort_block_merge_implIS3_PS5_PS6_jNS1_19radix_merge_compareILb0ELb0ES5_NS0_19identity_decomposerEEEEE10hipError_tT0_T1_T2_jT3_P12ihipStream_tbPNSt15iterator_traitsISF_E10value_typeEPNSL_ISG_E10value_typeEPSH_NS1_7vsmem_tEENKUlT_SF_SG_SH_E_clIS9_S9_SA_SA_EESE_SU_SF_SG_SH_EUlSU_E1_NS1_11comp_targetILNS1_3genE10ELNS1_11target_archE1201ELNS1_3gpuE5ELNS1_3repE0EEENS1_36merge_oddeven_config_static_selectorELNS0_4arch9wavefront6targetE0EEEvSG_.uses_flat_scratch, 0
	.set _ZN7rocprim17ROCPRIM_400000_NS6detail17trampoline_kernelINS0_14default_configENS1_38merge_sort_block_merge_config_selectorI12hip_bfloat16NS0_10empty_typeEEEZZNS1_27merge_sort_block_merge_implIS3_PS5_PS6_jNS1_19radix_merge_compareILb0ELb0ES5_NS0_19identity_decomposerEEEEE10hipError_tT0_T1_T2_jT3_P12ihipStream_tbPNSt15iterator_traitsISF_E10value_typeEPNSL_ISG_E10value_typeEPSH_NS1_7vsmem_tEENKUlT_SF_SG_SH_E_clIS9_S9_SA_SA_EESE_SU_SF_SG_SH_EUlSU_E1_NS1_11comp_targetILNS1_3genE10ELNS1_11target_archE1201ELNS1_3gpuE5ELNS1_3repE0EEENS1_36merge_oddeven_config_static_selectorELNS0_4arch9wavefront6targetE0EEEvSG_.has_dyn_sized_stack, 0
	.set _ZN7rocprim17ROCPRIM_400000_NS6detail17trampoline_kernelINS0_14default_configENS1_38merge_sort_block_merge_config_selectorI12hip_bfloat16NS0_10empty_typeEEEZZNS1_27merge_sort_block_merge_implIS3_PS5_PS6_jNS1_19radix_merge_compareILb0ELb0ES5_NS0_19identity_decomposerEEEEE10hipError_tT0_T1_T2_jT3_P12ihipStream_tbPNSt15iterator_traitsISF_E10value_typeEPNSL_ISG_E10value_typeEPSH_NS1_7vsmem_tEENKUlT_SF_SG_SH_E_clIS9_S9_SA_SA_EESE_SU_SF_SG_SH_EUlSU_E1_NS1_11comp_targetILNS1_3genE10ELNS1_11target_archE1201ELNS1_3gpuE5ELNS1_3repE0EEENS1_36merge_oddeven_config_static_selectorELNS0_4arch9wavefront6targetE0EEEvSG_.has_recursion, 0
	.set _ZN7rocprim17ROCPRIM_400000_NS6detail17trampoline_kernelINS0_14default_configENS1_38merge_sort_block_merge_config_selectorI12hip_bfloat16NS0_10empty_typeEEEZZNS1_27merge_sort_block_merge_implIS3_PS5_PS6_jNS1_19radix_merge_compareILb0ELb0ES5_NS0_19identity_decomposerEEEEE10hipError_tT0_T1_T2_jT3_P12ihipStream_tbPNSt15iterator_traitsISF_E10value_typeEPNSL_ISG_E10value_typeEPSH_NS1_7vsmem_tEENKUlT_SF_SG_SH_E_clIS9_S9_SA_SA_EESE_SU_SF_SG_SH_EUlSU_E1_NS1_11comp_targetILNS1_3genE10ELNS1_11target_archE1201ELNS1_3gpuE5ELNS1_3repE0EEENS1_36merge_oddeven_config_static_selectorELNS0_4arch9wavefront6targetE0EEEvSG_.has_indirect_call, 0
	.section	.AMDGPU.csdata,"",@progbits
; Kernel info:
; codeLenInByte = 0
; TotalNumSgprs: 0
; NumVgprs: 0
; ScratchSize: 0
; MemoryBound: 0
; FloatMode: 240
; IeeeMode: 1
; LDSByteSize: 0 bytes/workgroup (compile time only)
; SGPRBlocks: 0
; VGPRBlocks: 0
; NumSGPRsForWavesPerEU: 1
; NumVGPRsForWavesPerEU: 1
; NamedBarCnt: 0
; Occupancy: 16
; WaveLimiterHint : 0
; COMPUTE_PGM_RSRC2:SCRATCH_EN: 0
; COMPUTE_PGM_RSRC2:USER_SGPR: 2
; COMPUTE_PGM_RSRC2:TRAP_HANDLER: 0
; COMPUTE_PGM_RSRC2:TGID_X_EN: 1
; COMPUTE_PGM_RSRC2:TGID_Y_EN: 0
; COMPUTE_PGM_RSRC2:TGID_Z_EN: 0
; COMPUTE_PGM_RSRC2:TIDIG_COMP_CNT: 0
	.section	.text._ZN7rocprim17ROCPRIM_400000_NS6detail17trampoline_kernelINS0_14default_configENS1_38merge_sort_block_merge_config_selectorI12hip_bfloat16NS0_10empty_typeEEEZZNS1_27merge_sort_block_merge_implIS3_PS5_PS6_jNS1_19radix_merge_compareILb0ELb0ES5_NS0_19identity_decomposerEEEEE10hipError_tT0_T1_T2_jT3_P12ihipStream_tbPNSt15iterator_traitsISF_E10value_typeEPNSL_ISG_E10value_typeEPSH_NS1_7vsmem_tEENKUlT_SF_SG_SH_E_clIS9_S9_SA_SA_EESE_SU_SF_SG_SH_EUlSU_E1_NS1_11comp_targetILNS1_3genE5ELNS1_11target_archE942ELNS1_3gpuE9ELNS1_3repE0EEENS1_36merge_oddeven_config_static_selectorELNS0_4arch9wavefront6targetE0EEEvSG_,"axG",@progbits,_ZN7rocprim17ROCPRIM_400000_NS6detail17trampoline_kernelINS0_14default_configENS1_38merge_sort_block_merge_config_selectorI12hip_bfloat16NS0_10empty_typeEEEZZNS1_27merge_sort_block_merge_implIS3_PS5_PS6_jNS1_19radix_merge_compareILb0ELb0ES5_NS0_19identity_decomposerEEEEE10hipError_tT0_T1_T2_jT3_P12ihipStream_tbPNSt15iterator_traitsISF_E10value_typeEPNSL_ISG_E10value_typeEPSH_NS1_7vsmem_tEENKUlT_SF_SG_SH_E_clIS9_S9_SA_SA_EESE_SU_SF_SG_SH_EUlSU_E1_NS1_11comp_targetILNS1_3genE5ELNS1_11target_archE942ELNS1_3gpuE9ELNS1_3repE0EEENS1_36merge_oddeven_config_static_selectorELNS0_4arch9wavefront6targetE0EEEvSG_,comdat
	.protected	_ZN7rocprim17ROCPRIM_400000_NS6detail17trampoline_kernelINS0_14default_configENS1_38merge_sort_block_merge_config_selectorI12hip_bfloat16NS0_10empty_typeEEEZZNS1_27merge_sort_block_merge_implIS3_PS5_PS6_jNS1_19radix_merge_compareILb0ELb0ES5_NS0_19identity_decomposerEEEEE10hipError_tT0_T1_T2_jT3_P12ihipStream_tbPNSt15iterator_traitsISF_E10value_typeEPNSL_ISG_E10value_typeEPSH_NS1_7vsmem_tEENKUlT_SF_SG_SH_E_clIS9_S9_SA_SA_EESE_SU_SF_SG_SH_EUlSU_E1_NS1_11comp_targetILNS1_3genE5ELNS1_11target_archE942ELNS1_3gpuE9ELNS1_3repE0EEENS1_36merge_oddeven_config_static_selectorELNS0_4arch9wavefront6targetE0EEEvSG_ ; -- Begin function _ZN7rocprim17ROCPRIM_400000_NS6detail17trampoline_kernelINS0_14default_configENS1_38merge_sort_block_merge_config_selectorI12hip_bfloat16NS0_10empty_typeEEEZZNS1_27merge_sort_block_merge_implIS3_PS5_PS6_jNS1_19radix_merge_compareILb0ELb0ES5_NS0_19identity_decomposerEEEEE10hipError_tT0_T1_T2_jT3_P12ihipStream_tbPNSt15iterator_traitsISF_E10value_typeEPNSL_ISG_E10value_typeEPSH_NS1_7vsmem_tEENKUlT_SF_SG_SH_E_clIS9_S9_SA_SA_EESE_SU_SF_SG_SH_EUlSU_E1_NS1_11comp_targetILNS1_3genE5ELNS1_11target_archE942ELNS1_3gpuE9ELNS1_3repE0EEENS1_36merge_oddeven_config_static_selectorELNS0_4arch9wavefront6targetE0EEEvSG_
	.globl	_ZN7rocprim17ROCPRIM_400000_NS6detail17trampoline_kernelINS0_14default_configENS1_38merge_sort_block_merge_config_selectorI12hip_bfloat16NS0_10empty_typeEEEZZNS1_27merge_sort_block_merge_implIS3_PS5_PS6_jNS1_19radix_merge_compareILb0ELb0ES5_NS0_19identity_decomposerEEEEE10hipError_tT0_T1_T2_jT3_P12ihipStream_tbPNSt15iterator_traitsISF_E10value_typeEPNSL_ISG_E10value_typeEPSH_NS1_7vsmem_tEENKUlT_SF_SG_SH_E_clIS9_S9_SA_SA_EESE_SU_SF_SG_SH_EUlSU_E1_NS1_11comp_targetILNS1_3genE5ELNS1_11target_archE942ELNS1_3gpuE9ELNS1_3repE0EEENS1_36merge_oddeven_config_static_selectorELNS0_4arch9wavefront6targetE0EEEvSG_
	.p2align	8
	.type	_ZN7rocprim17ROCPRIM_400000_NS6detail17trampoline_kernelINS0_14default_configENS1_38merge_sort_block_merge_config_selectorI12hip_bfloat16NS0_10empty_typeEEEZZNS1_27merge_sort_block_merge_implIS3_PS5_PS6_jNS1_19radix_merge_compareILb0ELb0ES5_NS0_19identity_decomposerEEEEE10hipError_tT0_T1_T2_jT3_P12ihipStream_tbPNSt15iterator_traitsISF_E10value_typeEPNSL_ISG_E10value_typeEPSH_NS1_7vsmem_tEENKUlT_SF_SG_SH_E_clIS9_S9_SA_SA_EESE_SU_SF_SG_SH_EUlSU_E1_NS1_11comp_targetILNS1_3genE5ELNS1_11target_archE942ELNS1_3gpuE9ELNS1_3repE0EEENS1_36merge_oddeven_config_static_selectorELNS0_4arch9wavefront6targetE0EEEvSG_,@function
_ZN7rocprim17ROCPRIM_400000_NS6detail17trampoline_kernelINS0_14default_configENS1_38merge_sort_block_merge_config_selectorI12hip_bfloat16NS0_10empty_typeEEEZZNS1_27merge_sort_block_merge_implIS3_PS5_PS6_jNS1_19radix_merge_compareILb0ELb0ES5_NS0_19identity_decomposerEEEEE10hipError_tT0_T1_T2_jT3_P12ihipStream_tbPNSt15iterator_traitsISF_E10value_typeEPNSL_ISG_E10value_typeEPSH_NS1_7vsmem_tEENKUlT_SF_SG_SH_E_clIS9_S9_SA_SA_EESE_SU_SF_SG_SH_EUlSU_E1_NS1_11comp_targetILNS1_3genE5ELNS1_11target_archE942ELNS1_3gpuE9ELNS1_3repE0EEENS1_36merge_oddeven_config_static_selectorELNS0_4arch9wavefront6targetE0EEEvSG_: ; @_ZN7rocprim17ROCPRIM_400000_NS6detail17trampoline_kernelINS0_14default_configENS1_38merge_sort_block_merge_config_selectorI12hip_bfloat16NS0_10empty_typeEEEZZNS1_27merge_sort_block_merge_implIS3_PS5_PS6_jNS1_19radix_merge_compareILb0ELb0ES5_NS0_19identity_decomposerEEEEE10hipError_tT0_T1_T2_jT3_P12ihipStream_tbPNSt15iterator_traitsISF_E10value_typeEPNSL_ISG_E10value_typeEPSH_NS1_7vsmem_tEENKUlT_SF_SG_SH_E_clIS9_S9_SA_SA_EESE_SU_SF_SG_SH_EUlSU_E1_NS1_11comp_targetILNS1_3genE5ELNS1_11target_archE942ELNS1_3gpuE9ELNS1_3repE0EEENS1_36merge_oddeven_config_static_selectorELNS0_4arch9wavefront6targetE0EEEvSG_
; %bb.0:
	.section	.rodata,"a",@progbits
	.p2align	6, 0x0
	.amdhsa_kernel _ZN7rocprim17ROCPRIM_400000_NS6detail17trampoline_kernelINS0_14default_configENS1_38merge_sort_block_merge_config_selectorI12hip_bfloat16NS0_10empty_typeEEEZZNS1_27merge_sort_block_merge_implIS3_PS5_PS6_jNS1_19radix_merge_compareILb0ELb0ES5_NS0_19identity_decomposerEEEEE10hipError_tT0_T1_T2_jT3_P12ihipStream_tbPNSt15iterator_traitsISF_E10value_typeEPNSL_ISG_E10value_typeEPSH_NS1_7vsmem_tEENKUlT_SF_SG_SH_E_clIS9_S9_SA_SA_EESE_SU_SF_SG_SH_EUlSU_E1_NS1_11comp_targetILNS1_3genE5ELNS1_11target_archE942ELNS1_3gpuE9ELNS1_3repE0EEENS1_36merge_oddeven_config_static_selectorELNS0_4arch9wavefront6targetE0EEEvSG_
		.amdhsa_group_segment_fixed_size 0
		.amdhsa_private_segment_fixed_size 0
		.amdhsa_kernarg_size 48
		.amdhsa_user_sgpr_count 2
		.amdhsa_user_sgpr_dispatch_ptr 0
		.amdhsa_user_sgpr_queue_ptr 0
		.amdhsa_user_sgpr_kernarg_segment_ptr 1
		.amdhsa_user_sgpr_dispatch_id 0
		.amdhsa_user_sgpr_kernarg_preload_length 0
		.amdhsa_user_sgpr_kernarg_preload_offset 0
		.amdhsa_user_sgpr_private_segment_size 0
		.amdhsa_wavefront_size32 1
		.amdhsa_uses_dynamic_stack 0
		.amdhsa_enable_private_segment 0
		.amdhsa_system_sgpr_workgroup_id_x 1
		.amdhsa_system_sgpr_workgroup_id_y 0
		.amdhsa_system_sgpr_workgroup_id_z 0
		.amdhsa_system_sgpr_workgroup_info 0
		.amdhsa_system_vgpr_workitem_id 0
		.amdhsa_next_free_vgpr 1
		.amdhsa_next_free_sgpr 1
		.amdhsa_named_barrier_count 0
		.amdhsa_reserve_vcc 0
		.amdhsa_float_round_mode_32 0
		.amdhsa_float_round_mode_16_64 0
		.amdhsa_float_denorm_mode_32 3
		.amdhsa_float_denorm_mode_16_64 3
		.amdhsa_fp16_overflow 0
		.amdhsa_memory_ordered 1
		.amdhsa_forward_progress 1
		.amdhsa_inst_pref_size 0
		.amdhsa_round_robin_scheduling 0
		.amdhsa_exception_fp_ieee_invalid_op 0
		.amdhsa_exception_fp_denorm_src 0
		.amdhsa_exception_fp_ieee_div_zero 0
		.amdhsa_exception_fp_ieee_overflow 0
		.amdhsa_exception_fp_ieee_underflow 0
		.amdhsa_exception_fp_ieee_inexact 0
		.amdhsa_exception_int_div_zero 0
	.end_amdhsa_kernel
	.section	.text._ZN7rocprim17ROCPRIM_400000_NS6detail17trampoline_kernelINS0_14default_configENS1_38merge_sort_block_merge_config_selectorI12hip_bfloat16NS0_10empty_typeEEEZZNS1_27merge_sort_block_merge_implIS3_PS5_PS6_jNS1_19radix_merge_compareILb0ELb0ES5_NS0_19identity_decomposerEEEEE10hipError_tT0_T1_T2_jT3_P12ihipStream_tbPNSt15iterator_traitsISF_E10value_typeEPNSL_ISG_E10value_typeEPSH_NS1_7vsmem_tEENKUlT_SF_SG_SH_E_clIS9_S9_SA_SA_EESE_SU_SF_SG_SH_EUlSU_E1_NS1_11comp_targetILNS1_3genE5ELNS1_11target_archE942ELNS1_3gpuE9ELNS1_3repE0EEENS1_36merge_oddeven_config_static_selectorELNS0_4arch9wavefront6targetE0EEEvSG_,"axG",@progbits,_ZN7rocprim17ROCPRIM_400000_NS6detail17trampoline_kernelINS0_14default_configENS1_38merge_sort_block_merge_config_selectorI12hip_bfloat16NS0_10empty_typeEEEZZNS1_27merge_sort_block_merge_implIS3_PS5_PS6_jNS1_19radix_merge_compareILb0ELb0ES5_NS0_19identity_decomposerEEEEE10hipError_tT0_T1_T2_jT3_P12ihipStream_tbPNSt15iterator_traitsISF_E10value_typeEPNSL_ISG_E10value_typeEPSH_NS1_7vsmem_tEENKUlT_SF_SG_SH_E_clIS9_S9_SA_SA_EESE_SU_SF_SG_SH_EUlSU_E1_NS1_11comp_targetILNS1_3genE5ELNS1_11target_archE942ELNS1_3gpuE9ELNS1_3repE0EEENS1_36merge_oddeven_config_static_selectorELNS0_4arch9wavefront6targetE0EEEvSG_,comdat
.Lfunc_end2027:
	.size	_ZN7rocprim17ROCPRIM_400000_NS6detail17trampoline_kernelINS0_14default_configENS1_38merge_sort_block_merge_config_selectorI12hip_bfloat16NS0_10empty_typeEEEZZNS1_27merge_sort_block_merge_implIS3_PS5_PS6_jNS1_19radix_merge_compareILb0ELb0ES5_NS0_19identity_decomposerEEEEE10hipError_tT0_T1_T2_jT3_P12ihipStream_tbPNSt15iterator_traitsISF_E10value_typeEPNSL_ISG_E10value_typeEPSH_NS1_7vsmem_tEENKUlT_SF_SG_SH_E_clIS9_S9_SA_SA_EESE_SU_SF_SG_SH_EUlSU_E1_NS1_11comp_targetILNS1_3genE5ELNS1_11target_archE942ELNS1_3gpuE9ELNS1_3repE0EEENS1_36merge_oddeven_config_static_selectorELNS0_4arch9wavefront6targetE0EEEvSG_, .Lfunc_end2027-_ZN7rocprim17ROCPRIM_400000_NS6detail17trampoline_kernelINS0_14default_configENS1_38merge_sort_block_merge_config_selectorI12hip_bfloat16NS0_10empty_typeEEEZZNS1_27merge_sort_block_merge_implIS3_PS5_PS6_jNS1_19radix_merge_compareILb0ELb0ES5_NS0_19identity_decomposerEEEEE10hipError_tT0_T1_T2_jT3_P12ihipStream_tbPNSt15iterator_traitsISF_E10value_typeEPNSL_ISG_E10value_typeEPSH_NS1_7vsmem_tEENKUlT_SF_SG_SH_E_clIS9_S9_SA_SA_EESE_SU_SF_SG_SH_EUlSU_E1_NS1_11comp_targetILNS1_3genE5ELNS1_11target_archE942ELNS1_3gpuE9ELNS1_3repE0EEENS1_36merge_oddeven_config_static_selectorELNS0_4arch9wavefront6targetE0EEEvSG_
                                        ; -- End function
	.set _ZN7rocprim17ROCPRIM_400000_NS6detail17trampoline_kernelINS0_14default_configENS1_38merge_sort_block_merge_config_selectorI12hip_bfloat16NS0_10empty_typeEEEZZNS1_27merge_sort_block_merge_implIS3_PS5_PS6_jNS1_19radix_merge_compareILb0ELb0ES5_NS0_19identity_decomposerEEEEE10hipError_tT0_T1_T2_jT3_P12ihipStream_tbPNSt15iterator_traitsISF_E10value_typeEPNSL_ISG_E10value_typeEPSH_NS1_7vsmem_tEENKUlT_SF_SG_SH_E_clIS9_S9_SA_SA_EESE_SU_SF_SG_SH_EUlSU_E1_NS1_11comp_targetILNS1_3genE5ELNS1_11target_archE942ELNS1_3gpuE9ELNS1_3repE0EEENS1_36merge_oddeven_config_static_selectorELNS0_4arch9wavefront6targetE0EEEvSG_.num_vgpr, 0
	.set _ZN7rocprim17ROCPRIM_400000_NS6detail17trampoline_kernelINS0_14default_configENS1_38merge_sort_block_merge_config_selectorI12hip_bfloat16NS0_10empty_typeEEEZZNS1_27merge_sort_block_merge_implIS3_PS5_PS6_jNS1_19radix_merge_compareILb0ELb0ES5_NS0_19identity_decomposerEEEEE10hipError_tT0_T1_T2_jT3_P12ihipStream_tbPNSt15iterator_traitsISF_E10value_typeEPNSL_ISG_E10value_typeEPSH_NS1_7vsmem_tEENKUlT_SF_SG_SH_E_clIS9_S9_SA_SA_EESE_SU_SF_SG_SH_EUlSU_E1_NS1_11comp_targetILNS1_3genE5ELNS1_11target_archE942ELNS1_3gpuE9ELNS1_3repE0EEENS1_36merge_oddeven_config_static_selectorELNS0_4arch9wavefront6targetE0EEEvSG_.num_agpr, 0
	.set _ZN7rocprim17ROCPRIM_400000_NS6detail17trampoline_kernelINS0_14default_configENS1_38merge_sort_block_merge_config_selectorI12hip_bfloat16NS0_10empty_typeEEEZZNS1_27merge_sort_block_merge_implIS3_PS5_PS6_jNS1_19radix_merge_compareILb0ELb0ES5_NS0_19identity_decomposerEEEEE10hipError_tT0_T1_T2_jT3_P12ihipStream_tbPNSt15iterator_traitsISF_E10value_typeEPNSL_ISG_E10value_typeEPSH_NS1_7vsmem_tEENKUlT_SF_SG_SH_E_clIS9_S9_SA_SA_EESE_SU_SF_SG_SH_EUlSU_E1_NS1_11comp_targetILNS1_3genE5ELNS1_11target_archE942ELNS1_3gpuE9ELNS1_3repE0EEENS1_36merge_oddeven_config_static_selectorELNS0_4arch9wavefront6targetE0EEEvSG_.numbered_sgpr, 0
	.set _ZN7rocprim17ROCPRIM_400000_NS6detail17trampoline_kernelINS0_14default_configENS1_38merge_sort_block_merge_config_selectorI12hip_bfloat16NS0_10empty_typeEEEZZNS1_27merge_sort_block_merge_implIS3_PS5_PS6_jNS1_19radix_merge_compareILb0ELb0ES5_NS0_19identity_decomposerEEEEE10hipError_tT0_T1_T2_jT3_P12ihipStream_tbPNSt15iterator_traitsISF_E10value_typeEPNSL_ISG_E10value_typeEPSH_NS1_7vsmem_tEENKUlT_SF_SG_SH_E_clIS9_S9_SA_SA_EESE_SU_SF_SG_SH_EUlSU_E1_NS1_11comp_targetILNS1_3genE5ELNS1_11target_archE942ELNS1_3gpuE9ELNS1_3repE0EEENS1_36merge_oddeven_config_static_selectorELNS0_4arch9wavefront6targetE0EEEvSG_.num_named_barrier, 0
	.set _ZN7rocprim17ROCPRIM_400000_NS6detail17trampoline_kernelINS0_14default_configENS1_38merge_sort_block_merge_config_selectorI12hip_bfloat16NS0_10empty_typeEEEZZNS1_27merge_sort_block_merge_implIS3_PS5_PS6_jNS1_19radix_merge_compareILb0ELb0ES5_NS0_19identity_decomposerEEEEE10hipError_tT0_T1_T2_jT3_P12ihipStream_tbPNSt15iterator_traitsISF_E10value_typeEPNSL_ISG_E10value_typeEPSH_NS1_7vsmem_tEENKUlT_SF_SG_SH_E_clIS9_S9_SA_SA_EESE_SU_SF_SG_SH_EUlSU_E1_NS1_11comp_targetILNS1_3genE5ELNS1_11target_archE942ELNS1_3gpuE9ELNS1_3repE0EEENS1_36merge_oddeven_config_static_selectorELNS0_4arch9wavefront6targetE0EEEvSG_.private_seg_size, 0
	.set _ZN7rocprim17ROCPRIM_400000_NS6detail17trampoline_kernelINS0_14default_configENS1_38merge_sort_block_merge_config_selectorI12hip_bfloat16NS0_10empty_typeEEEZZNS1_27merge_sort_block_merge_implIS3_PS5_PS6_jNS1_19radix_merge_compareILb0ELb0ES5_NS0_19identity_decomposerEEEEE10hipError_tT0_T1_T2_jT3_P12ihipStream_tbPNSt15iterator_traitsISF_E10value_typeEPNSL_ISG_E10value_typeEPSH_NS1_7vsmem_tEENKUlT_SF_SG_SH_E_clIS9_S9_SA_SA_EESE_SU_SF_SG_SH_EUlSU_E1_NS1_11comp_targetILNS1_3genE5ELNS1_11target_archE942ELNS1_3gpuE9ELNS1_3repE0EEENS1_36merge_oddeven_config_static_selectorELNS0_4arch9wavefront6targetE0EEEvSG_.uses_vcc, 0
	.set _ZN7rocprim17ROCPRIM_400000_NS6detail17trampoline_kernelINS0_14default_configENS1_38merge_sort_block_merge_config_selectorI12hip_bfloat16NS0_10empty_typeEEEZZNS1_27merge_sort_block_merge_implIS3_PS5_PS6_jNS1_19radix_merge_compareILb0ELb0ES5_NS0_19identity_decomposerEEEEE10hipError_tT0_T1_T2_jT3_P12ihipStream_tbPNSt15iterator_traitsISF_E10value_typeEPNSL_ISG_E10value_typeEPSH_NS1_7vsmem_tEENKUlT_SF_SG_SH_E_clIS9_S9_SA_SA_EESE_SU_SF_SG_SH_EUlSU_E1_NS1_11comp_targetILNS1_3genE5ELNS1_11target_archE942ELNS1_3gpuE9ELNS1_3repE0EEENS1_36merge_oddeven_config_static_selectorELNS0_4arch9wavefront6targetE0EEEvSG_.uses_flat_scratch, 0
	.set _ZN7rocprim17ROCPRIM_400000_NS6detail17trampoline_kernelINS0_14default_configENS1_38merge_sort_block_merge_config_selectorI12hip_bfloat16NS0_10empty_typeEEEZZNS1_27merge_sort_block_merge_implIS3_PS5_PS6_jNS1_19radix_merge_compareILb0ELb0ES5_NS0_19identity_decomposerEEEEE10hipError_tT0_T1_T2_jT3_P12ihipStream_tbPNSt15iterator_traitsISF_E10value_typeEPNSL_ISG_E10value_typeEPSH_NS1_7vsmem_tEENKUlT_SF_SG_SH_E_clIS9_S9_SA_SA_EESE_SU_SF_SG_SH_EUlSU_E1_NS1_11comp_targetILNS1_3genE5ELNS1_11target_archE942ELNS1_3gpuE9ELNS1_3repE0EEENS1_36merge_oddeven_config_static_selectorELNS0_4arch9wavefront6targetE0EEEvSG_.has_dyn_sized_stack, 0
	.set _ZN7rocprim17ROCPRIM_400000_NS6detail17trampoline_kernelINS0_14default_configENS1_38merge_sort_block_merge_config_selectorI12hip_bfloat16NS0_10empty_typeEEEZZNS1_27merge_sort_block_merge_implIS3_PS5_PS6_jNS1_19radix_merge_compareILb0ELb0ES5_NS0_19identity_decomposerEEEEE10hipError_tT0_T1_T2_jT3_P12ihipStream_tbPNSt15iterator_traitsISF_E10value_typeEPNSL_ISG_E10value_typeEPSH_NS1_7vsmem_tEENKUlT_SF_SG_SH_E_clIS9_S9_SA_SA_EESE_SU_SF_SG_SH_EUlSU_E1_NS1_11comp_targetILNS1_3genE5ELNS1_11target_archE942ELNS1_3gpuE9ELNS1_3repE0EEENS1_36merge_oddeven_config_static_selectorELNS0_4arch9wavefront6targetE0EEEvSG_.has_recursion, 0
	.set _ZN7rocprim17ROCPRIM_400000_NS6detail17trampoline_kernelINS0_14default_configENS1_38merge_sort_block_merge_config_selectorI12hip_bfloat16NS0_10empty_typeEEEZZNS1_27merge_sort_block_merge_implIS3_PS5_PS6_jNS1_19radix_merge_compareILb0ELb0ES5_NS0_19identity_decomposerEEEEE10hipError_tT0_T1_T2_jT3_P12ihipStream_tbPNSt15iterator_traitsISF_E10value_typeEPNSL_ISG_E10value_typeEPSH_NS1_7vsmem_tEENKUlT_SF_SG_SH_E_clIS9_S9_SA_SA_EESE_SU_SF_SG_SH_EUlSU_E1_NS1_11comp_targetILNS1_3genE5ELNS1_11target_archE942ELNS1_3gpuE9ELNS1_3repE0EEENS1_36merge_oddeven_config_static_selectorELNS0_4arch9wavefront6targetE0EEEvSG_.has_indirect_call, 0
	.section	.AMDGPU.csdata,"",@progbits
; Kernel info:
; codeLenInByte = 0
; TotalNumSgprs: 0
; NumVgprs: 0
; ScratchSize: 0
; MemoryBound: 0
; FloatMode: 240
; IeeeMode: 1
; LDSByteSize: 0 bytes/workgroup (compile time only)
; SGPRBlocks: 0
; VGPRBlocks: 0
; NumSGPRsForWavesPerEU: 1
; NumVGPRsForWavesPerEU: 1
; NamedBarCnt: 0
; Occupancy: 16
; WaveLimiterHint : 0
; COMPUTE_PGM_RSRC2:SCRATCH_EN: 0
; COMPUTE_PGM_RSRC2:USER_SGPR: 2
; COMPUTE_PGM_RSRC2:TRAP_HANDLER: 0
; COMPUTE_PGM_RSRC2:TGID_X_EN: 1
; COMPUTE_PGM_RSRC2:TGID_Y_EN: 0
; COMPUTE_PGM_RSRC2:TGID_Z_EN: 0
; COMPUTE_PGM_RSRC2:TIDIG_COMP_CNT: 0
	.section	.text._ZN7rocprim17ROCPRIM_400000_NS6detail17trampoline_kernelINS0_14default_configENS1_38merge_sort_block_merge_config_selectorI12hip_bfloat16NS0_10empty_typeEEEZZNS1_27merge_sort_block_merge_implIS3_PS5_PS6_jNS1_19radix_merge_compareILb0ELb0ES5_NS0_19identity_decomposerEEEEE10hipError_tT0_T1_T2_jT3_P12ihipStream_tbPNSt15iterator_traitsISF_E10value_typeEPNSL_ISG_E10value_typeEPSH_NS1_7vsmem_tEENKUlT_SF_SG_SH_E_clIS9_S9_SA_SA_EESE_SU_SF_SG_SH_EUlSU_E1_NS1_11comp_targetILNS1_3genE4ELNS1_11target_archE910ELNS1_3gpuE8ELNS1_3repE0EEENS1_36merge_oddeven_config_static_selectorELNS0_4arch9wavefront6targetE0EEEvSG_,"axG",@progbits,_ZN7rocprim17ROCPRIM_400000_NS6detail17trampoline_kernelINS0_14default_configENS1_38merge_sort_block_merge_config_selectorI12hip_bfloat16NS0_10empty_typeEEEZZNS1_27merge_sort_block_merge_implIS3_PS5_PS6_jNS1_19radix_merge_compareILb0ELb0ES5_NS0_19identity_decomposerEEEEE10hipError_tT0_T1_T2_jT3_P12ihipStream_tbPNSt15iterator_traitsISF_E10value_typeEPNSL_ISG_E10value_typeEPSH_NS1_7vsmem_tEENKUlT_SF_SG_SH_E_clIS9_S9_SA_SA_EESE_SU_SF_SG_SH_EUlSU_E1_NS1_11comp_targetILNS1_3genE4ELNS1_11target_archE910ELNS1_3gpuE8ELNS1_3repE0EEENS1_36merge_oddeven_config_static_selectorELNS0_4arch9wavefront6targetE0EEEvSG_,comdat
	.protected	_ZN7rocprim17ROCPRIM_400000_NS6detail17trampoline_kernelINS0_14default_configENS1_38merge_sort_block_merge_config_selectorI12hip_bfloat16NS0_10empty_typeEEEZZNS1_27merge_sort_block_merge_implIS3_PS5_PS6_jNS1_19radix_merge_compareILb0ELb0ES5_NS0_19identity_decomposerEEEEE10hipError_tT0_T1_T2_jT3_P12ihipStream_tbPNSt15iterator_traitsISF_E10value_typeEPNSL_ISG_E10value_typeEPSH_NS1_7vsmem_tEENKUlT_SF_SG_SH_E_clIS9_S9_SA_SA_EESE_SU_SF_SG_SH_EUlSU_E1_NS1_11comp_targetILNS1_3genE4ELNS1_11target_archE910ELNS1_3gpuE8ELNS1_3repE0EEENS1_36merge_oddeven_config_static_selectorELNS0_4arch9wavefront6targetE0EEEvSG_ ; -- Begin function _ZN7rocprim17ROCPRIM_400000_NS6detail17trampoline_kernelINS0_14default_configENS1_38merge_sort_block_merge_config_selectorI12hip_bfloat16NS0_10empty_typeEEEZZNS1_27merge_sort_block_merge_implIS3_PS5_PS6_jNS1_19radix_merge_compareILb0ELb0ES5_NS0_19identity_decomposerEEEEE10hipError_tT0_T1_T2_jT3_P12ihipStream_tbPNSt15iterator_traitsISF_E10value_typeEPNSL_ISG_E10value_typeEPSH_NS1_7vsmem_tEENKUlT_SF_SG_SH_E_clIS9_S9_SA_SA_EESE_SU_SF_SG_SH_EUlSU_E1_NS1_11comp_targetILNS1_3genE4ELNS1_11target_archE910ELNS1_3gpuE8ELNS1_3repE0EEENS1_36merge_oddeven_config_static_selectorELNS0_4arch9wavefront6targetE0EEEvSG_
	.globl	_ZN7rocprim17ROCPRIM_400000_NS6detail17trampoline_kernelINS0_14default_configENS1_38merge_sort_block_merge_config_selectorI12hip_bfloat16NS0_10empty_typeEEEZZNS1_27merge_sort_block_merge_implIS3_PS5_PS6_jNS1_19radix_merge_compareILb0ELb0ES5_NS0_19identity_decomposerEEEEE10hipError_tT0_T1_T2_jT3_P12ihipStream_tbPNSt15iterator_traitsISF_E10value_typeEPNSL_ISG_E10value_typeEPSH_NS1_7vsmem_tEENKUlT_SF_SG_SH_E_clIS9_S9_SA_SA_EESE_SU_SF_SG_SH_EUlSU_E1_NS1_11comp_targetILNS1_3genE4ELNS1_11target_archE910ELNS1_3gpuE8ELNS1_3repE0EEENS1_36merge_oddeven_config_static_selectorELNS0_4arch9wavefront6targetE0EEEvSG_
	.p2align	8
	.type	_ZN7rocprim17ROCPRIM_400000_NS6detail17trampoline_kernelINS0_14default_configENS1_38merge_sort_block_merge_config_selectorI12hip_bfloat16NS0_10empty_typeEEEZZNS1_27merge_sort_block_merge_implIS3_PS5_PS6_jNS1_19radix_merge_compareILb0ELb0ES5_NS0_19identity_decomposerEEEEE10hipError_tT0_T1_T2_jT3_P12ihipStream_tbPNSt15iterator_traitsISF_E10value_typeEPNSL_ISG_E10value_typeEPSH_NS1_7vsmem_tEENKUlT_SF_SG_SH_E_clIS9_S9_SA_SA_EESE_SU_SF_SG_SH_EUlSU_E1_NS1_11comp_targetILNS1_3genE4ELNS1_11target_archE910ELNS1_3gpuE8ELNS1_3repE0EEENS1_36merge_oddeven_config_static_selectorELNS0_4arch9wavefront6targetE0EEEvSG_,@function
_ZN7rocprim17ROCPRIM_400000_NS6detail17trampoline_kernelINS0_14default_configENS1_38merge_sort_block_merge_config_selectorI12hip_bfloat16NS0_10empty_typeEEEZZNS1_27merge_sort_block_merge_implIS3_PS5_PS6_jNS1_19radix_merge_compareILb0ELb0ES5_NS0_19identity_decomposerEEEEE10hipError_tT0_T1_T2_jT3_P12ihipStream_tbPNSt15iterator_traitsISF_E10value_typeEPNSL_ISG_E10value_typeEPSH_NS1_7vsmem_tEENKUlT_SF_SG_SH_E_clIS9_S9_SA_SA_EESE_SU_SF_SG_SH_EUlSU_E1_NS1_11comp_targetILNS1_3genE4ELNS1_11target_archE910ELNS1_3gpuE8ELNS1_3repE0EEENS1_36merge_oddeven_config_static_selectorELNS0_4arch9wavefront6targetE0EEEvSG_: ; @_ZN7rocprim17ROCPRIM_400000_NS6detail17trampoline_kernelINS0_14default_configENS1_38merge_sort_block_merge_config_selectorI12hip_bfloat16NS0_10empty_typeEEEZZNS1_27merge_sort_block_merge_implIS3_PS5_PS6_jNS1_19radix_merge_compareILb0ELb0ES5_NS0_19identity_decomposerEEEEE10hipError_tT0_T1_T2_jT3_P12ihipStream_tbPNSt15iterator_traitsISF_E10value_typeEPNSL_ISG_E10value_typeEPSH_NS1_7vsmem_tEENKUlT_SF_SG_SH_E_clIS9_S9_SA_SA_EESE_SU_SF_SG_SH_EUlSU_E1_NS1_11comp_targetILNS1_3genE4ELNS1_11target_archE910ELNS1_3gpuE8ELNS1_3repE0EEENS1_36merge_oddeven_config_static_selectorELNS0_4arch9wavefront6targetE0EEEvSG_
; %bb.0:
	.section	.rodata,"a",@progbits
	.p2align	6, 0x0
	.amdhsa_kernel _ZN7rocprim17ROCPRIM_400000_NS6detail17trampoline_kernelINS0_14default_configENS1_38merge_sort_block_merge_config_selectorI12hip_bfloat16NS0_10empty_typeEEEZZNS1_27merge_sort_block_merge_implIS3_PS5_PS6_jNS1_19radix_merge_compareILb0ELb0ES5_NS0_19identity_decomposerEEEEE10hipError_tT0_T1_T2_jT3_P12ihipStream_tbPNSt15iterator_traitsISF_E10value_typeEPNSL_ISG_E10value_typeEPSH_NS1_7vsmem_tEENKUlT_SF_SG_SH_E_clIS9_S9_SA_SA_EESE_SU_SF_SG_SH_EUlSU_E1_NS1_11comp_targetILNS1_3genE4ELNS1_11target_archE910ELNS1_3gpuE8ELNS1_3repE0EEENS1_36merge_oddeven_config_static_selectorELNS0_4arch9wavefront6targetE0EEEvSG_
		.amdhsa_group_segment_fixed_size 0
		.amdhsa_private_segment_fixed_size 0
		.amdhsa_kernarg_size 48
		.amdhsa_user_sgpr_count 2
		.amdhsa_user_sgpr_dispatch_ptr 0
		.amdhsa_user_sgpr_queue_ptr 0
		.amdhsa_user_sgpr_kernarg_segment_ptr 1
		.amdhsa_user_sgpr_dispatch_id 0
		.amdhsa_user_sgpr_kernarg_preload_length 0
		.amdhsa_user_sgpr_kernarg_preload_offset 0
		.amdhsa_user_sgpr_private_segment_size 0
		.amdhsa_wavefront_size32 1
		.amdhsa_uses_dynamic_stack 0
		.amdhsa_enable_private_segment 0
		.amdhsa_system_sgpr_workgroup_id_x 1
		.amdhsa_system_sgpr_workgroup_id_y 0
		.amdhsa_system_sgpr_workgroup_id_z 0
		.amdhsa_system_sgpr_workgroup_info 0
		.amdhsa_system_vgpr_workitem_id 0
		.amdhsa_next_free_vgpr 1
		.amdhsa_next_free_sgpr 1
		.amdhsa_named_barrier_count 0
		.amdhsa_reserve_vcc 0
		.amdhsa_float_round_mode_32 0
		.amdhsa_float_round_mode_16_64 0
		.amdhsa_float_denorm_mode_32 3
		.amdhsa_float_denorm_mode_16_64 3
		.amdhsa_fp16_overflow 0
		.amdhsa_memory_ordered 1
		.amdhsa_forward_progress 1
		.amdhsa_inst_pref_size 0
		.amdhsa_round_robin_scheduling 0
		.amdhsa_exception_fp_ieee_invalid_op 0
		.amdhsa_exception_fp_denorm_src 0
		.amdhsa_exception_fp_ieee_div_zero 0
		.amdhsa_exception_fp_ieee_overflow 0
		.amdhsa_exception_fp_ieee_underflow 0
		.amdhsa_exception_fp_ieee_inexact 0
		.amdhsa_exception_int_div_zero 0
	.end_amdhsa_kernel
	.section	.text._ZN7rocprim17ROCPRIM_400000_NS6detail17trampoline_kernelINS0_14default_configENS1_38merge_sort_block_merge_config_selectorI12hip_bfloat16NS0_10empty_typeEEEZZNS1_27merge_sort_block_merge_implIS3_PS5_PS6_jNS1_19radix_merge_compareILb0ELb0ES5_NS0_19identity_decomposerEEEEE10hipError_tT0_T1_T2_jT3_P12ihipStream_tbPNSt15iterator_traitsISF_E10value_typeEPNSL_ISG_E10value_typeEPSH_NS1_7vsmem_tEENKUlT_SF_SG_SH_E_clIS9_S9_SA_SA_EESE_SU_SF_SG_SH_EUlSU_E1_NS1_11comp_targetILNS1_3genE4ELNS1_11target_archE910ELNS1_3gpuE8ELNS1_3repE0EEENS1_36merge_oddeven_config_static_selectorELNS0_4arch9wavefront6targetE0EEEvSG_,"axG",@progbits,_ZN7rocprim17ROCPRIM_400000_NS6detail17trampoline_kernelINS0_14default_configENS1_38merge_sort_block_merge_config_selectorI12hip_bfloat16NS0_10empty_typeEEEZZNS1_27merge_sort_block_merge_implIS3_PS5_PS6_jNS1_19radix_merge_compareILb0ELb0ES5_NS0_19identity_decomposerEEEEE10hipError_tT0_T1_T2_jT3_P12ihipStream_tbPNSt15iterator_traitsISF_E10value_typeEPNSL_ISG_E10value_typeEPSH_NS1_7vsmem_tEENKUlT_SF_SG_SH_E_clIS9_S9_SA_SA_EESE_SU_SF_SG_SH_EUlSU_E1_NS1_11comp_targetILNS1_3genE4ELNS1_11target_archE910ELNS1_3gpuE8ELNS1_3repE0EEENS1_36merge_oddeven_config_static_selectorELNS0_4arch9wavefront6targetE0EEEvSG_,comdat
.Lfunc_end2028:
	.size	_ZN7rocprim17ROCPRIM_400000_NS6detail17trampoline_kernelINS0_14default_configENS1_38merge_sort_block_merge_config_selectorI12hip_bfloat16NS0_10empty_typeEEEZZNS1_27merge_sort_block_merge_implIS3_PS5_PS6_jNS1_19radix_merge_compareILb0ELb0ES5_NS0_19identity_decomposerEEEEE10hipError_tT0_T1_T2_jT3_P12ihipStream_tbPNSt15iterator_traitsISF_E10value_typeEPNSL_ISG_E10value_typeEPSH_NS1_7vsmem_tEENKUlT_SF_SG_SH_E_clIS9_S9_SA_SA_EESE_SU_SF_SG_SH_EUlSU_E1_NS1_11comp_targetILNS1_3genE4ELNS1_11target_archE910ELNS1_3gpuE8ELNS1_3repE0EEENS1_36merge_oddeven_config_static_selectorELNS0_4arch9wavefront6targetE0EEEvSG_, .Lfunc_end2028-_ZN7rocprim17ROCPRIM_400000_NS6detail17trampoline_kernelINS0_14default_configENS1_38merge_sort_block_merge_config_selectorI12hip_bfloat16NS0_10empty_typeEEEZZNS1_27merge_sort_block_merge_implIS3_PS5_PS6_jNS1_19radix_merge_compareILb0ELb0ES5_NS0_19identity_decomposerEEEEE10hipError_tT0_T1_T2_jT3_P12ihipStream_tbPNSt15iterator_traitsISF_E10value_typeEPNSL_ISG_E10value_typeEPSH_NS1_7vsmem_tEENKUlT_SF_SG_SH_E_clIS9_S9_SA_SA_EESE_SU_SF_SG_SH_EUlSU_E1_NS1_11comp_targetILNS1_3genE4ELNS1_11target_archE910ELNS1_3gpuE8ELNS1_3repE0EEENS1_36merge_oddeven_config_static_selectorELNS0_4arch9wavefront6targetE0EEEvSG_
                                        ; -- End function
	.set _ZN7rocprim17ROCPRIM_400000_NS6detail17trampoline_kernelINS0_14default_configENS1_38merge_sort_block_merge_config_selectorI12hip_bfloat16NS0_10empty_typeEEEZZNS1_27merge_sort_block_merge_implIS3_PS5_PS6_jNS1_19radix_merge_compareILb0ELb0ES5_NS0_19identity_decomposerEEEEE10hipError_tT0_T1_T2_jT3_P12ihipStream_tbPNSt15iterator_traitsISF_E10value_typeEPNSL_ISG_E10value_typeEPSH_NS1_7vsmem_tEENKUlT_SF_SG_SH_E_clIS9_S9_SA_SA_EESE_SU_SF_SG_SH_EUlSU_E1_NS1_11comp_targetILNS1_3genE4ELNS1_11target_archE910ELNS1_3gpuE8ELNS1_3repE0EEENS1_36merge_oddeven_config_static_selectorELNS0_4arch9wavefront6targetE0EEEvSG_.num_vgpr, 0
	.set _ZN7rocprim17ROCPRIM_400000_NS6detail17trampoline_kernelINS0_14default_configENS1_38merge_sort_block_merge_config_selectorI12hip_bfloat16NS0_10empty_typeEEEZZNS1_27merge_sort_block_merge_implIS3_PS5_PS6_jNS1_19radix_merge_compareILb0ELb0ES5_NS0_19identity_decomposerEEEEE10hipError_tT0_T1_T2_jT3_P12ihipStream_tbPNSt15iterator_traitsISF_E10value_typeEPNSL_ISG_E10value_typeEPSH_NS1_7vsmem_tEENKUlT_SF_SG_SH_E_clIS9_S9_SA_SA_EESE_SU_SF_SG_SH_EUlSU_E1_NS1_11comp_targetILNS1_3genE4ELNS1_11target_archE910ELNS1_3gpuE8ELNS1_3repE0EEENS1_36merge_oddeven_config_static_selectorELNS0_4arch9wavefront6targetE0EEEvSG_.num_agpr, 0
	.set _ZN7rocprim17ROCPRIM_400000_NS6detail17trampoline_kernelINS0_14default_configENS1_38merge_sort_block_merge_config_selectorI12hip_bfloat16NS0_10empty_typeEEEZZNS1_27merge_sort_block_merge_implIS3_PS5_PS6_jNS1_19radix_merge_compareILb0ELb0ES5_NS0_19identity_decomposerEEEEE10hipError_tT0_T1_T2_jT3_P12ihipStream_tbPNSt15iterator_traitsISF_E10value_typeEPNSL_ISG_E10value_typeEPSH_NS1_7vsmem_tEENKUlT_SF_SG_SH_E_clIS9_S9_SA_SA_EESE_SU_SF_SG_SH_EUlSU_E1_NS1_11comp_targetILNS1_3genE4ELNS1_11target_archE910ELNS1_3gpuE8ELNS1_3repE0EEENS1_36merge_oddeven_config_static_selectorELNS0_4arch9wavefront6targetE0EEEvSG_.numbered_sgpr, 0
	.set _ZN7rocprim17ROCPRIM_400000_NS6detail17trampoline_kernelINS0_14default_configENS1_38merge_sort_block_merge_config_selectorI12hip_bfloat16NS0_10empty_typeEEEZZNS1_27merge_sort_block_merge_implIS3_PS5_PS6_jNS1_19radix_merge_compareILb0ELb0ES5_NS0_19identity_decomposerEEEEE10hipError_tT0_T1_T2_jT3_P12ihipStream_tbPNSt15iterator_traitsISF_E10value_typeEPNSL_ISG_E10value_typeEPSH_NS1_7vsmem_tEENKUlT_SF_SG_SH_E_clIS9_S9_SA_SA_EESE_SU_SF_SG_SH_EUlSU_E1_NS1_11comp_targetILNS1_3genE4ELNS1_11target_archE910ELNS1_3gpuE8ELNS1_3repE0EEENS1_36merge_oddeven_config_static_selectorELNS0_4arch9wavefront6targetE0EEEvSG_.num_named_barrier, 0
	.set _ZN7rocprim17ROCPRIM_400000_NS6detail17trampoline_kernelINS0_14default_configENS1_38merge_sort_block_merge_config_selectorI12hip_bfloat16NS0_10empty_typeEEEZZNS1_27merge_sort_block_merge_implIS3_PS5_PS6_jNS1_19radix_merge_compareILb0ELb0ES5_NS0_19identity_decomposerEEEEE10hipError_tT0_T1_T2_jT3_P12ihipStream_tbPNSt15iterator_traitsISF_E10value_typeEPNSL_ISG_E10value_typeEPSH_NS1_7vsmem_tEENKUlT_SF_SG_SH_E_clIS9_S9_SA_SA_EESE_SU_SF_SG_SH_EUlSU_E1_NS1_11comp_targetILNS1_3genE4ELNS1_11target_archE910ELNS1_3gpuE8ELNS1_3repE0EEENS1_36merge_oddeven_config_static_selectorELNS0_4arch9wavefront6targetE0EEEvSG_.private_seg_size, 0
	.set _ZN7rocprim17ROCPRIM_400000_NS6detail17trampoline_kernelINS0_14default_configENS1_38merge_sort_block_merge_config_selectorI12hip_bfloat16NS0_10empty_typeEEEZZNS1_27merge_sort_block_merge_implIS3_PS5_PS6_jNS1_19radix_merge_compareILb0ELb0ES5_NS0_19identity_decomposerEEEEE10hipError_tT0_T1_T2_jT3_P12ihipStream_tbPNSt15iterator_traitsISF_E10value_typeEPNSL_ISG_E10value_typeEPSH_NS1_7vsmem_tEENKUlT_SF_SG_SH_E_clIS9_S9_SA_SA_EESE_SU_SF_SG_SH_EUlSU_E1_NS1_11comp_targetILNS1_3genE4ELNS1_11target_archE910ELNS1_3gpuE8ELNS1_3repE0EEENS1_36merge_oddeven_config_static_selectorELNS0_4arch9wavefront6targetE0EEEvSG_.uses_vcc, 0
	.set _ZN7rocprim17ROCPRIM_400000_NS6detail17trampoline_kernelINS0_14default_configENS1_38merge_sort_block_merge_config_selectorI12hip_bfloat16NS0_10empty_typeEEEZZNS1_27merge_sort_block_merge_implIS3_PS5_PS6_jNS1_19radix_merge_compareILb0ELb0ES5_NS0_19identity_decomposerEEEEE10hipError_tT0_T1_T2_jT3_P12ihipStream_tbPNSt15iterator_traitsISF_E10value_typeEPNSL_ISG_E10value_typeEPSH_NS1_7vsmem_tEENKUlT_SF_SG_SH_E_clIS9_S9_SA_SA_EESE_SU_SF_SG_SH_EUlSU_E1_NS1_11comp_targetILNS1_3genE4ELNS1_11target_archE910ELNS1_3gpuE8ELNS1_3repE0EEENS1_36merge_oddeven_config_static_selectorELNS0_4arch9wavefront6targetE0EEEvSG_.uses_flat_scratch, 0
	.set _ZN7rocprim17ROCPRIM_400000_NS6detail17trampoline_kernelINS0_14default_configENS1_38merge_sort_block_merge_config_selectorI12hip_bfloat16NS0_10empty_typeEEEZZNS1_27merge_sort_block_merge_implIS3_PS5_PS6_jNS1_19radix_merge_compareILb0ELb0ES5_NS0_19identity_decomposerEEEEE10hipError_tT0_T1_T2_jT3_P12ihipStream_tbPNSt15iterator_traitsISF_E10value_typeEPNSL_ISG_E10value_typeEPSH_NS1_7vsmem_tEENKUlT_SF_SG_SH_E_clIS9_S9_SA_SA_EESE_SU_SF_SG_SH_EUlSU_E1_NS1_11comp_targetILNS1_3genE4ELNS1_11target_archE910ELNS1_3gpuE8ELNS1_3repE0EEENS1_36merge_oddeven_config_static_selectorELNS0_4arch9wavefront6targetE0EEEvSG_.has_dyn_sized_stack, 0
	.set _ZN7rocprim17ROCPRIM_400000_NS6detail17trampoline_kernelINS0_14default_configENS1_38merge_sort_block_merge_config_selectorI12hip_bfloat16NS0_10empty_typeEEEZZNS1_27merge_sort_block_merge_implIS3_PS5_PS6_jNS1_19radix_merge_compareILb0ELb0ES5_NS0_19identity_decomposerEEEEE10hipError_tT0_T1_T2_jT3_P12ihipStream_tbPNSt15iterator_traitsISF_E10value_typeEPNSL_ISG_E10value_typeEPSH_NS1_7vsmem_tEENKUlT_SF_SG_SH_E_clIS9_S9_SA_SA_EESE_SU_SF_SG_SH_EUlSU_E1_NS1_11comp_targetILNS1_3genE4ELNS1_11target_archE910ELNS1_3gpuE8ELNS1_3repE0EEENS1_36merge_oddeven_config_static_selectorELNS0_4arch9wavefront6targetE0EEEvSG_.has_recursion, 0
	.set _ZN7rocprim17ROCPRIM_400000_NS6detail17trampoline_kernelINS0_14default_configENS1_38merge_sort_block_merge_config_selectorI12hip_bfloat16NS0_10empty_typeEEEZZNS1_27merge_sort_block_merge_implIS3_PS5_PS6_jNS1_19radix_merge_compareILb0ELb0ES5_NS0_19identity_decomposerEEEEE10hipError_tT0_T1_T2_jT3_P12ihipStream_tbPNSt15iterator_traitsISF_E10value_typeEPNSL_ISG_E10value_typeEPSH_NS1_7vsmem_tEENKUlT_SF_SG_SH_E_clIS9_S9_SA_SA_EESE_SU_SF_SG_SH_EUlSU_E1_NS1_11comp_targetILNS1_3genE4ELNS1_11target_archE910ELNS1_3gpuE8ELNS1_3repE0EEENS1_36merge_oddeven_config_static_selectorELNS0_4arch9wavefront6targetE0EEEvSG_.has_indirect_call, 0
	.section	.AMDGPU.csdata,"",@progbits
; Kernel info:
; codeLenInByte = 0
; TotalNumSgprs: 0
; NumVgprs: 0
; ScratchSize: 0
; MemoryBound: 0
; FloatMode: 240
; IeeeMode: 1
; LDSByteSize: 0 bytes/workgroup (compile time only)
; SGPRBlocks: 0
; VGPRBlocks: 0
; NumSGPRsForWavesPerEU: 1
; NumVGPRsForWavesPerEU: 1
; NamedBarCnt: 0
; Occupancy: 16
; WaveLimiterHint : 0
; COMPUTE_PGM_RSRC2:SCRATCH_EN: 0
; COMPUTE_PGM_RSRC2:USER_SGPR: 2
; COMPUTE_PGM_RSRC2:TRAP_HANDLER: 0
; COMPUTE_PGM_RSRC2:TGID_X_EN: 1
; COMPUTE_PGM_RSRC2:TGID_Y_EN: 0
; COMPUTE_PGM_RSRC2:TGID_Z_EN: 0
; COMPUTE_PGM_RSRC2:TIDIG_COMP_CNT: 0
	.section	.text._ZN7rocprim17ROCPRIM_400000_NS6detail17trampoline_kernelINS0_14default_configENS1_38merge_sort_block_merge_config_selectorI12hip_bfloat16NS0_10empty_typeEEEZZNS1_27merge_sort_block_merge_implIS3_PS5_PS6_jNS1_19radix_merge_compareILb0ELb0ES5_NS0_19identity_decomposerEEEEE10hipError_tT0_T1_T2_jT3_P12ihipStream_tbPNSt15iterator_traitsISF_E10value_typeEPNSL_ISG_E10value_typeEPSH_NS1_7vsmem_tEENKUlT_SF_SG_SH_E_clIS9_S9_SA_SA_EESE_SU_SF_SG_SH_EUlSU_E1_NS1_11comp_targetILNS1_3genE3ELNS1_11target_archE908ELNS1_3gpuE7ELNS1_3repE0EEENS1_36merge_oddeven_config_static_selectorELNS0_4arch9wavefront6targetE0EEEvSG_,"axG",@progbits,_ZN7rocprim17ROCPRIM_400000_NS6detail17trampoline_kernelINS0_14default_configENS1_38merge_sort_block_merge_config_selectorI12hip_bfloat16NS0_10empty_typeEEEZZNS1_27merge_sort_block_merge_implIS3_PS5_PS6_jNS1_19radix_merge_compareILb0ELb0ES5_NS0_19identity_decomposerEEEEE10hipError_tT0_T1_T2_jT3_P12ihipStream_tbPNSt15iterator_traitsISF_E10value_typeEPNSL_ISG_E10value_typeEPSH_NS1_7vsmem_tEENKUlT_SF_SG_SH_E_clIS9_S9_SA_SA_EESE_SU_SF_SG_SH_EUlSU_E1_NS1_11comp_targetILNS1_3genE3ELNS1_11target_archE908ELNS1_3gpuE7ELNS1_3repE0EEENS1_36merge_oddeven_config_static_selectorELNS0_4arch9wavefront6targetE0EEEvSG_,comdat
	.protected	_ZN7rocprim17ROCPRIM_400000_NS6detail17trampoline_kernelINS0_14default_configENS1_38merge_sort_block_merge_config_selectorI12hip_bfloat16NS0_10empty_typeEEEZZNS1_27merge_sort_block_merge_implIS3_PS5_PS6_jNS1_19radix_merge_compareILb0ELb0ES5_NS0_19identity_decomposerEEEEE10hipError_tT0_T1_T2_jT3_P12ihipStream_tbPNSt15iterator_traitsISF_E10value_typeEPNSL_ISG_E10value_typeEPSH_NS1_7vsmem_tEENKUlT_SF_SG_SH_E_clIS9_S9_SA_SA_EESE_SU_SF_SG_SH_EUlSU_E1_NS1_11comp_targetILNS1_3genE3ELNS1_11target_archE908ELNS1_3gpuE7ELNS1_3repE0EEENS1_36merge_oddeven_config_static_selectorELNS0_4arch9wavefront6targetE0EEEvSG_ ; -- Begin function _ZN7rocprim17ROCPRIM_400000_NS6detail17trampoline_kernelINS0_14default_configENS1_38merge_sort_block_merge_config_selectorI12hip_bfloat16NS0_10empty_typeEEEZZNS1_27merge_sort_block_merge_implIS3_PS5_PS6_jNS1_19radix_merge_compareILb0ELb0ES5_NS0_19identity_decomposerEEEEE10hipError_tT0_T1_T2_jT3_P12ihipStream_tbPNSt15iterator_traitsISF_E10value_typeEPNSL_ISG_E10value_typeEPSH_NS1_7vsmem_tEENKUlT_SF_SG_SH_E_clIS9_S9_SA_SA_EESE_SU_SF_SG_SH_EUlSU_E1_NS1_11comp_targetILNS1_3genE3ELNS1_11target_archE908ELNS1_3gpuE7ELNS1_3repE0EEENS1_36merge_oddeven_config_static_selectorELNS0_4arch9wavefront6targetE0EEEvSG_
	.globl	_ZN7rocprim17ROCPRIM_400000_NS6detail17trampoline_kernelINS0_14default_configENS1_38merge_sort_block_merge_config_selectorI12hip_bfloat16NS0_10empty_typeEEEZZNS1_27merge_sort_block_merge_implIS3_PS5_PS6_jNS1_19radix_merge_compareILb0ELb0ES5_NS0_19identity_decomposerEEEEE10hipError_tT0_T1_T2_jT3_P12ihipStream_tbPNSt15iterator_traitsISF_E10value_typeEPNSL_ISG_E10value_typeEPSH_NS1_7vsmem_tEENKUlT_SF_SG_SH_E_clIS9_S9_SA_SA_EESE_SU_SF_SG_SH_EUlSU_E1_NS1_11comp_targetILNS1_3genE3ELNS1_11target_archE908ELNS1_3gpuE7ELNS1_3repE0EEENS1_36merge_oddeven_config_static_selectorELNS0_4arch9wavefront6targetE0EEEvSG_
	.p2align	8
	.type	_ZN7rocprim17ROCPRIM_400000_NS6detail17trampoline_kernelINS0_14default_configENS1_38merge_sort_block_merge_config_selectorI12hip_bfloat16NS0_10empty_typeEEEZZNS1_27merge_sort_block_merge_implIS3_PS5_PS6_jNS1_19radix_merge_compareILb0ELb0ES5_NS0_19identity_decomposerEEEEE10hipError_tT0_T1_T2_jT3_P12ihipStream_tbPNSt15iterator_traitsISF_E10value_typeEPNSL_ISG_E10value_typeEPSH_NS1_7vsmem_tEENKUlT_SF_SG_SH_E_clIS9_S9_SA_SA_EESE_SU_SF_SG_SH_EUlSU_E1_NS1_11comp_targetILNS1_3genE3ELNS1_11target_archE908ELNS1_3gpuE7ELNS1_3repE0EEENS1_36merge_oddeven_config_static_selectorELNS0_4arch9wavefront6targetE0EEEvSG_,@function
_ZN7rocprim17ROCPRIM_400000_NS6detail17trampoline_kernelINS0_14default_configENS1_38merge_sort_block_merge_config_selectorI12hip_bfloat16NS0_10empty_typeEEEZZNS1_27merge_sort_block_merge_implIS3_PS5_PS6_jNS1_19radix_merge_compareILb0ELb0ES5_NS0_19identity_decomposerEEEEE10hipError_tT0_T1_T2_jT3_P12ihipStream_tbPNSt15iterator_traitsISF_E10value_typeEPNSL_ISG_E10value_typeEPSH_NS1_7vsmem_tEENKUlT_SF_SG_SH_E_clIS9_S9_SA_SA_EESE_SU_SF_SG_SH_EUlSU_E1_NS1_11comp_targetILNS1_3genE3ELNS1_11target_archE908ELNS1_3gpuE7ELNS1_3repE0EEENS1_36merge_oddeven_config_static_selectorELNS0_4arch9wavefront6targetE0EEEvSG_: ; @_ZN7rocprim17ROCPRIM_400000_NS6detail17trampoline_kernelINS0_14default_configENS1_38merge_sort_block_merge_config_selectorI12hip_bfloat16NS0_10empty_typeEEEZZNS1_27merge_sort_block_merge_implIS3_PS5_PS6_jNS1_19radix_merge_compareILb0ELb0ES5_NS0_19identity_decomposerEEEEE10hipError_tT0_T1_T2_jT3_P12ihipStream_tbPNSt15iterator_traitsISF_E10value_typeEPNSL_ISG_E10value_typeEPSH_NS1_7vsmem_tEENKUlT_SF_SG_SH_E_clIS9_S9_SA_SA_EESE_SU_SF_SG_SH_EUlSU_E1_NS1_11comp_targetILNS1_3genE3ELNS1_11target_archE908ELNS1_3gpuE7ELNS1_3repE0EEENS1_36merge_oddeven_config_static_selectorELNS0_4arch9wavefront6targetE0EEEvSG_
; %bb.0:
	.section	.rodata,"a",@progbits
	.p2align	6, 0x0
	.amdhsa_kernel _ZN7rocprim17ROCPRIM_400000_NS6detail17trampoline_kernelINS0_14default_configENS1_38merge_sort_block_merge_config_selectorI12hip_bfloat16NS0_10empty_typeEEEZZNS1_27merge_sort_block_merge_implIS3_PS5_PS6_jNS1_19radix_merge_compareILb0ELb0ES5_NS0_19identity_decomposerEEEEE10hipError_tT0_T1_T2_jT3_P12ihipStream_tbPNSt15iterator_traitsISF_E10value_typeEPNSL_ISG_E10value_typeEPSH_NS1_7vsmem_tEENKUlT_SF_SG_SH_E_clIS9_S9_SA_SA_EESE_SU_SF_SG_SH_EUlSU_E1_NS1_11comp_targetILNS1_3genE3ELNS1_11target_archE908ELNS1_3gpuE7ELNS1_3repE0EEENS1_36merge_oddeven_config_static_selectorELNS0_4arch9wavefront6targetE0EEEvSG_
		.amdhsa_group_segment_fixed_size 0
		.amdhsa_private_segment_fixed_size 0
		.amdhsa_kernarg_size 48
		.amdhsa_user_sgpr_count 2
		.amdhsa_user_sgpr_dispatch_ptr 0
		.amdhsa_user_sgpr_queue_ptr 0
		.amdhsa_user_sgpr_kernarg_segment_ptr 1
		.amdhsa_user_sgpr_dispatch_id 0
		.amdhsa_user_sgpr_kernarg_preload_length 0
		.amdhsa_user_sgpr_kernarg_preload_offset 0
		.amdhsa_user_sgpr_private_segment_size 0
		.amdhsa_wavefront_size32 1
		.amdhsa_uses_dynamic_stack 0
		.amdhsa_enable_private_segment 0
		.amdhsa_system_sgpr_workgroup_id_x 1
		.amdhsa_system_sgpr_workgroup_id_y 0
		.amdhsa_system_sgpr_workgroup_id_z 0
		.amdhsa_system_sgpr_workgroup_info 0
		.amdhsa_system_vgpr_workitem_id 0
		.amdhsa_next_free_vgpr 1
		.amdhsa_next_free_sgpr 1
		.amdhsa_named_barrier_count 0
		.amdhsa_reserve_vcc 0
		.amdhsa_float_round_mode_32 0
		.amdhsa_float_round_mode_16_64 0
		.amdhsa_float_denorm_mode_32 3
		.amdhsa_float_denorm_mode_16_64 3
		.amdhsa_fp16_overflow 0
		.amdhsa_memory_ordered 1
		.amdhsa_forward_progress 1
		.amdhsa_inst_pref_size 0
		.amdhsa_round_robin_scheduling 0
		.amdhsa_exception_fp_ieee_invalid_op 0
		.amdhsa_exception_fp_denorm_src 0
		.amdhsa_exception_fp_ieee_div_zero 0
		.amdhsa_exception_fp_ieee_overflow 0
		.amdhsa_exception_fp_ieee_underflow 0
		.amdhsa_exception_fp_ieee_inexact 0
		.amdhsa_exception_int_div_zero 0
	.end_amdhsa_kernel
	.section	.text._ZN7rocprim17ROCPRIM_400000_NS6detail17trampoline_kernelINS0_14default_configENS1_38merge_sort_block_merge_config_selectorI12hip_bfloat16NS0_10empty_typeEEEZZNS1_27merge_sort_block_merge_implIS3_PS5_PS6_jNS1_19radix_merge_compareILb0ELb0ES5_NS0_19identity_decomposerEEEEE10hipError_tT0_T1_T2_jT3_P12ihipStream_tbPNSt15iterator_traitsISF_E10value_typeEPNSL_ISG_E10value_typeEPSH_NS1_7vsmem_tEENKUlT_SF_SG_SH_E_clIS9_S9_SA_SA_EESE_SU_SF_SG_SH_EUlSU_E1_NS1_11comp_targetILNS1_3genE3ELNS1_11target_archE908ELNS1_3gpuE7ELNS1_3repE0EEENS1_36merge_oddeven_config_static_selectorELNS0_4arch9wavefront6targetE0EEEvSG_,"axG",@progbits,_ZN7rocprim17ROCPRIM_400000_NS6detail17trampoline_kernelINS0_14default_configENS1_38merge_sort_block_merge_config_selectorI12hip_bfloat16NS0_10empty_typeEEEZZNS1_27merge_sort_block_merge_implIS3_PS5_PS6_jNS1_19radix_merge_compareILb0ELb0ES5_NS0_19identity_decomposerEEEEE10hipError_tT0_T1_T2_jT3_P12ihipStream_tbPNSt15iterator_traitsISF_E10value_typeEPNSL_ISG_E10value_typeEPSH_NS1_7vsmem_tEENKUlT_SF_SG_SH_E_clIS9_S9_SA_SA_EESE_SU_SF_SG_SH_EUlSU_E1_NS1_11comp_targetILNS1_3genE3ELNS1_11target_archE908ELNS1_3gpuE7ELNS1_3repE0EEENS1_36merge_oddeven_config_static_selectorELNS0_4arch9wavefront6targetE0EEEvSG_,comdat
.Lfunc_end2029:
	.size	_ZN7rocprim17ROCPRIM_400000_NS6detail17trampoline_kernelINS0_14default_configENS1_38merge_sort_block_merge_config_selectorI12hip_bfloat16NS0_10empty_typeEEEZZNS1_27merge_sort_block_merge_implIS3_PS5_PS6_jNS1_19radix_merge_compareILb0ELb0ES5_NS0_19identity_decomposerEEEEE10hipError_tT0_T1_T2_jT3_P12ihipStream_tbPNSt15iterator_traitsISF_E10value_typeEPNSL_ISG_E10value_typeEPSH_NS1_7vsmem_tEENKUlT_SF_SG_SH_E_clIS9_S9_SA_SA_EESE_SU_SF_SG_SH_EUlSU_E1_NS1_11comp_targetILNS1_3genE3ELNS1_11target_archE908ELNS1_3gpuE7ELNS1_3repE0EEENS1_36merge_oddeven_config_static_selectorELNS0_4arch9wavefront6targetE0EEEvSG_, .Lfunc_end2029-_ZN7rocprim17ROCPRIM_400000_NS6detail17trampoline_kernelINS0_14default_configENS1_38merge_sort_block_merge_config_selectorI12hip_bfloat16NS0_10empty_typeEEEZZNS1_27merge_sort_block_merge_implIS3_PS5_PS6_jNS1_19radix_merge_compareILb0ELb0ES5_NS0_19identity_decomposerEEEEE10hipError_tT0_T1_T2_jT3_P12ihipStream_tbPNSt15iterator_traitsISF_E10value_typeEPNSL_ISG_E10value_typeEPSH_NS1_7vsmem_tEENKUlT_SF_SG_SH_E_clIS9_S9_SA_SA_EESE_SU_SF_SG_SH_EUlSU_E1_NS1_11comp_targetILNS1_3genE3ELNS1_11target_archE908ELNS1_3gpuE7ELNS1_3repE0EEENS1_36merge_oddeven_config_static_selectorELNS0_4arch9wavefront6targetE0EEEvSG_
                                        ; -- End function
	.set _ZN7rocprim17ROCPRIM_400000_NS6detail17trampoline_kernelINS0_14default_configENS1_38merge_sort_block_merge_config_selectorI12hip_bfloat16NS0_10empty_typeEEEZZNS1_27merge_sort_block_merge_implIS3_PS5_PS6_jNS1_19radix_merge_compareILb0ELb0ES5_NS0_19identity_decomposerEEEEE10hipError_tT0_T1_T2_jT3_P12ihipStream_tbPNSt15iterator_traitsISF_E10value_typeEPNSL_ISG_E10value_typeEPSH_NS1_7vsmem_tEENKUlT_SF_SG_SH_E_clIS9_S9_SA_SA_EESE_SU_SF_SG_SH_EUlSU_E1_NS1_11comp_targetILNS1_3genE3ELNS1_11target_archE908ELNS1_3gpuE7ELNS1_3repE0EEENS1_36merge_oddeven_config_static_selectorELNS0_4arch9wavefront6targetE0EEEvSG_.num_vgpr, 0
	.set _ZN7rocprim17ROCPRIM_400000_NS6detail17trampoline_kernelINS0_14default_configENS1_38merge_sort_block_merge_config_selectorI12hip_bfloat16NS0_10empty_typeEEEZZNS1_27merge_sort_block_merge_implIS3_PS5_PS6_jNS1_19radix_merge_compareILb0ELb0ES5_NS0_19identity_decomposerEEEEE10hipError_tT0_T1_T2_jT3_P12ihipStream_tbPNSt15iterator_traitsISF_E10value_typeEPNSL_ISG_E10value_typeEPSH_NS1_7vsmem_tEENKUlT_SF_SG_SH_E_clIS9_S9_SA_SA_EESE_SU_SF_SG_SH_EUlSU_E1_NS1_11comp_targetILNS1_3genE3ELNS1_11target_archE908ELNS1_3gpuE7ELNS1_3repE0EEENS1_36merge_oddeven_config_static_selectorELNS0_4arch9wavefront6targetE0EEEvSG_.num_agpr, 0
	.set _ZN7rocprim17ROCPRIM_400000_NS6detail17trampoline_kernelINS0_14default_configENS1_38merge_sort_block_merge_config_selectorI12hip_bfloat16NS0_10empty_typeEEEZZNS1_27merge_sort_block_merge_implIS3_PS5_PS6_jNS1_19radix_merge_compareILb0ELb0ES5_NS0_19identity_decomposerEEEEE10hipError_tT0_T1_T2_jT3_P12ihipStream_tbPNSt15iterator_traitsISF_E10value_typeEPNSL_ISG_E10value_typeEPSH_NS1_7vsmem_tEENKUlT_SF_SG_SH_E_clIS9_S9_SA_SA_EESE_SU_SF_SG_SH_EUlSU_E1_NS1_11comp_targetILNS1_3genE3ELNS1_11target_archE908ELNS1_3gpuE7ELNS1_3repE0EEENS1_36merge_oddeven_config_static_selectorELNS0_4arch9wavefront6targetE0EEEvSG_.numbered_sgpr, 0
	.set _ZN7rocprim17ROCPRIM_400000_NS6detail17trampoline_kernelINS0_14default_configENS1_38merge_sort_block_merge_config_selectorI12hip_bfloat16NS0_10empty_typeEEEZZNS1_27merge_sort_block_merge_implIS3_PS5_PS6_jNS1_19radix_merge_compareILb0ELb0ES5_NS0_19identity_decomposerEEEEE10hipError_tT0_T1_T2_jT3_P12ihipStream_tbPNSt15iterator_traitsISF_E10value_typeEPNSL_ISG_E10value_typeEPSH_NS1_7vsmem_tEENKUlT_SF_SG_SH_E_clIS9_S9_SA_SA_EESE_SU_SF_SG_SH_EUlSU_E1_NS1_11comp_targetILNS1_3genE3ELNS1_11target_archE908ELNS1_3gpuE7ELNS1_3repE0EEENS1_36merge_oddeven_config_static_selectorELNS0_4arch9wavefront6targetE0EEEvSG_.num_named_barrier, 0
	.set _ZN7rocprim17ROCPRIM_400000_NS6detail17trampoline_kernelINS0_14default_configENS1_38merge_sort_block_merge_config_selectorI12hip_bfloat16NS0_10empty_typeEEEZZNS1_27merge_sort_block_merge_implIS3_PS5_PS6_jNS1_19radix_merge_compareILb0ELb0ES5_NS0_19identity_decomposerEEEEE10hipError_tT0_T1_T2_jT3_P12ihipStream_tbPNSt15iterator_traitsISF_E10value_typeEPNSL_ISG_E10value_typeEPSH_NS1_7vsmem_tEENKUlT_SF_SG_SH_E_clIS9_S9_SA_SA_EESE_SU_SF_SG_SH_EUlSU_E1_NS1_11comp_targetILNS1_3genE3ELNS1_11target_archE908ELNS1_3gpuE7ELNS1_3repE0EEENS1_36merge_oddeven_config_static_selectorELNS0_4arch9wavefront6targetE0EEEvSG_.private_seg_size, 0
	.set _ZN7rocprim17ROCPRIM_400000_NS6detail17trampoline_kernelINS0_14default_configENS1_38merge_sort_block_merge_config_selectorI12hip_bfloat16NS0_10empty_typeEEEZZNS1_27merge_sort_block_merge_implIS3_PS5_PS6_jNS1_19radix_merge_compareILb0ELb0ES5_NS0_19identity_decomposerEEEEE10hipError_tT0_T1_T2_jT3_P12ihipStream_tbPNSt15iterator_traitsISF_E10value_typeEPNSL_ISG_E10value_typeEPSH_NS1_7vsmem_tEENKUlT_SF_SG_SH_E_clIS9_S9_SA_SA_EESE_SU_SF_SG_SH_EUlSU_E1_NS1_11comp_targetILNS1_3genE3ELNS1_11target_archE908ELNS1_3gpuE7ELNS1_3repE0EEENS1_36merge_oddeven_config_static_selectorELNS0_4arch9wavefront6targetE0EEEvSG_.uses_vcc, 0
	.set _ZN7rocprim17ROCPRIM_400000_NS6detail17trampoline_kernelINS0_14default_configENS1_38merge_sort_block_merge_config_selectorI12hip_bfloat16NS0_10empty_typeEEEZZNS1_27merge_sort_block_merge_implIS3_PS5_PS6_jNS1_19radix_merge_compareILb0ELb0ES5_NS0_19identity_decomposerEEEEE10hipError_tT0_T1_T2_jT3_P12ihipStream_tbPNSt15iterator_traitsISF_E10value_typeEPNSL_ISG_E10value_typeEPSH_NS1_7vsmem_tEENKUlT_SF_SG_SH_E_clIS9_S9_SA_SA_EESE_SU_SF_SG_SH_EUlSU_E1_NS1_11comp_targetILNS1_3genE3ELNS1_11target_archE908ELNS1_3gpuE7ELNS1_3repE0EEENS1_36merge_oddeven_config_static_selectorELNS0_4arch9wavefront6targetE0EEEvSG_.uses_flat_scratch, 0
	.set _ZN7rocprim17ROCPRIM_400000_NS6detail17trampoline_kernelINS0_14default_configENS1_38merge_sort_block_merge_config_selectorI12hip_bfloat16NS0_10empty_typeEEEZZNS1_27merge_sort_block_merge_implIS3_PS5_PS6_jNS1_19radix_merge_compareILb0ELb0ES5_NS0_19identity_decomposerEEEEE10hipError_tT0_T1_T2_jT3_P12ihipStream_tbPNSt15iterator_traitsISF_E10value_typeEPNSL_ISG_E10value_typeEPSH_NS1_7vsmem_tEENKUlT_SF_SG_SH_E_clIS9_S9_SA_SA_EESE_SU_SF_SG_SH_EUlSU_E1_NS1_11comp_targetILNS1_3genE3ELNS1_11target_archE908ELNS1_3gpuE7ELNS1_3repE0EEENS1_36merge_oddeven_config_static_selectorELNS0_4arch9wavefront6targetE0EEEvSG_.has_dyn_sized_stack, 0
	.set _ZN7rocprim17ROCPRIM_400000_NS6detail17trampoline_kernelINS0_14default_configENS1_38merge_sort_block_merge_config_selectorI12hip_bfloat16NS0_10empty_typeEEEZZNS1_27merge_sort_block_merge_implIS3_PS5_PS6_jNS1_19radix_merge_compareILb0ELb0ES5_NS0_19identity_decomposerEEEEE10hipError_tT0_T1_T2_jT3_P12ihipStream_tbPNSt15iterator_traitsISF_E10value_typeEPNSL_ISG_E10value_typeEPSH_NS1_7vsmem_tEENKUlT_SF_SG_SH_E_clIS9_S9_SA_SA_EESE_SU_SF_SG_SH_EUlSU_E1_NS1_11comp_targetILNS1_3genE3ELNS1_11target_archE908ELNS1_3gpuE7ELNS1_3repE0EEENS1_36merge_oddeven_config_static_selectorELNS0_4arch9wavefront6targetE0EEEvSG_.has_recursion, 0
	.set _ZN7rocprim17ROCPRIM_400000_NS6detail17trampoline_kernelINS0_14default_configENS1_38merge_sort_block_merge_config_selectorI12hip_bfloat16NS0_10empty_typeEEEZZNS1_27merge_sort_block_merge_implIS3_PS5_PS6_jNS1_19radix_merge_compareILb0ELb0ES5_NS0_19identity_decomposerEEEEE10hipError_tT0_T1_T2_jT3_P12ihipStream_tbPNSt15iterator_traitsISF_E10value_typeEPNSL_ISG_E10value_typeEPSH_NS1_7vsmem_tEENKUlT_SF_SG_SH_E_clIS9_S9_SA_SA_EESE_SU_SF_SG_SH_EUlSU_E1_NS1_11comp_targetILNS1_3genE3ELNS1_11target_archE908ELNS1_3gpuE7ELNS1_3repE0EEENS1_36merge_oddeven_config_static_selectorELNS0_4arch9wavefront6targetE0EEEvSG_.has_indirect_call, 0
	.section	.AMDGPU.csdata,"",@progbits
; Kernel info:
; codeLenInByte = 0
; TotalNumSgprs: 0
; NumVgprs: 0
; ScratchSize: 0
; MemoryBound: 0
; FloatMode: 240
; IeeeMode: 1
; LDSByteSize: 0 bytes/workgroup (compile time only)
; SGPRBlocks: 0
; VGPRBlocks: 0
; NumSGPRsForWavesPerEU: 1
; NumVGPRsForWavesPerEU: 1
; NamedBarCnt: 0
; Occupancy: 16
; WaveLimiterHint : 0
; COMPUTE_PGM_RSRC2:SCRATCH_EN: 0
; COMPUTE_PGM_RSRC2:USER_SGPR: 2
; COMPUTE_PGM_RSRC2:TRAP_HANDLER: 0
; COMPUTE_PGM_RSRC2:TGID_X_EN: 1
; COMPUTE_PGM_RSRC2:TGID_Y_EN: 0
; COMPUTE_PGM_RSRC2:TGID_Z_EN: 0
; COMPUTE_PGM_RSRC2:TIDIG_COMP_CNT: 0
	.section	.text._ZN7rocprim17ROCPRIM_400000_NS6detail17trampoline_kernelINS0_14default_configENS1_38merge_sort_block_merge_config_selectorI12hip_bfloat16NS0_10empty_typeEEEZZNS1_27merge_sort_block_merge_implIS3_PS5_PS6_jNS1_19radix_merge_compareILb0ELb0ES5_NS0_19identity_decomposerEEEEE10hipError_tT0_T1_T2_jT3_P12ihipStream_tbPNSt15iterator_traitsISF_E10value_typeEPNSL_ISG_E10value_typeEPSH_NS1_7vsmem_tEENKUlT_SF_SG_SH_E_clIS9_S9_SA_SA_EESE_SU_SF_SG_SH_EUlSU_E1_NS1_11comp_targetILNS1_3genE2ELNS1_11target_archE906ELNS1_3gpuE6ELNS1_3repE0EEENS1_36merge_oddeven_config_static_selectorELNS0_4arch9wavefront6targetE0EEEvSG_,"axG",@progbits,_ZN7rocprim17ROCPRIM_400000_NS6detail17trampoline_kernelINS0_14default_configENS1_38merge_sort_block_merge_config_selectorI12hip_bfloat16NS0_10empty_typeEEEZZNS1_27merge_sort_block_merge_implIS3_PS5_PS6_jNS1_19radix_merge_compareILb0ELb0ES5_NS0_19identity_decomposerEEEEE10hipError_tT0_T1_T2_jT3_P12ihipStream_tbPNSt15iterator_traitsISF_E10value_typeEPNSL_ISG_E10value_typeEPSH_NS1_7vsmem_tEENKUlT_SF_SG_SH_E_clIS9_S9_SA_SA_EESE_SU_SF_SG_SH_EUlSU_E1_NS1_11comp_targetILNS1_3genE2ELNS1_11target_archE906ELNS1_3gpuE6ELNS1_3repE0EEENS1_36merge_oddeven_config_static_selectorELNS0_4arch9wavefront6targetE0EEEvSG_,comdat
	.protected	_ZN7rocprim17ROCPRIM_400000_NS6detail17trampoline_kernelINS0_14default_configENS1_38merge_sort_block_merge_config_selectorI12hip_bfloat16NS0_10empty_typeEEEZZNS1_27merge_sort_block_merge_implIS3_PS5_PS6_jNS1_19radix_merge_compareILb0ELb0ES5_NS0_19identity_decomposerEEEEE10hipError_tT0_T1_T2_jT3_P12ihipStream_tbPNSt15iterator_traitsISF_E10value_typeEPNSL_ISG_E10value_typeEPSH_NS1_7vsmem_tEENKUlT_SF_SG_SH_E_clIS9_S9_SA_SA_EESE_SU_SF_SG_SH_EUlSU_E1_NS1_11comp_targetILNS1_3genE2ELNS1_11target_archE906ELNS1_3gpuE6ELNS1_3repE0EEENS1_36merge_oddeven_config_static_selectorELNS0_4arch9wavefront6targetE0EEEvSG_ ; -- Begin function _ZN7rocprim17ROCPRIM_400000_NS6detail17trampoline_kernelINS0_14default_configENS1_38merge_sort_block_merge_config_selectorI12hip_bfloat16NS0_10empty_typeEEEZZNS1_27merge_sort_block_merge_implIS3_PS5_PS6_jNS1_19radix_merge_compareILb0ELb0ES5_NS0_19identity_decomposerEEEEE10hipError_tT0_T1_T2_jT3_P12ihipStream_tbPNSt15iterator_traitsISF_E10value_typeEPNSL_ISG_E10value_typeEPSH_NS1_7vsmem_tEENKUlT_SF_SG_SH_E_clIS9_S9_SA_SA_EESE_SU_SF_SG_SH_EUlSU_E1_NS1_11comp_targetILNS1_3genE2ELNS1_11target_archE906ELNS1_3gpuE6ELNS1_3repE0EEENS1_36merge_oddeven_config_static_selectorELNS0_4arch9wavefront6targetE0EEEvSG_
	.globl	_ZN7rocprim17ROCPRIM_400000_NS6detail17trampoline_kernelINS0_14default_configENS1_38merge_sort_block_merge_config_selectorI12hip_bfloat16NS0_10empty_typeEEEZZNS1_27merge_sort_block_merge_implIS3_PS5_PS6_jNS1_19radix_merge_compareILb0ELb0ES5_NS0_19identity_decomposerEEEEE10hipError_tT0_T1_T2_jT3_P12ihipStream_tbPNSt15iterator_traitsISF_E10value_typeEPNSL_ISG_E10value_typeEPSH_NS1_7vsmem_tEENKUlT_SF_SG_SH_E_clIS9_S9_SA_SA_EESE_SU_SF_SG_SH_EUlSU_E1_NS1_11comp_targetILNS1_3genE2ELNS1_11target_archE906ELNS1_3gpuE6ELNS1_3repE0EEENS1_36merge_oddeven_config_static_selectorELNS0_4arch9wavefront6targetE0EEEvSG_
	.p2align	8
	.type	_ZN7rocprim17ROCPRIM_400000_NS6detail17trampoline_kernelINS0_14default_configENS1_38merge_sort_block_merge_config_selectorI12hip_bfloat16NS0_10empty_typeEEEZZNS1_27merge_sort_block_merge_implIS3_PS5_PS6_jNS1_19radix_merge_compareILb0ELb0ES5_NS0_19identity_decomposerEEEEE10hipError_tT0_T1_T2_jT3_P12ihipStream_tbPNSt15iterator_traitsISF_E10value_typeEPNSL_ISG_E10value_typeEPSH_NS1_7vsmem_tEENKUlT_SF_SG_SH_E_clIS9_S9_SA_SA_EESE_SU_SF_SG_SH_EUlSU_E1_NS1_11comp_targetILNS1_3genE2ELNS1_11target_archE906ELNS1_3gpuE6ELNS1_3repE0EEENS1_36merge_oddeven_config_static_selectorELNS0_4arch9wavefront6targetE0EEEvSG_,@function
_ZN7rocprim17ROCPRIM_400000_NS6detail17trampoline_kernelINS0_14default_configENS1_38merge_sort_block_merge_config_selectorI12hip_bfloat16NS0_10empty_typeEEEZZNS1_27merge_sort_block_merge_implIS3_PS5_PS6_jNS1_19radix_merge_compareILb0ELb0ES5_NS0_19identity_decomposerEEEEE10hipError_tT0_T1_T2_jT3_P12ihipStream_tbPNSt15iterator_traitsISF_E10value_typeEPNSL_ISG_E10value_typeEPSH_NS1_7vsmem_tEENKUlT_SF_SG_SH_E_clIS9_S9_SA_SA_EESE_SU_SF_SG_SH_EUlSU_E1_NS1_11comp_targetILNS1_3genE2ELNS1_11target_archE906ELNS1_3gpuE6ELNS1_3repE0EEENS1_36merge_oddeven_config_static_selectorELNS0_4arch9wavefront6targetE0EEEvSG_: ; @_ZN7rocprim17ROCPRIM_400000_NS6detail17trampoline_kernelINS0_14default_configENS1_38merge_sort_block_merge_config_selectorI12hip_bfloat16NS0_10empty_typeEEEZZNS1_27merge_sort_block_merge_implIS3_PS5_PS6_jNS1_19radix_merge_compareILb0ELb0ES5_NS0_19identity_decomposerEEEEE10hipError_tT0_T1_T2_jT3_P12ihipStream_tbPNSt15iterator_traitsISF_E10value_typeEPNSL_ISG_E10value_typeEPSH_NS1_7vsmem_tEENKUlT_SF_SG_SH_E_clIS9_S9_SA_SA_EESE_SU_SF_SG_SH_EUlSU_E1_NS1_11comp_targetILNS1_3genE2ELNS1_11target_archE906ELNS1_3gpuE6ELNS1_3repE0EEENS1_36merge_oddeven_config_static_selectorELNS0_4arch9wavefront6targetE0EEEvSG_
; %bb.0:
	.section	.rodata,"a",@progbits
	.p2align	6, 0x0
	.amdhsa_kernel _ZN7rocprim17ROCPRIM_400000_NS6detail17trampoline_kernelINS0_14default_configENS1_38merge_sort_block_merge_config_selectorI12hip_bfloat16NS0_10empty_typeEEEZZNS1_27merge_sort_block_merge_implIS3_PS5_PS6_jNS1_19radix_merge_compareILb0ELb0ES5_NS0_19identity_decomposerEEEEE10hipError_tT0_T1_T2_jT3_P12ihipStream_tbPNSt15iterator_traitsISF_E10value_typeEPNSL_ISG_E10value_typeEPSH_NS1_7vsmem_tEENKUlT_SF_SG_SH_E_clIS9_S9_SA_SA_EESE_SU_SF_SG_SH_EUlSU_E1_NS1_11comp_targetILNS1_3genE2ELNS1_11target_archE906ELNS1_3gpuE6ELNS1_3repE0EEENS1_36merge_oddeven_config_static_selectorELNS0_4arch9wavefront6targetE0EEEvSG_
		.amdhsa_group_segment_fixed_size 0
		.amdhsa_private_segment_fixed_size 0
		.amdhsa_kernarg_size 48
		.amdhsa_user_sgpr_count 2
		.amdhsa_user_sgpr_dispatch_ptr 0
		.amdhsa_user_sgpr_queue_ptr 0
		.amdhsa_user_sgpr_kernarg_segment_ptr 1
		.amdhsa_user_sgpr_dispatch_id 0
		.amdhsa_user_sgpr_kernarg_preload_length 0
		.amdhsa_user_sgpr_kernarg_preload_offset 0
		.amdhsa_user_sgpr_private_segment_size 0
		.amdhsa_wavefront_size32 1
		.amdhsa_uses_dynamic_stack 0
		.amdhsa_enable_private_segment 0
		.amdhsa_system_sgpr_workgroup_id_x 1
		.amdhsa_system_sgpr_workgroup_id_y 0
		.amdhsa_system_sgpr_workgroup_id_z 0
		.amdhsa_system_sgpr_workgroup_info 0
		.amdhsa_system_vgpr_workitem_id 0
		.amdhsa_next_free_vgpr 1
		.amdhsa_next_free_sgpr 1
		.amdhsa_named_barrier_count 0
		.amdhsa_reserve_vcc 0
		.amdhsa_float_round_mode_32 0
		.amdhsa_float_round_mode_16_64 0
		.amdhsa_float_denorm_mode_32 3
		.amdhsa_float_denorm_mode_16_64 3
		.amdhsa_fp16_overflow 0
		.amdhsa_memory_ordered 1
		.amdhsa_forward_progress 1
		.amdhsa_inst_pref_size 0
		.amdhsa_round_robin_scheduling 0
		.amdhsa_exception_fp_ieee_invalid_op 0
		.amdhsa_exception_fp_denorm_src 0
		.amdhsa_exception_fp_ieee_div_zero 0
		.amdhsa_exception_fp_ieee_overflow 0
		.amdhsa_exception_fp_ieee_underflow 0
		.amdhsa_exception_fp_ieee_inexact 0
		.amdhsa_exception_int_div_zero 0
	.end_amdhsa_kernel
	.section	.text._ZN7rocprim17ROCPRIM_400000_NS6detail17trampoline_kernelINS0_14default_configENS1_38merge_sort_block_merge_config_selectorI12hip_bfloat16NS0_10empty_typeEEEZZNS1_27merge_sort_block_merge_implIS3_PS5_PS6_jNS1_19radix_merge_compareILb0ELb0ES5_NS0_19identity_decomposerEEEEE10hipError_tT0_T1_T2_jT3_P12ihipStream_tbPNSt15iterator_traitsISF_E10value_typeEPNSL_ISG_E10value_typeEPSH_NS1_7vsmem_tEENKUlT_SF_SG_SH_E_clIS9_S9_SA_SA_EESE_SU_SF_SG_SH_EUlSU_E1_NS1_11comp_targetILNS1_3genE2ELNS1_11target_archE906ELNS1_3gpuE6ELNS1_3repE0EEENS1_36merge_oddeven_config_static_selectorELNS0_4arch9wavefront6targetE0EEEvSG_,"axG",@progbits,_ZN7rocprim17ROCPRIM_400000_NS6detail17trampoline_kernelINS0_14default_configENS1_38merge_sort_block_merge_config_selectorI12hip_bfloat16NS0_10empty_typeEEEZZNS1_27merge_sort_block_merge_implIS3_PS5_PS6_jNS1_19radix_merge_compareILb0ELb0ES5_NS0_19identity_decomposerEEEEE10hipError_tT0_T1_T2_jT3_P12ihipStream_tbPNSt15iterator_traitsISF_E10value_typeEPNSL_ISG_E10value_typeEPSH_NS1_7vsmem_tEENKUlT_SF_SG_SH_E_clIS9_S9_SA_SA_EESE_SU_SF_SG_SH_EUlSU_E1_NS1_11comp_targetILNS1_3genE2ELNS1_11target_archE906ELNS1_3gpuE6ELNS1_3repE0EEENS1_36merge_oddeven_config_static_selectorELNS0_4arch9wavefront6targetE0EEEvSG_,comdat
.Lfunc_end2030:
	.size	_ZN7rocprim17ROCPRIM_400000_NS6detail17trampoline_kernelINS0_14default_configENS1_38merge_sort_block_merge_config_selectorI12hip_bfloat16NS0_10empty_typeEEEZZNS1_27merge_sort_block_merge_implIS3_PS5_PS6_jNS1_19radix_merge_compareILb0ELb0ES5_NS0_19identity_decomposerEEEEE10hipError_tT0_T1_T2_jT3_P12ihipStream_tbPNSt15iterator_traitsISF_E10value_typeEPNSL_ISG_E10value_typeEPSH_NS1_7vsmem_tEENKUlT_SF_SG_SH_E_clIS9_S9_SA_SA_EESE_SU_SF_SG_SH_EUlSU_E1_NS1_11comp_targetILNS1_3genE2ELNS1_11target_archE906ELNS1_3gpuE6ELNS1_3repE0EEENS1_36merge_oddeven_config_static_selectorELNS0_4arch9wavefront6targetE0EEEvSG_, .Lfunc_end2030-_ZN7rocprim17ROCPRIM_400000_NS6detail17trampoline_kernelINS0_14default_configENS1_38merge_sort_block_merge_config_selectorI12hip_bfloat16NS0_10empty_typeEEEZZNS1_27merge_sort_block_merge_implIS3_PS5_PS6_jNS1_19radix_merge_compareILb0ELb0ES5_NS0_19identity_decomposerEEEEE10hipError_tT0_T1_T2_jT3_P12ihipStream_tbPNSt15iterator_traitsISF_E10value_typeEPNSL_ISG_E10value_typeEPSH_NS1_7vsmem_tEENKUlT_SF_SG_SH_E_clIS9_S9_SA_SA_EESE_SU_SF_SG_SH_EUlSU_E1_NS1_11comp_targetILNS1_3genE2ELNS1_11target_archE906ELNS1_3gpuE6ELNS1_3repE0EEENS1_36merge_oddeven_config_static_selectorELNS0_4arch9wavefront6targetE0EEEvSG_
                                        ; -- End function
	.set _ZN7rocprim17ROCPRIM_400000_NS6detail17trampoline_kernelINS0_14default_configENS1_38merge_sort_block_merge_config_selectorI12hip_bfloat16NS0_10empty_typeEEEZZNS1_27merge_sort_block_merge_implIS3_PS5_PS6_jNS1_19radix_merge_compareILb0ELb0ES5_NS0_19identity_decomposerEEEEE10hipError_tT0_T1_T2_jT3_P12ihipStream_tbPNSt15iterator_traitsISF_E10value_typeEPNSL_ISG_E10value_typeEPSH_NS1_7vsmem_tEENKUlT_SF_SG_SH_E_clIS9_S9_SA_SA_EESE_SU_SF_SG_SH_EUlSU_E1_NS1_11comp_targetILNS1_3genE2ELNS1_11target_archE906ELNS1_3gpuE6ELNS1_3repE0EEENS1_36merge_oddeven_config_static_selectorELNS0_4arch9wavefront6targetE0EEEvSG_.num_vgpr, 0
	.set _ZN7rocprim17ROCPRIM_400000_NS6detail17trampoline_kernelINS0_14default_configENS1_38merge_sort_block_merge_config_selectorI12hip_bfloat16NS0_10empty_typeEEEZZNS1_27merge_sort_block_merge_implIS3_PS5_PS6_jNS1_19radix_merge_compareILb0ELb0ES5_NS0_19identity_decomposerEEEEE10hipError_tT0_T1_T2_jT3_P12ihipStream_tbPNSt15iterator_traitsISF_E10value_typeEPNSL_ISG_E10value_typeEPSH_NS1_7vsmem_tEENKUlT_SF_SG_SH_E_clIS9_S9_SA_SA_EESE_SU_SF_SG_SH_EUlSU_E1_NS1_11comp_targetILNS1_3genE2ELNS1_11target_archE906ELNS1_3gpuE6ELNS1_3repE0EEENS1_36merge_oddeven_config_static_selectorELNS0_4arch9wavefront6targetE0EEEvSG_.num_agpr, 0
	.set _ZN7rocprim17ROCPRIM_400000_NS6detail17trampoline_kernelINS0_14default_configENS1_38merge_sort_block_merge_config_selectorI12hip_bfloat16NS0_10empty_typeEEEZZNS1_27merge_sort_block_merge_implIS3_PS5_PS6_jNS1_19radix_merge_compareILb0ELb0ES5_NS0_19identity_decomposerEEEEE10hipError_tT0_T1_T2_jT3_P12ihipStream_tbPNSt15iterator_traitsISF_E10value_typeEPNSL_ISG_E10value_typeEPSH_NS1_7vsmem_tEENKUlT_SF_SG_SH_E_clIS9_S9_SA_SA_EESE_SU_SF_SG_SH_EUlSU_E1_NS1_11comp_targetILNS1_3genE2ELNS1_11target_archE906ELNS1_3gpuE6ELNS1_3repE0EEENS1_36merge_oddeven_config_static_selectorELNS0_4arch9wavefront6targetE0EEEvSG_.numbered_sgpr, 0
	.set _ZN7rocprim17ROCPRIM_400000_NS6detail17trampoline_kernelINS0_14default_configENS1_38merge_sort_block_merge_config_selectorI12hip_bfloat16NS0_10empty_typeEEEZZNS1_27merge_sort_block_merge_implIS3_PS5_PS6_jNS1_19radix_merge_compareILb0ELb0ES5_NS0_19identity_decomposerEEEEE10hipError_tT0_T1_T2_jT3_P12ihipStream_tbPNSt15iterator_traitsISF_E10value_typeEPNSL_ISG_E10value_typeEPSH_NS1_7vsmem_tEENKUlT_SF_SG_SH_E_clIS9_S9_SA_SA_EESE_SU_SF_SG_SH_EUlSU_E1_NS1_11comp_targetILNS1_3genE2ELNS1_11target_archE906ELNS1_3gpuE6ELNS1_3repE0EEENS1_36merge_oddeven_config_static_selectorELNS0_4arch9wavefront6targetE0EEEvSG_.num_named_barrier, 0
	.set _ZN7rocprim17ROCPRIM_400000_NS6detail17trampoline_kernelINS0_14default_configENS1_38merge_sort_block_merge_config_selectorI12hip_bfloat16NS0_10empty_typeEEEZZNS1_27merge_sort_block_merge_implIS3_PS5_PS6_jNS1_19radix_merge_compareILb0ELb0ES5_NS0_19identity_decomposerEEEEE10hipError_tT0_T1_T2_jT3_P12ihipStream_tbPNSt15iterator_traitsISF_E10value_typeEPNSL_ISG_E10value_typeEPSH_NS1_7vsmem_tEENKUlT_SF_SG_SH_E_clIS9_S9_SA_SA_EESE_SU_SF_SG_SH_EUlSU_E1_NS1_11comp_targetILNS1_3genE2ELNS1_11target_archE906ELNS1_3gpuE6ELNS1_3repE0EEENS1_36merge_oddeven_config_static_selectorELNS0_4arch9wavefront6targetE0EEEvSG_.private_seg_size, 0
	.set _ZN7rocprim17ROCPRIM_400000_NS6detail17trampoline_kernelINS0_14default_configENS1_38merge_sort_block_merge_config_selectorI12hip_bfloat16NS0_10empty_typeEEEZZNS1_27merge_sort_block_merge_implIS3_PS5_PS6_jNS1_19radix_merge_compareILb0ELb0ES5_NS0_19identity_decomposerEEEEE10hipError_tT0_T1_T2_jT3_P12ihipStream_tbPNSt15iterator_traitsISF_E10value_typeEPNSL_ISG_E10value_typeEPSH_NS1_7vsmem_tEENKUlT_SF_SG_SH_E_clIS9_S9_SA_SA_EESE_SU_SF_SG_SH_EUlSU_E1_NS1_11comp_targetILNS1_3genE2ELNS1_11target_archE906ELNS1_3gpuE6ELNS1_3repE0EEENS1_36merge_oddeven_config_static_selectorELNS0_4arch9wavefront6targetE0EEEvSG_.uses_vcc, 0
	.set _ZN7rocprim17ROCPRIM_400000_NS6detail17trampoline_kernelINS0_14default_configENS1_38merge_sort_block_merge_config_selectorI12hip_bfloat16NS0_10empty_typeEEEZZNS1_27merge_sort_block_merge_implIS3_PS5_PS6_jNS1_19radix_merge_compareILb0ELb0ES5_NS0_19identity_decomposerEEEEE10hipError_tT0_T1_T2_jT3_P12ihipStream_tbPNSt15iterator_traitsISF_E10value_typeEPNSL_ISG_E10value_typeEPSH_NS1_7vsmem_tEENKUlT_SF_SG_SH_E_clIS9_S9_SA_SA_EESE_SU_SF_SG_SH_EUlSU_E1_NS1_11comp_targetILNS1_3genE2ELNS1_11target_archE906ELNS1_3gpuE6ELNS1_3repE0EEENS1_36merge_oddeven_config_static_selectorELNS0_4arch9wavefront6targetE0EEEvSG_.uses_flat_scratch, 0
	.set _ZN7rocprim17ROCPRIM_400000_NS6detail17trampoline_kernelINS0_14default_configENS1_38merge_sort_block_merge_config_selectorI12hip_bfloat16NS0_10empty_typeEEEZZNS1_27merge_sort_block_merge_implIS3_PS5_PS6_jNS1_19radix_merge_compareILb0ELb0ES5_NS0_19identity_decomposerEEEEE10hipError_tT0_T1_T2_jT3_P12ihipStream_tbPNSt15iterator_traitsISF_E10value_typeEPNSL_ISG_E10value_typeEPSH_NS1_7vsmem_tEENKUlT_SF_SG_SH_E_clIS9_S9_SA_SA_EESE_SU_SF_SG_SH_EUlSU_E1_NS1_11comp_targetILNS1_3genE2ELNS1_11target_archE906ELNS1_3gpuE6ELNS1_3repE0EEENS1_36merge_oddeven_config_static_selectorELNS0_4arch9wavefront6targetE0EEEvSG_.has_dyn_sized_stack, 0
	.set _ZN7rocprim17ROCPRIM_400000_NS6detail17trampoline_kernelINS0_14default_configENS1_38merge_sort_block_merge_config_selectorI12hip_bfloat16NS0_10empty_typeEEEZZNS1_27merge_sort_block_merge_implIS3_PS5_PS6_jNS1_19radix_merge_compareILb0ELb0ES5_NS0_19identity_decomposerEEEEE10hipError_tT0_T1_T2_jT3_P12ihipStream_tbPNSt15iterator_traitsISF_E10value_typeEPNSL_ISG_E10value_typeEPSH_NS1_7vsmem_tEENKUlT_SF_SG_SH_E_clIS9_S9_SA_SA_EESE_SU_SF_SG_SH_EUlSU_E1_NS1_11comp_targetILNS1_3genE2ELNS1_11target_archE906ELNS1_3gpuE6ELNS1_3repE0EEENS1_36merge_oddeven_config_static_selectorELNS0_4arch9wavefront6targetE0EEEvSG_.has_recursion, 0
	.set _ZN7rocprim17ROCPRIM_400000_NS6detail17trampoline_kernelINS0_14default_configENS1_38merge_sort_block_merge_config_selectorI12hip_bfloat16NS0_10empty_typeEEEZZNS1_27merge_sort_block_merge_implIS3_PS5_PS6_jNS1_19radix_merge_compareILb0ELb0ES5_NS0_19identity_decomposerEEEEE10hipError_tT0_T1_T2_jT3_P12ihipStream_tbPNSt15iterator_traitsISF_E10value_typeEPNSL_ISG_E10value_typeEPSH_NS1_7vsmem_tEENKUlT_SF_SG_SH_E_clIS9_S9_SA_SA_EESE_SU_SF_SG_SH_EUlSU_E1_NS1_11comp_targetILNS1_3genE2ELNS1_11target_archE906ELNS1_3gpuE6ELNS1_3repE0EEENS1_36merge_oddeven_config_static_selectorELNS0_4arch9wavefront6targetE0EEEvSG_.has_indirect_call, 0
	.section	.AMDGPU.csdata,"",@progbits
; Kernel info:
; codeLenInByte = 0
; TotalNumSgprs: 0
; NumVgprs: 0
; ScratchSize: 0
; MemoryBound: 0
; FloatMode: 240
; IeeeMode: 1
; LDSByteSize: 0 bytes/workgroup (compile time only)
; SGPRBlocks: 0
; VGPRBlocks: 0
; NumSGPRsForWavesPerEU: 1
; NumVGPRsForWavesPerEU: 1
; NamedBarCnt: 0
; Occupancy: 16
; WaveLimiterHint : 0
; COMPUTE_PGM_RSRC2:SCRATCH_EN: 0
; COMPUTE_PGM_RSRC2:USER_SGPR: 2
; COMPUTE_PGM_RSRC2:TRAP_HANDLER: 0
; COMPUTE_PGM_RSRC2:TGID_X_EN: 1
; COMPUTE_PGM_RSRC2:TGID_Y_EN: 0
; COMPUTE_PGM_RSRC2:TGID_Z_EN: 0
; COMPUTE_PGM_RSRC2:TIDIG_COMP_CNT: 0
	.section	.text._ZN7rocprim17ROCPRIM_400000_NS6detail17trampoline_kernelINS0_14default_configENS1_38merge_sort_block_merge_config_selectorI12hip_bfloat16NS0_10empty_typeEEEZZNS1_27merge_sort_block_merge_implIS3_PS5_PS6_jNS1_19radix_merge_compareILb0ELb0ES5_NS0_19identity_decomposerEEEEE10hipError_tT0_T1_T2_jT3_P12ihipStream_tbPNSt15iterator_traitsISF_E10value_typeEPNSL_ISG_E10value_typeEPSH_NS1_7vsmem_tEENKUlT_SF_SG_SH_E_clIS9_S9_SA_SA_EESE_SU_SF_SG_SH_EUlSU_E1_NS1_11comp_targetILNS1_3genE9ELNS1_11target_archE1100ELNS1_3gpuE3ELNS1_3repE0EEENS1_36merge_oddeven_config_static_selectorELNS0_4arch9wavefront6targetE0EEEvSG_,"axG",@progbits,_ZN7rocprim17ROCPRIM_400000_NS6detail17trampoline_kernelINS0_14default_configENS1_38merge_sort_block_merge_config_selectorI12hip_bfloat16NS0_10empty_typeEEEZZNS1_27merge_sort_block_merge_implIS3_PS5_PS6_jNS1_19radix_merge_compareILb0ELb0ES5_NS0_19identity_decomposerEEEEE10hipError_tT0_T1_T2_jT3_P12ihipStream_tbPNSt15iterator_traitsISF_E10value_typeEPNSL_ISG_E10value_typeEPSH_NS1_7vsmem_tEENKUlT_SF_SG_SH_E_clIS9_S9_SA_SA_EESE_SU_SF_SG_SH_EUlSU_E1_NS1_11comp_targetILNS1_3genE9ELNS1_11target_archE1100ELNS1_3gpuE3ELNS1_3repE0EEENS1_36merge_oddeven_config_static_selectorELNS0_4arch9wavefront6targetE0EEEvSG_,comdat
	.protected	_ZN7rocprim17ROCPRIM_400000_NS6detail17trampoline_kernelINS0_14default_configENS1_38merge_sort_block_merge_config_selectorI12hip_bfloat16NS0_10empty_typeEEEZZNS1_27merge_sort_block_merge_implIS3_PS5_PS6_jNS1_19radix_merge_compareILb0ELb0ES5_NS0_19identity_decomposerEEEEE10hipError_tT0_T1_T2_jT3_P12ihipStream_tbPNSt15iterator_traitsISF_E10value_typeEPNSL_ISG_E10value_typeEPSH_NS1_7vsmem_tEENKUlT_SF_SG_SH_E_clIS9_S9_SA_SA_EESE_SU_SF_SG_SH_EUlSU_E1_NS1_11comp_targetILNS1_3genE9ELNS1_11target_archE1100ELNS1_3gpuE3ELNS1_3repE0EEENS1_36merge_oddeven_config_static_selectorELNS0_4arch9wavefront6targetE0EEEvSG_ ; -- Begin function _ZN7rocprim17ROCPRIM_400000_NS6detail17trampoline_kernelINS0_14default_configENS1_38merge_sort_block_merge_config_selectorI12hip_bfloat16NS0_10empty_typeEEEZZNS1_27merge_sort_block_merge_implIS3_PS5_PS6_jNS1_19radix_merge_compareILb0ELb0ES5_NS0_19identity_decomposerEEEEE10hipError_tT0_T1_T2_jT3_P12ihipStream_tbPNSt15iterator_traitsISF_E10value_typeEPNSL_ISG_E10value_typeEPSH_NS1_7vsmem_tEENKUlT_SF_SG_SH_E_clIS9_S9_SA_SA_EESE_SU_SF_SG_SH_EUlSU_E1_NS1_11comp_targetILNS1_3genE9ELNS1_11target_archE1100ELNS1_3gpuE3ELNS1_3repE0EEENS1_36merge_oddeven_config_static_selectorELNS0_4arch9wavefront6targetE0EEEvSG_
	.globl	_ZN7rocprim17ROCPRIM_400000_NS6detail17trampoline_kernelINS0_14default_configENS1_38merge_sort_block_merge_config_selectorI12hip_bfloat16NS0_10empty_typeEEEZZNS1_27merge_sort_block_merge_implIS3_PS5_PS6_jNS1_19radix_merge_compareILb0ELb0ES5_NS0_19identity_decomposerEEEEE10hipError_tT0_T1_T2_jT3_P12ihipStream_tbPNSt15iterator_traitsISF_E10value_typeEPNSL_ISG_E10value_typeEPSH_NS1_7vsmem_tEENKUlT_SF_SG_SH_E_clIS9_S9_SA_SA_EESE_SU_SF_SG_SH_EUlSU_E1_NS1_11comp_targetILNS1_3genE9ELNS1_11target_archE1100ELNS1_3gpuE3ELNS1_3repE0EEENS1_36merge_oddeven_config_static_selectorELNS0_4arch9wavefront6targetE0EEEvSG_
	.p2align	8
	.type	_ZN7rocprim17ROCPRIM_400000_NS6detail17trampoline_kernelINS0_14default_configENS1_38merge_sort_block_merge_config_selectorI12hip_bfloat16NS0_10empty_typeEEEZZNS1_27merge_sort_block_merge_implIS3_PS5_PS6_jNS1_19radix_merge_compareILb0ELb0ES5_NS0_19identity_decomposerEEEEE10hipError_tT0_T1_T2_jT3_P12ihipStream_tbPNSt15iterator_traitsISF_E10value_typeEPNSL_ISG_E10value_typeEPSH_NS1_7vsmem_tEENKUlT_SF_SG_SH_E_clIS9_S9_SA_SA_EESE_SU_SF_SG_SH_EUlSU_E1_NS1_11comp_targetILNS1_3genE9ELNS1_11target_archE1100ELNS1_3gpuE3ELNS1_3repE0EEENS1_36merge_oddeven_config_static_selectorELNS0_4arch9wavefront6targetE0EEEvSG_,@function
_ZN7rocprim17ROCPRIM_400000_NS6detail17trampoline_kernelINS0_14default_configENS1_38merge_sort_block_merge_config_selectorI12hip_bfloat16NS0_10empty_typeEEEZZNS1_27merge_sort_block_merge_implIS3_PS5_PS6_jNS1_19radix_merge_compareILb0ELb0ES5_NS0_19identity_decomposerEEEEE10hipError_tT0_T1_T2_jT3_P12ihipStream_tbPNSt15iterator_traitsISF_E10value_typeEPNSL_ISG_E10value_typeEPSH_NS1_7vsmem_tEENKUlT_SF_SG_SH_E_clIS9_S9_SA_SA_EESE_SU_SF_SG_SH_EUlSU_E1_NS1_11comp_targetILNS1_3genE9ELNS1_11target_archE1100ELNS1_3gpuE3ELNS1_3repE0EEENS1_36merge_oddeven_config_static_selectorELNS0_4arch9wavefront6targetE0EEEvSG_: ; @_ZN7rocprim17ROCPRIM_400000_NS6detail17trampoline_kernelINS0_14default_configENS1_38merge_sort_block_merge_config_selectorI12hip_bfloat16NS0_10empty_typeEEEZZNS1_27merge_sort_block_merge_implIS3_PS5_PS6_jNS1_19radix_merge_compareILb0ELb0ES5_NS0_19identity_decomposerEEEEE10hipError_tT0_T1_T2_jT3_P12ihipStream_tbPNSt15iterator_traitsISF_E10value_typeEPNSL_ISG_E10value_typeEPSH_NS1_7vsmem_tEENKUlT_SF_SG_SH_E_clIS9_S9_SA_SA_EESE_SU_SF_SG_SH_EUlSU_E1_NS1_11comp_targetILNS1_3genE9ELNS1_11target_archE1100ELNS1_3gpuE3ELNS1_3repE0EEENS1_36merge_oddeven_config_static_selectorELNS0_4arch9wavefront6targetE0EEEvSG_
; %bb.0:
	.section	.rodata,"a",@progbits
	.p2align	6, 0x0
	.amdhsa_kernel _ZN7rocprim17ROCPRIM_400000_NS6detail17trampoline_kernelINS0_14default_configENS1_38merge_sort_block_merge_config_selectorI12hip_bfloat16NS0_10empty_typeEEEZZNS1_27merge_sort_block_merge_implIS3_PS5_PS6_jNS1_19radix_merge_compareILb0ELb0ES5_NS0_19identity_decomposerEEEEE10hipError_tT0_T1_T2_jT3_P12ihipStream_tbPNSt15iterator_traitsISF_E10value_typeEPNSL_ISG_E10value_typeEPSH_NS1_7vsmem_tEENKUlT_SF_SG_SH_E_clIS9_S9_SA_SA_EESE_SU_SF_SG_SH_EUlSU_E1_NS1_11comp_targetILNS1_3genE9ELNS1_11target_archE1100ELNS1_3gpuE3ELNS1_3repE0EEENS1_36merge_oddeven_config_static_selectorELNS0_4arch9wavefront6targetE0EEEvSG_
		.amdhsa_group_segment_fixed_size 0
		.amdhsa_private_segment_fixed_size 0
		.amdhsa_kernarg_size 48
		.amdhsa_user_sgpr_count 2
		.amdhsa_user_sgpr_dispatch_ptr 0
		.amdhsa_user_sgpr_queue_ptr 0
		.amdhsa_user_sgpr_kernarg_segment_ptr 1
		.amdhsa_user_sgpr_dispatch_id 0
		.amdhsa_user_sgpr_kernarg_preload_length 0
		.amdhsa_user_sgpr_kernarg_preload_offset 0
		.amdhsa_user_sgpr_private_segment_size 0
		.amdhsa_wavefront_size32 1
		.amdhsa_uses_dynamic_stack 0
		.amdhsa_enable_private_segment 0
		.amdhsa_system_sgpr_workgroup_id_x 1
		.amdhsa_system_sgpr_workgroup_id_y 0
		.amdhsa_system_sgpr_workgroup_id_z 0
		.amdhsa_system_sgpr_workgroup_info 0
		.amdhsa_system_vgpr_workitem_id 0
		.amdhsa_next_free_vgpr 1
		.amdhsa_next_free_sgpr 1
		.amdhsa_named_barrier_count 0
		.amdhsa_reserve_vcc 0
		.amdhsa_float_round_mode_32 0
		.amdhsa_float_round_mode_16_64 0
		.amdhsa_float_denorm_mode_32 3
		.amdhsa_float_denorm_mode_16_64 3
		.amdhsa_fp16_overflow 0
		.amdhsa_memory_ordered 1
		.amdhsa_forward_progress 1
		.amdhsa_inst_pref_size 0
		.amdhsa_round_robin_scheduling 0
		.amdhsa_exception_fp_ieee_invalid_op 0
		.amdhsa_exception_fp_denorm_src 0
		.amdhsa_exception_fp_ieee_div_zero 0
		.amdhsa_exception_fp_ieee_overflow 0
		.amdhsa_exception_fp_ieee_underflow 0
		.amdhsa_exception_fp_ieee_inexact 0
		.amdhsa_exception_int_div_zero 0
	.end_amdhsa_kernel
	.section	.text._ZN7rocprim17ROCPRIM_400000_NS6detail17trampoline_kernelINS0_14default_configENS1_38merge_sort_block_merge_config_selectorI12hip_bfloat16NS0_10empty_typeEEEZZNS1_27merge_sort_block_merge_implIS3_PS5_PS6_jNS1_19radix_merge_compareILb0ELb0ES5_NS0_19identity_decomposerEEEEE10hipError_tT0_T1_T2_jT3_P12ihipStream_tbPNSt15iterator_traitsISF_E10value_typeEPNSL_ISG_E10value_typeEPSH_NS1_7vsmem_tEENKUlT_SF_SG_SH_E_clIS9_S9_SA_SA_EESE_SU_SF_SG_SH_EUlSU_E1_NS1_11comp_targetILNS1_3genE9ELNS1_11target_archE1100ELNS1_3gpuE3ELNS1_3repE0EEENS1_36merge_oddeven_config_static_selectorELNS0_4arch9wavefront6targetE0EEEvSG_,"axG",@progbits,_ZN7rocprim17ROCPRIM_400000_NS6detail17trampoline_kernelINS0_14default_configENS1_38merge_sort_block_merge_config_selectorI12hip_bfloat16NS0_10empty_typeEEEZZNS1_27merge_sort_block_merge_implIS3_PS5_PS6_jNS1_19radix_merge_compareILb0ELb0ES5_NS0_19identity_decomposerEEEEE10hipError_tT0_T1_T2_jT3_P12ihipStream_tbPNSt15iterator_traitsISF_E10value_typeEPNSL_ISG_E10value_typeEPSH_NS1_7vsmem_tEENKUlT_SF_SG_SH_E_clIS9_S9_SA_SA_EESE_SU_SF_SG_SH_EUlSU_E1_NS1_11comp_targetILNS1_3genE9ELNS1_11target_archE1100ELNS1_3gpuE3ELNS1_3repE0EEENS1_36merge_oddeven_config_static_selectorELNS0_4arch9wavefront6targetE0EEEvSG_,comdat
.Lfunc_end2031:
	.size	_ZN7rocprim17ROCPRIM_400000_NS6detail17trampoline_kernelINS0_14default_configENS1_38merge_sort_block_merge_config_selectorI12hip_bfloat16NS0_10empty_typeEEEZZNS1_27merge_sort_block_merge_implIS3_PS5_PS6_jNS1_19radix_merge_compareILb0ELb0ES5_NS0_19identity_decomposerEEEEE10hipError_tT0_T1_T2_jT3_P12ihipStream_tbPNSt15iterator_traitsISF_E10value_typeEPNSL_ISG_E10value_typeEPSH_NS1_7vsmem_tEENKUlT_SF_SG_SH_E_clIS9_S9_SA_SA_EESE_SU_SF_SG_SH_EUlSU_E1_NS1_11comp_targetILNS1_3genE9ELNS1_11target_archE1100ELNS1_3gpuE3ELNS1_3repE0EEENS1_36merge_oddeven_config_static_selectorELNS0_4arch9wavefront6targetE0EEEvSG_, .Lfunc_end2031-_ZN7rocprim17ROCPRIM_400000_NS6detail17trampoline_kernelINS0_14default_configENS1_38merge_sort_block_merge_config_selectorI12hip_bfloat16NS0_10empty_typeEEEZZNS1_27merge_sort_block_merge_implIS3_PS5_PS6_jNS1_19radix_merge_compareILb0ELb0ES5_NS0_19identity_decomposerEEEEE10hipError_tT0_T1_T2_jT3_P12ihipStream_tbPNSt15iterator_traitsISF_E10value_typeEPNSL_ISG_E10value_typeEPSH_NS1_7vsmem_tEENKUlT_SF_SG_SH_E_clIS9_S9_SA_SA_EESE_SU_SF_SG_SH_EUlSU_E1_NS1_11comp_targetILNS1_3genE9ELNS1_11target_archE1100ELNS1_3gpuE3ELNS1_3repE0EEENS1_36merge_oddeven_config_static_selectorELNS0_4arch9wavefront6targetE0EEEvSG_
                                        ; -- End function
	.set _ZN7rocprim17ROCPRIM_400000_NS6detail17trampoline_kernelINS0_14default_configENS1_38merge_sort_block_merge_config_selectorI12hip_bfloat16NS0_10empty_typeEEEZZNS1_27merge_sort_block_merge_implIS3_PS5_PS6_jNS1_19radix_merge_compareILb0ELb0ES5_NS0_19identity_decomposerEEEEE10hipError_tT0_T1_T2_jT3_P12ihipStream_tbPNSt15iterator_traitsISF_E10value_typeEPNSL_ISG_E10value_typeEPSH_NS1_7vsmem_tEENKUlT_SF_SG_SH_E_clIS9_S9_SA_SA_EESE_SU_SF_SG_SH_EUlSU_E1_NS1_11comp_targetILNS1_3genE9ELNS1_11target_archE1100ELNS1_3gpuE3ELNS1_3repE0EEENS1_36merge_oddeven_config_static_selectorELNS0_4arch9wavefront6targetE0EEEvSG_.num_vgpr, 0
	.set _ZN7rocprim17ROCPRIM_400000_NS6detail17trampoline_kernelINS0_14default_configENS1_38merge_sort_block_merge_config_selectorI12hip_bfloat16NS0_10empty_typeEEEZZNS1_27merge_sort_block_merge_implIS3_PS5_PS6_jNS1_19radix_merge_compareILb0ELb0ES5_NS0_19identity_decomposerEEEEE10hipError_tT0_T1_T2_jT3_P12ihipStream_tbPNSt15iterator_traitsISF_E10value_typeEPNSL_ISG_E10value_typeEPSH_NS1_7vsmem_tEENKUlT_SF_SG_SH_E_clIS9_S9_SA_SA_EESE_SU_SF_SG_SH_EUlSU_E1_NS1_11comp_targetILNS1_3genE9ELNS1_11target_archE1100ELNS1_3gpuE3ELNS1_3repE0EEENS1_36merge_oddeven_config_static_selectorELNS0_4arch9wavefront6targetE0EEEvSG_.num_agpr, 0
	.set _ZN7rocprim17ROCPRIM_400000_NS6detail17trampoline_kernelINS0_14default_configENS1_38merge_sort_block_merge_config_selectorI12hip_bfloat16NS0_10empty_typeEEEZZNS1_27merge_sort_block_merge_implIS3_PS5_PS6_jNS1_19radix_merge_compareILb0ELb0ES5_NS0_19identity_decomposerEEEEE10hipError_tT0_T1_T2_jT3_P12ihipStream_tbPNSt15iterator_traitsISF_E10value_typeEPNSL_ISG_E10value_typeEPSH_NS1_7vsmem_tEENKUlT_SF_SG_SH_E_clIS9_S9_SA_SA_EESE_SU_SF_SG_SH_EUlSU_E1_NS1_11comp_targetILNS1_3genE9ELNS1_11target_archE1100ELNS1_3gpuE3ELNS1_3repE0EEENS1_36merge_oddeven_config_static_selectorELNS0_4arch9wavefront6targetE0EEEvSG_.numbered_sgpr, 0
	.set _ZN7rocprim17ROCPRIM_400000_NS6detail17trampoline_kernelINS0_14default_configENS1_38merge_sort_block_merge_config_selectorI12hip_bfloat16NS0_10empty_typeEEEZZNS1_27merge_sort_block_merge_implIS3_PS5_PS6_jNS1_19radix_merge_compareILb0ELb0ES5_NS0_19identity_decomposerEEEEE10hipError_tT0_T1_T2_jT3_P12ihipStream_tbPNSt15iterator_traitsISF_E10value_typeEPNSL_ISG_E10value_typeEPSH_NS1_7vsmem_tEENKUlT_SF_SG_SH_E_clIS9_S9_SA_SA_EESE_SU_SF_SG_SH_EUlSU_E1_NS1_11comp_targetILNS1_3genE9ELNS1_11target_archE1100ELNS1_3gpuE3ELNS1_3repE0EEENS1_36merge_oddeven_config_static_selectorELNS0_4arch9wavefront6targetE0EEEvSG_.num_named_barrier, 0
	.set _ZN7rocprim17ROCPRIM_400000_NS6detail17trampoline_kernelINS0_14default_configENS1_38merge_sort_block_merge_config_selectorI12hip_bfloat16NS0_10empty_typeEEEZZNS1_27merge_sort_block_merge_implIS3_PS5_PS6_jNS1_19radix_merge_compareILb0ELb0ES5_NS0_19identity_decomposerEEEEE10hipError_tT0_T1_T2_jT3_P12ihipStream_tbPNSt15iterator_traitsISF_E10value_typeEPNSL_ISG_E10value_typeEPSH_NS1_7vsmem_tEENKUlT_SF_SG_SH_E_clIS9_S9_SA_SA_EESE_SU_SF_SG_SH_EUlSU_E1_NS1_11comp_targetILNS1_3genE9ELNS1_11target_archE1100ELNS1_3gpuE3ELNS1_3repE0EEENS1_36merge_oddeven_config_static_selectorELNS0_4arch9wavefront6targetE0EEEvSG_.private_seg_size, 0
	.set _ZN7rocprim17ROCPRIM_400000_NS6detail17trampoline_kernelINS0_14default_configENS1_38merge_sort_block_merge_config_selectorI12hip_bfloat16NS0_10empty_typeEEEZZNS1_27merge_sort_block_merge_implIS3_PS5_PS6_jNS1_19radix_merge_compareILb0ELb0ES5_NS0_19identity_decomposerEEEEE10hipError_tT0_T1_T2_jT3_P12ihipStream_tbPNSt15iterator_traitsISF_E10value_typeEPNSL_ISG_E10value_typeEPSH_NS1_7vsmem_tEENKUlT_SF_SG_SH_E_clIS9_S9_SA_SA_EESE_SU_SF_SG_SH_EUlSU_E1_NS1_11comp_targetILNS1_3genE9ELNS1_11target_archE1100ELNS1_3gpuE3ELNS1_3repE0EEENS1_36merge_oddeven_config_static_selectorELNS0_4arch9wavefront6targetE0EEEvSG_.uses_vcc, 0
	.set _ZN7rocprim17ROCPRIM_400000_NS6detail17trampoline_kernelINS0_14default_configENS1_38merge_sort_block_merge_config_selectorI12hip_bfloat16NS0_10empty_typeEEEZZNS1_27merge_sort_block_merge_implIS3_PS5_PS6_jNS1_19radix_merge_compareILb0ELb0ES5_NS0_19identity_decomposerEEEEE10hipError_tT0_T1_T2_jT3_P12ihipStream_tbPNSt15iterator_traitsISF_E10value_typeEPNSL_ISG_E10value_typeEPSH_NS1_7vsmem_tEENKUlT_SF_SG_SH_E_clIS9_S9_SA_SA_EESE_SU_SF_SG_SH_EUlSU_E1_NS1_11comp_targetILNS1_3genE9ELNS1_11target_archE1100ELNS1_3gpuE3ELNS1_3repE0EEENS1_36merge_oddeven_config_static_selectorELNS0_4arch9wavefront6targetE0EEEvSG_.uses_flat_scratch, 0
	.set _ZN7rocprim17ROCPRIM_400000_NS6detail17trampoline_kernelINS0_14default_configENS1_38merge_sort_block_merge_config_selectorI12hip_bfloat16NS0_10empty_typeEEEZZNS1_27merge_sort_block_merge_implIS3_PS5_PS6_jNS1_19radix_merge_compareILb0ELb0ES5_NS0_19identity_decomposerEEEEE10hipError_tT0_T1_T2_jT3_P12ihipStream_tbPNSt15iterator_traitsISF_E10value_typeEPNSL_ISG_E10value_typeEPSH_NS1_7vsmem_tEENKUlT_SF_SG_SH_E_clIS9_S9_SA_SA_EESE_SU_SF_SG_SH_EUlSU_E1_NS1_11comp_targetILNS1_3genE9ELNS1_11target_archE1100ELNS1_3gpuE3ELNS1_3repE0EEENS1_36merge_oddeven_config_static_selectorELNS0_4arch9wavefront6targetE0EEEvSG_.has_dyn_sized_stack, 0
	.set _ZN7rocprim17ROCPRIM_400000_NS6detail17trampoline_kernelINS0_14default_configENS1_38merge_sort_block_merge_config_selectorI12hip_bfloat16NS0_10empty_typeEEEZZNS1_27merge_sort_block_merge_implIS3_PS5_PS6_jNS1_19radix_merge_compareILb0ELb0ES5_NS0_19identity_decomposerEEEEE10hipError_tT0_T1_T2_jT3_P12ihipStream_tbPNSt15iterator_traitsISF_E10value_typeEPNSL_ISG_E10value_typeEPSH_NS1_7vsmem_tEENKUlT_SF_SG_SH_E_clIS9_S9_SA_SA_EESE_SU_SF_SG_SH_EUlSU_E1_NS1_11comp_targetILNS1_3genE9ELNS1_11target_archE1100ELNS1_3gpuE3ELNS1_3repE0EEENS1_36merge_oddeven_config_static_selectorELNS0_4arch9wavefront6targetE0EEEvSG_.has_recursion, 0
	.set _ZN7rocprim17ROCPRIM_400000_NS6detail17trampoline_kernelINS0_14default_configENS1_38merge_sort_block_merge_config_selectorI12hip_bfloat16NS0_10empty_typeEEEZZNS1_27merge_sort_block_merge_implIS3_PS5_PS6_jNS1_19radix_merge_compareILb0ELb0ES5_NS0_19identity_decomposerEEEEE10hipError_tT0_T1_T2_jT3_P12ihipStream_tbPNSt15iterator_traitsISF_E10value_typeEPNSL_ISG_E10value_typeEPSH_NS1_7vsmem_tEENKUlT_SF_SG_SH_E_clIS9_S9_SA_SA_EESE_SU_SF_SG_SH_EUlSU_E1_NS1_11comp_targetILNS1_3genE9ELNS1_11target_archE1100ELNS1_3gpuE3ELNS1_3repE0EEENS1_36merge_oddeven_config_static_selectorELNS0_4arch9wavefront6targetE0EEEvSG_.has_indirect_call, 0
	.section	.AMDGPU.csdata,"",@progbits
; Kernel info:
; codeLenInByte = 0
; TotalNumSgprs: 0
; NumVgprs: 0
; ScratchSize: 0
; MemoryBound: 0
; FloatMode: 240
; IeeeMode: 1
; LDSByteSize: 0 bytes/workgroup (compile time only)
; SGPRBlocks: 0
; VGPRBlocks: 0
; NumSGPRsForWavesPerEU: 1
; NumVGPRsForWavesPerEU: 1
; NamedBarCnt: 0
; Occupancy: 16
; WaveLimiterHint : 0
; COMPUTE_PGM_RSRC2:SCRATCH_EN: 0
; COMPUTE_PGM_RSRC2:USER_SGPR: 2
; COMPUTE_PGM_RSRC2:TRAP_HANDLER: 0
; COMPUTE_PGM_RSRC2:TGID_X_EN: 1
; COMPUTE_PGM_RSRC2:TGID_Y_EN: 0
; COMPUTE_PGM_RSRC2:TGID_Z_EN: 0
; COMPUTE_PGM_RSRC2:TIDIG_COMP_CNT: 0
	.section	.text._ZN7rocprim17ROCPRIM_400000_NS6detail17trampoline_kernelINS0_14default_configENS1_38merge_sort_block_merge_config_selectorI12hip_bfloat16NS0_10empty_typeEEEZZNS1_27merge_sort_block_merge_implIS3_PS5_PS6_jNS1_19radix_merge_compareILb0ELb0ES5_NS0_19identity_decomposerEEEEE10hipError_tT0_T1_T2_jT3_P12ihipStream_tbPNSt15iterator_traitsISF_E10value_typeEPNSL_ISG_E10value_typeEPSH_NS1_7vsmem_tEENKUlT_SF_SG_SH_E_clIS9_S9_SA_SA_EESE_SU_SF_SG_SH_EUlSU_E1_NS1_11comp_targetILNS1_3genE8ELNS1_11target_archE1030ELNS1_3gpuE2ELNS1_3repE0EEENS1_36merge_oddeven_config_static_selectorELNS0_4arch9wavefront6targetE0EEEvSG_,"axG",@progbits,_ZN7rocprim17ROCPRIM_400000_NS6detail17trampoline_kernelINS0_14default_configENS1_38merge_sort_block_merge_config_selectorI12hip_bfloat16NS0_10empty_typeEEEZZNS1_27merge_sort_block_merge_implIS3_PS5_PS6_jNS1_19radix_merge_compareILb0ELb0ES5_NS0_19identity_decomposerEEEEE10hipError_tT0_T1_T2_jT3_P12ihipStream_tbPNSt15iterator_traitsISF_E10value_typeEPNSL_ISG_E10value_typeEPSH_NS1_7vsmem_tEENKUlT_SF_SG_SH_E_clIS9_S9_SA_SA_EESE_SU_SF_SG_SH_EUlSU_E1_NS1_11comp_targetILNS1_3genE8ELNS1_11target_archE1030ELNS1_3gpuE2ELNS1_3repE0EEENS1_36merge_oddeven_config_static_selectorELNS0_4arch9wavefront6targetE0EEEvSG_,comdat
	.protected	_ZN7rocprim17ROCPRIM_400000_NS6detail17trampoline_kernelINS0_14default_configENS1_38merge_sort_block_merge_config_selectorI12hip_bfloat16NS0_10empty_typeEEEZZNS1_27merge_sort_block_merge_implIS3_PS5_PS6_jNS1_19radix_merge_compareILb0ELb0ES5_NS0_19identity_decomposerEEEEE10hipError_tT0_T1_T2_jT3_P12ihipStream_tbPNSt15iterator_traitsISF_E10value_typeEPNSL_ISG_E10value_typeEPSH_NS1_7vsmem_tEENKUlT_SF_SG_SH_E_clIS9_S9_SA_SA_EESE_SU_SF_SG_SH_EUlSU_E1_NS1_11comp_targetILNS1_3genE8ELNS1_11target_archE1030ELNS1_3gpuE2ELNS1_3repE0EEENS1_36merge_oddeven_config_static_selectorELNS0_4arch9wavefront6targetE0EEEvSG_ ; -- Begin function _ZN7rocprim17ROCPRIM_400000_NS6detail17trampoline_kernelINS0_14default_configENS1_38merge_sort_block_merge_config_selectorI12hip_bfloat16NS0_10empty_typeEEEZZNS1_27merge_sort_block_merge_implIS3_PS5_PS6_jNS1_19radix_merge_compareILb0ELb0ES5_NS0_19identity_decomposerEEEEE10hipError_tT0_T1_T2_jT3_P12ihipStream_tbPNSt15iterator_traitsISF_E10value_typeEPNSL_ISG_E10value_typeEPSH_NS1_7vsmem_tEENKUlT_SF_SG_SH_E_clIS9_S9_SA_SA_EESE_SU_SF_SG_SH_EUlSU_E1_NS1_11comp_targetILNS1_3genE8ELNS1_11target_archE1030ELNS1_3gpuE2ELNS1_3repE0EEENS1_36merge_oddeven_config_static_selectorELNS0_4arch9wavefront6targetE0EEEvSG_
	.globl	_ZN7rocprim17ROCPRIM_400000_NS6detail17trampoline_kernelINS0_14default_configENS1_38merge_sort_block_merge_config_selectorI12hip_bfloat16NS0_10empty_typeEEEZZNS1_27merge_sort_block_merge_implIS3_PS5_PS6_jNS1_19radix_merge_compareILb0ELb0ES5_NS0_19identity_decomposerEEEEE10hipError_tT0_T1_T2_jT3_P12ihipStream_tbPNSt15iterator_traitsISF_E10value_typeEPNSL_ISG_E10value_typeEPSH_NS1_7vsmem_tEENKUlT_SF_SG_SH_E_clIS9_S9_SA_SA_EESE_SU_SF_SG_SH_EUlSU_E1_NS1_11comp_targetILNS1_3genE8ELNS1_11target_archE1030ELNS1_3gpuE2ELNS1_3repE0EEENS1_36merge_oddeven_config_static_selectorELNS0_4arch9wavefront6targetE0EEEvSG_
	.p2align	8
	.type	_ZN7rocprim17ROCPRIM_400000_NS6detail17trampoline_kernelINS0_14default_configENS1_38merge_sort_block_merge_config_selectorI12hip_bfloat16NS0_10empty_typeEEEZZNS1_27merge_sort_block_merge_implIS3_PS5_PS6_jNS1_19radix_merge_compareILb0ELb0ES5_NS0_19identity_decomposerEEEEE10hipError_tT0_T1_T2_jT3_P12ihipStream_tbPNSt15iterator_traitsISF_E10value_typeEPNSL_ISG_E10value_typeEPSH_NS1_7vsmem_tEENKUlT_SF_SG_SH_E_clIS9_S9_SA_SA_EESE_SU_SF_SG_SH_EUlSU_E1_NS1_11comp_targetILNS1_3genE8ELNS1_11target_archE1030ELNS1_3gpuE2ELNS1_3repE0EEENS1_36merge_oddeven_config_static_selectorELNS0_4arch9wavefront6targetE0EEEvSG_,@function
_ZN7rocprim17ROCPRIM_400000_NS6detail17trampoline_kernelINS0_14default_configENS1_38merge_sort_block_merge_config_selectorI12hip_bfloat16NS0_10empty_typeEEEZZNS1_27merge_sort_block_merge_implIS3_PS5_PS6_jNS1_19radix_merge_compareILb0ELb0ES5_NS0_19identity_decomposerEEEEE10hipError_tT0_T1_T2_jT3_P12ihipStream_tbPNSt15iterator_traitsISF_E10value_typeEPNSL_ISG_E10value_typeEPSH_NS1_7vsmem_tEENKUlT_SF_SG_SH_E_clIS9_S9_SA_SA_EESE_SU_SF_SG_SH_EUlSU_E1_NS1_11comp_targetILNS1_3genE8ELNS1_11target_archE1030ELNS1_3gpuE2ELNS1_3repE0EEENS1_36merge_oddeven_config_static_selectorELNS0_4arch9wavefront6targetE0EEEvSG_: ; @_ZN7rocprim17ROCPRIM_400000_NS6detail17trampoline_kernelINS0_14default_configENS1_38merge_sort_block_merge_config_selectorI12hip_bfloat16NS0_10empty_typeEEEZZNS1_27merge_sort_block_merge_implIS3_PS5_PS6_jNS1_19radix_merge_compareILb0ELb0ES5_NS0_19identity_decomposerEEEEE10hipError_tT0_T1_T2_jT3_P12ihipStream_tbPNSt15iterator_traitsISF_E10value_typeEPNSL_ISG_E10value_typeEPSH_NS1_7vsmem_tEENKUlT_SF_SG_SH_E_clIS9_S9_SA_SA_EESE_SU_SF_SG_SH_EUlSU_E1_NS1_11comp_targetILNS1_3genE8ELNS1_11target_archE1030ELNS1_3gpuE2ELNS1_3repE0EEENS1_36merge_oddeven_config_static_selectorELNS0_4arch9wavefront6targetE0EEEvSG_
; %bb.0:
	.section	.rodata,"a",@progbits
	.p2align	6, 0x0
	.amdhsa_kernel _ZN7rocprim17ROCPRIM_400000_NS6detail17trampoline_kernelINS0_14default_configENS1_38merge_sort_block_merge_config_selectorI12hip_bfloat16NS0_10empty_typeEEEZZNS1_27merge_sort_block_merge_implIS3_PS5_PS6_jNS1_19radix_merge_compareILb0ELb0ES5_NS0_19identity_decomposerEEEEE10hipError_tT0_T1_T2_jT3_P12ihipStream_tbPNSt15iterator_traitsISF_E10value_typeEPNSL_ISG_E10value_typeEPSH_NS1_7vsmem_tEENKUlT_SF_SG_SH_E_clIS9_S9_SA_SA_EESE_SU_SF_SG_SH_EUlSU_E1_NS1_11comp_targetILNS1_3genE8ELNS1_11target_archE1030ELNS1_3gpuE2ELNS1_3repE0EEENS1_36merge_oddeven_config_static_selectorELNS0_4arch9wavefront6targetE0EEEvSG_
		.amdhsa_group_segment_fixed_size 0
		.amdhsa_private_segment_fixed_size 0
		.amdhsa_kernarg_size 48
		.amdhsa_user_sgpr_count 2
		.amdhsa_user_sgpr_dispatch_ptr 0
		.amdhsa_user_sgpr_queue_ptr 0
		.amdhsa_user_sgpr_kernarg_segment_ptr 1
		.amdhsa_user_sgpr_dispatch_id 0
		.amdhsa_user_sgpr_kernarg_preload_length 0
		.amdhsa_user_sgpr_kernarg_preload_offset 0
		.amdhsa_user_sgpr_private_segment_size 0
		.amdhsa_wavefront_size32 1
		.amdhsa_uses_dynamic_stack 0
		.amdhsa_enable_private_segment 0
		.amdhsa_system_sgpr_workgroup_id_x 1
		.amdhsa_system_sgpr_workgroup_id_y 0
		.amdhsa_system_sgpr_workgroup_id_z 0
		.amdhsa_system_sgpr_workgroup_info 0
		.amdhsa_system_vgpr_workitem_id 0
		.amdhsa_next_free_vgpr 1
		.amdhsa_next_free_sgpr 1
		.amdhsa_named_barrier_count 0
		.amdhsa_reserve_vcc 0
		.amdhsa_float_round_mode_32 0
		.amdhsa_float_round_mode_16_64 0
		.amdhsa_float_denorm_mode_32 3
		.amdhsa_float_denorm_mode_16_64 3
		.amdhsa_fp16_overflow 0
		.amdhsa_memory_ordered 1
		.amdhsa_forward_progress 1
		.amdhsa_inst_pref_size 0
		.amdhsa_round_robin_scheduling 0
		.amdhsa_exception_fp_ieee_invalid_op 0
		.amdhsa_exception_fp_denorm_src 0
		.amdhsa_exception_fp_ieee_div_zero 0
		.amdhsa_exception_fp_ieee_overflow 0
		.amdhsa_exception_fp_ieee_underflow 0
		.amdhsa_exception_fp_ieee_inexact 0
		.amdhsa_exception_int_div_zero 0
	.end_amdhsa_kernel
	.section	.text._ZN7rocprim17ROCPRIM_400000_NS6detail17trampoline_kernelINS0_14default_configENS1_38merge_sort_block_merge_config_selectorI12hip_bfloat16NS0_10empty_typeEEEZZNS1_27merge_sort_block_merge_implIS3_PS5_PS6_jNS1_19radix_merge_compareILb0ELb0ES5_NS0_19identity_decomposerEEEEE10hipError_tT0_T1_T2_jT3_P12ihipStream_tbPNSt15iterator_traitsISF_E10value_typeEPNSL_ISG_E10value_typeEPSH_NS1_7vsmem_tEENKUlT_SF_SG_SH_E_clIS9_S9_SA_SA_EESE_SU_SF_SG_SH_EUlSU_E1_NS1_11comp_targetILNS1_3genE8ELNS1_11target_archE1030ELNS1_3gpuE2ELNS1_3repE0EEENS1_36merge_oddeven_config_static_selectorELNS0_4arch9wavefront6targetE0EEEvSG_,"axG",@progbits,_ZN7rocprim17ROCPRIM_400000_NS6detail17trampoline_kernelINS0_14default_configENS1_38merge_sort_block_merge_config_selectorI12hip_bfloat16NS0_10empty_typeEEEZZNS1_27merge_sort_block_merge_implIS3_PS5_PS6_jNS1_19radix_merge_compareILb0ELb0ES5_NS0_19identity_decomposerEEEEE10hipError_tT0_T1_T2_jT3_P12ihipStream_tbPNSt15iterator_traitsISF_E10value_typeEPNSL_ISG_E10value_typeEPSH_NS1_7vsmem_tEENKUlT_SF_SG_SH_E_clIS9_S9_SA_SA_EESE_SU_SF_SG_SH_EUlSU_E1_NS1_11comp_targetILNS1_3genE8ELNS1_11target_archE1030ELNS1_3gpuE2ELNS1_3repE0EEENS1_36merge_oddeven_config_static_selectorELNS0_4arch9wavefront6targetE0EEEvSG_,comdat
.Lfunc_end2032:
	.size	_ZN7rocprim17ROCPRIM_400000_NS6detail17trampoline_kernelINS0_14default_configENS1_38merge_sort_block_merge_config_selectorI12hip_bfloat16NS0_10empty_typeEEEZZNS1_27merge_sort_block_merge_implIS3_PS5_PS6_jNS1_19radix_merge_compareILb0ELb0ES5_NS0_19identity_decomposerEEEEE10hipError_tT0_T1_T2_jT3_P12ihipStream_tbPNSt15iterator_traitsISF_E10value_typeEPNSL_ISG_E10value_typeEPSH_NS1_7vsmem_tEENKUlT_SF_SG_SH_E_clIS9_S9_SA_SA_EESE_SU_SF_SG_SH_EUlSU_E1_NS1_11comp_targetILNS1_3genE8ELNS1_11target_archE1030ELNS1_3gpuE2ELNS1_3repE0EEENS1_36merge_oddeven_config_static_selectorELNS0_4arch9wavefront6targetE0EEEvSG_, .Lfunc_end2032-_ZN7rocprim17ROCPRIM_400000_NS6detail17trampoline_kernelINS0_14default_configENS1_38merge_sort_block_merge_config_selectorI12hip_bfloat16NS0_10empty_typeEEEZZNS1_27merge_sort_block_merge_implIS3_PS5_PS6_jNS1_19radix_merge_compareILb0ELb0ES5_NS0_19identity_decomposerEEEEE10hipError_tT0_T1_T2_jT3_P12ihipStream_tbPNSt15iterator_traitsISF_E10value_typeEPNSL_ISG_E10value_typeEPSH_NS1_7vsmem_tEENKUlT_SF_SG_SH_E_clIS9_S9_SA_SA_EESE_SU_SF_SG_SH_EUlSU_E1_NS1_11comp_targetILNS1_3genE8ELNS1_11target_archE1030ELNS1_3gpuE2ELNS1_3repE0EEENS1_36merge_oddeven_config_static_selectorELNS0_4arch9wavefront6targetE0EEEvSG_
                                        ; -- End function
	.set _ZN7rocprim17ROCPRIM_400000_NS6detail17trampoline_kernelINS0_14default_configENS1_38merge_sort_block_merge_config_selectorI12hip_bfloat16NS0_10empty_typeEEEZZNS1_27merge_sort_block_merge_implIS3_PS5_PS6_jNS1_19radix_merge_compareILb0ELb0ES5_NS0_19identity_decomposerEEEEE10hipError_tT0_T1_T2_jT3_P12ihipStream_tbPNSt15iterator_traitsISF_E10value_typeEPNSL_ISG_E10value_typeEPSH_NS1_7vsmem_tEENKUlT_SF_SG_SH_E_clIS9_S9_SA_SA_EESE_SU_SF_SG_SH_EUlSU_E1_NS1_11comp_targetILNS1_3genE8ELNS1_11target_archE1030ELNS1_3gpuE2ELNS1_3repE0EEENS1_36merge_oddeven_config_static_selectorELNS0_4arch9wavefront6targetE0EEEvSG_.num_vgpr, 0
	.set _ZN7rocprim17ROCPRIM_400000_NS6detail17trampoline_kernelINS0_14default_configENS1_38merge_sort_block_merge_config_selectorI12hip_bfloat16NS0_10empty_typeEEEZZNS1_27merge_sort_block_merge_implIS3_PS5_PS6_jNS1_19radix_merge_compareILb0ELb0ES5_NS0_19identity_decomposerEEEEE10hipError_tT0_T1_T2_jT3_P12ihipStream_tbPNSt15iterator_traitsISF_E10value_typeEPNSL_ISG_E10value_typeEPSH_NS1_7vsmem_tEENKUlT_SF_SG_SH_E_clIS9_S9_SA_SA_EESE_SU_SF_SG_SH_EUlSU_E1_NS1_11comp_targetILNS1_3genE8ELNS1_11target_archE1030ELNS1_3gpuE2ELNS1_3repE0EEENS1_36merge_oddeven_config_static_selectorELNS0_4arch9wavefront6targetE0EEEvSG_.num_agpr, 0
	.set _ZN7rocprim17ROCPRIM_400000_NS6detail17trampoline_kernelINS0_14default_configENS1_38merge_sort_block_merge_config_selectorI12hip_bfloat16NS0_10empty_typeEEEZZNS1_27merge_sort_block_merge_implIS3_PS5_PS6_jNS1_19radix_merge_compareILb0ELb0ES5_NS0_19identity_decomposerEEEEE10hipError_tT0_T1_T2_jT3_P12ihipStream_tbPNSt15iterator_traitsISF_E10value_typeEPNSL_ISG_E10value_typeEPSH_NS1_7vsmem_tEENKUlT_SF_SG_SH_E_clIS9_S9_SA_SA_EESE_SU_SF_SG_SH_EUlSU_E1_NS1_11comp_targetILNS1_3genE8ELNS1_11target_archE1030ELNS1_3gpuE2ELNS1_3repE0EEENS1_36merge_oddeven_config_static_selectorELNS0_4arch9wavefront6targetE0EEEvSG_.numbered_sgpr, 0
	.set _ZN7rocprim17ROCPRIM_400000_NS6detail17trampoline_kernelINS0_14default_configENS1_38merge_sort_block_merge_config_selectorI12hip_bfloat16NS0_10empty_typeEEEZZNS1_27merge_sort_block_merge_implIS3_PS5_PS6_jNS1_19radix_merge_compareILb0ELb0ES5_NS0_19identity_decomposerEEEEE10hipError_tT0_T1_T2_jT3_P12ihipStream_tbPNSt15iterator_traitsISF_E10value_typeEPNSL_ISG_E10value_typeEPSH_NS1_7vsmem_tEENKUlT_SF_SG_SH_E_clIS9_S9_SA_SA_EESE_SU_SF_SG_SH_EUlSU_E1_NS1_11comp_targetILNS1_3genE8ELNS1_11target_archE1030ELNS1_3gpuE2ELNS1_3repE0EEENS1_36merge_oddeven_config_static_selectorELNS0_4arch9wavefront6targetE0EEEvSG_.num_named_barrier, 0
	.set _ZN7rocprim17ROCPRIM_400000_NS6detail17trampoline_kernelINS0_14default_configENS1_38merge_sort_block_merge_config_selectorI12hip_bfloat16NS0_10empty_typeEEEZZNS1_27merge_sort_block_merge_implIS3_PS5_PS6_jNS1_19radix_merge_compareILb0ELb0ES5_NS0_19identity_decomposerEEEEE10hipError_tT0_T1_T2_jT3_P12ihipStream_tbPNSt15iterator_traitsISF_E10value_typeEPNSL_ISG_E10value_typeEPSH_NS1_7vsmem_tEENKUlT_SF_SG_SH_E_clIS9_S9_SA_SA_EESE_SU_SF_SG_SH_EUlSU_E1_NS1_11comp_targetILNS1_3genE8ELNS1_11target_archE1030ELNS1_3gpuE2ELNS1_3repE0EEENS1_36merge_oddeven_config_static_selectorELNS0_4arch9wavefront6targetE0EEEvSG_.private_seg_size, 0
	.set _ZN7rocprim17ROCPRIM_400000_NS6detail17trampoline_kernelINS0_14default_configENS1_38merge_sort_block_merge_config_selectorI12hip_bfloat16NS0_10empty_typeEEEZZNS1_27merge_sort_block_merge_implIS3_PS5_PS6_jNS1_19radix_merge_compareILb0ELb0ES5_NS0_19identity_decomposerEEEEE10hipError_tT0_T1_T2_jT3_P12ihipStream_tbPNSt15iterator_traitsISF_E10value_typeEPNSL_ISG_E10value_typeEPSH_NS1_7vsmem_tEENKUlT_SF_SG_SH_E_clIS9_S9_SA_SA_EESE_SU_SF_SG_SH_EUlSU_E1_NS1_11comp_targetILNS1_3genE8ELNS1_11target_archE1030ELNS1_3gpuE2ELNS1_3repE0EEENS1_36merge_oddeven_config_static_selectorELNS0_4arch9wavefront6targetE0EEEvSG_.uses_vcc, 0
	.set _ZN7rocprim17ROCPRIM_400000_NS6detail17trampoline_kernelINS0_14default_configENS1_38merge_sort_block_merge_config_selectorI12hip_bfloat16NS0_10empty_typeEEEZZNS1_27merge_sort_block_merge_implIS3_PS5_PS6_jNS1_19radix_merge_compareILb0ELb0ES5_NS0_19identity_decomposerEEEEE10hipError_tT0_T1_T2_jT3_P12ihipStream_tbPNSt15iterator_traitsISF_E10value_typeEPNSL_ISG_E10value_typeEPSH_NS1_7vsmem_tEENKUlT_SF_SG_SH_E_clIS9_S9_SA_SA_EESE_SU_SF_SG_SH_EUlSU_E1_NS1_11comp_targetILNS1_3genE8ELNS1_11target_archE1030ELNS1_3gpuE2ELNS1_3repE0EEENS1_36merge_oddeven_config_static_selectorELNS0_4arch9wavefront6targetE0EEEvSG_.uses_flat_scratch, 0
	.set _ZN7rocprim17ROCPRIM_400000_NS6detail17trampoline_kernelINS0_14default_configENS1_38merge_sort_block_merge_config_selectorI12hip_bfloat16NS0_10empty_typeEEEZZNS1_27merge_sort_block_merge_implIS3_PS5_PS6_jNS1_19radix_merge_compareILb0ELb0ES5_NS0_19identity_decomposerEEEEE10hipError_tT0_T1_T2_jT3_P12ihipStream_tbPNSt15iterator_traitsISF_E10value_typeEPNSL_ISG_E10value_typeEPSH_NS1_7vsmem_tEENKUlT_SF_SG_SH_E_clIS9_S9_SA_SA_EESE_SU_SF_SG_SH_EUlSU_E1_NS1_11comp_targetILNS1_3genE8ELNS1_11target_archE1030ELNS1_3gpuE2ELNS1_3repE0EEENS1_36merge_oddeven_config_static_selectorELNS0_4arch9wavefront6targetE0EEEvSG_.has_dyn_sized_stack, 0
	.set _ZN7rocprim17ROCPRIM_400000_NS6detail17trampoline_kernelINS0_14default_configENS1_38merge_sort_block_merge_config_selectorI12hip_bfloat16NS0_10empty_typeEEEZZNS1_27merge_sort_block_merge_implIS3_PS5_PS6_jNS1_19radix_merge_compareILb0ELb0ES5_NS0_19identity_decomposerEEEEE10hipError_tT0_T1_T2_jT3_P12ihipStream_tbPNSt15iterator_traitsISF_E10value_typeEPNSL_ISG_E10value_typeEPSH_NS1_7vsmem_tEENKUlT_SF_SG_SH_E_clIS9_S9_SA_SA_EESE_SU_SF_SG_SH_EUlSU_E1_NS1_11comp_targetILNS1_3genE8ELNS1_11target_archE1030ELNS1_3gpuE2ELNS1_3repE0EEENS1_36merge_oddeven_config_static_selectorELNS0_4arch9wavefront6targetE0EEEvSG_.has_recursion, 0
	.set _ZN7rocprim17ROCPRIM_400000_NS6detail17trampoline_kernelINS0_14default_configENS1_38merge_sort_block_merge_config_selectorI12hip_bfloat16NS0_10empty_typeEEEZZNS1_27merge_sort_block_merge_implIS3_PS5_PS6_jNS1_19radix_merge_compareILb0ELb0ES5_NS0_19identity_decomposerEEEEE10hipError_tT0_T1_T2_jT3_P12ihipStream_tbPNSt15iterator_traitsISF_E10value_typeEPNSL_ISG_E10value_typeEPSH_NS1_7vsmem_tEENKUlT_SF_SG_SH_E_clIS9_S9_SA_SA_EESE_SU_SF_SG_SH_EUlSU_E1_NS1_11comp_targetILNS1_3genE8ELNS1_11target_archE1030ELNS1_3gpuE2ELNS1_3repE0EEENS1_36merge_oddeven_config_static_selectorELNS0_4arch9wavefront6targetE0EEEvSG_.has_indirect_call, 0
	.section	.AMDGPU.csdata,"",@progbits
; Kernel info:
; codeLenInByte = 0
; TotalNumSgprs: 0
; NumVgprs: 0
; ScratchSize: 0
; MemoryBound: 0
; FloatMode: 240
; IeeeMode: 1
; LDSByteSize: 0 bytes/workgroup (compile time only)
; SGPRBlocks: 0
; VGPRBlocks: 0
; NumSGPRsForWavesPerEU: 1
; NumVGPRsForWavesPerEU: 1
; NamedBarCnt: 0
; Occupancy: 16
; WaveLimiterHint : 0
; COMPUTE_PGM_RSRC2:SCRATCH_EN: 0
; COMPUTE_PGM_RSRC2:USER_SGPR: 2
; COMPUTE_PGM_RSRC2:TRAP_HANDLER: 0
; COMPUTE_PGM_RSRC2:TGID_X_EN: 1
; COMPUTE_PGM_RSRC2:TGID_Y_EN: 0
; COMPUTE_PGM_RSRC2:TGID_Z_EN: 0
; COMPUTE_PGM_RSRC2:TIDIG_COMP_CNT: 0
	.section	.text._ZN7rocprim17ROCPRIM_400000_NS6detail17trampoline_kernelINS0_14default_configENS1_35radix_sort_onesweep_config_selectorI12hip_bfloat16NS0_10empty_typeEEEZNS1_34radix_sort_onesweep_global_offsetsIS3_Lb0EPKS5_PS6_mNS0_19identity_decomposerEEE10hipError_tT1_T2_PT3_SG_jT4_jjP12ihipStream_tbEUlT_E_NS1_11comp_targetILNS1_3genE0ELNS1_11target_archE4294967295ELNS1_3gpuE0ELNS1_3repE0EEENS1_52radix_sort_onesweep_histogram_config_static_selectorELNS0_4arch9wavefront6targetE0EEEvSE_,"axG",@progbits,_ZN7rocprim17ROCPRIM_400000_NS6detail17trampoline_kernelINS0_14default_configENS1_35radix_sort_onesweep_config_selectorI12hip_bfloat16NS0_10empty_typeEEEZNS1_34radix_sort_onesweep_global_offsetsIS3_Lb0EPKS5_PS6_mNS0_19identity_decomposerEEE10hipError_tT1_T2_PT3_SG_jT4_jjP12ihipStream_tbEUlT_E_NS1_11comp_targetILNS1_3genE0ELNS1_11target_archE4294967295ELNS1_3gpuE0ELNS1_3repE0EEENS1_52radix_sort_onesweep_histogram_config_static_selectorELNS0_4arch9wavefront6targetE0EEEvSE_,comdat
	.protected	_ZN7rocprim17ROCPRIM_400000_NS6detail17trampoline_kernelINS0_14default_configENS1_35radix_sort_onesweep_config_selectorI12hip_bfloat16NS0_10empty_typeEEEZNS1_34radix_sort_onesweep_global_offsetsIS3_Lb0EPKS5_PS6_mNS0_19identity_decomposerEEE10hipError_tT1_T2_PT3_SG_jT4_jjP12ihipStream_tbEUlT_E_NS1_11comp_targetILNS1_3genE0ELNS1_11target_archE4294967295ELNS1_3gpuE0ELNS1_3repE0EEENS1_52radix_sort_onesweep_histogram_config_static_selectorELNS0_4arch9wavefront6targetE0EEEvSE_ ; -- Begin function _ZN7rocprim17ROCPRIM_400000_NS6detail17trampoline_kernelINS0_14default_configENS1_35radix_sort_onesweep_config_selectorI12hip_bfloat16NS0_10empty_typeEEEZNS1_34radix_sort_onesweep_global_offsetsIS3_Lb0EPKS5_PS6_mNS0_19identity_decomposerEEE10hipError_tT1_T2_PT3_SG_jT4_jjP12ihipStream_tbEUlT_E_NS1_11comp_targetILNS1_3genE0ELNS1_11target_archE4294967295ELNS1_3gpuE0ELNS1_3repE0EEENS1_52radix_sort_onesweep_histogram_config_static_selectorELNS0_4arch9wavefront6targetE0EEEvSE_
	.globl	_ZN7rocprim17ROCPRIM_400000_NS6detail17trampoline_kernelINS0_14default_configENS1_35radix_sort_onesweep_config_selectorI12hip_bfloat16NS0_10empty_typeEEEZNS1_34radix_sort_onesweep_global_offsetsIS3_Lb0EPKS5_PS6_mNS0_19identity_decomposerEEE10hipError_tT1_T2_PT3_SG_jT4_jjP12ihipStream_tbEUlT_E_NS1_11comp_targetILNS1_3genE0ELNS1_11target_archE4294967295ELNS1_3gpuE0ELNS1_3repE0EEENS1_52radix_sort_onesweep_histogram_config_static_selectorELNS0_4arch9wavefront6targetE0EEEvSE_
	.p2align	8
	.type	_ZN7rocprim17ROCPRIM_400000_NS6detail17trampoline_kernelINS0_14default_configENS1_35radix_sort_onesweep_config_selectorI12hip_bfloat16NS0_10empty_typeEEEZNS1_34radix_sort_onesweep_global_offsetsIS3_Lb0EPKS5_PS6_mNS0_19identity_decomposerEEE10hipError_tT1_T2_PT3_SG_jT4_jjP12ihipStream_tbEUlT_E_NS1_11comp_targetILNS1_3genE0ELNS1_11target_archE4294967295ELNS1_3gpuE0ELNS1_3repE0EEENS1_52radix_sort_onesweep_histogram_config_static_selectorELNS0_4arch9wavefront6targetE0EEEvSE_,@function
_ZN7rocprim17ROCPRIM_400000_NS6detail17trampoline_kernelINS0_14default_configENS1_35radix_sort_onesweep_config_selectorI12hip_bfloat16NS0_10empty_typeEEEZNS1_34radix_sort_onesweep_global_offsetsIS3_Lb0EPKS5_PS6_mNS0_19identity_decomposerEEE10hipError_tT1_T2_PT3_SG_jT4_jjP12ihipStream_tbEUlT_E_NS1_11comp_targetILNS1_3genE0ELNS1_11target_archE4294967295ELNS1_3gpuE0ELNS1_3repE0EEENS1_52radix_sort_onesweep_histogram_config_static_selectorELNS0_4arch9wavefront6targetE0EEEvSE_: ; @_ZN7rocprim17ROCPRIM_400000_NS6detail17trampoline_kernelINS0_14default_configENS1_35radix_sort_onesweep_config_selectorI12hip_bfloat16NS0_10empty_typeEEEZNS1_34radix_sort_onesweep_global_offsetsIS3_Lb0EPKS5_PS6_mNS0_19identity_decomposerEEE10hipError_tT1_T2_PT3_SG_jT4_jjP12ihipStream_tbEUlT_E_NS1_11comp_targetILNS1_3genE0ELNS1_11target_archE4294967295ELNS1_3gpuE0ELNS1_3repE0EEENS1_52radix_sort_onesweep_histogram_config_static_selectorELNS0_4arch9wavefront6targetE0EEEvSE_
; %bb.0:
	s_clause 0x1
	s_load_b64 s[8:9], s[0:1], 0x18
	s_load_b128 s[4:7], s[0:1], 0x0
	s_bfe_u32 s10, ttmp6, 0x4000c
	s_load_b64 s[2:3], s[0:1], 0x24
	s_add_co_i32 s10, s10, 1
	s_and_b32 s11, ttmp6, 15
	s_mul_i32 s10, ttmp9, s10
	s_getreg_b32 s12, hwreg(HW_REG_IB_STS2, 6, 4)
	s_add_co_i32 s10, s11, s10
	s_cmp_eq_u32 s12, 0
	s_mov_b32 s11, 0
	s_cselect_b32 s10, ttmp9, s10
	s_wait_kmcnt 0x0
	v_cmp_le_u64_e64 s9, s[8:9], s[10:11]
	s_mul_u64 s[10:11], s[10:11], 0x3000
	s_delay_alu instid0(SALU_CYCLE_1)
	s_add_nc_u64 s[4:5], s[4:5], s[10:11]
	s_and_b32 vcc_lo, exec_lo, s9
	s_mov_b32 s9, -1
	s_cbranch_vccz .LBB2033_119
; %bb.1:
	s_load_b32 s1, s[0:1], 0x10
	s_wait_xcnt 0x0
	s_mul_i32 s0, s8, 0xffffe800
                                        ; implicit-def: $vgpr25
	s_wait_kmcnt 0x0
	s_add_co_i32 s1, s1, s0
	s_mov_b32 s0, exec_lo
	v_cmpx_gt_u32_e64 s1, v0
	s_cbranch_execz .LBB2033_3
; %bb.2:
	global_load_u16 v25, v0, s[4:5] scale_offset
.LBB2033_3:
	s_wait_xcnt 0x0
	s_or_b32 exec_lo, exec_lo, s0
	v_or_b32_e32 v23, 0x200, v0
	s_mov_b32 s0, exec_lo
                                        ; implicit-def: $vgpr24
	s_delay_alu instid0(VALU_DEP_1)
	v_cmpx_gt_u32_e64 s1, v23
	s_cbranch_execz .LBB2033_5
; %bb.4:
	global_load_u16 v24, v0, s[4:5] offset:1024 scale_offset
.LBB2033_5:
	s_wait_xcnt 0x0
	s_or_b32 exec_lo, exec_lo, s0
	v_or_b32_e32 v21, 0x400, v0
	s_mov_b32 s0, exec_lo
                                        ; implicit-def: $vgpr22
	s_delay_alu instid0(VALU_DEP_1)
	v_cmpx_gt_u32_e64 s1, v21
	s_cbranch_execz .LBB2033_7
; %bb.6:
	global_load_u16 v22, v0, s[4:5] offset:2048 scale_offset
.LBB2033_7:
	s_wait_xcnt 0x0
	s_or_b32 exec_lo, exec_lo, s0
	v_or_b32_e32 v19, 0x600, v0
	s_mov_b32 s0, exec_lo
                                        ; implicit-def: $vgpr20
	s_delay_alu instid0(VALU_DEP_1)
	v_cmpx_gt_u32_e64 s1, v19
	s_cbranch_execz .LBB2033_9
; %bb.8:
	global_load_u16 v20, v0, s[4:5] offset:3072 scale_offset
.LBB2033_9:
	s_wait_xcnt 0x0
	s_or_b32 exec_lo, exec_lo, s0
	v_or_b32_e32 v17, 0x800, v0
	s_mov_b32 s0, exec_lo
                                        ; implicit-def: $vgpr18
	s_delay_alu instid0(VALU_DEP_1)
	v_cmpx_gt_u32_e64 s1, v17
	s_cbranch_execz .LBB2033_11
; %bb.10:
	global_load_u16 v18, v0, s[4:5] offset:4096 scale_offset
.LBB2033_11:
	s_wait_xcnt 0x0
	s_or_b32 exec_lo, exec_lo, s0
	v_or_b32_e32 v15, 0xa00, v0
	s_mov_b32 s0, exec_lo
                                        ; implicit-def: $vgpr16
	s_delay_alu instid0(VALU_DEP_1)
	v_cmpx_gt_u32_e64 s1, v15
	s_cbranch_execz .LBB2033_13
; %bb.12:
	global_load_u16 v16, v0, s[4:5] offset:5120 scale_offset
.LBB2033_13:
	s_wait_xcnt 0x0
	s_or_b32 exec_lo, exec_lo, s0
	v_or_b32_e32 v13, 0xc00, v0
	s_mov_b32 s0, exec_lo
                                        ; implicit-def: $vgpr14
	s_delay_alu instid0(VALU_DEP_1)
	v_cmpx_gt_u32_e64 s1, v13
	s_cbranch_execz .LBB2033_15
; %bb.14:
	global_load_u16 v14, v0, s[4:5] offset:6144 scale_offset
.LBB2033_15:
	s_wait_xcnt 0x0
	s_or_b32 exec_lo, exec_lo, s0
	v_or_b32_e32 v11, 0xe00, v0
	s_mov_b32 s0, exec_lo
                                        ; implicit-def: $vgpr12
	s_delay_alu instid0(VALU_DEP_1)
	v_cmpx_gt_u32_e64 s1, v11
	s_cbranch_execz .LBB2033_17
; %bb.16:
	global_load_u16 v12, v0, s[4:5] offset:7168 scale_offset
.LBB2033_17:
	s_wait_xcnt 0x0
	s_or_b32 exec_lo, exec_lo, s0
	v_or_b32_e32 v9, 0x1000, v0
	s_mov_b32 s0, exec_lo
                                        ; implicit-def: $vgpr10
	s_delay_alu instid0(VALU_DEP_1)
	v_cmpx_gt_u32_e64 s1, v9
	s_cbranch_execz .LBB2033_19
; %bb.18:
	global_load_u16 v10, v0, s[4:5] offset:8192 scale_offset
.LBB2033_19:
	s_wait_xcnt 0x0
	s_or_b32 exec_lo, exec_lo, s0
	v_or_b32_e32 v7, 0x1200, v0
	s_mov_b32 s0, exec_lo
                                        ; implicit-def: $vgpr8
	s_delay_alu instid0(VALU_DEP_1)
	v_cmpx_gt_u32_e64 s1, v7
	s_cbranch_execz .LBB2033_21
; %bb.20:
	global_load_u16 v8, v0, s[4:5] offset:9216 scale_offset
.LBB2033_21:
	s_wait_xcnt 0x0
	s_or_b32 exec_lo, exec_lo, s0
	v_or_b32_e32 v5, 0x1400, v0
	s_mov_b32 s0, exec_lo
                                        ; implicit-def: $vgpr6
	s_delay_alu instid0(VALU_DEP_1)
	v_cmpx_gt_u32_e64 s1, v5
	s_cbranch_execz .LBB2033_23
; %bb.22:
	global_load_u16 v6, v0, s[4:5] offset:10240 scale_offset
.LBB2033_23:
	s_wait_xcnt 0x0
	s_or_b32 exec_lo, exec_lo, s0
	v_or_b32_e32 v3, 0x1600, v0
	s_mov_b32 s0, exec_lo
                                        ; implicit-def: $vgpr4
	s_delay_alu instid0(VALU_DEP_1)
	v_cmpx_gt_u32_e64 s1, v3
	s_cbranch_execz .LBB2033_25
; %bb.24:
	global_load_u16 v4, v0, s[4:5] offset:11264 scale_offset
.LBB2033_25:
	s_wait_xcnt 0x0
	s_or_b32 exec_lo, exec_lo, s0
	v_dual_mov_b32 v2, 0 :: v_dual_lshlrev_b32 v1, 2, v0
	s_mov_b32 s0, -1
	ds_store_2addr_stride64_b32 v1, v2, v2 offset1:8
	s_and_saveexec_b32 s8, s0
; %bb.26:
	ds_store_b32 v1, v2 offset:4096
; %bb.27:
	s_or_b32 exec_lo, exec_lo, s8
	s_and_saveexec_b32 s8, s0
; %bb.28:
	v_mov_b32_e32 v2, 0
	ds_store_b32 v1, v2 offset:6144
; %bb.29:
	s_or_b32 exec_lo, exec_lo, s8
	s_wait_loadcnt 0x0
	v_cmp_lt_i16_e32 vcc_lo, -1, v25
	s_cmp_le_u32 s3, s2
	s_wait_dscnt 0x0
	s_cselect_b32 s8, -1, 0
	s_barrier_signal -1
	v_cndmask_b32_e64 v26, -1, 0xffff8000, vcc_lo
	s_and_b32 s0, s8, exec_lo
	v_cmp_le_u32_e32 vcc_lo, s1, v0
	s_cselect_b32 s9, 8, 10
	v_and_b32_e32 v2, 3, v0
	v_dual_mov_b32 v26, s9 :: v_dual_bitop2_b32 v25, v26, v25 bitop3:0x14
	s_nor_b32 s0, s8, vcc_lo
	s_barrier_wait -1
	s_and_saveexec_b32 s10, s0
	s_cbranch_execz .LBB2033_31
; %bb.30:
	v_cmp_ne_u16_e64 s0, 0x7fff, v25
	v_lshlrev_b32_e32 v27, 2, v2
	s_delay_alu instid0(VALU_DEP_2) | instskip(SKIP_1) | instid1(SALU_CYCLE_1)
	v_cndmask_b32_e64 v26, 0xffff8000, v25, s0
	s_sub_co_i32 s0, s3, s2
	s_min_u32 s0, s0, 8
	s_delay_alu instid0(VALU_DEP_1) | instskip(NEXT) | instid1(VALU_DEP_1)
	v_and_b32_e32 v26, 0xffff, v26
	v_lshrrev_b32_e32 v26, s2, v26
	s_delay_alu instid0(VALU_DEP_1) | instskip(NEXT) | instid1(VALU_DEP_1)
	v_bfe_u32 v26, v26, 0, s0
	v_lshl_or_b32 v26, v26, 4, v27
	v_mov_b32_e32 v27, 1
	ds_add_u32 v26, v27
	v_mov_b32_e32 v26, 0
.LBB2033_31:
	s_or_b32 exec_lo, exec_lo, s10
	s_mov_b32 s10, -1
	s_mov_b32 s11, exec_lo
	s_delay_alu instid0(VALU_DEP_1)
	v_cmpx_gt_i32_e32 10, v26
; %bb.32:
	v_cmp_eq_u32_e64 s0, 0, v26
	s_or_not1_b32 s10, s0, exec_lo
; %bb.33:
	s_or_b32 exec_lo, exec_lo, s11
	s_and_saveexec_b32 s0, s10
	s_cbranch_execz .LBB2033_36
; %bb.34:
	s_add_co_i32 s10, s2, 8
	s_delay_alu instid0(SALU_CYCLE_1) | instskip(SKIP_2) | instid1(SALU_CYCLE_1)
	s_cmp_gt_u32 s3, s10
	s_cselect_b32 s11, -1, 0
	s_xor_b32 s12, vcc_lo, -1
	s_and_b32 s11, s11, s12
	s_delay_alu instid0(SALU_CYCLE_1)
	s_and_b32 exec_lo, exec_lo, s11
	s_cbranch_execz .LBB2033_36
; %bb.35:
	v_cmp_ne_u16_e32 vcc_lo, 0x7fff, v25
	v_dual_cndmask_b32 v25, 0xffff8000, v25 :: v_dual_lshlrev_b32 v26, 2, v2
	s_delay_alu instid0(VALU_DEP_1) | instskip(NEXT) | instid1(VALU_DEP_1)
	v_and_b32_e32 v25, 0xffff, v25
	v_lshrrev_b32_e32 v25, s10, v25
	s_sub_co_i32 s10, s3, s10
	s_delay_alu instid0(SALU_CYCLE_1)
	s_min_u32 s10, s10, 8
	s_delay_alu instid0(VALU_DEP_1) | instid1(SALU_CYCLE_1)
	v_bfe_u32 v25, v25, 0, s10
	s_delay_alu instid0(VALU_DEP_1)
	v_lshl_or_b32 v25, v25, 4, v26
	v_mov_b32_e32 v26, 1
	ds_add_u32 v25, v26 offset:4096
.LBB2033_36:
	s_or_b32 exec_lo, exec_lo, s0
	v_cmp_lt_i16_e32 vcc_lo, -1, v24
	v_cndmask_b32_e64 v25, -1, 0xffff8000, vcc_lo
	v_cmp_le_u32_e32 vcc_lo, s1, v23
	s_delay_alu instid0(VALU_DEP_2) | instskip(SKIP_1) | instid1(SALU_CYCLE_1)
	v_dual_mov_b32 v24, s9 :: v_dual_bitop2_b32 v23, v25, v24 bitop3:0x14
	s_nor_b32 s0, s8, vcc_lo
	s_and_saveexec_b32 s10, s0
	s_cbranch_execz .LBB2033_38
; %bb.37:
	s_delay_alu instid0(VALU_DEP_1) | instskip(SKIP_1) | instid1(VALU_DEP_2)
	v_cmp_ne_u16_e64 s0, 0x7fff, v23
	v_lshlrev_b32_e32 v25, 2, v2
	v_cndmask_b32_e64 v24, 0xffff8000, v23, s0
	s_sub_co_i32 s0, s3, s2
	s_delay_alu instid0(SALU_CYCLE_1) | instskip(NEXT) | instid1(VALU_DEP_1)
	s_min_u32 s0, s0, 8
	v_and_b32_e32 v24, 0xffff, v24
	s_delay_alu instid0(VALU_DEP_1) | instskip(NEXT) | instid1(VALU_DEP_1)
	v_lshrrev_b32_e32 v24, s2, v24
	v_bfe_u32 v24, v24, 0, s0
	s_delay_alu instid0(VALU_DEP_1)
	v_lshl_or_b32 v24, v24, 4, v25
	v_mov_b32_e32 v25, 1
	ds_add_u32 v24, v25
	v_mov_b32_e32 v24, 0
.LBB2033_38:
	s_or_b32 exec_lo, exec_lo, s10
	s_mov_b32 s10, -1
	s_mov_b32 s11, exec_lo
	s_delay_alu instid0(VALU_DEP_1)
	v_cmpx_gt_i32_e32 10, v24
; %bb.39:
	v_cmp_eq_u32_e64 s0, 0, v24
	s_or_not1_b32 s10, s0, exec_lo
; %bb.40:
	s_or_b32 exec_lo, exec_lo, s11
	s_and_saveexec_b32 s0, s10
	s_cbranch_execz .LBB2033_43
; %bb.41:
	s_add_co_i32 s10, s2, 8
	s_delay_alu instid0(SALU_CYCLE_1) | instskip(SKIP_2) | instid1(SALU_CYCLE_1)
	s_cmp_gt_u32 s3, s10
	s_cselect_b32 s11, -1, 0
	s_xor_b32 s12, vcc_lo, -1
	s_and_b32 s11, s11, s12
	s_delay_alu instid0(SALU_CYCLE_1)
	s_and_b32 exec_lo, exec_lo, s11
	s_cbranch_execz .LBB2033_43
; %bb.42:
	v_cmp_ne_u16_e32 vcc_lo, 0x7fff, v23
	v_dual_cndmask_b32 v23, 0xffff8000, v23 :: v_dual_lshlrev_b32 v24, 2, v2
	s_delay_alu instid0(VALU_DEP_1) | instskip(NEXT) | instid1(VALU_DEP_1)
	v_and_b32_e32 v23, 0xffff, v23
	v_lshrrev_b32_e32 v23, s10, v23
	s_sub_co_i32 s10, s3, s10
	s_delay_alu instid0(SALU_CYCLE_1)
	s_min_u32 s10, s10, 8
	s_delay_alu instid0(VALU_DEP_1) | instid1(SALU_CYCLE_1)
	v_bfe_u32 v23, v23, 0, s10
	s_delay_alu instid0(VALU_DEP_1)
	v_lshl_or_b32 v23, v23, 4, v24
	v_mov_b32_e32 v24, 1
	ds_add_u32 v23, v24 offset:4096
.LBB2033_43:
	s_or_b32 exec_lo, exec_lo, s0
	v_cmp_lt_i16_e32 vcc_lo, -1, v22
	v_cndmask_b32_e64 v23, -1, 0xffff8000, vcc_lo
	v_cmp_le_u32_e32 vcc_lo, s1, v21
	s_delay_alu instid0(VALU_DEP_2) | instskip(SKIP_1) | instid1(SALU_CYCLE_1)
	v_dual_mov_b32 v22, s9 :: v_dual_bitop2_b32 v21, v23, v22 bitop3:0x14
	s_nor_b32 s0, s8, vcc_lo
	s_and_saveexec_b32 s10, s0
	s_cbranch_execz .LBB2033_45
; %bb.44:
	s_delay_alu instid0(VALU_DEP_1) | instskip(SKIP_1) | instid1(VALU_DEP_2)
	v_cmp_ne_u16_e64 s0, 0x7fff, v21
	v_lshlrev_b32_e32 v23, 2, v2
	v_cndmask_b32_e64 v22, 0xffff8000, v21, s0
	s_sub_co_i32 s0, s3, s2
	s_delay_alu instid0(SALU_CYCLE_1) | instskip(NEXT) | instid1(VALU_DEP_1)
	s_min_u32 s0, s0, 8
	v_and_b32_e32 v22, 0xffff, v22
	s_delay_alu instid0(VALU_DEP_1) | instskip(NEXT) | instid1(VALU_DEP_1)
	v_lshrrev_b32_e32 v22, s2, v22
	v_bfe_u32 v22, v22, 0, s0
	s_delay_alu instid0(VALU_DEP_1)
	v_lshl_or_b32 v22, v22, 4, v23
	v_mov_b32_e32 v23, 1
	ds_add_u32 v22, v23
	v_mov_b32_e32 v22, 0
.LBB2033_45:
	s_or_b32 exec_lo, exec_lo, s10
	s_mov_b32 s10, -1
	s_mov_b32 s11, exec_lo
	s_delay_alu instid0(VALU_DEP_1)
	v_cmpx_gt_i32_e32 10, v22
; %bb.46:
	v_cmp_eq_u32_e64 s0, 0, v22
	s_or_not1_b32 s10, s0, exec_lo
; %bb.47:
	s_or_b32 exec_lo, exec_lo, s11
	s_and_saveexec_b32 s0, s10
	s_cbranch_execz .LBB2033_50
; %bb.48:
	s_add_co_i32 s10, s2, 8
	s_delay_alu instid0(SALU_CYCLE_1) | instskip(SKIP_2) | instid1(SALU_CYCLE_1)
	s_cmp_gt_u32 s3, s10
	s_cselect_b32 s11, -1, 0
	s_xor_b32 s12, vcc_lo, -1
	s_and_b32 s11, s11, s12
	s_delay_alu instid0(SALU_CYCLE_1)
	s_and_b32 exec_lo, exec_lo, s11
	s_cbranch_execz .LBB2033_50
; %bb.49:
	v_cmp_ne_u16_e32 vcc_lo, 0x7fff, v21
	v_dual_cndmask_b32 v21, 0xffff8000, v21 :: v_dual_lshlrev_b32 v22, 2, v2
	s_delay_alu instid0(VALU_DEP_1) | instskip(NEXT) | instid1(VALU_DEP_1)
	v_and_b32_e32 v21, 0xffff, v21
	v_lshrrev_b32_e32 v21, s10, v21
	s_sub_co_i32 s10, s3, s10
	s_delay_alu instid0(SALU_CYCLE_1)
	s_min_u32 s10, s10, 8
	s_delay_alu instid0(VALU_DEP_1) | instid1(SALU_CYCLE_1)
	v_bfe_u32 v21, v21, 0, s10
	s_delay_alu instid0(VALU_DEP_1)
	v_lshl_or_b32 v21, v21, 4, v22
	v_mov_b32_e32 v22, 1
	ds_add_u32 v21, v22 offset:4096
.LBB2033_50:
	s_or_b32 exec_lo, exec_lo, s0
	v_cmp_lt_i16_e32 vcc_lo, -1, v20
	v_cndmask_b32_e64 v21, -1, 0xffff8000, vcc_lo
	v_cmp_le_u32_e32 vcc_lo, s1, v19
	s_delay_alu instid0(VALU_DEP_2) | instskip(SKIP_1) | instid1(SALU_CYCLE_1)
	v_dual_mov_b32 v20, s9 :: v_dual_bitop2_b32 v19, v21, v20 bitop3:0x14
	s_nor_b32 s0, s8, vcc_lo
	s_and_saveexec_b32 s10, s0
	s_cbranch_execz .LBB2033_52
; %bb.51:
	s_delay_alu instid0(VALU_DEP_1) | instskip(SKIP_1) | instid1(VALU_DEP_2)
	v_cmp_ne_u16_e64 s0, 0x7fff, v19
	v_lshlrev_b32_e32 v21, 2, v2
	v_cndmask_b32_e64 v20, 0xffff8000, v19, s0
	s_sub_co_i32 s0, s3, s2
	s_delay_alu instid0(SALU_CYCLE_1) | instskip(NEXT) | instid1(VALU_DEP_1)
	s_min_u32 s0, s0, 8
	v_and_b32_e32 v20, 0xffff, v20
	s_delay_alu instid0(VALU_DEP_1) | instskip(NEXT) | instid1(VALU_DEP_1)
	v_lshrrev_b32_e32 v20, s2, v20
	v_bfe_u32 v20, v20, 0, s0
	s_delay_alu instid0(VALU_DEP_1)
	v_lshl_or_b32 v20, v20, 4, v21
	v_mov_b32_e32 v21, 1
	ds_add_u32 v20, v21
	v_mov_b32_e32 v20, 0
.LBB2033_52:
	s_or_b32 exec_lo, exec_lo, s10
	s_mov_b32 s10, -1
	s_mov_b32 s11, exec_lo
	s_delay_alu instid0(VALU_DEP_1)
	v_cmpx_gt_i32_e32 10, v20
; %bb.53:
	v_cmp_eq_u32_e64 s0, 0, v20
	s_or_not1_b32 s10, s0, exec_lo
; %bb.54:
	s_or_b32 exec_lo, exec_lo, s11
	s_and_saveexec_b32 s0, s10
	s_cbranch_execz .LBB2033_57
; %bb.55:
	s_add_co_i32 s10, s2, 8
	s_delay_alu instid0(SALU_CYCLE_1) | instskip(SKIP_2) | instid1(SALU_CYCLE_1)
	s_cmp_gt_u32 s3, s10
	s_cselect_b32 s11, -1, 0
	s_xor_b32 s12, vcc_lo, -1
	s_and_b32 s11, s11, s12
	s_delay_alu instid0(SALU_CYCLE_1)
	s_and_b32 exec_lo, exec_lo, s11
	s_cbranch_execz .LBB2033_57
; %bb.56:
	v_cmp_ne_u16_e32 vcc_lo, 0x7fff, v19
	v_dual_cndmask_b32 v19, 0xffff8000, v19 :: v_dual_lshlrev_b32 v20, 2, v2
	s_delay_alu instid0(VALU_DEP_1) | instskip(NEXT) | instid1(VALU_DEP_1)
	v_and_b32_e32 v19, 0xffff, v19
	v_lshrrev_b32_e32 v19, s10, v19
	s_sub_co_i32 s10, s3, s10
	s_delay_alu instid0(SALU_CYCLE_1)
	s_min_u32 s10, s10, 8
	s_delay_alu instid0(VALU_DEP_1) | instid1(SALU_CYCLE_1)
	v_bfe_u32 v19, v19, 0, s10
	s_delay_alu instid0(VALU_DEP_1)
	v_lshl_or_b32 v19, v19, 4, v20
	v_mov_b32_e32 v20, 1
	ds_add_u32 v19, v20 offset:4096
.LBB2033_57:
	s_or_b32 exec_lo, exec_lo, s0
	v_cmp_lt_i16_e32 vcc_lo, -1, v18
	v_cndmask_b32_e64 v19, -1, 0xffff8000, vcc_lo
	v_cmp_le_u32_e32 vcc_lo, s1, v17
	s_delay_alu instid0(VALU_DEP_2) | instskip(SKIP_1) | instid1(SALU_CYCLE_1)
	v_dual_mov_b32 v18, s9 :: v_dual_bitop2_b32 v17, v19, v18 bitop3:0x14
	s_nor_b32 s0, s8, vcc_lo
	s_and_saveexec_b32 s10, s0
	s_cbranch_execz .LBB2033_59
; %bb.58:
	s_delay_alu instid0(VALU_DEP_1) | instskip(SKIP_1) | instid1(VALU_DEP_2)
	v_cmp_ne_u16_e64 s0, 0x7fff, v17
	v_lshlrev_b32_e32 v19, 2, v2
	v_cndmask_b32_e64 v18, 0xffff8000, v17, s0
	s_sub_co_i32 s0, s3, s2
	s_delay_alu instid0(SALU_CYCLE_1) | instskip(NEXT) | instid1(VALU_DEP_1)
	s_min_u32 s0, s0, 8
	v_and_b32_e32 v18, 0xffff, v18
	s_delay_alu instid0(VALU_DEP_1) | instskip(NEXT) | instid1(VALU_DEP_1)
	v_lshrrev_b32_e32 v18, s2, v18
	v_bfe_u32 v18, v18, 0, s0
	s_delay_alu instid0(VALU_DEP_1)
	v_lshl_or_b32 v18, v18, 4, v19
	v_mov_b32_e32 v19, 1
	ds_add_u32 v18, v19
	v_mov_b32_e32 v18, 0
.LBB2033_59:
	s_or_b32 exec_lo, exec_lo, s10
	s_mov_b32 s10, -1
	s_mov_b32 s11, exec_lo
	s_delay_alu instid0(VALU_DEP_1)
	v_cmpx_gt_i32_e32 10, v18
; %bb.60:
	v_cmp_eq_u32_e64 s0, 0, v18
	s_or_not1_b32 s10, s0, exec_lo
; %bb.61:
	s_or_b32 exec_lo, exec_lo, s11
	s_and_saveexec_b32 s0, s10
	s_cbranch_execz .LBB2033_64
; %bb.62:
	s_add_co_i32 s10, s2, 8
	s_delay_alu instid0(SALU_CYCLE_1) | instskip(SKIP_2) | instid1(SALU_CYCLE_1)
	s_cmp_gt_u32 s3, s10
	s_cselect_b32 s11, -1, 0
	s_xor_b32 s12, vcc_lo, -1
	s_and_b32 s11, s11, s12
	s_delay_alu instid0(SALU_CYCLE_1)
	s_and_b32 exec_lo, exec_lo, s11
	s_cbranch_execz .LBB2033_64
; %bb.63:
	v_cmp_ne_u16_e32 vcc_lo, 0x7fff, v17
	v_dual_cndmask_b32 v17, 0xffff8000, v17 :: v_dual_lshlrev_b32 v18, 2, v2
	s_delay_alu instid0(VALU_DEP_1) | instskip(NEXT) | instid1(VALU_DEP_1)
	v_and_b32_e32 v17, 0xffff, v17
	v_lshrrev_b32_e32 v17, s10, v17
	s_sub_co_i32 s10, s3, s10
	s_delay_alu instid0(SALU_CYCLE_1)
	s_min_u32 s10, s10, 8
	s_delay_alu instid0(VALU_DEP_1) | instid1(SALU_CYCLE_1)
	v_bfe_u32 v17, v17, 0, s10
	s_delay_alu instid0(VALU_DEP_1)
	v_lshl_or_b32 v17, v17, 4, v18
	v_mov_b32_e32 v18, 1
	ds_add_u32 v17, v18 offset:4096
.LBB2033_64:
	s_or_b32 exec_lo, exec_lo, s0
	v_cmp_lt_i16_e32 vcc_lo, -1, v16
	v_cndmask_b32_e64 v17, -1, 0xffff8000, vcc_lo
	v_cmp_le_u32_e32 vcc_lo, s1, v15
	s_delay_alu instid0(VALU_DEP_2) | instskip(SKIP_1) | instid1(SALU_CYCLE_1)
	v_dual_mov_b32 v16, s9 :: v_dual_bitop2_b32 v15, v17, v16 bitop3:0x14
	s_nor_b32 s0, s8, vcc_lo
	s_and_saveexec_b32 s10, s0
	s_cbranch_execz .LBB2033_66
; %bb.65:
	s_delay_alu instid0(VALU_DEP_1) | instskip(SKIP_1) | instid1(VALU_DEP_2)
	v_cmp_ne_u16_e64 s0, 0x7fff, v15
	v_lshlrev_b32_e32 v17, 2, v2
	v_cndmask_b32_e64 v16, 0xffff8000, v15, s0
	s_sub_co_i32 s0, s3, s2
	s_delay_alu instid0(SALU_CYCLE_1) | instskip(NEXT) | instid1(VALU_DEP_1)
	s_min_u32 s0, s0, 8
	v_and_b32_e32 v16, 0xffff, v16
	s_delay_alu instid0(VALU_DEP_1) | instskip(NEXT) | instid1(VALU_DEP_1)
	v_lshrrev_b32_e32 v16, s2, v16
	v_bfe_u32 v16, v16, 0, s0
	s_delay_alu instid0(VALU_DEP_1)
	v_lshl_or_b32 v16, v16, 4, v17
	v_mov_b32_e32 v17, 1
	ds_add_u32 v16, v17
	v_mov_b32_e32 v16, 0
.LBB2033_66:
	s_or_b32 exec_lo, exec_lo, s10
	s_mov_b32 s10, -1
	s_mov_b32 s11, exec_lo
	s_delay_alu instid0(VALU_DEP_1)
	v_cmpx_gt_i32_e32 10, v16
; %bb.67:
	v_cmp_eq_u32_e64 s0, 0, v16
	s_or_not1_b32 s10, s0, exec_lo
; %bb.68:
	s_or_b32 exec_lo, exec_lo, s11
	s_and_saveexec_b32 s0, s10
	s_cbranch_execz .LBB2033_71
; %bb.69:
	s_add_co_i32 s10, s2, 8
	s_delay_alu instid0(SALU_CYCLE_1) | instskip(SKIP_2) | instid1(SALU_CYCLE_1)
	s_cmp_gt_u32 s3, s10
	s_cselect_b32 s11, -1, 0
	s_xor_b32 s12, vcc_lo, -1
	s_and_b32 s11, s11, s12
	s_delay_alu instid0(SALU_CYCLE_1)
	s_and_b32 exec_lo, exec_lo, s11
	s_cbranch_execz .LBB2033_71
; %bb.70:
	v_cmp_ne_u16_e32 vcc_lo, 0x7fff, v15
	v_dual_cndmask_b32 v15, 0xffff8000, v15 :: v_dual_lshlrev_b32 v16, 2, v2
	s_delay_alu instid0(VALU_DEP_1) | instskip(NEXT) | instid1(VALU_DEP_1)
	v_and_b32_e32 v15, 0xffff, v15
	v_lshrrev_b32_e32 v15, s10, v15
	s_sub_co_i32 s10, s3, s10
	s_delay_alu instid0(SALU_CYCLE_1)
	s_min_u32 s10, s10, 8
	s_delay_alu instid0(VALU_DEP_1) | instid1(SALU_CYCLE_1)
	v_bfe_u32 v15, v15, 0, s10
	s_delay_alu instid0(VALU_DEP_1)
	v_lshl_or_b32 v15, v15, 4, v16
	v_mov_b32_e32 v16, 1
	ds_add_u32 v15, v16 offset:4096
.LBB2033_71:
	s_or_b32 exec_lo, exec_lo, s0
	v_cmp_lt_i16_e32 vcc_lo, -1, v14
	v_cndmask_b32_e64 v15, -1, 0xffff8000, vcc_lo
	v_cmp_le_u32_e32 vcc_lo, s1, v13
	s_delay_alu instid0(VALU_DEP_2) | instskip(SKIP_1) | instid1(SALU_CYCLE_1)
	v_dual_mov_b32 v14, s9 :: v_dual_bitop2_b32 v13, v15, v14 bitop3:0x14
	s_nor_b32 s0, s8, vcc_lo
	s_and_saveexec_b32 s10, s0
	s_cbranch_execz .LBB2033_73
; %bb.72:
	s_delay_alu instid0(VALU_DEP_1) | instskip(SKIP_1) | instid1(VALU_DEP_2)
	v_cmp_ne_u16_e64 s0, 0x7fff, v13
	v_lshlrev_b32_e32 v15, 2, v2
	v_cndmask_b32_e64 v14, 0xffff8000, v13, s0
	s_sub_co_i32 s0, s3, s2
	s_delay_alu instid0(SALU_CYCLE_1) | instskip(NEXT) | instid1(VALU_DEP_1)
	s_min_u32 s0, s0, 8
	v_and_b32_e32 v14, 0xffff, v14
	s_delay_alu instid0(VALU_DEP_1) | instskip(NEXT) | instid1(VALU_DEP_1)
	v_lshrrev_b32_e32 v14, s2, v14
	v_bfe_u32 v14, v14, 0, s0
	s_delay_alu instid0(VALU_DEP_1)
	v_lshl_or_b32 v14, v14, 4, v15
	v_mov_b32_e32 v15, 1
	ds_add_u32 v14, v15
	v_mov_b32_e32 v14, 0
.LBB2033_73:
	s_or_b32 exec_lo, exec_lo, s10
	s_mov_b32 s10, -1
	s_mov_b32 s11, exec_lo
	s_delay_alu instid0(VALU_DEP_1)
	v_cmpx_gt_i32_e32 10, v14
; %bb.74:
	v_cmp_eq_u32_e64 s0, 0, v14
	s_or_not1_b32 s10, s0, exec_lo
; %bb.75:
	s_or_b32 exec_lo, exec_lo, s11
	s_and_saveexec_b32 s0, s10
	s_cbranch_execz .LBB2033_78
; %bb.76:
	s_add_co_i32 s10, s2, 8
	s_delay_alu instid0(SALU_CYCLE_1) | instskip(SKIP_2) | instid1(SALU_CYCLE_1)
	s_cmp_gt_u32 s3, s10
	s_cselect_b32 s11, -1, 0
	s_xor_b32 s12, vcc_lo, -1
	s_and_b32 s11, s11, s12
	s_delay_alu instid0(SALU_CYCLE_1)
	s_and_b32 exec_lo, exec_lo, s11
	s_cbranch_execz .LBB2033_78
; %bb.77:
	v_cmp_ne_u16_e32 vcc_lo, 0x7fff, v13
	v_dual_cndmask_b32 v13, 0xffff8000, v13 :: v_dual_lshlrev_b32 v14, 2, v2
	s_delay_alu instid0(VALU_DEP_1) | instskip(NEXT) | instid1(VALU_DEP_1)
	v_and_b32_e32 v13, 0xffff, v13
	v_lshrrev_b32_e32 v13, s10, v13
	s_sub_co_i32 s10, s3, s10
	s_delay_alu instid0(SALU_CYCLE_1)
	s_min_u32 s10, s10, 8
	s_delay_alu instid0(VALU_DEP_1) | instid1(SALU_CYCLE_1)
	v_bfe_u32 v13, v13, 0, s10
	s_delay_alu instid0(VALU_DEP_1)
	v_lshl_or_b32 v13, v13, 4, v14
	v_mov_b32_e32 v14, 1
	ds_add_u32 v13, v14 offset:4096
.LBB2033_78:
	s_or_b32 exec_lo, exec_lo, s0
	v_cmp_lt_i16_e32 vcc_lo, -1, v12
	v_cndmask_b32_e64 v13, -1, 0xffff8000, vcc_lo
	v_cmp_le_u32_e32 vcc_lo, s1, v11
	s_delay_alu instid0(VALU_DEP_2) | instskip(SKIP_1) | instid1(SALU_CYCLE_1)
	v_dual_mov_b32 v12, s9 :: v_dual_bitop2_b32 v11, v13, v12 bitop3:0x14
	s_nor_b32 s0, s8, vcc_lo
	s_and_saveexec_b32 s10, s0
	s_cbranch_execz .LBB2033_80
; %bb.79:
	s_delay_alu instid0(VALU_DEP_1) | instskip(SKIP_1) | instid1(VALU_DEP_2)
	v_cmp_ne_u16_e64 s0, 0x7fff, v11
	v_lshlrev_b32_e32 v13, 2, v2
	v_cndmask_b32_e64 v12, 0xffff8000, v11, s0
	s_sub_co_i32 s0, s3, s2
	s_delay_alu instid0(SALU_CYCLE_1) | instskip(NEXT) | instid1(VALU_DEP_1)
	s_min_u32 s0, s0, 8
	v_and_b32_e32 v12, 0xffff, v12
	s_delay_alu instid0(VALU_DEP_1) | instskip(NEXT) | instid1(VALU_DEP_1)
	v_lshrrev_b32_e32 v12, s2, v12
	v_bfe_u32 v12, v12, 0, s0
	s_delay_alu instid0(VALU_DEP_1)
	v_lshl_or_b32 v12, v12, 4, v13
	v_mov_b32_e32 v13, 1
	ds_add_u32 v12, v13
	v_mov_b32_e32 v12, 0
.LBB2033_80:
	s_or_b32 exec_lo, exec_lo, s10
	s_mov_b32 s10, -1
	s_mov_b32 s11, exec_lo
	s_delay_alu instid0(VALU_DEP_1)
	v_cmpx_gt_i32_e32 10, v12
; %bb.81:
	v_cmp_eq_u32_e64 s0, 0, v12
	s_or_not1_b32 s10, s0, exec_lo
; %bb.82:
	s_or_b32 exec_lo, exec_lo, s11
	s_and_saveexec_b32 s0, s10
	s_cbranch_execz .LBB2033_85
; %bb.83:
	s_add_co_i32 s10, s2, 8
	s_delay_alu instid0(SALU_CYCLE_1) | instskip(SKIP_2) | instid1(SALU_CYCLE_1)
	s_cmp_gt_u32 s3, s10
	s_cselect_b32 s11, -1, 0
	s_xor_b32 s12, vcc_lo, -1
	s_and_b32 s11, s11, s12
	s_delay_alu instid0(SALU_CYCLE_1)
	s_and_b32 exec_lo, exec_lo, s11
	s_cbranch_execz .LBB2033_85
; %bb.84:
	v_cmp_ne_u16_e32 vcc_lo, 0x7fff, v11
	v_dual_cndmask_b32 v11, 0xffff8000, v11 :: v_dual_lshlrev_b32 v12, 2, v2
	s_delay_alu instid0(VALU_DEP_1) | instskip(NEXT) | instid1(VALU_DEP_1)
	v_and_b32_e32 v11, 0xffff, v11
	v_lshrrev_b32_e32 v11, s10, v11
	s_sub_co_i32 s10, s3, s10
	s_delay_alu instid0(SALU_CYCLE_1)
	s_min_u32 s10, s10, 8
	s_delay_alu instid0(VALU_DEP_1) | instid1(SALU_CYCLE_1)
	v_bfe_u32 v11, v11, 0, s10
	s_delay_alu instid0(VALU_DEP_1)
	v_lshl_or_b32 v11, v11, 4, v12
	v_mov_b32_e32 v12, 1
	ds_add_u32 v11, v12 offset:4096
.LBB2033_85:
	s_or_b32 exec_lo, exec_lo, s0
	v_cmp_lt_i16_e32 vcc_lo, -1, v10
	v_cndmask_b32_e64 v11, -1, 0xffff8000, vcc_lo
	v_cmp_le_u32_e32 vcc_lo, s1, v9
	s_delay_alu instid0(VALU_DEP_2) | instskip(SKIP_1) | instid1(SALU_CYCLE_1)
	v_dual_mov_b32 v10, s9 :: v_dual_bitop2_b32 v9, v11, v10 bitop3:0x14
	s_nor_b32 s0, s8, vcc_lo
	s_and_saveexec_b32 s10, s0
	s_cbranch_execz .LBB2033_87
; %bb.86:
	s_delay_alu instid0(VALU_DEP_1) | instskip(SKIP_1) | instid1(VALU_DEP_2)
	v_cmp_ne_u16_e64 s0, 0x7fff, v9
	v_lshlrev_b32_e32 v11, 2, v2
	v_cndmask_b32_e64 v10, 0xffff8000, v9, s0
	s_sub_co_i32 s0, s3, s2
	s_delay_alu instid0(SALU_CYCLE_1) | instskip(NEXT) | instid1(VALU_DEP_1)
	s_min_u32 s0, s0, 8
	v_and_b32_e32 v10, 0xffff, v10
	s_delay_alu instid0(VALU_DEP_1) | instskip(NEXT) | instid1(VALU_DEP_1)
	v_lshrrev_b32_e32 v10, s2, v10
	v_bfe_u32 v10, v10, 0, s0
	s_delay_alu instid0(VALU_DEP_1)
	v_lshl_or_b32 v10, v10, 4, v11
	v_mov_b32_e32 v11, 1
	ds_add_u32 v10, v11
	v_mov_b32_e32 v10, 0
.LBB2033_87:
	s_or_b32 exec_lo, exec_lo, s10
	s_mov_b32 s10, -1
	s_mov_b32 s11, exec_lo
	s_delay_alu instid0(VALU_DEP_1)
	v_cmpx_gt_i32_e32 10, v10
; %bb.88:
	v_cmp_eq_u32_e64 s0, 0, v10
	s_or_not1_b32 s10, s0, exec_lo
; %bb.89:
	s_or_b32 exec_lo, exec_lo, s11
	s_and_saveexec_b32 s0, s10
	s_cbranch_execz .LBB2033_92
; %bb.90:
	s_add_co_i32 s10, s2, 8
	s_delay_alu instid0(SALU_CYCLE_1) | instskip(SKIP_2) | instid1(SALU_CYCLE_1)
	s_cmp_gt_u32 s3, s10
	s_cselect_b32 s11, -1, 0
	s_xor_b32 s12, vcc_lo, -1
	s_and_b32 s11, s11, s12
	s_delay_alu instid0(SALU_CYCLE_1)
	s_and_b32 exec_lo, exec_lo, s11
	s_cbranch_execz .LBB2033_92
; %bb.91:
	v_cmp_ne_u16_e32 vcc_lo, 0x7fff, v9
	v_dual_cndmask_b32 v9, 0xffff8000, v9 :: v_dual_lshlrev_b32 v10, 2, v2
	s_delay_alu instid0(VALU_DEP_1) | instskip(NEXT) | instid1(VALU_DEP_1)
	v_and_b32_e32 v9, 0xffff, v9
	v_lshrrev_b32_e32 v9, s10, v9
	s_sub_co_i32 s10, s3, s10
	s_delay_alu instid0(SALU_CYCLE_1)
	s_min_u32 s10, s10, 8
	s_delay_alu instid0(VALU_DEP_1) | instid1(SALU_CYCLE_1)
	v_bfe_u32 v9, v9, 0, s10
	s_delay_alu instid0(VALU_DEP_1)
	v_lshl_or_b32 v9, v9, 4, v10
	v_mov_b32_e32 v10, 1
	ds_add_u32 v9, v10 offset:4096
.LBB2033_92:
	s_or_b32 exec_lo, exec_lo, s0
	v_cmp_lt_i16_e32 vcc_lo, -1, v8
	v_cndmask_b32_e64 v9, -1, 0xffff8000, vcc_lo
	v_cmp_le_u32_e32 vcc_lo, s1, v7
	s_delay_alu instid0(VALU_DEP_2) | instskip(SKIP_1) | instid1(SALU_CYCLE_1)
	v_dual_mov_b32 v8, s9 :: v_dual_bitop2_b32 v7, v9, v8 bitop3:0x14
	s_nor_b32 s0, s8, vcc_lo
	s_and_saveexec_b32 s10, s0
	s_cbranch_execz .LBB2033_94
; %bb.93:
	s_delay_alu instid0(VALU_DEP_1) | instskip(SKIP_1) | instid1(VALU_DEP_2)
	v_cmp_ne_u16_e64 s0, 0x7fff, v7
	v_lshlrev_b32_e32 v9, 2, v2
	v_cndmask_b32_e64 v8, 0xffff8000, v7, s0
	s_sub_co_i32 s0, s3, s2
	s_delay_alu instid0(SALU_CYCLE_1) | instskip(NEXT) | instid1(VALU_DEP_1)
	s_min_u32 s0, s0, 8
	v_and_b32_e32 v8, 0xffff, v8
	s_delay_alu instid0(VALU_DEP_1) | instskip(NEXT) | instid1(VALU_DEP_1)
	v_lshrrev_b32_e32 v8, s2, v8
	v_bfe_u32 v8, v8, 0, s0
	s_delay_alu instid0(VALU_DEP_1)
	v_lshl_or_b32 v8, v8, 4, v9
	v_mov_b32_e32 v9, 1
	ds_add_u32 v8, v9
	v_mov_b32_e32 v8, 0
.LBB2033_94:
	s_or_b32 exec_lo, exec_lo, s10
	s_mov_b32 s10, -1
	s_mov_b32 s11, exec_lo
	s_delay_alu instid0(VALU_DEP_1)
	v_cmpx_gt_i32_e32 10, v8
; %bb.95:
	v_cmp_eq_u32_e64 s0, 0, v8
	s_or_not1_b32 s10, s0, exec_lo
; %bb.96:
	s_or_b32 exec_lo, exec_lo, s11
	s_and_saveexec_b32 s0, s10
	s_cbranch_execz .LBB2033_99
; %bb.97:
	s_add_co_i32 s10, s2, 8
	s_delay_alu instid0(SALU_CYCLE_1) | instskip(SKIP_2) | instid1(SALU_CYCLE_1)
	s_cmp_gt_u32 s3, s10
	s_cselect_b32 s11, -1, 0
	s_xor_b32 s12, vcc_lo, -1
	s_and_b32 s11, s11, s12
	s_delay_alu instid0(SALU_CYCLE_1)
	s_and_b32 exec_lo, exec_lo, s11
	s_cbranch_execz .LBB2033_99
; %bb.98:
	v_cmp_ne_u16_e32 vcc_lo, 0x7fff, v7
	v_dual_cndmask_b32 v7, 0xffff8000, v7 :: v_dual_lshlrev_b32 v8, 2, v2
	s_delay_alu instid0(VALU_DEP_1) | instskip(NEXT) | instid1(VALU_DEP_1)
	v_and_b32_e32 v7, 0xffff, v7
	v_lshrrev_b32_e32 v7, s10, v7
	s_sub_co_i32 s10, s3, s10
	s_delay_alu instid0(SALU_CYCLE_1)
	s_min_u32 s10, s10, 8
	s_delay_alu instid0(VALU_DEP_1) | instid1(SALU_CYCLE_1)
	v_bfe_u32 v7, v7, 0, s10
	s_delay_alu instid0(VALU_DEP_1)
	v_lshl_or_b32 v7, v7, 4, v8
	v_mov_b32_e32 v8, 1
	ds_add_u32 v7, v8 offset:4096
.LBB2033_99:
	s_or_b32 exec_lo, exec_lo, s0
	v_cmp_lt_i16_e32 vcc_lo, -1, v6
	v_cndmask_b32_e64 v7, -1, 0xffff8000, vcc_lo
	v_cmp_le_u32_e32 vcc_lo, s1, v5
	s_delay_alu instid0(VALU_DEP_2) | instskip(SKIP_1) | instid1(SALU_CYCLE_1)
	v_dual_mov_b32 v6, s9 :: v_dual_bitop2_b32 v5, v7, v6 bitop3:0x14
	s_nor_b32 s0, s8, vcc_lo
	s_and_saveexec_b32 s10, s0
	s_cbranch_execz .LBB2033_101
; %bb.100:
	s_delay_alu instid0(VALU_DEP_1) | instskip(SKIP_1) | instid1(VALU_DEP_2)
	v_cmp_ne_u16_e64 s0, 0x7fff, v5
	v_lshlrev_b32_e32 v7, 2, v2
	v_cndmask_b32_e64 v6, 0xffff8000, v5, s0
	s_sub_co_i32 s0, s3, s2
	s_delay_alu instid0(SALU_CYCLE_1) | instskip(NEXT) | instid1(VALU_DEP_1)
	s_min_u32 s0, s0, 8
	v_and_b32_e32 v6, 0xffff, v6
	s_delay_alu instid0(VALU_DEP_1) | instskip(NEXT) | instid1(VALU_DEP_1)
	v_lshrrev_b32_e32 v6, s2, v6
	v_bfe_u32 v6, v6, 0, s0
	s_delay_alu instid0(VALU_DEP_1)
	v_lshl_or_b32 v6, v6, 4, v7
	v_mov_b32_e32 v7, 1
	ds_add_u32 v6, v7
	v_mov_b32_e32 v6, 0
.LBB2033_101:
	s_or_b32 exec_lo, exec_lo, s10
	s_mov_b32 s10, -1
	s_mov_b32 s11, exec_lo
	s_delay_alu instid0(VALU_DEP_1)
	v_cmpx_gt_i32_e32 10, v6
; %bb.102:
	v_cmp_eq_u32_e64 s0, 0, v6
	s_or_not1_b32 s10, s0, exec_lo
; %bb.103:
	s_or_b32 exec_lo, exec_lo, s11
	s_and_saveexec_b32 s0, s10
	s_cbranch_execz .LBB2033_106
; %bb.104:
	s_add_co_i32 s10, s2, 8
	s_delay_alu instid0(SALU_CYCLE_1) | instskip(SKIP_2) | instid1(SALU_CYCLE_1)
	s_cmp_gt_u32 s3, s10
	s_cselect_b32 s11, -1, 0
	s_xor_b32 s12, vcc_lo, -1
	s_and_b32 s11, s11, s12
	s_delay_alu instid0(SALU_CYCLE_1)
	s_and_b32 exec_lo, exec_lo, s11
	s_cbranch_execz .LBB2033_106
; %bb.105:
	v_cmp_ne_u16_e32 vcc_lo, 0x7fff, v5
	v_dual_cndmask_b32 v5, 0xffff8000, v5 :: v_dual_lshlrev_b32 v6, 2, v2
	s_delay_alu instid0(VALU_DEP_1) | instskip(NEXT) | instid1(VALU_DEP_1)
	v_and_b32_e32 v5, 0xffff, v5
	v_lshrrev_b32_e32 v5, s10, v5
	s_sub_co_i32 s10, s3, s10
	s_delay_alu instid0(SALU_CYCLE_1)
	s_min_u32 s10, s10, 8
	s_delay_alu instid0(VALU_DEP_1) | instid1(SALU_CYCLE_1)
	v_bfe_u32 v5, v5, 0, s10
	s_delay_alu instid0(VALU_DEP_1)
	v_lshl_or_b32 v5, v5, 4, v6
	v_mov_b32_e32 v6, 1
	ds_add_u32 v5, v6 offset:4096
.LBB2033_106:
	s_or_b32 exec_lo, exec_lo, s0
	v_cmp_lt_i16_e32 vcc_lo, -1, v4
	v_cndmask_b32_e64 v5, -1, 0xffff8000, vcc_lo
	v_cmp_le_u32_e32 vcc_lo, s1, v3
	s_delay_alu instid0(VALU_DEP_2) | instskip(SKIP_1) | instid1(SALU_CYCLE_1)
	v_dual_mov_b32 v4, s9 :: v_dual_bitop2_b32 v3, v5, v4 bitop3:0x14
	s_nor_b32 s0, s8, vcc_lo
	s_and_saveexec_b32 s1, s0
	s_cbranch_execz .LBB2033_108
; %bb.107:
	s_delay_alu instid0(VALU_DEP_1) | instskip(SKIP_1) | instid1(VALU_DEP_2)
	v_cmp_ne_u16_e64 s0, 0x7fff, v3
	v_lshlrev_b32_e32 v5, 2, v2
	v_cndmask_b32_e64 v4, 0xffff8000, v3, s0
	s_sub_co_i32 s0, s3, s2
	s_delay_alu instid0(SALU_CYCLE_1) | instskip(NEXT) | instid1(VALU_DEP_1)
	s_min_u32 s0, s0, 8
	v_and_b32_e32 v4, 0xffff, v4
	s_delay_alu instid0(VALU_DEP_1) | instskip(NEXT) | instid1(VALU_DEP_1)
	v_lshrrev_b32_e32 v4, s2, v4
	v_bfe_u32 v4, v4, 0, s0
	s_delay_alu instid0(VALU_DEP_1)
	v_lshl_or_b32 v4, v4, 4, v5
	v_mov_b32_e32 v5, 1
	ds_add_u32 v4, v5
	v_mov_b32_e32 v4, 0
.LBB2033_108:
	s_or_b32 exec_lo, exec_lo, s1
	s_mov_b32 s1, -1
	s_mov_b32 s8, exec_lo
	s_delay_alu instid0(VALU_DEP_1)
	v_cmpx_gt_i32_e32 10, v4
; %bb.109:
	v_cmp_eq_u32_e64 s0, 0, v4
	s_or_not1_b32 s1, s0, exec_lo
; %bb.110:
	s_or_b32 exec_lo, exec_lo, s8
	s_and_saveexec_b32 s0, s1
	s_cbranch_execz .LBB2033_113
; %bb.111:
	s_add_co_i32 s1, s2, 8
	s_delay_alu instid0(SALU_CYCLE_1) | instskip(SKIP_2) | instid1(SALU_CYCLE_1)
	s_cmp_gt_u32 s3, s1
	s_cselect_b32 s8, -1, 0
	s_xor_b32 s9, vcc_lo, -1
	s_and_b32 s8, s8, s9
	s_delay_alu instid0(SALU_CYCLE_1)
	s_and_b32 exec_lo, exec_lo, s8
	s_cbranch_execz .LBB2033_113
; %bb.112:
	v_cmp_ne_u16_e32 vcc_lo, 0x7fff, v3
	v_dual_cndmask_b32 v3, 0xffff8000, v3 :: v_dual_lshlrev_b32 v2, 2, v2
	s_delay_alu instid0(VALU_DEP_1) | instskip(NEXT) | instid1(VALU_DEP_1)
	v_and_b32_e32 v3, 0xffff, v3
	v_lshrrev_b32_e32 v3, s1, v3
	s_sub_co_i32 s1, s3, s1
	s_delay_alu instid0(SALU_CYCLE_1)
	s_min_u32 s1, s1, 8
	s_delay_alu instid0(VALU_DEP_1) | instid1(SALU_CYCLE_1)
	v_bfe_u32 v3, v3, 0, s1
	s_delay_alu instid0(VALU_DEP_1)
	v_lshl_or_b32 v2, v3, 4, v2
	v_mov_b32_e32 v3, 1
	ds_add_u32 v2, v3 offset:4096
.LBB2033_113:
	s_or_b32 exec_lo, exec_lo, s0
	s_cmp_gt_u32 s3, s2
	s_wait_dscnt 0x0
	s_barrier_signal -1
	s_barrier_wait -1
	s_cbranch_scc0 .LBB2033_118
; %bb.114:
	v_mad_u32_u24 v1, v0, 12, v1
	v_dual_mov_b32 v3, 0 :: v_dual_mov_b32 v4, v0
	s_mov_b32 s0, s2
	v_cmp_gt_u32_e32 vcc_lo, 0x100, v0
	s_branch .LBB2033_116
.LBB2033_115:                           ;   in Loop: Header=BB2033_116 Depth=1
	s_wait_xcnt 0x0
	s_or_b32 exec_lo, exec_lo, s1
	v_add_nc_u32_e32 v4, 0x100, v4
	v_add_nc_u32_e32 v1, 0x1000, v1
	s_add_co_i32 s0, s0, 8
	s_delay_alu instid0(SALU_CYCLE_1)
	s_cmp_lt_u32 s0, s3
	s_cbranch_scc0 .LBB2033_118
.LBB2033_116:                           ; =>This Inner Loop Header: Depth=1
	s_and_saveexec_b32 s1, vcc_lo
	s_cbranch_execz .LBB2033_115
; %bb.117:                              ;   in Loop: Header=BB2033_116 Depth=1
	ds_load_2addr_b32 v[6:7], v1 offset1:1
	ds_load_2addr_b32 v[8:9], v1 offset0:2 offset1:3
	s_wait_dscnt 0x1
	v_add_nc_u32_e32 v2, v7, v6
	s_wait_dscnt 0x0
	s_delay_alu instid0(VALU_DEP_1)
	v_add3_u32 v2, v2, v8, v9
	global_atomic_add_u64 v4, v[2:3], s[6:7] scale_offset scope:SCOPE_DEV
	s_branch .LBB2033_115
.LBB2033_118:
	s_mov_b32 s9, 0
.LBB2033_119:
	s_delay_alu instid0(SALU_CYCLE_1)
	s_and_b32 vcc_lo, exec_lo, s9
	s_cbranch_vccz .LBB2033_164
; %bb.120:
	s_clause 0xb
	global_load_u16 v12, v0, s[4:5] scale_offset
	global_load_u16 v13, v0, s[4:5] offset:1024 scale_offset
	global_load_u16 v14, v0, s[4:5] offset:2048 scale_offset
	;; [unrolled: 1-line block ×11, first 2 shown]
	s_cmp_eq_u32 s2, 0
	v_dual_mov_b32 v2, 0 :: v_dual_lshlrev_b32 v15, 2, v0
	s_cselect_b32 s0, -1, 0
	s_cmp_eq_u32 s3, 16
	s_wait_xcnt 0x0
	v_cmp_gt_u32_e64 s4, 3, 1
	s_cselect_b32 s1, -1, 0
	s_delay_alu instid0(SALU_CYCLE_1)
	s_and_b32 s0, s0, s1
	s_mov_b32 s1, -1
	s_and_b32 vcc_lo, exec_lo, s0
	v_cmp_gt_u32_e64 s0, 3, 2
	s_cbranch_vccnz .LBB2033_157
; %bb.121:
	ds_store_2addr_stride64_b32 v15, v2, v2 offset1:8
	s_and_saveexec_b32 s1, s4
; %bb.122:
	v_mov_b32_e32 v2, 0
	ds_store_b32 v15, v2 offset:4096
; %bb.123:
	s_or_b32 exec_lo, exec_lo, s1
	s_and_saveexec_b32 s1, s0
; %bb.124:
	v_mov_b32_e32 v2, 0
	ds_store_b32 v15, v2 offset:6144
; %bb.125:
	s_or_b32 exec_lo, exec_lo, s1
	s_cmp_gt_u32 s3, s2
	s_wait_storecnt 0x0
	s_wait_loadcnt_dscnt 0x0
	s_cselect_b32 s1, -1, 0
	s_barrier_signal -1
	s_and_b32 vcc_lo, exec_lo, s1
	s_barrier_wait -1
	s_cbranch_vccz .LBB2033_151
; %bb.126:
	v_cmp_lt_i16_e32 vcc_lo, -1, v12
	s_sub_co_i32 s0, s3, s2
	s_add_co_i32 s4, s2, 8
	s_min_u32 s0, s0, 8
	s_mov_b32 s9, -1
	v_cndmask_b32_e64 v2, -1, 0xffff8000, vcc_lo
	s_lshl_b32 s0, -1, s0
	v_mov_b32_e32 v18, 1
	s_not_b32 s5, s0
	s_cmp_le_u32 s3, s4
	v_xor_b32_e32 v2, v2, v12
	s_cselect_b32 s8, -1, 0
	s_delay_alu instid0(VALU_DEP_1) | instskip(SKIP_2) | instid1(VALU_DEP_2)
	v_cmp_ne_u16_e32 vcc_lo, 0x7fff, v2
	v_cndmask_b32_e32 v2, 0xffff8000, v2, vcc_lo
	v_cmp_lt_i16_e32 vcc_lo, -1, v13
	v_and_b32_e32 v16, 0xffff, v2
	v_and_b32_e32 v2, 3, v0
	s_delay_alu instid0(VALU_DEP_1) | instskip(NEXT) | instid1(VALU_DEP_1)
	v_dual_lshrrev_b32 v17, s2, v16 :: v_dual_lshlrev_b32 v3, 2, v2
	v_bitop3_b32 v17, v17, s0, v17 bitop3:0x30
	s_delay_alu instid0(VALU_DEP_1) | instskip(SKIP_3) | instid1(VALU_DEP_1)
	v_lshl_or_b32 v17, v17, 4, v3
	ds_add_u32 v17, v18
	v_cndmask_b32_e64 v17, -1, 0xffff8000, vcc_lo
	s_and_b32 vcc_lo, exec_lo, s8
                                        ; implicit-def: $vgpr18
	v_xor_b32_e32 v17, v17, v13
	s_delay_alu instid0(VALU_DEP_1)
	v_cmp_ne_u16_e64 s0, 0x7fff, v17
	s_cbranch_vccz .LBB2033_128
; %bb.127:
	v_cndmask_b32_e64 v18, 0xffff8000, v17, s0
	s_mov_b32 s9, 0
	s_delay_alu instid0(VALU_DEP_1) | instskip(NEXT) | instid1(VALU_DEP_1)
	v_and_b32_e32 v18, 0xffff, v18
	v_lshrrev_b32_e32 v18, s2, v18
	s_delay_alu instid0(VALU_DEP_1) | instskip(NEXT) | instid1(VALU_DEP_1)
	v_and_b32_e32 v18, s5, v18
	v_lshlrev_b32_e32 v18, 4, v18
.LBB2033_128:
	s_and_not1_b32 vcc_lo, exec_lo, s9
	s_cbranch_vccnz .LBB2033_130
; %bb.129:
	v_cmp_ne_u16_e32 vcc_lo, 0x7fff, v17
	s_sub_co_i32 s0, s3, s4
	v_mov_b32_e32 v19, 1
	s_min_u32 s0, s0, 8
	v_cndmask_b32_e32 v17, 0xffff8000, v17, vcc_lo
	s_lshl_b32 s0, -1, s0
	s_delay_alu instid0(VALU_DEP_1) | instskip(NEXT) | instid1(VALU_DEP_1)
	v_and_b32_e32 v17, 0xffff, v17
	v_dual_lshrrev_b32 v16, s4, v16 :: v_dual_lshrrev_b32 v18, s2, v17
	s_delay_alu instid0(VALU_DEP_1) | instskip(NEXT) | instid1(VALU_DEP_2)
	v_bitop3_b32 v16, v16, s0, v16 bitop3:0x30
	v_and_b32_e32 v18, s5, v18
	s_delay_alu instid0(VALU_DEP_2) | instskip(NEXT) | instid1(VALU_DEP_2)
	v_lshl_or_b32 v16, v16, 4, v3
	v_lshl_or_b32 v18, v18, 4, v3
	ds_add_u32 v16, v19 offset:4096
	ds_add_u32 v18, v19
	v_lshrrev_b32_e32 v16, s4, v17
	s_delay_alu instid0(VALU_DEP_1) | instskip(NEXT) | instid1(VALU_DEP_1)
	v_bitop3_b32 v16, v16, s0, v16 bitop3:0x30
	v_lshl_add_u32 v18, v16, 4, 0x1000
.LBB2033_130:
	v_cmp_lt_i16_e32 vcc_lo, -1, v14
	s_mov_b32 s9, -1
	s_delay_alu instid0(VALU_DEP_2) | instskip(SKIP_1) | instid1(VALU_DEP_1)
	v_dual_mov_b32 v19, 1 :: v_dual_add_nc_u32 v18, v18, v3
	v_cndmask_b32_e64 v16, -1, 0xffff8000, vcc_lo
	v_xor_b32_e32 v16, v16, v14
	s_delay_alu instid0(VALU_DEP_1) | instskip(SKIP_2) | instid1(VALU_DEP_2)
	v_cmp_ne_u16_e32 vcc_lo, 0x7fff, v16
	v_cndmask_b32_e32 v16, 0xffff8000, v16, vcc_lo
	v_cmp_lt_i16_e32 vcc_lo, -1, v7
	v_and_b32_e32 v16, 0xffff, v16
	s_delay_alu instid0(VALU_DEP_1) | instskip(NEXT) | instid1(VALU_DEP_1)
	v_lshrrev_b32_e32 v17, s2, v16
	v_and_b32_e32 v17, s5, v17
	s_delay_alu instid0(VALU_DEP_1) | instskip(SKIP_4) | instid1(VALU_DEP_1)
	v_lshl_or_b32 v17, v17, 4, v3
	ds_add_u32 v18, v19
	ds_add_u32 v17, v19
	v_cndmask_b32_e64 v17, -1, 0xffff8000, vcc_lo
	s_and_b32 vcc_lo, exec_lo, s8
                                        ; implicit-def: $vgpr18
	v_xor_b32_e32 v17, v17, v7
	s_delay_alu instid0(VALU_DEP_1)
	v_cmp_ne_u16_e64 s0, 0x7fff, v17
	s_cbranch_vccz .LBB2033_132
; %bb.131:
	v_cndmask_b32_e64 v18, 0xffff8000, v17, s0
	s_mov_b32 s9, 0
	s_delay_alu instid0(VALU_DEP_1) | instskip(NEXT) | instid1(VALU_DEP_1)
	v_and_b32_e32 v18, 0xffff, v18
	v_lshrrev_b32_e32 v18, s2, v18
	s_delay_alu instid0(VALU_DEP_1) | instskip(NEXT) | instid1(VALU_DEP_1)
	v_and_b32_e32 v18, s5, v18
	v_lshlrev_b32_e32 v18, 4, v18
.LBB2033_132:
	s_and_not1_b32 vcc_lo, exec_lo, s9
	s_cbranch_vccnz .LBB2033_134
; %bb.133:
	v_cmp_ne_u16_e32 vcc_lo, 0x7fff, v17
	s_sub_co_i32 s0, s3, s4
	v_mov_b32_e32 v19, 1
	s_min_u32 s0, s0, 8
	v_cndmask_b32_e32 v17, 0xffff8000, v17, vcc_lo
	s_lshl_b32 s0, -1, s0
	s_delay_alu instid0(VALU_DEP_1) | instskip(NEXT) | instid1(VALU_DEP_1)
	v_and_b32_e32 v17, 0xffff, v17
	v_dual_lshrrev_b32 v16, s4, v16 :: v_dual_lshrrev_b32 v18, s2, v17
	s_delay_alu instid0(VALU_DEP_1) | instskip(NEXT) | instid1(VALU_DEP_2)
	v_bitop3_b32 v16, v16, s0, v16 bitop3:0x30
	v_and_b32_e32 v18, s5, v18
	s_delay_alu instid0(VALU_DEP_2) | instskip(NEXT) | instid1(VALU_DEP_2)
	v_lshl_or_b32 v16, v16, 4, v3
	v_lshl_or_b32 v18, v18, 4, v3
	ds_add_u32 v16, v19 offset:4096
	ds_add_u32 v18, v19
	v_lshrrev_b32_e32 v16, s4, v17
	s_delay_alu instid0(VALU_DEP_1) | instskip(NEXT) | instid1(VALU_DEP_1)
	v_bitop3_b32 v16, v16, s0, v16 bitop3:0x30
	v_lshl_add_u32 v18, v16, 4, 0x1000
.LBB2033_134:
	v_cmp_lt_i16_e32 vcc_lo, -1, v8
	s_mov_b32 s9, -1
	s_delay_alu instid0(VALU_DEP_2) | instskip(SKIP_1) | instid1(VALU_DEP_1)
	v_dual_mov_b32 v19, 1 :: v_dual_add_nc_u32 v18, v18, v3
	v_cndmask_b32_e64 v16, -1, 0xffff8000, vcc_lo
	v_xor_b32_e32 v16, v16, v8
	s_delay_alu instid0(VALU_DEP_1) | instskip(SKIP_2) | instid1(VALU_DEP_2)
	v_cmp_ne_u16_e32 vcc_lo, 0x7fff, v16
	v_cndmask_b32_e32 v16, 0xffff8000, v16, vcc_lo
	v_cmp_lt_i16_e32 vcc_lo, -1, v9
	v_and_b32_e32 v16, 0xffff, v16
	s_delay_alu instid0(VALU_DEP_1) | instskip(NEXT) | instid1(VALU_DEP_1)
	v_lshrrev_b32_e32 v17, s2, v16
	v_and_b32_e32 v17, s5, v17
	s_delay_alu instid0(VALU_DEP_1) | instskip(SKIP_4) | instid1(VALU_DEP_1)
	v_lshl_or_b32 v17, v17, 4, v3
	ds_add_u32 v18, v19
	;; [unrolled: 60-line block ×4, first 2 shown]
	ds_add_u32 v17, v19
	v_cndmask_b32_e64 v17, -1, 0xffff8000, vcc_lo
	s_and_b32 vcc_lo, exec_lo, s8
                                        ; implicit-def: $vgpr18
	v_xor_b32_e32 v17, v17, v6
	s_delay_alu instid0(VALU_DEP_1)
	v_cmp_ne_u16_e64 s0, 0x7fff, v17
	s_cbranch_vccz .LBB2033_144
; %bb.143:
	v_cndmask_b32_e64 v18, 0xffff8000, v17, s0
	s_mov_b32 s9, 0
	s_delay_alu instid0(VALU_DEP_1) | instskip(NEXT) | instid1(VALU_DEP_1)
	v_and_b32_e32 v18, 0xffff, v18
	v_lshrrev_b32_e32 v18, s2, v18
	s_delay_alu instid0(VALU_DEP_1) | instskip(NEXT) | instid1(VALU_DEP_1)
	v_and_b32_e32 v18, s5, v18
	v_lshlrev_b32_e32 v18, 4, v18
.LBB2033_144:
	s_and_not1_b32 vcc_lo, exec_lo, s9
	s_cbranch_vccnz .LBB2033_146
; %bb.145:
	v_cmp_ne_u16_e32 vcc_lo, 0x7fff, v17
	s_sub_co_i32 s0, s3, s4
	v_mov_b32_e32 v19, 1
	s_min_u32 s0, s0, 8
	v_cndmask_b32_e32 v17, 0xffff8000, v17, vcc_lo
	s_lshl_b32 s0, -1, s0
	s_delay_alu instid0(VALU_DEP_1) | instskip(NEXT) | instid1(VALU_DEP_1)
	v_and_b32_e32 v17, 0xffff, v17
	v_dual_lshrrev_b32 v16, s4, v16 :: v_dual_lshrrev_b32 v18, s2, v17
	s_delay_alu instid0(VALU_DEP_1) | instskip(NEXT) | instid1(VALU_DEP_2)
	v_bitop3_b32 v16, v16, s0, v16 bitop3:0x30
	v_and_b32_e32 v18, s5, v18
	s_delay_alu instid0(VALU_DEP_2) | instskip(NEXT) | instid1(VALU_DEP_2)
	v_lshl_or_b32 v16, v16, 4, v3
	v_lshl_or_b32 v18, v18, 4, v3
	ds_add_u32 v16, v19 offset:4096
	ds_add_u32 v18, v19
	v_lshrrev_b32_e32 v16, s4, v17
	s_delay_alu instid0(VALU_DEP_1) | instskip(NEXT) | instid1(VALU_DEP_1)
	v_bitop3_b32 v16, v16, s0, v16 bitop3:0x30
	v_lshl_add_u32 v18, v16, 4, 0x1000
.LBB2033_146:
	v_cmp_lt_i16_e32 vcc_lo, -1, v4
	s_delay_alu instid0(VALU_DEP_2) | instskip(SKIP_1) | instid1(VALU_DEP_1)
	v_dual_mov_b32 v19, 1 :: v_dual_add_nc_u32 v18, v18, v3
	v_cndmask_b32_e64 v16, -1, 0xffff8000, vcc_lo
	v_xor_b32_e32 v16, v16, v4
	s_delay_alu instid0(VALU_DEP_1) | instskip(SKIP_2) | instid1(VALU_DEP_2)
	v_cmp_ne_u16_e32 vcc_lo, 0x7fff, v16
	v_cndmask_b32_e32 v16, 0xffff8000, v16, vcc_lo
	v_cmp_lt_i16_e32 vcc_lo, -1, v1
	v_and_b32_e32 v16, 0xffff, v16
	s_delay_alu instid0(VALU_DEP_1) | instskip(NEXT) | instid1(VALU_DEP_1)
	v_lshrrev_b32_e32 v17, s2, v16
	v_and_b32_e32 v17, s5, v17
	s_delay_alu instid0(VALU_DEP_1)
	v_lshl_or_b32 v17, v17, 4, v3
	ds_add_u32 v18, v19
	ds_add_u32 v17, v19
	v_cndmask_b32_e64 v17, -1, 0xffff8000, vcc_lo
	s_and_b32 vcc_lo, exec_lo, s8
	s_mov_b32 s8, -1
                                        ; implicit-def: $vgpr18
	s_delay_alu instid0(VALU_DEP_1) | instskip(NEXT) | instid1(VALU_DEP_1)
	v_xor_b32_e32 v17, v17, v1
	v_cmp_ne_u16_e64 s0, 0x7fff, v17
	s_cbranch_vccz .LBB2033_148
; %bb.147:
	v_cndmask_b32_e64 v18, 0xffff8000, v17, s0
	s_mov_b32 s8, 0
	s_delay_alu instid0(VALU_DEP_1) | instskip(NEXT) | instid1(VALU_DEP_1)
	v_and_b32_e32 v18, 0xffff, v18
	v_lshrrev_b32_e32 v18, s2, v18
	s_delay_alu instid0(VALU_DEP_1) | instskip(NEXT) | instid1(VALU_DEP_1)
	v_and_b32_e32 v18, s5, v18
	v_lshlrev_b32_e32 v18, 4, v18
.LBB2033_148:
	s_and_not1_b32 vcc_lo, exec_lo, s8
	s_cbranch_vccnz .LBB2033_150
; %bb.149:
	v_cmp_ne_u16_e32 vcc_lo, 0x7fff, v17
	s_sub_co_i32 s0, s3, s4
	v_mov_b32_e32 v19, 1
	s_min_u32 s0, s0, 8
	v_cndmask_b32_e32 v17, 0xffff8000, v17, vcc_lo
	s_lshl_b32 s0, -1, s0
	s_delay_alu instid0(VALU_DEP_1) | instskip(NEXT) | instid1(VALU_DEP_1)
	v_and_b32_e32 v17, 0xffff, v17
	v_dual_lshrrev_b32 v16, s4, v16 :: v_dual_lshrrev_b32 v18, s2, v17
	s_delay_alu instid0(VALU_DEP_1) | instskip(NEXT) | instid1(VALU_DEP_2)
	v_bitop3_b32 v16, v16, s0, v16 bitop3:0x30
	v_and_b32_e32 v18, s5, v18
	s_delay_alu instid0(VALU_DEP_2) | instskip(NEXT) | instid1(VALU_DEP_2)
	v_lshl_or_b32 v16, v16, 4, v3
	v_lshl_or_b32 v3, v18, 4, v3
	ds_add_u32 v16, v19 offset:4096
	ds_add_u32 v3, v19
	v_lshrrev_b32_e32 v3, s4, v17
	s_delay_alu instid0(VALU_DEP_1) | instskip(NEXT) | instid1(VALU_DEP_1)
	v_bitop3_b32 v3, v3, s0, v3 bitop3:0x30
	v_lshl_add_u32 v18, v3, 4, 0x1000
.LBB2033_150:
	s_delay_alu instid0(VALU_DEP_1)
	v_lshl_add_u32 v2, v2, 2, v18
	v_mov_b32_e32 v3, 1
	ds_add_u32 v2, v3
.LBB2033_151:
	s_and_b32 vcc_lo, exec_lo, s1
	s_wait_dscnt 0x0
	s_barrier_signal -1
	s_barrier_wait -1
	s_cbranch_vccz .LBB2033_156
; %bb.152:
	v_dual_mov_b32 v3, 0 :: v_dual_lshlrev_b32 v16, 4, v0
	v_mov_b32_e32 v17, v0
	v_cmp_gt_u32_e32 vcc_lo, 0x100, v0
	s_branch .LBB2033_154
.LBB2033_153:                           ;   in Loop: Header=BB2033_154 Depth=1
	s_wait_xcnt 0x0
	s_or_b32 exec_lo, exec_lo, s0
	v_add_nc_u32_e32 v17, 0x100, v17
	v_add_nc_u32_e32 v16, 0x1000, v16
	s_add_co_i32 s2, s2, 8
	s_delay_alu instid0(SALU_CYCLE_1)
	s_cmp_ge_u32 s2, s3
	s_cbranch_scc1 .LBB2033_156
.LBB2033_154:                           ; =>This Inner Loop Header: Depth=1
	s_and_saveexec_b32 s0, vcc_lo
	s_cbranch_execz .LBB2033_153
; %bb.155:                              ;   in Loop: Header=BB2033_154 Depth=1
	ds_load_2addr_b32 v[18:19], v16 offset1:1
	ds_load_2addr_b32 v[20:21], v16 offset0:2 offset1:3
	s_wait_dscnt 0x1
	v_add_nc_u32_e32 v2, v19, v18
	s_wait_dscnt 0x0
	s_delay_alu instid0(VALU_DEP_1)
	v_add3_u32 v2, v2, v20, v21
	global_atomic_add_u64 v17, v[2:3], s[6:7] scale_offset scope:SCOPE_DEV
	s_branch .LBB2033_153
.LBB2033_156:
	s_mov_b32 s1, 0
.LBB2033_157:
	s_delay_alu instid0(SALU_CYCLE_1)
	s_and_b32 vcc_lo, exec_lo, s1
	s_cbranch_vccz .LBB2033_164
; %bb.158:
	v_mov_b32_e32 v2, 0
	v_cmp_gt_u32_e64 s0, 3, 2
	s_mov_b32 s1, exec_lo
	ds_store_2addr_stride64_b32 v15, v2, v2 offset1:8
	v_cmpx_gt_u32_e64 3, 1
; %bb.159:
	ds_store_b32 v15, v2 offset:4096
; %bb.160:
	s_or_b32 exec_lo, exec_lo, s1
	s_and_saveexec_b32 s1, s0
; %bb.161:
	v_mov_b32_e32 v2, 0
	ds_store_b32 v15, v2 offset:6144
; %bb.162:
	s_or_b32 exec_lo, exec_lo, s1
	s_wait_loadcnt 0xb
	v_cmp_lt_i16_e32 vcc_lo, -1, v12
	s_wait_storecnt 0x0
	s_wait_loadcnt_dscnt 0x0
	s_barrier_signal -1
	s_barrier_wait -1
	v_cndmask_b32_e64 v2, -1, 0xffff8000, vcc_lo
	v_cmp_lt_i16_e32 vcc_lo, -1, v13
	s_mov_b32 s0, exec_lo
	s_delay_alu instid0(VALU_DEP_2) | instskip(SKIP_2) | instid1(VALU_DEP_2)
	v_xor_b32_e32 v2, v2, v12
	v_cndmask_b32_e64 v3, -1, 0xffff8000, vcc_lo
	v_cmp_lt_i16_e32 vcc_lo, -1, v14
	v_xor_b32_e32 v3, v3, v13
	v_cndmask_b32_e64 v15, -1, 0xffff8000, vcc_lo
	v_cmp_lt_i16_e32 vcc_lo, -1, v7
	s_delay_alu instid0(VALU_DEP_2) | instskip(SKIP_2) | instid1(VALU_DEP_2)
	v_xor_b32_e32 v12, v15, v14
	v_cndmask_b32_e64 v13, -1, 0xffff8000, vcc_lo
	v_cmp_lt_i16_e32 vcc_lo, -1, v8
	v_xor_b32_e32 v7, v13, v7
	v_cndmask_b32_e64 v14, -1, 0xffff8000, vcc_lo
	v_cmp_lt_i16_e32 vcc_lo, -1, v9
	;; [unrolled: 7-line block ×3, first 2 shown]
	v_cndmask_b32_e64 v17, -1, 0xffff8000, vcc_lo
	v_cmp_lt_i16_e32 vcc_lo, -1, v5
	v_cndmask_b32_e64 v13, -1, 0xffff8000, vcc_lo
	v_cmp_lt_i16_e32 vcc_lo, -1, v6
	s_delay_alu instid0(VALU_DEP_2) | instskip(SKIP_2) | instid1(VALU_DEP_2)
	v_xor_b32_e32 v5, v13, v5
	v_and_b32_e32 v13, 3, v0
	v_cndmask_b32_e64 v14, -1, 0xffff8000, vcc_lo
	v_lshlrev_b32_e32 v13, 2, v13
	v_cmp_ne_u16_e32 vcc_lo, 0x7fff, v2
	s_delay_alu instid0(VALU_DEP_3) | instskip(SKIP_2) | instid1(VALU_DEP_2)
	v_xor_b32_e32 v6, v14, v6
	v_cndmask_b32_e32 v2, 0xffff8000, v2, vcc_lo
	v_cmp_lt_i16_e32 vcc_lo, -1, v4
	v_and_b32_e32 v2, 0xffff, v2
	v_cndmask_b32_e64 v15, -1, 0xffff8000, vcc_lo
	v_cmp_lt_i16_e32 vcc_lo, -1, v1
	s_delay_alu instid0(VALU_DEP_2) | instskip(SKIP_3) | instid1(VALU_DEP_3)
	v_xor_b32_e32 v4, v15, v4
	v_cndmask_b32_e64 v14, -1, 0xffff8000, vcc_lo
	v_lshlrev_b32_e32 v15, 4, v2
	v_cmp_ne_u16_e32 vcc_lo, 0x7fff, v3
	v_dual_lshrrev_b32 v2, 4, v2 :: v_dual_bitop2_b32 v1, v14, v1 bitop3:0x14
	s_delay_alu instid0(VALU_DEP_3)
	v_and_or_b32 v14, 0xff0, v15, v13
	v_cndmask_b32_e32 v3, 0xffff8000, v3, vcc_lo
	v_mov_b32_e32 v15, 1
	v_cmp_ne_u16_e32 vcc_lo, 0x7fff, v12
	v_and_or_b32 v2, 0xff0, v2, v13
	ds_add_u32 v14, v15
	ds_add_u32 v2, v15 offset:4096
	v_and_b32_e32 v3, 0xffff, v3
	v_cndmask_b32_e32 v12, 0xffff8000, v12, vcc_lo
	v_cmp_ne_u16_e32 vcc_lo, 0x7fff, v7
	s_delay_alu instid0(VALU_DEP_3) | instskip(NEXT) | instid1(VALU_DEP_3)
	v_lshlrev_b32_e32 v2, 4, v3
	v_and_b32_e32 v12, 0xffff, v12
	v_cndmask_b32_e32 v7, 0xffff8000, v7, vcc_lo
	v_dual_lshrrev_b32 v3, 4, v3 :: v_dual_bitop2_b32 v10, v16, v10 bitop3:0x14
	v_xor_b32_e32 v11, v17, v11
	v_and_or_b32 v2, 0xff0, v2, v13
	v_dual_lshlrev_b32 v14, 4, v12 :: v_dual_lshrrev_b32 v12, 4, v12
	v_and_b32_e32 v7, 0xffff, v7
	v_cmp_ne_u16_e32 vcc_lo, 0x7fff, v8
	v_and_or_b32 v3, 0xff0, v3, v13
	ds_add_u32 v2, v15
	ds_add_u32 v3, v15 offset:4096
	v_and_or_b32 v2, 0xff0, v14, v13
	v_and_or_b32 v3, 0xff0, v12, v13
	v_dual_lshlrev_b32 v12, 4, v7 :: v_dual_lshrrev_b32 v7, 4, v7
	v_cndmask_b32_e32 v8, 0xffff8000, v8, vcc_lo
	v_cmp_ne_u16_e32 vcc_lo, 0x7fff, v9
	ds_add_u32 v2, v15
	ds_add_u32 v3, v15 offset:4096
	v_and_or_b32 v2, 0xff0, v12, v13
	v_and_or_b32 v3, 0xff0, v7, v13
	v_and_b32_e32 v7, 0xffff, v8
	v_cndmask_b32_e32 v8, 0xffff8000, v9, vcc_lo
	ds_add_u32 v2, v15
	ds_add_u32 v3, v15 offset:4096
	v_cmp_ne_u16_e32 vcc_lo, 0x7fff, v10
	v_dual_lshlrev_b32 v2, 4, v7 :: v_dual_lshrrev_b32 v3, 4, v7
	v_and_b32_e32 v7, 0xffff, v8
	v_cndmask_b32_e32 v8, 0xffff8000, v10, vcc_lo
	s_delay_alu instid0(VALU_DEP_3) | instskip(SKIP_1) | instid1(VALU_DEP_4)
	v_and_or_b32 v2, 0xff0, v2, v13
	v_cmp_ne_u16_e32 vcc_lo, 0x7fff, v11
	v_lshlrev_b32_e32 v9, 4, v7
	v_and_or_b32 v3, 0xff0, v3, v13
	v_lshrrev_b32_e32 v7, 4, v7
	v_and_b32_e32 v8, 0xffff, v8
	ds_add_u32 v2, v15
	ds_add_u32 v3, v15 offset:4096
	v_and_or_b32 v2, 0xff0, v9, v13
	v_cndmask_b32_e32 v9, 0xffff8000, v11, vcc_lo
	v_cmp_ne_u16_e32 vcc_lo, 0x7fff, v5
	v_and_or_b32 v3, 0xff0, v7, v13
	ds_add_u32 v2, v15
	ds_add_u32 v3, v15 offset:4096
	v_cndmask_b32_e32 v5, 0xffff8000, v5, vcc_lo
	v_cmp_ne_u16_e32 vcc_lo, 0x7fff, v6
	v_dual_lshlrev_b32 v7, 4, v8 :: v_dual_lshrrev_b32 v8, 4, v8
	v_cndmask_b32_e32 v6, 0xffff8000, v6, vcc_lo
	s_delay_alu instid0(VALU_DEP_2) | instskip(SKIP_1) | instid1(VALU_DEP_4)
	v_and_or_b32 v2, 0xff0, v7, v13
	v_and_b32_e32 v7, 0xffff, v9
	v_and_or_b32 v3, 0xff0, v8, v13
	ds_add_u32 v2, v15
	ds_add_u32 v3, v15 offset:4096
	v_lshlrev_b32_e32 v2, 4, v7
	v_and_b32_e32 v5, 0xffff, v5
	v_lshrrev_b32_e32 v3, 4, v7
	v_cmp_ne_u16_e32 vcc_lo, 0x7fff, v4
	v_and_b32_e32 v6, 0xffff, v6
	v_and_or_b32 v2, 0xff0, v2, v13
	v_lshlrev_b32_e32 v7, 4, v5
	v_and_or_b32 v3, 0xff0, v3, v13
	v_dual_cndmask_b32 v4, 0xffff8000, v4 :: v_dual_lshrrev_b32 v5, 4, v5
	v_cmp_ne_u16_e32 vcc_lo, 0x7fff, v1
	ds_add_u32 v2, v15
	ds_add_u32 v3, v15 offset:4096
	v_and_or_b32 v2, 0xff0, v7, v13
	v_and_or_b32 v3, 0xff0, v5, v13
	v_lshlrev_b32_e32 v5, 4, v6
	v_cndmask_b32_e32 v1, 0xffff8000, v1, vcc_lo
	ds_add_u32 v2, v15
	ds_add_u32 v3, v15 offset:4096
	v_lshrrev_b32_e32 v3, 4, v6
	v_and_b32_e32 v2, 0xffff, v4
	v_and_or_b32 v5, 0xff0, v5, v13
	v_and_b32_e32 v1, 0xffff, v1
	s_delay_alu instid0(VALU_DEP_4) | instskip(NEXT) | instid1(VALU_DEP_4)
	v_and_or_b32 v3, 0xff0, v3, v13
	v_dual_lshlrev_b32 v4, 4, v2 :: v_dual_lshrrev_b32 v2, 4, v2
	ds_add_u32 v5, v15
	v_dual_lshlrev_b32 v5, 4, v1 :: v_dual_lshrrev_b32 v1, 4, v1
	v_and_or_b32 v4, 0xff0, v4, v13
	v_and_or_b32 v2, 0xff0, v2, v13
	s_delay_alu instid0(VALU_DEP_3) | instskip(NEXT) | instid1(VALU_DEP_4)
	v_and_or_b32 v5, 0xff0, v5, v13
	v_and_or_b32 v1, 0xff0, v1, v13
	ds_add_u32 v3, v15 offset:4096
	ds_add_u32 v4, v15
	ds_add_u32 v2, v15 offset:4096
	ds_add_u32 v5, v15
	ds_add_u32 v1, v15 offset:4096
	s_wait_dscnt 0x0
	s_barrier_signal -1
	s_barrier_wait -1
	v_cmpx_gt_u32_e32 0x100, v0
	s_cbranch_execz .LBB2033_164
; %bb.163:
	v_lshlrev_b32_e32 v1, 4, v0
	ds_load_2addr_b32 v[2:3], v1 offset1:1
	ds_load_2addr_b32 v[4:5], v1 offset0:2 offset1:3
	s_wait_dscnt 0x1
	v_dual_mov_b32 v3, 0 :: v_dual_add_nc_u32 v2, v3, v2
	s_wait_dscnt 0x0
	s_delay_alu instid0(VALU_DEP_1)
	v_add3_u32 v2, v2, v4, v5
	v_add_nc_u32_e32 v4, 0x1000, v1
	v_add_nc_u32_e32 v1, 0x1008, v1
	global_atomic_add_u64 v0, v[2:3], s[6:7] scale_offset scope:SCOPE_DEV
	ds_load_2addr_b32 v[4:5], v4 offset1:1
	ds_load_2addr_b32 v[6:7], v1 offset1:1
	s_wait_dscnt 0x1
	v_add_nc_u32_e32 v1, v5, v4
	s_wait_dscnt 0x0
	s_wait_xcnt 0x0
	s_delay_alu instid0(VALU_DEP_1)
	v_add3_u32 v2, v1, v6, v7
	global_atomic_add_u64 v0, v[2:3], s[6:7] offset:2048 scale_offset scope:SCOPE_DEV
.LBB2033_164:
	s_endpgm
	.section	.rodata,"a",@progbits
	.p2align	6, 0x0
	.amdhsa_kernel _ZN7rocprim17ROCPRIM_400000_NS6detail17trampoline_kernelINS0_14default_configENS1_35radix_sort_onesweep_config_selectorI12hip_bfloat16NS0_10empty_typeEEEZNS1_34radix_sort_onesweep_global_offsetsIS3_Lb0EPKS5_PS6_mNS0_19identity_decomposerEEE10hipError_tT1_T2_PT3_SG_jT4_jjP12ihipStream_tbEUlT_E_NS1_11comp_targetILNS1_3genE0ELNS1_11target_archE4294967295ELNS1_3gpuE0ELNS1_3repE0EEENS1_52radix_sort_onesweep_histogram_config_static_selectorELNS0_4arch9wavefront6targetE0EEEvSE_
		.amdhsa_group_segment_fixed_size 8192
		.amdhsa_private_segment_fixed_size 0
		.amdhsa_kernarg_size 48
		.amdhsa_user_sgpr_count 2
		.amdhsa_user_sgpr_dispatch_ptr 0
		.amdhsa_user_sgpr_queue_ptr 0
		.amdhsa_user_sgpr_kernarg_segment_ptr 1
		.amdhsa_user_sgpr_dispatch_id 0
		.amdhsa_user_sgpr_kernarg_preload_length 0
		.amdhsa_user_sgpr_kernarg_preload_offset 0
		.amdhsa_user_sgpr_private_segment_size 0
		.amdhsa_wavefront_size32 1
		.amdhsa_uses_dynamic_stack 0
		.amdhsa_enable_private_segment 0
		.amdhsa_system_sgpr_workgroup_id_x 1
		.amdhsa_system_sgpr_workgroup_id_y 0
		.amdhsa_system_sgpr_workgroup_id_z 0
		.amdhsa_system_sgpr_workgroup_info 0
		.amdhsa_system_vgpr_workitem_id 0
		.amdhsa_next_free_vgpr 28
		.amdhsa_next_free_sgpr 13
		.amdhsa_named_barrier_count 0
		.amdhsa_reserve_vcc 1
		.amdhsa_float_round_mode_32 0
		.amdhsa_float_round_mode_16_64 0
		.amdhsa_float_denorm_mode_32 3
		.amdhsa_float_denorm_mode_16_64 3
		.amdhsa_fp16_overflow 0
		.amdhsa_memory_ordered 1
		.amdhsa_forward_progress 1
		.amdhsa_inst_pref_size 68
		.amdhsa_round_robin_scheduling 0
		.amdhsa_exception_fp_ieee_invalid_op 0
		.amdhsa_exception_fp_denorm_src 0
		.amdhsa_exception_fp_ieee_div_zero 0
		.amdhsa_exception_fp_ieee_overflow 0
		.amdhsa_exception_fp_ieee_underflow 0
		.amdhsa_exception_fp_ieee_inexact 0
		.amdhsa_exception_int_div_zero 0
	.end_amdhsa_kernel
	.section	.text._ZN7rocprim17ROCPRIM_400000_NS6detail17trampoline_kernelINS0_14default_configENS1_35radix_sort_onesweep_config_selectorI12hip_bfloat16NS0_10empty_typeEEEZNS1_34radix_sort_onesweep_global_offsetsIS3_Lb0EPKS5_PS6_mNS0_19identity_decomposerEEE10hipError_tT1_T2_PT3_SG_jT4_jjP12ihipStream_tbEUlT_E_NS1_11comp_targetILNS1_3genE0ELNS1_11target_archE4294967295ELNS1_3gpuE0ELNS1_3repE0EEENS1_52radix_sort_onesweep_histogram_config_static_selectorELNS0_4arch9wavefront6targetE0EEEvSE_,"axG",@progbits,_ZN7rocprim17ROCPRIM_400000_NS6detail17trampoline_kernelINS0_14default_configENS1_35radix_sort_onesweep_config_selectorI12hip_bfloat16NS0_10empty_typeEEEZNS1_34radix_sort_onesweep_global_offsetsIS3_Lb0EPKS5_PS6_mNS0_19identity_decomposerEEE10hipError_tT1_T2_PT3_SG_jT4_jjP12ihipStream_tbEUlT_E_NS1_11comp_targetILNS1_3genE0ELNS1_11target_archE4294967295ELNS1_3gpuE0ELNS1_3repE0EEENS1_52radix_sort_onesweep_histogram_config_static_selectorELNS0_4arch9wavefront6targetE0EEEvSE_,comdat
.Lfunc_end2033:
	.size	_ZN7rocprim17ROCPRIM_400000_NS6detail17trampoline_kernelINS0_14default_configENS1_35radix_sort_onesweep_config_selectorI12hip_bfloat16NS0_10empty_typeEEEZNS1_34radix_sort_onesweep_global_offsetsIS3_Lb0EPKS5_PS6_mNS0_19identity_decomposerEEE10hipError_tT1_T2_PT3_SG_jT4_jjP12ihipStream_tbEUlT_E_NS1_11comp_targetILNS1_3genE0ELNS1_11target_archE4294967295ELNS1_3gpuE0ELNS1_3repE0EEENS1_52radix_sort_onesweep_histogram_config_static_selectorELNS0_4arch9wavefront6targetE0EEEvSE_, .Lfunc_end2033-_ZN7rocprim17ROCPRIM_400000_NS6detail17trampoline_kernelINS0_14default_configENS1_35radix_sort_onesweep_config_selectorI12hip_bfloat16NS0_10empty_typeEEEZNS1_34radix_sort_onesweep_global_offsetsIS3_Lb0EPKS5_PS6_mNS0_19identity_decomposerEEE10hipError_tT1_T2_PT3_SG_jT4_jjP12ihipStream_tbEUlT_E_NS1_11comp_targetILNS1_3genE0ELNS1_11target_archE4294967295ELNS1_3gpuE0ELNS1_3repE0EEENS1_52radix_sort_onesweep_histogram_config_static_selectorELNS0_4arch9wavefront6targetE0EEEvSE_
                                        ; -- End function
	.set _ZN7rocprim17ROCPRIM_400000_NS6detail17trampoline_kernelINS0_14default_configENS1_35radix_sort_onesweep_config_selectorI12hip_bfloat16NS0_10empty_typeEEEZNS1_34radix_sort_onesweep_global_offsetsIS3_Lb0EPKS5_PS6_mNS0_19identity_decomposerEEE10hipError_tT1_T2_PT3_SG_jT4_jjP12ihipStream_tbEUlT_E_NS1_11comp_targetILNS1_3genE0ELNS1_11target_archE4294967295ELNS1_3gpuE0ELNS1_3repE0EEENS1_52radix_sort_onesweep_histogram_config_static_selectorELNS0_4arch9wavefront6targetE0EEEvSE_.num_vgpr, 28
	.set _ZN7rocprim17ROCPRIM_400000_NS6detail17trampoline_kernelINS0_14default_configENS1_35radix_sort_onesweep_config_selectorI12hip_bfloat16NS0_10empty_typeEEEZNS1_34radix_sort_onesweep_global_offsetsIS3_Lb0EPKS5_PS6_mNS0_19identity_decomposerEEE10hipError_tT1_T2_PT3_SG_jT4_jjP12ihipStream_tbEUlT_E_NS1_11comp_targetILNS1_3genE0ELNS1_11target_archE4294967295ELNS1_3gpuE0ELNS1_3repE0EEENS1_52radix_sort_onesweep_histogram_config_static_selectorELNS0_4arch9wavefront6targetE0EEEvSE_.num_agpr, 0
	.set _ZN7rocprim17ROCPRIM_400000_NS6detail17trampoline_kernelINS0_14default_configENS1_35radix_sort_onesweep_config_selectorI12hip_bfloat16NS0_10empty_typeEEEZNS1_34radix_sort_onesweep_global_offsetsIS3_Lb0EPKS5_PS6_mNS0_19identity_decomposerEEE10hipError_tT1_T2_PT3_SG_jT4_jjP12ihipStream_tbEUlT_E_NS1_11comp_targetILNS1_3genE0ELNS1_11target_archE4294967295ELNS1_3gpuE0ELNS1_3repE0EEENS1_52radix_sort_onesweep_histogram_config_static_selectorELNS0_4arch9wavefront6targetE0EEEvSE_.numbered_sgpr, 13
	.set _ZN7rocprim17ROCPRIM_400000_NS6detail17trampoline_kernelINS0_14default_configENS1_35radix_sort_onesweep_config_selectorI12hip_bfloat16NS0_10empty_typeEEEZNS1_34radix_sort_onesweep_global_offsetsIS3_Lb0EPKS5_PS6_mNS0_19identity_decomposerEEE10hipError_tT1_T2_PT3_SG_jT4_jjP12ihipStream_tbEUlT_E_NS1_11comp_targetILNS1_3genE0ELNS1_11target_archE4294967295ELNS1_3gpuE0ELNS1_3repE0EEENS1_52radix_sort_onesweep_histogram_config_static_selectorELNS0_4arch9wavefront6targetE0EEEvSE_.num_named_barrier, 0
	.set _ZN7rocprim17ROCPRIM_400000_NS6detail17trampoline_kernelINS0_14default_configENS1_35radix_sort_onesweep_config_selectorI12hip_bfloat16NS0_10empty_typeEEEZNS1_34radix_sort_onesweep_global_offsetsIS3_Lb0EPKS5_PS6_mNS0_19identity_decomposerEEE10hipError_tT1_T2_PT3_SG_jT4_jjP12ihipStream_tbEUlT_E_NS1_11comp_targetILNS1_3genE0ELNS1_11target_archE4294967295ELNS1_3gpuE0ELNS1_3repE0EEENS1_52radix_sort_onesweep_histogram_config_static_selectorELNS0_4arch9wavefront6targetE0EEEvSE_.private_seg_size, 0
	.set _ZN7rocprim17ROCPRIM_400000_NS6detail17trampoline_kernelINS0_14default_configENS1_35radix_sort_onesweep_config_selectorI12hip_bfloat16NS0_10empty_typeEEEZNS1_34radix_sort_onesweep_global_offsetsIS3_Lb0EPKS5_PS6_mNS0_19identity_decomposerEEE10hipError_tT1_T2_PT3_SG_jT4_jjP12ihipStream_tbEUlT_E_NS1_11comp_targetILNS1_3genE0ELNS1_11target_archE4294967295ELNS1_3gpuE0ELNS1_3repE0EEENS1_52radix_sort_onesweep_histogram_config_static_selectorELNS0_4arch9wavefront6targetE0EEEvSE_.uses_vcc, 1
	.set _ZN7rocprim17ROCPRIM_400000_NS6detail17trampoline_kernelINS0_14default_configENS1_35radix_sort_onesweep_config_selectorI12hip_bfloat16NS0_10empty_typeEEEZNS1_34radix_sort_onesweep_global_offsetsIS3_Lb0EPKS5_PS6_mNS0_19identity_decomposerEEE10hipError_tT1_T2_PT3_SG_jT4_jjP12ihipStream_tbEUlT_E_NS1_11comp_targetILNS1_3genE0ELNS1_11target_archE4294967295ELNS1_3gpuE0ELNS1_3repE0EEENS1_52radix_sort_onesweep_histogram_config_static_selectorELNS0_4arch9wavefront6targetE0EEEvSE_.uses_flat_scratch, 0
	.set _ZN7rocprim17ROCPRIM_400000_NS6detail17trampoline_kernelINS0_14default_configENS1_35radix_sort_onesweep_config_selectorI12hip_bfloat16NS0_10empty_typeEEEZNS1_34radix_sort_onesweep_global_offsetsIS3_Lb0EPKS5_PS6_mNS0_19identity_decomposerEEE10hipError_tT1_T2_PT3_SG_jT4_jjP12ihipStream_tbEUlT_E_NS1_11comp_targetILNS1_3genE0ELNS1_11target_archE4294967295ELNS1_3gpuE0ELNS1_3repE0EEENS1_52radix_sort_onesweep_histogram_config_static_selectorELNS0_4arch9wavefront6targetE0EEEvSE_.has_dyn_sized_stack, 0
	.set _ZN7rocprim17ROCPRIM_400000_NS6detail17trampoline_kernelINS0_14default_configENS1_35radix_sort_onesweep_config_selectorI12hip_bfloat16NS0_10empty_typeEEEZNS1_34radix_sort_onesweep_global_offsetsIS3_Lb0EPKS5_PS6_mNS0_19identity_decomposerEEE10hipError_tT1_T2_PT3_SG_jT4_jjP12ihipStream_tbEUlT_E_NS1_11comp_targetILNS1_3genE0ELNS1_11target_archE4294967295ELNS1_3gpuE0ELNS1_3repE0EEENS1_52radix_sort_onesweep_histogram_config_static_selectorELNS0_4arch9wavefront6targetE0EEEvSE_.has_recursion, 0
	.set _ZN7rocprim17ROCPRIM_400000_NS6detail17trampoline_kernelINS0_14default_configENS1_35radix_sort_onesweep_config_selectorI12hip_bfloat16NS0_10empty_typeEEEZNS1_34radix_sort_onesweep_global_offsetsIS3_Lb0EPKS5_PS6_mNS0_19identity_decomposerEEE10hipError_tT1_T2_PT3_SG_jT4_jjP12ihipStream_tbEUlT_E_NS1_11comp_targetILNS1_3genE0ELNS1_11target_archE4294967295ELNS1_3gpuE0ELNS1_3repE0EEENS1_52radix_sort_onesweep_histogram_config_static_selectorELNS0_4arch9wavefront6targetE0EEEvSE_.has_indirect_call, 0
	.section	.AMDGPU.csdata,"",@progbits
; Kernel info:
; codeLenInByte = 8668
; TotalNumSgprs: 15
; NumVgprs: 28
; ScratchSize: 0
; MemoryBound: 0
; FloatMode: 240
; IeeeMode: 1
; LDSByteSize: 8192 bytes/workgroup (compile time only)
; SGPRBlocks: 0
; VGPRBlocks: 1
; NumSGPRsForWavesPerEU: 15
; NumVGPRsForWavesPerEU: 28
; NamedBarCnt: 0
; Occupancy: 16
; WaveLimiterHint : 1
; COMPUTE_PGM_RSRC2:SCRATCH_EN: 0
; COMPUTE_PGM_RSRC2:USER_SGPR: 2
; COMPUTE_PGM_RSRC2:TRAP_HANDLER: 0
; COMPUTE_PGM_RSRC2:TGID_X_EN: 1
; COMPUTE_PGM_RSRC2:TGID_Y_EN: 0
; COMPUTE_PGM_RSRC2:TGID_Z_EN: 0
; COMPUTE_PGM_RSRC2:TIDIG_COMP_CNT: 0
	.section	.text._ZN7rocprim17ROCPRIM_400000_NS6detail17trampoline_kernelINS0_14default_configENS1_35radix_sort_onesweep_config_selectorI12hip_bfloat16NS0_10empty_typeEEEZNS1_34radix_sort_onesweep_global_offsetsIS3_Lb0EPKS5_PS6_mNS0_19identity_decomposerEEE10hipError_tT1_T2_PT3_SG_jT4_jjP12ihipStream_tbEUlT_E_NS1_11comp_targetILNS1_3genE6ELNS1_11target_archE950ELNS1_3gpuE13ELNS1_3repE0EEENS1_52radix_sort_onesweep_histogram_config_static_selectorELNS0_4arch9wavefront6targetE0EEEvSE_,"axG",@progbits,_ZN7rocprim17ROCPRIM_400000_NS6detail17trampoline_kernelINS0_14default_configENS1_35radix_sort_onesweep_config_selectorI12hip_bfloat16NS0_10empty_typeEEEZNS1_34radix_sort_onesweep_global_offsetsIS3_Lb0EPKS5_PS6_mNS0_19identity_decomposerEEE10hipError_tT1_T2_PT3_SG_jT4_jjP12ihipStream_tbEUlT_E_NS1_11comp_targetILNS1_3genE6ELNS1_11target_archE950ELNS1_3gpuE13ELNS1_3repE0EEENS1_52radix_sort_onesweep_histogram_config_static_selectorELNS0_4arch9wavefront6targetE0EEEvSE_,comdat
	.protected	_ZN7rocprim17ROCPRIM_400000_NS6detail17trampoline_kernelINS0_14default_configENS1_35radix_sort_onesweep_config_selectorI12hip_bfloat16NS0_10empty_typeEEEZNS1_34radix_sort_onesweep_global_offsetsIS3_Lb0EPKS5_PS6_mNS0_19identity_decomposerEEE10hipError_tT1_T2_PT3_SG_jT4_jjP12ihipStream_tbEUlT_E_NS1_11comp_targetILNS1_3genE6ELNS1_11target_archE950ELNS1_3gpuE13ELNS1_3repE0EEENS1_52radix_sort_onesweep_histogram_config_static_selectorELNS0_4arch9wavefront6targetE0EEEvSE_ ; -- Begin function _ZN7rocprim17ROCPRIM_400000_NS6detail17trampoline_kernelINS0_14default_configENS1_35radix_sort_onesweep_config_selectorI12hip_bfloat16NS0_10empty_typeEEEZNS1_34radix_sort_onesweep_global_offsetsIS3_Lb0EPKS5_PS6_mNS0_19identity_decomposerEEE10hipError_tT1_T2_PT3_SG_jT4_jjP12ihipStream_tbEUlT_E_NS1_11comp_targetILNS1_3genE6ELNS1_11target_archE950ELNS1_3gpuE13ELNS1_3repE0EEENS1_52radix_sort_onesweep_histogram_config_static_selectorELNS0_4arch9wavefront6targetE0EEEvSE_
	.globl	_ZN7rocprim17ROCPRIM_400000_NS6detail17trampoline_kernelINS0_14default_configENS1_35radix_sort_onesweep_config_selectorI12hip_bfloat16NS0_10empty_typeEEEZNS1_34radix_sort_onesweep_global_offsetsIS3_Lb0EPKS5_PS6_mNS0_19identity_decomposerEEE10hipError_tT1_T2_PT3_SG_jT4_jjP12ihipStream_tbEUlT_E_NS1_11comp_targetILNS1_3genE6ELNS1_11target_archE950ELNS1_3gpuE13ELNS1_3repE0EEENS1_52radix_sort_onesweep_histogram_config_static_selectorELNS0_4arch9wavefront6targetE0EEEvSE_
	.p2align	8
	.type	_ZN7rocprim17ROCPRIM_400000_NS6detail17trampoline_kernelINS0_14default_configENS1_35radix_sort_onesweep_config_selectorI12hip_bfloat16NS0_10empty_typeEEEZNS1_34radix_sort_onesweep_global_offsetsIS3_Lb0EPKS5_PS6_mNS0_19identity_decomposerEEE10hipError_tT1_T2_PT3_SG_jT4_jjP12ihipStream_tbEUlT_E_NS1_11comp_targetILNS1_3genE6ELNS1_11target_archE950ELNS1_3gpuE13ELNS1_3repE0EEENS1_52radix_sort_onesweep_histogram_config_static_selectorELNS0_4arch9wavefront6targetE0EEEvSE_,@function
_ZN7rocprim17ROCPRIM_400000_NS6detail17trampoline_kernelINS0_14default_configENS1_35radix_sort_onesweep_config_selectorI12hip_bfloat16NS0_10empty_typeEEEZNS1_34radix_sort_onesweep_global_offsetsIS3_Lb0EPKS5_PS6_mNS0_19identity_decomposerEEE10hipError_tT1_T2_PT3_SG_jT4_jjP12ihipStream_tbEUlT_E_NS1_11comp_targetILNS1_3genE6ELNS1_11target_archE950ELNS1_3gpuE13ELNS1_3repE0EEENS1_52radix_sort_onesweep_histogram_config_static_selectorELNS0_4arch9wavefront6targetE0EEEvSE_: ; @_ZN7rocprim17ROCPRIM_400000_NS6detail17trampoline_kernelINS0_14default_configENS1_35radix_sort_onesweep_config_selectorI12hip_bfloat16NS0_10empty_typeEEEZNS1_34radix_sort_onesweep_global_offsetsIS3_Lb0EPKS5_PS6_mNS0_19identity_decomposerEEE10hipError_tT1_T2_PT3_SG_jT4_jjP12ihipStream_tbEUlT_E_NS1_11comp_targetILNS1_3genE6ELNS1_11target_archE950ELNS1_3gpuE13ELNS1_3repE0EEENS1_52radix_sort_onesweep_histogram_config_static_selectorELNS0_4arch9wavefront6targetE0EEEvSE_
; %bb.0:
	.section	.rodata,"a",@progbits
	.p2align	6, 0x0
	.amdhsa_kernel _ZN7rocprim17ROCPRIM_400000_NS6detail17trampoline_kernelINS0_14default_configENS1_35radix_sort_onesweep_config_selectorI12hip_bfloat16NS0_10empty_typeEEEZNS1_34radix_sort_onesweep_global_offsetsIS3_Lb0EPKS5_PS6_mNS0_19identity_decomposerEEE10hipError_tT1_T2_PT3_SG_jT4_jjP12ihipStream_tbEUlT_E_NS1_11comp_targetILNS1_3genE6ELNS1_11target_archE950ELNS1_3gpuE13ELNS1_3repE0EEENS1_52radix_sort_onesweep_histogram_config_static_selectorELNS0_4arch9wavefront6targetE0EEEvSE_
		.amdhsa_group_segment_fixed_size 0
		.amdhsa_private_segment_fixed_size 0
		.amdhsa_kernarg_size 48
		.amdhsa_user_sgpr_count 2
		.amdhsa_user_sgpr_dispatch_ptr 0
		.amdhsa_user_sgpr_queue_ptr 0
		.amdhsa_user_sgpr_kernarg_segment_ptr 1
		.amdhsa_user_sgpr_dispatch_id 0
		.amdhsa_user_sgpr_kernarg_preload_length 0
		.amdhsa_user_sgpr_kernarg_preload_offset 0
		.amdhsa_user_sgpr_private_segment_size 0
		.amdhsa_wavefront_size32 1
		.amdhsa_uses_dynamic_stack 0
		.amdhsa_enable_private_segment 0
		.amdhsa_system_sgpr_workgroup_id_x 1
		.amdhsa_system_sgpr_workgroup_id_y 0
		.amdhsa_system_sgpr_workgroup_id_z 0
		.amdhsa_system_sgpr_workgroup_info 0
		.amdhsa_system_vgpr_workitem_id 0
		.amdhsa_next_free_vgpr 1
		.amdhsa_next_free_sgpr 1
		.amdhsa_named_barrier_count 0
		.amdhsa_reserve_vcc 0
		.amdhsa_float_round_mode_32 0
		.amdhsa_float_round_mode_16_64 0
		.amdhsa_float_denorm_mode_32 3
		.amdhsa_float_denorm_mode_16_64 3
		.amdhsa_fp16_overflow 0
		.amdhsa_memory_ordered 1
		.amdhsa_forward_progress 1
		.amdhsa_inst_pref_size 0
		.amdhsa_round_robin_scheduling 0
		.amdhsa_exception_fp_ieee_invalid_op 0
		.amdhsa_exception_fp_denorm_src 0
		.amdhsa_exception_fp_ieee_div_zero 0
		.amdhsa_exception_fp_ieee_overflow 0
		.amdhsa_exception_fp_ieee_underflow 0
		.amdhsa_exception_fp_ieee_inexact 0
		.amdhsa_exception_int_div_zero 0
	.end_amdhsa_kernel
	.section	.text._ZN7rocprim17ROCPRIM_400000_NS6detail17trampoline_kernelINS0_14default_configENS1_35radix_sort_onesweep_config_selectorI12hip_bfloat16NS0_10empty_typeEEEZNS1_34radix_sort_onesweep_global_offsetsIS3_Lb0EPKS5_PS6_mNS0_19identity_decomposerEEE10hipError_tT1_T2_PT3_SG_jT4_jjP12ihipStream_tbEUlT_E_NS1_11comp_targetILNS1_3genE6ELNS1_11target_archE950ELNS1_3gpuE13ELNS1_3repE0EEENS1_52radix_sort_onesweep_histogram_config_static_selectorELNS0_4arch9wavefront6targetE0EEEvSE_,"axG",@progbits,_ZN7rocprim17ROCPRIM_400000_NS6detail17trampoline_kernelINS0_14default_configENS1_35radix_sort_onesweep_config_selectorI12hip_bfloat16NS0_10empty_typeEEEZNS1_34radix_sort_onesweep_global_offsetsIS3_Lb0EPKS5_PS6_mNS0_19identity_decomposerEEE10hipError_tT1_T2_PT3_SG_jT4_jjP12ihipStream_tbEUlT_E_NS1_11comp_targetILNS1_3genE6ELNS1_11target_archE950ELNS1_3gpuE13ELNS1_3repE0EEENS1_52radix_sort_onesweep_histogram_config_static_selectorELNS0_4arch9wavefront6targetE0EEEvSE_,comdat
.Lfunc_end2034:
	.size	_ZN7rocprim17ROCPRIM_400000_NS6detail17trampoline_kernelINS0_14default_configENS1_35radix_sort_onesweep_config_selectorI12hip_bfloat16NS0_10empty_typeEEEZNS1_34radix_sort_onesweep_global_offsetsIS3_Lb0EPKS5_PS6_mNS0_19identity_decomposerEEE10hipError_tT1_T2_PT3_SG_jT4_jjP12ihipStream_tbEUlT_E_NS1_11comp_targetILNS1_3genE6ELNS1_11target_archE950ELNS1_3gpuE13ELNS1_3repE0EEENS1_52radix_sort_onesweep_histogram_config_static_selectorELNS0_4arch9wavefront6targetE0EEEvSE_, .Lfunc_end2034-_ZN7rocprim17ROCPRIM_400000_NS6detail17trampoline_kernelINS0_14default_configENS1_35radix_sort_onesweep_config_selectorI12hip_bfloat16NS0_10empty_typeEEEZNS1_34radix_sort_onesweep_global_offsetsIS3_Lb0EPKS5_PS6_mNS0_19identity_decomposerEEE10hipError_tT1_T2_PT3_SG_jT4_jjP12ihipStream_tbEUlT_E_NS1_11comp_targetILNS1_3genE6ELNS1_11target_archE950ELNS1_3gpuE13ELNS1_3repE0EEENS1_52radix_sort_onesweep_histogram_config_static_selectorELNS0_4arch9wavefront6targetE0EEEvSE_
                                        ; -- End function
	.set _ZN7rocprim17ROCPRIM_400000_NS6detail17trampoline_kernelINS0_14default_configENS1_35radix_sort_onesweep_config_selectorI12hip_bfloat16NS0_10empty_typeEEEZNS1_34radix_sort_onesweep_global_offsetsIS3_Lb0EPKS5_PS6_mNS0_19identity_decomposerEEE10hipError_tT1_T2_PT3_SG_jT4_jjP12ihipStream_tbEUlT_E_NS1_11comp_targetILNS1_3genE6ELNS1_11target_archE950ELNS1_3gpuE13ELNS1_3repE0EEENS1_52radix_sort_onesweep_histogram_config_static_selectorELNS0_4arch9wavefront6targetE0EEEvSE_.num_vgpr, 0
	.set _ZN7rocprim17ROCPRIM_400000_NS6detail17trampoline_kernelINS0_14default_configENS1_35radix_sort_onesweep_config_selectorI12hip_bfloat16NS0_10empty_typeEEEZNS1_34radix_sort_onesweep_global_offsetsIS3_Lb0EPKS5_PS6_mNS0_19identity_decomposerEEE10hipError_tT1_T2_PT3_SG_jT4_jjP12ihipStream_tbEUlT_E_NS1_11comp_targetILNS1_3genE6ELNS1_11target_archE950ELNS1_3gpuE13ELNS1_3repE0EEENS1_52radix_sort_onesweep_histogram_config_static_selectorELNS0_4arch9wavefront6targetE0EEEvSE_.num_agpr, 0
	.set _ZN7rocprim17ROCPRIM_400000_NS6detail17trampoline_kernelINS0_14default_configENS1_35radix_sort_onesweep_config_selectorI12hip_bfloat16NS0_10empty_typeEEEZNS1_34radix_sort_onesweep_global_offsetsIS3_Lb0EPKS5_PS6_mNS0_19identity_decomposerEEE10hipError_tT1_T2_PT3_SG_jT4_jjP12ihipStream_tbEUlT_E_NS1_11comp_targetILNS1_3genE6ELNS1_11target_archE950ELNS1_3gpuE13ELNS1_3repE0EEENS1_52radix_sort_onesweep_histogram_config_static_selectorELNS0_4arch9wavefront6targetE0EEEvSE_.numbered_sgpr, 0
	.set _ZN7rocprim17ROCPRIM_400000_NS6detail17trampoline_kernelINS0_14default_configENS1_35radix_sort_onesweep_config_selectorI12hip_bfloat16NS0_10empty_typeEEEZNS1_34radix_sort_onesweep_global_offsetsIS3_Lb0EPKS5_PS6_mNS0_19identity_decomposerEEE10hipError_tT1_T2_PT3_SG_jT4_jjP12ihipStream_tbEUlT_E_NS1_11comp_targetILNS1_3genE6ELNS1_11target_archE950ELNS1_3gpuE13ELNS1_3repE0EEENS1_52radix_sort_onesweep_histogram_config_static_selectorELNS0_4arch9wavefront6targetE0EEEvSE_.num_named_barrier, 0
	.set _ZN7rocprim17ROCPRIM_400000_NS6detail17trampoline_kernelINS0_14default_configENS1_35radix_sort_onesweep_config_selectorI12hip_bfloat16NS0_10empty_typeEEEZNS1_34radix_sort_onesweep_global_offsetsIS3_Lb0EPKS5_PS6_mNS0_19identity_decomposerEEE10hipError_tT1_T2_PT3_SG_jT4_jjP12ihipStream_tbEUlT_E_NS1_11comp_targetILNS1_3genE6ELNS1_11target_archE950ELNS1_3gpuE13ELNS1_3repE0EEENS1_52radix_sort_onesweep_histogram_config_static_selectorELNS0_4arch9wavefront6targetE0EEEvSE_.private_seg_size, 0
	.set _ZN7rocprim17ROCPRIM_400000_NS6detail17trampoline_kernelINS0_14default_configENS1_35radix_sort_onesweep_config_selectorI12hip_bfloat16NS0_10empty_typeEEEZNS1_34radix_sort_onesweep_global_offsetsIS3_Lb0EPKS5_PS6_mNS0_19identity_decomposerEEE10hipError_tT1_T2_PT3_SG_jT4_jjP12ihipStream_tbEUlT_E_NS1_11comp_targetILNS1_3genE6ELNS1_11target_archE950ELNS1_3gpuE13ELNS1_3repE0EEENS1_52radix_sort_onesweep_histogram_config_static_selectorELNS0_4arch9wavefront6targetE0EEEvSE_.uses_vcc, 0
	.set _ZN7rocprim17ROCPRIM_400000_NS6detail17trampoline_kernelINS0_14default_configENS1_35radix_sort_onesweep_config_selectorI12hip_bfloat16NS0_10empty_typeEEEZNS1_34radix_sort_onesweep_global_offsetsIS3_Lb0EPKS5_PS6_mNS0_19identity_decomposerEEE10hipError_tT1_T2_PT3_SG_jT4_jjP12ihipStream_tbEUlT_E_NS1_11comp_targetILNS1_3genE6ELNS1_11target_archE950ELNS1_3gpuE13ELNS1_3repE0EEENS1_52radix_sort_onesweep_histogram_config_static_selectorELNS0_4arch9wavefront6targetE0EEEvSE_.uses_flat_scratch, 0
	.set _ZN7rocprim17ROCPRIM_400000_NS6detail17trampoline_kernelINS0_14default_configENS1_35radix_sort_onesweep_config_selectorI12hip_bfloat16NS0_10empty_typeEEEZNS1_34radix_sort_onesweep_global_offsetsIS3_Lb0EPKS5_PS6_mNS0_19identity_decomposerEEE10hipError_tT1_T2_PT3_SG_jT4_jjP12ihipStream_tbEUlT_E_NS1_11comp_targetILNS1_3genE6ELNS1_11target_archE950ELNS1_3gpuE13ELNS1_3repE0EEENS1_52radix_sort_onesweep_histogram_config_static_selectorELNS0_4arch9wavefront6targetE0EEEvSE_.has_dyn_sized_stack, 0
	.set _ZN7rocprim17ROCPRIM_400000_NS6detail17trampoline_kernelINS0_14default_configENS1_35radix_sort_onesweep_config_selectorI12hip_bfloat16NS0_10empty_typeEEEZNS1_34radix_sort_onesweep_global_offsetsIS3_Lb0EPKS5_PS6_mNS0_19identity_decomposerEEE10hipError_tT1_T2_PT3_SG_jT4_jjP12ihipStream_tbEUlT_E_NS1_11comp_targetILNS1_3genE6ELNS1_11target_archE950ELNS1_3gpuE13ELNS1_3repE0EEENS1_52radix_sort_onesweep_histogram_config_static_selectorELNS0_4arch9wavefront6targetE0EEEvSE_.has_recursion, 0
	.set _ZN7rocprim17ROCPRIM_400000_NS6detail17trampoline_kernelINS0_14default_configENS1_35radix_sort_onesweep_config_selectorI12hip_bfloat16NS0_10empty_typeEEEZNS1_34radix_sort_onesweep_global_offsetsIS3_Lb0EPKS5_PS6_mNS0_19identity_decomposerEEE10hipError_tT1_T2_PT3_SG_jT4_jjP12ihipStream_tbEUlT_E_NS1_11comp_targetILNS1_3genE6ELNS1_11target_archE950ELNS1_3gpuE13ELNS1_3repE0EEENS1_52radix_sort_onesweep_histogram_config_static_selectorELNS0_4arch9wavefront6targetE0EEEvSE_.has_indirect_call, 0
	.section	.AMDGPU.csdata,"",@progbits
; Kernel info:
; codeLenInByte = 0
; TotalNumSgprs: 0
; NumVgprs: 0
; ScratchSize: 0
; MemoryBound: 0
; FloatMode: 240
; IeeeMode: 1
; LDSByteSize: 0 bytes/workgroup (compile time only)
; SGPRBlocks: 0
; VGPRBlocks: 0
; NumSGPRsForWavesPerEU: 1
; NumVGPRsForWavesPerEU: 1
; NamedBarCnt: 0
; Occupancy: 16
; WaveLimiterHint : 0
; COMPUTE_PGM_RSRC2:SCRATCH_EN: 0
; COMPUTE_PGM_RSRC2:USER_SGPR: 2
; COMPUTE_PGM_RSRC2:TRAP_HANDLER: 0
; COMPUTE_PGM_RSRC2:TGID_X_EN: 1
; COMPUTE_PGM_RSRC2:TGID_Y_EN: 0
; COMPUTE_PGM_RSRC2:TGID_Z_EN: 0
; COMPUTE_PGM_RSRC2:TIDIG_COMP_CNT: 0
	.section	.text._ZN7rocprim17ROCPRIM_400000_NS6detail17trampoline_kernelINS0_14default_configENS1_35radix_sort_onesweep_config_selectorI12hip_bfloat16NS0_10empty_typeEEEZNS1_34radix_sort_onesweep_global_offsetsIS3_Lb0EPKS5_PS6_mNS0_19identity_decomposerEEE10hipError_tT1_T2_PT3_SG_jT4_jjP12ihipStream_tbEUlT_E_NS1_11comp_targetILNS1_3genE5ELNS1_11target_archE942ELNS1_3gpuE9ELNS1_3repE0EEENS1_52radix_sort_onesweep_histogram_config_static_selectorELNS0_4arch9wavefront6targetE0EEEvSE_,"axG",@progbits,_ZN7rocprim17ROCPRIM_400000_NS6detail17trampoline_kernelINS0_14default_configENS1_35radix_sort_onesweep_config_selectorI12hip_bfloat16NS0_10empty_typeEEEZNS1_34radix_sort_onesweep_global_offsetsIS3_Lb0EPKS5_PS6_mNS0_19identity_decomposerEEE10hipError_tT1_T2_PT3_SG_jT4_jjP12ihipStream_tbEUlT_E_NS1_11comp_targetILNS1_3genE5ELNS1_11target_archE942ELNS1_3gpuE9ELNS1_3repE0EEENS1_52radix_sort_onesweep_histogram_config_static_selectorELNS0_4arch9wavefront6targetE0EEEvSE_,comdat
	.protected	_ZN7rocprim17ROCPRIM_400000_NS6detail17trampoline_kernelINS0_14default_configENS1_35radix_sort_onesweep_config_selectorI12hip_bfloat16NS0_10empty_typeEEEZNS1_34radix_sort_onesweep_global_offsetsIS3_Lb0EPKS5_PS6_mNS0_19identity_decomposerEEE10hipError_tT1_T2_PT3_SG_jT4_jjP12ihipStream_tbEUlT_E_NS1_11comp_targetILNS1_3genE5ELNS1_11target_archE942ELNS1_3gpuE9ELNS1_3repE0EEENS1_52radix_sort_onesweep_histogram_config_static_selectorELNS0_4arch9wavefront6targetE0EEEvSE_ ; -- Begin function _ZN7rocprim17ROCPRIM_400000_NS6detail17trampoline_kernelINS0_14default_configENS1_35radix_sort_onesweep_config_selectorI12hip_bfloat16NS0_10empty_typeEEEZNS1_34radix_sort_onesweep_global_offsetsIS3_Lb0EPKS5_PS6_mNS0_19identity_decomposerEEE10hipError_tT1_T2_PT3_SG_jT4_jjP12ihipStream_tbEUlT_E_NS1_11comp_targetILNS1_3genE5ELNS1_11target_archE942ELNS1_3gpuE9ELNS1_3repE0EEENS1_52radix_sort_onesweep_histogram_config_static_selectorELNS0_4arch9wavefront6targetE0EEEvSE_
	.globl	_ZN7rocprim17ROCPRIM_400000_NS6detail17trampoline_kernelINS0_14default_configENS1_35radix_sort_onesweep_config_selectorI12hip_bfloat16NS0_10empty_typeEEEZNS1_34radix_sort_onesweep_global_offsetsIS3_Lb0EPKS5_PS6_mNS0_19identity_decomposerEEE10hipError_tT1_T2_PT3_SG_jT4_jjP12ihipStream_tbEUlT_E_NS1_11comp_targetILNS1_3genE5ELNS1_11target_archE942ELNS1_3gpuE9ELNS1_3repE0EEENS1_52radix_sort_onesweep_histogram_config_static_selectorELNS0_4arch9wavefront6targetE0EEEvSE_
	.p2align	8
	.type	_ZN7rocprim17ROCPRIM_400000_NS6detail17trampoline_kernelINS0_14default_configENS1_35radix_sort_onesweep_config_selectorI12hip_bfloat16NS0_10empty_typeEEEZNS1_34radix_sort_onesweep_global_offsetsIS3_Lb0EPKS5_PS6_mNS0_19identity_decomposerEEE10hipError_tT1_T2_PT3_SG_jT4_jjP12ihipStream_tbEUlT_E_NS1_11comp_targetILNS1_3genE5ELNS1_11target_archE942ELNS1_3gpuE9ELNS1_3repE0EEENS1_52radix_sort_onesweep_histogram_config_static_selectorELNS0_4arch9wavefront6targetE0EEEvSE_,@function
_ZN7rocprim17ROCPRIM_400000_NS6detail17trampoline_kernelINS0_14default_configENS1_35radix_sort_onesweep_config_selectorI12hip_bfloat16NS0_10empty_typeEEEZNS1_34radix_sort_onesweep_global_offsetsIS3_Lb0EPKS5_PS6_mNS0_19identity_decomposerEEE10hipError_tT1_T2_PT3_SG_jT4_jjP12ihipStream_tbEUlT_E_NS1_11comp_targetILNS1_3genE5ELNS1_11target_archE942ELNS1_3gpuE9ELNS1_3repE0EEENS1_52radix_sort_onesweep_histogram_config_static_selectorELNS0_4arch9wavefront6targetE0EEEvSE_: ; @_ZN7rocprim17ROCPRIM_400000_NS6detail17trampoline_kernelINS0_14default_configENS1_35radix_sort_onesweep_config_selectorI12hip_bfloat16NS0_10empty_typeEEEZNS1_34radix_sort_onesweep_global_offsetsIS3_Lb0EPKS5_PS6_mNS0_19identity_decomposerEEE10hipError_tT1_T2_PT3_SG_jT4_jjP12ihipStream_tbEUlT_E_NS1_11comp_targetILNS1_3genE5ELNS1_11target_archE942ELNS1_3gpuE9ELNS1_3repE0EEENS1_52radix_sort_onesweep_histogram_config_static_selectorELNS0_4arch9wavefront6targetE0EEEvSE_
; %bb.0:
	.section	.rodata,"a",@progbits
	.p2align	6, 0x0
	.amdhsa_kernel _ZN7rocprim17ROCPRIM_400000_NS6detail17trampoline_kernelINS0_14default_configENS1_35radix_sort_onesweep_config_selectorI12hip_bfloat16NS0_10empty_typeEEEZNS1_34radix_sort_onesweep_global_offsetsIS3_Lb0EPKS5_PS6_mNS0_19identity_decomposerEEE10hipError_tT1_T2_PT3_SG_jT4_jjP12ihipStream_tbEUlT_E_NS1_11comp_targetILNS1_3genE5ELNS1_11target_archE942ELNS1_3gpuE9ELNS1_3repE0EEENS1_52radix_sort_onesweep_histogram_config_static_selectorELNS0_4arch9wavefront6targetE0EEEvSE_
		.amdhsa_group_segment_fixed_size 0
		.amdhsa_private_segment_fixed_size 0
		.amdhsa_kernarg_size 48
		.amdhsa_user_sgpr_count 2
		.amdhsa_user_sgpr_dispatch_ptr 0
		.amdhsa_user_sgpr_queue_ptr 0
		.amdhsa_user_sgpr_kernarg_segment_ptr 1
		.amdhsa_user_sgpr_dispatch_id 0
		.amdhsa_user_sgpr_kernarg_preload_length 0
		.amdhsa_user_sgpr_kernarg_preload_offset 0
		.amdhsa_user_sgpr_private_segment_size 0
		.amdhsa_wavefront_size32 1
		.amdhsa_uses_dynamic_stack 0
		.amdhsa_enable_private_segment 0
		.amdhsa_system_sgpr_workgroup_id_x 1
		.amdhsa_system_sgpr_workgroup_id_y 0
		.amdhsa_system_sgpr_workgroup_id_z 0
		.amdhsa_system_sgpr_workgroup_info 0
		.amdhsa_system_vgpr_workitem_id 0
		.amdhsa_next_free_vgpr 1
		.amdhsa_next_free_sgpr 1
		.amdhsa_named_barrier_count 0
		.amdhsa_reserve_vcc 0
		.amdhsa_float_round_mode_32 0
		.amdhsa_float_round_mode_16_64 0
		.amdhsa_float_denorm_mode_32 3
		.amdhsa_float_denorm_mode_16_64 3
		.amdhsa_fp16_overflow 0
		.amdhsa_memory_ordered 1
		.amdhsa_forward_progress 1
		.amdhsa_inst_pref_size 0
		.amdhsa_round_robin_scheduling 0
		.amdhsa_exception_fp_ieee_invalid_op 0
		.amdhsa_exception_fp_denorm_src 0
		.amdhsa_exception_fp_ieee_div_zero 0
		.amdhsa_exception_fp_ieee_overflow 0
		.amdhsa_exception_fp_ieee_underflow 0
		.amdhsa_exception_fp_ieee_inexact 0
		.amdhsa_exception_int_div_zero 0
	.end_amdhsa_kernel
	.section	.text._ZN7rocprim17ROCPRIM_400000_NS6detail17trampoline_kernelINS0_14default_configENS1_35radix_sort_onesweep_config_selectorI12hip_bfloat16NS0_10empty_typeEEEZNS1_34radix_sort_onesweep_global_offsetsIS3_Lb0EPKS5_PS6_mNS0_19identity_decomposerEEE10hipError_tT1_T2_PT3_SG_jT4_jjP12ihipStream_tbEUlT_E_NS1_11comp_targetILNS1_3genE5ELNS1_11target_archE942ELNS1_3gpuE9ELNS1_3repE0EEENS1_52radix_sort_onesweep_histogram_config_static_selectorELNS0_4arch9wavefront6targetE0EEEvSE_,"axG",@progbits,_ZN7rocprim17ROCPRIM_400000_NS6detail17trampoline_kernelINS0_14default_configENS1_35radix_sort_onesweep_config_selectorI12hip_bfloat16NS0_10empty_typeEEEZNS1_34radix_sort_onesweep_global_offsetsIS3_Lb0EPKS5_PS6_mNS0_19identity_decomposerEEE10hipError_tT1_T2_PT3_SG_jT4_jjP12ihipStream_tbEUlT_E_NS1_11comp_targetILNS1_3genE5ELNS1_11target_archE942ELNS1_3gpuE9ELNS1_3repE0EEENS1_52radix_sort_onesweep_histogram_config_static_selectorELNS0_4arch9wavefront6targetE0EEEvSE_,comdat
.Lfunc_end2035:
	.size	_ZN7rocprim17ROCPRIM_400000_NS6detail17trampoline_kernelINS0_14default_configENS1_35radix_sort_onesweep_config_selectorI12hip_bfloat16NS0_10empty_typeEEEZNS1_34radix_sort_onesweep_global_offsetsIS3_Lb0EPKS5_PS6_mNS0_19identity_decomposerEEE10hipError_tT1_T2_PT3_SG_jT4_jjP12ihipStream_tbEUlT_E_NS1_11comp_targetILNS1_3genE5ELNS1_11target_archE942ELNS1_3gpuE9ELNS1_3repE0EEENS1_52radix_sort_onesweep_histogram_config_static_selectorELNS0_4arch9wavefront6targetE0EEEvSE_, .Lfunc_end2035-_ZN7rocprim17ROCPRIM_400000_NS6detail17trampoline_kernelINS0_14default_configENS1_35radix_sort_onesweep_config_selectorI12hip_bfloat16NS0_10empty_typeEEEZNS1_34radix_sort_onesweep_global_offsetsIS3_Lb0EPKS5_PS6_mNS0_19identity_decomposerEEE10hipError_tT1_T2_PT3_SG_jT4_jjP12ihipStream_tbEUlT_E_NS1_11comp_targetILNS1_3genE5ELNS1_11target_archE942ELNS1_3gpuE9ELNS1_3repE0EEENS1_52radix_sort_onesweep_histogram_config_static_selectorELNS0_4arch9wavefront6targetE0EEEvSE_
                                        ; -- End function
	.set _ZN7rocprim17ROCPRIM_400000_NS6detail17trampoline_kernelINS0_14default_configENS1_35radix_sort_onesweep_config_selectorI12hip_bfloat16NS0_10empty_typeEEEZNS1_34radix_sort_onesweep_global_offsetsIS3_Lb0EPKS5_PS6_mNS0_19identity_decomposerEEE10hipError_tT1_T2_PT3_SG_jT4_jjP12ihipStream_tbEUlT_E_NS1_11comp_targetILNS1_3genE5ELNS1_11target_archE942ELNS1_3gpuE9ELNS1_3repE0EEENS1_52radix_sort_onesweep_histogram_config_static_selectorELNS0_4arch9wavefront6targetE0EEEvSE_.num_vgpr, 0
	.set _ZN7rocprim17ROCPRIM_400000_NS6detail17trampoline_kernelINS0_14default_configENS1_35radix_sort_onesweep_config_selectorI12hip_bfloat16NS0_10empty_typeEEEZNS1_34radix_sort_onesweep_global_offsetsIS3_Lb0EPKS5_PS6_mNS0_19identity_decomposerEEE10hipError_tT1_T2_PT3_SG_jT4_jjP12ihipStream_tbEUlT_E_NS1_11comp_targetILNS1_3genE5ELNS1_11target_archE942ELNS1_3gpuE9ELNS1_3repE0EEENS1_52radix_sort_onesweep_histogram_config_static_selectorELNS0_4arch9wavefront6targetE0EEEvSE_.num_agpr, 0
	.set _ZN7rocprim17ROCPRIM_400000_NS6detail17trampoline_kernelINS0_14default_configENS1_35radix_sort_onesweep_config_selectorI12hip_bfloat16NS0_10empty_typeEEEZNS1_34radix_sort_onesweep_global_offsetsIS3_Lb0EPKS5_PS6_mNS0_19identity_decomposerEEE10hipError_tT1_T2_PT3_SG_jT4_jjP12ihipStream_tbEUlT_E_NS1_11comp_targetILNS1_3genE5ELNS1_11target_archE942ELNS1_3gpuE9ELNS1_3repE0EEENS1_52radix_sort_onesweep_histogram_config_static_selectorELNS0_4arch9wavefront6targetE0EEEvSE_.numbered_sgpr, 0
	.set _ZN7rocprim17ROCPRIM_400000_NS6detail17trampoline_kernelINS0_14default_configENS1_35radix_sort_onesweep_config_selectorI12hip_bfloat16NS0_10empty_typeEEEZNS1_34radix_sort_onesweep_global_offsetsIS3_Lb0EPKS5_PS6_mNS0_19identity_decomposerEEE10hipError_tT1_T2_PT3_SG_jT4_jjP12ihipStream_tbEUlT_E_NS1_11comp_targetILNS1_3genE5ELNS1_11target_archE942ELNS1_3gpuE9ELNS1_3repE0EEENS1_52radix_sort_onesweep_histogram_config_static_selectorELNS0_4arch9wavefront6targetE0EEEvSE_.num_named_barrier, 0
	.set _ZN7rocprim17ROCPRIM_400000_NS6detail17trampoline_kernelINS0_14default_configENS1_35radix_sort_onesweep_config_selectorI12hip_bfloat16NS0_10empty_typeEEEZNS1_34radix_sort_onesweep_global_offsetsIS3_Lb0EPKS5_PS6_mNS0_19identity_decomposerEEE10hipError_tT1_T2_PT3_SG_jT4_jjP12ihipStream_tbEUlT_E_NS1_11comp_targetILNS1_3genE5ELNS1_11target_archE942ELNS1_3gpuE9ELNS1_3repE0EEENS1_52radix_sort_onesweep_histogram_config_static_selectorELNS0_4arch9wavefront6targetE0EEEvSE_.private_seg_size, 0
	.set _ZN7rocprim17ROCPRIM_400000_NS6detail17trampoline_kernelINS0_14default_configENS1_35radix_sort_onesweep_config_selectorI12hip_bfloat16NS0_10empty_typeEEEZNS1_34radix_sort_onesweep_global_offsetsIS3_Lb0EPKS5_PS6_mNS0_19identity_decomposerEEE10hipError_tT1_T2_PT3_SG_jT4_jjP12ihipStream_tbEUlT_E_NS1_11comp_targetILNS1_3genE5ELNS1_11target_archE942ELNS1_3gpuE9ELNS1_3repE0EEENS1_52radix_sort_onesweep_histogram_config_static_selectorELNS0_4arch9wavefront6targetE0EEEvSE_.uses_vcc, 0
	.set _ZN7rocprim17ROCPRIM_400000_NS6detail17trampoline_kernelINS0_14default_configENS1_35radix_sort_onesweep_config_selectorI12hip_bfloat16NS0_10empty_typeEEEZNS1_34radix_sort_onesweep_global_offsetsIS3_Lb0EPKS5_PS6_mNS0_19identity_decomposerEEE10hipError_tT1_T2_PT3_SG_jT4_jjP12ihipStream_tbEUlT_E_NS1_11comp_targetILNS1_3genE5ELNS1_11target_archE942ELNS1_3gpuE9ELNS1_3repE0EEENS1_52radix_sort_onesweep_histogram_config_static_selectorELNS0_4arch9wavefront6targetE0EEEvSE_.uses_flat_scratch, 0
	.set _ZN7rocprim17ROCPRIM_400000_NS6detail17trampoline_kernelINS0_14default_configENS1_35radix_sort_onesweep_config_selectorI12hip_bfloat16NS0_10empty_typeEEEZNS1_34radix_sort_onesweep_global_offsetsIS3_Lb0EPKS5_PS6_mNS0_19identity_decomposerEEE10hipError_tT1_T2_PT3_SG_jT4_jjP12ihipStream_tbEUlT_E_NS1_11comp_targetILNS1_3genE5ELNS1_11target_archE942ELNS1_3gpuE9ELNS1_3repE0EEENS1_52radix_sort_onesweep_histogram_config_static_selectorELNS0_4arch9wavefront6targetE0EEEvSE_.has_dyn_sized_stack, 0
	.set _ZN7rocprim17ROCPRIM_400000_NS6detail17trampoline_kernelINS0_14default_configENS1_35radix_sort_onesweep_config_selectorI12hip_bfloat16NS0_10empty_typeEEEZNS1_34radix_sort_onesweep_global_offsetsIS3_Lb0EPKS5_PS6_mNS0_19identity_decomposerEEE10hipError_tT1_T2_PT3_SG_jT4_jjP12ihipStream_tbEUlT_E_NS1_11comp_targetILNS1_3genE5ELNS1_11target_archE942ELNS1_3gpuE9ELNS1_3repE0EEENS1_52radix_sort_onesweep_histogram_config_static_selectorELNS0_4arch9wavefront6targetE0EEEvSE_.has_recursion, 0
	.set _ZN7rocprim17ROCPRIM_400000_NS6detail17trampoline_kernelINS0_14default_configENS1_35radix_sort_onesweep_config_selectorI12hip_bfloat16NS0_10empty_typeEEEZNS1_34radix_sort_onesweep_global_offsetsIS3_Lb0EPKS5_PS6_mNS0_19identity_decomposerEEE10hipError_tT1_T2_PT3_SG_jT4_jjP12ihipStream_tbEUlT_E_NS1_11comp_targetILNS1_3genE5ELNS1_11target_archE942ELNS1_3gpuE9ELNS1_3repE0EEENS1_52radix_sort_onesweep_histogram_config_static_selectorELNS0_4arch9wavefront6targetE0EEEvSE_.has_indirect_call, 0
	.section	.AMDGPU.csdata,"",@progbits
; Kernel info:
; codeLenInByte = 0
; TotalNumSgprs: 0
; NumVgprs: 0
; ScratchSize: 0
; MemoryBound: 0
; FloatMode: 240
; IeeeMode: 1
; LDSByteSize: 0 bytes/workgroup (compile time only)
; SGPRBlocks: 0
; VGPRBlocks: 0
; NumSGPRsForWavesPerEU: 1
; NumVGPRsForWavesPerEU: 1
; NamedBarCnt: 0
; Occupancy: 16
; WaveLimiterHint : 0
; COMPUTE_PGM_RSRC2:SCRATCH_EN: 0
; COMPUTE_PGM_RSRC2:USER_SGPR: 2
; COMPUTE_PGM_RSRC2:TRAP_HANDLER: 0
; COMPUTE_PGM_RSRC2:TGID_X_EN: 1
; COMPUTE_PGM_RSRC2:TGID_Y_EN: 0
; COMPUTE_PGM_RSRC2:TGID_Z_EN: 0
; COMPUTE_PGM_RSRC2:TIDIG_COMP_CNT: 0
	.section	.text._ZN7rocprim17ROCPRIM_400000_NS6detail17trampoline_kernelINS0_14default_configENS1_35radix_sort_onesweep_config_selectorI12hip_bfloat16NS0_10empty_typeEEEZNS1_34radix_sort_onesweep_global_offsetsIS3_Lb0EPKS5_PS6_mNS0_19identity_decomposerEEE10hipError_tT1_T2_PT3_SG_jT4_jjP12ihipStream_tbEUlT_E_NS1_11comp_targetILNS1_3genE2ELNS1_11target_archE906ELNS1_3gpuE6ELNS1_3repE0EEENS1_52radix_sort_onesweep_histogram_config_static_selectorELNS0_4arch9wavefront6targetE0EEEvSE_,"axG",@progbits,_ZN7rocprim17ROCPRIM_400000_NS6detail17trampoline_kernelINS0_14default_configENS1_35radix_sort_onesweep_config_selectorI12hip_bfloat16NS0_10empty_typeEEEZNS1_34radix_sort_onesweep_global_offsetsIS3_Lb0EPKS5_PS6_mNS0_19identity_decomposerEEE10hipError_tT1_T2_PT3_SG_jT4_jjP12ihipStream_tbEUlT_E_NS1_11comp_targetILNS1_3genE2ELNS1_11target_archE906ELNS1_3gpuE6ELNS1_3repE0EEENS1_52radix_sort_onesweep_histogram_config_static_selectorELNS0_4arch9wavefront6targetE0EEEvSE_,comdat
	.protected	_ZN7rocprim17ROCPRIM_400000_NS6detail17trampoline_kernelINS0_14default_configENS1_35radix_sort_onesweep_config_selectorI12hip_bfloat16NS0_10empty_typeEEEZNS1_34radix_sort_onesweep_global_offsetsIS3_Lb0EPKS5_PS6_mNS0_19identity_decomposerEEE10hipError_tT1_T2_PT3_SG_jT4_jjP12ihipStream_tbEUlT_E_NS1_11comp_targetILNS1_3genE2ELNS1_11target_archE906ELNS1_3gpuE6ELNS1_3repE0EEENS1_52radix_sort_onesweep_histogram_config_static_selectorELNS0_4arch9wavefront6targetE0EEEvSE_ ; -- Begin function _ZN7rocprim17ROCPRIM_400000_NS6detail17trampoline_kernelINS0_14default_configENS1_35radix_sort_onesweep_config_selectorI12hip_bfloat16NS0_10empty_typeEEEZNS1_34radix_sort_onesweep_global_offsetsIS3_Lb0EPKS5_PS6_mNS0_19identity_decomposerEEE10hipError_tT1_T2_PT3_SG_jT4_jjP12ihipStream_tbEUlT_E_NS1_11comp_targetILNS1_3genE2ELNS1_11target_archE906ELNS1_3gpuE6ELNS1_3repE0EEENS1_52radix_sort_onesweep_histogram_config_static_selectorELNS0_4arch9wavefront6targetE0EEEvSE_
	.globl	_ZN7rocprim17ROCPRIM_400000_NS6detail17trampoline_kernelINS0_14default_configENS1_35radix_sort_onesweep_config_selectorI12hip_bfloat16NS0_10empty_typeEEEZNS1_34radix_sort_onesweep_global_offsetsIS3_Lb0EPKS5_PS6_mNS0_19identity_decomposerEEE10hipError_tT1_T2_PT3_SG_jT4_jjP12ihipStream_tbEUlT_E_NS1_11comp_targetILNS1_3genE2ELNS1_11target_archE906ELNS1_3gpuE6ELNS1_3repE0EEENS1_52radix_sort_onesweep_histogram_config_static_selectorELNS0_4arch9wavefront6targetE0EEEvSE_
	.p2align	8
	.type	_ZN7rocprim17ROCPRIM_400000_NS6detail17trampoline_kernelINS0_14default_configENS1_35radix_sort_onesweep_config_selectorI12hip_bfloat16NS0_10empty_typeEEEZNS1_34radix_sort_onesweep_global_offsetsIS3_Lb0EPKS5_PS6_mNS0_19identity_decomposerEEE10hipError_tT1_T2_PT3_SG_jT4_jjP12ihipStream_tbEUlT_E_NS1_11comp_targetILNS1_3genE2ELNS1_11target_archE906ELNS1_3gpuE6ELNS1_3repE0EEENS1_52radix_sort_onesweep_histogram_config_static_selectorELNS0_4arch9wavefront6targetE0EEEvSE_,@function
_ZN7rocprim17ROCPRIM_400000_NS6detail17trampoline_kernelINS0_14default_configENS1_35radix_sort_onesweep_config_selectorI12hip_bfloat16NS0_10empty_typeEEEZNS1_34radix_sort_onesweep_global_offsetsIS3_Lb0EPKS5_PS6_mNS0_19identity_decomposerEEE10hipError_tT1_T2_PT3_SG_jT4_jjP12ihipStream_tbEUlT_E_NS1_11comp_targetILNS1_3genE2ELNS1_11target_archE906ELNS1_3gpuE6ELNS1_3repE0EEENS1_52radix_sort_onesweep_histogram_config_static_selectorELNS0_4arch9wavefront6targetE0EEEvSE_: ; @_ZN7rocprim17ROCPRIM_400000_NS6detail17trampoline_kernelINS0_14default_configENS1_35radix_sort_onesweep_config_selectorI12hip_bfloat16NS0_10empty_typeEEEZNS1_34radix_sort_onesweep_global_offsetsIS3_Lb0EPKS5_PS6_mNS0_19identity_decomposerEEE10hipError_tT1_T2_PT3_SG_jT4_jjP12ihipStream_tbEUlT_E_NS1_11comp_targetILNS1_3genE2ELNS1_11target_archE906ELNS1_3gpuE6ELNS1_3repE0EEENS1_52radix_sort_onesweep_histogram_config_static_selectorELNS0_4arch9wavefront6targetE0EEEvSE_
; %bb.0:
	.section	.rodata,"a",@progbits
	.p2align	6, 0x0
	.amdhsa_kernel _ZN7rocprim17ROCPRIM_400000_NS6detail17trampoline_kernelINS0_14default_configENS1_35radix_sort_onesweep_config_selectorI12hip_bfloat16NS0_10empty_typeEEEZNS1_34radix_sort_onesweep_global_offsetsIS3_Lb0EPKS5_PS6_mNS0_19identity_decomposerEEE10hipError_tT1_T2_PT3_SG_jT4_jjP12ihipStream_tbEUlT_E_NS1_11comp_targetILNS1_3genE2ELNS1_11target_archE906ELNS1_3gpuE6ELNS1_3repE0EEENS1_52radix_sort_onesweep_histogram_config_static_selectorELNS0_4arch9wavefront6targetE0EEEvSE_
		.amdhsa_group_segment_fixed_size 0
		.amdhsa_private_segment_fixed_size 0
		.amdhsa_kernarg_size 48
		.amdhsa_user_sgpr_count 2
		.amdhsa_user_sgpr_dispatch_ptr 0
		.amdhsa_user_sgpr_queue_ptr 0
		.amdhsa_user_sgpr_kernarg_segment_ptr 1
		.amdhsa_user_sgpr_dispatch_id 0
		.amdhsa_user_sgpr_kernarg_preload_length 0
		.amdhsa_user_sgpr_kernarg_preload_offset 0
		.amdhsa_user_sgpr_private_segment_size 0
		.amdhsa_wavefront_size32 1
		.amdhsa_uses_dynamic_stack 0
		.amdhsa_enable_private_segment 0
		.amdhsa_system_sgpr_workgroup_id_x 1
		.amdhsa_system_sgpr_workgroup_id_y 0
		.amdhsa_system_sgpr_workgroup_id_z 0
		.amdhsa_system_sgpr_workgroup_info 0
		.amdhsa_system_vgpr_workitem_id 0
		.amdhsa_next_free_vgpr 1
		.amdhsa_next_free_sgpr 1
		.amdhsa_named_barrier_count 0
		.amdhsa_reserve_vcc 0
		.amdhsa_float_round_mode_32 0
		.amdhsa_float_round_mode_16_64 0
		.amdhsa_float_denorm_mode_32 3
		.amdhsa_float_denorm_mode_16_64 3
		.amdhsa_fp16_overflow 0
		.amdhsa_memory_ordered 1
		.amdhsa_forward_progress 1
		.amdhsa_inst_pref_size 0
		.amdhsa_round_robin_scheduling 0
		.amdhsa_exception_fp_ieee_invalid_op 0
		.amdhsa_exception_fp_denorm_src 0
		.amdhsa_exception_fp_ieee_div_zero 0
		.amdhsa_exception_fp_ieee_overflow 0
		.amdhsa_exception_fp_ieee_underflow 0
		.amdhsa_exception_fp_ieee_inexact 0
		.amdhsa_exception_int_div_zero 0
	.end_amdhsa_kernel
	.section	.text._ZN7rocprim17ROCPRIM_400000_NS6detail17trampoline_kernelINS0_14default_configENS1_35radix_sort_onesweep_config_selectorI12hip_bfloat16NS0_10empty_typeEEEZNS1_34radix_sort_onesweep_global_offsetsIS3_Lb0EPKS5_PS6_mNS0_19identity_decomposerEEE10hipError_tT1_T2_PT3_SG_jT4_jjP12ihipStream_tbEUlT_E_NS1_11comp_targetILNS1_3genE2ELNS1_11target_archE906ELNS1_3gpuE6ELNS1_3repE0EEENS1_52radix_sort_onesweep_histogram_config_static_selectorELNS0_4arch9wavefront6targetE0EEEvSE_,"axG",@progbits,_ZN7rocprim17ROCPRIM_400000_NS6detail17trampoline_kernelINS0_14default_configENS1_35radix_sort_onesweep_config_selectorI12hip_bfloat16NS0_10empty_typeEEEZNS1_34radix_sort_onesweep_global_offsetsIS3_Lb0EPKS5_PS6_mNS0_19identity_decomposerEEE10hipError_tT1_T2_PT3_SG_jT4_jjP12ihipStream_tbEUlT_E_NS1_11comp_targetILNS1_3genE2ELNS1_11target_archE906ELNS1_3gpuE6ELNS1_3repE0EEENS1_52radix_sort_onesweep_histogram_config_static_selectorELNS0_4arch9wavefront6targetE0EEEvSE_,comdat
.Lfunc_end2036:
	.size	_ZN7rocprim17ROCPRIM_400000_NS6detail17trampoline_kernelINS0_14default_configENS1_35radix_sort_onesweep_config_selectorI12hip_bfloat16NS0_10empty_typeEEEZNS1_34radix_sort_onesweep_global_offsetsIS3_Lb0EPKS5_PS6_mNS0_19identity_decomposerEEE10hipError_tT1_T2_PT3_SG_jT4_jjP12ihipStream_tbEUlT_E_NS1_11comp_targetILNS1_3genE2ELNS1_11target_archE906ELNS1_3gpuE6ELNS1_3repE0EEENS1_52radix_sort_onesweep_histogram_config_static_selectorELNS0_4arch9wavefront6targetE0EEEvSE_, .Lfunc_end2036-_ZN7rocprim17ROCPRIM_400000_NS6detail17trampoline_kernelINS0_14default_configENS1_35radix_sort_onesweep_config_selectorI12hip_bfloat16NS0_10empty_typeEEEZNS1_34radix_sort_onesweep_global_offsetsIS3_Lb0EPKS5_PS6_mNS0_19identity_decomposerEEE10hipError_tT1_T2_PT3_SG_jT4_jjP12ihipStream_tbEUlT_E_NS1_11comp_targetILNS1_3genE2ELNS1_11target_archE906ELNS1_3gpuE6ELNS1_3repE0EEENS1_52radix_sort_onesweep_histogram_config_static_selectorELNS0_4arch9wavefront6targetE0EEEvSE_
                                        ; -- End function
	.set _ZN7rocprim17ROCPRIM_400000_NS6detail17trampoline_kernelINS0_14default_configENS1_35radix_sort_onesweep_config_selectorI12hip_bfloat16NS0_10empty_typeEEEZNS1_34radix_sort_onesweep_global_offsetsIS3_Lb0EPKS5_PS6_mNS0_19identity_decomposerEEE10hipError_tT1_T2_PT3_SG_jT4_jjP12ihipStream_tbEUlT_E_NS1_11comp_targetILNS1_3genE2ELNS1_11target_archE906ELNS1_3gpuE6ELNS1_3repE0EEENS1_52radix_sort_onesweep_histogram_config_static_selectorELNS0_4arch9wavefront6targetE0EEEvSE_.num_vgpr, 0
	.set _ZN7rocprim17ROCPRIM_400000_NS6detail17trampoline_kernelINS0_14default_configENS1_35radix_sort_onesweep_config_selectorI12hip_bfloat16NS0_10empty_typeEEEZNS1_34radix_sort_onesweep_global_offsetsIS3_Lb0EPKS5_PS6_mNS0_19identity_decomposerEEE10hipError_tT1_T2_PT3_SG_jT4_jjP12ihipStream_tbEUlT_E_NS1_11comp_targetILNS1_3genE2ELNS1_11target_archE906ELNS1_3gpuE6ELNS1_3repE0EEENS1_52radix_sort_onesweep_histogram_config_static_selectorELNS0_4arch9wavefront6targetE0EEEvSE_.num_agpr, 0
	.set _ZN7rocprim17ROCPRIM_400000_NS6detail17trampoline_kernelINS0_14default_configENS1_35radix_sort_onesweep_config_selectorI12hip_bfloat16NS0_10empty_typeEEEZNS1_34radix_sort_onesweep_global_offsetsIS3_Lb0EPKS5_PS6_mNS0_19identity_decomposerEEE10hipError_tT1_T2_PT3_SG_jT4_jjP12ihipStream_tbEUlT_E_NS1_11comp_targetILNS1_3genE2ELNS1_11target_archE906ELNS1_3gpuE6ELNS1_3repE0EEENS1_52radix_sort_onesweep_histogram_config_static_selectorELNS0_4arch9wavefront6targetE0EEEvSE_.numbered_sgpr, 0
	.set _ZN7rocprim17ROCPRIM_400000_NS6detail17trampoline_kernelINS0_14default_configENS1_35radix_sort_onesweep_config_selectorI12hip_bfloat16NS0_10empty_typeEEEZNS1_34radix_sort_onesweep_global_offsetsIS3_Lb0EPKS5_PS6_mNS0_19identity_decomposerEEE10hipError_tT1_T2_PT3_SG_jT4_jjP12ihipStream_tbEUlT_E_NS1_11comp_targetILNS1_3genE2ELNS1_11target_archE906ELNS1_3gpuE6ELNS1_3repE0EEENS1_52radix_sort_onesweep_histogram_config_static_selectorELNS0_4arch9wavefront6targetE0EEEvSE_.num_named_barrier, 0
	.set _ZN7rocprim17ROCPRIM_400000_NS6detail17trampoline_kernelINS0_14default_configENS1_35radix_sort_onesweep_config_selectorI12hip_bfloat16NS0_10empty_typeEEEZNS1_34radix_sort_onesweep_global_offsetsIS3_Lb0EPKS5_PS6_mNS0_19identity_decomposerEEE10hipError_tT1_T2_PT3_SG_jT4_jjP12ihipStream_tbEUlT_E_NS1_11comp_targetILNS1_3genE2ELNS1_11target_archE906ELNS1_3gpuE6ELNS1_3repE0EEENS1_52radix_sort_onesweep_histogram_config_static_selectorELNS0_4arch9wavefront6targetE0EEEvSE_.private_seg_size, 0
	.set _ZN7rocprim17ROCPRIM_400000_NS6detail17trampoline_kernelINS0_14default_configENS1_35radix_sort_onesweep_config_selectorI12hip_bfloat16NS0_10empty_typeEEEZNS1_34radix_sort_onesweep_global_offsetsIS3_Lb0EPKS5_PS6_mNS0_19identity_decomposerEEE10hipError_tT1_T2_PT3_SG_jT4_jjP12ihipStream_tbEUlT_E_NS1_11comp_targetILNS1_3genE2ELNS1_11target_archE906ELNS1_3gpuE6ELNS1_3repE0EEENS1_52radix_sort_onesweep_histogram_config_static_selectorELNS0_4arch9wavefront6targetE0EEEvSE_.uses_vcc, 0
	.set _ZN7rocprim17ROCPRIM_400000_NS6detail17trampoline_kernelINS0_14default_configENS1_35radix_sort_onesweep_config_selectorI12hip_bfloat16NS0_10empty_typeEEEZNS1_34radix_sort_onesweep_global_offsetsIS3_Lb0EPKS5_PS6_mNS0_19identity_decomposerEEE10hipError_tT1_T2_PT3_SG_jT4_jjP12ihipStream_tbEUlT_E_NS1_11comp_targetILNS1_3genE2ELNS1_11target_archE906ELNS1_3gpuE6ELNS1_3repE0EEENS1_52radix_sort_onesweep_histogram_config_static_selectorELNS0_4arch9wavefront6targetE0EEEvSE_.uses_flat_scratch, 0
	.set _ZN7rocprim17ROCPRIM_400000_NS6detail17trampoline_kernelINS0_14default_configENS1_35radix_sort_onesweep_config_selectorI12hip_bfloat16NS0_10empty_typeEEEZNS1_34radix_sort_onesweep_global_offsetsIS3_Lb0EPKS5_PS6_mNS0_19identity_decomposerEEE10hipError_tT1_T2_PT3_SG_jT4_jjP12ihipStream_tbEUlT_E_NS1_11comp_targetILNS1_3genE2ELNS1_11target_archE906ELNS1_3gpuE6ELNS1_3repE0EEENS1_52radix_sort_onesweep_histogram_config_static_selectorELNS0_4arch9wavefront6targetE0EEEvSE_.has_dyn_sized_stack, 0
	.set _ZN7rocprim17ROCPRIM_400000_NS6detail17trampoline_kernelINS0_14default_configENS1_35radix_sort_onesweep_config_selectorI12hip_bfloat16NS0_10empty_typeEEEZNS1_34radix_sort_onesweep_global_offsetsIS3_Lb0EPKS5_PS6_mNS0_19identity_decomposerEEE10hipError_tT1_T2_PT3_SG_jT4_jjP12ihipStream_tbEUlT_E_NS1_11comp_targetILNS1_3genE2ELNS1_11target_archE906ELNS1_3gpuE6ELNS1_3repE0EEENS1_52radix_sort_onesweep_histogram_config_static_selectorELNS0_4arch9wavefront6targetE0EEEvSE_.has_recursion, 0
	.set _ZN7rocprim17ROCPRIM_400000_NS6detail17trampoline_kernelINS0_14default_configENS1_35radix_sort_onesweep_config_selectorI12hip_bfloat16NS0_10empty_typeEEEZNS1_34radix_sort_onesweep_global_offsetsIS3_Lb0EPKS5_PS6_mNS0_19identity_decomposerEEE10hipError_tT1_T2_PT3_SG_jT4_jjP12ihipStream_tbEUlT_E_NS1_11comp_targetILNS1_3genE2ELNS1_11target_archE906ELNS1_3gpuE6ELNS1_3repE0EEENS1_52radix_sort_onesweep_histogram_config_static_selectorELNS0_4arch9wavefront6targetE0EEEvSE_.has_indirect_call, 0
	.section	.AMDGPU.csdata,"",@progbits
; Kernel info:
; codeLenInByte = 0
; TotalNumSgprs: 0
; NumVgprs: 0
; ScratchSize: 0
; MemoryBound: 0
; FloatMode: 240
; IeeeMode: 1
; LDSByteSize: 0 bytes/workgroup (compile time only)
; SGPRBlocks: 0
; VGPRBlocks: 0
; NumSGPRsForWavesPerEU: 1
; NumVGPRsForWavesPerEU: 1
; NamedBarCnt: 0
; Occupancy: 16
; WaveLimiterHint : 0
; COMPUTE_PGM_RSRC2:SCRATCH_EN: 0
; COMPUTE_PGM_RSRC2:USER_SGPR: 2
; COMPUTE_PGM_RSRC2:TRAP_HANDLER: 0
; COMPUTE_PGM_RSRC2:TGID_X_EN: 1
; COMPUTE_PGM_RSRC2:TGID_Y_EN: 0
; COMPUTE_PGM_RSRC2:TGID_Z_EN: 0
; COMPUTE_PGM_RSRC2:TIDIG_COMP_CNT: 0
	.section	.text._ZN7rocprim17ROCPRIM_400000_NS6detail17trampoline_kernelINS0_14default_configENS1_35radix_sort_onesweep_config_selectorI12hip_bfloat16NS0_10empty_typeEEEZNS1_34radix_sort_onesweep_global_offsetsIS3_Lb0EPKS5_PS6_mNS0_19identity_decomposerEEE10hipError_tT1_T2_PT3_SG_jT4_jjP12ihipStream_tbEUlT_E_NS1_11comp_targetILNS1_3genE4ELNS1_11target_archE910ELNS1_3gpuE8ELNS1_3repE0EEENS1_52radix_sort_onesweep_histogram_config_static_selectorELNS0_4arch9wavefront6targetE0EEEvSE_,"axG",@progbits,_ZN7rocprim17ROCPRIM_400000_NS6detail17trampoline_kernelINS0_14default_configENS1_35radix_sort_onesweep_config_selectorI12hip_bfloat16NS0_10empty_typeEEEZNS1_34radix_sort_onesweep_global_offsetsIS3_Lb0EPKS5_PS6_mNS0_19identity_decomposerEEE10hipError_tT1_T2_PT3_SG_jT4_jjP12ihipStream_tbEUlT_E_NS1_11comp_targetILNS1_3genE4ELNS1_11target_archE910ELNS1_3gpuE8ELNS1_3repE0EEENS1_52radix_sort_onesweep_histogram_config_static_selectorELNS0_4arch9wavefront6targetE0EEEvSE_,comdat
	.protected	_ZN7rocprim17ROCPRIM_400000_NS6detail17trampoline_kernelINS0_14default_configENS1_35radix_sort_onesweep_config_selectorI12hip_bfloat16NS0_10empty_typeEEEZNS1_34radix_sort_onesweep_global_offsetsIS3_Lb0EPKS5_PS6_mNS0_19identity_decomposerEEE10hipError_tT1_T2_PT3_SG_jT4_jjP12ihipStream_tbEUlT_E_NS1_11comp_targetILNS1_3genE4ELNS1_11target_archE910ELNS1_3gpuE8ELNS1_3repE0EEENS1_52radix_sort_onesweep_histogram_config_static_selectorELNS0_4arch9wavefront6targetE0EEEvSE_ ; -- Begin function _ZN7rocprim17ROCPRIM_400000_NS6detail17trampoline_kernelINS0_14default_configENS1_35radix_sort_onesweep_config_selectorI12hip_bfloat16NS0_10empty_typeEEEZNS1_34radix_sort_onesweep_global_offsetsIS3_Lb0EPKS5_PS6_mNS0_19identity_decomposerEEE10hipError_tT1_T2_PT3_SG_jT4_jjP12ihipStream_tbEUlT_E_NS1_11comp_targetILNS1_3genE4ELNS1_11target_archE910ELNS1_3gpuE8ELNS1_3repE0EEENS1_52radix_sort_onesweep_histogram_config_static_selectorELNS0_4arch9wavefront6targetE0EEEvSE_
	.globl	_ZN7rocprim17ROCPRIM_400000_NS6detail17trampoline_kernelINS0_14default_configENS1_35radix_sort_onesweep_config_selectorI12hip_bfloat16NS0_10empty_typeEEEZNS1_34radix_sort_onesweep_global_offsetsIS3_Lb0EPKS5_PS6_mNS0_19identity_decomposerEEE10hipError_tT1_T2_PT3_SG_jT4_jjP12ihipStream_tbEUlT_E_NS1_11comp_targetILNS1_3genE4ELNS1_11target_archE910ELNS1_3gpuE8ELNS1_3repE0EEENS1_52radix_sort_onesweep_histogram_config_static_selectorELNS0_4arch9wavefront6targetE0EEEvSE_
	.p2align	8
	.type	_ZN7rocprim17ROCPRIM_400000_NS6detail17trampoline_kernelINS0_14default_configENS1_35radix_sort_onesweep_config_selectorI12hip_bfloat16NS0_10empty_typeEEEZNS1_34radix_sort_onesweep_global_offsetsIS3_Lb0EPKS5_PS6_mNS0_19identity_decomposerEEE10hipError_tT1_T2_PT3_SG_jT4_jjP12ihipStream_tbEUlT_E_NS1_11comp_targetILNS1_3genE4ELNS1_11target_archE910ELNS1_3gpuE8ELNS1_3repE0EEENS1_52radix_sort_onesweep_histogram_config_static_selectorELNS0_4arch9wavefront6targetE0EEEvSE_,@function
_ZN7rocprim17ROCPRIM_400000_NS6detail17trampoline_kernelINS0_14default_configENS1_35radix_sort_onesweep_config_selectorI12hip_bfloat16NS0_10empty_typeEEEZNS1_34radix_sort_onesweep_global_offsetsIS3_Lb0EPKS5_PS6_mNS0_19identity_decomposerEEE10hipError_tT1_T2_PT3_SG_jT4_jjP12ihipStream_tbEUlT_E_NS1_11comp_targetILNS1_3genE4ELNS1_11target_archE910ELNS1_3gpuE8ELNS1_3repE0EEENS1_52radix_sort_onesweep_histogram_config_static_selectorELNS0_4arch9wavefront6targetE0EEEvSE_: ; @_ZN7rocprim17ROCPRIM_400000_NS6detail17trampoline_kernelINS0_14default_configENS1_35radix_sort_onesweep_config_selectorI12hip_bfloat16NS0_10empty_typeEEEZNS1_34radix_sort_onesweep_global_offsetsIS3_Lb0EPKS5_PS6_mNS0_19identity_decomposerEEE10hipError_tT1_T2_PT3_SG_jT4_jjP12ihipStream_tbEUlT_E_NS1_11comp_targetILNS1_3genE4ELNS1_11target_archE910ELNS1_3gpuE8ELNS1_3repE0EEENS1_52radix_sort_onesweep_histogram_config_static_selectorELNS0_4arch9wavefront6targetE0EEEvSE_
; %bb.0:
	.section	.rodata,"a",@progbits
	.p2align	6, 0x0
	.amdhsa_kernel _ZN7rocprim17ROCPRIM_400000_NS6detail17trampoline_kernelINS0_14default_configENS1_35radix_sort_onesweep_config_selectorI12hip_bfloat16NS0_10empty_typeEEEZNS1_34radix_sort_onesweep_global_offsetsIS3_Lb0EPKS5_PS6_mNS0_19identity_decomposerEEE10hipError_tT1_T2_PT3_SG_jT4_jjP12ihipStream_tbEUlT_E_NS1_11comp_targetILNS1_3genE4ELNS1_11target_archE910ELNS1_3gpuE8ELNS1_3repE0EEENS1_52radix_sort_onesweep_histogram_config_static_selectorELNS0_4arch9wavefront6targetE0EEEvSE_
		.amdhsa_group_segment_fixed_size 0
		.amdhsa_private_segment_fixed_size 0
		.amdhsa_kernarg_size 48
		.amdhsa_user_sgpr_count 2
		.amdhsa_user_sgpr_dispatch_ptr 0
		.amdhsa_user_sgpr_queue_ptr 0
		.amdhsa_user_sgpr_kernarg_segment_ptr 1
		.amdhsa_user_sgpr_dispatch_id 0
		.amdhsa_user_sgpr_kernarg_preload_length 0
		.amdhsa_user_sgpr_kernarg_preload_offset 0
		.amdhsa_user_sgpr_private_segment_size 0
		.amdhsa_wavefront_size32 1
		.amdhsa_uses_dynamic_stack 0
		.amdhsa_enable_private_segment 0
		.amdhsa_system_sgpr_workgroup_id_x 1
		.amdhsa_system_sgpr_workgroup_id_y 0
		.amdhsa_system_sgpr_workgroup_id_z 0
		.amdhsa_system_sgpr_workgroup_info 0
		.amdhsa_system_vgpr_workitem_id 0
		.amdhsa_next_free_vgpr 1
		.amdhsa_next_free_sgpr 1
		.amdhsa_named_barrier_count 0
		.amdhsa_reserve_vcc 0
		.amdhsa_float_round_mode_32 0
		.amdhsa_float_round_mode_16_64 0
		.amdhsa_float_denorm_mode_32 3
		.amdhsa_float_denorm_mode_16_64 3
		.amdhsa_fp16_overflow 0
		.amdhsa_memory_ordered 1
		.amdhsa_forward_progress 1
		.amdhsa_inst_pref_size 0
		.amdhsa_round_robin_scheduling 0
		.amdhsa_exception_fp_ieee_invalid_op 0
		.amdhsa_exception_fp_denorm_src 0
		.amdhsa_exception_fp_ieee_div_zero 0
		.amdhsa_exception_fp_ieee_overflow 0
		.amdhsa_exception_fp_ieee_underflow 0
		.amdhsa_exception_fp_ieee_inexact 0
		.amdhsa_exception_int_div_zero 0
	.end_amdhsa_kernel
	.section	.text._ZN7rocprim17ROCPRIM_400000_NS6detail17trampoline_kernelINS0_14default_configENS1_35radix_sort_onesweep_config_selectorI12hip_bfloat16NS0_10empty_typeEEEZNS1_34radix_sort_onesweep_global_offsetsIS3_Lb0EPKS5_PS6_mNS0_19identity_decomposerEEE10hipError_tT1_T2_PT3_SG_jT4_jjP12ihipStream_tbEUlT_E_NS1_11comp_targetILNS1_3genE4ELNS1_11target_archE910ELNS1_3gpuE8ELNS1_3repE0EEENS1_52radix_sort_onesweep_histogram_config_static_selectorELNS0_4arch9wavefront6targetE0EEEvSE_,"axG",@progbits,_ZN7rocprim17ROCPRIM_400000_NS6detail17trampoline_kernelINS0_14default_configENS1_35radix_sort_onesweep_config_selectorI12hip_bfloat16NS0_10empty_typeEEEZNS1_34radix_sort_onesweep_global_offsetsIS3_Lb0EPKS5_PS6_mNS0_19identity_decomposerEEE10hipError_tT1_T2_PT3_SG_jT4_jjP12ihipStream_tbEUlT_E_NS1_11comp_targetILNS1_3genE4ELNS1_11target_archE910ELNS1_3gpuE8ELNS1_3repE0EEENS1_52radix_sort_onesweep_histogram_config_static_selectorELNS0_4arch9wavefront6targetE0EEEvSE_,comdat
.Lfunc_end2037:
	.size	_ZN7rocprim17ROCPRIM_400000_NS6detail17trampoline_kernelINS0_14default_configENS1_35radix_sort_onesweep_config_selectorI12hip_bfloat16NS0_10empty_typeEEEZNS1_34radix_sort_onesweep_global_offsetsIS3_Lb0EPKS5_PS6_mNS0_19identity_decomposerEEE10hipError_tT1_T2_PT3_SG_jT4_jjP12ihipStream_tbEUlT_E_NS1_11comp_targetILNS1_3genE4ELNS1_11target_archE910ELNS1_3gpuE8ELNS1_3repE0EEENS1_52radix_sort_onesweep_histogram_config_static_selectorELNS0_4arch9wavefront6targetE0EEEvSE_, .Lfunc_end2037-_ZN7rocprim17ROCPRIM_400000_NS6detail17trampoline_kernelINS0_14default_configENS1_35radix_sort_onesweep_config_selectorI12hip_bfloat16NS0_10empty_typeEEEZNS1_34radix_sort_onesweep_global_offsetsIS3_Lb0EPKS5_PS6_mNS0_19identity_decomposerEEE10hipError_tT1_T2_PT3_SG_jT4_jjP12ihipStream_tbEUlT_E_NS1_11comp_targetILNS1_3genE4ELNS1_11target_archE910ELNS1_3gpuE8ELNS1_3repE0EEENS1_52radix_sort_onesweep_histogram_config_static_selectorELNS0_4arch9wavefront6targetE0EEEvSE_
                                        ; -- End function
	.set _ZN7rocprim17ROCPRIM_400000_NS6detail17trampoline_kernelINS0_14default_configENS1_35radix_sort_onesweep_config_selectorI12hip_bfloat16NS0_10empty_typeEEEZNS1_34radix_sort_onesweep_global_offsetsIS3_Lb0EPKS5_PS6_mNS0_19identity_decomposerEEE10hipError_tT1_T2_PT3_SG_jT4_jjP12ihipStream_tbEUlT_E_NS1_11comp_targetILNS1_3genE4ELNS1_11target_archE910ELNS1_3gpuE8ELNS1_3repE0EEENS1_52radix_sort_onesweep_histogram_config_static_selectorELNS0_4arch9wavefront6targetE0EEEvSE_.num_vgpr, 0
	.set _ZN7rocprim17ROCPRIM_400000_NS6detail17trampoline_kernelINS0_14default_configENS1_35radix_sort_onesweep_config_selectorI12hip_bfloat16NS0_10empty_typeEEEZNS1_34radix_sort_onesweep_global_offsetsIS3_Lb0EPKS5_PS6_mNS0_19identity_decomposerEEE10hipError_tT1_T2_PT3_SG_jT4_jjP12ihipStream_tbEUlT_E_NS1_11comp_targetILNS1_3genE4ELNS1_11target_archE910ELNS1_3gpuE8ELNS1_3repE0EEENS1_52radix_sort_onesweep_histogram_config_static_selectorELNS0_4arch9wavefront6targetE0EEEvSE_.num_agpr, 0
	.set _ZN7rocprim17ROCPRIM_400000_NS6detail17trampoline_kernelINS0_14default_configENS1_35radix_sort_onesweep_config_selectorI12hip_bfloat16NS0_10empty_typeEEEZNS1_34radix_sort_onesweep_global_offsetsIS3_Lb0EPKS5_PS6_mNS0_19identity_decomposerEEE10hipError_tT1_T2_PT3_SG_jT4_jjP12ihipStream_tbEUlT_E_NS1_11comp_targetILNS1_3genE4ELNS1_11target_archE910ELNS1_3gpuE8ELNS1_3repE0EEENS1_52radix_sort_onesweep_histogram_config_static_selectorELNS0_4arch9wavefront6targetE0EEEvSE_.numbered_sgpr, 0
	.set _ZN7rocprim17ROCPRIM_400000_NS6detail17trampoline_kernelINS0_14default_configENS1_35radix_sort_onesweep_config_selectorI12hip_bfloat16NS0_10empty_typeEEEZNS1_34radix_sort_onesweep_global_offsetsIS3_Lb0EPKS5_PS6_mNS0_19identity_decomposerEEE10hipError_tT1_T2_PT3_SG_jT4_jjP12ihipStream_tbEUlT_E_NS1_11comp_targetILNS1_3genE4ELNS1_11target_archE910ELNS1_3gpuE8ELNS1_3repE0EEENS1_52radix_sort_onesweep_histogram_config_static_selectorELNS0_4arch9wavefront6targetE0EEEvSE_.num_named_barrier, 0
	.set _ZN7rocprim17ROCPRIM_400000_NS6detail17trampoline_kernelINS0_14default_configENS1_35radix_sort_onesweep_config_selectorI12hip_bfloat16NS0_10empty_typeEEEZNS1_34radix_sort_onesweep_global_offsetsIS3_Lb0EPKS5_PS6_mNS0_19identity_decomposerEEE10hipError_tT1_T2_PT3_SG_jT4_jjP12ihipStream_tbEUlT_E_NS1_11comp_targetILNS1_3genE4ELNS1_11target_archE910ELNS1_3gpuE8ELNS1_3repE0EEENS1_52radix_sort_onesweep_histogram_config_static_selectorELNS0_4arch9wavefront6targetE0EEEvSE_.private_seg_size, 0
	.set _ZN7rocprim17ROCPRIM_400000_NS6detail17trampoline_kernelINS0_14default_configENS1_35radix_sort_onesweep_config_selectorI12hip_bfloat16NS0_10empty_typeEEEZNS1_34radix_sort_onesweep_global_offsetsIS3_Lb0EPKS5_PS6_mNS0_19identity_decomposerEEE10hipError_tT1_T2_PT3_SG_jT4_jjP12ihipStream_tbEUlT_E_NS1_11comp_targetILNS1_3genE4ELNS1_11target_archE910ELNS1_3gpuE8ELNS1_3repE0EEENS1_52radix_sort_onesweep_histogram_config_static_selectorELNS0_4arch9wavefront6targetE0EEEvSE_.uses_vcc, 0
	.set _ZN7rocprim17ROCPRIM_400000_NS6detail17trampoline_kernelINS0_14default_configENS1_35radix_sort_onesweep_config_selectorI12hip_bfloat16NS0_10empty_typeEEEZNS1_34radix_sort_onesweep_global_offsetsIS3_Lb0EPKS5_PS6_mNS0_19identity_decomposerEEE10hipError_tT1_T2_PT3_SG_jT4_jjP12ihipStream_tbEUlT_E_NS1_11comp_targetILNS1_3genE4ELNS1_11target_archE910ELNS1_3gpuE8ELNS1_3repE0EEENS1_52radix_sort_onesweep_histogram_config_static_selectorELNS0_4arch9wavefront6targetE0EEEvSE_.uses_flat_scratch, 0
	.set _ZN7rocprim17ROCPRIM_400000_NS6detail17trampoline_kernelINS0_14default_configENS1_35radix_sort_onesweep_config_selectorI12hip_bfloat16NS0_10empty_typeEEEZNS1_34radix_sort_onesweep_global_offsetsIS3_Lb0EPKS5_PS6_mNS0_19identity_decomposerEEE10hipError_tT1_T2_PT3_SG_jT4_jjP12ihipStream_tbEUlT_E_NS1_11comp_targetILNS1_3genE4ELNS1_11target_archE910ELNS1_3gpuE8ELNS1_3repE0EEENS1_52radix_sort_onesweep_histogram_config_static_selectorELNS0_4arch9wavefront6targetE0EEEvSE_.has_dyn_sized_stack, 0
	.set _ZN7rocprim17ROCPRIM_400000_NS6detail17trampoline_kernelINS0_14default_configENS1_35radix_sort_onesweep_config_selectorI12hip_bfloat16NS0_10empty_typeEEEZNS1_34radix_sort_onesweep_global_offsetsIS3_Lb0EPKS5_PS6_mNS0_19identity_decomposerEEE10hipError_tT1_T2_PT3_SG_jT4_jjP12ihipStream_tbEUlT_E_NS1_11comp_targetILNS1_3genE4ELNS1_11target_archE910ELNS1_3gpuE8ELNS1_3repE0EEENS1_52radix_sort_onesweep_histogram_config_static_selectorELNS0_4arch9wavefront6targetE0EEEvSE_.has_recursion, 0
	.set _ZN7rocprim17ROCPRIM_400000_NS6detail17trampoline_kernelINS0_14default_configENS1_35radix_sort_onesweep_config_selectorI12hip_bfloat16NS0_10empty_typeEEEZNS1_34radix_sort_onesweep_global_offsetsIS3_Lb0EPKS5_PS6_mNS0_19identity_decomposerEEE10hipError_tT1_T2_PT3_SG_jT4_jjP12ihipStream_tbEUlT_E_NS1_11comp_targetILNS1_3genE4ELNS1_11target_archE910ELNS1_3gpuE8ELNS1_3repE0EEENS1_52radix_sort_onesweep_histogram_config_static_selectorELNS0_4arch9wavefront6targetE0EEEvSE_.has_indirect_call, 0
	.section	.AMDGPU.csdata,"",@progbits
; Kernel info:
; codeLenInByte = 0
; TotalNumSgprs: 0
; NumVgprs: 0
; ScratchSize: 0
; MemoryBound: 0
; FloatMode: 240
; IeeeMode: 1
; LDSByteSize: 0 bytes/workgroup (compile time only)
; SGPRBlocks: 0
; VGPRBlocks: 0
; NumSGPRsForWavesPerEU: 1
; NumVGPRsForWavesPerEU: 1
; NamedBarCnt: 0
; Occupancy: 16
; WaveLimiterHint : 0
; COMPUTE_PGM_RSRC2:SCRATCH_EN: 0
; COMPUTE_PGM_RSRC2:USER_SGPR: 2
; COMPUTE_PGM_RSRC2:TRAP_HANDLER: 0
; COMPUTE_PGM_RSRC2:TGID_X_EN: 1
; COMPUTE_PGM_RSRC2:TGID_Y_EN: 0
; COMPUTE_PGM_RSRC2:TGID_Z_EN: 0
; COMPUTE_PGM_RSRC2:TIDIG_COMP_CNT: 0
	.section	.text._ZN7rocprim17ROCPRIM_400000_NS6detail17trampoline_kernelINS0_14default_configENS1_35radix_sort_onesweep_config_selectorI12hip_bfloat16NS0_10empty_typeEEEZNS1_34radix_sort_onesweep_global_offsetsIS3_Lb0EPKS5_PS6_mNS0_19identity_decomposerEEE10hipError_tT1_T2_PT3_SG_jT4_jjP12ihipStream_tbEUlT_E_NS1_11comp_targetILNS1_3genE3ELNS1_11target_archE908ELNS1_3gpuE7ELNS1_3repE0EEENS1_52radix_sort_onesweep_histogram_config_static_selectorELNS0_4arch9wavefront6targetE0EEEvSE_,"axG",@progbits,_ZN7rocprim17ROCPRIM_400000_NS6detail17trampoline_kernelINS0_14default_configENS1_35radix_sort_onesweep_config_selectorI12hip_bfloat16NS0_10empty_typeEEEZNS1_34radix_sort_onesweep_global_offsetsIS3_Lb0EPKS5_PS6_mNS0_19identity_decomposerEEE10hipError_tT1_T2_PT3_SG_jT4_jjP12ihipStream_tbEUlT_E_NS1_11comp_targetILNS1_3genE3ELNS1_11target_archE908ELNS1_3gpuE7ELNS1_3repE0EEENS1_52radix_sort_onesweep_histogram_config_static_selectorELNS0_4arch9wavefront6targetE0EEEvSE_,comdat
	.protected	_ZN7rocprim17ROCPRIM_400000_NS6detail17trampoline_kernelINS0_14default_configENS1_35radix_sort_onesweep_config_selectorI12hip_bfloat16NS0_10empty_typeEEEZNS1_34radix_sort_onesweep_global_offsetsIS3_Lb0EPKS5_PS6_mNS0_19identity_decomposerEEE10hipError_tT1_T2_PT3_SG_jT4_jjP12ihipStream_tbEUlT_E_NS1_11comp_targetILNS1_3genE3ELNS1_11target_archE908ELNS1_3gpuE7ELNS1_3repE0EEENS1_52radix_sort_onesweep_histogram_config_static_selectorELNS0_4arch9wavefront6targetE0EEEvSE_ ; -- Begin function _ZN7rocprim17ROCPRIM_400000_NS6detail17trampoline_kernelINS0_14default_configENS1_35radix_sort_onesweep_config_selectorI12hip_bfloat16NS0_10empty_typeEEEZNS1_34radix_sort_onesweep_global_offsetsIS3_Lb0EPKS5_PS6_mNS0_19identity_decomposerEEE10hipError_tT1_T2_PT3_SG_jT4_jjP12ihipStream_tbEUlT_E_NS1_11comp_targetILNS1_3genE3ELNS1_11target_archE908ELNS1_3gpuE7ELNS1_3repE0EEENS1_52radix_sort_onesweep_histogram_config_static_selectorELNS0_4arch9wavefront6targetE0EEEvSE_
	.globl	_ZN7rocprim17ROCPRIM_400000_NS6detail17trampoline_kernelINS0_14default_configENS1_35radix_sort_onesweep_config_selectorI12hip_bfloat16NS0_10empty_typeEEEZNS1_34radix_sort_onesweep_global_offsetsIS3_Lb0EPKS5_PS6_mNS0_19identity_decomposerEEE10hipError_tT1_T2_PT3_SG_jT4_jjP12ihipStream_tbEUlT_E_NS1_11comp_targetILNS1_3genE3ELNS1_11target_archE908ELNS1_3gpuE7ELNS1_3repE0EEENS1_52radix_sort_onesweep_histogram_config_static_selectorELNS0_4arch9wavefront6targetE0EEEvSE_
	.p2align	8
	.type	_ZN7rocprim17ROCPRIM_400000_NS6detail17trampoline_kernelINS0_14default_configENS1_35radix_sort_onesweep_config_selectorI12hip_bfloat16NS0_10empty_typeEEEZNS1_34radix_sort_onesweep_global_offsetsIS3_Lb0EPKS5_PS6_mNS0_19identity_decomposerEEE10hipError_tT1_T2_PT3_SG_jT4_jjP12ihipStream_tbEUlT_E_NS1_11comp_targetILNS1_3genE3ELNS1_11target_archE908ELNS1_3gpuE7ELNS1_3repE0EEENS1_52radix_sort_onesweep_histogram_config_static_selectorELNS0_4arch9wavefront6targetE0EEEvSE_,@function
_ZN7rocprim17ROCPRIM_400000_NS6detail17trampoline_kernelINS0_14default_configENS1_35radix_sort_onesweep_config_selectorI12hip_bfloat16NS0_10empty_typeEEEZNS1_34radix_sort_onesweep_global_offsetsIS3_Lb0EPKS5_PS6_mNS0_19identity_decomposerEEE10hipError_tT1_T2_PT3_SG_jT4_jjP12ihipStream_tbEUlT_E_NS1_11comp_targetILNS1_3genE3ELNS1_11target_archE908ELNS1_3gpuE7ELNS1_3repE0EEENS1_52radix_sort_onesweep_histogram_config_static_selectorELNS0_4arch9wavefront6targetE0EEEvSE_: ; @_ZN7rocprim17ROCPRIM_400000_NS6detail17trampoline_kernelINS0_14default_configENS1_35radix_sort_onesweep_config_selectorI12hip_bfloat16NS0_10empty_typeEEEZNS1_34radix_sort_onesweep_global_offsetsIS3_Lb0EPKS5_PS6_mNS0_19identity_decomposerEEE10hipError_tT1_T2_PT3_SG_jT4_jjP12ihipStream_tbEUlT_E_NS1_11comp_targetILNS1_3genE3ELNS1_11target_archE908ELNS1_3gpuE7ELNS1_3repE0EEENS1_52radix_sort_onesweep_histogram_config_static_selectorELNS0_4arch9wavefront6targetE0EEEvSE_
; %bb.0:
	.section	.rodata,"a",@progbits
	.p2align	6, 0x0
	.amdhsa_kernel _ZN7rocprim17ROCPRIM_400000_NS6detail17trampoline_kernelINS0_14default_configENS1_35radix_sort_onesweep_config_selectorI12hip_bfloat16NS0_10empty_typeEEEZNS1_34radix_sort_onesweep_global_offsetsIS3_Lb0EPKS5_PS6_mNS0_19identity_decomposerEEE10hipError_tT1_T2_PT3_SG_jT4_jjP12ihipStream_tbEUlT_E_NS1_11comp_targetILNS1_3genE3ELNS1_11target_archE908ELNS1_3gpuE7ELNS1_3repE0EEENS1_52radix_sort_onesweep_histogram_config_static_selectorELNS0_4arch9wavefront6targetE0EEEvSE_
		.amdhsa_group_segment_fixed_size 0
		.amdhsa_private_segment_fixed_size 0
		.amdhsa_kernarg_size 48
		.amdhsa_user_sgpr_count 2
		.amdhsa_user_sgpr_dispatch_ptr 0
		.amdhsa_user_sgpr_queue_ptr 0
		.amdhsa_user_sgpr_kernarg_segment_ptr 1
		.amdhsa_user_sgpr_dispatch_id 0
		.amdhsa_user_sgpr_kernarg_preload_length 0
		.amdhsa_user_sgpr_kernarg_preload_offset 0
		.amdhsa_user_sgpr_private_segment_size 0
		.amdhsa_wavefront_size32 1
		.amdhsa_uses_dynamic_stack 0
		.amdhsa_enable_private_segment 0
		.amdhsa_system_sgpr_workgroup_id_x 1
		.amdhsa_system_sgpr_workgroup_id_y 0
		.amdhsa_system_sgpr_workgroup_id_z 0
		.amdhsa_system_sgpr_workgroup_info 0
		.amdhsa_system_vgpr_workitem_id 0
		.amdhsa_next_free_vgpr 1
		.amdhsa_next_free_sgpr 1
		.amdhsa_named_barrier_count 0
		.amdhsa_reserve_vcc 0
		.amdhsa_float_round_mode_32 0
		.amdhsa_float_round_mode_16_64 0
		.amdhsa_float_denorm_mode_32 3
		.amdhsa_float_denorm_mode_16_64 3
		.amdhsa_fp16_overflow 0
		.amdhsa_memory_ordered 1
		.amdhsa_forward_progress 1
		.amdhsa_inst_pref_size 0
		.amdhsa_round_robin_scheduling 0
		.amdhsa_exception_fp_ieee_invalid_op 0
		.amdhsa_exception_fp_denorm_src 0
		.amdhsa_exception_fp_ieee_div_zero 0
		.amdhsa_exception_fp_ieee_overflow 0
		.amdhsa_exception_fp_ieee_underflow 0
		.amdhsa_exception_fp_ieee_inexact 0
		.amdhsa_exception_int_div_zero 0
	.end_amdhsa_kernel
	.section	.text._ZN7rocprim17ROCPRIM_400000_NS6detail17trampoline_kernelINS0_14default_configENS1_35radix_sort_onesweep_config_selectorI12hip_bfloat16NS0_10empty_typeEEEZNS1_34radix_sort_onesweep_global_offsetsIS3_Lb0EPKS5_PS6_mNS0_19identity_decomposerEEE10hipError_tT1_T2_PT3_SG_jT4_jjP12ihipStream_tbEUlT_E_NS1_11comp_targetILNS1_3genE3ELNS1_11target_archE908ELNS1_3gpuE7ELNS1_3repE0EEENS1_52radix_sort_onesweep_histogram_config_static_selectorELNS0_4arch9wavefront6targetE0EEEvSE_,"axG",@progbits,_ZN7rocprim17ROCPRIM_400000_NS6detail17trampoline_kernelINS0_14default_configENS1_35radix_sort_onesweep_config_selectorI12hip_bfloat16NS0_10empty_typeEEEZNS1_34radix_sort_onesweep_global_offsetsIS3_Lb0EPKS5_PS6_mNS0_19identity_decomposerEEE10hipError_tT1_T2_PT3_SG_jT4_jjP12ihipStream_tbEUlT_E_NS1_11comp_targetILNS1_3genE3ELNS1_11target_archE908ELNS1_3gpuE7ELNS1_3repE0EEENS1_52radix_sort_onesweep_histogram_config_static_selectorELNS0_4arch9wavefront6targetE0EEEvSE_,comdat
.Lfunc_end2038:
	.size	_ZN7rocprim17ROCPRIM_400000_NS6detail17trampoline_kernelINS0_14default_configENS1_35radix_sort_onesweep_config_selectorI12hip_bfloat16NS0_10empty_typeEEEZNS1_34radix_sort_onesweep_global_offsetsIS3_Lb0EPKS5_PS6_mNS0_19identity_decomposerEEE10hipError_tT1_T2_PT3_SG_jT4_jjP12ihipStream_tbEUlT_E_NS1_11comp_targetILNS1_3genE3ELNS1_11target_archE908ELNS1_3gpuE7ELNS1_3repE0EEENS1_52radix_sort_onesweep_histogram_config_static_selectorELNS0_4arch9wavefront6targetE0EEEvSE_, .Lfunc_end2038-_ZN7rocprim17ROCPRIM_400000_NS6detail17trampoline_kernelINS0_14default_configENS1_35radix_sort_onesweep_config_selectorI12hip_bfloat16NS0_10empty_typeEEEZNS1_34radix_sort_onesweep_global_offsetsIS3_Lb0EPKS5_PS6_mNS0_19identity_decomposerEEE10hipError_tT1_T2_PT3_SG_jT4_jjP12ihipStream_tbEUlT_E_NS1_11comp_targetILNS1_3genE3ELNS1_11target_archE908ELNS1_3gpuE7ELNS1_3repE0EEENS1_52radix_sort_onesweep_histogram_config_static_selectorELNS0_4arch9wavefront6targetE0EEEvSE_
                                        ; -- End function
	.set _ZN7rocprim17ROCPRIM_400000_NS6detail17trampoline_kernelINS0_14default_configENS1_35radix_sort_onesweep_config_selectorI12hip_bfloat16NS0_10empty_typeEEEZNS1_34radix_sort_onesweep_global_offsetsIS3_Lb0EPKS5_PS6_mNS0_19identity_decomposerEEE10hipError_tT1_T2_PT3_SG_jT4_jjP12ihipStream_tbEUlT_E_NS1_11comp_targetILNS1_3genE3ELNS1_11target_archE908ELNS1_3gpuE7ELNS1_3repE0EEENS1_52radix_sort_onesweep_histogram_config_static_selectorELNS0_4arch9wavefront6targetE0EEEvSE_.num_vgpr, 0
	.set _ZN7rocprim17ROCPRIM_400000_NS6detail17trampoline_kernelINS0_14default_configENS1_35radix_sort_onesweep_config_selectorI12hip_bfloat16NS0_10empty_typeEEEZNS1_34radix_sort_onesweep_global_offsetsIS3_Lb0EPKS5_PS6_mNS0_19identity_decomposerEEE10hipError_tT1_T2_PT3_SG_jT4_jjP12ihipStream_tbEUlT_E_NS1_11comp_targetILNS1_3genE3ELNS1_11target_archE908ELNS1_3gpuE7ELNS1_3repE0EEENS1_52radix_sort_onesweep_histogram_config_static_selectorELNS0_4arch9wavefront6targetE0EEEvSE_.num_agpr, 0
	.set _ZN7rocprim17ROCPRIM_400000_NS6detail17trampoline_kernelINS0_14default_configENS1_35radix_sort_onesweep_config_selectorI12hip_bfloat16NS0_10empty_typeEEEZNS1_34radix_sort_onesweep_global_offsetsIS3_Lb0EPKS5_PS6_mNS0_19identity_decomposerEEE10hipError_tT1_T2_PT3_SG_jT4_jjP12ihipStream_tbEUlT_E_NS1_11comp_targetILNS1_3genE3ELNS1_11target_archE908ELNS1_3gpuE7ELNS1_3repE0EEENS1_52radix_sort_onesweep_histogram_config_static_selectorELNS0_4arch9wavefront6targetE0EEEvSE_.numbered_sgpr, 0
	.set _ZN7rocprim17ROCPRIM_400000_NS6detail17trampoline_kernelINS0_14default_configENS1_35radix_sort_onesweep_config_selectorI12hip_bfloat16NS0_10empty_typeEEEZNS1_34radix_sort_onesweep_global_offsetsIS3_Lb0EPKS5_PS6_mNS0_19identity_decomposerEEE10hipError_tT1_T2_PT3_SG_jT4_jjP12ihipStream_tbEUlT_E_NS1_11comp_targetILNS1_3genE3ELNS1_11target_archE908ELNS1_3gpuE7ELNS1_3repE0EEENS1_52radix_sort_onesweep_histogram_config_static_selectorELNS0_4arch9wavefront6targetE0EEEvSE_.num_named_barrier, 0
	.set _ZN7rocprim17ROCPRIM_400000_NS6detail17trampoline_kernelINS0_14default_configENS1_35radix_sort_onesweep_config_selectorI12hip_bfloat16NS0_10empty_typeEEEZNS1_34radix_sort_onesweep_global_offsetsIS3_Lb0EPKS5_PS6_mNS0_19identity_decomposerEEE10hipError_tT1_T2_PT3_SG_jT4_jjP12ihipStream_tbEUlT_E_NS1_11comp_targetILNS1_3genE3ELNS1_11target_archE908ELNS1_3gpuE7ELNS1_3repE0EEENS1_52radix_sort_onesweep_histogram_config_static_selectorELNS0_4arch9wavefront6targetE0EEEvSE_.private_seg_size, 0
	.set _ZN7rocprim17ROCPRIM_400000_NS6detail17trampoline_kernelINS0_14default_configENS1_35radix_sort_onesweep_config_selectorI12hip_bfloat16NS0_10empty_typeEEEZNS1_34radix_sort_onesweep_global_offsetsIS3_Lb0EPKS5_PS6_mNS0_19identity_decomposerEEE10hipError_tT1_T2_PT3_SG_jT4_jjP12ihipStream_tbEUlT_E_NS1_11comp_targetILNS1_3genE3ELNS1_11target_archE908ELNS1_3gpuE7ELNS1_3repE0EEENS1_52radix_sort_onesweep_histogram_config_static_selectorELNS0_4arch9wavefront6targetE0EEEvSE_.uses_vcc, 0
	.set _ZN7rocprim17ROCPRIM_400000_NS6detail17trampoline_kernelINS0_14default_configENS1_35radix_sort_onesweep_config_selectorI12hip_bfloat16NS0_10empty_typeEEEZNS1_34radix_sort_onesweep_global_offsetsIS3_Lb0EPKS5_PS6_mNS0_19identity_decomposerEEE10hipError_tT1_T2_PT3_SG_jT4_jjP12ihipStream_tbEUlT_E_NS1_11comp_targetILNS1_3genE3ELNS1_11target_archE908ELNS1_3gpuE7ELNS1_3repE0EEENS1_52radix_sort_onesweep_histogram_config_static_selectorELNS0_4arch9wavefront6targetE0EEEvSE_.uses_flat_scratch, 0
	.set _ZN7rocprim17ROCPRIM_400000_NS6detail17trampoline_kernelINS0_14default_configENS1_35radix_sort_onesweep_config_selectorI12hip_bfloat16NS0_10empty_typeEEEZNS1_34radix_sort_onesweep_global_offsetsIS3_Lb0EPKS5_PS6_mNS0_19identity_decomposerEEE10hipError_tT1_T2_PT3_SG_jT4_jjP12ihipStream_tbEUlT_E_NS1_11comp_targetILNS1_3genE3ELNS1_11target_archE908ELNS1_3gpuE7ELNS1_3repE0EEENS1_52radix_sort_onesweep_histogram_config_static_selectorELNS0_4arch9wavefront6targetE0EEEvSE_.has_dyn_sized_stack, 0
	.set _ZN7rocprim17ROCPRIM_400000_NS6detail17trampoline_kernelINS0_14default_configENS1_35radix_sort_onesweep_config_selectorI12hip_bfloat16NS0_10empty_typeEEEZNS1_34radix_sort_onesweep_global_offsetsIS3_Lb0EPKS5_PS6_mNS0_19identity_decomposerEEE10hipError_tT1_T2_PT3_SG_jT4_jjP12ihipStream_tbEUlT_E_NS1_11comp_targetILNS1_3genE3ELNS1_11target_archE908ELNS1_3gpuE7ELNS1_3repE0EEENS1_52radix_sort_onesweep_histogram_config_static_selectorELNS0_4arch9wavefront6targetE0EEEvSE_.has_recursion, 0
	.set _ZN7rocprim17ROCPRIM_400000_NS6detail17trampoline_kernelINS0_14default_configENS1_35radix_sort_onesweep_config_selectorI12hip_bfloat16NS0_10empty_typeEEEZNS1_34radix_sort_onesweep_global_offsetsIS3_Lb0EPKS5_PS6_mNS0_19identity_decomposerEEE10hipError_tT1_T2_PT3_SG_jT4_jjP12ihipStream_tbEUlT_E_NS1_11comp_targetILNS1_3genE3ELNS1_11target_archE908ELNS1_3gpuE7ELNS1_3repE0EEENS1_52radix_sort_onesweep_histogram_config_static_selectorELNS0_4arch9wavefront6targetE0EEEvSE_.has_indirect_call, 0
	.section	.AMDGPU.csdata,"",@progbits
; Kernel info:
; codeLenInByte = 0
; TotalNumSgprs: 0
; NumVgprs: 0
; ScratchSize: 0
; MemoryBound: 0
; FloatMode: 240
; IeeeMode: 1
; LDSByteSize: 0 bytes/workgroup (compile time only)
; SGPRBlocks: 0
; VGPRBlocks: 0
; NumSGPRsForWavesPerEU: 1
; NumVGPRsForWavesPerEU: 1
; NamedBarCnt: 0
; Occupancy: 16
; WaveLimiterHint : 0
; COMPUTE_PGM_RSRC2:SCRATCH_EN: 0
; COMPUTE_PGM_RSRC2:USER_SGPR: 2
; COMPUTE_PGM_RSRC2:TRAP_HANDLER: 0
; COMPUTE_PGM_RSRC2:TGID_X_EN: 1
; COMPUTE_PGM_RSRC2:TGID_Y_EN: 0
; COMPUTE_PGM_RSRC2:TGID_Z_EN: 0
; COMPUTE_PGM_RSRC2:TIDIG_COMP_CNT: 0
	.section	.text._ZN7rocprim17ROCPRIM_400000_NS6detail17trampoline_kernelINS0_14default_configENS1_35radix_sort_onesweep_config_selectorI12hip_bfloat16NS0_10empty_typeEEEZNS1_34radix_sort_onesweep_global_offsetsIS3_Lb0EPKS5_PS6_mNS0_19identity_decomposerEEE10hipError_tT1_T2_PT3_SG_jT4_jjP12ihipStream_tbEUlT_E_NS1_11comp_targetILNS1_3genE10ELNS1_11target_archE1201ELNS1_3gpuE5ELNS1_3repE0EEENS1_52radix_sort_onesweep_histogram_config_static_selectorELNS0_4arch9wavefront6targetE0EEEvSE_,"axG",@progbits,_ZN7rocprim17ROCPRIM_400000_NS6detail17trampoline_kernelINS0_14default_configENS1_35radix_sort_onesweep_config_selectorI12hip_bfloat16NS0_10empty_typeEEEZNS1_34radix_sort_onesweep_global_offsetsIS3_Lb0EPKS5_PS6_mNS0_19identity_decomposerEEE10hipError_tT1_T2_PT3_SG_jT4_jjP12ihipStream_tbEUlT_E_NS1_11comp_targetILNS1_3genE10ELNS1_11target_archE1201ELNS1_3gpuE5ELNS1_3repE0EEENS1_52radix_sort_onesweep_histogram_config_static_selectorELNS0_4arch9wavefront6targetE0EEEvSE_,comdat
	.protected	_ZN7rocprim17ROCPRIM_400000_NS6detail17trampoline_kernelINS0_14default_configENS1_35radix_sort_onesweep_config_selectorI12hip_bfloat16NS0_10empty_typeEEEZNS1_34radix_sort_onesweep_global_offsetsIS3_Lb0EPKS5_PS6_mNS0_19identity_decomposerEEE10hipError_tT1_T2_PT3_SG_jT4_jjP12ihipStream_tbEUlT_E_NS1_11comp_targetILNS1_3genE10ELNS1_11target_archE1201ELNS1_3gpuE5ELNS1_3repE0EEENS1_52radix_sort_onesweep_histogram_config_static_selectorELNS0_4arch9wavefront6targetE0EEEvSE_ ; -- Begin function _ZN7rocprim17ROCPRIM_400000_NS6detail17trampoline_kernelINS0_14default_configENS1_35radix_sort_onesweep_config_selectorI12hip_bfloat16NS0_10empty_typeEEEZNS1_34radix_sort_onesweep_global_offsetsIS3_Lb0EPKS5_PS6_mNS0_19identity_decomposerEEE10hipError_tT1_T2_PT3_SG_jT4_jjP12ihipStream_tbEUlT_E_NS1_11comp_targetILNS1_3genE10ELNS1_11target_archE1201ELNS1_3gpuE5ELNS1_3repE0EEENS1_52radix_sort_onesweep_histogram_config_static_selectorELNS0_4arch9wavefront6targetE0EEEvSE_
	.globl	_ZN7rocprim17ROCPRIM_400000_NS6detail17trampoline_kernelINS0_14default_configENS1_35radix_sort_onesweep_config_selectorI12hip_bfloat16NS0_10empty_typeEEEZNS1_34radix_sort_onesweep_global_offsetsIS3_Lb0EPKS5_PS6_mNS0_19identity_decomposerEEE10hipError_tT1_T2_PT3_SG_jT4_jjP12ihipStream_tbEUlT_E_NS1_11comp_targetILNS1_3genE10ELNS1_11target_archE1201ELNS1_3gpuE5ELNS1_3repE0EEENS1_52radix_sort_onesweep_histogram_config_static_selectorELNS0_4arch9wavefront6targetE0EEEvSE_
	.p2align	8
	.type	_ZN7rocprim17ROCPRIM_400000_NS6detail17trampoline_kernelINS0_14default_configENS1_35radix_sort_onesweep_config_selectorI12hip_bfloat16NS0_10empty_typeEEEZNS1_34radix_sort_onesweep_global_offsetsIS3_Lb0EPKS5_PS6_mNS0_19identity_decomposerEEE10hipError_tT1_T2_PT3_SG_jT4_jjP12ihipStream_tbEUlT_E_NS1_11comp_targetILNS1_3genE10ELNS1_11target_archE1201ELNS1_3gpuE5ELNS1_3repE0EEENS1_52radix_sort_onesweep_histogram_config_static_selectorELNS0_4arch9wavefront6targetE0EEEvSE_,@function
_ZN7rocprim17ROCPRIM_400000_NS6detail17trampoline_kernelINS0_14default_configENS1_35radix_sort_onesweep_config_selectorI12hip_bfloat16NS0_10empty_typeEEEZNS1_34radix_sort_onesweep_global_offsetsIS3_Lb0EPKS5_PS6_mNS0_19identity_decomposerEEE10hipError_tT1_T2_PT3_SG_jT4_jjP12ihipStream_tbEUlT_E_NS1_11comp_targetILNS1_3genE10ELNS1_11target_archE1201ELNS1_3gpuE5ELNS1_3repE0EEENS1_52radix_sort_onesweep_histogram_config_static_selectorELNS0_4arch9wavefront6targetE0EEEvSE_: ; @_ZN7rocprim17ROCPRIM_400000_NS6detail17trampoline_kernelINS0_14default_configENS1_35radix_sort_onesweep_config_selectorI12hip_bfloat16NS0_10empty_typeEEEZNS1_34radix_sort_onesweep_global_offsetsIS3_Lb0EPKS5_PS6_mNS0_19identity_decomposerEEE10hipError_tT1_T2_PT3_SG_jT4_jjP12ihipStream_tbEUlT_E_NS1_11comp_targetILNS1_3genE10ELNS1_11target_archE1201ELNS1_3gpuE5ELNS1_3repE0EEENS1_52radix_sort_onesweep_histogram_config_static_selectorELNS0_4arch9wavefront6targetE0EEEvSE_
; %bb.0:
	.section	.rodata,"a",@progbits
	.p2align	6, 0x0
	.amdhsa_kernel _ZN7rocprim17ROCPRIM_400000_NS6detail17trampoline_kernelINS0_14default_configENS1_35radix_sort_onesweep_config_selectorI12hip_bfloat16NS0_10empty_typeEEEZNS1_34radix_sort_onesweep_global_offsetsIS3_Lb0EPKS5_PS6_mNS0_19identity_decomposerEEE10hipError_tT1_T2_PT3_SG_jT4_jjP12ihipStream_tbEUlT_E_NS1_11comp_targetILNS1_3genE10ELNS1_11target_archE1201ELNS1_3gpuE5ELNS1_3repE0EEENS1_52radix_sort_onesweep_histogram_config_static_selectorELNS0_4arch9wavefront6targetE0EEEvSE_
		.amdhsa_group_segment_fixed_size 0
		.amdhsa_private_segment_fixed_size 0
		.amdhsa_kernarg_size 48
		.amdhsa_user_sgpr_count 2
		.amdhsa_user_sgpr_dispatch_ptr 0
		.amdhsa_user_sgpr_queue_ptr 0
		.amdhsa_user_sgpr_kernarg_segment_ptr 1
		.amdhsa_user_sgpr_dispatch_id 0
		.amdhsa_user_sgpr_kernarg_preload_length 0
		.amdhsa_user_sgpr_kernarg_preload_offset 0
		.amdhsa_user_sgpr_private_segment_size 0
		.amdhsa_wavefront_size32 1
		.amdhsa_uses_dynamic_stack 0
		.amdhsa_enable_private_segment 0
		.amdhsa_system_sgpr_workgroup_id_x 1
		.amdhsa_system_sgpr_workgroup_id_y 0
		.amdhsa_system_sgpr_workgroup_id_z 0
		.amdhsa_system_sgpr_workgroup_info 0
		.amdhsa_system_vgpr_workitem_id 0
		.amdhsa_next_free_vgpr 1
		.amdhsa_next_free_sgpr 1
		.amdhsa_named_barrier_count 0
		.amdhsa_reserve_vcc 0
		.amdhsa_float_round_mode_32 0
		.amdhsa_float_round_mode_16_64 0
		.amdhsa_float_denorm_mode_32 3
		.amdhsa_float_denorm_mode_16_64 3
		.amdhsa_fp16_overflow 0
		.amdhsa_memory_ordered 1
		.amdhsa_forward_progress 1
		.amdhsa_inst_pref_size 0
		.amdhsa_round_robin_scheduling 0
		.amdhsa_exception_fp_ieee_invalid_op 0
		.amdhsa_exception_fp_denorm_src 0
		.amdhsa_exception_fp_ieee_div_zero 0
		.amdhsa_exception_fp_ieee_overflow 0
		.amdhsa_exception_fp_ieee_underflow 0
		.amdhsa_exception_fp_ieee_inexact 0
		.amdhsa_exception_int_div_zero 0
	.end_amdhsa_kernel
	.section	.text._ZN7rocprim17ROCPRIM_400000_NS6detail17trampoline_kernelINS0_14default_configENS1_35radix_sort_onesweep_config_selectorI12hip_bfloat16NS0_10empty_typeEEEZNS1_34radix_sort_onesweep_global_offsetsIS3_Lb0EPKS5_PS6_mNS0_19identity_decomposerEEE10hipError_tT1_T2_PT3_SG_jT4_jjP12ihipStream_tbEUlT_E_NS1_11comp_targetILNS1_3genE10ELNS1_11target_archE1201ELNS1_3gpuE5ELNS1_3repE0EEENS1_52radix_sort_onesweep_histogram_config_static_selectorELNS0_4arch9wavefront6targetE0EEEvSE_,"axG",@progbits,_ZN7rocprim17ROCPRIM_400000_NS6detail17trampoline_kernelINS0_14default_configENS1_35radix_sort_onesweep_config_selectorI12hip_bfloat16NS0_10empty_typeEEEZNS1_34radix_sort_onesweep_global_offsetsIS3_Lb0EPKS5_PS6_mNS0_19identity_decomposerEEE10hipError_tT1_T2_PT3_SG_jT4_jjP12ihipStream_tbEUlT_E_NS1_11comp_targetILNS1_3genE10ELNS1_11target_archE1201ELNS1_3gpuE5ELNS1_3repE0EEENS1_52radix_sort_onesweep_histogram_config_static_selectorELNS0_4arch9wavefront6targetE0EEEvSE_,comdat
.Lfunc_end2039:
	.size	_ZN7rocprim17ROCPRIM_400000_NS6detail17trampoline_kernelINS0_14default_configENS1_35radix_sort_onesweep_config_selectorI12hip_bfloat16NS0_10empty_typeEEEZNS1_34radix_sort_onesweep_global_offsetsIS3_Lb0EPKS5_PS6_mNS0_19identity_decomposerEEE10hipError_tT1_T2_PT3_SG_jT4_jjP12ihipStream_tbEUlT_E_NS1_11comp_targetILNS1_3genE10ELNS1_11target_archE1201ELNS1_3gpuE5ELNS1_3repE0EEENS1_52radix_sort_onesweep_histogram_config_static_selectorELNS0_4arch9wavefront6targetE0EEEvSE_, .Lfunc_end2039-_ZN7rocprim17ROCPRIM_400000_NS6detail17trampoline_kernelINS0_14default_configENS1_35radix_sort_onesweep_config_selectorI12hip_bfloat16NS0_10empty_typeEEEZNS1_34radix_sort_onesweep_global_offsetsIS3_Lb0EPKS5_PS6_mNS0_19identity_decomposerEEE10hipError_tT1_T2_PT3_SG_jT4_jjP12ihipStream_tbEUlT_E_NS1_11comp_targetILNS1_3genE10ELNS1_11target_archE1201ELNS1_3gpuE5ELNS1_3repE0EEENS1_52radix_sort_onesweep_histogram_config_static_selectorELNS0_4arch9wavefront6targetE0EEEvSE_
                                        ; -- End function
	.set _ZN7rocprim17ROCPRIM_400000_NS6detail17trampoline_kernelINS0_14default_configENS1_35radix_sort_onesweep_config_selectorI12hip_bfloat16NS0_10empty_typeEEEZNS1_34radix_sort_onesweep_global_offsetsIS3_Lb0EPKS5_PS6_mNS0_19identity_decomposerEEE10hipError_tT1_T2_PT3_SG_jT4_jjP12ihipStream_tbEUlT_E_NS1_11comp_targetILNS1_3genE10ELNS1_11target_archE1201ELNS1_3gpuE5ELNS1_3repE0EEENS1_52radix_sort_onesweep_histogram_config_static_selectorELNS0_4arch9wavefront6targetE0EEEvSE_.num_vgpr, 0
	.set _ZN7rocprim17ROCPRIM_400000_NS6detail17trampoline_kernelINS0_14default_configENS1_35radix_sort_onesweep_config_selectorI12hip_bfloat16NS0_10empty_typeEEEZNS1_34radix_sort_onesweep_global_offsetsIS3_Lb0EPKS5_PS6_mNS0_19identity_decomposerEEE10hipError_tT1_T2_PT3_SG_jT4_jjP12ihipStream_tbEUlT_E_NS1_11comp_targetILNS1_3genE10ELNS1_11target_archE1201ELNS1_3gpuE5ELNS1_3repE0EEENS1_52radix_sort_onesweep_histogram_config_static_selectorELNS0_4arch9wavefront6targetE0EEEvSE_.num_agpr, 0
	.set _ZN7rocprim17ROCPRIM_400000_NS6detail17trampoline_kernelINS0_14default_configENS1_35radix_sort_onesweep_config_selectorI12hip_bfloat16NS0_10empty_typeEEEZNS1_34radix_sort_onesweep_global_offsetsIS3_Lb0EPKS5_PS6_mNS0_19identity_decomposerEEE10hipError_tT1_T2_PT3_SG_jT4_jjP12ihipStream_tbEUlT_E_NS1_11comp_targetILNS1_3genE10ELNS1_11target_archE1201ELNS1_3gpuE5ELNS1_3repE0EEENS1_52radix_sort_onesweep_histogram_config_static_selectorELNS0_4arch9wavefront6targetE0EEEvSE_.numbered_sgpr, 0
	.set _ZN7rocprim17ROCPRIM_400000_NS6detail17trampoline_kernelINS0_14default_configENS1_35radix_sort_onesweep_config_selectorI12hip_bfloat16NS0_10empty_typeEEEZNS1_34radix_sort_onesweep_global_offsetsIS3_Lb0EPKS5_PS6_mNS0_19identity_decomposerEEE10hipError_tT1_T2_PT3_SG_jT4_jjP12ihipStream_tbEUlT_E_NS1_11comp_targetILNS1_3genE10ELNS1_11target_archE1201ELNS1_3gpuE5ELNS1_3repE0EEENS1_52radix_sort_onesweep_histogram_config_static_selectorELNS0_4arch9wavefront6targetE0EEEvSE_.num_named_barrier, 0
	.set _ZN7rocprim17ROCPRIM_400000_NS6detail17trampoline_kernelINS0_14default_configENS1_35radix_sort_onesweep_config_selectorI12hip_bfloat16NS0_10empty_typeEEEZNS1_34radix_sort_onesweep_global_offsetsIS3_Lb0EPKS5_PS6_mNS0_19identity_decomposerEEE10hipError_tT1_T2_PT3_SG_jT4_jjP12ihipStream_tbEUlT_E_NS1_11comp_targetILNS1_3genE10ELNS1_11target_archE1201ELNS1_3gpuE5ELNS1_3repE0EEENS1_52radix_sort_onesweep_histogram_config_static_selectorELNS0_4arch9wavefront6targetE0EEEvSE_.private_seg_size, 0
	.set _ZN7rocprim17ROCPRIM_400000_NS6detail17trampoline_kernelINS0_14default_configENS1_35radix_sort_onesweep_config_selectorI12hip_bfloat16NS0_10empty_typeEEEZNS1_34radix_sort_onesweep_global_offsetsIS3_Lb0EPKS5_PS6_mNS0_19identity_decomposerEEE10hipError_tT1_T2_PT3_SG_jT4_jjP12ihipStream_tbEUlT_E_NS1_11comp_targetILNS1_3genE10ELNS1_11target_archE1201ELNS1_3gpuE5ELNS1_3repE0EEENS1_52radix_sort_onesweep_histogram_config_static_selectorELNS0_4arch9wavefront6targetE0EEEvSE_.uses_vcc, 0
	.set _ZN7rocprim17ROCPRIM_400000_NS6detail17trampoline_kernelINS0_14default_configENS1_35radix_sort_onesweep_config_selectorI12hip_bfloat16NS0_10empty_typeEEEZNS1_34radix_sort_onesweep_global_offsetsIS3_Lb0EPKS5_PS6_mNS0_19identity_decomposerEEE10hipError_tT1_T2_PT3_SG_jT4_jjP12ihipStream_tbEUlT_E_NS1_11comp_targetILNS1_3genE10ELNS1_11target_archE1201ELNS1_3gpuE5ELNS1_3repE0EEENS1_52radix_sort_onesweep_histogram_config_static_selectorELNS0_4arch9wavefront6targetE0EEEvSE_.uses_flat_scratch, 0
	.set _ZN7rocprim17ROCPRIM_400000_NS6detail17trampoline_kernelINS0_14default_configENS1_35radix_sort_onesweep_config_selectorI12hip_bfloat16NS0_10empty_typeEEEZNS1_34radix_sort_onesweep_global_offsetsIS3_Lb0EPKS5_PS6_mNS0_19identity_decomposerEEE10hipError_tT1_T2_PT3_SG_jT4_jjP12ihipStream_tbEUlT_E_NS1_11comp_targetILNS1_3genE10ELNS1_11target_archE1201ELNS1_3gpuE5ELNS1_3repE0EEENS1_52radix_sort_onesweep_histogram_config_static_selectorELNS0_4arch9wavefront6targetE0EEEvSE_.has_dyn_sized_stack, 0
	.set _ZN7rocprim17ROCPRIM_400000_NS6detail17trampoline_kernelINS0_14default_configENS1_35radix_sort_onesweep_config_selectorI12hip_bfloat16NS0_10empty_typeEEEZNS1_34radix_sort_onesweep_global_offsetsIS3_Lb0EPKS5_PS6_mNS0_19identity_decomposerEEE10hipError_tT1_T2_PT3_SG_jT4_jjP12ihipStream_tbEUlT_E_NS1_11comp_targetILNS1_3genE10ELNS1_11target_archE1201ELNS1_3gpuE5ELNS1_3repE0EEENS1_52radix_sort_onesweep_histogram_config_static_selectorELNS0_4arch9wavefront6targetE0EEEvSE_.has_recursion, 0
	.set _ZN7rocprim17ROCPRIM_400000_NS6detail17trampoline_kernelINS0_14default_configENS1_35radix_sort_onesweep_config_selectorI12hip_bfloat16NS0_10empty_typeEEEZNS1_34radix_sort_onesweep_global_offsetsIS3_Lb0EPKS5_PS6_mNS0_19identity_decomposerEEE10hipError_tT1_T2_PT3_SG_jT4_jjP12ihipStream_tbEUlT_E_NS1_11comp_targetILNS1_3genE10ELNS1_11target_archE1201ELNS1_3gpuE5ELNS1_3repE0EEENS1_52radix_sort_onesweep_histogram_config_static_selectorELNS0_4arch9wavefront6targetE0EEEvSE_.has_indirect_call, 0
	.section	.AMDGPU.csdata,"",@progbits
; Kernel info:
; codeLenInByte = 0
; TotalNumSgprs: 0
; NumVgprs: 0
; ScratchSize: 0
; MemoryBound: 0
; FloatMode: 240
; IeeeMode: 1
; LDSByteSize: 0 bytes/workgroup (compile time only)
; SGPRBlocks: 0
; VGPRBlocks: 0
; NumSGPRsForWavesPerEU: 1
; NumVGPRsForWavesPerEU: 1
; NamedBarCnt: 0
; Occupancy: 16
; WaveLimiterHint : 0
; COMPUTE_PGM_RSRC2:SCRATCH_EN: 0
; COMPUTE_PGM_RSRC2:USER_SGPR: 2
; COMPUTE_PGM_RSRC2:TRAP_HANDLER: 0
; COMPUTE_PGM_RSRC2:TGID_X_EN: 1
; COMPUTE_PGM_RSRC2:TGID_Y_EN: 0
; COMPUTE_PGM_RSRC2:TGID_Z_EN: 0
; COMPUTE_PGM_RSRC2:TIDIG_COMP_CNT: 0
	.section	.text._ZN7rocprim17ROCPRIM_400000_NS6detail17trampoline_kernelINS0_14default_configENS1_35radix_sort_onesweep_config_selectorI12hip_bfloat16NS0_10empty_typeEEEZNS1_34radix_sort_onesweep_global_offsetsIS3_Lb0EPKS5_PS6_mNS0_19identity_decomposerEEE10hipError_tT1_T2_PT3_SG_jT4_jjP12ihipStream_tbEUlT_E_NS1_11comp_targetILNS1_3genE9ELNS1_11target_archE1100ELNS1_3gpuE3ELNS1_3repE0EEENS1_52radix_sort_onesweep_histogram_config_static_selectorELNS0_4arch9wavefront6targetE0EEEvSE_,"axG",@progbits,_ZN7rocprim17ROCPRIM_400000_NS6detail17trampoline_kernelINS0_14default_configENS1_35radix_sort_onesweep_config_selectorI12hip_bfloat16NS0_10empty_typeEEEZNS1_34radix_sort_onesweep_global_offsetsIS3_Lb0EPKS5_PS6_mNS0_19identity_decomposerEEE10hipError_tT1_T2_PT3_SG_jT4_jjP12ihipStream_tbEUlT_E_NS1_11comp_targetILNS1_3genE9ELNS1_11target_archE1100ELNS1_3gpuE3ELNS1_3repE0EEENS1_52radix_sort_onesweep_histogram_config_static_selectorELNS0_4arch9wavefront6targetE0EEEvSE_,comdat
	.protected	_ZN7rocprim17ROCPRIM_400000_NS6detail17trampoline_kernelINS0_14default_configENS1_35radix_sort_onesweep_config_selectorI12hip_bfloat16NS0_10empty_typeEEEZNS1_34radix_sort_onesweep_global_offsetsIS3_Lb0EPKS5_PS6_mNS0_19identity_decomposerEEE10hipError_tT1_T2_PT3_SG_jT4_jjP12ihipStream_tbEUlT_E_NS1_11comp_targetILNS1_3genE9ELNS1_11target_archE1100ELNS1_3gpuE3ELNS1_3repE0EEENS1_52radix_sort_onesweep_histogram_config_static_selectorELNS0_4arch9wavefront6targetE0EEEvSE_ ; -- Begin function _ZN7rocprim17ROCPRIM_400000_NS6detail17trampoline_kernelINS0_14default_configENS1_35radix_sort_onesweep_config_selectorI12hip_bfloat16NS0_10empty_typeEEEZNS1_34radix_sort_onesweep_global_offsetsIS3_Lb0EPKS5_PS6_mNS0_19identity_decomposerEEE10hipError_tT1_T2_PT3_SG_jT4_jjP12ihipStream_tbEUlT_E_NS1_11comp_targetILNS1_3genE9ELNS1_11target_archE1100ELNS1_3gpuE3ELNS1_3repE0EEENS1_52radix_sort_onesweep_histogram_config_static_selectorELNS0_4arch9wavefront6targetE0EEEvSE_
	.globl	_ZN7rocprim17ROCPRIM_400000_NS6detail17trampoline_kernelINS0_14default_configENS1_35radix_sort_onesweep_config_selectorI12hip_bfloat16NS0_10empty_typeEEEZNS1_34radix_sort_onesweep_global_offsetsIS3_Lb0EPKS5_PS6_mNS0_19identity_decomposerEEE10hipError_tT1_T2_PT3_SG_jT4_jjP12ihipStream_tbEUlT_E_NS1_11comp_targetILNS1_3genE9ELNS1_11target_archE1100ELNS1_3gpuE3ELNS1_3repE0EEENS1_52radix_sort_onesweep_histogram_config_static_selectorELNS0_4arch9wavefront6targetE0EEEvSE_
	.p2align	8
	.type	_ZN7rocprim17ROCPRIM_400000_NS6detail17trampoline_kernelINS0_14default_configENS1_35radix_sort_onesweep_config_selectorI12hip_bfloat16NS0_10empty_typeEEEZNS1_34radix_sort_onesweep_global_offsetsIS3_Lb0EPKS5_PS6_mNS0_19identity_decomposerEEE10hipError_tT1_T2_PT3_SG_jT4_jjP12ihipStream_tbEUlT_E_NS1_11comp_targetILNS1_3genE9ELNS1_11target_archE1100ELNS1_3gpuE3ELNS1_3repE0EEENS1_52radix_sort_onesweep_histogram_config_static_selectorELNS0_4arch9wavefront6targetE0EEEvSE_,@function
_ZN7rocprim17ROCPRIM_400000_NS6detail17trampoline_kernelINS0_14default_configENS1_35radix_sort_onesweep_config_selectorI12hip_bfloat16NS0_10empty_typeEEEZNS1_34radix_sort_onesweep_global_offsetsIS3_Lb0EPKS5_PS6_mNS0_19identity_decomposerEEE10hipError_tT1_T2_PT3_SG_jT4_jjP12ihipStream_tbEUlT_E_NS1_11comp_targetILNS1_3genE9ELNS1_11target_archE1100ELNS1_3gpuE3ELNS1_3repE0EEENS1_52radix_sort_onesweep_histogram_config_static_selectorELNS0_4arch9wavefront6targetE0EEEvSE_: ; @_ZN7rocprim17ROCPRIM_400000_NS6detail17trampoline_kernelINS0_14default_configENS1_35radix_sort_onesweep_config_selectorI12hip_bfloat16NS0_10empty_typeEEEZNS1_34radix_sort_onesweep_global_offsetsIS3_Lb0EPKS5_PS6_mNS0_19identity_decomposerEEE10hipError_tT1_T2_PT3_SG_jT4_jjP12ihipStream_tbEUlT_E_NS1_11comp_targetILNS1_3genE9ELNS1_11target_archE1100ELNS1_3gpuE3ELNS1_3repE0EEENS1_52radix_sort_onesweep_histogram_config_static_selectorELNS0_4arch9wavefront6targetE0EEEvSE_
; %bb.0:
	.section	.rodata,"a",@progbits
	.p2align	6, 0x0
	.amdhsa_kernel _ZN7rocprim17ROCPRIM_400000_NS6detail17trampoline_kernelINS0_14default_configENS1_35radix_sort_onesweep_config_selectorI12hip_bfloat16NS0_10empty_typeEEEZNS1_34radix_sort_onesweep_global_offsetsIS3_Lb0EPKS5_PS6_mNS0_19identity_decomposerEEE10hipError_tT1_T2_PT3_SG_jT4_jjP12ihipStream_tbEUlT_E_NS1_11comp_targetILNS1_3genE9ELNS1_11target_archE1100ELNS1_3gpuE3ELNS1_3repE0EEENS1_52radix_sort_onesweep_histogram_config_static_selectorELNS0_4arch9wavefront6targetE0EEEvSE_
		.amdhsa_group_segment_fixed_size 0
		.amdhsa_private_segment_fixed_size 0
		.amdhsa_kernarg_size 48
		.amdhsa_user_sgpr_count 2
		.amdhsa_user_sgpr_dispatch_ptr 0
		.amdhsa_user_sgpr_queue_ptr 0
		.amdhsa_user_sgpr_kernarg_segment_ptr 1
		.amdhsa_user_sgpr_dispatch_id 0
		.amdhsa_user_sgpr_kernarg_preload_length 0
		.amdhsa_user_sgpr_kernarg_preload_offset 0
		.amdhsa_user_sgpr_private_segment_size 0
		.amdhsa_wavefront_size32 1
		.amdhsa_uses_dynamic_stack 0
		.amdhsa_enable_private_segment 0
		.amdhsa_system_sgpr_workgroup_id_x 1
		.amdhsa_system_sgpr_workgroup_id_y 0
		.amdhsa_system_sgpr_workgroup_id_z 0
		.amdhsa_system_sgpr_workgroup_info 0
		.amdhsa_system_vgpr_workitem_id 0
		.amdhsa_next_free_vgpr 1
		.amdhsa_next_free_sgpr 1
		.amdhsa_named_barrier_count 0
		.amdhsa_reserve_vcc 0
		.amdhsa_float_round_mode_32 0
		.amdhsa_float_round_mode_16_64 0
		.amdhsa_float_denorm_mode_32 3
		.amdhsa_float_denorm_mode_16_64 3
		.amdhsa_fp16_overflow 0
		.amdhsa_memory_ordered 1
		.amdhsa_forward_progress 1
		.amdhsa_inst_pref_size 0
		.amdhsa_round_robin_scheduling 0
		.amdhsa_exception_fp_ieee_invalid_op 0
		.amdhsa_exception_fp_denorm_src 0
		.amdhsa_exception_fp_ieee_div_zero 0
		.amdhsa_exception_fp_ieee_overflow 0
		.amdhsa_exception_fp_ieee_underflow 0
		.amdhsa_exception_fp_ieee_inexact 0
		.amdhsa_exception_int_div_zero 0
	.end_amdhsa_kernel
	.section	.text._ZN7rocprim17ROCPRIM_400000_NS6detail17trampoline_kernelINS0_14default_configENS1_35radix_sort_onesweep_config_selectorI12hip_bfloat16NS0_10empty_typeEEEZNS1_34radix_sort_onesweep_global_offsetsIS3_Lb0EPKS5_PS6_mNS0_19identity_decomposerEEE10hipError_tT1_T2_PT3_SG_jT4_jjP12ihipStream_tbEUlT_E_NS1_11comp_targetILNS1_3genE9ELNS1_11target_archE1100ELNS1_3gpuE3ELNS1_3repE0EEENS1_52radix_sort_onesweep_histogram_config_static_selectorELNS0_4arch9wavefront6targetE0EEEvSE_,"axG",@progbits,_ZN7rocprim17ROCPRIM_400000_NS6detail17trampoline_kernelINS0_14default_configENS1_35radix_sort_onesweep_config_selectorI12hip_bfloat16NS0_10empty_typeEEEZNS1_34radix_sort_onesweep_global_offsetsIS3_Lb0EPKS5_PS6_mNS0_19identity_decomposerEEE10hipError_tT1_T2_PT3_SG_jT4_jjP12ihipStream_tbEUlT_E_NS1_11comp_targetILNS1_3genE9ELNS1_11target_archE1100ELNS1_3gpuE3ELNS1_3repE0EEENS1_52radix_sort_onesweep_histogram_config_static_selectorELNS0_4arch9wavefront6targetE0EEEvSE_,comdat
.Lfunc_end2040:
	.size	_ZN7rocprim17ROCPRIM_400000_NS6detail17trampoline_kernelINS0_14default_configENS1_35radix_sort_onesweep_config_selectorI12hip_bfloat16NS0_10empty_typeEEEZNS1_34radix_sort_onesweep_global_offsetsIS3_Lb0EPKS5_PS6_mNS0_19identity_decomposerEEE10hipError_tT1_T2_PT3_SG_jT4_jjP12ihipStream_tbEUlT_E_NS1_11comp_targetILNS1_3genE9ELNS1_11target_archE1100ELNS1_3gpuE3ELNS1_3repE0EEENS1_52radix_sort_onesweep_histogram_config_static_selectorELNS0_4arch9wavefront6targetE0EEEvSE_, .Lfunc_end2040-_ZN7rocprim17ROCPRIM_400000_NS6detail17trampoline_kernelINS0_14default_configENS1_35radix_sort_onesweep_config_selectorI12hip_bfloat16NS0_10empty_typeEEEZNS1_34radix_sort_onesweep_global_offsetsIS3_Lb0EPKS5_PS6_mNS0_19identity_decomposerEEE10hipError_tT1_T2_PT3_SG_jT4_jjP12ihipStream_tbEUlT_E_NS1_11comp_targetILNS1_3genE9ELNS1_11target_archE1100ELNS1_3gpuE3ELNS1_3repE0EEENS1_52radix_sort_onesweep_histogram_config_static_selectorELNS0_4arch9wavefront6targetE0EEEvSE_
                                        ; -- End function
	.set _ZN7rocprim17ROCPRIM_400000_NS6detail17trampoline_kernelINS0_14default_configENS1_35radix_sort_onesweep_config_selectorI12hip_bfloat16NS0_10empty_typeEEEZNS1_34radix_sort_onesweep_global_offsetsIS3_Lb0EPKS5_PS6_mNS0_19identity_decomposerEEE10hipError_tT1_T2_PT3_SG_jT4_jjP12ihipStream_tbEUlT_E_NS1_11comp_targetILNS1_3genE9ELNS1_11target_archE1100ELNS1_3gpuE3ELNS1_3repE0EEENS1_52radix_sort_onesweep_histogram_config_static_selectorELNS0_4arch9wavefront6targetE0EEEvSE_.num_vgpr, 0
	.set _ZN7rocprim17ROCPRIM_400000_NS6detail17trampoline_kernelINS0_14default_configENS1_35radix_sort_onesweep_config_selectorI12hip_bfloat16NS0_10empty_typeEEEZNS1_34radix_sort_onesweep_global_offsetsIS3_Lb0EPKS5_PS6_mNS0_19identity_decomposerEEE10hipError_tT1_T2_PT3_SG_jT4_jjP12ihipStream_tbEUlT_E_NS1_11comp_targetILNS1_3genE9ELNS1_11target_archE1100ELNS1_3gpuE3ELNS1_3repE0EEENS1_52radix_sort_onesweep_histogram_config_static_selectorELNS0_4arch9wavefront6targetE0EEEvSE_.num_agpr, 0
	.set _ZN7rocprim17ROCPRIM_400000_NS6detail17trampoline_kernelINS0_14default_configENS1_35radix_sort_onesweep_config_selectorI12hip_bfloat16NS0_10empty_typeEEEZNS1_34radix_sort_onesweep_global_offsetsIS3_Lb0EPKS5_PS6_mNS0_19identity_decomposerEEE10hipError_tT1_T2_PT3_SG_jT4_jjP12ihipStream_tbEUlT_E_NS1_11comp_targetILNS1_3genE9ELNS1_11target_archE1100ELNS1_3gpuE3ELNS1_3repE0EEENS1_52radix_sort_onesweep_histogram_config_static_selectorELNS0_4arch9wavefront6targetE0EEEvSE_.numbered_sgpr, 0
	.set _ZN7rocprim17ROCPRIM_400000_NS6detail17trampoline_kernelINS0_14default_configENS1_35radix_sort_onesweep_config_selectorI12hip_bfloat16NS0_10empty_typeEEEZNS1_34radix_sort_onesweep_global_offsetsIS3_Lb0EPKS5_PS6_mNS0_19identity_decomposerEEE10hipError_tT1_T2_PT3_SG_jT4_jjP12ihipStream_tbEUlT_E_NS1_11comp_targetILNS1_3genE9ELNS1_11target_archE1100ELNS1_3gpuE3ELNS1_3repE0EEENS1_52radix_sort_onesweep_histogram_config_static_selectorELNS0_4arch9wavefront6targetE0EEEvSE_.num_named_barrier, 0
	.set _ZN7rocprim17ROCPRIM_400000_NS6detail17trampoline_kernelINS0_14default_configENS1_35radix_sort_onesweep_config_selectorI12hip_bfloat16NS0_10empty_typeEEEZNS1_34radix_sort_onesweep_global_offsetsIS3_Lb0EPKS5_PS6_mNS0_19identity_decomposerEEE10hipError_tT1_T2_PT3_SG_jT4_jjP12ihipStream_tbEUlT_E_NS1_11comp_targetILNS1_3genE9ELNS1_11target_archE1100ELNS1_3gpuE3ELNS1_3repE0EEENS1_52radix_sort_onesweep_histogram_config_static_selectorELNS0_4arch9wavefront6targetE0EEEvSE_.private_seg_size, 0
	.set _ZN7rocprim17ROCPRIM_400000_NS6detail17trampoline_kernelINS0_14default_configENS1_35radix_sort_onesweep_config_selectorI12hip_bfloat16NS0_10empty_typeEEEZNS1_34radix_sort_onesweep_global_offsetsIS3_Lb0EPKS5_PS6_mNS0_19identity_decomposerEEE10hipError_tT1_T2_PT3_SG_jT4_jjP12ihipStream_tbEUlT_E_NS1_11comp_targetILNS1_3genE9ELNS1_11target_archE1100ELNS1_3gpuE3ELNS1_3repE0EEENS1_52radix_sort_onesweep_histogram_config_static_selectorELNS0_4arch9wavefront6targetE0EEEvSE_.uses_vcc, 0
	.set _ZN7rocprim17ROCPRIM_400000_NS6detail17trampoline_kernelINS0_14default_configENS1_35radix_sort_onesweep_config_selectorI12hip_bfloat16NS0_10empty_typeEEEZNS1_34radix_sort_onesweep_global_offsetsIS3_Lb0EPKS5_PS6_mNS0_19identity_decomposerEEE10hipError_tT1_T2_PT3_SG_jT4_jjP12ihipStream_tbEUlT_E_NS1_11comp_targetILNS1_3genE9ELNS1_11target_archE1100ELNS1_3gpuE3ELNS1_3repE0EEENS1_52radix_sort_onesweep_histogram_config_static_selectorELNS0_4arch9wavefront6targetE0EEEvSE_.uses_flat_scratch, 0
	.set _ZN7rocprim17ROCPRIM_400000_NS6detail17trampoline_kernelINS0_14default_configENS1_35radix_sort_onesweep_config_selectorI12hip_bfloat16NS0_10empty_typeEEEZNS1_34radix_sort_onesweep_global_offsetsIS3_Lb0EPKS5_PS6_mNS0_19identity_decomposerEEE10hipError_tT1_T2_PT3_SG_jT4_jjP12ihipStream_tbEUlT_E_NS1_11comp_targetILNS1_3genE9ELNS1_11target_archE1100ELNS1_3gpuE3ELNS1_3repE0EEENS1_52radix_sort_onesweep_histogram_config_static_selectorELNS0_4arch9wavefront6targetE0EEEvSE_.has_dyn_sized_stack, 0
	.set _ZN7rocprim17ROCPRIM_400000_NS6detail17trampoline_kernelINS0_14default_configENS1_35radix_sort_onesweep_config_selectorI12hip_bfloat16NS0_10empty_typeEEEZNS1_34radix_sort_onesweep_global_offsetsIS3_Lb0EPKS5_PS6_mNS0_19identity_decomposerEEE10hipError_tT1_T2_PT3_SG_jT4_jjP12ihipStream_tbEUlT_E_NS1_11comp_targetILNS1_3genE9ELNS1_11target_archE1100ELNS1_3gpuE3ELNS1_3repE0EEENS1_52radix_sort_onesweep_histogram_config_static_selectorELNS0_4arch9wavefront6targetE0EEEvSE_.has_recursion, 0
	.set _ZN7rocprim17ROCPRIM_400000_NS6detail17trampoline_kernelINS0_14default_configENS1_35radix_sort_onesweep_config_selectorI12hip_bfloat16NS0_10empty_typeEEEZNS1_34radix_sort_onesweep_global_offsetsIS3_Lb0EPKS5_PS6_mNS0_19identity_decomposerEEE10hipError_tT1_T2_PT3_SG_jT4_jjP12ihipStream_tbEUlT_E_NS1_11comp_targetILNS1_3genE9ELNS1_11target_archE1100ELNS1_3gpuE3ELNS1_3repE0EEENS1_52radix_sort_onesweep_histogram_config_static_selectorELNS0_4arch9wavefront6targetE0EEEvSE_.has_indirect_call, 0
	.section	.AMDGPU.csdata,"",@progbits
; Kernel info:
; codeLenInByte = 0
; TotalNumSgprs: 0
; NumVgprs: 0
; ScratchSize: 0
; MemoryBound: 0
; FloatMode: 240
; IeeeMode: 1
; LDSByteSize: 0 bytes/workgroup (compile time only)
; SGPRBlocks: 0
; VGPRBlocks: 0
; NumSGPRsForWavesPerEU: 1
; NumVGPRsForWavesPerEU: 1
; NamedBarCnt: 0
; Occupancy: 16
; WaveLimiterHint : 0
; COMPUTE_PGM_RSRC2:SCRATCH_EN: 0
; COMPUTE_PGM_RSRC2:USER_SGPR: 2
; COMPUTE_PGM_RSRC2:TRAP_HANDLER: 0
; COMPUTE_PGM_RSRC2:TGID_X_EN: 1
; COMPUTE_PGM_RSRC2:TGID_Y_EN: 0
; COMPUTE_PGM_RSRC2:TGID_Z_EN: 0
; COMPUTE_PGM_RSRC2:TIDIG_COMP_CNT: 0
	.section	.text._ZN7rocprim17ROCPRIM_400000_NS6detail17trampoline_kernelINS0_14default_configENS1_35radix_sort_onesweep_config_selectorI12hip_bfloat16NS0_10empty_typeEEEZNS1_34radix_sort_onesweep_global_offsetsIS3_Lb0EPKS5_PS6_mNS0_19identity_decomposerEEE10hipError_tT1_T2_PT3_SG_jT4_jjP12ihipStream_tbEUlT_E_NS1_11comp_targetILNS1_3genE8ELNS1_11target_archE1030ELNS1_3gpuE2ELNS1_3repE0EEENS1_52radix_sort_onesweep_histogram_config_static_selectorELNS0_4arch9wavefront6targetE0EEEvSE_,"axG",@progbits,_ZN7rocprim17ROCPRIM_400000_NS6detail17trampoline_kernelINS0_14default_configENS1_35radix_sort_onesweep_config_selectorI12hip_bfloat16NS0_10empty_typeEEEZNS1_34radix_sort_onesweep_global_offsetsIS3_Lb0EPKS5_PS6_mNS0_19identity_decomposerEEE10hipError_tT1_T2_PT3_SG_jT4_jjP12ihipStream_tbEUlT_E_NS1_11comp_targetILNS1_3genE8ELNS1_11target_archE1030ELNS1_3gpuE2ELNS1_3repE0EEENS1_52radix_sort_onesweep_histogram_config_static_selectorELNS0_4arch9wavefront6targetE0EEEvSE_,comdat
	.protected	_ZN7rocprim17ROCPRIM_400000_NS6detail17trampoline_kernelINS0_14default_configENS1_35radix_sort_onesweep_config_selectorI12hip_bfloat16NS0_10empty_typeEEEZNS1_34radix_sort_onesweep_global_offsetsIS3_Lb0EPKS5_PS6_mNS0_19identity_decomposerEEE10hipError_tT1_T2_PT3_SG_jT4_jjP12ihipStream_tbEUlT_E_NS1_11comp_targetILNS1_3genE8ELNS1_11target_archE1030ELNS1_3gpuE2ELNS1_3repE0EEENS1_52radix_sort_onesweep_histogram_config_static_selectorELNS0_4arch9wavefront6targetE0EEEvSE_ ; -- Begin function _ZN7rocprim17ROCPRIM_400000_NS6detail17trampoline_kernelINS0_14default_configENS1_35radix_sort_onesweep_config_selectorI12hip_bfloat16NS0_10empty_typeEEEZNS1_34radix_sort_onesweep_global_offsetsIS3_Lb0EPKS5_PS6_mNS0_19identity_decomposerEEE10hipError_tT1_T2_PT3_SG_jT4_jjP12ihipStream_tbEUlT_E_NS1_11comp_targetILNS1_3genE8ELNS1_11target_archE1030ELNS1_3gpuE2ELNS1_3repE0EEENS1_52radix_sort_onesweep_histogram_config_static_selectorELNS0_4arch9wavefront6targetE0EEEvSE_
	.globl	_ZN7rocprim17ROCPRIM_400000_NS6detail17trampoline_kernelINS0_14default_configENS1_35radix_sort_onesweep_config_selectorI12hip_bfloat16NS0_10empty_typeEEEZNS1_34radix_sort_onesweep_global_offsetsIS3_Lb0EPKS5_PS6_mNS0_19identity_decomposerEEE10hipError_tT1_T2_PT3_SG_jT4_jjP12ihipStream_tbEUlT_E_NS1_11comp_targetILNS1_3genE8ELNS1_11target_archE1030ELNS1_3gpuE2ELNS1_3repE0EEENS1_52radix_sort_onesweep_histogram_config_static_selectorELNS0_4arch9wavefront6targetE0EEEvSE_
	.p2align	8
	.type	_ZN7rocprim17ROCPRIM_400000_NS6detail17trampoline_kernelINS0_14default_configENS1_35radix_sort_onesweep_config_selectorI12hip_bfloat16NS0_10empty_typeEEEZNS1_34radix_sort_onesweep_global_offsetsIS3_Lb0EPKS5_PS6_mNS0_19identity_decomposerEEE10hipError_tT1_T2_PT3_SG_jT4_jjP12ihipStream_tbEUlT_E_NS1_11comp_targetILNS1_3genE8ELNS1_11target_archE1030ELNS1_3gpuE2ELNS1_3repE0EEENS1_52radix_sort_onesweep_histogram_config_static_selectorELNS0_4arch9wavefront6targetE0EEEvSE_,@function
_ZN7rocprim17ROCPRIM_400000_NS6detail17trampoline_kernelINS0_14default_configENS1_35radix_sort_onesweep_config_selectorI12hip_bfloat16NS0_10empty_typeEEEZNS1_34radix_sort_onesweep_global_offsetsIS3_Lb0EPKS5_PS6_mNS0_19identity_decomposerEEE10hipError_tT1_T2_PT3_SG_jT4_jjP12ihipStream_tbEUlT_E_NS1_11comp_targetILNS1_3genE8ELNS1_11target_archE1030ELNS1_3gpuE2ELNS1_3repE0EEENS1_52radix_sort_onesweep_histogram_config_static_selectorELNS0_4arch9wavefront6targetE0EEEvSE_: ; @_ZN7rocprim17ROCPRIM_400000_NS6detail17trampoline_kernelINS0_14default_configENS1_35radix_sort_onesweep_config_selectorI12hip_bfloat16NS0_10empty_typeEEEZNS1_34radix_sort_onesweep_global_offsetsIS3_Lb0EPKS5_PS6_mNS0_19identity_decomposerEEE10hipError_tT1_T2_PT3_SG_jT4_jjP12ihipStream_tbEUlT_E_NS1_11comp_targetILNS1_3genE8ELNS1_11target_archE1030ELNS1_3gpuE2ELNS1_3repE0EEENS1_52radix_sort_onesweep_histogram_config_static_selectorELNS0_4arch9wavefront6targetE0EEEvSE_
; %bb.0:
	.section	.rodata,"a",@progbits
	.p2align	6, 0x0
	.amdhsa_kernel _ZN7rocprim17ROCPRIM_400000_NS6detail17trampoline_kernelINS0_14default_configENS1_35radix_sort_onesweep_config_selectorI12hip_bfloat16NS0_10empty_typeEEEZNS1_34radix_sort_onesweep_global_offsetsIS3_Lb0EPKS5_PS6_mNS0_19identity_decomposerEEE10hipError_tT1_T2_PT3_SG_jT4_jjP12ihipStream_tbEUlT_E_NS1_11comp_targetILNS1_3genE8ELNS1_11target_archE1030ELNS1_3gpuE2ELNS1_3repE0EEENS1_52radix_sort_onesweep_histogram_config_static_selectorELNS0_4arch9wavefront6targetE0EEEvSE_
		.amdhsa_group_segment_fixed_size 0
		.amdhsa_private_segment_fixed_size 0
		.amdhsa_kernarg_size 48
		.amdhsa_user_sgpr_count 2
		.amdhsa_user_sgpr_dispatch_ptr 0
		.amdhsa_user_sgpr_queue_ptr 0
		.amdhsa_user_sgpr_kernarg_segment_ptr 1
		.amdhsa_user_sgpr_dispatch_id 0
		.amdhsa_user_sgpr_kernarg_preload_length 0
		.amdhsa_user_sgpr_kernarg_preload_offset 0
		.amdhsa_user_sgpr_private_segment_size 0
		.amdhsa_wavefront_size32 1
		.amdhsa_uses_dynamic_stack 0
		.amdhsa_enable_private_segment 0
		.amdhsa_system_sgpr_workgroup_id_x 1
		.amdhsa_system_sgpr_workgroup_id_y 0
		.amdhsa_system_sgpr_workgroup_id_z 0
		.amdhsa_system_sgpr_workgroup_info 0
		.amdhsa_system_vgpr_workitem_id 0
		.amdhsa_next_free_vgpr 1
		.amdhsa_next_free_sgpr 1
		.amdhsa_named_barrier_count 0
		.amdhsa_reserve_vcc 0
		.amdhsa_float_round_mode_32 0
		.amdhsa_float_round_mode_16_64 0
		.amdhsa_float_denorm_mode_32 3
		.amdhsa_float_denorm_mode_16_64 3
		.amdhsa_fp16_overflow 0
		.amdhsa_memory_ordered 1
		.amdhsa_forward_progress 1
		.amdhsa_inst_pref_size 0
		.amdhsa_round_robin_scheduling 0
		.amdhsa_exception_fp_ieee_invalid_op 0
		.amdhsa_exception_fp_denorm_src 0
		.amdhsa_exception_fp_ieee_div_zero 0
		.amdhsa_exception_fp_ieee_overflow 0
		.amdhsa_exception_fp_ieee_underflow 0
		.amdhsa_exception_fp_ieee_inexact 0
		.amdhsa_exception_int_div_zero 0
	.end_amdhsa_kernel
	.section	.text._ZN7rocprim17ROCPRIM_400000_NS6detail17trampoline_kernelINS0_14default_configENS1_35radix_sort_onesweep_config_selectorI12hip_bfloat16NS0_10empty_typeEEEZNS1_34radix_sort_onesweep_global_offsetsIS3_Lb0EPKS5_PS6_mNS0_19identity_decomposerEEE10hipError_tT1_T2_PT3_SG_jT4_jjP12ihipStream_tbEUlT_E_NS1_11comp_targetILNS1_3genE8ELNS1_11target_archE1030ELNS1_3gpuE2ELNS1_3repE0EEENS1_52radix_sort_onesweep_histogram_config_static_selectorELNS0_4arch9wavefront6targetE0EEEvSE_,"axG",@progbits,_ZN7rocprim17ROCPRIM_400000_NS6detail17trampoline_kernelINS0_14default_configENS1_35radix_sort_onesweep_config_selectorI12hip_bfloat16NS0_10empty_typeEEEZNS1_34radix_sort_onesweep_global_offsetsIS3_Lb0EPKS5_PS6_mNS0_19identity_decomposerEEE10hipError_tT1_T2_PT3_SG_jT4_jjP12ihipStream_tbEUlT_E_NS1_11comp_targetILNS1_3genE8ELNS1_11target_archE1030ELNS1_3gpuE2ELNS1_3repE0EEENS1_52radix_sort_onesweep_histogram_config_static_selectorELNS0_4arch9wavefront6targetE0EEEvSE_,comdat
.Lfunc_end2041:
	.size	_ZN7rocprim17ROCPRIM_400000_NS6detail17trampoline_kernelINS0_14default_configENS1_35radix_sort_onesweep_config_selectorI12hip_bfloat16NS0_10empty_typeEEEZNS1_34radix_sort_onesweep_global_offsetsIS3_Lb0EPKS5_PS6_mNS0_19identity_decomposerEEE10hipError_tT1_T2_PT3_SG_jT4_jjP12ihipStream_tbEUlT_E_NS1_11comp_targetILNS1_3genE8ELNS1_11target_archE1030ELNS1_3gpuE2ELNS1_3repE0EEENS1_52radix_sort_onesweep_histogram_config_static_selectorELNS0_4arch9wavefront6targetE0EEEvSE_, .Lfunc_end2041-_ZN7rocprim17ROCPRIM_400000_NS6detail17trampoline_kernelINS0_14default_configENS1_35radix_sort_onesweep_config_selectorI12hip_bfloat16NS0_10empty_typeEEEZNS1_34radix_sort_onesweep_global_offsetsIS3_Lb0EPKS5_PS6_mNS0_19identity_decomposerEEE10hipError_tT1_T2_PT3_SG_jT4_jjP12ihipStream_tbEUlT_E_NS1_11comp_targetILNS1_3genE8ELNS1_11target_archE1030ELNS1_3gpuE2ELNS1_3repE0EEENS1_52radix_sort_onesweep_histogram_config_static_selectorELNS0_4arch9wavefront6targetE0EEEvSE_
                                        ; -- End function
	.set _ZN7rocprim17ROCPRIM_400000_NS6detail17trampoline_kernelINS0_14default_configENS1_35radix_sort_onesweep_config_selectorI12hip_bfloat16NS0_10empty_typeEEEZNS1_34radix_sort_onesweep_global_offsetsIS3_Lb0EPKS5_PS6_mNS0_19identity_decomposerEEE10hipError_tT1_T2_PT3_SG_jT4_jjP12ihipStream_tbEUlT_E_NS1_11comp_targetILNS1_3genE8ELNS1_11target_archE1030ELNS1_3gpuE2ELNS1_3repE0EEENS1_52radix_sort_onesweep_histogram_config_static_selectorELNS0_4arch9wavefront6targetE0EEEvSE_.num_vgpr, 0
	.set _ZN7rocprim17ROCPRIM_400000_NS6detail17trampoline_kernelINS0_14default_configENS1_35radix_sort_onesweep_config_selectorI12hip_bfloat16NS0_10empty_typeEEEZNS1_34radix_sort_onesweep_global_offsetsIS3_Lb0EPKS5_PS6_mNS0_19identity_decomposerEEE10hipError_tT1_T2_PT3_SG_jT4_jjP12ihipStream_tbEUlT_E_NS1_11comp_targetILNS1_3genE8ELNS1_11target_archE1030ELNS1_3gpuE2ELNS1_3repE0EEENS1_52radix_sort_onesweep_histogram_config_static_selectorELNS0_4arch9wavefront6targetE0EEEvSE_.num_agpr, 0
	.set _ZN7rocprim17ROCPRIM_400000_NS6detail17trampoline_kernelINS0_14default_configENS1_35radix_sort_onesweep_config_selectorI12hip_bfloat16NS0_10empty_typeEEEZNS1_34radix_sort_onesweep_global_offsetsIS3_Lb0EPKS5_PS6_mNS0_19identity_decomposerEEE10hipError_tT1_T2_PT3_SG_jT4_jjP12ihipStream_tbEUlT_E_NS1_11comp_targetILNS1_3genE8ELNS1_11target_archE1030ELNS1_3gpuE2ELNS1_3repE0EEENS1_52radix_sort_onesweep_histogram_config_static_selectorELNS0_4arch9wavefront6targetE0EEEvSE_.numbered_sgpr, 0
	.set _ZN7rocprim17ROCPRIM_400000_NS6detail17trampoline_kernelINS0_14default_configENS1_35radix_sort_onesweep_config_selectorI12hip_bfloat16NS0_10empty_typeEEEZNS1_34radix_sort_onesweep_global_offsetsIS3_Lb0EPKS5_PS6_mNS0_19identity_decomposerEEE10hipError_tT1_T2_PT3_SG_jT4_jjP12ihipStream_tbEUlT_E_NS1_11comp_targetILNS1_3genE8ELNS1_11target_archE1030ELNS1_3gpuE2ELNS1_3repE0EEENS1_52radix_sort_onesweep_histogram_config_static_selectorELNS0_4arch9wavefront6targetE0EEEvSE_.num_named_barrier, 0
	.set _ZN7rocprim17ROCPRIM_400000_NS6detail17trampoline_kernelINS0_14default_configENS1_35radix_sort_onesweep_config_selectorI12hip_bfloat16NS0_10empty_typeEEEZNS1_34radix_sort_onesweep_global_offsetsIS3_Lb0EPKS5_PS6_mNS0_19identity_decomposerEEE10hipError_tT1_T2_PT3_SG_jT4_jjP12ihipStream_tbEUlT_E_NS1_11comp_targetILNS1_3genE8ELNS1_11target_archE1030ELNS1_3gpuE2ELNS1_3repE0EEENS1_52radix_sort_onesweep_histogram_config_static_selectorELNS0_4arch9wavefront6targetE0EEEvSE_.private_seg_size, 0
	.set _ZN7rocprim17ROCPRIM_400000_NS6detail17trampoline_kernelINS0_14default_configENS1_35radix_sort_onesweep_config_selectorI12hip_bfloat16NS0_10empty_typeEEEZNS1_34radix_sort_onesweep_global_offsetsIS3_Lb0EPKS5_PS6_mNS0_19identity_decomposerEEE10hipError_tT1_T2_PT3_SG_jT4_jjP12ihipStream_tbEUlT_E_NS1_11comp_targetILNS1_3genE8ELNS1_11target_archE1030ELNS1_3gpuE2ELNS1_3repE0EEENS1_52radix_sort_onesweep_histogram_config_static_selectorELNS0_4arch9wavefront6targetE0EEEvSE_.uses_vcc, 0
	.set _ZN7rocprim17ROCPRIM_400000_NS6detail17trampoline_kernelINS0_14default_configENS1_35radix_sort_onesweep_config_selectorI12hip_bfloat16NS0_10empty_typeEEEZNS1_34radix_sort_onesweep_global_offsetsIS3_Lb0EPKS5_PS6_mNS0_19identity_decomposerEEE10hipError_tT1_T2_PT3_SG_jT4_jjP12ihipStream_tbEUlT_E_NS1_11comp_targetILNS1_3genE8ELNS1_11target_archE1030ELNS1_3gpuE2ELNS1_3repE0EEENS1_52radix_sort_onesweep_histogram_config_static_selectorELNS0_4arch9wavefront6targetE0EEEvSE_.uses_flat_scratch, 0
	.set _ZN7rocprim17ROCPRIM_400000_NS6detail17trampoline_kernelINS0_14default_configENS1_35radix_sort_onesweep_config_selectorI12hip_bfloat16NS0_10empty_typeEEEZNS1_34radix_sort_onesweep_global_offsetsIS3_Lb0EPKS5_PS6_mNS0_19identity_decomposerEEE10hipError_tT1_T2_PT3_SG_jT4_jjP12ihipStream_tbEUlT_E_NS1_11comp_targetILNS1_3genE8ELNS1_11target_archE1030ELNS1_3gpuE2ELNS1_3repE0EEENS1_52radix_sort_onesweep_histogram_config_static_selectorELNS0_4arch9wavefront6targetE0EEEvSE_.has_dyn_sized_stack, 0
	.set _ZN7rocprim17ROCPRIM_400000_NS6detail17trampoline_kernelINS0_14default_configENS1_35radix_sort_onesweep_config_selectorI12hip_bfloat16NS0_10empty_typeEEEZNS1_34radix_sort_onesweep_global_offsetsIS3_Lb0EPKS5_PS6_mNS0_19identity_decomposerEEE10hipError_tT1_T2_PT3_SG_jT4_jjP12ihipStream_tbEUlT_E_NS1_11comp_targetILNS1_3genE8ELNS1_11target_archE1030ELNS1_3gpuE2ELNS1_3repE0EEENS1_52radix_sort_onesweep_histogram_config_static_selectorELNS0_4arch9wavefront6targetE0EEEvSE_.has_recursion, 0
	.set _ZN7rocprim17ROCPRIM_400000_NS6detail17trampoline_kernelINS0_14default_configENS1_35radix_sort_onesweep_config_selectorI12hip_bfloat16NS0_10empty_typeEEEZNS1_34radix_sort_onesweep_global_offsetsIS3_Lb0EPKS5_PS6_mNS0_19identity_decomposerEEE10hipError_tT1_T2_PT3_SG_jT4_jjP12ihipStream_tbEUlT_E_NS1_11comp_targetILNS1_3genE8ELNS1_11target_archE1030ELNS1_3gpuE2ELNS1_3repE0EEENS1_52radix_sort_onesweep_histogram_config_static_selectorELNS0_4arch9wavefront6targetE0EEEvSE_.has_indirect_call, 0
	.section	.AMDGPU.csdata,"",@progbits
; Kernel info:
; codeLenInByte = 0
; TotalNumSgprs: 0
; NumVgprs: 0
; ScratchSize: 0
; MemoryBound: 0
; FloatMode: 240
; IeeeMode: 1
; LDSByteSize: 0 bytes/workgroup (compile time only)
; SGPRBlocks: 0
; VGPRBlocks: 0
; NumSGPRsForWavesPerEU: 1
; NumVGPRsForWavesPerEU: 1
; NamedBarCnt: 0
; Occupancy: 16
; WaveLimiterHint : 0
; COMPUTE_PGM_RSRC2:SCRATCH_EN: 0
; COMPUTE_PGM_RSRC2:USER_SGPR: 2
; COMPUTE_PGM_RSRC2:TRAP_HANDLER: 0
; COMPUTE_PGM_RSRC2:TGID_X_EN: 1
; COMPUTE_PGM_RSRC2:TGID_Y_EN: 0
; COMPUTE_PGM_RSRC2:TGID_Z_EN: 0
; COMPUTE_PGM_RSRC2:TIDIG_COMP_CNT: 0
	.section	.text._ZN7rocprim17ROCPRIM_400000_NS6detail17trampoline_kernelINS0_14default_configENS1_35radix_sort_onesweep_config_selectorI12hip_bfloat16NS0_10empty_typeEEEZNS1_34radix_sort_onesweep_global_offsetsIS3_Lb0EPKS5_PS6_mNS0_19identity_decomposerEEE10hipError_tT1_T2_PT3_SG_jT4_jjP12ihipStream_tbEUlT_E0_NS1_11comp_targetILNS1_3genE0ELNS1_11target_archE4294967295ELNS1_3gpuE0ELNS1_3repE0EEENS1_52radix_sort_onesweep_histogram_config_static_selectorELNS0_4arch9wavefront6targetE0EEEvSE_,"axG",@progbits,_ZN7rocprim17ROCPRIM_400000_NS6detail17trampoline_kernelINS0_14default_configENS1_35radix_sort_onesweep_config_selectorI12hip_bfloat16NS0_10empty_typeEEEZNS1_34radix_sort_onesweep_global_offsetsIS3_Lb0EPKS5_PS6_mNS0_19identity_decomposerEEE10hipError_tT1_T2_PT3_SG_jT4_jjP12ihipStream_tbEUlT_E0_NS1_11comp_targetILNS1_3genE0ELNS1_11target_archE4294967295ELNS1_3gpuE0ELNS1_3repE0EEENS1_52radix_sort_onesweep_histogram_config_static_selectorELNS0_4arch9wavefront6targetE0EEEvSE_,comdat
	.protected	_ZN7rocprim17ROCPRIM_400000_NS6detail17trampoline_kernelINS0_14default_configENS1_35radix_sort_onesweep_config_selectorI12hip_bfloat16NS0_10empty_typeEEEZNS1_34radix_sort_onesweep_global_offsetsIS3_Lb0EPKS5_PS6_mNS0_19identity_decomposerEEE10hipError_tT1_T2_PT3_SG_jT4_jjP12ihipStream_tbEUlT_E0_NS1_11comp_targetILNS1_3genE0ELNS1_11target_archE4294967295ELNS1_3gpuE0ELNS1_3repE0EEENS1_52radix_sort_onesweep_histogram_config_static_selectorELNS0_4arch9wavefront6targetE0EEEvSE_ ; -- Begin function _ZN7rocprim17ROCPRIM_400000_NS6detail17trampoline_kernelINS0_14default_configENS1_35radix_sort_onesweep_config_selectorI12hip_bfloat16NS0_10empty_typeEEEZNS1_34radix_sort_onesweep_global_offsetsIS3_Lb0EPKS5_PS6_mNS0_19identity_decomposerEEE10hipError_tT1_T2_PT3_SG_jT4_jjP12ihipStream_tbEUlT_E0_NS1_11comp_targetILNS1_3genE0ELNS1_11target_archE4294967295ELNS1_3gpuE0ELNS1_3repE0EEENS1_52radix_sort_onesweep_histogram_config_static_selectorELNS0_4arch9wavefront6targetE0EEEvSE_
	.globl	_ZN7rocprim17ROCPRIM_400000_NS6detail17trampoline_kernelINS0_14default_configENS1_35radix_sort_onesweep_config_selectorI12hip_bfloat16NS0_10empty_typeEEEZNS1_34radix_sort_onesweep_global_offsetsIS3_Lb0EPKS5_PS6_mNS0_19identity_decomposerEEE10hipError_tT1_T2_PT3_SG_jT4_jjP12ihipStream_tbEUlT_E0_NS1_11comp_targetILNS1_3genE0ELNS1_11target_archE4294967295ELNS1_3gpuE0ELNS1_3repE0EEENS1_52radix_sort_onesweep_histogram_config_static_selectorELNS0_4arch9wavefront6targetE0EEEvSE_
	.p2align	8
	.type	_ZN7rocprim17ROCPRIM_400000_NS6detail17trampoline_kernelINS0_14default_configENS1_35radix_sort_onesweep_config_selectorI12hip_bfloat16NS0_10empty_typeEEEZNS1_34radix_sort_onesweep_global_offsetsIS3_Lb0EPKS5_PS6_mNS0_19identity_decomposerEEE10hipError_tT1_T2_PT3_SG_jT4_jjP12ihipStream_tbEUlT_E0_NS1_11comp_targetILNS1_3genE0ELNS1_11target_archE4294967295ELNS1_3gpuE0ELNS1_3repE0EEENS1_52radix_sort_onesweep_histogram_config_static_selectorELNS0_4arch9wavefront6targetE0EEEvSE_,@function
_ZN7rocprim17ROCPRIM_400000_NS6detail17trampoline_kernelINS0_14default_configENS1_35radix_sort_onesweep_config_selectorI12hip_bfloat16NS0_10empty_typeEEEZNS1_34radix_sort_onesweep_global_offsetsIS3_Lb0EPKS5_PS6_mNS0_19identity_decomposerEEE10hipError_tT1_T2_PT3_SG_jT4_jjP12ihipStream_tbEUlT_E0_NS1_11comp_targetILNS1_3genE0ELNS1_11target_archE4294967295ELNS1_3gpuE0ELNS1_3repE0EEENS1_52radix_sort_onesweep_histogram_config_static_selectorELNS0_4arch9wavefront6targetE0EEEvSE_: ; @_ZN7rocprim17ROCPRIM_400000_NS6detail17trampoline_kernelINS0_14default_configENS1_35radix_sort_onesweep_config_selectorI12hip_bfloat16NS0_10empty_typeEEEZNS1_34radix_sort_onesweep_global_offsetsIS3_Lb0EPKS5_PS6_mNS0_19identity_decomposerEEE10hipError_tT1_T2_PT3_SG_jT4_jjP12ihipStream_tbEUlT_E0_NS1_11comp_targetILNS1_3genE0ELNS1_11target_archE4294967295ELNS1_3gpuE0ELNS1_3repE0EEENS1_52radix_sort_onesweep_histogram_config_static_selectorELNS0_4arch9wavefront6targetE0EEEvSE_
; %bb.0:
	s_load_b64 s[0:1], s[0:1], 0x0
	s_bfe_u32 s2, ttmp6, 0x4000c
	s_and_b32 s3, ttmp6, 15
	s_add_co_i32 s2, s2, 1
	s_getreg_b32 s4, hwreg(HW_REG_IB_STS2, 6, 4)
	s_mul_i32 s2, ttmp9, s2
	v_cmp_gt_u32_e32 vcc_lo, 0x100, v0
	s_add_co_i32 s3, s3, s2
	s_cmp_eq_u32 s4, 0
                                        ; implicit-def: $vgpr2_vgpr3
	s_cselect_b32 s2, ttmp9, s3
	s_mov_b32 s3, 0
	s_lshl_b32 s2, s2, 8
	s_delay_alu instid0(SALU_CYCLE_1)
	s_lshl_b64 s[2:3], s[2:3], 3
	s_wait_kmcnt 0x0
	s_add_nc_u64 s[6:7], s[0:1], s[2:3]
	s_and_saveexec_b32 s0, vcc_lo
	s_cbranch_execz .LBB2042_2
; %bb.1:
	global_load_b64 v[2:3], v0, s[6:7] scale_offset
.LBB2042_2:
	s_wait_xcnt 0x0
	s_or_b32 exec_lo, exec_lo, s0
	v_mbcnt_lo_u32_b32 v1, -1, 0
	s_wait_loadcnt 0x0
	v_mov_b32_dpp v6, v2 row_shr:1 row_mask:0xf bank_mask:0xf
	v_mov_b32_dpp v9, v3 row_shr:1 row_mask:0xf bank_mask:0xf
	s_delay_alu instid0(VALU_DEP_3) | instskip(NEXT) | instid1(VALU_DEP_1)
	v_dual_mov_b32 v4, v2 :: v_dual_bitop2_b32 v10, 15, v1 bitop3:0x40
	v_cmp_ne_u32_e64 s0, 0, v10
	s_and_saveexec_b32 s1, s0
; %bb.3:
	v_mov_b32_e32 v8, 0
	s_delay_alu instid0(VALU_DEP_1) | instskip(NEXT) | instid1(VALU_DEP_1)
	v_mov_b32_e32 v7, v8
	v_add_nc_u64_e32 v[4:5], v[2:3], v[6:7]
	s_delay_alu instid0(VALU_DEP_1)
	v_add_nc_u64_e32 v[2:3], v[8:9], v[4:5]
; %bb.4:
	s_or_b32 exec_lo, exec_lo, s1
	v_mov_b32_dpp v6, v4 row_shr:2 row_mask:0xf bank_mask:0xf
	s_delay_alu instid0(VALU_DEP_2)
	v_mov_b32_dpp v9, v3 row_shr:2 row_mask:0xf bank_mask:0xf
	v_cmp_lt_u32_e64 s1, 1, v10
	s_and_saveexec_b32 s2, s1
; %bb.5:
	v_mov_b32_e32 v8, 0
	s_delay_alu instid0(VALU_DEP_1) | instskip(NEXT) | instid1(VALU_DEP_1)
	v_mov_b32_e32 v7, v8
	v_add_nc_u64_e32 v[4:5], v[2:3], v[6:7]
	s_delay_alu instid0(VALU_DEP_1)
	v_add_nc_u64_e32 v[2:3], v[8:9], v[4:5]
; %bb.6:
	s_or_b32 exec_lo, exec_lo, s2
	v_mov_b32_dpp v6, v4 row_shr:4 row_mask:0xf bank_mask:0xf
	s_delay_alu instid0(VALU_DEP_2)
	v_mov_b32_dpp v9, v3 row_shr:4 row_mask:0xf bank_mask:0xf
	v_cmp_lt_u32_e64 s2, 3, v10
	;; [unrolled: 14-line block ×3, first 2 shown]
	s_and_saveexec_b32 s4, s3
; %bb.9:
	v_mov_b32_e32 v8, 0
	s_delay_alu instid0(VALU_DEP_1) | instskip(NEXT) | instid1(VALU_DEP_1)
	v_mov_b32_e32 v7, v8
	v_add_nc_u64_e32 v[4:5], v[2:3], v[6:7]
	s_delay_alu instid0(VALU_DEP_1)
	v_add_nc_u64_e32 v[2:3], v[8:9], v[4:5]
; %bb.10:
	s_or_b32 exec_lo, exec_lo, s4
	ds_swizzle_b32 v4, v4 offset:swizzle(BROADCAST,32,15)
	ds_swizzle_b32 v7, v3 offset:swizzle(BROADCAST,32,15)
	v_and_b32_e32 v5, 16, v1
	s_mov_b32 s5, exec_lo
	s_delay_alu instid0(VALU_DEP_1)
	v_cmpx_ne_u32_e32 0, v5
	s_cbranch_execz .LBB2042_12
; %bb.11:
	v_mov_b32_e32 v6, 0
	s_delay_alu instid0(VALU_DEP_1) | instskip(SKIP_1) | instid1(VALU_DEP_1)
	v_mov_b32_e32 v5, v6
	s_wait_dscnt 0x1
	v_add_nc_u64_e32 v[2:3], v[2:3], v[4:5]
	s_wait_dscnt 0x0
	s_delay_alu instid0(VALU_DEP_1)
	v_add_nc_u64_e32 v[2:3], v[2:3], v[6:7]
.LBB2042_12:
	s_or_b32 exec_lo, exec_lo, s5
	s_wait_dscnt 0x1
	v_dual_lshrrev_b32 v12, 5, v0 :: v_dual_bitop2_b32 v4, 31, v0 bitop3:0x54
	s_mov_b32 s5, exec_lo
	s_delay_alu instid0(VALU_DEP_1)
	v_cmpx_eq_u32_e64 v0, v4
; %bb.13:
	s_delay_alu instid0(VALU_DEP_2)
	v_lshlrev_b32_e32 v4, 3, v12
	ds_store_b64 v4, v[2:3]
; %bb.14:
	s_or_b32 exec_lo, exec_lo, s5
	s_delay_alu instid0(SALU_CYCLE_1)
	s_mov_b32 s5, exec_lo
	s_wait_dscnt 0x0
	s_barrier_signal -1
	s_barrier_wait -1
	v_cmpx_gt_u32_e32 16, v0
	s_cbranch_execz .LBB2042_24
; %bb.15:
	v_lshlrev_b32_e32 v13, 3, v0
	ds_load_b64 v[4:5], v13
	s_wait_dscnt 0x0
	v_mov_b32_dpp v8, v4 row_shr:1 row_mask:0xf bank_mask:0xf
	v_mov_b32_dpp v11, v5 row_shr:1 row_mask:0xf bank_mask:0xf
	v_mov_b32_e32 v6, v4
	s_and_saveexec_b32 s4, s0
; %bb.16:
	v_mov_b32_e32 v10, 0
	s_delay_alu instid0(VALU_DEP_1) | instskip(NEXT) | instid1(VALU_DEP_1)
	v_mov_b32_e32 v9, v10
	v_add_nc_u64_e32 v[6:7], v[4:5], v[8:9]
	s_delay_alu instid0(VALU_DEP_1)
	v_add_nc_u64_e32 v[4:5], v[10:11], v[6:7]
; %bb.17:
	s_or_b32 exec_lo, exec_lo, s4
	v_mov_b32_dpp v8, v6 row_shr:2 row_mask:0xf bank_mask:0xf
	s_delay_alu instid0(VALU_DEP_2)
	v_mov_b32_dpp v11, v5 row_shr:2 row_mask:0xf bank_mask:0xf
	s_and_saveexec_b32 s0, s1
; %bb.18:
	v_mov_b32_e32 v10, 0
	s_delay_alu instid0(VALU_DEP_1) | instskip(NEXT) | instid1(VALU_DEP_1)
	v_mov_b32_e32 v9, v10
	v_add_nc_u64_e32 v[6:7], v[4:5], v[8:9]
	s_delay_alu instid0(VALU_DEP_1)
	v_add_nc_u64_e32 v[4:5], v[10:11], v[6:7]
; %bb.19:
	s_or_b32 exec_lo, exec_lo, s0
	v_mov_b32_dpp v8, v6 row_shr:4 row_mask:0xf bank_mask:0xf
	s_delay_alu instid0(VALU_DEP_2)
	v_mov_b32_dpp v11, v5 row_shr:4 row_mask:0xf bank_mask:0xf
	;; [unrolled: 13-line block ×3, first 2 shown]
	s_and_saveexec_b32 s0, s3
; %bb.22:
	v_mov_b32_e32 v8, 0
	s_delay_alu instid0(VALU_DEP_1) | instskip(NEXT) | instid1(VALU_DEP_1)
	v_mov_b32_e32 v7, v8
	v_add_nc_u64_e32 v[4:5], v[4:5], v[6:7]
	s_delay_alu instid0(VALU_DEP_1)
	v_add_nc_u64_e32 v[4:5], v[4:5], v[8:9]
; %bb.23:
	s_or_b32 exec_lo, exec_lo, s0
	ds_store_b64 v13, v[4:5]
.LBB2042_24:
	s_or_b32 exec_lo, exec_lo, s5
	v_mov_b64_e32 v[4:5], 0
	s_mov_b32 s1, exec_lo
	s_wait_dscnt 0x0
	s_barrier_signal -1
	s_barrier_wait -1
	v_cmpx_lt_u32_e32 31, v0
; %bb.25:
	v_lshl_add_u32 v4, v12, 3, -8
	ds_load_b64 v[4:5], v4
; %bb.26:
	s_or_b32 exec_lo, exec_lo, s1
	v_add_nc_u32_e32 v6, -1, v1
	s_wait_dscnt 0x0
	v_add_nc_u64_e32 v[2:3], v[4:5], v[2:3]
	s_delay_alu instid0(VALU_DEP_2) | instskip(NEXT) | instid1(VALU_DEP_1)
	v_cmp_gt_i32_e64 s0, 0, v6
	v_cndmask_b32_e64 v6, v6, v1, s0
	s_delay_alu instid0(VALU_DEP_1)
	v_lshlrev_b32_e32 v6, 2, v6
	ds_bpermute_b32 v2, v6, v2
	ds_bpermute_b32 v3, v6, v3
	s_and_saveexec_b32 s0, vcc_lo
	s_cbranch_execz .LBB2042_28
; %bb.27:
	v_cmp_eq_u32_e32 vcc_lo, 0, v1
	s_wait_dscnt 0x0
	v_dual_cndmask_b32 v3, v3, v5 :: v_dual_cndmask_b32 v2, v2, v4
	global_store_b64 v0, v[2:3], s[6:7] scale_offset
.LBB2042_28:
	s_endpgm
	.section	.rodata,"a",@progbits
	.p2align	6, 0x0
	.amdhsa_kernel _ZN7rocprim17ROCPRIM_400000_NS6detail17trampoline_kernelINS0_14default_configENS1_35radix_sort_onesweep_config_selectorI12hip_bfloat16NS0_10empty_typeEEEZNS1_34radix_sort_onesweep_global_offsetsIS3_Lb0EPKS5_PS6_mNS0_19identity_decomposerEEE10hipError_tT1_T2_PT3_SG_jT4_jjP12ihipStream_tbEUlT_E0_NS1_11comp_targetILNS1_3genE0ELNS1_11target_archE4294967295ELNS1_3gpuE0ELNS1_3repE0EEENS1_52radix_sort_onesweep_histogram_config_static_selectorELNS0_4arch9wavefront6targetE0EEEvSE_
		.amdhsa_group_segment_fixed_size 128
		.amdhsa_private_segment_fixed_size 0
		.amdhsa_kernarg_size 8
		.amdhsa_user_sgpr_count 2
		.amdhsa_user_sgpr_dispatch_ptr 0
		.amdhsa_user_sgpr_queue_ptr 0
		.amdhsa_user_sgpr_kernarg_segment_ptr 1
		.amdhsa_user_sgpr_dispatch_id 0
		.amdhsa_user_sgpr_kernarg_preload_length 0
		.amdhsa_user_sgpr_kernarg_preload_offset 0
		.amdhsa_user_sgpr_private_segment_size 0
		.amdhsa_wavefront_size32 1
		.amdhsa_uses_dynamic_stack 0
		.amdhsa_enable_private_segment 0
		.amdhsa_system_sgpr_workgroup_id_x 1
		.amdhsa_system_sgpr_workgroup_id_y 0
		.amdhsa_system_sgpr_workgroup_id_z 0
		.amdhsa_system_sgpr_workgroup_info 0
		.amdhsa_system_vgpr_workitem_id 0
		.amdhsa_next_free_vgpr 14
		.amdhsa_next_free_sgpr 8
		.amdhsa_named_barrier_count 0
		.amdhsa_reserve_vcc 1
		.amdhsa_float_round_mode_32 0
		.amdhsa_float_round_mode_16_64 0
		.amdhsa_float_denorm_mode_32 3
		.amdhsa_float_denorm_mode_16_64 3
		.amdhsa_fp16_overflow 0
		.amdhsa_memory_ordered 1
		.amdhsa_forward_progress 1
		.amdhsa_inst_pref_size 7
		.amdhsa_round_robin_scheduling 0
		.amdhsa_exception_fp_ieee_invalid_op 0
		.amdhsa_exception_fp_denorm_src 0
		.amdhsa_exception_fp_ieee_div_zero 0
		.amdhsa_exception_fp_ieee_overflow 0
		.amdhsa_exception_fp_ieee_underflow 0
		.amdhsa_exception_fp_ieee_inexact 0
		.amdhsa_exception_int_div_zero 0
	.end_amdhsa_kernel
	.section	.text._ZN7rocprim17ROCPRIM_400000_NS6detail17trampoline_kernelINS0_14default_configENS1_35radix_sort_onesweep_config_selectorI12hip_bfloat16NS0_10empty_typeEEEZNS1_34radix_sort_onesweep_global_offsetsIS3_Lb0EPKS5_PS6_mNS0_19identity_decomposerEEE10hipError_tT1_T2_PT3_SG_jT4_jjP12ihipStream_tbEUlT_E0_NS1_11comp_targetILNS1_3genE0ELNS1_11target_archE4294967295ELNS1_3gpuE0ELNS1_3repE0EEENS1_52radix_sort_onesweep_histogram_config_static_selectorELNS0_4arch9wavefront6targetE0EEEvSE_,"axG",@progbits,_ZN7rocprim17ROCPRIM_400000_NS6detail17trampoline_kernelINS0_14default_configENS1_35radix_sort_onesweep_config_selectorI12hip_bfloat16NS0_10empty_typeEEEZNS1_34radix_sort_onesweep_global_offsetsIS3_Lb0EPKS5_PS6_mNS0_19identity_decomposerEEE10hipError_tT1_T2_PT3_SG_jT4_jjP12ihipStream_tbEUlT_E0_NS1_11comp_targetILNS1_3genE0ELNS1_11target_archE4294967295ELNS1_3gpuE0ELNS1_3repE0EEENS1_52radix_sort_onesweep_histogram_config_static_selectorELNS0_4arch9wavefront6targetE0EEEvSE_,comdat
.Lfunc_end2042:
	.size	_ZN7rocprim17ROCPRIM_400000_NS6detail17trampoline_kernelINS0_14default_configENS1_35radix_sort_onesweep_config_selectorI12hip_bfloat16NS0_10empty_typeEEEZNS1_34radix_sort_onesweep_global_offsetsIS3_Lb0EPKS5_PS6_mNS0_19identity_decomposerEEE10hipError_tT1_T2_PT3_SG_jT4_jjP12ihipStream_tbEUlT_E0_NS1_11comp_targetILNS1_3genE0ELNS1_11target_archE4294967295ELNS1_3gpuE0ELNS1_3repE0EEENS1_52radix_sort_onesweep_histogram_config_static_selectorELNS0_4arch9wavefront6targetE0EEEvSE_, .Lfunc_end2042-_ZN7rocprim17ROCPRIM_400000_NS6detail17trampoline_kernelINS0_14default_configENS1_35radix_sort_onesweep_config_selectorI12hip_bfloat16NS0_10empty_typeEEEZNS1_34radix_sort_onesweep_global_offsetsIS3_Lb0EPKS5_PS6_mNS0_19identity_decomposerEEE10hipError_tT1_T2_PT3_SG_jT4_jjP12ihipStream_tbEUlT_E0_NS1_11comp_targetILNS1_3genE0ELNS1_11target_archE4294967295ELNS1_3gpuE0ELNS1_3repE0EEENS1_52radix_sort_onesweep_histogram_config_static_selectorELNS0_4arch9wavefront6targetE0EEEvSE_
                                        ; -- End function
	.set _ZN7rocprim17ROCPRIM_400000_NS6detail17trampoline_kernelINS0_14default_configENS1_35radix_sort_onesweep_config_selectorI12hip_bfloat16NS0_10empty_typeEEEZNS1_34radix_sort_onesweep_global_offsetsIS3_Lb0EPKS5_PS6_mNS0_19identity_decomposerEEE10hipError_tT1_T2_PT3_SG_jT4_jjP12ihipStream_tbEUlT_E0_NS1_11comp_targetILNS1_3genE0ELNS1_11target_archE4294967295ELNS1_3gpuE0ELNS1_3repE0EEENS1_52radix_sort_onesweep_histogram_config_static_selectorELNS0_4arch9wavefront6targetE0EEEvSE_.num_vgpr, 14
	.set _ZN7rocprim17ROCPRIM_400000_NS6detail17trampoline_kernelINS0_14default_configENS1_35radix_sort_onesweep_config_selectorI12hip_bfloat16NS0_10empty_typeEEEZNS1_34radix_sort_onesweep_global_offsetsIS3_Lb0EPKS5_PS6_mNS0_19identity_decomposerEEE10hipError_tT1_T2_PT3_SG_jT4_jjP12ihipStream_tbEUlT_E0_NS1_11comp_targetILNS1_3genE0ELNS1_11target_archE4294967295ELNS1_3gpuE0ELNS1_3repE0EEENS1_52radix_sort_onesweep_histogram_config_static_selectorELNS0_4arch9wavefront6targetE0EEEvSE_.num_agpr, 0
	.set _ZN7rocprim17ROCPRIM_400000_NS6detail17trampoline_kernelINS0_14default_configENS1_35radix_sort_onesweep_config_selectorI12hip_bfloat16NS0_10empty_typeEEEZNS1_34radix_sort_onesweep_global_offsetsIS3_Lb0EPKS5_PS6_mNS0_19identity_decomposerEEE10hipError_tT1_T2_PT3_SG_jT4_jjP12ihipStream_tbEUlT_E0_NS1_11comp_targetILNS1_3genE0ELNS1_11target_archE4294967295ELNS1_3gpuE0ELNS1_3repE0EEENS1_52radix_sort_onesweep_histogram_config_static_selectorELNS0_4arch9wavefront6targetE0EEEvSE_.numbered_sgpr, 8
	.set _ZN7rocprim17ROCPRIM_400000_NS6detail17trampoline_kernelINS0_14default_configENS1_35radix_sort_onesweep_config_selectorI12hip_bfloat16NS0_10empty_typeEEEZNS1_34radix_sort_onesweep_global_offsetsIS3_Lb0EPKS5_PS6_mNS0_19identity_decomposerEEE10hipError_tT1_T2_PT3_SG_jT4_jjP12ihipStream_tbEUlT_E0_NS1_11comp_targetILNS1_3genE0ELNS1_11target_archE4294967295ELNS1_3gpuE0ELNS1_3repE0EEENS1_52radix_sort_onesweep_histogram_config_static_selectorELNS0_4arch9wavefront6targetE0EEEvSE_.num_named_barrier, 0
	.set _ZN7rocprim17ROCPRIM_400000_NS6detail17trampoline_kernelINS0_14default_configENS1_35radix_sort_onesweep_config_selectorI12hip_bfloat16NS0_10empty_typeEEEZNS1_34radix_sort_onesweep_global_offsetsIS3_Lb0EPKS5_PS6_mNS0_19identity_decomposerEEE10hipError_tT1_T2_PT3_SG_jT4_jjP12ihipStream_tbEUlT_E0_NS1_11comp_targetILNS1_3genE0ELNS1_11target_archE4294967295ELNS1_3gpuE0ELNS1_3repE0EEENS1_52radix_sort_onesweep_histogram_config_static_selectorELNS0_4arch9wavefront6targetE0EEEvSE_.private_seg_size, 0
	.set _ZN7rocprim17ROCPRIM_400000_NS6detail17trampoline_kernelINS0_14default_configENS1_35radix_sort_onesweep_config_selectorI12hip_bfloat16NS0_10empty_typeEEEZNS1_34radix_sort_onesweep_global_offsetsIS3_Lb0EPKS5_PS6_mNS0_19identity_decomposerEEE10hipError_tT1_T2_PT3_SG_jT4_jjP12ihipStream_tbEUlT_E0_NS1_11comp_targetILNS1_3genE0ELNS1_11target_archE4294967295ELNS1_3gpuE0ELNS1_3repE0EEENS1_52radix_sort_onesweep_histogram_config_static_selectorELNS0_4arch9wavefront6targetE0EEEvSE_.uses_vcc, 1
	.set _ZN7rocprim17ROCPRIM_400000_NS6detail17trampoline_kernelINS0_14default_configENS1_35radix_sort_onesweep_config_selectorI12hip_bfloat16NS0_10empty_typeEEEZNS1_34radix_sort_onesweep_global_offsetsIS3_Lb0EPKS5_PS6_mNS0_19identity_decomposerEEE10hipError_tT1_T2_PT3_SG_jT4_jjP12ihipStream_tbEUlT_E0_NS1_11comp_targetILNS1_3genE0ELNS1_11target_archE4294967295ELNS1_3gpuE0ELNS1_3repE0EEENS1_52radix_sort_onesweep_histogram_config_static_selectorELNS0_4arch9wavefront6targetE0EEEvSE_.uses_flat_scratch, 0
	.set _ZN7rocprim17ROCPRIM_400000_NS6detail17trampoline_kernelINS0_14default_configENS1_35radix_sort_onesweep_config_selectorI12hip_bfloat16NS0_10empty_typeEEEZNS1_34radix_sort_onesweep_global_offsetsIS3_Lb0EPKS5_PS6_mNS0_19identity_decomposerEEE10hipError_tT1_T2_PT3_SG_jT4_jjP12ihipStream_tbEUlT_E0_NS1_11comp_targetILNS1_3genE0ELNS1_11target_archE4294967295ELNS1_3gpuE0ELNS1_3repE0EEENS1_52radix_sort_onesweep_histogram_config_static_selectorELNS0_4arch9wavefront6targetE0EEEvSE_.has_dyn_sized_stack, 0
	.set _ZN7rocprim17ROCPRIM_400000_NS6detail17trampoline_kernelINS0_14default_configENS1_35radix_sort_onesweep_config_selectorI12hip_bfloat16NS0_10empty_typeEEEZNS1_34radix_sort_onesweep_global_offsetsIS3_Lb0EPKS5_PS6_mNS0_19identity_decomposerEEE10hipError_tT1_T2_PT3_SG_jT4_jjP12ihipStream_tbEUlT_E0_NS1_11comp_targetILNS1_3genE0ELNS1_11target_archE4294967295ELNS1_3gpuE0ELNS1_3repE0EEENS1_52radix_sort_onesweep_histogram_config_static_selectorELNS0_4arch9wavefront6targetE0EEEvSE_.has_recursion, 0
	.set _ZN7rocprim17ROCPRIM_400000_NS6detail17trampoline_kernelINS0_14default_configENS1_35radix_sort_onesweep_config_selectorI12hip_bfloat16NS0_10empty_typeEEEZNS1_34radix_sort_onesweep_global_offsetsIS3_Lb0EPKS5_PS6_mNS0_19identity_decomposerEEE10hipError_tT1_T2_PT3_SG_jT4_jjP12ihipStream_tbEUlT_E0_NS1_11comp_targetILNS1_3genE0ELNS1_11target_archE4294967295ELNS1_3gpuE0ELNS1_3repE0EEENS1_52radix_sort_onesweep_histogram_config_static_selectorELNS0_4arch9wavefront6targetE0EEEvSE_.has_indirect_call, 0
	.section	.AMDGPU.csdata,"",@progbits
; Kernel info:
; codeLenInByte = 896
; TotalNumSgprs: 10
; NumVgprs: 14
; ScratchSize: 0
; MemoryBound: 0
; FloatMode: 240
; IeeeMode: 1
; LDSByteSize: 128 bytes/workgroup (compile time only)
; SGPRBlocks: 0
; VGPRBlocks: 0
; NumSGPRsForWavesPerEU: 10
; NumVGPRsForWavesPerEU: 14
; NamedBarCnt: 0
; Occupancy: 16
; WaveLimiterHint : 0
; COMPUTE_PGM_RSRC2:SCRATCH_EN: 0
; COMPUTE_PGM_RSRC2:USER_SGPR: 2
; COMPUTE_PGM_RSRC2:TRAP_HANDLER: 0
; COMPUTE_PGM_RSRC2:TGID_X_EN: 1
; COMPUTE_PGM_RSRC2:TGID_Y_EN: 0
; COMPUTE_PGM_RSRC2:TGID_Z_EN: 0
; COMPUTE_PGM_RSRC2:TIDIG_COMP_CNT: 0
	.section	.text._ZN7rocprim17ROCPRIM_400000_NS6detail17trampoline_kernelINS0_14default_configENS1_35radix_sort_onesweep_config_selectorI12hip_bfloat16NS0_10empty_typeEEEZNS1_34radix_sort_onesweep_global_offsetsIS3_Lb0EPKS5_PS6_mNS0_19identity_decomposerEEE10hipError_tT1_T2_PT3_SG_jT4_jjP12ihipStream_tbEUlT_E0_NS1_11comp_targetILNS1_3genE6ELNS1_11target_archE950ELNS1_3gpuE13ELNS1_3repE0EEENS1_52radix_sort_onesweep_histogram_config_static_selectorELNS0_4arch9wavefront6targetE0EEEvSE_,"axG",@progbits,_ZN7rocprim17ROCPRIM_400000_NS6detail17trampoline_kernelINS0_14default_configENS1_35radix_sort_onesweep_config_selectorI12hip_bfloat16NS0_10empty_typeEEEZNS1_34radix_sort_onesweep_global_offsetsIS3_Lb0EPKS5_PS6_mNS0_19identity_decomposerEEE10hipError_tT1_T2_PT3_SG_jT4_jjP12ihipStream_tbEUlT_E0_NS1_11comp_targetILNS1_3genE6ELNS1_11target_archE950ELNS1_3gpuE13ELNS1_3repE0EEENS1_52radix_sort_onesweep_histogram_config_static_selectorELNS0_4arch9wavefront6targetE0EEEvSE_,comdat
	.protected	_ZN7rocprim17ROCPRIM_400000_NS6detail17trampoline_kernelINS0_14default_configENS1_35radix_sort_onesweep_config_selectorI12hip_bfloat16NS0_10empty_typeEEEZNS1_34radix_sort_onesweep_global_offsetsIS3_Lb0EPKS5_PS6_mNS0_19identity_decomposerEEE10hipError_tT1_T2_PT3_SG_jT4_jjP12ihipStream_tbEUlT_E0_NS1_11comp_targetILNS1_3genE6ELNS1_11target_archE950ELNS1_3gpuE13ELNS1_3repE0EEENS1_52radix_sort_onesweep_histogram_config_static_selectorELNS0_4arch9wavefront6targetE0EEEvSE_ ; -- Begin function _ZN7rocprim17ROCPRIM_400000_NS6detail17trampoline_kernelINS0_14default_configENS1_35radix_sort_onesweep_config_selectorI12hip_bfloat16NS0_10empty_typeEEEZNS1_34radix_sort_onesweep_global_offsetsIS3_Lb0EPKS5_PS6_mNS0_19identity_decomposerEEE10hipError_tT1_T2_PT3_SG_jT4_jjP12ihipStream_tbEUlT_E0_NS1_11comp_targetILNS1_3genE6ELNS1_11target_archE950ELNS1_3gpuE13ELNS1_3repE0EEENS1_52radix_sort_onesweep_histogram_config_static_selectorELNS0_4arch9wavefront6targetE0EEEvSE_
	.globl	_ZN7rocprim17ROCPRIM_400000_NS6detail17trampoline_kernelINS0_14default_configENS1_35radix_sort_onesweep_config_selectorI12hip_bfloat16NS0_10empty_typeEEEZNS1_34radix_sort_onesweep_global_offsetsIS3_Lb0EPKS5_PS6_mNS0_19identity_decomposerEEE10hipError_tT1_T2_PT3_SG_jT4_jjP12ihipStream_tbEUlT_E0_NS1_11comp_targetILNS1_3genE6ELNS1_11target_archE950ELNS1_3gpuE13ELNS1_3repE0EEENS1_52radix_sort_onesweep_histogram_config_static_selectorELNS0_4arch9wavefront6targetE0EEEvSE_
	.p2align	8
	.type	_ZN7rocprim17ROCPRIM_400000_NS6detail17trampoline_kernelINS0_14default_configENS1_35radix_sort_onesweep_config_selectorI12hip_bfloat16NS0_10empty_typeEEEZNS1_34radix_sort_onesweep_global_offsetsIS3_Lb0EPKS5_PS6_mNS0_19identity_decomposerEEE10hipError_tT1_T2_PT3_SG_jT4_jjP12ihipStream_tbEUlT_E0_NS1_11comp_targetILNS1_3genE6ELNS1_11target_archE950ELNS1_3gpuE13ELNS1_3repE0EEENS1_52radix_sort_onesweep_histogram_config_static_selectorELNS0_4arch9wavefront6targetE0EEEvSE_,@function
_ZN7rocprim17ROCPRIM_400000_NS6detail17trampoline_kernelINS0_14default_configENS1_35radix_sort_onesweep_config_selectorI12hip_bfloat16NS0_10empty_typeEEEZNS1_34radix_sort_onesweep_global_offsetsIS3_Lb0EPKS5_PS6_mNS0_19identity_decomposerEEE10hipError_tT1_T2_PT3_SG_jT4_jjP12ihipStream_tbEUlT_E0_NS1_11comp_targetILNS1_3genE6ELNS1_11target_archE950ELNS1_3gpuE13ELNS1_3repE0EEENS1_52radix_sort_onesweep_histogram_config_static_selectorELNS0_4arch9wavefront6targetE0EEEvSE_: ; @_ZN7rocprim17ROCPRIM_400000_NS6detail17trampoline_kernelINS0_14default_configENS1_35radix_sort_onesweep_config_selectorI12hip_bfloat16NS0_10empty_typeEEEZNS1_34radix_sort_onesweep_global_offsetsIS3_Lb0EPKS5_PS6_mNS0_19identity_decomposerEEE10hipError_tT1_T2_PT3_SG_jT4_jjP12ihipStream_tbEUlT_E0_NS1_11comp_targetILNS1_3genE6ELNS1_11target_archE950ELNS1_3gpuE13ELNS1_3repE0EEENS1_52radix_sort_onesweep_histogram_config_static_selectorELNS0_4arch9wavefront6targetE0EEEvSE_
; %bb.0:
	.section	.rodata,"a",@progbits
	.p2align	6, 0x0
	.amdhsa_kernel _ZN7rocprim17ROCPRIM_400000_NS6detail17trampoline_kernelINS0_14default_configENS1_35radix_sort_onesweep_config_selectorI12hip_bfloat16NS0_10empty_typeEEEZNS1_34radix_sort_onesweep_global_offsetsIS3_Lb0EPKS5_PS6_mNS0_19identity_decomposerEEE10hipError_tT1_T2_PT3_SG_jT4_jjP12ihipStream_tbEUlT_E0_NS1_11comp_targetILNS1_3genE6ELNS1_11target_archE950ELNS1_3gpuE13ELNS1_3repE0EEENS1_52radix_sort_onesweep_histogram_config_static_selectorELNS0_4arch9wavefront6targetE0EEEvSE_
		.amdhsa_group_segment_fixed_size 0
		.amdhsa_private_segment_fixed_size 0
		.amdhsa_kernarg_size 8
		.amdhsa_user_sgpr_count 2
		.amdhsa_user_sgpr_dispatch_ptr 0
		.amdhsa_user_sgpr_queue_ptr 0
		.amdhsa_user_sgpr_kernarg_segment_ptr 1
		.amdhsa_user_sgpr_dispatch_id 0
		.amdhsa_user_sgpr_kernarg_preload_length 0
		.amdhsa_user_sgpr_kernarg_preload_offset 0
		.amdhsa_user_sgpr_private_segment_size 0
		.amdhsa_wavefront_size32 1
		.amdhsa_uses_dynamic_stack 0
		.amdhsa_enable_private_segment 0
		.amdhsa_system_sgpr_workgroup_id_x 1
		.amdhsa_system_sgpr_workgroup_id_y 0
		.amdhsa_system_sgpr_workgroup_id_z 0
		.amdhsa_system_sgpr_workgroup_info 0
		.amdhsa_system_vgpr_workitem_id 0
		.amdhsa_next_free_vgpr 1
		.amdhsa_next_free_sgpr 1
		.amdhsa_named_barrier_count 0
		.amdhsa_reserve_vcc 0
		.amdhsa_float_round_mode_32 0
		.amdhsa_float_round_mode_16_64 0
		.amdhsa_float_denorm_mode_32 3
		.amdhsa_float_denorm_mode_16_64 3
		.amdhsa_fp16_overflow 0
		.amdhsa_memory_ordered 1
		.amdhsa_forward_progress 1
		.amdhsa_inst_pref_size 0
		.amdhsa_round_robin_scheduling 0
		.amdhsa_exception_fp_ieee_invalid_op 0
		.amdhsa_exception_fp_denorm_src 0
		.amdhsa_exception_fp_ieee_div_zero 0
		.amdhsa_exception_fp_ieee_overflow 0
		.amdhsa_exception_fp_ieee_underflow 0
		.amdhsa_exception_fp_ieee_inexact 0
		.amdhsa_exception_int_div_zero 0
	.end_amdhsa_kernel
	.section	.text._ZN7rocprim17ROCPRIM_400000_NS6detail17trampoline_kernelINS0_14default_configENS1_35radix_sort_onesweep_config_selectorI12hip_bfloat16NS0_10empty_typeEEEZNS1_34radix_sort_onesweep_global_offsetsIS3_Lb0EPKS5_PS6_mNS0_19identity_decomposerEEE10hipError_tT1_T2_PT3_SG_jT4_jjP12ihipStream_tbEUlT_E0_NS1_11comp_targetILNS1_3genE6ELNS1_11target_archE950ELNS1_3gpuE13ELNS1_3repE0EEENS1_52radix_sort_onesweep_histogram_config_static_selectorELNS0_4arch9wavefront6targetE0EEEvSE_,"axG",@progbits,_ZN7rocprim17ROCPRIM_400000_NS6detail17trampoline_kernelINS0_14default_configENS1_35radix_sort_onesweep_config_selectorI12hip_bfloat16NS0_10empty_typeEEEZNS1_34radix_sort_onesweep_global_offsetsIS3_Lb0EPKS5_PS6_mNS0_19identity_decomposerEEE10hipError_tT1_T2_PT3_SG_jT4_jjP12ihipStream_tbEUlT_E0_NS1_11comp_targetILNS1_3genE6ELNS1_11target_archE950ELNS1_3gpuE13ELNS1_3repE0EEENS1_52radix_sort_onesweep_histogram_config_static_selectorELNS0_4arch9wavefront6targetE0EEEvSE_,comdat
.Lfunc_end2043:
	.size	_ZN7rocprim17ROCPRIM_400000_NS6detail17trampoline_kernelINS0_14default_configENS1_35radix_sort_onesweep_config_selectorI12hip_bfloat16NS0_10empty_typeEEEZNS1_34radix_sort_onesweep_global_offsetsIS3_Lb0EPKS5_PS6_mNS0_19identity_decomposerEEE10hipError_tT1_T2_PT3_SG_jT4_jjP12ihipStream_tbEUlT_E0_NS1_11comp_targetILNS1_3genE6ELNS1_11target_archE950ELNS1_3gpuE13ELNS1_3repE0EEENS1_52radix_sort_onesweep_histogram_config_static_selectorELNS0_4arch9wavefront6targetE0EEEvSE_, .Lfunc_end2043-_ZN7rocprim17ROCPRIM_400000_NS6detail17trampoline_kernelINS0_14default_configENS1_35radix_sort_onesweep_config_selectorI12hip_bfloat16NS0_10empty_typeEEEZNS1_34radix_sort_onesweep_global_offsetsIS3_Lb0EPKS5_PS6_mNS0_19identity_decomposerEEE10hipError_tT1_T2_PT3_SG_jT4_jjP12ihipStream_tbEUlT_E0_NS1_11comp_targetILNS1_3genE6ELNS1_11target_archE950ELNS1_3gpuE13ELNS1_3repE0EEENS1_52radix_sort_onesweep_histogram_config_static_selectorELNS0_4arch9wavefront6targetE0EEEvSE_
                                        ; -- End function
	.set _ZN7rocprim17ROCPRIM_400000_NS6detail17trampoline_kernelINS0_14default_configENS1_35radix_sort_onesweep_config_selectorI12hip_bfloat16NS0_10empty_typeEEEZNS1_34radix_sort_onesweep_global_offsetsIS3_Lb0EPKS5_PS6_mNS0_19identity_decomposerEEE10hipError_tT1_T2_PT3_SG_jT4_jjP12ihipStream_tbEUlT_E0_NS1_11comp_targetILNS1_3genE6ELNS1_11target_archE950ELNS1_3gpuE13ELNS1_3repE0EEENS1_52radix_sort_onesweep_histogram_config_static_selectorELNS0_4arch9wavefront6targetE0EEEvSE_.num_vgpr, 0
	.set _ZN7rocprim17ROCPRIM_400000_NS6detail17trampoline_kernelINS0_14default_configENS1_35radix_sort_onesweep_config_selectorI12hip_bfloat16NS0_10empty_typeEEEZNS1_34radix_sort_onesweep_global_offsetsIS3_Lb0EPKS5_PS6_mNS0_19identity_decomposerEEE10hipError_tT1_T2_PT3_SG_jT4_jjP12ihipStream_tbEUlT_E0_NS1_11comp_targetILNS1_3genE6ELNS1_11target_archE950ELNS1_3gpuE13ELNS1_3repE0EEENS1_52radix_sort_onesweep_histogram_config_static_selectorELNS0_4arch9wavefront6targetE0EEEvSE_.num_agpr, 0
	.set _ZN7rocprim17ROCPRIM_400000_NS6detail17trampoline_kernelINS0_14default_configENS1_35radix_sort_onesweep_config_selectorI12hip_bfloat16NS0_10empty_typeEEEZNS1_34radix_sort_onesweep_global_offsetsIS3_Lb0EPKS5_PS6_mNS0_19identity_decomposerEEE10hipError_tT1_T2_PT3_SG_jT4_jjP12ihipStream_tbEUlT_E0_NS1_11comp_targetILNS1_3genE6ELNS1_11target_archE950ELNS1_3gpuE13ELNS1_3repE0EEENS1_52radix_sort_onesweep_histogram_config_static_selectorELNS0_4arch9wavefront6targetE0EEEvSE_.numbered_sgpr, 0
	.set _ZN7rocprim17ROCPRIM_400000_NS6detail17trampoline_kernelINS0_14default_configENS1_35radix_sort_onesweep_config_selectorI12hip_bfloat16NS0_10empty_typeEEEZNS1_34radix_sort_onesweep_global_offsetsIS3_Lb0EPKS5_PS6_mNS0_19identity_decomposerEEE10hipError_tT1_T2_PT3_SG_jT4_jjP12ihipStream_tbEUlT_E0_NS1_11comp_targetILNS1_3genE6ELNS1_11target_archE950ELNS1_3gpuE13ELNS1_3repE0EEENS1_52radix_sort_onesweep_histogram_config_static_selectorELNS0_4arch9wavefront6targetE0EEEvSE_.num_named_barrier, 0
	.set _ZN7rocprim17ROCPRIM_400000_NS6detail17trampoline_kernelINS0_14default_configENS1_35radix_sort_onesweep_config_selectorI12hip_bfloat16NS0_10empty_typeEEEZNS1_34radix_sort_onesweep_global_offsetsIS3_Lb0EPKS5_PS6_mNS0_19identity_decomposerEEE10hipError_tT1_T2_PT3_SG_jT4_jjP12ihipStream_tbEUlT_E0_NS1_11comp_targetILNS1_3genE6ELNS1_11target_archE950ELNS1_3gpuE13ELNS1_3repE0EEENS1_52radix_sort_onesweep_histogram_config_static_selectorELNS0_4arch9wavefront6targetE0EEEvSE_.private_seg_size, 0
	.set _ZN7rocprim17ROCPRIM_400000_NS6detail17trampoline_kernelINS0_14default_configENS1_35radix_sort_onesweep_config_selectorI12hip_bfloat16NS0_10empty_typeEEEZNS1_34radix_sort_onesweep_global_offsetsIS3_Lb0EPKS5_PS6_mNS0_19identity_decomposerEEE10hipError_tT1_T2_PT3_SG_jT4_jjP12ihipStream_tbEUlT_E0_NS1_11comp_targetILNS1_3genE6ELNS1_11target_archE950ELNS1_3gpuE13ELNS1_3repE0EEENS1_52radix_sort_onesweep_histogram_config_static_selectorELNS0_4arch9wavefront6targetE0EEEvSE_.uses_vcc, 0
	.set _ZN7rocprim17ROCPRIM_400000_NS6detail17trampoline_kernelINS0_14default_configENS1_35radix_sort_onesweep_config_selectorI12hip_bfloat16NS0_10empty_typeEEEZNS1_34radix_sort_onesweep_global_offsetsIS3_Lb0EPKS5_PS6_mNS0_19identity_decomposerEEE10hipError_tT1_T2_PT3_SG_jT4_jjP12ihipStream_tbEUlT_E0_NS1_11comp_targetILNS1_3genE6ELNS1_11target_archE950ELNS1_3gpuE13ELNS1_3repE0EEENS1_52radix_sort_onesweep_histogram_config_static_selectorELNS0_4arch9wavefront6targetE0EEEvSE_.uses_flat_scratch, 0
	.set _ZN7rocprim17ROCPRIM_400000_NS6detail17trampoline_kernelINS0_14default_configENS1_35radix_sort_onesweep_config_selectorI12hip_bfloat16NS0_10empty_typeEEEZNS1_34radix_sort_onesweep_global_offsetsIS3_Lb0EPKS5_PS6_mNS0_19identity_decomposerEEE10hipError_tT1_T2_PT3_SG_jT4_jjP12ihipStream_tbEUlT_E0_NS1_11comp_targetILNS1_3genE6ELNS1_11target_archE950ELNS1_3gpuE13ELNS1_3repE0EEENS1_52radix_sort_onesweep_histogram_config_static_selectorELNS0_4arch9wavefront6targetE0EEEvSE_.has_dyn_sized_stack, 0
	.set _ZN7rocprim17ROCPRIM_400000_NS6detail17trampoline_kernelINS0_14default_configENS1_35radix_sort_onesweep_config_selectorI12hip_bfloat16NS0_10empty_typeEEEZNS1_34radix_sort_onesweep_global_offsetsIS3_Lb0EPKS5_PS6_mNS0_19identity_decomposerEEE10hipError_tT1_T2_PT3_SG_jT4_jjP12ihipStream_tbEUlT_E0_NS1_11comp_targetILNS1_3genE6ELNS1_11target_archE950ELNS1_3gpuE13ELNS1_3repE0EEENS1_52radix_sort_onesweep_histogram_config_static_selectorELNS0_4arch9wavefront6targetE0EEEvSE_.has_recursion, 0
	.set _ZN7rocprim17ROCPRIM_400000_NS6detail17trampoline_kernelINS0_14default_configENS1_35radix_sort_onesweep_config_selectorI12hip_bfloat16NS0_10empty_typeEEEZNS1_34radix_sort_onesweep_global_offsetsIS3_Lb0EPKS5_PS6_mNS0_19identity_decomposerEEE10hipError_tT1_T2_PT3_SG_jT4_jjP12ihipStream_tbEUlT_E0_NS1_11comp_targetILNS1_3genE6ELNS1_11target_archE950ELNS1_3gpuE13ELNS1_3repE0EEENS1_52radix_sort_onesweep_histogram_config_static_selectorELNS0_4arch9wavefront6targetE0EEEvSE_.has_indirect_call, 0
	.section	.AMDGPU.csdata,"",@progbits
; Kernel info:
; codeLenInByte = 0
; TotalNumSgprs: 0
; NumVgprs: 0
; ScratchSize: 0
; MemoryBound: 0
; FloatMode: 240
; IeeeMode: 1
; LDSByteSize: 0 bytes/workgroup (compile time only)
; SGPRBlocks: 0
; VGPRBlocks: 0
; NumSGPRsForWavesPerEU: 1
; NumVGPRsForWavesPerEU: 1
; NamedBarCnt: 0
; Occupancy: 16
; WaveLimiterHint : 0
; COMPUTE_PGM_RSRC2:SCRATCH_EN: 0
; COMPUTE_PGM_RSRC2:USER_SGPR: 2
; COMPUTE_PGM_RSRC2:TRAP_HANDLER: 0
; COMPUTE_PGM_RSRC2:TGID_X_EN: 1
; COMPUTE_PGM_RSRC2:TGID_Y_EN: 0
; COMPUTE_PGM_RSRC2:TGID_Z_EN: 0
; COMPUTE_PGM_RSRC2:TIDIG_COMP_CNT: 0
	.section	.text._ZN7rocprim17ROCPRIM_400000_NS6detail17trampoline_kernelINS0_14default_configENS1_35radix_sort_onesweep_config_selectorI12hip_bfloat16NS0_10empty_typeEEEZNS1_34radix_sort_onesweep_global_offsetsIS3_Lb0EPKS5_PS6_mNS0_19identity_decomposerEEE10hipError_tT1_T2_PT3_SG_jT4_jjP12ihipStream_tbEUlT_E0_NS1_11comp_targetILNS1_3genE5ELNS1_11target_archE942ELNS1_3gpuE9ELNS1_3repE0EEENS1_52radix_sort_onesweep_histogram_config_static_selectorELNS0_4arch9wavefront6targetE0EEEvSE_,"axG",@progbits,_ZN7rocprim17ROCPRIM_400000_NS6detail17trampoline_kernelINS0_14default_configENS1_35radix_sort_onesweep_config_selectorI12hip_bfloat16NS0_10empty_typeEEEZNS1_34radix_sort_onesweep_global_offsetsIS3_Lb0EPKS5_PS6_mNS0_19identity_decomposerEEE10hipError_tT1_T2_PT3_SG_jT4_jjP12ihipStream_tbEUlT_E0_NS1_11comp_targetILNS1_3genE5ELNS1_11target_archE942ELNS1_3gpuE9ELNS1_3repE0EEENS1_52radix_sort_onesweep_histogram_config_static_selectorELNS0_4arch9wavefront6targetE0EEEvSE_,comdat
	.protected	_ZN7rocprim17ROCPRIM_400000_NS6detail17trampoline_kernelINS0_14default_configENS1_35radix_sort_onesweep_config_selectorI12hip_bfloat16NS0_10empty_typeEEEZNS1_34radix_sort_onesweep_global_offsetsIS3_Lb0EPKS5_PS6_mNS0_19identity_decomposerEEE10hipError_tT1_T2_PT3_SG_jT4_jjP12ihipStream_tbEUlT_E0_NS1_11comp_targetILNS1_3genE5ELNS1_11target_archE942ELNS1_3gpuE9ELNS1_3repE0EEENS1_52radix_sort_onesweep_histogram_config_static_selectorELNS0_4arch9wavefront6targetE0EEEvSE_ ; -- Begin function _ZN7rocprim17ROCPRIM_400000_NS6detail17trampoline_kernelINS0_14default_configENS1_35radix_sort_onesweep_config_selectorI12hip_bfloat16NS0_10empty_typeEEEZNS1_34radix_sort_onesweep_global_offsetsIS3_Lb0EPKS5_PS6_mNS0_19identity_decomposerEEE10hipError_tT1_T2_PT3_SG_jT4_jjP12ihipStream_tbEUlT_E0_NS1_11comp_targetILNS1_3genE5ELNS1_11target_archE942ELNS1_3gpuE9ELNS1_3repE0EEENS1_52radix_sort_onesweep_histogram_config_static_selectorELNS0_4arch9wavefront6targetE0EEEvSE_
	.globl	_ZN7rocprim17ROCPRIM_400000_NS6detail17trampoline_kernelINS0_14default_configENS1_35radix_sort_onesweep_config_selectorI12hip_bfloat16NS0_10empty_typeEEEZNS1_34radix_sort_onesweep_global_offsetsIS3_Lb0EPKS5_PS6_mNS0_19identity_decomposerEEE10hipError_tT1_T2_PT3_SG_jT4_jjP12ihipStream_tbEUlT_E0_NS1_11comp_targetILNS1_3genE5ELNS1_11target_archE942ELNS1_3gpuE9ELNS1_3repE0EEENS1_52radix_sort_onesweep_histogram_config_static_selectorELNS0_4arch9wavefront6targetE0EEEvSE_
	.p2align	8
	.type	_ZN7rocprim17ROCPRIM_400000_NS6detail17trampoline_kernelINS0_14default_configENS1_35radix_sort_onesweep_config_selectorI12hip_bfloat16NS0_10empty_typeEEEZNS1_34radix_sort_onesweep_global_offsetsIS3_Lb0EPKS5_PS6_mNS0_19identity_decomposerEEE10hipError_tT1_T2_PT3_SG_jT4_jjP12ihipStream_tbEUlT_E0_NS1_11comp_targetILNS1_3genE5ELNS1_11target_archE942ELNS1_3gpuE9ELNS1_3repE0EEENS1_52radix_sort_onesweep_histogram_config_static_selectorELNS0_4arch9wavefront6targetE0EEEvSE_,@function
_ZN7rocprim17ROCPRIM_400000_NS6detail17trampoline_kernelINS0_14default_configENS1_35radix_sort_onesweep_config_selectorI12hip_bfloat16NS0_10empty_typeEEEZNS1_34radix_sort_onesweep_global_offsetsIS3_Lb0EPKS5_PS6_mNS0_19identity_decomposerEEE10hipError_tT1_T2_PT3_SG_jT4_jjP12ihipStream_tbEUlT_E0_NS1_11comp_targetILNS1_3genE5ELNS1_11target_archE942ELNS1_3gpuE9ELNS1_3repE0EEENS1_52radix_sort_onesweep_histogram_config_static_selectorELNS0_4arch9wavefront6targetE0EEEvSE_: ; @_ZN7rocprim17ROCPRIM_400000_NS6detail17trampoline_kernelINS0_14default_configENS1_35radix_sort_onesweep_config_selectorI12hip_bfloat16NS0_10empty_typeEEEZNS1_34radix_sort_onesweep_global_offsetsIS3_Lb0EPKS5_PS6_mNS0_19identity_decomposerEEE10hipError_tT1_T2_PT3_SG_jT4_jjP12ihipStream_tbEUlT_E0_NS1_11comp_targetILNS1_3genE5ELNS1_11target_archE942ELNS1_3gpuE9ELNS1_3repE0EEENS1_52radix_sort_onesweep_histogram_config_static_selectorELNS0_4arch9wavefront6targetE0EEEvSE_
; %bb.0:
	.section	.rodata,"a",@progbits
	.p2align	6, 0x0
	.amdhsa_kernel _ZN7rocprim17ROCPRIM_400000_NS6detail17trampoline_kernelINS0_14default_configENS1_35radix_sort_onesweep_config_selectorI12hip_bfloat16NS0_10empty_typeEEEZNS1_34radix_sort_onesweep_global_offsetsIS3_Lb0EPKS5_PS6_mNS0_19identity_decomposerEEE10hipError_tT1_T2_PT3_SG_jT4_jjP12ihipStream_tbEUlT_E0_NS1_11comp_targetILNS1_3genE5ELNS1_11target_archE942ELNS1_3gpuE9ELNS1_3repE0EEENS1_52radix_sort_onesweep_histogram_config_static_selectorELNS0_4arch9wavefront6targetE0EEEvSE_
		.amdhsa_group_segment_fixed_size 0
		.amdhsa_private_segment_fixed_size 0
		.amdhsa_kernarg_size 8
		.amdhsa_user_sgpr_count 2
		.amdhsa_user_sgpr_dispatch_ptr 0
		.amdhsa_user_sgpr_queue_ptr 0
		.amdhsa_user_sgpr_kernarg_segment_ptr 1
		.amdhsa_user_sgpr_dispatch_id 0
		.amdhsa_user_sgpr_kernarg_preload_length 0
		.amdhsa_user_sgpr_kernarg_preload_offset 0
		.amdhsa_user_sgpr_private_segment_size 0
		.amdhsa_wavefront_size32 1
		.amdhsa_uses_dynamic_stack 0
		.amdhsa_enable_private_segment 0
		.amdhsa_system_sgpr_workgroup_id_x 1
		.amdhsa_system_sgpr_workgroup_id_y 0
		.amdhsa_system_sgpr_workgroup_id_z 0
		.amdhsa_system_sgpr_workgroup_info 0
		.amdhsa_system_vgpr_workitem_id 0
		.amdhsa_next_free_vgpr 1
		.amdhsa_next_free_sgpr 1
		.amdhsa_named_barrier_count 0
		.amdhsa_reserve_vcc 0
		.amdhsa_float_round_mode_32 0
		.amdhsa_float_round_mode_16_64 0
		.amdhsa_float_denorm_mode_32 3
		.amdhsa_float_denorm_mode_16_64 3
		.amdhsa_fp16_overflow 0
		.amdhsa_memory_ordered 1
		.amdhsa_forward_progress 1
		.amdhsa_inst_pref_size 0
		.amdhsa_round_robin_scheduling 0
		.amdhsa_exception_fp_ieee_invalid_op 0
		.amdhsa_exception_fp_denorm_src 0
		.amdhsa_exception_fp_ieee_div_zero 0
		.amdhsa_exception_fp_ieee_overflow 0
		.amdhsa_exception_fp_ieee_underflow 0
		.amdhsa_exception_fp_ieee_inexact 0
		.amdhsa_exception_int_div_zero 0
	.end_amdhsa_kernel
	.section	.text._ZN7rocprim17ROCPRIM_400000_NS6detail17trampoline_kernelINS0_14default_configENS1_35radix_sort_onesweep_config_selectorI12hip_bfloat16NS0_10empty_typeEEEZNS1_34radix_sort_onesweep_global_offsetsIS3_Lb0EPKS5_PS6_mNS0_19identity_decomposerEEE10hipError_tT1_T2_PT3_SG_jT4_jjP12ihipStream_tbEUlT_E0_NS1_11comp_targetILNS1_3genE5ELNS1_11target_archE942ELNS1_3gpuE9ELNS1_3repE0EEENS1_52radix_sort_onesweep_histogram_config_static_selectorELNS0_4arch9wavefront6targetE0EEEvSE_,"axG",@progbits,_ZN7rocprim17ROCPRIM_400000_NS6detail17trampoline_kernelINS0_14default_configENS1_35radix_sort_onesweep_config_selectorI12hip_bfloat16NS0_10empty_typeEEEZNS1_34radix_sort_onesweep_global_offsetsIS3_Lb0EPKS5_PS6_mNS0_19identity_decomposerEEE10hipError_tT1_T2_PT3_SG_jT4_jjP12ihipStream_tbEUlT_E0_NS1_11comp_targetILNS1_3genE5ELNS1_11target_archE942ELNS1_3gpuE9ELNS1_3repE0EEENS1_52radix_sort_onesweep_histogram_config_static_selectorELNS0_4arch9wavefront6targetE0EEEvSE_,comdat
.Lfunc_end2044:
	.size	_ZN7rocprim17ROCPRIM_400000_NS6detail17trampoline_kernelINS0_14default_configENS1_35radix_sort_onesweep_config_selectorI12hip_bfloat16NS0_10empty_typeEEEZNS1_34radix_sort_onesweep_global_offsetsIS3_Lb0EPKS5_PS6_mNS0_19identity_decomposerEEE10hipError_tT1_T2_PT3_SG_jT4_jjP12ihipStream_tbEUlT_E0_NS1_11comp_targetILNS1_3genE5ELNS1_11target_archE942ELNS1_3gpuE9ELNS1_3repE0EEENS1_52radix_sort_onesweep_histogram_config_static_selectorELNS0_4arch9wavefront6targetE0EEEvSE_, .Lfunc_end2044-_ZN7rocprim17ROCPRIM_400000_NS6detail17trampoline_kernelINS0_14default_configENS1_35radix_sort_onesweep_config_selectorI12hip_bfloat16NS0_10empty_typeEEEZNS1_34radix_sort_onesweep_global_offsetsIS3_Lb0EPKS5_PS6_mNS0_19identity_decomposerEEE10hipError_tT1_T2_PT3_SG_jT4_jjP12ihipStream_tbEUlT_E0_NS1_11comp_targetILNS1_3genE5ELNS1_11target_archE942ELNS1_3gpuE9ELNS1_3repE0EEENS1_52radix_sort_onesweep_histogram_config_static_selectorELNS0_4arch9wavefront6targetE0EEEvSE_
                                        ; -- End function
	.set _ZN7rocprim17ROCPRIM_400000_NS6detail17trampoline_kernelINS0_14default_configENS1_35radix_sort_onesweep_config_selectorI12hip_bfloat16NS0_10empty_typeEEEZNS1_34radix_sort_onesweep_global_offsetsIS3_Lb0EPKS5_PS6_mNS0_19identity_decomposerEEE10hipError_tT1_T2_PT3_SG_jT4_jjP12ihipStream_tbEUlT_E0_NS1_11comp_targetILNS1_3genE5ELNS1_11target_archE942ELNS1_3gpuE9ELNS1_3repE0EEENS1_52radix_sort_onesweep_histogram_config_static_selectorELNS0_4arch9wavefront6targetE0EEEvSE_.num_vgpr, 0
	.set _ZN7rocprim17ROCPRIM_400000_NS6detail17trampoline_kernelINS0_14default_configENS1_35radix_sort_onesweep_config_selectorI12hip_bfloat16NS0_10empty_typeEEEZNS1_34radix_sort_onesweep_global_offsetsIS3_Lb0EPKS5_PS6_mNS0_19identity_decomposerEEE10hipError_tT1_T2_PT3_SG_jT4_jjP12ihipStream_tbEUlT_E0_NS1_11comp_targetILNS1_3genE5ELNS1_11target_archE942ELNS1_3gpuE9ELNS1_3repE0EEENS1_52radix_sort_onesweep_histogram_config_static_selectorELNS0_4arch9wavefront6targetE0EEEvSE_.num_agpr, 0
	.set _ZN7rocprim17ROCPRIM_400000_NS6detail17trampoline_kernelINS0_14default_configENS1_35radix_sort_onesweep_config_selectorI12hip_bfloat16NS0_10empty_typeEEEZNS1_34radix_sort_onesweep_global_offsetsIS3_Lb0EPKS5_PS6_mNS0_19identity_decomposerEEE10hipError_tT1_T2_PT3_SG_jT4_jjP12ihipStream_tbEUlT_E0_NS1_11comp_targetILNS1_3genE5ELNS1_11target_archE942ELNS1_3gpuE9ELNS1_3repE0EEENS1_52radix_sort_onesweep_histogram_config_static_selectorELNS0_4arch9wavefront6targetE0EEEvSE_.numbered_sgpr, 0
	.set _ZN7rocprim17ROCPRIM_400000_NS6detail17trampoline_kernelINS0_14default_configENS1_35radix_sort_onesweep_config_selectorI12hip_bfloat16NS0_10empty_typeEEEZNS1_34radix_sort_onesweep_global_offsetsIS3_Lb0EPKS5_PS6_mNS0_19identity_decomposerEEE10hipError_tT1_T2_PT3_SG_jT4_jjP12ihipStream_tbEUlT_E0_NS1_11comp_targetILNS1_3genE5ELNS1_11target_archE942ELNS1_3gpuE9ELNS1_3repE0EEENS1_52radix_sort_onesweep_histogram_config_static_selectorELNS0_4arch9wavefront6targetE0EEEvSE_.num_named_barrier, 0
	.set _ZN7rocprim17ROCPRIM_400000_NS6detail17trampoline_kernelINS0_14default_configENS1_35radix_sort_onesweep_config_selectorI12hip_bfloat16NS0_10empty_typeEEEZNS1_34radix_sort_onesweep_global_offsetsIS3_Lb0EPKS5_PS6_mNS0_19identity_decomposerEEE10hipError_tT1_T2_PT3_SG_jT4_jjP12ihipStream_tbEUlT_E0_NS1_11comp_targetILNS1_3genE5ELNS1_11target_archE942ELNS1_3gpuE9ELNS1_3repE0EEENS1_52radix_sort_onesweep_histogram_config_static_selectorELNS0_4arch9wavefront6targetE0EEEvSE_.private_seg_size, 0
	.set _ZN7rocprim17ROCPRIM_400000_NS6detail17trampoline_kernelINS0_14default_configENS1_35radix_sort_onesweep_config_selectorI12hip_bfloat16NS0_10empty_typeEEEZNS1_34radix_sort_onesweep_global_offsetsIS3_Lb0EPKS5_PS6_mNS0_19identity_decomposerEEE10hipError_tT1_T2_PT3_SG_jT4_jjP12ihipStream_tbEUlT_E0_NS1_11comp_targetILNS1_3genE5ELNS1_11target_archE942ELNS1_3gpuE9ELNS1_3repE0EEENS1_52radix_sort_onesweep_histogram_config_static_selectorELNS0_4arch9wavefront6targetE0EEEvSE_.uses_vcc, 0
	.set _ZN7rocprim17ROCPRIM_400000_NS6detail17trampoline_kernelINS0_14default_configENS1_35radix_sort_onesweep_config_selectorI12hip_bfloat16NS0_10empty_typeEEEZNS1_34radix_sort_onesweep_global_offsetsIS3_Lb0EPKS5_PS6_mNS0_19identity_decomposerEEE10hipError_tT1_T2_PT3_SG_jT4_jjP12ihipStream_tbEUlT_E0_NS1_11comp_targetILNS1_3genE5ELNS1_11target_archE942ELNS1_3gpuE9ELNS1_3repE0EEENS1_52radix_sort_onesweep_histogram_config_static_selectorELNS0_4arch9wavefront6targetE0EEEvSE_.uses_flat_scratch, 0
	.set _ZN7rocprim17ROCPRIM_400000_NS6detail17trampoline_kernelINS0_14default_configENS1_35radix_sort_onesweep_config_selectorI12hip_bfloat16NS0_10empty_typeEEEZNS1_34radix_sort_onesweep_global_offsetsIS3_Lb0EPKS5_PS6_mNS0_19identity_decomposerEEE10hipError_tT1_T2_PT3_SG_jT4_jjP12ihipStream_tbEUlT_E0_NS1_11comp_targetILNS1_3genE5ELNS1_11target_archE942ELNS1_3gpuE9ELNS1_3repE0EEENS1_52radix_sort_onesweep_histogram_config_static_selectorELNS0_4arch9wavefront6targetE0EEEvSE_.has_dyn_sized_stack, 0
	.set _ZN7rocprim17ROCPRIM_400000_NS6detail17trampoline_kernelINS0_14default_configENS1_35radix_sort_onesweep_config_selectorI12hip_bfloat16NS0_10empty_typeEEEZNS1_34radix_sort_onesweep_global_offsetsIS3_Lb0EPKS5_PS6_mNS0_19identity_decomposerEEE10hipError_tT1_T2_PT3_SG_jT4_jjP12ihipStream_tbEUlT_E0_NS1_11comp_targetILNS1_3genE5ELNS1_11target_archE942ELNS1_3gpuE9ELNS1_3repE0EEENS1_52radix_sort_onesweep_histogram_config_static_selectorELNS0_4arch9wavefront6targetE0EEEvSE_.has_recursion, 0
	.set _ZN7rocprim17ROCPRIM_400000_NS6detail17trampoline_kernelINS0_14default_configENS1_35radix_sort_onesweep_config_selectorI12hip_bfloat16NS0_10empty_typeEEEZNS1_34radix_sort_onesweep_global_offsetsIS3_Lb0EPKS5_PS6_mNS0_19identity_decomposerEEE10hipError_tT1_T2_PT3_SG_jT4_jjP12ihipStream_tbEUlT_E0_NS1_11comp_targetILNS1_3genE5ELNS1_11target_archE942ELNS1_3gpuE9ELNS1_3repE0EEENS1_52radix_sort_onesweep_histogram_config_static_selectorELNS0_4arch9wavefront6targetE0EEEvSE_.has_indirect_call, 0
	.section	.AMDGPU.csdata,"",@progbits
; Kernel info:
; codeLenInByte = 0
; TotalNumSgprs: 0
; NumVgprs: 0
; ScratchSize: 0
; MemoryBound: 0
; FloatMode: 240
; IeeeMode: 1
; LDSByteSize: 0 bytes/workgroup (compile time only)
; SGPRBlocks: 0
; VGPRBlocks: 0
; NumSGPRsForWavesPerEU: 1
; NumVGPRsForWavesPerEU: 1
; NamedBarCnt: 0
; Occupancy: 16
; WaveLimiterHint : 0
; COMPUTE_PGM_RSRC2:SCRATCH_EN: 0
; COMPUTE_PGM_RSRC2:USER_SGPR: 2
; COMPUTE_PGM_RSRC2:TRAP_HANDLER: 0
; COMPUTE_PGM_RSRC2:TGID_X_EN: 1
; COMPUTE_PGM_RSRC2:TGID_Y_EN: 0
; COMPUTE_PGM_RSRC2:TGID_Z_EN: 0
; COMPUTE_PGM_RSRC2:TIDIG_COMP_CNT: 0
	.section	.text._ZN7rocprim17ROCPRIM_400000_NS6detail17trampoline_kernelINS0_14default_configENS1_35radix_sort_onesweep_config_selectorI12hip_bfloat16NS0_10empty_typeEEEZNS1_34radix_sort_onesweep_global_offsetsIS3_Lb0EPKS5_PS6_mNS0_19identity_decomposerEEE10hipError_tT1_T2_PT3_SG_jT4_jjP12ihipStream_tbEUlT_E0_NS1_11comp_targetILNS1_3genE2ELNS1_11target_archE906ELNS1_3gpuE6ELNS1_3repE0EEENS1_52radix_sort_onesweep_histogram_config_static_selectorELNS0_4arch9wavefront6targetE0EEEvSE_,"axG",@progbits,_ZN7rocprim17ROCPRIM_400000_NS6detail17trampoline_kernelINS0_14default_configENS1_35radix_sort_onesweep_config_selectorI12hip_bfloat16NS0_10empty_typeEEEZNS1_34radix_sort_onesweep_global_offsetsIS3_Lb0EPKS5_PS6_mNS0_19identity_decomposerEEE10hipError_tT1_T2_PT3_SG_jT4_jjP12ihipStream_tbEUlT_E0_NS1_11comp_targetILNS1_3genE2ELNS1_11target_archE906ELNS1_3gpuE6ELNS1_3repE0EEENS1_52radix_sort_onesweep_histogram_config_static_selectorELNS0_4arch9wavefront6targetE0EEEvSE_,comdat
	.protected	_ZN7rocprim17ROCPRIM_400000_NS6detail17trampoline_kernelINS0_14default_configENS1_35radix_sort_onesweep_config_selectorI12hip_bfloat16NS0_10empty_typeEEEZNS1_34radix_sort_onesweep_global_offsetsIS3_Lb0EPKS5_PS6_mNS0_19identity_decomposerEEE10hipError_tT1_T2_PT3_SG_jT4_jjP12ihipStream_tbEUlT_E0_NS1_11comp_targetILNS1_3genE2ELNS1_11target_archE906ELNS1_3gpuE6ELNS1_3repE0EEENS1_52radix_sort_onesweep_histogram_config_static_selectorELNS0_4arch9wavefront6targetE0EEEvSE_ ; -- Begin function _ZN7rocprim17ROCPRIM_400000_NS6detail17trampoline_kernelINS0_14default_configENS1_35radix_sort_onesweep_config_selectorI12hip_bfloat16NS0_10empty_typeEEEZNS1_34radix_sort_onesweep_global_offsetsIS3_Lb0EPKS5_PS6_mNS0_19identity_decomposerEEE10hipError_tT1_T2_PT3_SG_jT4_jjP12ihipStream_tbEUlT_E0_NS1_11comp_targetILNS1_3genE2ELNS1_11target_archE906ELNS1_3gpuE6ELNS1_3repE0EEENS1_52radix_sort_onesweep_histogram_config_static_selectorELNS0_4arch9wavefront6targetE0EEEvSE_
	.globl	_ZN7rocprim17ROCPRIM_400000_NS6detail17trampoline_kernelINS0_14default_configENS1_35radix_sort_onesweep_config_selectorI12hip_bfloat16NS0_10empty_typeEEEZNS1_34radix_sort_onesweep_global_offsetsIS3_Lb0EPKS5_PS6_mNS0_19identity_decomposerEEE10hipError_tT1_T2_PT3_SG_jT4_jjP12ihipStream_tbEUlT_E0_NS1_11comp_targetILNS1_3genE2ELNS1_11target_archE906ELNS1_3gpuE6ELNS1_3repE0EEENS1_52radix_sort_onesweep_histogram_config_static_selectorELNS0_4arch9wavefront6targetE0EEEvSE_
	.p2align	8
	.type	_ZN7rocprim17ROCPRIM_400000_NS6detail17trampoline_kernelINS0_14default_configENS1_35radix_sort_onesweep_config_selectorI12hip_bfloat16NS0_10empty_typeEEEZNS1_34radix_sort_onesweep_global_offsetsIS3_Lb0EPKS5_PS6_mNS0_19identity_decomposerEEE10hipError_tT1_T2_PT3_SG_jT4_jjP12ihipStream_tbEUlT_E0_NS1_11comp_targetILNS1_3genE2ELNS1_11target_archE906ELNS1_3gpuE6ELNS1_3repE0EEENS1_52radix_sort_onesweep_histogram_config_static_selectorELNS0_4arch9wavefront6targetE0EEEvSE_,@function
_ZN7rocprim17ROCPRIM_400000_NS6detail17trampoline_kernelINS0_14default_configENS1_35radix_sort_onesweep_config_selectorI12hip_bfloat16NS0_10empty_typeEEEZNS1_34radix_sort_onesweep_global_offsetsIS3_Lb0EPKS5_PS6_mNS0_19identity_decomposerEEE10hipError_tT1_T2_PT3_SG_jT4_jjP12ihipStream_tbEUlT_E0_NS1_11comp_targetILNS1_3genE2ELNS1_11target_archE906ELNS1_3gpuE6ELNS1_3repE0EEENS1_52radix_sort_onesweep_histogram_config_static_selectorELNS0_4arch9wavefront6targetE0EEEvSE_: ; @_ZN7rocprim17ROCPRIM_400000_NS6detail17trampoline_kernelINS0_14default_configENS1_35radix_sort_onesweep_config_selectorI12hip_bfloat16NS0_10empty_typeEEEZNS1_34radix_sort_onesweep_global_offsetsIS3_Lb0EPKS5_PS6_mNS0_19identity_decomposerEEE10hipError_tT1_T2_PT3_SG_jT4_jjP12ihipStream_tbEUlT_E0_NS1_11comp_targetILNS1_3genE2ELNS1_11target_archE906ELNS1_3gpuE6ELNS1_3repE0EEENS1_52radix_sort_onesweep_histogram_config_static_selectorELNS0_4arch9wavefront6targetE0EEEvSE_
; %bb.0:
	.section	.rodata,"a",@progbits
	.p2align	6, 0x0
	.amdhsa_kernel _ZN7rocprim17ROCPRIM_400000_NS6detail17trampoline_kernelINS0_14default_configENS1_35radix_sort_onesweep_config_selectorI12hip_bfloat16NS0_10empty_typeEEEZNS1_34radix_sort_onesweep_global_offsetsIS3_Lb0EPKS5_PS6_mNS0_19identity_decomposerEEE10hipError_tT1_T2_PT3_SG_jT4_jjP12ihipStream_tbEUlT_E0_NS1_11comp_targetILNS1_3genE2ELNS1_11target_archE906ELNS1_3gpuE6ELNS1_3repE0EEENS1_52radix_sort_onesweep_histogram_config_static_selectorELNS0_4arch9wavefront6targetE0EEEvSE_
		.amdhsa_group_segment_fixed_size 0
		.amdhsa_private_segment_fixed_size 0
		.amdhsa_kernarg_size 8
		.amdhsa_user_sgpr_count 2
		.amdhsa_user_sgpr_dispatch_ptr 0
		.amdhsa_user_sgpr_queue_ptr 0
		.amdhsa_user_sgpr_kernarg_segment_ptr 1
		.amdhsa_user_sgpr_dispatch_id 0
		.amdhsa_user_sgpr_kernarg_preload_length 0
		.amdhsa_user_sgpr_kernarg_preload_offset 0
		.amdhsa_user_sgpr_private_segment_size 0
		.amdhsa_wavefront_size32 1
		.amdhsa_uses_dynamic_stack 0
		.amdhsa_enable_private_segment 0
		.amdhsa_system_sgpr_workgroup_id_x 1
		.amdhsa_system_sgpr_workgroup_id_y 0
		.amdhsa_system_sgpr_workgroup_id_z 0
		.amdhsa_system_sgpr_workgroup_info 0
		.amdhsa_system_vgpr_workitem_id 0
		.amdhsa_next_free_vgpr 1
		.amdhsa_next_free_sgpr 1
		.amdhsa_named_barrier_count 0
		.amdhsa_reserve_vcc 0
		.amdhsa_float_round_mode_32 0
		.amdhsa_float_round_mode_16_64 0
		.amdhsa_float_denorm_mode_32 3
		.amdhsa_float_denorm_mode_16_64 3
		.amdhsa_fp16_overflow 0
		.amdhsa_memory_ordered 1
		.amdhsa_forward_progress 1
		.amdhsa_inst_pref_size 0
		.amdhsa_round_robin_scheduling 0
		.amdhsa_exception_fp_ieee_invalid_op 0
		.amdhsa_exception_fp_denorm_src 0
		.amdhsa_exception_fp_ieee_div_zero 0
		.amdhsa_exception_fp_ieee_overflow 0
		.amdhsa_exception_fp_ieee_underflow 0
		.amdhsa_exception_fp_ieee_inexact 0
		.amdhsa_exception_int_div_zero 0
	.end_amdhsa_kernel
	.section	.text._ZN7rocprim17ROCPRIM_400000_NS6detail17trampoline_kernelINS0_14default_configENS1_35radix_sort_onesweep_config_selectorI12hip_bfloat16NS0_10empty_typeEEEZNS1_34radix_sort_onesweep_global_offsetsIS3_Lb0EPKS5_PS6_mNS0_19identity_decomposerEEE10hipError_tT1_T2_PT3_SG_jT4_jjP12ihipStream_tbEUlT_E0_NS1_11comp_targetILNS1_3genE2ELNS1_11target_archE906ELNS1_3gpuE6ELNS1_3repE0EEENS1_52radix_sort_onesweep_histogram_config_static_selectorELNS0_4arch9wavefront6targetE0EEEvSE_,"axG",@progbits,_ZN7rocprim17ROCPRIM_400000_NS6detail17trampoline_kernelINS0_14default_configENS1_35radix_sort_onesweep_config_selectorI12hip_bfloat16NS0_10empty_typeEEEZNS1_34radix_sort_onesweep_global_offsetsIS3_Lb0EPKS5_PS6_mNS0_19identity_decomposerEEE10hipError_tT1_T2_PT3_SG_jT4_jjP12ihipStream_tbEUlT_E0_NS1_11comp_targetILNS1_3genE2ELNS1_11target_archE906ELNS1_3gpuE6ELNS1_3repE0EEENS1_52radix_sort_onesweep_histogram_config_static_selectorELNS0_4arch9wavefront6targetE0EEEvSE_,comdat
.Lfunc_end2045:
	.size	_ZN7rocprim17ROCPRIM_400000_NS6detail17trampoline_kernelINS0_14default_configENS1_35radix_sort_onesweep_config_selectorI12hip_bfloat16NS0_10empty_typeEEEZNS1_34radix_sort_onesweep_global_offsetsIS3_Lb0EPKS5_PS6_mNS0_19identity_decomposerEEE10hipError_tT1_T2_PT3_SG_jT4_jjP12ihipStream_tbEUlT_E0_NS1_11comp_targetILNS1_3genE2ELNS1_11target_archE906ELNS1_3gpuE6ELNS1_3repE0EEENS1_52radix_sort_onesweep_histogram_config_static_selectorELNS0_4arch9wavefront6targetE0EEEvSE_, .Lfunc_end2045-_ZN7rocprim17ROCPRIM_400000_NS6detail17trampoline_kernelINS0_14default_configENS1_35radix_sort_onesweep_config_selectorI12hip_bfloat16NS0_10empty_typeEEEZNS1_34radix_sort_onesweep_global_offsetsIS3_Lb0EPKS5_PS6_mNS0_19identity_decomposerEEE10hipError_tT1_T2_PT3_SG_jT4_jjP12ihipStream_tbEUlT_E0_NS1_11comp_targetILNS1_3genE2ELNS1_11target_archE906ELNS1_3gpuE6ELNS1_3repE0EEENS1_52radix_sort_onesweep_histogram_config_static_selectorELNS0_4arch9wavefront6targetE0EEEvSE_
                                        ; -- End function
	.set _ZN7rocprim17ROCPRIM_400000_NS6detail17trampoline_kernelINS0_14default_configENS1_35radix_sort_onesweep_config_selectorI12hip_bfloat16NS0_10empty_typeEEEZNS1_34radix_sort_onesweep_global_offsetsIS3_Lb0EPKS5_PS6_mNS0_19identity_decomposerEEE10hipError_tT1_T2_PT3_SG_jT4_jjP12ihipStream_tbEUlT_E0_NS1_11comp_targetILNS1_3genE2ELNS1_11target_archE906ELNS1_3gpuE6ELNS1_3repE0EEENS1_52radix_sort_onesweep_histogram_config_static_selectorELNS0_4arch9wavefront6targetE0EEEvSE_.num_vgpr, 0
	.set _ZN7rocprim17ROCPRIM_400000_NS6detail17trampoline_kernelINS0_14default_configENS1_35radix_sort_onesweep_config_selectorI12hip_bfloat16NS0_10empty_typeEEEZNS1_34radix_sort_onesweep_global_offsetsIS3_Lb0EPKS5_PS6_mNS0_19identity_decomposerEEE10hipError_tT1_T2_PT3_SG_jT4_jjP12ihipStream_tbEUlT_E0_NS1_11comp_targetILNS1_3genE2ELNS1_11target_archE906ELNS1_3gpuE6ELNS1_3repE0EEENS1_52radix_sort_onesweep_histogram_config_static_selectorELNS0_4arch9wavefront6targetE0EEEvSE_.num_agpr, 0
	.set _ZN7rocprim17ROCPRIM_400000_NS6detail17trampoline_kernelINS0_14default_configENS1_35radix_sort_onesweep_config_selectorI12hip_bfloat16NS0_10empty_typeEEEZNS1_34radix_sort_onesweep_global_offsetsIS3_Lb0EPKS5_PS6_mNS0_19identity_decomposerEEE10hipError_tT1_T2_PT3_SG_jT4_jjP12ihipStream_tbEUlT_E0_NS1_11comp_targetILNS1_3genE2ELNS1_11target_archE906ELNS1_3gpuE6ELNS1_3repE0EEENS1_52radix_sort_onesweep_histogram_config_static_selectorELNS0_4arch9wavefront6targetE0EEEvSE_.numbered_sgpr, 0
	.set _ZN7rocprim17ROCPRIM_400000_NS6detail17trampoline_kernelINS0_14default_configENS1_35radix_sort_onesweep_config_selectorI12hip_bfloat16NS0_10empty_typeEEEZNS1_34radix_sort_onesweep_global_offsetsIS3_Lb0EPKS5_PS6_mNS0_19identity_decomposerEEE10hipError_tT1_T2_PT3_SG_jT4_jjP12ihipStream_tbEUlT_E0_NS1_11comp_targetILNS1_3genE2ELNS1_11target_archE906ELNS1_3gpuE6ELNS1_3repE0EEENS1_52radix_sort_onesweep_histogram_config_static_selectorELNS0_4arch9wavefront6targetE0EEEvSE_.num_named_barrier, 0
	.set _ZN7rocprim17ROCPRIM_400000_NS6detail17trampoline_kernelINS0_14default_configENS1_35radix_sort_onesweep_config_selectorI12hip_bfloat16NS0_10empty_typeEEEZNS1_34radix_sort_onesweep_global_offsetsIS3_Lb0EPKS5_PS6_mNS0_19identity_decomposerEEE10hipError_tT1_T2_PT3_SG_jT4_jjP12ihipStream_tbEUlT_E0_NS1_11comp_targetILNS1_3genE2ELNS1_11target_archE906ELNS1_3gpuE6ELNS1_3repE0EEENS1_52radix_sort_onesweep_histogram_config_static_selectorELNS0_4arch9wavefront6targetE0EEEvSE_.private_seg_size, 0
	.set _ZN7rocprim17ROCPRIM_400000_NS6detail17trampoline_kernelINS0_14default_configENS1_35radix_sort_onesweep_config_selectorI12hip_bfloat16NS0_10empty_typeEEEZNS1_34radix_sort_onesweep_global_offsetsIS3_Lb0EPKS5_PS6_mNS0_19identity_decomposerEEE10hipError_tT1_T2_PT3_SG_jT4_jjP12ihipStream_tbEUlT_E0_NS1_11comp_targetILNS1_3genE2ELNS1_11target_archE906ELNS1_3gpuE6ELNS1_3repE0EEENS1_52radix_sort_onesweep_histogram_config_static_selectorELNS0_4arch9wavefront6targetE0EEEvSE_.uses_vcc, 0
	.set _ZN7rocprim17ROCPRIM_400000_NS6detail17trampoline_kernelINS0_14default_configENS1_35radix_sort_onesweep_config_selectorI12hip_bfloat16NS0_10empty_typeEEEZNS1_34radix_sort_onesweep_global_offsetsIS3_Lb0EPKS5_PS6_mNS0_19identity_decomposerEEE10hipError_tT1_T2_PT3_SG_jT4_jjP12ihipStream_tbEUlT_E0_NS1_11comp_targetILNS1_3genE2ELNS1_11target_archE906ELNS1_3gpuE6ELNS1_3repE0EEENS1_52radix_sort_onesweep_histogram_config_static_selectorELNS0_4arch9wavefront6targetE0EEEvSE_.uses_flat_scratch, 0
	.set _ZN7rocprim17ROCPRIM_400000_NS6detail17trampoline_kernelINS0_14default_configENS1_35radix_sort_onesweep_config_selectorI12hip_bfloat16NS0_10empty_typeEEEZNS1_34radix_sort_onesweep_global_offsetsIS3_Lb0EPKS5_PS6_mNS0_19identity_decomposerEEE10hipError_tT1_T2_PT3_SG_jT4_jjP12ihipStream_tbEUlT_E0_NS1_11comp_targetILNS1_3genE2ELNS1_11target_archE906ELNS1_3gpuE6ELNS1_3repE0EEENS1_52radix_sort_onesweep_histogram_config_static_selectorELNS0_4arch9wavefront6targetE0EEEvSE_.has_dyn_sized_stack, 0
	.set _ZN7rocprim17ROCPRIM_400000_NS6detail17trampoline_kernelINS0_14default_configENS1_35radix_sort_onesweep_config_selectorI12hip_bfloat16NS0_10empty_typeEEEZNS1_34radix_sort_onesweep_global_offsetsIS3_Lb0EPKS5_PS6_mNS0_19identity_decomposerEEE10hipError_tT1_T2_PT3_SG_jT4_jjP12ihipStream_tbEUlT_E0_NS1_11comp_targetILNS1_3genE2ELNS1_11target_archE906ELNS1_3gpuE6ELNS1_3repE0EEENS1_52radix_sort_onesweep_histogram_config_static_selectorELNS0_4arch9wavefront6targetE0EEEvSE_.has_recursion, 0
	.set _ZN7rocprim17ROCPRIM_400000_NS6detail17trampoline_kernelINS0_14default_configENS1_35radix_sort_onesweep_config_selectorI12hip_bfloat16NS0_10empty_typeEEEZNS1_34radix_sort_onesweep_global_offsetsIS3_Lb0EPKS5_PS6_mNS0_19identity_decomposerEEE10hipError_tT1_T2_PT3_SG_jT4_jjP12ihipStream_tbEUlT_E0_NS1_11comp_targetILNS1_3genE2ELNS1_11target_archE906ELNS1_3gpuE6ELNS1_3repE0EEENS1_52radix_sort_onesweep_histogram_config_static_selectorELNS0_4arch9wavefront6targetE0EEEvSE_.has_indirect_call, 0
	.section	.AMDGPU.csdata,"",@progbits
; Kernel info:
; codeLenInByte = 0
; TotalNumSgprs: 0
; NumVgprs: 0
; ScratchSize: 0
; MemoryBound: 0
; FloatMode: 240
; IeeeMode: 1
; LDSByteSize: 0 bytes/workgroup (compile time only)
; SGPRBlocks: 0
; VGPRBlocks: 0
; NumSGPRsForWavesPerEU: 1
; NumVGPRsForWavesPerEU: 1
; NamedBarCnt: 0
; Occupancy: 16
; WaveLimiterHint : 0
; COMPUTE_PGM_RSRC2:SCRATCH_EN: 0
; COMPUTE_PGM_RSRC2:USER_SGPR: 2
; COMPUTE_PGM_RSRC2:TRAP_HANDLER: 0
; COMPUTE_PGM_RSRC2:TGID_X_EN: 1
; COMPUTE_PGM_RSRC2:TGID_Y_EN: 0
; COMPUTE_PGM_RSRC2:TGID_Z_EN: 0
; COMPUTE_PGM_RSRC2:TIDIG_COMP_CNT: 0
	.section	.text._ZN7rocprim17ROCPRIM_400000_NS6detail17trampoline_kernelINS0_14default_configENS1_35radix_sort_onesweep_config_selectorI12hip_bfloat16NS0_10empty_typeEEEZNS1_34radix_sort_onesweep_global_offsetsIS3_Lb0EPKS5_PS6_mNS0_19identity_decomposerEEE10hipError_tT1_T2_PT3_SG_jT4_jjP12ihipStream_tbEUlT_E0_NS1_11comp_targetILNS1_3genE4ELNS1_11target_archE910ELNS1_3gpuE8ELNS1_3repE0EEENS1_52radix_sort_onesweep_histogram_config_static_selectorELNS0_4arch9wavefront6targetE0EEEvSE_,"axG",@progbits,_ZN7rocprim17ROCPRIM_400000_NS6detail17trampoline_kernelINS0_14default_configENS1_35radix_sort_onesweep_config_selectorI12hip_bfloat16NS0_10empty_typeEEEZNS1_34radix_sort_onesweep_global_offsetsIS3_Lb0EPKS5_PS6_mNS0_19identity_decomposerEEE10hipError_tT1_T2_PT3_SG_jT4_jjP12ihipStream_tbEUlT_E0_NS1_11comp_targetILNS1_3genE4ELNS1_11target_archE910ELNS1_3gpuE8ELNS1_3repE0EEENS1_52radix_sort_onesweep_histogram_config_static_selectorELNS0_4arch9wavefront6targetE0EEEvSE_,comdat
	.protected	_ZN7rocprim17ROCPRIM_400000_NS6detail17trampoline_kernelINS0_14default_configENS1_35radix_sort_onesweep_config_selectorI12hip_bfloat16NS0_10empty_typeEEEZNS1_34radix_sort_onesweep_global_offsetsIS3_Lb0EPKS5_PS6_mNS0_19identity_decomposerEEE10hipError_tT1_T2_PT3_SG_jT4_jjP12ihipStream_tbEUlT_E0_NS1_11comp_targetILNS1_3genE4ELNS1_11target_archE910ELNS1_3gpuE8ELNS1_3repE0EEENS1_52radix_sort_onesweep_histogram_config_static_selectorELNS0_4arch9wavefront6targetE0EEEvSE_ ; -- Begin function _ZN7rocprim17ROCPRIM_400000_NS6detail17trampoline_kernelINS0_14default_configENS1_35radix_sort_onesweep_config_selectorI12hip_bfloat16NS0_10empty_typeEEEZNS1_34radix_sort_onesweep_global_offsetsIS3_Lb0EPKS5_PS6_mNS0_19identity_decomposerEEE10hipError_tT1_T2_PT3_SG_jT4_jjP12ihipStream_tbEUlT_E0_NS1_11comp_targetILNS1_3genE4ELNS1_11target_archE910ELNS1_3gpuE8ELNS1_3repE0EEENS1_52radix_sort_onesweep_histogram_config_static_selectorELNS0_4arch9wavefront6targetE0EEEvSE_
	.globl	_ZN7rocprim17ROCPRIM_400000_NS6detail17trampoline_kernelINS0_14default_configENS1_35radix_sort_onesweep_config_selectorI12hip_bfloat16NS0_10empty_typeEEEZNS1_34radix_sort_onesweep_global_offsetsIS3_Lb0EPKS5_PS6_mNS0_19identity_decomposerEEE10hipError_tT1_T2_PT3_SG_jT4_jjP12ihipStream_tbEUlT_E0_NS1_11comp_targetILNS1_3genE4ELNS1_11target_archE910ELNS1_3gpuE8ELNS1_3repE0EEENS1_52radix_sort_onesweep_histogram_config_static_selectorELNS0_4arch9wavefront6targetE0EEEvSE_
	.p2align	8
	.type	_ZN7rocprim17ROCPRIM_400000_NS6detail17trampoline_kernelINS0_14default_configENS1_35radix_sort_onesweep_config_selectorI12hip_bfloat16NS0_10empty_typeEEEZNS1_34radix_sort_onesweep_global_offsetsIS3_Lb0EPKS5_PS6_mNS0_19identity_decomposerEEE10hipError_tT1_T2_PT3_SG_jT4_jjP12ihipStream_tbEUlT_E0_NS1_11comp_targetILNS1_3genE4ELNS1_11target_archE910ELNS1_3gpuE8ELNS1_3repE0EEENS1_52radix_sort_onesweep_histogram_config_static_selectorELNS0_4arch9wavefront6targetE0EEEvSE_,@function
_ZN7rocprim17ROCPRIM_400000_NS6detail17trampoline_kernelINS0_14default_configENS1_35radix_sort_onesweep_config_selectorI12hip_bfloat16NS0_10empty_typeEEEZNS1_34radix_sort_onesweep_global_offsetsIS3_Lb0EPKS5_PS6_mNS0_19identity_decomposerEEE10hipError_tT1_T2_PT3_SG_jT4_jjP12ihipStream_tbEUlT_E0_NS1_11comp_targetILNS1_3genE4ELNS1_11target_archE910ELNS1_3gpuE8ELNS1_3repE0EEENS1_52radix_sort_onesweep_histogram_config_static_selectorELNS0_4arch9wavefront6targetE0EEEvSE_: ; @_ZN7rocprim17ROCPRIM_400000_NS6detail17trampoline_kernelINS0_14default_configENS1_35radix_sort_onesweep_config_selectorI12hip_bfloat16NS0_10empty_typeEEEZNS1_34radix_sort_onesweep_global_offsetsIS3_Lb0EPKS5_PS6_mNS0_19identity_decomposerEEE10hipError_tT1_T2_PT3_SG_jT4_jjP12ihipStream_tbEUlT_E0_NS1_11comp_targetILNS1_3genE4ELNS1_11target_archE910ELNS1_3gpuE8ELNS1_3repE0EEENS1_52radix_sort_onesweep_histogram_config_static_selectorELNS0_4arch9wavefront6targetE0EEEvSE_
; %bb.0:
	.section	.rodata,"a",@progbits
	.p2align	6, 0x0
	.amdhsa_kernel _ZN7rocprim17ROCPRIM_400000_NS6detail17trampoline_kernelINS0_14default_configENS1_35radix_sort_onesweep_config_selectorI12hip_bfloat16NS0_10empty_typeEEEZNS1_34radix_sort_onesweep_global_offsetsIS3_Lb0EPKS5_PS6_mNS0_19identity_decomposerEEE10hipError_tT1_T2_PT3_SG_jT4_jjP12ihipStream_tbEUlT_E0_NS1_11comp_targetILNS1_3genE4ELNS1_11target_archE910ELNS1_3gpuE8ELNS1_3repE0EEENS1_52radix_sort_onesweep_histogram_config_static_selectorELNS0_4arch9wavefront6targetE0EEEvSE_
		.amdhsa_group_segment_fixed_size 0
		.amdhsa_private_segment_fixed_size 0
		.amdhsa_kernarg_size 8
		.amdhsa_user_sgpr_count 2
		.amdhsa_user_sgpr_dispatch_ptr 0
		.amdhsa_user_sgpr_queue_ptr 0
		.amdhsa_user_sgpr_kernarg_segment_ptr 1
		.amdhsa_user_sgpr_dispatch_id 0
		.amdhsa_user_sgpr_kernarg_preload_length 0
		.amdhsa_user_sgpr_kernarg_preload_offset 0
		.amdhsa_user_sgpr_private_segment_size 0
		.amdhsa_wavefront_size32 1
		.amdhsa_uses_dynamic_stack 0
		.amdhsa_enable_private_segment 0
		.amdhsa_system_sgpr_workgroup_id_x 1
		.amdhsa_system_sgpr_workgroup_id_y 0
		.amdhsa_system_sgpr_workgroup_id_z 0
		.amdhsa_system_sgpr_workgroup_info 0
		.amdhsa_system_vgpr_workitem_id 0
		.amdhsa_next_free_vgpr 1
		.amdhsa_next_free_sgpr 1
		.amdhsa_named_barrier_count 0
		.amdhsa_reserve_vcc 0
		.amdhsa_float_round_mode_32 0
		.amdhsa_float_round_mode_16_64 0
		.amdhsa_float_denorm_mode_32 3
		.amdhsa_float_denorm_mode_16_64 3
		.amdhsa_fp16_overflow 0
		.amdhsa_memory_ordered 1
		.amdhsa_forward_progress 1
		.amdhsa_inst_pref_size 0
		.amdhsa_round_robin_scheduling 0
		.amdhsa_exception_fp_ieee_invalid_op 0
		.amdhsa_exception_fp_denorm_src 0
		.amdhsa_exception_fp_ieee_div_zero 0
		.amdhsa_exception_fp_ieee_overflow 0
		.amdhsa_exception_fp_ieee_underflow 0
		.amdhsa_exception_fp_ieee_inexact 0
		.amdhsa_exception_int_div_zero 0
	.end_amdhsa_kernel
	.section	.text._ZN7rocprim17ROCPRIM_400000_NS6detail17trampoline_kernelINS0_14default_configENS1_35radix_sort_onesweep_config_selectorI12hip_bfloat16NS0_10empty_typeEEEZNS1_34radix_sort_onesweep_global_offsetsIS3_Lb0EPKS5_PS6_mNS0_19identity_decomposerEEE10hipError_tT1_T2_PT3_SG_jT4_jjP12ihipStream_tbEUlT_E0_NS1_11comp_targetILNS1_3genE4ELNS1_11target_archE910ELNS1_3gpuE8ELNS1_3repE0EEENS1_52radix_sort_onesweep_histogram_config_static_selectorELNS0_4arch9wavefront6targetE0EEEvSE_,"axG",@progbits,_ZN7rocprim17ROCPRIM_400000_NS6detail17trampoline_kernelINS0_14default_configENS1_35radix_sort_onesweep_config_selectorI12hip_bfloat16NS0_10empty_typeEEEZNS1_34radix_sort_onesweep_global_offsetsIS3_Lb0EPKS5_PS6_mNS0_19identity_decomposerEEE10hipError_tT1_T2_PT3_SG_jT4_jjP12ihipStream_tbEUlT_E0_NS1_11comp_targetILNS1_3genE4ELNS1_11target_archE910ELNS1_3gpuE8ELNS1_3repE0EEENS1_52radix_sort_onesweep_histogram_config_static_selectorELNS0_4arch9wavefront6targetE0EEEvSE_,comdat
.Lfunc_end2046:
	.size	_ZN7rocprim17ROCPRIM_400000_NS6detail17trampoline_kernelINS0_14default_configENS1_35radix_sort_onesweep_config_selectorI12hip_bfloat16NS0_10empty_typeEEEZNS1_34radix_sort_onesweep_global_offsetsIS3_Lb0EPKS5_PS6_mNS0_19identity_decomposerEEE10hipError_tT1_T2_PT3_SG_jT4_jjP12ihipStream_tbEUlT_E0_NS1_11comp_targetILNS1_3genE4ELNS1_11target_archE910ELNS1_3gpuE8ELNS1_3repE0EEENS1_52radix_sort_onesweep_histogram_config_static_selectorELNS0_4arch9wavefront6targetE0EEEvSE_, .Lfunc_end2046-_ZN7rocprim17ROCPRIM_400000_NS6detail17trampoline_kernelINS0_14default_configENS1_35radix_sort_onesweep_config_selectorI12hip_bfloat16NS0_10empty_typeEEEZNS1_34radix_sort_onesweep_global_offsetsIS3_Lb0EPKS5_PS6_mNS0_19identity_decomposerEEE10hipError_tT1_T2_PT3_SG_jT4_jjP12ihipStream_tbEUlT_E0_NS1_11comp_targetILNS1_3genE4ELNS1_11target_archE910ELNS1_3gpuE8ELNS1_3repE0EEENS1_52radix_sort_onesweep_histogram_config_static_selectorELNS0_4arch9wavefront6targetE0EEEvSE_
                                        ; -- End function
	.set _ZN7rocprim17ROCPRIM_400000_NS6detail17trampoline_kernelINS0_14default_configENS1_35radix_sort_onesweep_config_selectorI12hip_bfloat16NS0_10empty_typeEEEZNS1_34radix_sort_onesweep_global_offsetsIS3_Lb0EPKS5_PS6_mNS0_19identity_decomposerEEE10hipError_tT1_T2_PT3_SG_jT4_jjP12ihipStream_tbEUlT_E0_NS1_11comp_targetILNS1_3genE4ELNS1_11target_archE910ELNS1_3gpuE8ELNS1_3repE0EEENS1_52radix_sort_onesweep_histogram_config_static_selectorELNS0_4arch9wavefront6targetE0EEEvSE_.num_vgpr, 0
	.set _ZN7rocprim17ROCPRIM_400000_NS6detail17trampoline_kernelINS0_14default_configENS1_35radix_sort_onesweep_config_selectorI12hip_bfloat16NS0_10empty_typeEEEZNS1_34radix_sort_onesweep_global_offsetsIS3_Lb0EPKS5_PS6_mNS0_19identity_decomposerEEE10hipError_tT1_T2_PT3_SG_jT4_jjP12ihipStream_tbEUlT_E0_NS1_11comp_targetILNS1_3genE4ELNS1_11target_archE910ELNS1_3gpuE8ELNS1_3repE0EEENS1_52radix_sort_onesweep_histogram_config_static_selectorELNS0_4arch9wavefront6targetE0EEEvSE_.num_agpr, 0
	.set _ZN7rocprim17ROCPRIM_400000_NS6detail17trampoline_kernelINS0_14default_configENS1_35radix_sort_onesweep_config_selectorI12hip_bfloat16NS0_10empty_typeEEEZNS1_34radix_sort_onesweep_global_offsetsIS3_Lb0EPKS5_PS6_mNS0_19identity_decomposerEEE10hipError_tT1_T2_PT3_SG_jT4_jjP12ihipStream_tbEUlT_E0_NS1_11comp_targetILNS1_3genE4ELNS1_11target_archE910ELNS1_3gpuE8ELNS1_3repE0EEENS1_52radix_sort_onesweep_histogram_config_static_selectorELNS0_4arch9wavefront6targetE0EEEvSE_.numbered_sgpr, 0
	.set _ZN7rocprim17ROCPRIM_400000_NS6detail17trampoline_kernelINS0_14default_configENS1_35radix_sort_onesweep_config_selectorI12hip_bfloat16NS0_10empty_typeEEEZNS1_34radix_sort_onesweep_global_offsetsIS3_Lb0EPKS5_PS6_mNS0_19identity_decomposerEEE10hipError_tT1_T2_PT3_SG_jT4_jjP12ihipStream_tbEUlT_E0_NS1_11comp_targetILNS1_3genE4ELNS1_11target_archE910ELNS1_3gpuE8ELNS1_3repE0EEENS1_52radix_sort_onesweep_histogram_config_static_selectorELNS0_4arch9wavefront6targetE0EEEvSE_.num_named_barrier, 0
	.set _ZN7rocprim17ROCPRIM_400000_NS6detail17trampoline_kernelINS0_14default_configENS1_35radix_sort_onesweep_config_selectorI12hip_bfloat16NS0_10empty_typeEEEZNS1_34radix_sort_onesweep_global_offsetsIS3_Lb0EPKS5_PS6_mNS0_19identity_decomposerEEE10hipError_tT1_T2_PT3_SG_jT4_jjP12ihipStream_tbEUlT_E0_NS1_11comp_targetILNS1_3genE4ELNS1_11target_archE910ELNS1_3gpuE8ELNS1_3repE0EEENS1_52radix_sort_onesweep_histogram_config_static_selectorELNS0_4arch9wavefront6targetE0EEEvSE_.private_seg_size, 0
	.set _ZN7rocprim17ROCPRIM_400000_NS6detail17trampoline_kernelINS0_14default_configENS1_35radix_sort_onesweep_config_selectorI12hip_bfloat16NS0_10empty_typeEEEZNS1_34radix_sort_onesweep_global_offsetsIS3_Lb0EPKS5_PS6_mNS0_19identity_decomposerEEE10hipError_tT1_T2_PT3_SG_jT4_jjP12ihipStream_tbEUlT_E0_NS1_11comp_targetILNS1_3genE4ELNS1_11target_archE910ELNS1_3gpuE8ELNS1_3repE0EEENS1_52radix_sort_onesweep_histogram_config_static_selectorELNS0_4arch9wavefront6targetE0EEEvSE_.uses_vcc, 0
	.set _ZN7rocprim17ROCPRIM_400000_NS6detail17trampoline_kernelINS0_14default_configENS1_35radix_sort_onesweep_config_selectorI12hip_bfloat16NS0_10empty_typeEEEZNS1_34radix_sort_onesweep_global_offsetsIS3_Lb0EPKS5_PS6_mNS0_19identity_decomposerEEE10hipError_tT1_T2_PT3_SG_jT4_jjP12ihipStream_tbEUlT_E0_NS1_11comp_targetILNS1_3genE4ELNS1_11target_archE910ELNS1_3gpuE8ELNS1_3repE0EEENS1_52radix_sort_onesweep_histogram_config_static_selectorELNS0_4arch9wavefront6targetE0EEEvSE_.uses_flat_scratch, 0
	.set _ZN7rocprim17ROCPRIM_400000_NS6detail17trampoline_kernelINS0_14default_configENS1_35radix_sort_onesweep_config_selectorI12hip_bfloat16NS0_10empty_typeEEEZNS1_34radix_sort_onesweep_global_offsetsIS3_Lb0EPKS5_PS6_mNS0_19identity_decomposerEEE10hipError_tT1_T2_PT3_SG_jT4_jjP12ihipStream_tbEUlT_E0_NS1_11comp_targetILNS1_3genE4ELNS1_11target_archE910ELNS1_3gpuE8ELNS1_3repE0EEENS1_52radix_sort_onesweep_histogram_config_static_selectorELNS0_4arch9wavefront6targetE0EEEvSE_.has_dyn_sized_stack, 0
	.set _ZN7rocprim17ROCPRIM_400000_NS6detail17trampoline_kernelINS0_14default_configENS1_35radix_sort_onesweep_config_selectorI12hip_bfloat16NS0_10empty_typeEEEZNS1_34radix_sort_onesweep_global_offsetsIS3_Lb0EPKS5_PS6_mNS0_19identity_decomposerEEE10hipError_tT1_T2_PT3_SG_jT4_jjP12ihipStream_tbEUlT_E0_NS1_11comp_targetILNS1_3genE4ELNS1_11target_archE910ELNS1_3gpuE8ELNS1_3repE0EEENS1_52radix_sort_onesweep_histogram_config_static_selectorELNS0_4arch9wavefront6targetE0EEEvSE_.has_recursion, 0
	.set _ZN7rocprim17ROCPRIM_400000_NS6detail17trampoline_kernelINS0_14default_configENS1_35radix_sort_onesweep_config_selectorI12hip_bfloat16NS0_10empty_typeEEEZNS1_34radix_sort_onesweep_global_offsetsIS3_Lb0EPKS5_PS6_mNS0_19identity_decomposerEEE10hipError_tT1_T2_PT3_SG_jT4_jjP12ihipStream_tbEUlT_E0_NS1_11comp_targetILNS1_3genE4ELNS1_11target_archE910ELNS1_3gpuE8ELNS1_3repE0EEENS1_52radix_sort_onesweep_histogram_config_static_selectorELNS0_4arch9wavefront6targetE0EEEvSE_.has_indirect_call, 0
	.section	.AMDGPU.csdata,"",@progbits
; Kernel info:
; codeLenInByte = 0
; TotalNumSgprs: 0
; NumVgprs: 0
; ScratchSize: 0
; MemoryBound: 0
; FloatMode: 240
; IeeeMode: 1
; LDSByteSize: 0 bytes/workgroup (compile time only)
; SGPRBlocks: 0
; VGPRBlocks: 0
; NumSGPRsForWavesPerEU: 1
; NumVGPRsForWavesPerEU: 1
; NamedBarCnt: 0
; Occupancy: 16
; WaveLimiterHint : 0
; COMPUTE_PGM_RSRC2:SCRATCH_EN: 0
; COMPUTE_PGM_RSRC2:USER_SGPR: 2
; COMPUTE_PGM_RSRC2:TRAP_HANDLER: 0
; COMPUTE_PGM_RSRC2:TGID_X_EN: 1
; COMPUTE_PGM_RSRC2:TGID_Y_EN: 0
; COMPUTE_PGM_RSRC2:TGID_Z_EN: 0
; COMPUTE_PGM_RSRC2:TIDIG_COMP_CNT: 0
	.section	.text._ZN7rocprim17ROCPRIM_400000_NS6detail17trampoline_kernelINS0_14default_configENS1_35radix_sort_onesweep_config_selectorI12hip_bfloat16NS0_10empty_typeEEEZNS1_34radix_sort_onesweep_global_offsetsIS3_Lb0EPKS5_PS6_mNS0_19identity_decomposerEEE10hipError_tT1_T2_PT3_SG_jT4_jjP12ihipStream_tbEUlT_E0_NS1_11comp_targetILNS1_3genE3ELNS1_11target_archE908ELNS1_3gpuE7ELNS1_3repE0EEENS1_52radix_sort_onesweep_histogram_config_static_selectorELNS0_4arch9wavefront6targetE0EEEvSE_,"axG",@progbits,_ZN7rocprim17ROCPRIM_400000_NS6detail17trampoline_kernelINS0_14default_configENS1_35radix_sort_onesweep_config_selectorI12hip_bfloat16NS0_10empty_typeEEEZNS1_34radix_sort_onesweep_global_offsetsIS3_Lb0EPKS5_PS6_mNS0_19identity_decomposerEEE10hipError_tT1_T2_PT3_SG_jT4_jjP12ihipStream_tbEUlT_E0_NS1_11comp_targetILNS1_3genE3ELNS1_11target_archE908ELNS1_3gpuE7ELNS1_3repE0EEENS1_52radix_sort_onesweep_histogram_config_static_selectorELNS0_4arch9wavefront6targetE0EEEvSE_,comdat
	.protected	_ZN7rocprim17ROCPRIM_400000_NS6detail17trampoline_kernelINS0_14default_configENS1_35radix_sort_onesweep_config_selectorI12hip_bfloat16NS0_10empty_typeEEEZNS1_34radix_sort_onesweep_global_offsetsIS3_Lb0EPKS5_PS6_mNS0_19identity_decomposerEEE10hipError_tT1_T2_PT3_SG_jT4_jjP12ihipStream_tbEUlT_E0_NS1_11comp_targetILNS1_3genE3ELNS1_11target_archE908ELNS1_3gpuE7ELNS1_3repE0EEENS1_52radix_sort_onesweep_histogram_config_static_selectorELNS0_4arch9wavefront6targetE0EEEvSE_ ; -- Begin function _ZN7rocprim17ROCPRIM_400000_NS6detail17trampoline_kernelINS0_14default_configENS1_35radix_sort_onesweep_config_selectorI12hip_bfloat16NS0_10empty_typeEEEZNS1_34radix_sort_onesweep_global_offsetsIS3_Lb0EPKS5_PS6_mNS0_19identity_decomposerEEE10hipError_tT1_T2_PT3_SG_jT4_jjP12ihipStream_tbEUlT_E0_NS1_11comp_targetILNS1_3genE3ELNS1_11target_archE908ELNS1_3gpuE7ELNS1_3repE0EEENS1_52radix_sort_onesweep_histogram_config_static_selectorELNS0_4arch9wavefront6targetE0EEEvSE_
	.globl	_ZN7rocprim17ROCPRIM_400000_NS6detail17trampoline_kernelINS0_14default_configENS1_35radix_sort_onesweep_config_selectorI12hip_bfloat16NS0_10empty_typeEEEZNS1_34radix_sort_onesweep_global_offsetsIS3_Lb0EPKS5_PS6_mNS0_19identity_decomposerEEE10hipError_tT1_T2_PT3_SG_jT4_jjP12ihipStream_tbEUlT_E0_NS1_11comp_targetILNS1_3genE3ELNS1_11target_archE908ELNS1_3gpuE7ELNS1_3repE0EEENS1_52radix_sort_onesweep_histogram_config_static_selectorELNS0_4arch9wavefront6targetE0EEEvSE_
	.p2align	8
	.type	_ZN7rocprim17ROCPRIM_400000_NS6detail17trampoline_kernelINS0_14default_configENS1_35radix_sort_onesweep_config_selectorI12hip_bfloat16NS0_10empty_typeEEEZNS1_34radix_sort_onesweep_global_offsetsIS3_Lb0EPKS5_PS6_mNS0_19identity_decomposerEEE10hipError_tT1_T2_PT3_SG_jT4_jjP12ihipStream_tbEUlT_E0_NS1_11comp_targetILNS1_3genE3ELNS1_11target_archE908ELNS1_3gpuE7ELNS1_3repE0EEENS1_52radix_sort_onesweep_histogram_config_static_selectorELNS0_4arch9wavefront6targetE0EEEvSE_,@function
_ZN7rocprim17ROCPRIM_400000_NS6detail17trampoline_kernelINS0_14default_configENS1_35radix_sort_onesweep_config_selectorI12hip_bfloat16NS0_10empty_typeEEEZNS1_34radix_sort_onesweep_global_offsetsIS3_Lb0EPKS5_PS6_mNS0_19identity_decomposerEEE10hipError_tT1_T2_PT3_SG_jT4_jjP12ihipStream_tbEUlT_E0_NS1_11comp_targetILNS1_3genE3ELNS1_11target_archE908ELNS1_3gpuE7ELNS1_3repE0EEENS1_52radix_sort_onesweep_histogram_config_static_selectorELNS0_4arch9wavefront6targetE0EEEvSE_: ; @_ZN7rocprim17ROCPRIM_400000_NS6detail17trampoline_kernelINS0_14default_configENS1_35radix_sort_onesweep_config_selectorI12hip_bfloat16NS0_10empty_typeEEEZNS1_34radix_sort_onesweep_global_offsetsIS3_Lb0EPKS5_PS6_mNS0_19identity_decomposerEEE10hipError_tT1_T2_PT3_SG_jT4_jjP12ihipStream_tbEUlT_E0_NS1_11comp_targetILNS1_3genE3ELNS1_11target_archE908ELNS1_3gpuE7ELNS1_3repE0EEENS1_52radix_sort_onesweep_histogram_config_static_selectorELNS0_4arch9wavefront6targetE0EEEvSE_
; %bb.0:
	.section	.rodata,"a",@progbits
	.p2align	6, 0x0
	.amdhsa_kernel _ZN7rocprim17ROCPRIM_400000_NS6detail17trampoline_kernelINS0_14default_configENS1_35radix_sort_onesweep_config_selectorI12hip_bfloat16NS0_10empty_typeEEEZNS1_34radix_sort_onesweep_global_offsetsIS3_Lb0EPKS5_PS6_mNS0_19identity_decomposerEEE10hipError_tT1_T2_PT3_SG_jT4_jjP12ihipStream_tbEUlT_E0_NS1_11comp_targetILNS1_3genE3ELNS1_11target_archE908ELNS1_3gpuE7ELNS1_3repE0EEENS1_52radix_sort_onesweep_histogram_config_static_selectorELNS0_4arch9wavefront6targetE0EEEvSE_
		.amdhsa_group_segment_fixed_size 0
		.amdhsa_private_segment_fixed_size 0
		.amdhsa_kernarg_size 8
		.amdhsa_user_sgpr_count 2
		.amdhsa_user_sgpr_dispatch_ptr 0
		.amdhsa_user_sgpr_queue_ptr 0
		.amdhsa_user_sgpr_kernarg_segment_ptr 1
		.amdhsa_user_sgpr_dispatch_id 0
		.amdhsa_user_sgpr_kernarg_preload_length 0
		.amdhsa_user_sgpr_kernarg_preload_offset 0
		.amdhsa_user_sgpr_private_segment_size 0
		.amdhsa_wavefront_size32 1
		.amdhsa_uses_dynamic_stack 0
		.amdhsa_enable_private_segment 0
		.amdhsa_system_sgpr_workgroup_id_x 1
		.amdhsa_system_sgpr_workgroup_id_y 0
		.amdhsa_system_sgpr_workgroup_id_z 0
		.amdhsa_system_sgpr_workgroup_info 0
		.amdhsa_system_vgpr_workitem_id 0
		.amdhsa_next_free_vgpr 1
		.amdhsa_next_free_sgpr 1
		.amdhsa_named_barrier_count 0
		.amdhsa_reserve_vcc 0
		.amdhsa_float_round_mode_32 0
		.amdhsa_float_round_mode_16_64 0
		.amdhsa_float_denorm_mode_32 3
		.amdhsa_float_denorm_mode_16_64 3
		.amdhsa_fp16_overflow 0
		.amdhsa_memory_ordered 1
		.amdhsa_forward_progress 1
		.amdhsa_inst_pref_size 0
		.amdhsa_round_robin_scheduling 0
		.amdhsa_exception_fp_ieee_invalid_op 0
		.amdhsa_exception_fp_denorm_src 0
		.amdhsa_exception_fp_ieee_div_zero 0
		.amdhsa_exception_fp_ieee_overflow 0
		.amdhsa_exception_fp_ieee_underflow 0
		.amdhsa_exception_fp_ieee_inexact 0
		.amdhsa_exception_int_div_zero 0
	.end_amdhsa_kernel
	.section	.text._ZN7rocprim17ROCPRIM_400000_NS6detail17trampoline_kernelINS0_14default_configENS1_35radix_sort_onesweep_config_selectorI12hip_bfloat16NS0_10empty_typeEEEZNS1_34radix_sort_onesweep_global_offsetsIS3_Lb0EPKS5_PS6_mNS0_19identity_decomposerEEE10hipError_tT1_T2_PT3_SG_jT4_jjP12ihipStream_tbEUlT_E0_NS1_11comp_targetILNS1_3genE3ELNS1_11target_archE908ELNS1_3gpuE7ELNS1_3repE0EEENS1_52radix_sort_onesweep_histogram_config_static_selectorELNS0_4arch9wavefront6targetE0EEEvSE_,"axG",@progbits,_ZN7rocprim17ROCPRIM_400000_NS6detail17trampoline_kernelINS0_14default_configENS1_35radix_sort_onesweep_config_selectorI12hip_bfloat16NS0_10empty_typeEEEZNS1_34radix_sort_onesweep_global_offsetsIS3_Lb0EPKS5_PS6_mNS0_19identity_decomposerEEE10hipError_tT1_T2_PT3_SG_jT4_jjP12ihipStream_tbEUlT_E0_NS1_11comp_targetILNS1_3genE3ELNS1_11target_archE908ELNS1_3gpuE7ELNS1_3repE0EEENS1_52radix_sort_onesweep_histogram_config_static_selectorELNS0_4arch9wavefront6targetE0EEEvSE_,comdat
.Lfunc_end2047:
	.size	_ZN7rocprim17ROCPRIM_400000_NS6detail17trampoline_kernelINS0_14default_configENS1_35radix_sort_onesweep_config_selectorI12hip_bfloat16NS0_10empty_typeEEEZNS1_34radix_sort_onesweep_global_offsetsIS3_Lb0EPKS5_PS6_mNS0_19identity_decomposerEEE10hipError_tT1_T2_PT3_SG_jT4_jjP12ihipStream_tbEUlT_E0_NS1_11comp_targetILNS1_3genE3ELNS1_11target_archE908ELNS1_3gpuE7ELNS1_3repE0EEENS1_52radix_sort_onesweep_histogram_config_static_selectorELNS0_4arch9wavefront6targetE0EEEvSE_, .Lfunc_end2047-_ZN7rocprim17ROCPRIM_400000_NS6detail17trampoline_kernelINS0_14default_configENS1_35radix_sort_onesweep_config_selectorI12hip_bfloat16NS0_10empty_typeEEEZNS1_34radix_sort_onesweep_global_offsetsIS3_Lb0EPKS5_PS6_mNS0_19identity_decomposerEEE10hipError_tT1_T2_PT3_SG_jT4_jjP12ihipStream_tbEUlT_E0_NS1_11comp_targetILNS1_3genE3ELNS1_11target_archE908ELNS1_3gpuE7ELNS1_3repE0EEENS1_52radix_sort_onesweep_histogram_config_static_selectorELNS0_4arch9wavefront6targetE0EEEvSE_
                                        ; -- End function
	.set _ZN7rocprim17ROCPRIM_400000_NS6detail17trampoline_kernelINS0_14default_configENS1_35radix_sort_onesweep_config_selectorI12hip_bfloat16NS0_10empty_typeEEEZNS1_34radix_sort_onesweep_global_offsetsIS3_Lb0EPKS5_PS6_mNS0_19identity_decomposerEEE10hipError_tT1_T2_PT3_SG_jT4_jjP12ihipStream_tbEUlT_E0_NS1_11comp_targetILNS1_3genE3ELNS1_11target_archE908ELNS1_3gpuE7ELNS1_3repE0EEENS1_52radix_sort_onesweep_histogram_config_static_selectorELNS0_4arch9wavefront6targetE0EEEvSE_.num_vgpr, 0
	.set _ZN7rocprim17ROCPRIM_400000_NS6detail17trampoline_kernelINS0_14default_configENS1_35radix_sort_onesweep_config_selectorI12hip_bfloat16NS0_10empty_typeEEEZNS1_34radix_sort_onesweep_global_offsetsIS3_Lb0EPKS5_PS6_mNS0_19identity_decomposerEEE10hipError_tT1_T2_PT3_SG_jT4_jjP12ihipStream_tbEUlT_E0_NS1_11comp_targetILNS1_3genE3ELNS1_11target_archE908ELNS1_3gpuE7ELNS1_3repE0EEENS1_52radix_sort_onesweep_histogram_config_static_selectorELNS0_4arch9wavefront6targetE0EEEvSE_.num_agpr, 0
	.set _ZN7rocprim17ROCPRIM_400000_NS6detail17trampoline_kernelINS0_14default_configENS1_35radix_sort_onesweep_config_selectorI12hip_bfloat16NS0_10empty_typeEEEZNS1_34radix_sort_onesweep_global_offsetsIS3_Lb0EPKS5_PS6_mNS0_19identity_decomposerEEE10hipError_tT1_T2_PT3_SG_jT4_jjP12ihipStream_tbEUlT_E0_NS1_11comp_targetILNS1_3genE3ELNS1_11target_archE908ELNS1_3gpuE7ELNS1_3repE0EEENS1_52radix_sort_onesweep_histogram_config_static_selectorELNS0_4arch9wavefront6targetE0EEEvSE_.numbered_sgpr, 0
	.set _ZN7rocprim17ROCPRIM_400000_NS6detail17trampoline_kernelINS0_14default_configENS1_35radix_sort_onesweep_config_selectorI12hip_bfloat16NS0_10empty_typeEEEZNS1_34radix_sort_onesweep_global_offsetsIS3_Lb0EPKS5_PS6_mNS0_19identity_decomposerEEE10hipError_tT1_T2_PT3_SG_jT4_jjP12ihipStream_tbEUlT_E0_NS1_11comp_targetILNS1_3genE3ELNS1_11target_archE908ELNS1_3gpuE7ELNS1_3repE0EEENS1_52radix_sort_onesweep_histogram_config_static_selectorELNS0_4arch9wavefront6targetE0EEEvSE_.num_named_barrier, 0
	.set _ZN7rocprim17ROCPRIM_400000_NS6detail17trampoline_kernelINS0_14default_configENS1_35radix_sort_onesweep_config_selectorI12hip_bfloat16NS0_10empty_typeEEEZNS1_34radix_sort_onesweep_global_offsetsIS3_Lb0EPKS5_PS6_mNS0_19identity_decomposerEEE10hipError_tT1_T2_PT3_SG_jT4_jjP12ihipStream_tbEUlT_E0_NS1_11comp_targetILNS1_3genE3ELNS1_11target_archE908ELNS1_3gpuE7ELNS1_3repE0EEENS1_52radix_sort_onesweep_histogram_config_static_selectorELNS0_4arch9wavefront6targetE0EEEvSE_.private_seg_size, 0
	.set _ZN7rocprim17ROCPRIM_400000_NS6detail17trampoline_kernelINS0_14default_configENS1_35radix_sort_onesweep_config_selectorI12hip_bfloat16NS0_10empty_typeEEEZNS1_34radix_sort_onesweep_global_offsetsIS3_Lb0EPKS5_PS6_mNS0_19identity_decomposerEEE10hipError_tT1_T2_PT3_SG_jT4_jjP12ihipStream_tbEUlT_E0_NS1_11comp_targetILNS1_3genE3ELNS1_11target_archE908ELNS1_3gpuE7ELNS1_3repE0EEENS1_52radix_sort_onesweep_histogram_config_static_selectorELNS0_4arch9wavefront6targetE0EEEvSE_.uses_vcc, 0
	.set _ZN7rocprim17ROCPRIM_400000_NS6detail17trampoline_kernelINS0_14default_configENS1_35radix_sort_onesweep_config_selectorI12hip_bfloat16NS0_10empty_typeEEEZNS1_34radix_sort_onesweep_global_offsetsIS3_Lb0EPKS5_PS6_mNS0_19identity_decomposerEEE10hipError_tT1_T2_PT3_SG_jT4_jjP12ihipStream_tbEUlT_E0_NS1_11comp_targetILNS1_3genE3ELNS1_11target_archE908ELNS1_3gpuE7ELNS1_3repE0EEENS1_52radix_sort_onesweep_histogram_config_static_selectorELNS0_4arch9wavefront6targetE0EEEvSE_.uses_flat_scratch, 0
	.set _ZN7rocprim17ROCPRIM_400000_NS6detail17trampoline_kernelINS0_14default_configENS1_35radix_sort_onesweep_config_selectorI12hip_bfloat16NS0_10empty_typeEEEZNS1_34radix_sort_onesweep_global_offsetsIS3_Lb0EPKS5_PS6_mNS0_19identity_decomposerEEE10hipError_tT1_T2_PT3_SG_jT4_jjP12ihipStream_tbEUlT_E0_NS1_11comp_targetILNS1_3genE3ELNS1_11target_archE908ELNS1_3gpuE7ELNS1_3repE0EEENS1_52radix_sort_onesweep_histogram_config_static_selectorELNS0_4arch9wavefront6targetE0EEEvSE_.has_dyn_sized_stack, 0
	.set _ZN7rocprim17ROCPRIM_400000_NS6detail17trampoline_kernelINS0_14default_configENS1_35radix_sort_onesweep_config_selectorI12hip_bfloat16NS0_10empty_typeEEEZNS1_34radix_sort_onesweep_global_offsetsIS3_Lb0EPKS5_PS6_mNS0_19identity_decomposerEEE10hipError_tT1_T2_PT3_SG_jT4_jjP12ihipStream_tbEUlT_E0_NS1_11comp_targetILNS1_3genE3ELNS1_11target_archE908ELNS1_3gpuE7ELNS1_3repE0EEENS1_52radix_sort_onesweep_histogram_config_static_selectorELNS0_4arch9wavefront6targetE0EEEvSE_.has_recursion, 0
	.set _ZN7rocprim17ROCPRIM_400000_NS6detail17trampoline_kernelINS0_14default_configENS1_35radix_sort_onesweep_config_selectorI12hip_bfloat16NS0_10empty_typeEEEZNS1_34radix_sort_onesweep_global_offsetsIS3_Lb0EPKS5_PS6_mNS0_19identity_decomposerEEE10hipError_tT1_T2_PT3_SG_jT4_jjP12ihipStream_tbEUlT_E0_NS1_11comp_targetILNS1_3genE3ELNS1_11target_archE908ELNS1_3gpuE7ELNS1_3repE0EEENS1_52radix_sort_onesweep_histogram_config_static_selectorELNS0_4arch9wavefront6targetE0EEEvSE_.has_indirect_call, 0
	.section	.AMDGPU.csdata,"",@progbits
; Kernel info:
; codeLenInByte = 0
; TotalNumSgprs: 0
; NumVgprs: 0
; ScratchSize: 0
; MemoryBound: 0
; FloatMode: 240
; IeeeMode: 1
; LDSByteSize: 0 bytes/workgroup (compile time only)
; SGPRBlocks: 0
; VGPRBlocks: 0
; NumSGPRsForWavesPerEU: 1
; NumVGPRsForWavesPerEU: 1
; NamedBarCnt: 0
; Occupancy: 16
; WaveLimiterHint : 0
; COMPUTE_PGM_RSRC2:SCRATCH_EN: 0
; COMPUTE_PGM_RSRC2:USER_SGPR: 2
; COMPUTE_PGM_RSRC2:TRAP_HANDLER: 0
; COMPUTE_PGM_RSRC2:TGID_X_EN: 1
; COMPUTE_PGM_RSRC2:TGID_Y_EN: 0
; COMPUTE_PGM_RSRC2:TGID_Z_EN: 0
; COMPUTE_PGM_RSRC2:TIDIG_COMP_CNT: 0
	.section	.text._ZN7rocprim17ROCPRIM_400000_NS6detail17trampoline_kernelINS0_14default_configENS1_35radix_sort_onesweep_config_selectorI12hip_bfloat16NS0_10empty_typeEEEZNS1_34radix_sort_onesweep_global_offsetsIS3_Lb0EPKS5_PS6_mNS0_19identity_decomposerEEE10hipError_tT1_T2_PT3_SG_jT4_jjP12ihipStream_tbEUlT_E0_NS1_11comp_targetILNS1_3genE10ELNS1_11target_archE1201ELNS1_3gpuE5ELNS1_3repE0EEENS1_52radix_sort_onesweep_histogram_config_static_selectorELNS0_4arch9wavefront6targetE0EEEvSE_,"axG",@progbits,_ZN7rocprim17ROCPRIM_400000_NS6detail17trampoline_kernelINS0_14default_configENS1_35radix_sort_onesweep_config_selectorI12hip_bfloat16NS0_10empty_typeEEEZNS1_34radix_sort_onesweep_global_offsetsIS3_Lb0EPKS5_PS6_mNS0_19identity_decomposerEEE10hipError_tT1_T2_PT3_SG_jT4_jjP12ihipStream_tbEUlT_E0_NS1_11comp_targetILNS1_3genE10ELNS1_11target_archE1201ELNS1_3gpuE5ELNS1_3repE0EEENS1_52radix_sort_onesweep_histogram_config_static_selectorELNS0_4arch9wavefront6targetE0EEEvSE_,comdat
	.protected	_ZN7rocprim17ROCPRIM_400000_NS6detail17trampoline_kernelINS0_14default_configENS1_35radix_sort_onesweep_config_selectorI12hip_bfloat16NS0_10empty_typeEEEZNS1_34radix_sort_onesweep_global_offsetsIS3_Lb0EPKS5_PS6_mNS0_19identity_decomposerEEE10hipError_tT1_T2_PT3_SG_jT4_jjP12ihipStream_tbEUlT_E0_NS1_11comp_targetILNS1_3genE10ELNS1_11target_archE1201ELNS1_3gpuE5ELNS1_3repE0EEENS1_52radix_sort_onesweep_histogram_config_static_selectorELNS0_4arch9wavefront6targetE0EEEvSE_ ; -- Begin function _ZN7rocprim17ROCPRIM_400000_NS6detail17trampoline_kernelINS0_14default_configENS1_35radix_sort_onesweep_config_selectorI12hip_bfloat16NS0_10empty_typeEEEZNS1_34radix_sort_onesweep_global_offsetsIS3_Lb0EPKS5_PS6_mNS0_19identity_decomposerEEE10hipError_tT1_T2_PT3_SG_jT4_jjP12ihipStream_tbEUlT_E0_NS1_11comp_targetILNS1_3genE10ELNS1_11target_archE1201ELNS1_3gpuE5ELNS1_3repE0EEENS1_52radix_sort_onesweep_histogram_config_static_selectorELNS0_4arch9wavefront6targetE0EEEvSE_
	.globl	_ZN7rocprim17ROCPRIM_400000_NS6detail17trampoline_kernelINS0_14default_configENS1_35radix_sort_onesweep_config_selectorI12hip_bfloat16NS0_10empty_typeEEEZNS1_34radix_sort_onesweep_global_offsetsIS3_Lb0EPKS5_PS6_mNS0_19identity_decomposerEEE10hipError_tT1_T2_PT3_SG_jT4_jjP12ihipStream_tbEUlT_E0_NS1_11comp_targetILNS1_3genE10ELNS1_11target_archE1201ELNS1_3gpuE5ELNS1_3repE0EEENS1_52radix_sort_onesweep_histogram_config_static_selectorELNS0_4arch9wavefront6targetE0EEEvSE_
	.p2align	8
	.type	_ZN7rocprim17ROCPRIM_400000_NS6detail17trampoline_kernelINS0_14default_configENS1_35radix_sort_onesweep_config_selectorI12hip_bfloat16NS0_10empty_typeEEEZNS1_34radix_sort_onesweep_global_offsetsIS3_Lb0EPKS5_PS6_mNS0_19identity_decomposerEEE10hipError_tT1_T2_PT3_SG_jT4_jjP12ihipStream_tbEUlT_E0_NS1_11comp_targetILNS1_3genE10ELNS1_11target_archE1201ELNS1_3gpuE5ELNS1_3repE0EEENS1_52radix_sort_onesweep_histogram_config_static_selectorELNS0_4arch9wavefront6targetE0EEEvSE_,@function
_ZN7rocprim17ROCPRIM_400000_NS6detail17trampoline_kernelINS0_14default_configENS1_35radix_sort_onesweep_config_selectorI12hip_bfloat16NS0_10empty_typeEEEZNS1_34radix_sort_onesweep_global_offsetsIS3_Lb0EPKS5_PS6_mNS0_19identity_decomposerEEE10hipError_tT1_T2_PT3_SG_jT4_jjP12ihipStream_tbEUlT_E0_NS1_11comp_targetILNS1_3genE10ELNS1_11target_archE1201ELNS1_3gpuE5ELNS1_3repE0EEENS1_52radix_sort_onesweep_histogram_config_static_selectorELNS0_4arch9wavefront6targetE0EEEvSE_: ; @_ZN7rocprim17ROCPRIM_400000_NS6detail17trampoline_kernelINS0_14default_configENS1_35radix_sort_onesweep_config_selectorI12hip_bfloat16NS0_10empty_typeEEEZNS1_34radix_sort_onesweep_global_offsetsIS3_Lb0EPKS5_PS6_mNS0_19identity_decomposerEEE10hipError_tT1_T2_PT3_SG_jT4_jjP12ihipStream_tbEUlT_E0_NS1_11comp_targetILNS1_3genE10ELNS1_11target_archE1201ELNS1_3gpuE5ELNS1_3repE0EEENS1_52radix_sort_onesweep_histogram_config_static_selectorELNS0_4arch9wavefront6targetE0EEEvSE_
; %bb.0:
	.section	.rodata,"a",@progbits
	.p2align	6, 0x0
	.amdhsa_kernel _ZN7rocprim17ROCPRIM_400000_NS6detail17trampoline_kernelINS0_14default_configENS1_35radix_sort_onesweep_config_selectorI12hip_bfloat16NS0_10empty_typeEEEZNS1_34radix_sort_onesweep_global_offsetsIS3_Lb0EPKS5_PS6_mNS0_19identity_decomposerEEE10hipError_tT1_T2_PT3_SG_jT4_jjP12ihipStream_tbEUlT_E0_NS1_11comp_targetILNS1_3genE10ELNS1_11target_archE1201ELNS1_3gpuE5ELNS1_3repE0EEENS1_52radix_sort_onesweep_histogram_config_static_selectorELNS0_4arch9wavefront6targetE0EEEvSE_
		.amdhsa_group_segment_fixed_size 0
		.amdhsa_private_segment_fixed_size 0
		.amdhsa_kernarg_size 8
		.amdhsa_user_sgpr_count 2
		.amdhsa_user_sgpr_dispatch_ptr 0
		.amdhsa_user_sgpr_queue_ptr 0
		.amdhsa_user_sgpr_kernarg_segment_ptr 1
		.amdhsa_user_sgpr_dispatch_id 0
		.amdhsa_user_sgpr_kernarg_preload_length 0
		.amdhsa_user_sgpr_kernarg_preload_offset 0
		.amdhsa_user_sgpr_private_segment_size 0
		.amdhsa_wavefront_size32 1
		.amdhsa_uses_dynamic_stack 0
		.amdhsa_enable_private_segment 0
		.amdhsa_system_sgpr_workgroup_id_x 1
		.amdhsa_system_sgpr_workgroup_id_y 0
		.amdhsa_system_sgpr_workgroup_id_z 0
		.amdhsa_system_sgpr_workgroup_info 0
		.amdhsa_system_vgpr_workitem_id 0
		.amdhsa_next_free_vgpr 1
		.amdhsa_next_free_sgpr 1
		.amdhsa_named_barrier_count 0
		.amdhsa_reserve_vcc 0
		.amdhsa_float_round_mode_32 0
		.amdhsa_float_round_mode_16_64 0
		.amdhsa_float_denorm_mode_32 3
		.amdhsa_float_denorm_mode_16_64 3
		.amdhsa_fp16_overflow 0
		.amdhsa_memory_ordered 1
		.amdhsa_forward_progress 1
		.amdhsa_inst_pref_size 0
		.amdhsa_round_robin_scheduling 0
		.amdhsa_exception_fp_ieee_invalid_op 0
		.amdhsa_exception_fp_denorm_src 0
		.amdhsa_exception_fp_ieee_div_zero 0
		.amdhsa_exception_fp_ieee_overflow 0
		.amdhsa_exception_fp_ieee_underflow 0
		.amdhsa_exception_fp_ieee_inexact 0
		.amdhsa_exception_int_div_zero 0
	.end_amdhsa_kernel
	.section	.text._ZN7rocprim17ROCPRIM_400000_NS6detail17trampoline_kernelINS0_14default_configENS1_35radix_sort_onesweep_config_selectorI12hip_bfloat16NS0_10empty_typeEEEZNS1_34radix_sort_onesweep_global_offsetsIS3_Lb0EPKS5_PS6_mNS0_19identity_decomposerEEE10hipError_tT1_T2_PT3_SG_jT4_jjP12ihipStream_tbEUlT_E0_NS1_11comp_targetILNS1_3genE10ELNS1_11target_archE1201ELNS1_3gpuE5ELNS1_3repE0EEENS1_52radix_sort_onesweep_histogram_config_static_selectorELNS0_4arch9wavefront6targetE0EEEvSE_,"axG",@progbits,_ZN7rocprim17ROCPRIM_400000_NS6detail17trampoline_kernelINS0_14default_configENS1_35radix_sort_onesweep_config_selectorI12hip_bfloat16NS0_10empty_typeEEEZNS1_34radix_sort_onesweep_global_offsetsIS3_Lb0EPKS5_PS6_mNS0_19identity_decomposerEEE10hipError_tT1_T2_PT3_SG_jT4_jjP12ihipStream_tbEUlT_E0_NS1_11comp_targetILNS1_3genE10ELNS1_11target_archE1201ELNS1_3gpuE5ELNS1_3repE0EEENS1_52radix_sort_onesweep_histogram_config_static_selectorELNS0_4arch9wavefront6targetE0EEEvSE_,comdat
.Lfunc_end2048:
	.size	_ZN7rocprim17ROCPRIM_400000_NS6detail17trampoline_kernelINS0_14default_configENS1_35radix_sort_onesweep_config_selectorI12hip_bfloat16NS0_10empty_typeEEEZNS1_34radix_sort_onesweep_global_offsetsIS3_Lb0EPKS5_PS6_mNS0_19identity_decomposerEEE10hipError_tT1_T2_PT3_SG_jT4_jjP12ihipStream_tbEUlT_E0_NS1_11comp_targetILNS1_3genE10ELNS1_11target_archE1201ELNS1_3gpuE5ELNS1_3repE0EEENS1_52radix_sort_onesweep_histogram_config_static_selectorELNS0_4arch9wavefront6targetE0EEEvSE_, .Lfunc_end2048-_ZN7rocprim17ROCPRIM_400000_NS6detail17trampoline_kernelINS0_14default_configENS1_35radix_sort_onesweep_config_selectorI12hip_bfloat16NS0_10empty_typeEEEZNS1_34radix_sort_onesweep_global_offsetsIS3_Lb0EPKS5_PS6_mNS0_19identity_decomposerEEE10hipError_tT1_T2_PT3_SG_jT4_jjP12ihipStream_tbEUlT_E0_NS1_11comp_targetILNS1_3genE10ELNS1_11target_archE1201ELNS1_3gpuE5ELNS1_3repE0EEENS1_52radix_sort_onesweep_histogram_config_static_selectorELNS0_4arch9wavefront6targetE0EEEvSE_
                                        ; -- End function
	.set _ZN7rocprim17ROCPRIM_400000_NS6detail17trampoline_kernelINS0_14default_configENS1_35radix_sort_onesweep_config_selectorI12hip_bfloat16NS0_10empty_typeEEEZNS1_34radix_sort_onesweep_global_offsetsIS3_Lb0EPKS5_PS6_mNS0_19identity_decomposerEEE10hipError_tT1_T2_PT3_SG_jT4_jjP12ihipStream_tbEUlT_E0_NS1_11comp_targetILNS1_3genE10ELNS1_11target_archE1201ELNS1_3gpuE5ELNS1_3repE0EEENS1_52radix_sort_onesweep_histogram_config_static_selectorELNS0_4arch9wavefront6targetE0EEEvSE_.num_vgpr, 0
	.set _ZN7rocprim17ROCPRIM_400000_NS6detail17trampoline_kernelINS0_14default_configENS1_35radix_sort_onesweep_config_selectorI12hip_bfloat16NS0_10empty_typeEEEZNS1_34radix_sort_onesweep_global_offsetsIS3_Lb0EPKS5_PS6_mNS0_19identity_decomposerEEE10hipError_tT1_T2_PT3_SG_jT4_jjP12ihipStream_tbEUlT_E0_NS1_11comp_targetILNS1_3genE10ELNS1_11target_archE1201ELNS1_3gpuE5ELNS1_3repE0EEENS1_52radix_sort_onesweep_histogram_config_static_selectorELNS0_4arch9wavefront6targetE0EEEvSE_.num_agpr, 0
	.set _ZN7rocprim17ROCPRIM_400000_NS6detail17trampoline_kernelINS0_14default_configENS1_35radix_sort_onesweep_config_selectorI12hip_bfloat16NS0_10empty_typeEEEZNS1_34radix_sort_onesweep_global_offsetsIS3_Lb0EPKS5_PS6_mNS0_19identity_decomposerEEE10hipError_tT1_T2_PT3_SG_jT4_jjP12ihipStream_tbEUlT_E0_NS1_11comp_targetILNS1_3genE10ELNS1_11target_archE1201ELNS1_3gpuE5ELNS1_3repE0EEENS1_52radix_sort_onesweep_histogram_config_static_selectorELNS0_4arch9wavefront6targetE0EEEvSE_.numbered_sgpr, 0
	.set _ZN7rocprim17ROCPRIM_400000_NS6detail17trampoline_kernelINS0_14default_configENS1_35radix_sort_onesweep_config_selectorI12hip_bfloat16NS0_10empty_typeEEEZNS1_34radix_sort_onesweep_global_offsetsIS3_Lb0EPKS5_PS6_mNS0_19identity_decomposerEEE10hipError_tT1_T2_PT3_SG_jT4_jjP12ihipStream_tbEUlT_E0_NS1_11comp_targetILNS1_3genE10ELNS1_11target_archE1201ELNS1_3gpuE5ELNS1_3repE0EEENS1_52radix_sort_onesweep_histogram_config_static_selectorELNS0_4arch9wavefront6targetE0EEEvSE_.num_named_barrier, 0
	.set _ZN7rocprim17ROCPRIM_400000_NS6detail17trampoline_kernelINS0_14default_configENS1_35radix_sort_onesweep_config_selectorI12hip_bfloat16NS0_10empty_typeEEEZNS1_34radix_sort_onesweep_global_offsetsIS3_Lb0EPKS5_PS6_mNS0_19identity_decomposerEEE10hipError_tT1_T2_PT3_SG_jT4_jjP12ihipStream_tbEUlT_E0_NS1_11comp_targetILNS1_3genE10ELNS1_11target_archE1201ELNS1_3gpuE5ELNS1_3repE0EEENS1_52radix_sort_onesweep_histogram_config_static_selectorELNS0_4arch9wavefront6targetE0EEEvSE_.private_seg_size, 0
	.set _ZN7rocprim17ROCPRIM_400000_NS6detail17trampoline_kernelINS0_14default_configENS1_35radix_sort_onesweep_config_selectorI12hip_bfloat16NS0_10empty_typeEEEZNS1_34radix_sort_onesweep_global_offsetsIS3_Lb0EPKS5_PS6_mNS0_19identity_decomposerEEE10hipError_tT1_T2_PT3_SG_jT4_jjP12ihipStream_tbEUlT_E0_NS1_11comp_targetILNS1_3genE10ELNS1_11target_archE1201ELNS1_3gpuE5ELNS1_3repE0EEENS1_52radix_sort_onesweep_histogram_config_static_selectorELNS0_4arch9wavefront6targetE0EEEvSE_.uses_vcc, 0
	.set _ZN7rocprim17ROCPRIM_400000_NS6detail17trampoline_kernelINS0_14default_configENS1_35radix_sort_onesweep_config_selectorI12hip_bfloat16NS0_10empty_typeEEEZNS1_34radix_sort_onesweep_global_offsetsIS3_Lb0EPKS5_PS6_mNS0_19identity_decomposerEEE10hipError_tT1_T2_PT3_SG_jT4_jjP12ihipStream_tbEUlT_E0_NS1_11comp_targetILNS1_3genE10ELNS1_11target_archE1201ELNS1_3gpuE5ELNS1_3repE0EEENS1_52radix_sort_onesweep_histogram_config_static_selectorELNS0_4arch9wavefront6targetE0EEEvSE_.uses_flat_scratch, 0
	.set _ZN7rocprim17ROCPRIM_400000_NS6detail17trampoline_kernelINS0_14default_configENS1_35radix_sort_onesweep_config_selectorI12hip_bfloat16NS0_10empty_typeEEEZNS1_34radix_sort_onesweep_global_offsetsIS3_Lb0EPKS5_PS6_mNS0_19identity_decomposerEEE10hipError_tT1_T2_PT3_SG_jT4_jjP12ihipStream_tbEUlT_E0_NS1_11comp_targetILNS1_3genE10ELNS1_11target_archE1201ELNS1_3gpuE5ELNS1_3repE0EEENS1_52radix_sort_onesweep_histogram_config_static_selectorELNS0_4arch9wavefront6targetE0EEEvSE_.has_dyn_sized_stack, 0
	.set _ZN7rocprim17ROCPRIM_400000_NS6detail17trampoline_kernelINS0_14default_configENS1_35radix_sort_onesweep_config_selectorI12hip_bfloat16NS0_10empty_typeEEEZNS1_34radix_sort_onesweep_global_offsetsIS3_Lb0EPKS5_PS6_mNS0_19identity_decomposerEEE10hipError_tT1_T2_PT3_SG_jT4_jjP12ihipStream_tbEUlT_E0_NS1_11comp_targetILNS1_3genE10ELNS1_11target_archE1201ELNS1_3gpuE5ELNS1_3repE0EEENS1_52radix_sort_onesweep_histogram_config_static_selectorELNS0_4arch9wavefront6targetE0EEEvSE_.has_recursion, 0
	.set _ZN7rocprim17ROCPRIM_400000_NS6detail17trampoline_kernelINS0_14default_configENS1_35radix_sort_onesweep_config_selectorI12hip_bfloat16NS0_10empty_typeEEEZNS1_34radix_sort_onesweep_global_offsetsIS3_Lb0EPKS5_PS6_mNS0_19identity_decomposerEEE10hipError_tT1_T2_PT3_SG_jT4_jjP12ihipStream_tbEUlT_E0_NS1_11comp_targetILNS1_3genE10ELNS1_11target_archE1201ELNS1_3gpuE5ELNS1_3repE0EEENS1_52radix_sort_onesweep_histogram_config_static_selectorELNS0_4arch9wavefront6targetE0EEEvSE_.has_indirect_call, 0
	.section	.AMDGPU.csdata,"",@progbits
; Kernel info:
; codeLenInByte = 0
; TotalNumSgprs: 0
; NumVgprs: 0
; ScratchSize: 0
; MemoryBound: 0
; FloatMode: 240
; IeeeMode: 1
; LDSByteSize: 0 bytes/workgroup (compile time only)
; SGPRBlocks: 0
; VGPRBlocks: 0
; NumSGPRsForWavesPerEU: 1
; NumVGPRsForWavesPerEU: 1
; NamedBarCnt: 0
; Occupancy: 16
; WaveLimiterHint : 0
; COMPUTE_PGM_RSRC2:SCRATCH_EN: 0
; COMPUTE_PGM_RSRC2:USER_SGPR: 2
; COMPUTE_PGM_RSRC2:TRAP_HANDLER: 0
; COMPUTE_PGM_RSRC2:TGID_X_EN: 1
; COMPUTE_PGM_RSRC2:TGID_Y_EN: 0
; COMPUTE_PGM_RSRC2:TGID_Z_EN: 0
; COMPUTE_PGM_RSRC2:TIDIG_COMP_CNT: 0
	.section	.text._ZN7rocprim17ROCPRIM_400000_NS6detail17trampoline_kernelINS0_14default_configENS1_35radix_sort_onesweep_config_selectorI12hip_bfloat16NS0_10empty_typeEEEZNS1_34radix_sort_onesweep_global_offsetsIS3_Lb0EPKS5_PS6_mNS0_19identity_decomposerEEE10hipError_tT1_T2_PT3_SG_jT4_jjP12ihipStream_tbEUlT_E0_NS1_11comp_targetILNS1_3genE9ELNS1_11target_archE1100ELNS1_3gpuE3ELNS1_3repE0EEENS1_52radix_sort_onesweep_histogram_config_static_selectorELNS0_4arch9wavefront6targetE0EEEvSE_,"axG",@progbits,_ZN7rocprim17ROCPRIM_400000_NS6detail17trampoline_kernelINS0_14default_configENS1_35radix_sort_onesweep_config_selectorI12hip_bfloat16NS0_10empty_typeEEEZNS1_34radix_sort_onesweep_global_offsetsIS3_Lb0EPKS5_PS6_mNS0_19identity_decomposerEEE10hipError_tT1_T2_PT3_SG_jT4_jjP12ihipStream_tbEUlT_E0_NS1_11comp_targetILNS1_3genE9ELNS1_11target_archE1100ELNS1_3gpuE3ELNS1_3repE0EEENS1_52radix_sort_onesweep_histogram_config_static_selectorELNS0_4arch9wavefront6targetE0EEEvSE_,comdat
	.protected	_ZN7rocprim17ROCPRIM_400000_NS6detail17trampoline_kernelINS0_14default_configENS1_35radix_sort_onesweep_config_selectorI12hip_bfloat16NS0_10empty_typeEEEZNS1_34radix_sort_onesweep_global_offsetsIS3_Lb0EPKS5_PS6_mNS0_19identity_decomposerEEE10hipError_tT1_T2_PT3_SG_jT4_jjP12ihipStream_tbEUlT_E0_NS1_11comp_targetILNS1_3genE9ELNS1_11target_archE1100ELNS1_3gpuE3ELNS1_3repE0EEENS1_52radix_sort_onesweep_histogram_config_static_selectorELNS0_4arch9wavefront6targetE0EEEvSE_ ; -- Begin function _ZN7rocprim17ROCPRIM_400000_NS6detail17trampoline_kernelINS0_14default_configENS1_35radix_sort_onesweep_config_selectorI12hip_bfloat16NS0_10empty_typeEEEZNS1_34radix_sort_onesweep_global_offsetsIS3_Lb0EPKS5_PS6_mNS0_19identity_decomposerEEE10hipError_tT1_T2_PT3_SG_jT4_jjP12ihipStream_tbEUlT_E0_NS1_11comp_targetILNS1_3genE9ELNS1_11target_archE1100ELNS1_3gpuE3ELNS1_3repE0EEENS1_52radix_sort_onesweep_histogram_config_static_selectorELNS0_4arch9wavefront6targetE0EEEvSE_
	.globl	_ZN7rocprim17ROCPRIM_400000_NS6detail17trampoline_kernelINS0_14default_configENS1_35radix_sort_onesweep_config_selectorI12hip_bfloat16NS0_10empty_typeEEEZNS1_34radix_sort_onesweep_global_offsetsIS3_Lb0EPKS5_PS6_mNS0_19identity_decomposerEEE10hipError_tT1_T2_PT3_SG_jT4_jjP12ihipStream_tbEUlT_E0_NS1_11comp_targetILNS1_3genE9ELNS1_11target_archE1100ELNS1_3gpuE3ELNS1_3repE0EEENS1_52radix_sort_onesweep_histogram_config_static_selectorELNS0_4arch9wavefront6targetE0EEEvSE_
	.p2align	8
	.type	_ZN7rocprim17ROCPRIM_400000_NS6detail17trampoline_kernelINS0_14default_configENS1_35radix_sort_onesweep_config_selectorI12hip_bfloat16NS0_10empty_typeEEEZNS1_34radix_sort_onesweep_global_offsetsIS3_Lb0EPKS5_PS6_mNS0_19identity_decomposerEEE10hipError_tT1_T2_PT3_SG_jT4_jjP12ihipStream_tbEUlT_E0_NS1_11comp_targetILNS1_3genE9ELNS1_11target_archE1100ELNS1_3gpuE3ELNS1_3repE0EEENS1_52radix_sort_onesweep_histogram_config_static_selectorELNS0_4arch9wavefront6targetE0EEEvSE_,@function
_ZN7rocprim17ROCPRIM_400000_NS6detail17trampoline_kernelINS0_14default_configENS1_35radix_sort_onesweep_config_selectorI12hip_bfloat16NS0_10empty_typeEEEZNS1_34radix_sort_onesweep_global_offsetsIS3_Lb0EPKS5_PS6_mNS0_19identity_decomposerEEE10hipError_tT1_T2_PT3_SG_jT4_jjP12ihipStream_tbEUlT_E0_NS1_11comp_targetILNS1_3genE9ELNS1_11target_archE1100ELNS1_3gpuE3ELNS1_3repE0EEENS1_52radix_sort_onesweep_histogram_config_static_selectorELNS0_4arch9wavefront6targetE0EEEvSE_: ; @_ZN7rocprim17ROCPRIM_400000_NS6detail17trampoline_kernelINS0_14default_configENS1_35radix_sort_onesweep_config_selectorI12hip_bfloat16NS0_10empty_typeEEEZNS1_34radix_sort_onesweep_global_offsetsIS3_Lb0EPKS5_PS6_mNS0_19identity_decomposerEEE10hipError_tT1_T2_PT3_SG_jT4_jjP12ihipStream_tbEUlT_E0_NS1_11comp_targetILNS1_3genE9ELNS1_11target_archE1100ELNS1_3gpuE3ELNS1_3repE0EEENS1_52radix_sort_onesweep_histogram_config_static_selectorELNS0_4arch9wavefront6targetE0EEEvSE_
; %bb.0:
	.section	.rodata,"a",@progbits
	.p2align	6, 0x0
	.amdhsa_kernel _ZN7rocprim17ROCPRIM_400000_NS6detail17trampoline_kernelINS0_14default_configENS1_35radix_sort_onesweep_config_selectorI12hip_bfloat16NS0_10empty_typeEEEZNS1_34radix_sort_onesweep_global_offsetsIS3_Lb0EPKS5_PS6_mNS0_19identity_decomposerEEE10hipError_tT1_T2_PT3_SG_jT4_jjP12ihipStream_tbEUlT_E0_NS1_11comp_targetILNS1_3genE9ELNS1_11target_archE1100ELNS1_3gpuE3ELNS1_3repE0EEENS1_52radix_sort_onesweep_histogram_config_static_selectorELNS0_4arch9wavefront6targetE0EEEvSE_
		.amdhsa_group_segment_fixed_size 0
		.amdhsa_private_segment_fixed_size 0
		.amdhsa_kernarg_size 8
		.amdhsa_user_sgpr_count 2
		.amdhsa_user_sgpr_dispatch_ptr 0
		.amdhsa_user_sgpr_queue_ptr 0
		.amdhsa_user_sgpr_kernarg_segment_ptr 1
		.amdhsa_user_sgpr_dispatch_id 0
		.amdhsa_user_sgpr_kernarg_preload_length 0
		.amdhsa_user_sgpr_kernarg_preload_offset 0
		.amdhsa_user_sgpr_private_segment_size 0
		.amdhsa_wavefront_size32 1
		.amdhsa_uses_dynamic_stack 0
		.amdhsa_enable_private_segment 0
		.amdhsa_system_sgpr_workgroup_id_x 1
		.amdhsa_system_sgpr_workgroup_id_y 0
		.amdhsa_system_sgpr_workgroup_id_z 0
		.amdhsa_system_sgpr_workgroup_info 0
		.amdhsa_system_vgpr_workitem_id 0
		.amdhsa_next_free_vgpr 1
		.amdhsa_next_free_sgpr 1
		.amdhsa_named_barrier_count 0
		.amdhsa_reserve_vcc 0
		.amdhsa_float_round_mode_32 0
		.amdhsa_float_round_mode_16_64 0
		.amdhsa_float_denorm_mode_32 3
		.amdhsa_float_denorm_mode_16_64 3
		.amdhsa_fp16_overflow 0
		.amdhsa_memory_ordered 1
		.amdhsa_forward_progress 1
		.amdhsa_inst_pref_size 0
		.amdhsa_round_robin_scheduling 0
		.amdhsa_exception_fp_ieee_invalid_op 0
		.amdhsa_exception_fp_denorm_src 0
		.amdhsa_exception_fp_ieee_div_zero 0
		.amdhsa_exception_fp_ieee_overflow 0
		.amdhsa_exception_fp_ieee_underflow 0
		.amdhsa_exception_fp_ieee_inexact 0
		.amdhsa_exception_int_div_zero 0
	.end_amdhsa_kernel
	.section	.text._ZN7rocprim17ROCPRIM_400000_NS6detail17trampoline_kernelINS0_14default_configENS1_35radix_sort_onesweep_config_selectorI12hip_bfloat16NS0_10empty_typeEEEZNS1_34radix_sort_onesweep_global_offsetsIS3_Lb0EPKS5_PS6_mNS0_19identity_decomposerEEE10hipError_tT1_T2_PT3_SG_jT4_jjP12ihipStream_tbEUlT_E0_NS1_11comp_targetILNS1_3genE9ELNS1_11target_archE1100ELNS1_3gpuE3ELNS1_3repE0EEENS1_52radix_sort_onesweep_histogram_config_static_selectorELNS0_4arch9wavefront6targetE0EEEvSE_,"axG",@progbits,_ZN7rocprim17ROCPRIM_400000_NS6detail17trampoline_kernelINS0_14default_configENS1_35radix_sort_onesweep_config_selectorI12hip_bfloat16NS0_10empty_typeEEEZNS1_34radix_sort_onesweep_global_offsetsIS3_Lb0EPKS5_PS6_mNS0_19identity_decomposerEEE10hipError_tT1_T2_PT3_SG_jT4_jjP12ihipStream_tbEUlT_E0_NS1_11comp_targetILNS1_3genE9ELNS1_11target_archE1100ELNS1_3gpuE3ELNS1_3repE0EEENS1_52radix_sort_onesweep_histogram_config_static_selectorELNS0_4arch9wavefront6targetE0EEEvSE_,comdat
.Lfunc_end2049:
	.size	_ZN7rocprim17ROCPRIM_400000_NS6detail17trampoline_kernelINS0_14default_configENS1_35radix_sort_onesweep_config_selectorI12hip_bfloat16NS0_10empty_typeEEEZNS1_34radix_sort_onesweep_global_offsetsIS3_Lb0EPKS5_PS6_mNS0_19identity_decomposerEEE10hipError_tT1_T2_PT3_SG_jT4_jjP12ihipStream_tbEUlT_E0_NS1_11comp_targetILNS1_3genE9ELNS1_11target_archE1100ELNS1_3gpuE3ELNS1_3repE0EEENS1_52radix_sort_onesweep_histogram_config_static_selectorELNS0_4arch9wavefront6targetE0EEEvSE_, .Lfunc_end2049-_ZN7rocprim17ROCPRIM_400000_NS6detail17trampoline_kernelINS0_14default_configENS1_35radix_sort_onesweep_config_selectorI12hip_bfloat16NS0_10empty_typeEEEZNS1_34radix_sort_onesweep_global_offsetsIS3_Lb0EPKS5_PS6_mNS0_19identity_decomposerEEE10hipError_tT1_T2_PT3_SG_jT4_jjP12ihipStream_tbEUlT_E0_NS1_11comp_targetILNS1_3genE9ELNS1_11target_archE1100ELNS1_3gpuE3ELNS1_3repE0EEENS1_52radix_sort_onesweep_histogram_config_static_selectorELNS0_4arch9wavefront6targetE0EEEvSE_
                                        ; -- End function
	.set _ZN7rocprim17ROCPRIM_400000_NS6detail17trampoline_kernelINS0_14default_configENS1_35radix_sort_onesweep_config_selectorI12hip_bfloat16NS0_10empty_typeEEEZNS1_34radix_sort_onesweep_global_offsetsIS3_Lb0EPKS5_PS6_mNS0_19identity_decomposerEEE10hipError_tT1_T2_PT3_SG_jT4_jjP12ihipStream_tbEUlT_E0_NS1_11comp_targetILNS1_3genE9ELNS1_11target_archE1100ELNS1_3gpuE3ELNS1_3repE0EEENS1_52radix_sort_onesweep_histogram_config_static_selectorELNS0_4arch9wavefront6targetE0EEEvSE_.num_vgpr, 0
	.set _ZN7rocprim17ROCPRIM_400000_NS6detail17trampoline_kernelINS0_14default_configENS1_35radix_sort_onesweep_config_selectorI12hip_bfloat16NS0_10empty_typeEEEZNS1_34radix_sort_onesweep_global_offsetsIS3_Lb0EPKS5_PS6_mNS0_19identity_decomposerEEE10hipError_tT1_T2_PT3_SG_jT4_jjP12ihipStream_tbEUlT_E0_NS1_11comp_targetILNS1_3genE9ELNS1_11target_archE1100ELNS1_3gpuE3ELNS1_3repE0EEENS1_52radix_sort_onesweep_histogram_config_static_selectorELNS0_4arch9wavefront6targetE0EEEvSE_.num_agpr, 0
	.set _ZN7rocprim17ROCPRIM_400000_NS6detail17trampoline_kernelINS0_14default_configENS1_35radix_sort_onesweep_config_selectorI12hip_bfloat16NS0_10empty_typeEEEZNS1_34radix_sort_onesweep_global_offsetsIS3_Lb0EPKS5_PS6_mNS0_19identity_decomposerEEE10hipError_tT1_T2_PT3_SG_jT4_jjP12ihipStream_tbEUlT_E0_NS1_11comp_targetILNS1_3genE9ELNS1_11target_archE1100ELNS1_3gpuE3ELNS1_3repE0EEENS1_52radix_sort_onesweep_histogram_config_static_selectorELNS0_4arch9wavefront6targetE0EEEvSE_.numbered_sgpr, 0
	.set _ZN7rocprim17ROCPRIM_400000_NS6detail17trampoline_kernelINS0_14default_configENS1_35radix_sort_onesweep_config_selectorI12hip_bfloat16NS0_10empty_typeEEEZNS1_34radix_sort_onesweep_global_offsetsIS3_Lb0EPKS5_PS6_mNS0_19identity_decomposerEEE10hipError_tT1_T2_PT3_SG_jT4_jjP12ihipStream_tbEUlT_E0_NS1_11comp_targetILNS1_3genE9ELNS1_11target_archE1100ELNS1_3gpuE3ELNS1_3repE0EEENS1_52radix_sort_onesweep_histogram_config_static_selectorELNS0_4arch9wavefront6targetE0EEEvSE_.num_named_barrier, 0
	.set _ZN7rocprim17ROCPRIM_400000_NS6detail17trampoline_kernelINS0_14default_configENS1_35radix_sort_onesweep_config_selectorI12hip_bfloat16NS0_10empty_typeEEEZNS1_34radix_sort_onesweep_global_offsetsIS3_Lb0EPKS5_PS6_mNS0_19identity_decomposerEEE10hipError_tT1_T2_PT3_SG_jT4_jjP12ihipStream_tbEUlT_E0_NS1_11comp_targetILNS1_3genE9ELNS1_11target_archE1100ELNS1_3gpuE3ELNS1_3repE0EEENS1_52radix_sort_onesweep_histogram_config_static_selectorELNS0_4arch9wavefront6targetE0EEEvSE_.private_seg_size, 0
	.set _ZN7rocprim17ROCPRIM_400000_NS6detail17trampoline_kernelINS0_14default_configENS1_35radix_sort_onesweep_config_selectorI12hip_bfloat16NS0_10empty_typeEEEZNS1_34radix_sort_onesweep_global_offsetsIS3_Lb0EPKS5_PS6_mNS0_19identity_decomposerEEE10hipError_tT1_T2_PT3_SG_jT4_jjP12ihipStream_tbEUlT_E0_NS1_11comp_targetILNS1_3genE9ELNS1_11target_archE1100ELNS1_3gpuE3ELNS1_3repE0EEENS1_52radix_sort_onesweep_histogram_config_static_selectorELNS0_4arch9wavefront6targetE0EEEvSE_.uses_vcc, 0
	.set _ZN7rocprim17ROCPRIM_400000_NS6detail17trampoline_kernelINS0_14default_configENS1_35radix_sort_onesweep_config_selectorI12hip_bfloat16NS0_10empty_typeEEEZNS1_34radix_sort_onesweep_global_offsetsIS3_Lb0EPKS5_PS6_mNS0_19identity_decomposerEEE10hipError_tT1_T2_PT3_SG_jT4_jjP12ihipStream_tbEUlT_E0_NS1_11comp_targetILNS1_3genE9ELNS1_11target_archE1100ELNS1_3gpuE3ELNS1_3repE0EEENS1_52radix_sort_onesweep_histogram_config_static_selectorELNS0_4arch9wavefront6targetE0EEEvSE_.uses_flat_scratch, 0
	.set _ZN7rocprim17ROCPRIM_400000_NS6detail17trampoline_kernelINS0_14default_configENS1_35radix_sort_onesweep_config_selectorI12hip_bfloat16NS0_10empty_typeEEEZNS1_34radix_sort_onesweep_global_offsetsIS3_Lb0EPKS5_PS6_mNS0_19identity_decomposerEEE10hipError_tT1_T2_PT3_SG_jT4_jjP12ihipStream_tbEUlT_E0_NS1_11comp_targetILNS1_3genE9ELNS1_11target_archE1100ELNS1_3gpuE3ELNS1_3repE0EEENS1_52radix_sort_onesweep_histogram_config_static_selectorELNS0_4arch9wavefront6targetE0EEEvSE_.has_dyn_sized_stack, 0
	.set _ZN7rocprim17ROCPRIM_400000_NS6detail17trampoline_kernelINS0_14default_configENS1_35radix_sort_onesweep_config_selectorI12hip_bfloat16NS0_10empty_typeEEEZNS1_34radix_sort_onesweep_global_offsetsIS3_Lb0EPKS5_PS6_mNS0_19identity_decomposerEEE10hipError_tT1_T2_PT3_SG_jT4_jjP12ihipStream_tbEUlT_E0_NS1_11comp_targetILNS1_3genE9ELNS1_11target_archE1100ELNS1_3gpuE3ELNS1_3repE0EEENS1_52radix_sort_onesweep_histogram_config_static_selectorELNS0_4arch9wavefront6targetE0EEEvSE_.has_recursion, 0
	.set _ZN7rocprim17ROCPRIM_400000_NS6detail17trampoline_kernelINS0_14default_configENS1_35radix_sort_onesweep_config_selectorI12hip_bfloat16NS0_10empty_typeEEEZNS1_34radix_sort_onesweep_global_offsetsIS3_Lb0EPKS5_PS6_mNS0_19identity_decomposerEEE10hipError_tT1_T2_PT3_SG_jT4_jjP12ihipStream_tbEUlT_E0_NS1_11comp_targetILNS1_3genE9ELNS1_11target_archE1100ELNS1_3gpuE3ELNS1_3repE0EEENS1_52radix_sort_onesweep_histogram_config_static_selectorELNS0_4arch9wavefront6targetE0EEEvSE_.has_indirect_call, 0
	.section	.AMDGPU.csdata,"",@progbits
; Kernel info:
; codeLenInByte = 0
; TotalNumSgprs: 0
; NumVgprs: 0
; ScratchSize: 0
; MemoryBound: 0
; FloatMode: 240
; IeeeMode: 1
; LDSByteSize: 0 bytes/workgroup (compile time only)
; SGPRBlocks: 0
; VGPRBlocks: 0
; NumSGPRsForWavesPerEU: 1
; NumVGPRsForWavesPerEU: 1
; NamedBarCnt: 0
; Occupancy: 16
; WaveLimiterHint : 0
; COMPUTE_PGM_RSRC2:SCRATCH_EN: 0
; COMPUTE_PGM_RSRC2:USER_SGPR: 2
; COMPUTE_PGM_RSRC2:TRAP_HANDLER: 0
; COMPUTE_PGM_RSRC2:TGID_X_EN: 1
; COMPUTE_PGM_RSRC2:TGID_Y_EN: 0
; COMPUTE_PGM_RSRC2:TGID_Z_EN: 0
; COMPUTE_PGM_RSRC2:TIDIG_COMP_CNT: 0
	.section	.text._ZN7rocprim17ROCPRIM_400000_NS6detail17trampoline_kernelINS0_14default_configENS1_35radix_sort_onesweep_config_selectorI12hip_bfloat16NS0_10empty_typeEEEZNS1_34radix_sort_onesweep_global_offsetsIS3_Lb0EPKS5_PS6_mNS0_19identity_decomposerEEE10hipError_tT1_T2_PT3_SG_jT4_jjP12ihipStream_tbEUlT_E0_NS1_11comp_targetILNS1_3genE8ELNS1_11target_archE1030ELNS1_3gpuE2ELNS1_3repE0EEENS1_52radix_sort_onesweep_histogram_config_static_selectorELNS0_4arch9wavefront6targetE0EEEvSE_,"axG",@progbits,_ZN7rocprim17ROCPRIM_400000_NS6detail17trampoline_kernelINS0_14default_configENS1_35radix_sort_onesweep_config_selectorI12hip_bfloat16NS0_10empty_typeEEEZNS1_34radix_sort_onesweep_global_offsetsIS3_Lb0EPKS5_PS6_mNS0_19identity_decomposerEEE10hipError_tT1_T2_PT3_SG_jT4_jjP12ihipStream_tbEUlT_E0_NS1_11comp_targetILNS1_3genE8ELNS1_11target_archE1030ELNS1_3gpuE2ELNS1_3repE0EEENS1_52radix_sort_onesweep_histogram_config_static_selectorELNS0_4arch9wavefront6targetE0EEEvSE_,comdat
	.protected	_ZN7rocprim17ROCPRIM_400000_NS6detail17trampoline_kernelINS0_14default_configENS1_35radix_sort_onesweep_config_selectorI12hip_bfloat16NS0_10empty_typeEEEZNS1_34radix_sort_onesweep_global_offsetsIS3_Lb0EPKS5_PS6_mNS0_19identity_decomposerEEE10hipError_tT1_T2_PT3_SG_jT4_jjP12ihipStream_tbEUlT_E0_NS1_11comp_targetILNS1_3genE8ELNS1_11target_archE1030ELNS1_3gpuE2ELNS1_3repE0EEENS1_52radix_sort_onesweep_histogram_config_static_selectorELNS0_4arch9wavefront6targetE0EEEvSE_ ; -- Begin function _ZN7rocprim17ROCPRIM_400000_NS6detail17trampoline_kernelINS0_14default_configENS1_35radix_sort_onesweep_config_selectorI12hip_bfloat16NS0_10empty_typeEEEZNS1_34radix_sort_onesweep_global_offsetsIS3_Lb0EPKS5_PS6_mNS0_19identity_decomposerEEE10hipError_tT1_T2_PT3_SG_jT4_jjP12ihipStream_tbEUlT_E0_NS1_11comp_targetILNS1_3genE8ELNS1_11target_archE1030ELNS1_3gpuE2ELNS1_3repE0EEENS1_52radix_sort_onesweep_histogram_config_static_selectorELNS0_4arch9wavefront6targetE0EEEvSE_
	.globl	_ZN7rocprim17ROCPRIM_400000_NS6detail17trampoline_kernelINS0_14default_configENS1_35radix_sort_onesweep_config_selectorI12hip_bfloat16NS0_10empty_typeEEEZNS1_34radix_sort_onesweep_global_offsetsIS3_Lb0EPKS5_PS6_mNS0_19identity_decomposerEEE10hipError_tT1_T2_PT3_SG_jT4_jjP12ihipStream_tbEUlT_E0_NS1_11comp_targetILNS1_3genE8ELNS1_11target_archE1030ELNS1_3gpuE2ELNS1_3repE0EEENS1_52radix_sort_onesweep_histogram_config_static_selectorELNS0_4arch9wavefront6targetE0EEEvSE_
	.p2align	8
	.type	_ZN7rocprim17ROCPRIM_400000_NS6detail17trampoline_kernelINS0_14default_configENS1_35radix_sort_onesweep_config_selectorI12hip_bfloat16NS0_10empty_typeEEEZNS1_34radix_sort_onesweep_global_offsetsIS3_Lb0EPKS5_PS6_mNS0_19identity_decomposerEEE10hipError_tT1_T2_PT3_SG_jT4_jjP12ihipStream_tbEUlT_E0_NS1_11comp_targetILNS1_3genE8ELNS1_11target_archE1030ELNS1_3gpuE2ELNS1_3repE0EEENS1_52radix_sort_onesweep_histogram_config_static_selectorELNS0_4arch9wavefront6targetE0EEEvSE_,@function
_ZN7rocprim17ROCPRIM_400000_NS6detail17trampoline_kernelINS0_14default_configENS1_35radix_sort_onesweep_config_selectorI12hip_bfloat16NS0_10empty_typeEEEZNS1_34radix_sort_onesweep_global_offsetsIS3_Lb0EPKS5_PS6_mNS0_19identity_decomposerEEE10hipError_tT1_T2_PT3_SG_jT4_jjP12ihipStream_tbEUlT_E0_NS1_11comp_targetILNS1_3genE8ELNS1_11target_archE1030ELNS1_3gpuE2ELNS1_3repE0EEENS1_52radix_sort_onesweep_histogram_config_static_selectorELNS0_4arch9wavefront6targetE0EEEvSE_: ; @_ZN7rocprim17ROCPRIM_400000_NS6detail17trampoline_kernelINS0_14default_configENS1_35radix_sort_onesweep_config_selectorI12hip_bfloat16NS0_10empty_typeEEEZNS1_34radix_sort_onesweep_global_offsetsIS3_Lb0EPKS5_PS6_mNS0_19identity_decomposerEEE10hipError_tT1_T2_PT3_SG_jT4_jjP12ihipStream_tbEUlT_E0_NS1_11comp_targetILNS1_3genE8ELNS1_11target_archE1030ELNS1_3gpuE2ELNS1_3repE0EEENS1_52radix_sort_onesweep_histogram_config_static_selectorELNS0_4arch9wavefront6targetE0EEEvSE_
; %bb.0:
	.section	.rodata,"a",@progbits
	.p2align	6, 0x0
	.amdhsa_kernel _ZN7rocprim17ROCPRIM_400000_NS6detail17trampoline_kernelINS0_14default_configENS1_35radix_sort_onesweep_config_selectorI12hip_bfloat16NS0_10empty_typeEEEZNS1_34radix_sort_onesweep_global_offsetsIS3_Lb0EPKS5_PS6_mNS0_19identity_decomposerEEE10hipError_tT1_T2_PT3_SG_jT4_jjP12ihipStream_tbEUlT_E0_NS1_11comp_targetILNS1_3genE8ELNS1_11target_archE1030ELNS1_3gpuE2ELNS1_3repE0EEENS1_52radix_sort_onesweep_histogram_config_static_selectorELNS0_4arch9wavefront6targetE0EEEvSE_
		.amdhsa_group_segment_fixed_size 0
		.amdhsa_private_segment_fixed_size 0
		.amdhsa_kernarg_size 8
		.amdhsa_user_sgpr_count 2
		.amdhsa_user_sgpr_dispatch_ptr 0
		.amdhsa_user_sgpr_queue_ptr 0
		.amdhsa_user_sgpr_kernarg_segment_ptr 1
		.amdhsa_user_sgpr_dispatch_id 0
		.amdhsa_user_sgpr_kernarg_preload_length 0
		.amdhsa_user_sgpr_kernarg_preload_offset 0
		.amdhsa_user_sgpr_private_segment_size 0
		.amdhsa_wavefront_size32 1
		.amdhsa_uses_dynamic_stack 0
		.amdhsa_enable_private_segment 0
		.amdhsa_system_sgpr_workgroup_id_x 1
		.amdhsa_system_sgpr_workgroup_id_y 0
		.amdhsa_system_sgpr_workgroup_id_z 0
		.amdhsa_system_sgpr_workgroup_info 0
		.amdhsa_system_vgpr_workitem_id 0
		.amdhsa_next_free_vgpr 1
		.amdhsa_next_free_sgpr 1
		.amdhsa_named_barrier_count 0
		.amdhsa_reserve_vcc 0
		.amdhsa_float_round_mode_32 0
		.amdhsa_float_round_mode_16_64 0
		.amdhsa_float_denorm_mode_32 3
		.amdhsa_float_denorm_mode_16_64 3
		.amdhsa_fp16_overflow 0
		.amdhsa_memory_ordered 1
		.amdhsa_forward_progress 1
		.amdhsa_inst_pref_size 0
		.amdhsa_round_robin_scheduling 0
		.amdhsa_exception_fp_ieee_invalid_op 0
		.amdhsa_exception_fp_denorm_src 0
		.amdhsa_exception_fp_ieee_div_zero 0
		.amdhsa_exception_fp_ieee_overflow 0
		.amdhsa_exception_fp_ieee_underflow 0
		.amdhsa_exception_fp_ieee_inexact 0
		.amdhsa_exception_int_div_zero 0
	.end_amdhsa_kernel
	.section	.text._ZN7rocprim17ROCPRIM_400000_NS6detail17trampoline_kernelINS0_14default_configENS1_35radix_sort_onesweep_config_selectorI12hip_bfloat16NS0_10empty_typeEEEZNS1_34radix_sort_onesweep_global_offsetsIS3_Lb0EPKS5_PS6_mNS0_19identity_decomposerEEE10hipError_tT1_T2_PT3_SG_jT4_jjP12ihipStream_tbEUlT_E0_NS1_11comp_targetILNS1_3genE8ELNS1_11target_archE1030ELNS1_3gpuE2ELNS1_3repE0EEENS1_52radix_sort_onesweep_histogram_config_static_selectorELNS0_4arch9wavefront6targetE0EEEvSE_,"axG",@progbits,_ZN7rocprim17ROCPRIM_400000_NS6detail17trampoline_kernelINS0_14default_configENS1_35radix_sort_onesweep_config_selectorI12hip_bfloat16NS0_10empty_typeEEEZNS1_34radix_sort_onesweep_global_offsetsIS3_Lb0EPKS5_PS6_mNS0_19identity_decomposerEEE10hipError_tT1_T2_PT3_SG_jT4_jjP12ihipStream_tbEUlT_E0_NS1_11comp_targetILNS1_3genE8ELNS1_11target_archE1030ELNS1_3gpuE2ELNS1_3repE0EEENS1_52radix_sort_onesweep_histogram_config_static_selectorELNS0_4arch9wavefront6targetE0EEEvSE_,comdat
.Lfunc_end2050:
	.size	_ZN7rocprim17ROCPRIM_400000_NS6detail17trampoline_kernelINS0_14default_configENS1_35radix_sort_onesweep_config_selectorI12hip_bfloat16NS0_10empty_typeEEEZNS1_34radix_sort_onesweep_global_offsetsIS3_Lb0EPKS5_PS6_mNS0_19identity_decomposerEEE10hipError_tT1_T2_PT3_SG_jT4_jjP12ihipStream_tbEUlT_E0_NS1_11comp_targetILNS1_3genE8ELNS1_11target_archE1030ELNS1_3gpuE2ELNS1_3repE0EEENS1_52radix_sort_onesweep_histogram_config_static_selectorELNS0_4arch9wavefront6targetE0EEEvSE_, .Lfunc_end2050-_ZN7rocprim17ROCPRIM_400000_NS6detail17trampoline_kernelINS0_14default_configENS1_35radix_sort_onesweep_config_selectorI12hip_bfloat16NS0_10empty_typeEEEZNS1_34radix_sort_onesweep_global_offsetsIS3_Lb0EPKS5_PS6_mNS0_19identity_decomposerEEE10hipError_tT1_T2_PT3_SG_jT4_jjP12ihipStream_tbEUlT_E0_NS1_11comp_targetILNS1_3genE8ELNS1_11target_archE1030ELNS1_3gpuE2ELNS1_3repE0EEENS1_52radix_sort_onesweep_histogram_config_static_selectorELNS0_4arch9wavefront6targetE0EEEvSE_
                                        ; -- End function
	.set _ZN7rocprim17ROCPRIM_400000_NS6detail17trampoline_kernelINS0_14default_configENS1_35radix_sort_onesweep_config_selectorI12hip_bfloat16NS0_10empty_typeEEEZNS1_34radix_sort_onesweep_global_offsetsIS3_Lb0EPKS5_PS6_mNS0_19identity_decomposerEEE10hipError_tT1_T2_PT3_SG_jT4_jjP12ihipStream_tbEUlT_E0_NS1_11comp_targetILNS1_3genE8ELNS1_11target_archE1030ELNS1_3gpuE2ELNS1_3repE0EEENS1_52radix_sort_onesweep_histogram_config_static_selectorELNS0_4arch9wavefront6targetE0EEEvSE_.num_vgpr, 0
	.set _ZN7rocprim17ROCPRIM_400000_NS6detail17trampoline_kernelINS0_14default_configENS1_35radix_sort_onesweep_config_selectorI12hip_bfloat16NS0_10empty_typeEEEZNS1_34radix_sort_onesweep_global_offsetsIS3_Lb0EPKS5_PS6_mNS0_19identity_decomposerEEE10hipError_tT1_T2_PT3_SG_jT4_jjP12ihipStream_tbEUlT_E0_NS1_11comp_targetILNS1_3genE8ELNS1_11target_archE1030ELNS1_3gpuE2ELNS1_3repE0EEENS1_52radix_sort_onesweep_histogram_config_static_selectorELNS0_4arch9wavefront6targetE0EEEvSE_.num_agpr, 0
	.set _ZN7rocprim17ROCPRIM_400000_NS6detail17trampoline_kernelINS0_14default_configENS1_35radix_sort_onesweep_config_selectorI12hip_bfloat16NS0_10empty_typeEEEZNS1_34radix_sort_onesweep_global_offsetsIS3_Lb0EPKS5_PS6_mNS0_19identity_decomposerEEE10hipError_tT1_T2_PT3_SG_jT4_jjP12ihipStream_tbEUlT_E0_NS1_11comp_targetILNS1_3genE8ELNS1_11target_archE1030ELNS1_3gpuE2ELNS1_3repE0EEENS1_52radix_sort_onesweep_histogram_config_static_selectorELNS0_4arch9wavefront6targetE0EEEvSE_.numbered_sgpr, 0
	.set _ZN7rocprim17ROCPRIM_400000_NS6detail17trampoline_kernelINS0_14default_configENS1_35radix_sort_onesweep_config_selectorI12hip_bfloat16NS0_10empty_typeEEEZNS1_34radix_sort_onesweep_global_offsetsIS3_Lb0EPKS5_PS6_mNS0_19identity_decomposerEEE10hipError_tT1_T2_PT3_SG_jT4_jjP12ihipStream_tbEUlT_E0_NS1_11comp_targetILNS1_3genE8ELNS1_11target_archE1030ELNS1_3gpuE2ELNS1_3repE0EEENS1_52radix_sort_onesweep_histogram_config_static_selectorELNS0_4arch9wavefront6targetE0EEEvSE_.num_named_barrier, 0
	.set _ZN7rocprim17ROCPRIM_400000_NS6detail17trampoline_kernelINS0_14default_configENS1_35radix_sort_onesweep_config_selectorI12hip_bfloat16NS0_10empty_typeEEEZNS1_34radix_sort_onesweep_global_offsetsIS3_Lb0EPKS5_PS6_mNS0_19identity_decomposerEEE10hipError_tT1_T2_PT3_SG_jT4_jjP12ihipStream_tbEUlT_E0_NS1_11comp_targetILNS1_3genE8ELNS1_11target_archE1030ELNS1_3gpuE2ELNS1_3repE0EEENS1_52radix_sort_onesweep_histogram_config_static_selectorELNS0_4arch9wavefront6targetE0EEEvSE_.private_seg_size, 0
	.set _ZN7rocprim17ROCPRIM_400000_NS6detail17trampoline_kernelINS0_14default_configENS1_35radix_sort_onesweep_config_selectorI12hip_bfloat16NS0_10empty_typeEEEZNS1_34radix_sort_onesweep_global_offsetsIS3_Lb0EPKS5_PS6_mNS0_19identity_decomposerEEE10hipError_tT1_T2_PT3_SG_jT4_jjP12ihipStream_tbEUlT_E0_NS1_11comp_targetILNS1_3genE8ELNS1_11target_archE1030ELNS1_3gpuE2ELNS1_3repE0EEENS1_52radix_sort_onesweep_histogram_config_static_selectorELNS0_4arch9wavefront6targetE0EEEvSE_.uses_vcc, 0
	.set _ZN7rocprim17ROCPRIM_400000_NS6detail17trampoline_kernelINS0_14default_configENS1_35radix_sort_onesweep_config_selectorI12hip_bfloat16NS0_10empty_typeEEEZNS1_34radix_sort_onesweep_global_offsetsIS3_Lb0EPKS5_PS6_mNS0_19identity_decomposerEEE10hipError_tT1_T2_PT3_SG_jT4_jjP12ihipStream_tbEUlT_E0_NS1_11comp_targetILNS1_3genE8ELNS1_11target_archE1030ELNS1_3gpuE2ELNS1_3repE0EEENS1_52radix_sort_onesweep_histogram_config_static_selectorELNS0_4arch9wavefront6targetE0EEEvSE_.uses_flat_scratch, 0
	.set _ZN7rocprim17ROCPRIM_400000_NS6detail17trampoline_kernelINS0_14default_configENS1_35radix_sort_onesweep_config_selectorI12hip_bfloat16NS0_10empty_typeEEEZNS1_34radix_sort_onesweep_global_offsetsIS3_Lb0EPKS5_PS6_mNS0_19identity_decomposerEEE10hipError_tT1_T2_PT3_SG_jT4_jjP12ihipStream_tbEUlT_E0_NS1_11comp_targetILNS1_3genE8ELNS1_11target_archE1030ELNS1_3gpuE2ELNS1_3repE0EEENS1_52radix_sort_onesweep_histogram_config_static_selectorELNS0_4arch9wavefront6targetE0EEEvSE_.has_dyn_sized_stack, 0
	.set _ZN7rocprim17ROCPRIM_400000_NS6detail17trampoline_kernelINS0_14default_configENS1_35radix_sort_onesweep_config_selectorI12hip_bfloat16NS0_10empty_typeEEEZNS1_34radix_sort_onesweep_global_offsetsIS3_Lb0EPKS5_PS6_mNS0_19identity_decomposerEEE10hipError_tT1_T2_PT3_SG_jT4_jjP12ihipStream_tbEUlT_E0_NS1_11comp_targetILNS1_3genE8ELNS1_11target_archE1030ELNS1_3gpuE2ELNS1_3repE0EEENS1_52radix_sort_onesweep_histogram_config_static_selectorELNS0_4arch9wavefront6targetE0EEEvSE_.has_recursion, 0
	.set _ZN7rocprim17ROCPRIM_400000_NS6detail17trampoline_kernelINS0_14default_configENS1_35radix_sort_onesweep_config_selectorI12hip_bfloat16NS0_10empty_typeEEEZNS1_34radix_sort_onesweep_global_offsetsIS3_Lb0EPKS5_PS6_mNS0_19identity_decomposerEEE10hipError_tT1_T2_PT3_SG_jT4_jjP12ihipStream_tbEUlT_E0_NS1_11comp_targetILNS1_3genE8ELNS1_11target_archE1030ELNS1_3gpuE2ELNS1_3repE0EEENS1_52radix_sort_onesweep_histogram_config_static_selectorELNS0_4arch9wavefront6targetE0EEEvSE_.has_indirect_call, 0
	.section	.AMDGPU.csdata,"",@progbits
; Kernel info:
; codeLenInByte = 0
; TotalNumSgprs: 0
; NumVgprs: 0
; ScratchSize: 0
; MemoryBound: 0
; FloatMode: 240
; IeeeMode: 1
; LDSByteSize: 0 bytes/workgroup (compile time only)
; SGPRBlocks: 0
; VGPRBlocks: 0
; NumSGPRsForWavesPerEU: 1
; NumVGPRsForWavesPerEU: 1
; NamedBarCnt: 0
; Occupancy: 16
; WaveLimiterHint : 0
; COMPUTE_PGM_RSRC2:SCRATCH_EN: 0
; COMPUTE_PGM_RSRC2:USER_SGPR: 2
; COMPUTE_PGM_RSRC2:TRAP_HANDLER: 0
; COMPUTE_PGM_RSRC2:TGID_X_EN: 1
; COMPUTE_PGM_RSRC2:TGID_Y_EN: 0
; COMPUTE_PGM_RSRC2:TGID_Z_EN: 0
; COMPUTE_PGM_RSRC2:TIDIG_COMP_CNT: 0
	.section	.text._ZN7rocprim17ROCPRIM_400000_NS6detail17trampoline_kernelINS0_14default_configENS1_35radix_sort_onesweep_config_selectorI12hip_bfloat16NS0_10empty_typeEEEZZNS1_29radix_sort_onesweep_iterationIS3_Lb0EPKS5_PS5_PS6_SC_mNS0_19identity_decomposerENS1_16block_id_wrapperIjLb1EEEEE10hipError_tT1_PNSt15iterator_traitsISH_E10value_typeET2_T3_PNSI_ISN_E10value_typeET4_T5_PSS_ST_PNS1_23onesweep_lookback_stateEbbT6_jjT7_P12ihipStream_tbENKUlT_T0_SH_SM_E_clISA_SB_SC_SC_EEDaS10_S11_SH_SM_EUlS10_E_NS1_11comp_targetILNS1_3genE0ELNS1_11target_archE4294967295ELNS1_3gpuE0ELNS1_3repE0EEENS1_47radix_sort_onesweep_sort_config_static_selectorELNS0_4arch9wavefront6targetE0EEEvSH_,"axG",@progbits,_ZN7rocprim17ROCPRIM_400000_NS6detail17trampoline_kernelINS0_14default_configENS1_35radix_sort_onesweep_config_selectorI12hip_bfloat16NS0_10empty_typeEEEZZNS1_29radix_sort_onesweep_iterationIS3_Lb0EPKS5_PS5_PS6_SC_mNS0_19identity_decomposerENS1_16block_id_wrapperIjLb1EEEEE10hipError_tT1_PNSt15iterator_traitsISH_E10value_typeET2_T3_PNSI_ISN_E10value_typeET4_T5_PSS_ST_PNS1_23onesweep_lookback_stateEbbT6_jjT7_P12ihipStream_tbENKUlT_T0_SH_SM_E_clISA_SB_SC_SC_EEDaS10_S11_SH_SM_EUlS10_E_NS1_11comp_targetILNS1_3genE0ELNS1_11target_archE4294967295ELNS1_3gpuE0ELNS1_3repE0EEENS1_47radix_sort_onesweep_sort_config_static_selectorELNS0_4arch9wavefront6targetE0EEEvSH_,comdat
	.protected	_ZN7rocprim17ROCPRIM_400000_NS6detail17trampoline_kernelINS0_14default_configENS1_35radix_sort_onesweep_config_selectorI12hip_bfloat16NS0_10empty_typeEEEZZNS1_29radix_sort_onesweep_iterationIS3_Lb0EPKS5_PS5_PS6_SC_mNS0_19identity_decomposerENS1_16block_id_wrapperIjLb1EEEEE10hipError_tT1_PNSt15iterator_traitsISH_E10value_typeET2_T3_PNSI_ISN_E10value_typeET4_T5_PSS_ST_PNS1_23onesweep_lookback_stateEbbT6_jjT7_P12ihipStream_tbENKUlT_T0_SH_SM_E_clISA_SB_SC_SC_EEDaS10_S11_SH_SM_EUlS10_E_NS1_11comp_targetILNS1_3genE0ELNS1_11target_archE4294967295ELNS1_3gpuE0ELNS1_3repE0EEENS1_47radix_sort_onesweep_sort_config_static_selectorELNS0_4arch9wavefront6targetE0EEEvSH_ ; -- Begin function _ZN7rocprim17ROCPRIM_400000_NS6detail17trampoline_kernelINS0_14default_configENS1_35radix_sort_onesweep_config_selectorI12hip_bfloat16NS0_10empty_typeEEEZZNS1_29radix_sort_onesweep_iterationIS3_Lb0EPKS5_PS5_PS6_SC_mNS0_19identity_decomposerENS1_16block_id_wrapperIjLb1EEEEE10hipError_tT1_PNSt15iterator_traitsISH_E10value_typeET2_T3_PNSI_ISN_E10value_typeET4_T5_PSS_ST_PNS1_23onesweep_lookback_stateEbbT6_jjT7_P12ihipStream_tbENKUlT_T0_SH_SM_E_clISA_SB_SC_SC_EEDaS10_S11_SH_SM_EUlS10_E_NS1_11comp_targetILNS1_3genE0ELNS1_11target_archE4294967295ELNS1_3gpuE0ELNS1_3repE0EEENS1_47radix_sort_onesweep_sort_config_static_selectorELNS0_4arch9wavefront6targetE0EEEvSH_
	.globl	_ZN7rocprim17ROCPRIM_400000_NS6detail17trampoline_kernelINS0_14default_configENS1_35radix_sort_onesweep_config_selectorI12hip_bfloat16NS0_10empty_typeEEEZZNS1_29radix_sort_onesweep_iterationIS3_Lb0EPKS5_PS5_PS6_SC_mNS0_19identity_decomposerENS1_16block_id_wrapperIjLb1EEEEE10hipError_tT1_PNSt15iterator_traitsISH_E10value_typeET2_T3_PNSI_ISN_E10value_typeET4_T5_PSS_ST_PNS1_23onesweep_lookback_stateEbbT6_jjT7_P12ihipStream_tbENKUlT_T0_SH_SM_E_clISA_SB_SC_SC_EEDaS10_S11_SH_SM_EUlS10_E_NS1_11comp_targetILNS1_3genE0ELNS1_11target_archE4294967295ELNS1_3gpuE0ELNS1_3repE0EEENS1_47radix_sort_onesweep_sort_config_static_selectorELNS0_4arch9wavefront6targetE0EEEvSH_
	.p2align	8
	.type	_ZN7rocprim17ROCPRIM_400000_NS6detail17trampoline_kernelINS0_14default_configENS1_35radix_sort_onesweep_config_selectorI12hip_bfloat16NS0_10empty_typeEEEZZNS1_29radix_sort_onesweep_iterationIS3_Lb0EPKS5_PS5_PS6_SC_mNS0_19identity_decomposerENS1_16block_id_wrapperIjLb1EEEEE10hipError_tT1_PNSt15iterator_traitsISH_E10value_typeET2_T3_PNSI_ISN_E10value_typeET4_T5_PSS_ST_PNS1_23onesweep_lookback_stateEbbT6_jjT7_P12ihipStream_tbENKUlT_T0_SH_SM_E_clISA_SB_SC_SC_EEDaS10_S11_SH_SM_EUlS10_E_NS1_11comp_targetILNS1_3genE0ELNS1_11target_archE4294967295ELNS1_3gpuE0ELNS1_3repE0EEENS1_47radix_sort_onesweep_sort_config_static_selectorELNS0_4arch9wavefront6targetE0EEEvSH_,@function
_ZN7rocprim17ROCPRIM_400000_NS6detail17trampoline_kernelINS0_14default_configENS1_35radix_sort_onesweep_config_selectorI12hip_bfloat16NS0_10empty_typeEEEZZNS1_29radix_sort_onesweep_iterationIS3_Lb0EPKS5_PS5_PS6_SC_mNS0_19identity_decomposerENS1_16block_id_wrapperIjLb1EEEEE10hipError_tT1_PNSt15iterator_traitsISH_E10value_typeET2_T3_PNSI_ISN_E10value_typeET4_T5_PSS_ST_PNS1_23onesweep_lookback_stateEbbT6_jjT7_P12ihipStream_tbENKUlT_T0_SH_SM_E_clISA_SB_SC_SC_EEDaS10_S11_SH_SM_EUlS10_E_NS1_11comp_targetILNS1_3genE0ELNS1_11target_archE4294967295ELNS1_3gpuE0ELNS1_3repE0EEENS1_47radix_sort_onesweep_sort_config_static_selectorELNS0_4arch9wavefront6targetE0EEEvSH_: ; @_ZN7rocprim17ROCPRIM_400000_NS6detail17trampoline_kernelINS0_14default_configENS1_35radix_sort_onesweep_config_selectorI12hip_bfloat16NS0_10empty_typeEEEZZNS1_29radix_sort_onesweep_iterationIS3_Lb0EPKS5_PS5_PS6_SC_mNS0_19identity_decomposerENS1_16block_id_wrapperIjLb1EEEEE10hipError_tT1_PNSt15iterator_traitsISH_E10value_typeET2_T3_PNSI_ISN_E10value_typeET4_T5_PSS_ST_PNS1_23onesweep_lookback_stateEbbT6_jjT7_P12ihipStream_tbENKUlT_T0_SH_SM_E_clISA_SB_SC_SC_EEDaS10_S11_SH_SM_EUlS10_E_NS1_11comp_targetILNS1_3genE0ELNS1_11target_archE4294967295ELNS1_3gpuE0ELNS1_3repE0EEENS1_47radix_sort_onesweep_sort_config_static_selectorELNS0_4arch9wavefront6targetE0EEEvSH_
; %bb.0:
	s_clause 0x1
	s_load_b128 s[12:15], s[0:1], 0x28
	s_load_b64 s[10:11], s[0:1], 0x38
	v_and_b32_e32 v14, 0x3ff, v0
	s_delay_alu instid0(VALU_DEP_1)
	v_cmp_eq_u32_e64 s2, 0, v14
	s_and_saveexec_b32 s3, s2
	s_cbranch_execz .LBB2051_4
; %bb.1:
	s_mov_b32 s5, exec_lo
	s_mov_b32 s4, exec_lo
	v_mbcnt_lo_u32_b32 v1, s5, 0
                                        ; implicit-def: $vgpr2
	s_delay_alu instid0(VALU_DEP_1)
	v_cmpx_eq_u32_e32 0, v1
	s_cbranch_execz .LBB2051_3
; %bb.2:
	s_load_b64 s[6:7], s[0:1], 0x50
	s_bcnt1_i32_b32 s5, s5
	s_delay_alu instid0(SALU_CYCLE_1)
	v_dual_mov_b32 v2, 0 :: v_dual_mov_b32 v3, s5
	s_wait_xcnt 0x0
	s_wait_kmcnt 0x0
	global_atomic_add_u32 v2, v2, v3, s[6:7] th:TH_ATOMIC_RETURN scope:SCOPE_DEV
.LBB2051_3:
	s_wait_xcnt 0x0
	s_or_b32 exec_lo, exec_lo, s4
	s_wait_loadcnt 0x0
	v_readfirstlane_b32 s4, v2
	s_delay_alu instid0(VALU_DEP_1)
	v_dual_mov_b32 v2, 0 :: v_dual_add_nc_u32 v1, s4, v1
	ds_store_b32 v2, v1 offset:18496
.LBB2051_4:
	s_or_b32 exec_lo, exec_lo, s3
	v_mov_b32_e32 v3, 0
	s_clause 0x2
	s_load_b128 s[16:19], s[0:1], 0x0
	s_load_b32 s3, s[0:1], 0x20
	s_load_b96 s[20:22], s[0:1], 0x44
	s_wait_dscnt 0x0
	s_barrier_signal -1
	s_barrier_wait -1
	ds_load_b32 v1, v3 offset:18496
	v_mbcnt_lo_u32_b32 v15, -1, 0
	v_and_b32_e32 v16, 0x3e0, v14
	s_mov_b32 s4, -1
	s_add_nc_u64 s[26:27], s[0:1], 0x58
	s_getreg_b32 s28, hwreg(HW_REG_IB_STS2, 6, 4)
	s_wait_dscnt 0x0
	s_barrier_signal -1
	s_barrier_wait -1
	s_wait_kmcnt 0x0
	v_cmp_le_u32_e32 vcc_lo, s22, v1
	v_readfirstlane_b32 s23, v1
	s_mul_i32 s24, s23, 0x1800
	s_cbranch_vccz .LBB2051_100
; %bb.5:
	s_mov_b32 s25, 0
	v_mul_u32_u24_e32 v1, 12, v16
	v_lshlrev_b32_e32 v2, 1, v15
	s_lshl_b64 s[4:5], s[24:25], 1
	s_mulk_i32 s22, 0xe800
	s_add_nc_u64 s[4:5], s[16:17], s[4:5]
	v_or_b32_e32 v10, v15, v1
	v_add_nc_u64_e32 v[4:5], s[4:5], v[2:3]
	v_dual_mov_b32 v11, 0x7fff :: v_dual_lshlrev_b32 v2, 1, v1
	v_mov_b32_e32 v1, 0x7fff
	s_add_co_i32 s22, s22, s3
	s_mov_b32 s3, exec_lo
	s_delay_alu instid0(VALU_DEP_2)
	v_add_nc_u64_e32 v[2:3], v[4:5], v[2:3]
	v_cmpx_gt_u32_e64 s22, v10
	s_cbranch_execz .LBB2051_7
; %bb.6:
	global_load_u16 v1, v[2:3], off
.LBB2051_7:
	s_wait_xcnt 0x0
	s_or_b32 exec_lo, exec_lo, s3
	v_or_b32_e32 v4, 32, v10
	s_mov_b32 s3, exec_lo
	s_delay_alu instid0(VALU_DEP_1)
	v_cmpx_gt_u32_e64 s22, v4
	s_cbranch_execz .LBB2051_9
; %bb.8:
	global_load_u16 v11, v[2:3], off offset:64
.LBB2051_9:
	s_wait_xcnt 0x0
	s_or_b32 exec_lo, exec_lo, s3
	v_or_b32_e32 v4, 64, v10
	v_mov_b32_e32 v21, 0x7fff
	v_mov_b32_e32 v17, 0x7fff
	s_mov_b32 s3, exec_lo
	s_delay_alu instid0(VALU_DEP_3)
	v_cmpx_gt_u32_e64 s22, v4
	s_cbranch_execz .LBB2051_11
; %bb.10:
	global_load_u16 v17, v[2:3], off offset:128
.LBB2051_11:
	s_wait_xcnt 0x0
	s_or_b32 exec_lo, exec_lo, s3
	v_or_b32_e32 v4, 0x60, v10
	s_mov_b32 s3, exec_lo
	s_delay_alu instid0(VALU_DEP_1)
	v_cmpx_gt_u32_e64 s22, v4
	s_cbranch_execz .LBB2051_13
; %bb.12:
	global_load_u16 v21, v[2:3], off offset:192
.LBB2051_13:
	s_wait_xcnt 0x0
	s_or_b32 exec_lo, exec_lo, s3
	v_add_nc_u32_e32 v4, 0x80, v10
	v_dual_mov_b32 v30, 0x7fff :: v_dual_mov_b32 v25, 0x7fff
	s_mov_b32 s3, exec_lo
	s_delay_alu instid0(VALU_DEP_2)
	v_cmpx_gt_u32_e64 s22, v4
	s_cbranch_execz .LBB2051_15
; %bb.14:
	global_load_u16 v25, v[2:3], off offset:256
.LBB2051_15:
	s_wait_xcnt 0x0
	s_or_b32 exec_lo, exec_lo, s3
	v_add_nc_u32_e32 v4, 0xa0, v10
	s_mov_b32 s3, exec_lo
	s_delay_alu instid0(VALU_DEP_1)
	v_cmpx_gt_u32_e64 s22, v4
	s_cbranch_execz .LBB2051_17
; %bb.16:
	global_load_u16 v30, v[2:3], off offset:320
.LBB2051_17:
	s_wait_xcnt 0x0
	s_or_b32 exec_lo, exec_lo, s3
	v_add_nc_u32_e32 v4, 0xc0, v10
	v_dual_mov_b32 v8, 0x7fff :: v_dual_mov_b32 v9, 0x7fff
	s_mov_b32 s3, exec_lo
	s_delay_alu instid0(VALU_DEP_2)
	v_cmpx_gt_u32_e64 s22, v4
	s_cbranch_execz .LBB2051_19
; %bb.18:
	global_load_u16 v9, v[2:3], off offset:384
.LBB2051_19:
	s_wait_xcnt 0x0
	s_or_b32 exec_lo, exec_lo, s3
	v_add_nc_u32_e32 v4, 0xe0, v10
	;; [unrolled: 21-line block ×3, first 2 shown]
	s_mov_b32 s3, exec_lo
	s_delay_alu instid0(VALU_DEP_1)
	v_cmpx_gt_u32_e64 s22, v4
	s_cbranch_execz .LBB2051_25
; %bb.24:
	global_load_u16 v6, v[2:3], off offset:576
.LBB2051_25:
	s_wait_xcnt 0x0
	s_or_b32 exec_lo, exec_lo, s3
	v_add_nc_u32_e32 v5, 0x140, v10
	v_mov_b32_e32 v4, 0x7fff
	s_delay_alu instid0(VALU_DEP_2)
	v_cmp_gt_u32_e32 vcc_lo, s22, v5
	v_mov_b32_e32 v5, 0x7fff
	s_and_saveexec_b32 s3, vcc_lo
	s_cbranch_execz .LBB2051_27
; %bb.26:
	global_load_u16 v5, v[2:3], off offset:640
.LBB2051_27:
	s_wait_xcnt 0x0
	s_or_b32 exec_lo, exec_lo, s3
	v_add_nc_u32_e32 v10, 0x160, v10
	s_mov_b32 s3, exec_lo
	s_delay_alu instid0(VALU_DEP_1)
	v_cmpx_gt_u32_e64 s22, v10
	s_cbranch_execz .LBB2051_29
; %bb.28:
	global_load_u16 v4, v[2:3], off offset:704
.LBB2051_29:
	s_wait_xcnt 0x0
	s_or_b32 exec_lo, exec_lo, s3
	s_wait_loadcnt 0x0
	v_cmp_lt_i16_e32 vcc_lo, -1, v1
	s_clause 0x1
	s_load_b32 s25, s[0:1], 0x58
	s_load_u16 s3, s[0:1], 0x66
	s_bfe_u32 s4, ttmp6, 0x4000c
	s_and_b32 s5, ttmp6, 15
	s_add_co_i32 s4, s4, 1
	v_cndmask_b32_e64 v2, -1, 0xffff8000, vcc_lo
	s_mul_i32 s4, ttmp9, s4
	v_bfe_u32 v3, v0, 10, 10
	s_add_co_i32 s5, s5, s4
	s_cmp_eq_u32 s28, 0
	v_xor_b32_e32 v1, v2, v1
	s_cselect_b32 s4, ttmp9, s5
	v_bfe_u32 v10, v0, 20, 10
	s_mov_b32 s5, 0
	s_delay_alu instid0(VALU_DEP_2)
	v_cmp_ne_u16_e32 vcc_lo, 0x7fff, v1
	s_wait_kmcnt 0x0
	s_cmp_lt_u32 s4, s25
	v_cndmask_b32_e32 v2, 0xffff8000, v1, vcc_lo
	s_cselect_b32 s4, 12, 18
	s_lshl_b32 s6, -1, s21
	v_mad_u32_u24 v3, v10, s3, v3
	s_add_nc_u64 s[4:5], s[26:27], s[4:5]
	v_and_b32_e32 v2, 0xffff, v2
	s_load_u16 s7, s[4:5], 0x0
	s_not_b32 s29, s6
	s_delay_alu instid0(VALU_DEP_1) | instskip(NEXT) | instid1(VALU_DEP_1)
	v_lshrrev_b32_e32 v2, s20, v2
	v_bitop3_b32 v10, v2, 1, s6 bitop3:0x40
	v_bitop3_b32 v13, v2, s6, v2 bitop3:0x30
	s_delay_alu instid0(VALU_DEP_2) | instskip(NEXT) | instid1(VALU_DEP_1)
	v_add_co_u32 v2, s3, v10, -1
	v_cndmask_b32_e64 v10, 0, 1, s3
	s_delay_alu instid0(VALU_DEP_3) | instskip(SKIP_1) | instid1(VALU_DEP_3)
	v_dual_lshlrev_b32 v12, 30, v13 :: v_dual_lshlrev_b32 v18, 29, v13
	v_dual_lshlrev_b32 v19, 28, v13 :: v_dual_lshlrev_b32 v20, 27, v13
	v_cmp_ne_u32_e32 vcc_lo, 0, v10
	s_delay_alu instid0(VALU_DEP_3)
	v_not_b32_e32 v10, v12
	v_cmp_gt_i32_e64 s3, 0, v12
	s_wait_xcnt 0x0
	v_cmp_gt_i32_e64 s4, 0, v18
	v_not_b32_e32 v12, v18
	v_not_b32_e32 v18, v19
	v_ashrrev_i32_e32 v10, 31, v10
	v_cmp_gt_i32_e64 s5, 0, v19
	v_dual_lshlrev_b32 v19, 26, v13 :: v_dual_bitop2_b32 v2, vcc_lo, v2 bitop3:0x14
	s_delay_alu instid0(VALU_DEP_4) | instskip(NEXT) | instid1(VALU_DEP_4)
	v_dual_ashrrev_i32 v12, 31, v12 :: v_dual_ashrrev_i32 v18, 31, v18
	v_xor_b32_e32 v10, s3, v10
	v_not_b32_e32 v22, v20
	v_cmp_gt_i32_e32 vcc_lo, 0, v20
	s_delay_alu instid0(VALU_DEP_4)
	v_xor_b32_e32 v12, s4, v12
	v_xor_b32_e32 v18, s5, v18
	v_cmp_gt_i32_e64 s3, 0, v19
	v_dual_ashrrev_i32 v20, 31, v22 :: v_dual_lshlrev_b32 v22, 25, v13
	v_bitop3_b32 v2, v2, v10, exec_lo bitop3:0x80
	v_not_b32_e32 v10, v19
	v_lshlrev_b32_e32 v19, 24, v13
	s_delay_alu instid0(VALU_DEP_3) | instskip(NEXT) | instid1(VALU_DEP_3)
	v_bitop3_b32 v2, v2, v18, v12 bitop3:0x80
	v_dual_ashrrev_i32 v10, 31, v10 :: v_dual_bitop2_b32 v18, vcc_lo, v20 bitop3:0x14
	v_not_b32_e32 v12, v22
	s_delay_alu instid0(VALU_DEP_4) | instskip(SKIP_1) | instid1(VALU_DEP_4)
	v_not_b32_e32 v20, v19
	v_cmp_gt_i32_e32 vcc_lo, 0, v22
	v_xor_b32_e32 v10, s3, v10
	v_cmp_gt_i32_e64 s3, 0, v19
	v_ashrrev_i32_e32 v22, 31, v12
	v_ashrrev_i32_e32 v19, 31, v20
	s_wait_kmcnt 0x0
	v_mad_u32 v20, v3, s7, v14
	v_bitop3_b32 v2, v2, v10, v18 bitop3:0x80
	v_mul_u32_u24_e32 v12, 36, v14
	v_xor_b32_e32 v3, vcc_lo, v22
	v_dual_mov_b32 v18, 0 :: v_dual_bitop2_b32 v10, s3, v19 bitop3:0x14
	ds_store_2addr_b32 v12, v18, v18 offset0:16 offset1:17
	ds_store_2addr_b32 v12, v18, v18 offset0:18 offset1:19
	;; [unrolled: 1-line block ×4, first 2 shown]
	v_bitop3_b32 v3, v2, v10, v3 bitop3:0x80
	v_lshrrev_b32_e32 v2, 5, v20
	ds_store_b32 v12, v18 offset:96
	s_wait_dscnt 0x0
	s_barrier_signal -1
	v_mbcnt_lo_u32_b32 v10, v3, 0
	v_lshlrev_b32_e32 v2, 2, v2
	v_cmp_ne_u32_e64 s3, 0, v3
	s_barrier_wait -1
	s_delay_alu instid0(VALU_DEP_3) | instskip(NEXT) | instid1(VALU_DEP_3)
	v_cmp_eq_u32_e32 vcc_lo, 0, v10
	v_mad_u32_u24 v13, 0x44, v13, v2
	; wave barrier
	s_and_b32 s4, s3, vcc_lo
	s_delay_alu instid0(SALU_CYCLE_1)
	s_and_saveexec_b32 s3, s4
; %bb.30:
	v_bcnt_u32_b32 v3, v3, 0
	ds_store_b32 v13, v3 offset:64
; %bb.31:
	s_or_b32 exec_lo, exec_lo, s3
	v_cmp_lt_i16_e32 vcc_lo, -1, v11
	; wave barrier
	v_cndmask_b32_e64 v3, -1, 0xffff8000, vcc_lo
	s_delay_alu instid0(VALU_DEP_1) | instskip(NEXT) | instid1(VALU_DEP_1)
	v_xor_b32_e32 v11, v3, v11
	v_cmp_ne_u16_e32 vcc_lo, 0x7fff, v11
	v_cndmask_b32_e32 v3, 0xffff8000, v11, vcc_lo
	s_delay_alu instid0(VALU_DEP_1) | instskip(NEXT) | instid1(VALU_DEP_1)
	v_and_b32_e32 v3, 0xffff, v3
	v_lshrrev_b32_e32 v3, s20, v3
	s_delay_alu instid0(VALU_DEP_1) | instskip(NEXT) | instid1(VALU_DEP_1)
	v_bitop3_b32 v18, v3, 1, s29 bitop3:0x80
	v_add_co_u32 v18, s3, v18, -1
	s_delay_alu instid0(VALU_DEP_1) | instskip(NEXT) | instid1(VALU_DEP_1)
	v_cndmask_b32_e64 v19, 0, 1, s3
	v_cmp_ne_u32_e32 vcc_lo, 0, v19
	s_delay_alu instid0(VALU_DEP_3) | instskip(SKIP_1) | instid1(VALU_DEP_1)
	v_xor_b32_e32 v18, vcc_lo, v18
	v_and_b32_e32 v3, s29, v3
	v_dual_lshlrev_b32 v20, 30, v3 :: v_dual_lshlrev_b32 v22, 29, v3
	v_dual_lshlrev_b32 v23, 28, v3 :: v_dual_lshlrev_b32 v24, 27, v3
	v_lshlrev_b32_e32 v26, 26, v3
	s_delay_alu instid0(VALU_DEP_3)
	v_cmp_gt_i32_e64 s3, 0, v20
	v_not_b32_e32 v19, v20
	v_cmp_gt_i32_e64 s4, 0, v22
	v_not_b32_e32 v20, v22
	v_not_b32_e32 v22, v23
	v_cmp_gt_i32_e64 s5, 0, v23
	v_cmp_gt_i32_e64 s6, 0, v24
	v_not_b32_e32 v23, v24
	v_not_b32_e32 v24, v26
	v_dual_ashrrev_i32 v22, 31, v22 :: v_dual_ashrrev_i32 v19, 31, v19
	v_ashrrev_i32_e32 v20, 31, v20
	s_delay_alu instid0(VALU_DEP_3) | instskip(NEXT) | instid1(VALU_DEP_2)
	v_dual_ashrrev_i32 v24, 31, v24 :: v_dual_lshlrev_b32 v27, 25, v3
	v_dual_lshlrev_b32 v28, 24, v3 :: v_dual_bitop2_b32 v20, s4, v20 bitop3:0x14
	s_delay_alu instid0(VALU_DEP_4)
	v_xor_b32_e32 v22, s5, v22
	v_xor_b32_e32 v19, s3, v19
	v_cmp_gt_i32_e64 s7, 0, v26
	v_cmp_gt_i32_e64 s8, 0, v27
	v_not_b32_e32 v26, v27
	v_not_b32_e32 v27, v28
	v_ashrrev_i32_e32 v23, 31, v23
	v_bitop3_b32 v18, v18, v19, exec_lo bitop3:0x80
	v_cmp_gt_i32_e64 s9, 0, v28
	s_delay_alu instid0(VALU_DEP_4)
	v_dual_ashrrev_i32 v19, 31, v26 :: v_dual_ashrrev_i32 v26, 31, v27
	v_xor_b32_e32 v24, s7, v24
	v_xor_b32_e32 v23, s6, v23
	v_bitop3_b32 v18, v18, v22, v20 bitop3:0x80
	v_mad_u32_u24 v20, 0x44, v3, v2
	v_xor_b32_e32 v3, s8, v19
	v_xor_b32_e32 v19, s9, v26
	s_delay_alu instid0(VALU_DEP_4) | instskip(SKIP_2) | instid1(VALU_DEP_1)
	v_bitop3_b32 v22, v18, v24, v23 bitop3:0x80
	ds_load_b32 v18, v20 offset:64
	; wave barrier
	v_bitop3_b32 v3, v22, v19, v3 bitop3:0x80
	v_mbcnt_lo_u32_b32 v19, v3, 0
	v_cmp_ne_u32_e64 s3, 0, v3
	s_delay_alu instid0(VALU_DEP_2) | instskip(SKIP_1) | instid1(SALU_CYCLE_1)
	v_cmp_eq_u32_e32 vcc_lo, 0, v19
	s_and_b32 s4, s3, vcc_lo
	s_and_saveexec_b32 s3, s4
	s_cbranch_execz .LBB2051_33
; %bb.32:
	s_wait_dscnt 0x0
	v_bcnt_u32_b32 v3, v3, v18
	ds_store_b32 v20, v3 offset:64
.LBB2051_33:
	s_or_b32 exec_lo, exec_lo, s3
	v_cmp_lt_i16_e32 vcc_lo, -1, v17
	; wave barrier
	v_cndmask_b32_e64 v3, -1, 0xffff8000, vcc_lo
	s_delay_alu instid0(VALU_DEP_1) | instskip(NEXT) | instid1(VALU_DEP_1)
	v_xor_b32_e32 v17, v3, v17
	v_cmp_ne_u16_e32 vcc_lo, 0x7fff, v17
	v_cndmask_b32_e32 v3, 0xffff8000, v17, vcc_lo
	s_delay_alu instid0(VALU_DEP_1) | instskip(NEXT) | instid1(VALU_DEP_1)
	v_and_b32_e32 v3, 0xffff, v3
	v_lshrrev_b32_e32 v3, s20, v3
	s_delay_alu instid0(VALU_DEP_1) | instskip(SKIP_1) | instid1(VALU_DEP_2)
	v_bitop3_b32 v22, v3, 1, s29 bitop3:0x80
	v_and_b32_e32 v3, s29, v3
	v_add_co_u32 v22, s3, v22, -1
	s_delay_alu instid0(VALU_DEP_1) | instskip(NEXT) | instid1(VALU_DEP_3)
	v_cndmask_b32_e64 v23, 0, 1, s3
	v_dual_lshlrev_b32 v24, 30, v3 :: v_dual_lshlrev_b32 v26, 29, v3
	v_lshlrev_b32_e32 v27, 28, v3
	s_delay_alu instid0(VALU_DEP_3) | instskip(NEXT) | instid1(VALU_DEP_3)
	v_cmp_ne_u32_e32 vcc_lo, 0, v23
	v_cmp_gt_i32_e64 s3, 0, v24
	v_not_b32_e32 v23, v24
	v_cmp_gt_i32_e64 s4, 0, v26
	v_not_b32_e32 v24, v26
	v_not_b32_e32 v26, v27
	s_delay_alu instid0(VALU_DEP_2) | instskip(NEXT) | instid1(VALU_DEP_2)
	v_dual_ashrrev_i32 v24, 31, v24 :: v_dual_bitop2_b32 v22, vcc_lo, v22 bitop3:0x14
	v_dual_ashrrev_i32 v26, 31, v26 :: v_dual_lshlrev_b32 v28, 27, v3
	v_dual_lshlrev_b32 v29, 26, v3 :: v_dual_lshlrev_b32 v31, 25, v3
	v_cmp_gt_i32_e64 s5, 0, v27
	v_lshlrev_b32_e32 v32, 24, v3
	s_delay_alu instid0(VALU_DEP_4)
	v_cmp_gt_i32_e64 s6, 0, v28
	v_not_b32_e32 v27, v28
	v_not_b32_e32 v28, v29
	v_ashrrev_i32_e32 v23, 31, v23
	v_cmp_gt_i32_e64 s7, 0, v29
	v_cmp_gt_i32_e64 s8, 0, v31
	v_not_b32_e32 v29, v31
	s_delay_alu instid0(VALU_DEP_4) | instskip(SKIP_3) | instid1(VALU_DEP_4)
	v_dual_ashrrev_i32 v28, 31, v28 :: v_dual_bitop2_b32 v23, s3, v23 bitop3:0x14
	v_not_b32_e32 v31, v32
	v_dual_ashrrev_i32 v27, 31, v27 :: v_dual_bitop2_b32 v24, s4, v24 bitop3:0x14
	v_xor_b32_e32 v26, s5, v26
	v_bitop3_b32 v22, v22, v23, exec_lo bitop3:0x80
	v_cmp_gt_i32_e64 s9, 0, v32
	v_dual_ashrrev_i32 v23, 31, v29 :: v_dual_ashrrev_i32 v29, 31, v31
	v_xor_b32_e32 v28, s7, v28
	v_xor_b32_e32 v27, s6, v27
	v_bitop3_b32 v22, v22, v26, v24 bitop3:0x80
	v_mad_u32_u24 v24, 0x44, v3, v2
	v_xor_b32_e32 v3, s8, v23
	v_xor_b32_e32 v23, s9, v29
	s_delay_alu instid0(VALU_DEP_4) | instskip(SKIP_2) | instid1(VALU_DEP_1)
	v_bitop3_b32 v26, v22, v28, v27 bitop3:0x80
	ds_load_b32 v22, v24 offset:64
	; wave barrier
	v_bitop3_b32 v3, v26, v23, v3 bitop3:0x80
	v_mbcnt_lo_u32_b32 v23, v3, 0
	v_cmp_ne_u32_e64 s3, 0, v3
	s_delay_alu instid0(VALU_DEP_2) | instskip(SKIP_1) | instid1(SALU_CYCLE_1)
	v_cmp_eq_u32_e32 vcc_lo, 0, v23
	s_and_b32 s4, s3, vcc_lo
	s_and_saveexec_b32 s3, s4
	s_cbranch_execz .LBB2051_35
; %bb.34:
	s_wait_dscnt 0x0
	v_bcnt_u32_b32 v3, v3, v22
	ds_store_b32 v24, v3 offset:64
.LBB2051_35:
	s_or_b32 exec_lo, exec_lo, s3
	v_cmp_lt_i16_e32 vcc_lo, -1, v21
	; wave barrier
	v_cndmask_b32_e64 v3, -1, 0xffff8000, vcc_lo
	s_delay_alu instid0(VALU_DEP_1) | instskip(NEXT) | instid1(VALU_DEP_1)
	v_xor_b32_e32 v21, v3, v21
	v_cmp_ne_u16_e32 vcc_lo, 0x7fff, v21
	v_cndmask_b32_e32 v3, 0xffff8000, v21, vcc_lo
	s_delay_alu instid0(VALU_DEP_1) | instskip(NEXT) | instid1(VALU_DEP_1)
	v_and_b32_e32 v3, 0xffff, v3
	v_lshrrev_b32_e32 v3, s20, v3
	s_delay_alu instid0(VALU_DEP_1) | instskip(SKIP_1) | instid1(VALU_DEP_2)
	v_bitop3_b32 v26, v3, 1, s29 bitop3:0x80
	v_and_b32_e32 v3, s29, v3
	v_add_co_u32 v26, s3, v26, -1
	s_delay_alu instid0(VALU_DEP_1) | instskip(NEXT) | instid1(VALU_DEP_3)
	v_cndmask_b32_e64 v27, 0, 1, s3
	v_dual_lshlrev_b32 v28, 30, v3 :: v_dual_lshlrev_b32 v29, 29, v3
	v_lshlrev_b32_e32 v31, 28, v3
	s_delay_alu instid0(VALU_DEP_3) | instskip(NEXT) | instid1(VALU_DEP_3)
	v_cmp_ne_u32_e32 vcc_lo, 0, v27
	v_cmp_gt_i32_e64 s3, 0, v28
	v_not_b32_e32 v27, v28
	v_cmp_gt_i32_e64 s4, 0, v29
	v_not_b32_e32 v28, v29
	v_not_b32_e32 v29, v31
	s_delay_alu instid0(VALU_DEP_2) | instskip(NEXT) | instid1(VALU_DEP_2)
	v_dual_ashrrev_i32 v28, 31, v28 :: v_dual_bitop2_b32 v26, vcc_lo, v26 bitop3:0x14
	v_dual_ashrrev_i32 v29, 31, v29 :: v_dual_lshlrev_b32 v32, 27, v3
	v_dual_lshlrev_b32 v33, 26, v3 :: v_dual_lshlrev_b32 v34, 25, v3
	v_lshlrev_b32_e32 v35, 24, v3
	v_cmp_gt_i32_e64 s5, 0, v31
	s_delay_alu instid0(VALU_DEP_4)
	v_cmp_gt_i32_e64 s6, 0, v32
	v_not_b32_e32 v31, v32
	v_not_b32_e32 v32, v33
	v_ashrrev_i32_e32 v27, 31, v27
	v_cmp_gt_i32_e64 s7, 0, v33
	v_cmp_gt_i32_e64 s8, 0, v34
	v_not_b32_e32 v33, v34
	v_not_b32_e32 v34, v35
	v_dual_ashrrev_i32 v32, 31, v32 :: v_dual_bitop2_b32 v27, s3, v27 bitop3:0x14
	v_dual_ashrrev_i32 v31, 31, v31 :: v_dual_bitop2_b32 v28, s4, v28 bitop3:0x14
	v_xor_b32_e32 v29, s5, v29
	v_cmp_gt_i32_e64 s9, 0, v35
	s_delay_alu instid0(VALU_DEP_4) | instskip(NEXT) | instid1(VALU_DEP_4)
	v_bitop3_b32 v26, v26, v27, exec_lo bitop3:0x80
	v_dual_ashrrev_i32 v27, 31, v33 :: v_dual_bitop2_b32 v31, s6, v31 bitop3:0x14
	v_dual_ashrrev_i32 v33, 31, v34 :: v_dual_bitop2_b32 v32, s7, v32 bitop3:0x14
	s_delay_alu instid0(VALU_DEP_3) | instskip(SKIP_1) | instid1(VALU_DEP_4)
	v_bitop3_b32 v26, v26, v29, v28 bitop3:0x80
	v_mad_u32_u24 v28, 0x44, v3, v2
	v_xor_b32_e32 v3, s8, v27
	s_delay_alu instid0(VALU_DEP_4) | instskip(NEXT) | instid1(VALU_DEP_4)
	v_xor_b32_e32 v27, s9, v33
	v_bitop3_b32 v29, v26, v32, v31 bitop3:0x80
	ds_load_b32 v26, v28 offset:64
	; wave barrier
	v_bitop3_b32 v3, v29, v27, v3 bitop3:0x80
	s_delay_alu instid0(VALU_DEP_1) | instskip(SKIP_1) | instid1(VALU_DEP_2)
	v_mbcnt_lo_u32_b32 v27, v3, 0
	v_cmp_ne_u32_e64 s3, 0, v3
	v_cmp_eq_u32_e32 vcc_lo, 0, v27
	s_and_b32 s4, s3, vcc_lo
	s_delay_alu instid0(SALU_CYCLE_1)
	s_and_saveexec_b32 s3, s4
	s_cbranch_execz .LBB2051_37
; %bb.36:
	s_wait_dscnt 0x0
	v_bcnt_u32_b32 v3, v3, v26
	ds_store_b32 v28, v3 offset:64
.LBB2051_37:
	s_or_b32 exec_lo, exec_lo, s3
	v_cmp_lt_i16_e32 vcc_lo, -1, v25
	; wave barrier
	v_cndmask_b32_e64 v3, -1, 0xffff8000, vcc_lo
	s_delay_alu instid0(VALU_DEP_1) | instskip(NEXT) | instid1(VALU_DEP_1)
	v_xor_b32_e32 v25, v3, v25
	v_cmp_ne_u16_e32 vcc_lo, 0x7fff, v25
	v_cndmask_b32_e32 v3, 0xffff8000, v25, vcc_lo
	s_delay_alu instid0(VALU_DEP_1) | instskip(NEXT) | instid1(VALU_DEP_1)
	v_and_b32_e32 v3, 0xffff, v3
	v_lshrrev_b32_e32 v3, s20, v3
	s_delay_alu instid0(VALU_DEP_1) | instskip(SKIP_1) | instid1(VALU_DEP_2)
	v_bitop3_b32 v29, v3, 1, s29 bitop3:0x80
	v_and_b32_e32 v3, s29, v3
	v_add_co_u32 v29, s3, v29, -1
	s_delay_alu instid0(VALU_DEP_1) | instskip(NEXT) | instid1(VALU_DEP_3)
	v_cndmask_b32_e64 v31, 0, 1, s3
	v_dual_lshlrev_b32 v32, 30, v3 :: v_dual_lshlrev_b32 v33, 29, v3
	v_lshlrev_b32_e32 v34, 28, v3
	s_delay_alu instid0(VALU_DEP_3) | instskip(NEXT) | instid1(VALU_DEP_3)
	v_cmp_ne_u32_e32 vcc_lo, 0, v31
	v_cmp_gt_i32_e64 s3, 0, v32
	v_not_b32_e32 v31, v32
	v_cmp_gt_i32_e64 s4, 0, v33
	v_not_b32_e32 v32, v33
	v_not_b32_e32 v33, v34
	s_delay_alu instid0(VALU_DEP_2) | instskip(NEXT) | instid1(VALU_DEP_2)
	v_dual_ashrrev_i32 v32, 31, v32 :: v_dual_bitop2_b32 v29, vcc_lo, v29 bitop3:0x14
	v_dual_ashrrev_i32 v33, 31, v33 :: v_dual_lshlrev_b32 v35, 27, v3
	v_dual_lshlrev_b32 v36, 26, v3 :: v_dual_lshlrev_b32 v37, 25, v3
	v_lshlrev_b32_e32 v38, 24, v3
	v_cmp_gt_i32_e64 s5, 0, v34
	s_delay_alu instid0(VALU_DEP_4)
	v_not_b32_e32 v34, v35
	v_ashrrev_i32_e32 v31, 31, v31
	v_cmp_gt_i32_e64 s6, 0, v35
	v_cmp_gt_i32_e64 s7, 0, v36
	v_not_b32_e32 v35, v36
	v_cmp_gt_i32_e64 s8, 0, v37
	v_not_b32_e32 v36, v37
	v_not_b32_e32 v37, v38
	v_dual_ashrrev_i32 v34, 31, v34 :: v_dual_bitop2_b32 v31, s3, v31 bitop3:0x14
	v_dual_ashrrev_i32 v35, 31, v35 :: v_dual_bitop2_b32 v32, s4, v32 bitop3:0x14
	v_xor_b32_e32 v33, s5, v33
	v_cmp_gt_i32_e64 s9, 0, v38
	s_delay_alu instid0(VALU_DEP_4) | instskip(SKIP_3) | instid1(VALU_DEP_4)
	v_bitop3_b32 v29, v29, v31, exec_lo bitop3:0x80
	v_dual_ashrrev_i32 v31, 31, v36 :: v_dual_ashrrev_i32 v36, 31, v37
	v_xor_b32_e32 v34, s6, v34
	v_xor_b32_e32 v35, s7, v35
	v_bitop3_b32 v29, v29, v33, v32 bitop3:0x80
	v_mad_u32_u24 v32, 0x44, v3, v2
	v_xor_b32_e32 v3, s8, v31
	v_xor_b32_e32 v31, s9, v36
	s_delay_alu instid0(VALU_DEP_4) | instskip(SKIP_2) | instid1(VALU_DEP_1)
	v_bitop3_b32 v33, v29, v35, v34 bitop3:0x80
	ds_load_b32 v29, v32 offset:64
	; wave barrier
	v_bitop3_b32 v3, v33, v31, v3 bitop3:0x80
	v_mbcnt_lo_u32_b32 v31, v3, 0
	v_cmp_ne_u32_e64 s3, 0, v3
	s_delay_alu instid0(VALU_DEP_2) | instskip(SKIP_1) | instid1(SALU_CYCLE_1)
	v_cmp_eq_u32_e32 vcc_lo, 0, v31
	s_and_b32 s4, s3, vcc_lo
	s_and_saveexec_b32 s3, s4
	s_cbranch_execz .LBB2051_39
; %bb.38:
	s_wait_dscnt 0x0
	v_bcnt_u32_b32 v3, v3, v29
	ds_store_b32 v32, v3 offset:64
.LBB2051_39:
	s_or_b32 exec_lo, exec_lo, s3
	v_cmp_lt_i16_e32 vcc_lo, -1, v30
	; wave barrier
	v_cndmask_b32_e64 v3, -1, 0xffff8000, vcc_lo
	s_delay_alu instid0(VALU_DEP_1) | instskip(NEXT) | instid1(VALU_DEP_1)
	v_xor_b32_e32 v30, v3, v30
	v_cmp_ne_u16_e32 vcc_lo, 0x7fff, v30
	v_cndmask_b32_e32 v3, 0xffff8000, v30, vcc_lo
	s_delay_alu instid0(VALU_DEP_1) | instskip(NEXT) | instid1(VALU_DEP_1)
	v_and_b32_e32 v3, 0xffff, v3
	v_lshrrev_b32_e32 v3, s20, v3
	s_delay_alu instid0(VALU_DEP_1) | instskip(SKIP_1) | instid1(VALU_DEP_2)
	v_bitop3_b32 v33, v3, 1, s29 bitop3:0x80
	v_and_b32_e32 v3, s29, v3
	v_add_co_u32 v33, s3, v33, -1
	s_delay_alu instid0(VALU_DEP_1) | instskip(NEXT) | instid1(VALU_DEP_3)
	v_cndmask_b32_e64 v34, 0, 1, s3
	v_lshlrev_b32_e32 v35, 30, v3
	s_delay_alu instid0(VALU_DEP_2) | instskip(NEXT) | instid1(VALU_DEP_2)
	v_cmp_ne_u32_e32 vcc_lo, 0, v34
	v_not_b32_e32 v34, v35
	s_delay_alu instid0(VALU_DEP_1) | instskip(SKIP_4) | instid1(VALU_DEP_4)
	v_dual_ashrrev_i32 v34, 31, v34 :: v_dual_bitop2_b32 v33, vcc_lo, v33 bitop3:0x14
	v_dual_lshlrev_b32 v36, 29, v3 :: v_dual_lshlrev_b32 v37, 28, v3
	v_dual_lshlrev_b32 v38, 27, v3 :: v_dual_lshlrev_b32 v39, 26, v3
	v_lshlrev_b32_e32 v40, 25, v3
	v_cmp_gt_i32_e64 s3, 0, v35
	v_cmp_gt_i32_e64 s4, 0, v36
	v_not_b32_e32 v35, v36
	v_not_b32_e32 v36, v37
	v_lshlrev_b32_e32 v41, 24, v3
	v_cmp_gt_i32_e64 s5, 0, v37
	v_cmp_gt_i32_e64 s6, 0, v38
	v_not_b32_e32 v37, v38
	v_not_b32_e32 v38, v39
	v_dual_ashrrev_i32 v35, 31, v35 :: v_dual_bitop2_b32 v34, s3, v34 bitop3:0x14
	v_ashrrev_i32_e32 v36, 31, v36
	v_cmp_gt_i32_e64 s7, 0, v39
	v_cmp_gt_i32_e64 s8, 0, v40
	v_not_b32_e32 v39, v40
	v_not_b32_e32 v40, v41
	v_dual_ashrrev_i32 v37, 31, v37 :: v_dual_ashrrev_i32 v38, 31, v38
	v_xor_b32_e32 v35, s4, v35
	v_xor_b32_e32 v36, s5, v36
	v_bitop3_b32 v33, v33, v34, exec_lo bitop3:0x80
	v_cmp_gt_i32_e64 s9, 0, v41
	v_dual_ashrrev_i32 v34, 31, v39 :: v_dual_ashrrev_i32 v39, 31, v40
	v_xor_b32_e32 v37, s6, v37
	v_xor_b32_e32 v38, s7, v38
	v_bitop3_b32 v33, v33, v36, v35 bitop3:0x80
	v_mad_u32_u24 v36, 0x44, v3, v2
	v_xor_b32_e32 v3, s8, v34
	v_xor_b32_e32 v34, s9, v39
	s_delay_alu instid0(VALU_DEP_4) | instskip(SKIP_2) | instid1(VALU_DEP_1)
	v_bitop3_b32 v35, v33, v38, v37 bitop3:0x80
	ds_load_b32 v33, v36 offset:64
	; wave barrier
	v_bitop3_b32 v3, v35, v34, v3 bitop3:0x80
	v_mbcnt_lo_u32_b32 v34, v3, 0
	v_cmp_ne_u32_e64 s3, 0, v3
	s_delay_alu instid0(VALU_DEP_2) | instskip(SKIP_1) | instid1(SALU_CYCLE_1)
	v_cmp_eq_u32_e32 vcc_lo, 0, v34
	s_and_b32 s4, s3, vcc_lo
	s_and_saveexec_b32 s3, s4
	s_cbranch_execz .LBB2051_41
; %bb.40:
	s_wait_dscnt 0x0
	v_bcnt_u32_b32 v3, v3, v33
	ds_store_b32 v36, v3 offset:64
.LBB2051_41:
	s_or_b32 exec_lo, exec_lo, s3
	v_cmp_lt_i16_e32 vcc_lo, -1, v9
	; wave barrier
	v_cndmask_b32_e64 v3, -1, 0xffff8000, vcc_lo
	s_delay_alu instid0(VALU_DEP_1) | instskip(NEXT) | instid1(VALU_DEP_1)
	v_xor_b32_e32 v35, v3, v9
	v_cmp_ne_u16_e32 vcc_lo, 0x7fff, v35
	v_cndmask_b32_e32 v3, 0xffff8000, v35, vcc_lo
	s_delay_alu instid0(VALU_DEP_1) | instskip(NEXT) | instid1(VALU_DEP_1)
	v_and_b32_e32 v3, 0xffff, v3
	v_lshrrev_b32_e32 v3, s20, v3
	s_delay_alu instid0(VALU_DEP_1) | instskip(SKIP_1) | instid1(VALU_DEP_2)
	v_bitop3_b32 v9, v3, 1, s29 bitop3:0x80
	v_and_b32_e32 v3, s29, v3
	v_add_co_u32 v9, s3, v9, -1
	s_delay_alu instid0(VALU_DEP_1) | instskip(NEXT) | instid1(VALU_DEP_3)
	v_cndmask_b32_e64 v37, 0, 1, s3
	v_lshlrev_b32_e32 v38, 30, v3
	s_delay_alu instid0(VALU_DEP_2) | instskip(NEXT) | instid1(VALU_DEP_2)
	v_cmp_ne_u32_e32 vcc_lo, 0, v37
	v_not_b32_e32 v37, v38
	v_xor_b32_e32 v9, vcc_lo, v9
	s_delay_alu instid0(VALU_DEP_2) | instskip(SKIP_3) | instid1(VALU_DEP_4)
	v_dual_ashrrev_i32 v37, 31, v37 :: v_dual_lshlrev_b32 v39, 29, v3
	v_dual_lshlrev_b32 v40, 28, v3 :: v_dual_lshlrev_b32 v41, 27, v3
	v_dual_lshlrev_b32 v42, 26, v3 :: v_dual_lshlrev_b32 v43, 25, v3
	v_cmp_gt_i32_e64 s3, 0, v38
	v_cmp_gt_i32_e64 s4, 0, v39
	v_not_b32_e32 v38, v39
	v_not_b32_e32 v39, v40
	v_lshlrev_b32_e32 v44, 24, v3
	v_cmp_gt_i32_e64 s5, 0, v40
	v_cmp_gt_i32_e64 s6, 0, v41
	v_not_b32_e32 v40, v41
	v_not_b32_e32 v41, v42
	v_dual_ashrrev_i32 v38, 31, v38 :: v_dual_ashrrev_i32 v39, 31, v39
	v_xor_b32_e32 v37, s3, v37
	v_cmp_gt_i32_e64 s7, 0, v42
	v_cmp_gt_i32_e64 s8, 0, v43
	v_not_b32_e32 v42, v43
	v_not_b32_e32 v43, v44
	v_dual_ashrrev_i32 v40, 31, v40 :: v_dual_ashrrev_i32 v41, 31, v41
	v_xor_b32_e32 v38, s4, v38
	v_xor_b32_e32 v39, s5, v39
	v_bitop3_b32 v9, v9, v37, exec_lo bitop3:0x80
	v_cmp_gt_i32_e64 s9, 0, v44
	v_dual_ashrrev_i32 v37, 31, v42 :: v_dual_ashrrev_i32 v42, 31, v43
	v_xor_b32_e32 v43, s6, v40
	v_xor_b32_e32 v41, s7, v41
	v_bitop3_b32 v9, v9, v39, v38 bitop3:0x80
	v_mad_u32_u24 v40, 0x44, v3, v2
	v_xor_b32_e32 v3, s8, v37
	v_xor_b32_e32 v37, s9, v42
	s_delay_alu instid0(VALU_DEP_4) | instskip(SKIP_2) | instid1(VALU_DEP_1)
	v_bitop3_b32 v9, v9, v41, v43 bitop3:0x80
	ds_load_b32 v38, v40 offset:64
	; wave barrier
	v_bitop3_b32 v3, v9, v37, v3 bitop3:0x80
	v_mbcnt_lo_u32_b32 v39, v3, 0
	v_cmp_ne_u32_e64 s3, 0, v3
	s_delay_alu instid0(VALU_DEP_2) | instskip(SKIP_1) | instid1(SALU_CYCLE_1)
	v_cmp_eq_u32_e32 vcc_lo, 0, v39
	s_and_b32 s4, s3, vcc_lo
	s_and_saveexec_b32 s3, s4
	s_cbranch_execz .LBB2051_43
; %bb.42:
	s_wait_dscnt 0x0
	v_bcnt_u32_b32 v3, v3, v38
	ds_store_b32 v40, v3 offset:64
.LBB2051_43:
	s_or_b32 exec_lo, exec_lo, s3
	v_cmp_lt_i16_e32 vcc_lo, -1, v8
	; wave barrier
	v_cndmask_b32_e64 v3, -1, 0xffff8000, vcc_lo
	s_delay_alu instid0(VALU_DEP_1) | instskip(NEXT) | instid1(VALU_DEP_1)
	v_xor_b32_e32 v37, v3, v8
	v_cmp_ne_u16_e32 vcc_lo, 0x7fff, v37
	v_cndmask_b32_e32 v3, 0xffff8000, v37, vcc_lo
	s_delay_alu instid0(VALU_DEP_1) | instskip(NEXT) | instid1(VALU_DEP_1)
	v_and_b32_e32 v3, 0xffff, v3
	v_lshrrev_b32_e32 v3, s20, v3
	s_delay_alu instid0(VALU_DEP_1) | instskip(SKIP_1) | instid1(VALU_DEP_2)
	v_bitop3_b32 v8, v3, 1, s29 bitop3:0x80
	v_and_b32_e32 v3, s29, v3
	v_add_co_u32 v8, s3, v8, -1
	s_delay_alu instid0(VALU_DEP_1) | instskip(NEXT) | instid1(VALU_DEP_3)
	v_cndmask_b32_e64 v9, 0, 1, s3
	v_lshlrev_b32_e32 v41, 30, v3
	s_delay_alu instid0(VALU_DEP_2) | instskip(NEXT) | instid1(VALU_DEP_2)
	v_cmp_ne_u32_e32 vcc_lo, 0, v9
	v_not_b32_e32 v9, v41
	s_delay_alu instid0(VALU_DEP_1) | instskip(SKIP_4) | instid1(VALU_DEP_4)
	v_dual_ashrrev_i32 v9, 31, v9 :: v_dual_bitop2_b32 v8, vcc_lo, v8 bitop3:0x14
	v_dual_lshlrev_b32 v42, 29, v3 :: v_dual_lshlrev_b32 v43, 28, v3
	v_dual_lshlrev_b32 v44, 27, v3 :: v_dual_lshlrev_b32 v45, 26, v3
	v_lshlrev_b32_e32 v46, 25, v3
	v_cmp_gt_i32_e64 s3, 0, v41
	v_cmp_gt_i32_e64 s4, 0, v42
	v_not_b32_e32 v41, v42
	v_not_b32_e32 v42, v43
	v_lshlrev_b32_e32 v47, 24, v3
	v_cmp_gt_i32_e64 s5, 0, v43
	v_cmp_gt_i32_e64 s6, 0, v44
	v_not_b32_e32 v43, v44
	v_not_b32_e32 v44, v45
	v_dual_ashrrev_i32 v41, 31, v41 :: v_dual_ashrrev_i32 v42, 31, v42
	v_xor_b32_e32 v9, s3, v9
	v_cmp_gt_i32_e64 s7, 0, v45
	v_cmp_gt_i32_e64 s8, 0, v46
	v_not_b32_e32 v45, v46
	v_not_b32_e32 v46, v47
	v_dual_ashrrev_i32 v43, 31, v43 :: v_dual_ashrrev_i32 v44, 31, v44
	v_xor_b32_e32 v41, s4, v41
	v_xor_b32_e32 v42, s5, v42
	v_bitop3_b32 v8, v8, v9, exec_lo bitop3:0x80
	v_cmp_gt_i32_e64 s9, 0, v47
	v_dual_ashrrev_i32 v9, 31, v45 :: v_dual_ashrrev_i32 v45, 31, v46
	v_xor_b32_e32 v43, s6, v43
	v_xor_b32_e32 v46, s7, v44
	v_bitop3_b32 v8, v8, v42, v41 bitop3:0x80
	v_mad_u32_u24 v44, 0x44, v3, v2
	v_xor_b32_e32 v3, s8, v9
	v_xor_b32_e32 v9, s9, v45
	s_delay_alu instid0(VALU_DEP_4) | instskip(SKIP_2) | instid1(VALU_DEP_1)
	v_bitop3_b32 v8, v8, v46, v43 bitop3:0x80
	ds_load_b32 v42, v44 offset:64
	; wave barrier
	v_bitop3_b32 v3, v8, v9, v3 bitop3:0x80
	v_mbcnt_lo_u32_b32 v43, v3, 0
	v_cmp_ne_u32_e64 s3, 0, v3
	s_delay_alu instid0(VALU_DEP_2) | instskip(SKIP_1) | instid1(SALU_CYCLE_1)
	v_cmp_eq_u32_e32 vcc_lo, 0, v43
	s_and_b32 s4, s3, vcc_lo
	s_and_saveexec_b32 s3, s4
	s_cbranch_execz .LBB2051_45
; %bb.44:
	s_wait_dscnt 0x0
	v_bcnt_u32_b32 v3, v3, v42
	ds_store_b32 v44, v3 offset:64
.LBB2051_45:
	s_or_b32 exec_lo, exec_lo, s3
	v_cmp_lt_i16_e32 vcc_lo, -1, v7
	; wave barrier
	v_cndmask_b32_e64 v3, -1, 0xffff8000, vcc_lo
	s_delay_alu instid0(VALU_DEP_1) | instskip(NEXT) | instid1(VALU_DEP_1)
	v_xor_b32_e32 v41, v3, v7
	v_cmp_ne_u16_e32 vcc_lo, 0x7fff, v41
	v_cndmask_b32_e32 v3, 0xffff8000, v41, vcc_lo
	s_delay_alu instid0(VALU_DEP_1) | instskip(NEXT) | instid1(VALU_DEP_1)
	v_and_b32_e32 v3, 0xffff, v3
	v_lshrrev_b32_e32 v3, s20, v3
	s_delay_alu instid0(VALU_DEP_1) | instskip(SKIP_1) | instid1(VALU_DEP_2)
	v_bitop3_b32 v7, v3, 1, s29 bitop3:0x80
	v_and_b32_e32 v3, s29, v3
	v_add_co_u32 v7, s3, v7, -1
	s_delay_alu instid0(VALU_DEP_1) | instskip(NEXT) | instid1(VALU_DEP_3)
	v_cndmask_b32_e64 v8, 0, 1, s3
	v_dual_lshlrev_b32 v9, 30, v3 :: v_dual_lshlrev_b32 v45, 29, v3
	v_lshlrev_b32_e32 v46, 28, v3
	s_delay_alu instid0(VALU_DEP_3) | instskip(NEXT) | instid1(VALU_DEP_3)
	v_cmp_ne_u32_e32 vcc_lo, 0, v8
	v_cmp_gt_i32_e64 s3, 0, v9
	v_not_b32_e32 v8, v9
	v_cmp_gt_i32_e64 s4, 0, v45
	v_not_b32_e32 v9, v45
	v_not_b32_e32 v45, v46
	s_delay_alu instid0(VALU_DEP_2) | instskip(NEXT) | instid1(VALU_DEP_2)
	v_dual_ashrrev_i32 v8, 31, v8 :: v_dual_ashrrev_i32 v9, 31, v9
	v_dual_ashrrev_i32 v45, 31, v45 :: v_dual_lshlrev_b32 v47, 27, v3
	v_dual_lshlrev_b32 v48, 26, v3 :: v_dual_lshlrev_b32 v49, 25, v3
	s_delay_alu instid0(VALU_DEP_3) | instskip(SKIP_1) | instid1(VALU_DEP_4)
	v_dual_lshlrev_b32 v50, 24, v3 :: v_dual_bitop2_b32 v8, s3, v8 bitop3:0x14
	v_cmp_gt_i32_e64 s5, 0, v46
	v_cmp_gt_i32_e64 s6, 0, v47
	v_not_b32_e32 v46, v47
	v_cmp_gt_i32_e64 s7, 0, v48
	v_not_b32_e32 v47, v48
	v_not_b32_e32 v48, v49
	v_xor_b32_e32 v7, vcc_lo, v7
	v_cmp_gt_i32_e64 s8, 0, v49
	v_not_b32_e32 v49, v50
	v_dual_ashrrev_i32 v46, 31, v46 :: v_dual_ashrrev_i32 v47, 31, v47
	v_xor_b32_e32 v9, s4, v9
	v_xor_b32_e32 v45, s5, v45
	v_bitop3_b32 v7, v7, v8, exec_lo bitop3:0x80
	v_cmp_gt_i32_e64 s9, 0, v50
	v_dual_ashrrev_i32 v8, 31, v48 :: v_dual_ashrrev_i32 v49, 31, v49
	v_xor_b32_e32 v46, s6, v46
	v_xor_b32_e32 v47, s7, v47
	v_bitop3_b32 v7, v7, v45, v9 bitop3:0x80
	v_mad_u32_u24 v48, 0x44, v3, v2
	v_xor_b32_e32 v3, s8, v8
	v_xor_b32_e32 v8, s9, v49
	s_delay_alu instid0(VALU_DEP_4) | instskip(SKIP_2) | instid1(VALU_DEP_1)
	v_bitop3_b32 v7, v7, v47, v46 bitop3:0x80
	ds_load_b32 v46, v48 offset:64
	; wave barrier
	v_bitop3_b32 v3, v7, v8, v3 bitop3:0x80
	v_mbcnt_lo_u32_b32 v47, v3, 0
	v_cmp_ne_u32_e64 s3, 0, v3
	s_delay_alu instid0(VALU_DEP_2) | instskip(SKIP_1) | instid1(SALU_CYCLE_1)
	v_cmp_eq_u32_e32 vcc_lo, 0, v47
	s_and_b32 s4, s3, vcc_lo
	s_and_saveexec_b32 s3, s4
	s_cbranch_execz .LBB2051_47
; %bb.46:
	s_wait_dscnt 0x0
	v_bcnt_u32_b32 v3, v3, v46
	ds_store_b32 v48, v3 offset:64
.LBB2051_47:
	s_or_b32 exec_lo, exec_lo, s3
	v_cmp_lt_i16_e32 vcc_lo, -1, v6
	; wave barrier
	v_cndmask_b32_e64 v3, -1, 0xffff8000, vcc_lo
	s_delay_alu instid0(VALU_DEP_1) | instskip(NEXT) | instid1(VALU_DEP_1)
	v_xor_b32_e32 v45, v3, v6
	v_cmp_ne_u16_e32 vcc_lo, 0x7fff, v45
	v_cndmask_b32_e32 v3, 0xffff8000, v45, vcc_lo
	s_delay_alu instid0(VALU_DEP_1) | instskip(NEXT) | instid1(VALU_DEP_1)
	v_and_b32_e32 v3, 0xffff, v3
	v_lshrrev_b32_e32 v3, s20, v3
	s_delay_alu instid0(VALU_DEP_1) | instskip(SKIP_1) | instid1(VALU_DEP_2)
	v_bitop3_b32 v6, v3, 1, s29 bitop3:0x80
	v_and_b32_e32 v3, s29, v3
	v_add_co_u32 v6, s3, v6, -1
	s_delay_alu instid0(VALU_DEP_1) | instskip(NEXT) | instid1(VALU_DEP_3)
	v_cndmask_b32_e64 v7, 0, 1, s3
	v_dual_lshlrev_b32 v8, 30, v3 :: v_dual_lshlrev_b32 v9, 29, v3
	v_lshlrev_b32_e32 v49, 28, v3
	s_delay_alu instid0(VALU_DEP_3) | instskip(NEXT) | instid1(VALU_DEP_3)
	v_cmp_ne_u32_e32 vcc_lo, 0, v7
	v_cmp_gt_i32_e64 s3, 0, v8
	v_not_b32_e32 v7, v8
	v_cmp_gt_i32_e64 s4, 0, v9
	v_not_b32_e32 v8, v9
	v_not_b32_e32 v9, v49
	s_delay_alu instid0(VALU_DEP_2) | instskip(NEXT) | instid1(VALU_DEP_2)
	v_dual_ashrrev_i32 v8, 31, v8 :: v_dual_bitop2_b32 v6, vcc_lo, v6 bitop3:0x14
	v_dual_ashrrev_i32 v9, 31, v9 :: v_dual_lshlrev_b32 v50, 27, v3
	v_dual_lshlrev_b32 v51, 26, v3 :: v_dual_lshlrev_b32 v52, 25, v3
	v_cmp_gt_i32_e64 s5, 0, v49
	v_lshlrev_b32_e32 v53, 24, v3
	s_delay_alu instid0(VALU_DEP_4) | instskip(SKIP_4) | instid1(VALU_DEP_4)
	v_not_b32_e32 v49, v50
	v_ashrrev_i32_e32 v7, 31, v7
	v_cmp_gt_i32_e64 s6, 0, v50
	v_not_b32_e32 v50, v51
	v_cmp_gt_i32_e64 s7, 0, v51
	v_dual_ashrrev_i32 v49, 31, v49 :: v_dual_bitop2_b32 v7, s3, v7 bitop3:0x14
	v_cmp_gt_i32_e64 s8, 0, v52
	v_not_b32_e32 v51, v52
	v_not_b32_e32 v52, v53
	v_dual_ashrrev_i32 v50, 31, v50 :: v_dual_bitop2_b32 v8, s4, v8 bitop3:0x14
	v_xor_b32_e32 v9, s5, v9
	v_bitop3_b32 v6, v6, v7, exec_lo bitop3:0x80
	v_cmp_gt_i32_e64 s9, 0, v53
	v_dual_ashrrev_i32 v7, 31, v51 :: v_dual_ashrrev_i32 v51, 31, v52
	v_xor_b32_e32 v49, s6, v49
	v_xor_b32_e32 v50, s7, v50
	v_bitop3_b32 v6, v6, v9, v8 bitop3:0x80
	v_mad_u32_u24 v52, 0x44, v3, v2
	v_xor_b32_e32 v3, s8, v7
	v_xor_b32_e32 v7, s9, v51
	s_delay_alu instid0(VALU_DEP_4) | instskip(SKIP_2) | instid1(VALU_DEP_1)
	v_bitop3_b32 v6, v6, v50, v49 bitop3:0x80
	ds_load_b32 v49, v52 offset:64
	; wave barrier
	v_bitop3_b32 v3, v6, v7, v3 bitop3:0x80
	v_mbcnt_lo_u32_b32 v51, v3, 0
	v_cmp_ne_u32_e64 s3, 0, v3
	s_delay_alu instid0(VALU_DEP_2) | instskip(SKIP_1) | instid1(SALU_CYCLE_1)
	v_cmp_eq_u32_e32 vcc_lo, 0, v51
	s_and_b32 s4, s3, vcc_lo
	s_and_saveexec_b32 s3, s4
	s_cbranch_execz .LBB2051_49
; %bb.48:
	s_wait_dscnt 0x0
	v_bcnt_u32_b32 v3, v3, v49
	ds_store_b32 v52, v3 offset:64
.LBB2051_49:
	s_or_b32 exec_lo, exec_lo, s3
	v_cmp_lt_i16_e32 vcc_lo, -1, v5
	; wave barrier
	v_cndmask_b32_e64 v3, -1, 0xffff8000, vcc_lo
	s_delay_alu instid0(VALU_DEP_1) | instskip(NEXT) | instid1(VALU_DEP_1)
	v_xor_b32_e32 v50, v3, v5
	v_cmp_ne_u16_e32 vcc_lo, 0x7fff, v50
	v_cndmask_b32_e32 v3, 0xffff8000, v50, vcc_lo
	s_delay_alu instid0(VALU_DEP_1) | instskip(NEXT) | instid1(VALU_DEP_1)
	v_and_b32_e32 v3, 0xffff, v3
	v_lshrrev_b32_e32 v3, s20, v3
	s_delay_alu instid0(VALU_DEP_1) | instskip(SKIP_1) | instid1(VALU_DEP_2)
	v_bitop3_b32 v5, v3, 1, s29 bitop3:0x80
	v_and_b32_e32 v3, s29, v3
	v_add_co_u32 v5, s3, v5, -1
	s_delay_alu instid0(VALU_DEP_1) | instskip(NEXT) | instid1(VALU_DEP_3)
	v_cndmask_b32_e64 v6, 0, 1, s3
	v_lshlrev_b32_e32 v7, 30, v3
	s_delay_alu instid0(VALU_DEP_2) | instskip(NEXT) | instid1(VALU_DEP_2)
	v_cmp_ne_u32_e32 vcc_lo, 0, v6
	v_not_b32_e32 v6, v7
	s_delay_alu instid0(VALU_DEP_1) | instskip(SKIP_4) | instid1(VALU_DEP_4)
	v_dual_ashrrev_i32 v6, 31, v6 :: v_dual_bitop2_b32 v5, vcc_lo, v5 bitop3:0x14
	v_dual_lshlrev_b32 v8, 29, v3 :: v_dual_lshlrev_b32 v9, 28, v3
	v_dual_lshlrev_b32 v53, 27, v3 :: v_dual_lshlrev_b32 v54, 26, v3
	v_lshlrev_b32_e32 v55, 25, v3
	v_cmp_gt_i32_e64 s3, 0, v7
	v_cmp_gt_i32_e64 s4, 0, v8
	v_not_b32_e32 v7, v8
	v_not_b32_e32 v8, v9
	v_lshlrev_b32_e32 v56, 24, v3
	v_cmp_gt_i32_e64 s5, 0, v9
	v_cmp_gt_i32_e64 s6, 0, v53
	v_not_b32_e32 v9, v53
	v_not_b32_e32 v53, v54
	v_dual_ashrrev_i32 v7, 31, v7 :: v_dual_bitop2_b32 v6, s3, v6 bitop3:0x14
	v_ashrrev_i32_e32 v8, 31, v8
	v_cmp_gt_i32_e64 s7, 0, v54
	v_cmp_gt_i32_e64 s8, 0, v55
	v_not_b32_e32 v54, v55
	v_not_b32_e32 v55, v56
	v_dual_ashrrev_i32 v9, 31, v9 :: v_dual_bitop2_b32 v7, s4, v7 bitop3:0x14
	v_dual_ashrrev_i32 v53, 31, v53 :: v_dual_bitop2_b32 v8, s5, v8 bitop3:0x14
	v_bitop3_b32 v5, v5, v6, exec_lo bitop3:0x80
	v_cmp_gt_i32_e64 s9, 0, v56
	v_dual_ashrrev_i32 v6, 31, v54 :: v_dual_ashrrev_i32 v54, 31, v55
	v_xor_b32_e32 v9, s6, v9
	v_xor_b32_e32 v53, s7, v53
	v_bitop3_b32 v5, v5, v8, v7 bitop3:0x80
	v_mad_u32_u24 v57, 0x44, v3, v2
	v_xor_b32_e32 v3, s8, v6
	v_xor_b32_e32 v6, s9, v54
	s_delay_alu instid0(VALU_DEP_4) | instskip(SKIP_2) | instid1(VALU_DEP_1)
	v_bitop3_b32 v5, v5, v53, v9 bitop3:0x80
	ds_load_b32 v53, v57 offset:64
	; wave barrier
	v_bitop3_b32 v3, v5, v6, v3 bitop3:0x80
	v_mbcnt_lo_u32_b32 v54, v3, 0
	v_cmp_ne_u32_e64 s3, 0, v3
	s_delay_alu instid0(VALU_DEP_2) | instskip(SKIP_1) | instid1(SALU_CYCLE_1)
	v_cmp_eq_u32_e32 vcc_lo, 0, v54
	s_and_b32 s4, s3, vcc_lo
	s_and_saveexec_b32 s3, s4
	s_cbranch_execz .LBB2051_51
; %bb.50:
	s_wait_dscnt 0x0
	v_bcnt_u32_b32 v3, v3, v53
	ds_store_b32 v57, v3 offset:64
.LBB2051_51:
	s_or_b32 exec_lo, exec_lo, s3
	v_cmp_lt_i16_e32 vcc_lo, -1, v4
	; wave barrier
	v_cndmask_b32_e64 v3, -1, 0xffff8000, vcc_lo
	s_delay_alu instid0(VALU_DEP_1) | instskip(NEXT) | instid1(VALU_DEP_1)
	v_xor_b32_e32 v55, v3, v4
	v_cmp_ne_u16_e32 vcc_lo, 0x7fff, v55
	v_cndmask_b32_e32 v3, 0xffff8000, v55, vcc_lo
	s_delay_alu instid0(VALU_DEP_1) | instskip(NEXT) | instid1(VALU_DEP_1)
	v_and_b32_e32 v3, 0xffff, v3
	v_lshrrev_b32_e32 v3, s20, v3
	s_delay_alu instid0(VALU_DEP_1) | instskip(SKIP_1) | instid1(VALU_DEP_2)
	v_bitop3_b32 v4, v3, 1, s29 bitop3:0x80
	v_and_b32_e32 v3, s29, v3
	v_add_co_u32 v4, s3, v4, -1
	s_delay_alu instid0(VALU_DEP_1) | instskip(NEXT) | instid1(VALU_DEP_3)
	v_cndmask_b32_e64 v5, 0, 1, s3
	v_lshlrev_b32_e32 v6, 30, v3
	s_delay_alu instid0(VALU_DEP_2) | instskip(NEXT) | instid1(VALU_DEP_2)
	v_cmp_ne_u32_e32 vcc_lo, 0, v5
	v_not_b32_e32 v5, v6
	s_delay_alu instid0(VALU_DEP_1) | instskip(SKIP_4) | instid1(VALU_DEP_4)
	v_dual_ashrrev_i32 v5, 31, v5 :: v_dual_bitop2_b32 v4, vcc_lo, v4 bitop3:0x14
	v_dual_lshlrev_b32 v7, 29, v3 :: v_dual_lshlrev_b32 v8, 28, v3
	v_dual_lshlrev_b32 v9, 27, v3 :: v_dual_lshlrev_b32 v56, 26, v3
	v_lshlrev_b32_e32 v58, 25, v3
	v_cmp_gt_i32_e64 s3, 0, v6
	v_cmp_gt_i32_e64 s4, 0, v7
	v_not_b32_e32 v6, v7
	v_not_b32_e32 v7, v8
	v_lshlrev_b32_e32 v59, 24, v3
	v_cmp_gt_i32_e64 s5, 0, v8
	v_cmp_gt_i32_e64 s6, 0, v9
	v_not_b32_e32 v8, v9
	v_not_b32_e32 v9, v56
	v_dual_ashrrev_i32 v6, 31, v6 :: v_dual_ashrrev_i32 v7, 31, v7
	v_xor_b32_e32 v5, s3, v5
	v_cmp_gt_i32_e64 s7, 0, v56
	v_cmp_gt_i32_e64 s8, 0, v58
	v_not_b32_e32 v56, v58
	v_not_b32_e32 v58, v59
	v_dual_ashrrev_i32 v8, 31, v8 :: v_dual_ashrrev_i32 v9, 31, v9
	v_xor_b32_e32 v6, s4, v6
	v_xor_b32_e32 v7, s5, v7
	v_bitop3_b32 v4, v4, v5, exec_lo bitop3:0x80
	v_cmp_gt_i32_e64 s9, 0, v59
	v_dual_ashrrev_i32 v5, 31, v56 :: v_dual_ashrrev_i32 v56, 31, v58
	v_xor_b32_e32 v8, s6, v8
	v_xor_b32_e32 v9, s7, v9
	v_bitop3_b32 v4, v4, v7, v6 bitop3:0x80
	v_mad_u32_u24 v59, 0x44, v3, v2
	v_xor_b32_e32 v2, s8, v5
	v_xor_b32_e32 v3, s9, v56
	s_delay_alu instid0(VALU_DEP_4) | instskip(SKIP_2) | instid1(VALU_DEP_1)
	v_bitop3_b32 v4, v4, v9, v8 bitop3:0x80
	ds_load_b32 v56, v59 offset:64
	; wave barrier
	v_bitop3_b32 v2, v4, v3, v2 bitop3:0x80
	v_mbcnt_lo_u32_b32 v58, v2, 0
	v_cmp_ne_u32_e64 s3, 0, v2
	s_delay_alu instid0(VALU_DEP_2) | instskip(SKIP_1) | instid1(SALU_CYCLE_1)
	v_cmp_eq_u32_e32 vcc_lo, 0, v58
	s_and_b32 s4, s3, vcc_lo
	s_and_saveexec_b32 s3, s4
	s_cbranch_execz .LBB2051_53
; %bb.52:
	s_wait_dscnt 0x0
	v_bcnt_u32_b32 v2, v2, v56
	ds_store_b32 v59, v2 offset:64
.LBB2051_53:
	s_or_b32 exec_lo, exec_lo, s3
	; wave barrier
	s_wait_dscnt 0x0
	s_barrier_signal -1
	s_barrier_wait -1
	ds_load_2addr_b32 v[8:9], v12 offset0:16 offset1:17
	ds_load_2addr_b32 v[6:7], v12 offset0:18 offset1:19
	ds_load_2addr_b32 v[4:5], v12 offset0:20 offset1:21
	ds_load_2addr_b32 v[2:3], v12 offset0:22 offset1:23
	ds_load_b32 v60, v12 offset:96
	s_mov_b32 s7, exec_lo
	s_wait_dscnt 0x3
	v_add3_u32 v61, v9, v8, v6
	s_wait_dscnt 0x2
	s_delay_alu instid0(VALU_DEP_1) | instskip(SKIP_1) | instid1(VALU_DEP_1)
	v_add3_u32 v61, v61, v7, v4
	s_wait_dscnt 0x1
	v_add3_u32 v61, v61, v5, v2
	s_wait_dscnt 0x0
	s_delay_alu instid0(VALU_DEP_1) | instskip(SKIP_1) | instid1(VALU_DEP_2)
	v_add3_u32 v60, v61, v3, v60
	v_and_b32_e32 v61, 15, v15
	v_mov_b32_dpp v62, v60 row_shr:1 row_mask:0xf bank_mask:0xf
	s_delay_alu instid0(VALU_DEP_2) | instskip(NEXT) | instid1(VALU_DEP_2)
	v_cmp_eq_u32_e32 vcc_lo, 0, v61
	v_cndmask_b32_e64 v62, v62, 0, vcc_lo
	s_delay_alu instid0(VALU_DEP_1) | instskip(SKIP_3) | instid1(VALU_DEP_4)
	v_add_nc_u32_e32 v60, v62, v60
	v_cmp_lt_u32_e64 s3, 1, v61
	v_cmp_lt_u32_e64 s4, 3, v61
	;; [unrolled: 1-line block ×3, first 2 shown]
	v_mov_b32_dpp v62, v60 row_shr:2 row_mask:0xf bank_mask:0xf
	s_delay_alu instid0(VALU_DEP_1) | instskip(NEXT) | instid1(VALU_DEP_1)
	v_cndmask_b32_e64 v62, 0, v62, s3
	v_add_nc_u32_e32 v60, v60, v62
	s_delay_alu instid0(VALU_DEP_1) | instskip(NEXT) | instid1(VALU_DEP_1)
	v_mov_b32_dpp v62, v60 row_shr:4 row_mask:0xf bank_mask:0xf
	v_cndmask_b32_e64 v62, 0, v62, s4
	s_delay_alu instid0(VALU_DEP_1) | instskip(NEXT) | instid1(VALU_DEP_1)
	v_add_nc_u32_e32 v60, v60, v62
	v_mov_b32_dpp v62, v60 row_shr:8 row_mask:0xf bank_mask:0xf
	s_delay_alu instid0(VALU_DEP_1) | instskip(SKIP_1) | instid1(VALU_DEP_2)
	v_cndmask_b32_e64 v61, 0, v62, s5
	v_bfe_i32 v62, v15, 4, 1
	v_add_nc_u32_e32 v60, v60, v61
	ds_swizzle_b32 v61, v60 offset:swizzle(BROADCAST,32,15)
	s_wait_dscnt 0x0
	v_and_b32_e32 v61, v62, v61
	v_min_u32_e32 v62, 0x1e0, v16
	s_delay_alu instid0(VALU_DEP_2) | instskip(NEXT) | instid1(VALU_DEP_2)
	v_dual_add_nc_u32 v60, v60, v61 :: v_dual_lshrrev_b32 v61, 5, v14
	v_or_b32_e32 v62, 31, v62
	s_delay_alu instid0(VALU_DEP_1)
	v_cmpx_eq_u32_e64 v14, v62
; %bb.54:
	s_delay_alu instid0(VALU_DEP_3)
	v_lshlrev_b32_e32 v62, 2, v61
	ds_store_b32 v62, v60
; %bb.55:
	s_or_b32 exec_lo, exec_lo, s7
	s_delay_alu instid0(SALU_CYCLE_1)
	s_mov_b32 s7, exec_lo
	s_wait_dscnt 0x0
	s_barrier_signal -1
	s_barrier_wait -1
	v_cmpx_gt_u32_e32 16, v14
	s_cbranch_execz .LBB2051_57
; %bb.56:
	v_lshlrev_b32_e32 v62, 2, v14
	ds_load_b32 v63, v62
	s_wait_dscnt 0x0
	v_mov_b32_dpp v64, v63 row_shr:1 row_mask:0xf bank_mask:0xf
	s_delay_alu instid0(VALU_DEP_1) | instskip(NEXT) | instid1(VALU_DEP_1)
	v_cndmask_b32_e64 v64, v64, 0, vcc_lo
	v_add_nc_u32_e32 v63, v64, v63
	s_delay_alu instid0(VALU_DEP_1) | instskip(NEXT) | instid1(VALU_DEP_1)
	v_mov_b32_dpp v64, v63 row_shr:2 row_mask:0xf bank_mask:0xf
	v_cndmask_b32_e64 v64, 0, v64, s3
	s_delay_alu instid0(VALU_DEP_1) | instskip(NEXT) | instid1(VALU_DEP_1)
	v_add_nc_u32_e32 v63, v63, v64
	v_mov_b32_dpp v64, v63 row_shr:4 row_mask:0xf bank_mask:0xf
	s_delay_alu instid0(VALU_DEP_1) | instskip(NEXT) | instid1(VALU_DEP_1)
	v_cndmask_b32_e64 v64, 0, v64, s4
	v_add_nc_u32_e32 v63, v63, v64
	s_delay_alu instid0(VALU_DEP_1) | instskip(NEXT) | instid1(VALU_DEP_1)
	v_mov_b32_dpp v64, v63 row_shr:8 row_mask:0xf bank_mask:0xf
	v_cndmask_b32_e64 v64, 0, v64, s5
	s_delay_alu instid0(VALU_DEP_1)
	v_add_nc_u32_e32 v63, v63, v64
	ds_store_b32 v62, v63
.LBB2051_57:
	s_or_b32 exec_lo, exec_lo, s7
	v_mov_b32_e32 v62, 0
	s_mov_b32 s3, exec_lo
	s_wait_dscnt 0x0
	s_barrier_signal -1
	s_barrier_wait -1
	v_cmpx_lt_u32_e32 31, v14
; %bb.58:
	v_lshl_add_u32 v61, v61, 2, -4
	ds_load_b32 v62, v61
; %bb.59:
	s_or_b32 exec_lo, exec_lo, s3
	v_sub_co_u32 v61, vcc_lo, v15, 1
	s_wait_dscnt 0x0
	v_add_nc_u32_e32 v60, v62, v60
	s_delay_alu instid0(VALU_DEP_2) | instskip(NEXT) | instid1(VALU_DEP_1)
	v_cmp_gt_i32_e64 s3, 0, v61
	v_cndmask_b32_e64 v61, v61, v15, s3
	v_cmp_gt_u32_e64 s3, 0x100, v14
	s_delay_alu instid0(VALU_DEP_2) | instskip(SKIP_4) | instid1(VALU_DEP_2)
	v_lshlrev_b32_e32 v61, 2, v61
	ds_bpermute_b32 v60, v61, v60
	s_wait_dscnt 0x0
	v_cndmask_b32_e32 v60, v60, v62, vcc_lo
	v_cmp_lt_u32_e32 vcc_lo, 0xff, v14
	v_cndmask_b32_e64 v60, v60, 0, s2
	s_delay_alu instid0(VALU_DEP_1) | instskip(NEXT) | instid1(VALU_DEP_1)
	v_add_nc_u32_e32 v8, v60, v8
	v_add_nc_u32_e32 v9, v8, v9
	s_delay_alu instid0(VALU_DEP_1) | instskip(NEXT) | instid1(VALU_DEP_1)
	v_add_nc_u32_e32 v6, v9, v6
	v_add_nc_u32_e32 v7, v6, v7
	s_delay_alu instid0(VALU_DEP_1) | instskip(NEXT) | instid1(VALU_DEP_1)
	v_add_nc_u32_e32 v4, v7, v4
	v_add_nc_u32_e32 v5, v4, v5
	s_delay_alu instid0(VALU_DEP_1) | instskip(NEXT) | instid1(VALU_DEP_1)
	v_add_nc_u32_e32 v2, v5, v2
	v_add_nc_u32_e32 v3, v2, v3
	ds_store_2addr_b32 v12, v60, v8 offset0:16 offset1:17
	ds_store_2addr_b32 v12, v9, v6 offset0:18 offset1:19
	;; [unrolled: 1-line block ×4, first 2 shown]
	ds_store_b32 v12, v3 offset:96
	s_wait_dscnt 0x0
	s_barrier_signal -1
	s_barrier_wait -1
	ds_load_b32 v61, v13 offset:64
	ds_load_b32 v62, v20 offset:64
	;; [unrolled: 1-line block ×12, first 2 shown]
	v_mov_b64_e32 v[2:3], 0
                                        ; implicit-def: $vgpr4
	s_and_saveexec_b32 s5, s3
	s_cbranch_execz .LBB2051_63
; %bb.60:
	v_mul_u32_u24_e32 v2, 0x44, v14
	v_dual_mov_b32 v3, 0x1800 :: v_dual_add_nc_u32 v4, 1, v14
	s_mov_b32 s6, exec_lo
	ds_load_b32 v2, v2 offset:64
	v_cmpx_ne_u32_e32 0x100, v4
; %bb.61:
	v_mul_u32_u24_e32 v3, 0x44, v4
	ds_load_b32 v3, v3 offset:64
; %bb.62:
	s_or_b32 exec_lo, exec_lo, s6
	s_wait_dscnt 0x0
	v_dual_mov_b32 v3, 0 :: v_dual_sub_nc_u32 v4, v3, v2
.LBB2051_63:
	s_or_b32 exec_lo, exec_lo, s5
	v_dual_lshlrev_b32 v10, 1, v10 :: v_dual_lshlrev_b32 v19, 1, v19
	s_wait_dscnt 0xa
	v_lshlrev_b32_e32 v28, 1, v62
	v_dual_lshlrev_b32 v18, 1, v18 :: v_dual_lshlrev_b32 v23, 1, v23
	s_delay_alu instid0(VALU_DEP_3) | instskip(SKIP_2) | instid1(VALU_DEP_3)
	v_lshl_add_u32 v10, v61, 1, v10
	v_lshlrev_b32_e32 v22, 1, v22
	s_wait_dscnt 0x0
	v_add3_u32 v18, v28, v19, v18
	v_lshlrev_b32_e32 v19, 1, v60
	s_barrier_signal -1
	s_barrier_wait -1
	ds_store_b16 v10, v1 offset:2048
	ds_store_b16 v18, v11 offset:2048
	v_lshlrev_b32_e32 v10, 1, v24
	v_add3_u32 v1, v19, v23, v22
	v_dual_lshlrev_b32 v11, 1, v27 :: v_dual_lshlrev_b32 v18, 1, v26
	v_dual_lshlrev_b32 v22, 1, v29 :: v_dual_lshlrev_b32 v23, 1, v34
	;; [unrolled: 1-line block ×6, first 2 shown]
	ds_store_b16 v1, v17 offset:2048
	v_add3_u32 v1, v10, v11, v18
	v_add3_u32 v11, v13, v23, v24
	v_dual_lshlrev_b32 v13, 1, v43 :: v_dual_lshlrev_b32 v17, 1, v42
	v_add3_u32 v10, v19, v20, v22
	v_add3_u32 v12, v12, v26, v27
	ds_store_b16 v1, v21 offset:2048
	ds_store_b16 v10, v25 offset:2048
	;; [unrolled: 1-line block ×4, first 2 shown]
	v_add3_u32 v1, v9, v13, v17
	v_dual_lshlrev_b32 v8, 1, v8 :: v_dual_lshlrev_b32 v9, 1, v47
	v_dual_lshlrev_b32 v10, 1, v46 :: v_dual_lshlrev_b32 v7, 1, v7
	;; [unrolled: 1-line block ×6, first 2 shown]
	ds_store_b16 v1, v37 offset:2048
	v_add3_u32 v8, v8, v9, v10
	v_add3_u32 v9, v7, v11, v12
	v_dual_mov_b32 v7, 0 :: v_dual_lshlrev_b32 v1, 3, v14
	v_add3_u32 v6, v6, v13, v17
	v_add3_u32 v5, v5, v18, v19
	ds_store_b16 v8, v41 offset:2048
	ds_store_b16 v9, v45 offset:2048
	;; [unrolled: 1-line block ×4, first 2 shown]
	s_and_saveexec_b32 s4, s3
	s_cbranch_execz .LBB2051_73
; %bb.64:
	v_lshl_add_u32 v6, s23, 8, v14
	v_dual_mov_b32 v10, 0 :: v_dual_bitop2_b32 v5, 2.0, v4 bitop3:0x54
	s_mov_b32 s5, 0
	s_mov_b32 s6, s23
	s_delay_alu instid0(VALU_DEP_2)
	v_lshl_add_u64 v[8:9], v[6:7], 2, s[10:11]
	global_store_b32 v6, v5, s[10:11] scale_offset scope:SCOPE_DEV
                                        ; implicit-def: $sgpr3
	s_branch .LBB2051_67
.LBB2051_65:                            ;   in Loop: Header=BB2051_67 Depth=1
	s_or_b32 exec_lo, exec_lo, s8
.LBB2051_66:                            ;   in Loop: Header=BB2051_67 Depth=1
	s_delay_alu instid0(SALU_CYCLE_1) | instskip(SKIP_2) | instid1(VALU_DEP_2)
	s_or_b32 exec_lo, exec_lo, s7
	v_and_b32_e32 v6, 0x3fffffff, v5
	v_cmp_gt_i32_e64 s3, -2.0, v5
	v_add_nc_u32_e32 v10, v6, v10
	s_and_b32 s7, exec_lo, s3
	s_delay_alu instid0(SALU_CYCLE_1) | instskip(NEXT) | instid1(SALU_CYCLE_1)
	s_or_b32 s5, s7, s5
	s_and_not1_b32 exec_lo, exec_lo, s5
	s_cbranch_execz .LBB2051_72
.LBB2051_67:                            ; =>This Loop Header: Depth=1
                                        ;     Child Loop BB2051_70 Depth 2
	s_or_b32 s3, s3, exec_lo
	s_cmp_eq_u32 s6, 0
	s_cbranch_scc1 .LBB2051_71
; %bb.68:                               ;   in Loop: Header=BB2051_67 Depth=1
	s_add_co_i32 s6, s6, -1
	s_mov_b32 s7, exec_lo
	s_wait_xcnt 0x0
	v_lshl_or_b32 v6, s6, 8, v14
	global_load_b32 v5, v6, s[10:11] scale_offset scope:SCOPE_DEV
	s_wait_loadcnt 0x0
	v_cmpx_gt_u32_e32 2.0, v5
	s_cbranch_execz .LBB2051_66
; %bb.69:                               ;   in Loop: Header=BB2051_67 Depth=1
	v_lshl_add_u64 v[12:13], v[6:7], 2, s[10:11]
	s_mov_b32 s8, 0
.LBB2051_70:                            ;   Parent Loop BB2051_67 Depth=1
                                        ; =>  This Inner Loop Header: Depth=2
	global_load_b32 v5, v[12:13], off scope:SCOPE_DEV
	s_wait_loadcnt 0x0
	v_cmp_lt_u32_e64 s3, 0x3fffffff, v5
	s_or_b32 s8, s3, s8
	s_wait_xcnt 0x0
	s_and_not1_b32 exec_lo, exec_lo, s8
	s_cbranch_execnz .LBB2051_70
	s_branch .LBB2051_65
.LBB2051_71:                            ;   in Loop: Header=BB2051_67 Depth=1
                                        ; implicit-def: $sgpr6
	s_and_b32 s7, exec_lo, s3
	s_delay_alu instid0(SALU_CYCLE_1)
	s_or_b32 s5, s7, s5
	s_wait_xcnt 0x0
	s_and_not1_b32 exec_lo, exec_lo, s5
	s_cbranch_execnz .LBB2051_67
.LBB2051_72:
	s_or_b32 exec_lo, exec_lo, s5
	v_dual_add_nc_u32 v5, v10, v4 :: v_dual_mov_b32 v11, 0
	s_delay_alu instid0(VALU_DEP_1)
	v_or_b32_e32 v5, 0x80000000, v5
	global_store_b32 v[8:9], v5, off scope:SCOPE_DEV
	global_load_b64 v[6:7], v14, s[12:13] scale_offset
	s_wait_xcnt 0x1
	v_sub_nc_u64_e32 v[8:9], v[10:11], v[2:3]
	s_wait_loadcnt 0x0
	s_delay_alu instid0(VALU_DEP_1)
	v_add_nc_u64_e32 v[6:7], v[8:9], v[6:7]
	ds_store_b64 v1, v[6:7]
.LBB2051_73:
	s_wait_xcnt 0x0
	s_or_b32 exec_lo, exec_lo, s4
	v_mad_i32_i24 v5, v14, -6, v1
	s_mov_b32 s4, exec_lo
	s_wait_storecnt_dscnt 0x0
	s_barrier_signal -1
	s_barrier_wait -1
	v_cmpx_gt_u32_e64 s22, v14
	s_cbranch_execz .LBB2051_75
; %bb.74:
	ds_load_u16 v10, v5 offset:2048
	v_dual_mov_b32 v9, 0 :: v_dual_lshlrev_b32 v8, 1, v14
	s_wait_dscnt 0x0
	v_cmp_ne_u16_e64 s3, 0x7fff, v10
	s_delay_alu instid0(VALU_DEP_1) | instskip(SKIP_1) | instid1(VALU_DEP_2)
	v_cndmask_b32_e64 v6, 0xffff8000, v10, s3
	v_cmp_lt_i16_e64 s3, -1, v10
	v_and_b32_e32 v6, 0xffff, v6
	s_delay_alu instid0(VALU_DEP_2) | instskip(NEXT) | instid1(VALU_DEP_2)
	v_cndmask_b32_e64 v11, 0xffff8000, -1, s3
	v_lshrrev_b32_e32 v6, s20, v6
	s_delay_alu instid0(VALU_DEP_1) | instskip(NEXT) | instid1(VALU_DEP_1)
	v_and_b32_e32 v6, s29, v6
	v_lshlrev_b32_e32 v6, 3, v6
	ds_load_b64 v[6:7], v6
	s_wait_dscnt 0x0
	v_lshl_add_u64 v[6:7], v[6:7], 1, s[18:19]
	s_delay_alu instid0(VALU_DEP_1)
	v_add_nc_u64_e32 v[6:7], v[6:7], v[8:9]
	v_xor_b32_e32 v8, v11, v10
	global_store_b16 v[6:7], v8, off
.LBB2051_75:
	s_wait_xcnt 0x0
	s_or_b32 exec_lo, exec_lo, s4
	v_add_nc_u32_e32 v6, 0x200, v14
	s_mov_b32 s4, exec_lo
	s_delay_alu instid0(VALU_DEP_1)
	v_cmpx_gt_u32_e64 s22, v6
	s_cbranch_execz .LBB2051_77
; %bb.76:
	ds_load_u16 v10, v5 offset:3072
	v_dual_mov_b32 v9, 0 :: v_dual_lshlrev_b32 v8, 1, v14
	s_wait_dscnt 0x0
	v_cmp_ne_u16_e64 s3, 0x7fff, v10
	s_delay_alu instid0(VALU_DEP_1) | instskip(SKIP_1) | instid1(VALU_DEP_2)
	v_cndmask_b32_e64 v6, 0xffff8000, v10, s3
	v_cmp_lt_i16_e64 s3, -1, v10
	v_and_b32_e32 v6, 0xffff, v6
	s_delay_alu instid0(VALU_DEP_2) | instskip(NEXT) | instid1(VALU_DEP_2)
	v_cndmask_b32_e64 v11, 0xffff8000, -1, s3
	v_lshrrev_b32_e32 v6, s20, v6
	s_delay_alu instid0(VALU_DEP_1) | instskip(NEXT) | instid1(VALU_DEP_1)
	v_and_b32_e32 v6, s29, v6
	v_lshlrev_b32_e32 v6, 3, v6
	ds_load_b64 v[6:7], v6
	s_wait_dscnt 0x0
	v_lshl_add_u64 v[6:7], v[6:7], 1, s[18:19]
	s_delay_alu instid0(VALU_DEP_1)
	v_add_nc_u64_e32 v[6:7], v[6:7], v[8:9]
	v_xor_b32_e32 v8, v11, v10
	global_store_b16 v[6:7], v8, off offset:1024
.LBB2051_77:
	s_wait_xcnt 0x0
	s_or_b32 exec_lo, exec_lo, s4
	v_or_b32_e32 v6, 0x400, v14
	s_mov_b32 s4, exec_lo
	s_delay_alu instid0(VALU_DEP_1)
	v_cmpx_gt_u32_e64 s22, v6
	s_cbranch_execz .LBB2051_79
; %bb.78:
	ds_load_u16 v10, v5 offset:4096
	v_dual_mov_b32 v9, 0 :: v_dual_lshlrev_b32 v8, 1, v14
	s_wait_dscnt 0x0
	v_cmp_ne_u16_e64 s3, 0x7fff, v10
	s_delay_alu instid0(VALU_DEP_1) | instskip(SKIP_1) | instid1(VALU_DEP_2)
	v_cndmask_b32_e64 v6, 0xffff8000, v10, s3
	v_cmp_lt_i16_e64 s3, -1, v10
	v_and_b32_e32 v6, 0xffff, v6
	s_delay_alu instid0(VALU_DEP_2) | instskip(NEXT) | instid1(VALU_DEP_2)
	v_cndmask_b32_e64 v11, 0xffff8000, -1, s3
	v_lshrrev_b32_e32 v6, s20, v6
	s_delay_alu instid0(VALU_DEP_1) | instskip(NEXT) | instid1(VALU_DEP_1)
	v_and_b32_e32 v6, s29, v6
	v_lshlrev_b32_e32 v6, 3, v6
	ds_load_b64 v[6:7], v6
	s_wait_dscnt 0x0
	v_lshl_add_u64 v[6:7], v[6:7], 1, s[18:19]
	s_delay_alu instid0(VALU_DEP_1)
	v_add_nc_u64_e32 v[6:7], v[6:7], v[8:9]
	v_xor_b32_e32 v8, v11, v10
	global_store_b16 v[6:7], v8, off offset:2048
.LBB2051_79:
	s_wait_xcnt 0x0
	s_or_b32 exec_lo, exec_lo, s4
	v_add_nc_u32_e32 v6, 0x600, v14
	s_mov_b32 s4, exec_lo
	s_delay_alu instid0(VALU_DEP_1)
	v_cmpx_gt_u32_e64 s22, v6
	s_cbranch_execz .LBB2051_81
; %bb.80:
	ds_load_u16 v10, v5 offset:5120
	v_dual_mov_b32 v9, 0 :: v_dual_lshlrev_b32 v8, 1, v14
	s_wait_dscnt 0x0
	v_cmp_ne_u16_e64 s3, 0x7fff, v10
	s_delay_alu instid0(VALU_DEP_1) | instskip(SKIP_1) | instid1(VALU_DEP_2)
	v_cndmask_b32_e64 v6, 0xffff8000, v10, s3
	v_cmp_lt_i16_e64 s3, -1, v10
	v_and_b32_e32 v6, 0xffff, v6
	s_delay_alu instid0(VALU_DEP_2) | instskip(NEXT) | instid1(VALU_DEP_2)
	v_cndmask_b32_e64 v11, 0xffff8000, -1, s3
	v_lshrrev_b32_e32 v6, s20, v6
	s_delay_alu instid0(VALU_DEP_1) | instskip(NEXT) | instid1(VALU_DEP_1)
	v_and_b32_e32 v6, s29, v6
	v_lshlrev_b32_e32 v6, 3, v6
	ds_load_b64 v[6:7], v6
	s_wait_dscnt 0x0
	v_lshl_add_u64 v[6:7], v[6:7], 1, s[18:19]
	s_delay_alu instid0(VALU_DEP_1)
	v_add_nc_u64_e32 v[6:7], v[6:7], v[8:9]
	v_xor_b32_e32 v8, v11, v10
	global_store_b16 v[6:7], v8, off offset:3072
.LBB2051_81:
	s_wait_xcnt 0x0
	s_or_b32 exec_lo, exec_lo, s4
	v_or_b32_e32 v6, 0x800, v14
	s_mov_b32 s4, exec_lo
	s_delay_alu instid0(VALU_DEP_1)
	v_cmpx_gt_u32_e64 s22, v6
	s_cbranch_execz .LBB2051_83
; %bb.82:
	ds_load_u16 v10, v5 offset:6144
	v_dual_mov_b32 v9, 0 :: v_dual_lshlrev_b32 v8, 1, v14
	s_wait_dscnt 0x0
	v_cmp_ne_u16_e64 s3, 0x7fff, v10
	s_delay_alu instid0(VALU_DEP_1) | instskip(SKIP_1) | instid1(VALU_DEP_2)
	v_cndmask_b32_e64 v6, 0xffff8000, v10, s3
	v_cmp_lt_i16_e64 s3, -1, v10
	v_and_b32_e32 v6, 0xffff, v6
	s_delay_alu instid0(VALU_DEP_2) | instskip(NEXT) | instid1(VALU_DEP_2)
	v_cndmask_b32_e64 v11, 0xffff8000, -1, s3
	v_lshrrev_b32_e32 v6, s20, v6
	s_delay_alu instid0(VALU_DEP_1) | instskip(NEXT) | instid1(VALU_DEP_1)
	v_and_b32_e32 v6, s29, v6
	v_lshlrev_b32_e32 v6, 3, v6
	ds_load_b64 v[6:7], v6
	s_wait_dscnt 0x0
	v_lshl_add_u64 v[6:7], v[6:7], 1, s[18:19]
	s_delay_alu instid0(VALU_DEP_1)
	v_add_nc_u64_e32 v[6:7], v[6:7], v[8:9]
	v_xor_b32_e32 v8, v11, v10
	global_store_b16 v[6:7], v8, off offset:4096
.LBB2051_83:
	;; [unrolled: 60-line block ×3, first 2 shown]
	s_wait_xcnt 0x0
	s_or_b32 exec_lo, exec_lo, s4
	v_add_nc_u32_e32 v6, 0xe00, v14
	s_mov_b32 s4, exec_lo
	s_delay_alu instid0(VALU_DEP_1)
	v_cmpx_gt_u32_e64 s22, v6
	s_cbranch_execz .LBB2051_89
; %bb.88:
	ds_load_u16 v5, v5 offset:9216
	v_dual_mov_b32 v9, 0 :: v_dual_lshlrev_b32 v8, 1, v14
	s_wait_dscnt 0x0
	v_cmp_ne_u16_e64 s3, 0x7fff, v5
	s_delay_alu instid0(VALU_DEP_1) | instskip(SKIP_1) | instid1(VALU_DEP_2)
	v_cndmask_b32_e64 v6, 0xffff8000, v5, s3
	v_cmp_lt_i16_e64 s3, -1, v5
	v_and_b32_e32 v6, 0xffff, v6
	s_delay_alu instid0(VALU_DEP_2) | instskip(NEXT) | instid1(VALU_DEP_1)
	v_cndmask_b32_e64 v10, 0xffff8000, -1, s3
	v_dual_lshrrev_b32 v6, s20, v6 :: v_dual_bitop2_b32 v5, v10, v5 bitop3:0x14
	s_delay_alu instid0(VALU_DEP_1) | instskip(NEXT) | instid1(VALU_DEP_1)
	v_and_b32_e32 v6, s29, v6
	v_lshlrev_b32_e32 v6, 3, v6
	ds_load_b64 v[6:7], v6
	s_wait_dscnt 0x0
	v_lshl_add_u64 v[6:7], v[6:7], 1, s[18:19]
	s_delay_alu instid0(VALU_DEP_1)
	v_add_nc_u64_e32 v[6:7], v[6:7], v[8:9]
	global_store_b16 v[6:7], v5, off offset:7168
.LBB2051_89:
	s_wait_xcnt 0x0
	s_or_b32 exec_lo, exec_lo, s4
	v_or_b32_e32 v5, 0x1000, v14
	s_mov_b32 s4, exec_lo
	s_delay_alu instid0(VALU_DEP_1)
	v_cmpx_gt_u32_e64 s22, v5
	s_cbranch_execz .LBB2051_91
; %bb.90:
	v_lshlrev_b32_e32 v6, 1, v14
	ds_load_u16 v5, v6 offset:10240
	s_wait_dscnt 0x0
	v_cmp_ne_u16_e64 s3, 0x7fff, v5
	s_delay_alu instid0(VALU_DEP_1) | instskip(SKIP_1) | instid1(VALU_DEP_2)
	v_cndmask_b32_e64 v7, 0xffff8000, v5, s3
	v_cmp_lt_i16_e64 s3, -1, v5
	v_and_b32_e32 v7, 0xffff, v7
	s_delay_alu instid0(VALU_DEP_2) | instskip(NEXT) | instid1(VALU_DEP_1)
	v_cndmask_b32_e64 v10, 0xffff8000, -1, s3
	v_dual_lshrrev_b32 v7, s20, v7 :: v_dual_bitop2_b32 v5, v10, v5 bitop3:0x14
	s_delay_alu instid0(VALU_DEP_1) | instskip(NEXT) | instid1(VALU_DEP_1)
	v_and_b32_e32 v7, s29, v7
	v_lshlrev_b32_e32 v7, 3, v7
	ds_load_b64 v[8:9], v7
	v_mov_b32_e32 v7, 0
	s_wait_dscnt 0x0
	v_lshl_add_u64 v[8:9], v[8:9], 1, s[18:19]
	s_delay_alu instid0(VALU_DEP_1)
	v_add_nc_u64_e32 v[6:7], v[8:9], v[6:7]
	global_store_b16 v[6:7], v5, off offset:8192
.LBB2051_91:
	s_wait_xcnt 0x0
	s_or_b32 exec_lo, exec_lo, s4
	v_add_nc_u32_e32 v5, 0x1200, v14
	s_mov_b32 s4, exec_lo
	s_delay_alu instid0(VALU_DEP_1)
	v_cmpx_gt_u32_e64 s22, v5
	s_cbranch_execz .LBB2051_93
; %bb.92:
	v_lshlrev_b32_e32 v6, 1, v14
	ds_load_u16 v5, v6 offset:11264
	s_wait_dscnt 0x0
	v_cmp_ne_u16_e64 s3, 0x7fff, v5
	s_delay_alu instid0(VALU_DEP_1) | instskip(SKIP_1) | instid1(VALU_DEP_2)
	v_cndmask_b32_e64 v7, 0xffff8000, v5, s3
	v_cmp_lt_i16_e64 s3, -1, v5
	v_and_b32_e32 v7, 0xffff, v7
	s_delay_alu instid0(VALU_DEP_2) | instskip(NEXT) | instid1(VALU_DEP_1)
	v_cndmask_b32_e64 v10, 0xffff8000, -1, s3
	v_dual_lshrrev_b32 v7, s20, v7 :: v_dual_bitop2_b32 v5, v10, v5 bitop3:0x14
	s_delay_alu instid0(VALU_DEP_1) | instskip(NEXT) | instid1(VALU_DEP_1)
	v_and_b32_e32 v7, s29, v7
	v_lshlrev_b32_e32 v7, 3, v7
	ds_load_b64 v[8:9], v7
	v_mov_b32_e32 v7, 0
	s_wait_dscnt 0x0
	v_lshl_add_u64 v[8:9], v[8:9], 1, s[18:19]
	s_delay_alu instid0(VALU_DEP_1)
	v_add_nc_u64_e32 v[6:7], v[8:9], v[6:7]
	global_store_b16 v[6:7], v5, off offset:9216
.LBB2051_93:
	s_wait_xcnt 0x0
	s_or_b32 exec_lo, exec_lo, s4
	v_or_b32_e32 v5, 0x1400, v14
	s_mov_b32 s4, exec_lo
	s_delay_alu instid0(VALU_DEP_1)
	v_cmpx_gt_u32_e64 s22, v5
	s_cbranch_execz .LBB2051_95
; %bb.94:
	v_lshlrev_b32_e32 v6, 1, v14
	ds_load_u16 v5, v6 offset:12288
	s_wait_dscnt 0x0
	v_cmp_ne_u16_e64 s3, 0x7fff, v5
	s_delay_alu instid0(VALU_DEP_1) | instskip(SKIP_1) | instid1(VALU_DEP_2)
	v_cndmask_b32_e64 v7, 0xffff8000, v5, s3
	v_cmp_lt_i16_e64 s3, -1, v5
	v_and_b32_e32 v7, 0xffff, v7
	s_delay_alu instid0(VALU_DEP_2) | instskip(NEXT) | instid1(VALU_DEP_1)
	v_cndmask_b32_e64 v10, 0xffff8000, -1, s3
	v_dual_lshrrev_b32 v7, s20, v7 :: v_dual_bitop2_b32 v5, v10, v5 bitop3:0x14
	s_delay_alu instid0(VALU_DEP_1) | instskip(NEXT) | instid1(VALU_DEP_1)
	v_and_b32_e32 v7, s29, v7
	v_lshlrev_b32_e32 v7, 3, v7
	ds_load_b64 v[8:9], v7
	v_mov_b32_e32 v7, 0
	s_wait_dscnt 0x0
	v_lshl_add_u64 v[8:9], v[8:9], 1, s[18:19]
	s_delay_alu instid0(VALU_DEP_1)
	v_add_nc_u64_e32 v[6:7], v[8:9], v[6:7]
	global_store_b16 v[6:7], v5, off offset:10240
.LBB2051_95:
	s_wait_xcnt 0x0
	s_or_b32 exec_lo, exec_lo, s4
	v_add_nc_u32_e32 v5, 0x1600, v14
	s_mov_b32 s4, exec_lo
	s_delay_alu instid0(VALU_DEP_1)
	v_cmpx_gt_u32_e64 s22, v5
	s_cbranch_execz .LBB2051_97
; %bb.96:
	v_lshlrev_b32_e32 v6, 1, v14
	ds_load_u16 v5, v6 offset:13312
	s_wait_dscnt 0x0
	v_cmp_ne_u16_e64 s3, 0x7fff, v5
	s_delay_alu instid0(VALU_DEP_1) | instskip(SKIP_1) | instid1(VALU_DEP_2)
	v_cndmask_b32_e64 v7, 0xffff8000, v5, s3
	v_cmp_lt_i16_e64 s3, -1, v5
	v_and_b32_e32 v7, 0xffff, v7
	s_delay_alu instid0(VALU_DEP_2) | instskip(NEXT) | instid1(VALU_DEP_1)
	v_cndmask_b32_e64 v10, 0xffff8000, -1, s3
	v_dual_lshrrev_b32 v7, s20, v7 :: v_dual_bitop2_b32 v5, v10, v5 bitop3:0x14
	s_delay_alu instid0(VALU_DEP_1) | instskip(NEXT) | instid1(VALU_DEP_1)
	v_and_b32_e32 v7, s29, v7
	v_lshlrev_b32_e32 v7, 3, v7
	ds_load_b64 v[8:9], v7
	v_mov_b32_e32 v7, 0
	s_wait_dscnt 0x0
	v_lshl_add_u64 v[8:9], v[8:9], 1, s[18:19]
	s_delay_alu instid0(VALU_DEP_1)
	v_add_nc_u64_e32 v[6:7], v[8:9], v[6:7]
	global_store_b16 v[6:7], v5, off offset:11264
.LBB2051_97:
	s_wait_xcnt 0x0
	s_or_b32 exec_lo, exec_lo, s4
	s_add_co_i32 s25, s25, -1
	s_delay_alu instid0(SALU_CYCLE_1) | instskip(SKIP_2) | instid1(SALU_CYCLE_1)
	s_cmp_eq_u32 s23, s25
	s_cselect_b32 s3, -1, 0
	s_xor_b32 s4, vcc_lo, -1
	s_and_b32 s4, s4, s3
	s_delay_alu instid0(SALU_CYCLE_1)
	s_and_saveexec_b32 s3, s4
	s_cbranch_execz .LBB2051_99
; %bb.98:
	ds_load_b64 v[6:7], v1
	v_mov_b32_e32 v5, 0
	s_delay_alu instid0(VALU_DEP_1) | instskip(SKIP_1) | instid1(VALU_DEP_1)
	v_add_nc_u64_e32 v[2:3], v[2:3], v[4:5]
	s_wait_dscnt 0x0
	v_add_nc_u64_e32 v[2:3], v[2:3], v[6:7]
	global_store_b64 v14, v[2:3], s[14:15] scale_offset
.LBB2051_99:
	s_wait_xcnt 0x0
	s_or_b32 exec_lo, exec_lo, s3
	s_mov_b32 s4, 0
.LBB2051_100:
	s_delay_alu instid0(SALU_CYCLE_1)
	s_and_b32 vcc_lo, exec_lo, s4
	s_cbranch_vccz .LBB2051_147
; %bb.101:
	s_mov_b32 s25, 0
	v_dual_mov_b32 v9, 0 :: v_dual_lshlrev_b32 v8, 1, v15
	s_lshl_b64 s[4:5], s[24:25], 1
	v_mul_u32_u24_e32 v1, 12, v16
	s_add_nc_u64 s[4:5], s[16:17], s[4:5]
	v_bfe_u32 v12, v0, 10, 10
	v_add_nc_u64_e32 v[2:3], s[4:5], v[8:9]
	v_bfe_u32 v0, v0, 20, 10
	v_lshlrev_b32_e32 v8, 1, v1
	s_delay_alu instid0(VALU_DEP_1)
	v_add_nc_u64_e32 v[18:19], v[2:3], v[8:9]
	s_clause 0xb
	global_load_u16 v8, v[18:19], off
	global_load_u16 v10, v[18:19], off offset:64
	global_load_u16 v13, v[18:19], off offset:128
	;; [unrolled: 1-line block ×11, first 2 shown]
	s_clause 0x1
	s_load_b32 s8, s[0:1], 0x58
	s_load_u16 s3, s[0:1], 0x66
	s_wait_xcnt 0x0
	s_bfe_u32 s0, ttmp6, 0x4000c
	s_and_b32 s1, ttmp6, 15
	s_add_co_i32 s0, s0, 1
	s_delay_alu instid0(SALU_CYCLE_1) | instskip(NEXT) | instid1(SALU_CYCLE_1)
	s_mul_i32 s0, ttmp9, s0
	s_add_co_i32 s1, s1, s0
	s_cmp_eq_u32 s28, 0
	s_cselect_b32 s0, ttmp9, s1
	s_wait_kmcnt 0x0
	s_cmp_lt_u32 s0, s8
	v_mad_u32_u24 v0, v0, s3, v12
	s_cselect_b32 s24, 12, 18
	s_lshl_b32 s9, -1, s21
	s_add_nc_u64 s[0:1], s[26:27], s[24:25]
	s_load_u16 s16, s[0:1], 0x0
	s_wait_kmcnt 0x0
	v_mad_u32 v0, v0, s16, v14
	s_delay_alu instid0(VALU_DEP_1) | instskip(NEXT) | instid1(VALU_DEP_1)
	v_lshrrev_b32_e32 v0, 5, v0
	v_lshlrev_b32_e32 v0, 2, v0
	s_wait_loadcnt 0xb
	v_cmp_lt_i16_e32 vcc_lo, -1, v8
	v_cndmask_b32_e64 v11, -1, 0xffff8000, vcc_lo
	s_delay_alu instid0(VALU_DEP_1) | instskip(NEXT) | instid1(VALU_DEP_1)
	v_xor_b32_e32 v8, v11, v8
	v_cmp_ne_u16_e32 vcc_lo, 0x7fff, v8
	v_cndmask_b32_e32 v11, 0xffff8000, v8, vcc_lo
	s_delay_alu instid0(VALU_DEP_1) | instskip(NEXT) | instid1(VALU_DEP_1)
	v_and_b32_e32 v11, 0xffff, v11
	v_lshrrev_b32_e32 v11, s20, v11
	s_delay_alu instid0(VALU_DEP_1) | instskip(SKIP_2) | instid1(VALU_DEP_2)
	v_bitop3_b32 v12, v11, 1, s9 bitop3:0x40
	v_bitop3_b32 v18, v11, s9, v11 bitop3:0x30
	s_not_b32 s9, s9
	v_add_co_u32 v11, s0, v12, -1
	s_delay_alu instid0(VALU_DEP_1) | instskip(NEXT) | instid1(VALU_DEP_3)
	v_cndmask_b32_e64 v12, 0, 1, s0
	v_dual_lshlrev_b32 v17, 30, v18 :: v_dual_lshlrev_b32 v19, 29, v18
	v_dual_lshlrev_b32 v21, 28, v18 :: v_dual_lshlrev_b32 v22, 27, v18
	s_delay_alu instid0(VALU_DEP_3) | instskip(NEXT) | instid1(VALU_DEP_3)
	v_cmp_ne_u32_e32 vcc_lo, 0, v12
	v_not_b32_e32 v12, v17
	v_dual_lshlrev_b32 v23, 26, v18 :: v_dual_lshlrev_b32 v25, 25, v18
	v_lshlrev_b32_e32 v26, 24, v18
	v_cmp_gt_i32_e64 s0, 0, v17
	v_cmp_gt_i32_e64 s1, 0, v19
	v_not_b32_e32 v17, v19
	v_not_b32_e32 v19, v21
	v_ashrrev_i32_e32 v12, 31, v12
	v_cmp_gt_i32_e64 s3, 0, v21
	v_cmp_gt_i32_e64 s4, 0, v22
	v_not_b32_e32 v21, v22
	v_not_b32_e32 v22, v23
	v_dual_ashrrev_i32 v17, 31, v17 :: v_dual_bitop2_b32 v11, vcc_lo, v11 bitop3:0x14
	v_dual_ashrrev_i32 v19, 31, v19 :: v_dual_bitop2_b32 v12, s0, v12 bitop3:0x14
	v_cmp_gt_i32_e64 s5, 0, v23
	v_cmp_gt_i32_e64 s6, 0, v25
	v_not_b32_e32 v23, v25
	v_not_b32_e32 v25, v26
	v_dual_ashrrev_i32 v21, 31, v21 :: v_dual_ashrrev_i32 v22, 31, v22
	v_xor_b32_e32 v17, s1, v17
	v_xor_b32_e32 v19, s3, v19
	v_bitop3_b32 v11, v11, v12, exec_lo bitop3:0x80
	v_cmp_gt_i32_e64 s7, 0, v26
	v_dual_ashrrev_i32 v12, 31, v23 :: v_dual_ashrrev_i32 v23, 31, v25
	v_xor_b32_e32 v21, s4, v21
	v_xor_b32_e32 v22, s5, v22
	v_bitop3_b32 v11, v11, v19, v17 bitop3:0x80
	s_delay_alu instid0(VALU_DEP_4) | instskip(SKIP_1) | instid1(VALU_DEP_3)
	v_xor_b32_e32 v12, s6, v12
	v_xor_b32_e32 v17, s7, v23
	v_bitop3_b32 v19, v11, v22, v21 bitop3:0x80
	v_mul_u32_u24_e32 v11, 36, v14
	ds_store_2addr_b32 v11, v9, v9 offset0:16 offset1:17
	ds_store_2addr_b32 v11, v9, v9 offset0:18 offset1:19
	;; [unrolled: 1-line block ×4, first 2 shown]
	v_bitop3_b32 v17, v19, v17, v12 bitop3:0x80
	ds_store_b32 v11, v9 offset:96
	v_mad_u32_u24 v12, 0x44, v18, v0
	s_wait_storecnt 0x0
	s_wait_loadcnt_dscnt 0x0
	s_barrier_signal -1
	v_mbcnt_lo_u32_b32 v9, v17, 0
	v_cmp_ne_u32_e64 s0, 0, v17
	s_barrier_wait -1
	s_delay_alu instid0(VALU_DEP_2) | instskip(SKIP_1) | instid1(SALU_CYCLE_1)
	v_cmp_eq_u32_e32 vcc_lo, 0, v9
	; wave barrier
	s_and_b32 s1, s0, vcc_lo
	s_and_saveexec_b32 s0, s1
; %bb.102:
	v_bcnt_u32_b32 v17, v17, 0
	ds_store_b32 v12, v17 offset:64
; %bb.103:
	s_or_b32 exec_lo, exec_lo, s0
	v_cmp_lt_i16_e32 vcc_lo, -1, v10
	; wave barrier
	v_cndmask_b32_e64 v17, -1, 0xffff8000, vcc_lo
	s_delay_alu instid0(VALU_DEP_1) | instskip(NEXT) | instid1(VALU_DEP_1)
	v_xor_b32_e32 v10, v17, v10
	v_cmp_ne_u16_e32 vcc_lo, 0x7fff, v10
	v_cndmask_b32_e32 v17, 0xffff8000, v10, vcc_lo
	s_delay_alu instid0(VALU_DEP_1) | instskip(NEXT) | instid1(VALU_DEP_1)
	v_and_b32_e32 v17, 0xffff, v17
	v_lshrrev_b32_e32 v17, s20, v17
	s_delay_alu instid0(VALU_DEP_1) | instskip(SKIP_1) | instid1(VALU_DEP_2)
	v_bitop3_b32 v18, v17, 1, s9 bitop3:0x80
	v_and_b32_e32 v17, s9, v17
	v_add_co_u32 v18, s0, v18, -1
	s_delay_alu instid0(VALU_DEP_1) | instskip(NEXT) | instid1(VALU_DEP_3)
	v_cndmask_b32_e64 v19, 0, 1, s0
	v_lshlrev_b32_e32 v21, 30, v17
	s_delay_alu instid0(VALU_DEP_2) | instskip(NEXT) | instid1(VALU_DEP_2)
	v_cmp_ne_u32_e32 vcc_lo, 0, v19
	v_not_b32_e32 v19, v21
	s_delay_alu instid0(VALU_DEP_1) | instskip(SKIP_4) | instid1(VALU_DEP_4)
	v_dual_ashrrev_i32 v19, 31, v19 :: v_dual_bitop2_b32 v18, vcc_lo, v18 bitop3:0x14
	v_dual_lshlrev_b32 v22, 29, v17 :: v_dual_lshlrev_b32 v23, 28, v17
	v_dual_lshlrev_b32 v25, 27, v17 :: v_dual_lshlrev_b32 v26, 26, v17
	v_lshlrev_b32_e32 v27, 25, v17
	v_cmp_gt_i32_e64 s0, 0, v21
	v_cmp_gt_i32_e64 s1, 0, v22
	v_not_b32_e32 v21, v22
	v_not_b32_e32 v22, v23
	v_lshlrev_b32_e32 v28, 24, v17
	v_cmp_gt_i32_e64 s3, 0, v23
	v_cmp_gt_i32_e64 s4, 0, v25
	v_not_b32_e32 v23, v25
	v_not_b32_e32 v25, v26
	v_dual_ashrrev_i32 v21, 31, v21 :: v_dual_ashrrev_i32 v22, 31, v22
	v_xor_b32_e32 v19, s0, v19
	v_cmp_gt_i32_e64 s5, 0, v26
	v_cmp_gt_i32_e64 s6, 0, v27
	v_not_b32_e32 v26, v27
	v_not_b32_e32 v27, v28
	v_dual_ashrrev_i32 v23, 31, v23 :: v_dual_bitop2_b32 v21, s1, v21 bitop3:0x14
	v_dual_ashrrev_i32 v25, 31, v25 :: v_dual_bitop2_b32 v22, s3, v22 bitop3:0x14
	s_delay_alu instid0(VALU_DEP_3) | instskip(SKIP_4) | instid1(VALU_DEP_4)
	v_ashrrev_i32_e32 v27, 31, v27
	v_bitop3_b32 v18, v18, v19, exec_lo bitop3:0x80
	v_cmp_gt_i32_e64 s7, 0, v28
	v_dual_ashrrev_i32 v26, 31, v26 :: v_dual_bitop2_b32 v23, s4, v23 bitop3:0x14
	v_xor_b32_e32 v25, s5, v25
	v_bitop3_b32 v18, v18, v22, v21 bitop3:0x80
	v_mad_u32_u24 v19, 0x44, v17, v0
	s_delay_alu instid0(VALU_DEP_4) | instskip(SKIP_1) | instid1(VALU_DEP_4)
	v_xor_b32_e32 v21, s6, v26
	v_xor_b32_e32 v22, s7, v27
	v_bitop3_b32 v18, v18, v25, v23 bitop3:0x80
	ds_load_b32 v17, v19 offset:64
	; wave barrier
	v_bitop3_b32 v21, v18, v22, v21 bitop3:0x80
	s_delay_alu instid0(VALU_DEP_1) | instskip(SKIP_1) | instid1(VALU_DEP_2)
	v_mbcnt_lo_u32_b32 v18, v21, 0
	v_cmp_ne_u32_e64 s0, 0, v21
	v_cmp_eq_u32_e32 vcc_lo, 0, v18
	s_and_b32 s1, s0, vcc_lo
	s_delay_alu instid0(SALU_CYCLE_1)
	s_and_saveexec_b32 s0, s1
	s_cbranch_execz .LBB2051_105
; %bb.104:
	s_wait_dscnt 0x0
	v_bcnt_u32_b32 v21, v21, v17
	ds_store_b32 v19, v21 offset:64
.LBB2051_105:
	s_or_b32 exec_lo, exec_lo, s0
	v_cmp_lt_i16_e32 vcc_lo, -1, v13
	; wave barrier
	v_cndmask_b32_e64 v21, -1, 0xffff8000, vcc_lo
	s_delay_alu instid0(VALU_DEP_1) | instskip(NEXT) | instid1(VALU_DEP_1)
	v_xor_b32_e32 v13, v21, v13
	v_cmp_ne_u16_e32 vcc_lo, 0x7fff, v13
	v_cndmask_b32_e32 v21, 0xffff8000, v13, vcc_lo
	s_delay_alu instid0(VALU_DEP_1) | instskip(NEXT) | instid1(VALU_DEP_1)
	v_and_b32_e32 v21, 0xffff, v21
	v_lshrrev_b32_e32 v21, s20, v21
	s_delay_alu instid0(VALU_DEP_1) | instskip(NEXT) | instid1(VALU_DEP_1)
	v_bitop3_b32 v22, v21, 1, s9 bitop3:0x80
	v_add_co_u32 v22, s0, v22, -1
	s_delay_alu instid0(VALU_DEP_1) | instskip(NEXT) | instid1(VALU_DEP_1)
	v_cndmask_b32_e64 v23, 0, 1, s0
	v_cmp_ne_u32_e32 vcc_lo, 0, v23
	s_delay_alu instid0(VALU_DEP_3) | instskip(SKIP_1) | instid1(VALU_DEP_1)
	v_xor_b32_e32 v22, vcc_lo, v22
	v_and_b32_e32 v21, s9, v21
	v_dual_lshlrev_b32 v25, 30, v21 :: v_dual_lshlrev_b32 v26, 29, v21
	v_dual_lshlrev_b32 v27, 28, v21 :: v_dual_lshlrev_b32 v28, 27, v21
	s_delay_alu instid0(VALU_DEP_2) | instskip(SKIP_1) | instid1(VALU_DEP_4)
	v_cmp_gt_i32_e64 s0, 0, v25
	v_not_b32_e32 v23, v25
	v_cmp_gt_i32_e64 s1, 0, v26
	v_not_b32_e32 v25, v26
	;; [unrolled: 2-line block ×3, first 2 shown]
	v_not_b32_e32 v27, v28
	v_ashrrev_i32_e32 v23, 31, v23
	v_cmp_gt_i32_e64 s4, 0, v28
	s_delay_alu instid0(VALU_DEP_3) | instskip(SKIP_1) | instid1(VALU_DEP_4)
	v_dual_ashrrev_i32 v26, 31, v26 :: v_dual_ashrrev_i32 v27, 31, v27
	v_dual_lshlrev_b32 v29, 26, v21 :: v_dual_lshlrev_b32 v30, 25, v21
	v_dual_lshlrev_b32 v31, 24, v21 :: v_dual_bitop2_b32 v23, s0, v23 bitop3:0x14
	s_delay_alu instid0(VALU_DEP_3) | instskip(NEXT) | instid1(VALU_DEP_3)
	v_xor_b32_e32 v27, s4, v27
	v_not_b32_e32 v28, v29
	v_ashrrev_i32_e32 v25, 31, v25
	v_cmp_gt_i32_e64 s5, 0, v29
	v_cmp_gt_i32_e64 s6, 0, v30
	v_not_b32_e32 v29, v30
	v_not_b32_e32 v30, v31
	v_dual_ashrrev_i32 v28, 31, v28 :: v_dual_bitop2_b32 v25, s1, v25 bitop3:0x14
	s_delay_alu instid0(VALU_DEP_3) | instskip(SKIP_2) | instid1(VALU_DEP_4)
	v_dual_ashrrev_i32 v29, 31, v29 :: v_dual_bitop2_b32 v26, s3, v26 bitop3:0x14
	v_bitop3_b32 v22, v22, v23, exec_lo bitop3:0x80
	v_cmp_gt_i32_e64 s7, 0, v31
	v_dual_ashrrev_i32 v30, 31, v30 :: v_dual_bitop2_b32 v28, s5, v28 bitop3:0x14
	v_mad_u32_u24 v23, 0x44, v21, v0
	s_delay_alu instid0(VALU_DEP_4) | instskip(SKIP_1) | instid1(VALU_DEP_4)
	v_bitop3_b32 v22, v22, v26, v25 bitop3:0x80
	v_xor_b32_e32 v25, s6, v29
	v_xor_b32_e32 v26, s7, v30
	ds_load_b32 v21, v23 offset:64
	v_bitop3_b32 v22, v22, v28, v27 bitop3:0x80
	; wave barrier
	s_delay_alu instid0(VALU_DEP_1) | instskip(NEXT) | instid1(VALU_DEP_1)
	v_bitop3_b32 v25, v22, v26, v25 bitop3:0x80
	v_mbcnt_lo_u32_b32 v22, v25, 0
	v_cmp_ne_u32_e64 s0, 0, v25
	s_delay_alu instid0(VALU_DEP_2) | instskip(SKIP_1) | instid1(SALU_CYCLE_1)
	v_cmp_eq_u32_e32 vcc_lo, 0, v22
	s_and_b32 s1, s0, vcc_lo
	s_and_saveexec_b32 s0, s1
	s_cbranch_execz .LBB2051_107
; %bb.106:
	s_wait_dscnt 0x0
	v_bcnt_u32_b32 v25, v25, v21
	ds_store_b32 v23, v25 offset:64
.LBB2051_107:
	s_or_b32 exec_lo, exec_lo, s0
	v_cmp_lt_i16_e32 vcc_lo, -1, v20
	; wave barrier
	v_cndmask_b32_e64 v25, -1, 0xffff8000, vcc_lo
	s_delay_alu instid0(VALU_DEP_1) | instskip(NEXT) | instid1(VALU_DEP_1)
	v_xor_b32_e32 v20, v25, v20
	v_cmp_ne_u16_e32 vcc_lo, 0x7fff, v20
	v_cndmask_b32_e32 v25, 0xffff8000, v20, vcc_lo
	s_delay_alu instid0(VALU_DEP_1) | instskip(NEXT) | instid1(VALU_DEP_1)
	v_and_b32_e32 v25, 0xffff, v25
	v_lshrrev_b32_e32 v25, s20, v25
	s_delay_alu instid0(VALU_DEP_1) | instskip(SKIP_1) | instid1(VALU_DEP_2)
	v_bitop3_b32 v26, v25, 1, s9 bitop3:0x80
	v_and_b32_e32 v25, s9, v25
	v_add_co_u32 v26, s0, v26, -1
	s_delay_alu instid0(VALU_DEP_1) | instskip(NEXT) | instid1(VALU_DEP_3)
	v_cndmask_b32_e64 v27, 0, 1, s0
	v_lshlrev_b32_e32 v28, 30, v25
	s_delay_alu instid0(VALU_DEP_2) | instskip(NEXT) | instid1(VALU_DEP_2)
	v_cmp_ne_u32_e32 vcc_lo, 0, v27
	v_not_b32_e32 v27, v28
	s_delay_alu instid0(VALU_DEP_1) | instskip(SKIP_4) | instid1(VALU_DEP_4)
	v_dual_ashrrev_i32 v27, 31, v27 :: v_dual_bitop2_b32 v26, vcc_lo, v26 bitop3:0x14
	v_dual_lshlrev_b32 v29, 29, v25 :: v_dual_lshlrev_b32 v30, 28, v25
	v_dual_lshlrev_b32 v31, 27, v25 :: v_dual_lshlrev_b32 v32, 26, v25
	v_lshlrev_b32_e32 v33, 25, v25
	v_cmp_gt_i32_e64 s0, 0, v28
	v_cmp_gt_i32_e64 s1, 0, v29
	v_not_b32_e32 v28, v29
	v_not_b32_e32 v29, v30
	v_lshlrev_b32_e32 v34, 24, v25
	v_cmp_gt_i32_e64 s3, 0, v30
	v_cmp_gt_i32_e64 s4, 0, v31
	v_not_b32_e32 v30, v31
	v_cmp_gt_i32_e64 s5, 0, v32
	v_not_b32_e32 v31, v32
	v_not_b32_e32 v32, v33
	v_dual_ashrrev_i32 v28, 31, v28 :: v_dual_ashrrev_i32 v29, 31, v29
	v_xor_b32_e32 v27, s0, v27
	v_cmp_gt_i32_e64 s6, 0, v33
	v_not_b32_e32 v33, v34
	v_dual_ashrrev_i32 v30, 31, v30 :: v_dual_ashrrev_i32 v31, 31, v31
	v_xor_b32_e32 v28, s1, v28
	v_dual_ashrrev_i32 v32, 31, v32 :: v_dual_bitop2_b32 v29, s3, v29 bitop3:0x14
	v_bitop3_b32 v26, v26, v27, exec_lo bitop3:0x80
	v_cmp_gt_i32_e64 s7, 0, v34
	v_dual_ashrrev_i32 v33, 31, v33 :: v_dual_bitop2_b32 v30, s4, v30 bitop3:0x14
	v_xor_b32_e32 v31, s5, v31
	s_delay_alu instid0(VALU_DEP_4) | instskip(SKIP_3) | instid1(VALU_DEP_4)
	v_bitop3_b32 v26, v26, v29, v28 bitop3:0x80
	v_mad_u32_u24 v27, 0x44, v25, v0
	v_xor_b32_e32 v28, s6, v32
	v_xor_b32_e32 v29, s7, v33
	v_bitop3_b32 v26, v26, v31, v30 bitop3:0x80
	ds_load_b32 v25, v27 offset:64
	; wave barrier
	v_bitop3_b32 v28, v26, v29, v28 bitop3:0x80
	s_delay_alu instid0(VALU_DEP_1) | instskip(SKIP_1) | instid1(VALU_DEP_2)
	v_mbcnt_lo_u32_b32 v26, v28, 0
	v_cmp_ne_u32_e64 s0, 0, v28
	v_cmp_eq_u32_e32 vcc_lo, 0, v26
	s_and_b32 s1, s0, vcc_lo
	s_delay_alu instid0(SALU_CYCLE_1)
	s_and_saveexec_b32 s0, s1
	s_cbranch_execz .LBB2051_109
; %bb.108:
	s_wait_dscnt 0x0
	v_bcnt_u32_b32 v28, v28, v25
	ds_store_b32 v27, v28 offset:64
.LBB2051_109:
	s_or_b32 exec_lo, exec_lo, s0
	v_cmp_lt_i16_e32 vcc_lo, -1, v24
	; wave barrier
	v_cndmask_b32_e64 v28, -1, 0xffff8000, vcc_lo
	s_delay_alu instid0(VALU_DEP_1) | instskip(NEXT) | instid1(VALU_DEP_1)
	v_xor_b32_e32 v24, v28, v24
	v_cmp_ne_u16_e32 vcc_lo, 0x7fff, v24
	v_cndmask_b32_e32 v28, 0xffff8000, v24, vcc_lo
	s_delay_alu instid0(VALU_DEP_1) | instskip(NEXT) | instid1(VALU_DEP_1)
	v_and_b32_e32 v28, 0xffff, v28
	v_lshrrev_b32_e32 v28, s20, v28
	s_delay_alu instid0(VALU_DEP_1) | instskip(NEXT) | instid1(VALU_DEP_1)
	v_bitop3_b32 v29, v28, 1, s9 bitop3:0x80
	v_add_co_u32 v29, s0, v29, -1
	s_delay_alu instid0(VALU_DEP_1) | instskip(NEXT) | instid1(VALU_DEP_1)
	v_cndmask_b32_e64 v30, 0, 1, s0
	v_cmp_ne_u32_e32 vcc_lo, 0, v30
	s_delay_alu instid0(VALU_DEP_3) | instskip(SKIP_1) | instid1(VALU_DEP_1)
	v_xor_b32_e32 v29, vcc_lo, v29
	v_and_b32_e32 v28, s9, v28
	v_dual_lshlrev_b32 v31, 30, v28 :: v_dual_lshlrev_b32 v32, 29, v28
	v_dual_lshlrev_b32 v33, 28, v28 :: v_dual_lshlrev_b32 v34, 27, v28
	s_delay_alu instid0(VALU_DEP_2) | instskip(SKIP_1) | instid1(VALU_DEP_4)
	v_cmp_gt_i32_e64 s0, 0, v31
	v_not_b32_e32 v30, v31
	v_cmp_gt_i32_e64 s1, 0, v32
	v_not_b32_e32 v31, v32
	;; [unrolled: 2-line block ×3, first 2 shown]
	v_not_b32_e32 v33, v34
	v_ashrrev_i32_e32 v30, 31, v30
	v_cmp_gt_i32_e64 s4, 0, v34
	s_delay_alu instid0(VALU_DEP_3) | instskip(SKIP_1) | instid1(VALU_DEP_4)
	v_dual_ashrrev_i32 v31, 31, v31 :: v_dual_ashrrev_i32 v33, 31, v33
	v_dual_lshlrev_b32 v35, 26, v28 :: v_dual_lshlrev_b32 v36, 25, v28
	v_dual_lshlrev_b32 v37, 24, v28 :: v_dual_bitop2_b32 v30, s0, v30 bitop3:0x14
	s_delay_alu instid0(VALU_DEP_3) | instskip(NEXT) | instid1(VALU_DEP_3)
	v_xor_b32_e32 v33, s4, v33
	v_not_b32_e32 v34, v35
	v_ashrrev_i32_e32 v32, 31, v32
	v_cmp_gt_i32_e64 s5, 0, v35
	v_cmp_gt_i32_e64 s6, 0, v36
	v_not_b32_e32 v35, v36
	v_not_b32_e32 v36, v37
	v_dual_ashrrev_i32 v34, 31, v34 :: v_dual_bitop2_b32 v31, s1, v31 bitop3:0x14
	v_xor_b32_e32 v32, s3, v32
	v_bitop3_b32 v29, v29, v30, exec_lo bitop3:0x80
	v_cmp_gt_i32_e64 s7, 0, v37
	v_dual_ashrrev_i32 v30, 31, v35 :: v_dual_ashrrev_i32 v35, 31, v36
	v_xor_b32_e32 v34, s5, v34
	s_delay_alu instid0(VALU_DEP_4) | instskip(SKIP_1) | instid1(VALU_DEP_4)
	v_bitop3_b32 v29, v29, v32, v31 bitop3:0x80
	v_mad_u32_u24 v31, 0x44, v28, v0
	v_xor_b32_e32 v30, s6, v30
	v_xor_b32_e32 v32, s7, v35
	s_delay_alu instid0(VALU_DEP_4) | instskip(SKIP_2) | instid1(VALU_DEP_1)
	v_bitop3_b32 v29, v29, v34, v33 bitop3:0x80
	ds_load_b32 v28, v31 offset:64
	; wave barrier
	v_bitop3_b32 v29, v29, v32, v30 bitop3:0x80
	v_mbcnt_lo_u32_b32 v30, v29, 0
	v_cmp_ne_u32_e64 s0, 0, v29
	s_delay_alu instid0(VALU_DEP_2) | instskip(SKIP_1) | instid1(SALU_CYCLE_1)
	v_cmp_eq_u32_e32 vcc_lo, 0, v30
	s_and_b32 s1, s0, vcc_lo
	s_and_saveexec_b32 s0, s1
	s_cbranch_execz .LBB2051_111
; %bb.110:
	s_wait_dscnt 0x0
	v_bcnt_u32_b32 v29, v29, v28
	ds_store_b32 v31, v29 offset:64
.LBB2051_111:
	s_or_b32 exec_lo, exec_lo, s0
	v_cmp_lt_i16_e32 vcc_lo, -1, v7
	; wave barrier
	v_cndmask_b32_e64 v29, -1, 0xffff8000, vcc_lo
	s_delay_alu instid0(VALU_DEP_1) | instskip(NEXT) | instid1(VALU_DEP_1)
	v_xor_b32_e32 v29, v29, v7
	v_cmp_ne_u16_e32 vcc_lo, 0x7fff, v29
	v_cndmask_b32_e32 v7, 0xffff8000, v29, vcc_lo
	s_delay_alu instid0(VALU_DEP_1) | instskip(NEXT) | instid1(VALU_DEP_1)
	v_and_b32_e32 v7, 0xffff, v7
	v_lshrrev_b32_e32 v7, s20, v7
	s_delay_alu instid0(VALU_DEP_1) | instskip(SKIP_1) | instid1(VALU_DEP_2)
	v_bitop3_b32 v32, v7, 1, s9 bitop3:0x80
	v_and_b32_e32 v7, s9, v7
	v_add_co_u32 v32, s0, v32, -1
	s_delay_alu instid0(VALU_DEP_1) | instskip(NEXT) | instid1(VALU_DEP_3)
	v_cndmask_b32_e64 v33, 0, 1, s0
	v_lshlrev_b32_e32 v34, 30, v7
	s_delay_alu instid0(VALU_DEP_2) | instskip(NEXT) | instid1(VALU_DEP_2)
	v_cmp_ne_u32_e32 vcc_lo, 0, v33
	v_not_b32_e32 v33, v34
	s_delay_alu instid0(VALU_DEP_1) | instskip(SKIP_4) | instid1(VALU_DEP_4)
	v_dual_ashrrev_i32 v33, 31, v33 :: v_dual_bitop2_b32 v32, vcc_lo, v32 bitop3:0x14
	v_dual_lshlrev_b32 v35, 29, v7 :: v_dual_lshlrev_b32 v36, 28, v7
	v_dual_lshlrev_b32 v37, 27, v7 :: v_dual_lshlrev_b32 v38, 26, v7
	v_lshlrev_b32_e32 v39, 25, v7
	v_cmp_gt_i32_e64 s0, 0, v34
	v_cmp_gt_i32_e64 s1, 0, v35
	v_not_b32_e32 v34, v35
	v_not_b32_e32 v35, v36
	v_lshlrev_b32_e32 v40, 24, v7
	v_cmp_gt_i32_e64 s3, 0, v36
	v_cmp_gt_i32_e64 s4, 0, v37
	v_not_b32_e32 v36, v37
	v_not_b32_e32 v37, v38
	v_dual_ashrrev_i32 v34, 31, v34 :: v_dual_ashrrev_i32 v35, 31, v35
	v_xor_b32_e32 v33, s0, v33
	v_cmp_gt_i32_e64 s5, 0, v38
	v_cmp_gt_i32_e64 s6, 0, v39
	v_not_b32_e32 v38, v39
	v_not_b32_e32 v39, v40
	v_dual_ashrrev_i32 v36, 31, v36 :: v_dual_ashrrev_i32 v37, 31, v37
	v_xor_b32_e32 v34, s1, v34
	v_xor_b32_e32 v35, s3, v35
	v_bitop3_b32 v32, v32, v33, exec_lo bitop3:0x80
	v_cmp_gt_i32_e64 s7, 0, v40
	v_dual_ashrrev_i32 v33, 31, v38 :: v_dual_ashrrev_i32 v38, 31, v39
	v_xor_b32_e32 v36, s4, v36
	v_xor_b32_e32 v37, s5, v37
	v_bitop3_b32 v32, v32, v35, v34 bitop3:0x80
	v_mad_u32_u24 v35, 0x44, v7, v0
	v_xor_b32_e32 v7, s6, v33
	v_xor_b32_e32 v33, s7, v38
	s_delay_alu instid0(VALU_DEP_4) | instskip(SKIP_2) | instid1(VALU_DEP_1)
	v_bitop3_b32 v34, v32, v37, v36 bitop3:0x80
	ds_load_b32 v32, v35 offset:64
	; wave barrier
	v_bitop3_b32 v7, v34, v33, v7 bitop3:0x80
	v_mbcnt_lo_u32_b32 v33, v7, 0
	v_cmp_ne_u32_e64 s0, 0, v7
	s_delay_alu instid0(VALU_DEP_2) | instskip(SKIP_1) | instid1(SALU_CYCLE_1)
	v_cmp_eq_u32_e32 vcc_lo, 0, v33
	s_and_b32 s1, s0, vcc_lo
	s_and_saveexec_b32 s0, s1
	s_cbranch_execz .LBB2051_113
; %bb.112:
	s_wait_dscnt 0x0
	v_bcnt_u32_b32 v7, v7, v32
	ds_store_b32 v35, v7 offset:64
.LBB2051_113:
	s_or_b32 exec_lo, exec_lo, s0
	v_cmp_lt_i16_e32 vcc_lo, -1, v6
	; wave barrier
	v_cndmask_b32_e64 v7, -1, 0xffff8000, vcc_lo
	s_delay_alu instid0(VALU_DEP_1) | instskip(NEXT) | instid1(VALU_DEP_1)
	v_xor_b32_e32 v34, v7, v6
	v_cmp_ne_u16_e32 vcc_lo, 0x7fff, v34
	v_cndmask_b32_e32 v6, 0xffff8000, v34, vcc_lo
	s_delay_alu instid0(VALU_DEP_1) | instskip(NEXT) | instid1(VALU_DEP_1)
	v_and_b32_e32 v6, 0xffff, v6
	v_lshrrev_b32_e32 v6, s20, v6
	s_delay_alu instid0(VALU_DEP_1) | instskip(SKIP_1) | instid1(VALU_DEP_2)
	v_bitop3_b32 v7, v6, 1, s9 bitop3:0x80
	v_and_b32_e32 v6, s9, v6
	v_add_co_u32 v7, s0, v7, -1
	s_delay_alu instid0(VALU_DEP_1) | instskip(NEXT) | instid1(VALU_DEP_3)
	v_cndmask_b32_e64 v36, 0, 1, s0
	v_lshlrev_b32_e32 v37, 30, v6
	s_delay_alu instid0(VALU_DEP_2) | instskip(NEXT) | instid1(VALU_DEP_2)
	v_cmp_ne_u32_e32 vcc_lo, 0, v36
	v_not_b32_e32 v36, v37
	s_delay_alu instid0(VALU_DEP_1) | instskip(SKIP_4) | instid1(VALU_DEP_4)
	v_dual_ashrrev_i32 v36, 31, v36 :: v_dual_bitop2_b32 v7, vcc_lo, v7 bitop3:0x14
	v_dual_lshlrev_b32 v38, 29, v6 :: v_dual_lshlrev_b32 v39, 28, v6
	v_dual_lshlrev_b32 v40, 27, v6 :: v_dual_lshlrev_b32 v41, 26, v6
	v_lshlrev_b32_e32 v42, 25, v6
	v_cmp_gt_i32_e64 s0, 0, v37
	v_cmp_gt_i32_e64 s1, 0, v38
	v_not_b32_e32 v37, v38
	v_not_b32_e32 v38, v39
	v_lshlrev_b32_e32 v43, 24, v6
	v_cmp_gt_i32_e64 s3, 0, v39
	v_cmp_gt_i32_e64 s4, 0, v40
	v_not_b32_e32 v39, v40
	v_not_b32_e32 v40, v41
	v_dual_ashrrev_i32 v37, 31, v37 :: v_dual_ashrrev_i32 v38, 31, v38
	v_xor_b32_e32 v36, s0, v36
	v_cmp_gt_i32_e64 s5, 0, v41
	v_cmp_gt_i32_e64 s6, 0, v42
	v_not_b32_e32 v41, v42
	v_not_b32_e32 v42, v43
	v_dual_ashrrev_i32 v39, 31, v39 :: v_dual_ashrrev_i32 v40, 31, v40
	v_xor_b32_e32 v37, s1, v37
	v_xor_b32_e32 v38, s3, v38
	v_bitop3_b32 v7, v7, v36, exec_lo bitop3:0x80
	v_cmp_gt_i32_e64 s7, 0, v43
	v_dual_ashrrev_i32 v36, 31, v41 :: v_dual_ashrrev_i32 v41, 31, v42
	v_xor_b32_e32 v42, s4, v39
	v_xor_b32_e32 v40, s5, v40
	v_bitop3_b32 v7, v7, v38, v37 bitop3:0x80
	v_mad_u32_u24 v39, 0x44, v6, v0
	v_xor_b32_e32 v6, s6, v36
	v_xor_b32_e32 v36, s7, v41
	s_delay_alu instid0(VALU_DEP_4) | instskip(SKIP_2) | instid1(VALU_DEP_1)
	v_bitop3_b32 v7, v7, v40, v42 bitop3:0x80
	ds_load_b32 v37, v39 offset:64
	; wave barrier
	v_bitop3_b32 v6, v7, v36, v6 bitop3:0x80
	v_mbcnt_lo_u32_b32 v38, v6, 0
	v_cmp_ne_u32_e64 s0, 0, v6
	s_delay_alu instid0(VALU_DEP_2) | instskip(SKIP_1) | instid1(SALU_CYCLE_1)
	v_cmp_eq_u32_e32 vcc_lo, 0, v38
	s_and_b32 s1, s0, vcc_lo
	s_and_saveexec_b32 s0, s1
	s_cbranch_execz .LBB2051_115
; %bb.114:
	s_wait_dscnt 0x0
	v_bcnt_u32_b32 v6, v6, v37
	ds_store_b32 v39, v6 offset:64
.LBB2051_115:
	s_or_b32 exec_lo, exec_lo, s0
	v_cmp_lt_i16_e32 vcc_lo, -1, v5
	; wave barrier
	v_cndmask_b32_e64 v6, -1, 0xffff8000, vcc_lo
	s_delay_alu instid0(VALU_DEP_1) | instskip(NEXT) | instid1(VALU_DEP_1)
	v_xor_b32_e32 v36, v6, v5
	v_cmp_ne_u16_e32 vcc_lo, 0x7fff, v36
	v_cndmask_b32_e32 v5, 0xffff8000, v36, vcc_lo
	s_delay_alu instid0(VALU_DEP_1) | instskip(NEXT) | instid1(VALU_DEP_1)
	v_and_b32_e32 v5, 0xffff, v5
	v_lshrrev_b32_e32 v5, s20, v5
	s_delay_alu instid0(VALU_DEP_1) | instskip(SKIP_1) | instid1(VALU_DEP_2)
	v_bitop3_b32 v6, v5, 1, s9 bitop3:0x80
	v_and_b32_e32 v5, s9, v5
	v_add_co_u32 v6, s0, v6, -1
	s_delay_alu instid0(VALU_DEP_1) | instskip(NEXT) | instid1(VALU_DEP_3)
	v_cndmask_b32_e64 v7, 0, 1, s0
	v_lshlrev_b32_e32 v40, 30, v5
	s_delay_alu instid0(VALU_DEP_2) | instskip(NEXT) | instid1(VALU_DEP_2)
	v_cmp_ne_u32_e32 vcc_lo, 0, v7
	v_not_b32_e32 v7, v40
	s_delay_alu instid0(VALU_DEP_1) | instskip(SKIP_4) | instid1(VALU_DEP_4)
	v_dual_ashrrev_i32 v7, 31, v7 :: v_dual_bitop2_b32 v6, vcc_lo, v6 bitop3:0x14
	v_dual_lshlrev_b32 v41, 29, v5 :: v_dual_lshlrev_b32 v42, 28, v5
	v_dual_lshlrev_b32 v43, 27, v5 :: v_dual_lshlrev_b32 v44, 26, v5
	;; [unrolled: 1-line block ×3, first 2 shown]
	v_cmp_gt_i32_e64 s0, 0, v40
	v_cmp_gt_i32_e64 s1, 0, v41
	v_not_b32_e32 v40, v41
	v_not_b32_e32 v41, v42
	v_cmp_gt_i32_e64 s3, 0, v42
	v_cmp_gt_i32_e64 s4, 0, v43
	v_not_b32_e32 v42, v43
	v_cmp_gt_i32_e64 s5, 0, v44
	v_not_b32_e32 v43, v44
	;; [unrolled: 2-line block ×3, first 2 shown]
	v_not_b32_e32 v45, v46
	v_dual_ashrrev_i32 v40, 31, v40 :: v_dual_ashrrev_i32 v41, 31, v41
	v_dual_ashrrev_i32 v42, 31, v42 :: v_dual_bitop2_b32 v7, s0, v7 bitop3:0x14
	s_delay_alu instid0(VALU_DEP_2) | instskip(NEXT) | instid1(VALU_DEP_3)
	v_dual_ashrrev_i32 v43, 31, v43 :: v_dual_bitop2_b32 v40, s1, v40 bitop3:0x14
	v_xor_b32_e32 v41, s3, v41
	s_delay_alu instid0(VALU_DEP_3)
	v_bitop3_b32 v6, v6, v7, exec_lo bitop3:0x80
	v_cmp_gt_i32_e64 s7, 0, v46
	v_dual_ashrrev_i32 v7, 31, v44 :: v_dual_ashrrev_i32 v44, 31, v45
	v_xor_b32_e32 v42, s4, v42
	v_xor_b32_e32 v45, s5, v43
	v_bitop3_b32 v6, v6, v41, v40 bitop3:0x80
	v_mad_u32_u24 v43, 0x44, v5, v0
	v_xor_b32_e32 v5, s6, v7
	v_xor_b32_e32 v7, s7, v44
	s_delay_alu instid0(VALU_DEP_4) | instskip(SKIP_2) | instid1(VALU_DEP_1)
	v_bitop3_b32 v6, v6, v45, v42 bitop3:0x80
	ds_load_b32 v41, v43 offset:64
	; wave barrier
	v_bitop3_b32 v5, v6, v7, v5 bitop3:0x80
	v_mbcnt_lo_u32_b32 v42, v5, 0
	v_cmp_ne_u32_e64 s0, 0, v5
	s_delay_alu instid0(VALU_DEP_2) | instskip(SKIP_1) | instid1(SALU_CYCLE_1)
	v_cmp_eq_u32_e32 vcc_lo, 0, v42
	s_and_b32 s1, s0, vcc_lo
	s_and_saveexec_b32 s0, s1
	s_cbranch_execz .LBB2051_117
; %bb.116:
	s_wait_dscnt 0x0
	v_bcnt_u32_b32 v5, v5, v41
	ds_store_b32 v43, v5 offset:64
.LBB2051_117:
	s_or_b32 exec_lo, exec_lo, s0
	v_cmp_lt_i16_e32 vcc_lo, -1, v4
	; wave barrier
	v_cndmask_b32_e64 v5, -1, 0xffff8000, vcc_lo
	s_delay_alu instid0(VALU_DEP_1) | instskip(NEXT) | instid1(VALU_DEP_1)
	v_xor_b32_e32 v40, v5, v4
	v_cmp_ne_u16_e32 vcc_lo, 0x7fff, v40
	v_cndmask_b32_e32 v4, 0xffff8000, v40, vcc_lo
	s_delay_alu instid0(VALU_DEP_1) | instskip(NEXT) | instid1(VALU_DEP_1)
	v_and_b32_e32 v4, 0xffff, v4
	v_lshrrev_b32_e32 v4, s20, v4
	s_delay_alu instid0(VALU_DEP_1) | instskip(SKIP_1) | instid1(VALU_DEP_2)
	v_bitop3_b32 v5, v4, 1, s9 bitop3:0x80
	v_and_b32_e32 v4, s9, v4
	v_add_co_u32 v5, s0, v5, -1
	s_delay_alu instid0(VALU_DEP_1) | instskip(NEXT) | instid1(VALU_DEP_3)
	v_cndmask_b32_e64 v6, 0, 1, s0
	v_lshlrev_b32_e32 v7, 30, v4
	s_delay_alu instid0(VALU_DEP_2) | instskip(NEXT) | instid1(VALU_DEP_2)
	v_cmp_ne_u32_e32 vcc_lo, 0, v6
	v_not_b32_e32 v6, v7
	s_delay_alu instid0(VALU_DEP_1) | instskip(SKIP_4) | instid1(VALU_DEP_4)
	v_dual_ashrrev_i32 v6, 31, v6 :: v_dual_bitop2_b32 v5, vcc_lo, v5 bitop3:0x14
	v_dual_lshlrev_b32 v44, 29, v4 :: v_dual_lshlrev_b32 v45, 28, v4
	v_dual_lshlrev_b32 v46, 27, v4 :: v_dual_lshlrev_b32 v47, 26, v4
	v_lshlrev_b32_e32 v48, 25, v4
	v_cmp_gt_i32_e64 s0, 0, v7
	v_cmp_gt_i32_e64 s1, 0, v44
	v_not_b32_e32 v7, v44
	v_not_b32_e32 v44, v45
	v_lshlrev_b32_e32 v49, 24, v4
	v_cmp_gt_i32_e64 s3, 0, v45
	v_cmp_gt_i32_e64 s4, 0, v46
	v_not_b32_e32 v45, v46
	v_not_b32_e32 v46, v47
	v_dual_ashrrev_i32 v7, 31, v7 :: v_dual_ashrrev_i32 v44, 31, v44
	v_xor_b32_e32 v6, s0, v6
	v_cmp_gt_i32_e64 s5, 0, v47
	v_cmp_gt_i32_e64 s6, 0, v48
	v_not_b32_e32 v47, v48
	v_not_b32_e32 v48, v49
	v_dual_ashrrev_i32 v45, 31, v45 :: v_dual_ashrrev_i32 v46, 31, v46
	v_xor_b32_e32 v7, s1, v7
	v_xor_b32_e32 v44, s3, v44
	v_bitop3_b32 v5, v5, v6, exec_lo bitop3:0x80
	v_cmp_gt_i32_e64 s7, 0, v49
	v_dual_ashrrev_i32 v6, 31, v47 :: v_dual_ashrrev_i32 v48, 31, v48
	v_xor_b32_e32 v45, s4, v45
	v_xor_b32_e32 v46, s5, v46
	v_bitop3_b32 v5, v5, v44, v7 bitop3:0x80
	v_mad_u32_u24 v47, 0x44, v4, v0
	v_xor_b32_e32 v4, s6, v6
	v_xor_b32_e32 v6, s7, v48
	s_delay_alu instid0(VALU_DEP_4) | instskip(SKIP_2) | instid1(VALU_DEP_1)
	v_bitop3_b32 v5, v5, v46, v45 bitop3:0x80
	ds_load_b32 v45, v47 offset:64
	; wave barrier
	v_bitop3_b32 v4, v5, v6, v4 bitop3:0x80
	v_mbcnt_lo_u32_b32 v46, v4, 0
	v_cmp_ne_u32_e64 s0, 0, v4
	s_delay_alu instid0(VALU_DEP_2) | instskip(SKIP_1) | instid1(SALU_CYCLE_1)
	v_cmp_eq_u32_e32 vcc_lo, 0, v46
	s_and_b32 s1, s0, vcc_lo
	s_and_saveexec_b32 s0, s1
	s_cbranch_execz .LBB2051_119
; %bb.118:
	s_wait_dscnt 0x0
	v_bcnt_u32_b32 v4, v4, v45
	ds_store_b32 v47, v4 offset:64
.LBB2051_119:
	s_or_b32 exec_lo, exec_lo, s0
	v_cmp_lt_i16_e32 vcc_lo, -1, v3
	; wave barrier
	v_cndmask_b32_e64 v4, -1, 0xffff8000, vcc_lo
	s_delay_alu instid0(VALU_DEP_1) | instskip(NEXT) | instid1(VALU_DEP_1)
	v_xor_b32_e32 v44, v4, v3
	v_cmp_ne_u16_e32 vcc_lo, 0x7fff, v44
	v_cndmask_b32_e32 v3, 0xffff8000, v44, vcc_lo
	s_delay_alu instid0(VALU_DEP_1) | instskip(NEXT) | instid1(VALU_DEP_1)
	v_and_b32_e32 v3, 0xffff, v3
	v_lshrrev_b32_e32 v3, s20, v3
	s_delay_alu instid0(VALU_DEP_1) | instskip(SKIP_1) | instid1(VALU_DEP_2)
	v_bitop3_b32 v4, v3, 1, s9 bitop3:0x80
	v_and_b32_e32 v3, s9, v3
	v_add_co_u32 v4, s0, v4, -1
	s_delay_alu instid0(VALU_DEP_1) | instskip(NEXT) | instid1(VALU_DEP_3)
	v_cndmask_b32_e64 v5, 0, 1, s0
	v_lshlrev_b32_e32 v6, 30, v3
	s_delay_alu instid0(VALU_DEP_2) | instskip(NEXT) | instid1(VALU_DEP_2)
	v_cmp_ne_u32_e32 vcc_lo, 0, v5
	v_not_b32_e32 v5, v6
	s_delay_alu instid0(VALU_DEP_1) | instskip(SKIP_4) | instid1(VALU_DEP_4)
	v_dual_ashrrev_i32 v5, 31, v5 :: v_dual_bitop2_b32 v4, vcc_lo, v4 bitop3:0x14
	v_dual_lshlrev_b32 v7, 29, v3 :: v_dual_lshlrev_b32 v48, 28, v3
	v_dual_lshlrev_b32 v49, 27, v3 :: v_dual_lshlrev_b32 v50, 26, v3
	v_lshlrev_b32_e32 v51, 25, v3
	v_cmp_gt_i32_e64 s0, 0, v6
	v_cmp_gt_i32_e64 s1, 0, v7
	v_not_b32_e32 v6, v7
	v_not_b32_e32 v7, v48
	v_lshlrev_b32_e32 v52, 24, v3
	v_cmp_gt_i32_e64 s3, 0, v48
	v_cmp_gt_i32_e64 s4, 0, v49
	v_not_b32_e32 v48, v49
	v_not_b32_e32 v49, v50
	v_dual_ashrrev_i32 v6, 31, v6 :: v_dual_ashrrev_i32 v7, 31, v7
	v_xor_b32_e32 v5, s0, v5
	v_cmp_gt_i32_e64 s5, 0, v50
	v_cmp_gt_i32_e64 s6, 0, v51
	v_not_b32_e32 v50, v51
	v_not_b32_e32 v51, v52
	v_dual_ashrrev_i32 v48, 31, v48 :: v_dual_ashrrev_i32 v49, 31, v49
	v_xor_b32_e32 v6, s1, v6
	v_xor_b32_e32 v7, s3, v7
	v_bitop3_b32 v4, v4, v5, exec_lo bitop3:0x80
	v_cmp_gt_i32_e64 s7, 0, v52
	v_dual_ashrrev_i32 v5, 31, v50 :: v_dual_ashrrev_i32 v50, 31, v51
	v_xor_b32_e32 v48, s4, v48
	v_xor_b32_e32 v49, s5, v49
	v_bitop3_b32 v4, v4, v7, v6 bitop3:0x80
	v_mad_u32_u24 v51, 0x44, v3, v0
	v_xor_b32_e32 v3, s6, v5
	v_xor_b32_e32 v5, s7, v50
	s_delay_alu instid0(VALU_DEP_4) | instskip(SKIP_2) | instid1(VALU_DEP_1)
	v_bitop3_b32 v4, v4, v49, v48 bitop3:0x80
	ds_load_b32 v48, v51 offset:64
	; wave barrier
	v_bitop3_b32 v3, v4, v5, v3 bitop3:0x80
	v_mbcnt_lo_u32_b32 v50, v3, 0
	v_cmp_ne_u32_e64 s0, 0, v3
	s_delay_alu instid0(VALU_DEP_2) | instskip(SKIP_1) | instid1(SALU_CYCLE_1)
	v_cmp_eq_u32_e32 vcc_lo, 0, v50
	s_and_b32 s1, s0, vcc_lo
	s_and_saveexec_b32 s0, s1
	s_cbranch_execz .LBB2051_121
; %bb.120:
	s_wait_dscnt 0x0
	v_bcnt_u32_b32 v3, v3, v48
	ds_store_b32 v51, v3 offset:64
.LBB2051_121:
	s_or_b32 exec_lo, exec_lo, s0
	v_cmp_lt_i16_e32 vcc_lo, -1, v2
	; wave barrier
	v_cndmask_b32_e64 v3, -1, 0xffff8000, vcc_lo
	s_delay_alu instid0(VALU_DEP_1) | instskip(NEXT) | instid1(VALU_DEP_1)
	v_xor_b32_e32 v49, v3, v2
	v_cmp_ne_u16_e32 vcc_lo, 0x7fff, v49
	v_cndmask_b32_e32 v2, 0xffff8000, v49, vcc_lo
	s_delay_alu instid0(VALU_DEP_1) | instskip(NEXT) | instid1(VALU_DEP_1)
	v_and_b32_e32 v2, 0xffff, v2
	v_lshrrev_b32_e32 v2, s20, v2
	s_delay_alu instid0(VALU_DEP_1) | instskip(SKIP_1) | instid1(VALU_DEP_2)
	v_bitop3_b32 v3, v2, 1, s9 bitop3:0x80
	v_and_b32_e32 v2, s9, v2
	v_add_co_u32 v3, s0, v3, -1
	s_delay_alu instid0(VALU_DEP_1) | instskip(NEXT) | instid1(VALU_DEP_3)
	v_cndmask_b32_e64 v4, 0, 1, s0
	v_lshlrev_b32_e32 v5, 30, v2
	s_delay_alu instid0(VALU_DEP_2) | instskip(NEXT) | instid1(VALU_DEP_2)
	v_cmp_ne_u32_e32 vcc_lo, 0, v4
	v_not_b32_e32 v4, v5
	s_delay_alu instid0(VALU_DEP_1) | instskip(SKIP_4) | instid1(VALU_DEP_4)
	v_dual_ashrrev_i32 v4, 31, v4 :: v_dual_bitop2_b32 v3, vcc_lo, v3 bitop3:0x14
	v_dual_lshlrev_b32 v6, 29, v2 :: v_dual_lshlrev_b32 v7, 28, v2
	v_dual_lshlrev_b32 v52, 27, v2 :: v_dual_lshlrev_b32 v53, 26, v2
	;; [unrolled: 1-line block ×3, first 2 shown]
	v_cmp_gt_i32_e64 s0, 0, v5
	v_cmp_gt_i32_e64 s1, 0, v6
	v_not_b32_e32 v5, v6
	v_not_b32_e32 v6, v7
	v_cmp_gt_i32_e64 s3, 0, v7
	v_cmp_gt_i32_e64 s4, 0, v52
	v_not_b32_e32 v7, v52
	v_cmp_gt_i32_e64 s5, 0, v53
	v_not_b32_e32 v52, v53
	;; [unrolled: 2-line block ×3, first 2 shown]
	v_not_b32_e32 v54, v55
	v_dual_ashrrev_i32 v5, 31, v5 :: v_dual_ashrrev_i32 v6, 31, v6
	v_dual_ashrrev_i32 v7, 31, v7 :: v_dual_bitop2_b32 v4, s0, v4 bitop3:0x14
	s_delay_alu instid0(VALU_DEP_2) | instskip(NEXT) | instid1(VALU_DEP_3)
	v_dual_ashrrev_i32 v52, 31, v52 :: v_dual_bitop2_b32 v5, s1, v5 bitop3:0x14
	v_xor_b32_e32 v6, s3, v6
	s_delay_alu instid0(VALU_DEP_3)
	v_bitop3_b32 v3, v3, v4, exec_lo bitop3:0x80
	v_cmp_gt_i32_e64 s7, 0, v55
	v_dual_ashrrev_i32 v4, 31, v53 :: v_dual_ashrrev_i32 v53, 31, v54
	v_xor_b32_e32 v7, s4, v7
	v_xor_b32_e32 v52, s5, v52
	v_bitop3_b32 v3, v3, v6, v5 bitop3:0x80
	v_mad_u32_u24 v56, 0x44, v2, v0
	v_xor_b32_e32 v2, s6, v4
	v_xor_b32_e32 v4, s7, v53
	s_delay_alu instid0(VALU_DEP_4) | instskip(SKIP_2) | instid1(VALU_DEP_1)
	v_bitop3_b32 v3, v3, v52, v7 bitop3:0x80
	ds_load_b32 v52, v56 offset:64
	; wave barrier
	v_bitop3_b32 v2, v3, v4, v2 bitop3:0x80
	v_mbcnt_lo_u32_b32 v53, v2, 0
	v_cmp_ne_u32_e64 s0, 0, v2
	s_delay_alu instid0(VALU_DEP_2) | instskip(SKIP_1) | instid1(SALU_CYCLE_1)
	v_cmp_eq_u32_e32 vcc_lo, 0, v53
	s_and_b32 s1, s0, vcc_lo
	s_and_saveexec_b32 s0, s1
	s_cbranch_execz .LBB2051_123
; %bb.122:
	s_wait_dscnt 0x0
	v_bcnt_u32_b32 v2, v2, v52
	ds_store_b32 v56, v2 offset:64
.LBB2051_123:
	s_or_b32 exec_lo, exec_lo, s0
	v_cmp_lt_i16_e32 vcc_lo, -1, v1
	; wave barrier
	v_cndmask_b32_e64 v2, -1, 0xffff8000, vcc_lo
	s_delay_alu instid0(VALU_DEP_1) | instskip(NEXT) | instid1(VALU_DEP_1)
	v_xor_b32_e32 v54, v2, v1
	v_cmp_ne_u16_e32 vcc_lo, 0x7fff, v54
	v_cndmask_b32_e32 v1, 0xffff8000, v54, vcc_lo
	s_delay_alu instid0(VALU_DEP_1) | instskip(NEXT) | instid1(VALU_DEP_1)
	v_and_b32_e32 v1, 0xffff, v1
	v_lshrrev_b32_e32 v1, s20, v1
	s_delay_alu instid0(VALU_DEP_1) | instskip(SKIP_1) | instid1(VALU_DEP_2)
	v_bitop3_b32 v2, v1, 1, s9 bitop3:0x80
	v_and_b32_e32 v1, s9, v1
	v_add_co_u32 v2, s0, v2, -1
	s_delay_alu instid0(VALU_DEP_1) | instskip(NEXT) | instid1(VALU_DEP_3)
	v_cndmask_b32_e64 v3, 0, 1, s0
	v_lshlrev_b32_e32 v4, 30, v1
	s_delay_alu instid0(VALU_DEP_2) | instskip(NEXT) | instid1(VALU_DEP_2)
	v_cmp_ne_u32_e32 vcc_lo, 0, v3
	v_not_b32_e32 v3, v4
	s_delay_alu instid0(VALU_DEP_1) | instskip(SKIP_4) | instid1(VALU_DEP_4)
	v_dual_ashrrev_i32 v3, 31, v3 :: v_dual_bitop2_b32 v2, vcc_lo, v2 bitop3:0x14
	v_dual_lshlrev_b32 v5, 29, v1 :: v_dual_lshlrev_b32 v6, 28, v1
	v_dual_lshlrev_b32 v7, 27, v1 :: v_dual_lshlrev_b32 v55, 26, v1
	v_lshlrev_b32_e32 v57, 25, v1
	v_cmp_gt_i32_e64 s0, 0, v4
	v_cmp_gt_i32_e64 s1, 0, v5
	v_not_b32_e32 v4, v5
	v_not_b32_e32 v5, v6
	v_lshlrev_b32_e32 v58, 24, v1
	v_cmp_gt_i32_e64 s3, 0, v6
	v_cmp_gt_i32_e64 s4, 0, v7
	v_not_b32_e32 v6, v7
	v_not_b32_e32 v7, v55
	v_dual_ashrrev_i32 v4, 31, v4 :: v_dual_ashrrev_i32 v5, 31, v5
	v_xor_b32_e32 v3, s0, v3
	v_cmp_gt_i32_e64 s5, 0, v55
	v_cmp_gt_i32_e64 s6, 0, v57
	v_not_b32_e32 v55, v57
	v_not_b32_e32 v57, v58
	v_dual_ashrrev_i32 v6, 31, v6 :: v_dual_ashrrev_i32 v7, 31, v7
	v_xor_b32_e32 v4, s1, v4
	v_xor_b32_e32 v5, s3, v5
	v_bitop3_b32 v2, v2, v3, exec_lo bitop3:0x80
	v_cmp_gt_i32_e64 s7, 0, v58
	v_dual_ashrrev_i32 v3, 31, v55 :: v_dual_ashrrev_i32 v55, 31, v57
	v_xor_b32_e32 v6, s4, v6
	v_xor_b32_e32 v7, s5, v7
	v_bitop3_b32 v2, v2, v5, v4 bitop3:0x80
	v_mad_u32_u24 v58, 0x44, v1, v0
	v_xor_b32_e32 v0, s6, v3
	v_xor_b32_e32 v1, s7, v55
	s_delay_alu instid0(VALU_DEP_4) | instskip(SKIP_2) | instid1(VALU_DEP_1)
	v_bitop3_b32 v2, v2, v7, v6 bitop3:0x80
	ds_load_b32 v55, v58 offset:64
	; wave barrier
	v_bitop3_b32 v0, v2, v1, v0 bitop3:0x80
	v_mbcnt_lo_u32_b32 v57, v0, 0
	v_cmp_ne_u32_e64 s0, 0, v0
	s_delay_alu instid0(VALU_DEP_2) | instskip(SKIP_1) | instid1(SALU_CYCLE_1)
	v_cmp_eq_u32_e32 vcc_lo, 0, v57
	s_and_b32 s1, s0, vcc_lo
	s_and_saveexec_b32 s0, s1
	s_cbranch_execz .LBB2051_125
; %bb.124:
	s_wait_dscnt 0x0
	v_bcnt_u32_b32 v0, v0, v55
	ds_store_b32 v58, v0 offset:64
.LBB2051_125:
	s_or_b32 exec_lo, exec_lo, s0
	; wave barrier
	s_wait_dscnt 0x0
	s_barrier_signal -1
	s_barrier_wait -1
	ds_load_2addr_b32 v[6:7], v11 offset0:16 offset1:17
	ds_load_2addr_b32 v[4:5], v11 offset0:18 offset1:19
	;; [unrolled: 1-line block ×4, first 2 shown]
	ds_load_b32 v59, v11 offset:96
	v_min_u32_e32 v16, 0x1e0, v16
	s_mov_b32 s5, exec_lo
	s_delay_alu instid0(VALU_DEP_1) | instskip(SKIP_3) | instid1(VALU_DEP_1)
	v_or_b32_e32 v62, 31, v16
	s_wait_dscnt 0x3
	v_add3_u32 v60, v7, v6, v4
	s_wait_dscnt 0x2
	v_add3_u32 v60, v60, v5, v2
	s_wait_dscnt 0x1
	s_delay_alu instid0(VALU_DEP_1) | instskip(SKIP_1) | instid1(VALU_DEP_1)
	v_add3_u32 v60, v60, v3, v0
	s_wait_dscnt 0x0
	v_add3_u32 v59, v60, v1, v59
	v_and_b32_e32 v60, 15, v15
	s_delay_alu instid0(VALU_DEP_2) | instskip(NEXT) | instid1(VALU_DEP_2)
	v_mov_b32_dpp v61, v59 row_shr:1 row_mask:0xf bank_mask:0xf
	v_cmp_eq_u32_e32 vcc_lo, 0, v60
	v_cmp_lt_u32_e64 s0, 1, v60
	s_delay_alu instid0(VALU_DEP_3) | instskip(NEXT) | instid1(VALU_DEP_1)
	v_cndmask_b32_e64 v61, v61, 0, vcc_lo
	v_add_nc_u32_e32 v59, v61, v59
	s_delay_alu instid0(VALU_DEP_1) | instskip(NEXT) | instid1(VALU_DEP_1)
	v_mov_b32_dpp v61, v59 row_shr:2 row_mask:0xf bank_mask:0xf
	v_cndmask_b32_e64 v61, 0, v61, s0
	v_cmp_lt_u32_e64 s3, 7, v60
	v_cmp_lt_u32_e64 s1, 3, v60
	s_delay_alu instid0(VALU_DEP_3) | instskip(NEXT) | instid1(VALU_DEP_1)
	v_add_nc_u32_e32 v59, v59, v61
	v_mov_b32_dpp v61, v59 row_shr:4 row_mask:0xf bank_mask:0xf
	s_delay_alu instid0(VALU_DEP_1) | instskip(NEXT) | instid1(VALU_DEP_1)
	v_cndmask_b32_e64 v61, 0, v61, s1
	v_add_nc_u32_e32 v59, v59, v61
	s_delay_alu instid0(VALU_DEP_1) | instskip(NEXT) | instid1(VALU_DEP_1)
	v_mov_b32_dpp v61, v59 row_shr:8 row_mask:0xf bank_mask:0xf
	v_cndmask_b32_e64 v60, 0, v61, s3
	v_bfe_i32 v61, v15, 4, 1
	s_delay_alu instid0(VALU_DEP_2) | instskip(SKIP_3) | instid1(VALU_DEP_1)
	v_add_nc_u32_e32 v60, v59, v60
	ds_swizzle_b32 v59, v60 offset:swizzle(BROADCAST,32,15)
	s_wait_dscnt 0x0
	v_dual_lshrrev_b32 v59, 5, v14 :: v_dual_bitop2_b32 v61, v61, v59 bitop3:0x40
	v_add_nc_u32_e32 v16, v60, v61
	v_cmpx_eq_u32_e64 v14, v62
; %bb.126:
	s_delay_alu instid0(VALU_DEP_3)
	v_lshlrev_b32_e32 v60, 2, v59
	ds_store_b32 v60, v16
; %bb.127:
	s_or_b32 exec_lo, exec_lo, s5
	s_delay_alu instid0(SALU_CYCLE_1)
	s_mov_b32 s5, exec_lo
	s_wait_dscnt 0x0
	s_barrier_signal -1
	s_barrier_wait -1
	v_cmpx_gt_u32_e32 16, v14
	s_cbranch_execz .LBB2051_129
; %bb.128:
	v_lshlrev_b32_e32 v60, 2, v14
	ds_load_b32 v61, v60
	s_wait_dscnt 0x0
	v_mov_b32_dpp v62, v61 row_shr:1 row_mask:0xf bank_mask:0xf
	s_delay_alu instid0(VALU_DEP_1) | instskip(NEXT) | instid1(VALU_DEP_1)
	v_cndmask_b32_e64 v62, v62, 0, vcc_lo
	v_add_nc_u32_e32 v61, v62, v61
	s_delay_alu instid0(VALU_DEP_1) | instskip(NEXT) | instid1(VALU_DEP_1)
	v_mov_b32_dpp v62, v61 row_shr:2 row_mask:0xf bank_mask:0xf
	v_cndmask_b32_e64 v62, 0, v62, s0
	s_delay_alu instid0(VALU_DEP_1) | instskip(NEXT) | instid1(VALU_DEP_1)
	v_add_nc_u32_e32 v61, v61, v62
	v_mov_b32_dpp v62, v61 row_shr:4 row_mask:0xf bank_mask:0xf
	s_delay_alu instid0(VALU_DEP_1) | instskip(NEXT) | instid1(VALU_DEP_1)
	v_cndmask_b32_e64 v62, 0, v62, s1
	v_add_nc_u32_e32 v61, v61, v62
	s_delay_alu instid0(VALU_DEP_1) | instskip(NEXT) | instid1(VALU_DEP_1)
	v_mov_b32_dpp v62, v61 row_shr:8 row_mask:0xf bank_mask:0xf
	v_cndmask_b32_e64 v62, 0, v62, s3
	s_delay_alu instid0(VALU_DEP_1)
	v_add_nc_u32_e32 v61, v61, v62
	ds_store_b32 v60, v61
.LBB2051_129:
	s_or_b32 exec_lo, exec_lo, s5
	v_mov_b32_e32 v60, 0
	s_mov_b32 s0, exec_lo
	s_wait_dscnt 0x0
	s_barrier_signal -1
	s_barrier_wait -1
	v_cmpx_lt_u32_e32 31, v14
; %bb.130:
	v_lshl_add_u32 v59, v59, 2, -4
	ds_load_b32 v60, v59
; %bb.131:
	s_or_b32 exec_lo, exec_lo, s0
	v_sub_co_u32 v59, vcc_lo, v15, 1
	s_wait_dscnt 0x0
	v_add_nc_u32_e32 v16, v60, v16
	s_delay_alu instid0(VALU_DEP_2) | instskip(NEXT) | instid1(VALU_DEP_1)
	v_cmp_gt_i32_e64 s0, 0, v59
	v_cndmask_b32_e64 v15, v59, v15, s0
	v_cmp_gt_u32_e64 s0, 0x100, v14
	s_delay_alu instid0(VALU_DEP_2) | instskip(SKIP_4) | instid1(VALU_DEP_2)
	v_lshlrev_b32_e32 v15, 2, v15
	ds_bpermute_b32 v15, v15, v16
	s_wait_dscnt 0x0
	v_cndmask_b32_e32 v15, v15, v60, vcc_lo
	v_cmp_lt_u32_e32 vcc_lo, 0xff, v14
	v_cndmask_b32_e64 v15, v15, 0, s2
	s_delay_alu instid0(VALU_DEP_1) | instskip(NEXT) | instid1(VALU_DEP_1)
	v_add_nc_u32_e32 v6, v15, v6
	v_add_nc_u32_e32 v7, v6, v7
	s_delay_alu instid0(VALU_DEP_1) | instskip(NEXT) | instid1(VALU_DEP_1)
	v_add_nc_u32_e32 v4, v7, v4
	v_add_nc_u32_e32 v5, v4, v5
	;; [unrolled: 3-line block ×4, first 2 shown]
	ds_store_2addr_b32 v11, v15, v6 offset0:16 offset1:17
	ds_store_2addr_b32 v11, v7, v4 offset0:18 offset1:19
	;; [unrolled: 1-line block ×4, first 2 shown]
	ds_store_b32 v11, v1 offset:96
	s_wait_dscnt 0x0
	s_barrier_signal -1
	s_barrier_wait -1
	ds_load_b32 v59, v12 offset:64
	ds_load_b32 v60, v19 offset:64
	;; [unrolled: 1-line block ×12, first 2 shown]
	v_mov_b64_e32 v[0:1], 0
                                        ; implicit-def: $vgpr2
	s_and_saveexec_b32 s2, s0
	s_cbranch_execz .LBB2051_135
; %bb.132:
	v_mul_u32_u24_e32 v0, 0x44, v14
	v_dual_mov_b32 v1, 0x1800 :: v_dual_add_nc_u32 v2, 1, v14
	s_mov_b32 s3, exec_lo
	ds_load_b32 v0, v0 offset:64
	v_cmpx_ne_u32_e32 0x100, v2
; %bb.133:
	v_mul_u32_u24_e32 v1, 0x44, v2
	ds_load_b32 v1, v1 offset:64
; %bb.134:
	s_or_b32 exec_lo, exec_lo, s3
	s_wait_dscnt 0x0
	v_dual_mov_b32 v1, 0 :: v_dual_sub_nc_u32 v2, v1, v0
.LBB2051_135:
	s_or_b32 exec_lo, exec_lo, s2
	s_wait_dscnt 0xa
	v_dual_lshlrev_b32 v9, 1, v9 :: v_dual_lshlrev_b32 v23, 1, v60
	v_dual_lshlrev_b32 v18, 1, v18 :: v_dual_lshlrev_b32 v17, 1, v17
	v_lshlrev_b32_e32 v21, 1, v21
	s_delay_alu instid0(VALU_DEP_3)
	v_lshl_add_u32 v9, v59, 1, v9
	s_wait_dscnt 0x0
	s_barrier_signal -1
	v_add3_u32 v17, v23, v18, v17
	v_dual_lshlrev_b32 v18, 1, v19 :: v_dual_lshlrev_b32 v19, 1, v22
	s_barrier_wait -1
	ds_store_b16 v9, v8 offset:2048
	ds_store_b16 v17, v10 offset:2048
	v_lshlrev_b32_e32 v9, 1, v16
	v_add3_u32 v8, v18, v19, v21
	v_dual_lshlrev_b32 v10, 1, v26 :: v_dual_lshlrev_b32 v16, 1, v25
	v_dual_lshlrev_b32 v18, 1, v28 :: v_dual_lshlrev_b32 v19, 1, v33
	;; [unrolled: 1-line block ×6, first 2 shown]
	ds_store_b16 v8, v13 offset:2048
	v_add3_u32 v8, v9, v10, v16
	v_add3_u32 v10, v12, v19, v21
	v_dual_lshlrev_b32 v12, 1, v42 :: v_dual_lshlrev_b32 v13, 1, v41
	v_add3_u32 v9, v15, v17, v18
	v_add3_u32 v11, v11, v22, v23
	ds_store_b16 v8, v20 offset:2048
	ds_store_b16 v9, v24 offset:2048
	;; [unrolled: 1-line block ×4, first 2 shown]
	v_add3_u32 v7, v7, v12, v13
	v_dual_lshlrev_b32 v6, 1, v6 :: v_dual_lshlrev_b32 v9, 1, v45
	v_dual_lshlrev_b32 v8, 1, v46 :: v_dual_lshlrev_b32 v5, 1, v5
	;; [unrolled: 1-line block ×6, first 2 shown]
	ds_store_b16 v7, v36 offset:2048
	v_add3_u32 v6, v6, v8, v9
	v_add3_u32 v7, v5, v10, v11
	;; [unrolled: 1-line block ×3, first 2 shown]
	v_dual_mov_b32 v5, 0 :: v_dual_lshlrev_b32 v3, 3, v14
	v_add3_u32 v4, v4, v12, v13
	ds_store_b16 v6, v40 offset:2048
	ds_store_b16 v7, v44 offset:2048
	ds_store_b16 v4, v49 offset:2048
	ds_store_b16 v8, v54 offset:2048
	s_and_saveexec_b32 s1, s0
	s_cbranch_execz .LBB2051_145
; %bb.136:
	v_lshl_add_u32 v4, s23, 8, v14
	v_dual_mov_b32 v8, 0 :: v_dual_bitop2_b32 v9, 2.0, v2 bitop3:0x54
	s_mov_b32 s2, 0
	s_mov_b32 s3, s23
	s_delay_alu instid0(VALU_DEP_2)
	v_lshl_add_u64 v[6:7], v[4:5], 2, s[10:11]
	global_store_b32 v4, v9, s[10:11] scale_offset scope:SCOPE_DEV
                                        ; implicit-def: $sgpr0
	s_branch .LBB2051_139
.LBB2051_137:                           ;   in Loop: Header=BB2051_139 Depth=1
	s_or_b32 exec_lo, exec_lo, s5
.LBB2051_138:                           ;   in Loop: Header=BB2051_139 Depth=1
	s_delay_alu instid0(SALU_CYCLE_1) | instskip(SKIP_2) | instid1(VALU_DEP_2)
	s_or_b32 exec_lo, exec_lo, s4
	v_and_b32_e32 v4, 0x3fffffff, v9
	v_cmp_gt_i32_e64 s0, -2.0, v9
	v_add_nc_u32_e32 v8, v4, v8
	s_and_b32 s4, exec_lo, s0
	s_delay_alu instid0(SALU_CYCLE_1) | instskip(NEXT) | instid1(SALU_CYCLE_1)
	s_or_b32 s2, s4, s2
	s_and_not1_b32 exec_lo, exec_lo, s2
	s_cbranch_execz .LBB2051_144
.LBB2051_139:                           ; =>This Loop Header: Depth=1
                                        ;     Child Loop BB2051_142 Depth 2
	s_or_b32 s0, s0, exec_lo
	s_cmp_eq_u32 s3, 0
	s_cbranch_scc1 .LBB2051_143
; %bb.140:                              ;   in Loop: Header=BB2051_139 Depth=1
	s_add_co_i32 s3, s3, -1
	s_mov_b32 s4, exec_lo
	s_wait_xcnt 0x0
	v_lshl_or_b32 v4, s3, 8, v14
	global_load_b32 v9, v4, s[10:11] scale_offset scope:SCOPE_DEV
	s_wait_loadcnt 0x0
	v_cmpx_gt_u32_e32 2.0, v9
	s_cbranch_execz .LBB2051_138
; %bb.141:                              ;   in Loop: Header=BB2051_139 Depth=1
	v_lshl_add_u64 v[10:11], v[4:5], 2, s[10:11]
	s_mov_b32 s5, 0
.LBB2051_142:                           ;   Parent Loop BB2051_139 Depth=1
                                        ; =>  This Inner Loop Header: Depth=2
	global_load_b32 v9, v[10:11], off scope:SCOPE_DEV
	s_wait_loadcnt 0x0
	v_cmp_lt_u32_e64 s0, 0x3fffffff, v9
	s_or_b32 s5, s0, s5
	s_wait_xcnt 0x0
	s_and_not1_b32 exec_lo, exec_lo, s5
	s_cbranch_execnz .LBB2051_142
	s_branch .LBB2051_137
.LBB2051_143:                           ;   in Loop: Header=BB2051_139 Depth=1
                                        ; implicit-def: $sgpr3
	s_and_b32 s4, exec_lo, s0
	s_delay_alu instid0(SALU_CYCLE_1)
	s_or_b32 s2, s4, s2
	s_wait_xcnt 0x0
	s_and_not1_b32 exec_lo, exec_lo, s2
	s_cbranch_execnz .LBB2051_139
.LBB2051_144:
	s_or_b32 exec_lo, exec_lo, s2
	v_dual_mov_b32 v9, 0 :: v_dual_add_nc_u32 v4, v8, v2
	s_delay_alu instid0(VALU_DEP_1) | instskip(SKIP_4) | instid1(VALU_DEP_1)
	v_or_b32_e32 v4, 0x80000000, v4
	global_store_b32 v[6:7], v4, off scope:SCOPE_DEV
	global_load_b64 v[4:5], v14, s[12:13] scale_offset
	v_sub_nc_u64_e32 v[6:7], v[8:9], v[0:1]
	s_wait_loadcnt 0x0
	v_add_nc_u64_e32 v[4:5], v[6:7], v[4:5]
	ds_store_b64 v3, v[4:5]
.LBB2051_145:
	s_wait_xcnt 0x0
	s_or_b32 exec_lo, exec_lo, s1
	v_mad_i32_i24 v15, v14, -6, v3
	s_wait_storecnt_dscnt 0x0
	s_barrier_signal -1
	s_barrier_wait -1
	ds_load_u16 v16, v15 offset:2048
	ds_load_u16 v17, v15 offset:3072
	;; [unrolled: 1-line block ×8, first 2 shown]
	v_dual_mov_b32 v5, 0 :: v_dual_lshlrev_b32 v4, 1, v14
	s_add_co_i32 s8, s8, -1
	s_delay_alu instid0(SALU_CYCLE_1) | instskip(SKIP_2) | instid1(VALU_DEP_1)
	s_cmp_eq_u32 s23, s8
	s_wait_dscnt 0x7
	v_cmp_ne_u16_e64 s0, 0x7fff, v16
	v_cndmask_b32_e64 v6, 0xffff8000, v16, s0
	v_cmp_lt_i16_e64 s0, -1, v16
	s_delay_alu instid0(VALU_DEP_2) | instskip(NEXT) | instid1(VALU_DEP_2)
	v_and_b32_e32 v6, 0xffff, v6
	v_cndmask_b32_e64 v24, 0xffff8000, -1, s0
	s_wait_dscnt 0x6
	v_cmp_ne_u16_e64 s0, 0x7fff, v17
	s_delay_alu instid0(VALU_DEP_2) | instskip(NEXT) | instid1(VALU_DEP_2)
	v_xor_b32_e32 v24, v24, v16
	v_cndmask_b32_e64 v7, 0xffff8000, v17, s0
	s_wait_dscnt 0x5
	v_cmp_ne_u16_e64 s0, 0x7fff, v18
	s_delay_alu instid0(VALU_DEP_2) | instskip(NEXT) | instid1(VALU_DEP_2)
	v_and_b32_e32 v7, 0xffff, v7
	v_cndmask_b32_e64 v8, 0xffff8000, v18, s0
	s_wait_dscnt 0x4
	v_cmp_ne_u16_e64 s0, 0x7fff, v19
	s_delay_alu instid0(VALU_DEP_3) | instskip(NEXT) | instid1(VALU_DEP_3)
	v_dual_lshrrev_b32 v6, s20, v6 :: v_dual_lshrrev_b32 v7, s20, v7
	v_and_b32_e32 v8, 0xffff, v8
	s_delay_alu instid0(VALU_DEP_3) | instskip(SKIP_1) | instid1(VALU_DEP_4)
	v_cndmask_b32_e64 v9, 0xffff8000, v19, s0
	v_cmp_lt_i16_e64 s0, -1, v17
	v_and_b32_e32 v7, s9, v7
	v_and_b32_e32 v6, s9, v6
	s_delay_alu instid0(VALU_DEP_4) | instskip(NEXT) | instid1(VALU_DEP_4)
	v_and_b32_e32 v9, 0xffff, v9
	v_cndmask_b32_e64 v25, 0xffff8000, -1, s0
	s_wait_dscnt 0x3
	v_cmp_ne_u16_e64 s0, 0x7fff, v20
	v_dual_lshrrev_b32 v8, s20, v8 :: v_dual_lshlrev_b32 v11, 3, v7
	v_dual_lshrrev_b32 v9, s20, v9 :: v_dual_lshlrev_b32 v6, 3, v6
	s_delay_alu instid0(VALU_DEP_3) | instskip(SKIP_1) | instid1(VALU_DEP_2)
	v_cndmask_b32_e64 v10, 0xffff8000, v20, s0
	v_cmp_lt_i16_e64 s0, -1, v18
	v_and_b32_e32 v10, 0xffff, v10
	v_and_b32_e32 v8, s9, v8
	;; [unrolled: 1-line block ×3, first 2 shown]
	s_delay_alu instid0(VALU_DEP_4) | instskip(SKIP_1) | instid1(VALU_DEP_4)
	v_cndmask_b32_e64 v27, 0xffff8000, -1, s0
	v_cmp_lt_i16_e64 s0, -1, v19
	v_dual_lshrrev_b32 v26, s20, v10 :: v_dual_lshlrev_b32 v10, 3, v8
	s_delay_alu instid0(VALU_DEP_4)
	v_lshlrev_b32_e32 v12, 3, v9
	ds_load_b64 v[6:7], v6
	ds_load_b64 v[8:9], v11
	v_cndmask_b32_e64 v28, 0xffff8000, -1, s0
	s_wait_dscnt 0x4
	v_cmp_ne_u16_e64 s0, 0x7fff, v21
	v_and_b32_e32 v26, s9, v26
	ds_load_b64 v[10:11], v10
	ds_load_b64 v[12:13], v12
	v_xor_b32_e32 v19, v28, v19
	v_cndmask_b32_e64 v29, 0xffff8000, v21, s0
	s_wait_dscnt 0x5
	v_cmp_ne_u16_e64 s0, 0x7fff, v22
	v_lshlrev_b32_e32 v26, 3, v26
	s_delay_alu instid0(VALU_DEP_2) | instskip(SKIP_1) | instid1(VALU_DEP_2)
	v_cndmask_b32_e64 v30, 0xffff8000, v22, s0
	v_cmp_lt_i16_e64 s0, -1, v20
	v_and_b32_e32 v28, 0xffff, v30
	s_wait_dscnt 0x3
	v_lshl_add_u64 v[6:7], v[6:7], 1, s[18:19]
	v_xor_b32_e32 v18, v27, v18
	v_and_b32_e32 v27, 0xffff, v29
	v_xor_b32_e32 v25, v25, v17
	ds_load_b64 v[16:17], v26
	ds_load_u16 v26, v15 offset:10240
	ds_load_u16 v31, v15 offset:11264
	;; [unrolled: 1-line block ×4, first 2 shown]
	s_wait_dscnt 0x7
	v_lshl_add_u64 v[8:9], v[8:9], 1, s[18:19]
	s_wait_dscnt 0x6
	v_lshl_add_u64 v[10:11], v[10:11], 1, s[18:19]
	v_add_nc_u64_e32 v[6:7], v[6:7], v[4:5]
	s_wait_dscnt 0x5
	v_lshl_add_u64 v[12:13], v[12:13], 1, s[18:19]
	v_add_nc_u64_e32 v[8:9], v[8:9], v[4:5]
	v_add_nc_u64_e32 v[10:11], v[10:11], v[4:5]
	s_clause 0x1
	global_store_b16 v[6:7], v24, off
	global_store_b16 v[8:9], v25, off offset:1024
	s_wait_xcnt 0x1
	v_cndmask_b32_e64 v6, 0xffff8000, -1, s0
	v_cmp_ne_u16_e64 s0, 0x7fff, v23
	s_wait_xcnt 0x0
	v_dual_lshrrev_b32 v8, s20, v27 :: v_dual_lshrrev_b32 v9, s20, v28
	global_store_b16 v[10:11], v18, off offset:2048
	v_add_nc_u64_e32 v[12:13], v[12:13], v[4:5]
	s_wait_xcnt 0x0
	v_cndmask_b32_e64 v10, 0xffff8000, v23, s0
	s_wait_dscnt 0x3
	v_cmp_ne_u16_e64 s0, 0x7fff, v26
	v_and_b32_e32 v8, s9, v8
	v_and_b32_e32 v9, s9, v9
	s_delay_alu instid0(VALU_DEP_3)
	v_cndmask_b32_e64 v11, 0xffff8000, v26, s0
	s_wait_dscnt 0x2
	v_cmp_ne_u16_e64 s0, 0x7fff, v31
	v_lshlrev_b32_e32 v8, 3, v8
	global_store_b16 v[12:13], v19, off offset:3072
	s_wait_xcnt 0x0
	v_dual_lshlrev_b32 v13, 3, v9 :: v_dual_bitop2_b32 v12, v6, v20 bitop3:0x14
	v_lshl_add_u64 v[6:7], v[16:17], 1, s[18:19]
	v_and_b32_e32 v16, 0xffff, v10
	v_and_b32_e32 v17, 0xffff, v11
	v_cndmask_b32_e64 v18, 0xffff8000, v31, s0
	ds_load_b64 v[8:9], v8
	ds_load_b64 v[10:11], v13
	v_cmp_lt_i16_e64 s0, -1, v21
	v_dual_lshrrev_b32 v13, s20, v16 :: v_dual_lshrrev_b32 v16, s20, v17
	v_and_b32_e32 v17, 0xffff, v18
	v_add_nc_u64_e32 v[6:7], v[6:7], v[4:5]
	s_delay_alu instid0(VALU_DEP_4)
	v_cndmask_b32_e64 v18, 0xffff8000, -1, s0
	s_wait_dscnt 0x3
	v_cmp_ne_u16_e64 s0, 0x7fff, v32
	v_dual_lshrrev_b32 v17, s20, v17 :: v_dual_bitop2_b32 v16, s9, v16 bitop3:0x40
	v_and_b32_e32 v13, s9, v13
	global_store_b16 v[6:7], v12, off offset:4096
	s_wait_xcnt 0x0
	v_dual_lshlrev_b32 v12, 3, v16 :: v_dual_bitop2_b32 v16, s9, v17 bitop3:0x40
	v_cndmask_b32_e64 v17, 0xffff8000, v32, s0
	s_wait_dscnt 0x2
	v_cmp_ne_u16_e64 s0, 0x7fff, v15
	s_wait_dscnt 0x1
	v_lshl_add_u64 v[8:9], v[8:9], 1, s[18:19]
	v_and_b32_e32 v17, 0xffff, v17
	s_delay_alu instid0(VALU_DEP_3)
	v_cndmask_b32_e64 v19, 0xffff8000, v15, s0
	v_cmp_lt_i16_e64 s0, -1, v22
	s_wait_dscnt 0x0
	v_lshl_add_u64 v[10:11], v[10:11], 1, s[18:19]
	v_add_nc_u64_e32 v[8:9], v[8:9], v[4:5]
	v_lshrrev_b32_e32 v20, s20, v17
	v_and_b32_e32 v19, 0xffff, v19
	v_lshlrev_b32_e32 v6, 3, v13
	v_dual_lshlrev_b32 v16, 3, v16 :: v_dual_bitop2_b32 v18, v18, v21 bitop3:0x14
	v_cndmask_b32_e64 v21, 0xffff8000, -1, s0
	s_delay_alu instid0(VALU_DEP_4)
	v_lshrrev_b32_e32 v19, s20, v19
	ds_load_b64 v[6:7], v6
	ds_load_b64 v[12:13], v12
	v_add_nc_u64_e32 v[10:11], v[10:11], v[4:5]
	ds_load_b64 v[16:17], v16
	v_xor_b32_e32 v21, v21, v22
	v_and_b32_e32 v19, s9, v19
	v_and_b32_e32 v20, s9, v20
	v_cmp_lt_i16_e64 s0, -1, v23
	s_clause 0x1
	global_store_b16 v[8:9], v18, off offset:5120
	global_store_b16 v[10:11], v21, off offset:6144
	v_dual_lshlrev_b32 v19, 3, v19 :: v_dual_lshlrev_b32 v20, 3, v20
	v_cndmask_b32_e64 v22, 0xffff8000, -1, s0
	v_cmp_lt_i16_e64 s0, -1, v26
	s_wait_xcnt 0x0
	ds_load_b64 v[10:11], v19
	ds_load_b64 v[8:9], v20
	v_xor_b32_e32 v18, v22, v23
	v_cndmask_b32_e64 v19, 0xffff8000, -1, s0
	v_cmp_lt_i16_e64 s0, -1, v31
	s_wait_dscnt 0x4
	v_lshl_add_u64 v[6:7], v[6:7], 1, s[18:19]
	s_wait_dscnt 0x3
	v_lshl_add_u64 v[12:13], v[12:13], 1, s[18:19]
	;; [unrolled: 2-line block ×3, first 2 shown]
	v_cndmask_b32_e64 v20, 0xffff8000, -1, s0
	v_cmp_lt_i16_e64 s0, -1, v32
	v_add_nc_u64_e32 v[6:7], v[6:7], v[4:5]
	v_add_nc_u64_e32 v[12:13], v[12:13], v[4:5]
	;; [unrolled: 1-line block ×3, first 2 shown]
	v_xor_b32_e32 v19, v19, v26
	v_xor_b32_e32 v20, v20, v31
	v_cndmask_b32_e64 v21, 0xffff8000, -1, s0
	v_cmp_lt_i16_e64 s0, -1, v15
	s_clause 0x2
	global_store_b16 v[6:7], v18, off offset:7168
	global_store_b16 v[12:13], v19, off offset:8192
	;; [unrolled: 1-line block ×3, first 2 shown]
	s_wait_dscnt 0x0
	s_wait_xcnt 0x2
	v_lshl_add_u64 v[6:7], v[8:9], 1, s[18:19]
	v_lshl_add_u64 v[8:9], v[10:11], 1, s[18:19]
	v_cndmask_b32_e64 v10, 0xffff8000, -1, s0
	s_wait_xcnt 0x1
	v_xor_b32_e32 v12, v21, v32
	s_cselect_b32 s0, -1, 0
	v_add_nc_u64_e32 v[6:7], v[6:7], v[4:5]
	v_add_nc_u64_e32 v[8:9], v[8:9], v[4:5]
	v_xor_b32_e32 v4, v10, v15
	s_xor_b32 s1, vcc_lo, -1
	s_delay_alu instid0(SALU_CYCLE_1)
	s_and_b32 s0, s1, s0
	s_clause 0x1
	global_store_b16 v[6:7], v12, off offset:10240
	global_store_b16 v[8:9], v4, off offset:11264
	s_wait_xcnt 0x0
	s_and_saveexec_b32 s1, s0
	s_cbranch_execz .LBB2051_147
; %bb.146:
	ds_load_b64 v[6:7], v3
	v_mov_b32_e32 v3, v5
	s_delay_alu instid0(VALU_DEP_1) | instskip(SKIP_1) | instid1(VALU_DEP_1)
	v_add_nc_u64_e32 v[0:1], v[0:1], v[2:3]
	s_wait_dscnt 0x0
	v_add_nc_u64_e32 v[0:1], v[0:1], v[6:7]
	global_store_b64 v14, v[0:1], s[14:15] scale_offset
.LBB2051_147:
	s_sendmsg sendmsg(MSG_DEALLOC_VGPRS)
	s_endpgm
	.section	.rodata,"a",@progbits
	.p2align	6, 0x0
	.amdhsa_kernel _ZN7rocprim17ROCPRIM_400000_NS6detail17trampoline_kernelINS0_14default_configENS1_35radix_sort_onesweep_config_selectorI12hip_bfloat16NS0_10empty_typeEEEZZNS1_29radix_sort_onesweep_iterationIS3_Lb0EPKS5_PS5_PS6_SC_mNS0_19identity_decomposerENS1_16block_id_wrapperIjLb1EEEEE10hipError_tT1_PNSt15iterator_traitsISH_E10value_typeET2_T3_PNSI_ISN_E10value_typeET4_T5_PSS_ST_PNS1_23onesweep_lookback_stateEbbT6_jjT7_P12ihipStream_tbENKUlT_T0_SH_SM_E_clISA_SB_SC_SC_EEDaS10_S11_SH_SM_EUlS10_E_NS1_11comp_targetILNS1_3genE0ELNS1_11target_archE4294967295ELNS1_3gpuE0ELNS1_3repE0EEENS1_47radix_sort_onesweep_sort_config_static_selectorELNS0_4arch9wavefront6targetE0EEEvSH_
		.amdhsa_group_segment_fixed_size 18504
		.amdhsa_private_segment_fixed_size 0
		.amdhsa_kernarg_size 344
		.amdhsa_user_sgpr_count 2
		.amdhsa_user_sgpr_dispatch_ptr 0
		.amdhsa_user_sgpr_queue_ptr 0
		.amdhsa_user_sgpr_kernarg_segment_ptr 1
		.amdhsa_user_sgpr_dispatch_id 0
		.amdhsa_user_sgpr_kernarg_preload_length 0
		.amdhsa_user_sgpr_kernarg_preload_offset 0
		.amdhsa_user_sgpr_private_segment_size 0
		.amdhsa_wavefront_size32 1
		.amdhsa_uses_dynamic_stack 0
		.amdhsa_enable_private_segment 0
		.amdhsa_system_sgpr_workgroup_id_x 1
		.amdhsa_system_sgpr_workgroup_id_y 0
		.amdhsa_system_sgpr_workgroup_id_z 0
		.amdhsa_system_sgpr_workgroup_info 0
		.amdhsa_system_vgpr_workitem_id 2
		.amdhsa_next_free_vgpr 65
		.amdhsa_next_free_sgpr 30
		.amdhsa_named_barrier_count 0
		.amdhsa_reserve_vcc 1
		.amdhsa_float_round_mode_32 0
		.amdhsa_float_round_mode_16_64 0
		.amdhsa_float_denorm_mode_32 3
		.amdhsa_float_denorm_mode_16_64 3
		.amdhsa_fp16_overflow 0
		.amdhsa_memory_ordered 1
		.amdhsa_forward_progress 1
		.amdhsa_inst_pref_size 148
		.amdhsa_round_robin_scheduling 0
		.amdhsa_exception_fp_ieee_invalid_op 0
		.amdhsa_exception_fp_denorm_src 0
		.amdhsa_exception_fp_ieee_div_zero 0
		.amdhsa_exception_fp_ieee_overflow 0
		.amdhsa_exception_fp_ieee_underflow 0
		.amdhsa_exception_fp_ieee_inexact 0
		.amdhsa_exception_int_div_zero 0
	.end_amdhsa_kernel
	.section	.text._ZN7rocprim17ROCPRIM_400000_NS6detail17trampoline_kernelINS0_14default_configENS1_35radix_sort_onesweep_config_selectorI12hip_bfloat16NS0_10empty_typeEEEZZNS1_29radix_sort_onesweep_iterationIS3_Lb0EPKS5_PS5_PS6_SC_mNS0_19identity_decomposerENS1_16block_id_wrapperIjLb1EEEEE10hipError_tT1_PNSt15iterator_traitsISH_E10value_typeET2_T3_PNSI_ISN_E10value_typeET4_T5_PSS_ST_PNS1_23onesweep_lookback_stateEbbT6_jjT7_P12ihipStream_tbENKUlT_T0_SH_SM_E_clISA_SB_SC_SC_EEDaS10_S11_SH_SM_EUlS10_E_NS1_11comp_targetILNS1_3genE0ELNS1_11target_archE4294967295ELNS1_3gpuE0ELNS1_3repE0EEENS1_47radix_sort_onesweep_sort_config_static_selectorELNS0_4arch9wavefront6targetE0EEEvSH_,"axG",@progbits,_ZN7rocprim17ROCPRIM_400000_NS6detail17trampoline_kernelINS0_14default_configENS1_35radix_sort_onesweep_config_selectorI12hip_bfloat16NS0_10empty_typeEEEZZNS1_29radix_sort_onesweep_iterationIS3_Lb0EPKS5_PS5_PS6_SC_mNS0_19identity_decomposerENS1_16block_id_wrapperIjLb1EEEEE10hipError_tT1_PNSt15iterator_traitsISH_E10value_typeET2_T3_PNSI_ISN_E10value_typeET4_T5_PSS_ST_PNS1_23onesweep_lookback_stateEbbT6_jjT7_P12ihipStream_tbENKUlT_T0_SH_SM_E_clISA_SB_SC_SC_EEDaS10_S11_SH_SM_EUlS10_E_NS1_11comp_targetILNS1_3genE0ELNS1_11target_archE4294967295ELNS1_3gpuE0ELNS1_3repE0EEENS1_47radix_sort_onesweep_sort_config_static_selectorELNS0_4arch9wavefront6targetE0EEEvSH_,comdat
.Lfunc_end2051:
	.size	_ZN7rocprim17ROCPRIM_400000_NS6detail17trampoline_kernelINS0_14default_configENS1_35radix_sort_onesweep_config_selectorI12hip_bfloat16NS0_10empty_typeEEEZZNS1_29radix_sort_onesweep_iterationIS3_Lb0EPKS5_PS5_PS6_SC_mNS0_19identity_decomposerENS1_16block_id_wrapperIjLb1EEEEE10hipError_tT1_PNSt15iterator_traitsISH_E10value_typeET2_T3_PNSI_ISN_E10value_typeET4_T5_PSS_ST_PNS1_23onesweep_lookback_stateEbbT6_jjT7_P12ihipStream_tbENKUlT_T0_SH_SM_E_clISA_SB_SC_SC_EEDaS10_S11_SH_SM_EUlS10_E_NS1_11comp_targetILNS1_3genE0ELNS1_11target_archE4294967295ELNS1_3gpuE0ELNS1_3repE0EEENS1_47radix_sort_onesweep_sort_config_static_selectorELNS0_4arch9wavefront6targetE0EEEvSH_, .Lfunc_end2051-_ZN7rocprim17ROCPRIM_400000_NS6detail17trampoline_kernelINS0_14default_configENS1_35radix_sort_onesweep_config_selectorI12hip_bfloat16NS0_10empty_typeEEEZZNS1_29radix_sort_onesweep_iterationIS3_Lb0EPKS5_PS5_PS6_SC_mNS0_19identity_decomposerENS1_16block_id_wrapperIjLb1EEEEE10hipError_tT1_PNSt15iterator_traitsISH_E10value_typeET2_T3_PNSI_ISN_E10value_typeET4_T5_PSS_ST_PNS1_23onesweep_lookback_stateEbbT6_jjT7_P12ihipStream_tbENKUlT_T0_SH_SM_E_clISA_SB_SC_SC_EEDaS10_S11_SH_SM_EUlS10_E_NS1_11comp_targetILNS1_3genE0ELNS1_11target_archE4294967295ELNS1_3gpuE0ELNS1_3repE0EEENS1_47radix_sort_onesweep_sort_config_static_selectorELNS0_4arch9wavefront6targetE0EEEvSH_
                                        ; -- End function
	.set _ZN7rocprim17ROCPRIM_400000_NS6detail17trampoline_kernelINS0_14default_configENS1_35radix_sort_onesweep_config_selectorI12hip_bfloat16NS0_10empty_typeEEEZZNS1_29radix_sort_onesweep_iterationIS3_Lb0EPKS5_PS5_PS6_SC_mNS0_19identity_decomposerENS1_16block_id_wrapperIjLb1EEEEE10hipError_tT1_PNSt15iterator_traitsISH_E10value_typeET2_T3_PNSI_ISN_E10value_typeET4_T5_PSS_ST_PNS1_23onesweep_lookback_stateEbbT6_jjT7_P12ihipStream_tbENKUlT_T0_SH_SM_E_clISA_SB_SC_SC_EEDaS10_S11_SH_SM_EUlS10_E_NS1_11comp_targetILNS1_3genE0ELNS1_11target_archE4294967295ELNS1_3gpuE0ELNS1_3repE0EEENS1_47radix_sort_onesweep_sort_config_static_selectorELNS0_4arch9wavefront6targetE0EEEvSH_.num_vgpr, 65
	.set _ZN7rocprim17ROCPRIM_400000_NS6detail17trampoline_kernelINS0_14default_configENS1_35radix_sort_onesweep_config_selectorI12hip_bfloat16NS0_10empty_typeEEEZZNS1_29radix_sort_onesweep_iterationIS3_Lb0EPKS5_PS5_PS6_SC_mNS0_19identity_decomposerENS1_16block_id_wrapperIjLb1EEEEE10hipError_tT1_PNSt15iterator_traitsISH_E10value_typeET2_T3_PNSI_ISN_E10value_typeET4_T5_PSS_ST_PNS1_23onesweep_lookback_stateEbbT6_jjT7_P12ihipStream_tbENKUlT_T0_SH_SM_E_clISA_SB_SC_SC_EEDaS10_S11_SH_SM_EUlS10_E_NS1_11comp_targetILNS1_3genE0ELNS1_11target_archE4294967295ELNS1_3gpuE0ELNS1_3repE0EEENS1_47radix_sort_onesweep_sort_config_static_selectorELNS0_4arch9wavefront6targetE0EEEvSH_.num_agpr, 0
	.set _ZN7rocprim17ROCPRIM_400000_NS6detail17trampoline_kernelINS0_14default_configENS1_35radix_sort_onesweep_config_selectorI12hip_bfloat16NS0_10empty_typeEEEZZNS1_29radix_sort_onesweep_iterationIS3_Lb0EPKS5_PS5_PS6_SC_mNS0_19identity_decomposerENS1_16block_id_wrapperIjLb1EEEEE10hipError_tT1_PNSt15iterator_traitsISH_E10value_typeET2_T3_PNSI_ISN_E10value_typeET4_T5_PSS_ST_PNS1_23onesweep_lookback_stateEbbT6_jjT7_P12ihipStream_tbENKUlT_T0_SH_SM_E_clISA_SB_SC_SC_EEDaS10_S11_SH_SM_EUlS10_E_NS1_11comp_targetILNS1_3genE0ELNS1_11target_archE4294967295ELNS1_3gpuE0ELNS1_3repE0EEENS1_47radix_sort_onesweep_sort_config_static_selectorELNS0_4arch9wavefront6targetE0EEEvSH_.numbered_sgpr, 30
	.set _ZN7rocprim17ROCPRIM_400000_NS6detail17trampoline_kernelINS0_14default_configENS1_35radix_sort_onesweep_config_selectorI12hip_bfloat16NS0_10empty_typeEEEZZNS1_29radix_sort_onesweep_iterationIS3_Lb0EPKS5_PS5_PS6_SC_mNS0_19identity_decomposerENS1_16block_id_wrapperIjLb1EEEEE10hipError_tT1_PNSt15iterator_traitsISH_E10value_typeET2_T3_PNSI_ISN_E10value_typeET4_T5_PSS_ST_PNS1_23onesweep_lookback_stateEbbT6_jjT7_P12ihipStream_tbENKUlT_T0_SH_SM_E_clISA_SB_SC_SC_EEDaS10_S11_SH_SM_EUlS10_E_NS1_11comp_targetILNS1_3genE0ELNS1_11target_archE4294967295ELNS1_3gpuE0ELNS1_3repE0EEENS1_47radix_sort_onesweep_sort_config_static_selectorELNS0_4arch9wavefront6targetE0EEEvSH_.num_named_barrier, 0
	.set _ZN7rocprim17ROCPRIM_400000_NS6detail17trampoline_kernelINS0_14default_configENS1_35radix_sort_onesweep_config_selectorI12hip_bfloat16NS0_10empty_typeEEEZZNS1_29radix_sort_onesweep_iterationIS3_Lb0EPKS5_PS5_PS6_SC_mNS0_19identity_decomposerENS1_16block_id_wrapperIjLb1EEEEE10hipError_tT1_PNSt15iterator_traitsISH_E10value_typeET2_T3_PNSI_ISN_E10value_typeET4_T5_PSS_ST_PNS1_23onesweep_lookback_stateEbbT6_jjT7_P12ihipStream_tbENKUlT_T0_SH_SM_E_clISA_SB_SC_SC_EEDaS10_S11_SH_SM_EUlS10_E_NS1_11comp_targetILNS1_3genE0ELNS1_11target_archE4294967295ELNS1_3gpuE0ELNS1_3repE0EEENS1_47radix_sort_onesweep_sort_config_static_selectorELNS0_4arch9wavefront6targetE0EEEvSH_.private_seg_size, 0
	.set _ZN7rocprim17ROCPRIM_400000_NS6detail17trampoline_kernelINS0_14default_configENS1_35radix_sort_onesweep_config_selectorI12hip_bfloat16NS0_10empty_typeEEEZZNS1_29radix_sort_onesweep_iterationIS3_Lb0EPKS5_PS5_PS6_SC_mNS0_19identity_decomposerENS1_16block_id_wrapperIjLb1EEEEE10hipError_tT1_PNSt15iterator_traitsISH_E10value_typeET2_T3_PNSI_ISN_E10value_typeET4_T5_PSS_ST_PNS1_23onesweep_lookback_stateEbbT6_jjT7_P12ihipStream_tbENKUlT_T0_SH_SM_E_clISA_SB_SC_SC_EEDaS10_S11_SH_SM_EUlS10_E_NS1_11comp_targetILNS1_3genE0ELNS1_11target_archE4294967295ELNS1_3gpuE0ELNS1_3repE0EEENS1_47radix_sort_onesweep_sort_config_static_selectorELNS0_4arch9wavefront6targetE0EEEvSH_.uses_vcc, 1
	.set _ZN7rocprim17ROCPRIM_400000_NS6detail17trampoline_kernelINS0_14default_configENS1_35radix_sort_onesweep_config_selectorI12hip_bfloat16NS0_10empty_typeEEEZZNS1_29radix_sort_onesweep_iterationIS3_Lb0EPKS5_PS5_PS6_SC_mNS0_19identity_decomposerENS1_16block_id_wrapperIjLb1EEEEE10hipError_tT1_PNSt15iterator_traitsISH_E10value_typeET2_T3_PNSI_ISN_E10value_typeET4_T5_PSS_ST_PNS1_23onesweep_lookback_stateEbbT6_jjT7_P12ihipStream_tbENKUlT_T0_SH_SM_E_clISA_SB_SC_SC_EEDaS10_S11_SH_SM_EUlS10_E_NS1_11comp_targetILNS1_3genE0ELNS1_11target_archE4294967295ELNS1_3gpuE0ELNS1_3repE0EEENS1_47radix_sort_onesweep_sort_config_static_selectorELNS0_4arch9wavefront6targetE0EEEvSH_.uses_flat_scratch, 0
	.set _ZN7rocprim17ROCPRIM_400000_NS6detail17trampoline_kernelINS0_14default_configENS1_35radix_sort_onesweep_config_selectorI12hip_bfloat16NS0_10empty_typeEEEZZNS1_29radix_sort_onesweep_iterationIS3_Lb0EPKS5_PS5_PS6_SC_mNS0_19identity_decomposerENS1_16block_id_wrapperIjLb1EEEEE10hipError_tT1_PNSt15iterator_traitsISH_E10value_typeET2_T3_PNSI_ISN_E10value_typeET4_T5_PSS_ST_PNS1_23onesweep_lookback_stateEbbT6_jjT7_P12ihipStream_tbENKUlT_T0_SH_SM_E_clISA_SB_SC_SC_EEDaS10_S11_SH_SM_EUlS10_E_NS1_11comp_targetILNS1_3genE0ELNS1_11target_archE4294967295ELNS1_3gpuE0ELNS1_3repE0EEENS1_47radix_sort_onesweep_sort_config_static_selectorELNS0_4arch9wavefront6targetE0EEEvSH_.has_dyn_sized_stack, 0
	.set _ZN7rocprim17ROCPRIM_400000_NS6detail17trampoline_kernelINS0_14default_configENS1_35radix_sort_onesweep_config_selectorI12hip_bfloat16NS0_10empty_typeEEEZZNS1_29radix_sort_onesweep_iterationIS3_Lb0EPKS5_PS5_PS6_SC_mNS0_19identity_decomposerENS1_16block_id_wrapperIjLb1EEEEE10hipError_tT1_PNSt15iterator_traitsISH_E10value_typeET2_T3_PNSI_ISN_E10value_typeET4_T5_PSS_ST_PNS1_23onesweep_lookback_stateEbbT6_jjT7_P12ihipStream_tbENKUlT_T0_SH_SM_E_clISA_SB_SC_SC_EEDaS10_S11_SH_SM_EUlS10_E_NS1_11comp_targetILNS1_3genE0ELNS1_11target_archE4294967295ELNS1_3gpuE0ELNS1_3repE0EEENS1_47radix_sort_onesweep_sort_config_static_selectorELNS0_4arch9wavefront6targetE0EEEvSH_.has_recursion, 0
	.set _ZN7rocprim17ROCPRIM_400000_NS6detail17trampoline_kernelINS0_14default_configENS1_35radix_sort_onesweep_config_selectorI12hip_bfloat16NS0_10empty_typeEEEZZNS1_29radix_sort_onesweep_iterationIS3_Lb0EPKS5_PS5_PS6_SC_mNS0_19identity_decomposerENS1_16block_id_wrapperIjLb1EEEEE10hipError_tT1_PNSt15iterator_traitsISH_E10value_typeET2_T3_PNSI_ISN_E10value_typeET4_T5_PSS_ST_PNS1_23onesweep_lookback_stateEbbT6_jjT7_P12ihipStream_tbENKUlT_T0_SH_SM_E_clISA_SB_SC_SC_EEDaS10_S11_SH_SM_EUlS10_E_NS1_11comp_targetILNS1_3genE0ELNS1_11target_archE4294967295ELNS1_3gpuE0ELNS1_3repE0EEENS1_47radix_sort_onesweep_sort_config_static_selectorELNS0_4arch9wavefront6targetE0EEEvSH_.has_indirect_call, 0
	.section	.AMDGPU.csdata,"",@progbits
; Kernel info:
; codeLenInByte = 18912
; TotalNumSgprs: 32
; NumVgprs: 65
; ScratchSize: 0
; MemoryBound: 0
; FloatMode: 240
; IeeeMode: 1
; LDSByteSize: 18504 bytes/workgroup (compile time only)
; SGPRBlocks: 0
; VGPRBlocks: 4
; NumSGPRsForWavesPerEU: 32
; NumVGPRsForWavesPerEU: 65
; NamedBarCnt: 0
; Occupancy: 12
; WaveLimiterHint : 0
; COMPUTE_PGM_RSRC2:SCRATCH_EN: 0
; COMPUTE_PGM_RSRC2:USER_SGPR: 2
; COMPUTE_PGM_RSRC2:TRAP_HANDLER: 0
; COMPUTE_PGM_RSRC2:TGID_X_EN: 1
; COMPUTE_PGM_RSRC2:TGID_Y_EN: 0
; COMPUTE_PGM_RSRC2:TGID_Z_EN: 0
; COMPUTE_PGM_RSRC2:TIDIG_COMP_CNT: 2
	.section	.text._ZN7rocprim17ROCPRIM_400000_NS6detail17trampoline_kernelINS0_14default_configENS1_35radix_sort_onesweep_config_selectorI12hip_bfloat16NS0_10empty_typeEEEZZNS1_29radix_sort_onesweep_iterationIS3_Lb0EPKS5_PS5_PS6_SC_mNS0_19identity_decomposerENS1_16block_id_wrapperIjLb1EEEEE10hipError_tT1_PNSt15iterator_traitsISH_E10value_typeET2_T3_PNSI_ISN_E10value_typeET4_T5_PSS_ST_PNS1_23onesweep_lookback_stateEbbT6_jjT7_P12ihipStream_tbENKUlT_T0_SH_SM_E_clISA_SB_SC_SC_EEDaS10_S11_SH_SM_EUlS10_E_NS1_11comp_targetILNS1_3genE6ELNS1_11target_archE950ELNS1_3gpuE13ELNS1_3repE0EEENS1_47radix_sort_onesweep_sort_config_static_selectorELNS0_4arch9wavefront6targetE0EEEvSH_,"axG",@progbits,_ZN7rocprim17ROCPRIM_400000_NS6detail17trampoline_kernelINS0_14default_configENS1_35radix_sort_onesweep_config_selectorI12hip_bfloat16NS0_10empty_typeEEEZZNS1_29radix_sort_onesweep_iterationIS3_Lb0EPKS5_PS5_PS6_SC_mNS0_19identity_decomposerENS1_16block_id_wrapperIjLb1EEEEE10hipError_tT1_PNSt15iterator_traitsISH_E10value_typeET2_T3_PNSI_ISN_E10value_typeET4_T5_PSS_ST_PNS1_23onesweep_lookback_stateEbbT6_jjT7_P12ihipStream_tbENKUlT_T0_SH_SM_E_clISA_SB_SC_SC_EEDaS10_S11_SH_SM_EUlS10_E_NS1_11comp_targetILNS1_3genE6ELNS1_11target_archE950ELNS1_3gpuE13ELNS1_3repE0EEENS1_47radix_sort_onesweep_sort_config_static_selectorELNS0_4arch9wavefront6targetE0EEEvSH_,comdat
	.protected	_ZN7rocprim17ROCPRIM_400000_NS6detail17trampoline_kernelINS0_14default_configENS1_35radix_sort_onesweep_config_selectorI12hip_bfloat16NS0_10empty_typeEEEZZNS1_29radix_sort_onesweep_iterationIS3_Lb0EPKS5_PS5_PS6_SC_mNS0_19identity_decomposerENS1_16block_id_wrapperIjLb1EEEEE10hipError_tT1_PNSt15iterator_traitsISH_E10value_typeET2_T3_PNSI_ISN_E10value_typeET4_T5_PSS_ST_PNS1_23onesweep_lookback_stateEbbT6_jjT7_P12ihipStream_tbENKUlT_T0_SH_SM_E_clISA_SB_SC_SC_EEDaS10_S11_SH_SM_EUlS10_E_NS1_11comp_targetILNS1_3genE6ELNS1_11target_archE950ELNS1_3gpuE13ELNS1_3repE0EEENS1_47radix_sort_onesweep_sort_config_static_selectorELNS0_4arch9wavefront6targetE0EEEvSH_ ; -- Begin function _ZN7rocprim17ROCPRIM_400000_NS6detail17trampoline_kernelINS0_14default_configENS1_35radix_sort_onesweep_config_selectorI12hip_bfloat16NS0_10empty_typeEEEZZNS1_29radix_sort_onesweep_iterationIS3_Lb0EPKS5_PS5_PS6_SC_mNS0_19identity_decomposerENS1_16block_id_wrapperIjLb1EEEEE10hipError_tT1_PNSt15iterator_traitsISH_E10value_typeET2_T3_PNSI_ISN_E10value_typeET4_T5_PSS_ST_PNS1_23onesweep_lookback_stateEbbT6_jjT7_P12ihipStream_tbENKUlT_T0_SH_SM_E_clISA_SB_SC_SC_EEDaS10_S11_SH_SM_EUlS10_E_NS1_11comp_targetILNS1_3genE6ELNS1_11target_archE950ELNS1_3gpuE13ELNS1_3repE0EEENS1_47radix_sort_onesweep_sort_config_static_selectorELNS0_4arch9wavefront6targetE0EEEvSH_
	.globl	_ZN7rocprim17ROCPRIM_400000_NS6detail17trampoline_kernelINS0_14default_configENS1_35radix_sort_onesweep_config_selectorI12hip_bfloat16NS0_10empty_typeEEEZZNS1_29radix_sort_onesweep_iterationIS3_Lb0EPKS5_PS5_PS6_SC_mNS0_19identity_decomposerENS1_16block_id_wrapperIjLb1EEEEE10hipError_tT1_PNSt15iterator_traitsISH_E10value_typeET2_T3_PNSI_ISN_E10value_typeET4_T5_PSS_ST_PNS1_23onesweep_lookback_stateEbbT6_jjT7_P12ihipStream_tbENKUlT_T0_SH_SM_E_clISA_SB_SC_SC_EEDaS10_S11_SH_SM_EUlS10_E_NS1_11comp_targetILNS1_3genE6ELNS1_11target_archE950ELNS1_3gpuE13ELNS1_3repE0EEENS1_47radix_sort_onesweep_sort_config_static_selectorELNS0_4arch9wavefront6targetE0EEEvSH_
	.p2align	8
	.type	_ZN7rocprim17ROCPRIM_400000_NS6detail17trampoline_kernelINS0_14default_configENS1_35radix_sort_onesweep_config_selectorI12hip_bfloat16NS0_10empty_typeEEEZZNS1_29radix_sort_onesweep_iterationIS3_Lb0EPKS5_PS5_PS6_SC_mNS0_19identity_decomposerENS1_16block_id_wrapperIjLb1EEEEE10hipError_tT1_PNSt15iterator_traitsISH_E10value_typeET2_T3_PNSI_ISN_E10value_typeET4_T5_PSS_ST_PNS1_23onesweep_lookback_stateEbbT6_jjT7_P12ihipStream_tbENKUlT_T0_SH_SM_E_clISA_SB_SC_SC_EEDaS10_S11_SH_SM_EUlS10_E_NS1_11comp_targetILNS1_3genE6ELNS1_11target_archE950ELNS1_3gpuE13ELNS1_3repE0EEENS1_47radix_sort_onesweep_sort_config_static_selectorELNS0_4arch9wavefront6targetE0EEEvSH_,@function
_ZN7rocprim17ROCPRIM_400000_NS6detail17trampoline_kernelINS0_14default_configENS1_35radix_sort_onesweep_config_selectorI12hip_bfloat16NS0_10empty_typeEEEZZNS1_29radix_sort_onesweep_iterationIS3_Lb0EPKS5_PS5_PS6_SC_mNS0_19identity_decomposerENS1_16block_id_wrapperIjLb1EEEEE10hipError_tT1_PNSt15iterator_traitsISH_E10value_typeET2_T3_PNSI_ISN_E10value_typeET4_T5_PSS_ST_PNS1_23onesweep_lookback_stateEbbT6_jjT7_P12ihipStream_tbENKUlT_T0_SH_SM_E_clISA_SB_SC_SC_EEDaS10_S11_SH_SM_EUlS10_E_NS1_11comp_targetILNS1_3genE6ELNS1_11target_archE950ELNS1_3gpuE13ELNS1_3repE0EEENS1_47radix_sort_onesweep_sort_config_static_selectorELNS0_4arch9wavefront6targetE0EEEvSH_: ; @_ZN7rocprim17ROCPRIM_400000_NS6detail17trampoline_kernelINS0_14default_configENS1_35radix_sort_onesweep_config_selectorI12hip_bfloat16NS0_10empty_typeEEEZZNS1_29radix_sort_onesweep_iterationIS3_Lb0EPKS5_PS5_PS6_SC_mNS0_19identity_decomposerENS1_16block_id_wrapperIjLb1EEEEE10hipError_tT1_PNSt15iterator_traitsISH_E10value_typeET2_T3_PNSI_ISN_E10value_typeET4_T5_PSS_ST_PNS1_23onesweep_lookback_stateEbbT6_jjT7_P12ihipStream_tbENKUlT_T0_SH_SM_E_clISA_SB_SC_SC_EEDaS10_S11_SH_SM_EUlS10_E_NS1_11comp_targetILNS1_3genE6ELNS1_11target_archE950ELNS1_3gpuE13ELNS1_3repE0EEENS1_47radix_sort_onesweep_sort_config_static_selectorELNS0_4arch9wavefront6targetE0EEEvSH_
; %bb.0:
	.section	.rodata,"a",@progbits
	.p2align	6, 0x0
	.amdhsa_kernel _ZN7rocprim17ROCPRIM_400000_NS6detail17trampoline_kernelINS0_14default_configENS1_35radix_sort_onesweep_config_selectorI12hip_bfloat16NS0_10empty_typeEEEZZNS1_29radix_sort_onesweep_iterationIS3_Lb0EPKS5_PS5_PS6_SC_mNS0_19identity_decomposerENS1_16block_id_wrapperIjLb1EEEEE10hipError_tT1_PNSt15iterator_traitsISH_E10value_typeET2_T3_PNSI_ISN_E10value_typeET4_T5_PSS_ST_PNS1_23onesweep_lookback_stateEbbT6_jjT7_P12ihipStream_tbENKUlT_T0_SH_SM_E_clISA_SB_SC_SC_EEDaS10_S11_SH_SM_EUlS10_E_NS1_11comp_targetILNS1_3genE6ELNS1_11target_archE950ELNS1_3gpuE13ELNS1_3repE0EEENS1_47radix_sort_onesweep_sort_config_static_selectorELNS0_4arch9wavefront6targetE0EEEvSH_
		.amdhsa_group_segment_fixed_size 0
		.amdhsa_private_segment_fixed_size 0
		.amdhsa_kernarg_size 88
		.amdhsa_user_sgpr_count 2
		.amdhsa_user_sgpr_dispatch_ptr 0
		.amdhsa_user_sgpr_queue_ptr 0
		.amdhsa_user_sgpr_kernarg_segment_ptr 1
		.amdhsa_user_sgpr_dispatch_id 0
		.amdhsa_user_sgpr_kernarg_preload_length 0
		.amdhsa_user_sgpr_kernarg_preload_offset 0
		.amdhsa_user_sgpr_private_segment_size 0
		.amdhsa_wavefront_size32 1
		.amdhsa_uses_dynamic_stack 0
		.amdhsa_enable_private_segment 0
		.amdhsa_system_sgpr_workgroup_id_x 1
		.amdhsa_system_sgpr_workgroup_id_y 0
		.amdhsa_system_sgpr_workgroup_id_z 0
		.amdhsa_system_sgpr_workgroup_info 0
		.amdhsa_system_vgpr_workitem_id 0
		.amdhsa_next_free_vgpr 1
		.amdhsa_next_free_sgpr 1
		.amdhsa_named_barrier_count 0
		.amdhsa_reserve_vcc 0
		.amdhsa_float_round_mode_32 0
		.amdhsa_float_round_mode_16_64 0
		.amdhsa_float_denorm_mode_32 3
		.amdhsa_float_denorm_mode_16_64 3
		.amdhsa_fp16_overflow 0
		.amdhsa_memory_ordered 1
		.amdhsa_forward_progress 1
		.amdhsa_inst_pref_size 0
		.amdhsa_round_robin_scheduling 0
		.amdhsa_exception_fp_ieee_invalid_op 0
		.amdhsa_exception_fp_denorm_src 0
		.amdhsa_exception_fp_ieee_div_zero 0
		.amdhsa_exception_fp_ieee_overflow 0
		.amdhsa_exception_fp_ieee_underflow 0
		.amdhsa_exception_fp_ieee_inexact 0
		.amdhsa_exception_int_div_zero 0
	.end_amdhsa_kernel
	.section	.text._ZN7rocprim17ROCPRIM_400000_NS6detail17trampoline_kernelINS0_14default_configENS1_35radix_sort_onesweep_config_selectorI12hip_bfloat16NS0_10empty_typeEEEZZNS1_29radix_sort_onesweep_iterationIS3_Lb0EPKS5_PS5_PS6_SC_mNS0_19identity_decomposerENS1_16block_id_wrapperIjLb1EEEEE10hipError_tT1_PNSt15iterator_traitsISH_E10value_typeET2_T3_PNSI_ISN_E10value_typeET4_T5_PSS_ST_PNS1_23onesweep_lookback_stateEbbT6_jjT7_P12ihipStream_tbENKUlT_T0_SH_SM_E_clISA_SB_SC_SC_EEDaS10_S11_SH_SM_EUlS10_E_NS1_11comp_targetILNS1_3genE6ELNS1_11target_archE950ELNS1_3gpuE13ELNS1_3repE0EEENS1_47radix_sort_onesweep_sort_config_static_selectorELNS0_4arch9wavefront6targetE0EEEvSH_,"axG",@progbits,_ZN7rocprim17ROCPRIM_400000_NS6detail17trampoline_kernelINS0_14default_configENS1_35radix_sort_onesweep_config_selectorI12hip_bfloat16NS0_10empty_typeEEEZZNS1_29radix_sort_onesweep_iterationIS3_Lb0EPKS5_PS5_PS6_SC_mNS0_19identity_decomposerENS1_16block_id_wrapperIjLb1EEEEE10hipError_tT1_PNSt15iterator_traitsISH_E10value_typeET2_T3_PNSI_ISN_E10value_typeET4_T5_PSS_ST_PNS1_23onesweep_lookback_stateEbbT6_jjT7_P12ihipStream_tbENKUlT_T0_SH_SM_E_clISA_SB_SC_SC_EEDaS10_S11_SH_SM_EUlS10_E_NS1_11comp_targetILNS1_3genE6ELNS1_11target_archE950ELNS1_3gpuE13ELNS1_3repE0EEENS1_47radix_sort_onesweep_sort_config_static_selectorELNS0_4arch9wavefront6targetE0EEEvSH_,comdat
.Lfunc_end2052:
	.size	_ZN7rocprim17ROCPRIM_400000_NS6detail17trampoline_kernelINS0_14default_configENS1_35radix_sort_onesweep_config_selectorI12hip_bfloat16NS0_10empty_typeEEEZZNS1_29radix_sort_onesweep_iterationIS3_Lb0EPKS5_PS5_PS6_SC_mNS0_19identity_decomposerENS1_16block_id_wrapperIjLb1EEEEE10hipError_tT1_PNSt15iterator_traitsISH_E10value_typeET2_T3_PNSI_ISN_E10value_typeET4_T5_PSS_ST_PNS1_23onesweep_lookback_stateEbbT6_jjT7_P12ihipStream_tbENKUlT_T0_SH_SM_E_clISA_SB_SC_SC_EEDaS10_S11_SH_SM_EUlS10_E_NS1_11comp_targetILNS1_3genE6ELNS1_11target_archE950ELNS1_3gpuE13ELNS1_3repE0EEENS1_47radix_sort_onesweep_sort_config_static_selectorELNS0_4arch9wavefront6targetE0EEEvSH_, .Lfunc_end2052-_ZN7rocprim17ROCPRIM_400000_NS6detail17trampoline_kernelINS0_14default_configENS1_35radix_sort_onesweep_config_selectorI12hip_bfloat16NS0_10empty_typeEEEZZNS1_29radix_sort_onesweep_iterationIS3_Lb0EPKS5_PS5_PS6_SC_mNS0_19identity_decomposerENS1_16block_id_wrapperIjLb1EEEEE10hipError_tT1_PNSt15iterator_traitsISH_E10value_typeET2_T3_PNSI_ISN_E10value_typeET4_T5_PSS_ST_PNS1_23onesweep_lookback_stateEbbT6_jjT7_P12ihipStream_tbENKUlT_T0_SH_SM_E_clISA_SB_SC_SC_EEDaS10_S11_SH_SM_EUlS10_E_NS1_11comp_targetILNS1_3genE6ELNS1_11target_archE950ELNS1_3gpuE13ELNS1_3repE0EEENS1_47radix_sort_onesweep_sort_config_static_selectorELNS0_4arch9wavefront6targetE0EEEvSH_
                                        ; -- End function
	.set _ZN7rocprim17ROCPRIM_400000_NS6detail17trampoline_kernelINS0_14default_configENS1_35radix_sort_onesweep_config_selectorI12hip_bfloat16NS0_10empty_typeEEEZZNS1_29radix_sort_onesweep_iterationIS3_Lb0EPKS5_PS5_PS6_SC_mNS0_19identity_decomposerENS1_16block_id_wrapperIjLb1EEEEE10hipError_tT1_PNSt15iterator_traitsISH_E10value_typeET2_T3_PNSI_ISN_E10value_typeET4_T5_PSS_ST_PNS1_23onesweep_lookback_stateEbbT6_jjT7_P12ihipStream_tbENKUlT_T0_SH_SM_E_clISA_SB_SC_SC_EEDaS10_S11_SH_SM_EUlS10_E_NS1_11comp_targetILNS1_3genE6ELNS1_11target_archE950ELNS1_3gpuE13ELNS1_3repE0EEENS1_47radix_sort_onesweep_sort_config_static_selectorELNS0_4arch9wavefront6targetE0EEEvSH_.num_vgpr, 0
	.set _ZN7rocprim17ROCPRIM_400000_NS6detail17trampoline_kernelINS0_14default_configENS1_35radix_sort_onesweep_config_selectorI12hip_bfloat16NS0_10empty_typeEEEZZNS1_29radix_sort_onesweep_iterationIS3_Lb0EPKS5_PS5_PS6_SC_mNS0_19identity_decomposerENS1_16block_id_wrapperIjLb1EEEEE10hipError_tT1_PNSt15iterator_traitsISH_E10value_typeET2_T3_PNSI_ISN_E10value_typeET4_T5_PSS_ST_PNS1_23onesweep_lookback_stateEbbT6_jjT7_P12ihipStream_tbENKUlT_T0_SH_SM_E_clISA_SB_SC_SC_EEDaS10_S11_SH_SM_EUlS10_E_NS1_11comp_targetILNS1_3genE6ELNS1_11target_archE950ELNS1_3gpuE13ELNS1_3repE0EEENS1_47radix_sort_onesweep_sort_config_static_selectorELNS0_4arch9wavefront6targetE0EEEvSH_.num_agpr, 0
	.set _ZN7rocprim17ROCPRIM_400000_NS6detail17trampoline_kernelINS0_14default_configENS1_35radix_sort_onesweep_config_selectorI12hip_bfloat16NS0_10empty_typeEEEZZNS1_29radix_sort_onesweep_iterationIS3_Lb0EPKS5_PS5_PS6_SC_mNS0_19identity_decomposerENS1_16block_id_wrapperIjLb1EEEEE10hipError_tT1_PNSt15iterator_traitsISH_E10value_typeET2_T3_PNSI_ISN_E10value_typeET4_T5_PSS_ST_PNS1_23onesweep_lookback_stateEbbT6_jjT7_P12ihipStream_tbENKUlT_T0_SH_SM_E_clISA_SB_SC_SC_EEDaS10_S11_SH_SM_EUlS10_E_NS1_11comp_targetILNS1_3genE6ELNS1_11target_archE950ELNS1_3gpuE13ELNS1_3repE0EEENS1_47radix_sort_onesweep_sort_config_static_selectorELNS0_4arch9wavefront6targetE0EEEvSH_.numbered_sgpr, 0
	.set _ZN7rocprim17ROCPRIM_400000_NS6detail17trampoline_kernelINS0_14default_configENS1_35radix_sort_onesweep_config_selectorI12hip_bfloat16NS0_10empty_typeEEEZZNS1_29radix_sort_onesweep_iterationIS3_Lb0EPKS5_PS5_PS6_SC_mNS0_19identity_decomposerENS1_16block_id_wrapperIjLb1EEEEE10hipError_tT1_PNSt15iterator_traitsISH_E10value_typeET2_T3_PNSI_ISN_E10value_typeET4_T5_PSS_ST_PNS1_23onesweep_lookback_stateEbbT6_jjT7_P12ihipStream_tbENKUlT_T0_SH_SM_E_clISA_SB_SC_SC_EEDaS10_S11_SH_SM_EUlS10_E_NS1_11comp_targetILNS1_3genE6ELNS1_11target_archE950ELNS1_3gpuE13ELNS1_3repE0EEENS1_47radix_sort_onesweep_sort_config_static_selectorELNS0_4arch9wavefront6targetE0EEEvSH_.num_named_barrier, 0
	.set _ZN7rocprim17ROCPRIM_400000_NS6detail17trampoline_kernelINS0_14default_configENS1_35radix_sort_onesweep_config_selectorI12hip_bfloat16NS0_10empty_typeEEEZZNS1_29radix_sort_onesweep_iterationIS3_Lb0EPKS5_PS5_PS6_SC_mNS0_19identity_decomposerENS1_16block_id_wrapperIjLb1EEEEE10hipError_tT1_PNSt15iterator_traitsISH_E10value_typeET2_T3_PNSI_ISN_E10value_typeET4_T5_PSS_ST_PNS1_23onesweep_lookback_stateEbbT6_jjT7_P12ihipStream_tbENKUlT_T0_SH_SM_E_clISA_SB_SC_SC_EEDaS10_S11_SH_SM_EUlS10_E_NS1_11comp_targetILNS1_3genE6ELNS1_11target_archE950ELNS1_3gpuE13ELNS1_3repE0EEENS1_47radix_sort_onesweep_sort_config_static_selectorELNS0_4arch9wavefront6targetE0EEEvSH_.private_seg_size, 0
	.set _ZN7rocprim17ROCPRIM_400000_NS6detail17trampoline_kernelINS0_14default_configENS1_35radix_sort_onesweep_config_selectorI12hip_bfloat16NS0_10empty_typeEEEZZNS1_29radix_sort_onesweep_iterationIS3_Lb0EPKS5_PS5_PS6_SC_mNS0_19identity_decomposerENS1_16block_id_wrapperIjLb1EEEEE10hipError_tT1_PNSt15iterator_traitsISH_E10value_typeET2_T3_PNSI_ISN_E10value_typeET4_T5_PSS_ST_PNS1_23onesweep_lookback_stateEbbT6_jjT7_P12ihipStream_tbENKUlT_T0_SH_SM_E_clISA_SB_SC_SC_EEDaS10_S11_SH_SM_EUlS10_E_NS1_11comp_targetILNS1_3genE6ELNS1_11target_archE950ELNS1_3gpuE13ELNS1_3repE0EEENS1_47radix_sort_onesweep_sort_config_static_selectorELNS0_4arch9wavefront6targetE0EEEvSH_.uses_vcc, 0
	.set _ZN7rocprim17ROCPRIM_400000_NS6detail17trampoline_kernelINS0_14default_configENS1_35radix_sort_onesweep_config_selectorI12hip_bfloat16NS0_10empty_typeEEEZZNS1_29radix_sort_onesweep_iterationIS3_Lb0EPKS5_PS5_PS6_SC_mNS0_19identity_decomposerENS1_16block_id_wrapperIjLb1EEEEE10hipError_tT1_PNSt15iterator_traitsISH_E10value_typeET2_T3_PNSI_ISN_E10value_typeET4_T5_PSS_ST_PNS1_23onesweep_lookback_stateEbbT6_jjT7_P12ihipStream_tbENKUlT_T0_SH_SM_E_clISA_SB_SC_SC_EEDaS10_S11_SH_SM_EUlS10_E_NS1_11comp_targetILNS1_3genE6ELNS1_11target_archE950ELNS1_3gpuE13ELNS1_3repE0EEENS1_47radix_sort_onesweep_sort_config_static_selectorELNS0_4arch9wavefront6targetE0EEEvSH_.uses_flat_scratch, 0
	.set _ZN7rocprim17ROCPRIM_400000_NS6detail17trampoline_kernelINS0_14default_configENS1_35radix_sort_onesweep_config_selectorI12hip_bfloat16NS0_10empty_typeEEEZZNS1_29radix_sort_onesweep_iterationIS3_Lb0EPKS5_PS5_PS6_SC_mNS0_19identity_decomposerENS1_16block_id_wrapperIjLb1EEEEE10hipError_tT1_PNSt15iterator_traitsISH_E10value_typeET2_T3_PNSI_ISN_E10value_typeET4_T5_PSS_ST_PNS1_23onesweep_lookback_stateEbbT6_jjT7_P12ihipStream_tbENKUlT_T0_SH_SM_E_clISA_SB_SC_SC_EEDaS10_S11_SH_SM_EUlS10_E_NS1_11comp_targetILNS1_3genE6ELNS1_11target_archE950ELNS1_3gpuE13ELNS1_3repE0EEENS1_47radix_sort_onesweep_sort_config_static_selectorELNS0_4arch9wavefront6targetE0EEEvSH_.has_dyn_sized_stack, 0
	.set _ZN7rocprim17ROCPRIM_400000_NS6detail17trampoline_kernelINS0_14default_configENS1_35radix_sort_onesweep_config_selectorI12hip_bfloat16NS0_10empty_typeEEEZZNS1_29radix_sort_onesweep_iterationIS3_Lb0EPKS5_PS5_PS6_SC_mNS0_19identity_decomposerENS1_16block_id_wrapperIjLb1EEEEE10hipError_tT1_PNSt15iterator_traitsISH_E10value_typeET2_T3_PNSI_ISN_E10value_typeET4_T5_PSS_ST_PNS1_23onesweep_lookback_stateEbbT6_jjT7_P12ihipStream_tbENKUlT_T0_SH_SM_E_clISA_SB_SC_SC_EEDaS10_S11_SH_SM_EUlS10_E_NS1_11comp_targetILNS1_3genE6ELNS1_11target_archE950ELNS1_3gpuE13ELNS1_3repE0EEENS1_47radix_sort_onesweep_sort_config_static_selectorELNS0_4arch9wavefront6targetE0EEEvSH_.has_recursion, 0
	.set _ZN7rocprim17ROCPRIM_400000_NS6detail17trampoline_kernelINS0_14default_configENS1_35radix_sort_onesweep_config_selectorI12hip_bfloat16NS0_10empty_typeEEEZZNS1_29radix_sort_onesweep_iterationIS3_Lb0EPKS5_PS5_PS6_SC_mNS0_19identity_decomposerENS1_16block_id_wrapperIjLb1EEEEE10hipError_tT1_PNSt15iterator_traitsISH_E10value_typeET2_T3_PNSI_ISN_E10value_typeET4_T5_PSS_ST_PNS1_23onesweep_lookback_stateEbbT6_jjT7_P12ihipStream_tbENKUlT_T0_SH_SM_E_clISA_SB_SC_SC_EEDaS10_S11_SH_SM_EUlS10_E_NS1_11comp_targetILNS1_3genE6ELNS1_11target_archE950ELNS1_3gpuE13ELNS1_3repE0EEENS1_47radix_sort_onesweep_sort_config_static_selectorELNS0_4arch9wavefront6targetE0EEEvSH_.has_indirect_call, 0
	.section	.AMDGPU.csdata,"",@progbits
; Kernel info:
; codeLenInByte = 0
; TotalNumSgprs: 0
; NumVgprs: 0
; ScratchSize: 0
; MemoryBound: 0
; FloatMode: 240
; IeeeMode: 1
; LDSByteSize: 0 bytes/workgroup (compile time only)
; SGPRBlocks: 0
; VGPRBlocks: 0
; NumSGPRsForWavesPerEU: 1
; NumVGPRsForWavesPerEU: 1
; NamedBarCnt: 0
; Occupancy: 16
; WaveLimiterHint : 0
; COMPUTE_PGM_RSRC2:SCRATCH_EN: 0
; COMPUTE_PGM_RSRC2:USER_SGPR: 2
; COMPUTE_PGM_RSRC2:TRAP_HANDLER: 0
; COMPUTE_PGM_RSRC2:TGID_X_EN: 1
; COMPUTE_PGM_RSRC2:TGID_Y_EN: 0
; COMPUTE_PGM_RSRC2:TGID_Z_EN: 0
; COMPUTE_PGM_RSRC2:TIDIG_COMP_CNT: 0
	.section	.text._ZN7rocprim17ROCPRIM_400000_NS6detail17trampoline_kernelINS0_14default_configENS1_35radix_sort_onesweep_config_selectorI12hip_bfloat16NS0_10empty_typeEEEZZNS1_29radix_sort_onesweep_iterationIS3_Lb0EPKS5_PS5_PS6_SC_mNS0_19identity_decomposerENS1_16block_id_wrapperIjLb1EEEEE10hipError_tT1_PNSt15iterator_traitsISH_E10value_typeET2_T3_PNSI_ISN_E10value_typeET4_T5_PSS_ST_PNS1_23onesweep_lookback_stateEbbT6_jjT7_P12ihipStream_tbENKUlT_T0_SH_SM_E_clISA_SB_SC_SC_EEDaS10_S11_SH_SM_EUlS10_E_NS1_11comp_targetILNS1_3genE5ELNS1_11target_archE942ELNS1_3gpuE9ELNS1_3repE0EEENS1_47radix_sort_onesweep_sort_config_static_selectorELNS0_4arch9wavefront6targetE0EEEvSH_,"axG",@progbits,_ZN7rocprim17ROCPRIM_400000_NS6detail17trampoline_kernelINS0_14default_configENS1_35radix_sort_onesweep_config_selectorI12hip_bfloat16NS0_10empty_typeEEEZZNS1_29radix_sort_onesweep_iterationIS3_Lb0EPKS5_PS5_PS6_SC_mNS0_19identity_decomposerENS1_16block_id_wrapperIjLb1EEEEE10hipError_tT1_PNSt15iterator_traitsISH_E10value_typeET2_T3_PNSI_ISN_E10value_typeET4_T5_PSS_ST_PNS1_23onesweep_lookback_stateEbbT6_jjT7_P12ihipStream_tbENKUlT_T0_SH_SM_E_clISA_SB_SC_SC_EEDaS10_S11_SH_SM_EUlS10_E_NS1_11comp_targetILNS1_3genE5ELNS1_11target_archE942ELNS1_3gpuE9ELNS1_3repE0EEENS1_47radix_sort_onesweep_sort_config_static_selectorELNS0_4arch9wavefront6targetE0EEEvSH_,comdat
	.protected	_ZN7rocprim17ROCPRIM_400000_NS6detail17trampoline_kernelINS0_14default_configENS1_35radix_sort_onesweep_config_selectorI12hip_bfloat16NS0_10empty_typeEEEZZNS1_29radix_sort_onesweep_iterationIS3_Lb0EPKS5_PS5_PS6_SC_mNS0_19identity_decomposerENS1_16block_id_wrapperIjLb1EEEEE10hipError_tT1_PNSt15iterator_traitsISH_E10value_typeET2_T3_PNSI_ISN_E10value_typeET4_T5_PSS_ST_PNS1_23onesweep_lookback_stateEbbT6_jjT7_P12ihipStream_tbENKUlT_T0_SH_SM_E_clISA_SB_SC_SC_EEDaS10_S11_SH_SM_EUlS10_E_NS1_11comp_targetILNS1_3genE5ELNS1_11target_archE942ELNS1_3gpuE9ELNS1_3repE0EEENS1_47radix_sort_onesweep_sort_config_static_selectorELNS0_4arch9wavefront6targetE0EEEvSH_ ; -- Begin function _ZN7rocprim17ROCPRIM_400000_NS6detail17trampoline_kernelINS0_14default_configENS1_35radix_sort_onesweep_config_selectorI12hip_bfloat16NS0_10empty_typeEEEZZNS1_29radix_sort_onesweep_iterationIS3_Lb0EPKS5_PS5_PS6_SC_mNS0_19identity_decomposerENS1_16block_id_wrapperIjLb1EEEEE10hipError_tT1_PNSt15iterator_traitsISH_E10value_typeET2_T3_PNSI_ISN_E10value_typeET4_T5_PSS_ST_PNS1_23onesweep_lookback_stateEbbT6_jjT7_P12ihipStream_tbENKUlT_T0_SH_SM_E_clISA_SB_SC_SC_EEDaS10_S11_SH_SM_EUlS10_E_NS1_11comp_targetILNS1_3genE5ELNS1_11target_archE942ELNS1_3gpuE9ELNS1_3repE0EEENS1_47radix_sort_onesweep_sort_config_static_selectorELNS0_4arch9wavefront6targetE0EEEvSH_
	.globl	_ZN7rocprim17ROCPRIM_400000_NS6detail17trampoline_kernelINS0_14default_configENS1_35radix_sort_onesweep_config_selectorI12hip_bfloat16NS0_10empty_typeEEEZZNS1_29radix_sort_onesweep_iterationIS3_Lb0EPKS5_PS5_PS6_SC_mNS0_19identity_decomposerENS1_16block_id_wrapperIjLb1EEEEE10hipError_tT1_PNSt15iterator_traitsISH_E10value_typeET2_T3_PNSI_ISN_E10value_typeET4_T5_PSS_ST_PNS1_23onesweep_lookback_stateEbbT6_jjT7_P12ihipStream_tbENKUlT_T0_SH_SM_E_clISA_SB_SC_SC_EEDaS10_S11_SH_SM_EUlS10_E_NS1_11comp_targetILNS1_3genE5ELNS1_11target_archE942ELNS1_3gpuE9ELNS1_3repE0EEENS1_47radix_sort_onesweep_sort_config_static_selectorELNS0_4arch9wavefront6targetE0EEEvSH_
	.p2align	8
	.type	_ZN7rocprim17ROCPRIM_400000_NS6detail17trampoline_kernelINS0_14default_configENS1_35radix_sort_onesweep_config_selectorI12hip_bfloat16NS0_10empty_typeEEEZZNS1_29radix_sort_onesweep_iterationIS3_Lb0EPKS5_PS5_PS6_SC_mNS0_19identity_decomposerENS1_16block_id_wrapperIjLb1EEEEE10hipError_tT1_PNSt15iterator_traitsISH_E10value_typeET2_T3_PNSI_ISN_E10value_typeET4_T5_PSS_ST_PNS1_23onesweep_lookback_stateEbbT6_jjT7_P12ihipStream_tbENKUlT_T0_SH_SM_E_clISA_SB_SC_SC_EEDaS10_S11_SH_SM_EUlS10_E_NS1_11comp_targetILNS1_3genE5ELNS1_11target_archE942ELNS1_3gpuE9ELNS1_3repE0EEENS1_47radix_sort_onesweep_sort_config_static_selectorELNS0_4arch9wavefront6targetE0EEEvSH_,@function
_ZN7rocprim17ROCPRIM_400000_NS6detail17trampoline_kernelINS0_14default_configENS1_35radix_sort_onesweep_config_selectorI12hip_bfloat16NS0_10empty_typeEEEZZNS1_29radix_sort_onesweep_iterationIS3_Lb0EPKS5_PS5_PS6_SC_mNS0_19identity_decomposerENS1_16block_id_wrapperIjLb1EEEEE10hipError_tT1_PNSt15iterator_traitsISH_E10value_typeET2_T3_PNSI_ISN_E10value_typeET4_T5_PSS_ST_PNS1_23onesweep_lookback_stateEbbT6_jjT7_P12ihipStream_tbENKUlT_T0_SH_SM_E_clISA_SB_SC_SC_EEDaS10_S11_SH_SM_EUlS10_E_NS1_11comp_targetILNS1_3genE5ELNS1_11target_archE942ELNS1_3gpuE9ELNS1_3repE0EEENS1_47radix_sort_onesweep_sort_config_static_selectorELNS0_4arch9wavefront6targetE0EEEvSH_: ; @_ZN7rocprim17ROCPRIM_400000_NS6detail17trampoline_kernelINS0_14default_configENS1_35radix_sort_onesweep_config_selectorI12hip_bfloat16NS0_10empty_typeEEEZZNS1_29radix_sort_onesweep_iterationIS3_Lb0EPKS5_PS5_PS6_SC_mNS0_19identity_decomposerENS1_16block_id_wrapperIjLb1EEEEE10hipError_tT1_PNSt15iterator_traitsISH_E10value_typeET2_T3_PNSI_ISN_E10value_typeET4_T5_PSS_ST_PNS1_23onesweep_lookback_stateEbbT6_jjT7_P12ihipStream_tbENKUlT_T0_SH_SM_E_clISA_SB_SC_SC_EEDaS10_S11_SH_SM_EUlS10_E_NS1_11comp_targetILNS1_3genE5ELNS1_11target_archE942ELNS1_3gpuE9ELNS1_3repE0EEENS1_47radix_sort_onesweep_sort_config_static_selectorELNS0_4arch9wavefront6targetE0EEEvSH_
; %bb.0:
	.section	.rodata,"a",@progbits
	.p2align	6, 0x0
	.amdhsa_kernel _ZN7rocprim17ROCPRIM_400000_NS6detail17trampoline_kernelINS0_14default_configENS1_35radix_sort_onesweep_config_selectorI12hip_bfloat16NS0_10empty_typeEEEZZNS1_29radix_sort_onesweep_iterationIS3_Lb0EPKS5_PS5_PS6_SC_mNS0_19identity_decomposerENS1_16block_id_wrapperIjLb1EEEEE10hipError_tT1_PNSt15iterator_traitsISH_E10value_typeET2_T3_PNSI_ISN_E10value_typeET4_T5_PSS_ST_PNS1_23onesweep_lookback_stateEbbT6_jjT7_P12ihipStream_tbENKUlT_T0_SH_SM_E_clISA_SB_SC_SC_EEDaS10_S11_SH_SM_EUlS10_E_NS1_11comp_targetILNS1_3genE5ELNS1_11target_archE942ELNS1_3gpuE9ELNS1_3repE0EEENS1_47radix_sort_onesweep_sort_config_static_selectorELNS0_4arch9wavefront6targetE0EEEvSH_
		.amdhsa_group_segment_fixed_size 0
		.amdhsa_private_segment_fixed_size 0
		.amdhsa_kernarg_size 88
		.amdhsa_user_sgpr_count 2
		.amdhsa_user_sgpr_dispatch_ptr 0
		.amdhsa_user_sgpr_queue_ptr 0
		.amdhsa_user_sgpr_kernarg_segment_ptr 1
		.amdhsa_user_sgpr_dispatch_id 0
		.amdhsa_user_sgpr_kernarg_preload_length 0
		.amdhsa_user_sgpr_kernarg_preload_offset 0
		.amdhsa_user_sgpr_private_segment_size 0
		.amdhsa_wavefront_size32 1
		.amdhsa_uses_dynamic_stack 0
		.amdhsa_enable_private_segment 0
		.amdhsa_system_sgpr_workgroup_id_x 1
		.amdhsa_system_sgpr_workgroup_id_y 0
		.amdhsa_system_sgpr_workgroup_id_z 0
		.amdhsa_system_sgpr_workgroup_info 0
		.amdhsa_system_vgpr_workitem_id 0
		.amdhsa_next_free_vgpr 1
		.amdhsa_next_free_sgpr 1
		.amdhsa_named_barrier_count 0
		.amdhsa_reserve_vcc 0
		.amdhsa_float_round_mode_32 0
		.amdhsa_float_round_mode_16_64 0
		.amdhsa_float_denorm_mode_32 3
		.amdhsa_float_denorm_mode_16_64 3
		.amdhsa_fp16_overflow 0
		.amdhsa_memory_ordered 1
		.amdhsa_forward_progress 1
		.amdhsa_inst_pref_size 0
		.amdhsa_round_robin_scheduling 0
		.amdhsa_exception_fp_ieee_invalid_op 0
		.amdhsa_exception_fp_denorm_src 0
		.amdhsa_exception_fp_ieee_div_zero 0
		.amdhsa_exception_fp_ieee_overflow 0
		.amdhsa_exception_fp_ieee_underflow 0
		.amdhsa_exception_fp_ieee_inexact 0
		.amdhsa_exception_int_div_zero 0
	.end_amdhsa_kernel
	.section	.text._ZN7rocprim17ROCPRIM_400000_NS6detail17trampoline_kernelINS0_14default_configENS1_35radix_sort_onesweep_config_selectorI12hip_bfloat16NS0_10empty_typeEEEZZNS1_29radix_sort_onesweep_iterationIS3_Lb0EPKS5_PS5_PS6_SC_mNS0_19identity_decomposerENS1_16block_id_wrapperIjLb1EEEEE10hipError_tT1_PNSt15iterator_traitsISH_E10value_typeET2_T3_PNSI_ISN_E10value_typeET4_T5_PSS_ST_PNS1_23onesweep_lookback_stateEbbT6_jjT7_P12ihipStream_tbENKUlT_T0_SH_SM_E_clISA_SB_SC_SC_EEDaS10_S11_SH_SM_EUlS10_E_NS1_11comp_targetILNS1_3genE5ELNS1_11target_archE942ELNS1_3gpuE9ELNS1_3repE0EEENS1_47radix_sort_onesweep_sort_config_static_selectorELNS0_4arch9wavefront6targetE0EEEvSH_,"axG",@progbits,_ZN7rocprim17ROCPRIM_400000_NS6detail17trampoline_kernelINS0_14default_configENS1_35radix_sort_onesweep_config_selectorI12hip_bfloat16NS0_10empty_typeEEEZZNS1_29radix_sort_onesweep_iterationIS3_Lb0EPKS5_PS5_PS6_SC_mNS0_19identity_decomposerENS1_16block_id_wrapperIjLb1EEEEE10hipError_tT1_PNSt15iterator_traitsISH_E10value_typeET2_T3_PNSI_ISN_E10value_typeET4_T5_PSS_ST_PNS1_23onesweep_lookback_stateEbbT6_jjT7_P12ihipStream_tbENKUlT_T0_SH_SM_E_clISA_SB_SC_SC_EEDaS10_S11_SH_SM_EUlS10_E_NS1_11comp_targetILNS1_3genE5ELNS1_11target_archE942ELNS1_3gpuE9ELNS1_3repE0EEENS1_47radix_sort_onesweep_sort_config_static_selectorELNS0_4arch9wavefront6targetE0EEEvSH_,comdat
.Lfunc_end2053:
	.size	_ZN7rocprim17ROCPRIM_400000_NS6detail17trampoline_kernelINS0_14default_configENS1_35radix_sort_onesweep_config_selectorI12hip_bfloat16NS0_10empty_typeEEEZZNS1_29radix_sort_onesweep_iterationIS3_Lb0EPKS5_PS5_PS6_SC_mNS0_19identity_decomposerENS1_16block_id_wrapperIjLb1EEEEE10hipError_tT1_PNSt15iterator_traitsISH_E10value_typeET2_T3_PNSI_ISN_E10value_typeET4_T5_PSS_ST_PNS1_23onesweep_lookback_stateEbbT6_jjT7_P12ihipStream_tbENKUlT_T0_SH_SM_E_clISA_SB_SC_SC_EEDaS10_S11_SH_SM_EUlS10_E_NS1_11comp_targetILNS1_3genE5ELNS1_11target_archE942ELNS1_3gpuE9ELNS1_3repE0EEENS1_47radix_sort_onesweep_sort_config_static_selectorELNS0_4arch9wavefront6targetE0EEEvSH_, .Lfunc_end2053-_ZN7rocprim17ROCPRIM_400000_NS6detail17trampoline_kernelINS0_14default_configENS1_35radix_sort_onesweep_config_selectorI12hip_bfloat16NS0_10empty_typeEEEZZNS1_29radix_sort_onesweep_iterationIS3_Lb0EPKS5_PS5_PS6_SC_mNS0_19identity_decomposerENS1_16block_id_wrapperIjLb1EEEEE10hipError_tT1_PNSt15iterator_traitsISH_E10value_typeET2_T3_PNSI_ISN_E10value_typeET4_T5_PSS_ST_PNS1_23onesweep_lookback_stateEbbT6_jjT7_P12ihipStream_tbENKUlT_T0_SH_SM_E_clISA_SB_SC_SC_EEDaS10_S11_SH_SM_EUlS10_E_NS1_11comp_targetILNS1_3genE5ELNS1_11target_archE942ELNS1_3gpuE9ELNS1_3repE0EEENS1_47radix_sort_onesweep_sort_config_static_selectorELNS0_4arch9wavefront6targetE0EEEvSH_
                                        ; -- End function
	.set _ZN7rocprim17ROCPRIM_400000_NS6detail17trampoline_kernelINS0_14default_configENS1_35radix_sort_onesweep_config_selectorI12hip_bfloat16NS0_10empty_typeEEEZZNS1_29radix_sort_onesweep_iterationIS3_Lb0EPKS5_PS5_PS6_SC_mNS0_19identity_decomposerENS1_16block_id_wrapperIjLb1EEEEE10hipError_tT1_PNSt15iterator_traitsISH_E10value_typeET2_T3_PNSI_ISN_E10value_typeET4_T5_PSS_ST_PNS1_23onesweep_lookback_stateEbbT6_jjT7_P12ihipStream_tbENKUlT_T0_SH_SM_E_clISA_SB_SC_SC_EEDaS10_S11_SH_SM_EUlS10_E_NS1_11comp_targetILNS1_3genE5ELNS1_11target_archE942ELNS1_3gpuE9ELNS1_3repE0EEENS1_47radix_sort_onesweep_sort_config_static_selectorELNS0_4arch9wavefront6targetE0EEEvSH_.num_vgpr, 0
	.set _ZN7rocprim17ROCPRIM_400000_NS6detail17trampoline_kernelINS0_14default_configENS1_35radix_sort_onesweep_config_selectorI12hip_bfloat16NS0_10empty_typeEEEZZNS1_29radix_sort_onesweep_iterationIS3_Lb0EPKS5_PS5_PS6_SC_mNS0_19identity_decomposerENS1_16block_id_wrapperIjLb1EEEEE10hipError_tT1_PNSt15iterator_traitsISH_E10value_typeET2_T3_PNSI_ISN_E10value_typeET4_T5_PSS_ST_PNS1_23onesweep_lookback_stateEbbT6_jjT7_P12ihipStream_tbENKUlT_T0_SH_SM_E_clISA_SB_SC_SC_EEDaS10_S11_SH_SM_EUlS10_E_NS1_11comp_targetILNS1_3genE5ELNS1_11target_archE942ELNS1_3gpuE9ELNS1_3repE0EEENS1_47radix_sort_onesweep_sort_config_static_selectorELNS0_4arch9wavefront6targetE0EEEvSH_.num_agpr, 0
	.set _ZN7rocprim17ROCPRIM_400000_NS6detail17trampoline_kernelINS0_14default_configENS1_35radix_sort_onesweep_config_selectorI12hip_bfloat16NS0_10empty_typeEEEZZNS1_29radix_sort_onesweep_iterationIS3_Lb0EPKS5_PS5_PS6_SC_mNS0_19identity_decomposerENS1_16block_id_wrapperIjLb1EEEEE10hipError_tT1_PNSt15iterator_traitsISH_E10value_typeET2_T3_PNSI_ISN_E10value_typeET4_T5_PSS_ST_PNS1_23onesweep_lookback_stateEbbT6_jjT7_P12ihipStream_tbENKUlT_T0_SH_SM_E_clISA_SB_SC_SC_EEDaS10_S11_SH_SM_EUlS10_E_NS1_11comp_targetILNS1_3genE5ELNS1_11target_archE942ELNS1_3gpuE9ELNS1_3repE0EEENS1_47radix_sort_onesweep_sort_config_static_selectorELNS0_4arch9wavefront6targetE0EEEvSH_.numbered_sgpr, 0
	.set _ZN7rocprim17ROCPRIM_400000_NS6detail17trampoline_kernelINS0_14default_configENS1_35radix_sort_onesweep_config_selectorI12hip_bfloat16NS0_10empty_typeEEEZZNS1_29radix_sort_onesweep_iterationIS3_Lb0EPKS5_PS5_PS6_SC_mNS0_19identity_decomposerENS1_16block_id_wrapperIjLb1EEEEE10hipError_tT1_PNSt15iterator_traitsISH_E10value_typeET2_T3_PNSI_ISN_E10value_typeET4_T5_PSS_ST_PNS1_23onesweep_lookback_stateEbbT6_jjT7_P12ihipStream_tbENKUlT_T0_SH_SM_E_clISA_SB_SC_SC_EEDaS10_S11_SH_SM_EUlS10_E_NS1_11comp_targetILNS1_3genE5ELNS1_11target_archE942ELNS1_3gpuE9ELNS1_3repE0EEENS1_47radix_sort_onesweep_sort_config_static_selectorELNS0_4arch9wavefront6targetE0EEEvSH_.num_named_barrier, 0
	.set _ZN7rocprim17ROCPRIM_400000_NS6detail17trampoline_kernelINS0_14default_configENS1_35radix_sort_onesweep_config_selectorI12hip_bfloat16NS0_10empty_typeEEEZZNS1_29radix_sort_onesweep_iterationIS3_Lb0EPKS5_PS5_PS6_SC_mNS0_19identity_decomposerENS1_16block_id_wrapperIjLb1EEEEE10hipError_tT1_PNSt15iterator_traitsISH_E10value_typeET2_T3_PNSI_ISN_E10value_typeET4_T5_PSS_ST_PNS1_23onesweep_lookback_stateEbbT6_jjT7_P12ihipStream_tbENKUlT_T0_SH_SM_E_clISA_SB_SC_SC_EEDaS10_S11_SH_SM_EUlS10_E_NS1_11comp_targetILNS1_3genE5ELNS1_11target_archE942ELNS1_3gpuE9ELNS1_3repE0EEENS1_47radix_sort_onesweep_sort_config_static_selectorELNS0_4arch9wavefront6targetE0EEEvSH_.private_seg_size, 0
	.set _ZN7rocprim17ROCPRIM_400000_NS6detail17trampoline_kernelINS0_14default_configENS1_35radix_sort_onesweep_config_selectorI12hip_bfloat16NS0_10empty_typeEEEZZNS1_29radix_sort_onesweep_iterationIS3_Lb0EPKS5_PS5_PS6_SC_mNS0_19identity_decomposerENS1_16block_id_wrapperIjLb1EEEEE10hipError_tT1_PNSt15iterator_traitsISH_E10value_typeET2_T3_PNSI_ISN_E10value_typeET4_T5_PSS_ST_PNS1_23onesweep_lookback_stateEbbT6_jjT7_P12ihipStream_tbENKUlT_T0_SH_SM_E_clISA_SB_SC_SC_EEDaS10_S11_SH_SM_EUlS10_E_NS1_11comp_targetILNS1_3genE5ELNS1_11target_archE942ELNS1_3gpuE9ELNS1_3repE0EEENS1_47radix_sort_onesweep_sort_config_static_selectorELNS0_4arch9wavefront6targetE0EEEvSH_.uses_vcc, 0
	.set _ZN7rocprim17ROCPRIM_400000_NS6detail17trampoline_kernelINS0_14default_configENS1_35radix_sort_onesweep_config_selectorI12hip_bfloat16NS0_10empty_typeEEEZZNS1_29radix_sort_onesweep_iterationIS3_Lb0EPKS5_PS5_PS6_SC_mNS0_19identity_decomposerENS1_16block_id_wrapperIjLb1EEEEE10hipError_tT1_PNSt15iterator_traitsISH_E10value_typeET2_T3_PNSI_ISN_E10value_typeET4_T5_PSS_ST_PNS1_23onesweep_lookback_stateEbbT6_jjT7_P12ihipStream_tbENKUlT_T0_SH_SM_E_clISA_SB_SC_SC_EEDaS10_S11_SH_SM_EUlS10_E_NS1_11comp_targetILNS1_3genE5ELNS1_11target_archE942ELNS1_3gpuE9ELNS1_3repE0EEENS1_47radix_sort_onesweep_sort_config_static_selectorELNS0_4arch9wavefront6targetE0EEEvSH_.uses_flat_scratch, 0
	.set _ZN7rocprim17ROCPRIM_400000_NS6detail17trampoline_kernelINS0_14default_configENS1_35radix_sort_onesweep_config_selectorI12hip_bfloat16NS0_10empty_typeEEEZZNS1_29radix_sort_onesweep_iterationIS3_Lb0EPKS5_PS5_PS6_SC_mNS0_19identity_decomposerENS1_16block_id_wrapperIjLb1EEEEE10hipError_tT1_PNSt15iterator_traitsISH_E10value_typeET2_T3_PNSI_ISN_E10value_typeET4_T5_PSS_ST_PNS1_23onesweep_lookback_stateEbbT6_jjT7_P12ihipStream_tbENKUlT_T0_SH_SM_E_clISA_SB_SC_SC_EEDaS10_S11_SH_SM_EUlS10_E_NS1_11comp_targetILNS1_3genE5ELNS1_11target_archE942ELNS1_3gpuE9ELNS1_3repE0EEENS1_47radix_sort_onesweep_sort_config_static_selectorELNS0_4arch9wavefront6targetE0EEEvSH_.has_dyn_sized_stack, 0
	.set _ZN7rocprim17ROCPRIM_400000_NS6detail17trampoline_kernelINS0_14default_configENS1_35radix_sort_onesweep_config_selectorI12hip_bfloat16NS0_10empty_typeEEEZZNS1_29radix_sort_onesweep_iterationIS3_Lb0EPKS5_PS5_PS6_SC_mNS0_19identity_decomposerENS1_16block_id_wrapperIjLb1EEEEE10hipError_tT1_PNSt15iterator_traitsISH_E10value_typeET2_T3_PNSI_ISN_E10value_typeET4_T5_PSS_ST_PNS1_23onesweep_lookback_stateEbbT6_jjT7_P12ihipStream_tbENKUlT_T0_SH_SM_E_clISA_SB_SC_SC_EEDaS10_S11_SH_SM_EUlS10_E_NS1_11comp_targetILNS1_3genE5ELNS1_11target_archE942ELNS1_3gpuE9ELNS1_3repE0EEENS1_47radix_sort_onesweep_sort_config_static_selectorELNS0_4arch9wavefront6targetE0EEEvSH_.has_recursion, 0
	.set _ZN7rocprim17ROCPRIM_400000_NS6detail17trampoline_kernelINS0_14default_configENS1_35radix_sort_onesweep_config_selectorI12hip_bfloat16NS0_10empty_typeEEEZZNS1_29radix_sort_onesweep_iterationIS3_Lb0EPKS5_PS5_PS6_SC_mNS0_19identity_decomposerENS1_16block_id_wrapperIjLb1EEEEE10hipError_tT1_PNSt15iterator_traitsISH_E10value_typeET2_T3_PNSI_ISN_E10value_typeET4_T5_PSS_ST_PNS1_23onesweep_lookback_stateEbbT6_jjT7_P12ihipStream_tbENKUlT_T0_SH_SM_E_clISA_SB_SC_SC_EEDaS10_S11_SH_SM_EUlS10_E_NS1_11comp_targetILNS1_3genE5ELNS1_11target_archE942ELNS1_3gpuE9ELNS1_3repE0EEENS1_47radix_sort_onesweep_sort_config_static_selectorELNS0_4arch9wavefront6targetE0EEEvSH_.has_indirect_call, 0
	.section	.AMDGPU.csdata,"",@progbits
; Kernel info:
; codeLenInByte = 0
; TotalNumSgprs: 0
; NumVgprs: 0
; ScratchSize: 0
; MemoryBound: 0
; FloatMode: 240
; IeeeMode: 1
; LDSByteSize: 0 bytes/workgroup (compile time only)
; SGPRBlocks: 0
; VGPRBlocks: 0
; NumSGPRsForWavesPerEU: 1
; NumVGPRsForWavesPerEU: 1
; NamedBarCnt: 0
; Occupancy: 16
; WaveLimiterHint : 0
; COMPUTE_PGM_RSRC2:SCRATCH_EN: 0
; COMPUTE_PGM_RSRC2:USER_SGPR: 2
; COMPUTE_PGM_RSRC2:TRAP_HANDLER: 0
; COMPUTE_PGM_RSRC2:TGID_X_EN: 1
; COMPUTE_PGM_RSRC2:TGID_Y_EN: 0
; COMPUTE_PGM_RSRC2:TGID_Z_EN: 0
; COMPUTE_PGM_RSRC2:TIDIG_COMP_CNT: 0
	.section	.text._ZN7rocprim17ROCPRIM_400000_NS6detail17trampoline_kernelINS0_14default_configENS1_35radix_sort_onesweep_config_selectorI12hip_bfloat16NS0_10empty_typeEEEZZNS1_29radix_sort_onesweep_iterationIS3_Lb0EPKS5_PS5_PS6_SC_mNS0_19identity_decomposerENS1_16block_id_wrapperIjLb1EEEEE10hipError_tT1_PNSt15iterator_traitsISH_E10value_typeET2_T3_PNSI_ISN_E10value_typeET4_T5_PSS_ST_PNS1_23onesweep_lookback_stateEbbT6_jjT7_P12ihipStream_tbENKUlT_T0_SH_SM_E_clISA_SB_SC_SC_EEDaS10_S11_SH_SM_EUlS10_E_NS1_11comp_targetILNS1_3genE2ELNS1_11target_archE906ELNS1_3gpuE6ELNS1_3repE0EEENS1_47radix_sort_onesweep_sort_config_static_selectorELNS0_4arch9wavefront6targetE0EEEvSH_,"axG",@progbits,_ZN7rocprim17ROCPRIM_400000_NS6detail17trampoline_kernelINS0_14default_configENS1_35radix_sort_onesweep_config_selectorI12hip_bfloat16NS0_10empty_typeEEEZZNS1_29radix_sort_onesweep_iterationIS3_Lb0EPKS5_PS5_PS6_SC_mNS0_19identity_decomposerENS1_16block_id_wrapperIjLb1EEEEE10hipError_tT1_PNSt15iterator_traitsISH_E10value_typeET2_T3_PNSI_ISN_E10value_typeET4_T5_PSS_ST_PNS1_23onesweep_lookback_stateEbbT6_jjT7_P12ihipStream_tbENKUlT_T0_SH_SM_E_clISA_SB_SC_SC_EEDaS10_S11_SH_SM_EUlS10_E_NS1_11comp_targetILNS1_3genE2ELNS1_11target_archE906ELNS1_3gpuE6ELNS1_3repE0EEENS1_47radix_sort_onesweep_sort_config_static_selectorELNS0_4arch9wavefront6targetE0EEEvSH_,comdat
	.protected	_ZN7rocprim17ROCPRIM_400000_NS6detail17trampoline_kernelINS0_14default_configENS1_35radix_sort_onesweep_config_selectorI12hip_bfloat16NS0_10empty_typeEEEZZNS1_29radix_sort_onesweep_iterationIS3_Lb0EPKS5_PS5_PS6_SC_mNS0_19identity_decomposerENS1_16block_id_wrapperIjLb1EEEEE10hipError_tT1_PNSt15iterator_traitsISH_E10value_typeET2_T3_PNSI_ISN_E10value_typeET4_T5_PSS_ST_PNS1_23onesweep_lookback_stateEbbT6_jjT7_P12ihipStream_tbENKUlT_T0_SH_SM_E_clISA_SB_SC_SC_EEDaS10_S11_SH_SM_EUlS10_E_NS1_11comp_targetILNS1_3genE2ELNS1_11target_archE906ELNS1_3gpuE6ELNS1_3repE0EEENS1_47radix_sort_onesweep_sort_config_static_selectorELNS0_4arch9wavefront6targetE0EEEvSH_ ; -- Begin function _ZN7rocprim17ROCPRIM_400000_NS6detail17trampoline_kernelINS0_14default_configENS1_35radix_sort_onesweep_config_selectorI12hip_bfloat16NS0_10empty_typeEEEZZNS1_29radix_sort_onesweep_iterationIS3_Lb0EPKS5_PS5_PS6_SC_mNS0_19identity_decomposerENS1_16block_id_wrapperIjLb1EEEEE10hipError_tT1_PNSt15iterator_traitsISH_E10value_typeET2_T3_PNSI_ISN_E10value_typeET4_T5_PSS_ST_PNS1_23onesweep_lookback_stateEbbT6_jjT7_P12ihipStream_tbENKUlT_T0_SH_SM_E_clISA_SB_SC_SC_EEDaS10_S11_SH_SM_EUlS10_E_NS1_11comp_targetILNS1_3genE2ELNS1_11target_archE906ELNS1_3gpuE6ELNS1_3repE0EEENS1_47radix_sort_onesweep_sort_config_static_selectorELNS0_4arch9wavefront6targetE0EEEvSH_
	.globl	_ZN7rocprim17ROCPRIM_400000_NS6detail17trampoline_kernelINS0_14default_configENS1_35radix_sort_onesweep_config_selectorI12hip_bfloat16NS0_10empty_typeEEEZZNS1_29radix_sort_onesweep_iterationIS3_Lb0EPKS5_PS5_PS6_SC_mNS0_19identity_decomposerENS1_16block_id_wrapperIjLb1EEEEE10hipError_tT1_PNSt15iterator_traitsISH_E10value_typeET2_T3_PNSI_ISN_E10value_typeET4_T5_PSS_ST_PNS1_23onesweep_lookback_stateEbbT6_jjT7_P12ihipStream_tbENKUlT_T0_SH_SM_E_clISA_SB_SC_SC_EEDaS10_S11_SH_SM_EUlS10_E_NS1_11comp_targetILNS1_3genE2ELNS1_11target_archE906ELNS1_3gpuE6ELNS1_3repE0EEENS1_47radix_sort_onesweep_sort_config_static_selectorELNS0_4arch9wavefront6targetE0EEEvSH_
	.p2align	8
	.type	_ZN7rocprim17ROCPRIM_400000_NS6detail17trampoline_kernelINS0_14default_configENS1_35radix_sort_onesweep_config_selectorI12hip_bfloat16NS0_10empty_typeEEEZZNS1_29radix_sort_onesweep_iterationIS3_Lb0EPKS5_PS5_PS6_SC_mNS0_19identity_decomposerENS1_16block_id_wrapperIjLb1EEEEE10hipError_tT1_PNSt15iterator_traitsISH_E10value_typeET2_T3_PNSI_ISN_E10value_typeET4_T5_PSS_ST_PNS1_23onesweep_lookback_stateEbbT6_jjT7_P12ihipStream_tbENKUlT_T0_SH_SM_E_clISA_SB_SC_SC_EEDaS10_S11_SH_SM_EUlS10_E_NS1_11comp_targetILNS1_3genE2ELNS1_11target_archE906ELNS1_3gpuE6ELNS1_3repE0EEENS1_47radix_sort_onesweep_sort_config_static_selectorELNS0_4arch9wavefront6targetE0EEEvSH_,@function
_ZN7rocprim17ROCPRIM_400000_NS6detail17trampoline_kernelINS0_14default_configENS1_35radix_sort_onesweep_config_selectorI12hip_bfloat16NS0_10empty_typeEEEZZNS1_29radix_sort_onesweep_iterationIS3_Lb0EPKS5_PS5_PS6_SC_mNS0_19identity_decomposerENS1_16block_id_wrapperIjLb1EEEEE10hipError_tT1_PNSt15iterator_traitsISH_E10value_typeET2_T3_PNSI_ISN_E10value_typeET4_T5_PSS_ST_PNS1_23onesweep_lookback_stateEbbT6_jjT7_P12ihipStream_tbENKUlT_T0_SH_SM_E_clISA_SB_SC_SC_EEDaS10_S11_SH_SM_EUlS10_E_NS1_11comp_targetILNS1_3genE2ELNS1_11target_archE906ELNS1_3gpuE6ELNS1_3repE0EEENS1_47radix_sort_onesweep_sort_config_static_selectorELNS0_4arch9wavefront6targetE0EEEvSH_: ; @_ZN7rocprim17ROCPRIM_400000_NS6detail17trampoline_kernelINS0_14default_configENS1_35radix_sort_onesweep_config_selectorI12hip_bfloat16NS0_10empty_typeEEEZZNS1_29radix_sort_onesweep_iterationIS3_Lb0EPKS5_PS5_PS6_SC_mNS0_19identity_decomposerENS1_16block_id_wrapperIjLb1EEEEE10hipError_tT1_PNSt15iterator_traitsISH_E10value_typeET2_T3_PNSI_ISN_E10value_typeET4_T5_PSS_ST_PNS1_23onesweep_lookback_stateEbbT6_jjT7_P12ihipStream_tbENKUlT_T0_SH_SM_E_clISA_SB_SC_SC_EEDaS10_S11_SH_SM_EUlS10_E_NS1_11comp_targetILNS1_3genE2ELNS1_11target_archE906ELNS1_3gpuE6ELNS1_3repE0EEENS1_47radix_sort_onesweep_sort_config_static_selectorELNS0_4arch9wavefront6targetE0EEEvSH_
; %bb.0:
	.section	.rodata,"a",@progbits
	.p2align	6, 0x0
	.amdhsa_kernel _ZN7rocprim17ROCPRIM_400000_NS6detail17trampoline_kernelINS0_14default_configENS1_35radix_sort_onesweep_config_selectorI12hip_bfloat16NS0_10empty_typeEEEZZNS1_29radix_sort_onesweep_iterationIS3_Lb0EPKS5_PS5_PS6_SC_mNS0_19identity_decomposerENS1_16block_id_wrapperIjLb1EEEEE10hipError_tT1_PNSt15iterator_traitsISH_E10value_typeET2_T3_PNSI_ISN_E10value_typeET4_T5_PSS_ST_PNS1_23onesweep_lookback_stateEbbT6_jjT7_P12ihipStream_tbENKUlT_T0_SH_SM_E_clISA_SB_SC_SC_EEDaS10_S11_SH_SM_EUlS10_E_NS1_11comp_targetILNS1_3genE2ELNS1_11target_archE906ELNS1_3gpuE6ELNS1_3repE0EEENS1_47radix_sort_onesweep_sort_config_static_selectorELNS0_4arch9wavefront6targetE0EEEvSH_
		.amdhsa_group_segment_fixed_size 0
		.amdhsa_private_segment_fixed_size 0
		.amdhsa_kernarg_size 88
		.amdhsa_user_sgpr_count 2
		.amdhsa_user_sgpr_dispatch_ptr 0
		.amdhsa_user_sgpr_queue_ptr 0
		.amdhsa_user_sgpr_kernarg_segment_ptr 1
		.amdhsa_user_sgpr_dispatch_id 0
		.amdhsa_user_sgpr_kernarg_preload_length 0
		.amdhsa_user_sgpr_kernarg_preload_offset 0
		.amdhsa_user_sgpr_private_segment_size 0
		.amdhsa_wavefront_size32 1
		.amdhsa_uses_dynamic_stack 0
		.amdhsa_enable_private_segment 0
		.amdhsa_system_sgpr_workgroup_id_x 1
		.amdhsa_system_sgpr_workgroup_id_y 0
		.amdhsa_system_sgpr_workgroup_id_z 0
		.amdhsa_system_sgpr_workgroup_info 0
		.amdhsa_system_vgpr_workitem_id 0
		.amdhsa_next_free_vgpr 1
		.amdhsa_next_free_sgpr 1
		.amdhsa_named_barrier_count 0
		.amdhsa_reserve_vcc 0
		.amdhsa_float_round_mode_32 0
		.amdhsa_float_round_mode_16_64 0
		.amdhsa_float_denorm_mode_32 3
		.amdhsa_float_denorm_mode_16_64 3
		.amdhsa_fp16_overflow 0
		.amdhsa_memory_ordered 1
		.amdhsa_forward_progress 1
		.amdhsa_inst_pref_size 0
		.amdhsa_round_robin_scheduling 0
		.amdhsa_exception_fp_ieee_invalid_op 0
		.amdhsa_exception_fp_denorm_src 0
		.amdhsa_exception_fp_ieee_div_zero 0
		.amdhsa_exception_fp_ieee_overflow 0
		.amdhsa_exception_fp_ieee_underflow 0
		.amdhsa_exception_fp_ieee_inexact 0
		.amdhsa_exception_int_div_zero 0
	.end_amdhsa_kernel
	.section	.text._ZN7rocprim17ROCPRIM_400000_NS6detail17trampoline_kernelINS0_14default_configENS1_35radix_sort_onesweep_config_selectorI12hip_bfloat16NS0_10empty_typeEEEZZNS1_29radix_sort_onesweep_iterationIS3_Lb0EPKS5_PS5_PS6_SC_mNS0_19identity_decomposerENS1_16block_id_wrapperIjLb1EEEEE10hipError_tT1_PNSt15iterator_traitsISH_E10value_typeET2_T3_PNSI_ISN_E10value_typeET4_T5_PSS_ST_PNS1_23onesweep_lookback_stateEbbT6_jjT7_P12ihipStream_tbENKUlT_T0_SH_SM_E_clISA_SB_SC_SC_EEDaS10_S11_SH_SM_EUlS10_E_NS1_11comp_targetILNS1_3genE2ELNS1_11target_archE906ELNS1_3gpuE6ELNS1_3repE0EEENS1_47radix_sort_onesweep_sort_config_static_selectorELNS0_4arch9wavefront6targetE0EEEvSH_,"axG",@progbits,_ZN7rocprim17ROCPRIM_400000_NS6detail17trampoline_kernelINS0_14default_configENS1_35radix_sort_onesweep_config_selectorI12hip_bfloat16NS0_10empty_typeEEEZZNS1_29radix_sort_onesweep_iterationIS3_Lb0EPKS5_PS5_PS6_SC_mNS0_19identity_decomposerENS1_16block_id_wrapperIjLb1EEEEE10hipError_tT1_PNSt15iterator_traitsISH_E10value_typeET2_T3_PNSI_ISN_E10value_typeET4_T5_PSS_ST_PNS1_23onesweep_lookback_stateEbbT6_jjT7_P12ihipStream_tbENKUlT_T0_SH_SM_E_clISA_SB_SC_SC_EEDaS10_S11_SH_SM_EUlS10_E_NS1_11comp_targetILNS1_3genE2ELNS1_11target_archE906ELNS1_3gpuE6ELNS1_3repE0EEENS1_47radix_sort_onesweep_sort_config_static_selectorELNS0_4arch9wavefront6targetE0EEEvSH_,comdat
.Lfunc_end2054:
	.size	_ZN7rocprim17ROCPRIM_400000_NS6detail17trampoline_kernelINS0_14default_configENS1_35radix_sort_onesweep_config_selectorI12hip_bfloat16NS0_10empty_typeEEEZZNS1_29radix_sort_onesweep_iterationIS3_Lb0EPKS5_PS5_PS6_SC_mNS0_19identity_decomposerENS1_16block_id_wrapperIjLb1EEEEE10hipError_tT1_PNSt15iterator_traitsISH_E10value_typeET2_T3_PNSI_ISN_E10value_typeET4_T5_PSS_ST_PNS1_23onesweep_lookback_stateEbbT6_jjT7_P12ihipStream_tbENKUlT_T0_SH_SM_E_clISA_SB_SC_SC_EEDaS10_S11_SH_SM_EUlS10_E_NS1_11comp_targetILNS1_3genE2ELNS1_11target_archE906ELNS1_3gpuE6ELNS1_3repE0EEENS1_47radix_sort_onesweep_sort_config_static_selectorELNS0_4arch9wavefront6targetE0EEEvSH_, .Lfunc_end2054-_ZN7rocprim17ROCPRIM_400000_NS6detail17trampoline_kernelINS0_14default_configENS1_35radix_sort_onesweep_config_selectorI12hip_bfloat16NS0_10empty_typeEEEZZNS1_29radix_sort_onesweep_iterationIS3_Lb0EPKS5_PS5_PS6_SC_mNS0_19identity_decomposerENS1_16block_id_wrapperIjLb1EEEEE10hipError_tT1_PNSt15iterator_traitsISH_E10value_typeET2_T3_PNSI_ISN_E10value_typeET4_T5_PSS_ST_PNS1_23onesweep_lookback_stateEbbT6_jjT7_P12ihipStream_tbENKUlT_T0_SH_SM_E_clISA_SB_SC_SC_EEDaS10_S11_SH_SM_EUlS10_E_NS1_11comp_targetILNS1_3genE2ELNS1_11target_archE906ELNS1_3gpuE6ELNS1_3repE0EEENS1_47radix_sort_onesweep_sort_config_static_selectorELNS0_4arch9wavefront6targetE0EEEvSH_
                                        ; -- End function
	.set _ZN7rocprim17ROCPRIM_400000_NS6detail17trampoline_kernelINS0_14default_configENS1_35radix_sort_onesweep_config_selectorI12hip_bfloat16NS0_10empty_typeEEEZZNS1_29radix_sort_onesweep_iterationIS3_Lb0EPKS5_PS5_PS6_SC_mNS0_19identity_decomposerENS1_16block_id_wrapperIjLb1EEEEE10hipError_tT1_PNSt15iterator_traitsISH_E10value_typeET2_T3_PNSI_ISN_E10value_typeET4_T5_PSS_ST_PNS1_23onesweep_lookback_stateEbbT6_jjT7_P12ihipStream_tbENKUlT_T0_SH_SM_E_clISA_SB_SC_SC_EEDaS10_S11_SH_SM_EUlS10_E_NS1_11comp_targetILNS1_3genE2ELNS1_11target_archE906ELNS1_3gpuE6ELNS1_3repE0EEENS1_47radix_sort_onesweep_sort_config_static_selectorELNS0_4arch9wavefront6targetE0EEEvSH_.num_vgpr, 0
	.set _ZN7rocprim17ROCPRIM_400000_NS6detail17trampoline_kernelINS0_14default_configENS1_35radix_sort_onesweep_config_selectorI12hip_bfloat16NS0_10empty_typeEEEZZNS1_29radix_sort_onesweep_iterationIS3_Lb0EPKS5_PS5_PS6_SC_mNS0_19identity_decomposerENS1_16block_id_wrapperIjLb1EEEEE10hipError_tT1_PNSt15iterator_traitsISH_E10value_typeET2_T3_PNSI_ISN_E10value_typeET4_T5_PSS_ST_PNS1_23onesweep_lookback_stateEbbT6_jjT7_P12ihipStream_tbENKUlT_T0_SH_SM_E_clISA_SB_SC_SC_EEDaS10_S11_SH_SM_EUlS10_E_NS1_11comp_targetILNS1_3genE2ELNS1_11target_archE906ELNS1_3gpuE6ELNS1_3repE0EEENS1_47radix_sort_onesweep_sort_config_static_selectorELNS0_4arch9wavefront6targetE0EEEvSH_.num_agpr, 0
	.set _ZN7rocprim17ROCPRIM_400000_NS6detail17trampoline_kernelINS0_14default_configENS1_35radix_sort_onesweep_config_selectorI12hip_bfloat16NS0_10empty_typeEEEZZNS1_29radix_sort_onesweep_iterationIS3_Lb0EPKS5_PS5_PS6_SC_mNS0_19identity_decomposerENS1_16block_id_wrapperIjLb1EEEEE10hipError_tT1_PNSt15iterator_traitsISH_E10value_typeET2_T3_PNSI_ISN_E10value_typeET4_T5_PSS_ST_PNS1_23onesweep_lookback_stateEbbT6_jjT7_P12ihipStream_tbENKUlT_T0_SH_SM_E_clISA_SB_SC_SC_EEDaS10_S11_SH_SM_EUlS10_E_NS1_11comp_targetILNS1_3genE2ELNS1_11target_archE906ELNS1_3gpuE6ELNS1_3repE0EEENS1_47radix_sort_onesweep_sort_config_static_selectorELNS0_4arch9wavefront6targetE0EEEvSH_.numbered_sgpr, 0
	.set _ZN7rocprim17ROCPRIM_400000_NS6detail17trampoline_kernelINS0_14default_configENS1_35radix_sort_onesweep_config_selectorI12hip_bfloat16NS0_10empty_typeEEEZZNS1_29radix_sort_onesweep_iterationIS3_Lb0EPKS5_PS5_PS6_SC_mNS0_19identity_decomposerENS1_16block_id_wrapperIjLb1EEEEE10hipError_tT1_PNSt15iterator_traitsISH_E10value_typeET2_T3_PNSI_ISN_E10value_typeET4_T5_PSS_ST_PNS1_23onesweep_lookback_stateEbbT6_jjT7_P12ihipStream_tbENKUlT_T0_SH_SM_E_clISA_SB_SC_SC_EEDaS10_S11_SH_SM_EUlS10_E_NS1_11comp_targetILNS1_3genE2ELNS1_11target_archE906ELNS1_3gpuE6ELNS1_3repE0EEENS1_47radix_sort_onesweep_sort_config_static_selectorELNS0_4arch9wavefront6targetE0EEEvSH_.num_named_barrier, 0
	.set _ZN7rocprim17ROCPRIM_400000_NS6detail17trampoline_kernelINS0_14default_configENS1_35radix_sort_onesweep_config_selectorI12hip_bfloat16NS0_10empty_typeEEEZZNS1_29radix_sort_onesweep_iterationIS3_Lb0EPKS5_PS5_PS6_SC_mNS0_19identity_decomposerENS1_16block_id_wrapperIjLb1EEEEE10hipError_tT1_PNSt15iterator_traitsISH_E10value_typeET2_T3_PNSI_ISN_E10value_typeET4_T5_PSS_ST_PNS1_23onesweep_lookback_stateEbbT6_jjT7_P12ihipStream_tbENKUlT_T0_SH_SM_E_clISA_SB_SC_SC_EEDaS10_S11_SH_SM_EUlS10_E_NS1_11comp_targetILNS1_3genE2ELNS1_11target_archE906ELNS1_3gpuE6ELNS1_3repE0EEENS1_47radix_sort_onesweep_sort_config_static_selectorELNS0_4arch9wavefront6targetE0EEEvSH_.private_seg_size, 0
	.set _ZN7rocprim17ROCPRIM_400000_NS6detail17trampoline_kernelINS0_14default_configENS1_35radix_sort_onesweep_config_selectorI12hip_bfloat16NS0_10empty_typeEEEZZNS1_29radix_sort_onesweep_iterationIS3_Lb0EPKS5_PS5_PS6_SC_mNS0_19identity_decomposerENS1_16block_id_wrapperIjLb1EEEEE10hipError_tT1_PNSt15iterator_traitsISH_E10value_typeET2_T3_PNSI_ISN_E10value_typeET4_T5_PSS_ST_PNS1_23onesweep_lookback_stateEbbT6_jjT7_P12ihipStream_tbENKUlT_T0_SH_SM_E_clISA_SB_SC_SC_EEDaS10_S11_SH_SM_EUlS10_E_NS1_11comp_targetILNS1_3genE2ELNS1_11target_archE906ELNS1_3gpuE6ELNS1_3repE0EEENS1_47radix_sort_onesweep_sort_config_static_selectorELNS0_4arch9wavefront6targetE0EEEvSH_.uses_vcc, 0
	.set _ZN7rocprim17ROCPRIM_400000_NS6detail17trampoline_kernelINS0_14default_configENS1_35radix_sort_onesweep_config_selectorI12hip_bfloat16NS0_10empty_typeEEEZZNS1_29radix_sort_onesweep_iterationIS3_Lb0EPKS5_PS5_PS6_SC_mNS0_19identity_decomposerENS1_16block_id_wrapperIjLb1EEEEE10hipError_tT1_PNSt15iterator_traitsISH_E10value_typeET2_T3_PNSI_ISN_E10value_typeET4_T5_PSS_ST_PNS1_23onesweep_lookback_stateEbbT6_jjT7_P12ihipStream_tbENKUlT_T0_SH_SM_E_clISA_SB_SC_SC_EEDaS10_S11_SH_SM_EUlS10_E_NS1_11comp_targetILNS1_3genE2ELNS1_11target_archE906ELNS1_3gpuE6ELNS1_3repE0EEENS1_47radix_sort_onesweep_sort_config_static_selectorELNS0_4arch9wavefront6targetE0EEEvSH_.uses_flat_scratch, 0
	.set _ZN7rocprim17ROCPRIM_400000_NS6detail17trampoline_kernelINS0_14default_configENS1_35radix_sort_onesweep_config_selectorI12hip_bfloat16NS0_10empty_typeEEEZZNS1_29radix_sort_onesweep_iterationIS3_Lb0EPKS5_PS5_PS6_SC_mNS0_19identity_decomposerENS1_16block_id_wrapperIjLb1EEEEE10hipError_tT1_PNSt15iterator_traitsISH_E10value_typeET2_T3_PNSI_ISN_E10value_typeET4_T5_PSS_ST_PNS1_23onesweep_lookback_stateEbbT6_jjT7_P12ihipStream_tbENKUlT_T0_SH_SM_E_clISA_SB_SC_SC_EEDaS10_S11_SH_SM_EUlS10_E_NS1_11comp_targetILNS1_3genE2ELNS1_11target_archE906ELNS1_3gpuE6ELNS1_3repE0EEENS1_47radix_sort_onesweep_sort_config_static_selectorELNS0_4arch9wavefront6targetE0EEEvSH_.has_dyn_sized_stack, 0
	.set _ZN7rocprim17ROCPRIM_400000_NS6detail17trampoline_kernelINS0_14default_configENS1_35radix_sort_onesweep_config_selectorI12hip_bfloat16NS0_10empty_typeEEEZZNS1_29radix_sort_onesweep_iterationIS3_Lb0EPKS5_PS5_PS6_SC_mNS0_19identity_decomposerENS1_16block_id_wrapperIjLb1EEEEE10hipError_tT1_PNSt15iterator_traitsISH_E10value_typeET2_T3_PNSI_ISN_E10value_typeET4_T5_PSS_ST_PNS1_23onesweep_lookback_stateEbbT6_jjT7_P12ihipStream_tbENKUlT_T0_SH_SM_E_clISA_SB_SC_SC_EEDaS10_S11_SH_SM_EUlS10_E_NS1_11comp_targetILNS1_3genE2ELNS1_11target_archE906ELNS1_3gpuE6ELNS1_3repE0EEENS1_47radix_sort_onesweep_sort_config_static_selectorELNS0_4arch9wavefront6targetE0EEEvSH_.has_recursion, 0
	.set _ZN7rocprim17ROCPRIM_400000_NS6detail17trampoline_kernelINS0_14default_configENS1_35radix_sort_onesweep_config_selectorI12hip_bfloat16NS0_10empty_typeEEEZZNS1_29radix_sort_onesweep_iterationIS3_Lb0EPKS5_PS5_PS6_SC_mNS0_19identity_decomposerENS1_16block_id_wrapperIjLb1EEEEE10hipError_tT1_PNSt15iterator_traitsISH_E10value_typeET2_T3_PNSI_ISN_E10value_typeET4_T5_PSS_ST_PNS1_23onesweep_lookback_stateEbbT6_jjT7_P12ihipStream_tbENKUlT_T0_SH_SM_E_clISA_SB_SC_SC_EEDaS10_S11_SH_SM_EUlS10_E_NS1_11comp_targetILNS1_3genE2ELNS1_11target_archE906ELNS1_3gpuE6ELNS1_3repE0EEENS1_47radix_sort_onesweep_sort_config_static_selectorELNS0_4arch9wavefront6targetE0EEEvSH_.has_indirect_call, 0
	.section	.AMDGPU.csdata,"",@progbits
; Kernel info:
; codeLenInByte = 0
; TotalNumSgprs: 0
; NumVgprs: 0
; ScratchSize: 0
; MemoryBound: 0
; FloatMode: 240
; IeeeMode: 1
; LDSByteSize: 0 bytes/workgroup (compile time only)
; SGPRBlocks: 0
; VGPRBlocks: 0
; NumSGPRsForWavesPerEU: 1
; NumVGPRsForWavesPerEU: 1
; NamedBarCnt: 0
; Occupancy: 16
; WaveLimiterHint : 0
; COMPUTE_PGM_RSRC2:SCRATCH_EN: 0
; COMPUTE_PGM_RSRC2:USER_SGPR: 2
; COMPUTE_PGM_RSRC2:TRAP_HANDLER: 0
; COMPUTE_PGM_RSRC2:TGID_X_EN: 1
; COMPUTE_PGM_RSRC2:TGID_Y_EN: 0
; COMPUTE_PGM_RSRC2:TGID_Z_EN: 0
; COMPUTE_PGM_RSRC2:TIDIG_COMP_CNT: 0
	.section	.text._ZN7rocprim17ROCPRIM_400000_NS6detail17trampoline_kernelINS0_14default_configENS1_35radix_sort_onesweep_config_selectorI12hip_bfloat16NS0_10empty_typeEEEZZNS1_29radix_sort_onesweep_iterationIS3_Lb0EPKS5_PS5_PS6_SC_mNS0_19identity_decomposerENS1_16block_id_wrapperIjLb1EEEEE10hipError_tT1_PNSt15iterator_traitsISH_E10value_typeET2_T3_PNSI_ISN_E10value_typeET4_T5_PSS_ST_PNS1_23onesweep_lookback_stateEbbT6_jjT7_P12ihipStream_tbENKUlT_T0_SH_SM_E_clISA_SB_SC_SC_EEDaS10_S11_SH_SM_EUlS10_E_NS1_11comp_targetILNS1_3genE4ELNS1_11target_archE910ELNS1_3gpuE8ELNS1_3repE0EEENS1_47radix_sort_onesweep_sort_config_static_selectorELNS0_4arch9wavefront6targetE0EEEvSH_,"axG",@progbits,_ZN7rocprim17ROCPRIM_400000_NS6detail17trampoline_kernelINS0_14default_configENS1_35radix_sort_onesweep_config_selectorI12hip_bfloat16NS0_10empty_typeEEEZZNS1_29radix_sort_onesweep_iterationIS3_Lb0EPKS5_PS5_PS6_SC_mNS0_19identity_decomposerENS1_16block_id_wrapperIjLb1EEEEE10hipError_tT1_PNSt15iterator_traitsISH_E10value_typeET2_T3_PNSI_ISN_E10value_typeET4_T5_PSS_ST_PNS1_23onesweep_lookback_stateEbbT6_jjT7_P12ihipStream_tbENKUlT_T0_SH_SM_E_clISA_SB_SC_SC_EEDaS10_S11_SH_SM_EUlS10_E_NS1_11comp_targetILNS1_3genE4ELNS1_11target_archE910ELNS1_3gpuE8ELNS1_3repE0EEENS1_47radix_sort_onesweep_sort_config_static_selectorELNS0_4arch9wavefront6targetE0EEEvSH_,comdat
	.protected	_ZN7rocprim17ROCPRIM_400000_NS6detail17trampoline_kernelINS0_14default_configENS1_35radix_sort_onesweep_config_selectorI12hip_bfloat16NS0_10empty_typeEEEZZNS1_29radix_sort_onesweep_iterationIS3_Lb0EPKS5_PS5_PS6_SC_mNS0_19identity_decomposerENS1_16block_id_wrapperIjLb1EEEEE10hipError_tT1_PNSt15iterator_traitsISH_E10value_typeET2_T3_PNSI_ISN_E10value_typeET4_T5_PSS_ST_PNS1_23onesweep_lookback_stateEbbT6_jjT7_P12ihipStream_tbENKUlT_T0_SH_SM_E_clISA_SB_SC_SC_EEDaS10_S11_SH_SM_EUlS10_E_NS1_11comp_targetILNS1_3genE4ELNS1_11target_archE910ELNS1_3gpuE8ELNS1_3repE0EEENS1_47radix_sort_onesweep_sort_config_static_selectorELNS0_4arch9wavefront6targetE0EEEvSH_ ; -- Begin function _ZN7rocprim17ROCPRIM_400000_NS6detail17trampoline_kernelINS0_14default_configENS1_35radix_sort_onesweep_config_selectorI12hip_bfloat16NS0_10empty_typeEEEZZNS1_29radix_sort_onesweep_iterationIS3_Lb0EPKS5_PS5_PS6_SC_mNS0_19identity_decomposerENS1_16block_id_wrapperIjLb1EEEEE10hipError_tT1_PNSt15iterator_traitsISH_E10value_typeET2_T3_PNSI_ISN_E10value_typeET4_T5_PSS_ST_PNS1_23onesweep_lookback_stateEbbT6_jjT7_P12ihipStream_tbENKUlT_T0_SH_SM_E_clISA_SB_SC_SC_EEDaS10_S11_SH_SM_EUlS10_E_NS1_11comp_targetILNS1_3genE4ELNS1_11target_archE910ELNS1_3gpuE8ELNS1_3repE0EEENS1_47radix_sort_onesweep_sort_config_static_selectorELNS0_4arch9wavefront6targetE0EEEvSH_
	.globl	_ZN7rocprim17ROCPRIM_400000_NS6detail17trampoline_kernelINS0_14default_configENS1_35radix_sort_onesweep_config_selectorI12hip_bfloat16NS0_10empty_typeEEEZZNS1_29radix_sort_onesweep_iterationIS3_Lb0EPKS5_PS5_PS6_SC_mNS0_19identity_decomposerENS1_16block_id_wrapperIjLb1EEEEE10hipError_tT1_PNSt15iterator_traitsISH_E10value_typeET2_T3_PNSI_ISN_E10value_typeET4_T5_PSS_ST_PNS1_23onesweep_lookback_stateEbbT6_jjT7_P12ihipStream_tbENKUlT_T0_SH_SM_E_clISA_SB_SC_SC_EEDaS10_S11_SH_SM_EUlS10_E_NS1_11comp_targetILNS1_3genE4ELNS1_11target_archE910ELNS1_3gpuE8ELNS1_3repE0EEENS1_47radix_sort_onesweep_sort_config_static_selectorELNS0_4arch9wavefront6targetE0EEEvSH_
	.p2align	8
	.type	_ZN7rocprim17ROCPRIM_400000_NS6detail17trampoline_kernelINS0_14default_configENS1_35radix_sort_onesweep_config_selectorI12hip_bfloat16NS0_10empty_typeEEEZZNS1_29radix_sort_onesweep_iterationIS3_Lb0EPKS5_PS5_PS6_SC_mNS0_19identity_decomposerENS1_16block_id_wrapperIjLb1EEEEE10hipError_tT1_PNSt15iterator_traitsISH_E10value_typeET2_T3_PNSI_ISN_E10value_typeET4_T5_PSS_ST_PNS1_23onesweep_lookback_stateEbbT6_jjT7_P12ihipStream_tbENKUlT_T0_SH_SM_E_clISA_SB_SC_SC_EEDaS10_S11_SH_SM_EUlS10_E_NS1_11comp_targetILNS1_3genE4ELNS1_11target_archE910ELNS1_3gpuE8ELNS1_3repE0EEENS1_47radix_sort_onesweep_sort_config_static_selectorELNS0_4arch9wavefront6targetE0EEEvSH_,@function
_ZN7rocprim17ROCPRIM_400000_NS6detail17trampoline_kernelINS0_14default_configENS1_35radix_sort_onesweep_config_selectorI12hip_bfloat16NS0_10empty_typeEEEZZNS1_29radix_sort_onesweep_iterationIS3_Lb0EPKS5_PS5_PS6_SC_mNS0_19identity_decomposerENS1_16block_id_wrapperIjLb1EEEEE10hipError_tT1_PNSt15iterator_traitsISH_E10value_typeET2_T3_PNSI_ISN_E10value_typeET4_T5_PSS_ST_PNS1_23onesweep_lookback_stateEbbT6_jjT7_P12ihipStream_tbENKUlT_T0_SH_SM_E_clISA_SB_SC_SC_EEDaS10_S11_SH_SM_EUlS10_E_NS1_11comp_targetILNS1_3genE4ELNS1_11target_archE910ELNS1_3gpuE8ELNS1_3repE0EEENS1_47radix_sort_onesweep_sort_config_static_selectorELNS0_4arch9wavefront6targetE0EEEvSH_: ; @_ZN7rocprim17ROCPRIM_400000_NS6detail17trampoline_kernelINS0_14default_configENS1_35radix_sort_onesweep_config_selectorI12hip_bfloat16NS0_10empty_typeEEEZZNS1_29radix_sort_onesweep_iterationIS3_Lb0EPKS5_PS5_PS6_SC_mNS0_19identity_decomposerENS1_16block_id_wrapperIjLb1EEEEE10hipError_tT1_PNSt15iterator_traitsISH_E10value_typeET2_T3_PNSI_ISN_E10value_typeET4_T5_PSS_ST_PNS1_23onesweep_lookback_stateEbbT6_jjT7_P12ihipStream_tbENKUlT_T0_SH_SM_E_clISA_SB_SC_SC_EEDaS10_S11_SH_SM_EUlS10_E_NS1_11comp_targetILNS1_3genE4ELNS1_11target_archE910ELNS1_3gpuE8ELNS1_3repE0EEENS1_47radix_sort_onesweep_sort_config_static_selectorELNS0_4arch9wavefront6targetE0EEEvSH_
; %bb.0:
	.section	.rodata,"a",@progbits
	.p2align	6, 0x0
	.amdhsa_kernel _ZN7rocprim17ROCPRIM_400000_NS6detail17trampoline_kernelINS0_14default_configENS1_35radix_sort_onesweep_config_selectorI12hip_bfloat16NS0_10empty_typeEEEZZNS1_29radix_sort_onesweep_iterationIS3_Lb0EPKS5_PS5_PS6_SC_mNS0_19identity_decomposerENS1_16block_id_wrapperIjLb1EEEEE10hipError_tT1_PNSt15iterator_traitsISH_E10value_typeET2_T3_PNSI_ISN_E10value_typeET4_T5_PSS_ST_PNS1_23onesweep_lookback_stateEbbT6_jjT7_P12ihipStream_tbENKUlT_T0_SH_SM_E_clISA_SB_SC_SC_EEDaS10_S11_SH_SM_EUlS10_E_NS1_11comp_targetILNS1_3genE4ELNS1_11target_archE910ELNS1_3gpuE8ELNS1_3repE0EEENS1_47radix_sort_onesweep_sort_config_static_selectorELNS0_4arch9wavefront6targetE0EEEvSH_
		.amdhsa_group_segment_fixed_size 0
		.amdhsa_private_segment_fixed_size 0
		.amdhsa_kernarg_size 88
		.amdhsa_user_sgpr_count 2
		.amdhsa_user_sgpr_dispatch_ptr 0
		.amdhsa_user_sgpr_queue_ptr 0
		.amdhsa_user_sgpr_kernarg_segment_ptr 1
		.amdhsa_user_sgpr_dispatch_id 0
		.amdhsa_user_sgpr_kernarg_preload_length 0
		.amdhsa_user_sgpr_kernarg_preload_offset 0
		.amdhsa_user_sgpr_private_segment_size 0
		.amdhsa_wavefront_size32 1
		.amdhsa_uses_dynamic_stack 0
		.amdhsa_enable_private_segment 0
		.amdhsa_system_sgpr_workgroup_id_x 1
		.amdhsa_system_sgpr_workgroup_id_y 0
		.amdhsa_system_sgpr_workgroup_id_z 0
		.amdhsa_system_sgpr_workgroup_info 0
		.amdhsa_system_vgpr_workitem_id 0
		.amdhsa_next_free_vgpr 1
		.amdhsa_next_free_sgpr 1
		.amdhsa_named_barrier_count 0
		.amdhsa_reserve_vcc 0
		.amdhsa_float_round_mode_32 0
		.amdhsa_float_round_mode_16_64 0
		.amdhsa_float_denorm_mode_32 3
		.amdhsa_float_denorm_mode_16_64 3
		.amdhsa_fp16_overflow 0
		.amdhsa_memory_ordered 1
		.amdhsa_forward_progress 1
		.amdhsa_inst_pref_size 0
		.amdhsa_round_robin_scheduling 0
		.amdhsa_exception_fp_ieee_invalid_op 0
		.amdhsa_exception_fp_denorm_src 0
		.amdhsa_exception_fp_ieee_div_zero 0
		.amdhsa_exception_fp_ieee_overflow 0
		.amdhsa_exception_fp_ieee_underflow 0
		.amdhsa_exception_fp_ieee_inexact 0
		.amdhsa_exception_int_div_zero 0
	.end_amdhsa_kernel
	.section	.text._ZN7rocprim17ROCPRIM_400000_NS6detail17trampoline_kernelINS0_14default_configENS1_35radix_sort_onesweep_config_selectorI12hip_bfloat16NS0_10empty_typeEEEZZNS1_29radix_sort_onesweep_iterationIS3_Lb0EPKS5_PS5_PS6_SC_mNS0_19identity_decomposerENS1_16block_id_wrapperIjLb1EEEEE10hipError_tT1_PNSt15iterator_traitsISH_E10value_typeET2_T3_PNSI_ISN_E10value_typeET4_T5_PSS_ST_PNS1_23onesweep_lookback_stateEbbT6_jjT7_P12ihipStream_tbENKUlT_T0_SH_SM_E_clISA_SB_SC_SC_EEDaS10_S11_SH_SM_EUlS10_E_NS1_11comp_targetILNS1_3genE4ELNS1_11target_archE910ELNS1_3gpuE8ELNS1_3repE0EEENS1_47radix_sort_onesweep_sort_config_static_selectorELNS0_4arch9wavefront6targetE0EEEvSH_,"axG",@progbits,_ZN7rocprim17ROCPRIM_400000_NS6detail17trampoline_kernelINS0_14default_configENS1_35radix_sort_onesweep_config_selectorI12hip_bfloat16NS0_10empty_typeEEEZZNS1_29radix_sort_onesweep_iterationIS3_Lb0EPKS5_PS5_PS6_SC_mNS0_19identity_decomposerENS1_16block_id_wrapperIjLb1EEEEE10hipError_tT1_PNSt15iterator_traitsISH_E10value_typeET2_T3_PNSI_ISN_E10value_typeET4_T5_PSS_ST_PNS1_23onesweep_lookback_stateEbbT6_jjT7_P12ihipStream_tbENKUlT_T0_SH_SM_E_clISA_SB_SC_SC_EEDaS10_S11_SH_SM_EUlS10_E_NS1_11comp_targetILNS1_3genE4ELNS1_11target_archE910ELNS1_3gpuE8ELNS1_3repE0EEENS1_47radix_sort_onesweep_sort_config_static_selectorELNS0_4arch9wavefront6targetE0EEEvSH_,comdat
.Lfunc_end2055:
	.size	_ZN7rocprim17ROCPRIM_400000_NS6detail17trampoline_kernelINS0_14default_configENS1_35radix_sort_onesweep_config_selectorI12hip_bfloat16NS0_10empty_typeEEEZZNS1_29radix_sort_onesweep_iterationIS3_Lb0EPKS5_PS5_PS6_SC_mNS0_19identity_decomposerENS1_16block_id_wrapperIjLb1EEEEE10hipError_tT1_PNSt15iterator_traitsISH_E10value_typeET2_T3_PNSI_ISN_E10value_typeET4_T5_PSS_ST_PNS1_23onesweep_lookback_stateEbbT6_jjT7_P12ihipStream_tbENKUlT_T0_SH_SM_E_clISA_SB_SC_SC_EEDaS10_S11_SH_SM_EUlS10_E_NS1_11comp_targetILNS1_3genE4ELNS1_11target_archE910ELNS1_3gpuE8ELNS1_3repE0EEENS1_47radix_sort_onesweep_sort_config_static_selectorELNS0_4arch9wavefront6targetE0EEEvSH_, .Lfunc_end2055-_ZN7rocprim17ROCPRIM_400000_NS6detail17trampoline_kernelINS0_14default_configENS1_35radix_sort_onesweep_config_selectorI12hip_bfloat16NS0_10empty_typeEEEZZNS1_29radix_sort_onesweep_iterationIS3_Lb0EPKS5_PS5_PS6_SC_mNS0_19identity_decomposerENS1_16block_id_wrapperIjLb1EEEEE10hipError_tT1_PNSt15iterator_traitsISH_E10value_typeET2_T3_PNSI_ISN_E10value_typeET4_T5_PSS_ST_PNS1_23onesweep_lookback_stateEbbT6_jjT7_P12ihipStream_tbENKUlT_T0_SH_SM_E_clISA_SB_SC_SC_EEDaS10_S11_SH_SM_EUlS10_E_NS1_11comp_targetILNS1_3genE4ELNS1_11target_archE910ELNS1_3gpuE8ELNS1_3repE0EEENS1_47radix_sort_onesweep_sort_config_static_selectorELNS0_4arch9wavefront6targetE0EEEvSH_
                                        ; -- End function
	.set _ZN7rocprim17ROCPRIM_400000_NS6detail17trampoline_kernelINS0_14default_configENS1_35radix_sort_onesweep_config_selectorI12hip_bfloat16NS0_10empty_typeEEEZZNS1_29radix_sort_onesweep_iterationIS3_Lb0EPKS5_PS5_PS6_SC_mNS0_19identity_decomposerENS1_16block_id_wrapperIjLb1EEEEE10hipError_tT1_PNSt15iterator_traitsISH_E10value_typeET2_T3_PNSI_ISN_E10value_typeET4_T5_PSS_ST_PNS1_23onesweep_lookback_stateEbbT6_jjT7_P12ihipStream_tbENKUlT_T0_SH_SM_E_clISA_SB_SC_SC_EEDaS10_S11_SH_SM_EUlS10_E_NS1_11comp_targetILNS1_3genE4ELNS1_11target_archE910ELNS1_3gpuE8ELNS1_3repE0EEENS1_47radix_sort_onesweep_sort_config_static_selectorELNS0_4arch9wavefront6targetE0EEEvSH_.num_vgpr, 0
	.set _ZN7rocprim17ROCPRIM_400000_NS6detail17trampoline_kernelINS0_14default_configENS1_35radix_sort_onesweep_config_selectorI12hip_bfloat16NS0_10empty_typeEEEZZNS1_29radix_sort_onesweep_iterationIS3_Lb0EPKS5_PS5_PS6_SC_mNS0_19identity_decomposerENS1_16block_id_wrapperIjLb1EEEEE10hipError_tT1_PNSt15iterator_traitsISH_E10value_typeET2_T3_PNSI_ISN_E10value_typeET4_T5_PSS_ST_PNS1_23onesweep_lookback_stateEbbT6_jjT7_P12ihipStream_tbENKUlT_T0_SH_SM_E_clISA_SB_SC_SC_EEDaS10_S11_SH_SM_EUlS10_E_NS1_11comp_targetILNS1_3genE4ELNS1_11target_archE910ELNS1_3gpuE8ELNS1_3repE0EEENS1_47radix_sort_onesweep_sort_config_static_selectorELNS0_4arch9wavefront6targetE0EEEvSH_.num_agpr, 0
	.set _ZN7rocprim17ROCPRIM_400000_NS6detail17trampoline_kernelINS0_14default_configENS1_35radix_sort_onesweep_config_selectorI12hip_bfloat16NS0_10empty_typeEEEZZNS1_29radix_sort_onesweep_iterationIS3_Lb0EPKS5_PS5_PS6_SC_mNS0_19identity_decomposerENS1_16block_id_wrapperIjLb1EEEEE10hipError_tT1_PNSt15iterator_traitsISH_E10value_typeET2_T3_PNSI_ISN_E10value_typeET4_T5_PSS_ST_PNS1_23onesweep_lookback_stateEbbT6_jjT7_P12ihipStream_tbENKUlT_T0_SH_SM_E_clISA_SB_SC_SC_EEDaS10_S11_SH_SM_EUlS10_E_NS1_11comp_targetILNS1_3genE4ELNS1_11target_archE910ELNS1_3gpuE8ELNS1_3repE0EEENS1_47radix_sort_onesweep_sort_config_static_selectorELNS0_4arch9wavefront6targetE0EEEvSH_.numbered_sgpr, 0
	.set _ZN7rocprim17ROCPRIM_400000_NS6detail17trampoline_kernelINS0_14default_configENS1_35radix_sort_onesweep_config_selectorI12hip_bfloat16NS0_10empty_typeEEEZZNS1_29radix_sort_onesweep_iterationIS3_Lb0EPKS5_PS5_PS6_SC_mNS0_19identity_decomposerENS1_16block_id_wrapperIjLb1EEEEE10hipError_tT1_PNSt15iterator_traitsISH_E10value_typeET2_T3_PNSI_ISN_E10value_typeET4_T5_PSS_ST_PNS1_23onesweep_lookback_stateEbbT6_jjT7_P12ihipStream_tbENKUlT_T0_SH_SM_E_clISA_SB_SC_SC_EEDaS10_S11_SH_SM_EUlS10_E_NS1_11comp_targetILNS1_3genE4ELNS1_11target_archE910ELNS1_3gpuE8ELNS1_3repE0EEENS1_47radix_sort_onesweep_sort_config_static_selectorELNS0_4arch9wavefront6targetE0EEEvSH_.num_named_barrier, 0
	.set _ZN7rocprim17ROCPRIM_400000_NS6detail17trampoline_kernelINS0_14default_configENS1_35radix_sort_onesweep_config_selectorI12hip_bfloat16NS0_10empty_typeEEEZZNS1_29radix_sort_onesweep_iterationIS3_Lb0EPKS5_PS5_PS6_SC_mNS0_19identity_decomposerENS1_16block_id_wrapperIjLb1EEEEE10hipError_tT1_PNSt15iterator_traitsISH_E10value_typeET2_T3_PNSI_ISN_E10value_typeET4_T5_PSS_ST_PNS1_23onesweep_lookback_stateEbbT6_jjT7_P12ihipStream_tbENKUlT_T0_SH_SM_E_clISA_SB_SC_SC_EEDaS10_S11_SH_SM_EUlS10_E_NS1_11comp_targetILNS1_3genE4ELNS1_11target_archE910ELNS1_3gpuE8ELNS1_3repE0EEENS1_47radix_sort_onesweep_sort_config_static_selectorELNS0_4arch9wavefront6targetE0EEEvSH_.private_seg_size, 0
	.set _ZN7rocprim17ROCPRIM_400000_NS6detail17trampoline_kernelINS0_14default_configENS1_35radix_sort_onesweep_config_selectorI12hip_bfloat16NS0_10empty_typeEEEZZNS1_29radix_sort_onesweep_iterationIS3_Lb0EPKS5_PS5_PS6_SC_mNS0_19identity_decomposerENS1_16block_id_wrapperIjLb1EEEEE10hipError_tT1_PNSt15iterator_traitsISH_E10value_typeET2_T3_PNSI_ISN_E10value_typeET4_T5_PSS_ST_PNS1_23onesweep_lookback_stateEbbT6_jjT7_P12ihipStream_tbENKUlT_T0_SH_SM_E_clISA_SB_SC_SC_EEDaS10_S11_SH_SM_EUlS10_E_NS1_11comp_targetILNS1_3genE4ELNS1_11target_archE910ELNS1_3gpuE8ELNS1_3repE0EEENS1_47radix_sort_onesweep_sort_config_static_selectorELNS0_4arch9wavefront6targetE0EEEvSH_.uses_vcc, 0
	.set _ZN7rocprim17ROCPRIM_400000_NS6detail17trampoline_kernelINS0_14default_configENS1_35radix_sort_onesweep_config_selectorI12hip_bfloat16NS0_10empty_typeEEEZZNS1_29radix_sort_onesweep_iterationIS3_Lb0EPKS5_PS5_PS6_SC_mNS0_19identity_decomposerENS1_16block_id_wrapperIjLb1EEEEE10hipError_tT1_PNSt15iterator_traitsISH_E10value_typeET2_T3_PNSI_ISN_E10value_typeET4_T5_PSS_ST_PNS1_23onesweep_lookback_stateEbbT6_jjT7_P12ihipStream_tbENKUlT_T0_SH_SM_E_clISA_SB_SC_SC_EEDaS10_S11_SH_SM_EUlS10_E_NS1_11comp_targetILNS1_3genE4ELNS1_11target_archE910ELNS1_3gpuE8ELNS1_3repE0EEENS1_47radix_sort_onesweep_sort_config_static_selectorELNS0_4arch9wavefront6targetE0EEEvSH_.uses_flat_scratch, 0
	.set _ZN7rocprim17ROCPRIM_400000_NS6detail17trampoline_kernelINS0_14default_configENS1_35radix_sort_onesweep_config_selectorI12hip_bfloat16NS0_10empty_typeEEEZZNS1_29radix_sort_onesweep_iterationIS3_Lb0EPKS5_PS5_PS6_SC_mNS0_19identity_decomposerENS1_16block_id_wrapperIjLb1EEEEE10hipError_tT1_PNSt15iterator_traitsISH_E10value_typeET2_T3_PNSI_ISN_E10value_typeET4_T5_PSS_ST_PNS1_23onesweep_lookback_stateEbbT6_jjT7_P12ihipStream_tbENKUlT_T0_SH_SM_E_clISA_SB_SC_SC_EEDaS10_S11_SH_SM_EUlS10_E_NS1_11comp_targetILNS1_3genE4ELNS1_11target_archE910ELNS1_3gpuE8ELNS1_3repE0EEENS1_47radix_sort_onesweep_sort_config_static_selectorELNS0_4arch9wavefront6targetE0EEEvSH_.has_dyn_sized_stack, 0
	.set _ZN7rocprim17ROCPRIM_400000_NS6detail17trampoline_kernelINS0_14default_configENS1_35radix_sort_onesweep_config_selectorI12hip_bfloat16NS0_10empty_typeEEEZZNS1_29radix_sort_onesweep_iterationIS3_Lb0EPKS5_PS5_PS6_SC_mNS0_19identity_decomposerENS1_16block_id_wrapperIjLb1EEEEE10hipError_tT1_PNSt15iterator_traitsISH_E10value_typeET2_T3_PNSI_ISN_E10value_typeET4_T5_PSS_ST_PNS1_23onesweep_lookback_stateEbbT6_jjT7_P12ihipStream_tbENKUlT_T0_SH_SM_E_clISA_SB_SC_SC_EEDaS10_S11_SH_SM_EUlS10_E_NS1_11comp_targetILNS1_3genE4ELNS1_11target_archE910ELNS1_3gpuE8ELNS1_3repE0EEENS1_47radix_sort_onesweep_sort_config_static_selectorELNS0_4arch9wavefront6targetE0EEEvSH_.has_recursion, 0
	.set _ZN7rocprim17ROCPRIM_400000_NS6detail17trampoline_kernelINS0_14default_configENS1_35radix_sort_onesweep_config_selectorI12hip_bfloat16NS0_10empty_typeEEEZZNS1_29radix_sort_onesweep_iterationIS3_Lb0EPKS5_PS5_PS6_SC_mNS0_19identity_decomposerENS1_16block_id_wrapperIjLb1EEEEE10hipError_tT1_PNSt15iterator_traitsISH_E10value_typeET2_T3_PNSI_ISN_E10value_typeET4_T5_PSS_ST_PNS1_23onesweep_lookback_stateEbbT6_jjT7_P12ihipStream_tbENKUlT_T0_SH_SM_E_clISA_SB_SC_SC_EEDaS10_S11_SH_SM_EUlS10_E_NS1_11comp_targetILNS1_3genE4ELNS1_11target_archE910ELNS1_3gpuE8ELNS1_3repE0EEENS1_47radix_sort_onesweep_sort_config_static_selectorELNS0_4arch9wavefront6targetE0EEEvSH_.has_indirect_call, 0
	.section	.AMDGPU.csdata,"",@progbits
; Kernel info:
; codeLenInByte = 0
; TotalNumSgprs: 0
; NumVgprs: 0
; ScratchSize: 0
; MemoryBound: 0
; FloatMode: 240
; IeeeMode: 1
; LDSByteSize: 0 bytes/workgroup (compile time only)
; SGPRBlocks: 0
; VGPRBlocks: 0
; NumSGPRsForWavesPerEU: 1
; NumVGPRsForWavesPerEU: 1
; NamedBarCnt: 0
; Occupancy: 16
; WaveLimiterHint : 0
; COMPUTE_PGM_RSRC2:SCRATCH_EN: 0
; COMPUTE_PGM_RSRC2:USER_SGPR: 2
; COMPUTE_PGM_RSRC2:TRAP_HANDLER: 0
; COMPUTE_PGM_RSRC2:TGID_X_EN: 1
; COMPUTE_PGM_RSRC2:TGID_Y_EN: 0
; COMPUTE_PGM_RSRC2:TGID_Z_EN: 0
; COMPUTE_PGM_RSRC2:TIDIG_COMP_CNT: 0
	.section	.text._ZN7rocprim17ROCPRIM_400000_NS6detail17trampoline_kernelINS0_14default_configENS1_35radix_sort_onesweep_config_selectorI12hip_bfloat16NS0_10empty_typeEEEZZNS1_29radix_sort_onesweep_iterationIS3_Lb0EPKS5_PS5_PS6_SC_mNS0_19identity_decomposerENS1_16block_id_wrapperIjLb1EEEEE10hipError_tT1_PNSt15iterator_traitsISH_E10value_typeET2_T3_PNSI_ISN_E10value_typeET4_T5_PSS_ST_PNS1_23onesweep_lookback_stateEbbT6_jjT7_P12ihipStream_tbENKUlT_T0_SH_SM_E_clISA_SB_SC_SC_EEDaS10_S11_SH_SM_EUlS10_E_NS1_11comp_targetILNS1_3genE3ELNS1_11target_archE908ELNS1_3gpuE7ELNS1_3repE0EEENS1_47radix_sort_onesweep_sort_config_static_selectorELNS0_4arch9wavefront6targetE0EEEvSH_,"axG",@progbits,_ZN7rocprim17ROCPRIM_400000_NS6detail17trampoline_kernelINS0_14default_configENS1_35radix_sort_onesweep_config_selectorI12hip_bfloat16NS0_10empty_typeEEEZZNS1_29radix_sort_onesweep_iterationIS3_Lb0EPKS5_PS5_PS6_SC_mNS0_19identity_decomposerENS1_16block_id_wrapperIjLb1EEEEE10hipError_tT1_PNSt15iterator_traitsISH_E10value_typeET2_T3_PNSI_ISN_E10value_typeET4_T5_PSS_ST_PNS1_23onesweep_lookback_stateEbbT6_jjT7_P12ihipStream_tbENKUlT_T0_SH_SM_E_clISA_SB_SC_SC_EEDaS10_S11_SH_SM_EUlS10_E_NS1_11comp_targetILNS1_3genE3ELNS1_11target_archE908ELNS1_3gpuE7ELNS1_3repE0EEENS1_47radix_sort_onesweep_sort_config_static_selectorELNS0_4arch9wavefront6targetE0EEEvSH_,comdat
	.protected	_ZN7rocprim17ROCPRIM_400000_NS6detail17trampoline_kernelINS0_14default_configENS1_35radix_sort_onesweep_config_selectorI12hip_bfloat16NS0_10empty_typeEEEZZNS1_29radix_sort_onesweep_iterationIS3_Lb0EPKS5_PS5_PS6_SC_mNS0_19identity_decomposerENS1_16block_id_wrapperIjLb1EEEEE10hipError_tT1_PNSt15iterator_traitsISH_E10value_typeET2_T3_PNSI_ISN_E10value_typeET4_T5_PSS_ST_PNS1_23onesweep_lookback_stateEbbT6_jjT7_P12ihipStream_tbENKUlT_T0_SH_SM_E_clISA_SB_SC_SC_EEDaS10_S11_SH_SM_EUlS10_E_NS1_11comp_targetILNS1_3genE3ELNS1_11target_archE908ELNS1_3gpuE7ELNS1_3repE0EEENS1_47radix_sort_onesweep_sort_config_static_selectorELNS0_4arch9wavefront6targetE0EEEvSH_ ; -- Begin function _ZN7rocprim17ROCPRIM_400000_NS6detail17trampoline_kernelINS0_14default_configENS1_35radix_sort_onesweep_config_selectorI12hip_bfloat16NS0_10empty_typeEEEZZNS1_29radix_sort_onesweep_iterationIS3_Lb0EPKS5_PS5_PS6_SC_mNS0_19identity_decomposerENS1_16block_id_wrapperIjLb1EEEEE10hipError_tT1_PNSt15iterator_traitsISH_E10value_typeET2_T3_PNSI_ISN_E10value_typeET4_T5_PSS_ST_PNS1_23onesweep_lookback_stateEbbT6_jjT7_P12ihipStream_tbENKUlT_T0_SH_SM_E_clISA_SB_SC_SC_EEDaS10_S11_SH_SM_EUlS10_E_NS1_11comp_targetILNS1_3genE3ELNS1_11target_archE908ELNS1_3gpuE7ELNS1_3repE0EEENS1_47radix_sort_onesweep_sort_config_static_selectorELNS0_4arch9wavefront6targetE0EEEvSH_
	.globl	_ZN7rocprim17ROCPRIM_400000_NS6detail17trampoline_kernelINS0_14default_configENS1_35radix_sort_onesweep_config_selectorI12hip_bfloat16NS0_10empty_typeEEEZZNS1_29radix_sort_onesweep_iterationIS3_Lb0EPKS5_PS5_PS6_SC_mNS0_19identity_decomposerENS1_16block_id_wrapperIjLb1EEEEE10hipError_tT1_PNSt15iterator_traitsISH_E10value_typeET2_T3_PNSI_ISN_E10value_typeET4_T5_PSS_ST_PNS1_23onesweep_lookback_stateEbbT6_jjT7_P12ihipStream_tbENKUlT_T0_SH_SM_E_clISA_SB_SC_SC_EEDaS10_S11_SH_SM_EUlS10_E_NS1_11comp_targetILNS1_3genE3ELNS1_11target_archE908ELNS1_3gpuE7ELNS1_3repE0EEENS1_47radix_sort_onesweep_sort_config_static_selectorELNS0_4arch9wavefront6targetE0EEEvSH_
	.p2align	8
	.type	_ZN7rocprim17ROCPRIM_400000_NS6detail17trampoline_kernelINS0_14default_configENS1_35radix_sort_onesweep_config_selectorI12hip_bfloat16NS0_10empty_typeEEEZZNS1_29radix_sort_onesweep_iterationIS3_Lb0EPKS5_PS5_PS6_SC_mNS0_19identity_decomposerENS1_16block_id_wrapperIjLb1EEEEE10hipError_tT1_PNSt15iterator_traitsISH_E10value_typeET2_T3_PNSI_ISN_E10value_typeET4_T5_PSS_ST_PNS1_23onesweep_lookback_stateEbbT6_jjT7_P12ihipStream_tbENKUlT_T0_SH_SM_E_clISA_SB_SC_SC_EEDaS10_S11_SH_SM_EUlS10_E_NS1_11comp_targetILNS1_3genE3ELNS1_11target_archE908ELNS1_3gpuE7ELNS1_3repE0EEENS1_47radix_sort_onesweep_sort_config_static_selectorELNS0_4arch9wavefront6targetE0EEEvSH_,@function
_ZN7rocprim17ROCPRIM_400000_NS6detail17trampoline_kernelINS0_14default_configENS1_35radix_sort_onesweep_config_selectorI12hip_bfloat16NS0_10empty_typeEEEZZNS1_29radix_sort_onesweep_iterationIS3_Lb0EPKS5_PS5_PS6_SC_mNS0_19identity_decomposerENS1_16block_id_wrapperIjLb1EEEEE10hipError_tT1_PNSt15iterator_traitsISH_E10value_typeET2_T3_PNSI_ISN_E10value_typeET4_T5_PSS_ST_PNS1_23onesweep_lookback_stateEbbT6_jjT7_P12ihipStream_tbENKUlT_T0_SH_SM_E_clISA_SB_SC_SC_EEDaS10_S11_SH_SM_EUlS10_E_NS1_11comp_targetILNS1_3genE3ELNS1_11target_archE908ELNS1_3gpuE7ELNS1_3repE0EEENS1_47radix_sort_onesweep_sort_config_static_selectorELNS0_4arch9wavefront6targetE0EEEvSH_: ; @_ZN7rocprim17ROCPRIM_400000_NS6detail17trampoline_kernelINS0_14default_configENS1_35radix_sort_onesweep_config_selectorI12hip_bfloat16NS0_10empty_typeEEEZZNS1_29radix_sort_onesweep_iterationIS3_Lb0EPKS5_PS5_PS6_SC_mNS0_19identity_decomposerENS1_16block_id_wrapperIjLb1EEEEE10hipError_tT1_PNSt15iterator_traitsISH_E10value_typeET2_T3_PNSI_ISN_E10value_typeET4_T5_PSS_ST_PNS1_23onesweep_lookback_stateEbbT6_jjT7_P12ihipStream_tbENKUlT_T0_SH_SM_E_clISA_SB_SC_SC_EEDaS10_S11_SH_SM_EUlS10_E_NS1_11comp_targetILNS1_3genE3ELNS1_11target_archE908ELNS1_3gpuE7ELNS1_3repE0EEENS1_47radix_sort_onesweep_sort_config_static_selectorELNS0_4arch9wavefront6targetE0EEEvSH_
; %bb.0:
	.section	.rodata,"a",@progbits
	.p2align	6, 0x0
	.amdhsa_kernel _ZN7rocprim17ROCPRIM_400000_NS6detail17trampoline_kernelINS0_14default_configENS1_35radix_sort_onesweep_config_selectorI12hip_bfloat16NS0_10empty_typeEEEZZNS1_29radix_sort_onesweep_iterationIS3_Lb0EPKS5_PS5_PS6_SC_mNS0_19identity_decomposerENS1_16block_id_wrapperIjLb1EEEEE10hipError_tT1_PNSt15iterator_traitsISH_E10value_typeET2_T3_PNSI_ISN_E10value_typeET4_T5_PSS_ST_PNS1_23onesweep_lookback_stateEbbT6_jjT7_P12ihipStream_tbENKUlT_T0_SH_SM_E_clISA_SB_SC_SC_EEDaS10_S11_SH_SM_EUlS10_E_NS1_11comp_targetILNS1_3genE3ELNS1_11target_archE908ELNS1_3gpuE7ELNS1_3repE0EEENS1_47radix_sort_onesweep_sort_config_static_selectorELNS0_4arch9wavefront6targetE0EEEvSH_
		.amdhsa_group_segment_fixed_size 0
		.amdhsa_private_segment_fixed_size 0
		.amdhsa_kernarg_size 88
		.amdhsa_user_sgpr_count 2
		.amdhsa_user_sgpr_dispatch_ptr 0
		.amdhsa_user_sgpr_queue_ptr 0
		.amdhsa_user_sgpr_kernarg_segment_ptr 1
		.amdhsa_user_sgpr_dispatch_id 0
		.amdhsa_user_sgpr_kernarg_preload_length 0
		.amdhsa_user_sgpr_kernarg_preload_offset 0
		.amdhsa_user_sgpr_private_segment_size 0
		.amdhsa_wavefront_size32 1
		.amdhsa_uses_dynamic_stack 0
		.amdhsa_enable_private_segment 0
		.amdhsa_system_sgpr_workgroup_id_x 1
		.amdhsa_system_sgpr_workgroup_id_y 0
		.amdhsa_system_sgpr_workgroup_id_z 0
		.amdhsa_system_sgpr_workgroup_info 0
		.amdhsa_system_vgpr_workitem_id 0
		.amdhsa_next_free_vgpr 1
		.amdhsa_next_free_sgpr 1
		.amdhsa_named_barrier_count 0
		.amdhsa_reserve_vcc 0
		.amdhsa_float_round_mode_32 0
		.amdhsa_float_round_mode_16_64 0
		.amdhsa_float_denorm_mode_32 3
		.amdhsa_float_denorm_mode_16_64 3
		.amdhsa_fp16_overflow 0
		.amdhsa_memory_ordered 1
		.amdhsa_forward_progress 1
		.amdhsa_inst_pref_size 0
		.amdhsa_round_robin_scheduling 0
		.amdhsa_exception_fp_ieee_invalid_op 0
		.amdhsa_exception_fp_denorm_src 0
		.amdhsa_exception_fp_ieee_div_zero 0
		.amdhsa_exception_fp_ieee_overflow 0
		.amdhsa_exception_fp_ieee_underflow 0
		.amdhsa_exception_fp_ieee_inexact 0
		.amdhsa_exception_int_div_zero 0
	.end_amdhsa_kernel
	.section	.text._ZN7rocprim17ROCPRIM_400000_NS6detail17trampoline_kernelINS0_14default_configENS1_35radix_sort_onesweep_config_selectorI12hip_bfloat16NS0_10empty_typeEEEZZNS1_29radix_sort_onesweep_iterationIS3_Lb0EPKS5_PS5_PS6_SC_mNS0_19identity_decomposerENS1_16block_id_wrapperIjLb1EEEEE10hipError_tT1_PNSt15iterator_traitsISH_E10value_typeET2_T3_PNSI_ISN_E10value_typeET4_T5_PSS_ST_PNS1_23onesweep_lookback_stateEbbT6_jjT7_P12ihipStream_tbENKUlT_T0_SH_SM_E_clISA_SB_SC_SC_EEDaS10_S11_SH_SM_EUlS10_E_NS1_11comp_targetILNS1_3genE3ELNS1_11target_archE908ELNS1_3gpuE7ELNS1_3repE0EEENS1_47radix_sort_onesweep_sort_config_static_selectorELNS0_4arch9wavefront6targetE0EEEvSH_,"axG",@progbits,_ZN7rocprim17ROCPRIM_400000_NS6detail17trampoline_kernelINS0_14default_configENS1_35radix_sort_onesweep_config_selectorI12hip_bfloat16NS0_10empty_typeEEEZZNS1_29radix_sort_onesweep_iterationIS3_Lb0EPKS5_PS5_PS6_SC_mNS0_19identity_decomposerENS1_16block_id_wrapperIjLb1EEEEE10hipError_tT1_PNSt15iterator_traitsISH_E10value_typeET2_T3_PNSI_ISN_E10value_typeET4_T5_PSS_ST_PNS1_23onesweep_lookback_stateEbbT6_jjT7_P12ihipStream_tbENKUlT_T0_SH_SM_E_clISA_SB_SC_SC_EEDaS10_S11_SH_SM_EUlS10_E_NS1_11comp_targetILNS1_3genE3ELNS1_11target_archE908ELNS1_3gpuE7ELNS1_3repE0EEENS1_47radix_sort_onesweep_sort_config_static_selectorELNS0_4arch9wavefront6targetE0EEEvSH_,comdat
.Lfunc_end2056:
	.size	_ZN7rocprim17ROCPRIM_400000_NS6detail17trampoline_kernelINS0_14default_configENS1_35radix_sort_onesweep_config_selectorI12hip_bfloat16NS0_10empty_typeEEEZZNS1_29radix_sort_onesweep_iterationIS3_Lb0EPKS5_PS5_PS6_SC_mNS0_19identity_decomposerENS1_16block_id_wrapperIjLb1EEEEE10hipError_tT1_PNSt15iterator_traitsISH_E10value_typeET2_T3_PNSI_ISN_E10value_typeET4_T5_PSS_ST_PNS1_23onesweep_lookback_stateEbbT6_jjT7_P12ihipStream_tbENKUlT_T0_SH_SM_E_clISA_SB_SC_SC_EEDaS10_S11_SH_SM_EUlS10_E_NS1_11comp_targetILNS1_3genE3ELNS1_11target_archE908ELNS1_3gpuE7ELNS1_3repE0EEENS1_47radix_sort_onesweep_sort_config_static_selectorELNS0_4arch9wavefront6targetE0EEEvSH_, .Lfunc_end2056-_ZN7rocprim17ROCPRIM_400000_NS6detail17trampoline_kernelINS0_14default_configENS1_35radix_sort_onesweep_config_selectorI12hip_bfloat16NS0_10empty_typeEEEZZNS1_29radix_sort_onesweep_iterationIS3_Lb0EPKS5_PS5_PS6_SC_mNS0_19identity_decomposerENS1_16block_id_wrapperIjLb1EEEEE10hipError_tT1_PNSt15iterator_traitsISH_E10value_typeET2_T3_PNSI_ISN_E10value_typeET4_T5_PSS_ST_PNS1_23onesweep_lookback_stateEbbT6_jjT7_P12ihipStream_tbENKUlT_T0_SH_SM_E_clISA_SB_SC_SC_EEDaS10_S11_SH_SM_EUlS10_E_NS1_11comp_targetILNS1_3genE3ELNS1_11target_archE908ELNS1_3gpuE7ELNS1_3repE0EEENS1_47radix_sort_onesweep_sort_config_static_selectorELNS0_4arch9wavefront6targetE0EEEvSH_
                                        ; -- End function
	.set _ZN7rocprim17ROCPRIM_400000_NS6detail17trampoline_kernelINS0_14default_configENS1_35radix_sort_onesweep_config_selectorI12hip_bfloat16NS0_10empty_typeEEEZZNS1_29radix_sort_onesweep_iterationIS3_Lb0EPKS5_PS5_PS6_SC_mNS0_19identity_decomposerENS1_16block_id_wrapperIjLb1EEEEE10hipError_tT1_PNSt15iterator_traitsISH_E10value_typeET2_T3_PNSI_ISN_E10value_typeET4_T5_PSS_ST_PNS1_23onesweep_lookback_stateEbbT6_jjT7_P12ihipStream_tbENKUlT_T0_SH_SM_E_clISA_SB_SC_SC_EEDaS10_S11_SH_SM_EUlS10_E_NS1_11comp_targetILNS1_3genE3ELNS1_11target_archE908ELNS1_3gpuE7ELNS1_3repE0EEENS1_47radix_sort_onesweep_sort_config_static_selectorELNS0_4arch9wavefront6targetE0EEEvSH_.num_vgpr, 0
	.set _ZN7rocprim17ROCPRIM_400000_NS6detail17trampoline_kernelINS0_14default_configENS1_35radix_sort_onesweep_config_selectorI12hip_bfloat16NS0_10empty_typeEEEZZNS1_29radix_sort_onesweep_iterationIS3_Lb0EPKS5_PS5_PS6_SC_mNS0_19identity_decomposerENS1_16block_id_wrapperIjLb1EEEEE10hipError_tT1_PNSt15iterator_traitsISH_E10value_typeET2_T3_PNSI_ISN_E10value_typeET4_T5_PSS_ST_PNS1_23onesweep_lookback_stateEbbT6_jjT7_P12ihipStream_tbENKUlT_T0_SH_SM_E_clISA_SB_SC_SC_EEDaS10_S11_SH_SM_EUlS10_E_NS1_11comp_targetILNS1_3genE3ELNS1_11target_archE908ELNS1_3gpuE7ELNS1_3repE0EEENS1_47radix_sort_onesweep_sort_config_static_selectorELNS0_4arch9wavefront6targetE0EEEvSH_.num_agpr, 0
	.set _ZN7rocprim17ROCPRIM_400000_NS6detail17trampoline_kernelINS0_14default_configENS1_35radix_sort_onesweep_config_selectorI12hip_bfloat16NS0_10empty_typeEEEZZNS1_29radix_sort_onesweep_iterationIS3_Lb0EPKS5_PS5_PS6_SC_mNS0_19identity_decomposerENS1_16block_id_wrapperIjLb1EEEEE10hipError_tT1_PNSt15iterator_traitsISH_E10value_typeET2_T3_PNSI_ISN_E10value_typeET4_T5_PSS_ST_PNS1_23onesweep_lookback_stateEbbT6_jjT7_P12ihipStream_tbENKUlT_T0_SH_SM_E_clISA_SB_SC_SC_EEDaS10_S11_SH_SM_EUlS10_E_NS1_11comp_targetILNS1_3genE3ELNS1_11target_archE908ELNS1_3gpuE7ELNS1_3repE0EEENS1_47radix_sort_onesweep_sort_config_static_selectorELNS0_4arch9wavefront6targetE0EEEvSH_.numbered_sgpr, 0
	.set _ZN7rocprim17ROCPRIM_400000_NS6detail17trampoline_kernelINS0_14default_configENS1_35radix_sort_onesweep_config_selectorI12hip_bfloat16NS0_10empty_typeEEEZZNS1_29radix_sort_onesweep_iterationIS3_Lb0EPKS5_PS5_PS6_SC_mNS0_19identity_decomposerENS1_16block_id_wrapperIjLb1EEEEE10hipError_tT1_PNSt15iterator_traitsISH_E10value_typeET2_T3_PNSI_ISN_E10value_typeET4_T5_PSS_ST_PNS1_23onesweep_lookback_stateEbbT6_jjT7_P12ihipStream_tbENKUlT_T0_SH_SM_E_clISA_SB_SC_SC_EEDaS10_S11_SH_SM_EUlS10_E_NS1_11comp_targetILNS1_3genE3ELNS1_11target_archE908ELNS1_3gpuE7ELNS1_3repE0EEENS1_47radix_sort_onesweep_sort_config_static_selectorELNS0_4arch9wavefront6targetE0EEEvSH_.num_named_barrier, 0
	.set _ZN7rocprim17ROCPRIM_400000_NS6detail17trampoline_kernelINS0_14default_configENS1_35radix_sort_onesweep_config_selectorI12hip_bfloat16NS0_10empty_typeEEEZZNS1_29radix_sort_onesweep_iterationIS3_Lb0EPKS5_PS5_PS6_SC_mNS0_19identity_decomposerENS1_16block_id_wrapperIjLb1EEEEE10hipError_tT1_PNSt15iterator_traitsISH_E10value_typeET2_T3_PNSI_ISN_E10value_typeET4_T5_PSS_ST_PNS1_23onesweep_lookback_stateEbbT6_jjT7_P12ihipStream_tbENKUlT_T0_SH_SM_E_clISA_SB_SC_SC_EEDaS10_S11_SH_SM_EUlS10_E_NS1_11comp_targetILNS1_3genE3ELNS1_11target_archE908ELNS1_3gpuE7ELNS1_3repE0EEENS1_47radix_sort_onesweep_sort_config_static_selectorELNS0_4arch9wavefront6targetE0EEEvSH_.private_seg_size, 0
	.set _ZN7rocprim17ROCPRIM_400000_NS6detail17trampoline_kernelINS0_14default_configENS1_35radix_sort_onesweep_config_selectorI12hip_bfloat16NS0_10empty_typeEEEZZNS1_29radix_sort_onesweep_iterationIS3_Lb0EPKS5_PS5_PS6_SC_mNS0_19identity_decomposerENS1_16block_id_wrapperIjLb1EEEEE10hipError_tT1_PNSt15iterator_traitsISH_E10value_typeET2_T3_PNSI_ISN_E10value_typeET4_T5_PSS_ST_PNS1_23onesweep_lookback_stateEbbT6_jjT7_P12ihipStream_tbENKUlT_T0_SH_SM_E_clISA_SB_SC_SC_EEDaS10_S11_SH_SM_EUlS10_E_NS1_11comp_targetILNS1_3genE3ELNS1_11target_archE908ELNS1_3gpuE7ELNS1_3repE0EEENS1_47radix_sort_onesweep_sort_config_static_selectorELNS0_4arch9wavefront6targetE0EEEvSH_.uses_vcc, 0
	.set _ZN7rocprim17ROCPRIM_400000_NS6detail17trampoline_kernelINS0_14default_configENS1_35radix_sort_onesweep_config_selectorI12hip_bfloat16NS0_10empty_typeEEEZZNS1_29radix_sort_onesweep_iterationIS3_Lb0EPKS5_PS5_PS6_SC_mNS0_19identity_decomposerENS1_16block_id_wrapperIjLb1EEEEE10hipError_tT1_PNSt15iterator_traitsISH_E10value_typeET2_T3_PNSI_ISN_E10value_typeET4_T5_PSS_ST_PNS1_23onesweep_lookback_stateEbbT6_jjT7_P12ihipStream_tbENKUlT_T0_SH_SM_E_clISA_SB_SC_SC_EEDaS10_S11_SH_SM_EUlS10_E_NS1_11comp_targetILNS1_3genE3ELNS1_11target_archE908ELNS1_3gpuE7ELNS1_3repE0EEENS1_47radix_sort_onesweep_sort_config_static_selectorELNS0_4arch9wavefront6targetE0EEEvSH_.uses_flat_scratch, 0
	.set _ZN7rocprim17ROCPRIM_400000_NS6detail17trampoline_kernelINS0_14default_configENS1_35radix_sort_onesweep_config_selectorI12hip_bfloat16NS0_10empty_typeEEEZZNS1_29radix_sort_onesweep_iterationIS3_Lb0EPKS5_PS5_PS6_SC_mNS0_19identity_decomposerENS1_16block_id_wrapperIjLb1EEEEE10hipError_tT1_PNSt15iterator_traitsISH_E10value_typeET2_T3_PNSI_ISN_E10value_typeET4_T5_PSS_ST_PNS1_23onesweep_lookback_stateEbbT6_jjT7_P12ihipStream_tbENKUlT_T0_SH_SM_E_clISA_SB_SC_SC_EEDaS10_S11_SH_SM_EUlS10_E_NS1_11comp_targetILNS1_3genE3ELNS1_11target_archE908ELNS1_3gpuE7ELNS1_3repE0EEENS1_47radix_sort_onesweep_sort_config_static_selectorELNS0_4arch9wavefront6targetE0EEEvSH_.has_dyn_sized_stack, 0
	.set _ZN7rocprim17ROCPRIM_400000_NS6detail17trampoline_kernelINS0_14default_configENS1_35radix_sort_onesweep_config_selectorI12hip_bfloat16NS0_10empty_typeEEEZZNS1_29radix_sort_onesweep_iterationIS3_Lb0EPKS5_PS5_PS6_SC_mNS0_19identity_decomposerENS1_16block_id_wrapperIjLb1EEEEE10hipError_tT1_PNSt15iterator_traitsISH_E10value_typeET2_T3_PNSI_ISN_E10value_typeET4_T5_PSS_ST_PNS1_23onesweep_lookback_stateEbbT6_jjT7_P12ihipStream_tbENKUlT_T0_SH_SM_E_clISA_SB_SC_SC_EEDaS10_S11_SH_SM_EUlS10_E_NS1_11comp_targetILNS1_3genE3ELNS1_11target_archE908ELNS1_3gpuE7ELNS1_3repE0EEENS1_47radix_sort_onesweep_sort_config_static_selectorELNS0_4arch9wavefront6targetE0EEEvSH_.has_recursion, 0
	.set _ZN7rocprim17ROCPRIM_400000_NS6detail17trampoline_kernelINS0_14default_configENS1_35radix_sort_onesweep_config_selectorI12hip_bfloat16NS0_10empty_typeEEEZZNS1_29radix_sort_onesweep_iterationIS3_Lb0EPKS5_PS5_PS6_SC_mNS0_19identity_decomposerENS1_16block_id_wrapperIjLb1EEEEE10hipError_tT1_PNSt15iterator_traitsISH_E10value_typeET2_T3_PNSI_ISN_E10value_typeET4_T5_PSS_ST_PNS1_23onesweep_lookback_stateEbbT6_jjT7_P12ihipStream_tbENKUlT_T0_SH_SM_E_clISA_SB_SC_SC_EEDaS10_S11_SH_SM_EUlS10_E_NS1_11comp_targetILNS1_3genE3ELNS1_11target_archE908ELNS1_3gpuE7ELNS1_3repE0EEENS1_47radix_sort_onesweep_sort_config_static_selectorELNS0_4arch9wavefront6targetE0EEEvSH_.has_indirect_call, 0
	.section	.AMDGPU.csdata,"",@progbits
; Kernel info:
; codeLenInByte = 0
; TotalNumSgprs: 0
; NumVgprs: 0
; ScratchSize: 0
; MemoryBound: 0
; FloatMode: 240
; IeeeMode: 1
; LDSByteSize: 0 bytes/workgroup (compile time only)
; SGPRBlocks: 0
; VGPRBlocks: 0
; NumSGPRsForWavesPerEU: 1
; NumVGPRsForWavesPerEU: 1
; NamedBarCnt: 0
; Occupancy: 16
; WaveLimiterHint : 0
; COMPUTE_PGM_RSRC2:SCRATCH_EN: 0
; COMPUTE_PGM_RSRC2:USER_SGPR: 2
; COMPUTE_PGM_RSRC2:TRAP_HANDLER: 0
; COMPUTE_PGM_RSRC2:TGID_X_EN: 1
; COMPUTE_PGM_RSRC2:TGID_Y_EN: 0
; COMPUTE_PGM_RSRC2:TGID_Z_EN: 0
; COMPUTE_PGM_RSRC2:TIDIG_COMP_CNT: 0
	.section	.text._ZN7rocprim17ROCPRIM_400000_NS6detail17trampoline_kernelINS0_14default_configENS1_35radix_sort_onesweep_config_selectorI12hip_bfloat16NS0_10empty_typeEEEZZNS1_29radix_sort_onesweep_iterationIS3_Lb0EPKS5_PS5_PS6_SC_mNS0_19identity_decomposerENS1_16block_id_wrapperIjLb1EEEEE10hipError_tT1_PNSt15iterator_traitsISH_E10value_typeET2_T3_PNSI_ISN_E10value_typeET4_T5_PSS_ST_PNS1_23onesweep_lookback_stateEbbT6_jjT7_P12ihipStream_tbENKUlT_T0_SH_SM_E_clISA_SB_SC_SC_EEDaS10_S11_SH_SM_EUlS10_E_NS1_11comp_targetILNS1_3genE10ELNS1_11target_archE1201ELNS1_3gpuE5ELNS1_3repE0EEENS1_47radix_sort_onesweep_sort_config_static_selectorELNS0_4arch9wavefront6targetE0EEEvSH_,"axG",@progbits,_ZN7rocprim17ROCPRIM_400000_NS6detail17trampoline_kernelINS0_14default_configENS1_35radix_sort_onesweep_config_selectorI12hip_bfloat16NS0_10empty_typeEEEZZNS1_29radix_sort_onesweep_iterationIS3_Lb0EPKS5_PS5_PS6_SC_mNS0_19identity_decomposerENS1_16block_id_wrapperIjLb1EEEEE10hipError_tT1_PNSt15iterator_traitsISH_E10value_typeET2_T3_PNSI_ISN_E10value_typeET4_T5_PSS_ST_PNS1_23onesweep_lookback_stateEbbT6_jjT7_P12ihipStream_tbENKUlT_T0_SH_SM_E_clISA_SB_SC_SC_EEDaS10_S11_SH_SM_EUlS10_E_NS1_11comp_targetILNS1_3genE10ELNS1_11target_archE1201ELNS1_3gpuE5ELNS1_3repE0EEENS1_47radix_sort_onesweep_sort_config_static_selectorELNS0_4arch9wavefront6targetE0EEEvSH_,comdat
	.protected	_ZN7rocprim17ROCPRIM_400000_NS6detail17trampoline_kernelINS0_14default_configENS1_35radix_sort_onesweep_config_selectorI12hip_bfloat16NS0_10empty_typeEEEZZNS1_29radix_sort_onesweep_iterationIS3_Lb0EPKS5_PS5_PS6_SC_mNS0_19identity_decomposerENS1_16block_id_wrapperIjLb1EEEEE10hipError_tT1_PNSt15iterator_traitsISH_E10value_typeET2_T3_PNSI_ISN_E10value_typeET4_T5_PSS_ST_PNS1_23onesweep_lookback_stateEbbT6_jjT7_P12ihipStream_tbENKUlT_T0_SH_SM_E_clISA_SB_SC_SC_EEDaS10_S11_SH_SM_EUlS10_E_NS1_11comp_targetILNS1_3genE10ELNS1_11target_archE1201ELNS1_3gpuE5ELNS1_3repE0EEENS1_47radix_sort_onesweep_sort_config_static_selectorELNS0_4arch9wavefront6targetE0EEEvSH_ ; -- Begin function _ZN7rocprim17ROCPRIM_400000_NS6detail17trampoline_kernelINS0_14default_configENS1_35radix_sort_onesweep_config_selectorI12hip_bfloat16NS0_10empty_typeEEEZZNS1_29radix_sort_onesweep_iterationIS3_Lb0EPKS5_PS5_PS6_SC_mNS0_19identity_decomposerENS1_16block_id_wrapperIjLb1EEEEE10hipError_tT1_PNSt15iterator_traitsISH_E10value_typeET2_T3_PNSI_ISN_E10value_typeET4_T5_PSS_ST_PNS1_23onesweep_lookback_stateEbbT6_jjT7_P12ihipStream_tbENKUlT_T0_SH_SM_E_clISA_SB_SC_SC_EEDaS10_S11_SH_SM_EUlS10_E_NS1_11comp_targetILNS1_3genE10ELNS1_11target_archE1201ELNS1_3gpuE5ELNS1_3repE0EEENS1_47radix_sort_onesweep_sort_config_static_selectorELNS0_4arch9wavefront6targetE0EEEvSH_
	.globl	_ZN7rocprim17ROCPRIM_400000_NS6detail17trampoline_kernelINS0_14default_configENS1_35radix_sort_onesweep_config_selectorI12hip_bfloat16NS0_10empty_typeEEEZZNS1_29radix_sort_onesweep_iterationIS3_Lb0EPKS5_PS5_PS6_SC_mNS0_19identity_decomposerENS1_16block_id_wrapperIjLb1EEEEE10hipError_tT1_PNSt15iterator_traitsISH_E10value_typeET2_T3_PNSI_ISN_E10value_typeET4_T5_PSS_ST_PNS1_23onesweep_lookback_stateEbbT6_jjT7_P12ihipStream_tbENKUlT_T0_SH_SM_E_clISA_SB_SC_SC_EEDaS10_S11_SH_SM_EUlS10_E_NS1_11comp_targetILNS1_3genE10ELNS1_11target_archE1201ELNS1_3gpuE5ELNS1_3repE0EEENS1_47radix_sort_onesweep_sort_config_static_selectorELNS0_4arch9wavefront6targetE0EEEvSH_
	.p2align	8
	.type	_ZN7rocprim17ROCPRIM_400000_NS6detail17trampoline_kernelINS0_14default_configENS1_35radix_sort_onesweep_config_selectorI12hip_bfloat16NS0_10empty_typeEEEZZNS1_29radix_sort_onesweep_iterationIS3_Lb0EPKS5_PS5_PS6_SC_mNS0_19identity_decomposerENS1_16block_id_wrapperIjLb1EEEEE10hipError_tT1_PNSt15iterator_traitsISH_E10value_typeET2_T3_PNSI_ISN_E10value_typeET4_T5_PSS_ST_PNS1_23onesweep_lookback_stateEbbT6_jjT7_P12ihipStream_tbENKUlT_T0_SH_SM_E_clISA_SB_SC_SC_EEDaS10_S11_SH_SM_EUlS10_E_NS1_11comp_targetILNS1_3genE10ELNS1_11target_archE1201ELNS1_3gpuE5ELNS1_3repE0EEENS1_47radix_sort_onesweep_sort_config_static_selectorELNS0_4arch9wavefront6targetE0EEEvSH_,@function
_ZN7rocprim17ROCPRIM_400000_NS6detail17trampoline_kernelINS0_14default_configENS1_35radix_sort_onesweep_config_selectorI12hip_bfloat16NS0_10empty_typeEEEZZNS1_29radix_sort_onesweep_iterationIS3_Lb0EPKS5_PS5_PS6_SC_mNS0_19identity_decomposerENS1_16block_id_wrapperIjLb1EEEEE10hipError_tT1_PNSt15iterator_traitsISH_E10value_typeET2_T3_PNSI_ISN_E10value_typeET4_T5_PSS_ST_PNS1_23onesweep_lookback_stateEbbT6_jjT7_P12ihipStream_tbENKUlT_T0_SH_SM_E_clISA_SB_SC_SC_EEDaS10_S11_SH_SM_EUlS10_E_NS1_11comp_targetILNS1_3genE10ELNS1_11target_archE1201ELNS1_3gpuE5ELNS1_3repE0EEENS1_47radix_sort_onesweep_sort_config_static_selectorELNS0_4arch9wavefront6targetE0EEEvSH_: ; @_ZN7rocprim17ROCPRIM_400000_NS6detail17trampoline_kernelINS0_14default_configENS1_35radix_sort_onesweep_config_selectorI12hip_bfloat16NS0_10empty_typeEEEZZNS1_29radix_sort_onesweep_iterationIS3_Lb0EPKS5_PS5_PS6_SC_mNS0_19identity_decomposerENS1_16block_id_wrapperIjLb1EEEEE10hipError_tT1_PNSt15iterator_traitsISH_E10value_typeET2_T3_PNSI_ISN_E10value_typeET4_T5_PSS_ST_PNS1_23onesweep_lookback_stateEbbT6_jjT7_P12ihipStream_tbENKUlT_T0_SH_SM_E_clISA_SB_SC_SC_EEDaS10_S11_SH_SM_EUlS10_E_NS1_11comp_targetILNS1_3genE10ELNS1_11target_archE1201ELNS1_3gpuE5ELNS1_3repE0EEENS1_47radix_sort_onesweep_sort_config_static_selectorELNS0_4arch9wavefront6targetE0EEEvSH_
; %bb.0:
	.section	.rodata,"a",@progbits
	.p2align	6, 0x0
	.amdhsa_kernel _ZN7rocprim17ROCPRIM_400000_NS6detail17trampoline_kernelINS0_14default_configENS1_35radix_sort_onesweep_config_selectorI12hip_bfloat16NS0_10empty_typeEEEZZNS1_29radix_sort_onesweep_iterationIS3_Lb0EPKS5_PS5_PS6_SC_mNS0_19identity_decomposerENS1_16block_id_wrapperIjLb1EEEEE10hipError_tT1_PNSt15iterator_traitsISH_E10value_typeET2_T3_PNSI_ISN_E10value_typeET4_T5_PSS_ST_PNS1_23onesweep_lookback_stateEbbT6_jjT7_P12ihipStream_tbENKUlT_T0_SH_SM_E_clISA_SB_SC_SC_EEDaS10_S11_SH_SM_EUlS10_E_NS1_11comp_targetILNS1_3genE10ELNS1_11target_archE1201ELNS1_3gpuE5ELNS1_3repE0EEENS1_47radix_sort_onesweep_sort_config_static_selectorELNS0_4arch9wavefront6targetE0EEEvSH_
		.amdhsa_group_segment_fixed_size 0
		.amdhsa_private_segment_fixed_size 0
		.amdhsa_kernarg_size 88
		.amdhsa_user_sgpr_count 2
		.amdhsa_user_sgpr_dispatch_ptr 0
		.amdhsa_user_sgpr_queue_ptr 0
		.amdhsa_user_sgpr_kernarg_segment_ptr 1
		.amdhsa_user_sgpr_dispatch_id 0
		.amdhsa_user_sgpr_kernarg_preload_length 0
		.amdhsa_user_sgpr_kernarg_preload_offset 0
		.amdhsa_user_sgpr_private_segment_size 0
		.amdhsa_wavefront_size32 1
		.amdhsa_uses_dynamic_stack 0
		.amdhsa_enable_private_segment 0
		.amdhsa_system_sgpr_workgroup_id_x 1
		.amdhsa_system_sgpr_workgroup_id_y 0
		.amdhsa_system_sgpr_workgroup_id_z 0
		.amdhsa_system_sgpr_workgroup_info 0
		.amdhsa_system_vgpr_workitem_id 0
		.amdhsa_next_free_vgpr 1
		.amdhsa_next_free_sgpr 1
		.amdhsa_named_barrier_count 0
		.amdhsa_reserve_vcc 0
		.amdhsa_float_round_mode_32 0
		.amdhsa_float_round_mode_16_64 0
		.amdhsa_float_denorm_mode_32 3
		.amdhsa_float_denorm_mode_16_64 3
		.amdhsa_fp16_overflow 0
		.amdhsa_memory_ordered 1
		.amdhsa_forward_progress 1
		.amdhsa_inst_pref_size 0
		.amdhsa_round_robin_scheduling 0
		.amdhsa_exception_fp_ieee_invalid_op 0
		.amdhsa_exception_fp_denorm_src 0
		.amdhsa_exception_fp_ieee_div_zero 0
		.amdhsa_exception_fp_ieee_overflow 0
		.amdhsa_exception_fp_ieee_underflow 0
		.amdhsa_exception_fp_ieee_inexact 0
		.amdhsa_exception_int_div_zero 0
	.end_amdhsa_kernel
	.section	.text._ZN7rocprim17ROCPRIM_400000_NS6detail17trampoline_kernelINS0_14default_configENS1_35radix_sort_onesweep_config_selectorI12hip_bfloat16NS0_10empty_typeEEEZZNS1_29radix_sort_onesweep_iterationIS3_Lb0EPKS5_PS5_PS6_SC_mNS0_19identity_decomposerENS1_16block_id_wrapperIjLb1EEEEE10hipError_tT1_PNSt15iterator_traitsISH_E10value_typeET2_T3_PNSI_ISN_E10value_typeET4_T5_PSS_ST_PNS1_23onesweep_lookback_stateEbbT6_jjT7_P12ihipStream_tbENKUlT_T0_SH_SM_E_clISA_SB_SC_SC_EEDaS10_S11_SH_SM_EUlS10_E_NS1_11comp_targetILNS1_3genE10ELNS1_11target_archE1201ELNS1_3gpuE5ELNS1_3repE0EEENS1_47radix_sort_onesweep_sort_config_static_selectorELNS0_4arch9wavefront6targetE0EEEvSH_,"axG",@progbits,_ZN7rocprim17ROCPRIM_400000_NS6detail17trampoline_kernelINS0_14default_configENS1_35radix_sort_onesweep_config_selectorI12hip_bfloat16NS0_10empty_typeEEEZZNS1_29radix_sort_onesweep_iterationIS3_Lb0EPKS5_PS5_PS6_SC_mNS0_19identity_decomposerENS1_16block_id_wrapperIjLb1EEEEE10hipError_tT1_PNSt15iterator_traitsISH_E10value_typeET2_T3_PNSI_ISN_E10value_typeET4_T5_PSS_ST_PNS1_23onesweep_lookback_stateEbbT6_jjT7_P12ihipStream_tbENKUlT_T0_SH_SM_E_clISA_SB_SC_SC_EEDaS10_S11_SH_SM_EUlS10_E_NS1_11comp_targetILNS1_3genE10ELNS1_11target_archE1201ELNS1_3gpuE5ELNS1_3repE0EEENS1_47radix_sort_onesweep_sort_config_static_selectorELNS0_4arch9wavefront6targetE0EEEvSH_,comdat
.Lfunc_end2057:
	.size	_ZN7rocprim17ROCPRIM_400000_NS6detail17trampoline_kernelINS0_14default_configENS1_35radix_sort_onesweep_config_selectorI12hip_bfloat16NS0_10empty_typeEEEZZNS1_29radix_sort_onesweep_iterationIS3_Lb0EPKS5_PS5_PS6_SC_mNS0_19identity_decomposerENS1_16block_id_wrapperIjLb1EEEEE10hipError_tT1_PNSt15iterator_traitsISH_E10value_typeET2_T3_PNSI_ISN_E10value_typeET4_T5_PSS_ST_PNS1_23onesweep_lookback_stateEbbT6_jjT7_P12ihipStream_tbENKUlT_T0_SH_SM_E_clISA_SB_SC_SC_EEDaS10_S11_SH_SM_EUlS10_E_NS1_11comp_targetILNS1_3genE10ELNS1_11target_archE1201ELNS1_3gpuE5ELNS1_3repE0EEENS1_47radix_sort_onesweep_sort_config_static_selectorELNS0_4arch9wavefront6targetE0EEEvSH_, .Lfunc_end2057-_ZN7rocprim17ROCPRIM_400000_NS6detail17trampoline_kernelINS0_14default_configENS1_35radix_sort_onesweep_config_selectorI12hip_bfloat16NS0_10empty_typeEEEZZNS1_29radix_sort_onesweep_iterationIS3_Lb0EPKS5_PS5_PS6_SC_mNS0_19identity_decomposerENS1_16block_id_wrapperIjLb1EEEEE10hipError_tT1_PNSt15iterator_traitsISH_E10value_typeET2_T3_PNSI_ISN_E10value_typeET4_T5_PSS_ST_PNS1_23onesweep_lookback_stateEbbT6_jjT7_P12ihipStream_tbENKUlT_T0_SH_SM_E_clISA_SB_SC_SC_EEDaS10_S11_SH_SM_EUlS10_E_NS1_11comp_targetILNS1_3genE10ELNS1_11target_archE1201ELNS1_3gpuE5ELNS1_3repE0EEENS1_47radix_sort_onesweep_sort_config_static_selectorELNS0_4arch9wavefront6targetE0EEEvSH_
                                        ; -- End function
	.set _ZN7rocprim17ROCPRIM_400000_NS6detail17trampoline_kernelINS0_14default_configENS1_35radix_sort_onesweep_config_selectorI12hip_bfloat16NS0_10empty_typeEEEZZNS1_29radix_sort_onesweep_iterationIS3_Lb0EPKS5_PS5_PS6_SC_mNS0_19identity_decomposerENS1_16block_id_wrapperIjLb1EEEEE10hipError_tT1_PNSt15iterator_traitsISH_E10value_typeET2_T3_PNSI_ISN_E10value_typeET4_T5_PSS_ST_PNS1_23onesweep_lookback_stateEbbT6_jjT7_P12ihipStream_tbENKUlT_T0_SH_SM_E_clISA_SB_SC_SC_EEDaS10_S11_SH_SM_EUlS10_E_NS1_11comp_targetILNS1_3genE10ELNS1_11target_archE1201ELNS1_3gpuE5ELNS1_3repE0EEENS1_47radix_sort_onesweep_sort_config_static_selectorELNS0_4arch9wavefront6targetE0EEEvSH_.num_vgpr, 0
	.set _ZN7rocprim17ROCPRIM_400000_NS6detail17trampoline_kernelINS0_14default_configENS1_35radix_sort_onesweep_config_selectorI12hip_bfloat16NS0_10empty_typeEEEZZNS1_29radix_sort_onesweep_iterationIS3_Lb0EPKS5_PS5_PS6_SC_mNS0_19identity_decomposerENS1_16block_id_wrapperIjLb1EEEEE10hipError_tT1_PNSt15iterator_traitsISH_E10value_typeET2_T3_PNSI_ISN_E10value_typeET4_T5_PSS_ST_PNS1_23onesweep_lookback_stateEbbT6_jjT7_P12ihipStream_tbENKUlT_T0_SH_SM_E_clISA_SB_SC_SC_EEDaS10_S11_SH_SM_EUlS10_E_NS1_11comp_targetILNS1_3genE10ELNS1_11target_archE1201ELNS1_3gpuE5ELNS1_3repE0EEENS1_47radix_sort_onesweep_sort_config_static_selectorELNS0_4arch9wavefront6targetE0EEEvSH_.num_agpr, 0
	.set _ZN7rocprim17ROCPRIM_400000_NS6detail17trampoline_kernelINS0_14default_configENS1_35radix_sort_onesweep_config_selectorI12hip_bfloat16NS0_10empty_typeEEEZZNS1_29radix_sort_onesweep_iterationIS3_Lb0EPKS5_PS5_PS6_SC_mNS0_19identity_decomposerENS1_16block_id_wrapperIjLb1EEEEE10hipError_tT1_PNSt15iterator_traitsISH_E10value_typeET2_T3_PNSI_ISN_E10value_typeET4_T5_PSS_ST_PNS1_23onesweep_lookback_stateEbbT6_jjT7_P12ihipStream_tbENKUlT_T0_SH_SM_E_clISA_SB_SC_SC_EEDaS10_S11_SH_SM_EUlS10_E_NS1_11comp_targetILNS1_3genE10ELNS1_11target_archE1201ELNS1_3gpuE5ELNS1_3repE0EEENS1_47radix_sort_onesweep_sort_config_static_selectorELNS0_4arch9wavefront6targetE0EEEvSH_.numbered_sgpr, 0
	.set _ZN7rocprim17ROCPRIM_400000_NS6detail17trampoline_kernelINS0_14default_configENS1_35radix_sort_onesweep_config_selectorI12hip_bfloat16NS0_10empty_typeEEEZZNS1_29radix_sort_onesweep_iterationIS3_Lb0EPKS5_PS5_PS6_SC_mNS0_19identity_decomposerENS1_16block_id_wrapperIjLb1EEEEE10hipError_tT1_PNSt15iterator_traitsISH_E10value_typeET2_T3_PNSI_ISN_E10value_typeET4_T5_PSS_ST_PNS1_23onesweep_lookback_stateEbbT6_jjT7_P12ihipStream_tbENKUlT_T0_SH_SM_E_clISA_SB_SC_SC_EEDaS10_S11_SH_SM_EUlS10_E_NS1_11comp_targetILNS1_3genE10ELNS1_11target_archE1201ELNS1_3gpuE5ELNS1_3repE0EEENS1_47radix_sort_onesweep_sort_config_static_selectorELNS0_4arch9wavefront6targetE0EEEvSH_.num_named_barrier, 0
	.set _ZN7rocprim17ROCPRIM_400000_NS6detail17trampoline_kernelINS0_14default_configENS1_35radix_sort_onesweep_config_selectorI12hip_bfloat16NS0_10empty_typeEEEZZNS1_29radix_sort_onesweep_iterationIS3_Lb0EPKS5_PS5_PS6_SC_mNS0_19identity_decomposerENS1_16block_id_wrapperIjLb1EEEEE10hipError_tT1_PNSt15iterator_traitsISH_E10value_typeET2_T3_PNSI_ISN_E10value_typeET4_T5_PSS_ST_PNS1_23onesweep_lookback_stateEbbT6_jjT7_P12ihipStream_tbENKUlT_T0_SH_SM_E_clISA_SB_SC_SC_EEDaS10_S11_SH_SM_EUlS10_E_NS1_11comp_targetILNS1_3genE10ELNS1_11target_archE1201ELNS1_3gpuE5ELNS1_3repE0EEENS1_47radix_sort_onesweep_sort_config_static_selectorELNS0_4arch9wavefront6targetE0EEEvSH_.private_seg_size, 0
	.set _ZN7rocprim17ROCPRIM_400000_NS6detail17trampoline_kernelINS0_14default_configENS1_35radix_sort_onesweep_config_selectorI12hip_bfloat16NS0_10empty_typeEEEZZNS1_29radix_sort_onesweep_iterationIS3_Lb0EPKS5_PS5_PS6_SC_mNS0_19identity_decomposerENS1_16block_id_wrapperIjLb1EEEEE10hipError_tT1_PNSt15iterator_traitsISH_E10value_typeET2_T3_PNSI_ISN_E10value_typeET4_T5_PSS_ST_PNS1_23onesweep_lookback_stateEbbT6_jjT7_P12ihipStream_tbENKUlT_T0_SH_SM_E_clISA_SB_SC_SC_EEDaS10_S11_SH_SM_EUlS10_E_NS1_11comp_targetILNS1_3genE10ELNS1_11target_archE1201ELNS1_3gpuE5ELNS1_3repE0EEENS1_47radix_sort_onesweep_sort_config_static_selectorELNS0_4arch9wavefront6targetE0EEEvSH_.uses_vcc, 0
	.set _ZN7rocprim17ROCPRIM_400000_NS6detail17trampoline_kernelINS0_14default_configENS1_35radix_sort_onesweep_config_selectorI12hip_bfloat16NS0_10empty_typeEEEZZNS1_29radix_sort_onesweep_iterationIS3_Lb0EPKS5_PS5_PS6_SC_mNS0_19identity_decomposerENS1_16block_id_wrapperIjLb1EEEEE10hipError_tT1_PNSt15iterator_traitsISH_E10value_typeET2_T3_PNSI_ISN_E10value_typeET4_T5_PSS_ST_PNS1_23onesweep_lookback_stateEbbT6_jjT7_P12ihipStream_tbENKUlT_T0_SH_SM_E_clISA_SB_SC_SC_EEDaS10_S11_SH_SM_EUlS10_E_NS1_11comp_targetILNS1_3genE10ELNS1_11target_archE1201ELNS1_3gpuE5ELNS1_3repE0EEENS1_47radix_sort_onesweep_sort_config_static_selectorELNS0_4arch9wavefront6targetE0EEEvSH_.uses_flat_scratch, 0
	.set _ZN7rocprim17ROCPRIM_400000_NS6detail17trampoline_kernelINS0_14default_configENS1_35radix_sort_onesweep_config_selectorI12hip_bfloat16NS0_10empty_typeEEEZZNS1_29radix_sort_onesweep_iterationIS3_Lb0EPKS5_PS5_PS6_SC_mNS0_19identity_decomposerENS1_16block_id_wrapperIjLb1EEEEE10hipError_tT1_PNSt15iterator_traitsISH_E10value_typeET2_T3_PNSI_ISN_E10value_typeET4_T5_PSS_ST_PNS1_23onesweep_lookback_stateEbbT6_jjT7_P12ihipStream_tbENKUlT_T0_SH_SM_E_clISA_SB_SC_SC_EEDaS10_S11_SH_SM_EUlS10_E_NS1_11comp_targetILNS1_3genE10ELNS1_11target_archE1201ELNS1_3gpuE5ELNS1_3repE0EEENS1_47radix_sort_onesweep_sort_config_static_selectorELNS0_4arch9wavefront6targetE0EEEvSH_.has_dyn_sized_stack, 0
	.set _ZN7rocprim17ROCPRIM_400000_NS6detail17trampoline_kernelINS0_14default_configENS1_35radix_sort_onesweep_config_selectorI12hip_bfloat16NS0_10empty_typeEEEZZNS1_29radix_sort_onesweep_iterationIS3_Lb0EPKS5_PS5_PS6_SC_mNS0_19identity_decomposerENS1_16block_id_wrapperIjLb1EEEEE10hipError_tT1_PNSt15iterator_traitsISH_E10value_typeET2_T3_PNSI_ISN_E10value_typeET4_T5_PSS_ST_PNS1_23onesweep_lookback_stateEbbT6_jjT7_P12ihipStream_tbENKUlT_T0_SH_SM_E_clISA_SB_SC_SC_EEDaS10_S11_SH_SM_EUlS10_E_NS1_11comp_targetILNS1_3genE10ELNS1_11target_archE1201ELNS1_3gpuE5ELNS1_3repE0EEENS1_47radix_sort_onesweep_sort_config_static_selectorELNS0_4arch9wavefront6targetE0EEEvSH_.has_recursion, 0
	.set _ZN7rocprim17ROCPRIM_400000_NS6detail17trampoline_kernelINS0_14default_configENS1_35radix_sort_onesweep_config_selectorI12hip_bfloat16NS0_10empty_typeEEEZZNS1_29radix_sort_onesweep_iterationIS3_Lb0EPKS5_PS5_PS6_SC_mNS0_19identity_decomposerENS1_16block_id_wrapperIjLb1EEEEE10hipError_tT1_PNSt15iterator_traitsISH_E10value_typeET2_T3_PNSI_ISN_E10value_typeET4_T5_PSS_ST_PNS1_23onesweep_lookback_stateEbbT6_jjT7_P12ihipStream_tbENKUlT_T0_SH_SM_E_clISA_SB_SC_SC_EEDaS10_S11_SH_SM_EUlS10_E_NS1_11comp_targetILNS1_3genE10ELNS1_11target_archE1201ELNS1_3gpuE5ELNS1_3repE0EEENS1_47radix_sort_onesweep_sort_config_static_selectorELNS0_4arch9wavefront6targetE0EEEvSH_.has_indirect_call, 0
	.section	.AMDGPU.csdata,"",@progbits
; Kernel info:
; codeLenInByte = 0
; TotalNumSgprs: 0
; NumVgprs: 0
; ScratchSize: 0
; MemoryBound: 0
; FloatMode: 240
; IeeeMode: 1
; LDSByteSize: 0 bytes/workgroup (compile time only)
; SGPRBlocks: 0
; VGPRBlocks: 0
; NumSGPRsForWavesPerEU: 1
; NumVGPRsForWavesPerEU: 1
; NamedBarCnt: 0
; Occupancy: 16
; WaveLimiterHint : 0
; COMPUTE_PGM_RSRC2:SCRATCH_EN: 0
; COMPUTE_PGM_RSRC2:USER_SGPR: 2
; COMPUTE_PGM_RSRC2:TRAP_HANDLER: 0
; COMPUTE_PGM_RSRC2:TGID_X_EN: 1
; COMPUTE_PGM_RSRC2:TGID_Y_EN: 0
; COMPUTE_PGM_RSRC2:TGID_Z_EN: 0
; COMPUTE_PGM_RSRC2:TIDIG_COMP_CNT: 0
	.section	.text._ZN7rocprim17ROCPRIM_400000_NS6detail17trampoline_kernelINS0_14default_configENS1_35radix_sort_onesweep_config_selectorI12hip_bfloat16NS0_10empty_typeEEEZZNS1_29radix_sort_onesweep_iterationIS3_Lb0EPKS5_PS5_PS6_SC_mNS0_19identity_decomposerENS1_16block_id_wrapperIjLb1EEEEE10hipError_tT1_PNSt15iterator_traitsISH_E10value_typeET2_T3_PNSI_ISN_E10value_typeET4_T5_PSS_ST_PNS1_23onesweep_lookback_stateEbbT6_jjT7_P12ihipStream_tbENKUlT_T0_SH_SM_E_clISA_SB_SC_SC_EEDaS10_S11_SH_SM_EUlS10_E_NS1_11comp_targetILNS1_3genE9ELNS1_11target_archE1100ELNS1_3gpuE3ELNS1_3repE0EEENS1_47radix_sort_onesweep_sort_config_static_selectorELNS0_4arch9wavefront6targetE0EEEvSH_,"axG",@progbits,_ZN7rocprim17ROCPRIM_400000_NS6detail17trampoline_kernelINS0_14default_configENS1_35radix_sort_onesweep_config_selectorI12hip_bfloat16NS0_10empty_typeEEEZZNS1_29radix_sort_onesweep_iterationIS3_Lb0EPKS5_PS5_PS6_SC_mNS0_19identity_decomposerENS1_16block_id_wrapperIjLb1EEEEE10hipError_tT1_PNSt15iterator_traitsISH_E10value_typeET2_T3_PNSI_ISN_E10value_typeET4_T5_PSS_ST_PNS1_23onesweep_lookback_stateEbbT6_jjT7_P12ihipStream_tbENKUlT_T0_SH_SM_E_clISA_SB_SC_SC_EEDaS10_S11_SH_SM_EUlS10_E_NS1_11comp_targetILNS1_3genE9ELNS1_11target_archE1100ELNS1_3gpuE3ELNS1_3repE0EEENS1_47radix_sort_onesweep_sort_config_static_selectorELNS0_4arch9wavefront6targetE0EEEvSH_,comdat
	.protected	_ZN7rocprim17ROCPRIM_400000_NS6detail17trampoline_kernelINS0_14default_configENS1_35radix_sort_onesweep_config_selectorI12hip_bfloat16NS0_10empty_typeEEEZZNS1_29radix_sort_onesweep_iterationIS3_Lb0EPKS5_PS5_PS6_SC_mNS0_19identity_decomposerENS1_16block_id_wrapperIjLb1EEEEE10hipError_tT1_PNSt15iterator_traitsISH_E10value_typeET2_T3_PNSI_ISN_E10value_typeET4_T5_PSS_ST_PNS1_23onesweep_lookback_stateEbbT6_jjT7_P12ihipStream_tbENKUlT_T0_SH_SM_E_clISA_SB_SC_SC_EEDaS10_S11_SH_SM_EUlS10_E_NS1_11comp_targetILNS1_3genE9ELNS1_11target_archE1100ELNS1_3gpuE3ELNS1_3repE0EEENS1_47radix_sort_onesweep_sort_config_static_selectorELNS0_4arch9wavefront6targetE0EEEvSH_ ; -- Begin function _ZN7rocprim17ROCPRIM_400000_NS6detail17trampoline_kernelINS0_14default_configENS1_35radix_sort_onesweep_config_selectorI12hip_bfloat16NS0_10empty_typeEEEZZNS1_29radix_sort_onesweep_iterationIS3_Lb0EPKS5_PS5_PS6_SC_mNS0_19identity_decomposerENS1_16block_id_wrapperIjLb1EEEEE10hipError_tT1_PNSt15iterator_traitsISH_E10value_typeET2_T3_PNSI_ISN_E10value_typeET4_T5_PSS_ST_PNS1_23onesweep_lookback_stateEbbT6_jjT7_P12ihipStream_tbENKUlT_T0_SH_SM_E_clISA_SB_SC_SC_EEDaS10_S11_SH_SM_EUlS10_E_NS1_11comp_targetILNS1_3genE9ELNS1_11target_archE1100ELNS1_3gpuE3ELNS1_3repE0EEENS1_47radix_sort_onesweep_sort_config_static_selectorELNS0_4arch9wavefront6targetE0EEEvSH_
	.globl	_ZN7rocprim17ROCPRIM_400000_NS6detail17trampoline_kernelINS0_14default_configENS1_35radix_sort_onesweep_config_selectorI12hip_bfloat16NS0_10empty_typeEEEZZNS1_29radix_sort_onesweep_iterationIS3_Lb0EPKS5_PS5_PS6_SC_mNS0_19identity_decomposerENS1_16block_id_wrapperIjLb1EEEEE10hipError_tT1_PNSt15iterator_traitsISH_E10value_typeET2_T3_PNSI_ISN_E10value_typeET4_T5_PSS_ST_PNS1_23onesweep_lookback_stateEbbT6_jjT7_P12ihipStream_tbENKUlT_T0_SH_SM_E_clISA_SB_SC_SC_EEDaS10_S11_SH_SM_EUlS10_E_NS1_11comp_targetILNS1_3genE9ELNS1_11target_archE1100ELNS1_3gpuE3ELNS1_3repE0EEENS1_47radix_sort_onesweep_sort_config_static_selectorELNS0_4arch9wavefront6targetE0EEEvSH_
	.p2align	8
	.type	_ZN7rocprim17ROCPRIM_400000_NS6detail17trampoline_kernelINS0_14default_configENS1_35radix_sort_onesweep_config_selectorI12hip_bfloat16NS0_10empty_typeEEEZZNS1_29radix_sort_onesweep_iterationIS3_Lb0EPKS5_PS5_PS6_SC_mNS0_19identity_decomposerENS1_16block_id_wrapperIjLb1EEEEE10hipError_tT1_PNSt15iterator_traitsISH_E10value_typeET2_T3_PNSI_ISN_E10value_typeET4_T5_PSS_ST_PNS1_23onesweep_lookback_stateEbbT6_jjT7_P12ihipStream_tbENKUlT_T0_SH_SM_E_clISA_SB_SC_SC_EEDaS10_S11_SH_SM_EUlS10_E_NS1_11comp_targetILNS1_3genE9ELNS1_11target_archE1100ELNS1_3gpuE3ELNS1_3repE0EEENS1_47radix_sort_onesweep_sort_config_static_selectorELNS0_4arch9wavefront6targetE0EEEvSH_,@function
_ZN7rocprim17ROCPRIM_400000_NS6detail17trampoline_kernelINS0_14default_configENS1_35radix_sort_onesweep_config_selectorI12hip_bfloat16NS0_10empty_typeEEEZZNS1_29radix_sort_onesweep_iterationIS3_Lb0EPKS5_PS5_PS6_SC_mNS0_19identity_decomposerENS1_16block_id_wrapperIjLb1EEEEE10hipError_tT1_PNSt15iterator_traitsISH_E10value_typeET2_T3_PNSI_ISN_E10value_typeET4_T5_PSS_ST_PNS1_23onesweep_lookback_stateEbbT6_jjT7_P12ihipStream_tbENKUlT_T0_SH_SM_E_clISA_SB_SC_SC_EEDaS10_S11_SH_SM_EUlS10_E_NS1_11comp_targetILNS1_3genE9ELNS1_11target_archE1100ELNS1_3gpuE3ELNS1_3repE0EEENS1_47radix_sort_onesweep_sort_config_static_selectorELNS0_4arch9wavefront6targetE0EEEvSH_: ; @_ZN7rocprim17ROCPRIM_400000_NS6detail17trampoline_kernelINS0_14default_configENS1_35radix_sort_onesweep_config_selectorI12hip_bfloat16NS0_10empty_typeEEEZZNS1_29radix_sort_onesweep_iterationIS3_Lb0EPKS5_PS5_PS6_SC_mNS0_19identity_decomposerENS1_16block_id_wrapperIjLb1EEEEE10hipError_tT1_PNSt15iterator_traitsISH_E10value_typeET2_T3_PNSI_ISN_E10value_typeET4_T5_PSS_ST_PNS1_23onesweep_lookback_stateEbbT6_jjT7_P12ihipStream_tbENKUlT_T0_SH_SM_E_clISA_SB_SC_SC_EEDaS10_S11_SH_SM_EUlS10_E_NS1_11comp_targetILNS1_3genE9ELNS1_11target_archE1100ELNS1_3gpuE3ELNS1_3repE0EEENS1_47radix_sort_onesweep_sort_config_static_selectorELNS0_4arch9wavefront6targetE0EEEvSH_
; %bb.0:
	.section	.rodata,"a",@progbits
	.p2align	6, 0x0
	.amdhsa_kernel _ZN7rocprim17ROCPRIM_400000_NS6detail17trampoline_kernelINS0_14default_configENS1_35radix_sort_onesweep_config_selectorI12hip_bfloat16NS0_10empty_typeEEEZZNS1_29radix_sort_onesweep_iterationIS3_Lb0EPKS5_PS5_PS6_SC_mNS0_19identity_decomposerENS1_16block_id_wrapperIjLb1EEEEE10hipError_tT1_PNSt15iterator_traitsISH_E10value_typeET2_T3_PNSI_ISN_E10value_typeET4_T5_PSS_ST_PNS1_23onesweep_lookback_stateEbbT6_jjT7_P12ihipStream_tbENKUlT_T0_SH_SM_E_clISA_SB_SC_SC_EEDaS10_S11_SH_SM_EUlS10_E_NS1_11comp_targetILNS1_3genE9ELNS1_11target_archE1100ELNS1_3gpuE3ELNS1_3repE0EEENS1_47radix_sort_onesweep_sort_config_static_selectorELNS0_4arch9wavefront6targetE0EEEvSH_
		.amdhsa_group_segment_fixed_size 0
		.amdhsa_private_segment_fixed_size 0
		.amdhsa_kernarg_size 88
		.amdhsa_user_sgpr_count 2
		.amdhsa_user_sgpr_dispatch_ptr 0
		.amdhsa_user_sgpr_queue_ptr 0
		.amdhsa_user_sgpr_kernarg_segment_ptr 1
		.amdhsa_user_sgpr_dispatch_id 0
		.amdhsa_user_sgpr_kernarg_preload_length 0
		.amdhsa_user_sgpr_kernarg_preload_offset 0
		.amdhsa_user_sgpr_private_segment_size 0
		.amdhsa_wavefront_size32 1
		.amdhsa_uses_dynamic_stack 0
		.amdhsa_enable_private_segment 0
		.amdhsa_system_sgpr_workgroup_id_x 1
		.amdhsa_system_sgpr_workgroup_id_y 0
		.amdhsa_system_sgpr_workgroup_id_z 0
		.amdhsa_system_sgpr_workgroup_info 0
		.amdhsa_system_vgpr_workitem_id 0
		.amdhsa_next_free_vgpr 1
		.amdhsa_next_free_sgpr 1
		.amdhsa_named_barrier_count 0
		.amdhsa_reserve_vcc 0
		.amdhsa_float_round_mode_32 0
		.amdhsa_float_round_mode_16_64 0
		.amdhsa_float_denorm_mode_32 3
		.amdhsa_float_denorm_mode_16_64 3
		.amdhsa_fp16_overflow 0
		.amdhsa_memory_ordered 1
		.amdhsa_forward_progress 1
		.amdhsa_inst_pref_size 0
		.amdhsa_round_robin_scheduling 0
		.amdhsa_exception_fp_ieee_invalid_op 0
		.amdhsa_exception_fp_denorm_src 0
		.amdhsa_exception_fp_ieee_div_zero 0
		.amdhsa_exception_fp_ieee_overflow 0
		.amdhsa_exception_fp_ieee_underflow 0
		.amdhsa_exception_fp_ieee_inexact 0
		.amdhsa_exception_int_div_zero 0
	.end_amdhsa_kernel
	.section	.text._ZN7rocprim17ROCPRIM_400000_NS6detail17trampoline_kernelINS0_14default_configENS1_35radix_sort_onesweep_config_selectorI12hip_bfloat16NS0_10empty_typeEEEZZNS1_29radix_sort_onesweep_iterationIS3_Lb0EPKS5_PS5_PS6_SC_mNS0_19identity_decomposerENS1_16block_id_wrapperIjLb1EEEEE10hipError_tT1_PNSt15iterator_traitsISH_E10value_typeET2_T3_PNSI_ISN_E10value_typeET4_T5_PSS_ST_PNS1_23onesweep_lookback_stateEbbT6_jjT7_P12ihipStream_tbENKUlT_T0_SH_SM_E_clISA_SB_SC_SC_EEDaS10_S11_SH_SM_EUlS10_E_NS1_11comp_targetILNS1_3genE9ELNS1_11target_archE1100ELNS1_3gpuE3ELNS1_3repE0EEENS1_47radix_sort_onesweep_sort_config_static_selectorELNS0_4arch9wavefront6targetE0EEEvSH_,"axG",@progbits,_ZN7rocprim17ROCPRIM_400000_NS6detail17trampoline_kernelINS0_14default_configENS1_35radix_sort_onesweep_config_selectorI12hip_bfloat16NS0_10empty_typeEEEZZNS1_29radix_sort_onesweep_iterationIS3_Lb0EPKS5_PS5_PS6_SC_mNS0_19identity_decomposerENS1_16block_id_wrapperIjLb1EEEEE10hipError_tT1_PNSt15iterator_traitsISH_E10value_typeET2_T3_PNSI_ISN_E10value_typeET4_T5_PSS_ST_PNS1_23onesweep_lookback_stateEbbT6_jjT7_P12ihipStream_tbENKUlT_T0_SH_SM_E_clISA_SB_SC_SC_EEDaS10_S11_SH_SM_EUlS10_E_NS1_11comp_targetILNS1_3genE9ELNS1_11target_archE1100ELNS1_3gpuE3ELNS1_3repE0EEENS1_47radix_sort_onesweep_sort_config_static_selectorELNS0_4arch9wavefront6targetE0EEEvSH_,comdat
.Lfunc_end2058:
	.size	_ZN7rocprim17ROCPRIM_400000_NS6detail17trampoline_kernelINS0_14default_configENS1_35radix_sort_onesweep_config_selectorI12hip_bfloat16NS0_10empty_typeEEEZZNS1_29radix_sort_onesweep_iterationIS3_Lb0EPKS5_PS5_PS6_SC_mNS0_19identity_decomposerENS1_16block_id_wrapperIjLb1EEEEE10hipError_tT1_PNSt15iterator_traitsISH_E10value_typeET2_T3_PNSI_ISN_E10value_typeET4_T5_PSS_ST_PNS1_23onesweep_lookback_stateEbbT6_jjT7_P12ihipStream_tbENKUlT_T0_SH_SM_E_clISA_SB_SC_SC_EEDaS10_S11_SH_SM_EUlS10_E_NS1_11comp_targetILNS1_3genE9ELNS1_11target_archE1100ELNS1_3gpuE3ELNS1_3repE0EEENS1_47radix_sort_onesweep_sort_config_static_selectorELNS0_4arch9wavefront6targetE0EEEvSH_, .Lfunc_end2058-_ZN7rocprim17ROCPRIM_400000_NS6detail17trampoline_kernelINS0_14default_configENS1_35radix_sort_onesweep_config_selectorI12hip_bfloat16NS0_10empty_typeEEEZZNS1_29radix_sort_onesweep_iterationIS3_Lb0EPKS5_PS5_PS6_SC_mNS0_19identity_decomposerENS1_16block_id_wrapperIjLb1EEEEE10hipError_tT1_PNSt15iterator_traitsISH_E10value_typeET2_T3_PNSI_ISN_E10value_typeET4_T5_PSS_ST_PNS1_23onesweep_lookback_stateEbbT6_jjT7_P12ihipStream_tbENKUlT_T0_SH_SM_E_clISA_SB_SC_SC_EEDaS10_S11_SH_SM_EUlS10_E_NS1_11comp_targetILNS1_3genE9ELNS1_11target_archE1100ELNS1_3gpuE3ELNS1_3repE0EEENS1_47radix_sort_onesweep_sort_config_static_selectorELNS0_4arch9wavefront6targetE0EEEvSH_
                                        ; -- End function
	.set _ZN7rocprim17ROCPRIM_400000_NS6detail17trampoline_kernelINS0_14default_configENS1_35radix_sort_onesweep_config_selectorI12hip_bfloat16NS0_10empty_typeEEEZZNS1_29radix_sort_onesweep_iterationIS3_Lb0EPKS5_PS5_PS6_SC_mNS0_19identity_decomposerENS1_16block_id_wrapperIjLb1EEEEE10hipError_tT1_PNSt15iterator_traitsISH_E10value_typeET2_T3_PNSI_ISN_E10value_typeET4_T5_PSS_ST_PNS1_23onesweep_lookback_stateEbbT6_jjT7_P12ihipStream_tbENKUlT_T0_SH_SM_E_clISA_SB_SC_SC_EEDaS10_S11_SH_SM_EUlS10_E_NS1_11comp_targetILNS1_3genE9ELNS1_11target_archE1100ELNS1_3gpuE3ELNS1_3repE0EEENS1_47radix_sort_onesweep_sort_config_static_selectorELNS0_4arch9wavefront6targetE0EEEvSH_.num_vgpr, 0
	.set _ZN7rocprim17ROCPRIM_400000_NS6detail17trampoline_kernelINS0_14default_configENS1_35radix_sort_onesweep_config_selectorI12hip_bfloat16NS0_10empty_typeEEEZZNS1_29radix_sort_onesweep_iterationIS3_Lb0EPKS5_PS5_PS6_SC_mNS0_19identity_decomposerENS1_16block_id_wrapperIjLb1EEEEE10hipError_tT1_PNSt15iterator_traitsISH_E10value_typeET2_T3_PNSI_ISN_E10value_typeET4_T5_PSS_ST_PNS1_23onesweep_lookback_stateEbbT6_jjT7_P12ihipStream_tbENKUlT_T0_SH_SM_E_clISA_SB_SC_SC_EEDaS10_S11_SH_SM_EUlS10_E_NS1_11comp_targetILNS1_3genE9ELNS1_11target_archE1100ELNS1_3gpuE3ELNS1_3repE0EEENS1_47radix_sort_onesweep_sort_config_static_selectorELNS0_4arch9wavefront6targetE0EEEvSH_.num_agpr, 0
	.set _ZN7rocprim17ROCPRIM_400000_NS6detail17trampoline_kernelINS0_14default_configENS1_35radix_sort_onesweep_config_selectorI12hip_bfloat16NS0_10empty_typeEEEZZNS1_29radix_sort_onesweep_iterationIS3_Lb0EPKS5_PS5_PS6_SC_mNS0_19identity_decomposerENS1_16block_id_wrapperIjLb1EEEEE10hipError_tT1_PNSt15iterator_traitsISH_E10value_typeET2_T3_PNSI_ISN_E10value_typeET4_T5_PSS_ST_PNS1_23onesweep_lookback_stateEbbT6_jjT7_P12ihipStream_tbENKUlT_T0_SH_SM_E_clISA_SB_SC_SC_EEDaS10_S11_SH_SM_EUlS10_E_NS1_11comp_targetILNS1_3genE9ELNS1_11target_archE1100ELNS1_3gpuE3ELNS1_3repE0EEENS1_47radix_sort_onesweep_sort_config_static_selectorELNS0_4arch9wavefront6targetE0EEEvSH_.numbered_sgpr, 0
	.set _ZN7rocprim17ROCPRIM_400000_NS6detail17trampoline_kernelINS0_14default_configENS1_35radix_sort_onesweep_config_selectorI12hip_bfloat16NS0_10empty_typeEEEZZNS1_29radix_sort_onesweep_iterationIS3_Lb0EPKS5_PS5_PS6_SC_mNS0_19identity_decomposerENS1_16block_id_wrapperIjLb1EEEEE10hipError_tT1_PNSt15iterator_traitsISH_E10value_typeET2_T3_PNSI_ISN_E10value_typeET4_T5_PSS_ST_PNS1_23onesweep_lookback_stateEbbT6_jjT7_P12ihipStream_tbENKUlT_T0_SH_SM_E_clISA_SB_SC_SC_EEDaS10_S11_SH_SM_EUlS10_E_NS1_11comp_targetILNS1_3genE9ELNS1_11target_archE1100ELNS1_3gpuE3ELNS1_3repE0EEENS1_47radix_sort_onesweep_sort_config_static_selectorELNS0_4arch9wavefront6targetE0EEEvSH_.num_named_barrier, 0
	.set _ZN7rocprim17ROCPRIM_400000_NS6detail17trampoline_kernelINS0_14default_configENS1_35radix_sort_onesweep_config_selectorI12hip_bfloat16NS0_10empty_typeEEEZZNS1_29radix_sort_onesweep_iterationIS3_Lb0EPKS5_PS5_PS6_SC_mNS0_19identity_decomposerENS1_16block_id_wrapperIjLb1EEEEE10hipError_tT1_PNSt15iterator_traitsISH_E10value_typeET2_T3_PNSI_ISN_E10value_typeET4_T5_PSS_ST_PNS1_23onesweep_lookback_stateEbbT6_jjT7_P12ihipStream_tbENKUlT_T0_SH_SM_E_clISA_SB_SC_SC_EEDaS10_S11_SH_SM_EUlS10_E_NS1_11comp_targetILNS1_3genE9ELNS1_11target_archE1100ELNS1_3gpuE3ELNS1_3repE0EEENS1_47radix_sort_onesweep_sort_config_static_selectorELNS0_4arch9wavefront6targetE0EEEvSH_.private_seg_size, 0
	.set _ZN7rocprim17ROCPRIM_400000_NS6detail17trampoline_kernelINS0_14default_configENS1_35radix_sort_onesweep_config_selectorI12hip_bfloat16NS0_10empty_typeEEEZZNS1_29radix_sort_onesweep_iterationIS3_Lb0EPKS5_PS5_PS6_SC_mNS0_19identity_decomposerENS1_16block_id_wrapperIjLb1EEEEE10hipError_tT1_PNSt15iterator_traitsISH_E10value_typeET2_T3_PNSI_ISN_E10value_typeET4_T5_PSS_ST_PNS1_23onesweep_lookback_stateEbbT6_jjT7_P12ihipStream_tbENKUlT_T0_SH_SM_E_clISA_SB_SC_SC_EEDaS10_S11_SH_SM_EUlS10_E_NS1_11comp_targetILNS1_3genE9ELNS1_11target_archE1100ELNS1_3gpuE3ELNS1_3repE0EEENS1_47radix_sort_onesweep_sort_config_static_selectorELNS0_4arch9wavefront6targetE0EEEvSH_.uses_vcc, 0
	.set _ZN7rocprim17ROCPRIM_400000_NS6detail17trampoline_kernelINS0_14default_configENS1_35radix_sort_onesweep_config_selectorI12hip_bfloat16NS0_10empty_typeEEEZZNS1_29radix_sort_onesweep_iterationIS3_Lb0EPKS5_PS5_PS6_SC_mNS0_19identity_decomposerENS1_16block_id_wrapperIjLb1EEEEE10hipError_tT1_PNSt15iterator_traitsISH_E10value_typeET2_T3_PNSI_ISN_E10value_typeET4_T5_PSS_ST_PNS1_23onesweep_lookback_stateEbbT6_jjT7_P12ihipStream_tbENKUlT_T0_SH_SM_E_clISA_SB_SC_SC_EEDaS10_S11_SH_SM_EUlS10_E_NS1_11comp_targetILNS1_3genE9ELNS1_11target_archE1100ELNS1_3gpuE3ELNS1_3repE0EEENS1_47radix_sort_onesweep_sort_config_static_selectorELNS0_4arch9wavefront6targetE0EEEvSH_.uses_flat_scratch, 0
	.set _ZN7rocprim17ROCPRIM_400000_NS6detail17trampoline_kernelINS0_14default_configENS1_35radix_sort_onesweep_config_selectorI12hip_bfloat16NS0_10empty_typeEEEZZNS1_29radix_sort_onesweep_iterationIS3_Lb0EPKS5_PS5_PS6_SC_mNS0_19identity_decomposerENS1_16block_id_wrapperIjLb1EEEEE10hipError_tT1_PNSt15iterator_traitsISH_E10value_typeET2_T3_PNSI_ISN_E10value_typeET4_T5_PSS_ST_PNS1_23onesweep_lookback_stateEbbT6_jjT7_P12ihipStream_tbENKUlT_T0_SH_SM_E_clISA_SB_SC_SC_EEDaS10_S11_SH_SM_EUlS10_E_NS1_11comp_targetILNS1_3genE9ELNS1_11target_archE1100ELNS1_3gpuE3ELNS1_3repE0EEENS1_47radix_sort_onesweep_sort_config_static_selectorELNS0_4arch9wavefront6targetE0EEEvSH_.has_dyn_sized_stack, 0
	.set _ZN7rocprim17ROCPRIM_400000_NS6detail17trampoline_kernelINS0_14default_configENS1_35radix_sort_onesweep_config_selectorI12hip_bfloat16NS0_10empty_typeEEEZZNS1_29radix_sort_onesweep_iterationIS3_Lb0EPKS5_PS5_PS6_SC_mNS0_19identity_decomposerENS1_16block_id_wrapperIjLb1EEEEE10hipError_tT1_PNSt15iterator_traitsISH_E10value_typeET2_T3_PNSI_ISN_E10value_typeET4_T5_PSS_ST_PNS1_23onesweep_lookback_stateEbbT6_jjT7_P12ihipStream_tbENKUlT_T0_SH_SM_E_clISA_SB_SC_SC_EEDaS10_S11_SH_SM_EUlS10_E_NS1_11comp_targetILNS1_3genE9ELNS1_11target_archE1100ELNS1_3gpuE3ELNS1_3repE0EEENS1_47radix_sort_onesweep_sort_config_static_selectorELNS0_4arch9wavefront6targetE0EEEvSH_.has_recursion, 0
	.set _ZN7rocprim17ROCPRIM_400000_NS6detail17trampoline_kernelINS0_14default_configENS1_35radix_sort_onesweep_config_selectorI12hip_bfloat16NS0_10empty_typeEEEZZNS1_29radix_sort_onesweep_iterationIS3_Lb0EPKS5_PS5_PS6_SC_mNS0_19identity_decomposerENS1_16block_id_wrapperIjLb1EEEEE10hipError_tT1_PNSt15iterator_traitsISH_E10value_typeET2_T3_PNSI_ISN_E10value_typeET4_T5_PSS_ST_PNS1_23onesweep_lookback_stateEbbT6_jjT7_P12ihipStream_tbENKUlT_T0_SH_SM_E_clISA_SB_SC_SC_EEDaS10_S11_SH_SM_EUlS10_E_NS1_11comp_targetILNS1_3genE9ELNS1_11target_archE1100ELNS1_3gpuE3ELNS1_3repE0EEENS1_47radix_sort_onesweep_sort_config_static_selectorELNS0_4arch9wavefront6targetE0EEEvSH_.has_indirect_call, 0
	.section	.AMDGPU.csdata,"",@progbits
; Kernel info:
; codeLenInByte = 0
; TotalNumSgprs: 0
; NumVgprs: 0
; ScratchSize: 0
; MemoryBound: 0
; FloatMode: 240
; IeeeMode: 1
; LDSByteSize: 0 bytes/workgroup (compile time only)
; SGPRBlocks: 0
; VGPRBlocks: 0
; NumSGPRsForWavesPerEU: 1
; NumVGPRsForWavesPerEU: 1
; NamedBarCnt: 0
; Occupancy: 16
; WaveLimiterHint : 0
; COMPUTE_PGM_RSRC2:SCRATCH_EN: 0
; COMPUTE_PGM_RSRC2:USER_SGPR: 2
; COMPUTE_PGM_RSRC2:TRAP_HANDLER: 0
; COMPUTE_PGM_RSRC2:TGID_X_EN: 1
; COMPUTE_PGM_RSRC2:TGID_Y_EN: 0
; COMPUTE_PGM_RSRC2:TGID_Z_EN: 0
; COMPUTE_PGM_RSRC2:TIDIG_COMP_CNT: 0
	.section	.text._ZN7rocprim17ROCPRIM_400000_NS6detail17trampoline_kernelINS0_14default_configENS1_35radix_sort_onesweep_config_selectorI12hip_bfloat16NS0_10empty_typeEEEZZNS1_29radix_sort_onesweep_iterationIS3_Lb0EPKS5_PS5_PS6_SC_mNS0_19identity_decomposerENS1_16block_id_wrapperIjLb1EEEEE10hipError_tT1_PNSt15iterator_traitsISH_E10value_typeET2_T3_PNSI_ISN_E10value_typeET4_T5_PSS_ST_PNS1_23onesweep_lookback_stateEbbT6_jjT7_P12ihipStream_tbENKUlT_T0_SH_SM_E_clISA_SB_SC_SC_EEDaS10_S11_SH_SM_EUlS10_E_NS1_11comp_targetILNS1_3genE8ELNS1_11target_archE1030ELNS1_3gpuE2ELNS1_3repE0EEENS1_47radix_sort_onesweep_sort_config_static_selectorELNS0_4arch9wavefront6targetE0EEEvSH_,"axG",@progbits,_ZN7rocprim17ROCPRIM_400000_NS6detail17trampoline_kernelINS0_14default_configENS1_35radix_sort_onesweep_config_selectorI12hip_bfloat16NS0_10empty_typeEEEZZNS1_29radix_sort_onesweep_iterationIS3_Lb0EPKS5_PS5_PS6_SC_mNS0_19identity_decomposerENS1_16block_id_wrapperIjLb1EEEEE10hipError_tT1_PNSt15iterator_traitsISH_E10value_typeET2_T3_PNSI_ISN_E10value_typeET4_T5_PSS_ST_PNS1_23onesweep_lookback_stateEbbT6_jjT7_P12ihipStream_tbENKUlT_T0_SH_SM_E_clISA_SB_SC_SC_EEDaS10_S11_SH_SM_EUlS10_E_NS1_11comp_targetILNS1_3genE8ELNS1_11target_archE1030ELNS1_3gpuE2ELNS1_3repE0EEENS1_47radix_sort_onesweep_sort_config_static_selectorELNS0_4arch9wavefront6targetE0EEEvSH_,comdat
	.protected	_ZN7rocprim17ROCPRIM_400000_NS6detail17trampoline_kernelINS0_14default_configENS1_35radix_sort_onesweep_config_selectorI12hip_bfloat16NS0_10empty_typeEEEZZNS1_29radix_sort_onesweep_iterationIS3_Lb0EPKS5_PS5_PS6_SC_mNS0_19identity_decomposerENS1_16block_id_wrapperIjLb1EEEEE10hipError_tT1_PNSt15iterator_traitsISH_E10value_typeET2_T3_PNSI_ISN_E10value_typeET4_T5_PSS_ST_PNS1_23onesweep_lookback_stateEbbT6_jjT7_P12ihipStream_tbENKUlT_T0_SH_SM_E_clISA_SB_SC_SC_EEDaS10_S11_SH_SM_EUlS10_E_NS1_11comp_targetILNS1_3genE8ELNS1_11target_archE1030ELNS1_3gpuE2ELNS1_3repE0EEENS1_47radix_sort_onesweep_sort_config_static_selectorELNS0_4arch9wavefront6targetE0EEEvSH_ ; -- Begin function _ZN7rocprim17ROCPRIM_400000_NS6detail17trampoline_kernelINS0_14default_configENS1_35radix_sort_onesweep_config_selectorI12hip_bfloat16NS0_10empty_typeEEEZZNS1_29radix_sort_onesweep_iterationIS3_Lb0EPKS5_PS5_PS6_SC_mNS0_19identity_decomposerENS1_16block_id_wrapperIjLb1EEEEE10hipError_tT1_PNSt15iterator_traitsISH_E10value_typeET2_T3_PNSI_ISN_E10value_typeET4_T5_PSS_ST_PNS1_23onesweep_lookback_stateEbbT6_jjT7_P12ihipStream_tbENKUlT_T0_SH_SM_E_clISA_SB_SC_SC_EEDaS10_S11_SH_SM_EUlS10_E_NS1_11comp_targetILNS1_3genE8ELNS1_11target_archE1030ELNS1_3gpuE2ELNS1_3repE0EEENS1_47radix_sort_onesweep_sort_config_static_selectorELNS0_4arch9wavefront6targetE0EEEvSH_
	.globl	_ZN7rocprim17ROCPRIM_400000_NS6detail17trampoline_kernelINS0_14default_configENS1_35radix_sort_onesweep_config_selectorI12hip_bfloat16NS0_10empty_typeEEEZZNS1_29radix_sort_onesweep_iterationIS3_Lb0EPKS5_PS5_PS6_SC_mNS0_19identity_decomposerENS1_16block_id_wrapperIjLb1EEEEE10hipError_tT1_PNSt15iterator_traitsISH_E10value_typeET2_T3_PNSI_ISN_E10value_typeET4_T5_PSS_ST_PNS1_23onesweep_lookback_stateEbbT6_jjT7_P12ihipStream_tbENKUlT_T0_SH_SM_E_clISA_SB_SC_SC_EEDaS10_S11_SH_SM_EUlS10_E_NS1_11comp_targetILNS1_3genE8ELNS1_11target_archE1030ELNS1_3gpuE2ELNS1_3repE0EEENS1_47radix_sort_onesweep_sort_config_static_selectorELNS0_4arch9wavefront6targetE0EEEvSH_
	.p2align	8
	.type	_ZN7rocprim17ROCPRIM_400000_NS6detail17trampoline_kernelINS0_14default_configENS1_35radix_sort_onesweep_config_selectorI12hip_bfloat16NS0_10empty_typeEEEZZNS1_29radix_sort_onesweep_iterationIS3_Lb0EPKS5_PS5_PS6_SC_mNS0_19identity_decomposerENS1_16block_id_wrapperIjLb1EEEEE10hipError_tT1_PNSt15iterator_traitsISH_E10value_typeET2_T3_PNSI_ISN_E10value_typeET4_T5_PSS_ST_PNS1_23onesweep_lookback_stateEbbT6_jjT7_P12ihipStream_tbENKUlT_T0_SH_SM_E_clISA_SB_SC_SC_EEDaS10_S11_SH_SM_EUlS10_E_NS1_11comp_targetILNS1_3genE8ELNS1_11target_archE1030ELNS1_3gpuE2ELNS1_3repE0EEENS1_47radix_sort_onesweep_sort_config_static_selectorELNS0_4arch9wavefront6targetE0EEEvSH_,@function
_ZN7rocprim17ROCPRIM_400000_NS6detail17trampoline_kernelINS0_14default_configENS1_35radix_sort_onesweep_config_selectorI12hip_bfloat16NS0_10empty_typeEEEZZNS1_29radix_sort_onesweep_iterationIS3_Lb0EPKS5_PS5_PS6_SC_mNS0_19identity_decomposerENS1_16block_id_wrapperIjLb1EEEEE10hipError_tT1_PNSt15iterator_traitsISH_E10value_typeET2_T3_PNSI_ISN_E10value_typeET4_T5_PSS_ST_PNS1_23onesweep_lookback_stateEbbT6_jjT7_P12ihipStream_tbENKUlT_T0_SH_SM_E_clISA_SB_SC_SC_EEDaS10_S11_SH_SM_EUlS10_E_NS1_11comp_targetILNS1_3genE8ELNS1_11target_archE1030ELNS1_3gpuE2ELNS1_3repE0EEENS1_47radix_sort_onesweep_sort_config_static_selectorELNS0_4arch9wavefront6targetE0EEEvSH_: ; @_ZN7rocprim17ROCPRIM_400000_NS6detail17trampoline_kernelINS0_14default_configENS1_35radix_sort_onesweep_config_selectorI12hip_bfloat16NS0_10empty_typeEEEZZNS1_29radix_sort_onesweep_iterationIS3_Lb0EPKS5_PS5_PS6_SC_mNS0_19identity_decomposerENS1_16block_id_wrapperIjLb1EEEEE10hipError_tT1_PNSt15iterator_traitsISH_E10value_typeET2_T3_PNSI_ISN_E10value_typeET4_T5_PSS_ST_PNS1_23onesweep_lookback_stateEbbT6_jjT7_P12ihipStream_tbENKUlT_T0_SH_SM_E_clISA_SB_SC_SC_EEDaS10_S11_SH_SM_EUlS10_E_NS1_11comp_targetILNS1_3genE8ELNS1_11target_archE1030ELNS1_3gpuE2ELNS1_3repE0EEENS1_47radix_sort_onesweep_sort_config_static_selectorELNS0_4arch9wavefront6targetE0EEEvSH_
; %bb.0:
	.section	.rodata,"a",@progbits
	.p2align	6, 0x0
	.amdhsa_kernel _ZN7rocprim17ROCPRIM_400000_NS6detail17trampoline_kernelINS0_14default_configENS1_35radix_sort_onesweep_config_selectorI12hip_bfloat16NS0_10empty_typeEEEZZNS1_29radix_sort_onesweep_iterationIS3_Lb0EPKS5_PS5_PS6_SC_mNS0_19identity_decomposerENS1_16block_id_wrapperIjLb1EEEEE10hipError_tT1_PNSt15iterator_traitsISH_E10value_typeET2_T3_PNSI_ISN_E10value_typeET4_T5_PSS_ST_PNS1_23onesweep_lookback_stateEbbT6_jjT7_P12ihipStream_tbENKUlT_T0_SH_SM_E_clISA_SB_SC_SC_EEDaS10_S11_SH_SM_EUlS10_E_NS1_11comp_targetILNS1_3genE8ELNS1_11target_archE1030ELNS1_3gpuE2ELNS1_3repE0EEENS1_47radix_sort_onesweep_sort_config_static_selectorELNS0_4arch9wavefront6targetE0EEEvSH_
		.amdhsa_group_segment_fixed_size 0
		.amdhsa_private_segment_fixed_size 0
		.amdhsa_kernarg_size 88
		.amdhsa_user_sgpr_count 2
		.amdhsa_user_sgpr_dispatch_ptr 0
		.amdhsa_user_sgpr_queue_ptr 0
		.amdhsa_user_sgpr_kernarg_segment_ptr 1
		.amdhsa_user_sgpr_dispatch_id 0
		.amdhsa_user_sgpr_kernarg_preload_length 0
		.amdhsa_user_sgpr_kernarg_preload_offset 0
		.amdhsa_user_sgpr_private_segment_size 0
		.amdhsa_wavefront_size32 1
		.amdhsa_uses_dynamic_stack 0
		.amdhsa_enable_private_segment 0
		.amdhsa_system_sgpr_workgroup_id_x 1
		.amdhsa_system_sgpr_workgroup_id_y 0
		.amdhsa_system_sgpr_workgroup_id_z 0
		.amdhsa_system_sgpr_workgroup_info 0
		.amdhsa_system_vgpr_workitem_id 0
		.amdhsa_next_free_vgpr 1
		.amdhsa_next_free_sgpr 1
		.amdhsa_named_barrier_count 0
		.amdhsa_reserve_vcc 0
		.amdhsa_float_round_mode_32 0
		.amdhsa_float_round_mode_16_64 0
		.amdhsa_float_denorm_mode_32 3
		.amdhsa_float_denorm_mode_16_64 3
		.amdhsa_fp16_overflow 0
		.amdhsa_memory_ordered 1
		.amdhsa_forward_progress 1
		.amdhsa_inst_pref_size 0
		.amdhsa_round_robin_scheduling 0
		.amdhsa_exception_fp_ieee_invalid_op 0
		.amdhsa_exception_fp_denorm_src 0
		.amdhsa_exception_fp_ieee_div_zero 0
		.amdhsa_exception_fp_ieee_overflow 0
		.amdhsa_exception_fp_ieee_underflow 0
		.amdhsa_exception_fp_ieee_inexact 0
		.amdhsa_exception_int_div_zero 0
	.end_amdhsa_kernel
	.section	.text._ZN7rocprim17ROCPRIM_400000_NS6detail17trampoline_kernelINS0_14default_configENS1_35radix_sort_onesweep_config_selectorI12hip_bfloat16NS0_10empty_typeEEEZZNS1_29radix_sort_onesweep_iterationIS3_Lb0EPKS5_PS5_PS6_SC_mNS0_19identity_decomposerENS1_16block_id_wrapperIjLb1EEEEE10hipError_tT1_PNSt15iterator_traitsISH_E10value_typeET2_T3_PNSI_ISN_E10value_typeET4_T5_PSS_ST_PNS1_23onesweep_lookback_stateEbbT6_jjT7_P12ihipStream_tbENKUlT_T0_SH_SM_E_clISA_SB_SC_SC_EEDaS10_S11_SH_SM_EUlS10_E_NS1_11comp_targetILNS1_3genE8ELNS1_11target_archE1030ELNS1_3gpuE2ELNS1_3repE0EEENS1_47radix_sort_onesweep_sort_config_static_selectorELNS0_4arch9wavefront6targetE0EEEvSH_,"axG",@progbits,_ZN7rocprim17ROCPRIM_400000_NS6detail17trampoline_kernelINS0_14default_configENS1_35radix_sort_onesweep_config_selectorI12hip_bfloat16NS0_10empty_typeEEEZZNS1_29radix_sort_onesweep_iterationIS3_Lb0EPKS5_PS5_PS6_SC_mNS0_19identity_decomposerENS1_16block_id_wrapperIjLb1EEEEE10hipError_tT1_PNSt15iterator_traitsISH_E10value_typeET2_T3_PNSI_ISN_E10value_typeET4_T5_PSS_ST_PNS1_23onesweep_lookback_stateEbbT6_jjT7_P12ihipStream_tbENKUlT_T0_SH_SM_E_clISA_SB_SC_SC_EEDaS10_S11_SH_SM_EUlS10_E_NS1_11comp_targetILNS1_3genE8ELNS1_11target_archE1030ELNS1_3gpuE2ELNS1_3repE0EEENS1_47radix_sort_onesweep_sort_config_static_selectorELNS0_4arch9wavefront6targetE0EEEvSH_,comdat
.Lfunc_end2059:
	.size	_ZN7rocprim17ROCPRIM_400000_NS6detail17trampoline_kernelINS0_14default_configENS1_35radix_sort_onesweep_config_selectorI12hip_bfloat16NS0_10empty_typeEEEZZNS1_29radix_sort_onesweep_iterationIS3_Lb0EPKS5_PS5_PS6_SC_mNS0_19identity_decomposerENS1_16block_id_wrapperIjLb1EEEEE10hipError_tT1_PNSt15iterator_traitsISH_E10value_typeET2_T3_PNSI_ISN_E10value_typeET4_T5_PSS_ST_PNS1_23onesweep_lookback_stateEbbT6_jjT7_P12ihipStream_tbENKUlT_T0_SH_SM_E_clISA_SB_SC_SC_EEDaS10_S11_SH_SM_EUlS10_E_NS1_11comp_targetILNS1_3genE8ELNS1_11target_archE1030ELNS1_3gpuE2ELNS1_3repE0EEENS1_47radix_sort_onesweep_sort_config_static_selectorELNS0_4arch9wavefront6targetE0EEEvSH_, .Lfunc_end2059-_ZN7rocprim17ROCPRIM_400000_NS6detail17trampoline_kernelINS0_14default_configENS1_35radix_sort_onesweep_config_selectorI12hip_bfloat16NS0_10empty_typeEEEZZNS1_29radix_sort_onesweep_iterationIS3_Lb0EPKS5_PS5_PS6_SC_mNS0_19identity_decomposerENS1_16block_id_wrapperIjLb1EEEEE10hipError_tT1_PNSt15iterator_traitsISH_E10value_typeET2_T3_PNSI_ISN_E10value_typeET4_T5_PSS_ST_PNS1_23onesweep_lookback_stateEbbT6_jjT7_P12ihipStream_tbENKUlT_T0_SH_SM_E_clISA_SB_SC_SC_EEDaS10_S11_SH_SM_EUlS10_E_NS1_11comp_targetILNS1_3genE8ELNS1_11target_archE1030ELNS1_3gpuE2ELNS1_3repE0EEENS1_47radix_sort_onesweep_sort_config_static_selectorELNS0_4arch9wavefront6targetE0EEEvSH_
                                        ; -- End function
	.set _ZN7rocprim17ROCPRIM_400000_NS6detail17trampoline_kernelINS0_14default_configENS1_35radix_sort_onesweep_config_selectorI12hip_bfloat16NS0_10empty_typeEEEZZNS1_29radix_sort_onesweep_iterationIS3_Lb0EPKS5_PS5_PS6_SC_mNS0_19identity_decomposerENS1_16block_id_wrapperIjLb1EEEEE10hipError_tT1_PNSt15iterator_traitsISH_E10value_typeET2_T3_PNSI_ISN_E10value_typeET4_T5_PSS_ST_PNS1_23onesweep_lookback_stateEbbT6_jjT7_P12ihipStream_tbENKUlT_T0_SH_SM_E_clISA_SB_SC_SC_EEDaS10_S11_SH_SM_EUlS10_E_NS1_11comp_targetILNS1_3genE8ELNS1_11target_archE1030ELNS1_3gpuE2ELNS1_3repE0EEENS1_47radix_sort_onesweep_sort_config_static_selectorELNS0_4arch9wavefront6targetE0EEEvSH_.num_vgpr, 0
	.set _ZN7rocprim17ROCPRIM_400000_NS6detail17trampoline_kernelINS0_14default_configENS1_35radix_sort_onesweep_config_selectorI12hip_bfloat16NS0_10empty_typeEEEZZNS1_29radix_sort_onesweep_iterationIS3_Lb0EPKS5_PS5_PS6_SC_mNS0_19identity_decomposerENS1_16block_id_wrapperIjLb1EEEEE10hipError_tT1_PNSt15iterator_traitsISH_E10value_typeET2_T3_PNSI_ISN_E10value_typeET4_T5_PSS_ST_PNS1_23onesweep_lookback_stateEbbT6_jjT7_P12ihipStream_tbENKUlT_T0_SH_SM_E_clISA_SB_SC_SC_EEDaS10_S11_SH_SM_EUlS10_E_NS1_11comp_targetILNS1_3genE8ELNS1_11target_archE1030ELNS1_3gpuE2ELNS1_3repE0EEENS1_47radix_sort_onesweep_sort_config_static_selectorELNS0_4arch9wavefront6targetE0EEEvSH_.num_agpr, 0
	.set _ZN7rocprim17ROCPRIM_400000_NS6detail17trampoline_kernelINS0_14default_configENS1_35radix_sort_onesweep_config_selectorI12hip_bfloat16NS0_10empty_typeEEEZZNS1_29radix_sort_onesweep_iterationIS3_Lb0EPKS5_PS5_PS6_SC_mNS0_19identity_decomposerENS1_16block_id_wrapperIjLb1EEEEE10hipError_tT1_PNSt15iterator_traitsISH_E10value_typeET2_T3_PNSI_ISN_E10value_typeET4_T5_PSS_ST_PNS1_23onesweep_lookback_stateEbbT6_jjT7_P12ihipStream_tbENKUlT_T0_SH_SM_E_clISA_SB_SC_SC_EEDaS10_S11_SH_SM_EUlS10_E_NS1_11comp_targetILNS1_3genE8ELNS1_11target_archE1030ELNS1_3gpuE2ELNS1_3repE0EEENS1_47radix_sort_onesweep_sort_config_static_selectorELNS0_4arch9wavefront6targetE0EEEvSH_.numbered_sgpr, 0
	.set _ZN7rocprim17ROCPRIM_400000_NS6detail17trampoline_kernelINS0_14default_configENS1_35radix_sort_onesweep_config_selectorI12hip_bfloat16NS0_10empty_typeEEEZZNS1_29radix_sort_onesweep_iterationIS3_Lb0EPKS5_PS5_PS6_SC_mNS0_19identity_decomposerENS1_16block_id_wrapperIjLb1EEEEE10hipError_tT1_PNSt15iterator_traitsISH_E10value_typeET2_T3_PNSI_ISN_E10value_typeET4_T5_PSS_ST_PNS1_23onesweep_lookback_stateEbbT6_jjT7_P12ihipStream_tbENKUlT_T0_SH_SM_E_clISA_SB_SC_SC_EEDaS10_S11_SH_SM_EUlS10_E_NS1_11comp_targetILNS1_3genE8ELNS1_11target_archE1030ELNS1_3gpuE2ELNS1_3repE0EEENS1_47radix_sort_onesweep_sort_config_static_selectorELNS0_4arch9wavefront6targetE0EEEvSH_.num_named_barrier, 0
	.set _ZN7rocprim17ROCPRIM_400000_NS6detail17trampoline_kernelINS0_14default_configENS1_35radix_sort_onesweep_config_selectorI12hip_bfloat16NS0_10empty_typeEEEZZNS1_29radix_sort_onesweep_iterationIS3_Lb0EPKS5_PS5_PS6_SC_mNS0_19identity_decomposerENS1_16block_id_wrapperIjLb1EEEEE10hipError_tT1_PNSt15iterator_traitsISH_E10value_typeET2_T3_PNSI_ISN_E10value_typeET4_T5_PSS_ST_PNS1_23onesweep_lookback_stateEbbT6_jjT7_P12ihipStream_tbENKUlT_T0_SH_SM_E_clISA_SB_SC_SC_EEDaS10_S11_SH_SM_EUlS10_E_NS1_11comp_targetILNS1_3genE8ELNS1_11target_archE1030ELNS1_3gpuE2ELNS1_3repE0EEENS1_47radix_sort_onesweep_sort_config_static_selectorELNS0_4arch9wavefront6targetE0EEEvSH_.private_seg_size, 0
	.set _ZN7rocprim17ROCPRIM_400000_NS6detail17trampoline_kernelINS0_14default_configENS1_35radix_sort_onesweep_config_selectorI12hip_bfloat16NS0_10empty_typeEEEZZNS1_29radix_sort_onesweep_iterationIS3_Lb0EPKS5_PS5_PS6_SC_mNS0_19identity_decomposerENS1_16block_id_wrapperIjLb1EEEEE10hipError_tT1_PNSt15iterator_traitsISH_E10value_typeET2_T3_PNSI_ISN_E10value_typeET4_T5_PSS_ST_PNS1_23onesweep_lookback_stateEbbT6_jjT7_P12ihipStream_tbENKUlT_T0_SH_SM_E_clISA_SB_SC_SC_EEDaS10_S11_SH_SM_EUlS10_E_NS1_11comp_targetILNS1_3genE8ELNS1_11target_archE1030ELNS1_3gpuE2ELNS1_3repE0EEENS1_47radix_sort_onesweep_sort_config_static_selectorELNS0_4arch9wavefront6targetE0EEEvSH_.uses_vcc, 0
	.set _ZN7rocprim17ROCPRIM_400000_NS6detail17trampoline_kernelINS0_14default_configENS1_35radix_sort_onesweep_config_selectorI12hip_bfloat16NS0_10empty_typeEEEZZNS1_29radix_sort_onesweep_iterationIS3_Lb0EPKS5_PS5_PS6_SC_mNS0_19identity_decomposerENS1_16block_id_wrapperIjLb1EEEEE10hipError_tT1_PNSt15iterator_traitsISH_E10value_typeET2_T3_PNSI_ISN_E10value_typeET4_T5_PSS_ST_PNS1_23onesweep_lookback_stateEbbT6_jjT7_P12ihipStream_tbENKUlT_T0_SH_SM_E_clISA_SB_SC_SC_EEDaS10_S11_SH_SM_EUlS10_E_NS1_11comp_targetILNS1_3genE8ELNS1_11target_archE1030ELNS1_3gpuE2ELNS1_3repE0EEENS1_47radix_sort_onesweep_sort_config_static_selectorELNS0_4arch9wavefront6targetE0EEEvSH_.uses_flat_scratch, 0
	.set _ZN7rocprim17ROCPRIM_400000_NS6detail17trampoline_kernelINS0_14default_configENS1_35radix_sort_onesweep_config_selectorI12hip_bfloat16NS0_10empty_typeEEEZZNS1_29radix_sort_onesweep_iterationIS3_Lb0EPKS5_PS5_PS6_SC_mNS0_19identity_decomposerENS1_16block_id_wrapperIjLb1EEEEE10hipError_tT1_PNSt15iterator_traitsISH_E10value_typeET2_T3_PNSI_ISN_E10value_typeET4_T5_PSS_ST_PNS1_23onesweep_lookback_stateEbbT6_jjT7_P12ihipStream_tbENKUlT_T0_SH_SM_E_clISA_SB_SC_SC_EEDaS10_S11_SH_SM_EUlS10_E_NS1_11comp_targetILNS1_3genE8ELNS1_11target_archE1030ELNS1_3gpuE2ELNS1_3repE0EEENS1_47radix_sort_onesweep_sort_config_static_selectorELNS0_4arch9wavefront6targetE0EEEvSH_.has_dyn_sized_stack, 0
	.set _ZN7rocprim17ROCPRIM_400000_NS6detail17trampoline_kernelINS0_14default_configENS1_35radix_sort_onesweep_config_selectorI12hip_bfloat16NS0_10empty_typeEEEZZNS1_29radix_sort_onesweep_iterationIS3_Lb0EPKS5_PS5_PS6_SC_mNS0_19identity_decomposerENS1_16block_id_wrapperIjLb1EEEEE10hipError_tT1_PNSt15iterator_traitsISH_E10value_typeET2_T3_PNSI_ISN_E10value_typeET4_T5_PSS_ST_PNS1_23onesweep_lookback_stateEbbT6_jjT7_P12ihipStream_tbENKUlT_T0_SH_SM_E_clISA_SB_SC_SC_EEDaS10_S11_SH_SM_EUlS10_E_NS1_11comp_targetILNS1_3genE8ELNS1_11target_archE1030ELNS1_3gpuE2ELNS1_3repE0EEENS1_47radix_sort_onesweep_sort_config_static_selectorELNS0_4arch9wavefront6targetE0EEEvSH_.has_recursion, 0
	.set _ZN7rocprim17ROCPRIM_400000_NS6detail17trampoline_kernelINS0_14default_configENS1_35radix_sort_onesweep_config_selectorI12hip_bfloat16NS0_10empty_typeEEEZZNS1_29radix_sort_onesweep_iterationIS3_Lb0EPKS5_PS5_PS6_SC_mNS0_19identity_decomposerENS1_16block_id_wrapperIjLb1EEEEE10hipError_tT1_PNSt15iterator_traitsISH_E10value_typeET2_T3_PNSI_ISN_E10value_typeET4_T5_PSS_ST_PNS1_23onesweep_lookback_stateEbbT6_jjT7_P12ihipStream_tbENKUlT_T0_SH_SM_E_clISA_SB_SC_SC_EEDaS10_S11_SH_SM_EUlS10_E_NS1_11comp_targetILNS1_3genE8ELNS1_11target_archE1030ELNS1_3gpuE2ELNS1_3repE0EEENS1_47radix_sort_onesweep_sort_config_static_selectorELNS0_4arch9wavefront6targetE0EEEvSH_.has_indirect_call, 0
	.section	.AMDGPU.csdata,"",@progbits
; Kernel info:
; codeLenInByte = 0
; TotalNumSgprs: 0
; NumVgprs: 0
; ScratchSize: 0
; MemoryBound: 0
; FloatMode: 240
; IeeeMode: 1
; LDSByteSize: 0 bytes/workgroup (compile time only)
; SGPRBlocks: 0
; VGPRBlocks: 0
; NumSGPRsForWavesPerEU: 1
; NumVGPRsForWavesPerEU: 1
; NamedBarCnt: 0
; Occupancy: 16
; WaveLimiterHint : 0
; COMPUTE_PGM_RSRC2:SCRATCH_EN: 0
; COMPUTE_PGM_RSRC2:USER_SGPR: 2
; COMPUTE_PGM_RSRC2:TRAP_HANDLER: 0
; COMPUTE_PGM_RSRC2:TGID_X_EN: 1
; COMPUTE_PGM_RSRC2:TGID_Y_EN: 0
; COMPUTE_PGM_RSRC2:TGID_Z_EN: 0
; COMPUTE_PGM_RSRC2:TIDIG_COMP_CNT: 0
	.section	.text._ZN7rocprim17ROCPRIM_400000_NS6detail17trampoline_kernelINS0_14default_configENS1_35radix_sort_onesweep_config_selectorI12hip_bfloat16NS0_10empty_typeEEEZZNS1_29radix_sort_onesweep_iterationIS3_Lb0EPKS5_PS5_PS6_SC_mNS0_19identity_decomposerENS1_16block_id_wrapperIjLb1EEEEE10hipError_tT1_PNSt15iterator_traitsISH_E10value_typeET2_T3_PNSI_ISN_E10value_typeET4_T5_PSS_ST_PNS1_23onesweep_lookback_stateEbbT6_jjT7_P12ihipStream_tbENKUlT_T0_SH_SM_E_clISB_SB_SC_SC_EEDaS10_S11_SH_SM_EUlS10_E_NS1_11comp_targetILNS1_3genE0ELNS1_11target_archE4294967295ELNS1_3gpuE0ELNS1_3repE0EEENS1_47radix_sort_onesweep_sort_config_static_selectorELNS0_4arch9wavefront6targetE0EEEvSH_,"axG",@progbits,_ZN7rocprim17ROCPRIM_400000_NS6detail17trampoline_kernelINS0_14default_configENS1_35radix_sort_onesweep_config_selectorI12hip_bfloat16NS0_10empty_typeEEEZZNS1_29radix_sort_onesweep_iterationIS3_Lb0EPKS5_PS5_PS6_SC_mNS0_19identity_decomposerENS1_16block_id_wrapperIjLb1EEEEE10hipError_tT1_PNSt15iterator_traitsISH_E10value_typeET2_T3_PNSI_ISN_E10value_typeET4_T5_PSS_ST_PNS1_23onesweep_lookback_stateEbbT6_jjT7_P12ihipStream_tbENKUlT_T0_SH_SM_E_clISB_SB_SC_SC_EEDaS10_S11_SH_SM_EUlS10_E_NS1_11comp_targetILNS1_3genE0ELNS1_11target_archE4294967295ELNS1_3gpuE0ELNS1_3repE0EEENS1_47radix_sort_onesweep_sort_config_static_selectorELNS0_4arch9wavefront6targetE0EEEvSH_,comdat
	.protected	_ZN7rocprim17ROCPRIM_400000_NS6detail17trampoline_kernelINS0_14default_configENS1_35radix_sort_onesweep_config_selectorI12hip_bfloat16NS0_10empty_typeEEEZZNS1_29radix_sort_onesweep_iterationIS3_Lb0EPKS5_PS5_PS6_SC_mNS0_19identity_decomposerENS1_16block_id_wrapperIjLb1EEEEE10hipError_tT1_PNSt15iterator_traitsISH_E10value_typeET2_T3_PNSI_ISN_E10value_typeET4_T5_PSS_ST_PNS1_23onesweep_lookback_stateEbbT6_jjT7_P12ihipStream_tbENKUlT_T0_SH_SM_E_clISB_SB_SC_SC_EEDaS10_S11_SH_SM_EUlS10_E_NS1_11comp_targetILNS1_3genE0ELNS1_11target_archE4294967295ELNS1_3gpuE0ELNS1_3repE0EEENS1_47radix_sort_onesweep_sort_config_static_selectorELNS0_4arch9wavefront6targetE0EEEvSH_ ; -- Begin function _ZN7rocprim17ROCPRIM_400000_NS6detail17trampoline_kernelINS0_14default_configENS1_35radix_sort_onesweep_config_selectorI12hip_bfloat16NS0_10empty_typeEEEZZNS1_29radix_sort_onesweep_iterationIS3_Lb0EPKS5_PS5_PS6_SC_mNS0_19identity_decomposerENS1_16block_id_wrapperIjLb1EEEEE10hipError_tT1_PNSt15iterator_traitsISH_E10value_typeET2_T3_PNSI_ISN_E10value_typeET4_T5_PSS_ST_PNS1_23onesweep_lookback_stateEbbT6_jjT7_P12ihipStream_tbENKUlT_T0_SH_SM_E_clISB_SB_SC_SC_EEDaS10_S11_SH_SM_EUlS10_E_NS1_11comp_targetILNS1_3genE0ELNS1_11target_archE4294967295ELNS1_3gpuE0ELNS1_3repE0EEENS1_47radix_sort_onesweep_sort_config_static_selectorELNS0_4arch9wavefront6targetE0EEEvSH_
	.globl	_ZN7rocprim17ROCPRIM_400000_NS6detail17trampoline_kernelINS0_14default_configENS1_35radix_sort_onesweep_config_selectorI12hip_bfloat16NS0_10empty_typeEEEZZNS1_29radix_sort_onesweep_iterationIS3_Lb0EPKS5_PS5_PS6_SC_mNS0_19identity_decomposerENS1_16block_id_wrapperIjLb1EEEEE10hipError_tT1_PNSt15iterator_traitsISH_E10value_typeET2_T3_PNSI_ISN_E10value_typeET4_T5_PSS_ST_PNS1_23onesweep_lookback_stateEbbT6_jjT7_P12ihipStream_tbENKUlT_T0_SH_SM_E_clISB_SB_SC_SC_EEDaS10_S11_SH_SM_EUlS10_E_NS1_11comp_targetILNS1_3genE0ELNS1_11target_archE4294967295ELNS1_3gpuE0ELNS1_3repE0EEENS1_47radix_sort_onesweep_sort_config_static_selectorELNS0_4arch9wavefront6targetE0EEEvSH_
	.p2align	8
	.type	_ZN7rocprim17ROCPRIM_400000_NS6detail17trampoline_kernelINS0_14default_configENS1_35radix_sort_onesweep_config_selectorI12hip_bfloat16NS0_10empty_typeEEEZZNS1_29radix_sort_onesweep_iterationIS3_Lb0EPKS5_PS5_PS6_SC_mNS0_19identity_decomposerENS1_16block_id_wrapperIjLb1EEEEE10hipError_tT1_PNSt15iterator_traitsISH_E10value_typeET2_T3_PNSI_ISN_E10value_typeET4_T5_PSS_ST_PNS1_23onesweep_lookback_stateEbbT6_jjT7_P12ihipStream_tbENKUlT_T0_SH_SM_E_clISB_SB_SC_SC_EEDaS10_S11_SH_SM_EUlS10_E_NS1_11comp_targetILNS1_3genE0ELNS1_11target_archE4294967295ELNS1_3gpuE0ELNS1_3repE0EEENS1_47radix_sort_onesweep_sort_config_static_selectorELNS0_4arch9wavefront6targetE0EEEvSH_,@function
_ZN7rocprim17ROCPRIM_400000_NS6detail17trampoline_kernelINS0_14default_configENS1_35radix_sort_onesweep_config_selectorI12hip_bfloat16NS0_10empty_typeEEEZZNS1_29radix_sort_onesweep_iterationIS3_Lb0EPKS5_PS5_PS6_SC_mNS0_19identity_decomposerENS1_16block_id_wrapperIjLb1EEEEE10hipError_tT1_PNSt15iterator_traitsISH_E10value_typeET2_T3_PNSI_ISN_E10value_typeET4_T5_PSS_ST_PNS1_23onesweep_lookback_stateEbbT6_jjT7_P12ihipStream_tbENKUlT_T0_SH_SM_E_clISB_SB_SC_SC_EEDaS10_S11_SH_SM_EUlS10_E_NS1_11comp_targetILNS1_3genE0ELNS1_11target_archE4294967295ELNS1_3gpuE0ELNS1_3repE0EEENS1_47radix_sort_onesweep_sort_config_static_selectorELNS0_4arch9wavefront6targetE0EEEvSH_: ; @_ZN7rocprim17ROCPRIM_400000_NS6detail17trampoline_kernelINS0_14default_configENS1_35radix_sort_onesweep_config_selectorI12hip_bfloat16NS0_10empty_typeEEEZZNS1_29radix_sort_onesweep_iterationIS3_Lb0EPKS5_PS5_PS6_SC_mNS0_19identity_decomposerENS1_16block_id_wrapperIjLb1EEEEE10hipError_tT1_PNSt15iterator_traitsISH_E10value_typeET2_T3_PNSI_ISN_E10value_typeET4_T5_PSS_ST_PNS1_23onesweep_lookback_stateEbbT6_jjT7_P12ihipStream_tbENKUlT_T0_SH_SM_E_clISB_SB_SC_SC_EEDaS10_S11_SH_SM_EUlS10_E_NS1_11comp_targetILNS1_3genE0ELNS1_11target_archE4294967295ELNS1_3gpuE0ELNS1_3repE0EEENS1_47radix_sort_onesweep_sort_config_static_selectorELNS0_4arch9wavefront6targetE0EEEvSH_
; %bb.0:
	s_clause 0x1
	s_load_b128 s[12:15], s[0:1], 0x28
	s_load_b64 s[10:11], s[0:1], 0x38
	v_and_b32_e32 v14, 0x3ff, v0
	s_delay_alu instid0(VALU_DEP_1)
	v_cmp_eq_u32_e64 s2, 0, v14
	s_and_saveexec_b32 s3, s2
	s_cbranch_execz .LBB2060_4
; %bb.1:
	s_mov_b32 s5, exec_lo
	s_mov_b32 s4, exec_lo
	v_mbcnt_lo_u32_b32 v1, s5, 0
                                        ; implicit-def: $vgpr2
	s_delay_alu instid0(VALU_DEP_1)
	v_cmpx_eq_u32_e32 0, v1
	s_cbranch_execz .LBB2060_3
; %bb.2:
	s_load_b64 s[6:7], s[0:1], 0x50
	s_bcnt1_i32_b32 s5, s5
	s_delay_alu instid0(SALU_CYCLE_1)
	v_dual_mov_b32 v2, 0 :: v_dual_mov_b32 v3, s5
	s_wait_xcnt 0x0
	s_wait_kmcnt 0x0
	global_atomic_add_u32 v2, v2, v3, s[6:7] th:TH_ATOMIC_RETURN scope:SCOPE_DEV
.LBB2060_3:
	s_wait_xcnt 0x0
	s_or_b32 exec_lo, exec_lo, s4
	s_wait_loadcnt 0x0
	v_readfirstlane_b32 s4, v2
	s_delay_alu instid0(VALU_DEP_1)
	v_dual_mov_b32 v2, 0 :: v_dual_add_nc_u32 v1, s4, v1
	ds_store_b32 v2, v1 offset:18496
.LBB2060_4:
	s_or_b32 exec_lo, exec_lo, s3
	v_mov_b32_e32 v3, 0
	s_clause 0x2
	s_load_b128 s[16:19], s[0:1], 0x0
	s_load_b32 s3, s[0:1], 0x20
	s_load_b96 s[20:22], s[0:1], 0x44
	s_wait_dscnt 0x0
	s_barrier_signal -1
	s_barrier_wait -1
	ds_load_b32 v1, v3 offset:18496
	v_mbcnt_lo_u32_b32 v15, -1, 0
	v_and_b32_e32 v16, 0x3e0, v14
	s_mov_b32 s4, -1
	s_add_nc_u64 s[26:27], s[0:1], 0x58
	s_getreg_b32 s28, hwreg(HW_REG_IB_STS2, 6, 4)
	s_wait_dscnt 0x0
	s_barrier_signal -1
	s_barrier_wait -1
	s_wait_kmcnt 0x0
	v_cmp_le_u32_e32 vcc_lo, s22, v1
	v_readfirstlane_b32 s23, v1
	s_mul_i32 s24, s23, 0x1800
	s_cbranch_vccz .LBB2060_100
; %bb.5:
	s_mov_b32 s25, 0
	v_mul_u32_u24_e32 v1, 12, v16
	v_lshlrev_b32_e32 v2, 1, v15
	s_lshl_b64 s[4:5], s[24:25], 1
	s_mulk_i32 s22, 0xe800
	s_add_nc_u64 s[4:5], s[16:17], s[4:5]
	v_or_b32_e32 v10, v15, v1
	v_add_nc_u64_e32 v[4:5], s[4:5], v[2:3]
	v_dual_mov_b32 v11, 0x7fff :: v_dual_lshlrev_b32 v2, 1, v1
	v_mov_b32_e32 v1, 0x7fff
	s_add_co_i32 s22, s22, s3
	s_mov_b32 s3, exec_lo
	s_delay_alu instid0(VALU_DEP_2)
	v_add_nc_u64_e32 v[2:3], v[4:5], v[2:3]
	v_cmpx_gt_u32_e64 s22, v10
	s_cbranch_execz .LBB2060_7
; %bb.6:
	global_load_u16 v1, v[2:3], off
.LBB2060_7:
	s_wait_xcnt 0x0
	s_or_b32 exec_lo, exec_lo, s3
	v_or_b32_e32 v4, 32, v10
	s_mov_b32 s3, exec_lo
	s_delay_alu instid0(VALU_DEP_1)
	v_cmpx_gt_u32_e64 s22, v4
	s_cbranch_execz .LBB2060_9
; %bb.8:
	global_load_u16 v11, v[2:3], off offset:64
.LBB2060_9:
	s_wait_xcnt 0x0
	s_or_b32 exec_lo, exec_lo, s3
	v_or_b32_e32 v4, 64, v10
	v_mov_b32_e32 v21, 0x7fff
	v_mov_b32_e32 v17, 0x7fff
	s_mov_b32 s3, exec_lo
	s_delay_alu instid0(VALU_DEP_3)
	v_cmpx_gt_u32_e64 s22, v4
	s_cbranch_execz .LBB2060_11
; %bb.10:
	global_load_u16 v17, v[2:3], off offset:128
.LBB2060_11:
	s_wait_xcnt 0x0
	s_or_b32 exec_lo, exec_lo, s3
	v_or_b32_e32 v4, 0x60, v10
	s_mov_b32 s3, exec_lo
	s_delay_alu instid0(VALU_DEP_1)
	v_cmpx_gt_u32_e64 s22, v4
	s_cbranch_execz .LBB2060_13
; %bb.12:
	global_load_u16 v21, v[2:3], off offset:192
.LBB2060_13:
	s_wait_xcnt 0x0
	s_or_b32 exec_lo, exec_lo, s3
	v_add_nc_u32_e32 v4, 0x80, v10
	v_dual_mov_b32 v30, 0x7fff :: v_dual_mov_b32 v25, 0x7fff
	s_mov_b32 s3, exec_lo
	s_delay_alu instid0(VALU_DEP_2)
	v_cmpx_gt_u32_e64 s22, v4
	s_cbranch_execz .LBB2060_15
; %bb.14:
	global_load_u16 v25, v[2:3], off offset:256
.LBB2060_15:
	s_wait_xcnt 0x0
	s_or_b32 exec_lo, exec_lo, s3
	v_add_nc_u32_e32 v4, 0xa0, v10
	s_mov_b32 s3, exec_lo
	s_delay_alu instid0(VALU_DEP_1)
	v_cmpx_gt_u32_e64 s22, v4
	s_cbranch_execz .LBB2060_17
; %bb.16:
	global_load_u16 v30, v[2:3], off offset:320
.LBB2060_17:
	s_wait_xcnt 0x0
	s_or_b32 exec_lo, exec_lo, s3
	v_add_nc_u32_e32 v4, 0xc0, v10
	v_dual_mov_b32 v8, 0x7fff :: v_dual_mov_b32 v9, 0x7fff
	s_mov_b32 s3, exec_lo
	s_delay_alu instid0(VALU_DEP_2)
	v_cmpx_gt_u32_e64 s22, v4
	s_cbranch_execz .LBB2060_19
; %bb.18:
	global_load_u16 v9, v[2:3], off offset:384
.LBB2060_19:
	s_wait_xcnt 0x0
	s_or_b32 exec_lo, exec_lo, s3
	v_add_nc_u32_e32 v4, 0xe0, v10
	s_mov_b32 s3, exec_lo
	s_delay_alu instid0(VALU_DEP_1)
	v_cmpx_gt_u32_e64 s22, v4
	s_cbranch_execz .LBB2060_21
; %bb.20:
	global_load_u16 v8, v[2:3], off offset:448
.LBB2060_21:
	s_wait_xcnt 0x0
	s_or_b32 exec_lo, exec_lo, s3
	v_add_nc_u32_e32 v4, 0x100, v10
	v_dual_mov_b32 v6, 0x7fff :: v_dual_mov_b32 v7, 0x7fff
	s_mov_b32 s3, exec_lo
	s_delay_alu instid0(VALU_DEP_2)
	v_cmpx_gt_u32_e64 s22, v4
	s_cbranch_execz .LBB2060_23
; %bb.22:
	global_load_u16 v7, v[2:3], off offset:512
.LBB2060_23:
	s_wait_xcnt 0x0
	s_or_b32 exec_lo, exec_lo, s3
	v_add_nc_u32_e32 v4, 0x120, v10
	s_mov_b32 s3, exec_lo
	s_delay_alu instid0(VALU_DEP_1)
	v_cmpx_gt_u32_e64 s22, v4
	s_cbranch_execz .LBB2060_25
; %bb.24:
	global_load_u16 v6, v[2:3], off offset:576
.LBB2060_25:
	s_wait_xcnt 0x0
	s_or_b32 exec_lo, exec_lo, s3
	v_add_nc_u32_e32 v5, 0x140, v10
	v_mov_b32_e32 v4, 0x7fff
	s_delay_alu instid0(VALU_DEP_2)
	v_cmp_gt_u32_e32 vcc_lo, s22, v5
	v_mov_b32_e32 v5, 0x7fff
	s_and_saveexec_b32 s3, vcc_lo
	s_cbranch_execz .LBB2060_27
; %bb.26:
	global_load_u16 v5, v[2:3], off offset:640
.LBB2060_27:
	s_wait_xcnt 0x0
	s_or_b32 exec_lo, exec_lo, s3
	v_add_nc_u32_e32 v10, 0x160, v10
	s_mov_b32 s3, exec_lo
	s_delay_alu instid0(VALU_DEP_1)
	v_cmpx_gt_u32_e64 s22, v10
	s_cbranch_execz .LBB2060_29
; %bb.28:
	global_load_u16 v4, v[2:3], off offset:704
.LBB2060_29:
	s_wait_xcnt 0x0
	s_or_b32 exec_lo, exec_lo, s3
	s_wait_loadcnt 0x0
	v_cmp_lt_i16_e32 vcc_lo, -1, v1
	s_clause 0x1
	s_load_b32 s25, s[0:1], 0x58
	s_load_u16 s3, s[0:1], 0x66
	s_bfe_u32 s4, ttmp6, 0x4000c
	s_and_b32 s5, ttmp6, 15
	s_add_co_i32 s4, s4, 1
	v_cndmask_b32_e64 v2, -1, 0xffff8000, vcc_lo
	s_mul_i32 s4, ttmp9, s4
	v_bfe_u32 v3, v0, 10, 10
	s_add_co_i32 s5, s5, s4
	s_cmp_eq_u32 s28, 0
	v_xor_b32_e32 v1, v2, v1
	s_cselect_b32 s4, ttmp9, s5
	v_bfe_u32 v10, v0, 20, 10
	s_mov_b32 s5, 0
	s_delay_alu instid0(VALU_DEP_2)
	v_cmp_ne_u16_e32 vcc_lo, 0x7fff, v1
	s_wait_kmcnt 0x0
	s_cmp_lt_u32 s4, s25
	v_cndmask_b32_e32 v2, 0xffff8000, v1, vcc_lo
	s_cselect_b32 s4, 12, 18
	s_lshl_b32 s6, -1, s21
	v_mad_u32_u24 v3, v10, s3, v3
	s_add_nc_u64 s[4:5], s[26:27], s[4:5]
	v_and_b32_e32 v2, 0xffff, v2
	s_load_u16 s7, s[4:5], 0x0
	s_not_b32 s29, s6
	s_delay_alu instid0(VALU_DEP_1) | instskip(NEXT) | instid1(VALU_DEP_1)
	v_lshrrev_b32_e32 v2, s20, v2
	v_bitop3_b32 v10, v2, 1, s6 bitop3:0x40
	v_bitop3_b32 v13, v2, s6, v2 bitop3:0x30
	s_delay_alu instid0(VALU_DEP_2) | instskip(NEXT) | instid1(VALU_DEP_1)
	v_add_co_u32 v2, s3, v10, -1
	v_cndmask_b32_e64 v10, 0, 1, s3
	s_delay_alu instid0(VALU_DEP_3) | instskip(SKIP_1) | instid1(VALU_DEP_3)
	v_dual_lshlrev_b32 v12, 30, v13 :: v_dual_lshlrev_b32 v18, 29, v13
	v_dual_lshlrev_b32 v19, 28, v13 :: v_dual_lshlrev_b32 v20, 27, v13
	v_cmp_ne_u32_e32 vcc_lo, 0, v10
	s_delay_alu instid0(VALU_DEP_3)
	v_not_b32_e32 v10, v12
	v_cmp_gt_i32_e64 s3, 0, v12
	s_wait_xcnt 0x0
	v_cmp_gt_i32_e64 s4, 0, v18
	v_not_b32_e32 v12, v18
	v_not_b32_e32 v18, v19
	v_ashrrev_i32_e32 v10, 31, v10
	v_cmp_gt_i32_e64 s5, 0, v19
	v_dual_lshlrev_b32 v19, 26, v13 :: v_dual_bitop2_b32 v2, vcc_lo, v2 bitop3:0x14
	s_delay_alu instid0(VALU_DEP_4) | instskip(NEXT) | instid1(VALU_DEP_4)
	v_dual_ashrrev_i32 v12, 31, v12 :: v_dual_ashrrev_i32 v18, 31, v18
	v_xor_b32_e32 v10, s3, v10
	v_not_b32_e32 v22, v20
	v_cmp_gt_i32_e32 vcc_lo, 0, v20
	s_delay_alu instid0(VALU_DEP_4)
	v_xor_b32_e32 v12, s4, v12
	v_xor_b32_e32 v18, s5, v18
	v_cmp_gt_i32_e64 s3, 0, v19
	v_dual_ashrrev_i32 v20, 31, v22 :: v_dual_lshlrev_b32 v22, 25, v13
	v_bitop3_b32 v2, v2, v10, exec_lo bitop3:0x80
	v_not_b32_e32 v10, v19
	v_lshlrev_b32_e32 v19, 24, v13
	s_delay_alu instid0(VALU_DEP_3) | instskip(NEXT) | instid1(VALU_DEP_3)
	v_bitop3_b32 v2, v2, v18, v12 bitop3:0x80
	v_dual_ashrrev_i32 v10, 31, v10 :: v_dual_bitop2_b32 v18, vcc_lo, v20 bitop3:0x14
	v_not_b32_e32 v12, v22
	s_delay_alu instid0(VALU_DEP_4) | instskip(SKIP_1) | instid1(VALU_DEP_4)
	v_not_b32_e32 v20, v19
	v_cmp_gt_i32_e32 vcc_lo, 0, v22
	v_xor_b32_e32 v10, s3, v10
	v_cmp_gt_i32_e64 s3, 0, v19
	v_ashrrev_i32_e32 v22, 31, v12
	v_ashrrev_i32_e32 v19, 31, v20
	s_wait_kmcnt 0x0
	v_mad_u32 v20, v3, s7, v14
	v_bitop3_b32 v2, v2, v10, v18 bitop3:0x80
	v_mul_u32_u24_e32 v12, 36, v14
	v_xor_b32_e32 v3, vcc_lo, v22
	v_dual_mov_b32 v18, 0 :: v_dual_bitop2_b32 v10, s3, v19 bitop3:0x14
	ds_store_2addr_b32 v12, v18, v18 offset0:16 offset1:17
	ds_store_2addr_b32 v12, v18, v18 offset0:18 offset1:19
	ds_store_2addr_b32 v12, v18, v18 offset0:20 offset1:21
	ds_store_2addr_b32 v12, v18, v18 offset0:22 offset1:23
	v_bitop3_b32 v3, v2, v10, v3 bitop3:0x80
	v_lshrrev_b32_e32 v2, 5, v20
	ds_store_b32 v12, v18 offset:96
	s_wait_dscnt 0x0
	s_barrier_signal -1
	v_mbcnt_lo_u32_b32 v10, v3, 0
	v_lshlrev_b32_e32 v2, 2, v2
	v_cmp_ne_u32_e64 s3, 0, v3
	s_barrier_wait -1
	s_delay_alu instid0(VALU_DEP_3) | instskip(NEXT) | instid1(VALU_DEP_3)
	v_cmp_eq_u32_e32 vcc_lo, 0, v10
	v_mad_u32_u24 v13, 0x44, v13, v2
	; wave barrier
	s_and_b32 s4, s3, vcc_lo
	s_delay_alu instid0(SALU_CYCLE_1)
	s_and_saveexec_b32 s3, s4
; %bb.30:
	v_bcnt_u32_b32 v3, v3, 0
	ds_store_b32 v13, v3 offset:64
; %bb.31:
	s_or_b32 exec_lo, exec_lo, s3
	v_cmp_lt_i16_e32 vcc_lo, -1, v11
	; wave barrier
	v_cndmask_b32_e64 v3, -1, 0xffff8000, vcc_lo
	s_delay_alu instid0(VALU_DEP_1) | instskip(NEXT) | instid1(VALU_DEP_1)
	v_xor_b32_e32 v11, v3, v11
	v_cmp_ne_u16_e32 vcc_lo, 0x7fff, v11
	v_cndmask_b32_e32 v3, 0xffff8000, v11, vcc_lo
	s_delay_alu instid0(VALU_DEP_1) | instskip(NEXT) | instid1(VALU_DEP_1)
	v_and_b32_e32 v3, 0xffff, v3
	v_lshrrev_b32_e32 v3, s20, v3
	s_delay_alu instid0(VALU_DEP_1) | instskip(NEXT) | instid1(VALU_DEP_1)
	v_bitop3_b32 v18, v3, 1, s29 bitop3:0x80
	v_add_co_u32 v18, s3, v18, -1
	s_delay_alu instid0(VALU_DEP_1) | instskip(NEXT) | instid1(VALU_DEP_1)
	v_cndmask_b32_e64 v19, 0, 1, s3
	v_cmp_ne_u32_e32 vcc_lo, 0, v19
	s_delay_alu instid0(VALU_DEP_3) | instskip(SKIP_1) | instid1(VALU_DEP_1)
	v_xor_b32_e32 v18, vcc_lo, v18
	v_and_b32_e32 v3, s29, v3
	v_dual_lshlrev_b32 v20, 30, v3 :: v_dual_lshlrev_b32 v22, 29, v3
	v_dual_lshlrev_b32 v23, 28, v3 :: v_dual_lshlrev_b32 v24, 27, v3
	v_lshlrev_b32_e32 v26, 26, v3
	s_delay_alu instid0(VALU_DEP_3)
	v_cmp_gt_i32_e64 s3, 0, v20
	v_not_b32_e32 v19, v20
	v_cmp_gt_i32_e64 s4, 0, v22
	v_not_b32_e32 v20, v22
	v_not_b32_e32 v22, v23
	v_cmp_gt_i32_e64 s5, 0, v23
	v_cmp_gt_i32_e64 s6, 0, v24
	v_not_b32_e32 v23, v24
	v_not_b32_e32 v24, v26
	v_dual_ashrrev_i32 v22, 31, v22 :: v_dual_ashrrev_i32 v19, 31, v19
	v_ashrrev_i32_e32 v20, 31, v20
	s_delay_alu instid0(VALU_DEP_3) | instskip(NEXT) | instid1(VALU_DEP_2)
	v_dual_ashrrev_i32 v24, 31, v24 :: v_dual_lshlrev_b32 v27, 25, v3
	v_dual_lshlrev_b32 v28, 24, v3 :: v_dual_bitop2_b32 v20, s4, v20 bitop3:0x14
	s_delay_alu instid0(VALU_DEP_4)
	v_xor_b32_e32 v22, s5, v22
	v_xor_b32_e32 v19, s3, v19
	v_cmp_gt_i32_e64 s7, 0, v26
	v_cmp_gt_i32_e64 s8, 0, v27
	v_not_b32_e32 v26, v27
	v_not_b32_e32 v27, v28
	v_ashrrev_i32_e32 v23, 31, v23
	v_bitop3_b32 v18, v18, v19, exec_lo bitop3:0x80
	v_cmp_gt_i32_e64 s9, 0, v28
	s_delay_alu instid0(VALU_DEP_4)
	v_dual_ashrrev_i32 v19, 31, v26 :: v_dual_ashrrev_i32 v26, 31, v27
	v_xor_b32_e32 v24, s7, v24
	v_xor_b32_e32 v23, s6, v23
	v_bitop3_b32 v18, v18, v22, v20 bitop3:0x80
	v_mad_u32_u24 v20, 0x44, v3, v2
	v_xor_b32_e32 v3, s8, v19
	v_xor_b32_e32 v19, s9, v26
	s_delay_alu instid0(VALU_DEP_4) | instskip(SKIP_2) | instid1(VALU_DEP_1)
	v_bitop3_b32 v22, v18, v24, v23 bitop3:0x80
	ds_load_b32 v18, v20 offset:64
	; wave barrier
	v_bitop3_b32 v3, v22, v19, v3 bitop3:0x80
	v_mbcnt_lo_u32_b32 v19, v3, 0
	v_cmp_ne_u32_e64 s3, 0, v3
	s_delay_alu instid0(VALU_DEP_2) | instskip(SKIP_1) | instid1(SALU_CYCLE_1)
	v_cmp_eq_u32_e32 vcc_lo, 0, v19
	s_and_b32 s4, s3, vcc_lo
	s_and_saveexec_b32 s3, s4
	s_cbranch_execz .LBB2060_33
; %bb.32:
	s_wait_dscnt 0x0
	v_bcnt_u32_b32 v3, v3, v18
	ds_store_b32 v20, v3 offset:64
.LBB2060_33:
	s_or_b32 exec_lo, exec_lo, s3
	v_cmp_lt_i16_e32 vcc_lo, -1, v17
	; wave barrier
	v_cndmask_b32_e64 v3, -1, 0xffff8000, vcc_lo
	s_delay_alu instid0(VALU_DEP_1) | instskip(NEXT) | instid1(VALU_DEP_1)
	v_xor_b32_e32 v17, v3, v17
	v_cmp_ne_u16_e32 vcc_lo, 0x7fff, v17
	v_cndmask_b32_e32 v3, 0xffff8000, v17, vcc_lo
	s_delay_alu instid0(VALU_DEP_1) | instskip(NEXT) | instid1(VALU_DEP_1)
	v_and_b32_e32 v3, 0xffff, v3
	v_lshrrev_b32_e32 v3, s20, v3
	s_delay_alu instid0(VALU_DEP_1) | instskip(SKIP_1) | instid1(VALU_DEP_2)
	v_bitop3_b32 v22, v3, 1, s29 bitop3:0x80
	v_and_b32_e32 v3, s29, v3
	v_add_co_u32 v22, s3, v22, -1
	s_delay_alu instid0(VALU_DEP_1) | instskip(NEXT) | instid1(VALU_DEP_3)
	v_cndmask_b32_e64 v23, 0, 1, s3
	v_dual_lshlrev_b32 v24, 30, v3 :: v_dual_lshlrev_b32 v26, 29, v3
	v_lshlrev_b32_e32 v27, 28, v3
	s_delay_alu instid0(VALU_DEP_3) | instskip(NEXT) | instid1(VALU_DEP_3)
	v_cmp_ne_u32_e32 vcc_lo, 0, v23
	v_cmp_gt_i32_e64 s3, 0, v24
	v_not_b32_e32 v23, v24
	v_cmp_gt_i32_e64 s4, 0, v26
	v_not_b32_e32 v24, v26
	v_not_b32_e32 v26, v27
	s_delay_alu instid0(VALU_DEP_2) | instskip(NEXT) | instid1(VALU_DEP_2)
	v_dual_ashrrev_i32 v24, 31, v24 :: v_dual_bitop2_b32 v22, vcc_lo, v22 bitop3:0x14
	v_dual_ashrrev_i32 v26, 31, v26 :: v_dual_lshlrev_b32 v28, 27, v3
	v_dual_lshlrev_b32 v29, 26, v3 :: v_dual_lshlrev_b32 v31, 25, v3
	v_cmp_gt_i32_e64 s5, 0, v27
	v_lshlrev_b32_e32 v32, 24, v3
	s_delay_alu instid0(VALU_DEP_4)
	v_cmp_gt_i32_e64 s6, 0, v28
	v_not_b32_e32 v27, v28
	v_not_b32_e32 v28, v29
	v_ashrrev_i32_e32 v23, 31, v23
	v_cmp_gt_i32_e64 s7, 0, v29
	v_cmp_gt_i32_e64 s8, 0, v31
	v_not_b32_e32 v29, v31
	s_delay_alu instid0(VALU_DEP_4) | instskip(SKIP_3) | instid1(VALU_DEP_4)
	v_dual_ashrrev_i32 v28, 31, v28 :: v_dual_bitop2_b32 v23, s3, v23 bitop3:0x14
	v_not_b32_e32 v31, v32
	v_dual_ashrrev_i32 v27, 31, v27 :: v_dual_bitop2_b32 v24, s4, v24 bitop3:0x14
	v_xor_b32_e32 v26, s5, v26
	v_bitop3_b32 v22, v22, v23, exec_lo bitop3:0x80
	v_cmp_gt_i32_e64 s9, 0, v32
	v_dual_ashrrev_i32 v23, 31, v29 :: v_dual_ashrrev_i32 v29, 31, v31
	v_xor_b32_e32 v28, s7, v28
	v_xor_b32_e32 v27, s6, v27
	v_bitop3_b32 v22, v22, v26, v24 bitop3:0x80
	v_mad_u32_u24 v24, 0x44, v3, v2
	v_xor_b32_e32 v3, s8, v23
	v_xor_b32_e32 v23, s9, v29
	s_delay_alu instid0(VALU_DEP_4) | instskip(SKIP_2) | instid1(VALU_DEP_1)
	v_bitop3_b32 v26, v22, v28, v27 bitop3:0x80
	ds_load_b32 v22, v24 offset:64
	; wave barrier
	v_bitop3_b32 v3, v26, v23, v3 bitop3:0x80
	v_mbcnt_lo_u32_b32 v23, v3, 0
	v_cmp_ne_u32_e64 s3, 0, v3
	s_delay_alu instid0(VALU_DEP_2) | instskip(SKIP_1) | instid1(SALU_CYCLE_1)
	v_cmp_eq_u32_e32 vcc_lo, 0, v23
	s_and_b32 s4, s3, vcc_lo
	s_and_saveexec_b32 s3, s4
	s_cbranch_execz .LBB2060_35
; %bb.34:
	s_wait_dscnt 0x0
	v_bcnt_u32_b32 v3, v3, v22
	ds_store_b32 v24, v3 offset:64
.LBB2060_35:
	s_or_b32 exec_lo, exec_lo, s3
	v_cmp_lt_i16_e32 vcc_lo, -1, v21
	; wave barrier
	v_cndmask_b32_e64 v3, -1, 0xffff8000, vcc_lo
	s_delay_alu instid0(VALU_DEP_1) | instskip(NEXT) | instid1(VALU_DEP_1)
	v_xor_b32_e32 v21, v3, v21
	v_cmp_ne_u16_e32 vcc_lo, 0x7fff, v21
	v_cndmask_b32_e32 v3, 0xffff8000, v21, vcc_lo
	s_delay_alu instid0(VALU_DEP_1) | instskip(NEXT) | instid1(VALU_DEP_1)
	v_and_b32_e32 v3, 0xffff, v3
	v_lshrrev_b32_e32 v3, s20, v3
	s_delay_alu instid0(VALU_DEP_1) | instskip(SKIP_1) | instid1(VALU_DEP_2)
	v_bitop3_b32 v26, v3, 1, s29 bitop3:0x80
	v_and_b32_e32 v3, s29, v3
	v_add_co_u32 v26, s3, v26, -1
	s_delay_alu instid0(VALU_DEP_1) | instskip(NEXT) | instid1(VALU_DEP_3)
	v_cndmask_b32_e64 v27, 0, 1, s3
	v_dual_lshlrev_b32 v28, 30, v3 :: v_dual_lshlrev_b32 v29, 29, v3
	v_lshlrev_b32_e32 v31, 28, v3
	s_delay_alu instid0(VALU_DEP_3) | instskip(NEXT) | instid1(VALU_DEP_3)
	v_cmp_ne_u32_e32 vcc_lo, 0, v27
	v_cmp_gt_i32_e64 s3, 0, v28
	v_not_b32_e32 v27, v28
	v_cmp_gt_i32_e64 s4, 0, v29
	v_not_b32_e32 v28, v29
	v_not_b32_e32 v29, v31
	s_delay_alu instid0(VALU_DEP_2) | instskip(NEXT) | instid1(VALU_DEP_2)
	v_dual_ashrrev_i32 v28, 31, v28 :: v_dual_bitop2_b32 v26, vcc_lo, v26 bitop3:0x14
	v_dual_ashrrev_i32 v29, 31, v29 :: v_dual_lshlrev_b32 v32, 27, v3
	v_dual_lshlrev_b32 v33, 26, v3 :: v_dual_lshlrev_b32 v34, 25, v3
	v_lshlrev_b32_e32 v35, 24, v3
	v_cmp_gt_i32_e64 s5, 0, v31
	s_delay_alu instid0(VALU_DEP_4)
	v_cmp_gt_i32_e64 s6, 0, v32
	v_not_b32_e32 v31, v32
	v_not_b32_e32 v32, v33
	v_ashrrev_i32_e32 v27, 31, v27
	v_cmp_gt_i32_e64 s7, 0, v33
	v_cmp_gt_i32_e64 s8, 0, v34
	v_not_b32_e32 v33, v34
	v_not_b32_e32 v34, v35
	v_dual_ashrrev_i32 v32, 31, v32 :: v_dual_bitop2_b32 v27, s3, v27 bitop3:0x14
	v_dual_ashrrev_i32 v31, 31, v31 :: v_dual_bitop2_b32 v28, s4, v28 bitop3:0x14
	v_xor_b32_e32 v29, s5, v29
	v_cmp_gt_i32_e64 s9, 0, v35
	s_delay_alu instid0(VALU_DEP_4) | instskip(NEXT) | instid1(VALU_DEP_4)
	v_bitop3_b32 v26, v26, v27, exec_lo bitop3:0x80
	v_dual_ashrrev_i32 v27, 31, v33 :: v_dual_bitop2_b32 v31, s6, v31 bitop3:0x14
	v_dual_ashrrev_i32 v33, 31, v34 :: v_dual_bitop2_b32 v32, s7, v32 bitop3:0x14
	s_delay_alu instid0(VALU_DEP_3) | instskip(SKIP_1) | instid1(VALU_DEP_4)
	v_bitop3_b32 v26, v26, v29, v28 bitop3:0x80
	v_mad_u32_u24 v28, 0x44, v3, v2
	v_xor_b32_e32 v3, s8, v27
	s_delay_alu instid0(VALU_DEP_4) | instskip(NEXT) | instid1(VALU_DEP_4)
	v_xor_b32_e32 v27, s9, v33
	v_bitop3_b32 v29, v26, v32, v31 bitop3:0x80
	ds_load_b32 v26, v28 offset:64
	; wave barrier
	v_bitop3_b32 v3, v29, v27, v3 bitop3:0x80
	s_delay_alu instid0(VALU_DEP_1) | instskip(SKIP_1) | instid1(VALU_DEP_2)
	v_mbcnt_lo_u32_b32 v27, v3, 0
	v_cmp_ne_u32_e64 s3, 0, v3
	v_cmp_eq_u32_e32 vcc_lo, 0, v27
	s_and_b32 s4, s3, vcc_lo
	s_delay_alu instid0(SALU_CYCLE_1)
	s_and_saveexec_b32 s3, s4
	s_cbranch_execz .LBB2060_37
; %bb.36:
	s_wait_dscnt 0x0
	v_bcnt_u32_b32 v3, v3, v26
	ds_store_b32 v28, v3 offset:64
.LBB2060_37:
	s_or_b32 exec_lo, exec_lo, s3
	v_cmp_lt_i16_e32 vcc_lo, -1, v25
	; wave barrier
	v_cndmask_b32_e64 v3, -1, 0xffff8000, vcc_lo
	s_delay_alu instid0(VALU_DEP_1) | instskip(NEXT) | instid1(VALU_DEP_1)
	v_xor_b32_e32 v25, v3, v25
	v_cmp_ne_u16_e32 vcc_lo, 0x7fff, v25
	v_cndmask_b32_e32 v3, 0xffff8000, v25, vcc_lo
	s_delay_alu instid0(VALU_DEP_1) | instskip(NEXT) | instid1(VALU_DEP_1)
	v_and_b32_e32 v3, 0xffff, v3
	v_lshrrev_b32_e32 v3, s20, v3
	s_delay_alu instid0(VALU_DEP_1) | instskip(SKIP_1) | instid1(VALU_DEP_2)
	v_bitop3_b32 v29, v3, 1, s29 bitop3:0x80
	v_and_b32_e32 v3, s29, v3
	v_add_co_u32 v29, s3, v29, -1
	s_delay_alu instid0(VALU_DEP_1) | instskip(NEXT) | instid1(VALU_DEP_3)
	v_cndmask_b32_e64 v31, 0, 1, s3
	v_dual_lshlrev_b32 v32, 30, v3 :: v_dual_lshlrev_b32 v33, 29, v3
	v_lshlrev_b32_e32 v34, 28, v3
	s_delay_alu instid0(VALU_DEP_3) | instskip(NEXT) | instid1(VALU_DEP_3)
	v_cmp_ne_u32_e32 vcc_lo, 0, v31
	v_cmp_gt_i32_e64 s3, 0, v32
	v_not_b32_e32 v31, v32
	v_cmp_gt_i32_e64 s4, 0, v33
	v_not_b32_e32 v32, v33
	v_not_b32_e32 v33, v34
	s_delay_alu instid0(VALU_DEP_2) | instskip(NEXT) | instid1(VALU_DEP_2)
	v_dual_ashrrev_i32 v32, 31, v32 :: v_dual_bitop2_b32 v29, vcc_lo, v29 bitop3:0x14
	v_dual_ashrrev_i32 v33, 31, v33 :: v_dual_lshlrev_b32 v35, 27, v3
	v_dual_lshlrev_b32 v36, 26, v3 :: v_dual_lshlrev_b32 v37, 25, v3
	v_lshlrev_b32_e32 v38, 24, v3
	v_cmp_gt_i32_e64 s5, 0, v34
	s_delay_alu instid0(VALU_DEP_4)
	v_not_b32_e32 v34, v35
	v_ashrrev_i32_e32 v31, 31, v31
	v_cmp_gt_i32_e64 s6, 0, v35
	v_cmp_gt_i32_e64 s7, 0, v36
	v_not_b32_e32 v35, v36
	v_cmp_gt_i32_e64 s8, 0, v37
	v_not_b32_e32 v36, v37
	v_not_b32_e32 v37, v38
	v_dual_ashrrev_i32 v34, 31, v34 :: v_dual_bitop2_b32 v31, s3, v31 bitop3:0x14
	v_dual_ashrrev_i32 v35, 31, v35 :: v_dual_bitop2_b32 v32, s4, v32 bitop3:0x14
	v_xor_b32_e32 v33, s5, v33
	v_cmp_gt_i32_e64 s9, 0, v38
	s_delay_alu instid0(VALU_DEP_4) | instskip(SKIP_3) | instid1(VALU_DEP_4)
	v_bitop3_b32 v29, v29, v31, exec_lo bitop3:0x80
	v_dual_ashrrev_i32 v31, 31, v36 :: v_dual_ashrrev_i32 v36, 31, v37
	v_xor_b32_e32 v34, s6, v34
	v_xor_b32_e32 v35, s7, v35
	v_bitop3_b32 v29, v29, v33, v32 bitop3:0x80
	v_mad_u32_u24 v32, 0x44, v3, v2
	v_xor_b32_e32 v3, s8, v31
	v_xor_b32_e32 v31, s9, v36
	s_delay_alu instid0(VALU_DEP_4) | instskip(SKIP_2) | instid1(VALU_DEP_1)
	v_bitop3_b32 v33, v29, v35, v34 bitop3:0x80
	ds_load_b32 v29, v32 offset:64
	; wave barrier
	v_bitop3_b32 v3, v33, v31, v3 bitop3:0x80
	v_mbcnt_lo_u32_b32 v31, v3, 0
	v_cmp_ne_u32_e64 s3, 0, v3
	s_delay_alu instid0(VALU_DEP_2) | instskip(SKIP_1) | instid1(SALU_CYCLE_1)
	v_cmp_eq_u32_e32 vcc_lo, 0, v31
	s_and_b32 s4, s3, vcc_lo
	s_and_saveexec_b32 s3, s4
	s_cbranch_execz .LBB2060_39
; %bb.38:
	s_wait_dscnt 0x0
	v_bcnt_u32_b32 v3, v3, v29
	ds_store_b32 v32, v3 offset:64
.LBB2060_39:
	s_or_b32 exec_lo, exec_lo, s3
	v_cmp_lt_i16_e32 vcc_lo, -1, v30
	; wave barrier
	v_cndmask_b32_e64 v3, -1, 0xffff8000, vcc_lo
	s_delay_alu instid0(VALU_DEP_1) | instskip(NEXT) | instid1(VALU_DEP_1)
	v_xor_b32_e32 v30, v3, v30
	v_cmp_ne_u16_e32 vcc_lo, 0x7fff, v30
	v_cndmask_b32_e32 v3, 0xffff8000, v30, vcc_lo
	s_delay_alu instid0(VALU_DEP_1) | instskip(NEXT) | instid1(VALU_DEP_1)
	v_and_b32_e32 v3, 0xffff, v3
	v_lshrrev_b32_e32 v3, s20, v3
	s_delay_alu instid0(VALU_DEP_1) | instskip(SKIP_1) | instid1(VALU_DEP_2)
	v_bitop3_b32 v33, v3, 1, s29 bitop3:0x80
	v_and_b32_e32 v3, s29, v3
	v_add_co_u32 v33, s3, v33, -1
	s_delay_alu instid0(VALU_DEP_1) | instskip(NEXT) | instid1(VALU_DEP_3)
	v_cndmask_b32_e64 v34, 0, 1, s3
	v_lshlrev_b32_e32 v35, 30, v3
	s_delay_alu instid0(VALU_DEP_2) | instskip(NEXT) | instid1(VALU_DEP_2)
	v_cmp_ne_u32_e32 vcc_lo, 0, v34
	v_not_b32_e32 v34, v35
	s_delay_alu instid0(VALU_DEP_1) | instskip(SKIP_4) | instid1(VALU_DEP_4)
	v_dual_ashrrev_i32 v34, 31, v34 :: v_dual_bitop2_b32 v33, vcc_lo, v33 bitop3:0x14
	v_dual_lshlrev_b32 v36, 29, v3 :: v_dual_lshlrev_b32 v37, 28, v3
	v_dual_lshlrev_b32 v38, 27, v3 :: v_dual_lshlrev_b32 v39, 26, v3
	v_lshlrev_b32_e32 v40, 25, v3
	v_cmp_gt_i32_e64 s3, 0, v35
	v_cmp_gt_i32_e64 s4, 0, v36
	v_not_b32_e32 v35, v36
	v_not_b32_e32 v36, v37
	v_lshlrev_b32_e32 v41, 24, v3
	v_cmp_gt_i32_e64 s5, 0, v37
	v_cmp_gt_i32_e64 s6, 0, v38
	v_not_b32_e32 v37, v38
	v_not_b32_e32 v38, v39
	v_dual_ashrrev_i32 v35, 31, v35 :: v_dual_bitop2_b32 v34, s3, v34 bitop3:0x14
	v_ashrrev_i32_e32 v36, 31, v36
	v_cmp_gt_i32_e64 s7, 0, v39
	v_cmp_gt_i32_e64 s8, 0, v40
	v_not_b32_e32 v39, v40
	v_not_b32_e32 v40, v41
	v_dual_ashrrev_i32 v37, 31, v37 :: v_dual_ashrrev_i32 v38, 31, v38
	v_xor_b32_e32 v35, s4, v35
	v_xor_b32_e32 v36, s5, v36
	v_bitop3_b32 v33, v33, v34, exec_lo bitop3:0x80
	v_cmp_gt_i32_e64 s9, 0, v41
	v_dual_ashrrev_i32 v34, 31, v39 :: v_dual_ashrrev_i32 v39, 31, v40
	v_xor_b32_e32 v37, s6, v37
	v_xor_b32_e32 v38, s7, v38
	v_bitop3_b32 v33, v33, v36, v35 bitop3:0x80
	v_mad_u32_u24 v36, 0x44, v3, v2
	v_xor_b32_e32 v3, s8, v34
	v_xor_b32_e32 v34, s9, v39
	s_delay_alu instid0(VALU_DEP_4) | instskip(SKIP_2) | instid1(VALU_DEP_1)
	v_bitop3_b32 v35, v33, v38, v37 bitop3:0x80
	ds_load_b32 v33, v36 offset:64
	; wave barrier
	v_bitop3_b32 v3, v35, v34, v3 bitop3:0x80
	v_mbcnt_lo_u32_b32 v34, v3, 0
	v_cmp_ne_u32_e64 s3, 0, v3
	s_delay_alu instid0(VALU_DEP_2) | instskip(SKIP_1) | instid1(SALU_CYCLE_1)
	v_cmp_eq_u32_e32 vcc_lo, 0, v34
	s_and_b32 s4, s3, vcc_lo
	s_and_saveexec_b32 s3, s4
	s_cbranch_execz .LBB2060_41
; %bb.40:
	s_wait_dscnt 0x0
	v_bcnt_u32_b32 v3, v3, v33
	ds_store_b32 v36, v3 offset:64
.LBB2060_41:
	s_or_b32 exec_lo, exec_lo, s3
	v_cmp_lt_i16_e32 vcc_lo, -1, v9
	; wave barrier
	v_cndmask_b32_e64 v3, -1, 0xffff8000, vcc_lo
	s_delay_alu instid0(VALU_DEP_1) | instskip(NEXT) | instid1(VALU_DEP_1)
	v_xor_b32_e32 v35, v3, v9
	v_cmp_ne_u16_e32 vcc_lo, 0x7fff, v35
	v_cndmask_b32_e32 v3, 0xffff8000, v35, vcc_lo
	s_delay_alu instid0(VALU_DEP_1) | instskip(NEXT) | instid1(VALU_DEP_1)
	v_and_b32_e32 v3, 0xffff, v3
	v_lshrrev_b32_e32 v3, s20, v3
	s_delay_alu instid0(VALU_DEP_1) | instskip(SKIP_1) | instid1(VALU_DEP_2)
	v_bitop3_b32 v9, v3, 1, s29 bitop3:0x80
	v_and_b32_e32 v3, s29, v3
	v_add_co_u32 v9, s3, v9, -1
	s_delay_alu instid0(VALU_DEP_1) | instskip(NEXT) | instid1(VALU_DEP_3)
	v_cndmask_b32_e64 v37, 0, 1, s3
	v_lshlrev_b32_e32 v38, 30, v3
	s_delay_alu instid0(VALU_DEP_2) | instskip(NEXT) | instid1(VALU_DEP_2)
	v_cmp_ne_u32_e32 vcc_lo, 0, v37
	v_not_b32_e32 v37, v38
	v_xor_b32_e32 v9, vcc_lo, v9
	s_delay_alu instid0(VALU_DEP_2) | instskip(SKIP_3) | instid1(VALU_DEP_4)
	v_dual_ashrrev_i32 v37, 31, v37 :: v_dual_lshlrev_b32 v39, 29, v3
	v_dual_lshlrev_b32 v40, 28, v3 :: v_dual_lshlrev_b32 v41, 27, v3
	v_dual_lshlrev_b32 v42, 26, v3 :: v_dual_lshlrev_b32 v43, 25, v3
	v_cmp_gt_i32_e64 s3, 0, v38
	v_cmp_gt_i32_e64 s4, 0, v39
	v_not_b32_e32 v38, v39
	v_not_b32_e32 v39, v40
	v_lshlrev_b32_e32 v44, 24, v3
	v_cmp_gt_i32_e64 s5, 0, v40
	v_cmp_gt_i32_e64 s6, 0, v41
	v_not_b32_e32 v40, v41
	v_not_b32_e32 v41, v42
	v_dual_ashrrev_i32 v38, 31, v38 :: v_dual_ashrrev_i32 v39, 31, v39
	v_xor_b32_e32 v37, s3, v37
	v_cmp_gt_i32_e64 s7, 0, v42
	v_cmp_gt_i32_e64 s8, 0, v43
	v_not_b32_e32 v42, v43
	v_not_b32_e32 v43, v44
	v_dual_ashrrev_i32 v40, 31, v40 :: v_dual_ashrrev_i32 v41, 31, v41
	v_xor_b32_e32 v38, s4, v38
	v_xor_b32_e32 v39, s5, v39
	v_bitop3_b32 v9, v9, v37, exec_lo bitop3:0x80
	v_cmp_gt_i32_e64 s9, 0, v44
	v_dual_ashrrev_i32 v37, 31, v42 :: v_dual_ashrrev_i32 v42, 31, v43
	v_xor_b32_e32 v43, s6, v40
	v_xor_b32_e32 v41, s7, v41
	v_bitop3_b32 v9, v9, v39, v38 bitop3:0x80
	v_mad_u32_u24 v40, 0x44, v3, v2
	v_xor_b32_e32 v3, s8, v37
	v_xor_b32_e32 v37, s9, v42
	s_delay_alu instid0(VALU_DEP_4) | instskip(SKIP_2) | instid1(VALU_DEP_1)
	v_bitop3_b32 v9, v9, v41, v43 bitop3:0x80
	ds_load_b32 v38, v40 offset:64
	; wave barrier
	v_bitop3_b32 v3, v9, v37, v3 bitop3:0x80
	v_mbcnt_lo_u32_b32 v39, v3, 0
	v_cmp_ne_u32_e64 s3, 0, v3
	s_delay_alu instid0(VALU_DEP_2) | instskip(SKIP_1) | instid1(SALU_CYCLE_1)
	v_cmp_eq_u32_e32 vcc_lo, 0, v39
	s_and_b32 s4, s3, vcc_lo
	s_and_saveexec_b32 s3, s4
	s_cbranch_execz .LBB2060_43
; %bb.42:
	s_wait_dscnt 0x0
	v_bcnt_u32_b32 v3, v3, v38
	ds_store_b32 v40, v3 offset:64
.LBB2060_43:
	s_or_b32 exec_lo, exec_lo, s3
	v_cmp_lt_i16_e32 vcc_lo, -1, v8
	; wave barrier
	v_cndmask_b32_e64 v3, -1, 0xffff8000, vcc_lo
	s_delay_alu instid0(VALU_DEP_1) | instskip(NEXT) | instid1(VALU_DEP_1)
	v_xor_b32_e32 v37, v3, v8
	v_cmp_ne_u16_e32 vcc_lo, 0x7fff, v37
	v_cndmask_b32_e32 v3, 0xffff8000, v37, vcc_lo
	s_delay_alu instid0(VALU_DEP_1) | instskip(NEXT) | instid1(VALU_DEP_1)
	v_and_b32_e32 v3, 0xffff, v3
	v_lshrrev_b32_e32 v3, s20, v3
	s_delay_alu instid0(VALU_DEP_1) | instskip(SKIP_1) | instid1(VALU_DEP_2)
	v_bitop3_b32 v8, v3, 1, s29 bitop3:0x80
	v_and_b32_e32 v3, s29, v3
	v_add_co_u32 v8, s3, v8, -1
	s_delay_alu instid0(VALU_DEP_1) | instskip(NEXT) | instid1(VALU_DEP_3)
	v_cndmask_b32_e64 v9, 0, 1, s3
	v_lshlrev_b32_e32 v41, 30, v3
	s_delay_alu instid0(VALU_DEP_2) | instskip(NEXT) | instid1(VALU_DEP_2)
	v_cmp_ne_u32_e32 vcc_lo, 0, v9
	v_not_b32_e32 v9, v41
	s_delay_alu instid0(VALU_DEP_1) | instskip(SKIP_4) | instid1(VALU_DEP_4)
	v_dual_ashrrev_i32 v9, 31, v9 :: v_dual_bitop2_b32 v8, vcc_lo, v8 bitop3:0x14
	v_dual_lshlrev_b32 v42, 29, v3 :: v_dual_lshlrev_b32 v43, 28, v3
	v_dual_lshlrev_b32 v44, 27, v3 :: v_dual_lshlrev_b32 v45, 26, v3
	v_lshlrev_b32_e32 v46, 25, v3
	v_cmp_gt_i32_e64 s3, 0, v41
	v_cmp_gt_i32_e64 s4, 0, v42
	v_not_b32_e32 v41, v42
	v_not_b32_e32 v42, v43
	v_lshlrev_b32_e32 v47, 24, v3
	v_cmp_gt_i32_e64 s5, 0, v43
	v_cmp_gt_i32_e64 s6, 0, v44
	v_not_b32_e32 v43, v44
	v_not_b32_e32 v44, v45
	v_dual_ashrrev_i32 v41, 31, v41 :: v_dual_ashrrev_i32 v42, 31, v42
	v_xor_b32_e32 v9, s3, v9
	v_cmp_gt_i32_e64 s7, 0, v45
	v_cmp_gt_i32_e64 s8, 0, v46
	v_not_b32_e32 v45, v46
	v_not_b32_e32 v46, v47
	v_dual_ashrrev_i32 v43, 31, v43 :: v_dual_ashrrev_i32 v44, 31, v44
	v_xor_b32_e32 v41, s4, v41
	v_xor_b32_e32 v42, s5, v42
	v_bitop3_b32 v8, v8, v9, exec_lo bitop3:0x80
	v_cmp_gt_i32_e64 s9, 0, v47
	v_dual_ashrrev_i32 v9, 31, v45 :: v_dual_ashrrev_i32 v45, 31, v46
	v_xor_b32_e32 v43, s6, v43
	v_xor_b32_e32 v46, s7, v44
	v_bitop3_b32 v8, v8, v42, v41 bitop3:0x80
	v_mad_u32_u24 v44, 0x44, v3, v2
	v_xor_b32_e32 v3, s8, v9
	v_xor_b32_e32 v9, s9, v45
	s_delay_alu instid0(VALU_DEP_4) | instskip(SKIP_2) | instid1(VALU_DEP_1)
	v_bitop3_b32 v8, v8, v46, v43 bitop3:0x80
	ds_load_b32 v42, v44 offset:64
	; wave barrier
	v_bitop3_b32 v3, v8, v9, v3 bitop3:0x80
	v_mbcnt_lo_u32_b32 v43, v3, 0
	v_cmp_ne_u32_e64 s3, 0, v3
	s_delay_alu instid0(VALU_DEP_2) | instskip(SKIP_1) | instid1(SALU_CYCLE_1)
	v_cmp_eq_u32_e32 vcc_lo, 0, v43
	s_and_b32 s4, s3, vcc_lo
	s_and_saveexec_b32 s3, s4
	s_cbranch_execz .LBB2060_45
; %bb.44:
	s_wait_dscnt 0x0
	v_bcnt_u32_b32 v3, v3, v42
	ds_store_b32 v44, v3 offset:64
.LBB2060_45:
	s_or_b32 exec_lo, exec_lo, s3
	v_cmp_lt_i16_e32 vcc_lo, -1, v7
	; wave barrier
	v_cndmask_b32_e64 v3, -1, 0xffff8000, vcc_lo
	s_delay_alu instid0(VALU_DEP_1) | instskip(NEXT) | instid1(VALU_DEP_1)
	v_xor_b32_e32 v41, v3, v7
	v_cmp_ne_u16_e32 vcc_lo, 0x7fff, v41
	v_cndmask_b32_e32 v3, 0xffff8000, v41, vcc_lo
	s_delay_alu instid0(VALU_DEP_1) | instskip(NEXT) | instid1(VALU_DEP_1)
	v_and_b32_e32 v3, 0xffff, v3
	v_lshrrev_b32_e32 v3, s20, v3
	s_delay_alu instid0(VALU_DEP_1) | instskip(SKIP_1) | instid1(VALU_DEP_2)
	v_bitop3_b32 v7, v3, 1, s29 bitop3:0x80
	v_and_b32_e32 v3, s29, v3
	v_add_co_u32 v7, s3, v7, -1
	s_delay_alu instid0(VALU_DEP_1) | instskip(NEXT) | instid1(VALU_DEP_3)
	v_cndmask_b32_e64 v8, 0, 1, s3
	v_dual_lshlrev_b32 v9, 30, v3 :: v_dual_lshlrev_b32 v45, 29, v3
	v_lshlrev_b32_e32 v46, 28, v3
	s_delay_alu instid0(VALU_DEP_3) | instskip(NEXT) | instid1(VALU_DEP_3)
	v_cmp_ne_u32_e32 vcc_lo, 0, v8
	v_cmp_gt_i32_e64 s3, 0, v9
	v_not_b32_e32 v8, v9
	v_cmp_gt_i32_e64 s4, 0, v45
	v_not_b32_e32 v9, v45
	v_not_b32_e32 v45, v46
	s_delay_alu instid0(VALU_DEP_2) | instskip(NEXT) | instid1(VALU_DEP_2)
	v_dual_ashrrev_i32 v8, 31, v8 :: v_dual_ashrrev_i32 v9, 31, v9
	v_dual_ashrrev_i32 v45, 31, v45 :: v_dual_lshlrev_b32 v47, 27, v3
	v_dual_lshlrev_b32 v48, 26, v3 :: v_dual_lshlrev_b32 v49, 25, v3
	s_delay_alu instid0(VALU_DEP_3) | instskip(SKIP_1) | instid1(VALU_DEP_4)
	v_dual_lshlrev_b32 v50, 24, v3 :: v_dual_bitop2_b32 v8, s3, v8 bitop3:0x14
	v_cmp_gt_i32_e64 s5, 0, v46
	v_cmp_gt_i32_e64 s6, 0, v47
	v_not_b32_e32 v46, v47
	v_cmp_gt_i32_e64 s7, 0, v48
	v_not_b32_e32 v47, v48
	v_not_b32_e32 v48, v49
	v_xor_b32_e32 v7, vcc_lo, v7
	v_cmp_gt_i32_e64 s8, 0, v49
	v_not_b32_e32 v49, v50
	v_dual_ashrrev_i32 v46, 31, v46 :: v_dual_ashrrev_i32 v47, 31, v47
	v_xor_b32_e32 v9, s4, v9
	v_xor_b32_e32 v45, s5, v45
	v_bitop3_b32 v7, v7, v8, exec_lo bitop3:0x80
	v_cmp_gt_i32_e64 s9, 0, v50
	v_dual_ashrrev_i32 v8, 31, v48 :: v_dual_ashrrev_i32 v49, 31, v49
	v_xor_b32_e32 v46, s6, v46
	v_xor_b32_e32 v47, s7, v47
	v_bitop3_b32 v7, v7, v45, v9 bitop3:0x80
	v_mad_u32_u24 v48, 0x44, v3, v2
	v_xor_b32_e32 v3, s8, v8
	v_xor_b32_e32 v8, s9, v49
	s_delay_alu instid0(VALU_DEP_4) | instskip(SKIP_2) | instid1(VALU_DEP_1)
	v_bitop3_b32 v7, v7, v47, v46 bitop3:0x80
	ds_load_b32 v46, v48 offset:64
	; wave barrier
	v_bitop3_b32 v3, v7, v8, v3 bitop3:0x80
	v_mbcnt_lo_u32_b32 v47, v3, 0
	v_cmp_ne_u32_e64 s3, 0, v3
	s_delay_alu instid0(VALU_DEP_2) | instskip(SKIP_1) | instid1(SALU_CYCLE_1)
	v_cmp_eq_u32_e32 vcc_lo, 0, v47
	s_and_b32 s4, s3, vcc_lo
	s_and_saveexec_b32 s3, s4
	s_cbranch_execz .LBB2060_47
; %bb.46:
	s_wait_dscnt 0x0
	v_bcnt_u32_b32 v3, v3, v46
	ds_store_b32 v48, v3 offset:64
.LBB2060_47:
	s_or_b32 exec_lo, exec_lo, s3
	v_cmp_lt_i16_e32 vcc_lo, -1, v6
	; wave barrier
	v_cndmask_b32_e64 v3, -1, 0xffff8000, vcc_lo
	s_delay_alu instid0(VALU_DEP_1) | instskip(NEXT) | instid1(VALU_DEP_1)
	v_xor_b32_e32 v45, v3, v6
	v_cmp_ne_u16_e32 vcc_lo, 0x7fff, v45
	v_cndmask_b32_e32 v3, 0xffff8000, v45, vcc_lo
	s_delay_alu instid0(VALU_DEP_1) | instskip(NEXT) | instid1(VALU_DEP_1)
	v_and_b32_e32 v3, 0xffff, v3
	v_lshrrev_b32_e32 v3, s20, v3
	s_delay_alu instid0(VALU_DEP_1) | instskip(SKIP_1) | instid1(VALU_DEP_2)
	v_bitop3_b32 v6, v3, 1, s29 bitop3:0x80
	v_and_b32_e32 v3, s29, v3
	v_add_co_u32 v6, s3, v6, -1
	s_delay_alu instid0(VALU_DEP_1) | instskip(NEXT) | instid1(VALU_DEP_3)
	v_cndmask_b32_e64 v7, 0, 1, s3
	v_dual_lshlrev_b32 v8, 30, v3 :: v_dual_lshlrev_b32 v9, 29, v3
	v_lshlrev_b32_e32 v49, 28, v3
	s_delay_alu instid0(VALU_DEP_3) | instskip(NEXT) | instid1(VALU_DEP_3)
	v_cmp_ne_u32_e32 vcc_lo, 0, v7
	v_cmp_gt_i32_e64 s3, 0, v8
	v_not_b32_e32 v7, v8
	v_cmp_gt_i32_e64 s4, 0, v9
	v_not_b32_e32 v8, v9
	v_not_b32_e32 v9, v49
	s_delay_alu instid0(VALU_DEP_2) | instskip(NEXT) | instid1(VALU_DEP_2)
	v_dual_ashrrev_i32 v8, 31, v8 :: v_dual_bitop2_b32 v6, vcc_lo, v6 bitop3:0x14
	v_dual_ashrrev_i32 v9, 31, v9 :: v_dual_lshlrev_b32 v50, 27, v3
	v_dual_lshlrev_b32 v51, 26, v3 :: v_dual_lshlrev_b32 v52, 25, v3
	v_cmp_gt_i32_e64 s5, 0, v49
	v_lshlrev_b32_e32 v53, 24, v3
	s_delay_alu instid0(VALU_DEP_4) | instskip(SKIP_4) | instid1(VALU_DEP_4)
	v_not_b32_e32 v49, v50
	v_ashrrev_i32_e32 v7, 31, v7
	v_cmp_gt_i32_e64 s6, 0, v50
	v_not_b32_e32 v50, v51
	v_cmp_gt_i32_e64 s7, 0, v51
	v_dual_ashrrev_i32 v49, 31, v49 :: v_dual_bitop2_b32 v7, s3, v7 bitop3:0x14
	v_cmp_gt_i32_e64 s8, 0, v52
	v_not_b32_e32 v51, v52
	v_not_b32_e32 v52, v53
	v_dual_ashrrev_i32 v50, 31, v50 :: v_dual_bitop2_b32 v8, s4, v8 bitop3:0x14
	v_xor_b32_e32 v9, s5, v9
	v_bitop3_b32 v6, v6, v7, exec_lo bitop3:0x80
	v_cmp_gt_i32_e64 s9, 0, v53
	v_dual_ashrrev_i32 v7, 31, v51 :: v_dual_ashrrev_i32 v51, 31, v52
	v_xor_b32_e32 v49, s6, v49
	v_xor_b32_e32 v50, s7, v50
	v_bitop3_b32 v6, v6, v9, v8 bitop3:0x80
	v_mad_u32_u24 v52, 0x44, v3, v2
	v_xor_b32_e32 v3, s8, v7
	v_xor_b32_e32 v7, s9, v51
	s_delay_alu instid0(VALU_DEP_4) | instskip(SKIP_2) | instid1(VALU_DEP_1)
	v_bitop3_b32 v6, v6, v50, v49 bitop3:0x80
	ds_load_b32 v49, v52 offset:64
	; wave barrier
	v_bitop3_b32 v3, v6, v7, v3 bitop3:0x80
	v_mbcnt_lo_u32_b32 v51, v3, 0
	v_cmp_ne_u32_e64 s3, 0, v3
	s_delay_alu instid0(VALU_DEP_2) | instskip(SKIP_1) | instid1(SALU_CYCLE_1)
	v_cmp_eq_u32_e32 vcc_lo, 0, v51
	s_and_b32 s4, s3, vcc_lo
	s_and_saveexec_b32 s3, s4
	s_cbranch_execz .LBB2060_49
; %bb.48:
	s_wait_dscnt 0x0
	v_bcnt_u32_b32 v3, v3, v49
	ds_store_b32 v52, v3 offset:64
.LBB2060_49:
	s_or_b32 exec_lo, exec_lo, s3
	v_cmp_lt_i16_e32 vcc_lo, -1, v5
	; wave barrier
	v_cndmask_b32_e64 v3, -1, 0xffff8000, vcc_lo
	s_delay_alu instid0(VALU_DEP_1) | instskip(NEXT) | instid1(VALU_DEP_1)
	v_xor_b32_e32 v50, v3, v5
	v_cmp_ne_u16_e32 vcc_lo, 0x7fff, v50
	v_cndmask_b32_e32 v3, 0xffff8000, v50, vcc_lo
	s_delay_alu instid0(VALU_DEP_1) | instskip(NEXT) | instid1(VALU_DEP_1)
	v_and_b32_e32 v3, 0xffff, v3
	v_lshrrev_b32_e32 v3, s20, v3
	s_delay_alu instid0(VALU_DEP_1) | instskip(SKIP_1) | instid1(VALU_DEP_2)
	v_bitop3_b32 v5, v3, 1, s29 bitop3:0x80
	v_and_b32_e32 v3, s29, v3
	v_add_co_u32 v5, s3, v5, -1
	s_delay_alu instid0(VALU_DEP_1) | instskip(NEXT) | instid1(VALU_DEP_3)
	v_cndmask_b32_e64 v6, 0, 1, s3
	v_lshlrev_b32_e32 v7, 30, v3
	s_delay_alu instid0(VALU_DEP_2) | instskip(NEXT) | instid1(VALU_DEP_2)
	v_cmp_ne_u32_e32 vcc_lo, 0, v6
	v_not_b32_e32 v6, v7
	s_delay_alu instid0(VALU_DEP_1) | instskip(SKIP_4) | instid1(VALU_DEP_4)
	v_dual_ashrrev_i32 v6, 31, v6 :: v_dual_bitop2_b32 v5, vcc_lo, v5 bitop3:0x14
	v_dual_lshlrev_b32 v8, 29, v3 :: v_dual_lshlrev_b32 v9, 28, v3
	v_dual_lshlrev_b32 v53, 27, v3 :: v_dual_lshlrev_b32 v54, 26, v3
	v_lshlrev_b32_e32 v55, 25, v3
	v_cmp_gt_i32_e64 s3, 0, v7
	v_cmp_gt_i32_e64 s4, 0, v8
	v_not_b32_e32 v7, v8
	v_not_b32_e32 v8, v9
	v_lshlrev_b32_e32 v56, 24, v3
	v_cmp_gt_i32_e64 s5, 0, v9
	v_cmp_gt_i32_e64 s6, 0, v53
	v_not_b32_e32 v9, v53
	v_not_b32_e32 v53, v54
	v_dual_ashrrev_i32 v7, 31, v7 :: v_dual_bitop2_b32 v6, s3, v6 bitop3:0x14
	v_ashrrev_i32_e32 v8, 31, v8
	v_cmp_gt_i32_e64 s7, 0, v54
	v_cmp_gt_i32_e64 s8, 0, v55
	v_not_b32_e32 v54, v55
	v_not_b32_e32 v55, v56
	v_dual_ashrrev_i32 v9, 31, v9 :: v_dual_bitop2_b32 v7, s4, v7 bitop3:0x14
	v_dual_ashrrev_i32 v53, 31, v53 :: v_dual_bitop2_b32 v8, s5, v8 bitop3:0x14
	v_bitop3_b32 v5, v5, v6, exec_lo bitop3:0x80
	v_cmp_gt_i32_e64 s9, 0, v56
	v_dual_ashrrev_i32 v6, 31, v54 :: v_dual_ashrrev_i32 v54, 31, v55
	v_xor_b32_e32 v9, s6, v9
	v_xor_b32_e32 v53, s7, v53
	v_bitop3_b32 v5, v5, v8, v7 bitop3:0x80
	v_mad_u32_u24 v57, 0x44, v3, v2
	v_xor_b32_e32 v3, s8, v6
	v_xor_b32_e32 v6, s9, v54
	s_delay_alu instid0(VALU_DEP_4) | instskip(SKIP_2) | instid1(VALU_DEP_1)
	v_bitop3_b32 v5, v5, v53, v9 bitop3:0x80
	ds_load_b32 v53, v57 offset:64
	; wave barrier
	v_bitop3_b32 v3, v5, v6, v3 bitop3:0x80
	v_mbcnt_lo_u32_b32 v54, v3, 0
	v_cmp_ne_u32_e64 s3, 0, v3
	s_delay_alu instid0(VALU_DEP_2) | instskip(SKIP_1) | instid1(SALU_CYCLE_1)
	v_cmp_eq_u32_e32 vcc_lo, 0, v54
	s_and_b32 s4, s3, vcc_lo
	s_and_saveexec_b32 s3, s4
	s_cbranch_execz .LBB2060_51
; %bb.50:
	s_wait_dscnt 0x0
	v_bcnt_u32_b32 v3, v3, v53
	ds_store_b32 v57, v3 offset:64
.LBB2060_51:
	s_or_b32 exec_lo, exec_lo, s3
	v_cmp_lt_i16_e32 vcc_lo, -1, v4
	; wave barrier
	v_cndmask_b32_e64 v3, -1, 0xffff8000, vcc_lo
	s_delay_alu instid0(VALU_DEP_1) | instskip(NEXT) | instid1(VALU_DEP_1)
	v_xor_b32_e32 v55, v3, v4
	v_cmp_ne_u16_e32 vcc_lo, 0x7fff, v55
	v_cndmask_b32_e32 v3, 0xffff8000, v55, vcc_lo
	s_delay_alu instid0(VALU_DEP_1) | instskip(NEXT) | instid1(VALU_DEP_1)
	v_and_b32_e32 v3, 0xffff, v3
	v_lshrrev_b32_e32 v3, s20, v3
	s_delay_alu instid0(VALU_DEP_1) | instskip(SKIP_1) | instid1(VALU_DEP_2)
	v_bitop3_b32 v4, v3, 1, s29 bitop3:0x80
	v_and_b32_e32 v3, s29, v3
	v_add_co_u32 v4, s3, v4, -1
	s_delay_alu instid0(VALU_DEP_1) | instskip(NEXT) | instid1(VALU_DEP_3)
	v_cndmask_b32_e64 v5, 0, 1, s3
	v_lshlrev_b32_e32 v6, 30, v3
	s_delay_alu instid0(VALU_DEP_2) | instskip(NEXT) | instid1(VALU_DEP_2)
	v_cmp_ne_u32_e32 vcc_lo, 0, v5
	v_not_b32_e32 v5, v6
	s_delay_alu instid0(VALU_DEP_1) | instskip(SKIP_4) | instid1(VALU_DEP_4)
	v_dual_ashrrev_i32 v5, 31, v5 :: v_dual_bitop2_b32 v4, vcc_lo, v4 bitop3:0x14
	v_dual_lshlrev_b32 v7, 29, v3 :: v_dual_lshlrev_b32 v8, 28, v3
	v_dual_lshlrev_b32 v9, 27, v3 :: v_dual_lshlrev_b32 v56, 26, v3
	v_lshlrev_b32_e32 v58, 25, v3
	v_cmp_gt_i32_e64 s3, 0, v6
	v_cmp_gt_i32_e64 s4, 0, v7
	v_not_b32_e32 v6, v7
	v_not_b32_e32 v7, v8
	v_lshlrev_b32_e32 v59, 24, v3
	v_cmp_gt_i32_e64 s5, 0, v8
	v_cmp_gt_i32_e64 s6, 0, v9
	v_not_b32_e32 v8, v9
	v_not_b32_e32 v9, v56
	v_dual_ashrrev_i32 v6, 31, v6 :: v_dual_ashrrev_i32 v7, 31, v7
	v_xor_b32_e32 v5, s3, v5
	v_cmp_gt_i32_e64 s7, 0, v56
	v_cmp_gt_i32_e64 s8, 0, v58
	v_not_b32_e32 v56, v58
	v_not_b32_e32 v58, v59
	v_dual_ashrrev_i32 v8, 31, v8 :: v_dual_ashrrev_i32 v9, 31, v9
	v_xor_b32_e32 v6, s4, v6
	v_xor_b32_e32 v7, s5, v7
	v_bitop3_b32 v4, v4, v5, exec_lo bitop3:0x80
	v_cmp_gt_i32_e64 s9, 0, v59
	v_dual_ashrrev_i32 v5, 31, v56 :: v_dual_ashrrev_i32 v56, 31, v58
	v_xor_b32_e32 v8, s6, v8
	v_xor_b32_e32 v9, s7, v9
	v_bitop3_b32 v4, v4, v7, v6 bitop3:0x80
	v_mad_u32_u24 v59, 0x44, v3, v2
	v_xor_b32_e32 v2, s8, v5
	v_xor_b32_e32 v3, s9, v56
	s_delay_alu instid0(VALU_DEP_4) | instskip(SKIP_2) | instid1(VALU_DEP_1)
	v_bitop3_b32 v4, v4, v9, v8 bitop3:0x80
	ds_load_b32 v56, v59 offset:64
	; wave barrier
	v_bitop3_b32 v2, v4, v3, v2 bitop3:0x80
	v_mbcnt_lo_u32_b32 v58, v2, 0
	v_cmp_ne_u32_e64 s3, 0, v2
	s_delay_alu instid0(VALU_DEP_2) | instskip(SKIP_1) | instid1(SALU_CYCLE_1)
	v_cmp_eq_u32_e32 vcc_lo, 0, v58
	s_and_b32 s4, s3, vcc_lo
	s_and_saveexec_b32 s3, s4
	s_cbranch_execz .LBB2060_53
; %bb.52:
	s_wait_dscnt 0x0
	v_bcnt_u32_b32 v2, v2, v56
	ds_store_b32 v59, v2 offset:64
.LBB2060_53:
	s_or_b32 exec_lo, exec_lo, s3
	; wave barrier
	s_wait_dscnt 0x0
	s_barrier_signal -1
	s_barrier_wait -1
	ds_load_2addr_b32 v[8:9], v12 offset0:16 offset1:17
	ds_load_2addr_b32 v[6:7], v12 offset0:18 offset1:19
	;; [unrolled: 1-line block ×4, first 2 shown]
	ds_load_b32 v60, v12 offset:96
	s_mov_b32 s7, exec_lo
	s_wait_dscnt 0x3
	v_add3_u32 v61, v9, v8, v6
	s_wait_dscnt 0x2
	s_delay_alu instid0(VALU_DEP_1) | instskip(SKIP_1) | instid1(VALU_DEP_1)
	v_add3_u32 v61, v61, v7, v4
	s_wait_dscnt 0x1
	v_add3_u32 v61, v61, v5, v2
	s_wait_dscnt 0x0
	s_delay_alu instid0(VALU_DEP_1) | instskip(SKIP_1) | instid1(VALU_DEP_2)
	v_add3_u32 v60, v61, v3, v60
	v_and_b32_e32 v61, 15, v15
	v_mov_b32_dpp v62, v60 row_shr:1 row_mask:0xf bank_mask:0xf
	s_delay_alu instid0(VALU_DEP_2) | instskip(NEXT) | instid1(VALU_DEP_2)
	v_cmp_eq_u32_e32 vcc_lo, 0, v61
	v_cndmask_b32_e64 v62, v62, 0, vcc_lo
	s_delay_alu instid0(VALU_DEP_1) | instskip(SKIP_3) | instid1(VALU_DEP_4)
	v_add_nc_u32_e32 v60, v62, v60
	v_cmp_lt_u32_e64 s3, 1, v61
	v_cmp_lt_u32_e64 s4, 3, v61
	;; [unrolled: 1-line block ×3, first 2 shown]
	v_mov_b32_dpp v62, v60 row_shr:2 row_mask:0xf bank_mask:0xf
	s_delay_alu instid0(VALU_DEP_1) | instskip(NEXT) | instid1(VALU_DEP_1)
	v_cndmask_b32_e64 v62, 0, v62, s3
	v_add_nc_u32_e32 v60, v60, v62
	s_delay_alu instid0(VALU_DEP_1) | instskip(NEXT) | instid1(VALU_DEP_1)
	v_mov_b32_dpp v62, v60 row_shr:4 row_mask:0xf bank_mask:0xf
	v_cndmask_b32_e64 v62, 0, v62, s4
	s_delay_alu instid0(VALU_DEP_1) | instskip(NEXT) | instid1(VALU_DEP_1)
	v_add_nc_u32_e32 v60, v60, v62
	v_mov_b32_dpp v62, v60 row_shr:8 row_mask:0xf bank_mask:0xf
	s_delay_alu instid0(VALU_DEP_1) | instskip(SKIP_1) | instid1(VALU_DEP_2)
	v_cndmask_b32_e64 v61, 0, v62, s5
	v_bfe_i32 v62, v15, 4, 1
	v_add_nc_u32_e32 v60, v60, v61
	ds_swizzle_b32 v61, v60 offset:swizzle(BROADCAST,32,15)
	s_wait_dscnt 0x0
	v_and_b32_e32 v61, v62, v61
	v_min_u32_e32 v62, 0x1e0, v16
	s_delay_alu instid0(VALU_DEP_2) | instskip(NEXT) | instid1(VALU_DEP_2)
	v_dual_add_nc_u32 v60, v60, v61 :: v_dual_lshrrev_b32 v61, 5, v14
	v_or_b32_e32 v62, 31, v62
	s_delay_alu instid0(VALU_DEP_1)
	v_cmpx_eq_u32_e64 v14, v62
; %bb.54:
	s_delay_alu instid0(VALU_DEP_3)
	v_lshlrev_b32_e32 v62, 2, v61
	ds_store_b32 v62, v60
; %bb.55:
	s_or_b32 exec_lo, exec_lo, s7
	s_delay_alu instid0(SALU_CYCLE_1)
	s_mov_b32 s7, exec_lo
	s_wait_dscnt 0x0
	s_barrier_signal -1
	s_barrier_wait -1
	v_cmpx_gt_u32_e32 16, v14
	s_cbranch_execz .LBB2060_57
; %bb.56:
	v_lshlrev_b32_e32 v62, 2, v14
	ds_load_b32 v63, v62
	s_wait_dscnt 0x0
	v_mov_b32_dpp v64, v63 row_shr:1 row_mask:0xf bank_mask:0xf
	s_delay_alu instid0(VALU_DEP_1) | instskip(NEXT) | instid1(VALU_DEP_1)
	v_cndmask_b32_e64 v64, v64, 0, vcc_lo
	v_add_nc_u32_e32 v63, v64, v63
	s_delay_alu instid0(VALU_DEP_1) | instskip(NEXT) | instid1(VALU_DEP_1)
	v_mov_b32_dpp v64, v63 row_shr:2 row_mask:0xf bank_mask:0xf
	v_cndmask_b32_e64 v64, 0, v64, s3
	s_delay_alu instid0(VALU_DEP_1) | instskip(NEXT) | instid1(VALU_DEP_1)
	v_add_nc_u32_e32 v63, v63, v64
	v_mov_b32_dpp v64, v63 row_shr:4 row_mask:0xf bank_mask:0xf
	s_delay_alu instid0(VALU_DEP_1) | instskip(NEXT) | instid1(VALU_DEP_1)
	v_cndmask_b32_e64 v64, 0, v64, s4
	v_add_nc_u32_e32 v63, v63, v64
	s_delay_alu instid0(VALU_DEP_1) | instskip(NEXT) | instid1(VALU_DEP_1)
	v_mov_b32_dpp v64, v63 row_shr:8 row_mask:0xf bank_mask:0xf
	v_cndmask_b32_e64 v64, 0, v64, s5
	s_delay_alu instid0(VALU_DEP_1)
	v_add_nc_u32_e32 v63, v63, v64
	ds_store_b32 v62, v63
.LBB2060_57:
	s_or_b32 exec_lo, exec_lo, s7
	v_mov_b32_e32 v62, 0
	s_mov_b32 s3, exec_lo
	s_wait_dscnt 0x0
	s_barrier_signal -1
	s_barrier_wait -1
	v_cmpx_lt_u32_e32 31, v14
; %bb.58:
	v_lshl_add_u32 v61, v61, 2, -4
	ds_load_b32 v62, v61
; %bb.59:
	s_or_b32 exec_lo, exec_lo, s3
	v_sub_co_u32 v61, vcc_lo, v15, 1
	s_wait_dscnt 0x0
	v_add_nc_u32_e32 v60, v62, v60
	s_delay_alu instid0(VALU_DEP_2) | instskip(NEXT) | instid1(VALU_DEP_1)
	v_cmp_gt_i32_e64 s3, 0, v61
	v_cndmask_b32_e64 v61, v61, v15, s3
	v_cmp_gt_u32_e64 s3, 0x100, v14
	s_delay_alu instid0(VALU_DEP_2) | instskip(SKIP_4) | instid1(VALU_DEP_2)
	v_lshlrev_b32_e32 v61, 2, v61
	ds_bpermute_b32 v60, v61, v60
	s_wait_dscnt 0x0
	v_cndmask_b32_e32 v60, v60, v62, vcc_lo
	v_cmp_lt_u32_e32 vcc_lo, 0xff, v14
	v_cndmask_b32_e64 v60, v60, 0, s2
	s_delay_alu instid0(VALU_DEP_1) | instskip(NEXT) | instid1(VALU_DEP_1)
	v_add_nc_u32_e32 v8, v60, v8
	v_add_nc_u32_e32 v9, v8, v9
	s_delay_alu instid0(VALU_DEP_1) | instskip(NEXT) | instid1(VALU_DEP_1)
	v_add_nc_u32_e32 v6, v9, v6
	v_add_nc_u32_e32 v7, v6, v7
	s_delay_alu instid0(VALU_DEP_1) | instskip(NEXT) | instid1(VALU_DEP_1)
	v_add_nc_u32_e32 v4, v7, v4
	v_add_nc_u32_e32 v5, v4, v5
	s_delay_alu instid0(VALU_DEP_1) | instskip(NEXT) | instid1(VALU_DEP_1)
	v_add_nc_u32_e32 v2, v5, v2
	v_add_nc_u32_e32 v3, v2, v3
	ds_store_2addr_b32 v12, v60, v8 offset0:16 offset1:17
	ds_store_2addr_b32 v12, v9, v6 offset0:18 offset1:19
	;; [unrolled: 1-line block ×4, first 2 shown]
	ds_store_b32 v12, v3 offset:96
	s_wait_dscnt 0x0
	s_barrier_signal -1
	s_barrier_wait -1
	ds_load_b32 v61, v13 offset:64
	ds_load_b32 v62, v20 offset:64
	;; [unrolled: 1-line block ×12, first 2 shown]
	v_mov_b64_e32 v[2:3], 0
                                        ; implicit-def: $vgpr4
	s_and_saveexec_b32 s5, s3
	s_cbranch_execz .LBB2060_63
; %bb.60:
	v_mul_u32_u24_e32 v2, 0x44, v14
	v_dual_mov_b32 v3, 0x1800 :: v_dual_add_nc_u32 v4, 1, v14
	s_mov_b32 s6, exec_lo
	ds_load_b32 v2, v2 offset:64
	v_cmpx_ne_u32_e32 0x100, v4
; %bb.61:
	v_mul_u32_u24_e32 v3, 0x44, v4
	ds_load_b32 v3, v3 offset:64
; %bb.62:
	s_or_b32 exec_lo, exec_lo, s6
	s_wait_dscnt 0x0
	v_dual_mov_b32 v3, 0 :: v_dual_sub_nc_u32 v4, v3, v2
.LBB2060_63:
	s_or_b32 exec_lo, exec_lo, s5
	v_dual_lshlrev_b32 v10, 1, v10 :: v_dual_lshlrev_b32 v19, 1, v19
	s_wait_dscnt 0xa
	v_lshlrev_b32_e32 v28, 1, v62
	v_dual_lshlrev_b32 v18, 1, v18 :: v_dual_lshlrev_b32 v23, 1, v23
	s_delay_alu instid0(VALU_DEP_3) | instskip(SKIP_2) | instid1(VALU_DEP_3)
	v_lshl_add_u32 v10, v61, 1, v10
	v_lshlrev_b32_e32 v22, 1, v22
	s_wait_dscnt 0x0
	v_add3_u32 v18, v28, v19, v18
	v_lshlrev_b32_e32 v19, 1, v60
	s_barrier_signal -1
	s_barrier_wait -1
	ds_store_b16 v10, v1 offset:2048
	ds_store_b16 v18, v11 offset:2048
	v_lshlrev_b32_e32 v10, 1, v24
	v_add3_u32 v1, v19, v23, v22
	v_dual_lshlrev_b32 v11, 1, v27 :: v_dual_lshlrev_b32 v18, 1, v26
	v_dual_lshlrev_b32 v22, 1, v29 :: v_dual_lshlrev_b32 v23, 1, v34
	;; [unrolled: 1-line block ×6, first 2 shown]
	ds_store_b16 v1, v17 offset:2048
	v_add3_u32 v1, v10, v11, v18
	v_add3_u32 v11, v13, v23, v24
	v_dual_lshlrev_b32 v13, 1, v43 :: v_dual_lshlrev_b32 v17, 1, v42
	v_add3_u32 v10, v19, v20, v22
	v_add3_u32 v12, v12, v26, v27
	ds_store_b16 v1, v21 offset:2048
	ds_store_b16 v10, v25 offset:2048
	;; [unrolled: 1-line block ×4, first 2 shown]
	v_add3_u32 v1, v9, v13, v17
	v_dual_lshlrev_b32 v8, 1, v8 :: v_dual_lshlrev_b32 v9, 1, v47
	v_dual_lshlrev_b32 v10, 1, v46 :: v_dual_lshlrev_b32 v7, 1, v7
	;; [unrolled: 1-line block ×6, first 2 shown]
	ds_store_b16 v1, v37 offset:2048
	v_add3_u32 v8, v8, v9, v10
	v_add3_u32 v9, v7, v11, v12
	v_dual_mov_b32 v7, 0 :: v_dual_lshlrev_b32 v1, 3, v14
	v_add3_u32 v6, v6, v13, v17
	v_add3_u32 v5, v5, v18, v19
	ds_store_b16 v8, v41 offset:2048
	ds_store_b16 v9, v45 offset:2048
	;; [unrolled: 1-line block ×4, first 2 shown]
	s_and_saveexec_b32 s4, s3
	s_cbranch_execz .LBB2060_73
; %bb.64:
	v_lshl_add_u32 v6, s23, 8, v14
	v_dual_mov_b32 v10, 0 :: v_dual_bitop2_b32 v5, 2.0, v4 bitop3:0x54
	s_mov_b32 s5, 0
	s_mov_b32 s6, s23
	s_delay_alu instid0(VALU_DEP_2)
	v_lshl_add_u64 v[8:9], v[6:7], 2, s[10:11]
	global_store_b32 v6, v5, s[10:11] scale_offset scope:SCOPE_DEV
                                        ; implicit-def: $sgpr3
	s_branch .LBB2060_67
.LBB2060_65:                            ;   in Loop: Header=BB2060_67 Depth=1
	s_or_b32 exec_lo, exec_lo, s8
.LBB2060_66:                            ;   in Loop: Header=BB2060_67 Depth=1
	s_delay_alu instid0(SALU_CYCLE_1) | instskip(SKIP_2) | instid1(VALU_DEP_2)
	s_or_b32 exec_lo, exec_lo, s7
	v_and_b32_e32 v6, 0x3fffffff, v5
	v_cmp_gt_i32_e64 s3, -2.0, v5
	v_add_nc_u32_e32 v10, v6, v10
	s_and_b32 s7, exec_lo, s3
	s_delay_alu instid0(SALU_CYCLE_1) | instskip(NEXT) | instid1(SALU_CYCLE_1)
	s_or_b32 s5, s7, s5
	s_and_not1_b32 exec_lo, exec_lo, s5
	s_cbranch_execz .LBB2060_72
.LBB2060_67:                            ; =>This Loop Header: Depth=1
                                        ;     Child Loop BB2060_70 Depth 2
	s_or_b32 s3, s3, exec_lo
	s_cmp_eq_u32 s6, 0
	s_cbranch_scc1 .LBB2060_71
; %bb.68:                               ;   in Loop: Header=BB2060_67 Depth=1
	s_add_co_i32 s6, s6, -1
	s_mov_b32 s7, exec_lo
	s_wait_xcnt 0x0
	v_lshl_or_b32 v6, s6, 8, v14
	global_load_b32 v5, v6, s[10:11] scale_offset scope:SCOPE_DEV
	s_wait_loadcnt 0x0
	v_cmpx_gt_u32_e32 2.0, v5
	s_cbranch_execz .LBB2060_66
; %bb.69:                               ;   in Loop: Header=BB2060_67 Depth=1
	v_lshl_add_u64 v[12:13], v[6:7], 2, s[10:11]
	s_mov_b32 s8, 0
.LBB2060_70:                            ;   Parent Loop BB2060_67 Depth=1
                                        ; =>  This Inner Loop Header: Depth=2
	global_load_b32 v5, v[12:13], off scope:SCOPE_DEV
	s_wait_loadcnt 0x0
	v_cmp_lt_u32_e64 s3, 0x3fffffff, v5
	s_or_b32 s8, s3, s8
	s_wait_xcnt 0x0
	s_and_not1_b32 exec_lo, exec_lo, s8
	s_cbranch_execnz .LBB2060_70
	s_branch .LBB2060_65
.LBB2060_71:                            ;   in Loop: Header=BB2060_67 Depth=1
                                        ; implicit-def: $sgpr6
	s_and_b32 s7, exec_lo, s3
	s_delay_alu instid0(SALU_CYCLE_1)
	s_or_b32 s5, s7, s5
	s_wait_xcnt 0x0
	s_and_not1_b32 exec_lo, exec_lo, s5
	s_cbranch_execnz .LBB2060_67
.LBB2060_72:
	s_or_b32 exec_lo, exec_lo, s5
	v_dual_add_nc_u32 v5, v10, v4 :: v_dual_mov_b32 v11, 0
	s_delay_alu instid0(VALU_DEP_1)
	v_or_b32_e32 v5, 0x80000000, v5
	global_store_b32 v[8:9], v5, off scope:SCOPE_DEV
	global_load_b64 v[6:7], v14, s[12:13] scale_offset
	s_wait_xcnt 0x1
	v_sub_nc_u64_e32 v[8:9], v[10:11], v[2:3]
	s_wait_loadcnt 0x0
	s_delay_alu instid0(VALU_DEP_1)
	v_add_nc_u64_e32 v[6:7], v[8:9], v[6:7]
	ds_store_b64 v1, v[6:7]
.LBB2060_73:
	s_wait_xcnt 0x0
	s_or_b32 exec_lo, exec_lo, s4
	v_mad_i32_i24 v5, v14, -6, v1
	s_mov_b32 s4, exec_lo
	s_wait_storecnt_dscnt 0x0
	s_barrier_signal -1
	s_barrier_wait -1
	v_cmpx_gt_u32_e64 s22, v14
	s_cbranch_execz .LBB2060_75
; %bb.74:
	ds_load_u16 v10, v5 offset:2048
	v_dual_mov_b32 v9, 0 :: v_dual_lshlrev_b32 v8, 1, v14
	s_wait_dscnt 0x0
	v_cmp_ne_u16_e64 s3, 0x7fff, v10
	s_delay_alu instid0(VALU_DEP_1) | instskip(SKIP_1) | instid1(VALU_DEP_2)
	v_cndmask_b32_e64 v6, 0xffff8000, v10, s3
	v_cmp_lt_i16_e64 s3, -1, v10
	v_and_b32_e32 v6, 0xffff, v6
	s_delay_alu instid0(VALU_DEP_2) | instskip(NEXT) | instid1(VALU_DEP_2)
	v_cndmask_b32_e64 v11, 0xffff8000, -1, s3
	v_lshrrev_b32_e32 v6, s20, v6
	s_delay_alu instid0(VALU_DEP_1) | instskip(NEXT) | instid1(VALU_DEP_1)
	v_and_b32_e32 v6, s29, v6
	v_lshlrev_b32_e32 v6, 3, v6
	ds_load_b64 v[6:7], v6
	s_wait_dscnt 0x0
	v_lshl_add_u64 v[6:7], v[6:7], 1, s[18:19]
	s_delay_alu instid0(VALU_DEP_1)
	v_add_nc_u64_e32 v[6:7], v[6:7], v[8:9]
	v_xor_b32_e32 v8, v11, v10
	global_store_b16 v[6:7], v8, off
.LBB2060_75:
	s_wait_xcnt 0x0
	s_or_b32 exec_lo, exec_lo, s4
	v_add_nc_u32_e32 v6, 0x200, v14
	s_mov_b32 s4, exec_lo
	s_delay_alu instid0(VALU_DEP_1)
	v_cmpx_gt_u32_e64 s22, v6
	s_cbranch_execz .LBB2060_77
; %bb.76:
	ds_load_u16 v10, v5 offset:3072
	v_dual_mov_b32 v9, 0 :: v_dual_lshlrev_b32 v8, 1, v14
	s_wait_dscnt 0x0
	v_cmp_ne_u16_e64 s3, 0x7fff, v10
	s_delay_alu instid0(VALU_DEP_1) | instskip(SKIP_1) | instid1(VALU_DEP_2)
	v_cndmask_b32_e64 v6, 0xffff8000, v10, s3
	v_cmp_lt_i16_e64 s3, -1, v10
	v_and_b32_e32 v6, 0xffff, v6
	s_delay_alu instid0(VALU_DEP_2) | instskip(NEXT) | instid1(VALU_DEP_2)
	v_cndmask_b32_e64 v11, 0xffff8000, -1, s3
	v_lshrrev_b32_e32 v6, s20, v6
	s_delay_alu instid0(VALU_DEP_1) | instskip(NEXT) | instid1(VALU_DEP_1)
	v_and_b32_e32 v6, s29, v6
	v_lshlrev_b32_e32 v6, 3, v6
	ds_load_b64 v[6:7], v6
	s_wait_dscnt 0x0
	v_lshl_add_u64 v[6:7], v[6:7], 1, s[18:19]
	s_delay_alu instid0(VALU_DEP_1)
	v_add_nc_u64_e32 v[6:7], v[6:7], v[8:9]
	v_xor_b32_e32 v8, v11, v10
	global_store_b16 v[6:7], v8, off offset:1024
.LBB2060_77:
	s_wait_xcnt 0x0
	s_or_b32 exec_lo, exec_lo, s4
	v_or_b32_e32 v6, 0x400, v14
	s_mov_b32 s4, exec_lo
	s_delay_alu instid0(VALU_DEP_1)
	v_cmpx_gt_u32_e64 s22, v6
	s_cbranch_execz .LBB2060_79
; %bb.78:
	ds_load_u16 v10, v5 offset:4096
	v_dual_mov_b32 v9, 0 :: v_dual_lshlrev_b32 v8, 1, v14
	s_wait_dscnt 0x0
	v_cmp_ne_u16_e64 s3, 0x7fff, v10
	s_delay_alu instid0(VALU_DEP_1) | instskip(SKIP_1) | instid1(VALU_DEP_2)
	v_cndmask_b32_e64 v6, 0xffff8000, v10, s3
	v_cmp_lt_i16_e64 s3, -1, v10
	v_and_b32_e32 v6, 0xffff, v6
	s_delay_alu instid0(VALU_DEP_2) | instskip(NEXT) | instid1(VALU_DEP_2)
	v_cndmask_b32_e64 v11, 0xffff8000, -1, s3
	v_lshrrev_b32_e32 v6, s20, v6
	s_delay_alu instid0(VALU_DEP_1) | instskip(NEXT) | instid1(VALU_DEP_1)
	v_and_b32_e32 v6, s29, v6
	v_lshlrev_b32_e32 v6, 3, v6
	ds_load_b64 v[6:7], v6
	s_wait_dscnt 0x0
	v_lshl_add_u64 v[6:7], v[6:7], 1, s[18:19]
	s_delay_alu instid0(VALU_DEP_1)
	v_add_nc_u64_e32 v[6:7], v[6:7], v[8:9]
	v_xor_b32_e32 v8, v11, v10
	global_store_b16 v[6:7], v8, off offset:2048
.LBB2060_79:
	s_wait_xcnt 0x0
	s_or_b32 exec_lo, exec_lo, s4
	v_add_nc_u32_e32 v6, 0x600, v14
	s_mov_b32 s4, exec_lo
	s_delay_alu instid0(VALU_DEP_1)
	v_cmpx_gt_u32_e64 s22, v6
	s_cbranch_execz .LBB2060_81
; %bb.80:
	ds_load_u16 v10, v5 offset:5120
	v_dual_mov_b32 v9, 0 :: v_dual_lshlrev_b32 v8, 1, v14
	s_wait_dscnt 0x0
	v_cmp_ne_u16_e64 s3, 0x7fff, v10
	s_delay_alu instid0(VALU_DEP_1) | instskip(SKIP_1) | instid1(VALU_DEP_2)
	v_cndmask_b32_e64 v6, 0xffff8000, v10, s3
	v_cmp_lt_i16_e64 s3, -1, v10
	v_and_b32_e32 v6, 0xffff, v6
	s_delay_alu instid0(VALU_DEP_2) | instskip(NEXT) | instid1(VALU_DEP_2)
	v_cndmask_b32_e64 v11, 0xffff8000, -1, s3
	v_lshrrev_b32_e32 v6, s20, v6
	s_delay_alu instid0(VALU_DEP_1) | instskip(NEXT) | instid1(VALU_DEP_1)
	v_and_b32_e32 v6, s29, v6
	v_lshlrev_b32_e32 v6, 3, v6
	ds_load_b64 v[6:7], v6
	s_wait_dscnt 0x0
	v_lshl_add_u64 v[6:7], v[6:7], 1, s[18:19]
	s_delay_alu instid0(VALU_DEP_1)
	v_add_nc_u64_e32 v[6:7], v[6:7], v[8:9]
	v_xor_b32_e32 v8, v11, v10
	global_store_b16 v[6:7], v8, off offset:3072
.LBB2060_81:
	s_wait_xcnt 0x0
	s_or_b32 exec_lo, exec_lo, s4
	v_or_b32_e32 v6, 0x800, v14
	s_mov_b32 s4, exec_lo
	s_delay_alu instid0(VALU_DEP_1)
	v_cmpx_gt_u32_e64 s22, v6
	s_cbranch_execz .LBB2060_83
; %bb.82:
	ds_load_u16 v10, v5 offset:6144
	v_dual_mov_b32 v9, 0 :: v_dual_lshlrev_b32 v8, 1, v14
	s_wait_dscnt 0x0
	v_cmp_ne_u16_e64 s3, 0x7fff, v10
	s_delay_alu instid0(VALU_DEP_1) | instskip(SKIP_1) | instid1(VALU_DEP_2)
	v_cndmask_b32_e64 v6, 0xffff8000, v10, s3
	v_cmp_lt_i16_e64 s3, -1, v10
	v_and_b32_e32 v6, 0xffff, v6
	s_delay_alu instid0(VALU_DEP_2) | instskip(NEXT) | instid1(VALU_DEP_2)
	v_cndmask_b32_e64 v11, 0xffff8000, -1, s3
	v_lshrrev_b32_e32 v6, s20, v6
	s_delay_alu instid0(VALU_DEP_1) | instskip(NEXT) | instid1(VALU_DEP_1)
	v_and_b32_e32 v6, s29, v6
	v_lshlrev_b32_e32 v6, 3, v6
	ds_load_b64 v[6:7], v6
	s_wait_dscnt 0x0
	v_lshl_add_u64 v[6:7], v[6:7], 1, s[18:19]
	s_delay_alu instid0(VALU_DEP_1)
	v_add_nc_u64_e32 v[6:7], v[6:7], v[8:9]
	v_xor_b32_e32 v8, v11, v10
	global_store_b16 v[6:7], v8, off offset:4096
.LBB2060_83:
	s_wait_xcnt 0x0
	s_or_b32 exec_lo, exec_lo, s4
	v_add_nc_u32_e32 v6, 0xa00, v14
	s_mov_b32 s4, exec_lo
	s_delay_alu instid0(VALU_DEP_1)
	v_cmpx_gt_u32_e64 s22, v6
	s_cbranch_execz .LBB2060_85
; %bb.84:
	ds_load_u16 v10, v5 offset:7168
	v_dual_mov_b32 v9, 0 :: v_dual_lshlrev_b32 v8, 1, v14
	s_wait_dscnt 0x0
	v_cmp_ne_u16_e64 s3, 0x7fff, v10
	s_delay_alu instid0(VALU_DEP_1) | instskip(SKIP_1) | instid1(VALU_DEP_2)
	v_cndmask_b32_e64 v6, 0xffff8000, v10, s3
	v_cmp_lt_i16_e64 s3, -1, v10
	v_and_b32_e32 v6, 0xffff, v6
	s_delay_alu instid0(VALU_DEP_2) | instskip(NEXT) | instid1(VALU_DEP_2)
	v_cndmask_b32_e64 v11, 0xffff8000, -1, s3
	v_lshrrev_b32_e32 v6, s20, v6
	s_delay_alu instid0(VALU_DEP_1) | instskip(NEXT) | instid1(VALU_DEP_1)
	v_and_b32_e32 v6, s29, v6
	v_lshlrev_b32_e32 v6, 3, v6
	ds_load_b64 v[6:7], v6
	s_wait_dscnt 0x0
	v_lshl_add_u64 v[6:7], v[6:7], 1, s[18:19]
	s_delay_alu instid0(VALU_DEP_1)
	v_add_nc_u64_e32 v[6:7], v[6:7], v[8:9]
	v_xor_b32_e32 v8, v11, v10
	global_store_b16 v[6:7], v8, off offset:5120
.LBB2060_85:
	s_wait_xcnt 0x0
	s_or_b32 exec_lo, exec_lo, s4
	v_or_b32_e32 v6, 0xc00, v14
	s_mov_b32 s4, exec_lo
	s_delay_alu instid0(VALU_DEP_1)
	v_cmpx_gt_u32_e64 s22, v6
	s_cbranch_execz .LBB2060_87
; %bb.86:
	ds_load_u16 v10, v5 offset:8192
	v_dual_mov_b32 v9, 0 :: v_dual_lshlrev_b32 v8, 1, v14
	s_wait_dscnt 0x0
	v_cmp_ne_u16_e64 s3, 0x7fff, v10
	s_delay_alu instid0(VALU_DEP_1) | instskip(SKIP_1) | instid1(VALU_DEP_2)
	v_cndmask_b32_e64 v6, 0xffff8000, v10, s3
	v_cmp_lt_i16_e64 s3, -1, v10
	v_and_b32_e32 v6, 0xffff, v6
	s_delay_alu instid0(VALU_DEP_2) | instskip(NEXT) | instid1(VALU_DEP_2)
	v_cndmask_b32_e64 v11, 0xffff8000, -1, s3
	v_lshrrev_b32_e32 v6, s20, v6
	s_delay_alu instid0(VALU_DEP_1) | instskip(NEXT) | instid1(VALU_DEP_1)
	v_and_b32_e32 v6, s29, v6
	v_lshlrev_b32_e32 v6, 3, v6
	ds_load_b64 v[6:7], v6
	s_wait_dscnt 0x0
	v_lshl_add_u64 v[6:7], v[6:7], 1, s[18:19]
	s_delay_alu instid0(VALU_DEP_1)
	v_add_nc_u64_e32 v[6:7], v[6:7], v[8:9]
	v_xor_b32_e32 v8, v11, v10
	global_store_b16 v[6:7], v8, off offset:6144
.LBB2060_87:
	s_wait_xcnt 0x0
	s_or_b32 exec_lo, exec_lo, s4
	v_add_nc_u32_e32 v6, 0xe00, v14
	s_mov_b32 s4, exec_lo
	s_delay_alu instid0(VALU_DEP_1)
	v_cmpx_gt_u32_e64 s22, v6
	s_cbranch_execz .LBB2060_89
; %bb.88:
	ds_load_u16 v5, v5 offset:9216
	v_dual_mov_b32 v9, 0 :: v_dual_lshlrev_b32 v8, 1, v14
	s_wait_dscnt 0x0
	v_cmp_ne_u16_e64 s3, 0x7fff, v5
	s_delay_alu instid0(VALU_DEP_1) | instskip(SKIP_1) | instid1(VALU_DEP_2)
	v_cndmask_b32_e64 v6, 0xffff8000, v5, s3
	v_cmp_lt_i16_e64 s3, -1, v5
	v_and_b32_e32 v6, 0xffff, v6
	s_delay_alu instid0(VALU_DEP_2) | instskip(NEXT) | instid1(VALU_DEP_1)
	v_cndmask_b32_e64 v10, 0xffff8000, -1, s3
	v_dual_lshrrev_b32 v6, s20, v6 :: v_dual_bitop2_b32 v5, v10, v5 bitop3:0x14
	s_delay_alu instid0(VALU_DEP_1) | instskip(NEXT) | instid1(VALU_DEP_1)
	v_and_b32_e32 v6, s29, v6
	v_lshlrev_b32_e32 v6, 3, v6
	ds_load_b64 v[6:7], v6
	s_wait_dscnt 0x0
	v_lshl_add_u64 v[6:7], v[6:7], 1, s[18:19]
	s_delay_alu instid0(VALU_DEP_1)
	v_add_nc_u64_e32 v[6:7], v[6:7], v[8:9]
	global_store_b16 v[6:7], v5, off offset:7168
.LBB2060_89:
	s_wait_xcnt 0x0
	s_or_b32 exec_lo, exec_lo, s4
	v_or_b32_e32 v5, 0x1000, v14
	s_mov_b32 s4, exec_lo
	s_delay_alu instid0(VALU_DEP_1)
	v_cmpx_gt_u32_e64 s22, v5
	s_cbranch_execz .LBB2060_91
; %bb.90:
	v_lshlrev_b32_e32 v6, 1, v14
	ds_load_u16 v5, v6 offset:10240
	s_wait_dscnt 0x0
	v_cmp_ne_u16_e64 s3, 0x7fff, v5
	s_delay_alu instid0(VALU_DEP_1) | instskip(SKIP_1) | instid1(VALU_DEP_2)
	v_cndmask_b32_e64 v7, 0xffff8000, v5, s3
	v_cmp_lt_i16_e64 s3, -1, v5
	v_and_b32_e32 v7, 0xffff, v7
	s_delay_alu instid0(VALU_DEP_2) | instskip(NEXT) | instid1(VALU_DEP_1)
	v_cndmask_b32_e64 v10, 0xffff8000, -1, s3
	v_dual_lshrrev_b32 v7, s20, v7 :: v_dual_bitop2_b32 v5, v10, v5 bitop3:0x14
	s_delay_alu instid0(VALU_DEP_1) | instskip(NEXT) | instid1(VALU_DEP_1)
	v_and_b32_e32 v7, s29, v7
	v_lshlrev_b32_e32 v7, 3, v7
	ds_load_b64 v[8:9], v7
	v_mov_b32_e32 v7, 0
	s_wait_dscnt 0x0
	v_lshl_add_u64 v[8:9], v[8:9], 1, s[18:19]
	s_delay_alu instid0(VALU_DEP_1)
	v_add_nc_u64_e32 v[6:7], v[8:9], v[6:7]
	global_store_b16 v[6:7], v5, off offset:8192
.LBB2060_91:
	s_wait_xcnt 0x0
	s_or_b32 exec_lo, exec_lo, s4
	v_add_nc_u32_e32 v5, 0x1200, v14
	s_mov_b32 s4, exec_lo
	s_delay_alu instid0(VALU_DEP_1)
	v_cmpx_gt_u32_e64 s22, v5
	s_cbranch_execz .LBB2060_93
; %bb.92:
	v_lshlrev_b32_e32 v6, 1, v14
	ds_load_u16 v5, v6 offset:11264
	s_wait_dscnt 0x0
	v_cmp_ne_u16_e64 s3, 0x7fff, v5
	s_delay_alu instid0(VALU_DEP_1) | instskip(SKIP_1) | instid1(VALU_DEP_2)
	v_cndmask_b32_e64 v7, 0xffff8000, v5, s3
	v_cmp_lt_i16_e64 s3, -1, v5
	v_and_b32_e32 v7, 0xffff, v7
	s_delay_alu instid0(VALU_DEP_2) | instskip(NEXT) | instid1(VALU_DEP_1)
	v_cndmask_b32_e64 v10, 0xffff8000, -1, s3
	v_dual_lshrrev_b32 v7, s20, v7 :: v_dual_bitop2_b32 v5, v10, v5 bitop3:0x14
	s_delay_alu instid0(VALU_DEP_1) | instskip(NEXT) | instid1(VALU_DEP_1)
	v_and_b32_e32 v7, s29, v7
	v_lshlrev_b32_e32 v7, 3, v7
	ds_load_b64 v[8:9], v7
	v_mov_b32_e32 v7, 0
	s_wait_dscnt 0x0
	v_lshl_add_u64 v[8:9], v[8:9], 1, s[18:19]
	s_delay_alu instid0(VALU_DEP_1)
	v_add_nc_u64_e32 v[6:7], v[8:9], v[6:7]
	global_store_b16 v[6:7], v5, off offset:9216
.LBB2060_93:
	s_wait_xcnt 0x0
	s_or_b32 exec_lo, exec_lo, s4
	v_or_b32_e32 v5, 0x1400, v14
	s_mov_b32 s4, exec_lo
	s_delay_alu instid0(VALU_DEP_1)
	v_cmpx_gt_u32_e64 s22, v5
	s_cbranch_execz .LBB2060_95
; %bb.94:
	v_lshlrev_b32_e32 v6, 1, v14
	ds_load_u16 v5, v6 offset:12288
	s_wait_dscnt 0x0
	v_cmp_ne_u16_e64 s3, 0x7fff, v5
	s_delay_alu instid0(VALU_DEP_1) | instskip(SKIP_1) | instid1(VALU_DEP_2)
	v_cndmask_b32_e64 v7, 0xffff8000, v5, s3
	v_cmp_lt_i16_e64 s3, -1, v5
	v_and_b32_e32 v7, 0xffff, v7
	s_delay_alu instid0(VALU_DEP_2) | instskip(NEXT) | instid1(VALU_DEP_1)
	v_cndmask_b32_e64 v10, 0xffff8000, -1, s3
	v_dual_lshrrev_b32 v7, s20, v7 :: v_dual_bitop2_b32 v5, v10, v5 bitop3:0x14
	s_delay_alu instid0(VALU_DEP_1) | instskip(NEXT) | instid1(VALU_DEP_1)
	v_and_b32_e32 v7, s29, v7
	v_lshlrev_b32_e32 v7, 3, v7
	ds_load_b64 v[8:9], v7
	v_mov_b32_e32 v7, 0
	s_wait_dscnt 0x0
	v_lshl_add_u64 v[8:9], v[8:9], 1, s[18:19]
	s_delay_alu instid0(VALU_DEP_1)
	v_add_nc_u64_e32 v[6:7], v[8:9], v[6:7]
	global_store_b16 v[6:7], v5, off offset:10240
.LBB2060_95:
	s_wait_xcnt 0x0
	s_or_b32 exec_lo, exec_lo, s4
	v_add_nc_u32_e32 v5, 0x1600, v14
	s_mov_b32 s4, exec_lo
	s_delay_alu instid0(VALU_DEP_1)
	v_cmpx_gt_u32_e64 s22, v5
	s_cbranch_execz .LBB2060_97
; %bb.96:
	v_lshlrev_b32_e32 v6, 1, v14
	ds_load_u16 v5, v6 offset:13312
	s_wait_dscnt 0x0
	v_cmp_ne_u16_e64 s3, 0x7fff, v5
	s_delay_alu instid0(VALU_DEP_1) | instskip(SKIP_1) | instid1(VALU_DEP_2)
	v_cndmask_b32_e64 v7, 0xffff8000, v5, s3
	v_cmp_lt_i16_e64 s3, -1, v5
	v_and_b32_e32 v7, 0xffff, v7
	s_delay_alu instid0(VALU_DEP_2) | instskip(NEXT) | instid1(VALU_DEP_1)
	v_cndmask_b32_e64 v10, 0xffff8000, -1, s3
	v_dual_lshrrev_b32 v7, s20, v7 :: v_dual_bitop2_b32 v5, v10, v5 bitop3:0x14
	s_delay_alu instid0(VALU_DEP_1) | instskip(NEXT) | instid1(VALU_DEP_1)
	v_and_b32_e32 v7, s29, v7
	v_lshlrev_b32_e32 v7, 3, v7
	ds_load_b64 v[8:9], v7
	v_mov_b32_e32 v7, 0
	s_wait_dscnt 0x0
	v_lshl_add_u64 v[8:9], v[8:9], 1, s[18:19]
	s_delay_alu instid0(VALU_DEP_1)
	v_add_nc_u64_e32 v[6:7], v[8:9], v[6:7]
	global_store_b16 v[6:7], v5, off offset:11264
.LBB2060_97:
	s_wait_xcnt 0x0
	s_or_b32 exec_lo, exec_lo, s4
	s_add_co_i32 s25, s25, -1
	s_delay_alu instid0(SALU_CYCLE_1) | instskip(SKIP_2) | instid1(SALU_CYCLE_1)
	s_cmp_eq_u32 s23, s25
	s_cselect_b32 s3, -1, 0
	s_xor_b32 s4, vcc_lo, -1
	s_and_b32 s4, s4, s3
	s_delay_alu instid0(SALU_CYCLE_1)
	s_and_saveexec_b32 s3, s4
	s_cbranch_execz .LBB2060_99
; %bb.98:
	ds_load_b64 v[6:7], v1
	v_mov_b32_e32 v5, 0
	s_delay_alu instid0(VALU_DEP_1) | instskip(SKIP_1) | instid1(VALU_DEP_1)
	v_add_nc_u64_e32 v[2:3], v[2:3], v[4:5]
	s_wait_dscnt 0x0
	v_add_nc_u64_e32 v[2:3], v[2:3], v[6:7]
	global_store_b64 v14, v[2:3], s[14:15] scale_offset
.LBB2060_99:
	s_wait_xcnt 0x0
	s_or_b32 exec_lo, exec_lo, s3
	s_mov_b32 s4, 0
.LBB2060_100:
	s_delay_alu instid0(SALU_CYCLE_1)
	s_and_b32 vcc_lo, exec_lo, s4
	s_cbranch_vccz .LBB2060_147
; %bb.101:
	s_mov_b32 s25, 0
	v_dual_mov_b32 v9, 0 :: v_dual_lshlrev_b32 v8, 1, v15
	s_lshl_b64 s[4:5], s[24:25], 1
	v_mul_u32_u24_e32 v1, 12, v16
	s_add_nc_u64 s[4:5], s[16:17], s[4:5]
	v_bfe_u32 v12, v0, 10, 10
	v_add_nc_u64_e32 v[2:3], s[4:5], v[8:9]
	v_bfe_u32 v0, v0, 20, 10
	v_lshlrev_b32_e32 v8, 1, v1
	s_delay_alu instid0(VALU_DEP_1)
	v_add_nc_u64_e32 v[18:19], v[2:3], v[8:9]
	s_clause 0xb
	global_load_u16 v8, v[18:19], off
	global_load_u16 v10, v[18:19], off offset:64
	global_load_u16 v13, v[18:19], off offset:128
	;; [unrolled: 1-line block ×11, first 2 shown]
	s_clause 0x1
	s_load_b32 s8, s[0:1], 0x58
	s_load_u16 s3, s[0:1], 0x66
	s_wait_xcnt 0x0
	s_bfe_u32 s0, ttmp6, 0x4000c
	s_and_b32 s1, ttmp6, 15
	s_add_co_i32 s0, s0, 1
	s_delay_alu instid0(SALU_CYCLE_1) | instskip(NEXT) | instid1(SALU_CYCLE_1)
	s_mul_i32 s0, ttmp9, s0
	s_add_co_i32 s1, s1, s0
	s_cmp_eq_u32 s28, 0
	s_cselect_b32 s0, ttmp9, s1
	s_wait_kmcnt 0x0
	s_cmp_lt_u32 s0, s8
	v_mad_u32_u24 v0, v0, s3, v12
	s_cselect_b32 s24, 12, 18
	s_lshl_b32 s9, -1, s21
	s_add_nc_u64 s[0:1], s[26:27], s[24:25]
	s_load_u16 s16, s[0:1], 0x0
	s_wait_kmcnt 0x0
	v_mad_u32 v0, v0, s16, v14
	s_delay_alu instid0(VALU_DEP_1) | instskip(NEXT) | instid1(VALU_DEP_1)
	v_lshrrev_b32_e32 v0, 5, v0
	v_lshlrev_b32_e32 v0, 2, v0
	s_wait_loadcnt 0xb
	v_cmp_lt_i16_e32 vcc_lo, -1, v8
	v_cndmask_b32_e64 v11, -1, 0xffff8000, vcc_lo
	s_delay_alu instid0(VALU_DEP_1) | instskip(NEXT) | instid1(VALU_DEP_1)
	v_xor_b32_e32 v8, v11, v8
	v_cmp_ne_u16_e32 vcc_lo, 0x7fff, v8
	v_cndmask_b32_e32 v11, 0xffff8000, v8, vcc_lo
	s_delay_alu instid0(VALU_DEP_1) | instskip(NEXT) | instid1(VALU_DEP_1)
	v_and_b32_e32 v11, 0xffff, v11
	v_lshrrev_b32_e32 v11, s20, v11
	s_delay_alu instid0(VALU_DEP_1) | instskip(SKIP_2) | instid1(VALU_DEP_2)
	v_bitop3_b32 v12, v11, 1, s9 bitop3:0x40
	v_bitop3_b32 v18, v11, s9, v11 bitop3:0x30
	s_not_b32 s9, s9
	v_add_co_u32 v11, s0, v12, -1
	s_delay_alu instid0(VALU_DEP_1) | instskip(NEXT) | instid1(VALU_DEP_3)
	v_cndmask_b32_e64 v12, 0, 1, s0
	v_dual_lshlrev_b32 v17, 30, v18 :: v_dual_lshlrev_b32 v19, 29, v18
	v_dual_lshlrev_b32 v21, 28, v18 :: v_dual_lshlrev_b32 v22, 27, v18
	s_delay_alu instid0(VALU_DEP_3) | instskip(NEXT) | instid1(VALU_DEP_3)
	v_cmp_ne_u32_e32 vcc_lo, 0, v12
	v_not_b32_e32 v12, v17
	v_dual_lshlrev_b32 v23, 26, v18 :: v_dual_lshlrev_b32 v25, 25, v18
	v_lshlrev_b32_e32 v26, 24, v18
	v_cmp_gt_i32_e64 s0, 0, v17
	v_cmp_gt_i32_e64 s1, 0, v19
	v_not_b32_e32 v17, v19
	v_not_b32_e32 v19, v21
	v_ashrrev_i32_e32 v12, 31, v12
	v_cmp_gt_i32_e64 s3, 0, v21
	v_cmp_gt_i32_e64 s4, 0, v22
	v_not_b32_e32 v21, v22
	v_not_b32_e32 v22, v23
	v_dual_ashrrev_i32 v17, 31, v17 :: v_dual_bitop2_b32 v11, vcc_lo, v11 bitop3:0x14
	v_dual_ashrrev_i32 v19, 31, v19 :: v_dual_bitop2_b32 v12, s0, v12 bitop3:0x14
	v_cmp_gt_i32_e64 s5, 0, v23
	v_cmp_gt_i32_e64 s6, 0, v25
	v_not_b32_e32 v23, v25
	v_not_b32_e32 v25, v26
	v_dual_ashrrev_i32 v21, 31, v21 :: v_dual_ashrrev_i32 v22, 31, v22
	v_xor_b32_e32 v17, s1, v17
	v_xor_b32_e32 v19, s3, v19
	v_bitop3_b32 v11, v11, v12, exec_lo bitop3:0x80
	v_cmp_gt_i32_e64 s7, 0, v26
	v_dual_ashrrev_i32 v12, 31, v23 :: v_dual_ashrrev_i32 v23, 31, v25
	v_xor_b32_e32 v21, s4, v21
	v_xor_b32_e32 v22, s5, v22
	v_bitop3_b32 v11, v11, v19, v17 bitop3:0x80
	s_delay_alu instid0(VALU_DEP_4) | instskip(SKIP_1) | instid1(VALU_DEP_3)
	v_xor_b32_e32 v12, s6, v12
	v_xor_b32_e32 v17, s7, v23
	v_bitop3_b32 v19, v11, v22, v21 bitop3:0x80
	v_mul_u32_u24_e32 v11, 36, v14
	ds_store_2addr_b32 v11, v9, v9 offset0:16 offset1:17
	ds_store_2addr_b32 v11, v9, v9 offset0:18 offset1:19
	;; [unrolled: 1-line block ×4, first 2 shown]
	v_bitop3_b32 v17, v19, v17, v12 bitop3:0x80
	ds_store_b32 v11, v9 offset:96
	v_mad_u32_u24 v12, 0x44, v18, v0
	s_wait_storecnt 0x0
	s_wait_loadcnt_dscnt 0x0
	s_barrier_signal -1
	v_mbcnt_lo_u32_b32 v9, v17, 0
	v_cmp_ne_u32_e64 s0, 0, v17
	s_barrier_wait -1
	s_delay_alu instid0(VALU_DEP_2) | instskip(SKIP_1) | instid1(SALU_CYCLE_1)
	v_cmp_eq_u32_e32 vcc_lo, 0, v9
	; wave barrier
	s_and_b32 s1, s0, vcc_lo
	s_and_saveexec_b32 s0, s1
; %bb.102:
	v_bcnt_u32_b32 v17, v17, 0
	ds_store_b32 v12, v17 offset:64
; %bb.103:
	s_or_b32 exec_lo, exec_lo, s0
	v_cmp_lt_i16_e32 vcc_lo, -1, v10
	; wave barrier
	v_cndmask_b32_e64 v17, -1, 0xffff8000, vcc_lo
	s_delay_alu instid0(VALU_DEP_1) | instskip(NEXT) | instid1(VALU_DEP_1)
	v_xor_b32_e32 v10, v17, v10
	v_cmp_ne_u16_e32 vcc_lo, 0x7fff, v10
	v_cndmask_b32_e32 v17, 0xffff8000, v10, vcc_lo
	s_delay_alu instid0(VALU_DEP_1) | instskip(NEXT) | instid1(VALU_DEP_1)
	v_and_b32_e32 v17, 0xffff, v17
	v_lshrrev_b32_e32 v17, s20, v17
	s_delay_alu instid0(VALU_DEP_1) | instskip(SKIP_1) | instid1(VALU_DEP_2)
	v_bitop3_b32 v18, v17, 1, s9 bitop3:0x80
	v_and_b32_e32 v17, s9, v17
	v_add_co_u32 v18, s0, v18, -1
	s_delay_alu instid0(VALU_DEP_1) | instskip(NEXT) | instid1(VALU_DEP_3)
	v_cndmask_b32_e64 v19, 0, 1, s0
	v_lshlrev_b32_e32 v21, 30, v17
	s_delay_alu instid0(VALU_DEP_2) | instskip(NEXT) | instid1(VALU_DEP_2)
	v_cmp_ne_u32_e32 vcc_lo, 0, v19
	v_not_b32_e32 v19, v21
	s_delay_alu instid0(VALU_DEP_1) | instskip(SKIP_4) | instid1(VALU_DEP_4)
	v_dual_ashrrev_i32 v19, 31, v19 :: v_dual_bitop2_b32 v18, vcc_lo, v18 bitop3:0x14
	v_dual_lshlrev_b32 v22, 29, v17 :: v_dual_lshlrev_b32 v23, 28, v17
	v_dual_lshlrev_b32 v25, 27, v17 :: v_dual_lshlrev_b32 v26, 26, v17
	v_lshlrev_b32_e32 v27, 25, v17
	v_cmp_gt_i32_e64 s0, 0, v21
	v_cmp_gt_i32_e64 s1, 0, v22
	v_not_b32_e32 v21, v22
	v_not_b32_e32 v22, v23
	v_lshlrev_b32_e32 v28, 24, v17
	v_cmp_gt_i32_e64 s3, 0, v23
	v_cmp_gt_i32_e64 s4, 0, v25
	v_not_b32_e32 v23, v25
	v_not_b32_e32 v25, v26
	v_dual_ashrrev_i32 v21, 31, v21 :: v_dual_ashrrev_i32 v22, 31, v22
	v_xor_b32_e32 v19, s0, v19
	v_cmp_gt_i32_e64 s5, 0, v26
	v_cmp_gt_i32_e64 s6, 0, v27
	v_not_b32_e32 v26, v27
	v_not_b32_e32 v27, v28
	v_dual_ashrrev_i32 v23, 31, v23 :: v_dual_bitop2_b32 v21, s1, v21 bitop3:0x14
	v_dual_ashrrev_i32 v25, 31, v25 :: v_dual_bitop2_b32 v22, s3, v22 bitop3:0x14
	s_delay_alu instid0(VALU_DEP_3) | instskip(SKIP_4) | instid1(VALU_DEP_4)
	v_ashrrev_i32_e32 v27, 31, v27
	v_bitop3_b32 v18, v18, v19, exec_lo bitop3:0x80
	v_cmp_gt_i32_e64 s7, 0, v28
	v_dual_ashrrev_i32 v26, 31, v26 :: v_dual_bitop2_b32 v23, s4, v23 bitop3:0x14
	v_xor_b32_e32 v25, s5, v25
	v_bitop3_b32 v18, v18, v22, v21 bitop3:0x80
	v_mad_u32_u24 v19, 0x44, v17, v0
	s_delay_alu instid0(VALU_DEP_4) | instskip(SKIP_1) | instid1(VALU_DEP_4)
	v_xor_b32_e32 v21, s6, v26
	v_xor_b32_e32 v22, s7, v27
	v_bitop3_b32 v18, v18, v25, v23 bitop3:0x80
	ds_load_b32 v17, v19 offset:64
	; wave barrier
	v_bitop3_b32 v21, v18, v22, v21 bitop3:0x80
	s_delay_alu instid0(VALU_DEP_1) | instskip(SKIP_1) | instid1(VALU_DEP_2)
	v_mbcnt_lo_u32_b32 v18, v21, 0
	v_cmp_ne_u32_e64 s0, 0, v21
	v_cmp_eq_u32_e32 vcc_lo, 0, v18
	s_and_b32 s1, s0, vcc_lo
	s_delay_alu instid0(SALU_CYCLE_1)
	s_and_saveexec_b32 s0, s1
	s_cbranch_execz .LBB2060_105
; %bb.104:
	s_wait_dscnt 0x0
	v_bcnt_u32_b32 v21, v21, v17
	ds_store_b32 v19, v21 offset:64
.LBB2060_105:
	s_or_b32 exec_lo, exec_lo, s0
	v_cmp_lt_i16_e32 vcc_lo, -1, v13
	; wave barrier
	v_cndmask_b32_e64 v21, -1, 0xffff8000, vcc_lo
	s_delay_alu instid0(VALU_DEP_1) | instskip(NEXT) | instid1(VALU_DEP_1)
	v_xor_b32_e32 v13, v21, v13
	v_cmp_ne_u16_e32 vcc_lo, 0x7fff, v13
	v_cndmask_b32_e32 v21, 0xffff8000, v13, vcc_lo
	s_delay_alu instid0(VALU_DEP_1) | instskip(NEXT) | instid1(VALU_DEP_1)
	v_and_b32_e32 v21, 0xffff, v21
	v_lshrrev_b32_e32 v21, s20, v21
	s_delay_alu instid0(VALU_DEP_1) | instskip(NEXT) | instid1(VALU_DEP_1)
	v_bitop3_b32 v22, v21, 1, s9 bitop3:0x80
	v_add_co_u32 v22, s0, v22, -1
	s_delay_alu instid0(VALU_DEP_1) | instskip(NEXT) | instid1(VALU_DEP_1)
	v_cndmask_b32_e64 v23, 0, 1, s0
	v_cmp_ne_u32_e32 vcc_lo, 0, v23
	s_delay_alu instid0(VALU_DEP_3) | instskip(SKIP_1) | instid1(VALU_DEP_1)
	v_xor_b32_e32 v22, vcc_lo, v22
	v_and_b32_e32 v21, s9, v21
	v_dual_lshlrev_b32 v25, 30, v21 :: v_dual_lshlrev_b32 v26, 29, v21
	v_dual_lshlrev_b32 v27, 28, v21 :: v_dual_lshlrev_b32 v28, 27, v21
	s_delay_alu instid0(VALU_DEP_2) | instskip(SKIP_1) | instid1(VALU_DEP_4)
	v_cmp_gt_i32_e64 s0, 0, v25
	v_not_b32_e32 v23, v25
	v_cmp_gt_i32_e64 s1, 0, v26
	v_not_b32_e32 v25, v26
	;; [unrolled: 2-line block ×3, first 2 shown]
	v_not_b32_e32 v27, v28
	v_ashrrev_i32_e32 v23, 31, v23
	v_cmp_gt_i32_e64 s4, 0, v28
	s_delay_alu instid0(VALU_DEP_3) | instskip(SKIP_1) | instid1(VALU_DEP_4)
	v_dual_ashrrev_i32 v26, 31, v26 :: v_dual_ashrrev_i32 v27, 31, v27
	v_dual_lshlrev_b32 v29, 26, v21 :: v_dual_lshlrev_b32 v30, 25, v21
	v_dual_lshlrev_b32 v31, 24, v21 :: v_dual_bitop2_b32 v23, s0, v23 bitop3:0x14
	s_delay_alu instid0(VALU_DEP_3) | instskip(NEXT) | instid1(VALU_DEP_3)
	v_xor_b32_e32 v27, s4, v27
	v_not_b32_e32 v28, v29
	v_ashrrev_i32_e32 v25, 31, v25
	v_cmp_gt_i32_e64 s5, 0, v29
	v_cmp_gt_i32_e64 s6, 0, v30
	v_not_b32_e32 v29, v30
	v_not_b32_e32 v30, v31
	v_dual_ashrrev_i32 v28, 31, v28 :: v_dual_bitop2_b32 v25, s1, v25 bitop3:0x14
	s_delay_alu instid0(VALU_DEP_3) | instskip(SKIP_2) | instid1(VALU_DEP_4)
	v_dual_ashrrev_i32 v29, 31, v29 :: v_dual_bitop2_b32 v26, s3, v26 bitop3:0x14
	v_bitop3_b32 v22, v22, v23, exec_lo bitop3:0x80
	v_cmp_gt_i32_e64 s7, 0, v31
	v_dual_ashrrev_i32 v30, 31, v30 :: v_dual_bitop2_b32 v28, s5, v28 bitop3:0x14
	v_mad_u32_u24 v23, 0x44, v21, v0
	s_delay_alu instid0(VALU_DEP_4) | instskip(SKIP_1) | instid1(VALU_DEP_4)
	v_bitop3_b32 v22, v22, v26, v25 bitop3:0x80
	v_xor_b32_e32 v25, s6, v29
	v_xor_b32_e32 v26, s7, v30
	ds_load_b32 v21, v23 offset:64
	v_bitop3_b32 v22, v22, v28, v27 bitop3:0x80
	; wave barrier
	s_delay_alu instid0(VALU_DEP_1) | instskip(NEXT) | instid1(VALU_DEP_1)
	v_bitop3_b32 v25, v22, v26, v25 bitop3:0x80
	v_mbcnt_lo_u32_b32 v22, v25, 0
	v_cmp_ne_u32_e64 s0, 0, v25
	s_delay_alu instid0(VALU_DEP_2) | instskip(SKIP_1) | instid1(SALU_CYCLE_1)
	v_cmp_eq_u32_e32 vcc_lo, 0, v22
	s_and_b32 s1, s0, vcc_lo
	s_and_saveexec_b32 s0, s1
	s_cbranch_execz .LBB2060_107
; %bb.106:
	s_wait_dscnt 0x0
	v_bcnt_u32_b32 v25, v25, v21
	ds_store_b32 v23, v25 offset:64
.LBB2060_107:
	s_or_b32 exec_lo, exec_lo, s0
	v_cmp_lt_i16_e32 vcc_lo, -1, v20
	; wave barrier
	v_cndmask_b32_e64 v25, -1, 0xffff8000, vcc_lo
	s_delay_alu instid0(VALU_DEP_1) | instskip(NEXT) | instid1(VALU_DEP_1)
	v_xor_b32_e32 v20, v25, v20
	v_cmp_ne_u16_e32 vcc_lo, 0x7fff, v20
	v_cndmask_b32_e32 v25, 0xffff8000, v20, vcc_lo
	s_delay_alu instid0(VALU_DEP_1) | instskip(NEXT) | instid1(VALU_DEP_1)
	v_and_b32_e32 v25, 0xffff, v25
	v_lshrrev_b32_e32 v25, s20, v25
	s_delay_alu instid0(VALU_DEP_1) | instskip(SKIP_1) | instid1(VALU_DEP_2)
	v_bitop3_b32 v26, v25, 1, s9 bitop3:0x80
	v_and_b32_e32 v25, s9, v25
	v_add_co_u32 v26, s0, v26, -1
	s_delay_alu instid0(VALU_DEP_1) | instskip(NEXT) | instid1(VALU_DEP_3)
	v_cndmask_b32_e64 v27, 0, 1, s0
	v_lshlrev_b32_e32 v28, 30, v25
	s_delay_alu instid0(VALU_DEP_2) | instskip(NEXT) | instid1(VALU_DEP_2)
	v_cmp_ne_u32_e32 vcc_lo, 0, v27
	v_not_b32_e32 v27, v28
	s_delay_alu instid0(VALU_DEP_1) | instskip(SKIP_4) | instid1(VALU_DEP_4)
	v_dual_ashrrev_i32 v27, 31, v27 :: v_dual_bitop2_b32 v26, vcc_lo, v26 bitop3:0x14
	v_dual_lshlrev_b32 v29, 29, v25 :: v_dual_lshlrev_b32 v30, 28, v25
	v_dual_lshlrev_b32 v31, 27, v25 :: v_dual_lshlrev_b32 v32, 26, v25
	v_lshlrev_b32_e32 v33, 25, v25
	v_cmp_gt_i32_e64 s0, 0, v28
	v_cmp_gt_i32_e64 s1, 0, v29
	v_not_b32_e32 v28, v29
	v_not_b32_e32 v29, v30
	v_lshlrev_b32_e32 v34, 24, v25
	v_cmp_gt_i32_e64 s3, 0, v30
	v_cmp_gt_i32_e64 s4, 0, v31
	v_not_b32_e32 v30, v31
	v_cmp_gt_i32_e64 s5, 0, v32
	v_not_b32_e32 v31, v32
	v_not_b32_e32 v32, v33
	v_dual_ashrrev_i32 v28, 31, v28 :: v_dual_ashrrev_i32 v29, 31, v29
	v_xor_b32_e32 v27, s0, v27
	v_cmp_gt_i32_e64 s6, 0, v33
	v_not_b32_e32 v33, v34
	v_dual_ashrrev_i32 v30, 31, v30 :: v_dual_ashrrev_i32 v31, 31, v31
	v_xor_b32_e32 v28, s1, v28
	v_dual_ashrrev_i32 v32, 31, v32 :: v_dual_bitop2_b32 v29, s3, v29 bitop3:0x14
	v_bitop3_b32 v26, v26, v27, exec_lo bitop3:0x80
	v_cmp_gt_i32_e64 s7, 0, v34
	v_dual_ashrrev_i32 v33, 31, v33 :: v_dual_bitop2_b32 v30, s4, v30 bitop3:0x14
	v_xor_b32_e32 v31, s5, v31
	s_delay_alu instid0(VALU_DEP_4) | instskip(SKIP_3) | instid1(VALU_DEP_4)
	v_bitop3_b32 v26, v26, v29, v28 bitop3:0x80
	v_mad_u32_u24 v27, 0x44, v25, v0
	v_xor_b32_e32 v28, s6, v32
	v_xor_b32_e32 v29, s7, v33
	v_bitop3_b32 v26, v26, v31, v30 bitop3:0x80
	ds_load_b32 v25, v27 offset:64
	; wave barrier
	v_bitop3_b32 v28, v26, v29, v28 bitop3:0x80
	s_delay_alu instid0(VALU_DEP_1) | instskip(SKIP_1) | instid1(VALU_DEP_2)
	v_mbcnt_lo_u32_b32 v26, v28, 0
	v_cmp_ne_u32_e64 s0, 0, v28
	v_cmp_eq_u32_e32 vcc_lo, 0, v26
	s_and_b32 s1, s0, vcc_lo
	s_delay_alu instid0(SALU_CYCLE_1)
	s_and_saveexec_b32 s0, s1
	s_cbranch_execz .LBB2060_109
; %bb.108:
	s_wait_dscnt 0x0
	v_bcnt_u32_b32 v28, v28, v25
	ds_store_b32 v27, v28 offset:64
.LBB2060_109:
	s_or_b32 exec_lo, exec_lo, s0
	v_cmp_lt_i16_e32 vcc_lo, -1, v24
	; wave barrier
	v_cndmask_b32_e64 v28, -1, 0xffff8000, vcc_lo
	s_delay_alu instid0(VALU_DEP_1) | instskip(NEXT) | instid1(VALU_DEP_1)
	v_xor_b32_e32 v24, v28, v24
	v_cmp_ne_u16_e32 vcc_lo, 0x7fff, v24
	v_cndmask_b32_e32 v28, 0xffff8000, v24, vcc_lo
	s_delay_alu instid0(VALU_DEP_1) | instskip(NEXT) | instid1(VALU_DEP_1)
	v_and_b32_e32 v28, 0xffff, v28
	v_lshrrev_b32_e32 v28, s20, v28
	s_delay_alu instid0(VALU_DEP_1) | instskip(NEXT) | instid1(VALU_DEP_1)
	v_bitop3_b32 v29, v28, 1, s9 bitop3:0x80
	v_add_co_u32 v29, s0, v29, -1
	s_delay_alu instid0(VALU_DEP_1) | instskip(NEXT) | instid1(VALU_DEP_1)
	v_cndmask_b32_e64 v30, 0, 1, s0
	v_cmp_ne_u32_e32 vcc_lo, 0, v30
	s_delay_alu instid0(VALU_DEP_3) | instskip(SKIP_1) | instid1(VALU_DEP_1)
	v_xor_b32_e32 v29, vcc_lo, v29
	v_and_b32_e32 v28, s9, v28
	v_dual_lshlrev_b32 v31, 30, v28 :: v_dual_lshlrev_b32 v32, 29, v28
	v_dual_lshlrev_b32 v33, 28, v28 :: v_dual_lshlrev_b32 v34, 27, v28
	s_delay_alu instid0(VALU_DEP_2) | instskip(SKIP_1) | instid1(VALU_DEP_4)
	v_cmp_gt_i32_e64 s0, 0, v31
	v_not_b32_e32 v30, v31
	v_cmp_gt_i32_e64 s1, 0, v32
	v_not_b32_e32 v31, v32
	;; [unrolled: 2-line block ×3, first 2 shown]
	v_not_b32_e32 v33, v34
	v_ashrrev_i32_e32 v30, 31, v30
	v_cmp_gt_i32_e64 s4, 0, v34
	s_delay_alu instid0(VALU_DEP_3) | instskip(SKIP_1) | instid1(VALU_DEP_4)
	v_dual_ashrrev_i32 v31, 31, v31 :: v_dual_ashrrev_i32 v33, 31, v33
	v_dual_lshlrev_b32 v35, 26, v28 :: v_dual_lshlrev_b32 v36, 25, v28
	v_dual_lshlrev_b32 v37, 24, v28 :: v_dual_bitop2_b32 v30, s0, v30 bitop3:0x14
	s_delay_alu instid0(VALU_DEP_3) | instskip(NEXT) | instid1(VALU_DEP_3)
	v_xor_b32_e32 v33, s4, v33
	v_not_b32_e32 v34, v35
	v_ashrrev_i32_e32 v32, 31, v32
	v_cmp_gt_i32_e64 s5, 0, v35
	v_cmp_gt_i32_e64 s6, 0, v36
	v_not_b32_e32 v35, v36
	v_not_b32_e32 v36, v37
	v_dual_ashrrev_i32 v34, 31, v34 :: v_dual_bitop2_b32 v31, s1, v31 bitop3:0x14
	v_xor_b32_e32 v32, s3, v32
	v_bitop3_b32 v29, v29, v30, exec_lo bitop3:0x80
	v_cmp_gt_i32_e64 s7, 0, v37
	v_dual_ashrrev_i32 v30, 31, v35 :: v_dual_ashrrev_i32 v35, 31, v36
	v_xor_b32_e32 v34, s5, v34
	s_delay_alu instid0(VALU_DEP_4) | instskip(SKIP_1) | instid1(VALU_DEP_4)
	v_bitop3_b32 v29, v29, v32, v31 bitop3:0x80
	v_mad_u32_u24 v31, 0x44, v28, v0
	v_xor_b32_e32 v30, s6, v30
	v_xor_b32_e32 v32, s7, v35
	s_delay_alu instid0(VALU_DEP_4) | instskip(SKIP_2) | instid1(VALU_DEP_1)
	v_bitop3_b32 v29, v29, v34, v33 bitop3:0x80
	ds_load_b32 v28, v31 offset:64
	; wave barrier
	v_bitop3_b32 v29, v29, v32, v30 bitop3:0x80
	v_mbcnt_lo_u32_b32 v30, v29, 0
	v_cmp_ne_u32_e64 s0, 0, v29
	s_delay_alu instid0(VALU_DEP_2) | instskip(SKIP_1) | instid1(SALU_CYCLE_1)
	v_cmp_eq_u32_e32 vcc_lo, 0, v30
	s_and_b32 s1, s0, vcc_lo
	s_and_saveexec_b32 s0, s1
	s_cbranch_execz .LBB2060_111
; %bb.110:
	s_wait_dscnt 0x0
	v_bcnt_u32_b32 v29, v29, v28
	ds_store_b32 v31, v29 offset:64
.LBB2060_111:
	s_or_b32 exec_lo, exec_lo, s0
	v_cmp_lt_i16_e32 vcc_lo, -1, v7
	; wave barrier
	v_cndmask_b32_e64 v29, -1, 0xffff8000, vcc_lo
	s_delay_alu instid0(VALU_DEP_1) | instskip(NEXT) | instid1(VALU_DEP_1)
	v_xor_b32_e32 v29, v29, v7
	v_cmp_ne_u16_e32 vcc_lo, 0x7fff, v29
	v_cndmask_b32_e32 v7, 0xffff8000, v29, vcc_lo
	s_delay_alu instid0(VALU_DEP_1) | instskip(NEXT) | instid1(VALU_DEP_1)
	v_and_b32_e32 v7, 0xffff, v7
	v_lshrrev_b32_e32 v7, s20, v7
	s_delay_alu instid0(VALU_DEP_1) | instskip(SKIP_1) | instid1(VALU_DEP_2)
	v_bitop3_b32 v32, v7, 1, s9 bitop3:0x80
	v_and_b32_e32 v7, s9, v7
	v_add_co_u32 v32, s0, v32, -1
	s_delay_alu instid0(VALU_DEP_1) | instskip(NEXT) | instid1(VALU_DEP_3)
	v_cndmask_b32_e64 v33, 0, 1, s0
	v_lshlrev_b32_e32 v34, 30, v7
	s_delay_alu instid0(VALU_DEP_2) | instskip(NEXT) | instid1(VALU_DEP_2)
	v_cmp_ne_u32_e32 vcc_lo, 0, v33
	v_not_b32_e32 v33, v34
	s_delay_alu instid0(VALU_DEP_1) | instskip(SKIP_4) | instid1(VALU_DEP_4)
	v_dual_ashrrev_i32 v33, 31, v33 :: v_dual_bitop2_b32 v32, vcc_lo, v32 bitop3:0x14
	v_dual_lshlrev_b32 v35, 29, v7 :: v_dual_lshlrev_b32 v36, 28, v7
	v_dual_lshlrev_b32 v37, 27, v7 :: v_dual_lshlrev_b32 v38, 26, v7
	v_lshlrev_b32_e32 v39, 25, v7
	v_cmp_gt_i32_e64 s0, 0, v34
	v_cmp_gt_i32_e64 s1, 0, v35
	v_not_b32_e32 v34, v35
	v_not_b32_e32 v35, v36
	v_lshlrev_b32_e32 v40, 24, v7
	v_cmp_gt_i32_e64 s3, 0, v36
	v_cmp_gt_i32_e64 s4, 0, v37
	v_not_b32_e32 v36, v37
	v_not_b32_e32 v37, v38
	v_dual_ashrrev_i32 v34, 31, v34 :: v_dual_ashrrev_i32 v35, 31, v35
	v_xor_b32_e32 v33, s0, v33
	v_cmp_gt_i32_e64 s5, 0, v38
	v_cmp_gt_i32_e64 s6, 0, v39
	v_not_b32_e32 v38, v39
	v_not_b32_e32 v39, v40
	v_dual_ashrrev_i32 v36, 31, v36 :: v_dual_ashrrev_i32 v37, 31, v37
	v_xor_b32_e32 v34, s1, v34
	v_xor_b32_e32 v35, s3, v35
	v_bitop3_b32 v32, v32, v33, exec_lo bitop3:0x80
	v_cmp_gt_i32_e64 s7, 0, v40
	v_dual_ashrrev_i32 v33, 31, v38 :: v_dual_ashrrev_i32 v38, 31, v39
	v_xor_b32_e32 v36, s4, v36
	v_xor_b32_e32 v37, s5, v37
	v_bitop3_b32 v32, v32, v35, v34 bitop3:0x80
	v_mad_u32_u24 v35, 0x44, v7, v0
	v_xor_b32_e32 v7, s6, v33
	v_xor_b32_e32 v33, s7, v38
	s_delay_alu instid0(VALU_DEP_4) | instskip(SKIP_2) | instid1(VALU_DEP_1)
	v_bitop3_b32 v34, v32, v37, v36 bitop3:0x80
	ds_load_b32 v32, v35 offset:64
	; wave barrier
	v_bitop3_b32 v7, v34, v33, v7 bitop3:0x80
	v_mbcnt_lo_u32_b32 v33, v7, 0
	v_cmp_ne_u32_e64 s0, 0, v7
	s_delay_alu instid0(VALU_DEP_2) | instskip(SKIP_1) | instid1(SALU_CYCLE_1)
	v_cmp_eq_u32_e32 vcc_lo, 0, v33
	s_and_b32 s1, s0, vcc_lo
	s_and_saveexec_b32 s0, s1
	s_cbranch_execz .LBB2060_113
; %bb.112:
	s_wait_dscnt 0x0
	v_bcnt_u32_b32 v7, v7, v32
	ds_store_b32 v35, v7 offset:64
.LBB2060_113:
	s_or_b32 exec_lo, exec_lo, s0
	v_cmp_lt_i16_e32 vcc_lo, -1, v6
	; wave barrier
	v_cndmask_b32_e64 v7, -1, 0xffff8000, vcc_lo
	s_delay_alu instid0(VALU_DEP_1) | instskip(NEXT) | instid1(VALU_DEP_1)
	v_xor_b32_e32 v34, v7, v6
	v_cmp_ne_u16_e32 vcc_lo, 0x7fff, v34
	v_cndmask_b32_e32 v6, 0xffff8000, v34, vcc_lo
	s_delay_alu instid0(VALU_DEP_1) | instskip(NEXT) | instid1(VALU_DEP_1)
	v_and_b32_e32 v6, 0xffff, v6
	v_lshrrev_b32_e32 v6, s20, v6
	s_delay_alu instid0(VALU_DEP_1) | instskip(SKIP_1) | instid1(VALU_DEP_2)
	v_bitop3_b32 v7, v6, 1, s9 bitop3:0x80
	v_and_b32_e32 v6, s9, v6
	v_add_co_u32 v7, s0, v7, -1
	s_delay_alu instid0(VALU_DEP_1) | instskip(NEXT) | instid1(VALU_DEP_3)
	v_cndmask_b32_e64 v36, 0, 1, s0
	v_lshlrev_b32_e32 v37, 30, v6
	s_delay_alu instid0(VALU_DEP_2) | instskip(NEXT) | instid1(VALU_DEP_2)
	v_cmp_ne_u32_e32 vcc_lo, 0, v36
	v_not_b32_e32 v36, v37
	s_delay_alu instid0(VALU_DEP_1) | instskip(SKIP_4) | instid1(VALU_DEP_4)
	v_dual_ashrrev_i32 v36, 31, v36 :: v_dual_bitop2_b32 v7, vcc_lo, v7 bitop3:0x14
	v_dual_lshlrev_b32 v38, 29, v6 :: v_dual_lshlrev_b32 v39, 28, v6
	v_dual_lshlrev_b32 v40, 27, v6 :: v_dual_lshlrev_b32 v41, 26, v6
	v_lshlrev_b32_e32 v42, 25, v6
	v_cmp_gt_i32_e64 s0, 0, v37
	v_cmp_gt_i32_e64 s1, 0, v38
	v_not_b32_e32 v37, v38
	v_not_b32_e32 v38, v39
	v_lshlrev_b32_e32 v43, 24, v6
	v_cmp_gt_i32_e64 s3, 0, v39
	v_cmp_gt_i32_e64 s4, 0, v40
	v_not_b32_e32 v39, v40
	v_not_b32_e32 v40, v41
	v_dual_ashrrev_i32 v37, 31, v37 :: v_dual_ashrrev_i32 v38, 31, v38
	v_xor_b32_e32 v36, s0, v36
	v_cmp_gt_i32_e64 s5, 0, v41
	v_cmp_gt_i32_e64 s6, 0, v42
	v_not_b32_e32 v41, v42
	v_not_b32_e32 v42, v43
	v_dual_ashrrev_i32 v39, 31, v39 :: v_dual_ashrrev_i32 v40, 31, v40
	v_xor_b32_e32 v37, s1, v37
	v_xor_b32_e32 v38, s3, v38
	v_bitop3_b32 v7, v7, v36, exec_lo bitop3:0x80
	v_cmp_gt_i32_e64 s7, 0, v43
	v_dual_ashrrev_i32 v36, 31, v41 :: v_dual_ashrrev_i32 v41, 31, v42
	v_xor_b32_e32 v42, s4, v39
	v_xor_b32_e32 v40, s5, v40
	v_bitop3_b32 v7, v7, v38, v37 bitop3:0x80
	v_mad_u32_u24 v39, 0x44, v6, v0
	v_xor_b32_e32 v6, s6, v36
	v_xor_b32_e32 v36, s7, v41
	s_delay_alu instid0(VALU_DEP_4) | instskip(SKIP_2) | instid1(VALU_DEP_1)
	v_bitop3_b32 v7, v7, v40, v42 bitop3:0x80
	ds_load_b32 v37, v39 offset:64
	; wave barrier
	v_bitop3_b32 v6, v7, v36, v6 bitop3:0x80
	v_mbcnt_lo_u32_b32 v38, v6, 0
	v_cmp_ne_u32_e64 s0, 0, v6
	s_delay_alu instid0(VALU_DEP_2) | instskip(SKIP_1) | instid1(SALU_CYCLE_1)
	v_cmp_eq_u32_e32 vcc_lo, 0, v38
	s_and_b32 s1, s0, vcc_lo
	s_and_saveexec_b32 s0, s1
	s_cbranch_execz .LBB2060_115
; %bb.114:
	s_wait_dscnt 0x0
	v_bcnt_u32_b32 v6, v6, v37
	ds_store_b32 v39, v6 offset:64
.LBB2060_115:
	s_or_b32 exec_lo, exec_lo, s0
	v_cmp_lt_i16_e32 vcc_lo, -1, v5
	; wave barrier
	v_cndmask_b32_e64 v6, -1, 0xffff8000, vcc_lo
	s_delay_alu instid0(VALU_DEP_1) | instskip(NEXT) | instid1(VALU_DEP_1)
	v_xor_b32_e32 v36, v6, v5
	v_cmp_ne_u16_e32 vcc_lo, 0x7fff, v36
	v_cndmask_b32_e32 v5, 0xffff8000, v36, vcc_lo
	s_delay_alu instid0(VALU_DEP_1) | instskip(NEXT) | instid1(VALU_DEP_1)
	v_and_b32_e32 v5, 0xffff, v5
	v_lshrrev_b32_e32 v5, s20, v5
	s_delay_alu instid0(VALU_DEP_1) | instskip(SKIP_1) | instid1(VALU_DEP_2)
	v_bitop3_b32 v6, v5, 1, s9 bitop3:0x80
	v_and_b32_e32 v5, s9, v5
	v_add_co_u32 v6, s0, v6, -1
	s_delay_alu instid0(VALU_DEP_1) | instskip(NEXT) | instid1(VALU_DEP_3)
	v_cndmask_b32_e64 v7, 0, 1, s0
	v_lshlrev_b32_e32 v40, 30, v5
	s_delay_alu instid0(VALU_DEP_2) | instskip(NEXT) | instid1(VALU_DEP_2)
	v_cmp_ne_u32_e32 vcc_lo, 0, v7
	v_not_b32_e32 v7, v40
	s_delay_alu instid0(VALU_DEP_1) | instskip(SKIP_4) | instid1(VALU_DEP_4)
	v_dual_ashrrev_i32 v7, 31, v7 :: v_dual_bitop2_b32 v6, vcc_lo, v6 bitop3:0x14
	v_dual_lshlrev_b32 v41, 29, v5 :: v_dual_lshlrev_b32 v42, 28, v5
	v_dual_lshlrev_b32 v43, 27, v5 :: v_dual_lshlrev_b32 v44, 26, v5
	;; [unrolled: 1-line block ×3, first 2 shown]
	v_cmp_gt_i32_e64 s0, 0, v40
	v_cmp_gt_i32_e64 s1, 0, v41
	v_not_b32_e32 v40, v41
	v_not_b32_e32 v41, v42
	v_cmp_gt_i32_e64 s3, 0, v42
	v_cmp_gt_i32_e64 s4, 0, v43
	v_not_b32_e32 v42, v43
	v_cmp_gt_i32_e64 s5, 0, v44
	v_not_b32_e32 v43, v44
	;; [unrolled: 2-line block ×3, first 2 shown]
	v_not_b32_e32 v45, v46
	v_dual_ashrrev_i32 v40, 31, v40 :: v_dual_ashrrev_i32 v41, 31, v41
	v_dual_ashrrev_i32 v42, 31, v42 :: v_dual_bitop2_b32 v7, s0, v7 bitop3:0x14
	s_delay_alu instid0(VALU_DEP_2) | instskip(NEXT) | instid1(VALU_DEP_3)
	v_dual_ashrrev_i32 v43, 31, v43 :: v_dual_bitop2_b32 v40, s1, v40 bitop3:0x14
	v_xor_b32_e32 v41, s3, v41
	s_delay_alu instid0(VALU_DEP_3)
	v_bitop3_b32 v6, v6, v7, exec_lo bitop3:0x80
	v_cmp_gt_i32_e64 s7, 0, v46
	v_dual_ashrrev_i32 v7, 31, v44 :: v_dual_ashrrev_i32 v44, 31, v45
	v_xor_b32_e32 v42, s4, v42
	v_xor_b32_e32 v45, s5, v43
	v_bitop3_b32 v6, v6, v41, v40 bitop3:0x80
	v_mad_u32_u24 v43, 0x44, v5, v0
	v_xor_b32_e32 v5, s6, v7
	v_xor_b32_e32 v7, s7, v44
	s_delay_alu instid0(VALU_DEP_4) | instskip(SKIP_2) | instid1(VALU_DEP_1)
	v_bitop3_b32 v6, v6, v45, v42 bitop3:0x80
	ds_load_b32 v41, v43 offset:64
	; wave barrier
	v_bitop3_b32 v5, v6, v7, v5 bitop3:0x80
	v_mbcnt_lo_u32_b32 v42, v5, 0
	v_cmp_ne_u32_e64 s0, 0, v5
	s_delay_alu instid0(VALU_DEP_2) | instskip(SKIP_1) | instid1(SALU_CYCLE_1)
	v_cmp_eq_u32_e32 vcc_lo, 0, v42
	s_and_b32 s1, s0, vcc_lo
	s_and_saveexec_b32 s0, s1
	s_cbranch_execz .LBB2060_117
; %bb.116:
	s_wait_dscnt 0x0
	v_bcnt_u32_b32 v5, v5, v41
	ds_store_b32 v43, v5 offset:64
.LBB2060_117:
	s_or_b32 exec_lo, exec_lo, s0
	v_cmp_lt_i16_e32 vcc_lo, -1, v4
	; wave barrier
	v_cndmask_b32_e64 v5, -1, 0xffff8000, vcc_lo
	s_delay_alu instid0(VALU_DEP_1) | instskip(NEXT) | instid1(VALU_DEP_1)
	v_xor_b32_e32 v40, v5, v4
	v_cmp_ne_u16_e32 vcc_lo, 0x7fff, v40
	v_cndmask_b32_e32 v4, 0xffff8000, v40, vcc_lo
	s_delay_alu instid0(VALU_DEP_1) | instskip(NEXT) | instid1(VALU_DEP_1)
	v_and_b32_e32 v4, 0xffff, v4
	v_lshrrev_b32_e32 v4, s20, v4
	s_delay_alu instid0(VALU_DEP_1) | instskip(SKIP_1) | instid1(VALU_DEP_2)
	v_bitop3_b32 v5, v4, 1, s9 bitop3:0x80
	v_and_b32_e32 v4, s9, v4
	v_add_co_u32 v5, s0, v5, -1
	s_delay_alu instid0(VALU_DEP_1) | instskip(NEXT) | instid1(VALU_DEP_3)
	v_cndmask_b32_e64 v6, 0, 1, s0
	v_lshlrev_b32_e32 v7, 30, v4
	s_delay_alu instid0(VALU_DEP_2) | instskip(NEXT) | instid1(VALU_DEP_2)
	v_cmp_ne_u32_e32 vcc_lo, 0, v6
	v_not_b32_e32 v6, v7
	s_delay_alu instid0(VALU_DEP_1) | instskip(SKIP_4) | instid1(VALU_DEP_4)
	v_dual_ashrrev_i32 v6, 31, v6 :: v_dual_bitop2_b32 v5, vcc_lo, v5 bitop3:0x14
	v_dual_lshlrev_b32 v44, 29, v4 :: v_dual_lshlrev_b32 v45, 28, v4
	v_dual_lshlrev_b32 v46, 27, v4 :: v_dual_lshlrev_b32 v47, 26, v4
	v_lshlrev_b32_e32 v48, 25, v4
	v_cmp_gt_i32_e64 s0, 0, v7
	v_cmp_gt_i32_e64 s1, 0, v44
	v_not_b32_e32 v7, v44
	v_not_b32_e32 v44, v45
	v_lshlrev_b32_e32 v49, 24, v4
	v_cmp_gt_i32_e64 s3, 0, v45
	v_cmp_gt_i32_e64 s4, 0, v46
	v_not_b32_e32 v45, v46
	v_not_b32_e32 v46, v47
	v_dual_ashrrev_i32 v7, 31, v7 :: v_dual_ashrrev_i32 v44, 31, v44
	v_xor_b32_e32 v6, s0, v6
	v_cmp_gt_i32_e64 s5, 0, v47
	v_cmp_gt_i32_e64 s6, 0, v48
	v_not_b32_e32 v47, v48
	v_not_b32_e32 v48, v49
	v_dual_ashrrev_i32 v45, 31, v45 :: v_dual_ashrrev_i32 v46, 31, v46
	v_xor_b32_e32 v7, s1, v7
	v_xor_b32_e32 v44, s3, v44
	v_bitop3_b32 v5, v5, v6, exec_lo bitop3:0x80
	v_cmp_gt_i32_e64 s7, 0, v49
	v_dual_ashrrev_i32 v6, 31, v47 :: v_dual_ashrrev_i32 v48, 31, v48
	v_xor_b32_e32 v45, s4, v45
	v_xor_b32_e32 v46, s5, v46
	v_bitop3_b32 v5, v5, v44, v7 bitop3:0x80
	v_mad_u32_u24 v47, 0x44, v4, v0
	v_xor_b32_e32 v4, s6, v6
	v_xor_b32_e32 v6, s7, v48
	s_delay_alu instid0(VALU_DEP_4) | instskip(SKIP_2) | instid1(VALU_DEP_1)
	v_bitop3_b32 v5, v5, v46, v45 bitop3:0x80
	ds_load_b32 v45, v47 offset:64
	; wave barrier
	v_bitop3_b32 v4, v5, v6, v4 bitop3:0x80
	v_mbcnt_lo_u32_b32 v46, v4, 0
	v_cmp_ne_u32_e64 s0, 0, v4
	s_delay_alu instid0(VALU_DEP_2) | instskip(SKIP_1) | instid1(SALU_CYCLE_1)
	v_cmp_eq_u32_e32 vcc_lo, 0, v46
	s_and_b32 s1, s0, vcc_lo
	s_and_saveexec_b32 s0, s1
	s_cbranch_execz .LBB2060_119
; %bb.118:
	s_wait_dscnt 0x0
	v_bcnt_u32_b32 v4, v4, v45
	ds_store_b32 v47, v4 offset:64
.LBB2060_119:
	s_or_b32 exec_lo, exec_lo, s0
	v_cmp_lt_i16_e32 vcc_lo, -1, v3
	; wave barrier
	v_cndmask_b32_e64 v4, -1, 0xffff8000, vcc_lo
	s_delay_alu instid0(VALU_DEP_1) | instskip(NEXT) | instid1(VALU_DEP_1)
	v_xor_b32_e32 v44, v4, v3
	v_cmp_ne_u16_e32 vcc_lo, 0x7fff, v44
	v_cndmask_b32_e32 v3, 0xffff8000, v44, vcc_lo
	s_delay_alu instid0(VALU_DEP_1) | instskip(NEXT) | instid1(VALU_DEP_1)
	v_and_b32_e32 v3, 0xffff, v3
	v_lshrrev_b32_e32 v3, s20, v3
	s_delay_alu instid0(VALU_DEP_1) | instskip(SKIP_1) | instid1(VALU_DEP_2)
	v_bitop3_b32 v4, v3, 1, s9 bitop3:0x80
	v_and_b32_e32 v3, s9, v3
	v_add_co_u32 v4, s0, v4, -1
	s_delay_alu instid0(VALU_DEP_1) | instskip(NEXT) | instid1(VALU_DEP_3)
	v_cndmask_b32_e64 v5, 0, 1, s0
	v_lshlrev_b32_e32 v6, 30, v3
	s_delay_alu instid0(VALU_DEP_2) | instskip(NEXT) | instid1(VALU_DEP_2)
	v_cmp_ne_u32_e32 vcc_lo, 0, v5
	v_not_b32_e32 v5, v6
	s_delay_alu instid0(VALU_DEP_1) | instskip(SKIP_4) | instid1(VALU_DEP_4)
	v_dual_ashrrev_i32 v5, 31, v5 :: v_dual_bitop2_b32 v4, vcc_lo, v4 bitop3:0x14
	v_dual_lshlrev_b32 v7, 29, v3 :: v_dual_lshlrev_b32 v48, 28, v3
	v_dual_lshlrev_b32 v49, 27, v3 :: v_dual_lshlrev_b32 v50, 26, v3
	v_lshlrev_b32_e32 v51, 25, v3
	v_cmp_gt_i32_e64 s0, 0, v6
	v_cmp_gt_i32_e64 s1, 0, v7
	v_not_b32_e32 v6, v7
	v_not_b32_e32 v7, v48
	v_lshlrev_b32_e32 v52, 24, v3
	v_cmp_gt_i32_e64 s3, 0, v48
	v_cmp_gt_i32_e64 s4, 0, v49
	v_not_b32_e32 v48, v49
	v_not_b32_e32 v49, v50
	v_dual_ashrrev_i32 v6, 31, v6 :: v_dual_ashrrev_i32 v7, 31, v7
	v_xor_b32_e32 v5, s0, v5
	v_cmp_gt_i32_e64 s5, 0, v50
	v_cmp_gt_i32_e64 s6, 0, v51
	v_not_b32_e32 v50, v51
	v_not_b32_e32 v51, v52
	v_dual_ashrrev_i32 v48, 31, v48 :: v_dual_ashrrev_i32 v49, 31, v49
	v_xor_b32_e32 v6, s1, v6
	v_xor_b32_e32 v7, s3, v7
	v_bitop3_b32 v4, v4, v5, exec_lo bitop3:0x80
	v_cmp_gt_i32_e64 s7, 0, v52
	v_dual_ashrrev_i32 v5, 31, v50 :: v_dual_ashrrev_i32 v50, 31, v51
	v_xor_b32_e32 v48, s4, v48
	v_xor_b32_e32 v49, s5, v49
	v_bitop3_b32 v4, v4, v7, v6 bitop3:0x80
	v_mad_u32_u24 v51, 0x44, v3, v0
	v_xor_b32_e32 v3, s6, v5
	v_xor_b32_e32 v5, s7, v50
	s_delay_alu instid0(VALU_DEP_4) | instskip(SKIP_2) | instid1(VALU_DEP_1)
	v_bitop3_b32 v4, v4, v49, v48 bitop3:0x80
	ds_load_b32 v48, v51 offset:64
	; wave barrier
	v_bitop3_b32 v3, v4, v5, v3 bitop3:0x80
	v_mbcnt_lo_u32_b32 v50, v3, 0
	v_cmp_ne_u32_e64 s0, 0, v3
	s_delay_alu instid0(VALU_DEP_2) | instskip(SKIP_1) | instid1(SALU_CYCLE_1)
	v_cmp_eq_u32_e32 vcc_lo, 0, v50
	s_and_b32 s1, s0, vcc_lo
	s_and_saveexec_b32 s0, s1
	s_cbranch_execz .LBB2060_121
; %bb.120:
	s_wait_dscnt 0x0
	v_bcnt_u32_b32 v3, v3, v48
	ds_store_b32 v51, v3 offset:64
.LBB2060_121:
	s_or_b32 exec_lo, exec_lo, s0
	v_cmp_lt_i16_e32 vcc_lo, -1, v2
	; wave barrier
	v_cndmask_b32_e64 v3, -1, 0xffff8000, vcc_lo
	s_delay_alu instid0(VALU_DEP_1) | instskip(NEXT) | instid1(VALU_DEP_1)
	v_xor_b32_e32 v49, v3, v2
	v_cmp_ne_u16_e32 vcc_lo, 0x7fff, v49
	v_cndmask_b32_e32 v2, 0xffff8000, v49, vcc_lo
	s_delay_alu instid0(VALU_DEP_1) | instskip(NEXT) | instid1(VALU_DEP_1)
	v_and_b32_e32 v2, 0xffff, v2
	v_lshrrev_b32_e32 v2, s20, v2
	s_delay_alu instid0(VALU_DEP_1) | instskip(SKIP_1) | instid1(VALU_DEP_2)
	v_bitop3_b32 v3, v2, 1, s9 bitop3:0x80
	v_and_b32_e32 v2, s9, v2
	v_add_co_u32 v3, s0, v3, -1
	s_delay_alu instid0(VALU_DEP_1) | instskip(NEXT) | instid1(VALU_DEP_3)
	v_cndmask_b32_e64 v4, 0, 1, s0
	v_lshlrev_b32_e32 v5, 30, v2
	s_delay_alu instid0(VALU_DEP_2) | instskip(NEXT) | instid1(VALU_DEP_2)
	v_cmp_ne_u32_e32 vcc_lo, 0, v4
	v_not_b32_e32 v4, v5
	s_delay_alu instid0(VALU_DEP_1) | instskip(SKIP_4) | instid1(VALU_DEP_4)
	v_dual_ashrrev_i32 v4, 31, v4 :: v_dual_bitop2_b32 v3, vcc_lo, v3 bitop3:0x14
	v_dual_lshlrev_b32 v6, 29, v2 :: v_dual_lshlrev_b32 v7, 28, v2
	v_dual_lshlrev_b32 v52, 27, v2 :: v_dual_lshlrev_b32 v53, 26, v2
	;; [unrolled: 1-line block ×3, first 2 shown]
	v_cmp_gt_i32_e64 s0, 0, v5
	v_cmp_gt_i32_e64 s1, 0, v6
	v_not_b32_e32 v5, v6
	v_not_b32_e32 v6, v7
	v_cmp_gt_i32_e64 s3, 0, v7
	v_cmp_gt_i32_e64 s4, 0, v52
	v_not_b32_e32 v7, v52
	v_cmp_gt_i32_e64 s5, 0, v53
	v_not_b32_e32 v52, v53
	;; [unrolled: 2-line block ×3, first 2 shown]
	v_not_b32_e32 v54, v55
	v_dual_ashrrev_i32 v5, 31, v5 :: v_dual_ashrrev_i32 v6, 31, v6
	v_dual_ashrrev_i32 v7, 31, v7 :: v_dual_bitop2_b32 v4, s0, v4 bitop3:0x14
	s_delay_alu instid0(VALU_DEP_2) | instskip(NEXT) | instid1(VALU_DEP_3)
	v_dual_ashrrev_i32 v52, 31, v52 :: v_dual_bitop2_b32 v5, s1, v5 bitop3:0x14
	v_xor_b32_e32 v6, s3, v6
	s_delay_alu instid0(VALU_DEP_3)
	v_bitop3_b32 v3, v3, v4, exec_lo bitop3:0x80
	v_cmp_gt_i32_e64 s7, 0, v55
	v_dual_ashrrev_i32 v4, 31, v53 :: v_dual_ashrrev_i32 v53, 31, v54
	v_xor_b32_e32 v7, s4, v7
	v_xor_b32_e32 v52, s5, v52
	v_bitop3_b32 v3, v3, v6, v5 bitop3:0x80
	v_mad_u32_u24 v56, 0x44, v2, v0
	v_xor_b32_e32 v2, s6, v4
	v_xor_b32_e32 v4, s7, v53
	s_delay_alu instid0(VALU_DEP_4) | instskip(SKIP_2) | instid1(VALU_DEP_1)
	v_bitop3_b32 v3, v3, v52, v7 bitop3:0x80
	ds_load_b32 v52, v56 offset:64
	; wave barrier
	v_bitop3_b32 v2, v3, v4, v2 bitop3:0x80
	v_mbcnt_lo_u32_b32 v53, v2, 0
	v_cmp_ne_u32_e64 s0, 0, v2
	s_delay_alu instid0(VALU_DEP_2) | instskip(SKIP_1) | instid1(SALU_CYCLE_1)
	v_cmp_eq_u32_e32 vcc_lo, 0, v53
	s_and_b32 s1, s0, vcc_lo
	s_and_saveexec_b32 s0, s1
	s_cbranch_execz .LBB2060_123
; %bb.122:
	s_wait_dscnt 0x0
	v_bcnt_u32_b32 v2, v2, v52
	ds_store_b32 v56, v2 offset:64
.LBB2060_123:
	s_or_b32 exec_lo, exec_lo, s0
	v_cmp_lt_i16_e32 vcc_lo, -1, v1
	; wave barrier
	v_cndmask_b32_e64 v2, -1, 0xffff8000, vcc_lo
	s_delay_alu instid0(VALU_DEP_1) | instskip(NEXT) | instid1(VALU_DEP_1)
	v_xor_b32_e32 v54, v2, v1
	v_cmp_ne_u16_e32 vcc_lo, 0x7fff, v54
	v_cndmask_b32_e32 v1, 0xffff8000, v54, vcc_lo
	s_delay_alu instid0(VALU_DEP_1) | instskip(NEXT) | instid1(VALU_DEP_1)
	v_and_b32_e32 v1, 0xffff, v1
	v_lshrrev_b32_e32 v1, s20, v1
	s_delay_alu instid0(VALU_DEP_1) | instskip(SKIP_1) | instid1(VALU_DEP_2)
	v_bitop3_b32 v2, v1, 1, s9 bitop3:0x80
	v_and_b32_e32 v1, s9, v1
	v_add_co_u32 v2, s0, v2, -1
	s_delay_alu instid0(VALU_DEP_1) | instskip(NEXT) | instid1(VALU_DEP_3)
	v_cndmask_b32_e64 v3, 0, 1, s0
	v_lshlrev_b32_e32 v4, 30, v1
	s_delay_alu instid0(VALU_DEP_2) | instskip(NEXT) | instid1(VALU_DEP_2)
	v_cmp_ne_u32_e32 vcc_lo, 0, v3
	v_not_b32_e32 v3, v4
	s_delay_alu instid0(VALU_DEP_1) | instskip(SKIP_4) | instid1(VALU_DEP_4)
	v_dual_ashrrev_i32 v3, 31, v3 :: v_dual_bitop2_b32 v2, vcc_lo, v2 bitop3:0x14
	v_dual_lshlrev_b32 v5, 29, v1 :: v_dual_lshlrev_b32 v6, 28, v1
	v_dual_lshlrev_b32 v7, 27, v1 :: v_dual_lshlrev_b32 v55, 26, v1
	v_lshlrev_b32_e32 v57, 25, v1
	v_cmp_gt_i32_e64 s0, 0, v4
	v_cmp_gt_i32_e64 s1, 0, v5
	v_not_b32_e32 v4, v5
	v_not_b32_e32 v5, v6
	v_lshlrev_b32_e32 v58, 24, v1
	v_cmp_gt_i32_e64 s3, 0, v6
	v_cmp_gt_i32_e64 s4, 0, v7
	v_not_b32_e32 v6, v7
	v_not_b32_e32 v7, v55
	v_dual_ashrrev_i32 v4, 31, v4 :: v_dual_ashrrev_i32 v5, 31, v5
	v_xor_b32_e32 v3, s0, v3
	v_cmp_gt_i32_e64 s5, 0, v55
	v_cmp_gt_i32_e64 s6, 0, v57
	v_not_b32_e32 v55, v57
	v_not_b32_e32 v57, v58
	v_dual_ashrrev_i32 v6, 31, v6 :: v_dual_ashrrev_i32 v7, 31, v7
	v_xor_b32_e32 v4, s1, v4
	v_xor_b32_e32 v5, s3, v5
	v_bitop3_b32 v2, v2, v3, exec_lo bitop3:0x80
	v_cmp_gt_i32_e64 s7, 0, v58
	v_dual_ashrrev_i32 v3, 31, v55 :: v_dual_ashrrev_i32 v55, 31, v57
	v_xor_b32_e32 v6, s4, v6
	v_xor_b32_e32 v7, s5, v7
	v_bitop3_b32 v2, v2, v5, v4 bitop3:0x80
	v_mad_u32_u24 v58, 0x44, v1, v0
	v_xor_b32_e32 v0, s6, v3
	v_xor_b32_e32 v1, s7, v55
	s_delay_alu instid0(VALU_DEP_4) | instskip(SKIP_2) | instid1(VALU_DEP_1)
	v_bitop3_b32 v2, v2, v7, v6 bitop3:0x80
	ds_load_b32 v55, v58 offset:64
	; wave barrier
	v_bitop3_b32 v0, v2, v1, v0 bitop3:0x80
	v_mbcnt_lo_u32_b32 v57, v0, 0
	v_cmp_ne_u32_e64 s0, 0, v0
	s_delay_alu instid0(VALU_DEP_2) | instskip(SKIP_1) | instid1(SALU_CYCLE_1)
	v_cmp_eq_u32_e32 vcc_lo, 0, v57
	s_and_b32 s1, s0, vcc_lo
	s_and_saveexec_b32 s0, s1
	s_cbranch_execz .LBB2060_125
; %bb.124:
	s_wait_dscnt 0x0
	v_bcnt_u32_b32 v0, v0, v55
	ds_store_b32 v58, v0 offset:64
.LBB2060_125:
	s_or_b32 exec_lo, exec_lo, s0
	; wave barrier
	s_wait_dscnt 0x0
	s_barrier_signal -1
	s_barrier_wait -1
	ds_load_2addr_b32 v[6:7], v11 offset0:16 offset1:17
	ds_load_2addr_b32 v[4:5], v11 offset0:18 offset1:19
	ds_load_2addr_b32 v[2:3], v11 offset0:20 offset1:21
	ds_load_2addr_b32 v[0:1], v11 offset0:22 offset1:23
	ds_load_b32 v59, v11 offset:96
	v_min_u32_e32 v16, 0x1e0, v16
	s_mov_b32 s5, exec_lo
	s_delay_alu instid0(VALU_DEP_1) | instskip(SKIP_3) | instid1(VALU_DEP_1)
	v_or_b32_e32 v62, 31, v16
	s_wait_dscnt 0x3
	v_add3_u32 v60, v7, v6, v4
	s_wait_dscnt 0x2
	v_add3_u32 v60, v60, v5, v2
	s_wait_dscnt 0x1
	s_delay_alu instid0(VALU_DEP_1) | instskip(SKIP_1) | instid1(VALU_DEP_1)
	v_add3_u32 v60, v60, v3, v0
	s_wait_dscnt 0x0
	v_add3_u32 v59, v60, v1, v59
	v_and_b32_e32 v60, 15, v15
	s_delay_alu instid0(VALU_DEP_2) | instskip(NEXT) | instid1(VALU_DEP_2)
	v_mov_b32_dpp v61, v59 row_shr:1 row_mask:0xf bank_mask:0xf
	v_cmp_eq_u32_e32 vcc_lo, 0, v60
	v_cmp_lt_u32_e64 s0, 1, v60
	s_delay_alu instid0(VALU_DEP_3) | instskip(NEXT) | instid1(VALU_DEP_1)
	v_cndmask_b32_e64 v61, v61, 0, vcc_lo
	v_add_nc_u32_e32 v59, v61, v59
	s_delay_alu instid0(VALU_DEP_1) | instskip(NEXT) | instid1(VALU_DEP_1)
	v_mov_b32_dpp v61, v59 row_shr:2 row_mask:0xf bank_mask:0xf
	v_cndmask_b32_e64 v61, 0, v61, s0
	v_cmp_lt_u32_e64 s3, 7, v60
	v_cmp_lt_u32_e64 s1, 3, v60
	s_delay_alu instid0(VALU_DEP_3) | instskip(NEXT) | instid1(VALU_DEP_1)
	v_add_nc_u32_e32 v59, v59, v61
	v_mov_b32_dpp v61, v59 row_shr:4 row_mask:0xf bank_mask:0xf
	s_delay_alu instid0(VALU_DEP_1) | instskip(NEXT) | instid1(VALU_DEP_1)
	v_cndmask_b32_e64 v61, 0, v61, s1
	v_add_nc_u32_e32 v59, v59, v61
	s_delay_alu instid0(VALU_DEP_1) | instskip(NEXT) | instid1(VALU_DEP_1)
	v_mov_b32_dpp v61, v59 row_shr:8 row_mask:0xf bank_mask:0xf
	v_cndmask_b32_e64 v60, 0, v61, s3
	v_bfe_i32 v61, v15, 4, 1
	s_delay_alu instid0(VALU_DEP_2) | instskip(SKIP_3) | instid1(VALU_DEP_1)
	v_add_nc_u32_e32 v60, v59, v60
	ds_swizzle_b32 v59, v60 offset:swizzle(BROADCAST,32,15)
	s_wait_dscnt 0x0
	v_dual_lshrrev_b32 v59, 5, v14 :: v_dual_bitop2_b32 v61, v61, v59 bitop3:0x40
	v_add_nc_u32_e32 v16, v60, v61
	v_cmpx_eq_u32_e64 v14, v62
; %bb.126:
	s_delay_alu instid0(VALU_DEP_3)
	v_lshlrev_b32_e32 v60, 2, v59
	ds_store_b32 v60, v16
; %bb.127:
	s_or_b32 exec_lo, exec_lo, s5
	s_delay_alu instid0(SALU_CYCLE_1)
	s_mov_b32 s5, exec_lo
	s_wait_dscnt 0x0
	s_barrier_signal -1
	s_barrier_wait -1
	v_cmpx_gt_u32_e32 16, v14
	s_cbranch_execz .LBB2060_129
; %bb.128:
	v_lshlrev_b32_e32 v60, 2, v14
	ds_load_b32 v61, v60
	s_wait_dscnt 0x0
	v_mov_b32_dpp v62, v61 row_shr:1 row_mask:0xf bank_mask:0xf
	s_delay_alu instid0(VALU_DEP_1) | instskip(NEXT) | instid1(VALU_DEP_1)
	v_cndmask_b32_e64 v62, v62, 0, vcc_lo
	v_add_nc_u32_e32 v61, v62, v61
	s_delay_alu instid0(VALU_DEP_1) | instskip(NEXT) | instid1(VALU_DEP_1)
	v_mov_b32_dpp v62, v61 row_shr:2 row_mask:0xf bank_mask:0xf
	v_cndmask_b32_e64 v62, 0, v62, s0
	s_delay_alu instid0(VALU_DEP_1) | instskip(NEXT) | instid1(VALU_DEP_1)
	v_add_nc_u32_e32 v61, v61, v62
	v_mov_b32_dpp v62, v61 row_shr:4 row_mask:0xf bank_mask:0xf
	s_delay_alu instid0(VALU_DEP_1) | instskip(NEXT) | instid1(VALU_DEP_1)
	v_cndmask_b32_e64 v62, 0, v62, s1
	v_add_nc_u32_e32 v61, v61, v62
	s_delay_alu instid0(VALU_DEP_1) | instskip(NEXT) | instid1(VALU_DEP_1)
	v_mov_b32_dpp v62, v61 row_shr:8 row_mask:0xf bank_mask:0xf
	v_cndmask_b32_e64 v62, 0, v62, s3
	s_delay_alu instid0(VALU_DEP_1)
	v_add_nc_u32_e32 v61, v61, v62
	ds_store_b32 v60, v61
.LBB2060_129:
	s_or_b32 exec_lo, exec_lo, s5
	v_mov_b32_e32 v60, 0
	s_mov_b32 s0, exec_lo
	s_wait_dscnt 0x0
	s_barrier_signal -1
	s_barrier_wait -1
	v_cmpx_lt_u32_e32 31, v14
; %bb.130:
	v_lshl_add_u32 v59, v59, 2, -4
	ds_load_b32 v60, v59
; %bb.131:
	s_or_b32 exec_lo, exec_lo, s0
	v_sub_co_u32 v59, vcc_lo, v15, 1
	s_wait_dscnt 0x0
	v_add_nc_u32_e32 v16, v60, v16
	s_delay_alu instid0(VALU_DEP_2) | instskip(NEXT) | instid1(VALU_DEP_1)
	v_cmp_gt_i32_e64 s0, 0, v59
	v_cndmask_b32_e64 v15, v59, v15, s0
	v_cmp_gt_u32_e64 s0, 0x100, v14
	s_delay_alu instid0(VALU_DEP_2) | instskip(SKIP_4) | instid1(VALU_DEP_2)
	v_lshlrev_b32_e32 v15, 2, v15
	ds_bpermute_b32 v15, v15, v16
	s_wait_dscnt 0x0
	v_cndmask_b32_e32 v15, v15, v60, vcc_lo
	v_cmp_lt_u32_e32 vcc_lo, 0xff, v14
	v_cndmask_b32_e64 v15, v15, 0, s2
	s_delay_alu instid0(VALU_DEP_1) | instskip(NEXT) | instid1(VALU_DEP_1)
	v_add_nc_u32_e32 v6, v15, v6
	v_add_nc_u32_e32 v7, v6, v7
	s_delay_alu instid0(VALU_DEP_1) | instskip(NEXT) | instid1(VALU_DEP_1)
	v_add_nc_u32_e32 v4, v7, v4
	v_add_nc_u32_e32 v5, v4, v5
	;; [unrolled: 3-line block ×4, first 2 shown]
	ds_store_2addr_b32 v11, v15, v6 offset0:16 offset1:17
	ds_store_2addr_b32 v11, v7, v4 offset0:18 offset1:19
	;; [unrolled: 1-line block ×4, first 2 shown]
	ds_store_b32 v11, v1 offset:96
	s_wait_dscnt 0x0
	s_barrier_signal -1
	s_barrier_wait -1
	ds_load_b32 v59, v12 offset:64
	ds_load_b32 v60, v19 offset:64
	;; [unrolled: 1-line block ×12, first 2 shown]
	v_mov_b64_e32 v[0:1], 0
                                        ; implicit-def: $vgpr2
	s_and_saveexec_b32 s2, s0
	s_cbranch_execz .LBB2060_135
; %bb.132:
	v_mul_u32_u24_e32 v0, 0x44, v14
	v_dual_mov_b32 v1, 0x1800 :: v_dual_add_nc_u32 v2, 1, v14
	s_mov_b32 s3, exec_lo
	ds_load_b32 v0, v0 offset:64
	v_cmpx_ne_u32_e32 0x100, v2
; %bb.133:
	v_mul_u32_u24_e32 v1, 0x44, v2
	ds_load_b32 v1, v1 offset:64
; %bb.134:
	s_or_b32 exec_lo, exec_lo, s3
	s_wait_dscnt 0x0
	v_dual_mov_b32 v1, 0 :: v_dual_sub_nc_u32 v2, v1, v0
.LBB2060_135:
	s_or_b32 exec_lo, exec_lo, s2
	s_wait_dscnt 0xa
	v_dual_lshlrev_b32 v9, 1, v9 :: v_dual_lshlrev_b32 v23, 1, v60
	v_dual_lshlrev_b32 v18, 1, v18 :: v_dual_lshlrev_b32 v17, 1, v17
	v_lshlrev_b32_e32 v21, 1, v21
	s_delay_alu instid0(VALU_DEP_3)
	v_lshl_add_u32 v9, v59, 1, v9
	s_wait_dscnt 0x0
	s_barrier_signal -1
	v_add3_u32 v17, v23, v18, v17
	v_dual_lshlrev_b32 v18, 1, v19 :: v_dual_lshlrev_b32 v19, 1, v22
	s_barrier_wait -1
	ds_store_b16 v9, v8 offset:2048
	ds_store_b16 v17, v10 offset:2048
	v_lshlrev_b32_e32 v9, 1, v16
	v_add3_u32 v8, v18, v19, v21
	v_dual_lshlrev_b32 v10, 1, v26 :: v_dual_lshlrev_b32 v16, 1, v25
	v_dual_lshlrev_b32 v18, 1, v28 :: v_dual_lshlrev_b32 v19, 1, v33
	;; [unrolled: 1-line block ×6, first 2 shown]
	ds_store_b16 v8, v13 offset:2048
	v_add3_u32 v8, v9, v10, v16
	v_add3_u32 v10, v12, v19, v21
	v_dual_lshlrev_b32 v12, 1, v42 :: v_dual_lshlrev_b32 v13, 1, v41
	v_add3_u32 v9, v15, v17, v18
	v_add3_u32 v11, v11, v22, v23
	ds_store_b16 v8, v20 offset:2048
	ds_store_b16 v9, v24 offset:2048
	;; [unrolled: 1-line block ×4, first 2 shown]
	v_add3_u32 v7, v7, v12, v13
	v_dual_lshlrev_b32 v6, 1, v6 :: v_dual_lshlrev_b32 v9, 1, v45
	v_dual_lshlrev_b32 v8, 1, v46 :: v_dual_lshlrev_b32 v5, 1, v5
	;; [unrolled: 1-line block ×6, first 2 shown]
	ds_store_b16 v7, v36 offset:2048
	v_add3_u32 v6, v6, v8, v9
	v_add3_u32 v7, v5, v10, v11
	v_add3_u32 v8, v3, v15, v16
	v_dual_mov_b32 v5, 0 :: v_dual_lshlrev_b32 v3, 3, v14
	v_add3_u32 v4, v4, v12, v13
	ds_store_b16 v6, v40 offset:2048
	ds_store_b16 v7, v44 offset:2048
	;; [unrolled: 1-line block ×4, first 2 shown]
	s_and_saveexec_b32 s1, s0
	s_cbranch_execz .LBB2060_145
; %bb.136:
	v_lshl_add_u32 v4, s23, 8, v14
	v_dual_mov_b32 v8, 0 :: v_dual_bitop2_b32 v9, 2.0, v2 bitop3:0x54
	s_mov_b32 s2, 0
	s_mov_b32 s3, s23
	s_delay_alu instid0(VALU_DEP_2)
	v_lshl_add_u64 v[6:7], v[4:5], 2, s[10:11]
	global_store_b32 v4, v9, s[10:11] scale_offset scope:SCOPE_DEV
                                        ; implicit-def: $sgpr0
	s_branch .LBB2060_139
.LBB2060_137:                           ;   in Loop: Header=BB2060_139 Depth=1
	s_or_b32 exec_lo, exec_lo, s5
.LBB2060_138:                           ;   in Loop: Header=BB2060_139 Depth=1
	s_delay_alu instid0(SALU_CYCLE_1) | instskip(SKIP_2) | instid1(VALU_DEP_2)
	s_or_b32 exec_lo, exec_lo, s4
	v_and_b32_e32 v4, 0x3fffffff, v9
	v_cmp_gt_i32_e64 s0, -2.0, v9
	v_add_nc_u32_e32 v8, v4, v8
	s_and_b32 s4, exec_lo, s0
	s_delay_alu instid0(SALU_CYCLE_1) | instskip(NEXT) | instid1(SALU_CYCLE_1)
	s_or_b32 s2, s4, s2
	s_and_not1_b32 exec_lo, exec_lo, s2
	s_cbranch_execz .LBB2060_144
.LBB2060_139:                           ; =>This Loop Header: Depth=1
                                        ;     Child Loop BB2060_142 Depth 2
	s_or_b32 s0, s0, exec_lo
	s_cmp_eq_u32 s3, 0
	s_cbranch_scc1 .LBB2060_143
; %bb.140:                              ;   in Loop: Header=BB2060_139 Depth=1
	s_add_co_i32 s3, s3, -1
	s_mov_b32 s4, exec_lo
	s_wait_xcnt 0x0
	v_lshl_or_b32 v4, s3, 8, v14
	global_load_b32 v9, v4, s[10:11] scale_offset scope:SCOPE_DEV
	s_wait_loadcnt 0x0
	v_cmpx_gt_u32_e32 2.0, v9
	s_cbranch_execz .LBB2060_138
; %bb.141:                              ;   in Loop: Header=BB2060_139 Depth=1
	v_lshl_add_u64 v[10:11], v[4:5], 2, s[10:11]
	s_mov_b32 s5, 0
.LBB2060_142:                           ;   Parent Loop BB2060_139 Depth=1
                                        ; =>  This Inner Loop Header: Depth=2
	global_load_b32 v9, v[10:11], off scope:SCOPE_DEV
	s_wait_loadcnt 0x0
	v_cmp_lt_u32_e64 s0, 0x3fffffff, v9
	s_or_b32 s5, s0, s5
	s_wait_xcnt 0x0
	s_and_not1_b32 exec_lo, exec_lo, s5
	s_cbranch_execnz .LBB2060_142
	s_branch .LBB2060_137
.LBB2060_143:                           ;   in Loop: Header=BB2060_139 Depth=1
                                        ; implicit-def: $sgpr3
	s_and_b32 s4, exec_lo, s0
	s_delay_alu instid0(SALU_CYCLE_1)
	s_or_b32 s2, s4, s2
	s_wait_xcnt 0x0
	s_and_not1_b32 exec_lo, exec_lo, s2
	s_cbranch_execnz .LBB2060_139
.LBB2060_144:
	s_or_b32 exec_lo, exec_lo, s2
	v_dual_mov_b32 v9, 0 :: v_dual_add_nc_u32 v4, v8, v2
	s_delay_alu instid0(VALU_DEP_1) | instskip(SKIP_4) | instid1(VALU_DEP_1)
	v_or_b32_e32 v4, 0x80000000, v4
	global_store_b32 v[6:7], v4, off scope:SCOPE_DEV
	global_load_b64 v[4:5], v14, s[12:13] scale_offset
	v_sub_nc_u64_e32 v[6:7], v[8:9], v[0:1]
	s_wait_loadcnt 0x0
	v_add_nc_u64_e32 v[4:5], v[6:7], v[4:5]
	ds_store_b64 v3, v[4:5]
.LBB2060_145:
	s_wait_xcnt 0x0
	s_or_b32 exec_lo, exec_lo, s1
	v_mad_i32_i24 v15, v14, -6, v3
	s_wait_storecnt_dscnt 0x0
	s_barrier_signal -1
	s_barrier_wait -1
	ds_load_u16 v16, v15 offset:2048
	ds_load_u16 v17, v15 offset:3072
	;; [unrolled: 1-line block ×8, first 2 shown]
	v_dual_mov_b32 v5, 0 :: v_dual_lshlrev_b32 v4, 1, v14
	s_add_co_i32 s8, s8, -1
	s_delay_alu instid0(SALU_CYCLE_1) | instskip(SKIP_2) | instid1(VALU_DEP_1)
	s_cmp_eq_u32 s23, s8
	s_wait_dscnt 0x7
	v_cmp_ne_u16_e64 s0, 0x7fff, v16
	v_cndmask_b32_e64 v6, 0xffff8000, v16, s0
	v_cmp_lt_i16_e64 s0, -1, v16
	s_delay_alu instid0(VALU_DEP_2) | instskip(NEXT) | instid1(VALU_DEP_2)
	v_and_b32_e32 v6, 0xffff, v6
	v_cndmask_b32_e64 v24, 0xffff8000, -1, s0
	s_wait_dscnt 0x6
	v_cmp_ne_u16_e64 s0, 0x7fff, v17
	s_delay_alu instid0(VALU_DEP_2) | instskip(NEXT) | instid1(VALU_DEP_2)
	v_xor_b32_e32 v24, v24, v16
	v_cndmask_b32_e64 v7, 0xffff8000, v17, s0
	s_wait_dscnt 0x5
	v_cmp_ne_u16_e64 s0, 0x7fff, v18
	s_delay_alu instid0(VALU_DEP_2) | instskip(NEXT) | instid1(VALU_DEP_2)
	v_and_b32_e32 v7, 0xffff, v7
	v_cndmask_b32_e64 v8, 0xffff8000, v18, s0
	s_wait_dscnt 0x4
	v_cmp_ne_u16_e64 s0, 0x7fff, v19
	s_delay_alu instid0(VALU_DEP_3) | instskip(NEXT) | instid1(VALU_DEP_3)
	v_dual_lshrrev_b32 v6, s20, v6 :: v_dual_lshrrev_b32 v7, s20, v7
	v_and_b32_e32 v8, 0xffff, v8
	s_delay_alu instid0(VALU_DEP_3) | instskip(SKIP_1) | instid1(VALU_DEP_4)
	v_cndmask_b32_e64 v9, 0xffff8000, v19, s0
	v_cmp_lt_i16_e64 s0, -1, v17
	v_and_b32_e32 v7, s9, v7
	v_and_b32_e32 v6, s9, v6
	s_delay_alu instid0(VALU_DEP_4) | instskip(NEXT) | instid1(VALU_DEP_4)
	v_and_b32_e32 v9, 0xffff, v9
	v_cndmask_b32_e64 v25, 0xffff8000, -1, s0
	s_wait_dscnt 0x3
	v_cmp_ne_u16_e64 s0, 0x7fff, v20
	v_dual_lshrrev_b32 v8, s20, v8 :: v_dual_lshlrev_b32 v11, 3, v7
	v_dual_lshrrev_b32 v9, s20, v9 :: v_dual_lshlrev_b32 v6, 3, v6
	s_delay_alu instid0(VALU_DEP_3) | instskip(SKIP_1) | instid1(VALU_DEP_2)
	v_cndmask_b32_e64 v10, 0xffff8000, v20, s0
	v_cmp_lt_i16_e64 s0, -1, v18
	v_and_b32_e32 v10, 0xffff, v10
	v_and_b32_e32 v8, s9, v8
	;; [unrolled: 1-line block ×3, first 2 shown]
	s_delay_alu instid0(VALU_DEP_4) | instskip(SKIP_1) | instid1(VALU_DEP_4)
	v_cndmask_b32_e64 v27, 0xffff8000, -1, s0
	v_cmp_lt_i16_e64 s0, -1, v19
	v_dual_lshrrev_b32 v26, s20, v10 :: v_dual_lshlrev_b32 v10, 3, v8
	s_delay_alu instid0(VALU_DEP_4)
	v_lshlrev_b32_e32 v12, 3, v9
	ds_load_b64 v[6:7], v6
	ds_load_b64 v[8:9], v11
	v_cndmask_b32_e64 v28, 0xffff8000, -1, s0
	s_wait_dscnt 0x4
	v_cmp_ne_u16_e64 s0, 0x7fff, v21
	v_and_b32_e32 v26, s9, v26
	ds_load_b64 v[10:11], v10
	ds_load_b64 v[12:13], v12
	v_xor_b32_e32 v19, v28, v19
	v_cndmask_b32_e64 v29, 0xffff8000, v21, s0
	s_wait_dscnt 0x5
	v_cmp_ne_u16_e64 s0, 0x7fff, v22
	v_lshlrev_b32_e32 v26, 3, v26
	s_delay_alu instid0(VALU_DEP_2) | instskip(SKIP_1) | instid1(VALU_DEP_2)
	v_cndmask_b32_e64 v30, 0xffff8000, v22, s0
	v_cmp_lt_i16_e64 s0, -1, v20
	v_and_b32_e32 v28, 0xffff, v30
	s_wait_dscnt 0x3
	v_lshl_add_u64 v[6:7], v[6:7], 1, s[18:19]
	v_xor_b32_e32 v18, v27, v18
	v_and_b32_e32 v27, 0xffff, v29
	v_xor_b32_e32 v25, v25, v17
	ds_load_b64 v[16:17], v26
	ds_load_u16 v26, v15 offset:10240
	ds_load_u16 v31, v15 offset:11264
	;; [unrolled: 1-line block ×4, first 2 shown]
	s_wait_dscnt 0x7
	v_lshl_add_u64 v[8:9], v[8:9], 1, s[18:19]
	s_wait_dscnt 0x6
	v_lshl_add_u64 v[10:11], v[10:11], 1, s[18:19]
	v_add_nc_u64_e32 v[6:7], v[6:7], v[4:5]
	s_wait_dscnt 0x5
	v_lshl_add_u64 v[12:13], v[12:13], 1, s[18:19]
	v_add_nc_u64_e32 v[8:9], v[8:9], v[4:5]
	v_add_nc_u64_e32 v[10:11], v[10:11], v[4:5]
	s_clause 0x1
	global_store_b16 v[6:7], v24, off
	global_store_b16 v[8:9], v25, off offset:1024
	s_wait_xcnt 0x1
	v_cndmask_b32_e64 v6, 0xffff8000, -1, s0
	v_cmp_ne_u16_e64 s0, 0x7fff, v23
	s_wait_xcnt 0x0
	v_dual_lshrrev_b32 v8, s20, v27 :: v_dual_lshrrev_b32 v9, s20, v28
	global_store_b16 v[10:11], v18, off offset:2048
	v_add_nc_u64_e32 v[12:13], v[12:13], v[4:5]
	s_wait_xcnt 0x0
	v_cndmask_b32_e64 v10, 0xffff8000, v23, s0
	s_wait_dscnt 0x3
	v_cmp_ne_u16_e64 s0, 0x7fff, v26
	v_and_b32_e32 v8, s9, v8
	v_and_b32_e32 v9, s9, v9
	s_delay_alu instid0(VALU_DEP_3)
	v_cndmask_b32_e64 v11, 0xffff8000, v26, s0
	s_wait_dscnt 0x2
	v_cmp_ne_u16_e64 s0, 0x7fff, v31
	v_lshlrev_b32_e32 v8, 3, v8
	global_store_b16 v[12:13], v19, off offset:3072
	s_wait_xcnt 0x0
	v_dual_lshlrev_b32 v13, 3, v9 :: v_dual_bitop2_b32 v12, v6, v20 bitop3:0x14
	v_lshl_add_u64 v[6:7], v[16:17], 1, s[18:19]
	v_and_b32_e32 v16, 0xffff, v10
	v_and_b32_e32 v17, 0xffff, v11
	v_cndmask_b32_e64 v18, 0xffff8000, v31, s0
	ds_load_b64 v[8:9], v8
	ds_load_b64 v[10:11], v13
	v_cmp_lt_i16_e64 s0, -1, v21
	v_dual_lshrrev_b32 v13, s20, v16 :: v_dual_lshrrev_b32 v16, s20, v17
	v_and_b32_e32 v17, 0xffff, v18
	v_add_nc_u64_e32 v[6:7], v[6:7], v[4:5]
	s_delay_alu instid0(VALU_DEP_4)
	v_cndmask_b32_e64 v18, 0xffff8000, -1, s0
	s_wait_dscnt 0x3
	v_cmp_ne_u16_e64 s0, 0x7fff, v32
	v_dual_lshrrev_b32 v17, s20, v17 :: v_dual_bitop2_b32 v16, s9, v16 bitop3:0x40
	v_and_b32_e32 v13, s9, v13
	global_store_b16 v[6:7], v12, off offset:4096
	s_wait_xcnt 0x0
	v_dual_lshlrev_b32 v12, 3, v16 :: v_dual_bitop2_b32 v16, s9, v17 bitop3:0x40
	v_cndmask_b32_e64 v17, 0xffff8000, v32, s0
	s_wait_dscnt 0x2
	v_cmp_ne_u16_e64 s0, 0x7fff, v15
	s_wait_dscnt 0x1
	v_lshl_add_u64 v[8:9], v[8:9], 1, s[18:19]
	v_and_b32_e32 v17, 0xffff, v17
	s_delay_alu instid0(VALU_DEP_3)
	v_cndmask_b32_e64 v19, 0xffff8000, v15, s0
	v_cmp_lt_i16_e64 s0, -1, v22
	s_wait_dscnt 0x0
	v_lshl_add_u64 v[10:11], v[10:11], 1, s[18:19]
	v_add_nc_u64_e32 v[8:9], v[8:9], v[4:5]
	v_lshrrev_b32_e32 v20, s20, v17
	v_and_b32_e32 v19, 0xffff, v19
	v_lshlrev_b32_e32 v6, 3, v13
	v_dual_lshlrev_b32 v16, 3, v16 :: v_dual_bitop2_b32 v18, v18, v21 bitop3:0x14
	v_cndmask_b32_e64 v21, 0xffff8000, -1, s0
	s_delay_alu instid0(VALU_DEP_4)
	v_lshrrev_b32_e32 v19, s20, v19
	ds_load_b64 v[6:7], v6
	ds_load_b64 v[12:13], v12
	v_add_nc_u64_e32 v[10:11], v[10:11], v[4:5]
	ds_load_b64 v[16:17], v16
	v_xor_b32_e32 v21, v21, v22
	v_and_b32_e32 v19, s9, v19
	v_and_b32_e32 v20, s9, v20
	v_cmp_lt_i16_e64 s0, -1, v23
	s_clause 0x1
	global_store_b16 v[8:9], v18, off offset:5120
	global_store_b16 v[10:11], v21, off offset:6144
	v_dual_lshlrev_b32 v19, 3, v19 :: v_dual_lshlrev_b32 v20, 3, v20
	v_cndmask_b32_e64 v22, 0xffff8000, -1, s0
	v_cmp_lt_i16_e64 s0, -1, v26
	s_wait_xcnt 0x0
	ds_load_b64 v[10:11], v19
	ds_load_b64 v[8:9], v20
	v_xor_b32_e32 v18, v22, v23
	v_cndmask_b32_e64 v19, 0xffff8000, -1, s0
	v_cmp_lt_i16_e64 s0, -1, v31
	s_wait_dscnt 0x4
	v_lshl_add_u64 v[6:7], v[6:7], 1, s[18:19]
	s_wait_dscnt 0x3
	v_lshl_add_u64 v[12:13], v[12:13], 1, s[18:19]
	;; [unrolled: 2-line block ×3, first 2 shown]
	v_cndmask_b32_e64 v20, 0xffff8000, -1, s0
	v_cmp_lt_i16_e64 s0, -1, v32
	v_add_nc_u64_e32 v[6:7], v[6:7], v[4:5]
	v_add_nc_u64_e32 v[12:13], v[12:13], v[4:5]
	;; [unrolled: 1-line block ×3, first 2 shown]
	v_xor_b32_e32 v19, v19, v26
	v_xor_b32_e32 v20, v20, v31
	v_cndmask_b32_e64 v21, 0xffff8000, -1, s0
	v_cmp_lt_i16_e64 s0, -1, v15
	s_clause 0x2
	global_store_b16 v[6:7], v18, off offset:7168
	global_store_b16 v[12:13], v19, off offset:8192
	;; [unrolled: 1-line block ×3, first 2 shown]
	s_wait_dscnt 0x0
	s_wait_xcnt 0x2
	v_lshl_add_u64 v[6:7], v[8:9], 1, s[18:19]
	v_lshl_add_u64 v[8:9], v[10:11], 1, s[18:19]
	v_cndmask_b32_e64 v10, 0xffff8000, -1, s0
	s_wait_xcnt 0x1
	v_xor_b32_e32 v12, v21, v32
	s_cselect_b32 s0, -1, 0
	v_add_nc_u64_e32 v[6:7], v[6:7], v[4:5]
	v_add_nc_u64_e32 v[8:9], v[8:9], v[4:5]
	v_xor_b32_e32 v4, v10, v15
	s_xor_b32 s1, vcc_lo, -1
	s_delay_alu instid0(SALU_CYCLE_1)
	s_and_b32 s0, s1, s0
	s_clause 0x1
	global_store_b16 v[6:7], v12, off offset:10240
	global_store_b16 v[8:9], v4, off offset:11264
	s_wait_xcnt 0x0
	s_and_saveexec_b32 s1, s0
	s_cbranch_execz .LBB2060_147
; %bb.146:
	ds_load_b64 v[6:7], v3
	v_mov_b32_e32 v3, v5
	s_delay_alu instid0(VALU_DEP_1) | instskip(SKIP_1) | instid1(VALU_DEP_1)
	v_add_nc_u64_e32 v[0:1], v[0:1], v[2:3]
	s_wait_dscnt 0x0
	v_add_nc_u64_e32 v[0:1], v[0:1], v[6:7]
	global_store_b64 v14, v[0:1], s[14:15] scale_offset
.LBB2060_147:
	s_sendmsg sendmsg(MSG_DEALLOC_VGPRS)
	s_endpgm
	.section	.rodata,"a",@progbits
	.p2align	6, 0x0
	.amdhsa_kernel _ZN7rocprim17ROCPRIM_400000_NS6detail17trampoline_kernelINS0_14default_configENS1_35radix_sort_onesweep_config_selectorI12hip_bfloat16NS0_10empty_typeEEEZZNS1_29radix_sort_onesweep_iterationIS3_Lb0EPKS5_PS5_PS6_SC_mNS0_19identity_decomposerENS1_16block_id_wrapperIjLb1EEEEE10hipError_tT1_PNSt15iterator_traitsISH_E10value_typeET2_T3_PNSI_ISN_E10value_typeET4_T5_PSS_ST_PNS1_23onesweep_lookback_stateEbbT6_jjT7_P12ihipStream_tbENKUlT_T0_SH_SM_E_clISB_SB_SC_SC_EEDaS10_S11_SH_SM_EUlS10_E_NS1_11comp_targetILNS1_3genE0ELNS1_11target_archE4294967295ELNS1_3gpuE0ELNS1_3repE0EEENS1_47radix_sort_onesweep_sort_config_static_selectorELNS0_4arch9wavefront6targetE0EEEvSH_
		.amdhsa_group_segment_fixed_size 18504
		.amdhsa_private_segment_fixed_size 0
		.amdhsa_kernarg_size 344
		.amdhsa_user_sgpr_count 2
		.amdhsa_user_sgpr_dispatch_ptr 0
		.amdhsa_user_sgpr_queue_ptr 0
		.amdhsa_user_sgpr_kernarg_segment_ptr 1
		.amdhsa_user_sgpr_dispatch_id 0
		.amdhsa_user_sgpr_kernarg_preload_length 0
		.amdhsa_user_sgpr_kernarg_preload_offset 0
		.amdhsa_user_sgpr_private_segment_size 0
		.amdhsa_wavefront_size32 1
		.amdhsa_uses_dynamic_stack 0
		.amdhsa_enable_private_segment 0
		.amdhsa_system_sgpr_workgroup_id_x 1
		.amdhsa_system_sgpr_workgroup_id_y 0
		.amdhsa_system_sgpr_workgroup_id_z 0
		.amdhsa_system_sgpr_workgroup_info 0
		.amdhsa_system_vgpr_workitem_id 2
		.amdhsa_next_free_vgpr 65
		.amdhsa_next_free_sgpr 30
		.amdhsa_named_barrier_count 0
		.amdhsa_reserve_vcc 1
		.amdhsa_float_round_mode_32 0
		.amdhsa_float_round_mode_16_64 0
		.amdhsa_float_denorm_mode_32 3
		.amdhsa_float_denorm_mode_16_64 3
		.amdhsa_fp16_overflow 0
		.amdhsa_memory_ordered 1
		.amdhsa_forward_progress 1
		.amdhsa_inst_pref_size 148
		.amdhsa_round_robin_scheduling 0
		.amdhsa_exception_fp_ieee_invalid_op 0
		.amdhsa_exception_fp_denorm_src 0
		.amdhsa_exception_fp_ieee_div_zero 0
		.amdhsa_exception_fp_ieee_overflow 0
		.amdhsa_exception_fp_ieee_underflow 0
		.amdhsa_exception_fp_ieee_inexact 0
		.amdhsa_exception_int_div_zero 0
	.end_amdhsa_kernel
	.section	.text._ZN7rocprim17ROCPRIM_400000_NS6detail17trampoline_kernelINS0_14default_configENS1_35radix_sort_onesweep_config_selectorI12hip_bfloat16NS0_10empty_typeEEEZZNS1_29radix_sort_onesweep_iterationIS3_Lb0EPKS5_PS5_PS6_SC_mNS0_19identity_decomposerENS1_16block_id_wrapperIjLb1EEEEE10hipError_tT1_PNSt15iterator_traitsISH_E10value_typeET2_T3_PNSI_ISN_E10value_typeET4_T5_PSS_ST_PNS1_23onesweep_lookback_stateEbbT6_jjT7_P12ihipStream_tbENKUlT_T0_SH_SM_E_clISB_SB_SC_SC_EEDaS10_S11_SH_SM_EUlS10_E_NS1_11comp_targetILNS1_3genE0ELNS1_11target_archE4294967295ELNS1_3gpuE0ELNS1_3repE0EEENS1_47radix_sort_onesweep_sort_config_static_selectorELNS0_4arch9wavefront6targetE0EEEvSH_,"axG",@progbits,_ZN7rocprim17ROCPRIM_400000_NS6detail17trampoline_kernelINS0_14default_configENS1_35radix_sort_onesweep_config_selectorI12hip_bfloat16NS0_10empty_typeEEEZZNS1_29radix_sort_onesweep_iterationIS3_Lb0EPKS5_PS5_PS6_SC_mNS0_19identity_decomposerENS1_16block_id_wrapperIjLb1EEEEE10hipError_tT1_PNSt15iterator_traitsISH_E10value_typeET2_T3_PNSI_ISN_E10value_typeET4_T5_PSS_ST_PNS1_23onesweep_lookback_stateEbbT6_jjT7_P12ihipStream_tbENKUlT_T0_SH_SM_E_clISB_SB_SC_SC_EEDaS10_S11_SH_SM_EUlS10_E_NS1_11comp_targetILNS1_3genE0ELNS1_11target_archE4294967295ELNS1_3gpuE0ELNS1_3repE0EEENS1_47radix_sort_onesweep_sort_config_static_selectorELNS0_4arch9wavefront6targetE0EEEvSH_,comdat
.Lfunc_end2060:
	.size	_ZN7rocprim17ROCPRIM_400000_NS6detail17trampoline_kernelINS0_14default_configENS1_35radix_sort_onesweep_config_selectorI12hip_bfloat16NS0_10empty_typeEEEZZNS1_29radix_sort_onesweep_iterationIS3_Lb0EPKS5_PS5_PS6_SC_mNS0_19identity_decomposerENS1_16block_id_wrapperIjLb1EEEEE10hipError_tT1_PNSt15iterator_traitsISH_E10value_typeET2_T3_PNSI_ISN_E10value_typeET4_T5_PSS_ST_PNS1_23onesweep_lookback_stateEbbT6_jjT7_P12ihipStream_tbENKUlT_T0_SH_SM_E_clISB_SB_SC_SC_EEDaS10_S11_SH_SM_EUlS10_E_NS1_11comp_targetILNS1_3genE0ELNS1_11target_archE4294967295ELNS1_3gpuE0ELNS1_3repE0EEENS1_47radix_sort_onesweep_sort_config_static_selectorELNS0_4arch9wavefront6targetE0EEEvSH_, .Lfunc_end2060-_ZN7rocprim17ROCPRIM_400000_NS6detail17trampoline_kernelINS0_14default_configENS1_35radix_sort_onesweep_config_selectorI12hip_bfloat16NS0_10empty_typeEEEZZNS1_29radix_sort_onesweep_iterationIS3_Lb0EPKS5_PS5_PS6_SC_mNS0_19identity_decomposerENS1_16block_id_wrapperIjLb1EEEEE10hipError_tT1_PNSt15iterator_traitsISH_E10value_typeET2_T3_PNSI_ISN_E10value_typeET4_T5_PSS_ST_PNS1_23onesweep_lookback_stateEbbT6_jjT7_P12ihipStream_tbENKUlT_T0_SH_SM_E_clISB_SB_SC_SC_EEDaS10_S11_SH_SM_EUlS10_E_NS1_11comp_targetILNS1_3genE0ELNS1_11target_archE4294967295ELNS1_3gpuE0ELNS1_3repE0EEENS1_47radix_sort_onesweep_sort_config_static_selectorELNS0_4arch9wavefront6targetE0EEEvSH_
                                        ; -- End function
	.set _ZN7rocprim17ROCPRIM_400000_NS6detail17trampoline_kernelINS0_14default_configENS1_35radix_sort_onesweep_config_selectorI12hip_bfloat16NS0_10empty_typeEEEZZNS1_29radix_sort_onesweep_iterationIS3_Lb0EPKS5_PS5_PS6_SC_mNS0_19identity_decomposerENS1_16block_id_wrapperIjLb1EEEEE10hipError_tT1_PNSt15iterator_traitsISH_E10value_typeET2_T3_PNSI_ISN_E10value_typeET4_T5_PSS_ST_PNS1_23onesweep_lookback_stateEbbT6_jjT7_P12ihipStream_tbENKUlT_T0_SH_SM_E_clISB_SB_SC_SC_EEDaS10_S11_SH_SM_EUlS10_E_NS1_11comp_targetILNS1_3genE0ELNS1_11target_archE4294967295ELNS1_3gpuE0ELNS1_3repE0EEENS1_47radix_sort_onesweep_sort_config_static_selectorELNS0_4arch9wavefront6targetE0EEEvSH_.num_vgpr, 65
	.set _ZN7rocprim17ROCPRIM_400000_NS6detail17trampoline_kernelINS0_14default_configENS1_35radix_sort_onesweep_config_selectorI12hip_bfloat16NS0_10empty_typeEEEZZNS1_29radix_sort_onesweep_iterationIS3_Lb0EPKS5_PS5_PS6_SC_mNS0_19identity_decomposerENS1_16block_id_wrapperIjLb1EEEEE10hipError_tT1_PNSt15iterator_traitsISH_E10value_typeET2_T3_PNSI_ISN_E10value_typeET4_T5_PSS_ST_PNS1_23onesweep_lookback_stateEbbT6_jjT7_P12ihipStream_tbENKUlT_T0_SH_SM_E_clISB_SB_SC_SC_EEDaS10_S11_SH_SM_EUlS10_E_NS1_11comp_targetILNS1_3genE0ELNS1_11target_archE4294967295ELNS1_3gpuE0ELNS1_3repE0EEENS1_47radix_sort_onesweep_sort_config_static_selectorELNS0_4arch9wavefront6targetE0EEEvSH_.num_agpr, 0
	.set _ZN7rocprim17ROCPRIM_400000_NS6detail17trampoline_kernelINS0_14default_configENS1_35radix_sort_onesweep_config_selectorI12hip_bfloat16NS0_10empty_typeEEEZZNS1_29radix_sort_onesweep_iterationIS3_Lb0EPKS5_PS5_PS6_SC_mNS0_19identity_decomposerENS1_16block_id_wrapperIjLb1EEEEE10hipError_tT1_PNSt15iterator_traitsISH_E10value_typeET2_T3_PNSI_ISN_E10value_typeET4_T5_PSS_ST_PNS1_23onesweep_lookback_stateEbbT6_jjT7_P12ihipStream_tbENKUlT_T0_SH_SM_E_clISB_SB_SC_SC_EEDaS10_S11_SH_SM_EUlS10_E_NS1_11comp_targetILNS1_3genE0ELNS1_11target_archE4294967295ELNS1_3gpuE0ELNS1_3repE0EEENS1_47radix_sort_onesweep_sort_config_static_selectorELNS0_4arch9wavefront6targetE0EEEvSH_.numbered_sgpr, 30
	.set _ZN7rocprim17ROCPRIM_400000_NS6detail17trampoline_kernelINS0_14default_configENS1_35radix_sort_onesweep_config_selectorI12hip_bfloat16NS0_10empty_typeEEEZZNS1_29radix_sort_onesweep_iterationIS3_Lb0EPKS5_PS5_PS6_SC_mNS0_19identity_decomposerENS1_16block_id_wrapperIjLb1EEEEE10hipError_tT1_PNSt15iterator_traitsISH_E10value_typeET2_T3_PNSI_ISN_E10value_typeET4_T5_PSS_ST_PNS1_23onesweep_lookback_stateEbbT6_jjT7_P12ihipStream_tbENKUlT_T0_SH_SM_E_clISB_SB_SC_SC_EEDaS10_S11_SH_SM_EUlS10_E_NS1_11comp_targetILNS1_3genE0ELNS1_11target_archE4294967295ELNS1_3gpuE0ELNS1_3repE0EEENS1_47radix_sort_onesweep_sort_config_static_selectorELNS0_4arch9wavefront6targetE0EEEvSH_.num_named_barrier, 0
	.set _ZN7rocprim17ROCPRIM_400000_NS6detail17trampoline_kernelINS0_14default_configENS1_35radix_sort_onesweep_config_selectorI12hip_bfloat16NS0_10empty_typeEEEZZNS1_29radix_sort_onesweep_iterationIS3_Lb0EPKS5_PS5_PS6_SC_mNS0_19identity_decomposerENS1_16block_id_wrapperIjLb1EEEEE10hipError_tT1_PNSt15iterator_traitsISH_E10value_typeET2_T3_PNSI_ISN_E10value_typeET4_T5_PSS_ST_PNS1_23onesweep_lookback_stateEbbT6_jjT7_P12ihipStream_tbENKUlT_T0_SH_SM_E_clISB_SB_SC_SC_EEDaS10_S11_SH_SM_EUlS10_E_NS1_11comp_targetILNS1_3genE0ELNS1_11target_archE4294967295ELNS1_3gpuE0ELNS1_3repE0EEENS1_47radix_sort_onesweep_sort_config_static_selectorELNS0_4arch9wavefront6targetE0EEEvSH_.private_seg_size, 0
	.set _ZN7rocprim17ROCPRIM_400000_NS6detail17trampoline_kernelINS0_14default_configENS1_35radix_sort_onesweep_config_selectorI12hip_bfloat16NS0_10empty_typeEEEZZNS1_29radix_sort_onesweep_iterationIS3_Lb0EPKS5_PS5_PS6_SC_mNS0_19identity_decomposerENS1_16block_id_wrapperIjLb1EEEEE10hipError_tT1_PNSt15iterator_traitsISH_E10value_typeET2_T3_PNSI_ISN_E10value_typeET4_T5_PSS_ST_PNS1_23onesweep_lookback_stateEbbT6_jjT7_P12ihipStream_tbENKUlT_T0_SH_SM_E_clISB_SB_SC_SC_EEDaS10_S11_SH_SM_EUlS10_E_NS1_11comp_targetILNS1_3genE0ELNS1_11target_archE4294967295ELNS1_3gpuE0ELNS1_3repE0EEENS1_47radix_sort_onesweep_sort_config_static_selectorELNS0_4arch9wavefront6targetE0EEEvSH_.uses_vcc, 1
	.set _ZN7rocprim17ROCPRIM_400000_NS6detail17trampoline_kernelINS0_14default_configENS1_35radix_sort_onesweep_config_selectorI12hip_bfloat16NS0_10empty_typeEEEZZNS1_29radix_sort_onesweep_iterationIS3_Lb0EPKS5_PS5_PS6_SC_mNS0_19identity_decomposerENS1_16block_id_wrapperIjLb1EEEEE10hipError_tT1_PNSt15iterator_traitsISH_E10value_typeET2_T3_PNSI_ISN_E10value_typeET4_T5_PSS_ST_PNS1_23onesweep_lookback_stateEbbT6_jjT7_P12ihipStream_tbENKUlT_T0_SH_SM_E_clISB_SB_SC_SC_EEDaS10_S11_SH_SM_EUlS10_E_NS1_11comp_targetILNS1_3genE0ELNS1_11target_archE4294967295ELNS1_3gpuE0ELNS1_3repE0EEENS1_47radix_sort_onesweep_sort_config_static_selectorELNS0_4arch9wavefront6targetE0EEEvSH_.uses_flat_scratch, 0
	.set _ZN7rocprim17ROCPRIM_400000_NS6detail17trampoline_kernelINS0_14default_configENS1_35radix_sort_onesweep_config_selectorI12hip_bfloat16NS0_10empty_typeEEEZZNS1_29radix_sort_onesweep_iterationIS3_Lb0EPKS5_PS5_PS6_SC_mNS0_19identity_decomposerENS1_16block_id_wrapperIjLb1EEEEE10hipError_tT1_PNSt15iterator_traitsISH_E10value_typeET2_T3_PNSI_ISN_E10value_typeET4_T5_PSS_ST_PNS1_23onesweep_lookback_stateEbbT6_jjT7_P12ihipStream_tbENKUlT_T0_SH_SM_E_clISB_SB_SC_SC_EEDaS10_S11_SH_SM_EUlS10_E_NS1_11comp_targetILNS1_3genE0ELNS1_11target_archE4294967295ELNS1_3gpuE0ELNS1_3repE0EEENS1_47radix_sort_onesweep_sort_config_static_selectorELNS0_4arch9wavefront6targetE0EEEvSH_.has_dyn_sized_stack, 0
	.set _ZN7rocprim17ROCPRIM_400000_NS6detail17trampoline_kernelINS0_14default_configENS1_35radix_sort_onesweep_config_selectorI12hip_bfloat16NS0_10empty_typeEEEZZNS1_29radix_sort_onesweep_iterationIS3_Lb0EPKS5_PS5_PS6_SC_mNS0_19identity_decomposerENS1_16block_id_wrapperIjLb1EEEEE10hipError_tT1_PNSt15iterator_traitsISH_E10value_typeET2_T3_PNSI_ISN_E10value_typeET4_T5_PSS_ST_PNS1_23onesweep_lookback_stateEbbT6_jjT7_P12ihipStream_tbENKUlT_T0_SH_SM_E_clISB_SB_SC_SC_EEDaS10_S11_SH_SM_EUlS10_E_NS1_11comp_targetILNS1_3genE0ELNS1_11target_archE4294967295ELNS1_3gpuE0ELNS1_3repE0EEENS1_47radix_sort_onesweep_sort_config_static_selectorELNS0_4arch9wavefront6targetE0EEEvSH_.has_recursion, 0
	.set _ZN7rocprim17ROCPRIM_400000_NS6detail17trampoline_kernelINS0_14default_configENS1_35radix_sort_onesweep_config_selectorI12hip_bfloat16NS0_10empty_typeEEEZZNS1_29radix_sort_onesweep_iterationIS3_Lb0EPKS5_PS5_PS6_SC_mNS0_19identity_decomposerENS1_16block_id_wrapperIjLb1EEEEE10hipError_tT1_PNSt15iterator_traitsISH_E10value_typeET2_T3_PNSI_ISN_E10value_typeET4_T5_PSS_ST_PNS1_23onesweep_lookback_stateEbbT6_jjT7_P12ihipStream_tbENKUlT_T0_SH_SM_E_clISB_SB_SC_SC_EEDaS10_S11_SH_SM_EUlS10_E_NS1_11comp_targetILNS1_3genE0ELNS1_11target_archE4294967295ELNS1_3gpuE0ELNS1_3repE0EEENS1_47radix_sort_onesweep_sort_config_static_selectorELNS0_4arch9wavefront6targetE0EEEvSH_.has_indirect_call, 0
	.section	.AMDGPU.csdata,"",@progbits
; Kernel info:
; codeLenInByte = 18912
; TotalNumSgprs: 32
; NumVgprs: 65
; ScratchSize: 0
; MemoryBound: 0
; FloatMode: 240
; IeeeMode: 1
; LDSByteSize: 18504 bytes/workgroup (compile time only)
; SGPRBlocks: 0
; VGPRBlocks: 4
; NumSGPRsForWavesPerEU: 32
; NumVGPRsForWavesPerEU: 65
; NamedBarCnt: 0
; Occupancy: 12
; WaveLimiterHint : 0
; COMPUTE_PGM_RSRC2:SCRATCH_EN: 0
; COMPUTE_PGM_RSRC2:USER_SGPR: 2
; COMPUTE_PGM_RSRC2:TRAP_HANDLER: 0
; COMPUTE_PGM_RSRC2:TGID_X_EN: 1
; COMPUTE_PGM_RSRC2:TGID_Y_EN: 0
; COMPUTE_PGM_RSRC2:TGID_Z_EN: 0
; COMPUTE_PGM_RSRC2:TIDIG_COMP_CNT: 2
	.section	.text._ZN7rocprim17ROCPRIM_400000_NS6detail17trampoline_kernelINS0_14default_configENS1_35radix_sort_onesweep_config_selectorI12hip_bfloat16NS0_10empty_typeEEEZZNS1_29radix_sort_onesweep_iterationIS3_Lb0EPKS5_PS5_PS6_SC_mNS0_19identity_decomposerENS1_16block_id_wrapperIjLb1EEEEE10hipError_tT1_PNSt15iterator_traitsISH_E10value_typeET2_T3_PNSI_ISN_E10value_typeET4_T5_PSS_ST_PNS1_23onesweep_lookback_stateEbbT6_jjT7_P12ihipStream_tbENKUlT_T0_SH_SM_E_clISB_SB_SC_SC_EEDaS10_S11_SH_SM_EUlS10_E_NS1_11comp_targetILNS1_3genE6ELNS1_11target_archE950ELNS1_3gpuE13ELNS1_3repE0EEENS1_47radix_sort_onesweep_sort_config_static_selectorELNS0_4arch9wavefront6targetE0EEEvSH_,"axG",@progbits,_ZN7rocprim17ROCPRIM_400000_NS6detail17trampoline_kernelINS0_14default_configENS1_35radix_sort_onesweep_config_selectorI12hip_bfloat16NS0_10empty_typeEEEZZNS1_29radix_sort_onesweep_iterationIS3_Lb0EPKS5_PS5_PS6_SC_mNS0_19identity_decomposerENS1_16block_id_wrapperIjLb1EEEEE10hipError_tT1_PNSt15iterator_traitsISH_E10value_typeET2_T3_PNSI_ISN_E10value_typeET4_T5_PSS_ST_PNS1_23onesweep_lookback_stateEbbT6_jjT7_P12ihipStream_tbENKUlT_T0_SH_SM_E_clISB_SB_SC_SC_EEDaS10_S11_SH_SM_EUlS10_E_NS1_11comp_targetILNS1_3genE6ELNS1_11target_archE950ELNS1_3gpuE13ELNS1_3repE0EEENS1_47radix_sort_onesweep_sort_config_static_selectorELNS0_4arch9wavefront6targetE0EEEvSH_,comdat
	.protected	_ZN7rocprim17ROCPRIM_400000_NS6detail17trampoline_kernelINS0_14default_configENS1_35radix_sort_onesweep_config_selectorI12hip_bfloat16NS0_10empty_typeEEEZZNS1_29radix_sort_onesweep_iterationIS3_Lb0EPKS5_PS5_PS6_SC_mNS0_19identity_decomposerENS1_16block_id_wrapperIjLb1EEEEE10hipError_tT1_PNSt15iterator_traitsISH_E10value_typeET2_T3_PNSI_ISN_E10value_typeET4_T5_PSS_ST_PNS1_23onesweep_lookback_stateEbbT6_jjT7_P12ihipStream_tbENKUlT_T0_SH_SM_E_clISB_SB_SC_SC_EEDaS10_S11_SH_SM_EUlS10_E_NS1_11comp_targetILNS1_3genE6ELNS1_11target_archE950ELNS1_3gpuE13ELNS1_3repE0EEENS1_47radix_sort_onesweep_sort_config_static_selectorELNS0_4arch9wavefront6targetE0EEEvSH_ ; -- Begin function _ZN7rocprim17ROCPRIM_400000_NS6detail17trampoline_kernelINS0_14default_configENS1_35radix_sort_onesweep_config_selectorI12hip_bfloat16NS0_10empty_typeEEEZZNS1_29radix_sort_onesweep_iterationIS3_Lb0EPKS5_PS5_PS6_SC_mNS0_19identity_decomposerENS1_16block_id_wrapperIjLb1EEEEE10hipError_tT1_PNSt15iterator_traitsISH_E10value_typeET2_T3_PNSI_ISN_E10value_typeET4_T5_PSS_ST_PNS1_23onesweep_lookback_stateEbbT6_jjT7_P12ihipStream_tbENKUlT_T0_SH_SM_E_clISB_SB_SC_SC_EEDaS10_S11_SH_SM_EUlS10_E_NS1_11comp_targetILNS1_3genE6ELNS1_11target_archE950ELNS1_3gpuE13ELNS1_3repE0EEENS1_47radix_sort_onesweep_sort_config_static_selectorELNS0_4arch9wavefront6targetE0EEEvSH_
	.globl	_ZN7rocprim17ROCPRIM_400000_NS6detail17trampoline_kernelINS0_14default_configENS1_35radix_sort_onesweep_config_selectorI12hip_bfloat16NS0_10empty_typeEEEZZNS1_29radix_sort_onesweep_iterationIS3_Lb0EPKS5_PS5_PS6_SC_mNS0_19identity_decomposerENS1_16block_id_wrapperIjLb1EEEEE10hipError_tT1_PNSt15iterator_traitsISH_E10value_typeET2_T3_PNSI_ISN_E10value_typeET4_T5_PSS_ST_PNS1_23onesweep_lookback_stateEbbT6_jjT7_P12ihipStream_tbENKUlT_T0_SH_SM_E_clISB_SB_SC_SC_EEDaS10_S11_SH_SM_EUlS10_E_NS1_11comp_targetILNS1_3genE6ELNS1_11target_archE950ELNS1_3gpuE13ELNS1_3repE0EEENS1_47radix_sort_onesweep_sort_config_static_selectorELNS0_4arch9wavefront6targetE0EEEvSH_
	.p2align	8
	.type	_ZN7rocprim17ROCPRIM_400000_NS6detail17trampoline_kernelINS0_14default_configENS1_35radix_sort_onesweep_config_selectorI12hip_bfloat16NS0_10empty_typeEEEZZNS1_29radix_sort_onesweep_iterationIS3_Lb0EPKS5_PS5_PS6_SC_mNS0_19identity_decomposerENS1_16block_id_wrapperIjLb1EEEEE10hipError_tT1_PNSt15iterator_traitsISH_E10value_typeET2_T3_PNSI_ISN_E10value_typeET4_T5_PSS_ST_PNS1_23onesweep_lookback_stateEbbT6_jjT7_P12ihipStream_tbENKUlT_T0_SH_SM_E_clISB_SB_SC_SC_EEDaS10_S11_SH_SM_EUlS10_E_NS1_11comp_targetILNS1_3genE6ELNS1_11target_archE950ELNS1_3gpuE13ELNS1_3repE0EEENS1_47radix_sort_onesweep_sort_config_static_selectorELNS0_4arch9wavefront6targetE0EEEvSH_,@function
_ZN7rocprim17ROCPRIM_400000_NS6detail17trampoline_kernelINS0_14default_configENS1_35radix_sort_onesweep_config_selectorI12hip_bfloat16NS0_10empty_typeEEEZZNS1_29radix_sort_onesweep_iterationIS3_Lb0EPKS5_PS5_PS6_SC_mNS0_19identity_decomposerENS1_16block_id_wrapperIjLb1EEEEE10hipError_tT1_PNSt15iterator_traitsISH_E10value_typeET2_T3_PNSI_ISN_E10value_typeET4_T5_PSS_ST_PNS1_23onesweep_lookback_stateEbbT6_jjT7_P12ihipStream_tbENKUlT_T0_SH_SM_E_clISB_SB_SC_SC_EEDaS10_S11_SH_SM_EUlS10_E_NS1_11comp_targetILNS1_3genE6ELNS1_11target_archE950ELNS1_3gpuE13ELNS1_3repE0EEENS1_47radix_sort_onesweep_sort_config_static_selectorELNS0_4arch9wavefront6targetE0EEEvSH_: ; @_ZN7rocprim17ROCPRIM_400000_NS6detail17trampoline_kernelINS0_14default_configENS1_35radix_sort_onesweep_config_selectorI12hip_bfloat16NS0_10empty_typeEEEZZNS1_29radix_sort_onesweep_iterationIS3_Lb0EPKS5_PS5_PS6_SC_mNS0_19identity_decomposerENS1_16block_id_wrapperIjLb1EEEEE10hipError_tT1_PNSt15iterator_traitsISH_E10value_typeET2_T3_PNSI_ISN_E10value_typeET4_T5_PSS_ST_PNS1_23onesweep_lookback_stateEbbT6_jjT7_P12ihipStream_tbENKUlT_T0_SH_SM_E_clISB_SB_SC_SC_EEDaS10_S11_SH_SM_EUlS10_E_NS1_11comp_targetILNS1_3genE6ELNS1_11target_archE950ELNS1_3gpuE13ELNS1_3repE0EEENS1_47radix_sort_onesweep_sort_config_static_selectorELNS0_4arch9wavefront6targetE0EEEvSH_
; %bb.0:
	.section	.rodata,"a",@progbits
	.p2align	6, 0x0
	.amdhsa_kernel _ZN7rocprim17ROCPRIM_400000_NS6detail17trampoline_kernelINS0_14default_configENS1_35radix_sort_onesweep_config_selectorI12hip_bfloat16NS0_10empty_typeEEEZZNS1_29radix_sort_onesweep_iterationIS3_Lb0EPKS5_PS5_PS6_SC_mNS0_19identity_decomposerENS1_16block_id_wrapperIjLb1EEEEE10hipError_tT1_PNSt15iterator_traitsISH_E10value_typeET2_T3_PNSI_ISN_E10value_typeET4_T5_PSS_ST_PNS1_23onesweep_lookback_stateEbbT6_jjT7_P12ihipStream_tbENKUlT_T0_SH_SM_E_clISB_SB_SC_SC_EEDaS10_S11_SH_SM_EUlS10_E_NS1_11comp_targetILNS1_3genE6ELNS1_11target_archE950ELNS1_3gpuE13ELNS1_3repE0EEENS1_47radix_sort_onesweep_sort_config_static_selectorELNS0_4arch9wavefront6targetE0EEEvSH_
		.amdhsa_group_segment_fixed_size 0
		.amdhsa_private_segment_fixed_size 0
		.amdhsa_kernarg_size 88
		.amdhsa_user_sgpr_count 2
		.amdhsa_user_sgpr_dispatch_ptr 0
		.amdhsa_user_sgpr_queue_ptr 0
		.amdhsa_user_sgpr_kernarg_segment_ptr 1
		.amdhsa_user_sgpr_dispatch_id 0
		.amdhsa_user_sgpr_kernarg_preload_length 0
		.amdhsa_user_sgpr_kernarg_preload_offset 0
		.amdhsa_user_sgpr_private_segment_size 0
		.amdhsa_wavefront_size32 1
		.amdhsa_uses_dynamic_stack 0
		.amdhsa_enable_private_segment 0
		.amdhsa_system_sgpr_workgroup_id_x 1
		.amdhsa_system_sgpr_workgroup_id_y 0
		.amdhsa_system_sgpr_workgroup_id_z 0
		.amdhsa_system_sgpr_workgroup_info 0
		.amdhsa_system_vgpr_workitem_id 0
		.amdhsa_next_free_vgpr 1
		.amdhsa_next_free_sgpr 1
		.amdhsa_named_barrier_count 0
		.amdhsa_reserve_vcc 0
		.amdhsa_float_round_mode_32 0
		.amdhsa_float_round_mode_16_64 0
		.amdhsa_float_denorm_mode_32 3
		.amdhsa_float_denorm_mode_16_64 3
		.amdhsa_fp16_overflow 0
		.amdhsa_memory_ordered 1
		.amdhsa_forward_progress 1
		.amdhsa_inst_pref_size 0
		.amdhsa_round_robin_scheduling 0
		.amdhsa_exception_fp_ieee_invalid_op 0
		.amdhsa_exception_fp_denorm_src 0
		.amdhsa_exception_fp_ieee_div_zero 0
		.amdhsa_exception_fp_ieee_overflow 0
		.amdhsa_exception_fp_ieee_underflow 0
		.amdhsa_exception_fp_ieee_inexact 0
		.amdhsa_exception_int_div_zero 0
	.end_amdhsa_kernel
	.section	.text._ZN7rocprim17ROCPRIM_400000_NS6detail17trampoline_kernelINS0_14default_configENS1_35radix_sort_onesweep_config_selectorI12hip_bfloat16NS0_10empty_typeEEEZZNS1_29radix_sort_onesweep_iterationIS3_Lb0EPKS5_PS5_PS6_SC_mNS0_19identity_decomposerENS1_16block_id_wrapperIjLb1EEEEE10hipError_tT1_PNSt15iterator_traitsISH_E10value_typeET2_T3_PNSI_ISN_E10value_typeET4_T5_PSS_ST_PNS1_23onesweep_lookback_stateEbbT6_jjT7_P12ihipStream_tbENKUlT_T0_SH_SM_E_clISB_SB_SC_SC_EEDaS10_S11_SH_SM_EUlS10_E_NS1_11comp_targetILNS1_3genE6ELNS1_11target_archE950ELNS1_3gpuE13ELNS1_3repE0EEENS1_47radix_sort_onesweep_sort_config_static_selectorELNS0_4arch9wavefront6targetE0EEEvSH_,"axG",@progbits,_ZN7rocprim17ROCPRIM_400000_NS6detail17trampoline_kernelINS0_14default_configENS1_35radix_sort_onesweep_config_selectorI12hip_bfloat16NS0_10empty_typeEEEZZNS1_29radix_sort_onesweep_iterationIS3_Lb0EPKS5_PS5_PS6_SC_mNS0_19identity_decomposerENS1_16block_id_wrapperIjLb1EEEEE10hipError_tT1_PNSt15iterator_traitsISH_E10value_typeET2_T3_PNSI_ISN_E10value_typeET4_T5_PSS_ST_PNS1_23onesweep_lookback_stateEbbT6_jjT7_P12ihipStream_tbENKUlT_T0_SH_SM_E_clISB_SB_SC_SC_EEDaS10_S11_SH_SM_EUlS10_E_NS1_11comp_targetILNS1_3genE6ELNS1_11target_archE950ELNS1_3gpuE13ELNS1_3repE0EEENS1_47radix_sort_onesweep_sort_config_static_selectorELNS0_4arch9wavefront6targetE0EEEvSH_,comdat
.Lfunc_end2061:
	.size	_ZN7rocprim17ROCPRIM_400000_NS6detail17trampoline_kernelINS0_14default_configENS1_35radix_sort_onesweep_config_selectorI12hip_bfloat16NS0_10empty_typeEEEZZNS1_29radix_sort_onesweep_iterationIS3_Lb0EPKS5_PS5_PS6_SC_mNS0_19identity_decomposerENS1_16block_id_wrapperIjLb1EEEEE10hipError_tT1_PNSt15iterator_traitsISH_E10value_typeET2_T3_PNSI_ISN_E10value_typeET4_T5_PSS_ST_PNS1_23onesweep_lookback_stateEbbT6_jjT7_P12ihipStream_tbENKUlT_T0_SH_SM_E_clISB_SB_SC_SC_EEDaS10_S11_SH_SM_EUlS10_E_NS1_11comp_targetILNS1_3genE6ELNS1_11target_archE950ELNS1_3gpuE13ELNS1_3repE0EEENS1_47radix_sort_onesweep_sort_config_static_selectorELNS0_4arch9wavefront6targetE0EEEvSH_, .Lfunc_end2061-_ZN7rocprim17ROCPRIM_400000_NS6detail17trampoline_kernelINS0_14default_configENS1_35radix_sort_onesweep_config_selectorI12hip_bfloat16NS0_10empty_typeEEEZZNS1_29radix_sort_onesweep_iterationIS3_Lb0EPKS5_PS5_PS6_SC_mNS0_19identity_decomposerENS1_16block_id_wrapperIjLb1EEEEE10hipError_tT1_PNSt15iterator_traitsISH_E10value_typeET2_T3_PNSI_ISN_E10value_typeET4_T5_PSS_ST_PNS1_23onesweep_lookback_stateEbbT6_jjT7_P12ihipStream_tbENKUlT_T0_SH_SM_E_clISB_SB_SC_SC_EEDaS10_S11_SH_SM_EUlS10_E_NS1_11comp_targetILNS1_3genE6ELNS1_11target_archE950ELNS1_3gpuE13ELNS1_3repE0EEENS1_47radix_sort_onesweep_sort_config_static_selectorELNS0_4arch9wavefront6targetE0EEEvSH_
                                        ; -- End function
	.set _ZN7rocprim17ROCPRIM_400000_NS6detail17trampoline_kernelINS0_14default_configENS1_35radix_sort_onesweep_config_selectorI12hip_bfloat16NS0_10empty_typeEEEZZNS1_29radix_sort_onesweep_iterationIS3_Lb0EPKS5_PS5_PS6_SC_mNS0_19identity_decomposerENS1_16block_id_wrapperIjLb1EEEEE10hipError_tT1_PNSt15iterator_traitsISH_E10value_typeET2_T3_PNSI_ISN_E10value_typeET4_T5_PSS_ST_PNS1_23onesweep_lookback_stateEbbT6_jjT7_P12ihipStream_tbENKUlT_T0_SH_SM_E_clISB_SB_SC_SC_EEDaS10_S11_SH_SM_EUlS10_E_NS1_11comp_targetILNS1_3genE6ELNS1_11target_archE950ELNS1_3gpuE13ELNS1_3repE0EEENS1_47radix_sort_onesweep_sort_config_static_selectorELNS0_4arch9wavefront6targetE0EEEvSH_.num_vgpr, 0
	.set _ZN7rocprim17ROCPRIM_400000_NS6detail17trampoline_kernelINS0_14default_configENS1_35radix_sort_onesweep_config_selectorI12hip_bfloat16NS0_10empty_typeEEEZZNS1_29radix_sort_onesweep_iterationIS3_Lb0EPKS5_PS5_PS6_SC_mNS0_19identity_decomposerENS1_16block_id_wrapperIjLb1EEEEE10hipError_tT1_PNSt15iterator_traitsISH_E10value_typeET2_T3_PNSI_ISN_E10value_typeET4_T5_PSS_ST_PNS1_23onesweep_lookback_stateEbbT6_jjT7_P12ihipStream_tbENKUlT_T0_SH_SM_E_clISB_SB_SC_SC_EEDaS10_S11_SH_SM_EUlS10_E_NS1_11comp_targetILNS1_3genE6ELNS1_11target_archE950ELNS1_3gpuE13ELNS1_3repE0EEENS1_47radix_sort_onesweep_sort_config_static_selectorELNS0_4arch9wavefront6targetE0EEEvSH_.num_agpr, 0
	.set _ZN7rocprim17ROCPRIM_400000_NS6detail17trampoline_kernelINS0_14default_configENS1_35radix_sort_onesweep_config_selectorI12hip_bfloat16NS0_10empty_typeEEEZZNS1_29radix_sort_onesweep_iterationIS3_Lb0EPKS5_PS5_PS6_SC_mNS0_19identity_decomposerENS1_16block_id_wrapperIjLb1EEEEE10hipError_tT1_PNSt15iterator_traitsISH_E10value_typeET2_T3_PNSI_ISN_E10value_typeET4_T5_PSS_ST_PNS1_23onesweep_lookback_stateEbbT6_jjT7_P12ihipStream_tbENKUlT_T0_SH_SM_E_clISB_SB_SC_SC_EEDaS10_S11_SH_SM_EUlS10_E_NS1_11comp_targetILNS1_3genE6ELNS1_11target_archE950ELNS1_3gpuE13ELNS1_3repE0EEENS1_47radix_sort_onesweep_sort_config_static_selectorELNS0_4arch9wavefront6targetE0EEEvSH_.numbered_sgpr, 0
	.set _ZN7rocprim17ROCPRIM_400000_NS6detail17trampoline_kernelINS0_14default_configENS1_35radix_sort_onesweep_config_selectorI12hip_bfloat16NS0_10empty_typeEEEZZNS1_29radix_sort_onesweep_iterationIS3_Lb0EPKS5_PS5_PS6_SC_mNS0_19identity_decomposerENS1_16block_id_wrapperIjLb1EEEEE10hipError_tT1_PNSt15iterator_traitsISH_E10value_typeET2_T3_PNSI_ISN_E10value_typeET4_T5_PSS_ST_PNS1_23onesweep_lookback_stateEbbT6_jjT7_P12ihipStream_tbENKUlT_T0_SH_SM_E_clISB_SB_SC_SC_EEDaS10_S11_SH_SM_EUlS10_E_NS1_11comp_targetILNS1_3genE6ELNS1_11target_archE950ELNS1_3gpuE13ELNS1_3repE0EEENS1_47radix_sort_onesweep_sort_config_static_selectorELNS0_4arch9wavefront6targetE0EEEvSH_.num_named_barrier, 0
	.set _ZN7rocprim17ROCPRIM_400000_NS6detail17trampoline_kernelINS0_14default_configENS1_35radix_sort_onesweep_config_selectorI12hip_bfloat16NS0_10empty_typeEEEZZNS1_29radix_sort_onesweep_iterationIS3_Lb0EPKS5_PS5_PS6_SC_mNS0_19identity_decomposerENS1_16block_id_wrapperIjLb1EEEEE10hipError_tT1_PNSt15iterator_traitsISH_E10value_typeET2_T3_PNSI_ISN_E10value_typeET4_T5_PSS_ST_PNS1_23onesweep_lookback_stateEbbT6_jjT7_P12ihipStream_tbENKUlT_T0_SH_SM_E_clISB_SB_SC_SC_EEDaS10_S11_SH_SM_EUlS10_E_NS1_11comp_targetILNS1_3genE6ELNS1_11target_archE950ELNS1_3gpuE13ELNS1_3repE0EEENS1_47radix_sort_onesweep_sort_config_static_selectorELNS0_4arch9wavefront6targetE0EEEvSH_.private_seg_size, 0
	.set _ZN7rocprim17ROCPRIM_400000_NS6detail17trampoline_kernelINS0_14default_configENS1_35radix_sort_onesweep_config_selectorI12hip_bfloat16NS0_10empty_typeEEEZZNS1_29radix_sort_onesweep_iterationIS3_Lb0EPKS5_PS5_PS6_SC_mNS0_19identity_decomposerENS1_16block_id_wrapperIjLb1EEEEE10hipError_tT1_PNSt15iterator_traitsISH_E10value_typeET2_T3_PNSI_ISN_E10value_typeET4_T5_PSS_ST_PNS1_23onesweep_lookback_stateEbbT6_jjT7_P12ihipStream_tbENKUlT_T0_SH_SM_E_clISB_SB_SC_SC_EEDaS10_S11_SH_SM_EUlS10_E_NS1_11comp_targetILNS1_3genE6ELNS1_11target_archE950ELNS1_3gpuE13ELNS1_3repE0EEENS1_47radix_sort_onesweep_sort_config_static_selectorELNS0_4arch9wavefront6targetE0EEEvSH_.uses_vcc, 0
	.set _ZN7rocprim17ROCPRIM_400000_NS6detail17trampoline_kernelINS0_14default_configENS1_35radix_sort_onesweep_config_selectorI12hip_bfloat16NS0_10empty_typeEEEZZNS1_29radix_sort_onesweep_iterationIS3_Lb0EPKS5_PS5_PS6_SC_mNS0_19identity_decomposerENS1_16block_id_wrapperIjLb1EEEEE10hipError_tT1_PNSt15iterator_traitsISH_E10value_typeET2_T3_PNSI_ISN_E10value_typeET4_T5_PSS_ST_PNS1_23onesweep_lookback_stateEbbT6_jjT7_P12ihipStream_tbENKUlT_T0_SH_SM_E_clISB_SB_SC_SC_EEDaS10_S11_SH_SM_EUlS10_E_NS1_11comp_targetILNS1_3genE6ELNS1_11target_archE950ELNS1_3gpuE13ELNS1_3repE0EEENS1_47radix_sort_onesweep_sort_config_static_selectorELNS0_4arch9wavefront6targetE0EEEvSH_.uses_flat_scratch, 0
	.set _ZN7rocprim17ROCPRIM_400000_NS6detail17trampoline_kernelINS0_14default_configENS1_35radix_sort_onesweep_config_selectorI12hip_bfloat16NS0_10empty_typeEEEZZNS1_29radix_sort_onesweep_iterationIS3_Lb0EPKS5_PS5_PS6_SC_mNS0_19identity_decomposerENS1_16block_id_wrapperIjLb1EEEEE10hipError_tT1_PNSt15iterator_traitsISH_E10value_typeET2_T3_PNSI_ISN_E10value_typeET4_T5_PSS_ST_PNS1_23onesweep_lookback_stateEbbT6_jjT7_P12ihipStream_tbENKUlT_T0_SH_SM_E_clISB_SB_SC_SC_EEDaS10_S11_SH_SM_EUlS10_E_NS1_11comp_targetILNS1_3genE6ELNS1_11target_archE950ELNS1_3gpuE13ELNS1_3repE0EEENS1_47radix_sort_onesweep_sort_config_static_selectorELNS0_4arch9wavefront6targetE0EEEvSH_.has_dyn_sized_stack, 0
	.set _ZN7rocprim17ROCPRIM_400000_NS6detail17trampoline_kernelINS0_14default_configENS1_35radix_sort_onesweep_config_selectorI12hip_bfloat16NS0_10empty_typeEEEZZNS1_29radix_sort_onesweep_iterationIS3_Lb0EPKS5_PS5_PS6_SC_mNS0_19identity_decomposerENS1_16block_id_wrapperIjLb1EEEEE10hipError_tT1_PNSt15iterator_traitsISH_E10value_typeET2_T3_PNSI_ISN_E10value_typeET4_T5_PSS_ST_PNS1_23onesweep_lookback_stateEbbT6_jjT7_P12ihipStream_tbENKUlT_T0_SH_SM_E_clISB_SB_SC_SC_EEDaS10_S11_SH_SM_EUlS10_E_NS1_11comp_targetILNS1_3genE6ELNS1_11target_archE950ELNS1_3gpuE13ELNS1_3repE0EEENS1_47radix_sort_onesweep_sort_config_static_selectorELNS0_4arch9wavefront6targetE0EEEvSH_.has_recursion, 0
	.set _ZN7rocprim17ROCPRIM_400000_NS6detail17trampoline_kernelINS0_14default_configENS1_35radix_sort_onesweep_config_selectorI12hip_bfloat16NS0_10empty_typeEEEZZNS1_29radix_sort_onesweep_iterationIS3_Lb0EPKS5_PS5_PS6_SC_mNS0_19identity_decomposerENS1_16block_id_wrapperIjLb1EEEEE10hipError_tT1_PNSt15iterator_traitsISH_E10value_typeET2_T3_PNSI_ISN_E10value_typeET4_T5_PSS_ST_PNS1_23onesweep_lookback_stateEbbT6_jjT7_P12ihipStream_tbENKUlT_T0_SH_SM_E_clISB_SB_SC_SC_EEDaS10_S11_SH_SM_EUlS10_E_NS1_11comp_targetILNS1_3genE6ELNS1_11target_archE950ELNS1_3gpuE13ELNS1_3repE0EEENS1_47radix_sort_onesweep_sort_config_static_selectorELNS0_4arch9wavefront6targetE0EEEvSH_.has_indirect_call, 0
	.section	.AMDGPU.csdata,"",@progbits
; Kernel info:
; codeLenInByte = 0
; TotalNumSgprs: 0
; NumVgprs: 0
; ScratchSize: 0
; MemoryBound: 0
; FloatMode: 240
; IeeeMode: 1
; LDSByteSize: 0 bytes/workgroup (compile time only)
; SGPRBlocks: 0
; VGPRBlocks: 0
; NumSGPRsForWavesPerEU: 1
; NumVGPRsForWavesPerEU: 1
; NamedBarCnt: 0
; Occupancy: 16
; WaveLimiterHint : 0
; COMPUTE_PGM_RSRC2:SCRATCH_EN: 0
; COMPUTE_PGM_RSRC2:USER_SGPR: 2
; COMPUTE_PGM_RSRC2:TRAP_HANDLER: 0
; COMPUTE_PGM_RSRC2:TGID_X_EN: 1
; COMPUTE_PGM_RSRC2:TGID_Y_EN: 0
; COMPUTE_PGM_RSRC2:TGID_Z_EN: 0
; COMPUTE_PGM_RSRC2:TIDIG_COMP_CNT: 0
	.section	.text._ZN7rocprim17ROCPRIM_400000_NS6detail17trampoline_kernelINS0_14default_configENS1_35radix_sort_onesweep_config_selectorI12hip_bfloat16NS0_10empty_typeEEEZZNS1_29radix_sort_onesweep_iterationIS3_Lb0EPKS5_PS5_PS6_SC_mNS0_19identity_decomposerENS1_16block_id_wrapperIjLb1EEEEE10hipError_tT1_PNSt15iterator_traitsISH_E10value_typeET2_T3_PNSI_ISN_E10value_typeET4_T5_PSS_ST_PNS1_23onesweep_lookback_stateEbbT6_jjT7_P12ihipStream_tbENKUlT_T0_SH_SM_E_clISB_SB_SC_SC_EEDaS10_S11_SH_SM_EUlS10_E_NS1_11comp_targetILNS1_3genE5ELNS1_11target_archE942ELNS1_3gpuE9ELNS1_3repE0EEENS1_47radix_sort_onesweep_sort_config_static_selectorELNS0_4arch9wavefront6targetE0EEEvSH_,"axG",@progbits,_ZN7rocprim17ROCPRIM_400000_NS6detail17trampoline_kernelINS0_14default_configENS1_35radix_sort_onesweep_config_selectorI12hip_bfloat16NS0_10empty_typeEEEZZNS1_29radix_sort_onesweep_iterationIS3_Lb0EPKS5_PS5_PS6_SC_mNS0_19identity_decomposerENS1_16block_id_wrapperIjLb1EEEEE10hipError_tT1_PNSt15iterator_traitsISH_E10value_typeET2_T3_PNSI_ISN_E10value_typeET4_T5_PSS_ST_PNS1_23onesweep_lookback_stateEbbT6_jjT7_P12ihipStream_tbENKUlT_T0_SH_SM_E_clISB_SB_SC_SC_EEDaS10_S11_SH_SM_EUlS10_E_NS1_11comp_targetILNS1_3genE5ELNS1_11target_archE942ELNS1_3gpuE9ELNS1_3repE0EEENS1_47radix_sort_onesweep_sort_config_static_selectorELNS0_4arch9wavefront6targetE0EEEvSH_,comdat
	.protected	_ZN7rocprim17ROCPRIM_400000_NS6detail17trampoline_kernelINS0_14default_configENS1_35radix_sort_onesweep_config_selectorI12hip_bfloat16NS0_10empty_typeEEEZZNS1_29radix_sort_onesweep_iterationIS3_Lb0EPKS5_PS5_PS6_SC_mNS0_19identity_decomposerENS1_16block_id_wrapperIjLb1EEEEE10hipError_tT1_PNSt15iterator_traitsISH_E10value_typeET2_T3_PNSI_ISN_E10value_typeET4_T5_PSS_ST_PNS1_23onesweep_lookback_stateEbbT6_jjT7_P12ihipStream_tbENKUlT_T0_SH_SM_E_clISB_SB_SC_SC_EEDaS10_S11_SH_SM_EUlS10_E_NS1_11comp_targetILNS1_3genE5ELNS1_11target_archE942ELNS1_3gpuE9ELNS1_3repE0EEENS1_47radix_sort_onesweep_sort_config_static_selectorELNS0_4arch9wavefront6targetE0EEEvSH_ ; -- Begin function _ZN7rocprim17ROCPRIM_400000_NS6detail17trampoline_kernelINS0_14default_configENS1_35radix_sort_onesweep_config_selectorI12hip_bfloat16NS0_10empty_typeEEEZZNS1_29radix_sort_onesweep_iterationIS3_Lb0EPKS5_PS5_PS6_SC_mNS0_19identity_decomposerENS1_16block_id_wrapperIjLb1EEEEE10hipError_tT1_PNSt15iterator_traitsISH_E10value_typeET2_T3_PNSI_ISN_E10value_typeET4_T5_PSS_ST_PNS1_23onesweep_lookback_stateEbbT6_jjT7_P12ihipStream_tbENKUlT_T0_SH_SM_E_clISB_SB_SC_SC_EEDaS10_S11_SH_SM_EUlS10_E_NS1_11comp_targetILNS1_3genE5ELNS1_11target_archE942ELNS1_3gpuE9ELNS1_3repE0EEENS1_47radix_sort_onesweep_sort_config_static_selectorELNS0_4arch9wavefront6targetE0EEEvSH_
	.globl	_ZN7rocprim17ROCPRIM_400000_NS6detail17trampoline_kernelINS0_14default_configENS1_35radix_sort_onesweep_config_selectorI12hip_bfloat16NS0_10empty_typeEEEZZNS1_29radix_sort_onesweep_iterationIS3_Lb0EPKS5_PS5_PS6_SC_mNS0_19identity_decomposerENS1_16block_id_wrapperIjLb1EEEEE10hipError_tT1_PNSt15iterator_traitsISH_E10value_typeET2_T3_PNSI_ISN_E10value_typeET4_T5_PSS_ST_PNS1_23onesweep_lookback_stateEbbT6_jjT7_P12ihipStream_tbENKUlT_T0_SH_SM_E_clISB_SB_SC_SC_EEDaS10_S11_SH_SM_EUlS10_E_NS1_11comp_targetILNS1_3genE5ELNS1_11target_archE942ELNS1_3gpuE9ELNS1_3repE0EEENS1_47radix_sort_onesweep_sort_config_static_selectorELNS0_4arch9wavefront6targetE0EEEvSH_
	.p2align	8
	.type	_ZN7rocprim17ROCPRIM_400000_NS6detail17trampoline_kernelINS0_14default_configENS1_35radix_sort_onesweep_config_selectorI12hip_bfloat16NS0_10empty_typeEEEZZNS1_29radix_sort_onesweep_iterationIS3_Lb0EPKS5_PS5_PS6_SC_mNS0_19identity_decomposerENS1_16block_id_wrapperIjLb1EEEEE10hipError_tT1_PNSt15iterator_traitsISH_E10value_typeET2_T3_PNSI_ISN_E10value_typeET4_T5_PSS_ST_PNS1_23onesweep_lookback_stateEbbT6_jjT7_P12ihipStream_tbENKUlT_T0_SH_SM_E_clISB_SB_SC_SC_EEDaS10_S11_SH_SM_EUlS10_E_NS1_11comp_targetILNS1_3genE5ELNS1_11target_archE942ELNS1_3gpuE9ELNS1_3repE0EEENS1_47radix_sort_onesweep_sort_config_static_selectorELNS0_4arch9wavefront6targetE0EEEvSH_,@function
_ZN7rocprim17ROCPRIM_400000_NS6detail17trampoline_kernelINS0_14default_configENS1_35radix_sort_onesweep_config_selectorI12hip_bfloat16NS0_10empty_typeEEEZZNS1_29radix_sort_onesweep_iterationIS3_Lb0EPKS5_PS5_PS6_SC_mNS0_19identity_decomposerENS1_16block_id_wrapperIjLb1EEEEE10hipError_tT1_PNSt15iterator_traitsISH_E10value_typeET2_T3_PNSI_ISN_E10value_typeET4_T5_PSS_ST_PNS1_23onesweep_lookback_stateEbbT6_jjT7_P12ihipStream_tbENKUlT_T0_SH_SM_E_clISB_SB_SC_SC_EEDaS10_S11_SH_SM_EUlS10_E_NS1_11comp_targetILNS1_3genE5ELNS1_11target_archE942ELNS1_3gpuE9ELNS1_3repE0EEENS1_47radix_sort_onesweep_sort_config_static_selectorELNS0_4arch9wavefront6targetE0EEEvSH_: ; @_ZN7rocprim17ROCPRIM_400000_NS6detail17trampoline_kernelINS0_14default_configENS1_35radix_sort_onesweep_config_selectorI12hip_bfloat16NS0_10empty_typeEEEZZNS1_29radix_sort_onesweep_iterationIS3_Lb0EPKS5_PS5_PS6_SC_mNS0_19identity_decomposerENS1_16block_id_wrapperIjLb1EEEEE10hipError_tT1_PNSt15iterator_traitsISH_E10value_typeET2_T3_PNSI_ISN_E10value_typeET4_T5_PSS_ST_PNS1_23onesweep_lookback_stateEbbT6_jjT7_P12ihipStream_tbENKUlT_T0_SH_SM_E_clISB_SB_SC_SC_EEDaS10_S11_SH_SM_EUlS10_E_NS1_11comp_targetILNS1_3genE5ELNS1_11target_archE942ELNS1_3gpuE9ELNS1_3repE0EEENS1_47radix_sort_onesweep_sort_config_static_selectorELNS0_4arch9wavefront6targetE0EEEvSH_
; %bb.0:
	.section	.rodata,"a",@progbits
	.p2align	6, 0x0
	.amdhsa_kernel _ZN7rocprim17ROCPRIM_400000_NS6detail17trampoline_kernelINS0_14default_configENS1_35radix_sort_onesweep_config_selectorI12hip_bfloat16NS0_10empty_typeEEEZZNS1_29radix_sort_onesweep_iterationIS3_Lb0EPKS5_PS5_PS6_SC_mNS0_19identity_decomposerENS1_16block_id_wrapperIjLb1EEEEE10hipError_tT1_PNSt15iterator_traitsISH_E10value_typeET2_T3_PNSI_ISN_E10value_typeET4_T5_PSS_ST_PNS1_23onesweep_lookback_stateEbbT6_jjT7_P12ihipStream_tbENKUlT_T0_SH_SM_E_clISB_SB_SC_SC_EEDaS10_S11_SH_SM_EUlS10_E_NS1_11comp_targetILNS1_3genE5ELNS1_11target_archE942ELNS1_3gpuE9ELNS1_3repE0EEENS1_47radix_sort_onesweep_sort_config_static_selectorELNS0_4arch9wavefront6targetE0EEEvSH_
		.amdhsa_group_segment_fixed_size 0
		.amdhsa_private_segment_fixed_size 0
		.amdhsa_kernarg_size 88
		.amdhsa_user_sgpr_count 2
		.amdhsa_user_sgpr_dispatch_ptr 0
		.amdhsa_user_sgpr_queue_ptr 0
		.amdhsa_user_sgpr_kernarg_segment_ptr 1
		.amdhsa_user_sgpr_dispatch_id 0
		.amdhsa_user_sgpr_kernarg_preload_length 0
		.amdhsa_user_sgpr_kernarg_preload_offset 0
		.amdhsa_user_sgpr_private_segment_size 0
		.amdhsa_wavefront_size32 1
		.amdhsa_uses_dynamic_stack 0
		.amdhsa_enable_private_segment 0
		.amdhsa_system_sgpr_workgroup_id_x 1
		.amdhsa_system_sgpr_workgroup_id_y 0
		.amdhsa_system_sgpr_workgroup_id_z 0
		.amdhsa_system_sgpr_workgroup_info 0
		.amdhsa_system_vgpr_workitem_id 0
		.amdhsa_next_free_vgpr 1
		.amdhsa_next_free_sgpr 1
		.amdhsa_named_barrier_count 0
		.amdhsa_reserve_vcc 0
		.amdhsa_float_round_mode_32 0
		.amdhsa_float_round_mode_16_64 0
		.amdhsa_float_denorm_mode_32 3
		.amdhsa_float_denorm_mode_16_64 3
		.amdhsa_fp16_overflow 0
		.amdhsa_memory_ordered 1
		.amdhsa_forward_progress 1
		.amdhsa_inst_pref_size 0
		.amdhsa_round_robin_scheduling 0
		.amdhsa_exception_fp_ieee_invalid_op 0
		.amdhsa_exception_fp_denorm_src 0
		.amdhsa_exception_fp_ieee_div_zero 0
		.amdhsa_exception_fp_ieee_overflow 0
		.amdhsa_exception_fp_ieee_underflow 0
		.amdhsa_exception_fp_ieee_inexact 0
		.amdhsa_exception_int_div_zero 0
	.end_amdhsa_kernel
	.section	.text._ZN7rocprim17ROCPRIM_400000_NS6detail17trampoline_kernelINS0_14default_configENS1_35radix_sort_onesweep_config_selectorI12hip_bfloat16NS0_10empty_typeEEEZZNS1_29radix_sort_onesweep_iterationIS3_Lb0EPKS5_PS5_PS6_SC_mNS0_19identity_decomposerENS1_16block_id_wrapperIjLb1EEEEE10hipError_tT1_PNSt15iterator_traitsISH_E10value_typeET2_T3_PNSI_ISN_E10value_typeET4_T5_PSS_ST_PNS1_23onesweep_lookback_stateEbbT6_jjT7_P12ihipStream_tbENKUlT_T0_SH_SM_E_clISB_SB_SC_SC_EEDaS10_S11_SH_SM_EUlS10_E_NS1_11comp_targetILNS1_3genE5ELNS1_11target_archE942ELNS1_3gpuE9ELNS1_3repE0EEENS1_47radix_sort_onesweep_sort_config_static_selectorELNS0_4arch9wavefront6targetE0EEEvSH_,"axG",@progbits,_ZN7rocprim17ROCPRIM_400000_NS6detail17trampoline_kernelINS0_14default_configENS1_35radix_sort_onesweep_config_selectorI12hip_bfloat16NS0_10empty_typeEEEZZNS1_29radix_sort_onesweep_iterationIS3_Lb0EPKS5_PS5_PS6_SC_mNS0_19identity_decomposerENS1_16block_id_wrapperIjLb1EEEEE10hipError_tT1_PNSt15iterator_traitsISH_E10value_typeET2_T3_PNSI_ISN_E10value_typeET4_T5_PSS_ST_PNS1_23onesweep_lookback_stateEbbT6_jjT7_P12ihipStream_tbENKUlT_T0_SH_SM_E_clISB_SB_SC_SC_EEDaS10_S11_SH_SM_EUlS10_E_NS1_11comp_targetILNS1_3genE5ELNS1_11target_archE942ELNS1_3gpuE9ELNS1_3repE0EEENS1_47radix_sort_onesweep_sort_config_static_selectorELNS0_4arch9wavefront6targetE0EEEvSH_,comdat
.Lfunc_end2062:
	.size	_ZN7rocprim17ROCPRIM_400000_NS6detail17trampoline_kernelINS0_14default_configENS1_35radix_sort_onesweep_config_selectorI12hip_bfloat16NS0_10empty_typeEEEZZNS1_29radix_sort_onesweep_iterationIS3_Lb0EPKS5_PS5_PS6_SC_mNS0_19identity_decomposerENS1_16block_id_wrapperIjLb1EEEEE10hipError_tT1_PNSt15iterator_traitsISH_E10value_typeET2_T3_PNSI_ISN_E10value_typeET4_T5_PSS_ST_PNS1_23onesweep_lookback_stateEbbT6_jjT7_P12ihipStream_tbENKUlT_T0_SH_SM_E_clISB_SB_SC_SC_EEDaS10_S11_SH_SM_EUlS10_E_NS1_11comp_targetILNS1_3genE5ELNS1_11target_archE942ELNS1_3gpuE9ELNS1_3repE0EEENS1_47radix_sort_onesweep_sort_config_static_selectorELNS0_4arch9wavefront6targetE0EEEvSH_, .Lfunc_end2062-_ZN7rocprim17ROCPRIM_400000_NS6detail17trampoline_kernelINS0_14default_configENS1_35radix_sort_onesweep_config_selectorI12hip_bfloat16NS0_10empty_typeEEEZZNS1_29radix_sort_onesweep_iterationIS3_Lb0EPKS5_PS5_PS6_SC_mNS0_19identity_decomposerENS1_16block_id_wrapperIjLb1EEEEE10hipError_tT1_PNSt15iterator_traitsISH_E10value_typeET2_T3_PNSI_ISN_E10value_typeET4_T5_PSS_ST_PNS1_23onesweep_lookback_stateEbbT6_jjT7_P12ihipStream_tbENKUlT_T0_SH_SM_E_clISB_SB_SC_SC_EEDaS10_S11_SH_SM_EUlS10_E_NS1_11comp_targetILNS1_3genE5ELNS1_11target_archE942ELNS1_3gpuE9ELNS1_3repE0EEENS1_47radix_sort_onesweep_sort_config_static_selectorELNS0_4arch9wavefront6targetE0EEEvSH_
                                        ; -- End function
	.set _ZN7rocprim17ROCPRIM_400000_NS6detail17trampoline_kernelINS0_14default_configENS1_35radix_sort_onesweep_config_selectorI12hip_bfloat16NS0_10empty_typeEEEZZNS1_29radix_sort_onesweep_iterationIS3_Lb0EPKS5_PS5_PS6_SC_mNS0_19identity_decomposerENS1_16block_id_wrapperIjLb1EEEEE10hipError_tT1_PNSt15iterator_traitsISH_E10value_typeET2_T3_PNSI_ISN_E10value_typeET4_T5_PSS_ST_PNS1_23onesweep_lookback_stateEbbT6_jjT7_P12ihipStream_tbENKUlT_T0_SH_SM_E_clISB_SB_SC_SC_EEDaS10_S11_SH_SM_EUlS10_E_NS1_11comp_targetILNS1_3genE5ELNS1_11target_archE942ELNS1_3gpuE9ELNS1_3repE0EEENS1_47radix_sort_onesweep_sort_config_static_selectorELNS0_4arch9wavefront6targetE0EEEvSH_.num_vgpr, 0
	.set _ZN7rocprim17ROCPRIM_400000_NS6detail17trampoline_kernelINS0_14default_configENS1_35radix_sort_onesweep_config_selectorI12hip_bfloat16NS0_10empty_typeEEEZZNS1_29radix_sort_onesweep_iterationIS3_Lb0EPKS5_PS5_PS6_SC_mNS0_19identity_decomposerENS1_16block_id_wrapperIjLb1EEEEE10hipError_tT1_PNSt15iterator_traitsISH_E10value_typeET2_T3_PNSI_ISN_E10value_typeET4_T5_PSS_ST_PNS1_23onesweep_lookback_stateEbbT6_jjT7_P12ihipStream_tbENKUlT_T0_SH_SM_E_clISB_SB_SC_SC_EEDaS10_S11_SH_SM_EUlS10_E_NS1_11comp_targetILNS1_3genE5ELNS1_11target_archE942ELNS1_3gpuE9ELNS1_3repE0EEENS1_47radix_sort_onesweep_sort_config_static_selectorELNS0_4arch9wavefront6targetE0EEEvSH_.num_agpr, 0
	.set _ZN7rocprim17ROCPRIM_400000_NS6detail17trampoline_kernelINS0_14default_configENS1_35radix_sort_onesweep_config_selectorI12hip_bfloat16NS0_10empty_typeEEEZZNS1_29radix_sort_onesweep_iterationIS3_Lb0EPKS5_PS5_PS6_SC_mNS0_19identity_decomposerENS1_16block_id_wrapperIjLb1EEEEE10hipError_tT1_PNSt15iterator_traitsISH_E10value_typeET2_T3_PNSI_ISN_E10value_typeET4_T5_PSS_ST_PNS1_23onesweep_lookback_stateEbbT6_jjT7_P12ihipStream_tbENKUlT_T0_SH_SM_E_clISB_SB_SC_SC_EEDaS10_S11_SH_SM_EUlS10_E_NS1_11comp_targetILNS1_3genE5ELNS1_11target_archE942ELNS1_3gpuE9ELNS1_3repE0EEENS1_47radix_sort_onesweep_sort_config_static_selectorELNS0_4arch9wavefront6targetE0EEEvSH_.numbered_sgpr, 0
	.set _ZN7rocprim17ROCPRIM_400000_NS6detail17trampoline_kernelINS0_14default_configENS1_35radix_sort_onesweep_config_selectorI12hip_bfloat16NS0_10empty_typeEEEZZNS1_29radix_sort_onesweep_iterationIS3_Lb0EPKS5_PS5_PS6_SC_mNS0_19identity_decomposerENS1_16block_id_wrapperIjLb1EEEEE10hipError_tT1_PNSt15iterator_traitsISH_E10value_typeET2_T3_PNSI_ISN_E10value_typeET4_T5_PSS_ST_PNS1_23onesweep_lookback_stateEbbT6_jjT7_P12ihipStream_tbENKUlT_T0_SH_SM_E_clISB_SB_SC_SC_EEDaS10_S11_SH_SM_EUlS10_E_NS1_11comp_targetILNS1_3genE5ELNS1_11target_archE942ELNS1_3gpuE9ELNS1_3repE0EEENS1_47radix_sort_onesweep_sort_config_static_selectorELNS0_4arch9wavefront6targetE0EEEvSH_.num_named_barrier, 0
	.set _ZN7rocprim17ROCPRIM_400000_NS6detail17trampoline_kernelINS0_14default_configENS1_35radix_sort_onesweep_config_selectorI12hip_bfloat16NS0_10empty_typeEEEZZNS1_29radix_sort_onesweep_iterationIS3_Lb0EPKS5_PS5_PS6_SC_mNS0_19identity_decomposerENS1_16block_id_wrapperIjLb1EEEEE10hipError_tT1_PNSt15iterator_traitsISH_E10value_typeET2_T3_PNSI_ISN_E10value_typeET4_T5_PSS_ST_PNS1_23onesweep_lookback_stateEbbT6_jjT7_P12ihipStream_tbENKUlT_T0_SH_SM_E_clISB_SB_SC_SC_EEDaS10_S11_SH_SM_EUlS10_E_NS1_11comp_targetILNS1_3genE5ELNS1_11target_archE942ELNS1_3gpuE9ELNS1_3repE0EEENS1_47radix_sort_onesweep_sort_config_static_selectorELNS0_4arch9wavefront6targetE0EEEvSH_.private_seg_size, 0
	.set _ZN7rocprim17ROCPRIM_400000_NS6detail17trampoline_kernelINS0_14default_configENS1_35radix_sort_onesweep_config_selectorI12hip_bfloat16NS0_10empty_typeEEEZZNS1_29radix_sort_onesweep_iterationIS3_Lb0EPKS5_PS5_PS6_SC_mNS0_19identity_decomposerENS1_16block_id_wrapperIjLb1EEEEE10hipError_tT1_PNSt15iterator_traitsISH_E10value_typeET2_T3_PNSI_ISN_E10value_typeET4_T5_PSS_ST_PNS1_23onesweep_lookback_stateEbbT6_jjT7_P12ihipStream_tbENKUlT_T0_SH_SM_E_clISB_SB_SC_SC_EEDaS10_S11_SH_SM_EUlS10_E_NS1_11comp_targetILNS1_3genE5ELNS1_11target_archE942ELNS1_3gpuE9ELNS1_3repE0EEENS1_47radix_sort_onesweep_sort_config_static_selectorELNS0_4arch9wavefront6targetE0EEEvSH_.uses_vcc, 0
	.set _ZN7rocprim17ROCPRIM_400000_NS6detail17trampoline_kernelINS0_14default_configENS1_35radix_sort_onesweep_config_selectorI12hip_bfloat16NS0_10empty_typeEEEZZNS1_29radix_sort_onesweep_iterationIS3_Lb0EPKS5_PS5_PS6_SC_mNS0_19identity_decomposerENS1_16block_id_wrapperIjLb1EEEEE10hipError_tT1_PNSt15iterator_traitsISH_E10value_typeET2_T3_PNSI_ISN_E10value_typeET4_T5_PSS_ST_PNS1_23onesweep_lookback_stateEbbT6_jjT7_P12ihipStream_tbENKUlT_T0_SH_SM_E_clISB_SB_SC_SC_EEDaS10_S11_SH_SM_EUlS10_E_NS1_11comp_targetILNS1_3genE5ELNS1_11target_archE942ELNS1_3gpuE9ELNS1_3repE0EEENS1_47radix_sort_onesweep_sort_config_static_selectorELNS0_4arch9wavefront6targetE0EEEvSH_.uses_flat_scratch, 0
	.set _ZN7rocprim17ROCPRIM_400000_NS6detail17trampoline_kernelINS0_14default_configENS1_35radix_sort_onesweep_config_selectorI12hip_bfloat16NS0_10empty_typeEEEZZNS1_29radix_sort_onesweep_iterationIS3_Lb0EPKS5_PS5_PS6_SC_mNS0_19identity_decomposerENS1_16block_id_wrapperIjLb1EEEEE10hipError_tT1_PNSt15iterator_traitsISH_E10value_typeET2_T3_PNSI_ISN_E10value_typeET4_T5_PSS_ST_PNS1_23onesweep_lookback_stateEbbT6_jjT7_P12ihipStream_tbENKUlT_T0_SH_SM_E_clISB_SB_SC_SC_EEDaS10_S11_SH_SM_EUlS10_E_NS1_11comp_targetILNS1_3genE5ELNS1_11target_archE942ELNS1_3gpuE9ELNS1_3repE0EEENS1_47radix_sort_onesweep_sort_config_static_selectorELNS0_4arch9wavefront6targetE0EEEvSH_.has_dyn_sized_stack, 0
	.set _ZN7rocprim17ROCPRIM_400000_NS6detail17trampoline_kernelINS0_14default_configENS1_35radix_sort_onesweep_config_selectorI12hip_bfloat16NS0_10empty_typeEEEZZNS1_29radix_sort_onesweep_iterationIS3_Lb0EPKS5_PS5_PS6_SC_mNS0_19identity_decomposerENS1_16block_id_wrapperIjLb1EEEEE10hipError_tT1_PNSt15iterator_traitsISH_E10value_typeET2_T3_PNSI_ISN_E10value_typeET4_T5_PSS_ST_PNS1_23onesweep_lookback_stateEbbT6_jjT7_P12ihipStream_tbENKUlT_T0_SH_SM_E_clISB_SB_SC_SC_EEDaS10_S11_SH_SM_EUlS10_E_NS1_11comp_targetILNS1_3genE5ELNS1_11target_archE942ELNS1_3gpuE9ELNS1_3repE0EEENS1_47radix_sort_onesweep_sort_config_static_selectorELNS0_4arch9wavefront6targetE0EEEvSH_.has_recursion, 0
	.set _ZN7rocprim17ROCPRIM_400000_NS6detail17trampoline_kernelINS0_14default_configENS1_35radix_sort_onesweep_config_selectorI12hip_bfloat16NS0_10empty_typeEEEZZNS1_29radix_sort_onesweep_iterationIS3_Lb0EPKS5_PS5_PS6_SC_mNS0_19identity_decomposerENS1_16block_id_wrapperIjLb1EEEEE10hipError_tT1_PNSt15iterator_traitsISH_E10value_typeET2_T3_PNSI_ISN_E10value_typeET4_T5_PSS_ST_PNS1_23onesweep_lookback_stateEbbT6_jjT7_P12ihipStream_tbENKUlT_T0_SH_SM_E_clISB_SB_SC_SC_EEDaS10_S11_SH_SM_EUlS10_E_NS1_11comp_targetILNS1_3genE5ELNS1_11target_archE942ELNS1_3gpuE9ELNS1_3repE0EEENS1_47radix_sort_onesweep_sort_config_static_selectorELNS0_4arch9wavefront6targetE0EEEvSH_.has_indirect_call, 0
	.section	.AMDGPU.csdata,"",@progbits
; Kernel info:
; codeLenInByte = 0
; TotalNumSgprs: 0
; NumVgprs: 0
; ScratchSize: 0
; MemoryBound: 0
; FloatMode: 240
; IeeeMode: 1
; LDSByteSize: 0 bytes/workgroup (compile time only)
; SGPRBlocks: 0
; VGPRBlocks: 0
; NumSGPRsForWavesPerEU: 1
; NumVGPRsForWavesPerEU: 1
; NamedBarCnt: 0
; Occupancy: 16
; WaveLimiterHint : 0
; COMPUTE_PGM_RSRC2:SCRATCH_EN: 0
; COMPUTE_PGM_RSRC2:USER_SGPR: 2
; COMPUTE_PGM_RSRC2:TRAP_HANDLER: 0
; COMPUTE_PGM_RSRC2:TGID_X_EN: 1
; COMPUTE_PGM_RSRC2:TGID_Y_EN: 0
; COMPUTE_PGM_RSRC2:TGID_Z_EN: 0
; COMPUTE_PGM_RSRC2:TIDIG_COMP_CNT: 0
	.section	.text._ZN7rocprim17ROCPRIM_400000_NS6detail17trampoline_kernelINS0_14default_configENS1_35radix_sort_onesweep_config_selectorI12hip_bfloat16NS0_10empty_typeEEEZZNS1_29radix_sort_onesweep_iterationIS3_Lb0EPKS5_PS5_PS6_SC_mNS0_19identity_decomposerENS1_16block_id_wrapperIjLb1EEEEE10hipError_tT1_PNSt15iterator_traitsISH_E10value_typeET2_T3_PNSI_ISN_E10value_typeET4_T5_PSS_ST_PNS1_23onesweep_lookback_stateEbbT6_jjT7_P12ihipStream_tbENKUlT_T0_SH_SM_E_clISB_SB_SC_SC_EEDaS10_S11_SH_SM_EUlS10_E_NS1_11comp_targetILNS1_3genE2ELNS1_11target_archE906ELNS1_3gpuE6ELNS1_3repE0EEENS1_47radix_sort_onesweep_sort_config_static_selectorELNS0_4arch9wavefront6targetE0EEEvSH_,"axG",@progbits,_ZN7rocprim17ROCPRIM_400000_NS6detail17trampoline_kernelINS0_14default_configENS1_35radix_sort_onesweep_config_selectorI12hip_bfloat16NS0_10empty_typeEEEZZNS1_29radix_sort_onesweep_iterationIS3_Lb0EPKS5_PS5_PS6_SC_mNS0_19identity_decomposerENS1_16block_id_wrapperIjLb1EEEEE10hipError_tT1_PNSt15iterator_traitsISH_E10value_typeET2_T3_PNSI_ISN_E10value_typeET4_T5_PSS_ST_PNS1_23onesweep_lookback_stateEbbT6_jjT7_P12ihipStream_tbENKUlT_T0_SH_SM_E_clISB_SB_SC_SC_EEDaS10_S11_SH_SM_EUlS10_E_NS1_11comp_targetILNS1_3genE2ELNS1_11target_archE906ELNS1_3gpuE6ELNS1_3repE0EEENS1_47radix_sort_onesweep_sort_config_static_selectorELNS0_4arch9wavefront6targetE0EEEvSH_,comdat
	.protected	_ZN7rocprim17ROCPRIM_400000_NS6detail17trampoline_kernelINS0_14default_configENS1_35radix_sort_onesweep_config_selectorI12hip_bfloat16NS0_10empty_typeEEEZZNS1_29radix_sort_onesweep_iterationIS3_Lb0EPKS5_PS5_PS6_SC_mNS0_19identity_decomposerENS1_16block_id_wrapperIjLb1EEEEE10hipError_tT1_PNSt15iterator_traitsISH_E10value_typeET2_T3_PNSI_ISN_E10value_typeET4_T5_PSS_ST_PNS1_23onesweep_lookback_stateEbbT6_jjT7_P12ihipStream_tbENKUlT_T0_SH_SM_E_clISB_SB_SC_SC_EEDaS10_S11_SH_SM_EUlS10_E_NS1_11comp_targetILNS1_3genE2ELNS1_11target_archE906ELNS1_3gpuE6ELNS1_3repE0EEENS1_47radix_sort_onesweep_sort_config_static_selectorELNS0_4arch9wavefront6targetE0EEEvSH_ ; -- Begin function _ZN7rocprim17ROCPRIM_400000_NS6detail17trampoline_kernelINS0_14default_configENS1_35radix_sort_onesweep_config_selectorI12hip_bfloat16NS0_10empty_typeEEEZZNS1_29radix_sort_onesweep_iterationIS3_Lb0EPKS5_PS5_PS6_SC_mNS0_19identity_decomposerENS1_16block_id_wrapperIjLb1EEEEE10hipError_tT1_PNSt15iterator_traitsISH_E10value_typeET2_T3_PNSI_ISN_E10value_typeET4_T5_PSS_ST_PNS1_23onesweep_lookback_stateEbbT6_jjT7_P12ihipStream_tbENKUlT_T0_SH_SM_E_clISB_SB_SC_SC_EEDaS10_S11_SH_SM_EUlS10_E_NS1_11comp_targetILNS1_3genE2ELNS1_11target_archE906ELNS1_3gpuE6ELNS1_3repE0EEENS1_47radix_sort_onesweep_sort_config_static_selectorELNS0_4arch9wavefront6targetE0EEEvSH_
	.globl	_ZN7rocprim17ROCPRIM_400000_NS6detail17trampoline_kernelINS0_14default_configENS1_35radix_sort_onesweep_config_selectorI12hip_bfloat16NS0_10empty_typeEEEZZNS1_29radix_sort_onesweep_iterationIS3_Lb0EPKS5_PS5_PS6_SC_mNS0_19identity_decomposerENS1_16block_id_wrapperIjLb1EEEEE10hipError_tT1_PNSt15iterator_traitsISH_E10value_typeET2_T3_PNSI_ISN_E10value_typeET4_T5_PSS_ST_PNS1_23onesweep_lookback_stateEbbT6_jjT7_P12ihipStream_tbENKUlT_T0_SH_SM_E_clISB_SB_SC_SC_EEDaS10_S11_SH_SM_EUlS10_E_NS1_11comp_targetILNS1_3genE2ELNS1_11target_archE906ELNS1_3gpuE6ELNS1_3repE0EEENS1_47radix_sort_onesweep_sort_config_static_selectorELNS0_4arch9wavefront6targetE0EEEvSH_
	.p2align	8
	.type	_ZN7rocprim17ROCPRIM_400000_NS6detail17trampoline_kernelINS0_14default_configENS1_35radix_sort_onesweep_config_selectorI12hip_bfloat16NS0_10empty_typeEEEZZNS1_29radix_sort_onesweep_iterationIS3_Lb0EPKS5_PS5_PS6_SC_mNS0_19identity_decomposerENS1_16block_id_wrapperIjLb1EEEEE10hipError_tT1_PNSt15iterator_traitsISH_E10value_typeET2_T3_PNSI_ISN_E10value_typeET4_T5_PSS_ST_PNS1_23onesweep_lookback_stateEbbT6_jjT7_P12ihipStream_tbENKUlT_T0_SH_SM_E_clISB_SB_SC_SC_EEDaS10_S11_SH_SM_EUlS10_E_NS1_11comp_targetILNS1_3genE2ELNS1_11target_archE906ELNS1_3gpuE6ELNS1_3repE0EEENS1_47radix_sort_onesweep_sort_config_static_selectorELNS0_4arch9wavefront6targetE0EEEvSH_,@function
_ZN7rocprim17ROCPRIM_400000_NS6detail17trampoline_kernelINS0_14default_configENS1_35radix_sort_onesweep_config_selectorI12hip_bfloat16NS0_10empty_typeEEEZZNS1_29radix_sort_onesweep_iterationIS3_Lb0EPKS5_PS5_PS6_SC_mNS0_19identity_decomposerENS1_16block_id_wrapperIjLb1EEEEE10hipError_tT1_PNSt15iterator_traitsISH_E10value_typeET2_T3_PNSI_ISN_E10value_typeET4_T5_PSS_ST_PNS1_23onesweep_lookback_stateEbbT6_jjT7_P12ihipStream_tbENKUlT_T0_SH_SM_E_clISB_SB_SC_SC_EEDaS10_S11_SH_SM_EUlS10_E_NS1_11comp_targetILNS1_3genE2ELNS1_11target_archE906ELNS1_3gpuE6ELNS1_3repE0EEENS1_47radix_sort_onesweep_sort_config_static_selectorELNS0_4arch9wavefront6targetE0EEEvSH_: ; @_ZN7rocprim17ROCPRIM_400000_NS6detail17trampoline_kernelINS0_14default_configENS1_35radix_sort_onesweep_config_selectorI12hip_bfloat16NS0_10empty_typeEEEZZNS1_29radix_sort_onesweep_iterationIS3_Lb0EPKS5_PS5_PS6_SC_mNS0_19identity_decomposerENS1_16block_id_wrapperIjLb1EEEEE10hipError_tT1_PNSt15iterator_traitsISH_E10value_typeET2_T3_PNSI_ISN_E10value_typeET4_T5_PSS_ST_PNS1_23onesweep_lookback_stateEbbT6_jjT7_P12ihipStream_tbENKUlT_T0_SH_SM_E_clISB_SB_SC_SC_EEDaS10_S11_SH_SM_EUlS10_E_NS1_11comp_targetILNS1_3genE2ELNS1_11target_archE906ELNS1_3gpuE6ELNS1_3repE0EEENS1_47radix_sort_onesweep_sort_config_static_selectorELNS0_4arch9wavefront6targetE0EEEvSH_
; %bb.0:
	.section	.rodata,"a",@progbits
	.p2align	6, 0x0
	.amdhsa_kernel _ZN7rocprim17ROCPRIM_400000_NS6detail17trampoline_kernelINS0_14default_configENS1_35radix_sort_onesweep_config_selectorI12hip_bfloat16NS0_10empty_typeEEEZZNS1_29radix_sort_onesweep_iterationIS3_Lb0EPKS5_PS5_PS6_SC_mNS0_19identity_decomposerENS1_16block_id_wrapperIjLb1EEEEE10hipError_tT1_PNSt15iterator_traitsISH_E10value_typeET2_T3_PNSI_ISN_E10value_typeET4_T5_PSS_ST_PNS1_23onesweep_lookback_stateEbbT6_jjT7_P12ihipStream_tbENKUlT_T0_SH_SM_E_clISB_SB_SC_SC_EEDaS10_S11_SH_SM_EUlS10_E_NS1_11comp_targetILNS1_3genE2ELNS1_11target_archE906ELNS1_3gpuE6ELNS1_3repE0EEENS1_47radix_sort_onesweep_sort_config_static_selectorELNS0_4arch9wavefront6targetE0EEEvSH_
		.amdhsa_group_segment_fixed_size 0
		.amdhsa_private_segment_fixed_size 0
		.amdhsa_kernarg_size 88
		.amdhsa_user_sgpr_count 2
		.amdhsa_user_sgpr_dispatch_ptr 0
		.amdhsa_user_sgpr_queue_ptr 0
		.amdhsa_user_sgpr_kernarg_segment_ptr 1
		.amdhsa_user_sgpr_dispatch_id 0
		.amdhsa_user_sgpr_kernarg_preload_length 0
		.amdhsa_user_sgpr_kernarg_preload_offset 0
		.amdhsa_user_sgpr_private_segment_size 0
		.amdhsa_wavefront_size32 1
		.amdhsa_uses_dynamic_stack 0
		.amdhsa_enable_private_segment 0
		.amdhsa_system_sgpr_workgroup_id_x 1
		.amdhsa_system_sgpr_workgroup_id_y 0
		.amdhsa_system_sgpr_workgroup_id_z 0
		.amdhsa_system_sgpr_workgroup_info 0
		.amdhsa_system_vgpr_workitem_id 0
		.amdhsa_next_free_vgpr 1
		.amdhsa_next_free_sgpr 1
		.amdhsa_named_barrier_count 0
		.amdhsa_reserve_vcc 0
		.amdhsa_float_round_mode_32 0
		.amdhsa_float_round_mode_16_64 0
		.amdhsa_float_denorm_mode_32 3
		.amdhsa_float_denorm_mode_16_64 3
		.amdhsa_fp16_overflow 0
		.amdhsa_memory_ordered 1
		.amdhsa_forward_progress 1
		.amdhsa_inst_pref_size 0
		.amdhsa_round_robin_scheduling 0
		.amdhsa_exception_fp_ieee_invalid_op 0
		.amdhsa_exception_fp_denorm_src 0
		.amdhsa_exception_fp_ieee_div_zero 0
		.amdhsa_exception_fp_ieee_overflow 0
		.amdhsa_exception_fp_ieee_underflow 0
		.amdhsa_exception_fp_ieee_inexact 0
		.amdhsa_exception_int_div_zero 0
	.end_amdhsa_kernel
	.section	.text._ZN7rocprim17ROCPRIM_400000_NS6detail17trampoline_kernelINS0_14default_configENS1_35radix_sort_onesweep_config_selectorI12hip_bfloat16NS0_10empty_typeEEEZZNS1_29radix_sort_onesweep_iterationIS3_Lb0EPKS5_PS5_PS6_SC_mNS0_19identity_decomposerENS1_16block_id_wrapperIjLb1EEEEE10hipError_tT1_PNSt15iterator_traitsISH_E10value_typeET2_T3_PNSI_ISN_E10value_typeET4_T5_PSS_ST_PNS1_23onesweep_lookback_stateEbbT6_jjT7_P12ihipStream_tbENKUlT_T0_SH_SM_E_clISB_SB_SC_SC_EEDaS10_S11_SH_SM_EUlS10_E_NS1_11comp_targetILNS1_3genE2ELNS1_11target_archE906ELNS1_3gpuE6ELNS1_3repE0EEENS1_47radix_sort_onesweep_sort_config_static_selectorELNS0_4arch9wavefront6targetE0EEEvSH_,"axG",@progbits,_ZN7rocprim17ROCPRIM_400000_NS6detail17trampoline_kernelINS0_14default_configENS1_35radix_sort_onesweep_config_selectorI12hip_bfloat16NS0_10empty_typeEEEZZNS1_29radix_sort_onesweep_iterationIS3_Lb0EPKS5_PS5_PS6_SC_mNS0_19identity_decomposerENS1_16block_id_wrapperIjLb1EEEEE10hipError_tT1_PNSt15iterator_traitsISH_E10value_typeET2_T3_PNSI_ISN_E10value_typeET4_T5_PSS_ST_PNS1_23onesweep_lookback_stateEbbT6_jjT7_P12ihipStream_tbENKUlT_T0_SH_SM_E_clISB_SB_SC_SC_EEDaS10_S11_SH_SM_EUlS10_E_NS1_11comp_targetILNS1_3genE2ELNS1_11target_archE906ELNS1_3gpuE6ELNS1_3repE0EEENS1_47radix_sort_onesweep_sort_config_static_selectorELNS0_4arch9wavefront6targetE0EEEvSH_,comdat
.Lfunc_end2063:
	.size	_ZN7rocprim17ROCPRIM_400000_NS6detail17trampoline_kernelINS0_14default_configENS1_35radix_sort_onesweep_config_selectorI12hip_bfloat16NS0_10empty_typeEEEZZNS1_29radix_sort_onesweep_iterationIS3_Lb0EPKS5_PS5_PS6_SC_mNS0_19identity_decomposerENS1_16block_id_wrapperIjLb1EEEEE10hipError_tT1_PNSt15iterator_traitsISH_E10value_typeET2_T3_PNSI_ISN_E10value_typeET4_T5_PSS_ST_PNS1_23onesweep_lookback_stateEbbT6_jjT7_P12ihipStream_tbENKUlT_T0_SH_SM_E_clISB_SB_SC_SC_EEDaS10_S11_SH_SM_EUlS10_E_NS1_11comp_targetILNS1_3genE2ELNS1_11target_archE906ELNS1_3gpuE6ELNS1_3repE0EEENS1_47radix_sort_onesweep_sort_config_static_selectorELNS0_4arch9wavefront6targetE0EEEvSH_, .Lfunc_end2063-_ZN7rocprim17ROCPRIM_400000_NS6detail17trampoline_kernelINS0_14default_configENS1_35radix_sort_onesweep_config_selectorI12hip_bfloat16NS0_10empty_typeEEEZZNS1_29radix_sort_onesweep_iterationIS3_Lb0EPKS5_PS5_PS6_SC_mNS0_19identity_decomposerENS1_16block_id_wrapperIjLb1EEEEE10hipError_tT1_PNSt15iterator_traitsISH_E10value_typeET2_T3_PNSI_ISN_E10value_typeET4_T5_PSS_ST_PNS1_23onesweep_lookback_stateEbbT6_jjT7_P12ihipStream_tbENKUlT_T0_SH_SM_E_clISB_SB_SC_SC_EEDaS10_S11_SH_SM_EUlS10_E_NS1_11comp_targetILNS1_3genE2ELNS1_11target_archE906ELNS1_3gpuE6ELNS1_3repE0EEENS1_47radix_sort_onesweep_sort_config_static_selectorELNS0_4arch9wavefront6targetE0EEEvSH_
                                        ; -- End function
	.set _ZN7rocprim17ROCPRIM_400000_NS6detail17trampoline_kernelINS0_14default_configENS1_35radix_sort_onesweep_config_selectorI12hip_bfloat16NS0_10empty_typeEEEZZNS1_29radix_sort_onesweep_iterationIS3_Lb0EPKS5_PS5_PS6_SC_mNS0_19identity_decomposerENS1_16block_id_wrapperIjLb1EEEEE10hipError_tT1_PNSt15iterator_traitsISH_E10value_typeET2_T3_PNSI_ISN_E10value_typeET4_T5_PSS_ST_PNS1_23onesweep_lookback_stateEbbT6_jjT7_P12ihipStream_tbENKUlT_T0_SH_SM_E_clISB_SB_SC_SC_EEDaS10_S11_SH_SM_EUlS10_E_NS1_11comp_targetILNS1_3genE2ELNS1_11target_archE906ELNS1_3gpuE6ELNS1_3repE0EEENS1_47radix_sort_onesweep_sort_config_static_selectorELNS0_4arch9wavefront6targetE0EEEvSH_.num_vgpr, 0
	.set _ZN7rocprim17ROCPRIM_400000_NS6detail17trampoline_kernelINS0_14default_configENS1_35radix_sort_onesweep_config_selectorI12hip_bfloat16NS0_10empty_typeEEEZZNS1_29radix_sort_onesweep_iterationIS3_Lb0EPKS5_PS5_PS6_SC_mNS0_19identity_decomposerENS1_16block_id_wrapperIjLb1EEEEE10hipError_tT1_PNSt15iterator_traitsISH_E10value_typeET2_T3_PNSI_ISN_E10value_typeET4_T5_PSS_ST_PNS1_23onesweep_lookback_stateEbbT6_jjT7_P12ihipStream_tbENKUlT_T0_SH_SM_E_clISB_SB_SC_SC_EEDaS10_S11_SH_SM_EUlS10_E_NS1_11comp_targetILNS1_3genE2ELNS1_11target_archE906ELNS1_3gpuE6ELNS1_3repE0EEENS1_47radix_sort_onesweep_sort_config_static_selectorELNS0_4arch9wavefront6targetE0EEEvSH_.num_agpr, 0
	.set _ZN7rocprim17ROCPRIM_400000_NS6detail17trampoline_kernelINS0_14default_configENS1_35radix_sort_onesweep_config_selectorI12hip_bfloat16NS0_10empty_typeEEEZZNS1_29radix_sort_onesweep_iterationIS3_Lb0EPKS5_PS5_PS6_SC_mNS0_19identity_decomposerENS1_16block_id_wrapperIjLb1EEEEE10hipError_tT1_PNSt15iterator_traitsISH_E10value_typeET2_T3_PNSI_ISN_E10value_typeET4_T5_PSS_ST_PNS1_23onesweep_lookback_stateEbbT6_jjT7_P12ihipStream_tbENKUlT_T0_SH_SM_E_clISB_SB_SC_SC_EEDaS10_S11_SH_SM_EUlS10_E_NS1_11comp_targetILNS1_3genE2ELNS1_11target_archE906ELNS1_3gpuE6ELNS1_3repE0EEENS1_47radix_sort_onesweep_sort_config_static_selectorELNS0_4arch9wavefront6targetE0EEEvSH_.numbered_sgpr, 0
	.set _ZN7rocprim17ROCPRIM_400000_NS6detail17trampoline_kernelINS0_14default_configENS1_35radix_sort_onesweep_config_selectorI12hip_bfloat16NS0_10empty_typeEEEZZNS1_29radix_sort_onesweep_iterationIS3_Lb0EPKS5_PS5_PS6_SC_mNS0_19identity_decomposerENS1_16block_id_wrapperIjLb1EEEEE10hipError_tT1_PNSt15iterator_traitsISH_E10value_typeET2_T3_PNSI_ISN_E10value_typeET4_T5_PSS_ST_PNS1_23onesweep_lookback_stateEbbT6_jjT7_P12ihipStream_tbENKUlT_T0_SH_SM_E_clISB_SB_SC_SC_EEDaS10_S11_SH_SM_EUlS10_E_NS1_11comp_targetILNS1_3genE2ELNS1_11target_archE906ELNS1_3gpuE6ELNS1_3repE0EEENS1_47radix_sort_onesweep_sort_config_static_selectorELNS0_4arch9wavefront6targetE0EEEvSH_.num_named_barrier, 0
	.set _ZN7rocprim17ROCPRIM_400000_NS6detail17trampoline_kernelINS0_14default_configENS1_35radix_sort_onesweep_config_selectorI12hip_bfloat16NS0_10empty_typeEEEZZNS1_29radix_sort_onesweep_iterationIS3_Lb0EPKS5_PS5_PS6_SC_mNS0_19identity_decomposerENS1_16block_id_wrapperIjLb1EEEEE10hipError_tT1_PNSt15iterator_traitsISH_E10value_typeET2_T3_PNSI_ISN_E10value_typeET4_T5_PSS_ST_PNS1_23onesweep_lookback_stateEbbT6_jjT7_P12ihipStream_tbENKUlT_T0_SH_SM_E_clISB_SB_SC_SC_EEDaS10_S11_SH_SM_EUlS10_E_NS1_11comp_targetILNS1_3genE2ELNS1_11target_archE906ELNS1_3gpuE6ELNS1_3repE0EEENS1_47radix_sort_onesweep_sort_config_static_selectorELNS0_4arch9wavefront6targetE0EEEvSH_.private_seg_size, 0
	.set _ZN7rocprim17ROCPRIM_400000_NS6detail17trampoline_kernelINS0_14default_configENS1_35radix_sort_onesweep_config_selectorI12hip_bfloat16NS0_10empty_typeEEEZZNS1_29radix_sort_onesweep_iterationIS3_Lb0EPKS5_PS5_PS6_SC_mNS0_19identity_decomposerENS1_16block_id_wrapperIjLb1EEEEE10hipError_tT1_PNSt15iterator_traitsISH_E10value_typeET2_T3_PNSI_ISN_E10value_typeET4_T5_PSS_ST_PNS1_23onesweep_lookback_stateEbbT6_jjT7_P12ihipStream_tbENKUlT_T0_SH_SM_E_clISB_SB_SC_SC_EEDaS10_S11_SH_SM_EUlS10_E_NS1_11comp_targetILNS1_3genE2ELNS1_11target_archE906ELNS1_3gpuE6ELNS1_3repE0EEENS1_47radix_sort_onesweep_sort_config_static_selectorELNS0_4arch9wavefront6targetE0EEEvSH_.uses_vcc, 0
	.set _ZN7rocprim17ROCPRIM_400000_NS6detail17trampoline_kernelINS0_14default_configENS1_35radix_sort_onesweep_config_selectorI12hip_bfloat16NS0_10empty_typeEEEZZNS1_29radix_sort_onesweep_iterationIS3_Lb0EPKS5_PS5_PS6_SC_mNS0_19identity_decomposerENS1_16block_id_wrapperIjLb1EEEEE10hipError_tT1_PNSt15iterator_traitsISH_E10value_typeET2_T3_PNSI_ISN_E10value_typeET4_T5_PSS_ST_PNS1_23onesweep_lookback_stateEbbT6_jjT7_P12ihipStream_tbENKUlT_T0_SH_SM_E_clISB_SB_SC_SC_EEDaS10_S11_SH_SM_EUlS10_E_NS1_11comp_targetILNS1_3genE2ELNS1_11target_archE906ELNS1_3gpuE6ELNS1_3repE0EEENS1_47radix_sort_onesweep_sort_config_static_selectorELNS0_4arch9wavefront6targetE0EEEvSH_.uses_flat_scratch, 0
	.set _ZN7rocprim17ROCPRIM_400000_NS6detail17trampoline_kernelINS0_14default_configENS1_35radix_sort_onesweep_config_selectorI12hip_bfloat16NS0_10empty_typeEEEZZNS1_29radix_sort_onesweep_iterationIS3_Lb0EPKS5_PS5_PS6_SC_mNS0_19identity_decomposerENS1_16block_id_wrapperIjLb1EEEEE10hipError_tT1_PNSt15iterator_traitsISH_E10value_typeET2_T3_PNSI_ISN_E10value_typeET4_T5_PSS_ST_PNS1_23onesweep_lookback_stateEbbT6_jjT7_P12ihipStream_tbENKUlT_T0_SH_SM_E_clISB_SB_SC_SC_EEDaS10_S11_SH_SM_EUlS10_E_NS1_11comp_targetILNS1_3genE2ELNS1_11target_archE906ELNS1_3gpuE6ELNS1_3repE0EEENS1_47radix_sort_onesweep_sort_config_static_selectorELNS0_4arch9wavefront6targetE0EEEvSH_.has_dyn_sized_stack, 0
	.set _ZN7rocprim17ROCPRIM_400000_NS6detail17trampoline_kernelINS0_14default_configENS1_35radix_sort_onesweep_config_selectorI12hip_bfloat16NS0_10empty_typeEEEZZNS1_29radix_sort_onesweep_iterationIS3_Lb0EPKS5_PS5_PS6_SC_mNS0_19identity_decomposerENS1_16block_id_wrapperIjLb1EEEEE10hipError_tT1_PNSt15iterator_traitsISH_E10value_typeET2_T3_PNSI_ISN_E10value_typeET4_T5_PSS_ST_PNS1_23onesweep_lookback_stateEbbT6_jjT7_P12ihipStream_tbENKUlT_T0_SH_SM_E_clISB_SB_SC_SC_EEDaS10_S11_SH_SM_EUlS10_E_NS1_11comp_targetILNS1_3genE2ELNS1_11target_archE906ELNS1_3gpuE6ELNS1_3repE0EEENS1_47radix_sort_onesweep_sort_config_static_selectorELNS0_4arch9wavefront6targetE0EEEvSH_.has_recursion, 0
	.set _ZN7rocprim17ROCPRIM_400000_NS6detail17trampoline_kernelINS0_14default_configENS1_35radix_sort_onesweep_config_selectorI12hip_bfloat16NS0_10empty_typeEEEZZNS1_29radix_sort_onesweep_iterationIS3_Lb0EPKS5_PS5_PS6_SC_mNS0_19identity_decomposerENS1_16block_id_wrapperIjLb1EEEEE10hipError_tT1_PNSt15iterator_traitsISH_E10value_typeET2_T3_PNSI_ISN_E10value_typeET4_T5_PSS_ST_PNS1_23onesweep_lookback_stateEbbT6_jjT7_P12ihipStream_tbENKUlT_T0_SH_SM_E_clISB_SB_SC_SC_EEDaS10_S11_SH_SM_EUlS10_E_NS1_11comp_targetILNS1_3genE2ELNS1_11target_archE906ELNS1_3gpuE6ELNS1_3repE0EEENS1_47radix_sort_onesweep_sort_config_static_selectorELNS0_4arch9wavefront6targetE0EEEvSH_.has_indirect_call, 0
	.section	.AMDGPU.csdata,"",@progbits
; Kernel info:
; codeLenInByte = 0
; TotalNumSgprs: 0
; NumVgprs: 0
; ScratchSize: 0
; MemoryBound: 0
; FloatMode: 240
; IeeeMode: 1
; LDSByteSize: 0 bytes/workgroup (compile time only)
; SGPRBlocks: 0
; VGPRBlocks: 0
; NumSGPRsForWavesPerEU: 1
; NumVGPRsForWavesPerEU: 1
; NamedBarCnt: 0
; Occupancy: 16
; WaveLimiterHint : 0
; COMPUTE_PGM_RSRC2:SCRATCH_EN: 0
; COMPUTE_PGM_RSRC2:USER_SGPR: 2
; COMPUTE_PGM_RSRC2:TRAP_HANDLER: 0
; COMPUTE_PGM_RSRC2:TGID_X_EN: 1
; COMPUTE_PGM_RSRC2:TGID_Y_EN: 0
; COMPUTE_PGM_RSRC2:TGID_Z_EN: 0
; COMPUTE_PGM_RSRC2:TIDIG_COMP_CNT: 0
	.section	.text._ZN7rocprim17ROCPRIM_400000_NS6detail17trampoline_kernelINS0_14default_configENS1_35radix_sort_onesweep_config_selectorI12hip_bfloat16NS0_10empty_typeEEEZZNS1_29radix_sort_onesweep_iterationIS3_Lb0EPKS5_PS5_PS6_SC_mNS0_19identity_decomposerENS1_16block_id_wrapperIjLb1EEEEE10hipError_tT1_PNSt15iterator_traitsISH_E10value_typeET2_T3_PNSI_ISN_E10value_typeET4_T5_PSS_ST_PNS1_23onesweep_lookback_stateEbbT6_jjT7_P12ihipStream_tbENKUlT_T0_SH_SM_E_clISB_SB_SC_SC_EEDaS10_S11_SH_SM_EUlS10_E_NS1_11comp_targetILNS1_3genE4ELNS1_11target_archE910ELNS1_3gpuE8ELNS1_3repE0EEENS1_47radix_sort_onesweep_sort_config_static_selectorELNS0_4arch9wavefront6targetE0EEEvSH_,"axG",@progbits,_ZN7rocprim17ROCPRIM_400000_NS6detail17trampoline_kernelINS0_14default_configENS1_35radix_sort_onesweep_config_selectorI12hip_bfloat16NS0_10empty_typeEEEZZNS1_29radix_sort_onesweep_iterationIS3_Lb0EPKS5_PS5_PS6_SC_mNS0_19identity_decomposerENS1_16block_id_wrapperIjLb1EEEEE10hipError_tT1_PNSt15iterator_traitsISH_E10value_typeET2_T3_PNSI_ISN_E10value_typeET4_T5_PSS_ST_PNS1_23onesweep_lookback_stateEbbT6_jjT7_P12ihipStream_tbENKUlT_T0_SH_SM_E_clISB_SB_SC_SC_EEDaS10_S11_SH_SM_EUlS10_E_NS1_11comp_targetILNS1_3genE4ELNS1_11target_archE910ELNS1_3gpuE8ELNS1_3repE0EEENS1_47radix_sort_onesweep_sort_config_static_selectorELNS0_4arch9wavefront6targetE0EEEvSH_,comdat
	.protected	_ZN7rocprim17ROCPRIM_400000_NS6detail17trampoline_kernelINS0_14default_configENS1_35radix_sort_onesweep_config_selectorI12hip_bfloat16NS0_10empty_typeEEEZZNS1_29radix_sort_onesweep_iterationIS3_Lb0EPKS5_PS5_PS6_SC_mNS0_19identity_decomposerENS1_16block_id_wrapperIjLb1EEEEE10hipError_tT1_PNSt15iterator_traitsISH_E10value_typeET2_T3_PNSI_ISN_E10value_typeET4_T5_PSS_ST_PNS1_23onesweep_lookback_stateEbbT6_jjT7_P12ihipStream_tbENKUlT_T0_SH_SM_E_clISB_SB_SC_SC_EEDaS10_S11_SH_SM_EUlS10_E_NS1_11comp_targetILNS1_3genE4ELNS1_11target_archE910ELNS1_3gpuE8ELNS1_3repE0EEENS1_47radix_sort_onesweep_sort_config_static_selectorELNS0_4arch9wavefront6targetE0EEEvSH_ ; -- Begin function _ZN7rocprim17ROCPRIM_400000_NS6detail17trampoline_kernelINS0_14default_configENS1_35radix_sort_onesweep_config_selectorI12hip_bfloat16NS0_10empty_typeEEEZZNS1_29radix_sort_onesweep_iterationIS3_Lb0EPKS5_PS5_PS6_SC_mNS0_19identity_decomposerENS1_16block_id_wrapperIjLb1EEEEE10hipError_tT1_PNSt15iterator_traitsISH_E10value_typeET2_T3_PNSI_ISN_E10value_typeET4_T5_PSS_ST_PNS1_23onesweep_lookback_stateEbbT6_jjT7_P12ihipStream_tbENKUlT_T0_SH_SM_E_clISB_SB_SC_SC_EEDaS10_S11_SH_SM_EUlS10_E_NS1_11comp_targetILNS1_3genE4ELNS1_11target_archE910ELNS1_3gpuE8ELNS1_3repE0EEENS1_47radix_sort_onesweep_sort_config_static_selectorELNS0_4arch9wavefront6targetE0EEEvSH_
	.globl	_ZN7rocprim17ROCPRIM_400000_NS6detail17trampoline_kernelINS0_14default_configENS1_35radix_sort_onesweep_config_selectorI12hip_bfloat16NS0_10empty_typeEEEZZNS1_29radix_sort_onesweep_iterationIS3_Lb0EPKS5_PS5_PS6_SC_mNS0_19identity_decomposerENS1_16block_id_wrapperIjLb1EEEEE10hipError_tT1_PNSt15iterator_traitsISH_E10value_typeET2_T3_PNSI_ISN_E10value_typeET4_T5_PSS_ST_PNS1_23onesweep_lookback_stateEbbT6_jjT7_P12ihipStream_tbENKUlT_T0_SH_SM_E_clISB_SB_SC_SC_EEDaS10_S11_SH_SM_EUlS10_E_NS1_11comp_targetILNS1_3genE4ELNS1_11target_archE910ELNS1_3gpuE8ELNS1_3repE0EEENS1_47radix_sort_onesweep_sort_config_static_selectorELNS0_4arch9wavefront6targetE0EEEvSH_
	.p2align	8
	.type	_ZN7rocprim17ROCPRIM_400000_NS6detail17trampoline_kernelINS0_14default_configENS1_35radix_sort_onesweep_config_selectorI12hip_bfloat16NS0_10empty_typeEEEZZNS1_29radix_sort_onesweep_iterationIS3_Lb0EPKS5_PS5_PS6_SC_mNS0_19identity_decomposerENS1_16block_id_wrapperIjLb1EEEEE10hipError_tT1_PNSt15iterator_traitsISH_E10value_typeET2_T3_PNSI_ISN_E10value_typeET4_T5_PSS_ST_PNS1_23onesweep_lookback_stateEbbT6_jjT7_P12ihipStream_tbENKUlT_T0_SH_SM_E_clISB_SB_SC_SC_EEDaS10_S11_SH_SM_EUlS10_E_NS1_11comp_targetILNS1_3genE4ELNS1_11target_archE910ELNS1_3gpuE8ELNS1_3repE0EEENS1_47radix_sort_onesweep_sort_config_static_selectorELNS0_4arch9wavefront6targetE0EEEvSH_,@function
_ZN7rocprim17ROCPRIM_400000_NS6detail17trampoline_kernelINS0_14default_configENS1_35radix_sort_onesweep_config_selectorI12hip_bfloat16NS0_10empty_typeEEEZZNS1_29radix_sort_onesweep_iterationIS3_Lb0EPKS5_PS5_PS6_SC_mNS0_19identity_decomposerENS1_16block_id_wrapperIjLb1EEEEE10hipError_tT1_PNSt15iterator_traitsISH_E10value_typeET2_T3_PNSI_ISN_E10value_typeET4_T5_PSS_ST_PNS1_23onesweep_lookback_stateEbbT6_jjT7_P12ihipStream_tbENKUlT_T0_SH_SM_E_clISB_SB_SC_SC_EEDaS10_S11_SH_SM_EUlS10_E_NS1_11comp_targetILNS1_3genE4ELNS1_11target_archE910ELNS1_3gpuE8ELNS1_3repE0EEENS1_47radix_sort_onesweep_sort_config_static_selectorELNS0_4arch9wavefront6targetE0EEEvSH_: ; @_ZN7rocprim17ROCPRIM_400000_NS6detail17trampoline_kernelINS0_14default_configENS1_35radix_sort_onesweep_config_selectorI12hip_bfloat16NS0_10empty_typeEEEZZNS1_29radix_sort_onesweep_iterationIS3_Lb0EPKS5_PS5_PS6_SC_mNS0_19identity_decomposerENS1_16block_id_wrapperIjLb1EEEEE10hipError_tT1_PNSt15iterator_traitsISH_E10value_typeET2_T3_PNSI_ISN_E10value_typeET4_T5_PSS_ST_PNS1_23onesweep_lookback_stateEbbT6_jjT7_P12ihipStream_tbENKUlT_T0_SH_SM_E_clISB_SB_SC_SC_EEDaS10_S11_SH_SM_EUlS10_E_NS1_11comp_targetILNS1_3genE4ELNS1_11target_archE910ELNS1_3gpuE8ELNS1_3repE0EEENS1_47radix_sort_onesweep_sort_config_static_selectorELNS0_4arch9wavefront6targetE0EEEvSH_
; %bb.0:
	.section	.rodata,"a",@progbits
	.p2align	6, 0x0
	.amdhsa_kernel _ZN7rocprim17ROCPRIM_400000_NS6detail17trampoline_kernelINS0_14default_configENS1_35radix_sort_onesweep_config_selectorI12hip_bfloat16NS0_10empty_typeEEEZZNS1_29radix_sort_onesweep_iterationIS3_Lb0EPKS5_PS5_PS6_SC_mNS0_19identity_decomposerENS1_16block_id_wrapperIjLb1EEEEE10hipError_tT1_PNSt15iterator_traitsISH_E10value_typeET2_T3_PNSI_ISN_E10value_typeET4_T5_PSS_ST_PNS1_23onesweep_lookback_stateEbbT6_jjT7_P12ihipStream_tbENKUlT_T0_SH_SM_E_clISB_SB_SC_SC_EEDaS10_S11_SH_SM_EUlS10_E_NS1_11comp_targetILNS1_3genE4ELNS1_11target_archE910ELNS1_3gpuE8ELNS1_3repE0EEENS1_47radix_sort_onesweep_sort_config_static_selectorELNS0_4arch9wavefront6targetE0EEEvSH_
		.amdhsa_group_segment_fixed_size 0
		.amdhsa_private_segment_fixed_size 0
		.amdhsa_kernarg_size 88
		.amdhsa_user_sgpr_count 2
		.amdhsa_user_sgpr_dispatch_ptr 0
		.amdhsa_user_sgpr_queue_ptr 0
		.amdhsa_user_sgpr_kernarg_segment_ptr 1
		.amdhsa_user_sgpr_dispatch_id 0
		.amdhsa_user_sgpr_kernarg_preload_length 0
		.amdhsa_user_sgpr_kernarg_preload_offset 0
		.amdhsa_user_sgpr_private_segment_size 0
		.amdhsa_wavefront_size32 1
		.amdhsa_uses_dynamic_stack 0
		.amdhsa_enable_private_segment 0
		.amdhsa_system_sgpr_workgroup_id_x 1
		.amdhsa_system_sgpr_workgroup_id_y 0
		.amdhsa_system_sgpr_workgroup_id_z 0
		.amdhsa_system_sgpr_workgroup_info 0
		.amdhsa_system_vgpr_workitem_id 0
		.amdhsa_next_free_vgpr 1
		.amdhsa_next_free_sgpr 1
		.amdhsa_named_barrier_count 0
		.amdhsa_reserve_vcc 0
		.amdhsa_float_round_mode_32 0
		.amdhsa_float_round_mode_16_64 0
		.amdhsa_float_denorm_mode_32 3
		.amdhsa_float_denorm_mode_16_64 3
		.amdhsa_fp16_overflow 0
		.amdhsa_memory_ordered 1
		.amdhsa_forward_progress 1
		.amdhsa_inst_pref_size 0
		.amdhsa_round_robin_scheduling 0
		.amdhsa_exception_fp_ieee_invalid_op 0
		.amdhsa_exception_fp_denorm_src 0
		.amdhsa_exception_fp_ieee_div_zero 0
		.amdhsa_exception_fp_ieee_overflow 0
		.amdhsa_exception_fp_ieee_underflow 0
		.amdhsa_exception_fp_ieee_inexact 0
		.amdhsa_exception_int_div_zero 0
	.end_amdhsa_kernel
	.section	.text._ZN7rocprim17ROCPRIM_400000_NS6detail17trampoline_kernelINS0_14default_configENS1_35radix_sort_onesweep_config_selectorI12hip_bfloat16NS0_10empty_typeEEEZZNS1_29radix_sort_onesweep_iterationIS3_Lb0EPKS5_PS5_PS6_SC_mNS0_19identity_decomposerENS1_16block_id_wrapperIjLb1EEEEE10hipError_tT1_PNSt15iterator_traitsISH_E10value_typeET2_T3_PNSI_ISN_E10value_typeET4_T5_PSS_ST_PNS1_23onesweep_lookback_stateEbbT6_jjT7_P12ihipStream_tbENKUlT_T0_SH_SM_E_clISB_SB_SC_SC_EEDaS10_S11_SH_SM_EUlS10_E_NS1_11comp_targetILNS1_3genE4ELNS1_11target_archE910ELNS1_3gpuE8ELNS1_3repE0EEENS1_47radix_sort_onesweep_sort_config_static_selectorELNS0_4arch9wavefront6targetE0EEEvSH_,"axG",@progbits,_ZN7rocprim17ROCPRIM_400000_NS6detail17trampoline_kernelINS0_14default_configENS1_35radix_sort_onesweep_config_selectorI12hip_bfloat16NS0_10empty_typeEEEZZNS1_29radix_sort_onesweep_iterationIS3_Lb0EPKS5_PS5_PS6_SC_mNS0_19identity_decomposerENS1_16block_id_wrapperIjLb1EEEEE10hipError_tT1_PNSt15iterator_traitsISH_E10value_typeET2_T3_PNSI_ISN_E10value_typeET4_T5_PSS_ST_PNS1_23onesweep_lookback_stateEbbT6_jjT7_P12ihipStream_tbENKUlT_T0_SH_SM_E_clISB_SB_SC_SC_EEDaS10_S11_SH_SM_EUlS10_E_NS1_11comp_targetILNS1_3genE4ELNS1_11target_archE910ELNS1_3gpuE8ELNS1_3repE0EEENS1_47radix_sort_onesweep_sort_config_static_selectorELNS0_4arch9wavefront6targetE0EEEvSH_,comdat
.Lfunc_end2064:
	.size	_ZN7rocprim17ROCPRIM_400000_NS6detail17trampoline_kernelINS0_14default_configENS1_35radix_sort_onesweep_config_selectorI12hip_bfloat16NS0_10empty_typeEEEZZNS1_29radix_sort_onesweep_iterationIS3_Lb0EPKS5_PS5_PS6_SC_mNS0_19identity_decomposerENS1_16block_id_wrapperIjLb1EEEEE10hipError_tT1_PNSt15iterator_traitsISH_E10value_typeET2_T3_PNSI_ISN_E10value_typeET4_T5_PSS_ST_PNS1_23onesweep_lookback_stateEbbT6_jjT7_P12ihipStream_tbENKUlT_T0_SH_SM_E_clISB_SB_SC_SC_EEDaS10_S11_SH_SM_EUlS10_E_NS1_11comp_targetILNS1_3genE4ELNS1_11target_archE910ELNS1_3gpuE8ELNS1_3repE0EEENS1_47radix_sort_onesweep_sort_config_static_selectorELNS0_4arch9wavefront6targetE0EEEvSH_, .Lfunc_end2064-_ZN7rocprim17ROCPRIM_400000_NS6detail17trampoline_kernelINS0_14default_configENS1_35radix_sort_onesweep_config_selectorI12hip_bfloat16NS0_10empty_typeEEEZZNS1_29radix_sort_onesweep_iterationIS3_Lb0EPKS5_PS5_PS6_SC_mNS0_19identity_decomposerENS1_16block_id_wrapperIjLb1EEEEE10hipError_tT1_PNSt15iterator_traitsISH_E10value_typeET2_T3_PNSI_ISN_E10value_typeET4_T5_PSS_ST_PNS1_23onesweep_lookback_stateEbbT6_jjT7_P12ihipStream_tbENKUlT_T0_SH_SM_E_clISB_SB_SC_SC_EEDaS10_S11_SH_SM_EUlS10_E_NS1_11comp_targetILNS1_3genE4ELNS1_11target_archE910ELNS1_3gpuE8ELNS1_3repE0EEENS1_47radix_sort_onesweep_sort_config_static_selectorELNS0_4arch9wavefront6targetE0EEEvSH_
                                        ; -- End function
	.set _ZN7rocprim17ROCPRIM_400000_NS6detail17trampoline_kernelINS0_14default_configENS1_35radix_sort_onesweep_config_selectorI12hip_bfloat16NS0_10empty_typeEEEZZNS1_29radix_sort_onesweep_iterationIS3_Lb0EPKS5_PS5_PS6_SC_mNS0_19identity_decomposerENS1_16block_id_wrapperIjLb1EEEEE10hipError_tT1_PNSt15iterator_traitsISH_E10value_typeET2_T3_PNSI_ISN_E10value_typeET4_T5_PSS_ST_PNS1_23onesweep_lookback_stateEbbT6_jjT7_P12ihipStream_tbENKUlT_T0_SH_SM_E_clISB_SB_SC_SC_EEDaS10_S11_SH_SM_EUlS10_E_NS1_11comp_targetILNS1_3genE4ELNS1_11target_archE910ELNS1_3gpuE8ELNS1_3repE0EEENS1_47radix_sort_onesweep_sort_config_static_selectorELNS0_4arch9wavefront6targetE0EEEvSH_.num_vgpr, 0
	.set _ZN7rocprim17ROCPRIM_400000_NS6detail17trampoline_kernelINS0_14default_configENS1_35radix_sort_onesweep_config_selectorI12hip_bfloat16NS0_10empty_typeEEEZZNS1_29radix_sort_onesweep_iterationIS3_Lb0EPKS5_PS5_PS6_SC_mNS0_19identity_decomposerENS1_16block_id_wrapperIjLb1EEEEE10hipError_tT1_PNSt15iterator_traitsISH_E10value_typeET2_T3_PNSI_ISN_E10value_typeET4_T5_PSS_ST_PNS1_23onesweep_lookback_stateEbbT6_jjT7_P12ihipStream_tbENKUlT_T0_SH_SM_E_clISB_SB_SC_SC_EEDaS10_S11_SH_SM_EUlS10_E_NS1_11comp_targetILNS1_3genE4ELNS1_11target_archE910ELNS1_3gpuE8ELNS1_3repE0EEENS1_47radix_sort_onesweep_sort_config_static_selectorELNS0_4arch9wavefront6targetE0EEEvSH_.num_agpr, 0
	.set _ZN7rocprim17ROCPRIM_400000_NS6detail17trampoline_kernelINS0_14default_configENS1_35radix_sort_onesweep_config_selectorI12hip_bfloat16NS0_10empty_typeEEEZZNS1_29radix_sort_onesweep_iterationIS3_Lb0EPKS5_PS5_PS6_SC_mNS0_19identity_decomposerENS1_16block_id_wrapperIjLb1EEEEE10hipError_tT1_PNSt15iterator_traitsISH_E10value_typeET2_T3_PNSI_ISN_E10value_typeET4_T5_PSS_ST_PNS1_23onesweep_lookback_stateEbbT6_jjT7_P12ihipStream_tbENKUlT_T0_SH_SM_E_clISB_SB_SC_SC_EEDaS10_S11_SH_SM_EUlS10_E_NS1_11comp_targetILNS1_3genE4ELNS1_11target_archE910ELNS1_3gpuE8ELNS1_3repE0EEENS1_47radix_sort_onesweep_sort_config_static_selectorELNS0_4arch9wavefront6targetE0EEEvSH_.numbered_sgpr, 0
	.set _ZN7rocprim17ROCPRIM_400000_NS6detail17trampoline_kernelINS0_14default_configENS1_35radix_sort_onesweep_config_selectorI12hip_bfloat16NS0_10empty_typeEEEZZNS1_29radix_sort_onesweep_iterationIS3_Lb0EPKS5_PS5_PS6_SC_mNS0_19identity_decomposerENS1_16block_id_wrapperIjLb1EEEEE10hipError_tT1_PNSt15iterator_traitsISH_E10value_typeET2_T3_PNSI_ISN_E10value_typeET4_T5_PSS_ST_PNS1_23onesweep_lookback_stateEbbT6_jjT7_P12ihipStream_tbENKUlT_T0_SH_SM_E_clISB_SB_SC_SC_EEDaS10_S11_SH_SM_EUlS10_E_NS1_11comp_targetILNS1_3genE4ELNS1_11target_archE910ELNS1_3gpuE8ELNS1_3repE0EEENS1_47radix_sort_onesweep_sort_config_static_selectorELNS0_4arch9wavefront6targetE0EEEvSH_.num_named_barrier, 0
	.set _ZN7rocprim17ROCPRIM_400000_NS6detail17trampoline_kernelINS0_14default_configENS1_35radix_sort_onesweep_config_selectorI12hip_bfloat16NS0_10empty_typeEEEZZNS1_29radix_sort_onesweep_iterationIS3_Lb0EPKS5_PS5_PS6_SC_mNS0_19identity_decomposerENS1_16block_id_wrapperIjLb1EEEEE10hipError_tT1_PNSt15iterator_traitsISH_E10value_typeET2_T3_PNSI_ISN_E10value_typeET4_T5_PSS_ST_PNS1_23onesweep_lookback_stateEbbT6_jjT7_P12ihipStream_tbENKUlT_T0_SH_SM_E_clISB_SB_SC_SC_EEDaS10_S11_SH_SM_EUlS10_E_NS1_11comp_targetILNS1_3genE4ELNS1_11target_archE910ELNS1_3gpuE8ELNS1_3repE0EEENS1_47radix_sort_onesweep_sort_config_static_selectorELNS0_4arch9wavefront6targetE0EEEvSH_.private_seg_size, 0
	.set _ZN7rocprim17ROCPRIM_400000_NS6detail17trampoline_kernelINS0_14default_configENS1_35radix_sort_onesweep_config_selectorI12hip_bfloat16NS0_10empty_typeEEEZZNS1_29radix_sort_onesweep_iterationIS3_Lb0EPKS5_PS5_PS6_SC_mNS0_19identity_decomposerENS1_16block_id_wrapperIjLb1EEEEE10hipError_tT1_PNSt15iterator_traitsISH_E10value_typeET2_T3_PNSI_ISN_E10value_typeET4_T5_PSS_ST_PNS1_23onesweep_lookback_stateEbbT6_jjT7_P12ihipStream_tbENKUlT_T0_SH_SM_E_clISB_SB_SC_SC_EEDaS10_S11_SH_SM_EUlS10_E_NS1_11comp_targetILNS1_3genE4ELNS1_11target_archE910ELNS1_3gpuE8ELNS1_3repE0EEENS1_47radix_sort_onesweep_sort_config_static_selectorELNS0_4arch9wavefront6targetE0EEEvSH_.uses_vcc, 0
	.set _ZN7rocprim17ROCPRIM_400000_NS6detail17trampoline_kernelINS0_14default_configENS1_35radix_sort_onesweep_config_selectorI12hip_bfloat16NS0_10empty_typeEEEZZNS1_29radix_sort_onesweep_iterationIS3_Lb0EPKS5_PS5_PS6_SC_mNS0_19identity_decomposerENS1_16block_id_wrapperIjLb1EEEEE10hipError_tT1_PNSt15iterator_traitsISH_E10value_typeET2_T3_PNSI_ISN_E10value_typeET4_T5_PSS_ST_PNS1_23onesweep_lookback_stateEbbT6_jjT7_P12ihipStream_tbENKUlT_T0_SH_SM_E_clISB_SB_SC_SC_EEDaS10_S11_SH_SM_EUlS10_E_NS1_11comp_targetILNS1_3genE4ELNS1_11target_archE910ELNS1_3gpuE8ELNS1_3repE0EEENS1_47radix_sort_onesweep_sort_config_static_selectorELNS0_4arch9wavefront6targetE0EEEvSH_.uses_flat_scratch, 0
	.set _ZN7rocprim17ROCPRIM_400000_NS6detail17trampoline_kernelINS0_14default_configENS1_35radix_sort_onesweep_config_selectorI12hip_bfloat16NS0_10empty_typeEEEZZNS1_29radix_sort_onesweep_iterationIS3_Lb0EPKS5_PS5_PS6_SC_mNS0_19identity_decomposerENS1_16block_id_wrapperIjLb1EEEEE10hipError_tT1_PNSt15iterator_traitsISH_E10value_typeET2_T3_PNSI_ISN_E10value_typeET4_T5_PSS_ST_PNS1_23onesweep_lookback_stateEbbT6_jjT7_P12ihipStream_tbENKUlT_T0_SH_SM_E_clISB_SB_SC_SC_EEDaS10_S11_SH_SM_EUlS10_E_NS1_11comp_targetILNS1_3genE4ELNS1_11target_archE910ELNS1_3gpuE8ELNS1_3repE0EEENS1_47radix_sort_onesweep_sort_config_static_selectorELNS0_4arch9wavefront6targetE0EEEvSH_.has_dyn_sized_stack, 0
	.set _ZN7rocprim17ROCPRIM_400000_NS6detail17trampoline_kernelINS0_14default_configENS1_35radix_sort_onesweep_config_selectorI12hip_bfloat16NS0_10empty_typeEEEZZNS1_29radix_sort_onesweep_iterationIS3_Lb0EPKS5_PS5_PS6_SC_mNS0_19identity_decomposerENS1_16block_id_wrapperIjLb1EEEEE10hipError_tT1_PNSt15iterator_traitsISH_E10value_typeET2_T3_PNSI_ISN_E10value_typeET4_T5_PSS_ST_PNS1_23onesweep_lookback_stateEbbT6_jjT7_P12ihipStream_tbENKUlT_T0_SH_SM_E_clISB_SB_SC_SC_EEDaS10_S11_SH_SM_EUlS10_E_NS1_11comp_targetILNS1_3genE4ELNS1_11target_archE910ELNS1_3gpuE8ELNS1_3repE0EEENS1_47radix_sort_onesweep_sort_config_static_selectorELNS0_4arch9wavefront6targetE0EEEvSH_.has_recursion, 0
	.set _ZN7rocprim17ROCPRIM_400000_NS6detail17trampoline_kernelINS0_14default_configENS1_35radix_sort_onesweep_config_selectorI12hip_bfloat16NS0_10empty_typeEEEZZNS1_29radix_sort_onesweep_iterationIS3_Lb0EPKS5_PS5_PS6_SC_mNS0_19identity_decomposerENS1_16block_id_wrapperIjLb1EEEEE10hipError_tT1_PNSt15iterator_traitsISH_E10value_typeET2_T3_PNSI_ISN_E10value_typeET4_T5_PSS_ST_PNS1_23onesweep_lookback_stateEbbT6_jjT7_P12ihipStream_tbENKUlT_T0_SH_SM_E_clISB_SB_SC_SC_EEDaS10_S11_SH_SM_EUlS10_E_NS1_11comp_targetILNS1_3genE4ELNS1_11target_archE910ELNS1_3gpuE8ELNS1_3repE0EEENS1_47radix_sort_onesweep_sort_config_static_selectorELNS0_4arch9wavefront6targetE0EEEvSH_.has_indirect_call, 0
	.section	.AMDGPU.csdata,"",@progbits
; Kernel info:
; codeLenInByte = 0
; TotalNumSgprs: 0
; NumVgprs: 0
; ScratchSize: 0
; MemoryBound: 0
; FloatMode: 240
; IeeeMode: 1
; LDSByteSize: 0 bytes/workgroup (compile time only)
; SGPRBlocks: 0
; VGPRBlocks: 0
; NumSGPRsForWavesPerEU: 1
; NumVGPRsForWavesPerEU: 1
; NamedBarCnt: 0
; Occupancy: 16
; WaveLimiterHint : 0
; COMPUTE_PGM_RSRC2:SCRATCH_EN: 0
; COMPUTE_PGM_RSRC2:USER_SGPR: 2
; COMPUTE_PGM_RSRC2:TRAP_HANDLER: 0
; COMPUTE_PGM_RSRC2:TGID_X_EN: 1
; COMPUTE_PGM_RSRC2:TGID_Y_EN: 0
; COMPUTE_PGM_RSRC2:TGID_Z_EN: 0
; COMPUTE_PGM_RSRC2:TIDIG_COMP_CNT: 0
	.section	.text._ZN7rocprim17ROCPRIM_400000_NS6detail17trampoline_kernelINS0_14default_configENS1_35radix_sort_onesweep_config_selectorI12hip_bfloat16NS0_10empty_typeEEEZZNS1_29radix_sort_onesweep_iterationIS3_Lb0EPKS5_PS5_PS6_SC_mNS0_19identity_decomposerENS1_16block_id_wrapperIjLb1EEEEE10hipError_tT1_PNSt15iterator_traitsISH_E10value_typeET2_T3_PNSI_ISN_E10value_typeET4_T5_PSS_ST_PNS1_23onesweep_lookback_stateEbbT6_jjT7_P12ihipStream_tbENKUlT_T0_SH_SM_E_clISB_SB_SC_SC_EEDaS10_S11_SH_SM_EUlS10_E_NS1_11comp_targetILNS1_3genE3ELNS1_11target_archE908ELNS1_3gpuE7ELNS1_3repE0EEENS1_47radix_sort_onesweep_sort_config_static_selectorELNS0_4arch9wavefront6targetE0EEEvSH_,"axG",@progbits,_ZN7rocprim17ROCPRIM_400000_NS6detail17trampoline_kernelINS0_14default_configENS1_35radix_sort_onesweep_config_selectorI12hip_bfloat16NS0_10empty_typeEEEZZNS1_29radix_sort_onesweep_iterationIS3_Lb0EPKS5_PS5_PS6_SC_mNS0_19identity_decomposerENS1_16block_id_wrapperIjLb1EEEEE10hipError_tT1_PNSt15iterator_traitsISH_E10value_typeET2_T3_PNSI_ISN_E10value_typeET4_T5_PSS_ST_PNS1_23onesweep_lookback_stateEbbT6_jjT7_P12ihipStream_tbENKUlT_T0_SH_SM_E_clISB_SB_SC_SC_EEDaS10_S11_SH_SM_EUlS10_E_NS1_11comp_targetILNS1_3genE3ELNS1_11target_archE908ELNS1_3gpuE7ELNS1_3repE0EEENS1_47radix_sort_onesweep_sort_config_static_selectorELNS0_4arch9wavefront6targetE0EEEvSH_,comdat
	.protected	_ZN7rocprim17ROCPRIM_400000_NS6detail17trampoline_kernelINS0_14default_configENS1_35radix_sort_onesweep_config_selectorI12hip_bfloat16NS0_10empty_typeEEEZZNS1_29radix_sort_onesweep_iterationIS3_Lb0EPKS5_PS5_PS6_SC_mNS0_19identity_decomposerENS1_16block_id_wrapperIjLb1EEEEE10hipError_tT1_PNSt15iterator_traitsISH_E10value_typeET2_T3_PNSI_ISN_E10value_typeET4_T5_PSS_ST_PNS1_23onesweep_lookback_stateEbbT6_jjT7_P12ihipStream_tbENKUlT_T0_SH_SM_E_clISB_SB_SC_SC_EEDaS10_S11_SH_SM_EUlS10_E_NS1_11comp_targetILNS1_3genE3ELNS1_11target_archE908ELNS1_3gpuE7ELNS1_3repE0EEENS1_47radix_sort_onesweep_sort_config_static_selectorELNS0_4arch9wavefront6targetE0EEEvSH_ ; -- Begin function _ZN7rocprim17ROCPRIM_400000_NS6detail17trampoline_kernelINS0_14default_configENS1_35radix_sort_onesweep_config_selectorI12hip_bfloat16NS0_10empty_typeEEEZZNS1_29radix_sort_onesweep_iterationIS3_Lb0EPKS5_PS5_PS6_SC_mNS0_19identity_decomposerENS1_16block_id_wrapperIjLb1EEEEE10hipError_tT1_PNSt15iterator_traitsISH_E10value_typeET2_T3_PNSI_ISN_E10value_typeET4_T5_PSS_ST_PNS1_23onesweep_lookback_stateEbbT6_jjT7_P12ihipStream_tbENKUlT_T0_SH_SM_E_clISB_SB_SC_SC_EEDaS10_S11_SH_SM_EUlS10_E_NS1_11comp_targetILNS1_3genE3ELNS1_11target_archE908ELNS1_3gpuE7ELNS1_3repE0EEENS1_47radix_sort_onesweep_sort_config_static_selectorELNS0_4arch9wavefront6targetE0EEEvSH_
	.globl	_ZN7rocprim17ROCPRIM_400000_NS6detail17trampoline_kernelINS0_14default_configENS1_35radix_sort_onesweep_config_selectorI12hip_bfloat16NS0_10empty_typeEEEZZNS1_29radix_sort_onesweep_iterationIS3_Lb0EPKS5_PS5_PS6_SC_mNS0_19identity_decomposerENS1_16block_id_wrapperIjLb1EEEEE10hipError_tT1_PNSt15iterator_traitsISH_E10value_typeET2_T3_PNSI_ISN_E10value_typeET4_T5_PSS_ST_PNS1_23onesweep_lookback_stateEbbT6_jjT7_P12ihipStream_tbENKUlT_T0_SH_SM_E_clISB_SB_SC_SC_EEDaS10_S11_SH_SM_EUlS10_E_NS1_11comp_targetILNS1_3genE3ELNS1_11target_archE908ELNS1_3gpuE7ELNS1_3repE0EEENS1_47radix_sort_onesweep_sort_config_static_selectorELNS0_4arch9wavefront6targetE0EEEvSH_
	.p2align	8
	.type	_ZN7rocprim17ROCPRIM_400000_NS6detail17trampoline_kernelINS0_14default_configENS1_35radix_sort_onesweep_config_selectorI12hip_bfloat16NS0_10empty_typeEEEZZNS1_29radix_sort_onesweep_iterationIS3_Lb0EPKS5_PS5_PS6_SC_mNS0_19identity_decomposerENS1_16block_id_wrapperIjLb1EEEEE10hipError_tT1_PNSt15iterator_traitsISH_E10value_typeET2_T3_PNSI_ISN_E10value_typeET4_T5_PSS_ST_PNS1_23onesweep_lookback_stateEbbT6_jjT7_P12ihipStream_tbENKUlT_T0_SH_SM_E_clISB_SB_SC_SC_EEDaS10_S11_SH_SM_EUlS10_E_NS1_11comp_targetILNS1_3genE3ELNS1_11target_archE908ELNS1_3gpuE7ELNS1_3repE0EEENS1_47radix_sort_onesweep_sort_config_static_selectorELNS0_4arch9wavefront6targetE0EEEvSH_,@function
_ZN7rocprim17ROCPRIM_400000_NS6detail17trampoline_kernelINS0_14default_configENS1_35radix_sort_onesweep_config_selectorI12hip_bfloat16NS0_10empty_typeEEEZZNS1_29radix_sort_onesweep_iterationIS3_Lb0EPKS5_PS5_PS6_SC_mNS0_19identity_decomposerENS1_16block_id_wrapperIjLb1EEEEE10hipError_tT1_PNSt15iterator_traitsISH_E10value_typeET2_T3_PNSI_ISN_E10value_typeET4_T5_PSS_ST_PNS1_23onesweep_lookback_stateEbbT6_jjT7_P12ihipStream_tbENKUlT_T0_SH_SM_E_clISB_SB_SC_SC_EEDaS10_S11_SH_SM_EUlS10_E_NS1_11comp_targetILNS1_3genE3ELNS1_11target_archE908ELNS1_3gpuE7ELNS1_3repE0EEENS1_47radix_sort_onesweep_sort_config_static_selectorELNS0_4arch9wavefront6targetE0EEEvSH_: ; @_ZN7rocprim17ROCPRIM_400000_NS6detail17trampoline_kernelINS0_14default_configENS1_35radix_sort_onesweep_config_selectorI12hip_bfloat16NS0_10empty_typeEEEZZNS1_29radix_sort_onesweep_iterationIS3_Lb0EPKS5_PS5_PS6_SC_mNS0_19identity_decomposerENS1_16block_id_wrapperIjLb1EEEEE10hipError_tT1_PNSt15iterator_traitsISH_E10value_typeET2_T3_PNSI_ISN_E10value_typeET4_T5_PSS_ST_PNS1_23onesweep_lookback_stateEbbT6_jjT7_P12ihipStream_tbENKUlT_T0_SH_SM_E_clISB_SB_SC_SC_EEDaS10_S11_SH_SM_EUlS10_E_NS1_11comp_targetILNS1_3genE3ELNS1_11target_archE908ELNS1_3gpuE7ELNS1_3repE0EEENS1_47radix_sort_onesweep_sort_config_static_selectorELNS0_4arch9wavefront6targetE0EEEvSH_
; %bb.0:
	.section	.rodata,"a",@progbits
	.p2align	6, 0x0
	.amdhsa_kernel _ZN7rocprim17ROCPRIM_400000_NS6detail17trampoline_kernelINS0_14default_configENS1_35radix_sort_onesweep_config_selectorI12hip_bfloat16NS0_10empty_typeEEEZZNS1_29radix_sort_onesweep_iterationIS3_Lb0EPKS5_PS5_PS6_SC_mNS0_19identity_decomposerENS1_16block_id_wrapperIjLb1EEEEE10hipError_tT1_PNSt15iterator_traitsISH_E10value_typeET2_T3_PNSI_ISN_E10value_typeET4_T5_PSS_ST_PNS1_23onesweep_lookback_stateEbbT6_jjT7_P12ihipStream_tbENKUlT_T0_SH_SM_E_clISB_SB_SC_SC_EEDaS10_S11_SH_SM_EUlS10_E_NS1_11comp_targetILNS1_3genE3ELNS1_11target_archE908ELNS1_3gpuE7ELNS1_3repE0EEENS1_47radix_sort_onesweep_sort_config_static_selectorELNS0_4arch9wavefront6targetE0EEEvSH_
		.amdhsa_group_segment_fixed_size 0
		.amdhsa_private_segment_fixed_size 0
		.amdhsa_kernarg_size 88
		.amdhsa_user_sgpr_count 2
		.amdhsa_user_sgpr_dispatch_ptr 0
		.amdhsa_user_sgpr_queue_ptr 0
		.amdhsa_user_sgpr_kernarg_segment_ptr 1
		.amdhsa_user_sgpr_dispatch_id 0
		.amdhsa_user_sgpr_kernarg_preload_length 0
		.amdhsa_user_sgpr_kernarg_preload_offset 0
		.amdhsa_user_sgpr_private_segment_size 0
		.amdhsa_wavefront_size32 1
		.amdhsa_uses_dynamic_stack 0
		.amdhsa_enable_private_segment 0
		.amdhsa_system_sgpr_workgroup_id_x 1
		.amdhsa_system_sgpr_workgroup_id_y 0
		.amdhsa_system_sgpr_workgroup_id_z 0
		.amdhsa_system_sgpr_workgroup_info 0
		.amdhsa_system_vgpr_workitem_id 0
		.amdhsa_next_free_vgpr 1
		.amdhsa_next_free_sgpr 1
		.amdhsa_named_barrier_count 0
		.amdhsa_reserve_vcc 0
		.amdhsa_float_round_mode_32 0
		.amdhsa_float_round_mode_16_64 0
		.amdhsa_float_denorm_mode_32 3
		.amdhsa_float_denorm_mode_16_64 3
		.amdhsa_fp16_overflow 0
		.amdhsa_memory_ordered 1
		.amdhsa_forward_progress 1
		.amdhsa_inst_pref_size 0
		.amdhsa_round_robin_scheduling 0
		.amdhsa_exception_fp_ieee_invalid_op 0
		.amdhsa_exception_fp_denorm_src 0
		.amdhsa_exception_fp_ieee_div_zero 0
		.amdhsa_exception_fp_ieee_overflow 0
		.amdhsa_exception_fp_ieee_underflow 0
		.amdhsa_exception_fp_ieee_inexact 0
		.amdhsa_exception_int_div_zero 0
	.end_amdhsa_kernel
	.section	.text._ZN7rocprim17ROCPRIM_400000_NS6detail17trampoline_kernelINS0_14default_configENS1_35radix_sort_onesweep_config_selectorI12hip_bfloat16NS0_10empty_typeEEEZZNS1_29radix_sort_onesweep_iterationIS3_Lb0EPKS5_PS5_PS6_SC_mNS0_19identity_decomposerENS1_16block_id_wrapperIjLb1EEEEE10hipError_tT1_PNSt15iterator_traitsISH_E10value_typeET2_T3_PNSI_ISN_E10value_typeET4_T5_PSS_ST_PNS1_23onesweep_lookback_stateEbbT6_jjT7_P12ihipStream_tbENKUlT_T0_SH_SM_E_clISB_SB_SC_SC_EEDaS10_S11_SH_SM_EUlS10_E_NS1_11comp_targetILNS1_3genE3ELNS1_11target_archE908ELNS1_3gpuE7ELNS1_3repE0EEENS1_47radix_sort_onesweep_sort_config_static_selectorELNS0_4arch9wavefront6targetE0EEEvSH_,"axG",@progbits,_ZN7rocprim17ROCPRIM_400000_NS6detail17trampoline_kernelINS0_14default_configENS1_35radix_sort_onesweep_config_selectorI12hip_bfloat16NS0_10empty_typeEEEZZNS1_29radix_sort_onesweep_iterationIS3_Lb0EPKS5_PS5_PS6_SC_mNS0_19identity_decomposerENS1_16block_id_wrapperIjLb1EEEEE10hipError_tT1_PNSt15iterator_traitsISH_E10value_typeET2_T3_PNSI_ISN_E10value_typeET4_T5_PSS_ST_PNS1_23onesweep_lookback_stateEbbT6_jjT7_P12ihipStream_tbENKUlT_T0_SH_SM_E_clISB_SB_SC_SC_EEDaS10_S11_SH_SM_EUlS10_E_NS1_11comp_targetILNS1_3genE3ELNS1_11target_archE908ELNS1_3gpuE7ELNS1_3repE0EEENS1_47radix_sort_onesweep_sort_config_static_selectorELNS0_4arch9wavefront6targetE0EEEvSH_,comdat
.Lfunc_end2065:
	.size	_ZN7rocprim17ROCPRIM_400000_NS6detail17trampoline_kernelINS0_14default_configENS1_35radix_sort_onesweep_config_selectorI12hip_bfloat16NS0_10empty_typeEEEZZNS1_29radix_sort_onesweep_iterationIS3_Lb0EPKS5_PS5_PS6_SC_mNS0_19identity_decomposerENS1_16block_id_wrapperIjLb1EEEEE10hipError_tT1_PNSt15iterator_traitsISH_E10value_typeET2_T3_PNSI_ISN_E10value_typeET4_T5_PSS_ST_PNS1_23onesweep_lookback_stateEbbT6_jjT7_P12ihipStream_tbENKUlT_T0_SH_SM_E_clISB_SB_SC_SC_EEDaS10_S11_SH_SM_EUlS10_E_NS1_11comp_targetILNS1_3genE3ELNS1_11target_archE908ELNS1_3gpuE7ELNS1_3repE0EEENS1_47radix_sort_onesweep_sort_config_static_selectorELNS0_4arch9wavefront6targetE0EEEvSH_, .Lfunc_end2065-_ZN7rocprim17ROCPRIM_400000_NS6detail17trampoline_kernelINS0_14default_configENS1_35radix_sort_onesweep_config_selectorI12hip_bfloat16NS0_10empty_typeEEEZZNS1_29radix_sort_onesweep_iterationIS3_Lb0EPKS5_PS5_PS6_SC_mNS0_19identity_decomposerENS1_16block_id_wrapperIjLb1EEEEE10hipError_tT1_PNSt15iterator_traitsISH_E10value_typeET2_T3_PNSI_ISN_E10value_typeET4_T5_PSS_ST_PNS1_23onesweep_lookback_stateEbbT6_jjT7_P12ihipStream_tbENKUlT_T0_SH_SM_E_clISB_SB_SC_SC_EEDaS10_S11_SH_SM_EUlS10_E_NS1_11comp_targetILNS1_3genE3ELNS1_11target_archE908ELNS1_3gpuE7ELNS1_3repE0EEENS1_47radix_sort_onesweep_sort_config_static_selectorELNS0_4arch9wavefront6targetE0EEEvSH_
                                        ; -- End function
	.set _ZN7rocprim17ROCPRIM_400000_NS6detail17trampoline_kernelINS0_14default_configENS1_35radix_sort_onesweep_config_selectorI12hip_bfloat16NS0_10empty_typeEEEZZNS1_29radix_sort_onesweep_iterationIS3_Lb0EPKS5_PS5_PS6_SC_mNS0_19identity_decomposerENS1_16block_id_wrapperIjLb1EEEEE10hipError_tT1_PNSt15iterator_traitsISH_E10value_typeET2_T3_PNSI_ISN_E10value_typeET4_T5_PSS_ST_PNS1_23onesweep_lookback_stateEbbT6_jjT7_P12ihipStream_tbENKUlT_T0_SH_SM_E_clISB_SB_SC_SC_EEDaS10_S11_SH_SM_EUlS10_E_NS1_11comp_targetILNS1_3genE3ELNS1_11target_archE908ELNS1_3gpuE7ELNS1_3repE0EEENS1_47radix_sort_onesweep_sort_config_static_selectorELNS0_4arch9wavefront6targetE0EEEvSH_.num_vgpr, 0
	.set _ZN7rocprim17ROCPRIM_400000_NS6detail17trampoline_kernelINS0_14default_configENS1_35radix_sort_onesweep_config_selectorI12hip_bfloat16NS0_10empty_typeEEEZZNS1_29radix_sort_onesweep_iterationIS3_Lb0EPKS5_PS5_PS6_SC_mNS0_19identity_decomposerENS1_16block_id_wrapperIjLb1EEEEE10hipError_tT1_PNSt15iterator_traitsISH_E10value_typeET2_T3_PNSI_ISN_E10value_typeET4_T5_PSS_ST_PNS1_23onesweep_lookback_stateEbbT6_jjT7_P12ihipStream_tbENKUlT_T0_SH_SM_E_clISB_SB_SC_SC_EEDaS10_S11_SH_SM_EUlS10_E_NS1_11comp_targetILNS1_3genE3ELNS1_11target_archE908ELNS1_3gpuE7ELNS1_3repE0EEENS1_47radix_sort_onesweep_sort_config_static_selectorELNS0_4arch9wavefront6targetE0EEEvSH_.num_agpr, 0
	.set _ZN7rocprim17ROCPRIM_400000_NS6detail17trampoline_kernelINS0_14default_configENS1_35radix_sort_onesweep_config_selectorI12hip_bfloat16NS0_10empty_typeEEEZZNS1_29radix_sort_onesweep_iterationIS3_Lb0EPKS5_PS5_PS6_SC_mNS0_19identity_decomposerENS1_16block_id_wrapperIjLb1EEEEE10hipError_tT1_PNSt15iterator_traitsISH_E10value_typeET2_T3_PNSI_ISN_E10value_typeET4_T5_PSS_ST_PNS1_23onesweep_lookback_stateEbbT6_jjT7_P12ihipStream_tbENKUlT_T0_SH_SM_E_clISB_SB_SC_SC_EEDaS10_S11_SH_SM_EUlS10_E_NS1_11comp_targetILNS1_3genE3ELNS1_11target_archE908ELNS1_3gpuE7ELNS1_3repE0EEENS1_47radix_sort_onesweep_sort_config_static_selectorELNS0_4arch9wavefront6targetE0EEEvSH_.numbered_sgpr, 0
	.set _ZN7rocprim17ROCPRIM_400000_NS6detail17trampoline_kernelINS0_14default_configENS1_35radix_sort_onesweep_config_selectorI12hip_bfloat16NS0_10empty_typeEEEZZNS1_29radix_sort_onesweep_iterationIS3_Lb0EPKS5_PS5_PS6_SC_mNS0_19identity_decomposerENS1_16block_id_wrapperIjLb1EEEEE10hipError_tT1_PNSt15iterator_traitsISH_E10value_typeET2_T3_PNSI_ISN_E10value_typeET4_T5_PSS_ST_PNS1_23onesweep_lookback_stateEbbT6_jjT7_P12ihipStream_tbENKUlT_T0_SH_SM_E_clISB_SB_SC_SC_EEDaS10_S11_SH_SM_EUlS10_E_NS1_11comp_targetILNS1_3genE3ELNS1_11target_archE908ELNS1_3gpuE7ELNS1_3repE0EEENS1_47radix_sort_onesweep_sort_config_static_selectorELNS0_4arch9wavefront6targetE0EEEvSH_.num_named_barrier, 0
	.set _ZN7rocprim17ROCPRIM_400000_NS6detail17trampoline_kernelINS0_14default_configENS1_35radix_sort_onesweep_config_selectorI12hip_bfloat16NS0_10empty_typeEEEZZNS1_29radix_sort_onesweep_iterationIS3_Lb0EPKS5_PS5_PS6_SC_mNS0_19identity_decomposerENS1_16block_id_wrapperIjLb1EEEEE10hipError_tT1_PNSt15iterator_traitsISH_E10value_typeET2_T3_PNSI_ISN_E10value_typeET4_T5_PSS_ST_PNS1_23onesweep_lookback_stateEbbT6_jjT7_P12ihipStream_tbENKUlT_T0_SH_SM_E_clISB_SB_SC_SC_EEDaS10_S11_SH_SM_EUlS10_E_NS1_11comp_targetILNS1_3genE3ELNS1_11target_archE908ELNS1_3gpuE7ELNS1_3repE0EEENS1_47radix_sort_onesweep_sort_config_static_selectorELNS0_4arch9wavefront6targetE0EEEvSH_.private_seg_size, 0
	.set _ZN7rocprim17ROCPRIM_400000_NS6detail17trampoline_kernelINS0_14default_configENS1_35radix_sort_onesweep_config_selectorI12hip_bfloat16NS0_10empty_typeEEEZZNS1_29radix_sort_onesweep_iterationIS3_Lb0EPKS5_PS5_PS6_SC_mNS0_19identity_decomposerENS1_16block_id_wrapperIjLb1EEEEE10hipError_tT1_PNSt15iterator_traitsISH_E10value_typeET2_T3_PNSI_ISN_E10value_typeET4_T5_PSS_ST_PNS1_23onesweep_lookback_stateEbbT6_jjT7_P12ihipStream_tbENKUlT_T0_SH_SM_E_clISB_SB_SC_SC_EEDaS10_S11_SH_SM_EUlS10_E_NS1_11comp_targetILNS1_3genE3ELNS1_11target_archE908ELNS1_3gpuE7ELNS1_3repE0EEENS1_47radix_sort_onesweep_sort_config_static_selectorELNS0_4arch9wavefront6targetE0EEEvSH_.uses_vcc, 0
	.set _ZN7rocprim17ROCPRIM_400000_NS6detail17trampoline_kernelINS0_14default_configENS1_35radix_sort_onesweep_config_selectorI12hip_bfloat16NS0_10empty_typeEEEZZNS1_29radix_sort_onesweep_iterationIS3_Lb0EPKS5_PS5_PS6_SC_mNS0_19identity_decomposerENS1_16block_id_wrapperIjLb1EEEEE10hipError_tT1_PNSt15iterator_traitsISH_E10value_typeET2_T3_PNSI_ISN_E10value_typeET4_T5_PSS_ST_PNS1_23onesweep_lookback_stateEbbT6_jjT7_P12ihipStream_tbENKUlT_T0_SH_SM_E_clISB_SB_SC_SC_EEDaS10_S11_SH_SM_EUlS10_E_NS1_11comp_targetILNS1_3genE3ELNS1_11target_archE908ELNS1_3gpuE7ELNS1_3repE0EEENS1_47radix_sort_onesweep_sort_config_static_selectorELNS0_4arch9wavefront6targetE0EEEvSH_.uses_flat_scratch, 0
	.set _ZN7rocprim17ROCPRIM_400000_NS6detail17trampoline_kernelINS0_14default_configENS1_35radix_sort_onesweep_config_selectorI12hip_bfloat16NS0_10empty_typeEEEZZNS1_29radix_sort_onesweep_iterationIS3_Lb0EPKS5_PS5_PS6_SC_mNS0_19identity_decomposerENS1_16block_id_wrapperIjLb1EEEEE10hipError_tT1_PNSt15iterator_traitsISH_E10value_typeET2_T3_PNSI_ISN_E10value_typeET4_T5_PSS_ST_PNS1_23onesweep_lookback_stateEbbT6_jjT7_P12ihipStream_tbENKUlT_T0_SH_SM_E_clISB_SB_SC_SC_EEDaS10_S11_SH_SM_EUlS10_E_NS1_11comp_targetILNS1_3genE3ELNS1_11target_archE908ELNS1_3gpuE7ELNS1_3repE0EEENS1_47radix_sort_onesweep_sort_config_static_selectorELNS0_4arch9wavefront6targetE0EEEvSH_.has_dyn_sized_stack, 0
	.set _ZN7rocprim17ROCPRIM_400000_NS6detail17trampoline_kernelINS0_14default_configENS1_35radix_sort_onesweep_config_selectorI12hip_bfloat16NS0_10empty_typeEEEZZNS1_29radix_sort_onesweep_iterationIS3_Lb0EPKS5_PS5_PS6_SC_mNS0_19identity_decomposerENS1_16block_id_wrapperIjLb1EEEEE10hipError_tT1_PNSt15iterator_traitsISH_E10value_typeET2_T3_PNSI_ISN_E10value_typeET4_T5_PSS_ST_PNS1_23onesweep_lookback_stateEbbT6_jjT7_P12ihipStream_tbENKUlT_T0_SH_SM_E_clISB_SB_SC_SC_EEDaS10_S11_SH_SM_EUlS10_E_NS1_11comp_targetILNS1_3genE3ELNS1_11target_archE908ELNS1_3gpuE7ELNS1_3repE0EEENS1_47radix_sort_onesweep_sort_config_static_selectorELNS0_4arch9wavefront6targetE0EEEvSH_.has_recursion, 0
	.set _ZN7rocprim17ROCPRIM_400000_NS6detail17trampoline_kernelINS0_14default_configENS1_35radix_sort_onesweep_config_selectorI12hip_bfloat16NS0_10empty_typeEEEZZNS1_29radix_sort_onesweep_iterationIS3_Lb0EPKS5_PS5_PS6_SC_mNS0_19identity_decomposerENS1_16block_id_wrapperIjLb1EEEEE10hipError_tT1_PNSt15iterator_traitsISH_E10value_typeET2_T3_PNSI_ISN_E10value_typeET4_T5_PSS_ST_PNS1_23onesweep_lookback_stateEbbT6_jjT7_P12ihipStream_tbENKUlT_T0_SH_SM_E_clISB_SB_SC_SC_EEDaS10_S11_SH_SM_EUlS10_E_NS1_11comp_targetILNS1_3genE3ELNS1_11target_archE908ELNS1_3gpuE7ELNS1_3repE0EEENS1_47radix_sort_onesweep_sort_config_static_selectorELNS0_4arch9wavefront6targetE0EEEvSH_.has_indirect_call, 0
	.section	.AMDGPU.csdata,"",@progbits
; Kernel info:
; codeLenInByte = 0
; TotalNumSgprs: 0
; NumVgprs: 0
; ScratchSize: 0
; MemoryBound: 0
; FloatMode: 240
; IeeeMode: 1
; LDSByteSize: 0 bytes/workgroup (compile time only)
; SGPRBlocks: 0
; VGPRBlocks: 0
; NumSGPRsForWavesPerEU: 1
; NumVGPRsForWavesPerEU: 1
; NamedBarCnt: 0
; Occupancy: 16
; WaveLimiterHint : 0
; COMPUTE_PGM_RSRC2:SCRATCH_EN: 0
; COMPUTE_PGM_RSRC2:USER_SGPR: 2
; COMPUTE_PGM_RSRC2:TRAP_HANDLER: 0
; COMPUTE_PGM_RSRC2:TGID_X_EN: 1
; COMPUTE_PGM_RSRC2:TGID_Y_EN: 0
; COMPUTE_PGM_RSRC2:TGID_Z_EN: 0
; COMPUTE_PGM_RSRC2:TIDIG_COMP_CNT: 0
	.section	.text._ZN7rocprim17ROCPRIM_400000_NS6detail17trampoline_kernelINS0_14default_configENS1_35radix_sort_onesweep_config_selectorI12hip_bfloat16NS0_10empty_typeEEEZZNS1_29radix_sort_onesweep_iterationIS3_Lb0EPKS5_PS5_PS6_SC_mNS0_19identity_decomposerENS1_16block_id_wrapperIjLb1EEEEE10hipError_tT1_PNSt15iterator_traitsISH_E10value_typeET2_T3_PNSI_ISN_E10value_typeET4_T5_PSS_ST_PNS1_23onesweep_lookback_stateEbbT6_jjT7_P12ihipStream_tbENKUlT_T0_SH_SM_E_clISB_SB_SC_SC_EEDaS10_S11_SH_SM_EUlS10_E_NS1_11comp_targetILNS1_3genE10ELNS1_11target_archE1201ELNS1_3gpuE5ELNS1_3repE0EEENS1_47radix_sort_onesweep_sort_config_static_selectorELNS0_4arch9wavefront6targetE0EEEvSH_,"axG",@progbits,_ZN7rocprim17ROCPRIM_400000_NS6detail17trampoline_kernelINS0_14default_configENS1_35radix_sort_onesweep_config_selectorI12hip_bfloat16NS0_10empty_typeEEEZZNS1_29radix_sort_onesweep_iterationIS3_Lb0EPKS5_PS5_PS6_SC_mNS0_19identity_decomposerENS1_16block_id_wrapperIjLb1EEEEE10hipError_tT1_PNSt15iterator_traitsISH_E10value_typeET2_T3_PNSI_ISN_E10value_typeET4_T5_PSS_ST_PNS1_23onesweep_lookback_stateEbbT6_jjT7_P12ihipStream_tbENKUlT_T0_SH_SM_E_clISB_SB_SC_SC_EEDaS10_S11_SH_SM_EUlS10_E_NS1_11comp_targetILNS1_3genE10ELNS1_11target_archE1201ELNS1_3gpuE5ELNS1_3repE0EEENS1_47radix_sort_onesweep_sort_config_static_selectorELNS0_4arch9wavefront6targetE0EEEvSH_,comdat
	.protected	_ZN7rocprim17ROCPRIM_400000_NS6detail17trampoline_kernelINS0_14default_configENS1_35radix_sort_onesweep_config_selectorI12hip_bfloat16NS0_10empty_typeEEEZZNS1_29radix_sort_onesweep_iterationIS3_Lb0EPKS5_PS5_PS6_SC_mNS0_19identity_decomposerENS1_16block_id_wrapperIjLb1EEEEE10hipError_tT1_PNSt15iterator_traitsISH_E10value_typeET2_T3_PNSI_ISN_E10value_typeET4_T5_PSS_ST_PNS1_23onesweep_lookback_stateEbbT6_jjT7_P12ihipStream_tbENKUlT_T0_SH_SM_E_clISB_SB_SC_SC_EEDaS10_S11_SH_SM_EUlS10_E_NS1_11comp_targetILNS1_3genE10ELNS1_11target_archE1201ELNS1_3gpuE5ELNS1_3repE0EEENS1_47radix_sort_onesweep_sort_config_static_selectorELNS0_4arch9wavefront6targetE0EEEvSH_ ; -- Begin function _ZN7rocprim17ROCPRIM_400000_NS6detail17trampoline_kernelINS0_14default_configENS1_35radix_sort_onesweep_config_selectorI12hip_bfloat16NS0_10empty_typeEEEZZNS1_29radix_sort_onesweep_iterationIS3_Lb0EPKS5_PS5_PS6_SC_mNS0_19identity_decomposerENS1_16block_id_wrapperIjLb1EEEEE10hipError_tT1_PNSt15iterator_traitsISH_E10value_typeET2_T3_PNSI_ISN_E10value_typeET4_T5_PSS_ST_PNS1_23onesweep_lookback_stateEbbT6_jjT7_P12ihipStream_tbENKUlT_T0_SH_SM_E_clISB_SB_SC_SC_EEDaS10_S11_SH_SM_EUlS10_E_NS1_11comp_targetILNS1_3genE10ELNS1_11target_archE1201ELNS1_3gpuE5ELNS1_3repE0EEENS1_47radix_sort_onesweep_sort_config_static_selectorELNS0_4arch9wavefront6targetE0EEEvSH_
	.globl	_ZN7rocprim17ROCPRIM_400000_NS6detail17trampoline_kernelINS0_14default_configENS1_35radix_sort_onesweep_config_selectorI12hip_bfloat16NS0_10empty_typeEEEZZNS1_29radix_sort_onesweep_iterationIS3_Lb0EPKS5_PS5_PS6_SC_mNS0_19identity_decomposerENS1_16block_id_wrapperIjLb1EEEEE10hipError_tT1_PNSt15iterator_traitsISH_E10value_typeET2_T3_PNSI_ISN_E10value_typeET4_T5_PSS_ST_PNS1_23onesweep_lookback_stateEbbT6_jjT7_P12ihipStream_tbENKUlT_T0_SH_SM_E_clISB_SB_SC_SC_EEDaS10_S11_SH_SM_EUlS10_E_NS1_11comp_targetILNS1_3genE10ELNS1_11target_archE1201ELNS1_3gpuE5ELNS1_3repE0EEENS1_47radix_sort_onesweep_sort_config_static_selectorELNS0_4arch9wavefront6targetE0EEEvSH_
	.p2align	8
	.type	_ZN7rocprim17ROCPRIM_400000_NS6detail17trampoline_kernelINS0_14default_configENS1_35radix_sort_onesweep_config_selectorI12hip_bfloat16NS0_10empty_typeEEEZZNS1_29radix_sort_onesweep_iterationIS3_Lb0EPKS5_PS5_PS6_SC_mNS0_19identity_decomposerENS1_16block_id_wrapperIjLb1EEEEE10hipError_tT1_PNSt15iterator_traitsISH_E10value_typeET2_T3_PNSI_ISN_E10value_typeET4_T5_PSS_ST_PNS1_23onesweep_lookback_stateEbbT6_jjT7_P12ihipStream_tbENKUlT_T0_SH_SM_E_clISB_SB_SC_SC_EEDaS10_S11_SH_SM_EUlS10_E_NS1_11comp_targetILNS1_3genE10ELNS1_11target_archE1201ELNS1_3gpuE5ELNS1_3repE0EEENS1_47radix_sort_onesweep_sort_config_static_selectorELNS0_4arch9wavefront6targetE0EEEvSH_,@function
_ZN7rocprim17ROCPRIM_400000_NS6detail17trampoline_kernelINS0_14default_configENS1_35radix_sort_onesweep_config_selectorI12hip_bfloat16NS0_10empty_typeEEEZZNS1_29radix_sort_onesweep_iterationIS3_Lb0EPKS5_PS5_PS6_SC_mNS0_19identity_decomposerENS1_16block_id_wrapperIjLb1EEEEE10hipError_tT1_PNSt15iterator_traitsISH_E10value_typeET2_T3_PNSI_ISN_E10value_typeET4_T5_PSS_ST_PNS1_23onesweep_lookback_stateEbbT6_jjT7_P12ihipStream_tbENKUlT_T0_SH_SM_E_clISB_SB_SC_SC_EEDaS10_S11_SH_SM_EUlS10_E_NS1_11comp_targetILNS1_3genE10ELNS1_11target_archE1201ELNS1_3gpuE5ELNS1_3repE0EEENS1_47radix_sort_onesweep_sort_config_static_selectorELNS0_4arch9wavefront6targetE0EEEvSH_: ; @_ZN7rocprim17ROCPRIM_400000_NS6detail17trampoline_kernelINS0_14default_configENS1_35radix_sort_onesweep_config_selectorI12hip_bfloat16NS0_10empty_typeEEEZZNS1_29radix_sort_onesweep_iterationIS3_Lb0EPKS5_PS5_PS6_SC_mNS0_19identity_decomposerENS1_16block_id_wrapperIjLb1EEEEE10hipError_tT1_PNSt15iterator_traitsISH_E10value_typeET2_T3_PNSI_ISN_E10value_typeET4_T5_PSS_ST_PNS1_23onesweep_lookback_stateEbbT6_jjT7_P12ihipStream_tbENKUlT_T0_SH_SM_E_clISB_SB_SC_SC_EEDaS10_S11_SH_SM_EUlS10_E_NS1_11comp_targetILNS1_3genE10ELNS1_11target_archE1201ELNS1_3gpuE5ELNS1_3repE0EEENS1_47radix_sort_onesweep_sort_config_static_selectorELNS0_4arch9wavefront6targetE0EEEvSH_
; %bb.0:
	.section	.rodata,"a",@progbits
	.p2align	6, 0x0
	.amdhsa_kernel _ZN7rocprim17ROCPRIM_400000_NS6detail17trampoline_kernelINS0_14default_configENS1_35radix_sort_onesweep_config_selectorI12hip_bfloat16NS0_10empty_typeEEEZZNS1_29radix_sort_onesweep_iterationIS3_Lb0EPKS5_PS5_PS6_SC_mNS0_19identity_decomposerENS1_16block_id_wrapperIjLb1EEEEE10hipError_tT1_PNSt15iterator_traitsISH_E10value_typeET2_T3_PNSI_ISN_E10value_typeET4_T5_PSS_ST_PNS1_23onesweep_lookback_stateEbbT6_jjT7_P12ihipStream_tbENKUlT_T0_SH_SM_E_clISB_SB_SC_SC_EEDaS10_S11_SH_SM_EUlS10_E_NS1_11comp_targetILNS1_3genE10ELNS1_11target_archE1201ELNS1_3gpuE5ELNS1_3repE0EEENS1_47radix_sort_onesweep_sort_config_static_selectorELNS0_4arch9wavefront6targetE0EEEvSH_
		.amdhsa_group_segment_fixed_size 0
		.amdhsa_private_segment_fixed_size 0
		.amdhsa_kernarg_size 88
		.amdhsa_user_sgpr_count 2
		.amdhsa_user_sgpr_dispatch_ptr 0
		.amdhsa_user_sgpr_queue_ptr 0
		.amdhsa_user_sgpr_kernarg_segment_ptr 1
		.amdhsa_user_sgpr_dispatch_id 0
		.amdhsa_user_sgpr_kernarg_preload_length 0
		.amdhsa_user_sgpr_kernarg_preload_offset 0
		.amdhsa_user_sgpr_private_segment_size 0
		.amdhsa_wavefront_size32 1
		.amdhsa_uses_dynamic_stack 0
		.amdhsa_enable_private_segment 0
		.amdhsa_system_sgpr_workgroup_id_x 1
		.amdhsa_system_sgpr_workgroup_id_y 0
		.amdhsa_system_sgpr_workgroup_id_z 0
		.amdhsa_system_sgpr_workgroup_info 0
		.amdhsa_system_vgpr_workitem_id 0
		.amdhsa_next_free_vgpr 1
		.amdhsa_next_free_sgpr 1
		.amdhsa_named_barrier_count 0
		.amdhsa_reserve_vcc 0
		.amdhsa_float_round_mode_32 0
		.amdhsa_float_round_mode_16_64 0
		.amdhsa_float_denorm_mode_32 3
		.amdhsa_float_denorm_mode_16_64 3
		.amdhsa_fp16_overflow 0
		.amdhsa_memory_ordered 1
		.amdhsa_forward_progress 1
		.amdhsa_inst_pref_size 0
		.amdhsa_round_robin_scheduling 0
		.amdhsa_exception_fp_ieee_invalid_op 0
		.amdhsa_exception_fp_denorm_src 0
		.amdhsa_exception_fp_ieee_div_zero 0
		.amdhsa_exception_fp_ieee_overflow 0
		.amdhsa_exception_fp_ieee_underflow 0
		.amdhsa_exception_fp_ieee_inexact 0
		.amdhsa_exception_int_div_zero 0
	.end_amdhsa_kernel
	.section	.text._ZN7rocprim17ROCPRIM_400000_NS6detail17trampoline_kernelINS0_14default_configENS1_35radix_sort_onesweep_config_selectorI12hip_bfloat16NS0_10empty_typeEEEZZNS1_29radix_sort_onesweep_iterationIS3_Lb0EPKS5_PS5_PS6_SC_mNS0_19identity_decomposerENS1_16block_id_wrapperIjLb1EEEEE10hipError_tT1_PNSt15iterator_traitsISH_E10value_typeET2_T3_PNSI_ISN_E10value_typeET4_T5_PSS_ST_PNS1_23onesweep_lookback_stateEbbT6_jjT7_P12ihipStream_tbENKUlT_T0_SH_SM_E_clISB_SB_SC_SC_EEDaS10_S11_SH_SM_EUlS10_E_NS1_11comp_targetILNS1_3genE10ELNS1_11target_archE1201ELNS1_3gpuE5ELNS1_3repE0EEENS1_47radix_sort_onesweep_sort_config_static_selectorELNS0_4arch9wavefront6targetE0EEEvSH_,"axG",@progbits,_ZN7rocprim17ROCPRIM_400000_NS6detail17trampoline_kernelINS0_14default_configENS1_35radix_sort_onesweep_config_selectorI12hip_bfloat16NS0_10empty_typeEEEZZNS1_29radix_sort_onesweep_iterationIS3_Lb0EPKS5_PS5_PS6_SC_mNS0_19identity_decomposerENS1_16block_id_wrapperIjLb1EEEEE10hipError_tT1_PNSt15iterator_traitsISH_E10value_typeET2_T3_PNSI_ISN_E10value_typeET4_T5_PSS_ST_PNS1_23onesweep_lookback_stateEbbT6_jjT7_P12ihipStream_tbENKUlT_T0_SH_SM_E_clISB_SB_SC_SC_EEDaS10_S11_SH_SM_EUlS10_E_NS1_11comp_targetILNS1_3genE10ELNS1_11target_archE1201ELNS1_3gpuE5ELNS1_3repE0EEENS1_47radix_sort_onesweep_sort_config_static_selectorELNS0_4arch9wavefront6targetE0EEEvSH_,comdat
.Lfunc_end2066:
	.size	_ZN7rocprim17ROCPRIM_400000_NS6detail17trampoline_kernelINS0_14default_configENS1_35radix_sort_onesweep_config_selectorI12hip_bfloat16NS0_10empty_typeEEEZZNS1_29radix_sort_onesweep_iterationIS3_Lb0EPKS5_PS5_PS6_SC_mNS0_19identity_decomposerENS1_16block_id_wrapperIjLb1EEEEE10hipError_tT1_PNSt15iterator_traitsISH_E10value_typeET2_T3_PNSI_ISN_E10value_typeET4_T5_PSS_ST_PNS1_23onesweep_lookback_stateEbbT6_jjT7_P12ihipStream_tbENKUlT_T0_SH_SM_E_clISB_SB_SC_SC_EEDaS10_S11_SH_SM_EUlS10_E_NS1_11comp_targetILNS1_3genE10ELNS1_11target_archE1201ELNS1_3gpuE5ELNS1_3repE0EEENS1_47radix_sort_onesweep_sort_config_static_selectorELNS0_4arch9wavefront6targetE0EEEvSH_, .Lfunc_end2066-_ZN7rocprim17ROCPRIM_400000_NS6detail17trampoline_kernelINS0_14default_configENS1_35radix_sort_onesweep_config_selectorI12hip_bfloat16NS0_10empty_typeEEEZZNS1_29radix_sort_onesweep_iterationIS3_Lb0EPKS5_PS5_PS6_SC_mNS0_19identity_decomposerENS1_16block_id_wrapperIjLb1EEEEE10hipError_tT1_PNSt15iterator_traitsISH_E10value_typeET2_T3_PNSI_ISN_E10value_typeET4_T5_PSS_ST_PNS1_23onesweep_lookback_stateEbbT6_jjT7_P12ihipStream_tbENKUlT_T0_SH_SM_E_clISB_SB_SC_SC_EEDaS10_S11_SH_SM_EUlS10_E_NS1_11comp_targetILNS1_3genE10ELNS1_11target_archE1201ELNS1_3gpuE5ELNS1_3repE0EEENS1_47radix_sort_onesweep_sort_config_static_selectorELNS0_4arch9wavefront6targetE0EEEvSH_
                                        ; -- End function
	.set _ZN7rocprim17ROCPRIM_400000_NS6detail17trampoline_kernelINS0_14default_configENS1_35radix_sort_onesweep_config_selectorI12hip_bfloat16NS0_10empty_typeEEEZZNS1_29radix_sort_onesweep_iterationIS3_Lb0EPKS5_PS5_PS6_SC_mNS0_19identity_decomposerENS1_16block_id_wrapperIjLb1EEEEE10hipError_tT1_PNSt15iterator_traitsISH_E10value_typeET2_T3_PNSI_ISN_E10value_typeET4_T5_PSS_ST_PNS1_23onesweep_lookback_stateEbbT6_jjT7_P12ihipStream_tbENKUlT_T0_SH_SM_E_clISB_SB_SC_SC_EEDaS10_S11_SH_SM_EUlS10_E_NS1_11comp_targetILNS1_3genE10ELNS1_11target_archE1201ELNS1_3gpuE5ELNS1_3repE0EEENS1_47radix_sort_onesweep_sort_config_static_selectorELNS0_4arch9wavefront6targetE0EEEvSH_.num_vgpr, 0
	.set _ZN7rocprim17ROCPRIM_400000_NS6detail17trampoline_kernelINS0_14default_configENS1_35radix_sort_onesweep_config_selectorI12hip_bfloat16NS0_10empty_typeEEEZZNS1_29radix_sort_onesweep_iterationIS3_Lb0EPKS5_PS5_PS6_SC_mNS0_19identity_decomposerENS1_16block_id_wrapperIjLb1EEEEE10hipError_tT1_PNSt15iterator_traitsISH_E10value_typeET2_T3_PNSI_ISN_E10value_typeET4_T5_PSS_ST_PNS1_23onesweep_lookback_stateEbbT6_jjT7_P12ihipStream_tbENKUlT_T0_SH_SM_E_clISB_SB_SC_SC_EEDaS10_S11_SH_SM_EUlS10_E_NS1_11comp_targetILNS1_3genE10ELNS1_11target_archE1201ELNS1_3gpuE5ELNS1_3repE0EEENS1_47radix_sort_onesweep_sort_config_static_selectorELNS0_4arch9wavefront6targetE0EEEvSH_.num_agpr, 0
	.set _ZN7rocprim17ROCPRIM_400000_NS6detail17trampoline_kernelINS0_14default_configENS1_35radix_sort_onesweep_config_selectorI12hip_bfloat16NS0_10empty_typeEEEZZNS1_29radix_sort_onesweep_iterationIS3_Lb0EPKS5_PS5_PS6_SC_mNS0_19identity_decomposerENS1_16block_id_wrapperIjLb1EEEEE10hipError_tT1_PNSt15iterator_traitsISH_E10value_typeET2_T3_PNSI_ISN_E10value_typeET4_T5_PSS_ST_PNS1_23onesweep_lookback_stateEbbT6_jjT7_P12ihipStream_tbENKUlT_T0_SH_SM_E_clISB_SB_SC_SC_EEDaS10_S11_SH_SM_EUlS10_E_NS1_11comp_targetILNS1_3genE10ELNS1_11target_archE1201ELNS1_3gpuE5ELNS1_3repE0EEENS1_47radix_sort_onesweep_sort_config_static_selectorELNS0_4arch9wavefront6targetE0EEEvSH_.numbered_sgpr, 0
	.set _ZN7rocprim17ROCPRIM_400000_NS6detail17trampoline_kernelINS0_14default_configENS1_35radix_sort_onesweep_config_selectorI12hip_bfloat16NS0_10empty_typeEEEZZNS1_29radix_sort_onesweep_iterationIS3_Lb0EPKS5_PS5_PS6_SC_mNS0_19identity_decomposerENS1_16block_id_wrapperIjLb1EEEEE10hipError_tT1_PNSt15iterator_traitsISH_E10value_typeET2_T3_PNSI_ISN_E10value_typeET4_T5_PSS_ST_PNS1_23onesweep_lookback_stateEbbT6_jjT7_P12ihipStream_tbENKUlT_T0_SH_SM_E_clISB_SB_SC_SC_EEDaS10_S11_SH_SM_EUlS10_E_NS1_11comp_targetILNS1_3genE10ELNS1_11target_archE1201ELNS1_3gpuE5ELNS1_3repE0EEENS1_47radix_sort_onesweep_sort_config_static_selectorELNS0_4arch9wavefront6targetE0EEEvSH_.num_named_barrier, 0
	.set _ZN7rocprim17ROCPRIM_400000_NS6detail17trampoline_kernelINS0_14default_configENS1_35radix_sort_onesweep_config_selectorI12hip_bfloat16NS0_10empty_typeEEEZZNS1_29radix_sort_onesweep_iterationIS3_Lb0EPKS5_PS5_PS6_SC_mNS0_19identity_decomposerENS1_16block_id_wrapperIjLb1EEEEE10hipError_tT1_PNSt15iterator_traitsISH_E10value_typeET2_T3_PNSI_ISN_E10value_typeET4_T5_PSS_ST_PNS1_23onesweep_lookback_stateEbbT6_jjT7_P12ihipStream_tbENKUlT_T0_SH_SM_E_clISB_SB_SC_SC_EEDaS10_S11_SH_SM_EUlS10_E_NS1_11comp_targetILNS1_3genE10ELNS1_11target_archE1201ELNS1_3gpuE5ELNS1_3repE0EEENS1_47radix_sort_onesweep_sort_config_static_selectorELNS0_4arch9wavefront6targetE0EEEvSH_.private_seg_size, 0
	.set _ZN7rocprim17ROCPRIM_400000_NS6detail17trampoline_kernelINS0_14default_configENS1_35radix_sort_onesweep_config_selectorI12hip_bfloat16NS0_10empty_typeEEEZZNS1_29radix_sort_onesweep_iterationIS3_Lb0EPKS5_PS5_PS6_SC_mNS0_19identity_decomposerENS1_16block_id_wrapperIjLb1EEEEE10hipError_tT1_PNSt15iterator_traitsISH_E10value_typeET2_T3_PNSI_ISN_E10value_typeET4_T5_PSS_ST_PNS1_23onesweep_lookback_stateEbbT6_jjT7_P12ihipStream_tbENKUlT_T0_SH_SM_E_clISB_SB_SC_SC_EEDaS10_S11_SH_SM_EUlS10_E_NS1_11comp_targetILNS1_3genE10ELNS1_11target_archE1201ELNS1_3gpuE5ELNS1_3repE0EEENS1_47radix_sort_onesweep_sort_config_static_selectorELNS0_4arch9wavefront6targetE0EEEvSH_.uses_vcc, 0
	.set _ZN7rocprim17ROCPRIM_400000_NS6detail17trampoline_kernelINS0_14default_configENS1_35radix_sort_onesweep_config_selectorI12hip_bfloat16NS0_10empty_typeEEEZZNS1_29radix_sort_onesweep_iterationIS3_Lb0EPKS5_PS5_PS6_SC_mNS0_19identity_decomposerENS1_16block_id_wrapperIjLb1EEEEE10hipError_tT1_PNSt15iterator_traitsISH_E10value_typeET2_T3_PNSI_ISN_E10value_typeET4_T5_PSS_ST_PNS1_23onesweep_lookback_stateEbbT6_jjT7_P12ihipStream_tbENKUlT_T0_SH_SM_E_clISB_SB_SC_SC_EEDaS10_S11_SH_SM_EUlS10_E_NS1_11comp_targetILNS1_3genE10ELNS1_11target_archE1201ELNS1_3gpuE5ELNS1_3repE0EEENS1_47radix_sort_onesweep_sort_config_static_selectorELNS0_4arch9wavefront6targetE0EEEvSH_.uses_flat_scratch, 0
	.set _ZN7rocprim17ROCPRIM_400000_NS6detail17trampoline_kernelINS0_14default_configENS1_35radix_sort_onesweep_config_selectorI12hip_bfloat16NS0_10empty_typeEEEZZNS1_29radix_sort_onesweep_iterationIS3_Lb0EPKS5_PS5_PS6_SC_mNS0_19identity_decomposerENS1_16block_id_wrapperIjLb1EEEEE10hipError_tT1_PNSt15iterator_traitsISH_E10value_typeET2_T3_PNSI_ISN_E10value_typeET4_T5_PSS_ST_PNS1_23onesweep_lookback_stateEbbT6_jjT7_P12ihipStream_tbENKUlT_T0_SH_SM_E_clISB_SB_SC_SC_EEDaS10_S11_SH_SM_EUlS10_E_NS1_11comp_targetILNS1_3genE10ELNS1_11target_archE1201ELNS1_3gpuE5ELNS1_3repE0EEENS1_47radix_sort_onesweep_sort_config_static_selectorELNS0_4arch9wavefront6targetE0EEEvSH_.has_dyn_sized_stack, 0
	.set _ZN7rocprim17ROCPRIM_400000_NS6detail17trampoline_kernelINS0_14default_configENS1_35radix_sort_onesweep_config_selectorI12hip_bfloat16NS0_10empty_typeEEEZZNS1_29radix_sort_onesweep_iterationIS3_Lb0EPKS5_PS5_PS6_SC_mNS0_19identity_decomposerENS1_16block_id_wrapperIjLb1EEEEE10hipError_tT1_PNSt15iterator_traitsISH_E10value_typeET2_T3_PNSI_ISN_E10value_typeET4_T5_PSS_ST_PNS1_23onesweep_lookback_stateEbbT6_jjT7_P12ihipStream_tbENKUlT_T0_SH_SM_E_clISB_SB_SC_SC_EEDaS10_S11_SH_SM_EUlS10_E_NS1_11comp_targetILNS1_3genE10ELNS1_11target_archE1201ELNS1_3gpuE5ELNS1_3repE0EEENS1_47radix_sort_onesweep_sort_config_static_selectorELNS0_4arch9wavefront6targetE0EEEvSH_.has_recursion, 0
	.set _ZN7rocprim17ROCPRIM_400000_NS6detail17trampoline_kernelINS0_14default_configENS1_35radix_sort_onesweep_config_selectorI12hip_bfloat16NS0_10empty_typeEEEZZNS1_29radix_sort_onesweep_iterationIS3_Lb0EPKS5_PS5_PS6_SC_mNS0_19identity_decomposerENS1_16block_id_wrapperIjLb1EEEEE10hipError_tT1_PNSt15iterator_traitsISH_E10value_typeET2_T3_PNSI_ISN_E10value_typeET4_T5_PSS_ST_PNS1_23onesweep_lookback_stateEbbT6_jjT7_P12ihipStream_tbENKUlT_T0_SH_SM_E_clISB_SB_SC_SC_EEDaS10_S11_SH_SM_EUlS10_E_NS1_11comp_targetILNS1_3genE10ELNS1_11target_archE1201ELNS1_3gpuE5ELNS1_3repE0EEENS1_47radix_sort_onesweep_sort_config_static_selectorELNS0_4arch9wavefront6targetE0EEEvSH_.has_indirect_call, 0
	.section	.AMDGPU.csdata,"",@progbits
; Kernel info:
; codeLenInByte = 0
; TotalNumSgprs: 0
; NumVgprs: 0
; ScratchSize: 0
; MemoryBound: 0
; FloatMode: 240
; IeeeMode: 1
; LDSByteSize: 0 bytes/workgroup (compile time only)
; SGPRBlocks: 0
; VGPRBlocks: 0
; NumSGPRsForWavesPerEU: 1
; NumVGPRsForWavesPerEU: 1
; NamedBarCnt: 0
; Occupancy: 16
; WaveLimiterHint : 0
; COMPUTE_PGM_RSRC2:SCRATCH_EN: 0
; COMPUTE_PGM_RSRC2:USER_SGPR: 2
; COMPUTE_PGM_RSRC2:TRAP_HANDLER: 0
; COMPUTE_PGM_RSRC2:TGID_X_EN: 1
; COMPUTE_PGM_RSRC2:TGID_Y_EN: 0
; COMPUTE_PGM_RSRC2:TGID_Z_EN: 0
; COMPUTE_PGM_RSRC2:TIDIG_COMP_CNT: 0
	.section	.text._ZN7rocprim17ROCPRIM_400000_NS6detail17trampoline_kernelINS0_14default_configENS1_35radix_sort_onesweep_config_selectorI12hip_bfloat16NS0_10empty_typeEEEZZNS1_29radix_sort_onesweep_iterationIS3_Lb0EPKS5_PS5_PS6_SC_mNS0_19identity_decomposerENS1_16block_id_wrapperIjLb1EEEEE10hipError_tT1_PNSt15iterator_traitsISH_E10value_typeET2_T3_PNSI_ISN_E10value_typeET4_T5_PSS_ST_PNS1_23onesweep_lookback_stateEbbT6_jjT7_P12ihipStream_tbENKUlT_T0_SH_SM_E_clISB_SB_SC_SC_EEDaS10_S11_SH_SM_EUlS10_E_NS1_11comp_targetILNS1_3genE9ELNS1_11target_archE1100ELNS1_3gpuE3ELNS1_3repE0EEENS1_47radix_sort_onesweep_sort_config_static_selectorELNS0_4arch9wavefront6targetE0EEEvSH_,"axG",@progbits,_ZN7rocprim17ROCPRIM_400000_NS6detail17trampoline_kernelINS0_14default_configENS1_35radix_sort_onesweep_config_selectorI12hip_bfloat16NS0_10empty_typeEEEZZNS1_29radix_sort_onesweep_iterationIS3_Lb0EPKS5_PS5_PS6_SC_mNS0_19identity_decomposerENS1_16block_id_wrapperIjLb1EEEEE10hipError_tT1_PNSt15iterator_traitsISH_E10value_typeET2_T3_PNSI_ISN_E10value_typeET4_T5_PSS_ST_PNS1_23onesweep_lookback_stateEbbT6_jjT7_P12ihipStream_tbENKUlT_T0_SH_SM_E_clISB_SB_SC_SC_EEDaS10_S11_SH_SM_EUlS10_E_NS1_11comp_targetILNS1_3genE9ELNS1_11target_archE1100ELNS1_3gpuE3ELNS1_3repE0EEENS1_47radix_sort_onesweep_sort_config_static_selectorELNS0_4arch9wavefront6targetE0EEEvSH_,comdat
	.protected	_ZN7rocprim17ROCPRIM_400000_NS6detail17trampoline_kernelINS0_14default_configENS1_35radix_sort_onesweep_config_selectorI12hip_bfloat16NS0_10empty_typeEEEZZNS1_29radix_sort_onesweep_iterationIS3_Lb0EPKS5_PS5_PS6_SC_mNS0_19identity_decomposerENS1_16block_id_wrapperIjLb1EEEEE10hipError_tT1_PNSt15iterator_traitsISH_E10value_typeET2_T3_PNSI_ISN_E10value_typeET4_T5_PSS_ST_PNS1_23onesweep_lookback_stateEbbT6_jjT7_P12ihipStream_tbENKUlT_T0_SH_SM_E_clISB_SB_SC_SC_EEDaS10_S11_SH_SM_EUlS10_E_NS1_11comp_targetILNS1_3genE9ELNS1_11target_archE1100ELNS1_3gpuE3ELNS1_3repE0EEENS1_47radix_sort_onesweep_sort_config_static_selectorELNS0_4arch9wavefront6targetE0EEEvSH_ ; -- Begin function _ZN7rocprim17ROCPRIM_400000_NS6detail17trampoline_kernelINS0_14default_configENS1_35radix_sort_onesweep_config_selectorI12hip_bfloat16NS0_10empty_typeEEEZZNS1_29radix_sort_onesweep_iterationIS3_Lb0EPKS5_PS5_PS6_SC_mNS0_19identity_decomposerENS1_16block_id_wrapperIjLb1EEEEE10hipError_tT1_PNSt15iterator_traitsISH_E10value_typeET2_T3_PNSI_ISN_E10value_typeET4_T5_PSS_ST_PNS1_23onesweep_lookback_stateEbbT6_jjT7_P12ihipStream_tbENKUlT_T0_SH_SM_E_clISB_SB_SC_SC_EEDaS10_S11_SH_SM_EUlS10_E_NS1_11comp_targetILNS1_3genE9ELNS1_11target_archE1100ELNS1_3gpuE3ELNS1_3repE0EEENS1_47radix_sort_onesweep_sort_config_static_selectorELNS0_4arch9wavefront6targetE0EEEvSH_
	.globl	_ZN7rocprim17ROCPRIM_400000_NS6detail17trampoline_kernelINS0_14default_configENS1_35radix_sort_onesweep_config_selectorI12hip_bfloat16NS0_10empty_typeEEEZZNS1_29radix_sort_onesweep_iterationIS3_Lb0EPKS5_PS5_PS6_SC_mNS0_19identity_decomposerENS1_16block_id_wrapperIjLb1EEEEE10hipError_tT1_PNSt15iterator_traitsISH_E10value_typeET2_T3_PNSI_ISN_E10value_typeET4_T5_PSS_ST_PNS1_23onesweep_lookback_stateEbbT6_jjT7_P12ihipStream_tbENKUlT_T0_SH_SM_E_clISB_SB_SC_SC_EEDaS10_S11_SH_SM_EUlS10_E_NS1_11comp_targetILNS1_3genE9ELNS1_11target_archE1100ELNS1_3gpuE3ELNS1_3repE0EEENS1_47radix_sort_onesweep_sort_config_static_selectorELNS0_4arch9wavefront6targetE0EEEvSH_
	.p2align	8
	.type	_ZN7rocprim17ROCPRIM_400000_NS6detail17trampoline_kernelINS0_14default_configENS1_35radix_sort_onesweep_config_selectorI12hip_bfloat16NS0_10empty_typeEEEZZNS1_29radix_sort_onesweep_iterationIS3_Lb0EPKS5_PS5_PS6_SC_mNS0_19identity_decomposerENS1_16block_id_wrapperIjLb1EEEEE10hipError_tT1_PNSt15iterator_traitsISH_E10value_typeET2_T3_PNSI_ISN_E10value_typeET4_T5_PSS_ST_PNS1_23onesweep_lookback_stateEbbT6_jjT7_P12ihipStream_tbENKUlT_T0_SH_SM_E_clISB_SB_SC_SC_EEDaS10_S11_SH_SM_EUlS10_E_NS1_11comp_targetILNS1_3genE9ELNS1_11target_archE1100ELNS1_3gpuE3ELNS1_3repE0EEENS1_47radix_sort_onesweep_sort_config_static_selectorELNS0_4arch9wavefront6targetE0EEEvSH_,@function
_ZN7rocprim17ROCPRIM_400000_NS6detail17trampoline_kernelINS0_14default_configENS1_35radix_sort_onesweep_config_selectorI12hip_bfloat16NS0_10empty_typeEEEZZNS1_29radix_sort_onesweep_iterationIS3_Lb0EPKS5_PS5_PS6_SC_mNS0_19identity_decomposerENS1_16block_id_wrapperIjLb1EEEEE10hipError_tT1_PNSt15iterator_traitsISH_E10value_typeET2_T3_PNSI_ISN_E10value_typeET4_T5_PSS_ST_PNS1_23onesweep_lookback_stateEbbT6_jjT7_P12ihipStream_tbENKUlT_T0_SH_SM_E_clISB_SB_SC_SC_EEDaS10_S11_SH_SM_EUlS10_E_NS1_11comp_targetILNS1_3genE9ELNS1_11target_archE1100ELNS1_3gpuE3ELNS1_3repE0EEENS1_47radix_sort_onesweep_sort_config_static_selectorELNS0_4arch9wavefront6targetE0EEEvSH_: ; @_ZN7rocprim17ROCPRIM_400000_NS6detail17trampoline_kernelINS0_14default_configENS1_35radix_sort_onesweep_config_selectorI12hip_bfloat16NS0_10empty_typeEEEZZNS1_29radix_sort_onesweep_iterationIS3_Lb0EPKS5_PS5_PS6_SC_mNS0_19identity_decomposerENS1_16block_id_wrapperIjLb1EEEEE10hipError_tT1_PNSt15iterator_traitsISH_E10value_typeET2_T3_PNSI_ISN_E10value_typeET4_T5_PSS_ST_PNS1_23onesweep_lookback_stateEbbT6_jjT7_P12ihipStream_tbENKUlT_T0_SH_SM_E_clISB_SB_SC_SC_EEDaS10_S11_SH_SM_EUlS10_E_NS1_11comp_targetILNS1_3genE9ELNS1_11target_archE1100ELNS1_3gpuE3ELNS1_3repE0EEENS1_47radix_sort_onesweep_sort_config_static_selectorELNS0_4arch9wavefront6targetE0EEEvSH_
; %bb.0:
	.section	.rodata,"a",@progbits
	.p2align	6, 0x0
	.amdhsa_kernel _ZN7rocprim17ROCPRIM_400000_NS6detail17trampoline_kernelINS0_14default_configENS1_35radix_sort_onesweep_config_selectorI12hip_bfloat16NS0_10empty_typeEEEZZNS1_29radix_sort_onesweep_iterationIS3_Lb0EPKS5_PS5_PS6_SC_mNS0_19identity_decomposerENS1_16block_id_wrapperIjLb1EEEEE10hipError_tT1_PNSt15iterator_traitsISH_E10value_typeET2_T3_PNSI_ISN_E10value_typeET4_T5_PSS_ST_PNS1_23onesweep_lookback_stateEbbT6_jjT7_P12ihipStream_tbENKUlT_T0_SH_SM_E_clISB_SB_SC_SC_EEDaS10_S11_SH_SM_EUlS10_E_NS1_11comp_targetILNS1_3genE9ELNS1_11target_archE1100ELNS1_3gpuE3ELNS1_3repE0EEENS1_47radix_sort_onesweep_sort_config_static_selectorELNS0_4arch9wavefront6targetE0EEEvSH_
		.amdhsa_group_segment_fixed_size 0
		.amdhsa_private_segment_fixed_size 0
		.amdhsa_kernarg_size 88
		.amdhsa_user_sgpr_count 2
		.amdhsa_user_sgpr_dispatch_ptr 0
		.amdhsa_user_sgpr_queue_ptr 0
		.amdhsa_user_sgpr_kernarg_segment_ptr 1
		.amdhsa_user_sgpr_dispatch_id 0
		.amdhsa_user_sgpr_kernarg_preload_length 0
		.amdhsa_user_sgpr_kernarg_preload_offset 0
		.amdhsa_user_sgpr_private_segment_size 0
		.amdhsa_wavefront_size32 1
		.amdhsa_uses_dynamic_stack 0
		.amdhsa_enable_private_segment 0
		.amdhsa_system_sgpr_workgroup_id_x 1
		.amdhsa_system_sgpr_workgroup_id_y 0
		.amdhsa_system_sgpr_workgroup_id_z 0
		.amdhsa_system_sgpr_workgroup_info 0
		.amdhsa_system_vgpr_workitem_id 0
		.amdhsa_next_free_vgpr 1
		.amdhsa_next_free_sgpr 1
		.amdhsa_named_barrier_count 0
		.amdhsa_reserve_vcc 0
		.amdhsa_float_round_mode_32 0
		.amdhsa_float_round_mode_16_64 0
		.amdhsa_float_denorm_mode_32 3
		.amdhsa_float_denorm_mode_16_64 3
		.amdhsa_fp16_overflow 0
		.amdhsa_memory_ordered 1
		.amdhsa_forward_progress 1
		.amdhsa_inst_pref_size 0
		.amdhsa_round_robin_scheduling 0
		.amdhsa_exception_fp_ieee_invalid_op 0
		.amdhsa_exception_fp_denorm_src 0
		.amdhsa_exception_fp_ieee_div_zero 0
		.amdhsa_exception_fp_ieee_overflow 0
		.amdhsa_exception_fp_ieee_underflow 0
		.amdhsa_exception_fp_ieee_inexact 0
		.amdhsa_exception_int_div_zero 0
	.end_amdhsa_kernel
	.section	.text._ZN7rocprim17ROCPRIM_400000_NS6detail17trampoline_kernelINS0_14default_configENS1_35radix_sort_onesweep_config_selectorI12hip_bfloat16NS0_10empty_typeEEEZZNS1_29radix_sort_onesweep_iterationIS3_Lb0EPKS5_PS5_PS6_SC_mNS0_19identity_decomposerENS1_16block_id_wrapperIjLb1EEEEE10hipError_tT1_PNSt15iterator_traitsISH_E10value_typeET2_T3_PNSI_ISN_E10value_typeET4_T5_PSS_ST_PNS1_23onesweep_lookback_stateEbbT6_jjT7_P12ihipStream_tbENKUlT_T0_SH_SM_E_clISB_SB_SC_SC_EEDaS10_S11_SH_SM_EUlS10_E_NS1_11comp_targetILNS1_3genE9ELNS1_11target_archE1100ELNS1_3gpuE3ELNS1_3repE0EEENS1_47radix_sort_onesweep_sort_config_static_selectorELNS0_4arch9wavefront6targetE0EEEvSH_,"axG",@progbits,_ZN7rocprim17ROCPRIM_400000_NS6detail17trampoline_kernelINS0_14default_configENS1_35radix_sort_onesweep_config_selectorI12hip_bfloat16NS0_10empty_typeEEEZZNS1_29radix_sort_onesweep_iterationIS3_Lb0EPKS5_PS5_PS6_SC_mNS0_19identity_decomposerENS1_16block_id_wrapperIjLb1EEEEE10hipError_tT1_PNSt15iterator_traitsISH_E10value_typeET2_T3_PNSI_ISN_E10value_typeET4_T5_PSS_ST_PNS1_23onesweep_lookback_stateEbbT6_jjT7_P12ihipStream_tbENKUlT_T0_SH_SM_E_clISB_SB_SC_SC_EEDaS10_S11_SH_SM_EUlS10_E_NS1_11comp_targetILNS1_3genE9ELNS1_11target_archE1100ELNS1_3gpuE3ELNS1_3repE0EEENS1_47radix_sort_onesweep_sort_config_static_selectorELNS0_4arch9wavefront6targetE0EEEvSH_,comdat
.Lfunc_end2067:
	.size	_ZN7rocprim17ROCPRIM_400000_NS6detail17trampoline_kernelINS0_14default_configENS1_35radix_sort_onesweep_config_selectorI12hip_bfloat16NS0_10empty_typeEEEZZNS1_29radix_sort_onesweep_iterationIS3_Lb0EPKS5_PS5_PS6_SC_mNS0_19identity_decomposerENS1_16block_id_wrapperIjLb1EEEEE10hipError_tT1_PNSt15iterator_traitsISH_E10value_typeET2_T3_PNSI_ISN_E10value_typeET4_T5_PSS_ST_PNS1_23onesweep_lookback_stateEbbT6_jjT7_P12ihipStream_tbENKUlT_T0_SH_SM_E_clISB_SB_SC_SC_EEDaS10_S11_SH_SM_EUlS10_E_NS1_11comp_targetILNS1_3genE9ELNS1_11target_archE1100ELNS1_3gpuE3ELNS1_3repE0EEENS1_47radix_sort_onesweep_sort_config_static_selectorELNS0_4arch9wavefront6targetE0EEEvSH_, .Lfunc_end2067-_ZN7rocprim17ROCPRIM_400000_NS6detail17trampoline_kernelINS0_14default_configENS1_35radix_sort_onesweep_config_selectorI12hip_bfloat16NS0_10empty_typeEEEZZNS1_29radix_sort_onesweep_iterationIS3_Lb0EPKS5_PS5_PS6_SC_mNS0_19identity_decomposerENS1_16block_id_wrapperIjLb1EEEEE10hipError_tT1_PNSt15iterator_traitsISH_E10value_typeET2_T3_PNSI_ISN_E10value_typeET4_T5_PSS_ST_PNS1_23onesweep_lookback_stateEbbT6_jjT7_P12ihipStream_tbENKUlT_T0_SH_SM_E_clISB_SB_SC_SC_EEDaS10_S11_SH_SM_EUlS10_E_NS1_11comp_targetILNS1_3genE9ELNS1_11target_archE1100ELNS1_3gpuE3ELNS1_3repE0EEENS1_47radix_sort_onesweep_sort_config_static_selectorELNS0_4arch9wavefront6targetE0EEEvSH_
                                        ; -- End function
	.set _ZN7rocprim17ROCPRIM_400000_NS6detail17trampoline_kernelINS0_14default_configENS1_35radix_sort_onesweep_config_selectorI12hip_bfloat16NS0_10empty_typeEEEZZNS1_29radix_sort_onesweep_iterationIS3_Lb0EPKS5_PS5_PS6_SC_mNS0_19identity_decomposerENS1_16block_id_wrapperIjLb1EEEEE10hipError_tT1_PNSt15iterator_traitsISH_E10value_typeET2_T3_PNSI_ISN_E10value_typeET4_T5_PSS_ST_PNS1_23onesweep_lookback_stateEbbT6_jjT7_P12ihipStream_tbENKUlT_T0_SH_SM_E_clISB_SB_SC_SC_EEDaS10_S11_SH_SM_EUlS10_E_NS1_11comp_targetILNS1_3genE9ELNS1_11target_archE1100ELNS1_3gpuE3ELNS1_3repE0EEENS1_47radix_sort_onesweep_sort_config_static_selectorELNS0_4arch9wavefront6targetE0EEEvSH_.num_vgpr, 0
	.set _ZN7rocprim17ROCPRIM_400000_NS6detail17trampoline_kernelINS0_14default_configENS1_35radix_sort_onesweep_config_selectorI12hip_bfloat16NS0_10empty_typeEEEZZNS1_29radix_sort_onesweep_iterationIS3_Lb0EPKS5_PS5_PS6_SC_mNS0_19identity_decomposerENS1_16block_id_wrapperIjLb1EEEEE10hipError_tT1_PNSt15iterator_traitsISH_E10value_typeET2_T3_PNSI_ISN_E10value_typeET4_T5_PSS_ST_PNS1_23onesweep_lookback_stateEbbT6_jjT7_P12ihipStream_tbENKUlT_T0_SH_SM_E_clISB_SB_SC_SC_EEDaS10_S11_SH_SM_EUlS10_E_NS1_11comp_targetILNS1_3genE9ELNS1_11target_archE1100ELNS1_3gpuE3ELNS1_3repE0EEENS1_47radix_sort_onesweep_sort_config_static_selectorELNS0_4arch9wavefront6targetE0EEEvSH_.num_agpr, 0
	.set _ZN7rocprim17ROCPRIM_400000_NS6detail17trampoline_kernelINS0_14default_configENS1_35radix_sort_onesweep_config_selectorI12hip_bfloat16NS0_10empty_typeEEEZZNS1_29radix_sort_onesweep_iterationIS3_Lb0EPKS5_PS5_PS6_SC_mNS0_19identity_decomposerENS1_16block_id_wrapperIjLb1EEEEE10hipError_tT1_PNSt15iterator_traitsISH_E10value_typeET2_T3_PNSI_ISN_E10value_typeET4_T5_PSS_ST_PNS1_23onesweep_lookback_stateEbbT6_jjT7_P12ihipStream_tbENKUlT_T0_SH_SM_E_clISB_SB_SC_SC_EEDaS10_S11_SH_SM_EUlS10_E_NS1_11comp_targetILNS1_3genE9ELNS1_11target_archE1100ELNS1_3gpuE3ELNS1_3repE0EEENS1_47radix_sort_onesweep_sort_config_static_selectorELNS0_4arch9wavefront6targetE0EEEvSH_.numbered_sgpr, 0
	.set _ZN7rocprim17ROCPRIM_400000_NS6detail17trampoline_kernelINS0_14default_configENS1_35radix_sort_onesweep_config_selectorI12hip_bfloat16NS0_10empty_typeEEEZZNS1_29radix_sort_onesweep_iterationIS3_Lb0EPKS5_PS5_PS6_SC_mNS0_19identity_decomposerENS1_16block_id_wrapperIjLb1EEEEE10hipError_tT1_PNSt15iterator_traitsISH_E10value_typeET2_T3_PNSI_ISN_E10value_typeET4_T5_PSS_ST_PNS1_23onesweep_lookback_stateEbbT6_jjT7_P12ihipStream_tbENKUlT_T0_SH_SM_E_clISB_SB_SC_SC_EEDaS10_S11_SH_SM_EUlS10_E_NS1_11comp_targetILNS1_3genE9ELNS1_11target_archE1100ELNS1_3gpuE3ELNS1_3repE0EEENS1_47radix_sort_onesweep_sort_config_static_selectorELNS0_4arch9wavefront6targetE0EEEvSH_.num_named_barrier, 0
	.set _ZN7rocprim17ROCPRIM_400000_NS6detail17trampoline_kernelINS0_14default_configENS1_35radix_sort_onesweep_config_selectorI12hip_bfloat16NS0_10empty_typeEEEZZNS1_29radix_sort_onesweep_iterationIS3_Lb0EPKS5_PS5_PS6_SC_mNS0_19identity_decomposerENS1_16block_id_wrapperIjLb1EEEEE10hipError_tT1_PNSt15iterator_traitsISH_E10value_typeET2_T3_PNSI_ISN_E10value_typeET4_T5_PSS_ST_PNS1_23onesweep_lookback_stateEbbT6_jjT7_P12ihipStream_tbENKUlT_T0_SH_SM_E_clISB_SB_SC_SC_EEDaS10_S11_SH_SM_EUlS10_E_NS1_11comp_targetILNS1_3genE9ELNS1_11target_archE1100ELNS1_3gpuE3ELNS1_3repE0EEENS1_47radix_sort_onesweep_sort_config_static_selectorELNS0_4arch9wavefront6targetE0EEEvSH_.private_seg_size, 0
	.set _ZN7rocprim17ROCPRIM_400000_NS6detail17trampoline_kernelINS0_14default_configENS1_35radix_sort_onesweep_config_selectorI12hip_bfloat16NS0_10empty_typeEEEZZNS1_29radix_sort_onesweep_iterationIS3_Lb0EPKS5_PS5_PS6_SC_mNS0_19identity_decomposerENS1_16block_id_wrapperIjLb1EEEEE10hipError_tT1_PNSt15iterator_traitsISH_E10value_typeET2_T3_PNSI_ISN_E10value_typeET4_T5_PSS_ST_PNS1_23onesweep_lookback_stateEbbT6_jjT7_P12ihipStream_tbENKUlT_T0_SH_SM_E_clISB_SB_SC_SC_EEDaS10_S11_SH_SM_EUlS10_E_NS1_11comp_targetILNS1_3genE9ELNS1_11target_archE1100ELNS1_3gpuE3ELNS1_3repE0EEENS1_47radix_sort_onesweep_sort_config_static_selectorELNS0_4arch9wavefront6targetE0EEEvSH_.uses_vcc, 0
	.set _ZN7rocprim17ROCPRIM_400000_NS6detail17trampoline_kernelINS0_14default_configENS1_35radix_sort_onesweep_config_selectorI12hip_bfloat16NS0_10empty_typeEEEZZNS1_29radix_sort_onesweep_iterationIS3_Lb0EPKS5_PS5_PS6_SC_mNS0_19identity_decomposerENS1_16block_id_wrapperIjLb1EEEEE10hipError_tT1_PNSt15iterator_traitsISH_E10value_typeET2_T3_PNSI_ISN_E10value_typeET4_T5_PSS_ST_PNS1_23onesweep_lookback_stateEbbT6_jjT7_P12ihipStream_tbENKUlT_T0_SH_SM_E_clISB_SB_SC_SC_EEDaS10_S11_SH_SM_EUlS10_E_NS1_11comp_targetILNS1_3genE9ELNS1_11target_archE1100ELNS1_3gpuE3ELNS1_3repE0EEENS1_47radix_sort_onesweep_sort_config_static_selectorELNS0_4arch9wavefront6targetE0EEEvSH_.uses_flat_scratch, 0
	.set _ZN7rocprim17ROCPRIM_400000_NS6detail17trampoline_kernelINS0_14default_configENS1_35radix_sort_onesweep_config_selectorI12hip_bfloat16NS0_10empty_typeEEEZZNS1_29radix_sort_onesweep_iterationIS3_Lb0EPKS5_PS5_PS6_SC_mNS0_19identity_decomposerENS1_16block_id_wrapperIjLb1EEEEE10hipError_tT1_PNSt15iterator_traitsISH_E10value_typeET2_T3_PNSI_ISN_E10value_typeET4_T5_PSS_ST_PNS1_23onesweep_lookback_stateEbbT6_jjT7_P12ihipStream_tbENKUlT_T0_SH_SM_E_clISB_SB_SC_SC_EEDaS10_S11_SH_SM_EUlS10_E_NS1_11comp_targetILNS1_3genE9ELNS1_11target_archE1100ELNS1_3gpuE3ELNS1_3repE0EEENS1_47radix_sort_onesweep_sort_config_static_selectorELNS0_4arch9wavefront6targetE0EEEvSH_.has_dyn_sized_stack, 0
	.set _ZN7rocprim17ROCPRIM_400000_NS6detail17trampoline_kernelINS0_14default_configENS1_35radix_sort_onesweep_config_selectorI12hip_bfloat16NS0_10empty_typeEEEZZNS1_29radix_sort_onesweep_iterationIS3_Lb0EPKS5_PS5_PS6_SC_mNS0_19identity_decomposerENS1_16block_id_wrapperIjLb1EEEEE10hipError_tT1_PNSt15iterator_traitsISH_E10value_typeET2_T3_PNSI_ISN_E10value_typeET4_T5_PSS_ST_PNS1_23onesweep_lookback_stateEbbT6_jjT7_P12ihipStream_tbENKUlT_T0_SH_SM_E_clISB_SB_SC_SC_EEDaS10_S11_SH_SM_EUlS10_E_NS1_11comp_targetILNS1_3genE9ELNS1_11target_archE1100ELNS1_3gpuE3ELNS1_3repE0EEENS1_47radix_sort_onesweep_sort_config_static_selectorELNS0_4arch9wavefront6targetE0EEEvSH_.has_recursion, 0
	.set _ZN7rocprim17ROCPRIM_400000_NS6detail17trampoline_kernelINS0_14default_configENS1_35radix_sort_onesweep_config_selectorI12hip_bfloat16NS0_10empty_typeEEEZZNS1_29radix_sort_onesweep_iterationIS3_Lb0EPKS5_PS5_PS6_SC_mNS0_19identity_decomposerENS1_16block_id_wrapperIjLb1EEEEE10hipError_tT1_PNSt15iterator_traitsISH_E10value_typeET2_T3_PNSI_ISN_E10value_typeET4_T5_PSS_ST_PNS1_23onesweep_lookback_stateEbbT6_jjT7_P12ihipStream_tbENKUlT_T0_SH_SM_E_clISB_SB_SC_SC_EEDaS10_S11_SH_SM_EUlS10_E_NS1_11comp_targetILNS1_3genE9ELNS1_11target_archE1100ELNS1_3gpuE3ELNS1_3repE0EEENS1_47radix_sort_onesweep_sort_config_static_selectorELNS0_4arch9wavefront6targetE0EEEvSH_.has_indirect_call, 0
	.section	.AMDGPU.csdata,"",@progbits
; Kernel info:
; codeLenInByte = 0
; TotalNumSgprs: 0
; NumVgprs: 0
; ScratchSize: 0
; MemoryBound: 0
; FloatMode: 240
; IeeeMode: 1
; LDSByteSize: 0 bytes/workgroup (compile time only)
; SGPRBlocks: 0
; VGPRBlocks: 0
; NumSGPRsForWavesPerEU: 1
; NumVGPRsForWavesPerEU: 1
; NamedBarCnt: 0
; Occupancy: 16
; WaveLimiterHint : 0
; COMPUTE_PGM_RSRC2:SCRATCH_EN: 0
; COMPUTE_PGM_RSRC2:USER_SGPR: 2
; COMPUTE_PGM_RSRC2:TRAP_HANDLER: 0
; COMPUTE_PGM_RSRC2:TGID_X_EN: 1
; COMPUTE_PGM_RSRC2:TGID_Y_EN: 0
; COMPUTE_PGM_RSRC2:TGID_Z_EN: 0
; COMPUTE_PGM_RSRC2:TIDIG_COMP_CNT: 0
	.section	.text._ZN7rocprim17ROCPRIM_400000_NS6detail17trampoline_kernelINS0_14default_configENS1_35radix_sort_onesweep_config_selectorI12hip_bfloat16NS0_10empty_typeEEEZZNS1_29radix_sort_onesweep_iterationIS3_Lb0EPKS5_PS5_PS6_SC_mNS0_19identity_decomposerENS1_16block_id_wrapperIjLb1EEEEE10hipError_tT1_PNSt15iterator_traitsISH_E10value_typeET2_T3_PNSI_ISN_E10value_typeET4_T5_PSS_ST_PNS1_23onesweep_lookback_stateEbbT6_jjT7_P12ihipStream_tbENKUlT_T0_SH_SM_E_clISB_SB_SC_SC_EEDaS10_S11_SH_SM_EUlS10_E_NS1_11comp_targetILNS1_3genE8ELNS1_11target_archE1030ELNS1_3gpuE2ELNS1_3repE0EEENS1_47radix_sort_onesweep_sort_config_static_selectorELNS0_4arch9wavefront6targetE0EEEvSH_,"axG",@progbits,_ZN7rocprim17ROCPRIM_400000_NS6detail17trampoline_kernelINS0_14default_configENS1_35radix_sort_onesweep_config_selectorI12hip_bfloat16NS0_10empty_typeEEEZZNS1_29radix_sort_onesweep_iterationIS3_Lb0EPKS5_PS5_PS6_SC_mNS0_19identity_decomposerENS1_16block_id_wrapperIjLb1EEEEE10hipError_tT1_PNSt15iterator_traitsISH_E10value_typeET2_T3_PNSI_ISN_E10value_typeET4_T5_PSS_ST_PNS1_23onesweep_lookback_stateEbbT6_jjT7_P12ihipStream_tbENKUlT_T0_SH_SM_E_clISB_SB_SC_SC_EEDaS10_S11_SH_SM_EUlS10_E_NS1_11comp_targetILNS1_3genE8ELNS1_11target_archE1030ELNS1_3gpuE2ELNS1_3repE0EEENS1_47radix_sort_onesweep_sort_config_static_selectorELNS0_4arch9wavefront6targetE0EEEvSH_,comdat
	.protected	_ZN7rocprim17ROCPRIM_400000_NS6detail17trampoline_kernelINS0_14default_configENS1_35radix_sort_onesweep_config_selectorI12hip_bfloat16NS0_10empty_typeEEEZZNS1_29radix_sort_onesweep_iterationIS3_Lb0EPKS5_PS5_PS6_SC_mNS0_19identity_decomposerENS1_16block_id_wrapperIjLb1EEEEE10hipError_tT1_PNSt15iterator_traitsISH_E10value_typeET2_T3_PNSI_ISN_E10value_typeET4_T5_PSS_ST_PNS1_23onesweep_lookback_stateEbbT6_jjT7_P12ihipStream_tbENKUlT_T0_SH_SM_E_clISB_SB_SC_SC_EEDaS10_S11_SH_SM_EUlS10_E_NS1_11comp_targetILNS1_3genE8ELNS1_11target_archE1030ELNS1_3gpuE2ELNS1_3repE0EEENS1_47radix_sort_onesweep_sort_config_static_selectorELNS0_4arch9wavefront6targetE0EEEvSH_ ; -- Begin function _ZN7rocprim17ROCPRIM_400000_NS6detail17trampoline_kernelINS0_14default_configENS1_35radix_sort_onesweep_config_selectorI12hip_bfloat16NS0_10empty_typeEEEZZNS1_29radix_sort_onesweep_iterationIS3_Lb0EPKS5_PS5_PS6_SC_mNS0_19identity_decomposerENS1_16block_id_wrapperIjLb1EEEEE10hipError_tT1_PNSt15iterator_traitsISH_E10value_typeET2_T3_PNSI_ISN_E10value_typeET4_T5_PSS_ST_PNS1_23onesweep_lookback_stateEbbT6_jjT7_P12ihipStream_tbENKUlT_T0_SH_SM_E_clISB_SB_SC_SC_EEDaS10_S11_SH_SM_EUlS10_E_NS1_11comp_targetILNS1_3genE8ELNS1_11target_archE1030ELNS1_3gpuE2ELNS1_3repE0EEENS1_47radix_sort_onesweep_sort_config_static_selectorELNS0_4arch9wavefront6targetE0EEEvSH_
	.globl	_ZN7rocprim17ROCPRIM_400000_NS6detail17trampoline_kernelINS0_14default_configENS1_35radix_sort_onesweep_config_selectorI12hip_bfloat16NS0_10empty_typeEEEZZNS1_29radix_sort_onesweep_iterationIS3_Lb0EPKS5_PS5_PS6_SC_mNS0_19identity_decomposerENS1_16block_id_wrapperIjLb1EEEEE10hipError_tT1_PNSt15iterator_traitsISH_E10value_typeET2_T3_PNSI_ISN_E10value_typeET4_T5_PSS_ST_PNS1_23onesweep_lookback_stateEbbT6_jjT7_P12ihipStream_tbENKUlT_T0_SH_SM_E_clISB_SB_SC_SC_EEDaS10_S11_SH_SM_EUlS10_E_NS1_11comp_targetILNS1_3genE8ELNS1_11target_archE1030ELNS1_3gpuE2ELNS1_3repE0EEENS1_47radix_sort_onesweep_sort_config_static_selectorELNS0_4arch9wavefront6targetE0EEEvSH_
	.p2align	8
	.type	_ZN7rocprim17ROCPRIM_400000_NS6detail17trampoline_kernelINS0_14default_configENS1_35radix_sort_onesweep_config_selectorI12hip_bfloat16NS0_10empty_typeEEEZZNS1_29radix_sort_onesweep_iterationIS3_Lb0EPKS5_PS5_PS6_SC_mNS0_19identity_decomposerENS1_16block_id_wrapperIjLb1EEEEE10hipError_tT1_PNSt15iterator_traitsISH_E10value_typeET2_T3_PNSI_ISN_E10value_typeET4_T5_PSS_ST_PNS1_23onesweep_lookback_stateEbbT6_jjT7_P12ihipStream_tbENKUlT_T0_SH_SM_E_clISB_SB_SC_SC_EEDaS10_S11_SH_SM_EUlS10_E_NS1_11comp_targetILNS1_3genE8ELNS1_11target_archE1030ELNS1_3gpuE2ELNS1_3repE0EEENS1_47radix_sort_onesweep_sort_config_static_selectorELNS0_4arch9wavefront6targetE0EEEvSH_,@function
_ZN7rocprim17ROCPRIM_400000_NS6detail17trampoline_kernelINS0_14default_configENS1_35radix_sort_onesweep_config_selectorI12hip_bfloat16NS0_10empty_typeEEEZZNS1_29radix_sort_onesweep_iterationIS3_Lb0EPKS5_PS5_PS6_SC_mNS0_19identity_decomposerENS1_16block_id_wrapperIjLb1EEEEE10hipError_tT1_PNSt15iterator_traitsISH_E10value_typeET2_T3_PNSI_ISN_E10value_typeET4_T5_PSS_ST_PNS1_23onesweep_lookback_stateEbbT6_jjT7_P12ihipStream_tbENKUlT_T0_SH_SM_E_clISB_SB_SC_SC_EEDaS10_S11_SH_SM_EUlS10_E_NS1_11comp_targetILNS1_3genE8ELNS1_11target_archE1030ELNS1_3gpuE2ELNS1_3repE0EEENS1_47radix_sort_onesweep_sort_config_static_selectorELNS0_4arch9wavefront6targetE0EEEvSH_: ; @_ZN7rocprim17ROCPRIM_400000_NS6detail17trampoline_kernelINS0_14default_configENS1_35radix_sort_onesweep_config_selectorI12hip_bfloat16NS0_10empty_typeEEEZZNS1_29radix_sort_onesweep_iterationIS3_Lb0EPKS5_PS5_PS6_SC_mNS0_19identity_decomposerENS1_16block_id_wrapperIjLb1EEEEE10hipError_tT1_PNSt15iterator_traitsISH_E10value_typeET2_T3_PNSI_ISN_E10value_typeET4_T5_PSS_ST_PNS1_23onesweep_lookback_stateEbbT6_jjT7_P12ihipStream_tbENKUlT_T0_SH_SM_E_clISB_SB_SC_SC_EEDaS10_S11_SH_SM_EUlS10_E_NS1_11comp_targetILNS1_3genE8ELNS1_11target_archE1030ELNS1_3gpuE2ELNS1_3repE0EEENS1_47radix_sort_onesweep_sort_config_static_selectorELNS0_4arch9wavefront6targetE0EEEvSH_
; %bb.0:
	.section	.rodata,"a",@progbits
	.p2align	6, 0x0
	.amdhsa_kernel _ZN7rocprim17ROCPRIM_400000_NS6detail17trampoline_kernelINS0_14default_configENS1_35radix_sort_onesweep_config_selectorI12hip_bfloat16NS0_10empty_typeEEEZZNS1_29radix_sort_onesweep_iterationIS3_Lb0EPKS5_PS5_PS6_SC_mNS0_19identity_decomposerENS1_16block_id_wrapperIjLb1EEEEE10hipError_tT1_PNSt15iterator_traitsISH_E10value_typeET2_T3_PNSI_ISN_E10value_typeET4_T5_PSS_ST_PNS1_23onesweep_lookback_stateEbbT6_jjT7_P12ihipStream_tbENKUlT_T0_SH_SM_E_clISB_SB_SC_SC_EEDaS10_S11_SH_SM_EUlS10_E_NS1_11comp_targetILNS1_3genE8ELNS1_11target_archE1030ELNS1_3gpuE2ELNS1_3repE0EEENS1_47radix_sort_onesweep_sort_config_static_selectorELNS0_4arch9wavefront6targetE0EEEvSH_
		.amdhsa_group_segment_fixed_size 0
		.amdhsa_private_segment_fixed_size 0
		.amdhsa_kernarg_size 88
		.amdhsa_user_sgpr_count 2
		.amdhsa_user_sgpr_dispatch_ptr 0
		.amdhsa_user_sgpr_queue_ptr 0
		.amdhsa_user_sgpr_kernarg_segment_ptr 1
		.amdhsa_user_sgpr_dispatch_id 0
		.amdhsa_user_sgpr_kernarg_preload_length 0
		.amdhsa_user_sgpr_kernarg_preload_offset 0
		.amdhsa_user_sgpr_private_segment_size 0
		.amdhsa_wavefront_size32 1
		.amdhsa_uses_dynamic_stack 0
		.amdhsa_enable_private_segment 0
		.amdhsa_system_sgpr_workgroup_id_x 1
		.amdhsa_system_sgpr_workgroup_id_y 0
		.amdhsa_system_sgpr_workgroup_id_z 0
		.amdhsa_system_sgpr_workgroup_info 0
		.amdhsa_system_vgpr_workitem_id 0
		.amdhsa_next_free_vgpr 1
		.amdhsa_next_free_sgpr 1
		.amdhsa_named_barrier_count 0
		.amdhsa_reserve_vcc 0
		.amdhsa_float_round_mode_32 0
		.amdhsa_float_round_mode_16_64 0
		.amdhsa_float_denorm_mode_32 3
		.amdhsa_float_denorm_mode_16_64 3
		.amdhsa_fp16_overflow 0
		.amdhsa_memory_ordered 1
		.amdhsa_forward_progress 1
		.amdhsa_inst_pref_size 0
		.amdhsa_round_robin_scheduling 0
		.amdhsa_exception_fp_ieee_invalid_op 0
		.amdhsa_exception_fp_denorm_src 0
		.amdhsa_exception_fp_ieee_div_zero 0
		.amdhsa_exception_fp_ieee_overflow 0
		.amdhsa_exception_fp_ieee_underflow 0
		.amdhsa_exception_fp_ieee_inexact 0
		.amdhsa_exception_int_div_zero 0
	.end_amdhsa_kernel
	.section	.text._ZN7rocprim17ROCPRIM_400000_NS6detail17trampoline_kernelINS0_14default_configENS1_35radix_sort_onesweep_config_selectorI12hip_bfloat16NS0_10empty_typeEEEZZNS1_29radix_sort_onesweep_iterationIS3_Lb0EPKS5_PS5_PS6_SC_mNS0_19identity_decomposerENS1_16block_id_wrapperIjLb1EEEEE10hipError_tT1_PNSt15iterator_traitsISH_E10value_typeET2_T3_PNSI_ISN_E10value_typeET4_T5_PSS_ST_PNS1_23onesweep_lookback_stateEbbT6_jjT7_P12ihipStream_tbENKUlT_T0_SH_SM_E_clISB_SB_SC_SC_EEDaS10_S11_SH_SM_EUlS10_E_NS1_11comp_targetILNS1_3genE8ELNS1_11target_archE1030ELNS1_3gpuE2ELNS1_3repE0EEENS1_47radix_sort_onesweep_sort_config_static_selectorELNS0_4arch9wavefront6targetE0EEEvSH_,"axG",@progbits,_ZN7rocprim17ROCPRIM_400000_NS6detail17trampoline_kernelINS0_14default_configENS1_35radix_sort_onesweep_config_selectorI12hip_bfloat16NS0_10empty_typeEEEZZNS1_29radix_sort_onesweep_iterationIS3_Lb0EPKS5_PS5_PS6_SC_mNS0_19identity_decomposerENS1_16block_id_wrapperIjLb1EEEEE10hipError_tT1_PNSt15iterator_traitsISH_E10value_typeET2_T3_PNSI_ISN_E10value_typeET4_T5_PSS_ST_PNS1_23onesweep_lookback_stateEbbT6_jjT7_P12ihipStream_tbENKUlT_T0_SH_SM_E_clISB_SB_SC_SC_EEDaS10_S11_SH_SM_EUlS10_E_NS1_11comp_targetILNS1_3genE8ELNS1_11target_archE1030ELNS1_3gpuE2ELNS1_3repE0EEENS1_47radix_sort_onesweep_sort_config_static_selectorELNS0_4arch9wavefront6targetE0EEEvSH_,comdat
.Lfunc_end2068:
	.size	_ZN7rocprim17ROCPRIM_400000_NS6detail17trampoline_kernelINS0_14default_configENS1_35radix_sort_onesweep_config_selectorI12hip_bfloat16NS0_10empty_typeEEEZZNS1_29radix_sort_onesweep_iterationIS3_Lb0EPKS5_PS5_PS6_SC_mNS0_19identity_decomposerENS1_16block_id_wrapperIjLb1EEEEE10hipError_tT1_PNSt15iterator_traitsISH_E10value_typeET2_T3_PNSI_ISN_E10value_typeET4_T5_PSS_ST_PNS1_23onesweep_lookback_stateEbbT6_jjT7_P12ihipStream_tbENKUlT_T0_SH_SM_E_clISB_SB_SC_SC_EEDaS10_S11_SH_SM_EUlS10_E_NS1_11comp_targetILNS1_3genE8ELNS1_11target_archE1030ELNS1_3gpuE2ELNS1_3repE0EEENS1_47radix_sort_onesweep_sort_config_static_selectorELNS0_4arch9wavefront6targetE0EEEvSH_, .Lfunc_end2068-_ZN7rocprim17ROCPRIM_400000_NS6detail17trampoline_kernelINS0_14default_configENS1_35radix_sort_onesweep_config_selectorI12hip_bfloat16NS0_10empty_typeEEEZZNS1_29radix_sort_onesweep_iterationIS3_Lb0EPKS5_PS5_PS6_SC_mNS0_19identity_decomposerENS1_16block_id_wrapperIjLb1EEEEE10hipError_tT1_PNSt15iterator_traitsISH_E10value_typeET2_T3_PNSI_ISN_E10value_typeET4_T5_PSS_ST_PNS1_23onesweep_lookback_stateEbbT6_jjT7_P12ihipStream_tbENKUlT_T0_SH_SM_E_clISB_SB_SC_SC_EEDaS10_S11_SH_SM_EUlS10_E_NS1_11comp_targetILNS1_3genE8ELNS1_11target_archE1030ELNS1_3gpuE2ELNS1_3repE0EEENS1_47radix_sort_onesweep_sort_config_static_selectorELNS0_4arch9wavefront6targetE0EEEvSH_
                                        ; -- End function
	.set _ZN7rocprim17ROCPRIM_400000_NS6detail17trampoline_kernelINS0_14default_configENS1_35radix_sort_onesweep_config_selectorI12hip_bfloat16NS0_10empty_typeEEEZZNS1_29radix_sort_onesweep_iterationIS3_Lb0EPKS5_PS5_PS6_SC_mNS0_19identity_decomposerENS1_16block_id_wrapperIjLb1EEEEE10hipError_tT1_PNSt15iterator_traitsISH_E10value_typeET2_T3_PNSI_ISN_E10value_typeET4_T5_PSS_ST_PNS1_23onesweep_lookback_stateEbbT6_jjT7_P12ihipStream_tbENKUlT_T0_SH_SM_E_clISB_SB_SC_SC_EEDaS10_S11_SH_SM_EUlS10_E_NS1_11comp_targetILNS1_3genE8ELNS1_11target_archE1030ELNS1_3gpuE2ELNS1_3repE0EEENS1_47radix_sort_onesweep_sort_config_static_selectorELNS0_4arch9wavefront6targetE0EEEvSH_.num_vgpr, 0
	.set _ZN7rocprim17ROCPRIM_400000_NS6detail17trampoline_kernelINS0_14default_configENS1_35radix_sort_onesweep_config_selectorI12hip_bfloat16NS0_10empty_typeEEEZZNS1_29radix_sort_onesweep_iterationIS3_Lb0EPKS5_PS5_PS6_SC_mNS0_19identity_decomposerENS1_16block_id_wrapperIjLb1EEEEE10hipError_tT1_PNSt15iterator_traitsISH_E10value_typeET2_T3_PNSI_ISN_E10value_typeET4_T5_PSS_ST_PNS1_23onesweep_lookback_stateEbbT6_jjT7_P12ihipStream_tbENKUlT_T0_SH_SM_E_clISB_SB_SC_SC_EEDaS10_S11_SH_SM_EUlS10_E_NS1_11comp_targetILNS1_3genE8ELNS1_11target_archE1030ELNS1_3gpuE2ELNS1_3repE0EEENS1_47radix_sort_onesweep_sort_config_static_selectorELNS0_4arch9wavefront6targetE0EEEvSH_.num_agpr, 0
	.set _ZN7rocprim17ROCPRIM_400000_NS6detail17trampoline_kernelINS0_14default_configENS1_35radix_sort_onesweep_config_selectorI12hip_bfloat16NS0_10empty_typeEEEZZNS1_29radix_sort_onesweep_iterationIS3_Lb0EPKS5_PS5_PS6_SC_mNS0_19identity_decomposerENS1_16block_id_wrapperIjLb1EEEEE10hipError_tT1_PNSt15iterator_traitsISH_E10value_typeET2_T3_PNSI_ISN_E10value_typeET4_T5_PSS_ST_PNS1_23onesweep_lookback_stateEbbT6_jjT7_P12ihipStream_tbENKUlT_T0_SH_SM_E_clISB_SB_SC_SC_EEDaS10_S11_SH_SM_EUlS10_E_NS1_11comp_targetILNS1_3genE8ELNS1_11target_archE1030ELNS1_3gpuE2ELNS1_3repE0EEENS1_47radix_sort_onesweep_sort_config_static_selectorELNS0_4arch9wavefront6targetE0EEEvSH_.numbered_sgpr, 0
	.set _ZN7rocprim17ROCPRIM_400000_NS6detail17trampoline_kernelINS0_14default_configENS1_35radix_sort_onesweep_config_selectorI12hip_bfloat16NS0_10empty_typeEEEZZNS1_29radix_sort_onesweep_iterationIS3_Lb0EPKS5_PS5_PS6_SC_mNS0_19identity_decomposerENS1_16block_id_wrapperIjLb1EEEEE10hipError_tT1_PNSt15iterator_traitsISH_E10value_typeET2_T3_PNSI_ISN_E10value_typeET4_T5_PSS_ST_PNS1_23onesweep_lookback_stateEbbT6_jjT7_P12ihipStream_tbENKUlT_T0_SH_SM_E_clISB_SB_SC_SC_EEDaS10_S11_SH_SM_EUlS10_E_NS1_11comp_targetILNS1_3genE8ELNS1_11target_archE1030ELNS1_3gpuE2ELNS1_3repE0EEENS1_47radix_sort_onesweep_sort_config_static_selectorELNS0_4arch9wavefront6targetE0EEEvSH_.num_named_barrier, 0
	.set _ZN7rocprim17ROCPRIM_400000_NS6detail17trampoline_kernelINS0_14default_configENS1_35radix_sort_onesweep_config_selectorI12hip_bfloat16NS0_10empty_typeEEEZZNS1_29radix_sort_onesweep_iterationIS3_Lb0EPKS5_PS5_PS6_SC_mNS0_19identity_decomposerENS1_16block_id_wrapperIjLb1EEEEE10hipError_tT1_PNSt15iterator_traitsISH_E10value_typeET2_T3_PNSI_ISN_E10value_typeET4_T5_PSS_ST_PNS1_23onesweep_lookback_stateEbbT6_jjT7_P12ihipStream_tbENKUlT_T0_SH_SM_E_clISB_SB_SC_SC_EEDaS10_S11_SH_SM_EUlS10_E_NS1_11comp_targetILNS1_3genE8ELNS1_11target_archE1030ELNS1_3gpuE2ELNS1_3repE0EEENS1_47radix_sort_onesweep_sort_config_static_selectorELNS0_4arch9wavefront6targetE0EEEvSH_.private_seg_size, 0
	.set _ZN7rocprim17ROCPRIM_400000_NS6detail17trampoline_kernelINS0_14default_configENS1_35radix_sort_onesweep_config_selectorI12hip_bfloat16NS0_10empty_typeEEEZZNS1_29radix_sort_onesweep_iterationIS3_Lb0EPKS5_PS5_PS6_SC_mNS0_19identity_decomposerENS1_16block_id_wrapperIjLb1EEEEE10hipError_tT1_PNSt15iterator_traitsISH_E10value_typeET2_T3_PNSI_ISN_E10value_typeET4_T5_PSS_ST_PNS1_23onesweep_lookback_stateEbbT6_jjT7_P12ihipStream_tbENKUlT_T0_SH_SM_E_clISB_SB_SC_SC_EEDaS10_S11_SH_SM_EUlS10_E_NS1_11comp_targetILNS1_3genE8ELNS1_11target_archE1030ELNS1_3gpuE2ELNS1_3repE0EEENS1_47radix_sort_onesweep_sort_config_static_selectorELNS0_4arch9wavefront6targetE0EEEvSH_.uses_vcc, 0
	.set _ZN7rocprim17ROCPRIM_400000_NS6detail17trampoline_kernelINS0_14default_configENS1_35radix_sort_onesweep_config_selectorI12hip_bfloat16NS0_10empty_typeEEEZZNS1_29radix_sort_onesweep_iterationIS3_Lb0EPKS5_PS5_PS6_SC_mNS0_19identity_decomposerENS1_16block_id_wrapperIjLb1EEEEE10hipError_tT1_PNSt15iterator_traitsISH_E10value_typeET2_T3_PNSI_ISN_E10value_typeET4_T5_PSS_ST_PNS1_23onesweep_lookback_stateEbbT6_jjT7_P12ihipStream_tbENKUlT_T0_SH_SM_E_clISB_SB_SC_SC_EEDaS10_S11_SH_SM_EUlS10_E_NS1_11comp_targetILNS1_3genE8ELNS1_11target_archE1030ELNS1_3gpuE2ELNS1_3repE0EEENS1_47radix_sort_onesweep_sort_config_static_selectorELNS0_4arch9wavefront6targetE0EEEvSH_.uses_flat_scratch, 0
	.set _ZN7rocprim17ROCPRIM_400000_NS6detail17trampoline_kernelINS0_14default_configENS1_35radix_sort_onesweep_config_selectorI12hip_bfloat16NS0_10empty_typeEEEZZNS1_29radix_sort_onesweep_iterationIS3_Lb0EPKS5_PS5_PS6_SC_mNS0_19identity_decomposerENS1_16block_id_wrapperIjLb1EEEEE10hipError_tT1_PNSt15iterator_traitsISH_E10value_typeET2_T3_PNSI_ISN_E10value_typeET4_T5_PSS_ST_PNS1_23onesweep_lookback_stateEbbT6_jjT7_P12ihipStream_tbENKUlT_T0_SH_SM_E_clISB_SB_SC_SC_EEDaS10_S11_SH_SM_EUlS10_E_NS1_11comp_targetILNS1_3genE8ELNS1_11target_archE1030ELNS1_3gpuE2ELNS1_3repE0EEENS1_47radix_sort_onesweep_sort_config_static_selectorELNS0_4arch9wavefront6targetE0EEEvSH_.has_dyn_sized_stack, 0
	.set _ZN7rocprim17ROCPRIM_400000_NS6detail17trampoline_kernelINS0_14default_configENS1_35radix_sort_onesweep_config_selectorI12hip_bfloat16NS0_10empty_typeEEEZZNS1_29radix_sort_onesweep_iterationIS3_Lb0EPKS5_PS5_PS6_SC_mNS0_19identity_decomposerENS1_16block_id_wrapperIjLb1EEEEE10hipError_tT1_PNSt15iterator_traitsISH_E10value_typeET2_T3_PNSI_ISN_E10value_typeET4_T5_PSS_ST_PNS1_23onesweep_lookback_stateEbbT6_jjT7_P12ihipStream_tbENKUlT_T0_SH_SM_E_clISB_SB_SC_SC_EEDaS10_S11_SH_SM_EUlS10_E_NS1_11comp_targetILNS1_3genE8ELNS1_11target_archE1030ELNS1_3gpuE2ELNS1_3repE0EEENS1_47radix_sort_onesweep_sort_config_static_selectorELNS0_4arch9wavefront6targetE0EEEvSH_.has_recursion, 0
	.set _ZN7rocprim17ROCPRIM_400000_NS6detail17trampoline_kernelINS0_14default_configENS1_35radix_sort_onesweep_config_selectorI12hip_bfloat16NS0_10empty_typeEEEZZNS1_29radix_sort_onesweep_iterationIS3_Lb0EPKS5_PS5_PS6_SC_mNS0_19identity_decomposerENS1_16block_id_wrapperIjLb1EEEEE10hipError_tT1_PNSt15iterator_traitsISH_E10value_typeET2_T3_PNSI_ISN_E10value_typeET4_T5_PSS_ST_PNS1_23onesweep_lookback_stateEbbT6_jjT7_P12ihipStream_tbENKUlT_T0_SH_SM_E_clISB_SB_SC_SC_EEDaS10_S11_SH_SM_EUlS10_E_NS1_11comp_targetILNS1_3genE8ELNS1_11target_archE1030ELNS1_3gpuE2ELNS1_3repE0EEENS1_47radix_sort_onesweep_sort_config_static_selectorELNS0_4arch9wavefront6targetE0EEEvSH_.has_indirect_call, 0
	.section	.AMDGPU.csdata,"",@progbits
; Kernel info:
; codeLenInByte = 0
; TotalNumSgprs: 0
; NumVgprs: 0
; ScratchSize: 0
; MemoryBound: 0
; FloatMode: 240
; IeeeMode: 1
; LDSByteSize: 0 bytes/workgroup (compile time only)
; SGPRBlocks: 0
; VGPRBlocks: 0
; NumSGPRsForWavesPerEU: 1
; NumVGPRsForWavesPerEU: 1
; NamedBarCnt: 0
; Occupancy: 16
; WaveLimiterHint : 0
; COMPUTE_PGM_RSRC2:SCRATCH_EN: 0
; COMPUTE_PGM_RSRC2:USER_SGPR: 2
; COMPUTE_PGM_RSRC2:TRAP_HANDLER: 0
; COMPUTE_PGM_RSRC2:TGID_X_EN: 1
; COMPUTE_PGM_RSRC2:TGID_Y_EN: 0
; COMPUTE_PGM_RSRC2:TGID_Z_EN: 0
; COMPUTE_PGM_RSRC2:TIDIG_COMP_CNT: 0
	.section	.text._ZN7rocprim17ROCPRIM_400000_NS6detail17trampoline_kernelINS0_14default_configENS1_35radix_sort_onesweep_config_selectorI12hip_bfloat16NS0_10empty_typeEEEZZNS1_29radix_sort_onesweep_iterationIS3_Lb0EPKS5_PS5_PS6_SC_mNS0_19identity_decomposerENS1_16block_id_wrapperIjLb0EEEEE10hipError_tT1_PNSt15iterator_traitsISH_E10value_typeET2_T3_PNSI_ISN_E10value_typeET4_T5_PSS_ST_PNS1_23onesweep_lookback_stateEbbT6_jjT7_P12ihipStream_tbENKUlT_T0_SH_SM_E_clISA_SB_SC_SC_EEDaS10_S11_SH_SM_EUlS10_E_NS1_11comp_targetILNS1_3genE0ELNS1_11target_archE4294967295ELNS1_3gpuE0ELNS1_3repE0EEENS1_47radix_sort_onesweep_sort_config_static_selectorELNS0_4arch9wavefront6targetE0EEEvSH_,"axG",@progbits,_ZN7rocprim17ROCPRIM_400000_NS6detail17trampoline_kernelINS0_14default_configENS1_35radix_sort_onesweep_config_selectorI12hip_bfloat16NS0_10empty_typeEEEZZNS1_29radix_sort_onesweep_iterationIS3_Lb0EPKS5_PS5_PS6_SC_mNS0_19identity_decomposerENS1_16block_id_wrapperIjLb0EEEEE10hipError_tT1_PNSt15iterator_traitsISH_E10value_typeET2_T3_PNSI_ISN_E10value_typeET4_T5_PSS_ST_PNS1_23onesweep_lookback_stateEbbT6_jjT7_P12ihipStream_tbENKUlT_T0_SH_SM_E_clISA_SB_SC_SC_EEDaS10_S11_SH_SM_EUlS10_E_NS1_11comp_targetILNS1_3genE0ELNS1_11target_archE4294967295ELNS1_3gpuE0ELNS1_3repE0EEENS1_47radix_sort_onesweep_sort_config_static_selectorELNS0_4arch9wavefront6targetE0EEEvSH_,comdat
	.protected	_ZN7rocprim17ROCPRIM_400000_NS6detail17trampoline_kernelINS0_14default_configENS1_35radix_sort_onesweep_config_selectorI12hip_bfloat16NS0_10empty_typeEEEZZNS1_29radix_sort_onesweep_iterationIS3_Lb0EPKS5_PS5_PS6_SC_mNS0_19identity_decomposerENS1_16block_id_wrapperIjLb0EEEEE10hipError_tT1_PNSt15iterator_traitsISH_E10value_typeET2_T3_PNSI_ISN_E10value_typeET4_T5_PSS_ST_PNS1_23onesweep_lookback_stateEbbT6_jjT7_P12ihipStream_tbENKUlT_T0_SH_SM_E_clISA_SB_SC_SC_EEDaS10_S11_SH_SM_EUlS10_E_NS1_11comp_targetILNS1_3genE0ELNS1_11target_archE4294967295ELNS1_3gpuE0ELNS1_3repE0EEENS1_47radix_sort_onesweep_sort_config_static_selectorELNS0_4arch9wavefront6targetE0EEEvSH_ ; -- Begin function _ZN7rocprim17ROCPRIM_400000_NS6detail17trampoline_kernelINS0_14default_configENS1_35radix_sort_onesweep_config_selectorI12hip_bfloat16NS0_10empty_typeEEEZZNS1_29radix_sort_onesweep_iterationIS3_Lb0EPKS5_PS5_PS6_SC_mNS0_19identity_decomposerENS1_16block_id_wrapperIjLb0EEEEE10hipError_tT1_PNSt15iterator_traitsISH_E10value_typeET2_T3_PNSI_ISN_E10value_typeET4_T5_PSS_ST_PNS1_23onesweep_lookback_stateEbbT6_jjT7_P12ihipStream_tbENKUlT_T0_SH_SM_E_clISA_SB_SC_SC_EEDaS10_S11_SH_SM_EUlS10_E_NS1_11comp_targetILNS1_3genE0ELNS1_11target_archE4294967295ELNS1_3gpuE0ELNS1_3repE0EEENS1_47radix_sort_onesweep_sort_config_static_selectorELNS0_4arch9wavefront6targetE0EEEvSH_
	.globl	_ZN7rocprim17ROCPRIM_400000_NS6detail17trampoline_kernelINS0_14default_configENS1_35radix_sort_onesweep_config_selectorI12hip_bfloat16NS0_10empty_typeEEEZZNS1_29radix_sort_onesweep_iterationIS3_Lb0EPKS5_PS5_PS6_SC_mNS0_19identity_decomposerENS1_16block_id_wrapperIjLb0EEEEE10hipError_tT1_PNSt15iterator_traitsISH_E10value_typeET2_T3_PNSI_ISN_E10value_typeET4_T5_PSS_ST_PNS1_23onesweep_lookback_stateEbbT6_jjT7_P12ihipStream_tbENKUlT_T0_SH_SM_E_clISA_SB_SC_SC_EEDaS10_S11_SH_SM_EUlS10_E_NS1_11comp_targetILNS1_3genE0ELNS1_11target_archE4294967295ELNS1_3gpuE0ELNS1_3repE0EEENS1_47radix_sort_onesweep_sort_config_static_selectorELNS0_4arch9wavefront6targetE0EEEvSH_
	.p2align	8
	.type	_ZN7rocprim17ROCPRIM_400000_NS6detail17trampoline_kernelINS0_14default_configENS1_35radix_sort_onesweep_config_selectorI12hip_bfloat16NS0_10empty_typeEEEZZNS1_29radix_sort_onesweep_iterationIS3_Lb0EPKS5_PS5_PS6_SC_mNS0_19identity_decomposerENS1_16block_id_wrapperIjLb0EEEEE10hipError_tT1_PNSt15iterator_traitsISH_E10value_typeET2_T3_PNSI_ISN_E10value_typeET4_T5_PSS_ST_PNS1_23onesweep_lookback_stateEbbT6_jjT7_P12ihipStream_tbENKUlT_T0_SH_SM_E_clISA_SB_SC_SC_EEDaS10_S11_SH_SM_EUlS10_E_NS1_11comp_targetILNS1_3genE0ELNS1_11target_archE4294967295ELNS1_3gpuE0ELNS1_3repE0EEENS1_47radix_sort_onesweep_sort_config_static_selectorELNS0_4arch9wavefront6targetE0EEEvSH_,@function
_ZN7rocprim17ROCPRIM_400000_NS6detail17trampoline_kernelINS0_14default_configENS1_35radix_sort_onesweep_config_selectorI12hip_bfloat16NS0_10empty_typeEEEZZNS1_29radix_sort_onesweep_iterationIS3_Lb0EPKS5_PS5_PS6_SC_mNS0_19identity_decomposerENS1_16block_id_wrapperIjLb0EEEEE10hipError_tT1_PNSt15iterator_traitsISH_E10value_typeET2_T3_PNSI_ISN_E10value_typeET4_T5_PSS_ST_PNS1_23onesweep_lookback_stateEbbT6_jjT7_P12ihipStream_tbENKUlT_T0_SH_SM_E_clISA_SB_SC_SC_EEDaS10_S11_SH_SM_EUlS10_E_NS1_11comp_targetILNS1_3genE0ELNS1_11target_archE4294967295ELNS1_3gpuE0ELNS1_3repE0EEENS1_47radix_sort_onesweep_sort_config_static_selectorELNS0_4arch9wavefront6targetE0EEEvSH_: ; @_ZN7rocprim17ROCPRIM_400000_NS6detail17trampoline_kernelINS0_14default_configENS1_35radix_sort_onesweep_config_selectorI12hip_bfloat16NS0_10empty_typeEEEZZNS1_29radix_sort_onesweep_iterationIS3_Lb0EPKS5_PS5_PS6_SC_mNS0_19identity_decomposerENS1_16block_id_wrapperIjLb0EEEEE10hipError_tT1_PNSt15iterator_traitsISH_E10value_typeET2_T3_PNSI_ISN_E10value_typeET4_T5_PSS_ST_PNS1_23onesweep_lookback_stateEbbT6_jjT7_P12ihipStream_tbENKUlT_T0_SH_SM_E_clISA_SB_SC_SC_EEDaS10_S11_SH_SM_EUlS10_E_NS1_11comp_targetILNS1_3genE0ELNS1_11target_archE4294967295ELNS1_3gpuE0ELNS1_3repE0EEENS1_47radix_sort_onesweep_sort_config_static_selectorELNS0_4arch9wavefront6targetE0EEEvSH_
; %bb.0:
	s_clause 0x3
	s_load_b96 s[20:22], s[0:1], 0x44
	s_load_b64 s[10:11], s[0:1], 0x38
	s_load_b128 s[16:19], s[0:1], 0x0
	s_load_b128 s[12:15], s[0:1], 0x28
	s_bfe_u32 s2, ttmp6, 0x4000c
	s_and_b32 s3, ttmp6, 15
	s_add_co_i32 s2, s2, 1
	s_getreg_b32 s4, hwreg(HW_REG_IB_STS2, 6, 4)
	s_mul_i32 s5, ttmp9, s2
	v_mbcnt_lo_u32_b32 v14, -1, 0
	s_add_co_i32 s3, s3, s5
	s_cmp_eq_u32 s4, 0
	v_and_b32_e32 v15, 0x1e0, v0
	s_cselect_b32 s9, ttmp9, s3
	s_mov_b32 s25, 0
	s_mov_b32 s2, -1
	s_mul_i32 s24, s9, 0x1800
	s_add_nc_u64 s[26:27], s[0:1], 0x58
	s_wait_kmcnt 0x0
	s_cmp_ge_u32 s9, s22
	s_cbranch_scc0 .LBB2069_96
; %bb.1:
	s_load_b32 s4, s[0:1], 0x20
	v_dual_mov_b32 v3, 0 :: v_dual_lshlrev_b32 v2, 1, v14
	s_lshl_b64 s[2:3], s[24:25], 1
	v_mul_u32_u24_e32 v1, 12, v15
	s_add_nc_u64 s[2:3], s[16:17], s[2:3]
	v_mov_b32_e32 v12, 0x7fff
	v_add_nc_u64_e32 v[4:5], s[2:3], v[2:3]
	v_mov_b32_e32 v10, 0x7fff
	v_dual_lshlrev_b32 v2, 1, v1 :: v_dual_bitop2_b32 v1, v14, v1 bitop3:0x54
	s_mul_i32 s2, s22, 0xffffe800
	s_delay_alu instid0(VALU_DEP_1)
	v_add_nc_u64_e32 v[2:3], v[4:5], v[2:3]
	s_wait_kmcnt 0x0
	s_add_co_i32 s22, s4, s2
	s_mov_b32 s2, exec_lo
	v_cmpx_gt_u32_e64 s22, v1
	s_cbranch_execz .LBB2069_3
; %bb.2:
	global_load_u16 v10, v[2:3], off
.LBB2069_3:
	s_wait_xcnt 0x0
	s_or_b32 exec_lo, exec_lo, s2
	v_or_b32_e32 v4, 32, v1
	s_mov_b32 s2, exec_lo
	s_delay_alu instid0(VALU_DEP_1)
	v_cmpx_gt_u32_e64 s22, v4
	s_cbranch_execz .LBB2069_5
; %bb.4:
	global_load_u16 v12, v[2:3], off offset:64
.LBB2069_5:
	s_wait_xcnt 0x0
	s_or_b32 exec_lo, exec_lo, s2
	v_or_b32_e32 v4, 64, v1
	v_mov_b32_e32 v21, 0x7fff
	v_mov_b32_e32 v17, 0x7fff
	s_mov_b32 s2, exec_lo
	s_delay_alu instid0(VALU_DEP_3)
	v_cmpx_gt_u32_e64 s22, v4
	s_cbranch_execz .LBB2069_7
; %bb.6:
	global_load_u16 v17, v[2:3], off offset:128
.LBB2069_7:
	s_wait_xcnt 0x0
	s_or_b32 exec_lo, exec_lo, s2
	v_or_b32_e32 v4, 0x60, v1
	s_mov_b32 s2, exec_lo
	s_delay_alu instid0(VALU_DEP_1)
	v_cmpx_gt_u32_e64 s22, v4
	s_cbranch_execz .LBB2069_9
; %bb.8:
	global_load_u16 v21, v[2:3], off offset:192
.LBB2069_9:
	s_wait_xcnt 0x0
	s_or_b32 exec_lo, exec_lo, s2
	v_add_nc_u32_e32 v4, 0x80, v1
	v_dual_mov_b32 v30, 0x7fff :: v_dual_mov_b32 v25, 0x7fff
	s_mov_b32 s2, exec_lo
	s_delay_alu instid0(VALU_DEP_2)
	v_cmpx_gt_u32_e64 s22, v4
	s_cbranch_execz .LBB2069_11
; %bb.10:
	global_load_u16 v25, v[2:3], off offset:256
.LBB2069_11:
	s_wait_xcnt 0x0
	s_or_b32 exec_lo, exec_lo, s2
	v_add_nc_u32_e32 v4, 0xa0, v1
	s_mov_b32 s2, exec_lo
	s_delay_alu instid0(VALU_DEP_1)
	v_cmpx_gt_u32_e64 s22, v4
	s_cbranch_execz .LBB2069_13
; %bb.12:
	global_load_u16 v30, v[2:3], off offset:320
.LBB2069_13:
	s_wait_xcnt 0x0
	s_or_b32 exec_lo, exec_lo, s2
	v_add_nc_u32_e32 v4, 0xc0, v1
	v_dual_mov_b32 v8, 0x7fff :: v_dual_mov_b32 v9, 0x7fff
	s_mov_b32 s2, exec_lo
	s_delay_alu instid0(VALU_DEP_2)
	v_cmpx_gt_u32_e64 s22, v4
	s_cbranch_execz .LBB2069_15
; %bb.14:
	global_load_u16 v9, v[2:3], off offset:384
.LBB2069_15:
	s_wait_xcnt 0x0
	s_or_b32 exec_lo, exec_lo, s2
	v_add_nc_u32_e32 v4, 0xe0, v1
	;; [unrolled: 21-line block ×3, first 2 shown]
	s_mov_b32 s2, exec_lo
	s_delay_alu instid0(VALU_DEP_1)
	v_cmpx_gt_u32_e64 s22, v4
	s_cbranch_execz .LBB2069_21
; %bb.20:
	global_load_u16 v6, v[2:3], off offset:576
.LBB2069_21:
	s_wait_xcnt 0x0
	s_or_b32 exec_lo, exec_lo, s2
	v_add_nc_u32_e32 v5, 0x140, v1
	v_mov_b32_e32 v4, 0x7fff
	s_delay_alu instid0(VALU_DEP_2)
	v_cmp_gt_u32_e32 vcc_lo, s22, v5
	v_mov_b32_e32 v5, 0x7fff
	s_and_saveexec_b32 s2, vcc_lo
	s_cbranch_execz .LBB2069_23
; %bb.22:
	global_load_u16 v5, v[2:3], off offset:640
.LBB2069_23:
	s_wait_xcnt 0x0
	s_or_b32 exec_lo, exec_lo, s2
	v_add_nc_u32_e32 v11, 0x160, v1
	v_and_b32_e32 v1, 0x3ff, v0
	s_mov_b32 s2, exec_lo
	s_delay_alu instid0(VALU_DEP_2)
	v_cmpx_gt_u32_e64 s22, v11
	s_cbranch_execz .LBB2069_25
; %bb.24:
	global_load_u16 v4, v[2:3], off offset:704
.LBB2069_25:
	s_wait_xcnt 0x0
	s_or_b32 exec_lo, exec_lo, s2
	s_wait_loadcnt 0x0
	v_cmp_lt_i16_e32 vcc_lo, -1, v10
	s_clause 0x1
	s_load_b32 s23, s[0:1], 0x58
	s_load_u16 s4, s[0:1], 0x66
	v_bfe_u32 v3, v0, 10, 10
	v_bfe_u32 v11, v0, 20, 10
	s_mov_b32 s3, 0
	v_cndmask_b32_e64 v2, -1, 0xffff8000, vcc_lo
	s_delay_alu instid0(VALU_DEP_1) | instskip(NEXT) | instid1(VALU_DEP_1)
	v_xor_b32_e32 v10, v2, v10
	v_cmp_ne_u16_e32 vcc_lo, 0x7fff, v10
	s_wait_kmcnt 0x0
	s_cmp_lt_u32 s9, s23
	v_cndmask_b32_e32 v2, 0xffff8000, v10, vcc_lo
	s_cselect_b32 s2, 12, 18
	s_lshl_b32 s7, -1, s21
	v_mad_u32_u24 v3, v11, s4, v3
	s_add_nc_u64 s[2:3], s[26:27], s[2:3]
	v_and_b32_e32 v2, 0xffff, v2
	s_load_u16 s8, s[2:3], 0x0
	s_not_b32 s25, s7
	s_delay_alu instid0(VALU_DEP_1) | instskip(NEXT) | instid1(VALU_DEP_1)
	v_lshrrev_b32_e32 v2, s20, v2
	v_bitop3_b32 v16, v2, s7, v2 bitop3:0x30
	s_delay_alu instid0(VALU_DEP_1) | instskip(SKIP_4) | instid1(VALU_DEP_3)
	v_lshlrev_b32_e32 v18, 29, v16
	v_bitop3_b32 v11, v2, 1, s7 bitop3:0x40
	v_dual_lshlrev_b32 v13, 30, v16 :: v_dual_lshlrev_b32 v19, 28, v16
	v_dual_lshlrev_b32 v20, 27, v16 :: v_dual_lshlrev_b32 v22, 26, v16
	s_wait_xcnt 0x0
	v_add_co_u32 v2, s2, v11, -1
	s_delay_alu instid0(VALU_DEP_1) | instskip(SKIP_3) | instid1(VALU_DEP_4)
	v_cndmask_b32_e64 v11, 0, 1, s2
	v_cmp_gt_i32_e64 s2, 0, v13
	v_cmp_gt_i32_e64 s3, 0, v18
	v_dual_lshlrev_b32 v23, 25, v16 :: v_dual_lshlrev_b32 v24, 24, v16
	v_cmp_ne_u32_e32 vcc_lo, 0, v11
	v_not_b32_e32 v11, v13
	v_not_b32_e32 v13, v18
	;; [unrolled: 1-line block ×3, first 2 shown]
	v_cmp_gt_i32_e64 s4, 0, v19
	v_cmp_gt_i32_e64 s5, 0, v20
	v_dual_ashrrev_i32 v11, 31, v11 :: v_dual_bitop2_b32 v2, vcc_lo, v2 bitop3:0x14
	v_not_b32_e32 v19, v20
	v_not_b32_e32 v20, v22
	v_dual_ashrrev_i32 v13, 31, v13 :: v_dual_ashrrev_i32 v18, 31, v18
	s_delay_alu instid0(VALU_DEP_4) | instskip(SKIP_1) | instid1(VALU_DEP_3)
	v_xor_b32_e32 v11, s2, v11
	v_cmp_gt_i32_e64 s6, 0, v22
	v_dual_ashrrev_i32 v19, 31, v19 :: v_dual_bitop2_b32 v13, s3, v13 bitop3:0x14
	v_ashrrev_i32_e32 v20, 31, v20
	s_delay_alu instid0(VALU_DEP_4)
	v_bitop3_b32 v2, v2, v11, exec_lo bitop3:0x80
	v_not_b32_e32 v11, v23
	v_xor_b32_e32 v18, s4, v18
	v_not_b32_e32 v22, v24
	v_xor_b32_e32 v19, s5, v19
	v_xor_b32_e32 v20, s6, v20
	v_cmp_gt_i32_e32 vcc_lo, 0, v23
	v_ashrrev_i32_e32 v11, 31, v11
	v_bitop3_b32 v2, v2, v18, v13 bitop3:0x80
	v_cmp_gt_i32_e64 s2, 0, v24
	v_ashrrev_i32_e32 v13, 31, v22
	s_wait_kmcnt 0x0
	v_mad_u32 v22, v3, s8, v1
	v_mov_b32_e32 v18, 0
	v_bitop3_b32 v2, v2, v20, v19 bitop3:0x80
	v_xor_b32_e32 v3, vcc_lo, v11
	v_xor_b32_e32 v11, s2, v13
	v_mul_u32_u24_e32 v13, 36, v1
	ds_store_2addr_b32 v13, v18, v18 offset0:16 offset1:17
	ds_store_2addr_b32 v13, v18, v18 offset0:18 offset1:19
	;; [unrolled: 1-line block ×4, first 2 shown]
	v_bitop3_b32 v3, v2, v11, v3 bitop3:0x80
	v_lshrrev_b32_e32 v2, 5, v22
	ds_store_b32 v13, v18 offset:96
	s_wait_dscnt 0x0
	s_barrier_signal -1
	v_mbcnt_lo_u32_b32 v11, v3, 0
	v_lshlrev_b32_e32 v2, 2, v2
	v_cmp_ne_u32_e64 s2, 0, v3
	s_barrier_wait -1
	s_delay_alu instid0(VALU_DEP_3) | instskip(NEXT) | instid1(VALU_DEP_3)
	v_cmp_eq_u32_e32 vcc_lo, 0, v11
	v_mad_u32_u24 v16, 0x44, v16, v2
	; wave barrier
	s_and_b32 s3, s2, vcc_lo
	s_delay_alu instid0(SALU_CYCLE_1)
	s_and_saveexec_b32 s2, s3
; %bb.26:
	v_bcnt_u32_b32 v3, v3, 0
	ds_store_b32 v16, v3 offset:64
; %bb.27:
	s_or_b32 exec_lo, exec_lo, s2
	v_cmp_lt_i16_e32 vcc_lo, -1, v12
	; wave barrier
	v_cndmask_b32_e64 v3, -1, 0xffff8000, vcc_lo
	s_delay_alu instid0(VALU_DEP_1) | instskip(NEXT) | instid1(VALU_DEP_1)
	v_xor_b32_e32 v12, v3, v12
	v_cmp_ne_u16_e32 vcc_lo, 0x7fff, v12
	v_cndmask_b32_e32 v3, 0xffff8000, v12, vcc_lo
	s_delay_alu instid0(VALU_DEP_1) | instskip(NEXT) | instid1(VALU_DEP_1)
	v_and_b32_e32 v3, 0xffff, v3
	v_lshrrev_b32_e32 v3, s20, v3
	s_delay_alu instid0(VALU_DEP_1) | instskip(SKIP_1) | instid1(VALU_DEP_2)
	v_bitop3_b32 v18, v3, 1, s25 bitop3:0x80
	v_and_b32_e32 v3, s25, v3
	v_add_co_u32 v18, s2, v18, -1
	s_delay_alu instid0(VALU_DEP_1) | instskip(NEXT) | instid1(VALU_DEP_3)
	v_cndmask_b32_e64 v19, 0, 1, s2
	v_dual_lshlrev_b32 v20, 30, v3 :: v_dual_lshlrev_b32 v22, 29, v3
	s_delay_alu instid0(VALU_DEP_2) | instskip(NEXT) | instid1(VALU_DEP_2)
	v_cmp_ne_u32_e32 vcc_lo, 0, v19
	v_cmp_gt_i32_e64 s2, 0, v20
	v_not_b32_e32 v19, v20
	s_delay_alu instid0(VALU_DEP_4) | instskip(SKIP_1) | instid1(VALU_DEP_2)
	v_not_b32_e32 v20, v22
	v_cmp_gt_i32_e64 s3, 0, v22
	v_dual_ashrrev_i32 v20, 31, v20 :: v_dual_bitop2_b32 v18, vcc_lo, v18 bitop3:0x14
	v_dual_lshlrev_b32 v23, 28, v3 :: v_dual_lshlrev_b32 v24, 27, v3
	v_dual_lshlrev_b32 v26, 26, v3 :: v_dual_lshlrev_b32 v27, 25, v3
	v_lshlrev_b32_e32 v28, 24, v3
	s_delay_alu instid0(VALU_DEP_3) | instskip(SKIP_4) | instid1(VALU_DEP_4)
	v_cmp_gt_i32_e64 s4, 0, v23
	v_not_b32_e32 v22, v23
	v_cmp_gt_i32_e64 s5, 0, v24
	v_not_b32_e32 v23, v24
	v_not_b32_e32 v24, v26
	v_dual_ashrrev_i32 v19, 31, v19 :: v_dual_ashrrev_i32 v22, 31, v22
	v_cmp_gt_i32_e64 s6, 0, v26
	v_cmp_gt_i32_e64 s7, 0, v27
	s_delay_alu instid0(VALU_DEP_3)
	v_dual_ashrrev_i32 v24, 31, v24 :: v_dual_bitop2_b32 v19, s2, v19 bitop3:0x14
	v_not_b32_e32 v26, v27
	v_not_b32_e32 v27, v28
	v_dual_ashrrev_i32 v23, 31, v23 :: v_dual_bitop2_b32 v20, s3, v20 bitop3:0x14
	v_xor_b32_e32 v22, s4, v22
	v_bitop3_b32 v18, v18, v19, exec_lo bitop3:0x80
	v_cmp_gt_i32_e64 s8, 0, v28
	s_delay_alu instid0(VALU_DEP_4) | instskip(SKIP_1) | instid1(VALU_DEP_4)
	v_dual_ashrrev_i32 v19, 31, v26 :: v_dual_bitop2_b32 v23, s5, v23 bitop3:0x14
	v_dual_ashrrev_i32 v26, 31, v27 :: v_dual_bitop2_b32 v24, s6, v24 bitop3:0x14
	v_bitop3_b32 v18, v18, v22, v20 bitop3:0x80
	v_mad_u32_u24 v20, 0x44, v3, v2
	s_delay_alu instid0(VALU_DEP_4) | instskip(NEXT) | instid1(VALU_DEP_4)
	v_xor_b32_e32 v3, s7, v19
	v_xor_b32_e32 v19, s8, v26
	s_delay_alu instid0(VALU_DEP_4) | instskip(SKIP_2) | instid1(VALU_DEP_1)
	v_bitop3_b32 v22, v18, v24, v23 bitop3:0x80
	ds_load_b32 v18, v20 offset:64
	; wave barrier
	v_bitop3_b32 v3, v22, v19, v3 bitop3:0x80
	v_mbcnt_lo_u32_b32 v19, v3, 0
	v_cmp_ne_u32_e64 s2, 0, v3
	s_delay_alu instid0(VALU_DEP_2) | instskip(SKIP_1) | instid1(SALU_CYCLE_1)
	v_cmp_eq_u32_e32 vcc_lo, 0, v19
	s_and_b32 s3, s2, vcc_lo
	s_and_saveexec_b32 s2, s3
	s_cbranch_execz .LBB2069_29
; %bb.28:
	s_wait_dscnt 0x0
	v_bcnt_u32_b32 v3, v3, v18
	ds_store_b32 v20, v3 offset:64
.LBB2069_29:
	s_or_b32 exec_lo, exec_lo, s2
	v_cmp_lt_i16_e32 vcc_lo, -1, v17
	; wave barrier
	v_cndmask_b32_e64 v3, -1, 0xffff8000, vcc_lo
	s_delay_alu instid0(VALU_DEP_1) | instskip(NEXT) | instid1(VALU_DEP_1)
	v_xor_b32_e32 v17, v3, v17
	v_cmp_ne_u16_e32 vcc_lo, 0x7fff, v17
	v_cndmask_b32_e32 v3, 0xffff8000, v17, vcc_lo
	s_delay_alu instid0(VALU_DEP_1) | instskip(NEXT) | instid1(VALU_DEP_1)
	v_and_b32_e32 v3, 0xffff, v3
	v_lshrrev_b32_e32 v3, s20, v3
	s_delay_alu instid0(VALU_DEP_1) | instskip(SKIP_1) | instid1(VALU_DEP_2)
	v_bitop3_b32 v22, v3, 1, s25 bitop3:0x80
	v_and_b32_e32 v3, s25, v3
	v_add_co_u32 v22, s2, v22, -1
	s_delay_alu instid0(VALU_DEP_1) | instskip(NEXT) | instid1(VALU_DEP_3)
	v_cndmask_b32_e64 v23, 0, 1, s2
	v_dual_lshlrev_b32 v24, 30, v3 :: v_dual_lshlrev_b32 v26, 29, v3
	v_lshlrev_b32_e32 v27, 28, v3
	s_delay_alu instid0(VALU_DEP_3) | instskip(NEXT) | instid1(VALU_DEP_3)
	v_cmp_ne_u32_e32 vcc_lo, 0, v23
	v_cmp_gt_i32_e64 s2, 0, v24
	v_not_b32_e32 v23, v24
	v_cmp_gt_i32_e64 s3, 0, v26
	v_not_b32_e32 v24, v26
	v_not_b32_e32 v26, v27
	s_delay_alu instid0(VALU_DEP_2) | instskip(NEXT) | instid1(VALU_DEP_2)
	v_dual_ashrrev_i32 v24, 31, v24 :: v_dual_bitop2_b32 v22, vcc_lo, v22 bitop3:0x14
	v_dual_ashrrev_i32 v26, 31, v26 :: v_dual_lshlrev_b32 v28, 27, v3
	v_dual_lshlrev_b32 v29, 26, v3 :: v_dual_lshlrev_b32 v31, 25, v3
	v_cmp_gt_i32_e64 s4, 0, v27
	v_lshlrev_b32_e32 v32, 24, v3
	s_delay_alu instid0(VALU_DEP_4)
	v_cmp_gt_i32_e64 s5, 0, v28
	v_not_b32_e32 v27, v28
	v_not_b32_e32 v28, v29
	v_ashrrev_i32_e32 v23, 31, v23
	v_cmp_gt_i32_e64 s6, 0, v29
	v_cmp_gt_i32_e64 s7, 0, v31
	v_not_b32_e32 v29, v31
	s_delay_alu instid0(VALU_DEP_4) | instskip(SKIP_3) | instid1(VALU_DEP_4)
	v_dual_ashrrev_i32 v28, 31, v28 :: v_dual_bitop2_b32 v23, s2, v23 bitop3:0x14
	v_not_b32_e32 v31, v32
	v_dual_ashrrev_i32 v27, 31, v27 :: v_dual_bitop2_b32 v24, s3, v24 bitop3:0x14
	v_xor_b32_e32 v26, s4, v26
	v_bitop3_b32 v22, v22, v23, exec_lo bitop3:0x80
	v_cmp_gt_i32_e64 s8, 0, v32
	v_dual_ashrrev_i32 v23, 31, v29 :: v_dual_ashrrev_i32 v29, 31, v31
	v_xor_b32_e32 v28, s6, v28
	v_xor_b32_e32 v27, s5, v27
	v_bitop3_b32 v22, v22, v26, v24 bitop3:0x80
	v_mad_u32_u24 v24, 0x44, v3, v2
	v_xor_b32_e32 v3, s7, v23
	v_xor_b32_e32 v23, s8, v29
	s_delay_alu instid0(VALU_DEP_4) | instskip(SKIP_2) | instid1(VALU_DEP_1)
	v_bitop3_b32 v26, v22, v28, v27 bitop3:0x80
	ds_load_b32 v22, v24 offset:64
	; wave barrier
	v_bitop3_b32 v3, v26, v23, v3 bitop3:0x80
	v_mbcnt_lo_u32_b32 v23, v3, 0
	v_cmp_ne_u32_e64 s2, 0, v3
	s_delay_alu instid0(VALU_DEP_2) | instskip(SKIP_1) | instid1(SALU_CYCLE_1)
	v_cmp_eq_u32_e32 vcc_lo, 0, v23
	s_and_b32 s3, s2, vcc_lo
	s_and_saveexec_b32 s2, s3
	s_cbranch_execz .LBB2069_31
; %bb.30:
	s_wait_dscnt 0x0
	v_bcnt_u32_b32 v3, v3, v22
	ds_store_b32 v24, v3 offset:64
.LBB2069_31:
	s_or_b32 exec_lo, exec_lo, s2
	v_cmp_lt_i16_e32 vcc_lo, -1, v21
	; wave barrier
	v_cndmask_b32_e64 v3, -1, 0xffff8000, vcc_lo
	s_delay_alu instid0(VALU_DEP_1) | instskip(NEXT) | instid1(VALU_DEP_1)
	v_xor_b32_e32 v21, v3, v21
	v_cmp_ne_u16_e32 vcc_lo, 0x7fff, v21
	v_cndmask_b32_e32 v3, 0xffff8000, v21, vcc_lo
	s_delay_alu instid0(VALU_DEP_1) | instskip(NEXT) | instid1(VALU_DEP_1)
	v_and_b32_e32 v3, 0xffff, v3
	v_lshrrev_b32_e32 v3, s20, v3
	s_delay_alu instid0(VALU_DEP_1) | instskip(SKIP_1) | instid1(VALU_DEP_2)
	v_bitop3_b32 v26, v3, 1, s25 bitop3:0x80
	v_and_b32_e32 v3, s25, v3
	v_add_co_u32 v26, s2, v26, -1
	s_delay_alu instid0(VALU_DEP_1) | instskip(NEXT) | instid1(VALU_DEP_3)
	v_cndmask_b32_e64 v27, 0, 1, s2
	v_dual_lshlrev_b32 v28, 30, v3 :: v_dual_lshlrev_b32 v29, 29, v3
	v_lshlrev_b32_e32 v31, 28, v3
	s_delay_alu instid0(VALU_DEP_3) | instskip(NEXT) | instid1(VALU_DEP_3)
	v_cmp_ne_u32_e32 vcc_lo, 0, v27
	v_cmp_gt_i32_e64 s2, 0, v28
	v_not_b32_e32 v27, v28
	v_cmp_gt_i32_e64 s3, 0, v29
	v_not_b32_e32 v28, v29
	v_not_b32_e32 v29, v31
	s_delay_alu instid0(VALU_DEP_2) | instskip(NEXT) | instid1(VALU_DEP_2)
	v_dual_ashrrev_i32 v28, 31, v28 :: v_dual_bitop2_b32 v26, vcc_lo, v26 bitop3:0x14
	v_dual_ashrrev_i32 v29, 31, v29 :: v_dual_lshlrev_b32 v32, 27, v3
	v_dual_lshlrev_b32 v33, 26, v3 :: v_dual_lshlrev_b32 v34, 25, v3
	v_lshlrev_b32_e32 v35, 24, v3
	v_cmp_gt_i32_e64 s4, 0, v31
	s_delay_alu instid0(VALU_DEP_4)
	v_cmp_gt_i32_e64 s5, 0, v32
	v_not_b32_e32 v31, v32
	v_not_b32_e32 v32, v33
	v_ashrrev_i32_e32 v27, 31, v27
	v_cmp_gt_i32_e64 s6, 0, v33
	v_cmp_gt_i32_e64 s7, 0, v34
	v_not_b32_e32 v33, v34
	v_not_b32_e32 v34, v35
	v_dual_ashrrev_i32 v32, 31, v32 :: v_dual_bitop2_b32 v27, s2, v27 bitop3:0x14
	v_dual_ashrrev_i32 v31, 31, v31 :: v_dual_bitop2_b32 v28, s3, v28 bitop3:0x14
	v_xor_b32_e32 v29, s4, v29
	v_cmp_gt_i32_e64 s8, 0, v35
	s_delay_alu instid0(VALU_DEP_4) | instskip(NEXT) | instid1(VALU_DEP_4)
	v_bitop3_b32 v26, v26, v27, exec_lo bitop3:0x80
	v_dual_ashrrev_i32 v27, 31, v33 :: v_dual_bitop2_b32 v31, s5, v31 bitop3:0x14
	v_dual_ashrrev_i32 v33, 31, v34 :: v_dual_bitop2_b32 v32, s6, v32 bitop3:0x14
	s_delay_alu instid0(VALU_DEP_3) | instskip(SKIP_1) | instid1(VALU_DEP_4)
	v_bitop3_b32 v26, v26, v29, v28 bitop3:0x80
	v_mad_u32_u24 v28, 0x44, v3, v2
	v_xor_b32_e32 v3, s7, v27
	s_delay_alu instid0(VALU_DEP_4) | instskip(NEXT) | instid1(VALU_DEP_4)
	v_xor_b32_e32 v27, s8, v33
	v_bitop3_b32 v29, v26, v32, v31 bitop3:0x80
	ds_load_b32 v26, v28 offset:64
	; wave barrier
	v_bitop3_b32 v3, v29, v27, v3 bitop3:0x80
	s_delay_alu instid0(VALU_DEP_1) | instskip(SKIP_1) | instid1(VALU_DEP_2)
	v_mbcnt_lo_u32_b32 v27, v3, 0
	v_cmp_ne_u32_e64 s2, 0, v3
	v_cmp_eq_u32_e32 vcc_lo, 0, v27
	s_and_b32 s3, s2, vcc_lo
	s_delay_alu instid0(SALU_CYCLE_1)
	s_and_saveexec_b32 s2, s3
	s_cbranch_execz .LBB2069_33
; %bb.32:
	s_wait_dscnt 0x0
	v_bcnt_u32_b32 v3, v3, v26
	ds_store_b32 v28, v3 offset:64
.LBB2069_33:
	s_or_b32 exec_lo, exec_lo, s2
	v_cmp_lt_i16_e32 vcc_lo, -1, v25
	; wave barrier
	v_cndmask_b32_e64 v3, -1, 0xffff8000, vcc_lo
	s_delay_alu instid0(VALU_DEP_1) | instskip(NEXT) | instid1(VALU_DEP_1)
	v_xor_b32_e32 v25, v3, v25
	v_cmp_ne_u16_e32 vcc_lo, 0x7fff, v25
	v_cndmask_b32_e32 v3, 0xffff8000, v25, vcc_lo
	s_delay_alu instid0(VALU_DEP_1) | instskip(NEXT) | instid1(VALU_DEP_1)
	v_and_b32_e32 v3, 0xffff, v3
	v_lshrrev_b32_e32 v3, s20, v3
	s_delay_alu instid0(VALU_DEP_1) | instskip(SKIP_1) | instid1(VALU_DEP_2)
	v_bitop3_b32 v29, v3, 1, s25 bitop3:0x80
	v_and_b32_e32 v3, s25, v3
	v_add_co_u32 v29, s2, v29, -1
	s_delay_alu instid0(VALU_DEP_1) | instskip(NEXT) | instid1(VALU_DEP_3)
	v_cndmask_b32_e64 v31, 0, 1, s2
	v_dual_lshlrev_b32 v32, 30, v3 :: v_dual_lshlrev_b32 v33, 29, v3
	v_lshlrev_b32_e32 v34, 28, v3
	s_delay_alu instid0(VALU_DEP_3) | instskip(NEXT) | instid1(VALU_DEP_3)
	v_cmp_ne_u32_e32 vcc_lo, 0, v31
	v_cmp_gt_i32_e64 s2, 0, v32
	v_not_b32_e32 v31, v32
	v_cmp_gt_i32_e64 s3, 0, v33
	v_not_b32_e32 v32, v33
	v_not_b32_e32 v33, v34
	s_delay_alu instid0(VALU_DEP_2) | instskip(NEXT) | instid1(VALU_DEP_2)
	v_dual_ashrrev_i32 v32, 31, v32 :: v_dual_bitop2_b32 v29, vcc_lo, v29 bitop3:0x14
	v_dual_ashrrev_i32 v33, 31, v33 :: v_dual_lshlrev_b32 v35, 27, v3
	v_dual_lshlrev_b32 v36, 26, v3 :: v_dual_lshlrev_b32 v37, 25, v3
	v_lshlrev_b32_e32 v38, 24, v3
	v_cmp_gt_i32_e64 s4, 0, v34
	s_delay_alu instid0(VALU_DEP_4)
	v_not_b32_e32 v34, v35
	v_ashrrev_i32_e32 v31, 31, v31
	v_cmp_gt_i32_e64 s5, 0, v35
	v_cmp_gt_i32_e64 s6, 0, v36
	v_not_b32_e32 v35, v36
	v_cmp_gt_i32_e64 s7, 0, v37
	v_not_b32_e32 v36, v37
	v_not_b32_e32 v37, v38
	v_dual_ashrrev_i32 v34, 31, v34 :: v_dual_bitop2_b32 v31, s2, v31 bitop3:0x14
	v_dual_ashrrev_i32 v35, 31, v35 :: v_dual_bitop2_b32 v32, s3, v32 bitop3:0x14
	v_xor_b32_e32 v33, s4, v33
	v_cmp_gt_i32_e64 s8, 0, v38
	s_delay_alu instid0(VALU_DEP_4) | instskip(SKIP_3) | instid1(VALU_DEP_4)
	v_bitop3_b32 v29, v29, v31, exec_lo bitop3:0x80
	v_dual_ashrrev_i32 v31, 31, v36 :: v_dual_ashrrev_i32 v36, 31, v37
	v_xor_b32_e32 v34, s5, v34
	v_xor_b32_e32 v35, s6, v35
	v_bitop3_b32 v29, v29, v33, v32 bitop3:0x80
	v_mad_u32_u24 v32, 0x44, v3, v2
	v_xor_b32_e32 v3, s7, v31
	v_xor_b32_e32 v31, s8, v36
	s_delay_alu instid0(VALU_DEP_4) | instskip(SKIP_2) | instid1(VALU_DEP_1)
	v_bitop3_b32 v33, v29, v35, v34 bitop3:0x80
	ds_load_b32 v29, v32 offset:64
	; wave barrier
	v_bitop3_b32 v3, v33, v31, v3 bitop3:0x80
	v_mbcnt_lo_u32_b32 v31, v3, 0
	v_cmp_ne_u32_e64 s2, 0, v3
	s_delay_alu instid0(VALU_DEP_2) | instskip(SKIP_1) | instid1(SALU_CYCLE_1)
	v_cmp_eq_u32_e32 vcc_lo, 0, v31
	s_and_b32 s3, s2, vcc_lo
	s_and_saveexec_b32 s2, s3
	s_cbranch_execz .LBB2069_35
; %bb.34:
	s_wait_dscnt 0x0
	v_bcnt_u32_b32 v3, v3, v29
	ds_store_b32 v32, v3 offset:64
.LBB2069_35:
	s_or_b32 exec_lo, exec_lo, s2
	v_cmp_lt_i16_e32 vcc_lo, -1, v30
	; wave barrier
	v_cndmask_b32_e64 v3, -1, 0xffff8000, vcc_lo
	s_delay_alu instid0(VALU_DEP_1) | instskip(NEXT) | instid1(VALU_DEP_1)
	v_xor_b32_e32 v30, v3, v30
	v_cmp_ne_u16_e32 vcc_lo, 0x7fff, v30
	v_cndmask_b32_e32 v3, 0xffff8000, v30, vcc_lo
	s_delay_alu instid0(VALU_DEP_1) | instskip(NEXT) | instid1(VALU_DEP_1)
	v_and_b32_e32 v3, 0xffff, v3
	v_lshrrev_b32_e32 v3, s20, v3
	s_delay_alu instid0(VALU_DEP_1) | instskip(SKIP_1) | instid1(VALU_DEP_2)
	v_bitop3_b32 v33, v3, 1, s25 bitop3:0x80
	v_and_b32_e32 v3, s25, v3
	v_add_co_u32 v33, s2, v33, -1
	s_delay_alu instid0(VALU_DEP_1) | instskip(NEXT) | instid1(VALU_DEP_3)
	v_cndmask_b32_e64 v34, 0, 1, s2
	v_lshlrev_b32_e32 v35, 30, v3
	s_delay_alu instid0(VALU_DEP_2) | instskip(NEXT) | instid1(VALU_DEP_2)
	v_cmp_ne_u32_e32 vcc_lo, 0, v34
	v_not_b32_e32 v34, v35
	s_delay_alu instid0(VALU_DEP_1) | instskip(SKIP_4) | instid1(VALU_DEP_4)
	v_dual_ashrrev_i32 v34, 31, v34 :: v_dual_bitop2_b32 v33, vcc_lo, v33 bitop3:0x14
	v_dual_lshlrev_b32 v36, 29, v3 :: v_dual_lshlrev_b32 v37, 28, v3
	v_dual_lshlrev_b32 v38, 27, v3 :: v_dual_lshlrev_b32 v39, 26, v3
	v_lshlrev_b32_e32 v40, 25, v3
	v_cmp_gt_i32_e64 s2, 0, v35
	v_cmp_gt_i32_e64 s3, 0, v36
	v_not_b32_e32 v35, v36
	v_not_b32_e32 v36, v37
	v_lshlrev_b32_e32 v41, 24, v3
	v_cmp_gt_i32_e64 s4, 0, v37
	v_cmp_gt_i32_e64 s5, 0, v38
	v_not_b32_e32 v37, v38
	v_not_b32_e32 v38, v39
	v_dual_ashrrev_i32 v35, 31, v35 :: v_dual_bitop2_b32 v34, s2, v34 bitop3:0x14
	v_ashrrev_i32_e32 v36, 31, v36
	v_cmp_gt_i32_e64 s6, 0, v39
	v_cmp_gt_i32_e64 s7, 0, v40
	v_not_b32_e32 v39, v40
	v_not_b32_e32 v40, v41
	v_dual_ashrrev_i32 v37, 31, v37 :: v_dual_ashrrev_i32 v38, 31, v38
	v_xor_b32_e32 v35, s3, v35
	v_xor_b32_e32 v36, s4, v36
	v_bitop3_b32 v33, v33, v34, exec_lo bitop3:0x80
	v_cmp_gt_i32_e64 s8, 0, v41
	v_dual_ashrrev_i32 v34, 31, v39 :: v_dual_ashrrev_i32 v39, 31, v40
	v_xor_b32_e32 v37, s5, v37
	v_xor_b32_e32 v38, s6, v38
	v_bitop3_b32 v33, v33, v36, v35 bitop3:0x80
	v_mad_u32_u24 v36, 0x44, v3, v2
	v_xor_b32_e32 v3, s7, v34
	v_xor_b32_e32 v34, s8, v39
	s_delay_alu instid0(VALU_DEP_4) | instskip(SKIP_2) | instid1(VALU_DEP_1)
	v_bitop3_b32 v35, v33, v38, v37 bitop3:0x80
	ds_load_b32 v33, v36 offset:64
	; wave barrier
	v_bitop3_b32 v3, v35, v34, v3 bitop3:0x80
	v_mbcnt_lo_u32_b32 v34, v3, 0
	v_cmp_ne_u32_e64 s2, 0, v3
	s_delay_alu instid0(VALU_DEP_2) | instskip(SKIP_1) | instid1(SALU_CYCLE_1)
	v_cmp_eq_u32_e32 vcc_lo, 0, v34
	s_and_b32 s3, s2, vcc_lo
	s_and_saveexec_b32 s2, s3
	s_cbranch_execz .LBB2069_37
; %bb.36:
	s_wait_dscnt 0x0
	v_bcnt_u32_b32 v3, v3, v33
	ds_store_b32 v36, v3 offset:64
.LBB2069_37:
	s_or_b32 exec_lo, exec_lo, s2
	v_cmp_lt_i16_e32 vcc_lo, -1, v9
	; wave barrier
	v_cndmask_b32_e64 v3, -1, 0xffff8000, vcc_lo
	s_delay_alu instid0(VALU_DEP_1) | instskip(NEXT) | instid1(VALU_DEP_1)
	v_xor_b32_e32 v35, v3, v9
	v_cmp_ne_u16_e32 vcc_lo, 0x7fff, v35
	v_cndmask_b32_e32 v3, 0xffff8000, v35, vcc_lo
	s_delay_alu instid0(VALU_DEP_1) | instskip(NEXT) | instid1(VALU_DEP_1)
	v_and_b32_e32 v3, 0xffff, v3
	v_lshrrev_b32_e32 v3, s20, v3
	s_delay_alu instid0(VALU_DEP_1) | instskip(SKIP_1) | instid1(VALU_DEP_2)
	v_bitop3_b32 v9, v3, 1, s25 bitop3:0x80
	v_and_b32_e32 v3, s25, v3
	v_add_co_u32 v9, s2, v9, -1
	s_delay_alu instid0(VALU_DEP_1) | instskip(NEXT) | instid1(VALU_DEP_3)
	v_cndmask_b32_e64 v37, 0, 1, s2
	v_lshlrev_b32_e32 v38, 30, v3
	s_delay_alu instid0(VALU_DEP_2) | instskip(NEXT) | instid1(VALU_DEP_2)
	v_cmp_ne_u32_e32 vcc_lo, 0, v37
	v_not_b32_e32 v37, v38
	v_xor_b32_e32 v9, vcc_lo, v9
	s_delay_alu instid0(VALU_DEP_2) | instskip(SKIP_3) | instid1(VALU_DEP_4)
	v_dual_ashrrev_i32 v37, 31, v37 :: v_dual_lshlrev_b32 v39, 29, v3
	v_dual_lshlrev_b32 v40, 28, v3 :: v_dual_lshlrev_b32 v41, 27, v3
	v_dual_lshlrev_b32 v42, 26, v3 :: v_dual_lshlrev_b32 v43, 25, v3
	v_cmp_gt_i32_e64 s2, 0, v38
	v_cmp_gt_i32_e64 s3, 0, v39
	v_not_b32_e32 v38, v39
	v_not_b32_e32 v39, v40
	v_lshlrev_b32_e32 v44, 24, v3
	v_cmp_gt_i32_e64 s4, 0, v40
	v_cmp_gt_i32_e64 s5, 0, v41
	v_not_b32_e32 v40, v41
	v_not_b32_e32 v41, v42
	v_dual_ashrrev_i32 v38, 31, v38 :: v_dual_ashrrev_i32 v39, 31, v39
	v_xor_b32_e32 v37, s2, v37
	v_cmp_gt_i32_e64 s6, 0, v42
	v_cmp_gt_i32_e64 s7, 0, v43
	v_not_b32_e32 v42, v43
	v_not_b32_e32 v43, v44
	v_dual_ashrrev_i32 v40, 31, v40 :: v_dual_ashrrev_i32 v41, 31, v41
	v_xor_b32_e32 v38, s3, v38
	v_xor_b32_e32 v39, s4, v39
	v_bitop3_b32 v9, v9, v37, exec_lo bitop3:0x80
	v_cmp_gt_i32_e64 s8, 0, v44
	v_dual_ashrrev_i32 v37, 31, v42 :: v_dual_ashrrev_i32 v42, 31, v43
	v_xor_b32_e32 v43, s5, v40
	v_xor_b32_e32 v41, s6, v41
	v_bitop3_b32 v9, v9, v39, v38 bitop3:0x80
	v_mad_u32_u24 v40, 0x44, v3, v2
	v_xor_b32_e32 v3, s7, v37
	v_xor_b32_e32 v37, s8, v42
	s_delay_alu instid0(VALU_DEP_4) | instskip(SKIP_2) | instid1(VALU_DEP_1)
	v_bitop3_b32 v9, v9, v41, v43 bitop3:0x80
	ds_load_b32 v38, v40 offset:64
	; wave barrier
	v_bitop3_b32 v3, v9, v37, v3 bitop3:0x80
	v_mbcnt_lo_u32_b32 v39, v3, 0
	v_cmp_ne_u32_e64 s2, 0, v3
	s_delay_alu instid0(VALU_DEP_2) | instskip(SKIP_1) | instid1(SALU_CYCLE_1)
	v_cmp_eq_u32_e32 vcc_lo, 0, v39
	s_and_b32 s3, s2, vcc_lo
	s_and_saveexec_b32 s2, s3
	s_cbranch_execz .LBB2069_39
; %bb.38:
	s_wait_dscnt 0x0
	v_bcnt_u32_b32 v3, v3, v38
	ds_store_b32 v40, v3 offset:64
.LBB2069_39:
	s_or_b32 exec_lo, exec_lo, s2
	v_cmp_lt_i16_e32 vcc_lo, -1, v8
	; wave barrier
	v_cndmask_b32_e64 v3, -1, 0xffff8000, vcc_lo
	s_delay_alu instid0(VALU_DEP_1) | instskip(NEXT) | instid1(VALU_DEP_1)
	v_xor_b32_e32 v37, v3, v8
	v_cmp_ne_u16_e32 vcc_lo, 0x7fff, v37
	v_cndmask_b32_e32 v3, 0xffff8000, v37, vcc_lo
	s_delay_alu instid0(VALU_DEP_1) | instskip(NEXT) | instid1(VALU_DEP_1)
	v_and_b32_e32 v3, 0xffff, v3
	v_lshrrev_b32_e32 v3, s20, v3
	s_delay_alu instid0(VALU_DEP_1) | instskip(SKIP_1) | instid1(VALU_DEP_2)
	v_bitop3_b32 v8, v3, 1, s25 bitop3:0x80
	v_and_b32_e32 v3, s25, v3
	v_add_co_u32 v8, s2, v8, -1
	s_delay_alu instid0(VALU_DEP_1) | instskip(NEXT) | instid1(VALU_DEP_3)
	v_cndmask_b32_e64 v9, 0, 1, s2
	v_lshlrev_b32_e32 v41, 30, v3
	s_delay_alu instid0(VALU_DEP_2) | instskip(NEXT) | instid1(VALU_DEP_2)
	v_cmp_ne_u32_e32 vcc_lo, 0, v9
	v_not_b32_e32 v9, v41
	s_delay_alu instid0(VALU_DEP_1) | instskip(SKIP_4) | instid1(VALU_DEP_4)
	v_dual_ashrrev_i32 v9, 31, v9 :: v_dual_bitop2_b32 v8, vcc_lo, v8 bitop3:0x14
	v_dual_lshlrev_b32 v42, 29, v3 :: v_dual_lshlrev_b32 v43, 28, v3
	v_dual_lshlrev_b32 v44, 27, v3 :: v_dual_lshlrev_b32 v45, 26, v3
	v_lshlrev_b32_e32 v46, 25, v3
	v_cmp_gt_i32_e64 s2, 0, v41
	v_cmp_gt_i32_e64 s3, 0, v42
	v_not_b32_e32 v41, v42
	v_not_b32_e32 v42, v43
	v_lshlrev_b32_e32 v47, 24, v3
	v_cmp_gt_i32_e64 s4, 0, v43
	v_cmp_gt_i32_e64 s5, 0, v44
	v_not_b32_e32 v43, v44
	v_not_b32_e32 v44, v45
	v_dual_ashrrev_i32 v41, 31, v41 :: v_dual_ashrrev_i32 v42, 31, v42
	v_xor_b32_e32 v9, s2, v9
	v_cmp_gt_i32_e64 s6, 0, v45
	v_cmp_gt_i32_e64 s7, 0, v46
	v_not_b32_e32 v45, v46
	v_not_b32_e32 v46, v47
	v_dual_ashrrev_i32 v43, 31, v43 :: v_dual_ashrrev_i32 v44, 31, v44
	v_xor_b32_e32 v41, s3, v41
	v_xor_b32_e32 v42, s4, v42
	v_bitop3_b32 v8, v8, v9, exec_lo bitop3:0x80
	v_cmp_gt_i32_e64 s8, 0, v47
	v_dual_ashrrev_i32 v9, 31, v45 :: v_dual_ashrrev_i32 v45, 31, v46
	v_xor_b32_e32 v43, s5, v43
	v_xor_b32_e32 v46, s6, v44
	v_bitop3_b32 v8, v8, v42, v41 bitop3:0x80
	v_mad_u32_u24 v44, 0x44, v3, v2
	v_xor_b32_e32 v3, s7, v9
	v_xor_b32_e32 v9, s8, v45
	s_delay_alu instid0(VALU_DEP_4) | instskip(SKIP_2) | instid1(VALU_DEP_1)
	v_bitop3_b32 v8, v8, v46, v43 bitop3:0x80
	ds_load_b32 v42, v44 offset:64
	; wave barrier
	v_bitop3_b32 v3, v8, v9, v3 bitop3:0x80
	v_mbcnt_lo_u32_b32 v43, v3, 0
	v_cmp_ne_u32_e64 s2, 0, v3
	s_delay_alu instid0(VALU_DEP_2) | instskip(SKIP_1) | instid1(SALU_CYCLE_1)
	v_cmp_eq_u32_e32 vcc_lo, 0, v43
	s_and_b32 s3, s2, vcc_lo
	s_and_saveexec_b32 s2, s3
	s_cbranch_execz .LBB2069_41
; %bb.40:
	s_wait_dscnt 0x0
	v_bcnt_u32_b32 v3, v3, v42
	ds_store_b32 v44, v3 offset:64
.LBB2069_41:
	s_or_b32 exec_lo, exec_lo, s2
	v_cmp_lt_i16_e32 vcc_lo, -1, v7
	; wave barrier
	v_cndmask_b32_e64 v3, -1, 0xffff8000, vcc_lo
	s_delay_alu instid0(VALU_DEP_1) | instskip(NEXT) | instid1(VALU_DEP_1)
	v_xor_b32_e32 v41, v3, v7
	v_cmp_ne_u16_e32 vcc_lo, 0x7fff, v41
	v_cndmask_b32_e32 v3, 0xffff8000, v41, vcc_lo
	s_delay_alu instid0(VALU_DEP_1) | instskip(NEXT) | instid1(VALU_DEP_1)
	v_and_b32_e32 v3, 0xffff, v3
	v_lshrrev_b32_e32 v3, s20, v3
	s_delay_alu instid0(VALU_DEP_1) | instskip(SKIP_1) | instid1(VALU_DEP_2)
	v_bitop3_b32 v7, v3, 1, s25 bitop3:0x80
	v_and_b32_e32 v3, s25, v3
	v_add_co_u32 v7, s2, v7, -1
	s_delay_alu instid0(VALU_DEP_1) | instskip(NEXT) | instid1(VALU_DEP_3)
	v_cndmask_b32_e64 v8, 0, 1, s2
	v_dual_lshlrev_b32 v9, 30, v3 :: v_dual_lshlrev_b32 v45, 29, v3
	v_lshlrev_b32_e32 v46, 28, v3
	s_delay_alu instid0(VALU_DEP_3) | instskip(NEXT) | instid1(VALU_DEP_3)
	v_cmp_ne_u32_e32 vcc_lo, 0, v8
	v_cmp_gt_i32_e64 s2, 0, v9
	v_not_b32_e32 v8, v9
	v_cmp_gt_i32_e64 s3, 0, v45
	v_not_b32_e32 v9, v45
	v_not_b32_e32 v45, v46
	s_delay_alu instid0(VALU_DEP_2) | instskip(NEXT) | instid1(VALU_DEP_2)
	v_dual_ashrrev_i32 v8, 31, v8 :: v_dual_ashrrev_i32 v9, 31, v9
	v_dual_ashrrev_i32 v45, 31, v45 :: v_dual_lshlrev_b32 v47, 27, v3
	v_dual_lshlrev_b32 v48, 26, v3 :: v_dual_lshlrev_b32 v49, 25, v3
	s_delay_alu instid0(VALU_DEP_3) | instskip(SKIP_1) | instid1(VALU_DEP_4)
	v_dual_lshlrev_b32 v50, 24, v3 :: v_dual_bitop2_b32 v8, s2, v8 bitop3:0x14
	v_cmp_gt_i32_e64 s4, 0, v46
	v_cmp_gt_i32_e64 s5, 0, v47
	v_not_b32_e32 v46, v47
	v_cmp_gt_i32_e64 s6, 0, v48
	v_not_b32_e32 v47, v48
	v_not_b32_e32 v48, v49
	v_xor_b32_e32 v7, vcc_lo, v7
	v_cmp_gt_i32_e64 s7, 0, v49
	v_not_b32_e32 v49, v50
	v_dual_ashrrev_i32 v46, 31, v46 :: v_dual_ashrrev_i32 v47, 31, v47
	v_xor_b32_e32 v9, s3, v9
	v_xor_b32_e32 v45, s4, v45
	v_bitop3_b32 v7, v7, v8, exec_lo bitop3:0x80
	v_cmp_gt_i32_e64 s8, 0, v50
	v_dual_ashrrev_i32 v8, 31, v48 :: v_dual_ashrrev_i32 v49, 31, v49
	v_xor_b32_e32 v46, s5, v46
	v_xor_b32_e32 v47, s6, v47
	v_bitop3_b32 v7, v7, v45, v9 bitop3:0x80
	v_mad_u32_u24 v48, 0x44, v3, v2
	v_xor_b32_e32 v3, s7, v8
	v_xor_b32_e32 v8, s8, v49
	s_delay_alu instid0(VALU_DEP_4) | instskip(SKIP_2) | instid1(VALU_DEP_1)
	v_bitop3_b32 v7, v7, v47, v46 bitop3:0x80
	ds_load_b32 v46, v48 offset:64
	; wave barrier
	v_bitop3_b32 v3, v7, v8, v3 bitop3:0x80
	v_mbcnt_lo_u32_b32 v47, v3, 0
	v_cmp_ne_u32_e64 s2, 0, v3
	s_delay_alu instid0(VALU_DEP_2) | instskip(SKIP_1) | instid1(SALU_CYCLE_1)
	v_cmp_eq_u32_e32 vcc_lo, 0, v47
	s_and_b32 s3, s2, vcc_lo
	s_and_saveexec_b32 s2, s3
	s_cbranch_execz .LBB2069_43
; %bb.42:
	s_wait_dscnt 0x0
	v_bcnt_u32_b32 v3, v3, v46
	ds_store_b32 v48, v3 offset:64
.LBB2069_43:
	s_or_b32 exec_lo, exec_lo, s2
	v_cmp_lt_i16_e32 vcc_lo, -1, v6
	; wave barrier
	v_cndmask_b32_e64 v3, -1, 0xffff8000, vcc_lo
	s_delay_alu instid0(VALU_DEP_1) | instskip(NEXT) | instid1(VALU_DEP_1)
	v_xor_b32_e32 v45, v3, v6
	v_cmp_ne_u16_e32 vcc_lo, 0x7fff, v45
	v_cndmask_b32_e32 v3, 0xffff8000, v45, vcc_lo
	s_delay_alu instid0(VALU_DEP_1) | instskip(NEXT) | instid1(VALU_DEP_1)
	v_and_b32_e32 v3, 0xffff, v3
	v_lshrrev_b32_e32 v3, s20, v3
	s_delay_alu instid0(VALU_DEP_1) | instskip(SKIP_1) | instid1(VALU_DEP_2)
	v_bitop3_b32 v6, v3, 1, s25 bitop3:0x80
	v_and_b32_e32 v3, s25, v3
	v_add_co_u32 v6, s2, v6, -1
	s_delay_alu instid0(VALU_DEP_1) | instskip(NEXT) | instid1(VALU_DEP_3)
	v_cndmask_b32_e64 v7, 0, 1, s2
	v_dual_lshlrev_b32 v8, 30, v3 :: v_dual_lshlrev_b32 v9, 29, v3
	v_lshlrev_b32_e32 v49, 28, v3
	s_delay_alu instid0(VALU_DEP_3) | instskip(NEXT) | instid1(VALU_DEP_3)
	v_cmp_ne_u32_e32 vcc_lo, 0, v7
	v_cmp_gt_i32_e64 s2, 0, v8
	v_not_b32_e32 v7, v8
	v_cmp_gt_i32_e64 s3, 0, v9
	v_not_b32_e32 v8, v9
	v_not_b32_e32 v9, v49
	s_delay_alu instid0(VALU_DEP_2) | instskip(NEXT) | instid1(VALU_DEP_2)
	v_dual_ashrrev_i32 v8, 31, v8 :: v_dual_bitop2_b32 v6, vcc_lo, v6 bitop3:0x14
	v_dual_ashrrev_i32 v9, 31, v9 :: v_dual_lshlrev_b32 v50, 27, v3
	v_dual_lshlrev_b32 v51, 26, v3 :: v_dual_lshlrev_b32 v52, 25, v3
	v_cmp_gt_i32_e64 s4, 0, v49
	v_lshlrev_b32_e32 v53, 24, v3
	s_delay_alu instid0(VALU_DEP_4) | instskip(SKIP_4) | instid1(VALU_DEP_4)
	v_not_b32_e32 v49, v50
	v_ashrrev_i32_e32 v7, 31, v7
	v_cmp_gt_i32_e64 s5, 0, v50
	v_not_b32_e32 v50, v51
	v_cmp_gt_i32_e64 s6, 0, v51
	v_dual_ashrrev_i32 v49, 31, v49 :: v_dual_bitop2_b32 v7, s2, v7 bitop3:0x14
	v_cmp_gt_i32_e64 s7, 0, v52
	v_not_b32_e32 v51, v52
	v_not_b32_e32 v52, v53
	v_dual_ashrrev_i32 v50, 31, v50 :: v_dual_bitop2_b32 v8, s3, v8 bitop3:0x14
	v_xor_b32_e32 v9, s4, v9
	v_bitop3_b32 v6, v6, v7, exec_lo bitop3:0x80
	v_cmp_gt_i32_e64 s8, 0, v53
	v_dual_ashrrev_i32 v7, 31, v51 :: v_dual_ashrrev_i32 v51, 31, v52
	v_xor_b32_e32 v49, s5, v49
	v_xor_b32_e32 v50, s6, v50
	v_bitop3_b32 v6, v6, v9, v8 bitop3:0x80
	v_mad_u32_u24 v52, 0x44, v3, v2
	v_xor_b32_e32 v3, s7, v7
	v_xor_b32_e32 v7, s8, v51
	s_delay_alu instid0(VALU_DEP_4) | instskip(SKIP_2) | instid1(VALU_DEP_1)
	v_bitop3_b32 v6, v6, v50, v49 bitop3:0x80
	ds_load_b32 v49, v52 offset:64
	; wave barrier
	v_bitop3_b32 v3, v6, v7, v3 bitop3:0x80
	v_mbcnt_lo_u32_b32 v51, v3, 0
	v_cmp_ne_u32_e64 s2, 0, v3
	s_delay_alu instid0(VALU_DEP_2) | instskip(SKIP_1) | instid1(SALU_CYCLE_1)
	v_cmp_eq_u32_e32 vcc_lo, 0, v51
	s_and_b32 s3, s2, vcc_lo
	s_and_saveexec_b32 s2, s3
	s_cbranch_execz .LBB2069_45
; %bb.44:
	s_wait_dscnt 0x0
	v_bcnt_u32_b32 v3, v3, v49
	ds_store_b32 v52, v3 offset:64
.LBB2069_45:
	s_or_b32 exec_lo, exec_lo, s2
	v_cmp_lt_i16_e32 vcc_lo, -1, v5
	; wave barrier
	v_cndmask_b32_e64 v3, -1, 0xffff8000, vcc_lo
	s_delay_alu instid0(VALU_DEP_1) | instskip(NEXT) | instid1(VALU_DEP_1)
	v_xor_b32_e32 v50, v3, v5
	v_cmp_ne_u16_e32 vcc_lo, 0x7fff, v50
	v_cndmask_b32_e32 v3, 0xffff8000, v50, vcc_lo
	s_delay_alu instid0(VALU_DEP_1) | instskip(NEXT) | instid1(VALU_DEP_1)
	v_and_b32_e32 v3, 0xffff, v3
	v_lshrrev_b32_e32 v3, s20, v3
	s_delay_alu instid0(VALU_DEP_1) | instskip(SKIP_1) | instid1(VALU_DEP_2)
	v_bitop3_b32 v5, v3, 1, s25 bitop3:0x80
	v_and_b32_e32 v3, s25, v3
	v_add_co_u32 v5, s2, v5, -1
	s_delay_alu instid0(VALU_DEP_1) | instskip(NEXT) | instid1(VALU_DEP_3)
	v_cndmask_b32_e64 v6, 0, 1, s2
	v_lshlrev_b32_e32 v7, 30, v3
	s_delay_alu instid0(VALU_DEP_2) | instskip(NEXT) | instid1(VALU_DEP_2)
	v_cmp_ne_u32_e32 vcc_lo, 0, v6
	v_not_b32_e32 v6, v7
	s_delay_alu instid0(VALU_DEP_1) | instskip(SKIP_4) | instid1(VALU_DEP_4)
	v_dual_ashrrev_i32 v6, 31, v6 :: v_dual_bitop2_b32 v5, vcc_lo, v5 bitop3:0x14
	v_dual_lshlrev_b32 v8, 29, v3 :: v_dual_lshlrev_b32 v9, 28, v3
	v_dual_lshlrev_b32 v53, 27, v3 :: v_dual_lshlrev_b32 v54, 26, v3
	v_lshlrev_b32_e32 v55, 25, v3
	v_cmp_gt_i32_e64 s2, 0, v7
	v_cmp_gt_i32_e64 s3, 0, v8
	v_not_b32_e32 v7, v8
	v_not_b32_e32 v8, v9
	v_lshlrev_b32_e32 v56, 24, v3
	v_cmp_gt_i32_e64 s4, 0, v9
	v_cmp_gt_i32_e64 s5, 0, v53
	v_not_b32_e32 v9, v53
	v_not_b32_e32 v53, v54
	v_dual_ashrrev_i32 v7, 31, v7 :: v_dual_bitop2_b32 v6, s2, v6 bitop3:0x14
	v_ashrrev_i32_e32 v8, 31, v8
	v_cmp_gt_i32_e64 s6, 0, v54
	v_cmp_gt_i32_e64 s7, 0, v55
	v_not_b32_e32 v54, v55
	v_not_b32_e32 v55, v56
	v_dual_ashrrev_i32 v9, 31, v9 :: v_dual_bitop2_b32 v7, s3, v7 bitop3:0x14
	v_dual_ashrrev_i32 v53, 31, v53 :: v_dual_bitop2_b32 v8, s4, v8 bitop3:0x14
	v_bitop3_b32 v5, v5, v6, exec_lo bitop3:0x80
	v_cmp_gt_i32_e64 s8, 0, v56
	v_dual_ashrrev_i32 v6, 31, v54 :: v_dual_ashrrev_i32 v54, 31, v55
	v_xor_b32_e32 v9, s5, v9
	v_xor_b32_e32 v53, s6, v53
	v_bitop3_b32 v5, v5, v8, v7 bitop3:0x80
	v_mad_u32_u24 v57, 0x44, v3, v2
	v_xor_b32_e32 v3, s7, v6
	v_xor_b32_e32 v6, s8, v54
	s_delay_alu instid0(VALU_DEP_4) | instskip(SKIP_2) | instid1(VALU_DEP_1)
	v_bitop3_b32 v5, v5, v53, v9 bitop3:0x80
	ds_load_b32 v53, v57 offset:64
	; wave barrier
	v_bitop3_b32 v3, v5, v6, v3 bitop3:0x80
	v_mbcnt_lo_u32_b32 v54, v3, 0
	v_cmp_ne_u32_e64 s2, 0, v3
	s_delay_alu instid0(VALU_DEP_2) | instskip(SKIP_1) | instid1(SALU_CYCLE_1)
	v_cmp_eq_u32_e32 vcc_lo, 0, v54
	s_and_b32 s3, s2, vcc_lo
	s_and_saveexec_b32 s2, s3
	s_cbranch_execz .LBB2069_47
; %bb.46:
	s_wait_dscnt 0x0
	v_bcnt_u32_b32 v3, v3, v53
	ds_store_b32 v57, v3 offset:64
.LBB2069_47:
	s_or_b32 exec_lo, exec_lo, s2
	v_cmp_lt_i16_e32 vcc_lo, -1, v4
	; wave barrier
	v_cndmask_b32_e64 v3, -1, 0xffff8000, vcc_lo
	s_delay_alu instid0(VALU_DEP_1) | instskip(NEXT) | instid1(VALU_DEP_1)
	v_xor_b32_e32 v55, v3, v4
	v_cmp_ne_u16_e32 vcc_lo, 0x7fff, v55
	v_cndmask_b32_e32 v3, 0xffff8000, v55, vcc_lo
	s_delay_alu instid0(VALU_DEP_1) | instskip(NEXT) | instid1(VALU_DEP_1)
	v_and_b32_e32 v3, 0xffff, v3
	v_lshrrev_b32_e32 v3, s20, v3
	s_delay_alu instid0(VALU_DEP_1) | instskip(SKIP_1) | instid1(VALU_DEP_2)
	v_bitop3_b32 v4, v3, 1, s25 bitop3:0x80
	v_and_b32_e32 v3, s25, v3
	v_add_co_u32 v4, s2, v4, -1
	s_delay_alu instid0(VALU_DEP_1) | instskip(NEXT) | instid1(VALU_DEP_3)
	v_cndmask_b32_e64 v5, 0, 1, s2
	v_lshlrev_b32_e32 v6, 30, v3
	s_delay_alu instid0(VALU_DEP_2) | instskip(NEXT) | instid1(VALU_DEP_2)
	v_cmp_ne_u32_e32 vcc_lo, 0, v5
	v_not_b32_e32 v5, v6
	s_delay_alu instid0(VALU_DEP_1) | instskip(SKIP_4) | instid1(VALU_DEP_4)
	v_dual_ashrrev_i32 v5, 31, v5 :: v_dual_bitop2_b32 v4, vcc_lo, v4 bitop3:0x14
	v_dual_lshlrev_b32 v7, 29, v3 :: v_dual_lshlrev_b32 v8, 28, v3
	v_dual_lshlrev_b32 v9, 27, v3 :: v_dual_lshlrev_b32 v56, 26, v3
	v_lshlrev_b32_e32 v58, 25, v3
	v_cmp_gt_i32_e64 s2, 0, v6
	v_cmp_gt_i32_e64 s3, 0, v7
	v_not_b32_e32 v6, v7
	v_not_b32_e32 v7, v8
	v_lshlrev_b32_e32 v59, 24, v3
	v_cmp_gt_i32_e64 s4, 0, v8
	v_cmp_gt_i32_e64 s5, 0, v9
	v_not_b32_e32 v8, v9
	v_not_b32_e32 v9, v56
	v_dual_ashrrev_i32 v6, 31, v6 :: v_dual_ashrrev_i32 v7, 31, v7
	v_xor_b32_e32 v5, s2, v5
	v_cmp_gt_i32_e64 s6, 0, v56
	v_cmp_gt_i32_e64 s7, 0, v58
	v_not_b32_e32 v56, v58
	v_not_b32_e32 v58, v59
	v_dual_ashrrev_i32 v8, 31, v8 :: v_dual_ashrrev_i32 v9, 31, v9
	v_xor_b32_e32 v6, s3, v6
	v_xor_b32_e32 v7, s4, v7
	v_bitop3_b32 v4, v4, v5, exec_lo bitop3:0x80
	v_cmp_gt_i32_e64 s8, 0, v59
	v_dual_ashrrev_i32 v5, 31, v56 :: v_dual_ashrrev_i32 v56, 31, v58
	v_xor_b32_e32 v8, s5, v8
	v_xor_b32_e32 v9, s6, v9
	v_bitop3_b32 v4, v4, v7, v6 bitop3:0x80
	v_mad_u32_u24 v59, 0x44, v3, v2
	v_xor_b32_e32 v2, s7, v5
	v_xor_b32_e32 v3, s8, v56
	s_delay_alu instid0(VALU_DEP_4) | instskip(SKIP_2) | instid1(VALU_DEP_1)
	v_bitop3_b32 v4, v4, v9, v8 bitop3:0x80
	ds_load_b32 v56, v59 offset:64
	; wave barrier
	v_bitop3_b32 v2, v4, v3, v2 bitop3:0x80
	v_mbcnt_lo_u32_b32 v58, v2, 0
	v_cmp_ne_u32_e64 s2, 0, v2
	s_delay_alu instid0(VALU_DEP_2) | instskip(SKIP_1) | instid1(SALU_CYCLE_1)
	v_cmp_eq_u32_e32 vcc_lo, 0, v58
	s_and_b32 s3, s2, vcc_lo
	s_and_saveexec_b32 s2, s3
	s_cbranch_execz .LBB2069_49
; %bb.48:
	s_wait_dscnt 0x0
	v_bcnt_u32_b32 v2, v2, v56
	ds_store_b32 v59, v2 offset:64
.LBB2069_49:
	s_or_b32 exec_lo, exec_lo, s2
	; wave barrier
	s_wait_dscnt 0x0
	s_barrier_signal -1
	s_barrier_wait -1
	ds_load_2addr_b32 v[8:9], v13 offset0:16 offset1:17
	ds_load_2addr_b32 v[6:7], v13 offset0:18 offset1:19
	;; [unrolled: 1-line block ×4, first 2 shown]
	ds_load_b32 v60, v13 offset:96
	s_mov_b32 s6, exec_lo
	s_wait_dscnt 0x3
	v_add3_u32 v61, v9, v8, v6
	s_wait_dscnt 0x2
	s_delay_alu instid0(VALU_DEP_1) | instskip(SKIP_1) | instid1(VALU_DEP_1)
	v_add3_u32 v61, v61, v7, v4
	s_wait_dscnt 0x1
	v_add3_u32 v61, v61, v5, v2
	s_wait_dscnt 0x0
	s_delay_alu instid0(VALU_DEP_1) | instskip(SKIP_1) | instid1(VALU_DEP_2)
	v_add3_u32 v60, v61, v3, v60
	v_and_b32_e32 v61, 15, v14
	v_mov_b32_dpp v62, v60 row_shr:1 row_mask:0xf bank_mask:0xf
	s_delay_alu instid0(VALU_DEP_2) | instskip(NEXT) | instid1(VALU_DEP_2)
	v_cmp_eq_u32_e32 vcc_lo, 0, v61
	v_cndmask_b32_e64 v62, v62, 0, vcc_lo
	s_delay_alu instid0(VALU_DEP_1) | instskip(SKIP_3) | instid1(VALU_DEP_4)
	v_add_nc_u32_e32 v60, v62, v60
	v_cmp_lt_u32_e64 s2, 1, v61
	v_cmp_lt_u32_e64 s3, 3, v61
	;; [unrolled: 1-line block ×3, first 2 shown]
	v_mov_b32_dpp v62, v60 row_shr:2 row_mask:0xf bank_mask:0xf
	s_delay_alu instid0(VALU_DEP_1) | instskip(NEXT) | instid1(VALU_DEP_1)
	v_cndmask_b32_e64 v62, 0, v62, s2
	v_add_nc_u32_e32 v60, v60, v62
	s_delay_alu instid0(VALU_DEP_1) | instskip(NEXT) | instid1(VALU_DEP_1)
	v_mov_b32_dpp v62, v60 row_shr:4 row_mask:0xf bank_mask:0xf
	v_cndmask_b32_e64 v62, 0, v62, s3
	s_delay_alu instid0(VALU_DEP_1) | instskip(NEXT) | instid1(VALU_DEP_1)
	v_add_nc_u32_e32 v60, v60, v62
	v_mov_b32_dpp v62, v60 row_shr:8 row_mask:0xf bank_mask:0xf
	s_delay_alu instid0(VALU_DEP_1) | instskip(SKIP_1) | instid1(VALU_DEP_2)
	v_cndmask_b32_e64 v61, 0, v62, s4
	v_bfe_i32 v62, v14, 4, 1
	v_add_nc_u32_e32 v60, v60, v61
	ds_swizzle_b32 v61, v60 offset:swizzle(BROADCAST,32,15)
	s_wait_dscnt 0x0
	v_and_b32_e32 v61, v62, v61
	v_min_u32_e32 v62, 0x1e0, v15
	s_delay_alu instid0(VALU_DEP_1) | instskip(SKIP_1) | instid1(VALU_DEP_2)
	v_dual_add_nc_u32 v60, v60, v61 :: v_dual_bitop2_b32 v62, 31, v62 bitop3:0x54
	v_lshrrev_b32_e32 v61, 5, v1
	v_cmpx_eq_u32_e64 v1, v62
; %bb.50:
	s_delay_alu instid0(VALU_DEP_2)
	v_lshlrev_b32_e32 v62, 2, v61
	ds_store_b32 v62, v60
; %bb.51:
	s_or_b32 exec_lo, exec_lo, s6
	s_delay_alu instid0(SALU_CYCLE_1)
	s_mov_b32 s6, exec_lo
	s_wait_dscnt 0x0
	s_barrier_signal -1
	s_barrier_wait -1
	v_cmpx_gt_u32_e32 16, v1
	s_cbranch_execz .LBB2069_53
; %bb.52:
	v_lshlrev_b32_e32 v62, 2, v1
	ds_load_b32 v63, v62
	s_wait_dscnt 0x0
	v_mov_b32_dpp v64, v63 row_shr:1 row_mask:0xf bank_mask:0xf
	s_delay_alu instid0(VALU_DEP_1) | instskip(NEXT) | instid1(VALU_DEP_1)
	v_cndmask_b32_e64 v64, v64, 0, vcc_lo
	v_add_nc_u32_e32 v63, v64, v63
	s_delay_alu instid0(VALU_DEP_1) | instskip(NEXT) | instid1(VALU_DEP_1)
	v_mov_b32_dpp v64, v63 row_shr:2 row_mask:0xf bank_mask:0xf
	v_cndmask_b32_e64 v64, 0, v64, s2
	s_delay_alu instid0(VALU_DEP_1) | instskip(NEXT) | instid1(VALU_DEP_1)
	v_add_nc_u32_e32 v63, v63, v64
	v_mov_b32_dpp v64, v63 row_shr:4 row_mask:0xf bank_mask:0xf
	s_delay_alu instid0(VALU_DEP_1) | instskip(NEXT) | instid1(VALU_DEP_1)
	v_cndmask_b32_e64 v64, 0, v64, s3
	v_add_nc_u32_e32 v63, v63, v64
	s_delay_alu instid0(VALU_DEP_1) | instskip(NEXT) | instid1(VALU_DEP_1)
	v_mov_b32_dpp v64, v63 row_shr:8 row_mask:0xf bank_mask:0xf
	v_cndmask_b32_e64 v64, 0, v64, s4
	s_delay_alu instid0(VALU_DEP_1)
	v_add_nc_u32_e32 v63, v63, v64
	ds_store_b32 v62, v63
.LBB2069_53:
	s_or_b32 exec_lo, exec_lo, s6
	v_mov_b32_e32 v62, 0
	s_mov_b32 s2, exec_lo
	s_wait_dscnt 0x0
	s_barrier_signal -1
	s_barrier_wait -1
	v_cmpx_lt_u32_e32 31, v1
; %bb.54:
	v_lshl_add_u32 v61, v61, 2, -4
	ds_load_b32 v62, v61
; %bb.55:
	s_or_b32 exec_lo, exec_lo, s2
	v_sub_co_u32 v61, vcc_lo, v14, 1
	s_wait_dscnt 0x0
	v_add_nc_u32_e32 v60, v62, v60
	s_delay_alu instid0(VALU_DEP_2) | instskip(NEXT) | instid1(VALU_DEP_1)
	v_cmp_gt_i32_e64 s2, 0, v61
	v_cndmask_b32_e64 v61, v61, v14, s2
	v_cmp_gt_u32_e64 s2, 0x100, v1
	s_delay_alu instid0(VALU_DEP_2) | instskip(SKIP_4) | instid1(VALU_DEP_2)
	v_lshlrev_b32_e32 v61, 2, v61
	ds_bpermute_b32 v60, v61, v60
	s_wait_dscnt 0x0
	v_cndmask_b32_e32 v60, v60, v62, vcc_lo
	v_cmp_ne_u32_e32 vcc_lo, 0, v1
	v_cndmask_b32_e32 v60, 0, v60, vcc_lo
	v_cmp_lt_u32_e32 vcc_lo, 0xff, v1
	s_delay_alu instid0(VALU_DEP_2) | instskip(NEXT) | instid1(VALU_DEP_1)
	v_add_nc_u32_e32 v8, v60, v8
	v_add_nc_u32_e32 v9, v8, v9
	s_delay_alu instid0(VALU_DEP_1) | instskip(NEXT) | instid1(VALU_DEP_1)
	v_add_nc_u32_e32 v6, v9, v6
	v_add_nc_u32_e32 v7, v6, v7
	s_delay_alu instid0(VALU_DEP_1) | instskip(NEXT) | instid1(VALU_DEP_1)
	v_add_nc_u32_e32 v4, v7, v4
	v_add_nc_u32_e32 v5, v4, v5
	s_delay_alu instid0(VALU_DEP_1) | instskip(NEXT) | instid1(VALU_DEP_1)
	v_add_nc_u32_e32 v2, v5, v2
	v_add_nc_u32_e32 v3, v2, v3
	ds_store_2addr_b32 v13, v60, v8 offset0:16 offset1:17
	ds_store_2addr_b32 v13, v9, v6 offset0:18 offset1:19
	;; [unrolled: 1-line block ×4, first 2 shown]
	ds_store_b32 v13, v3 offset:96
	s_wait_dscnt 0x0
	s_barrier_signal -1
	s_barrier_wait -1
	ds_load_b32 v61, v16 offset:64
	ds_load_b32 v62, v20 offset:64
	;; [unrolled: 1-line block ×12, first 2 shown]
	v_mov_b64_e32 v[2:3], 0
                                        ; implicit-def: $vgpr4
	s_and_saveexec_b32 s4, s2
	s_cbranch_execz .LBB2069_59
; %bb.56:
	v_mul_u32_u24_e32 v2, 0x44, v1
	v_dual_mov_b32 v3, 0x1800 :: v_dual_add_nc_u32 v4, 1, v1
	s_mov_b32 s5, exec_lo
	ds_load_b32 v2, v2 offset:64
	v_cmpx_ne_u32_e32 0x100, v4
; %bb.57:
	v_mul_u32_u24_e32 v3, 0x44, v4
	ds_load_b32 v3, v3 offset:64
; %bb.58:
	s_or_b32 exec_lo, exec_lo, s5
	s_wait_dscnt 0x0
	v_dual_mov_b32 v3, 0 :: v_dual_sub_nc_u32 v4, v3, v2
.LBB2069_59:
	s_or_b32 exec_lo, exec_lo, s4
	s_wait_dscnt 0xa
	v_dual_lshlrev_b32 v11, 1, v11 :: v_dual_lshlrev_b32 v28, 1, v62
	v_dual_lshlrev_b32 v19, 1, v19 :: v_dual_lshlrev_b32 v18, 1, v18
	v_lshlrev_b32_e32 v22, 1, v22
	s_delay_alu instid0(VALU_DEP_3)
	v_lshl_add_u32 v11, v61, 1, v11
	v_lshlrev_b32_e32 v23, 1, v23
	s_wait_dscnt 0x0
	v_add3_u32 v18, v28, v19, v18
	v_lshlrev_b32_e32 v19, 1, v60
	s_barrier_signal -1
	s_barrier_wait -1
	ds_store_b16 v11, v10 offset:2048
	ds_store_b16 v18, v12 offset:2048
	v_lshlrev_b32_e32 v11, 1, v24
	v_add3_u32 v10, v19, v23, v22
	v_dual_lshlrev_b32 v12, 1, v27 :: v_dual_lshlrev_b32 v18, 1, v26
	v_dual_lshlrev_b32 v22, 1, v29 :: v_dual_lshlrev_b32 v16, 1, v16
	;; [unrolled: 1-line block ×6, first 2 shown]
	ds_store_b16 v10, v17 offset:2048
	v_add3_u32 v10, v11, v12, v18
	v_add3_u32 v12, v16, v23, v24
	v_dual_lshlrev_b32 v16, 1, v43 :: v_dual_lshlrev_b32 v17, 1, v42
	v_add3_u32 v11, v19, v20, v22
	v_add3_u32 v13, v13, v26, v27
	ds_store_b16 v10, v21 offset:2048
	ds_store_b16 v11, v25 offset:2048
	;; [unrolled: 1-line block ×4, first 2 shown]
	v_add3_u32 v9, v9, v16, v17
	v_dual_lshlrev_b32 v8, 1, v8 :: v_dual_lshlrev_b32 v10, 1, v47
	v_dual_lshlrev_b32 v11, 1, v46 :: v_dual_lshlrev_b32 v7, 1, v7
	;; [unrolled: 1-line block ×6, first 2 shown]
	ds_store_b16 v9, v37 offset:2048
	v_add3_u32 v8, v8, v10, v11
	v_add3_u32 v9, v7, v12, v13
	;; [unrolled: 1-line block ×3, first 2 shown]
	v_dual_mov_b32 v7, 0 :: v_dual_lshlrev_b32 v5, 3, v1
	v_add3_u32 v6, v6, v16, v17
	ds_store_b16 v8, v41 offset:2048
	ds_store_b16 v9, v45 offset:2048
	;; [unrolled: 1-line block ×4, first 2 shown]
	s_and_saveexec_b32 s3, s2
	s_cbranch_execz .LBB2069_69
; %bb.60:
	v_lshl_add_u32 v6, s9, 8, v1
	v_dual_mov_b32 v10, 0 :: v_dual_bitop2_b32 v11, 2.0, v4 bitop3:0x54
	s_mov_b32 s4, 0
	s_mov_b32 s5, s9
	s_delay_alu instid0(VALU_DEP_2)
	v_lshl_add_u64 v[8:9], v[6:7], 2, s[10:11]
	global_store_b32 v6, v11, s[10:11] scale_offset scope:SCOPE_DEV
                                        ; implicit-def: $sgpr2
	s_branch .LBB2069_63
.LBB2069_61:                            ;   in Loop: Header=BB2069_63 Depth=1
	s_or_b32 exec_lo, exec_lo, s7
.LBB2069_62:                            ;   in Loop: Header=BB2069_63 Depth=1
	s_delay_alu instid0(SALU_CYCLE_1) | instskip(SKIP_2) | instid1(VALU_DEP_2)
	s_or_b32 exec_lo, exec_lo, s6
	v_and_b32_e32 v6, 0x3fffffff, v11
	v_cmp_gt_i32_e64 s2, -2.0, v11
	v_add_nc_u32_e32 v10, v6, v10
	s_and_b32 s6, exec_lo, s2
	s_delay_alu instid0(SALU_CYCLE_1) | instskip(NEXT) | instid1(SALU_CYCLE_1)
	s_or_b32 s4, s6, s4
	s_and_not1_b32 exec_lo, exec_lo, s4
	s_cbranch_execz .LBB2069_68
.LBB2069_63:                            ; =>This Loop Header: Depth=1
                                        ;     Child Loop BB2069_66 Depth 2
	s_or_b32 s2, s2, exec_lo
	s_cmp_eq_u32 s5, 0
	s_cbranch_scc1 .LBB2069_67
; %bb.64:                               ;   in Loop: Header=BB2069_63 Depth=1
	s_add_co_i32 s5, s5, -1
	s_mov_b32 s6, exec_lo
	s_wait_xcnt 0x0
	v_lshl_or_b32 v6, s5, 8, v1
	global_load_b32 v11, v6, s[10:11] scale_offset scope:SCOPE_DEV
	s_wait_loadcnt 0x0
	v_cmpx_gt_u32_e32 2.0, v11
	s_cbranch_execz .LBB2069_62
; %bb.65:                               ;   in Loop: Header=BB2069_63 Depth=1
	v_lshl_add_u64 v[12:13], v[6:7], 2, s[10:11]
	s_mov_b32 s7, 0
.LBB2069_66:                            ;   Parent Loop BB2069_63 Depth=1
                                        ; =>  This Inner Loop Header: Depth=2
	global_load_b32 v11, v[12:13], off scope:SCOPE_DEV
	s_wait_loadcnt 0x0
	v_cmp_lt_u32_e64 s2, 0x3fffffff, v11
	s_or_b32 s7, s2, s7
	s_wait_xcnt 0x0
	s_and_not1_b32 exec_lo, exec_lo, s7
	s_cbranch_execnz .LBB2069_66
	s_branch .LBB2069_61
.LBB2069_67:                            ;   in Loop: Header=BB2069_63 Depth=1
                                        ; implicit-def: $sgpr5
	s_and_b32 s6, exec_lo, s2
	s_delay_alu instid0(SALU_CYCLE_1)
	s_or_b32 s4, s6, s4
	s_wait_xcnt 0x0
	s_and_not1_b32 exec_lo, exec_lo, s4
	s_cbranch_execnz .LBB2069_63
.LBB2069_68:
	s_or_b32 exec_lo, exec_lo, s4
	v_dual_mov_b32 v11, 0 :: v_dual_add_nc_u32 v6, v10, v4
	s_delay_alu instid0(VALU_DEP_1) | instskip(SKIP_4) | instid1(VALU_DEP_1)
	v_or_b32_e32 v6, 0x80000000, v6
	global_store_b32 v[8:9], v6, off scope:SCOPE_DEV
	global_load_b64 v[6:7], v1, s[12:13] scale_offset
	v_sub_nc_u64_e32 v[8:9], v[10:11], v[2:3]
	s_wait_loadcnt 0x0
	v_add_nc_u64_e32 v[6:7], v[8:9], v[6:7]
	ds_store_b64 v5, v[6:7]
.LBB2069_69:
	s_wait_xcnt 0x0
	s_or_b32 exec_lo, exec_lo, s3
	v_mad_i32_i24 v8, v1, -6, v5
	v_lshlrev_b32_e32 v6, 1, v1
	s_mov_b32 s3, exec_lo
	s_wait_storecnt_dscnt 0x0
	s_barrier_signal -1
	s_barrier_wait -1
	v_cmpx_gt_u32_e64 s22, v1
	s_cbranch_execz .LBB2069_71
; %bb.70:
	ds_load_u16 v9, v8 offset:2048
	s_wait_dscnt 0x0
	v_cmp_ne_u16_e64 s2, 0x7fff, v9
	s_delay_alu instid0(VALU_DEP_1) | instskip(SKIP_1) | instid1(VALU_DEP_2)
	v_cndmask_b32_e64 v7, 0xffff8000, v9, s2
	v_cmp_lt_i16_e64 s2, -1, v9
	v_and_b32_e32 v7, 0xffff, v7
	s_delay_alu instid0(VALU_DEP_2) | instskip(NEXT) | instid1(VALU_DEP_2)
	v_cndmask_b32_e64 v12, 0xffff8000, -1, s2
	v_lshrrev_b32_e32 v7, s20, v7
	s_delay_alu instid0(VALU_DEP_1) | instskip(NEXT) | instid1(VALU_DEP_1)
	v_and_b32_e32 v7, s25, v7
	v_lshlrev_b32_e32 v7, 3, v7
	ds_load_b64 v[10:11], v7
	v_mov_b32_e32 v7, 0
	s_wait_dscnt 0x0
	v_lshl_add_u64 v[10:11], v[10:11], 1, s[18:19]
	s_delay_alu instid0(VALU_DEP_1)
	v_add_nc_u64_e32 v[10:11], v[10:11], v[6:7]
	v_xor_b32_e32 v7, v12, v9
	global_store_b16 v[10:11], v7, off
.LBB2069_71:
	s_wait_xcnt 0x0
	s_or_b32 exec_lo, exec_lo, s3
	v_add_nc_u32_e32 v7, 0x200, v1
	s_mov_b32 s3, exec_lo
	s_delay_alu instid0(VALU_DEP_1)
	v_cmpx_gt_u32_e64 s22, v7
	s_cbranch_execz .LBB2069_73
; %bb.72:
	ds_load_u16 v9, v8 offset:3072
	s_wait_dscnt 0x0
	v_cmp_ne_u16_e64 s2, 0x7fff, v9
	s_delay_alu instid0(VALU_DEP_1) | instskip(SKIP_1) | instid1(VALU_DEP_2)
	v_cndmask_b32_e64 v7, 0xffff8000, v9, s2
	v_cmp_lt_i16_e64 s2, -1, v9
	v_and_b32_e32 v7, 0xffff, v7
	s_delay_alu instid0(VALU_DEP_2) | instskip(NEXT) | instid1(VALU_DEP_2)
	v_cndmask_b32_e64 v12, 0xffff8000, -1, s2
	v_lshrrev_b32_e32 v7, s20, v7
	s_delay_alu instid0(VALU_DEP_1) | instskip(NEXT) | instid1(VALU_DEP_1)
	v_and_b32_e32 v7, s25, v7
	v_lshlrev_b32_e32 v7, 3, v7
	ds_load_b64 v[10:11], v7
	v_mov_b32_e32 v7, 0
	s_wait_dscnt 0x0
	v_lshl_add_u64 v[10:11], v[10:11], 1, s[18:19]
	s_delay_alu instid0(VALU_DEP_1)
	v_add_nc_u64_e32 v[10:11], v[10:11], v[6:7]
	v_xor_b32_e32 v7, v12, v9
	global_store_b16 v[10:11], v7, off offset:1024
.LBB2069_73:
	s_wait_xcnt 0x0
	s_or_b32 exec_lo, exec_lo, s3
	v_or_b32_e32 v7, 0x400, v1
	s_mov_b32 s3, exec_lo
	s_delay_alu instid0(VALU_DEP_1)
	v_cmpx_gt_u32_e64 s22, v7
	s_cbranch_execz .LBB2069_75
; %bb.74:
	ds_load_u16 v9, v8 offset:4096
	s_wait_dscnt 0x0
	v_cmp_ne_u16_e64 s2, 0x7fff, v9
	s_delay_alu instid0(VALU_DEP_1) | instskip(SKIP_1) | instid1(VALU_DEP_2)
	v_cndmask_b32_e64 v7, 0xffff8000, v9, s2
	v_cmp_lt_i16_e64 s2, -1, v9
	v_and_b32_e32 v7, 0xffff, v7
	s_delay_alu instid0(VALU_DEP_2) | instskip(NEXT) | instid1(VALU_DEP_2)
	v_cndmask_b32_e64 v12, 0xffff8000, -1, s2
	v_lshrrev_b32_e32 v7, s20, v7
	s_delay_alu instid0(VALU_DEP_1) | instskip(NEXT) | instid1(VALU_DEP_1)
	v_and_b32_e32 v7, s25, v7
	v_lshlrev_b32_e32 v7, 3, v7
	ds_load_b64 v[10:11], v7
	v_mov_b32_e32 v7, 0
	s_wait_dscnt 0x0
	v_lshl_add_u64 v[10:11], v[10:11], 1, s[18:19]
	s_delay_alu instid0(VALU_DEP_1)
	v_add_nc_u64_e32 v[10:11], v[10:11], v[6:7]
	v_xor_b32_e32 v7, v12, v9
	global_store_b16 v[10:11], v7, off offset:2048
.LBB2069_75:
	s_wait_xcnt 0x0
	s_or_b32 exec_lo, exec_lo, s3
	v_add_nc_u32_e32 v7, 0x600, v1
	s_mov_b32 s3, exec_lo
	s_delay_alu instid0(VALU_DEP_1)
	v_cmpx_gt_u32_e64 s22, v7
	s_cbranch_execz .LBB2069_77
; %bb.76:
	ds_load_u16 v9, v8 offset:5120
	s_wait_dscnt 0x0
	v_cmp_ne_u16_e64 s2, 0x7fff, v9
	s_delay_alu instid0(VALU_DEP_1) | instskip(SKIP_1) | instid1(VALU_DEP_2)
	v_cndmask_b32_e64 v7, 0xffff8000, v9, s2
	v_cmp_lt_i16_e64 s2, -1, v9
	v_and_b32_e32 v7, 0xffff, v7
	s_delay_alu instid0(VALU_DEP_2) | instskip(NEXT) | instid1(VALU_DEP_2)
	v_cndmask_b32_e64 v12, 0xffff8000, -1, s2
	v_lshrrev_b32_e32 v7, s20, v7
	s_delay_alu instid0(VALU_DEP_1) | instskip(NEXT) | instid1(VALU_DEP_1)
	v_and_b32_e32 v7, s25, v7
	v_lshlrev_b32_e32 v7, 3, v7
	ds_load_b64 v[10:11], v7
	v_mov_b32_e32 v7, 0
	s_wait_dscnt 0x0
	v_lshl_add_u64 v[10:11], v[10:11], 1, s[18:19]
	s_delay_alu instid0(VALU_DEP_1)
	v_add_nc_u64_e32 v[10:11], v[10:11], v[6:7]
	v_xor_b32_e32 v7, v12, v9
	global_store_b16 v[10:11], v7, off offset:3072
.LBB2069_77:
	s_wait_xcnt 0x0
	s_or_b32 exec_lo, exec_lo, s3
	v_or_b32_e32 v7, 0x800, v1
	s_mov_b32 s3, exec_lo
	s_delay_alu instid0(VALU_DEP_1)
	v_cmpx_gt_u32_e64 s22, v7
	s_cbranch_execz .LBB2069_79
; %bb.78:
	ds_load_u16 v9, v8 offset:6144
	s_wait_dscnt 0x0
	v_cmp_ne_u16_e64 s2, 0x7fff, v9
	s_delay_alu instid0(VALU_DEP_1) | instskip(SKIP_1) | instid1(VALU_DEP_2)
	v_cndmask_b32_e64 v7, 0xffff8000, v9, s2
	v_cmp_lt_i16_e64 s2, -1, v9
	v_and_b32_e32 v7, 0xffff, v7
	s_delay_alu instid0(VALU_DEP_2) | instskip(NEXT) | instid1(VALU_DEP_2)
	v_cndmask_b32_e64 v12, 0xffff8000, -1, s2
	v_lshrrev_b32_e32 v7, s20, v7
	s_delay_alu instid0(VALU_DEP_1) | instskip(NEXT) | instid1(VALU_DEP_1)
	v_and_b32_e32 v7, s25, v7
	v_lshlrev_b32_e32 v7, 3, v7
	ds_load_b64 v[10:11], v7
	v_mov_b32_e32 v7, 0
	s_wait_dscnt 0x0
	v_lshl_add_u64 v[10:11], v[10:11], 1, s[18:19]
	s_delay_alu instid0(VALU_DEP_1)
	v_add_nc_u64_e32 v[10:11], v[10:11], v[6:7]
	v_xor_b32_e32 v7, v12, v9
	global_store_b16 v[10:11], v7, off offset:4096
.LBB2069_79:
	;; [unrolled: 60-line block ×5, first 2 shown]
	s_wait_xcnt 0x0
	s_or_b32 exec_lo, exec_lo, s3
	v_add_nc_u32_e32 v7, 0x1600, v1
	s_mov_b32 s3, exec_lo
	s_delay_alu instid0(VALU_DEP_1)
	v_cmpx_gt_u32_e64 s22, v7
	s_cbranch_execz .LBB2069_93
; %bb.92:
	ds_load_u16 v10, v6 offset:13312
	s_wait_dscnt 0x0
	v_cmp_ne_u16_e64 s2, 0x7fff, v10
	s_delay_alu instid0(VALU_DEP_1) | instskip(SKIP_1) | instid1(VALU_DEP_2)
	v_cndmask_b32_e64 v7, 0xffff8000, v10, s2
	v_cmp_lt_i16_e64 s2, -1, v10
	v_and_b32_e32 v7, 0xffff, v7
	s_delay_alu instid0(VALU_DEP_2) | instskip(NEXT) | instid1(VALU_DEP_2)
	v_cndmask_b32_e64 v11, 0xffff8000, -1, s2
	v_lshrrev_b32_e32 v7, s20, v7
	s_delay_alu instid0(VALU_DEP_1) | instskip(NEXT) | instid1(VALU_DEP_1)
	v_and_b32_e32 v7, s25, v7
	v_lshlrev_b32_e32 v7, 3, v7
	ds_load_b64 v[8:9], v7
	v_mov_b32_e32 v7, 0
	s_wait_dscnt 0x0
	v_lshl_add_u64 v[8:9], v[8:9], 1, s[18:19]
	s_delay_alu instid0(VALU_DEP_1)
	v_add_nc_u64_e32 v[6:7], v[8:9], v[6:7]
	v_xor_b32_e32 v8, v11, v10
	global_store_b16 v[6:7], v8, off offset:11264
.LBB2069_93:
	s_wait_xcnt 0x0
	s_or_b32 exec_lo, exec_lo, s3
	s_add_co_i32 s23, s23, -1
	s_delay_alu instid0(SALU_CYCLE_1) | instskip(SKIP_2) | instid1(SALU_CYCLE_1)
	s_cmp_eq_u32 s9, s23
	s_cselect_b32 s2, -1, 0
	s_xor_b32 s3, vcc_lo, -1
	s_and_b32 s3, s3, s2
	s_delay_alu instid0(SALU_CYCLE_1)
	s_and_saveexec_b32 s2, s3
	s_cbranch_execz .LBB2069_95
; %bb.94:
	ds_load_b64 v[6:7], v5
	v_mov_b32_e32 v5, 0
	s_delay_alu instid0(VALU_DEP_1) | instskip(SKIP_1) | instid1(VALU_DEP_1)
	v_add_nc_u64_e32 v[2:3], v[2:3], v[4:5]
	s_wait_dscnt 0x0
	v_add_nc_u64_e32 v[2:3], v[2:3], v[6:7]
	global_store_b64 v1, v[2:3], s[14:15] scale_offset
.LBB2069_95:
	s_wait_xcnt 0x0
	s_or_b32 exec_lo, exec_lo, s2
	s_mov_b32 s2, 0
.LBB2069_96:
	s_delay_alu instid0(SALU_CYCLE_1)
	s_and_b32 vcc_lo, exec_lo, s2
	s_cbranch_vccz .LBB2069_143
; %bb.97:
	s_mov_b32 s25, 0
	v_dual_mov_b32 v9, 0 :: v_dual_lshlrev_b32 v8, 1, v14
	s_lshl_b64 s[2:3], s[24:25], 1
	v_mul_u32_u24_e32 v1, 12, v15
	s_add_nc_u64 s[2:3], s[16:17], s[2:3]
	v_bfe_u32 v17, v0, 20, 10
	v_add_nc_u64_e32 v[2:3], s[2:3], v[8:9]
	s_delay_alu instid0(VALU_DEP_3) | instskip(NEXT) | instid1(VALU_DEP_1)
	v_lshlrev_b32_e32 v8, 1, v1
	v_add_nc_u64_e32 v[12:13], v[2:3], v[8:9]
	s_clause 0xb
	global_load_u16 v8, v[12:13], off
	global_load_u16 v10, v[12:13], off offset:64
	global_load_u16 v16, v[12:13], off offset:128
	;; [unrolled: 1-line block ×11, first 2 shown]
	s_clause 0x1
	s_load_b32 s7, s[0:1], 0x58
	s_load_u16 s2, s[0:1], 0x66
	v_bfe_u32 v13, v0, 10, 10
	v_and_b32_e32 v12, 0x3ff, v0
	s_wait_kmcnt 0x0
	s_cmp_lt_u32 s9, s7
	s_delay_alu instid0(VALU_DEP_2)
	v_mad_u32_u24 v0, v17, s2, v13
	s_cselect_b32 s24, 12, 18
	s_lshl_b32 s8, -1, s21
	s_add_nc_u64 s[0:1], s[26:27], s[24:25]
	s_load_u16 s16, s[0:1], 0x0
	s_wait_kmcnt 0x0
	v_mad_u32 v0, v0, s16, v12
	s_delay_alu instid0(VALU_DEP_1) | instskip(NEXT) | instid1(VALU_DEP_1)
	v_lshrrev_b32_e32 v0, 5, v0
	v_lshlrev_b32_e32 v0, 2, v0
	s_wait_loadcnt 0xb
	v_cmp_lt_i16_e32 vcc_lo, -1, v8
	v_cndmask_b32_e64 v11, -1, 0xffff8000, vcc_lo
	s_delay_alu instid0(VALU_DEP_1) | instskip(NEXT) | instid1(VALU_DEP_1)
	v_xor_b32_e32 v8, v11, v8
	v_cmp_ne_u16_e32 vcc_lo, 0x7fff, v8
	v_cndmask_b32_e32 v11, 0xffff8000, v8, vcc_lo
	s_delay_alu instid0(VALU_DEP_1) | instskip(NEXT) | instid1(VALU_DEP_1)
	v_and_b32_e32 v11, 0xffff, v11
	v_lshrrev_b32_e32 v11, s20, v11
	s_delay_alu instid0(VALU_DEP_1) | instskip(SKIP_2) | instid1(VALU_DEP_2)
	v_bitop3_b32 v13, v11, 1, s8 bitop3:0x40
	v_bitop3_b32 v18, v11, s8, v11 bitop3:0x30
	s_not_b32 s8, s8
	v_add_co_u32 v11, s0, v13, -1
	s_delay_alu instid0(VALU_DEP_1) | instskip(NEXT) | instid1(VALU_DEP_3)
	v_cndmask_b32_e64 v13, 0, 1, s0
	v_dual_lshlrev_b32 v17, 30, v18 :: v_dual_lshlrev_b32 v19, 29, v18
	v_dual_lshlrev_b32 v21, 28, v18 :: v_dual_lshlrev_b32 v22, 27, v18
	s_delay_alu instid0(VALU_DEP_3) | instskip(NEXT) | instid1(VALU_DEP_3)
	v_cmp_ne_u32_e32 vcc_lo, 0, v13
	v_not_b32_e32 v13, v17
	v_dual_lshlrev_b32 v23, 26, v18 :: v_dual_lshlrev_b32 v25, 25, v18
	v_lshlrev_b32_e32 v26, 24, v18
	v_cmp_gt_i32_e64 s0, 0, v17
	v_cmp_gt_i32_e64 s1, 0, v19
	v_not_b32_e32 v17, v19
	v_not_b32_e32 v19, v21
	v_ashrrev_i32_e32 v13, 31, v13
	v_cmp_gt_i32_e64 s2, 0, v21
	v_cmp_gt_i32_e64 s3, 0, v22
	v_not_b32_e32 v21, v22
	v_not_b32_e32 v22, v23
	v_dual_ashrrev_i32 v17, 31, v17 :: v_dual_bitop2_b32 v11, vcc_lo, v11 bitop3:0x14
	v_dual_ashrrev_i32 v19, 31, v19 :: v_dual_bitop2_b32 v13, s0, v13 bitop3:0x14
	v_cmp_gt_i32_e64 s4, 0, v23
	v_cmp_gt_i32_e64 s5, 0, v25
	v_not_b32_e32 v23, v25
	v_not_b32_e32 v25, v26
	v_dual_ashrrev_i32 v21, 31, v21 :: v_dual_ashrrev_i32 v22, 31, v22
	v_xor_b32_e32 v17, s1, v17
	v_xor_b32_e32 v19, s2, v19
	v_bitop3_b32 v11, v11, v13, exec_lo bitop3:0x80
	v_cmp_gt_i32_e64 s6, 0, v26
	v_dual_ashrrev_i32 v13, 31, v23 :: v_dual_ashrrev_i32 v23, 31, v25
	v_xor_b32_e32 v21, s3, v21
	v_xor_b32_e32 v22, s4, v22
	v_bitop3_b32 v11, v11, v19, v17 bitop3:0x80
	s_delay_alu instid0(VALU_DEP_4) | instskip(SKIP_1) | instid1(VALU_DEP_3)
	v_xor_b32_e32 v13, s5, v13
	v_xor_b32_e32 v17, s6, v23
	v_bitop3_b32 v19, v11, v22, v21 bitop3:0x80
	v_mul_u32_u24_e32 v11, 36, v12
	ds_store_2addr_b32 v11, v9, v9 offset0:16 offset1:17
	ds_store_2addr_b32 v11, v9, v9 offset0:18 offset1:19
	;; [unrolled: 1-line block ×4, first 2 shown]
	v_bitop3_b32 v17, v19, v17, v13 bitop3:0x80
	ds_store_b32 v11, v9 offset:96
	v_mad_u32_u24 v13, 0x44, v18, v0
	s_wait_storecnt 0x0
	s_wait_loadcnt_dscnt 0x0
	s_barrier_signal -1
	v_mbcnt_lo_u32_b32 v9, v17, 0
	v_cmp_ne_u32_e64 s0, 0, v17
	s_barrier_wait -1
	s_delay_alu instid0(VALU_DEP_2) | instskip(SKIP_1) | instid1(SALU_CYCLE_1)
	v_cmp_eq_u32_e32 vcc_lo, 0, v9
	; wave barrier
	s_and_b32 s1, s0, vcc_lo
	s_and_saveexec_b32 s0, s1
; %bb.98:
	v_bcnt_u32_b32 v17, v17, 0
	ds_store_b32 v13, v17 offset:64
; %bb.99:
	s_or_b32 exec_lo, exec_lo, s0
	v_cmp_lt_i16_e32 vcc_lo, -1, v10
	; wave barrier
	v_cndmask_b32_e64 v17, -1, 0xffff8000, vcc_lo
	s_delay_alu instid0(VALU_DEP_1) | instskip(NEXT) | instid1(VALU_DEP_1)
	v_xor_b32_e32 v10, v17, v10
	v_cmp_ne_u16_e32 vcc_lo, 0x7fff, v10
	v_cndmask_b32_e32 v17, 0xffff8000, v10, vcc_lo
	s_delay_alu instid0(VALU_DEP_1) | instskip(NEXT) | instid1(VALU_DEP_1)
	v_and_b32_e32 v17, 0xffff, v17
	v_lshrrev_b32_e32 v17, s20, v17
	s_delay_alu instid0(VALU_DEP_1) | instskip(SKIP_1) | instid1(VALU_DEP_2)
	v_bitop3_b32 v18, v17, 1, s8 bitop3:0x80
	v_and_b32_e32 v17, s8, v17
	v_add_co_u32 v18, s0, v18, -1
	s_delay_alu instid0(VALU_DEP_1) | instskip(NEXT) | instid1(VALU_DEP_3)
	v_cndmask_b32_e64 v19, 0, 1, s0
	v_lshlrev_b32_e32 v21, 30, v17
	s_delay_alu instid0(VALU_DEP_2) | instskip(NEXT) | instid1(VALU_DEP_2)
	v_cmp_ne_u32_e32 vcc_lo, 0, v19
	v_not_b32_e32 v19, v21
	s_delay_alu instid0(VALU_DEP_1) | instskip(SKIP_4) | instid1(VALU_DEP_4)
	v_dual_ashrrev_i32 v19, 31, v19 :: v_dual_bitop2_b32 v18, vcc_lo, v18 bitop3:0x14
	v_dual_lshlrev_b32 v22, 29, v17 :: v_dual_lshlrev_b32 v23, 28, v17
	v_dual_lshlrev_b32 v25, 27, v17 :: v_dual_lshlrev_b32 v26, 26, v17
	v_lshlrev_b32_e32 v27, 25, v17
	v_cmp_gt_i32_e64 s0, 0, v21
	v_cmp_gt_i32_e64 s1, 0, v22
	v_not_b32_e32 v21, v22
	v_not_b32_e32 v22, v23
	v_lshlrev_b32_e32 v28, 24, v17
	v_cmp_gt_i32_e64 s2, 0, v23
	v_cmp_gt_i32_e64 s3, 0, v25
	v_not_b32_e32 v23, v25
	v_not_b32_e32 v25, v26
	v_dual_ashrrev_i32 v21, 31, v21 :: v_dual_ashrrev_i32 v22, 31, v22
	v_xor_b32_e32 v19, s0, v19
	v_cmp_gt_i32_e64 s4, 0, v26
	v_cmp_gt_i32_e64 s5, 0, v27
	v_not_b32_e32 v26, v27
	v_not_b32_e32 v27, v28
	v_dual_ashrrev_i32 v23, 31, v23 :: v_dual_bitop2_b32 v21, s1, v21 bitop3:0x14
	v_dual_ashrrev_i32 v25, 31, v25 :: v_dual_bitop2_b32 v22, s2, v22 bitop3:0x14
	s_delay_alu instid0(VALU_DEP_3) | instskip(SKIP_4) | instid1(VALU_DEP_4)
	v_ashrrev_i32_e32 v27, 31, v27
	v_bitop3_b32 v18, v18, v19, exec_lo bitop3:0x80
	v_cmp_gt_i32_e64 s6, 0, v28
	v_dual_ashrrev_i32 v26, 31, v26 :: v_dual_bitop2_b32 v23, s3, v23 bitop3:0x14
	v_xor_b32_e32 v25, s4, v25
	v_bitop3_b32 v18, v18, v22, v21 bitop3:0x80
	v_mad_u32_u24 v19, 0x44, v17, v0
	s_delay_alu instid0(VALU_DEP_4) | instskip(SKIP_1) | instid1(VALU_DEP_4)
	v_xor_b32_e32 v21, s5, v26
	v_xor_b32_e32 v22, s6, v27
	v_bitop3_b32 v18, v18, v25, v23 bitop3:0x80
	ds_load_b32 v17, v19 offset:64
	; wave barrier
	v_bitop3_b32 v21, v18, v22, v21 bitop3:0x80
	s_delay_alu instid0(VALU_DEP_1) | instskip(SKIP_1) | instid1(VALU_DEP_2)
	v_mbcnt_lo_u32_b32 v18, v21, 0
	v_cmp_ne_u32_e64 s0, 0, v21
	v_cmp_eq_u32_e32 vcc_lo, 0, v18
	s_and_b32 s1, s0, vcc_lo
	s_delay_alu instid0(SALU_CYCLE_1)
	s_and_saveexec_b32 s0, s1
	s_cbranch_execz .LBB2069_101
; %bb.100:
	s_wait_dscnt 0x0
	v_bcnt_u32_b32 v21, v21, v17
	ds_store_b32 v19, v21 offset:64
.LBB2069_101:
	s_or_b32 exec_lo, exec_lo, s0
	v_cmp_lt_i16_e32 vcc_lo, -1, v16
	; wave barrier
	v_cndmask_b32_e64 v21, -1, 0xffff8000, vcc_lo
	s_delay_alu instid0(VALU_DEP_1) | instskip(NEXT) | instid1(VALU_DEP_1)
	v_xor_b32_e32 v16, v21, v16
	v_cmp_ne_u16_e32 vcc_lo, 0x7fff, v16
	v_cndmask_b32_e32 v21, 0xffff8000, v16, vcc_lo
	s_delay_alu instid0(VALU_DEP_1) | instskip(NEXT) | instid1(VALU_DEP_1)
	v_and_b32_e32 v21, 0xffff, v21
	v_lshrrev_b32_e32 v21, s20, v21
	s_delay_alu instid0(VALU_DEP_1) | instskip(SKIP_1) | instid1(VALU_DEP_2)
	v_bitop3_b32 v22, v21, 1, s8 bitop3:0x80
	v_and_b32_e32 v21, s8, v21
	v_add_co_u32 v22, s0, v22, -1
	s_delay_alu instid0(VALU_DEP_1) | instskip(NEXT) | instid1(VALU_DEP_3)
	v_cndmask_b32_e64 v23, 0, 1, s0
	v_lshlrev_b32_e32 v25, 30, v21
	s_delay_alu instid0(VALU_DEP_2) | instskip(NEXT) | instid1(VALU_DEP_2)
	v_cmp_ne_u32_e32 vcc_lo, 0, v23
	v_not_b32_e32 v23, v25
	s_delay_alu instid0(VALU_DEP_1) | instskip(SKIP_4) | instid1(VALU_DEP_4)
	v_dual_ashrrev_i32 v23, 31, v23 :: v_dual_bitop2_b32 v22, vcc_lo, v22 bitop3:0x14
	v_dual_lshlrev_b32 v26, 29, v21 :: v_dual_lshlrev_b32 v27, 28, v21
	v_dual_lshlrev_b32 v28, 27, v21 :: v_dual_lshlrev_b32 v29, 26, v21
	v_lshlrev_b32_e32 v30, 25, v21
	v_cmp_gt_i32_e64 s0, 0, v25
	v_cmp_gt_i32_e64 s1, 0, v26
	v_not_b32_e32 v25, v26
	v_not_b32_e32 v26, v27
	v_lshlrev_b32_e32 v31, 24, v21
	v_cmp_gt_i32_e64 s2, 0, v27
	v_cmp_gt_i32_e64 s3, 0, v28
	v_not_b32_e32 v27, v28
	v_not_b32_e32 v28, v29
	v_dual_ashrrev_i32 v25, 31, v25 :: v_dual_bitop2_b32 v23, s0, v23 bitop3:0x14
	v_ashrrev_i32_e32 v26, 31, v26
	v_cmp_gt_i32_e64 s4, 0, v29
	v_cmp_gt_i32_e64 s5, 0, v30
	v_not_b32_e32 v29, v30
	v_not_b32_e32 v30, v31
	v_dual_ashrrev_i32 v27, 31, v27 :: v_dual_ashrrev_i32 v28, 31, v28
	v_xor_b32_e32 v25, s1, v25
	s_delay_alu instid0(VALU_DEP_4) | instskip(SKIP_4) | instid1(VALU_DEP_4)
	v_dual_ashrrev_i32 v29, 31, v29 :: v_dual_bitop2_b32 v26, s2, v26 bitop3:0x14
	v_bitop3_b32 v22, v22, v23, exec_lo bitop3:0x80
	v_cmp_gt_i32_e64 s6, 0, v31
	v_dual_ashrrev_i32 v30, 31, v30 :: v_dual_bitop2_b32 v27, s3, v27 bitop3:0x14
	v_xor_b32_e32 v28, s4, v28
	v_bitop3_b32 v22, v22, v26, v25 bitop3:0x80
	v_mad_u32_u24 v23, 0x44, v21, v0
	v_xor_b32_e32 v25, s5, v29
	v_xor_b32_e32 v26, s6, v30
	s_delay_alu instid0(VALU_DEP_4) | instskip(SKIP_2) | instid1(VALU_DEP_1)
	v_bitop3_b32 v22, v22, v28, v27 bitop3:0x80
	ds_load_b32 v21, v23 offset:64
	; wave barrier
	v_bitop3_b32 v25, v22, v26, v25 bitop3:0x80
	v_mbcnt_lo_u32_b32 v22, v25, 0
	v_cmp_ne_u32_e64 s0, 0, v25
	s_delay_alu instid0(VALU_DEP_2) | instskip(SKIP_1) | instid1(SALU_CYCLE_1)
	v_cmp_eq_u32_e32 vcc_lo, 0, v22
	s_and_b32 s1, s0, vcc_lo
	s_and_saveexec_b32 s0, s1
	s_cbranch_execz .LBB2069_103
; %bb.102:
	s_wait_dscnt 0x0
	v_bcnt_u32_b32 v25, v25, v21
	ds_store_b32 v23, v25 offset:64
.LBB2069_103:
	s_or_b32 exec_lo, exec_lo, s0
	v_cmp_lt_i16_e32 vcc_lo, -1, v20
	; wave barrier
	v_cndmask_b32_e64 v25, -1, 0xffff8000, vcc_lo
	s_delay_alu instid0(VALU_DEP_1) | instskip(NEXT) | instid1(VALU_DEP_1)
	v_xor_b32_e32 v20, v25, v20
	v_cmp_ne_u16_e32 vcc_lo, 0x7fff, v20
	v_cndmask_b32_e32 v25, 0xffff8000, v20, vcc_lo
	s_delay_alu instid0(VALU_DEP_1) | instskip(NEXT) | instid1(VALU_DEP_1)
	v_and_b32_e32 v25, 0xffff, v25
	v_lshrrev_b32_e32 v25, s20, v25
	s_delay_alu instid0(VALU_DEP_1) | instskip(SKIP_1) | instid1(VALU_DEP_2)
	v_bitop3_b32 v26, v25, 1, s8 bitop3:0x80
	v_and_b32_e32 v25, s8, v25
	v_add_co_u32 v26, s0, v26, -1
	s_delay_alu instid0(VALU_DEP_1) | instskip(NEXT) | instid1(VALU_DEP_3)
	v_cndmask_b32_e64 v27, 0, 1, s0
	v_lshlrev_b32_e32 v28, 30, v25
	s_delay_alu instid0(VALU_DEP_2) | instskip(NEXT) | instid1(VALU_DEP_2)
	v_cmp_ne_u32_e32 vcc_lo, 0, v27
	v_not_b32_e32 v27, v28
	s_delay_alu instid0(VALU_DEP_1) | instskip(SKIP_4) | instid1(VALU_DEP_4)
	v_dual_ashrrev_i32 v27, 31, v27 :: v_dual_bitop2_b32 v26, vcc_lo, v26 bitop3:0x14
	v_dual_lshlrev_b32 v29, 29, v25 :: v_dual_lshlrev_b32 v30, 28, v25
	v_dual_lshlrev_b32 v31, 27, v25 :: v_dual_lshlrev_b32 v32, 26, v25
	v_lshlrev_b32_e32 v33, 25, v25
	v_cmp_gt_i32_e64 s0, 0, v28
	v_cmp_gt_i32_e64 s1, 0, v29
	v_not_b32_e32 v28, v29
	v_not_b32_e32 v29, v30
	v_lshlrev_b32_e32 v34, 24, v25
	v_cmp_gt_i32_e64 s2, 0, v30
	v_cmp_gt_i32_e64 s3, 0, v31
	v_not_b32_e32 v30, v31
	v_cmp_gt_i32_e64 s4, 0, v32
	v_not_b32_e32 v31, v32
	v_not_b32_e32 v32, v33
	v_dual_ashrrev_i32 v28, 31, v28 :: v_dual_ashrrev_i32 v29, 31, v29
	v_xor_b32_e32 v27, s0, v27
	v_cmp_gt_i32_e64 s5, 0, v33
	v_not_b32_e32 v33, v34
	v_dual_ashrrev_i32 v30, 31, v30 :: v_dual_ashrrev_i32 v31, 31, v31
	v_xor_b32_e32 v28, s1, v28
	v_dual_ashrrev_i32 v32, 31, v32 :: v_dual_bitop2_b32 v29, s2, v29 bitop3:0x14
	v_bitop3_b32 v26, v26, v27, exec_lo bitop3:0x80
	v_cmp_gt_i32_e64 s6, 0, v34
	v_dual_ashrrev_i32 v33, 31, v33 :: v_dual_bitop2_b32 v30, s3, v30 bitop3:0x14
	v_xor_b32_e32 v31, s4, v31
	s_delay_alu instid0(VALU_DEP_4) | instskip(SKIP_3) | instid1(VALU_DEP_4)
	v_bitop3_b32 v26, v26, v29, v28 bitop3:0x80
	v_mad_u32_u24 v27, 0x44, v25, v0
	v_xor_b32_e32 v28, s5, v32
	v_xor_b32_e32 v29, s6, v33
	v_bitop3_b32 v26, v26, v31, v30 bitop3:0x80
	ds_load_b32 v25, v27 offset:64
	; wave barrier
	v_bitop3_b32 v28, v26, v29, v28 bitop3:0x80
	s_delay_alu instid0(VALU_DEP_1) | instskip(SKIP_1) | instid1(VALU_DEP_2)
	v_mbcnt_lo_u32_b32 v26, v28, 0
	v_cmp_ne_u32_e64 s0, 0, v28
	v_cmp_eq_u32_e32 vcc_lo, 0, v26
	s_and_b32 s1, s0, vcc_lo
	s_delay_alu instid0(SALU_CYCLE_1)
	s_and_saveexec_b32 s0, s1
	s_cbranch_execz .LBB2069_105
; %bb.104:
	s_wait_dscnt 0x0
	v_bcnt_u32_b32 v28, v28, v25
	ds_store_b32 v27, v28 offset:64
.LBB2069_105:
	s_or_b32 exec_lo, exec_lo, s0
	v_cmp_lt_i16_e32 vcc_lo, -1, v24
	; wave barrier
	v_cndmask_b32_e64 v28, -1, 0xffff8000, vcc_lo
	s_delay_alu instid0(VALU_DEP_1) | instskip(NEXT) | instid1(VALU_DEP_1)
	v_xor_b32_e32 v24, v28, v24
	v_cmp_ne_u16_e32 vcc_lo, 0x7fff, v24
	v_cndmask_b32_e32 v28, 0xffff8000, v24, vcc_lo
	s_delay_alu instid0(VALU_DEP_1) | instskip(NEXT) | instid1(VALU_DEP_1)
	v_and_b32_e32 v28, 0xffff, v28
	v_lshrrev_b32_e32 v28, s20, v28
	s_delay_alu instid0(VALU_DEP_1) | instskip(NEXT) | instid1(VALU_DEP_1)
	v_bitop3_b32 v29, v28, 1, s8 bitop3:0x80
	v_add_co_u32 v29, s0, v29, -1
	s_delay_alu instid0(VALU_DEP_1) | instskip(NEXT) | instid1(VALU_DEP_1)
	v_cndmask_b32_e64 v30, 0, 1, s0
	v_cmp_ne_u32_e32 vcc_lo, 0, v30
	s_delay_alu instid0(VALU_DEP_3) | instskip(SKIP_1) | instid1(VALU_DEP_1)
	v_xor_b32_e32 v29, vcc_lo, v29
	v_and_b32_e32 v28, s8, v28
	v_dual_lshlrev_b32 v31, 30, v28 :: v_dual_lshlrev_b32 v32, 29, v28
	v_dual_lshlrev_b32 v33, 28, v28 :: v_dual_lshlrev_b32 v34, 27, v28
	s_delay_alu instid0(VALU_DEP_2) | instskip(SKIP_1) | instid1(VALU_DEP_4)
	v_cmp_gt_i32_e64 s0, 0, v31
	v_not_b32_e32 v30, v31
	v_cmp_gt_i32_e64 s1, 0, v32
	v_not_b32_e32 v31, v32
	;; [unrolled: 2-line block ×3, first 2 shown]
	v_not_b32_e32 v33, v34
	v_ashrrev_i32_e32 v30, 31, v30
	v_cmp_gt_i32_e64 s3, 0, v34
	s_delay_alu instid0(VALU_DEP_3) | instskip(SKIP_1) | instid1(VALU_DEP_4)
	v_dual_ashrrev_i32 v31, 31, v31 :: v_dual_ashrrev_i32 v33, 31, v33
	v_dual_lshlrev_b32 v35, 26, v28 :: v_dual_lshlrev_b32 v36, 25, v28
	v_dual_lshlrev_b32 v37, 24, v28 :: v_dual_bitop2_b32 v30, s0, v30 bitop3:0x14
	s_delay_alu instid0(VALU_DEP_3) | instskip(NEXT) | instid1(VALU_DEP_3)
	v_xor_b32_e32 v33, s3, v33
	v_not_b32_e32 v34, v35
	v_ashrrev_i32_e32 v32, 31, v32
	v_cmp_gt_i32_e64 s4, 0, v35
	v_cmp_gt_i32_e64 s5, 0, v36
	v_not_b32_e32 v35, v36
	v_not_b32_e32 v36, v37
	v_dual_ashrrev_i32 v34, 31, v34 :: v_dual_bitop2_b32 v31, s1, v31 bitop3:0x14
	v_xor_b32_e32 v32, s2, v32
	v_bitop3_b32 v29, v29, v30, exec_lo bitop3:0x80
	v_cmp_gt_i32_e64 s6, 0, v37
	v_dual_ashrrev_i32 v30, 31, v35 :: v_dual_ashrrev_i32 v35, 31, v36
	v_xor_b32_e32 v34, s4, v34
	s_delay_alu instid0(VALU_DEP_4) | instskip(SKIP_1) | instid1(VALU_DEP_4)
	v_bitop3_b32 v29, v29, v32, v31 bitop3:0x80
	v_mad_u32_u24 v31, 0x44, v28, v0
	v_xor_b32_e32 v30, s5, v30
	v_xor_b32_e32 v32, s6, v35
	s_delay_alu instid0(VALU_DEP_4) | instskip(SKIP_2) | instid1(VALU_DEP_1)
	v_bitop3_b32 v29, v29, v34, v33 bitop3:0x80
	ds_load_b32 v28, v31 offset:64
	; wave barrier
	v_bitop3_b32 v29, v29, v32, v30 bitop3:0x80
	v_mbcnt_lo_u32_b32 v30, v29, 0
	v_cmp_ne_u32_e64 s0, 0, v29
	s_delay_alu instid0(VALU_DEP_2) | instskip(SKIP_1) | instid1(SALU_CYCLE_1)
	v_cmp_eq_u32_e32 vcc_lo, 0, v30
	s_and_b32 s1, s0, vcc_lo
	s_and_saveexec_b32 s0, s1
	s_cbranch_execz .LBB2069_107
; %bb.106:
	s_wait_dscnt 0x0
	v_bcnt_u32_b32 v29, v29, v28
	ds_store_b32 v31, v29 offset:64
.LBB2069_107:
	s_or_b32 exec_lo, exec_lo, s0
	v_cmp_lt_i16_e32 vcc_lo, -1, v7
	; wave barrier
	v_cndmask_b32_e64 v29, -1, 0xffff8000, vcc_lo
	s_delay_alu instid0(VALU_DEP_1) | instskip(NEXT) | instid1(VALU_DEP_1)
	v_xor_b32_e32 v29, v29, v7
	v_cmp_ne_u16_e32 vcc_lo, 0x7fff, v29
	v_cndmask_b32_e32 v7, 0xffff8000, v29, vcc_lo
	s_delay_alu instid0(VALU_DEP_1) | instskip(NEXT) | instid1(VALU_DEP_1)
	v_and_b32_e32 v7, 0xffff, v7
	v_lshrrev_b32_e32 v7, s20, v7
	s_delay_alu instid0(VALU_DEP_1) | instskip(SKIP_1) | instid1(VALU_DEP_2)
	v_bitop3_b32 v32, v7, 1, s8 bitop3:0x80
	v_and_b32_e32 v7, s8, v7
	v_add_co_u32 v32, s0, v32, -1
	s_delay_alu instid0(VALU_DEP_1) | instskip(NEXT) | instid1(VALU_DEP_3)
	v_cndmask_b32_e64 v33, 0, 1, s0
	v_lshlrev_b32_e32 v34, 30, v7
	s_delay_alu instid0(VALU_DEP_2) | instskip(NEXT) | instid1(VALU_DEP_2)
	v_cmp_ne_u32_e32 vcc_lo, 0, v33
	v_not_b32_e32 v33, v34
	s_delay_alu instid0(VALU_DEP_1) | instskip(SKIP_4) | instid1(VALU_DEP_4)
	v_dual_ashrrev_i32 v33, 31, v33 :: v_dual_bitop2_b32 v32, vcc_lo, v32 bitop3:0x14
	v_dual_lshlrev_b32 v35, 29, v7 :: v_dual_lshlrev_b32 v36, 28, v7
	v_dual_lshlrev_b32 v37, 27, v7 :: v_dual_lshlrev_b32 v38, 26, v7
	v_lshlrev_b32_e32 v39, 25, v7
	v_cmp_gt_i32_e64 s0, 0, v34
	v_cmp_gt_i32_e64 s1, 0, v35
	v_not_b32_e32 v34, v35
	v_not_b32_e32 v35, v36
	v_lshlrev_b32_e32 v40, 24, v7
	v_cmp_gt_i32_e64 s2, 0, v36
	v_cmp_gt_i32_e64 s3, 0, v37
	v_not_b32_e32 v36, v37
	v_not_b32_e32 v37, v38
	v_dual_ashrrev_i32 v34, 31, v34 :: v_dual_ashrrev_i32 v35, 31, v35
	v_xor_b32_e32 v33, s0, v33
	v_cmp_gt_i32_e64 s4, 0, v38
	v_cmp_gt_i32_e64 s5, 0, v39
	v_not_b32_e32 v38, v39
	v_not_b32_e32 v39, v40
	v_dual_ashrrev_i32 v36, 31, v36 :: v_dual_ashrrev_i32 v37, 31, v37
	v_xor_b32_e32 v34, s1, v34
	v_xor_b32_e32 v35, s2, v35
	v_bitop3_b32 v32, v32, v33, exec_lo bitop3:0x80
	v_cmp_gt_i32_e64 s6, 0, v40
	v_dual_ashrrev_i32 v33, 31, v38 :: v_dual_ashrrev_i32 v38, 31, v39
	v_xor_b32_e32 v36, s3, v36
	v_xor_b32_e32 v37, s4, v37
	v_bitop3_b32 v32, v32, v35, v34 bitop3:0x80
	v_mad_u32_u24 v35, 0x44, v7, v0
	v_xor_b32_e32 v7, s5, v33
	v_xor_b32_e32 v33, s6, v38
	s_delay_alu instid0(VALU_DEP_4) | instskip(SKIP_2) | instid1(VALU_DEP_1)
	v_bitop3_b32 v34, v32, v37, v36 bitop3:0x80
	ds_load_b32 v32, v35 offset:64
	; wave barrier
	v_bitop3_b32 v7, v34, v33, v7 bitop3:0x80
	v_mbcnt_lo_u32_b32 v33, v7, 0
	v_cmp_ne_u32_e64 s0, 0, v7
	s_delay_alu instid0(VALU_DEP_2) | instskip(SKIP_1) | instid1(SALU_CYCLE_1)
	v_cmp_eq_u32_e32 vcc_lo, 0, v33
	s_and_b32 s1, s0, vcc_lo
	s_and_saveexec_b32 s0, s1
	s_cbranch_execz .LBB2069_109
; %bb.108:
	s_wait_dscnt 0x0
	v_bcnt_u32_b32 v7, v7, v32
	ds_store_b32 v35, v7 offset:64
.LBB2069_109:
	s_or_b32 exec_lo, exec_lo, s0
	v_cmp_lt_i16_e32 vcc_lo, -1, v6
	; wave barrier
	v_cndmask_b32_e64 v7, -1, 0xffff8000, vcc_lo
	s_delay_alu instid0(VALU_DEP_1) | instskip(NEXT) | instid1(VALU_DEP_1)
	v_xor_b32_e32 v34, v7, v6
	v_cmp_ne_u16_e32 vcc_lo, 0x7fff, v34
	v_cndmask_b32_e32 v6, 0xffff8000, v34, vcc_lo
	s_delay_alu instid0(VALU_DEP_1) | instskip(NEXT) | instid1(VALU_DEP_1)
	v_and_b32_e32 v6, 0xffff, v6
	v_lshrrev_b32_e32 v6, s20, v6
	s_delay_alu instid0(VALU_DEP_1) | instskip(SKIP_1) | instid1(VALU_DEP_2)
	v_bitop3_b32 v7, v6, 1, s8 bitop3:0x80
	v_and_b32_e32 v6, s8, v6
	v_add_co_u32 v7, s0, v7, -1
	s_delay_alu instid0(VALU_DEP_1) | instskip(NEXT) | instid1(VALU_DEP_3)
	v_cndmask_b32_e64 v36, 0, 1, s0
	v_lshlrev_b32_e32 v37, 30, v6
	s_delay_alu instid0(VALU_DEP_2) | instskip(NEXT) | instid1(VALU_DEP_2)
	v_cmp_ne_u32_e32 vcc_lo, 0, v36
	v_not_b32_e32 v36, v37
	s_delay_alu instid0(VALU_DEP_1) | instskip(SKIP_4) | instid1(VALU_DEP_4)
	v_dual_ashrrev_i32 v36, 31, v36 :: v_dual_bitop2_b32 v7, vcc_lo, v7 bitop3:0x14
	v_dual_lshlrev_b32 v38, 29, v6 :: v_dual_lshlrev_b32 v39, 28, v6
	v_dual_lshlrev_b32 v40, 27, v6 :: v_dual_lshlrev_b32 v41, 26, v6
	v_lshlrev_b32_e32 v42, 25, v6
	v_cmp_gt_i32_e64 s0, 0, v37
	v_cmp_gt_i32_e64 s1, 0, v38
	v_not_b32_e32 v37, v38
	v_not_b32_e32 v38, v39
	v_lshlrev_b32_e32 v43, 24, v6
	v_cmp_gt_i32_e64 s2, 0, v39
	v_cmp_gt_i32_e64 s3, 0, v40
	v_not_b32_e32 v39, v40
	v_not_b32_e32 v40, v41
	v_dual_ashrrev_i32 v37, 31, v37 :: v_dual_ashrrev_i32 v38, 31, v38
	v_xor_b32_e32 v36, s0, v36
	v_cmp_gt_i32_e64 s4, 0, v41
	v_cmp_gt_i32_e64 s5, 0, v42
	v_not_b32_e32 v41, v42
	v_not_b32_e32 v42, v43
	v_dual_ashrrev_i32 v39, 31, v39 :: v_dual_ashrrev_i32 v40, 31, v40
	v_xor_b32_e32 v37, s1, v37
	v_xor_b32_e32 v38, s2, v38
	v_bitop3_b32 v7, v7, v36, exec_lo bitop3:0x80
	v_cmp_gt_i32_e64 s6, 0, v43
	v_dual_ashrrev_i32 v36, 31, v41 :: v_dual_ashrrev_i32 v41, 31, v42
	v_xor_b32_e32 v42, s3, v39
	v_xor_b32_e32 v40, s4, v40
	v_bitop3_b32 v7, v7, v38, v37 bitop3:0x80
	v_mad_u32_u24 v39, 0x44, v6, v0
	v_xor_b32_e32 v6, s5, v36
	v_xor_b32_e32 v36, s6, v41
	s_delay_alu instid0(VALU_DEP_4) | instskip(SKIP_2) | instid1(VALU_DEP_1)
	v_bitop3_b32 v7, v7, v40, v42 bitop3:0x80
	ds_load_b32 v37, v39 offset:64
	; wave barrier
	v_bitop3_b32 v6, v7, v36, v6 bitop3:0x80
	v_mbcnt_lo_u32_b32 v38, v6, 0
	v_cmp_ne_u32_e64 s0, 0, v6
	s_delay_alu instid0(VALU_DEP_2) | instskip(SKIP_1) | instid1(SALU_CYCLE_1)
	v_cmp_eq_u32_e32 vcc_lo, 0, v38
	s_and_b32 s1, s0, vcc_lo
	s_and_saveexec_b32 s0, s1
	s_cbranch_execz .LBB2069_111
; %bb.110:
	s_wait_dscnt 0x0
	v_bcnt_u32_b32 v6, v6, v37
	ds_store_b32 v39, v6 offset:64
.LBB2069_111:
	s_or_b32 exec_lo, exec_lo, s0
	v_cmp_lt_i16_e32 vcc_lo, -1, v5
	; wave barrier
	v_cndmask_b32_e64 v6, -1, 0xffff8000, vcc_lo
	s_delay_alu instid0(VALU_DEP_1) | instskip(NEXT) | instid1(VALU_DEP_1)
	v_xor_b32_e32 v36, v6, v5
	v_cmp_ne_u16_e32 vcc_lo, 0x7fff, v36
	v_cndmask_b32_e32 v5, 0xffff8000, v36, vcc_lo
	s_delay_alu instid0(VALU_DEP_1) | instskip(NEXT) | instid1(VALU_DEP_1)
	v_and_b32_e32 v5, 0xffff, v5
	v_lshrrev_b32_e32 v5, s20, v5
	s_delay_alu instid0(VALU_DEP_1) | instskip(SKIP_1) | instid1(VALU_DEP_2)
	v_bitop3_b32 v6, v5, 1, s8 bitop3:0x80
	v_and_b32_e32 v5, s8, v5
	v_add_co_u32 v6, s0, v6, -1
	s_delay_alu instid0(VALU_DEP_1) | instskip(NEXT) | instid1(VALU_DEP_3)
	v_cndmask_b32_e64 v7, 0, 1, s0
	v_lshlrev_b32_e32 v40, 30, v5
	s_delay_alu instid0(VALU_DEP_2) | instskip(NEXT) | instid1(VALU_DEP_2)
	v_cmp_ne_u32_e32 vcc_lo, 0, v7
	v_not_b32_e32 v7, v40
	s_delay_alu instid0(VALU_DEP_1) | instskip(SKIP_4) | instid1(VALU_DEP_4)
	v_dual_ashrrev_i32 v7, 31, v7 :: v_dual_bitop2_b32 v6, vcc_lo, v6 bitop3:0x14
	v_dual_lshlrev_b32 v41, 29, v5 :: v_dual_lshlrev_b32 v42, 28, v5
	v_dual_lshlrev_b32 v43, 27, v5 :: v_dual_lshlrev_b32 v44, 26, v5
	;; [unrolled: 1-line block ×3, first 2 shown]
	v_cmp_gt_i32_e64 s0, 0, v40
	v_cmp_gt_i32_e64 s1, 0, v41
	v_not_b32_e32 v40, v41
	v_not_b32_e32 v41, v42
	v_cmp_gt_i32_e64 s2, 0, v42
	v_cmp_gt_i32_e64 s3, 0, v43
	v_not_b32_e32 v42, v43
	v_cmp_gt_i32_e64 s4, 0, v44
	v_not_b32_e32 v43, v44
	;; [unrolled: 2-line block ×3, first 2 shown]
	v_not_b32_e32 v45, v46
	v_dual_ashrrev_i32 v40, 31, v40 :: v_dual_ashrrev_i32 v41, 31, v41
	v_dual_ashrrev_i32 v42, 31, v42 :: v_dual_bitop2_b32 v7, s0, v7 bitop3:0x14
	s_delay_alu instid0(VALU_DEP_2) | instskip(NEXT) | instid1(VALU_DEP_3)
	v_dual_ashrrev_i32 v43, 31, v43 :: v_dual_bitop2_b32 v40, s1, v40 bitop3:0x14
	v_xor_b32_e32 v41, s2, v41
	s_delay_alu instid0(VALU_DEP_3)
	v_bitop3_b32 v6, v6, v7, exec_lo bitop3:0x80
	v_cmp_gt_i32_e64 s6, 0, v46
	v_dual_ashrrev_i32 v7, 31, v44 :: v_dual_ashrrev_i32 v44, 31, v45
	v_xor_b32_e32 v42, s3, v42
	v_xor_b32_e32 v45, s4, v43
	v_bitop3_b32 v6, v6, v41, v40 bitop3:0x80
	v_mad_u32_u24 v43, 0x44, v5, v0
	v_xor_b32_e32 v5, s5, v7
	v_xor_b32_e32 v7, s6, v44
	s_delay_alu instid0(VALU_DEP_4) | instskip(SKIP_2) | instid1(VALU_DEP_1)
	v_bitop3_b32 v6, v6, v45, v42 bitop3:0x80
	ds_load_b32 v41, v43 offset:64
	; wave barrier
	v_bitop3_b32 v5, v6, v7, v5 bitop3:0x80
	v_mbcnt_lo_u32_b32 v42, v5, 0
	v_cmp_ne_u32_e64 s0, 0, v5
	s_delay_alu instid0(VALU_DEP_2) | instskip(SKIP_1) | instid1(SALU_CYCLE_1)
	v_cmp_eq_u32_e32 vcc_lo, 0, v42
	s_and_b32 s1, s0, vcc_lo
	s_and_saveexec_b32 s0, s1
	s_cbranch_execz .LBB2069_113
; %bb.112:
	s_wait_dscnt 0x0
	v_bcnt_u32_b32 v5, v5, v41
	ds_store_b32 v43, v5 offset:64
.LBB2069_113:
	s_or_b32 exec_lo, exec_lo, s0
	v_cmp_lt_i16_e32 vcc_lo, -1, v4
	; wave barrier
	v_cndmask_b32_e64 v5, -1, 0xffff8000, vcc_lo
	s_delay_alu instid0(VALU_DEP_1) | instskip(NEXT) | instid1(VALU_DEP_1)
	v_xor_b32_e32 v40, v5, v4
	v_cmp_ne_u16_e32 vcc_lo, 0x7fff, v40
	v_cndmask_b32_e32 v4, 0xffff8000, v40, vcc_lo
	s_delay_alu instid0(VALU_DEP_1) | instskip(NEXT) | instid1(VALU_DEP_1)
	v_and_b32_e32 v4, 0xffff, v4
	v_lshrrev_b32_e32 v4, s20, v4
	s_delay_alu instid0(VALU_DEP_1) | instskip(SKIP_1) | instid1(VALU_DEP_2)
	v_bitop3_b32 v5, v4, 1, s8 bitop3:0x80
	v_and_b32_e32 v4, s8, v4
	v_add_co_u32 v5, s0, v5, -1
	s_delay_alu instid0(VALU_DEP_1) | instskip(NEXT) | instid1(VALU_DEP_3)
	v_cndmask_b32_e64 v6, 0, 1, s0
	v_lshlrev_b32_e32 v7, 30, v4
	s_delay_alu instid0(VALU_DEP_2) | instskip(NEXT) | instid1(VALU_DEP_2)
	v_cmp_ne_u32_e32 vcc_lo, 0, v6
	v_not_b32_e32 v6, v7
	s_delay_alu instid0(VALU_DEP_1) | instskip(SKIP_4) | instid1(VALU_DEP_4)
	v_dual_ashrrev_i32 v6, 31, v6 :: v_dual_bitop2_b32 v5, vcc_lo, v5 bitop3:0x14
	v_dual_lshlrev_b32 v44, 29, v4 :: v_dual_lshlrev_b32 v45, 28, v4
	v_dual_lshlrev_b32 v46, 27, v4 :: v_dual_lshlrev_b32 v47, 26, v4
	v_lshlrev_b32_e32 v48, 25, v4
	v_cmp_gt_i32_e64 s0, 0, v7
	v_cmp_gt_i32_e64 s1, 0, v44
	v_not_b32_e32 v7, v44
	v_not_b32_e32 v44, v45
	v_lshlrev_b32_e32 v49, 24, v4
	v_cmp_gt_i32_e64 s2, 0, v45
	v_cmp_gt_i32_e64 s3, 0, v46
	v_not_b32_e32 v45, v46
	v_not_b32_e32 v46, v47
	v_dual_ashrrev_i32 v7, 31, v7 :: v_dual_ashrrev_i32 v44, 31, v44
	v_xor_b32_e32 v6, s0, v6
	v_cmp_gt_i32_e64 s4, 0, v47
	v_cmp_gt_i32_e64 s5, 0, v48
	v_not_b32_e32 v47, v48
	v_not_b32_e32 v48, v49
	v_dual_ashrrev_i32 v45, 31, v45 :: v_dual_ashrrev_i32 v46, 31, v46
	v_xor_b32_e32 v7, s1, v7
	v_xor_b32_e32 v44, s2, v44
	v_bitop3_b32 v5, v5, v6, exec_lo bitop3:0x80
	v_cmp_gt_i32_e64 s6, 0, v49
	v_dual_ashrrev_i32 v6, 31, v47 :: v_dual_ashrrev_i32 v48, 31, v48
	v_xor_b32_e32 v45, s3, v45
	v_xor_b32_e32 v46, s4, v46
	v_bitop3_b32 v5, v5, v44, v7 bitop3:0x80
	v_mad_u32_u24 v47, 0x44, v4, v0
	v_xor_b32_e32 v4, s5, v6
	v_xor_b32_e32 v6, s6, v48
	s_delay_alu instid0(VALU_DEP_4) | instskip(SKIP_2) | instid1(VALU_DEP_1)
	v_bitop3_b32 v5, v5, v46, v45 bitop3:0x80
	ds_load_b32 v45, v47 offset:64
	; wave barrier
	v_bitop3_b32 v4, v5, v6, v4 bitop3:0x80
	v_mbcnt_lo_u32_b32 v46, v4, 0
	v_cmp_ne_u32_e64 s0, 0, v4
	s_delay_alu instid0(VALU_DEP_2) | instskip(SKIP_1) | instid1(SALU_CYCLE_1)
	v_cmp_eq_u32_e32 vcc_lo, 0, v46
	s_and_b32 s1, s0, vcc_lo
	s_and_saveexec_b32 s0, s1
	s_cbranch_execz .LBB2069_115
; %bb.114:
	s_wait_dscnt 0x0
	v_bcnt_u32_b32 v4, v4, v45
	ds_store_b32 v47, v4 offset:64
.LBB2069_115:
	s_or_b32 exec_lo, exec_lo, s0
	v_cmp_lt_i16_e32 vcc_lo, -1, v3
	; wave barrier
	v_cndmask_b32_e64 v4, -1, 0xffff8000, vcc_lo
	s_delay_alu instid0(VALU_DEP_1) | instskip(NEXT) | instid1(VALU_DEP_1)
	v_xor_b32_e32 v44, v4, v3
	v_cmp_ne_u16_e32 vcc_lo, 0x7fff, v44
	v_cndmask_b32_e32 v3, 0xffff8000, v44, vcc_lo
	s_delay_alu instid0(VALU_DEP_1) | instskip(NEXT) | instid1(VALU_DEP_1)
	v_and_b32_e32 v3, 0xffff, v3
	v_lshrrev_b32_e32 v3, s20, v3
	s_delay_alu instid0(VALU_DEP_1) | instskip(SKIP_1) | instid1(VALU_DEP_2)
	v_bitop3_b32 v4, v3, 1, s8 bitop3:0x80
	v_and_b32_e32 v3, s8, v3
	v_add_co_u32 v4, s0, v4, -1
	s_delay_alu instid0(VALU_DEP_1) | instskip(NEXT) | instid1(VALU_DEP_3)
	v_cndmask_b32_e64 v5, 0, 1, s0
	v_lshlrev_b32_e32 v6, 30, v3
	s_delay_alu instid0(VALU_DEP_2) | instskip(NEXT) | instid1(VALU_DEP_2)
	v_cmp_ne_u32_e32 vcc_lo, 0, v5
	v_not_b32_e32 v5, v6
	s_delay_alu instid0(VALU_DEP_1) | instskip(SKIP_4) | instid1(VALU_DEP_4)
	v_dual_ashrrev_i32 v5, 31, v5 :: v_dual_bitop2_b32 v4, vcc_lo, v4 bitop3:0x14
	v_dual_lshlrev_b32 v7, 29, v3 :: v_dual_lshlrev_b32 v48, 28, v3
	v_dual_lshlrev_b32 v49, 27, v3 :: v_dual_lshlrev_b32 v50, 26, v3
	v_lshlrev_b32_e32 v51, 25, v3
	v_cmp_gt_i32_e64 s0, 0, v6
	v_cmp_gt_i32_e64 s1, 0, v7
	v_not_b32_e32 v6, v7
	v_not_b32_e32 v7, v48
	v_lshlrev_b32_e32 v52, 24, v3
	v_cmp_gt_i32_e64 s2, 0, v48
	v_cmp_gt_i32_e64 s3, 0, v49
	v_not_b32_e32 v48, v49
	v_not_b32_e32 v49, v50
	v_dual_ashrrev_i32 v6, 31, v6 :: v_dual_ashrrev_i32 v7, 31, v7
	v_xor_b32_e32 v5, s0, v5
	v_cmp_gt_i32_e64 s4, 0, v50
	v_cmp_gt_i32_e64 s5, 0, v51
	v_not_b32_e32 v50, v51
	v_not_b32_e32 v51, v52
	v_dual_ashrrev_i32 v48, 31, v48 :: v_dual_ashrrev_i32 v49, 31, v49
	v_xor_b32_e32 v6, s1, v6
	v_xor_b32_e32 v7, s2, v7
	v_bitop3_b32 v4, v4, v5, exec_lo bitop3:0x80
	v_cmp_gt_i32_e64 s6, 0, v52
	v_dual_ashrrev_i32 v5, 31, v50 :: v_dual_ashrrev_i32 v50, 31, v51
	v_xor_b32_e32 v48, s3, v48
	v_xor_b32_e32 v49, s4, v49
	v_bitop3_b32 v4, v4, v7, v6 bitop3:0x80
	v_mad_u32_u24 v51, 0x44, v3, v0
	v_xor_b32_e32 v3, s5, v5
	v_xor_b32_e32 v5, s6, v50
	s_delay_alu instid0(VALU_DEP_4) | instskip(SKIP_2) | instid1(VALU_DEP_1)
	v_bitop3_b32 v4, v4, v49, v48 bitop3:0x80
	ds_load_b32 v48, v51 offset:64
	; wave barrier
	v_bitop3_b32 v3, v4, v5, v3 bitop3:0x80
	v_mbcnt_lo_u32_b32 v50, v3, 0
	v_cmp_ne_u32_e64 s0, 0, v3
	s_delay_alu instid0(VALU_DEP_2) | instskip(SKIP_1) | instid1(SALU_CYCLE_1)
	v_cmp_eq_u32_e32 vcc_lo, 0, v50
	s_and_b32 s1, s0, vcc_lo
	s_and_saveexec_b32 s0, s1
	s_cbranch_execz .LBB2069_117
; %bb.116:
	s_wait_dscnt 0x0
	v_bcnt_u32_b32 v3, v3, v48
	ds_store_b32 v51, v3 offset:64
.LBB2069_117:
	s_or_b32 exec_lo, exec_lo, s0
	v_cmp_lt_i16_e32 vcc_lo, -1, v2
	; wave barrier
	v_cndmask_b32_e64 v3, -1, 0xffff8000, vcc_lo
	s_delay_alu instid0(VALU_DEP_1) | instskip(NEXT) | instid1(VALU_DEP_1)
	v_xor_b32_e32 v49, v3, v2
	v_cmp_ne_u16_e32 vcc_lo, 0x7fff, v49
	v_cndmask_b32_e32 v2, 0xffff8000, v49, vcc_lo
	s_delay_alu instid0(VALU_DEP_1) | instskip(NEXT) | instid1(VALU_DEP_1)
	v_and_b32_e32 v2, 0xffff, v2
	v_lshrrev_b32_e32 v2, s20, v2
	s_delay_alu instid0(VALU_DEP_1) | instskip(SKIP_1) | instid1(VALU_DEP_2)
	v_bitop3_b32 v3, v2, 1, s8 bitop3:0x80
	v_and_b32_e32 v2, s8, v2
	v_add_co_u32 v3, s0, v3, -1
	s_delay_alu instid0(VALU_DEP_1) | instskip(NEXT) | instid1(VALU_DEP_3)
	v_cndmask_b32_e64 v4, 0, 1, s0
	v_lshlrev_b32_e32 v5, 30, v2
	s_delay_alu instid0(VALU_DEP_2) | instskip(NEXT) | instid1(VALU_DEP_2)
	v_cmp_ne_u32_e32 vcc_lo, 0, v4
	v_not_b32_e32 v4, v5
	s_delay_alu instid0(VALU_DEP_1) | instskip(SKIP_4) | instid1(VALU_DEP_4)
	v_dual_ashrrev_i32 v4, 31, v4 :: v_dual_bitop2_b32 v3, vcc_lo, v3 bitop3:0x14
	v_dual_lshlrev_b32 v6, 29, v2 :: v_dual_lshlrev_b32 v7, 28, v2
	v_dual_lshlrev_b32 v52, 27, v2 :: v_dual_lshlrev_b32 v53, 26, v2
	;; [unrolled: 1-line block ×3, first 2 shown]
	v_cmp_gt_i32_e64 s0, 0, v5
	v_cmp_gt_i32_e64 s1, 0, v6
	v_not_b32_e32 v5, v6
	v_not_b32_e32 v6, v7
	v_cmp_gt_i32_e64 s2, 0, v7
	v_cmp_gt_i32_e64 s3, 0, v52
	v_not_b32_e32 v7, v52
	v_cmp_gt_i32_e64 s4, 0, v53
	v_not_b32_e32 v52, v53
	;; [unrolled: 2-line block ×3, first 2 shown]
	v_not_b32_e32 v54, v55
	v_dual_ashrrev_i32 v5, 31, v5 :: v_dual_ashrrev_i32 v6, 31, v6
	v_dual_ashrrev_i32 v7, 31, v7 :: v_dual_bitop2_b32 v4, s0, v4 bitop3:0x14
	s_delay_alu instid0(VALU_DEP_2) | instskip(NEXT) | instid1(VALU_DEP_3)
	v_dual_ashrrev_i32 v52, 31, v52 :: v_dual_bitop2_b32 v5, s1, v5 bitop3:0x14
	v_xor_b32_e32 v6, s2, v6
	s_delay_alu instid0(VALU_DEP_3)
	v_bitop3_b32 v3, v3, v4, exec_lo bitop3:0x80
	v_cmp_gt_i32_e64 s6, 0, v55
	v_dual_ashrrev_i32 v4, 31, v53 :: v_dual_ashrrev_i32 v53, 31, v54
	v_xor_b32_e32 v7, s3, v7
	v_xor_b32_e32 v52, s4, v52
	v_bitop3_b32 v3, v3, v6, v5 bitop3:0x80
	v_mad_u32_u24 v56, 0x44, v2, v0
	v_xor_b32_e32 v2, s5, v4
	v_xor_b32_e32 v4, s6, v53
	s_delay_alu instid0(VALU_DEP_4) | instskip(SKIP_2) | instid1(VALU_DEP_1)
	v_bitop3_b32 v3, v3, v52, v7 bitop3:0x80
	ds_load_b32 v52, v56 offset:64
	; wave barrier
	v_bitop3_b32 v2, v3, v4, v2 bitop3:0x80
	v_mbcnt_lo_u32_b32 v53, v2, 0
	v_cmp_ne_u32_e64 s0, 0, v2
	s_delay_alu instid0(VALU_DEP_2) | instskip(SKIP_1) | instid1(SALU_CYCLE_1)
	v_cmp_eq_u32_e32 vcc_lo, 0, v53
	s_and_b32 s1, s0, vcc_lo
	s_and_saveexec_b32 s0, s1
	s_cbranch_execz .LBB2069_119
; %bb.118:
	s_wait_dscnt 0x0
	v_bcnt_u32_b32 v2, v2, v52
	ds_store_b32 v56, v2 offset:64
.LBB2069_119:
	s_or_b32 exec_lo, exec_lo, s0
	v_cmp_lt_i16_e32 vcc_lo, -1, v1
	; wave barrier
	v_cndmask_b32_e64 v2, -1, 0xffff8000, vcc_lo
	s_delay_alu instid0(VALU_DEP_1) | instskip(NEXT) | instid1(VALU_DEP_1)
	v_xor_b32_e32 v54, v2, v1
	v_cmp_ne_u16_e32 vcc_lo, 0x7fff, v54
	v_cndmask_b32_e32 v1, 0xffff8000, v54, vcc_lo
	s_delay_alu instid0(VALU_DEP_1) | instskip(NEXT) | instid1(VALU_DEP_1)
	v_and_b32_e32 v1, 0xffff, v1
	v_lshrrev_b32_e32 v1, s20, v1
	s_delay_alu instid0(VALU_DEP_1) | instskip(SKIP_1) | instid1(VALU_DEP_2)
	v_bitop3_b32 v2, v1, 1, s8 bitop3:0x80
	v_and_b32_e32 v1, s8, v1
	v_add_co_u32 v2, s0, v2, -1
	s_delay_alu instid0(VALU_DEP_1) | instskip(NEXT) | instid1(VALU_DEP_3)
	v_cndmask_b32_e64 v3, 0, 1, s0
	v_lshlrev_b32_e32 v4, 30, v1
	s_delay_alu instid0(VALU_DEP_2) | instskip(NEXT) | instid1(VALU_DEP_2)
	v_cmp_ne_u32_e32 vcc_lo, 0, v3
	v_not_b32_e32 v3, v4
	s_delay_alu instid0(VALU_DEP_1) | instskip(SKIP_4) | instid1(VALU_DEP_4)
	v_dual_ashrrev_i32 v3, 31, v3 :: v_dual_bitop2_b32 v2, vcc_lo, v2 bitop3:0x14
	v_dual_lshlrev_b32 v5, 29, v1 :: v_dual_lshlrev_b32 v6, 28, v1
	v_dual_lshlrev_b32 v7, 27, v1 :: v_dual_lshlrev_b32 v55, 26, v1
	v_lshlrev_b32_e32 v57, 25, v1
	v_cmp_gt_i32_e64 s0, 0, v4
	v_cmp_gt_i32_e64 s1, 0, v5
	v_not_b32_e32 v4, v5
	v_not_b32_e32 v5, v6
	v_lshlrev_b32_e32 v58, 24, v1
	v_cmp_gt_i32_e64 s2, 0, v6
	v_cmp_gt_i32_e64 s3, 0, v7
	v_not_b32_e32 v6, v7
	v_not_b32_e32 v7, v55
	v_dual_ashrrev_i32 v4, 31, v4 :: v_dual_ashrrev_i32 v5, 31, v5
	v_xor_b32_e32 v3, s0, v3
	v_cmp_gt_i32_e64 s4, 0, v55
	v_cmp_gt_i32_e64 s5, 0, v57
	v_not_b32_e32 v55, v57
	v_not_b32_e32 v57, v58
	v_dual_ashrrev_i32 v6, 31, v6 :: v_dual_ashrrev_i32 v7, 31, v7
	v_xor_b32_e32 v4, s1, v4
	v_xor_b32_e32 v5, s2, v5
	v_bitop3_b32 v2, v2, v3, exec_lo bitop3:0x80
	v_cmp_gt_i32_e64 s6, 0, v58
	v_dual_ashrrev_i32 v3, 31, v55 :: v_dual_ashrrev_i32 v55, 31, v57
	v_xor_b32_e32 v6, s3, v6
	v_xor_b32_e32 v7, s4, v7
	v_bitop3_b32 v2, v2, v5, v4 bitop3:0x80
	v_mad_u32_u24 v58, 0x44, v1, v0
	v_xor_b32_e32 v0, s5, v3
	v_xor_b32_e32 v1, s6, v55
	s_delay_alu instid0(VALU_DEP_4) | instskip(SKIP_2) | instid1(VALU_DEP_1)
	v_bitop3_b32 v2, v2, v7, v6 bitop3:0x80
	ds_load_b32 v55, v58 offset:64
	; wave barrier
	v_bitop3_b32 v0, v2, v1, v0 bitop3:0x80
	v_mbcnt_lo_u32_b32 v57, v0, 0
	v_cmp_ne_u32_e64 s0, 0, v0
	s_delay_alu instid0(VALU_DEP_2) | instskip(SKIP_1) | instid1(SALU_CYCLE_1)
	v_cmp_eq_u32_e32 vcc_lo, 0, v57
	s_and_b32 s1, s0, vcc_lo
	s_and_saveexec_b32 s0, s1
	s_cbranch_execz .LBB2069_121
; %bb.120:
	s_wait_dscnt 0x0
	v_bcnt_u32_b32 v0, v0, v55
	ds_store_b32 v58, v0 offset:64
.LBB2069_121:
	s_or_b32 exec_lo, exec_lo, s0
	; wave barrier
	s_wait_dscnt 0x0
	s_barrier_signal -1
	s_barrier_wait -1
	ds_load_2addr_b32 v[6:7], v11 offset0:16 offset1:17
	ds_load_2addr_b32 v[4:5], v11 offset0:18 offset1:19
	;; [unrolled: 1-line block ×4, first 2 shown]
	ds_load_b32 v59, v11 offset:96
	v_min_u32_e32 v15, 0x1e0, v15
	s_mov_b32 s4, exec_lo
	s_wait_dscnt 0x3
	v_add3_u32 v60, v7, v6, v4
	s_wait_dscnt 0x2
	s_delay_alu instid0(VALU_DEP_1) | instskip(SKIP_1) | instid1(VALU_DEP_1)
	v_add3_u32 v60, v60, v5, v2
	s_wait_dscnt 0x1
	v_add3_u32 v60, v60, v3, v0
	s_wait_dscnt 0x0
	s_delay_alu instid0(VALU_DEP_1) | instskip(SKIP_1) | instid1(VALU_DEP_2)
	v_add3_u32 v59, v60, v1, v59
	v_and_b32_e32 v60, 15, v14
	v_mov_b32_dpp v61, v59 row_shr:1 row_mask:0xf bank_mask:0xf
	s_delay_alu instid0(VALU_DEP_2) | instskip(NEXT) | instid1(VALU_DEP_2)
	v_cmp_eq_u32_e32 vcc_lo, 0, v60
	v_cndmask_b32_e64 v61, v61, 0, vcc_lo
	s_delay_alu instid0(VALU_DEP_1) | instskip(SKIP_3) | instid1(VALU_DEP_4)
	v_add_nc_u32_e32 v59, v61, v59
	v_cmp_lt_u32_e64 s0, 1, v60
	v_cmp_lt_u32_e64 s1, 3, v60
	;; [unrolled: 1-line block ×3, first 2 shown]
	v_mov_b32_dpp v61, v59 row_shr:2 row_mask:0xf bank_mask:0xf
	s_delay_alu instid0(VALU_DEP_1) | instskip(NEXT) | instid1(VALU_DEP_1)
	v_cndmask_b32_e64 v61, 0, v61, s0
	v_add_nc_u32_e32 v59, v59, v61
	s_delay_alu instid0(VALU_DEP_1) | instskip(NEXT) | instid1(VALU_DEP_1)
	v_mov_b32_dpp v61, v59 row_shr:4 row_mask:0xf bank_mask:0xf
	v_cndmask_b32_e64 v61, 0, v61, s1
	s_delay_alu instid0(VALU_DEP_1) | instskip(NEXT) | instid1(VALU_DEP_1)
	v_add_nc_u32_e32 v59, v59, v61
	v_mov_b32_dpp v61, v59 row_shr:8 row_mask:0xf bank_mask:0xf
	s_delay_alu instid0(VALU_DEP_1) | instskip(SKIP_1) | instid1(VALU_DEP_2)
	v_cndmask_b32_e64 v60, 0, v61, s2
	v_bfe_i32 v61, v14, 4, 1
	v_add_nc_u32_e32 v60, v59, v60
	ds_swizzle_b32 v59, v60 offset:swizzle(BROADCAST,32,15)
	s_wait_dscnt 0x0
	v_dual_lshrrev_b32 v59, 5, v12 :: v_dual_bitop2_b32 v61, v61, v59 bitop3:0x40
	s_delay_alu instid0(VALU_DEP_1) | instskip(NEXT) | instid1(VALU_DEP_1)
	v_dual_add_nc_u32 v15, v60, v61 :: v_dual_bitop2_b32 v62, 31, v15 bitop3:0x54
	v_cmpx_eq_u32_e64 v12, v62
; %bb.122:
	s_delay_alu instid0(VALU_DEP_3)
	v_lshlrev_b32_e32 v60, 2, v59
	ds_store_b32 v60, v15
; %bb.123:
	s_or_b32 exec_lo, exec_lo, s4
	s_delay_alu instid0(SALU_CYCLE_1)
	s_mov_b32 s4, exec_lo
	s_wait_dscnt 0x0
	s_barrier_signal -1
	s_barrier_wait -1
	v_cmpx_gt_u32_e32 16, v12
	s_cbranch_execz .LBB2069_125
; %bb.124:
	v_lshlrev_b32_e32 v60, 2, v12
	ds_load_b32 v61, v60
	s_wait_dscnt 0x0
	v_mov_b32_dpp v62, v61 row_shr:1 row_mask:0xf bank_mask:0xf
	s_delay_alu instid0(VALU_DEP_1) | instskip(NEXT) | instid1(VALU_DEP_1)
	v_cndmask_b32_e64 v62, v62, 0, vcc_lo
	v_add_nc_u32_e32 v61, v62, v61
	s_delay_alu instid0(VALU_DEP_1) | instskip(NEXT) | instid1(VALU_DEP_1)
	v_mov_b32_dpp v62, v61 row_shr:2 row_mask:0xf bank_mask:0xf
	v_cndmask_b32_e64 v62, 0, v62, s0
	s_delay_alu instid0(VALU_DEP_1) | instskip(NEXT) | instid1(VALU_DEP_1)
	v_add_nc_u32_e32 v61, v61, v62
	v_mov_b32_dpp v62, v61 row_shr:4 row_mask:0xf bank_mask:0xf
	s_delay_alu instid0(VALU_DEP_1) | instskip(NEXT) | instid1(VALU_DEP_1)
	v_cndmask_b32_e64 v62, 0, v62, s1
	v_add_nc_u32_e32 v61, v61, v62
	s_delay_alu instid0(VALU_DEP_1) | instskip(NEXT) | instid1(VALU_DEP_1)
	v_mov_b32_dpp v62, v61 row_shr:8 row_mask:0xf bank_mask:0xf
	v_cndmask_b32_e64 v62, 0, v62, s2
	s_delay_alu instid0(VALU_DEP_1)
	v_add_nc_u32_e32 v61, v61, v62
	ds_store_b32 v60, v61
.LBB2069_125:
	s_or_b32 exec_lo, exec_lo, s4
	v_mov_b32_e32 v60, 0
	s_mov_b32 s0, exec_lo
	s_wait_dscnt 0x0
	s_barrier_signal -1
	s_barrier_wait -1
	v_cmpx_lt_u32_e32 31, v12
; %bb.126:
	v_lshl_add_u32 v59, v59, 2, -4
	ds_load_b32 v60, v59
; %bb.127:
	s_or_b32 exec_lo, exec_lo, s0
	v_sub_co_u32 v59, vcc_lo, v14, 1
	s_wait_dscnt 0x0
	v_add_nc_u32_e32 v15, v60, v15
	s_delay_alu instid0(VALU_DEP_2) | instskip(NEXT) | instid1(VALU_DEP_1)
	v_cmp_gt_i32_e64 s0, 0, v59
	v_cndmask_b32_e64 v14, v59, v14, s0
	v_cmp_gt_u32_e64 s0, 0x100, v12
	s_delay_alu instid0(VALU_DEP_2) | instskip(SKIP_4) | instid1(VALU_DEP_2)
	v_lshlrev_b32_e32 v14, 2, v14
	ds_bpermute_b32 v14, v14, v15
	s_wait_dscnt 0x0
	v_cndmask_b32_e32 v14, v14, v60, vcc_lo
	v_cmp_ne_u32_e32 vcc_lo, 0, v12
	v_cndmask_b32_e32 v14, 0, v14, vcc_lo
	v_cmp_lt_u32_e32 vcc_lo, 0xff, v12
	s_delay_alu instid0(VALU_DEP_2) | instskip(NEXT) | instid1(VALU_DEP_1)
	v_add_nc_u32_e32 v6, v14, v6
	v_add_nc_u32_e32 v7, v6, v7
	s_delay_alu instid0(VALU_DEP_1) | instskip(NEXT) | instid1(VALU_DEP_1)
	v_add_nc_u32_e32 v4, v7, v4
	v_add_nc_u32_e32 v5, v4, v5
	s_delay_alu instid0(VALU_DEP_1) | instskip(NEXT) | instid1(VALU_DEP_1)
	v_add_nc_u32_e32 v2, v5, v2
	v_add_nc_u32_e32 v3, v2, v3
	s_delay_alu instid0(VALU_DEP_1) | instskip(NEXT) | instid1(VALU_DEP_1)
	v_add_nc_u32_e32 v0, v3, v0
	v_add_nc_u32_e32 v1, v0, v1
	ds_store_2addr_b32 v11, v14, v6 offset0:16 offset1:17
	ds_store_2addr_b32 v11, v7, v4 offset0:18 offset1:19
	;; [unrolled: 1-line block ×4, first 2 shown]
	ds_store_b32 v11, v1 offset:96
	s_wait_dscnt 0x0
	s_barrier_signal -1
	s_barrier_wait -1
	ds_load_b32 v59, v13 offset:64
	ds_load_b32 v60, v19 offset:64
	ds_load_b32 v19, v23 offset:64
	ds_load_b32 v15, v27 offset:64
	ds_load_b32 v14, v31 offset:64
	ds_load_b32 v13, v35 offset:64
	ds_load_b32 v11, v39 offset:64
	ds_load_b32 v7, v43 offset:64
	ds_load_b32 v6, v47 offset:64
	ds_load_b32 v5, v51 offset:64
	ds_load_b32 v4, v56 offset:64
	ds_load_b32 v3, v58 offset:64
	v_mov_b64_e32 v[0:1], 0
                                        ; implicit-def: $vgpr2
	s_and_saveexec_b32 s2, s0
	s_cbranch_execz .LBB2069_131
; %bb.128:
	v_mul_u32_u24_e32 v0, 0x44, v12
	v_dual_mov_b32 v1, 0x1800 :: v_dual_add_nc_u32 v2, 1, v12
	s_mov_b32 s3, exec_lo
	ds_load_b32 v0, v0 offset:64
	v_cmpx_ne_u32_e32 0x100, v2
; %bb.129:
	v_mul_u32_u24_e32 v1, 0x44, v2
	ds_load_b32 v1, v1 offset:64
; %bb.130:
	s_or_b32 exec_lo, exec_lo, s3
	s_wait_dscnt 0x0
	v_dual_mov_b32 v1, 0 :: v_dual_sub_nc_u32 v2, v1, v0
.LBB2069_131:
	s_or_b32 exec_lo, exec_lo, s2
	s_wait_dscnt 0xa
	v_dual_lshlrev_b32 v9, 1, v9 :: v_dual_lshlrev_b32 v23, 1, v60
	v_dual_lshlrev_b32 v18, 1, v18 :: v_dual_lshlrev_b32 v17, 1, v17
	v_lshlrev_b32_e32 v21, 1, v21
	s_delay_alu instid0(VALU_DEP_3)
	v_lshl_add_u32 v9, v59, 1, v9
	s_wait_dscnt 0x0
	s_barrier_signal -1
	v_add3_u32 v17, v23, v18, v17
	v_dual_lshlrev_b32 v18, 1, v19 :: v_dual_lshlrev_b32 v19, 1, v22
	s_barrier_wait -1
	ds_store_b16 v9, v8 offset:2048
	ds_store_b16 v17, v10 offset:2048
	v_lshlrev_b32_e32 v9, 1, v15
	v_add3_u32 v8, v18, v19, v21
	v_dual_lshlrev_b32 v10, 1, v26 :: v_dual_lshlrev_b32 v15, 1, v25
	v_dual_lshlrev_b32 v14, 1, v14 :: v_dual_lshlrev_b32 v18, 1, v28
	v_dual_lshlrev_b32 v17, 1, v30 :: v_dual_lshlrev_b32 v13, 1, v13
	v_dual_lshlrev_b32 v19, 1, v33 :: v_dual_lshlrev_b32 v21, 1, v32
	v_dual_lshlrev_b32 v11, 1, v11 :: v_dual_lshlrev_b32 v22, 1, v38
	v_dual_lshlrev_b32 v23, 1, v37 :: v_dual_lshlrev_b32 v7, 1, v7
	ds_store_b16 v8, v16 offset:2048
	v_add3_u32 v8, v9, v10, v15
	v_add3_u32 v9, v14, v17, v18
	;; [unrolled: 1-line block ×3, first 2 shown]
	v_dual_lshlrev_b32 v13, 1, v42 :: v_dual_lshlrev_b32 v14, 1, v41
	v_add3_u32 v11, v11, v22, v23
	ds_store_b16 v8, v20 offset:2048
	ds_store_b16 v9, v24 offset:2048
	;; [unrolled: 1-line block ×4, first 2 shown]
	v_dual_lshlrev_b32 v6, 1, v6 :: v_dual_lshlrev_b32 v9, 1, v45
	v_add3_u32 v7, v7, v13, v14
	v_dual_lshlrev_b32 v8, 1, v46 :: v_dual_lshlrev_b32 v5, 1, v5
	v_dual_lshlrev_b32 v10, 1, v50 :: v_dual_lshlrev_b32 v11, 1, v48
	;; [unrolled: 1-line block ×5, first 2 shown]
	ds_store_b16 v7, v36 offset:2048
	v_add3_u32 v6, v6, v8, v9
	v_add3_u32 v7, v5, v10, v11
	;; [unrolled: 1-line block ×3, first 2 shown]
	v_dual_mov_b32 v5, 0 :: v_dual_lshlrev_b32 v3, 3, v12
	v_add3_u32 v4, v4, v13, v14
	ds_store_b16 v6, v40 offset:2048
	ds_store_b16 v7, v44 offset:2048
	;; [unrolled: 1-line block ×4, first 2 shown]
	s_and_saveexec_b32 s1, s0
	s_cbranch_execz .LBB2069_141
; %bb.132:
	v_lshl_add_u32 v4, s9, 8, v12
	v_dual_mov_b32 v8, 0 :: v_dual_bitop2_b32 v9, 2.0, v2 bitop3:0x54
	s_mov_b32 s2, 0
	s_mov_b32 s3, s9
	s_delay_alu instid0(VALU_DEP_2)
	v_lshl_add_u64 v[6:7], v[4:5], 2, s[10:11]
	global_store_b32 v4, v9, s[10:11] scale_offset scope:SCOPE_DEV
                                        ; implicit-def: $sgpr0
	s_branch .LBB2069_135
.LBB2069_133:                           ;   in Loop: Header=BB2069_135 Depth=1
	s_or_b32 exec_lo, exec_lo, s5
.LBB2069_134:                           ;   in Loop: Header=BB2069_135 Depth=1
	s_delay_alu instid0(SALU_CYCLE_1) | instskip(SKIP_2) | instid1(VALU_DEP_2)
	s_or_b32 exec_lo, exec_lo, s4
	v_and_b32_e32 v4, 0x3fffffff, v9
	v_cmp_gt_i32_e64 s0, -2.0, v9
	v_add_nc_u32_e32 v8, v4, v8
	s_and_b32 s4, exec_lo, s0
	s_delay_alu instid0(SALU_CYCLE_1) | instskip(NEXT) | instid1(SALU_CYCLE_1)
	s_or_b32 s2, s4, s2
	s_and_not1_b32 exec_lo, exec_lo, s2
	s_cbranch_execz .LBB2069_140
.LBB2069_135:                           ; =>This Loop Header: Depth=1
                                        ;     Child Loop BB2069_138 Depth 2
	s_or_b32 s0, s0, exec_lo
	s_cmp_eq_u32 s3, 0
	s_cbranch_scc1 .LBB2069_139
; %bb.136:                              ;   in Loop: Header=BB2069_135 Depth=1
	s_add_co_i32 s3, s3, -1
	s_mov_b32 s4, exec_lo
	s_wait_xcnt 0x0
	v_lshl_or_b32 v4, s3, 8, v12
	global_load_b32 v9, v4, s[10:11] scale_offset scope:SCOPE_DEV
	s_wait_loadcnt 0x0
	v_cmpx_gt_u32_e32 2.0, v9
	s_cbranch_execz .LBB2069_134
; %bb.137:                              ;   in Loop: Header=BB2069_135 Depth=1
	v_lshl_add_u64 v[10:11], v[4:5], 2, s[10:11]
	s_mov_b32 s5, 0
.LBB2069_138:                           ;   Parent Loop BB2069_135 Depth=1
                                        ; =>  This Inner Loop Header: Depth=2
	global_load_b32 v9, v[10:11], off scope:SCOPE_DEV
	s_wait_loadcnt 0x0
	v_cmp_lt_u32_e64 s0, 0x3fffffff, v9
	s_or_b32 s5, s0, s5
	s_wait_xcnt 0x0
	s_and_not1_b32 exec_lo, exec_lo, s5
	s_cbranch_execnz .LBB2069_138
	s_branch .LBB2069_133
.LBB2069_139:                           ;   in Loop: Header=BB2069_135 Depth=1
                                        ; implicit-def: $sgpr3
	s_and_b32 s4, exec_lo, s0
	s_delay_alu instid0(SALU_CYCLE_1)
	s_or_b32 s2, s4, s2
	s_wait_xcnt 0x0
	s_and_not1_b32 exec_lo, exec_lo, s2
	s_cbranch_execnz .LBB2069_135
.LBB2069_140:
	s_or_b32 exec_lo, exec_lo, s2
	v_dual_mov_b32 v9, 0 :: v_dual_add_nc_u32 v4, v8, v2
	s_delay_alu instid0(VALU_DEP_1) | instskip(SKIP_4) | instid1(VALU_DEP_1)
	v_or_b32_e32 v4, 0x80000000, v4
	global_store_b32 v[6:7], v4, off scope:SCOPE_DEV
	global_load_b64 v[4:5], v12, s[12:13] scale_offset
	v_sub_nc_u64_e32 v[6:7], v[8:9], v[0:1]
	s_wait_loadcnt 0x0
	v_add_nc_u64_e32 v[4:5], v[6:7], v[4:5]
	ds_store_b64 v3, v[4:5]
.LBB2069_141:
	s_wait_xcnt 0x0
	s_or_b32 exec_lo, exec_lo, s1
	v_mad_i32_i24 v13, v12, -6, v3
	s_wait_storecnt_dscnt 0x0
	s_barrier_signal -1
	s_barrier_wait -1
	ds_load_u16 v16, v13 offset:2048
	ds_load_u16 v17, v13 offset:3072
	;; [unrolled: 1-line block ×8, first 2 shown]
	v_dual_mov_b32 v5, 0 :: v_dual_lshlrev_b32 v4, 1, v12
	s_add_co_i32 s7, s7, -1
	s_delay_alu instid0(SALU_CYCLE_1) | instskip(SKIP_2) | instid1(VALU_DEP_1)
	s_cmp_eq_u32 s9, s7
	s_wait_dscnt 0x7
	v_cmp_ne_u16_e64 s0, 0x7fff, v16
	v_cndmask_b32_e64 v6, 0xffff8000, v16, s0
	v_cmp_lt_i16_e64 s0, -1, v16
	s_delay_alu instid0(VALU_DEP_2) | instskip(NEXT) | instid1(VALU_DEP_2)
	v_and_b32_e32 v6, 0xffff, v6
	v_cndmask_b32_e64 v24, 0xffff8000, -1, s0
	s_wait_dscnt 0x6
	v_cmp_ne_u16_e64 s0, 0x7fff, v17
	s_delay_alu instid0(VALU_DEP_2) | instskip(NEXT) | instid1(VALU_DEP_2)
	v_xor_b32_e32 v24, v24, v16
	v_cndmask_b32_e64 v7, 0xffff8000, v17, s0
	s_wait_dscnt 0x5
	v_cmp_ne_u16_e64 s0, 0x7fff, v18
	s_delay_alu instid0(VALU_DEP_2) | instskip(NEXT) | instid1(VALU_DEP_2)
	v_and_b32_e32 v7, 0xffff, v7
	v_cndmask_b32_e64 v8, 0xffff8000, v18, s0
	s_wait_dscnt 0x4
	v_cmp_ne_u16_e64 s0, 0x7fff, v19
	s_delay_alu instid0(VALU_DEP_3) | instskip(NEXT) | instid1(VALU_DEP_3)
	v_dual_lshrrev_b32 v6, s20, v6 :: v_dual_lshrrev_b32 v7, s20, v7
	v_and_b32_e32 v8, 0xffff, v8
	s_delay_alu instid0(VALU_DEP_3) | instskip(SKIP_1) | instid1(VALU_DEP_4)
	v_cndmask_b32_e64 v9, 0xffff8000, v19, s0
	v_cmp_lt_i16_e64 s0, -1, v17
	v_and_b32_e32 v7, s8, v7
	v_and_b32_e32 v6, s8, v6
	s_delay_alu instid0(VALU_DEP_4) | instskip(NEXT) | instid1(VALU_DEP_4)
	v_and_b32_e32 v9, 0xffff, v9
	v_cndmask_b32_e64 v25, 0xffff8000, -1, s0
	s_wait_dscnt 0x3
	v_cmp_ne_u16_e64 s0, 0x7fff, v20
	v_dual_lshrrev_b32 v8, s20, v8 :: v_dual_lshlrev_b32 v11, 3, v7
	v_dual_lshrrev_b32 v9, s20, v9 :: v_dual_lshlrev_b32 v6, 3, v6
	s_delay_alu instid0(VALU_DEP_3) | instskip(SKIP_1) | instid1(VALU_DEP_2)
	v_cndmask_b32_e64 v10, 0xffff8000, v20, s0
	v_cmp_lt_i16_e64 s0, -1, v18
	v_and_b32_e32 v10, 0xffff, v10
	v_and_b32_e32 v8, s8, v8
	;; [unrolled: 1-line block ×3, first 2 shown]
	s_delay_alu instid0(VALU_DEP_4) | instskip(SKIP_1) | instid1(VALU_DEP_4)
	v_cndmask_b32_e64 v27, 0xffff8000, -1, s0
	v_cmp_lt_i16_e64 s0, -1, v19
	v_dual_lshrrev_b32 v26, s20, v10 :: v_dual_lshlrev_b32 v10, 3, v8
	s_delay_alu instid0(VALU_DEP_4)
	v_lshlrev_b32_e32 v14, 3, v9
	ds_load_b64 v[6:7], v6
	ds_load_b64 v[8:9], v11
	v_cndmask_b32_e64 v28, 0xffff8000, -1, s0
	s_wait_dscnt 0x4
	v_cmp_ne_u16_e64 s0, 0x7fff, v21
	v_and_b32_e32 v26, s8, v26
	ds_load_b64 v[10:11], v10
	ds_load_b64 v[14:15], v14
	v_xor_b32_e32 v19, v28, v19
	v_cndmask_b32_e64 v29, 0xffff8000, v21, s0
	s_wait_dscnt 0x5
	v_cmp_ne_u16_e64 s0, 0x7fff, v22
	v_lshlrev_b32_e32 v26, 3, v26
	s_delay_alu instid0(VALU_DEP_2) | instskip(SKIP_1) | instid1(VALU_DEP_2)
	v_cndmask_b32_e64 v30, 0xffff8000, v22, s0
	v_cmp_lt_i16_e64 s0, -1, v20
	v_and_b32_e32 v28, 0xffff, v30
	s_wait_dscnt 0x3
	v_lshl_add_u64 v[6:7], v[6:7], 1, s[18:19]
	v_xor_b32_e32 v18, v27, v18
	v_and_b32_e32 v27, 0xffff, v29
	v_xor_b32_e32 v25, v25, v17
	ds_load_b64 v[16:17], v26
	ds_load_u16 v26, v13 offset:10240
	ds_load_u16 v31, v13 offset:11264
	;; [unrolled: 1-line block ×4, first 2 shown]
	s_wait_dscnt 0x7
	v_lshl_add_u64 v[8:9], v[8:9], 1, s[18:19]
	s_wait_dscnt 0x6
	v_lshl_add_u64 v[10:11], v[10:11], 1, s[18:19]
	v_add_nc_u64_e32 v[6:7], v[6:7], v[4:5]
	s_wait_dscnt 0x5
	v_lshl_add_u64 v[14:15], v[14:15], 1, s[18:19]
	v_add_nc_u64_e32 v[8:9], v[8:9], v[4:5]
	v_add_nc_u64_e32 v[10:11], v[10:11], v[4:5]
	s_clause 0x1
	global_store_b16 v[6:7], v24, off
	global_store_b16 v[8:9], v25, off offset:1024
	s_wait_xcnt 0x1
	v_cndmask_b32_e64 v6, 0xffff8000, -1, s0
	v_cmp_ne_u16_e64 s0, 0x7fff, v23
	s_wait_xcnt 0x0
	v_dual_lshrrev_b32 v8, s20, v27 :: v_dual_lshrrev_b32 v9, s20, v28
	global_store_b16 v[10:11], v18, off offset:2048
	v_add_nc_u64_e32 v[14:15], v[14:15], v[4:5]
	s_wait_xcnt 0x0
	v_cndmask_b32_e64 v10, 0xffff8000, v23, s0
	s_wait_dscnt 0x3
	v_cmp_ne_u16_e64 s0, 0x7fff, v26
	v_and_b32_e32 v8, s8, v8
	v_and_b32_e32 v9, s8, v9
	s_delay_alu instid0(VALU_DEP_3)
	v_cndmask_b32_e64 v11, 0xffff8000, v26, s0
	s_wait_dscnt 0x2
	v_cmp_ne_u16_e64 s0, 0x7fff, v31
	v_lshlrev_b32_e32 v8, 3, v8
	global_store_b16 v[14:15], v19, off offset:3072
	s_wait_xcnt 0x0
	v_dual_lshlrev_b32 v15, 3, v9 :: v_dual_bitop2_b32 v14, v6, v20 bitop3:0x14
	v_lshl_add_u64 v[6:7], v[16:17], 1, s[18:19]
	v_and_b32_e32 v16, 0xffff, v10
	v_and_b32_e32 v17, 0xffff, v11
	v_cndmask_b32_e64 v18, 0xffff8000, v31, s0
	ds_load_b64 v[8:9], v8
	ds_load_b64 v[10:11], v15
	v_cmp_lt_i16_e64 s0, -1, v21
	v_dual_lshrrev_b32 v15, s20, v16 :: v_dual_lshrrev_b32 v16, s20, v17
	v_and_b32_e32 v17, 0xffff, v18
	v_add_nc_u64_e32 v[6:7], v[6:7], v[4:5]
	s_delay_alu instid0(VALU_DEP_4) | instskip(NEXT) | instid1(VALU_DEP_4)
	v_cndmask_b32_e64 v18, 0xffff8000, -1, s0
	v_and_b32_e32 v15, s8, v15
	s_wait_dscnt 0x3
	v_cmp_ne_u16_e64 s0, 0x7fff, v32
	v_dual_lshrrev_b32 v17, s20, v17 :: v_dual_bitop2_b32 v16, s8, v16 bitop3:0x40
	global_store_b16 v[6:7], v14, off offset:4096
	s_wait_xcnt 0x0
	v_dual_lshlrev_b32 v6, 3, v15 :: v_dual_bitop2_b32 v18, v18, v21 bitop3:0x14
	v_dual_lshlrev_b32 v14, 3, v16 :: v_dual_bitop2_b32 v16, s8, v17 bitop3:0x40
	v_cndmask_b32_e64 v17, 0xffff8000, v32, s0
	s_wait_dscnt 0x2
	v_cmp_ne_u16_e64 s0, 0x7fff, v13
	s_wait_dscnt 0x1
	v_lshl_add_u64 v[8:9], v[8:9], 1, s[18:19]
	s_wait_dscnt 0x0
	v_lshl_add_u64 v[10:11], v[10:11], 1, s[18:19]
	ds_load_b64 v[6:7], v6
	ds_load_b64 v[14:15], v14
	v_and_b32_e32 v17, 0xffff, v17
	v_cndmask_b32_e64 v19, 0xffff8000, v13, s0
	v_cmp_lt_i16_e64 s0, -1, v22
	v_add_nc_u64_e32 v[8:9], v[8:9], v[4:5]
	v_add_nc_u64_e32 v[10:11], v[10:11], v[4:5]
	v_lshrrev_b32_e32 v20, s20, v17
	v_and_b32_e32 v19, 0xffff, v19
	v_lshlrev_b32_e32 v16, 3, v16
	v_cndmask_b32_e64 v21, 0xffff8000, -1, s0
	v_cmp_lt_i16_e64 s0, -1, v23
	s_delay_alu instid0(VALU_DEP_4)
	v_lshrrev_b32_e32 v19, s20, v19
	ds_load_b64 v[16:17], v16
	v_xor_b32_e32 v21, v21, v22
	s_clause 0x1
	global_store_b16 v[8:9], v18, off offset:5120
	global_store_b16 v[10:11], v21, off offset:6144
	v_and_b32_e32 v19, s8, v19
	v_and_b32_e32 v20, s8, v20
	v_cndmask_b32_e64 v22, 0xffff8000, -1, s0
	v_cmp_lt_i16_e64 s0, -1, v26
	s_wait_dscnt 0x2
	v_lshl_add_u64 v[6:7], v[6:7], 1, s[18:19]
	v_dual_lshlrev_b32 v19, 3, v19 :: v_dual_lshlrev_b32 v20, 3, v20
	s_wait_dscnt 0x1
	v_lshl_add_u64 v[14:15], v[14:15], 1, s[18:19]
	s_wait_xcnt 0x1
	v_xor_b32_e32 v18, v22, v23
	v_add_nc_u64_e32 v[6:7], v[6:7], v[4:5]
	s_wait_xcnt 0x0
	ds_load_b64 v[10:11], v19
	ds_load_b64 v[8:9], v20
	v_cndmask_b32_e64 v19, 0xffff8000, -1, s0
	v_cmp_lt_i16_e64 s0, -1, v31
	s_wait_dscnt 0x2
	v_lshl_add_u64 v[16:17], v[16:17], 1, s[18:19]
	v_add_nc_u64_e32 v[14:15], v[14:15], v[4:5]
	v_xor_b32_e32 v19, v19, v26
	v_cndmask_b32_e64 v20, 0xffff8000, -1, s0
	v_cmp_lt_i16_e64 s0, -1, v32
	v_add_nc_u64_e32 v[16:17], v[16:17], v[4:5]
	s_delay_alu instid0(VALU_DEP_3) | instskip(NEXT) | instid1(VALU_DEP_3)
	v_xor_b32_e32 v20, v20, v31
	v_cndmask_b32_e64 v21, 0xffff8000, -1, s0
	v_cmp_lt_i16_e64 s0, -1, v13
	s_clause 0x2
	global_store_b16 v[6:7], v18, off offset:7168
	global_store_b16 v[14:15], v19, off offset:8192
	;; [unrolled: 1-line block ×3, first 2 shown]
	s_wait_xcnt 0x1
	v_xor_b32_e32 v14, v21, v32
	s_wait_dscnt 0x0
	v_lshl_add_u64 v[6:7], v[8:9], 1, s[18:19]
	v_lshl_add_u64 v[8:9], v[10:11], 1, s[18:19]
	v_cndmask_b32_e64 v10, 0xffff8000, -1, s0
	s_cselect_b32 s0, -1, 0
	s_xor_b32 s1, vcc_lo, -1
	v_add_nc_u64_e32 v[6:7], v[6:7], v[4:5]
	v_add_nc_u64_e32 v[8:9], v[8:9], v[4:5]
	v_xor_b32_e32 v4, v10, v13
	s_and_b32 s0, s1, s0
	s_clause 0x1
	global_store_b16 v[6:7], v14, off offset:10240
	global_store_b16 v[8:9], v4, off offset:11264
	s_wait_xcnt 0x0
	s_and_saveexec_b32 s1, s0
	s_cbranch_execz .LBB2069_143
; %bb.142:
	ds_load_b64 v[6:7], v3
	v_mov_b32_e32 v3, v5
	s_delay_alu instid0(VALU_DEP_1) | instskip(SKIP_1) | instid1(VALU_DEP_1)
	v_add_nc_u64_e32 v[0:1], v[0:1], v[2:3]
	s_wait_dscnt 0x0
	v_add_nc_u64_e32 v[0:1], v[0:1], v[6:7]
	global_store_b64 v12, v[0:1], s[14:15] scale_offset
.LBB2069_143:
	s_sendmsg sendmsg(MSG_DEALLOC_VGPRS)
	s_endpgm
	.section	.rodata,"a",@progbits
	.p2align	6, 0x0
	.amdhsa_kernel _ZN7rocprim17ROCPRIM_400000_NS6detail17trampoline_kernelINS0_14default_configENS1_35radix_sort_onesweep_config_selectorI12hip_bfloat16NS0_10empty_typeEEEZZNS1_29radix_sort_onesweep_iterationIS3_Lb0EPKS5_PS5_PS6_SC_mNS0_19identity_decomposerENS1_16block_id_wrapperIjLb0EEEEE10hipError_tT1_PNSt15iterator_traitsISH_E10value_typeET2_T3_PNSI_ISN_E10value_typeET4_T5_PSS_ST_PNS1_23onesweep_lookback_stateEbbT6_jjT7_P12ihipStream_tbENKUlT_T0_SH_SM_E_clISA_SB_SC_SC_EEDaS10_S11_SH_SM_EUlS10_E_NS1_11comp_targetILNS1_3genE0ELNS1_11target_archE4294967295ELNS1_3gpuE0ELNS1_3repE0EEENS1_47radix_sort_onesweep_sort_config_static_selectorELNS0_4arch9wavefront6targetE0EEEvSH_
		.amdhsa_group_segment_fixed_size 18504
		.amdhsa_private_segment_fixed_size 0
		.amdhsa_kernarg_size 344
		.amdhsa_user_sgpr_count 2
		.amdhsa_user_sgpr_dispatch_ptr 0
		.amdhsa_user_sgpr_queue_ptr 0
		.amdhsa_user_sgpr_kernarg_segment_ptr 1
		.amdhsa_user_sgpr_dispatch_id 0
		.amdhsa_user_sgpr_kernarg_preload_length 0
		.amdhsa_user_sgpr_kernarg_preload_offset 0
		.amdhsa_user_sgpr_private_segment_size 0
		.amdhsa_wavefront_size32 1
		.amdhsa_uses_dynamic_stack 0
		.amdhsa_enable_private_segment 0
		.amdhsa_system_sgpr_workgroup_id_x 1
		.amdhsa_system_sgpr_workgroup_id_y 0
		.amdhsa_system_sgpr_workgroup_id_z 0
		.amdhsa_system_sgpr_workgroup_info 0
		.amdhsa_system_vgpr_workitem_id 2
		.amdhsa_next_free_vgpr 65
		.amdhsa_next_free_sgpr 28
		.amdhsa_named_barrier_count 0
		.amdhsa_reserve_vcc 1
		.amdhsa_float_round_mode_32 0
		.amdhsa_float_round_mode_16_64 0
		.amdhsa_float_denorm_mode_32 3
		.amdhsa_float_denorm_mode_16_64 3
		.amdhsa_fp16_overflow 0
		.amdhsa_memory_ordered 1
		.amdhsa_forward_progress 1
		.amdhsa_inst_pref_size 146
		.amdhsa_round_robin_scheduling 0
		.amdhsa_exception_fp_ieee_invalid_op 0
		.amdhsa_exception_fp_denorm_src 0
		.amdhsa_exception_fp_ieee_div_zero 0
		.amdhsa_exception_fp_ieee_overflow 0
		.amdhsa_exception_fp_ieee_underflow 0
		.amdhsa_exception_fp_ieee_inexact 0
		.amdhsa_exception_int_div_zero 0
	.end_amdhsa_kernel
	.section	.text._ZN7rocprim17ROCPRIM_400000_NS6detail17trampoline_kernelINS0_14default_configENS1_35radix_sort_onesweep_config_selectorI12hip_bfloat16NS0_10empty_typeEEEZZNS1_29radix_sort_onesweep_iterationIS3_Lb0EPKS5_PS5_PS6_SC_mNS0_19identity_decomposerENS1_16block_id_wrapperIjLb0EEEEE10hipError_tT1_PNSt15iterator_traitsISH_E10value_typeET2_T3_PNSI_ISN_E10value_typeET4_T5_PSS_ST_PNS1_23onesweep_lookback_stateEbbT6_jjT7_P12ihipStream_tbENKUlT_T0_SH_SM_E_clISA_SB_SC_SC_EEDaS10_S11_SH_SM_EUlS10_E_NS1_11comp_targetILNS1_3genE0ELNS1_11target_archE4294967295ELNS1_3gpuE0ELNS1_3repE0EEENS1_47radix_sort_onesweep_sort_config_static_selectorELNS0_4arch9wavefront6targetE0EEEvSH_,"axG",@progbits,_ZN7rocprim17ROCPRIM_400000_NS6detail17trampoline_kernelINS0_14default_configENS1_35radix_sort_onesweep_config_selectorI12hip_bfloat16NS0_10empty_typeEEEZZNS1_29radix_sort_onesweep_iterationIS3_Lb0EPKS5_PS5_PS6_SC_mNS0_19identity_decomposerENS1_16block_id_wrapperIjLb0EEEEE10hipError_tT1_PNSt15iterator_traitsISH_E10value_typeET2_T3_PNSI_ISN_E10value_typeET4_T5_PSS_ST_PNS1_23onesweep_lookback_stateEbbT6_jjT7_P12ihipStream_tbENKUlT_T0_SH_SM_E_clISA_SB_SC_SC_EEDaS10_S11_SH_SM_EUlS10_E_NS1_11comp_targetILNS1_3genE0ELNS1_11target_archE4294967295ELNS1_3gpuE0ELNS1_3repE0EEENS1_47radix_sort_onesweep_sort_config_static_selectorELNS0_4arch9wavefront6targetE0EEEvSH_,comdat
.Lfunc_end2069:
	.size	_ZN7rocprim17ROCPRIM_400000_NS6detail17trampoline_kernelINS0_14default_configENS1_35radix_sort_onesweep_config_selectorI12hip_bfloat16NS0_10empty_typeEEEZZNS1_29radix_sort_onesweep_iterationIS3_Lb0EPKS5_PS5_PS6_SC_mNS0_19identity_decomposerENS1_16block_id_wrapperIjLb0EEEEE10hipError_tT1_PNSt15iterator_traitsISH_E10value_typeET2_T3_PNSI_ISN_E10value_typeET4_T5_PSS_ST_PNS1_23onesweep_lookback_stateEbbT6_jjT7_P12ihipStream_tbENKUlT_T0_SH_SM_E_clISA_SB_SC_SC_EEDaS10_S11_SH_SM_EUlS10_E_NS1_11comp_targetILNS1_3genE0ELNS1_11target_archE4294967295ELNS1_3gpuE0ELNS1_3repE0EEENS1_47radix_sort_onesweep_sort_config_static_selectorELNS0_4arch9wavefront6targetE0EEEvSH_, .Lfunc_end2069-_ZN7rocprim17ROCPRIM_400000_NS6detail17trampoline_kernelINS0_14default_configENS1_35radix_sort_onesweep_config_selectorI12hip_bfloat16NS0_10empty_typeEEEZZNS1_29radix_sort_onesweep_iterationIS3_Lb0EPKS5_PS5_PS6_SC_mNS0_19identity_decomposerENS1_16block_id_wrapperIjLb0EEEEE10hipError_tT1_PNSt15iterator_traitsISH_E10value_typeET2_T3_PNSI_ISN_E10value_typeET4_T5_PSS_ST_PNS1_23onesweep_lookback_stateEbbT6_jjT7_P12ihipStream_tbENKUlT_T0_SH_SM_E_clISA_SB_SC_SC_EEDaS10_S11_SH_SM_EUlS10_E_NS1_11comp_targetILNS1_3genE0ELNS1_11target_archE4294967295ELNS1_3gpuE0ELNS1_3repE0EEENS1_47radix_sort_onesweep_sort_config_static_selectorELNS0_4arch9wavefront6targetE0EEEvSH_
                                        ; -- End function
	.set _ZN7rocprim17ROCPRIM_400000_NS6detail17trampoline_kernelINS0_14default_configENS1_35radix_sort_onesweep_config_selectorI12hip_bfloat16NS0_10empty_typeEEEZZNS1_29radix_sort_onesweep_iterationIS3_Lb0EPKS5_PS5_PS6_SC_mNS0_19identity_decomposerENS1_16block_id_wrapperIjLb0EEEEE10hipError_tT1_PNSt15iterator_traitsISH_E10value_typeET2_T3_PNSI_ISN_E10value_typeET4_T5_PSS_ST_PNS1_23onesweep_lookback_stateEbbT6_jjT7_P12ihipStream_tbENKUlT_T0_SH_SM_E_clISA_SB_SC_SC_EEDaS10_S11_SH_SM_EUlS10_E_NS1_11comp_targetILNS1_3genE0ELNS1_11target_archE4294967295ELNS1_3gpuE0ELNS1_3repE0EEENS1_47radix_sort_onesweep_sort_config_static_selectorELNS0_4arch9wavefront6targetE0EEEvSH_.num_vgpr, 65
	.set _ZN7rocprim17ROCPRIM_400000_NS6detail17trampoline_kernelINS0_14default_configENS1_35radix_sort_onesweep_config_selectorI12hip_bfloat16NS0_10empty_typeEEEZZNS1_29radix_sort_onesweep_iterationIS3_Lb0EPKS5_PS5_PS6_SC_mNS0_19identity_decomposerENS1_16block_id_wrapperIjLb0EEEEE10hipError_tT1_PNSt15iterator_traitsISH_E10value_typeET2_T3_PNSI_ISN_E10value_typeET4_T5_PSS_ST_PNS1_23onesweep_lookback_stateEbbT6_jjT7_P12ihipStream_tbENKUlT_T0_SH_SM_E_clISA_SB_SC_SC_EEDaS10_S11_SH_SM_EUlS10_E_NS1_11comp_targetILNS1_3genE0ELNS1_11target_archE4294967295ELNS1_3gpuE0ELNS1_3repE0EEENS1_47radix_sort_onesweep_sort_config_static_selectorELNS0_4arch9wavefront6targetE0EEEvSH_.num_agpr, 0
	.set _ZN7rocprim17ROCPRIM_400000_NS6detail17trampoline_kernelINS0_14default_configENS1_35radix_sort_onesweep_config_selectorI12hip_bfloat16NS0_10empty_typeEEEZZNS1_29radix_sort_onesweep_iterationIS3_Lb0EPKS5_PS5_PS6_SC_mNS0_19identity_decomposerENS1_16block_id_wrapperIjLb0EEEEE10hipError_tT1_PNSt15iterator_traitsISH_E10value_typeET2_T3_PNSI_ISN_E10value_typeET4_T5_PSS_ST_PNS1_23onesweep_lookback_stateEbbT6_jjT7_P12ihipStream_tbENKUlT_T0_SH_SM_E_clISA_SB_SC_SC_EEDaS10_S11_SH_SM_EUlS10_E_NS1_11comp_targetILNS1_3genE0ELNS1_11target_archE4294967295ELNS1_3gpuE0ELNS1_3repE0EEENS1_47radix_sort_onesweep_sort_config_static_selectorELNS0_4arch9wavefront6targetE0EEEvSH_.numbered_sgpr, 28
	.set _ZN7rocprim17ROCPRIM_400000_NS6detail17trampoline_kernelINS0_14default_configENS1_35radix_sort_onesweep_config_selectorI12hip_bfloat16NS0_10empty_typeEEEZZNS1_29radix_sort_onesweep_iterationIS3_Lb0EPKS5_PS5_PS6_SC_mNS0_19identity_decomposerENS1_16block_id_wrapperIjLb0EEEEE10hipError_tT1_PNSt15iterator_traitsISH_E10value_typeET2_T3_PNSI_ISN_E10value_typeET4_T5_PSS_ST_PNS1_23onesweep_lookback_stateEbbT6_jjT7_P12ihipStream_tbENKUlT_T0_SH_SM_E_clISA_SB_SC_SC_EEDaS10_S11_SH_SM_EUlS10_E_NS1_11comp_targetILNS1_3genE0ELNS1_11target_archE4294967295ELNS1_3gpuE0ELNS1_3repE0EEENS1_47radix_sort_onesweep_sort_config_static_selectorELNS0_4arch9wavefront6targetE0EEEvSH_.num_named_barrier, 0
	.set _ZN7rocprim17ROCPRIM_400000_NS6detail17trampoline_kernelINS0_14default_configENS1_35radix_sort_onesweep_config_selectorI12hip_bfloat16NS0_10empty_typeEEEZZNS1_29radix_sort_onesweep_iterationIS3_Lb0EPKS5_PS5_PS6_SC_mNS0_19identity_decomposerENS1_16block_id_wrapperIjLb0EEEEE10hipError_tT1_PNSt15iterator_traitsISH_E10value_typeET2_T3_PNSI_ISN_E10value_typeET4_T5_PSS_ST_PNS1_23onesweep_lookback_stateEbbT6_jjT7_P12ihipStream_tbENKUlT_T0_SH_SM_E_clISA_SB_SC_SC_EEDaS10_S11_SH_SM_EUlS10_E_NS1_11comp_targetILNS1_3genE0ELNS1_11target_archE4294967295ELNS1_3gpuE0ELNS1_3repE0EEENS1_47radix_sort_onesweep_sort_config_static_selectorELNS0_4arch9wavefront6targetE0EEEvSH_.private_seg_size, 0
	.set _ZN7rocprim17ROCPRIM_400000_NS6detail17trampoline_kernelINS0_14default_configENS1_35radix_sort_onesweep_config_selectorI12hip_bfloat16NS0_10empty_typeEEEZZNS1_29radix_sort_onesweep_iterationIS3_Lb0EPKS5_PS5_PS6_SC_mNS0_19identity_decomposerENS1_16block_id_wrapperIjLb0EEEEE10hipError_tT1_PNSt15iterator_traitsISH_E10value_typeET2_T3_PNSI_ISN_E10value_typeET4_T5_PSS_ST_PNS1_23onesweep_lookback_stateEbbT6_jjT7_P12ihipStream_tbENKUlT_T0_SH_SM_E_clISA_SB_SC_SC_EEDaS10_S11_SH_SM_EUlS10_E_NS1_11comp_targetILNS1_3genE0ELNS1_11target_archE4294967295ELNS1_3gpuE0ELNS1_3repE0EEENS1_47radix_sort_onesweep_sort_config_static_selectorELNS0_4arch9wavefront6targetE0EEEvSH_.uses_vcc, 1
	.set _ZN7rocprim17ROCPRIM_400000_NS6detail17trampoline_kernelINS0_14default_configENS1_35radix_sort_onesweep_config_selectorI12hip_bfloat16NS0_10empty_typeEEEZZNS1_29radix_sort_onesweep_iterationIS3_Lb0EPKS5_PS5_PS6_SC_mNS0_19identity_decomposerENS1_16block_id_wrapperIjLb0EEEEE10hipError_tT1_PNSt15iterator_traitsISH_E10value_typeET2_T3_PNSI_ISN_E10value_typeET4_T5_PSS_ST_PNS1_23onesweep_lookback_stateEbbT6_jjT7_P12ihipStream_tbENKUlT_T0_SH_SM_E_clISA_SB_SC_SC_EEDaS10_S11_SH_SM_EUlS10_E_NS1_11comp_targetILNS1_3genE0ELNS1_11target_archE4294967295ELNS1_3gpuE0ELNS1_3repE0EEENS1_47radix_sort_onesweep_sort_config_static_selectorELNS0_4arch9wavefront6targetE0EEEvSH_.uses_flat_scratch, 0
	.set _ZN7rocprim17ROCPRIM_400000_NS6detail17trampoline_kernelINS0_14default_configENS1_35radix_sort_onesweep_config_selectorI12hip_bfloat16NS0_10empty_typeEEEZZNS1_29radix_sort_onesweep_iterationIS3_Lb0EPKS5_PS5_PS6_SC_mNS0_19identity_decomposerENS1_16block_id_wrapperIjLb0EEEEE10hipError_tT1_PNSt15iterator_traitsISH_E10value_typeET2_T3_PNSI_ISN_E10value_typeET4_T5_PSS_ST_PNS1_23onesweep_lookback_stateEbbT6_jjT7_P12ihipStream_tbENKUlT_T0_SH_SM_E_clISA_SB_SC_SC_EEDaS10_S11_SH_SM_EUlS10_E_NS1_11comp_targetILNS1_3genE0ELNS1_11target_archE4294967295ELNS1_3gpuE0ELNS1_3repE0EEENS1_47radix_sort_onesweep_sort_config_static_selectorELNS0_4arch9wavefront6targetE0EEEvSH_.has_dyn_sized_stack, 0
	.set _ZN7rocprim17ROCPRIM_400000_NS6detail17trampoline_kernelINS0_14default_configENS1_35radix_sort_onesweep_config_selectorI12hip_bfloat16NS0_10empty_typeEEEZZNS1_29radix_sort_onesweep_iterationIS3_Lb0EPKS5_PS5_PS6_SC_mNS0_19identity_decomposerENS1_16block_id_wrapperIjLb0EEEEE10hipError_tT1_PNSt15iterator_traitsISH_E10value_typeET2_T3_PNSI_ISN_E10value_typeET4_T5_PSS_ST_PNS1_23onesweep_lookback_stateEbbT6_jjT7_P12ihipStream_tbENKUlT_T0_SH_SM_E_clISA_SB_SC_SC_EEDaS10_S11_SH_SM_EUlS10_E_NS1_11comp_targetILNS1_3genE0ELNS1_11target_archE4294967295ELNS1_3gpuE0ELNS1_3repE0EEENS1_47radix_sort_onesweep_sort_config_static_selectorELNS0_4arch9wavefront6targetE0EEEvSH_.has_recursion, 0
	.set _ZN7rocprim17ROCPRIM_400000_NS6detail17trampoline_kernelINS0_14default_configENS1_35radix_sort_onesweep_config_selectorI12hip_bfloat16NS0_10empty_typeEEEZZNS1_29radix_sort_onesweep_iterationIS3_Lb0EPKS5_PS5_PS6_SC_mNS0_19identity_decomposerENS1_16block_id_wrapperIjLb0EEEEE10hipError_tT1_PNSt15iterator_traitsISH_E10value_typeET2_T3_PNSI_ISN_E10value_typeET4_T5_PSS_ST_PNS1_23onesweep_lookback_stateEbbT6_jjT7_P12ihipStream_tbENKUlT_T0_SH_SM_E_clISA_SB_SC_SC_EEDaS10_S11_SH_SM_EUlS10_E_NS1_11comp_targetILNS1_3genE0ELNS1_11target_archE4294967295ELNS1_3gpuE0ELNS1_3repE0EEENS1_47radix_sort_onesweep_sort_config_static_selectorELNS0_4arch9wavefront6targetE0EEEvSH_.has_indirect_call, 0
	.section	.AMDGPU.csdata,"",@progbits
; Kernel info:
; codeLenInByte = 18632
; TotalNumSgprs: 30
; NumVgprs: 65
; ScratchSize: 0
; MemoryBound: 0
; FloatMode: 240
; IeeeMode: 1
; LDSByteSize: 18504 bytes/workgroup (compile time only)
; SGPRBlocks: 0
; VGPRBlocks: 4
; NumSGPRsForWavesPerEU: 30
; NumVGPRsForWavesPerEU: 65
; NamedBarCnt: 0
; Occupancy: 12
; WaveLimiterHint : 0
; COMPUTE_PGM_RSRC2:SCRATCH_EN: 0
; COMPUTE_PGM_RSRC2:USER_SGPR: 2
; COMPUTE_PGM_RSRC2:TRAP_HANDLER: 0
; COMPUTE_PGM_RSRC2:TGID_X_EN: 1
; COMPUTE_PGM_RSRC2:TGID_Y_EN: 0
; COMPUTE_PGM_RSRC2:TGID_Z_EN: 0
; COMPUTE_PGM_RSRC2:TIDIG_COMP_CNT: 2
	.section	.text._ZN7rocprim17ROCPRIM_400000_NS6detail17trampoline_kernelINS0_14default_configENS1_35radix_sort_onesweep_config_selectorI12hip_bfloat16NS0_10empty_typeEEEZZNS1_29radix_sort_onesweep_iterationIS3_Lb0EPKS5_PS5_PS6_SC_mNS0_19identity_decomposerENS1_16block_id_wrapperIjLb0EEEEE10hipError_tT1_PNSt15iterator_traitsISH_E10value_typeET2_T3_PNSI_ISN_E10value_typeET4_T5_PSS_ST_PNS1_23onesweep_lookback_stateEbbT6_jjT7_P12ihipStream_tbENKUlT_T0_SH_SM_E_clISA_SB_SC_SC_EEDaS10_S11_SH_SM_EUlS10_E_NS1_11comp_targetILNS1_3genE6ELNS1_11target_archE950ELNS1_3gpuE13ELNS1_3repE0EEENS1_47radix_sort_onesweep_sort_config_static_selectorELNS0_4arch9wavefront6targetE0EEEvSH_,"axG",@progbits,_ZN7rocprim17ROCPRIM_400000_NS6detail17trampoline_kernelINS0_14default_configENS1_35radix_sort_onesweep_config_selectorI12hip_bfloat16NS0_10empty_typeEEEZZNS1_29radix_sort_onesweep_iterationIS3_Lb0EPKS5_PS5_PS6_SC_mNS0_19identity_decomposerENS1_16block_id_wrapperIjLb0EEEEE10hipError_tT1_PNSt15iterator_traitsISH_E10value_typeET2_T3_PNSI_ISN_E10value_typeET4_T5_PSS_ST_PNS1_23onesweep_lookback_stateEbbT6_jjT7_P12ihipStream_tbENKUlT_T0_SH_SM_E_clISA_SB_SC_SC_EEDaS10_S11_SH_SM_EUlS10_E_NS1_11comp_targetILNS1_3genE6ELNS1_11target_archE950ELNS1_3gpuE13ELNS1_3repE0EEENS1_47radix_sort_onesweep_sort_config_static_selectorELNS0_4arch9wavefront6targetE0EEEvSH_,comdat
	.protected	_ZN7rocprim17ROCPRIM_400000_NS6detail17trampoline_kernelINS0_14default_configENS1_35radix_sort_onesweep_config_selectorI12hip_bfloat16NS0_10empty_typeEEEZZNS1_29radix_sort_onesweep_iterationIS3_Lb0EPKS5_PS5_PS6_SC_mNS0_19identity_decomposerENS1_16block_id_wrapperIjLb0EEEEE10hipError_tT1_PNSt15iterator_traitsISH_E10value_typeET2_T3_PNSI_ISN_E10value_typeET4_T5_PSS_ST_PNS1_23onesweep_lookback_stateEbbT6_jjT7_P12ihipStream_tbENKUlT_T0_SH_SM_E_clISA_SB_SC_SC_EEDaS10_S11_SH_SM_EUlS10_E_NS1_11comp_targetILNS1_3genE6ELNS1_11target_archE950ELNS1_3gpuE13ELNS1_3repE0EEENS1_47radix_sort_onesweep_sort_config_static_selectorELNS0_4arch9wavefront6targetE0EEEvSH_ ; -- Begin function _ZN7rocprim17ROCPRIM_400000_NS6detail17trampoline_kernelINS0_14default_configENS1_35radix_sort_onesweep_config_selectorI12hip_bfloat16NS0_10empty_typeEEEZZNS1_29radix_sort_onesweep_iterationIS3_Lb0EPKS5_PS5_PS6_SC_mNS0_19identity_decomposerENS1_16block_id_wrapperIjLb0EEEEE10hipError_tT1_PNSt15iterator_traitsISH_E10value_typeET2_T3_PNSI_ISN_E10value_typeET4_T5_PSS_ST_PNS1_23onesweep_lookback_stateEbbT6_jjT7_P12ihipStream_tbENKUlT_T0_SH_SM_E_clISA_SB_SC_SC_EEDaS10_S11_SH_SM_EUlS10_E_NS1_11comp_targetILNS1_3genE6ELNS1_11target_archE950ELNS1_3gpuE13ELNS1_3repE0EEENS1_47radix_sort_onesweep_sort_config_static_selectorELNS0_4arch9wavefront6targetE0EEEvSH_
	.globl	_ZN7rocprim17ROCPRIM_400000_NS6detail17trampoline_kernelINS0_14default_configENS1_35radix_sort_onesweep_config_selectorI12hip_bfloat16NS0_10empty_typeEEEZZNS1_29radix_sort_onesweep_iterationIS3_Lb0EPKS5_PS5_PS6_SC_mNS0_19identity_decomposerENS1_16block_id_wrapperIjLb0EEEEE10hipError_tT1_PNSt15iterator_traitsISH_E10value_typeET2_T3_PNSI_ISN_E10value_typeET4_T5_PSS_ST_PNS1_23onesweep_lookback_stateEbbT6_jjT7_P12ihipStream_tbENKUlT_T0_SH_SM_E_clISA_SB_SC_SC_EEDaS10_S11_SH_SM_EUlS10_E_NS1_11comp_targetILNS1_3genE6ELNS1_11target_archE950ELNS1_3gpuE13ELNS1_3repE0EEENS1_47radix_sort_onesweep_sort_config_static_selectorELNS0_4arch9wavefront6targetE0EEEvSH_
	.p2align	8
	.type	_ZN7rocprim17ROCPRIM_400000_NS6detail17trampoline_kernelINS0_14default_configENS1_35radix_sort_onesweep_config_selectorI12hip_bfloat16NS0_10empty_typeEEEZZNS1_29radix_sort_onesweep_iterationIS3_Lb0EPKS5_PS5_PS6_SC_mNS0_19identity_decomposerENS1_16block_id_wrapperIjLb0EEEEE10hipError_tT1_PNSt15iterator_traitsISH_E10value_typeET2_T3_PNSI_ISN_E10value_typeET4_T5_PSS_ST_PNS1_23onesweep_lookback_stateEbbT6_jjT7_P12ihipStream_tbENKUlT_T0_SH_SM_E_clISA_SB_SC_SC_EEDaS10_S11_SH_SM_EUlS10_E_NS1_11comp_targetILNS1_3genE6ELNS1_11target_archE950ELNS1_3gpuE13ELNS1_3repE0EEENS1_47radix_sort_onesweep_sort_config_static_selectorELNS0_4arch9wavefront6targetE0EEEvSH_,@function
_ZN7rocprim17ROCPRIM_400000_NS6detail17trampoline_kernelINS0_14default_configENS1_35radix_sort_onesweep_config_selectorI12hip_bfloat16NS0_10empty_typeEEEZZNS1_29radix_sort_onesweep_iterationIS3_Lb0EPKS5_PS5_PS6_SC_mNS0_19identity_decomposerENS1_16block_id_wrapperIjLb0EEEEE10hipError_tT1_PNSt15iterator_traitsISH_E10value_typeET2_T3_PNSI_ISN_E10value_typeET4_T5_PSS_ST_PNS1_23onesweep_lookback_stateEbbT6_jjT7_P12ihipStream_tbENKUlT_T0_SH_SM_E_clISA_SB_SC_SC_EEDaS10_S11_SH_SM_EUlS10_E_NS1_11comp_targetILNS1_3genE6ELNS1_11target_archE950ELNS1_3gpuE13ELNS1_3repE0EEENS1_47radix_sort_onesweep_sort_config_static_selectorELNS0_4arch9wavefront6targetE0EEEvSH_: ; @_ZN7rocprim17ROCPRIM_400000_NS6detail17trampoline_kernelINS0_14default_configENS1_35radix_sort_onesweep_config_selectorI12hip_bfloat16NS0_10empty_typeEEEZZNS1_29radix_sort_onesweep_iterationIS3_Lb0EPKS5_PS5_PS6_SC_mNS0_19identity_decomposerENS1_16block_id_wrapperIjLb0EEEEE10hipError_tT1_PNSt15iterator_traitsISH_E10value_typeET2_T3_PNSI_ISN_E10value_typeET4_T5_PSS_ST_PNS1_23onesweep_lookback_stateEbbT6_jjT7_P12ihipStream_tbENKUlT_T0_SH_SM_E_clISA_SB_SC_SC_EEDaS10_S11_SH_SM_EUlS10_E_NS1_11comp_targetILNS1_3genE6ELNS1_11target_archE950ELNS1_3gpuE13ELNS1_3repE0EEENS1_47radix_sort_onesweep_sort_config_static_selectorELNS0_4arch9wavefront6targetE0EEEvSH_
; %bb.0:
	.section	.rodata,"a",@progbits
	.p2align	6, 0x0
	.amdhsa_kernel _ZN7rocprim17ROCPRIM_400000_NS6detail17trampoline_kernelINS0_14default_configENS1_35radix_sort_onesweep_config_selectorI12hip_bfloat16NS0_10empty_typeEEEZZNS1_29radix_sort_onesweep_iterationIS3_Lb0EPKS5_PS5_PS6_SC_mNS0_19identity_decomposerENS1_16block_id_wrapperIjLb0EEEEE10hipError_tT1_PNSt15iterator_traitsISH_E10value_typeET2_T3_PNSI_ISN_E10value_typeET4_T5_PSS_ST_PNS1_23onesweep_lookback_stateEbbT6_jjT7_P12ihipStream_tbENKUlT_T0_SH_SM_E_clISA_SB_SC_SC_EEDaS10_S11_SH_SM_EUlS10_E_NS1_11comp_targetILNS1_3genE6ELNS1_11target_archE950ELNS1_3gpuE13ELNS1_3repE0EEENS1_47radix_sort_onesweep_sort_config_static_selectorELNS0_4arch9wavefront6targetE0EEEvSH_
		.amdhsa_group_segment_fixed_size 0
		.amdhsa_private_segment_fixed_size 0
		.amdhsa_kernarg_size 88
		.amdhsa_user_sgpr_count 2
		.amdhsa_user_sgpr_dispatch_ptr 0
		.amdhsa_user_sgpr_queue_ptr 0
		.amdhsa_user_sgpr_kernarg_segment_ptr 1
		.amdhsa_user_sgpr_dispatch_id 0
		.amdhsa_user_sgpr_kernarg_preload_length 0
		.amdhsa_user_sgpr_kernarg_preload_offset 0
		.amdhsa_user_sgpr_private_segment_size 0
		.amdhsa_wavefront_size32 1
		.amdhsa_uses_dynamic_stack 0
		.amdhsa_enable_private_segment 0
		.amdhsa_system_sgpr_workgroup_id_x 1
		.amdhsa_system_sgpr_workgroup_id_y 0
		.amdhsa_system_sgpr_workgroup_id_z 0
		.amdhsa_system_sgpr_workgroup_info 0
		.amdhsa_system_vgpr_workitem_id 0
		.amdhsa_next_free_vgpr 1
		.amdhsa_next_free_sgpr 1
		.amdhsa_named_barrier_count 0
		.amdhsa_reserve_vcc 0
		.amdhsa_float_round_mode_32 0
		.amdhsa_float_round_mode_16_64 0
		.amdhsa_float_denorm_mode_32 3
		.amdhsa_float_denorm_mode_16_64 3
		.amdhsa_fp16_overflow 0
		.amdhsa_memory_ordered 1
		.amdhsa_forward_progress 1
		.amdhsa_inst_pref_size 0
		.amdhsa_round_robin_scheduling 0
		.amdhsa_exception_fp_ieee_invalid_op 0
		.amdhsa_exception_fp_denorm_src 0
		.amdhsa_exception_fp_ieee_div_zero 0
		.amdhsa_exception_fp_ieee_overflow 0
		.amdhsa_exception_fp_ieee_underflow 0
		.amdhsa_exception_fp_ieee_inexact 0
		.amdhsa_exception_int_div_zero 0
	.end_amdhsa_kernel
	.section	.text._ZN7rocprim17ROCPRIM_400000_NS6detail17trampoline_kernelINS0_14default_configENS1_35radix_sort_onesweep_config_selectorI12hip_bfloat16NS0_10empty_typeEEEZZNS1_29radix_sort_onesweep_iterationIS3_Lb0EPKS5_PS5_PS6_SC_mNS0_19identity_decomposerENS1_16block_id_wrapperIjLb0EEEEE10hipError_tT1_PNSt15iterator_traitsISH_E10value_typeET2_T3_PNSI_ISN_E10value_typeET4_T5_PSS_ST_PNS1_23onesweep_lookback_stateEbbT6_jjT7_P12ihipStream_tbENKUlT_T0_SH_SM_E_clISA_SB_SC_SC_EEDaS10_S11_SH_SM_EUlS10_E_NS1_11comp_targetILNS1_3genE6ELNS1_11target_archE950ELNS1_3gpuE13ELNS1_3repE0EEENS1_47radix_sort_onesweep_sort_config_static_selectorELNS0_4arch9wavefront6targetE0EEEvSH_,"axG",@progbits,_ZN7rocprim17ROCPRIM_400000_NS6detail17trampoline_kernelINS0_14default_configENS1_35radix_sort_onesweep_config_selectorI12hip_bfloat16NS0_10empty_typeEEEZZNS1_29radix_sort_onesweep_iterationIS3_Lb0EPKS5_PS5_PS6_SC_mNS0_19identity_decomposerENS1_16block_id_wrapperIjLb0EEEEE10hipError_tT1_PNSt15iterator_traitsISH_E10value_typeET2_T3_PNSI_ISN_E10value_typeET4_T5_PSS_ST_PNS1_23onesweep_lookback_stateEbbT6_jjT7_P12ihipStream_tbENKUlT_T0_SH_SM_E_clISA_SB_SC_SC_EEDaS10_S11_SH_SM_EUlS10_E_NS1_11comp_targetILNS1_3genE6ELNS1_11target_archE950ELNS1_3gpuE13ELNS1_3repE0EEENS1_47radix_sort_onesweep_sort_config_static_selectorELNS0_4arch9wavefront6targetE0EEEvSH_,comdat
.Lfunc_end2070:
	.size	_ZN7rocprim17ROCPRIM_400000_NS6detail17trampoline_kernelINS0_14default_configENS1_35radix_sort_onesweep_config_selectorI12hip_bfloat16NS0_10empty_typeEEEZZNS1_29radix_sort_onesweep_iterationIS3_Lb0EPKS5_PS5_PS6_SC_mNS0_19identity_decomposerENS1_16block_id_wrapperIjLb0EEEEE10hipError_tT1_PNSt15iterator_traitsISH_E10value_typeET2_T3_PNSI_ISN_E10value_typeET4_T5_PSS_ST_PNS1_23onesweep_lookback_stateEbbT6_jjT7_P12ihipStream_tbENKUlT_T0_SH_SM_E_clISA_SB_SC_SC_EEDaS10_S11_SH_SM_EUlS10_E_NS1_11comp_targetILNS1_3genE6ELNS1_11target_archE950ELNS1_3gpuE13ELNS1_3repE0EEENS1_47radix_sort_onesweep_sort_config_static_selectorELNS0_4arch9wavefront6targetE0EEEvSH_, .Lfunc_end2070-_ZN7rocprim17ROCPRIM_400000_NS6detail17trampoline_kernelINS0_14default_configENS1_35radix_sort_onesweep_config_selectorI12hip_bfloat16NS0_10empty_typeEEEZZNS1_29radix_sort_onesweep_iterationIS3_Lb0EPKS5_PS5_PS6_SC_mNS0_19identity_decomposerENS1_16block_id_wrapperIjLb0EEEEE10hipError_tT1_PNSt15iterator_traitsISH_E10value_typeET2_T3_PNSI_ISN_E10value_typeET4_T5_PSS_ST_PNS1_23onesweep_lookback_stateEbbT6_jjT7_P12ihipStream_tbENKUlT_T0_SH_SM_E_clISA_SB_SC_SC_EEDaS10_S11_SH_SM_EUlS10_E_NS1_11comp_targetILNS1_3genE6ELNS1_11target_archE950ELNS1_3gpuE13ELNS1_3repE0EEENS1_47radix_sort_onesweep_sort_config_static_selectorELNS0_4arch9wavefront6targetE0EEEvSH_
                                        ; -- End function
	.set _ZN7rocprim17ROCPRIM_400000_NS6detail17trampoline_kernelINS0_14default_configENS1_35radix_sort_onesweep_config_selectorI12hip_bfloat16NS0_10empty_typeEEEZZNS1_29radix_sort_onesweep_iterationIS3_Lb0EPKS5_PS5_PS6_SC_mNS0_19identity_decomposerENS1_16block_id_wrapperIjLb0EEEEE10hipError_tT1_PNSt15iterator_traitsISH_E10value_typeET2_T3_PNSI_ISN_E10value_typeET4_T5_PSS_ST_PNS1_23onesweep_lookback_stateEbbT6_jjT7_P12ihipStream_tbENKUlT_T0_SH_SM_E_clISA_SB_SC_SC_EEDaS10_S11_SH_SM_EUlS10_E_NS1_11comp_targetILNS1_3genE6ELNS1_11target_archE950ELNS1_3gpuE13ELNS1_3repE0EEENS1_47radix_sort_onesweep_sort_config_static_selectorELNS0_4arch9wavefront6targetE0EEEvSH_.num_vgpr, 0
	.set _ZN7rocprim17ROCPRIM_400000_NS6detail17trampoline_kernelINS0_14default_configENS1_35radix_sort_onesweep_config_selectorI12hip_bfloat16NS0_10empty_typeEEEZZNS1_29radix_sort_onesweep_iterationIS3_Lb0EPKS5_PS5_PS6_SC_mNS0_19identity_decomposerENS1_16block_id_wrapperIjLb0EEEEE10hipError_tT1_PNSt15iterator_traitsISH_E10value_typeET2_T3_PNSI_ISN_E10value_typeET4_T5_PSS_ST_PNS1_23onesweep_lookback_stateEbbT6_jjT7_P12ihipStream_tbENKUlT_T0_SH_SM_E_clISA_SB_SC_SC_EEDaS10_S11_SH_SM_EUlS10_E_NS1_11comp_targetILNS1_3genE6ELNS1_11target_archE950ELNS1_3gpuE13ELNS1_3repE0EEENS1_47radix_sort_onesweep_sort_config_static_selectorELNS0_4arch9wavefront6targetE0EEEvSH_.num_agpr, 0
	.set _ZN7rocprim17ROCPRIM_400000_NS6detail17trampoline_kernelINS0_14default_configENS1_35radix_sort_onesweep_config_selectorI12hip_bfloat16NS0_10empty_typeEEEZZNS1_29radix_sort_onesweep_iterationIS3_Lb0EPKS5_PS5_PS6_SC_mNS0_19identity_decomposerENS1_16block_id_wrapperIjLb0EEEEE10hipError_tT1_PNSt15iterator_traitsISH_E10value_typeET2_T3_PNSI_ISN_E10value_typeET4_T5_PSS_ST_PNS1_23onesweep_lookback_stateEbbT6_jjT7_P12ihipStream_tbENKUlT_T0_SH_SM_E_clISA_SB_SC_SC_EEDaS10_S11_SH_SM_EUlS10_E_NS1_11comp_targetILNS1_3genE6ELNS1_11target_archE950ELNS1_3gpuE13ELNS1_3repE0EEENS1_47radix_sort_onesweep_sort_config_static_selectorELNS0_4arch9wavefront6targetE0EEEvSH_.numbered_sgpr, 0
	.set _ZN7rocprim17ROCPRIM_400000_NS6detail17trampoline_kernelINS0_14default_configENS1_35radix_sort_onesweep_config_selectorI12hip_bfloat16NS0_10empty_typeEEEZZNS1_29radix_sort_onesweep_iterationIS3_Lb0EPKS5_PS5_PS6_SC_mNS0_19identity_decomposerENS1_16block_id_wrapperIjLb0EEEEE10hipError_tT1_PNSt15iterator_traitsISH_E10value_typeET2_T3_PNSI_ISN_E10value_typeET4_T5_PSS_ST_PNS1_23onesweep_lookback_stateEbbT6_jjT7_P12ihipStream_tbENKUlT_T0_SH_SM_E_clISA_SB_SC_SC_EEDaS10_S11_SH_SM_EUlS10_E_NS1_11comp_targetILNS1_3genE6ELNS1_11target_archE950ELNS1_3gpuE13ELNS1_3repE0EEENS1_47radix_sort_onesweep_sort_config_static_selectorELNS0_4arch9wavefront6targetE0EEEvSH_.num_named_barrier, 0
	.set _ZN7rocprim17ROCPRIM_400000_NS6detail17trampoline_kernelINS0_14default_configENS1_35radix_sort_onesweep_config_selectorI12hip_bfloat16NS0_10empty_typeEEEZZNS1_29radix_sort_onesweep_iterationIS3_Lb0EPKS5_PS5_PS6_SC_mNS0_19identity_decomposerENS1_16block_id_wrapperIjLb0EEEEE10hipError_tT1_PNSt15iterator_traitsISH_E10value_typeET2_T3_PNSI_ISN_E10value_typeET4_T5_PSS_ST_PNS1_23onesweep_lookback_stateEbbT6_jjT7_P12ihipStream_tbENKUlT_T0_SH_SM_E_clISA_SB_SC_SC_EEDaS10_S11_SH_SM_EUlS10_E_NS1_11comp_targetILNS1_3genE6ELNS1_11target_archE950ELNS1_3gpuE13ELNS1_3repE0EEENS1_47radix_sort_onesweep_sort_config_static_selectorELNS0_4arch9wavefront6targetE0EEEvSH_.private_seg_size, 0
	.set _ZN7rocprim17ROCPRIM_400000_NS6detail17trampoline_kernelINS0_14default_configENS1_35radix_sort_onesweep_config_selectorI12hip_bfloat16NS0_10empty_typeEEEZZNS1_29radix_sort_onesweep_iterationIS3_Lb0EPKS5_PS5_PS6_SC_mNS0_19identity_decomposerENS1_16block_id_wrapperIjLb0EEEEE10hipError_tT1_PNSt15iterator_traitsISH_E10value_typeET2_T3_PNSI_ISN_E10value_typeET4_T5_PSS_ST_PNS1_23onesweep_lookback_stateEbbT6_jjT7_P12ihipStream_tbENKUlT_T0_SH_SM_E_clISA_SB_SC_SC_EEDaS10_S11_SH_SM_EUlS10_E_NS1_11comp_targetILNS1_3genE6ELNS1_11target_archE950ELNS1_3gpuE13ELNS1_3repE0EEENS1_47radix_sort_onesweep_sort_config_static_selectorELNS0_4arch9wavefront6targetE0EEEvSH_.uses_vcc, 0
	.set _ZN7rocprim17ROCPRIM_400000_NS6detail17trampoline_kernelINS0_14default_configENS1_35radix_sort_onesweep_config_selectorI12hip_bfloat16NS0_10empty_typeEEEZZNS1_29radix_sort_onesweep_iterationIS3_Lb0EPKS5_PS5_PS6_SC_mNS0_19identity_decomposerENS1_16block_id_wrapperIjLb0EEEEE10hipError_tT1_PNSt15iterator_traitsISH_E10value_typeET2_T3_PNSI_ISN_E10value_typeET4_T5_PSS_ST_PNS1_23onesweep_lookback_stateEbbT6_jjT7_P12ihipStream_tbENKUlT_T0_SH_SM_E_clISA_SB_SC_SC_EEDaS10_S11_SH_SM_EUlS10_E_NS1_11comp_targetILNS1_3genE6ELNS1_11target_archE950ELNS1_3gpuE13ELNS1_3repE0EEENS1_47radix_sort_onesweep_sort_config_static_selectorELNS0_4arch9wavefront6targetE0EEEvSH_.uses_flat_scratch, 0
	.set _ZN7rocprim17ROCPRIM_400000_NS6detail17trampoline_kernelINS0_14default_configENS1_35radix_sort_onesweep_config_selectorI12hip_bfloat16NS0_10empty_typeEEEZZNS1_29radix_sort_onesweep_iterationIS3_Lb0EPKS5_PS5_PS6_SC_mNS0_19identity_decomposerENS1_16block_id_wrapperIjLb0EEEEE10hipError_tT1_PNSt15iterator_traitsISH_E10value_typeET2_T3_PNSI_ISN_E10value_typeET4_T5_PSS_ST_PNS1_23onesweep_lookback_stateEbbT6_jjT7_P12ihipStream_tbENKUlT_T0_SH_SM_E_clISA_SB_SC_SC_EEDaS10_S11_SH_SM_EUlS10_E_NS1_11comp_targetILNS1_3genE6ELNS1_11target_archE950ELNS1_3gpuE13ELNS1_3repE0EEENS1_47radix_sort_onesweep_sort_config_static_selectorELNS0_4arch9wavefront6targetE0EEEvSH_.has_dyn_sized_stack, 0
	.set _ZN7rocprim17ROCPRIM_400000_NS6detail17trampoline_kernelINS0_14default_configENS1_35radix_sort_onesweep_config_selectorI12hip_bfloat16NS0_10empty_typeEEEZZNS1_29radix_sort_onesweep_iterationIS3_Lb0EPKS5_PS5_PS6_SC_mNS0_19identity_decomposerENS1_16block_id_wrapperIjLb0EEEEE10hipError_tT1_PNSt15iterator_traitsISH_E10value_typeET2_T3_PNSI_ISN_E10value_typeET4_T5_PSS_ST_PNS1_23onesweep_lookback_stateEbbT6_jjT7_P12ihipStream_tbENKUlT_T0_SH_SM_E_clISA_SB_SC_SC_EEDaS10_S11_SH_SM_EUlS10_E_NS1_11comp_targetILNS1_3genE6ELNS1_11target_archE950ELNS1_3gpuE13ELNS1_3repE0EEENS1_47radix_sort_onesweep_sort_config_static_selectorELNS0_4arch9wavefront6targetE0EEEvSH_.has_recursion, 0
	.set _ZN7rocprim17ROCPRIM_400000_NS6detail17trampoline_kernelINS0_14default_configENS1_35radix_sort_onesweep_config_selectorI12hip_bfloat16NS0_10empty_typeEEEZZNS1_29radix_sort_onesweep_iterationIS3_Lb0EPKS5_PS5_PS6_SC_mNS0_19identity_decomposerENS1_16block_id_wrapperIjLb0EEEEE10hipError_tT1_PNSt15iterator_traitsISH_E10value_typeET2_T3_PNSI_ISN_E10value_typeET4_T5_PSS_ST_PNS1_23onesweep_lookback_stateEbbT6_jjT7_P12ihipStream_tbENKUlT_T0_SH_SM_E_clISA_SB_SC_SC_EEDaS10_S11_SH_SM_EUlS10_E_NS1_11comp_targetILNS1_3genE6ELNS1_11target_archE950ELNS1_3gpuE13ELNS1_3repE0EEENS1_47radix_sort_onesweep_sort_config_static_selectorELNS0_4arch9wavefront6targetE0EEEvSH_.has_indirect_call, 0
	.section	.AMDGPU.csdata,"",@progbits
; Kernel info:
; codeLenInByte = 0
; TotalNumSgprs: 0
; NumVgprs: 0
; ScratchSize: 0
; MemoryBound: 0
; FloatMode: 240
; IeeeMode: 1
; LDSByteSize: 0 bytes/workgroup (compile time only)
; SGPRBlocks: 0
; VGPRBlocks: 0
; NumSGPRsForWavesPerEU: 1
; NumVGPRsForWavesPerEU: 1
; NamedBarCnt: 0
; Occupancy: 16
; WaveLimiterHint : 0
; COMPUTE_PGM_RSRC2:SCRATCH_EN: 0
; COMPUTE_PGM_RSRC2:USER_SGPR: 2
; COMPUTE_PGM_RSRC2:TRAP_HANDLER: 0
; COMPUTE_PGM_RSRC2:TGID_X_EN: 1
; COMPUTE_PGM_RSRC2:TGID_Y_EN: 0
; COMPUTE_PGM_RSRC2:TGID_Z_EN: 0
; COMPUTE_PGM_RSRC2:TIDIG_COMP_CNT: 0
	.section	.text._ZN7rocprim17ROCPRIM_400000_NS6detail17trampoline_kernelINS0_14default_configENS1_35radix_sort_onesweep_config_selectorI12hip_bfloat16NS0_10empty_typeEEEZZNS1_29radix_sort_onesweep_iterationIS3_Lb0EPKS5_PS5_PS6_SC_mNS0_19identity_decomposerENS1_16block_id_wrapperIjLb0EEEEE10hipError_tT1_PNSt15iterator_traitsISH_E10value_typeET2_T3_PNSI_ISN_E10value_typeET4_T5_PSS_ST_PNS1_23onesweep_lookback_stateEbbT6_jjT7_P12ihipStream_tbENKUlT_T0_SH_SM_E_clISA_SB_SC_SC_EEDaS10_S11_SH_SM_EUlS10_E_NS1_11comp_targetILNS1_3genE5ELNS1_11target_archE942ELNS1_3gpuE9ELNS1_3repE0EEENS1_47radix_sort_onesweep_sort_config_static_selectorELNS0_4arch9wavefront6targetE0EEEvSH_,"axG",@progbits,_ZN7rocprim17ROCPRIM_400000_NS6detail17trampoline_kernelINS0_14default_configENS1_35radix_sort_onesweep_config_selectorI12hip_bfloat16NS0_10empty_typeEEEZZNS1_29radix_sort_onesweep_iterationIS3_Lb0EPKS5_PS5_PS6_SC_mNS0_19identity_decomposerENS1_16block_id_wrapperIjLb0EEEEE10hipError_tT1_PNSt15iterator_traitsISH_E10value_typeET2_T3_PNSI_ISN_E10value_typeET4_T5_PSS_ST_PNS1_23onesweep_lookback_stateEbbT6_jjT7_P12ihipStream_tbENKUlT_T0_SH_SM_E_clISA_SB_SC_SC_EEDaS10_S11_SH_SM_EUlS10_E_NS1_11comp_targetILNS1_3genE5ELNS1_11target_archE942ELNS1_3gpuE9ELNS1_3repE0EEENS1_47radix_sort_onesweep_sort_config_static_selectorELNS0_4arch9wavefront6targetE0EEEvSH_,comdat
	.protected	_ZN7rocprim17ROCPRIM_400000_NS6detail17trampoline_kernelINS0_14default_configENS1_35radix_sort_onesweep_config_selectorI12hip_bfloat16NS0_10empty_typeEEEZZNS1_29radix_sort_onesweep_iterationIS3_Lb0EPKS5_PS5_PS6_SC_mNS0_19identity_decomposerENS1_16block_id_wrapperIjLb0EEEEE10hipError_tT1_PNSt15iterator_traitsISH_E10value_typeET2_T3_PNSI_ISN_E10value_typeET4_T5_PSS_ST_PNS1_23onesweep_lookback_stateEbbT6_jjT7_P12ihipStream_tbENKUlT_T0_SH_SM_E_clISA_SB_SC_SC_EEDaS10_S11_SH_SM_EUlS10_E_NS1_11comp_targetILNS1_3genE5ELNS1_11target_archE942ELNS1_3gpuE9ELNS1_3repE0EEENS1_47radix_sort_onesweep_sort_config_static_selectorELNS0_4arch9wavefront6targetE0EEEvSH_ ; -- Begin function _ZN7rocprim17ROCPRIM_400000_NS6detail17trampoline_kernelINS0_14default_configENS1_35radix_sort_onesweep_config_selectorI12hip_bfloat16NS0_10empty_typeEEEZZNS1_29radix_sort_onesweep_iterationIS3_Lb0EPKS5_PS5_PS6_SC_mNS0_19identity_decomposerENS1_16block_id_wrapperIjLb0EEEEE10hipError_tT1_PNSt15iterator_traitsISH_E10value_typeET2_T3_PNSI_ISN_E10value_typeET4_T5_PSS_ST_PNS1_23onesweep_lookback_stateEbbT6_jjT7_P12ihipStream_tbENKUlT_T0_SH_SM_E_clISA_SB_SC_SC_EEDaS10_S11_SH_SM_EUlS10_E_NS1_11comp_targetILNS1_3genE5ELNS1_11target_archE942ELNS1_3gpuE9ELNS1_3repE0EEENS1_47radix_sort_onesweep_sort_config_static_selectorELNS0_4arch9wavefront6targetE0EEEvSH_
	.globl	_ZN7rocprim17ROCPRIM_400000_NS6detail17trampoline_kernelINS0_14default_configENS1_35radix_sort_onesweep_config_selectorI12hip_bfloat16NS0_10empty_typeEEEZZNS1_29radix_sort_onesweep_iterationIS3_Lb0EPKS5_PS5_PS6_SC_mNS0_19identity_decomposerENS1_16block_id_wrapperIjLb0EEEEE10hipError_tT1_PNSt15iterator_traitsISH_E10value_typeET2_T3_PNSI_ISN_E10value_typeET4_T5_PSS_ST_PNS1_23onesweep_lookback_stateEbbT6_jjT7_P12ihipStream_tbENKUlT_T0_SH_SM_E_clISA_SB_SC_SC_EEDaS10_S11_SH_SM_EUlS10_E_NS1_11comp_targetILNS1_3genE5ELNS1_11target_archE942ELNS1_3gpuE9ELNS1_3repE0EEENS1_47radix_sort_onesweep_sort_config_static_selectorELNS0_4arch9wavefront6targetE0EEEvSH_
	.p2align	8
	.type	_ZN7rocprim17ROCPRIM_400000_NS6detail17trampoline_kernelINS0_14default_configENS1_35radix_sort_onesweep_config_selectorI12hip_bfloat16NS0_10empty_typeEEEZZNS1_29radix_sort_onesweep_iterationIS3_Lb0EPKS5_PS5_PS6_SC_mNS0_19identity_decomposerENS1_16block_id_wrapperIjLb0EEEEE10hipError_tT1_PNSt15iterator_traitsISH_E10value_typeET2_T3_PNSI_ISN_E10value_typeET4_T5_PSS_ST_PNS1_23onesweep_lookback_stateEbbT6_jjT7_P12ihipStream_tbENKUlT_T0_SH_SM_E_clISA_SB_SC_SC_EEDaS10_S11_SH_SM_EUlS10_E_NS1_11comp_targetILNS1_3genE5ELNS1_11target_archE942ELNS1_3gpuE9ELNS1_3repE0EEENS1_47radix_sort_onesweep_sort_config_static_selectorELNS0_4arch9wavefront6targetE0EEEvSH_,@function
_ZN7rocprim17ROCPRIM_400000_NS6detail17trampoline_kernelINS0_14default_configENS1_35radix_sort_onesweep_config_selectorI12hip_bfloat16NS0_10empty_typeEEEZZNS1_29radix_sort_onesweep_iterationIS3_Lb0EPKS5_PS5_PS6_SC_mNS0_19identity_decomposerENS1_16block_id_wrapperIjLb0EEEEE10hipError_tT1_PNSt15iterator_traitsISH_E10value_typeET2_T3_PNSI_ISN_E10value_typeET4_T5_PSS_ST_PNS1_23onesweep_lookback_stateEbbT6_jjT7_P12ihipStream_tbENKUlT_T0_SH_SM_E_clISA_SB_SC_SC_EEDaS10_S11_SH_SM_EUlS10_E_NS1_11comp_targetILNS1_3genE5ELNS1_11target_archE942ELNS1_3gpuE9ELNS1_3repE0EEENS1_47radix_sort_onesweep_sort_config_static_selectorELNS0_4arch9wavefront6targetE0EEEvSH_: ; @_ZN7rocprim17ROCPRIM_400000_NS6detail17trampoline_kernelINS0_14default_configENS1_35radix_sort_onesweep_config_selectorI12hip_bfloat16NS0_10empty_typeEEEZZNS1_29radix_sort_onesweep_iterationIS3_Lb0EPKS5_PS5_PS6_SC_mNS0_19identity_decomposerENS1_16block_id_wrapperIjLb0EEEEE10hipError_tT1_PNSt15iterator_traitsISH_E10value_typeET2_T3_PNSI_ISN_E10value_typeET4_T5_PSS_ST_PNS1_23onesweep_lookback_stateEbbT6_jjT7_P12ihipStream_tbENKUlT_T0_SH_SM_E_clISA_SB_SC_SC_EEDaS10_S11_SH_SM_EUlS10_E_NS1_11comp_targetILNS1_3genE5ELNS1_11target_archE942ELNS1_3gpuE9ELNS1_3repE0EEENS1_47radix_sort_onesweep_sort_config_static_selectorELNS0_4arch9wavefront6targetE0EEEvSH_
; %bb.0:
	.section	.rodata,"a",@progbits
	.p2align	6, 0x0
	.amdhsa_kernel _ZN7rocprim17ROCPRIM_400000_NS6detail17trampoline_kernelINS0_14default_configENS1_35radix_sort_onesweep_config_selectorI12hip_bfloat16NS0_10empty_typeEEEZZNS1_29radix_sort_onesweep_iterationIS3_Lb0EPKS5_PS5_PS6_SC_mNS0_19identity_decomposerENS1_16block_id_wrapperIjLb0EEEEE10hipError_tT1_PNSt15iterator_traitsISH_E10value_typeET2_T3_PNSI_ISN_E10value_typeET4_T5_PSS_ST_PNS1_23onesweep_lookback_stateEbbT6_jjT7_P12ihipStream_tbENKUlT_T0_SH_SM_E_clISA_SB_SC_SC_EEDaS10_S11_SH_SM_EUlS10_E_NS1_11comp_targetILNS1_3genE5ELNS1_11target_archE942ELNS1_3gpuE9ELNS1_3repE0EEENS1_47radix_sort_onesweep_sort_config_static_selectorELNS0_4arch9wavefront6targetE0EEEvSH_
		.amdhsa_group_segment_fixed_size 0
		.amdhsa_private_segment_fixed_size 0
		.amdhsa_kernarg_size 88
		.amdhsa_user_sgpr_count 2
		.amdhsa_user_sgpr_dispatch_ptr 0
		.amdhsa_user_sgpr_queue_ptr 0
		.amdhsa_user_sgpr_kernarg_segment_ptr 1
		.amdhsa_user_sgpr_dispatch_id 0
		.amdhsa_user_sgpr_kernarg_preload_length 0
		.amdhsa_user_sgpr_kernarg_preload_offset 0
		.amdhsa_user_sgpr_private_segment_size 0
		.amdhsa_wavefront_size32 1
		.amdhsa_uses_dynamic_stack 0
		.amdhsa_enable_private_segment 0
		.amdhsa_system_sgpr_workgroup_id_x 1
		.amdhsa_system_sgpr_workgroup_id_y 0
		.amdhsa_system_sgpr_workgroup_id_z 0
		.amdhsa_system_sgpr_workgroup_info 0
		.amdhsa_system_vgpr_workitem_id 0
		.amdhsa_next_free_vgpr 1
		.amdhsa_next_free_sgpr 1
		.amdhsa_named_barrier_count 0
		.amdhsa_reserve_vcc 0
		.amdhsa_float_round_mode_32 0
		.amdhsa_float_round_mode_16_64 0
		.amdhsa_float_denorm_mode_32 3
		.amdhsa_float_denorm_mode_16_64 3
		.amdhsa_fp16_overflow 0
		.amdhsa_memory_ordered 1
		.amdhsa_forward_progress 1
		.amdhsa_inst_pref_size 0
		.amdhsa_round_robin_scheduling 0
		.amdhsa_exception_fp_ieee_invalid_op 0
		.amdhsa_exception_fp_denorm_src 0
		.amdhsa_exception_fp_ieee_div_zero 0
		.amdhsa_exception_fp_ieee_overflow 0
		.amdhsa_exception_fp_ieee_underflow 0
		.amdhsa_exception_fp_ieee_inexact 0
		.amdhsa_exception_int_div_zero 0
	.end_amdhsa_kernel
	.section	.text._ZN7rocprim17ROCPRIM_400000_NS6detail17trampoline_kernelINS0_14default_configENS1_35radix_sort_onesweep_config_selectorI12hip_bfloat16NS0_10empty_typeEEEZZNS1_29radix_sort_onesweep_iterationIS3_Lb0EPKS5_PS5_PS6_SC_mNS0_19identity_decomposerENS1_16block_id_wrapperIjLb0EEEEE10hipError_tT1_PNSt15iterator_traitsISH_E10value_typeET2_T3_PNSI_ISN_E10value_typeET4_T5_PSS_ST_PNS1_23onesweep_lookback_stateEbbT6_jjT7_P12ihipStream_tbENKUlT_T0_SH_SM_E_clISA_SB_SC_SC_EEDaS10_S11_SH_SM_EUlS10_E_NS1_11comp_targetILNS1_3genE5ELNS1_11target_archE942ELNS1_3gpuE9ELNS1_3repE0EEENS1_47radix_sort_onesweep_sort_config_static_selectorELNS0_4arch9wavefront6targetE0EEEvSH_,"axG",@progbits,_ZN7rocprim17ROCPRIM_400000_NS6detail17trampoline_kernelINS0_14default_configENS1_35radix_sort_onesweep_config_selectorI12hip_bfloat16NS0_10empty_typeEEEZZNS1_29radix_sort_onesweep_iterationIS3_Lb0EPKS5_PS5_PS6_SC_mNS0_19identity_decomposerENS1_16block_id_wrapperIjLb0EEEEE10hipError_tT1_PNSt15iterator_traitsISH_E10value_typeET2_T3_PNSI_ISN_E10value_typeET4_T5_PSS_ST_PNS1_23onesweep_lookback_stateEbbT6_jjT7_P12ihipStream_tbENKUlT_T0_SH_SM_E_clISA_SB_SC_SC_EEDaS10_S11_SH_SM_EUlS10_E_NS1_11comp_targetILNS1_3genE5ELNS1_11target_archE942ELNS1_3gpuE9ELNS1_3repE0EEENS1_47radix_sort_onesweep_sort_config_static_selectorELNS0_4arch9wavefront6targetE0EEEvSH_,comdat
.Lfunc_end2071:
	.size	_ZN7rocprim17ROCPRIM_400000_NS6detail17trampoline_kernelINS0_14default_configENS1_35radix_sort_onesweep_config_selectorI12hip_bfloat16NS0_10empty_typeEEEZZNS1_29radix_sort_onesweep_iterationIS3_Lb0EPKS5_PS5_PS6_SC_mNS0_19identity_decomposerENS1_16block_id_wrapperIjLb0EEEEE10hipError_tT1_PNSt15iterator_traitsISH_E10value_typeET2_T3_PNSI_ISN_E10value_typeET4_T5_PSS_ST_PNS1_23onesweep_lookback_stateEbbT6_jjT7_P12ihipStream_tbENKUlT_T0_SH_SM_E_clISA_SB_SC_SC_EEDaS10_S11_SH_SM_EUlS10_E_NS1_11comp_targetILNS1_3genE5ELNS1_11target_archE942ELNS1_3gpuE9ELNS1_3repE0EEENS1_47radix_sort_onesweep_sort_config_static_selectorELNS0_4arch9wavefront6targetE0EEEvSH_, .Lfunc_end2071-_ZN7rocprim17ROCPRIM_400000_NS6detail17trampoline_kernelINS0_14default_configENS1_35radix_sort_onesweep_config_selectorI12hip_bfloat16NS0_10empty_typeEEEZZNS1_29radix_sort_onesweep_iterationIS3_Lb0EPKS5_PS5_PS6_SC_mNS0_19identity_decomposerENS1_16block_id_wrapperIjLb0EEEEE10hipError_tT1_PNSt15iterator_traitsISH_E10value_typeET2_T3_PNSI_ISN_E10value_typeET4_T5_PSS_ST_PNS1_23onesweep_lookback_stateEbbT6_jjT7_P12ihipStream_tbENKUlT_T0_SH_SM_E_clISA_SB_SC_SC_EEDaS10_S11_SH_SM_EUlS10_E_NS1_11comp_targetILNS1_3genE5ELNS1_11target_archE942ELNS1_3gpuE9ELNS1_3repE0EEENS1_47radix_sort_onesweep_sort_config_static_selectorELNS0_4arch9wavefront6targetE0EEEvSH_
                                        ; -- End function
	.set _ZN7rocprim17ROCPRIM_400000_NS6detail17trampoline_kernelINS0_14default_configENS1_35radix_sort_onesweep_config_selectorI12hip_bfloat16NS0_10empty_typeEEEZZNS1_29radix_sort_onesweep_iterationIS3_Lb0EPKS5_PS5_PS6_SC_mNS0_19identity_decomposerENS1_16block_id_wrapperIjLb0EEEEE10hipError_tT1_PNSt15iterator_traitsISH_E10value_typeET2_T3_PNSI_ISN_E10value_typeET4_T5_PSS_ST_PNS1_23onesweep_lookback_stateEbbT6_jjT7_P12ihipStream_tbENKUlT_T0_SH_SM_E_clISA_SB_SC_SC_EEDaS10_S11_SH_SM_EUlS10_E_NS1_11comp_targetILNS1_3genE5ELNS1_11target_archE942ELNS1_3gpuE9ELNS1_3repE0EEENS1_47radix_sort_onesweep_sort_config_static_selectorELNS0_4arch9wavefront6targetE0EEEvSH_.num_vgpr, 0
	.set _ZN7rocprim17ROCPRIM_400000_NS6detail17trampoline_kernelINS0_14default_configENS1_35radix_sort_onesweep_config_selectorI12hip_bfloat16NS0_10empty_typeEEEZZNS1_29radix_sort_onesweep_iterationIS3_Lb0EPKS5_PS5_PS6_SC_mNS0_19identity_decomposerENS1_16block_id_wrapperIjLb0EEEEE10hipError_tT1_PNSt15iterator_traitsISH_E10value_typeET2_T3_PNSI_ISN_E10value_typeET4_T5_PSS_ST_PNS1_23onesweep_lookback_stateEbbT6_jjT7_P12ihipStream_tbENKUlT_T0_SH_SM_E_clISA_SB_SC_SC_EEDaS10_S11_SH_SM_EUlS10_E_NS1_11comp_targetILNS1_3genE5ELNS1_11target_archE942ELNS1_3gpuE9ELNS1_3repE0EEENS1_47radix_sort_onesweep_sort_config_static_selectorELNS0_4arch9wavefront6targetE0EEEvSH_.num_agpr, 0
	.set _ZN7rocprim17ROCPRIM_400000_NS6detail17trampoline_kernelINS0_14default_configENS1_35radix_sort_onesweep_config_selectorI12hip_bfloat16NS0_10empty_typeEEEZZNS1_29radix_sort_onesweep_iterationIS3_Lb0EPKS5_PS5_PS6_SC_mNS0_19identity_decomposerENS1_16block_id_wrapperIjLb0EEEEE10hipError_tT1_PNSt15iterator_traitsISH_E10value_typeET2_T3_PNSI_ISN_E10value_typeET4_T5_PSS_ST_PNS1_23onesweep_lookback_stateEbbT6_jjT7_P12ihipStream_tbENKUlT_T0_SH_SM_E_clISA_SB_SC_SC_EEDaS10_S11_SH_SM_EUlS10_E_NS1_11comp_targetILNS1_3genE5ELNS1_11target_archE942ELNS1_3gpuE9ELNS1_3repE0EEENS1_47radix_sort_onesweep_sort_config_static_selectorELNS0_4arch9wavefront6targetE0EEEvSH_.numbered_sgpr, 0
	.set _ZN7rocprim17ROCPRIM_400000_NS6detail17trampoline_kernelINS0_14default_configENS1_35radix_sort_onesweep_config_selectorI12hip_bfloat16NS0_10empty_typeEEEZZNS1_29radix_sort_onesweep_iterationIS3_Lb0EPKS5_PS5_PS6_SC_mNS0_19identity_decomposerENS1_16block_id_wrapperIjLb0EEEEE10hipError_tT1_PNSt15iterator_traitsISH_E10value_typeET2_T3_PNSI_ISN_E10value_typeET4_T5_PSS_ST_PNS1_23onesweep_lookback_stateEbbT6_jjT7_P12ihipStream_tbENKUlT_T0_SH_SM_E_clISA_SB_SC_SC_EEDaS10_S11_SH_SM_EUlS10_E_NS1_11comp_targetILNS1_3genE5ELNS1_11target_archE942ELNS1_3gpuE9ELNS1_3repE0EEENS1_47radix_sort_onesweep_sort_config_static_selectorELNS0_4arch9wavefront6targetE0EEEvSH_.num_named_barrier, 0
	.set _ZN7rocprim17ROCPRIM_400000_NS6detail17trampoline_kernelINS0_14default_configENS1_35radix_sort_onesweep_config_selectorI12hip_bfloat16NS0_10empty_typeEEEZZNS1_29radix_sort_onesweep_iterationIS3_Lb0EPKS5_PS5_PS6_SC_mNS0_19identity_decomposerENS1_16block_id_wrapperIjLb0EEEEE10hipError_tT1_PNSt15iterator_traitsISH_E10value_typeET2_T3_PNSI_ISN_E10value_typeET4_T5_PSS_ST_PNS1_23onesweep_lookback_stateEbbT6_jjT7_P12ihipStream_tbENKUlT_T0_SH_SM_E_clISA_SB_SC_SC_EEDaS10_S11_SH_SM_EUlS10_E_NS1_11comp_targetILNS1_3genE5ELNS1_11target_archE942ELNS1_3gpuE9ELNS1_3repE0EEENS1_47radix_sort_onesweep_sort_config_static_selectorELNS0_4arch9wavefront6targetE0EEEvSH_.private_seg_size, 0
	.set _ZN7rocprim17ROCPRIM_400000_NS6detail17trampoline_kernelINS0_14default_configENS1_35radix_sort_onesweep_config_selectorI12hip_bfloat16NS0_10empty_typeEEEZZNS1_29radix_sort_onesweep_iterationIS3_Lb0EPKS5_PS5_PS6_SC_mNS0_19identity_decomposerENS1_16block_id_wrapperIjLb0EEEEE10hipError_tT1_PNSt15iterator_traitsISH_E10value_typeET2_T3_PNSI_ISN_E10value_typeET4_T5_PSS_ST_PNS1_23onesweep_lookback_stateEbbT6_jjT7_P12ihipStream_tbENKUlT_T0_SH_SM_E_clISA_SB_SC_SC_EEDaS10_S11_SH_SM_EUlS10_E_NS1_11comp_targetILNS1_3genE5ELNS1_11target_archE942ELNS1_3gpuE9ELNS1_3repE0EEENS1_47radix_sort_onesweep_sort_config_static_selectorELNS0_4arch9wavefront6targetE0EEEvSH_.uses_vcc, 0
	.set _ZN7rocprim17ROCPRIM_400000_NS6detail17trampoline_kernelINS0_14default_configENS1_35radix_sort_onesweep_config_selectorI12hip_bfloat16NS0_10empty_typeEEEZZNS1_29radix_sort_onesweep_iterationIS3_Lb0EPKS5_PS5_PS6_SC_mNS0_19identity_decomposerENS1_16block_id_wrapperIjLb0EEEEE10hipError_tT1_PNSt15iterator_traitsISH_E10value_typeET2_T3_PNSI_ISN_E10value_typeET4_T5_PSS_ST_PNS1_23onesweep_lookback_stateEbbT6_jjT7_P12ihipStream_tbENKUlT_T0_SH_SM_E_clISA_SB_SC_SC_EEDaS10_S11_SH_SM_EUlS10_E_NS1_11comp_targetILNS1_3genE5ELNS1_11target_archE942ELNS1_3gpuE9ELNS1_3repE0EEENS1_47radix_sort_onesweep_sort_config_static_selectorELNS0_4arch9wavefront6targetE0EEEvSH_.uses_flat_scratch, 0
	.set _ZN7rocprim17ROCPRIM_400000_NS6detail17trampoline_kernelINS0_14default_configENS1_35radix_sort_onesweep_config_selectorI12hip_bfloat16NS0_10empty_typeEEEZZNS1_29radix_sort_onesweep_iterationIS3_Lb0EPKS5_PS5_PS6_SC_mNS0_19identity_decomposerENS1_16block_id_wrapperIjLb0EEEEE10hipError_tT1_PNSt15iterator_traitsISH_E10value_typeET2_T3_PNSI_ISN_E10value_typeET4_T5_PSS_ST_PNS1_23onesweep_lookback_stateEbbT6_jjT7_P12ihipStream_tbENKUlT_T0_SH_SM_E_clISA_SB_SC_SC_EEDaS10_S11_SH_SM_EUlS10_E_NS1_11comp_targetILNS1_3genE5ELNS1_11target_archE942ELNS1_3gpuE9ELNS1_3repE0EEENS1_47radix_sort_onesweep_sort_config_static_selectorELNS0_4arch9wavefront6targetE0EEEvSH_.has_dyn_sized_stack, 0
	.set _ZN7rocprim17ROCPRIM_400000_NS6detail17trampoline_kernelINS0_14default_configENS1_35radix_sort_onesweep_config_selectorI12hip_bfloat16NS0_10empty_typeEEEZZNS1_29radix_sort_onesweep_iterationIS3_Lb0EPKS5_PS5_PS6_SC_mNS0_19identity_decomposerENS1_16block_id_wrapperIjLb0EEEEE10hipError_tT1_PNSt15iterator_traitsISH_E10value_typeET2_T3_PNSI_ISN_E10value_typeET4_T5_PSS_ST_PNS1_23onesweep_lookback_stateEbbT6_jjT7_P12ihipStream_tbENKUlT_T0_SH_SM_E_clISA_SB_SC_SC_EEDaS10_S11_SH_SM_EUlS10_E_NS1_11comp_targetILNS1_3genE5ELNS1_11target_archE942ELNS1_3gpuE9ELNS1_3repE0EEENS1_47radix_sort_onesweep_sort_config_static_selectorELNS0_4arch9wavefront6targetE0EEEvSH_.has_recursion, 0
	.set _ZN7rocprim17ROCPRIM_400000_NS6detail17trampoline_kernelINS0_14default_configENS1_35radix_sort_onesweep_config_selectorI12hip_bfloat16NS0_10empty_typeEEEZZNS1_29radix_sort_onesweep_iterationIS3_Lb0EPKS5_PS5_PS6_SC_mNS0_19identity_decomposerENS1_16block_id_wrapperIjLb0EEEEE10hipError_tT1_PNSt15iterator_traitsISH_E10value_typeET2_T3_PNSI_ISN_E10value_typeET4_T5_PSS_ST_PNS1_23onesweep_lookback_stateEbbT6_jjT7_P12ihipStream_tbENKUlT_T0_SH_SM_E_clISA_SB_SC_SC_EEDaS10_S11_SH_SM_EUlS10_E_NS1_11comp_targetILNS1_3genE5ELNS1_11target_archE942ELNS1_3gpuE9ELNS1_3repE0EEENS1_47radix_sort_onesweep_sort_config_static_selectorELNS0_4arch9wavefront6targetE0EEEvSH_.has_indirect_call, 0
	.section	.AMDGPU.csdata,"",@progbits
; Kernel info:
; codeLenInByte = 0
; TotalNumSgprs: 0
; NumVgprs: 0
; ScratchSize: 0
; MemoryBound: 0
; FloatMode: 240
; IeeeMode: 1
; LDSByteSize: 0 bytes/workgroup (compile time only)
; SGPRBlocks: 0
; VGPRBlocks: 0
; NumSGPRsForWavesPerEU: 1
; NumVGPRsForWavesPerEU: 1
; NamedBarCnt: 0
; Occupancy: 16
; WaveLimiterHint : 0
; COMPUTE_PGM_RSRC2:SCRATCH_EN: 0
; COMPUTE_PGM_RSRC2:USER_SGPR: 2
; COMPUTE_PGM_RSRC2:TRAP_HANDLER: 0
; COMPUTE_PGM_RSRC2:TGID_X_EN: 1
; COMPUTE_PGM_RSRC2:TGID_Y_EN: 0
; COMPUTE_PGM_RSRC2:TGID_Z_EN: 0
; COMPUTE_PGM_RSRC2:TIDIG_COMP_CNT: 0
	.section	.text._ZN7rocprim17ROCPRIM_400000_NS6detail17trampoline_kernelINS0_14default_configENS1_35radix_sort_onesweep_config_selectorI12hip_bfloat16NS0_10empty_typeEEEZZNS1_29radix_sort_onesweep_iterationIS3_Lb0EPKS5_PS5_PS6_SC_mNS0_19identity_decomposerENS1_16block_id_wrapperIjLb0EEEEE10hipError_tT1_PNSt15iterator_traitsISH_E10value_typeET2_T3_PNSI_ISN_E10value_typeET4_T5_PSS_ST_PNS1_23onesweep_lookback_stateEbbT6_jjT7_P12ihipStream_tbENKUlT_T0_SH_SM_E_clISA_SB_SC_SC_EEDaS10_S11_SH_SM_EUlS10_E_NS1_11comp_targetILNS1_3genE2ELNS1_11target_archE906ELNS1_3gpuE6ELNS1_3repE0EEENS1_47radix_sort_onesweep_sort_config_static_selectorELNS0_4arch9wavefront6targetE0EEEvSH_,"axG",@progbits,_ZN7rocprim17ROCPRIM_400000_NS6detail17trampoline_kernelINS0_14default_configENS1_35radix_sort_onesweep_config_selectorI12hip_bfloat16NS0_10empty_typeEEEZZNS1_29radix_sort_onesweep_iterationIS3_Lb0EPKS5_PS5_PS6_SC_mNS0_19identity_decomposerENS1_16block_id_wrapperIjLb0EEEEE10hipError_tT1_PNSt15iterator_traitsISH_E10value_typeET2_T3_PNSI_ISN_E10value_typeET4_T5_PSS_ST_PNS1_23onesweep_lookback_stateEbbT6_jjT7_P12ihipStream_tbENKUlT_T0_SH_SM_E_clISA_SB_SC_SC_EEDaS10_S11_SH_SM_EUlS10_E_NS1_11comp_targetILNS1_3genE2ELNS1_11target_archE906ELNS1_3gpuE6ELNS1_3repE0EEENS1_47radix_sort_onesweep_sort_config_static_selectorELNS0_4arch9wavefront6targetE0EEEvSH_,comdat
	.protected	_ZN7rocprim17ROCPRIM_400000_NS6detail17trampoline_kernelINS0_14default_configENS1_35radix_sort_onesweep_config_selectorI12hip_bfloat16NS0_10empty_typeEEEZZNS1_29radix_sort_onesweep_iterationIS3_Lb0EPKS5_PS5_PS6_SC_mNS0_19identity_decomposerENS1_16block_id_wrapperIjLb0EEEEE10hipError_tT1_PNSt15iterator_traitsISH_E10value_typeET2_T3_PNSI_ISN_E10value_typeET4_T5_PSS_ST_PNS1_23onesweep_lookback_stateEbbT6_jjT7_P12ihipStream_tbENKUlT_T0_SH_SM_E_clISA_SB_SC_SC_EEDaS10_S11_SH_SM_EUlS10_E_NS1_11comp_targetILNS1_3genE2ELNS1_11target_archE906ELNS1_3gpuE6ELNS1_3repE0EEENS1_47radix_sort_onesweep_sort_config_static_selectorELNS0_4arch9wavefront6targetE0EEEvSH_ ; -- Begin function _ZN7rocprim17ROCPRIM_400000_NS6detail17trampoline_kernelINS0_14default_configENS1_35radix_sort_onesweep_config_selectorI12hip_bfloat16NS0_10empty_typeEEEZZNS1_29radix_sort_onesweep_iterationIS3_Lb0EPKS5_PS5_PS6_SC_mNS0_19identity_decomposerENS1_16block_id_wrapperIjLb0EEEEE10hipError_tT1_PNSt15iterator_traitsISH_E10value_typeET2_T3_PNSI_ISN_E10value_typeET4_T5_PSS_ST_PNS1_23onesweep_lookback_stateEbbT6_jjT7_P12ihipStream_tbENKUlT_T0_SH_SM_E_clISA_SB_SC_SC_EEDaS10_S11_SH_SM_EUlS10_E_NS1_11comp_targetILNS1_3genE2ELNS1_11target_archE906ELNS1_3gpuE6ELNS1_3repE0EEENS1_47radix_sort_onesweep_sort_config_static_selectorELNS0_4arch9wavefront6targetE0EEEvSH_
	.globl	_ZN7rocprim17ROCPRIM_400000_NS6detail17trampoline_kernelINS0_14default_configENS1_35radix_sort_onesweep_config_selectorI12hip_bfloat16NS0_10empty_typeEEEZZNS1_29radix_sort_onesweep_iterationIS3_Lb0EPKS5_PS5_PS6_SC_mNS0_19identity_decomposerENS1_16block_id_wrapperIjLb0EEEEE10hipError_tT1_PNSt15iterator_traitsISH_E10value_typeET2_T3_PNSI_ISN_E10value_typeET4_T5_PSS_ST_PNS1_23onesweep_lookback_stateEbbT6_jjT7_P12ihipStream_tbENKUlT_T0_SH_SM_E_clISA_SB_SC_SC_EEDaS10_S11_SH_SM_EUlS10_E_NS1_11comp_targetILNS1_3genE2ELNS1_11target_archE906ELNS1_3gpuE6ELNS1_3repE0EEENS1_47radix_sort_onesweep_sort_config_static_selectorELNS0_4arch9wavefront6targetE0EEEvSH_
	.p2align	8
	.type	_ZN7rocprim17ROCPRIM_400000_NS6detail17trampoline_kernelINS0_14default_configENS1_35radix_sort_onesweep_config_selectorI12hip_bfloat16NS0_10empty_typeEEEZZNS1_29radix_sort_onesweep_iterationIS3_Lb0EPKS5_PS5_PS6_SC_mNS0_19identity_decomposerENS1_16block_id_wrapperIjLb0EEEEE10hipError_tT1_PNSt15iterator_traitsISH_E10value_typeET2_T3_PNSI_ISN_E10value_typeET4_T5_PSS_ST_PNS1_23onesweep_lookback_stateEbbT6_jjT7_P12ihipStream_tbENKUlT_T0_SH_SM_E_clISA_SB_SC_SC_EEDaS10_S11_SH_SM_EUlS10_E_NS1_11comp_targetILNS1_3genE2ELNS1_11target_archE906ELNS1_3gpuE6ELNS1_3repE0EEENS1_47radix_sort_onesweep_sort_config_static_selectorELNS0_4arch9wavefront6targetE0EEEvSH_,@function
_ZN7rocprim17ROCPRIM_400000_NS6detail17trampoline_kernelINS0_14default_configENS1_35radix_sort_onesweep_config_selectorI12hip_bfloat16NS0_10empty_typeEEEZZNS1_29radix_sort_onesweep_iterationIS3_Lb0EPKS5_PS5_PS6_SC_mNS0_19identity_decomposerENS1_16block_id_wrapperIjLb0EEEEE10hipError_tT1_PNSt15iterator_traitsISH_E10value_typeET2_T3_PNSI_ISN_E10value_typeET4_T5_PSS_ST_PNS1_23onesweep_lookback_stateEbbT6_jjT7_P12ihipStream_tbENKUlT_T0_SH_SM_E_clISA_SB_SC_SC_EEDaS10_S11_SH_SM_EUlS10_E_NS1_11comp_targetILNS1_3genE2ELNS1_11target_archE906ELNS1_3gpuE6ELNS1_3repE0EEENS1_47radix_sort_onesweep_sort_config_static_selectorELNS0_4arch9wavefront6targetE0EEEvSH_: ; @_ZN7rocprim17ROCPRIM_400000_NS6detail17trampoline_kernelINS0_14default_configENS1_35radix_sort_onesweep_config_selectorI12hip_bfloat16NS0_10empty_typeEEEZZNS1_29radix_sort_onesweep_iterationIS3_Lb0EPKS5_PS5_PS6_SC_mNS0_19identity_decomposerENS1_16block_id_wrapperIjLb0EEEEE10hipError_tT1_PNSt15iterator_traitsISH_E10value_typeET2_T3_PNSI_ISN_E10value_typeET4_T5_PSS_ST_PNS1_23onesweep_lookback_stateEbbT6_jjT7_P12ihipStream_tbENKUlT_T0_SH_SM_E_clISA_SB_SC_SC_EEDaS10_S11_SH_SM_EUlS10_E_NS1_11comp_targetILNS1_3genE2ELNS1_11target_archE906ELNS1_3gpuE6ELNS1_3repE0EEENS1_47radix_sort_onesweep_sort_config_static_selectorELNS0_4arch9wavefront6targetE0EEEvSH_
; %bb.0:
	.section	.rodata,"a",@progbits
	.p2align	6, 0x0
	.amdhsa_kernel _ZN7rocprim17ROCPRIM_400000_NS6detail17trampoline_kernelINS0_14default_configENS1_35radix_sort_onesweep_config_selectorI12hip_bfloat16NS0_10empty_typeEEEZZNS1_29radix_sort_onesweep_iterationIS3_Lb0EPKS5_PS5_PS6_SC_mNS0_19identity_decomposerENS1_16block_id_wrapperIjLb0EEEEE10hipError_tT1_PNSt15iterator_traitsISH_E10value_typeET2_T3_PNSI_ISN_E10value_typeET4_T5_PSS_ST_PNS1_23onesweep_lookback_stateEbbT6_jjT7_P12ihipStream_tbENKUlT_T0_SH_SM_E_clISA_SB_SC_SC_EEDaS10_S11_SH_SM_EUlS10_E_NS1_11comp_targetILNS1_3genE2ELNS1_11target_archE906ELNS1_3gpuE6ELNS1_3repE0EEENS1_47radix_sort_onesweep_sort_config_static_selectorELNS0_4arch9wavefront6targetE0EEEvSH_
		.amdhsa_group_segment_fixed_size 0
		.amdhsa_private_segment_fixed_size 0
		.amdhsa_kernarg_size 88
		.amdhsa_user_sgpr_count 2
		.amdhsa_user_sgpr_dispatch_ptr 0
		.amdhsa_user_sgpr_queue_ptr 0
		.amdhsa_user_sgpr_kernarg_segment_ptr 1
		.amdhsa_user_sgpr_dispatch_id 0
		.amdhsa_user_sgpr_kernarg_preload_length 0
		.amdhsa_user_sgpr_kernarg_preload_offset 0
		.amdhsa_user_sgpr_private_segment_size 0
		.amdhsa_wavefront_size32 1
		.amdhsa_uses_dynamic_stack 0
		.amdhsa_enable_private_segment 0
		.amdhsa_system_sgpr_workgroup_id_x 1
		.amdhsa_system_sgpr_workgroup_id_y 0
		.amdhsa_system_sgpr_workgroup_id_z 0
		.amdhsa_system_sgpr_workgroup_info 0
		.amdhsa_system_vgpr_workitem_id 0
		.amdhsa_next_free_vgpr 1
		.amdhsa_next_free_sgpr 1
		.amdhsa_named_barrier_count 0
		.amdhsa_reserve_vcc 0
		.amdhsa_float_round_mode_32 0
		.amdhsa_float_round_mode_16_64 0
		.amdhsa_float_denorm_mode_32 3
		.amdhsa_float_denorm_mode_16_64 3
		.amdhsa_fp16_overflow 0
		.amdhsa_memory_ordered 1
		.amdhsa_forward_progress 1
		.amdhsa_inst_pref_size 0
		.amdhsa_round_robin_scheduling 0
		.amdhsa_exception_fp_ieee_invalid_op 0
		.amdhsa_exception_fp_denorm_src 0
		.amdhsa_exception_fp_ieee_div_zero 0
		.amdhsa_exception_fp_ieee_overflow 0
		.amdhsa_exception_fp_ieee_underflow 0
		.amdhsa_exception_fp_ieee_inexact 0
		.amdhsa_exception_int_div_zero 0
	.end_amdhsa_kernel
	.section	.text._ZN7rocprim17ROCPRIM_400000_NS6detail17trampoline_kernelINS0_14default_configENS1_35radix_sort_onesweep_config_selectorI12hip_bfloat16NS0_10empty_typeEEEZZNS1_29radix_sort_onesweep_iterationIS3_Lb0EPKS5_PS5_PS6_SC_mNS0_19identity_decomposerENS1_16block_id_wrapperIjLb0EEEEE10hipError_tT1_PNSt15iterator_traitsISH_E10value_typeET2_T3_PNSI_ISN_E10value_typeET4_T5_PSS_ST_PNS1_23onesweep_lookback_stateEbbT6_jjT7_P12ihipStream_tbENKUlT_T0_SH_SM_E_clISA_SB_SC_SC_EEDaS10_S11_SH_SM_EUlS10_E_NS1_11comp_targetILNS1_3genE2ELNS1_11target_archE906ELNS1_3gpuE6ELNS1_3repE0EEENS1_47radix_sort_onesweep_sort_config_static_selectorELNS0_4arch9wavefront6targetE0EEEvSH_,"axG",@progbits,_ZN7rocprim17ROCPRIM_400000_NS6detail17trampoline_kernelINS0_14default_configENS1_35radix_sort_onesweep_config_selectorI12hip_bfloat16NS0_10empty_typeEEEZZNS1_29radix_sort_onesweep_iterationIS3_Lb0EPKS5_PS5_PS6_SC_mNS0_19identity_decomposerENS1_16block_id_wrapperIjLb0EEEEE10hipError_tT1_PNSt15iterator_traitsISH_E10value_typeET2_T3_PNSI_ISN_E10value_typeET4_T5_PSS_ST_PNS1_23onesweep_lookback_stateEbbT6_jjT7_P12ihipStream_tbENKUlT_T0_SH_SM_E_clISA_SB_SC_SC_EEDaS10_S11_SH_SM_EUlS10_E_NS1_11comp_targetILNS1_3genE2ELNS1_11target_archE906ELNS1_3gpuE6ELNS1_3repE0EEENS1_47radix_sort_onesweep_sort_config_static_selectorELNS0_4arch9wavefront6targetE0EEEvSH_,comdat
.Lfunc_end2072:
	.size	_ZN7rocprim17ROCPRIM_400000_NS6detail17trampoline_kernelINS0_14default_configENS1_35radix_sort_onesweep_config_selectorI12hip_bfloat16NS0_10empty_typeEEEZZNS1_29radix_sort_onesweep_iterationIS3_Lb0EPKS5_PS5_PS6_SC_mNS0_19identity_decomposerENS1_16block_id_wrapperIjLb0EEEEE10hipError_tT1_PNSt15iterator_traitsISH_E10value_typeET2_T3_PNSI_ISN_E10value_typeET4_T5_PSS_ST_PNS1_23onesweep_lookback_stateEbbT6_jjT7_P12ihipStream_tbENKUlT_T0_SH_SM_E_clISA_SB_SC_SC_EEDaS10_S11_SH_SM_EUlS10_E_NS1_11comp_targetILNS1_3genE2ELNS1_11target_archE906ELNS1_3gpuE6ELNS1_3repE0EEENS1_47radix_sort_onesweep_sort_config_static_selectorELNS0_4arch9wavefront6targetE0EEEvSH_, .Lfunc_end2072-_ZN7rocprim17ROCPRIM_400000_NS6detail17trampoline_kernelINS0_14default_configENS1_35radix_sort_onesweep_config_selectorI12hip_bfloat16NS0_10empty_typeEEEZZNS1_29radix_sort_onesweep_iterationIS3_Lb0EPKS5_PS5_PS6_SC_mNS0_19identity_decomposerENS1_16block_id_wrapperIjLb0EEEEE10hipError_tT1_PNSt15iterator_traitsISH_E10value_typeET2_T3_PNSI_ISN_E10value_typeET4_T5_PSS_ST_PNS1_23onesweep_lookback_stateEbbT6_jjT7_P12ihipStream_tbENKUlT_T0_SH_SM_E_clISA_SB_SC_SC_EEDaS10_S11_SH_SM_EUlS10_E_NS1_11comp_targetILNS1_3genE2ELNS1_11target_archE906ELNS1_3gpuE6ELNS1_3repE0EEENS1_47radix_sort_onesweep_sort_config_static_selectorELNS0_4arch9wavefront6targetE0EEEvSH_
                                        ; -- End function
	.set _ZN7rocprim17ROCPRIM_400000_NS6detail17trampoline_kernelINS0_14default_configENS1_35radix_sort_onesweep_config_selectorI12hip_bfloat16NS0_10empty_typeEEEZZNS1_29radix_sort_onesweep_iterationIS3_Lb0EPKS5_PS5_PS6_SC_mNS0_19identity_decomposerENS1_16block_id_wrapperIjLb0EEEEE10hipError_tT1_PNSt15iterator_traitsISH_E10value_typeET2_T3_PNSI_ISN_E10value_typeET4_T5_PSS_ST_PNS1_23onesweep_lookback_stateEbbT6_jjT7_P12ihipStream_tbENKUlT_T0_SH_SM_E_clISA_SB_SC_SC_EEDaS10_S11_SH_SM_EUlS10_E_NS1_11comp_targetILNS1_3genE2ELNS1_11target_archE906ELNS1_3gpuE6ELNS1_3repE0EEENS1_47radix_sort_onesweep_sort_config_static_selectorELNS0_4arch9wavefront6targetE0EEEvSH_.num_vgpr, 0
	.set _ZN7rocprim17ROCPRIM_400000_NS6detail17trampoline_kernelINS0_14default_configENS1_35radix_sort_onesweep_config_selectorI12hip_bfloat16NS0_10empty_typeEEEZZNS1_29radix_sort_onesweep_iterationIS3_Lb0EPKS5_PS5_PS6_SC_mNS0_19identity_decomposerENS1_16block_id_wrapperIjLb0EEEEE10hipError_tT1_PNSt15iterator_traitsISH_E10value_typeET2_T3_PNSI_ISN_E10value_typeET4_T5_PSS_ST_PNS1_23onesweep_lookback_stateEbbT6_jjT7_P12ihipStream_tbENKUlT_T0_SH_SM_E_clISA_SB_SC_SC_EEDaS10_S11_SH_SM_EUlS10_E_NS1_11comp_targetILNS1_3genE2ELNS1_11target_archE906ELNS1_3gpuE6ELNS1_3repE0EEENS1_47radix_sort_onesweep_sort_config_static_selectorELNS0_4arch9wavefront6targetE0EEEvSH_.num_agpr, 0
	.set _ZN7rocprim17ROCPRIM_400000_NS6detail17trampoline_kernelINS0_14default_configENS1_35radix_sort_onesweep_config_selectorI12hip_bfloat16NS0_10empty_typeEEEZZNS1_29radix_sort_onesweep_iterationIS3_Lb0EPKS5_PS5_PS6_SC_mNS0_19identity_decomposerENS1_16block_id_wrapperIjLb0EEEEE10hipError_tT1_PNSt15iterator_traitsISH_E10value_typeET2_T3_PNSI_ISN_E10value_typeET4_T5_PSS_ST_PNS1_23onesweep_lookback_stateEbbT6_jjT7_P12ihipStream_tbENKUlT_T0_SH_SM_E_clISA_SB_SC_SC_EEDaS10_S11_SH_SM_EUlS10_E_NS1_11comp_targetILNS1_3genE2ELNS1_11target_archE906ELNS1_3gpuE6ELNS1_3repE0EEENS1_47radix_sort_onesweep_sort_config_static_selectorELNS0_4arch9wavefront6targetE0EEEvSH_.numbered_sgpr, 0
	.set _ZN7rocprim17ROCPRIM_400000_NS6detail17trampoline_kernelINS0_14default_configENS1_35radix_sort_onesweep_config_selectorI12hip_bfloat16NS0_10empty_typeEEEZZNS1_29radix_sort_onesweep_iterationIS3_Lb0EPKS5_PS5_PS6_SC_mNS0_19identity_decomposerENS1_16block_id_wrapperIjLb0EEEEE10hipError_tT1_PNSt15iterator_traitsISH_E10value_typeET2_T3_PNSI_ISN_E10value_typeET4_T5_PSS_ST_PNS1_23onesweep_lookback_stateEbbT6_jjT7_P12ihipStream_tbENKUlT_T0_SH_SM_E_clISA_SB_SC_SC_EEDaS10_S11_SH_SM_EUlS10_E_NS1_11comp_targetILNS1_3genE2ELNS1_11target_archE906ELNS1_3gpuE6ELNS1_3repE0EEENS1_47radix_sort_onesweep_sort_config_static_selectorELNS0_4arch9wavefront6targetE0EEEvSH_.num_named_barrier, 0
	.set _ZN7rocprim17ROCPRIM_400000_NS6detail17trampoline_kernelINS0_14default_configENS1_35radix_sort_onesweep_config_selectorI12hip_bfloat16NS0_10empty_typeEEEZZNS1_29radix_sort_onesweep_iterationIS3_Lb0EPKS5_PS5_PS6_SC_mNS0_19identity_decomposerENS1_16block_id_wrapperIjLb0EEEEE10hipError_tT1_PNSt15iterator_traitsISH_E10value_typeET2_T3_PNSI_ISN_E10value_typeET4_T5_PSS_ST_PNS1_23onesweep_lookback_stateEbbT6_jjT7_P12ihipStream_tbENKUlT_T0_SH_SM_E_clISA_SB_SC_SC_EEDaS10_S11_SH_SM_EUlS10_E_NS1_11comp_targetILNS1_3genE2ELNS1_11target_archE906ELNS1_3gpuE6ELNS1_3repE0EEENS1_47radix_sort_onesweep_sort_config_static_selectorELNS0_4arch9wavefront6targetE0EEEvSH_.private_seg_size, 0
	.set _ZN7rocprim17ROCPRIM_400000_NS6detail17trampoline_kernelINS0_14default_configENS1_35radix_sort_onesweep_config_selectorI12hip_bfloat16NS0_10empty_typeEEEZZNS1_29radix_sort_onesweep_iterationIS3_Lb0EPKS5_PS5_PS6_SC_mNS0_19identity_decomposerENS1_16block_id_wrapperIjLb0EEEEE10hipError_tT1_PNSt15iterator_traitsISH_E10value_typeET2_T3_PNSI_ISN_E10value_typeET4_T5_PSS_ST_PNS1_23onesweep_lookback_stateEbbT6_jjT7_P12ihipStream_tbENKUlT_T0_SH_SM_E_clISA_SB_SC_SC_EEDaS10_S11_SH_SM_EUlS10_E_NS1_11comp_targetILNS1_3genE2ELNS1_11target_archE906ELNS1_3gpuE6ELNS1_3repE0EEENS1_47radix_sort_onesweep_sort_config_static_selectorELNS0_4arch9wavefront6targetE0EEEvSH_.uses_vcc, 0
	.set _ZN7rocprim17ROCPRIM_400000_NS6detail17trampoline_kernelINS0_14default_configENS1_35radix_sort_onesweep_config_selectorI12hip_bfloat16NS0_10empty_typeEEEZZNS1_29radix_sort_onesweep_iterationIS3_Lb0EPKS5_PS5_PS6_SC_mNS0_19identity_decomposerENS1_16block_id_wrapperIjLb0EEEEE10hipError_tT1_PNSt15iterator_traitsISH_E10value_typeET2_T3_PNSI_ISN_E10value_typeET4_T5_PSS_ST_PNS1_23onesweep_lookback_stateEbbT6_jjT7_P12ihipStream_tbENKUlT_T0_SH_SM_E_clISA_SB_SC_SC_EEDaS10_S11_SH_SM_EUlS10_E_NS1_11comp_targetILNS1_3genE2ELNS1_11target_archE906ELNS1_3gpuE6ELNS1_3repE0EEENS1_47radix_sort_onesweep_sort_config_static_selectorELNS0_4arch9wavefront6targetE0EEEvSH_.uses_flat_scratch, 0
	.set _ZN7rocprim17ROCPRIM_400000_NS6detail17trampoline_kernelINS0_14default_configENS1_35radix_sort_onesweep_config_selectorI12hip_bfloat16NS0_10empty_typeEEEZZNS1_29radix_sort_onesweep_iterationIS3_Lb0EPKS5_PS5_PS6_SC_mNS0_19identity_decomposerENS1_16block_id_wrapperIjLb0EEEEE10hipError_tT1_PNSt15iterator_traitsISH_E10value_typeET2_T3_PNSI_ISN_E10value_typeET4_T5_PSS_ST_PNS1_23onesweep_lookback_stateEbbT6_jjT7_P12ihipStream_tbENKUlT_T0_SH_SM_E_clISA_SB_SC_SC_EEDaS10_S11_SH_SM_EUlS10_E_NS1_11comp_targetILNS1_3genE2ELNS1_11target_archE906ELNS1_3gpuE6ELNS1_3repE0EEENS1_47radix_sort_onesweep_sort_config_static_selectorELNS0_4arch9wavefront6targetE0EEEvSH_.has_dyn_sized_stack, 0
	.set _ZN7rocprim17ROCPRIM_400000_NS6detail17trampoline_kernelINS0_14default_configENS1_35radix_sort_onesweep_config_selectorI12hip_bfloat16NS0_10empty_typeEEEZZNS1_29radix_sort_onesweep_iterationIS3_Lb0EPKS5_PS5_PS6_SC_mNS0_19identity_decomposerENS1_16block_id_wrapperIjLb0EEEEE10hipError_tT1_PNSt15iterator_traitsISH_E10value_typeET2_T3_PNSI_ISN_E10value_typeET4_T5_PSS_ST_PNS1_23onesweep_lookback_stateEbbT6_jjT7_P12ihipStream_tbENKUlT_T0_SH_SM_E_clISA_SB_SC_SC_EEDaS10_S11_SH_SM_EUlS10_E_NS1_11comp_targetILNS1_3genE2ELNS1_11target_archE906ELNS1_3gpuE6ELNS1_3repE0EEENS1_47radix_sort_onesweep_sort_config_static_selectorELNS0_4arch9wavefront6targetE0EEEvSH_.has_recursion, 0
	.set _ZN7rocprim17ROCPRIM_400000_NS6detail17trampoline_kernelINS0_14default_configENS1_35radix_sort_onesweep_config_selectorI12hip_bfloat16NS0_10empty_typeEEEZZNS1_29radix_sort_onesweep_iterationIS3_Lb0EPKS5_PS5_PS6_SC_mNS0_19identity_decomposerENS1_16block_id_wrapperIjLb0EEEEE10hipError_tT1_PNSt15iterator_traitsISH_E10value_typeET2_T3_PNSI_ISN_E10value_typeET4_T5_PSS_ST_PNS1_23onesweep_lookback_stateEbbT6_jjT7_P12ihipStream_tbENKUlT_T0_SH_SM_E_clISA_SB_SC_SC_EEDaS10_S11_SH_SM_EUlS10_E_NS1_11comp_targetILNS1_3genE2ELNS1_11target_archE906ELNS1_3gpuE6ELNS1_3repE0EEENS1_47radix_sort_onesweep_sort_config_static_selectorELNS0_4arch9wavefront6targetE0EEEvSH_.has_indirect_call, 0
	.section	.AMDGPU.csdata,"",@progbits
; Kernel info:
; codeLenInByte = 0
; TotalNumSgprs: 0
; NumVgprs: 0
; ScratchSize: 0
; MemoryBound: 0
; FloatMode: 240
; IeeeMode: 1
; LDSByteSize: 0 bytes/workgroup (compile time only)
; SGPRBlocks: 0
; VGPRBlocks: 0
; NumSGPRsForWavesPerEU: 1
; NumVGPRsForWavesPerEU: 1
; NamedBarCnt: 0
; Occupancy: 16
; WaveLimiterHint : 0
; COMPUTE_PGM_RSRC2:SCRATCH_EN: 0
; COMPUTE_PGM_RSRC2:USER_SGPR: 2
; COMPUTE_PGM_RSRC2:TRAP_HANDLER: 0
; COMPUTE_PGM_RSRC2:TGID_X_EN: 1
; COMPUTE_PGM_RSRC2:TGID_Y_EN: 0
; COMPUTE_PGM_RSRC2:TGID_Z_EN: 0
; COMPUTE_PGM_RSRC2:TIDIG_COMP_CNT: 0
	.section	.text._ZN7rocprim17ROCPRIM_400000_NS6detail17trampoline_kernelINS0_14default_configENS1_35radix_sort_onesweep_config_selectorI12hip_bfloat16NS0_10empty_typeEEEZZNS1_29radix_sort_onesweep_iterationIS3_Lb0EPKS5_PS5_PS6_SC_mNS0_19identity_decomposerENS1_16block_id_wrapperIjLb0EEEEE10hipError_tT1_PNSt15iterator_traitsISH_E10value_typeET2_T3_PNSI_ISN_E10value_typeET4_T5_PSS_ST_PNS1_23onesweep_lookback_stateEbbT6_jjT7_P12ihipStream_tbENKUlT_T0_SH_SM_E_clISA_SB_SC_SC_EEDaS10_S11_SH_SM_EUlS10_E_NS1_11comp_targetILNS1_3genE4ELNS1_11target_archE910ELNS1_3gpuE8ELNS1_3repE0EEENS1_47radix_sort_onesweep_sort_config_static_selectorELNS0_4arch9wavefront6targetE0EEEvSH_,"axG",@progbits,_ZN7rocprim17ROCPRIM_400000_NS6detail17trampoline_kernelINS0_14default_configENS1_35radix_sort_onesweep_config_selectorI12hip_bfloat16NS0_10empty_typeEEEZZNS1_29radix_sort_onesweep_iterationIS3_Lb0EPKS5_PS5_PS6_SC_mNS0_19identity_decomposerENS1_16block_id_wrapperIjLb0EEEEE10hipError_tT1_PNSt15iterator_traitsISH_E10value_typeET2_T3_PNSI_ISN_E10value_typeET4_T5_PSS_ST_PNS1_23onesweep_lookback_stateEbbT6_jjT7_P12ihipStream_tbENKUlT_T0_SH_SM_E_clISA_SB_SC_SC_EEDaS10_S11_SH_SM_EUlS10_E_NS1_11comp_targetILNS1_3genE4ELNS1_11target_archE910ELNS1_3gpuE8ELNS1_3repE0EEENS1_47radix_sort_onesweep_sort_config_static_selectorELNS0_4arch9wavefront6targetE0EEEvSH_,comdat
	.protected	_ZN7rocprim17ROCPRIM_400000_NS6detail17trampoline_kernelINS0_14default_configENS1_35radix_sort_onesweep_config_selectorI12hip_bfloat16NS0_10empty_typeEEEZZNS1_29radix_sort_onesweep_iterationIS3_Lb0EPKS5_PS5_PS6_SC_mNS0_19identity_decomposerENS1_16block_id_wrapperIjLb0EEEEE10hipError_tT1_PNSt15iterator_traitsISH_E10value_typeET2_T3_PNSI_ISN_E10value_typeET4_T5_PSS_ST_PNS1_23onesweep_lookback_stateEbbT6_jjT7_P12ihipStream_tbENKUlT_T0_SH_SM_E_clISA_SB_SC_SC_EEDaS10_S11_SH_SM_EUlS10_E_NS1_11comp_targetILNS1_3genE4ELNS1_11target_archE910ELNS1_3gpuE8ELNS1_3repE0EEENS1_47radix_sort_onesweep_sort_config_static_selectorELNS0_4arch9wavefront6targetE0EEEvSH_ ; -- Begin function _ZN7rocprim17ROCPRIM_400000_NS6detail17trampoline_kernelINS0_14default_configENS1_35radix_sort_onesweep_config_selectorI12hip_bfloat16NS0_10empty_typeEEEZZNS1_29radix_sort_onesweep_iterationIS3_Lb0EPKS5_PS5_PS6_SC_mNS0_19identity_decomposerENS1_16block_id_wrapperIjLb0EEEEE10hipError_tT1_PNSt15iterator_traitsISH_E10value_typeET2_T3_PNSI_ISN_E10value_typeET4_T5_PSS_ST_PNS1_23onesweep_lookback_stateEbbT6_jjT7_P12ihipStream_tbENKUlT_T0_SH_SM_E_clISA_SB_SC_SC_EEDaS10_S11_SH_SM_EUlS10_E_NS1_11comp_targetILNS1_3genE4ELNS1_11target_archE910ELNS1_3gpuE8ELNS1_3repE0EEENS1_47radix_sort_onesweep_sort_config_static_selectorELNS0_4arch9wavefront6targetE0EEEvSH_
	.globl	_ZN7rocprim17ROCPRIM_400000_NS6detail17trampoline_kernelINS0_14default_configENS1_35radix_sort_onesweep_config_selectorI12hip_bfloat16NS0_10empty_typeEEEZZNS1_29radix_sort_onesweep_iterationIS3_Lb0EPKS5_PS5_PS6_SC_mNS0_19identity_decomposerENS1_16block_id_wrapperIjLb0EEEEE10hipError_tT1_PNSt15iterator_traitsISH_E10value_typeET2_T3_PNSI_ISN_E10value_typeET4_T5_PSS_ST_PNS1_23onesweep_lookback_stateEbbT6_jjT7_P12ihipStream_tbENKUlT_T0_SH_SM_E_clISA_SB_SC_SC_EEDaS10_S11_SH_SM_EUlS10_E_NS1_11comp_targetILNS1_3genE4ELNS1_11target_archE910ELNS1_3gpuE8ELNS1_3repE0EEENS1_47radix_sort_onesweep_sort_config_static_selectorELNS0_4arch9wavefront6targetE0EEEvSH_
	.p2align	8
	.type	_ZN7rocprim17ROCPRIM_400000_NS6detail17trampoline_kernelINS0_14default_configENS1_35radix_sort_onesweep_config_selectorI12hip_bfloat16NS0_10empty_typeEEEZZNS1_29radix_sort_onesweep_iterationIS3_Lb0EPKS5_PS5_PS6_SC_mNS0_19identity_decomposerENS1_16block_id_wrapperIjLb0EEEEE10hipError_tT1_PNSt15iterator_traitsISH_E10value_typeET2_T3_PNSI_ISN_E10value_typeET4_T5_PSS_ST_PNS1_23onesweep_lookback_stateEbbT6_jjT7_P12ihipStream_tbENKUlT_T0_SH_SM_E_clISA_SB_SC_SC_EEDaS10_S11_SH_SM_EUlS10_E_NS1_11comp_targetILNS1_3genE4ELNS1_11target_archE910ELNS1_3gpuE8ELNS1_3repE0EEENS1_47radix_sort_onesweep_sort_config_static_selectorELNS0_4arch9wavefront6targetE0EEEvSH_,@function
_ZN7rocprim17ROCPRIM_400000_NS6detail17trampoline_kernelINS0_14default_configENS1_35radix_sort_onesweep_config_selectorI12hip_bfloat16NS0_10empty_typeEEEZZNS1_29radix_sort_onesweep_iterationIS3_Lb0EPKS5_PS5_PS6_SC_mNS0_19identity_decomposerENS1_16block_id_wrapperIjLb0EEEEE10hipError_tT1_PNSt15iterator_traitsISH_E10value_typeET2_T3_PNSI_ISN_E10value_typeET4_T5_PSS_ST_PNS1_23onesweep_lookback_stateEbbT6_jjT7_P12ihipStream_tbENKUlT_T0_SH_SM_E_clISA_SB_SC_SC_EEDaS10_S11_SH_SM_EUlS10_E_NS1_11comp_targetILNS1_3genE4ELNS1_11target_archE910ELNS1_3gpuE8ELNS1_3repE0EEENS1_47radix_sort_onesweep_sort_config_static_selectorELNS0_4arch9wavefront6targetE0EEEvSH_: ; @_ZN7rocprim17ROCPRIM_400000_NS6detail17trampoline_kernelINS0_14default_configENS1_35radix_sort_onesweep_config_selectorI12hip_bfloat16NS0_10empty_typeEEEZZNS1_29radix_sort_onesweep_iterationIS3_Lb0EPKS5_PS5_PS6_SC_mNS0_19identity_decomposerENS1_16block_id_wrapperIjLb0EEEEE10hipError_tT1_PNSt15iterator_traitsISH_E10value_typeET2_T3_PNSI_ISN_E10value_typeET4_T5_PSS_ST_PNS1_23onesweep_lookback_stateEbbT6_jjT7_P12ihipStream_tbENKUlT_T0_SH_SM_E_clISA_SB_SC_SC_EEDaS10_S11_SH_SM_EUlS10_E_NS1_11comp_targetILNS1_3genE4ELNS1_11target_archE910ELNS1_3gpuE8ELNS1_3repE0EEENS1_47radix_sort_onesweep_sort_config_static_selectorELNS0_4arch9wavefront6targetE0EEEvSH_
; %bb.0:
	.section	.rodata,"a",@progbits
	.p2align	6, 0x0
	.amdhsa_kernel _ZN7rocprim17ROCPRIM_400000_NS6detail17trampoline_kernelINS0_14default_configENS1_35radix_sort_onesweep_config_selectorI12hip_bfloat16NS0_10empty_typeEEEZZNS1_29radix_sort_onesweep_iterationIS3_Lb0EPKS5_PS5_PS6_SC_mNS0_19identity_decomposerENS1_16block_id_wrapperIjLb0EEEEE10hipError_tT1_PNSt15iterator_traitsISH_E10value_typeET2_T3_PNSI_ISN_E10value_typeET4_T5_PSS_ST_PNS1_23onesweep_lookback_stateEbbT6_jjT7_P12ihipStream_tbENKUlT_T0_SH_SM_E_clISA_SB_SC_SC_EEDaS10_S11_SH_SM_EUlS10_E_NS1_11comp_targetILNS1_3genE4ELNS1_11target_archE910ELNS1_3gpuE8ELNS1_3repE0EEENS1_47radix_sort_onesweep_sort_config_static_selectorELNS0_4arch9wavefront6targetE0EEEvSH_
		.amdhsa_group_segment_fixed_size 0
		.amdhsa_private_segment_fixed_size 0
		.amdhsa_kernarg_size 88
		.amdhsa_user_sgpr_count 2
		.amdhsa_user_sgpr_dispatch_ptr 0
		.amdhsa_user_sgpr_queue_ptr 0
		.amdhsa_user_sgpr_kernarg_segment_ptr 1
		.amdhsa_user_sgpr_dispatch_id 0
		.amdhsa_user_sgpr_kernarg_preload_length 0
		.amdhsa_user_sgpr_kernarg_preload_offset 0
		.amdhsa_user_sgpr_private_segment_size 0
		.amdhsa_wavefront_size32 1
		.amdhsa_uses_dynamic_stack 0
		.amdhsa_enable_private_segment 0
		.amdhsa_system_sgpr_workgroup_id_x 1
		.amdhsa_system_sgpr_workgroup_id_y 0
		.amdhsa_system_sgpr_workgroup_id_z 0
		.amdhsa_system_sgpr_workgroup_info 0
		.amdhsa_system_vgpr_workitem_id 0
		.amdhsa_next_free_vgpr 1
		.amdhsa_next_free_sgpr 1
		.amdhsa_named_barrier_count 0
		.amdhsa_reserve_vcc 0
		.amdhsa_float_round_mode_32 0
		.amdhsa_float_round_mode_16_64 0
		.amdhsa_float_denorm_mode_32 3
		.amdhsa_float_denorm_mode_16_64 3
		.amdhsa_fp16_overflow 0
		.amdhsa_memory_ordered 1
		.amdhsa_forward_progress 1
		.amdhsa_inst_pref_size 0
		.amdhsa_round_robin_scheduling 0
		.amdhsa_exception_fp_ieee_invalid_op 0
		.amdhsa_exception_fp_denorm_src 0
		.amdhsa_exception_fp_ieee_div_zero 0
		.amdhsa_exception_fp_ieee_overflow 0
		.amdhsa_exception_fp_ieee_underflow 0
		.amdhsa_exception_fp_ieee_inexact 0
		.amdhsa_exception_int_div_zero 0
	.end_amdhsa_kernel
	.section	.text._ZN7rocprim17ROCPRIM_400000_NS6detail17trampoline_kernelINS0_14default_configENS1_35radix_sort_onesweep_config_selectorI12hip_bfloat16NS0_10empty_typeEEEZZNS1_29radix_sort_onesweep_iterationIS3_Lb0EPKS5_PS5_PS6_SC_mNS0_19identity_decomposerENS1_16block_id_wrapperIjLb0EEEEE10hipError_tT1_PNSt15iterator_traitsISH_E10value_typeET2_T3_PNSI_ISN_E10value_typeET4_T5_PSS_ST_PNS1_23onesweep_lookback_stateEbbT6_jjT7_P12ihipStream_tbENKUlT_T0_SH_SM_E_clISA_SB_SC_SC_EEDaS10_S11_SH_SM_EUlS10_E_NS1_11comp_targetILNS1_3genE4ELNS1_11target_archE910ELNS1_3gpuE8ELNS1_3repE0EEENS1_47radix_sort_onesweep_sort_config_static_selectorELNS0_4arch9wavefront6targetE0EEEvSH_,"axG",@progbits,_ZN7rocprim17ROCPRIM_400000_NS6detail17trampoline_kernelINS0_14default_configENS1_35radix_sort_onesweep_config_selectorI12hip_bfloat16NS0_10empty_typeEEEZZNS1_29radix_sort_onesweep_iterationIS3_Lb0EPKS5_PS5_PS6_SC_mNS0_19identity_decomposerENS1_16block_id_wrapperIjLb0EEEEE10hipError_tT1_PNSt15iterator_traitsISH_E10value_typeET2_T3_PNSI_ISN_E10value_typeET4_T5_PSS_ST_PNS1_23onesweep_lookback_stateEbbT6_jjT7_P12ihipStream_tbENKUlT_T0_SH_SM_E_clISA_SB_SC_SC_EEDaS10_S11_SH_SM_EUlS10_E_NS1_11comp_targetILNS1_3genE4ELNS1_11target_archE910ELNS1_3gpuE8ELNS1_3repE0EEENS1_47radix_sort_onesweep_sort_config_static_selectorELNS0_4arch9wavefront6targetE0EEEvSH_,comdat
.Lfunc_end2073:
	.size	_ZN7rocprim17ROCPRIM_400000_NS6detail17trampoline_kernelINS0_14default_configENS1_35radix_sort_onesweep_config_selectorI12hip_bfloat16NS0_10empty_typeEEEZZNS1_29radix_sort_onesweep_iterationIS3_Lb0EPKS5_PS5_PS6_SC_mNS0_19identity_decomposerENS1_16block_id_wrapperIjLb0EEEEE10hipError_tT1_PNSt15iterator_traitsISH_E10value_typeET2_T3_PNSI_ISN_E10value_typeET4_T5_PSS_ST_PNS1_23onesweep_lookback_stateEbbT6_jjT7_P12ihipStream_tbENKUlT_T0_SH_SM_E_clISA_SB_SC_SC_EEDaS10_S11_SH_SM_EUlS10_E_NS1_11comp_targetILNS1_3genE4ELNS1_11target_archE910ELNS1_3gpuE8ELNS1_3repE0EEENS1_47radix_sort_onesweep_sort_config_static_selectorELNS0_4arch9wavefront6targetE0EEEvSH_, .Lfunc_end2073-_ZN7rocprim17ROCPRIM_400000_NS6detail17trampoline_kernelINS0_14default_configENS1_35radix_sort_onesweep_config_selectorI12hip_bfloat16NS0_10empty_typeEEEZZNS1_29radix_sort_onesweep_iterationIS3_Lb0EPKS5_PS5_PS6_SC_mNS0_19identity_decomposerENS1_16block_id_wrapperIjLb0EEEEE10hipError_tT1_PNSt15iterator_traitsISH_E10value_typeET2_T3_PNSI_ISN_E10value_typeET4_T5_PSS_ST_PNS1_23onesweep_lookback_stateEbbT6_jjT7_P12ihipStream_tbENKUlT_T0_SH_SM_E_clISA_SB_SC_SC_EEDaS10_S11_SH_SM_EUlS10_E_NS1_11comp_targetILNS1_3genE4ELNS1_11target_archE910ELNS1_3gpuE8ELNS1_3repE0EEENS1_47radix_sort_onesweep_sort_config_static_selectorELNS0_4arch9wavefront6targetE0EEEvSH_
                                        ; -- End function
	.set _ZN7rocprim17ROCPRIM_400000_NS6detail17trampoline_kernelINS0_14default_configENS1_35radix_sort_onesweep_config_selectorI12hip_bfloat16NS0_10empty_typeEEEZZNS1_29radix_sort_onesweep_iterationIS3_Lb0EPKS5_PS5_PS6_SC_mNS0_19identity_decomposerENS1_16block_id_wrapperIjLb0EEEEE10hipError_tT1_PNSt15iterator_traitsISH_E10value_typeET2_T3_PNSI_ISN_E10value_typeET4_T5_PSS_ST_PNS1_23onesweep_lookback_stateEbbT6_jjT7_P12ihipStream_tbENKUlT_T0_SH_SM_E_clISA_SB_SC_SC_EEDaS10_S11_SH_SM_EUlS10_E_NS1_11comp_targetILNS1_3genE4ELNS1_11target_archE910ELNS1_3gpuE8ELNS1_3repE0EEENS1_47radix_sort_onesweep_sort_config_static_selectorELNS0_4arch9wavefront6targetE0EEEvSH_.num_vgpr, 0
	.set _ZN7rocprim17ROCPRIM_400000_NS6detail17trampoline_kernelINS0_14default_configENS1_35radix_sort_onesweep_config_selectorI12hip_bfloat16NS0_10empty_typeEEEZZNS1_29radix_sort_onesweep_iterationIS3_Lb0EPKS5_PS5_PS6_SC_mNS0_19identity_decomposerENS1_16block_id_wrapperIjLb0EEEEE10hipError_tT1_PNSt15iterator_traitsISH_E10value_typeET2_T3_PNSI_ISN_E10value_typeET4_T5_PSS_ST_PNS1_23onesweep_lookback_stateEbbT6_jjT7_P12ihipStream_tbENKUlT_T0_SH_SM_E_clISA_SB_SC_SC_EEDaS10_S11_SH_SM_EUlS10_E_NS1_11comp_targetILNS1_3genE4ELNS1_11target_archE910ELNS1_3gpuE8ELNS1_3repE0EEENS1_47radix_sort_onesweep_sort_config_static_selectorELNS0_4arch9wavefront6targetE0EEEvSH_.num_agpr, 0
	.set _ZN7rocprim17ROCPRIM_400000_NS6detail17trampoline_kernelINS0_14default_configENS1_35radix_sort_onesweep_config_selectorI12hip_bfloat16NS0_10empty_typeEEEZZNS1_29radix_sort_onesweep_iterationIS3_Lb0EPKS5_PS5_PS6_SC_mNS0_19identity_decomposerENS1_16block_id_wrapperIjLb0EEEEE10hipError_tT1_PNSt15iterator_traitsISH_E10value_typeET2_T3_PNSI_ISN_E10value_typeET4_T5_PSS_ST_PNS1_23onesweep_lookback_stateEbbT6_jjT7_P12ihipStream_tbENKUlT_T0_SH_SM_E_clISA_SB_SC_SC_EEDaS10_S11_SH_SM_EUlS10_E_NS1_11comp_targetILNS1_3genE4ELNS1_11target_archE910ELNS1_3gpuE8ELNS1_3repE0EEENS1_47radix_sort_onesweep_sort_config_static_selectorELNS0_4arch9wavefront6targetE0EEEvSH_.numbered_sgpr, 0
	.set _ZN7rocprim17ROCPRIM_400000_NS6detail17trampoline_kernelINS0_14default_configENS1_35radix_sort_onesweep_config_selectorI12hip_bfloat16NS0_10empty_typeEEEZZNS1_29radix_sort_onesweep_iterationIS3_Lb0EPKS5_PS5_PS6_SC_mNS0_19identity_decomposerENS1_16block_id_wrapperIjLb0EEEEE10hipError_tT1_PNSt15iterator_traitsISH_E10value_typeET2_T3_PNSI_ISN_E10value_typeET4_T5_PSS_ST_PNS1_23onesweep_lookback_stateEbbT6_jjT7_P12ihipStream_tbENKUlT_T0_SH_SM_E_clISA_SB_SC_SC_EEDaS10_S11_SH_SM_EUlS10_E_NS1_11comp_targetILNS1_3genE4ELNS1_11target_archE910ELNS1_3gpuE8ELNS1_3repE0EEENS1_47radix_sort_onesweep_sort_config_static_selectorELNS0_4arch9wavefront6targetE0EEEvSH_.num_named_barrier, 0
	.set _ZN7rocprim17ROCPRIM_400000_NS6detail17trampoline_kernelINS0_14default_configENS1_35radix_sort_onesweep_config_selectorI12hip_bfloat16NS0_10empty_typeEEEZZNS1_29radix_sort_onesweep_iterationIS3_Lb0EPKS5_PS5_PS6_SC_mNS0_19identity_decomposerENS1_16block_id_wrapperIjLb0EEEEE10hipError_tT1_PNSt15iterator_traitsISH_E10value_typeET2_T3_PNSI_ISN_E10value_typeET4_T5_PSS_ST_PNS1_23onesweep_lookback_stateEbbT6_jjT7_P12ihipStream_tbENKUlT_T0_SH_SM_E_clISA_SB_SC_SC_EEDaS10_S11_SH_SM_EUlS10_E_NS1_11comp_targetILNS1_3genE4ELNS1_11target_archE910ELNS1_3gpuE8ELNS1_3repE0EEENS1_47radix_sort_onesweep_sort_config_static_selectorELNS0_4arch9wavefront6targetE0EEEvSH_.private_seg_size, 0
	.set _ZN7rocprim17ROCPRIM_400000_NS6detail17trampoline_kernelINS0_14default_configENS1_35radix_sort_onesweep_config_selectorI12hip_bfloat16NS0_10empty_typeEEEZZNS1_29radix_sort_onesweep_iterationIS3_Lb0EPKS5_PS5_PS6_SC_mNS0_19identity_decomposerENS1_16block_id_wrapperIjLb0EEEEE10hipError_tT1_PNSt15iterator_traitsISH_E10value_typeET2_T3_PNSI_ISN_E10value_typeET4_T5_PSS_ST_PNS1_23onesweep_lookback_stateEbbT6_jjT7_P12ihipStream_tbENKUlT_T0_SH_SM_E_clISA_SB_SC_SC_EEDaS10_S11_SH_SM_EUlS10_E_NS1_11comp_targetILNS1_3genE4ELNS1_11target_archE910ELNS1_3gpuE8ELNS1_3repE0EEENS1_47radix_sort_onesweep_sort_config_static_selectorELNS0_4arch9wavefront6targetE0EEEvSH_.uses_vcc, 0
	.set _ZN7rocprim17ROCPRIM_400000_NS6detail17trampoline_kernelINS0_14default_configENS1_35radix_sort_onesweep_config_selectorI12hip_bfloat16NS0_10empty_typeEEEZZNS1_29radix_sort_onesweep_iterationIS3_Lb0EPKS5_PS5_PS6_SC_mNS0_19identity_decomposerENS1_16block_id_wrapperIjLb0EEEEE10hipError_tT1_PNSt15iterator_traitsISH_E10value_typeET2_T3_PNSI_ISN_E10value_typeET4_T5_PSS_ST_PNS1_23onesweep_lookback_stateEbbT6_jjT7_P12ihipStream_tbENKUlT_T0_SH_SM_E_clISA_SB_SC_SC_EEDaS10_S11_SH_SM_EUlS10_E_NS1_11comp_targetILNS1_3genE4ELNS1_11target_archE910ELNS1_3gpuE8ELNS1_3repE0EEENS1_47radix_sort_onesweep_sort_config_static_selectorELNS0_4arch9wavefront6targetE0EEEvSH_.uses_flat_scratch, 0
	.set _ZN7rocprim17ROCPRIM_400000_NS6detail17trampoline_kernelINS0_14default_configENS1_35radix_sort_onesweep_config_selectorI12hip_bfloat16NS0_10empty_typeEEEZZNS1_29radix_sort_onesweep_iterationIS3_Lb0EPKS5_PS5_PS6_SC_mNS0_19identity_decomposerENS1_16block_id_wrapperIjLb0EEEEE10hipError_tT1_PNSt15iterator_traitsISH_E10value_typeET2_T3_PNSI_ISN_E10value_typeET4_T5_PSS_ST_PNS1_23onesweep_lookback_stateEbbT6_jjT7_P12ihipStream_tbENKUlT_T0_SH_SM_E_clISA_SB_SC_SC_EEDaS10_S11_SH_SM_EUlS10_E_NS1_11comp_targetILNS1_3genE4ELNS1_11target_archE910ELNS1_3gpuE8ELNS1_3repE0EEENS1_47radix_sort_onesweep_sort_config_static_selectorELNS0_4arch9wavefront6targetE0EEEvSH_.has_dyn_sized_stack, 0
	.set _ZN7rocprim17ROCPRIM_400000_NS6detail17trampoline_kernelINS0_14default_configENS1_35radix_sort_onesweep_config_selectorI12hip_bfloat16NS0_10empty_typeEEEZZNS1_29radix_sort_onesweep_iterationIS3_Lb0EPKS5_PS5_PS6_SC_mNS0_19identity_decomposerENS1_16block_id_wrapperIjLb0EEEEE10hipError_tT1_PNSt15iterator_traitsISH_E10value_typeET2_T3_PNSI_ISN_E10value_typeET4_T5_PSS_ST_PNS1_23onesweep_lookback_stateEbbT6_jjT7_P12ihipStream_tbENKUlT_T0_SH_SM_E_clISA_SB_SC_SC_EEDaS10_S11_SH_SM_EUlS10_E_NS1_11comp_targetILNS1_3genE4ELNS1_11target_archE910ELNS1_3gpuE8ELNS1_3repE0EEENS1_47radix_sort_onesweep_sort_config_static_selectorELNS0_4arch9wavefront6targetE0EEEvSH_.has_recursion, 0
	.set _ZN7rocprim17ROCPRIM_400000_NS6detail17trampoline_kernelINS0_14default_configENS1_35radix_sort_onesweep_config_selectorI12hip_bfloat16NS0_10empty_typeEEEZZNS1_29radix_sort_onesweep_iterationIS3_Lb0EPKS5_PS5_PS6_SC_mNS0_19identity_decomposerENS1_16block_id_wrapperIjLb0EEEEE10hipError_tT1_PNSt15iterator_traitsISH_E10value_typeET2_T3_PNSI_ISN_E10value_typeET4_T5_PSS_ST_PNS1_23onesweep_lookback_stateEbbT6_jjT7_P12ihipStream_tbENKUlT_T0_SH_SM_E_clISA_SB_SC_SC_EEDaS10_S11_SH_SM_EUlS10_E_NS1_11comp_targetILNS1_3genE4ELNS1_11target_archE910ELNS1_3gpuE8ELNS1_3repE0EEENS1_47radix_sort_onesweep_sort_config_static_selectorELNS0_4arch9wavefront6targetE0EEEvSH_.has_indirect_call, 0
	.section	.AMDGPU.csdata,"",@progbits
; Kernel info:
; codeLenInByte = 0
; TotalNumSgprs: 0
; NumVgprs: 0
; ScratchSize: 0
; MemoryBound: 0
; FloatMode: 240
; IeeeMode: 1
; LDSByteSize: 0 bytes/workgroup (compile time only)
; SGPRBlocks: 0
; VGPRBlocks: 0
; NumSGPRsForWavesPerEU: 1
; NumVGPRsForWavesPerEU: 1
; NamedBarCnt: 0
; Occupancy: 16
; WaveLimiterHint : 0
; COMPUTE_PGM_RSRC2:SCRATCH_EN: 0
; COMPUTE_PGM_RSRC2:USER_SGPR: 2
; COMPUTE_PGM_RSRC2:TRAP_HANDLER: 0
; COMPUTE_PGM_RSRC2:TGID_X_EN: 1
; COMPUTE_PGM_RSRC2:TGID_Y_EN: 0
; COMPUTE_PGM_RSRC2:TGID_Z_EN: 0
; COMPUTE_PGM_RSRC2:TIDIG_COMP_CNT: 0
	.section	.text._ZN7rocprim17ROCPRIM_400000_NS6detail17trampoline_kernelINS0_14default_configENS1_35radix_sort_onesweep_config_selectorI12hip_bfloat16NS0_10empty_typeEEEZZNS1_29radix_sort_onesweep_iterationIS3_Lb0EPKS5_PS5_PS6_SC_mNS0_19identity_decomposerENS1_16block_id_wrapperIjLb0EEEEE10hipError_tT1_PNSt15iterator_traitsISH_E10value_typeET2_T3_PNSI_ISN_E10value_typeET4_T5_PSS_ST_PNS1_23onesweep_lookback_stateEbbT6_jjT7_P12ihipStream_tbENKUlT_T0_SH_SM_E_clISA_SB_SC_SC_EEDaS10_S11_SH_SM_EUlS10_E_NS1_11comp_targetILNS1_3genE3ELNS1_11target_archE908ELNS1_3gpuE7ELNS1_3repE0EEENS1_47radix_sort_onesweep_sort_config_static_selectorELNS0_4arch9wavefront6targetE0EEEvSH_,"axG",@progbits,_ZN7rocprim17ROCPRIM_400000_NS6detail17trampoline_kernelINS0_14default_configENS1_35radix_sort_onesweep_config_selectorI12hip_bfloat16NS0_10empty_typeEEEZZNS1_29radix_sort_onesweep_iterationIS3_Lb0EPKS5_PS5_PS6_SC_mNS0_19identity_decomposerENS1_16block_id_wrapperIjLb0EEEEE10hipError_tT1_PNSt15iterator_traitsISH_E10value_typeET2_T3_PNSI_ISN_E10value_typeET4_T5_PSS_ST_PNS1_23onesweep_lookback_stateEbbT6_jjT7_P12ihipStream_tbENKUlT_T0_SH_SM_E_clISA_SB_SC_SC_EEDaS10_S11_SH_SM_EUlS10_E_NS1_11comp_targetILNS1_3genE3ELNS1_11target_archE908ELNS1_3gpuE7ELNS1_3repE0EEENS1_47radix_sort_onesweep_sort_config_static_selectorELNS0_4arch9wavefront6targetE0EEEvSH_,comdat
	.protected	_ZN7rocprim17ROCPRIM_400000_NS6detail17trampoline_kernelINS0_14default_configENS1_35radix_sort_onesweep_config_selectorI12hip_bfloat16NS0_10empty_typeEEEZZNS1_29radix_sort_onesweep_iterationIS3_Lb0EPKS5_PS5_PS6_SC_mNS0_19identity_decomposerENS1_16block_id_wrapperIjLb0EEEEE10hipError_tT1_PNSt15iterator_traitsISH_E10value_typeET2_T3_PNSI_ISN_E10value_typeET4_T5_PSS_ST_PNS1_23onesweep_lookback_stateEbbT6_jjT7_P12ihipStream_tbENKUlT_T0_SH_SM_E_clISA_SB_SC_SC_EEDaS10_S11_SH_SM_EUlS10_E_NS1_11comp_targetILNS1_3genE3ELNS1_11target_archE908ELNS1_3gpuE7ELNS1_3repE0EEENS1_47radix_sort_onesweep_sort_config_static_selectorELNS0_4arch9wavefront6targetE0EEEvSH_ ; -- Begin function _ZN7rocprim17ROCPRIM_400000_NS6detail17trampoline_kernelINS0_14default_configENS1_35radix_sort_onesweep_config_selectorI12hip_bfloat16NS0_10empty_typeEEEZZNS1_29radix_sort_onesweep_iterationIS3_Lb0EPKS5_PS5_PS6_SC_mNS0_19identity_decomposerENS1_16block_id_wrapperIjLb0EEEEE10hipError_tT1_PNSt15iterator_traitsISH_E10value_typeET2_T3_PNSI_ISN_E10value_typeET4_T5_PSS_ST_PNS1_23onesweep_lookback_stateEbbT6_jjT7_P12ihipStream_tbENKUlT_T0_SH_SM_E_clISA_SB_SC_SC_EEDaS10_S11_SH_SM_EUlS10_E_NS1_11comp_targetILNS1_3genE3ELNS1_11target_archE908ELNS1_3gpuE7ELNS1_3repE0EEENS1_47radix_sort_onesweep_sort_config_static_selectorELNS0_4arch9wavefront6targetE0EEEvSH_
	.globl	_ZN7rocprim17ROCPRIM_400000_NS6detail17trampoline_kernelINS0_14default_configENS1_35radix_sort_onesweep_config_selectorI12hip_bfloat16NS0_10empty_typeEEEZZNS1_29radix_sort_onesweep_iterationIS3_Lb0EPKS5_PS5_PS6_SC_mNS0_19identity_decomposerENS1_16block_id_wrapperIjLb0EEEEE10hipError_tT1_PNSt15iterator_traitsISH_E10value_typeET2_T3_PNSI_ISN_E10value_typeET4_T5_PSS_ST_PNS1_23onesweep_lookback_stateEbbT6_jjT7_P12ihipStream_tbENKUlT_T0_SH_SM_E_clISA_SB_SC_SC_EEDaS10_S11_SH_SM_EUlS10_E_NS1_11comp_targetILNS1_3genE3ELNS1_11target_archE908ELNS1_3gpuE7ELNS1_3repE0EEENS1_47radix_sort_onesweep_sort_config_static_selectorELNS0_4arch9wavefront6targetE0EEEvSH_
	.p2align	8
	.type	_ZN7rocprim17ROCPRIM_400000_NS6detail17trampoline_kernelINS0_14default_configENS1_35radix_sort_onesweep_config_selectorI12hip_bfloat16NS0_10empty_typeEEEZZNS1_29radix_sort_onesweep_iterationIS3_Lb0EPKS5_PS5_PS6_SC_mNS0_19identity_decomposerENS1_16block_id_wrapperIjLb0EEEEE10hipError_tT1_PNSt15iterator_traitsISH_E10value_typeET2_T3_PNSI_ISN_E10value_typeET4_T5_PSS_ST_PNS1_23onesweep_lookback_stateEbbT6_jjT7_P12ihipStream_tbENKUlT_T0_SH_SM_E_clISA_SB_SC_SC_EEDaS10_S11_SH_SM_EUlS10_E_NS1_11comp_targetILNS1_3genE3ELNS1_11target_archE908ELNS1_3gpuE7ELNS1_3repE0EEENS1_47radix_sort_onesweep_sort_config_static_selectorELNS0_4arch9wavefront6targetE0EEEvSH_,@function
_ZN7rocprim17ROCPRIM_400000_NS6detail17trampoline_kernelINS0_14default_configENS1_35radix_sort_onesweep_config_selectorI12hip_bfloat16NS0_10empty_typeEEEZZNS1_29radix_sort_onesweep_iterationIS3_Lb0EPKS5_PS5_PS6_SC_mNS0_19identity_decomposerENS1_16block_id_wrapperIjLb0EEEEE10hipError_tT1_PNSt15iterator_traitsISH_E10value_typeET2_T3_PNSI_ISN_E10value_typeET4_T5_PSS_ST_PNS1_23onesweep_lookback_stateEbbT6_jjT7_P12ihipStream_tbENKUlT_T0_SH_SM_E_clISA_SB_SC_SC_EEDaS10_S11_SH_SM_EUlS10_E_NS1_11comp_targetILNS1_3genE3ELNS1_11target_archE908ELNS1_3gpuE7ELNS1_3repE0EEENS1_47radix_sort_onesweep_sort_config_static_selectorELNS0_4arch9wavefront6targetE0EEEvSH_: ; @_ZN7rocprim17ROCPRIM_400000_NS6detail17trampoline_kernelINS0_14default_configENS1_35radix_sort_onesweep_config_selectorI12hip_bfloat16NS0_10empty_typeEEEZZNS1_29radix_sort_onesweep_iterationIS3_Lb0EPKS5_PS5_PS6_SC_mNS0_19identity_decomposerENS1_16block_id_wrapperIjLb0EEEEE10hipError_tT1_PNSt15iterator_traitsISH_E10value_typeET2_T3_PNSI_ISN_E10value_typeET4_T5_PSS_ST_PNS1_23onesweep_lookback_stateEbbT6_jjT7_P12ihipStream_tbENKUlT_T0_SH_SM_E_clISA_SB_SC_SC_EEDaS10_S11_SH_SM_EUlS10_E_NS1_11comp_targetILNS1_3genE3ELNS1_11target_archE908ELNS1_3gpuE7ELNS1_3repE0EEENS1_47radix_sort_onesweep_sort_config_static_selectorELNS0_4arch9wavefront6targetE0EEEvSH_
; %bb.0:
	.section	.rodata,"a",@progbits
	.p2align	6, 0x0
	.amdhsa_kernel _ZN7rocprim17ROCPRIM_400000_NS6detail17trampoline_kernelINS0_14default_configENS1_35radix_sort_onesweep_config_selectorI12hip_bfloat16NS0_10empty_typeEEEZZNS1_29radix_sort_onesweep_iterationIS3_Lb0EPKS5_PS5_PS6_SC_mNS0_19identity_decomposerENS1_16block_id_wrapperIjLb0EEEEE10hipError_tT1_PNSt15iterator_traitsISH_E10value_typeET2_T3_PNSI_ISN_E10value_typeET4_T5_PSS_ST_PNS1_23onesweep_lookback_stateEbbT6_jjT7_P12ihipStream_tbENKUlT_T0_SH_SM_E_clISA_SB_SC_SC_EEDaS10_S11_SH_SM_EUlS10_E_NS1_11comp_targetILNS1_3genE3ELNS1_11target_archE908ELNS1_3gpuE7ELNS1_3repE0EEENS1_47radix_sort_onesweep_sort_config_static_selectorELNS0_4arch9wavefront6targetE0EEEvSH_
		.amdhsa_group_segment_fixed_size 0
		.amdhsa_private_segment_fixed_size 0
		.amdhsa_kernarg_size 88
		.amdhsa_user_sgpr_count 2
		.amdhsa_user_sgpr_dispatch_ptr 0
		.amdhsa_user_sgpr_queue_ptr 0
		.amdhsa_user_sgpr_kernarg_segment_ptr 1
		.amdhsa_user_sgpr_dispatch_id 0
		.amdhsa_user_sgpr_kernarg_preload_length 0
		.amdhsa_user_sgpr_kernarg_preload_offset 0
		.amdhsa_user_sgpr_private_segment_size 0
		.amdhsa_wavefront_size32 1
		.amdhsa_uses_dynamic_stack 0
		.amdhsa_enable_private_segment 0
		.amdhsa_system_sgpr_workgroup_id_x 1
		.amdhsa_system_sgpr_workgroup_id_y 0
		.amdhsa_system_sgpr_workgroup_id_z 0
		.amdhsa_system_sgpr_workgroup_info 0
		.amdhsa_system_vgpr_workitem_id 0
		.amdhsa_next_free_vgpr 1
		.amdhsa_next_free_sgpr 1
		.amdhsa_named_barrier_count 0
		.amdhsa_reserve_vcc 0
		.amdhsa_float_round_mode_32 0
		.amdhsa_float_round_mode_16_64 0
		.amdhsa_float_denorm_mode_32 3
		.amdhsa_float_denorm_mode_16_64 3
		.amdhsa_fp16_overflow 0
		.amdhsa_memory_ordered 1
		.amdhsa_forward_progress 1
		.amdhsa_inst_pref_size 0
		.amdhsa_round_robin_scheduling 0
		.amdhsa_exception_fp_ieee_invalid_op 0
		.amdhsa_exception_fp_denorm_src 0
		.amdhsa_exception_fp_ieee_div_zero 0
		.amdhsa_exception_fp_ieee_overflow 0
		.amdhsa_exception_fp_ieee_underflow 0
		.amdhsa_exception_fp_ieee_inexact 0
		.amdhsa_exception_int_div_zero 0
	.end_amdhsa_kernel
	.section	.text._ZN7rocprim17ROCPRIM_400000_NS6detail17trampoline_kernelINS0_14default_configENS1_35radix_sort_onesweep_config_selectorI12hip_bfloat16NS0_10empty_typeEEEZZNS1_29radix_sort_onesweep_iterationIS3_Lb0EPKS5_PS5_PS6_SC_mNS0_19identity_decomposerENS1_16block_id_wrapperIjLb0EEEEE10hipError_tT1_PNSt15iterator_traitsISH_E10value_typeET2_T3_PNSI_ISN_E10value_typeET4_T5_PSS_ST_PNS1_23onesweep_lookback_stateEbbT6_jjT7_P12ihipStream_tbENKUlT_T0_SH_SM_E_clISA_SB_SC_SC_EEDaS10_S11_SH_SM_EUlS10_E_NS1_11comp_targetILNS1_3genE3ELNS1_11target_archE908ELNS1_3gpuE7ELNS1_3repE0EEENS1_47radix_sort_onesweep_sort_config_static_selectorELNS0_4arch9wavefront6targetE0EEEvSH_,"axG",@progbits,_ZN7rocprim17ROCPRIM_400000_NS6detail17trampoline_kernelINS0_14default_configENS1_35radix_sort_onesweep_config_selectorI12hip_bfloat16NS0_10empty_typeEEEZZNS1_29radix_sort_onesweep_iterationIS3_Lb0EPKS5_PS5_PS6_SC_mNS0_19identity_decomposerENS1_16block_id_wrapperIjLb0EEEEE10hipError_tT1_PNSt15iterator_traitsISH_E10value_typeET2_T3_PNSI_ISN_E10value_typeET4_T5_PSS_ST_PNS1_23onesweep_lookback_stateEbbT6_jjT7_P12ihipStream_tbENKUlT_T0_SH_SM_E_clISA_SB_SC_SC_EEDaS10_S11_SH_SM_EUlS10_E_NS1_11comp_targetILNS1_3genE3ELNS1_11target_archE908ELNS1_3gpuE7ELNS1_3repE0EEENS1_47radix_sort_onesweep_sort_config_static_selectorELNS0_4arch9wavefront6targetE0EEEvSH_,comdat
.Lfunc_end2074:
	.size	_ZN7rocprim17ROCPRIM_400000_NS6detail17trampoline_kernelINS0_14default_configENS1_35radix_sort_onesweep_config_selectorI12hip_bfloat16NS0_10empty_typeEEEZZNS1_29radix_sort_onesweep_iterationIS3_Lb0EPKS5_PS5_PS6_SC_mNS0_19identity_decomposerENS1_16block_id_wrapperIjLb0EEEEE10hipError_tT1_PNSt15iterator_traitsISH_E10value_typeET2_T3_PNSI_ISN_E10value_typeET4_T5_PSS_ST_PNS1_23onesweep_lookback_stateEbbT6_jjT7_P12ihipStream_tbENKUlT_T0_SH_SM_E_clISA_SB_SC_SC_EEDaS10_S11_SH_SM_EUlS10_E_NS1_11comp_targetILNS1_3genE3ELNS1_11target_archE908ELNS1_3gpuE7ELNS1_3repE0EEENS1_47radix_sort_onesweep_sort_config_static_selectorELNS0_4arch9wavefront6targetE0EEEvSH_, .Lfunc_end2074-_ZN7rocprim17ROCPRIM_400000_NS6detail17trampoline_kernelINS0_14default_configENS1_35radix_sort_onesweep_config_selectorI12hip_bfloat16NS0_10empty_typeEEEZZNS1_29radix_sort_onesweep_iterationIS3_Lb0EPKS5_PS5_PS6_SC_mNS0_19identity_decomposerENS1_16block_id_wrapperIjLb0EEEEE10hipError_tT1_PNSt15iterator_traitsISH_E10value_typeET2_T3_PNSI_ISN_E10value_typeET4_T5_PSS_ST_PNS1_23onesweep_lookback_stateEbbT6_jjT7_P12ihipStream_tbENKUlT_T0_SH_SM_E_clISA_SB_SC_SC_EEDaS10_S11_SH_SM_EUlS10_E_NS1_11comp_targetILNS1_3genE3ELNS1_11target_archE908ELNS1_3gpuE7ELNS1_3repE0EEENS1_47radix_sort_onesweep_sort_config_static_selectorELNS0_4arch9wavefront6targetE0EEEvSH_
                                        ; -- End function
	.set _ZN7rocprim17ROCPRIM_400000_NS6detail17trampoline_kernelINS0_14default_configENS1_35radix_sort_onesweep_config_selectorI12hip_bfloat16NS0_10empty_typeEEEZZNS1_29radix_sort_onesweep_iterationIS3_Lb0EPKS5_PS5_PS6_SC_mNS0_19identity_decomposerENS1_16block_id_wrapperIjLb0EEEEE10hipError_tT1_PNSt15iterator_traitsISH_E10value_typeET2_T3_PNSI_ISN_E10value_typeET4_T5_PSS_ST_PNS1_23onesweep_lookback_stateEbbT6_jjT7_P12ihipStream_tbENKUlT_T0_SH_SM_E_clISA_SB_SC_SC_EEDaS10_S11_SH_SM_EUlS10_E_NS1_11comp_targetILNS1_3genE3ELNS1_11target_archE908ELNS1_3gpuE7ELNS1_3repE0EEENS1_47radix_sort_onesweep_sort_config_static_selectorELNS0_4arch9wavefront6targetE0EEEvSH_.num_vgpr, 0
	.set _ZN7rocprim17ROCPRIM_400000_NS6detail17trampoline_kernelINS0_14default_configENS1_35radix_sort_onesweep_config_selectorI12hip_bfloat16NS0_10empty_typeEEEZZNS1_29radix_sort_onesweep_iterationIS3_Lb0EPKS5_PS5_PS6_SC_mNS0_19identity_decomposerENS1_16block_id_wrapperIjLb0EEEEE10hipError_tT1_PNSt15iterator_traitsISH_E10value_typeET2_T3_PNSI_ISN_E10value_typeET4_T5_PSS_ST_PNS1_23onesweep_lookback_stateEbbT6_jjT7_P12ihipStream_tbENKUlT_T0_SH_SM_E_clISA_SB_SC_SC_EEDaS10_S11_SH_SM_EUlS10_E_NS1_11comp_targetILNS1_3genE3ELNS1_11target_archE908ELNS1_3gpuE7ELNS1_3repE0EEENS1_47radix_sort_onesweep_sort_config_static_selectorELNS0_4arch9wavefront6targetE0EEEvSH_.num_agpr, 0
	.set _ZN7rocprim17ROCPRIM_400000_NS6detail17trampoline_kernelINS0_14default_configENS1_35radix_sort_onesweep_config_selectorI12hip_bfloat16NS0_10empty_typeEEEZZNS1_29radix_sort_onesweep_iterationIS3_Lb0EPKS5_PS5_PS6_SC_mNS0_19identity_decomposerENS1_16block_id_wrapperIjLb0EEEEE10hipError_tT1_PNSt15iterator_traitsISH_E10value_typeET2_T3_PNSI_ISN_E10value_typeET4_T5_PSS_ST_PNS1_23onesweep_lookback_stateEbbT6_jjT7_P12ihipStream_tbENKUlT_T0_SH_SM_E_clISA_SB_SC_SC_EEDaS10_S11_SH_SM_EUlS10_E_NS1_11comp_targetILNS1_3genE3ELNS1_11target_archE908ELNS1_3gpuE7ELNS1_3repE0EEENS1_47radix_sort_onesweep_sort_config_static_selectorELNS0_4arch9wavefront6targetE0EEEvSH_.numbered_sgpr, 0
	.set _ZN7rocprim17ROCPRIM_400000_NS6detail17trampoline_kernelINS0_14default_configENS1_35radix_sort_onesweep_config_selectorI12hip_bfloat16NS0_10empty_typeEEEZZNS1_29radix_sort_onesweep_iterationIS3_Lb0EPKS5_PS5_PS6_SC_mNS0_19identity_decomposerENS1_16block_id_wrapperIjLb0EEEEE10hipError_tT1_PNSt15iterator_traitsISH_E10value_typeET2_T3_PNSI_ISN_E10value_typeET4_T5_PSS_ST_PNS1_23onesweep_lookback_stateEbbT6_jjT7_P12ihipStream_tbENKUlT_T0_SH_SM_E_clISA_SB_SC_SC_EEDaS10_S11_SH_SM_EUlS10_E_NS1_11comp_targetILNS1_3genE3ELNS1_11target_archE908ELNS1_3gpuE7ELNS1_3repE0EEENS1_47radix_sort_onesweep_sort_config_static_selectorELNS0_4arch9wavefront6targetE0EEEvSH_.num_named_barrier, 0
	.set _ZN7rocprim17ROCPRIM_400000_NS6detail17trampoline_kernelINS0_14default_configENS1_35radix_sort_onesweep_config_selectorI12hip_bfloat16NS0_10empty_typeEEEZZNS1_29radix_sort_onesweep_iterationIS3_Lb0EPKS5_PS5_PS6_SC_mNS0_19identity_decomposerENS1_16block_id_wrapperIjLb0EEEEE10hipError_tT1_PNSt15iterator_traitsISH_E10value_typeET2_T3_PNSI_ISN_E10value_typeET4_T5_PSS_ST_PNS1_23onesweep_lookback_stateEbbT6_jjT7_P12ihipStream_tbENKUlT_T0_SH_SM_E_clISA_SB_SC_SC_EEDaS10_S11_SH_SM_EUlS10_E_NS1_11comp_targetILNS1_3genE3ELNS1_11target_archE908ELNS1_3gpuE7ELNS1_3repE0EEENS1_47radix_sort_onesweep_sort_config_static_selectorELNS0_4arch9wavefront6targetE0EEEvSH_.private_seg_size, 0
	.set _ZN7rocprim17ROCPRIM_400000_NS6detail17trampoline_kernelINS0_14default_configENS1_35radix_sort_onesweep_config_selectorI12hip_bfloat16NS0_10empty_typeEEEZZNS1_29radix_sort_onesweep_iterationIS3_Lb0EPKS5_PS5_PS6_SC_mNS0_19identity_decomposerENS1_16block_id_wrapperIjLb0EEEEE10hipError_tT1_PNSt15iterator_traitsISH_E10value_typeET2_T3_PNSI_ISN_E10value_typeET4_T5_PSS_ST_PNS1_23onesweep_lookback_stateEbbT6_jjT7_P12ihipStream_tbENKUlT_T0_SH_SM_E_clISA_SB_SC_SC_EEDaS10_S11_SH_SM_EUlS10_E_NS1_11comp_targetILNS1_3genE3ELNS1_11target_archE908ELNS1_3gpuE7ELNS1_3repE0EEENS1_47radix_sort_onesweep_sort_config_static_selectorELNS0_4arch9wavefront6targetE0EEEvSH_.uses_vcc, 0
	.set _ZN7rocprim17ROCPRIM_400000_NS6detail17trampoline_kernelINS0_14default_configENS1_35radix_sort_onesweep_config_selectorI12hip_bfloat16NS0_10empty_typeEEEZZNS1_29radix_sort_onesweep_iterationIS3_Lb0EPKS5_PS5_PS6_SC_mNS0_19identity_decomposerENS1_16block_id_wrapperIjLb0EEEEE10hipError_tT1_PNSt15iterator_traitsISH_E10value_typeET2_T3_PNSI_ISN_E10value_typeET4_T5_PSS_ST_PNS1_23onesweep_lookback_stateEbbT6_jjT7_P12ihipStream_tbENKUlT_T0_SH_SM_E_clISA_SB_SC_SC_EEDaS10_S11_SH_SM_EUlS10_E_NS1_11comp_targetILNS1_3genE3ELNS1_11target_archE908ELNS1_3gpuE7ELNS1_3repE0EEENS1_47radix_sort_onesweep_sort_config_static_selectorELNS0_4arch9wavefront6targetE0EEEvSH_.uses_flat_scratch, 0
	.set _ZN7rocprim17ROCPRIM_400000_NS6detail17trampoline_kernelINS0_14default_configENS1_35radix_sort_onesweep_config_selectorI12hip_bfloat16NS0_10empty_typeEEEZZNS1_29radix_sort_onesweep_iterationIS3_Lb0EPKS5_PS5_PS6_SC_mNS0_19identity_decomposerENS1_16block_id_wrapperIjLb0EEEEE10hipError_tT1_PNSt15iterator_traitsISH_E10value_typeET2_T3_PNSI_ISN_E10value_typeET4_T5_PSS_ST_PNS1_23onesweep_lookback_stateEbbT6_jjT7_P12ihipStream_tbENKUlT_T0_SH_SM_E_clISA_SB_SC_SC_EEDaS10_S11_SH_SM_EUlS10_E_NS1_11comp_targetILNS1_3genE3ELNS1_11target_archE908ELNS1_3gpuE7ELNS1_3repE0EEENS1_47radix_sort_onesweep_sort_config_static_selectorELNS0_4arch9wavefront6targetE0EEEvSH_.has_dyn_sized_stack, 0
	.set _ZN7rocprim17ROCPRIM_400000_NS6detail17trampoline_kernelINS0_14default_configENS1_35radix_sort_onesweep_config_selectorI12hip_bfloat16NS0_10empty_typeEEEZZNS1_29radix_sort_onesweep_iterationIS3_Lb0EPKS5_PS5_PS6_SC_mNS0_19identity_decomposerENS1_16block_id_wrapperIjLb0EEEEE10hipError_tT1_PNSt15iterator_traitsISH_E10value_typeET2_T3_PNSI_ISN_E10value_typeET4_T5_PSS_ST_PNS1_23onesweep_lookback_stateEbbT6_jjT7_P12ihipStream_tbENKUlT_T0_SH_SM_E_clISA_SB_SC_SC_EEDaS10_S11_SH_SM_EUlS10_E_NS1_11comp_targetILNS1_3genE3ELNS1_11target_archE908ELNS1_3gpuE7ELNS1_3repE0EEENS1_47radix_sort_onesweep_sort_config_static_selectorELNS0_4arch9wavefront6targetE0EEEvSH_.has_recursion, 0
	.set _ZN7rocprim17ROCPRIM_400000_NS6detail17trampoline_kernelINS0_14default_configENS1_35radix_sort_onesweep_config_selectorI12hip_bfloat16NS0_10empty_typeEEEZZNS1_29radix_sort_onesweep_iterationIS3_Lb0EPKS5_PS5_PS6_SC_mNS0_19identity_decomposerENS1_16block_id_wrapperIjLb0EEEEE10hipError_tT1_PNSt15iterator_traitsISH_E10value_typeET2_T3_PNSI_ISN_E10value_typeET4_T5_PSS_ST_PNS1_23onesweep_lookback_stateEbbT6_jjT7_P12ihipStream_tbENKUlT_T0_SH_SM_E_clISA_SB_SC_SC_EEDaS10_S11_SH_SM_EUlS10_E_NS1_11comp_targetILNS1_3genE3ELNS1_11target_archE908ELNS1_3gpuE7ELNS1_3repE0EEENS1_47radix_sort_onesweep_sort_config_static_selectorELNS0_4arch9wavefront6targetE0EEEvSH_.has_indirect_call, 0
	.section	.AMDGPU.csdata,"",@progbits
; Kernel info:
; codeLenInByte = 0
; TotalNumSgprs: 0
; NumVgprs: 0
; ScratchSize: 0
; MemoryBound: 0
; FloatMode: 240
; IeeeMode: 1
; LDSByteSize: 0 bytes/workgroup (compile time only)
; SGPRBlocks: 0
; VGPRBlocks: 0
; NumSGPRsForWavesPerEU: 1
; NumVGPRsForWavesPerEU: 1
; NamedBarCnt: 0
; Occupancy: 16
; WaveLimiterHint : 0
; COMPUTE_PGM_RSRC2:SCRATCH_EN: 0
; COMPUTE_PGM_RSRC2:USER_SGPR: 2
; COMPUTE_PGM_RSRC2:TRAP_HANDLER: 0
; COMPUTE_PGM_RSRC2:TGID_X_EN: 1
; COMPUTE_PGM_RSRC2:TGID_Y_EN: 0
; COMPUTE_PGM_RSRC2:TGID_Z_EN: 0
; COMPUTE_PGM_RSRC2:TIDIG_COMP_CNT: 0
	.section	.text._ZN7rocprim17ROCPRIM_400000_NS6detail17trampoline_kernelINS0_14default_configENS1_35radix_sort_onesweep_config_selectorI12hip_bfloat16NS0_10empty_typeEEEZZNS1_29radix_sort_onesweep_iterationIS3_Lb0EPKS5_PS5_PS6_SC_mNS0_19identity_decomposerENS1_16block_id_wrapperIjLb0EEEEE10hipError_tT1_PNSt15iterator_traitsISH_E10value_typeET2_T3_PNSI_ISN_E10value_typeET4_T5_PSS_ST_PNS1_23onesweep_lookback_stateEbbT6_jjT7_P12ihipStream_tbENKUlT_T0_SH_SM_E_clISA_SB_SC_SC_EEDaS10_S11_SH_SM_EUlS10_E_NS1_11comp_targetILNS1_3genE10ELNS1_11target_archE1201ELNS1_3gpuE5ELNS1_3repE0EEENS1_47radix_sort_onesweep_sort_config_static_selectorELNS0_4arch9wavefront6targetE0EEEvSH_,"axG",@progbits,_ZN7rocprim17ROCPRIM_400000_NS6detail17trampoline_kernelINS0_14default_configENS1_35radix_sort_onesweep_config_selectorI12hip_bfloat16NS0_10empty_typeEEEZZNS1_29radix_sort_onesweep_iterationIS3_Lb0EPKS5_PS5_PS6_SC_mNS0_19identity_decomposerENS1_16block_id_wrapperIjLb0EEEEE10hipError_tT1_PNSt15iterator_traitsISH_E10value_typeET2_T3_PNSI_ISN_E10value_typeET4_T5_PSS_ST_PNS1_23onesweep_lookback_stateEbbT6_jjT7_P12ihipStream_tbENKUlT_T0_SH_SM_E_clISA_SB_SC_SC_EEDaS10_S11_SH_SM_EUlS10_E_NS1_11comp_targetILNS1_3genE10ELNS1_11target_archE1201ELNS1_3gpuE5ELNS1_3repE0EEENS1_47radix_sort_onesweep_sort_config_static_selectorELNS0_4arch9wavefront6targetE0EEEvSH_,comdat
	.protected	_ZN7rocprim17ROCPRIM_400000_NS6detail17trampoline_kernelINS0_14default_configENS1_35radix_sort_onesweep_config_selectorI12hip_bfloat16NS0_10empty_typeEEEZZNS1_29radix_sort_onesweep_iterationIS3_Lb0EPKS5_PS5_PS6_SC_mNS0_19identity_decomposerENS1_16block_id_wrapperIjLb0EEEEE10hipError_tT1_PNSt15iterator_traitsISH_E10value_typeET2_T3_PNSI_ISN_E10value_typeET4_T5_PSS_ST_PNS1_23onesweep_lookback_stateEbbT6_jjT7_P12ihipStream_tbENKUlT_T0_SH_SM_E_clISA_SB_SC_SC_EEDaS10_S11_SH_SM_EUlS10_E_NS1_11comp_targetILNS1_3genE10ELNS1_11target_archE1201ELNS1_3gpuE5ELNS1_3repE0EEENS1_47radix_sort_onesweep_sort_config_static_selectorELNS0_4arch9wavefront6targetE0EEEvSH_ ; -- Begin function _ZN7rocprim17ROCPRIM_400000_NS6detail17trampoline_kernelINS0_14default_configENS1_35radix_sort_onesweep_config_selectorI12hip_bfloat16NS0_10empty_typeEEEZZNS1_29radix_sort_onesweep_iterationIS3_Lb0EPKS5_PS5_PS6_SC_mNS0_19identity_decomposerENS1_16block_id_wrapperIjLb0EEEEE10hipError_tT1_PNSt15iterator_traitsISH_E10value_typeET2_T3_PNSI_ISN_E10value_typeET4_T5_PSS_ST_PNS1_23onesweep_lookback_stateEbbT6_jjT7_P12ihipStream_tbENKUlT_T0_SH_SM_E_clISA_SB_SC_SC_EEDaS10_S11_SH_SM_EUlS10_E_NS1_11comp_targetILNS1_3genE10ELNS1_11target_archE1201ELNS1_3gpuE5ELNS1_3repE0EEENS1_47radix_sort_onesweep_sort_config_static_selectorELNS0_4arch9wavefront6targetE0EEEvSH_
	.globl	_ZN7rocprim17ROCPRIM_400000_NS6detail17trampoline_kernelINS0_14default_configENS1_35radix_sort_onesweep_config_selectorI12hip_bfloat16NS0_10empty_typeEEEZZNS1_29radix_sort_onesweep_iterationIS3_Lb0EPKS5_PS5_PS6_SC_mNS0_19identity_decomposerENS1_16block_id_wrapperIjLb0EEEEE10hipError_tT1_PNSt15iterator_traitsISH_E10value_typeET2_T3_PNSI_ISN_E10value_typeET4_T5_PSS_ST_PNS1_23onesweep_lookback_stateEbbT6_jjT7_P12ihipStream_tbENKUlT_T0_SH_SM_E_clISA_SB_SC_SC_EEDaS10_S11_SH_SM_EUlS10_E_NS1_11comp_targetILNS1_3genE10ELNS1_11target_archE1201ELNS1_3gpuE5ELNS1_3repE0EEENS1_47radix_sort_onesweep_sort_config_static_selectorELNS0_4arch9wavefront6targetE0EEEvSH_
	.p2align	8
	.type	_ZN7rocprim17ROCPRIM_400000_NS6detail17trampoline_kernelINS0_14default_configENS1_35radix_sort_onesweep_config_selectorI12hip_bfloat16NS0_10empty_typeEEEZZNS1_29radix_sort_onesweep_iterationIS3_Lb0EPKS5_PS5_PS6_SC_mNS0_19identity_decomposerENS1_16block_id_wrapperIjLb0EEEEE10hipError_tT1_PNSt15iterator_traitsISH_E10value_typeET2_T3_PNSI_ISN_E10value_typeET4_T5_PSS_ST_PNS1_23onesweep_lookback_stateEbbT6_jjT7_P12ihipStream_tbENKUlT_T0_SH_SM_E_clISA_SB_SC_SC_EEDaS10_S11_SH_SM_EUlS10_E_NS1_11comp_targetILNS1_3genE10ELNS1_11target_archE1201ELNS1_3gpuE5ELNS1_3repE0EEENS1_47radix_sort_onesweep_sort_config_static_selectorELNS0_4arch9wavefront6targetE0EEEvSH_,@function
_ZN7rocprim17ROCPRIM_400000_NS6detail17trampoline_kernelINS0_14default_configENS1_35radix_sort_onesweep_config_selectorI12hip_bfloat16NS0_10empty_typeEEEZZNS1_29radix_sort_onesweep_iterationIS3_Lb0EPKS5_PS5_PS6_SC_mNS0_19identity_decomposerENS1_16block_id_wrapperIjLb0EEEEE10hipError_tT1_PNSt15iterator_traitsISH_E10value_typeET2_T3_PNSI_ISN_E10value_typeET4_T5_PSS_ST_PNS1_23onesweep_lookback_stateEbbT6_jjT7_P12ihipStream_tbENKUlT_T0_SH_SM_E_clISA_SB_SC_SC_EEDaS10_S11_SH_SM_EUlS10_E_NS1_11comp_targetILNS1_3genE10ELNS1_11target_archE1201ELNS1_3gpuE5ELNS1_3repE0EEENS1_47radix_sort_onesweep_sort_config_static_selectorELNS0_4arch9wavefront6targetE0EEEvSH_: ; @_ZN7rocprim17ROCPRIM_400000_NS6detail17trampoline_kernelINS0_14default_configENS1_35radix_sort_onesweep_config_selectorI12hip_bfloat16NS0_10empty_typeEEEZZNS1_29radix_sort_onesweep_iterationIS3_Lb0EPKS5_PS5_PS6_SC_mNS0_19identity_decomposerENS1_16block_id_wrapperIjLb0EEEEE10hipError_tT1_PNSt15iterator_traitsISH_E10value_typeET2_T3_PNSI_ISN_E10value_typeET4_T5_PSS_ST_PNS1_23onesweep_lookback_stateEbbT6_jjT7_P12ihipStream_tbENKUlT_T0_SH_SM_E_clISA_SB_SC_SC_EEDaS10_S11_SH_SM_EUlS10_E_NS1_11comp_targetILNS1_3genE10ELNS1_11target_archE1201ELNS1_3gpuE5ELNS1_3repE0EEENS1_47radix_sort_onesweep_sort_config_static_selectorELNS0_4arch9wavefront6targetE0EEEvSH_
; %bb.0:
	.section	.rodata,"a",@progbits
	.p2align	6, 0x0
	.amdhsa_kernel _ZN7rocprim17ROCPRIM_400000_NS6detail17trampoline_kernelINS0_14default_configENS1_35radix_sort_onesweep_config_selectorI12hip_bfloat16NS0_10empty_typeEEEZZNS1_29radix_sort_onesweep_iterationIS3_Lb0EPKS5_PS5_PS6_SC_mNS0_19identity_decomposerENS1_16block_id_wrapperIjLb0EEEEE10hipError_tT1_PNSt15iterator_traitsISH_E10value_typeET2_T3_PNSI_ISN_E10value_typeET4_T5_PSS_ST_PNS1_23onesweep_lookback_stateEbbT6_jjT7_P12ihipStream_tbENKUlT_T0_SH_SM_E_clISA_SB_SC_SC_EEDaS10_S11_SH_SM_EUlS10_E_NS1_11comp_targetILNS1_3genE10ELNS1_11target_archE1201ELNS1_3gpuE5ELNS1_3repE0EEENS1_47radix_sort_onesweep_sort_config_static_selectorELNS0_4arch9wavefront6targetE0EEEvSH_
		.amdhsa_group_segment_fixed_size 0
		.amdhsa_private_segment_fixed_size 0
		.amdhsa_kernarg_size 88
		.amdhsa_user_sgpr_count 2
		.amdhsa_user_sgpr_dispatch_ptr 0
		.amdhsa_user_sgpr_queue_ptr 0
		.amdhsa_user_sgpr_kernarg_segment_ptr 1
		.amdhsa_user_sgpr_dispatch_id 0
		.amdhsa_user_sgpr_kernarg_preload_length 0
		.amdhsa_user_sgpr_kernarg_preload_offset 0
		.amdhsa_user_sgpr_private_segment_size 0
		.amdhsa_wavefront_size32 1
		.amdhsa_uses_dynamic_stack 0
		.amdhsa_enable_private_segment 0
		.amdhsa_system_sgpr_workgroup_id_x 1
		.amdhsa_system_sgpr_workgroup_id_y 0
		.amdhsa_system_sgpr_workgroup_id_z 0
		.amdhsa_system_sgpr_workgroup_info 0
		.amdhsa_system_vgpr_workitem_id 0
		.amdhsa_next_free_vgpr 1
		.amdhsa_next_free_sgpr 1
		.amdhsa_named_barrier_count 0
		.amdhsa_reserve_vcc 0
		.amdhsa_float_round_mode_32 0
		.amdhsa_float_round_mode_16_64 0
		.amdhsa_float_denorm_mode_32 3
		.amdhsa_float_denorm_mode_16_64 3
		.amdhsa_fp16_overflow 0
		.amdhsa_memory_ordered 1
		.amdhsa_forward_progress 1
		.amdhsa_inst_pref_size 0
		.amdhsa_round_robin_scheduling 0
		.amdhsa_exception_fp_ieee_invalid_op 0
		.amdhsa_exception_fp_denorm_src 0
		.amdhsa_exception_fp_ieee_div_zero 0
		.amdhsa_exception_fp_ieee_overflow 0
		.amdhsa_exception_fp_ieee_underflow 0
		.amdhsa_exception_fp_ieee_inexact 0
		.amdhsa_exception_int_div_zero 0
	.end_amdhsa_kernel
	.section	.text._ZN7rocprim17ROCPRIM_400000_NS6detail17trampoline_kernelINS0_14default_configENS1_35radix_sort_onesweep_config_selectorI12hip_bfloat16NS0_10empty_typeEEEZZNS1_29radix_sort_onesweep_iterationIS3_Lb0EPKS5_PS5_PS6_SC_mNS0_19identity_decomposerENS1_16block_id_wrapperIjLb0EEEEE10hipError_tT1_PNSt15iterator_traitsISH_E10value_typeET2_T3_PNSI_ISN_E10value_typeET4_T5_PSS_ST_PNS1_23onesweep_lookback_stateEbbT6_jjT7_P12ihipStream_tbENKUlT_T0_SH_SM_E_clISA_SB_SC_SC_EEDaS10_S11_SH_SM_EUlS10_E_NS1_11comp_targetILNS1_3genE10ELNS1_11target_archE1201ELNS1_3gpuE5ELNS1_3repE0EEENS1_47radix_sort_onesweep_sort_config_static_selectorELNS0_4arch9wavefront6targetE0EEEvSH_,"axG",@progbits,_ZN7rocprim17ROCPRIM_400000_NS6detail17trampoline_kernelINS0_14default_configENS1_35radix_sort_onesweep_config_selectorI12hip_bfloat16NS0_10empty_typeEEEZZNS1_29radix_sort_onesweep_iterationIS3_Lb0EPKS5_PS5_PS6_SC_mNS0_19identity_decomposerENS1_16block_id_wrapperIjLb0EEEEE10hipError_tT1_PNSt15iterator_traitsISH_E10value_typeET2_T3_PNSI_ISN_E10value_typeET4_T5_PSS_ST_PNS1_23onesweep_lookback_stateEbbT6_jjT7_P12ihipStream_tbENKUlT_T0_SH_SM_E_clISA_SB_SC_SC_EEDaS10_S11_SH_SM_EUlS10_E_NS1_11comp_targetILNS1_3genE10ELNS1_11target_archE1201ELNS1_3gpuE5ELNS1_3repE0EEENS1_47radix_sort_onesweep_sort_config_static_selectorELNS0_4arch9wavefront6targetE0EEEvSH_,comdat
.Lfunc_end2075:
	.size	_ZN7rocprim17ROCPRIM_400000_NS6detail17trampoline_kernelINS0_14default_configENS1_35radix_sort_onesweep_config_selectorI12hip_bfloat16NS0_10empty_typeEEEZZNS1_29radix_sort_onesweep_iterationIS3_Lb0EPKS5_PS5_PS6_SC_mNS0_19identity_decomposerENS1_16block_id_wrapperIjLb0EEEEE10hipError_tT1_PNSt15iterator_traitsISH_E10value_typeET2_T3_PNSI_ISN_E10value_typeET4_T5_PSS_ST_PNS1_23onesweep_lookback_stateEbbT6_jjT7_P12ihipStream_tbENKUlT_T0_SH_SM_E_clISA_SB_SC_SC_EEDaS10_S11_SH_SM_EUlS10_E_NS1_11comp_targetILNS1_3genE10ELNS1_11target_archE1201ELNS1_3gpuE5ELNS1_3repE0EEENS1_47radix_sort_onesweep_sort_config_static_selectorELNS0_4arch9wavefront6targetE0EEEvSH_, .Lfunc_end2075-_ZN7rocprim17ROCPRIM_400000_NS6detail17trampoline_kernelINS0_14default_configENS1_35radix_sort_onesweep_config_selectorI12hip_bfloat16NS0_10empty_typeEEEZZNS1_29radix_sort_onesweep_iterationIS3_Lb0EPKS5_PS5_PS6_SC_mNS0_19identity_decomposerENS1_16block_id_wrapperIjLb0EEEEE10hipError_tT1_PNSt15iterator_traitsISH_E10value_typeET2_T3_PNSI_ISN_E10value_typeET4_T5_PSS_ST_PNS1_23onesweep_lookback_stateEbbT6_jjT7_P12ihipStream_tbENKUlT_T0_SH_SM_E_clISA_SB_SC_SC_EEDaS10_S11_SH_SM_EUlS10_E_NS1_11comp_targetILNS1_3genE10ELNS1_11target_archE1201ELNS1_3gpuE5ELNS1_3repE0EEENS1_47radix_sort_onesweep_sort_config_static_selectorELNS0_4arch9wavefront6targetE0EEEvSH_
                                        ; -- End function
	.set _ZN7rocprim17ROCPRIM_400000_NS6detail17trampoline_kernelINS0_14default_configENS1_35radix_sort_onesweep_config_selectorI12hip_bfloat16NS0_10empty_typeEEEZZNS1_29radix_sort_onesweep_iterationIS3_Lb0EPKS5_PS5_PS6_SC_mNS0_19identity_decomposerENS1_16block_id_wrapperIjLb0EEEEE10hipError_tT1_PNSt15iterator_traitsISH_E10value_typeET2_T3_PNSI_ISN_E10value_typeET4_T5_PSS_ST_PNS1_23onesweep_lookback_stateEbbT6_jjT7_P12ihipStream_tbENKUlT_T0_SH_SM_E_clISA_SB_SC_SC_EEDaS10_S11_SH_SM_EUlS10_E_NS1_11comp_targetILNS1_3genE10ELNS1_11target_archE1201ELNS1_3gpuE5ELNS1_3repE0EEENS1_47radix_sort_onesweep_sort_config_static_selectorELNS0_4arch9wavefront6targetE0EEEvSH_.num_vgpr, 0
	.set _ZN7rocprim17ROCPRIM_400000_NS6detail17trampoline_kernelINS0_14default_configENS1_35radix_sort_onesweep_config_selectorI12hip_bfloat16NS0_10empty_typeEEEZZNS1_29radix_sort_onesweep_iterationIS3_Lb0EPKS5_PS5_PS6_SC_mNS0_19identity_decomposerENS1_16block_id_wrapperIjLb0EEEEE10hipError_tT1_PNSt15iterator_traitsISH_E10value_typeET2_T3_PNSI_ISN_E10value_typeET4_T5_PSS_ST_PNS1_23onesweep_lookback_stateEbbT6_jjT7_P12ihipStream_tbENKUlT_T0_SH_SM_E_clISA_SB_SC_SC_EEDaS10_S11_SH_SM_EUlS10_E_NS1_11comp_targetILNS1_3genE10ELNS1_11target_archE1201ELNS1_3gpuE5ELNS1_3repE0EEENS1_47radix_sort_onesweep_sort_config_static_selectorELNS0_4arch9wavefront6targetE0EEEvSH_.num_agpr, 0
	.set _ZN7rocprim17ROCPRIM_400000_NS6detail17trampoline_kernelINS0_14default_configENS1_35radix_sort_onesweep_config_selectorI12hip_bfloat16NS0_10empty_typeEEEZZNS1_29radix_sort_onesweep_iterationIS3_Lb0EPKS5_PS5_PS6_SC_mNS0_19identity_decomposerENS1_16block_id_wrapperIjLb0EEEEE10hipError_tT1_PNSt15iterator_traitsISH_E10value_typeET2_T3_PNSI_ISN_E10value_typeET4_T5_PSS_ST_PNS1_23onesweep_lookback_stateEbbT6_jjT7_P12ihipStream_tbENKUlT_T0_SH_SM_E_clISA_SB_SC_SC_EEDaS10_S11_SH_SM_EUlS10_E_NS1_11comp_targetILNS1_3genE10ELNS1_11target_archE1201ELNS1_3gpuE5ELNS1_3repE0EEENS1_47radix_sort_onesweep_sort_config_static_selectorELNS0_4arch9wavefront6targetE0EEEvSH_.numbered_sgpr, 0
	.set _ZN7rocprim17ROCPRIM_400000_NS6detail17trampoline_kernelINS0_14default_configENS1_35radix_sort_onesweep_config_selectorI12hip_bfloat16NS0_10empty_typeEEEZZNS1_29radix_sort_onesweep_iterationIS3_Lb0EPKS5_PS5_PS6_SC_mNS0_19identity_decomposerENS1_16block_id_wrapperIjLb0EEEEE10hipError_tT1_PNSt15iterator_traitsISH_E10value_typeET2_T3_PNSI_ISN_E10value_typeET4_T5_PSS_ST_PNS1_23onesweep_lookback_stateEbbT6_jjT7_P12ihipStream_tbENKUlT_T0_SH_SM_E_clISA_SB_SC_SC_EEDaS10_S11_SH_SM_EUlS10_E_NS1_11comp_targetILNS1_3genE10ELNS1_11target_archE1201ELNS1_3gpuE5ELNS1_3repE0EEENS1_47radix_sort_onesweep_sort_config_static_selectorELNS0_4arch9wavefront6targetE0EEEvSH_.num_named_barrier, 0
	.set _ZN7rocprim17ROCPRIM_400000_NS6detail17trampoline_kernelINS0_14default_configENS1_35radix_sort_onesweep_config_selectorI12hip_bfloat16NS0_10empty_typeEEEZZNS1_29radix_sort_onesweep_iterationIS3_Lb0EPKS5_PS5_PS6_SC_mNS0_19identity_decomposerENS1_16block_id_wrapperIjLb0EEEEE10hipError_tT1_PNSt15iterator_traitsISH_E10value_typeET2_T3_PNSI_ISN_E10value_typeET4_T5_PSS_ST_PNS1_23onesweep_lookback_stateEbbT6_jjT7_P12ihipStream_tbENKUlT_T0_SH_SM_E_clISA_SB_SC_SC_EEDaS10_S11_SH_SM_EUlS10_E_NS1_11comp_targetILNS1_3genE10ELNS1_11target_archE1201ELNS1_3gpuE5ELNS1_3repE0EEENS1_47radix_sort_onesweep_sort_config_static_selectorELNS0_4arch9wavefront6targetE0EEEvSH_.private_seg_size, 0
	.set _ZN7rocprim17ROCPRIM_400000_NS6detail17trampoline_kernelINS0_14default_configENS1_35radix_sort_onesweep_config_selectorI12hip_bfloat16NS0_10empty_typeEEEZZNS1_29radix_sort_onesweep_iterationIS3_Lb0EPKS5_PS5_PS6_SC_mNS0_19identity_decomposerENS1_16block_id_wrapperIjLb0EEEEE10hipError_tT1_PNSt15iterator_traitsISH_E10value_typeET2_T3_PNSI_ISN_E10value_typeET4_T5_PSS_ST_PNS1_23onesweep_lookback_stateEbbT6_jjT7_P12ihipStream_tbENKUlT_T0_SH_SM_E_clISA_SB_SC_SC_EEDaS10_S11_SH_SM_EUlS10_E_NS1_11comp_targetILNS1_3genE10ELNS1_11target_archE1201ELNS1_3gpuE5ELNS1_3repE0EEENS1_47radix_sort_onesweep_sort_config_static_selectorELNS0_4arch9wavefront6targetE0EEEvSH_.uses_vcc, 0
	.set _ZN7rocprim17ROCPRIM_400000_NS6detail17trampoline_kernelINS0_14default_configENS1_35radix_sort_onesweep_config_selectorI12hip_bfloat16NS0_10empty_typeEEEZZNS1_29radix_sort_onesweep_iterationIS3_Lb0EPKS5_PS5_PS6_SC_mNS0_19identity_decomposerENS1_16block_id_wrapperIjLb0EEEEE10hipError_tT1_PNSt15iterator_traitsISH_E10value_typeET2_T3_PNSI_ISN_E10value_typeET4_T5_PSS_ST_PNS1_23onesweep_lookback_stateEbbT6_jjT7_P12ihipStream_tbENKUlT_T0_SH_SM_E_clISA_SB_SC_SC_EEDaS10_S11_SH_SM_EUlS10_E_NS1_11comp_targetILNS1_3genE10ELNS1_11target_archE1201ELNS1_3gpuE5ELNS1_3repE0EEENS1_47radix_sort_onesweep_sort_config_static_selectorELNS0_4arch9wavefront6targetE0EEEvSH_.uses_flat_scratch, 0
	.set _ZN7rocprim17ROCPRIM_400000_NS6detail17trampoline_kernelINS0_14default_configENS1_35radix_sort_onesweep_config_selectorI12hip_bfloat16NS0_10empty_typeEEEZZNS1_29radix_sort_onesweep_iterationIS3_Lb0EPKS5_PS5_PS6_SC_mNS0_19identity_decomposerENS1_16block_id_wrapperIjLb0EEEEE10hipError_tT1_PNSt15iterator_traitsISH_E10value_typeET2_T3_PNSI_ISN_E10value_typeET4_T5_PSS_ST_PNS1_23onesweep_lookback_stateEbbT6_jjT7_P12ihipStream_tbENKUlT_T0_SH_SM_E_clISA_SB_SC_SC_EEDaS10_S11_SH_SM_EUlS10_E_NS1_11comp_targetILNS1_3genE10ELNS1_11target_archE1201ELNS1_3gpuE5ELNS1_3repE0EEENS1_47radix_sort_onesweep_sort_config_static_selectorELNS0_4arch9wavefront6targetE0EEEvSH_.has_dyn_sized_stack, 0
	.set _ZN7rocprim17ROCPRIM_400000_NS6detail17trampoline_kernelINS0_14default_configENS1_35radix_sort_onesweep_config_selectorI12hip_bfloat16NS0_10empty_typeEEEZZNS1_29radix_sort_onesweep_iterationIS3_Lb0EPKS5_PS5_PS6_SC_mNS0_19identity_decomposerENS1_16block_id_wrapperIjLb0EEEEE10hipError_tT1_PNSt15iterator_traitsISH_E10value_typeET2_T3_PNSI_ISN_E10value_typeET4_T5_PSS_ST_PNS1_23onesweep_lookback_stateEbbT6_jjT7_P12ihipStream_tbENKUlT_T0_SH_SM_E_clISA_SB_SC_SC_EEDaS10_S11_SH_SM_EUlS10_E_NS1_11comp_targetILNS1_3genE10ELNS1_11target_archE1201ELNS1_3gpuE5ELNS1_3repE0EEENS1_47radix_sort_onesweep_sort_config_static_selectorELNS0_4arch9wavefront6targetE0EEEvSH_.has_recursion, 0
	.set _ZN7rocprim17ROCPRIM_400000_NS6detail17trampoline_kernelINS0_14default_configENS1_35radix_sort_onesweep_config_selectorI12hip_bfloat16NS0_10empty_typeEEEZZNS1_29radix_sort_onesweep_iterationIS3_Lb0EPKS5_PS5_PS6_SC_mNS0_19identity_decomposerENS1_16block_id_wrapperIjLb0EEEEE10hipError_tT1_PNSt15iterator_traitsISH_E10value_typeET2_T3_PNSI_ISN_E10value_typeET4_T5_PSS_ST_PNS1_23onesweep_lookback_stateEbbT6_jjT7_P12ihipStream_tbENKUlT_T0_SH_SM_E_clISA_SB_SC_SC_EEDaS10_S11_SH_SM_EUlS10_E_NS1_11comp_targetILNS1_3genE10ELNS1_11target_archE1201ELNS1_3gpuE5ELNS1_3repE0EEENS1_47radix_sort_onesweep_sort_config_static_selectorELNS0_4arch9wavefront6targetE0EEEvSH_.has_indirect_call, 0
	.section	.AMDGPU.csdata,"",@progbits
; Kernel info:
; codeLenInByte = 0
; TotalNumSgprs: 0
; NumVgprs: 0
; ScratchSize: 0
; MemoryBound: 0
; FloatMode: 240
; IeeeMode: 1
; LDSByteSize: 0 bytes/workgroup (compile time only)
; SGPRBlocks: 0
; VGPRBlocks: 0
; NumSGPRsForWavesPerEU: 1
; NumVGPRsForWavesPerEU: 1
; NamedBarCnt: 0
; Occupancy: 16
; WaveLimiterHint : 0
; COMPUTE_PGM_RSRC2:SCRATCH_EN: 0
; COMPUTE_PGM_RSRC2:USER_SGPR: 2
; COMPUTE_PGM_RSRC2:TRAP_HANDLER: 0
; COMPUTE_PGM_RSRC2:TGID_X_EN: 1
; COMPUTE_PGM_RSRC2:TGID_Y_EN: 0
; COMPUTE_PGM_RSRC2:TGID_Z_EN: 0
; COMPUTE_PGM_RSRC2:TIDIG_COMP_CNT: 0
	.section	.text._ZN7rocprim17ROCPRIM_400000_NS6detail17trampoline_kernelINS0_14default_configENS1_35radix_sort_onesweep_config_selectorI12hip_bfloat16NS0_10empty_typeEEEZZNS1_29radix_sort_onesweep_iterationIS3_Lb0EPKS5_PS5_PS6_SC_mNS0_19identity_decomposerENS1_16block_id_wrapperIjLb0EEEEE10hipError_tT1_PNSt15iterator_traitsISH_E10value_typeET2_T3_PNSI_ISN_E10value_typeET4_T5_PSS_ST_PNS1_23onesweep_lookback_stateEbbT6_jjT7_P12ihipStream_tbENKUlT_T0_SH_SM_E_clISA_SB_SC_SC_EEDaS10_S11_SH_SM_EUlS10_E_NS1_11comp_targetILNS1_3genE9ELNS1_11target_archE1100ELNS1_3gpuE3ELNS1_3repE0EEENS1_47radix_sort_onesweep_sort_config_static_selectorELNS0_4arch9wavefront6targetE0EEEvSH_,"axG",@progbits,_ZN7rocprim17ROCPRIM_400000_NS6detail17trampoline_kernelINS0_14default_configENS1_35radix_sort_onesweep_config_selectorI12hip_bfloat16NS0_10empty_typeEEEZZNS1_29radix_sort_onesweep_iterationIS3_Lb0EPKS5_PS5_PS6_SC_mNS0_19identity_decomposerENS1_16block_id_wrapperIjLb0EEEEE10hipError_tT1_PNSt15iterator_traitsISH_E10value_typeET2_T3_PNSI_ISN_E10value_typeET4_T5_PSS_ST_PNS1_23onesweep_lookback_stateEbbT6_jjT7_P12ihipStream_tbENKUlT_T0_SH_SM_E_clISA_SB_SC_SC_EEDaS10_S11_SH_SM_EUlS10_E_NS1_11comp_targetILNS1_3genE9ELNS1_11target_archE1100ELNS1_3gpuE3ELNS1_3repE0EEENS1_47radix_sort_onesweep_sort_config_static_selectorELNS0_4arch9wavefront6targetE0EEEvSH_,comdat
	.protected	_ZN7rocprim17ROCPRIM_400000_NS6detail17trampoline_kernelINS0_14default_configENS1_35radix_sort_onesweep_config_selectorI12hip_bfloat16NS0_10empty_typeEEEZZNS1_29radix_sort_onesweep_iterationIS3_Lb0EPKS5_PS5_PS6_SC_mNS0_19identity_decomposerENS1_16block_id_wrapperIjLb0EEEEE10hipError_tT1_PNSt15iterator_traitsISH_E10value_typeET2_T3_PNSI_ISN_E10value_typeET4_T5_PSS_ST_PNS1_23onesweep_lookback_stateEbbT6_jjT7_P12ihipStream_tbENKUlT_T0_SH_SM_E_clISA_SB_SC_SC_EEDaS10_S11_SH_SM_EUlS10_E_NS1_11comp_targetILNS1_3genE9ELNS1_11target_archE1100ELNS1_3gpuE3ELNS1_3repE0EEENS1_47radix_sort_onesweep_sort_config_static_selectorELNS0_4arch9wavefront6targetE0EEEvSH_ ; -- Begin function _ZN7rocprim17ROCPRIM_400000_NS6detail17trampoline_kernelINS0_14default_configENS1_35radix_sort_onesweep_config_selectorI12hip_bfloat16NS0_10empty_typeEEEZZNS1_29radix_sort_onesweep_iterationIS3_Lb0EPKS5_PS5_PS6_SC_mNS0_19identity_decomposerENS1_16block_id_wrapperIjLb0EEEEE10hipError_tT1_PNSt15iterator_traitsISH_E10value_typeET2_T3_PNSI_ISN_E10value_typeET4_T5_PSS_ST_PNS1_23onesweep_lookback_stateEbbT6_jjT7_P12ihipStream_tbENKUlT_T0_SH_SM_E_clISA_SB_SC_SC_EEDaS10_S11_SH_SM_EUlS10_E_NS1_11comp_targetILNS1_3genE9ELNS1_11target_archE1100ELNS1_3gpuE3ELNS1_3repE0EEENS1_47radix_sort_onesweep_sort_config_static_selectorELNS0_4arch9wavefront6targetE0EEEvSH_
	.globl	_ZN7rocprim17ROCPRIM_400000_NS6detail17trampoline_kernelINS0_14default_configENS1_35radix_sort_onesweep_config_selectorI12hip_bfloat16NS0_10empty_typeEEEZZNS1_29radix_sort_onesweep_iterationIS3_Lb0EPKS5_PS5_PS6_SC_mNS0_19identity_decomposerENS1_16block_id_wrapperIjLb0EEEEE10hipError_tT1_PNSt15iterator_traitsISH_E10value_typeET2_T3_PNSI_ISN_E10value_typeET4_T5_PSS_ST_PNS1_23onesweep_lookback_stateEbbT6_jjT7_P12ihipStream_tbENKUlT_T0_SH_SM_E_clISA_SB_SC_SC_EEDaS10_S11_SH_SM_EUlS10_E_NS1_11comp_targetILNS1_3genE9ELNS1_11target_archE1100ELNS1_3gpuE3ELNS1_3repE0EEENS1_47radix_sort_onesweep_sort_config_static_selectorELNS0_4arch9wavefront6targetE0EEEvSH_
	.p2align	8
	.type	_ZN7rocprim17ROCPRIM_400000_NS6detail17trampoline_kernelINS0_14default_configENS1_35radix_sort_onesweep_config_selectorI12hip_bfloat16NS0_10empty_typeEEEZZNS1_29radix_sort_onesweep_iterationIS3_Lb0EPKS5_PS5_PS6_SC_mNS0_19identity_decomposerENS1_16block_id_wrapperIjLb0EEEEE10hipError_tT1_PNSt15iterator_traitsISH_E10value_typeET2_T3_PNSI_ISN_E10value_typeET4_T5_PSS_ST_PNS1_23onesweep_lookback_stateEbbT6_jjT7_P12ihipStream_tbENKUlT_T0_SH_SM_E_clISA_SB_SC_SC_EEDaS10_S11_SH_SM_EUlS10_E_NS1_11comp_targetILNS1_3genE9ELNS1_11target_archE1100ELNS1_3gpuE3ELNS1_3repE0EEENS1_47radix_sort_onesweep_sort_config_static_selectorELNS0_4arch9wavefront6targetE0EEEvSH_,@function
_ZN7rocprim17ROCPRIM_400000_NS6detail17trampoline_kernelINS0_14default_configENS1_35radix_sort_onesweep_config_selectorI12hip_bfloat16NS0_10empty_typeEEEZZNS1_29radix_sort_onesweep_iterationIS3_Lb0EPKS5_PS5_PS6_SC_mNS0_19identity_decomposerENS1_16block_id_wrapperIjLb0EEEEE10hipError_tT1_PNSt15iterator_traitsISH_E10value_typeET2_T3_PNSI_ISN_E10value_typeET4_T5_PSS_ST_PNS1_23onesweep_lookback_stateEbbT6_jjT7_P12ihipStream_tbENKUlT_T0_SH_SM_E_clISA_SB_SC_SC_EEDaS10_S11_SH_SM_EUlS10_E_NS1_11comp_targetILNS1_3genE9ELNS1_11target_archE1100ELNS1_3gpuE3ELNS1_3repE0EEENS1_47radix_sort_onesweep_sort_config_static_selectorELNS0_4arch9wavefront6targetE0EEEvSH_: ; @_ZN7rocprim17ROCPRIM_400000_NS6detail17trampoline_kernelINS0_14default_configENS1_35radix_sort_onesweep_config_selectorI12hip_bfloat16NS0_10empty_typeEEEZZNS1_29radix_sort_onesweep_iterationIS3_Lb0EPKS5_PS5_PS6_SC_mNS0_19identity_decomposerENS1_16block_id_wrapperIjLb0EEEEE10hipError_tT1_PNSt15iterator_traitsISH_E10value_typeET2_T3_PNSI_ISN_E10value_typeET4_T5_PSS_ST_PNS1_23onesweep_lookback_stateEbbT6_jjT7_P12ihipStream_tbENKUlT_T0_SH_SM_E_clISA_SB_SC_SC_EEDaS10_S11_SH_SM_EUlS10_E_NS1_11comp_targetILNS1_3genE9ELNS1_11target_archE1100ELNS1_3gpuE3ELNS1_3repE0EEENS1_47radix_sort_onesweep_sort_config_static_selectorELNS0_4arch9wavefront6targetE0EEEvSH_
; %bb.0:
	.section	.rodata,"a",@progbits
	.p2align	6, 0x0
	.amdhsa_kernel _ZN7rocprim17ROCPRIM_400000_NS6detail17trampoline_kernelINS0_14default_configENS1_35radix_sort_onesweep_config_selectorI12hip_bfloat16NS0_10empty_typeEEEZZNS1_29radix_sort_onesweep_iterationIS3_Lb0EPKS5_PS5_PS6_SC_mNS0_19identity_decomposerENS1_16block_id_wrapperIjLb0EEEEE10hipError_tT1_PNSt15iterator_traitsISH_E10value_typeET2_T3_PNSI_ISN_E10value_typeET4_T5_PSS_ST_PNS1_23onesweep_lookback_stateEbbT6_jjT7_P12ihipStream_tbENKUlT_T0_SH_SM_E_clISA_SB_SC_SC_EEDaS10_S11_SH_SM_EUlS10_E_NS1_11comp_targetILNS1_3genE9ELNS1_11target_archE1100ELNS1_3gpuE3ELNS1_3repE0EEENS1_47radix_sort_onesweep_sort_config_static_selectorELNS0_4arch9wavefront6targetE0EEEvSH_
		.amdhsa_group_segment_fixed_size 0
		.amdhsa_private_segment_fixed_size 0
		.amdhsa_kernarg_size 88
		.amdhsa_user_sgpr_count 2
		.amdhsa_user_sgpr_dispatch_ptr 0
		.amdhsa_user_sgpr_queue_ptr 0
		.amdhsa_user_sgpr_kernarg_segment_ptr 1
		.amdhsa_user_sgpr_dispatch_id 0
		.amdhsa_user_sgpr_kernarg_preload_length 0
		.amdhsa_user_sgpr_kernarg_preload_offset 0
		.amdhsa_user_sgpr_private_segment_size 0
		.amdhsa_wavefront_size32 1
		.amdhsa_uses_dynamic_stack 0
		.amdhsa_enable_private_segment 0
		.amdhsa_system_sgpr_workgroup_id_x 1
		.amdhsa_system_sgpr_workgroup_id_y 0
		.amdhsa_system_sgpr_workgroup_id_z 0
		.amdhsa_system_sgpr_workgroup_info 0
		.amdhsa_system_vgpr_workitem_id 0
		.amdhsa_next_free_vgpr 1
		.amdhsa_next_free_sgpr 1
		.amdhsa_named_barrier_count 0
		.amdhsa_reserve_vcc 0
		.amdhsa_float_round_mode_32 0
		.amdhsa_float_round_mode_16_64 0
		.amdhsa_float_denorm_mode_32 3
		.amdhsa_float_denorm_mode_16_64 3
		.amdhsa_fp16_overflow 0
		.amdhsa_memory_ordered 1
		.amdhsa_forward_progress 1
		.amdhsa_inst_pref_size 0
		.amdhsa_round_robin_scheduling 0
		.amdhsa_exception_fp_ieee_invalid_op 0
		.amdhsa_exception_fp_denorm_src 0
		.amdhsa_exception_fp_ieee_div_zero 0
		.amdhsa_exception_fp_ieee_overflow 0
		.amdhsa_exception_fp_ieee_underflow 0
		.amdhsa_exception_fp_ieee_inexact 0
		.amdhsa_exception_int_div_zero 0
	.end_amdhsa_kernel
	.section	.text._ZN7rocprim17ROCPRIM_400000_NS6detail17trampoline_kernelINS0_14default_configENS1_35radix_sort_onesweep_config_selectorI12hip_bfloat16NS0_10empty_typeEEEZZNS1_29radix_sort_onesweep_iterationIS3_Lb0EPKS5_PS5_PS6_SC_mNS0_19identity_decomposerENS1_16block_id_wrapperIjLb0EEEEE10hipError_tT1_PNSt15iterator_traitsISH_E10value_typeET2_T3_PNSI_ISN_E10value_typeET4_T5_PSS_ST_PNS1_23onesweep_lookback_stateEbbT6_jjT7_P12ihipStream_tbENKUlT_T0_SH_SM_E_clISA_SB_SC_SC_EEDaS10_S11_SH_SM_EUlS10_E_NS1_11comp_targetILNS1_3genE9ELNS1_11target_archE1100ELNS1_3gpuE3ELNS1_3repE0EEENS1_47radix_sort_onesweep_sort_config_static_selectorELNS0_4arch9wavefront6targetE0EEEvSH_,"axG",@progbits,_ZN7rocprim17ROCPRIM_400000_NS6detail17trampoline_kernelINS0_14default_configENS1_35radix_sort_onesweep_config_selectorI12hip_bfloat16NS0_10empty_typeEEEZZNS1_29radix_sort_onesweep_iterationIS3_Lb0EPKS5_PS5_PS6_SC_mNS0_19identity_decomposerENS1_16block_id_wrapperIjLb0EEEEE10hipError_tT1_PNSt15iterator_traitsISH_E10value_typeET2_T3_PNSI_ISN_E10value_typeET4_T5_PSS_ST_PNS1_23onesweep_lookback_stateEbbT6_jjT7_P12ihipStream_tbENKUlT_T0_SH_SM_E_clISA_SB_SC_SC_EEDaS10_S11_SH_SM_EUlS10_E_NS1_11comp_targetILNS1_3genE9ELNS1_11target_archE1100ELNS1_3gpuE3ELNS1_3repE0EEENS1_47radix_sort_onesweep_sort_config_static_selectorELNS0_4arch9wavefront6targetE0EEEvSH_,comdat
.Lfunc_end2076:
	.size	_ZN7rocprim17ROCPRIM_400000_NS6detail17trampoline_kernelINS0_14default_configENS1_35radix_sort_onesweep_config_selectorI12hip_bfloat16NS0_10empty_typeEEEZZNS1_29radix_sort_onesweep_iterationIS3_Lb0EPKS5_PS5_PS6_SC_mNS0_19identity_decomposerENS1_16block_id_wrapperIjLb0EEEEE10hipError_tT1_PNSt15iterator_traitsISH_E10value_typeET2_T3_PNSI_ISN_E10value_typeET4_T5_PSS_ST_PNS1_23onesweep_lookback_stateEbbT6_jjT7_P12ihipStream_tbENKUlT_T0_SH_SM_E_clISA_SB_SC_SC_EEDaS10_S11_SH_SM_EUlS10_E_NS1_11comp_targetILNS1_3genE9ELNS1_11target_archE1100ELNS1_3gpuE3ELNS1_3repE0EEENS1_47radix_sort_onesweep_sort_config_static_selectorELNS0_4arch9wavefront6targetE0EEEvSH_, .Lfunc_end2076-_ZN7rocprim17ROCPRIM_400000_NS6detail17trampoline_kernelINS0_14default_configENS1_35radix_sort_onesweep_config_selectorI12hip_bfloat16NS0_10empty_typeEEEZZNS1_29radix_sort_onesweep_iterationIS3_Lb0EPKS5_PS5_PS6_SC_mNS0_19identity_decomposerENS1_16block_id_wrapperIjLb0EEEEE10hipError_tT1_PNSt15iterator_traitsISH_E10value_typeET2_T3_PNSI_ISN_E10value_typeET4_T5_PSS_ST_PNS1_23onesweep_lookback_stateEbbT6_jjT7_P12ihipStream_tbENKUlT_T0_SH_SM_E_clISA_SB_SC_SC_EEDaS10_S11_SH_SM_EUlS10_E_NS1_11comp_targetILNS1_3genE9ELNS1_11target_archE1100ELNS1_3gpuE3ELNS1_3repE0EEENS1_47radix_sort_onesweep_sort_config_static_selectorELNS0_4arch9wavefront6targetE0EEEvSH_
                                        ; -- End function
	.set _ZN7rocprim17ROCPRIM_400000_NS6detail17trampoline_kernelINS0_14default_configENS1_35radix_sort_onesweep_config_selectorI12hip_bfloat16NS0_10empty_typeEEEZZNS1_29radix_sort_onesweep_iterationIS3_Lb0EPKS5_PS5_PS6_SC_mNS0_19identity_decomposerENS1_16block_id_wrapperIjLb0EEEEE10hipError_tT1_PNSt15iterator_traitsISH_E10value_typeET2_T3_PNSI_ISN_E10value_typeET4_T5_PSS_ST_PNS1_23onesweep_lookback_stateEbbT6_jjT7_P12ihipStream_tbENKUlT_T0_SH_SM_E_clISA_SB_SC_SC_EEDaS10_S11_SH_SM_EUlS10_E_NS1_11comp_targetILNS1_3genE9ELNS1_11target_archE1100ELNS1_3gpuE3ELNS1_3repE0EEENS1_47radix_sort_onesweep_sort_config_static_selectorELNS0_4arch9wavefront6targetE0EEEvSH_.num_vgpr, 0
	.set _ZN7rocprim17ROCPRIM_400000_NS6detail17trampoline_kernelINS0_14default_configENS1_35radix_sort_onesweep_config_selectorI12hip_bfloat16NS0_10empty_typeEEEZZNS1_29radix_sort_onesweep_iterationIS3_Lb0EPKS5_PS5_PS6_SC_mNS0_19identity_decomposerENS1_16block_id_wrapperIjLb0EEEEE10hipError_tT1_PNSt15iterator_traitsISH_E10value_typeET2_T3_PNSI_ISN_E10value_typeET4_T5_PSS_ST_PNS1_23onesweep_lookback_stateEbbT6_jjT7_P12ihipStream_tbENKUlT_T0_SH_SM_E_clISA_SB_SC_SC_EEDaS10_S11_SH_SM_EUlS10_E_NS1_11comp_targetILNS1_3genE9ELNS1_11target_archE1100ELNS1_3gpuE3ELNS1_3repE0EEENS1_47radix_sort_onesweep_sort_config_static_selectorELNS0_4arch9wavefront6targetE0EEEvSH_.num_agpr, 0
	.set _ZN7rocprim17ROCPRIM_400000_NS6detail17trampoline_kernelINS0_14default_configENS1_35radix_sort_onesweep_config_selectorI12hip_bfloat16NS0_10empty_typeEEEZZNS1_29radix_sort_onesweep_iterationIS3_Lb0EPKS5_PS5_PS6_SC_mNS0_19identity_decomposerENS1_16block_id_wrapperIjLb0EEEEE10hipError_tT1_PNSt15iterator_traitsISH_E10value_typeET2_T3_PNSI_ISN_E10value_typeET4_T5_PSS_ST_PNS1_23onesweep_lookback_stateEbbT6_jjT7_P12ihipStream_tbENKUlT_T0_SH_SM_E_clISA_SB_SC_SC_EEDaS10_S11_SH_SM_EUlS10_E_NS1_11comp_targetILNS1_3genE9ELNS1_11target_archE1100ELNS1_3gpuE3ELNS1_3repE0EEENS1_47radix_sort_onesweep_sort_config_static_selectorELNS0_4arch9wavefront6targetE0EEEvSH_.numbered_sgpr, 0
	.set _ZN7rocprim17ROCPRIM_400000_NS6detail17trampoline_kernelINS0_14default_configENS1_35radix_sort_onesweep_config_selectorI12hip_bfloat16NS0_10empty_typeEEEZZNS1_29radix_sort_onesweep_iterationIS3_Lb0EPKS5_PS5_PS6_SC_mNS0_19identity_decomposerENS1_16block_id_wrapperIjLb0EEEEE10hipError_tT1_PNSt15iterator_traitsISH_E10value_typeET2_T3_PNSI_ISN_E10value_typeET4_T5_PSS_ST_PNS1_23onesweep_lookback_stateEbbT6_jjT7_P12ihipStream_tbENKUlT_T0_SH_SM_E_clISA_SB_SC_SC_EEDaS10_S11_SH_SM_EUlS10_E_NS1_11comp_targetILNS1_3genE9ELNS1_11target_archE1100ELNS1_3gpuE3ELNS1_3repE0EEENS1_47radix_sort_onesweep_sort_config_static_selectorELNS0_4arch9wavefront6targetE0EEEvSH_.num_named_barrier, 0
	.set _ZN7rocprim17ROCPRIM_400000_NS6detail17trampoline_kernelINS0_14default_configENS1_35radix_sort_onesweep_config_selectorI12hip_bfloat16NS0_10empty_typeEEEZZNS1_29radix_sort_onesweep_iterationIS3_Lb0EPKS5_PS5_PS6_SC_mNS0_19identity_decomposerENS1_16block_id_wrapperIjLb0EEEEE10hipError_tT1_PNSt15iterator_traitsISH_E10value_typeET2_T3_PNSI_ISN_E10value_typeET4_T5_PSS_ST_PNS1_23onesweep_lookback_stateEbbT6_jjT7_P12ihipStream_tbENKUlT_T0_SH_SM_E_clISA_SB_SC_SC_EEDaS10_S11_SH_SM_EUlS10_E_NS1_11comp_targetILNS1_3genE9ELNS1_11target_archE1100ELNS1_3gpuE3ELNS1_3repE0EEENS1_47radix_sort_onesweep_sort_config_static_selectorELNS0_4arch9wavefront6targetE0EEEvSH_.private_seg_size, 0
	.set _ZN7rocprim17ROCPRIM_400000_NS6detail17trampoline_kernelINS0_14default_configENS1_35radix_sort_onesweep_config_selectorI12hip_bfloat16NS0_10empty_typeEEEZZNS1_29radix_sort_onesweep_iterationIS3_Lb0EPKS5_PS5_PS6_SC_mNS0_19identity_decomposerENS1_16block_id_wrapperIjLb0EEEEE10hipError_tT1_PNSt15iterator_traitsISH_E10value_typeET2_T3_PNSI_ISN_E10value_typeET4_T5_PSS_ST_PNS1_23onesweep_lookback_stateEbbT6_jjT7_P12ihipStream_tbENKUlT_T0_SH_SM_E_clISA_SB_SC_SC_EEDaS10_S11_SH_SM_EUlS10_E_NS1_11comp_targetILNS1_3genE9ELNS1_11target_archE1100ELNS1_3gpuE3ELNS1_3repE0EEENS1_47radix_sort_onesweep_sort_config_static_selectorELNS0_4arch9wavefront6targetE0EEEvSH_.uses_vcc, 0
	.set _ZN7rocprim17ROCPRIM_400000_NS6detail17trampoline_kernelINS0_14default_configENS1_35radix_sort_onesweep_config_selectorI12hip_bfloat16NS0_10empty_typeEEEZZNS1_29radix_sort_onesweep_iterationIS3_Lb0EPKS5_PS5_PS6_SC_mNS0_19identity_decomposerENS1_16block_id_wrapperIjLb0EEEEE10hipError_tT1_PNSt15iterator_traitsISH_E10value_typeET2_T3_PNSI_ISN_E10value_typeET4_T5_PSS_ST_PNS1_23onesweep_lookback_stateEbbT6_jjT7_P12ihipStream_tbENKUlT_T0_SH_SM_E_clISA_SB_SC_SC_EEDaS10_S11_SH_SM_EUlS10_E_NS1_11comp_targetILNS1_3genE9ELNS1_11target_archE1100ELNS1_3gpuE3ELNS1_3repE0EEENS1_47radix_sort_onesweep_sort_config_static_selectorELNS0_4arch9wavefront6targetE0EEEvSH_.uses_flat_scratch, 0
	.set _ZN7rocprim17ROCPRIM_400000_NS6detail17trampoline_kernelINS0_14default_configENS1_35radix_sort_onesweep_config_selectorI12hip_bfloat16NS0_10empty_typeEEEZZNS1_29radix_sort_onesweep_iterationIS3_Lb0EPKS5_PS5_PS6_SC_mNS0_19identity_decomposerENS1_16block_id_wrapperIjLb0EEEEE10hipError_tT1_PNSt15iterator_traitsISH_E10value_typeET2_T3_PNSI_ISN_E10value_typeET4_T5_PSS_ST_PNS1_23onesweep_lookback_stateEbbT6_jjT7_P12ihipStream_tbENKUlT_T0_SH_SM_E_clISA_SB_SC_SC_EEDaS10_S11_SH_SM_EUlS10_E_NS1_11comp_targetILNS1_3genE9ELNS1_11target_archE1100ELNS1_3gpuE3ELNS1_3repE0EEENS1_47radix_sort_onesweep_sort_config_static_selectorELNS0_4arch9wavefront6targetE0EEEvSH_.has_dyn_sized_stack, 0
	.set _ZN7rocprim17ROCPRIM_400000_NS6detail17trampoline_kernelINS0_14default_configENS1_35radix_sort_onesweep_config_selectorI12hip_bfloat16NS0_10empty_typeEEEZZNS1_29radix_sort_onesweep_iterationIS3_Lb0EPKS5_PS5_PS6_SC_mNS0_19identity_decomposerENS1_16block_id_wrapperIjLb0EEEEE10hipError_tT1_PNSt15iterator_traitsISH_E10value_typeET2_T3_PNSI_ISN_E10value_typeET4_T5_PSS_ST_PNS1_23onesweep_lookback_stateEbbT6_jjT7_P12ihipStream_tbENKUlT_T0_SH_SM_E_clISA_SB_SC_SC_EEDaS10_S11_SH_SM_EUlS10_E_NS1_11comp_targetILNS1_3genE9ELNS1_11target_archE1100ELNS1_3gpuE3ELNS1_3repE0EEENS1_47radix_sort_onesweep_sort_config_static_selectorELNS0_4arch9wavefront6targetE0EEEvSH_.has_recursion, 0
	.set _ZN7rocprim17ROCPRIM_400000_NS6detail17trampoline_kernelINS0_14default_configENS1_35radix_sort_onesweep_config_selectorI12hip_bfloat16NS0_10empty_typeEEEZZNS1_29radix_sort_onesweep_iterationIS3_Lb0EPKS5_PS5_PS6_SC_mNS0_19identity_decomposerENS1_16block_id_wrapperIjLb0EEEEE10hipError_tT1_PNSt15iterator_traitsISH_E10value_typeET2_T3_PNSI_ISN_E10value_typeET4_T5_PSS_ST_PNS1_23onesweep_lookback_stateEbbT6_jjT7_P12ihipStream_tbENKUlT_T0_SH_SM_E_clISA_SB_SC_SC_EEDaS10_S11_SH_SM_EUlS10_E_NS1_11comp_targetILNS1_3genE9ELNS1_11target_archE1100ELNS1_3gpuE3ELNS1_3repE0EEENS1_47radix_sort_onesweep_sort_config_static_selectorELNS0_4arch9wavefront6targetE0EEEvSH_.has_indirect_call, 0
	.section	.AMDGPU.csdata,"",@progbits
; Kernel info:
; codeLenInByte = 0
; TotalNumSgprs: 0
; NumVgprs: 0
; ScratchSize: 0
; MemoryBound: 0
; FloatMode: 240
; IeeeMode: 1
; LDSByteSize: 0 bytes/workgroup (compile time only)
; SGPRBlocks: 0
; VGPRBlocks: 0
; NumSGPRsForWavesPerEU: 1
; NumVGPRsForWavesPerEU: 1
; NamedBarCnt: 0
; Occupancy: 16
; WaveLimiterHint : 0
; COMPUTE_PGM_RSRC2:SCRATCH_EN: 0
; COMPUTE_PGM_RSRC2:USER_SGPR: 2
; COMPUTE_PGM_RSRC2:TRAP_HANDLER: 0
; COMPUTE_PGM_RSRC2:TGID_X_EN: 1
; COMPUTE_PGM_RSRC2:TGID_Y_EN: 0
; COMPUTE_PGM_RSRC2:TGID_Z_EN: 0
; COMPUTE_PGM_RSRC2:TIDIG_COMP_CNT: 0
	.section	.text._ZN7rocprim17ROCPRIM_400000_NS6detail17trampoline_kernelINS0_14default_configENS1_35radix_sort_onesweep_config_selectorI12hip_bfloat16NS0_10empty_typeEEEZZNS1_29radix_sort_onesweep_iterationIS3_Lb0EPKS5_PS5_PS6_SC_mNS0_19identity_decomposerENS1_16block_id_wrapperIjLb0EEEEE10hipError_tT1_PNSt15iterator_traitsISH_E10value_typeET2_T3_PNSI_ISN_E10value_typeET4_T5_PSS_ST_PNS1_23onesweep_lookback_stateEbbT6_jjT7_P12ihipStream_tbENKUlT_T0_SH_SM_E_clISA_SB_SC_SC_EEDaS10_S11_SH_SM_EUlS10_E_NS1_11comp_targetILNS1_3genE8ELNS1_11target_archE1030ELNS1_3gpuE2ELNS1_3repE0EEENS1_47radix_sort_onesweep_sort_config_static_selectorELNS0_4arch9wavefront6targetE0EEEvSH_,"axG",@progbits,_ZN7rocprim17ROCPRIM_400000_NS6detail17trampoline_kernelINS0_14default_configENS1_35radix_sort_onesweep_config_selectorI12hip_bfloat16NS0_10empty_typeEEEZZNS1_29radix_sort_onesweep_iterationIS3_Lb0EPKS5_PS5_PS6_SC_mNS0_19identity_decomposerENS1_16block_id_wrapperIjLb0EEEEE10hipError_tT1_PNSt15iterator_traitsISH_E10value_typeET2_T3_PNSI_ISN_E10value_typeET4_T5_PSS_ST_PNS1_23onesweep_lookback_stateEbbT6_jjT7_P12ihipStream_tbENKUlT_T0_SH_SM_E_clISA_SB_SC_SC_EEDaS10_S11_SH_SM_EUlS10_E_NS1_11comp_targetILNS1_3genE8ELNS1_11target_archE1030ELNS1_3gpuE2ELNS1_3repE0EEENS1_47radix_sort_onesweep_sort_config_static_selectorELNS0_4arch9wavefront6targetE0EEEvSH_,comdat
	.protected	_ZN7rocprim17ROCPRIM_400000_NS6detail17trampoline_kernelINS0_14default_configENS1_35radix_sort_onesweep_config_selectorI12hip_bfloat16NS0_10empty_typeEEEZZNS1_29radix_sort_onesweep_iterationIS3_Lb0EPKS5_PS5_PS6_SC_mNS0_19identity_decomposerENS1_16block_id_wrapperIjLb0EEEEE10hipError_tT1_PNSt15iterator_traitsISH_E10value_typeET2_T3_PNSI_ISN_E10value_typeET4_T5_PSS_ST_PNS1_23onesweep_lookback_stateEbbT6_jjT7_P12ihipStream_tbENKUlT_T0_SH_SM_E_clISA_SB_SC_SC_EEDaS10_S11_SH_SM_EUlS10_E_NS1_11comp_targetILNS1_3genE8ELNS1_11target_archE1030ELNS1_3gpuE2ELNS1_3repE0EEENS1_47radix_sort_onesweep_sort_config_static_selectorELNS0_4arch9wavefront6targetE0EEEvSH_ ; -- Begin function _ZN7rocprim17ROCPRIM_400000_NS6detail17trampoline_kernelINS0_14default_configENS1_35radix_sort_onesweep_config_selectorI12hip_bfloat16NS0_10empty_typeEEEZZNS1_29radix_sort_onesweep_iterationIS3_Lb0EPKS5_PS5_PS6_SC_mNS0_19identity_decomposerENS1_16block_id_wrapperIjLb0EEEEE10hipError_tT1_PNSt15iterator_traitsISH_E10value_typeET2_T3_PNSI_ISN_E10value_typeET4_T5_PSS_ST_PNS1_23onesweep_lookback_stateEbbT6_jjT7_P12ihipStream_tbENKUlT_T0_SH_SM_E_clISA_SB_SC_SC_EEDaS10_S11_SH_SM_EUlS10_E_NS1_11comp_targetILNS1_3genE8ELNS1_11target_archE1030ELNS1_3gpuE2ELNS1_3repE0EEENS1_47radix_sort_onesweep_sort_config_static_selectorELNS0_4arch9wavefront6targetE0EEEvSH_
	.globl	_ZN7rocprim17ROCPRIM_400000_NS6detail17trampoline_kernelINS0_14default_configENS1_35radix_sort_onesweep_config_selectorI12hip_bfloat16NS0_10empty_typeEEEZZNS1_29radix_sort_onesweep_iterationIS3_Lb0EPKS5_PS5_PS6_SC_mNS0_19identity_decomposerENS1_16block_id_wrapperIjLb0EEEEE10hipError_tT1_PNSt15iterator_traitsISH_E10value_typeET2_T3_PNSI_ISN_E10value_typeET4_T5_PSS_ST_PNS1_23onesweep_lookback_stateEbbT6_jjT7_P12ihipStream_tbENKUlT_T0_SH_SM_E_clISA_SB_SC_SC_EEDaS10_S11_SH_SM_EUlS10_E_NS1_11comp_targetILNS1_3genE8ELNS1_11target_archE1030ELNS1_3gpuE2ELNS1_3repE0EEENS1_47radix_sort_onesweep_sort_config_static_selectorELNS0_4arch9wavefront6targetE0EEEvSH_
	.p2align	8
	.type	_ZN7rocprim17ROCPRIM_400000_NS6detail17trampoline_kernelINS0_14default_configENS1_35radix_sort_onesweep_config_selectorI12hip_bfloat16NS0_10empty_typeEEEZZNS1_29radix_sort_onesweep_iterationIS3_Lb0EPKS5_PS5_PS6_SC_mNS0_19identity_decomposerENS1_16block_id_wrapperIjLb0EEEEE10hipError_tT1_PNSt15iterator_traitsISH_E10value_typeET2_T3_PNSI_ISN_E10value_typeET4_T5_PSS_ST_PNS1_23onesweep_lookback_stateEbbT6_jjT7_P12ihipStream_tbENKUlT_T0_SH_SM_E_clISA_SB_SC_SC_EEDaS10_S11_SH_SM_EUlS10_E_NS1_11comp_targetILNS1_3genE8ELNS1_11target_archE1030ELNS1_3gpuE2ELNS1_3repE0EEENS1_47radix_sort_onesweep_sort_config_static_selectorELNS0_4arch9wavefront6targetE0EEEvSH_,@function
_ZN7rocprim17ROCPRIM_400000_NS6detail17trampoline_kernelINS0_14default_configENS1_35radix_sort_onesweep_config_selectorI12hip_bfloat16NS0_10empty_typeEEEZZNS1_29radix_sort_onesweep_iterationIS3_Lb0EPKS5_PS5_PS6_SC_mNS0_19identity_decomposerENS1_16block_id_wrapperIjLb0EEEEE10hipError_tT1_PNSt15iterator_traitsISH_E10value_typeET2_T3_PNSI_ISN_E10value_typeET4_T5_PSS_ST_PNS1_23onesweep_lookback_stateEbbT6_jjT7_P12ihipStream_tbENKUlT_T0_SH_SM_E_clISA_SB_SC_SC_EEDaS10_S11_SH_SM_EUlS10_E_NS1_11comp_targetILNS1_3genE8ELNS1_11target_archE1030ELNS1_3gpuE2ELNS1_3repE0EEENS1_47radix_sort_onesweep_sort_config_static_selectorELNS0_4arch9wavefront6targetE0EEEvSH_: ; @_ZN7rocprim17ROCPRIM_400000_NS6detail17trampoline_kernelINS0_14default_configENS1_35radix_sort_onesweep_config_selectorI12hip_bfloat16NS0_10empty_typeEEEZZNS1_29radix_sort_onesweep_iterationIS3_Lb0EPKS5_PS5_PS6_SC_mNS0_19identity_decomposerENS1_16block_id_wrapperIjLb0EEEEE10hipError_tT1_PNSt15iterator_traitsISH_E10value_typeET2_T3_PNSI_ISN_E10value_typeET4_T5_PSS_ST_PNS1_23onesweep_lookback_stateEbbT6_jjT7_P12ihipStream_tbENKUlT_T0_SH_SM_E_clISA_SB_SC_SC_EEDaS10_S11_SH_SM_EUlS10_E_NS1_11comp_targetILNS1_3genE8ELNS1_11target_archE1030ELNS1_3gpuE2ELNS1_3repE0EEENS1_47radix_sort_onesweep_sort_config_static_selectorELNS0_4arch9wavefront6targetE0EEEvSH_
; %bb.0:
	.section	.rodata,"a",@progbits
	.p2align	6, 0x0
	.amdhsa_kernel _ZN7rocprim17ROCPRIM_400000_NS6detail17trampoline_kernelINS0_14default_configENS1_35radix_sort_onesweep_config_selectorI12hip_bfloat16NS0_10empty_typeEEEZZNS1_29radix_sort_onesweep_iterationIS3_Lb0EPKS5_PS5_PS6_SC_mNS0_19identity_decomposerENS1_16block_id_wrapperIjLb0EEEEE10hipError_tT1_PNSt15iterator_traitsISH_E10value_typeET2_T3_PNSI_ISN_E10value_typeET4_T5_PSS_ST_PNS1_23onesweep_lookback_stateEbbT6_jjT7_P12ihipStream_tbENKUlT_T0_SH_SM_E_clISA_SB_SC_SC_EEDaS10_S11_SH_SM_EUlS10_E_NS1_11comp_targetILNS1_3genE8ELNS1_11target_archE1030ELNS1_3gpuE2ELNS1_3repE0EEENS1_47radix_sort_onesweep_sort_config_static_selectorELNS0_4arch9wavefront6targetE0EEEvSH_
		.amdhsa_group_segment_fixed_size 0
		.amdhsa_private_segment_fixed_size 0
		.amdhsa_kernarg_size 88
		.amdhsa_user_sgpr_count 2
		.amdhsa_user_sgpr_dispatch_ptr 0
		.amdhsa_user_sgpr_queue_ptr 0
		.amdhsa_user_sgpr_kernarg_segment_ptr 1
		.amdhsa_user_sgpr_dispatch_id 0
		.amdhsa_user_sgpr_kernarg_preload_length 0
		.amdhsa_user_sgpr_kernarg_preload_offset 0
		.amdhsa_user_sgpr_private_segment_size 0
		.amdhsa_wavefront_size32 1
		.amdhsa_uses_dynamic_stack 0
		.amdhsa_enable_private_segment 0
		.amdhsa_system_sgpr_workgroup_id_x 1
		.amdhsa_system_sgpr_workgroup_id_y 0
		.amdhsa_system_sgpr_workgroup_id_z 0
		.amdhsa_system_sgpr_workgroup_info 0
		.amdhsa_system_vgpr_workitem_id 0
		.amdhsa_next_free_vgpr 1
		.amdhsa_next_free_sgpr 1
		.amdhsa_named_barrier_count 0
		.amdhsa_reserve_vcc 0
		.amdhsa_float_round_mode_32 0
		.amdhsa_float_round_mode_16_64 0
		.amdhsa_float_denorm_mode_32 3
		.amdhsa_float_denorm_mode_16_64 3
		.amdhsa_fp16_overflow 0
		.amdhsa_memory_ordered 1
		.amdhsa_forward_progress 1
		.amdhsa_inst_pref_size 0
		.amdhsa_round_robin_scheduling 0
		.amdhsa_exception_fp_ieee_invalid_op 0
		.amdhsa_exception_fp_denorm_src 0
		.amdhsa_exception_fp_ieee_div_zero 0
		.amdhsa_exception_fp_ieee_overflow 0
		.amdhsa_exception_fp_ieee_underflow 0
		.amdhsa_exception_fp_ieee_inexact 0
		.amdhsa_exception_int_div_zero 0
	.end_amdhsa_kernel
	.section	.text._ZN7rocprim17ROCPRIM_400000_NS6detail17trampoline_kernelINS0_14default_configENS1_35radix_sort_onesweep_config_selectorI12hip_bfloat16NS0_10empty_typeEEEZZNS1_29radix_sort_onesweep_iterationIS3_Lb0EPKS5_PS5_PS6_SC_mNS0_19identity_decomposerENS1_16block_id_wrapperIjLb0EEEEE10hipError_tT1_PNSt15iterator_traitsISH_E10value_typeET2_T3_PNSI_ISN_E10value_typeET4_T5_PSS_ST_PNS1_23onesweep_lookback_stateEbbT6_jjT7_P12ihipStream_tbENKUlT_T0_SH_SM_E_clISA_SB_SC_SC_EEDaS10_S11_SH_SM_EUlS10_E_NS1_11comp_targetILNS1_3genE8ELNS1_11target_archE1030ELNS1_3gpuE2ELNS1_3repE0EEENS1_47radix_sort_onesweep_sort_config_static_selectorELNS0_4arch9wavefront6targetE0EEEvSH_,"axG",@progbits,_ZN7rocprim17ROCPRIM_400000_NS6detail17trampoline_kernelINS0_14default_configENS1_35radix_sort_onesweep_config_selectorI12hip_bfloat16NS0_10empty_typeEEEZZNS1_29radix_sort_onesweep_iterationIS3_Lb0EPKS5_PS5_PS6_SC_mNS0_19identity_decomposerENS1_16block_id_wrapperIjLb0EEEEE10hipError_tT1_PNSt15iterator_traitsISH_E10value_typeET2_T3_PNSI_ISN_E10value_typeET4_T5_PSS_ST_PNS1_23onesweep_lookback_stateEbbT6_jjT7_P12ihipStream_tbENKUlT_T0_SH_SM_E_clISA_SB_SC_SC_EEDaS10_S11_SH_SM_EUlS10_E_NS1_11comp_targetILNS1_3genE8ELNS1_11target_archE1030ELNS1_3gpuE2ELNS1_3repE0EEENS1_47radix_sort_onesweep_sort_config_static_selectorELNS0_4arch9wavefront6targetE0EEEvSH_,comdat
.Lfunc_end2077:
	.size	_ZN7rocprim17ROCPRIM_400000_NS6detail17trampoline_kernelINS0_14default_configENS1_35radix_sort_onesweep_config_selectorI12hip_bfloat16NS0_10empty_typeEEEZZNS1_29radix_sort_onesweep_iterationIS3_Lb0EPKS5_PS5_PS6_SC_mNS0_19identity_decomposerENS1_16block_id_wrapperIjLb0EEEEE10hipError_tT1_PNSt15iterator_traitsISH_E10value_typeET2_T3_PNSI_ISN_E10value_typeET4_T5_PSS_ST_PNS1_23onesweep_lookback_stateEbbT6_jjT7_P12ihipStream_tbENKUlT_T0_SH_SM_E_clISA_SB_SC_SC_EEDaS10_S11_SH_SM_EUlS10_E_NS1_11comp_targetILNS1_3genE8ELNS1_11target_archE1030ELNS1_3gpuE2ELNS1_3repE0EEENS1_47radix_sort_onesweep_sort_config_static_selectorELNS0_4arch9wavefront6targetE0EEEvSH_, .Lfunc_end2077-_ZN7rocprim17ROCPRIM_400000_NS6detail17trampoline_kernelINS0_14default_configENS1_35radix_sort_onesweep_config_selectorI12hip_bfloat16NS0_10empty_typeEEEZZNS1_29radix_sort_onesweep_iterationIS3_Lb0EPKS5_PS5_PS6_SC_mNS0_19identity_decomposerENS1_16block_id_wrapperIjLb0EEEEE10hipError_tT1_PNSt15iterator_traitsISH_E10value_typeET2_T3_PNSI_ISN_E10value_typeET4_T5_PSS_ST_PNS1_23onesweep_lookback_stateEbbT6_jjT7_P12ihipStream_tbENKUlT_T0_SH_SM_E_clISA_SB_SC_SC_EEDaS10_S11_SH_SM_EUlS10_E_NS1_11comp_targetILNS1_3genE8ELNS1_11target_archE1030ELNS1_3gpuE2ELNS1_3repE0EEENS1_47radix_sort_onesweep_sort_config_static_selectorELNS0_4arch9wavefront6targetE0EEEvSH_
                                        ; -- End function
	.set _ZN7rocprim17ROCPRIM_400000_NS6detail17trampoline_kernelINS0_14default_configENS1_35radix_sort_onesweep_config_selectorI12hip_bfloat16NS0_10empty_typeEEEZZNS1_29radix_sort_onesweep_iterationIS3_Lb0EPKS5_PS5_PS6_SC_mNS0_19identity_decomposerENS1_16block_id_wrapperIjLb0EEEEE10hipError_tT1_PNSt15iterator_traitsISH_E10value_typeET2_T3_PNSI_ISN_E10value_typeET4_T5_PSS_ST_PNS1_23onesweep_lookback_stateEbbT6_jjT7_P12ihipStream_tbENKUlT_T0_SH_SM_E_clISA_SB_SC_SC_EEDaS10_S11_SH_SM_EUlS10_E_NS1_11comp_targetILNS1_3genE8ELNS1_11target_archE1030ELNS1_3gpuE2ELNS1_3repE0EEENS1_47radix_sort_onesweep_sort_config_static_selectorELNS0_4arch9wavefront6targetE0EEEvSH_.num_vgpr, 0
	.set _ZN7rocprim17ROCPRIM_400000_NS6detail17trampoline_kernelINS0_14default_configENS1_35radix_sort_onesweep_config_selectorI12hip_bfloat16NS0_10empty_typeEEEZZNS1_29radix_sort_onesweep_iterationIS3_Lb0EPKS5_PS5_PS6_SC_mNS0_19identity_decomposerENS1_16block_id_wrapperIjLb0EEEEE10hipError_tT1_PNSt15iterator_traitsISH_E10value_typeET2_T3_PNSI_ISN_E10value_typeET4_T5_PSS_ST_PNS1_23onesweep_lookback_stateEbbT6_jjT7_P12ihipStream_tbENKUlT_T0_SH_SM_E_clISA_SB_SC_SC_EEDaS10_S11_SH_SM_EUlS10_E_NS1_11comp_targetILNS1_3genE8ELNS1_11target_archE1030ELNS1_3gpuE2ELNS1_3repE0EEENS1_47radix_sort_onesweep_sort_config_static_selectorELNS0_4arch9wavefront6targetE0EEEvSH_.num_agpr, 0
	.set _ZN7rocprim17ROCPRIM_400000_NS6detail17trampoline_kernelINS0_14default_configENS1_35radix_sort_onesweep_config_selectorI12hip_bfloat16NS0_10empty_typeEEEZZNS1_29radix_sort_onesweep_iterationIS3_Lb0EPKS5_PS5_PS6_SC_mNS0_19identity_decomposerENS1_16block_id_wrapperIjLb0EEEEE10hipError_tT1_PNSt15iterator_traitsISH_E10value_typeET2_T3_PNSI_ISN_E10value_typeET4_T5_PSS_ST_PNS1_23onesweep_lookback_stateEbbT6_jjT7_P12ihipStream_tbENKUlT_T0_SH_SM_E_clISA_SB_SC_SC_EEDaS10_S11_SH_SM_EUlS10_E_NS1_11comp_targetILNS1_3genE8ELNS1_11target_archE1030ELNS1_3gpuE2ELNS1_3repE0EEENS1_47radix_sort_onesweep_sort_config_static_selectorELNS0_4arch9wavefront6targetE0EEEvSH_.numbered_sgpr, 0
	.set _ZN7rocprim17ROCPRIM_400000_NS6detail17trampoline_kernelINS0_14default_configENS1_35radix_sort_onesweep_config_selectorI12hip_bfloat16NS0_10empty_typeEEEZZNS1_29radix_sort_onesweep_iterationIS3_Lb0EPKS5_PS5_PS6_SC_mNS0_19identity_decomposerENS1_16block_id_wrapperIjLb0EEEEE10hipError_tT1_PNSt15iterator_traitsISH_E10value_typeET2_T3_PNSI_ISN_E10value_typeET4_T5_PSS_ST_PNS1_23onesweep_lookback_stateEbbT6_jjT7_P12ihipStream_tbENKUlT_T0_SH_SM_E_clISA_SB_SC_SC_EEDaS10_S11_SH_SM_EUlS10_E_NS1_11comp_targetILNS1_3genE8ELNS1_11target_archE1030ELNS1_3gpuE2ELNS1_3repE0EEENS1_47radix_sort_onesweep_sort_config_static_selectorELNS0_4arch9wavefront6targetE0EEEvSH_.num_named_barrier, 0
	.set _ZN7rocprim17ROCPRIM_400000_NS6detail17trampoline_kernelINS0_14default_configENS1_35radix_sort_onesweep_config_selectorI12hip_bfloat16NS0_10empty_typeEEEZZNS1_29radix_sort_onesweep_iterationIS3_Lb0EPKS5_PS5_PS6_SC_mNS0_19identity_decomposerENS1_16block_id_wrapperIjLb0EEEEE10hipError_tT1_PNSt15iterator_traitsISH_E10value_typeET2_T3_PNSI_ISN_E10value_typeET4_T5_PSS_ST_PNS1_23onesweep_lookback_stateEbbT6_jjT7_P12ihipStream_tbENKUlT_T0_SH_SM_E_clISA_SB_SC_SC_EEDaS10_S11_SH_SM_EUlS10_E_NS1_11comp_targetILNS1_3genE8ELNS1_11target_archE1030ELNS1_3gpuE2ELNS1_3repE0EEENS1_47radix_sort_onesweep_sort_config_static_selectorELNS0_4arch9wavefront6targetE0EEEvSH_.private_seg_size, 0
	.set _ZN7rocprim17ROCPRIM_400000_NS6detail17trampoline_kernelINS0_14default_configENS1_35radix_sort_onesweep_config_selectorI12hip_bfloat16NS0_10empty_typeEEEZZNS1_29radix_sort_onesweep_iterationIS3_Lb0EPKS5_PS5_PS6_SC_mNS0_19identity_decomposerENS1_16block_id_wrapperIjLb0EEEEE10hipError_tT1_PNSt15iterator_traitsISH_E10value_typeET2_T3_PNSI_ISN_E10value_typeET4_T5_PSS_ST_PNS1_23onesweep_lookback_stateEbbT6_jjT7_P12ihipStream_tbENKUlT_T0_SH_SM_E_clISA_SB_SC_SC_EEDaS10_S11_SH_SM_EUlS10_E_NS1_11comp_targetILNS1_3genE8ELNS1_11target_archE1030ELNS1_3gpuE2ELNS1_3repE0EEENS1_47radix_sort_onesweep_sort_config_static_selectorELNS0_4arch9wavefront6targetE0EEEvSH_.uses_vcc, 0
	.set _ZN7rocprim17ROCPRIM_400000_NS6detail17trampoline_kernelINS0_14default_configENS1_35radix_sort_onesweep_config_selectorI12hip_bfloat16NS0_10empty_typeEEEZZNS1_29radix_sort_onesweep_iterationIS3_Lb0EPKS5_PS5_PS6_SC_mNS0_19identity_decomposerENS1_16block_id_wrapperIjLb0EEEEE10hipError_tT1_PNSt15iterator_traitsISH_E10value_typeET2_T3_PNSI_ISN_E10value_typeET4_T5_PSS_ST_PNS1_23onesweep_lookback_stateEbbT6_jjT7_P12ihipStream_tbENKUlT_T0_SH_SM_E_clISA_SB_SC_SC_EEDaS10_S11_SH_SM_EUlS10_E_NS1_11comp_targetILNS1_3genE8ELNS1_11target_archE1030ELNS1_3gpuE2ELNS1_3repE0EEENS1_47radix_sort_onesweep_sort_config_static_selectorELNS0_4arch9wavefront6targetE0EEEvSH_.uses_flat_scratch, 0
	.set _ZN7rocprim17ROCPRIM_400000_NS6detail17trampoline_kernelINS0_14default_configENS1_35radix_sort_onesweep_config_selectorI12hip_bfloat16NS0_10empty_typeEEEZZNS1_29radix_sort_onesweep_iterationIS3_Lb0EPKS5_PS5_PS6_SC_mNS0_19identity_decomposerENS1_16block_id_wrapperIjLb0EEEEE10hipError_tT1_PNSt15iterator_traitsISH_E10value_typeET2_T3_PNSI_ISN_E10value_typeET4_T5_PSS_ST_PNS1_23onesweep_lookback_stateEbbT6_jjT7_P12ihipStream_tbENKUlT_T0_SH_SM_E_clISA_SB_SC_SC_EEDaS10_S11_SH_SM_EUlS10_E_NS1_11comp_targetILNS1_3genE8ELNS1_11target_archE1030ELNS1_3gpuE2ELNS1_3repE0EEENS1_47radix_sort_onesweep_sort_config_static_selectorELNS0_4arch9wavefront6targetE0EEEvSH_.has_dyn_sized_stack, 0
	.set _ZN7rocprim17ROCPRIM_400000_NS6detail17trampoline_kernelINS0_14default_configENS1_35radix_sort_onesweep_config_selectorI12hip_bfloat16NS0_10empty_typeEEEZZNS1_29radix_sort_onesweep_iterationIS3_Lb0EPKS5_PS5_PS6_SC_mNS0_19identity_decomposerENS1_16block_id_wrapperIjLb0EEEEE10hipError_tT1_PNSt15iterator_traitsISH_E10value_typeET2_T3_PNSI_ISN_E10value_typeET4_T5_PSS_ST_PNS1_23onesweep_lookback_stateEbbT6_jjT7_P12ihipStream_tbENKUlT_T0_SH_SM_E_clISA_SB_SC_SC_EEDaS10_S11_SH_SM_EUlS10_E_NS1_11comp_targetILNS1_3genE8ELNS1_11target_archE1030ELNS1_3gpuE2ELNS1_3repE0EEENS1_47radix_sort_onesweep_sort_config_static_selectorELNS0_4arch9wavefront6targetE0EEEvSH_.has_recursion, 0
	.set _ZN7rocprim17ROCPRIM_400000_NS6detail17trampoline_kernelINS0_14default_configENS1_35radix_sort_onesweep_config_selectorI12hip_bfloat16NS0_10empty_typeEEEZZNS1_29radix_sort_onesweep_iterationIS3_Lb0EPKS5_PS5_PS6_SC_mNS0_19identity_decomposerENS1_16block_id_wrapperIjLb0EEEEE10hipError_tT1_PNSt15iterator_traitsISH_E10value_typeET2_T3_PNSI_ISN_E10value_typeET4_T5_PSS_ST_PNS1_23onesweep_lookback_stateEbbT6_jjT7_P12ihipStream_tbENKUlT_T0_SH_SM_E_clISA_SB_SC_SC_EEDaS10_S11_SH_SM_EUlS10_E_NS1_11comp_targetILNS1_3genE8ELNS1_11target_archE1030ELNS1_3gpuE2ELNS1_3repE0EEENS1_47radix_sort_onesweep_sort_config_static_selectorELNS0_4arch9wavefront6targetE0EEEvSH_.has_indirect_call, 0
	.section	.AMDGPU.csdata,"",@progbits
; Kernel info:
; codeLenInByte = 0
; TotalNumSgprs: 0
; NumVgprs: 0
; ScratchSize: 0
; MemoryBound: 0
; FloatMode: 240
; IeeeMode: 1
; LDSByteSize: 0 bytes/workgroup (compile time only)
; SGPRBlocks: 0
; VGPRBlocks: 0
; NumSGPRsForWavesPerEU: 1
; NumVGPRsForWavesPerEU: 1
; NamedBarCnt: 0
; Occupancy: 16
; WaveLimiterHint : 0
; COMPUTE_PGM_RSRC2:SCRATCH_EN: 0
; COMPUTE_PGM_RSRC2:USER_SGPR: 2
; COMPUTE_PGM_RSRC2:TRAP_HANDLER: 0
; COMPUTE_PGM_RSRC2:TGID_X_EN: 1
; COMPUTE_PGM_RSRC2:TGID_Y_EN: 0
; COMPUTE_PGM_RSRC2:TGID_Z_EN: 0
; COMPUTE_PGM_RSRC2:TIDIG_COMP_CNT: 0
	.section	.text._ZN7rocprim17ROCPRIM_400000_NS6detail17trampoline_kernelINS0_14default_configENS1_35radix_sort_onesweep_config_selectorI12hip_bfloat16NS0_10empty_typeEEEZZNS1_29radix_sort_onesweep_iterationIS3_Lb0EPKS5_PS5_PS6_SC_mNS0_19identity_decomposerENS1_16block_id_wrapperIjLb0EEEEE10hipError_tT1_PNSt15iterator_traitsISH_E10value_typeET2_T3_PNSI_ISN_E10value_typeET4_T5_PSS_ST_PNS1_23onesweep_lookback_stateEbbT6_jjT7_P12ihipStream_tbENKUlT_T0_SH_SM_E_clISB_SB_SC_SC_EEDaS10_S11_SH_SM_EUlS10_E_NS1_11comp_targetILNS1_3genE0ELNS1_11target_archE4294967295ELNS1_3gpuE0ELNS1_3repE0EEENS1_47radix_sort_onesweep_sort_config_static_selectorELNS0_4arch9wavefront6targetE0EEEvSH_,"axG",@progbits,_ZN7rocprim17ROCPRIM_400000_NS6detail17trampoline_kernelINS0_14default_configENS1_35radix_sort_onesweep_config_selectorI12hip_bfloat16NS0_10empty_typeEEEZZNS1_29radix_sort_onesweep_iterationIS3_Lb0EPKS5_PS5_PS6_SC_mNS0_19identity_decomposerENS1_16block_id_wrapperIjLb0EEEEE10hipError_tT1_PNSt15iterator_traitsISH_E10value_typeET2_T3_PNSI_ISN_E10value_typeET4_T5_PSS_ST_PNS1_23onesweep_lookback_stateEbbT6_jjT7_P12ihipStream_tbENKUlT_T0_SH_SM_E_clISB_SB_SC_SC_EEDaS10_S11_SH_SM_EUlS10_E_NS1_11comp_targetILNS1_3genE0ELNS1_11target_archE4294967295ELNS1_3gpuE0ELNS1_3repE0EEENS1_47radix_sort_onesweep_sort_config_static_selectorELNS0_4arch9wavefront6targetE0EEEvSH_,comdat
	.protected	_ZN7rocprim17ROCPRIM_400000_NS6detail17trampoline_kernelINS0_14default_configENS1_35radix_sort_onesweep_config_selectorI12hip_bfloat16NS0_10empty_typeEEEZZNS1_29radix_sort_onesweep_iterationIS3_Lb0EPKS5_PS5_PS6_SC_mNS0_19identity_decomposerENS1_16block_id_wrapperIjLb0EEEEE10hipError_tT1_PNSt15iterator_traitsISH_E10value_typeET2_T3_PNSI_ISN_E10value_typeET4_T5_PSS_ST_PNS1_23onesweep_lookback_stateEbbT6_jjT7_P12ihipStream_tbENKUlT_T0_SH_SM_E_clISB_SB_SC_SC_EEDaS10_S11_SH_SM_EUlS10_E_NS1_11comp_targetILNS1_3genE0ELNS1_11target_archE4294967295ELNS1_3gpuE0ELNS1_3repE0EEENS1_47radix_sort_onesweep_sort_config_static_selectorELNS0_4arch9wavefront6targetE0EEEvSH_ ; -- Begin function _ZN7rocprim17ROCPRIM_400000_NS6detail17trampoline_kernelINS0_14default_configENS1_35radix_sort_onesweep_config_selectorI12hip_bfloat16NS0_10empty_typeEEEZZNS1_29radix_sort_onesweep_iterationIS3_Lb0EPKS5_PS5_PS6_SC_mNS0_19identity_decomposerENS1_16block_id_wrapperIjLb0EEEEE10hipError_tT1_PNSt15iterator_traitsISH_E10value_typeET2_T3_PNSI_ISN_E10value_typeET4_T5_PSS_ST_PNS1_23onesweep_lookback_stateEbbT6_jjT7_P12ihipStream_tbENKUlT_T0_SH_SM_E_clISB_SB_SC_SC_EEDaS10_S11_SH_SM_EUlS10_E_NS1_11comp_targetILNS1_3genE0ELNS1_11target_archE4294967295ELNS1_3gpuE0ELNS1_3repE0EEENS1_47radix_sort_onesweep_sort_config_static_selectorELNS0_4arch9wavefront6targetE0EEEvSH_
	.globl	_ZN7rocprim17ROCPRIM_400000_NS6detail17trampoline_kernelINS0_14default_configENS1_35radix_sort_onesweep_config_selectorI12hip_bfloat16NS0_10empty_typeEEEZZNS1_29radix_sort_onesweep_iterationIS3_Lb0EPKS5_PS5_PS6_SC_mNS0_19identity_decomposerENS1_16block_id_wrapperIjLb0EEEEE10hipError_tT1_PNSt15iterator_traitsISH_E10value_typeET2_T3_PNSI_ISN_E10value_typeET4_T5_PSS_ST_PNS1_23onesweep_lookback_stateEbbT6_jjT7_P12ihipStream_tbENKUlT_T0_SH_SM_E_clISB_SB_SC_SC_EEDaS10_S11_SH_SM_EUlS10_E_NS1_11comp_targetILNS1_3genE0ELNS1_11target_archE4294967295ELNS1_3gpuE0ELNS1_3repE0EEENS1_47radix_sort_onesweep_sort_config_static_selectorELNS0_4arch9wavefront6targetE0EEEvSH_
	.p2align	8
	.type	_ZN7rocprim17ROCPRIM_400000_NS6detail17trampoline_kernelINS0_14default_configENS1_35radix_sort_onesweep_config_selectorI12hip_bfloat16NS0_10empty_typeEEEZZNS1_29radix_sort_onesweep_iterationIS3_Lb0EPKS5_PS5_PS6_SC_mNS0_19identity_decomposerENS1_16block_id_wrapperIjLb0EEEEE10hipError_tT1_PNSt15iterator_traitsISH_E10value_typeET2_T3_PNSI_ISN_E10value_typeET4_T5_PSS_ST_PNS1_23onesweep_lookback_stateEbbT6_jjT7_P12ihipStream_tbENKUlT_T0_SH_SM_E_clISB_SB_SC_SC_EEDaS10_S11_SH_SM_EUlS10_E_NS1_11comp_targetILNS1_3genE0ELNS1_11target_archE4294967295ELNS1_3gpuE0ELNS1_3repE0EEENS1_47radix_sort_onesweep_sort_config_static_selectorELNS0_4arch9wavefront6targetE0EEEvSH_,@function
_ZN7rocprim17ROCPRIM_400000_NS6detail17trampoline_kernelINS0_14default_configENS1_35radix_sort_onesweep_config_selectorI12hip_bfloat16NS0_10empty_typeEEEZZNS1_29radix_sort_onesweep_iterationIS3_Lb0EPKS5_PS5_PS6_SC_mNS0_19identity_decomposerENS1_16block_id_wrapperIjLb0EEEEE10hipError_tT1_PNSt15iterator_traitsISH_E10value_typeET2_T3_PNSI_ISN_E10value_typeET4_T5_PSS_ST_PNS1_23onesweep_lookback_stateEbbT6_jjT7_P12ihipStream_tbENKUlT_T0_SH_SM_E_clISB_SB_SC_SC_EEDaS10_S11_SH_SM_EUlS10_E_NS1_11comp_targetILNS1_3genE0ELNS1_11target_archE4294967295ELNS1_3gpuE0ELNS1_3repE0EEENS1_47radix_sort_onesweep_sort_config_static_selectorELNS0_4arch9wavefront6targetE0EEEvSH_: ; @_ZN7rocprim17ROCPRIM_400000_NS6detail17trampoline_kernelINS0_14default_configENS1_35radix_sort_onesweep_config_selectorI12hip_bfloat16NS0_10empty_typeEEEZZNS1_29radix_sort_onesweep_iterationIS3_Lb0EPKS5_PS5_PS6_SC_mNS0_19identity_decomposerENS1_16block_id_wrapperIjLb0EEEEE10hipError_tT1_PNSt15iterator_traitsISH_E10value_typeET2_T3_PNSI_ISN_E10value_typeET4_T5_PSS_ST_PNS1_23onesweep_lookback_stateEbbT6_jjT7_P12ihipStream_tbENKUlT_T0_SH_SM_E_clISB_SB_SC_SC_EEDaS10_S11_SH_SM_EUlS10_E_NS1_11comp_targetILNS1_3genE0ELNS1_11target_archE4294967295ELNS1_3gpuE0ELNS1_3repE0EEENS1_47radix_sort_onesweep_sort_config_static_selectorELNS0_4arch9wavefront6targetE0EEEvSH_
; %bb.0:
	s_clause 0x3
	s_load_b96 s[20:22], s[0:1], 0x44
	s_load_b64 s[10:11], s[0:1], 0x38
	s_load_b128 s[16:19], s[0:1], 0x0
	s_load_b128 s[12:15], s[0:1], 0x28
	s_bfe_u32 s2, ttmp6, 0x4000c
	s_and_b32 s3, ttmp6, 15
	s_add_co_i32 s2, s2, 1
	s_getreg_b32 s4, hwreg(HW_REG_IB_STS2, 6, 4)
	s_mul_i32 s5, ttmp9, s2
	v_mbcnt_lo_u32_b32 v14, -1, 0
	s_add_co_i32 s3, s3, s5
	s_cmp_eq_u32 s4, 0
	v_and_b32_e32 v15, 0x1e0, v0
	s_cselect_b32 s9, ttmp9, s3
	s_mov_b32 s25, 0
	s_mov_b32 s2, -1
	s_mul_i32 s24, s9, 0x1800
	s_add_nc_u64 s[26:27], s[0:1], 0x58
	s_wait_kmcnt 0x0
	s_cmp_ge_u32 s9, s22
	s_cbranch_scc0 .LBB2078_96
; %bb.1:
	s_load_b32 s4, s[0:1], 0x20
	v_dual_mov_b32 v3, 0 :: v_dual_lshlrev_b32 v2, 1, v14
	s_lshl_b64 s[2:3], s[24:25], 1
	v_mul_u32_u24_e32 v1, 12, v15
	s_add_nc_u64 s[2:3], s[16:17], s[2:3]
	v_mov_b32_e32 v12, 0x7fff
	v_add_nc_u64_e32 v[4:5], s[2:3], v[2:3]
	v_mov_b32_e32 v10, 0x7fff
	v_dual_lshlrev_b32 v2, 1, v1 :: v_dual_bitop2_b32 v1, v14, v1 bitop3:0x54
	s_mul_i32 s2, s22, 0xffffe800
	s_delay_alu instid0(VALU_DEP_1)
	v_add_nc_u64_e32 v[2:3], v[4:5], v[2:3]
	s_wait_kmcnt 0x0
	s_add_co_i32 s22, s4, s2
	s_mov_b32 s2, exec_lo
	v_cmpx_gt_u32_e64 s22, v1
	s_cbranch_execz .LBB2078_3
; %bb.2:
	global_load_u16 v10, v[2:3], off
.LBB2078_3:
	s_wait_xcnt 0x0
	s_or_b32 exec_lo, exec_lo, s2
	v_or_b32_e32 v4, 32, v1
	s_mov_b32 s2, exec_lo
	s_delay_alu instid0(VALU_DEP_1)
	v_cmpx_gt_u32_e64 s22, v4
	s_cbranch_execz .LBB2078_5
; %bb.4:
	global_load_u16 v12, v[2:3], off offset:64
.LBB2078_5:
	s_wait_xcnt 0x0
	s_or_b32 exec_lo, exec_lo, s2
	v_or_b32_e32 v4, 64, v1
	v_mov_b32_e32 v21, 0x7fff
	v_mov_b32_e32 v17, 0x7fff
	s_mov_b32 s2, exec_lo
	s_delay_alu instid0(VALU_DEP_3)
	v_cmpx_gt_u32_e64 s22, v4
	s_cbranch_execz .LBB2078_7
; %bb.6:
	global_load_u16 v17, v[2:3], off offset:128
.LBB2078_7:
	s_wait_xcnt 0x0
	s_or_b32 exec_lo, exec_lo, s2
	v_or_b32_e32 v4, 0x60, v1
	s_mov_b32 s2, exec_lo
	s_delay_alu instid0(VALU_DEP_1)
	v_cmpx_gt_u32_e64 s22, v4
	s_cbranch_execz .LBB2078_9
; %bb.8:
	global_load_u16 v21, v[2:3], off offset:192
.LBB2078_9:
	s_wait_xcnt 0x0
	s_or_b32 exec_lo, exec_lo, s2
	v_add_nc_u32_e32 v4, 0x80, v1
	v_dual_mov_b32 v30, 0x7fff :: v_dual_mov_b32 v25, 0x7fff
	s_mov_b32 s2, exec_lo
	s_delay_alu instid0(VALU_DEP_2)
	v_cmpx_gt_u32_e64 s22, v4
	s_cbranch_execz .LBB2078_11
; %bb.10:
	global_load_u16 v25, v[2:3], off offset:256
.LBB2078_11:
	s_wait_xcnt 0x0
	s_or_b32 exec_lo, exec_lo, s2
	v_add_nc_u32_e32 v4, 0xa0, v1
	s_mov_b32 s2, exec_lo
	s_delay_alu instid0(VALU_DEP_1)
	v_cmpx_gt_u32_e64 s22, v4
	s_cbranch_execz .LBB2078_13
; %bb.12:
	global_load_u16 v30, v[2:3], off offset:320
.LBB2078_13:
	s_wait_xcnt 0x0
	s_or_b32 exec_lo, exec_lo, s2
	v_add_nc_u32_e32 v4, 0xc0, v1
	v_dual_mov_b32 v8, 0x7fff :: v_dual_mov_b32 v9, 0x7fff
	s_mov_b32 s2, exec_lo
	s_delay_alu instid0(VALU_DEP_2)
	v_cmpx_gt_u32_e64 s22, v4
	s_cbranch_execz .LBB2078_15
; %bb.14:
	global_load_u16 v9, v[2:3], off offset:384
.LBB2078_15:
	s_wait_xcnt 0x0
	s_or_b32 exec_lo, exec_lo, s2
	v_add_nc_u32_e32 v4, 0xe0, v1
	;; [unrolled: 21-line block ×3, first 2 shown]
	s_mov_b32 s2, exec_lo
	s_delay_alu instid0(VALU_DEP_1)
	v_cmpx_gt_u32_e64 s22, v4
	s_cbranch_execz .LBB2078_21
; %bb.20:
	global_load_u16 v6, v[2:3], off offset:576
.LBB2078_21:
	s_wait_xcnt 0x0
	s_or_b32 exec_lo, exec_lo, s2
	v_add_nc_u32_e32 v5, 0x140, v1
	v_mov_b32_e32 v4, 0x7fff
	s_delay_alu instid0(VALU_DEP_2)
	v_cmp_gt_u32_e32 vcc_lo, s22, v5
	v_mov_b32_e32 v5, 0x7fff
	s_and_saveexec_b32 s2, vcc_lo
	s_cbranch_execz .LBB2078_23
; %bb.22:
	global_load_u16 v5, v[2:3], off offset:640
.LBB2078_23:
	s_wait_xcnt 0x0
	s_or_b32 exec_lo, exec_lo, s2
	v_add_nc_u32_e32 v11, 0x160, v1
	v_and_b32_e32 v1, 0x3ff, v0
	s_mov_b32 s2, exec_lo
	s_delay_alu instid0(VALU_DEP_2)
	v_cmpx_gt_u32_e64 s22, v11
	s_cbranch_execz .LBB2078_25
; %bb.24:
	global_load_u16 v4, v[2:3], off offset:704
.LBB2078_25:
	s_wait_xcnt 0x0
	s_or_b32 exec_lo, exec_lo, s2
	s_wait_loadcnt 0x0
	v_cmp_lt_i16_e32 vcc_lo, -1, v10
	s_clause 0x1
	s_load_b32 s23, s[0:1], 0x58
	s_load_u16 s4, s[0:1], 0x66
	v_bfe_u32 v3, v0, 10, 10
	v_bfe_u32 v11, v0, 20, 10
	s_mov_b32 s3, 0
	v_cndmask_b32_e64 v2, -1, 0xffff8000, vcc_lo
	s_delay_alu instid0(VALU_DEP_1) | instskip(NEXT) | instid1(VALU_DEP_1)
	v_xor_b32_e32 v10, v2, v10
	v_cmp_ne_u16_e32 vcc_lo, 0x7fff, v10
	s_wait_kmcnt 0x0
	s_cmp_lt_u32 s9, s23
	v_cndmask_b32_e32 v2, 0xffff8000, v10, vcc_lo
	s_cselect_b32 s2, 12, 18
	s_lshl_b32 s7, -1, s21
	v_mad_u32_u24 v3, v11, s4, v3
	s_add_nc_u64 s[2:3], s[26:27], s[2:3]
	v_and_b32_e32 v2, 0xffff, v2
	s_load_u16 s8, s[2:3], 0x0
	s_not_b32 s25, s7
	s_delay_alu instid0(VALU_DEP_1) | instskip(NEXT) | instid1(VALU_DEP_1)
	v_lshrrev_b32_e32 v2, s20, v2
	v_bitop3_b32 v16, v2, s7, v2 bitop3:0x30
	s_delay_alu instid0(VALU_DEP_1) | instskip(SKIP_4) | instid1(VALU_DEP_3)
	v_lshlrev_b32_e32 v18, 29, v16
	v_bitop3_b32 v11, v2, 1, s7 bitop3:0x40
	v_dual_lshlrev_b32 v13, 30, v16 :: v_dual_lshlrev_b32 v19, 28, v16
	v_dual_lshlrev_b32 v20, 27, v16 :: v_dual_lshlrev_b32 v22, 26, v16
	s_wait_xcnt 0x0
	v_add_co_u32 v2, s2, v11, -1
	s_delay_alu instid0(VALU_DEP_1) | instskip(SKIP_3) | instid1(VALU_DEP_4)
	v_cndmask_b32_e64 v11, 0, 1, s2
	v_cmp_gt_i32_e64 s2, 0, v13
	v_cmp_gt_i32_e64 s3, 0, v18
	v_dual_lshlrev_b32 v23, 25, v16 :: v_dual_lshlrev_b32 v24, 24, v16
	v_cmp_ne_u32_e32 vcc_lo, 0, v11
	v_not_b32_e32 v11, v13
	v_not_b32_e32 v13, v18
	;; [unrolled: 1-line block ×3, first 2 shown]
	v_cmp_gt_i32_e64 s4, 0, v19
	v_cmp_gt_i32_e64 s5, 0, v20
	v_dual_ashrrev_i32 v11, 31, v11 :: v_dual_bitop2_b32 v2, vcc_lo, v2 bitop3:0x14
	v_not_b32_e32 v19, v20
	v_not_b32_e32 v20, v22
	v_dual_ashrrev_i32 v13, 31, v13 :: v_dual_ashrrev_i32 v18, 31, v18
	s_delay_alu instid0(VALU_DEP_4) | instskip(SKIP_1) | instid1(VALU_DEP_3)
	v_xor_b32_e32 v11, s2, v11
	v_cmp_gt_i32_e64 s6, 0, v22
	v_dual_ashrrev_i32 v19, 31, v19 :: v_dual_bitop2_b32 v13, s3, v13 bitop3:0x14
	v_ashrrev_i32_e32 v20, 31, v20
	s_delay_alu instid0(VALU_DEP_4)
	v_bitop3_b32 v2, v2, v11, exec_lo bitop3:0x80
	v_not_b32_e32 v11, v23
	v_xor_b32_e32 v18, s4, v18
	v_not_b32_e32 v22, v24
	v_xor_b32_e32 v19, s5, v19
	v_xor_b32_e32 v20, s6, v20
	v_cmp_gt_i32_e32 vcc_lo, 0, v23
	v_ashrrev_i32_e32 v11, 31, v11
	v_bitop3_b32 v2, v2, v18, v13 bitop3:0x80
	v_cmp_gt_i32_e64 s2, 0, v24
	v_ashrrev_i32_e32 v13, 31, v22
	s_wait_kmcnt 0x0
	v_mad_u32 v22, v3, s8, v1
	v_mov_b32_e32 v18, 0
	v_bitop3_b32 v2, v2, v20, v19 bitop3:0x80
	v_xor_b32_e32 v3, vcc_lo, v11
	v_xor_b32_e32 v11, s2, v13
	v_mul_u32_u24_e32 v13, 36, v1
	ds_store_2addr_b32 v13, v18, v18 offset0:16 offset1:17
	ds_store_2addr_b32 v13, v18, v18 offset0:18 offset1:19
	ds_store_2addr_b32 v13, v18, v18 offset0:20 offset1:21
	ds_store_2addr_b32 v13, v18, v18 offset0:22 offset1:23
	v_bitop3_b32 v3, v2, v11, v3 bitop3:0x80
	v_lshrrev_b32_e32 v2, 5, v22
	ds_store_b32 v13, v18 offset:96
	s_wait_dscnt 0x0
	s_barrier_signal -1
	v_mbcnt_lo_u32_b32 v11, v3, 0
	v_lshlrev_b32_e32 v2, 2, v2
	v_cmp_ne_u32_e64 s2, 0, v3
	s_barrier_wait -1
	s_delay_alu instid0(VALU_DEP_3) | instskip(NEXT) | instid1(VALU_DEP_3)
	v_cmp_eq_u32_e32 vcc_lo, 0, v11
	v_mad_u32_u24 v16, 0x44, v16, v2
	; wave barrier
	s_and_b32 s3, s2, vcc_lo
	s_delay_alu instid0(SALU_CYCLE_1)
	s_and_saveexec_b32 s2, s3
; %bb.26:
	v_bcnt_u32_b32 v3, v3, 0
	ds_store_b32 v16, v3 offset:64
; %bb.27:
	s_or_b32 exec_lo, exec_lo, s2
	v_cmp_lt_i16_e32 vcc_lo, -1, v12
	; wave barrier
	v_cndmask_b32_e64 v3, -1, 0xffff8000, vcc_lo
	s_delay_alu instid0(VALU_DEP_1) | instskip(NEXT) | instid1(VALU_DEP_1)
	v_xor_b32_e32 v12, v3, v12
	v_cmp_ne_u16_e32 vcc_lo, 0x7fff, v12
	v_cndmask_b32_e32 v3, 0xffff8000, v12, vcc_lo
	s_delay_alu instid0(VALU_DEP_1) | instskip(NEXT) | instid1(VALU_DEP_1)
	v_and_b32_e32 v3, 0xffff, v3
	v_lshrrev_b32_e32 v3, s20, v3
	s_delay_alu instid0(VALU_DEP_1) | instskip(SKIP_1) | instid1(VALU_DEP_2)
	v_bitop3_b32 v18, v3, 1, s25 bitop3:0x80
	v_and_b32_e32 v3, s25, v3
	v_add_co_u32 v18, s2, v18, -1
	s_delay_alu instid0(VALU_DEP_1) | instskip(NEXT) | instid1(VALU_DEP_3)
	v_cndmask_b32_e64 v19, 0, 1, s2
	v_dual_lshlrev_b32 v20, 30, v3 :: v_dual_lshlrev_b32 v22, 29, v3
	s_delay_alu instid0(VALU_DEP_2) | instskip(NEXT) | instid1(VALU_DEP_2)
	v_cmp_ne_u32_e32 vcc_lo, 0, v19
	v_cmp_gt_i32_e64 s2, 0, v20
	v_not_b32_e32 v19, v20
	s_delay_alu instid0(VALU_DEP_4) | instskip(SKIP_1) | instid1(VALU_DEP_2)
	v_not_b32_e32 v20, v22
	v_cmp_gt_i32_e64 s3, 0, v22
	v_dual_ashrrev_i32 v20, 31, v20 :: v_dual_bitop2_b32 v18, vcc_lo, v18 bitop3:0x14
	v_dual_lshlrev_b32 v23, 28, v3 :: v_dual_lshlrev_b32 v24, 27, v3
	v_dual_lshlrev_b32 v26, 26, v3 :: v_dual_lshlrev_b32 v27, 25, v3
	v_lshlrev_b32_e32 v28, 24, v3
	s_delay_alu instid0(VALU_DEP_3) | instskip(SKIP_4) | instid1(VALU_DEP_4)
	v_cmp_gt_i32_e64 s4, 0, v23
	v_not_b32_e32 v22, v23
	v_cmp_gt_i32_e64 s5, 0, v24
	v_not_b32_e32 v23, v24
	v_not_b32_e32 v24, v26
	v_dual_ashrrev_i32 v19, 31, v19 :: v_dual_ashrrev_i32 v22, 31, v22
	v_cmp_gt_i32_e64 s6, 0, v26
	v_cmp_gt_i32_e64 s7, 0, v27
	s_delay_alu instid0(VALU_DEP_3)
	v_dual_ashrrev_i32 v24, 31, v24 :: v_dual_bitop2_b32 v19, s2, v19 bitop3:0x14
	v_not_b32_e32 v26, v27
	v_not_b32_e32 v27, v28
	v_dual_ashrrev_i32 v23, 31, v23 :: v_dual_bitop2_b32 v20, s3, v20 bitop3:0x14
	v_xor_b32_e32 v22, s4, v22
	v_bitop3_b32 v18, v18, v19, exec_lo bitop3:0x80
	v_cmp_gt_i32_e64 s8, 0, v28
	s_delay_alu instid0(VALU_DEP_4) | instskip(SKIP_1) | instid1(VALU_DEP_4)
	v_dual_ashrrev_i32 v19, 31, v26 :: v_dual_bitop2_b32 v23, s5, v23 bitop3:0x14
	v_dual_ashrrev_i32 v26, 31, v27 :: v_dual_bitop2_b32 v24, s6, v24 bitop3:0x14
	v_bitop3_b32 v18, v18, v22, v20 bitop3:0x80
	v_mad_u32_u24 v20, 0x44, v3, v2
	s_delay_alu instid0(VALU_DEP_4) | instskip(NEXT) | instid1(VALU_DEP_4)
	v_xor_b32_e32 v3, s7, v19
	v_xor_b32_e32 v19, s8, v26
	s_delay_alu instid0(VALU_DEP_4) | instskip(SKIP_2) | instid1(VALU_DEP_1)
	v_bitop3_b32 v22, v18, v24, v23 bitop3:0x80
	ds_load_b32 v18, v20 offset:64
	; wave barrier
	v_bitop3_b32 v3, v22, v19, v3 bitop3:0x80
	v_mbcnt_lo_u32_b32 v19, v3, 0
	v_cmp_ne_u32_e64 s2, 0, v3
	s_delay_alu instid0(VALU_DEP_2) | instskip(SKIP_1) | instid1(SALU_CYCLE_1)
	v_cmp_eq_u32_e32 vcc_lo, 0, v19
	s_and_b32 s3, s2, vcc_lo
	s_and_saveexec_b32 s2, s3
	s_cbranch_execz .LBB2078_29
; %bb.28:
	s_wait_dscnt 0x0
	v_bcnt_u32_b32 v3, v3, v18
	ds_store_b32 v20, v3 offset:64
.LBB2078_29:
	s_or_b32 exec_lo, exec_lo, s2
	v_cmp_lt_i16_e32 vcc_lo, -1, v17
	; wave barrier
	v_cndmask_b32_e64 v3, -1, 0xffff8000, vcc_lo
	s_delay_alu instid0(VALU_DEP_1) | instskip(NEXT) | instid1(VALU_DEP_1)
	v_xor_b32_e32 v17, v3, v17
	v_cmp_ne_u16_e32 vcc_lo, 0x7fff, v17
	v_cndmask_b32_e32 v3, 0xffff8000, v17, vcc_lo
	s_delay_alu instid0(VALU_DEP_1) | instskip(NEXT) | instid1(VALU_DEP_1)
	v_and_b32_e32 v3, 0xffff, v3
	v_lshrrev_b32_e32 v3, s20, v3
	s_delay_alu instid0(VALU_DEP_1) | instskip(SKIP_1) | instid1(VALU_DEP_2)
	v_bitop3_b32 v22, v3, 1, s25 bitop3:0x80
	v_and_b32_e32 v3, s25, v3
	v_add_co_u32 v22, s2, v22, -1
	s_delay_alu instid0(VALU_DEP_1) | instskip(NEXT) | instid1(VALU_DEP_3)
	v_cndmask_b32_e64 v23, 0, 1, s2
	v_dual_lshlrev_b32 v24, 30, v3 :: v_dual_lshlrev_b32 v26, 29, v3
	v_lshlrev_b32_e32 v27, 28, v3
	s_delay_alu instid0(VALU_DEP_3) | instskip(NEXT) | instid1(VALU_DEP_3)
	v_cmp_ne_u32_e32 vcc_lo, 0, v23
	v_cmp_gt_i32_e64 s2, 0, v24
	v_not_b32_e32 v23, v24
	v_cmp_gt_i32_e64 s3, 0, v26
	v_not_b32_e32 v24, v26
	v_not_b32_e32 v26, v27
	s_delay_alu instid0(VALU_DEP_2) | instskip(NEXT) | instid1(VALU_DEP_2)
	v_dual_ashrrev_i32 v24, 31, v24 :: v_dual_bitop2_b32 v22, vcc_lo, v22 bitop3:0x14
	v_dual_ashrrev_i32 v26, 31, v26 :: v_dual_lshlrev_b32 v28, 27, v3
	v_dual_lshlrev_b32 v29, 26, v3 :: v_dual_lshlrev_b32 v31, 25, v3
	v_cmp_gt_i32_e64 s4, 0, v27
	v_lshlrev_b32_e32 v32, 24, v3
	s_delay_alu instid0(VALU_DEP_4)
	v_cmp_gt_i32_e64 s5, 0, v28
	v_not_b32_e32 v27, v28
	v_not_b32_e32 v28, v29
	v_ashrrev_i32_e32 v23, 31, v23
	v_cmp_gt_i32_e64 s6, 0, v29
	v_cmp_gt_i32_e64 s7, 0, v31
	v_not_b32_e32 v29, v31
	s_delay_alu instid0(VALU_DEP_4) | instskip(SKIP_3) | instid1(VALU_DEP_4)
	v_dual_ashrrev_i32 v28, 31, v28 :: v_dual_bitop2_b32 v23, s2, v23 bitop3:0x14
	v_not_b32_e32 v31, v32
	v_dual_ashrrev_i32 v27, 31, v27 :: v_dual_bitop2_b32 v24, s3, v24 bitop3:0x14
	v_xor_b32_e32 v26, s4, v26
	v_bitop3_b32 v22, v22, v23, exec_lo bitop3:0x80
	v_cmp_gt_i32_e64 s8, 0, v32
	v_dual_ashrrev_i32 v23, 31, v29 :: v_dual_ashrrev_i32 v29, 31, v31
	v_xor_b32_e32 v28, s6, v28
	v_xor_b32_e32 v27, s5, v27
	v_bitop3_b32 v22, v22, v26, v24 bitop3:0x80
	v_mad_u32_u24 v24, 0x44, v3, v2
	v_xor_b32_e32 v3, s7, v23
	v_xor_b32_e32 v23, s8, v29
	s_delay_alu instid0(VALU_DEP_4) | instskip(SKIP_2) | instid1(VALU_DEP_1)
	v_bitop3_b32 v26, v22, v28, v27 bitop3:0x80
	ds_load_b32 v22, v24 offset:64
	; wave barrier
	v_bitop3_b32 v3, v26, v23, v3 bitop3:0x80
	v_mbcnt_lo_u32_b32 v23, v3, 0
	v_cmp_ne_u32_e64 s2, 0, v3
	s_delay_alu instid0(VALU_DEP_2) | instskip(SKIP_1) | instid1(SALU_CYCLE_1)
	v_cmp_eq_u32_e32 vcc_lo, 0, v23
	s_and_b32 s3, s2, vcc_lo
	s_and_saveexec_b32 s2, s3
	s_cbranch_execz .LBB2078_31
; %bb.30:
	s_wait_dscnt 0x0
	v_bcnt_u32_b32 v3, v3, v22
	ds_store_b32 v24, v3 offset:64
.LBB2078_31:
	s_or_b32 exec_lo, exec_lo, s2
	v_cmp_lt_i16_e32 vcc_lo, -1, v21
	; wave barrier
	v_cndmask_b32_e64 v3, -1, 0xffff8000, vcc_lo
	s_delay_alu instid0(VALU_DEP_1) | instskip(NEXT) | instid1(VALU_DEP_1)
	v_xor_b32_e32 v21, v3, v21
	v_cmp_ne_u16_e32 vcc_lo, 0x7fff, v21
	v_cndmask_b32_e32 v3, 0xffff8000, v21, vcc_lo
	s_delay_alu instid0(VALU_DEP_1) | instskip(NEXT) | instid1(VALU_DEP_1)
	v_and_b32_e32 v3, 0xffff, v3
	v_lshrrev_b32_e32 v3, s20, v3
	s_delay_alu instid0(VALU_DEP_1) | instskip(SKIP_1) | instid1(VALU_DEP_2)
	v_bitop3_b32 v26, v3, 1, s25 bitop3:0x80
	v_and_b32_e32 v3, s25, v3
	v_add_co_u32 v26, s2, v26, -1
	s_delay_alu instid0(VALU_DEP_1) | instskip(NEXT) | instid1(VALU_DEP_3)
	v_cndmask_b32_e64 v27, 0, 1, s2
	v_dual_lshlrev_b32 v28, 30, v3 :: v_dual_lshlrev_b32 v29, 29, v3
	v_lshlrev_b32_e32 v31, 28, v3
	s_delay_alu instid0(VALU_DEP_3) | instskip(NEXT) | instid1(VALU_DEP_3)
	v_cmp_ne_u32_e32 vcc_lo, 0, v27
	v_cmp_gt_i32_e64 s2, 0, v28
	v_not_b32_e32 v27, v28
	v_cmp_gt_i32_e64 s3, 0, v29
	v_not_b32_e32 v28, v29
	v_not_b32_e32 v29, v31
	s_delay_alu instid0(VALU_DEP_2) | instskip(NEXT) | instid1(VALU_DEP_2)
	v_dual_ashrrev_i32 v28, 31, v28 :: v_dual_bitop2_b32 v26, vcc_lo, v26 bitop3:0x14
	v_dual_ashrrev_i32 v29, 31, v29 :: v_dual_lshlrev_b32 v32, 27, v3
	v_dual_lshlrev_b32 v33, 26, v3 :: v_dual_lshlrev_b32 v34, 25, v3
	v_lshlrev_b32_e32 v35, 24, v3
	v_cmp_gt_i32_e64 s4, 0, v31
	s_delay_alu instid0(VALU_DEP_4)
	v_cmp_gt_i32_e64 s5, 0, v32
	v_not_b32_e32 v31, v32
	v_not_b32_e32 v32, v33
	v_ashrrev_i32_e32 v27, 31, v27
	v_cmp_gt_i32_e64 s6, 0, v33
	v_cmp_gt_i32_e64 s7, 0, v34
	v_not_b32_e32 v33, v34
	v_not_b32_e32 v34, v35
	v_dual_ashrrev_i32 v32, 31, v32 :: v_dual_bitop2_b32 v27, s2, v27 bitop3:0x14
	v_dual_ashrrev_i32 v31, 31, v31 :: v_dual_bitop2_b32 v28, s3, v28 bitop3:0x14
	v_xor_b32_e32 v29, s4, v29
	v_cmp_gt_i32_e64 s8, 0, v35
	s_delay_alu instid0(VALU_DEP_4) | instskip(NEXT) | instid1(VALU_DEP_4)
	v_bitop3_b32 v26, v26, v27, exec_lo bitop3:0x80
	v_dual_ashrrev_i32 v27, 31, v33 :: v_dual_bitop2_b32 v31, s5, v31 bitop3:0x14
	v_dual_ashrrev_i32 v33, 31, v34 :: v_dual_bitop2_b32 v32, s6, v32 bitop3:0x14
	s_delay_alu instid0(VALU_DEP_3) | instskip(SKIP_1) | instid1(VALU_DEP_4)
	v_bitop3_b32 v26, v26, v29, v28 bitop3:0x80
	v_mad_u32_u24 v28, 0x44, v3, v2
	v_xor_b32_e32 v3, s7, v27
	s_delay_alu instid0(VALU_DEP_4) | instskip(NEXT) | instid1(VALU_DEP_4)
	v_xor_b32_e32 v27, s8, v33
	v_bitop3_b32 v29, v26, v32, v31 bitop3:0x80
	ds_load_b32 v26, v28 offset:64
	; wave barrier
	v_bitop3_b32 v3, v29, v27, v3 bitop3:0x80
	s_delay_alu instid0(VALU_DEP_1) | instskip(SKIP_1) | instid1(VALU_DEP_2)
	v_mbcnt_lo_u32_b32 v27, v3, 0
	v_cmp_ne_u32_e64 s2, 0, v3
	v_cmp_eq_u32_e32 vcc_lo, 0, v27
	s_and_b32 s3, s2, vcc_lo
	s_delay_alu instid0(SALU_CYCLE_1)
	s_and_saveexec_b32 s2, s3
	s_cbranch_execz .LBB2078_33
; %bb.32:
	s_wait_dscnt 0x0
	v_bcnt_u32_b32 v3, v3, v26
	ds_store_b32 v28, v3 offset:64
.LBB2078_33:
	s_or_b32 exec_lo, exec_lo, s2
	v_cmp_lt_i16_e32 vcc_lo, -1, v25
	; wave barrier
	v_cndmask_b32_e64 v3, -1, 0xffff8000, vcc_lo
	s_delay_alu instid0(VALU_DEP_1) | instskip(NEXT) | instid1(VALU_DEP_1)
	v_xor_b32_e32 v25, v3, v25
	v_cmp_ne_u16_e32 vcc_lo, 0x7fff, v25
	v_cndmask_b32_e32 v3, 0xffff8000, v25, vcc_lo
	s_delay_alu instid0(VALU_DEP_1) | instskip(NEXT) | instid1(VALU_DEP_1)
	v_and_b32_e32 v3, 0xffff, v3
	v_lshrrev_b32_e32 v3, s20, v3
	s_delay_alu instid0(VALU_DEP_1) | instskip(SKIP_1) | instid1(VALU_DEP_2)
	v_bitop3_b32 v29, v3, 1, s25 bitop3:0x80
	v_and_b32_e32 v3, s25, v3
	v_add_co_u32 v29, s2, v29, -1
	s_delay_alu instid0(VALU_DEP_1) | instskip(NEXT) | instid1(VALU_DEP_3)
	v_cndmask_b32_e64 v31, 0, 1, s2
	v_dual_lshlrev_b32 v32, 30, v3 :: v_dual_lshlrev_b32 v33, 29, v3
	v_lshlrev_b32_e32 v34, 28, v3
	s_delay_alu instid0(VALU_DEP_3) | instskip(NEXT) | instid1(VALU_DEP_3)
	v_cmp_ne_u32_e32 vcc_lo, 0, v31
	v_cmp_gt_i32_e64 s2, 0, v32
	v_not_b32_e32 v31, v32
	v_cmp_gt_i32_e64 s3, 0, v33
	v_not_b32_e32 v32, v33
	v_not_b32_e32 v33, v34
	s_delay_alu instid0(VALU_DEP_2) | instskip(NEXT) | instid1(VALU_DEP_2)
	v_dual_ashrrev_i32 v32, 31, v32 :: v_dual_bitop2_b32 v29, vcc_lo, v29 bitop3:0x14
	v_dual_ashrrev_i32 v33, 31, v33 :: v_dual_lshlrev_b32 v35, 27, v3
	v_dual_lshlrev_b32 v36, 26, v3 :: v_dual_lshlrev_b32 v37, 25, v3
	v_lshlrev_b32_e32 v38, 24, v3
	v_cmp_gt_i32_e64 s4, 0, v34
	s_delay_alu instid0(VALU_DEP_4)
	v_not_b32_e32 v34, v35
	v_ashrrev_i32_e32 v31, 31, v31
	v_cmp_gt_i32_e64 s5, 0, v35
	v_cmp_gt_i32_e64 s6, 0, v36
	v_not_b32_e32 v35, v36
	v_cmp_gt_i32_e64 s7, 0, v37
	v_not_b32_e32 v36, v37
	v_not_b32_e32 v37, v38
	v_dual_ashrrev_i32 v34, 31, v34 :: v_dual_bitop2_b32 v31, s2, v31 bitop3:0x14
	v_dual_ashrrev_i32 v35, 31, v35 :: v_dual_bitop2_b32 v32, s3, v32 bitop3:0x14
	v_xor_b32_e32 v33, s4, v33
	v_cmp_gt_i32_e64 s8, 0, v38
	s_delay_alu instid0(VALU_DEP_4) | instskip(SKIP_3) | instid1(VALU_DEP_4)
	v_bitop3_b32 v29, v29, v31, exec_lo bitop3:0x80
	v_dual_ashrrev_i32 v31, 31, v36 :: v_dual_ashrrev_i32 v36, 31, v37
	v_xor_b32_e32 v34, s5, v34
	v_xor_b32_e32 v35, s6, v35
	v_bitop3_b32 v29, v29, v33, v32 bitop3:0x80
	v_mad_u32_u24 v32, 0x44, v3, v2
	v_xor_b32_e32 v3, s7, v31
	v_xor_b32_e32 v31, s8, v36
	s_delay_alu instid0(VALU_DEP_4) | instskip(SKIP_2) | instid1(VALU_DEP_1)
	v_bitop3_b32 v33, v29, v35, v34 bitop3:0x80
	ds_load_b32 v29, v32 offset:64
	; wave barrier
	v_bitop3_b32 v3, v33, v31, v3 bitop3:0x80
	v_mbcnt_lo_u32_b32 v31, v3, 0
	v_cmp_ne_u32_e64 s2, 0, v3
	s_delay_alu instid0(VALU_DEP_2) | instskip(SKIP_1) | instid1(SALU_CYCLE_1)
	v_cmp_eq_u32_e32 vcc_lo, 0, v31
	s_and_b32 s3, s2, vcc_lo
	s_and_saveexec_b32 s2, s3
	s_cbranch_execz .LBB2078_35
; %bb.34:
	s_wait_dscnt 0x0
	v_bcnt_u32_b32 v3, v3, v29
	ds_store_b32 v32, v3 offset:64
.LBB2078_35:
	s_or_b32 exec_lo, exec_lo, s2
	v_cmp_lt_i16_e32 vcc_lo, -1, v30
	; wave barrier
	v_cndmask_b32_e64 v3, -1, 0xffff8000, vcc_lo
	s_delay_alu instid0(VALU_DEP_1) | instskip(NEXT) | instid1(VALU_DEP_1)
	v_xor_b32_e32 v30, v3, v30
	v_cmp_ne_u16_e32 vcc_lo, 0x7fff, v30
	v_cndmask_b32_e32 v3, 0xffff8000, v30, vcc_lo
	s_delay_alu instid0(VALU_DEP_1) | instskip(NEXT) | instid1(VALU_DEP_1)
	v_and_b32_e32 v3, 0xffff, v3
	v_lshrrev_b32_e32 v3, s20, v3
	s_delay_alu instid0(VALU_DEP_1) | instskip(SKIP_1) | instid1(VALU_DEP_2)
	v_bitop3_b32 v33, v3, 1, s25 bitop3:0x80
	v_and_b32_e32 v3, s25, v3
	v_add_co_u32 v33, s2, v33, -1
	s_delay_alu instid0(VALU_DEP_1) | instskip(NEXT) | instid1(VALU_DEP_3)
	v_cndmask_b32_e64 v34, 0, 1, s2
	v_lshlrev_b32_e32 v35, 30, v3
	s_delay_alu instid0(VALU_DEP_2) | instskip(NEXT) | instid1(VALU_DEP_2)
	v_cmp_ne_u32_e32 vcc_lo, 0, v34
	v_not_b32_e32 v34, v35
	s_delay_alu instid0(VALU_DEP_1) | instskip(SKIP_4) | instid1(VALU_DEP_4)
	v_dual_ashrrev_i32 v34, 31, v34 :: v_dual_bitop2_b32 v33, vcc_lo, v33 bitop3:0x14
	v_dual_lshlrev_b32 v36, 29, v3 :: v_dual_lshlrev_b32 v37, 28, v3
	v_dual_lshlrev_b32 v38, 27, v3 :: v_dual_lshlrev_b32 v39, 26, v3
	v_lshlrev_b32_e32 v40, 25, v3
	v_cmp_gt_i32_e64 s2, 0, v35
	v_cmp_gt_i32_e64 s3, 0, v36
	v_not_b32_e32 v35, v36
	v_not_b32_e32 v36, v37
	v_lshlrev_b32_e32 v41, 24, v3
	v_cmp_gt_i32_e64 s4, 0, v37
	v_cmp_gt_i32_e64 s5, 0, v38
	v_not_b32_e32 v37, v38
	v_not_b32_e32 v38, v39
	v_dual_ashrrev_i32 v35, 31, v35 :: v_dual_bitop2_b32 v34, s2, v34 bitop3:0x14
	v_ashrrev_i32_e32 v36, 31, v36
	v_cmp_gt_i32_e64 s6, 0, v39
	v_cmp_gt_i32_e64 s7, 0, v40
	v_not_b32_e32 v39, v40
	v_not_b32_e32 v40, v41
	v_dual_ashrrev_i32 v37, 31, v37 :: v_dual_ashrrev_i32 v38, 31, v38
	v_xor_b32_e32 v35, s3, v35
	v_xor_b32_e32 v36, s4, v36
	v_bitop3_b32 v33, v33, v34, exec_lo bitop3:0x80
	v_cmp_gt_i32_e64 s8, 0, v41
	v_dual_ashrrev_i32 v34, 31, v39 :: v_dual_ashrrev_i32 v39, 31, v40
	v_xor_b32_e32 v37, s5, v37
	v_xor_b32_e32 v38, s6, v38
	v_bitop3_b32 v33, v33, v36, v35 bitop3:0x80
	v_mad_u32_u24 v36, 0x44, v3, v2
	v_xor_b32_e32 v3, s7, v34
	v_xor_b32_e32 v34, s8, v39
	s_delay_alu instid0(VALU_DEP_4) | instskip(SKIP_2) | instid1(VALU_DEP_1)
	v_bitop3_b32 v35, v33, v38, v37 bitop3:0x80
	ds_load_b32 v33, v36 offset:64
	; wave barrier
	v_bitop3_b32 v3, v35, v34, v3 bitop3:0x80
	v_mbcnt_lo_u32_b32 v34, v3, 0
	v_cmp_ne_u32_e64 s2, 0, v3
	s_delay_alu instid0(VALU_DEP_2) | instskip(SKIP_1) | instid1(SALU_CYCLE_1)
	v_cmp_eq_u32_e32 vcc_lo, 0, v34
	s_and_b32 s3, s2, vcc_lo
	s_and_saveexec_b32 s2, s3
	s_cbranch_execz .LBB2078_37
; %bb.36:
	s_wait_dscnt 0x0
	v_bcnt_u32_b32 v3, v3, v33
	ds_store_b32 v36, v3 offset:64
.LBB2078_37:
	s_or_b32 exec_lo, exec_lo, s2
	v_cmp_lt_i16_e32 vcc_lo, -1, v9
	; wave barrier
	v_cndmask_b32_e64 v3, -1, 0xffff8000, vcc_lo
	s_delay_alu instid0(VALU_DEP_1) | instskip(NEXT) | instid1(VALU_DEP_1)
	v_xor_b32_e32 v35, v3, v9
	v_cmp_ne_u16_e32 vcc_lo, 0x7fff, v35
	v_cndmask_b32_e32 v3, 0xffff8000, v35, vcc_lo
	s_delay_alu instid0(VALU_DEP_1) | instskip(NEXT) | instid1(VALU_DEP_1)
	v_and_b32_e32 v3, 0xffff, v3
	v_lshrrev_b32_e32 v3, s20, v3
	s_delay_alu instid0(VALU_DEP_1) | instskip(SKIP_1) | instid1(VALU_DEP_2)
	v_bitop3_b32 v9, v3, 1, s25 bitop3:0x80
	v_and_b32_e32 v3, s25, v3
	v_add_co_u32 v9, s2, v9, -1
	s_delay_alu instid0(VALU_DEP_1) | instskip(NEXT) | instid1(VALU_DEP_3)
	v_cndmask_b32_e64 v37, 0, 1, s2
	v_lshlrev_b32_e32 v38, 30, v3
	s_delay_alu instid0(VALU_DEP_2) | instskip(NEXT) | instid1(VALU_DEP_2)
	v_cmp_ne_u32_e32 vcc_lo, 0, v37
	v_not_b32_e32 v37, v38
	v_xor_b32_e32 v9, vcc_lo, v9
	s_delay_alu instid0(VALU_DEP_2) | instskip(SKIP_3) | instid1(VALU_DEP_4)
	v_dual_ashrrev_i32 v37, 31, v37 :: v_dual_lshlrev_b32 v39, 29, v3
	v_dual_lshlrev_b32 v40, 28, v3 :: v_dual_lshlrev_b32 v41, 27, v3
	v_dual_lshlrev_b32 v42, 26, v3 :: v_dual_lshlrev_b32 v43, 25, v3
	v_cmp_gt_i32_e64 s2, 0, v38
	v_cmp_gt_i32_e64 s3, 0, v39
	v_not_b32_e32 v38, v39
	v_not_b32_e32 v39, v40
	v_lshlrev_b32_e32 v44, 24, v3
	v_cmp_gt_i32_e64 s4, 0, v40
	v_cmp_gt_i32_e64 s5, 0, v41
	v_not_b32_e32 v40, v41
	v_not_b32_e32 v41, v42
	v_dual_ashrrev_i32 v38, 31, v38 :: v_dual_ashrrev_i32 v39, 31, v39
	v_xor_b32_e32 v37, s2, v37
	v_cmp_gt_i32_e64 s6, 0, v42
	v_cmp_gt_i32_e64 s7, 0, v43
	v_not_b32_e32 v42, v43
	v_not_b32_e32 v43, v44
	v_dual_ashrrev_i32 v40, 31, v40 :: v_dual_ashrrev_i32 v41, 31, v41
	v_xor_b32_e32 v38, s3, v38
	v_xor_b32_e32 v39, s4, v39
	v_bitop3_b32 v9, v9, v37, exec_lo bitop3:0x80
	v_cmp_gt_i32_e64 s8, 0, v44
	v_dual_ashrrev_i32 v37, 31, v42 :: v_dual_ashrrev_i32 v42, 31, v43
	v_xor_b32_e32 v43, s5, v40
	v_xor_b32_e32 v41, s6, v41
	v_bitop3_b32 v9, v9, v39, v38 bitop3:0x80
	v_mad_u32_u24 v40, 0x44, v3, v2
	v_xor_b32_e32 v3, s7, v37
	v_xor_b32_e32 v37, s8, v42
	s_delay_alu instid0(VALU_DEP_4) | instskip(SKIP_2) | instid1(VALU_DEP_1)
	v_bitop3_b32 v9, v9, v41, v43 bitop3:0x80
	ds_load_b32 v38, v40 offset:64
	; wave barrier
	v_bitop3_b32 v3, v9, v37, v3 bitop3:0x80
	v_mbcnt_lo_u32_b32 v39, v3, 0
	v_cmp_ne_u32_e64 s2, 0, v3
	s_delay_alu instid0(VALU_DEP_2) | instskip(SKIP_1) | instid1(SALU_CYCLE_1)
	v_cmp_eq_u32_e32 vcc_lo, 0, v39
	s_and_b32 s3, s2, vcc_lo
	s_and_saveexec_b32 s2, s3
	s_cbranch_execz .LBB2078_39
; %bb.38:
	s_wait_dscnt 0x0
	v_bcnt_u32_b32 v3, v3, v38
	ds_store_b32 v40, v3 offset:64
.LBB2078_39:
	s_or_b32 exec_lo, exec_lo, s2
	v_cmp_lt_i16_e32 vcc_lo, -1, v8
	; wave barrier
	v_cndmask_b32_e64 v3, -1, 0xffff8000, vcc_lo
	s_delay_alu instid0(VALU_DEP_1) | instskip(NEXT) | instid1(VALU_DEP_1)
	v_xor_b32_e32 v37, v3, v8
	v_cmp_ne_u16_e32 vcc_lo, 0x7fff, v37
	v_cndmask_b32_e32 v3, 0xffff8000, v37, vcc_lo
	s_delay_alu instid0(VALU_DEP_1) | instskip(NEXT) | instid1(VALU_DEP_1)
	v_and_b32_e32 v3, 0xffff, v3
	v_lshrrev_b32_e32 v3, s20, v3
	s_delay_alu instid0(VALU_DEP_1) | instskip(SKIP_1) | instid1(VALU_DEP_2)
	v_bitop3_b32 v8, v3, 1, s25 bitop3:0x80
	v_and_b32_e32 v3, s25, v3
	v_add_co_u32 v8, s2, v8, -1
	s_delay_alu instid0(VALU_DEP_1) | instskip(NEXT) | instid1(VALU_DEP_3)
	v_cndmask_b32_e64 v9, 0, 1, s2
	v_lshlrev_b32_e32 v41, 30, v3
	s_delay_alu instid0(VALU_DEP_2) | instskip(NEXT) | instid1(VALU_DEP_2)
	v_cmp_ne_u32_e32 vcc_lo, 0, v9
	v_not_b32_e32 v9, v41
	s_delay_alu instid0(VALU_DEP_1) | instskip(SKIP_4) | instid1(VALU_DEP_4)
	v_dual_ashrrev_i32 v9, 31, v9 :: v_dual_bitop2_b32 v8, vcc_lo, v8 bitop3:0x14
	v_dual_lshlrev_b32 v42, 29, v3 :: v_dual_lshlrev_b32 v43, 28, v3
	v_dual_lshlrev_b32 v44, 27, v3 :: v_dual_lshlrev_b32 v45, 26, v3
	v_lshlrev_b32_e32 v46, 25, v3
	v_cmp_gt_i32_e64 s2, 0, v41
	v_cmp_gt_i32_e64 s3, 0, v42
	v_not_b32_e32 v41, v42
	v_not_b32_e32 v42, v43
	v_lshlrev_b32_e32 v47, 24, v3
	v_cmp_gt_i32_e64 s4, 0, v43
	v_cmp_gt_i32_e64 s5, 0, v44
	v_not_b32_e32 v43, v44
	v_not_b32_e32 v44, v45
	v_dual_ashrrev_i32 v41, 31, v41 :: v_dual_ashrrev_i32 v42, 31, v42
	v_xor_b32_e32 v9, s2, v9
	v_cmp_gt_i32_e64 s6, 0, v45
	v_cmp_gt_i32_e64 s7, 0, v46
	v_not_b32_e32 v45, v46
	v_not_b32_e32 v46, v47
	v_dual_ashrrev_i32 v43, 31, v43 :: v_dual_ashrrev_i32 v44, 31, v44
	v_xor_b32_e32 v41, s3, v41
	v_xor_b32_e32 v42, s4, v42
	v_bitop3_b32 v8, v8, v9, exec_lo bitop3:0x80
	v_cmp_gt_i32_e64 s8, 0, v47
	v_dual_ashrrev_i32 v9, 31, v45 :: v_dual_ashrrev_i32 v45, 31, v46
	v_xor_b32_e32 v43, s5, v43
	v_xor_b32_e32 v46, s6, v44
	v_bitop3_b32 v8, v8, v42, v41 bitop3:0x80
	v_mad_u32_u24 v44, 0x44, v3, v2
	v_xor_b32_e32 v3, s7, v9
	v_xor_b32_e32 v9, s8, v45
	s_delay_alu instid0(VALU_DEP_4) | instskip(SKIP_2) | instid1(VALU_DEP_1)
	v_bitop3_b32 v8, v8, v46, v43 bitop3:0x80
	ds_load_b32 v42, v44 offset:64
	; wave barrier
	v_bitop3_b32 v3, v8, v9, v3 bitop3:0x80
	v_mbcnt_lo_u32_b32 v43, v3, 0
	v_cmp_ne_u32_e64 s2, 0, v3
	s_delay_alu instid0(VALU_DEP_2) | instskip(SKIP_1) | instid1(SALU_CYCLE_1)
	v_cmp_eq_u32_e32 vcc_lo, 0, v43
	s_and_b32 s3, s2, vcc_lo
	s_and_saveexec_b32 s2, s3
	s_cbranch_execz .LBB2078_41
; %bb.40:
	s_wait_dscnt 0x0
	v_bcnt_u32_b32 v3, v3, v42
	ds_store_b32 v44, v3 offset:64
.LBB2078_41:
	s_or_b32 exec_lo, exec_lo, s2
	v_cmp_lt_i16_e32 vcc_lo, -1, v7
	; wave barrier
	v_cndmask_b32_e64 v3, -1, 0xffff8000, vcc_lo
	s_delay_alu instid0(VALU_DEP_1) | instskip(NEXT) | instid1(VALU_DEP_1)
	v_xor_b32_e32 v41, v3, v7
	v_cmp_ne_u16_e32 vcc_lo, 0x7fff, v41
	v_cndmask_b32_e32 v3, 0xffff8000, v41, vcc_lo
	s_delay_alu instid0(VALU_DEP_1) | instskip(NEXT) | instid1(VALU_DEP_1)
	v_and_b32_e32 v3, 0xffff, v3
	v_lshrrev_b32_e32 v3, s20, v3
	s_delay_alu instid0(VALU_DEP_1) | instskip(SKIP_1) | instid1(VALU_DEP_2)
	v_bitop3_b32 v7, v3, 1, s25 bitop3:0x80
	v_and_b32_e32 v3, s25, v3
	v_add_co_u32 v7, s2, v7, -1
	s_delay_alu instid0(VALU_DEP_1) | instskip(NEXT) | instid1(VALU_DEP_3)
	v_cndmask_b32_e64 v8, 0, 1, s2
	v_dual_lshlrev_b32 v9, 30, v3 :: v_dual_lshlrev_b32 v45, 29, v3
	v_lshlrev_b32_e32 v46, 28, v3
	s_delay_alu instid0(VALU_DEP_3) | instskip(NEXT) | instid1(VALU_DEP_3)
	v_cmp_ne_u32_e32 vcc_lo, 0, v8
	v_cmp_gt_i32_e64 s2, 0, v9
	v_not_b32_e32 v8, v9
	v_cmp_gt_i32_e64 s3, 0, v45
	v_not_b32_e32 v9, v45
	v_not_b32_e32 v45, v46
	s_delay_alu instid0(VALU_DEP_2) | instskip(NEXT) | instid1(VALU_DEP_2)
	v_dual_ashrrev_i32 v8, 31, v8 :: v_dual_ashrrev_i32 v9, 31, v9
	v_dual_ashrrev_i32 v45, 31, v45 :: v_dual_lshlrev_b32 v47, 27, v3
	v_dual_lshlrev_b32 v48, 26, v3 :: v_dual_lshlrev_b32 v49, 25, v3
	s_delay_alu instid0(VALU_DEP_3) | instskip(SKIP_1) | instid1(VALU_DEP_4)
	v_dual_lshlrev_b32 v50, 24, v3 :: v_dual_bitop2_b32 v8, s2, v8 bitop3:0x14
	v_cmp_gt_i32_e64 s4, 0, v46
	v_cmp_gt_i32_e64 s5, 0, v47
	v_not_b32_e32 v46, v47
	v_cmp_gt_i32_e64 s6, 0, v48
	v_not_b32_e32 v47, v48
	v_not_b32_e32 v48, v49
	v_xor_b32_e32 v7, vcc_lo, v7
	v_cmp_gt_i32_e64 s7, 0, v49
	v_not_b32_e32 v49, v50
	v_dual_ashrrev_i32 v46, 31, v46 :: v_dual_ashrrev_i32 v47, 31, v47
	v_xor_b32_e32 v9, s3, v9
	v_xor_b32_e32 v45, s4, v45
	v_bitop3_b32 v7, v7, v8, exec_lo bitop3:0x80
	v_cmp_gt_i32_e64 s8, 0, v50
	v_dual_ashrrev_i32 v8, 31, v48 :: v_dual_ashrrev_i32 v49, 31, v49
	v_xor_b32_e32 v46, s5, v46
	v_xor_b32_e32 v47, s6, v47
	v_bitop3_b32 v7, v7, v45, v9 bitop3:0x80
	v_mad_u32_u24 v48, 0x44, v3, v2
	v_xor_b32_e32 v3, s7, v8
	v_xor_b32_e32 v8, s8, v49
	s_delay_alu instid0(VALU_DEP_4) | instskip(SKIP_2) | instid1(VALU_DEP_1)
	v_bitop3_b32 v7, v7, v47, v46 bitop3:0x80
	ds_load_b32 v46, v48 offset:64
	; wave barrier
	v_bitop3_b32 v3, v7, v8, v3 bitop3:0x80
	v_mbcnt_lo_u32_b32 v47, v3, 0
	v_cmp_ne_u32_e64 s2, 0, v3
	s_delay_alu instid0(VALU_DEP_2) | instskip(SKIP_1) | instid1(SALU_CYCLE_1)
	v_cmp_eq_u32_e32 vcc_lo, 0, v47
	s_and_b32 s3, s2, vcc_lo
	s_and_saveexec_b32 s2, s3
	s_cbranch_execz .LBB2078_43
; %bb.42:
	s_wait_dscnt 0x0
	v_bcnt_u32_b32 v3, v3, v46
	ds_store_b32 v48, v3 offset:64
.LBB2078_43:
	s_or_b32 exec_lo, exec_lo, s2
	v_cmp_lt_i16_e32 vcc_lo, -1, v6
	; wave barrier
	v_cndmask_b32_e64 v3, -1, 0xffff8000, vcc_lo
	s_delay_alu instid0(VALU_DEP_1) | instskip(NEXT) | instid1(VALU_DEP_1)
	v_xor_b32_e32 v45, v3, v6
	v_cmp_ne_u16_e32 vcc_lo, 0x7fff, v45
	v_cndmask_b32_e32 v3, 0xffff8000, v45, vcc_lo
	s_delay_alu instid0(VALU_DEP_1) | instskip(NEXT) | instid1(VALU_DEP_1)
	v_and_b32_e32 v3, 0xffff, v3
	v_lshrrev_b32_e32 v3, s20, v3
	s_delay_alu instid0(VALU_DEP_1) | instskip(SKIP_1) | instid1(VALU_DEP_2)
	v_bitop3_b32 v6, v3, 1, s25 bitop3:0x80
	v_and_b32_e32 v3, s25, v3
	v_add_co_u32 v6, s2, v6, -1
	s_delay_alu instid0(VALU_DEP_1) | instskip(NEXT) | instid1(VALU_DEP_3)
	v_cndmask_b32_e64 v7, 0, 1, s2
	v_dual_lshlrev_b32 v8, 30, v3 :: v_dual_lshlrev_b32 v9, 29, v3
	v_lshlrev_b32_e32 v49, 28, v3
	s_delay_alu instid0(VALU_DEP_3) | instskip(NEXT) | instid1(VALU_DEP_3)
	v_cmp_ne_u32_e32 vcc_lo, 0, v7
	v_cmp_gt_i32_e64 s2, 0, v8
	v_not_b32_e32 v7, v8
	v_cmp_gt_i32_e64 s3, 0, v9
	v_not_b32_e32 v8, v9
	v_not_b32_e32 v9, v49
	s_delay_alu instid0(VALU_DEP_2) | instskip(NEXT) | instid1(VALU_DEP_2)
	v_dual_ashrrev_i32 v8, 31, v8 :: v_dual_bitop2_b32 v6, vcc_lo, v6 bitop3:0x14
	v_dual_ashrrev_i32 v9, 31, v9 :: v_dual_lshlrev_b32 v50, 27, v3
	v_dual_lshlrev_b32 v51, 26, v3 :: v_dual_lshlrev_b32 v52, 25, v3
	v_cmp_gt_i32_e64 s4, 0, v49
	v_lshlrev_b32_e32 v53, 24, v3
	s_delay_alu instid0(VALU_DEP_4) | instskip(SKIP_4) | instid1(VALU_DEP_4)
	v_not_b32_e32 v49, v50
	v_ashrrev_i32_e32 v7, 31, v7
	v_cmp_gt_i32_e64 s5, 0, v50
	v_not_b32_e32 v50, v51
	v_cmp_gt_i32_e64 s6, 0, v51
	v_dual_ashrrev_i32 v49, 31, v49 :: v_dual_bitop2_b32 v7, s2, v7 bitop3:0x14
	v_cmp_gt_i32_e64 s7, 0, v52
	v_not_b32_e32 v51, v52
	v_not_b32_e32 v52, v53
	v_dual_ashrrev_i32 v50, 31, v50 :: v_dual_bitop2_b32 v8, s3, v8 bitop3:0x14
	v_xor_b32_e32 v9, s4, v9
	v_bitop3_b32 v6, v6, v7, exec_lo bitop3:0x80
	v_cmp_gt_i32_e64 s8, 0, v53
	v_dual_ashrrev_i32 v7, 31, v51 :: v_dual_ashrrev_i32 v51, 31, v52
	v_xor_b32_e32 v49, s5, v49
	v_xor_b32_e32 v50, s6, v50
	v_bitop3_b32 v6, v6, v9, v8 bitop3:0x80
	v_mad_u32_u24 v52, 0x44, v3, v2
	v_xor_b32_e32 v3, s7, v7
	v_xor_b32_e32 v7, s8, v51
	s_delay_alu instid0(VALU_DEP_4) | instskip(SKIP_2) | instid1(VALU_DEP_1)
	v_bitop3_b32 v6, v6, v50, v49 bitop3:0x80
	ds_load_b32 v49, v52 offset:64
	; wave barrier
	v_bitop3_b32 v3, v6, v7, v3 bitop3:0x80
	v_mbcnt_lo_u32_b32 v51, v3, 0
	v_cmp_ne_u32_e64 s2, 0, v3
	s_delay_alu instid0(VALU_DEP_2) | instskip(SKIP_1) | instid1(SALU_CYCLE_1)
	v_cmp_eq_u32_e32 vcc_lo, 0, v51
	s_and_b32 s3, s2, vcc_lo
	s_and_saveexec_b32 s2, s3
	s_cbranch_execz .LBB2078_45
; %bb.44:
	s_wait_dscnt 0x0
	v_bcnt_u32_b32 v3, v3, v49
	ds_store_b32 v52, v3 offset:64
.LBB2078_45:
	s_or_b32 exec_lo, exec_lo, s2
	v_cmp_lt_i16_e32 vcc_lo, -1, v5
	; wave barrier
	v_cndmask_b32_e64 v3, -1, 0xffff8000, vcc_lo
	s_delay_alu instid0(VALU_DEP_1) | instskip(NEXT) | instid1(VALU_DEP_1)
	v_xor_b32_e32 v50, v3, v5
	v_cmp_ne_u16_e32 vcc_lo, 0x7fff, v50
	v_cndmask_b32_e32 v3, 0xffff8000, v50, vcc_lo
	s_delay_alu instid0(VALU_DEP_1) | instskip(NEXT) | instid1(VALU_DEP_1)
	v_and_b32_e32 v3, 0xffff, v3
	v_lshrrev_b32_e32 v3, s20, v3
	s_delay_alu instid0(VALU_DEP_1) | instskip(SKIP_1) | instid1(VALU_DEP_2)
	v_bitop3_b32 v5, v3, 1, s25 bitop3:0x80
	v_and_b32_e32 v3, s25, v3
	v_add_co_u32 v5, s2, v5, -1
	s_delay_alu instid0(VALU_DEP_1) | instskip(NEXT) | instid1(VALU_DEP_3)
	v_cndmask_b32_e64 v6, 0, 1, s2
	v_lshlrev_b32_e32 v7, 30, v3
	s_delay_alu instid0(VALU_DEP_2) | instskip(NEXT) | instid1(VALU_DEP_2)
	v_cmp_ne_u32_e32 vcc_lo, 0, v6
	v_not_b32_e32 v6, v7
	s_delay_alu instid0(VALU_DEP_1) | instskip(SKIP_4) | instid1(VALU_DEP_4)
	v_dual_ashrrev_i32 v6, 31, v6 :: v_dual_bitop2_b32 v5, vcc_lo, v5 bitop3:0x14
	v_dual_lshlrev_b32 v8, 29, v3 :: v_dual_lshlrev_b32 v9, 28, v3
	v_dual_lshlrev_b32 v53, 27, v3 :: v_dual_lshlrev_b32 v54, 26, v3
	v_lshlrev_b32_e32 v55, 25, v3
	v_cmp_gt_i32_e64 s2, 0, v7
	v_cmp_gt_i32_e64 s3, 0, v8
	v_not_b32_e32 v7, v8
	v_not_b32_e32 v8, v9
	v_lshlrev_b32_e32 v56, 24, v3
	v_cmp_gt_i32_e64 s4, 0, v9
	v_cmp_gt_i32_e64 s5, 0, v53
	v_not_b32_e32 v9, v53
	v_not_b32_e32 v53, v54
	v_dual_ashrrev_i32 v7, 31, v7 :: v_dual_bitop2_b32 v6, s2, v6 bitop3:0x14
	v_ashrrev_i32_e32 v8, 31, v8
	v_cmp_gt_i32_e64 s6, 0, v54
	v_cmp_gt_i32_e64 s7, 0, v55
	v_not_b32_e32 v54, v55
	v_not_b32_e32 v55, v56
	v_dual_ashrrev_i32 v9, 31, v9 :: v_dual_bitop2_b32 v7, s3, v7 bitop3:0x14
	v_dual_ashrrev_i32 v53, 31, v53 :: v_dual_bitop2_b32 v8, s4, v8 bitop3:0x14
	v_bitop3_b32 v5, v5, v6, exec_lo bitop3:0x80
	v_cmp_gt_i32_e64 s8, 0, v56
	v_dual_ashrrev_i32 v6, 31, v54 :: v_dual_ashrrev_i32 v54, 31, v55
	v_xor_b32_e32 v9, s5, v9
	v_xor_b32_e32 v53, s6, v53
	v_bitop3_b32 v5, v5, v8, v7 bitop3:0x80
	v_mad_u32_u24 v57, 0x44, v3, v2
	v_xor_b32_e32 v3, s7, v6
	v_xor_b32_e32 v6, s8, v54
	s_delay_alu instid0(VALU_DEP_4) | instskip(SKIP_2) | instid1(VALU_DEP_1)
	v_bitop3_b32 v5, v5, v53, v9 bitop3:0x80
	ds_load_b32 v53, v57 offset:64
	; wave barrier
	v_bitop3_b32 v3, v5, v6, v3 bitop3:0x80
	v_mbcnt_lo_u32_b32 v54, v3, 0
	v_cmp_ne_u32_e64 s2, 0, v3
	s_delay_alu instid0(VALU_DEP_2) | instskip(SKIP_1) | instid1(SALU_CYCLE_1)
	v_cmp_eq_u32_e32 vcc_lo, 0, v54
	s_and_b32 s3, s2, vcc_lo
	s_and_saveexec_b32 s2, s3
	s_cbranch_execz .LBB2078_47
; %bb.46:
	s_wait_dscnt 0x0
	v_bcnt_u32_b32 v3, v3, v53
	ds_store_b32 v57, v3 offset:64
.LBB2078_47:
	s_or_b32 exec_lo, exec_lo, s2
	v_cmp_lt_i16_e32 vcc_lo, -1, v4
	; wave barrier
	v_cndmask_b32_e64 v3, -1, 0xffff8000, vcc_lo
	s_delay_alu instid0(VALU_DEP_1) | instskip(NEXT) | instid1(VALU_DEP_1)
	v_xor_b32_e32 v55, v3, v4
	v_cmp_ne_u16_e32 vcc_lo, 0x7fff, v55
	v_cndmask_b32_e32 v3, 0xffff8000, v55, vcc_lo
	s_delay_alu instid0(VALU_DEP_1) | instskip(NEXT) | instid1(VALU_DEP_1)
	v_and_b32_e32 v3, 0xffff, v3
	v_lshrrev_b32_e32 v3, s20, v3
	s_delay_alu instid0(VALU_DEP_1) | instskip(SKIP_1) | instid1(VALU_DEP_2)
	v_bitop3_b32 v4, v3, 1, s25 bitop3:0x80
	v_and_b32_e32 v3, s25, v3
	v_add_co_u32 v4, s2, v4, -1
	s_delay_alu instid0(VALU_DEP_1) | instskip(NEXT) | instid1(VALU_DEP_3)
	v_cndmask_b32_e64 v5, 0, 1, s2
	v_lshlrev_b32_e32 v6, 30, v3
	s_delay_alu instid0(VALU_DEP_2) | instskip(NEXT) | instid1(VALU_DEP_2)
	v_cmp_ne_u32_e32 vcc_lo, 0, v5
	v_not_b32_e32 v5, v6
	s_delay_alu instid0(VALU_DEP_1) | instskip(SKIP_4) | instid1(VALU_DEP_4)
	v_dual_ashrrev_i32 v5, 31, v5 :: v_dual_bitop2_b32 v4, vcc_lo, v4 bitop3:0x14
	v_dual_lshlrev_b32 v7, 29, v3 :: v_dual_lshlrev_b32 v8, 28, v3
	v_dual_lshlrev_b32 v9, 27, v3 :: v_dual_lshlrev_b32 v56, 26, v3
	v_lshlrev_b32_e32 v58, 25, v3
	v_cmp_gt_i32_e64 s2, 0, v6
	v_cmp_gt_i32_e64 s3, 0, v7
	v_not_b32_e32 v6, v7
	v_not_b32_e32 v7, v8
	v_lshlrev_b32_e32 v59, 24, v3
	v_cmp_gt_i32_e64 s4, 0, v8
	v_cmp_gt_i32_e64 s5, 0, v9
	v_not_b32_e32 v8, v9
	v_not_b32_e32 v9, v56
	v_dual_ashrrev_i32 v6, 31, v6 :: v_dual_ashrrev_i32 v7, 31, v7
	v_xor_b32_e32 v5, s2, v5
	v_cmp_gt_i32_e64 s6, 0, v56
	v_cmp_gt_i32_e64 s7, 0, v58
	v_not_b32_e32 v56, v58
	v_not_b32_e32 v58, v59
	v_dual_ashrrev_i32 v8, 31, v8 :: v_dual_ashrrev_i32 v9, 31, v9
	v_xor_b32_e32 v6, s3, v6
	v_xor_b32_e32 v7, s4, v7
	v_bitop3_b32 v4, v4, v5, exec_lo bitop3:0x80
	v_cmp_gt_i32_e64 s8, 0, v59
	v_dual_ashrrev_i32 v5, 31, v56 :: v_dual_ashrrev_i32 v56, 31, v58
	v_xor_b32_e32 v8, s5, v8
	v_xor_b32_e32 v9, s6, v9
	v_bitop3_b32 v4, v4, v7, v6 bitop3:0x80
	v_mad_u32_u24 v59, 0x44, v3, v2
	v_xor_b32_e32 v2, s7, v5
	v_xor_b32_e32 v3, s8, v56
	s_delay_alu instid0(VALU_DEP_4) | instskip(SKIP_2) | instid1(VALU_DEP_1)
	v_bitop3_b32 v4, v4, v9, v8 bitop3:0x80
	ds_load_b32 v56, v59 offset:64
	; wave barrier
	v_bitop3_b32 v2, v4, v3, v2 bitop3:0x80
	v_mbcnt_lo_u32_b32 v58, v2, 0
	v_cmp_ne_u32_e64 s2, 0, v2
	s_delay_alu instid0(VALU_DEP_2) | instskip(SKIP_1) | instid1(SALU_CYCLE_1)
	v_cmp_eq_u32_e32 vcc_lo, 0, v58
	s_and_b32 s3, s2, vcc_lo
	s_and_saveexec_b32 s2, s3
	s_cbranch_execz .LBB2078_49
; %bb.48:
	s_wait_dscnt 0x0
	v_bcnt_u32_b32 v2, v2, v56
	ds_store_b32 v59, v2 offset:64
.LBB2078_49:
	s_or_b32 exec_lo, exec_lo, s2
	; wave barrier
	s_wait_dscnt 0x0
	s_barrier_signal -1
	s_barrier_wait -1
	ds_load_2addr_b32 v[8:9], v13 offset0:16 offset1:17
	ds_load_2addr_b32 v[6:7], v13 offset0:18 offset1:19
	;; [unrolled: 1-line block ×4, first 2 shown]
	ds_load_b32 v60, v13 offset:96
	s_mov_b32 s6, exec_lo
	s_wait_dscnt 0x3
	v_add3_u32 v61, v9, v8, v6
	s_wait_dscnt 0x2
	s_delay_alu instid0(VALU_DEP_1) | instskip(SKIP_1) | instid1(VALU_DEP_1)
	v_add3_u32 v61, v61, v7, v4
	s_wait_dscnt 0x1
	v_add3_u32 v61, v61, v5, v2
	s_wait_dscnt 0x0
	s_delay_alu instid0(VALU_DEP_1) | instskip(SKIP_1) | instid1(VALU_DEP_2)
	v_add3_u32 v60, v61, v3, v60
	v_and_b32_e32 v61, 15, v14
	v_mov_b32_dpp v62, v60 row_shr:1 row_mask:0xf bank_mask:0xf
	s_delay_alu instid0(VALU_DEP_2) | instskip(NEXT) | instid1(VALU_DEP_2)
	v_cmp_eq_u32_e32 vcc_lo, 0, v61
	v_cndmask_b32_e64 v62, v62, 0, vcc_lo
	s_delay_alu instid0(VALU_DEP_1) | instskip(SKIP_3) | instid1(VALU_DEP_4)
	v_add_nc_u32_e32 v60, v62, v60
	v_cmp_lt_u32_e64 s2, 1, v61
	v_cmp_lt_u32_e64 s3, 3, v61
	;; [unrolled: 1-line block ×3, first 2 shown]
	v_mov_b32_dpp v62, v60 row_shr:2 row_mask:0xf bank_mask:0xf
	s_delay_alu instid0(VALU_DEP_1) | instskip(NEXT) | instid1(VALU_DEP_1)
	v_cndmask_b32_e64 v62, 0, v62, s2
	v_add_nc_u32_e32 v60, v60, v62
	s_delay_alu instid0(VALU_DEP_1) | instskip(NEXT) | instid1(VALU_DEP_1)
	v_mov_b32_dpp v62, v60 row_shr:4 row_mask:0xf bank_mask:0xf
	v_cndmask_b32_e64 v62, 0, v62, s3
	s_delay_alu instid0(VALU_DEP_1) | instskip(NEXT) | instid1(VALU_DEP_1)
	v_add_nc_u32_e32 v60, v60, v62
	v_mov_b32_dpp v62, v60 row_shr:8 row_mask:0xf bank_mask:0xf
	s_delay_alu instid0(VALU_DEP_1) | instskip(SKIP_1) | instid1(VALU_DEP_2)
	v_cndmask_b32_e64 v61, 0, v62, s4
	v_bfe_i32 v62, v14, 4, 1
	v_add_nc_u32_e32 v60, v60, v61
	ds_swizzle_b32 v61, v60 offset:swizzle(BROADCAST,32,15)
	s_wait_dscnt 0x0
	v_and_b32_e32 v61, v62, v61
	v_min_u32_e32 v62, 0x1e0, v15
	s_delay_alu instid0(VALU_DEP_1) | instskip(SKIP_1) | instid1(VALU_DEP_2)
	v_dual_add_nc_u32 v60, v60, v61 :: v_dual_bitop2_b32 v62, 31, v62 bitop3:0x54
	v_lshrrev_b32_e32 v61, 5, v1
	v_cmpx_eq_u32_e64 v1, v62
; %bb.50:
	s_delay_alu instid0(VALU_DEP_2)
	v_lshlrev_b32_e32 v62, 2, v61
	ds_store_b32 v62, v60
; %bb.51:
	s_or_b32 exec_lo, exec_lo, s6
	s_delay_alu instid0(SALU_CYCLE_1)
	s_mov_b32 s6, exec_lo
	s_wait_dscnt 0x0
	s_barrier_signal -1
	s_barrier_wait -1
	v_cmpx_gt_u32_e32 16, v1
	s_cbranch_execz .LBB2078_53
; %bb.52:
	v_lshlrev_b32_e32 v62, 2, v1
	ds_load_b32 v63, v62
	s_wait_dscnt 0x0
	v_mov_b32_dpp v64, v63 row_shr:1 row_mask:0xf bank_mask:0xf
	s_delay_alu instid0(VALU_DEP_1) | instskip(NEXT) | instid1(VALU_DEP_1)
	v_cndmask_b32_e64 v64, v64, 0, vcc_lo
	v_add_nc_u32_e32 v63, v64, v63
	s_delay_alu instid0(VALU_DEP_1) | instskip(NEXT) | instid1(VALU_DEP_1)
	v_mov_b32_dpp v64, v63 row_shr:2 row_mask:0xf bank_mask:0xf
	v_cndmask_b32_e64 v64, 0, v64, s2
	s_delay_alu instid0(VALU_DEP_1) | instskip(NEXT) | instid1(VALU_DEP_1)
	v_add_nc_u32_e32 v63, v63, v64
	v_mov_b32_dpp v64, v63 row_shr:4 row_mask:0xf bank_mask:0xf
	s_delay_alu instid0(VALU_DEP_1) | instskip(NEXT) | instid1(VALU_DEP_1)
	v_cndmask_b32_e64 v64, 0, v64, s3
	v_add_nc_u32_e32 v63, v63, v64
	s_delay_alu instid0(VALU_DEP_1) | instskip(NEXT) | instid1(VALU_DEP_1)
	v_mov_b32_dpp v64, v63 row_shr:8 row_mask:0xf bank_mask:0xf
	v_cndmask_b32_e64 v64, 0, v64, s4
	s_delay_alu instid0(VALU_DEP_1)
	v_add_nc_u32_e32 v63, v63, v64
	ds_store_b32 v62, v63
.LBB2078_53:
	s_or_b32 exec_lo, exec_lo, s6
	v_mov_b32_e32 v62, 0
	s_mov_b32 s2, exec_lo
	s_wait_dscnt 0x0
	s_barrier_signal -1
	s_barrier_wait -1
	v_cmpx_lt_u32_e32 31, v1
; %bb.54:
	v_lshl_add_u32 v61, v61, 2, -4
	ds_load_b32 v62, v61
; %bb.55:
	s_or_b32 exec_lo, exec_lo, s2
	v_sub_co_u32 v61, vcc_lo, v14, 1
	s_wait_dscnt 0x0
	v_add_nc_u32_e32 v60, v62, v60
	s_delay_alu instid0(VALU_DEP_2) | instskip(NEXT) | instid1(VALU_DEP_1)
	v_cmp_gt_i32_e64 s2, 0, v61
	v_cndmask_b32_e64 v61, v61, v14, s2
	v_cmp_gt_u32_e64 s2, 0x100, v1
	s_delay_alu instid0(VALU_DEP_2) | instskip(SKIP_4) | instid1(VALU_DEP_2)
	v_lshlrev_b32_e32 v61, 2, v61
	ds_bpermute_b32 v60, v61, v60
	s_wait_dscnt 0x0
	v_cndmask_b32_e32 v60, v60, v62, vcc_lo
	v_cmp_ne_u32_e32 vcc_lo, 0, v1
	v_cndmask_b32_e32 v60, 0, v60, vcc_lo
	v_cmp_lt_u32_e32 vcc_lo, 0xff, v1
	s_delay_alu instid0(VALU_DEP_2) | instskip(NEXT) | instid1(VALU_DEP_1)
	v_add_nc_u32_e32 v8, v60, v8
	v_add_nc_u32_e32 v9, v8, v9
	s_delay_alu instid0(VALU_DEP_1) | instskip(NEXT) | instid1(VALU_DEP_1)
	v_add_nc_u32_e32 v6, v9, v6
	v_add_nc_u32_e32 v7, v6, v7
	s_delay_alu instid0(VALU_DEP_1) | instskip(NEXT) | instid1(VALU_DEP_1)
	;; [unrolled: 3-line block ×3, first 2 shown]
	v_add_nc_u32_e32 v2, v5, v2
	v_add_nc_u32_e32 v3, v2, v3
	ds_store_2addr_b32 v13, v60, v8 offset0:16 offset1:17
	ds_store_2addr_b32 v13, v9, v6 offset0:18 offset1:19
	;; [unrolled: 1-line block ×4, first 2 shown]
	ds_store_b32 v13, v3 offset:96
	s_wait_dscnt 0x0
	s_barrier_signal -1
	s_barrier_wait -1
	ds_load_b32 v61, v16 offset:64
	ds_load_b32 v62, v20 offset:64
	;; [unrolled: 1-line block ×12, first 2 shown]
	v_mov_b64_e32 v[2:3], 0
                                        ; implicit-def: $vgpr4
	s_and_saveexec_b32 s4, s2
	s_cbranch_execz .LBB2078_59
; %bb.56:
	v_mul_u32_u24_e32 v2, 0x44, v1
	v_dual_mov_b32 v3, 0x1800 :: v_dual_add_nc_u32 v4, 1, v1
	s_mov_b32 s5, exec_lo
	ds_load_b32 v2, v2 offset:64
	v_cmpx_ne_u32_e32 0x100, v4
; %bb.57:
	v_mul_u32_u24_e32 v3, 0x44, v4
	ds_load_b32 v3, v3 offset:64
; %bb.58:
	s_or_b32 exec_lo, exec_lo, s5
	s_wait_dscnt 0x0
	v_dual_mov_b32 v3, 0 :: v_dual_sub_nc_u32 v4, v3, v2
.LBB2078_59:
	s_or_b32 exec_lo, exec_lo, s4
	s_wait_dscnt 0xa
	v_dual_lshlrev_b32 v11, 1, v11 :: v_dual_lshlrev_b32 v28, 1, v62
	v_dual_lshlrev_b32 v19, 1, v19 :: v_dual_lshlrev_b32 v18, 1, v18
	v_lshlrev_b32_e32 v22, 1, v22
	s_delay_alu instid0(VALU_DEP_3)
	v_lshl_add_u32 v11, v61, 1, v11
	v_lshlrev_b32_e32 v23, 1, v23
	s_wait_dscnt 0x0
	v_add3_u32 v18, v28, v19, v18
	v_lshlrev_b32_e32 v19, 1, v60
	s_barrier_signal -1
	s_barrier_wait -1
	ds_store_b16 v11, v10 offset:2048
	ds_store_b16 v18, v12 offset:2048
	v_lshlrev_b32_e32 v11, 1, v24
	v_add3_u32 v10, v19, v23, v22
	v_dual_lshlrev_b32 v12, 1, v27 :: v_dual_lshlrev_b32 v18, 1, v26
	v_dual_lshlrev_b32 v22, 1, v29 :: v_dual_lshlrev_b32 v16, 1, v16
	;; [unrolled: 1-line block ×6, first 2 shown]
	ds_store_b16 v10, v17 offset:2048
	v_add3_u32 v10, v11, v12, v18
	v_add3_u32 v12, v16, v23, v24
	v_dual_lshlrev_b32 v16, 1, v43 :: v_dual_lshlrev_b32 v17, 1, v42
	v_add3_u32 v11, v19, v20, v22
	v_add3_u32 v13, v13, v26, v27
	ds_store_b16 v10, v21 offset:2048
	ds_store_b16 v11, v25 offset:2048
	;; [unrolled: 1-line block ×4, first 2 shown]
	v_add3_u32 v9, v9, v16, v17
	v_dual_lshlrev_b32 v8, 1, v8 :: v_dual_lshlrev_b32 v10, 1, v47
	v_dual_lshlrev_b32 v11, 1, v46 :: v_dual_lshlrev_b32 v7, 1, v7
	;; [unrolled: 1-line block ×6, first 2 shown]
	ds_store_b16 v9, v37 offset:2048
	v_add3_u32 v8, v8, v10, v11
	v_add3_u32 v9, v7, v12, v13
	;; [unrolled: 1-line block ×3, first 2 shown]
	v_dual_mov_b32 v7, 0 :: v_dual_lshlrev_b32 v5, 3, v1
	v_add3_u32 v6, v6, v16, v17
	ds_store_b16 v8, v41 offset:2048
	ds_store_b16 v9, v45 offset:2048
	ds_store_b16 v6, v50 offset:2048
	ds_store_b16 v10, v55 offset:2048
	s_and_saveexec_b32 s3, s2
	s_cbranch_execz .LBB2078_69
; %bb.60:
	v_lshl_add_u32 v6, s9, 8, v1
	v_dual_mov_b32 v10, 0 :: v_dual_bitop2_b32 v11, 2.0, v4 bitop3:0x54
	s_mov_b32 s4, 0
	s_mov_b32 s5, s9
	s_delay_alu instid0(VALU_DEP_2)
	v_lshl_add_u64 v[8:9], v[6:7], 2, s[10:11]
	global_store_b32 v6, v11, s[10:11] scale_offset scope:SCOPE_DEV
                                        ; implicit-def: $sgpr2
	s_branch .LBB2078_63
.LBB2078_61:                            ;   in Loop: Header=BB2078_63 Depth=1
	s_or_b32 exec_lo, exec_lo, s7
.LBB2078_62:                            ;   in Loop: Header=BB2078_63 Depth=1
	s_delay_alu instid0(SALU_CYCLE_1) | instskip(SKIP_2) | instid1(VALU_DEP_2)
	s_or_b32 exec_lo, exec_lo, s6
	v_and_b32_e32 v6, 0x3fffffff, v11
	v_cmp_gt_i32_e64 s2, -2.0, v11
	v_add_nc_u32_e32 v10, v6, v10
	s_and_b32 s6, exec_lo, s2
	s_delay_alu instid0(SALU_CYCLE_1) | instskip(NEXT) | instid1(SALU_CYCLE_1)
	s_or_b32 s4, s6, s4
	s_and_not1_b32 exec_lo, exec_lo, s4
	s_cbranch_execz .LBB2078_68
.LBB2078_63:                            ; =>This Loop Header: Depth=1
                                        ;     Child Loop BB2078_66 Depth 2
	s_or_b32 s2, s2, exec_lo
	s_cmp_eq_u32 s5, 0
	s_cbranch_scc1 .LBB2078_67
; %bb.64:                               ;   in Loop: Header=BB2078_63 Depth=1
	s_add_co_i32 s5, s5, -1
	s_mov_b32 s6, exec_lo
	s_wait_xcnt 0x0
	v_lshl_or_b32 v6, s5, 8, v1
	global_load_b32 v11, v6, s[10:11] scale_offset scope:SCOPE_DEV
	s_wait_loadcnt 0x0
	v_cmpx_gt_u32_e32 2.0, v11
	s_cbranch_execz .LBB2078_62
; %bb.65:                               ;   in Loop: Header=BB2078_63 Depth=1
	v_lshl_add_u64 v[12:13], v[6:7], 2, s[10:11]
	s_mov_b32 s7, 0
.LBB2078_66:                            ;   Parent Loop BB2078_63 Depth=1
                                        ; =>  This Inner Loop Header: Depth=2
	global_load_b32 v11, v[12:13], off scope:SCOPE_DEV
	s_wait_loadcnt 0x0
	v_cmp_lt_u32_e64 s2, 0x3fffffff, v11
	s_or_b32 s7, s2, s7
	s_wait_xcnt 0x0
	s_and_not1_b32 exec_lo, exec_lo, s7
	s_cbranch_execnz .LBB2078_66
	s_branch .LBB2078_61
.LBB2078_67:                            ;   in Loop: Header=BB2078_63 Depth=1
                                        ; implicit-def: $sgpr5
	s_and_b32 s6, exec_lo, s2
	s_delay_alu instid0(SALU_CYCLE_1)
	s_or_b32 s4, s6, s4
	s_wait_xcnt 0x0
	s_and_not1_b32 exec_lo, exec_lo, s4
	s_cbranch_execnz .LBB2078_63
.LBB2078_68:
	s_or_b32 exec_lo, exec_lo, s4
	v_dual_mov_b32 v11, 0 :: v_dual_add_nc_u32 v6, v10, v4
	s_delay_alu instid0(VALU_DEP_1) | instskip(SKIP_4) | instid1(VALU_DEP_1)
	v_or_b32_e32 v6, 0x80000000, v6
	global_store_b32 v[8:9], v6, off scope:SCOPE_DEV
	global_load_b64 v[6:7], v1, s[12:13] scale_offset
	v_sub_nc_u64_e32 v[8:9], v[10:11], v[2:3]
	s_wait_loadcnt 0x0
	v_add_nc_u64_e32 v[6:7], v[8:9], v[6:7]
	ds_store_b64 v5, v[6:7]
.LBB2078_69:
	s_wait_xcnt 0x0
	s_or_b32 exec_lo, exec_lo, s3
	v_mad_i32_i24 v8, v1, -6, v5
	v_lshlrev_b32_e32 v6, 1, v1
	s_mov_b32 s3, exec_lo
	s_wait_storecnt_dscnt 0x0
	s_barrier_signal -1
	s_barrier_wait -1
	v_cmpx_gt_u32_e64 s22, v1
	s_cbranch_execz .LBB2078_71
; %bb.70:
	ds_load_u16 v9, v8 offset:2048
	s_wait_dscnt 0x0
	v_cmp_ne_u16_e64 s2, 0x7fff, v9
	s_delay_alu instid0(VALU_DEP_1) | instskip(SKIP_1) | instid1(VALU_DEP_2)
	v_cndmask_b32_e64 v7, 0xffff8000, v9, s2
	v_cmp_lt_i16_e64 s2, -1, v9
	v_and_b32_e32 v7, 0xffff, v7
	s_delay_alu instid0(VALU_DEP_2) | instskip(NEXT) | instid1(VALU_DEP_2)
	v_cndmask_b32_e64 v12, 0xffff8000, -1, s2
	v_lshrrev_b32_e32 v7, s20, v7
	s_delay_alu instid0(VALU_DEP_1) | instskip(NEXT) | instid1(VALU_DEP_1)
	v_and_b32_e32 v7, s25, v7
	v_lshlrev_b32_e32 v7, 3, v7
	ds_load_b64 v[10:11], v7
	v_mov_b32_e32 v7, 0
	s_wait_dscnt 0x0
	v_lshl_add_u64 v[10:11], v[10:11], 1, s[18:19]
	s_delay_alu instid0(VALU_DEP_1)
	v_add_nc_u64_e32 v[10:11], v[10:11], v[6:7]
	v_xor_b32_e32 v7, v12, v9
	global_store_b16 v[10:11], v7, off
.LBB2078_71:
	s_wait_xcnt 0x0
	s_or_b32 exec_lo, exec_lo, s3
	v_add_nc_u32_e32 v7, 0x200, v1
	s_mov_b32 s3, exec_lo
	s_delay_alu instid0(VALU_DEP_1)
	v_cmpx_gt_u32_e64 s22, v7
	s_cbranch_execz .LBB2078_73
; %bb.72:
	ds_load_u16 v9, v8 offset:3072
	s_wait_dscnt 0x0
	v_cmp_ne_u16_e64 s2, 0x7fff, v9
	s_delay_alu instid0(VALU_DEP_1) | instskip(SKIP_1) | instid1(VALU_DEP_2)
	v_cndmask_b32_e64 v7, 0xffff8000, v9, s2
	v_cmp_lt_i16_e64 s2, -1, v9
	v_and_b32_e32 v7, 0xffff, v7
	s_delay_alu instid0(VALU_DEP_2) | instskip(NEXT) | instid1(VALU_DEP_2)
	v_cndmask_b32_e64 v12, 0xffff8000, -1, s2
	v_lshrrev_b32_e32 v7, s20, v7
	s_delay_alu instid0(VALU_DEP_1) | instskip(NEXT) | instid1(VALU_DEP_1)
	v_and_b32_e32 v7, s25, v7
	v_lshlrev_b32_e32 v7, 3, v7
	ds_load_b64 v[10:11], v7
	v_mov_b32_e32 v7, 0
	s_wait_dscnt 0x0
	v_lshl_add_u64 v[10:11], v[10:11], 1, s[18:19]
	s_delay_alu instid0(VALU_DEP_1)
	v_add_nc_u64_e32 v[10:11], v[10:11], v[6:7]
	v_xor_b32_e32 v7, v12, v9
	global_store_b16 v[10:11], v7, off offset:1024
.LBB2078_73:
	s_wait_xcnt 0x0
	s_or_b32 exec_lo, exec_lo, s3
	v_or_b32_e32 v7, 0x400, v1
	s_mov_b32 s3, exec_lo
	s_delay_alu instid0(VALU_DEP_1)
	v_cmpx_gt_u32_e64 s22, v7
	s_cbranch_execz .LBB2078_75
; %bb.74:
	ds_load_u16 v9, v8 offset:4096
	s_wait_dscnt 0x0
	v_cmp_ne_u16_e64 s2, 0x7fff, v9
	s_delay_alu instid0(VALU_DEP_1) | instskip(SKIP_1) | instid1(VALU_DEP_2)
	v_cndmask_b32_e64 v7, 0xffff8000, v9, s2
	v_cmp_lt_i16_e64 s2, -1, v9
	v_and_b32_e32 v7, 0xffff, v7
	s_delay_alu instid0(VALU_DEP_2) | instskip(NEXT) | instid1(VALU_DEP_2)
	v_cndmask_b32_e64 v12, 0xffff8000, -1, s2
	v_lshrrev_b32_e32 v7, s20, v7
	s_delay_alu instid0(VALU_DEP_1) | instskip(NEXT) | instid1(VALU_DEP_1)
	v_and_b32_e32 v7, s25, v7
	v_lshlrev_b32_e32 v7, 3, v7
	ds_load_b64 v[10:11], v7
	v_mov_b32_e32 v7, 0
	s_wait_dscnt 0x0
	v_lshl_add_u64 v[10:11], v[10:11], 1, s[18:19]
	s_delay_alu instid0(VALU_DEP_1)
	v_add_nc_u64_e32 v[10:11], v[10:11], v[6:7]
	v_xor_b32_e32 v7, v12, v9
	global_store_b16 v[10:11], v7, off offset:2048
.LBB2078_75:
	s_wait_xcnt 0x0
	s_or_b32 exec_lo, exec_lo, s3
	v_add_nc_u32_e32 v7, 0x600, v1
	s_mov_b32 s3, exec_lo
	s_delay_alu instid0(VALU_DEP_1)
	v_cmpx_gt_u32_e64 s22, v7
	s_cbranch_execz .LBB2078_77
; %bb.76:
	ds_load_u16 v9, v8 offset:5120
	s_wait_dscnt 0x0
	v_cmp_ne_u16_e64 s2, 0x7fff, v9
	s_delay_alu instid0(VALU_DEP_1) | instskip(SKIP_1) | instid1(VALU_DEP_2)
	v_cndmask_b32_e64 v7, 0xffff8000, v9, s2
	v_cmp_lt_i16_e64 s2, -1, v9
	v_and_b32_e32 v7, 0xffff, v7
	s_delay_alu instid0(VALU_DEP_2) | instskip(NEXT) | instid1(VALU_DEP_2)
	v_cndmask_b32_e64 v12, 0xffff8000, -1, s2
	v_lshrrev_b32_e32 v7, s20, v7
	s_delay_alu instid0(VALU_DEP_1) | instskip(NEXT) | instid1(VALU_DEP_1)
	v_and_b32_e32 v7, s25, v7
	v_lshlrev_b32_e32 v7, 3, v7
	ds_load_b64 v[10:11], v7
	v_mov_b32_e32 v7, 0
	s_wait_dscnt 0x0
	v_lshl_add_u64 v[10:11], v[10:11], 1, s[18:19]
	s_delay_alu instid0(VALU_DEP_1)
	v_add_nc_u64_e32 v[10:11], v[10:11], v[6:7]
	v_xor_b32_e32 v7, v12, v9
	global_store_b16 v[10:11], v7, off offset:3072
.LBB2078_77:
	s_wait_xcnt 0x0
	s_or_b32 exec_lo, exec_lo, s3
	v_or_b32_e32 v7, 0x800, v1
	s_mov_b32 s3, exec_lo
	s_delay_alu instid0(VALU_DEP_1)
	v_cmpx_gt_u32_e64 s22, v7
	s_cbranch_execz .LBB2078_79
; %bb.78:
	ds_load_u16 v9, v8 offset:6144
	s_wait_dscnt 0x0
	v_cmp_ne_u16_e64 s2, 0x7fff, v9
	s_delay_alu instid0(VALU_DEP_1) | instskip(SKIP_1) | instid1(VALU_DEP_2)
	v_cndmask_b32_e64 v7, 0xffff8000, v9, s2
	v_cmp_lt_i16_e64 s2, -1, v9
	v_and_b32_e32 v7, 0xffff, v7
	s_delay_alu instid0(VALU_DEP_2) | instskip(NEXT) | instid1(VALU_DEP_2)
	v_cndmask_b32_e64 v12, 0xffff8000, -1, s2
	v_lshrrev_b32_e32 v7, s20, v7
	s_delay_alu instid0(VALU_DEP_1) | instskip(NEXT) | instid1(VALU_DEP_1)
	v_and_b32_e32 v7, s25, v7
	v_lshlrev_b32_e32 v7, 3, v7
	ds_load_b64 v[10:11], v7
	v_mov_b32_e32 v7, 0
	s_wait_dscnt 0x0
	v_lshl_add_u64 v[10:11], v[10:11], 1, s[18:19]
	s_delay_alu instid0(VALU_DEP_1)
	v_add_nc_u64_e32 v[10:11], v[10:11], v[6:7]
	v_xor_b32_e32 v7, v12, v9
	global_store_b16 v[10:11], v7, off offset:4096
.LBB2078_79:
	;; [unrolled: 60-line block ×5, first 2 shown]
	s_wait_xcnt 0x0
	s_or_b32 exec_lo, exec_lo, s3
	v_add_nc_u32_e32 v7, 0x1600, v1
	s_mov_b32 s3, exec_lo
	s_delay_alu instid0(VALU_DEP_1)
	v_cmpx_gt_u32_e64 s22, v7
	s_cbranch_execz .LBB2078_93
; %bb.92:
	ds_load_u16 v10, v6 offset:13312
	s_wait_dscnt 0x0
	v_cmp_ne_u16_e64 s2, 0x7fff, v10
	s_delay_alu instid0(VALU_DEP_1) | instskip(SKIP_1) | instid1(VALU_DEP_2)
	v_cndmask_b32_e64 v7, 0xffff8000, v10, s2
	v_cmp_lt_i16_e64 s2, -1, v10
	v_and_b32_e32 v7, 0xffff, v7
	s_delay_alu instid0(VALU_DEP_2) | instskip(NEXT) | instid1(VALU_DEP_2)
	v_cndmask_b32_e64 v11, 0xffff8000, -1, s2
	v_lshrrev_b32_e32 v7, s20, v7
	s_delay_alu instid0(VALU_DEP_1) | instskip(NEXT) | instid1(VALU_DEP_1)
	v_and_b32_e32 v7, s25, v7
	v_lshlrev_b32_e32 v7, 3, v7
	ds_load_b64 v[8:9], v7
	v_mov_b32_e32 v7, 0
	s_wait_dscnt 0x0
	v_lshl_add_u64 v[8:9], v[8:9], 1, s[18:19]
	s_delay_alu instid0(VALU_DEP_1)
	v_add_nc_u64_e32 v[6:7], v[8:9], v[6:7]
	v_xor_b32_e32 v8, v11, v10
	global_store_b16 v[6:7], v8, off offset:11264
.LBB2078_93:
	s_wait_xcnt 0x0
	s_or_b32 exec_lo, exec_lo, s3
	s_add_co_i32 s23, s23, -1
	s_delay_alu instid0(SALU_CYCLE_1) | instskip(SKIP_2) | instid1(SALU_CYCLE_1)
	s_cmp_eq_u32 s9, s23
	s_cselect_b32 s2, -1, 0
	s_xor_b32 s3, vcc_lo, -1
	s_and_b32 s3, s3, s2
	s_delay_alu instid0(SALU_CYCLE_1)
	s_and_saveexec_b32 s2, s3
	s_cbranch_execz .LBB2078_95
; %bb.94:
	ds_load_b64 v[6:7], v5
	v_mov_b32_e32 v5, 0
	s_delay_alu instid0(VALU_DEP_1) | instskip(SKIP_1) | instid1(VALU_DEP_1)
	v_add_nc_u64_e32 v[2:3], v[2:3], v[4:5]
	s_wait_dscnt 0x0
	v_add_nc_u64_e32 v[2:3], v[2:3], v[6:7]
	global_store_b64 v1, v[2:3], s[14:15] scale_offset
.LBB2078_95:
	s_wait_xcnt 0x0
	s_or_b32 exec_lo, exec_lo, s2
	s_mov_b32 s2, 0
.LBB2078_96:
	s_delay_alu instid0(SALU_CYCLE_1)
	s_and_b32 vcc_lo, exec_lo, s2
	s_cbranch_vccz .LBB2078_143
; %bb.97:
	s_mov_b32 s25, 0
	v_dual_mov_b32 v9, 0 :: v_dual_lshlrev_b32 v8, 1, v14
	s_lshl_b64 s[2:3], s[24:25], 1
	v_mul_u32_u24_e32 v1, 12, v15
	s_add_nc_u64 s[2:3], s[16:17], s[2:3]
	v_bfe_u32 v17, v0, 20, 10
	v_add_nc_u64_e32 v[2:3], s[2:3], v[8:9]
	s_delay_alu instid0(VALU_DEP_3) | instskip(NEXT) | instid1(VALU_DEP_1)
	v_lshlrev_b32_e32 v8, 1, v1
	v_add_nc_u64_e32 v[12:13], v[2:3], v[8:9]
	s_clause 0xb
	global_load_u16 v8, v[12:13], off
	global_load_u16 v10, v[12:13], off offset:64
	global_load_u16 v16, v[12:13], off offset:128
	;; [unrolled: 1-line block ×11, first 2 shown]
	s_clause 0x1
	s_load_b32 s7, s[0:1], 0x58
	s_load_u16 s2, s[0:1], 0x66
	v_bfe_u32 v13, v0, 10, 10
	v_and_b32_e32 v12, 0x3ff, v0
	s_wait_kmcnt 0x0
	s_cmp_lt_u32 s9, s7
	s_delay_alu instid0(VALU_DEP_2)
	v_mad_u32_u24 v0, v17, s2, v13
	s_cselect_b32 s24, 12, 18
	s_lshl_b32 s8, -1, s21
	s_add_nc_u64 s[0:1], s[26:27], s[24:25]
	s_load_u16 s16, s[0:1], 0x0
	s_wait_kmcnt 0x0
	v_mad_u32 v0, v0, s16, v12
	s_delay_alu instid0(VALU_DEP_1) | instskip(NEXT) | instid1(VALU_DEP_1)
	v_lshrrev_b32_e32 v0, 5, v0
	v_lshlrev_b32_e32 v0, 2, v0
	s_wait_loadcnt 0xb
	v_cmp_lt_i16_e32 vcc_lo, -1, v8
	v_cndmask_b32_e64 v11, -1, 0xffff8000, vcc_lo
	s_delay_alu instid0(VALU_DEP_1) | instskip(NEXT) | instid1(VALU_DEP_1)
	v_xor_b32_e32 v8, v11, v8
	v_cmp_ne_u16_e32 vcc_lo, 0x7fff, v8
	v_cndmask_b32_e32 v11, 0xffff8000, v8, vcc_lo
	s_delay_alu instid0(VALU_DEP_1) | instskip(NEXT) | instid1(VALU_DEP_1)
	v_and_b32_e32 v11, 0xffff, v11
	v_lshrrev_b32_e32 v11, s20, v11
	s_delay_alu instid0(VALU_DEP_1) | instskip(SKIP_2) | instid1(VALU_DEP_2)
	v_bitop3_b32 v13, v11, 1, s8 bitop3:0x40
	v_bitop3_b32 v18, v11, s8, v11 bitop3:0x30
	s_not_b32 s8, s8
	v_add_co_u32 v11, s0, v13, -1
	s_delay_alu instid0(VALU_DEP_1) | instskip(NEXT) | instid1(VALU_DEP_3)
	v_cndmask_b32_e64 v13, 0, 1, s0
	v_dual_lshlrev_b32 v17, 30, v18 :: v_dual_lshlrev_b32 v19, 29, v18
	v_dual_lshlrev_b32 v21, 28, v18 :: v_dual_lshlrev_b32 v22, 27, v18
	s_delay_alu instid0(VALU_DEP_3) | instskip(NEXT) | instid1(VALU_DEP_3)
	v_cmp_ne_u32_e32 vcc_lo, 0, v13
	v_not_b32_e32 v13, v17
	v_dual_lshlrev_b32 v23, 26, v18 :: v_dual_lshlrev_b32 v25, 25, v18
	v_lshlrev_b32_e32 v26, 24, v18
	v_cmp_gt_i32_e64 s0, 0, v17
	v_cmp_gt_i32_e64 s1, 0, v19
	v_not_b32_e32 v17, v19
	v_not_b32_e32 v19, v21
	v_ashrrev_i32_e32 v13, 31, v13
	v_cmp_gt_i32_e64 s2, 0, v21
	v_cmp_gt_i32_e64 s3, 0, v22
	v_not_b32_e32 v21, v22
	v_not_b32_e32 v22, v23
	v_dual_ashrrev_i32 v17, 31, v17 :: v_dual_bitop2_b32 v11, vcc_lo, v11 bitop3:0x14
	v_dual_ashrrev_i32 v19, 31, v19 :: v_dual_bitop2_b32 v13, s0, v13 bitop3:0x14
	v_cmp_gt_i32_e64 s4, 0, v23
	v_cmp_gt_i32_e64 s5, 0, v25
	v_not_b32_e32 v23, v25
	v_not_b32_e32 v25, v26
	v_dual_ashrrev_i32 v21, 31, v21 :: v_dual_ashrrev_i32 v22, 31, v22
	v_xor_b32_e32 v17, s1, v17
	v_xor_b32_e32 v19, s2, v19
	v_bitop3_b32 v11, v11, v13, exec_lo bitop3:0x80
	v_cmp_gt_i32_e64 s6, 0, v26
	v_dual_ashrrev_i32 v13, 31, v23 :: v_dual_ashrrev_i32 v23, 31, v25
	v_xor_b32_e32 v21, s3, v21
	v_xor_b32_e32 v22, s4, v22
	v_bitop3_b32 v11, v11, v19, v17 bitop3:0x80
	s_delay_alu instid0(VALU_DEP_4) | instskip(SKIP_1) | instid1(VALU_DEP_3)
	v_xor_b32_e32 v13, s5, v13
	v_xor_b32_e32 v17, s6, v23
	v_bitop3_b32 v19, v11, v22, v21 bitop3:0x80
	v_mul_u32_u24_e32 v11, 36, v12
	ds_store_2addr_b32 v11, v9, v9 offset0:16 offset1:17
	ds_store_2addr_b32 v11, v9, v9 offset0:18 offset1:19
	;; [unrolled: 1-line block ×4, first 2 shown]
	v_bitop3_b32 v17, v19, v17, v13 bitop3:0x80
	ds_store_b32 v11, v9 offset:96
	v_mad_u32_u24 v13, 0x44, v18, v0
	s_wait_storecnt 0x0
	s_wait_loadcnt_dscnt 0x0
	s_barrier_signal -1
	v_mbcnt_lo_u32_b32 v9, v17, 0
	v_cmp_ne_u32_e64 s0, 0, v17
	s_barrier_wait -1
	s_delay_alu instid0(VALU_DEP_2) | instskip(SKIP_1) | instid1(SALU_CYCLE_1)
	v_cmp_eq_u32_e32 vcc_lo, 0, v9
	; wave barrier
	s_and_b32 s1, s0, vcc_lo
	s_and_saveexec_b32 s0, s1
; %bb.98:
	v_bcnt_u32_b32 v17, v17, 0
	ds_store_b32 v13, v17 offset:64
; %bb.99:
	s_or_b32 exec_lo, exec_lo, s0
	v_cmp_lt_i16_e32 vcc_lo, -1, v10
	; wave barrier
	v_cndmask_b32_e64 v17, -1, 0xffff8000, vcc_lo
	s_delay_alu instid0(VALU_DEP_1) | instskip(NEXT) | instid1(VALU_DEP_1)
	v_xor_b32_e32 v10, v17, v10
	v_cmp_ne_u16_e32 vcc_lo, 0x7fff, v10
	v_cndmask_b32_e32 v17, 0xffff8000, v10, vcc_lo
	s_delay_alu instid0(VALU_DEP_1) | instskip(NEXT) | instid1(VALU_DEP_1)
	v_and_b32_e32 v17, 0xffff, v17
	v_lshrrev_b32_e32 v17, s20, v17
	s_delay_alu instid0(VALU_DEP_1) | instskip(SKIP_1) | instid1(VALU_DEP_2)
	v_bitop3_b32 v18, v17, 1, s8 bitop3:0x80
	v_and_b32_e32 v17, s8, v17
	v_add_co_u32 v18, s0, v18, -1
	s_delay_alu instid0(VALU_DEP_1) | instskip(NEXT) | instid1(VALU_DEP_3)
	v_cndmask_b32_e64 v19, 0, 1, s0
	v_lshlrev_b32_e32 v21, 30, v17
	s_delay_alu instid0(VALU_DEP_2) | instskip(NEXT) | instid1(VALU_DEP_2)
	v_cmp_ne_u32_e32 vcc_lo, 0, v19
	v_not_b32_e32 v19, v21
	s_delay_alu instid0(VALU_DEP_1) | instskip(SKIP_4) | instid1(VALU_DEP_4)
	v_dual_ashrrev_i32 v19, 31, v19 :: v_dual_bitop2_b32 v18, vcc_lo, v18 bitop3:0x14
	v_dual_lshlrev_b32 v22, 29, v17 :: v_dual_lshlrev_b32 v23, 28, v17
	v_dual_lshlrev_b32 v25, 27, v17 :: v_dual_lshlrev_b32 v26, 26, v17
	v_lshlrev_b32_e32 v27, 25, v17
	v_cmp_gt_i32_e64 s0, 0, v21
	v_cmp_gt_i32_e64 s1, 0, v22
	v_not_b32_e32 v21, v22
	v_not_b32_e32 v22, v23
	v_lshlrev_b32_e32 v28, 24, v17
	v_cmp_gt_i32_e64 s2, 0, v23
	v_cmp_gt_i32_e64 s3, 0, v25
	v_not_b32_e32 v23, v25
	v_not_b32_e32 v25, v26
	v_dual_ashrrev_i32 v21, 31, v21 :: v_dual_ashrrev_i32 v22, 31, v22
	v_xor_b32_e32 v19, s0, v19
	v_cmp_gt_i32_e64 s4, 0, v26
	v_cmp_gt_i32_e64 s5, 0, v27
	v_not_b32_e32 v26, v27
	v_not_b32_e32 v27, v28
	v_dual_ashrrev_i32 v23, 31, v23 :: v_dual_bitop2_b32 v21, s1, v21 bitop3:0x14
	v_dual_ashrrev_i32 v25, 31, v25 :: v_dual_bitop2_b32 v22, s2, v22 bitop3:0x14
	s_delay_alu instid0(VALU_DEP_3) | instskip(SKIP_4) | instid1(VALU_DEP_4)
	v_ashrrev_i32_e32 v27, 31, v27
	v_bitop3_b32 v18, v18, v19, exec_lo bitop3:0x80
	v_cmp_gt_i32_e64 s6, 0, v28
	v_dual_ashrrev_i32 v26, 31, v26 :: v_dual_bitop2_b32 v23, s3, v23 bitop3:0x14
	v_xor_b32_e32 v25, s4, v25
	v_bitop3_b32 v18, v18, v22, v21 bitop3:0x80
	v_mad_u32_u24 v19, 0x44, v17, v0
	s_delay_alu instid0(VALU_DEP_4) | instskip(SKIP_1) | instid1(VALU_DEP_4)
	v_xor_b32_e32 v21, s5, v26
	v_xor_b32_e32 v22, s6, v27
	v_bitop3_b32 v18, v18, v25, v23 bitop3:0x80
	ds_load_b32 v17, v19 offset:64
	; wave barrier
	v_bitop3_b32 v21, v18, v22, v21 bitop3:0x80
	s_delay_alu instid0(VALU_DEP_1) | instskip(SKIP_1) | instid1(VALU_DEP_2)
	v_mbcnt_lo_u32_b32 v18, v21, 0
	v_cmp_ne_u32_e64 s0, 0, v21
	v_cmp_eq_u32_e32 vcc_lo, 0, v18
	s_and_b32 s1, s0, vcc_lo
	s_delay_alu instid0(SALU_CYCLE_1)
	s_and_saveexec_b32 s0, s1
	s_cbranch_execz .LBB2078_101
; %bb.100:
	s_wait_dscnt 0x0
	v_bcnt_u32_b32 v21, v21, v17
	ds_store_b32 v19, v21 offset:64
.LBB2078_101:
	s_or_b32 exec_lo, exec_lo, s0
	v_cmp_lt_i16_e32 vcc_lo, -1, v16
	; wave barrier
	v_cndmask_b32_e64 v21, -1, 0xffff8000, vcc_lo
	s_delay_alu instid0(VALU_DEP_1) | instskip(NEXT) | instid1(VALU_DEP_1)
	v_xor_b32_e32 v16, v21, v16
	v_cmp_ne_u16_e32 vcc_lo, 0x7fff, v16
	v_cndmask_b32_e32 v21, 0xffff8000, v16, vcc_lo
	s_delay_alu instid0(VALU_DEP_1) | instskip(NEXT) | instid1(VALU_DEP_1)
	v_and_b32_e32 v21, 0xffff, v21
	v_lshrrev_b32_e32 v21, s20, v21
	s_delay_alu instid0(VALU_DEP_1) | instskip(SKIP_1) | instid1(VALU_DEP_2)
	v_bitop3_b32 v22, v21, 1, s8 bitop3:0x80
	v_and_b32_e32 v21, s8, v21
	v_add_co_u32 v22, s0, v22, -1
	s_delay_alu instid0(VALU_DEP_1) | instskip(NEXT) | instid1(VALU_DEP_3)
	v_cndmask_b32_e64 v23, 0, 1, s0
	v_lshlrev_b32_e32 v25, 30, v21
	s_delay_alu instid0(VALU_DEP_2) | instskip(NEXT) | instid1(VALU_DEP_2)
	v_cmp_ne_u32_e32 vcc_lo, 0, v23
	v_not_b32_e32 v23, v25
	s_delay_alu instid0(VALU_DEP_1) | instskip(SKIP_4) | instid1(VALU_DEP_4)
	v_dual_ashrrev_i32 v23, 31, v23 :: v_dual_bitop2_b32 v22, vcc_lo, v22 bitop3:0x14
	v_dual_lshlrev_b32 v26, 29, v21 :: v_dual_lshlrev_b32 v27, 28, v21
	v_dual_lshlrev_b32 v28, 27, v21 :: v_dual_lshlrev_b32 v29, 26, v21
	v_lshlrev_b32_e32 v30, 25, v21
	v_cmp_gt_i32_e64 s0, 0, v25
	v_cmp_gt_i32_e64 s1, 0, v26
	v_not_b32_e32 v25, v26
	v_not_b32_e32 v26, v27
	v_lshlrev_b32_e32 v31, 24, v21
	v_cmp_gt_i32_e64 s2, 0, v27
	v_cmp_gt_i32_e64 s3, 0, v28
	v_not_b32_e32 v27, v28
	v_not_b32_e32 v28, v29
	v_dual_ashrrev_i32 v25, 31, v25 :: v_dual_bitop2_b32 v23, s0, v23 bitop3:0x14
	v_ashrrev_i32_e32 v26, 31, v26
	v_cmp_gt_i32_e64 s4, 0, v29
	v_cmp_gt_i32_e64 s5, 0, v30
	v_not_b32_e32 v29, v30
	v_not_b32_e32 v30, v31
	v_dual_ashrrev_i32 v27, 31, v27 :: v_dual_ashrrev_i32 v28, 31, v28
	v_xor_b32_e32 v25, s1, v25
	s_delay_alu instid0(VALU_DEP_4) | instskip(SKIP_4) | instid1(VALU_DEP_4)
	v_dual_ashrrev_i32 v29, 31, v29 :: v_dual_bitop2_b32 v26, s2, v26 bitop3:0x14
	v_bitop3_b32 v22, v22, v23, exec_lo bitop3:0x80
	v_cmp_gt_i32_e64 s6, 0, v31
	v_dual_ashrrev_i32 v30, 31, v30 :: v_dual_bitop2_b32 v27, s3, v27 bitop3:0x14
	v_xor_b32_e32 v28, s4, v28
	v_bitop3_b32 v22, v22, v26, v25 bitop3:0x80
	v_mad_u32_u24 v23, 0x44, v21, v0
	v_xor_b32_e32 v25, s5, v29
	v_xor_b32_e32 v26, s6, v30
	s_delay_alu instid0(VALU_DEP_4) | instskip(SKIP_2) | instid1(VALU_DEP_1)
	v_bitop3_b32 v22, v22, v28, v27 bitop3:0x80
	ds_load_b32 v21, v23 offset:64
	; wave barrier
	v_bitop3_b32 v25, v22, v26, v25 bitop3:0x80
	v_mbcnt_lo_u32_b32 v22, v25, 0
	v_cmp_ne_u32_e64 s0, 0, v25
	s_delay_alu instid0(VALU_DEP_2) | instskip(SKIP_1) | instid1(SALU_CYCLE_1)
	v_cmp_eq_u32_e32 vcc_lo, 0, v22
	s_and_b32 s1, s0, vcc_lo
	s_and_saveexec_b32 s0, s1
	s_cbranch_execz .LBB2078_103
; %bb.102:
	s_wait_dscnt 0x0
	v_bcnt_u32_b32 v25, v25, v21
	ds_store_b32 v23, v25 offset:64
.LBB2078_103:
	s_or_b32 exec_lo, exec_lo, s0
	v_cmp_lt_i16_e32 vcc_lo, -1, v20
	; wave barrier
	v_cndmask_b32_e64 v25, -1, 0xffff8000, vcc_lo
	s_delay_alu instid0(VALU_DEP_1) | instskip(NEXT) | instid1(VALU_DEP_1)
	v_xor_b32_e32 v20, v25, v20
	v_cmp_ne_u16_e32 vcc_lo, 0x7fff, v20
	v_cndmask_b32_e32 v25, 0xffff8000, v20, vcc_lo
	s_delay_alu instid0(VALU_DEP_1) | instskip(NEXT) | instid1(VALU_DEP_1)
	v_and_b32_e32 v25, 0xffff, v25
	v_lshrrev_b32_e32 v25, s20, v25
	s_delay_alu instid0(VALU_DEP_1) | instskip(SKIP_1) | instid1(VALU_DEP_2)
	v_bitop3_b32 v26, v25, 1, s8 bitop3:0x80
	v_and_b32_e32 v25, s8, v25
	v_add_co_u32 v26, s0, v26, -1
	s_delay_alu instid0(VALU_DEP_1) | instskip(NEXT) | instid1(VALU_DEP_3)
	v_cndmask_b32_e64 v27, 0, 1, s0
	v_lshlrev_b32_e32 v28, 30, v25
	s_delay_alu instid0(VALU_DEP_2) | instskip(NEXT) | instid1(VALU_DEP_2)
	v_cmp_ne_u32_e32 vcc_lo, 0, v27
	v_not_b32_e32 v27, v28
	s_delay_alu instid0(VALU_DEP_1) | instskip(SKIP_4) | instid1(VALU_DEP_4)
	v_dual_ashrrev_i32 v27, 31, v27 :: v_dual_bitop2_b32 v26, vcc_lo, v26 bitop3:0x14
	v_dual_lshlrev_b32 v29, 29, v25 :: v_dual_lshlrev_b32 v30, 28, v25
	v_dual_lshlrev_b32 v31, 27, v25 :: v_dual_lshlrev_b32 v32, 26, v25
	v_lshlrev_b32_e32 v33, 25, v25
	v_cmp_gt_i32_e64 s0, 0, v28
	v_cmp_gt_i32_e64 s1, 0, v29
	v_not_b32_e32 v28, v29
	v_not_b32_e32 v29, v30
	v_lshlrev_b32_e32 v34, 24, v25
	v_cmp_gt_i32_e64 s2, 0, v30
	v_cmp_gt_i32_e64 s3, 0, v31
	v_not_b32_e32 v30, v31
	v_cmp_gt_i32_e64 s4, 0, v32
	v_not_b32_e32 v31, v32
	v_not_b32_e32 v32, v33
	v_dual_ashrrev_i32 v28, 31, v28 :: v_dual_ashrrev_i32 v29, 31, v29
	v_xor_b32_e32 v27, s0, v27
	v_cmp_gt_i32_e64 s5, 0, v33
	v_not_b32_e32 v33, v34
	v_dual_ashrrev_i32 v30, 31, v30 :: v_dual_ashrrev_i32 v31, 31, v31
	v_xor_b32_e32 v28, s1, v28
	v_dual_ashrrev_i32 v32, 31, v32 :: v_dual_bitop2_b32 v29, s2, v29 bitop3:0x14
	v_bitop3_b32 v26, v26, v27, exec_lo bitop3:0x80
	v_cmp_gt_i32_e64 s6, 0, v34
	v_dual_ashrrev_i32 v33, 31, v33 :: v_dual_bitop2_b32 v30, s3, v30 bitop3:0x14
	v_xor_b32_e32 v31, s4, v31
	s_delay_alu instid0(VALU_DEP_4) | instskip(SKIP_3) | instid1(VALU_DEP_4)
	v_bitop3_b32 v26, v26, v29, v28 bitop3:0x80
	v_mad_u32_u24 v27, 0x44, v25, v0
	v_xor_b32_e32 v28, s5, v32
	v_xor_b32_e32 v29, s6, v33
	v_bitop3_b32 v26, v26, v31, v30 bitop3:0x80
	ds_load_b32 v25, v27 offset:64
	; wave barrier
	v_bitop3_b32 v28, v26, v29, v28 bitop3:0x80
	s_delay_alu instid0(VALU_DEP_1) | instskip(SKIP_1) | instid1(VALU_DEP_2)
	v_mbcnt_lo_u32_b32 v26, v28, 0
	v_cmp_ne_u32_e64 s0, 0, v28
	v_cmp_eq_u32_e32 vcc_lo, 0, v26
	s_and_b32 s1, s0, vcc_lo
	s_delay_alu instid0(SALU_CYCLE_1)
	s_and_saveexec_b32 s0, s1
	s_cbranch_execz .LBB2078_105
; %bb.104:
	s_wait_dscnt 0x0
	v_bcnt_u32_b32 v28, v28, v25
	ds_store_b32 v27, v28 offset:64
.LBB2078_105:
	s_or_b32 exec_lo, exec_lo, s0
	v_cmp_lt_i16_e32 vcc_lo, -1, v24
	; wave barrier
	v_cndmask_b32_e64 v28, -1, 0xffff8000, vcc_lo
	s_delay_alu instid0(VALU_DEP_1) | instskip(NEXT) | instid1(VALU_DEP_1)
	v_xor_b32_e32 v24, v28, v24
	v_cmp_ne_u16_e32 vcc_lo, 0x7fff, v24
	v_cndmask_b32_e32 v28, 0xffff8000, v24, vcc_lo
	s_delay_alu instid0(VALU_DEP_1) | instskip(NEXT) | instid1(VALU_DEP_1)
	v_and_b32_e32 v28, 0xffff, v28
	v_lshrrev_b32_e32 v28, s20, v28
	s_delay_alu instid0(VALU_DEP_1) | instskip(NEXT) | instid1(VALU_DEP_1)
	v_bitop3_b32 v29, v28, 1, s8 bitop3:0x80
	v_add_co_u32 v29, s0, v29, -1
	s_delay_alu instid0(VALU_DEP_1) | instskip(NEXT) | instid1(VALU_DEP_1)
	v_cndmask_b32_e64 v30, 0, 1, s0
	v_cmp_ne_u32_e32 vcc_lo, 0, v30
	s_delay_alu instid0(VALU_DEP_3) | instskip(SKIP_1) | instid1(VALU_DEP_1)
	v_xor_b32_e32 v29, vcc_lo, v29
	v_and_b32_e32 v28, s8, v28
	v_dual_lshlrev_b32 v31, 30, v28 :: v_dual_lshlrev_b32 v32, 29, v28
	v_dual_lshlrev_b32 v33, 28, v28 :: v_dual_lshlrev_b32 v34, 27, v28
	s_delay_alu instid0(VALU_DEP_2) | instskip(SKIP_1) | instid1(VALU_DEP_4)
	v_cmp_gt_i32_e64 s0, 0, v31
	v_not_b32_e32 v30, v31
	v_cmp_gt_i32_e64 s1, 0, v32
	v_not_b32_e32 v31, v32
	;; [unrolled: 2-line block ×3, first 2 shown]
	v_not_b32_e32 v33, v34
	v_ashrrev_i32_e32 v30, 31, v30
	v_cmp_gt_i32_e64 s3, 0, v34
	s_delay_alu instid0(VALU_DEP_3) | instskip(SKIP_1) | instid1(VALU_DEP_4)
	v_dual_ashrrev_i32 v31, 31, v31 :: v_dual_ashrrev_i32 v33, 31, v33
	v_dual_lshlrev_b32 v35, 26, v28 :: v_dual_lshlrev_b32 v36, 25, v28
	v_dual_lshlrev_b32 v37, 24, v28 :: v_dual_bitop2_b32 v30, s0, v30 bitop3:0x14
	s_delay_alu instid0(VALU_DEP_3) | instskip(NEXT) | instid1(VALU_DEP_3)
	v_xor_b32_e32 v33, s3, v33
	v_not_b32_e32 v34, v35
	v_ashrrev_i32_e32 v32, 31, v32
	v_cmp_gt_i32_e64 s4, 0, v35
	v_cmp_gt_i32_e64 s5, 0, v36
	v_not_b32_e32 v35, v36
	v_not_b32_e32 v36, v37
	v_dual_ashrrev_i32 v34, 31, v34 :: v_dual_bitop2_b32 v31, s1, v31 bitop3:0x14
	v_xor_b32_e32 v32, s2, v32
	v_bitop3_b32 v29, v29, v30, exec_lo bitop3:0x80
	v_cmp_gt_i32_e64 s6, 0, v37
	v_dual_ashrrev_i32 v30, 31, v35 :: v_dual_ashrrev_i32 v35, 31, v36
	v_xor_b32_e32 v34, s4, v34
	s_delay_alu instid0(VALU_DEP_4) | instskip(SKIP_1) | instid1(VALU_DEP_4)
	v_bitop3_b32 v29, v29, v32, v31 bitop3:0x80
	v_mad_u32_u24 v31, 0x44, v28, v0
	v_xor_b32_e32 v30, s5, v30
	v_xor_b32_e32 v32, s6, v35
	s_delay_alu instid0(VALU_DEP_4) | instskip(SKIP_2) | instid1(VALU_DEP_1)
	v_bitop3_b32 v29, v29, v34, v33 bitop3:0x80
	ds_load_b32 v28, v31 offset:64
	; wave barrier
	v_bitop3_b32 v29, v29, v32, v30 bitop3:0x80
	v_mbcnt_lo_u32_b32 v30, v29, 0
	v_cmp_ne_u32_e64 s0, 0, v29
	s_delay_alu instid0(VALU_DEP_2) | instskip(SKIP_1) | instid1(SALU_CYCLE_1)
	v_cmp_eq_u32_e32 vcc_lo, 0, v30
	s_and_b32 s1, s0, vcc_lo
	s_and_saveexec_b32 s0, s1
	s_cbranch_execz .LBB2078_107
; %bb.106:
	s_wait_dscnt 0x0
	v_bcnt_u32_b32 v29, v29, v28
	ds_store_b32 v31, v29 offset:64
.LBB2078_107:
	s_or_b32 exec_lo, exec_lo, s0
	v_cmp_lt_i16_e32 vcc_lo, -1, v7
	; wave barrier
	v_cndmask_b32_e64 v29, -1, 0xffff8000, vcc_lo
	s_delay_alu instid0(VALU_DEP_1) | instskip(NEXT) | instid1(VALU_DEP_1)
	v_xor_b32_e32 v29, v29, v7
	v_cmp_ne_u16_e32 vcc_lo, 0x7fff, v29
	v_cndmask_b32_e32 v7, 0xffff8000, v29, vcc_lo
	s_delay_alu instid0(VALU_DEP_1) | instskip(NEXT) | instid1(VALU_DEP_1)
	v_and_b32_e32 v7, 0xffff, v7
	v_lshrrev_b32_e32 v7, s20, v7
	s_delay_alu instid0(VALU_DEP_1) | instskip(SKIP_1) | instid1(VALU_DEP_2)
	v_bitop3_b32 v32, v7, 1, s8 bitop3:0x80
	v_and_b32_e32 v7, s8, v7
	v_add_co_u32 v32, s0, v32, -1
	s_delay_alu instid0(VALU_DEP_1) | instskip(NEXT) | instid1(VALU_DEP_3)
	v_cndmask_b32_e64 v33, 0, 1, s0
	v_lshlrev_b32_e32 v34, 30, v7
	s_delay_alu instid0(VALU_DEP_2) | instskip(NEXT) | instid1(VALU_DEP_2)
	v_cmp_ne_u32_e32 vcc_lo, 0, v33
	v_not_b32_e32 v33, v34
	s_delay_alu instid0(VALU_DEP_1) | instskip(SKIP_4) | instid1(VALU_DEP_4)
	v_dual_ashrrev_i32 v33, 31, v33 :: v_dual_bitop2_b32 v32, vcc_lo, v32 bitop3:0x14
	v_dual_lshlrev_b32 v35, 29, v7 :: v_dual_lshlrev_b32 v36, 28, v7
	v_dual_lshlrev_b32 v37, 27, v7 :: v_dual_lshlrev_b32 v38, 26, v7
	v_lshlrev_b32_e32 v39, 25, v7
	v_cmp_gt_i32_e64 s0, 0, v34
	v_cmp_gt_i32_e64 s1, 0, v35
	v_not_b32_e32 v34, v35
	v_not_b32_e32 v35, v36
	v_lshlrev_b32_e32 v40, 24, v7
	v_cmp_gt_i32_e64 s2, 0, v36
	v_cmp_gt_i32_e64 s3, 0, v37
	v_not_b32_e32 v36, v37
	v_not_b32_e32 v37, v38
	v_dual_ashrrev_i32 v34, 31, v34 :: v_dual_ashrrev_i32 v35, 31, v35
	v_xor_b32_e32 v33, s0, v33
	v_cmp_gt_i32_e64 s4, 0, v38
	v_cmp_gt_i32_e64 s5, 0, v39
	v_not_b32_e32 v38, v39
	v_not_b32_e32 v39, v40
	v_dual_ashrrev_i32 v36, 31, v36 :: v_dual_ashrrev_i32 v37, 31, v37
	v_xor_b32_e32 v34, s1, v34
	v_xor_b32_e32 v35, s2, v35
	v_bitop3_b32 v32, v32, v33, exec_lo bitop3:0x80
	v_cmp_gt_i32_e64 s6, 0, v40
	v_dual_ashrrev_i32 v33, 31, v38 :: v_dual_ashrrev_i32 v38, 31, v39
	v_xor_b32_e32 v36, s3, v36
	v_xor_b32_e32 v37, s4, v37
	v_bitop3_b32 v32, v32, v35, v34 bitop3:0x80
	v_mad_u32_u24 v35, 0x44, v7, v0
	v_xor_b32_e32 v7, s5, v33
	v_xor_b32_e32 v33, s6, v38
	s_delay_alu instid0(VALU_DEP_4) | instskip(SKIP_2) | instid1(VALU_DEP_1)
	v_bitop3_b32 v34, v32, v37, v36 bitop3:0x80
	ds_load_b32 v32, v35 offset:64
	; wave barrier
	v_bitop3_b32 v7, v34, v33, v7 bitop3:0x80
	v_mbcnt_lo_u32_b32 v33, v7, 0
	v_cmp_ne_u32_e64 s0, 0, v7
	s_delay_alu instid0(VALU_DEP_2) | instskip(SKIP_1) | instid1(SALU_CYCLE_1)
	v_cmp_eq_u32_e32 vcc_lo, 0, v33
	s_and_b32 s1, s0, vcc_lo
	s_and_saveexec_b32 s0, s1
	s_cbranch_execz .LBB2078_109
; %bb.108:
	s_wait_dscnt 0x0
	v_bcnt_u32_b32 v7, v7, v32
	ds_store_b32 v35, v7 offset:64
.LBB2078_109:
	s_or_b32 exec_lo, exec_lo, s0
	v_cmp_lt_i16_e32 vcc_lo, -1, v6
	; wave barrier
	v_cndmask_b32_e64 v7, -1, 0xffff8000, vcc_lo
	s_delay_alu instid0(VALU_DEP_1) | instskip(NEXT) | instid1(VALU_DEP_1)
	v_xor_b32_e32 v34, v7, v6
	v_cmp_ne_u16_e32 vcc_lo, 0x7fff, v34
	v_cndmask_b32_e32 v6, 0xffff8000, v34, vcc_lo
	s_delay_alu instid0(VALU_DEP_1) | instskip(NEXT) | instid1(VALU_DEP_1)
	v_and_b32_e32 v6, 0xffff, v6
	v_lshrrev_b32_e32 v6, s20, v6
	s_delay_alu instid0(VALU_DEP_1) | instskip(SKIP_1) | instid1(VALU_DEP_2)
	v_bitop3_b32 v7, v6, 1, s8 bitop3:0x80
	v_and_b32_e32 v6, s8, v6
	v_add_co_u32 v7, s0, v7, -1
	s_delay_alu instid0(VALU_DEP_1) | instskip(NEXT) | instid1(VALU_DEP_3)
	v_cndmask_b32_e64 v36, 0, 1, s0
	v_lshlrev_b32_e32 v37, 30, v6
	s_delay_alu instid0(VALU_DEP_2) | instskip(NEXT) | instid1(VALU_DEP_2)
	v_cmp_ne_u32_e32 vcc_lo, 0, v36
	v_not_b32_e32 v36, v37
	s_delay_alu instid0(VALU_DEP_1) | instskip(SKIP_4) | instid1(VALU_DEP_4)
	v_dual_ashrrev_i32 v36, 31, v36 :: v_dual_bitop2_b32 v7, vcc_lo, v7 bitop3:0x14
	v_dual_lshlrev_b32 v38, 29, v6 :: v_dual_lshlrev_b32 v39, 28, v6
	v_dual_lshlrev_b32 v40, 27, v6 :: v_dual_lshlrev_b32 v41, 26, v6
	v_lshlrev_b32_e32 v42, 25, v6
	v_cmp_gt_i32_e64 s0, 0, v37
	v_cmp_gt_i32_e64 s1, 0, v38
	v_not_b32_e32 v37, v38
	v_not_b32_e32 v38, v39
	v_lshlrev_b32_e32 v43, 24, v6
	v_cmp_gt_i32_e64 s2, 0, v39
	v_cmp_gt_i32_e64 s3, 0, v40
	v_not_b32_e32 v39, v40
	v_not_b32_e32 v40, v41
	v_dual_ashrrev_i32 v37, 31, v37 :: v_dual_ashrrev_i32 v38, 31, v38
	v_xor_b32_e32 v36, s0, v36
	v_cmp_gt_i32_e64 s4, 0, v41
	v_cmp_gt_i32_e64 s5, 0, v42
	v_not_b32_e32 v41, v42
	v_not_b32_e32 v42, v43
	v_dual_ashrrev_i32 v39, 31, v39 :: v_dual_ashrrev_i32 v40, 31, v40
	v_xor_b32_e32 v37, s1, v37
	v_xor_b32_e32 v38, s2, v38
	v_bitop3_b32 v7, v7, v36, exec_lo bitop3:0x80
	v_cmp_gt_i32_e64 s6, 0, v43
	v_dual_ashrrev_i32 v36, 31, v41 :: v_dual_ashrrev_i32 v41, 31, v42
	v_xor_b32_e32 v42, s3, v39
	v_xor_b32_e32 v40, s4, v40
	v_bitop3_b32 v7, v7, v38, v37 bitop3:0x80
	v_mad_u32_u24 v39, 0x44, v6, v0
	v_xor_b32_e32 v6, s5, v36
	v_xor_b32_e32 v36, s6, v41
	s_delay_alu instid0(VALU_DEP_4) | instskip(SKIP_2) | instid1(VALU_DEP_1)
	v_bitop3_b32 v7, v7, v40, v42 bitop3:0x80
	ds_load_b32 v37, v39 offset:64
	; wave barrier
	v_bitop3_b32 v6, v7, v36, v6 bitop3:0x80
	v_mbcnt_lo_u32_b32 v38, v6, 0
	v_cmp_ne_u32_e64 s0, 0, v6
	s_delay_alu instid0(VALU_DEP_2) | instskip(SKIP_1) | instid1(SALU_CYCLE_1)
	v_cmp_eq_u32_e32 vcc_lo, 0, v38
	s_and_b32 s1, s0, vcc_lo
	s_and_saveexec_b32 s0, s1
	s_cbranch_execz .LBB2078_111
; %bb.110:
	s_wait_dscnt 0x0
	v_bcnt_u32_b32 v6, v6, v37
	ds_store_b32 v39, v6 offset:64
.LBB2078_111:
	s_or_b32 exec_lo, exec_lo, s0
	v_cmp_lt_i16_e32 vcc_lo, -1, v5
	; wave barrier
	v_cndmask_b32_e64 v6, -1, 0xffff8000, vcc_lo
	s_delay_alu instid0(VALU_DEP_1) | instskip(NEXT) | instid1(VALU_DEP_1)
	v_xor_b32_e32 v36, v6, v5
	v_cmp_ne_u16_e32 vcc_lo, 0x7fff, v36
	v_cndmask_b32_e32 v5, 0xffff8000, v36, vcc_lo
	s_delay_alu instid0(VALU_DEP_1) | instskip(NEXT) | instid1(VALU_DEP_1)
	v_and_b32_e32 v5, 0xffff, v5
	v_lshrrev_b32_e32 v5, s20, v5
	s_delay_alu instid0(VALU_DEP_1) | instskip(SKIP_1) | instid1(VALU_DEP_2)
	v_bitop3_b32 v6, v5, 1, s8 bitop3:0x80
	v_and_b32_e32 v5, s8, v5
	v_add_co_u32 v6, s0, v6, -1
	s_delay_alu instid0(VALU_DEP_1) | instskip(NEXT) | instid1(VALU_DEP_3)
	v_cndmask_b32_e64 v7, 0, 1, s0
	v_lshlrev_b32_e32 v40, 30, v5
	s_delay_alu instid0(VALU_DEP_2) | instskip(NEXT) | instid1(VALU_DEP_2)
	v_cmp_ne_u32_e32 vcc_lo, 0, v7
	v_not_b32_e32 v7, v40
	s_delay_alu instid0(VALU_DEP_1) | instskip(SKIP_4) | instid1(VALU_DEP_4)
	v_dual_ashrrev_i32 v7, 31, v7 :: v_dual_bitop2_b32 v6, vcc_lo, v6 bitop3:0x14
	v_dual_lshlrev_b32 v41, 29, v5 :: v_dual_lshlrev_b32 v42, 28, v5
	v_dual_lshlrev_b32 v43, 27, v5 :: v_dual_lshlrev_b32 v44, 26, v5
	;; [unrolled: 1-line block ×3, first 2 shown]
	v_cmp_gt_i32_e64 s0, 0, v40
	v_cmp_gt_i32_e64 s1, 0, v41
	v_not_b32_e32 v40, v41
	v_not_b32_e32 v41, v42
	v_cmp_gt_i32_e64 s2, 0, v42
	v_cmp_gt_i32_e64 s3, 0, v43
	v_not_b32_e32 v42, v43
	v_cmp_gt_i32_e64 s4, 0, v44
	v_not_b32_e32 v43, v44
	;; [unrolled: 2-line block ×3, first 2 shown]
	v_not_b32_e32 v45, v46
	v_dual_ashrrev_i32 v40, 31, v40 :: v_dual_ashrrev_i32 v41, 31, v41
	v_dual_ashrrev_i32 v42, 31, v42 :: v_dual_bitop2_b32 v7, s0, v7 bitop3:0x14
	s_delay_alu instid0(VALU_DEP_2) | instskip(NEXT) | instid1(VALU_DEP_3)
	v_dual_ashrrev_i32 v43, 31, v43 :: v_dual_bitop2_b32 v40, s1, v40 bitop3:0x14
	v_xor_b32_e32 v41, s2, v41
	s_delay_alu instid0(VALU_DEP_3)
	v_bitop3_b32 v6, v6, v7, exec_lo bitop3:0x80
	v_cmp_gt_i32_e64 s6, 0, v46
	v_dual_ashrrev_i32 v7, 31, v44 :: v_dual_ashrrev_i32 v44, 31, v45
	v_xor_b32_e32 v42, s3, v42
	v_xor_b32_e32 v45, s4, v43
	v_bitop3_b32 v6, v6, v41, v40 bitop3:0x80
	v_mad_u32_u24 v43, 0x44, v5, v0
	v_xor_b32_e32 v5, s5, v7
	v_xor_b32_e32 v7, s6, v44
	s_delay_alu instid0(VALU_DEP_4) | instskip(SKIP_2) | instid1(VALU_DEP_1)
	v_bitop3_b32 v6, v6, v45, v42 bitop3:0x80
	ds_load_b32 v41, v43 offset:64
	; wave barrier
	v_bitop3_b32 v5, v6, v7, v5 bitop3:0x80
	v_mbcnt_lo_u32_b32 v42, v5, 0
	v_cmp_ne_u32_e64 s0, 0, v5
	s_delay_alu instid0(VALU_DEP_2) | instskip(SKIP_1) | instid1(SALU_CYCLE_1)
	v_cmp_eq_u32_e32 vcc_lo, 0, v42
	s_and_b32 s1, s0, vcc_lo
	s_and_saveexec_b32 s0, s1
	s_cbranch_execz .LBB2078_113
; %bb.112:
	s_wait_dscnt 0x0
	v_bcnt_u32_b32 v5, v5, v41
	ds_store_b32 v43, v5 offset:64
.LBB2078_113:
	s_or_b32 exec_lo, exec_lo, s0
	v_cmp_lt_i16_e32 vcc_lo, -1, v4
	; wave barrier
	v_cndmask_b32_e64 v5, -1, 0xffff8000, vcc_lo
	s_delay_alu instid0(VALU_DEP_1) | instskip(NEXT) | instid1(VALU_DEP_1)
	v_xor_b32_e32 v40, v5, v4
	v_cmp_ne_u16_e32 vcc_lo, 0x7fff, v40
	v_cndmask_b32_e32 v4, 0xffff8000, v40, vcc_lo
	s_delay_alu instid0(VALU_DEP_1) | instskip(NEXT) | instid1(VALU_DEP_1)
	v_and_b32_e32 v4, 0xffff, v4
	v_lshrrev_b32_e32 v4, s20, v4
	s_delay_alu instid0(VALU_DEP_1) | instskip(SKIP_1) | instid1(VALU_DEP_2)
	v_bitop3_b32 v5, v4, 1, s8 bitop3:0x80
	v_and_b32_e32 v4, s8, v4
	v_add_co_u32 v5, s0, v5, -1
	s_delay_alu instid0(VALU_DEP_1) | instskip(NEXT) | instid1(VALU_DEP_3)
	v_cndmask_b32_e64 v6, 0, 1, s0
	v_lshlrev_b32_e32 v7, 30, v4
	s_delay_alu instid0(VALU_DEP_2) | instskip(NEXT) | instid1(VALU_DEP_2)
	v_cmp_ne_u32_e32 vcc_lo, 0, v6
	v_not_b32_e32 v6, v7
	s_delay_alu instid0(VALU_DEP_1) | instskip(SKIP_4) | instid1(VALU_DEP_4)
	v_dual_ashrrev_i32 v6, 31, v6 :: v_dual_bitop2_b32 v5, vcc_lo, v5 bitop3:0x14
	v_dual_lshlrev_b32 v44, 29, v4 :: v_dual_lshlrev_b32 v45, 28, v4
	v_dual_lshlrev_b32 v46, 27, v4 :: v_dual_lshlrev_b32 v47, 26, v4
	v_lshlrev_b32_e32 v48, 25, v4
	v_cmp_gt_i32_e64 s0, 0, v7
	v_cmp_gt_i32_e64 s1, 0, v44
	v_not_b32_e32 v7, v44
	v_not_b32_e32 v44, v45
	v_lshlrev_b32_e32 v49, 24, v4
	v_cmp_gt_i32_e64 s2, 0, v45
	v_cmp_gt_i32_e64 s3, 0, v46
	v_not_b32_e32 v45, v46
	v_not_b32_e32 v46, v47
	v_dual_ashrrev_i32 v7, 31, v7 :: v_dual_ashrrev_i32 v44, 31, v44
	v_xor_b32_e32 v6, s0, v6
	v_cmp_gt_i32_e64 s4, 0, v47
	v_cmp_gt_i32_e64 s5, 0, v48
	v_not_b32_e32 v47, v48
	v_not_b32_e32 v48, v49
	v_dual_ashrrev_i32 v45, 31, v45 :: v_dual_ashrrev_i32 v46, 31, v46
	v_xor_b32_e32 v7, s1, v7
	v_xor_b32_e32 v44, s2, v44
	v_bitop3_b32 v5, v5, v6, exec_lo bitop3:0x80
	v_cmp_gt_i32_e64 s6, 0, v49
	v_dual_ashrrev_i32 v6, 31, v47 :: v_dual_ashrrev_i32 v48, 31, v48
	v_xor_b32_e32 v45, s3, v45
	v_xor_b32_e32 v46, s4, v46
	v_bitop3_b32 v5, v5, v44, v7 bitop3:0x80
	v_mad_u32_u24 v47, 0x44, v4, v0
	v_xor_b32_e32 v4, s5, v6
	v_xor_b32_e32 v6, s6, v48
	s_delay_alu instid0(VALU_DEP_4) | instskip(SKIP_2) | instid1(VALU_DEP_1)
	v_bitop3_b32 v5, v5, v46, v45 bitop3:0x80
	ds_load_b32 v45, v47 offset:64
	; wave barrier
	v_bitop3_b32 v4, v5, v6, v4 bitop3:0x80
	v_mbcnt_lo_u32_b32 v46, v4, 0
	v_cmp_ne_u32_e64 s0, 0, v4
	s_delay_alu instid0(VALU_DEP_2) | instskip(SKIP_1) | instid1(SALU_CYCLE_1)
	v_cmp_eq_u32_e32 vcc_lo, 0, v46
	s_and_b32 s1, s0, vcc_lo
	s_and_saveexec_b32 s0, s1
	s_cbranch_execz .LBB2078_115
; %bb.114:
	s_wait_dscnt 0x0
	v_bcnt_u32_b32 v4, v4, v45
	ds_store_b32 v47, v4 offset:64
.LBB2078_115:
	s_or_b32 exec_lo, exec_lo, s0
	v_cmp_lt_i16_e32 vcc_lo, -1, v3
	; wave barrier
	v_cndmask_b32_e64 v4, -1, 0xffff8000, vcc_lo
	s_delay_alu instid0(VALU_DEP_1) | instskip(NEXT) | instid1(VALU_DEP_1)
	v_xor_b32_e32 v44, v4, v3
	v_cmp_ne_u16_e32 vcc_lo, 0x7fff, v44
	v_cndmask_b32_e32 v3, 0xffff8000, v44, vcc_lo
	s_delay_alu instid0(VALU_DEP_1) | instskip(NEXT) | instid1(VALU_DEP_1)
	v_and_b32_e32 v3, 0xffff, v3
	v_lshrrev_b32_e32 v3, s20, v3
	s_delay_alu instid0(VALU_DEP_1) | instskip(SKIP_1) | instid1(VALU_DEP_2)
	v_bitop3_b32 v4, v3, 1, s8 bitop3:0x80
	v_and_b32_e32 v3, s8, v3
	v_add_co_u32 v4, s0, v4, -1
	s_delay_alu instid0(VALU_DEP_1) | instskip(NEXT) | instid1(VALU_DEP_3)
	v_cndmask_b32_e64 v5, 0, 1, s0
	v_lshlrev_b32_e32 v6, 30, v3
	s_delay_alu instid0(VALU_DEP_2) | instskip(NEXT) | instid1(VALU_DEP_2)
	v_cmp_ne_u32_e32 vcc_lo, 0, v5
	v_not_b32_e32 v5, v6
	s_delay_alu instid0(VALU_DEP_1) | instskip(SKIP_4) | instid1(VALU_DEP_4)
	v_dual_ashrrev_i32 v5, 31, v5 :: v_dual_bitop2_b32 v4, vcc_lo, v4 bitop3:0x14
	v_dual_lshlrev_b32 v7, 29, v3 :: v_dual_lshlrev_b32 v48, 28, v3
	v_dual_lshlrev_b32 v49, 27, v3 :: v_dual_lshlrev_b32 v50, 26, v3
	v_lshlrev_b32_e32 v51, 25, v3
	v_cmp_gt_i32_e64 s0, 0, v6
	v_cmp_gt_i32_e64 s1, 0, v7
	v_not_b32_e32 v6, v7
	v_not_b32_e32 v7, v48
	v_lshlrev_b32_e32 v52, 24, v3
	v_cmp_gt_i32_e64 s2, 0, v48
	v_cmp_gt_i32_e64 s3, 0, v49
	v_not_b32_e32 v48, v49
	v_not_b32_e32 v49, v50
	v_dual_ashrrev_i32 v6, 31, v6 :: v_dual_ashrrev_i32 v7, 31, v7
	v_xor_b32_e32 v5, s0, v5
	v_cmp_gt_i32_e64 s4, 0, v50
	v_cmp_gt_i32_e64 s5, 0, v51
	v_not_b32_e32 v50, v51
	v_not_b32_e32 v51, v52
	v_dual_ashrrev_i32 v48, 31, v48 :: v_dual_ashrrev_i32 v49, 31, v49
	v_xor_b32_e32 v6, s1, v6
	v_xor_b32_e32 v7, s2, v7
	v_bitop3_b32 v4, v4, v5, exec_lo bitop3:0x80
	v_cmp_gt_i32_e64 s6, 0, v52
	v_dual_ashrrev_i32 v5, 31, v50 :: v_dual_ashrrev_i32 v50, 31, v51
	v_xor_b32_e32 v48, s3, v48
	v_xor_b32_e32 v49, s4, v49
	v_bitop3_b32 v4, v4, v7, v6 bitop3:0x80
	v_mad_u32_u24 v51, 0x44, v3, v0
	v_xor_b32_e32 v3, s5, v5
	v_xor_b32_e32 v5, s6, v50
	s_delay_alu instid0(VALU_DEP_4) | instskip(SKIP_2) | instid1(VALU_DEP_1)
	v_bitop3_b32 v4, v4, v49, v48 bitop3:0x80
	ds_load_b32 v48, v51 offset:64
	; wave barrier
	v_bitop3_b32 v3, v4, v5, v3 bitop3:0x80
	v_mbcnt_lo_u32_b32 v50, v3, 0
	v_cmp_ne_u32_e64 s0, 0, v3
	s_delay_alu instid0(VALU_DEP_2) | instskip(SKIP_1) | instid1(SALU_CYCLE_1)
	v_cmp_eq_u32_e32 vcc_lo, 0, v50
	s_and_b32 s1, s0, vcc_lo
	s_and_saveexec_b32 s0, s1
	s_cbranch_execz .LBB2078_117
; %bb.116:
	s_wait_dscnt 0x0
	v_bcnt_u32_b32 v3, v3, v48
	ds_store_b32 v51, v3 offset:64
.LBB2078_117:
	s_or_b32 exec_lo, exec_lo, s0
	v_cmp_lt_i16_e32 vcc_lo, -1, v2
	; wave barrier
	v_cndmask_b32_e64 v3, -1, 0xffff8000, vcc_lo
	s_delay_alu instid0(VALU_DEP_1) | instskip(NEXT) | instid1(VALU_DEP_1)
	v_xor_b32_e32 v49, v3, v2
	v_cmp_ne_u16_e32 vcc_lo, 0x7fff, v49
	v_cndmask_b32_e32 v2, 0xffff8000, v49, vcc_lo
	s_delay_alu instid0(VALU_DEP_1) | instskip(NEXT) | instid1(VALU_DEP_1)
	v_and_b32_e32 v2, 0xffff, v2
	v_lshrrev_b32_e32 v2, s20, v2
	s_delay_alu instid0(VALU_DEP_1) | instskip(SKIP_1) | instid1(VALU_DEP_2)
	v_bitop3_b32 v3, v2, 1, s8 bitop3:0x80
	v_and_b32_e32 v2, s8, v2
	v_add_co_u32 v3, s0, v3, -1
	s_delay_alu instid0(VALU_DEP_1) | instskip(NEXT) | instid1(VALU_DEP_3)
	v_cndmask_b32_e64 v4, 0, 1, s0
	v_lshlrev_b32_e32 v5, 30, v2
	s_delay_alu instid0(VALU_DEP_2) | instskip(NEXT) | instid1(VALU_DEP_2)
	v_cmp_ne_u32_e32 vcc_lo, 0, v4
	v_not_b32_e32 v4, v5
	s_delay_alu instid0(VALU_DEP_1) | instskip(SKIP_4) | instid1(VALU_DEP_4)
	v_dual_ashrrev_i32 v4, 31, v4 :: v_dual_bitop2_b32 v3, vcc_lo, v3 bitop3:0x14
	v_dual_lshlrev_b32 v6, 29, v2 :: v_dual_lshlrev_b32 v7, 28, v2
	v_dual_lshlrev_b32 v52, 27, v2 :: v_dual_lshlrev_b32 v53, 26, v2
	;; [unrolled: 1-line block ×3, first 2 shown]
	v_cmp_gt_i32_e64 s0, 0, v5
	v_cmp_gt_i32_e64 s1, 0, v6
	v_not_b32_e32 v5, v6
	v_not_b32_e32 v6, v7
	v_cmp_gt_i32_e64 s2, 0, v7
	v_cmp_gt_i32_e64 s3, 0, v52
	v_not_b32_e32 v7, v52
	v_cmp_gt_i32_e64 s4, 0, v53
	v_not_b32_e32 v52, v53
	;; [unrolled: 2-line block ×3, first 2 shown]
	v_not_b32_e32 v54, v55
	v_dual_ashrrev_i32 v5, 31, v5 :: v_dual_ashrrev_i32 v6, 31, v6
	v_dual_ashrrev_i32 v7, 31, v7 :: v_dual_bitop2_b32 v4, s0, v4 bitop3:0x14
	s_delay_alu instid0(VALU_DEP_2) | instskip(NEXT) | instid1(VALU_DEP_3)
	v_dual_ashrrev_i32 v52, 31, v52 :: v_dual_bitop2_b32 v5, s1, v5 bitop3:0x14
	v_xor_b32_e32 v6, s2, v6
	s_delay_alu instid0(VALU_DEP_3)
	v_bitop3_b32 v3, v3, v4, exec_lo bitop3:0x80
	v_cmp_gt_i32_e64 s6, 0, v55
	v_dual_ashrrev_i32 v4, 31, v53 :: v_dual_ashrrev_i32 v53, 31, v54
	v_xor_b32_e32 v7, s3, v7
	v_xor_b32_e32 v52, s4, v52
	v_bitop3_b32 v3, v3, v6, v5 bitop3:0x80
	v_mad_u32_u24 v56, 0x44, v2, v0
	v_xor_b32_e32 v2, s5, v4
	v_xor_b32_e32 v4, s6, v53
	s_delay_alu instid0(VALU_DEP_4) | instskip(SKIP_2) | instid1(VALU_DEP_1)
	v_bitop3_b32 v3, v3, v52, v7 bitop3:0x80
	ds_load_b32 v52, v56 offset:64
	; wave barrier
	v_bitop3_b32 v2, v3, v4, v2 bitop3:0x80
	v_mbcnt_lo_u32_b32 v53, v2, 0
	v_cmp_ne_u32_e64 s0, 0, v2
	s_delay_alu instid0(VALU_DEP_2) | instskip(SKIP_1) | instid1(SALU_CYCLE_1)
	v_cmp_eq_u32_e32 vcc_lo, 0, v53
	s_and_b32 s1, s0, vcc_lo
	s_and_saveexec_b32 s0, s1
	s_cbranch_execz .LBB2078_119
; %bb.118:
	s_wait_dscnt 0x0
	v_bcnt_u32_b32 v2, v2, v52
	ds_store_b32 v56, v2 offset:64
.LBB2078_119:
	s_or_b32 exec_lo, exec_lo, s0
	v_cmp_lt_i16_e32 vcc_lo, -1, v1
	; wave barrier
	v_cndmask_b32_e64 v2, -1, 0xffff8000, vcc_lo
	s_delay_alu instid0(VALU_DEP_1) | instskip(NEXT) | instid1(VALU_DEP_1)
	v_xor_b32_e32 v54, v2, v1
	v_cmp_ne_u16_e32 vcc_lo, 0x7fff, v54
	v_cndmask_b32_e32 v1, 0xffff8000, v54, vcc_lo
	s_delay_alu instid0(VALU_DEP_1) | instskip(NEXT) | instid1(VALU_DEP_1)
	v_and_b32_e32 v1, 0xffff, v1
	v_lshrrev_b32_e32 v1, s20, v1
	s_delay_alu instid0(VALU_DEP_1) | instskip(SKIP_1) | instid1(VALU_DEP_2)
	v_bitop3_b32 v2, v1, 1, s8 bitop3:0x80
	v_and_b32_e32 v1, s8, v1
	v_add_co_u32 v2, s0, v2, -1
	s_delay_alu instid0(VALU_DEP_1) | instskip(NEXT) | instid1(VALU_DEP_3)
	v_cndmask_b32_e64 v3, 0, 1, s0
	v_lshlrev_b32_e32 v4, 30, v1
	s_delay_alu instid0(VALU_DEP_2) | instskip(NEXT) | instid1(VALU_DEP_2)
	v_cmp_ne_u32_e32 vcc_lo, 0, v3
	v_not_b32_e32 v3, v4
	s_delay_alu instid0(VALU_DEP_1) | instskip(SKIP_4) | instid1(VALU_DEP_4)
	v_dual_ashrrev_i32 v3, 31, v3 :: v_dual_bitop2_b32 v2, vcc_lo, v2 bitop3:0x14
	v_dual_lshlrev_b32 v5, 29, v1 :: v_dual_lshlrev_b32 v6, 28, v1
	v_dual_lshlrev_b32 v7, 27, v1 :: v_dual_lshlrev_b32 v55, 26, v1
	v_lshlrev_b32_e32 v57, 25, v1
	v_cmp_gt_i32_e64 s0, 0, v4
	v_cmp_gt_i32_e64 s1, 0, v5
	v_not_b32_e32 v4, v5
	v_not_b32_e32 v5, v6
	v_lshlrev_b32_e32 v58, 24, v1
	v_cmp_gt_i32_e64 s2, 0, v6
	v_cmp_gt_i32_e64 s3, 0, v7
	v_not_b32_e32 v6, v7
	v_not_b32_e32 v7, v55
	v_dual_ashrrev_i32 v4, 31, v4 :: v_dual_ashrrev_i32 v5, 31, v5
	v_xor_b32_e32 v3, s0, v3
	v_cmp_gt_i32_e64 s4, 0, v55
	v_cmp_gt_i32_e64 s5, 0, v57
	v_not_b32_e32 v55, v57
	v_not_b32_e32 v57, v58
	v_dual_ashrrev_i32 v6, 31, v6 :: v_dual_ashrrev_i32 v7, 31, v7
	v_xor_b32_e32 v4, s1, v4
	v_xor_b32_e32 v5, s2, v5
	v_bitop3_b32 v2, v2, v3, exec_lo bitop3:0x80
	v_cmp_gt_i32_e64 s6, 0, v58
	v_dual_ashrrev_i32 v3, 31, v55 :: v_dual_ashrrev_i32 v55, 31, v57
	v_xor_b32_e32 v6, s3, v6
	v_xor_b32_e32 v7, s4, v7
	v_bitop3_b32 v2, v2, v5, v4 bitop3:0x80
	v_mad_u32_u24 v58, 0x44, v1, v0
	v_xor_b32_e32 v0, s5, v3
	v_xor_b32_e32 v1, s6, v55
	s_delay_alu instid0(VALU_DEP_4) | instskip(SKIP_2) | instid1(VALU_DEP_1)
	v_bitop3_b32 v2, v2, v7, v6 bitop3:0x80
	ds_load_b32 v55, v58 offset:64
	; wave barrier
	v_bitop3_b32 v0, v2, v1, v0 bitop3:0x80
	v_mbcnt_lo_u32_b32 v57, v0, 0
	v_cmp_ne_u32_e64 s0, 0, v0
	s_delay_alu instid0(VALU_DEP_2) | instskip(SKIP_1) | instid1(SALU_CYCLE_1)
	v_cmp_eq_u32_e32 vcc_lo, 0, v57
	s_and_b32 s1, s0, vcc_lo
	s_and_saveexec_b32 s0, s1
	s_cbranch_execz .LBB2078_121
; %bb.120:
	s_wait_dscnt 0x0
	v_bcnt_u32_b32 v0, v0, v55
	ds_store_b32 v58, v0 offset:64
.LBB2078_121:
	s_or_b32 exec_lo, exec_lo, s0
	; wave barrier
	s_wait_dscnt 0x0
	s_barrier_signal -1
	s_barrier_wait -1
	ds_load_2addr_b32 v[6:7], v11 offset0:16 offset1:17
	ds_load_2addr_b32 v[4:5], v11 offset0:18 offset1:19
	;; [unrolled: 1-line block ×4, first 2 shown]
	ds_load_b32 v59, v11 offset:96
	v_min_u32_e32 v15, 0x1e0, v15
	s_mov_b32 s4, exec_lo
	s_wait_dscnt 0x3
	v_add3_u32 v60, v7, v6, v4
	s_wait_dscnt 0x2
	s_delay_alu instid0(VALU_DEP_1) | instskip(SKIP_1) | instid1(VALU_DEP_1)
	v_add3_u32 v60, v60, v5, v2
	s_wait_dscnt 0x1
	v_add3_u32 v60, v60, v3, v0
	s_wait_dscnt 0x0
	s_delay_alu instid0(VALU_DEP_1) | instskip(SKIP_1) | instid1(VALU_DEP_2)
	v_add3_u32 v59, v60, v1, v59
	v_and_b32_e32 v60, 15, v14
	v_mov_b32_dpp v61, v59 row_shr:1 row_mask:0xf bank_mask:0xf
	s_delay_alu instid0(VALU_DEP_2) | instskip(NEXT) | instid1(VALU_DEP_2)
	v_cmp_eq_u32_e32 vcc_lo, 0, v60
	v_cndmask_b32_e64 v61, v61, 0, vcc_lo
	s_delay_alu instid0(VALU_DEP_1) | instskip(SKIP_3) | instid1(VALU_DEP_4)
	v_add_nc_u32_e32 v59, v61, v59
	v_cmp_lt_u32_e64 s0, 1, v60
	v_cmp_lt_u32_e64 s1, 3, v60
	;; [unrolled: 1-line block ×3, first 2 shown]
	v_mov_b32_dpp v61, v59 row_shr:2 row_mask:0xf bank_mask:0xf
	s_delay_alu instid0(VALU_DEP_1) | instskip(NEXT) | instid1(VALU_DEP_1)
	v_cndmask_b32_e64 v61, 0, v61, s0
	v_add_nc_u32_e32 v59, v59, v61
	s_delay_alu instid0(VALU_DEP_1) | instskip(NEXT) | instid1(VALU_DEP_1)
	v_mov_b32_dpp v61, v59 row_shr:4 row_mask:0xf bank_mask:0xf
	v_cndmask_b32_e64 v61, 0, v61, s1
	s_delay_alu instid0(VALU_DEP_1) | instskip(NEXT) | instid1(VALU_DEP_1)
	v_add_nc_u32_e32 v59, v59, v61
	v_mov_b32_dpp v61, v59 row_shr:8 row_mask:0xf bank_mask:0xf
	s_delay_alu instid0(VALU_DEP_1) | instskip(SKIP_1) | instid1(VALU_DEP_2)
	v_cndmask_b32_e64 v60, 0, v61, s2
	v_bfe_i32 v61, v14, 4, 1
	v_add_nc_u32_e32 v60, v59, v60
	ds_swizzle_b32 v59, v60 offset:swizzle(BROADCAST,32,15)
	s_wait_dscnt 0x0
	v_dual_lshrrev_b32 v59, 5, v12 :: v_dual_bitop2_b32 v61, v61, v59 bitop3:0x40
	s_delay_alu instid0(VALU_DEP_1) | instskip(NEXT) | instid1(VALU_DEP_1)
	v_dual_add_nc_u32 v15, v60, v61 :: v_dual_bitop2_b32 v62, 31, v15 bitop3:0x54
	v_cmpx_eq_u32_e64 v12, v62
; %bb.122:
	s_delay_alu instid0(VALU_DEP_3)
	v_lshlrev_b32_e32 v60, 2, v59
	ds_store_b32 v60, v15
; %bb.123:
	s_or_b32 exec_lo, exec_lo, s4
	s_delay_alu instid0(SALU_CYCLE_1)
	s_mov_b32 s4, exec_lo
	s_wait_dscnt 0x0
	s_barrier_signal -1
	s_barrier_wait -1
	v_cmpx_gt_u32_e32 16, v12
	s_cbranch_execz .LBB2078_125
; %bb.124:
	v_lshlrev_b32_e32 v60, 2, v12
	ds_load_b32 v61, v60
	s_wait_dscnt 0x0
	v_mov_b32_dpp v62, v61 row_shr:1 row_mask:0xf bank_mask:0xf
	s_delay_alu instid0(VALU_DEP_1) | instskip(NEXT) | instid1(VALU_DEP_1)
	v_cndmask_b32_e64 v62, v62, 0, vcc_lo
	v_add_nc_u32_e32 v61, v62, v61
	s_delay_alu instid0(VALU_DEP_1) | instskip(NEXT) | instid1(VALU_DEP_1)
	v_mov_b32_dpp v62, v61 row_shr:2 row_mask:0xf bank_mask:0xf
	v_cndmask_b32_e64 v62, 0, v62, s0
	s_delay_alu instid0(VALU_DEP_1) | instskip(NEXT) | instid1(VALU_DEP_1)
	v_add_nc_u32_e32 v61, v61, v62
	v_mov_b32_dpp v62, v61 row_shr:4 row_mask:0xf bank_mask:0xf
	s_delay_alu instid0(VALU_DEP_1) | instskip(NEXT) | instid1(VALU_DEP_1)
	v_cndmask_b32_e64 v62, 0, v62, s1
	v_add_nc_u32_e32 v61, v61, v62
	s_delay_alu instid0(VALU_DEP_1) | instskip(NEXT) | instid1(VALU_DEP_1)
	v_mov_b32_dpp v62, v61 row_shr:8 row_mask:0xf bank_mask:0xf
	v_cndmask_b32_e64 v62, 0, v62, s2
	s_delay_alu instid0(VALU_DEP_1)
	v_add_nc_u32_e32 v61, v61, v62
	ds_store_b32 v60, v61
.LBB2078_125:
	s_or_b32 exec_lo, exec_lo, s4
	v_mov_b32_e32 v60, 0
	s_mov_b32 s0, exec_lo
	s_wait_dscnt 0x0
	s_barrier_signal -1
	s_barrier_wait -1
	v_cmpx_lt_u32_e32 31, v12
; %bb.126:
	v_lshl_add_u32 v59, v59, 2, -4
	ds_load_b32 v60, v59
; %bb.127:
	s_or_b32 exec_lo, exec_lo, s0
	v_sub_co_u32 v59, vcc_lo, v14, 1
	s_wait_dscnt 0x0
	v_add_nc_u32_e32 v15, v60, v15
	s_delay_alu instid0(VALU_DEP_2) | instskip(NEXT) | instid1(VALU_DEP_1)
	v_cmp_gt_i32_e64 s0, 0, v59
	v_cndmask_b32_e64 v14, v59, v14, s0
	v_cmp_gt_u32_e64 s0, 0x100, v12
	s_delay_alu instid0(VALU_DEP_2) | instskip(SKIP_4) | instid1(VALU_DEP_2)
	v_lshlrev_b32_e32 v14, 2, v14
	ds_bpermute_b32 v14, v14, v15
	s_wait_dscnt 0x0
	v_cndmask_b32_e32 v14, v14, v60, vcc_lo
	v_cmp_ne_u32_e32 vcc_lo, 0, v12
	v_cndmask_b32_e32 v14, 0, v14, vcc_lo
	v_cmp_lt_u32_e32 vcc_lo, 0xff, v12
	s_delay_alu instid0(VALU_DEP_2) | instskip(NEXT) | instid1(VALU_DEP_1)
	v_add_nc_u32_e32 v6, v14, v6
	v_add_nc_u32_e32 v7, v6, v7
	s_delay_alu instid0(VALU_DEP_1) | instskip(NEXT) | instid1(VALU_DEP_1)
	v_add_nc_u32_e32 v4, v7, v4
	v_add_nc_u32_e32 v5, v4, v5
	s_delay_alu instid0(VALU_DEP_1) | instskip(NEXT) | instid1(VALU_DEP_1)
	;; [unrolled: 3-line block ×3, first 2 shown]
	v_add_nc_u32_e32 v0, v3, v0
	v_add_nc_u32_e32 v1, v0, v1
	ds_store_2addr_b32 v11, v14, v6 offset0:16 offset1:17
	ds_store_2addr_b32 v11, v7, v4 offset0:18 offset1:19
	;; [unrolled: 1-line block ×4, first 2 shown]
	ds_store_b32 v11, v1 offset:96
	s_wait_dscnt 0x0
	s_barrier_signal -1
	s_barrier_wait -1
	ds_load_b32 v59, v13 offset:64
	ds_load_b32 v60, v19 offset:64
	;; [unrolled: 1-line block ×12, first 2 shown]
	v_mov_b64_e32 v[0:1], 0
                                        ; implicit-def: $vgpr2
	s_and_saveexec_b32 s2, s0
	s_cbranch_execz .LBB2078_131
; %bb.128:
	v_mul_u32_u24_e32 v0, 0x44, v12
	v_dual_mov_b32 v1, 0x1800 :: v_dual_add_nc_u32 v2, 1, v12
	s_mov_b32 s3, exec_lo
	ds_load_b32 v0, v0 offset:64
	v_cmpx_ne_u32_e32 0x100, v2
; %bb.129:
	v_mul_u32_u24_e32 v1, 0x44, v2
	ds_load_b32 v1, v1 offset:64
; %bb.130:
	s_or_b32 exec_lo, exec_lo, s3
	s_wait_dscnt 0x0
	v_dual_mov_b32 v1, 0 :: v_dual_sub_nc_u32 v2, v1, v0
.LBB2078_131:
	s_or_b32 exec_lo, exec_lo, s2
	s_wait_dscnt 0xa
	v_dual_lshlrev_b32 v9, 1, v9 :: v_dual_lshlrev_b32 v23, 1, v60
	v_dual_lshlrev_b32 v18, 1, v18 :: v_dual_lshlrev_b32 v17, 1, v17
	v_lshlrev_b32_e32 v21, 1, v21
	s_delay_alu instid0(VALU_DEP_3)
	v_lshl_add_u32 v9, v59, 1, v9
	s_wait_dscnt 0x0
	s_barrier_signal -1
	v_add3_u32 v17, v23, v18, v17
	v_dual_lshlrev_b32 v18, 1, v19 :: v_dual_lshlrev_b32 v19, 1, v22
	s_barrier_wait -1
	ds_store_b16 v9, v8 offset:2048
	ds_store_b16 v17, v10 offset:2048
	v_lshlrev_b32_e32 v9, 1, v15
	v_add3_u32 v8, v18, v19, v21
	v_dual_lshlrev_b32 v10, 1, v26 :: v_dual_lshlrev_b32 v15, 1, v25
	v_dual_lshlrev_b32 v14, 1, v14 :: v_dual_lshlrev_b32 v18, 1, v28
	;; [unrolled: 1-line block ×6, first 2 shown]
	ds_store_b16 v8, v16 offset:2048
	v_add3_u32 v8, v9, v10, v15
	v_add3_u32 v9, v14, v17, v18
	;; [unrolled: 1-line block ×3, first 2 shown]
	v_dual_lshlrev_b32 v13, 1, v42 :: v_dual_lshlrev_b32 v14, 1, v41
	v_add3_u32 v11, v11, v22, v23
	ds_store_b16 v8, v20 offset:2048
	ds_store_b16 v9, v24 offset:2048
	;; [unrolled: 1-line block ×4, first 2 shown]
	v_dual_lshlrev_b32 v6, 1, v6 :: v_dual_lshlrev_b32 v9, 1, v45
	v_add3_u32 v7, v7, v13, v14
	v_dual_lshlrev_b32 v8, 1, v46 :: v_dual_lshlrev_b32 v5, 1, v5
	v_dual_lshlrev_b32 v10, 1, v50 :: v_dual_lshlrev_b32 v11, 1, v48
	;; [unrolled: 1-line block ×5, first 2 shown]
	ds_store_b16 v7, v36 offset:2048
	v_add3_u32 v6, v6, v8, v9
	v_add3_u32 v7, v5, v10, v11
	;; [unrolled: 1-line block ×3, first 2 shown]
	v_dual_mov_b32 v5, 0 :: v_dual_lshlrev_b32 v3, 3, v12
	v_add3_u32 v4, v4, v13, v14
	ds_store_b16 v6, v40 offset:2048
	ds_store_b16 v7, v44 offset:2048
	;; [unrolled: 1-line block ×4, first 2 shown]
	s_and_saveexec_b32 s1, s0
	s_cbranch_execz .LBB2078_141
; %bb.132:
	v_lshl_add_u32 v4, s9, 8, v12
	v_dual_mov_b32 v8, 0 :: v_dual_bitop2_b32 v9, 2.0, v2 bitop3:0x54
	s_mov_b32 s2, 0
	s_mov_b32 s3, s9
	s_delay_alu instid0(VALU_DEP_2)
	v_lshl_add_u64 v[6:7], v[4:5], 2, s[10:11]
	global_store_b32 v4, v9, s[10:11] scale_offset scope:SCOPE_DEV
                                        ; implicit-def: $sgpr0
	s_branch .LBB2078_135
.LBB2078_133:                           ;   in Loop: Header=BB2078_135 Depth=1
	s_or_b32 exec_lo, exec_lo, s5
.LBB2078_134:                           ;   in Loop: Header=BB2078_135 Depth=1
	s_delay_alu instid0(SALU_CYCLE_1) | instskip(SKIP_2) | instid1(VALU_DEP_2)
	s_or_b32 exec_lo, exec_lo, s4
	v_and_b32_e32 v4, 0x3fffffff, v9
	v_cmp_gt_i32_e64 s0, -2.0, v9
	v_add_nc_u32_e32 v8, v4, v8
	s_and_b32 s4, exec_lo, s0
	s_delay_alu instid0(SALU_CYCLE_1) | instskip(NEXT) | instid1(SALU_CYCLE_1)
	s_or_b32 s2, s4, s2
	s_and_not1_b32 exec_lo, exec_lo, s2
	s_cbranch_execz .LBB2078_140
.LBB2078_135:                           ; =>This Loop Header: Depth=1
                                        ;     Child Loop BB2078_138 Depth 2
	s_or_b32 s0, s0, exec_lo
	s_cmp_eq_u32 s3, 0
	s_cbranch_scc1 .LBB2078_139
; %bb.136:                              ;   in Loop: Header=BB2078_135 Depth=1
	s_add_co_i32 s3, s3, -1
	s_mov_b32 s4, exec_lo
	s_wait_xcnt 0x0
	v_lshl_or_b32 v4, s3, 8, v12
	global_load_b32 v9, v4, s[10:11] scale_offset scope:SCOPE_DEV
	s_wait_loadcnt 0x0
	v_cmpx_gt_u32_e32 2.0, v9
	s_cbranch_execz .LBB2078_134
; %bb.137:                              ;   in Loop: Header=BB2078_135 Depth=1
	v_lshl_add_u64 v[10:11], v[4:5], 2, s[10:11]
	s_mov_b32 s5, 0
.LBB2078_138:                           ;   Parent Loop BB2078_135 Depth=1
                                        ; =>  This Inner Loop Header: Depth=2
	global_load_b32 v9, v[10:11], off scope:SCOPE_DEV
	s_wait_loadcnt 0x0
	v_cmp_lt_u32_e64 s0, 0x3fffffff, v9
	s_or_b32 s5, s0, s5
	s_wait_xcnt 0x0
	s_and_not1_b32 exec_lo, exec_lo, s5
	s_cbranch_execnz .LBB2078_138
	s_branch .LBB2078_133
.LBB2078_139:                           ;   in Loop: Header=BB2078_135 Depth=1
                                        ; implicit-def: $sgpr3
	s_and_b32 s4, exec_lo, s0
	s_delay_alu instid0(SALU_CYCLE_1)
	s_or_b32 s2, s4, s2
	s_wait_xcnt 0x0
	s_and_not1_b32 exec_lo, exec_lo, s2
	s_cbranch_execnz .LBB2078_135
.LBB2078_140:
	s_or_b32 exec_lo, exec_lo, s2
	v_dual_mov_b32 v9, 0 :: v_dual_add_nc_u32 v4, v8, v2
	s_delay_alu instid0(VALU_DEP_1) | instskip(SKIP_4) | instid1(VALU_DEP_1)
	v_or_b32_e32 v4, 0x80000000, v4
	global_store_b32 v[6:7], v4, off scope:SCOPE_DEV
	global_load_b64 v[4:5], v12, s[12:13] scale_offset
	v_sub_nc_u64_e32 v[6:7], v[8:9], v[0:1]
	s_wait_loadcnt 0x0
	v_add_nc_u64_e32 v[4:5], v[6:7], v[4:5]
	ds_store_b64 v3, v[4:5]
.LBB2078_141:
	s_wait_xcnt 0x0
	s_or_b32 exec_lo, exec_lo, s1
	v_mad_i32_i24 v13, v12, -6, v3
	s_wait_storecnt_dscnt 0x0
	s_barrier_signal -1
	s_barrier_wait -1
	ds_load_u16 v16, v13 offset:2048
	ds_load_u16 v17, v13 offset:3072
	;; [unrolled: 1-line block ×8, first 2 shown]
	v_dual_mov_b32 v5, 0 :: v_dual_lshlrev_b32 v4, 1, v12
	s_add_co_i32 s7, s7, -1
	s_delay_alu instid0(SALU_CYCLE_1) | instskip(SKIP_2) | instid1(VALU_DEP_1)
	s_cmp_eq_u32 s9, s7
	s_wait_dscnt 0x7
	v_cmp_ne_u16_e64 s0, 0x7fff, v16
	v_cndmask_b32_e64 v6, 0xffff8000, v16, s0
	v_cmp_lt_i16_e64 s0, -1, v16
	s_delay_alu instid0(VALU_DEP_2) | instskip(NEXT) | instid1(VALU_DEP_2)
	v_and_b32_e32 v6, 0xffff, v6
	v_cndmask_b32_e64 v24, 0xffff8000, -1, s0
	s_wait_dscnt 0x6
	v_cmp_ne_u16_e64 s0, 0x7fff, v17
	s_delay_alu instid0(VALU_DEP_2) | instskip(NEXT) | instid1(VALU_DEP_2)
	v_xor_b32_e32 v24, v24, v16
	v_cndmask_b32_e64 v7, 0xffff8000, v17, s0
	s_wait_dscnt 0x5
	v_cmp_ne_u16_e64 s0, 0x7fff, v18
	s_delay_alu instid0(VALU_DEP_2) | instskip(NEXT) | instid1(VALU_DEP_2)
	v_and_b32_e32 v7, 0xffff, v7
	v_cndmask_b32_e64 v8, 0xffff8000, v18, s0
	s_wait_dscnt 0x4
	v_cmp_ne_u16_e64 s0, 0x7fff, v19
	s_delay_alu instid0(VALU_DEP_3) | instskip(NEXT) | instid1(VALU_DEP_3)
	v_dual_lshrrev_b32 v6, s20, v6 :: v_dual_lshrrev_b32 v7, s20, v7
	v_and_b32_e32 v8, 0xffff, v8
	s_delay_alu instid0(VALU_DEP_3) | instskip(SKIP_1) | instid1(VALU_DEP_4)
	v_cndmask_b32_e64 v9, 0xffff8000, v19, s0
	v_cmp_lt_i16_e64 s0, -1, v17
	v_and_b32_e32 v7, s8, v7
	v_and_b32_e32 v6, s8, v6
	s_delay_alu instid0(VALU_DEP_4) | instskip(NEXT) | instid1(VALU_DEP_4)
	v_and_b32_e32 v9, 0xffff, v9
	v_cndmask_b32_e64 v25, 0xffff8000, -1, s0
	s_wait_dscnt 0x3
	v_cmp_ne_u16_e64 s0, 0x7fff, v20
	v_dual_lshrrev_b32 v8, s20, v8 :: v_dual_lshlrev_b32 v11, 3, v7
	v_dual_lshrrev_b32 v9, s20, v9 :: v_dual_lshlrev_b32 v6, 3, v6
	s_delay_alu instid0(VALU_DEP_3) | instskip(SKIP_1) | instid1(VALU_DEP_2)
	v_cndmask_b32_e64 v10, 0xffff8000, v20, s0
	v_cmp_lt_i16_e64 s0, -1, v18
	v_and_b32_e32 v10, 0xffff, v10
	v_and_b32_e32 v8, s8, v8
	;; [unrolled: 1-line block ×3, first 2 shown]
	s_delay_alu instid0(VALU_DEP_4) | instskip(SKIP_1) | instid1(VALU_DEP_4)
	v_cndmask_b32_e64 v27, 0xffff8000, -1, s0
	v_cmp_lt_i16_e64 s0, -1, v19
	v_dual_lshrrev_b32 v26, s20, v10 :: v_dual_lshlrev_b32 v10, 3, v8
	s_delay_alu instid0(VALU_DEP_4)
	v_lshlrev_b32_e32 v14, 3, v9
	ds_load_b64 v[6:7], v6
	ds_load_b64 v[8:9], v11
	v_cndmask_b32_e64 v28, 0xffff8000, -1, s0
	s_wait_dscnt 0x4
	v_cmp_ne_u16_e64 s0, 0x7fff, v21
	v_and_b32_e32 v26, s8, v26
	ds_load_b64 v[10:11], v10
	ds_load_b64 v[14:15], v14
	v_xor_b32_e32 v19, v28, v19
	v_cndmask_b32_e64 v29, 0xffff8000, v21, s0
	s_wait_dscnt 0x5
	v_cmp_ne_u16_e64 s0, 0x7fff, v22
	v_lshlrev_b32_e32 v26, 3, v26
	s_delay_alu instid0(VALU_DEP_2) | instskip(SKIP_1) | instid1(VALU_DEP_2)
	v_cndmask_b32_e64 v30, 0xffff8000, v22, s0
	v_cmp_lt_i16_e64 s0, -1, v20
	v_and_b32_e32 v28, 0xffff, v30
	s_wait_dscnt 0x3
	v_lshl_add_u64 v[6:7], v[6:7], 1, s[18:19]
	v_xor_b32_e32 v18, v27, v18
	v_and_b32_e32 v27, 0xffff, v29
	v_xor_b32_e32 v25, v25, v17
	ds_load_b64 v[16:17], v26
	ds_load_u16 v26, v13 offset:10240
	ds_load_u16 v31, v13 offset:11264
	;; [unrolled: 1-line block ×4, first 2 shown]
	s_wait_dscnt 0x7
	v_lshl_add_u64 v[8:9], v[8:9], 1, s[18:19]
	s_wait_dscnt 0x6
	v_lshl_add_u64 v[10:11], v[10:11], 1, s[18:19]
	v_add_nc_u64_e32 v[6:7], v[6:7], v[4:5]
	s_wait_dscnt 0x5
	v_lshl_add_u64 v[14:15], v[14:15], 1, s[18:19]
	v_add_nc_u64_e32 v[8:9], v[8:9], v[4:5]
	v_add_nc_u64_e32 v[10:11], v[10:11], v[4:5]
	s_clause 0x1
	global_store_b16 v[6:7], v24, off
	global_store_b16 v[8:9], v25, off offset:1024
	s_wait_xcnt 0x1
	v_cndmask_b32_e64 v6, 0xffff8000, -1, s0
	v_cmp_ne_u16_e64 s0, 0x7fff, v23
	s_wait_xcnt 0x0
	v_dual_lshrrev_b32 v8, s20, v27 :: v_dual_lshrrev_b32 v9, s20, v28
	global_store_b16 v[10:11], v18, off offset:2048
	v_add_nc_u64_e32 v[14:15], v[14:15], v[4:5]
	s_wait_xcnt 0x0
	v_cndmask_b32_e64 v10, 0xffff8000, v23, s0
	s_wait_dscnt 0x3
	v_cmp_ne_u16_e64 s0, 0x7fff, v26
	v_and_b32_e32 v8, s8, v8
	v_and_b32_e32 v9, s8, v9
	s_delay_alu instid0(VALU_DEP_3)
	v_cndmask_b32_e64 v11, 0xffff8000, v26, s0
	s_wait_dscnt 0x2
	v_cmp_ne_u16_e64 s0, 0x7fff, v31
	v_lshlrev_b32_e32 v8, 3, v8
	global_store_b16 v[14:15], v19, off offset:3072
	s_wait_xcnt 0x0
	v_dual_lshlrev_b32 v15, 3, v9 :: v_dual_bitop2_b32 v14, v6, v20 bitop3:0x14
	v_lshl_add_u64 v[6:7], v[16:17], 1, s[18:19]
	v_and_b32_e32 v16, 0xffff, v10
	v_and_b32_e32 v17, 0xffff, v11
	v_cndmask_b32_e64 v18, 0xffff8000, v31, s0
	ds_load_b64 v[8:9], v8
	ds_load_b64 v[10:11], v15
	v_cmp_lt_i16_e64 s0, -1, v21
	v_dual_lshrrev_b32 v15, s20, v16 :: v_dual_lshrrev_b32 v16, s20, v17
	v_and_b32_e32 v17, 0xffff, v18
	v_add_nc_u64_e32 v[6:7], v[6:7], v[4:5]
	s_delay_alu instid0(VALU_DEP_4) | instskip(NEXT) | instid1(VALU_DEP_4)
	v_cndmask_b32_e64 v18, 0xffff8000, -1, s0
	v_and_b32_e32 v15, s8, v15
	s_wait_dscnt 0x3
	v_cmp_ne_u16_e64 s0, 0x7fff, v32
	v_dual_lshrrev_b32 v17, s20, v17 :: v_dual_bitop2_b32 v16, s8, v16 bitop3:0x40
	global_store_b16 v[6:7], v14, off offset:4096
	s_wait_xcnt 0x0
	v_dual_lshlrev_b32 v6, 3, v15 :: v_dual_bitop2_b32 v18, v18, v21 bitop3:0x14
	v_dual_lshlrev_b32 v14, 3, v16 :: v_dual_bitop2_b32 v16, s8, v17 bitop3:0x40
	v_cndmask_b32_e64 v17, 0xffff8000, v32, s0
	s_wait_dscnt 0x2
	v_cmp_ne_u16_e64 s0, 0x7fff, v13
	s_wait_dscnt 0x1
	v_lshl_add_u64 v[8:9], v[8:9], 1, s[18:19]
	s_wait_dscnt 0x0
	v_lshl_add_u64 v[10:11], v[10:11], 1, s[18:19]
	ds_load_b64 v[6:7], v6
	ds_load_b64 v[14:15], v14
	v_and_b32_e32 v17, 0xffff, v17
	v_cndmask_b32_e64 v19, 0xffff8000, v13, s0
	v_cmp_lt_i16_e64 s0, -1, v22
	v_add_nc_u64_e32 v[8:9], v[8:9], v[4:5]
	v_add_nc_u64_e32 v[10:11], v[10:11], v[4:5]
	v_lshrrev_b32_e32 v20, s20, v17
	v_and_b32_e32 v19, 0xffff, v19
	v_lshlrev_b32_e32 v16, 3, v16
	v_cndmask_b32_e64 v21, 0xffff8000, -1, s0
	v_cmp_lt_i16_e64 s0, -1, v23
	s_delay_alu instid0(VALU_DEP_4)
	v_lshrrev_b32_e32 v19, s20, v19
	ds_load_b64 v[16:17], v16
	v_xor_b32_e32 v21, v21, v22
	s_clause 0x1
	global_store_b16 v[8:9], v18, off offset:5120
	global_store_b16 v[10:11], v21, off offset:6144
	v_and_b32_e32 v19, s8, v19
	v_and_b32_e32 v20, s8, v20
	v_cndmask_b32_e64 v22, 0xffff8000, -1, s0
	v_cmp_lt_i16_e64 s0, -1, v26
	s_wait_dscnt 0x2
	v_lshl_add_u64 v[6:7], v[6:7], 1, s[18:19]
	v_dual_lshlrev_b32 v19, 3, v19 :: v_dual_lshlrev_b32 v20, 3, v20
	s_wait_dscnt 0x1
	v_lshl_add_u64 v[14:15], v[14:15], 1, s[18:19]
	s_wait_xcnt 0x1
	v_xor_b32_e32 v18, v22, v23
	v_add_nc_u64_e32 v[6:7], v[6:7], v[4:5]
	s_wait_xcnt 0x0
	ds_load_b64 v[10:11], v19
	ds_load_b64 v[8:9], v20
	v_cndmask_b32_e64 v19, 0xffff8000, -1, s0
	v_cmp_lt_i16_e64 s0, -1, v31
	s_wait_dscnt 0x2
	v_lshl_add_u64 v[16:17], v[16:17], 1, s[18:19]
	v_add_nc_u64_e32 v[14:15], v[14:15], v[4:5]
	v_xor_b32_e32 v19, v19, v26
	v_cndmask_b32_e64 v20, 0xffff8000, -1, s0
	v_cmp_lt_i16_e64 s0, -1, v32
	v_add_nc_u64_e32 v[16:17], v[16:17], v[4:5]
	s_delay_alu instid0(VALU_DEP_3) | instskip(NEXT) | instid1(VALU_DEP_3)
	v_xor_b32_e32 v20, v20, v31
	v_cndmask_b32_e64 v21, 0xffff8000, -1, s0
	v_cmp_lt_i16_e64 s0, -1, v13
	s_clause 0x2
	global_store_b16 v[6:7], v18, off offset:7168
	global_store_b16 v[14:15], v19, off offset:8192
	;; [unrolled: 1-line block ×3, first 2 shown]
	s_wait_xcnt 0x1
	v_xor_b32_e32 v14, v21, v32
	s_wait_dscnt 0x0
	v_lshl_add_u64 v[6:7], v[8:9], 1, s[18:19]
	v_lshl_add_u64 v[8:9], v[10:11], 1, s[18:19]
	v_cndmask_b32_e64 v10, 0xffff8000, -1, s0
	s_cselect_b32 s0, -1, 0
	s_xor_b32 s1, vcc_lo, -1
	v_add_nc_u64_e32 v[6:7], v[6:7], v[4:5]
	v_add_nc_u64_e32 v[8:9], v[8:9], v[4:5]
	v_xor_b32_e32 v4, v10, v13
	s_and_b32 s0, s1, s0
	s_clause 0x1
	global_store_b16 v[6:7], v14, off offset:10240
	global_store_b16 v[8:9], v4, off offset:11264
	s_wait_xcnt 0x0
	s_and_saveexec_b32 s1, s0
	s_cbranch_execz .LBB2078_143
; %bb.142:
	ds_load_b64 v[6:7], v3
	v_mov_b32_e32 v3, v5
	s_delay_alu instid0(VALU_DEP_1) | instskip(SKIP_1) | instid1(VALU_DEP_1)
	v_add_nc_u64_e32 v[0:1], v[0:1], v[2:3]
	s_wait_dscnt 0x0
	v_add_nc_u64_e32 v[0:1], v[0:1], v[6:7]
	global_store_b64 v12, v[0:1], s[14:15] scale_offset
.LBB2078_143:
	s_sendmsg sendmsg(MSG_DEALLOC_VGPRS)
	s_endpgm
	.section	.rodata,"a",@progbits
	.p2align	6, 0x0
	.amdhsa_kernel _ZN7rocprim17ROCPRIM_400000_NS6detail17trampoline_kernelINS0_14default_configENS1_35radix_sort_onesweep_config_selectorI12hip_bfloat16NS0_10empty_typeEEEZZNS1_29radix_sort_onesweep_iterationIS3_Lb0EPKS5_PS5_PS6_SC_mNS0_19identity_decomposerENS1_16block_id_wrapperIjLb0EEEEE10hipError_tT1_PNSt15iterator_traitsISH_E10value_typeET2_T3_PNSI_ISN_E10value_typeET4_T5_PSS_ST_PNS1_23onesweep_lookback_stateEbbT6_jjT7_P12ihipStream_tbENKUlT_T0_SH_SM_E_clISB_SB_SC_SC_EEDaS10_S11_SH_SM_EUlS10_E_NS1_11comp_targetILNS1_3genE0ELNS1_11target_archE4294967295ELNS1_3gpuE0ELNS1_3repE0EEENS1_47radix_sort_onesweep_sort_config_static_selectorELNS0_4arch9wavefront6targetE0EEEvSH_
		.amdhsa_group_segment_fixed_size 18504
		.amdhsa_private_segment_fixed_size 0
		.amdhsa_kernarg_size 344
		.amdhsa_user_sgpr_count 2
		.amdhsa_user_sgpr_dispatch_ptr 0
		.amdhsa_user_sgpr_queue_ptr 0
		.amdhsa_user_sgpr_kernarg_segment_ptr 1
		.amdhsa_user_sgpr_dispatch_id 0
		.amdhsa_user_sgpr_kernarg_preload_length 0
		.amdhsa_user_sgpr_kernarg_preload_offset 0
		.amdhsa_user_sgpr_private_segment_size 0
		.amdhsa_wavefront_size32 1
		.amdhsa_uses_dynamic_stack 0
		.amdhsa_enable_private_segment 0
		.amdhsa_system_sgpr_workgroup_id_x 1
		.amdhsa_system_sgpr_workgroup_id_y 0
		.amdhsa_system_sgpr_workgroup_id_z 0
		.amdhsa_system_sgpr_workgroup_info 0
		.amdhsa_system_vgpr_workitem_id 2
		.amdhsa_next_free_vgpr 65
		.amdhsa_next_free_sgpr 28
		.amdhsa_named_barrier_count 0
		.amdhsa_reserve_vcc 1
		.amdhsa_float_round_mode_32 0
		.amdhsa_float_round_mode_16_64 0
		.amdhsa_float_denorm_mode_32 3
		.amdhsa_float_denorm_mode_16_64 3
		.amdhsa_fp16_overflow 0
		.amdhsa_memory_ordered 1
		.amdhsa_forward_progress 1
		.amdhsa_inst_pref_size 146
		.amdhsa_round_robin_scheduling 0
		.amdhsa_exception_fp_ieee_invalid_op 0
		.amdhsa_exception_fp_denorm_src 0
		.amdhsa_exception_fp_ieee_div_zero 0
		.amdhsa_exception_fp_ieee_overflow 0
		.amdhsa_exception_fp_ieee_underflow 0
		.amdhsa_exception_fp_ieee_inexact 0
		.amdhsa_exception_int_div_zero 0
	.end_amdhsa_kernel
	.section	.text._ZN7rocprim17ROCPRIM_400000_NS6detail17trampoline_kernelINS0_14default_configENS1_35radix_sort_onesweep_config_selectorI12hip_bfloat16NS0_10empty_typeEEEZZNS1_29radix_sort_onesweep_iterationIS3_Lb0EPKS5_PS5_PS6_SC_mNS0_19identity_decomposerENS1_16block_id_wrapperIjLb0EEEEE10hipError_tT1_PNSt15iterator_traitsISH_E10value_typeET2_T3_PNSI_ISN_E10value_typeET4_T5_PSS_ST_PNS1_23onesweep_lookback_stateEbbT6_jjT7_P12ihipStream_tbENKUlT_T0_SH_SM_E_clISB_SB_SC_SC_EEDaS10_S11_SH_SM_EUlS10_E_NS1_11comp_targetILNS1_3genE0ELNS1_11target_archE4294967295ELNS1_3gpuE0ELNS1_3repE0EEENS1_47radix_sort_onesweep_sort_config_static_selectorELNS0_4arch9wavefront6targetE0EEEvSH_,"axG",@progbits,_ZN7rocprim17ROCPRIM_400000_NS6detail17trampoline_kernelINS0_14default_configENS1_35radix_sort_onesweep_config_selectorI12hip_bfloat16NS0_10empty_typeEEEZZNS1_29radix_sort_onesweep_iterationIS3_Lb0EPKS5_PS5_PS6_SC_mNS0_19identity_decomposerENS1_16block_id_wrapperIjLb0EEEEE10hipError_tT1_PNSt15iterator_traitsISH_E10value_typeET2_T3_PNSI_ISN_E10value_typeET4_T5_PSS_ST_PNS1_23onesweep_lookback_stateEbbT6_jjT7_P12ihipStream_tbENKUlT_T0_SH_SM_E_clISB_SB_SC_SC_EEDaS10_S11_SH_SM_EUlS10_E_NS1_11comp_targetILNS1_3genE0ELNS1_11target_archE4294967295ELNS1_3gpuE0ELNS1_3repE0EEENS1_47radix_sort_onesweep_sort_config_static_selectorELNS0_4arch9wavefront6targetE0EEEvSH_,comdat
.Lfunc_end2078:
	.size	_ZN7rocprim17ROCPRIM_400000_NS6detail17trampoline_kernelINS0_14default_configENS1_35radix_sort_onesweep_config_selectorI12hip_bfloat16NS0_10empty_typeEEEZZNS1_29radix_sort_onesweep_iterationIS3_Lb0EPKS5_PS5_PS6_SC_mNS0_19identity_decomposerENS1_16block_id_wrapperIjLb0EEEEE10hipError_tT1_PNSt15iterator_traitsISH_E10value_typeET2_T3_PNSI_ISN_E10value_typeET4_T5_PSS_ST_PNS1_23onesweep_lookback_stateEbbT6_jjT7_P12ihipStream_tbENKUlT_T0_SH_SM_E_clISB_SB_SC_SC_EEDaS10_S11_SH_SM_EUlS10_E_NS1_11comp_targetILNS1_3genE0ELNS1_11target_archE4294967295ELNS1_3gpuE0ELNS1_3repE0EEENS1_47radix_sort_onesweep_sort_config_static_selectorELNS0_4arch9wavefront6targetE0EEEvSH_, .Lfunc_end2078-_ZN7rocprim17ROCPRIM_400000_NS6detail17trampoline_kernelINS0_14default_configENS1_35radix_sort_onesweep_config_selectorI12hip_bfloat16NS0_10empty_typeEEEZZNS1_29radix_sort_onesweep_iterationIS3_Lb0EPKS5_PS5_PS6_SC_mNS0_19identity_decomposerENS1_16block_id_wrapperIjLb0EEEEE10hipError_tT1_PNSt15iterator_traitsISH_E10value_typeET2_T3_PNSI_ISN_E10value_typeET4_T5_PSS_ST_PNS1_23onesweep_lookback_stateEbbT6_jjT7_P12ihipStream_tbENKUlT_T0_SH_SM_E_clISB_SB_SC_SC_EEDaS10_S11_SH_SM_EUlS10_E_NS1_11comp_targetILNS1_3genE0ELNS1_11target_archE4294967295ELNS1_3gpuE0ELNS1_3repE0EEENS1_47radix_sort_onesweep_sort_config_static_selectorELNS0_4arch9wavefront6targetE0EEEvSH_
                                        ; -- End function
	.set _ZN7rocprim17ROCPRIM_400000_NS6detail17trampoline_kernelINS0_14default_configENS1_35radix_sort_onesweep_config_selectorI12hip_bfloat16NS0_10empty_typeEEEZZNS1_29radix_sort_onesweep_iterationIS3_Lb0EPKS5_PS5_PS6_SC_mNS0_19identity_decomposerENS1_16block_id_wrapperIjLb0EEEEE10hipError_tT1_PNSt15iterator_traitsISH_E10value_typeET2_T3_PNSI_ISN_E10value_typeET4_T5_PSS_ST_PNS1_23onesweep_lookback_stateEbbT6_jjT7_P12ihipStream_tbENKUlT_T0_SH_SM_E_clISB_SB_SC_SC_EEDaS10_S11_SH_SM_EUlS10_E_NS1_11comp_targetILNS1_3genE0ELNS1_11target_archE4294967295ELNS1_3gpuE0ELNS1_3repE0EEENS1_47radix_sort_onesweep_sort_config_static_selectorELNS0_4arch9wavefront6targetE0EEEvSH_.num_vgpr, 65
	.set _ZN7rocprim17ROCPRIM_400000_NS6detail17trampoline_kernelINS0_14default_configENS1_35radix_sort_onesweep_config_selectorI12hip_bfloat16NS0_10empty_typeEEEZZNS1_29radix_sort_onesweep_iterationIS3_Lb0EPKS5_PS5_PS6_SC_mNS0_19identity_decomposerENS1_16block_id_wrapperIjLb0EEEEE10hipError_tT1_PNSt15iterator_traitsISH_E10value_typeET2_T3_PNSI_ISN_E10value_typeET4_T5_PSS_ST_PNS1_23onesweep_lookback_stateEbbT6_jjT7_P12ihipStream_tbENKUlT_T0_SH_SM_E_clISB_SB_SC_SC_EEDaS10_S11_SH_SM_EUlS10_E_NS1_11comp_targetILNS1_3genE0ELNS1_11target_archE4294967295ELNS1_3gpuE0ELNS1_3repE0EEENS1_47radix_sort_onesweep_sort_config_static_selectorELNS0_4arch9wavefront6targetE0EEEvSH_.num_agpr, 0
	.set _ZN7rocprim17ROCPRIM_400000_NS6detail17trampoline_kernelINS0_14default_configENS1_35radix_sort_onesweep_config_selectorI12hip_bfloat16NS0_10empty_typeEEEZZNS1_29radix_sort_onesweep_iterationIS3_Lb0EPKS5_PS5_PS6_SC_mNS0_19identity_decomposerENS1_16block_id_wrapperIjLb0EEEEE10hipError_tT1_PNSt15iterator_traitsISH_E10value_typeET2_T3_PNSI_ISN_E10value_typeET4_T5_PSS_ST_PNS1_23onesweep_lookback_stateEbbT6_jjT7_P12ihipStream_tbENKUlT_T0_SH_SM_E_clISB_SB_SC_SC_EEDaS10_S11_SH_SM_EUlS10_E_NS1_11comp_targetILNS1_3genE0ELNS1_11target_archE4294967295ELNS1_3gpuE0ELNS1_3repE0EEENS1_47radix_sort_onesweep_sort_config_static_selectorELNS0_4arch9wavefront6targetE0EEEvSH_.numbered_sgpr, 28
	.set _ZN7rocprim17ROCPRIM_400000_NS6detail17trampoline_kernelINS0_14default_configENS1_35radix_sort_onesweep_config_selectorI12hip_bfloat16NS0_10empty_typeEEEZZNS1_29radix_sort_onesweep_iterationIS3_Lb0EPKS5_PS5_PS6_SC_mNS0_19identity_decomposerENS1_16block_id_wrapperIjLb0EEEEE10hipError_tT1_PNSt15iterator_traitsISH_E10value_typeET2_T3_PNSI_ISN_E10value_typeET4_T5_PSS_ST_PNS1_23onesweep_lookback_stateEbbT6_jjT7_P12ihipStream_tbENKUlT_T0_SH_SM_E_clISB_SB_SC_SC_EEDaS10_S11_SH_SM_EUlS10_E_NS1_11comp_targetILNS1_3genE0ELNS1_11target_archE4294967295ELNS1_3gpuE0ELNS1_3repE0EEENS1_47radix_sort_onesweep_sort_config_static_selectorELNS0_4arch9wavefront6targetE0EEEvSH_.num_named_barrier, 0
	.set _ZN7rocprim17ROCPRIM_400000_NS6detail17trampoline_kernelINS0_14default_configENS1_35radix_sort_onesweep_config_selectorI12hip_bfloat16NS0_10empty_typeEEEZZNS1_29radix_sort_onesweep_iterationIS3_Lb0EPKS5_PS5_PS6_SC_mNS0_19identity_decomposerENS1_16block_id_wrapperIjLb0EEEEE10hipError_tT1_PNSt15iterator_traitsISH_E10value_typeET2_T3_PNSI_ISN_E10value_typeET4_T5_PSS_ST_PNS1_23onesweep_lookback_stateEbbT6_jjT7_P12ihipStream_tbENKUlT_T0_SH_SM_E_clISB_SB_SC_SC_EEDaS10_S11_SH_SM_EUlS10_E_NS1_11comp_targetILNS1_3genE0ELNS1_11target_archE4294967295ELNS1_3gpuE0ELNS1_3repE0EEENS1_47radix_sort_onesweep_sort_config_static_selectorELNS0_4arch9wavefront6targetE0EEEvSH_.private_seg_size, 0
	.set _ZN7rocprim17ROCPRIM_400000_NS6detail17trampoline_kernelINS0_14default_configENS1_35radix_sort_onesweep_config_selectorI12hip_bfloat16NS0_10empty_typeEEEZZNS1_29radix_sort_onesweep_iterationIS3_Lb0EPKS5_PS5_PS6_SC_mNS0_19identity_decomposerENS1_16block_id_wrapperIjLb0EEEEE10hipError_tT1_PNSt15iterator_traitsISH_E10value_typeET2_T3_PNSI_ISN_E10value_typeET4_T5_PSS_ST_PNS1_23onesweep_lookback_stateEbbT6_jjT7_P12ihipStream_tbENKUlT_T0_SH_SM_E_clISB_SB_SC_SC_EEDaS10_S11_SH_SM_EUlS10_E_NS1_11comp_targetILNS1_3genE0ELNS1_11target_archE4294967295ELNS1_3gpuE0ELNS1_3repE0EEENS1_47radix_sort_onesweep_sort_config_static_selectorELNS0_4arch9wavefront6targetE0EEEvSH_.uses_vcc, 1
	.set _ZN7rocprim17ROCPRIM_400000_NS6detail17trampoline_kernelINS0_14default_configENS1_35radix_sort_onesweep_config_selectorI12hip_bfloat16NS0_10empty_typeEEEZZNS1_29radix_sort_onesweep_iterationIS3_Lb0EPKS5_PS5_PS6_SC_mNS0_19identity_decomposerENS1_16block_id_wrapperIjLb0EEEEE10hipError_tT1_PNSt15iterator_traitsISH_E10value_typeET2_T3_PNSI_ISN_E10value_typeET4_T5_PSS_ST_PNS1_23onesweep_lookback_stateEbbT6_jjT7_P12ihipStream_tbENKUlT_T0_SH_SM_E_clISB_SB_SC_SC_EEDaS10_S11_SH_SM_EUlS10_E_NS1_11comp_targetILNS1_3genE0ELNS1_11target_archE4294967295ELNS1_3gpuE0ELNS1_3repE0EEENS1_47radix_sort_onesweep_sort_config_static_selectorELNS0_4arch9wavefront6targetE0EEEvSH_.uses_flat_scratch, 0
	.set _ZN7rocprim17ROCPRIM_400000_NS6detail17trampoline_kernelINS0_14default_configENS1_35radix_sort_onesweep_config_selectorI12hip_bfloat16NS0_10empty_typeEEEZZNS1_29radix_sort_onesweep_iterationIS3_Lb0EPKS5_PS5_PS6_SC_mNS0_19identity_decomposerENS1_16block_id_wrapperIjLb0EEEEE10hipError_tT1_PNSt15iterator_traitsISH_E10value_typeET2_T3_PNSI_ISN_E10value_typeET4_T5_PSS_ST_PNS1_23onesweep_lookback_stateEbbT6_jjT7_P12ihipStream_tbENKUlT_T0_SH_SM_E_clISB_SB_SC_SC_EEDaS10_S11_SH_SM_EUlS10_E_NS1_11comp_targetILNS1_3genE0ELNS1_11target_archE4294967295ELNS1_3gpuE0ELNS1_3repE0EEENS1_47radix_sort_onesweep_sort_config_static_selectorELNS0_4arch9wavefront6targetE0EEEvSH_.has_dyn_sized_stack, 0
	.set _ZN7rocprim17ROCPRIM_400000_NS6detail17trampoline_kernelINS0_14default_configENS1_35radix_sort_onesweep_config_selectorI12hip_bfloat16NS0_10empty_typeEEEZZNS1_29radix_sort_onesweep_iterationIS3_Lb0EPKS5_PS5_PS6_SC_mNS0_19identity_decomposerENS1_16block_id_wrapperIjLb0EEEEE10hipError_tT1_PNSt15iterator_traitsISH_E10value_typeET2_T3_PNSI_ISN_E10value_typeET4_T5_PSS_ST_PNS1_23onesweep_lookback_stateEbbT6_jjT7_P12ihipStream_tbENKUlT_T0_SH_SM_E_clISB_SB_SC_SC_EEDaS10_S11_SH_SM_EUlS10_E_NS1_11comp_targetILNS1_3genE0ELNS1_11target_archE4294967295ELNS1_3gpuE0ELNS1_3repE0EEENS1_47radix_sort_onesweep_sort_config_static_selectorELNS0_4arch9wavefront6targetE0EEEvSH_.has_recursion, 0
	.set _ZN7rocprim17ROCPRIM_400000_NS6detail17trampoline_kernelINS0_14default_configENS1_35radix_sort_onesweep_config_selectorI12hip_bfloat16NS0_10empty_typeEEEZZNS1_29radix_sort_onesweep_iterationIS3_Lb0EPKS5_PS5_PS6_SC_mNS0_19identity_decomposerENS1_16block_id_wrapperIjLb0EEEEE10hipError_tT1_PNSt15iterator_traitsISH_E10value_typeET2_T3_PNSI_ISN_E10value_typeET4_T5_PSS_ST_PNS1_23onesweep_lookback_stateEbbT6_jjT7_P12ihipStream_tbENKUlT_T0_SH_SM_E_clISB_SB_SC_SC_EEDaS10_S11_SH_SM_EUlS10_E_NS1_11comp_targetILNS1_3genE0ELNS1_11target_archE4294967295ELNS1_3gpuE0ELNS1_3repE0EEENS1_47radix_sort_onesweep_sort_config_static_selectorELNS0_4arch9wavefront6targetE0EEEvSH_.has_indirect_call, 0
	.section	.AMDGPU.csdata,"",@progbits
; Kernel info:
; codeLenInByte = 18632
; TotalNumSgprs: 30
; NumVgprs: 65
; ScratchSize: 0
; MemoryBound: 0
; FloatMode: 240
; IeeeMode: 1
; LDSByteSize: 18504 bytes/workgroup (compile time only)
; SGPRBlocks: 0
; VGPRBlocks: 4
; NumSGPRsForWavesPerEU: 30
; NumVGPRsForWavesPerEU: 65
; NamedBarCnt: 0
; Occupancy: 12
; WaveLimiterHint : 0
; COMPUTE_PGM_RSRC2:SCRATCH_EN: 0
; COMPUTE_PGM_RSRC2:USER_SGPR: 2
; COMPUTE_PGM_RSRC2:TRAP_HANDLER: 0
; COMPUTE_PGM_RSRC2:TGID_X_EN: 1
; COMPUTE_PGM_RSRC2:TGID_Y_EN: 0
; COMPUTE_PGM_RSRC2:TGID_Z_EN: 0
; COMPUTE_PGM_RSRC2:TIDIG_COMP_CNT: 2
	.section	.text._ZN7rocprim17ROCPRIM_400000_NS6detail17trampoline_kernelINS0_14default_configENS1_35radix_sort_onesweep_config_selectorI12hip_bfloat16NS0_10empty_typeEEEZZNS1_29radix_sort_onesweep_iterationIS3_Lb0EPKS5_PS5_PS6_SC_mNS0_19identity_decomposerENS1_16block_id_wrapperIjLb0EEEEE10hipError_tT1_PNSt15iterator_traitsISH_E10value_typeET2_T3_PNSI_ISN_E10value_typeET4_T5_PSS_ST_PNS1_23onesweep_lookback_stateEbbT6_jjT7_P12ihipStream_tbENKUlT_T0_SH_SM_E_clISB_SB_SC_SC_EEDaS10_S11_SH_SM_EUlS10_E_NS1_11comp_targetILNS1_3genE6ELNS1_11target_archE950ELNS1_3gpuE13ELNS1_3repE0EEENS1_47radix_sort_onesweep_sort_config_static_selectorELNS0_4arch9wavefront6targetE0EEEvSH_,"axG",@progbits,_ZN7rocprim17ROCPRIM_400000_NS6detail17trampoline_kernelINS0_14default_configENS1_35radix_sort_onesweep_config_selectorI12hip_bfloat16NS0_10empty_typeEEEZZNS1_29radix_sort_onesweep_iterationIS3_Lb0EPKS5_PS5_PS6_SC_mNS0_19identity_decomposerENS1_16block_id_wrapperIjLb0EEEEE10hipError_tT1_PNSt15iterator_traitsISH_E10value_typeET2_T3_PNSI_ISN_E10value_typeET4_T5_PSS_ST_PNS1_23onesweep_lookback_stateEbbT6_jjT7_P12ihipStream_tbENKUlT_T0_SH_SM_E_clISB_SB_SC_SC_EEDaS10_S11_SH_SM_EUlS10_E_NS1_11comp_targetILNS1_3genE6ELNS1_11target_archE950ELNS1_3gpuE13ELNS1_3repE0EEENS1_47radix_sort_onesweep_sort_config_static_selectorELNS0_4arch9wavefront6targetE0EEEvSH_,comdat
	.protected	_ZN7rocprim17ROCPRIM_400000_NS6detail17trampoline_kernelINS0_14default_configENS1_35radix_sort_onesweep_config_selectorI12hip_bfloat16NS0_10empty_typeEEEZZNS1_29radix_sort_onesweep_iterationIS3_Lb0EPKS5_PS5_PS6_SC_mNS0_19identity_decomposerENS1_16block_id_wrapperIjLb0EEEEE10hipError_tT1_PNSt15iterator_traitsISH_E10value_typeET2_T3_PNSI_ISN_E10value_typeET4_T5_PSS_ST_PNS1_23onesweep_lookback_stateEbbT6_jjT7_P12ihipStream_tbENKUlT_T0_SH_SM_E_clISB_SB_SC_SC_EEDaS10_S11_SH_SM_EUlS10_E_NS1_11comp_targetILNS1_3genE6ELNS1_11target_archE950ELNS1_3gpuE13ELNS1_3repE0EEENS1_47radix_sort_onesweep_sort_config_static_selectorELNS0_4arch9wavefront6targetE0EEEvSH_ ; -- Begin function _ZN7rocprim17ROCPRIM_400000_NS6detail17trampoline_kernelINS0_14default_configENS1_35radix_sort_onesweep_config_selectorI12hip_bfloat16NS0_10empty_typeEEEZZNS1_29radix_sort_onesweep_iterationIS3_Lb0EPKS5_PS5_PS6_SC_mNS0_19identity_decomposerENS1_16block_id_wrapperIjLb0EEEEE10hipError_tT1_PNSt15iterator_traitsISH_E10value_typeET2_T3_PNSI_ISN_E10value_typeET4_T5_PSS_ST_PNS1_23onesweep_lookback_stateEbbT6_jjT7_P12ihipStream_tbENKUlT_T0_SH_SM_E_clISB_SB_SC_SC_EEDaS10_S11_SH_SM_EUlS10_E_NS1_11comp_targetILNS1_3genE6ELNS1_11target_archE950ELNS1_3gpuE13ELNS1_3repE0EEENS1_47radix_sort_onesweep_sort_config_static_selectorELNS0_4arch9wavefront6targetE0EEEvSH_
	.globl	_ZN7rocprim17ROCPRIM_400000_NS6detail17trampoline_kernelINS0_14default_configENS1_35radix_sort_onesweep_config_selectorI12hip_bfloat16NS0_10empty_typeEEEZZNS1_29radix_sort_onesweep_iterationIS3_Lb0EPKS5_PS5_PS6_SC_mNS0_19identity_decomposerENS1_16block_id_wrapperIjLb0EEEEE10hipError_tT1_PNSt15iterator_traitsISH_E10value_typeET2_T3_PNSI_ISN_E10value_typeET4_T5_PSS_ST_PNS1_23onesweep_lookback_stateEbbT6_jjT7_P12ihipStream_tbENKUlT_T0_SH_SM_E_clISB_SB_SC_SC_EEDaS10_S11_SH_SM_EUlS10_E_NS1_11comp_targetILNS1_3genE6ELNS1_11target_archE950ELNS1_3gpuE13ELNS1_3repE0EEENS1_47radix_sort_onesweep_sort_config_static_selectorELNS0_4arch9wavefront6targetE0EEEvSH_
	.p2align	8
	.type	_ZN7rocprim17ROCPRIM_400000_NS6detail17trampoline_kernelINS0_14default_configENS1_35radix_sort_onesweep_config_selectorI12hip_bfloat16NS0_10empty_typeEEEZZNS1_29radix_sort_onesweep_iterationIS3_Lb0EPKS5_PS5_PS6_SC_mNS0_19identity_decomposerENS1_16block_id_wrapperIjLb0EEEEE10hipError_tT1_PNSt15iterator_traitsISH_E10value_typeET2_T3_PNSI_ISN_E10value_typeET4_T5_PSS_ST_PNS1_23onesweep_lookback_stateEbbT6_jjT7_P12ihipStream_tbENKUlT_T0_SH_SM_E_clISB_SB_SC_SC_EEDaS10_S11_SH_SM_EUlS10_E_NS1_11comp_targetILNS1_3genE6ELNS1_11target_archE950ELNS1_3gpuE13ELNS1_3repE0EEENS1_47radix_sort_onesweep_sort_config_static_selectorELNS0_4arch9wavefront6targetE0EEEvSH_,@function
_ZN7rocprim17ROCPRIM_400000_NS6detail17trampoline_kernelINS0_14default_configENS1_35radix_sort_onesweep_config_selectorI12hip_bfloat16NS0_10empty_typeEEEZZNS1_29radix_sort_onesweep_iterationIS3_Lb0EPKS5_PS5_PS6_SC_mNS0_19identity_decomposerENS1_16block_id_wrapperIjLb0EEEEE10hipError_tT1_PNSt15iterator_traitsISH_E10value_typeET2_T3_PNSI_ISN_E10value_typeET4_T5_PSS_ST_PNS1_23onesweep_lookback_stateEbbT6_jjT7_P12ihipStream_tbENKUlT_T0_SH_SM_E_clISB_SB_SC_SC_EEDaS10_S11_SH_SM_EUlS10_E_NS1_11comp_targetILNS1_3genE6ELNS1_11target_archE950ELNS1_3gpuE13ELNS1_3repE0EEENS1_47radix_sort_onesweep_sort_config_static_selectorELNS0_4arch9wavefront6targetE0EEEvSH_: ; @_ZN7rocprim17ROCPRIM_400000_NS6detail17trampoline_kernelINS0_14default_configENS1_35radix_sort_onesweep_config_selectorI12hip_bfloat16NS0_10empty_typeEEEZZNS1_29radix_sort_onesweep_iterationIS3_Lb0EPKS5_PS5_PS6_SC_mNS0_19identity_decomposerENS1_16block_id_wrapperIjLb0EEEEE10hipError_tT1_PNSt15iterator_traitsISH_E10value_typeET2_T3_PNSI_ISN_E10value_typeET4_T5_PSS_ST_PNS1_23onesweep_lookback_stateEbbT6_jjT7_P12ihipStream_tbENKUlT_T0_SH_SM_E_clISB_SB_SC_SC_EEDaS10_S11_SH_SM_EUlS10_E_NS1_11comp_targetILNS1_3genE6ELNS1_11target_archE950ELNS1_3gpuE13ELNS1_3repE0EEENS1_47radix_sort_onesweep_sort_config_static_selectorELNS0_4arch9wavefront6targetE0EEEvSH_
; %bb.0:
	.section	.rodata,"a",@progbits
	.p2align	6, 0x0
	.amdhsa_kernel _ZN7rocprim17ROCPRIM_400000_NS6detail17trampoline_kernelINS0_14default_configENS1_35radix_sort_onesweep_config_selectorI12hip_bfloat16NS0_10empty_typeEEEZZNS1_29radix_sort_onesweep_iterationIS3_Lb0EPKS5_PS5_PS6_SC_mNS0_19identity_decomposerENS1_16block_id_wrapperIjLb0EEEEE10hipError_tT1_PNSt15iterator_traitsISH_E10value_typeET2_T3_PNSI_ISN_E10value_typeET4_T5_PSS_ST_PNS1_23onesweep_lookback_stateEbbT6_jjT7_P12ihipStream_tbENKUlT_T0_SH_SM_E_clISB_SB_SC_SC_EEDaS10_S11_SH_SM_EUlS10_E_NS1_11comp_targetILNS1_3genE6ELNS1_11target_archE950ELNS1_3gpuE13ELNS1_3repE0EEENS1_47radix_sort_onesweep_sort_config_static_selectorELNS0_4arch9wavefront6targetE0EEEvSH_
		.amdhsa_group_segment_fixed_size 0
		.amdhsa_private_segment_fixed_size 0
		.amdhsa_kernarg_size 88
		.amdhsa_user_sgpr_count 2
		.amdhsa_user_sgpr_dispatch_ptr 0
		.amdhsa_user_sgpr_queue_ptr 0
		.amdhsa_user_sgpr_kernarg_segment_ptr 1
		.amdhsa_user_sgpr_dispatch_id 0
		.amdhsa_user_sgpr_kernarg_preload_length 0
		.amdhsa_user_sgpr_kernarg_preload_offset 0
		.amdhsa_user_sgpr_private_segment_size 0
		.amdhsa_wavefront_size32 1
		.amdhsa_uses_dynamic_stack 0
		.amdhsa_enable_private_segment 0
		.amdhsa_system_sgpr_workgroup_id_x 1
		.amdhsa_system_sgpr_workgroup_id_y 0
		.amdhsa_system_sgpr_workgroup_id_z 0
		.amdhsa_system_sgpr_workgroup_info 0
		.amdhsa_system_vgpr_workitem_id 0
		.amdhsa_next_free_vgpr 1
		.amdhsa_next_free_sgpr 1
		.amdhsa_named_barrier_count 0
		.amdhsa_reserve_vcc 0
		.amdhsa_float_round_mode_32 0
		.amdhsa_float_round_mode_16_64 0
		.amdhsa_float_denorm_mode_32 3
		.amdhsa_float_denorm_mode_16_64 3
		.amdhsa_fp16_overflow 0
		.amdhsa_memory_ordered 1
		.amdhsa_forward_progress 1
		.amdhsa_inst_pref_size 0
		.amdhsa_round_robin_scheduling 0
		.amdhsa_exception_fp_ieee_invalid_op 0
		.amdhsa_exception_fp_denorm_src 0
		.amdhsa_exception_fp_ieee_div_zero 0
		.amdhsa_exception_fp_ieee_overflow 0
		.amdhsa_exception_fp_ieee_underflow 0
		.amdhsa_exception_fp_ieee_inexact 0
		.amdhsa_exception_int_div_zero 0
	.end_amdhsa_kernel
	.section	.text._ZN7rocprim17ROCPRIM_400000_NS6detail17trampoline_kernelINS0_14default_configENS1_35radix_sort_onesweep_config_selectorI12hip_bfloat16NS0_10empty_typeEEEZZNS1_29radix_sort_onesweep_iterationIS3_Lb0EPKS5_PS5_PS6_SC_mNS0_19identity_decomposerENS1_16block_id_wrapperIjLb0EEEEE10hipError_tT1_PNSt15iterator_traitsISH_E10value_typeET2_T3_PNSI_ISN_E10value_typeET4_T5_PSS_ST_PNS1_23onesweep_lookback_stateEbbT6_jjT7_P12ihipStream_tbENKUlT_T0_SH_SM_E_clISB_SB_SC_SC_EEDaS10_S11_SH_SM_EUlS10_E_NS1_11comp_targetILNS1_3genE6ELNS1_11target_archE950ELNS1_3gpuE13ELNS1_3repE0EEENS1_47radix_sort_onesweep_sort_config_static_selectorELNS0_4arch9wavefront6targetE0EEEvSH_,"axG",@progbits,_ZN7rocprim17ROCPRIM_400000_NS6detail17trampoline_kernelINS0_14default_configENS1_35radix_sort_onesweep_config_selectorI12hip_bfloat16NS0_10empty_typeEEEZZNS1_29radix_sort_onesweep_iterationIS3_Lb0EPKS5_PS5_PS6_SC_mNS0_19identity_decomposerENS1_16block_id_wrapperIjLb0EEEEE10hipError_tT1_PNSt15iterator_traitsISH_E10value_typeET2_T3_PNSI_ISN_E10value_typeET4_T5_PSS_ST_PNS1_23onesweep_lookback_stateEbbT6_jjT7_P12ihipStream_tbENKUlT_T0_SH_SM_E_clISB_SB_SC_SC_EEDaS10_S11_SH_SM_EUlS10_E_NS1_11comp_targetILNS1_3genE6ELNS1_11target_archE950ELNS1_3gpuE13ELNS1_3repE0EEENS1_47radix_sort_onesweep_sort_config_static_selectorELNS0_4arch9wavefront6targetE0EEEvSH_,comdat
.Lfunc_end2079:
	.size	_ZN7rocprim17ROCPRIM_400000_NS6detail17trampoline_kernelINS0_14default_configENS1_35radix_sort_onesweep_config_selectorI12hip_bfloat16NS0_10empty_typeEEEZZNS1_29radix_sort_onesweep_iterationIS3_Lb0EPKS5_PS5_PS6_SC_mNS0_19identity_decomposerENS1_16block_id_wrapperIjLb0EEEEE10hipError_tT1_PNSt15iterator_traitsISH_E10value_typeET2_T3_PNSI_ISN_E10value_typeET4_T5_PSS_ST_PNS1_23onesweep_lookback_stateEbbT6_jjT7_P12ihipStream_tbENKUlT_T0_SH_SM_E_clISB_SB_SC_SC_EEDaS10_S11_SH_SM_EUlS10_E_NS1_11comp_targetILNS1_3genE6ELNS1_11target_archE950ELNS1_3gpuE13ELNS1_3repE0EEENS1_47radix_sort_onesweep_sort_config_static_selectorELNS0_4arch9wavefront6targetE0EEEvSH_, .Lfunc_end2079-_ZN7rocprim17ROCPRIM_400000_NS6detail17trampoline_kernelINS0_14default_configENS1_35radix_sort_onesweep_config_selectorI12hip_bfloat16NS0_10empty_typeEEEZZNS1_29radix_sort_onesweep_iterationIS3_Lb0EPKS5_PS5_PS6_SC_mNS0_19identity_decomposerENS1_16block_id_wrapperIjLb0EEEEE10hipError_tT1_PNSt15iterator_traitsISH_E10value_typeET2_T3_PNSI_ISN_E10value_typeET4_T5_PSS_ST_PNS1_23onesweep_lookback_stateEbbT6_jjT7_P12ihipStream_tbENKUlT_T0_SH_SM_E_clISB_SB_SC_SC_EEDaS10_S11_SH_SM_EUlS10_E_NS1_11comp_targetILNS1_3genE6ELNS1_11target_archE950ELNS1_3gpuE13ELNS1_3repE0EEENS1_47radix_sort_onesweep_sort_config_static_selectorELNS0_4arch9wavefront6targetE0EEEvSH_
                                        ; -- End function
	.set _ZN7rocprim17ROCPRIM_400000_NS6detail17trampoline_kernelINS0_14default_configENS1_35radix_sort_onesweep_config_selectorI12hip_bfloat16NS0_10empty_typeEEEZZNS1_29radix_sort_onesweep_iterationIS3_Lb0EPKS5_PS5_PS6_SC_mNS0_19identity_decomposerENS1_16block_id_wrapperIjLb0EEEEE10hipError_tT1_PNSt15iterator_traitsISH_E10value_typeET2_T3_PNSI_ISN_E10value_typeET4_T5_PSS_ST_PNS1_23onesweep_lookback_stateEbbT6_jjT7_P12ihipStream_tbENKUlT_T0_SH_SM_E_clISB_SB_SC_SC_EEDaS10_S11_SH_SM_EUlS10_E_NS1_11comp_targetILNS1_3genE6ELNS1_11target_archE950ELNS1_3gpuE13ELNS1_3repE0EEENS1_47radix_sort_onesweep_sort_config_static_selectorELNS0_4arch9wavefront6targetE0EEEvSH_.num_vgpr, 0
	.set _ZN7rocprim17ROCPRIM_400000_NS6detail17trampoline_kernelINS0_14default_configENS1_35radix_sort_onesweep_config_selectorI12hip_bfloat16NS0_10empty_typeEEEZZNS1_29radix_sort_onesweep_iterationIS3_Lb0EPKS5_PS5_PS6_SC_mNS0_19identity_decomposerENS1_16block_id_wrapperIjLb0EEEEE10hipError_tT1_PNSt15iterator_traitsISH_E10value_typeET2_T3_PNSI_ISN_E10value_typeET4_T5_PSS_ST_PNS1_23onesweep_lookback_stateEbbT6_jjT7_P12ihipStream_tbENKUlT_T0_SH_SM_E_clISB_SB_SC_SC_EEDaS10_S11_SH_SM_EUlS10_E_NS1_11comp_targetILNS1_3genE6ELNS1_11target_archE950ELNS1_3gpuE13ELNS1_3repE0EEENS1_47radix_sort_onesweep_sort_config_static_selectorELNS0_4arch9wavefront6targetE0EEEvSH_.num_agpr, 0
	.set _ZN7rocprim17ROCPRIM_400000_NS6detail17trampoline_kernelINS0_14default_configENS1_35radix_sort_onesweep_config_selectorI12hip_bfloat16NS0_10empty_typeEEEZZNS1_29radix_sort_onesweep_iterationIS3_Lb0EPKS5_PS5_PS6_SC_mNS0_19identity_decomposerENS1_16block_id_wrapperIjLb0EEEEE10hipError_tT1_PNSt15iterator_traitsISH_E10value_typeET2_T3_PNSI_ISN_E10value_typeET4_T5_PSS_ST_PNS1_23onesweep_lookback_stateEbbT6_jjT7_P12ihipStream_tbENKUlT_T0_SH_SM_E_clISB_SB_SC_SC_EEDaS10_S11_SH_SM_EUlS10_E_NS1_11comp_targetILNS1_3genE6ELNS1_11target_archE950ELNS1_3gpuE13ELNS1_3repE0EEENS1_47radix_sort_onesweep_sort_config_static_selectorELNS0_4arch9wavefront6targetE0EEEvSH_.numbered_sgpr, 0
	.set _ZN7rocprim17ROCPRIM_400000_NS6detail17trampoline_kernelINS0_14default_configENS1_35radix_sort_onesweep_config_selectorI12hip_bfloat16NS0_10empty_typeEEEZZNS1_29radix_sort_onesweep_iterationIS3_Lb0EPKS5_PS5_PS6_SC_mNS0_19identity_decomposerENS1_16block_id_wrapperIjLb0EEEEE10hipError_tT1_PNSt15iterator_traitsISH_E10value_typeET2_T3_PNSI_ISN_E10value_typeET4_T5_PSS_ST_PNS1_23onesweep_lookback_stateEbbT6_jjT7_P12ihipStream_tbENKUlT_T0_SH_SM_E_clISB_SB_SC_SC_EEDaS10_S11_SH_SM_EUlS10_E_NS1_11comp_targetILNS1_3genE6ELNS1_11target_archE950ELNS1_3gpuE13ELNS1_3repE0EEENS1_47radix_sort_onesweep_sort_config_static_selectorELNS0_4arch9wavefront6targetE0EEEvSH_.num_named_barrier, 0
	.set _ZN7rocprim17ROCPRIM_400000_NS6detail17trampoline_kernelINS0_14default_configENS1_35radix_sort_onesweep_config_selectorI12hip_bfloat16NS0_10empty_typeEEEZZNS1_29radix_sort_onesweep_iterationIS3_Lb0EPKS5_PS5_PS6_SC_mNS0_19identity_decomposerENS1_16block_id_wrapperIjLb0EEEEE10hipError_tT1_PNSt15iterator_traitsISH_E10value_typeET2_T3_PNSI_ISN_E10value_typeET4_T5_PSS_ST_PNS1_23onesweep_lookback_stateEbbT6_jjT7_P12ihipStream_tbENKUlT_T0_SH_SM_E_clISB_SB_SC_SC_EEDaS10_S11_SH_SM_EUlS10_E_NS1_11comp_targetILNS1_3genE6ELNS1_11target_archE950ELNS1_3gpuE13ELNS1_3repE0EEENS1_47radix_sort_onesweep_sort_config_static_selectorELNS0_4arch9wavefront6targetE0EEEvSH_.private_seg_size, 0
	.set _ZN7rocprim17ROCPRIM_400000_NS6detail17trampoline_kernelINS0_14default_configENS1_35radix_sort_onesweep_config_selectorI12hip_bfloat16NS0_10empty_typeEEEZZNS1_29radix_sort_onesweep_iterationIS3_Lb0EPKS5_PS5_PS6_SC_mNS0_19identity_decomposerENS1_16block_id_wrapperIjLb0EEEEE10hipError_tT1_PNSt15iterator_traitsISH_E10value_typeET2_T3_PNSI_ISN_E10value_typeET4_T5_PSS_ST_PNS1_23onesweep_lookback_stateEbbT6_jjT7_P12ihipStream_tbENKUlT_T0_SH_SM_E_clISB_SB_SC_SC_EEDaS10_S11_SH_SM_EUlS10_E_NS1_11comp_targetILNS1_3genE6ELNS1_11target_archE950ELNS1_3gpuE13ELNS1_3repE0EEENS1_47radix_sort_onesweep_sort_config_static_selectorELNS0_4arch9wavefront6targetE0EEEvSH_.uses_vcc, 0
	.set _ZN7rocprim17ROCPRIM_400000_NS6detail17trampoline_kernelINS0_14default_configENS1_35radix_sort_onesweep_config_selectorI12hip_bfloat16NS0_10empty_typeEEEZZNS1_29radix_sort_onesweep_iterationIS3_Lb0EPKS5_PS5_PS6_SC_mNS0_19identity_decomposerENS1_16block_id_wrapperIjLb0EEEEE10hipError_tT1_PNSt15iterator_traitsISH_E10value_typeET2_T3_PNSI_ISN_E10value_typeET4_T5_PSS_ST_PNS1_23onesweep_lookback_stateEbbT6_jjT7_P12ihipStream_tbENKUlT_T0_SH_SM_E_clISB_SB_SC_SC_EEDaS10_S11_SH_SM_EUlS10_E_NS1_11comp_targetILNS1_3genE6ELNS1_11target_archE950ELNS1_3gpuE13ELNS1_3repE0EEENS1_47radix_sort_onesweep_sort_config_static_selectorELNS0_4arch9wavefront6targetE0EEEvSH_.uses_flat_scratch, 0
	.set _ZN7rocprim17ROCPRIM_400000_NS6detail17trampoline_kernelINS0_14default_configENS1_35radix_sort_onesweep_config_selectorI12hip_bfloat16NS0_10empty_typeEEEZZNS1_29radix_sort_onesweep_iterationIS3_Lb0EPKS5_PS5_PS6_SC_mNS0_19identity_decomposerENS1_16block_id_wrapperIjLb0EEEEE10hipError_tT1_PNSt15iterator_traitsISH_E10value_typeET2_T3_PNSI_ISN_E10value_typeET4_T5_PSS_ST_PNS1_23onesweep_lookback_stateEbbT6_jjT7_P12ihipStream_tbENKUlT_T0_SH_SM_E_clISB_SB_SC_SC_EEDaS10_S11_SH_SM_EUlS10_E_NS1_11comp_targetILNS1_3genE6ELNS1_11target_archE950ELNS1_3gpuE13ELNS1_3repE0EEENS1_47radix_sort_onesweep_sort_config_static_selectorELNS0_4arch9wavefront6targetE0EEEvSH_.has_dyn_sized_stack, 0
	.set _ZN7rocprim17ROCPRIM_400000_NS6detail17trampoline_kernelINS0_14default_configENS1_35radix_sort_onesweep_config_selectorI12hip_bfloat16NS0_10empty_typeEEEZZNS1_29radix_sort_onesweep_iterationIS3_Lb0EPKS5_PS5_PS6_SC_mNS0_19identity_decomposerENS1_16block_id_wrapperIjLb0EEEEE10hipError_tT1_PNSt15iterator_traitsISH_E10value_typeET2_T3_PNSI_ISN_E10value_typeET4_T5_PSS_ST_PNS1_23onesweep_lookback_stateEbbT6_jjT7_P12ihipStream_tbENKUlT_T0_SH_SM_E_clISB_SB_SC_SC_EEDaS10_S11_SH_SM_EUlS10_E_NS1_11comp_targetILNS1_3genE6ELNS1_11target_archE950ELNS1_3gpuE13ELNS1_3repE0EEENS1_47radix_sort_onesweep_sort_config_static_selectorELNS0_4arch9wavefront6targetE0EEEvSH_.has_recursion, 0
	.set _ZN7rocprim17ROCPRIM_400000_NS6detail17trampoline_kernelINS0_14default_configENS1_35radix_sort_onesweep_config_selectorI12hip_bfloat16NS0_10empty_typeEEEZZNS1_29radix_sort_onesweep_iterationIS3_Lb0EPKS5_PS5_PS6_SC_mNS0_19identity_decomposerENS1_16block_id_wrapperIjLb0EEEEE10hipError_tT1_PNSt15iterator_traitsISH_E10value_typeET2_T3_PNSI_ISN_E10value_typeET4_T5_PSS_ST_PNS1_23onesweep_lookback_stateEbbT6_jjT7_P12ihipStream_tbENKUlT_T0_SH_SM_E_clISB_SB_SC_SC_EEDaS10_S11_SH_SM_EUlS10_E_NS1_11comp_targetILNS1_3genE6ELNS1_11target_archE950ELNS1_3gpuE13ELNS1_3repE0EEENS1_47radix_sort_onesweep_sort_config_static_selectorELNS0_4arch9wavefront6targetE0EEEvSH_.has_indirect_call, 0
	.section	.AMDGPU.csdata,"",@progbits
; Kernel info:
; codeLenInByte = 0
; TotalNumSgprs: 0
; NumVgprs: 0
; ScratchSize: 0
; MemoryBound: 0
; FloatMode: 240
; IeeeMode: 1
; LDSByteSize: 0 bytes/workgroup (compile time only)
; SGPRBlocks: 0
; VGPRBlocks: 0
; NumSGPRsForWavesPerEU: 1
; NumVGPRsForWavesPerEU: 1
; NamedBarCnt: 0
; Occupancy: 16
; WaveLimiterHint : 0
; COMPUTE_PGM_RSRC2:SCRATCH_EN: 0
; COMPUTE_PGM_RSRC2:USER_SGPR: 2
; COMPUTE_PGM_RSRC2:TRAP_HANDLER: 0
; COMPUTE_PGM_RSRC2:TGID_X_EN: 1
; COMPUTE_PGM_RSRC2:TGID_Y_EN: 0
; COMPUTE_PGM_RSRC2:TGID_Z_EN: 0
; COMPUTE_PGM_RSRC2:TIDIG_COMP_CNT: 0
	.section	.text._ZN7rocprim17ROCPRIM_400000_NS6detail17trampoline_kernelINS0_14default_configENS1_35radix_sort_onesweep_config_selectorI12hip_bfloat16NS0_10empty_typeEEEZZNS1_29radix_sort_onesweep_iterationIS3_Lb0EPKS5_PS5_PS6_SC_mNS0_19identity_decomposerENS1_16block_id_wrapperIjLb0EEEEE10hipError_tT1_PNSt15iterator_traitsISH_E10value_typeET2_T3_PNSI_ISN_E10value_typeET4_T5_PSS_ST_PNS1_23onesweep_lookback_stateEbbT6_jjT7_P12ihipStream_tbENKUlT_T0_SH_SM_E_clISB_SB_SC_SC_EEDaS10_S11_SH_SM_EUlS10_E_NS1_11comp_targetILNS1_3genE5ELNS1_11target_archE942ELNS1_3gpuE9ELNS1_3repE0EEENS1_47radix_sort_onesweep_sort_config_static_selectorELNS0_4arch9wavefront6targetE0EEEvSH_,"axG",@progbits,_ZN7rocprim17ROCPRIM_400000_NS6detail17trampoline_kernelINS0_14default_configENS1_35radix_sort_onesweep_config_selectorI12hip_bfloat16NS0_10empty_typeEEEZZNS1_29radix_sort_onesweep_iterationIS3_Lb0EPKS5_PS5_PS6_SC_mNS0_19identity_decomposerENS1_16block_id_wrapperIjLb0EEEEE10hipError_tT1_PNSt15iterator_traitsISH_E10value_typeET2_T3_PNSI_ISN_E10value_typeET4_T5_PSS_ST_PNS1_23onesweep_lookback_stateEbbT6_jjT7_P12ihipStream_tbENKUlT_T0_SH_SM_E_clISB_SB_SC_SC_EEDaS10_S11_SH_SM_EUlS10_E_NS1_11comp_targetILNS1_3genE5ELNS1_11target_archE942ELNS1_3gpuE9ELNS1_3repE0EEENS1_47radix_sort_onesweep_sort_config_static_selectorELNS0_4arch9wavefront6targetE0EEEvSH_,comdat
	.protected	_ZN7rocprim17ROCPRIM_400000_NS6detail17trampoline_kernelINS0_14default_configENS1_35radix_sort_onesweep_config_selectorI12hip_bfloat16NS0_10empty_typeEEEZZNS1_29radix_sort_onesweep_iterationIS3_Lb0EPKS5_PS5_PS6_SC_mNS0_19identity_decomposerENS1_16block_id_wrapperIjLb0EEEEE10hipError_tT1_PNSt15iterator_traitsISH_E10value_typeET2_T3_PNSI_ISN_E10value_typeET4_T5_PSS_ST_PNS1_23onesweep_lookback_stateEbbT6_jjT7_P12ihipStream_tbENKUlT_T0_SH_SM_E_clISB_SB_SC_SC_EEDaS10_S11_SH_SM_EUlS10_E_NS1_11comp_targetILNS1_3genE5ELNS1_11target_archE942ELNS1_3gpuE9ELNS1_3repE0EEENS1_47radix_sort_onesweep_sort_config_static_selectorELNS0_4arch9wavefront6targetE0EEEvSH_ ; -- Begin function _ZN7rocprim17ROCPRIM_400000_NS6detail17trampoline_kernelINS0_14default_configENS1_35radix_sort_onesweep_config_selectorI12hip_bfloat16NS0_10empty_typeEEEZZNS1_29radix_sort_onesweep_iterationIS3_Lb0EPKS5_PS5_PS6_SC_mNS0_19identity_decomposerENS1_16block_id_wrapperIjLb0EEEEE10hipError_tT1_PNSt15iterator_traitsISH_E10value_typeET2_T3_PNSI_ISN_E10value_typeET4_T5_PSS_ST_PNS1_23onesweep_lookback_stateEbbT6_jjT7_P12ihipStream_tbENKUlT_T0_SH_SM_E_clISB_SB_SC_SC_EEDaS10_S11_SH_SM_EUlS10_E_NS1_11comp_targetILNS1_3genE5ELNS1_11target_archE942ELNS1_3gpuE9ELNS1_3repE0EEENS1_47radix_sort_onesweep_sort_config_static_selectorELNS0_4arch9wavefront6targetE0EEEvSH_
	.globl	_ZN7rocprim17ROCPRIM_400000_NS6detail17trampoline_kernelINS0_14default_configENS1_35radix_sort_onesweep_config_selectorI12hip_bfloat16NS0_10empty_typeEEEZZNS1_29radix_sort_onesweep_iterationIS3_Lb0EPKS5_PS5_PS6_SC_mNS0_19identity_decomposerENS1_16block_id_wrapperIjLb0EEEEE10hipError_tT1_PNSt15iterator_traitsISH_E10value_typeET2_T3_PNSI_ISN_E10value_typeET4_T5_PSS_ST_PNS1_23onesweep_lookback_stateEbbT6_jjT7_P12ihipStream_tbENKUlT_T0_SH_SM_E_clISB_SB_SC_SC_EEDaS10_S11_SH_SM_EUlS10_E_NS1_11comp_targetILNS1_3genE5ELNS1_11target_archE942ELNS1_3gpuE9ELNS1_3repE0EEENS1_47radix_sort_onesweep_sort_config_static_selectorELNS0_4arch9wavefront6targetE0EEEvSH_
	.p2align	8
	.type	_ZN7rocprim17ROCPRIM_400000_NS6detail17trampoline_kernelINS0_14default_configENS1_35radix_sort_onesweep_config_selectorI12hip_bfloat16NS0_10empty_typeEEEZZNS1_29radix_sort_onesweep_iterationIS3_Lb0EPKS5_PS5_PS6_SC_mNS0_19identity_decomposerENS1_16block_id_wrapperIjLb0EEEEE10hipError_tT1_PNSt15iterator_traitsISH_E10value_typeET2_T3_PNSI_ISN_E10value_typeET4_T5_PSS_ST_PNS1_23onesweep_lookback_stateEbbT6_jjT7_P12ihipStream_tbENKUlT_T0_SH_SM_E_clISB_SB_SC_SC_EEDaS10_S11_SH_SM_EUlS10_E_NS1_11comp_targetILNS1_3genE5ELNS1_11target_archE942ELNS1_3gpuE9ELNS1_3repE0EEENS1_47radix_sort_onesweep_sort_config_static_selectorELNS0_4arch9wavefront6targetE0EEEvSH_,@function
_ZN7rocprim17ROCPRIM_400000_NS6detail17trampoline_kernelINS0_14default_configENS1_35radix_sort_onesweep_config_selectorI12hip_bfloat16NS0_10empty_typeEEEZZNS1_29radix_sort_onesweep_iterationIS3_Lb0EPKS5_PS5_PS6_SC_mNS0_19identity_decomposerENS1_16block_id_wrapperIjLb0EEEEE10hipError_tT1_PNSt15iterator_traitsISH_E10value_typeET2_T3_PNSI_ISN_E10value_typeET4_T5_PSS_ST_PNS1_23onesweep_lookback_stateEbbT6_jjT7_P12ihipStream_tbENKUlT_T0_SH_SM_E_clISB_SB_SC_SC_EEDaS10_S11_SH_SM_EUlS10_E_NS1_11comp_targetILNS1_3genE5ELNS1_11target_archE942ELNS1_3gpuE9ELNS1_3repE0EEENS1_47radix_sort_onesweep_sort_config_static_selectorELNS0_4arch9wavefront6targetE0EEEvSH_: ; @_ZN7rocprim17ROCPRIM_400000_NS6detail17trampoline_kernelINS0_14default_configENS1_35radix_sort_onesweep_config_selectorI12hip_bfloat16NS0_10empty_typeEEEZZNS1_29radix_sort_onesweep_iterationIS3_Lb0EPKS5_PS5_PS6_SC_mNS0_19identity_decomposerENS1_16block_id_wrapperIjLb0EEEEE10hipError_tT1_PNSt15iterator_traitsISH_E10value_typeET2_T3_PNSI_ISN_E10value_typeET4_T5_PSS_ST_PNS1_23onesweep_lookback_stateEbbT6_jjT7_P12ihipStream_tbENKUlT_T0_SH_SM_E_clISB_SB_SC_SC_EEDaS10_S11_SH_SM_EUlS10_E_NS1_11comp_targetILNS1_3genE5ELNS1_11target_archE942ELNS1_3gpuE9ELNS1_3repE0EEENS1_47radix_sort_onesweep_sort_config_static_selectorELNS0_4arch9wavefront6targetE0EEEvSH_
; %bb.0:
	.section	.rodata,"a",@progbits
	.p2align	6, 0x0
	.amdhsa_kernel _ZN7rocprim17ROCPRIM_400000_NS6detail17trampoline_kernelINS0_14default_configENS1_35radix_sort_onesweep_config_selectorI12hip_bfloat16NS0_10empty_typeEEEZZNS1_29radix_sort_onesweep_iterationIS3_Lb0EPKS5_PS5_PS6_SC_mNS0_19identity_decomposerENS1_16block_id_wrapperIjLb0EEEEE10hipError_tT1_PNSt15iterator_traitsISH_E10value_typeET2_T3_PNSI_ISN_E10value_typeET4_T5_PSS_ST_PNS1_23onesweep_lookback_stateEbbT6_jjT7_P12ihipStream_tbENKUlT_T0_SH_SM_E_clISB_SB_SC_SC_EEDaS10_S11_SH_SM_EUlS10_E_NS1_11comp_targetILNS1_3genE5ELNS1_11target_archE942ELNS1_3gpuE9ELNS1_3repE0EEENS1_47radix_sort_onesweep_sort_config_static_selectorELNS0_4arch9wavefront6targetE0EEEvSH_
		.amdhsa_group_segment_fixed_size 0
		.amdhsa_private_segment_fixed_size 0
		.amdhsa_kernarg_size 88
		.amdhsa_user_sgpr_count 2
		.amdhsa_user_sgpr_dispatch_ptr 0
		.amdhsa_user_sgpr_queue_ptr 0
		.amdhsa_user_sgpr_kernarg_segment_ptr 1
		.amdhsa_user_sgpr_dispatch_id 0
		.amdhsa_user_sgpr_kernarg_preload_length 0
		.amdhsa_user_sgpr_kernarg_preload_offset 0
		.amdhsa_user_sgpr_private_segment_size 0
		.amdhsa_wavefront_size32 1
		.amdhsa_uses_dynamic_stack 0
		.amdhsa_enable_private_segment 0
		.amdhsa_system_sgpr_workgroup_id_x 1
		.amdhsa_system_sgpr_workgroup_id_y 0
		.amdhsa_system_sgpr_workgroup_id_z 0
		.amdhsa_system_sgpr_workgroup_info 0
		.amdhsa_system_vgpr_workitem_id 0
		.amdhsa_next_free_vgpr 1
		.amdhsa_next_free_sgpr 1
		.amdhsa_named_barrier_count 0
		.amdhsa_reserve_vcc 0
		.amdhsa_float_round_mode_32 0
		.amdhsa_float_round_mode_16_64 0
		.amdhsa_float_denorm_mode_32 3
		.amdhsa_float_denorm_mode_16_64 3
		.amdhsa_fp16_overflow 0
		.amdhsa_memory_ordered 1
		.amdhsa_forward_progress 1
		.amdhsa_inst_pref_size 0
		.amdhsa_round_robin_scheduling 0
		.amdhsa_exception_fp_ieee_invalid_op 0
		.amdhsa_exception_fp_denorm_src 0
		.amdhsa_exception_fp_ieee_div_zero 0
		.amdhsa_exception_fp_ieee_overflow 0
		.amdhsa_exception_fp_ieee_underflow 0
		.amdhsa_exception_fp_ieee_inexact 0
		.amdhsa_exception_int_div_zero 0
	.end_amdhsa_kernel
	.section	.text._ZN7rocprim17ROCPRIM_400000_NS6detail17trampoline_kernelINS0_14default_configENS1_35radix_sort_onesweep_config_selectorI12hip_bfloat16NS0_10empty_typeEEEZZNS1_29radix_sort_onesweep_iterationIS3_Lb0EPKS5_PS5_PS6_SC_mNS0_19identity_decomposerENS1_16block_id_wrapperIjLb0EEEEE10hipError_tT1_PNSt15iterator_traitsISH_E10value_typeET2_T3_PNSI_ISN_E10value_typeET4_T5_PSS_ST_PNS1_23onesweep_lookback_stateEbbT6_jjT7_P12ihipStream_tbENKUlT_T0_SH_SM_E_clISB_SB_SC_SC_EEDaS10_S11_SH_SM_EUlS10_E_NS1_11comp_targetILNS1_3genE5ELNS1_11target_archE942ELNS1_3gpuE9ELNS1_3repE0EEENS1_47radix_sort_onesweep_sort_config_static_selectorELNS0_4arch9wavefront6targetE0EEEvSH_,"axG",@progbits,_ZN7rocprim17ROCPRIM_400000_NS6detail17trampoline_kernelINS0_14default_configENS1_35radix_sort_onesweep_config_selectorI12hip_bfloat16NS0_10empty_typeEEEZZNS1_29radix_sort_onesweep_iterationIS3_Lb0EPKS5_PS5_PS6_SC_mNS0_19identity_decomposerENS1_16block_id_wrapperIjLb0EEEEE10hipError_tT1_PNSt15iterator_traitsISH_E10value_typeET2_T3_PNSI_ISN_E10value_typeET4_T5_PSS_ST_PNS1_23onesweep_lookback_stateEbbT6_jjT7_P12ihipStream_tbENKUlT_T0_SH_SM_E_clISB_SB_SC_SC_EEDaS10_S11_SH_SM_EUlS10_E_NS1_11comp_targetILNS1_3genE5ELNS1_11target_archE942ELNS1_3gpuE9ELNS1_3repE0EEENS1_47radix_sort_onesweep_sort_config_static_selectorELNS0_4arch9wavefront6targetE0EEEvSH_,comdat
.Lfunc_end2080:
	.size	_ZN7rocprim17ROCPRIM_400000_NS6detail17trampoline_kernelINS0_14default_configENS1_35radix_sort_onesweep_config_selectorI12hip_bfloat16NS0_10empty_typeEEEZZNS1_29radix_sort_onesweep_iterationIS3_Lb0EPKS5_PS5_PS6_SC_mNS0_19identity_decomposerENS1_16block_id_wrapperIjLb0EEEEE10hipError_tT1_PNSt15iterator_traitsISH_E10value_typeET2_T3_PNSI_ISN_E10value_typeET4_T5_PSS_ST_PNS1_23onesweep_lookback_stateEbbT6_jjT7_P12ihipStream_tbENKUlT_T0_SH_SM_E_clISB_SB_SC_SC_EEDaS10_S11_SH_SM_EUlS10_E_NS1_11comp_targetILNS1_3genE5ELNS1_11target_archE942ELNS1_3gpuE9ELNS1_3repE0EEENS1_47radix_sort_onesweep_sort_config_static_selectorELNS0_4arch9wavefront6targetE0EEEvSH_, .Lfunc_end2080-_ZN7rocprim17ROCPRIM_400000_NS6detail17trampoline_kernelINS0_14default_configENS1_35radix_sort_onesweep_config_selectorI12hip_bfloat16NS0_10empty_typeEEEZZNS1_29radix_sort_onesweep_iterationIS3_Lb0EPKS5_PS5_PS6_SC_mNS0_19identity_decomposerENS1_16block_id_wrapperIjLb0EEEEE10hipError_tT1_PNSt15iterator_traitsISH_E10value_typeET2_T3_PNSI_ISN_E10value_typeET4_T5_PSS_ST_PNS1_23onesweep_lookback_stateEbbT6_jjT7_P12ihipStream_tbENKUlT_T0_SH_SM_E_clISB_SB_SC_SC_EEDaS10_S11_SH_SM_EUlS10_E_NS1_11comp_targetILNS1_3genE5ELNS1_11target_archE942ELNS1_3gpuE9ELNS1_3repE0EEENS1_47radix_sort_onesweep_sort_config_static_selectorELNS0_4arch9wavefront6targetE0EEEvSH_
                                        ; -- End function
	.set _ZN7rocprim17ROCPRIM_400000_NS6detail17trampoline_kernelINS0_14default_configENS1_35radix_sort_onesweep_config_selectorI12hip_bfloat16NS0_10empty_typeEEEZZNS1_29radix_sort_onesweep_iterationIS3_Lb0EPKS5_PS5_PS6_SC_mNS0_19identity_decomposerENS1_16block_id_wrapperIjLb0EEEEE10hipError_tT1_PNSt15iterator_traitsISH_E10value_typeET2_T3_PNSI_ISN_E10value_typeET4_T5_PSS_ST_PNS1_23onesweep_lookback_stateEbbT6_jjT7_P12ihipStream_tbENKUlT_T0_SH_SM_E_clISB_SB_SC_SC_EEDaS10_S11_SH_SM_EUlS10_E_NS1_11comp_targetILNS1_3genE5ELNS1_11target_archE942ELNS1_3gpuE9ELNS1_3repE0EEENS1_47radix_sort_onesweep_sort_config_static_selectorELNS0_4arch9wavefront6targetE0EEEvSH_.num_vgpr, 0
	.set _ZN7rocprim17ROCPRIM_400000_NS6detail17trampoline_kernelINS0_14default_configENS1_35radix_sort_onesweep_config_selectorI12hip_bfloat16NS0_10empty_typeEEEZZNS1_29radix_sort_onesweep_iterationIS3_Lb0EPKS5_PS5_PS6_SC_mNS0_19identity_decomposerENS1_16block_id_wrapperIjLb0EEEEE10hipError_tT1_PNSt15iterator_traitsISH_E10value_typeET2_T3_PNSI_ISN_E10value_typeET4_T5_PSS_ST_PNS1_23onesweep_lookback_stateEbbT6_jjT7_P12ihipStream_tbENKUlT_T0_SH_SM_E_clISB_SB_SC_SC_EEDaS10_S11_SH_SM_EUlS10_E_NS1_11comp_targetILNS1_3genE5ELNS1_11target_archE942ELNS1_3gpuE9ELNS1_3repE0EEENS1_47radix_sort_onesweep_sort_config_static_selectorELNS0_4arch9wavefront6targetE0EEEvSH_.num_agpr, 0
	.set _ZN7rocprim17ROCPRIM_400000_NS6detail17trampoline_kernelINS0_14default_configENS1_35radix_sort_onesweep_config_selectorI12hip_bfloat16NS0_10empty_typeEEEZZNS1_29radix_sort_onesweep_iterationIS3_Lb0EPKS5_PS5_PS6_SC_mNS0_19identity_decomposerENS1_16block_id_wrapperIjLb0EEEEE10hipError_tT1_PNSt15iterator_traitsISH_E10value_typeET2_T3_PNSI_ISN_E10value_typeET4_T5_PSS_ST_PNS1_23onesweep_lookback_stateEbbT6_jjT7_P12ihipStream_tbENKUlT_T0_SH_SM_E_clISB_SB_SC_SC_EEDaS10_S11_SH_SM_EUlS10_E_NS1_11comp_targetILNS1_3genE5ELNS1_11target_archE942ELNS1_3gpuE9ELNS1_3repE0EEENS1_47radix_sort_onesweep_sort_config_static_selectorELNS0_4arch9wavefront6targetE0EEEvSH_.numbered_sgpr, 0
	.set _ZN7rocprim17ROCPRIM_400000_NS6detail17trampoline_kernelINS0_14default_configENS1_35radix_sort_onesweep_config_selectorI12hip_bfloat16NS0_10empty_typeEEEZZNS1_29radix_sort_onesweep_iterationIS3_Lb0EPKS5_PS5_PS6_SC_mNS0_19identity_decomposerENS1_16block_id_wrapperIjLb0EEEEE10hipError_tT1_PNSt15iterator_traitsISH_E10value_typeET2_T3_PNSI_ISN_E10value_typeET4_T5_PSS_ST_PNS1_23onesweep_lookback_stateEbbT6_jjT7_P12ihipStream_tbENKUlT_T0_SH_SM_E_clISB_SB_SC_SC_EEDaS10_S11_SH_SM_EUlS10_E_NS1_11comp_targetILNS1_3genE5ELNS1_11target_archE942ELNS1_3gpuE9ELNS1_3repE0EEENS1_47radix_sort_onesweep_sort_config_static_selectorELNS0_4arch9wavefront6targetE0EEEvSH_.num_named_barrier, 0
	.set _ZN7rocprim17ROCPRIM_400000_NS6detail17trampoline_kernelINS0_14default_configENS1_35radix_sort_onesweep_config_selectorI12hip_bfloat16NS0_10empty_typeEEEZZNS1_29radix_sort_onesweep_iterationIS3_Lb0EPKS5_PS5_PS6_SC_mNS0_19identity_decomposerENS1_16block_id_wrapperIjLb0EEEEE10hipError_tT1_PNSt15iterator_traitsISH_E10value_typeET2_T3_PNSI_ISN_E10value_typeET4_T5_PSS_ST_PNS1_23onesweep_lookback_stateEbbT6_jjT7_P12ihipStream_tbENKUlT_T0_SH_SM_E_clISB_SB_SC_SC_EEDaS10_S11_SH_SM_EUlS10_E_NS1_11comp_targetILNS1_3genE5ELNS1_11target_archE942ELNS1_3gpuE9ELNS1_3repE0EEENS1_47radix_sort_onesweep_sort_config_static_selectorELNS0_4arch9wavefront6targetE0EEEvSH_.private_seg_size, 0
	.set _ZN7rocprim17ROCPRIM_400000_NS6detail17trampoline_kernelINS0_14default_configENS1_35radix_sort_onesweep_config_selectorI12hip_bfloat16NS0_10empty_typeEEEZZNS1_29radix_sort_onesweep_iterationIS3_Lb0EPKS5_PS5_PS6_SC_mNS0_19identity_decomposerENS1_16block_id_wrapperIjLb0EEEEE10hipError_tT1_PNSt15iterator_traitsISH_E10value_typeET2_T3_PNSI_ISN_E10value_typeET4_T5_PSS_ST_PNS1_23onesweep_lookback_stateEbbT6_jjT7_P12ihipStream_tbENKUlT_T0_SH_SM_E_clISB_SB_SC_SC_EEDaS10_S11_SH_SM_EUlS10_E_NS1_11comp_targetILNS1_3genE5ELNS1_11target_archE942ELNS1_3gpuE9ELNS1_3repE0EEENS1_47radix_sort_onesweep_sort_config_static_selectorELNS0_4arch9wavefront6targetE0EEEvSH_.uses_vcc, 0
	.set _ZN7rocprim17ROCPRIM_400000_NS6detail17trampoline_kernelINS0_14default_configENS1_35radix_sort_onesweep_config_selectorI12hip_bfloat16NS0_10empty_typeEEEZZNS1_29radix_sort_onesweep_iterationIS3_Lb0EPKS5_PS5_PS6_SC_mNS0_19identity_decomposerENS1_16block_id_wrapperIjLb0EEEEE10hipError_tT1_PNSt15iterator_traitsISH_E10value_typeET2_T3_PNSI_ISN_E10value_typeET4_T5_PSS_ST_PNS1_23onesweep_lookback_stateEbbT6_jjT7_P12ihipStream_tbENKUlT_T0_SH_SM_E_clISB_SB_SC_SC_EEDaS10_S11_SH_SM_EUlS10_E_NS1_11comp_targetILNS1_3genE5ELNS1_11target_archE942ELNS1_3gpuE9ELNS1_3repE0EEENS1_47radix_sort_onesweep_sort_config_static_selectorELNS0_4arch9wavefront6targetE0EEEvSH_.uses_flat_scratch, 0
	.set _ZN7rocprim17ROCPRIM_400000_NS6detail17trampoline_kernelINS0_14default_configENS1_35radix_sort_onesweep_config_selectorI12hip_bfloat16NS0_10empty_typeEEEZZNS1_29radix_sort_onesweep_iterationIS3_Lb0EPKS5_PS5_PS6_SC_mNS0_19identity_decomposerENS1_16block_id_wrapperIjLb0EEEEE10hipError_tT1_PNSt15iterator_traitsISH_E10value_typeET2_T3_PNSI_ISN_E10value_typeET4_T5_PSS_ST_PNS1_23onesweep_lookback_stateEbbT6_jjT7_P12ihipStream_tbENKUlT_T0_SH_SM_E_clISB_SB_SC_SC_EEDaS10_S11_SH_SM_EUlS10_E_NS1_11comp_targetILNS1_3genE5ELNS1_11target_archE942ELNS1_3gpuE9ELNS1_3repE0EEENS1_47radix_sort_onesweep_sort_config_static_selectorELNS0_4arch9wavefront6targetE0EEEvSH_.has_dyn_sized_stack, 0
	.set _ZN7rocprim17ROCPRIM_400000_NS6detail17trampoline_kernelINS0_14default_configENS1_35radix_sort_onesweep_config_selectorI12hip_bfloat16NS0_10empty_typeEEEZZNS1_29radix_sort_onesweep_iterationIS3_Lb0EPKS5_PS5_PS6_SC_mNS0_19identity_decomposerENS1_16block_id_wrapperIjLb0EEEEE10hipError_tT1_PNSt15iterator_traitsISH_E10value_typeET2_T3_PNSI_ISN_E10value_typeET4_T5_PSS_ST_PNS1_23onesweep_lookback_stateEbbT6_jjT7_P12ihipStream_tbENKUlT_T0_SH_SM_E_clISB_SB_SC_SC_EEDaS10_S11_SH_SM_EUlS10_E_NS1_11comp_targetILNS1_3genE5ELNS1_11target_archE942ELNS1_3gpuE9ELNS1_3repE0EEENS1_47radix_sort_onesweep_sort_config_static_selectorELNS0_4arch9wavefront6targetE0EEEvSH_.has_recursion, 0
	.set _ZN7rocprim17ROCPRIM_400000_NS6detail17trampoline_kernelINS0_14default_configENS1_35radix_sort_onesweep_config_selectorI12hip_bfloat16NS0_10empty_typeEEEZZNS1_29radix_sort_onesweep_iterationIS3_Lb0EPKS5_PS5_PS6_SC_mNS0_19identity_decomposerENS1_16block_id_wrapperIjLb0EEEEE10hipError_tT1_PNSt15iterator_traitsISH_E10value_typeET2_T3_PNSI_ISN_E10value_typeET4_T5_PSS_ST_PNS1_23onesweep_lookback_stateEbbT6_jjT7_P12ihipStream_tbENKUlT_T0_SH_SM_E_clISB_SB_SC_SC_EEDaS10_S11_SH_SM_EUlS10_E_NS1_11comp_targetILNS1_3genE5ELNS1_11target_archE942ELNS1_3gpuE9ELNS1_3repE0EEENS1_47radix_sort_onesweep_sort_config_static_selectorELNS0_4arch9wavefront6targetE0EEEvSH_.has_indirect_call, 0
	.section	.AMDGPU.csdata,"",@progbits
; Kernel info:
; codeLenInByte = 0
; TotalNumSgprs: 0
; NumVgprs: 0
; ScratchSize: 0
; MemoryBound: 0
; FloatMode: 240
; IeeeMode: 1
; LDSByteSize: 0 bytes/workgroup (compile time only)
; SGPRBlocks: 0
; VGPRBlocks: 0
; NumSGPRsForWavesPerEU: 1
; NumVGPRsForWavesPerEU: 1
; NamedBarCnt: 0
; Occupancy: 16
; WaveLimiterHint : 0
; COMPUTE_PGM_RSRC2:SCRATCH_EN: 0
; COMPUTE_PGM_RSRC2:USER_SGPR: 2
; COMPUTE_PGM_RSRC2:TRAP_HANDLER: 0
; COMPUTE_PGM_RSRC2:TGID_X_EN: 1
; COMPUTE_PGM_RSRC2:TGID_Y_EN: 0
; COMPUTE_PGM_RSRC2:TGID_Z_EN: 0
; COMPUTE_PGM_RSRC2:TIDIG_COMP_CNT: 0
	.section	.text._ZN7rocprim17ROCPRIM_400000_NS6detail17trampoline_kernelINS0_14default_configENS1_35radix_sort_onesweep_config_selectorI12hip_bfloat16NS0_10empty_typeEEEZZNS1_29radix_sort_onesweep_iterationIS3_Lb0EPKS5_PS5_PS6_SC_mNS0_19identity_decomposerENS1_16block_id_wrapperIjLb0EEEEE10hipError_tT1_PNSt15iterator_traitsISH_E10value_typeET2_T3_PNSI_ISN_E10value_typeET4_T5_PSS_ST_PNS1_23onesweep_lookback_stateEbbT6_jjT7_P12ihipStream_tbENKUlT_T0_SH_SM_E_clISB_SB_SC_SC_EEDaS10_S11_SH_SM_EUlS10_E_NS1_11comp_targetILNS1_3genE2ELNS1_11target_archE906ELNS1_3gpuE6ELNS1_3repE0EEENS1_47radix_sort_onesweep_sort_config_static_selectorELNS0_4arch9wavefront6targetE0EEEvSH_,"axG",@progbits,_ZN7rocprim17ROCPRIM_400000_NS6detail17trampoline_kernelINS0_14default_configENS1_35radix_sort_onesweep_config_selectorI12hip_bfloat16NS0_10empty_typeEEEZZNS1_29radix_sort_onesweep_iterationIS3_Lb0EPKS5_PS5_PS6_SC_mNS0_19identity_decomposerENS1_16block_id_wrapperIjLb0EEEEE10hipError_tT1_PNSt15iterator_traitsISH_E10value_typeET2_T3_PNSI_ISN_E10value_typeET4_T5_PSS_ST_PNS1_23onesweep_lookback_stateEbbT6_jjT7_P12ihipStream_tbENKUlT_T0_SH_SM_E_clISB_SB_SC_SC_EEDaS10_S11_SH_SM_EUlS10_E_NS1_11comp_targetILNS1_3genE2ELNS1_11target_archE906ELNS1_3gpuE6ELNS1_3repE0EEENS1_47radix_sort_onesweep_sort_config_static_selectorELNS0_4arch9wavefront6targetE0EEEvSH_,comdat
	.protected	_ZN7rocprim17ROCPRIM_400000_NS6detail17trampoline_kernelINS0_14default_configENS1_35radix_sort_onesweep_config_selectorI12hip_bfloat16NS0_10empty_typeEEEZZNS1_29radix_sort_onesweep_iterationIS3_Lb0EPKS5_PS5_PS6_SC_mNS0_19identity_decomposerENS1_16block_id_wrapperIjLb0EEEEE10hipError_tT1_PNSt15iterator_traitsISH_E10value_typeET2_T3_PNSI_ISN_E10value_typeET4_T5_PSS_ST_PNS1_23onesweep_lookback_stateEbbT6_jjT7_P12ihipStream_tbENKUlT_T0_SH_SM_E_clISB_SB_SC_SC_EEDaS10_S11_SH_SM_EUlS10_E_NS1_11comp_targetILNS1_3genE2ELNS1_11target_archE906ELNS1_3gpuE6ELNS1_3repE0EEENS1_47radix_sort_onesweep_sort_config_static_selectorELNS0_4arch9wavefront6targetE0EEEvSH_ ; -- Begin function _ZN7rocprim17ROCPRIM_400000_NS6detail17trampoline_kernelINS0_14default_configENS1_35radix_sort_onesweep_config_selectorI12hip_bfloat16NS0_10empty_typeEEEZZNS1_29radix_sort_onesweep_iterationIS3_Lb0EPKS5_PS5_PS6_SC_mNS0_19identity_decomposerENS1_16block_id_wrapperIjLb0EEEEE10hipError_tT1_PNSt15iterator_traitsISH_E10value_typeET2_T3_PNSI_ISN_E10value_typeET4_T5_PSS_ST_PNS1_23onesweep_lookback_stateEbbT6_jjT7_P12ihipStream_tbENKUlT_T0_SH_SM_E_clISB_SB_SC_SC_EEDaS10_S11_SH_SM_EUlS10_E_NS1_11comp_targetILNS1_3genE2ELNS1_11target_archE906ELNS1_3gpuE6ELNS1_3repE0EEENS1_47radix_sort_onesweep_sort_config_static_selectorELNS0_4arch9wavefront6targetE0EEEvSH_
	.globl	_ZN7rocprim17ROCPRIM_400000_NS6detail17trampoline_kernelINS0_14default_configENS1_35radix_sort_onesweep_config_selectorI12hip_bfloat16NS0_10empty_typeEEEZZNS1_29radix_sort_onesweep_iterationIS3_Lb0EPKS5_PS5_PS6_SC_mNS0_19identity_decomposerENS1_16block_id_wrapperIjLb0EEEEE10hipError_tT1_PNSt15iterator_traitsISH_E10value_typeET2_T3_PNSI_ISN_E10value_typeET4_T5_PSS_ST_PNS1_23onesweep_lookback_stateEbbT6_jjT7_P12ihipStream_tbENKUlT_T0_SH_SM_E_clISB_SB_SC_SC_EEDaS10_S11_SH_SM_EUlS10_E_NS1_11comp_targetILNS1_3genE2ELNS1_11target_archE906ELNS1_3gpuE6ELNS1_3repE0EEENS1_47radix_sort_onesweep_sort_config_static_selectorELNS0_4arch9wavefront6targetE0EEEvSH_
	.p2align	8
	.type	_ZN7rocprim17ROCPRIM_400000_NS6detail17trampoline_kernelINS0_14default_configENS1_35radix_sort_onesweep_config_selectorI12hip_bfloat16NS0_10empty_typeEEEZZNS1_29radix_sort_onesweep_iterationIS3_Lb0EPKS5_PS5_PS6_SC_mNS0_19identity_decomposerENS1_16block_id_wrapperIjLb0EEEEE10hipError_tT1_PNSt15iterator_traitsISH_E10value_typeET2_T3_PNSI_ISN_E10value_typeET4_T5_PSS_ST_PNS1_23onesweep_lookback_stateEbbT6_jjT7_P12ihipStream_tbENKUlT_T0_SH_SM_E_clISB_SB_SC_SC_EEDaS10_S11_SH_SM_EUlS10_E_NS1_11comp_targetILNS1_3genE2ELNS1_11target_archE906ELNS1_3gpuE6ELNS1_3repE0EEENS1_47radix_sort_onesweep_sort_config_static_selectorELNS0_4arch9wavefront6targetE0EEEvSH_,@function
_ZN7rocprim17ROCPRIM_400000_NS6detail17trampoline_kernelINS0_14default_configENS1_35radix_sort_onesweep_config_selectorI12hip_bfloat16NS0_10empty_typeEEEZZNS1_29radix_sort_onesweep_iterationIS3_Lb0EPKS5_PS5_PS6_SC_mNS0_19identity_decomposerENS1_16block_id_wrapperIjLb0EEEEE10hipError_tT1_PNSt15iterator_traitsISH_E10value_typeET2_T3_PNSI_ISN_E10value_typeET4_T5_PSS_ST_PNS1_23onesweep_lookback_stateEbbT6_jjT7_P12ihipStream_tbENKUlT_T0_SH_SM_E_clISB_SB_SC_SC_EEDaS10_S11_SH_SM_EUlS10_E_NS1_11comp_targetILNS1_3genE2ELNS1_11target_archE906ELNS1_3gpuE6ELNS1_3repE0EEENS1_47radix_sort_onesweep_sort_config_static_selectorELNS0_4arch9wavefront6targetE0EEEvSH_: ; @_ZN7rocprim17ROCPRIM_400000_NS6detail17trampoline_kernelINS0_14default_configENS1_35radix_sort_onesweep_config_selectorI12hip_bfloat16NS0_10empty_typeEEEZZNS1_29radix_sort_onesweep_iterationIS3_Lb0EPKS5_PS5_PS6_SC_mNS0_19identity_decomposerENS1_16block_id_wrapperIjLb0EEEEE10hipError_tT1_PNSt15iterator_traitsISH_E10value_typeET2_T3_PNSI_ISN_E10value_typeET4_T5_PSS_ST_PNS1_23onesweep_lookback_stateEbbT6_jjT7_P12ihipStream_tbENKUlT_T0_SH_SM_E_clISB_SB_SC_SC_EEDaS10_S11_SH_SM_EUlS10_E_NS1_11comp_targetILNS1_3genE2ELNS1_11target_archE906ELNS1_3gpuE6ELNS1_3repE0EEENS1_47radix_sort_onesweep_sort_config_static_selectorELNS0_4arch9wavefront6targetE0EEEvSH_
; %bb.0:
	.section	.rodata,"a",@progbits
	.p2align	6, 0x0
	.amdhsa_kernel _ZN7rocprim17ROCPRIM_400000_NS6detail17trampoline_kernelINS0_14default_configENS1_35radix_sort_onesweep_config_selectorI12hip_bfloat16NS0_10empty_typeEEEZZNS1_29radix_sort_onesweep_iterationIS3_Lb0EPKS5_PS5_PS6_SC_mNS0_19identity_decomposerENS1_16block_id_wrapperIjLb0EEEEE10hipError_tT1_PNSt15iterator_traitsISH_E10value_typeET2_T3_PNSI_ISN_E10value_typeET4_T5_PSS_ST_PNS1_23onesweep_lookback_stateEbbT6_jjT7_P12ihipStream_tbENKUlT_T0_SH_SM_E_clISB_SB_SC_SC_EEDaS10_S11_SH_SM_EUlS10_E_NS1_11comp_targetILNS1_3genE2ELNS1_11target_archE906ELNS1_3gpuE6ELNS1_3repE0EEENS1_47radix_sort_onesweep_sort_config_static_selectorELNS0_4arch9wavefront6targetE0EEEvSH_
		.amdhsa_group_segment_fixed_size 0
		.amdhsa_private_segment_fixed_size 0
		.amdhsa_kernarg_size 88
		.amdhsa_user_sgpr_count 2
		.amdhsa_user_sgpr_dispatch_ptr 0
		.amdhsa_user_sgpr_queue_ptr 0
		.amdhsa_user_sgpr_kernarg_segment_ptr 1
		.amdhsa_user_sgpr_dispatch_id 0
		.amdhsa_user_sgpr_kernarg_preload_length 0
		.amdhsa_user_sgpr_kernarg_preload_offset 0
		.amdhsa_user_sgpr_private_segment_size 0
		.amdhsa_wavefront_size32 1
		.amdhsa_uses_dynamic_stack 0
		.amdhsa_enable_private_segment 0
		.amdhsa_system_sgpr_workgroup_id_x 1
		.amdhsa_system_sgpr_workgroup_id_y 0
		.amdhsa_system_sgpr_workgroup_id_z 0
		.amdhsa_system_sgpr_workgroup_info 0
		.amdhsa_system_vgpr_workitem_id 0
		.amdhsa_next_free_vgpr 1
		.amdhsa_next_free_sgpr 1
		.amdhsa_named_barrier_count 0
		.amdhsa_reserve_vcc 0
		.amdhsa_float_round_mode_32 0
		.amdhsa_float_round_mode_16_64 0
		.amdhsa_float_denorm_mode_32 3
		.amdhsa_float_denorm_mode_16_64 3
		.amdhsa_fp16_overflow 0
		.amdhsa_memory_ordered 1
		.amdhsa_forward_progress 1
		.amdhsa_inst_pref_size 0
		.amdhsa_round_robin_scheduling 0
		.amdhsa_exception_fp_ieee_invalid_op 0
		.amdhsa_exception_fp_denorm_src 0
		.amdhsa_exception_fp_ieee_div_zero 0
		.amdhsa_exception_fp_ieee_overflow 0
		.amdhsa_exception_fp_ieee_underflow 0
		.amdhsa_exception_fp_ieee_inexact 0
		.amdhsa_exception_int_div_zero 0
	.end_amdhsa_kernel
	.section	.text._ZN7rocprim17ROCPRIM_400000_NS6detail17trampoline_kernelINS0_14default_configENS1_35radix_sort_onesweep_config_selectorI12hip_bfloat16NS0_10empty_typeEEEZZNS1_29radix_sort_onesweep_iterationIS3_Lb0EPKS5_PS5_PS6_SC_mNS0_19identity_decomposerENS1_16block_id_wrapperIjLb0EEEEE10hipError_tT1_PNSt15iterator_traitsISH_E10value_typeET2_T3_PNSI_ISN_E10value_typeET4_T5_PSS_ST_PNS1_23onesweep_lookback_stateEbbT6_jjT7_P12ihipStream_tbENKUlT_T0_SH_SM_E_clISB_SB_SC_SC_EEDaS10_S11_SH_SM_EUlS10_E_NS1_11comp_targetILNS1_3genE2ELNS1_11target_archE906ELNS1_3gpuE6ELNS1_3repE0EEENS1_47radix_sort_onesweep_sort_config_static_selectorELNS0_4arch9wavefront6targetE0EEEvSH_,"axG",@progbits,_ZN7rocprim17ROCPRIM_400000_NS6detail17trampoline_kernelINS0_14default_configENS1_35radix_sort_onesweep_config_selectorI12hip_bfloat16NS0_10empty_typeEEEZZNS1_29radix_sort_onesweep_iterationIS3_Lb0EPKS5_PS5_PS6_SC_mNS0_19identity_decomposerENS1_16block_id_wrapperIjLb0EEEEE10hipError_tT1_PNSt15iterator_traitsISH_E10value_typeET2_T3_PNSI_ISN_E10value_typeET4_T5_PSS_ST_PNS1_23onesweep_lookback_stateEbbT6_jjT7_P12ihipStream_tbENKUlT_T0_SH_SM_E_clISB_SB_SC_SC_EEDaS10_S11_SH_SM_EUlS10_E_NS1_11comp_targetILNS1_3genE2ELNS1_11target_archE906ELNS1_3gpuE6ELNS1_3repE0EEENS1_47radix_sort_onesweep_sort_config_static_selectorELNS0_4arch9wavefront6targetE0EEEvSH_,comdat
.Lfunc_end2081:
	.size	_ZN7rocprim17ROCPRIM_400000_NS6detail17trampoline_kernelINS0_14default_configENS1_35radix_sort_onesweep_config_selectorI12hip_bfloat16NS0_10empty_typeEEEZZNS1_29radix_sort_onesweep_iterationIS3_Lb0EPKS5_PS5_PS6_SC_mNS0_19identity_decomposerENS1_16block_id_wrapperIjLb0EEEEE10hipError_tT1_PNSt15iterator_traitsISH_E10value_typeET2_T3_PNSI_ISN_E10value_typeET4_T5_PSS_ST_PNS1_23onesweep_lookback_stateEbbT6_jjT7_P12ihipStream_tbENKUlT_T0_SH_SM_E_clISB_SB_SC_SC_EEDaS10_S11_SH_SM_EUlS10_E_NS1_11comp_targetILNS1_3genE2ELNS1_11target_archE906ELNS1_3gpuE6ELNS1_3repE0EEENS1_47radix_sort_onesweep_sort_config_static_selectorELNS0_4arch9wavefront6targetE0EEEvSH_, .Lfunc_end2081-_ZN7rocprim17ROCPRIM_400000_NS6detail17trampoline_kernelINS0_14default_configENS1_35radix_sort_onesweep_config_selectorI12hip_bfloat16NS0_10empty_typeEEEZZNS1_29radix_sort_onesweep_iterationIS3_Lb0EPKS5_PS5_PS6_SC_mNS0_19identity_decomposerENS1_16block_id_wrapperIjLb0EEEEE10hipError_tT1_PNSt15iterator_traitsISH_E10value_typeET2_T3_PNSI_ISN_E10value_typeET4_T5_PSS_ST_PNS1_23onesweep_lookback_stateEbbT6_jjT7_P12ihipStream_tbENKUlT_T0_SH_SM_E_clISB_SB_SC_SC_EEDaS10_S11_SH_SM_EUlS10_E_NS1_11comp_targetILNS1_3genE2ELNS1_11target_archE906ELNS1_3gpuE6ELNS1_3repE0EEENS1_47radix_sort_onesweep_sort_config_static_selectorELNS0_4arch9wavefront6targetE0EEEvSH_
                                        ; -- End function
	.set _ZN7rocprim17ROCPRIM_400000_NS6detail17trampoline_kernelINS0_14default_configENS1_35radix_sort_onesweep_config_selectorI12hip_bfloat16NS0_10empty_typeEEEZZNS1_29radix_sort_onesweep_iterationIS3_Lb0EPKS5_PS5_PS6_SC_mNS0_19identity_decomposerENS1_16block_id_wrapperIjLb0EEEEE10hipError_tT1_PNSt15iterator_traitsISH_E10value_typeET2_T3_PNSI_ISN_E10value_typeET4_T5_PSS_ST_PNS1_23onesweep_lookback_stateEbbT6_jjT7_P12ihipStream_tbENKUlT_T0_SH_SM_E_clISB_SB_SC_SC_EEDaS10_S11_SH_SM_EUlS10_E_NS1_11comp_targetILNS1_3genE2ELNS1_11target_archE906ELNS1_3gpuE6ELNS1_3repE0EEENS1_47radix_sort_onesweep_sort_config_static_selectorELNS0_4arch9wavefront6targetE0EEEvSH_.num_vgpr, 0
	.set _ZN7rocprim17ROCPRIM_400000_NS6detail17trampoline_kernelINS0_14default_configENS1_35radix_sort_onesweep_config_selectorI12hip_bfloat16NS0_10empty_typeEEEZZNS1_29radix_sort_onesweep_iterationIS3_Lb0EPKS5_PS5_PS6_SC_mNS0_19identity_decomposerENS1_16block_id_wrapperIjLb0EEEEE10hipError_tT1_PNSt15iterator_traitsISH_E10value_typeET2_T3_PNSI_ISN_E10value_typeET4_T5_PSS_ST_PNS1_23onesweep_lookback_stateEbbT6_jjT7_P12ihipStream_tbENKUlT_T0_SH_SM_E_clISB_SB_SC_SC_EEDaS10_S11_SH_SM_EUlS10_E_NS1_11comp_targetILNS1_3genE2ELNS1_11target_archE906ELNS1_3gpuE6ELNS1_3repE0EEENS1_47radix_sort_onesweep_sort_config_static_selectorELNS0_4arch9wavefront6targetE0EEEvSH_.num_agpr, 0
	.set _ZN7rocprim17ROCPRIM_400000_NS6detail17trampoline_kernelINS0_14default_configENS1_35radix_sort_onesweep_config_selectorI12hip_bfloat16NS0_10empty_typeEEEZZNS1_29radix_sort_onesweep_iterationIS3_Lb0EPKS5_PS5_PS6_SC_mNS0_19identity_decomposerENS1_16block_id_wrapperIjLb0EEEEE10hipError_tT1_PNSt15iterator_traitsISH_E10value_typeET2_T3_PNSI_ISN_E10value_typeET4_T5_PSS_ST_PNS1_23onesweep_lookback_stateEbbT6_jjT7_P12ihipStream_tbENKUlT_T0_SH_SM_E_clISB_SB_SC_SC_EEDaS10_S11_SH_SM_EUlS10_E_NS1_11comp_targetILNS1_3genE2ELNS1_11target_archE906ELNS1_3gpuE6ELNS1_3repE0EEENS1_47radix_sort_onesweep_sort_config_static_selectorELNS0_4arch9wavefront6targetE0EEEvSH_.numbered_sgpr, 0
	.set _ZN7rocprim17ROCPRIM_400000_NS6detail17trampoline_kernelINS0_14default_configENS1_35radix_sort_onesweep_config_selectorI12hip_bfloat16NS0_10empty_typeEEEZZNS1_29radix_sort_onesweep_iterationIS3_Lb0EPKS5_PS5_PS6_SC_mNS0_19identity_decomposerENS1_16block_id_wrapperIjLb0EEEEE10hipError_tT1_PNSt15iterator_traitsISH_E10value_typeET2_T3_PNSI_ISN_E10value_typeET4_T5_PSS_ST_PNS1_23onesweep_lookback_stateEbbT6_jjT7_P12ihipStream_tbENKUlT_T0_SH_SM_E_clISB_SB_SC_SC_EEDaS10_S11_SH_SM_EUlS10_E_NS1_11comp_targetILNS1_3genE2ELNS1_11target_archE906ELNS1_3gpuE6ELNS1_3repE0EEENS1_47radix_sort_onesweep_sort_config_static_selectorELNS0_4arch9wavefront6targetE0EEEvSH_.num_named_barrier, 0
	.set _ZN7rocprim17ROCPRIM_400000_NS6detail17trampoline_kernelINS0_14default_configENS1_35radix_sort_onesweep_config_selectorI12hip_bfloat16NS0_10empty_typeEEEZZNS1_29radix_sort_onesweep_iterationIS3_Lb0EPKS5_PS5_PS6_SC_mNS0_19identity_decomposerENS1_16block_id_wrapperIjLb0EEEEE10hipError_tT1_PNSt15iterator_traitsISH_E10value_typeET2_T3_PNSI_ISN_E10value_typeET4_T5_PSS_ST_PNS1_23onesweep_lookback_stateEbbT6_jjT7_P12ihipStream_tbENKUlT_T0_SH_SM_E_clISB_SB_SC_SC_EEDaS10_S11_SH_SM_EUlS10_E_NS1_11comp_targetILNS1_3genE2ELNS1_11target_archE906ELNS1_3gpuE6ELNS1_3repE0EEENS1_47radix_sort_onesweep_sort_config_static_selectorELNS0_4arch9wavefront6targetE0EEEvSH_.private_seg_size, 0
	.set _ZN7rocprim17ROCPRIM_400000_NS6detail17trampoline_kernelINS0_14default_configENS1_35radix_sort_onesweep_config_selectorI12hip_bfloat16NS0_10empty_typeEEEZZNS1_29radix_sort_onesweep_iterationIS3_Lb0EPKS5_PS5_PS6_SC_mNS0_19identity_decomposerENS1_16block_id_wrapperIjLb0EEEEE10hipError_tT1_PNSt15iterator_traitsISH_E10value_typeET2_T3_PNSI_ISN_E10value_typeET4_T5_PSS_ST_PNS1_23onesweep_lookback_stateEbbT6_jjT7_P12ihipStream_tbENKUlT_T0_SH_SM_E_clISB_SB_SC_SC_EEDaS10_S11_SH_SM_EUlS10_E_NS1_11comp_targetILNS1_3genE2ELNS1_11target_archE906ELNS1_3gpuE6ELNS1_3repE0EEENS1_47radix_sort_onesweep_sort_config_static_selectorELNS0_4arch9wavefront6targetE0EEEvSH_.uses_vcc, 0
	.set _ZN7rocprim17ROCPRIM_400000_NS6detail17trampoline_kernelINS0_14default_configENS1_35radix_sort_onesweep_config_selectorI12hip_bfloat16NS0_10empty_typeEEEZZNS1_29radix_sort_onesweep_iterationIS3_Lb0EPKS5_PS5_PS6_SC_mNS0_19identity_decomposerENS1_16block_id_wrapperIjLb0EEEEE10hipError_tT1_PNSt15iterator_traitsISH_E10value_typeET2_T3_PNSI_ISN_E10value_typeET4_T5_PSS_ST_PNS1_23onesweep_lookback_stateEbbT6_jjT7_P12ihipStream_tbENKUlT_T0_SH_SM_E_clISB_SB_SC_SC_EEDaS10_S11_SH_SM_EUlS10_E_NS1_11comp_targetILNS1_3genE2ELNS1_11target_archE906ELNS1_3gpuE6ELNS1_3repE0EEENS1_47radix_sort_onesweep_sort_config_static_selectorELNS0_4arch9wavefront6targetE0EEEvSH_.uses_flat_scratch, 0
	.set _ZN7rocprim17ROCPRIM_400000_NS6detail17trampoline_kernelINS0_14default_configENS1_35radix_sort_onesweep_config_selectorI12hip_bfloat16NS0_10empty_typeEEEZZNS1_29radix_sort_onesweep_iterationIS3_Lb0EPKS5_PS5_PS6_SC_mNS0_19identity_decomposerENS1_16block_id_wrapperIjLb0EEEEE10hipError_tT1_PNSt15iterator_traitsISH_E10value_typeET2_T3_PNSI_ISN_E10value_typeET4_T5_PSS_ST_PNS1_23onesweep_lookback_stateEbbT6_jjT7_P12ihipStream_tbENKUlT_T0_SH_SM_E_clISB_SB_SC_SC_EEDaS10_S11_SH_SM_EUlS10_E_NS1_11comp_targetILNS1_3genE2ELNS1_11target_archE906ELNS1_3gpuE6ELNS1_3repE0EEENS1_47radix_sort_onesweep_sort_config_static_selectorELNS0_4arch9wavefront6targetE0EEEvSH_.has_dyn_sized_stack, 0
	.set _ZN7rocprim17ROCPRIM_400000_NS6detail17trampoline_kernelINS0_14default_configENS1_35radix_sort_onesweep_config_selectorI12hip_bfloat16NS0_10empty_typeEEEZZNS1_29radix_sort_onesweep_iterationIS3_Lb0EPKS5_PS5_PS6_SC_mNS0_19identity_decomposerENS1_16block_id_wrapperIjLb0EEEEE10hipError_tT1_PNSt15iterator_traitsISH_E10value_typeET2_T3_PNSI_ISN_E10value_typeET4_T5_PSS_ST_PNS1_23onesweep_lookback_stateEbbT6_jjT7_P12ihipStream_tbENKUlT_T0_SH_SM_E_clISB_SB_SC_SC_EEDaS10_S11_SH_SM_EUlS10_E_NS1_11comp_targetILNS1_3genE2ELNS1_11target_archE906ELNS1_3gpuE6ELNS1_3repE0EEENS1_47radix_sort_onesweep_sort_config_static_selectorELNS0_4arch9wavefront6targetE0EEEvSH_.has_recursion, 0
	.set _ZN7rocprim17ROCPRIM_400000_NS6detail17trampoline_kernelINS0_14default_configENS1_35radix_sort_onesweep_config_selectorI12hip_bfloat16NS0_10empty_typeEEEZZNS1_29radix_sort_onesweep_iterationIS3_Lb0EPKS5_PS5_PS6_SC_mNS0_19identity_decomposerENS1_16block_id_wrapperIjLb0EEEEE10hipError_tT1_PNSt15iterator_traitsISH_E10value_typeET2_T3_PNSI_ISN_E10value_typeET4_T5_PSS_ST_PNS1_23onesweep_lookback_stateEbbT6_jjT7_P12ihipStream_tbENKUlT_T0_SH_SM_E_clISB_SB_SC_SC_EEDaS10_S11_SH_SM_EUlS10_E_NS1_11comp_targetILNS1_3genE2ELNS1_11target_archE906ELNS1_3gpuE6ELNS1_3repE0EEENS1_47radix_sort_onesweep_sort_config_static_selectorELNS0_4arch9wavefront6targetE0EEEvSH_.has_indirect_call, 0
	.section	.AMDGPU.csdata,"",@progbits
; Kernel info:
; codeLenInByte = 0
; TotalNumSgprs: 0
; NumVgprs: 0
; ScratchSize: 0
; MemoryBound: 0
; FloatMode: 240
; IeeeMode: 1
; LDSByteSize: 0 bytes/workgroup (compile time only)
; SGPRBlocks: 0
; VGPRBlocks: 0
; NumSGPRsForWavesPerEU: 1
; NumVGPRsForWavesPerEU: 1
; NamedBarCnt: 0
; Occupancy: 16
; WaveLimiterHint : 0
; COMPUTE_PGM_RSRC2:SCRATCH_EN: 0
; COMPUTE_PGM_RSRC2:USER_SGPR: 2
; COMPUTE_PGM_RSRC2:TRAP_HANDLER: 0
; COMPUTE_PGM_RSRC2:TGID_X_EN: 1
; COMPUTE_PGM_RSRC2:TGID_Y_EN: 0
; COMPUTE_PGM_RSRC2:TGID_Z_EN: 0
; COMPUTE_PGM_RSRC2:TIDIG_COMP_CNT: 0
	.section	.text._ZN7rocprim17ROCPRIM_400000_NS6detail17trampoline_kernelINS0_14default_configENS1_35radix_sort_onesweep_config_selectorI12hip_bfloat16NS0_10empty_typeEEEZZNS1_29radix_sort_onesweep_iterationIS3_Lb0EPKS5_PS5_PS6_SC_mNS0_19identity_decomposerENS1_16block_id_wrapperIjLb0EEEEE10hipError_tT1_PNSt15iterator_traitsISH_E10value_typeET2_T3_PNSI_ISN_E10value_typeET4_T5_PSS_ST_PNS1_23onesweep_lookback_stateEbbT6_jjT7_P12ihipStream_tbENKUlT_T0_SH_SM_E_clISB_SB_SC_SC_EEDaS10_S11_SH_SM_EUlS10_E_NS1_11comp_targetILNS1_3genE4ELNS1_11target_archE910ELNS1_3gpuE8ELNS1_3repE0EEENS1_47radix_sort_onesweep_sort_config_static_selectorELNS0_4arch9wavefront6targetE0EEEvSH_,"axG",@progbits,_ZN7rocprim17ROCPRIM_400000_NS6detail17trampoline_kernelINS0_14default_configENS1_35radix_sort_onesweep_config_selectorI12hip_bfloat16NS0_10empty_typeEEEZZNS1_29radix_sort_onesweep_iterationIS3_Lb0EPKS5_PS5_PS6_SC_mNS0_19identity_decomposerENS1_16block_id_wrapperIjLb0EEEEE10hipError_tT1_PNSt15iterator_traitsISH_E10value_typeET2_T3_PNSI_ISN_E10value_typeET4_T5_PSS_ST_PNS1_23onesweep_lookback_stateEbbT6_jjT7_P12ihipStream_tbENKUlT_T0_SH_SM_E_clISB_SB_SC_SC_EEDaS10_S11_SH_SM_EUlS10_E_NS1_11comp_targetILNS1_3genE4ELNS1_11target_archE910ELNS1_3gpuE8ELNS1_3repE0EEENS1_47radix_sort_onesweep_sort_config_static_selectorELNS0_4arch9wavefront6targetE0EEEvSH_,comdat
	.protected	_ZN7rocprim17ROCPRIM_400000_NS6detail17trampoline_kernelINS0_14default_configENS1_35radix_sort_onesweep_config_selectorI12hip_bfloat16NS0_10empty_typeEEEZZNS1_29radix_sort_onesweep_iterationIS3_Lb0EPKS5_PS5_PS6_SC_mNS0_19identity_decomposerENS1_16block_id_wrapperIjLb0EEEEE10hipError_tT1_PNSt15iterator_traitsISH_E10value_typeET2_T3_PNSI_ISN_E10value_typeET4_T5_PSS_ST_PNS1_23onesweep_lookback_stateEbbT6_jjT7_P12ihipStream_tbENKUlT_T0_SH_SM_E_clISB_SB_SC_SC_EEDaS10_S11_SH_SM_EUlS10_E_NS1_11comp_targetILNS1_3genE4ELNS1_11target_archE910ELNS1_3gpuE8ELNS1_3repE0EEENS1_47radix_sort_onesweep_sort_config_static_selectorELNS0_4arch9wavefront6targetE0EEEvSH_ ; -- Begin function _ZN7rocprim17ROCPRIM_400000_NS6detail17trampoline_kernelINS0_14default_configENS1_35radix_sort_onesweep_config_selectorI12hip_bfloat16NS0_10empty_typeEEEZZNS1_29radix_sort_onesweep_iterationIS3_Lb0EPKS5_PS5_PS6_SC_mNS0_19identity_decomposerENS1_16block_id_wrapperIjLb0EEEEE10hipError_tT1_PNSt15iterator_traitsISH_E10value_typeET2_T3_PNSI_ISN_E10value_typeET4_T5_PSS_ST_PNS1_23onesweep_lookback_stateEbbT6_jjT7_P12ihipStream_tbENKUlT_T0_SH_SM_E_clISB_SB_SC_SC_EEDaS10_S11_SH_SM_EUlS10_E_NS1_11comp_targetILNS1_3genE4ELNS1_11target_archE910ELNS1_3gpuE8ELNS1_3repE0EEENS1_47radix_sort_onesweep_sort_config_static_selectorELNS0_4arch9wavefront6targetE0EEEvSH_
	.globl	_ZN7rocprim17ROCPRIM_400000_NS6detail17trampoline_kernelINS0_14default_configENS1_35radix_sort_onesweep_config_selectorI12hip_bfloat16NS0_10empty_typeEEEZZNS1_29radix_sort_onesweep_iterationIS3_Lb0EPKS5_PS5_PS6_SC_mNS0_19identity_decomposerENS1_16block_id_wrapperIjLb0EEEEE10hipError_tT1_PNSt15iterator_traitsISH_E10value_typeET2_T3_PNSI_ISN_E10value_typeET4_T5_PSS_ST_PNS1_23onesweep_lookback_stateEbbT6_jjT7_P12ihipStream_tbENKUlT_T0_SH_SM_E_clISB_SB_SC_SC_EEDaS10_S11_SH_SM_EUlS10_E_NS1_11comp_targetILNS1_3genE4ELNS1_11target_archE910ELNS1_3gpuE8ELNS1_3repE0EEENS1_47radix_sort_onesweep_sort_config_static_selectorELNS0_4arch9wavefront6targetE0EEEvSH_
	.p2align	8
	.type	_ZN7rocprim17ROCPRIM_400000_NS6detail17trampoline_kernelINS0_14default_configENS1_35radix_sort_onesweep_config_selectorI12hip_bfloat16NS0_10empty_typeEEEZZNS1_29radix_sort_onesweep_iterationIS3_Lb0EPKS5_PS5_PS6_SC_mNS0_19identity_decomposerENS1_16block_id_wrapperIjLb0EEEEE10hipError_tT1_PNSt15iterator_traitsISH_E10value_typeET2_T3_PNSI_ISN_E10value_typeET4_T5_PSS_ST_PNS1_23onesweep_lookback_stateEbbT6_jjT7_P12ihipStream_tbENKUlT_T0_SH_SM_E_clISB_SB_SC_SC_EEDaS10_S11_SH_SM_EUlS10_E_NS1_11comp_targetILNS1_3genE4ELNS1_11target_archE910ELNS1_3gpuE8ELNS1_3repE0EEENS1_47radix_sort_onesweep_sort_config_static_selectorELNS0_4arch9wavefront6targetE0EEEvSH_,@function
_ZN7rocprim17ROCPRIM_400000_NS6detail17trampoline_kernelINS0_14default_configENS1_35radix_sort_onesweep_config_selectorI12hip_bfloat16NS0_10empty_typeEEEZZNS1_29radix_sort_onesweep_iterationIS3_Lb0EPKS5_PS5_PS6_SC_mNS0_19identity_decomposerENS1_16block_id_wrapperIjLb0EEEEE10hipError_tT1_PNSt15iterator_traitsISH_E10value_typeET2_T3_PNSI_ISN_E10value_typeET4_T5_PSS_ST_PNS1_23onesweep_lookback_stateEbbT6_jjT7_P12ihipStream_tbENKUlT_T0_SH_SM_E_clISB_SB_SC_SC_EEDaS10_S11_SH_SM_EUlS10_E_NS1_11comp_targetILNS1_3genE4ELNS1_11target_archE910ELNS1_3gpuE8ELNS1_3repE0EEENS1_47radix_sort_onesweep_sort_config_static_selectorELNS0_4arch9wavefront6targetE0EEEvSH_: ; @_ZN7rocprim17ROCPRIM_400000_NS6detail17trampoline_kernelINS0_14default_configENS1_35radix_sort_onesweep_config_selectorI12hip_bfloat16NS0_10empty_typeEEEZZNS1_29radix_sort_onesweep_iterationIS3_Lb0EPKS5_PS5_PS6_SC_mNS0_19identity_decomposerENS1_16block_id_wrapperIjLb0EEEEE10hipError_tT1_PNSt15iterator_traitsISH_E10value_typeET2_T3_PNSI_ISN_E10value_typeET4_T5_PSS_ST_PNS1_23onesweep_lookback_stateEbbT6_jjT7_P12ihipStream_tbENKUlT_T0_SH_SM_E_clISB_SB_SC_SC_EEDaS10_S11_SH_SM_EUlS10_E_NS1_11comp_targetILNS1_3genE4ELNS1_11target_archE910ELNS1_3gpuE8ELNS1_3repE0EEENS1_47radix_sort_onesweep_sort_config_static_selectorELNS0_4arch9wavefront6targetE0EEEvSH_
; %bb.0:
	.section	.rodata,"a",@progbits
	.p2align	6, 0x0
	.amdhsa_kernel _ZN7rocprim17ROCPRIM_400000_NS6detail17trampoline_kernelINS0_14default_configENS1_35radix_sort_onesweep_config_selectorI12hip_bfloat16NS0_10empty_typeEEEZZNS1_29radix_sort_onesweep_iterationIS3_Lb0EPKS5_PS5_PS6_SC_mNS0_19identity_decomposerENS1_16block_id_wrapperIjLb0EEEEE10hipError_tT1_PNSt15iterator_traitsISH_E10value_typeET2_T3_PNSI_ISN_E10value_typeET4_T5_PSS_ST_PNS1_23onesweep_lookback_stateEbbT6_jjT7_P12ihipStream_tbENKUlT_T0_SH_SM_E_clISB_SB_SC_SC_EEDaS10_S11_SH_SM_EUlS10_E_NS1_11comp_targetILNS1_3genE4ELNS1_11target_archE910ELNS1_3gpuE8ELNS1_3repE0EEENS1_47radix_sort_onesweep_sort_config_static_selectorELNS0_4arch9wavefront6targetE0EEEvSH_
		.amdhsa_group_segment_fixed_size 0
		.amdhsa_private_segment_fixed_size 0
		.amdhsa_kernarg_size 88
		.amdhsa_user_sgpr_count 2
		.amdhsa_user_sgpr_dispatch_ptr 0
		.amdhsa_user_sgpr_queue_ptr 0
		.amdhsa_user_sgpr_kernarg_segment_ptr 1
		.amdhsa_user_sgpr_dispatch_id 0
		.amdhsa_user_sgpr_kernarg_preload_length 0
		.amdhsa_user_sgpr_kernarg_preload_offset 0
		.amdhsa_user_sgpr_private_segment_size 0
		.amdhsa_wavefront_size32 1
		.amdhsa_uses_dynamic_stack 0
		.amdhsa_enable_private_segment 0
		.amdhsa_system_sgpr_workgroup_id_x 1
		.amdhsa_system_sgpr_workgroup_id_y 0
		.amdhsa_system_sgpr_workgroup_id_z 0
		.amdhsa_system_sgpr_workgroup_info 0
		.amdhsa_system_vgpr_workitem_id 0
		.amdhsa_next_free_vgpr 1
		.amdhsa_next_free_sgpr 1
		.amdhsa_named_barrier_count 0
		.amdhsa_reserve_vcc 0
		.amdhsa_float_round_mode_32 0
		.amdhsa_float_round_mode_16_64 0
		.amdhsa_float_denorm_mode_32 3
		.amdhsa_float_denorm_mode_16_64 3
		.amdhsa_fp16_overflow 0
		.amdhsa_memory_ordered 1
		.amdhsa_forward_progress 1
		.amdhsa_inst_pref_size 0
		.amdhsa_round_robin_scheduling 0
		.amdhsa_exception_fp_ieee_invalid_op 0
		.amdhsa_exception_fp_denorm_src 0
		.amdhsa_exception_fp_ieee_div_zero 0
		.amdhsa_exception_fp_ieee_overflow 0
		.amdhsa_exception_fp_ieee_underflow 0
		.amdhsa_exception_fp_ieee_inexact 0
		.amdhsa_exception_int_div_zero 0
	.end_amdhsa_kernel
	.section	.text._ZN7rocprim17ROCPRIM_400000_NS6detail17trampoline_kernelINS0_14default_configENS1_35radix_sort_onesweep_config_selectorI12hip_bfloat16NS0_10empty_typeEEEZZNS1_29radix_sort_onesweep_iterationIS3_Lb0EPKS5_PS5_PS6_SC_mNS0_19identity_decomposerENS1_16block_id_wrapperIjLb0EEEEE10hipError_tT1_PNSt15iterator_traitsISH_E10value_typeET2_T3_PNSI_ISN_E10value_typeET4_T5_PSS_ST_PNS1_23onesweep_lookback_stateEbbT6_jjT7_P12ihipStream_tbENKUlT_T0_SH_SM_E_clISB_SB_SC_SC_EEDaS10_S11_SH_SM_EUlS10_E_NS1_11comp_targetILNS1_3genE4ELNS1_11target_archE910ELNS1_3gpuE8ELNS1_3repE0EEENS1_47radix_sort_onesweep_sort_config_static_selectorELNS0_4arch9wavefront6targetE0EEEvSH_,"axG",@progbits,_ZN7rocprim17ROCPRIM_400000_NS6detail17trampoline_kernelINS0_14default_configENS1_35radix_sort_onesweep_config_selectorI12hip_bfloat16NS0_10empty_typeEEEZZNS1_29radix_sort_onesweep_iterationIS3_Lb0EPKS5_PS5_PS6_SC_mNS0_19identity_decomposerENS1_16block_id_wrapperIjLb0EEEEE10hipError_tT1_PNSt15iterator_traitsISH_E10value_typeET2_T3_PNSI_ISN_E10value_typeET4_T5_PSS_ST_PNS1_23onesweep_lookback_stateEbbT6_jjT7_P12ihipStream_tbENKUlT_T0_SH_SM_E_clISB_SB_SC_SC_EEDaS10_S11_SH_SM_EUlS10_E_NS1_11comp_targetILNS1_3genE4ELNS1_11target_archE910ELNS1_3gpuE8ELNS1_3repE0EEENS1_47radix_sort_onesweep_sort_config_static_selectorELNS0_4arch9wavefront6targetE0EEEvSH_,comdat
.Lfunc_end2082:
	.size	_ZN7rocprim17ROCPRIM_400000_NS6detail17trampoline_kernelINS0_14default_configENS1_35radix_sort_onesweep_config_selectorI12hip_bfloat16NS0_10empty_typeEEEZZNS1_29radix_sort_onesweep_iterationIS3_Lb0EPKS5_PS5_PS6_SC_mNS0_19identity_decomposerENS1_16block_id_wrapperIjLb0EEEEE10hipError_tT1_PNSt15iterator_traitsISH_E10value_typeET2_T3_PNSI_ISN_E10value_typeET4_T5_PSS_ST_PNS1_23onesweep_lookback_stateEbbT6_jjT7_P12ihipStream_tbENKUlT_T0_SH_SM_E_clISB_SB_SC_SC_EEDaS10_S11_SH_SM_EUlS10_E_NS1_11comp_targetILNS1_3genE4ELNS1_11target_archE910ELNS1_3gpuE8ELNS1_3repE0EEENS1_47radix_sort_onesweep_sort_config_static_selectorELNS0_4arch9wavefront6targetE0EEEvSH_, .Lfunc_end2082-_ZN7rocprim17ROCPRIM_400000_NS6detail17trampoline_kernelINS0_14default_configENS1_35radix_sort_onesweep_config_selectorI12hip_bfloat16NS0_10empty_typeEEEZZNS1_29radix_sort_onesweep_iterationIS3_Lb0EPKS5_PS5_PS6_SC_mNS0_19identity_decomposerENS1_16block_id_wrapperIjLb0EEEEE10hipError_tT1_PNSt15iterator_traitsISH_E10value_typeET2_T3_PNSI_ISN_E10value_typeET4_T5_PSS_ST_PNS1_23onesweep_lookback_stateEbbT6_jjT7_P12ihipStream_tbENKUlT_T0_SH_SM_E_clISB_SB_SC_SC_EEDaS10_S11_SH_SM_EUlS10_E_NS1_11comp_targetILNS1_3genE4ELNS1_11target_archE910ELNS1_3gpuE8ELNS1_3repE0EEENS1_47radix_sort_onesweep_sort_config_static_selectorELNS0_4arch9wavefront6targetE0EEEvSH_
                                        ; -- End function
	.set _ZN7rocprim17ROCPRIM_400000_NS6detail17trampoline_kernelINS0_14default_configENS1_35radix_sort_onesweep_config_selectorI12hip_bfloat16NS0_10empty_typeEEEZZNS1_29radix_sort_onesweep_iterationIS3_Lb0EPKS5_PS5_PS6_SC_mNS0_19identity_decomposerENS1_16block_id_wrapperIjLb0EEEEE10hipError_tT1_PNSt15iterator_traitsISH_E10value_typeET2_T3_PNSI_ISN_E10value_typeET4_T5_PSS_ST_PNS1_23onesweep_lookback_stateEbbT6_jjT7_P12ihipStream_tbENKUlT_T0_SH_SM_E_clISB_SB_SC_SC_EEDaS10_S11_SH_SM_EUlS10_E_NS1_11comp_targetILNS1_3genE4ELNS1_11target_archE910ELNS1_3gpuE8ELNS1_3repE0EEENS1_47radix_sort_onesweep_sort_config_static_selectorELNS0_4arch9wavefront6targetE0EEEvSH_.num_vgpr, 0
	.set _ZN7rocprim17ROCPRIM_400000_NS6detail17trampoline_kernelINS0_14default_configENS1_35radix_sort_onesweep_config_selectorI12hip_bfloat16NS0_10empty_typeEEEZZNS1_29radix_sort_onesweep_iterationIS3_Lb0EPKS5_PS5_PS6_SC_mNS0_19identity_decomposerENS1_16block_id_wrapperIjLb0EEEEE10hipError_tT1_PNSt15iterator_traitsISH_E10value_typeET2_T3_PNSI_ISN_E10value_typeET4_T5_PSS_ST_PNS1_23onesweep_lookback_stateEbbT6_jjT7_P12ihipStream_tbENKUlT_T0_SH_SM_E_clISB_SB_SC_SC_EEDaS10_S11_SH_SM_EUlS10_E_NS1_11comp_targetILNS1_3genE4ELNS1_11target_archE910ELNS1_3gpuE8ELNS1_3repE0EEENS1_47radix_sort_onesweep_sort_config_static_selectorELNS0_4arch9wavefront6targetE0EEEvSH_.num_agpr, 0
	.set _ZN7rocprim17ROCPRIM_400000_NS6detail17trampoline_kernelINS0_14default_configENS1_35radix_sort_onesweep_config_selectorI12hip_bfloat16NS0_10empty_typeEEEZZNS1_29radix_sort_onesweep_iterationIS3_Lb0EPKS5_PS5_PS6_SC_mNS0_19identity_decomposerENS1_16block_id_wrapperIjLb0EEEEE10hipError_tT1_PNSt15iterator_traitsISH_E10value_typeET2_T3_PNSI_ISN_E10value_typeET4_T5_PSS_ST_PNS1_23onesweep_lookback_stateEbbT6_jjT7_P12ihipStream_tbENKUlT_T0_SH_SM_E_clISB_SB_SC_SC_EEDaS10_S11_SH_SM_EUlS10_E_NS1_11comp_targetILNS1_3genE4ELNS1_11target_archE910ELNS1_3gpuE8ELNS1_3repE0EEENS1_47radix_sort_onesweep_sort_config_static_selectorELNS0_4arch9wavefront6targetE0EEEvSH_.numbered_sgpr, 0
	.set _ZN7rocprim17ROCPRIM_400000_NS6detail17trampoline_kernelINS0_14default_configENS1_35radix_sort_onesweep_config_selectorI12hip_bfloat16NS0_10empty_typeEEEZZNS1_29radix_sort_onesweep_iterationIS3_Lb0EPKS5_PS5_PS6_SC_mNS0_19identity_decomposerENS1_16block_id_wrapperIjLb0EEEEE10hipError_tT1_PNSt15iterator_traitsISH_E10value_typeET2_T3_PNSI_ISN_E10value_typeET4_T5_PSS_ST_PNS1_23onesweep_lookback_stateEbbT6_jjT7_P12ihipStream_tbENKUlT_T0_SH_SM_E_clISB_SB_SC_SC_EEDaS10_S11_SH_SM_EUlS10_E_NS1_11comp_targetILNS1_3genE4ELNS1_11target_archE910ELNS1_3gpuE8ELNS1_3repE0EEENS1_47radix_sort_onesweep_sort_config_static_selectorELNS0_4arch9wavefront6targetE0EEEvSH_.num_named_barrier, 0
	.set _ZN7rocprim17ROCPRIM_400000_NS6detail17trampoline_kernelINS0_14default_configENS1_35radix_sort_onesweep_config_selectorI12hip_bfloat16NS0_10empty_typeEEEZZNS1_29radix_sort_onesweep_iterationIS3_Lb0EPKS5_PS5_PS6_SC_mNS0_19identity_decomposerENS1_16block_id_wrapperIjLb0EEEEE10hipError_tT1_PNSt15iterator_traitsISH_E10value_typeET2_T3_PNSI_ISN_E10value_typeET4_T5_PSS_ST_PNS1_23onesweep_lookback_stateEbbT6_jjT7_P12ihipStream_tbENKUlT_T0_SH_SM_E_clISB_SB_SC_SC_EEDaS10_S11_SH_SM_EUlS10_E_NS1_11comp_targetILNS1_3genE4ELNS1_11target_archE910ELNS1_3gpuE8ELNS1_3repE0EEENS1_47radix_sort_onesweep_sort_config_static_selectorELNS0_4arch9wavefront6targetE0EEEvSH_.private_seg_size, 0
	.set _ZN7rocprim17ROCPRIM_400000_NS6detail17trampoline_kernelINS0_14default_configENS1_35radix_sort_onesweep_config_selectorI12hip_bfloat16NS0_10empty_typeEEEZZNS1_29radix_sort_onesweep_iterationIS3_Lb0EPKS5_PS5_PS6_SC_mNS0_19identity_decomposerENS1_16block_id_wrapperIjLb0EEEEE10hipError_tT1_PNSt15iterator_traitsISH_E10value_typeET2_T3_PNSI_ISN_E10value_typeET4_T5_PSS_ST_PNS1_23onesweep_lookback_stateEbbT6_jjT7_P12ihipStream_tbENKUlT_T0_SH_SM_E_clISB_SB_SC_SC_EEDaS10_S11_SH_SM_EUlS10_E_NS1_11comp_targetILNS1_3genE4ELNS1_11target_archE910ELNS1_3gpuE8ELNS1_3repE0EEENS1_47radix_sort_onesweep_sort_config_static_selectorELNS0_4arch9wavefront6targetE0EEEvSH_.uses_vcc, 0
	.set _ZN7rocprim17ROCPRIM_400000_NS6detail17trampoline_kernelINS0_14default_configENS1_35radix_sort_onesweep_config_selectorI12hip_bfloat16NS0_10empty_typeEEEZZNS1_29radix_sort_onesweep_iterationIS3_Lb0EPKS5_PS5_PS6_SC_mNS0_19identity_decomposerENS1_16block_id_wrapperIjLb0EEEEE10hipError_tT1_PNSt15iterator_traitsISH_E10value_typeET2_T3_PNSI_ISN_E10value_typeET4_T5_PSS_ST_PNS1_23onesweep_lookback_stateEbbT6_jjT7_P12ihipStream_tbENKUlT_T0_SH_SM_E_clISB_SB_SC_SC_EEDaS10_S11_SH_SM_EUlS10_E_NS1_11comp_targetILNS1_3genE4ELNS1_11target_archE910ELNS1_3gpuE8ELNS1_3repE0EEENS1_47radix_sort_onesweep_sort_config_static_selectorELNS0_4arch9wavefront6targetE0EEEvSH_.uses_flat_scratch, 0
	.set _ZN7rocprim17ROCPRIM_400000_NS6detail17trampoline_kernelINS0_14default_configENS1_35radix_sort_onesweep_config_selectorI12hip_bfloat16NS0_10empty_typeEEEZZNS1_29radix_sort_onesweep_iterationIS3_Lb0EPKS5_PS5_PS6_SC_mNS0_19identity_decomposerENS1_16block_id_wrapperIjLb0EEEEE10hipError_tT1_PNSt15iterator_traitsISH_E10value_typeET2_T3_PNSI_ISN_E10value_typeET4_T5_PSS_ST_PNS1_23onesweep_lookback_stateEbbT6_jjT7_P12ihipStream_tbENKUlT_T0_SH_SM_E_clISB_SB_SC_SC_EEDaS10_S11_SH_SM_EUlS10_E_NS1_11comp_targetILNS1_3genE4ELNS1_11target_archE910ELNS1_3gpuE8ELNS1_3repE0EEENS1_47radix_sort_onesweep_sort_config_static_selectorELNS0_4arch9wavefront6targetE0EEEvSH_.has_dyn_sized_stack, 0
	.set _ZN7rocprim17ROCPRIM_400000_NS6detail17trampoline_kernelINS0_14default_configENS1_35radix_sort_onesweep_config_selectorI12hip_bfloat16NS0_10empty_typeEEEZZNS1_29radix_sort_onesweep_iterationIS3_Lb0EPKS5_PS5_PS6_SC_mNS0_19identity_decomposerENS1_16block_id_wrapperIjLb0EEEEE10hipError_tT1_PNSt15iterator_traitsISH_E10value_typeET2_T3_PNSI_ISN_E10value_typeET4_T5_PSS_ST_PNS1_23onesweep_lookback_stateEbbT6_jjT7_P12ihipStream_tbENKUlT_T0_SH_SM_E_clISB_SB_SC_SC_EEDaS10_S11_SH_SM_EUlS10_E_NS1_11comp_targetILNS1_3genE4ELNS1_11target_archE910ELNS1_3gpuE8ELNS1_3repE0EEENS1_47radix_sort_onesweep_sort_config_static_selectorELNS0_4arch9wavefront6targetE0EEEvSH_.has_recursion, 0
	.set _ZN7rocprim17ROCPRIM_400000_NS6detail17trampoline_kernelINS0_14default_configENS1_35radix_sort_onesweep_config_selectorI12hip_bfloat16NS0_10empty_typeEEEZZNS1_29radix_sort_onesweep_iterationIS3_Lb0EPKS5_PS5_PS6_SC_mNS0_19identity_decomposerENS1_16block_id_wrapperIjLb0EEEEE10hipError_tT1_PNSt15iterator_traitsISH_E10value_typeET2_T3_PNSI_ISN_E10value_typeET4_T5_PSS_ST_PNS1_23onesweep_lookback_stateEbbT6_jjT7_P12ihipStream_tbENKUlT_T0_SH_SM_E_clISB_SB_SC_SC_EEDaS10_S11_SH_SM_EUlS10_E_NS1_11comp_targetILNS1_3genE4ELNS1_11target_archE910ELNS1_3gpuE8ELNS1_3repE0EEENS1_47radix_sort_onesweep_sort_config_static_selectorELNS0_4arch9wavefront6targetE0EEEvSH_.has_indirect_call, 0
	.section	.AMDGPU.csdata,"",@progbits
; Kernel info:
; codeLenInByte = 0
; TotalNumSgprs: 0
; NumVgprs: 0
; ScratchSize: 0
; MemoryBound: 0
; FloatMode: 240
; IeeeMode: 1
; LDSByteSize: 0 bytes/workgroup (compile time only)
; SGPRBlocks: 0
; VGPRBlocks: 0
; NumSGPRsForWavesPerEU: 1
; NumVGPRsForWavesPerEU: 1
; NamedBarCnt: 0
; Occupancy: 16
; WaveLimiterHint : 0
; COMPUTE_PGM_RSRC2:SCRATCH_EN: 0
; COMPUTE_PGM_RSRC2:USER_SGPR: 2
; COMPUTE_PGM_RSRC2:TRAP_HANDLER: 0
; COMPUTE_PGM_RSRC2:TGID_X_EN: 1
; COMPUTE_PGM_RSRC2:TGID_Y_EN: 0
; COMPUTE_PGM_RSRC2:TGID_Z_EN: 0
; COMPUTE_PGM_RSRC2:TIDIG_COMP_CNT: 0
	.section	.text._ZN7rocprim17ROCPRIM_400000_NS6detail17trampoline_kernelINS0_14default_configENS1_35radix_sort_onesweep_config_selectorI12hip_bfloat16NS0_10empty_typeEEEZZNS1_29radix_sort_onesweep_iterationIS3_Lb0EPKS5_PS5_PS6_SC_mNS0_19identity_decomposerENS1_16block_id_wrapperIjLb0EEEEE10hipError_tT1_PNSt15iterator_traitsISH_E10value_typeET2_T3_PNSI_ISN_E10value_typeET4_T5_PSS_ST_PNS1_23onesweep_lookback_stateEbbT6_jjT7_P12ihipStream_tbENKUlT_T0_SH_SM_E_clISB_SB_SC_SC_EEDaS10_S11_SH_SM_EUlS10_E_NS1_11comp_targetILNS1_3genE3ELNS1_11target_archE908ELNS1_3gpuE7ELNS1_3repE0EEENS1_47radix_sort_onesweep_sort_config_static_selectorELNS0_4arch9wavefront6targetE0EEEvSH_,"axG",@progbits,_ZN7rocprim17ROCPRIM_400000_NS6detail17trampoline_kernelINS0_14default_configENS1_35radix_sort_onesweep_config_selectorI12hip_bfloat16NS0_10empty_typeEEEZZNS1_29radix_sort_onesweep_iterationIS3_Lb0EPKS5_PS5_PS6_SC_mNS0_19identity_decomposerENS1_16block_id_wrapperIjLb0EEEEE10hipError_tT1_PNSt15iterator_traitsISH_E10value_typeET2_T3_PNSI_ISN_E10value_typeET4_T5_PSS_ST_PNS1_23onesweep_lookback_stateEbbT6_jjT7_P12ihipStream_tbENKUlT_T0_SH_SM_E_clISB_SB_SC_SC_EEDaS10_S11_SH_SM_EUlS10_E_NS1_11comp_targetILNS1_3genE3ELNS1_11target_archE908ELNS1_3gpuE7ELNS1_3repE0EEENS1_47radix_sort_onesweep_sort_config_static_selectorELNS0_4arch9wavefront6targetE0EEEvSH_,comdat
	.protected	_ZN7rocprim17ROCPRIM_400000_NS6detail17trampoline_kernelINS0_14default_configENS1_35radix_sort_onesweep_config_selectorI12hip_bfloat16NS0_10empty_typeEEEZZNS1_29radix_sort_onesweep_iterationIS3_Lb0EPKS5_PS5_PS6_SC_mNS0_19identity_decomposerENS1_16block_id_wrapperIjLb0EEEEE10hipError_tT1_PNSt15iterator_traitsISH_E10value_typeET2_T3_PNSI_ISN_E10value_typeET4_T5_PSS_ST_PNS1_23onesweep_lookback_stateEbbT6_jjT7_P12ihipStream_tbENKUlT_T0_SH_SM_E_clISB_SB_SC_SC_EEDaS10_S11_SH_SM_EUlS10_E_NS1_11comp_targetILNS1_3genE3ELNS1_11target_archE908ELNS1_3gpuE7ELNS1_3repE0EEENS1_47radix_sort_onesweep_sort_config_static_selectorELNS0_4arch9wavefront6targetE0EEEvSH_ ; -- Begin function _ZN7rocprim17ROCPRIM_400000_NS6detail17trampoline_kernelINS0_14default_configENS1_35radix_sort_onesweep_config_selectorI12hip_bfloat16NS0_10empty_typeEEEZZNS1_29radix_sort_onesweep_iterationIS3_Lb0EPKS5_PS5_PS6_SC_mNS0_19identity_decomposerENS1_16block_id_wrapperIjLb0EEEEE10hipError_tT1_PNSt15iterator_traitsISH_E10value_typeET2_T3_PNSI_ISN_E10value_typeET4_T5_PSS_ST_PNS1_23onesweep_lookback_stateEbbT6_jjT7_P12ihipStream_tbENKUlT_T0_SH_SM_E_clISB_SB_SC_SC_EEDaS10_S11_SH_SM_EUlS10_E_NS1_11comp_targetILNS1_3genE3ELNS1_11target_archE908ELNS1_3gpuE7ELNS1_3repE0EEENS1_47radix_sort_onesweep_sort_config_static_selectorELNS0_4arch9wavefront6targetE0EEEvSH_
	.globl	_ZN7rocprim17ROCPRIM_400000_NS6detail17trampoline_kernelINS0_14default_configENS1_35radix_sort_onesweep_config_selectorI12hip_bfloat16NS0_10empty_typeEEEZZNS1_29radix_sort_onesweep_iterationIS3_Lb0EPKS5_PS5_PS6_SC_mNS0_19identity_decomposerENS1_16block_id_wrapperIjLb0EEEEE10hipError_tT1_PNSt15iterator_traitsISH_E10value_typeET2_T3_PNSI_ISN_E10value_typeET4_T5_PSS_ST_PNS1_23onesweep_lookback_stateEbbT6_jjT7_P12ihipStream_tbENKUlT_T0_SH_SM_E_clISB_SB_SC_SC_EEDaS10_S11_SH_SM_EUlS10_E_NS1_11comp_targetILNS1_3genE3ELNS1_11target_archE908ELNS1_3gpuE7ELNS1_3repE0EEENS1_47radix_sort_onesweep_sort_config_static_selectorELNS0_4arch9wavefront6targetE0EEEvSH_
	.p2align	8
	.type	_ZN7rocprim17ROCPRIM_400000_NS6detail17trampoline_kernelINS0_14default_configENS1_35radix_sort_onesweep_config_selectorI12hip_bfloat16NS0_10empty_typeEEEZZNS1_29radix_sort_onesweep_iterationIS3_Lb0EPKS5_PS5_PS6_SC_mNS0_19identity_decomposerENS1_16block_id_wrapperIjLb0EEEEE10hipError_tT1_PNSt15iterator_traitsISH_E10value_typeET2_T3_PNSI_ISN_E10value_typeET4_T5_PSS_ST_PNS1_23onesweep_lookback_stateEbbT6_jjT7_P12ihipStream_tbENKUlT_T0_SH_SM_E_clISB_SB_SC_SC_EEDaS10_S11_SH_SM_EUlS10_E_NS1_11comp_targetILNS1_3genE3ELNS1_11target_archE908ELNS1_3gpuE7ELNS1_3repE0EEENS1_47radix_sort_onesweep_sort_config_static_selectorELNS0_4arch9wavefront6targetE0EEEvSH_,@function
_ZN7rocprim17ROCPRIM_400000_NS6detail17trampoline_kernelINS0_14default_configENS1_35radix_sort_onesweep_config_selectorI12hip_bfloat16NS0_10empty_typeEEEZZNS1_29radix_sort_onesweep_iterationIS3_Lb0EPKS5_PS5_PS6_SC_mNS0_19identity_decomposerENS1_16block_id_wrapperIjLb0EEEEE10hipError_tT1_PNSt15iterator_traitsISH_E10value_typeET2_T3_PNSI_ISN_E10value_typeET4_T5_PSS_ST_PNS1_23onesweep_lookback_stateEbbT6_jjT7_P12ihipStream_tbENKUlT_T0_SH_SM_E_clISB_SB_SC_SC_EEDaS10_S11_SH_SM_EUlS10_E_NS1_11comp_targetILNS1_3genE3ELNS1_11target_archE908ELNS1_3gpuE7ELNS1_3repE0EEENS1_47radix_sort_onesweep_sort_config_static_selectorELNS0_4arch9wavefront6targetE0EEEvSH_: ; @_ZN7rocprim17ROCPRIM_400000_NS6detail17trampoline_kernelINS0_14default_configENS1_35radix_sort_onesweep_config_selectorI12hip_bfloat16NS0_10empty_typeEEEZZNS1_29radix_sort_onesweep_iterationIS3_Lb0EPKS5_PS5_PS6_SC_mNS0_19identity_decomposerENS1_16block_id_wrapperIjLb0EEEEE10hipError_tT1_PNSt15iterator_traitsISH_E10value_typeET2_T3_PNSI_ISN_E10value_typeET4_T5_PSS_ST_PNS1_23onesweep_lookback_stateEbbT6_jjT7_P12ihipStream_tbENKUlT_T0_SH_SM_E_clISB_SB_SC_SC_EEDaS10_S11_SH_SM_EUlS10_E_NS1_11comp_targetILNS1_3genE3ELNS1_11target_archE908ELNS1_3gpuE7ELNS1_3repE0EEENS1_47radix_sort_onesweep_sort_config_static_selectorELNS0_4arch9wavefront6targetE0EEEvSH_
; %bb.0:
	.section	.rodata,"a",@progbits
	.p2align	6, 0x0
	.amdhsa_kernel _ZN7rocprim17ROCPRIM_400000_NS6detail17trampoline_kernelINS0_14default_configENS1_35radix_sort_onesweep_config_selectorI12hip_bfloat16NS0_10empty_typeEEEZZNS1_29radix_sort_onesweep_iterationIS3_Lb0EPKS5_PS5_PS6_SC_mNS0_19identity_decomposerENS1_16block_id_wrapperIjLb0EEEEE10hipError_tT1_PNSt15iterator_traitsISH_E10value_typeET2_T3_PNSI_ISN_E10value_typeET4_T5_PSS_ST_PNS1_23onesweep_lookback_stateEbbT6_jjT7_P12ihipStream_tbENKUlT_T0_SH_SM_E_clISB_SB_SC_SC_EEDaS10_S11_SH_SM_EUlS10_E_NS1_11comp_targetILNS1_3genE3ELNS1_11target_archE908ELNS1_3gpuE7ELNS1_3repE0EEENS1_47radix_sort_onesweep_sort_config_static_selectorELNS0_4arch9wavefront6targetE0EEEvSH_
		.amdhsa_group_segment_fixed_size 0
		.amdhsa_private_segment_fixed_size 0
		.amdhsa_kernarg_size 88
		.amdhsa_user_sgpr_count 2
		.amdhsa_user_sgpr_dispatch_ptr 0
		.amdhsa_user_sgpr_queue_ptr 0
		.amdhsa_user_sgpr_kernarg_segment_ptr 1
		.amdhsa_user_sgpr_dispatch_id 0
		.amdhsa_user_sgpr_kernarg_preload_length 0
		.amdhsa_user_sgpr_kernarg_preload_offset 0
		.amdhsa_user_sgpr_private_segment_size 0
		.amdhsa_wavefront_size32 1
		.amdhsa_uses_dynamic_stack 0
		.amdhsa_enable_private_segment 0
		.amdhsa_system_sgpr_workgroup_id_x 1
		.amdhsa_system_sgpr_workgroup_id_y 0
		.amdhsa_system_sgpr_workgroup_id_z 0
		.amdhsa_system_sgpr_workgroup_info 0
		.amdhsa_system_vgpr_workitem_id 0
		.amdhsa_next_free_vgpr 1
		.amdhsa_next_free_sgpr 1
		.amdhsa_named_barrier_count 0
		.amdhsa_reserve_vcc 0
		.amdhsa_float_round_mode_32 0
		.amdhsa_float_round_mode_16_64 0
		.amdhsa_float_denorm_mode_32 3
		.amdhsa_float_denorm_mode_16_64 3
		.amdhsa_fp16_overflow 0
		.amdhsa_memory_ordered 1
		.amdhsa_forward_progress 1
		.amdhsa_inst_pref_size 0
		.amdhsa_round_robin_scheduling 0
		.amdhsa_exception_fp_ieee_invalid_op 0
		.amdhsa_exception_fp_denorm_src 0
		.amdhsa_exception_fp_ieee_div_zero 0
		.amdhsa_exception_fp_ieee_overflow 0
		.amdhsa_exception_fp_ieee_underflow 0
		.amdhsa_exception_fp_ieee_inexact 0
		.amdhsa_exception_int_div_zero 0
	.end_amdhsa_kernel
	.section	.text._ZN7rocprim17ROCPRIM_400000_NS6detail17trampoline_kernelINS0_14default_configENS1_35radix_sort_onesweep_config_selectorI12hip_bfloat16NS0_10empty_typeEEEZZNS1_29radix_sort_onesweep_iterationIS3_Lb0EPKS5_PS5_PS6_SC_mNS0_19identity_decomposerENS1_16block_id_wrapperIjLb0EEEEE10hipError_tT1_PNSt15iterator_traitsISH_E10value_typeET2_T3_PNSI_ISN_E10value_typeET4_T5_PSS_ST_PNS1_23onesweep_lookback_stateEbbT6_jjT7_P12ihipStream_tbENKUlT_T0_SH_SM_E_clISB_SB_SC_SC_EEDaS10_S11_SH_SM_EUlS10_E_NS1_11comp_targetILNS1_3genE3ELNS1_11target_archE908ELNS1_3gpuE7ELNS1_3repE0EEENS1_47radix_sort_onesweep_sort_config_static_selectorELNS0_4arch9wavefront6targetE0EEEvSH_,"axG",@progbits,_ZN7rocprim17ROCPRIM_400000_NS6detail17trampoline_kernelINS0_14default_configENS1_35radix_sort_onesweep_config_selectorI12hip_bfloat16NS0_10empty_typeEEEZZNS1_29radix_sort_onesweep_iterationIS3_Lb0EPKS5_PS5_PS6_SC_mNS0_19identity_decomposerENS1_16block_id_wrapperIjLb0EEEEE10hipError_tT1_PNSt15iterator_traitsISH_E10value_typeET2_T3_PNSI_ISN_E10value_typeET4_T5_PSS_ST_PNS1_23onesweep_lookback_stateEbbT6_jjT7_P12ihipStream_tbENKUlT_T0_SH_SM_E_clISB_SB_SC_SC_EEDaS10_S11_SH_SM_EUlS10_E_NS1_11comp_targetILNS1_3genE3ELNS1_11target_archE908ELNS1_3gpuE7ELNS1_3repE0EEENS1_47radix_sort_onesweep_sort_config_static_selectorELNS0_4arch9wavefront6targetE0EEEvSH_,comdat
.Lfunc_end2083:
	.size	_ZN7rocprim17ROCPRIM_400000_NS6detail17trampoline_kernelINS0_14default_configENS1_35radix_sort_onesweep_config_selectorI12hip_bfloat16NS0_10empty_typeEEEZZNS1_29radix_sort_onesweep_iterationIS3_Lb0EPKS5_PS5_PS6_SC_mNS0_19identity_decomposerENS1_16block_id_wrapperIjLb0EEEEE10hipError_tT1_PNSt15iterator_traitsISH_E10value_typeET2_T3_PNSI_ISN_E10value_typeET4_T5_PSS_ST_PNS1_23onesweep_lookback_stateEbbT6_jjT7_P12ihipStream_tbENKUlT_T0_SH_SM_E_clISB_SB_SC_SC_EEDaS10_S11_SH_SM_EUlS10_E_NS1_11comp_targetILNS1_3genE3ELNS1_11target_archE908ELNS1_3gpuE7ELNS1_3repE0EEENS1_47radix_sort_onesweep_sort_config_static_selectorELNS0_4arch9wavefront6targetE0EEEvSH_, .Lfunc_end2083-_ZN7rocprim17ROCPRIM_400000_NS6detail17trampoline_kernelINS0_14default_configENS1_35radix_sort_onesweep_config_selectorI12hip_bfloat16NS0_10empty_typeEEEZZNS1_29radix_sort_onesweep_iterationIS3_Lb0EPKS5_PS5_PS6_SC_mNS0_19identity_decomposerENS1_16block_id_wrapperIjLb0EEEEE10hipError_tT1_PNSt15iterator_traitsISH_E10value_typeET2_T3_PNSI_ISN_E10value_typeET4_T5_PSS_ST_PNS1_23onesweep_lookback_stateEbbT6_jjT7_P12ihipStream_tbENKUlT_T0_SH_SM_E_clISB_SB_SC_SC_EEDaS10_S11_SH_SM_EUlS10_E_NS1_11comp_targetILNS1_3genE3ELNS1_11target_archE908ELNS1_3gpuE7ELNS1_3repE0EEENS1_47radix_sort_onesweep_sort_config_static_selectorELNS0_4arch9wavefront6targetE0EEEvSH_
                                        ; -- End function
	.set _ZN7rocprim17ROCPRIM_400000_NS6detail17trampoline_kernelINS0_14default_configENS1_35radix_sort_onesweep_config_selectorI12hip_bfloat16NS0_10empty_typeEEEZZNS1_29radix_sort_onesweep_iterationIS3_Lb0EPKS5_PS5_PS6_SC_mNS0_19identity_decomposerENS1_16block_id_wrapperIjLb0EEEEE10hipError_tT1_PNSt15iterator_traitsISH_E10value_typeET2_T3_PNSI_ISN_E10value_typeET4_T5_PSS_ST_PNS1_23onesweep_lookback_stateEbbT6_jjT7_P12ihipStream_tbENKUlT_T0_SH_SM_E_clISB_SB_SC_SC_EEDaS10_S11_SH_SM_EUlS10_E_NS1_11comp_targetILNS1_3genE3ELNS1_11target_archE908ELNS1_3gpuE7ELNS1_3repE0EEENS1_47radix_sort_onesweep_sort_config_static_selectorELNS0_4arch9wavefront6targetE0EEEvSH_.num_vgpr, 0
	.set _ZN7rocprim17ROCPRIM_400000_NS6detail17trampoline_kernelINS0_14default_configENS1_35radix_sort_onesweep_config_selectorI12hip_bfloat16NS0_10empty_typeEEEZZNS1_29radix_sort_onesweep_iterationIS3_Lb0EPKS5_PS5_PS6_SC_mNS0_19identity_decomposerENS1_16block_id_wrapperIjLb0EEEEE10hipError_tT1_PNSt15iterator_traitsISH_E10value_typeET2_T3_PNSI_ISN_E10value_typeET4_T5_PSS_ST_PNS1_23onesweep_lookback_stateEbbT6_jjT7_P12ihipStream_tbENKUlT_T0_SH_SM_E_clISB_SB_SC_SC_EEDaS10_S11_SH_SM_EUlS10_E_NS1_11comp_targetILNS1_3genE3ELNS1_11target_archE908ELNS1_3gpuE7ELNS1_3repE0EEENS1_47radix_sort_onesweep_sort_config_static_selectorELNS0_4arch9wavefront6targetE0EEEvSH_.num_agpr, 0
	.set _ZN7rocprim17ROCPRIM_400000_NS6detail17trampoline_kernelINS0_14default_configENS1_35radix_sort_onesweep_config_selectorI12hip_bfloat16NS0_10empty_typeEEEZZNS1_29radix_sort_onesweep_iterationIS3_Lb0EPKS5_PS5_PS6_SC_mNS0_19identity_decomposerENS1_16block_id_wrapperIjLb0EEEEE10hipError_tT1_PNSt15iterator_traitsISH_E10value_typeET2_T3_PNSI_ISN_E10value_typeET4_T5_PSS_ST_PNS1_23onesweep_lookback_stateEbbT6_jjT7_P12ihipStream_tbENKUlT_T0_SH_SM_E_clISB_SB_SC_SC_EEDaS10_S11_SH_SM_EUlS10_E_NS1_11comp_targetILNS1_3genE3ELNS1_11target_archE908ELNS1_3gpuE7ELNS1_3repE0EEENS1_47radix_sort_onesweep_sort_config_static_selectorELNS0_4arch9wavefront6targetE0EEEvSH_.numbered_sgpr, 0
	.set _ZN7rocprim17ROCPRIM_400000_NS6detail17trampoline_kernelINS0_14default_configENS1_35radix_sort_onesweep_config_selectorI12hip_bfloat16NS0_10empty_typeEEEZZNS1_29radix_sort_onesweep_iterationIS3_Lb0EPKS5_PS5_PS6_SC_mNS0_19identity_decomposerENS1_16block_id_wrapperIjLb0EEEEE10hipError_tT1_PNSt15iterator_traitsISH_E10value_typeET2_T3_PNSI_ISN_E10value_typeET4_T5_PSS_ST_PNS1_23onesweep_lookback_stateEbbT6_jjT7_P12ihipStream_tbENKUlT_T0_SH_SM_E_clISB_SB_SC_SC_EEDaS10_S11_SH_SM_EUlS10_E_NS1_11comp_targetILNS1_3genE3ELNS1_11target_archE908ELNS1_3gpuE7ELNS1_3repE0EEENS1_47radix_sort_onesweep_sort_config_static_selectorELNS0_4arch9wavefront6targetE0EEEvSH_.num_named_barrier, 0
	.set _ZN7rocprim17ROCPRIM_400000_NS6detail17trampoline_kernelINS0_14default_configENS1_35radix_sort_onesweep_config_selectorI12hip_bfloat16NS0_10empty_typeEEEZZNS1_29radix_sort_onesweep_iterationIS3_Lb0EPKS5_PS5_PS6_SC_mNS0_19identity_decomposerENS1_16block_id_wrapperIjLb0EEEEE10hipError_tT1_PNSt15iterator_traitsISH_E10value_typeET2_T3_PNSI_ISN_E10value_typeET4_T5_PSS_ST_PNS1_23onesweep_lookback_stateEbbT6_jjT7_P12ihipStream_tbENKUlT_T0_SH_SM_E_clISB_SB_SC_SC_EEDaS10_S11_SH_SM_EUlS10_E_NS1_11comp_targetILNS1_3genE3ELNS1_11target_archE908ELNS1_3gpuE7ELNS1_3repE0EEENS1_47radix_sort_onesweep_sort_config_static_selectorELNS0_4arch9wavefront6targetE0EEEvSH_.private_seg_size, 0
	.set _ZN7rocprim17ROCPRIM_400000_NS6detail17trampoline_kernelINS0_14default_configENS1_35radix_sort_onesweep_config_selectorI12hip_bfloat16NS0_10empty_typeEEEZZNS1_29radix_sort_onesweep_iterationIS3_Lb0EPKS5_PS5_PS6_SC_mNS0_19identity_decomposerENS1_16block_id_wrapperIjLb0EEEEE10hipError_tT1_PNSt15iterator_traitsISH_E10value_typeET2_T3_PNSI_ISN_E10value_typeET4_T5_PSS_ST_PNS1_23onesweep_lookback_stateEbbT6_jjT7_P12ihipStream_tbENKUlT_T0_SH_SM_E_clISB_SB_SC_SC_EEDaS10_S11_SH_SM_EUlS10_E_NS1_11comp_targetILNS1_3genE3ELNS1_11target_archE908ELNS1_3gpuE7ELNS1_3repE0EEENS1_47radix_sort_onesweep_sort_config_static_selectorELNS0_4arch9wavefront6targetE0EEEvSH_.uses_vcc, 0
	.set _ZN7rocprim17ROCPRIM_400000_NS6detail17trampoline_kernelINS0_14default_configENS1_35radix_sort_onesweep_config_selectorI12hip_bfloat16NS0_10empty_typeEEEZZNS1_29radix_sort_onesweep_iterationIS3_Lb0EPKS5_PS5_PS6_SC_mNS0_19identity_decomposerENS1_16block_id_wrapperIjLb0EEEEE10hipError_tT1_PNSt15iterator_traitsISH_E10value_typeET2_T3_PNSI_ISN_E10value_typeET4_T5_PSS_ST_PNS1_23onesweep_lookback_stateEbbT6_jjT7_P12ihipStream_tbENKUlT_T0_SH_SM_E_clISB_SB_SC_SC_EEDaS10_S11_SH_SM_EUlS10_E_NS1_11comp_targetILNS1_3genE3ELNS1_11target_archE908ELNS1_3gpuE7ELNS1_3repE0EEENS1_47radix_sort_onesweep_sort_config_static_selectorELNS0_4arch9wavefront6targetE0EEEvSH_.uses_flat_scratch, 0
	.set _ZN7rocprim17ROCPRIM_400000_NS6detail17trampoline_kernelINS0_14default_configENS1_35radix_sort_onesweep_config_selectorI12hip_bfloat16NS0_10empty_typeEEEZZNS1_29radix_sort_onesweep_iterationIS3_Lb0EPKS5_PS5_PS6_SC_mNS0_19identity_decomposerENS1_16block_id_wrapperIjLb0EEEEE10hipError_tT1_PNSt15iterator_traitsISH_E10value_typeET2_T3_PNSI_ISN_E10value_typeET4_T5_PSS_ST_PNS1_23onesweep_lookback_stateEbbT6_jjT7_P12ihipStream_tbENKUlT_T0_SH_SM_E_clISB_SB_SC_SC_EEDaS10_S11_SH_SM_EUlS10_E_NS1_11comp_targetILNS1_3genE3ELNS1_11target_archE908ELNS1_3gpuE7ELNS1_3repE0EEENS1_47radix_sort_onesweep_sort_config_static_selectorELNS0_4arch9wavefront6targetE0EEEvSH_.has_dyn_sized_stack, 0
	.set _ZN7rocprim17ROCPRIM_400000_NS6detail17trampoline_kernelINS0_14default_configENS1_35radix_sort_onesweep_config_selectorI12hip_bfloat16NS0_10empty_typeEEEZZNS1_29radix_sort_onesweep_iterationIS3_Lb0EPKS5_PS5_PS6_SC_mNS0_19identity_decomposerENS1_16block_id_wrapperIjLb0EEEEE10hipError_tT1_PNSt15iterator_traitsISH_E10value_typeET2_T3_PNSI_ISN_E10value_typeET4_T5_PSS_ST_PNS1_23onesweep_lookback_stateEbbT6_jjT7_P12ihipStream_tbENKUlT_T0_SH_SM_E_clISB_SB_SC_SC_EEDaS10_S11_SH_SM_EUlS10_E_NS1_11comp_targetILNS1_3genE3ELNS1_11target_archE908ELNS1_3gpuE7ELNS1_3repE0EEENS1_47radix_sort_onesweep_sort_config_static_selectorELNS0_4arch9wavefront6targetE0EEEvSH_.has_recursion, 0
	.set _ZN7rocprim17ROCPRIM_400000_NS6detail17trampoline_kernelINS0_14default_configENS1_35radix_sort_onesweep_config_selectorI12hip_bfloat16NS0_10empty_typeEEEZZNS1_29radix_sort_onesweep_iterationIS3_Lb0EPKS5_PS5_PS6_SC_mNS0_19identity_decomposerENS1_16block_id_wrapperIjLb0EEEEE10hipError_tT1_PNSt15iterator_traitsISH_E10value_typeET2_T3_PNSI_ISN_E10value_typeET4_T5_PSS_ST_PNS1_23onesweep_lookback_stateEbbT6_jjT7_P12ihipStream_tbENKUlT_T0_SH_SM_E_clISB_SB_SC_SC_EEDaS10_S11_SH_SM_EUlS10_E_NS1_11comp_targetILNS1_3genE3ELNS1_11target_archE908ELNS1_3gpuE7ELNS1_3repE0EEENS1_47radix_sort_onesweep_sort_config_static_selectorELNS0_4arch9wavefront6targetE0EEEvSH_.has_indirect_call, 0
	.section	.AMDGPU.csdata,"",@progbits
; Kernel info:
; codeLenInByte = 0
; TotalNumSgprs: 0
; NumVgprs: 0
; ScratchSize: 0
; MemoryBound: 0
; FloatMode: 240
; IeeeMode: 1
; LDSByteSize: 0 bytes/workgroup (compile time only)
; SGPRBlocks: 0
; VGPRBlocks: 0
; NumSGPRsForWavesPerEU: 1
; NumVGPRsForWavesPerEU: 1
; NamedBarCnt: 0
; Occupancy: 16
; WaveLimiterHint : 0
; COMPUTE_PGM_RSRC2:SCRATCH_EN: 0
; COMPUTE_PGM_RSRC2:USER_SGPR: 2
; COMPUTE_PGM_RSRC2:TRAP_HANDLER: 0
; COMPUTE_PGM_RSRC2:TGID_X_EN: 1
; COMPUTE_PGM_RSRC2:TGID_Y_EN: 0
; COMPUTE_PGM_RSRC2:TGID_Z_EN: 0
; COMPUTE_PGM_RSRC2:TIDIG_COMP_CNT: 0
	.section	.text._ZN7rocprim17ROCPRIM_400000_NS6detail17trampoline_kernelINS0_14default_configENS1_35radix_sort_onesweep_config_selectorI12hip_bfloat16NS0_10empty_typeEEEZZNS1_29radix_sort_onesweep_iterationIS3_Lb0EPKS5_PS5_PS6_SC_mNS0_19identity_decomposerENS1_16block_id_wrapperIjLb0EEEEE10hipError_tT1_PNSt15iterator_traitsISH_E10value_typeET2_T3_PNSI_ISN_E10value_typeET4_T5_PSS_ST_PNS1_23onesweep_lookback_stateEbbT6_jjT7_P12ihipStream_tbENKUlT_T0_SH_SM_E_clISB_SB_SC_SC_EEDaS10_S11_SH_SM_EUlS10_E_NS1_11comp_targetILNS1_3genE10ELNS1_11target_archE1201ELNS1_3gpuE5ELNS1_3repE0EEENS1_47radix_sort_onesweep_sort_config_static_selectorELNS0_4arch9wavefront6targetE0EEEvSH_,"axG",@progbits,_ZN7rocprim17ROCPRIM_400000_NS6detail17trampoline_kernelINS0_14default_configENS1_35radix_sort_onesweep_config_selectorI12hip_bfloat16NS0_10empty_typeEEEZZNS1_29radix_sort_onesweep_iterationIS3_Lb0EPKS5_PS5_PS6_SC_mNS0_19identity_decomposerENS1_16block_id_wrapperIjLb0EEEEE10hipError_tT1_PNSt15iterator_traitsISH_E10value_typeET2_T3_PNSI_ISN_E10value_typeET4_T5_PSS_ST_PNS1_23onesweep_lookback_stateEbbT6_jjT7_P12ihipStream_tbENKUlT_T0_SH_SM_E_clISB_SB_SC_SC_EEDaS10_S11_SH_SM_EUlS10_E_NS1_11comp_targetILNS1_3genE10ELNS1_11target_archE1201ELNS1_3gpuE5ELNS1_3repE0EEENS1_47radix_sort_onesweep_sort_config_static_selectorELNS0_4arch9wavefront6targetE0EEEvSH_,comdat
	.protected	_ZN7rocprim17ROCPRIM_400000_NS6detail17trampoline_kernelINS0_14default_configENS1_35radix_sort_onesweep_config_selectorI12hip_bfloat16NS0_10empty_typeEEEZZNS1_29radix_sort_onesweep_iterationIS3_Lb0EPKS5_PS5_PS6_SC_mNS0_19identity_decomposerENS1_16block_id_wrapperIjLb0EEEEE10hipError_tT1_PNSt15iterator_traitsISH_E10value_typeET2_T3_PNSI_ISN_E10value_typeET4_T5_PSS_ST_PNS1_23onesweep_lookback_stateEbbT6_jjT7_P12ihipStream_tbENKUlT_T0_SH_SM_E_clISB_SB_SC_SC_EEDaS10_S11_SH_SM_EUlS10_E_NS1_11comp_targetILNS1_3genE10ELNS1_11target_archE1201ELNS1_3gpuE5ELNS1_3repE0EEENS1_47radix_sort_onesweep_sort_config_static_selectorELNS0_4arch9wavefront6targetE0EEEvSH_ ; -- Begin function _ZN7rocprim17ROCPRIM_400000_NS6detail17trampoline_kernelINS0_14default_configENS1_35radix_sort_onesweep_config_selectorI12hip_bfloat16NS0_10empty_typeEEEZZNS1_29radix_sort_onesweep_iterationIS3_Lb0EPKS5_PS5_PS6_SC_mNS0_19identity_decomposerENS1_16block_id_wrapperIjLb0EEEEE10hipError_tT1_PNSt15iterator_traitsISH_E10value_typeET2_T3_PNSI_ISN_E10value_typeET4_T5_PSS_ST_PNS1_23onesweep_lookback_stateEbbT6_jjT7_P12ihipStream_tbENKUlT_T0_SH_SM_E_clISB_SB_SC_SC_EEDaS10_S11_SH_SM_EUlS10_E_NS1_11comp_targetILNS1_3genE10ELNS1_11target_archE1201ELNS1_3gpuE5ELNS1_3repE0EEENS1_47radix_sort_onesweep_sort_config_static_selectorELNS0_4arch9wavefront6targetE0EEEvSH_
	.globl	_ZN7rocprim17ROCPRIM_400000_NS6detail17trampoline_kernelINS0_14default_configENS1_35radix_sort_onesweep_config_selectorI12hip_bfloat16NS0_10empty_typeEEEZZNS1_29radix_sort_onesweep_iterationIS3_Lb0EPKS5_PS5_PS6_SC_mNS0_19identity_decomposerENS1_16block_id_wrapperIjLb0EEEEE10hipError_tT1_PNSt15iterator_traitsISH_E10value_typeET2_T3_PNSI_ISN_E10value_typeET4_T5_PSS_ST_PNS1_23onesweep_lookback_stateEbbT6_jjT7_P12ihipStream_tbENKUlT_T0_SH_SM_E_clISB_SB_SC_SC_EEDaS10_S11_SH_SM_EUlS10_E_NS1_11comp_targetILNS1_3genE10ELNS1_11target_archE1201ELNS1_3gpuE5ELNS1_3repE0EEENS1_47radix_sort_onesweep_sort_config_static_selectorELNS0_4arch9wavefront6targetE0EEEvSH_
	.p2align	8
	.type	_ZN7rocprim17ROCPRIM_400000_NS6detail17trampoline_kernelINS0_14default_configENS1_35radix_sort_onesweep_config_selectorI12hip_bfloat16NS0_10empty_typeEEEZZNS1_29radix_sort_onesweep_iterationIS3_Lb0EPKS5_PS5_PS6_SC_mNS0_19identity_decomposerENS1_16block_id_wrapperIjLb0EEEEE10hipError_tT1_PNSt15iterator_traitsISH_E10value_typeET2_T3_PNSI_ISN_E10value_typeET4_T5_PSS_ST_PNS1_23onesweep_lookback_stateEbbT6_jjT7_P12ihipStream_tbENKUlT_T0_SH_SM_E_clISB_SB_SC_SC_EEDaS10_S11_SH_SM_EUlS10_E_NS1_11comp_targetILNS1_3genE10ELNS1_11target_archE1201ELNS1_3gpuE5ELNS1_3repE0EEENS1_47radix_sort_onesweep_sort_config_static_selectorELNS0_4arch9wavefront6targetE0EEEvSH_,@function
_ZN7rocprim17ROCPRIM_400000_NS6detail17trampoline_kernelINS0_14default_configENS1_35radix_sort_onesweep_config_selectorI12hip_bfloat16NS0_10empty_typeEEEZZNS1_29radix_sort_onesweep_iterationIS3_Lb0EPKS5_PS5_PS6_SC_mNS0_19identity_decomposerENS1_16block_id_wrapperIjLb0EEEEE10hipError_tT1_PNSt15iterator_traitsISH_E10value_typeET2_T3_PNSI_ISN_E10value_typeET4_T5_PSS_ST_PNS1_23onesweep_lookback_stateEbbT6_jjT7_P12ihipStream_tbENKUlT_T0_SH_SM_E_clISB_SB_SC_SC_EEDaS10_S11_SH_SM_EUlS10_E_NS1_11comp_targetILNS1_3genE10ELNS1_11target_archE1201ELNS1_3gpuE5ELNS1_3repE0EEENS1_47radix_sort_onesweep_sort_config_static_selectorELNS0_4arch9wavefront6targetE0EEEvSH_: ; @_ZN7rocprim17ROCPRIM_400000_NS6detail17trampoline_kernelINS0_14default_configENS1_35radix_sort_onesweep_config_selectorI12hip_bfloat16NS0_10empty_typeEEEZZNS1_29radix_sort_onesweep_iterationIS3_Lb0EPKS5_PS5_PS6_SC_mNS0_19identity_decomposerENS1_16block_id_wrapperIjLb0EEEEE10hipError_tT1_PNSt15iterator_traitsISH_E10value_typeET2_T3_PNSI_ISN_E10value_typeET4_T5_PSS_ST_PNS1_23onesweep_lookback_stateEbbT6_jjT7_P12ihipStream_tbENKUlT_T0_SH_SM_E_clISB_SB_SC_SC_EEDaS10_S11_SH_SM_EUlS10_E_NS1_11comp_targetILNS1_3genE10ELNS1_11target_archE1201ELNS1_3gpuE5ELNS1_3repE0EEENS1_47radix_sort_onesweep_sort_config_static_selectorELNS0_4arch9wavefront6targetE0EEEvSH_
; %bb.0:
	.section	.rodata,"a",@progbits
	.p2align	6, 0x0
	.amdhsa_kernel _ZN7rocprim17ROCPRIM_400000_NS6detail17trampoline_kernelINS0_14default_configENS1_35radix_sort_onesweep_config_selectorI12hip_bfloat16NS0_10empty_typeEEEZZNS1_29radix_sort_onesweep_iterationIS3_Lb0EPKS5_PS5_PS6_SC_mNS0_19identity_decomposerENS1_16block_id_wrapperIjLb0EEEEE10hipError_tT1_PNSt15iterator_traitsISH_E10value_typeET2_T3_PNSI_ISN_E10value_typeET4_T5_PSS_ST_PNS1_23onesweep_lookback_stateEbbT6_jjT7_P12ihipStream_tbENKUlT_T0_SH_SM_E_clISB_SB_SC_SC_EEDaS10_S11_SH_SM_EUlS10_E_NS1_11comp_targetILNS1_3genE10ELNS1_11target_archE1201ELNS1_3gpuE5ELNS1_3repE0EEENS1_47radix_sort_onesweep_sort_config_static_selectorELNS0_4arch9wavefront6targetE0EEEvSH_
		.amdhsa_group_segment_fixed_size 0
		.amdhsa_private_segment_fixed_size 0
		.amdhsa_kernarg_size 88
		.amdhsa_user_sgpr_count 2
		.amdhsa_user_sgpr_dispatch_ptr 0
		.amdhsa_user_sgpr_queue_ptr 0
		.amdhsa_user_sgpr_kernarg_segment_ptr 1
		.amdhsa_user_sgpr_dispatch_id 0
		.amdhsa_user_sgpr_kernarg_preload_length 0
		.amdhsa_user_sgpr_kernarg_preload_offset 0
		.amdhsa_user_sgpr_private_segment_size 0
		.amdhsa_wavefront_size32 1
		.amdhsa_uses_dynamic_stack 0
		.amdhsa_enable_private_segment 0
		.amdhsa_system_sgpr_workgroup_id_x 1
		.amdhsa_system_sgpr_workgroup_id_y 0
		.amdhsa_system_sgpr_workgroup_id_z 0
		.amdhsa_system_sgpr_workgroup_info 0
		.amdhsa_system_vgpr_workitem_id 0
		.amdhsa_next_free_vgpr 1
		.amdhsa_next_free_sgpr 1
		.amdhsa_named_barrier_count 0
		.amdhsa_reserve_vcc 0
		.amdhsa_float_round_mode_32 0
		.amdhsa_float_round_mode_16_64 0
		.amdhsa_float_denorm_mode_32 3
		.amdhsa_float_denorm_mode_16_64 3
		.amdhsa_fp16_overflow 0
		.amdhsa_memory_ordered 1
		.amdhsa_forward_progress 1
		.amdhsa_inst_pref_size 0
		.amdhsa_round_robin_scheduling 0
		.amdhsa_exception_fp_ieee_invalid_op 0
		.amdhsa_exception_fp_denorm_src 0
		.amdhsa_exception_fp_ieee_div_zero 0
		.amdhsa_exception_fp_ieee_overflow 0
		.amdhsa_exception_fp_ieee_underflow 0
		.amdhsa_exception_fp_ieee_inexact 0
		.amdhsa_exception_int_div_zero 0
	.end_amdhsa_kernel
	.section	.text._ZN7rocprim17ROCPRIM_400000_NS6detail17trampoline_kernelINS0_14default_configENS1_35radix_sort_onesweep_config_selectorI12hip_bfloat16NS0_10empty_typeEEEZZNS1_29radix_sort_onesweep_iterationIS3_Lb0EPKS5_PS5_PS6_SC_mNS0_19identity_decomposerENS1_16block_id_wrapperIjLb0EEEEE10hipError_tT1_PNSt15iterator_traitsISH_E10value_typeET2_T3_PNSI_ISN_E10value_typeET4_T5_PSS_ST_PNS1_23onesweep_lookback_stateEbbT6_jjT7_P12ihipStream_tbENKUlT_T0_SH_SM_E_clISB_SB_SC_SC_EEDaS10_S11_SH_SM_EUlS10_E_NS1_11comp_targetILNS1_3genE10ELNS1_11target_archE1201ELNS1_3gpuE5ELNS1_3repE0EEENS1_47radix_sort_onesweep_sort_config_static_selectorELNS0_4arch9wavefront6targetE0EEEvSH_,"axG",@progbits,_ZN7rocprim17ROCPRIM_400000_NS6detail17trampoline_kernelINS0_14default_configENS1_35radix_sort_onesweep_config_selectorI12hip_bfloat16NS0_10empty_typeEEEZZNS1_29radix_sort_onesweep_iterationIS3_Lb0EPKS5_PS5_PS6_SC_mNS0_19identity_decomposerENS1_16block_id_wrapperIjLb0EEEEE10hipError_tT1_PNSt15iterator_traitsISH_E10value_typeET2_T3_PNSI_ISN_E10value_typeET4_T5_PSS_ST_PNS1_23onesweep_lookback_stateEbbT6_jjT7_P12ihipStream_tbENKUlT_T0_SH_SM_E_clISB_SB_SC_SC_EEDaS10_S11_SH_SM_EUlS10_E_NS1_11comp_targetILNS1_3genE10ELNS1_11target_archE1201ELNS1_3gpuE5ELNS1_3repE0EEENS1_47radix_sort_onesweep_sort_config_static_selectorELNS0_4arch9wavefront6targetE0EEEvSH_,comdat
.Lfunc_end2084:
	.size	_ZN7rocprim17ROCPRIM_400000_NS6detail17trampoline_kernelINS0_14default_configENS1_35radix_sort_onesweep_config_selectorI12hip_bfloat16NS0_10empty_typeEEEZZNS1_29radix_sort_onesweep_iterationIS3_Lb0EPKS5_PS5_PS6_SC_mNS0_19identity_decomposerENS1_16block_id_wrapperIjLb0EEEEE10hipError_tT1_PNSt15iterator_traitsISH_E10value_typeET2_T3_PNSI_ISN_E10value_typeET4_T5_PSS_ST_PNS1_23onesweep_lookback_stateEbbT6_jjT7_P12ihipStream_tbENKUlT_T0_SH_SM_E_clISB_SB_SC_SC_EEDaS10_S11_SH_SM_EUlS10_E_NS1_11comp_targetILNS1_3genE10ELNS1_11target_archE1201ELNS1_3gpuE5ELNS1_3repE0EEENS1_47radix_sort_onesweep_sort_config_static_selectorELNS0_4arch9wavefront6targetE0EEEvSH_, .Lfunc_end2084-_ZN7rocprim17ROCPRIM_400000_NS6detail17trampoline_kernelINS0_14default_configENS1_35radix_sort_onesweep_config_selectorI12hip_bfloat16NS0_10empty_typeEEEZZNS1_29radix_sort_onesweep_iterationIS3_Lb0EPKS5_PS5_PS6_SC_mNS0_19identity_decomposerENS1_16block_id_wrapperIjLb0EEEEE10hipError_tT1_PNSt15iterator_traitsISH_E10value_typeET2_T3_PNSI_ISN_E10value_typeET4_T5_PSS_ST_PNS1_23onesweep_lookback_stateEbbT6_jjT7_P12ihipStream_tbENKUlT_T0_SH_SM_E_clISB_SB_SC_SC_EEDaS10_S11_SH_SM_EUlS10_E_NS1_11comp_targetILNS1_3genE10ELNS1_11target_archE1201ELNS1_3gpuE5ELNS1_3repE0EEENS1_47radix_sort_onesweep_sort_config_static_selectorELNS0_4arch9wavefront6targetE0EEEvSH_
                                        ; -- End function
	.set _ZN7rocprim17ROCPRIM_400000_NS6detail17trampoline_kernelINS0_14default_configENS1_35radix_sort_onesweep_config_selectorI12hip_bfloat16NS0_10empty_typeEEEZZNS1_29radix_sort_onesweep_iterationIS3_Lb0EPKS5_PS5_PS6_SC_mNS0_19identity_decomposerENS1_16block_id_wrapperIjLb0EEEEE10hipError_tT1_PNSt15iterator_traitsISH_E10value_typeET2_T3_PNSI_ISN_E10value_typeET4_T5_PSS_ST_PNS1_23onesweep_lookback_stateEbbT6_jjT7_P12ihipStream_tbENKUlT_T0_SH_SM_E_clISB_SB_SC_SC_EEDaS10_S11_SH_SM_EUlS10_E_NS1_11comp_targetILNS1_3genE10ELNS1_11target_archE1201ELNS1_3gpuE5ELNS1_3repE0EEENS1_47radix_sort_onesweep_sort_config_static_selectorELNS0_4arch9wavefront6targetE0EEEvSH_.num_vgpr, 0
	.set _ZN7rocprim17ROCPRIM_400000_NS6detail17trampoline_kernelINS0_14default_configENS1_35radix_sort_onesweep_config_selectorI12hip_bfloat16NS0_10empty_typeEEEZZNS1_29radix_sort_onesweep_iterationIS3_Lb0EPKS5_PS5_PS6_SC_mNS0_19identity_decomposerENS1_16block_id_wrapperIjLb0EEEEE10hipError_tT1_PNSt15iterator_traitsISH_E10value_typeET2_T3_PNSI_ISN_E10value_typeET4_T5_PSS_ST_PNS1_23onesweep_lookback_stateEbbT6_jjT7_P12ihipStream_tbENKUlT_T0_SH_SM_E_clISB_SB_SC_SC_EEDaS10_S11_SH_SM_EUlS10_E_NS1_11comp_targetILNS1_3genE10ELNS1_11target_archE1201ELNS1_3gpuE5ELNS1_3repE0EEENS1_47radix_sort_onesweep_sort_config_static_selectorELNS0_4arch9wavefront6targetE0EEEvSH_.num_agpr, 0
	.set _ZN7rocprim17ROCPRIM_400000_NS6detail17trampoline_kernelINS0_14default_configENS1_35radix_sort_onesweep_config_selectorI12hip_bfloat16NS0_10empty_typeEEEZZNS1_29radix_sort_onesweep_iterationIS3_Lb0EPKS5_PS5_PS6_SC_mNS0_19identity_decomposerENS1_16block_id_wrapperIjLb0EEEEE10hipError_tT1_PNSt15iterator_traitsISH_E10value_typeET2_T3_PNSI_ISN_E10value_typeET4_T5_PSS_ST_PNS1_23onesweep_lookback_stateEbbT6_jjT7_P12ihipStream_tbENKUlT_T0_SH_SM_E_clISB_SB_SC_SC_EEDaS10_S11_SH_SM_EUlS10_E_NS1_11comp_targetILNS1_3genE10ELNS1_11target_archE1201ELNS1_3gpuE5ELNS1_3repE0EEENS1_47radix_sort_onesweep_sort_config_static_selectorELNS0_4arch9wavefront6targetE0EEEvSH_.numbered_sgpr, 0
	.set _ZN7rocprim17ROCPRIM_400000_NS6detail17trampoline_kernelINS0_14default_configENS1_35radix_sort_onesweep_config_selectorI12hip_bfloat16NS0_10empty_typeEEEZZNS1_29radix_sort_onesweep_iterationIS3_Lb0EPKS5_PS5_PS6_SC_mNS0_19identity_decomposerENS1_16block_id_wrapperIjLb0EEEEE10hipError_tT1_PNSt15iterator_traitsISH_E10value_typeET2_T3_PNSI_ISN_E10value_typeET4_T5_PSS_ST_PNS1_23onesweep_lookback_stateEbbT6_jjT7_P12ihipStream_tbENKUlT_T0_SH_SM_E_clISB_SB_SC_SC_EEDaS10_S11_SH_SM_EUlS10_E_NS1_11comp_targetILNS1_3genE10ELNS1_11target_archE1201ELNS1_3gpuE5ELNS1_3repE0EEENS1_47radix_sort_onesweep_sort_config_static_selectorELNS0_4arch9wavefront6targetE0EEEvSH_.num_named_barrier, 0
	.set _ZN7rocprim17ROCPRIM_400000_NS6detail17trampoline_kernelINS0_14default_configENS1_35radix_sort_onesweep_config_selectorI12hip_bfloat16NS0_10empty_typeEEEZZNS1_29radix_sort_onesweep_iterationIS3_Lb0EPKS5_PS5_PS6_SC_mNS0_19identity_decomposerENS1_16block_id_wrapperIjLb0EEEEE10hipError_tT1_PNSt15iterator_traitsISH_E10value_typeET2_T3_PNSI_ISN_E10value_typeET4_T5_PSS_ST_PNS1_23onesweep_lookback_stateEbbT6_jjT7_P12ihipStream_tbENKUlT_T0_SH_SM_E_clISB_SB_SC_SC_EEDaS10_S11_SH_SM_EUlS10_E_NS1_11comp_targetILNS1_3genE10ELNS1_11target_archE1201ELNS1_3gpuE5ELNS1_3repE0EEENS1_47radix_sort_onesweep_sort_config_static_selectorELNS0_4arch9wavefront6targetE0EEEvSH_.private_seg_size, 0
	.set _ZN7rocprim17ROCPRIM_400000_NS6detail17trampoline_kernelINS0_14default_configENS1_35radix_sort_onesweep_config_selectorI12hip_bfloat16NS0_10empty_typeEEEZZNS1_29radix_sort_onesweep_iterationIS3_Lb0EPKS5_PS5_PS6_SC_mNS0_19identity_decomposerENS1_16block_id_wrapperIjLb0EEEEE10hipError_tT1_PNSt15iterator_traitsISH_E10value_typeET2_T3_PNSI_ISN_E10value_typeET4_T5_PSS_ST_PNS1_23onesweep_lookback_stateEbbT6_jjT7_P12ihipStream_tbENKUlT_T0_SH_SM_E_clISB_SB_SC_SC_EEDaS10_S11_SH_SM_EUlS10_E_NS1_11comp_targetILNS1_3genE10ELNS1_11target_archE1201ELNS1_3gpuE5ELNS1_3repE0EEENS1_47radix_sort_onesweep_sort_config_static_selectorELNS0_4arch9wavefront6targetE0EEEvSH_.uses_vcc, 0
	.set _ZN7rocprim17ROCPRIM_400000_NS6detail17trampoline_kernelINS0_14default_configENS1_35radix_sort_onesweep_config_selectorI12hip_bfloat16NS0_10empty_typeEEEZZNS1_29radix_sort_onesweep_iterationIS3_Lb0EPKS5_PS5_PS6_SC_mNS0_19identity_decomposerENS1_16block_id_wrapperIjLb0EEEEE10hipError_tT1_PNSt15iterator_traitsISH_E10value_typeET2_T3_PNSI_ISN_E10value_typeET4_T5_PSS_ST_PNS1_23onesweep_lookback_stateEbbT6_jjT7_P12ihipStream_tbENKUlT_T0_SH_SM_E_clISB_SB_SC_SC_EEDaS10_S11_SH_SM_EUlS10_E_NS1_11comp_targetILNS1_3genE10ELNS1_11target_archE1201ELNS1_3gpuE5ELNS1_3repE0EEENS1_47radix_sort_onesweep_sort_config_static_selectorELNS0_4arch9wavefront6targetE0EEEvSH_.uses_flat_scratch, 0
	.set _ZN7rocprim17ROCPRIM_400000_NS6detail17trampoline_kernelINS0_14default_configENS1_35radix_sort_onesweep_config_selectorI12hip_bfloat16NS0_10empty_typeEEEZZNS1_29radix_sort_onesweep_iterationIS3_Lb0EPKS5_PS5_PS6_SC_mNS0_19identity_decomposerENS1_16block_id_wrapperIjLb0EEEEE10hipError_tT1_PNSt15iterator_traitsISH_E10value_typeET2_T3_PNSI_ISN_E10value_typeET4_T5_PSS_ST_PNS1_23onesweep_lookback_stateEbbT6_jjT7_P12ihipStream_tbENKUlT_T0_SH_SM_E_clISB_SB_SC_SC_EEDaS10_S11_SH_SM_EUlS10_E_NS1_11comp_targetILNS1_3genE10ELNS1_11target_archE1201ELNS1_3gpuE5ELNS1_3repE0EEENS1_47radix_sort_onesweep_sort_config_static_selectorELNS0_4arch9wavefront6targetE0EEEvSH_.has_dyn_sized_stack, 0
	.set _ZN7rocprim17ROCPRIM_400000_NS6detail17trampoline_kernelINS0_14default_configENS1_35radix_sort_onesweep_config_selectorI12hip_bfloat16NS0_10empty_typeEEEZZNS1_29radix_sort_onesweep_iterationIS3_Lb0EPKS5_PS5_PS6_SC_mNS0_19identity_decomposerENS1_16block_id_wrapperIjLb0EEEEE10hipError_tT1_PNSt15iterator_traitsISH_E10value_typeET2_T3_PNSI_ISN_E10value_typeET4_T5_PSS_ST_PNS1_23onesweep_lookback_stateEbbT6_jjT7_P12ihipStream_tbENKUlT_T0_SH_SM_E_clISB_SB_SC_SC_EEDaS10_S11_SH_SM_EUlS10_E_NS1_11comp_targetILNS1_3genE10ELNS1_11target_archE1201ELNS1_3gpuE5ELNS1_3repE0EEENS1_47radix_sort_onesweep_sort_config_static_selectorELNS0_4arch9wavefront6targetE0EEEvSH_.has_recursion, 0
	.set _ZN7rocprim17ROCPRIM_400000_NS6detail17trampoline_kernelINS0_14default_configENS1_35radix_sort_onesweep_config_selectorI12hip_bfloat16NS0_10empty_typeEEEZZNS1_29radix_sort_onesweep_iterationIS3_Lb0EPKS5_PS5_PS6_SC_mNS0_19identity_decomposerENS1_16block_id_wrapperIjLb0EEEEE10hipError_tT1_PNSt15iterator_traitsISH_E10value_typeET2_T3_PNSI_ISN_E10value_typeET4_T5_PSS_ST_PNS1_23onesweep_lookback_stateEbbT6_jjT7_P12ihipStream_tbENKUlT_T0_SH_SM_E_clISB_SB_SC_SC_EEDaS10_S11_SH_SM_EUlS10_E_NS1_11comp_targetILNS1_3genE10ELNS1_11target_archE1201ELNS1_3gpuE5ELNS1_3repE0EEENS1_47radix_sort_onesweep_sort_config_static_selectorELNS0_4arch9wavefront6targetE0EEEvSH_.has_indirect_call, 0
	.section	.AMDGPU.csdata,"",@progbits
; Kernel info:
; codeLenInByte = 0
; TotalNumSgprs: 0
; NumVgprs: 0
; ScratchSize: 0
; MemoryBound: 0
; FloatMode: 240
; IeeeMode: 1
; LDSByteSize: 0 bytes/workgroup (compile time only)
; SGPRBlocks: 0
; VGPRBlocks: 0
; NumSGPRsForWavesPerEU: 1
; NumVGPRsForWavesPerEU: 1
; NamedBarCnt: 0
; Occupancy: 16
; WaveLimiterHint : 0
; COMPUTE_PGM_RSRC2:SCRATCH_EN: 0
; COMPUTE_PGM_RSRC2:USER_SGPR: 2
; COMPUTE_PGM_RSRC2:TRAP_HANDLER: 0
; COMPUTE_PGM_RSRC2:TGID_X_EN: 1
; COMPUTE_PGM_RSRC2:TGID_Y_EN: 0
; COMPUTE_PGM_RSRC2:TGID_Z_EN: 0
; COMPUTE_PGM_RSRC2:TIDIG_COMP_CNT: 0
	.section	.text._ZN7rocprim17ROCPRIM_400000_NS6detail17trampoline_kernelINS0_14default_configENS1_35radix_sort_onesweep_config_selectorI12hip_bfloat16NS0_10empty_typeEEEZZNS1_29radix_sort_onesweep_iterationIS3_Lb0EPKS5_PS5_PS6_SC_mNS0_19identity_decomposerENS1_16block_id_wrapperIjLb0EEEEE10hipError_tT1_PNSt15iterator_traitsISH_E10value_typeET2_T3_PNSI_ISN_E10value_typeET4_T5_PSS_ST_PNS1_23onesweep_lookback_stateEbbT6_jjT7_P12ihipStream_tbENKUlT_T0_SH_SM_E_clISB_SB_SC_SC_EEDaS10_S11_SH_SM_EUlS10_E_NS1_11comp_targetILNS1_3genE9ELNS1_11target_archE1100ELNS1_3gpuE3ELNS1_3repE0EEENS1_47radix_sort_onesweep_sort_config_static_selectorELNS0_4arch9wavefront6targetE0EEEvSH_,"axG",@progbits,_ZN7rocprim17ROCPRIM_400000_NS6detail17trampoline_kernelINS0_14default_configENS1_35radix_sort_onesweep_config_selectorI12hip_bfloat16NS0_10empty_typeEEEZZNS1_29radix_sort_onesweep_iterationIS3_Lb0EPKS5_PS5_PS6_SC_mNS0_19identity_decomposerENS1_16block_id_wrapperIjLb0EEEEE10hipError_tT1_PNSt15iterator_traitsISH_E10value_typeET2_T3_PNSI_ISN_E10value_typeET4_T5_PSS_ST_PNS1_23onesweep_lookback_stateEbbT6_jjT7_P12ihipStream_tbENKUlT_T0_SH_SM_E_clISB_SB_SC_SC_EEDaS10_S11_SH_SM_EUlS10_E_NS1_11comp_targetILNS1_3genE9ELNS1_11target_archE1100ELNS1_3gpuE3ELNS1_3repE0EEENS1_47radix_sort_onesweep_sort_config_static_selectorELNS0_4arch9wavefront6targetE0EEEvSH_,comdat
	.protected	_ZN7rocprim17ROCPRIM_400000_NS6detail17trampoline_kernelINS0_14default_configENS1_35radix_sort_onesweep_config_selectorI12hip_bfloat16NS0_10empty_typeEEEZZNS1_29radix_sort_onesweep_iterationIS3_Lb0EPKS5_PS5_PS6_SC_mNS0_19identity_decomposerENS1_16block_id_wrapperIjLb0EEEEE10hipError_tT1_PNSt15iterator_traitsISH_E10value_typeET2_T3_PNSI_ISN_E10value_typeET4_T5_PSS_ST_PNS1_23onesweep_lookback_stateEbbT6_jjT7_P12ihipStream_tbENKUlT_T0_SH_SM_E_clISB_SB_SC_SC_EEDaS10_S11_SH_SM_EUlS10_E_NS1_11comp_targetILNS1_3genE9ELNS1_11target_archE1100ELNS1_3gpuE3ELNS1_3repE0EEENS1_47radix_sort_onesweep_sort_config_static_selectorELNS0_4arch9wavefront6targetE0EEEvSH_ ; -- Begin function _ZN7rocprim17ROCPRIM_400000_NS6detail17trampoline_kernelINS0_14default_configENS1_35radix_sort_onesweep_config_selectorI12hip_bfloat16NS0_10empty_typeEEEZZNS1_29radix_sort_onesweep_iterationIS3_Lb0EPKS5_PS5_PS6_SC_mNS0_19identity_decomposerENS1_16block_id_wrapperIjLb0EEEEE10hipError_tT1_PNSt15iterator_traitsISH_E10value_typeET2_T3_PNSI_ISN_E10value_typeET4_T5_PSS_ST_PNS1_23onesweep_lookback_stateEbbT6_jjT7_P12ihipStream_tbENKUlT_T0_SH_SM_E_clISB_SB_SC_SC_EEDaS10_S11_SH_SM_EUlS10_E_NS1_11comp_targetILNS1_3genE9ELNS1_11target_archE1100ELNS1_3gpuE3ELNS1_3repE0EEENS1_47radix_sort_onesweep_sort_config_static_selectorELNS0_4arch9wavefront6targetE0EEEvSH_
	.globl	_ZN7rocprim17ROCPRIM_400000_NS6detail17trampoline_kernelINS0_14default_configENS1_35radix_sort_onesweep_config_selectorI12hip_bfloat16NS0_10empty_typeEEEZZNS1_29radix_sort_onesweep_iterationIS3_Lb0EPKS5_PS5_PS6_SC_mNS0_19identity_decomposerENS1_16block_id_wrapperIjLb0EEEEE10hipError_tT1_PNSt15iterator_traitsISH_E10value_typeET2_T3_PNSI_ISN_E10value_typeET4_T5_PSS_ST_PNS1_23onesweep_lookback_stateEbbT6_jjT7_P12ihipStream_tbENKUlT_T0_SH_SM_E_clISB_SB_SC_SC_EEDaS10_S11_SH_SM_EUlS10_E_NS1_11comp_targetILNS1_3genE9ELNS1_11target_archE1100ELNS1_3gpuE3ELNS1_3repE0EEENS1_47radix_sort_onesweep_sort_config_static_selectorELNS0_4arch9wavefront6targetE0EEEvSH_
	.p2align	8
	.type	_ZN7rocprim17ROCPRIM_400000_NS6detail17trampoline_kernelINS0_14default_configENS1_35radix_sort_onesweep_config_selectorI12hip_bfloat16NS0_10empty_typeEEEZZNS1_29radix_sort_onesweep_iterationIS3_Lb0EPKS5_PS5_PS6_SC_mNS0_19identity_decomposerENS1_16block_id_wrapperIjLb0EEEEE10hipError_tT1_PNSt15iterator_traitsISH_E10value_typeET2_T3_PNSI_ISN_E10value_typeET4_T5_PSS_ST_PNS1_23onesweep_lookback_stateEbbT6_jjT7_P12ihipStream_tbENKUlT_T0_SH_SM_E_clISB_SB_SC_SC_EEDaS10_S11_SH_SM_EUlS10_E_NS1_11comp_targetILNS1_3genE9ELNS1_11target_archE1100ELNS1_3gpuE3ELNS1_3repE0EEENS1_47radix_sort_onesweep_sort_config_static_selectorELNS0_4arch9wavefront6targetE0EEEvSH_,@function
_ZN7rocprim17ROCPRIM_400000_NS6detail17trampoline_kernelINS0_14default_configENS1_35radix_sort_onesweep_config_selectorI12hip_bfloat16NS0_10empty_typeEEEZZNS1_29radix_sort_onesweep_iterationIS3_Lb0EPKS5_PS5_PS6_SC_mNS0_19identity_decomposerENS1_16block_id_wrapperIjLb0EEEEE10hipError_tT1_PNSt15iterator_traitsISH_E10value_typeET2_T3_PNSI_ISN_E10value_typeET4_T5_PSS_ST_PNS1_23onesweep_lookback_stateEbbT6_jjT7_P12ihipStream_tbENKUlT_T0_SH_SM_E_clISB_SB_SC_SC_EEDaS10_S11_SH_SM_EUlS10_E_NS1_11comp_targetILNS1_3genE9ELNS1_11target_archE1100ELNS1_3gpuE3ELNS1_3repE0EEENS1_47radix_sort_onesweep_sort_config_static_selectorELNS0_4arch9wavefront6targetE0EEEvSH_: ; @_ZN7rocprim17ROCPRIM_400000_NS6detail17trampoline_kernelINS0_14default_configENS1_35radix_sort_onesweep_config_selectorI12hip_bfloat16NS0_10empty_typeEEEZZNS1_29radix_sort_onesweep_iterationIS3_Lb0EPKS5_PS5_PS6_SC_mNS0_19identity_decomposerENS1_16block_id_wrapperIjLb0EEEEE10hipError_tT1_PNSt15iterator_traitsISH_E10value_typeET2_T3_PNSI_ISN_E10value_typeET4_T5_PSS_ST_PNS1_23onesweep_lookback_stateEbbT6_jjT7_P12ihipStream_tbENKUlT_T0_SH_SM_E_clISB_SB_SC_SC_EEDaS10_S11_SH_SM_EUlS10_E_NS1_11comp_targetILNS1_3genE9ELNS1_11target_archE1100ELNS1_3gpuE3ELNS1_3repE0EEENS1_47radix_sort_onesweep_sort_config_static_selectorELNS0_4arch9wavefront6targetE0EEEvSH_
; %bb.0:
	.section	.rodata,"a",@progbits
	.p2align	6, 0x0
	.amdhsa_kernel _ZN7rocprim17ROCPRIM_400000_NS6detail17trampoline_kernelINS0_14default_configENS1_35radix_sort_onesweep_config_selectorI12hip_bfloat16NS0_10empty_typeEEEZZNS1_29radix_sort_onesweep_iterationIS3_Lb0EPKS5_PS5_PS6_SC_mNS0_19identity_decomposerENS1_16block_id_wrapperIjLb0EEEEE10hipError_tT1_PNSt15iterator_traitsISH_E10value_typeET2_T3_PNSI_ISN_E10value_typeET4_T5_PSS_ST_PNS1_23onesweep_lookback_stateEbbT6_jjT7_P12ihipStream_tbENKUlT_T0_SH_SM_E_clISB_SB_SC_SC_EEDaS10_S11_SH_SM_EUlS10_E_NS1_11comp_targetILNS1_3genE9ELNS1_11target_archE1100ELNS1_3gpuE3ELNS1_3repE0EEENS1_47radix_sort_onesweep_sort_config_static_selectorELNS0_4arch9wavefront6targetE0EEEvSH_
		.amdhsa_group_segment_fixed_size 0
		.amdhsa_private_segment_fixed_size 0
		.amdhsa_kernarg_size 88
		.amdhsa_user_sgpr_count 2
		.amdhsa_user_sgpr_dispatch_ptr 0
		.amdhsa_user_sgpr_queue_ptr 0
		.amdhsa_user_sgpr_kernarg_segment_ptr 1
		.amdhsa_user_sgpr_dispatch_id 0
		.amdhsa_user_sgpr_kernarg_preload_length 0
		.amdhsa_user_sgpr_kernarg_preload_offset 0
		.amdhsa_user_sgpr_private_segment_size 0
		.amdhsa_wavefront_size32 1
		.amdhsa_uses_dynamic_stack 0
		.amdhsa_enable_private_segment 0
		.amdhsa_system_sgpr_workgroup_id_x 1
		.amdhsa_system_sgpr_workgroup_id_y 0
		.amdhsa_system_sgpr_workgroup_id_z 0
		.amdhsa_system_sgpr_workgroup_info 0
		.amdhsa_system_vgpr_workitem_id 0
		.amdhsa_next_free_vgpr 1
		.amdhsa_next_free_sgpr 1
		.amdhsa_named_barrier_count 0
		.amdhsa_reserve_vcc 0
		.amdhsa_float_round_mode_32 0
		.amdhsa_float_round_mode_16_64 0
		.amdhsa_float_denorm_mode_32 3
		.amdhsa_float_denorm_mode_16_64 3
		.amdhsa_fp16_overflow 0
		.amdhsa_memory_ordered 1
		.amdhsa_forward_progress 1
		.amdhsa_inst_pref_size 0
		.amdhsa_round_robin_scheduling 0
		.amdhsa_exception_fp_ieee_invalid_op 0
		.amdhsa_exception_fp_denorm_src 0
		.amdhsa_exception_fp_ieee_div_zero 0
		.amdhsa_exception_fp_ieee_overflow 0
		.amdhsa_exception_fp_ieee_underflow 0
		.amdhsa_exception_fp_ieee_inexact 0
		.amdhsa_exception_int_div_zero 0
	.end_amdhsa_kernel
	.section	.text._ZN7rocprim17ROCPRIM_400000_NS6detail17trampoline_kernelINS0_14default_configENS1_35radix_sort_onesweep_config_selectorI12hip_bfloat16NS0_10empty_typeEEEZZNS1_29radix_sort_onesweep_iterationIS3_Lb0EPKS5_PS5_PS6_SC_mNS0_19identity_decomposerENS1_16block_id_wrapperIjLb0EEEEE10hipError_tT1_PNSt15iterator_traitsISH_E10value_typeET2_T3_PNSI_ISN_E10value_typeET4_T5_PSS_ST_PNS1_23onesweep_lookback_stateEbbT6_jjT7_P12ihipStream_tbENKUlT_T0_SH_SM_E_clISB_SB_SC_SC_EEDaS10_S11_SH_SM_EUlS10_E_NS1_11comp_targetILNS1_3genE9ELNS1_11target_archE1100ELNS1_3gpuE3ELNS1_3repE0EEENS1_47radix_sort_onesweep_sort_config_static_selectorELNS0_4arch9wavefront6targetE0EEEvSH_,"axG",@progbits,_ZN7rocprim17ROCPRIM_400000_NS6detail17trampoline_kernelINS0_14default_configENS1_35radix_sort_onesweep_config_selectorI12hip_bfloat16NS0_10empty_typeEEEZZNS1_29radix_sort_onesweep_iterationIS3_Lb0EPKS5_PS5_PS6_SC_mNS0_19identity_decomposerENS1_16block_id_wrapperIjLb0EEEEE10hipError_tT1_PNSt15iterator_traitsISH_E10value_typeET2_T3_PNSI_ISN_E10value_typeET4_T5_PSS_ST_PNS1_23onesweep_lookback_stateEbbT6_jjT7_P12ihipStream_tbENKUlT_T0_SH_SM_E_clISB_SB_SC_SC_EEDaS10_S11_SH_SM_EUlS10_E_NS1_11comp_targetILNS1_3genE9ELNS1_11target_archE1100ELNS1_3gpuE3ELNS1_3repE0EEENS1_47radix_sort_onesweep_sort_config_static_selectorELNS0_4arch9wavefront6targetE0EEEvSH_,comdat
.Lfunc_end2085:
	.size	_ZN7rocprim17ROCPRIM_400000_NS6detail17trampoline_kernelINS0_14default_configENS1_35radix_sort_onesweep_config_selectorI12hip_bfloat16NS0_10empty_typeEEEZZNS1_29radix_sort_onesweep_iterationIS3_Lb0EPKS5_PS5_PS6_SC_mNS0_19identity_decomposerENS1_16block_id_wrapperIjLb0EEEEE10hipError_tT1_PNSt15iterator_traitsISH_E10value_typeET2_T3_PNSI_ISN_E10value_typeET4_T5_PSS_ST_PNS1_23onesweep_lookback_stateEbbT6_jjT7_P12ihipStream_tbENKUlT_T0_SH_SM_E_clISB_SB_SC_SC_EEDaS10_S11_SH_SM_EUlS10_E_NS1_11comp_targetILNS1_3genE9ELNS1_11target_archE1100ELNS1_3gpuE3ELNS1_3repE0EEENS1_47radix_sort_onesweep_sort_config_static_selectorELNS0_4arch9wavefront6targetE0EEEvSH_, .Lfunc_end2085-_ZN7rocprim17ROCPRIM_400000_NS6detail17trampoline_kernelINS0_14default_configENS1_35radix_sort_onesweep_config_selectorI12hip_bfloat16NS0_10empty_typeEEEZZNS1_29radix_sort_onesweep_iterationIS3_Lb0EPKS5_PS5_PS6_SC_mNS0_19identity_decomposerENS1_16block_id_wrapperIjLb0EEEEE10hipError_tT1_PNSt15iterator_traitsISH_E10value_typeET2_T3_PNSI_ISN_E10value_typeET4_T5_PSS_ST_PNS1_23onesweep_lookback_stateEbbT6_jjT7_P12ihipStream_tbENKUlT_T0_SH_SM_E_clISB_SB_SC_SC_EEDaS10_S11_SH_SM_EUlS10_E_NS1_11comp_targetILNS1_3genE9ELNS1_11target_archE1100ELNS1_3gpuE3ELNS1_3repE0EEENS1_47radix_sort_onesweep_sort_config_static_selectorELNS0_4arch9wavefront6targetE0EEEvSH_
                                        ; -- End function
	.set _ZN7rocprim17ROCPRIM_400000_NS6detail17trampoline_kernelINS0_14default_configENS1_35radix_sort_onesweep_config_selectorI12hip_bfloat16NS0_10empty_typeEEEZZNS1_29radix_sort_onesweep_iterationIS3_Lb0EPKS5_PS5_PS6_SC_mNS0_19identity_decomposerENS1_16block_id_wrapperIjLb0EEEEE10hipError_tT1_PNSt15iterator_traitsISH_E10value_typeET2_T3_PNSI_ISN_E10value_typeET4_T5_PSS_ST_PNS1_23onesweep_lookback_stateEbbT6_jjT7_P12ihipStream_tbENKUlT_T0_SH_SM_E_clISB_SB_SC_SC_EEDaS10_S11_SH_SM_EUlS10_E_NS1_11comp_targetILNS1_3genE9ELNS1_11target_archE1100ELNS1_3gpuE3ELNS1_3repE0EEENS1_47radix_sort_onesweep_sort_config_static_selectorELNS0_4arch9wavefront6targetE0EEEvSH_.num_vgpr, 0
	.set _ZN7rocprim17ROCPRIM_400000_NS6detail17trampoline_kernelINS0_14default_configENS1_35radix_sort_onesweep_config_selectorI12hip_bfloat16NS0_10empty_typeEEEZZNS1_29radix_sort_onesweep_iterationIS3_Lb0EPKS5_PS5_PS6_SC_mNS0_19identity_decomposerENS1_16block_id_wrapperIjLb0EEEEE10hipError_tT1_PNSt15iterator_traitsISH_E10value_typeET2_T3_PNSI_ISN_E10value_typeET4_T5_PSS_ST_PNS1_23onesweep_lookback_stateEbbT6_jjT7_P12ihipStream_tbENKUlT_T0_SH_SM_E_clISB_SB_SC_SC_EEDaS10_S11_SH_SM_EUlS10_E_NS1_11comp_targetILNS1_3genE9ELNS1_11target_archE1100ELNS1_3gpuE3ELNS1_3repE0EEENS1_47radix_sort_onesweep_sort_config_static_selectorELNS0_4arch9wavefront6targetE0EEEvSH_.num_agpr, 0
	.set _ZN7rocprim17ROCPRIM_400000_NS6detail17trampoline_kernelINS0_14default_configENS1_35radix_sort_onesweep_config_selectorI12hip_bfloat16NS0_10empty_typeEEEZZNS1_29radix_sort_onesweep_iterationIS3_Lb0EPKS5_PS5_PS6_SC_mNS0_19identity_decomposerENS1_16block_id_wrapperIjLb0EEEEE10hipError_tT1_PNSt15iterator_traitsISH_E10value_typeET2_T3_PNSI_ISN_E10value_typeET4_T5_PSS_ST_PNS1_23onesweep_lookback_stateEbbT6_jjT7_P12ihipStream_tbENKUlT_T0_SH_SM_E_clISB_SB_SC_SC_EEDaS10_S11_SH_SM_EUlS10_E_NS1_11comp_targetILNS1_3genE9ELNS1_11target_archE1100ELNS1_3gpuE3ELNS1_3repE0EEENS1_47radix_sort_onesweep_sort_config_static_selectorELNS0_4arch9wavefront6targetE0EEEvSH_.numbered_sgpr, 0
	.set _ZN7rocprim17ROCPRIM_400000_NS6detail17trampoline_kernelINS0_14default_configENS1_35radix_sort_onesweep_config_selectorI12hip_bfloat16NS0_10empty_typeEEEZZNS1_29radix_sort_onesweep_iterationIS3_Lb0EPKS5_PS5_PS6_SC_mNS0_19identity_decomposerENS1_16block_id_wrapperIjLb0EEEEE10hipError_tT1_PNSt15iterator_traitsISH_E10value_typeET2_T3_PNSI_ISN_E10value_typeET4_T5_PSS_ST_PNS1_23onesweep_lookback_stateEbbT6_jjT7_P12ihipStream_tbENKUlT_T0_SH_SM_E_clISB_SB_SC_SC_EEDaS10_S11_SH_SM_EUlS10_E_NS1_11comp_targetILNS1_3genE9ELNS1_11target_archE1100ELNS1_3gpuE3ELNS1_3repE0EEENS1_47radix_sort_onesweep_sort_config_static_selectorELNS0_4arch9wavefront6targetE0EEEvSH_.num_named_barrier, 0
	.set _ZN7rocprim17ROCPRIM_400000_NS6detail17trampoline_kernelINS0_14default_configENS1_35radix_sort_onesweep_config_selectorI12hip_bfloat16NS0_10empty_typeEEEZZNS1_29radix_sort_onesweep_iterationIS3_Lb0EPKS5_PS5_PS6_SC_mNS0_19identity_decomposerENS1_16block_id_wrapperIjLb0EEEEE10hipError_tT1_PNSt15iterator_traitsISH_E10value_typeET2_T3_PNSI_ISN_E10value_typeET4_T5_PSS_ST_PNS1_23onesweep_lookback_stateEbbT6_jjT7_P12ihipStream_tbENKUlT_T0_SH_SM_E_clISB_SB_SC_SC_EEDaS10_S11_SH_SM_EUlS10_E_NS1_11comp_targetILNS1_3genE9ELNS1_11target_archE1100ELNS1_3gpuE3ELNS1_3repE0EEENS1_47radix_sort_onesweep_sort_config_static_selectorELNS0_4arch9wavefront6targetE0EEEvSH_.private_seg_size, 0
	.set _ZN7rocprim17ROCPRIM_400000_NS6detail17trampoline_kernelINS0_14default_configENS1_35radix_sort_onesweep_config_selectorI12hip_bfloat16NS0_10empty_typeEEEZZNS1_29radix_sort_onesweep_iterationIS3_Lb0EPKS5_PS5_PS6_SC_mNS0_19identity_decomposerENS1_16block_id_wrapperIjLb0EEEEE10hipError_tT1_PNSt15iterator_traitsISH_E10value_typeET2_T3_PNSI_ISN_E10value_typeET4_T5_PSS_ST_PNS1_23onesweep_lookback_stateEbbT6_jjT7_P12ihipStream_tbENKUlT_T0_SH_SM_E_clISB_SB_SC_SC_EEDaS10_S11_SH_SM_EUlS10_E_NS1_11comp_targetILNS1_3genE9ELNS1_11target_archE1100ELNS1_3gpuE3ELNS1_3repE0EEENS1_47radix_sort_onesweep_sort_config_static_selectorELNS0_4arch9wavefront6targetE0EEEvSH_.uses_vcc, 0
	.set _ZN7rocprim17ROCPRIM_400000_NS6detail17trampoline_kernelINS0_14default_configENS1_35radix_sort_onesweep_config_selectorI12hip_bfloat16NS0_10empty_typeEEEZZNS1_29radix_sort_onesweep_iterationIS3_Lb0EPKS5_PS5_PS6_SC_mNS0_19identity_decomposerENS1_16block_id_wrapperIjLb0EEEEE10hipError_tT1_PNSt15iterator_traitsISH_E10value_typeET2_T3_PNSI_ISN_E10value_typeET4_T5_PSS_ST_PNS1_23onesweep_lookback_stateEbbT6_jjT7_P12ihipStream_tbENKUlT_T0_SH_SM_E_clISB_SB_SC_SC_EEDaS10_S11_SH_SM_EUlS10_E_NS1_11comp_targetILNS1_3genE9ELNS1_11target_archE1100ELNS1_3gpuE3ELNS1_3repE0EEENS1_47radix_sort_onesweep_sort_config_static_selectorELNS0_4arch9wavefront6targetE0EEEvSH_.uses_flat_scratch, 0
	.set _ZN7rocprim17ROCPRIM_400000_NS6detail17trampoline_kernelINS0_14default_configENS1_35radix_sort_onesweep_config_selectorI12hip_bfloat16NS0_10empty_typeEEEZZNS1_29radix_sort_onesweep_iterationIS3_Lb0EPKS5_PS5_PS6_SC_mNS0_19identity_decomposerENS1_16block_id_wrapperIjLb0EEEEE10hipError_tT1_PNSt15iterator_traitsISH_E10value_typeET2_T3_PNSI_ISN_E10value_typeET4_T5_PSS_ST_PNS1_23onesweep_lookback_stateEbbT6_jjT7_P12ihipStream_tbENKUlT_T0_SH_SM_E_clISB_SB_SC_SC_EEDaS10_S11_SH_SM_EUlS10_E_NS1_11comp_targetILNS1_3genE9ELNS1_11target_archE1100ELNS1_3gpuE3ELNS1_3repE0EEENS1_47radix_sort_onesweep_sort_config_static_selectorELNS0_4arch9wavefront6targetE0EEEvSH_.has_dyn_sized_stack, 0
	.set _ZN7rocprim17ROCPRIM_400000_NS6detail17trampoline_kernelINS0_14default_configENS1_35radix_sort_onesweep_config_selectorI12hip_bfloat16NS0_10empty_typeEEEZZNS1_29radix_sort_onesweep_iterationIS3_Lb0EPKS5_PS5_PS6_SC_mNS0_19identity_decomposerENS1_16block_id_wrapperIjLb0EEEEE10hipError_tT1_PNSt15iterator_traitsISH_E10value_typeET2_T3_PNSI_ISN_E10value_typeET4_T5_PSS_ST_PNS1_23onesweep_lookback_stateEbbT6_jjT7_P12ihipStream_tbENKUlT_T0_SH_SM_E_clISB_SB_SC_SC_EEDaS10_S11_SH_SM_EUlS10_E_NS1_11comp_targetILNS1_3genE9ELNS1_11target_archE1100ELNS1_3gpuE3ELNS1_3repE0EEENS1_47radix_sort_onesweep_sort_config_static_selectorELNS0_4arch9wavefront6targetE0EEEvSH_.has_recursion, 0
	.set _ZN7rocprim17ROCPRIM_400000_NS6detail17trampoline_kernelINS0_14default_configENS1_35radix_sort_onesweep_config_selectorI12hip_bfloat16NS0_10empty_typeEEEZZNS1_29radix_sort_onesweep_iterationIS3_Lb0EPKS5_PS5_PS6_SC_mNS0_19identity_decomposerENS1_16block_id_wrapperIjLb0EEEEE10hipError_tT1_PNSt15iterator_traitsISH_E10value_typeET2_T3_PNSI_ISN_E10value_typeET4_T5_PSS_ST_PNS1_23onesweep_lookback_stateEbbT6_jjT7_P12ihipStream_tbENKUlT_T0_SH_SM_E_clISB_SB_SC_SC_EEDaS10_S11_SH_SM_EUlS10_E_NS1_11comp_targetILNS1_3genE9ELNS1_11target_archE1100ELNS1_3gpuE3ELNS1_3repE0EEENS1_47radix_sort_onesweep_sort_config_static_selectorELNS0_4arch9wavefront6targetE0EEEvSH_.has_indirect_call, 0
	.section	.AMDGPU.csdata,"",@progbits
; Kernel info:
; codeLenInByte = 0
; TotalNumSgprs: 0
; NumVgprs: 0
; ScratchSize: 0
; MemoryBound: 0
; FloatMode: 240
; IeeeMode: 1
; LDSByteSize: 0 bytes/workgroup (compile time only)
; SGPRBlocks: 0
; VGPRBlocks: 0
; NumSGPRsForWavesPerEU: 1
; NumVGPRsForWavesPerEU: 1
; NamedBarCnt: 0
; Occupancy: 16
; WaveLimiterHint : 0
; COMPUTE_PGM_RSRC2:SCRATCH_EN: 0
; COMPUTE_PGM_RSRC2:USER_SGPR: 2
; COMPUTE_PGM_RSRC2:TRAP_HANDLER: 0
; COMPUTE_PGM_RSRC2:TGID_X_EN: 1
; COMPUTE_PGM_RSRC2:TGID_Y_EN: 0
; COMPUTE_PGM_RSRC2:TGID_Z_EN: 0
; COMPUTE_PGM_RSRC2:TIDIG_COMP_CNT: 0
	.section	.text._ZN7rocprim17ROCPRIM_400000_NS6detail17trampoline_kernelINS0_14default_configENS1_35radix_sort_onesweep_config_selectorI12hip_bfloat16NS0_10empty_typeEEEZZNS1_29radix_sort_onesweep_iterationIS3_Lb0EPKS5_PS5_PS6_SC_mNS0_19identity_decomposerENS1_16block_id_wrapperIjLb0EEEEE10hipError_tT1_PNSt15iterator_traitsISH_E10value_typeET2_T3_PNSI_ISN_E10value_typeET4_T5_PSS_ST_PNS1_23onesweep_lookback_stateEbbT6_jjT7_P12ihipStream_tbENKUlT_T0_SH_SM_E_clISB_SB_SC_SC_EEDaS10_S11_SH_SM_EUlS10_E_NS1_11comp_targetILNS1_3genE8ELNS1_11target_archE1030ELNS1_3gpuE2ELNS1_3repE0EEENS1_47radix_sort_onesweep_sort_config_static_selectorELNS0_4arch9wavefront6targetE0EEEvSH_,"axG",@progbits,_ZN7rocprim17ROCPRIM_400000_NS6detail17trampoline_kernelINS0_14default_configENS1_35radix_sort_onesweep_config_selectorI12hip_bfloat16NS0_10empty_typeEEEZZNS1_29radix_sort_onesweep_iterationIS3_Lb0EPKS5_PS5_PS6_SC_mNS0_19identity_decomposerENS1_16block_id_wrapperIjLb0EEEEE10hipError_tT1_PNSt15iterator_traitsISH_E10value_typeET2_T3_PNSI_ISN_E10value_typeET4_T5_PSS_ST_PNS1_23onesweep_lookback_stateEbbT6_jjT7_P12ihipStream_tbENKUlT_T0_SH_SM_E_clISB_SB_SC_SC_EEDaS10_S11_SH_SM_EUlS10_E_NS1_11comp_targetILNS1_3genE8ELNS1_11target_archE1030ELNS1_3gpuE2ELNS1_3repE0EEENS1_47radix_sort_onesweep_sort_config_static_selectorELNS0_4arch9wavefront6targetE0EEEvSH_,comdat
	.protected	_ZN7rocprim17ROCPRIM_400000_NS6detail17trampoline_kernelINS0_14default_configENS1_35radix_sort_onesweep_config_selectorI12hip_bfloat16NS0_10empty_typeEEEZZNS1_29radix_sort_onesweep_iterationIS3_Lb0EPKS5_PS5_PS6_SC_mNS0_19identity_decomposerENS1_16block_id_wrapperIjLb0EEEEE10hipError_tT1_PNSt15iterator_traitsISH_E10value_typeET2_T3_PNSI_ISN_E10value_typeET4_T5_PSS_ST_PNS1_23onesweep_lookback_stateEbbT6_jjT7_P12ihipStream_tbENKUlT_T0_SH_SM_E_clISB_SB_SC_SC_EEDaS10_S11_SH_SM_EUlS10_E_NS1_11comp_targetILNS1_3genE8ELNS1_11target_archE1030ELNS1_3gpuE2ELNS1_3repE0EEENS1_47radix_sort_onesweep_sort_config_static_selectorELNS0_4arch9wavefront6targetE0EEEvSH_ ; -- Begin function _ZN7rocprim17ROCPRIM_400000_NS6detail17trampoline_kernelINS0_14default_configENS1_35radix_sort_onesweep_config_selectorI12hip_bfloat16NS0_10empty_typeEEEZZNS1_29radix_sort_onesweep_iterationIS3_Lb0EPKS5_PS5_PS6_SC_mNS0_19identity_decomposerENS1_16block_id_wrapperIjLb0EEEEE10hipError_tT1_PNSt15iterator_traitsISH_E10value_typeET2_T3_PNSI_ISN_E10value_typeET4_T5_PSS_ST_PNS1_23onesweep_lookback_stateEbbT6_jjT7_P12ihipStream_tbENKUlT_T0_SH_SM_E_clISB_SB_SC_SC_EEDaS10_S11_SH_SM_EUlS10_E_NS1_11comp_targetILNS1_3genE8ELNS1_11target_archE1030ELNS1_3gpuE2ELNS1_3repE0EEENS1_47radix_sort_onesweep_sort_config_static_selectorELNS0_4arch9wavefront6targetE0EEEvSH_
	.globl	_ZN7rocprim17ROCPRIM_400000_NS6detail17trampoline_kernelINS0_14default_configENS1_35radix_sort_onesweep_config_selectorI12hip_bfloat16NS0_10empty_typeEEEZZNS1_29radix_sort_onesweep_iterationIS3_Lb0EPKS5_PS5_PS6_SC_mNS0_19identity_decomposerENS1_16block_id_wrapperIjLb0EEEEE10hipError_tT1_PNSt15iterator_traitsISH_E10value_typeET2_T3_PNSI_ISN_E10value_typeET4_T5_PSS_ST_PNS1_23onesweep_lookback_stateEbbT6_jjT7_P12ihipStream_tbENKUlT_T0_SH_SM_E_clISB_SB_SC_SC_EEDaS10_S11_SH_SM_EUlS10_E_NS1_11comp_targetILNS1_3genE8ELNS1_11target_archE1030ELNS1_3gpuE2ELNS1_3repE0EEENS1_47radix_sort_onesweep_sort_config_static_selectorELNS0_4arch9wavefront6targetE0EEEvSH_
	.p2align	8
	.type	_ZN7rocprim17ROCPRIM_400000_NS6detail17trampoline_kernelINS0_14default_configENS1_35radix_sort_onesweep_config_selectorI12hip_bfloat16NS0_10empty_typeEEEZZNS1_29radix_sort_onesweep_iterationIS3_Lb0EPKS5_PS5_PS6_SC_mNS0_19identity_decomposerENS1_16block_id_wrapperIjLb0EEEEE10hipError_tT1_PNSt15iterator_traitsISH_E10value_typeET2_T3_PNSI_ISN_E10value_typeET4_T5_PSS_ST_PNS1_23onesweep_lookback_stateEbbT6_jjT7_P12ihipStream_tbENKUlT_T0_SH_SM_E_clISB_SB_SC_SC_EEDaS10_S11_SH_SM_EUlS10_E_NS1_11comp_targetILNS1_3genE8ELNS1_11target_archE1030ELNS1_3gpuE2ELNS1_3repE0EEENS1_47radix_sort_onesweep_sort_config_static_selectorELNS0_4arch9wavefront6targetE0EEEvSH_,@function
_ZN7rocprim17ROCPRIM_400000_NS6detail17trampoline_kernelINS0_14default_configENS1_35radix_sort_onesweep_config_selectorI12hip_bfloat16NS0_10empty_typeEEEZZNS1_29radix_sort_onesweep_iterationIS3_Lb0EPKS5_PS5_PS6_SC_mNS0_19identity_decomposerENS1_16block_id_wrapperIjLb0EEEEE10hipError_tT1_PNSt15iterator_traitsISH_E10value_typeET2_T3_PNSI_ISN_E10value_typeET4_T5_PSS_ST_PNS1_23onesweep_lookback_stateEbbT6_jjT7_P12ihipStream_tbENKUlT_T0_SH_SM_E_clISB_SB_SC_SC_EEDaS10_S11_SH_SM_EUlS10_E_NS1_11comp_targetILNS1_3genE8ELNS1_11target_archE1030ELNS1_3gpuE2ELNS1_3repE0EEENS1_47radix_sort_onesweep_sort_config_static_selectorELNS0_4arch9wavefront6targetE0EEEvSH_: ; @_ZN7rocprim17ROCPRIM_400000_NS6detail17trampoline_kernelINS0_14default_configENS1_35radix_sort_onesweep_config_selectorI12hip_bfloat16NS0_10empty_typeEEEZZNS1_29radix_sort_onesweep_iterationIS3_Lb0EPKS5_PS5_PS6_SC_mNS0_19identity_decomposerENS1_16block_id_wrapperIjLb0EEEEE10hipError_tT1_PNSt15iterator_traitsISH_E10value_typeET2_T3_PNSI_ISN_E10value_typeET4_T5_PSS_ST_PNS1_23onesweep_lookback_stateEbbT6_jjT7_P12ihipStream_tbENKUlT_T0_SH_SM_E_clISB_SB_SC_SC_EEDaS10_S11_SH_SM_EUlS10_E_NS1_11comp_targetILNS1_3genE8ELNS1_11target_archE1030ELNS1_3gpuE2ELNS1_3repE0EEENS1_47radix_sort_onesweep_sort_config_static_selectorELNS0_4arch9wavefront6targetE0EEEvSH_
; %bb.0:
	.section	.rodata,"a",@progbits
	.p2align	6, 0x0
	.amdhsa_kernel _ZN7rocprim17ROCPRIM_400000_NS6detail17trampoline_kernelINS0_14default_configENS1_35radix_sort_onesweep_config_selectorI12hip_bfloat16NS0_10empty_typeEEEZZNS1_29radix_sort_onesweep_iterationIS3_Lb0EPKS5_PS5_PS6_SC_mNS0_19identity_decomposerENS1_16block_id_wrapperIjLb0EEEEE10hipError_tT1_PNSt15iterator_traitsISH_E10value_typeET2_T3_PNSI_ISN_E10value_typeET4_T5_PSS_ST_PNS1_23onesweep_lookback_stateEbbT6_jjT7_P12ihipStream_tbENKUlT_T0_SH_SM_E_clISB_SB_SC_SC_EEDaS10_S11_SH_SM_EUlS10_E_NS1_11comp_targetILNS1_3genE8ELNS1_11target_archE1030ELNS1_3gpuE2ELNS1_3repE0EEENS1_47radix_sort_onesweep_sort_config_static_selectorELNS0_4arch9wavefront6targetE0EEEvSH_
		.amdhsa_group_segment_fixed_size 0
		.amdhsa_private_segment_fixed_size 0
		.amdhsa_kernarg_size 88
		.amdhsa_user_sgpr_count 2
		.amdhsa_user_sgpr_dispatch_ptr 0
		.amdhsa_user_sgpr_queue_ptr 0
		.amdhsa_user_sgpr_kernarg_segment_ptr 1
		.amdhsa_user_sgpr_dispatch_id 0
		.amdhsa_user_sgpr_kernarg_preload_length 0
		.amdhsa_user_sgpr_kernarg_preload_offset 0
		.amdhsa_user_sgpr_private_segment_size 0
		.amdhsa_wavefront_size32 1
		.amdhsa_uses_dynamic_stack 0
		.amdhsa_enable_private_segment 0
		.amdhsa_system_sgpr_workgroup_id_x 1
		.amdhsa_system_sgpr_workgroup_id_y 0
		.amdhsa_system_sgpr_workgroup_id_z 0
		.amdhsa_system_sgpr_workgroup_info 0
		.amdhsa_system_vgpr_workitem_id 0
		.amdhsa_next_free_vgpr 1
		.amdhsa_next_free_sgpr 1
		.amdhsa_named_barrier_count 0
		.amdhsa_reserve_vcc 0
		.amdhsa_float_round_mode_32 0
		.amdhsa_float_round_mode_16_64 0
		.amdhsa_float_denorm_mode_32 3
		.amdhsa_float_denorm_mode_16_64 3
		.amdhsa_fp16_overflow 0
		.amdhsa_memory_ordered 1
		.amdhsa_forward_progress 1
		.amdhsa_inst_pref_size 0
		.amdhsa_round_robin_scheduling 0
		.amdhsa_exception_fp_ieee_invalid_op 0
		.amdhsa_exception_fp_denorm_src 0
		.amdhsa_exception_fp_ieee_div_zero 0
		.amdhsa_exception_fp_ieee_overflow 0
		.amdhsa_exception_fp_ieee_underflow 0
		.amdhsa_exception_fp_ieee_inexact 0
		.amdhsa_exception_int_div_zero 0
	.end_amdhsa_kernel
	.section	.text._ZN7rocprim17ROCPRIM_400000_NS6detail17trampoline_kernelINS0_14default_configENS1_35radix_sort_onesweep_config_selectorI12hip_bfloat16NS0_10empty_typeEEEZZNS1_29radix_sort_onesweep_iterationIS3_Lb0EPKS5_PS5_PS6_SC_mNS0_19identity_decomposerENS1_16block_id_wrapperIjLb0EEEEE10hipError_tT1_PNSt15iterator_traitsISH_E10value_typeET2_T3_PNSI_ISN_E10value_typeET4_T5_PSS_ST_PNS1_23onesweep_lookback_stateEbbT6_jjT7_P12ihipStream_tbENKUlT_T0_SH_SM_E_clISB_SB_SC_SC_EEDaS10_S11_SH_SM_EUlS10_E_NS1_11comp_targetILNS1_3genE8ELNS1_11target_archE1030ELNS1_3gpuE2ELNS1_3repE0EEENS1_47radix_sort_onesweep_sort_config_static_selectorELNS0_4arch9wavefront6targetE0EEEvSH_,"axG",@progbits,_ZN7rocprim17ROCPRIM_400000_NS6detail17trampoline_kernelINS0_14default_configENS1_35radix_sort_onesweep_config_selectorI12hip_bfloat16NS0_10empty_typeEEEZZNS1_29radix_sort_onesweep_iterationIS3_Lb0EPKS5_PS5_PS6_SC_mNS0_19identity_decomposerENS1_16block_id_wrapperIjLb0EEEEE10hipError_tT1_PNSt15iterator_traitsISH_E10value_typeET2_T3_PNSI_ISN_E10value_typeET4_T5_PSS_ST_PNS1_23onesweep_lookback_stateEbbT6_jjT7_P12ihipStream_tbENKUlT_T0_SH_SM_E_clISB_SB_SC_SC_EEDaS10_S11_SH_SM_EUlS10_E_NS1_11comp_targetILNS1_3genE8ELNS1_11target_archE1030ELNS1_3gpuE2ELNS1_3repE0EEENS1_47radix_sort_onesweep_sort_config_static_selectorELNS0_4arch9wavefront6targetE0EEEvSH_,comdat
.Lfunc_end2086:
	.size	_ZN7rocprim17ROCPRIM_400000_NS6detail17trampoline_kernelINS0_14default_configENS1_35radix_sort_onesweep_config_selectorI12hip_bfloat16NS0_10empty_typeEEEZZNS1_29radix_sort_onesweep_iterationIS3_Lb0EPKS5_PS5_PS6_SC_mNS0_19identity_decomposerENS1_16block_id_wrapperIjLb0EEEEE10hipError_tT1_PNSt15iterator_traitsISH_E10value_typeET2_T3_PNSI_ISN_E10value_typeET4_T5_PSS_ST_PNS1_23onesweep_lookback_stateEbbT6_jjT7_P12ihipStream_tbENKUlT_T0_SH_SM_E_clISB_SB_SC_SC_EEDaS10_S11_SH_SM_EUlS10_E_NS1_11comp_targetILNS1_3genE8ELNS1_11target_archE1030ELNS1_3gpuE2ELNS1_3repE0EEENS1_47radix_sort_onesweep_sort_config_static_selectorELNS0_4arch9wavefront6targetE0EEEvSH_, .Lfunc_end2086-_ZN7rocprim17ROCPRIM_400000_NS6detail17trampoline_kernelINS0_14default_configENS1_35radix_sort_onesweep_config_selectorI12hip_bfloat16NS0_10empty_typeEEEZZNS1_29radix_sort_onesweep_iterationIS3_Lb0EPKS5_PS5_PS6_SC_mNS0_19identity_decomposerENS1_16block_id_wrapperIjLb0EEEEE10hipError_tT1_PNSt15iterator_traitsISH_E10value_typeET2_T3_PNSI_ISN_E10value_typeET4_T5_PSS_ST_PNS1_23onesweep_lookback_stateEbbT6_jjT7_P12ihipStream_tbENKUlT_T0_SH_SM_E_clISB_SB_SC_SC_EEDaS10_S11_SH_SM_EUlS10_E_NS1_11comp_targetILNS1_3genE8ELNS1_11target_archE1030ELNS1_3gpuE2ELNS1_3repE0EEENS1_47radix_sort_onesweep_sort_config_static_selectorELNS0_4arch9wavefront6targetE0EEEvSH_
                                        ; -- End function
	.set _ZN7rocprim17ROCPRIM_400000_NS6detail17trampoline_kernelINS0_14default_configENS1_35radix_sort_onesweep_config_selectorI12hip_bfloat16NS0_10empty_typeEEEZZNS1_29radix_sort_onesweep_iterationIS3_Lb0EPKS5_PS5_PS6_SC_mNS0_19identity_decomposerENS1_16block_id_wrapperIjLb0EEEEE10hipError_tT1_PNSt15iterator_traitsISH_E10value_typeET2_T3_PNSI_ISN_E10value_typeET4_T5_PSS_ST_PNS1_23onesweep_lookback_stateEbbT6_jjT7_P12ihipStream_tbENKUlT_T0_SH_SM_E_clISB_SB_SC_SC_EEDaS10_S11_SH_SM_EUlS10_E_NS1_11comp_targetILNS1_3genE8ELNS1_11target_archE1030ELNS1_3gpuE2ELNS1_3repE0EEENS1_47radix_sort_onesweep_sort_config_static_selectorELNS0_4arch9wavefront6targetE0EEEvSH_.num_vgpr, 0
	.set _ZN7rocprim17ROCPRIM_400000_NS6detail17trampoline_kernelINS0_14default_configENS1_35radix_sort_onesweep_config_selectorI12hip_bfloat16NS0_10empty_typeEEEZZNS1_29radix_sort_onesweep_iterationIS3_Lb0EPKS5_PS5_PS6_SC_mNS0_19identity_decomposerENS1_16block_id_wrapperIjLb0EEEEE10hipError_tT1_PNSt15iterator_traitsISH_E10value_typeET2_T3_PNSI_ISN_E10value_typeET4_T5_PSS_ST_PNS1_23onesweep_lookback_stateEbbT6_jjT7_P12ihipStream_tbENKUlT_T0_SH_SM_E_clISB_SB_SC_SC_EEDaS10_S11_SH_SM_EUlS10_E_NS1_11comp_targetILNS1_3genE8ELNS1_11target_archE1030ELNS1_3gpuE2ELNS1_3repE0EEENS1_47radix_sort_onesweep_sort_config_static_selectorELNS0_4arch9wavefront6targetE0EEEvSH_.num_agpr, 0
	.set _ZN7rocprim17ROCPRIM_400000_NS6detail17trampoline_kernelINS0_14default_configENS1_35radix_sort_onesweep_config_selectorI12hip_bfloat16NS0_10empty_typeEEEZZNS1_29radix_sort_onesweep_iterationIS3_Lb0EPKS5_PS5_PS6_SC_mNS0_19identity_decomposerENS1_16block_id_wrapperIjLb0EEEEE10hipError_tT1_PNSt15iterator_traitsISH_E10value_typeET2_T3_PNSI_ISN_E10value_typeET4_T5_PSS_ST_PNS1_23onesweep_lookback_stateEbbT6_jjT7_P12ihipStream_tbENKUlT_T0_SH_SM_E_clISB_SB_SC_SC_EEDaS10_S11_SH_SM_EUlS10_E_NS1_11comp_targetILNS1_3genE8ELNS1_11target_archE1030ELNS1_3gpuE2ELNS1_3repE0EEENS1_47radix_sort_onesweep_sort_config_static_selectorELNS0_4arch9wavefront6targetE0EEEvSH_.numbered_sgpr, 0
	.set _ZN7rocprim17ROCPRIM_400000_NS6detail17trampoline_kernelINS0_14default_configENS1_35radix_sort_onesweep_config_selectorI12hip_bfloat16NS0_10empty_typeEEEZZNS1_29radix_sort_onesweep_iterationIS3_Lb0EPKS5_PS5_PS6_SC_mNS0_19identity_decomposerENS1_16block_id_wrapperIjLb0EEEEE10hipError_tT1_PNSt15iterator_traitsISH_E10value_typeET2_T3_PNSI_ISN_E10value_typeET4_T5_PSS_ST_PNS1_23onesweep_lookback_stateEbbT6_jjT7_P12ihipStream_tbENKUlT_T0_SH_SM_E_clISB_SB_SC_SC_EEDaS10_S11_SH_SM_EUlS10_E_NS1_11comp_targetILNS1_3genE8ELNS1_11target_archE1030ELNS1_3gpuE2ELNS1_3repE0EEENS1_47radix_sort_onesweep_sort_config_static_selectorELNS0_4arch9wavefront6targetE0EEEvSH_.num_named_barrier, 0
	.set _ZN7rocprim17ROCPRIM_400000_NS6detail17trampoline_kernelINS0_14default_configENS1_35radix_sort_onesweep_config_selectorI12hip_bfloat16NS0_10empty_typeEEEZZNS1_29radix_sort_onesweep_iterationIS3_Lb0EPKS5_PS5_PS6_SC_mNS0_19identity_decomposerENS1_16block_id_wrapperIjLb0EEEEE10hipError_tT1_PNSt15iterator_traitsISH_E10value_typeET2_T3_PNSI_ISN_E10value_typeET4_T5_PSS_ST_PNS1_23onesweep_lookback_stateEbbT6_jjT7_P12ihipStream_tbENKUlT_T0_SH_SM_E_clISB_SB_SC_SC_EEDaS10_S11_SH_SM_EUlS10_E_NS1_11comp_targetILNS1_3genE8ELNS1_11target_archE1030ELNS1_3gpuE2ELNS1_3repE0EEENS1_47radix_sort_onesweep_sort_config_static_selectorELNS0_4arch9wavefront6targetE0EEEvSH_.private_seg_size, 0
	.set _ZN7rocprim17ROCPRIM_400000_NS6detail17trampoline_kernelINS0_14default_configENS1_35radix_sort_onesweep_config_selectorI12hip_bfloat16NS0_10empty_typeEEEZZNS1_29radix_sort_onesweep_iterationIS3_Lb0EPKS5_PS5_PS6_SC_mNS0_19identity_decomposerENS1_16block_id_wrapperIjLb0EEEEE10hipError_tT1_PNSt15iterator_traitsISH_E10value_typeET2_T3_PNSI_ISN_E10value_typeET4_T5_PSS_ST_PNS1_23onesweep_lookback_stateEbbT6_jjT7_P12ihipStream_tbENKUlT_T0_SH_SM_E_clISB_SB_SC_SC_EEDaS10_S11_SH_SM_EUlS10_E_NS1_11comp_targetILNS1_3genE8ELNS1_11target_archE1030ELNS1_3gpuE2ELNS1_3repE0EEENS1_47radix_sort_onesweep_sort_config_static_selectorELNS0_4arch9wavefront6targetE0EEEvSH_.uses_vcc, 0
	.set _ZN7rocprim17ROCPRIM_400000_NS6detail17trampoline_kernelINS0_14default_configENS1_35radix_sort_onesweep_config_selectorI12hip_bfloat16NS0_10empty_typeEEEZZNS1_29radix_sort_onesweep_iterationIS3_Lb0EPKS5_PS5_PS6_SC_mNS0_19identity_decomposerENS1_16block_id_wrapperIjLb0EEEEE10hipError_tT1_PNSt15iterator_traitsISH_E10value_typeET2_T3_PNSI_ISN_E10value_typeET4_T5_PSS_ST_PNS1_23onesweep_lookback_stateEbbT6_jjT7_P12ihipStream_tbENKUlT_T0_SH_SM_E_clISB_SB_SC_SC_EEDaS10_S11_SH_SM_EUlS10_E_NS1_11comp_targetILNS1_3genE8ELNS1_11target_archE1030ELNS1_3gpuE2ELNS1_3repE0EEENS1_47radix_sort_onesweep_sort_config_static_selectorELNS0_4arch9wavefront6targetE0EEEvSH_.uses_flat_scratch, 0
	.set _ZN7rocprim17ROCPRIM_400000_NS6detail17trampoline_kernelINS0_14default_configENS1_35radix_sort_onesweep_config_selectorI12hip_bfloat16NS0_10empty_typeEEEZZNS1_29radix_sort_onesweep_iterationIS3_Lb0EPKS5_PS5_PS6_SC_mNS0_19identity_decomposerENS1_16block_id_wrapperIjLb0EEEEE10hipError_tT1_PNSt15iterator_traitsISH_E10value_typeET2_T3_PNSI_ISN_E10value_typeET4_T5_PSS_ST_PNS1_23onesweep_lookback_stateEbbT6_jjT7_P12ihipStream_tbENKUlT_T0_SH_SM_E_clISB_SB_SC_SC_EEDaS10_S11_SH_SM_EUlS10_E_NS1_11comp_targetILNS1_3genE8ELNS1_11target_archE1030ELNS1_3gpuE2ELNS1_3repE0EEENS1_47radix_sort_onesweep_sort_config_static_selectorELNS0_4arch9wavefront6targetE0EEEvSH_.has_dyn_sized_stack, 0
	.set _ZN7rocprim17ROCPRIM_400000_NS6detail17trampoline_kernelINS0_14default_configENS1_35radix_sort_onesweep_config_selectorI12hip_bfloat16NS0_10empty_typeEEEZZNS1_29radix_sort_onesweep_iterationIS3_Lb0EPKS5_PS5_PS6_SC_mNS0_19identity_decomposerENS1_16block_id_wrapperIjLb0EEEEE10hipError_tT1_PNSt15iterator_traitsISH_E10value_typeET2_T3_PNSI_ISN_E10value_typeET4_T5_PSS_ST_PNS1_23onesweep_lookback_stateEbbT6_jjT7_P12ihipStream_tbENKUlT_T0_SH_SM_E_clISB_SB_SC_SC_EEDaS10_S11_SH_SM_EUlS10_E_NS1_11comp_targetILNS1_3genE8ELNS1_11target_archE1030ELNS1_3gpuE2ELNS1_3repE0EEENS1_47radix_sort_onesweep_sort_config_static_selectorELNS0_4arch9wavefront6targetE0EEEvSH_.has_recursion, 0
	.set _ZN7rocprim17ROCPRIM_400000_NS6detail17trampoline_kernelINS0_14default_configENS1_35radix_sort_onesweep_config_selectorI12hip_bfloat16NS0_10empty_typeEEEZZNS1_29radix_sort_onesweep_iterationIS3_Lb0EPKS5_PS5_PS6_SC_mNS0_19identity_decomposerENS1_16block_id_wrapperIjLb0EEEEE10hipError_tT1_PNSt15iterator_traitsISH_E10value_typeET2_T3_PNSI_ISN_E10value_typeET4_T5_PSS_ST_PNS1_23onesweep_lookback_stateEbbT6_jjT7_P12ihipStream_tbENKUlT_T0_SH_SM_E_clISB_SB_SC_SC_EEDaS10_S11_SH_SM_EUlS10_E_NS1_11comp_targetILNS1_3genE8ELNS1_11target_archE1030ELNS1_3gpuE2ELNS1_3repE0EEENS1_47radix_sort_onesweep_sort_config_static_selectorELNS0_4arch9wavefront6targetE0EEEvSH_.has_indirect_call, 0
	.section	.AMDGPU.csdata,"",@progbits
; Kernel info:
; codeLenInByte = 0
; TotalNumSgprs: 0
; NumVgprs: 0
; ScratchSize: 0
; MemoryBound: 0
; FloatMode: 240
; IeeeMode: 1
; LDSByteSize: 0 bytes/workgroup (compile time only)
; SGPRBlocks: 0
; VGPRBlocks: 0
; NumSGPRsForWavesPerEU: 1
; NumVGPRsForWavesPerEU: 1
; NamedBarCnt: 0
; Occupancy: 16
; WaveLimiterHint : 0
; COMPUTE_PGM_RSRC2:SCRATCH_EN: 0
; COMPUTE_PGM_RSRC2:USER_SGPR: 2
; COMPUTE_PGM_RSRC2:TRAP_HANDLER: 0
; COMPUTE_PGM_RSRC2:TGID_X_EN: 1
; COMPUTE_PGM_RSRC2:TGID_Y_EN: 0
; COMPUTE_PGM_RSRC2:TGID_Z_EN: 0
; COMPUTE_PGM_RSRC2:TIDIG_COMP_CNT: 0
	.section	.text._ZN7rocprim17ROCPRIM_400000_NS6detail17trampoline_kernelINS0_13kernel_configILj256ELj4ELj4294967295EEENS1_37radix_sort_block_sort_config_selectorI6__halfNS0_10empty_typeEEEZNS1_21radix_sort_block_sortIS4_Lb1EPKS6_PS6_PS7_SD_NS0_19identity_decomposerEEE10hipError_tT1_T2_T3_T4_jRjT5_jjP12ihipStream_tbEUlT_E_NS1_11comp_targetILNS1_3genE0ELNS1_11target_archE4294967295ELNS1_3gpuE0ELNS1_3repE0EEENS1_44radix_sort_block_sort_config_static_selectorELNS0_4arch9wavefront6targetE0EEEvSG_,"axG",@progbits,_ZN7rocprim17ROCPRIM_400000_NS6detail17trampoline_kernelINS0_13kernel_configILj256ELj4ELj4294967295EEENS1_37radix_sort_block_sort_config_selectorI6__halfNS0_10empty_typeEEEZNS1_21radix_sort_block_sortIS4_Lb1EPKS6_PS6_PS7_SD_NS0_19identity_decomposerEEE10hipError_tT1_T2_T3_T4_jRjT5_jjP12ihipStream_tbEUlT_E_NS1_11comp_targetILNS1_3genE0ELNS1_11target_archE4294967295ELNS1_3gpuE0ELNS1_3repE0EEENS1_44radix_sort_block_sort_config_static_selectorELNS0_4arch9wavefront6targetE0EEEvSG_,comdat
	.protected	_ZN7rocprim17ROCPRIM_400000_NS6detail17trampoline_kernelINS0_13kernel_configILj256ELj4ELj4294967295EEENS1_37radix_sort_block_sort_config_selectorI6__halfNS0_10empty_typeEEEZNS1_21radix_sort_block_sortIS4_Lb1EPKS6_PS6_PS7_SD_NS0_19identity_decomposerEEE10hipError_tT1_T2_T3_T4_jRjT5_jjP12ihipStream_tbEUlT_E_NS1_11comp_targetILNS1_3genE0ELNS1_11target_archE4294967295ELNS1_3gpuE0ELNS1_3repE0EEENS1_44radix_sort_block_sort_config_static_selectorELNS0_4arch9wavefront6targetE0EEEvSG_ ; -- Begin function _ZN7rocprim17ROCPRIM_400000_NS6detail17trampoline_kernelINS0_13kernel_configILj256ELj4ELj4294967295EEENS1_37radix_sort_block_sort_config_selectorI6__halfNS0_10empty_typeEEEZNS1_21radix_sort_block_sortIS4_Lb1EPKS6_PS6_PS7_SD_NS0_19identity_decomposerEEE10hipError_tT1_T2_T3_T4_jRjT5_jjP12ihipStream_tbEUlT_E_NS1_11comp_targetILNS1_3genE0ELNS1_11target_archE4294967295ELNS1_3gpuE0ELNS1_3repE0EEENS1_44radix_sort_block_sort_config_static_selectorELNS0_4arch9wavefront6targetE0EEEvSG_
	.globl	_ZN7rocprim17ROCPRIM_400000_NS6detail17trampoline_kernelINS0_13kernel_configILj256ELj4ELj4294967295EEENS1_37radix_sort_block_sort_config_selectorI6__halfNS0_10empty_typeEEEZNS1_21radix_sort_block_sortIS4_Lb1EPKS6_PS6_PS7_SD_NS0_19identity_decomposerEEE10hipError_tT1_T2_T3_T4_jRjT5_jjP12ihipStream_tbEUlT_E_NS1_11comp_targetILNS1_3genE0ELNS1_11target_archE4294967295ELNS1_3gpuE0ELNS1_3repE0EEENS1_44radix_sort_block_sort_config_static_selectorELNS0_4arch9wavefront6targetE0EEEvSG_
	.p2align	8
	.type	_ZN7rocprim17ROCPRIM_400000_NS6detail17trampoline_kernelINS0_13kernel_configILj256ELj4ELj4294967295EEENS1_37radix_sort_block_sort_config_selectorI6__halfNS0_10empty_typeEEEZNS1_21radix_sort_block_sortIS4_Lb1EPKS6_PS6_PS7_SD_NS0_19identity_decomposerEEE10hipError_tT1_T2_T3_T4_jRjT5_jjP12ihipStream_tbEUlT_E_NS1_11comp_targetILNS1_3genE0ELNS1_11target_archE4294967295ELNS1_3gpuE0ELNS1_3repE0EEENS1_44radix_sort_block_sort_config_static_selectorELNS0_4arch9wavefront6targetE0EEEvSG_,@function
_ZN7rocprim17ROCPRIM_400000_NS6detail17trampoline_kernelINS0_13kernel_configILj256ELj4ELj4294967295EEENS1_37radix_sort_block_sort_config_selectorI6__halfNS0_10empty_typeEEEZNS1_21radix_sort_block_sortIS4_Lb1EPKS6_PS6_PS7_SD_NS0_19identity_decomposerEEE10hipError_tT1_T2_T3_T4_jRjT5_jjP12ihipStream_tbEUlT_E_NS1_11comp_targetILNS1_3genE0ELNS1_11target_archE4294967295ELNS1_3gpuE0ELNS1_3repE0EEENS1_44radix_sort_block_sort_config_static_selectorELNS0_4arch9wavefront6targetE0EEEvSG_: ; @_ZN7rocprim17ROCPRIM_400000_NS6detail17trampoline_kernelINS0_13kernel_configILj256ELj4ELj4294967295EEENS1_37radix_sort_block_sort_config_selectorI6__halfNS0_10empty_typeEEEZNS1_21radix_sort_block_sortIS4_Lb1EPKS6_PS6_PS7_SD_NS0_19identity_decomposerEEE10hipError_tT1_T2_T3_T4_jRjT5_jjP12ihipStream_tbEUlT_E_NS1_11comp_targetILNS1_3genE0ELNS1_11target_archE4294967295ELNS1_3gpuE0ELNS1_3repE0EEENS1_44radix_sort_block_sort_config_static_selectorELNS0_4arch9wavefront6targetE0EEEvSG_
; %bb.0:
	s_clause 0x1
	s_load_b32 s4, s[0:1], 0x20
	s_load_b128 s[20:23], s[0:1], 0x0
	s_bfe_u32 s5, ttmp6, 0x4000c
	s_and_b32 s2, ttmp6, 15
	s_add_co_i32 s5, s5, 1
	s_getreg_b32 s6, hwreg(HW_REG_IB_STS2, 6, 4)
	s_mul_i32 s5, ttmp9, s5
	v_and_b32_e32 v12, 0x3ff, v0
	s_add_co_i32 s2, s2, s5
	s_cmp_eq_u32 s6, 0
	v_mbcnt_lo_u32_b32 v1, -1, 0
	s_cselect_b32 s5, ttmp9, s2
	v_dual_mov_b32 v3, 0 :: v_dual_lshlrev_b32 v4, 2, v12
	s_lshl_b32 s2, s5, 10
	s_mov_b32 s3, 0
	v_lshlrev_b32_e32 v2, 1, v1
                                        ; implicit-def: $vgpr6
                                        ; implicit-def: $vgpr7
	s_delay_alu instid0(VALU_DEP_2) | instskip(SKIP_2) | instid1(SALU_CYCLE_1)
	v_and_b32_e32 v8, 0x380, v4
	s_wait_kmcnt 0x0
	s_lshr_b32 s8, s4, 10
	s_cmp_lg_u32 s5, s8
	s_cselect_b32 s27, -1, 0
	s_lshl_b64 s[24:25], s[2:3], 1
	s_cmp_eq_u32 s5, s8
	s_add_nc_u64 s[6:7], s[20:21], s[24:25]
	s_mov_b32 s5, -1
	v_add_nc_u64_e32 v[4:5], s[6:7], v[2:3]
	v_lshlrev_b32_e32 v2, 1, v8
	s_delay_alu instid0(VALU_DEP_1)
	v_add_nc_u64_e32 v[4:5], v[4:5], v[2:3]
                                        ; implicit-def: $vgpr3
	s_cbranch_scc0 .LBB2087_26
; %bb.1:
	s_load_b64 s[20:21], s[0:1], 0x28
	s_and_not1_b32 vcc_lo, exec_lo, s5
	s_sub_co_i32 s26, s4, s2
	s_cbranch_vccz .LBB2087_27
.LBB2087_2:
	v_mov_b32_e32 v8, -1
	s_and_saveexec_b32 s2, s3
	s_cbranch_execz .LBB2087_4
.LBB2087_3:
	global_load_u16 v8, v[4:5], off offset:192
.LBB2087_4:
	s_wait_xcnt 0x0
	s_or_b32 exec_lo, exec_lo, s2
	s_load_b32 s3, s[0:1], 0x3c
	s_wait_loadcnt 0x2
	v_cmp_gt_i16_e32 vcc_lo, 0, v6
	v_bfe_u32 v5, v0, 10, 10
	v_bfe_u32 v0, v0, 20, 10
	v_and_b32_e32 v16, 0x3e0, v12
	s_get_pc_i64 s[4:5]
	s_add_nc_u64 s[4:5], s[4:5], _ZN7rocprim17ROCPRIM_400000_NS16block_radix_sortI6__halfLj256ELj4ENS0_10empty_typeELj1ELj1ELj0ELNS0_26block_radix_rank_algorithmE1ELNS0_18block_padding_hintE2ELNS0_4arch9wavefront6targetE0EE19radix_bits_per_passE@rel64+4
	v_cndmask_b32_e64 v4, 0x7fff, 0, vcc_lo
	s_wait_loadcnt 0x0
	v_cmp_gt_i16_e32 vcc_lo, 0, v3
	s_load_b32 s28, s[4:5], 0x0
	v_dual_lshrrev_b32 v18, 3, v12 :: v_dual_bitop2_b32 v15, 16, v1 bitop3:0x40
	v_dual_lshlrev_b32 v13, 5, v12 :: v_dual_bitop2_b32 v14, 15, v1 bitop3:0x40
	v_cndmask_b32_e64 v9, 0x7fff, 0, vcc_lo
	v_cmp_gt_i16_e32 vcc_lo, 0, v7
	s_mov_b32 s14, 0
	v_cmp_eq_u32_e64 s7, 0, v15
	s_mov_b32 s15, s14
	s_mov_b32 s16, s14
	v_cndmask_b32_e64 v10, 0x7fff, 0, vcc_lo
	s_wait_kmcnt 0x0
	s_lshr_b32 s2, s3, 16
	v_cmp_gt_i16_e32 vcc_lo, 0, v8
	v_mad_u32_u24 v0, v0, s2, v5
	v_sub_co_u32 v17, s2, v1, 1
	s_and_b32 s3, s3, 0xffff
	v_cndmask_b32_e64 v11, 0x7fff, 0, vcc_lo
	v_mad_u32 v20, v0, s3, v12
	v_cmp_gt_i32_e32 vcc_lo, 0, v17
	v_xor_b32_e32 v5, v4, v6
	v_min_u32_e32 v6, 0xe0, v16
	v_and_b32_e32 v19, 7, v1
	v_and_b32_e32 v16, 0x7c, v18
	s_mov_b32 s17, s14
	v_cmp_gt_u32_e64 s0, 8, v12
	v_or_b32_e32 v6, 31, v6
	v_cmp_lt_u32_e64 s1, 31, v12
	v_cmp_eq_u32_e64 s3, 0, v14
	v_cmp_lt_u32_e64 s4, 1, v14
	v_cmp_lt_u32_e64 s5, 3, v14
	v_cmp_eq_u32_e64 s8, v12, v6
	v_mul_i32_i24_e32 v6, 0xffffffe4, v12
	v_dual_cndmask_b32 v8, v17, v1, vcc_lo :: v_dual_bitop2_b32 v4, v11, v8 bitop3:0x14
	v_xor_b32_e32 v0, v9, v3
	v_dual_add_nc_u32 v17, -4, v16 :: v_dual_bitop2_b32 v3, v10, v7 bitop3:0x14
	v_lshrrev_b32_e32 v7, 3, v20
	s_delay_alu instid0(VALU_DEP_4)
	v_lshlrev_b32_e32 v15, 2, v8
	v_mov_b64_e32 v[8:9], s[14:15]
	v_mov_b64_e32 v[10:11], s[16:17]
	v_cmp_lt_u32_e64 s6, 7, v14
	v_and_b32_e32 v14, 0x1ffffffc, v7
	v_cmp_eq_u32_e64 s9, 0, v12
	v_cmp_eq_u32_e64 s10, 0, v19
	v_cmp_lt_u32_e64 s11, 1, v19
	v_cmp_lt_u32_e64 s12, 3, v19
	v_lshl_add_u32 v18, v1, 1, v2
	v_add_nc_u32_e32 v19, v13, v6
	s_add_co_i32 s29, s21, s20
	s_branch .LBB2087_6
.LBB2087_5:                             ;   in Loop: Header=BB2087_6 Depth=1
	s_and_not1_b32 vcc_lo, exec_lo, s13
	s_cbranch_vccz .LBB2087_22
.LBB2087_6:                             ; =>This Inner Loop Header: Depth=1
	v_mov_b32_e32 v20, v5
	s_min_u32 s13, s28, s21
	ds_store_2addr_b64 v13, v[8:9], v[10:11] offset0:4 offset1:5
	ds_store_2addr_b64 v13, v[8:9], v[10:11] offset0:6 offset1:7
	s_lshl_b32 s30, -1, s13
	s_wait_dscnt 0x0
	v_cmp_ne_u16_e32 vcc_lo, 0x8000, v20
	s_barrier_signal -1
	s_barrier_wait -1
	v_cndmask_b32_e32 v1, 0x7fff, v20, vcc_lo
	; wave barrier
	s_delay_alu instid0(VALU_DEP_1) | instskip(NEXT) | instid1(VALU_DEP_1)
	v_and_b32_e32 v1, 0xffff, v1
	v_lshrrev_b32_e32 v1, s20, v1
	s_delay_alu instid0(VALU_DEP_1) | instskip(SKIP_1) | instid1(VALU_DEP_2)
	v_bitop3_b32 v2, v1, 1, s30 bitop3:0x40
	v_bitop3_b32 v5, v1, s30, v1 bitop3:0x30
	v_add_co_u32 v1, s13, v2, -1
	s_delay_alu instid0(VALU_DEP_1) | instskip(NEXT) | instid1(VALU_DEP_3)
	v_cndmask_b32_e64 v2, 0, 1, s13
	v_dual_lshlrev_b32 v6, 30, v5 :: v_dual_lshlrev_b32 v7, 29, v5
	v_dual_lshlrev_b32 v21, 28, v5 :: v_dual_lshlrev_b32 v22, 27, v5
	v_lshlrev_b32_e32 v23, 26, v5
	s_delay_alu instid0(VALU_DEP_4) | instskip(NEXT) | instid1(VALU_DEP_4)
	v_cmp_ne_u32_e32 vcc_lo, 0, v2
	v_not_b32_e32 v2, v6
	v_cmp_gt_i32_e64 s13, 0, v6
	v_cmp_gt_i32_e64 s14, 0, v7
	v_not_b32_e32 v6, v7
	v_not_b32_e32 v7, v21
	v_dual_ashrrev_i32 v2, 31, v2 :: v_dual_bitop2_b32 v1, vcc_lo, v1 bitop3:0x14
	v_dual_lshlrev_b32 v24, 25, v5 :: v_dual_lshlrev_b32 v25, 24, v5
	v_cmp_gt_i32_e64 s15, 0, v21
	v_cmp_gt_i32_e64 s16, 0, v22
	v_not_b32_e32 v21, v22
	v_not_b32_e32 v22, v23
	v_dual_ashrrev_i32 v6, 31, v6 :: v_dual_ashrrev_i32 v7, 31, v7
	s_delay_alu instid0(VALU_DEP_3)
	v_dual_ashrrev_i32 v21, 31, v21 :: v_dual_bitop2_b32 v2, s13, v2 bitop3:0x14
	v_cmp_gt_i32_e64 s17, 0, v23
	v_cmp_gt_i32_e64 s18, 0, v24
	v_not_b32_e32 v23, v24
	v_not_b32_e32 v24, v25
	v_dual_ashrrev_i32 v22, 31, v22 :: v_dual_bitop2_b32 v7, s15, v7 bitop3:0x14
	v_xor_b32_e32 v6, s14, v6
	v_bitop3_b32 v1, v1, v2, exec_lo bitop3:0x80
	v_cmp_gt_i32_e64 s19, 0, v25
	v_dual_ashrrev_i32 v2, 31, v23 :: v_dual_ashrrev_i32 v23, 31, v24
	v_xor_b32_e32 v21, s16, v21
	v_xor_b32_e32 v22, s17, v22
	v_bitop3_b32 v1, v1, v7, v6 bitop3:0x80
	s_delay_alu instid0(VALU_DEP_4) | instskip(SKIP_2) | instid1(VALU_DEP_4)
	v_xor_b32_e32 v2, s18, v2
	v_dual_mov_b32 v23, v0 :: v_dual_bitop2_b32 v6, s19, v23 bitop3:0x14
	v_lshlrev_b32_e32 v0, 5, v5
	v_bitop3_b32 v1, v1, v22, v21 bitop3:0x80
	v_dual_mov_b32 v22, v3 :: v_dual_mov_b32 v21, v4
	s_delay_alu instid0(VALU_DEP_3) | instskip(NEXT) | instid1(VALU_DEP_3)
	v_add_nc_u32_e32 v25, v14, v0
	v_bitop3_b32 v1, v1, v6, v2 bitop3:0x80
	s_delay_alu instid0(VALU_DEP_1) | instskip(SKIP_1) | instid1(VALU_DEP_2)
	v_mbcnt_lo_u32_b32 v24, v1, 0
	v_cmp_ne_u32_e64 s13, 0, v1
	v_cmp_eq_u32_e32 vcc_lo, 0, v24
	s_and_b32 s14, s13, vcc_lo
	s_delay_alu instid0(SALU_CYCLE_1)
	s_and_saveexec_b32 s13, s14
; %bb.7:                                ;   in Loop: Header=BB2087_6 Depth=1
	v_bcnt_u32_b32 v0, v1, 0
	ds_store_b32 v25, v0 offset:32
; %bb.8:                                ;   in Loop: Header=BB2087_6 Depth=1
	s_or_b32 exec_lo, exec_lo, s13
	v_cmp_ne_u16_e32 vcc_lo, 0x8000, v23
	s_not_b32 s19, s30
	; wave barrier
	v_cndmask_b32_e32 v0, 0x7fff, v23, vcc_lo
	s_delay_alu instid0(VALU_DEP_1) | instskip(NEXT) | instid1(VALU_DEP_1)
	v_and_b32_e32 v0, 0xffff, v0
	v_lshrrev_b32_e32 v0, s20, v0
	s_delay_alu instid0(VALU_DEP_1) | instskip(NEXT) | instid1(VALU_DEP_1)
	v_and_b32_e32 v1, s19, v0
	v_lshlrev_b32_e32 v2, 5, v1
	v_bitop3_b32 v0, v0, 1, s19 bitop3:0x80
	v_lshlrev_b32_e32 v4, 30, v1
	s_delay_alu instid0(VALU_DEP_2) | instskip(NEXT) | instid1(VALU_DEP_1)
	v_add_co_u32 v0, s13, v0, -1
	v_cndmask_b32_e64 v3, 0, 1, s13
	s_delay_alu instid0(VALU_DEP_1) | instskip(NEXT) | instid1(VALU_DEP_4)
	v_cmp_ne_u32_e32 vcc_lo, 0, v3
	v_not_b32_e32 v3, v4
	s_delay_alu instid0(VALU_DEP_1) | instskip(SKIP_3) | instid1(VALU_DEP_4)
	v_dual_ashrrev_i32 v3, 31, v3 :: v_dual_lshlrev_b32 v5, 29, v1
	v_dual_lshlrev_b32 v6, 28, v1 :: v_dual_lshlrev_b32 v7, 27, v1
	v_lshlrev_b32_e32 v26, 26, v1
	v_cmp_gt_i32_e64 s13, 0, v4
	v_cmp_gt_i32_e64 s14, 0, v5
	v_not_b32_e32 v4, v5
	v_not_b32_e32 v5, v6
	v_dual_lshlrev_b32 v27, 25, v1 :: v_dual_lshlrev_b32 v1, 24, v1
	v_cmp_gt_i32_e64 s15, 0, v6
	v_cmp_gt_i32_e64 s16, 0, v7
	v_not_b32_e32 v6, v7
	v_not_b32_e32 v7, v26
	v_dual_ashrrev_i32 v5, 31, v5 :: v_dual_bitop2_b32 v0, vcc_lo, v0 bitop3:0x14
	v_dual_ashrrev_i32 v4, 31, v4 :: v_dual_bitop2_b32 v3, s13, v3 bitop3:0x14
	v_cmp_gt_i32_e64 s17, 0, v26
	v_not_b32_e32 v26, v27
	v_dual_ashrrev_i32 v6, 31, v6 :: v_dual_ashrrev_i32 v7, 31, v7
	s_delay_alu instid0(VALU_DEP_4)
	v_xor_b32_e32 v4, s14, v4
	v_bitop3_b32 v0, v0, v3, exec_lo bitop3:0x80
	v_not_b32_e32 v3, v1
	v_xor_b32_e32 v5, s15, v5
	v_cmp_gt_i32_e64 s18, 0, v27
	v_ashrrev_i32_e32 v26, 31, v26
	v_xor_b32_e32 v6, s16, v6
	v_dual_add_nc_u32 v27, v14, v2 :: v_dual_bitop2_b32 v7, s17, v7 bitop3:0x14
	v_cmp_gt_i32_e32 vcc_lo, 0, v1
	v_ashrrev_i32_e32 v1, 31, v3
	v_bitop3_b32 v0, v0, v5, v4 bitop3:0x80
	v_xor_b32_e32 v2, s18, v26
	ds_load_b32 v26, v27 offset:32
	v_xor_b32_e32 v1, vcc_lo, v1
	v_bitop3_b32 v0, v0, v7, v6 bitop3:0x80
	; wave barrier
	s_delay_alu instid0(VALU_DEP_1) | instskip(NEXT) | instid1(VALU_DEP_1)
	v_bitop3_b32 v0, v0, v1, v2 bitop3:0x80
	v_mbcnt_lo_u32_b32 v28, v0, 0
	v_cmp_ne_u32_e64 s13, 0, v0
	s_delay_alu instid0(VALU_DEP_2) | instskip(SKIP_1) | instid1(SALU_CYCLE_1)
	v_cmp_eq_u32_e32 vcc_lo, 0, v28
	s_and_b32 s14, s13, vcc_lo
	s_and_saveexec_b32 s13, s14
	s_cbranch_execz .LBB2087_10
; %bb.9:                                ;   in Loop: Header=BB2087_6 Depth=1
	s_wait_dscnt 0x0
	v_bcnt_u32_b32 v0, v0, v26
	ds_store_b32 v27, v0 offset:32
.LBB2087_10:                            ;   in Loop: Header=BB2087_6 Depth=1
	s_or_b32 exec_lo, exec_lo, s13
	v_cmp_ne_u16_e32 vcc_lo, 0x8000, v22
	; wave barrier
	v_cndmask_b32_e32 v0, 0x7fff, v22, vcc_lo
	s_delay_alu instid0(VALU_DEP_1) | instskip(NEXT) | instid1(VALU_DEP_1)
	v_and_b32_e32 v0, 0xffff, v0
	v_lshrrev_b32_e32 v0, s20, v0
	s_delay_alu instid0(VALU_DEP_1) | instskip(NEXT) | instid1(VALU_DEP_1)
	v_and_b32_e32 v1, s19, v0
	v_lshlrev_b32_e32 v2, 5, v1
	v_bitop3_b32 v0, v0, 1, s19 bitop3:0x80
	v_lshlrev_b32_e32 v4, 30, v1
	s_delay_alu instid0(VALU_DEP_2) | instskip(NEXT) | instid1(VALU_DEP_1)
	v_add_co_u32 v0, s13, v0, -1
	v_cndmask_b32_e64 v3, 0, 1, s13
	s_delay_alu instid0(VALU_DEP_1) | instskip(NEXT) | instid1(VALU_DEP_4)
	v_cmp_ne_u32_e32 vcc_lo, 0, v3
	v_not_b32_e32 v3, v4
	s_delay_alu instid0(VALU_DEP_1)
	v_dual_ashrrev_i32 v3, 31, v3 :: v_dual_lshlrev_b32 v5, 29, v1
	v_dual_lshlrev_b32 v6, 28, v1 :: v_dual_lshlrev_b32 v7, 27, v1
	v_dual_lshlrev_b32 v29, 26, v1 :: v_dual_lshlrev_b32 v30, 25, v1
	v_lshlrev_b32_e32 v1, 24, v1
	v_cmp_gt_i32_e64 s13, 0, v4
	v_cmp_gt_i32_e64 s14, 0, v5
	v_not_b32_e32 v4, v5
	v_not_b32_e32 v5, v6
	v_cmp_gt_i32_e64 s15, 0, v6
	v_cmp_gt_i32_e64 s16, 0, v7
	v_not_b32_e32 v6, v7
	v_cmp_gt_i32_e64 s17, 0, v29
	v_not_b32_e32 v7, v29
	v_not_b32_e32 v29, v30
	v_dual_ashrrev_i32 v5, 31, v5 :: v_dual_bitop2_b32 v0, vcc_lo, v0 bitop3:0x14
	v_dual_ashrrev_i32 v4, 31, v4 :: v_dual_ashrrev_i32 v6, 31, v6
	v_xor_b32_e32 v3, s13, v3
	v_not_b32_e32 v31, v1
	s_delay_alu instid0(VALU_DEP_3) | instskip(SKIP_1) | instid1(VALU_DEP_4)
	v_dual_ashrrev_i32 v7, 31, v7 :: v_dual_bitop2_b32 v4, s14, v4 bitop3:0x14
	v_xor_b32_e32 v5, s15, v5
	v_bitop3_b32 v0, v0, v3, exec_lo bitop3:0x80
	v_xor_b32_e32 v6, s16, v6
	s_delay_alu instid0(VALU_DEP_4)
	v_xor_b32_e32 v3, s17, v7
	v_cmp_gt_i32_e32 vcc_lo, 0, v30
	v_ashrrev_i32_e32 v7, 31, v29
	v_cmp_gt_i32_e64 s13, 0, v1
	v_ashrrev_i32_e32 v1, 31, v31
	v_bitop3_b32 v0, v0, v5, v4 bitop3:0x80
	s_delay_alu instid0(VALU_DEP_4) | instskip(NEXT) | instid1(VALU_DEP_3)
	v_dual_add_nc_u32 v31, v14, v2 :: v_dual_bitop2_b32 v2, vcc_lo, v7 bitop3:0x14
	v_xor_b32_e32 v1, s13, v1
	s_delay_alu instid0(VALU_DEP_3) | instskip(SKIP_2) | instid1(VALU_DEP_1)
	v_bitop3_b32 v0, v0, v3, v6 bitop3:0x80
	ds_load_b32 v29, v31 offset:32
	; wave barrier
	v_bitop3_b32 v0, v0, v1, v2 bitop3:0x80
	v_mbcnt_lo_u32_b32 v30, v0, 0
	v_cmp_ne_u32_e64 s13, 0, v0
	s_delay_alu instid0(VALU_DEP_2) | instskip(SKIP_1) | instid1(SALU_CYCLE_1)
	v_cmp_eq_u32_e32 vcc_lo, 0, v30
	s_and_b32 s14, s13, vcc_lo
	s_and_saveexec_b32 s13, s14
	s_cbranch_execz .LBB2087_12
; %bb.11:                               ;   in Loop: Header=BB2087_6 Depth=1
	s_wait_dscnt 0x0
	v_bcnt_u32_b32 v0, v0, v29
	ds_store_b32 v31, v0 offset:32
.LBB2087_12:                            ;   in Loop: Header=BB2087_6 Depth=1
	s_or_b32 exec_lo, exec_lo, s13
	v_cmp_ne_u16_e32 vcc_lo, 0x8000, v21
	; wave barrier
	v_cndmask_b32_e32 v0, 0x7fff, v21, vcc_lo
	s_delay_alu instid0(VALU_DEP_1) | instskip(NEXT) | instid1(VALU_DEP_1)
	v_and_b32_e32 v0, 0xffff, v0
	v_lshrrev_b32_e32 v0, s20, v0
	s_delay_alu instid0(VALU_DEP_1) | instskip(NEXT) | instid1(VALU_DEP_1)
	v_and_b32_e32 v1, s19, v0
	v_lshlrev_b32_e32 v2, 5, v1
	v_bitop3_b32 v0, v0, 1, s19 bitop3:0x80
	v_dual_lshlrev_b32 v4, 30, v1 :: v_dual_lshlrev_b32 v5, 29, v1
	v_lshlrev_b32_e32 v6, 28, v1
	s_delay_alu instid0(VALU_DEP_3) | instskip(NEXT) | instid1(VALU_DEP_1)
	v_add_co_u32 v0, s13, v0, -1
	v_cndmask_b32_e64 v3, 0, 1, s13
	s_delay_alu instid0(VALU_DEP_4) | instskip(SKIP_1) | instid1(VALU_DEP_3)
	v_cmp_gt_i32_e64 s13, 0, v4
	v_cmp_gt_i32_e64 s14, 0, v5
	v_cmp_ne_u32_e32 vcc_lo, 0, v3
	v_not_b32_e32 v3, v4
	v_not_b32_e32 v4, v5
	;; [unrolled: 1-line block ×3, first 2 shown]
	s_delay_alu instid0(VALU_DEP_3) | instskip(NEXT) | instid1(VALU_DEP_2)
	v_dual_ashrrev_i32 v3, 31, v3 :: v_dual_bitop2_b32 v0, vcc_lo, v0 bitop3:0x14
	v_ashrrev_i32_e32 v5, 31, v5
	v_dual_lshlrev_b32 v7, 27, v1 :: v_dual_lshlrev_b32 v32, 26, v1
	v_dual_lshlrev_b32 v33, 25, v1 :: v_dual_lshlrev_b32 v1, 24, v1
	v_cmp_gt_i32_e64 s15, 0, v6
	s_delay_alu instid0(VALU_DEP_3) | instskip(SKIP_4) | instid1(VALU_DEP_4)
	v_cmp_gt_i32_e64 s16, 0, v7
	v_not_b32_e32 v6, v7
	v_cmp_gt_i32_e64 s17, 0, v32
	v_not_b32_e32 v7, v32
	v_not_b32_e32 v32, v33
	v_dual_ashrrev_i32 v4, 31, v4 :: v_dual_ashrrev_i32 v6, 31, v6
	v_xor_b32_e32 v3, s13, v3
	v_not_b32_e32 v34, v1
	s_delay_alu instid0(VALU_DEP_3) | instskip(SKIP_1) | instid1(VALU_DEP_4)
	v_dual_ashrrev_i32 v7, 31, v7 :: v_dual_bitop2_b32 v4, s14, v4 bitop3:0x14
	v_xor_b32_e32 v5, s15, v5
	v_bitop3_b32 v0, v0, v3, exec_lo bitop3:0x80
	v_xor_b32_e32 v6, s16, v6
	s_delay_alu instid0(VALU_DEP_4)
	v_xor_b32_e32 v3, s17, v7
	v_cmp_gt_i32_e32 vcc_lo, 0, v33
	v_ashrrev_i32_e32 v7, 31, v32
	v_cmp_gt_i32_e64 s13, 0, v1
	v_ashrrev_i32_e32 v1, 31, v34
	v_bitop3_b32 v0, v0, v5, v4 bitop3:0x80
	s_delay_alu instid0(VALU_DEP_4) | instskip(NEXT) | instid1(VALU_DEP_3)
	v_dual_add_nc_u32 v34, v14, v2 :: v_dual_bitop2_b32 v2, vcc_lo, v7 bitop3:0x14
	v_xor_b32_e32 v1, s13, v1
	s_delay_alu instid0(VALU_DEP_3) | instskip(SKIP_2) | instid1(VALU_DEP_1)
	v_bitop3_b32 v0, v0, v3, v6 bitop3:0x80
	ds_load_b32 v32, v34 offset:32
	; wave barrier
	v_bitop3_b32 v0, v0, v1, v2 bitop3:0x80
	v_mbcnt_lo_u32_b32 v33, v0, 0
	v_cmp_ne_u32_e64 s13, 0, v0
	s_delay_alu instid0(VALU_DEP_2) | instskip(SKIP_1) | instid1(SALU_CYCLE_1)
	v_cmp_eq_u32_e32 vcc_lo, 0, v33
	s_and_b32 s14, s13, vcc_lo
	s_and_saveexec_b32 s13, s14
	s_cbranch_execz .LBB2087_14
; %bb.13:                               ;   in Loop: Header=BB2087_6 Depth=1
	s_wait_dscnt 0x0
	v_bcnt_u32_b32 v0, v0, v32
	ds_store_b32 v34, v0 offset:32
.LBB2087_14:                            ;   in Loop: Header=BB2087_6 Depth=1
	s_or_b32 exec_lo, exec_lo, s13
	; wave barrier
	s_wait_dscnt 0x0
	s_barrier_signal -1
	s_barrier_wait -1
	ds_load_2addr_b64 v[4:7], v13 offset0:4 offset1:5
	ds_load_2addr_b64 v[0:3], v13 offset0:6 offset1:7
	s_wait_dscnt 0x1
	v_add_nc_u32_e32 v35, v5, v4
	s_delay_alu instid0(VALU_DEP_1) | instskip(SKIP_1) | instid1(VALU_DEP_1)
	v_add3_u32 v35, v35, v6, v7
	s_wait_dscnt 0x0
	v_add3_u32 v35, v35, v0, v1
	s_delay_alu instid0(VALU_DEP_1) | instskip(NEXT) | instid1(VALU_DEP_1)
	v_add3_u32 v3, v35, v2, v3
	v_mov_b32_dpp v35, v3 row_shr:1 row_mask:0xf bank_mask:0xf
	s_delay_alu instid0(VALU_DEP_1) | instskip(NEXT) | instid1(VALU_DEP_1)
	v_cndmask_b32_e64 v35, v35, 0, s3
	v_add_nc_u32_e32 v3, v35, v3
	s_delay_alu instid0(VALU_DEP_1) | instskip(NEXT) | instid1(VALU_DEP_1)
	v_mov_b32_dpp v35, v3 row_shr:2 row_mask:0xf bank_mask:0xf
	v_cndmask_b32_e64 v35, 0, v35, s4
	s_delay_alu instid0(VALU_DEP_1) | instskip(NEXT) | instid1(VALU_DEP_1)
	v_add_nc_u32_e32 v3, v3, v35
	v_mov_b32_dpp v35, v3 row_shr:4 row_mask:0xf bank_mask:0xf
	s_delay_alu instid0(VALU_DEP_1) | instskip(NEXT) | instid1(VALU_DEP_1)
	v_cndmask_b32_e64 v35, 0, v35, s5
	v_add_nc_u32_e32 v3, v3, v35
	s_delay_alu instid0(VALU_DEP_1) | instskip(NEXT) | instid1(VALU_DEP_1)
	v_mov_b32_dpp v35, v3 row_shr:8 row_mask:0xf bank_mask:0xf
	v_cndmask_b32_e64 v35, 0, v35, s6
	s_delay_alu instid0(VALU_DEP_1) | instskip(SKIP_3) | instid1(VALU_DEP_1)
	v_add_nc_u32_e32 v3, v3, v35
	ds_swizzle_b32 v35, v3 offset:swizzle(BROADCAST,32,15)
	s_wait_dscnt 0x0
	v_cndmask_b32_e64 v35, v35, 0, s7
	v_add_nc_u32_e32 v3, v3, v35
	s_and_saveexec_b32 s13, s8
; %bb.15:                               ;   in Loop: Header=BB2087_6 Depth=1
	ds_store_b32 v16, v3
; %bb.16:                               ;   in Loop: Header=BB2087_6 Depth=1
	s_or_b32 exec_lo, exec_lo, s13
	s_wait_dscnt 0x0
	s_barrier_signal -1
	s_barrier_wait -1
	s_and_saveexec_b32 s13, s0
	s_cbranch_execz .LBB2087_18
; %bb.17:                               ;   in Loop: Header=BB2087_6 Depth=1
	ds_load_b32 v35, v19
	s_wait_dscnt 0x0
	v_mov_b32_dpp v36, v35 row_shr:1 row_mask:0xf bank_mask:0xf
	s_delay_alu instid0(VALU_DEP_1) | instskip(NEXT) | instid1(VALU_DEP_1)
	v_cndmask_b32_e64 v36, v36, 0, s10
	v_add_nc_u32_e32 v35, v36, v35
	s_delay_alu instid0(VALU_DEP_1) | instskip(NEXT) | instid1(VALU_DEP_1)
	v_mov_b32_dpp v36, v35 row_shr:2 row_mask:0xf bank_mask:0xf
	v_cndmask_b32_e64 v36, 0, v36, s11
	s_delay_alu instid0(VALU_DEP_1) | instskip(NEXT) | instid1(VALU_DEP_1)
	v_add_nc_u32_e32 v35, v35, v36
	v_mov_b32_dpp v36, v35 row_shr:4 row_mask:0xf bank_mask:0xf
	s_delay_alu instid0(VALU_DEP_1) | instskip(NEXT) | instid1(VALU_DEP_1)
	v_cndmask_b32_e64 v36, 0, v36, s12
	v_add_nc_u32_e32 v35, v35, v36
	ds_store_b32 v19, v35
.LBB2087_18:                            ;   in Loop: Header=BB2087_6 Depth=1
	s_or_b32 exec_lo, exec_lo, s13
	v_mov_b32_e32 v35, 0
	s_wait_dscnt 0x0
	s_barrier_signal -1
	s_barrier_wait -1
	s_and_saveexec_b32 s13, s1
; %bb.19:                               ;   in Loop: Header=BB2087_6 Depth=1
	ds_load_b32 v35, v17
; %bb.20:                               ;   in Loop: Header=BB2087_6 Depth=1
	s_or_b32 exec_lo, exec_lo, s13
	s_wait_dscnt 0x0
	v_add_nc_u32_e32 v3, v35, v3
	s_add_co_i32 s20, s20, 8
	s_mov_b32 s13, -1
	s_cmp_ge_u32 s20, s29
	ds_bpermute_b32 v3, v15, v3
	s_wait_dscnt 0x0
	v_cndmask_b32_e64 v3, v3, v35, s2
	s_delay_alu instid0(VALU_DEP_1) | instskip(NEXT) | instid1(VALU_DEP_1)
	v_cndmask_b32_e64 v36, v3, 0, s9
	v_add_nc_u32_e32 v37, v36, v4
	s_delay_alu instid0(VALU_DEP_1) | instskip(NEXT) | instid1(VALU_DEP_1)
	v_add_nc_u32_e32 v4, v37, v5
	v_add_nc_u32_e32 v5, v4, v6
	s_delay_alu instid0(VALU_DEP_1) | instskip(NEXT) | instid1(VALU_DEP_1)
	v_add_nc_u32_e32 v6, v5, v7
	;; [unrolled: 3-line block ×3, first 2 shown]
	v_add_nc_u32_e32 v1, v0, v2
	ds_store_2addr_b64 v13, v[36:37], v[4:5] offset0:4 offset1:5
	ds_store_2addr_b64 v13, v[6:7], v[0:1] offset0:6 offset1:7
	s_wait_dscnt 0x0
	s_barrier_signal -1
	s_barrier_wait -1
	ds_load_b32 v0, v27 offset:32
	ds_load_b32 v1, v31 offset:32
	ds_load_b32 v2, v34 offset:32
	ds_load_b32 v3, v25 offset:32
	v_lshlrev_b32_e32 v4, 1, v24
	v_dual_lshlrev_b32 v5, 1, v28 :: v_dual_lshlrev_b32 v6, 1, v26
	v_dual_lshlrev_b32 v7, 1, v30 :: v_dual_lshlrev_b32 v24, 1, v29
	;; [unrolled: 1-line block ×3, first 2 shown]
	s_wait_dscnt 0x0
	v_dual_lshlrev_b32 v0, 1, v0 :: v_dual_lshlrev_b32 v27, 1, v1
	v_lshlrev_b32_e32 v28, 1, v2
	v_lshl_add_u32 v1, v3, 1, v4
                                        ; implicit-def: $vgpr4
                                        ; implicit-def: $vgpr3
	s_delay_alu instid0(VALU_DEP_3) | instskip(NEXT) | instid1(VALU_DEP_4)
	v_add3_u32 v2, v5, v6, v0
	v_add3_u32 v6, v7, v24, v27
	s_delay_alu instid0(VALU_DEP_4)
	v_add3_u32 v7, v25, v26, v28
                                        ; implicit-def: $vgpr5
                                        ; implicit-def: $vgpr0
	s_cbranch_scc1 .LBB2087_5
; %bb.21:                               ;   in Loop: Header=BB2087_6 Depth=1
	s_barrier_signal -1
	s_barrier_wait -1
	ds_store_b16 v1, v20
	ds_store_b16 v2, v23
	;; [unrolled: 1-line block ×4, first 2 shown]
	s_wait_dscnt 0x0
	s_barrier_signal -1
	s_barrier_wait -1
	ds_load_u16 v5, v18
	ds_load_u16 v0, v18 offset:64
	ds_load_u16 v3, v18 offset:128
	;; [unrolled: 1-line block ×3, first 2 shown]
	s_add_co_i32 s21, s21, -8
	s_mov_b32 s13, 0
	s_wait_dscnt 0x0
	s_barrier_signal -1
	s_barrier_wait -1
	s_branch .LBB2087_5
.LBB2087_22:
	v_lshlrev_b32_e32 v0, 1, v12
	s_barrier_signal -1
	s_barrier_wait -1
	ds_store_b16 v1, v20
	ds_store_b16 v2, v23
	;; [unrolled: 1-line block ×4, first 2 shown]
	s_wait_dscnt 0x0
	s_barrier_signal -1
	s_barrier_wait -1
	v_mov_b32_e32 v1, 0
	ds_load_u16 v3, v0
	ds_load_u16 v4, v0 offset:512
	ds_load_u16 v6, v0 offset:1024
	;; [unrolled: 1-line block ×3, first 2 shown]
	s_add_nc_u64 s[0:1], s[22:23], s[24:25]
	s_delay_alu instid0(SALU_CYCLE_1)
	v_add_nc_u64_e32 v[0:1], s[0:1], v[0:1]
	s_mov_b32 s0, 0
	s_mov_b32 s1, -1
	s_wait_dscnt 0x3
	v_cmp_gt_i16_e32 vcc_lo, 0, v3
	v_cndmask_b32_e64 v5, 0x7fff, 0, vcc_lo
	s_wait_dscnt 0x2
	v_cmp_gt_i16_e32 vcc_lo, 0, v4
	s_delay_alu instid0(VALU_DEP_2) | instskip(SKIP_3) | instid1(VALU_DEP_2)
	v_xor_b32_e32 v5, v5, v3
	v_cndmask_b32_e64 v7, 0x7fff, 0, vcc_lo
	s_wait_dscnt 0x1
	v_cmp_gt_i16_e32 vcc_lo, 0, v6
	v_xor_b32_e32 v4, v7, v4
	v_cndmask_b32_e64 v8, 0x7fff, 0, vcc_lo
	s_and_not1_b32 vcc_lo, exec_lo, s27
	s_delay_alu instid0(VALU_DEP_1)
	v_xor_b32_e32 v3, v8, v6
	s_cbranch_vccz .LBB2087_34
; %bb.23:
	s_and_not1_b32 vcc_lo, exec_lo, s1
	s_cbranch_vccz .LBB2087_35
.LBB2087_24:
	s_wait_xcnt 0x0
	s_and_saveexec_b32 s1, s0
	s_cbranch_execnz .LBB2087_42
.LBB2087_25:
	s_endpgm
.LBB2087_26:
	s_clause 0x2
	global_load_u16 v6, v[4:5], off
	global_load_u16 v3, v[4:5], off offset:64
	global_load_u16 v7, v[4:5], off offset:128
	s_mov_b32 s3, -1
	s_load_b64 s[20:21], s[0:1], 0x28
	s_sub_co_i32 s26, s4, s2
	s_cbranch_execnz .LBB2087_2
.LBB2087_27:
	s_wait_loadcnt 0x1
	v_dual_mov_b32 v3, -1 :: v_dual_bitop2_b32 v8, v1, v8 bitop3:0x54
	v_mov_b32_e32 v6, -1
	s_mov_b32 s2, exec_lo
	s_delay_alu instid0(VALU_DEP_2)
	v_cmpx_gt_u32_e64 s26, v8
	s_cbranch_execz .LBB2087_29
; %bb.28:
	global_load_u16 v6, v[4:5], off
.LBB2087_29:
	s_wait_xcnt 0x0
	s_or_b32 exec_lo, exec_lo, s2
	s_wait_loadcnt 0x0
	v_or_b32_e32 v7, 32, v8
	s_mov_b32 s2, exec_lo
	s_delay_alu instid0(VALU_DEP_1)
	v_cmpx_gt_u32_e64 s26, v7
	s_cbranch_execz .LBB2087_31
; %bb.30:
	global_load_u16 v3, v[4:5], off offset:64
.LBB2087_31:
	s_wait_xcnt 0x0
	s_or_b32 exec_lo, exec_lo, s2
	v_or_b32_e32 v7, 64, v8
	s_delay_alu instid0(VALU_DEP_1)
	v_cmp_gt_u32_e32 vcc_lo, s26, v7
	v_mov_b32_e32 v7, -1
	s_and_saveexec_b32 s2, vcc_lo
	s_cbranch_execz .LBB2087_33
; %bb.32:
	global_load_u16 v7, v[4:5], off offset:128
.LBB2087_33:
	s_wait_xcnt 0x0
	s_or_b32 exec_lo, exec_lo, s2
	v_or_b32_e32 v8, 0x60, v8
	s_delay_alu instid0(VALU_DEP_1)
	v_cmp_gt_u32_e64 s3, s26, v8
	v_mov_b32_e32 v8, -1
	s_and_saveexec_b32 s2, s3
	s_cbranch_execnz .LBB2087_3
	s_branch .LBB2087_4
.LBB2087_34:
	s_mov_b32 s0, -1
	s_clause 0x2
	global_store_b16 v[0:1], v5, off
	global_store_b16 v[0:1], v4, off offset:512
	global_store_b16 v[0:1], v3, off offset:1024
	s_cbranch_execnz .LBB2087_24
.LBB2087_35:
	s_mov_b32 s0, exec_lo
	s_wait_xcnt 0x0
	v_cmpx_gt_u32_e64 s26, v12
	s_cbranch_execz .LBB2087_37
; %bb.36:
	global_store_b16 v[0:1], v5, off
.LBB2087_37:
	s_wait_xcnt 0x0
	s_or_b32 exec_lo, exec_lo, s0
	v_add_nc_u32_e32 v5, 0x100, v12
	s_mov_b32 s0, exec_lo
	s_delay_alu instid0(VALU_DEP_1)
	v_cmpx_gt_u32_e64 s26, v5
	s_cbranch_execz .LBB2087_39
; %bb.38:
	global_store_b16 v[0:1], v4, off offset:512
.LBB2087_39:
	s_wait_xcnt 0x0
	s_or_b32 exec_lo, exec_lo, s0
	v_add_nc_u32_e32 v4, 0x200, v12
	s_mov_b32 s0, exec_lo
	s_delay_alu instid0(VALU_DEP_1)
	v_cmpx_gt_u32_e64 s26, v4
	s_cbranch_execz .LBB2087_41
; %bb.40:
	global_store_b16 v[0:1], v3, off offset:1024
.LBB2087_41:
	s_wait_xcnt 0x0
	s_or_b32 exec_lo, exec_lo, s0
	v_add_nc_u32_e32 v3, 0x300, v12
	s_delay_alu instid0(VALU_DEP_1)
	v_cmp_gt_u32_e64 s0, s26, v3
	s_and_saveexec_b32 s1, s0
	s_cbranch_execz .LBB2087_25
.LBB2087_42:
	s_wait_dscnt 0x0
	v_cmp_gt_i16_e32 vcc_lo, 0, v2
	v_cndmask_b32_e64 v3, 0x7fff, 0, vcc_lo
	s_delay_alu instid0(VALU_DEP_1)
	v_xor_b32_e32 v2, v3, v2
	global_store_b16 v[0:1], v2, off offset:1536
	s_endpgm
	.section	.rodata,"a",@progbits
	.p2align	6, 0x0
	.amdhsa_kernel _ZN7rocprim17ROCPRIM_400000_NS6detail17trampoline_kernelINS0_13kernel_configILj256ELj4ELj4294967295EEENS1_37radix_sort_block_sort_config_selectorI6__halfNS0_10empty_typeEEEZNS1_21radix_sort_block_sortIS4_Lb1EPKS6_PS6_PS7_SD_NS0_19identity_decomposerEEE10hipError_tT1_T2_T3_T4_jRjT5_jjP12ihipStream_tbEUlT_E_NS1_11comp_targetILNS1_3genE0ELNS1_11target_archE4294967295ELNS1_3gpuE0ELNS1_3repE0EEENS1_44radix_sort_block_sort_config_static_selectorELNS0_4arch9wavefront6targetE0EEEvSG_
		.amdhsa_group_segment_fixed_size 8224
		.amdhsa_private_segment_fixed_size 0
		.amdhsa_kernarg_size 304
		.amdhsa_user_sgpr_count 2
		.amdhsa_user_sgpr_dispatch_ptr 0
		.amdhsa_user_sgpr_queue_ptr 0
		.amdhsa_user_sgpr_kernarg_segment_ptr 1
		.amdhsa_user_sgpr_dispatch_id 0
		.amdhsa_user_sgpr_kernarg_preload_length 0
		.amdhsa_user_sgpr_kernarg_preload_offset 0
		.amdhsa_user_sgpr_private_segment_size 0
		.amdhsa_wavefront_size32 1
		.amdhsa_uses_dynamic_stack 0
		.amdhsa_enable_private_segment 0
		.amdhsa_system_sgpr_workgroup_id_x 1
		.amdhsa_system_sgpr_workgroup_id_y 0
		.amdhsa_system_sgpr_workgroup_id_z 0
		.amdhsa_system_sgpr_workgroup_info 0
		.amdhsa_system_vgpr_workitem_id 2
		.amdhsa_next_free_vgpr 38
		.amdhsa_next_free_sgpr 31
		.amdhsa_named_barrier_count 0
		.amdhsa_reserve_vcc 1
		.amdhsa_float_round_mode_32 0
		.amdhsa_float_round_mode_16_64 0
		.amdhsa_float_denorm_mode_32 3
		.amdhsa_float_denorm_mode_16_64 3
		.amdhsa_fp16_overflow 0
		.amdhsa_memory_ordered 1
		.amdhsa_forward_progress 1
		.amdhsa_inst_pref_size 30
		.amdhsa_round_robin_scheduling 0
		.amdhsa_exception_fp_ieee_invalid_op 0
		.amdhsa_exception_fp_denorm_src 0
		.amdhsa_exception_fp_ieee_div_zero 0
		.amdhsa_exception_fp_ieee_overflow 0
		.amdhsa_exception_fp_ieee_underflow 0
		.amdhsa_exception_fp_ieee_inexact 0
		.amdhsa_exception_int_div_zero 0
	.end_amdhsa_kernel
	.section	.text._ZN7rocprim17ROCPRIM_400000_NS6detail17trampoline_kernelINS0_13kernel_configILj256ELj4ELj4294967295EEENS1_37radix_sort_block_sort_config_selectorI6__halfNS0_10empty_typeEEEZNS1_21radix_sort_block_sortIS4_Lb1EPKS6_PS6_PS7_SD_NS0_19identity_decomposerEEE10hipError_tT1_T2_T3_T4_jRjT5_jjP12ihipStream_tbEUlT_E_NS1_11comp_targetILNS1_3genE0ELNS1_11target_archE4294967295ELNS1_3gpuE0ELNS1_3repE0EEENS1_44radix_sort_block_sort_config_static_selectorELNS0_4arch9wavefront6targetE0EEEvSG_,"axG",@progbits,_ZN7rocprim17ROCPRIM_400000_NS6detail17trampoline_kernelINS0_13kernel_configILj256ELj4ELj4294967295EEENS1_37radix_sort_block_sort_config_selectorI6__halfNS0_10empty_typeEEEZNS1_21radix_sort_block_sortIS4_Lb1EPKS6_PS6_PS7_SD_NS0_19identity_decomposerEEE10hipError_tT1_T2_T3_T4_jRjT5_jjP12ihipStream_tbEUlT_E_NS1_11comp_targetILNS1_3genE0ELNS1_11target_archE4294967295ELNS1_3gpuE0ELNS1_3repE0EEENS1_44radix_sort_block_sort_config_static_selectorELNS0_4arch9wavefront6targetE0EEEvSG_,comdat
.Lfunc_end2087:
	.size	_ZN7rocprim17ROCPRIM_400000_NS6detail17trampoline_kernelINS0_13kernel_configILj256ELj4ELj4294967295EEENS1_37radix_sort_block_sort_config_selectorI6__halfNS0_10empty_typeEEEZNS1_21radix_sort_block_sortIS4_Lb1EPKS6_PS6_PS7_SD_NS0_19identity_decomposerEEE10hipError_tT1_T2_T3_T4_jRjT5_jjP12ihipStream_tbEUlT_E_NS1_11comp_targetILNS1_3genE0ELNS1_11target_archE4294967295ELNS1_3gpuE0ELNS1_3repE0EEENS1_44radix_sort_block_sort_config_static_selectorELNS0_4arch9wavefront6targetE0EEEvSG_, .Lfunc_end2087-_ZN7rocprim17ROCPRIM_400000_NS6detail17trampoline_kernelINS0_13kernel_configILj256ELj4ELj4294967295EEENS1_37radix_sort_block_sort_config_selectorI6__halfNS0_10empty_typeEEEZNS1_21radix_sort_block_sortIS4_Lb1EPKS6_PS6_PS7_SD_NS0_19identity_decomposerEEE10hipError_tT1_T2_T3_T4_jRjT5_jjP12ihipStream_tbEUlT_E_NS1_11comp_targetILNS1_3genE0ELNS1_11target_archE4294967295ELNS1_3gpuE0ELNS1_3repE0EEENS1_44radix_sort_block_sort_config_static_selectorELNS0_4arch9wavefront6targetE0EEEvSG_
                                        ; -- End function
	.set _ZN7rocprim17ROCPRIM_400000_NS6detail17trampoline_kernelINS0_13kernel_configILj256ELj4ELj4294967295EEENS1_37radix_sort_block_sort_config_selectorI6__halfNS0_10empty_typeEEEZNS1_21radix_sort_block_sortIS4_Lb1EPKS6_PS6_PS7_SD_NS0_19identity_decomposerEEE10hipError_tT1_T2_T3_T4_jRjT5_jjP12ihipStream_tbEUlT_E_NS1_11comp_targetILNS1_3genE0ELNS1_11target_archE4294967295ELNS1_3gpuE0ELNS1_3repE0EEENS1_44radix_sort_block_sort_config_static_selectorELNS0_4arch9wavefront6targetE0EEEvSG_.num_vgpr, 38
	.set _ZN7rocprim17ROCPRIM_400000_NS6detail17trampoline_kernelINS0_13kernel_configILj256ELj4ELj4294967295EEENS1_37radix_sort_block_sort_config_selectorI6__halfNS0_10empty_typeEEEZNS1_21radix_sort_block_sortIS4_Lb1EPKS6_PS6_PS7_SD_NS0_19identity_decomposerEEE10hipError_tT1_T2_T3_T4_jRjT5_jjP12ihipStream_tbEUlT_E_NS1_11comp_targetILNS1_3genE0ELNS1_11target_archE4294967295ELNS1_3gpuE0ELNS1_3repE0EEENS1_44radix_sort_block_sort_config_static_selectorELNS0_4arch9wavefront6targetE0EEEvSG_.num_agpr, 0
	.set _ZN7rocprim17ROCPRIM_400000_NS6detail17trampoline_kernelINS0_13kernel_configILj256ELj4ELj4294967295EEENS1_37radix_sort_block_sort_config_selectorI6__halfNS0_10empty_typeEEEZNS1_21radix_sort_block_sortIS4_Lb1EPKS6_PS6_PS7_SD_NS0_19identity_decomposerEEE10hipError_tT1_T2_T3_T4_jRjT5_jjP12ihipStream_tbEUlT_E_NS1_11comp_targetILNS1_3genE0ELNS1_11target_archE4294967295ELNS1_3gpuE0ELNS1_3repE0EEENS1_44radix_sort_block_sort_config_static_selectorELNS0_4arch9wavefront6targetE0EEEvSG_.numbered_sgpr, 31
	.set _ZN7rocprim17ROCPRIM_400000_NS6detail17trampoline_kernelINS0_13kernel_configILj256ELj4ELj4294967295EEENS1_37radix_sort_block_sort_config_selectorI6__halfNS0_10empty_typeEEEZNS1_21radix_sort_block_sortIS4_Lb1EPKS6_PS6_PS7_SD_NS0_19identity_decomposerEEE10hipError_tT1_T2_T3_T4_jRjT5_jjP12ihipStream_tbEUlT_E_NS1_11comp_targetILNS1_3genE0ELNS1_11target_archE4294967295ELNS1_3gpuE0ELNS1_3repE0EEENS1_44radix_sort_block_sort_config_static_selectorELNS0_4arch9wavefront6targetE0EEEvSG_.num_named_barrier, 0
	.set _ZN7rocprim17ROCPRIM_400000_NS6detail17trampoline_kernelINS0_13kernel_configILj256ELj4ELj4294967295EEENS1_37radix_sort_block_sort_config_selectorI6__halfNS0_10empty_typeEEEZNS1_21radix_sort_block_sortIS4_Lb1EPKS6_PS6_PS7_SD_NS0_19identity_decomposerEEE10hipError_tT1_T2_T3_T4_jRjT5_jjP12ihipStream_tbEUlT_E_NS1_11comp_targetILNS1_3genE0ELNS1_11target_archE4294967295ELNS1_3gpuE0ELNS1_3repE0EEENS1_44radix_sort_block_sort_config_static_selectorELNS0_4arch9wavefront6targetE0EEEvSG_.private_seg_size, 0
	.set _ZN7rocprim17ROCPRIM_400000_NS6detail17trampoline_kernelINS0_13kernel_configILj256ELj4ELj4294967295EEENS1_37radix_sort_block_sort_config_selectorI6__halfNS0_10empty_typeEEEZNS1_21radix_sort_block_sortIS4_Lb1EPKS6_PS6_PS7_SD_NS0_19identity_decomposerEEE10hipError_tT1_T2_T3_T4_jRjT5_jjP12ihipStream_tbEUlT_E_NS1_11comp_targetILNS1_3genE0ELNS1_11target_archE4294967295ELNS1_3gpuE0ELNS1_3repE0EEENS1_44radix_sort_block_sort_config_static_selectorELNS0_4arch9wavefront6targetE0EEEvSG_.uses_vcc, 1
	.set _ZN7rocprim17ROCPRIM_400000_NS6detail17trampoline_kernelINS0_13kernel_configILj256ELj4ELj4294967295EEENS1_37radix_sort_block_sort_config_selectorI6__halfNS0_10empty_typeEEEZNS1_21radix_sort_block_sortIS4_Lb1EPKS6_PS6_PS7_SD_NS0_19identity_decomposerEEE10hipError_tT1_T2_T3_T4_jRjT5_jjP12ihipStream_tbEUlT_E_NS1_11comp_targetILNS1_3genE0ELNS1_11target_archE4294967295ELNS1_3gpuE0ELNS1_3repE0EEENS1_44radix_sort_block_sort_config_static_selectorELNS0_4arch9wavefront6targetE0EEEvSG_.uses_flat_scratch, 0
	.set _ZN7rocprim17ROCPRIM_400000_NS6detail17trampoline_kernelINS0_13kernel_configILj256ELj4ELj4294967295EEENS1_37radix_sort_block_sort_config_selectorI6__halfNS0_10empty_typeEEEZNS1_21radix_sort_block_sortIS4_Lb1EPKS6_PS6_PS7_SD_NS0_19identity_decomposerEEE10hipError_tT1_T2_T3_T4_jRjT5_jjP12ihipStream_tbEUlT_E_NS1_11comp_targetILNS1_3genE0ELNS1_11target_archE4294967295ELNS1_3gpuE0ELNS1_3repE0EEENS1_44radix_sort_block_sort_config_static_selectorELNS0_4arch9wavefront6targetE0EEEvSG_.has_dyn_sized_stack, 0
	.set _ZN7rocprim17ROCPRIM_400000_NS6detail17trampoline_kernelINS0_13kernel_configILj256ELj4ELj4294967295EEENS1_37radix_sort_block_sort_config_selectorI6__halfNS0_10empty_typeEEEZNS1_21radix_sort_block_sortIS4_Lb1EPKS6_PS6_PS7_SD_NS0_19identity_decomposerEEE10hipError_tT1_T2_T3_T4_jRjT5_jjP12ihipStream_tbEUlT_E_NS1_11comp_targetILNS1_3genE0ELNS1_11target_archE4294967295ELNS1_3gpuE0ELNS1_3repE0EEENS1_44radix_sort_block_sort_config_static_selectorELNS0_4arch9wavefront6targetE0EEEvSG_.has_recursion, 0
	.set _ZN7rocprim17ROCPRIM_400000_NS6detail17trampoline_kernelINS0_13kernel_configILj256ELj4ELj4294967295EEENS1_37radix_sort_block_sort_config_selectorI6__halfNS0_10empty_typeEEEZNS1_21radix_sort_block_sortIS4_Lb1EPKS6_PS6_PS7_SD_NS0_19identity_decomposerEEE10hipError_tT1_T2_T3_T4_jRjT5_jjP12ihipStream_tbEUlT_E_NS1_11comp_targetILNS1_3genE0ELNS1_11target_archE4294967295ELNS1_3gpuE0ELNS1_3repE0EEENS1_44radix_sort_block_sort_config_static_selectorELNS0_4arch9wavefront6targetE0EEEvSG_.has_indirect_call, 0
	.section	.AMDGPU.csdata,"",@progbits
; Kernel info:
; codeLenInByte = 3744
; TotalNumSgprs: 33
; NumVgprs: 38
; ScratchSize: 0
; MemoryBound: 0
; FloatMode: 240
; IeeeMode: 1
; LDSByteSize: 8224 bytes/workgroup (compile time only)
; SGPRBlocks: 0
; VGPRBlocks: 2
; NumSGPRsForWavesPerEU: 33
; NumVGPRsForWavesPerEU: 38
; NamedBarCnt: 0
; Occupancy: 16
; WaveLimiterHint : 1
; COMPUTE_PGM_RSRC2:SCRATCH_EN: 0
; COMPUTE_PGM_RSRC2:USER_SGPR: 2
; COMPUTE_PGM_RSRC2:TRAP_HANDLER: 0
; COMPUTE_PGM_RSRC2:TGID_X_EN: 1
; COMPUTE_PGM_RSRC2:TGID_Y_EN: 0
; COMPUTE_PGM_RSRC2:TGID_Z_EN: 0
; COMPUTE_PGM_RSRC2:TIDIG_COMP_CNT: 2
	.section	.text._ZN7rocprim17ROCPRIM_400000_NS6detail17trampoline_kernelINS0_13kernel_configILj256ELj4ELj4294967295EEENS1_37radix_sort_block_sort_config_selectorI6__halfNS0_10empty_typeEEEZNS1_21radix_sort_block_sortIS4_Lb1EPKS6_PS6_PS7_SD_NS0_19identity_decomposerEEE10hipError_tT1_T2_T3_T4_jRjT5_jjP12ihipStream_tbEUlT_E_NS1_11comp_targetILNS1_3genE5ELNS1_11target_archE942ELNS1_3gpuE9ELNS1_3repE0EEENS1_44radix_sort_block_sort_config_static_selectorELNS0_4arch9wavefront6targetE0EEEvSG_,"axG",@progbits,_ZN7rocprim17ROCPRIM_400000_NS6detail17trampoline_kernelINS0_13kernel_configILj256ELj4ELj4294967295EEENS1_37radix_sort_block_sort_config_selectorI6__halfNS0_10empty_typeEEEZNS1_21radix_sort_block_sortIS4_Lb1EPKS6_PS6_PS7_SD_NS0_19identity_decomposerEEE10hipError_tT1_T2_T3_T4_jRjT5_jjP12ihipStream_tbEUlT_E_NS1_11comp_targetILNS1_3genE5ELNS1_11target_archE942ELNS1_3gpuE9ELNS1_3repE0EEENS1_44radix_sort_block_sort_config_static_selectorELNS0_4arch9wavefront6targetE0EEEvSG_,comdat
	.protected	_ZN7rocprim17ROCPRIM_400000_NS6detail17trampoline_kernelINS0_13kernel_configILj256ELj4ELj4294967295EEENS1_37radix_sort_block_sort_config_selectorI6__halfNS0_10empty_typeEEEZNS1_21radix_sort_block_sortIS4_Lb1EPKS6_PS6_PS7_SD_NS0_19identity_decomposerEEE10hipError_tT1_T2_T3_T4_jRjT5_jjP12ihipStream_tbEUlT_E_NS1_11comp_targetILNS1_3genE5ELNS1_11target_archE942ELNS1_3gpuE9ELNS1_3repE0EEENS1_44radix_sort_block_sort_config_static_selectorELNS0_4arch9wavefront6targetE0EEEvSG_ ; -- Begin function _ZN7rocprim17ROCPRIM_400000_NS6detail17trampoline_kernelINS0_13kernel_configILj256ELj4ELj4294967295EEENS1_37radix_sort_block_sort_config_selectorI6__halfNS0_10empty_typeEEEZNS1_21radix_sort_block_sortIS4_Lb1EPKS6_PS6_PS7_SD_NS0_19identity_decomposerEEE10hipError_tT1_T2_T3_T4_jRjT5_jjP12ihipStream_tbEUlT_E_NS1_11comp_targetILNS1_3genE5ELNS1_11target_archE942ELNS1_3gpuE9ELNS1_3repE0EEENS1_44radix_sort_block_sort_config_static_selectorELNS0_4arch9wavefront6targetE0EEEvSG_
	.globl	_ZN7rocprim17ROCPRIM_400000_NS6detail17trampoline_kernelINS0_13kernel_configILj256ELj4ELj4294967295EEENS1_37radix_sort_block_sort_config_selectorI6__halfNS0_10empty_typeEEEZNS1_21radix_sort_block_sortIS4_Lb1EPKS6_PS6_PS7_SD_NS0_19identity_decomposerEEE10hipError_tT1_T2_T3_T4_jRjT5_jjP12ihipStream_tbEUlT_E_NS1_11comp_targetILNS1_3genE5ELNS1_11target_archE942ELNS1_3gpuE9ELNS1_3repE0EEENS1_44radix_sort_block_sort_config_static_selectorELNS0_4arch9wavefront6targetE0EEEvSG_
	.p2align	8
	.type	_ZN7rocprim17ROCPRIM_400000_NS6detail17trampoline_kernelINS0_13kernel_configILj256ELj4ELj4294967295EEENS1_37radix_sort_block_sort_config_selectorI6__halfNS0_10empty_typeEEEZNS1_21radix_sort_block_sortIS4_Lb1EPKS6_PS6_PS7_SD_NS0_19identity_decomposerEEE10hipError_tT1_T2_T3_T4_jRjT5_jjP12ihipStream_tbEUlT_E_NS1_11comp_targetILNS1_3genE5ELNS1_11target_archE942ELNS1_3gpuE9ELNS1_3repE0EEENS1_44radix_sort_block_sort_config_static_selectorELNS0_4arch9wavefront6targetE0EEEvSG_,@function
_ZN7rocprim17ROCPRIM_400000_NS6detail17trampoline_kernelINS0_13kernel_configILj256ELj4ELj4294967295EEENS1_37radix_sort_block_sort_config_selectorI6__halfNS0_10empty_typeEEEZNS1_21radix_sort_block_sortIS4_Lb1EPKS6_PS6_PS7_SD_NS0_19identity_decomposerEEE10hipError_tT1_T2_T3_T4_jRjT5_jjP12ihipStream_tbEUlT_E_NS1_11comp_targetILNS1_3genE5ELNS1_11target_archE942ELNS1_3gpuE9ELNS1_3repE0EEENS1_44radix_sort_block_sort_config_static_selectorELNS0_4arch9wavefront6targetE0EEEvSG_: ; @_ZN7rocprim17ROCPRIM_400000_NS6detail17trampoline_kernelINS0_13kernel_configILj256ELj4ELj4294967295EEENS1_37radix_sort_block_sort_config_selectorI6__halfNS0_10empty_typeEEEZNS1_21radix_sort_block_sortIS4_Lb1EPKS6_PS6_PS7_SD_NS0_19identity_decomposerEEE10hipError_tT1_T2_T3_T4_jRjT5_jjP12ihipStream_tbEUlT_E_NS1_11comp_targetILNS1_3genE5ELNS1_11target_archE942ELNS1_3gpuE9ELNS1_3repE0EEENS1_44radix_sort_block_sort_config_static_selectorELNS0_4arch9wavefront6targetE0EEEvSG_
; %bb.0:
	.section	.rodata,"a",@progbits
	.p2align	6, 0x0
	.amdhsa_kernel _ZN7rocprim17ROCPRIM_400000_NS6detail17trampoline_kernelINS0_13kernel_configILj256ELj4ELj4294967295EEENS1_37radix_sort_block_sort_config_selectorI6__halfNS0_10empty_typeEEEZNS1_21radix_sort_block_sortIS4_Lb1EPKS6_PS6_PS7_SD_NS0_19identity_decomposerEEE10hipError_tT1_T2_T3_T4_jRjT5_jjP12ihipStream_tbEUlT_E_NS1_11comp_targetILNS1_3genE5ELNS1_11target_archE942ELNS1_3gpuE9ELNS1_3repE0EEENS1_44radix_sort_block_sort_config_static_selectorELNS0_4arch9wavefront6targetE0EEEvSG_
		.amdhsa_group_segment_fixed_size 0
		.amdhsa_private_segment_fixed_size 0
		.amdhsa_kernarg_size 48
		.amdhsa_user_sgpr_count 2
		.amdhsa_user_sgpr_dispatch_ptr 0
		.amdhsa_user_sgpr_queue_ptr 0
		.amdhsa_user_sgpr_kernarg_segment_ptr 1
		.amdhsa_user_sgpr_dispatch_id 0
		.amdhsa_user_sgpr_kernarg_preload_length 0
		.amdhsa_user_sgpr_kernarg_preload_offset 0
		.amdhsa_user_sgpr_private_segment_size 0
		.amdhsa_wavefront_size32 1
		.amdhsa_uses_dynamic_stack 0
		.amdhsa_enable_private_segment 0
		.amdhsa_system_sgpr_workgroup_id_x 1
		.amdhsa_system_sgpr_workgroup_id_y 0
		.amdhsa_system_sgpr_workgroup_id_z 0
		.amdhsa_system_sgpr_workgroup_info 0
		.amdhsa_system_vgpr_workitem_id 0
		.amdhsa_next_free_vgpr 1
		.amdhsa_next_free_sgpr 1
		.amdhsa_named_barrier_count 0
		.amdhsa_reserve_vcc 0
		.amdhsa_float_round_mode_32 0
		.amdhsa_float_round_mode_16_64 0
		.amdhsa_float_denorm_mode_32 3
		.amdhsa_float_denorm_mode_16_64 3
		.amdhsa_fp16_overflow 0
		.amdhsa_memory_ordered 1
		.amdhsa_forward_progress 1
		.amdhsa_inst_pref_size 0
		.amdhsa_round_robin_scheduling 0
		.amdhsa_exception_fp_ieee_invalid_op 0
		.amdhsa_exception_fp_denorm_src 0
		.amdhsa_exception_fp_ieee_div_zero 0
		.amdhsa_exception_fp_ieee_overflow 0
		.amdhsa_exception_fp_ieee_underflow 0
		.amdhsa_exception_fp_ieee_inexact 0
		.amdhsa_exception_int_div_zero 0
	.end_amdhsa_kernel
	.section	.text._ZN7rocprim17ROCPRIM_400000_NS6detail17trampoline_kernelINS0_13kernel_configILj256ELj4ELj4294967295EEENS1_37radix_sort_block_sort_config_selectorI6__halfNS0_10empty_typeEEEZNS1_21radix_sort_block_sortIS4_Lb1EPKS6_PS6_PS7_SD_NS0_19identity_decomposerEEE10hipError_tT1_T2_T3_T4_jRjT5_jjP12ihipStream_tbEUlT_E_NS1_11comp_targetILNS1_3genE5ELNS1_11target_archE942ELNS1_3gpuE9ELNS1_3repE0EEENS1_44radix_sort_block_sort_config_static_selectorELNS0_4arch9wavefront6targetE0EEEvSG_,"axG",@progbits,_ZN7rocprim17ROCPRIM_400000_NS6detail17trampoline_kernelINS0_13kernel_configILj256ELj4ELj4294967295EEENS1_37radix_sort_block_sort_config_selectorI6__halfNS0_10empty_typeEEEZNS1_21radix_sort_block_sortIS4_Lb1EPKS6_PS6_PS7_SD_NS0_19identity_decomposerEEE10hipError_tT1_T2_T3_T4_jRjT5_jjP12ihipStream_tbEUlT_E_NS1_11comp_targetILNS1_3genE5ELNS1_11target_archE942ELNS1_3gpuE9ELNS1_3repE0EEENS1_44radix_sort_block_sort_config_static_selectorELNS0_4arch9wavefront6targetE0EEEvSG_,comdat
.Lfunc_end2088:
	.size	_ZN7rocprim17ROCPRIM_400000_NS6detail17trampoline_kernelINS0_13kernel_configILj256ELj4ELj4294967295EEENS1_37radix_sort_block_sort_config_selectorI6__halfNS0_10empty_typeEEEZNS1_21radix_sort_block_sortIS4_Lb1EPKS6_PS6_PS7_SD_NS0_19identity_decomposerEEE10hipError_tT1_T2_T3_T4_jRjT5_jjP12ihipStream_tbEUlT_E_NS1_11comp_targetILNS1_3genE5ELNS1_11target_archE942ELNS1_3gpuE9ELNS1_3repE0EEENS1_44radix_sort_block_sort_config_static_selectorELNS0_4arch9wavefront6targetE0EEEvSG_, .Lfunc_end2088-_ZN7rocprim17ROCPRIM_400000_NS6detail17trampoline_kernelINS0_13kernel_configILj256ELj4ELj4294967295EEENS1_37radix_sort_block_sort_config_selectorI6__halfNS0_10empty_typeEEEZNS1_21radix_sort_block_sortIS4_Lb1EPKS6_PS6_PS7_SD_NS0_19identity_decomposerEEE10hipError_tT1_T2_T3_T4_jRjT5_jjP12ihipStream_tbEUlT_E_NS1_11comp_targetILNS1_3genE5ELNS1_11target_archE942ELNS1_3gpuE9ELNS1_3repE0EEENS1_44radix_sort_block_sort_config_static_selectorELNS0_4arch9wavefront6targetE0EEEvSG_
                                        ; -- End function
	.set _ZN7rocprim17ROCPRIM_400000_NS6detail17trampoline_kernelINS0_13kernel_configILj256ELj4ELj4294967295EEENS1_37radix_sort_block_sort_config_selectorI6__halfNS0_10empty_typeEEEZNS1_21radix_sort_block_sortIS4_Lb1EPKS6_PS6_PS7_SD_NS0_19identity_decomposerEEE10hipError_tT1_T2_T3_T4_jRjT5_jjP12ihipStream_tbEUlT_E_NS1_11comp_targetILNS1_3genE5ELNS1_11target_archE942ELNS1_3gpuE9ELNS1_3repE0EEENS1_44radix_sort_block_sort_config_static_selectorELNS0_4arch9wavefront6targetE0EEEvSG_.num_vgpr, 0
	.set _ZN7rocprim17ROCPRIM_400000_NS6detail17trampoline_kernelINS0_13kernel_configILj256ELj4ELj4294967295EEENS1_37radix_sort_block_sort_config_selectorI6__halfNS0_10empty_typeEEEZNS1_21radix_sort_block_sortIS4_Lb1EPKS6_PS6_PS7_SD_NS0_19identity_decomposerEEE10hipError_tT1_T2_T3_T4_jRjT5_jjP12ihipStream_tbEUlT_E_NS1_11comp_targetILNS1_3genE5ELNS1_11target_archE942ELNS1_3gpuE9ELNS1_3repE0EEENS1_44radix_sort_block_sort_config_static_selectorELNS0_4arch9wavefront6targetE0EEEvSG_.num_agpr, 0
	.set _ZN7rocprim17ROCPRIM_400000_NS6detail17trampoline_kernelINS0_13kernel_configILj256ELj4ELj4294967295EEENS1_37radix_sort_block_sort_config_selectorI6__halfNS0_10empty_typeEEEZNS1_21radix_sort_block_sortIS4_Lb1EPKS6_PS6_PS7_SD_NS0_19identity_decomposerEEE10hipError_tT1_T2_T3_T4_jRjT5_jjP12ihipStream_tbEUlT_E_NS1_11comp_targetILNS1_3genE5ELNS1_11target_archE942ELNS1_3gpuE9ELNS1_3repE0EEENS1_44radix_sort_block_sort_config_static_selectorELNS0_4arch9wavefront6targetE0EEEvSG_.numbered_sgpr, 0
	.set _ZN7rocprim17ROCPRIM_400000_NS6detail17trampoline_kernelINS0_13kernel_configILj256ELj4ELj4294967295EEENS1_37radix_sort_block_sort_config_selectorI6__halfNS0_10empty_typeEEEZNS1_21radix_sort_block_sortIS4_Lb1EPKS6_PS6_PS7_SD_NS0_19identity_decomposerEEE10hipError_tT1_T2_T3_T4_jRjT5_jjP12ihipStream_tbEUlT_E_NS1_11comp_targetILNS1_3genE5ELNS1_11target_archE942ELNS1_3gpuE9ELNS1_3repE0EEENS1_44radix_sort_block_sort_config_static_selectorELNS0_4arch9wavefront6targetE0EEEvSG_.num_named_barrier, 0
	.set _ZN7rocprim17ROCPRIM_400000_NS6detail17trampoline_kernelINS0_13kernel_configILj256ELj4ELj4294967295EEENS1_37radix_sort_block_sort_config_selectorI6__halfNS0_10empty_typeEEEZNS1_21radix_sort_block_sortIS4_Lb1EPKS6_PS6_PS7_SD_NS0_19identity_decomposerEEE10hipError_tT1_T2_T3_T4_jRjT5_jjP12ihipStream_tbEUlT_E_NS1_11comp_targetILNS1_3genE5ELNS1_11target_archE942ELNS1_3gpuE9ELNS1_3repE0EEENS1_44radix_sort_block_sort_config_static_selectorELNS0_4arch9wavefront6targetE0EEEvSG_.private_seg_size, 0
	.set _ZN7rocprim17ROCPRIM_400000_NS6detail17trampoline_kernelINS0_13kernel_configILj256ELj4ELj4294967295EEENS1_37radix_sort_block_sort_config_selectorI6__halfNS0_10empty_typeEEEZNS1_21radix_sort_block_sortIS4_Lb1EPKS6_PS6_PS7_SD_NS0_19identity_decomposerEEE10hipError_tT1_T2_T3_T4_jRjT5_jjP12ihipStream_tbEUlT_E_NS1_11comp_targetILNS1_3genE5ELNS1_11target_archE942ELNS1_3gpuE9ELNS1_3repE0EEENS1_44radix_sort_block_sort_config_static_selectorELNS0_4arch9wavefront6targetE0EEEvSG_.uses_vcc, 0
	.set _ZN7rocprim17ROCPRIM_400000_NS6detail17trampoline_kernelINS0_13kernel_configILj256ELj4ELj4294967295EEENS1_37radix_sort_block_sort_config_selectorI6__halfNS0_10empty_typeEEEZNS1_21radix_sort_block_sortIS4_Lb1EPKS6_PS6_PS7_SD_NS0_19identity_decomposerEEE10hipError_tT1_T2_T3_T4_jRjT5_jjP12ihipStream_tbEUlT_E_NS1_11comp_targetILNS1_3genE5ELNS1_11target_archE942ELNS1_3gpuE9ELNS1_3repE0EEENS1_44radix_sort_block_sort_config_static_selectorELNS0_4arch9wavefront6targetE0EEEvSG_.uses_flat_scratch, 0
	.set _ZN7rocprim17ROCPRIM_400000_NS6detail17trampoline_kernelINS0_13kernel_configILj256ELj4ELj4294967295EEENS1_37radix_sort_block_sort_config_selectorI6__halfNS0_10empty_typeEEEZNS1_21radix_sort_block_sortIS4_Lb1EPKS6_PS6_PS7_SD_NS0_19identity_decomposerEEE10hipError_tT1_T2_T3_T4_jRjT5_jjP12ihipStream_tbEUlT_E_NS1_11comp_targetILNS1_3genE5ELNS1_11target_archE942ELNS1_3gpuE9ELNS1_3repE0EEENS1_44radix_sort_block_sort_config_static_selectorELNS0_4arch9wavefront6targetE0EEEvSG_.has_dyn_sized_stack, 0
	.set _ZN7rocprim17ROCPRIM_400000_NS6detail17trampoline_kernelINS0_13kernel_configILj256ELj4ELj4294967295EEENS1_37radix_sort_block_sort_config_selectorI6__halfNS0_10empty_typeEEEZNS1_21radix_sort_block_sortIS4_Lb1EPKS6_PS6_PS7_SD_NS0_19identity_decomposerEEE10hipError_tT1_T2_T3_T4_jRjT5_jjP12ihipStream_tbEUlT_E_NS1_11comp_targetILNS1_3genE5ELNS1_11target_archE942ELNS1_3gpuE9ELNS1_3repE0EEENS1_44radix_sort_block_sort_config_static_selectorELNS0_4arch9wavefront6targetE0EEEvSG_.has_recursion, 0
	.set _ZN7rocprim17ROCPRIM_400000_NS6detail17trampoline_kernelINS0_13kernel_configILj256ELj4ELj4294967295EEENS1_37radix_sort_block_sort_config_selectorI6__halfNS0_10empty_typeEEEZNS1_21radix_sort_block_sortIS4_Lb1EPKS6_PS6_PS7_SD_NS0_19identity_decomposerEEE10hipError_tT1_T2_T3_T4_jRjT5_jjP12ihipStream_tbEUlT_E_NS1_11comp_targetILNS1_3genE5ELNS1_11target_archE942ELNS1_3gpuE9ELNS1_3repE0EEENS1_44radix_sort_block_sort_config_static_selectorELNS0_4arch9wavefront6targetE0EEEvSG_.has_indirect_call, 0
	.section	.AMDGPU.csdata,"",@progbits
; Kernel info:
; codeLenInByte = 0
; TotalNumSgprs: 0
; NumVgprs: 0
; ScratchSize: 0
; MemoryBound: 0
; FloatMode: 240
; IeeeMode: 1
; LDSByteSize: 0 bytes/workgroup (compile time only)
; SGPRBlocks: 0
; VGPRBlocks: 0
; NumSGPRsForWavesPerEU: 1
; NumVGPRsForWavesPerEU: 1
; NamedBarCnt: 0
; Occupancy: 16
; WaveLimiterHint : 0
; COMPUTE_PGM_RSRC2:SCRATCH_EN: 0
; COMPUTE_PGM_RSRC2:USER_SGPR: 2
; COMPUTE_PGM_RSRC2:TRAP_HANDLER: 0
; COMPUTE_PGM_RSRC2:TGID_X_EN: 1
; COMPUTE_PGM_RSRC2:TGID_Y_EN: 0
; COMPUTE_PGM_RSRC2:TGID_Z_EN: 0
; COMPUTE_PGM_RSRC2:TIDIG_COMP_CNT: 0
	.section	.text._ZN7rocprim17ROCPRIM_400000_NS6detail17trampoline_kernelINS0_13kernel_configILj256ELj4ELj4294967295EEENS1_37radix_sort_block_sort_config_selectorI6__halfNS0_10empty_typeEEEZNS1_21radix_sort_block_sortIS4_Lb1EPKS6_PS6_PS7_SD_NS0_19identity_decomposerEEE10hipError_tT1_T2_T3_T4_jRjT5_jjP12ihipStream_tbEUlT_E_NS1_11comp_targetILNS1_3genE4ELNS1_11target_archE910ELNS1_3gpuE8ELNS1_3repE0EEENS1_44radix_sort_block_sort_config_static_selectorELNS0_4arch9wavefront6targetE0EEEvSG_,"axG",@progbits,_ZN7rocprim17ROCPRIM_400000_NS6detail17trampoline_kernelINS0_13kernel_configILj256ELj4ELj4294967295EEENS1_37radix_sort_block_sort_config_selectorI6__halfNS0_10empty_typeEEEZNS1_21radix_sort_block_sortIS4_Lb1EPKS6_PS6_PS7_SD_NS0_19identity_decomposerEEE10hipError_tT1_T2_T3_T4_jRjT5_jjP12ihipStream_tbEUlT_E_NS1_11comp_targetILNS1_3genE4ELNS1_11target_archE910ELNS1_3gpuE8ELNS1_3repE0EEENS1_44radix_sort_block_sort_config_static_selectorELNS0_4arch9wavefront6targetE0EEEvSG_,comdat
	.protected	_ZN7rocprim17ROCPRIM_400000_NS6detail17trampoline_kernelINS0_13kernel_configILj256ELj4ELj4294967295EEENS1_37radix_sort_block_sort_config_selectorI6__halfNS0_10empty_typeEEEZNS1_21radix_sort_block_sortIS4_Lb1EPKS6_PS6_PS7_SD_NS0_19identity_decomposerEEE10hipError_tT1_T2_T3_T4_jRjT5_jjP12ihipStream_tbEUlT_E_NS1_11comp_targetILNS1_3genE4ELNS1_11target_archE910ELNS1_3gpuE8ELNS1_3repE0EEENS1_44radix_sort_block_sort_config_static_selectorELNS0_4arch9wavefront6targetE0EEEvSG_ ; -- Begin function _ZN7rocprim17ROCPRIM_400000_NS6detail17trampoline_kernelINS0_13kernel_configILj256ELj4ELj4294967295EEENS1_37radix_sort_block_sort_config_selectorI6__halfNS0_10empty_typeEEEZNS1_21radix_sort_block_sortIS4_Lb1EPKS6_PS6_PS7_SD_NS0_19identity_decomposerEEE10hipError_tT1_T2_T3_T4_jRjT5_jjP12ihipStream_tbEUlT_E_NS1_11comp_targetILNS1_3genE4ELNS1_11target_archE910ELNS1_3gpuE8ELNS1_3repE0EEENS1_44radix_sort_block_sort_config_static_selectorELNS0_4arch9wavefront6targetE0EEEvSG_
	.globl	_ZN7rocprim17ROCPRIM_400000_NS6detail17trampoline_kernelINS0_13kernel_configILj256ELj4ELj4294967295EEENS1_37radix_sort_block_sort_config_selectorI6__halfNS0_10empty_typeEEEZNS1_21radix_sort_block_sortIS4_Lb1EPKS6_PS6_PS7_SD_NS0_19identity_decomposerEEE10hipError_tT1_T2_T3_T4_jRjT5_jjP12ihipStream_tbEUlT_E_NS1_11comp_targetILNS1_3genE4ELNS1_11target_archE910ELNS1_3gpuE8ELNS1_3repE0EEENS1_44radix_sort_block_sort_config_static_selectorELNS0_4arch9wavefront6targetE0EEEvSG_
	.p2align	8
	.type	_ZN7rocprim17ROCPRIM_400000_NS6detail17trampoline_kernelINS0_13kernel_configILj256ELj4ELj4294967295EEENS1_37radix_sort_block_sort_config_selectorI6__halfNS0_10empty_typeEEEZNS1_21radix_sort_block_sortIS4_Lb1EPKS6_PS6_PS7_SD_NS0_19identity_decomposerEEE10hipError_tT1_T2_T3_T4_jRjT5_jjP12ihipStream_tbEUlT_E_NS1_11comp_targetILNS1_3genE4ELNS1_11target_archE910ELNS1_3gpuE8ELNS1_3repE0EEENS1_44radix_sort_block_sort_config_static_selectorELNS0_4arch9wavefront6targetE0EEEvSG_,@function
_ZN7rocprim17ROCPRIM_400000_NS6detail17trampoline_kernelINS0_13kernel_configILj256ELj4ELj4294967295EEENS1_37radix_sort_block_sort_config_selectorI6__halfNS0_10empty_typeEEEZNS1_21radix_sort_block_sortIS4_Lb1EPKS6_PS6_PS7_SD_NS0_19identity_decomposerEEE10hipError_tT1_T2_T3_T4_jRjT5_jjP12ihipStream_tbEUlT_E_NS1_11comp_targetILNS1_3genE4ELNS1_11target_archE910ELNS1_3gpuE8ELNS1_3repE0EEENS1_44radix_sort_block_sort_config_static_selectorELNS0_4arch9wavefront6targetE0EEEvSG_: ; @_ZN7rocprim17ROCPRIM_400000_NS6detail17trampoline_kernelINS0_13kernel_configILj256ELj4ELj4294967295EEENS1_37radix_sort_block_sort_config_selectorI6__halfNS0_10empty_typeEEEZNS1_21radix_sort_block_sortIS4_Lb1EPKS6_PS6_PS7_SD_NS0_19identity_decomposerEEE10hipError_tT1_T2_T3_T4_jRjT5_jjP12ihipStream_tbEUlT_E_NS1_11comp_targetILNS1_3genE4ELNS1_11target_archE910ELNS1_3gpuE8ELNS1_3repE0EEENS1_44radix_sort_block_sort_config_static_selectorELNS0_4arch9wavefront6targetE0EEEvSG_
; %bb.0:
	.section	.rodata,"a",@progbits
	.p2align	6, 0x0
	.amdhsa_kernel _ZN7rocprim17ROCPRIM_400000_NS6detail17trampoline_kernelINS0_13kernel_configILj256ELj4ELj4294967295EEENS1_37radix_sort_block_sort_config_selectorI6__halfNS0_10empty_typeEEEZNS1_21radix_sort_block_sortIS4_Lb1EPKS6_PS6_PS7_SD_NS0_19identity_decomposerEEE10hipError_tT1_T2_T3_T4_jRjT5_jjP12ihipStream_tbEUlT_E_NS1_11comp_targetILNS1_3genE4ELNS1_11target_archE910ELNS1_3gpuE8ELNS1_3repE0EEENS1_44radix_sort_block_sort_config_static_selectorELNS0_4arch9wavefront6targetE0EEEvSG_
		.amdhsa_group_segment_fixed_size 0
		.amdhsa_private_segment_fixed_size 0
		.amdhsa_kernarg_size 48
		.amdhsa_user_sgpr_count 2
		.amdhsa_user_sgpr_dispatch_ptr 0
		.amdhsa_user_sgpr_queue_ptr 0
		.amdhsa_user_sgpr_kernarg_segment_ptr 1
		.amdhsa_user_sgpr_dispatch_id 0
		.amdhsa_user_sgpr_kernarg_preload_length 0
		.amdhsa_user_sgpr_kernarg_preload_offset 0
		.amdhsa_user_sgpr_private_segment_size 0
		.amdhsa_wavefront_size32 1
		.amdhsa_uses_dynamic_stack 0
		.amdhsa_enable_private_segment 0
		.amdhsa_system_sgpr_workgroup_id_x 1
		.amdhsa_system_sgpr_workgroup_id_y 0
		.amdhsa_system_sgpr_workgroup_id_z 0
		.amdhsa_system_sgpr_workgroup_info 0
		.amdhsa_system_vgpr_workitem_id 0
		.amdhsa_next_free_vgpr 1
		.amdhsa_next_free_sgpr 1
		.amdhsa_named_barrier_count 0
		.amdhsa_reserve_vcc 0
		.amdhsa_float_round_mode_32 0
		.amdhsa_float_round_mode_16_64 0
		.amdhsa_float_denorm_mode_32 3
		.amdhsa_float_denorm_mode_16_64 3
		.amdhsa_fp16_overflow 0
		.amdhsa_memory_ordered 1
		.amdhsa_forward_progress 1
		.amdhsa_inst_pref_size 0
		.amdhsa_round_robin_scheduling 0
		.amdhsa_exception_fp_ieee_invalid_op 0
		.amdhsa_exception_fp_denorm_src 0
		.amdhsa_exception_fp_ieee_div_zero 0
		.amdhsa_exception_fp_ieee_overflow 0
		.amdhsa_exception_fp_ieee_underflow 0
		.amdhsa_exception_fp_ieee_inexact 0
		.amdhsa_exception_int_div_zero 0
	.end_amdhsa_kernel
	.section	.text._ZN7rocprim17ROCPRIM_400000_NS6detail17trampoline_kernelINS0_13kernel_configILj256ELj4ELj4294967295EEENS1_37radix_sort_block_sort_config_selectorI6__halfNS0_10empty_typeEEEZNS1_21radix_sort_block_sortIS4_Lb1EPKS6_PS6_PS7_SD_NS0_19identity_decomposerEEE10hipError_tT1_T2_T3_T4_jRjT5_jjP12ihipStream_tbEUlT_E_NS1_11comp_targetILNS1_3genE4ELNS1_11target_archE910ELNS1_3gpuE8ELNS1_3repE0EEENS1_44radix_sort_block_sort_config_static_selectorELNS0_4arch9wavefront6targetE0EEEvSG_,"axG",@progbits,_ZN7rocprim17ROCPRIM_400000_NS6detail17trampoline_kernelINS0_13kernel_configILj256ELj4ELj4294967295EEENS1_37radix_sort_block_sort_config_selectorI6__halfNS0_10empty_typeEEEZNS1_21radix_sort_block_sortIS4_Lb1EPKS6_PS6_PS7_SD_NS0_19identity_decomposerEEE10hipError_tT1_T2_T3_T4_jRjT5_jjP12ihipStream_tbEUlT_E_NS1_11comp_targetILNS1_3genE4ELNS1_11target_archE910ELNS1_3gpuE8ELNS1_3repE0EEENS1_44radix_sort_block_sort_config_static_selectorELNS0_4arch9wavefront6targetE0EEEvSG_,comdat
.Lfunc_end2089:
	.size	_ZN7rocprim17ROCPRIM_400000_NS6detail17trampoline_kernelINS0_13kernel_configILj256ELj4ELj4294967295EEENS1_37radix_sort_block_sort_config_selectorI6__halfNS0_10empty_typeEEEZNS1_21radix_sort_block_sortIS4_Lb1EPKS6_PS6_PS7_SD_NS0_19identity_decomposerEEE10hipError_tT1_T2_T3_T4_jRjT5_jjP12ihipStream_tbEUlT_E_NS1_11comp_targetILNS1_3genE4ELNS1_11target_archE910ELNS1_3gpuE8ELNS1_3repE0EEENS1_44radix_sort_block_sort_config_static_selectorELNS0_4arch9wavefront6targetE0EEEvSG_, .Lfunc_end2089-_ZN7rocprim17ROCPRIM_400000_NS6detail17trampoline_kernelINS0_13kernel_configILj256ELj4ELj4294967295EEENS1_37radix_sort_block_sort_config_selectorI6__halfNS0_10empty_typeEEEZNS1_21radix_sort_block_sortIS4_Lb1EPKS6_PS6_PS7_SD_NS0_19identity_decomposerEEE10hipError_tT1_T2_T3_T4_jRjT5_jjP12ihipStream_tbEUlT_E_NS1_11comp_targetILNS1_3genE4ELNS1_11target_archE910ELNS1_3gpuE8ELNS1_3repE0EEENS1_44radix_sort_block_sort_config_static_selectorELNS0_4arch9wavefront6targetE0EEEvSG_
                                        ; -- End function
	.set _ZN7rocprim17ROCPRIM_400000_NS6detail17trampoline_kernelINS0_13kernel_configILj256ELj4ELj4294967295EEENS1_37radix_sort_block_sort_config_selectorI6__halfNS0_10empty_typeEEEZNS1_21radix_sort_block_sortIS4_Lb1EPKS6_PS6_PS7_SD_NS0_19identity_decomposerEEE10hipError_tT1_T2_T3_T4_jRjT5_jjP12ihipStream_tbEUlT_E_NS1_11comp_targetILNS1_3genE4ELNS1_11target_archE910ELNS1_3gpuE8ELNS1_3repE0EEENS1_44radix_sort_block_sort_config_static_selectorELNS0_4arch9wavefront6targetE0EEEvSG_.num_vgpr, 0
	.set _ZN7rocprim17ROCPRIM_400000_NS6detail17trampoline_kernelINS0_13kernel_configILj256ELj4ELj4294967295EEENS1_37radix_sort_block_sort_config_selectorI6__halfNS0_10empty_typeEEEZNS1_21radix_sort_block_sortIS4_Lb1EPKS6_PS6_PS7_SD_NS0_19identity_decomposerEEE10hipError_tT1_T2_T3_T4_jRjT5_jjP12ihipStream_tbEUlT_E_NS1_11comp_targetILNS1_3genE4ELNS1_11target_archE910ELNS1_3gpuE8ELNS1_3repE0EEENS1_44radix_sort_block_sort_config_static_selectorELNS0_4arch9wavefront6targetE0EEEvSG_.num_agpr, 0
	.set _ZN7rocprim17ROCPRIM_400000_NS6detail17trampoline_kernelINS0_13kernel_configILj256ELj4ELj4294967295EEENS1_37radix_sort_block_sort_config_selectorI6__halfNS0_10empty_typeEEEZNS1_21radix_sort_block_sortIS4_Lb1EPKS6_PS6_PS7_SD_NS0_19identity_decomposerEEE10hipError_tT1_T2_T3_T4_jRjT5_jjP12ihipStream_tbEUlT_E_NS1_11comp_targetILNS1_3genE4ELNS1_11target_archE910ELNS1_3gpuE8ELNS1_3repE0EEENS1_44radix_sort_block_sort_config_static_selectorELNS0_4arch9wavefront6targetE0EEEvSG_.numbered_sgpr, 0
	.set _ZN7rocprim17ROCPRIM_400000_NS6detail17trampoline_kernelINS0_13kernel_configILj256ELj4ELj4294967295EEENS1_37radix_sort_block_sort_config_selectorI6__halfNS0_10empty_typeEEEZNS1_21radix_sort_block_sortIS4_Lb1EPKS6_PS6_PS7_SD_NS0_19identity_decomposerEEE10hipError_tT1_T2_T3_T4_jRjT5_jjP12ihipStream_tbEUlT_E_NS1_11comp_targetILNS1_3genE4ELNS1_11target_archE910ELNS1_3gpuE8ELNS1_3repE0EEENS1_44radix_sort_block_sort_config_static_selectorELNS0_4arch9wavefront6targetE0EEEvSG_.num_named_barrier, 0
	.set _ZN7rocprim17ROCPRIM_400000_NS6detail17trampoline_kernelINS0_13kernel_configILj256ELj4ELj4294967295EEENS1_37radix_sort_block_sort_config_selectorI6__halfNS0_10empty_typeEEEZNS1_21radix_sort_block_sortIS4_Lb1EPKS6_PS6_PS7_SD_NS0_19identity_decomposerEEE10hipError_tT1_T2_T3_T4_jRjT5_jjP12ihipStream_tbEUlT_E_NS1_11comp_targetILNS1_3genE4ELNS1_11target_archE910ELNS1_3gpuE8ELNS1_3repE0EEENS1_44radix_sort_block_sort_config_static_selectorELNS0_4arch9wavefront6targetE0EEEvSG_.private_seg_size, 0
	.set _ZN7rocprim17ROCPRIM_400000_NS6detail17trampoline_kernelINS0_13kernel_configILj256ELj4ELj4294967295EEENS1_37radix_sort_block_sort_config_selectorI6__halfNS0_10empty_typeEEEZNS1_21radix_sort_block_sortIS4_Lb1EPKS6_PS6_PS7_SD_NS0_19identity_decomposerEEE10hipError_tT1_T2_T3_T4_jRjT5_jjP12ihipStream_tbEUlT_E_NS1_11comp_targetILNS1_3genE4ELNS1_11target_archE910ELNS1_3gpuE8ELNS1_3repE0EEENS1_44radix_sort_block_sort_config_static_selectorELNS0_4arch9wavefront6targetE0EEEvSG_.uses_vcc, 0
	.set _ZN7rocprim17ROCPRIM_400000_NS6detail17trampoline_kernelINS0_13kernel_configILj256ELj4ELj4294967295EEENS1_37radix_sort_block_sort_config_selectorI6__halfNS0_10empty_typeEEEZNS1_21radix_sort_block_sortIS4_Lb1EPKS6_PS6_PS7_SD_NS0_19identity_decomposerEEE10hipError_tT1_T2_T3_T4_jRjT5_jjP12ihipStream_tbEUlT_E_NS1_11comp_targetILNS1_3genE4ELNS1_11target_archE910ELNS1_3gpuE8ELNS1_3repE0EEENS1_44radix_sort_block_sort_config_static_selectorELNS0_4arch9wavefront6targetE0EEEvSG_.uses_flat_scratch, 0
	.set _ZN7rocprim17ROCPRIM_400000_NS6detail17trampoline_kernelINS0_13kernel_configILj256ELj4ELj4294967295EEENS1_37radix_sort_block_sort_config_selectorI6__halfNS0_10empty_typeEEEZNS1_21radix_sort_block_sortIS4_Lb1EPKS6_PS6_PS7_SD_NS0_19identity_decomposerEEE10hipError_tT1_T2_T3_T4_jRjT5_jjP12ihipStream_tbEUlT_E_NS1_11comp_targetILNS1_3genE4ELNS1_11target_archE910ELNS1_3gpuE8ELNS1_3repE0EEENS1_44radix_sort_block_sort_config_static_selectorELNS0_4arch9wavefront6targetE0EEEvSG_.has_dyn_sized_stack, 0
	.set _ZN7rocprim17ROCPRIM_400000_NS6detail17trampoline_kernelINS0_13kernel_configILj256ELj4ELj4294967295EEENS1_37radix_sort_block_sort_config_selectorI6__halfNS0_10empty_typeEEEZNS1_21radix_sort_block_sortIS4_Lb1EPKS6_PS6_PS7_SD_NS0_19identity_decomposerEEE10hipError_tT1_T2_T3_T4_jRjT5_jjP12ihipStream_tbEUlT_E_NS1_11comp_targetILNS1_3genE4ELNS1_11target_archE910ELNS1_3gpuE8ELNS1_3repE0EEENS1_44radix_sort_block_sort_config_static_selectorELNS0_4arch9wavefront6targetE0EEEvSG_.has_recursion, 0
	.set _ZN7rocprim17ROCPRIM_400000_NS6detail17trampoline_kernelINS0_13kernel_configILj256ELj4ELj4294967295EEENS1_37radix_sort_block_sort_config_selectorI6__halfNS0_10empty_typeEEEZNS1_21radix_sort_block_sortIS4_Lb1EPKS6_PS6_PS7_SD_NS0_19identity_decomposerEEE10hipError_tT1_T2_T3_T4_jRjT5_jjP12ihipStream_tbEUlT_E_NS1_11comp_targetILNS1_3genE4ELNS1_11target_archE910ELNS1_3gpuE8ELNS1_3repE0EEENS1_44radix_sort_block_sort_config_static_selectorELNS0_4arch9wavefront6targetE0EEEvSG_.has_indirect_call, 0
	.section	.AMDGPU.csdata,"",@progbits
; Kernel info:
; codeLenInByte = 0
; TotalNumSgprs: 0
; NumVgprs: 0
; ScratchSize: 0
; MemoryBound: 0
; FloatMode: 240
; IeeeMode: 1
; LDSByteSize: 0 bytes/workgroup (compile time only)
; SGPRBlocks: 0
; VGPRBlocks: 0
; NumSGPRsForWavesPerEU: 1
; NumVGPRsForWavesPerEU: 1
; NamedBarCnt: 0
; Occupancy: 16
; WaveLimiterHint : 0
; COMPUTE_PGM_RSRC2:SCRATCH_EN: 0
; COMPUTE_PGM_RSRC2:USER_SGPR: 2
; COMPUTE_PGM_RSRC2:TRAP_HANDLER: 0
; COMPUTE_PGM_RSRC2:TGID_X_EN: 1
; COMPUTE_PGM_RSRC2:TGID_Y_EN: 0
; COMPUTE_PGM_RSRC2:TGID_Z_EN: 0
; COMPUTE_PGM_RSRC2:TIDIG_COMP_CNT: 0
	.section	.text._ZN7rocprim17ROCPRIM_400000_NS6detail17trampoline_kernelINS0_13kernel_configILj256ELj4ELj4294967295EEENS1_37radix_sort_block_sort_config_selectorI6__halfNS0_10empty_typeEEEZNS1_21radix_sort_block_sortIS4_Lb1EPKS6_PS6_PS7_SD_NS0_19identity_decomposerEEE10hipError_tT1_T2_T3_T4_jRjT5_jjP12ihipStream_tbEUlT_E_NS1_11comp_targetILNS1_3genE3ELNS1_11target_archE908ELNS1_3gpuE7ELNS1_3repE0EEENS1_44radix_sort_block_sort_config_static_selectorELNS0_4arch9wavefront6targetE0EEEvSG_,"axG",@progbits,_ZN7rocprim17ROCPRIM_400000_NS6detail17trampoline_kernelINS0_13kernel_configILj256ELj4ELj4294967295EEENS1_37radix_sort_block_sort_config_selectorI6__halfNS0_10empty_typeEEEZNS1_21radix_sort_block_sortIS4_Lb1EPKS6_PS6_PS7_SD_NS0_19identity_decomposerEEE10hipError_tT1_T2_T3_T4_jRjT5_jjP12ihipStream_tbEUlT_E_NS1_11comp_targetILNS1_3genE3ELNS1_11target_archE908ELNS1_3gpuE7ELNS1_3repE0EEENS1_44radix_sort_block_sort_config_static_selectorELNS0_4arch9wavefront6targetE0EEEvSG_,comdat
	.protected	_ZN7rocprim17ROCPRIM_400000_NS6detail17trampoline_kernelINS0_13kernel_configILj256ELj4ELj4294967295EEENS1_37radix_sort_block_sort_config_selectorI6__halfNS0_10empty_typeEEEZNS1_21radix_sort_block_sortIS4_Lb1EPKS6_PS6_PS7_SD_NS0_19identity_decomposerEEE10hipError_tT1_T2_T3_T4_jRjT5_jjP12ihipStream_tbEUlT_E_NS1_11comp_targetILNS1_3genE3ELNS1_11target_archE908ELNS1_3gpuE7ELNS1_3repE0EEENS1_44radix_sort_block_sort_config_static_selectorELNS0_4arch9wavefront6targetE0EEEvSG_ ; -- Begin function _ZN7rocprim17ROCPRIM_400000_NS6detail17trampoline_kernelINS0_13kernel_configILj256ELj4ELj4294967295EEENS1_37radix_sort_block_sort_config_selectorI6__halfNS0_10empty_typeEEEZNS1_21radix_sort_block_sortIS4_Lb1EPKS6_PS6_PS7_SD_NS0_19identity_decomposerEEE10hipError_tT1_T2_T3_T4_jRjT5_jjP12ihipStream_tbEUlT_E_NS1_11comp_targetILNS1_3genE3ELNS1_11target_archE908ELNS1_3gpuE7ELNS1_3repE0EEENS1_44radix_sort_block_sort_config_static_selectorELNS0_4arch9wavefront6targetE0EEEvSG_
	.globl	_ZN7rocprim17ROCPRIM_400000_NS6detail17trampoline_kernelINS0_13kernel_configILj256ELj4ELj4294967295EEENS1_37radix_sort_block_sort_config_selectorI6__halfNS0_10empty_typeEEEZNS1_21radix_sort_block_sortIS4_Lb1EPKS6_PS6_PS7_SD_NS0_19identity_decomposerEEE10hipError_tT1_T2_T3_T4_jRjT5_jjP12ihipStream_tbEUlT_E_NS1_11comp_targetILNS1_3genE3ELNS1_11target_archE908ELNS1_3gpuE7ELNS1_3repE0EEENS1_44radix_sort_block_sort_config_static_selectorELNS0_4arch9wavefront6targetE0EEEvSG_
	.p2align	8
	.type	_ZN7rocprim17ROCPRIM_400000_NS6detail17trampoline_kernelINS0_13kernel_configILj256ELj4ELj4294967295EEENS1_37radix_sort_block_sort_config_selectorI6__halfNS0_10empty_typeEEEZNS1_21radix_sort_block_sortIS4_Lb1EPKS6_PS6_PS7_SD_NS0_19identity_decomposerEEE10hipError_tT1_T2_T3_T4_jRjT5_jjP12ihipStream_tbEUlT_E_NS1_11comp_targetILNS1_3genE3ELNS1_11target_archE908ELNS1_3gpuE7ELNS1_3repE0EEENS1_44radix_sort_block_sort_config_static_selectorELNS0_4arch9wavefront6targetE0EEEvSG_,@function
_ZN7rocprim17ROCPRIM_400000_NS6detail17trampoline_kernelINS0_13kernel_configILj256ELj4ELj4294967295EEENS1_37radix_sort_block_sort_config_selectorI6__halfNS0_10empty_typeEEEZNS1_21radix_sort_block_sortIS4_Lb1EPKS6_PS6_PS7_SD_NS0_19identity_decomposerEEE10hipError_tT1_T2_T3_T4_jRjT5_jjP12ihipStream_tbEUlT_E_NS1_11comp_targetILNS1_3genE3ELNS1_11target_archE908ELNS1_3gpuE7ELNS1_3repE0EEENS1_44radix_sort_block_sort_config_static_selectorELNS0_4arch9wavefront6targetE0EEEvSG_: ; @_ZN7rocprim17ROCPRIM_400000_NS6detail17trampoline_kernelINS0_13kernel_configILj256ELj4ELj4294967295EEENS1_37radix_sort_block_sort_config_selectorI6__halfNS0_10empty_typeEEEZNS1_21radix_sort_block_sortIS4_Lb1EPKS6_PS6_PS7_SD_NS0_19identity_decomposerEEE10hipError_tT1_T2_T3_T4_jRjT5_jjP12ihipStream_tbEUlT_E_NS1_11comp_targetILNS1_3genE3ELNS1_11target_archE908ELNS1_3gpuE7ELNS1_3repE0EEENS1_44radix_sort_block_sort_config_static_selectorELNS0_4arch9wavefront6targetE0EEEvSG_
; %bb.0:
	.section	.rodata,"a",@progbits
	.p2align	6, 0x0
	.amdhsa_kernel _ZN7rocprim17ROCPRIM_400000_NS6detail17trampoline_kernelINS0_13kernel_configILj256ELj4ELj4294967295EEENS1_37radix_sort_block_sort_config_selectorI6__halfNS0_10empty_typeEEEZNS1_21radix_sort_block_sortIS4_Lb1EPKS6_PS6_PS7_SD_NS0_19identity_decomposerEEE10hipError_tT1_T2_T3_T4_jRjT5_jjP12ihipStream_tbEUlT_E_NS1_11comp_targetILNS1_3genE3ELNS1_11target_archE908ELNS1_3gpuE7ELNS1_3repE0EEENS1_44radix_sort_block_sort_config_static_selectorELNS0_4arch9wavefront6targetE0EEEvSG_
		.amdhsa_group_segment_fixed_size 0
		.amdhsa_private_segment_fixed_size 0
		.amdhsa_kernarg_size 48
		.amdhsa_user_sgpr_count 2
		.amdhsa_user_sgpr_dispatch_ptr 0
		.amdhsa_user_sgpr_queue_ptr 0
		.amdhsa_user_sgpr_kernarg_segment_ptr 1
		.amdhsa_user_sgpr_dispatch_id 0
		.amdhsa_user_sgpr_kernarg_preload_length 0
		.amdhsa_user_sgpr_kernarg_preload_offset 0
		.amdhsa_user_sgpr_private_segment_size 0
		.amdhsa_wavefront_size32 1
		.amdhsa_uses_dynamic_stack 0
		.amdhsa_enable_private_segment 0
		.amdhsa_system_sgpr_workgroup_id_x 1
		.amdhsa_system_sgpr_workgroup_id_y 0
		.amdhsa_system_sgpr_workgroup_id_z 0
		.amdhsa_system_sgpr_workgroup_info 0
		.amdhsa_system_vgpr_workitem_id 0
		.amdhsa_next_free_vgpr 1
		.amdhsa_next_free_sgpr 1
		.amdhsa_named_barrier_count 0
		.amdhsa_reserve_vcc 0
		.amdhsa_float_round_mode_32 0
		.amdhsa_float_round_mode_16_64 0
		.amdhsa_float_denorm_mode_32 3
		.amdhsa_float_denorm_mode_16_64 3
		.amdhsa_fp16_overflow 0
		.amdhsa_memory_ordered 1
		.amdhsa_forward_progress 1
		.amdhsa_inst_pref_size 0
		.amdhsa_round_robin_scheduling 0
		.amdhsa_exception_fp_ieee_invalid_op 0
		.amdhsa_exception_fp_denorm_src 0
		.amdhsa_exception_fp_ieee_div_zero 0
		.amdhsa_exception_fp_ieee_overflow 0
		.amdhsa_exception_fp_ieee_underflow 0
		.amdhsa_exception_fp_ieee_inexact 0
		.amdhsa_exception_int_div_zero 0
	.end_amdhsa_kernel
	.section	.text._ZN7rocprim17ROCPRIM_400000_NS6detail17trampoline_kernelINS0_13kernel_configILj256ELj4ELj4294967295EEENS1_37radix_sort_block_sort_config_selectorI6__halfNS0_10empty_typeEEEZNS1_21radix_sort_block_sortIS4_Lb1EPKS6_PS6_PS7_SD_NS0_19identity_decomposerEEE10hipError_tT1_T2_T3_T4_jRjT5_jjP12ihipStream_tbEUlT_E_NS1_11comp_targetILNS1_3genE3ELNS1_11target_archE908ELNS1_3gpuE7ELNS1_3repE0EEENS1_44radix_sort_block_sort_config_static_selectorELNS0_4arch9wavefront6targetE0EEEvSG_,"axG",@progbits,_ZN7rocprim17ROCPRIM_400000_NS6detail17trampoline_kernelINS0_13kernel_configILj256ELj4ELj4294967295EEENS1_37radix_sort_block_sort_config_selectorI6__halfNS0_10empty_typeEEEZNS1_21radix_sort_block_sortIS4_Lb1EPKS6_PS6_PS7_SD_NS0_19identity_decomposerEEE10hipError_tT1_T2_T3_T4_jRjT5_jjP12ihipStream_tbEUlT_E_NS1_11comp_targetILNS1_3genE3ELNS1_11target_archE908ELNS1_3gpuE7ELNS1_3repE0EEENS1_44radix_sort_block_sort_config_static_selectorELNS0_4arch9wavefront6targetE0EEEvSG_,comdat
.Lfunc_end2090:
	.size	_ZN7rocprim17ROCPRIM_400000_NS6detail17trampoline_kernelINS0_13kernel_configILj256ELj4ELj4294967295EEENS1_37radix_sort_block_sort_config_selectorI6__halfNS0_10empty_typeEEEZNS1_21radix_sort_block_sortIS4_Lb1EPKS6_PS6_PS7_SD_NS0_19identity_decomposerEEE10hipError_tT1_T2_T3_T4_jRjT5_jjP12ihipStream_tbEUlT_E_NS1_11comp_targetILNS1_3genE3ELNS1_11target_archE908ELNS1_3gpuE7ELNS1_3repE0EEENS1_44radix_sort_block_sort_config_static_selectorELNS0_4arch9wavefront6targetE0EEEvSG_, .Lfunc_end2090-_ZN7rocprim17ROCPRIM_400000_NS6detail17trampoline_kernelINS0_13kernel_configILj256ELj4ELj4294967295EEENS1_37radix_sort_block_sort_config_selectorI6__halfNS0_10empty_typeEEEZNS1_21radix_sort_block_sortIS4_Lb1EPKS6_PS6_PS7_SD_NS0_19identity_decomposerEEE10hipError_tT1_T2_T3_T4_jRjT5_jjP12ihipStream_tbEUlT_E_NS1_11comp_targetILNS1_3genE3ELNS1_11target_archE908ELNS1_3gpuE7ELNS1_3repE0EEENS1_44radix_sort_block_sort_config_static_selectorELNS0_4arch9wavefront6targetE0EEEvSG_
                                        ; -- End function
	.set _ZN7rocprim17ROCPRIM_400000_NS6detail17trampoline_kernelINS0_13kernel_configILj256ELj4ELj4294967295EEENS1_37radix_sort_block_sort_config_selectorI6__halfNS0_10empty_typeEEEZNS1_21radix_sort_block_sortIS4_Lb1EPKS6_PS6_PS7_SD_NS0_19identity_decomposerEEE10hipError_tT1_T2_T3_T4_jRjT5_jjP12ihipStream_tbEUlT_E_NS1_11comp_targetILNS1_3genE3ELNS1_11target_archE908ELNS1_3gpuE7ELNS1_3repE0EEENS1_44radix_sort_block_sort_config_static_selectorELNS0_4arch9wavefront6targetE0EEEvSG_.num_vgpr, 0
	.set _ZN7rocprim17ROCPRIM_400000_NS6detail17trampoline_kernelINS0_13kernel_configILj256ELj4ELj4294967295EEENS1_37radix_sort_block_sort_config_selectorI6__halfNS0_10empty_typeEEEZNS1_21radix_sort_block_sortIS4_Lb1EPKS6_PS6_PS7_SD_NS0_19identity_decomposerEEE10hipError_tT1_T2_T3_T4_jRjT5_jjP12ihipStream_tbEUlT_E_NS1_11comp_targetILNS1_3genE3ELNS1_11target_archE908ELNS1_3gpuE7ELNS1_3repE0EEENS1_44radix_sort_block_sort_config_static_selectorELNS0_4arch9wavefront6targetE0EEEvSG_.num_agpr, 0
	.set _ZN7rocprim17ROCPRIM_400000_NS6detail17trampoline_kernelINS0_13kernel_configILj256ELj4ELj4294967295EEENS1_37radix_sort_block_sort_config_selectorI6__halfNS0_10empty_typeEEEZNS1_21radix_sort_block_sortIS4_Lb1EPKS6_PS6_PS7_SD_NS0_19identity_decomposerEEE10hipError_tT1_T2_T3_T4_jRjT5_jjP12ihipStream_tbEUlT_E_NS1_11comp_targetILNS1_3genE3ELNS1_11target_archE908ELNS1_3gpuE7ELNS1_3repE0EEENS1_44radix_sort_block_sort_config_static_selectorELNS0_4arch9wavefront6targetE0EEEvSG_.numbered_sgpr, 0
	.set _ZN7rocprim17ROCPRIM_400000_NS6detail17trampoline_kernelINS0_13kernel_configILj256ELj4ELj4294967295EEENS1_37radix_sort_block_sort_config_selectorI6__halfNS0_10empty_typeEEEZNS1_21radix_sort_block_sortIS4_Lb1EPKS6_PS6_PS7_SD_NS0_19identity_decomposerEEE10hipError_tT1_T2_T3_T4_jRjT5_jjP12ihipStream_tbEUlT_E_NS1_11comp_targetILNS1_3genE3ELNS1_11target_archE908ELNS1_3gpuE7ELNS1_3repE0EEENS1_44radix_sort_block_sort_config_static_selectorELNS0_4arch9wavefront6targetE0EEEvSG_.num_named_barrier, 0
	.set _ZN7rocprim17ROCPRIM_400000_NS6detail17trampoline_kernelINS0_13kernel_configILj256ELj4ELj4294967295EEENS1_37radix_sort_block_sort_config_selectorI6__halfNS0_10empty_typeEEEZNS1_21radix_sort_block_sortIS4_Lb1EPKS6_PS6_PS7_SD_NS0_19identity_decomposerEEE10hipError_tT1_T2_T3_T4_jRjT5_jjP12ihipStream_tbEUlT_E_NS1_11comp_targetILNS1_3genE3ELNS1_11target_archE908ELNS1_3gpuE7ELNS1_3repE0EEENS1_44radix_sort_block_sort_config_static_selectorELNS0_4arch9wavefront6targetE0EEEvSG_.private_seg_size, 0
	.set _ZN7rocprim17ROCPRIM_400000_NS6detail17trampoline_kernelINS0_13kernel_configILj256ELj4ELj4294967295EEENS1_37radix_sort_block_sort_config_selectorI6__halfNS0_10empty_typeEEEZNS1_21radix_sort_block_sortIS4_Lb1EPKS6_PS6_PS7_SD_NS0_19identity_decomposerEEE10hipError_tT1_T2_T3_T4_jRjT5_jjP12ihipStream_tbEUlT_E_NS1_11comp_targetILNS1_3genE3ELNS1_11target_archE908ELNS1_3gpuE7ELNS1_3repE0EEENS1_44radix_sort_block_sort_config_static_selectorELNS0_4arch9wavefront6targetE0EEEvSG_.uses_vcc, 0
	.set _ZN7rocprim17ROCPRIM_400000_NS6detail17trampoline_kernelINS0_13kernel_configILj256ELj4ELj4294967295EEENS1_37radix_sort_block_sort_config_selectorI6__halfNS0_10empty_typeEEEZNS1_21radix_sort_block_sortIS4_Lb1EPKS6_PS6_PS7_SD_NS0_19identity_decomposerEEE10hipError_tT1_T2_T3_T4_jRjT5_jjP12ihipStream_tbEUlT_E_NS1_11comp_targetILNS1_3genE3ELNS1_11target_archE908ELNS1_3gpuE7ELNS1_3repE0EEENS1_44radix_sort_block_sort_config_static_selectorELNS0_4arch9wavefront6targetE0EEEvSG_.uses_flat_scratch, 0
	.set _ZN7rocprim17ROCPRIM_400000_NS6detail17trampoline_kernelINS0_13kernel_configILj256ELj4ELj4294967295EEENS1_37radix_sort_block_sort_config_selectorI6__halfNS0_10empty_typeEEEZNS1_21radix_sort_block_sortIS4_Lb1EPKS6_PS6_PS7_SD_NS0_19identity_decomposerEEE10hipError_tT1_T2_T3_T4_jRjT5_jjP12ihipStream_tbEUlT_E_NS1_11comp_targetILNS1_3genE3ELNS1_11target_archE908ELNS1_3gpuE7ELNS1_3repE0EEENS1_44radix_sort_block_sort_config_static_selectorELNS0_4arch9wavefront6targetE0EEEvSG_.has_dyn_sized_stack, 0
	.set _ZN7rocprim17ROCPRIM_400000_NS6detail17trampoline_kernelINS0_13kernel_configILj256ELj4ELj4294967295EEENS1_37radix_sort_block_sort_config_selectorI6__halfNS0_10empty_typeEEEZNS1_21radix_sort_block_sortIS4_Lb1EPKS6_PS6_PS7_SD_NS0_19identity_decomposerEEE10hipError_tT1_T2_T3_T4_jRjT5_jjP12ihipStream_tbEUlT_E_NS1_11comp_targetILNS1_3genE3ELNS1_11target_archE908ELNS1_3gpuE7ELNS1_3repE0EEENS1_44radix_sort_block_sort_config_static_selectorELNS0_4arch9wavefront6targetE0EEEvSG_.has_recursion, 0
	.set _ZN7rocprim17ROCPRIM_400000_NS6detail17trampoline_kernelINS0_13kernel_configILj256ELj4ELj4294967295EEENS1_37radix_sort_block_sort_config_selectorI6__halfNS0_10empty_typeEEEZNS1_21radix_sort_block_sortIS4_Lb1EPKS6_PS6_PS7_SD_NS0_19identity_decomposerEEE10hipError_tT1_T2_T3_T4_jRjT5_jjP12ihipStream_tbEUlT_E_NS1_11comp_targetILNS1_3genE3ELNS1_11target_archE908ELNS1_3gpuE7ELNS1_3repE0EEENS1_44radix_sort_block_sort_config_static_selectorELNS0_4arch9wavefront6targetE0EEEvSG_.has_indirect_call, 0
	.section	.AMDGPU.csdata,"",@progbits
; Kernel info:
; codeLenInByte = 0
; TotalNumSgprs: 0
; NumVgprs: 0
; ScratchSize: 0
; MemoryBound: 0
; FloatMode: 240
; IeeeMode: 1
; LDSByteSize: 0 bytes/workgroup (compile time only)
; SGPRBlocks: 0
; VGPRBlocks: 0
; NumSGPRsForWavesPerEU: 1
; NumVGPRsForWavesPerEU: 1
; NamedBarCnt: 0
; Occupancy: 16
; WaveLimiterHint : 0
; COMPUTE_PGM_RSRC2:SCRATCH_EN: 0
; COMPUTE_PGM_RSRC2:USER_SGPR: 2
; COMPUTE_PGM_RSRC2:TRAP_HANDLER: 0
; COMPUTE_PGM_RSRC2:TGID_X_EN: 1
; COMPUTE_PGM_RSRC2:TGID_Y_EN: 0
; COMPUTE_PGM_RSRC2:TGID_Z_EN: 0
; COMPUTE_PGM_RSRC2:TIDIG_COMP_CNT: 0
	.section	.text._ZN7rocprim17ROCPRIM_400000_NS6detail17trampoline_kernelINS0_13kernel_configILj256ELj4ELj4294967295EEENS1_37radix_sort_block_sort_config_selectorI6__halfNS0_10empty_typeEEEZNS1_21radix_sort_block_sortIS4_Lb1EPKS6_PS6_PS7_SD_NS0_19identity_decomposerEEE10hipError_tT1_T2_T3_T4_jRjT5_jjP12ihipStream_tbEUlT_E_NS1_11comp_targetILNS1_3genE2ELNS1_11target_archE906ELNS1_3gpuE6ELNS1_3repE0EEENS1_44radix_sort_block_sort_config_static_selectorELNS0_4arch9wavefront6targetE0EEEvSG_,"axG",@progbits,_ZN7rocprim17ROCPRIM_400000_NS6detail17trampoline_kernelINS0_13kernel_configILj256ELj4ELj4294967295EEENS1_37radix_sort_block_sort_config_selectorI6__halfNS0_10empty_typeEEEZNS1_21radix_sort_block_sortIS4_Lb1EPKS6_PS6_PS7_SD_NS0_19identity_decomposerEEE10hipError_tT1_T2_T3_T4_jRjT5_jjP12ihipStream_tbEUlT_E_NS1_11comp_targetILNS1_3genE2ELNS1_11target_archE906ELNS1_3gpuE6ELNS1_3repE0EEENS1_44radix_sort_block_sort_config_static_selectorELNS0_4arch9wavefront6targetE0EEEvSG_,comdat
	.protected	_ZN7rocprim17ROCPRIM_400000_NS6detail17trampoline_kernelINS0_13kernel_configILj256ELj4ELj4294967295EEENS1_37radix_sort_block_sort_config_selectorI6__halfNS0_10empty_typeEEEZNS1_21radix_sort_block_sortIS4_Lb1EPKS6_PS6_PS7_SD_NS0_19identity_decomposerEEE10hipError_tT1_T2_T3_T4_jRjT5_jjP12ihipStream_tbEUlT_E_NS1_11comp_targetILNS1_3genE2ELNS1_11target_archE906ELNS1_3gpuE6ELNS1_3repE0EEENS1_44radix_sort_block_sort_config_static_selectorELNS0_4arch9wavefront6targetE0EEEvSG_ ; -- Begin function _ZN7rocprim17ROCPRIM_400000_NS6detail17trampoline_kernelINS0_13kernel_configILj256ELj4ELj4294967295EEENS1_37radix_sort_block_sort_config_selectorI6__halfNS0_10empty_typeEEEZNS1_21radix_sort_block_sortIS4_Lb1EPKS6_PS6_PS7_SD_NS0_19identity_decomposerEEE10hipError_tT1_T2_T3_T4_jRjT5_jjP12ihipStream_tbEUlT_E_NS1_11comp_targetILNS1_3genE2ELNS1_11target_archE906ELNS1_3gpuE6ELNS1_3repE0EEENS1_44radix_sort_block_sort_config_static_selectorELNS0_4arch9wavefront6targetE0EEEvSG_
	.globl	_ZN7rocprim17ROCPRIM_400000_NS6detail17trampoline_kernelINS0_13kernel_configILj256ELj4ELj4294967295EEENS1_37radix_sort_block_sort_config_selectorI6__halfNS0_10empty_typeEEEZNS1_21radix_sort_block_sortIS4_Lb1EPKS6_PS6_PS7_SD_NS0_19identity_decomposerEEE10hipError_tT1_T2_T3_T4_jRjT5_jjP12ihipStream_tbEUlT_E_NS1_11comp_targetILNS1_3genE2ELNS1_11target_archE906ELNS1_3gpuE6ELNS1_3repE0EEENS1_44radix_sort_block_sort_config_static_selectorELNS0_4arch9wavefront6targetE0EEEvSG_
	.p2align	8
	.type	_ZN7rocprim17ROCPRIM_400000_NS6detail17trampoline_kernelINS0_13kernel_configILj256ELj4ELj4294967295EEENS1_37radix_sort_block_sort_config_selectorI6__halfNS0_10empty_typeEEEZNS1_21radix_sort_block_sortIS4_Lb1EPKS6_PS6_PS7_SD_NS0_19identity_decomposerEEE10hipError_tT1_T2_T3_T4_jRjT5_jjP12ihipStream_tbEUlT_E_NS1_11comp_targetILNS1_3genE2ELNS1_11target_archE906ELNS1_3gpuE6ELNS1_3repE0EEENS1_44radix_sort_block_sort_config_static_selectorELNS0_4arch9wavefront6targetE0EEEvSG_,@function
_ZN7rocprim17ROCPRIM_400000_NS6detail17trampoline_kernelINS0_13kernel_configILj256ELj4ELj4294967295EEENS1_37radix_sort_block_sort_config_selectorI6__halfNS0_10empty_typeEEEZNS1_21radix_sort_block_sortIS4_Lb1EPKS6_PS6_PS7_SD_NS0_19identity_decomposerEEE10hipError_tT1_T2_T3_T4_jRjT5_jjP12ihipStream_tbEUlT_E_NS1_11comp_targetILNS1_3genE2ELNS1_11target_archE906ELNS1_3gpuE6ELNS1_3repE0EEENS1_44radix_sort_block_sort_config_static_selectorELNS0_4arch9wavefront6targetE0EEEvSG_: ; @_ZN7rocprim17ROCPRIM_400000_NS6detail17trampoline_kernelINS0_13kernel_configILj256ELj4ELj4294967295EEENS1_37radix_sort_block_sort_config_selectorI6__halfNS0_10empty_typeEEEZNS1_21radix_sort_block_sortIS4_Lb1EPKS6_PS6_PS7_SD_NS0_19identity_decomposerEEE10hipError_tT1_T2_T3_T4_jRjT5_jjP12ihipStream_tbEUlT_E_NS1_11comp_targetILNS1_3genE2ELNS1_11target_archE906ELNS1_3gpuE6ELNS1_3repE0EEENS1_44radix_sort_block_sort_config_static_selectorELNS0_4arch9wavefront6targetE0EEEvSG_
; %bb.0:
	.section	.rodata,"a",@progbits
	.p2align	6, 0x0
	.amdhsa_kernel _ZN7rocprim17ROCPRIM_400000_NS6detail17trampoline_kernelINS0_13kernel_configILj256ELj4ELj4294967295EEENS1_37radix_sort_block_sort_config_selectorI6__halfNS0_10empty_typeEEEZNS1_21radix_sort_block_sortIS4_Lb1EPKS6_PS6_PS7_SD_NS0_19identity_decomposerEEE10hipError_tT1_T2_T3_T4_jRjT5_jjP12ihipStream_tbEUlT_E_NS1_11comp_targetILNS1_3genE2ELNS1_11target_archE906ELNS1_3gpuE6ELNS1_3repE0EEENS1_44radix_sort_block_sort_config_static_selectorELNS0_4arch9wavefront6targetE0EEEvSG_
		.amdhsa_group_segment_fixed_size 0
		.amdhsa_private_segment_fixed_size 0
		.amdhsa_kernarg_size 48
		.amdhsa_user_sgpr_count 2
		.amdhsa_user_sgpr_dispatch_ptr 0
		.amdhsa_user_sgpr_queue_ptr 0
		.amdhsa_user_sgpr_kernarg_segment_ptr 1
		.amdhsa_user_sgpr_dispatch_id 0
		.amdhsa_user_sgpr_kernarg_preload_length 0
		.amdhsa_user_sgpr_kernarg_preload_offset 0
		.amdhsa_user_sgpr_private_segment_size 0
		.amdhsa_wavefront_size32 1
		.amdhsa_uses_dynamic_stack 0
		.amdhsa_enable_private_segment 0
		.amdhsa_system_sgpr_workgroup_id_x 1
		.amdhsa_system_sgpr_workgroup_id_y 0
		.amdhsa_system_sgpr_workgroup_id_z 0
		.amdhsa_system_sgpr_workgroup_info 0
		.amdhsa_system_vgpr_workitem_id 0
		.amdhsa_next_free_vgpr 1
		.amdhsa_next_free_sgpr 1
		.amdhsa_named_barrier_count 0
		.amdhsa_reserve_vcc 0
		.amdhsa_float_round_mode_32 0
		.amdhsa_float_round_mode_16_64 0
		.amdhsa_float_denorm_mode_32 3
		.amdhsa_float_denorm_mode_16_64 3
		.amdhsa_fp16_overflow 0
		.amdhsa_memory_ordered 1
		.amdhsa_forward_progress 1
		.amdhsa_inst_pref_size 0
		.amdhsa_round_robin_scheduling 0
		.amdhsa_exception_fp_ieee_invalid_op 0
		.amdhsa_exception_fp_denorm_src 0
		.amdhsa_exception_fp_ieee_div_zero 0
		.amdhsa_exception_fp_ieee_overflow 0
		.amdhsa_exception_fp_ieee_underflow 0
		.amdhsa_exception_fp_ieee_inexact 0
		.amdhsa_exception_int_div_zero 0
	.end_amdhsa_kernel
	.section	.text._ZN7rocprim17ROCPRIM_400000_NS6detail17trampoline_kernelINS0_13kernel_configILj256ELj4ELj4294967295EEENS1_37radix_sort_block_sort_config_selectorI6__halfNS0_10empty_typeEEEZNS1_21radix_sort_block_sortIS4_Lb1EPKS6_PS6_PS7_SD_NS0_19identity_decomposerEEE10hipError_tT1_T2_T3_T4_jRjT5_jjP12ihipStream_tbEUlT_E_NS1_11comp_targetILNS1_3genE2ELNS1_11target_archE906ELNS1_3gpuE6ELNS1_3repE0EEENS1_44radix_sort_block_sort_config_static_selectorELNS0_4arch9wavefront6targetE0EEEvSG_,"axG",@progbits,_ZN7rocprim17ROCPRIM_400000_NS6detail17trampoline_kernelINS0_13kernel_configILj256ELj4ELj4294967295EEENS1_37radix_sort_block_sort_config_selectorI6__halfNS0_10empty_typeEEEZNS1_21radix_sort_block_sortIS4_Lb1EPKS6_PS6_PS7_SD_NS0_19identity_decomposerEEE10hipError_tT1_T2_T3_T4_jRjT5_jjP12ihipStream_tbEUlT_E_NS1_11comp_targetILNS1_3genE2ELNS1_11target_archE906ELNS1_3gpuE6ELNS1_3repE0EEENS1_44radix_sort_block_sort_config_static_selectorELNS0_4arch9wavefront6targetE0EEEvSG_,comdat
.Lfunc_end2091:
	.size	_ZN7rocprim17ROCPRIM_400000_NS6detail17trampoline_kernelINS0_13kernel_configILj256ELj4ELj4294967295EEENS1_37radix_sort_block_sort_config_selectorI6__halfNS0_10empty_typeEEEZNS1_21radix_sort_block_sortIS4_Lb1EPKS6_PS6_PS7_SD_NS0_19identity_decomposerEEE10hipError_tT1_T2_T3_T4_jRjT5_jjP12ihipStream_tbEUlT_E_NS1_11comp_targetILNS1_3genE2ELNS1_11target_archE906ELNS1_3gpuE6ELNS1_3repE0EEENS1_44radix_sort_block_sort_config_static_selectorELNS0_4arch9wavefront6targetE0EEEvSG_, .Lfunc_end2091-_ZN7rocprim17ROCPRIM_400000_NS6detail17trampoline_kernelINS0_13kernel_configILj256ELj4ELj4294967295EEENS1_37radix_sort_block_sort_config_selectorI6__halfNS0_10empty_typeEEEZNS1_21radix_sort_block_sortIS4_Lb1EPKS6_PS6_PS7_SD_NS0_19identity_decomposerEEE10hipError_tT1_T2_T3_T4_jRjT5_jjP12ihipStream_tbEUlT_E_NS1_11comp_targetILNS1_3genE2ELNS1_11target_archE906ELNS1_3gpuE6ELNS1_3repE0EEENS1_44radix_sort_block_sort_config_static_selectorELNS0_4arch9wavefront6targetE0EEEvSG_
                                        ; -- End function
	.set _ZN7rocprim17ROCPRIM_400000_NS6detail17trampoline_kernelINS0_13kernel_configILj256ELj4ELj4294967295EEENS1_37radix_sort_block_sort_config_selectorI6__halfNS0_10empty_typeEEEZNS1_21radix_sort_block_sortIS4_Lb1EPKS6_PS6_PS7_SD_NS0_19identity_decomposerEEE10hipError_tT1_T2_T3_T4_jRjT5_jjP12ihipStream_tbEUlT_E_NS1_11comp_targetILNS1_3genE2ELNS1_11target_archE906ELNS1_3gpuE6ELNS1_3repE0EEENS1_44radix_sort_block_sort_config_static_selectorELNS0_4arch9wavefront6targetE0EEEvSG_.num_vgpr, 0
	.set _ZN7rocprim17ROCPRIM_400000_NS6detail17trampoline_kernelINS0_13kernel_configILj256ELj4ELj4294967295EEENS1_37radix_sort_block_sort_config_selectorI6__halfNS0_10empty_typeEEEZNS1_21radix_sort_block_sortIS4_Lb1EPKS6_PS6_PS7_SD_NS0_19identity_decomposerEEE10hipError_tT1_T2_T3_T4_jRjT5_jjP12ihipStream_tbEUlT_E_NS1_11comp_targetILNS1_3genE2ELNS1_11target_archE906ELNS1_3gpuE6ELNS1_3repE0EEENS1_44radix_sort_block_sort_config_static_selectorELNS0_4arch9wavefront6targetE0EEEvSG_.num_agpr, 0
	.set _ZN7rocprim17ROCPRIM_400000_NS6detail17trampoline_kernelINS0_13kernel_configILj256ELj4ELj4294967295EEENS1_37radix_sort_block_sort_config_selectorI6__halfNS0_10empty_typeEEEZNS1_21radix_sort_block_sortIS4_Lb1EPKS6_PS6_PS7_SD_NS0_19identity_decomposerEEE10hipError_tT1_T2_T3_T4_jRjT5_jjP12ihipStream_tbEUlT_E_NS1_11comp_targetILNS1_3genE2ELNS1_11target_archE906ELNS1_3gpuE6ELNS1_3repE0EEENS1_44radix_sort_block_sort_config_static_selectorELNS0_4arch9wavefront6targetE0EEEvSG_.numbered_sgpr, 0
	.set _ZN7rocprim17ROCPRIM_400000_NS6detail17trampoline_kernelINS0_13kernel_configILj256ELj4ELj4294967295EEENS1_37radix_sort_block_sort_config_selectorI6__halfNS0_10empty_typeEEEZNS1_21radix_sort_block_sortIS4_Lb1EPKS6_PS6_PS7_SD_NS0_19identity_decomposerEEE10hipError_tT1_T2_T3_T4_jRjT5_jjP12ihipStream_tbEUlT_E_NS1_11comp_targetILNS1_3genE2ELNS1_11target_archE906ELNS1_3gpuE6ELNS1_3repE0EEENS1_44radix_sort_block_sort_config_static_selectorELNS0_4arch9wavefront6targetE0EEEvSG_.num_named_barrier, 0
	.set _ZN7rocprim17ROCPRIM_400000_NS6detail17trampoline_kernelINS0_13kernel_configILj256ELj4ELj4294967295EEENS1_37radix_sort_block_sort_config_selectorI6__halfNS0_10empty_typeEEEZNS1_21radix_sort_block_sortIS4_Lb1EPKS6_PS6_PS7_SD_NS0_19identity_decomposerEEE10hipError_tT1_T2_T3_T4_jRjT5_jjP12ihipStream_tbEUlT_E_NS1_11comp_targetILNS1_3genE2ELNS1_11target_archE906ELNS1_3gpuE6ELNS1_3repE0EEENS1_44radix_sort_block_sort_config_static_selectorELNS0_4arch9wavefront6targetE0EEEvSG_.private_seg_size, 0
	.set _ZN7rocprim17ROCPRIM_400000_NS6detail17trampoline_kernelINS0_13kernel_configILj256ELj4ELj4294967295EEENS1_37radix_sort_block_sort_config_selectorI6__halfNS0_10empty_typeEEEZNS1_21radix_sort_block_sortIS4_Lb1EPKS6_PS6_PS7_SD_NS0_19identity_decomposerEEE10hipError_tT1_T2_T3_T4_jRjT5_jjP12ihipStream_tbEUlT_E_NS1_11comp_targetILNS1_3genE2ELNS1_11target_archE906ELNS1_3gpuE6ELNS1_3repE0EEENS1_44radix_sort_block_sort_config_static_selectorELNS0_4arch9wavefront6targetE0EEEvSG_.uses_vcc, 0
	.set _ZN7rocprim17ROCPRIM_400000_NS6detail17trampoline_kernelINS0_13kernel_configILj256ELj4ELj4294967295EEENS1_37radix_sort_block_sort_config_selectorI6__halfNS0_10empty_typeEEEZNS1_21radix_sort_block_sortIS4_Lb1EPKS6_PS6_PS7_SD_NS0_19identity_decomposerEEE10hipError_tT1_T2_T3_T4_jRjT5_jjP12ihipStream_tbEUlT_E_NS1_11comp_targetILNS1_3genE2ELNS1_11target_archE906ELNS1_3gpuE6ELNS1_3repE0EEENS1_44radix_sort_block_sort_config_static_selectorELNS0_4arch9wavefront6targetE0EEEvSG_.uses_flat_scratch, 0
	.set _ZN7rocprim17ROCPRIM_400000_NS6detail17trampoline_kernelINS0_13kernel_configILj256ELj4ELj4294967295EEENS1_37radix_sort_block_sort_config_selectorI6__halfNS0_10empty_typeEEEZNS1_21radix_sort_block_sortIS4_Lb1EPKS6_PS6_PS7_SD_NS0_19identity_decomposerEEE10hipError_tT1_T2_T3_T4_jRjT5_jjP12ihipStream_tbEUlT_E_NS1_11comp_targetILNS1_3genE2ELNS1_11target_archE906ELNS1_3gpuE6ELNS1_3repE0EEENS1_44radix_sort_block_sort_config_static_selectorELNS0_4arch9wavefront6targetE0EEEvSG_.has_dyn_sized_stack, 0
	.set _ZN7rocprim17ROCPRIM_400000_NS6detail17trampoline_kernelINS0_13kernel_configILj256ELj4ELj4294967295EEENS1_37radix_sort_block_sort_config_selectorI6__halfNS0_10empty_typeEEEZNS1_21radix_sort_block_sortIS4_Lb1EPKS6_PS6_PS7_SD_NS0_19identity_decomposerEEE10hipError_tT1_T2_T3_T4_jRjT5_jjP12ihipStream_tbEUlT_E_NS1_11comp_targetILNS1_3genE2ELNS1_11target_archE906ELNS1_3gpuE6ELNS1_3repE0EEENS1_44radix_sort_block_sort_config_static_selectorELNS0_4arch9wavefront6targetE0EEEvSG_.has_recursion, 0
	.set _ZN7rocprim17ROCPRIM_400000_NS6detail17trampoline_kernelINS0_13kernel_configILj256ELj4ELj4294967295EEENS1_37radix_sort_block_sort_config_selectorI6__halfNS0_10empty_typeEEEZNS1_21radix_sort_block_sortIS4_Lb1EPKS6_PS6_PS7_SD_NS0_19identity_decomposerEEE10hipError_tT1_T2_T3_T4_jRjT5_jjP12ihipStream_tbEUlT_E_NS1_11comp_targetILNS1_3genE2ELNS1_11target_archE906ELNS1_3gpuE6ELNS1_3repE0EEENS1_44radix_sort_block_sort_config_static_selectorELNS0_4arch9wavefront6targetE0EEEvSG_.has_indirect_call, 0
	.section	.AMDGPU.csdata,"",@progbits
; Kernel info:
; codeLenInByte = 0
; TotalNumSgprs: 0
; NumVgprs: 0
; ScratchSize: 0
; MemoryBound: 0
; FloatMode: 240
; IeeeMode: 1
; LDSByteSize: 0 bytes/workgroup (compile time only)
; SGPRBlocks: 0
; VGPRBlocks: 0
; NumSGPRsForWavesPerEU: 1
; NumVGPRsForWavesPerEU: 1
; NamedBarCnt: 0
; Occupancy: 16
; WaveLimiterHint : 0
; COMPUTE_PGM_RSRC2:SCRATCH_EN: 0
; COMPUTE_PGM_RSRC2:USER_SGPR: 2
; COMPUTE_PGM_RSRC2:TRAP_HANDLER: 0
; COMPUTE_PGM_RSRC2:TGID_X_EN: 1
; COMPUTE_PGM_RSRC2:TGID_Y_EN: 0
; COMPUTE_PGM_RSRC2:TGID_Z_EN: 0
; COMPUTE_PGM_RSRC2:TIDIG_COMP_CNT: 0
	.section	.text._ZN7rocprim17ROCPRIM_400000_NS6detail17trampoline_kernelINS0_13kernel_configILj256ELj4ELj4294967295EEENS1_37radix_sort_block_sort_config_selectorI6__halfNS0_10empty_typeEEEZNS1_21radix_sort_block_sortIS4_Lb1EPKS6_PS6_PS7_SD_NS0_19identity_decomposerEEE10hipError_tT1_T2_T3_T4_jRjT5_jjP12ihipStream_tbEUlT_E_NS1_11comp_targetILNS1_3genE10ELNS1_11target_archE1201ELNS1_3gpuE5ELNS1_3repE0EEENS1_44radix_sort_block_sort_config_static_selectorELNS0_4arch9wavefront6targetE0EEEvSG_,"axG",@progbits,_ZN7rocprim17ROCPRIM_400000_NS6detail17trampoline_kernelINS0_13kernel_configILj256ELj4ELj4294967295EEENS1_37radix_sort_block_sort_config_selectorI6__halfNS0_10empty_typeEEEZNS1_21radix_sort_block_sortIS4_Lb1EPKS6_PS6_PS7_SD_NS0_19identity_decomposerEEE10hipError_tT1_T2_T3_T4_jRjT5_jjP12ihipStream_tbEUlT_E_NS1_11comp_targetILNS1_3genE10ELNS1_11target_archE1201ELNS1_3gpuE5ELNS1_3repE0EEENS1_44radix_sort_block_sort_config_static_selectorELNS0_4arch9wavefront6targetE0EEEvSG_,comdat
	.protected	_ZN7rocprim17ROCPRIM_400000_NS6detail17trampoline_kernelINS0_13kernel_configILj256ELj4ELj4294967295EEENS1_37radix_sort_block_sort_config_selectorI6__halfNS0_10empty_typeEEEZNS1_21radix_sort_block_sortIS4_Lb1EPKS6_PS6_PS7_SD_NS0_19identity_decomposerEEE10hipError_tT1_T2_T3_T4_jRjT5_jjP12ihipStream_tbEUlT_E_NS1_11comp_targetILNS1_3genE10ELNS1_11target_archE1201ELNS1_3gpuE5ELNS1_3repE0EEENS1_44radix_sort_block_sort_config_static_selectorELNS0_4arch9wavefront6targetE0EEEvSG_ ; -- Begin function _ZN7rocprim17ROCPRIM_400000_NS6detail17trampoline_kernelINS0_13kernel_configILj256ELj4ELj4294967295EEENS1_37radix_sort_block_sort_config_selectorI6__halfNS0_10empty_typeEEEZNS1_21radix_sort_block_sortIS4_Lb1EPKS6_PS6_PS7_SD_NS0_19identity_decomposerEEE10hipError_tT1_T2_T3_T4_jRjT5_jjP12ihipStream_tbEUlT_E_NS1_11comp_targetILNS1_3genE10ELNS1_11target_archE1201ELNS1_3gpuE5ELNS1_3repE0EEENS1_44radix_sort_block_sort_config_static_selectorELNS0_4arch9wavefront6targetE0EEEvSG_
	.globl	_ZN7rocprim17ROCPRIM_400000_NS6detail17trampoline_kernelINS0_13kernel_configILj256ELj4ELj4294967295EEENS1_37radix_sort_block_sort_config_selectorI6__halfNS0_10empty_typeEEEZNS1_21radix_sort_block_sortIS4_Lb1EPKS6_PS6_PS7_SD_NS0_19identity_decomposerEEE10hipError_tT1_T2_T3_T4_jRjT5_jjP12ihipStream_tbEUlT_E_NS1_11comp_targetILNS1_3genE10ELNS1_11target_archE1201ELNS1_3gpuE5ELNS1_3repE0EEENS1_44radix_sort_block_sort_config_static_selectorELNS0_4arch9wavefront6targetE0EEEvSG_
	.p2align	8
	.type	_ZN7rocprim17ROCPRIM_400000_NS6detail17trampoline_kernelINS0_13kernel_configILj256ELj4ELj4294967295EEENS1_37radix_sort_block_sort_config_selectorI6__halfNS0_10empty_typeEEEZNS1_21radix_sort_block_sortIS4_Lb1EPKS6_PS6_PS7_SD_NS0_19identity_decomposerEEE10hipError_tT1_T2_T3_T4_jRjT5_jjP12ihipStream_tbEUlT_E_NS1_11comp_targetILNS1_3genE10ELNS1_11target_archE1201ELNS1_3gpuE5ELNS1_3repE0EEENS1_44radix_sort_block_sort_config_static_selectorELNS0_4arch9wavefront6targetE0EEEvSG_,@function
_ZN7rocprim17ROCPRIM_400000_NS6detail17trampoline_kernelINS0_13kernel_configILj256ELj4ELj4294967295EEENS1_37radix_sort_block_sort_config_selectorI6__halfNS0_10empty_typeEEEZNS1_21radix_sort_block_sortIS4_Lb1EPKS6_PS6_PS7_SD_NS0_19identity_decomposerEEE10hipError_tT1_T2_T3_T4_jRjT5_jjP12ihipStream_tbEUlT_E_NS1_11comp_targetILNS1_3genE10ELNS1_11target_archE1201ELNS1_3gpuE5ELNS1_3repE0EEENS1_44radix_sort_block_sort_config_static_selectorELNS0_4arch9wavefront6targetE0EEEvSG_: ; @_ZN7rocprim17ROCPRIM_400000_NS6detail17trampoline_kernelINS0_13kernel_configILj256ELj4ELj4294967295EEENS1_37radix_sort_block_sort_config_selectorI6__halfNS0_10empty_typeEEEZNS1_21radix_sort_block_sortIS4_Lb1EPKS6_PS6_PS7_SD_NS0_19identity_decomposerEEE10hipError_tT1_T2_T3_T4_jRjT5_jjP12ihipStream_tbEUlT_E_NS1_11comp_targetILNS1_3genE10ELNS1_11target_archE1201ELNS1_3gpuE5ELNS1_3repE0EEENS1_44radix_sort_block_sort_config_static_selectorELNS0_4arch9wavefront6targetE0EEEvSG_
; %bb.0:
	.section	.rodata,"a",@progbits
	.p2align	6, 0x0
	.amdhsa_kernel _ZN7rocprim17ROCPRIM_400000_NS6detail17trampoline_kernelINS0_13kernel_configILj256ELj4ELj4294967295EEENS1_37radix_sort_block_sort_config_selectorI6__halfNS0_10empty_typeEEEZNS1_21radix_sort_block_sortIS4_Lb1EPKS6_PS6_PS7_SD_NS0_19identity_decomposerEEE10hipError_tT1_T2_T3_T4_jRjT5_jjP12ihipStream_tbEUlT_E_NS1_11comp_targetILNS1_3genE10ELNS1_11target_archE1201ELNS1_3gpuE5ELNS1_3repE0EEENS1_44radix_sort_block_sort_config_static_selectorELNS0_4arch9wavefront6targetE0EEEvSG_
		.amdhsa_group_segment_fixed_size 0
		.amdhsa_private_segment_fixed_size 0
		.amdhsa_kernarg_size 48
		.amdhsa_user_sgpr_count 2
		.amdhsa_user_sgpr_dispatch_ptr 0
		.amdhsa_user_sgpr_queue_ptr 0
		.amdhsa_user_sgpr_kernarg_segment_ptr 1
		.amdhsa_user_sgpr_dispatch_id 0
		.amdhsa_user_sgpr_kernarg_preload_length 0
		.amdhsa_user_sgpr_kernarg_preload_offset 0
		.amdhsa_user_sgpr_private_segment_size 0
		.amdhsa_wavefront_size32 1
		.amdhsa_uses_dynamic_stack 0
		.amdhsa_enable_private_segment 0
		.amdhsa_system_sgpr_workgroup_id_x 1
		.amdhsa_system_sgpr_workgroup_id_y 0
		.amdhsa_system_sgpr_workgroup_id_z 0
		.amdhsa_system_sgpr_workgroup_info 0
		.amdhsa_system_vgpr_workitem_id 0
		.amdhsa_next_free_vgpr 1
		.amdhsa_next_free_sgpr 1
		.amdhsa_named_barrier_count 0
		.amdhsa_reserve_vcc 0
		.amdhsa_float_round_mode_32 0
		.amdhsa_float_round_mode_16_64 0
		.amdhsa_float_denorm_mode_32 3
		.amdhsa_float_denorm_mode_16_64 3
		.amdhsa_fp16_overflow 0
		.amdhsa_memory_ordered 1
		.amdhsa_forward_progress 1
		.amdhsa_inst_pref_size 0
		.amdhsa_round_robin_scheduling 0
		.amdhsa_exception_fp_ieee_invalid_op 0
		.amdhsa_exception_fp_denorm_src 0
		.amdhsa_exception_fp_ieee_div_zero 0
		.amdhsa_exception_fp_ieee_overflow 0
		.amdhsa_exception_fp_ieee_underflow 0
		.amdhsa_exception_fp_ieee_inexact 0
		.amdhsa_exception_int_div_zero 0
	.end_amdhsa_kernel
	.section	.text._ZN7rocprim17ROCPRIM_400000_NS6detail17trampoline_kernelINS0_13kernel_configILj256ELj4ELj4294967295EEENS1_37radix_sort_block_sort_config_selectorI6__halfNS0_10empty_typeEEEZNS1_21radix_sort_block_sortIS4_Lb1EPKS6_PS6_PS7_SD_NS0_19identity_decomposerEEE10hipError_tT1_T2_T3_T4_jRjT5_jjP12ihipStream_tbEUlT_E_NS1_11comp_targetILNS1_3genE10ELNS1_11target_archE1201ELNS1_3gpuE5ELNS1_3repE0EEENS1_44radix_sort_block_sort_config_static_selectorELNS0_4arch9wavefront6targetE0EEEvSG_,"axG",@progbits,_ZN7rocprim17ROCPRIM_400000_NS6detail17trampoline_kernelINS0_13kernel_configILj256ELj4ELj4294967295EEENS1_37radix_sort_block_sort_config_selectorI6__halfNS0_10empty_typeEEEZNS1_21radix_sort_block_sortIS4_Lb1EPKS6_PS6_PS7_SD_NS0_19identity_decomposerEEE10hipError_tT1_T2_T3_T4_jRjT5_jjP12ihipStream_tbEUlT_E_NS1_11comp_targetILNS1_3genE10ELNS1_11target_archE1201ELNS1_3gpuE5ELNS1_3repE0EEENS1_44radix_sort_block_sort_config_static_selectorELNS0_4arch9wavefront6targetE0EEEvSG_,comdat
.Lfunc_end2092:
	.size	_ZN7rocprim17ROCPRIM_400000_NS6detail17trampoline_kernelINS0_13kernel_configILj256ELj4ELj4294967295EEENS1_37radix_sort_block_sort_config_selectorI6__halfNS0_10empty_typeEEEZNS1_21radix_sort_block_sortIS4_Lb1EPKS6_PS6_PS7_SD_NS0_19identity_decomposerEEE10hipError_tT1_T2_T3_T4_jRjT5_jjP12ihipStream_tbEUlT_E_NS1_11comp_targetILNS1_3genE10ELNS1_11target_archE1201ELNS1_3gpuE5ELNS1_3repE0EEENS1_44radix_sort_block_sort_config_static_selectorELNS0_4arch9wavefront6targetE0EEEvSG_, .Lfunc_end2092-_ZN7rocprim17ROCPRIM_400000_NS6detail17trampoline_kernelINS0_13kernel_configILj256ELj4ELj4294967295EEENS1_37radix_sort_block_sort_config_selectorI6__halfNS0_10empty_typeEEEZNS1_21radix_sort_block_sortIS4_Lb1EPKS6_PS6_PS7_SD_NS0_19identity_decomposerEEE10hipError_tT1_T2_T3_T4_jRjT5_jjP12ihipStream_tbEUlT_E_NS1_11comp_targetILNS1_3genE10ELNS1_11target_archE1201ELNS1_3gpuE5ELNS1_3repE0EEENS1_44radix_sort_block_sort_config_static_selectorELNS0_4arch9wavefront6targetE0EEEvSG_
                                        ; -- End function
	.set _ZN7rocprim17ROCPRIM_400000_NS6detail17trampoline_kernelINS0_13kernel_configILj256ELj4ELj4294967295EEENS1_37radix_sort_block_sort_config_selectorI6__halfNS0_10empty_typeEEEZNS1_21radix_sort_block_sortIS4_Lb1EPKS6_PS6_PS7_SD_NS0_19identity_decomposerEEE10hipError_tT1_T2_T3_T4_jRjT5_jjP12ihipStream_tbEUlT_E_NS1_11comp_targetILNS1_3genE10ELNS1_11target_archE1201ELNS1_3gpuE5ELNS1_3repE0EEENS1_44radix_sort_block_sort_config_static_selectorELNS0_4arch9wavefront6targetE0EEEvSG_.num_vgpr, 0
	.set _ZN7rocprim17ROCPRIM_400000_NS6detail17trampoline_kernelINS0_13kernel_configILj256ELj4ELj4294967295EEENS1_37radix_sort_block_sort_config_selectorI6__halfNS0_10empty_typeEEEZNS1_21radix_sort_block_sortIS4_Lb1EPKS6_PS6_PS7_SD_NS0_19identity_decomposerEEE10hipError_tT1_T2_T3_T4_jRjT5_jjP12ihipStream_tbEUlT_E_NS1_11comp_targetILNS1_3genE10ELNS1_11target_archE1201ELNS1_3gpuE5ELNS1_3repE0EEENS1_44radix_sort_block_sort_config_static_selectorELNS0_4arch9wavefront6targetE0EEEvSG_.num_agpr, 0
	.set _ZN7rocprim17ROCPRIM_400000_NS6detail17trampoline_kernelINS0_13kernel_configILj256ELj4ELj4294967295EEENS1_37radix_sort_block_sort_config_selectorI6__halfNS0_10empty_typeEEEZNS1_21radix_sort_block_sortIS4_Lb1EPKS6_PS6_PS7_SD_NS0_19identity_decomposerEEE10hipError_tT1_T2_T3_T4_jRjT5_jjP12ihipStream_tbEUlT_E_NS1_11comp_targetILNS1_3genE10ELNS1_11target_archE1201ELNS1_3gpuE5ELNS1_3repE0EEENS1_44radix_sort_block_sort_config_static_selectorELNS0_4arch9wavefront6targetE0EEEvSG_.numbered_sgpr, 0
	.set _ZN7rocprim17ROCPRIM_400000_NS6detail17trampoline_kernelINS0_13kernel_configILj256ELj4ELj4294967295EEENS1_37radix_sort_block_sort_config_selectorI6__halfNS0_10empty_typeEEEZNS1_21radix_sort_block_sortIS4_Lb1EPKS6_PS6_PS7_SD_NS0_19identity_decomposerEEE10hipError_tT1_T2_T3_T4_jRjT5_jjP12ihipStream_tbEUlT_E_NS1_11comp_targetILNS1_3genE10ELNS1_11target_archE1201ELNS1_3gpuE5ELNS1_3repE0EEENS1_44radix_sort_block_sort_config_static_selectorELNS0_4arch9wavefront6targetE0EEEvSG_.num_named_barrier, 0
	.set _ZN7rocprim17ROCPRIM_400000_NS6detail17trampoline_kernelINS0_13kernel_configILj256ELj4ELj4294967295EEENS1_37radix_sort_block_sort_config_selectorI6__halfNS0_10empty_typeEEEZNS1_21radix_sort_block_sortIS4_Lb1EPKS6_PS6_PS7_SD_NS0_19identity_decomposerEEE10hipError_tT1_T2_T3_T4_jRjT5_jjP12ihipStream_tbEUlT_E_NS1_11comp_targetILNS1_3genE10ELNS1_11target_archE1201ELNS1_3gpuE5ELNS1_3repE0EEENS1_44radix_sort_block_sort_config_static_selectorELNS0_4arch9wavefront6targetE0EEEvSG_.private_seg_size, 0
	.set _ZN7rocprim17ROCPRIM_400000_NS6detail17trampoline_kernelINS0_13kernel_configILj256ELj4ELj4294967295EEENS1_37radix_sort_block_sort_config_selectorI6__halfNS0_10empty_typeEEEZNS1_21radix_sort_block_sortIS4_Lb1EPKS6_PS6_PS7_SD_NS0_19identity_decomposerEEE10hipError_tT1_T2_T3_T4_jRjT5_jjP12ihipStream_tbEUlT_E_NS1_11comp_targetILNS1_3genE10ELNS1_11target_archE1201ELNS1_3gpuE5ELNS1_3repE0EEENS1_44radix_sort_block_sort_config_static_selectorELNS0_4arch9wavefront6targetE0EEEvSG_.uses_vcc, 0
	.set _ZN7rocprim17ROCPRIM_400000_NS6detail17trampoline_kernelINS0_13kernel_configILj256ELj4ELj4294967295EEENS1_37radix_sort_block_sort_config_selectorI6__halfNS0_10empty_typeEEEZNS1_21radix_sort_block_sortIS4_Lb1EPKS6_PS6_PS7_SD_NS0_19identity_decomposerEEE10hipError_tT1_T2_T3_T4_jRjT5_jjP12ihipStream_tbEUlT_E_NS1_11comp_targetILNS1_3genE10ELNS1_11target_archE1201ELNS1_3gpuE5ELNS1_3repE0EEENS1_44radix_sort_block_sort_config_static_selectorELNS0_4arch9wavefront6targetE0EEEvSG_.uses_flat_scratch, 0
	.set _ZN7rocprim17ROCPRIM_400000_NS6detail17trampoline_kernelINS0_13kernel_configILj256ELj4ELj4294967295EEENS1_37radix_sort_block_sort_config_selectorI6__halfNS0_10empty_typeEEEZNS1_21radix_sort_block_sortIS4_Lb1EPKS6_PS6_PS7_SD_NS0_19identity_decomposerEEE10hipError_tT1_T2_T3_T4_jRjT5_jjP12ihipStream_tbEUlT_E_NS1_11comp_targetILNS1_3genE10ELNS1_11target_archE1201ELNS1_3gpuE5ELNS1_3repE0EEENS1_44radix_sort_block_sort_config_static_selectorELNS0_4arch9wavefront6targetE0EEEvSG_.has_dyn_sized_stack, 0
	.set _ZN7rocprim17ROCPRIM_400000_NS6detail17trampoline_kernelINS0_13kernel_configILj256ELj4ELj4294967295EEENS1_37radix_sort_block_sort_config_selectorI6__halfNS0_10empty_typeEEEZNS1_21radix_sort_block_sortIS4_Lb1EPKS6_PS6_PS7_SD_NS0_19identity_decomposerEEE10hipError_tT1_T2_T3_T4_jRjT5_jjP12ihipStream_tbEUlT_E_NS1_11comp_targetILNS1_3genE10ELNS1_11target_archE1201ELNS1_3gpuE5ELNS1_3repE0EEENS1_44radix_sort_block_sort_config_static_selectorELNS0_4arch9wavefront6targetE0EEEvSG_.has_recursion, 0
	.set _ZN7rocprim17ROCPRIM_400000_NS6detail17trampoline_kernelINS0_13kernel_configILj256ELj4ELj4294967295EEENS1_37radix_sort_block_sort_config_selectorI6__halfNS0_10empty_typeEEEZNS1_21radix_sort_block_sortIS4_Lb1EPKS6_PS6_PS7_SD_NS0_19identity_decomposerEEE10hipError_tT1_T2_T3_T4_jRjT5_jjP12ihipStream_tbEUlT_E_NS1_11comp_targetILNS1_3genE10ELNS1_11target_archE1201ELNS1_3gpuE5ELNS1_3repE0EEENS1_44radix_sort_block_sort_config_static_selectorELNS0_4arch9wavefront6targetE0EEEvSG_.has_indirect_call, 0
	.section	.AMDGPU.csdata,"",@progbits
; Kernel info:
; codeLenInByte = 0
; TotalNumSgprs: 0
; NumVgprs: 0
; ScratchSize: 0
; MemoryBound: 0
; FloatMode: 240
; IeeeMode: 1
; LDSByteSize: 0 bytes/workgroup (compile time only)
; SGPRBlocks: 0
; VGPRBlocks: 0
; NumSGPRsForWavesPerEU: 1
; NumVGPRsForWavesPerEU: 1
; NamedBarCnt: 0
; Occupancy: 16
; WaveLimiterHint : 0
; COMPUTE_PGM_RSRC2:SCRATCH_EN: 0
; COMPUTE_PGM_RSRC2:USER_SGPR: 2
; COMPUTE_PGM_RSRC2:TRAP_HANDLER: 0
; COMPUTE_PGM_RSRC2:TGID_X_EN: 1
; COMPUTE_PGM_RSRC2:TGID_Y_EN: 0
; COMPUTE_PGM_RSRC2:TGID_Z_EN: 0
; COMPUTE_PGM_RSRC2:TIDIG_COMP_CNT: 0
	.section	.text._ZN7rocprim17ROCPRIM_400000_NS6detail17trampoline_kernelINS0_13kernel_configILj256ELj4ELj4294967295EEENS1_37radix_sort_block_sort_config_selectorI6__halfNS0_10empty_typeEEEZNS1_21radix_sort_block_sortIS4_Lb1EPKS6_PS6_PS7_SD_NS0_19identity_decomposerEEE10hipError_tT1_T2_T3_T4_jRjT5_jjP12ihipStream_tbEUlT_E_NS1_11comp_targetILNS1_3genE10ELNS1_11target_archE1200ELNS1_3gpuE4ELNS1_3repE0EEENS1_44radix_sort_block_sort_config_static_selectorELNS0_4arch9wavefront6targetE0EEEvSG_,"axG",@progbits,_ZN7rocprim17ROCPRIM_400000_NS6detail17trampoline_kernelINS0_13kernel_configILj256ELj4ELj4294967295EEENS1_37radix_sort_block_sort_config_selectorI6__halfNS0_10empty_typeEEEZNS1_21radix_sort_block_sortIS4_Lb1EPKS6_PS6_PS7_SD_NS0_19identity_decomposerEEE10hipError_tT1_T2_T3_T4_jRjT5_jjP12ihipStream_tbEUlT_E_NS1_11comp_targetILNS1_3genE10ELNS1_11target_archE1200ELNS1_3gpuE4ELNS1_3repE0EEENS1_44radix_sort_block_sort_config_static_selectorELNS0_4arch9wavefront6targetE0EEEvSG_,comdat
	.protected	_ZN7rocprim17ROCPRIM_400000_NS6detail17trampoline_kernelINS0_13kernel_configILj256ELj4ELj4294967295EEENS1_37radix_sort_block_sort_config_selectorI6__halfNS0_10empty_typeEEEZNS1_21radix_sort_block_sortIS4_Lb1EPKS6_PS6_PS7_SD_NS0_19identity_decomposerEEE10hipError_tT1_T2_T3_T4_jRjT5_jjP12ihipStream_tbEUlT_E_NS1_11comp_targetILNS1_3genE10ELNS1_11target_archE1200ELNS1_3gpuE4ELNS1_3repE0EEENS1_44radix_sort_block_sort_config_static_selectorELNS0_4arch9wavefront6targetE0EEEvSG_ ; -- Begin function _ZN7rocprim17ROCPRIM_400000_NS6detail17trampoline_kernelINS0_13kernel_configILj256ELj4ELj4294967295EEENS1_37radix_sort_block_sort_config_selectorI6__halfNS0_10empty_typeEEEZNS1_21radix_sort_block_sortIS4_Lb1EPKS6_PS6_PS7_SD_NS0_19identity_decomposerEEE10hipError_tT1_T2_T3_T4_jRjT5_jjP12ihipStream_tbEUlT_E_NS1_11comp_targetILNS1_3genE10ELNS1_11target_archE1200ELNS1_3gpuE4ELNS1_3repE0EEENS1_44radix_sort_block_sort_config_static_selectorELNS0_4arch9wavefront6targetE0EEEvSG_
	.globl	_ZN7rocprim17ROCPRIM_400000_NS6detail17trampoline_kernelINS0_13kernel_configILj256ELj4ELj4294967295EEENS1_37radix_sort_block_sort_config_selectorI6__halfNS0_10empty_typeEEEZNS1_21radix_sort_block_sortIS4_Lb1EPKS6_PS6_PS7_SD_NS0_19identity_decomposerEEE10hipError_tT1_T2_T3_T4_jRjT5_jjP12ihipStream_tbEUlT_E_NS1_11comp_targetILNS1_3genE10ELNS1_11target_archE1200ELNS1_3gpuE4ELNS1_3repE0EEENS1_44radix_sort_block_sort_config_static_selectorELNS0_4arch9wavefront6targetE0EEEvSG_
	.p2align	8
	.type	_ZN7rocprim17ROCPRIM_400000_NS6detail17trampoline_kernelINS0_13kernel_configILj256ELj4ELj4294967295EEENS1_37radix_sort_block_sort_config_selectorI6__halfNS0_10empty_typeEEEZNS1_21radix_sort_block_sortIS4_Lb1EPKS6_PS6_PS7_SD_NS0_19identity_decomposerEEE10hipError_tT1_T2_T3_T4_jRjT5_jjP12ihipStream_tbEUlT_E_NS1_11comp_targetILNS1_3genE10ELNS1_11target_archE1200ELNS1_3gpuE4ELNS1_3repE0EEENS1_44radix_sort_block_sort_config_static_selectorELNS0_4arch9wavefront6targetE0EEEvSG_,@function
_ZN7rocprim17ROCPRIM_400000_NS6detail17trampoline_kernelINS0_13kernel_configILj256ELj4ELj4294967295EEENS1_37radix_sort_block_sort_config_selectorI6__halfNS0_10empty_typeEEEZNS1_21radix_sort_block_sortIS4_Lb1EPKS6_PS6_PS7_SD_NS0_19identity_decomposerEEE10hipError_tT1_T2_T3_T4_jRjT5_jjP12ihipStream_tbEUlT_E_NS1_11comp_targetILNS1_3genE10ELNS1_11target_archE1200ELNS1_3gpuE4ELNS1_3repE0EEENS1_44radix_sort_block_sort_config_static_selectorELNS0_4arch9wavefront6targetE0EEEvSG_: ; @_ZN7rocprim17ROCPRIM_400000_NS6detail17trampoline_kernelINS0_13kernel_configILj256ELj4ELj4294967295EEENS1_37radix_sort_block_sort_config_selectorI6__halfNS0_10empty_typeEEEZNS1_21radix_sort_block_sortIS4_Lb1EPKS6_PS6_PS7_SD_NS0_19identity_decomposerEEE10hipError_tT1_T2_T3_T4_jRjT5_jjP12ihipStream_tbEUlT_E_NS1_11comp_targetILNS1_3genE10ELNS1_11target_archE1200ELNS1_3gpuE4ELNS1_3repE0EEENS1_44radix_sort_block_sort_config_static_selectorELNS0_4arch9wavefront6targetE0EEEvSG_
; %bb.0:
	.section	.rodata,"a",@progbits
	.p2align	6, 0x0
	.amdhsa_kernel _ZN7rocprim17ROCPRIM_400000_NS6detail17trampoline_kernelINS0_13kernel_configILj256ELj4ELj4294967295EEENS1_37radix_sort_block_sort_config_selectorI6__halfNS0_10empty_typeEEEZNS1_21radix_sort_block_sortIS4_Lb1EPKS6_PS6_PS7_SD_NS0_19identity_decomposerEEE10hipError_tT1_T2_T3_T4_jRjT5_jjP12ihipStream_tbEUlT_E_NS1_11comp_targetILNS1_3genE10ELNS1_11target_archE1200ELNS1_3gpuE4ELNS1_3repE0EEENS1_44radix_sort_block_sort_config_static_selectorELNS0_4arch9wavefront6targetE0EEEvSG_
		.amdhsa_group_segment_fixed_size 0
		.amdhsa_private_segment_fixed_size 0
		.amdhsa_kernarg_size 48
		.amdhsa_user_sgpr_count 2
		.amdhsa_user_sgpr_dispatch_ptr 0
		.amdhsa_user_sgpr_queue_ptr 0
		.amdhsa_user_sgpr_kernarg_segment_ptr 1
		.amdhsa_user_sgpr_dispatch_id 0
		.amdhsa_user_sgpr_kernarg_preload_length 0
		.amdhsa_user_sgpr_kernarg_preload_offset 0
		.amdhsa_user_sgpr_private_segment_size 0
		.amdhsa_wavefront_size32 1
		.amdhsa_uses_dynamic_stack 0
		.amdhsa_enable_private_segment 0
		.amdhsa_system_sgpr_workgroup_id_x 1
		.amdhsa_system_sgpr_workgroup_id_y 0
		.amdhsa_system_sgpr_workgroup_id_z 0
		.amdhsa_system_sgpr_workgroup_info 0
		.amdhsa_system_vgpr_workitem_id 0
		.amdhsa_next_free_vgpr 1
		.amdhsa_next_free_sgpr 1
		.amdhsa_named_barrier_count 0
		.amdhsa_reserve_vcc 0
		.amdhsa_float_round_mode_32 0
		.amdhsa_float_round_mode_16_64 0
		.amdhsa_float_denorm_mode_32 3
		.amdhsa_float_denorm_mode_16_64 3
		.amdhsa_fp16_overflow 0
		.amdhsa_memory_ordered 1
		.amdhsa_forward_progress 1
		.amdhsa_inst_pref_size 0
		.amdhsa_round_robin_scheduling 0
		.amdhsa_exception_fp_ieee_invalid_op 0
		.amdhsa_exception_fp_denorm_src 0
		.amdhsa_exception_fp_ieee_div_zero 0
		.amdhsa_exception_fp_ieee_overflow 0
		.amdhsa_exception_fp_ieee_underflow 0
		.amdhsa_exception_fp_ieee_inexact 0
		.amdhsa_exception_int_div_zero 0
	.end_amdhsa_kernel
	.section	.text._ZN7rocprim17ROCPRIM_400000_NS6detail17trampoline_kernelINS0_13kernel_configILj256ELj4ELj4294967295EEENS1_37radix_sort_block_sort_config_selectorI6__halfNS0_10empty_typeEEEZNS1_21radix_sort_block_sortIS4_Lb1EPKS6_PS6_PS7_SD_NS0_19identity_decomposerEEE10hipError_tT1_T2_T3_T4_jRjT5_jjP12ihipStream_tbEUlT_E_NS1_11comp_targetILNS1_3genE10ELNS1_11target_archE1200ELNS1_3gpuE4ELNS1_3repE0EEENS1_44radix_sort_block_sort_config_static_selectorELNS0_4arch9wavefront6targetE0EEEvSG_,"axG",@progbits,_ZN7rocprim17ROCPRIM_400000_NS6detail17trampoline_kernelINS0_13kernel_configILj256ELj4ELj4294967295EEENS1_37radix_sort_block_sort_config_selectorI6__halfNS0_10empty_typeEEEZNS1_21radix_sort_block_sortIS4_Lb1EPKS6_PS6_PS7_SD_NS0_19identity_decomposerEEE10hipError_tT1_T2_T3_T4_jRjT5_jjP12ihipStream_tbEUlT_E_NS1_11comp_targetILNS1_3genE10ELNS1_11target_archE1200ELNS1_3gpuE4ELNS1_3repE0EEENS1_44radix_sort_block_sort_config_static_selectorELNS0_4arch9wavefront6targetE0EEEvSG_,comdat
.Lfunc_end2093:
	.size	_ZN7rocprim17ROCPRIM_400000_NS6detail17trampoline_kernelINS0_13kernel_configILj256ELj4ELj4294967295EEENS1_37radix_sort_block_sort_config_selectorI6__halfNS0_10empty_typeEEEZNS1_21radix_sort_block_sortIS4_Lb1EPKS6_PS6_PS7_SD_NS0_19identity_decomposerEEE10hipError_tT1_T2_T3_T4_jRjT5_jjP12ihipStream_tbEUlT_E_NS1_11comp_targetILNS1_3genE10ELNS1_11target_archE1200ELNS1_3gpuE4ELNS1_3repE0EEENS1_44radix_sort_block_sort_config_static_selectorELNS0_4arch9wavefront6targetE0EEEvSG_, .Lfunc_end2093-_ZN7rocprim17ROCPRIM_400000_NS6detail17trampoline_kernelINS0_13kernel_configILj256ELj4ELj4294967295EEENS1_37radix_sort_block_sort_config_selectorI6__halfNS0_10empty_typeEEEZNS1_21radix_sort_block_sortIS4_Lb1EPKS6_PS6_PS7_SD_NS0_19identity_decomposerEEE10hipError_tT1_T2_T3_T4_jRjT5_jjP12ihipStream_tbEUlT_E_NS1_11comp_targetILNS1_3genE10ELNS1_11target_archE1200ELNS1_3gpuE4ELNS1_3repE0EEENS1_44radix_sort_block_sort_config_static_selectorELNS0_4arch9wavefront6targetE0EEEvSG_
                                        ; -- End function
	.set _ZN7rocprim17ROCPRIM_400000_NS6detail17trampoline_kernelINS0_13kernel_configILj256ELj4ELj4294967295EEENS1_37radix_sort_block_sort_config_selectorI6__halfNS0_10empty_typeEEEZNS1_21radix_sort_block_sortIS4_Lb1EPKS6_PS6_PS7_SD_NS0_19identity_decomposerEEE10hipError_tT1_T2_T3_T4_jRjT5_jjP12ihipStream_tbEUlT_E_NS1_11comp_targetILNS1_3genE10ELNS1_11target_archE1200ELNS1_3gpuE4ELNS1_3repE0EEENS1_44radix_sort_block_sort_config_static_selectorELNS0_4arch9wavefront6targetE0EEEvSG_.num_vgpr, 0
	.set _ZN7rocprim17ROCPRIM_400000_NS6detail17trampoline_kernelINS0_13kernel_configILj256ELj4ELj4294967295EEENS1_37radix_sort_block_sort_config_selectorI6__halfNS0_10empty_typeEEEZNS1_21radix_sort_block_sortIS4_Lb1EPKS6_PS6_PS7_SD_NS0_19identity_decomposerEEE10hipError_tT1_T2_T3_T4_jRjT5_jjP12ihipStream_tbEUlT_E_NS1_11comp_targetILNS1_3genE10ELNS1_11target_archE1200ELNS1_3gpuE4ELNS1_3repE0EEENS1_44radix_sort_block_sort_config_static_selectorELNS0_4arch9wavefront6targetE0EEEvSG_.num_agpr, 0
	.set _ZN7rocprim17ROCPRIM_400000_NS6detail17trampoline_kernelINS0_13kernel_configILj256ELj4ELj4294967295EEENS1_37radix_sort_block_sort_config_selectorI6__halfNS0_10empty_typeEEEZNS1_21radix_sort_block_sortIS4_Lb1EPKS6_PS6_PS7_SD_NS0_19identity_decomposerEEE10hipError_tT1_T2_T3_T4_jRjT5_jjP12ihipStream_tbEUlT_E_NS1_11comp_targetILNS1_3genE10ELNS1_11target_archE1200ELNS1_3gpuE4ELNS1_3repE0EEENS1_44radix_sort_block_sort_config_static_selectorELNS0_4arch9wavefront6targetE0EEEvSG_.numbered_sgpr, 0
	.set _ZN7rocprim17ROCPRIM_400000_NS6detail17trampoline_kernelINS0_13kernel_configILj256ELj4ELj4294967295EEENS1_37radix_sort_block_sort_config_selectorI6__halfNS0_10empty_typeEEEZNS1_21radix_sort_block_sortIS4_Lb1EPKS6_PS6_PS7_SD_NS0_19identity_decomposerEEE10hipError_tT1_T2_T3_T4_jRjT5_jjP12ihipStream_tbEUlT_E_NS1_11comp_targetILNS1_3genE10ELNS1_11target_archE1200ELNS1_3gpuE4ELNS1_3repE0EEENS1_44radix_sort_block_sort_config_static_selectorELNS0_4arch9wavefront6targetE0EEEvSG_.num_named_barrier, 0
	.set _ZN7rocprim17ROCPRIM_400000_NS6detail17trampoline_kernelINS0_13kernel_configILj256ELj4ELj4294967295EEENS1_37radix_sort_block_sort_config_selectorI6__halfNS0_10empty_typeEEEZNS1_21radix_sort_block_sortIS4_Lb1EPKS6_PS6_PS7_SD_NS0_19identity_decomposerEEE10hipError_tT1_T2_T3_T4_jRjT5_jjP12ihipStream_tbEUlT_E_NS1_11comp_targetILNS1_3genE10ELNS1_11target_archE1200ELNS1_3gpuE4ELNS1_3repE0EEENS1_44radix_sort_block_sort_config_static_selectorELNS0_4arch9wavefront6targetE0EEEvSG_.private_seg_size, 0
	.set _ZN7rocprim17ROCPRIM_400000_NS6detail17trampoline_kernelINS0_13kernel_configILj256ELj4ELj4294967295EEENS1_37radix_sort_block_sort_config_selectorI6__halfNS0_10empty_typeEEEZNS1_21radix_sort_block_sortIS4_Lb1EPKS6_PS6_PS7_SD_NS0_19identity_decomposerEEE10hipError_tT1_T2_T3_T4_jRjT5_jjP12ihipStream_tbEUlT_E_NS1_11comp_targetILNS1_3genE10ELNS1_11target_archE1200ELNS1_3gpuE4ELNS1_3repE0EEENS1_44radix_sort_block_sort_config_static_selectorELNS0_4arch9wavefront6targetE0EEEvSG_.uses_vcc, 0
	.set _ZN7rocprim17ROCPRIM_400000_NS6detail17trampoline_kernelINS0_13kernel_configILj256ELj4ELj4294967295EEENS1_37radix_sort_block_sort_config_selectorI6__halfNS0_10empty_typeEEEZNS1_21radix_sort_block_sortIS4_Lb1EPKS6_PS6_PS7_SD_NS0_19identity_decomposerEEE10hipError_tT1_T2_T3_T4_jRjT5_jjP12ihipStream_tbEUlT_E_NS1_11comp_targetILNS1_3genE10ELNS1_11target_archE1200ELNS1_3gpuE4ELNS1_3repE0EEENS1_44radix_sort_block_sort_config_static_selectorELNS0_4arch9wavefront6targetE0EEEvSG_.uses_flat_scratch, 0
	.set _ZN7rocprim17ROCPRIM_400000_NS6detail17trampoline_kernelINS0_13kernel_configILj256ELj4ELj4294967295EEENS1_37radix_sort_block_sort_config_selectorI6__halfNS0_10empty_typeEEEZNS1_21radix_sort_block_sortIS4_Lb1EPKS6_PS6_PS7_SD_NS0_19identity_decomposerEEE10hipError_tT1_T2_T3_T4_jRjT5_jjP12ihipStream_tbEUlT_E_NS1_11comp_targetILNS1_3genE10ELNS1_11target_archE1200ELNS1_3gpuE4ELNS1_3repE0EEENS1_44radix_sort_block_sort_config_static_selectorELNS0_4arch9wavefront6targetE0EEEvSG_.has_dyn_sized_stack, 0
	.set _ZN7rocprim17ROCPRIM_400000_NS6detail17trampoline_kernelINS0_13kernel_configILj256ELj4ELj4294967295EEENS1_37radix_sort_block_sort_config_selectorI6__halfNS0_10empty_typeEEEZNS1_21radix_sort_block_sortIS4_Lb1EPKS6_PS6_PS7_SD_NS0_19identity_decomposerEEE10hipError_tT1_T2_T3_T4_jRjT5_jjP12ihipStream_tbEUlT_E_NS1_11comp_targetILNS1_3genE10ELNS1_11target_archE1200ELNS1_3gpuE4ELNS1_3repE0EEENS1_44radix_sort_block_sort_config_static_selectorELNS0_4arch9wavefront6targetE0EEEvSG_.has_recursion, 0
	.set _ZN7rocprim17ROCPRIM_400000_NS6detail17trampoline_kernelINS0_13kernel_configILj256ELj4ELj4294967295EEENS1_37radix_sort_block_sort_config_selectorI6__halfNS0_10empty_typeEEEZNS1_21radix_sort_block_sortIS4_Lb1EPKS6_PS6_PS7_SD_NS0_19identity_decomposerEEE10hipError_tT1_T2_T3_T4_jRjT5_jjP12ihipStream_tbEUlT_E_NS1_11comp_targetILNS1_3genE10ELNS1_11target_archE1200ELNS1_3gpuE4ELNS1_3repE0EEENS1_44radix_sort_block_sort_config_static_selectorELNS0_4arch9wavefront6targetE0EEEvSG_.has_indirect_call, 0
	.section	.AMDGPU.csdata,"",@progbits
; Kernel info:
; codeLenInByte = 0
; TotalNumSgprs: 0
; NumVgprs: 0
; ScratchSize: 0
; MemoryBound: 0
; FloatMode: 240
; IeeeMode: 1
; LDSByteSize: 0 bytes/workgroup (compile time only)
; SGPRBlocks: 0
; VGPRBlocks: 0
; NumSGPRsForWavesPerEU: 1
; NumVGPRsForWavesPerEU: 1
; NamedBarCnt: 0
; Occupancy: 16
; WaveLimiterHint : 0
; COMPUTE_PGM_RSRC2:SCRATCH_EN: 0
; COMPUTE_PGM_RSRC2:USER_SGPR: 2
; COMPUTE_PGM_RSRC2:TRAP_HANDLER: 0
; COMPUTE_PGM_RSRC2:TGID_X_EN: 1
; COMPUTE_PGM_RSRC2:TGID_Y_EN: 0
; COMPUTE_PGM_RSRC2:TGID_Z_EN: 0
; COMPUTE_PGM_RSRC2:TIDIG_COMP_CNT: 0
	.section	.text._ZN7rocprim17ROCPRIM_400000_NS6detail17trampoline_kernelINS0_13kernel_configILj256ELj4ELj4294967295EEENS1_37radix_sort_block_sort_config_selectorI6__halfNS0_10empty_typeEEEZNS1_21radix_sort_block_sortIS4_Lb1EPKS6_PS6_PS7_SD_NS0_19identity_decomposerEEE10hipError_tT1_T2_T3_T4_jRjT5_jjP12ihipStream_tbEUlT_E_NS1_11comp_targetILNS1_3genE9ELNS1_11target_archE1100ELNS1_3gpuE3ELNS1_3repE0EEENS1_44radix_sort_block_sort_config_static_selectorELNS0_4arch9wavefront6targetE0EEEvSG_,"axG",@progbits,_ZN7rocprim17ROCPRIM_400000_NS6detail17trampoline_kernelINS0_13kernel_configILj256ELj4ELj4294967295EEENS1_37radix_sort_block_sort_config_selectorI6__halfNS0_10empty_typeEEEZNS1_21radix_sort_block_sortIS4_Lb1EPKS6_PS6_PS7_SD_NS0_19identity_decomposerEEE10hipError_tT1_T2_T3_T4_jRjT5_jjP12ihipStream_tbEUlT_E_NS1_11comp_targetILNS1_3genE9ELNS1_11target_archE1100ELNS1_3gpuE3ELNS1_3repE0EEENS1_44radix_sort_block_sort_config_static_selectorELNS0_4arch9wavefront6targetE0EEEvSG_,comdat
	.protected	_ZN7rocprim17ROCPRIM_400000_NS6detail17trampoline_kernelINS0_13kernel_configILj256ELj4ELj4294967295EEENS1_37radix_sort_block_sort_config_selectorI6__halfNS0_10empty_typeEEEZNS1_21radix_sort_block_sortIS4_Lb1EPKS6_PS6_PS7_SD_NS0_19identity_decomposerEEE10hipError_tT1_T2_T3_T4_jRjT5_jjP12ihipStream_tbEUlT_E_NS1_11comp_targetILNS1_3genE9ELNS1_11target_archE1100ELNS1_3gpuE3ELNS1_3repE0EEENS1_44radix_sort_block_sort_config_static_selectorELNS0_4arch9wavefront6targetE0EEEvSG_ ; -- Begin function _ZN7rocprim17ROCPRIM_400000_NS6detail17trampoline_kernelINS0_13kernel_configILj256ELj4ELj4294967295EEENS1_37radix_sort_block_sort_config_selectorI6__halfNS0_10empty_typeEEEZNS1_21radix_sort_block_sortIS4_Lb1EPKS6_PS6_PS7_SD_NS0_19identity_decomposerEEE10hipError_tT1_T2_T3_T4_jRjT5_jjP12ihipStream_tbEUlT_E_NS1_11comp_targetILNS1_3genE9ELNS1_11target_archE1100ELNS1_3gpuE3ELNS1_3repE0EEENS1_44radix_sort_block_sort_config_static_selectorELNS0_4arch9wavefront6targetE0EEEvSG_
	.globl	_ZN7rocprim17ROCPRIM_400000_NS6detail17trampoline_kernelINS0_13kernel_configILj256ELj4ELj4294967295EEENS1_37radix_sort_block_sort_config_selectorI6__halfNS0_10empty_typeEEEZNS1_21radix_sort_block_sortIS4_Lb1EPKS6_PS6_PS7_SD_NS0_19identity_decomposerEEE10hipError_tT1_T2_T3_T4_jRjT5_jjP12ihipStream_tbEUlT_E_NS1_11comp_targetILNS1_3genE9ELNS1_11target_archE1100ELNS1_3gpuE3ELNS1_3repE0EEENS1_44radix_sort_block_sort_config_static_selectorELNS0_4arch9wavefront6targetE0EEEvSG_
	.p2align	8
	.type	_ZN7rocprim17ROCPRIM_400000_NS6detail17trampoline_kernelINS0_13kernel_configILj256ELj4ELj4294967295EEENS1_37radix_sort_block_sort_config_selectorI6__halfNS0_10empty_typeEEEZNS1_21radix_sort_block_sortIS4_Lb1EPKS6_PS6_PS7_SD_NS0_19identity_decomposerEEE10hipError_tT1_T2_T3_T4_jRjT5_jjP12ihipStream_tbEUlT_E_NS1_11comp_targetILNS1_3genE9ELNS1_11target_archE1100ELNS1_3gpuE3ELNS1_3repE0EEENS1_44radix_sort_block_sort_config_static_selectorELNS0_4arch9wavefront6targetE0EEEvSG_,@function
_ZN7rocprim17ROCPRIM_400000_NS6detail17trampoline_kernelINS0_13kernel_configILj256ELj4ELj4294967295EEENS1_37radix_sort_block_sort_config_selectorI6__halfNS0_10empty_typeEEEZNS1_21radix_sort_block_sortIS4_Lb1EPKS6_PS6_PS7_SD_NS0_19identity_decomposerEEE10hipError_tT1_T2_T3_T4_jRjT5_jjP12ihipStream_tbEUlT_E_NS1_11comp_targetILNS1_3genE9ELNS1_11target_archE1100ELNS1_3gpuE3ELNS1_3repE0EEENS1_44radix_sort_block_sort_config_static_selectorELNS0_4arch9wavefront6targetE0EEEvSG_: ; @_ZN7rocprim17ROCPRIM_400000_NS6detail17trampoline_kernelINS0_13kernel_configILj256ELj4ELj4294967295EEENS1_37radix_sort_block_sort_config_selectorI6__halfNS0_10empty_typeEEEZNS1_21radix_sort_block_sortIS4_Lb1EPKS6_PS6_PS7_SD_NS0_19identity_decomposerEEE10hipError_tT1_T2_T3_T4_jRjT5_jjP12ihipStream_tbEUlT_E_NS1_11comp_targetILNS1_3genE9ELNS1_11target_archE1100ELNS1_3gpuE3ELNS1_3repE0EEENS1_44radix_sort_block_sort_config_static_selectorELNS0_4arch9wavefront6targetE0EEEvSG_
; %bb.0:
	.section	.rodata,"a",@progbits
	.p2align	6, 0x0
	.amdhsa_kernel _ZN7rocprim17ROCPRIM_400000_NS6detail17trampoline_kernelINS0_13kernel_configILj256ELj4ELj4294967295EEENS1_37radix_sort_block_sort_config_selectorI6__halfNS0_10empty_typeEEEZNS1_21radix_sort_block_sortIS4_Lb1EPKS6_PS6_PS7_SD_NS0_19identity_decomposerEEE10hipError_tT1_T2_T3_T4_jRjT5_jjP12ihipStream_tbEUlT_E_NS1_11comp_targetILNS1_3genE9ELNS1_11target_archE1100ELNS1_3gpuE3ELNS1_3repE0EEENS1_44radix_sort_block_sort_config_static_selectorELNS0_4arch9wavefront6targetE0EEEvSG_
		.amdhsa_group_segment_fixed_size 0
		.amdhsa_private_segment_fixed_size 0
		.amdhsa_kernarg_size 48
		.amdhsa_user_sgpr_count 2
		.amdhsa_user_sgpr_dispatch_ptr 0
		.amdhsa_user_sgpr_queue_ptr 0
		.amdhsa_user_sgpr_kernarg_segment_ptr 1
		.amdhsa_user_sgpr_dispatch_id 0
		.amdhsa_user_sgpr_kernarg_preload_length 0
		.amdhsa_user_sgpr_kernarg_preload_offset 0
		.amdhsa_user_sgpr_private_segment_size 0
		.amdhsa_wavefront_size32 1
		.amdhsa_uses_dynamic_stack 0
		.amdhsa_enable_private_segment 0
		.amdhsa_system_sgpr_workgroup_id_x 1
		.amdhsa_system_sgpr_workgroup_id_y 0
		.amdhsa_system_sgpr_workgroup_id_z 0
		.amdhsa_system_sgpr_workgroup_info 0
		.amdhsa_system_vgpr_workitem_id 0
		.amdhsa_next_free_vgpr 1
		.amdhsa_next_free_sgpr 1
		.amdhsa_named_barrier_count 0
		.amdhsa_reserve_vcc 0
		.amdhsa_float_round_mode_32 0
		.amdhsa_float_round_mode_16_64 0
		.amdhsa_float_denorm_mode_32 3
		.amdhsa_float_denorm_mode_16_64 3
		.amdhsa_fp16_overflow 0
		.amdhsa_memory_ordered 1
		.amdhsa_forward_progress 1
		.amdhsa_inst_pref_size 0
		.amdhsa_round_robin_scheduling 0
		.amdhsa_exception_fp_ieee_invalid_op 0
		.amdhsa_exception_fp_denorm_src 0
		.amdhsa_exception_fp_ieee_div_zero 0
		.amdhsa_exception_fp_ieee_overflow 0
		.amdhsa_exception_fp_ieee_underflow 0
		.amdhsa_exception_fp_ieee_inexact 0
		.amdhsa_exception_int_div_zero 0
	.end_amdhsa_kernel
	.section	.text._ZN7rocprim17ROCPRIM_400000_NS6detail17trampoline_kernelINS0_13kernel_configILj256ELj4ELj4294967295EEENS1_37radix_sort_block_sort_config_selectorI6__halfNS0_10empty_typeEEEZNS1_21radix_sort_block_sortIS4_Lb1EPKS6_PS6_PS7_SD_NS0_19identity_decomposerEEE10hipError_tT1_T2_T3_T4_jRjT5_jjP12ihipStream_tbEUlT_E_NS1_11comp_targetILNS1_3genE9ELNS1_11target_archE1100ELNS1_3gpuE3ELNS1_3repE0EEENS1_44radix_sort_block_sort_config_static_selectorELNS0_4arch9wavefront6targetE0EEEvSG_,"axG",@progbits,_ZN7rocprim17ROCPRIM_400000_NS6detail17trampoline_kernelINS0_13kernel_configILj256ELj4ELj4294967295EEENS1_37radix_sort_block_sort_config_selectorI6__halfNS0_10empty_typeEEEZNS1_21radix_sort_block_sortIS4_Lb1EPKS6_PS6_PS7_SD_NS0_19identity_decomposerEEE10hipError_tT1_T2_T3_T4_jRjT5_jjP12ihipStream_tbEUlT_E_NS1_11comp_targetILNS1_3genE9ELNS1_11target_archE1100ELNS1_3gpuE3ELNS1_3repE0EEENS1_44radix_sort_block_sort_config_static_selectorELNS0_4arch9wavefront6targetE0EEEvSG_,comdat
.Lfunc_end2094:
	.size	_ZN7rocprim17ROCPRIM_400000_NS6detail17trampoline_kernelINS0_13kernel_configILj256ELj4ELj4294967295EEENS1_37radix_sort_block_sort_config_selectorI6__halfNS0_10empty_typeEEEZNS1_21radix_sort_block_sortIS4_Lb1EPKS6_PS6_PS7_SD_NS0_19identity_decomposerEEE10hipError_tT1_T2_T3_T4_jRjT5_jjP12ihipStream_tbEUlT_E_NS1_11comp_targetILNS1_3genE9ELNS1_11target_archE1100ELNS1_3gpuE3ELNS1_3repE0EEENS1_44radix_sort_block_sort_config_static_selectorELNS0_4arch9wavefront6targetE0EEEvSG_, .Lfunc_end2094-_ZN7rocprim17ROCPRIM_400000_NS6detail17trampoline_kernelINS0_13kernel_configILj256ELj4ELj4294967295EEENS1_37radix_sort_block_sort_config_selectorI6__halfNS0_10empty_typeEEEZNS1_21radix_sort_block_sortIS4_Lb1EPKS6_PS6_PS7_SD_NS0_19identity_decomposerEEE10hipError_tT1_T2_T3_T4_jRjT5_jjP12ihipStream_tbEUlT_E_NS1_11comp_targetILNS1_3genE9ELNS1_11target_archE1100ELNS1_3gpuE3ELNS1_3repE0EEENS1_44radix_sort_block_sort_config_static_selectorELNS0_4arch9wavefront6targetE0EEEvSG_
                                        ; -- End function
	.set _ZN7rocprim17ROCPRIM_400000_NS6detail17trampoline_kernelINS0_13kernel_configILj256ELj4ELj4294967295EEENS1_37radix_sort_block_sort_config_selectorI6__halfNS0_10empty_typeEEEZNS1_21radix_sort_block_sortIS4_Lb1EPKS6_PS6_PS7_SD_NS0_19identity_decomposerEEE10hipError_tT1_T2_T3_T4_jRjT5_jjP12ihipStream_tbEUlT_E_NS1_11comp_targetILNS1_3genE9ELNS1_11target_archE1100ELNS1_3gpuE3ELNS1_3repE0EEENS1_44radix_sort_block_sort_config_static_selectorELNS0_4arch9wavefront6targetE0EEEvSG_.num_vgpr, 0
	.set _ZN7rocprim17ROCPRIM_400000_NS6detail17trampoline_kernelINS0_13kernel_configILj256ELj4ELj4294967295EEENS1_37radix_sort_block_sort_config_selectorI6__halfNS0_10empty_typeEEEZNS1_21radix_sort_block_sortIS4_Lb1EPKS6_PS6_PS7_SD_NS0_19identity_decomposerEEE10hipError_tT1_T2_T3_T4_jRjT5_jjP12ihipStream_tbEUlT_E_NS1_11comp_targetILNS1_3genE9ELNS1_11target_archE1100ELNS1_3gpuE3ELNS1_3repE0EEENS1_44radix_sort_block_sort_config_static_selectorELNS0_4arch9wavefront6targetE0EEEvSG_.num_agpr, 0
	.set _ZN7rocprim17ROCPRIM_400000_NS6detail17trampoline_kernelINS0_13kernel_configILj256ELj4ELj4294967295EEENS1_37radix_sort_block_sort_config_selectorI6__halfNS0_10empty_typeEEEZNS1_21radix_sort_block_sortIS4_Lb1EPKS6_PS6_PS7_SD_NS0_19identity_decomposerEEE10hipError_tT1_T2_T3_T4_jRjT5_jjP12ihipStream_tbEUlT_E_NS1_11comp_targetILNS1_3genE9ELNS1_11target_archE1100ELNS1_3gpuE3ELNS1_3repE0EEENS1_44radix_sort_block_sort_config_static_selectorELNS0_4arch9wavefront6targetE0EEEvSG_.numbered_sgpr, 0
	.set _ZN7rocprim17ROCPRIM_400000_NS6detail17trampoline_kernelINS0_13kernel_configILj256ELj4ELj4294967295EEENS1_37radix_sort_block_sort_config_selectorI6__halfNS0_10empty_typeEEEZNS1_21radix_sort_block_sortIS4_Lb1EPKS6_PS6_PS7_SD_NS0_19identity_decomposerEEE10hipError_tT1_T2_T3_T4_jRjT5_jjP12ihipStream_tbEUlT_E_NS1_11comp_targetILNS1_3genE9ELNS1_11target_archE1100ELNS1_3gpuE3ELNS1_3repE0EEENS1_44radix_sort_block_sort_config_static_selectorELNS0_4arch9wavefront6targetE0EEEvSG_.num_named_barrier, 0
	.set _ZN7rocprim17ROCPRIM_400000_NS6detail17trampoline_kernelINS0_13kernel_configILj256ELj4ELj4294967295EEENS1_37radix_sort_block_sort_config_selectorI6__halfNS0_10empty_typeEEEZNS1_21radix_sort_block_sortIS4_Lb1EPKS6_PS6_PS7_SD_NS0_19identity_decomposerEEE10hipError_tT1_T2_T3_T4_jRjT5_jjP12ihipStream_tbEUlT_E_NS1_11comp_targetILNS1_3genE9ELNS1_11target_archE1100ELNS1_3gpuE3ELNS1_3repE0EEENS1_44radix_sort_block_sort_config_static_selectorELNS0_4arch9wavefront6targetE0EEEvSG_.private_seg_size, 0
	.set _ZN7rocprim17ROCPRIM_400000_NS6detail17trampoline_kernelINS0_13kernel_configILj256ELj4ELj4294967295EEENS1_37radix_sort_block_sort_config_selectorI6__halfNS0_10empty_typeEEEZNS1_21radix_sort_block_sortIS4_Lb1EPKS6_PS6_PS7_SD_NS0_19identity_decomposerEEE10hipError_tT1_T2_T3_T4_jRjT5_jjP12ihipStream_tbEUlT_E_NS1_11comp_targetILNS1_3genE9ELNS1_11target_archE1100ELNS1_3gpuE3ELNS1_3repE0EEENS1_44radix_sort_block_sort_config_static_selectorELNS0_4arch9wavefront6targetE0EEEvSG_.uses_vcc, 0
	.set _ZN7rocprim17ROCPRIM_400000_NS6detail17trampoline_kernelINS0_13kernel_configILj256ELj4ELj4294967295EEENS1_37radix_sort_block_sort_config_selectorI6__halfNS0_10empty_typeEEEZNS1_21radix_sort_block_sortIS4_Lb1EPKS6_PS6_PS7_SD_NS0_19identity_decomposerEEE10hipError_tT1_T2_T3_T4_jRjT5_jjP12ihipStream_tbEUlT_E_NS1_11comp_targetILNS1_3genE9ELNS1_11target_archE1100ELNS1_3gpuE3ELNS1_3repE0EEENS1_44radix_sort_block_sort_config_static_selectorELNS0_4arch9wavefront6targetE0EEEvSG_.uses_flat_scratch, 0
	.set _ZN7rocprim17ROCPRIM_400000_NS6detail17trampoline_kernelINS0_13kernel_configILj256ELj4ELj4294967295EEENS1_37radix_sort_block_sort_config_selectorI6__halfNS0_10empty_typeEEEZNS1_21radix_sort_block_sortIS4_Lb1EPKS6_PS6_PS7_SD_NS0_19identity_decomposerEEE10hipError_tT1_T2_T3_T4_jRjT5_jjP12ihipStream_tbEUlT_E_NS1_11comp_targetILNS1_3genE9ELNS1_11target_archE1100ELNS1_3gpuE3ELNS1_3repE0EEENS1_44radix_sort_block_sort_config_static_selectorELNS0_4arch9wavefront6targetE0EEEvSG_.has_dyn_sized_stack, 0
	.set _ZN7rocprim17ROCPRIM_400000_NS6detail17trampoline_kernelINS0_13kernel_configILj256ELj4ELj4294967295EEENS1_37radix_sort_block_sort_config_selectorI6__halfNS0_10empty_typeEEEZNS1_21radix_sort_block_sortIS4_Lb1EPKS6_PS6_PS7_SD_NS0_19identity_decomposerEEE10hipError_tT1_T2_T3_T4_jRjT5_jjP12ihipStream_tbEUlT_E_NS1_11comp_targetILNS1_3genE9ELNS1_11target_archE1100ELNS1_3gpuE3ELNS1_3repE0EEENS1_44radix_sort_block_sort_config_static_selectorELNS0_4arch9wavefront6targetE0EEEvSG_.has_recursion, 0
	.set _ZN7rocprim17ROCPRIM_400000_NS6detail17trampoline_kernelINS0_13kernel_configILj256ELj4ELj4294967295EEENS1_37radix_sort_block_sort_config_selectorI6__halfNS0_10empty_typeEEEZNS1_21radix_sort_block_sortIS4_Lb1EPKS6_PS6_PS7_SD_NS0_19identity_decomposerEEE10hipError_tT1_T2_T3_T4_jRjT5_jjP12ihipStream_tbEUlT_E_NS1_11comp_targetILNS1_3genE9ELNS1_11target_archE1100ELNS1_3gpuE3ELNS1_3repE0EEENS1_44radix_sort_block_sort_config_static_selectorELNS0_4arch9wavefront6targetE0EEEvSG_.has_indirect_call, 0
	.section	.AMDGPU.csdata,"",@progbits
; Kernel info:
; codeLenInByte = 0
; TotalNumSgprs: 0
; NumVgprs: 0
; ScratchSize: 0
; MemoryBound: 0
; FloatMode: 240
; IeeeMode: 1
; LDSByteSize: 0 bytes/workgroup (compile time only)
; SGPRBlocks: 0
; VGPRBlocks: 0
; NumSGPRsForWavesPerEU: 1
; NumVGPRsForWavesPerEU: 1
; NamedBarCnt: 0
; Occupancy: 16
; WaveLimiterHint : 0
; COMPUTE_PGM_RSRC2:SCRATCH_EN: 0
; COMPUTE_PGM_RSRC2:USER_SGPR: 2
; COMPUTE_PGM_RSRC2:TRAP_HANDLER: 0
; COMPUTE_PGM_RSRC2:TGID_X_EN: 1
; COMPUTE_PGM_RSRC2:TGID_Y_EN: 0
; COMPUTE_PGM_RSRC2:TGID_Z_EN: 0
; COMPUTE_PGM_RSRC2:TIDIG_COMP_CNT: 0
	.section	.text._ZN7rocprim17ROCPRIM_400000_NS6detail17trampoline_kernelINS0_13kernel_configILj256ELj4ELj4294967295EEENS1_37radix_sort_block_sort_config_selectorI6__halfNS0_10empty_typeEEEZNS1_21radix_sort_block_sortIS4_Lb1EPKS6_PS6_PS7_SD_NS0_19identity_decomposerEEE10hipError_tT1_T2_T3_T4_jRjT5_jjP12ihipStream_tbEUlT_E_NS1_11comp_targetILNS1_3genE8ELNS1_11target_archE1030ELNS1_3gpuE2ELNS1_3repE0EEENS1_44radix_sort_block_sort_config_static_selectorELNS0_4arch9wavefront6targetE0EEEvSG_,"axG",@progbits,_ZN7rocprim17ROCPRIM_400000_NS6detail17trampoline_kernelINS0_13kernel_configILj256ELj4ELj4294967295EEENS1_37radix_sort_block_sort_config_selectorI6__halfNS0_10empty_typeEEEZNS1_21radix_sort_block_sortIS4_Lb1EPKS6_PS6_PS7_SD_NS0_19identity_decomposerEEE10hipError_tT1_T2_T3_T4_jRjT5_jjP12ihipStream_tbEUlT_E_NS1_11comp_targetILNS1_3genE8ELNS1_11target_archE1030ELNS1_3gpuE2ELNS1_3repE0EEENS1_44radix_sort_block_sort_config_static_selectorELNS0_4arch9wavefront6targetE0EEEvSG_,comdat
	.protected	_ZN7rocprim17ROCPRIM_400000_NS6detail17trampoline_kernelINS0_13kernel_configILj256ELj4ELj4294967295EEENS1_37radix_sort_block_sort_config_selectorI6__halfNS0_10empty_typeEEEZNS1_21radix_sort_block_sortIS4_Lb1EPKS6_PS6_PS7_SD_NS0_19identity_decomposerEEE10hipError_tT1_T2_T3_T4_jRjT5_jjP12ihipStream_tbEUlT_E_NS1_11comp_targetILNS1_3genE8ELNS1_11target_archE1030ELNS1_3gpuE2ELNS1_3repE0EEENS1_44radix_sort_block_sort_config_static_selectorELNS0_4arch9wavefront6targetE0EEEvSG_ ; -- Begin function _ZN7rocprim17ROCPRIM_400000_NS6detail17trampoline_kernelINS0_13kernel_configILj256ELj4ELj4294967295EEENS1_37radix_sort_block_sort_config_selectorI6__halfNS0_10empty_typeEEEZNS1_21radix_sort_block_sortIS4_Lb1EPKS6_PS6_PS7_SD_NS0_19identity_decomposerEEE10hipError_tT1_T2_T3_T4_jRjT5_jjP12ihipStream_tbEUlT_E_NS1_11comp_targetILNS1_3genE8ELNS1_11target_archE1030ELNS1_3gpuE2ELNS1_3repE0EEENS1_44radix_sort_block_sort_config_static_selectorELNS0_4arch9wavefront6targetE0EEEvSG_
	.globl	_ZN7rocprim17ROCPRIM_400000_NS6detail17trampoline_kernelINS0_13kernel_configILj256ELj4ELj4294967295EEENS1_37radix_sort_block_sort_config_selectorI6__halfNS0_10empty_typeEEEZNS1_21radix_sort_block_sortIS4_Lb1EPKS6_PS6_PS7_SD_NS0_19identity_decomposerEEE10hipError_tT1_T2_T3_T4_jRjT5_jjP12ihipStream_tbEUlT_E_NS1_11comp_targetILNS1_3genE8ELNS1_11target_archE1030ELNS1_3gpuE2ELNS1_3repE0EEENS1_44radix_sort_block_sort_config_static_selectorELNS0_4arch9wavefront6targetE0EEEvSG_
	.p2align	8
	.type	_ZN7rocprim17ROCPRIM_400000_NS6detail17trampoline_kernelINS0_13kernel_configILj256ELj4ELj4294967295EEENS1_37radix_sort_block_sort_config_selectorI6__halfNS0_10empty_typeEEEZNS1_21radix_sort_block_sortIS4_Lb1EPKS6_PS6_PS7_SD_NS0_19identity_decomposerEEE10hipError_tT1_T2_T3_T4_jRjT5_jjP12ihipStream_tbEUlT_E_NS1_11comp_targetILNS1_3genE8ELNS1_11target_archE1030ELNS1_3gpuE2ELNS1_3repE0EEENS1_44radix_sort_block_sort_config_static_selectorELNS0_4arch9wavefront6targetE0EEEvSG_,@function
_ZN7rocprim17ROCPRIM_400000_NS6detail17trampoline_kernelINS0_13kernel_configILj256ELj4ELj4294967295EEENS1_37radix_sort_block_sort_config_selectorI6__halfNS0_10empty_typeEEEZNS1_21radix_sort_block_sortIS4_Lb1EPKS6_PS6_PS7_SD_NS0_19identity_decomposerEEE10hipError_tT1_T2_T3_T4_jRjT5_jjP12ihipStream_tbEUlT_E_NS1_11comp_targetILNS1_3genE8ELNS1_11target_archE1030ELNS1_3gpuE2ELNS1_3repE0EEENS1_44radix_sort_block_sort_config_static_selectorELNS0_4arch9wavefront6targetE0EEEvSG_: ; @_ZN7rocprim17ROCPRIM_400000_NS6detail17trampoline_kernelINS0_13kernel_configILj256ELj4ELj4294967295EEENS1_37radix_sort_block_sort_config_selectorI6__halfNS0_10empty_typeEEEZNS1_21radix_sort_block_sortIS4_Lb1EPKS6_PS6_PS7_SD_NS0_19identity_decomposerEEE10hipError_tT1_T2_T3_T4_jRjT5_jjP12ihipStream_tbEUlT_E_NS1_11comp_targetILNS1_3genE8ELNS1_11target_archE1030ELNS1_3gpuE2ELNS1_3repE0EEENS1_44radix_sort_block_sort_config_static_selectorELNS0_4arch9wavefront6targetE0EEEvSG_
; %bb.0:
	.section	.rodata,"a",@progbits
	.p2align	6, 0x0
	.amdhsa_kernel _ZN7rocprim17ROCPRIM_400000_NS6detail17trampoline_kernelINS0_13kernel_configILj256ELj4ELj4294967295EEENS1_37radix_sort_block_sort_config_selectorI6__halfNS0_10empty_typeEEEZNS1_21radix_sort_block_sortIS4_Lb1EPKS6_PS6_PS7_SD_NS0_19identity_decomposerEEE10hipError_tT1_T2_T3_T4_jRjT5_jjP12ihipStream_tbEUlT_E_NS1_11comp_targetILNS1_3genE8ELNS1_11target_archE1030ELNS1_3gpuE2ELNS1_3repE0EEENS1_44radix_sort_block_sort_config_static_selectorELNS0_4arch9wavefront6targetE0EEEvSG_
		.amdhsa_group_segment_fixed_size 0
		.amdhsa_private_segment_fixed_size 0
		.amdhsa_kernarg_size 48
		.amdhsa_user_sgpr_count 2
		.amdhsa_user_sgpr_dispatch_ptr 0
		.amdhsa_user_sgpr_queue_ptr 0
		.amdhsa_user_sgpr_kernarg_segment_ptr 1
		.amdhsa_user_sgpr_dispatch_id 0
		.amdhsa_user_sgpr_kernarg_preload_length 0
		.amdhsa_user_sgpr_kernarg_preload_offset 0
		.amdhsa_user_sgpr_private_segment_size 0
		.amdhsa_wavefront_size32 1
		.amdhsa_uses_dynamic_stack 0
		.amdhsa_enable_private_segment 0
		.amdhsa_system_sgpr_workgroup_id_x 1
		.amdhsa_system_sgpr_workgroup_id_y 0
		.amdhsa_system_sgpr_workgroup_id_z 0
		.amdhsa_system_sgpr_workgroup_info 0
		.amdhsa_system_vgpr_workitem_id 0
		.amdhsa_next_free_vgpr 1
		.amdhsa_next_free_sgpr 1
		.amdhsa_named_barrier_count 0
		.amdhsa_reserve_vcc 0
		.amdhsa_float_round_mode_32 0
		.amdhsa_float_round_mode_16_64 0
		.amdhsa_float_denorm_mode_32 3
		.amdhsa_float_denorm_mode_16_64 3
		.amdhsa_fp16_overflow 0
		.amdhsa_memory_ordered 1
		.amdhsa_forward_progress 1
		.amdhsa_inst_pref_size 0
		.amdhsa_round_robin_scheduling 0
		.amdhsa_exception_fp_ieee_invalid_op 0
		.amdhsa_exception_fp_denorm_src 0
		.amdhsa_exception_fp_ieee_div_zero 0
		.amdhsa_exception_fp_ieee_overflow 0
		.amdhsa_exception_fp_ieee_underflow 0
		.amdhsa_exception_fp_ieee_inexact 0
		.amdhsa_exception_int_div_zero 0
	.end_amdhsa_kernel
	.section	.text._ZN7rocprim17ROCPRIM_400000_NS6detail17trampoline_kernelINS0_13kernel_configILj256ELj4ELj4294967295EEENS1_37radix_sort_block_sort_config_selectorI6__halfNS0_10empty_typeEEEZNS1_21radix_sort_block_sortIS4_Lb1EPKS6_PS6_PS7_SD_NS0_19identity_decomposerEEE10hipError_tT1_T2_T3_T4_jRjT5_jjP12ihipStream_tbEUlT_E_NS1_11comp_targetILNS1_3genE8ELNS1_11target_archE1030ELNS1_3gpuE2ELNS1_3repE0EEENS1_44radix_sort_block_sort_config_static_selectorELNS0_4arch9wavefront6targetE0EEEvSG_,"axG",@progbits,_ZN7rocprim17ROCPRIM_400000_NS6detail17trampoline_kernelINS0_13kernel_configILj256ELj4ELj4294967295EEENS1_37radix_sort_block_sort_config_selectorI6__halfNS0_10empty_typeEEEZNS1_21radix_sort_block_sortIS4_Lb1EPKS6_PS6_PS7_SD_NS0_19identity_decomposerEEE10hipError_tT1_T2_T3_T4_jRjT5_jjP12ihipStream_tbEUlT_E_NS1_11comp_targetILNS1_3genE8ELNS1_11target_archE1030ELNS1_3gpuE2ELNS1_3repE0EEENS1_44radix_sort_block_sort_config_static_selectorELNS0_4arch9wavefront6targetE0EEEvSG_,comdat
.Lfunc_end2095:
	.size	_ZN7rocprim17ROCPRIM_400000_NS6detail17trampoline_kernelINS0_13kernel_configILj256ELj4ELj4294967295EEENS1_37radix_sort_block_sort_config_selectorI6__halfNS0_10empty_typeEEEZNS1_21radix_sort_block_sortIS4_Lb1EPKS6_PS6_PS7_SD_NS0_19identity_decomposerEEE10hipError_tT1_T2_T3_T4_jRjT5_jjP12ihipStream_tbEUlT_E_NS1_11comp_targetILNS1_3genE8ELNS1_11target_archE1030ELNS1_3gpuE2ELNS1_3repE0EEENS1_44radix_sort_block_sort_config_static_selectorELNS0_4arch9wavefront6targetE0EEEvSG_, .Lfunc_end2095-_ZN7rocprim17ROCPRIM_400000_NS6detail17trampoline_kernelINS0_13kernel_configILj256ELj4ELj4294967295EEENS1_37radix_sort_block_sort_config_selectorI6__halfNS0_10empty_typeEEEZNS1_21radix_sort_block_sortIS4_Lb1EPKS6_PS6_PS7_SD_NS0_19identity_decomposerEEE10hipError_tT1_T2_T3_T4_jRjT5_jjP12ihipStream_tbEUlT_E_NS1_11comp_targetILNS1_3genE8ELNS1_11target_archE1030ELNS1_3gpuE2ELNS1_3repE0EEENS1_44radix_sort_block_sort_config_static_selectorELNS0_4arch9wavefront6targetE0EEEvSG_
                                        ; -- End function
	.set _ZN7rocprim17ROCPRIM_400000_NS6detail17trampoline_kernelINS0_13kernel_configILj256ELj4ELj4294967295EEENS1_37radix_sort_block_sort_config_selectorI6__halfNS0_10empty_typeEEEZNS1_21radix_sort_block_sortIS4_Lb1EPKS6_PS6_PS7_SD_NS0_19identity_decomposerEEE10hipError_tT1_T2_T3_T4_jRjT5_jjP12ihipStream_tbEUlT_E_NS1_11comp_targetILNS1_3genE8ELNS1_11target_archE1030ELNS1_3gpuE2ELNS1_3repE0EEENS1_44radix_sort_block_sort_config_static_selectorELNS0_4arch9wavefront6targetE0EEEvSG_.num_vgpr, 0
	.set _ZN7rocprim17ROCPRIM_400000_NS6detail17trampoline_kernelINS0_13kernel_configILj256ELj4ELj4294967295EEENS1_37radix_sort_block_sort_config_selectorI6__halfNS0_10empty_typeEEEZNS1_21radix_sort_block_sortIS4_Lb1EPKS6_PS6_PS7_SD_NS0_19identity_decomposerEEE10hipError_tT1_T2_T3_T4_jRjT5_jjP12ihipStream_tbEUlT_E_NS1_11comp_targetILNS1_3genE8ELNS1_11target_archE1030ELNS1_3gpuE2ELNS1_3repE0EEENS1_44radix_sort_block_sort_config_static_selectorELNS0_4arch9wavefront6targetE0EEEvSG_.num_agpr, 0
	.set _ZN7rocprim17ROCPRIM_400000_NS6detail17trampoline_kernelINS0_13kernel_configILj256ELj4ELj4294967295EEENS1_37radix_sort_block_sort_config_selectorI6__halfNS0_10empty_typeEEEZNS1_21radix_sort_block_sortIS4_Lb1EPKS6_PS6_PS7_SD_NS0_19identity_decomposerEEE10hipError_tT1_T2_T3_T4_jRjT5_jjP12ihipStream_tbEUlT_E_NS1_11comp_targetILNS1_3genE8ELNS1_11target_archE1030ELNS1_3gpuE2ELNS1_3repE0EEENS1_44radix_sort_block_sort_config_static_selectorELNS0_4arch9wavefront6targetE0EEEvSG_.numbered_sgpr, 0
	.set _ZN7rocprim17ROCPRIM_400000_NS6detail17trampoline_kernelINS0_13kernel_configILj256ELj4ELj4294967295EEENS1_37radix_sort_block_sort_config_selectorI6__halfNS0_10empty_typeEEEZNS1_21radix_sort_block_sortIS4_Lb1EPKS6_PS6_PS7_SD_NS0_19identity_decomposerEEE10hipError_tT1_T2_T3_T4_jRjT5_jjP12ihipStream_tbEUlT_E_NS1_11comp_targetILNS1_3genE8ELNS1_11target_archE1030ELNS1_3gpuE2ELNS1_3repE0EEENS1_44radix_sort_block_sort_config_static_selectorELNS0_4arch9wavefront6targetE0EEEvSG_.num_named_barrier, 0
	.set _ZN7rocprim17ROCPRIM_400000_NS6detail17trampoline_kernelINS0_13kernel_configILj256ELj4ELj4294967295EEENS1_37radix_sort_block_sort_config_selectorI6__halfNS0_10empty_typeEEEZNS1_21radix_sort_block_sortIS4_Lb1EPKS6_PS6_PS7_SD_NS0_19identity_decomposerEEE10hipError_tT1_T2_T3_T4_jRjT5_jjP12ihipStream_tbEUlT_E_NS1_11comp_targetILNS1_3genE8ELNS1_11target_archE1030ELNS1_3gpuE2ELNS1_3repE0EEENS1_44radix_sort_block_sort_config_static_selectorELNS0_4arch9wavefront6targetE0EEEvSG_.private_seg_size, 0
	.set _ZN7rocprim17ROCPRIM_400000_NS6detail17trampoline_kernelINS0_13kernel_configILj256ELj4ELj4294967295EEENS1_37radix_sort_block_sort_config_selectorI6__halfNS0_10empty_typeEEEZNS1_21radix_sort_block_sortIS4_Lb1EPKS6_PS6_PS7_SD_NS0_19identity_decomposerEEE10hipError_tT1_T2_T3_T4_jRjT5_jjP12ihipStream_tbEUlT_E_NS1_11comp_targetILNS1_3genE8ELNS1_11target_archE1030ELNS1_3gpuE2ELNS1_3repE0EEENS1_44radix_sort_block_sort_config_static_selectorELNS0_4arch9wavefront6targetE0EEEvSG_.uses_vcc, 0
	.set _ZN7rocprim17ROCPRIM_400000_NS6detail17trampoline_kernelINS0_13kernel_configILj256ELj4ELj4294967295EEENS1_37radix_sort_block_sort_config_selectorI6__halfNS0_10empty_typeEEEZNS1_21radix_sort_block_sortIS4_Lb1EPKS6_PS6_PS7_SD_NS0_19identity_decomposerEEE10hipError_tT1_T2_T3_T4_jRjT5_jjP12ihipStream_tbEUlT_E_NS1_11comp_targetILNS1_3genE8ELNS1_11target_archE1030ELNS1_3gpuE2ELNS1_3repE0EEENS1_44radix_sort_block_sort_config_static_selectorELNS0_4arch9wavefront6targetE0EEEvSG_.uses_flat_scratch, 0
	.set _ZN7rocprim17ROCPRIM_400000_NS6detail17trampoline_kernelINS0_13kernel_configILj256ELj4ELj4294967295EEENS1_37radix_sort_block_sort_config_selectorI6__halfNS0_10empty_typeEEEZNS1_21radix_sort_block_sortIS4_Lb1EPKS6_PS6_PS7_SD_NS0_19identity_decomposerEEE10hipError_tT1_T2_T3_T4_jRjT5_jjP12ihipStream_tbEUlT_E_NS1_11comp_targetILNS1_3genE8ELNS1_11target_archE1030ELNS1_3gpuE2ELNS1_3repE0EEENS1_44radix_sort_block_sort_config_static_selectorELNS0_4arch9wavefront6targetE0EEEvSG_.has_dyn_sized_stack, 0
	.set _ZN7rocprim17ROCPRIM_400000_NS6detail17trampoline_kernelINS0_13kernel_configILj256ELj4ELj4294967295EEENS1_37radix_sort_block_sort_config_selectorI6__halfNS0_10empty_typeEEEZNS1_21radix_sort_block_sortIS4_Lb1EPKS6_PS6_PS7_SD_NS0_19identity_decomposerEEE10hipError_tT1_T2_T3_T4_jRjT5_jjP12ihipStream_tbEUlT_E_NS1_11comp_targetILNS1_3genE8ELNS1_11target_archE1030ELNS1_3gpuE2ELNS1_3repE0EEENS1_44radix_sort_block_sort_config_static_selectorELNS0_4arch9wavefront6targetE0EEEvSG_.has_recursion, 0
	.set _ZN7rocprim17ROCPRIM_400000_NS6detail17trampoline_kernelINS0_13kernel_configILj256ELj4ELj4294967295EEENS1_37radix_sort_block_sort_config_selectorI6__halfNS0_10empty_typeEEEZNS1_21radix_sort_block_sortIS4_Lb1EPKS6_PS6_PS7_SD_NS0_19identity_decomposerEEE10hipError_tT1_T2_T3_T4_jRjT5_jjP12ihipStream_tbEUlT_E_NS1_11comp_targetILNS1_3genE8ELNS1_11target_archE1030ELNS1_3gpuE2ELNS1_3repE0EEENS1_44radix_sort_block_sort_config_static_selectorELNS0_4arch9wavefront6targetE0EEEvSG_.has_indirect_call, 0
	.section	.AMDGPU.csdata,"",@progbits
; Kernel info:
; codeLenInByte = 0
; TotalNumSgprs: 0
; NumVgprs: 0
; ScratchSize: 0
; MemoryBound: 0
; FloatMode: 240
; IeeeMode: 1
; LDSByteSize: 0 bytes/workgroup (compile time only)
; SGPRBlocks: 0
; VGPRBlocks: 0
; NumSGPRsForWavesPerEU: 1
; NumVGPRsForWavesPerEU: 1
; NamedBarCnt: 0
; Occupancy: 16
; WaveLimiterHint : 0
; COMPUTE_PGM_RSRC2:SCRATCH_EN: 0
; COMPUTE_PGM_RSRC2:USER_SGPR: 2
; COMPUTE_PGM_RSRC2:TRAP_HANDLER: 0
; COMPUTE_PGM_RSRC2:TGID_X_EN: 1
; COMPUTE_PGM_RSRC2:TGID_Y_EN: 0
; COMPUTE_PGM_RSRC2:TGID_Z_EN: 0
; COMPUTE_PGM_RSRC2:TIDIG_COMP_CNT: 0
	.section	.text._ZN7rocprim17ROCPRIM_400000_NS6detail44device_merge_sort_compile_time_verifier_archINS1_11comp_targetILNS1_3genE0ELNS1_11target_archE4294967295ELNS1_3gpuE0ELNS1_3repE0EEES8_NS1_28merge_sort_block_sort_configILj256ELj4ELNS0_20block_sort_algorithmE0EEENS0_14default_configENS1_37merge_sort_block_sort_config_selectorI6__halfNS0_10empty_typeEEENS1_38merge_sort_block_merge_config_selectorISE_SF_EEEEvv,"axG",@progbits,_ZN7rocprim17ROCPRIM_400000_NS6detail44device_merge_sort_compile_time_verifier_archINS1_11comp_targetILNS1_3genE0ELNS1_11target_archE4294967295ELNS1_3gpuE0ELNS1_3repE0EEES8_NS1_28merge_sort_block_sort_configILj256ELj4ELNS0_20block_sort_algorithmE0EEENS0_14default_configENS1_37merge_sort_block_sort_config_selectorI6__halfNS0_10empty_typeEEENS1_38merge_sort_block_merge_config_selectorISE_SF_EEEEvv,comdat
	.protected	_ZN7rocprim17ROCPRIM_400000_NS6detail44device_merge_sort_compile_time_verifier_archINS1_11comp_targetILNS1_3genE0ELNS1_11target_archE4294967295ELNS1_3gpuE0ELNS1_3repE0EEES8_NS1_28merge_sort_block_sort_configILj256ELj4ELNS0_20block_sort_algorithmE0EEENS0_14default_configENS1_37merge_sort_block_sort_config_selectorI6__halfNS0_10empty_typeEEENS1_38merge_sort_block_merge_config_selectorISE_SF_EEEEvv ; -- Begin function _ZN7rocprim17ROCPRIM_400000_NS6detail44device_merge_sort_compile_time_verifier_archINS1_11comp_targetILNS1_3genE0ELNS1_11target_archE4294967295ELNS1_3gpuE0ELNS1_3repE0EEES8_NS1_28merge_sort_block_sort_configILj256ELj4ELNS0_20block_sort_algorithmE0EEENS0_14default_configENS1_37merge_sort_block_sort_config_selectorI6__halfNS0_10empty_typeEEENS1_38merge_sort_block_merge_config_selectorISE_SF_EEEEvv
	.globl	_ZN7rocprim17ROCPRIM_400000_NS6detail44device_merge_sort_compile_time_verifier_archINS1_11comp_targetILNS1_3genE0ELNS1_11target_archE4294967295ELNS1_3gpuE0ELNS1_3repE0EEES8_NS1_28merge_sort_block_sort_configILj256ELj4ELNS0_20block_sort_algorithmE0EEENS0_14default_configENS1_37merge_sort_block_sort_config_selectorI6__halfNS0_10empty_typeEEENS1_38merge_sort_block_merge_config_selectorISE_SF_EEEEvv
	.p2align	8
	.type	_ZN7rocprim17ROCPRIM_400000_NS6detail44device_merge_sort_compile_time_verifier_archINS1_11comp_targetILNS1_3genE0ELNS1_11target_archE4294967295ELNS1_3gpuE0ELNS1_3repE0EEES8_NS1_28merge_sort_block_sort_configILj256ELj4ELNS0_20block_sort_algorithmE0EEENS0_14default_configENS1_37merge_sort_block_sort_config_selectorI6__halfNS0_10empty_typeEEENS1_38merge_sort_block_merge_config_selectorISE_SF_EEEEvv,@function
_ZN7rocprim17ROCPRIM_400000_NS6detail44device_merge_sort_compile_time_verifier_archINS1_11comp_targetILNS1_3genE0ELNS1_11target_archE4294967295ELNS1_3gpuE0ELNS1_3repE0EEES8_NS1_28merge_sort_block_sort_configILj256ELj4ELNS0_20block_sort_algorithmE0EEENS0_14default_configENS1_37merge_sort_block_sort_config_selectorI6__halfNS0_10empty_typeEEENS1_38merge_sort_block_merge_config_selectorISE_SF_EEEEvv: ; @_ZN7rocprim17ROCPRIM_400000_NS6detail44device_merge_sort_compile_time_verifier_archINS1_11comp_targetILNS1_3genE0ELNS1_11target_archE4294967295ELNS1_3gpuE0ELNS1_3repE0EEES8_NS1_28merge_sort_block_sort_configILj256ELj4ELNS0_20block_sort_algorithmE0EEENS0_14default_configENS1_37merge_sort_block_sort_config_selectorI6__halfNS0_10empty_typeEEENS1_38merge_sort_block_merge_config_selectorISE_SF_EEEEvv
; %bb.0:
	s_endpgm
	.section	.rodata,"a",@progbits
	.p2align	6, 0x0
	.amdhsa_kernel _ZN7rocprim17ROCPRIM_400000_NS6detail44device_merge_sort_compile_time_verifier_archINS1_11comp_targetILNS1_3genE0ELNS1_11target_archE4294967295ELNS1_3gpuE0ELNS1_3repE0EEES8_NS1_28merge_sort_block_sort_configILj256ELj4ELNS0_20block_sort_algorithmE0EEENS0_14default_configENS1_37merge_sort_block_sort_config_selectorI6__halfNS0_10empty_typeEEENS1_38merge_sort_block_merge_config_selectorISE_SF_EEEEvv
		.amdhsa_group_segment_fixed_size 0
		.amdhsa_private_segment_fixed_size 0
		.amdhsa_kernarg_size 0
		.amdhsa_user_sgpr_count 0
		.amdhsa_user_sgpr_dispatch_ptr 0
		.amdhsa_user_sgpr_queue_ptr 0
		.amdhsa_user_sgpr_kernarg_segment_ptr 0
		.amdhsa_user_sgpr_dispatch_id 0
		.amdhsa_user_sgpr_kernarg_preload_length 0
		.amdhsa_user_sgpr_kernarg_preload_offset 0
		.amdhsa_user_sgpr_private_segment_size 0
		.amdhsa_wavefront_size32 1
		.amdhsa_uses_dynamic_stack 0
		.amdhsa_enable_private_segment 0
		.amdhsa_system_sgpr_workgroup_id_x 1
		.amdhsa_system_sgpr_workgroup_id_y 0
		.amdhsa_system_sgpr_workgroup_id_z 0
		.amdhsa_system_sgpr_workgroup_info 0
		.amdhsa_system_vgpr_workitem_id 0
		.amdhsa_next_free_vgpr 1
		.amdhsa_next_free_sgpr 1
		.amdhsa_named_barrier_count 0
		.amdhsa_reserve_vcc 0
		.amdhsa_float_round_mode_32 0
		.amdhsa_float_round_mode_16_64 0
		.amdhsa_float_denorm_mode_32 3
		.amdhsa_float_denorm_mode_16_64 3
		.amdhsa_fp16_overflow 0
		.amdhsa_memory_ordered 1
		.amdhsa_forward_progress 1
		.amdhsa_inst_pref_size 1
		.amdhsa_round_robin_scheduling 0
		.amdhsa_exception_fp_ieee_invalid_op 0
		.amdhsa_exception_fp_denorm_src 0
		.amdhsa_exception_fp_ieee_div_zero 0
		.amdhsa_exception_fp_ieee_overflow 0
		.amdhsa_exception_fp_ieee_underflow 0
		.amdhsa_exception_fp_ieee_inexact 0
		.amdhsa_exception_int_div_zero 0
	.end_amdhsa_kernel
	.section	.text._ZN7rocprim17ROCPRIM_400000_NS6detail44device_merge_sort_compile_time_verifier_archINS1_11comp_targetILNS1_3genE0ELNS1_11target_archE4294967295ELNS1_3gpuE0ELNS1_3repE0EEES8_NS1_28merge_sort_block_sort_configILj256ELj4ELNS0_20block_sort_algorithmE0EEENS0_14default_configENS1_37merge_sort_block_sort_config_selectorI6__halfNS0_10empty_typeEEENS1_38merge_sort_block_merge_config_selectorISE_SF_EEEEvv,"axG",@progbits,_ZN7rocprim17ROCPRIM_400000_NS6detail44device_merge_sort_compile_time_verifier_archINS1_11comp_targetILNS1_3genE0ELNS1_11target_archE4294967295ELNS1_3gpuE0ELNS1_3repE0EEES8_NS1_28merge_sort_block_sort_configILj256ELj4ELNS0_20block_sort_algorithmE0EEENS0_14default_configENS1_37merge_sort_block_sort_config_selectorI6__halfNS0_10empty_typeEEENS1_38merge_sort_block_merge_config_selectorISE_SF_EEEEvv,comdat
.Lfunc_end2096:
	.size	_ZN7rocprim17ROCPRIM_400000_NS6detail44device_merge_sort_compile_time_verifier_archINS1_11comp_targetILNS1_3genE0ELNS1_11target_archE4294967295ELNS1_3gpuE0ELNS1_3repE0EEES8_NS1_28merge_sort_block_sort_configILj256ELj4ELNS0_20block_sort_algorithmE0EEENS0_14default_configENS1_37merge_sort_block_sort_config_selectorI6__halfNS0_10empty_typeEEENS1_38merge_sort_block_merge_config_selectorISE_SF_EEEEvv, .Lfunc_end2096-_ZN7rocprim17ROCPRIM_400000_NS6detail44device_merge_sort_compile_time_verifier_archINS1_11comp_targetILNS1_3genE0ELNS1_11target_archE4294967295ELNS1_3gpuE0ELNS1_3repE0EEES8_NS1_28merge_sort_block_sort_configILj256ELj4ELNS0_20block_sort_algorithmE0EEENS0_14default_configENS1_37merge_sort_block_sort_config_selectorI6__halfNS0_10empty_typeEEENS1_38merge_sort_block_merge_config_selectorISE_SF_EEEEvv
                                        ; -- End function
	.set _ZN7rocprim17ROCPRIM_400000_NS6detail44device_merge_sort_compile_time_verifier_archINS1_11comp_targetILNS1_3genE0ELNS1_11target_archE4294967295ELNS1_3gpuE0ELNS1_3repE0EEES8_NS1_28merge_sort_block_sort_configILj256ELj4ELNS0_20block_sort_algorithmE0EEENS0_14default_configENS1_37merge_sort_block_sort_config_selectorI6__halfNS0_10empty_typeEEENS1_38merge_sort_block_merge_config_selectorISE_SF_EEEEvv.num_vgpr, 0
	.set _ZN7rocprim17ROCPRIM_400000_NS6detail44device_merge_sort_compile_time_verifier_archINS1_11comp_targetILNS1_3genE0ELNS1_11target_archE4294967295ELNS1_3gpuE0ELNS1_3repE0EEES8_NS1_28merge_sort_block_sort_configILj256ELj4ELNS0_20block_sort_algorithmE0EEENS0_14default_configENS1_37merge_sort_block_sort_config_selectorI6__halfNS0_10empty_typeEEENS1_38merge_sort_block_merge_config_selectorISE_SF_EEEEvv.num_agpr, 0
	.set _ZN7rocprim17ROCPRIM_400000_NS6detail44device_merge_sort_compile_time_verifier_archINS1_11comp_targetILNS1_3genE0ELNS1_11target_archE4294967295ELNS1_3gpuE0ELNS1_3repE0EEES8_NS1_28merge_sort_block_sort_configILj256ELj4ELNS0_20block_sort_algorithmE0EEENS0_14default_configENS1_37merge_sort_block_sort_config_selectorI6__halfNS0_10empty_typeEEENS1_38merge_sort_block_merge_config_selectorISE_SF_EEEEvv.numbered_sgpr, 0
	.set _ZN7rocprim17ROCPRIM_400000_NS6detail44device_merge_sort_compile_time_verifier_archINS1_11comp_targetILNS1_3genE0ELNS1_11target_archE4294967295ELNS1_3gpuE0ELNS1_3repE0EEES8_NS1_28merge_sort_block_sort_configILj256ELj4ELNS0_20block_sort_algorithmE0EEENS0_14default_configENS1_37merge_sort_block_sort_config_selectorI6__halfNS0_10empty_typeEEENS1_38merge_sort_block_merge_config_selectorISE_SF_EEEEvv.num_named_barrier, 0
	.set _ZN7rocprim17ROCPRIM_400000_NS6detail44device_merge_sort_compile_time_verifier_archINS1_11comp_targetILNS1_3genE0ELNS1_11target_archE4294967295ELNS1_3gpuE0ELNS1_3repE0EEES8_NS1_28merge_sort_block_sort_configILj256ELj4ELNS0_20block_sort_algorithmE0EEENS0_14default_configENS1_37merge_sort_block_sort_config_selectorI6__halfNS0_10empty_typeEEENS1_38merge_sort_block_merge_config_selectorISE_SF_EEEEvv.private_seg_size, 0
	.set _ZN7rocprim17ROCPRIM_400000_NS6detail44device_merge_sort_compile_time_verifier_archINS1_11comp_targetILNS1_3genE0ELNS1_11target_archE4294967295ELNS1_3gpuE0ELNS1_3repE0EEES8_NS1_28merge_sort_block_sort_configILj256ELj4ELNS0_20block_sort_algorithmE0EEENS0_14default_configENS1_37merge_sort_block_sort_config_selectorI6__halfNS0_10empty_typeEEENS1_38merge_sort_block_merge_config_selectorISE_SF_EEEEvv.uses_vcc, 0
	.set _ZN7rocprim17ROCPRIM_400000_NS6detail44device_merge_sort_compile_time_verifier_archINS1_11comp_targetILNS1_3genE0ELNS1_11target_archE4294967295ELNS1_3gpuE0ELNS1_3repE0EEES8_NS1_28merge_sort_block_sort_configILj256ELj4ELNS0_20block_sort_algorithmE0EEENS0_14default_configENS1_37merge_sort_block_sort_config_selectorI6__halfNS0_10empty_typeEEENS1_38merge_sort_block_merge_config_selectorISE_SF_EEEEvv.uses_flat_scratch, 0
	.set _ZN7rocprim17ROCPRIM_400000_NS6detail44device_merge_sort_compile_time_verifier_archINS1_11comp_targetILNS1_3genE0ELNS1_11target_archE4294967295ELNS1_3gpuE0ELNS1_3repE0EEES8_NS1_28merge_sort_block_sort_configILj256ELj4ELNS0_20block_sort_algorithmE0EEENS0_14default_configENS1_37merge_sort_block_sort_config_selectorI6__halfNS0_10empty_typeEEENS1_38merge_sort_block_merge_config_selectorISE_SF_EEEEvv.has_dyn_sized_stack, 0
	.set _ZN7rocprim17ROCPRIM_400000_NS6detail44device_merge_sort_compile_time_verifier_archINS1_11comp_targetILNS1_3genE0ELNS1_11target_archE4294967295ELNS1_3gpuE0ELNS1_3repE0EEES8_NS1_28merge_sort_block_sort_configILj256ELj4ELNS0_20block_sort_algorithmE0EEENS0_14default_configENS1_37merge_sort_block_sort_config_selectorI6__halfNS0_10empty_typeEEENS1_38merge_sort_block_merge_config_selectorISE_SF_EEEEvv.has_recursion, 0
	.set _ZN7rocprim17ROCPRIM_400000_NS6detail44device_merge_sort_compile_time_verifier_archINS1_11comp_targetILNS1_3genE0ELNS1_11target_archE4294967295ELNS1_3gpuE0ELNS1_3repE0EEES8_NS1_28merge_sort_block_sort_configILj256ELj4ELNS0_20block_sort_algorithmE0EEENS0_14default_configENS1_37merge_sort_block_sort_config_selectorI6__halfNS0_10empty_typeEEENS1_38merge_sort_block_merge_config_selectorISE_SF_EEEEvv.has_indirect_call, 0
	.section	.AMDGPU.csdata,"",@progbits
; Kernel info:
; codeLenInByte = 4
; TotalNumSgprs: 0
; NumVgprs: 0
; ScratchSize: 0
; MemoryBound: 0
; FloatMode: 240
; IeeeMode: 1
; LDSByteSize: 0 bytes/workgroup (compile time only)
; SGPRBlocks: 0
; VGPRBlocks: 0
; NumSGPRsForWavesPerEU: 1
; NumVGPRsForWavesPerEU: 1
; NamedBarCnt: 0
; Occupancy: 16
; WaveLimiterHint : 0
; COMPUTE_PGM_RSRC2:SCRATCH_EN: 0
; COMPUTE_PGM_RSRC2:USER_SGPR: 0
; COMPUTE_PGM_RSRC2:TRAP_HANDLER: 0
; COMPUTE_PGM_RSRC2:TGID_X_EN: 1
; COMPUTE_PGM_RSRC2:TGID_Y_EN: 0
; COMPUTE_PGM_RSRC2:TGID_Z_EN: 0
; COMPUTE_PGM_RSRC2:TIDIG_COMP_CNT: 0
	.section	.text._ZN7rocprim17ROCPRIM_400000_NS6detail44device_merge_sort_compile_time_verifier_archINS1_11comp_targetILNS1_3genE5ELNS1_11target_archE942ELNS1_3gpuE9ELNS1_3repE0EEES8_NS1_28merge_sort_block_sort_configILj256ELj4ELNS0_20block_sort_algorithmE0EEENS0_14default_configENS1_37merge_sort_block_sort_config_selectorI6__halfNS0_10empty_typeEEENS1_38merge_sort_block_merge_config_selectorISE_SF_EEEEvv,"axG",@progbits,_ZN7rocprim17ROCPRIM_400000_NS6detail44device_merge_sort_compile_time_verifier_archINS1_11comp_targetILNS1_3genE5ELNS1_11target_archE942ELNS1_3gpuE9ELNS1_3repE0EEES8_NS1_28merge_sort_block_sort_configILj256ELj4ELNS0_20block_sort_algorithmE0EEENS0_14default_configENS1_37merge_sort_block_sort_config_selectorI6__halfNS0_10empty_typeEEENS1_38merge_sort_block_merge_config_selectorISE_SF_EEEEvv,comdat
	.protected	_ZN7rocprim17ROCPRIM_400000_NS6detail44device_merge_sort_compile_time_verifier_archINS1_11comp_targetILNS1_3genE5ELNS1_11target_archE942ELNS1_3gpuE9ELNS1_3repE0EEES8_NS1_28merge_sort_block_sort_configILj256ELj4ELNS0_20block_sort_algorithmE0EEENS0_14default_configENS1_37merge_sort_block_sort_config_selectorI6__halfNS0_10empty_typeEEENS1_38merge_sort_block_merge_config_selectorISE_SF_EEEEvv ; -- Begin function _ZN7rocprim17ROCPRIM_400000_NS6detail44device_merge_sort_compile_time_verifier_archINS1_11comp_targetILNS1_3genE5ELNS1_11target_archE942ELNS1_3gpuE9ELNS1_3repE0EEES8_NS1_28merge_sort_block_sort_configILj256ELj4ELNS0_20block_sort_algorithmE0EEENS0_14default_configENS1_37merge_sort_block_sort_config_selectorI6__halfNS0_10empty_typeEEENS1_38merge_sort_block_merge_config_selectorISE_SF_EEEEvv
	.globl	_ZN7rocprim17ROCPRIM_400000_NS6detail44device_merge_sort_compile_time_verifier_archINS1_11comp_targetILNS1_3genE5ELNS1_11target_archE942ELNS1_3gpuE9ELNS1_3repE0EEES8_NS1_28merge_sort_block_sort_configILj256ELj4ELNS0_20block_sort_algorithmE0EEENS0_14default_configENS1_37merge_sort_block_sort_config_selectorI6__halfNS0_10empty_typeEEENS1_38merge_sort_block_merge_config_selectorISE_SF_EEEEvv
	.p2align	8
	.type	_ZN7rocprim17ROCPRIM_400000_NS6detail44device_merge_sort_compile_time_verifier_archINS1_11comp_targetILNS1_3genE5ELNS1_11target_archE942ELNS1_3gpuE9ELNS1_3repE0EEES8_NS1_28merge_sort_block_sort_configILj256ELj4ELNS0_20block_sort_algorithmE0EEENS0_14default_configENS1_37merge_sort_block_sort_config_selectorI6__halfNS0_10empty_typeEEENS1_38merge_sort_block_merge_config_selectorISE_SF_EEEEvv,@function
_ZN7rocprim17ROCPRIM_400000_NS6detail44device_merge_sort_compile_time_verifier_archINS1_11comp_targetILNS1_3genE5ELNS1_11target_archE942ELNS1_3gpuE9ELNS1_3repE0EEES8_NS1_28merge_sort_block_sort_configILj256ELj4ELNS0_20block_sort_algorithmE0EEENS0_14default_configENS1_37merge_sort_block_sort_config_selectorI6__halfNS0_10empty_typeEEENS1_38merge_sort_block_merge_config_selectorISE_SF_EEEEvv: ; @_ZN7rocprim17ROCPRIM_400000_NS6detail44device_merge_sort_compile_time_verifier_archINS1_11comp_targetILNS1_3genE5ELNS1_11target_archE942ELNS1_3gpuE9ELNS1_3repE0EEES8_NS1_28merge_sort_block_sort_configILj256ELj4ELNS0_20block_sort_algorithmE0EEENS0_14default_configENS1_37merge_sort_block_sort_config_selectorI6__halfNS0_10empty_typeEEENS1_38merge_sort_block_merge_config_selectorISE_SF_EEEEvv
; %bb.0:
	s_endpgm
	.section	.rodata,"a",@progbits
	.p2align	6, 0x0
	.amdhsa_kernel _ZN7rocprim17ROCPRIM_400000_NS6detail44device_merge_sort_compile_time_verifier_archINS1_11comp_targetILNS1_3genE5ELNS1_11target_archE942ELNS1_3gpuE9ELNS1_3repE0EEES8_NS1_28merge_sort_block_sort_configILj256ELj4ELNS0_20block_sort_algorithmE0EEENS0_14default_configENS1_37merge_sort_block_sort_config_selectorI6__halfNS0_10empty_typeEEENS1_38merge_sort_block_merge_config_selectorISE_SF_EEEEvv
		.amdhsa_group_segment_fixed_size 0
		.amdhsa_private_segment_fixed_size 0
		.amdhsa_kernarg_size 0
		.amdhsa_user_sgpr_count 0
		.amdhsa_user_sgpr_dispatch_ptr 0
		.amdhsa_user_sgpr_queue_ptr 0
		.amdhsa_user_sgpr_kernarg_segment_ptr 0
		.amdhsa_user_sgpr_dispatch_id 0
		.amdhsa_user_sgpr_kernarg_preload_length 0
		.amdhsa_user_sgpr_kernarg_preload_offset 0
		.amdhsa_user_sgpr_private_segment_size 0
		.amdhsa_wavefront_size32 1
		.amdhsa_uses_dynamic_stack 0
		.amdhsa_enable_private_segment 0
		.amdhsa_system_sgpr_workgroup_id_x 1
		.amdhsa_system_sgpr_workgroup_id_y 0
		.amdhsa_system_sgpr_workgroup_id_z 0
		.amdhsa_system_sgpr_workgroup_info 0
		.amdhsa_system_vgpr_workitem_id 0
		.amdhsa_next_free_vgpr 1
		.amdhsa_next_free_sgpr 1
		.amdhsa_named_barrier_count 0
		.amdhsa_reserve_vcc 0
		.amdhsa_float_round_mode_32 0
		.amdhsa_float_round_mode_16_64 0
		.amdhsa_float_denorm_mode_32 3
		.amdhsa_float_denorm_mode_16_64 3
		.amdhsa_fp16_overflow 0
		.amdhsa_memory_ordered 1
		.amdhsa_forward_progress 1
		.amdhsa_inst_pref_size 1
		.amdhsa_round_robin_scheduling 0
		.amdhsa_exception_fp_ieee_invalid_op 0
		.amdhsa_exception_fp_denorm_src 0
		.amdhsa_exception_fp_ieee_div_zero 0
		.amdhsa_exception_fp_ieee_overflow 0
		.amdhsa_exception_fp_ieee_underflow 0
		.amdhsa_exception_fp_ieee_inexact 0
		.amdhsa_exception_int_div_zero 0
	.end_amdhsa_kernel
	.section	.text._ZN7rocprim17ROCPRIM_400000_NS6detail44device_merge_sort_compile_time_verifier_archINS1_11comp_targetILNS1_3genE5ELNS1_11target_archE942ELNS1_3gpuE9ELNS1_3repE0EEES8_NS1_28merge_sort_block_sort_configILj256ELj4ELNS0_20block_sort_algorithmE0EEENS0_14default_configENS1_37merge_sort_block_sort_config_selectorI6__halfNS0_10empty_typeEEENS1_38merge_sort_block_merge_config_selectorISE_SF_EEEEvv,"axG",@progbits,_ZN7rocprim17ROCPRIM_400000_NS6detail44device_merge_sort_compile_time_verifier_archINS1_11comp_targetILNS1_3genE5ELNS1_11target_archE942ELNS1_3gpuE9ELNS1_3repE0EEES8_NS1_28merge_sort_block_sort_configILj256ELj4ELNS0_20block_sort_algorithmE0EEENS0_14default_configENS1_37merge_sort_block_sort_config_selectorI6__halfNS0_10empty_typeEEENS1_38merge_sort_block_merge_config_selectorISE_SF_EEEEvv,comdat
.Lfunc_end2097:
	.size	_ZN7rocprim17ROCPRIM_400000_NS6detail44device_merge_sort_compile_time_verifier_archINS1_11comp_targetILNS1_3genE5ELNS1_11target_archE942ELNS1_3gpuE9ELNS1_3repE0EEES8_NS1_28merge_sort_block_sort_configILj256ELj4ELNS0_20block_sort_algorithmE0EEENS0_14default_configENS1_37merge_sort_block_sort_config_selectorI6__halfNS0_10empty_typeEEENS1_38merge_sort_block_merge_config_selectorISE_SF_EEEEvv, .Lfunc_end2097-_ZN7rocprim17ROCPRIM_400000_NS6detail44device_merge_sort_compile_time_verifier_archINS1_11comp_targetILNS1_3genE5ELNS1_11target_archE942ELNS1_3gpuE9ELNS1_3repE0EEES8_NS1_28merge_sort_block_sort_configILj256ELj4ELNS0_20block_sort_algorithmE0EEENS0_14default_configENS1_37merge_sort_block_sort_config_selectorI6__halfNS0_10empty_typeEEENS1_38merge_sort_block_merge_config_selectorISE_SF_EEEEvv
                                        ; -- End function
	.set _ZN7rocprim17ROCPRIM_400000_NS6detail44device_merge_sort_compile_time_verifier_archINS1_11comp_targetILNS1_3genE5ELNS1_11target_archE942ELNS1_3gpuE9ELNS1_3repE0EEES8_NS1_28merge_sort_block_sort_configILj256ELj4ELNS0_20block_sort_algorithmE0EEENS0_14default_configENS1_37merge_sort_block_sort_config_selectorI6__halfNS0_10empty_typeEEENS1_38merge_sort_block_merge_config_selectorISE_SF_EEEEvv.num_vgpr, 0
	.set _ZN7rocprim17ROCPRIM_400000_NS6detail44device_merge_sort_compile_time_verifier_archINS1_11comp_targetILNS1_3genE5ELNS1_11target_archE942ELNS1_3gpuE9ELNS1_3repE0EEES8_NS1_28merge_sort_block_sort_configILj256ELj4ELNS0_20block_sort_algorithmE0EEENS0_14default_configENS1_37merge_sort_block_sort_config_selectorI6__halfNS0_10empty_typeEEENS1_38merge_sort_block_merge_config_selectorISE_SF_EEEEvv.num_agpr, 0
	.set _ZN7rocprim17ROCPRIM_400000_NS6detail44device_merge_sort_compile_time_verifier_archINS1_11comp_targetILNS1_3genE5ELNS1_11target_archE942ELNS1_3gpuE9ELNS1_3repE0EEES8_NS1_28merge_sort_block_sort_configILj256ELj4ELNS0_20block_sort_algorithmE0EEENS0_14default_configENS1_37merge_sort_block_sort_config_selectorI6__halfNS0_10empty_typeEEENS1_38merge_sort_block_merge_config_selectorISE_SF_EEEEvv.numbered_sgpr, 0
	.set _ZN7rocprim17ROCPRIM_400000_NS6detail44device_merge_sort_compile_time_verifier_archINS1_11comp_targetILNS1_3genE5ELNS1_11target_archE942ELNS1_3gpuE9ELNS1_3repE0EEES8_NS1_28merge_sort_block_sort_configILj256ELj4ELNS0_20block_sort_algorithmE0EEENS0_14default_configENS1_37merge_sort_block_sort_config_selectorI6__halfNS0_10empty_typeEEENS1_38merge_sort_block_merge_config_selectorISE_SF_EEEEvv.num_named_barrier, 0
	.set _ZN7rocprim17ROCPRIM_400000_NS6detail44device_merge_sort_compile_time_verifier_archINS1_11comp_targetILNS1_3genE5ELNS1_11target_archE942ELNS1_3gpuE9ELNS1_3repE0EEES8_NS1_28merge_sort_block_sort_configILj256ELj4ELNS0_20block_sort_algorithmE0EEENS0_14default_configENS1_37merge_sort_block_sort_config_selectorI6__halfNS0_10empty_typeEEENS1_38merge_sort_block_merge_config_selectorISE_SF_EEEEvv.private_seg_size, 0
	.set _ZN7rocprim17ROCPRIM_400000_NS6detail44device_merge_sort_compile_time_verifier_archINS1_11comp_targetILNS1_3genE5ELNS1_11target_archE942ELNS1_3gpuE9ELNS1_3repE0EEES8_NS1_28merge_sort_block_sort_configILj256ELj4ELNS0_20block_sort_algorithmE0EEENS0_14default_configENS1_37merge_sort_block_sort_config_selectorI6__halfNS0_10empty_typeEEENS1_38merge_sort_block_merge_config_selectorISE_SF_EEEEvv.uses_vcc, 0
	.set _ZN7rocprim17ROCPRIM_400000_NS6detail44device_merge_sort_compile_time_verifier_archINS1_11comp_targetILNS1_3genE5ELNS1_11target_archE942ELNS1_3gpuE9ELNS1_3repE0EEES8_NS1_28merge_sort_block_sort_configILj256ELj4ELNS0_20block_sort_algorithmE0EEENS0_14default_configENS1_37merge_sort_block_sort_config_selectorI6__halfNS0_10empty_typeEEENS1_38merge_sort_block_merge_config_selectorISE_SF_EEEEvv.uses_flat_scratch, 0
	.set _ZN7rocprim17ROCPRIM_400000_NS6detail44device_merge_sort_compile_time_verifier_archINS1_11comp_targetILNS1_3genE5ELNS1_11target_archE942ELNS1_3gpuE9ELNS1_3repE0EEES8_NS1_28merge_sort_block_sort_configILj256ELj4ELNS0_20block_sort_algorithmE0EEENS0_14default_configENS1_37merge_sort_block_sort_config_selectorI6__halfNS0_10empty_typeEEENS1_38merge_sort_block_merge_config_selectorISE_SF_EEEEvv.has_dyn_sized_stack, 0
	.set _ZN7rocprim17ROCPRIM_400000_NS6detail44device_merge_sort_compile_time_verifier_archINS1_11comp_targetILNS1_3genE5ELNS1_11target_archE942ELNS1_3gpuE9ELNS1_3repE0EEES8_NS1_28merge_sort_block_sort_configILj256ELj4ELNS0_20block_sort_algorithmE0EEENS0_14default_configENS1_37merge_sort_block_sort_config_selectorI6__halfNS0_10empty_typeEEENS1_38merge_sort_block_merge_config_selectorISE_SF_EEEEvv.has_recursion, 0
	.set _ZN7rocprim17ROCPRIM_400000_NS6detail44device_merge_sort_compile_time_verifier_archINS1_11comp_targetILNS1_3genE5ELNS1_11target_archE942ELNS1_3gpuE9ELNS1_3repE0EEES8_NS1_28merge_sort_block_sort_configILj256ELj4ELNS0_20block_sort_algorithmE0EEENS0_14default_configENS1_37merge_sort_block_sort_config_selectorI6__halfNS0_10empty_typeEEENS1_38merge_sort_block_merge_config_selectorISE_SF_EEEEvv.has_indirect_call, 0
	.section	.AMDGPU.csdata,"",@progbits
; Kernel info:
; codeLenInByte = 4
; TotalNumSgprs: 0
; NumVgprs: 0
; ScratchSize: 0
; MemoryBound: 0
; FloatMode: 240
; IeeeMode: 1
; LDSByteSize: 0 bytes/workgroup (compile time only)
; SGPRBlocks: 0
; VGPRBlocks: 0
; NumSGPRsForWavesPerEU: 1
; NumVGPRsForWavesPerEU: 1
; NamedBarCnt: 0
; Occupancy: 16
; WaveLimiterHint : 0
; COMPUTE_PGM_RSRC2:SCRATCH_EN: 0
; COMPUTE_PGM_RSRC2:USER_SGPR: 0
; COMPUTE_PGM_RSRC2:TRAP_HANDLER: 0
; COMPUTE_PGM_RSRC2:TGID_X_EN: 1
; COMPUTE_PGM_RSRC2:TGID_Y_EN: 0
; COMPUTE_PGM_RSRC2:TGID_Z_EN: 0
; COMPUTE_PGM_RSRC2:TIDIG_COMP_CNT: 0
	.section	.text._ZN7rocprim17ROCPRIM_400000_NS6detail44device_merge_sort_compile_time_verifier_archINS1_11comp_targetILNS1_3genE4ELNS1_11target_archE910ELNS1_3gpuE8ELNS1_3repE0EEES8_NS1_28merge_sort_block_sort_configILj256ELj4ELNS0_20block_sort_algorithmE0EEENS0_14default_configENS1_37merge_sort_block_sort_config_selectorI6__halfNS0_10empty_typeEEENS1_38merge_sort_block_merge_config_selectorISE_SF_EEEEvv,"axG",@progbits,_ZN7rocprim17ROCPRIM_400000_NS6detail44device_merge_sort_compile_time_verifier_archINS1_11comp_targetILNS1_3genE4ELNS1_11target_archE910ELNS1_3gpuE8ELNS1_3repE0EEES8_NS1_28merge_sort_block_sort_configILj256ELj4ELNS0_20block_sort_algorithmE0EEENS0_14default_configENS1_37merge_sort_block_sort_config_selectorI6__halfNS0_10empty_typeEEENS1_38merge_sort_block_merge_config_selectorISE_SF_EEEEvv,comdat
	.protected	_ZN7rocprim17ROCPRIM_400000_NS6detail44device_merge_sort_compile_time_verifier_archINS1_11comp_targetILNS1_3genE4ELNS1_11target_archE910ELNS1_3gpuE8ELNS1_3repE0EEES8_NS1_28merge_sort_block_sort_configILj256ELj4ELNS0_20block_sort_algorithmE0EEENS0_14default_configENS1_37merge_sort_block_sort_config_selectorI6__halfNS0_10empty_typeEEENS1_38merge_sort_block_merge_config_selectorISE_SF_EEEEvv ; -- Begin function _ZN7rocprim17ROCPRIM_400000_NS6detail44device_merge_sort_compile_time_verifier_archINS1_11comp_targetILNS1_3genE4ELNS1_11target_archE910ELNS1_3gpuE8ELNS1_3repE0EEES8_NS1_28merge_sort_block_sort_configILj256ELj4ELNS0_20block_sort_algorithmE0EEENS0_14default_configENS1_37merge_sort_block_sort_config_selectorI6__halfNS0_10empty_typeEEENS1_38merge_sort_block_merge_config_selectorISE_SF_EEEEvv
	.globl	_ZN7rocprim17ROCPRIM_400000_NS6detail44device_merge_sort_compile_time_verifier_archINS1_11comp_targetILNS1_3genE4ELNS1_11target_archE910ELNS1_3gpuE8ELNS1_3repE0EEES8_NS1_28merge_sort_block_sort_configILj256ELj4ELNS0_20block_sort_algorithmE0EEENS0_14default_configENS1_37merge_sort_block_sort_config_selectorI6__halfNS0_10empty_typeEEENS1_38merge_sort_block_merge_config_selectorISE_SF_EEEEvv
	.p2align	8
	.type	_ZN7rocprim17ROCPRIM_400000_NS6detail44device_merge_sort_compile_time_verifier_archINS1_11comp_targetILNS1_3genE4ELNS1_11target_archE910ELNS1_3gpuE8ELNS1_3repE0EEES8_NS1_28merge_sort_block_sort_configILj256ELj4ELNS0_20block_sort_algorithmE0EEENS0_14default_configENS1_37merge_sort_block_sort_config_selectorI6__halfNS0_10empty_typeEEENS1_38merge_sort_block_merge_config_selectorISE_SF_EEEEvv,@function
_ZN7rocprim17ROCPRIM_400000_NS6detail44device_merge_sort_compile_time_verifier_archINS1_11comp_targetILNS1_3genE4ELNS1_11target_archE910ELNS1_3gpuE8ELNS1_3repE0EEES8_NS1_28merge_sort_block_sort_configILj256ELj4ELNS0_20block_sort_algorithmE0EEENS0_14default_configENS1_37merge_sort_block_sort_config_selectorI6__halfNS0_10empty_typeEEENS1_38merge_sort_block_merge_config_selectorISE_SF_EEEEvv: ; @_ZN7rocprim17ROCPRIM_400000_NS6detail44device_merge_sort_compile_time_verifier_archINS1_11comp_targetILNS1_3genE4ELNS1_11target_archE910ELNS1_3gpuE8ELNS1_3repE0EEES8_NS1_28merge_sort_block_sort_configILj256ELj4ELNS0_20block_sort_algorithmE0EEENS0_14default_configENS1_37merge_sort_block_sort_config_selectorI6__halfNS0_10empty_typeEEENS1_38merge_sort_block_merge_config_selectorISE_SF_EEEEvv
; %bb.0:
	s_endpgm
	.section	.rodata,"a",@progbits
	.p2align	6, 0x0
	.amdhsa_kernel _ZN7rocprim17ROCPRIM_400000_NS6detail44device_merge_sort_compile_time_verifier_archINS1_11comp_targetILNS1_3genE4ELNS1_11target_archE910ELNS1_3gpuE8ELNS1_3repE0EEES8_NS1_28merge_sort_block_sort_configILj256ELj4ELNS0_20block_sort_algorithmE0EEENS0_14default_configENS1_37merge_sort_block_sort_config_selectorI6__halfNS0_10empty_typeEEENS1_38merge_sort_block_merge_config_selectorISE_SF_EEEEvv
		.amdhsa_group_segment_fixed_size 0
		.amdhsa_private_segment_fixed_size 0
		.amdhsa_kernarg_size 0
		.amdhsa_user_sgpr_count 0
		.amdhsa_user_sgpr_dispatch_ptr 0
		.amdhsa_user_sgpr_queue_ptr 0
		.amdhsa_user_sgpr_kernarg_segment_ptr 0
		.amdhsa_user_sgpr_dispatch_id 0
		.amdhsa_user_sgpr_kernarg_preload_length 0
		.amdhsa_user_sgpr_kernarg_preload_offset 0
		.amdhsa_user_sgpr_private_segment_size 0
		.amdhsa_wavefront_size32 1
		.amdhsa_uses_dynamic_stack 0
		.amdhsa_enable_private_segment 0
		.amdhsa_system_sgpr_workgroup_id_x 1
		.amdhsa_system_sgpr_workgroup_id_y 0
		.amdhsa_system_sgpr_workgroup_id_z 0
		.amdhsa_system_sgpr_workgroup_info 0
		.amdhsa_system_vgpr_workitem_id 0
		.amdhsa_next_free_vgpr 1
		.amdhsa_next_free_sgpr 1
		.amdhsa_named_barrier_count 0
		.amdhsa_reserve_vcc 0
		.amdhsa_float_round_mode_32 0
		.amdhsa_float_round_mode_16_64 0
		.amdhsa_float_denorm_mode_32 3
		.amdhsa_float_denorm_mode_16_64 3
		.amdhsa_fp16_overflow 0
		.amdhsa_memory_ordered 1
		.amdhsa_forward_progress 1
		.amdhsa_inst_pref_size 1
		.amdhsa_round_robin_scheduling 0
		.amdhsa_exception_fp_ieee_invalid_op 0
		.amdhsa_exception_fp_denorm_src 0
		.amdhsa_exception_fp_ieee_div_zero 0
		.amdhsa_exception_fp_ieee_overflow 0
		.amdhsa_exception_fp_ieee_underflow 0
		.amdhsa_exception_fp_ieee_inexact 0
		.amdhsa_exception_int_div_zero 0
	.end_amdhsa_kernel
	.section	.text._ZN7rocprim17ROCPRIM_400000_NS6detail44device_merge_sort_compile_time_verifier_archINS1_11comp_targetILNS1_3genE4ELNS1_11target_archE910ELNS1_3gpuE8ELNS1_3repE0EEES8_NS1_28merge_sort_block_sort_configILj256ELj4ELNS0_20block_sort_algorithmE0EEENS0_14default_configENS1_37merge_sort_block_sort_config_selectorI6__halfNS0_10empty_typeEEENS1_38merge_sort_block_merge_config_selectorISE_SF_EEEEvv,"axG",@progbits,_ZN7rocprim17ROCPRIM_400000_NS6detail44device_merge_sort_compile_time_verifier_archINS1_11comp_targetILNS1_3genE4ELNS1_11target_archE910ELNS1_3gpuE8ELNS1_3repE0EEES8_NS1_28merge_sort_block_sort_configILj256ELj4ELNS0_20block_sort_algorithmE0EEENS0_14default_configENS1_37merge_sort_block_sort_config_selectorI6__halfNS0_10empty_typeEEENS1_38merge_sort_block_merge_config_selectorISE_SF_EEEEvv,comdat
.Lfunc_end2098:
	.size	_ZN7rocprim17ROCPRIM_400000_NS6detail44device_merge_sort_compile_time_verifier_archINS1_11comp_targetILNS1_3genE4ELNS1_11target_archE910ELNS1_3gpuE8ELNS1_3repE0EEES8_NS1_28merge_sort_block_sort_configILj256ELj4ELNS0_20block_sort_algorithmE0EEENS0_14default_configENS1_37merge_sort_block_sort_config_selectorI6__halfNS0_10empty_typeEEENS1_38merge_sort_block_merge_config_selectorISE_SF_EEEEvv, .Lfunc_end2098-_ZN7rocprim17ROCPRIM_400000_NS6detail44device_merge_sort_compile_time_verifier_archINS1_11comp_targetILNS1_3genE4ELNS1_11target_archE910ELNS1_3gpuE8ELNS1_3repE0EEES8_NS1_28merge_sort_block_sort_configILj256ELj4ELNS0_20block_sort_algorithmE0EEENS0_14default_configENS1_37merge_sort_block_sort_config_selectorI6__halfNS0_10empty_typeEEENS1_38merge_sort_block_merge_config_selectorISE_SF_EEEEvv
                                        ; -- End function
	.set _ZN7rocprim17ROCPRIM_400000_NS6detail44device_merge_sort_compile_time_verifier_archINS1_11comp_targetILNS1_3genE4ELNS1_11target_archE910ELNS1_3gpuE8ELNS1_3repE0EEES8_NS1_28merge_sort_block_sort_configILj256ELj4ELNS0_20block_sort_algorithmE0EEENS0_14default_configENS1_37merge_sort_block_sort_config_selectorI6__halfNS0_10empty_typeEEENS1_38merge_sort_block_merge_config_selectorISE_SF_EEEEvv.num_vgpr, 0
	.set _ZN7rocprim17ROCPRIM_400000_NS6detail44device_merge_sort_compile_time_verifier_archINS1_11comp_targetILNS1_3genE4ELNS1_11target_archE910ELNS1_3gpuE8ELNS1_3repE0EEES8_NS1_28merge_sort_block_sort_configILj256ELj4ELNS0_20block_sort_algorithmE0EEENS0_14default_configENS1_37merge_sort_block_sort_config_selectorI6__halfNS0_10empty_typeEEENS1_38merge_sort_block_merge_config_selectorISE_SF_EEEEvv.num_agpr, 0
	.set _ZN7rocprim17ROCPRIM_400000_NS6detail44device_merge_sort_compile_time_verifier_archINS1_11comp_targetILNS1_3genE4ELNS1_11target_archE910ELNS1_3gpuE8ELNS1_3repE0EEES8_NS1_28merge_sort_block_sort_configILj256ELj4ELNS0_20block_sort_algorithmE0EEENS0_14default_configENS1_37merge_sort_block_sort_config_selectorI6__halfNS0_10empty_typeEEENS1_38merge_sort_block_merge_config_selectorISE_SF_EEEEvv.numbered_sgpr, 0
	.set _ZN7rocprim17ROCPRIM_400000_NS6detail44device_merge_sort_compile_time_verifier_archINS1_11comp_targetILNS1_3genE4ELNS1_11target_archE910ELNS1_3gpuE8ELNS1_3repE0EEES8_NS1_28merge_sort_block_sort_configILj256ELj4ELNS0_20block_sort_algorithmE0EEENS0_14default_configENS1_37merge_sort_block_sort_config_selectorI6__halfNS0_10empty_typeEEENS1_38merge_sort_block_merge_config_selectorISE_SF_EEEEvv.num_named_barrier, 0
	.set _ZN7rocprim17ROCPRIM_400000_NS6detail44device_merge_sort_compile_time_verifier_archINS1_11comp_targetILNS1_3genE4ELNS1_11target_archE910ELNS1_3gpuE8ELNS1_3repE0EEES8_NS1_28merge_sort_block_sort_configILj256ELj4ELNS0_20block_sort_algorithmE0EEENS0_14default_configENS1_37merge_sort_block_sort_config_selectorI6__halfNS0_10empty_typeEEENS1_38merge_sort_block_merge_config_selectorISE_SF_EEEEvv.private_seg_size, 0
	.set _ZN7rocprim17ROCPRIM_400000_NS6detail44device_merge_sort_compile_time_verifier_archINS1_11comp_targetILNS1_3genE4ELNS1_11target_archE910ELNS1_3gpuE8ELNS1_3repE0EEES8_NS1_28merge_sort_block_sort_configILj256ELj4ELNS0_20block_sort_algorithmE0EEENS0_14default_configENS1_37merge_sort_block_sort_config_selectorI6__halfNS0_10empty_typeEEENS1_38merge_sort_block_merge_config_selectorISE_SF_EEEEvv.uses_vcc, 0
	.set _ZN7rocprim17ROCPRIM_400000_NS6detail44device_merge_sort_compile_time_verifier_archINS1_11comp_targetILNS1_3genE4ELNS1_11target_archE910ELNS1_3gpuE8ELNS1_3repE0EEES8_NS1_28merge_sort_block_sort_configILj256ELj4ELNS0_20block_sort_algorithmE0EEENS0_14default_configENS1_37merge_sort_block_sort_config_selectorI6__halfNS0_10empty_typeEEENS1_38merge_sort_block_merge_config_selectorISE_SF_EEEEvv.uses_flat_scratch, 0
	.set _ZN7rocprim17ROCPRIM_400000_NS6detail44device_merge_sort_compile_time_verifier_archINS1_11comp_targetILNS1_3genE4ELNS1_11target_archE910ELNS1_3gpuE8ELNS1_3repE0EEES8_NS1_28merge_sort_block_sort_configILj256ELj4ELNS0_20block_sort_algorithmE0EEENS0_14default_configENS1_37merge_sort_block_sort_config_selectorI6__halfNS0_10empty_typeEEENS1_38merge_sort_block_merge_config_selectorISE_SF_EEEEvv.has_dyn_sized_stack, 0
	.set _ZN7rocprim17ROCPRIM_400000_NS6detail44device_merge_sort_compile_time_verifier_archINS1_11comp_targetILNS1_3genE4ELNS1_11target_archE910ELNS1_3gpuE8ELNS1_3repE0EEES8_NS1_28merge_sort_block_sort_configILj256ELj4ELNS0_20block_sort_algorithmE0EEENS0_14default_configENS1_37merge_sort_block_sort_config_selectorI6__halfNS0_10empty_typeEEENS1_38merge_sort_block_merge_config_selectorISE_SF_EEEEvv.has_recursion, 0
	.set _ZN7rocprim17ROCPRIM_400000_NS6detail44device_merge_sort_compile_time_verifier_archINS1_11comp_targetILNS1_3genE4ELNS1_11target_archE910ELNS1_3gpuE8ELNS1_3repE0EEES8_NS1_28merge_sort_block_sort_configILj256ELj4ELNS0_20block_sort_algorithmE0EEENS0_14default_configENS1_37merge_sort_block_sort_config_selectorI6__halfNS0_10empty_typeEEENS1_38merge_sort_block_merge_config_selectorISE_SF_EEEEvv.has_indirect_call, 0
	.section	.AMDGPU.csdata,"",@progbits
; Kernel info:
; codeLenInByte = 4
; TotalNumSgprs: 0
; NumVgprs: 0
; ScratchSize: 0
; MemoryBound: 0
; FloatMode: 240
; IeeeMode: 1
; LDSByteSize: 0 bytes/workgroup (compile time only)
; SGPRBlocks: 0
; VGPRBlocks: 0
; NumSGPRsForWavesPerEU: 1
; NumVGPRsForWavesPerEU: 1
; NamedBarCnt: 0
; Occupancy: 16
; WaveLimiterHint : 0
; COMPUTE_PGM_RSRC2:SCRATCH_EN: 0
; COMPUTE_PGM_RSRC2:USER_SGPR: 0
; COMPUTE_PGM_RSRC2:TRAP_HANDLER: 0
; COMPUTE_PGM_RSRC2:TGID_X_EN: 1
; COMPUTE_PGM_RSRC2:TGID_Y_EN: 0
; COMPUTE_PGM_RSRC2:TGID_Z_EN: 0
; COMPUTE_PGM_RSRC2:TIDIG_COMP_CNT: 0
	.section	.text._ZN7rocprim17ROCPRIM_400000_NS6detail44device_merge_sort_compile_time_verifier_archINS1_11comp_targetILNS1_3genE3ELNS1_11target_archE908ELNS1_3gpuE7ELNS1_3repE0EEES8_NS1_28merge_sort_block_sort_configILj256ELj4ELNS0_20block_sort_algorithmE0EEENS0_14default_configENS1_37merge_sort_block_sort_config_selectorI6__halfNS0_10empty_typeEEENS1_38merge_sort_block_merge_config_selectorISE_SF_EEEEvv,"axG",@progbits,_ZN7rocprim17ROCPRIM_400000_NS6detail44device_merge_sort_compile_time_verifier_archINS1_11comp_targetILNS1_3genE3ELNS1_11target_archE908ELNS1_3gpuE7ELNS1_3repE0EEES8_NS1_28merge_sort_block_sort_configILj256ELj4ELNS0_20block_sort_algorithmE0EEENS0_14default_configENS1_37merge_sort_block_sort_config_selectorI6__halfNS0_10empty_typeEEENS1_38merge_sort_block_merge_config_selectorISE_SF_EEEEvv,comdat
	.protected	_ZN7rocprim17ROCPRIM_400000_NS6detail44device_merge_sort_compile_time_verifier_archINS1_11comp_targetILNS1_3genE3ELNS1_11target_archE908ELNS1_3gpuE7ELNS1_3repE0EEES8_NS1_28merge_sort_block_sort_configILj256ELj4ELNS0_20block_sort_algorithmE0EEENS0_14default_configENS1_37merge_sort_block_sort_config_selectorI6__halfNS0_10empty_typeEEENS1_38merge_sort_block_merge_config_selectorISE_SF_EEEEvv ; -- Begin function _ZN7rocprim17ROCPRIM_400000_NS6detail44device_merge_sort_compile_time_verifier_archINS1_11comp_targetILNS1_3genE3ELNS1_11target_archE908ELNS1_3gpuE7ELNS1_3repE0EEES8_NS1_28merge_sort_block_sort_configILj256ELj4ELNS0_20block_sort_algorithmE0EEENS0_14default_configENS1_37merge_sort_block_sort_config_selectorI6__halfNS0_10empty_typeEEENS1_38merge_sort_block_merge_config_selectorISE_SF_EEEEvv
	.globl	_ZN7rocprim17ROCPRIM_400000_NS6detail44device_merge_sort_compile_time_verifier_archINS1_11comp_targetILNS1_3genE3ELNS1_11target_archE908ELNS1_3gpuE7ELNS1_3repE0EEES8_NS1_28merge_sort_block_sort_configILj256ELj4ELNS0_20block_sort_algorithmE0EEENS0_14default_configENS1_37merge_sort_block_sort_config_selectorI6__halfNS0_10empty_typeEEENS1_38merge_sort_block_merge_config_selectorISE_SF_EEEEvv
	.p2align	8
	.type	_ZN7rocprim17ROCPRIM_400000_NS6detail44device_merge_sort_compile_time_verifier_archINS1_11comp_targetILNS1_3genE3ELNS1_11target_archE908ELNS1_3gpuE7ELNS1_3repE0EEES8_NS1_28merge_sort_block_sort_configILj256ELj4ELNS0_20block_sort_algorithmE0EEENS0_14default_configENS1_37merge_sort_block_sort_config_selectorI6__halfNS0_10empty_typeEEENS1_38merge_sort_block_merge_config_selectorISE_SF_EEEEvv,@function
_ZN7rocprim17ROCPRIM_400000_NS6detail44device_merge_sort_compile_time_verifier_archINS1_11comp_targetILNS1_3genE3ELNS1_11target_archE908ELNS1_3gpuE7ELNS1_3repE0EEES8_NS1_28merge_sort_block_sort_configILj256ELj4ELNS0_20block_sort_algorithmE0EEENS0_14default_configENS1_37merge_sort_block_sort_config_selectorI6__halfNS0_10empty_typeEEENS1_38merge_sort_block_merge_config_selectorISE_SF_EEEEvv: ; @_ZN7rocprim17ROCPRIM_400000_NS6detail44device_merge_sort_compile_time_verifier_archINS1_11comp_targetILNS1_3genE3ELNS1_11target_archE908ELNS1_3gpuE7ELNS1_3repE0EEES8_NS1_28merge_sort_block_sort_configILj256ELj4ELNS0_20block_sort_algorithmE0EEENS0_14default_configENS1_37merge_sort_block_sort_config_selectorI6__halfNS0_10empty_typeEEENS1_38merge_sort_block_merge_config_selectorISE_SF_EEEEvv
; %bb.0:
	s_endpgm
	.section	.rodata,"a",@progbits
	.p2align	6, 0x0
	.amdhsa_kernel _ZN7rocprim17ROCPRIM_400000_NS6detail44device_merge_sort_compile_time_verifier_archINS1_11comp_targetILNS1_3genE3ELNS1_11target_archE908ELNS1_3gpuE7ELNS1_3repE0EEES8_NS1_28merge_sort_block_sort_configILj256ELj4ELNS0_20block_sort_algorithmE0EEENS0_14default_configENS1_37merge_sort_block_sort_config_selectorI6__halfNS0_10empty_typeEEENS1_38merge_sort_block_merge_config_selectorISE_SF_EEEEvv
		.amdhsa_group_segment_fixed_size 0
		.amdhsa_private_segment_fixed_size 0
		.amdhsa_kernarg_size 0
		.amdhsa_user_sgpr_count 0
		.amdhsa_user_sgpr_dispatch_ptr 0
		.amdhsa_user_sgpr_queue_ptr 0
		.amdhsa_user_sgpr_kernarg_segment_ptr 0
		.amdhsa_user_sgpr_dispatch_id 0
		.amdhsa_user_sgpr_kernarg_preload_length 0
		.amdhsa_user_sgpr_kernarg_preload_offset 0
		.amdhsa_user_sgpr_private_segment_size 0
		.amdhsa_wavefront_size32 1
		.amdhsa_uses_dynamic_stack 0
		.amdhsa_enable_private_segment 0
		.amdhsa_system_sgpr_workgroup_id_x 1
		.amdhsa_system_sgpr_workgroup_id_y 0
		.amdhsa_system_sgpr_workgroup_id_z 0
		.amdhsa_system_sgpr_workgroup_info 0
		.amdhsa_system_vgpr_workitem_id 0
		.amdhsa_next_free_vgpr 1
		.amdhsa_next_free_sgpr 1
		.amdhsa_named_barrier_count 0
		.amdhsa_reserve_vcc 0
		.amdhsa_float_round_mode_32 0
		.amdhsa_float_round_mode_16_64 0
		.amdhsa_float_denorm_mode_32 3
		.amdhsa_float_denorm_mode_16_64 3
		.amdhsa_fp16_overflow 0
		.amdhsa_memory_ordered 1
		.amdhsa_forward_progress 1
		.amdhsa_inst_pref_size 1
		.amdhsa_round_robin_scheduling 0
		.amdhsa_exception_fp_ieee_invalid_op 0
		.amdhsa_exception_fp_denorm_src 0
		.amdhsa_exception_fp_ieee_div_zero 0
		.amdhsa_exception_fp_ieee_overflow 0
		.amdhsa_exception_fp_ieee_underflow 0
		.amdhsa_exception_fp_ieee_inexact 0
		.amdhsa_exception_int_div_zero 0
	.end_amdhsa_kernel
	.section	.text._ZN7rocprim17ROCPRIM_400000_NS6detail44device_merge_sort_compile_time_verifier_archINS1_11comp_targetILNS1_3genE3ELNS1_11target_archE908ELNS1_3gpuE7ELNS1_3repE0EEES8_NS1_28merge_sort_block_sort_configILj256ELj4ELNS0_20block_sort_algorithmE0EEENS0_14default_configENS1_37merge_sort_block_sort_config_selectorI6__halfNS0_10empty_typeEEENS1_38merge_sort_block_merge_config_selectorISE_SF_EEEEvv,"axG",@progbits,_ZN7rocprim17ROCPRIM_400000_NS6detail44device_merge_sort_compile_time_verifier_archINS1_11comp_targetILNS1_3genE3ELNS1_11target_archE908ELNS1_3gpuE7ELNS1_3repE0EEES8_NS1_28merge_sort_block_sort_configILj256ELj4ELNS0_20block_sort_algorithmE0EEENS0_14default_configENS1_37merge_sort_block_sort_config_selectorI6__halfNS0_10empty_typeEEENS1_38merge_sort_block_merge_config_selectorISE_SF_EEEEvv,comdat
.Lfunc_end2099:
	.size	_ZN7rocprim17ROCPRIM_400000_NS6detail44device_merge_sort_compile_time_verifier_archINS1_11comp_targetILNS1_3genE3ELNS1_11target_archE908ELNS1_3gpuE7ELNS1_3repE0EEES8_NS1_28merge_sort_block_sort_configILj256ELj4ELNS0_20block_sort_algorithmE0EEENS0_14default_configENS1_37merge_sort_block_sort_config_selectorI6__halfNS0_10empty_typeEEENS1_38merge_sort_block_merge_config_selectorISE_SF_EEEEvv, .Lfunc_end2099-_ZN7rocprim17ROCPRIM_400000_NS6detail44device_merge_sort_compile_time_verifier_archINS1_11comp_targetILNS1_3genE3ELNS1_11target_archE908ELNS1_3gpuE7ELNS1_3repE0EEES8_NS1_28merge_sort_block_sort_configILj256ELj4ELNS0_20block_sort_algorithmE0EEENS0_14default_configENS1_37merge_sort_block_sort_config_selectorI6__halfNS0_10empty_typeEEENS1_38merge_sort_block_merge_config_selectorISE_SF_EEEEvv
                                        ; -- End function
	.set _ZN7rocprim17ROCPRIM_400000_NS6detail44device_merge_sort_compile_time_verifier_archINS1_11comp_targetILNS1_3genE3ELNS1_11target_archE908ELNS1_3gpuE7ELNS1_3repE0EEES8_NS1_28merge_sort_block_sort_configILj256ELj4ELNS0_20block_sort_algorithmE0EEENS0_14default_configENS1_37merge_sort_block_sort_config_selectorI6__halfNS0_10empty_typeEEENS1_38merge_sort_block_merge_config_selectorISE_SF_EEEEvv.num_vgpr, 0
	.set _ZN7rocprim17ROCPRIM_400000_NS6detail44device_merge_sort_compile_time_verifier_archINS1_11comp_targetILNS1_3genE3ELNS1_11target_archE908ELNS1_3gpuE7ELNS1_3repE0EEES8_NS1_28merge_sort_block_sort_configILj256ELj4ELNS0_20block_sort_algorithmE0EEENS0_14default_configENS1_37merge_sort_block_sort_config_selectorI6__halfNS0_10empty_typeEEENS1_38merge_sort_block_merge_config_selectorISE_SF_EEEEvv.num_agpr, 0
	.set _ZN7rocprim17ROCPRIM_400000_NS6detail44device_merge_sort_compile_time_verifier_archINS1_11comp_targetILNS1_3genE3ELNS1_11target_archE908ELNS1_3gpuE7ELNS1_3repE0EEES8_NS1_28merge_sort_block_sort_configILj256ELj4ELNS0_20block_sort_algorithmE0EEENS0_14default_configENS1_37merge_sort_block_sort_config_selectorI6__halfNS0_10empty_typeEEENS1_38merge_sort_block_merge_config_selectorISE_SF_EEEEvv.numbered_sgpr, 0
	.set _ZN7rocprim17ROCPRIM_400000_NS6detail44device_merge_sort_compile_time_verifier_archINS1_11comp_targetILNS1_3genE3ELNS1_11target_archE908ELNS1_3gpuE7ELNS1_3repE0EEES8_NS1_28merge_sort_block_sort_configILj256ELj4ELNS0_20block_sort_algorithmE0EEENS0_14default_configENS1_37merge_sort_block_sort_config_selectorI6__halfNS0_10empty_typeEEENS1_38merge_sort_block_merge_config_selectorISE_SF_EEEEvv.num_named_barrier, 0
	.set _ZN7rocprim17ROCPRIM_400000_NS6detail44device_merge_sort_compile_time_verifier_archINS1_11comp_targetILNS1_3genE3ELNS1_11target_archE908ELNS1_3gpuE7ELNS1_3repE0EEES8_NS1_28merge_sort_block_sort_configILj256ELj4ELNS0_20block_sort_algorithmE0EEENS0_14default_configENS1_37merge_sort_block_sort_config_selectorI6__halfNS0_10empty_typeEEENS1_38merge_sort_block_merge_config_selectorISE_SF_EEEEvv.private_seg_size, 0
	.set _ZN7rocprim17ROCPRIM_400000_NS6detail44device_merge_sort_compile_time_verifier_archINS1_11comp_targetILNS1_3genE3ELNS1_11target_archE908ELNS1_3gpuE7ELNS1_3repE0EEES8_NS1_28merge_sort_block_sort_configILj256ELj4ELNS0_20block_sort_algorithmE0EEENS0_14default_configENS1_37merge_sort_block_sort_config_selectorI6__halfNS0_10empty_typeEEENS1_38merge_sort_block_merge_config_selectorISE_SF_EEEEvv.uses_vcc, 0
	.set _ZN7rocprim17ROCPRIM_400000_NS6detail44device_merge_sort_compile_time_verifier_archINS1_11comp_targetILNS1_3genE3ELNS1_11target_archE908ELNS1_3gpuE7ELNS1_3repE0EEES8_NS1_28merge_sort_block_sort_configILj256ELj4ELNS0_20block_sort_algorithmE0EEENS0_14default_configENS1_37merge_sort_block_sort_config_selectorI6__halfNS0_10empty_typeEEENS1_38merge_sort_block_merge_config_selectorISE_SF_EEEEvv.uses_flat_scratch, 0
	.set _ZN7rocprim17ROCPRIM_400000_NS6detail44device_merge_sort_compile_time_verifier_archINS1_11comp_targetILNS1_3genE3ELNS1_11target_archE908ELNS1_3gpuE7ELNS1_3repE0EEES8_NS1_28merge_sort_block_sort_configILj256ELj4ELNS0_20block_sort_algorithmE0EEENS0_14default_configENS1_37merge_sort_block_sort_config_selectorI6__halfNS0_10empty_typeEEENS1_38merge_sort_block_merge_config_selectorISE_SF_EEEEvv.has_dyn_sized_stack, 0
	.set _ZN7rocprim17ROCPRIM_400000_NS6detail44device_merge_sort_compile_time_verifier_archINS1_11comp_targetILNS1_3genE3ELNS1_11target_archE908ELNS1_3gpuE7ELNS1_3repE0EEES8_NS1_28merge_sort_block_sort_configILj256ELj4ELNS0_20block_sort_algorithmE0EEENS0_14default_configENS1_37merge_sort_block_sort_config_selectorI6__halfNS0_10empty_typeEEENS1_38merge_sort_block_merge_config_selectorISE_SF_EEEEvv.has_recursion, 0
	.set _ZN7rocprim17ROCPRIM_400000_NS6detail44device_merge_sort_compile_time_verifier_archINS1_11comp_targetILNS1_3genE3ELNS1_11target_archE908ELNS1_3gpuE7ELNS1_3repE0EEES8_NS1_28merge_sort_block_sort_configILj256ELj4ELNS0_20block_sort_algorithmE0EEENS0_14default_configENS1_37merge_sort_block_sort_config_selectorI6__halfNS0_10empty_typeEEENS1_38merge_sort_block_merge_config_selectorISE_SF_EEEEvv.has_indirect_call, 0
	.section	.AMDGPU.csdata,"",@progbits
; Kernel info:
; codeLenInByte = 4
; TotalNumSgprs: 0
; NumVgprs: 0
; ScratchSize: 0
; MemoryBound: 0
; FloatMode: 240
; IeeeMode: 1
; LDSByteSize: 0 bytes/workgroup (compile time only)
; SGPRBlocks: 0
; VGPRBlocks: 0
; NumSGPRsForWavesPerEU: 1
; NumVGPRsForWavesPerEU: 1
; NamedBarCnt: 0
; Occupancy: 16
; WaveLimiterHint : 0
; COMPUTE_PGM_RSRC2:SCRATCH_EN: 0
; COMPUTE_PGM_RSRC2:USER_SGPR: 0
; COMPUTE_PGM_RSRC2:TRAP_HANDLER: 0
; COMPUTE_PGM_RSRC2:TGID_X_EN: 1
; COMPUTE_PGM_RSRC2:TGID_Y_EN: 0
; COMPUTE_PGM_RSRC2:TGID_Z_EN: 0
; COMPUTE_PGM_RSRC2:TIDIG_COMP_CNT: 0
	.section	.text._ZN7rocprim17ROCPRIM_400000_NS6detail44device_merge_sort_compile_time_verifier_archINS1_11comp_targetILNS1_3genE2ELNS1_11target_archE906ELNS1_3gpuE6ELNS1_3repE0EEES8_NS1_28merge_sort_block_sort_configILj256ELj4ELNS0_20block_sort_algorithmE0EEENS0_14default_configENS1_37merge_sort_block_sort_config_selectorI6__halfNS0_10empty_typeEEENS1_38merge_sort_block_merge_config_selectorISE_SF_EEEEvv,"axG",@progbits,_ZN7rocprim17ROCPRIM_400000_NS6detail44device_merge_sort_compile_time_verifier_archINS1_11comp_targetILNS1_3genE2ELNS1_11target_archE906ELNS1_3gpuE6ELNS1_3repE0EEES8_NS1_28merge_sort_block_sort_configILj256ELj4ELNS0_20block_sort_algorithmE0EEENS0_14default_configENS1_37merge_sort_block_sort_config_selectorI6__halfNS0_10empty_typeEEENS1_38merge_sort_block_merge_config_selectorISE_SF_EEEEvv,comdat
	.protected	_ZN7rocprim17ROCPRIM_400000_NS6detail44device_merge_sort_compile_time_verifier_archINS1_11comp_targetILNS1_3genE2ELNS1_11target_archE906ELNS1_3gpuE6ELNS1_3repE0EEES8_NS1_28merge_sort_block_sort_configILj256ELj4ELNS0_20block_sort_algorithmE0EEENS0_14default_configENS1_37merge_sort_block_sort_config_selectorI6__halfNS0_10empty_typeEEENS1_38merge_sort_block_merge_config_selectorISE_SF_EEEEvv ; -- Begin function _ZN7rocprim17ROCPRIM_400000_NS6detail44device_merge_sort_compile_time_verifier_archINS1_11comp_targetILNS1_3genE2ELNS1_11target_archE906ELNS1_3gpuE6ELNS1_3repE0EEES8_NS1_28merge_sort_block_sort_configILj256ELj4ELNS0_20block_sort_algorithmE0EEENS0_14default_configENS1_37merge_sort_block_sort_config_selectorI6__halfNS0_10empty_typeEEENS1_38merge_sort_block_merge_config_selectorISE_SF_EEEEvv
	.globl	_ZN7rocprim17ROCPRIM_400000_NS6detail44device_merge_sort_compile_time_verifier_archINS1_11comp_targetILNS1_3genE2ELNS1_11target_archE906ELNS1_3gpuE6ELNS1_3repE0EEES8_NS1_28merge_sort_block_sort_configILj256ELj4ELNS0_20block_sort_algorithmE0EEENS0_14default_configENS1_37merge_sort_block_sort_config_selectorI6__halfNS0_10empty_typeEEENS1_38merge_sort_block_merge_config_selectorISE_SF_EEEEvv
	.p2align	8
	.type	_ZN7rocprim17ROCPRIM_400000_NS6detail44device_merge_sort_compile_time_verifier_archINS1_11comp_targetILNS1_3genE2ELNS1_11target_archE906ELNS1_3gpuE6ELNS1_3repE0EEES8_NS1_28merge_sort_block_sort_configILj256ELj4ELNS0_20block_sort_algorithmE0EEENS0_14default_configENS1_37merge_sort_block_sort_config_selectorI6__halfNS0_10empty_typeEEENS1_38merge_sort_block_merge_config_selectorISE_SF_EEEEvv,@function
_ZN7rocprim17ROCPRIM_400000_NS6detail44device_merge_sort_compile_time_verifier_archINS1_11comp_targetILNS1_3genE2ELNS1_11target_archE906ELNS1_3gpuE6ELNS1_3repE0EEES8_NS1_28merge_sort_block_sort_configILj256ELj4ELNS0_20block_sort_algorithmE0EEENS0_14default_configENS1_37merge_sort_block_sort_config_selectorI6__halfNS0_10empty_typeEEENS1_38merge_sort_block_merge_config_selectorISE_SF_EEEEvv: ; @_ZN7rocprim17ROCPRIM_400000_NS6detail44device_merge_sort_compile_time_verifier_archINS1_11comp_targetILNS1_3genE2ELNS1_11target_archE906ELNS1_3gpuE6ELNS1_3repE0EEES8_NS1_28merge_sort_block_sort_configILj256ELj4ELNS0_20block_sort_algorithmE0EEENS0_14default_configENS1_37merge_sort_block_sort_config_selectorI6__halfNS0_10empty_typeEEENS1_38merge_sort_block_merge_config_selectorISE_SF_EEEEvv
; %bb.0:
	s_endpgm
	.section	.rodata,"a",@progbits
	.p2align	6, 0x0
	.amdhsa_kernel _ZN7rocprim17ROCPRIM_400000_NS6detail44device_merge_sort_compile_time_verifier_archINS1_11comp_targetILNS1_3genE2ELNS1_11target_archE906ELNS1_3gpuE6ELNS1_3repE0EEES8_NS1_28merge_sort_block_sort_configILj256ELj4ELNS0_20block_sort_algorithmE0EEENS0_14default_configENS1_37merge_sort_block_sort_config_selectorI6__halfNS0_10empty_typeEEENS1_38merge_sort_block_merge_config_selectorISE_SF_EEEEvv
		.amdhsa_group_segment_fixed_size 0
		.amdhsa_private_segment_fixed_size 0
		.amdhsa_kernarg_size 0
		.amdhsa_user_sgpr_count 0
		.amdhsa_user_sgpr_dispatch_ptr 0
		.amdhsa_user_sgpr_queue_ptr 0
		.amdhsa_user_sgpr_kernarg_segment_ptr 0
		.amdhsa_user_sgpr_dispatch_id 0
		.amdhsa_user_sgpr_kernarg_preload_length 0
		.amdhsa_user_sgpr_kernarg_preload_offset 0
		.amdhsa_user_sgpr_private_segment_size 0
		.amdhsa_wavefront_size32 1
		.amdhsa_uses_dynamic_stack 0
		.amdhsa_enable_private_segment 0
		.amdhsa_system_sgpr_workgroup_id_x 1
		.amdhsa_system_sgpr_workgroup_id_y 0
		.amdhsa_system_sgpr_workgroup_id_z 0
		.amdhsa_system_sgpr_workgroup_info 0
		.amdhsa_system_vgpr_workitem_id 0
		.amdhsa_next_free_vgpr 1
		.amdhsa_next_free_sgpr 1
		.amdhsa_named_barrier_count 0
		.amdhsa_reserve_vcc 0
		.amdhsa_float_round_mode_32 0
		.amdhsa_float_round_mode_16_64 0
		.amdhsa_float_denorm_mode_32 3
		.amdhsa_float_denorm_mode_16_64 3
		.amdhsa_fp16_overflow 0
		.amdhsa_memory_ordered 1
		.amdhsa_forward_progress 1
		.amdhsa_inst_pref_size 1
		.amdhsa_round_robin_scheduling 0
		.amdhsa_exception_fp_ieee_invalid_op 0
		.amdhsa_exception_fp_denorm_src 0
		.amdhsa_exception_fp_ieee_div_zero 0
		.amdhsa_exception_fp_ieee_overflow 0
		.amdhsa_exception_fp_ieee_underflow 0
		.amdhsa_exception_fp_ieee_inexact 0
		.amdhsa_exception_int_div_zero 0
	.end_amdhsa_kernel
	.section	.text._ZN7rocprim17ROCPRIM_400000_NS6detail44device_merge_sort_compile_time_verifier_archINS1_11comp_targetILNS1_3genE2ELNS1_11target_archE906ELNS1_3gpuE6ELNS1_3repE0EEES8_NS1_28merge_sort_block_sort_configILj256ELj4ELNS0_20block_sort_algorithmE0EEENS0_14default_configENS1_37merge_sort_block_sort_config_selectorI6__halfNS0_10empty_typeEEENS1_38merge_sort_block_merge_config_selectorISE_SF_EEEEvv,"axG",@progbits,_ZN7rocprim17ROCPRIM_400000_NS6detail44device_merge_sort_compile_time_verifier_archINS1_11comp_targetILNS1_3genE2ELNS1_11target_archE906ELNS1_3gpuE6ELNS1_3repE0EEES8_NS1_28merge_sort_block_sort_configILj256ELj4ELNS0_20block_sort_algorithmE0EEENS0_14default_configENS1_37merge_sort_block_sort_config_selectorI6__halfNS0_10empty_typeEEENS1_38merge_sort_block_merge_config_selectorISE_SF_EEEEvv,comdat
.Lfunc_end2100:
	.size	_ZN7rocprim17ROCPRIM_400000_NS6detail44device_merge_sort_compile_time_verifier_archINS1_11comp_targetILNS1_3genE2ELNS1_11target_archE906ELNS1_3gpuE6ELNS1_3repE0EEES8_NS1_28merge_sort_block_sort_configILj256ELj4ELNS0_20block_sort_algorithmE0EEENS0_14default_configENS1_37merge_sort_block_sort_config_selectorI6__halfNS0_10empty_typeEEENS1_38merge_sort_block_merge_config_selectorISE_SF_EEEEvv, .Lfunc_end2100-_ZN7rocprim17ROCPRIM_400000_NS6detail44device_merge_sort_compile_time_verifier_archINS1_11comp_targetILNS1_3genE2ELNS1_11target_archE906ELNS1_3gpuE6ELNS1_3repE0EEES8_NS1_28merge_sort_block_sort_configILj256ELj4ELNS0_20block_sort_algorithmE0EEENS0_14default_configENS1_37merge_sort_block_sort_config_selectorI6__halfNS0_10empty_typeEEENS1_38merge_sort_block_merge_config_selectorISE_SF_EEEEvv
                                        ; -- End function
	.set _ZN7rocprim17ROCPRIM_400000_NS6detail44device_merge_sort_compile_time_verifier_archINS1_11comp_targetILNS1_3genE2ELNS1_11target_archE906ELNS1_3gpuE6ELNS1_3repE0EEES8_NS1_28merge_sort_block_sort_configILj256ELj4ELNS0_20block_sort_algorithmE0EEENS0_14default_configENS1_37merge_sort_block_sort_config_selectorI6__halfNS0_10empty_typeEEENS1_38merge_sort_block_merge_config_selectorISE_SF_EEEEvv.num_vgpr, 0
	.set _ZN7rocprim17ROCPRIM_400000_NS6detail44device_merge_sort_compile_time_verifier_archINS1_11comp_targetILNS1_3genE2ELNS1_11target_archE906ELNS1_3gpuE6ELNS1_3repE0EEES8_NS1_28merge_sort_block_sort_configILj256ELj4ELNS0_20block_sort_algorithmE0EEENS0_14default_configENS1_37merge_sort_block_sort_config_selectorI6__halfNS0_10empty_typeEEENS1_38merge_sort_block_merge_config_selectorISE_SF_EEEEvv.num_agpr, 0
	.set _ZN7rocprim17ROCPRIM_400000_NS6detail44device_merge_sort_compile_time_verifier_archINS1_11comp_targetILNS1_3genE2ELNS1_11target_archE906ELNS1_3gpuE6ELNS1_3repE0EEES8_NS1_28merge_sort_block_sort_configILj256ELj4ELNS0_20block_sort_algorithmE0EEENS0_14default_configENS1_37merge_sort_block_sort_config_selectorI6__halfNS0_10empty_typeEEENS1_38merge_sort_block_merge_config_selectorISE_SF_EEEEvv.numbered_sgpr, 0
	.set _ZN7rocprim17ROCPRIM_400000_NS6detail44device_merge_sort_compile_time_verifier_archINS1_11comp_targetILNS1_3genE2ELNS1_11target_archE906ELNS1_3gpuE6ELNS1_3repE0EEES8_NS1_28merge_sort_block_sort_configILj256ELj4ELNS0_20block_sort_algorithmE0EEENS0_14default_configENS1_37merge_sort_block_sort_config_selectorI6__halfNS0_10empty_typeEEENS1_38merge_sort_block_merge_config_selectorISE_SF_EEEEvv.num_named_barrier, 0
	.set _ZN7rocprim17ROCPRIM_400000_NS6detail44device_merge_sort_compile_time_verifier_archINS1_11comp_targetILNS1_3genE2ELNS1_11target_archE906ELNS1_3gpuE6ELNS1_3repE0EEES8_NS1_28merge_sort_block_sort_configILj256ELj4ELNS0_20block_sort_algorithmE0EEENS0_14default_configENS1_37merge_sort_block_sort_config_selectorI6__halfNS0_10empty_typeEEENS1_38merge_sort_block_merge_config_selectorISE_SF_EEEEvv.private_seg_size, 0
	.set _ZN7rocprim17ROCPRIM_400000_NS6detail44device_merge_sort_compile_time_verifier_archINS1_11comp_targetILNS1_3genE2ELNS1_11target_archE906ELNS1_3gpuE6ELNS1_3repE0EEES8_NS1_28merge_sort_block_sort_configILj256ELj4ELNS0_20block_sort_algorithmE0EEENS0_14default_configENS1_37merge_sort_block_sort_config_selectorI6__halfNS0_10empty_typeEEENS1_38merge_sort_block_merge_config_selectorISE_SF_EEEEvv.uses_vcc, 0
	.set _ZN7rocprim17ROCPRIM_400000_NS6detail44device_merge_sort_compile_time_verifier_archINS1_11comp_targetILNS1_3genE2ELNS1_11target_archE906ELNS1_3gpuE6ELNS1_3repE0EEES8_NS1_28merge_sort_block_sort_configILj256ELj4ELNS0_20block_sort_algorithmE0EEENS0_14default_configENS1_37merge_sort_block_sort_config_selectorI6__halfNS0_10empty_typeEEENS1_38merge_sort_block_merge_config_selectorISE_SF_EEEEvv.uses_flat_scratch, 0
	.set _ZN7rocprim17ROCPRIM_400000_NS6detail44device_merge_sort_compile_time_verifier_archINS1_11comp_targetILNS1_3genE2ELNS1_11target_archE906ELNS1_3gpuE6ELNS1_3repE0EEES8_NS1_28merge_sort_block_sort_configILj256ELj4ELNS0_20block_sort_algorithmE0EEENS0_14default_configENS1_37merge_sort_block_sort_config_selectorI6__halfNS0_10empty_typeEEENS1_38merge_sort_block_merge_config_selectorISE_SF_EEEEvv.has_dyn_sized_stack, 0
	.set _ZN7rocprim17ROCPRIM_400000_NS6detail44device_merge_sort_compile_time_verifier_archINS1_11comp_targetILNS1_3genE2ELNS1_11target_archE906ELNS1_3gpuE6ELNS1_3repE0EEES8_NS1_28merge_sort_block_sort_configILj256ELj4ELNS0_20block_sort_algorithmE0EEENS0_14default_configENS1_37merge_sort_block_sort_config_selectorI6__halfNS0_10empty_typeEEENS1_38merge_sort_block_merge_config_selectorISE_SF_EEEEvv.has_recursion, 0
	.set _ZN7rocprim17ROCPRIM_400000_NS6detail44device_merge_sort_compile_time_verifier_archINS1_11comp_targetILNS1_3genE2ELNS1_11target_archE906ELNS1_3gpuE6ELNS1_3repE0EEES8_NS1_28merge_sort_block_sort_configILj256ELj4ELNS0_20block_sort_algorithmE0EEENS0_14default_configENS1_37merge_sort_block_sort_config_selectorI6__halfNS0_10empty_typeEEENS1_38merge_sort_block_merge_config_selectorISE_SF_EEEEvv.has_indirect_call, 0
	.section	.AMDGPU.csdata,"",@progbits
; Kernel info:
; codeLenInByte = 4
; TotalNumSgprs: 0
; NumVgprs: 0
; ScratchSize: 0
; MemoryBound: 0
; FloatMode: 240
; IeeeMode: 1
; LDSByteSize: 0 bytes/workgroup (compile time only)
; SGPRBlocks: 0
; VGPRBlocks: 0
; NumSGPRsForWavesPerEU: 1
; NumVGPRsForWavesPerEU: 1
; NamedBarCnt: 0
; Occupancy: 16
; WaveLimiterHint : 0
; COMPUTE_PGM_RSRC2:SCRATCH_EN: 0
; COMPUTE_PGM_RSRC2:USER_SGPR: 0
; COMPUTE_PGM_RSRC2:TRAP_HANDLER: 0
; COMPUTE_PGM_RSRC2:TGID_X_EN: 1
; COMPUTE_PGM_RSRC2:TGID_Y_EN: 0
; COMPUTE_PGM_RSRC2:TGID_Z_EN: 0
; COMPUTE_PGM_RSRC2:TIDIG_COMP_CNT: 0
	.section	.text._ZN7rocprim17ROCPRIM_400000_NS6detail44device_merge_sort_compile_time_verifier_archINS1_11comp_targetILNS1_3genE10ELNS1_11target_archE1201ELNS1_3gpuE5ELNS1_3repE0EEES8_NS1_28merge_sort_block_sort_configILj256ELj4ELNS0_20block_sort_algorithmE0EEENS0_14default_configENS1_37merge_sort_block_sort_config_selectorI6__halfNS0_10empty_typeEEENS1_38merge_sort_block_merge_config_selectorISE_SF_EEEEvv,"axG",@progbits,_ZN7rocprim17ROCPRIM_400000_NS6detail44device_merge_sort_compile_time_verifier_archINS1_11comp_targetILNS1_3genE10ELNS1_11target_archE1201ELNS1_3gpuE5ELNS1_3repE0EEES8_NS1_28merge_sort_block_sort_configILj256ELj4ELNS0_20block_sort_algorithmE0EEENS0_14default_configENS1_37merge_sort_block_sort_config_selectorI6__halfNS0_10empty_typeEEENS1_38merge_sort_block_merge_config_selectorISE_SF_EEEEvv,comdat
	.protected	_ZN7rocprim17ROCPRIM_400000_NS6detail44device_merge_sort_compile_time_verifier_archINS1_11comp_targetILNS1_3genE10ELNS1_11target_archE1201ELNS1_3gpuE5ELNS1_3repE0EEES8_NS1_28merge_sort_block_sort_configILj256ELj4ELNS0_20block_sort_algorithmE0EEENS0_14default_configENS1_37merge_sort_block_sort_config_selectorI6__halfNS0_10empty_typeEEENS1_38merge_sort_block_merge_config_selectorISE_SF_EEEEvv ; -- Begin function _ZN7rocprim17ROCPRIM_400000_NS6detail44device_merge_sort_compile_time_verifier_archINS1_11comp_targetILNS1_3genE10ELNS1_11target_archE1201ELNS1_3gpuE5ELNS1_3repE0EEES8_NS1_28merge_sort_block_sort_configILj256ELj4ELNS0_20block_sort_algorithmE0EEENS0_14default_configENS1_37merge_sort_block_sort_config_selectorI6__halfNS0_10empty_typeEEENS1_38merge_sort_block_merge_config_selectorISE_SF_EEEEvv
	.globl	_ZN7rocprim17ROCPRIM_400000_NS6detail44device_merge_sort_compile_time_verifier_archINS1_11comp_targetILNS1_3genE10ELNS1_11target_archE1201ELNS1_3gpuE5ELNS1_3repE0EEES8_NS1_28merge_sort_block_sort_configILj256ELj4ELNS0_20block_sort_algorithmE0EEENS0_14default_configENS1_37merge_sort_block_sort_config_selectorI6__halfNS0_10empty_typeEEENS1_38merge_sort_block_merge_config_selectorISE_SF_EEEEvv
	.p2align	8
	.type	_ZN7rocprim17ROCPRIM_400000_NS6detail44device_merge_sort_compile_time_verifier_archINS1_11comp_targetILNS1_3genE10ELNS1_11target_archE1201ELNS1_3gpuE5ELNS1_3repE0EEES8_NS1_28merge_sort_block_sort_configILj256ELj4ELNS0_20block_sort_algorithmE0EEENS0_14default_configENS1_37merge_sort_block_sort_config_selectorI6__halfNS0_10empty_typeEEENS1_38merge_sort_block_merge_config_selectorISE_SF_EEEEvv,@function
_ZN7rocprim17ROCPRIM_400000_NS6detail44device_merge_sort_compile_time_verifier_archINS1_11comp_targetILNS1_3genE10ELNS1_11target_archE1201ELNS1_3gpuE5ELNS1_3repE0EEES8_NS1_28merge_sort_block_sort_configILj256ELj4ELNS0_20block_sort_algorithmE0EEENS0_14default_configENS1_37merge_sort_block_sort_config_selectorI6__halfNS0_10empty_typeEEENS1_38merge_sort_block_merge_config_selectorISE_SF_EEEEvv: ; @_ZN7rocprim17ROCPRIM_400000_NS6detail44device_merge_sort_compile_time_verifier_archINS1_11comp_targetILNS1_3genE10ELNS1_11target_archE1201ELNS1_3gpuE5ELNS1_3repE0EEES8_NS1_28merge_sort_block_sort_configILj256ELj4ELNS0_20block_sort_algorithmE0EEENS0_14default_configENS1_37merge_sort_block_sort_config_selectorI6__halfNS0_10empty_typeEEENS1_38merge_sort_block_merge_config_selectorISE_SF_EEEEvv
; %bb.0:
	s_endpgm
	.section	.rodata,"a",@progbits
	.p2align	6, 0x0
	.amdhsa_kernel _ZN7rocprim17ROCPRIM_400000_NS6detail44device_merge_sort_compile_time_verifier_archINS1_11comp_targetILNS1_3genE10ELNS1_11target_archE1201ELNS1_3gpuE5ELNS1_3repE0EEES8_NS1_28merge_sort_block_sort_configILj256ELj4ELNS0_20block_sort_algorithmE0EEENS0_14default_configENS1_37merge_sort_block_sort_config_selectorI6__halfNS0_10empty_typeEEENS1_38merge_sort_block_merge_config_selectorISE_SF_EEEEvv
		.amdhsa_group_segment_fixed_size 0
		.amdhsa_private_segment_fixed_size 0
		.amdhsa_kernarg_size 0
		.amdhsa_user_sgpr_count 0
		.amdhsa_user_sgpr_dispatch_ptr 0
		.amdhsa_user_sgpr_queue_ptr 0
		.amdhsa_user_sgpr_kernarg_segment_ptr 0
		.amdhsa_user_sgpr_dispatch_id 0
		.amdhsa_user_sgpr_kernarg_preload_length 0
		.amdhsa_user_sgpr_kernarg_preload_offset 0
		.amdhsa_user_sgpr_private_segment_size 0
		.amdhsa_wavefront_size32 1
		.amdhsa_uses_dynamic_stack 0
		.amdhsa_enable_private_segment 0
		.amdhsa_system_sgpr_workgroup_id_x 1
		.amdhsa_system_sgpr_workgroup_id_y 0
		.amdhsa_system_sgpr_workgroup_id_z 0
		.amdhsa_system_sgpr_workgroup_info 0
		.amdhsa_system_vgpr_workitem_id 0
		.amdhsa_next_free_vgpr 1
		.amdhsa_next_free_sgpr 1
		.amdhsa_named_barrier_count 0
		.amdhsa_reserve_vcc 0
		.amdhsa_float_round_mode_32 0
		.amdhsa_float_round_mode_16_64 0
		.amdhsa_float_denorm_mode_32 3
		.amdhsa_float_denorm_mode_16_64 3
		.amdhsa_fp16_overflow 0
		.amdhsa_memory_ordered 1
		.amdhsa_forward_progress 1
		.amdhsa_inst_pref_size 1
		.amdhsa_round_robin_scheduling 0
		.amdhsa_exception_fp_ieee_invalid_op 0
		.amdhsa_exception_fp_denorm_src 0
		.amdhsa_exception_fp_ieee_div_zero 0
		.amdhsa_exception_fp_ieee_overflow 0
		.amdhsa_exception_fp_ieee_underflow 0
		.amdhsa_exception_fp_ieee_inexact 0
		.amdhsa_exception_int_div_zero 0
	.end_amdhsa_kernel
	.section	.text._ZN7rocprim17ROCPRIM_400000_NS6detail44device_merge_sort_compile_time_verifier_archINS1_11comp_targetILNS1_3genE10ELNS1_11target_archE1201ELNS1_3gpuE5ELNS1_3repE0EEES8_NS1_28merge_sort_block_sort_configILj256ELj4ELNS0_20block_sort_algorithmE0EEENS0_14default_configENS1_37merge_sort_block_sort_config_selectorI6__halfNS0_10empty_typeEEENS1_38merge_sort_block_merge_config_selectorISE_SF_EEEEvv,"axG",@progbits,_ZN7rocprim17ROCPRIM_400000_NS6detail44device_merge_sort_compile_time_verifier_archINS1_11comp_targetILNS1_3genE10ELNS1_11target_archE1201ELNS1_3gpuE5ELNS1_3repE0EEES8_NS1_28merge_sort_block_sort_configILj256ELj4ELNS0_20block_sort_algorithmE0EEENS0_14default_configENS1_37merge_sort_block_sort_config_selectorI6__halfNS0_10empty_typeEEENS1_38merge_sort_block_merge_config_selectorISE_SF_EEEEvv,comdat
.Lfunc_end2101:
	.size	_ZN7rocprim17ROCPRIM_400000_NS6detail44device_merge_sort_compile_time_verifier_archINS1_11comp_targetILNS1_3genE10ELNS1_11target_archE1201ELNS1_3gpuE5ELNS1_3repE0EEES8_NS1_28merge_sort_block_sort_configILj256ELj4ELNS0_20block_sort_algorithmE0EEENS0_14default_configENS1_37merge_sort_block_sort_config_selectorI6__halfNS0_10empty_typeEEENS1_38merge_sort_block_merge_config_selectorISE_SF_EEEEvv, .Lfunc_end2101-_ZN7rocprim17ROCPRIM_400000_NS6detail44device_merge_sort_compile_time_verifier_archINS1_11comp_targetILNS1_3genE10ELNS1_11target_archE1201ELNS1_3gpuE5ELNS1_3repE0EEES8_NS1_28merge_sort_block_sort_configILj256ELj4ELNS0_20block_sort_algorithmE0EEENS0_14default_configENS1_37merge_sort_block_sort_config_selectorI6__halfNS0_10empty_typeEEENS1_38merge_sort_block_merge_config_selectorISE_SF_EEEEvv
                                        ; -- End function
	.set _ZN7rocprim17ROCPRIM_400000_NS6detail44device_merge_sort_compile_time_verifier_archINS1_11comp_targetILNS1_3genE10ELNS1_11target_archE1201ELNS1_3gpuE5ELNS1_3repE0EEES8_NS1_28merge_sort_block_sort_configILj256ELj4ELNS0_20block_sort_algorithmE0EEENS0_14default_configENS1_37merge_sort_block_sort_config_selectorI6__halfNS0_10empty_typeEEENS1_38merge_sort_block_merge_config_selectorISE_SF_EEEEvv.num_vgpr, 0
	.set _ZN7rocprim17ROCPRIM_400000_NS6detail44device_merge_sort_compile_time_verifier_archINS1_11comp_targetILNS1_3genE10ELNS1_11target_archE1201ELNS1_3gpuE5ELNS1_3repE0EEES8_NS1_28merge_sort_block_sort_configILj256ELj4ELNS0_20block_sort_algorithmE0EEENS0_14default_configENS1_37merge_sort_block_sort_config_selectorI6__halfNS0_10empty_typeEEENS1_38merge_sort_block_merge_config_selectorISE_SF_EEEEvv.num_agpr, 0
	.set _ZN7rocprim17ROCPRIM_400000_NS6detail44device_merge_sort_compile_time_verifier_archINS1_11comp_targetILNS1_3genE10ELNS1_11target_archE1201ELNS1_3gpuE5ELNS1_3repE0EEES8_NS1_28merge_sort_block_sort_configILj256ELj4ELNS0_20block_sort_algorithmE0EEENS0_14default_configENS1_37merge_sort_block_sort_config_selectorI6__halfNS0_10empty_typeEEENS1_38merge_sort_block_merge_config_selectorISE_SF_EEEEvv.numbered_sgpr, 0
	.set _ZN7rocprim17ROCPRIM_400000_NS6detail44device_merge_sort_compile_time_verifier_archINS1_11comp_targetILNS1_3genE10ELNS1_11target_archE1201ELNS1_3gpuE5ELNS1_3repE0EEES8_NS1_28merge_sort_block_sort_configILj256ELj4ELNS0_20block_sort_algorithmE0EEENS0_14default_configENS1_37merge_sort_block_sort_config_selectorI6__halfNS0_10empty_typeEEENS1_38merge_sort_block_merge_config_selectorISE_SF_EEEEvv.num_named_barrier, 0
	.set _ZN7rocprim17ROCPRIM_400000_NS6detail44device_merge_sort_compile_time_verifier_archINS1_11comp_targetILNS1_3genE10ELNS1_11target_archE1201ELNS1_3gpuE5ELNS1_3repE0EEES8_NS1_28merge_sort_block_sort_configILj256ELj4ELNS0_20block_sort_algorithmE0EEENS0_14default_configENS1_37merge_sort_block_sort_config_selectorI6__halfNS0_10empty_typeEEENS1_38merge_sort_block_merge_config_selectorISE_SF_EEEEvv.private_seg_size, 0
	.set _ZN7rocprim17ROCPRIM_400000_NS6detail44device_merge_sort_compile_time_verifier_archINS1_11comp_targetILNS1_3genE10ELNS1_11target_archE1201ELNS1_3gpuE5ELNS1_3repE0EEES8_NS1_28merge_sort_block_sort_configILj256ELj4ELNS0_20block_sort_algorithmE0EEENS0_14default_configENS1_37merge_sort_block_sort_config_selectorI6__halfNS0_10empty_typeEEENS1_38merge_sort_block_merge_config_selectorISE_SF_EEEEvv.uses_vcc, 0
	.set _ZN7rocprim17ROCPRIM_400000_NS6detail44device_merge_sort_compile_time_verifier_archINS1_11comp_targetILNS1_3genE10ELNS1_11target_archE1201ELNS1_3gpuE5ELNS1_3repE0EEES8_NS1_28merge_sort_block_sort_configILj256ELj4ELNS0_20block_sort_algorithmE0EEENS0_14default_configENS1_37merge_sort_block_sort_config_selectorI6__halfNS0_10empty_typeEEENS1_38merge_sort_block_merge_config_selectorISE_SF_EEEEvv.uses_flat_scratch, 0
	.set _ZN7rocprim17ROCPRIM_400000_NS6detail44device_merge_sort_compile_time_verifier_archINS1_11comp_targetILNS1_3genE10ELNS1_11target_archE1201ELNS1_3gpuE5ELNS1_3repE0EEES8_NS1_28merge_sort_block_sort_configILj256ELj4ELNS0_20block_sort_algorithmE0EEENS0_14default_configENS1_37merge_sort_block_sort_config_selectorI6__halfNS0_10empty_typeEEENS1_38merge_sort_block_merge_config_selectorISE_SF_EEEEvv.has_dyn_sized_stack, 0
	.set _ZN7rocprim17ROCPRIM_400000_NS6detail44device_merge_sort_compile_time_verifier_archINS1_11comp_targetILNS1_3genE10ELNS1_11target_archE1201ELNS1_3gpuE5ELNS1_3repE0EEES8_NS1_28merge_sort_block_sort_configILj256ELj4ELNS0_20block_sort_algorithmE0EEENS0_14default_configENS1_37merge_sort_block_sort_config_selectorI6__halfNS0_10empty_typeEEENS1_38merge_sort_block_merge_config_selectorISE_SF_EEEEvv.has_recursion, 0
	.set _ZN7rocprim17ROCPRIM_400000_NS6detail44device_merge_sort_compile_time_verifier_archINS1_11comp_targetILNS1_3genE10ELNS1_11target_archE1201ELNS1_3gpuE5ELNS1_3repE0EEES8_NS1_28merge_sort_block_sort_configILj256ELj4ELNS0_20block_sort_algorithmE0EEENS0_14default_configENS1_37merge_sort_block_sort_config_selectorI6__halfNS0_10empty_typeEEENS1_38merge_sort_block_merge_config_selectorISE_SF_EEEEvv.has_indirect_call, 0
	.section	.AMDGPU.csdata,"",@progbits
; Kernel info:
; codeLenInByte = 4
; TotalNumSgprs: 0
; NumVgprs: 0
; ScratchSize: 0
; MemoryBound: 0
; FloatMode: 240
; IeeeMode: 1
; LDSByteSize: 0 bytes/workgroup (compile time only)
; SGPRBlocks: 0
; VGPRBlocks: 0
; NumSGPRsForWavesPerEU: 1
; NumVGPRsForWavesPerEU: 1
; NamedBarCnt: 0
; Occupancy: 16
; WaveLimiterHint : 0
; COMPUTE_PGM_RSRC2:SCRATCH_EN: 0
; COMPUTE_PGM_RSRC2:USER_SGPR: 0
; COMPUTE_PGM_RSRC2:TRAP_HANDLER: 0
; COMPUTE_PGM_RSRC2:TGID_X_EN: 1
; COMPUTE_PGM_RSRC2:TGID_Y_EN: 0
; COMPUTE_PGM_RSRC2:TGID_Z_EN: 0
; COMPUTE_PGM_RSRC2:TIDIG_COMP_CNT: 0
	.section	.text._ZN7rocprim17ROCPRIM_400000_NS6detail44device_merge_sort_compile_time_verifier_archINS1_11comp_targetILNS1_3genE10ELNS1_11target_archE1200ELNS1_3gpuE4ELNS1_3repE0EEENS3_ILS4_10ELS5_1201ELS6_5ELS7_0EEENS1_28merge_sort_block_sort_configILj256ELj4ELNS0_20block_sort_algorithmE0EEENS0_14default_configENS1_37merge_sort_block_sort_config_selectorI6__halfNS0_10empty_typeEEENS1_38merge_sort_block_merge_config_selectorISF_SG_EEEEvv,"axG",@progbits,_ZN7rocprim17ROCPRIM_400000_NS6detail44device_merge_sort_compile_time_verifier_archINS1_11comp_targetILNS1_3genE10ELNS1_11target_archE1200ELNS1_3gpuE4ELNS1_3repE0EEENS3_ILS4_10ELS5_1201ELS6_5ELS7_0EEENS1_28merge_sort_block_sort_configILj256ELj4ELNS0_20block_sort_algorithmE0EEENS0_14default_configENS1_37merge_sort_block_sort_config_selectorI6__halfNS0_10empty_typeEEENS1_38merge_sort_block_merge_config_selectorISF_SG_EEEEvv,comdat
	.protected	_ZN7rocprim17ROCPRIM_400000_NS6detail44device_merge_sort_compile_time_verifier_archINS1_11comp_targetILNS1_3genE10ELNS1_11target_archE1200ELNS1_3gpuE4ELNS1_3repE0EEENS3_ILS4_10ELS5_1201ELS6_5ELS7_0EEENS1_28merge_sort_block_sort_configILj256ELj4ELNS0_20block_sort_algorithmE0EEENS0_14default_configENS1_37merge_sort_block_sort_config_selectorI6__halfNS0_10empty_typeEEENS1_38merge_sort_block_merge_config_selectorISF_SG_EEEEvv ; -- Begin function _ZN7rocprim17ROCPRIM_400000_NS6detail44device_merge_sort_compile_time_verifier_archINS1_11comp_targetILNS1_3genE10ELNS1_11target_archE1200ELNS1_3gpuE4ELNS1_3repE0EEENS3_ILS4_10ELS5_1201ELS6_5ELS7_0EEENS1_28merge_sort_block_sort_configILj256ELj4ELNS0_20block_sort_algorithmE0EEENS0_14default_configENS1_37merge_sort_block_sort_config_selectorI6__halfNS0_10empty_typeEEENS1_38merge_sort_block_merge_config_selectorISF_SG_EEEEvv
	.globl	_ZN7rocprim17ROCPRIM_400000_NS6detail44device_merge_sort_compile_time_verifier_archINS1_11comp_targetILNS1_3genE10ELNS1_11target_archE1200ELNS1_3gpuE4ELNS1_3repE0EEENS3_ILS4_10ELS5_1201ELS6_5ELS7_0EEENS1_28merge_sort_block_sort_configILj256ELj4ELNS0_20block_sort_algorithmE0EEENS0_14default_configENS1_37merge_sort_block_sort_config_selectorI6__halfNS0_10empty_typeEEENS1_38merge_sort_block_merge_config_selectorISF_SG_EEEEvv
	.p2align	8
	.type	_ZN7rocprim17ROCPRIM_400000_NS6detail44device_merge_sort_compile_time_verifier_archINS1_11comp_targetILNS1_3genE10ELNS1_11target_archE1200ELNS1_3gpuE4ELNS1_3repE0EEENS3_ILS4_10ELS5_1201ELS6_5ELS7_0EEENS1_28merge_sort_block_sort_configILj256ELj4ELNS0_20block_sort_algorithmE0EEENS0_14default_configENS1_37merge_sort_block_sort_config_selectorI6__halfNS0_10empty_typeEEENS1_38merge_sort_block_merge_config_selectorISF_SG_EEEEvv,@function
_ZN7rocprim17ROCPRIM_400000_NS6detail44device_merge_sort_compile_time_verifier_archINS1_11comp_targetILNS1_3genE10ELNS1_11target_archE1200ELNS1_3gpuE4ELNS1_3repE0EEENS3_ILS4_10ELS5_1201ELS6_5ELS7_0EEENS1_28merge_sort_block_sort_configILj256ELj4ELNS0_20block_sort_algorithmE0EEENS0_14default_configENS1_37merge_sort_block_sort_config_selectorI6__halfNS0_10empty_typeEEENS1_38merge_sort_block_merge_config_selectorISF_SG_EEEEvv: ; @_ZN7rocprim17ROCPRIM_400000_NS6detail44device_merge_sort_compile_time_verifier_archINS1_11comp_targetILNS1_3genE10ELNS1_11target_archE1200ELNS1_3gpuE4ELNS1_3repE0EEENS3_ILS4_10ELS5_1201ELS6_5ELS7_0EEENS1_28merge_sort_block_sort_configILj256ELj4ELNS0_20block_sort_algorithmE0EEENS0_14default_configENS1_37merge_sort_block_sort_config_selectorI6__halfNS0_10empty_typeEEENS1_38merge_sort_block_merge_config_selectorISF_SG_EEEEvv
; %bb.0:
	s_endpgm
	.section	.rodata,"a",@progbits
	.p2align	6, 0x0
	.amdhsa_kernel _ZN7rocprim17ROCPRIM_400000_NS6detail44device_merge_sort_compile_time_verifier_archINS1_11comp_targetILNS1_3genE10ELNS1_11target_archE1200ELNS1_3gpuE4ELNS1_3repE0EEENS3_ILS4_10ELS5_1201ELS6_5ELS7_0EEENS1_28merge_sort_block_sort_configILj256ELj4ELNS0_20block_sort_algorithmE0EEENS0_14default_configENS1_37merge_sort_block_sort_config_selectorI6__halfNS0_10empty_typeEEENS1_38merge_sort_block_merge_config_selectorISF_SG_EEEEvv
		.amdhsa_group_segment_fixed_size 0
		.amdhsa_private_segment_fixed_size 0
		.amdhsa_kernarg_size 0
		.amdhsa_user_sgpr_count 0
		.amdhsa_user_sgpr_dispatch_ptr 0
		.amdhsa_user_sgpr_queue_ptr 0
		.amdhsa_user_sgpr_kernarg_segment_ptr 0
		.amdhsa_user_sgpr_dispatch_id 0
		.amdhsa_user_sgpr_kernarg_preload_length 0
		.amdhsa_user_sgpr_kernarg_preload_offset 0
		.amdhsa_user_sgpr_private_segment_size 0
		.amdhsa_wavefront_size32 1
		.amdhsa_uses_dynamic_stack 0
		.amdhsa_enable_private_segment 0
		.amdhsa_system_sgpr_workgroup_id_x 1
		.amdhsa_system_sgpr_workgroup_id_y 0
		.amdhsa_system_sgpr_workgroup_id_z 0
		.amdhsa_system_sgpr_workgroup_info 0
		.amdhsa_system_vgpr_workitem_id 0
		.amdhsa_next_free_vgpr 1
		.amdhsa_next_free_sgpr 1
		.amdhsa_named_barrier_count 0
		.amdhsa_reserve_vcc 0
		.amdhsa_float_round_mode_32 0
		.amdhsa_float_round_mode_16_64 0
		.amdhsa_float_denorm_mode_32 3
		.amdhsa_float_denorm_mode_16_64 3
		.amdhsa_fp16_overflow 0
		.amdhsa_memory_ordered 1
		.amdhsa_forward_progress 1
		.amdhsa_inst_pref_size 1
		.amdhsa_round_robin_scheduling 0
		.amdhsa_exception_fp_ieee_invalid_op 0
		.amdhsa_exception_fp_denorm_src 0
		.amdhsa_exception_fp_ieee_div_zero 0
		.amdhsa_exception_fp_ieee_overflow 0
		.amdhsa_exception_fp_ieee_underflow 0
		.amdhsa_exception_fp_ieee_inexact 0
		.amdhsa_exception_int_div_zero 0
	.end_amdhsa_kernel
	.section	.text._ZN7rocprim17ROCPRIM_400000_NS6detail44device_merge_sort_compile_time_verifier_archINS1_11comp_targetILNS1_3genE10ELNS1_11target_archE1200ELNS1_3gpuE4ELNS1_3repE0EEENS3_ILS4_10ELS5_1201ELS6_5ELS7_0EEENS1_28merge_sort_block_sort_configILj256ELj4ELNS0_20block_sort_algorithmE0EEENS0_14default_configENS1_37merge_sort_block_sort_config_selectorI6__halfNS0_10empty_typeEEENS1_38merge_sort_block_merge_config_selectorISF_SG_EEEEvv,"axG",@progbits,_ZN7rocprim17ROCPRIM_400000_NS6detail44device_merge_sort_compile_time_verifier_archINS1_11comp_targetILNS1_3genE10ELNS1_11target_archE1200ELNS1_3gpuE4ELNS1_3repE0EEENS3_ILS4_10ELS5_1201ELS6_5ELS7_0EEENS1_28merge_sort_block_sort_configILj256ELj4ELNS0_20block_sort_algorithmE0EEENS0_14default_configENS1_37merge_sort_block_sort_config_selectorI6__halfNS0_10empty_typeEEENS1_38merge_sort_block_merge_config_selectorISF_SG_EEEEvv,comdat
.Lfunc_end2102:
	.size	_ZN7rocprim17ROCPRIM_400000_NS6detail44device_merge_sort_compile_time_verifier_archINS1_11comp_targetILNS1_3genE10ELNS1_11target_archE1200ELNS1_3gpuE4ELNS1_3repE0EEENS3_ILS4_10ELS5_1201ELS6_5ELS7_0EEENS1_28merge_sort_block_sort_configILj256ELj4ELNS0_20block_sort_algorithmE0EEENS0_14default_configENS1_37merge_sort_block_sort_config_selectorI6__halfNS0_10empty_typeEEENS1_38merge_sort_block_merge_config_selectorISF_SG_EEEEvv, .Lfunc_end2102-_ZN7rocprim17ROCPRIM_400000_NS6detail44device_merge_sort_compile_time_verifier_archINS1_11comp_targetILNS1_3genE10ELNS1_11target_archE1200ELNS1_3gpuE4ELNS1_3repE0EEENS3_ILS4_10ELS5_1201ELS6_5ELS7_0EEENS1_28merge_sort_block_sort_configILj256ELj4ELNS0_20block_sort_algorithmE0EEENS0_14default_configENS1_37merge_sort_block_sort_config_selectorI6__halfNS0_10empty_typeEEENS1_38merge_sort_block_merge_config_selectorISF_SG_EEEEvv
                                        ; -- End function
	.set _ZN7rocprim17ROCPRIM_400000_NS6detail44device_merge_sort_compile_time_verifier_archINS1_11comp_targetILNS1_3genE10ELNS1_11target_archE1200ELNS1_3gpuE4ELNS1_3repE0EEENS3_ILS4_10ELS5_1201ELS6_5ELS7_0EEENS1_28merge_sort_block_sort_configILj256ELj4ELNS0_20block_sort_algorithmE0EEENS0_14default_configENS1_37merge_sort_block_sort_config_selectorI6__halfNS0_10empty_typeEEENS1_38merge_sort_block_merge_config_selectorISF_SG_EEEEvv.num_vgpr, 0
	.set _ZN7rocprim17ROCPRIM_400000_NS6detail44device_merge_sort_compile_time_verifier_archINS1_11comp_targetILNS1_3genE10ELNS1_11target_archE1200ELNS1_3gpuE4ELNS1_3repE0EEENS3_ILS4_10ELS5_1201ELS6_5ELS7_0EEENS1_28merge_sort_block_sort_configILj256ELj4ELNS0_20block_sort_algorithmE0EEENS0_14default_configENS1_37merge_sort_block_sort_config_selectorI6__halfNS0_10empty_typeEEENS1_38merge_sort_block_merge_config_selectorISF_SG_EEEEvv.num_agpr, 0
	.set _ZN7rocprim17ROCPRIM_400000_NS6detail44device_merge_sort_compile_time_verifier_archINS1_11comp_targetILNS1_3genE10ELNS1_11target_archE1200ELNS1_3gpuE4ELNS1_3repE0EEENS3_ILS4_10ELS5_1201ELS6_5ELS7_0EEENS1_28merge_sort_block_sort_configILj256ELj4ELNS0_20block_sort_algorithmE0EEENS0_14default_configENS1_37merge_sort_block_sort_config_selectorI6__halfNS0_10empty_typeEEENS1_38merge_sort_block_merge_config_selectorISF_SG_EEEEvv.numbered_sgpr, 0
	.set _ZN7rocprim17ROCPRIM_400000_NS6detail44device_merge_sort_compile_time_verifier_archINS1_11comp_targetILNS1_3genE10ELNS1_11target_archE1200ELNS1_3gpuE4ELNS1_3repE0EEENS3_ILS4_10ELS5_1201ELS6_5ELS7_0EEENS1_28merge_sort_block_sort_configILj256ELj4ELNS0_20block_sort_algorithmE0EEENS0_14default_configENS1_37merge_sort_block_sort_config_selectorI6__halfNS0_10empty_typeEEENS1_38merge_sort_block_merge_config_selectorISF_SG_EEEEvv.num_named_barrier, 0
	.set _ZN7rocprim17ROCPRIM_400000_NS6detail44device_merge_sort_compile_time_verifier_archINS1_11comp_targetILNS1_3genE10ELNS1_11target_archE1200ELNS1_3gpuE4ELNS1_3repE0EEENS3_ILS4_10ELS5_1201ELS6_5ELS7_0EEENS1_28merge_sort_block_sort_configILj256ELj4ELNS0_20block_sort_algorithmE0EEENS0_14default_configENS1_37merge_sort_block_sort_config_selectorI6__halfNS0_10empty_typeEEENS1_38merge_sort_block_merge_config_selectorISF_SG_EEEEvv.private_seg_size, 0
	.set _ZN7rocprim17ROCPRIM_400000_NS6detail44device_merge_sort_compile_time_verifier_archINS1_11comp_targetILNS1_3genE10ELNS1_11target_archE1200ELNS1_3gpuE4ELNS1_3repE0EEENS3_ILS4_10ELS5_1201ELS6_5ELS7_0EEENS1_28merge_sort_block_sort_configILj256ELj4ELNS0_20block_sort_algorithmE0EEENS0_14default_configENS1_37merge_sort_block_sort_config_selectorI6__halfNS0_10empty_typeEEENS1_38merge_sort_block_merge_config_selectorISF_SG_EEEEvv.uses_vcc, 0
	.set _ZN7rocprim17ROCPRIM_400000_NS6detail44device_merge_sort_compile_time_verifier_archINS1_11comp_targetILNS1_3genE10ELNS1_11target_archE1200ELNS1_3gpuE4ELNS1_3repE0EEENS3_ILS4_10ELS5_1201ELS6_5ELS7_0EEENS1_28merge_sort_block_sort_configILj256ELj4ELNS0_20block_sort_algorithmE0EEENS0_14default_configENS1_37merge_sort_block_sort_config_selectorI6__halfNS0_10empty_typeEEENS1_38merge_sort_block_merge_config_selectorISF_SG_EEEEvv.uses_flat_scratch, 0
	.set _ZN7rocprim17ROCPRIM_400000_NS6detail44device_merge_sort_compile_time_verifier_archINS1_11comp_targetILNS1_3genE10ELNS1_11target_archE1200ELNS1_3gpuE4ELNS1_3repE0EEENS3_ILS4_10ELS5_1201ELS6_5ELS7_0EEENS1_28merge_sort_block_sort_configILj256ELj4ELNS0_20block_sort_algorithmE0EEENS0_14default_configENS1_37merge_sort_block_sort_config_selectorI6__halfNS0_10empty_typeEEENS1_38merge_sort_block_merge_config_selectorISF_SG_EEEEvv.has_dyn_sized_stack, 0
	.set _ZN7rocprim17ROCPRIM_400000_NS6detail44device_merge_sort_compile_time_verifier_archINS1_11comp_targetILNS1_3genE10ELNS1_11target_archE1200ELNS1_3gpuE4ELNS1_3repE0EEENS3_ILS4_10ELS5_1201ELS6_5ELS7_0EEENS1_28merge_sort_block_sort_configILj256ELj4ELNS0_20block_sort_algorithmE0EEENS0_14default_configENS1_37merge_sort_block_sort_config_selectorI6__halfNS0_10empty_typeEEENS1_38merge_sort_block_merge_config_selectorISF_SG_EEEEvv.has_recursion, 0
	.set _ZN7rocprim17ROCPRIM_400000_NS6detail44device_merge_sort_compile_time_verifier_archINS1_11comp_targetILNS1_3genE10ELNS1_11target_archE1200ELNS1_3gpuE4ELNS1_3repE0EEENS3_ILS4_10ELS5_1201ELS6_5ELS7_0EEENS1_28merge_sort_block_sort_configILj256ELj4ELNS0_20block_sort_algorithmE0EEENS0_14default_configENS1_37merge_sort_block_sort_config_selectorI6__halfNS0_10empty_typeEEENS1_38merge_sort_block_merge_config_selectorISF_SG_EEEEvv.has_indirect_call, 0
	.section	.AMDGPU.csdata,"",@progbits
; Kernel info:
; codeLenInByte = 4
; TotalNumSgprs: 0
; NumVgprs: 0
; ScratchSize: 0
; MemoryBound: 0
; FloatMode: 240
; IeeeMode: 1
; LDSByteSize: 0 bytes/workgroup (compile time only)
; SGPRBlocks: 0
; VGPRBlocks: 0
; NumSGPRsForWavesPerEU: 1
; NumVGPRsForWavesPerEU: 1
; NamedBarCnt: 0
; Occupancy: 16
; WaveLimiterHint : 0
; COMPUTE_PGM_RSRC2:SCRATCH_EN: 0
; COMPUTE_PGM_RSRC2:USER_SGPR: 0
; COMPUTE_PGM_RSRC2:TRAP_HANDLER: 0
; COMPUTE_PGM_RSRC2:TGID_X_EN: 1
; COMPUTE_PGM_RSRC2:TGID_Y_EN: 0
; COMPUTE_PGM_RSRC2:TGID_Z_EN: 0
; COMPUTE_PGM_RSRC2:TIDIG_COMP_CNT: 0
	.section	.text._ZN7rocprim17ROCPRIM_400000_NS6detail44device_merge_sort_compile_time_verifier_archINS1_11comp_targetILNS1_3genE9ELNS1_11target_archE1100ELNS1_3gpuE3ELNS1_3repE0EEES8_NS1_28merge_sort_block_sort_configILj256ELj4ELNS0_20block_sort_algorithmE0EEENS0_14default_configENS1_37merge_sort_block_sort_config_selectorI6__halfNS0_10empty_typeEEENS1_38merge_sort_block_merge_config_selectorISE_SF_EEEEvv,"axG",@progbits,_ZN7rocprim17ROCPRIM_400000_NS6detail44device_merge_sort_compile_time_verifier_archINS1_11comp_targetILNS1_3genE9ELNS1_11target_archE1100ELNS1_3gpuE3ELNS1_3repE0EEES8_NS1_28merge_sort_block_sort_configILj256ELj4ELNS0_20block_sort_algorithmE0EEENS0_14default_configENS1_37merge_sort_block_sort_config_selectorI6__halfNS0_10empty_typeEEENS1_38merge_sort_block_merge_config_selectorISE_SF_EEEEvv,comdat
	.protected	_ZN7rocprim17ROCPRIM_400000_NS6detail44device_merge_sort_compile_time_verifier_archINS1_11comp_targetILNS1_3genE9ELNS1_11target_archE1100ELNS1_3gpuE3ELNS1_3repE0EEES8_NS1_28merge_sort_block_sort_configILj256ELj4ELNS0_20block_sort_algorithmE0EEENS0_14default_configENS1_37merge_sort_block_sort_config_selectorI6__halfNS0_10empty_typeEEENS1_38merge_sort_block_merge_config_selectorISE_SF_EEEEvv ; -- Begin function _ZN7rocprim17ROCPRIM_400000_NS6detail44device_merge_sort_compile_time_verifier_archINS1_11comp_targetILNS1_3genE9ELNS1_11target_archE1100ELNS1_3gpuE3ELNS1_3repE0EEES8_NS1_28merge_sort_block_sort_configILj256ELj4ELNS0_20block_sort_algorithmE0EEENS0_14default_configENS1_37merge_sort_block_sort_config_selectorI6__halfNS0_10empty_typeEEENS1_38merge_sort_block_merge_config_selectorISE_SF_EEEEvv
	.globl	_ZN7rocprim17ROCPRIM_400000_NS6detail44device_merge_sort_compile_time_verifier_archINS1_11comp_targetILNS1_3genE9ELNS1_11target_archE1100ELNS1_3gpuE3ELNS1_3repE0EEES8_NS1_28merge_sort_block_sort_configILj256ELj4ELNS0_20block_sort_algorithmE0EEENS0_14default_configENS1_37merge_sort_block_sort_config_selectorI6__halfNS0_10empty_typeEEENS1_38merge_sort_block_merge_config_selectorISE_SF_EEEEvv
	.p2align	8
	.type	_ZN7rocprim17ROCPRIM_400000_NS6detail44device_merge_sort_compile_time_verifier_archINS1_11comp_targetILNS1_3genE9ELNS1_11target_archE1100ELNS1_3gpuE3ELNS1_3repE0EEES8_NS1_28merge_sort_block_sort_configILj256ELj4ELNS0_20block_sort_algorithmE0EEENS0_14default_configENS1_37merge_sort_block_sort_config_selectorI6__halfNS0_10empty_typeEEENS1_38merge_sort_block_merge_config_selectorISE_SF_EEEEvv,@function
_ZN7rocprim17ROCPRIM_400000_NS6detail44device_merge_sort_compile_time_verifier_archINS1_11comp_targetILNS1_3genE9ELNS1_11target_archE1100ELNS1_3gpuE3ELNS1_3repE0EEES8_NS1_28merge_sort_block_sort_configILj256ELj4ELNS0_20block_sort_algorithmE0EEENS0_14default_configENS1_37merge_sort_block_sort_config_selectorI6__halfNS0_10empty_typeEEENS1_38merge_sort_block_merge_config_selectorISE_SF_EEEEvv: ; @_ZN7rocprim17ROCPRIM_400000_NS6detail44device_merge_sort_compile_time_verifier_archINS1_11comp_targetILNS1_3genE9ELNS1_11target_archE1100ELNS1_3gpuE3ELNS1_3repE0EEES8_NS1_28merge_sort_block_sort_configILj256ELj4ELNS0_20block_sort_algorithmE0EEENS0_14default_configENS1_37merge_sort_block_sort_config_selectorI6__halfNS0_10empty_typeEEENS1_38merge_sort_block_merge_config_selectorISE_SF_EEEEvv
; %bb.0:
	s_endpgm
	.section	.rodata,"a",@progbits
	.p2align	6, 0x0
	.amdhsa_kernel _ZN7rocprim17ROCPRIM_400000_NS6detail44device_merge_sort_compile_time_verifier_archINS1_11comp_targetILNS1_3genE9ELNS1_11target_archE1100ELNS1_3gpuE3ELNS1_3repE0EEES8_NS1_28merge_sort_block_sort_configILj256ELj4ELNS0_20block_sort_algorithmE0EEENS0_14default_configENS1_37merge_sort_block_sort_config_selectorI6__halfNS0_10empty_typeEEENS1_38merge_sort_block_merge_config_selectorISE_SF_EEEEvv
		.amdhsa_group_segment_fixed_size 0
		.amdhsa_private_segment_fixed_size 0
		.amdhsa_kernarg_size 0
		.amdhsa_user_sgpr_count 0
		.amdhsa_user_sgpr_dispatch_ptr 0
		.amdhsa_user_sgpr_queue_ptr 0
		.amdhsa_user_sgpr_kernarg_segment_ptr 0
		.amdhsa_user_sgpr_dispatch_id 0
		.amdhsa_user_sgpr_kernarg_preload_length 0
		.amdhsa_user_sgpr_kernarg_preload_offset 0
		.amdhsa_user_sgpr_private_segment_size 0
		.amdhsa_wavefront_size32 1
		.amdhsa_uses_dynamic_stack 0
		.amdhsa_enable_private_segment 0
		.amdhsa_system_sgpr_workgroup_id_x 1
		.amdhsa_system_sgpr_workgroup_id_y 0
		.amdhsa_system_sgpr_workgroup_id_z 0
		.amdhsa_system_sgpr_workgroup_info 0
		.amdhsa_system_vgpr_workitem_id 0
		.amdhsa_next_free_vgpr 1
		.amdhsa_next_free_sgpr 1
		.amdhsa_named_barrier_count 0
		.amdhsa_reserve_vcc 0
		.amdhsa_float_round_mode_32 0
		.amdhsa_float_round_mode_16_64 0
		.amdhsa_float_denorm_mode_32 3
		.amdhsa_float_denorm_mode_16_64 3
		.amdhsa_fp16_overflow 0
		.amdhsa_memory_ordered 1
		.amdhsa_forward_progress 1
		.amdhsa_inst_pref_size 1
		.amdhsa_round_robin_scheduling 0
		.amdhsa_exception_fp_ieee_invalid_op 0
		.amdhsa_exception_fp_denorm_src 0
		.amdhsa_exception_fp_ieee_div_zero 0
		.amdhsa_exception_fp_ieee_overflow 0
		.amdhsa_exception_fp_ieee_underflow 0
		.amdhsa_exception_fp_ieee_inexact 0
		.amdhsa_exception_int_div_zero 0
	.end_amdhsa_kernel
	.section	.text._ZN7rocprim17ROCPRIM_400000_NS6detail44device_merge_sort_compile_time_verifier_archINS1_11comp_targetILNS1_3genE9ELNS1_11target_archE1100ELNS1_3gpuE3ELNS1_3repE0EEES8_NS1_28merge_sort_block_sort_configILj256ELj4ELNS0_20block_sort_algorithmE0EEENS0_14default_configENS1_37merge_sort_block_sort_config_selectorI6__halfNS0_10empty_typeEEENS1_38merge_sort_block_merge_config_selectorISE_SF_EEEEvv,"axG",@progbits,_ZN7rocprim17ROCPRIM_400000_NS6detail44device_merge_sort_compile_time_verifier_archINS1_11comp_targetILNS1_3genE9ELNS1_11target_archE1100ELNS1_3gpuE3ELNS1_3repE0EEES8_NS1_28merge_sort_block_sort_configILj256ELj4ELNS0_20block_sort_algorithmE0EEENS0_14default_configENS1_37merge_sort_block_sort_config_selectorI6__halfNS0_10empty_typeEEENS1_38merge_sort_block_merge_config_selectorISE_SF_EEEEvv,comdat
.Lfunc_end2103:
	.size	_ZN7rocprim17ROCPRIM_400000_NS6detail44device_merge_sort_compile_time_verifier_archINS1_11comp_targetILNS1_3genE9ELNS1_11target_archE1100ELNS1_3gpuE3ELNS1_3repE0EEES8_NS1_28merge_sort_block_sort_configILj256ELj4ELNS0_20block_sort_algorithmE0EEENS0_14default_configENS1_37merge_sort_block_sort_config_selectorI6__halfNS0_10empty_typeEEENS1_38merge_sort_block_merge_config_selectorISE_SF_EEEEvv, .Lfunc_end2103-_ZN7rocprim17ROCPRIM_400000_NS6detail44device_merge_sort_compile_time_verifier_archINS1_11comp_targetILNS1_3genE9ELNS1_11target_archE1100ELNS1_3gpuE3ELNS1_3repE0EEES8_NS1_28merge_sort_block_sort_configILj256ELj4ELNS0_20block_sort_algorithmE0EEENS0_14default_configENS1_37merge_sort_block_sort_config_selectorI6__halfNS0_10empty_typeEEENS1_38merge_sort_block_merge_config_selectorISE_SF_EEEEvv
                                        ; -- End function
	.set _ZN7rocprim17ROCPRIM_400000_NS6detail44device_merge_sort_compile_time_verifier_archINS1_11comp_targetILNS1_3genE9ELNS1_11target_archE1100ELNS1_3gpuE3ELNS1_3repE0EEES8_NS1_28merge_sort_block_sort_configILj256ELj4ELNS0_20block_sort_algorithmE0EEENS0_14default_configENS1_37merge_sort_block_sort_config_selectorI6__halfNS0_10empty_typeEEENS1_38merge_sort_block_merge_config_selectorISE_SF_EEEEvv.num_vgpr, 0
	.set _ZN7rocprim17ROCPRIM_400000_NS6detail44device_merge_sort_compile_time_verifier_archINS1_11comp_targetILNS1_3genE9ELNS1_11target_archE1100ELNS1_3gpuE3ELNS1_3repE0EEES8_NS1_28merge_sort_block_sort_configILj256ELj4ELNS0_20block_sort_algorithmE0EEENS0_14default_configENS1_37merge_sort_block_sort_config_selectorI6__halfNS0_10empty_typeEEENS1_38merge_sort_block_merge_config_selectorISE_SF_EEEEvv.num_agpr, 0
	.set _ZN7rocprim17ROCPRIM_400000_NS6detail44device_merge_sort_compile_time_verifier_archINS1_11comp_targetILNS1_3genE9ELNS1_11target_archE1100ELNS1_3gpuE3ELNS1_3repE0EEES8_NS1_28merge_sort_block_sort_configILj256ELj4ELNS0_20block_sort_algorithmE0EEENS0_14default_configENS1_37merge_sort_block_sort_config_selectorI6__halfNS0_10empty_typeEEENS1_38merge_sort_block_merge_config_selectorISE_SF_EEEEvv.numbered_sgpr, 0
	.set _ZN7rocprim17ROCPRIM_400000_NS6detail44device_merge_sort_compile_time_verifier_archINS1_11comp_targetILNS1_3genE9ELNS1_11target_archE1100ELNS1_3gpuE3ELNS1_3repE0EEES8_NS1_28merge_sort_block_sort_configILj256ELj4ELNS0_20block_sort_algorithmE0EEENS0_14default_configENS1_37merge_sort_block_sort_config_selectorI6__halfNS0_10empty_typeEEENS1_38merge_sort_block_merge_config_selectorISE_SF_EEEEvv.num_named_barrier, 0
	.set _ZN7rocprim17ROCPRIM_400000_NS6detail44device_merge_sort_compile_time_verifier_archINS1_11comp_targetILNS1_3genE9ELNS1_11target_archE1100ELNS1_3gpuE3ELNS1_3repE0EEES8_NS1_28merge_sort_block_sort_configILj256ELj4ELNS0_20block_sort_algorithmE0EEENS0_14default_configENS1_37merge_sort_block_sort_config_selectorI6__halfNS0_10empty_typeEEENS1_38merge_sort_block_merge_config_selectorISE_SF_EEEEvv.private_seg_size, 0
	.set _ZN7rocprim17ROCPRIM_400000_NS6detail44device_merge_sort_compile_time_verifier_archINS1_11comp_targetILNS1_3genE9ELNS1_11target_archE1100ELNS1_3gpuE3ELNS1_3repE0EEES8_NS1_28merge_sort_block_sort_configILj256ELj4ELNS0_20block_sort_algorithmE0EEENS0_14default_configENS1_37merge_sort_block_sort_config_selectorI6__halfNS0_10empty_typeEEENS1_38merge_sort_block_merge_config_selectorISE_SF_EEEEvv.uses_vcc, 0
	.set _ZN7rocprim17ROCPRIM_400000_NS6detail44device_merge_sort_compile_time_verifier_archINS1_11comp_targetILNS1_3genE9ELNS1_11target_archE1100ELNS1_3gpuE3ELNS1_3repE0EEES8_NS1_28merge_sort_block_sort_configILj256ELj4ELNS0_20block_sort_algorithmE0EEENS0_14default_configENS1_37merge_sort_block_sort_config_selectorI6__halfNS0_10empty_typeEEENS1_38merge_sort_block_merge_config_selectorISE_SF_EEEEvv.uses_flat_scratch, 0
	.set _ZN7rocprim17ROCPRIM_400000_NS6detail44device_merge_sort_compile_time_verifier_archINS1_11comp_targetILNS1_3genE9ELNS1_11target_archE1100ELNS1_3gpuE3ELNS1_3repE0EEES8_NS1_28merge_sort_block_sort_configILj256ELj4ELNS0_20block_sort_algorithmE0EEENS0_14default_configENS1_37merge_sort_block_sort_config_selectorI6__halfNS0_10empty_typeEEENS1_38merge_sort_block_merge_config_selectorISE_SF_EEEEvv.has_dyn_sized_stack, 0
	.set _ZN7rocprim17ROCPRIM_400000_NS6detail44device_merge_sort_compile_time_verifier_archINS1_11comp_targetILNS1_3genE9ELNS1_11target_archE1100ELNS1_3gpuE3ELNS1_3repE0EEES8_NS1_28merge_sort_block_sort_configILj256ELj4ELNS0_20block_sort_algorithmE0EEENS0_14default_configENS1_37merge_sort_block_sort_config_selectorI6__halfNS0_10empty_typeEEENS1_38merge_sort_block_merge_config_selectorISE_SF_EEEEvv.has_recursion, 0
	.set _ZN7rocprim17ROCPRIM_400000_NS6detail44device_merge_sort_compile_time_verifier_archINS1_11comp_targetILNS1_3genE9ELNS1_11target_archE1100ELNS1_3gpuE3ELNS1_3repE0EEES8_NS1_28merge_sort_block_sort_configILj256ELj4ELNS0_20block_sort_algorithmE0EEENS0_14default_configENS1_37merge_sort_block_sort_config_selectorI6__halfNS0_10empty_typeEEENS1_38merge_sort_block_merge_config_selectorISE_SF_EEEEvv.has_indirect_call, 0
	.section	.AMDGPU.csdata,"",@progbits
; Kernel info:
; codeLenInByte = 4
; TotalNumSgprs: 0
; NumVgprs: 0
; ScratchSize: 0
; MemoryBound: 0
; FloatMode: 240
; IeeeMode: 1
; LDSByteSize: 0 bytes/workgroup (compile time only)
; SGPRBlocks: 0
; VGPRBlocks: 0
; NumSGPRsForWavesPerEU: 1
; NumVGPRsForWavesPerEU: 1
; NamedBarCnt: 0
; Occupancy: 16
; WaveLimiterHint : 0
; COMPUTE_PGM_RSRC2:SCRATCH_EN: 0
; COMPUTE_PGM_RSRC2:USER_SGPR: 0
; COMPUTE_PGM_RSRC2:TRAP_HANDLER: 0
; COMPUTE_PGM_RSRC2:TGID_X_EN: 1
; COMPUTE_PGM_RSRC2:TGID_Y_EN: 0
; COMPUTE_PGM_RSRC2:TGID_Z_EN: 0
; COMPUTE_PGM_RSRC2:TIDIG_COMP_CNT: 0
	.section	.text._ZN7rocprim17ROCPRIM_400000_NS6detail44device_merge_sort_compile_time_verifier_archINS1_11comp_targetILNS1_3genE8ELNS1_11target_archE1030ELNS1_3gpuE2ELNS1_3repE0EEES8_NS1_28merge_sort_block_sort_configILj256ELj4ELNS0_20block_sort_algorithmE0EEENS0_14default_configENS1_37merge_sort_block_sort_config_selectorI6__halfNS0_10empty_typeEEENS1_38merge_sort_block_merge_config_selectorISE_SF_EEEEvv,"axG",@progbits,_ZN7rocprim17ROCPRIM_400000_NS6detail44device_merge_sort_compile_time_verifier_archINS1_11comp_targetILNS1_3genE8ELNS1_11target_archE1030ELNS1_3gpuE2ELNS1_3repE0EEES8_NS1_28merge_sort_block_sort_configILj256ELj4ELNS0_20block_sort_algorithmE0EEENS0_14default_configENS1_37merge_sort_block_sort_config_selectorI6__halfNS0_10empty_typeEEENS1_38merge_sort_block_merge_config_selectorISE_SF_EEEEvv,comdat
	.protected	_ZN7rocprim17ROCPRIM_400000_NS6detail44device_merge_sort_compile_time_verifier_archINS1_11comp_targetILNS1_3genE8ELNS1_11target_archE1030ELNS1_3gpuE2ELNS1_3repE0EEES8_NS1_28merge_sort_block_sort_configILj256ELj4ELNS0_20block_sort_algorithmE0EEENS0_14default_configENS1_37merge_sort_block_sort_config_selectorI6__halfNS0_10empty_typeEEENS1_38merge_sort_block_merge_config_selectorISE_SF_EEEEvv ; -- Begin function _ZN7rocprim17ROCPRIM_400000_NS6detail44device_merge_sort_compile_time_verifier_archINS1_11comp_targetILNS1_3genE8ELNS1_11target_archE1030ELNS1_3gpuE2ELNS1_3repE0EEES8_NS1_28merge_sort_block_sort_configILj256ELj4ELNS0_20block_sort_algorithmE0EEENS0_14default_configENS1_37merge_sort_block_sort_config_selectorI6__halfNS0_10empty_typeEEENS1_38merge_sort_block_merge_config_selectorISE_SF_EEEEvv
	.globl	_ZN7rocprim17ROCPRIM_400000_NS6detail44device_merge_sort_compile_time_verifier_archINS1_11comp_targetILNS1_3genE8ELNS1_11target_archE1030ELNS1_3gpuE2ELNS1_3repE0EEES8_NS1_28merge_sort_block_sort_configILj256ELj4ELNS0_20block_sort_algorithmE0EEENS0_14default_configENS1_37merge_sort_block_sort_config_selectorI6__halfNS0_10empty_typeEEENS1_38merge_sort_block_merge_config_selectorISE_SF_EEEEvv
	.p2align	8
	.type	_ZN7rocprim17ROCPRIM_400000_NS6detail44device_merge_sort_compile_time_verifier_archINS1_11comp_targetILNS1_3genE8ELNS1_11target_archE1030ELNS1_3gpuE2ELNS1_3repE0EEES8_NS1_28merge_sort_block_sort_configILj256ELj4ELNS0_20block_sort_algorithmE0EEENS0_14default_configENS1_37merge_sort_block_sort_config_selectorI6__halfNS0_10empty_typeEEENS1_38merge_sort_block_merge_config_selectorISE_SF_EEEEvv,@function
_ZN7rocprim17ROCPRIM_400000_NS6detail44device_merge_sort_compile_time_verifier_archINS1_11comp_targetILNS1_3genE8ELNS1_11target_archE1030ELNS1_3gpuE2ELNS1_3repE0EEES8_NS1_28merge_sort_block_sort_configILj256ELj4ELNS0_20block_sort_algorithmE0EEENS0_14default_configENS1_37merge_sort_block_sort_config_selectorI6__halfNS0_10empty_typeEEENS1_38merge_sort_block_merge_config_selectorISE_SF_EEEEvv: ; @_ZN7rocprim17ROCPRIM_400000_NS6detail44device_merge_sort_compile_time_verifier_archINS1_11comp_targetILNS1_3genE8ELNS1_11target_archE1030ELNS1_3gpuE2ELNS1_3repE0EEES8_NS1_28merge_sort_block_sort_configILj256ELj4ELNS0_20block_sort_algorithmE0EEENS0_14default_configENS1_37merge_sort_block_sort_config_selectorI6__halfNS0_10empty_typeEEENS1_38merge_sort_block_merge_config_selectorISE_SF_EEEEvv
; %bb.0:
	s_endpgm
	.section	.rodata,"a",@progbits
	.p2align	6, 0x0
	.amdhsa_kernel _ZN7rocprim17ROCPRIM_400000_NS6detail44device_merge_sort_compile_time_verifier_archINS1_11comp_targetILNS1_3genE8ELNS1_11target_archE1030ELNS1_3gpuE2ELNS1_3repE0EEES8_NS1_28merge_sort_block_sort_configILj256ELj4ELNS0_20block_sort_algorithmE0EEENS0_14default_configENS1_37merge_sort_block_sort_config_selectorI6__halfNS0_10empty_typeEEENS1_38merge_sort_block_merge_config_selectorISE_SF_EEEEvv
		.amdhsa_group_segment_fixed_size 0
		.amdhsa_private_segment_fixed_size 0
		.amdhsa_kernarg_size 0
		.amdhsa_user_sgpr_count 0
		.amdhsa_user_sgpr_dispatch_ptr 0
		.amdhsa_user_sgpr_queue_ptr 0
		.amdhsa_user_sgpr_kernarg_segment_ptr 0
		.amdhsa_user_sgpr_dispatch_id 0
		.amdhsa_user_sgpr_kernarg_preload_length 0
		.amdhsa_user_sgpr_kernarg_preload_offset 0
		.amdhsa_user_sgpr_private_segment_size 0
		.amdhsa_wavefront_size32 1
		.amdhsa_uses_dynamic_stack 0
		.amdhsa_enable_private_segment 0
		.amdhsa_system_sgpr_workgroup_id_x 1
		.amdhsa_system_sgpr_workgroup_id_y 0
		.amdhsa_system_sgpr_workgroup_id_z 0
		.amdhsa_system_sgpr_workgroup_info 0
		.amdhsa_system_vgpr_workitem_id 0
		.amdhsa_next_free_vgpr 1
		.amdhsa_next_free_sgpr 1
		.amdhsa_named_barrier_count 0
		.amdhsa_reserve_vcc 0
		.amdhsa_float_round_mode_32 0
		.amdhsa_float_round_mode_16_64 0
		.amdhsa_float_denorm_mode_32 3
		.amdhsa_float_denorm_mode_16_64 3
		.amdhsa_fp16_overflow 0
		.amdhsa_memory_ordered 1
		.amdhsa_forward_progress 1
		.amdhsa_inst_pref_size 1
		.amdhsa_round_robin_scheduling 0
		.amdhsa_exception_fp_ieee_invalid_op 0
		.amdhsa_exception_fp_denorm_src 0
		.amdhsa_exception_fp_ieee_div_zero 0
		.amdhsa_exception_fp_ieee_overflow 0
		.amdhsa_exception_fp_ieee_underflow 0
		.amdhsa_exception_fp_ieee_inexact 0
		.amdhsa_exception_int_div_zero 0
	.end_amdhsa_kernel
	.section	.text._ZN7rocprim17ROCPRIM_400000_NS6detail44device_merge_sort_compile_time_verifier_archINS1_11comp_targetILNS1_3genE8ELNS1_11target_archE1030ELNS1_3gpuE2ELNS1_3repE0EEES8_NS1_28merge_sort_block_sort_configILj256ELj4ELNS0_20block_sort_algorithmE0EEENS0_14default_configENS1_37merge_sort_block_sort_config_selectorI6__halfNS0_10empty_typeEEENS1_38merge_sort_block_merge_config_selectorISE_SF_EEEEvv,"axG",@progbits,_ZN7rocprim17ROCPRIM_400000_NS6detail44device_merge_sort_compile_time_verifier_archINS1_11comp_targetILNS1_3genE8ELNS1_11target_archE1030ELNS1_3gpuE2ELNS1_3repE0EEES8_NS1_28merge_sort_block_sort_configILj256ELj4ELNS0_20block_sort_algorithmE0EEENS0_14default_configENS1_37merge_sort_block_sort_config_selectorI6__halfNS0_10empty_typeEEENS1_38merge_sort_block_merge_config_selectorISE_SF_EEEEvv,comdat
.Lfunc_end2104:
	.size	_ZN7rocprim17ROCPRIM_400000_NS6detail44device_merge_sort_compile_time_verifier_archINS1_11comp_targetILNS1_3genE8ELNS1_11target_archE1030ELNS1_3gpuE2ELNS1_3repE0EEES8_NS1_28merge_sort_block_sort_configILj256ELj4ELNS0_20block_sort_algorithmE0EEENS0_14default_configENS1_37merge_sort_block_sort_config_selectorI6__halfNS0_10empty_typeEEENS1_38merge_sort_block_merge_config_selectorISE_SF_EEEEvv, .Lfunc_end2104-_ZN7rocprim17ROCPRIM_400000_NS6detail44device_merge_sort_compile_time_verifier_archINS1_11comp_targetILNS1_3genE8ELNS1_11target_archE1030ELNS1_3gpuE2ELNS1_3repE0EEES8_NS1_28merge_sort_block_sort_configILj256ELj4ELNS0_20block_sort_algorithmE0EEENS0_14default_configENS1_37merge_sort_block_sort_config_selectorI6__halfNS0_10empty_typeEEENS1_38merge_sort_block_merge_config_selectorISE_SF_EEEEvv
                                        ; -- End function
	.set _ZN7rocprim17ROCPRIM_400000_NS6detail44device_merge_sort_compile_time_verifier_archINS1_11comp_targetILNS1_3genE8ELNS1_11target_archE1030ELNS1_3gpuE2ELNS1_3repE0EEES8_NS1_28merge_sort_block_sort_configILj256ELj4ELNS0_20block_sort_algorithmE0EEENS0_14default_configENS1_37merge_sort_block_sort_config_selectorI6__halfNS0_10empty_typeEEENS1_38merge_sort_block_merge_config_selectorISE_SF_EEEEvv.num_vgpr, 0
	.set _ZN7rocprim17ROCPRIM_400000_NS6detail44device_merge_sort_compile_time_verifier_archINS1_11comp_targetILNS1_3genE8ELNS1_11target_archE1030ELNS1_3gpuE2ELNS1_3repE0EEES8_NS1_28merge_sort_block_sort_configILj256ELj4ELNS0_20block_sort_algorithmE0EEENS0_14default_configENS1_37merge_sort_block_sort_config_selectorI6__halfNS0_10empty_typeEEENS1_38merge_sort_block_merge_config_selectorISE_SF_EEEEvv.num_agpr, 0
	.set _ZN7rocprim17ROCPRIM_400000_NS6detail44device_merge_sort_compile_time_verifier_archINS1_11comp_targetILNS1_3genE8ELNS1_11target_archE1030ELNS1_3gpuE2ELNS1_3repE0EEES8_NS1_28merge_sort_block_sort_configILj256ELj4ELNS0_20block_sort_algorithmE0EEENS0_14default_configENS1_37merge_sort_block_sort_config_selectorI6__halfNS0_10empty_typeEEENS1_38merge_sort_block_merge_config_selectorISE_SF_EEEEvv.numbered_sgpr, 0
	.set _ZN7rocprim17ROCPRIM_400000_NS6detail44device_merge_sort_compile_time_verifier_archINS1_11comp_targetILNS1_3genE8ELNS1_11target_archE1030ELNS1_3gpuE2ELNS1_3repE0EEES8_NS1_28merge_sort_block_sort_configILj256ELj4ELNS0_20block_sort_algorithmE0EEENS0_14default_configENS1_37merge_sort_block_sort_config_selectorI6__halfNS0_10empty_typeEEENS1_38merge_sort_block_merge_config_selectorISE_SF_EEEEvv.num_named_barrier, 0
	.set _ZN7rocprim17ROCPRIM_400000_NS6detail44device_merge_sort_compile_time_verifier_archINS1_11comp_targetILNS1_3genE8ELNS1_11target_archE1030ELNS1_3gpuE2ELNS1_3repE0EEES8_NS1_28merge_sort_block_sort_configILj256ELj4ELNS0_20block_sort_algorithmE0EEENS0_14default_configENS1_37merge_sort_block_sort_config_selectorI6__halfNS0_10empty_typeEEENS1_38merge_sort_block_merge_config_selectorISE_SF_EEEEvv.private_seg_size, 0
	.set _ZN7rocprim17ROCPRIM_400000_NS6detail44device_merge_sort_compile_time_verifier_archINS1_11comp_targetILNS1_3genE8ELNS1_11target_archE1030ELNS1_3gpuE2ELNS1_3repE0EEES8_NS1_28merge_sort_block_sort_configILj256ELj4ELNS0_20block_sort_algorithmE0EEENS0_14default_configENS1_37merge_sort_block_sort_config_selectorI6__halfNS0_10empty_typeEEENS1_38merge_sort_block_merge_config_selectorISE_SF_EEEEvv.uses_vcc, 0
	.set _ZN7rocprim17ROCPRIM_400000_NS6detail44device_merge_sort_compile_time_verifier_archINS1_11comp_targetILNS1_3genE8ELNS1_11target_archE1030ELNS1_3gpuE2ELNS1_3repE0EEES8_NS1_28merge_sort_block_sort_configILj256ELj4ELNS0_20block_sort_algorithmE0EEENS0_14default_configENS1_37merge_sort_block_sort_config_selectorI6__halfNS0_10empty_typeEEENS1_38merge_sort_block_merge_config_selectorISE_SF_EEEEvv.uses_flat_scratch, 0
	.set _ZN7rocprim17ROCPRIM_400000_NS6detail44device_merge_sort_compile_time_verifier_archINS1_11comp_targetILNS1_3genE8ELNS1_11target_archE1030ELNS1_3gpuE2ELNS1_3repE0EEES8_NS1_28merge_sort_block_sort_configILj256ELj4ELNS0_20block_sort_algorithmE0EEENS0_14default_configENS1_37merge_sort_block_sort_config_selectorI6__halfNS0_10empty_typeEEENS1_38merge_sort_block_merge_config_selectorISE_SF_EEEEvv.has_dyn_sized_stack, 0
	.set _ZN7rocprim17ROCPRIM_400000_NS6detail44device_merge_sort_compile_time_verifier_archINS1_11comp_targetILNS1_3genE8ELNS1_11target_archE1030ELNS1_3gpuE2ELNS1_3repE0EEES8_NS1_28merge_sort_block_sort_configILj256ELj4ELNS0_20block_sort_algorithmE0EEENS0_14default_configENS1_37merge_sort_block_sort_config_selectorI6__halfNS0_10empty_typeEEENS1_38merge_sort_block_merge_config_selectorISE_SF_EEEEvv.has_recursion, 0
	.set _ZN7rocprim17ROCPRIM_400000_NS6detail44device_merge_sort_compile_time_verifier_archINS1_11comp_targetILNS1_3genE8ELNS1_11target_archE1030ELNS1_3gpuE2ELNS1_3repE0EEES8_NS1_28merge_sort_block_sort_configILj256ELj4ELNS0_20block_sort_algorithmE0EEENS0_14default_configENS1_37merge_sort_block_sort_config_selectorI6__halfNS0_10empty_typeEEENS1_38merge_sort_block_merge_config_selectorISE_SF_EEEEvv.has_indirect_call, 0
	.section	.AMDGPU.csdata,"",@progbits
; Kernel info:
; codeLenInByte = 4
; TotalNumSgprs: 0
; NumVgprs: 0
; ScratchSize: 0
; MemoryBound: 0
; FloatMode: 240
; IeeeMode: 1
; LDSByteSize: 0 bytes/workgroup (compile time only)
; SGPRBlocks: 0
; VGPRBlocks: 0
; NumSGPRsForWavesPerEU: 1
; NumVGPRsForWavesPerEU: 1
; NamedBarCnt: 0
; Occupancy: 16
; WaveLimiterHint : 0
; COMPUTE_PGM_RSRC2:SCRATCH_EN: 0
; COMPUTE_PGM_RSRC2:USER_SGPR: 0
; COMPUTE_PGM_RSRC2:TRAP_HANDLER: 0
; COMPUTE_PGM_RSRC2:TGID_X_EN: 1
; COMPUTE_PGM_RSRC2:TGID_Y_EN: 0
; COMPUTE_PGM_RSRC2:TGID_Z_EN: 0
; COMPUTE_PGM_RSRC2:TIDIG_COMP_CNT: 0
	.section	.text._ZN7rocprim17ROCPRIM_400000_NS6detail17trampoline_kernelINS0_14default_configENS1_38merge_sort_block_merge_config_selectorI6__halfNS0_10empty_typeEEEZZNS1_27merge_sort_block_merge_implIS3_PS5_PS6_jNS1_19radix_merge_compareILb1ELb0ES5_NS0_19identity_decomposerEEEEE10hipError_tT0_T1_T2_jT3_P12ihipStream_tbPNSt15iterator_traitsISF_E10value_typeEPNSL_ISG_E10value_typeEPSH_NS1_7vsmem_tEENKUlT_SF_SG_SH_E_clIS9_S9_SA_SA_EESE_SU_SF_SG_SH_EUlSU_E_NS1_11comp_targetILNS1_3genE0ELNS1_11target_archE4294967295ELNS1_3gpuE0ELNS1_3repE0EEENS1_48merge_mergepath_partition_config_static_selectorELNS0_4arch9wavefront6targetE0EEEvSG_,"axG",@progbits,_ZN7rocprim17ROCPRIM_400000_NS6detail17trampoline_kernelINS0_14default_configENS1_38merge_sort_block_merge_config_selectorI6__halfNS0_10empty_typeEEEZZNS1_27merge_sort_block_merge_implIS3_PS5_PS6_jNS1_19radix_merge_compareILb1ELb0ES5_NS0_19identity_decomposerEEEEE10hipError_tT0_T1_T2_jT3_P12ihipStream_tbPNSt15iterator_traitsISF_E10value_typeEPNSL_ISG_E10value_typeEPSH_NS1_7vsmem_tEENKUlT_SF_SG_SH_E_clIS9_S9_SA_SA_EESE_SU_SF_SG_SH_EUlSU_E_NS1_11comp_targetILNS1_3genE0ELNS1_11target_archE4294967295ELNS1_3gpuE0ELNS1_3repE0EEENS1_48merge_mergepath_partition_config_static_selectorELNS0_4arch9wavefront6targetE0EEEvSG_,comdat
	.protected	_ZN7rocprim17ROCPRIM_400000_NS6detail17trampoline_kernelINS0_14default_configENS1_38merge_sort_block_merge_config_selectorI6__halfNS0_10empty_typeEEEZZNS1_27merge_sort_block_merge_implIS3_PS5_PS6_jNS1_19radix_merge_compareILb1ELb0ES5_NS0_19identity_decomposerEEEEE10hipError_tT0_T1_T2_jT3_P12ihipStream_tbPNSt15iterator_traitsISF_E10value_typeEPNSL_ISG_E10value_typeEPSH_NS1_7vsmem_tEENKUlT_SF_SG_SH_E_clIS9_S9_SA_SA_EESE_SU_SF_SG_SH_EUlSU_E_NS1_11comp_targetILNS1_3genE0ELNS1_11target_archE4294967295ELNS1_3gpuE0ELNS1_3repE0EEENS1_48merge_mergepath_partition_config_static_selectorELNS0_4arch9wavefront6targetE0EEEvSG_ ; -- Begin function _ZN7rocprim17ROCPRIM_400000_NS6detail17trampoline_kernelINS0_14default_configENS1_38merge_sort_block_merge_config_selectorI6__halfNS0_10empty_typeEEEZZNS1_27merge_sort_block_merge_implIS3_PS5_PS6_jNS1_19radix_merge_compareILb1ELb0ES5_NS0_19identity_decomposerEEEEE10hipError_tT0_T1_T2_jT3_P12ihipStream_tbPNSt15iterator_traitsISF_E10value_typeEPNSL_ISG_E10value_typeEPSH_NS1_7vsmem_tEENKUlT_SF_SG_SH_E_clIS9_S9_SA_SA_EESE_SU_SF_SG_SH_EUlSU_E_NS1_11comp_targetILNS1_3genE0ELNS1_11target_archE4294967295ELNS1_3gpuE0ELNS1_3repE0EEENS1_48merge_mergepath_partition_config_static_selectorELNS0_4arch9wavefront6targetE0EEEvSG_
	.globl	_ZN7rocprim17ROCPRIM_400000_NS6detail17trampoline_kernelINS0_14default_configENS1_38merge_sort_block_merge_config_selectorI6__halfNS0_10empty_typeEEEZZNS1_27merge_sort_block_merge_implIS3_PS5_PS6_jNS1_19radix_merge_compareILb1ELb0ES5_NS0_19identity_decomposerEEEEE10hipError_tT0_T1_T2_jT3_P12ihipStream_tbPNSt15iterator_traitsISF_E10value_typeEPNSL_ISG_E10value_typeEPSH_NS1_7vsmem_tEENKUlT_SF_SG_SH_E_clIS9_S9_SA_SA_EESE_SU_SF_SG_SH_EUlSU_E_NS1_11comp_targetILNS1_3genE0ELNS1_11target_archE4294967295ELNS1_3gpuE0ELNS1_3repE0EEENS1_48merge_mergepath_partition_config_static_selectorELNS0_4arch9wavefront6targetE0EEEvSG_
	.p2align	8
	.type	_ZN7rocprim17ROCPRIM_400000_NS6detail17trampoline_kernelINS0_14default_configENS1_38merge_sort_block_merge_config_selectorI6__halfNS0_10empty_typeEEEZZNS1_27merge_sort_block_merge_implIS3_PS5_PS6_jNS1_19radix_merge_compareILb1ELb0ES5_NS0_19identity_decomposerEEEEE10hipError_tT0_T1_T2_jT3_P12ihipStream_tbPNSt15iterator_traitsISF_E10value_typeEPNSL_ISG_E10value_typeEPSH_NS1_7vsmem_tEENKUlT_SF_SG_SH_E_clIS9_S9_SA_SA_EESE_SU_SF_SG_SH_EUlSU_E_NS1_11comp_targetILNS1_3genE0ELNS1_11target_archE4294967295ELNS1_3gpuE0ELNS1_3repE0EEENS1_48merge_mergepath_partition_config_static_selectorELNS0_4arch9wavefront6targetE0EEEvSG_,@function
_ZN7rocprim17ROCPRIM_400000_NS6detail17trampoline_kernelINS0_14default_configENS1_38merge_sort_block_merge_config_selectorI6__halfNS0_10empty_typeEEEZZNS1_27merge_sort_block_merge_implIS3_PS5_PS6_jNS1_19radix_merge_compareILb1ELb0ES5_NS0_19identity_decomposerEEEEE10hipError_tT0_T1_T2_jT3_P12ihipStream_tbPNSt15iterator_traitsISF_E10value_typeEPNSL_ISG_E10value_typeEPSH_NS1_7vsmem_tEENKUlT_SF_SG_SH_E_clIS9_S9_SA_SA_EESE_SU_SF_SG_SH_EUlSU_E_NS1_11comp_targetILNS1_3genE0ELNS1_11target_archE4294967295ELNS1_3gpuE0ELNS1_3repE0EEENS1_48merge_mergepath_partition_config_static_selectorELNS0_4arch9wavefront6targetE0EEEvSG_: ; @_ZN7rocprim17ROCPRIM_400000_NS6detail17trampoline_kernelINS0_14default_configENS1_38merge_sort_block_merge_config_selectorI6__halfNS0_10empty_typeEEEZZNS1_27merge_sort_block_merge_implIS3_PS5_PS6_jNS1_19radix_merge_compareILb1ELb0ES5_NS0_19identity_decomposerEEEEE10hipError_tT0_T1_T2_jT3_P12ihipStream_tbPNSt15iterator_traitsISF_E10value_typeEPNSL_ISG_E10value_typeEPSH_NS1_7vsmem_tEENKUlT_SF_SG_SH_E_clIS9_S9_SA_SA_EESE_SU_SF_SG_SH_EUlSU_E_NS1_11comp_targetILNS1_3genE0ELNS1_11target_archE4294967295ELNS1_3gpuE0ELNS1_3repE0EEENS1_48merge_mergepath_partition_config_static_selectorELNS0_4arch9wavefront6targetE0EEEvSG_
; %bb.0:
	s_load_b32 s2, s[0:1], 0x0
	s_bfe_u32 s3, ttmp6, 0x4000c
	s_and_b32 s4, ttmp6, 15
	s_add_co_i32 s3, s3, 1
	s_getreg_b32 s5, hwreg(HW_REG_IB_STS2, 6, 4)
	s_mul_i32 s3, ttmp9, s3
	s_delay_alu instid0(SALU_CYCLE_1) | instskip(SKIP_2) | instid1(SALU_CYCLE_1)
	s_add_co_i32 s4, s4, s3
	s_cmp_eq_u32 s5, 0
	s_cselect_b32 s3, ttmp9, s4
	v_lshl_or_b32 v8, s3, 7, v0
	s_wait_kmcnt 0x0
	s_delay_alu instid0(VALU_DEP_1)
	v_cmp_gt_u32_e32 vcc_lo, s2, v8
	s_and_saveexec_b32 s2, vcc_lo
	s_cbranch_execz .LBB2105_6
; %bb.1:
	s_load_b64 s[2:3], s[0:1], 0x4
	s_wait_kmcnt 0x0
	s_lshr_b32 s4, s2, 9
	s_delay_alu instid0(SALU_CYCLE_1) | instskip(NEXT) | instid1(SALU_CYCLE_1)
	s_and_b32 s4, s4, 0x7ffffe
	s_sub_co_i32 s5, 0, s4
	s_add_co_i32 s4, s4, -1
	s_delay_alu instid0(SALU_CYCLE_1) | instskip(SKIP_2) | instid1(VALU_DEP_1)
	v_and_b32_e32 v1, s4, v8
	v_and_b32_e32 v0, s5, v8
	s_mov_b32 s4, exec_lo
	v_dual_lshlrev_b32 v1, 10, v1 :: v_dual_lshlrev_b32 v0, 10, v0
	s_delay_alu instid0(VALU_DEP_1) | instskip(SKIP_1) | instid1(VALU_DEP_2)
	v_add_min_u32_e64 v2, v0, s2, s3
	v_min_u32_e32 v0, s3, v0
	v_add_min_u32_e64 v3, v2, s2, s3
	s_load_b64 s[2:3], s[0:1], 0x20
	s_delay_alu instid0(VALU_DEP_1) | instskip(NEXT) | instid1(VALU_DEP_1)
	v_dual_sub_nc_u32 v4, v3, v0 :: v_dual_sub_nc_u32 v3, v3, v2
	v_min_u32_e32 v10, v4, v1
	v_sub_nc_u32_e32 v1, v2, v0
	s_delay_alu instid0(VALU_DEP_2) | instskip(NEXT) | instid1(VALU_DEP_2)
	v_sub_nc_u32_e64 v9, v10, v3 clamp
	v_min_u32_e32 v11, v10, v1
	s_delay_alu instid0(VALU_DEP_1)
	v_cmpx_lt_u32_e64 v9, v11
	s_cbranch_execz .LBB2105_5
; %bb.2:
	s_wait_xcnt 0x0
	s_load_b64 s[0:1], s[0:1], 0x10
	v_mov_b32_e32 v3, 0
	s_delay_alu instid0(VALU_DEP_1) | instskip(SKIP_1) | instid1(VALU_DEP_1)
	v_mov_b32_e32 v1, v3
	s_wait_kmcnt 0x0
	v_lshl_add_u64 v[4:5], v[0:1], 1, s[0:1]
	v_lshl_add_u64 v[6:7], v[2:3], 1, s[0:1]
	s_mov_b32 s0, 0
.LBB2105_3:                             ; =>This Inner Loop Header: Depth=1
	v_add_nc_u32_e32 v1, v11, v9
	s_delay_alu instid0(VALU_DEP_1) | instskip(SKIP_1) | instid1(VALU_DEP_2)
	v_dual_mov_b32 v13, v3 :: v_dual_lshrrev_b32 v16, 1, v1
	v_and_b32_e32 v2, -2, v1
	v_xad_u32 v12, v16, -1, v10
	s_delay_alu instid0(VALU_DEP_2) | instskip(NEXT) | instid1(VALU_DEP_2)
	v_add_nc_u64_e32 v[14:15], v[4:5], v[2:3]
	v_lshl_add_u64 v[12:13], v[12:13], 1, v[6:7]
	s_clause 0x1
	global_load_u16 v1, v[14:15], off
	global_load_u16 v2, v[12:13], off
	s_wait_loadcnt 0x1
	v_add_f16_e32 v1, 0, v1
	s_wait_loadcnt 0x0
	v_add_f16_e32 v2, 0, v2
	s_delay_alu instid0(VALU_DEP_2) | instskip(SKIP_1) | instid1(VALU_DEP_3)
	v_cmp_lt_i16_e32 vcc_lo, -1, v1
	v_cndmask_b32_e64 v12, -1, 0xffff8000, vcc_lo
	v_cmp_lt_i16_e32 vcc_lo, -1, v2
	s_delay_alu instid0(VALU_DEP_2) | instskip(SKIP_1) | instid1(VALU_DEP_1)
	v_xor_b32_e32 v1, v12, v1
	v_cndmask_b32_e64 v13, -1, 0xffff8000, vcc_lo
	v_dual_add_nc_u32 v12, 1, v16 :: v_dual_bitop2_b32 v2, v13, v2 bitop3:0x14
	s_delay_alu instid0(VALU_DEP_1) | instskip(NEXT) | instid1(VALU_DEP_2)
	v_cmp_gt_u16_e32 vcc_lo, v2, v1
	v_dual_cndmask_b32 v11, v11, v16, vcc_lo :: v_dual_cndmask_b32 v9, v12, v9, vcc_lo
	s_delay_alu instid0(VALU_DEP_1) | instskip(SKIP_1) | instid1(SALU_CYCLE_1)
	v_cmp_ge_u32_e32 vcc_lo, v9, v11
	s_or_b32 s0, vcc_lo, s0
	s_and_not1_b32 exec_lo, exec_lo, s0
	s_cbranch_execnz .LBB2105_3
; %bb.4:
	s_or_b32 exec_lo, exec_lo, s0
.LBB2105_5:
	s_delay_alu instid0(SALU_CYCLE_1)
	s_or_b32 exec_lo, exec_lo, s4
	v_add_nc_u32_e32 v0, v9, v0
	s_wait_kmcnt 0x0
	global_store_b32 v8, v0, s[2:3] scale_offset
.LBB2105_6:
	s_endpgm
	.section	.rodata,"a",@progbits
	.p2align	6, 0x0
	.amdhsa_kernel _ZN7rocprim17ROCPRIM_400000_NS6detail17trampoline_kernelINS0_14default_configENS1_38merge_sort_block_merge_config_selectorI6__halfNS0_10empty_typeEEEZZNS1_27merge_sort_block_merge_implIS3_PS5_PS6_jNS1_19radix_merge_compareILb1ELb0ES5_NS0_19identity_decomposerEEEEE10hipError_tT0_T1_T2_jT3_P12ihipStream_tbPNSt15iterator_traitsISF_E10value_typeEPNSL_ISG_E10value_typeEPSH_NS1_7vsmem_tEENKUlT_SF_SG_SH_E_clIS9_S9_SA_SA_EESE_SU_SF_SG_SH_EUlSU_E_NS1_11comp_targetILNS1_3genE0ELNS1_11target_archE4294967295ELNS1_3gpuE0ELNS1_3repE0EEENS1_48merge_mergepath_partition_config_static_selectorELNS0_4arch9wavefront6targetE0EEEvSG_
		.amdhsa_group_segment_fixed_size 0
		.amdhsa_private_segment_fixed_size 0
		.amdhsa_kernarg_size 40
		.amdhsa_user_sgpr_count 2
		.amdhsa_user_sgpr_dispatch_ptr 0
		.amdhsa_user_sgpr_queue_ptr 0
		.amdhsa_user_sgpr_kernarg_segment_ptr 1
		.amdhsa_user_sgpr_dispatch_id 0
		.amdhsa_user_sgpr_kernarg_preload_length 0
		.amdhsa_user_sgpr_kernarg_preload_offset 0
		.amdhsa_user_sgpr_private_segment_size 0
		.amdhsa_wavefront_size32 1
		.amdhsa_uses_dynamic_stack 0
		.amdhsa_enable_private_segment 0
		.amdhsa_system_sgpr_workgroup_id_x 1
		.amdhsa_system_sgpr_workgroup_id_y 0
		.amdhsa_system_sgpr_workgroup_id_z 0
		.amdhsa_system_sgpr_workgroup_info 0
		.amdhsa_system_vgpr_workitem_id 0
		.amdhsa_next_free_vgpr 17
		.amdhsa_next_free_sgpr 6
		.amdhsa_named_barrier_count 0
		.amdhsa_reserve_vcc 1
		.amdhsa_float_round_mode_32 0
		.amdhsa_float_round_mode_16_64 0
		.amdhsa_float_denorm_mode_32 3
		.amdhsa_float_denorm_mode_16_64 3
		.amdhsa_fp16_overflow 0
		.amdhsa_memory_ordered 1
		.amdhsa_forward_progress 1
		.amdhsa_inst_pref_size 4
		.amdhsa_round_robin_scheduling 0
		.amdhsa_exception_fp_ieee_invalid_op 0
		.amdhsa_exception_fp_denorm_src 0
		.amdhsa_exception_fp_ieee_div_zero 0
		.amdhsa_exception_fp_ieee_overflow 0
		.amdhsa_exception_fp_ieee_underflow 0
		.amdhsa_exception_fp_ieee_inexact 0
		.amdhsa_exception_int_div_zero 0
	.end_amdhsa_kernel
	.section	.text._ZN7rocprim17ROCPRIM_400000_NS6detail17trampoline_kernelINS0_14default_configENS1_38merge_sort_block_merge_config_selectorI6__halfNS0_10empty_typeEEEZZNS1_27merge_sort_block_merge_implIS3_PS5_PS6_jNS1_19radix_merge_compareILb1ELb0ES5_NS0_19identity_decomposerEEEEE10hipError_tT0_T1_T2_jT3_P12ihipStream_tbPNSt15iterator_traitsISF_E10value_typeEPNSL_ISG_E10value_typeEPSH_NS1_7vsmem_tEENKUlT_SF_SG_SH_E_clIS9_S9_SA_SA_EESE_SU_SF_SG_SH_EUlSU_E_NS1_11comp_targetILNS1_3genE0ELNS1_11target_archE4294967295ELNS1_3gpuE0ELNS1_3repE0EEENS1_48merge_mergepath_partition_config_static_selectorELNS0_4arch9wavefront6targetE0EEEvSG_,"axG",@progbits,_ZN7rocprim17ROCPRIM_400000_NS6detail17trampoline_kernelINS0_14default_configENS1_38merge_sort_block_merge_config_selectorI6__halfNS0_10empty_typeEEEZZNS1_27merge_sort_block_merge_implIS3_PS5_PS6_jNS1_19radix_merge_compareILb1ELb0ES5_NS0_19identity_decomposerEEEEE10hipError_tT0_T1_T2_jT3_P12ihipStream_tbPNSt15iterator_traitsISF_E10value_typeEPNSL_ISG_E10value_typeEPSH_NS1_7vsmem_tEENKUlT_SF_SG_SH_E_clIS9_S9_SA_SA_EESE_SU_SF_SG_SH_EUlSU_E_NS1_11comp_targetILNS1_3genE0ELNS1_11target_archE4294967295ELNS1_3gpuE0ELNS1_3repE0EEENS1_48merge_mergepath_partition_config_static_selectorELNS0_4arch9wavefront6targetE0EEEvSG_,comdat
.Lfunc_end2105:
	.size	_ZN7rocprim17ROCPRIM_400000_NS6detail17trampoline_kernelINS0_14default_configENS1_38merge_sort_block_merge_config_selectorI6__halfNS0_10empty_typeEEEZZNS1_27merge_sort_block_merge_implIS3_PS5_PS6_jNS1_19radix_merge_compareILb1ELb0ES5_NS0_19identity_decomposerEEEEE10hipError_tT0_T1_T2_jT3_P12ihipStream_tbPNSt15iterator_traitsISF_E10value_typeEPNSL_ISG_E10value_typeEPSH_NS1_7vsmem_tEENKUlT_SF_SG_SH_E_clIS9_S9_SA_SA_EESE_SU_SF_SG_SH_EUlSU_E_NS1_11comp_targetILNS1_3genE0ELNS1_11target_archE4294967295ELNS1_3gpuE0ELNS1_3repE0EEENS1_48merge_mergepath_partition_config_static_selectorELNS0_4arch9wavefront6targetE0EEEvSG_, .Lfunc_end2105-_ZN7rocprim17ROCPRIM_400000_NS6detail17trampoline_kernelINS0_14default_configENS1_38merge_sort_block_merge_config_selectorI6__halfNS0_10empty_typeEEEZZNS1_27merge_sort_block_merge_implIS3_PS5_PS6_jNS1_19radix_merge_compareILb1ELb0ES5_NS0_19identity_decomposerEEEEE10hipError_tT0_T1_T2_jT3_P12ihipStream_tbPNSt15iterator_traitsISF_E10value_typeEPNSL_ISG_E10value_typeEPSH_NS1_7vsmem_tEENKUlT_SF_SG_SH_E_clIS9_S9_SA_SA_EESE_SU_SF_SG_SH_EUlSU_E_NS1_11comp_targetILNS1_3genE0ELNS1_11target_archE4294967295ELNS1_3gpuE0ELNS1_3repE0EEENS1_48merge_mergepath_partition_config_static_selectorELNS0_4arch9wavefront6targetE0EEEvSG_
                                        ; -- End function
	.set _ZN7rocprim17ROCPRIM_400000_NS6detail17trampoline_kernelINS0_14default_configENS1_38merge_sort_block_merge_config_selectorI6__halfNS0_10empty_typeEEEZZNS1_27merge_sort_block_merge_implIS3_PS5_PS6_jNS1_19radix_merge_compareILb1ELb0ES5_NS0_19identity_decomposerEEEEE10hipError_tT0_T1_T2_jT3_P12ihipStream_tbPNSt15iterator_traitsISF_E10value_typeEPNSL_ISG_E10value_typeEPSH_NS1_7vsmem_tEENKUlT_SF_SG_SH_E_clIS9_S9_SA_SA_EESE_SU_SF_SG_SH_EUlSU_E_NS1_11comp_targetILNS1_3genE0ELNS1_11target_archE4294967295ELNS1_3gpuE0ELNS1_3repE0EEENS1_48merge_mergepath_partition_config_static_selectorELNS0_4arch9wavefront6targetE0EEEvSG_.num_vgpr, 17
	.set _ZN7rocprim17ROCPRIM_400000_NS6detail17trampoline_kernelINS0_14default_configENS1_38merge_sort_block_merge_config_selectorI6__halfNS0_10empty_typeEEEZZNS1_27merge_sort_block_merge_implIS3_PS5_PS6_jNS1_19radix_merge_compareILb1ELb0ES5_NS0_19identity_decomposerEEEEE10hipError_tT0_T1_T2_jT3_P12ihipStream_tbPNSt15iterator_traitsISF_E10value_typeEPNSL_ISG_E10value_typeEPSH_NS1_7vsmem_tEENKUlT_SF_SG_SH_E_clIS9_S9_SA_SA_EESE_SU_SF_SG_SH_EUlSU_E_NS1_11comp_targetILNS1_3genE0ELNS1_11target_archE4294967295ELNS1_3gpuE0ELNS1_3repE0EEENS1_48merge_mergepath_partition_config_static_selectorELNS0_4arch9wavefront6targetE0EEEvSG_.num_agpr, 0
	.set _ZN7rocprim17ROCPRIM_400000_NS6detail17trampoline_kernelINS0_14default_configENS1_38merge_sort_block_merge_config_selectorI6__halfNS0_10empty_typeEEEZZNS1_27merge_sort_block_merge_implIS3_PS5_PS6_jNS1_19radix_merge_compareILb1ELb0ES5_NS0_19identity_decomposerEEEEE10hipError_tT0_T1_T2_jT3_P12ihipStream_tbPNSt15iterator_traitsISF_E10value_typeEPNSL_ISG_E10value_typeEPSH_NS1_7vsmem_tEENKUlT_SF_SG_SH_E_clIS9_S9_SA_SA_EESE_SU_SF_SG_SH_EUlSU_E_NS1_11comp_targetILNS1_3genE0ELNS1_11target_archE4294967295ELNS1_3gpuE0ELNS1_3repE0EEENS1_48merge_mergepath_partition_config_static_selectorELNS0_4arch9wavefront6targetE0EEEvSG_.numbered_sgpr, 6
	.set _ZN7rocprim17ROCPRIM_400000_NS6detail17trampoline_kernelINS0_14default_configENS1_38merge_sort_block_merge_config_selectorI6__halfNS0_10empty_typeEEEZZNS1_27merge_sort_block_merge_implIS3_PS5_PS6_jNS1_19radix_merge_compareILb1ELb0ES5_NS0_19identity_decomposerEEEEE10hipError_tT0_T1_T2_jT3_P12ihipStream_tbPNSt15iterator_traitsISF_E10value_typeEPNSL_ISG_E10value_typeEPSH_NS1_7vsmem_tEENKUlT_SF_SG_SH_E_clIS9_S9_SA_SA_EESE_SU_SF_SG_SH_EUlSU_E_NS1_11comp_targetILNS1_3genE0ELNS1_11target_archE4294967295ELNS1_3gpuE0ELNS1_3repE0EEENS1_48merge_mergepath_partition_config_static_selectorELNS0_4arch9wavefront6targetE0EEEvSG_.num_named_barrier, 0
	.set _ZN7rocprim17ROCPRIM_400000_NS6detail17trampoline_kernelINS0_14default_configENS1_38merge_sort_block_merge_config_selectorI6__halfNS0_10empty_typeEEEZZNS1_27merge_sort_block_merge_implIS3_PS5_PS6_jNS1_19radix_merge_compareILb1ELb0ES5_NS0_19identity_decomposerEEEEE10hipError_tT0_T1_T2_jT3_P12ihipStream_tbPNSt15iterator_traitsISF_E10value_typeEPNSL_ISG_E10value_typeEPSH_NS1_7vsmem_tEENKUlT_SF_SG_SH_E_clIS9_S9_SA_SA_EESE_SU_SF_SG_SH_EUlSU_E_NS1_11comp_targetILNS1_3genE0ELNS1_11target_archE4294967295ELNS1_3gpuE0ELNS1_3repE0EEENS1_48merge_mergepath_partition_config_static_selectorELNS0_4arch9wavefront6targetE0EEEvSG_.private_seg_size, 0
	.set _ZN7rocprim17ROCPRIM_400000_NS6detail17trampoline_kernelINS0_14default_configENS1_38merge_sort_block_merge_config_selectorI6__halfNS0_10empty_typeEEEZZNS1_27merge_sort_block_merge_implIS3_PS5_PS6_jNS1_19radix_merge_compareILb1ELb0ES5_NS0_19identity_decomposerEEEEE10hipError_tT0_T1_T2_jT3_P12ihipStream_tbPNSt15iterator_traitsISF_E10value_typeEPNSL_ISG_E10value_typeEPSH_NS1_7vsmem_tEENKUlT_SF_SG_SH_E_clIS9_S9_SA_SA_EESE_SU_SF_SG_SH_EUlSU_E_NS1_11comp_targetILNS1_3genE0ELNS1_11target_archE4294967295ELNS1_3gpuE0ELNS1_3repE0EEENS1_48merge_mergepath_partition_config_static_selectorELNS0_4arch9wavefront6targetE0EEEvSG_.uses_vcc, 1
	.set _ZN7rocprim17ROCPRIM_400000_NS6detail17trampoline_kernelINS0_14default_configENS1_38merge_sort_block_merge_config_selectorI6__halfNS0_10empty_typeEEEZZNS1_27merge_sort_block_merge_implIS3_PS5_PS6_jNS1_19radix_merge_compareILb1ELb0ES5_NS0_19identity_decomposerEEEEE10hipError_tT0_T1_T2_jT3_P12ihipStream_tbPNSt15iterator_traitsISF_E10value_typeEPNSL_ISG_E10value_typeEPSH_NS1_7vsmem_tEENKUlT_SF_SG_SH_E_clIS9_S9_SA_SA_EESE_SU_SF_SG_SH_EUlSU_E_NS1_11comp_targetILNS1_3genE0ELNS1_11target_archE4294967295ELNS1_3gpuE0ELNS1_3repE0EEENS1_48merge_mergepath_partition_config_static_selectorELNS0_4arch9wavefront6targetE0EEEvSG_.uses_flat_scratch, 0
	.set _ZN7rocprim17ROCPRIM_400000_NS6detail17trampoline_kernelINS0_14default_configENS1_38merge_sort_block_merge_config_selectorI6__halfNS0_10empty_typeEEEZZNS1_27merge_sort_block_merge_implIS3_PS5_PS6_jNS1_19radix_merge_compareILb1ELb0ES5_NS0_19identity_decomposerEEEEE10hipError_tT0_T1_T2_jT3_P12ihipStream_tbPNSt15iterator_traitsISF_E10value_typeEPNSL_ISG_E10value_typeEPSH_NS1_7vsmem_tEENKUlT_SF_SG_SH_E_clIS9_S9_SA_SA_EESE_SU_SF_SG_SH_EUlSU_E_NS1_11comp_targetILNS1_3genE0ELNS1_11target_archE4294967295ELNS1_3gpuE0ELNS1_3repE0EEENS1_48merge_mergepath_partition_config_static_selectorELNS0_4arch9wavefront6targetE0EEEvSG_.has_dyn_sized_stack, 0
	.set _ZN7rocprim17ROCPRIM_400000_NS6detail17trampoline_kernelINS0_14default_configENS1_38merge_sort_block_merge_config_selectorI6__halfNS0_10empty_typeEEEZZNS1_27merge_sort_block_merge_implIS3_PS5_PS6_jNS1_19radix_merge_compareILb1ELb0ES5_NS0_19identity_decomposerEEEEE10hipError_tT0_T1_T2_jT3_P12ihipStream_tbPNSt15iterator_traitsISF_E10value_typeEPNSL_ISG_E10value_typeEPSH_NS1_7vsmem_tEENKUlT_SF_SG_SH_E_clIS9_S9_SA_SA_EESE_SU_SF_SG_SH_EUlSU_E_NS1_11comp_targetILNS1_3genE0ELNS1_11target_archE4294967295ELNS1_3gpuE0ELNS1_3repE0EEENS1_48merge_mergepath_partition_config_static_selectorELNS0_4arch9wavefront6targetE0EEEvSG_.has_recursion, 0
	.set _ZN7rocprim17ROCPRIM_400000_NS6detail17trampoline_kernelINS0_14default_configENS1_38merge_sort_block_merge_config_selectorI6__halfNS0_10empty_typeEEEZZNS1_27merge_sort_block_merge_implIS3_PS5_PS6_jNS1_19radix_merge_compareILb1ELb0ES5_NS0_19identity_decomposerEEEEE10hipError_tT0_T1_T2_jT3_P12ihipStream_tbPNSt15iterator_traitsISF_E10value_typeEPNSL_ISG_E10value_typeEPSH_NS1_7vsmem_tEENKUlT_SF_SG_SH_E_clIS9_S9_SA_SA_EESE_SU_SF_SG_SH_EUlSU_E_NS1_11comp_targetILNS1_3genE0ELNS1_11target_archE4294967295ELNS1_3gpuE0ELNS1_3repE0EEENS1_48merge_mergepath_partition_config_static_selectorELNS0_4arch9wavefront6targetE0EEEvSG_.has_indirect_call, 0
	.section	.AMDGPU.csdata,"",@progbits
; Kernel info:
; codeLenInByte = 496
; TotalNumSgprs: 8
; NumVgprs: 17
; ScratchSize: 0
; MemoryBound: 0
; FloatMode: 240
; IeeeMode: 1
; LDSByteSize: 0 bytes/workgroup (compile time only)
; SGPRBlocks: 0
; VGPRBlocks: 1
; NumSGPRsForWavesPerEU: 8
; NumVGPRsForWavesPerEU: 17
; NamedBarCnt: 0
; Occupancy: 16
; WaveLimiterHint : 0
; COMPUTE_PGM_RSRC2:SCRATCH_EN: 0
; COMPUTE_PGM_RSRC2:USER_SGPR: 2
; COMPUTE_PGM_RSRC2:TRAP_HANDLER: 0
; COMPUTE_PGM_RSRC2:TGID_X_EN: 1
; COMPUTE_PGM_RSRC2:TGID_Y_EN: 0
; COMPUTE_PGM_RSRC2:TGID_Z_EN: 0
; COMPUTE_PGM_RSRC2:TIDIG_COMP_CNT: 0
	.section	.text._ZN7rocprim17ROCPRIM_400000_NS6detail17trampoline_kernelINS0_14default_configENS1_38merge_sort_block_merge_config_selectorI6__halfNS0_10empty_typeEEEZZNS1_27merge_sort_block_merge_implIS3_PS5_PS6_jNS1_19radix_merge_compareILb1ELb0ES5_NS0_19identity_decomposerEEEEE10hipError_tT0_T1_T2_jT3_P12ihipStream_tbPNSt15iterator_traitsISF_E10value_typeEPNSL_ISG_E10value_typeEPSH_NS1_7vsmem_tEENKUlT_SF_SG_SH_E_clIS9_S9_SA_SA_EESE_SU_SF_SG_SH_EUlSU_E_NS1_11comp_targetILNS1_3genE10ELNS1_11target_archE1201ELNS1_3gpuE5ELNS1_3repE0EEENS1_48merge_mergepath_partition_config_static_selectorELNS0_4arch9wavefront6targetE0EEEvSG_,"axG",@progbits,_ZN7rocprim17ROCPRIM_400000_NS6detail17trampoline_kernelINS0_14default_configENS1_38merge_sort_block_merge_config_selectorI6__halfNS0_10empty_typeEEEZZNS1_27merge_sort_block_merge_implIS3_PS5_PS6_jNS1_19radix_merge_compareILb1ELb0ES5_NS0_19identity_decomposerEEEEE10hipError_tT0_T1_T2_jT3_P12ihipStream_tbPNSt15iterator_traitsISF_E10value_typeEPNSL_ISG_E10value_typeEPSH_NS1_7vsmem_tEENKUlT_SF_SG_SH_E_clIS9_S9_SA_SA_EESE_SU_SF_SG_SH_EUlSU_E_NS1_11comp_targetILNS1_3genE10ELNS1_11target_archE1201ELNS1_3gpuE5ELNS1_3repE0EEENS1_48merge_mergepath_partition_config_static_selectorELNS0_4arch9wavefront6targetE0EEEvSG_,comdat
	.protected	_ZN7rocprim17ROCPRIM_400000_NS6detail17trampoline_kernelINS0_14default_configENS1_38merge_sort_block_merge_config_selectorI6__halfNS0_10empty_typeEEEZZNS1_27merge_sort_block_merge_implIS3_PS5_PS6_jNS1_19radix_merge_compareILb1ELb0ES5_NS0_19identity_decomposerEEEEE10hipError_tT0_T1_T2_jT3_P12ihipStream_tbPNSt15iterator_traitsISF_E10value_typeEPNSL_ISG_E10value_typeEPSH_NS1_7vsmem_tEENKUlT_SF_SG_SH_E_clIS9_S9_SA_SA_EESE_SU_SF_SG_SH_EUlSU_E_NS1_11comp_targetILNS1_3genE10ELNS1_11target_archE1201ELNS1_3gpuE5ELNS1_3repE0EEENS1_48merge_mergepath_partition_config_static_selectorELNS0_4arch9wavefront6targetE0EEEvSG_ ; -- Begin function _ZN7rocprim17ROCPRIM_400000_NS6detail17trampoline_kernelINS0_14default_configENS1_38merge_sort_block_merge_config_selectorI6__halfNS0_10empty_typeEEEZZNS1_27merge_sort_block_merge_implIS3_PS5_PS6_jNS1_19radix_merge_compareILb1ELb0ES5_NS0_19identity_decomposerEEEEE10hipError_tT0_T1_T2_jT3_P12ihipStream_tbPNSt15iterator_traitsISF_E10value_typeEPNSL_ISG_E10value_typeEPSH_NS1_7vsmem_tEENKUlT_SF_SG_SH_E_clIS9_S9_SA_SA_EESE_SU_SF_SG_SH_EUlSU_E_NS1_11comp_targetILNS1_3genE10ELNS1_11target_archE1201ELNS1_3gpuE5ELNS1_3repE0EEENS1_48merge_mergepath_partition_config_static_selectorELNS0_4arch9wavefront6targetE0EEEvSG_
	.globl	_ZN7rocprim17ROCPRIM_400000_NS6detail17trampoline_kernelINS0_14default_configENS1_38merge_sort_block_merge_config_selectorI6__halfNS0_10empty_typeEEEZZNS1_27merge_sort_block_merge_implIS3_PS5_PS6_jNS1_19radix_merge_compareILb1ELb0ES5_NS0_19identity_decomposerEEEEE10hipError_tT0_T1_T2_jT3_P12ihipStream_tbPNSt15iterator_traitsISF_E10value_typeEPNSL_ISG_E10value_typeEPSH_NS1_7vsmem_tEENKUlT_SF_SG_SH_E_clIS9_S9_SA_SA_EESE_SU_SF_SG_SH_EUlSU_E_NS1_11comp_targetILNS1_3genE10ELNS1_11target_archE1201ELNS1_3gpuE5ELNS1_3repE0EEENS1_48merge_mergepath_partition_config_static_selectorELNS0_4arch9wavefront6targetE0EEEvSG_
	.p2align	8
	.type	_ZN7rocprim17ROCPRIM_400000_NS6detail17trampoline_kernelINS0_14default_configENS1_38merge_sort_block_merge_config_selectorI6__halfNS0_10empty_typeEEEZZNS1_27merge_sort_block_merge_implIS3_PS5_PS6_jNS1_19radix_merge_compareILb1ELb0ES5_NS0_19identity_decomposerEEEEE10hipError_tT0_T1_T2_jT3_P12ihipStream_tbPNSt15iterator_traitsISF_E10value_typeEPNSL_ISG_E10value_typeEPSH_NS1_7vsmem_tEENKUlT_SF_SG_SH_E_clIS9_S9_SA_SA_EESE_SU_SF_SG_SH_EUlSU_E_NS1_11comp_targetILNS1_3genE10ELNS1_11target_archE1201ELNS1_3gpuE5ELNS1_3repE0EEENS1_48merge_mergepath_partition_config_static_selectorELNS0_4arch9wavefront6targetE0EEEvSG_,@function
_ZN7rocprim17ROCPRIM_400000_NS6detail17trampoline_kernelINS0_14default_configENS1_38merge_sort_block_merge_config_selectorI6__halfNS0_10empty_typeEEEZZNS1_27merge_sort_block_merge_implIS3_PS5_PS6_jNS1_19radix_merge_compareILb1ELb0ES5_NS0_19identity_decomposerEEEEE10hipError_tT0_T1_T2_jT3_P12ihipStream_tbPNSt15iterator_traitsISF_E10value_typeEPNSL_ISG_E10value_typeEPSH_NS1_7vsmem_tEENKUlT_SF_SG_SH_E_clIS9_S9_SA_SA_EESE_SU_SF_SG_SH_EUlSU_E_NS1_11comp_targetILNS1_3genE10ELNS1_11target_archE1201ELNS1_3gpuE5ELNS1_3repE0EEENS1_48merge_mergepath_partition_config_static_selectorELNS0_4arch9wavefront6targetE0EEEvSG_: ; @_ZN7rocprim17ROCPRIM_400000_NS6detail17trampoline_kernelINS0_14default_configENS1_38merge_sort_block_merge_config_selectorI6__halfNS0_10empty_typeEEEZZNS1_27merge_sort_block_merge_implIS3_PS5_PS6_jNS1_19radix_merge_compareILb1ELb0ES5_NS0_19identity_decomposerEEEEE10hipError_tT0_T1_T2_jT3_P12ihipStream_tbPNSt15iterator_traitsISF_E10value_typeEPNSL_ISG_E10value_typeEPSH_NS1_7vsmem_tEENKUlT_SF_SG_SH_E_clIS9_S9_SA_SA_EESE_SU_SF_SG_SH_EUlSU_E_NS1_11comp_targetILNS1_3genE10ELNS1_11target_archE1201ELNS1_3gpuE5ELNS1_3repE0EEENS1_48merge_mergepath_partition_config_static_selectorELNS0_4arch9wavefront6targetE0EEEvSG_
; %bb.0:
	.section	.rodata,"a",@progbits
	.p2align	6, 0x0
	.amdhsa_kernel _ZN7rocprim17ROCPRIM_400000_NS6detail17trampoline_kernelINS0_14default_configENS1_38merge_sort_block_merge_config_selectorI6__halfNS0_10empty_typeEEEZZNS1_27merge_sort_block_merge_implIS3_PS5_PS6_jNS1_19radix_merge_compareILb1ELb0ES5_NS0_19identity_decomposerEEEEE10hipError_tT0_T1_T2_jT3_P12ihipStream_tbPNSt15iterator_traitsISF_E10value_typeEPNSL_ISG_E10value_typeEPSH_NS1_7vsmem_tEENKUlT_SF_SG_SH_E_clIS9_S9_SA_SA_EESE_SU_SF_SG_SH_EUlSU_E_NS1_11comp_targetILNS1_3genE10ELNS1_11target_archE1201ELNS1_3gpuE5ELNS1_3repE0EEENS1_48merge_mergepath_partition_config_static_selectorELNS0_4arch9wavefront6targetE0EEEvSG_
		.amdhsa_group_segment_fixed_size 0
		.amdhsa_private_segment_fixed_size 0
		.amdhsa_kernarg_size 40
		.amdhsa_user_sgpr_count 2
		.amdhsa_user_sgpr_dispatch_ptr 0
		.amdhsa_user_sgpr_queue_ptr 0
		.amdhsa_user_sgpr_kernarg_segment_ptr 1
		.amdhsa_user_sgpr_dispatch_id 0
		.amdhsa_user_sgpr_kernarg_preload_length 0
		.amdhsa_user_sgpr_kernarg_preload_offset 0
		.amdhsa_user_sgpr_private_segment_size 0
		.amdhsa_wavefront_size32 1
		.amdhsa_uses_dynamic_stack 0
		.amdhsa_enable_private_segment 0
		.amdhsa_system_sgpr_workgroup_id_x 1
		.amdhsa_system_sgpr_workgroup_id_y 0
		.amdhsa_system_sgpr_workgroup_id_z 0
		.amdhsa_system_sgpr_workgroup_info 0
		.amdhsa_system_vgpr_workitem_id 0
		.amdhsa_next_free_vgpr 1
		.amdhsa_next_free_sgpr 1
		.amdhsa_named_barrier_count 0
		.amdhsa_reserve_vcc 0
		.amdhsa_float_round_mode_32 0
		.amdhsa_float_round_mode_16_64 0
		.amdhsa_float_denorm_mode_32 3
		.amdhsa_float_denorm_mode_16_64 3
		.amdhsa_fp16_overflow 0
		.amdhsa_memory_ordered 1
		.amdhsa_forward_progress 1
		.amdhsa_inst_pref_size 0
		.amdhsa_round_robin_scheduling 0
		.amdhsa_exception_fp_ieee_invalid_op 0
		.amdhsa_exception_fp_denorm_src 0
		.amdhsa_exception_fp_ieee_div_zero 0
		.amdhsa_exception_fp_ieee_overflow 0
		.amdhsa_exception_fp_ieee_underflow 0
		.amdhsa_exception_fp_ieee_inexact 0
		.amdhsa_exception_int_div_zero 0
	.end_amdhsa_kernel
	.section	.text._ZN7rocprim17ROCPRIM_400000_NS6detail17trampoline_kernelINS0_14default_configENS1_38merge_sort_block_merge_config_selectorI6__halfNS0_10empty_typeEEEZZNS1_27merge_sort_block_merge_implIS3_PS5_PS6_jNS1_19radix_merge_compareILb1ELb0ES5_NS0_19identity_decomposerEEEEE10hipError_tT0_T1_T2_jT3_P12ihipStream_tbPNSt15iterator_traitsISF_E10value_typeEPNSL_ISG_E10value_typeEPSH_NS1_7vsmem_tEENKUlT_SF_SG_SH_E_clIS9_S9_SA_SA_EESE_SU_SF_SG_SH_EUlSU_E_NS1_11comp_targetILNS1_3genE10ELNS1_11target_archE1201ELNS1_3gpuE5ELNS1_3repE0EEENS1_48merge_mergepath_partition_config_static_selectorELNS0_4arch9wavefront6targetE0EEEvSG_,"axG",@progbits,_ZN7rocprim17ROCPRIM_400000_NS6detail17trampoline_kernelINS0_14default_configENS1_38merge_sort_block_merge_config_selectorI6__halfNS0_10empty_typeEEEZZNS1_27merge_sort_block_merge_implIS3_PS5_PS6_jNS1_19radix_merge_compareILb1ELb0ES5_NS0_19identity_decomposerEEEEE10hipError_tT0_T1_T2_jT3_P12ihipStream_tbPNSt15iterator_traitsISF_E10value_typeEPNSL_ISG_E10value_typeEPSH_NS1_7vsmem_tEENKUlT_SF_SG_SH_E_clIS9_S9_SA_SA_EESE_SU_SF_SG_SH_EUlSU_E_NS1_11comp_targetILNS1_3genE10ELNS1_11target_archE1201ELNS1_3gpuE5ELNS1_3repE0EEENS1_48merge_mergepath_partition_config_static_selectorELNS0_4arch9wavefront6targetE0EEEvSG_,comdat
.Lfunc_end2106:
	.size	_ZN7rocprim17ROCPRIM_400000_NS6detail17trampoline_kernelINS0_14default_configENS1_38merge_sort_block_merge_config_selectorI6__halfNS0_10empty_typeEEEZZNS1_27merge_sort_block_merge_implIS3_PS5_PS6_jNS1_19radix_merge_compareILb1ELb0ES5_NS0_19identity_decomposerEEEEE10hipError_tT0_T1_T2_jT3_P12ihipStream_tbPNSt15iterator_traitsISF_E10value_typeEPNSL_ISG_E10value_typeEPSH_NS1_7vsmem_tEENKUlT_SF_SG_SH_E_clIS9_S9_SA_SA_EESE_SU_SF_SG_SH_EUlSU_E_NS1_11comp_targetILNS1_3genE10ELNS1_11target_archE1201ELNS1_3gpuE5ELNS1_3repE0EEENS1_48merge_mergepath_partition_config_static_selectorELNS0_4arch9wavefront6targetE0EEEvSG_, .Lfunc_end2106-_ZN7rocprim17ROCPRIM_400000_NS6detail17trampoline_kernelINS0_14default_configENS1_38merge_sort_block_merge_config_selectorI6__halfNS0_10empty_typeEEEZZNS1_27merge_sort_block_merge_implIS3_PS5_PS6_jNS1_19radix_merge_compareILb1ELb0ES5_NS0_19identity_decomposerEEEEE10hipError_tT0_T1_T2_jT3_P12ihipStream_tbPNSt15iterator_traitsISF_E10value_typeEPNSL_ISG_E10value_typeEPSH_NS1_7vsmem_tEENKUlT_SF_SG_SH_E_clIS9_S9_SA_SA_EESE_SU_SF_SG_SH_EUlSU_E_NS1_11comp_targetILNS1_3genE10ELNS1_11target_archE1201ELNS1_3gpuE5ELNS1_3repE0EEENS1_48merge_mergepath_partition_config_static_selectorELNS0_4arch9wavefront6targetE0EEEvSG_
                                        ; -- End function
	.set _ZN7rocprim17ROCPRIM_400000_NS6detail17trampoline_kernelINS0_14default_configENS1_38merge_sort_block_merge_config_selectorI6__halfNS0_10empty_typeEEEZZNS1_27merge_sort_block_merge_implIS3_PS5_PS6_jNS1_19radix_merge_compareILb1ELb0ES5_NS0_19identity_decomposerEEEEE10hipError_tT0_T1_T2_jT3_P12ihipStream_tbPNSt15iterator_traitsISF_E10value_typeEPNSL_ISG_E10value_typeEPSH_NS1_7vsmem_tEENKUlT_SF_SG_SH_E_clIS9_S9_SA_SA_EESE_SU_SF_SG_SH_EUlSU_E_NS1_11comp_targetILNS1_3genE10ELNS1_11target_archE1201ELNS1_3gpuE5ELNS1_3repE0EEENS1_48merge_mergepath_partition_config_static_selectorELNS0_4arch9wavefront6targetE0EEEvSG_.num_vgpr, 0
	.set _ZN7rocprim17ROCPRIM_400000_NS6detail17trampoline_kernelINS0_14default_configENS1_38merge_sort_block_merge_config_selectorI6__halfNS0_10empty_typeEEEZZNS1_27merge_sort_block_merge_implIS3_PS5_PS6_jNS1_19radix_merge_compareILb1ELb0ES5_NS0_19identity_decomposerEEEEE10hipError_tT0_T1_T2_jT3_P12ihipStream_tbPNSt15iterator_traitsISF_E10value_typeEPNSL_ISG_E10value_typeEPSH_NS1_7vsmem_tEENKUlT_SF_SG_SH_E_clIS9_S9_SA_SA_EESE_SU_SF_SG_SH_EUlSU_E_NS1_11comp_targetILNS1_3genE10ELNS1_11target_archE1201ELNS1_3gpuE5ELNS1_3repE0EEENS1_48merge_mergepath_partition_config_static_selectorELNS0_4arch9wavefront6targetE0EEEvSG_.num_agpr, 0
	.set _ZN7rocprim17ROCPRIM_400000_NS6detail17trampoline_kernelINS0_14default_configENS1_38merge_sort_block_merge_config_selectorI6__halfNS0_10empty_typeEEEZZNS1_27merge_sort_block_merge_implIS3_PS5_PS6_jNS1_19radix_merge_compareILb1ELb0ES5_NS0_19identity_decomposerEEEEE10hipError_tT0_T1_T2_jT3_P12ihipStream_tbPNSt15iterator_traitsISF_E10value_typeEPNSL_ISG_E10value_typeEPSH_NS1_7vsmem_tEENKUlT_SF_SG_SH_E_clIS9_S9_SA_SA_EESE_SU_SF_SG_SH_EUlSU_E_NS1_11comp_targetILNS1_3genE10ELNS1_11target_archE1201ELNS1_3gpuE5ELNS1_3repE0EEENS1_48merge_mergepath_partition_config_static_selectorELNS0_4arch9wavefront6targetE0EEEvSG_.numbered_sgpr, 0
	.set _ZN7rocprim17ROCPRIM_400000_NS6detail17trampoline_kernelINS0_14default_configENS1_38merge_sort_block_merge_config_selectorI6__halfNS0_10empty_typeEEEZZNS1_27merge_sort_block_merge_implIS3_PS5_PS6_jNS1_19radix_merge_compareILb1ELb0ES5_NS0_19identity_decomposerEEEEE10hipError_tT0_T1_T2_jT3_P12ihipStream_tbPNSt15iterator_traitsISF_E10value_typeEPNSL_ISG_E10value_typeEPSH_NS1_7vsmem_tEENKUlT_SF_SG_SH_E_clIS9_S9_SA_SA_EESE_SU_SF_SG_SH_EUlSU_E_NS1_11comp_targetILNS1_3genE10ELNS1_11target_archE1201ELNS1_3gpuE5ELNS1_3repE0EEENS1_48merge_mergepath_partition_config_static_selectorELNS0_4arch9wavefront6targetE0EEEvSG_.num_named_barrier, 0
	.set _ZN7rocprim17ROCPRIM_400000_NS6detail17trampoline_kernelINS0_14default_configENS1_38merge_sort_block_merge_config_selectorI6__halfNS0_10empty_typeEEEZZNS1_27merge_sort_block_merge_implIS3_PS5_PS6_jNS1_19radix_merge_compareILb1ELb0ES5_NS0_19identity_decomposerEEEEE10hipError_tT0_T1_T2_jT3_P12ihipStream_tbPNSt15iterator_traitsISF_E10value_typeEPNSL_ISG_E10value_typeEPSH_NS1_7vsmem_tEENKUlT_SF_SG_SH_E_clIS9_S9_SA_SA_EESE_SU_SF_SG_SH_EUlSU_E_NS1_11comp_targetILNS1_3genE10ELNS1_11target_archE1201ELNS1_3gpuE5ELNS1_3repE0EEENS1_48merge_mergepath_partition_config_static_selectorELNS0_4arch9wavefront6targetE0EEEvSG_.private_seg_size, 0
	.set _ZN7rocprim17ROCPRIM_400000_NS6detail17trampoline_kernelINS0_14default_configENS1_38merge_sort_block_merge_config_selectorI6__halfNS0_10empty_typeEEEZZNS1_27merge_sort_block_merge_implIS3_PS5_PS6_jNS1_19radix_merge_compareILb1ELb0ES5_NS0_19identity_decomposerEEEEE10hipError_tT0_T1_T2_jT3_P12ihipStream_tbPNSt15iterator_traitsISF_E10value_typeEPNSL_ISG_E10value_typeEPSH_NS1_7vsmem_tEENKUlT_SF_SG_SH_E_clIS9_S9_SA_SA_EESE_SU_SF_SG_SH_EUlSU_E_NS1_11comp_targetILNS1_3genE10ELNS1_11target_archE1201ELNS1_3gpuE5ELNS1_3repE0EEENS1_48merge_mergepath_partition_config_static_selectorELNS0_4arch9wavefront6targetE0EEEvSG_.uses_vcc, 0
	.set _ZN7rocprim17ROCPRIM_400000_NS6detail17trampoline_kernelINS0_14default_configENS1_38merge_sort_block_merge_config_selectorI6__halfNS0_10empty_typeEEEZZNS1_27merge_sort_block_merge_implIS3_PS5_PS6_jNS1_19radix_merge_compareILb1ELb0ES5_NS0_19identity_decomposerEEEEE10hipError_tT0_T1_T2_jT3_P12ihipStream_tbPNSt15iterator_traitsISF_E10value_typeEPNSL_ISG_E10value_typeEPSH_NS1_7vsmem_tEENKUlT_SF_SG_SH_E_clIS9_S9_SA_SA_EESE_SU_SF_SG_SH_EUlSU_E_NS1_11comp_targetILNS1_3genE10ELNS1_11target_archE1201ELNS1_3gpuE5ELNS1_3repE0EEENS1_48merge_mergepath_partition_config_static_selectorELNS0_4arch9wavefront6targetE0EEEvSG_.uses_flat_scratch, 0
	.set _ZN7rocprim17ROCPRIM_400000_NS6detail17trampoline_kernelINS0_14default_configENS1_38merge_sort_block_merge_config_selectorI6__halfNS0_10empty_typeEEEZZNS1_27merge_sort_block_merge_implIS3_PS5_PS6_jNS1_19radix_merge_compareILb1ELb0ES5_NS0_19identity_decomposerEEEEE10hipError_tT0_T1_T2_jT3_P12ihipStream_tbPNSt15iterator_traitsISF_E10value_typeEPNSL_ISG_E10value_typeEPSH_NS1_7vsmem_tEENKUlT_SF_SG_SH_E_clIS9_S9_SA_SA_EESE_SU_SF_SG_SH_EUlSU_E_NS1_11comp_targetILNS1_3genE10ELNS1_11target_archE1201ELNS1_3gpuE5ELNS1_3repE0EEENS1_48merge_mergepath_partition_config_static_selectorELNS0_4arch9wavefront6targetE0EEEvSG_.has_dyn_sized_stack, 0
	.set _ZN7rocprim17ROCPRIM_400000_NS6detail17trampoline_kernelINS0_14default_configENS1_38merge_sort_block_merge_config_selectorI6__halfNS0_10empty_typeEEEZZNS1_27merge_sort_block_merge_implIS3_PS5_PS6_jNS1_19radix_merge_compareILb1ELb0ES5_NS0_19identity_decomposerEEEEE10hipError_tT0_T1_T2_jT3_P12ihipStream_tbPNSt15iterator_traitsISF_E10value_typeEPNSL_ISG_E10value_typeEPSH_NS1_7vsmem_tEENKUlT_SF_SG_SH_E_clIS9_S9_SA_SA_EESE_SU_SF_SG_SH_EUlSU_E_NS1_11comp_targetILNS1_3genE10ELNS1_11target_archE1201ELNS1_3gpuE5ELNS1_3repE0EEENS1_48merge_mergepath_partition_config_static_selectorELNS0_4arch9wavefront6targetE0EEEvSG_.has_recursion, 0
	.set _ZN7rocprim17ROCPRIM_400000_NS6detail17trampoline_kernelINS0_14default_configENS1_38merge_sort_block_merge_config_selectorI6__halfNS0_10empty_typeEEEZZNS1_27merge_sort_block_merge_implIS3_PS5_PS6_jNS1_19radix_merge_compareILb1ELb0ES5_NS0_19identity_decomposerEEEEE10hipError_tT0_T1_T2_jT3_P12ihipStream_tbPNSt15iterator_traitsISF_E10value_typeEPNSL_ISG_E10value_typeEPSH_NS1_7vsmem_tEENKUlT_SF_SG_SH_E_clIS9_S9_SA_SA_EESE_SU_SF_SG_SH_EUlSU_E_NS1_11comp_targetILNS1_3genE10ELNS1_11target_archE1201ELNS1_3gpuE5ELNS1_3repE0EEENS1_48merge_mergepath_partition_config_static_selectorELNS0_4arch9wavefront6targetE0EEEvSG_.has_indirect_call, 0
	.section	.AMDGPU.csdata,"",@progbits
; Kernel info:
; codeLenInByte = 0
; TotalNumSgprs: 0
; NumVgprs: 0
; ScratchSize: 0
; MemoryBound: 0
; FloatMode: 240
; IeeeMode: 1
; LDSByteSize: 0 bytes/workgroup (compile time only)
; SGPRBlocks: 0
; VGPRBlocks: 0
; NumSGPRsForWavesPerEU: 1
; NumVGPRsForWavesPerEU: 1
; NamedBarCnt: 0
; Occupancy: 16
; WaveLimiterHint : 0
; COMPUTE_PGM_RSRC2:SCRATCH_EN: 0
; COMPUTE_PGM_RSRC2:USER_SGPR: 2
; COMPUTE_PGM_RSRC2:TRAP_HANDLER: 0
; COMPUTE_PGM_RSRC2:TGID_X_EN: 1
; COMPUTE_PGM_RSRC2:TGID_Y_EN: 0
; COMPUTE_PGM_RSRC2:TGID_Z_EN: 0
; COMPUTE_PGM_RSRC2:TIDIG_COMP_CNT: 0
	.section	.text._ZN7rocprim17ROCPRIM_400000_NS6detail17trampoline_kernelINS0_14default_configENS1_38merge_sort_block_merge_config_selectorI6__halfNS0_10empty_typeEEEZZNS1_27merge_sort_block_merge_implIS3_PS5_PS6_jNS1_19radix_merge_compareILb1ELb0ES5_NS0_19identity_decomposerEEEEE10hipError_tT0_T1_T2_jT3_P12ihipStream_tbPNSt15iterator_traitsISF_E10value_typeEPNSL_ISG_E10value_typeEPSH_NS1_7vsmem_tEENKUlT_SF_SG_SH_E_clIS9_S9_SA_SA_EESE_SU_SF_SG_SH_EUlSU_E_NS1_11comp_targetILNS1_3genE5ELNS1_11target_archE942ELNS1_3gpuE9ELNS1_3repE0EEENS1_48merge_mergepath_partition_config_static_selectorELNS0_4arch9wavefront6targetE0EEEvSG_,"axG",@progbits,_ZN7rocprim17ROCPRIM_400000_NS6detail17trampoline_kernelINS0_14default_configENS1_38merge_sort_block_merge_config_selectorI6__halfNS0_10empty_typeEEEZZNS1_27merge_sort_block_merge_implIS3_PS5_PS6_jNS1_19radix_merge_compareILb1ELb0ES5_NS0_19identity_decomposerEEEEE10hipError_tT0_T1_T2_jT3_P12ihipStream_tbPNSt15iterator_traitsISF_E10value_typeEPNSL_ISG_E10value_typeEPSH_NS1_7vsmem_tEENKUlT_SF_SG_SH_E_clIS9_S9_SA_SA_EESE_SU_SF_SG_SH_EUlSU_E_NS1_11comp_targetILNS1_3genE5ELNS1_11target_archE942ELNS1_3gpuE9ELNS1_3repE0EEENS1_48merge_mergepath_partition_config_static_selectorELNS0_4arch9wavefront6targetE0EEEvSG_,comdat
	.protected	_ZN7rocprim17ROCPRIM_400000_NS6detail17trampoline_kernelINS0_14default_configENS1_38merge_sort_block_merge_config_selectorI6__halfNS0_10empty_typeEEEZZNS1_27merge_sort_block_merge_implIS3_PS5_PS6_jNS1_19radix_merge_compareILb1ELb0ES5_NS0_19identity_decomposerEEEEE10hipError_tT0_T1_T2_jT3_P12ihipStream_tbPNSt15iterator_traitsISF_E10value_typeEPNSL_ISG_E10value_typeEPSH_NS1_7vsmem_tEENKUlT_SF_SG_SH_E_clIS9_S9_SA_SA_EESE_SU_SF_SG_SH_EUlSU_E_NS1_11comp_targetILNS1_3genE5ELNS1_11target_archE942ELNS1_3gpuE9ELNS1_3repE0EEENS1_48merge_mergepath_partition_config_static_selectorELNS0_4arch9wavefront6targetE0EEEvSG_ ; -- Begin function _ZN7rocprim17ROCPRIM_400000_NS6detail17trampoline_kernelINS0_14default_configENS1_38merge_sort_block_merge_config_selectorI6__halfNS0_10empty_typeEEEZZNS1_27merge_sort_block_merge_implIS3_PS5_PS6_jNS1_19radix_merge_compareILb1ELb0ES5_NS0_19identity_decomposerEEEEE10hipError_tT0_T1_T2_jT3_P12ihipStream_tbPNSt15iterator_traitsISF_E10value_typeEPNSL_ISG_E10value_typeEPSH_NS1_7vsmem_tEENKUlT_SF_SG_SH_E_clIS9_S9_SA_SA_EESE_SU_SF_SG_SH_EUlSU_E_NS1_11comp_targetILNS1_3genE5ELNS1_11target_archE942ELNS1_3gpuE9ELNS1_3repE0EEENS1_48merge_mergepath_partition_config_static_selectorELNS0_4arch9wavefront6targetE0EEEvSG_
	.globl	_ZN7rocprim17ROCPRIM_400000_NS6detail17trampoline_kernelINS0_14default_configENS1_38merge_sort_block_merge_config_selectorI6__halfNS0_10empty_typeEEEZZNS1_27merge_sort_block_merge_implIS3_PS5_PS6_jNS1_19radix_merge_compareILb1ELb0ES5_NS0_19identity_decomposerEEEEE10hipError_tT0_T1_T2_jT3_P12ihipStream_tbPNSt15iterator_traitsISF_E10value_typeEPNSL_ISG_E10value_typeEPSH_NS1_7vsmem_tEENKUlT_SF_SG_SH_E_clIS9_S9_SA_SA_EESE_SU_SF_SG_SH_EUlSU_E_NS1_11comp_targetILNS1_3genE5ELNS1_11target_archE942ELNS1_3gpuE9ELNS1_3repE0EEENS1_48merge_mergepath_partition_config_static_selectorELNS0_4arch9wavefront6targetE0EEEvSG_
	.p2align	8
	.type	_ZN7rocprim17ROCPRIM_400000_NS6detail17trampoline_kernelINS0_14default_configENS1_38merge_sort_block_merge_config_selectorI6__halfNS0_10empty_typeEEEZZNS1_27merge_sort_block_merge_implIS3_PS5_PS6_jNS1_19radix_merge_compareILb1ELb0ES5_NS0_19identity_decomposerEEEEE10hipError_tT0_T1_T2_jT3_P12ihipStream_tbPNSt15iterator_traitsISF_E10value_typeEPNSL_ISG_E10value_typeEPSH_NS1_7vsmem_tEENKUlT_SF_SG_SH_E_clIS9_S9_SA_SA_EESE_SU_SF_SG_SH_EUlSU_E_NS1_11comp_targetILNS1_3genE5ELNS1_11target_archE942ELNS1_3gpuE9ELNS1_3repE0EEENS1_48merge_mergepath_partition_config_static_selectorELNS0_4arch9wavefront6targetE0EEEvSG_,@function
_ZN7rocprim17ROCPRIM_400000_NS6detail17trampoline_kernelINS0_14default_configENS1_38merge_sort_block_merge_config_selectorI6__halfNS0_10empty_typeEEEZZNS1_27merge_sort_block_merge_implIS3_PS5_PS6_jNS1_19radix_merge_compareILb1ELb0ES5_NS0_19identity_decomposerEEEEE10hipError_tT0_T1_T2_jT3_P12ihipStream_tbPNSt15iterator_traitsISF_E10value_typeEPNSL_ISG_E10value_typeEPSH_NS1_7vsmem_tEENKUlT_SF_SG_SH_E_clIS9_S9_SA_SA_EESE_SU_SF_SG_SH_EUlSU_E_NS1_11comp_targetILNS1_3genE5ELNS1_11target_archE942ELNS1_3gpuE9ELNS1_3repE0EEENS1_48merge_mergepath_partition_config_static_selectorELNS0_4arch9wavefront6targetE0EEEvSG_: ; @_ZN7rocprim17ROCPRIM_400000_NS6detail17trampoline_kernelINS0_14default_configENS1_38merge_sort_block_merge_config_selectorI6__halfNS0_10empty_typeEEEZZNS1_27merge_sort_block_merge_implIS3_PS5_PS6_jNS1_19radix_merge_compareILb1ELb0ES5_NS0_19identity_decomposerEEEEE10hipError_tT0_T1_T2_jT3_P12ihipStream_tbPNSt15iterator_traitsISF_E10value_typeEPNSL_ISG_E10value_typeEPSH_NS1_7vsmem_tEENKUlT_SF_SG_SH_E_clIS9_S9_SA_SA_EESE_SU_SF_SG_SH_EUlSU_E_NS1_11comp_targetILNS1_3genE5ELNS1_11target_archE942ELNS1_3gpuE9ELNS1_3repE0EEENS1_48merge_mergepath_partition_config_static_selectorELNS0_4arch9wavefront6targetE0EEEvSG_
; %bb.0:
	.section	.rodata,"a",@progbits
	.p2align	6, 0x0
	.amdhsa_kernel _ZN7rocprim17ROCPRIM_400000_NS6detail17trampoline_kernelINS0_14default_configENS1_38merge_sort_block_merge_config_selectorI6__halfNS0_10empty_typeEEEZZNS1_27merge_sort_block_merge_implIS3_PS5_PS6_jNS1_19radix_merge_compareILb1ELb0ES5_NS0_19identity_decomposerEEEEE10hipError_tT0_T1_T2_jT3_P12ihipStream_tbPNSt15iterator_traitsISF_E10value_typeEPNSL_ISG_E10value_typeEPSH_NS1_7vsmem_tEENKUlT_SF_SG_SH_E_clIS9_S9_SA_SA_EESE_SU_SF_SG_SH_EUlSU_E_NS1_11comp_targetILNS1_3genE5ELNS1_11target_archE942ELNS1_3gpuE9ELNS1_3repE0EEENS1_48merge_mergepath_partition_config_static_selectorELNS0_4arch9wavefront6targetE0EEEvSG_
		.amdhsa_group_segment_fixed_size 0
		.amdhsa_private_segment_fixed_size 0
		.amdhsa_kernarg_size 40
		.amdhsa_user_sgpr_count 2
		.amdhsa_user_sgpr_dispatch_ptr 0
		.amdhsa_user_sgpr_queue_ptr 0
		.amdhsa_user_sgpr_kernarg_segment_ptr 1
		.amdhsa_user_sgpr_dispatch_id 0
		.amdhsa_user_sgpr_kernarg_preload_length 0
		.amdhsa_user_sgpr_kernarg_preload_offset 0
		.amdhsa_user_sgpr_private_segment_size 0
		.amdhsa_wavefront_size32 1
		.amdhsa_uses_dynamic_stack 0
		.amdhsa_enable_private_segment 0
		.amdhsa_system_sgpr_workgroup_id_x 1
		.amdhsa_system_sgpr_workgroup_id_y 0
		.amdhsa_system_sgpr_workgroup_id_z 0
		.amdhsa_system_sgpr_workgroup_info 0
		.amdhsa_system_vgpr_workitem_id 0
		.amdhsa_next_free_vgpr 1
		.amdhsa_next_free_sgpr 1
		.amdhsa_named_barrier_count 0
		.amdhsa_reserve_vcc 0
		.amdhsa_float_round_mode_32 0
		.amdhsa_float_round_mode_16_64 0
		.amdhsa_float_denorm_mode_32 3
		.amdhsa_float_denorm_mode_16_64 3
		.amdhsa_fp16_overflow 0
		.amdhsa_memory_ordered 1
		.amdhsa_forward_progress 1
		.amdhsa_inst_pref_size 0
		.amdhsa_round_robin_scheduling 0
		.amdhsa_exception_fp_ieee_invalid_op 0
		.amdhsa_exception_fp_denorm_src 0
		.amdhsa_exception_fp_ieee_div_zero 0
		.amdhsa_exception_fp_ieee_overflow 0
		.amdhsa_exception_fp_ieee_underflow 0
		.amdhsa_exception_fp_ieee_inexact 0
		.amdhsa_exception_int_div_zero 0
	.end_amdhsa_kernel
	.section	.text._ZN7rocprim17ROCPRIM_400000_NS6detail17trampoline_kernelINS0_14default_configENS1_38merge_sort_block_merge_config_selectorI6__halfNS0_10empty_typeEEEZZNS1_27merge_sort_block_merge_implIS3_PS5_PS6_jNS1_19radix_merge_compareILb1ELb0ES5_NS0_19identity_decomposerEEEEE10hipError_tT0_T1_T2_jT3_P12ihipStream_tbPNSt15iterator_traitsISF_E10value_typeEPNSL_ISG_E10value_typeEPSH_NS1_7vsmem_tEENKUlT_SF_SG_SH_E_clIS9_S9_SA_SA_EESE_SU_SF_SG_SH_EUlSU_E_NS1_11comp_targetILNS1_3genE5ELNS1_11target_archE942ELNS1_3gpuE9ELNS1_3repE0EEENS1_48merge_mergepath_partition_config_static_selectorELNS0_4arch9wavefront6targetE0EEEvSG_,"axG",@progbits,_ZN7rocprim17ROCPRIM_400000_NS6detail17trampoline_kernelINS0_14default_configENS1_38merge_sort_block_merge_config_selectorI6__halfNS0_10empty_typeEEEZZNS1_27merge_sort_block_merge_implIS3_PS5_PS6_jNS1_19radix_merge_compareILb1ELb0ES5_NS0_19identity_decomposerEEEEE10hipError_tT0_T1_T2_jT3_P12ihipStream_tbPNSt15iterator_traitsISF_E10value_typeEPNSL_ISG_E10value_typeEPSH_NS1_7vsmem_tEENKUlT_SF_SG_SH_E_clIS9_S9_SA_SA_EESE_SU_SF_SG_SH_EUlSU_E_NS1_11comp_targetILNS1_3genE5ELNS1_11target_archE942ELNS1_3gpuE9ELNS1_3repE0EEENS1_48merge_mergepath_partition_config_static_selectorELNS0_4arch9wavefront6targetE0EEEvSG_,comdat
.Lfunc_end2107:
	.size	_ZN7rocprim17ROCPRIM_400000_NS6detail17trampoline_kernelINS0_14default_configENS1_38merge_sort_block_merge_config_selectorI6__halfNS0_10empty_typeEEEZZNS1_27merge_sort_block_merge_implIS3_PS5_PS6_jNS1_19radix_merge_compareILb1ELb0ES5_NS0_19identity_decomposerEEEEE10hipError_tT0_T1_T2_jT3_P12ihipStream_tbPNSt15iterator_traitsISF_E10value_typeEPNSL_ISG_E10value_typeEPSH_NS1_7vsmem_tEENKUlT_SF_SG_SH_E_clIS9_S9_SA_SA_EESE_SU_SF_SG_SH_EUlSU_E_NS1_11comp_targetILNS1_3genE5ELNS1_11target_archE942ELNS1_3gpuE9ELNS1_3repE0EEENS1_48merge_mergepath_partition_config_static_selectorELNS0_4arch9wavefront6targetE0EEEvSG_, .Lfunc_end2107-_ZN7rocprim17ROCPRIM_400000_NS6detail17trampoline_kernelINS0_14default_configENS1_38merge_sort_block_merge_config_selectorI6__halfNS0_10empty_typeEEEZZNS1_27merge_sort_block_merge_implIS3_PS5_PS6_jNS1_19radix_merge_compareILb1ELb0ES5_NS0_19identity_decomposerEEEEE10hipError_tT0_T1_T2_jT3_P12ihipStream_tbPNSt15iterator_traitsISF_E10value_typeEPNSL_ISG_E10value_typeEPSH_NS1_7vsmem_tEENKUlT_SF_SG_SH_E_clIS9_S9_SA_SA_EESE_SU_SF_SG_SH_EUlSU_E_NS1_11comp_targetILNS1_3genE5ELNS1_11target_archE942ELNS1_3gpuE9ELNS1_3repE0EEENS1_48merge_mergepath_partition_config_static_selectorELNS0_4arch9wavefront6targetE0EEEvSG_
                                        ; -- End function
	.set _ZN7rocprim17ROCPRIM_400000_NS6detail17trampoline_kernelINS0_14default_configENS1_38merge_sort_block_merge_config_selectorI6__halfNS0_10empty_typeEEEZZNS1_27merge_sort_block_merge_implIS3_PS5_PS6_jNS1_19radix_merge_compareILb1ELb0ES5_NS0_19identity_decomposerEEEEE10hipError_tT0_T1_T2_jT3_P12ihipStream_tbPNSt15iterator_traitsISF_E10value_typeEPNSL_ISG_E10value_typeEPSH_NS1_7vsmem_tEENKUlT_SF_SG_SH_E_clIS9_S9_SA_SA_EESE_SU_SF_SG_SH_EUlSU_E_NS1_11comp_targetILNS1_3genE5ELNS1_11target_archE942ELNS1_3gpuE9ELNS1_3repE0EEENS1_48merge_mergepath_partition_config_static_selectorELNS0_4arch9wavefront6targetE0EEEvSG_.num_vgpr, 0
	.set _ZN7rocprim17ROCPRIM_400000_NS6detail17trampoline_kernelINS0_14default_configENS1_38merge_sort_block_merge_config_selectorI6__halfNS0_10empty_typeEEEZZNS1_27merge_sort_block_merge_implIS3_PS5_PS6_jNS1_19radix_merge_compareILb1ELb0ES5_NS0_19identity_decomposerEEEEE10hipError_tT0_T1_T2_jT3_P12ihipStream_tbPNSt15iterator_traitsISF_E10value_typeEPNSL_ISG_E10value_typeEPSH_NS1_7vsmem_tEENKUlT_SF_SG_SH_E_clIS9_S9_SA_SA_EESE_SU_SF_SG_SH_EUlSU_E_NS1_11comp_targetILNS1_3genE5ELNS1_11target_archE942ELNS1_3gpuE9ELNS1_3repE0EEENS1_48merge_mergepath_partition_config_static_selectorELNS0_4arch9wavefront6targetE0EEEvSG_.num_agpr, 0
	.set _ZN7rocprim17ROCPRIM_400000_NS6detail17trampoline_kernelINS0_14default_configENS1_38merge_sort_block_merge_config_selectorI6__halfNS0_10empty_typeEEEZZNS1_27merge_sort_block_merge_implIS3_PS5_PS6_jNS1_19radix_merge_compareILb1ELb0ES5_NS0_19identity_decomposerEEEEE10hipError_tT0_T1_T2_jT3_P12ihipStream_tbPNSt15iterator_traitsISF_E10value_typeEPNSL_ISG_E10value_typeEPSH_NS1_7vsmem_tEENKUlT_SF_SG_SH_E_clIS9_S9_SA_SA_EESE_SU_SF_SG_SH_EUlSU_E_NS1_11comp_targetILNS1_3genE5ELNS1_11target_archE942ELNS1_3gpuE9ELNS1_3repE0EEENS1_48merge_mergepath_partition_config_static_selectorELNS0_4arch9wavefront6targetE0EEEvSG_.numbered_sgpr, 0
	.set _ZN7rocprim17ROCPRIM_400000_NS6detail17trampoline_kernelINS0_14default_configENS1_38merge_sort_block_merge_config_selectorI6__halfNS0_10empty_typeEEEZZNS1_27merge_sort_block_merge_implIS3_PS5_PS6_jNS1_19radix_merge_compareILb1ELb0ES5_NS0_19identity_decomposerEEEEE10hipError_tT0_T1_T2_jT3_P12ihipStream_tbPNSt15iterator_traitsISF_E10value_typeEPNSL_ISG_E10value_typeEPSH_NS1_7vsmem_tEENKUlT_SF_SG_SH_E_clIS9_S9_SA_SA_EESE_SU_SF_SG_SH_EUlSU_E_NS1_11comp_targetILNS1_3genE5ELNS1_11target_archE942ELNS1_3gpuE9ELNS1_3repE0EEENS1_48merge_mergepath_partition_config_static_selectorELNS0_4arch9wavefront6targetE0EEEvSG_.num_named_barrier, 0
	.set _ZN7rocprim17ROCPRIM_400000_NS6detail17trampoline_kernelINS0_14default_configENS1_38merge_sort_block_merge_config_selectorI6__halfNS0_10empty_typeEEEZZNS1_27merge_sort_block_merge_implIS3_PS5_PS6_jNS1_19radix_merge_compareILb1ELb0ES5_NS0_19identity_decomposerEEEEE10hipError_tT0_T1_T2_jT3_P12ihipStream_tbPNSt15iterator_traitsISF_E10value_typeEPNSL_ISG_E10value_typeEPSH_NS1_7vsmem_tEENKUlT_SF_SG_SH_E_clIS9_S9_SA_SA_EESE_SU_SF_SG_SH_EUlSU_E_NS1_11comp_targetILNS1_3genE5ELNS1_11target_archE942ELNS1_3gpuE9ELNS1_3repE0EEENS1_48merge_mergepath_partition_config_static_selectorELNS0_4arch9wavefront6targetE0EEEvSG_.private_seg_size, 0
	.set _ZN7rocprim17ROCPRIM_400000_NS6detail17trampoline_kernelINS0_14default_configENS1_38merge_sort_block_merge_config_selectorI6__halfNS0_10empty_typeEEEZZNS1_27merge_sort_block_merge_implIS3_PS5_PS6_jNS1_19radix_merge_compareILb1ELb0ES5_NS0_19identity_decomposerEEEEE10hipError_tT0_T1_T2_jT3_P12ihipStream_tbPNSt15iterator_traitsISF_E10value_typeEPNSL_ISG_E10value_typeEPSH_NS1_7vsmem_tEENKUlT_SF_SG_SH_E_clIS9_S9_SA_SA_EESE_SU_SF_SG_SH_EUlSU_E_NS1_11comp_targetILNS1_3genE5ELNS1_11target_archE942ELNS1_3gpuE9ELNS1_3repE0EEENS1_48merge_mergepath_partition_config_static_selectorELNS0_4arch9wavefront6targetE0EEEvSG_.uses_vcc, 0
	.set _ZN7rocprim17ROCPRIM_400000_NS6detail17trampoline_kernelINS0_14default_configENS1_38merge_sort_block_merge_config_selectorI6__halfNS0_10empty_typeEEEZZNS1_27merge_sort_block_merge_implIS3_PS5_PS6_jNS1_19radix_merge_compareILb1ELb0ES5_NS0_19identity_decomposerEEEEE10hipError_tT0_T1_T2_jT3_P12ihipStream_tbPNSt15iterator_traitsISF_E10value_typeEPNSL_ISG_E10value_typeEPSH_NS1_7vsmem_tEENKUlT_SF_SG_SH_E_clIS9_S9_SA_SA_EESE_SU_SF_SG_SH_EUlSU_E_NS1_11comp_targetILNS1_3genE5ELNS1_11target_archE942ELNS1_3gpuE9ELNS1_3repE0EEENS1_48merge_mergepath_partition_config_static_selectorELNS0_4arch9wavefront6targetE0EEEvSG_.uses_flat_scratch, 0
	.set _ZN7rocprim17ROCPRIM_400000_NS6detail17trampoline_kernelINS0_14default_configENS1_38merge_sort_block_merge_config_selectorI6__halfNS0_10empty_typeEEEZZNS1_27merge_sort_block_merge_implIS3_PS5_PS6_jNS1_19radix_merge_compareILb1ELb0ES5_NS0_19identity_decomposerEEEEE10hipError_tT0_T1_T2_jT3_P12ihipStream_tbPNSt15iterator_traitsISF_E10value_typeEPNSL_ISG_E10value_typeEPSH_NS1_7vsmem_tEENKUlT_SF_SG_SH_E_clIS9_S9_SA_SA_EESE_SU_SF_SG_SH_EUlSU_E_NS1_11comp_targetILNS1_3genE5ELNS1_11target_archE942ELNS1_3gpuE9ELNS1_3repE0EEENS1_48merge_mergepath_partition_config_static_selectorELNS0_4arch9wavefront6targetE0EEEvSG_.has_dyn_sized_stack, 0
	.set _ZN7rocprim17ROCPRIM_400000_NS6detail17trampoline_kernelINS0_14default_configENS1_38merge_sort_block_merge_config_selectorI6__halfNS0_10empty_typeEEEZZNS1_27merge_sort_block_merge_implIS3_PS5_PS6_jNS1_19radix_merge_compareILb1ELb0ES5_NS0_19identity_decomposerEEEEE10hipError_tT0_T1_T2_jT3_P12ihipStream_tbPNSt15iterator_traitsISF_E10value_typeEPNSL_ISG_E10value_typeEPSH_NS1_7vsmem_tEENKUlT_SF_SG_SH_E_clIS9_S9_SA_SA_EESE_SU_SF_SG_SH_EUlSU_E_NS1_11comp_targetILNS1_3genE5ELNS1_11target_archE942ELNS1_3gpuE9ELNS1_3repE0EEENS1_48merge_mergepath_partition_config_static_selectorELNS0_4arch9wavefront6targetE0EEEvSG_.has_recursion, 0
	.set _ZN7rocprim17ROCPRIM_400000_NS6detail17trampoline_kernelINS0_14default_configENS1_38merge_sort_block_merge_config_selectorI6__halfNS0_10empty_typeEEEZZNS1_27merge_sort_block_merge_implIS3_PS5_PS6_jNS1_19radix_merge_compareILb1ELb0ES5_NS0_19identity_decomposerEEEEE10hipError_tT0_T1_T2_jT3_P12ihipStream_tbPNSt15iterator_traitsISF_E10value_typeEPNSL_ISG_E10value_typeEPSH_NS1_7vsmem_tEENKUlT_SF_SG_SH_E_clIS9_S9_SA_SA_EESE_SU_SF_SG_SH_EUlSU_E_NS1_11comp_targetILNS1_3genE5ELNS1_11target_archE942ELNS1_3gpuE9ELNS1_3repE0EEENS1_48merge_mergepath_partition_config_static_selectorELNS0_4arch9wavefront6targetE0EEEvSG_.has_indirect_call, 0
	.section	.AMDGPU.csdata,"",@progbits
; Kernel info:
; codeLenInByte = 0
; TotalNumSgprs: 0
; NumVgprs: 0
; ScratchSize: 0
; MemoryBound: 0
; FloatMode: 240
; IeeeMode: 1
; LDSByteSize: 0 bytes/workgroup (compile time only)
; SGPRBlocks: 0
; VGPRBlocks: 0
; NumSGPRsForWavesPerEU: 1
; NumVGPRsForWavesPerEU: 1
; NamedBarCnt: 0
; Occupancy: 16
; WaveLimiterHint : 0
; COMPUTE_PGM_RSRC2:SCRATCH_EN: 0
; COMPUTE_PGM_RSRC2:USER_SGPR: 2
; COMPUTE_PGM_RSRC2:TRAP_HANDLER: 0
; COMPUTE_PGM_RSRC2:TGID_X_EN: 1
; COMPUTE_PGM_RSRC2:TGID_Y_EN: 0
; COMPUTE_PGM_RSRC2:TGID_Z_EN: 0
; COMPUTE_PGM_RSRC2:TIDIG_COMP_CNT: 0
	.section	.text._ZN7rocprim17ROCPRIM_400000_NS6detail17trampoline_kernelINS0_14default_configENS1_38merge_sort_block_merge_config_selectorI6__halfNS0_10empty_typeEEEZZNS1_27merge_sort_block_merge_implIS3_PS5_PS6_jNS1_19radix_merge_compareILb1ELb0ES5_NS0_19identity_decomposerEEEEE10hipError_tT0_T1_T2_jT3_P12ihipStream_tbPNSt15iterator_traitsISF_E10value_typeEPNSL_ISG_E10value_typeEPSH_NS1_7vsmem_tEENKUlT_SF_SG_SH_E_clIS9_S9_SA_SA_EESE_SU_SF_SG_SH_EUlSU_E_NS1_11comp_targetILNS1_3genE4ELNS1_11target_archE910ELNS1_3gpuE8ELNS1_3repE0EEENS1_48merge_mergepath_partition_config_static_selectorELNS0_4arch9wavefront6targetE0EEEvSG_,"axG",@progbits,_ZN7rocprim17ROCPRIM_400000_NS6detail17trampoline_kernelINS0_14default_configENS1_38merge_sort_block_merge_config_selectorI6__halfNS0_10empty_typeEEEZZNS1_27merge_sort_block_merge_implIS3_PS5_PS6_jNS1_19radix_merge_compareILb1ELb0ES5_NS0_19identity_decomposerEEEEE10hipError_tT0_T1_T2_jT3_P12ihipStream_tbPNSt15iterator_traitsISF_E10value_typeEPNSL_ISG_E10value_typeEPSH_NS1_7vsmem_tEENKUlT_SF_SG_SH_E_clIS9_S9_SA_SA_EESE_SU_SF_SG_SH_EUlSU_E_NS1_11comp_targetILNS1_3genE4ELNS1_11target_archE910ELNS1_3gpuE8ELNS1_3repE0EEENS1_48merge_mergepath_partition_config_static_selectorELNS0_4arch9wavefront6targetE0EEEvSG_,comdat
	.protected	_ZN7rocprim17ROCPRIM_400000_NS6detail17trampoline_kernelINS0_14default_configENS1_38merge_sort_block_merge_config_selectorI6__halfNS0_10empty_typeEEEZZNS1_27merge_sort_block_merge_implIS3_PS5_PS6_jNS1_19radix_merge_compareILb1ELb0ES5_NS0_19identity_decomposerEEEEE10hipError_tT0_T1_T2_jT3_P12ihipStream_tbPNSt15iterator_traitsISF_E10value_typeEPNSL_ISG_E10value_typeEPSH_NS1_7vsmem_tEENKUlT_SF_SG_SH_E_clIS9_S9_SA_SA_EESE_SU_SF_SG_SH_EUlSU_E_NS1_11comp_targetILNS1_3genE4ELNS1_11target_archE910ELNS1_3gpuE8ELNS1_3repE0EEENS1_48merge_mergepath_partition_config_static_selectorELNS0_4arch9wavefront6targetE0EEEvSG_ ; -- Begin function _ZN7rocprim17ROCPRIM_400000_NS6detail17trampoline_kernelINS0_14default_configENS1_38merge_sort_block_merge_config_selectorI6__halfNS0_10empty_typeEEEZZNS1_27merge_sort_block_merge_implIS3_PS5_PS6_jNS1_19radix_merge_compareILb1ELb0ES5_NS0_19identity_decomposerEEEEE10hipError_tT0_T1_T2_jT3_P12ihipStream_tbPNSt15iterator_traitsISF_E10value_typeEPNSL_ISG_E10value_typeEPSH_NS1_7vsmem_tEENKUlT_SF_SG_SH_E_clIS9_S9_SA_SA_EESE_SU_SF_SG_SH_EUlSU_E_NS1_11comp_targetILNS1_3genE4ELNS1_11target_archE910ELNS1_3gpuE8ELNS1_3repE0EEENS1_48merge_mergepath_partition_config_static_selectorELNS0_4arch9wavefront6targetE0EEEvSG_
	.globl	_ZN7rocprim17ROCPRIM_400000_NS6detail17trampoline_kernelINS0_14default_configENS1_38merge_sort_block_merge_config_selectorI6__halfNS0_10empty_typeEEEZZNS1_27merge_sort_block_merge_implIS3_PS5_PS6_jNS1_19radix_merge_compareILb1ELb0ES5_NS0_19identity_decomposerEEEEE10hipError_tT0_T1_T2_jT3_P12ihipStream_tbPNSt15iterator_traitsISF_E10value_typeEPNSL_ISG_E10value_typeEPSH_NS1_7vsmem_tEENKUlT_SF_SG_SH_E_clIS9_S9_SA_SA_EESE_SU_SF_SG_SH_EUlSU_E_NS1_11comp_targetILNS1_3genE4ELNS1_11target_archE910ELNS1_3gpuE8ELNS1_3repE0EEENS1_48merge_mergepath_partition_config_static_selectorELNS0_4arch9wavefront6targetE0EEEvSG_
	.p2align	8
	.type	_ZN7rocprim17ROCPRIM_400000_NS6detail17trampoline_kernelINS0_14default_configENS1_38merge_sort_block_merge_config_selectorI6__halfNS0_10empty_typeEEEZZNS1_27merge_sort_block_merge_implIS3_PS5_PS6_jNS1_19radix_merge_compareILb1ELb0ES5_NS0_19identity_decomposerEEEEE10hipError_tT0_T1_T2_jT3_P12ihipStream_tbPNSt15iterator_traitsISF_E10value_typeEPNSL_ISG_E10value_typeEPSH_NS1_7vsmem_tEENKUlT_SF_SG_SH_E_clIS9_S9_SA_SA_EESE_SU_SF_SG_SH_EUlSU_E_NS1_11comp_targetILNS1_3genE4ELNS1_11target_archE910ELNS1_3gpuE8ELNS1_3repE0EEENS1_48merge_mergepath_partition_config_static_selectorELNS0_4arch9wavefront6targetE0EEEvSG_,@function
_ZN7rocprim17ROCPRIM_400000_NS6detail17trampoline_kernelINS0_14default_configENS1_38merge_sort_block_merge_config_selectorI6__halfNS0_10empty_typeEEEZZNS1_27merge_sort_block_merge_implIS3_PS5_PS6_jNS1_19radix_merge_compareILb1ELb0ES5_NS0_19identity_decomposerEEEEE10hipError_tT0_T1_T2_jT3_P12ihipStream_tbPNSt15iterator_traitsISF_E10value_typeEPNSL_ISG_E10value_typeEPSH_NS1_7vsmem_tEENKUlT_SF_SG_SH_E_clIS9_S9_SA_SA_EESE_SU_SF_SG_SH_EUlSU_E_NS1_11comp_targetILNS1_3genE4ELNS1_11target_archE910ELNS1_3gpuE8ELNS1_3repE0EEENS1_48merge_mergepath_partition_config_static_selectorELNS0_4arch9wavefront6targetE0EEEvSG_: ; @_ZN7rocprim17ROCPRIM_400000_NS6detail17trampoline_kernelINS0_14default_configENS1_38merge_sort_block_merge_config_selectorI6__halfNS0_10empty_typeEEEZZNS1_27merge_sort_block_merge_implIS3_PS5_PS6_jNS1_19radix_merge_compareILb1ELb0ES5_NS0_19identity_decomposerEEEEE10hipError_tT0_T1_T2_jT3_P12ihipStream_tbPNSt15iterator_traitsISF_E10value_typeEPNSL_ISG_E10value_typeEPSH_NS1_7vsmem_tEENKUlT_SF_SG_SH_E_clIS9_S9_SA_SA_EESE_SU_SF_SG_SH_EUlSU_E_NS1_11comp_targetILNS1_3genE4ELNS1_11target_archE910ELNS1_3gpuE8ELNS1_3repE0EEENS1_48merge_mergepath_partition_config_static_selectorELNS0_4arch9wavefront6targetE0EEEvSG_
; %bb.0:
	.section	.rodata,"a",@progbits
	.p2align	6, 0x0
	.amdhsa_kernel _ZN7rocprim17ROCPRIM_400000_NS6detail17trampoline_kernelINS0_14default_configENS1_38merge_sort_block_merge_config_selectorI6__halfNS0_10empty_typeEEEZZNS1_27merge_sort_block_merge_implIS3_PS5_PS6_jNS1_19radix_merge_compareILb1ELb0ES5_NS0_19identity_decomposerEEEEE10hipError_tT0_T1_T2_jT3_P12ihipStream_tbPNSt15iterator_traitsISF_E10value_typeEPNSL_ISG_E10value_typeEPSH_NS1_7vsmem_tEENKUlT_SF_SG_SH_E_clIS9_S9_SA_SA_EESE_SU_SF_SG_SH_EUlSU_E_NS1_11comp_targetILNS1_3genE4ELNS1_11target_archE910ELNS1_3gpuE8ELNS1_3repE0EEENS1_48merge_mergepath_partition_config_static_selectorELNS0_4arch9wavefront6targetE0EEEvSG_
		.amdhsa_group_segment_fixed_size 0
		.amdhsa_private_segment_fixed_size 0
		.amdhsa_kernarg_size 40
		.amdhsa_user_sgpr_count 2
		.amdhsa_user_sgpr_dispatch_ptr 0
		.amdhsa_user_sgpr_queue_ptr 0
		.amdhsa_user_sgpr_kernarg_segment_ptr 1
		.amdhsa_user_sgpr_dispatch_id 0
		.amdhsa_user_sgpr_kernarg_preload_length 0
		.amdhsa_user_sgpr_kernarg_preload_offset 0
		.amdhsa_user_sgpr_private_segment_size 0
		.amdhsa_wavefront_size32 1
		.amdhsa_uses_dynamic_stack 0
		.amdhsa_enable_private_segment 0
		.amdhsa_system_sgpr_workgroup_id_x 1
		.amdhsa_system_sgpr_workgroup_id_y 0
		.amdhsa_system_sgpr_workgroup_id_z 0
		.amdhsa_system_sgpr_workgroup_info 0
		.amdhsa_system_vgpr_workitem_id 0
		.amdhsa_next_free_vgpr 1
		.amdhsa_next_free_sgpr 1
		.amdhsa_named_barrier_count 0
		.amdhsa_reserve_vcc 0
		.amdhsa_float_round_mode_32 0
		.amdhsa_float_round_mode_16_64 0
		.amdhsa_float_denorm_mode_32 3
		.amdhsa_float_denorm_mode_16_64 3
		.amdhsa_fp16_overflow 0
		.amdhsa_memory_ordered 1
		.amdhsa_forward_progress 1
		.amdhsa_inst_pref_size 0
		.amdhsa_round_robin_scheduling 0
		.amdhsa_exception_fp_ieee_invalid_op 0
		.amdhsa_exception_fp_denorm_src 0
		.amdhsa_exception_fp_ieee_div_zero 0
		.amdhsa_exception_fp_ieee_overflow 0
		.amdhsa_exception_fp_ieee_underflow 0
		.amdhsa_exception_fp_ieee_inexact 0
		.amdhsa_exception_int_div_zero 0
	.end_amdhsa_kernel
	.section	.text._ZN7rocprim17ROCPRIM_400000_NS6detail17trampoline_kernelINS0_14default_configENS1_38merge_sort_block_merge_config_selectorI6__halfNS0_10empty_typeEEEZZNS1_27merge_sort_block_merge_implIS3_PS5_PS6_jNS1_19radix_merge_compareILb1ELb0ES5_NS0_19identity_decomposerEEEEE10hipError_tT0_T1_T2_jT3_P12ihipStream_tbPNSt15iterator_traitsISF_E10value_typeEPNSL_ISG_E10value_typeEPSH_NS1_7vsmem_tEENKUlT_SF_SG_SH_E_clIS9_S9_SA_SA_EESE_SU_SF_SG_SH_EUlSU_E_NS1_11comp_targetILNS1_3genE4ELNS1_11target_archE910ELNS1_3gpuE8ELNS1_3repE0EEENS1_48merge_mergepath_partition_config_static_selectorELNS0_4arch9wavefront6targetE0EEEvSG_,"axG",@progbits,_ZN7rocprim17ROCPRIM_400000_NS6detail17trampoline_kernelINS0_14default_configENS1_38merge_sort_block_merge_config_selectorI6__halfNS0_10empty_typeEEEZZNS1_27merge_sort_block_merge_implIS3_PS5_PS6_jNS1_19radix_merge_compareILb1ELb0ES5_NS0_19identity_decomposerEEEEE10hipError_tT0_T1_T2_jT3_P12ihipStream_tbPNSt15iterator_traitsISF_E10value_typeEPNSL_ISG_E10value_typeEPSH_NS1_7vsmem_tEENKUlT_SF_SG_SH_E_clIS9_S9_SA_SA_EESE_SU_SF_SG_SH_EUlSU_E_NS1_11comp_targetILNS1_3genE4ELNS1_11target_archE910ELNS1_3gpuE8ELNS1_3repE0EEENS1_48merge_mergepath_partition_config_static_selectorELNS0_4arch9wavefront6targetE0EEEvSG_,comdat
.Lfunc_end2108:
	.size	_ZN7rocprim17ROCPRIM_400000_NS6detail17trampoline_kernelINS0_14default_configENS1_38merge_sort_block_merge_config_selectorI6__halfNS0_10empty_typeEEEZZNS1_27merge_sort_block_merge_implIS3_PS5_PS6_jNS1_19radix_merge_compareILb1ELb0ES5_NS0_19identity_decomposerEEEEE10hipError_tT0_T1_T2_jT3_P12ihipStream_tbPNSt15iterator_traitsISF_E10value_typeEPNSL_ISG_E10value_typeEPSH_NS1_7vsmem_tEENKUlT_SF_SG_SH_E_clIS9_S9_SA_SA_EESE_SU_SF_SG_SH_EUlSU_E_NS1_11comp_targetILNS1_3genE4ELNS1_11target_archE910ELNS1_3gpuE8ELNS1_3repE0EEENS1_48merge_mergepath_partition_config_static_selectorELNS0_4arch9wavefront6targetE0EEEvSG_, .Lfunc_end2108-_ZN7rocprim17ROCPRIM_400000_NS6detail17trampoline_kernelINS0_14default_configENS1_38merge_sort_block_merge_config_selectorI6__halfNS0_10empty_typeEEEZZNS1_27merge_sort_block_merge_implIS3_PS5_PS6_jNS1_19radix_merge_compareILb1ELb0ES5_NS0_19identity_decomposerEEEEE10hipError_tT0_T1_T2_jT3_P12ihipStream_tbPNSt15iterator_traitsISF_E10value_typeEPNSL_ISG_E10value_typeEPSH_NS1_7vsmem_tEENKUlT_SF_SG_SH_E_clIS9_S9_SA_SA_EESE_SU_SF_SG_SH_EUlSU_E_NS1_11comp_targetILNS1_3genE4ELNS1_11target_archE910ELNS1_3gpuE8ELNS1_3repE0EEENS1_48merge_mergepath_partition_config_static_selectorELNS0_4arch9wavefront6targetE0EEEvSG_
                                        ; -- End function
	.set _ZN7rocprim17ROCPRIM_400000_NS6detail17trampoline_kernelINS0_14default_configENS1_38merge_sort_block_merge_config_selectorI6__halfNS0_10empty_typeEEEZZNS1_27merge_sort_block_merge_implIS3_PS5_PS6_jNS1_19radix_merge_compareILb1ELb0ES5_NS0_19identity_decomposerEEEEE10hipError_tT0_T1_T2_jT3_P12ihipStream_tbPNSt15iterator_traitsISF_E10value_typeEPNSL_ISG_E10value_typeEPSH_NS1_7vsmem_tEENKUlT_SF_SG_SH_E_clIS9_S9_SA_SA_EESE_SU_SF_SG_SH_EUlSU_E_NS1_11comp_targetILNS1_3genE4ELNS1_11target_archE910ELNS1_3gpuE8ELNS1_3repE0EEENS1_48merge_mergepath_partition_config_static_selectorELNS0_4arch9wavefront6targetE0EEEvSG_.num_vgpr, 0
	.set _ZN7rocprim17ROCPRIM_400000_NS6detail17trampoline_kernelINS0_14default_configENS1_38merge_sort_block_merge_config_selectorI6__halfNS0_10empty_typeEEEZZNS1_27merge_sort_block_merge_implIS3_PS5_PS6_jNS1_19radix_merge_compareILb1ELb0ES5_NS0_19identity_decomposerEEEEE10hipError_tT0_T1_T2_jT3_P12ihipStream_tbPNSt15iterator_traitsISF_E10value_typeEPNSL_ISG_E10value_typeEPSH_NS1_7vsmem_tEENKUlT_SF_SG_SH_E_clIS9_S9_SA_SA_EESE_SU_SF_SG_SH_EUlSU_E_NS1_11comp_targetILNS1_3genE4ELNS1_11target_archE910ELNS1_3gpuE8ELNS1_3repE0EEENS1_48merge_mergepath_partition_config_static_selectorELNS0_4arch9wavefront6targetE0EEEvSG_.num_agpr, 0
	.set _ZN7rocprim17ROCPRIM_400000_NS6detail17trampoline_kernelINS0_14default_configENS1_38merge_sort_block_merge_config_selectorI6__halfNS0_10empty_typeEEEZZNS1_27merge_sort_block_merge_implIS3_PS5_PS6_jNS1_19radix_merge_compareILb1ELb0ES5_NS0_19identity_decomposerEEEEE10hipError_tT0_T1_T2_jT3_P12ihipStream_tbPNSt15iterator_traitsISF_E10value_typeEPNSL_ISG_E10value_typeEPSH_NS1_7vsmem_tEENKUlT_SF_SG_SH_E_clIS9_S9_SA_SA_EESE_SU_SF_SG_SH_EUlSU_E_NS1_11comp_targetILNS1_3genE4ELNS1_11target_archE910ELNS1_3gpuE8ELNS1_3repE0EEENS1_48merge_mergepath_partition_config_static_selectorELNS0_4arch9wavefront6targetE0EEEvSG_.numbered_sgpr, 0
	.set _ZN7rocprim17ROCPRIM_400000_NS6detail17trampoline_kernelINS0_14default_configENS1_38merge_sort_block_merge_config_selectorI6__halfNS0_10empty_typeEEEZZNS1_27merge_sort_block_merge_implIS3_PS5_PS6_jNS1_19radix_merge_compareILb1ELb0ES5_NS0_19identity_decomposerEEEEE10hipError_tT0_T1_T2_jT3_P12ihipStream_tbPNSt15iterator_traitsISF_E10value_typeEPNSL_ISG_E10value_typeEPSH_NS1_7vsmem_tEENKUlT_SF_SG_SH_E_clIS9_S9_SA_SA_EESE_SU_SF_SG_SH_EUlSU_E_NS1_11comp_targetILNS1_3genE4ELNS1_11target_archE910ELNS1_3gpuE8ELNS1_3repE0EEENS1_48merge_mergepath_partition_config_static_selectorELNS0_4arch9wavefront6targetE0EEEvSG_.num_named_barrier, 0
	.set _ZN7rocprim17ROCPRIM_400000_NS6detail17trampoline_kernelINS0_14default_configENS1_38merge_sort_block_merge_config_selectorI6__halfNS0_10empty_typeEEEZZNS1_27merge_sort_block_merge_implIS3_PS5_PS6_jNS1_19radix_merge_compareILb1ELb0ES5_NS0_19identity_decomposerEEEEE10hipError_tT0_T1_T2_jT3_P12ihipStream_tbPNSt15iterator_traitsISF_E10value_typeEPNSL_ISG_E10value_typeEPSH_NS1_7vsmem_tEENKUlT_SF_SG_SH_E_clIS9_S9_SA_SA_EESE_SU_SF_SG_SH_EUlSU_E_NS1_11comp_targetILNS1_3genE4ELNS1_11target_archE910ELNS1_3gpuE8ELNS1_3repE0EEENS1_48merge_mergepath_partition_config_static_selectorELNS0_4arch9wavefront6targetE0EEEvSG_.private_seg_size, 0
	.set _ZN7rocprim17ROCPRIM_400000_NS6detail17trampoline_kernelINS0_14default_configENS1_38merge_sort_block_merge_config_selectorI6__halfNS0_10empty_typeEEEZZNS1_27merge_sort_block_merge_implIS3_PS5_PS6_jNS1_19radix_merge_compareILb1ELb0ES5_NS0_19identity_decomposerEEEEE10hipError_tT0_T1_T2_jT3_P12ihipStream_tbPNSt15iterator_traitsISF_E10value_typeEPNSL_ISG_E10value_typeEPSH_NS1_7vsmem_tEENKUlT_SF_SG_SH_E_clIS9_S9_SA_SA_EESE_SU_SF_SG_SH_EUlSU_E_NS1_11comp_targetILNS1_3genE4ELNS1_11target_archE910ELNS1_3gpuE8ELNS1_3repE0EEENS1_48merge_mergepath_partition_config_static_selectorELNS0_4arch9wavefront6targetE0EEEvSG_.uses_vcc, 0
	.set _ZN7rocprim17ROCPRIM_400000_NS6detail17trampoline_kernelINS0_14default_configENS1_38merge_sort_block_merge_config_selectorI6__halfNS0_10empty_typeEEEZZNS1_27merge_sort_block_merge_implIS3_PS5_PS6_jNS1_19radix_merge_compareILb1ELb0ES5_NS0_19identity_decomposerEEEEE10hipError_tT0_T1_T2_jT3_P12ihipStream_tbPNSt15iterator_traitsISF_E10value_typeEPNSL_ISG_E10value_typeEPSH_NS1_7vsmem_tEENKUlT_SF_SG_SH_E_clIS9_S9_SA_SA_EESE_SU_SF_SG_SH_EUlSU_E_NS1_11comp_targetILNS1_3genE4ELNS1_11target_archE910ELNS1_3gpuE8ELNS1_3repE0EEENS1_48merge_mergepath_partition_config_static_selectorELNS0_4arch9wavefront6targetE0EEEvSG_.uses_flat_scratch, 0
	.set _ZN7rocprim17ROCPRIM_400000_NS6detail17trampoline_kernelINS0_14default_configENS1_38merge_sort_block_merge_config_selectorI6__halfNS0_10empty_typeEEEZZNS1_27merge_sort_block_merge_implIS3_PS5_PS6_jNS1_19radix_merge_compareILb1ELb0ES5_NS0_19identity_decomposerEEEEE10hipError_tT0_T1_T2_jT3_P12ihipStream_tbPNSt15iterator_traitsISF_E10value_typeEPNSL_ISG_E10value_typeEPSH_NS1_7vsmem_tEENKUlT_SF_SG_SH_E_clIS9_S9_SA_SA_EESE_SU_SF_SG_SH_EUlSU_E_NS1_11comp_targetILNS1_3genE4ELNS1_11target_archE910ELNS1_3gpuE8ELNS1_3repE0EEENS1_48merge_mergepath_partition_config_static_selectorELNS0_4arch9wavefront6targetE0EEEvSG_.has_dyn_sized_stack, 0
	.set _ZN7rocprim17ROCPRIM_400000_NS6detail17trampoline_kernelINS0_14default_configENS1_38merge_sort_block_merge_config_selectorI6__halfNS0_10empty_typeEEEZZNS1_27merge_sort_block_merge_implIS3_PS5_PS6_jNS1_19radix_merge_compareILb1ELb0ES5_NS0_19identity_decomposerEEEEE10hipError_tT0_T1_T2_jT3_P12ihipStream_tbPNSt15iterator_traitsISF_E10value_typeEPNSL_ISG_E10value_typeEPSH_NS1_7vsmem_tEENKUlT_SF_SG_SH_E_clIS9_S9_SA_SA_EESE_SU_SF_SG_SH_EUlSU_E_NS1_11comp_targetILNS1_3genE4ELNS1_11target_archE910ELNS1_3gpuE8ELNS1_3repE0EEENS1_48merge_mergepath_partition_config_static_selectorELNS0_4arch9wavefront6targetE0EEEvSG_.has_recursion, 0
	.set _ZN7rocprim17ROCPRIM_400000_NS6detail17trampoline_kernelINS0_14default_configENS1_38merge_sort_block_merge_config_selectorI6__halfNS0_10empty_typeEEEZZNS1_27merge_sort_block_merge_implIS3_PS5_PS6_jNS1_19radix_merge_compareILb1ELb0ES5_NS0_19identity_decomposerEEEEE10hipError_tT0_T1_T2_jT3_P12ihipStream_tbPNSt15iterator_traitsISF_E10value_typeEPNSL_ISG_E10value_typeEPSH_NS1_7vsmem_tEENKUlT_SF_SG_SH_E_clIS9_S9_SA_SA_EESE_SU_SF_SG_SH_EUlSU_E_NS1_11comp_targetILNS1_3genE4ELNS1_11target_archE910ELNS1_3gpuE8ELNS1_3repE0EEENS1_48merge_mergepath_partition_config_static_selectorELNS0_4arch9wavefront6targetE0EEEvSG_.has_indirect_call, 0
	.section	.AMDGPU.csdata,"",@progbits
; Kernel info:
; codeLenInByte = 0
; TotalNumSgprs: 0
; NumVgprs: 0
; ScratchSize: 0
; MemoryBound: 0
; FloatMode: 240
; IeeeMode: 1
; LDSByteSize: 0 bytes/workgroup (compile time only)
; SGPRBlocks: 0
; VGPRBlocks: 0
; NumSGPRsForWavesPerEU: 1
; NumVGPRsForWavesPerEU: 1
; NamedBarCnt: 0
; Occupancy: 16
; WaveLimiterHint : 0
; COMPUTE_PGM_RSRC2:SCRATCH_EN: 0
; COMPUTE_PGM_RSRC2:USER_SGPR: 2
; COMPUTE_PGM_RSRC2:TRAP_HANDLER: 0
; COMPUTE_PGM_RSRC2:TGID_X_EN: 1
; COMPUTE_PGM_RSRC2:TGID_Y_EN: 0
; COMPUTE_PGM_RSRC2:TGID_Z_EN: 0
; COMPUTE_PGM_RSRC2:TIDIG_COMP_CNT: 0
	.section	.text._ZN7rocprim17ROCPRIM_400000_NS6detail17trampoline_kernelINS0_14default_configENS1_38merge_sort_block_merge_config_selectorI6__halfNS0_10empty_typeEEEZZNS1_27merge_sort_block_merge_implIS3_PS5_PS6_jNS1_19radix_merge_compareILb1ELb0ES5_NS0_19identity_decomposerEEEEE10hipError_tT0_T1_T2_jT3_P12ihipStream_tbPNSt15iterator_traitsISF_E10value_typeEPNSL_ISG_E10value_typeEPSH_NS1_7vsmem_tEENKUlT_SF_SG_SH_E_clIS9_S9_SA_SA_EESE_SU_SF_SG_SH_EUlSU_E_NS1_11comp_targetILNS1_3genE3ELNS1_11target_archE908ELNS1_3gpuE7ELNS1_3repE0EEENS1_48merge_mergepath_partition_config_static_selectorELNS0_4arch9wavefront6targetE0EEEvSG_,"axG",@progbits,_ZN7rocprim17ROCPRIM_400000_NS6detail17trampoline_kernelINS0_14default_configENS1_38merge_sort_block_merge_config_selectorI6__halfNS0_10empty_typeEEEZZNS1_27merge_sort_block_merge_implIS3_PS5_PS6_jNS1_19radix_merge_compareILb1ELb0ES5_NS0_19identity_decomposerEEEEE10hipError_tT0_T1_T2_jT3_P12ihipStream_tbPNSt15iterator_traitsISF_E10value_typeEPNSL_ISG_E10value_typeEPSH_NS1_7vsmem_tEENKUlT_SF_SG_SH_E_clIS9_S9_SA_SA_EESE_SU_SF_SG_SH_EUlSU_E_NS1_11comp_targetILNS1_3genE3ELNS1_11target_archE908ELNS1_3gpuE7ELNS1_3repE0EEENS1_48merge_mergepath_partition_config_static_selectorELNS0_4arch9wavefront6targetE0EEEvSG_,comdat
	.protected	_ZN7rocprim17ROCPRIM_400000_NS6detail17trampoline_kernelINS0_14default_configENS1_38merge_sort_block_merge_config_selectorI6__halfNS0_10empty_typeEEEZZNS1_27merge_sort_block_merge_implIS3_PS5_PS6_jNS1_19radix_merge_compareILb1ELb0ES5_NS0_19identity_decomposerEEEEE10hipError_tT0_T1_T2_jT3_P12ihipStream_tbPNSt15iterator_traitsISF_E10value_typeEPNSL_ISG_E10value_typeEPSH_NS1_7vsmem_tEENKUlT_SF_SG_SH_E_clIS9_S9_SA_SA_EESE_SU_SF_SG_SH_EUlSU_E_NS1_11comp_targetILNS1_3genE3ELNS1_11target_archE908ELNS1_3gpuE7ELNS1_3repE0EEENS1_48merge_mergepath_partition_config_static_selectorELNS0_4arch9wavefront6targetE0EEEvSG_ ; -- Begin function _ZN7rocprim17ROCPRIM_400000_NS6detail17trampoline_kernelINS0_14default_configENS1_38merge_sort_block_merge_config_selectorI6__halfNS0_10empty_typeEEEZZNS1_27merge_sort_block_merge_implIS3_PS5_PS6_jNS1_19radix_merge_compareILb1ELb0ES5_NS0_19identity_decomposerEEEEE10hipError_tT0_T1_T2_jT3_P12ihipStream_tbPNSt15iterator_traitsISF_E10value_typeEPNSL_ISG_E10value_typeEPSH_NS1_7vsmem_tEENKUlT_SF_SG_SH_E_clIS9_S9_SA_SA_EESE_SU_SF_SG_SH_EUlSU_E_NS1_11comp_targetILNS1_3genE3ELNS1_11target_archE908ELNS1_3gpuE7ELNS1_3repE0EEENS1_48merge_mergepath_partition_config_static_selectorELNS0_4arch9wavefront6targetE0EEEvSG_
	.globl	_ZN7rocprim17ROCPRIM_400000_NS6detail17trampoline_kernelINS0_14default_configENS1_38merge_sort_block_merge_config_selectorI6__halfNS0_10empty_typeEEEZZNS1_27merge_sort_block_merge_implIS3_PS5_PS6_jNS1_19radix_merge_compareILb1ELb0ES5_NS0_19identity_decomposerEEEEE10hipError_tT0_T1_T2_jT3_P12ihipStream_tbPNSt15iterator_traitsISF_E10value_typeEPNSL_ISG_E10value_typeEPSH_NS1_7vsmem_tEENKUlT_SF_SG_SH_E_clIS9_S9_SA_SA_EESE_SU_SF_SG_SH_EUlSU_E_NS1_11comp_targetILNS1_3genE3ELNS1_11target_archE908ELNS1_3gpuE7ELNS1_3repE0EEENS1_48merge_mergepath_partition_config_static_selectorELNS0_4arch9wavefront6targetE0EEEvSG_
	.p2align	8
	.type	_ZN7rocprim17ROCPRIM_400000_NS6detail17trampoline_kernelINS0_14default_configENS1_38merge_sort_block_merge_config_selectorI6__halfNS0_10empty_typeEEEZZNS1_27merge_sort_block_merge_implIS3_PS5_PS6_jNS1_19radix_merge_compareILb1ELb0ES5_NS0_19identity_decomposerEEEEE10hipError_tT0_T1_T2_jT3_P12ihipStream_tbPNSt15iterator_traitsISF_E10value_typeEPNSL_ISG_E10value_typeEPSH_NS1_7vsmem_tEENKUlT_SF_SG_SH_E_clIS9_S9_SA_SA_EESE_SU_SF_SG_SH_EUlSU_E_NS1_11comp_targetILNS1_3genE3ELNS1_11target_archE908ELNS1_3gpuE7ELNS1_3repE0EEENS1_48merge_mergepath_partition_config_static_selectorELNS0_4arch9wavefront6targetE0EEEvSG_,@function
_ZN7rocprim17ROCPRIM_400000_NS6detail17trampoline_kernelINS0_14default_configENS1_38merge_sort_block_merge_config_selectorI6__halfNS0_10empty_typeEEEZZNS1_27merge_sort_block_merge_implIS3_PS5_PS6_jNS1_19radix_merge_compareILb1ELb0ES5_NS0_19identity_decomposerEEEEE10hipError_tT0_T1_T2_jT3_P12ihipStream_tbPNSt15iterator_traitsISF_E10value_typeEPNSL_ISG_E10value_typeEPSH_NS1_7vsmem_tEENKUlT_SF_SG_SH_E_clIS9_S9_SA_SA_EESE_SU_SF_SG_SH_EUlSU_E_NS1_11comp_targetILNS1_3genE3ELNS1_11target_archE908ELNS1_3gpuE7ELNS1_3repE0EEENS1_48merge_mergepath_partition_config_static_selectorELNS0_4arch9wavefront6targetE0EEEvSG_: ; @_ZN7rocprim17ROCPRIM_400000_NS6detail17trampoline_kernelINS0_14default_configENS1_38merge_sort_block_merge_config_selectorI6__halfNS0_10empty_typeEEEZZNS1_27merge_sort_block_merge_implIS3_PS5_PS6_jNS1_19radix_merge_compareILb1ELb0ES5_NS0_19identity_decomposerEEEEE10hipError_tT0_T1_T2_jT3_P12ihipStream_tbPNSt15iterator_traitsISF_E10value_typeEPNSL_ISG_E10value_typeEPSH_NS1_7vsmem_tEENKUlT_SF_SG_SH_E_clIS9_S9_SA_SA_EESE_SU_SF_SG_SH_EUlSU_E_NS1_11comp_targetILNS1_3genE3ELNS1_11target_archE908ELNS1_3gpuE7ELNS1_3repE0EEENS1_48merge_mergepath_partition_config_static_selectorELNS0_4arch9wavefront6targetE0EEEvSG_
; %bb.0:
	.section	.rodata,"a",@progbits
	.p2align	6, 0x0
	.amdhsa_kernel _ZN7rocprim17ROCPRIM_400000_NS6detail17trampoline_kernelINS0_14default_configENS1_38merge_sort_block_merge_config_selectorI6__halfNS0_10empty_typeEEEZZNS1_27merge_sort_block_merge_implIS3_PS5_PS6_jNS1_19radix_merge_compareILb1ELb0ES5_NS0_19identity_decomposerEEEEE10hipError_tT0_T1_T2_jT3_P12ihipStream_tbPNSt15iterator_traitsISF_E10value_typeEPNSL_ISG_E10value_typeEPSH_NS1_7vsmem_tEENKUlT_SF_SG_SH_E_clIS9_S9_SA_SA_EESE_SU_SF_SG_SH_EUlSU_E_NS1_11comp_targetILNS1_3genE3ELNS1_11target_archE908ELNS1_3gpuE7ELNS1_3repE0EEENS1_48merge_mergepath_partition_config_static_selectorELNS0_4arch9wavefront6targetE0EEEvSG_
		.amdhsa_group_segment_fixed_size 0
		.amdhsa_private_segment_fixed_size 0
		.amdhsa_kernarg_size 40
		.amdhsa_user_sgpr_count 2
		.amdhsa_user_sgpr_dispatch_ptr 0
		.amdhsa_user_sgpr_queue_ptr 0
		.amdhsa_user_sgpr_kernarg_segment_ptr 1
		.amdhsa_user_sgpr_dispatch_id 0
		.amdhsa_user_sgpr_kernarg_preload_length 0
		.amdhsa_user_sgpr_kernarg_preload_offset 0
		.amdhsa_user_sgpr_private_segment_size 0
		.amdhsa_wavefront_size32 1
		.amdhsa_uses_dynamic_stack 0
		.amdhsa_enable_private_segment 0
		.amdhsa_system_sgpr_workgroup_id_x 1
		.amdhsa_system_sgpr_workgroup_id_y 0
		.amdhsa_system_sgpr_workgroup_id_z 0
		.amdhsa_system_sgpr_workgroup_info 0
		.amdhsa_system_vgpr_workitem_id 0
		.amdhsa_next_free_vgpr 1
		.amdhsa_next_free_sgpr 1
		.amdhsa_named_barrier_count 0
		.amdhsa_reserve_vcc 0
		.amdhsa_float_round_mode_32 0
		.amdhsa_float_round_mode_16_64 0
		.amdhsa_float_denorm_mode_32 3
		.amdhsa_float_denorm_mode_16_64 3
		.amdhsa_fp16_overflow 0
		.amdhsa_memory_ordered 1
		.amdhsa_forward_progress 1
		.amdhsa_inst_pref_size 0
		.amdhsa_round_robin_scheduling 0
		.amdhsa_exception_fp_ieee_invalid_op 0
		.amdhsa_exception_fp_denorm_src 0
		.amdhsa_exception_fp_ieee_div_zero 0
		.amdhsa_exception_fp_ieee_overflow 0
		.amdhsa_exception_fp_ieee_underflow 0
		.amdhsa_exception_fp_ieee_inexact 0
		.amdhsa_exception_int_div_zero 0
	.end_amdhsa_kernel
	.section	.text._ZN7rocprim17ROCPRIM_400000_NS6detail17trampoline_kernelINS0_14default_configENS1_38merge_sort_block_merge_config_selectorI6__halfNS0_10empty_typeEEEZZNS1_27merge_sort_block_merge_implIS3_PS5_PS6_jNS1_19radix_merge_compareILb1ELb0ES5_NS0_19identity_decomposerEEEEE10hipError_tT0_T1_T2_jT3_P12ihipStream_tbPNSt15iterator_traitsISF_E10value_typeEPNSL_ISG_E10value_typeEPSH_NS1_7vsmem_tEENKUlT_SF_SG_SH_E_clIS9_S9_SA_SA_EESE_SU_SF_SG_SH_EUlSU_E_NS1_11comp_targetILNS1_3genE3ELNS1_11target_archE908ELNS1_3gpuE7ELNS1_3repE0EEENS1_48merge_mergepath_partition_config_static_selectorELNS0_4arch9wavefront6targetE0EEEvSG_,"axG",@progbits,_ZN7rocprim17ROCPRIM_400000_NS6detail17trampoline_kernelINS0_14default_configENS1_38merge_sort_block_merge_config_selectorI6__halfNS0_10empty_typeEEEZZNS1_27merge_sort_block_merge_implIS3_PS5_PS6_jNS1_19radix_merge_compareILb1ELb0ES5_NS0_19identity_decomposerEEEEE10hipError_tT0_T1_T2_jT3_P12ihipStream_tbPNSt15iterator_traitsISF_E10value_typeEPNSL_ISG_E10value_typeEPSH_NS1_7vsmem_tEENKUlT_SF_SG_SH_E_clIS9_S9_SA_SA_EESE_SU_SF_SG_SH_EUlSU_E_NS1_11comp_targetILNS1_3genE3ELNS1_11target_archE908ELNS1_3gpuE7ELNS1_3repE0EEENS1_48merge_mergepath_partition_config_static_selectorELNS0_4arch9wavefront6targetE0EEEvSG_,comdat
.Lfunc_end2109:
	.size	_ZN7rocprim17ROCPRIM_400000_NS6detail17trampoline_kernelINS0_14default_configENS1_38merge_sort_block_merge_config_selectorI6__halfNS0_10empty_typeEEEZZNS1_27merge_sort_block_merge_implIS3_PS5_PS6_jNS1_19radix_merge_compareILb1ELb0ES5_NS0_19identity_decomposerEEEEE10hipError_tT0_T1_T2_jT3_P12ihipStream_tbPNSt15iterator_traitsISF_E10value_typeEPNSL_ISG_E10value_typeEPSH_NS1_7vsmem_tEENKUlT_SF_SG_SH_E_clIS9_S9_SA_SA_EESE_SU_SF_SG_SH_EUlSU_E_NS1_11comp_targetILNS1_3genE3ELNS1_11target_archE908ELNS1_3gpuE7ELNS1_3repE0EEENS1_48merge_mergepath_partition_config_static_selectorELNS0_4arch9wavefront6targetE0EEEvSG_, .Lfunc_end2109-_ZN7rocprim17ROCPRIM_400000_NS6detail17trampoline_kernelINS0_14default_configENS1_38merge_sort_block_merge_config_selectorI6__halfNS0_10empty_typeEEEZZNS1_27merge_sort_block_merge_implIS3_PS5_PS6_jNS1_19radix_merge_compareILb1ELb0ES5_NS0_19identity_decomposerEEEEE10hipError_tT0_T1_T2_jT3_P12ihipStream_tbPNSt15iterator_traitsISF_E10value_typeEPNSL_ISG_E10value_typeEPSH_NS1_7vsmem_tEENKUlT_SF_SG_SH_E_clIS9_S9_SA_SA_EESE_SU_SF_SG_SH_EUlSU_E_NS1_11comp_targetILNS1_3genE3ELNS1_11target_archE908ELNS1_3gpuE7ELNS1_3repE0EEENS1_48merge_mergepath_partition_config_static_selectorELNS0_4arch9wavefront6targetE0EEEvSG_
                                        ; -- End function
	.set _ZN7rocprim17ROCPRIM_400000_NS6detail17trampoline_kernelINS0_14default_configENS1_38merge_sort_block_merge_config_selectorI6__halfNS0_10empty_typeEEEZZNS1_27merge_sort_block_merge_implIS3_PS5_PS6_jNS1_19radix_merge_compareILb1ELb0ES5_NS0_19identity_decomposerEEEEE10hipError_tT0_T1_T2_jT3_P12ihipStream_tbPNSt15iterator_traitsISF_E10value_typeEPNSL_ISG_E10value_typeEPSH_NS1_7vsmem_tEENKUlT_SF_SG_SH_E_clIS9_S9_SA_SA_EESE_SU_SF_SG_SH_EUlSU_E_NS1_11comp_targetILNS1_3genE3ELNS1_11target_archE908ELNS1_3gpuE7ELNS1_3repE0EEENS1_48merge_mergepath_partition_config_static_selectorELNS0_4arch9wavefront6targetE0EEEvSG_.num_vgpr, 0
	.set _ZN7rocprim17ROCPRIM_400000_NS6detail17trampoline_kernelINS0_14default_configENS1_38merge_sort_block_merge_config_selectorI6__halfNS0_10empty_typeEEEZZNS1_27merge_sort_block_merge_implIS3_PS5_PS6_jNS1_19radix_merge_compareILb1ELb0ES5_NS0_19identity_decomposerEEEEE10hipError_tT0_T1_T2_jT3_P12ihipStream_tbPNSt15iterator_traitsISF_E10value_typeEPNSL_ISG_E10value_typeEPSH_NS1_7vsmem_tEENKUlT_SF_SG_SH_E_clIS9_S9_SA_SA_EESE_SU_SF_SG_SH_EUlSU_E_NS1_11comp_targetILNS1_3genE3ELNS1_11target_archE908ELNS1_3gpuE7ELNS1_3repE0EEENS1_48merge_mergepath_partition_config_static_selectorELNS0_4arch9wavefront6targetE0EEEvSG_.num_agpr, 0
	.set _ZN7rocprim17ROCPRIM_400000_NS6detail17trampoline_kernelINS0_14default_configENS1_38merge_sort_block_merge_config_selectorI6__halfNS0_10empty_typeEEEZZNS1_27merge_sort_block_merge_implIS3_PS5_PS6_jNS1_19radix_merge_compareILb1ELb0ES5_NS0_19identity_decomposerEEEEE10hipError_tT0_T1_T2_jT3_P12ihipStream_tbPNSt15iterator_traitsISF_E10value_typeEPNSL_ISG_E10value_typeEPSH_NS1_7vsmem_tEENKUlT_SF_SG_SH_E_clIS9_S9_SA_SA_EESE_SU_SF_SG_SH_EUlSU_E_NS1_11comp_targetILNS1_3genE3ELNS1_11target_archE908ELNS1_3gpuE7ELNS1_3repE0EEENS1_48merge_mergepath_partition_config_static_selectorELNS0_4arch9wavefront6targetE0EEEvSG_.numbered_sgpr, 0
	.set _ZN7rocprim17ROCPRIM_400000_NS6detail17trampoline_kernelINS0_14default_configENS1_38merge_sort_block_merge_config_selectorI6__halfNS0_10empty_typeEEEZZNS1_27merge_sort_block_merge_implIS3_PS5_PS6_jNS1_19radix_merge_compareILb1ELb0ES5_NS0_19identity_decomposerEEEEE10hipError_tT0_T1_T2_jT3_P12ihipStream_tbPNSt15iterator_traitsISF_E10value_typeEPNSL_ISG_E10value_typeEPSH_NS1_7vsmem_tEENKUlT_SF_SG_SH_E_clIS9_S9_SA_SA_EESE_SU_SF_SG_SH_EUlSU_E_NS1_11comp_targetILNS1_3genE3ELNS1_11target_archE908ELNS1_3gpuE7ELNS1_3repE0EEENS1_48merge_mergepath_partition_config_static_selectorELNS0_4arch9wavefront6targetE0EEEvSG_.num_named_barrier, 0
	.set _ZN7rocprim17ROCPRIM_400000_NS6detail17trampoline_kernelINS0_14default_configENS1_38merge_sort_block_merge_config_selectorI6__halfNS0_10empty_typeEEEZZNS1_27merge_sort_block_merge_implIS3_PS5_PS6_jNS1_19radix_merge_compareILb1ELb0ES5_NS0_19identity_decomposerEEEEE10hipError_tT0_T1_T2_jT3_P12ihipStream_tbPNSt15iterator_traitsISF_E10value_typeEPNSL_ISG_E10value_typeEPSH_NS1_7vsmem_tEENKUlT_SF_SG_SH_E_clIS9_S9_SA_SA_EESE_SU_SF_SG_SH_EUlSU_E_NS1_11comp_targetILNS1_3genE3ELNS1_11target_archE908ELNS1_3gpuE7ELNS1_3repE0EEENS1_48merge_mergepath_partition_config_static_selectorELNS0_4arch9wavefront6targetE0EEEvSG_.private_seg_size, 0
	.set _ZN7rocprim17ROCPRIM_400000_NS6detail17trampoline_kernelINS0_14default_configENS1_38merge_sort_block_merge_config_selectorI6__halfNS0_10empty_typeEEEZZNS1_27merge_sort_block_merge_implIS3_PS5_PS6_jNS1_19radix_merge_compareILb1ELb0ES5_NS0_19identity_decomposerEEEEE10hipError_tT0_T1_T2_jT3_P12ihipStream_tbPNSt15iterator_traitsISF_E10value_typeEPNSL_ISG_E10value_typeEPSH_NS1_7vsmem_tEENKUlT_SF_SG_SH_E_clIS9_S9_SA_SA_EESE_SU_SF_SG_SH_EUlSU_E_NS1_11comp_targetILNS1_3genE3ELNS1_11target_archE908ELNS1_3gpuE7ELNS1_3repE0EEENS1_48merge_mergepath_partition_config_static_selectorELNS0_4arch9wavefront6targetE0EEEvSG_.uses_vcc, 0
	.set _ZN7rocprim17ROCPRIM_400000_NS6detail17trampoline_kernelINS0_14default_configENS1_38merge_sort_block_merge_config_selectorI6__halfNS0_10empty_typeEEEZZNS1_27merge_sort_block_merge_implIS3_PS5_PS6_jNS1_19radix_merge_compareILb1ELb0ES5_NS0_19identity_decomposerEEEEE10hipError_tT0_T1_T2_jT3_P12ihipStream_tbPNSt15iterator_traitsISF_E10value_typeEPNSL_ISG_E10value_typeEPSH_NS1_7vsmem_tEENKUlT_SF_SG_SH_E_clIS9_S9_SA_SA_EESE_SU_SF_SG_SH_EUlSU_E_NS1_11comp_targetILNS1_3genE3ELNS1_11target_archE908ELNS1_3gpuE7ELNS1_3repE0EEENS1_48merge_mergepath_partition_config_static_selectorELNS0_4arch9wavefront6targetE0EEEvSG_.uses_flat_scratch, 0
	.set _ZN7rocprim17ROCPRIM_400000_NS6detail17trampoline_kernelINS0_14default_configENS1_38merge_sort_block_merge_config_selectorI6__halfNS0_10empty_typeEEEZZNS1_27merge_sort_block_merge_implIS3_PS5_PS6_jNS1_19radix_merge_compareILb1ELb0ES5_NS0_19identity_decomposerEEEEE10hipError_tT0_T1_T2_jT3_P12ihipStream_tbPNSt15iterator_traitsISF_E10value_typeEPNSL_ISG_E10value_typeEPSH_NS1_7vsmem_tEENKUlT_SF_SG_SH_E_clIS9_S9_SA_SA_EESE_SU_SF_SG_SH_EUlSU_E_NS1_11comp_targetILNS1_3genE3ELNS1_11target_archE908ELNS1_3gpuE7ELNS1_3repE0EEENS1_48merge_mergepath_partition_config_static_selectorELNS0_4arch9wavefront6targetE0EEEvSG_.has_dyn_sized_stack, 0
	.set _ZN7rocprim17ROCPRIM_400000_NS6detail17trampoline_kernelINS0_14default_configENS1_38merge_sort_block_merge_config_selectorI6__halfNS0_10empty_typeEEEZZNS1_27merge_sort_block_merge_implIS3_PS5_PS6_jNS1_19radix_merge_compareILb1ELb0ES5_NS0_19identity_decomposerEEEEE10hipError_tT0_T1_T2_jT3_P12ihipStream_tbPNSt15iterator_traitsISF_E10value_typeEPNSL_ISG_E10value_typeEPSH_NS1_7vsmem_tEENKUlT_SF_SG_SH_E_clIS9_S9_SA_SA_EESE_SU_SF_SG_SH_EUlSU_E_NS1_11comp_targetILNS1_3genE3ELNS1_11target_archE908ELNS1_3gpuE7ELNS1_3repE0EEENS1_48merge_mergepath_partition_config_static_selectorELNS0_4arch9wavefront6targetE0EEEvSG_.has_recursion, 0
	.set _ZN7rocprim17ROCPRIM_400000_NS6detail17trampoline_kernelINS0_14default_configENS1_38merge_sort_block_merge_config_selectorI6__halfNS0_10empty_typeEEEZZNS1_27merge_sort_block_merge_implIS3_PS5_PS6_jNS1_19radix_merge_compareILb1ELb0ES5_NS0_19identity_decomposerEEEEE10hipError_tT0_T1_T2_jT3_P12ihipStream_tbPNSt15iterator_traitsISF_E10value_typeEPNSL_ISG_E10value_typeEPSH_NS1_7vsmem_tEENKUlT_SF_SG_SH_E_clIS9_S9_SA_SA_EESE_SU_SF_SG_SH_EUlSU_E_NS1_11comp_targetILNS1_3genE3ELNS1_11target_archE908ELNS1_3gpuE7ELNS1_3repE0EEENS1_48merge_mergepath_partition_config_static_selectorELNS0_4arch9wavefront6targetE0EEEvSG_.has_indirect_call, 0
	.section	.AMDGPU.csdata,"",@progbits
; Kernel info:
; codeLenInByte = 0
; TotalNumSgprs: 0
; NumVgprs: 0
; ScratchSize: 0
; MemoryBound: 0
; FloatMode: 240
; IeeeMode: 1
; LDSByteSize: 0 bytes/workgroup (compile time only)
; SGPRBlocks: 0
; VGPRBlocks: 0
; NumSGPRsForWavesPerEU: 1
; NumVGPRsForWavesPerEU: 1
; NamedBarCnt: 0
; Occupancy: 16
; WaveLimiterHint : 0
; COMPUTE_PGM_RSRC2:SCRATCH_EN: 0
; COMPUTE_PGM_RSRC2:USER_SGPR: 2
; COMPUTE_PGM_RSRC2:TRAP_HANDLER: 0
; COMPUTE_PGM_RSRC2:TGID_X_EN: 1
; COMPUTE_PGM_RSRC2:TGID_Y_EN: 0
; COMPUTE_PGM_RSRC2:TGID_Z_EN: 0
; COMPUTE_PGM_RSRC2:TIDIG_COMP_CNT: 0
	.section	.text._ZN7rocprim17ROCPRIM_400000_NS6detail17trampoline_kernelINS0_14default_configENS1_38merge_sort_block_merge_config_selectorI6__halfNS0_10empty_typeEEEZZNS1_27merge_sort_block_merge_implIS3_PS5_PS6_jNS1_19radix_merge_compareILb1ELb0ES5_NS0_19identity_decomposerEEEEE10hipError_tT0_T1_T2_jT3_P12ihipStream_tbPNSt15iterator_traitsISF_E10value_typeEPNSL_ISG_E10value_typeEPSH_NS1_7vsmem_tEENKUlT_SF_SG_SH_E_clIS9_S9_SA_SA_EESE_SU_SF_SG_SH_EUlSU_E_NS1_11comp_targetILNS1_3genE2ELNS1_11target_archE906ELNS1_3gpuE6ELNS1_3repE0EEENS1_48merge_mergepath_partition_config_static_selectorELNS0_4arch9wavefront6targetE0EEEvSG_,"axG",@progbits,_ZN7rocprim17ROCPRIM_400000_NS6detail17trampoline_kernelINS0_14default_configENS1_38merge_sort_block_merge_config_selectorI6__halfNS0_10empty_typeEEEZZNS1_27merge_sort_block_merge_implIS3_PS5_PS6_jNS1_19radix_merge_compareILb1ELb0ES5_NS0_19identity_decomposerEEEEE10hipError_tT0_T1_T2_jT3_P12ihipStream_tbPNSt15iterator_traitsISF_E10value_typeEPNSL_ISG_E10value_typeEPSH_NS1_7vsmem_tEENKUlT_SF_SG_SH_E_clIS9_S9_SA_SA_EESE_SU_SF_SG_SH_EUlSU_E_NS1_11comp_targetILNS1_3genE2ELNS1_11target_archE906ELNS1_3gpuE6ELNS1_3repE0EEENS1_48merge_mergepath_partition_config_static_selectorELNS0_4arch9wavefront6targetE0EEEvSG_,comdat
	.protected	_ZN7rocprim17ROCPRIM_400000_NS6detail17trampoline_kernelINS0_14default_configENS1_38merge_sort_block_merge_config_selectorI6__halfNS0_10empty_typeEEEZZNS1_27merge_sort_block_merge_implIS3_PS5_PS6_jNS1_19radix_merge_compareILb1ELb0ES5_NS0_19identity_decomposerEEEEE10hipError_tT0_T1_T2_jT3_P12ihipStream_tbPNSt15iterator_traitsISF_E10value_typeEPNSL_ISG_E10value_typeEPSH_NS1_7vsmem_tEENKUlT_SF_SG_SH_E_clIS9_S9_SA_SA_EESE_SU_SF_SG_SH_EUlSU_E_NS1_11comp_targetILNS1_3genE2ELNS1_11target_archE906ELNS1_3gpuE6ELNS1_3repE0EEENS1_48merge_mergepath_partition_config_static_selectorELNS0_4arch9wavefront6targetE0EEEvSG_ ; -- Begin function _ZN7rocprim17ROCPRIM_400000_NS6detail17trampoline_kernelINS0_14default_configENS1_38merge_sort_block_merge_config_selectorI6__halfNS0_10empty_typeEEEZZNS1_27merge_sort_block_merge_implIS3_PS5_PS6_jNS1_19radix_merge_compareILb1ELb0ES5_NS0_19identity_decomposerEEEEE10hipError_tT0_T1_T2_jT3_P12ihipStream_tbPNSt15iterator_traitsISF_E10value_typeEPNSL_ISG_E10value_typeEPSH_NS1_7vsmem_tEENKUlT_SF_SG_SH_E_clIS9_S9_SA_SA_EESE_SU_SF_SG_SH_EUlSU_E_NS1_11comp_targetILNS1_3genE2ELNS1_11target_archE906ELNS1_3gpuE6ELNS1_3repE0EEENS1_48merge_mergepath_partition_config_static_selectorELNS0_4arch9wavefront6targetE0EEEvSG_
	.globl	_ZN7rocprim17ROCPRIM_400000_NS6detail17trampoline_kernelINS0_14default_configENS1_38merge_sort_block_merge_config_selectorI6__halfNS0_10empty_typeEEEZZNS1_27merge_sort_block_merge_implIS3_PS5_PS6_jNS1_19radix_merge_compareILb1ELb0ES5_NS0_19identity_decomposerEEEEE10hipError_tT0_T1_T2_jT3_P12ihipStream_tbPNSt15iterator_traitsISF_E10value_typeEPNSL_ISG_E10value_typeEPSH_NS1_7vsmem_tEENKUlT_SF_SG_SH_E_clIS9_S9_SA_SA_EESE_SU_SF_SG_SH_EUlSU_E_NS1_11comp_targetILNS1_3genE2ELNS1_11target_archE906ELNS1_3gpuE6ELNS1_3repE0EEENS1_48merge_mergepath_partition_config_static_selectorELNS0_4arch9wavefront6targetE0EEEvSG_
	.p2align	8
	.type	_ZN7rocprim17ROCPRIM_400000_NS6detail17trampoline_kernelINS0_14default_configENS1_38merge_sort_block_merge_config_selectorI6__halfNS0_10empty_typeEEEZZNS1_27merge_sort_block_merge_implIS3_PS5_PS6_jNS1_19radix_merge_compareILb1ELb0ES5_NS0_19identity_decomposerEEEEE10hipError_tT0_T1_T2_jT3_P12ihipStream_tbPNSt15iterator_traitsISF_E10value_typeEPNSL_ISG_E10value_typeEPSH_NS1_7vsmem_tEENKUlT_SF_SG_SH_E_clIS9_S9_SA_SA_EESE_SU_SF_SG_SH_EUlSU_E_NS1_11comp_targetILNS1_3genE2ELNS1_11target_archE906ELNS1_3gpuE6ELNS1_3repE0EEENS1_48merge_mergepath_partition_config_static_selectorELNS0_4arch9wavefront6targetE0EEEvSG_,@function
_ZN7rocprim17ROCPRIM_400000_NS6detail17trampoline_kernelINS0_14default_configENS1_38merge_sort_block_merge_config_selectorI6__halfNS0_10empty_typeEEEZZNS1_27merge_sort_block_merge_implIS3_PS5_PS6_jNS1_19radix_merge_compareILb1ELb0ES5_NS0_19identity_decomposerEEEEE10hipError_tT0_T1_T2_jT3_P12ihipStream_tbPNSt15iterator_traitsISF_E10value_typeEPNSL_ISG_E10value_typeEPSH_NS1_7vsmem_tEENKUlT_SF_SG_SH_E_clIS9_S9_SA_SA_EESE_SU_SF_SG_SH_EUlSU_E_NS1_11comp_targetILNS1_3genE2ELNS1_11target_archE906ELNS1_3gpuE6ELNS1_3repE0EEENS1_48merge_mergepath_partition_config_static_selectorELNS0_4arch9wavefront6targetE0EEEvSG_: ; @_ZN7rocprim17ROCPRIM_400000_NS6detail17trampoline_kernelINS0_14default_configENS1_38merge_sort_block_merge_config_selectorI6__halfNS0_10empty_typeEEEZZNS1_27merge_sort_block_merge_implIS3_PS5_PS6_jNS1_19radix_merge_compareILb1ELb0ES5_NS0_19identity_decomposerEEEEE10hipError_tT0_T1_T2_jT3_P12ihipStream_tbPNSt15iterator_traitsISF_E10value_typeEPNSL_ISG_E10value_typeEPSH_NS1_7vsmem_tEENKUlT_SF_SG_SH_E_clIS9_S9_SA_SA_EESE_SU_SF_SG_SH_EUlSU_E_NS1_11comp_targetILNS1_3genE2ELNS1_11target_archE906ELNS1_3gpuE6ELNS1_3repE0EEENS1_48merge_mergepath_partition_config_static_selectorELNS0_4arch9wavefront6targetE0EEEvSG_
; %bb.0:
	.section	.rodata,"a",@progbits
	.p2align	6, 0x0
	.amdhsa_kernel _ZN7rocprim17ROCPRIM_400000_NS6detail17trampoline_kernelINS0_14default_configENS1_38merge_sort_block_merge_config_selectorI6__halfNS0_10empty_typeEEEZZNS1_27merge_sort_block_merge_implIS3_PS5_PS6_jNS1_19radix_merge_compareILb1ELb0ES5_NS0_19identity_decomposerEEEEE10hipError_tT0_T1_T2_jT3_P12ihipStream_tbPNSt15iterator_traitsISF_E10value_typeEPNSL_ISG_E10value_typeEPSH_NS1_7vsmem_tEENKUlT_SF_SG_SH_E_clIS9_S9_SA_SA_EESE_SU_SF_SG_SH_EUlSU_E_NS1_11comp_targetILNS1_3genE2ELNS1_11target_archE906ELNS1_3gpuE6ELNS1_3repE0EEENS1_48merge_mergepath_partition_config_static_selectorELNS0_4arch9wavefront6targetE0EEEvSG_
		.amdhsa_group_segment_fixed_size 0
		.amdhsa_private_segment_fixed_size 0
		.amdhsa_kernarg_size 40
		.amdhsa_user_sgpr_count 2
		.amdhsa_user_sgpr_dispatch_ptr 0
		.amdhsa_user_sgpr_queue_ptr 0
		.amdhsa_user_sgpr_kernarg_segment_ptr 1
		.amdhsa_user_sgpr_dispatch_id 0
		.amdhsa_user_sgpr_kernarg_preload_length 0
		.amdhsa_user_sgpr_kernarg_preload_offset 0
		.amdhsa_user_sgpr_private_segment_size 0
		.amdhsa_wavefront_size32 1
		.amdhsa_uses_dynamic_stack 0
		.amdhsa_enable_private_segment 0
		.amdhsa_system_sgpr_workgroup_id_x 1
		.amdhsa_system_sgpr_workgroup_id_y 0
		.amdhsa_system_sgpr_workgroup_id_z 0
		.amdhsa_system_sgpr_workgroup_info 0
		.amdhsa_system_vgpr_workitem_id 0
		.amdhsa_next_free_vgpr 1
		.amdhsa_next_free_sgpr 1
		.amdhsa_named_barrier_count 0
		.amdhsa_reserve_vcc 0
		.amdhsa_float_round_mode_32 0
		.amdhsa_float_round_mode_16_64 0
		.amdhsa_float_denorm_mode_32 3
		.amdhsa_float_denorm_mode_16_64 3
		.amdhsa_fp16_overflow 0
		.amdhsa_memory_ordered 1
		.amdhsa_forward_progress 1
		.amdhsa_inst_pref_size 0
		.amdhsa_round_robin_scheduling 0
		.amdhsa_exception_fp_ieee_invalid_op 0
		.amdhsa_exception_fp_denorm_src 0
		.amdhsa_exception_fp_ieee_div_zero 0
		.amdhsa_exception_fp_ieee_overflow 0
		.amdhsa_exception_fp_ieee_underflow 0
		.amdhsa_exception_fp_ieee_inexact 0
		.amdhsa_exception_int_div_zero 0
	.end_amdhsa_kernel
	.section	.text._ZN7rocprim17ROCPRIM_400000_NS6detail17trampoline_kernelINS0_14default_configENS1_38merge_sort_block_merge_config_selectorI6__halfNS0_10empty_typeEEEZZNS1_27merge_sort_block_merge_implIS3_PS5_PS6_jNS1_19radix_merge_compareILb1ELb0ES5_NS0_19identity_decomposerEEEEE10hipError_tT0_T1_T2_jT3_P12ihipStream_tbPNSt15iterator_traitsISF_E10value_typeEPNSL_ISG_E10value_typeEPSH_NS1_7vsmem_tEENKUlT_SF_SG_SH_E_clIS9_S9_SA_SA_EESE_SU_SF_SG_SH_EUlSU_E_NS1_11comp_targetILNS1_3genE2ELNS1_11target_archE906ELNS1_3gpuE6ELNS1_3repE0EEENS1_48merge_mergepath_partition_config_static_selectorELNS0_4arch9wavefront6targetE0EEEvSG_,"axG",@progbits,_ZN7rocprim17ROCPRIM_400000_NS6detail17trampoline_kernelINS0_14default_configENS1_38merge_sort_block_merge_config_selectorI6__halfNS0_10empty_typeEEEZZNS1_27merge_sort_block_merge_implIS3_PS5_PS6_jNS1_19radix_merge_compareILb1ELb0ES5_NS0_19identity_decomposerEEEEE10hipError_tT0_T1_T2_jT3_P12ihipStream_tbPNSt15iterator_traitsISF_E10value_typeEPNSL_ISG_E10value_typeEPSH_NS1_7vsmem_tEENKUlT_SF_SG_SH_E_clIS9_S9_SA_SA_EESE_SU_SF_SG_SH_EUlSU_E_NS1_11comp_targetILNS1_3genE2ELNS1_11target_archE906ELNS1_3gpuE6ELNS1_3repE0EEENS1_48merge_mergepath_partition_config_static_selectorELNS0_4arch9wavefront6targetE0EEEvSG_,comdat
.Lfunc_end2110:
	.size	_ZN7rocprim17ROCPRIM_400000_NS6detail17trampoline_kernelINS0_14default_configENS1_38merge_sort_block_merge_config_selectorI6__halfNS0_10empty_typeEEEZZNS1_27merge_sort_block_merge_implIS3_PS5_PS6_jNS1_19radix_merge_compareILb1ELb0ES5_NS0_19identity_decomposerEEEEE10hipError_tT0_T1_T2_jT3_P12ihipStream_tbPNSt15iterator_traitsISF_E10value_typeEPNSL_ISG_E10value_typeEPSH_NS1_7vsmem_tEENKUlT_SF_SG_SH_E_clIS9_S9_SA_SA_EESE_SU_SF_SG_SH_EUlSU_E_NS1_11comp_targetILNS1_3genE2ELNS1_11target_archE906ELNS1_3gpuE6ELNS1_3repE0EEENS1_48merge_mergepath_partition_config_static_selectorELNS0_4arch9wavefront6targetE0EEEvSG_, .Lfunc_end2110-_ZN7rocprim17ROCPRIM_400000_NS6detail17trampoline_kernelINS0_14default_configENS1_38merge_sort_block_merge_config_selectorI6__halfNS0_10empty_typeEEEZZNS1_27merge_sort_block_merge_implIS3_PS5_PS6_jNS1_19radix_merge_compareILb1ELb0ES5_NS0_19identity_decomposerEEEEE10hipError_tT0_T1_T2_jT3_P12ihipStream_tbPNSt15iterator_traitsISF_E10value_typeEPNSL_ISG_E10value_typeEPSH_NS1_7vsmem_tEENKUlT_SF_SG_SH_E_clIS9_S9_SA_SA_EESE_SU_SF_SG_SH_EUlSU_E_NS1_11comp_targetILNS1_3genE2ELNS1_11target_archE906ELNS1_3gpuE6ELNS1_3repE0EEENS1_48merge_mergepath_partition_config_static_selectorELNS0_4arch9wavefront6targetE0EEEvSG_
                                        ; -- End function
	.set _ZN7rocprim17ROCPRIM_400000_NS6detail17trampoline_kernelINS0_14default_configENS1_38merge_sort_block_merge_config_selectorI6__halfNS0_10empty_typeEEEZZNS1_27merge_sort_block_merge_implIS3_PS5_PS6_jNS1_19radix_merge_compareILb1ELb0ES5_NS0_19identity_decomposerEEEEE10hipError_tT0_T1_T2_jT3_P12ihipStream_tbPNSt15iterator_traitsISF_E10value_typeEPNSL_ISG_E10value_typeEPSH_NS1_7vsmem_tEENKUlT_SF_SG_SH_E_clIS9_S9_SA_SA_EESE_SU_SF_SG_SH_EUlSU_E_NS1_11comp_targetILNS1_3genE2ELNS1_11target_archE906ELNS1_3gpuE6ELNS1_3repE0EEENS1_48merge_mergepath_partition_config_static_selectorELNS0_4arch9wavefront6targetE0EEEvSG_.num_vgpr, 0
	.set _ZN7rocprim17ROCPRIM_400000_NS6detail17trampoline_kernelINS0_14default_configENS1_38merge_sort_block_merge_config_selectorI6__halfNS0_10empty_typeEEEZZNS1_27merge_sort_block_merge_implIS3_PS5_PS6_jNS1_19radix_merge_compareILb1ELb0ES5_NS0_19identity_decomposerEEEEE10hipError_tT0_T1_T2_jT3_P12ihipStream_tbPNSt15iterator_traitsISF_E10value_typeEPNSL_ISG_E10value_typeEPSH_NS1_7vsmem_tEENKUlT_SF_SG_SH_E_clIS9_S9_SA_SA_EESE_SU_SF_SG_SH_EUlSU_E_NS1_11comp_targetILNS1_3genE2ELNS1_11target_archE906ELNS1_3gpuE6ELNS1_3repE0EEENS1_48merge_mergepath_partition_config_static_selectorELNS0_4arch9wavefront6targetE0EEEvSG_.num_agpr, 0
	.set _ZN7rocprim17ROCPRIM_400000_NS6detail17trampoline_kernelINS0_14default_configENS1_38merge_sort_block_merge_config_selectorI6__halfNS0_10empty_typeEEEZZNS1_27merge_sort_block_merge_implIS3_PS5_PS6_jNS1_19radix_merge_compareILb1ELb0ES5_NS0_19identity_decomposerEEEEE10hipError_tT0_T1_T2_jT3_P12ihipStream_tbPNSt15iterator_traitsISF_E10value_typeEPNSL_ISG_E10value_typeEPSH_NS1_7vsmem_tEENKUlT_SF_SG_SH_E_clIS9_S9_SA_SA_EESE_SU_SF_SG_SH_EUlSU_E_NS1_11comp_targetILNS1_3genE2ELNS1_11target_archE906ELNS1_3gpuE6ELNS1_3repE0EEENS1_48merge_mergepath_partition_config_static_selectorELNS0_4arch9wavefront6targetE0EEEvSG_.numbered_sgpr, 0
	.set _ZN7rocprim17ROCPRIM_400000_NS6detail17trampoline_kernelINS0_14default_configENS1_38merge_sort_block_merge_config_selectorI6__halfNS0_10empty_typeEEEZZNS1_27merge_sort_block_merge_implIS3_PS5_PS6_jNS1_19radix_merge_compareILb1ELb0ES5_NS0_19identity_decomposerEEEEE10hipError_tT0_T1_T2_jT3_P12ihipStream_tbPNSt15iterator_traitsISF_E10value_typeEPNSL_ISG_E10value_typeEPSH_NS1_7vsmem_tEENKUlT_SF_SG_SH_E_clIS9_S9_SA_SA_EESE_SU_SF_SG_SH_EUlSU_E_NS1_11comp_targetILNS1_3genE2ELNS1_11target_archE906ELNS1_3gpuE6ELNS1_3repE0EEENS1_48merge_mergepath_partition_config_static_selectorELNS0_4arch9wavefront6targetE0EEEvSG_.num_named_barrier, 0
	.set _ZN7rocprim17ROCPRIM_400000_NS6detail17trampoline_kernelINS0_14default_configENS1_38merge_sort_block_merge_config_selectorI6__halfNS0_10empty_typeEEEZZNS1_27merge_sort_block_merge_implIS3_PS5_PS6_jNS1_19radix_merge_compareILb1ELb0ES5_NS0_19identity_decomposerEEEEE10hipError_tT0_T1_T2_jT3_P12ihipStream_tbPNSt15iterator_traitsISF_E10value_typeEPNSL_ISG_E10value_typeEPSH_NS1_7vsmem_tEENKUlT_SF_SG_SH_E_clIS9_S9_SA_SA_EESE_SU_SF_SG_SH_EUlSU_E_NS1_11comp_targetILNS1_3genE2ELNS1_11target_archE906ELNS1_3gpuE6ELNS1_3repE0EEENS1_48merge_mergepath_partition_config_static_selectorELNS0_4arch9wavefront6targetE0EEEvSG_.private_seg_size, 0
	.set _ZN7rocprim17ROCPRIM_400000_NS6detail17trampoline_kernelINS0_14default_configENS1_38merge_sort_block_merge_config_selectorI6__halfNS0_10empty_typeEEEZZNS1_27merge_sort_block_merge_implIS3_PS5_PS6_jNS1_19radix_merge_compareILb1ELb0ES5_NS0_19identity_decomposerEEEEE10hipError_tT0_T1_T2_jT3_P12ihipStream_tbPNSt15iterator_traitsISF_E10value_typeEPNSL_ISG_E10value_typeEPSH_NS1_7vsmem_tEENKUlT_SF_SG_SH_E_clIS9_S9_SA_SA_EESE_SU_SF_SG_SH_EUlSU_E_NS1_11comp_targetILNS1_3genE2ELNS1_11target_archE906ELNS1_3gpuE6ELNS1_3repE0EEENS1_48merge_mergepath_partition_config_static_selectorELNS0_4arch9wavefront6targetE0EEEvSG_.uses_vcc, 0
	.set _ZN7rocprim17ROCPRIM_400000_NS6detail17trampoline_kernelINS0_14default_configENS1_38merge_sort_block_merge_config_selectorI6__halfNS0_10empty_typeEEEZZNS1_27merge_sort_block_merge_implIS3_PS5_PS6_jNS1_19radix_merge_compareILb1ELb0ES5_NS0_19identity_decomposerEEEEE10hipError_tT0_T1_T2_jT3_P12ihipStream_tbPNSt15iterator_traitsISF_E10value_typeEPNSL_ISG_E10value_typeEPSH_NS1_7vsmem_tEENKUlT_SF_SG_SH_E_clIS9_S9_SA_SA_EESE_SU_SF_SG_SH_EUlSU_E_NS1_11comp_targetILNS1_3genE2ELNS1_11target_archE906ELNS1_3gpuE6ELNS1_3repE0EEENS1_48merge_mergepath_partition_config_static_selectorELNS0_4arch9wavefront6targetE0EEEvSG_.uses_flat_scratch, 0
	.set _ZN7rocprim17ROCPRIM_400000_NS6detail17trampoline_kernelINS0_14default_configENS1_38merge_sort_block_merge_config_selectorI6__halfNS0_10empty_typeEEEZZNS1_27merge_sort_block_merge_implIS3_PS5_PS6_jNS1_19radix_merge_compareILb1ELb0ES5_NS0_19identity_decomposerEEEEE10hipError_tT0_T1_T2_jT3_P12ihipStream_tbPNSt15iterator_traitsISF_E10value_typeEPNSL_ISG_E10value_typeEPSH_NS1_7vsmem_tEENKUlT_SF_SG_SH_E_clIS9_S9_SA_SA_EESE_SU_SF_SG_SH_EUlSU_E_NS1_11comp_targetILNS1_3genE2ELNS1_11target_archE906ELNS1_3gpuE6ELNS1_3repE0EEENS1_48merge_mergepath_partition_config_static_selectorELNS0_4arch9wavefront6targetE0EEEvSG_.has_dyn_sized_stack, 0
	.set _ZN7rocprim17ROCPRIM_400000_NS6detail17trampoline_kernelINS0_14default_configENS1_38merge_sort_block_merge_config_selectorI6__halfNS0_10empty_typeEEEZZNS1_27merge_sort_block_merge_implIS3_PS5_PS6_jNS1_19radix_merge_compareILb1ELb0ES5_NS0_19identity_decomposerEEEEE10hipError_tT0_T1_T2_jT3_P12ihipStream_tbPNSt15iterator_traitsISF_E10value_typeEPNSL_ISG_E10value_typeEPSH_NS1_7vsmem_tEENKUlT_SF_SG_SH_E_clIS9_S9_SA_SA_EESE_SU_SF_SG_SH_EUlSU_E_NS1_11comp_targetILNS1_3genE2ELNS1_11target_archE906ELNS1_3gpuE6ELNS1_3repE0EEENS1_48merge_mergepath_partition_config_static_selectorELNS0_4arch9wavefront6targetE0EEEvSG_.has_recursion, 0
	.set _ZN7rocprim17ROCPRIM_400000_NS6detail17trampoline_kernelINS0_14default_configENS1_38merge_sort_block_merge_config_selectorI6__halfNS0_10empty_typeEEEZZNS1_27merge_sort_block_merge_implIS3_PS5_PS6_jNS1_19radix_merge_compareILb1ELb0ES5_NS0_19identity_decomposerEEEEE10hipError_tT0_T1_T2_jT3_P12ihipStream_tbPNSt15iterator_traitsISF_E10value_typeEPNSL_ISG_E10value_typeEPSH_NS1_7vsmem_tEENKUlT_SF_SG_SH_E_clIS9_S9_SA_SA_EESE_SU_SF_SG_SH_EUlSU_E_NS1_11comp_targetILNS1_3genE2ELNS1_11target_archE906ELNS1_3gpuE6ELNS1_3repE0EEENS1_48merge_mergepath_partition_config_static_selectorELNS0_4arch9wavefront6targetE0EEEvSG_.has_indirect_call, 0
	.section	.AMDGPU.csdata,"",@progbits
; Kernel info:
; codeLenInByte = 0
; TotalNumSgprs: 0
; NumVgprs: 0
; ScratchSize: 0
; MemoryBound: 0
; FloatMode: 240
; IeeeMode: 1
; LDSByteSize: 0 bytes/workgroup (compile time only)
; SGPRBlocks: 0
; VGPRBlocks: 0
; NumSGPRsForWavesPerEU: 1
; NumVGPRsForWavesPerEU: 1
; NamedBarCnt: 0
; Occupancy: 16
; WaveLimiterHint : 0
; COMPUTE_PGM_RSRC2:SCRATCH_EN: 0
; COMPUTE_PGM_RSRC2:USER_SGPR: 2
; COMPUTE_PGM_RSRC2:TRAP_HANDLER: 0
; COMPUTE_PGM_RSRC2:TGID_X_EN: 1
; COMPUTE_PGM_RSRC2:TGID_Y_EN: 0
; COMPUTE_PGM_RSRC2:TGID_Z_EN: 0
; COMPUTE_PGM_RSRC2:TIDIG_COMP_CNT: 0
	.section	.text._ZN7rocprim17ROCPRIM_400000_NS6detail17trampoline_kernelINS0_14default_configENS1_38merge_sort_block_merge_config_selectorI6__halfNS0_10empty_typeEEEZZNS1_27merge_sort_block_merge_implIS3_PS5_PS6_jNS1_19radix_merge_compareILb1ELb0ES5_NS0_19identity_decomposerEEEEE10hipError_tT0_T1_T2_jT3_P12ihipStream_tbPNSt15iterator_traitsISF_E10value_typeEPNSL_ISG_E10value_typeEPSH_NS1_7vsmem_tEENKUlT_SF_SG_SH_E_clIS9_S9_SA_SA_EESE_SU_SF_SG_SH_EUlSU_E_NS1_11comp_targetILNS1_3genE9ELNS1_11target_archE1100ELNS1_3gpuE3ELNS1_3repE0EEENS1_48merge_mergepath_partition_config_static_selectorELNS0_4arch9wavefront6targetE0EEEvSG_,"axG",@progbits,_ZN7rocprim17ROCPRIM_400000_NS6detail17trampoline_kernelINS0_14default_configENS1_38merge_sort_block_merge_config_selectorI6__halfNS0_10empty_typeEEEZZNS1_27merge_sort_block_merge_implIS3_PS5_PS6_jNS1_19radix_merge_compareILb1ELb0ES5_NS0_19identity_decomposerEEEEE10hipError_tT0_T1_T2_jT3_P12ihipStream_tbPNSt15iterator_traitsISF_E10value_typeEPNSL_ISG_E10value_typeEPSH_NS1_7vsmem_tEENKUlT_SF_SG_SH_E_clIS9_S9_SA_SA_EESE_SU_SF_SG_SH_EUlSU_E_NS1_11comp_targetILNS1_3genE9ELNS1_11target_archE1100ELNS1_3gpuE3ELNS1_3repE0EEENS1_48merge_mergepath_partition_config_static_selectorELNS0_4arch9wavefront6targetE0EEEvSG_,comdat
	.protected	_ZN7rocprim17ROCPRIM_400000_NS6detail17trampoline_kernelINS0_14default_configENS1_38merge_sort_block_merge_config_selectorI6__halfNS0_10empty_typeEEEZZNS1_27merge_sort_block_merge_implIS3_PS5_PS6_jNS1_19radix_merge_compareILb1ELb0ES5_NS0_19identity_decomposerEEEEE10hipError_tT0_T1_T2_jT3_P12ihipStream_tbPNSt15iterator_traitsISF_E10value_typeEPNSL_ISG_E10value_typeEPSH_NS1_7vsmem_tEENKUlT_SF_SG_SH_E_clIS9_S9_SA_SA_EESE_SU_SF_SG_SH_EUlSU_E_NS1_11comp_targetILNS1_3genE9ELNS1_11target_archE1100ELNS1_3gpuE3ELNS1_3repE0EEENS1_48merge_mergepath_partition_config_static_selectorELNS0_4arch9wavefront6targetE0EEEvSG_ ; -- Begin function _ZN7rocprim17ROCPRIM_400000_NS6detail17trampoline_kernelINS0_14default_configENS1_38merge_sort_block_merge_config_selectorI6__halfNS0_10empty_typeEEEZZNS1_27merge_sort_block_merge_implIS3_PS5_PS6_jNS1_19radix_merge_compareILb1ELb0ES5_NS0_19identity_decomposerEEEEE10hipError_tT0_T1_T2_jT3_P12ihipStream_tbPNSt15iterator_traitsISF_E10value_typeEPNSL_ISG_E10value_typeEPSH_NS1_7vsmem_tEENKUlT_SF_SG_SH_E_clIS9_S9_SA_SA_EESE_SU_SF_SG_SH_EUlSU_E_NS1_11comp_targetILNS1_3genE9ELNS1_11target_archE1100ELNS1_3gpuE3ELNS1_3repE0EEENS1_48merge_mergepath_partition_config_static_selectorELNS0_4arch9wavefront6targetE0EEEvSG_
	.globl	_ZN7rocprim17ROCPRIM_400000_NS6detail17trampoline_kernelINS0_14default_configENS1_38merge_sort_block_merge_config_selectorI6__halfNS0_10empty_typeEEEZZNS1_27merge_sort_block_merge_implIS3_PS5_PS6_jNS1_19radix_merge_compareILb1ELb0ES5_NS0_19identity_decomposerEEEEE10hipError_tT0_T1_T2_jT3_P12ihipStream_tbPNSt15iterator_traitsISF_E10value_typeEPNSL_ISG_E10value_typeEPSH_NS1_7vsmem_tEENKUlT_SF_SG_SH_E_clIS9_S9_SA_SA_EESE_SU_SF_SG_SH_EUlSU_E_NS1_11comp_targetILNS1_3genE9ELNS1_11target_archE1100ELNS1_3gpuE3ELNS1_3repE0EEENS1_48merge_mergepath_partition_config_static_selectorELNS0_4arch9wavefront6targetE0EEEvSG_
	.p2align	8
	.type	_ZN7rocprim17ROCPRIM_400000_NS6detail17trampoline_kernelINS0_14default_configENS1_38merge_sort_block_merge_config_selectorI6__halfNS0_10empty_typeEEEZZNS1_27merge_sort_block_merge_implIS3_PS5_PS6_jNS1_19radix_merge_compareILb1ELb0ES5_NS0_19identity_decomposerEEEEE10hipError_tT0_T1_T2_jT3_P12ihipStream_tbPNSt15iterator_traitsISF_E10value_typeEPNSL_ISG_E10value_typeEPSH_NS1_7vsmem_tEENKUlT_SF_SG_SH_E_clIS9_S9_SA_SA_EESE_SU_SF_SG_SH_EUlSU_E_NS1_11comp_targetILNS1_3genE9ELNS1_11target_archE1100ELNS1_3gpuE3ELNS1_3repE0EEENS1_48merge_mergepath_partition_config_static_selectorELNS0_4arch9wavefront6targetE0EEEvSG_,@function
_ZN7rocprim17ROCPRIM_400000_NS6detail17trampoline_kernelINS0_14default_configENS1_38merge_sort_block_merge_config_selectorI6__halfNS0_10empty_typeEEEZZNS1_27merge_sort_block_merge_implIS3_PS5_PS6_jNS1_19radix_merge_compareILb1ELb0ES5_NS0_19identity_decomposerEEEEE10hipError_tT0_T1_T2_jT3_P12ihipStream_tbPNSt15iterator_traitsISF_E10value_typeEPNSL_ISG_E10value_typeEPSH_NS1_7vsmem_tEENKUlT_SF_SG_SH_E_clIS9_S9_SA_SA_EESE_SU_SF_SG_SH_EUlSU_E_NS1_11comp_targetILNS1_3genE9ELNS1_11target_archE1100ELNS1_3gpuE3ELNS1_3repE0EEENS1_48merge_mergepath_partition_config_static_selectorELNS0_4arch9wavefront6targetE0EEEvSG_: ; @_ZN7rocprim17ROCPRIM_400000_NS6detail17trampoline_kernelINS0_14default_configENS1_38merge_sort_block_merge_config_selectorI6__halfNS0_10empty_typeEEEZZNS1_27merge_sort_block_merge_implIS3_PS5_PS6_jNS1_19radix_merge_compareILb1ELb0ES5_NS0_19identity_decomposerEEEEE10hipError_tT0_T1_T2_jT3_P12ihipStream_tbPNSt15iterator_traitsISF_E10value_typeEPNSL_ISG_E10value_typeEPSH_NS1_7vsmem_tEENKUlT_SF_SG_SH_E_clIS9_S9_SA_SA_EESE_SU_SF_SG_SH_EUlSU_E_NS1_11comp_targetILNS1_3genE9ELNS1_11target_archE1100ELNS1_3gpuE3ELNS1_3repE0EEENS1_48merge_mergepath_partition_config_static_selectorELNS0_4arch9wavefront6targetE0EEEvSG_
; %bb.0:
	.section	.rodata,"a",@progbits
	.p2align	6, 0x0
	.amdhsa_kernel _ZN7rocprim17ROCPRIM_400000_NS6detail17trampoline_kernelINS0_14default_configENS1_38merge_sort_block_merge_config_selectorI6__halfNS0_10empty_typeEEEZZNS1_27merge_sort_block_merge_implIS3_PS5_PS6_jNS1_19radix_merge_compareILb1ELb0ES5_NS0_19identity_decomposerEEEEE10hipError_tT0_T1_T2_jT3_P12ihipStream_tbPNSt15iterator_traitsISF_E10value_typeEPNSL_ISG_E10value_typeEPSH_NS1_7vsmem_tEENKUlT_SF_SG_SH_E_clIS9_S9_SA_SA_EESE_SU_SF_SG_SH_EUlSU_E_NS1_11comp_targetILNS1_3genE9ELNS1_11target_archE1100ELNS1_3gpuE3ELNS1_3repE0EEENS1_48merge_mergepath_partition_config_static_selectorELNS0_4arch9wavefront6targetE0EEEvSG_
		.amdhsa_group_segment_fixed_size 0
		.amdhsa_private_segment_fixed_size 0
		.amdhsa_kernarg_size 40
		.amdhsa_user_sgpr_count 2
		.amdhsa_user_sgpr_dispatch_ptr 0
		.amdhsa_user_sgpr_queue_ptr 0
		.amdhsa_user_sgpr_kernarg_segment_ptr 1
		.amdhsa_user_sgpr_dispatch_id 0
		.amdhsa_user_sgpr_kernarg_preload_length 0
		.amdhsa_user_sgpr_kernarg_preload_offset 0
		.amdhsa_user_sgpr_private_segment_size 0
		.amdhsa_wavefront_size32 1
		.amdhsa_uses_dynamic_stack 0
		.amdhsa_enable_private_segment 0
		.amdhsa_system_sgpr_workgroup_id_x 1
		.amdhsa_system_sgpr_workgroup_id_y 0
		.amdhsa_system_sgpr_workgroup_id_z 0
		.amdhsa_system_sgpr_workgroup_info 0
		.amdhsa_system_vgpr_workitem_id 0
		.amdhsa_next_free_vgpr 1
		.amdhsa_next_free_sgpr 1
		.amdhsa_named_barrier_count 0
		.amdhsa_reserve_vcc 0
		.amdhsa_float_round_mode_32 0
		.amdhsa_float_round_mode_16_64 0
		.amdhsa_float_denorm_mode_32 3
		.amdhsa_float_denorm_mode_16_64 3
		.amdhsa_fp16_overflow 0
		.amdhsa_memory_ordered 1
		.amdhsa_forward_progress 1
		.amdhsa_inst_pref_size 0
		.amdhsa_round_robin_scheduling 0
		.amdhsa_exception_fp_ieee_invalid_op 0
		.amdhsa_exception_fp_denorm_src 0
		.amdhsa_exception_fp_ieee_div_zero 0
		.amdhsa_exception_fp_ieee_overflow 0
		.amdhsa_exception_fp_ieee_underflow 0
		.amdhsa_exception_fp_ieee_inexact 0
		.amdhsa_exception_int_div_zero 0
	.end_amdhsa_kernel
	.section	.text._ZN7rocprim17ROCPRIM_400000_NS6detail17trampoline_kernelINS0_14default_configENS1_38merge_sort_block_merge_config_selectorI6__halfNS0_10empty_typeEEEZZNS1_27merge_sort_block_merge_implIS3_PS5_PS6_jNS1_19radix_merge_compareILb1ELb0ES5_NS0_19identity_decomposerEEEEE10hipError_tT0_T1_T2_jT3_P12ihipStream_tbPNSt15iterator_traitsISF_E10value_typeEPNSL_ISG_E10value_typeEPSH_NS1_7vsmem_tEENKUlT_SF_SG_SH_E_clIS9_S9_SA_SA_EESE_SU_SF_SG_SH_EUlSU_E_NS1_11comp_targetILNS1_3genE9ELNS1_11target_archE1100ELNS1_3gpuE3ELNS1_3repE0EEENS1_48merge_mergepath_partition_config_static_selectorELNS0_4arch9wavefront6targetE0EEEvSG_,"axG",@progbits,_ZN7rocprim17ROCPRIM_400000_NS6detail17trampoline_kernelINS0_14default_configENS1_38merge_sort_block_merge_config_selectorI6__halfNS0_10empty_typeEEEZZNS1_27merge_sort_block_merge_implIS3_PS5_PS6_jNS1_19radix_merge_compareILb1ELb0ES5_NS0_19identity_decomposerEEEEE10hipError_tT0_T1_T2_jT3_P12ihipStream_tbPNSt15iterator_traitsISF_E10value_typeEPNSL_ISG_E10value_typeEPSH_NS1_7vsmem_tEENKUlT_SF_SG_SH_E_clIS9_S9_SA_SA_EESE_SU_SF_SG_SH_EUlSU_E_NS1_11comp_targetILNS1_3genE9ELNS1_11target_archE1100ELNS1_3gpuE3ELNS1_3repE0EEENS1_48merge_mergepath_partition_config_static_selectorELNS0_4arch9wavefront6targetE0EEEvSG_,comdat
.Lfunc_end2111:
	.size	_ZN7rocprim17ROCPRIM_400000_NS6detail17trampoline_kernelINS0_14default_configENS1_38merge_sort_block_merge_config_selectorI6__halfNS0_10empty_typeEEEZZNS1_27merge_sort_block_merge_implIS3_PS5_PS6_jNS1_19radix_merge_compareILb1ELb0ES5_NS0_19identity_decomposerEEEEE10hipError_tT0_T1_T2_jT3_P12ihipStream_tbPNSt15iterator_traitsISF_E10value_typeEPNSL_ISG_E10value_typeEPSH_NS1_7vsmem_tEENKUlT_SF_SG_SH_E_clIS9_S9_SA_SA_EESE_SU_SF_SG_SH_EUlSU_E_NS1_11comp_targetILNS1_3genE9ELNS1_11target_archE1100ELNS1_3gpuE3ELNS1_3repE0EEENS1_48merge_mergepath_partition_config_static_selectorELNS0_4arch9wavefront6targetE0EEEvSG_, .Lfunc_end2111-_ZN7rocprim17ROCPRIM_400000_NS6detail17trampoline_kernelINS0_14default_configENS1_38merge_sort_block_merge_config_selectorI6__halfNS0_10empty_typeEEEZZNS1_27merge_sort_block_merge_implIS3_PS5_PS6_jNS1_19radix_merge_compareILb1ELb0ES5_NS0_19identity_decomposerEEEEE10hipError_tT0_T1_T2_jT3_P12ihipStream_tbPNSt15iterator_traitsISF_E10value_typeEPNSL_ISG_E10value_typeEPSH_NS1_7vsmem_tEENKUlT_SF_SG_SH_E_clIS9_S9_SA_SA_EESE_SU_SF_SG_SH_EUlSU_E_NS1_11comp_targetILNS1_3genE9ELNS1_11target_archE1100ELNS1_3gpuE3ELNS1_3repE0EEENS1_48merge_mergepath_partition_config_static_selectorELNS0_4arch9wavefront6targetE0EEEvSG_
                                        ; -- End function
	.set _ZN7rocprim17ROCPRIM_400000_NS6detail17trampoline_kernelINS0_14default_configENS1_38merge_sort_block_merge_config_selectorI6__halfNS0_10empty_typeEEEZZNS1_27merge_sort_block_merge_implIS3_PS5_PS6_jNS1_19radix_merge_compareILb1ELb0ES5_NS0_19identity_decomposerEEEEE10hipError_tT0_T1_T2_jT3_P12ihipStream_tbPNSt15iterator_traitsISF_E10value_typeEPNSL_ISG_E10value_typeEPSH_NS1_7vsmem_tEENKUlT_SF_SG_SH_E_clIS9_S9_SA_SA_EESE_SU_SF_SG_SH_EUlSU_E_NS1_11comp_targetILNS1_3genE9ELNS1_11target_archE1100ELNS1_3gpuE3ELNS1_3repE0EEENS1_48merge_mergepath_partition_config_static_selectorELNS0_4arch9wavefront6targetE0EEEvSG_.num_vgpr, 0
	.set _ZN7rocprim17ROCPRIM_400000_NS6detail17trampoline_kernelINS0_14default_configENS1_38merge_sort_block_merge_config_selectorI6__halfNS0_10empty_typeEEEZZNS1_27merge_sort_block_merge_implIS3_PS5_PS6_jNS1_19radix_merge_compareILb1ELb0ES5_NS0_19identity_decomposerEEEEE10hipError_tT0_T1_T2_jT3_P12ihipStream_tbPNSt15iterator_traitsISF_E10value_typeEPNSL_ISG_E10value_typeEPSH_NS1_7vsmem_tEENKUlT_SF_SG_SH_E_clIS9_S9_SA_SA_EESE_SU_SF_SG_SH_EUlSU_E_NS1_11comp_targetILNS1_3genE9ELNS1_11target_archE1100ELNS1_3gpuE3ELNS1_3repE0EEENS1_48merge_mergepath_partition_config_static_selectorELNS0_4arch9wavefront6targetE0EEEvSG_.num_agpr, 0
	.set _ZN7rocprim17ROCPRIM_400000_NS6detail17trampoline_kernelINS0_14default_configENS1_38merge_sort_block_merge_config_selectorI6__halfNS0_10empty_typeEEEZZNS1_27merge_sort_block_merge_implIS3_PS5_PS6_jNS1_19radix_merge_compareILb1ELb0ES5_NS0_19identity_decomposerEEEEE10hipError_tT0_T1_T2_jT3_P12ihipStream_tbPNSt15iterator_traitsISF_E10value_typeEPNSL_ISG_E10value_typeEPSH_NS1_7vsmem_tEENKUlT_SF_SG_SH_E_clIS9_S9_SA_SA_EESE_SU_SF_SG_SH_EUlSU_E_NS1_11comp_targetILNS1_3genE9ELNS1_11target_archE1100ELNS1_3gpuE3ELNS1_3repE0EEENS1_48merge_mergepath_partition_config_static_selectorELNS0_4arch9wavefront6targetE0EEEvSG_.numbered_sgpr, 0
	.set _ZN7rocprim17ROCPRIM_400000_NS6detail17trampoline_kernelINS0_14default_configENS1_38merge_sort_block_merge_config_selectorI6__halfNS0_10empty_typeEEEZZNS1_27merge_sort_block_merge_implIS3_PS5_PS6_jNS1_19radix_merge_compareILb1ELb0ES5_NS0_19identity_decomposerEEEEE10hipError_tT0_T1_T2_jT3_P12ihipStream_tbPNSt15iterator_traitsISF_E10value_typeEPNSL_ISG_E10value_typeEPSH_NS1_7vsmem_tEENKUlT_SF_SG_SH_E_clIS9_S9_SA_SA_EESE_SU_SF_SG_SH_EUlSU_E_NS1_11comp_targetILNS1_3genE9ELNS1_11target_archE1100ELNS1_3gpuE3ELNS1_3repE0EEENS1_48merge_mergepath_partition_config_static_selectorELNS0_4arch9wavefront6targetE0EEEvSG_.num_named_barrier, 0
	.set _ZN7rocprim17ROCPRIM_400000_NS6detail17trampoline_kernelINS0_14default_configENS1_38merge_sort_block_merge_config_selectorI6__halfNS0_10empty_typeEEEZZNS1_27merge_sort_block_merge_implIS3_PS5_PS6_jNS1_19radix_merge_compareILb1ELb0ES5_NS0_19identity_decomposerEEEEE10hipError_tT0_T1_T2_jT3_P12ihipStream_tbPNSt15iterator_traitsISF_E10value_typeEPNSL_ISG_E10value_typeEPSH_NS1_7vsmem_tEENKUlT_SF_SG_SH_E_clIS9_S9_SA_SA_EESE_SU_SF_SG_SH_EUlSU_E_NS1_11comp_targetILNS1_3genE9ELNS1_11target_archE1100ELNS1_3gpuE3ELNS1_3repE0EEENS1_48merge_mergepath_partition_config_static_selectorELNS0_4arch9wavefront6targetE0EEEvSG_.private_seg_size, 0
	.set _ZN7rocprim17ROCPRIM_400000_NS6detail17trampoline_kernelINS0_14default_configENS1_38merge_sort_block_merge_config_selectorI6__halfNS0_10empty_typeEEEZZNS1_27merge_sort_block_merge_implIS3_PS5_PS6_jNS1_19radix_merge_compareILb1ELb0ES5_NS0_19identity_decomposerEEEEE10hipError_tT0_T1_T2_jT3_P12ihipStream_tbPNSt15iterator_traitsISF_E10value_typeEPNSL_ISG_E10value_typeEPSH_NS1_7vsmem_tEENKUlT_SF_SG_SH_E_clIS9_S9_SA_SA_EESE_SU_SF_SG_SH_EUlSU_E_NS1_11comp_targetILNS1_3genE9ELNS1_11target_archE1100ELNS1_3gpuE3ELNS1_3repE0EEENS1_48merge_mergepath_partition_config_static_selectorELNS0_4arch9wavefront6targetE0EEEvSG_.uses_vcc, 0
	.set _ZN7rocprim17ROCPRIM_400000_NS6detail17trampoline_kernelINS0_14default_configENS1_38merge_sort_block_merge_config_selectorI6__halfNS0_10empty_typeEEEZZNS1_27merge_sort_block_merge_implIS3_PS5_PS6_jNS1_19radix_merge_compareILb1ELb0ES5_NS0_19identity_decomposerEEEEE10hipError_tT0_T1_T2_jT3_P12ihipStream_tbPNSt15iterator_traitsISF_E10value_typeEPNSL_ISG_E10value_typeEPSH_NS1_7vsmem_tEENKUlT_SF_SG_SH_E_clIS9_S9_SA_SA_EESE_SU_SF_SG_SH_EUlSU_E_NS1_11comp_targetILNS1_3genE9ELNS1_11target_archE1100ELNS1_3gpuE3ELNS1_3repE0EEENS1_48merge_mergepath_partition_config_static_selectorELNS0_4arch9wavefront6targetE0EEEvSG_.uses_flat_scratch, 0
	.set _ZN7rocprim17ROCPRIM_400000_NS6detail17trampoline_kernelINS0_14default_configENS1_38merge_sort_block_merge_config_selectorI6__halfNS0_10empty_typeEEEZZNS1_27merge_sort_block_merge_implIS3_PS5_PS6_jNS1_19radix_merge_compareILb1ELb0ES5_NS0_19identity_decomposerEEEEE10hipError_tT0_T1_T2_jT3_P12ihipStream_tbPNSt15iterator_traitsISF_E10value_typeEPNSL_ISG_E10value_typeEPSH_NS1_7vsmem_tEENKUlT_SF_SG_SH_E_clIS9_S9_SA_SA_EESE_SU_SF_SG_SH_EUlSU_E_NS1_11comp_targetILNS1_3genE9ELNS1_11target_archE1100ELNS1_3gpuE3ELNS1_3repE0EEENS1_48merge_mergepath_partition_config_static_selectorELNS0_4arch9wavefront6targetE0EEEvSG_.has_dyn_sized_stack, 0
	.set _ZN7rocprim17ROCPRIM_400000_NS6detail17trampoline_kernelINS0_14default_configENS1_38merge_sort_block_merge_config_selectorI6__halfNS0_10empty_typeEEEZZNS1_27merge_sort_block_merge_implIS3_PS5_PS6_jNS1_19radix_merge_compareILb1ELb0ES5_NS0_19identity_decomposerEEEEE10hipError_tT0_T1_T2_jT3_P12ihipStream_tbPNSt15iterator_traitsISF_E10value_typeEPNSL_ISG_E10value_typeEPSH_NS1_7vsmem_tEENKUlT_SF_SG_SH_E_clIS9_S9_SA_SA_EESE_SU_SF_SG_SH_EUlSU_E_NS1_11comp_targetILNS1_3genE9ELNS1_11target_archE1100ELNS1_3gpuE3ELNS1_3repE0EEENS1_48merge_mergepath_partition_config_static_selectorELNS0_4arch9wavefront6targetE0EEEvSG_.has_recursion, 0
	.set _ZN7rocprim17ROCPRIM_400000_NS6detail17trampoline_kernelINS0_14default_configENS1_38merge_sort_block_merge_config_selectorI6__halfNS0_10empty_typeEEEZZNS1_27merge_sort_block_merge_implIS3_PS5_PS6_jNS1_19radix_merge_compareILb1ELb0ES5_NS0_19identity_decomposerEEEEE10hipError_tT0_T1_T2_jT3_P12ihipStream_tbPNSt15iterator_traitsISF_E10value_typeEPNSL_ISG_E10value_typeEPSH_NS1_7vsmem_tEENKUlT_SF_SG_SH_E_clIS9_S9_SA_SA_EESE_SU_SF_SG_SH_EUlSU_E_NS1_11comp_targetILNS1_3genE9ELNS1_11target_archE1100ELNS1_3gpuE3ELNS1_3repE0EEENS1_48merge_mergepath_partition_config_static_selectorELNS0_4arch9wavefront6targetE0EEEvSG_.has_indirect_call, 0
	.section	.AMDGPU.csdata,"",@progbits
; Kernel info:
; codeLenInByte = 0
; TotalNumSgprs: 0
; NumVgprs: 0
; ScratchSize: 0
; MemoryBound: 0
; FloatMode: 240
; IeeeMode: 1
; LDSByteSize: 0 bytes/workgroup (compile time only)
; SGPRBlocks: 0
; VGPRBlocks: 0
; NumSGPRsForWavesPerEU: 1
; NumVGPRsForWavesPerEU: 1
; NamedBarCnt: 0
; Occupancy: 16
; WaveLimiterHint : 0
; COMPUTE_PGM_RSRC2:SCRATCH_EN: 0
; COMPUTE_PGM_RSRC2:USER_SGPR: 2
; COMPUTE_PGM_RSRC2:TRAP_HANDLER: 0
; COMPUTE_PGM_RSRC2:TGID_X_EN: 1
; COMPUTE_PGM_RSRC2:TGID_Y_EN: 0
; COMPUTE_PGM_RSRC2:TGID_Z_EN: 0
; COMPUTE_PGM_RSRC2:TIDIG_COMP_CNT: 0
	.section	.text._ZN7rocprim17ROCPRIM_400000_NS6detail17trampoline_kernelINS0_14default_configENS1_38merge_sort_block_merge_config_selectorI6__halfNS0_10empty_typeEEEZZNS1_27merge_sort_block_merge_implIS3_PS5_PS6_jNS1_19radix_merge_compareILb1ELb0ES5_NS0_19identity_decomposerEEEEE10hipError_tT0_T1_T2_jT3_P12ihipStream_tbPNSt15iterator_traitsISF_E10value_typeEPNSL_ISG_E10value_typeEPSH_NS1_7vsmem_tEENKUlT_SF_SG_SH_E_clIS9_S9_SA_SA_EESE_SU_SF_SG_SH_EUlSU_E_NS1_11comp_targetILNS1_3genE8ELNS1_11target_archE1030ELNS1_3gpuE2ELNS1_3repE0EEENS1_48merge_mergepath_partition_config_static_selectorELNS0_4arch9wavefront6targetE0EEEvSG_,"axG",@progbits,_ZN7rocprim17ROCPRIM_400000_NS6detail17trampoline_kernelINS0_14default_configENS1_38merge_sort_block_merge_config_selectorI6__halfNS0_10empty_typeEEEZZNS1_27merge_sort_block_merge_implIS3_PS5_PS6_jNS1_19radix_merge_compareILb1ELb0ES5_NS0_19identity_decomposerEEEEE10hipError_tT0_T1_T2_jT3_P12ihipStream_tbPNSt15iterator_traitsISF_E10value_typeEPNSL_ISG_E10value_typeEPSH_NS1_7vsmem_tEENKUlT_SF_SG_SH_E_clIS9_S9_SA_SA_EESE_SU_SF_SG_SH_EUlSU_E_NS1_11comp_targetILNS1_3genE8ELNS1_11target_archE1030ELNS1_3gpuE2ELNS1_3repE0EEENS1_48merge_mergepath_partition_config_static_selectorELNS0_4arch9wavefront6targetE0EEEvSG_,comdat
	.protected	_ZN7rocprim17ROCPRIM_400000_NS6detail17trampoline_kernelINS0_14default_configENS1_38merge_sort_block_merge_config_selectorI6__halfNS0_10empty_typeEEEZZNS1_27merge_sort_block_merge_implIS3_PS5_PS6_jNS1_19radix_merge_compareILb1ELb0ES5_NS0_19identity_decomposerEEEEE10hipError_tT0_T1_T2_jT3_P12ihipStream_tbPNSt15iterator_traitsISF_E10value_typeEPNSL_ISG_E10value_typeEPSH_NS1_7vsmem_tEENKUlT_SF_SG_SH_E_clIS9_S9_SA_SA_EESE_SU_SF_SG_SH_EUlSU_E_NS1_11comp_targetILNS1_3genE8ELNS1_11target_archE1030ELNS1_3gpuE2ELNS1_3repE0EEENS1_48merge_mergepath_partition_config_static_selectorELNS0_4arch9wavefront6targetE0EEEvSG_ ; -- Begin function _ZN7rocprim17ROCPRIM_400000_NS6detail17trampoline_kernelINS0_14default_configENS1_38merge_sort_block_merge_config_selectorI6__halfNS0_10empty_typeEEEZZNS1_27merge_sort_block_merge_implIS3_PS5_PS6_jNS1_19radix_merge_compareILb1ELb0ES5_NS0_19identity_decomposerEEEEE10hipError_tT0_T1_T2_jT3_P12ihipStream_tbPNSt15iterator_traitsISF_E10value_typeEPNSL_ISG_E10value_typeEPSH_NS1_7vsmem_tEENKUlT_SF_SG_SH_E_clIS9_S9_SA_SA_EESE_SU_SF_SG_SH_EUlSU_E_NS1_11comp_targetILNS1_3genE8ELNS1_11target_archE1030ELNS1_3gpuE2ELNS1_3repE0EEENS1_48merge_mergepath_partition_config_static_selectorELNS0_4arch9wavefront6targetE0EEEvSG_
	.globl	_ZN7rocprim17ROCPRIM_400000_NS6detail17trampoline_kernelINS0_14default_configENS1_38merge_sort_block_merge_config_selectorI6__halfNS0_10empty_typeEEEZZNS1_27merge_sort_block_merge_implIS3_PS5_PS6_jNS1_19radix_merge_compareILb1ELb0ES5_NS0_19identity_decomposerEEEEE10hipError_tT0_T1_T2_jT3_P12ihipStream_tbPNSt15iterator_traitsISF_E10value_typeEPNSL_ISG_E10value_typeEPSH_NS1_7vsmem_tEENKUlT_SF_SG_SH_E_clIS9_S9_SA_SA_EESE_SU_SF_SG_SH_EUlSU_E_NS1_11comp_targetILNS1_3genE8ELNS1_11target_archE1030ELNS1_3gpuE2ELNS1_3repE0EEENS1_48merge_mergepath_partition_config_static_selectorELNS0_4arch9wavefront6targetE0EEEvSG_
	.p2align	8
	.type	_ZN7rocprim17ROCPRIM_400000_NS6detail17trampoline_kernelINS0_14default_configENS1_38merge_sort_block_merge_config_selectorI6__halfNS0_10empty_typeEEEZZNS1_27merge_sort_block_merge_implIS3_PS5_PS6_jNS1_19radix_merge_compareILb1ELb0ES5_NS0_19identity_decomposerEEEEE10hipError_tT0_T1_T2_jT3_P12ihipStream_tbPNSt15iterator_traitsISF_E10value_typeEPNSL_ISG_E10value_typeEPSH_NS1_7vsmem_tEENKUlT_SF_SG_SH_E_clIS9_S9_SA_SA_EESE_SU_SF_SG_SH_EUlSU_E_NS1_11comp_targetILNS1_3genE8ELNS1_11target_archE1030ELNS1_3gpuE2ELNS1_3repE0EEENS1_48merge_mergepath_partition_config_static_selectorELNS0_4arch9wavefront6targetE0EEEvSG_,@function
_ZN7rocprim17ROCPRIM_400000_NS6detail17trampoline_kernelINS0_14default_configENS1_38merge_sort_block_merge_config_selectorI6__halfNS0_10empty_typeEEEZZNS1_27merge_sort_block_merge_implIS3_PS5_PS6_jNS1_19radix_merge_compareILb1ELb0ES5_NS0_19identity_decomposerEEEEE10hipError_tT0_T1_T2_jT3_P12ihipStream_tbPNSt15iterator_traitsISF_E10value_typeEPNSL_ISG_E10value_typeEPSH_NS1_7vsmem_tEENKUlT_SF_SG_SH_E_clIS9_S9_SA_SA_EESE_SU_SF_SG_SH_EUlSU_E_NS1_11comp_targetILNS1_3genE8ELNS1_11target_archE1030ELNS1_3gpuE2ELNS1_3repE0EEENS1_48merge_mergepath_partition_config_static_selectorELNS0_4arch9wavefront6targetE0EEEvSG_: ; @_ZN7rocprim17ROCPRIM_400000_NS6detail17trampoline_kernelINS0_14default_configENS1_38merge_sort_block_merge_config_selectorI6__halfNS0_10empty_typeEEEZZNS1_27merge_sort_block_merge_implIS3_PS5_PS6_jNS1_19radix_merge_compareILb1ELb0ES5_NS0_19identity_decomposerEEEEE10hipError_tT0_T1_T2_jT3_P12ihipStream_tbPNSt15iterator_traitsISF_E10value_typeEPNSL_ISG_E10value_typeEPSH_NS1_7vsmem_tEENKUlT_SF_SG_SH_E_clIS9_S9_SA_SA_EESE_SU_SF_SG_SH_EUlSU_E_NS1_11comp_targetILNS1_3genE8ELNS1_11target_archE1030ELNS1_3gpuE2ELNS1_3repE0EEENS1_48merge_mergepath_partition_config_static_selectorELNS0_4arch9wavefront6targetE0EEEvSG_
; %bb.0:
	.section	.rodata,"a",@progbits
	.p2align	6, 0x0
	.amdhsa_kernel _ZN7rocprim17ROCPRIM_400000_NS6detail17trampoline_kernelINS0_14default_configENS1_38merge_sort_block_merge_config_selectorI6__halfNS0_10empty_typeEEEZZNS1_27merge_sort_block_merge_implIS3_PS5_PS6_jNS1_19radix_merge_compareILb1ELb0ES5_NS0_19identity_decomposerEEEEE10hipError_tT0_T1_T2_jT3_P12ihipStream_tbPNSt15iterator_traitsISF_E10value_typeEPNSL_ISG_E10value_typeEPSH_NS1_7vsmem_tEENKUlT_SF_SG_SH_E_clIS9_S9_SA_SA_EESE_SU_SF_SG_SH_EUlSU_E_NS1_11comp_targetILNS1_3genE8ELNS1_11target_archE1030ELNS1_3gpuE2ELNS1_3repE0EEENS1_48merge_mergepath_partition_config_static_selectorELNS0_4arch9wavefront6targetE0EEEvSG_
		.amdhsa_group_segment_fixed_size 0
		.amdhsa_private_segment_fixed_size 0
		.amdhsa_kernarg_size 40
		.amdhsa_user_sgpr_count 2
		.amdhsa_user_sgpr_dispatch_ptr 0
		.amdhsa_user_sgpr_queue_ptr 0
		.amdhsa_user_sgpr_kernarg_segment_ptr 1
		.amdhsa_user_sgpr_dispatch_id 0
		.amdhsa_user_sgpr_kernarg_preload_length 0
		.amdhsa_user_sgpr_kernarg_preload_offset 0
		.amdhsa_user_sgpr_private_segment_size 0
		.amdhsa_wavefront_size32 1
		.amdhsa_uses_dynamic_stack 0
		.amdhsa_enable_private_segment 0
		.amdhsa_system_sgpr_workgroup_id_x 1
		.amdhsa_system_sgpr_workgroup_id_y 0
		.amdhsa_system_sgpr_workgroup_id_z 0
		.amdhsa_system_sgpr_workgroup_info 0
		.amdhsa_system_vgpr_workitem_id 0
		.amdhsa_next_free_vgpr 1
		.amdhsa_next_free_sgpr 1
		.amdhsa_named_barrier_count 0
		.amdhsa_reserve_vcc 0
		.amdhsa_float_round_mode_32 0
		.amdhsa_float_round_mode_16_64 0
		.amdhsa_float_denorm_mode_32 3
		.amdhsa_float_denorm_mode_16_64 3
		.amdhsa_fp16_overflow 0
		.amdhsa_memory_ordered 1
		.amdhsa_forward_progress 1
		.amdhsa_inst_pref_size 0
		.amdhsa_round_robin_scheduling 0
		.amdhsa_exception_fp_ieee_invalid_op 0
		.amdhsa_exception_fp_denorm_src 0
		.amdhsa_exception_fp_ieee_div_zero 0
		.amdhsa_exception_fp_ieee_overflow 0
		.amdhsa_exception_fp_ieee_underflow 0
		.amdhsa_exception_fp_ieee_inexact 0
		.amdhsa_exception_int_div_zero 0
	.end_amdhsa_kernel
	.section	.text._ZN7rocprim17ROCPRIM_400000_NS6detail17trampoline_kernelINS0_14default_configENS1_38merge_sort_block_merge_config_selectorI6__halfNS0_10empty_typeEEEZZNS1_27merge_sort_block_merge_implIS3_PS5_PS6_jNS1_19radix_merge_compareILb1ELb0ES5_NS0_19identity_decomposerEEEEE10hipError_tT0_T1_T2_jT3_P12ihipStream_tbPNSt15iterator_traitsISF_E10value_typeEPNSL_ISG_E10value_typeEPSH_NS1_7vsmem_tEENKUlT_SF_SG_SH_E_clIS9_S9_SA_SA_EESE_SU_SF_SG_SH_EUlSU_E_NS1_11comp_targetILNS1_3genE8ELNS1_11target_archE1030ELNS1_3gpuE2ELNS1_3repE0EEENS1_48merge_mergepath_partition_config_static_selectorELNS0_4arch9wavefront6targetE0EEEvSG_,"axG",@progbits,_ZN7rocprim17ROCPRIM_400000_NS6detail17trampoline_kernelINS0_14default_configENS1_38merge_sort_block_merge_config_selectorI6__halfNS0_10empty_typeEEEZZNS1_27merge_sort_block_merge_implIS3_PS5_PS6_jNS1_19radix_merge_compareILb1ELb0ES5_NS0_19identity_decomposerEEEEE10hipError_tT0_T1_T2_jT3_P12ihipStream_tbPNSt15iterator_traitsISF_E10value_typeEPNSL_ISG_E10value_typeEPSH_NS1_7vsmem_tEENKUlT_SF_SG_SH_E_clIS9_S9_SA_SA_EESE_SU_SF_SG_SH_EUlSU_E_NS1_11comp_targetILNS1_3genE8ELNS1_11target_archE1030ELNS1_3gpuE2ELNS1_3repE0EEENS1_48merge_mergepath_partition_config_static_selectorELNS0_4arch9wavefront6targetE0EEEvSG_,comdat
.Lfunc_end2112:
	.size	_ZN7rocprim17ROCPRIM_400000_NS6detail17trampoline_kernelINS0_14default_configENS1_38merge_sort_block_merge_config_selectorI6__halfNS0_10empty_typeEEEZZNS1_27merge_sort_block_merge_implIS3_PS5_PS6_jNS1_19radix_merge_compareILb1ELb0ES5_NS0_19identity_decomposerEEEEE10hipError_tT0_T1_T2_jT3_P12ihipStream_tbPNSt15iterator_traitsISF_E10value_typeEPNSL_ISG_E10value_typeEPSH_NS1_7vsmem_tEENKUlT_SF_SG_SH_E_clIS9_S9_SA_SA_EESE_SU_SF_SG_SH_EUlSU_E_NS1_11comp_targetILNS1_3genE8ELNS1_11target_archE1030ELNS1_3gpuE2ELNS1_3repE0EEENS1_48merge_mergepath_partition_config_static_selectorELNS0_4arch9wavefront6targetE0EEEvSG_, .Lfunc_end2112-_ZN7rocprim17ROCPRIM_400000_NS6detail17trampoline_kernelINS0_14default_configENS1_38merge_sort_block_merge_config_selectorI6__halfNS0_10empty_typeEEEZZNS1_27merge_sort_block_merge_implIS3_PS5_PS6_jNS1_19radix_merge_compareILb1ELb0ES5_NS0_19identity_decomposerEEEEE10hipError_tT0_T1_T2_jT3_P12ihipStream_tbPNSt15iterator_traitsISF_E10value_typeEPNSL_ISG_E10value_typeEPSH_NS1_7vsmem_tEENKUlT_SF_SG_SH_E_clIS9_S9_SA_SA_EESE_SU_SF_SG_SH_EUlSU_E_NS1_11comp_targetILNS1_3genE8ELNS1_11target_archE1030ELNS1_3gpuE2ELNS1_3repE0EEENS1_48merge_mergepath_partition_config_static_selectorELNS0_4arch9wavefront6targetE0EEEvSG_
                                        ; -- End function
	.set _ZN7rocprim17ROCPRIM_400000_NS6detail17trampoline_kernelINS0_14default_configENS1_38merge_sort_block_merge_config_selectorI6__halfNS0_10empty_typeEEEZZNS1_27merge_sort_block_merge_implIS3_PS5_PS6_jNS1_19radix_merge_compareILb1ELb0ES5_NS0_19identity_decomposerEEEEE10hipError_tT0_T1_T2_jT3_P12ihipStream_tbPNSt15iterator_traitsISF_E10value_typeEPNSL_ISG_E10value_typeEPSH_NS1_7vsmem_tEENKUlT_SF_SG_SH_E_clIS9_S9_SA_SA_EESE_SU_SF_SG_SH_EUlSU_E_NS1_11comp_targetILNS1_3genE8ELNS1_11target_archE1030ELNS1_3gpuE2ELNS1_3repE0EEENS1_48merge_mergepath_partition_config_static_selectorELNS0_4arch9wavefront6targetE0EEEvSG_.num_vgpr, 0
	.set _ZN7rocprim17ROCPRIM_400000_NS6detail17trampoline_kernelINS0_14default_configENS1_38merge_sort_block_merge_config_selectorI6__halfNS0_10empty_typeEEEZZNS1_27merge_sort_block_merge_implIS3_PS5_PS6_jNS1_19radix_merge_compareILb1ELb0ES5_NS0_19identity_decomposerEEEEE10hipError_tT0_T1_T2_jT3_P12ihipStream_tbPNSt15iterator_traitsISF_E10value_typeEPNSL_ISG_E10value_typeEPSH_NS1_7vsmem_tEENKUlT_SF_SG_SH_E_clIS9_S9_SA_SA_EESE_SU_SF_SG_SH_EUlSU_E_NS1_11comp_targetILNS1_3genE8ELNS1_11target_archE1030ELNS1_3gpuE2ELNS1_3repE0EEENS1_48merge_mergepath_partition_config_static_selectorELNS0_4arch9wavefront6targetE0EEEvSG_.num_agpr, 0
	.set _ZN7rocprim17ROCPRIM_400000_NS6detail17trampoline_kernelINS0_14default_configENS1_38merge_sort_block_merge_config_selectorI6__halfNS0_10empty_typeEEEZZNS1_27merge_sort_block_merge_implIS3_PS5_PS6_jNS1_19radix_merge_compareILb1ELb0ES5_NS0_19identity_decomposerEEEEE10hipError_tT0_T1_T2_jT3_P12ihipStream_tbPNSt15iterator_traitsISF_E10value_typeEPNSL_ISG_E10value_typeEPSH_NS1_7vsmem_tEENKUlT_SF_SG_SH_E_clIS9_S9_SA_SA_EESE_SU_SF_SG_SH_EUlSU_E_NS1_11comp_targetILNS1_3genE8ELNS1_11target_archE1030ELNS1_3gpuE2ELNS1_3repE0EEENS1_48merge_mergepath_partition_config_static_selectorELNS0_4arch9wavefront6targetE0EEEvSG_.numbered_sgpr, 0
	.set _ZN7rocprim17ROCPRIM_400000_NS6detail17trampoline_kernelINS0_14default_configENS1_38merge_sort_block_merge_config_selectorI6__halfNS0_10empty_typeEEEZZNS1_27merge_sort_block_merge_implIS3_PS5_PS6_jNS1_19radix_merge_compareILb1ELb0ES5_NS0_19identity_decomposerEEEEE10hipError_tT0_T1_T2_jT3_P12ihipStream_tbPNSt15iterator_traitsISF_E10value_typeEPNSL_ISG_E10value_typeEPSH_NS1_7vsmem_tEENKUlT_SF_SG_SH_E_clIS9_S9_SA_SA_EESE_SU_SF_SG_SH_EUlSU_E_NS1_11comp_targetILNS1_3genE8ELNS1_11target_archE1030ELNS1_3gpuE2ELNS1_3repE0EEENS1_48merge_mergepath_partition_config_static_selectorELNS0_4arch9wavefront6targetE0EEEvSG_.num_named_barrier, 0
	.set _ZN7rocprim17ROCPRIM_400000_NS6detail17trampoline_kernelINS0_14default_configENS1_38merge_sort_block_merge_config_selectorI6__halfNS0_10empty_typeEEEZZNS1_27merge_sort_block_merge_implIS3_PS5_PS6_jNS1_19radix_merge_compareILb1ELb0ES5_NS0_19identity_decomposerEEEEE10hipError_tT0_T1_T2_jT3_P12ihipStream_tbPNSt15iterator_traitsISF_E10value_typeEPNSL_ISG_E10value_typeEPSH_NS1_7vsmem_tEENKUlT_SF_SG_SH_E_clIS9_S9_SA_SA_EESE_SU_SF_SG_SH_EUlSU_E_NS1_11comp_targetILNS1_3genE8ELNS1_11target_archE1030ELNS1_3gpuE2ELNS1_3repE0EEENS1_48merge_mergepath_partition_config_static_selectorELNS0_4arch9wavefront6targetE0EEEvSG_.private_seg_size, 0
	.set _ZN7rocprim17ROCPRIM_400000_NS6detail17trampoline_kernelINS0_14default_configENS1_38merge_sort_block_merge_config_selectorI6__halfNS0_10empty_typeEEEZZNS1_27merge_sort_block_merge_implIS3_PS5_PS6_jNS1_19radix_merge_compareILb1ELb0ES5_NS0_19identity_decomposerEEEEE10hipError_tT0_T1_T2_jT3_P12ihipStream_tbPNSt15iterator_traitsISF_E10value_typeEPNSL_ISG_E10value_typeEPSH_NS1_7vsmem_tEENKUlT_SF_SG_SH_E_clIS9_S9_SA_SA_EESE_SU_SF_SG_SH_EUlSU_E_NS1_11comp_targetILNS1_3genE8ELNS1_11target_archE1030ELNS1_3gpuE2ELNS1_3repE0EEENS1_48merge_mergepath_partition_config_static_selectorELNS0_4arch9wavefront6targetE0EEEvSG_.uses_vcc, 0
	.set _ZN7rocprim17ROCPRIM_400000_NS6detail17trampoline_kernelINS0_14default_configENS1_38merge_sort_block_merge_config_selectorI6__halfNS0_10empty_typeEEEZZNS1_27merge_sort_block_merge_implIS3_PS5_PS6_jNS1_19radix_merge_compareILb1ELb0ES5_NS0_19identity_decomposerEEEEE10hipError_tT0_T1_T2_jT3_P12ihipStream_tbPNSt15iterator_traitsISF_E10value_typeEPNSL_ISG_E10value_typeEPSH_NS1_7vsmem_tEENKUlT_SF_SG_SH_E_clIS9_S9_SA_SA_EESE_SU_SF_SG_SH_EUlSU_E_NS1_11comp_targetILNS1_3genE8ELNS1_11target_archE1030ELNS1_3gpuE2ELNS1_3repE0EEENS1_48merge_mergepath_partition_config_static_selectorELNS0_4arch9wavefront6targetE0EEEvSG_.uses_flat_scratch, 0
	.set _ZN7rocprim17ROCPRIM_400000_NS6detail17trampoline_kernelINS0_14default_configENS1_38merge_sort_block_merge_config_selectorI6__halfNS0_10empty_typeEEEZZNS1_27merge_sort_block_merge_implIS3_PS5_PS6_jNS1_19radix_merge_compareILb1ELb0ES5_NS0_19identity_decomposerEEEEE10hipError_tT0_T1_T2_jT3_P12ihipStream_tbPNSt15iterator_traitsISF_E10value_typeEPNSL_ISG_E10value_typeEPSH_NS1_7vsmem_tEENKUlT_SF_SG_SH_E_clIS9_S9_SA_SA_EESE_SU_SF_SG_SH_EUlSU_E_NS1_11comp_targetILNS1_3genE8ELNS1_11target_archE1030ELNS1_3gpuE2ELNS1_3repE0EEENS1_48merge_mergepath_partition_config_static_selectorELNS0_4arch9wavefront6targetE0EEEvSG_.has_dyn_sized_stack, 0
	.set _ZN7rocprim17ROCPRIM_400000_NS6detail17trampoline_kernelINS0_14default_configENS1_38merge_sort_block_merge_config_selectorI6__halfNS0_10empty_typeEEEZZNS1_27merge_sort_block_merge_implIS3_PS5_PS6_jNS1_19radix_merge_compareILb1ELb0ES5_NS0_19identity_decomposerEEEEE10hipError_tT0_T1_T2_jT3_P12ihipStream_tbPNSt15iterator_traitsISF_E10value_typeEPNSL_ISG_E10value_typeEPSH_NS1_7vsmem_tEENKUlT_SF_SG_SH_E_clIS9_S9_SA_SA_EESE_SU_SF_SG_SH_EUlSU_E_NS1_11comp_targetILNS1_3genE8ELNS1_11target_archE1030ELNS1_3gpuE2ELNS1_3repE0EEENS1_48merge_mergepath_partition_config_static_selectorELNS0_4arch9wavefront6targetE0EEEvSG_.has_recursion, 0
	.set _ZN7rocprim17ROCPRIM_400000_NS6detail17trampoline_kernelINS0_14default_configENS1_38merge_sort_block_merge_config_selectorI6__halfNS0_10empty_typeEEEZZNS1_27merge_sort_block_merge_implIS3_PS5_PS6_jNS1_19radix_merge_compareILb1ELb0ES5_NS0_19identity_decomposerEEEEE10hipError_tT0_T1_T2_jT3_P12ihipStream_tbPNSt15iterator_traitsISF_E10value_typeEPNSL_ISG_E10value_typeEPSH_NS1_7vsmem_tEENKUlT_SF_SG_SH_E_clIS9_S9_SA_SA_EESE_SU_SF_SG_SH_EUlSU_E_NS1_11comp_targetILNS1_3genE8ELNS1_11target_archE1030ELNS1_3gpuE2ELNS1_3repE0EEENS1_48merge_mergepath_partition_config_static_selectorELNS0_4arch9wavefront6targetE0EEEvSG_.has_indirect_call, 0
	.section	.AMDGPU.csdata,"",@progbits
; Kernel info:
; codeLenInByte = 0
; TotalNumSgprs: 0
; NumVgprs: 0
; ScratchSize: 0
; MemoryBound: 0
; FloatMode: 240
; IeeeMode: 1
; LDSByteSize: 0 bytes/workgroup (compile time only)
; SGPRBlocks: 0
; VGPRBlocks: 0
; NumSGPRsForWavesPerEU: 1
; NumVGPRsForWavesPerEU: 1
; NamedBarCnt: 0
; Occupancy: 16
; WaveLimiterHint : 0
; COMPUTE_PGM_RSRC2:SCRATCH_EN: 0
; COMPUTE_PGM_RSRC2:USER_SGPR: 2
; COMPUTE_PGM_RSRC2:TRAP_HANDLER: 0
; COMPUTE_PGM_RSRC2:TGID_X_EN: 1
; COMPUTE_PGM_RSRC2:TGID_Y_EN: 0
; COMPUTE_PGM_RSRC2:TGID_Z_EN: 0
; COMPUTE_PGM_RSRC2:TIDIG_COMP_CNT: 0
	.section	.text._ZN7rocprim17ROCPRIM_400000_NS6detail17trampoline_kernelINS0_14default_configENS1_38merge_sort_block_merge_config_selectorI6__halfNS0_10empty_typeEEEZZNS1_27merge_sort_block_merge_implIS3_PS5_PS6_jNS1_19radix_merge_compareILb1ELb0ES5_NS0_19identity_decomposerEEEEE10hipError_tT0_T1_T2_jT3_P12ihipStream_tbPNSt15iterator_traitsISF_E10value_typeEPNSL_ISG_E10value_typeEPSH_NS1_7vsmem_tEENKUlT_SF_SG_SH_E_clIS9_S9_SA_SA_EESE_SU_SF_SG_SH_EUlSU_E0_NS1_11comp_targetILNS1_3genE0ELNS1_11target_archE4294967295ELNS1_3gpuE0ELNS1_3repE0EEENS1_38merge_mergepath_config_static_selectorELNS0_4arch9wavefront6targetE0EEEvSG_,"axG",@progbits,_ZN7rocprim17ROCPRIM_400000_NS6detail17trampoline_kernelINS0_14default_configENS1_38merge_sort_block_merge_config_selectorI6__halfNS0_10empty_typeEEEZZNS1_27merge_sort_block_merge_implIS3_PS5_PS6_jNS1_19radix_merge_compareILb1ELb0ES5_NS0_19identity_decomposerEEEEE10hipError_tT0_T1_T2_jT3_P12ihipStream_tbPNSt15iterator_traitsISF_E10value_typeEPNSL_ISG_E10value_typeEPSH_NS1_7vsmem_tEENKUlT_SF_SG_SH_E_clIS9_S9_SA_SA_EESE_SU_SF_SG_SH_EUlSU_E0_NS1_11comp_targetILNS1_3genE0ELNS1_11target_archE4294967295ELNS1_3gpuE0ELNS1_3repE0EEENS1_38merge_mergepath_config_static_selectorELNS0_4arch9wavefront6targetE0EEEvSG_,comdat
	.protected	_ZN7rocprim17ROCPRIM_400000_NS6detail17trampoline_kernelINS0_14default_configENS1_38merge_sort_block_merge_config_selectorI6__halfNS0_10empty_typeEEEZZNS1_27merge_sort_block_merge_implIS3_PS5_PS6_jNS1_19radix_merge_compareILb1ELb0ES5_NS0_19identity_decomposerEEEEE10hipError_tT0_T1_T2_jT3_P12ihipStream_tbPNSt15iterator_traitsISF_E10value_typeEPNSL_ISG_E10value_typeEPSH_NS1_7vsmem_tEENKUlT_SF_SG_SH_E_clIS9_S9_SA_SA_EESE_SU_SF_SG_SH_EUlSU_E0_NS1_11comp_targetILNS1_3genE0ELNS1_11target_archE4294967295ELNS1_3gpuE0ELNS1_3repE0EEENS1_38merge_mergepath_config_static_selectorELNS0_4arch9wavefront6targetE0EEEvSG_ ; -- Begin function _ZN7rocprim17ROCPRIM_400000_NS6detail17trampoline_kernelINS0_14default_configENS1_38merge_sort_block_merge_config_selectorI6__halfNS0_10empty_typeEEEZZNS1_27merge_sort_block_merge_implIS3_PS5_PS6_jNS1_19radix_merge_compareILb1ELb0ES5_NS0_19identity_decomposerEEEEE10hipError_tT0_T1_T2_jT3_P12ihipStream_tbPNSt15iterator_traitsISF_E10value_typeEPNSL_ISG_E10value_typeEPSH_NS1_7vsmem_tEENKUlT_SF_SG_SH_E_clIS9_S9_SA_SA_EESE_SU_SF_SG_SH_EUlSU_E0_NS1_11comp_targetILNS1_3genE0ELNS1_11target_archE4294967295ELNS1_3gpuE0ELNS1_3repE0EEENS1_38merge_mergepath_config_static_selectorELNS0_4arch9wavefront6targetE0EEEvSG_
	.globl	_ZN7rocprim17ROCPRIM_400000_NS6detail17trampoline_kernelINS0_14default_configENS1_38merge_sort_block_merge_config_selectorI6__halfNS0_10empty_typeEEEZZNS1_27merge_sort_block_merge_implIS3_PS5_PS6_jNS1_19radix_merge_compareILb1ELb0ES5_NS0_19identity_decomposerEEEEE10hipError_tT0_T1_T2_jT3_P12ihipStream_tbPNSt15iterator_traitsISF_E10value_typeEPNSL_ISG_E10value_typeEPSH_NS1_7vsmem_tEENKUlT_SF_SG_SH_E_clIS9_S9_SA_SA_EESE_SU_SF_SG_SH_EUlSU_E0_NS1_11comp_targetILNS1_3genE0ELNS1_11target_archE4294967295ELNS1_3gpuE0ELNS1_3repE0EEENS1_38merge_mergepath_config_static_selectorELNS0_4arch9wavefront6targetE0EEEvSG_
	.p2align	8
	.type	_ZN7rocprim17ROCPRIM_400000_NS6detail17trampoline_kernelINS0_14default_configENS1_38merge_sort_block_merge_config_selectorI6__halfNS0_10empty_typeEEEZZNS1_27merge_sort_block_merge_implIS3_PS5_PS6_jNS1_19radix_merge_compareILb1ELb0ES5_NS0_19identity_decomposerEEEEE10hipError_tT0_T1_T2_jT3_P12ihipStream_tbPNSt15iterator_traitsISF_E10value_typeEPNSL_ISG_E10value_typeEPSH_NS1_7vsmem_tEENKUlT_SF_SG_SH_E_clIS9_S9_SA_SA_EESE_SU_SF_SG_SH_EUlSU_E0_NS1_11comp_targetILNS1_3genE0ELNS1_11target_archE4294967295ELNS1_3gpuE0ELNS1_3repE0EEENS1_38merge_mergepath_config_static_selectorELNS0_4arch9wavefront6targetE0EEEvSG_,@function
_ZN7rocprim17ROCPRIM_400000_NS6detail17trampoline_kernelINS0_14default_configENS1_38merge_sort_block_merge_config_selectorI6__halfNS0_10empty_typeEEEZZNS1_27merge_sort_block_merge_implIS3_PS5_PS6_jNS1_19radix_merge_compareILb1ELb0ES5_NS0_19identity_decomposerEEEEE10hipError_tT0_T1_T2_jT3_P12ihipStream_tbPNSt15iterator_traitsISF_E10value_typeEPNSL_ISG_E10value_typeEPSH_NS1_7vsmem_tEENKUlT_SF_SG_SH_E_clIS9_S9_SA_SA_EESE_SU_SF_SG_SH_EUlSU_E0_NS1_11comp_targetILNS1_3genE0ELNS1_11target_archE4294967295ELNS1_3gpuE0ELNS1_3repE0EEENS1_38merge_mergepath_config_static_selectorELNS0_4arch9wavefront6targetE0EEEvSG_: ; @_ZN7rocprim17ROCPRIM_400000_NS6detail17trampoline_kernelINS0_14default_configENS1_38merge_sort_block_merge_config_selectorI6__halfNS0_10empty_typeEEEZZNS1_27merge_sort_block_merge_implIS3_PS5_PS6_jNS1_19radix_merge_compareILb1ELb0ES5_NS0_19identity_decomposerEEEEE10hipError_tT0_T1_T2_jT3_P12ihipStream_tbPNSt15iterator_traitsISF_E10value_typeEPNSL_ISG_E10value_typeEPSH_NS1_7vsmem_tEENKUlT_SF_SG_SH_E_clIS9_S9_SA_SA_EESE_SU_SF_SG_SH_EUlSU_E0_NS1_11comp_targetILNS1_3genE0ELNS1_11target_archE4294967295ELNS1_3gpuE0ELNS1_3repE0EEENS1_38merge_mergepath_config_static_selectorELNS0_4arch9wavefront6targetE0EEEvSG_
; %bb.0:
	s_bfe_u32 s2, ttmp6, 0x40010
	s_and_b32 s4, ttmp7, 0xffff
	s_add_co_i32 s5, s2, 1
	s_clause 0x1
	s_load_b32 s6, s[0:1], 0x30
	s_load_b64 s[2:3], s[0:1], 0x40
	s_bfe_u32 s8, ttmp6, 0x4000c
	s_mul_i32 s5, s4, s5
	s_bfe_u32 s7, ttmp6, 0x40004
	s_add_co_i32 s8, s8, 1
	s_bfe_u32 s9, ttmp6, 0x40014
	s_add_co_i32 s7, s7, s5
	s_and_b32 s5, ttmp6, 15
	s_mul_i32 s8, ttmp9, s8
	s_lshr_b32 s10, ttmp7, 16
	s_add_co_i32 s9, s9, 1
	s_add_co_i32 s5, s5, s8
	s_mul_i32 s8, s10, s9
	s_bfe_u32 s9, ttmp6, 0x40008
	s_getreg_b32 s11, hwreg(HW_REG_IB_STS2, 6, 4)
	s_add_co_i32 s9, s9, s8
	s_cmp_eq_u32 s11, 0
	s_cselect_b32 s8, s10, s9
	s_cselect_b32 s4, s4, s7
	s_wait_kmcnt 0x0
	s_mul_i32 s8, s3, s8
	s_cselect_b32 s3, ttmp9, s5
	s_add_co_i32 s4, s8, s4
	s_mov_b32 s5, 0
	s_mul_i32 s4, s4, s2
	s_delay_alu instid0(SALU_CYCLE_1) | instskip(NEXT) | instid1(SALU_CYCLE_1)
	s_add_co_i32 s4, s4, s3
	s_cmp_ge_u32 s4, s6
	s_cbranch_scc1 .LBB2113_75
; %bb.1:
	v_mov_b32_e32 v3, 0
	s_add_nc_u64 s[10:11], s[0:1], 64
	global_load_b32 v1, v3, s[10:11] offset:14
	s_clause 0x2
	s_load_b64 s[6:7], s[0:1], 0x28
	s_load_b64 s[8:9], s[0:1], 0x38
	;; [unrolled: 1-line block ×3, first 2 shown]
	s_wait_kmcnt 0x0
	s_lshr_b32 s15, s6, 10
	s_delay_alu instid0(SALU_CYCLE_1) | instskip(SKIP_2) | instid1(SALU_CYCLE_1)
	s_cmp_lg_u32 s4, s15
	s_cselect_b32 s14, -1, 0
	s_lshl_b64 s[12:13], s[4:5], 2
	s_add_nc_u64 s[8:9], s[8:9], s[12:13]
	s_load_b64 s[12:13], s[8:9], 0x0
	s_wait_xcnt 0x0
	s_lshr_b32 s8, s7, 9
	s_delay_alu instid0(SALU_CYCLE_1) | instskip(NEXT) | instid1(SALU_CYCLE_1)
	s_and_b32 s8, s8, 0x7ffffe
	s_sub_co_i32 s9, 0, s8
	s_lshl_b32 s8, s4, 10
	s_and_b32 s18, s4, s9
	s_or_b32 s9, s4, s9
	s_lshl_b32 s19, s18, 11
	s_lshl_b32 s18, s18, 10
	s_add_co_i32 s19, s19, s7
	s_sub_co_i32 s20, s8, s18
	s_sub_co_i32 s18, s19, s18
	s_add_co_i32 s19, s19, s20
	s_min_u32 s20, s6, s18
	s_add_co_i32 s7, s18, s7
	s_wait_kmcnt 0x0
	s_sub_co_i32 s18, s19, s12
	s_sub_co_i32 s19, s19, s13
	s_min_u32 s18, s6, s18
	s_add_co_i32 s21, s19, 0x400
	s_cmp_eq_u32 s9, -1
	s_mov_b32 s19, s5
	s_cselect_b32 s7, s7, s21
	s_cselect_b32 s9, s20, s13
	s_mov_b32 s13, s5
	s_lshl_b64 s[20:21], s[18:19], 1
	s_min_u32 s19, s7, s6
	s_sub_co_i32 s7, s9, s12
	s_lshl_b64 s[12:13], s[12:13], 1
	s_sub_co_i32 s9, s19, s18
	s_cmp_lt_u32 s3, s2
	s_mov_b32 s3, s5
	s_cselect_b32 s2, 12, 18
	s_add_nc_u64 s[12:13], s[16:17], s[12:13]
	s_add_nc_u64 s[2:3], s[10:11], s[2:3]
	s_cmp_eq_u32 s4, s15
	s_load_u16 s2, s[2:3], 0x0
	s_add_nc_u64 s[10:11], s[16:17], s[20:21]
	s_wait_loadcnt 0x0
	v_lshrrev_b32_e32 v2, 16, v1
	v_and_b32_e32 v1, 0xffff, v1
	s_delay_alu instid0(VALU_DEP_1) | instskip(SKIP_2) | instid1(VALU_DEP_2)
	v_mul_lo_u32 v1, v1, v2
	v_lshlrev_b32_e32 v2, 1, v0
	s_wait_kmcnt 0x0
	v_mul_lo_u32 v1, v1, s2
	s_mov_b32 s2, -1
	s_delay_alu instid0(VALU_DEP_1) | instskip(NEXT) | instid1(VALU_DEP_1)
	v_add_nc_u32_e32 v6, v1, v0
	v_add_nc_u32_e32 v4, v6, v1
	s_cbranch_scc1 .LBB2113_3
; %bb.2:
	v_sub_co_u32 v10, vcc_lo, v0, s7
	v_dual_mov_b32 v11, v3 :: v_dual_mov_b32 v7, v3
	v_add_nc_u64_e32 v[8:9], s[12:13], v[2:3]
	v_sub_co_u32 v14, s2, v6, s7
	s_delay_alu instid0(VALU_DEP_3) | instskip(SKIP_3) | instid1(VALU_DEP_4)
	v_lshl_add_u64 v[10:11], v[10:11], 1, s[10:11]
	v_dual_mov_b32 v15, v3 :: v_dual_mov_b32 v5, v3
	v_lshl_add_u64 v[12:13], v[6:7], 1, s[12:13]
	v_dual_mov_b32 v17, v3 :: v_dual_add_nc_u32 v18, v4, v1
	v_dual_cndmask_b32 v9, v11, v9 :: v_dual_cndmask_b32 v8, v10, v8
	s_delay_alu instid0(VALU_DEP_4) | instskip(SKIP_3) | instid1(VALU_DEP_4)
	v_lshl_add_u64 v[10:11], v[14:15], 1, s[10:11]
	v_sub_co_u32 v16, vcc_lo, v4, s7
	v_mov_b32_e32 v19, v3
	v_lshl_add_u64 v[14:15], v[4:5], 1, s[12:13]
	v_dual_cndmask_b32 v11, v11, v13, s2 :: v_dual_cndmask_b32 v10, v10, v12, s2
	s_delay_alu instid0(VALU_DEP_4) | instskip(NEXT) | instid1(VALU_DEP_4)
	v_lshl_add_u64 v[12:13], v[16:17], 1, s[10:11]
	v_lshl_add_u64 v[16:17], v[18:19], 1, s[12:13]
	v_sub_co_u32 v20, s2, v18, s7
	v_dual_mov_b32 v21, v3 :: v_dual_add_nc_u32 v18, v18, v1
	global_load_u16 v7, v[10:11], off
	s_wait_xcnt 0x0
	v_dual_cndmask_b32 v11, v13, v15 :: v_dual_cndmask_b32 v10, v12, v14
	v_lshl_add_u64 v[12:13], v[20:21], 1, s[10:11]
	v_lshl_add_u64 v[14:15], v[18:19], 1, s[12:13]
	v_sub_co_u32 v20, vcc_lo, v18, s7
	v_add_nc_u32_e32 v18, v18, v1
	global_load_u16 v8, v[8:9], off
	global_load_u16 v9, v[10:11], off
	s_wait_xcnt 0x0
	v_lshl_add_u64 v[10:11], v[20:21], 1, s[10:11]
	v_dual_mov_b32 v23, v3 :: v_dual_add_nc_u32 v20, v18, v1
	v_dual_cndmask_b32 v17, v13, v17, s2 :: v_dual_cndmask_b32 v16, v12, v16, s2
	v_lshl_add_u64 v[12:13], v[18:19], 1, s[12:13]
	v_sub_co_u32 v18, s2, v18, s7
	s_delay_alu instid0(VALU_DEP_4) | instskip(SKIP_2) | instid1(VALU_DEP_3)
	v_dual_cndmask_b32 v15, v11, v15 :: v_dual_add_nc_u32 v22, v20, v1
	v_lshl_add_u64 v[24:25], v[20:21], 1, s[12:13]
	v_sub_co_u32 v20, s3, v20, s7
	v_lshl_add_u64 v[26:27], v[22:23], 1, s[12:13]
	v_sub_co_u32 v22, s4, v22, s7
	v_lshl_add_u64 v[18:19], v[18:19], 1, s[10:11]
	s_delay_alu instid0(VALU_DEP_4) | instskip(SKIP_1) | instid1(VALU_DEP_4)
	v_lshl_add_u64 v[20:21], v[20:21], 1, s[10:11]
	v_cndmask_b32_e32 v14, v10, v14, vcc_lo
	v_lshl_add_u64 v[10:11], v[22:23], 1, s[10:11]
	s_delay_alu instid0(VALU_DEP_4) | instskip(NEXT) | instid1(VALU_DEP_4)
	v_dual_cndmask_b32 v19, v19, v13, s2 :: v_dual_cndmask_b32 v18, v18, v12, s2
	v_dual_cndmask_b32 v21, v21, v25, s3 :: v_dual_cndmask_b32 v20, v20, v24, s3
	s_delay_alu instid0(VALU_DEP_3)
	v_dual_cndmask_b32 v23, v11, v27, s4 :: v_dual_cndmask_b32 v22, v10, v26, s4
	global_load_u16 v10, v[16:17], off
	global_load_u16 v11, v[14:15], off
	;; [unrolled: 1-line block ×5, first 2 shown]
	s_add_co_i32 s4, s9, s7
	s_cbranch_execz .LBB2113_4
	s_branch .LBB2113_21
.LBB2113_3:
                                        ; implicit-def: $vgpr13
                                        ; implicit-def: $vgpr3
                                        ; implicit-def: $vgpr12
                                        ; implicit-def: $vgpr11
                                        ; implicit-def: $vgpr10
                                        ; implicit-def: $vgpr9
                                        ; implicit-def: $vgpr7
                                        ; implicit-def: $vgpr8
                                        ; implicit-def: $sgpr4
	s_and_not1_b32 vcc_lo, exec_lo, s2
	s_cbranch_vccnz .LBB2113_21
.LBB2113_4:
	s_add_co_i32 s4, s9, s7
	s_mov_b32 s2, exec_lo
                                        ; implicit-def: $vgpr8
	s_wait_xcnt 0x0
	v_cmpx_gt_u32_e64 s4, v0
	s_cbranch_execz .LBB2113_6
; %bb.5:
	s_wait_loadcnt 0x4
	v_sub_co_u32 v10, vcc_lo, v0, s7
	s_wait_loadcnt 0x1
	v_mov_b32_e32 v3, 0
	s_delay_alu instid0(VALU_DEP_1) | instskip(SKIP_1) | instid1(VALU_DEP_1)
	v_add_nc_u64_e32 v[8:9], s[12:13], v[2:3]
	v_mov_b32_e32 v11, v3
	v_lshl_add_u64 v[10:11], v[10:11], 1, s[10:11]
	s_delay_alu instid0(VALU_DEP_1)
	v_dual_cndmask_b32 v9, v11, v9 :: v_dual_cndmask_b32 v8, v10, v8
	global_load_u16 v8, v[8:9], off
.LBB2113_6:
	s_wait_xcnt 0x0
	s_or_b32 exec_lo, exec_lo, s2
	s_delay_alu instid0(SALU_CYCLE_1)
	s_mov_b32 s2, exec_lo
                                        ; implicit-def: $vgpr7
	v_cmpx_gt_u32_e64 s4, v6
	s_cbranch_execz .LBB2113_8
; %bb.7:
	s_wait_loadcnt 0x7
	v_mov_b32_e32 v7, 0
	s_wait_loadcnt 0x3
	s_delay_alu instid0(VALU_DEP_1) | instskip(SKIP_1) | instid1(VALU_DEP_1)
	v_lshl_add_u64 v[10:11], v[6:7], 1, s[12:13]
	v_sub_co_u32 v6, vcc_lo, v6, s7
	v_lshl_add_u64 v[6:7], v[6:7], 1, s[10:11]
	s_delay_alu instid0(VALU_DEP_1)
	v_dual_cndmask_b32 v7, v7, v11 :: v_dual_cndmask_b32 v6, v6, v10
	global_load_u16 v7, v[6:7], off
.LBB2113_8:
	s_wait_xcnt 0x0
	s_or_b32 exec_lo, exec_lo, s2
	s_delay_alu instid0(SALU_CYCLE_1)
	s_mov_b32 s2, exec_lo
                                        ; implicit-def: $vgpr9
	v_cmpx_gt_u32_e64 s4, v4
	s_cbranch_execz .LBB2113_10
; %bb.9:
	s_wait_loadcnt 0x2
	v_sub_co_u32 v12, vcc_lo, v4, s7
	v_mov_b32_e32 v5, 0
	s_delay_alu instid0(VALU_DEP_1) | instskip(SKIP_2) | instid1(VALU_DEP_1)
	v_lshl_add_u64 v[10:11], v[4:5], 1, s[12:13]
	s_wait_loadcnt 0x0
	v_mov_b32_e32 v13, v5
	v_lshl_add_u64 v[12:13], v[12:13], 1, s[10:11]
	s_delay_alu instid0(VALU_DEP_1)
	v_dual_cndmask_b32 v11, v13, v11 :: v_dual_cndmask_b32 v10, v12, v10
	global_load_u16 v9, v[10:11], off
.LBB2113_10:
	s_wait_xcnt 0x0
	s_or_b32 exec_lo, exec_lo, s2
	v_add_nc_u32_e32 v4, v4, v1
	s_mov_b32 s2, exec_lo
                                        ; implicit-def: $vgpr10
	s_delay_alu instid0(VALU_DEP_1)
	v_cmpx_gt_u32_e64 s4, v4
	s_cbranch_execz .LBB2113_12
; %bb.11:
	s_wait_loadcnt 0x2
	v_sub_co_u32 v12, vcc_lo, v4, s7
	v_mov_b32_e32 v5, 0
	s_delay_alu instid0(VALU_DEP_1) | instskip(SKIP_2) | instid1(VALU_DEP_1)
	v_lshl_add_u64 v[10:11], v[4:5], 1, s[12:13]
	s_wait_loadcnt 0x0
	v_mov_b32_e32 v13, v5
	v_lshl_add_u64 v[12:13], v[12:13], 1, s[10:11]
	s_delay_alu instid0(VALU_DEP_1)
	v_dual_cndmask_b32 v11, v13, v11 :: v_dual_cndmask_b32 v10, v12, v10
	global_load_u16 v10, v[10:11], off
.LBB2113_12:
	s_wait_xcnt 0x0
	s_or_b32 exec_lo, exec_lo, s2
	v_add_nc_u32_e32 v4, v4, v1
	s_mov_b32 s2, exec_lo
                                        ; implicit-def: $vgpr11
	s_delay_alu instid0(VALU_DEP_1)
	v_cmpx_gt_u32_e64 s4, v4
	s_cbranch_execz .LBB2113_14
; %bb.13:
	v_sub_co_u32 v14, vcc_lo, v4, s7
	v_mov_b32_e32 v5, 0
	s_wait_loadcnt 0x0
	s_delay_alu instid0(VALU_DEP_1) | instskip(SKIP_1) | instid1(VALU_DEP_1)
	v_lshl_add_u64 v[12:13], v[4:5], 1, s[12:13]
	v_mov_b32_e32 v15, v5
	v_lshl_add_u64 v[14:15], v[14:15], 1, s[10:11]
	s_delay_alu instid0(VALU_DEP_1)
	v_dual_cndmask_b32 v13, v15, v13 :: v_dual_cndmask_b32 v12, v14, v12
	global_load_u16 v11, v[12:13], off
.LBB2113_14:
	s_wait_xcnt 0x0
	s_or_b32 exec_lo, exec_lo, s2
	v_add_nc_u32_e32 v4, v4, v1
	s_mov_b32 s2, exec_lo
                                        ; implicit-def: $vgpr12
	s_delay_alu instid0(VALU_DEP_1)
	v_cmpx_gt_u32_e64 s4, v4
	s_cbranch_execz .LBB2113_16
; %bb.15:
	v_sub_co_u32 v14, vcc_lo, v4, s7
	v_mov_b32_e32 v5, 0
	s_wait_loadcnt 0x0
	s_delay_alu instid0(VALU_DEP_1) | instskip(SKIP_1) | instid1(VALU_DEP_1)
	v_lshl_add_u64 v[12:13], v[4:5], 1, s[12:13]
	v_mov_b32_e32 v15, v5
	v_lshl_add_u64 v[14:15], v[14:15], 1, s[10:11]
	s_delay_alu instid0(VALU_DEP_1)
	v_dual_cndmask_b32 v13, v15, v13 :: v_dual_cndmask_b32 v12, v14, v12
	global_load_u16 v12, v[12:13], off
.LBB2113_16:
	s_wait_xcnt 0x0
	s_or_b32 exec_lo, exec_lo, s2
	v_add_nc_u32_e32 v4, v4, v1
	s_mov_b32 s2, exec_lo
                                        ; implicit-def: $vgpr3
	s_delay_alu instid0(VALU_DEP_1)
	v_cmpx_gt_u32_e64 s4, v4
	s_cbranch_execz .LBB2113_18
; %bb.17:
	v_sub_co_u32 v16, vcc_lo, v4, s7
	v_mov_b32_e32 v5, 0
	s_delay_alu instid0(VALU_DEP_1) | instskip(SKIP_1) | instid1(VALU_DEP_1)
	v_lshl_add_u64 v[14:15], v[4:5], 1, s[12:13]
	v_mov_b32_e32 v17, v5
	v_lshl_add_u64 v[16:17], v[16:17], 1, s[10:11]
	s_delay_alu instid0(VALU_DEP_1)
	v_dual_cndmask_b32 v15, v17, v15 :: v_dual_cndmask_b32 v14, v16, v14
	s_wait_loadcnt 0x1
	global_load_u16 v3, v[14:15], off
.LBB2113_18:
	s_wait_xcnt 0x0
	s_or_b32 exec_lo, exec_lo, s2
	v_add_nc_u32_e32 v4, v4, v1
	s_mov_b32 s2, exec_lo
                                        ; implicit-def: $vgpr13
	s_delay_alu instid0(VALU_DEP_1)
	v_cmpx_gt_u32_e64 s4, v4
	s_cbranch_execz .LBB2113_20
; %bb.19:
	v_mov_b32_e32 v5, 0
	s_delay_alu instid0(VALU_DEP_1) | instskip(SKIP_1) | instid1(VALU_DEP_1)
	v_lshl_add_u64 v[14:15], v[4:5], 1, s[12:13]
	v_sub_co_u32 v4, vcc_lo, v4, s7
	v_lshl_add_u64 v[4:5], v[4:5], 1, s[10:11]
	s_delay_alu instid0(VALU_DEP_1)
	v_dual_cndmask_b32 v5, v5, v15 :: v_dual_cndmask_b32 v4, v4, v14
	s_wait_loadcnt 0x0
	global_load_u16 v13, v[4:5], off
.LBB2113_20:
	s_wait_xcnt 0x0
	s_or_b32 exec_lo, exec_lo, s2
.LBB2113_21:
	s_load_b64 s[2:3], s[0:1], 0x10
	v_lshlrev_b32_e32 v1, 3, v0
	s_wait_xcnt 0x0
	s_mov_b32 s0, exec_lo
	s_wait_loadcnt 0x0
	ds_store_b16 v2, v8
	ds_store_b16 v2, v7 offset:256
	ds_store_b16 v2, v9 offset:512
	;; [unrolled: 1-line block ×7, first 2 shown]
	s_wait_dscnt 0x0
	s_barrier_signal -1
	v_min_u32_e32 v4, s4, v1
	s_barrier_wait -1
	s_delay_alu instid0(VALU_DEP_1) | instskip(SKIP_1) | instid1(VALU_DEP_1)
	v_sub_nc_u32_e64 v5, v4, s9 clamp
	v_min_u32_e32 v6, s7, v4
	v_cmpx_lt_u32_e64 v5, v6
	s_cbranch_execz .LBB2113_25
; %bb.22:
	v_lshlrev_b32_e32 v14, 1, v4
	s_mov_b32 s1, 0
	s_delay_alu instid0(VALU_DEP_1)
	v_lshl_add_u32 v14, s7, 1, v14
.LBB2113_23:                            ; =>This Inner Loop Header: Depth=1
	v_add_nc_u32_e32 v15, v6, v5
	s_delay_alu instid0(VALU_DEP_1) | instskip(NEXT) | instid1(VALU_DEP_1)
	v_dual_lshrrev_b32 v16, 1, v15 :: v_dual_bitop2_b32 v15, -2, v15 bitop3:0x40
	v_not_b32_e32 v17, v16
	s_delay_alu instid0(VALU_DEP_1)
	v_lshl_add_u32 v17, v17, 1, v14
	ds_load_u16 v15, v15
	ds_load_u16 v17, v17
	s_wait_dscnt 0x1
	v_add_f16_e32 v15, 0, v15
	s_wait_dscnt 0x0
	v_add_f16_e32 v17, 0, v17
	s_delay_alu instid0(VALU_DEP_2) | instskip(SKIP_1) | instid1(VALU_DEP_3)
	v_cmp_lt_i16_e32 vcc_lo, -1, v15
	v_cndmask_b32_e64 v18, -1, 0xffff8000, vcc_lo
	v_cmp_lt_i16_e32 vcc_lo, -1, v17
	s_delay_alu instid0(VALU_DEP_2) | instskip(SKIP_1) | instid1(VALU_DEP_1)
	v_xor_b32_e32 v15, v18, v15
	v_cndmask_b32_e64 v19, -1, 0xffff8000, vcc_lo
	v_dual_add_nc_u32 v18, 1, v16 :: v_dual_bitop2_b32 v17, v19, v17 bitop3:0x14
	s_delay_alu instid0(VALU_DEP_1) | instskip(SKIP_1) | instid1(VALU_DEP_3)
	v_cmp_gt_u16_e32 vcc_lo, v17, v15
	v_cndmask_b32_e32 v6, v6, v16, vcc_lo
	v_cndmask_b32_e32 v5, v18, v5, vcc_lo
	s_delay_alu instid0(VALU_DEP_1) | instskip(SKIP_1) | instid1(SALU_CYCLE_1)
	v_cmp_ge_u32_e32 vcc_lo, v5, v6
	s_or_b32 s1, vcc_lo, s1
	s_and_not1_b32 exec_lo, exec_lo, s1
	s_cbranch_execnz .LBB2113_23
; %bb.24:
	s_or_b32 exec_lo, exec_lo, s1
.LBB2113_25:
	s_delay_alu instid0(SALU_CYCLE_1) | instskip(SKIP_2) | instid1(VALU_DEP_2)
	s_or_b32 exec_lo, exec_lo, s0
	v_sub_nc_u32_e32 v4, v4, v5
	v_cmp_ge_u32_e32 vcc_lo, s7, v5
	v_add_nc_u32_e32 v6, s7, v4
	s_delay_alu instid0(VALU_DEP_1) | instskip(SKIP_1) | instid1(SALU_CYCLE_1)
	v_cmp_ge_u32_e64 s0, s4, v6
	s_or_b32 s0, vcc_lo, s0
	s_and_saveexec_b32 s1, s0
	s_cbranch_execz .LBB2113_61
; %bb.26:
	s_mov_b32 s5, exec_lo
	v_cmp_le_u32_e32 vcc_lo, s7, v5
                                        ; implicit-def: $vgpr3
	v_cmpx_gt_u32_e64 s7, v5
; %bb.27:
	v_lshlrev_b32_e32 v3, 1, v5
	ds_load_u16 v3, v3
; %bb.28:
	s_or_b32 exec_lo, exec_lo, s5
	v_cmp_le_u32_e64 s5, s4, v6
	s_mov_b32 s9, exec_lo
                                        ; implicit-def: $vgpr4
	v_cmpx_gt_u32_e64 s4, v6
; %bb.29:
	v_lshlrev_b32_e32 v4, 1, v6
	ds_load_u16 v4, v4
; %bb.30:
	s_or_b32 exec_lo, exec_lo, s9
	s_nor_b32 s9, vcc_lo, s5
	s_delay_alu instid0(SALU_CYCLE_1)
	s_and_saveexec_b32 s0, s9
	s_cbranch_execz .LBB2113_32
; %bb.31:
	s_wait_dscnt 0x0
	v_add_f16_e32 v7, 0, v4
	v_add_f16_e32 v8, 0, v3
	s_and_not1_b32 s5, s5, exec_lo
	s_delay_alu instid0(VALU_DEP_2) | instskip(SKIP_1) | instid1(VALU_DEP_3)
	v_cmp_lt_i16_e32 vcc_lo, -1, v7
	v_cndmask_b32_e64 v9, -1, 0xffff8000, vcc_lo
	v_cmp_lt_i16_e32 vcc_lo, -1, v8
	s_delay_alu instid0(VALU_DEP_2) | instskip(SKIP_1) | instid1(VALU_DEP_1)
	v_xor_b32_e32 v7, v9, v7
	v_cndmask_b32_e64 v10, -1, 0xffff8000, vcc_lo
	v_xor_b32_e32 v8, v10, v8
	s_delay_alu instid0(VALU_DEP_1) | instskip(SKIP_1) | instid1(SALU_CYCLE_1)
	v_cmp_le_u16_e32 vcc_lo, v7, v8
	s_and_b32 s9, vcc_lo, exec_lo
	s_or_b32 s5, s5, s9
.LBB2113_32:
	s_or_b32 exec_lo, exec_lo, s0
	v_dual_mov_b32 v7, s7 :: v_dual_cndmask_b32 v8, v6, v5, s5
	s_mov_b32 s9, -1
	s_mov_b32 s0, -1
	s_mov_b32 s10, exec_lo
	s_delay_alu instid0(VALU_DEP_1) | instskip(NEXT) | instid1(VALU_DEP_1)
	v_dual_cndmask_b32 v7, s4, v7, s5 :: v_dual_add_nc_u32 v8, 1, v8
	v_add_min_u32_e64 v7, v7, -1, v8
	s_delay_alu instid0(VALU_DEP_1) | instskip(SKIP_4) | instid1(VALU_DEP_2)
	v_lshlrev_b32_e32 v7, 1, v7
	ds_load_u16 v9, v7
	v_dual_cndmask_b32 v7, v8, v6, s5 :: v_dual_cndmask_b32 v8, v5, v8, s5
	s_wait_dscnt 0x0
	v_dual_cndmask_b32 v5, v9, v4, s5 :: v_dual_cndmask_b32 v6, v3, v9, s5
	v_cmpx_gt_u32_e64 s4, v7
	s_cbranch_execz .LBB2113_36
; %bb.33:
	s_mov_b32 s11, 0
	s_mov_b32 s0, exec_lo
	v_cmpx_gt_u32_e64 s7, v8
	s_cbranch_execz .LBB2113_35
; %bb.34:
	v_add_f16_e32 v9, 0, v5
	v_add_f16_e32 v10, 0, v6
	s_delay_alu instid0(VALU_DEP_2) | instskip(SKIP_1) | instid1(VALU_DEP_3)
	v_cmp_lt_i16_e32 vcc_lo, -1, v9
	v_cndmask_b32_e64 v11, -1, 0xffff8000, vcc_lo
	v_cmp_lt_i16_e32 vcc_lo, -1, v10
	s_delay_alu instid0(VALU_DEP_2) | instskip(SKIP_1) | instid1(VALU_DEP_1)
	v_xor_b32_e32 v9, v11, v9
	v_cndmask_b32_e64 v12, -1, 0xffff8000, vcc_lo
	v_xor_b32_e32 v10, v12, v10
	s_delay_alu instid0(VALU_DEP_1)
	v_cmp_le_u16_e32 vcc_lo, v9, v10
	s_and_b32 s11, vcc_lo, exec_lo
.LBB2113_35:
	s_or_b32 exec_lo, exec_lo, s0
	s_delay_alu instid0(SALU_CYCLE_1)
	s_or_not1_b32 s0, s11, exec_lo
.LBB2113_36:
	s_or_b32 exec_lo, exec_lo, s10
	v_dual_mov_b32 v9, s7 :: v_dual_cndmask_b32 v10, v7, v8, s0
	s_mov_b32 s10, exec_lo
	s_delay_alu instid0(VALU_DEP_1) | instskip(NEXT) | instid1(VALU_DEP_1)
	v_dual_cndmask_b32 v9, s4, v9, s0 :: v_dual_add_nc_u32 v10, 1, v10
	v_add_min_u32_e64 v9, v9, -1, v10
	s_delay_alu instid0(VALU_DEP_1) | instskip(SKIP_4) | instid1(VALU_DEP_2)
	v_lshlrev_b32_e32 v9, 1, v9
	ds_load_u16 v11, v9
	v_dual_cndmask_b32 v9, v10, v7, s0 :: v_dual_cndmask_b32 v10, v8, v10, s0
	s_wait_dscnt 0x0
	v_dual_cndmask_b32 v7, v11, v5, s0 :: v_dual_cndmask_b32 v8, v6, v11, s0
	v_cmpx_gt_u32_e64 s4, v9
	s_cbranch_execz .LBB2113_40
; %bb.37:
	s_mov_b32 s11, 0
	s_mov_b32 s9, exec_lo
	v_cmpx_gt_u32_e64 s7, v10
	s_cbranch_execz .LBB2113_39
; %bb.38:
	v_add_f16_e32 v11, 0, v7
	v_add_f16_e32 v12, 0, v8
	s_delay_alu instid0(VALU_DEP_2) | instskip(SKIP_1) | instid1(VALU_DEP_3)
	v_cmp_lt_i16_e32 vcc_lo, -1, v11
	v_cndmask_b32_e64 v13, -1, 0xffff8000, vcc_lo
	v_cmp_lt_i16_e32 vcc_lo, -1, v12
	s_delay_alu instid0(VALU_DEP_2) | instskip(SKIP_1) | instid1(VALU_DEP_1)
	v_xor_b32_e32 v11, v13, v11
	v_cndmask_b32_e64 v14, -1, 0xffff8000, vcc_lo
	v_xor_b32_e32 v12, v14, v12
	s_delay_alu instid0(VALU_DEP_1)
	v_cmp_le_u16_e32 vcc_lo, v11, v12
	s_and_b32 s11, vcc_lo, exec_lo
.LBB2113_39:
	s_or_b32 exec_lo, exec_lo, s9
	s_delay_alu instid0(SALU_CYCLE_1)
	s_or_not1_b32 s9, s11, exec_lo
.LBB2113_40:
	s_or_b32 exec_lo, exec_lo, s10
	v_dual_mov_b32 v11, s7 :: v_dual_cndmask_b32 v12, v9, v10, s9
	s_mov_b32 s11, -1
	s_mov_b32 s10, -1
	s_mov_b32 s12, exec_lo
	s_delay_alu instid0(VALU_DEP_1) | instskip(NEXT) | instid1(VALU_DEP_1)
	v_dual_cndmask_b32 v11, s4, v11, s9 :: v_dual_add_nc_u32 v12, 1, v12
	v_add_min_u32_e64 v11, v11, -1, v12
	s_delay_alu instid0(VALU_DEP_1) | instskip(SKIP_4) | instid1(VALU_DEP_2)
	v_lshlrev_b32_e32 v11, 1, v11
	ds_load_u16 v13, v11
	v_dual_cndmask_b32 v11, v12, v9, s9 :: v_dual_cndmask_b32 v12, v10, v12, s9
	s_wait_dscnt 0x0
	v_dual_cndmask_b32 v9, v13, v7, s9 :: v_dual_cndmask_b32 v10, v8, v13, s9
	v_cmpx_gt_u32_e64 s4, v11
	s_cbranch_execz .LBB2113_44
; %bb.41:
	s_mov_b32 s13, 0
	s_mov_b32 s10, exec_lo
	v_cmpx_gt_u32_e64 s7, v12
	s_cbranch_execz .LBB2113_43
; %bb.42:
	v_add_f16_e32 v13, 0, v9
	v_add_f16_e32 v14, 0, v10
	s_delay_alu instid0(VALU_DEP_2) | instskip(SKIP_1) | instid1(VALU_DEP_3)
	v_cmp_lt_i16_e32 vcc_lo, -1, v13
	v_cndmask_b32_e64 v15, -1, 0xffff8000, vcc_lo
	v_cmp_lt_i16_e32 vcc_lo, -1, v14
	s_delay_alu instid0(VALU_DEP_2) | instskip(SKIP_1) | instid1(VALU_DEP_1)
	v_xor_b32_e32 v13, v15, v13
	v_cndmask_b32_e64 v16, -1, 0xffff8000, vcc_lo
	v_xor_b32_e32 v14, v16, v14
	s_delay_alu instid0(VALU_DEP_1)
	v_cmp_le_u16_e32 vcc_lo, v13, v14
	s_and_b32 s13, vcc_lo, exec_lo
.LBB2113_43:
	s_or_b32 exec_lo, exec_lo, s10
	s_delay_alu instid0(SALU_CYCLE_1)
	s_or_not1_b32 s10, s13, exec_lo
.LBB2113_44:
	s_or_b32 exec_lo, exec_lo, s12
	v_dual_mov_b32 v13, s7 :: v_dual_cndmask_b32 v14, v11, v12, s10
	s_mov_b32 s12, exec_lo
	s_delay_alu instid0(VALU_DEP_1) | instskip(NEXT) | instid1(VALU_DEP_1)
	v_dual_cndmask_b32 v13, s4, v13, s10 :: v_dual_add_nc_u32 v14, 1, v14
	v_add_min_u32_e64 v13, v13, -1, v14
	s_delay_alu instid0(VALU_DEP_1) | instskip(SKIP_4) | instid1(VALU_DEP_2)
	v_dual_cndmask_b32 v12, v12, v14, s10 :: v_dual_lshlrev_b32 v13, 1, v13
	ds_load_u16 v15, v13
	s_wait_dscnt 0x0
	v_dual_cndmask_b32 v13, v14, v11, s10 :: v_dual_cndmask_b32 v11, v15, v9, s10
	v_cndmask_b32_e64 v14, v10, v15, s10
	v_cmpx_gt_u32_e64 s4, v13
	s_cbranch_execz .LBB2113_48
; %bb.45:
	s_mov_b32 s13, 0
	s_mov_b32 s11, exec_lo
	v_cmpx_gt_u32_e64 s7, v12
	s_cbranch_execz .LBB2113_47
; %bb.46:
	v_add_f16_e32 v15, 0, v11
	v_add_f16_e32 v16, 0, v14
	s_delay_alu instid0(VALU_DEP_2) | instskip(SKIP_1) | instid1(VALU_DEP_3)
	v_cmp_lt_i16_e32 vcc_lo, -1, v15
	v_cndmask_b32_e64 v17, -1, 0xffff8000, vcc_lo
	v_cmp_lt_i16_e32 vcc_lo, -1, v16
	s_delay_alu instid0(VALU_DEP_2) | instskip(SKIP_1) | instid1(VALU_DEP_1)
	v_xor_b32_e32 v15, v17, v15
	v_cndmask_b32_e64 v18, -1, 0xffff8000, vcc_lo
	v_xor_b32_e32 v16, v18, v16
	s_delay_alu instid0(VALU_DEP_1)
	v_cmp_le_u16_e32 vcc_lo, v15, v16
	s_and_b32 s13, vcc_lo, exec_lo
.LBB2113_47:
	s_or_b32 exec_lo, exec_lo, s11
	s_delay_alu instid0(SALU_CYCLE_1)
	s_or_not1_b32 s11, s13, exec_lo
.LBB2113_48:
	s_or_b32 exec_lo, exec_lo, s12
	v_dual_mov_b32 v15, s7 :: v_dual_cndmask_b32 v16, v13, v12, s11
	s_mov_b32 s12, -1
	s_mov_b32 s13, -1
	s_mov_b32 s15, exec_lo
	s_delay_alu instid0(VALU_DEP_1) | instskip(NEXT) | instid1(VALU_DEP_1)
	v_dual_cndmask_b32 v15, s4, v15, s11 :: v_dual_add_nc_u32 v16, 1, v16
	v_add_min_u32_e64 v15, v15, -1, v16
	s_delay_alu instid0(VALU_DEP_1)
	v_dual_cndmask_b32 v13, v16, v13, s11 :: v_dual_lshlrev_b32 v15, 1, v15
	ds_load_u16 v15, v15
	s_wait_dscnt 0x0
	v_dual_cndmask_b32 v16, v12, v16, s11 :: v_dual_cndmask_b32 v12, v15, v11, s11
	v_cndmask_b32_e64 v15, v14, v15, s11
	v_cmpx_gt_u32_e64 s4, v13
	s_cbranch_execz .LBB2113_52
; %bb.49:
	s_mov_b32 s16, 0
	s_mov_b32 s13, exec_lo
	v_cmpx_gt_u32_e64 s7, v16
	s_cbranch_execz .LBB2113_51
; %bb.50:
	v_add_f16_e32 v17, 0, v12
	v_add_f16_e32 v18, 0, v15
	s_delay_alu instid0(VALU_DEP_2) | instskip(SKIP_1) | instid1(VALU_DEP_3)
	v_cmp_lt_i16_e32 vcc_lo, -1, v17
	v_cndmask_b32_e64 v19, -1, 0xffff8000, vcc_lo
	v_cmp_lt_i16_e32 vcc_lo, -1, v18
	s_delay_alu instid0(VALU_DEP_2) | instskip(SKIP_1) | instid1(VALU_DEP_1)
	v_xor_b32_e32 v17, v19, v17
	v_cndmask_b32_e64 v20, -1, 0xffff8000, vcc_lo
	v_xor_b32_e32 v18, v20, v18
	s_delay_alu instid0(VALU_DEP_1)
	v_cmp_le_u16_e32 vcc_lo, v17, v18
	s_and_b32 s16, vcc_lo, exec_lo
.LBB2113_51:
	s_or_b32 exec_lo, exec_lo, s13
	s_delay_alu instid0(SALU_CYCLE_1)
	s_or_not1_b32 s13, s16, exec_lo
.LBB2113_52:
	s_or_b32 exec_lo, exec_lo, s15
	v_dual_mov_b32 v17, s7 :: v_dual_cndmask_b32 v18, v13, v16, s13
	s_mov_b32 s15, exec_lo
	s_delay_alu instid0(VALU_DEP_1) | instskip(NEXT) | instid1(VALU_DEP_1)
	v_dual_cndmask_b32 v17, s4, v17, s13 :: v_dual_add_nc_u32 v18, 1, v18
	v_add_min_u32_e64 v17, v17, -1, v18
	v_dual_cndmask_b32 v13, v18, v13, s13 :: v_dual_cndmask_b32 v18, v16, v18, s13
	s_delay_alu instid0(VALU_DEP_2)
	v_lshlrev_b32_e32 v17, 1, v17
	ds_load_u16 v17, v17
	s_wait_dscnt 0x0
	v_dual_cndmask_b32 v16, v17, v12, s13 :: v_dual_cndmask_b32 v17, v15, v17, s13
	v_cmpx_gt_u32_e64 s4, v13
	s_cbranch_execz .LBB2113_56
; %bb.53:
	s_mov_b32 s16, 0
	s_mov_b32 s12, exec_lo
	v_cmpx_gt_u32_e64 s7, v18
	s_cbranch_execz .LBB2113_55
; %bb.54:
	v_add_f16_e32 v19, 0, v16
	v_add_f16_e32 v20, 0, v17
	s_delay_alu instid0(VALU_DEP_2) | instskip(SKIP_1) | instid1(VALU_DEP_3)
	v_cmp_lt_i16_e32 vcc_lo, -1, v19
	v_cndmask_b32_e64 v21, -1, 0xffff8000, vcc_lo
	v_cmp_lt_i16_e32 vcc_lo, -1, v20
	s_delay_alu instid0(VALU_DEP_2) | instskip(SKIP_1) | instid1(VALU_DEP_1)
	v_xor_b32_e32 v19, v21, v19
	v_cndmask_b32_e64 v22, -1, 0xffff8000, vcc_lo
	v_xor_b32_e32 v20, v22, v20
	s_delay_alu instid0(VALU_DEP_1)
	v_cmp_le_u16_e32 vcc_lo, v19, v20
	s_and_b32 s16, vcc_lo, exec_lo
.LBB2113_55:
	s_or_b32 exec_lo, exec_lo, s12
	s_delay_alu instid0(SALU_CYCLE_1)
	s_or_not1_b32 s12, s16, exec_lo
.LBB2113_56:
	s_or_b32 exec_lo, exec_lo, s15
	v_dual_mov_b32 v19, s7 :: v_dual_cndmask_b32 v20, v13, v18, s12
	s_delay_alu instid0(VALU_DEP_1) | instskip(NEXT) | instid1(VALU_DEP_1)
	v_dual_cndmask_b32 v21, s4, v19, s12 :: v_dual_add_nc_u32 v19, 1, v20
	v_add_min_u32_e64 v20, v21, -1, v19
	s_delay_alu instid0(VALU_DEP_1) | instskip(NEXT) | instid1(VALU_DEP_1)
	v_dual_cndmask_b32 v21, v19, v13, s12 :: v_dual_lshlrev_b32 v20, 1, v20
	v_cmp_gt_u32_e32 vcc_lo, s4, v21
	ds_load_u16 v20, v20
	s_wait_dscnt 0x0
	v_cndmask_b32_e64 v13, v17, v20, s12
	s_and_saveexec_b32 s4, vcc_lo
	s_cbranch_execz .LBB2113_60
; %bb.57:
	v_dual_cndmask_b32 v19, v18, v19, s12 :: v_dual_cndmask_b32 v18, v20, v16, s12
	s_delay_alu instid0(VALU_DEP_1)
	v_cmp_gt_u32_e32 vcc_lo, s7, v19
	s_and_saveexec_b32 s7, vcc_lo
	s_cbranch_execz .LBB2113_59
; %bb.58:
	s_delay_alu instid0(VALU_DEP_2) | instskip(SKIP_1) | instid1(VALU_DEP_2)
	v_add_f16_e32 v19, 0, v18
	v_add_f16_e32 v20, 0, v13
	v_cmp_lt_i16_e32 vcc_lo, -1, v19
	v_cndmask_b32_e64 v21, -1, 0xffff8000, vcc_lo
	s_delay_alu instid0(VALU_DEP_3) | instskip(NEXT) | instid1(VALU_DEP_2)
	v_cmp_lt_i16_e32 vcc_lo, -1, v20
	v_xor_b32_e32 v19, v21, v19
	v_cndmask_b32_e64 v22, -1, 0xffff8000, vcc_lo
	s_delay_alu instid0(VALU_DEP_1) | instskip(NEXT) | instid1(VALU_DEP_1)
	v_xor_b32_e32 v20, v22, v20
	v_cmp_gt_u16_e32 vcc_lo, v19, v20
	v_cndmask_b32_e32 v18, v13, v18, vcc_lo
.LBB2113_59:
	s_or_b32 exec_lo, exec_lo, s7
	s_delay_alu instid0(VALU_DEP_1)
	v_mov_b32_e32 v13, v18
.LBB2113_60:
	s_or_b32 exec_lo, exec_lo, s4
	v_dual_cndmask_b32 v12, v12, v15, s13 :: v_dual_cndmask_b32 v11, v11, v14, s11
	v_dual_cndmask_b32 v10, v9, v10, s10 :: v_dual_cndmask_b32 v9, v7, v8, s9
	;; [unrolled: 1-line block ×3, first 2 shown]
	v_cndmask_b32_e64 v3, v16, v17, s12
.LBB2113_61:
	s_or_b32 exec_lo, exec_lo, s1
	v_dual_lshrrev_b32 v4, 1, v0 :: v_dual_lshrrev_b32 v6, 4, v0
	v_or_b32_e32 v15, 0x80, v0
	v_or_b32_e32 v14, 0x100, v0
	v_perm_b32 v5, v7, v8, 0x5040100
	s_delay_alu instid0(VALU_DEP_4) | instskip(SKIP_1) | instid1(VALU_DEP_4)
	v_and_b32_e32 v4, 60, v4
	v_perm_b32 v3, v13, v3, 0x5040100
	v_dual_lshrrev_b32 v7, 4, v15 :: v_dual_lshrrev_b32 v8, 4, v14
	s_delay_alu instid0(VALU_DEP_3)
	v_lshl_add_u32 v1, v1, 1, v4
	v_perm_b32 v4, v10, v9, 0x5040100
	v_or_b32_e32 v9, 0x180, v0
	v_perm_b32 v10, v12, v11, 0x5040100
	s_barrier_signal -1
	s_barrier_wait -1
	s_barrier_signal -1
	s_barrier_wait -1
	v_and_b32_e32 v6, 4, v6
	v_and_b32_e32 v7, 12, v7
	ds_store_2addr_b32 v1, v5, v4 offset1:1
	ds_store_2addr_b32 v1, v10, v3 offset0:2 offset1:3
	v_dual_lshrrev_b32 v1, 4, v9 :: v_dual_bitop2_b32 v8, 20, v8 bitop3:0x40
	v_dual_add_nc_u32 v10, v6, v2 :: v_dual_add_nc_u32 v11, v7, v2
	v_or_b32_e32 v7, 0x280, v0
	v_or_b32_e32 v6, 0x300, v0
	s_delay_alu instid0(VALU_DEP_4) | instskip(SKIP_4) | instid1(VALU_DEP_3)
	v_add_nc_u32_e32 v12, v8, v2
	v_or_b32_e32 v8, 0x200, v0
	v_and_b32_e32 v3, 28, v1
	v_or_b32_e32 v1, 0x380, v0
	v_dual_lshrrev_b32 v5, 4, v7 :: v_dual_lshrrev_b32 v16, 4, v6
	v_dual_lshrrev_b32 v4, 4, v8 :: v_dual_add_nc_u32 v13, v3, v2
	s_delay_alu instid0(VALU_DEP_3) | instskip(SKIP_1) | instid1(VALU_DEP_2)
	v_lshrrev_b32_e32 v17, 4, v1
	s_mov_b32 s9, 0
	v_dual_mov_b32 v3, 0 :: v_dual_bitop2_b32 v4, 36, v4 bitop3:0x40
	v_and_b32_e32 v5, 44, v5
	s_lshl_b64 s[0:1], s[8:9], 1
	v_and_b32_e32 v18, 52, v16
	v_and_b32_e32 v19, 60, v17
	s_wait_kmcnt 0x0
	s_add_nc_u64 s[0:1], s[2:3], s[0:1]
	v_dual_add_nc_u32 v16, v4, v2 :: v_dual_add_nc_u32 v17, v5, v2
	v_add_nc_u64_e32 v[4:5], s[0:1], v[2:3]
	v_dual_add_nc_u32 v18, v18, v2 :: v_dual_add_nc_u32 v19, v19, v2
	s_and_b32 vcc_lo, exec_lo, s14
	s_wait_dscnt 0x0
	s_cbranch_vccz .LBB2113_63
; %bb.62:
	s_barrier_signal -1
	s_barrier_wait -1
	ds_load_u16 v3, v10
	ds_load_u16 v20, v11 offset:256
	ds_load_u16 v21, v12 offset:512
	;; [unrolled: 1-line block ×7, first 2 shown]
	s_mov_b32 s9, -1
	s_wait_dscnt 0x7
	global_store_b16 v[4:5], v3, off
	s_wait_dscnt 0x6
	global_store_b16 v[4:5], v20, off offset:256
	s_wait_dscnt 0x5
	global_store_b16 v[4:5], v21, off offset:512
	;; [unrolled: 2-line block ×6, first 2 shown]
	s_cbranch_execz .LBB2113_64
	s_branch .LBB2113_73
.LBB2113_63:
                                        ; implicit-def: $vgpr2
.LBB2113_64:
	s_barrier_signal -1
	s_barrier_wait -1
	s_wait_storecnt_dscnt 0x0
	s_wait_xcnt 0x4
	ds_load_u16 v21, v11 offset:256
	ds_load_u16 v20, v12 offset:512
	;; [unrolled: 1-line block ×7, first 2 shown]
	s_sub_co_i32 s0, s6, s8
	s_mov_b32 s1, exec_lo
	s_wait_xcnt 0x0
	v_cmpx_gt_u32_e64 s0, v0
	s_cbranch_execz .LBB2113_76
; %bb.65:
	ds_load_u16 v0, v10
	s_wait_dscnt 0x0
	global_store_b16 v[4:5], v0, off
	s_wait_xcnt 0x0
	s_or_b32 exec_lo, exec_lo, s1
	s_delay_alu instid0(SALU_CYCLE_1)
	s_mov_b32 s1, exec_lo
	v_cmpx_gt_u32_e64 s0, v15
	s_cbranch_execnz .LBB2113_77
.LBB2113_66:
	s_or_b32 exec_lo, exec_lo, s1
	s_delay_alu instid0(SALU_CYCLE_1)
	s_mov_b32 s1, exec_lo
	v_cmpx_gt_u32_e64 s0, v14
	s_cbranch_execz .LBB2113_78
.LBB2113_67:
	s_wait_dscnt 0x5
	global_store_b16 v[4:5], v20, off offset:512
	s_wait_xcnt 0x0
	s_or_b32 exec_lo, exec_lo, s1
	s_delay_alu instid0(SALU_CYCLE_1)
	s_mov_b32 s1, exec_lo
	v_cmpx_gt_u32_e64 s0, v9
	s_cbranch_execnz .LBB2113_79
.LBB2113_68:
	s_or_b32 exec_lo, exec_lo, s1
	s_delay_alu instid0(SALU_CYCLE_1)
	s_mov_b32 s1, exec_lo
	v_cmpx_gt_u32_e64 s0, v8
	s_cbranch_execz .LBB2113_80
.LBB2113_69:
	s_wait_dscnt 0x3
	global_store_b16 v[4:5], v12, off offset:1024
	s_wait_xcnt 0x0
	s_or_b32 exec_lo, exec_lo, s1
	s_delay_alu instid0(SALU_CYCLE_1)
	s_mov_b32 s1, exec_lo
	v_cmpx_gt_u32_e64 s0, v7
	s_cbranch_execnz .LBB2113_81
.LBB2113_70:
	s_or_b32 exec_lo, exec_lo, s1
	s_delay_alu instid0(SALU_CYCLE_1)
	s_mov_b32 s1, exec_lo
	v_cmpx_gt_u32_e64 s0, v6
	s_cbranch_execz .LBB2113_72
.LBB2113_71:
	s_wait_dscnt 0x1
	global_store_b16 v[4:5], v3, off offset:1536
.LBB2113_72:
	s_wait_xcnt 0x0
	s_or_b32 exec_lo, exec_lo, s1
	v_cmp_gt_u32_e64 s9, s0, v1
.LBB2113_73:
	s_wait_xcnt 0x0
	s_delay_alu instid0(VALU_DEP_1)
	s_and_saveexec_b32 s0, s9
	s_cbranch_execz .LBB2113_75
; %bb.74:
	s_wait_dscnt 0x0
	global_store_b16 v[4:5], v2, off offset:1792
.LBB2113_75:
	s_endpgm
.LBB2113_76:
	s_or_b32 exec_lo, exec_lo, s1
	s_delay_alu instid0(SALU_CYCLE_1)
	s_mov_b32 s1, exec_lo
	v_cmpx_gt_u32_e64 s0, v15
	s_cbranch_execz .LBB2113_66
.LBB2113_77:
	s_wait_dscnt 0x6
	global_store_b16 v[4:5], v21, off offset:256
	s_wait_xcnt 0x0
	s_or_b32 exec_lo, exec_lo, s1
	s_delay_alu instid0(SALU_CYCLE_1)
	s_mov_b32 s1, exec_lo
	v_cmpx_gt_u32_e64 s0, v14
	s_cbranch_execnz .LBB2113_67
.LBB2113_78:
	s_or_b32 exec_lo, exec_lo, s1
	s_delay_alu instid0(SALU_CYCLE_1)
	s_mov_b32 s1, exec_lo
	v_cmpx_gt_u32_e64 s0, v9
	s_cbranch_execz .LBB2113_68
.LBB2113_79:
	s_wait_dscnt 0x4
	global_store_b16 v[4:5], v13, off offset:768
	s_wait_xcnt 0x0
	s_or_b32 exec_lo, exec_lo, s1
	s_delay_alu instid0(SALU_CYCLE_1)
	s_mov_b32 s1, exec_lo
	v_cmpx_gt_u32_e64 s0, v8
	s_cbranch_execnz .LBB2113_69
.LBB2113_80:
	s_or_b32 exec_lo, exec_lo, s1
	s_delay_alu instid0(SALU_CYCLE_1)
	s_mov_b32 s1, exec_lo
	v_cmpx_gt_u32_e64 s0, v7
	s_cbranch_execz .LBB2113_70
.LBB2113_81:
	s_wait_dscnt 0x2
	global_store_b16 v[4:5], v11, off offset:1280
	s_wait_xcnt 0x0
	s_or_b32 exec_lo, exec_lo, s1
	s_delay_alu instid0(SALU_CYCLE_1)
	s_mov_b32 s1, exec_lo
	v_cmpx_gt_u32_e64 s0, v6
	s_cbranch_execnz .LBB2113_71
	s_branch .LBB2113_72
	.section	.rodata,"a",@progbits
	.p2align	6, 0x0
	.amdhsa_kernel _ZN7rocprim17ROCPRIM_400000_NS6detail17trampoline_kernelINS0_14default_configENS1_38merge_sort_block_merge_config_selectorI6__halfNS0_10empty_typeEEEZZNS1_27merge_sort_block_merge_implIS3_PS5_PS6_jNS1_19radix_merge_compareILb1ELb0ES5_NS0_19identity_decomposerEEEEE10hipError_tT0_T1_T2_jT3_P12ihipStream_tbPNSt15iterator_traitsISF_E10value_typeEPNSL_ISG_E10value_typeEPSH_NS1_7vsmem_tEENKUlT_SF_SG_SH_E_clIS9_S9_SA_SA_EESE_SU_SF_SG_SH_EUlSU_E0_NS1_11comp_targetILNS1_3genE0ELNS1_11target_archE4294967295ELNS1_3gpuE0ELNS1_3repE0EEENS1_38merge_mergepath_config_static_selectorELNS0_4arch9wavefront6targetE0EEEvSG_
		.amdhsa_group_segment_fixed_size 2112
		.amdhsa_private_segment_fixed_size 0
		.amdhsa_kernarg_size 320
		.amdhsa_user_sgpr_count 2
		.amdhsa_user_sgpr_dispatch_ptr 0
		.amdhsa_user_sgpr_queue_ptr 0
		.amdhsa_user_sgpr_kernarg_segment_ptr 1
		.amdhsa_user_sgpr_dispatch_id 0
		.amdhsa_user_sgpr_kernarg_preload_length 0
		.amdhsa_user_sgpr_kernarg_preload_offset 0
		.amdhsa_user_sgpr_private_segment_size 0
		.amdhsa_wavefront_size32 1
		.amdhsa_uses_dynamic_stack 0
		.amdhsa_enable_private_segment 0
		.amdhsa_system_sgpr_workgroup_id_x 1
		.amdhsa_system_sgpr_workgroup_id_y 1
		.amdhsa_system_sgpr_workgroup_id_z 1
		.amdhsa_system_sgpr_workgroup_info 0
		.amdhsa_system_vgpr_workitem_id 0
		.amdhsa_next_free_vgpr 28
		.amdhsa_next_free_sgpr 22
		.amdhsa_named_barrier_count 0
		.amdhsa_reserve_vcc 1
		.amdhsa_float_round_mode_32 0
		.amdhsa_float_round_mode_16_64 0
		.amdhsa_float_denorm_mode_32 3
		.amdhsa_float_denorm_mode_16_64 3
		.amdhsa_fp16_overflow 0
		.amdhsa_memory_ordered 1
		.amdhsa_forward_progress 1
		.amdhsa_inst_pref_size 38
		.amdhsa_round_robin_scheduling 0
		.amdhsa_exception_fp_ieee_invalid_op 0
		.amdhsa_exception_fp_denorm_src 0
		.amdhsa_exception_fp_ieee_div_zero 0
		.amdhsa_exception_fp_ieee_overflow 0
		.amdhsa_exception_fp_ieee_underflow 0
		.amdhsa_exception_fp_ieee_inexact 0
		.amdhsa_exception_int_div_zero 0
	.end_amdhsa_kernel
	.section	.text._ZN7rocprim17ROCPRIM_400000_NS6detail17trampoline_kernelINS0_14default_configENS1_38merge_sort_block_merge_config_selectorI6__halfNS0_10empty_typeEEEZZNS1_27merge_sort_block_merge_implIS3_PS5_PS6_jNS1_19radix_merge_compareILb1ELb0ES5_NS0_19identity_decomposerEEEEE10hipError_tT0_T1_T2_jT3_P12ihipStream_tbPNSt15iterator_traitsISF_E10value_typeEPNSL_ISG_E10value_typeEPSH_NS1_7vsmem_tEENKUlT_SF_SG_SH_E_clIS9_S9_SA_SA_EESE_SU_SF_SG_SH_EUlSU_E0_NS1_11comp_targetILNS1_3genE0ELNS1_11target_archE4294967295ELNS1_3gpuE0ELNS1_3repE0EEENS1_38merge_mergepath_config_static_selectorELNS0_4arch9wavefront6targetE0EEEvSG_,"axG",@progbits,_ZN7rocprim17ROCPRIM_400000_NS6detail17trampoline_kernelINS0_14default_configENS1_38merge_sort_block_merge_config_selectorI6__halfNS0_10empty_typeEEEZZNS1_27merge_sort_block_merge_implIS3_PS5_PS6_jNS1_19radix_merge_compareILb1ELb0ES5_NS0_19identity_decomposerEEEEE10hipError_tT0_T1_T2_jT3_P12ihipStream_tbPNSt15iterator_traitsISF_E10value_typeEPNSL_ISG_E10value_typeEPSH_NS1_7vsmem_tEENKUlT_SF_SG_SH_E_clIS9_S9_SA_SA_EESE_SU_SF_SG_SH_EUlSU_E0_NS1_11comp_targetILNS1_3genE0ELNS1_11target_archE4294967295ELNS1_3gpuE0ELNS1_3repE0EEENS1_38merge_mergepath_config_static_selectorELNS0_4arch9wavefront6targetE0EEEvSG_,comdat
.Lfunc_end2113:
	.size	_ZN7rocprim17ROCPRIM_400000_NS6detail17trampoline_kernelINS0_14default_configENS1_38merge_sort_block_merge_config_selectorI6__halfNS0_10empty_typeEEEZZNS1_27merge_sort_block_merge_implIS3_PS5_PS6_jNS1_19radix_merge_compareILb1ELb0ES5_NS0_19identity_decomposerEEEEE10hipError_tT0_T1_T2_jT3_P12ihipStream_tbPNSt15iterator_traitsISF_E10value_typeEPNSL_ISG_E10value_typeEPSH_NS1_7vsmem_tEENKUlT_SF_SG_SH_E_clIS9_S9_SA_SA_EESE_SU_SF_SG_SH_EUlSU_E0_NS1_11comp_targetILNS1_3genE0ELNS1_11target_archE4294967295ELNS1_3gpuE0ELNS1_3repE0EEENS1_38merge_mergepath_config_static_selectorELNS0_4arch9wavefront6targetE0EEEvSG_, .Lfunc_end2113-_ZN7rocprim17ROCPRIM_400000_NS6detail17trampoline_kernelINS0_14default_configENS1_38merge_sort_block_merge_config_selectorI6__halfNS0_10empty_typeEEEZZNS1_27merge_sort_block_merge_implIS3_PS5_PS6_jNS1_19radix_merge_compareILb1ELb0ES5_NS0_19identity_decomposerEEEEE10hipError_tT0_T1_T2_jT3_P12ihipStream_tbPNSt15iterator_traitsISF_E10value_typeEPNSL_ISG_E10value_typeEPSH_NS1_7vsmem_tEENKUlT_SF_SG_SH_E_clIS9_S9_SA_SA_EESE_SU_SF_SG_SH_EUlSU_E0_NS1_11comp_targetILNS1_3genE0ELNS1_11target_archE4294967295ELNS1_3gpuE0ELNS1_3repE0EEENS1_38merge_mergepath_config_static_selectorELNS0_4arch9wavefront6targetE0EEEvSG_
                                        ; -- End function
	.set _ZN7rocprim17ROCPRIM_400000_NS6detail17trampoline_kernelINS0_14default_configENS1_38merge_sort_block_merge_config_selectorI6__halfNS0_10empty_typeEEEZZNS1_27merge_sort_block_merge_implIS3_PS5_PS6_jNS1_19radix_merge_compareILb1ELb0ES5_NS0_19identity_decomposerEEEEE10hipError_tT0_T1_T2_jT3_P12ihipStream_tbPNSt15iterator_traitsISF_E10value_typeEPNSL_ISG_E10value_typeEPSH_NS1_7vsmem_tEENKUlT_SF_SG_SH_E_clIS9_S9_SA_SA_EESE_SU_SF_SG_SH_EUlSU_E0_NS1_11comp_targetILNS1_3genE0ELNS1_11target_archE4294967295ELNS1_3gpuE0ELNS1_3repE0EEENS1_38merge_mergepath_config_static_selectorELNS0_4arch9wavefront6targetE0EEEvSG_.num_vgpr, 28
	.set _ZN7rocprim17ROCPRIM_400000_NS6detail17trampoline_kernelINS0_14default_configENS1_38merge_sort_block_merge_config_selectorI6__halfNS0_10empty_typeEEEZZNS1_27merge_sort_block_merge_implIS3_PS5_PS6_jNS1_19radix_merge_compareILb1ELb0ES5_NS0_19identity_decomposerEEEEE10hipError_tT0_T1_T2_jT3_P12ihipStream_tbPNSt15iterator_traitsISF_E10value_typeEPNSL_ISG_E10value_typeEPSH_NS1_7vsmem_tEENKUlT_SF_SG_SH_E_clIS9_S9_SA_SA_EESE_SU_SF_SG_SH_EUlSU_E0_NS1_11comp_targetILNS1_3genE0ELNS1_11target_archE4294967295ELNS1_3gpuE0ELNS1_3repE0EEENS1_38merge_mergepath_config_static_selectorELNS0_4arch9wavefront6targetE0EEEvSG_.num_agpr, 0
	.set _ZN7rocprim17ROCPRIM_400000_NS6detail17trampoline_kernelINS0_14default_configENS1_38merge_sort_block_merge_config_selectorI6__halfNS0_10empty_typeEEEZZNS1_27merge_sort_block_merge_implIS3_PS5_PS6_jNS1_19radix_merge_compareILb1ELb0ES5_NS0_19identity_decomposerEEEEE10hipError_tT0_T1_T2_jT3_P12ihipStream_tbPNSt15iterator_traitsISF_E10value_typeEPNSL_ISG_E10value_typeEPSH_NS1_7vsmem_tEENKUlT_SF_SG_SH_E_clIS9_S9_SA_SA_EESE_SU_SF_SG_SH_EUlSU_E0_NS1_11comp_targetILNS1_3genE0ELNS1_11target_archE4294967295ELNS1_3gpuE0ELNS1_3repE0EEENS1_38merge_mergepath_config_static_selectorELNS0_4arch9wavefront6targetE0EEEvSG_.numbered_sgpr, 22
	.set _ZN7rocprim17ROCPRIM_400000_NS6detail17trampoline_kernelINS0_14default_configENS1_38merge_sort_block_merge_config_selectorI6__halfNS0_10empty_typeEEEZZNS1_27merge_sort_block_merge_implIS3_PS5_PS6_jNS1_19radix_merge_compareILb1ELb0ES5_NS0_19identity_decomposerEEEEE10hipError_tT0_T1_T2_jT3_P12ihipStream_tbPNSt15iterator_traitsISF_E10value_typeEPNSL_ISG_E10value_typeEPSH_NS1_7vsmem_tEENKUlT_SF_SG_SH_E_clIS9_S9_SA_SA_EESE_SU_SF_SG_SH_EUlSU_E0_NS1_11comp_targetILNS1_3genE0ELNS1_11target_archE4294967295ELNS1_3gpuE0ELNS1_3repE0EEENS1_38merge_mergepath_config_static_selectorELNS0_4arch9wavefront6targetE0EEEvSG_.num_named_barrier, 0
	.set _ZN7rocprim17ROCPRIM_400000_NS6detail17trampoline_kernelINS0_14default_configENS1_38merge_sort_block_merge_config_selectorI6__halfNS0_10empty_typeEEEZZNS1_27merge_sort_block_merge_implIS3_PS5_PS6_jNS1_19radix_merge_compareILb1ELb0ES5_NS0_19identity_decomposerEEEEE10hipError_tT0_T1_T2_jT3_P12ihipStream_tbPNSt15iterator_traitsISF_E10value_typeEPNSL_ISG_E10value_typeEPSH_NS1_7vsmem_tEENKUlT_SF_SG_SH_E_clIS9_S9_SA_SA_EESE_SU_SF_SG_SH_EUlSU_E0_NS1_11comp_targetILNS1_3genE0ELNS1_11target_archE4294967295ELNS1_3gpuE0ELNS1_3repE0EEENS1_38merge_mergepath_config_static_selectorELNS0_4arch9wavefront6targetE0EEEvSG_.private_seg_size, 0
	.set _ZN7rocprim17ROCPRIM_400000_NS6detail17trampoline_kernelINS0_14default_configENS1_38merge_sort_block_merge_config_selectorI6__halfNS0_10empty_typeEEEZZNS1_27merge_sort_block_merge_implIS3_PS5_PS6_jNS1_19radix_merge_compareILb1ELb0ES5_NS0_19identity_decomposerEEEEE10hipError_tT0_T1_T2_jT3_P12ihipStream_tbPNSt15iterator_traitsISF_E10value_typeEPNSL_ISG_E10value_typeEPSH_NS1_7vsmem_tEENKUlT_SF_SG_SH_E_clIS9_S9_SA_SA_EESE_SU_SF_SG_SH_EUlSU_E0_NS1_11comp_targetILNS1_3genE0ELNS1_11target_archE4294967295ELNS1_3gpuE0ELNS1_3repE0EEENS1_38merge_mergepath_config_static_selectorELNS0_4arch9wavefront6targetE0EEEvSG_.uses_vcc, 1
	.set _ZN7rocprim17ROCPRIM_400000_NS6detail17trampoline_kernelINS0_14default_configENS1_38merge_sort_block_merge_config_selectorI6__halfNS0_10empty_typeEEEZZNS1_27merge_sort_block_merge_implIS3_PS5_PS6_jNS1_19radix_merge_compareILb1ELb0ES5_NS0_19identity_decomposerEEEEE10hipError_tT0_T1_T2_jT3_P12ihipStream_tbPNSt15iterator_traitsISF_E10value_typeEPNSL_ISG_E10value_typeEPSH_NS1_7vsmem_tEENKUlT_SF_SG_SH_E_clIS9_S9_SA_SA_EESE_SU_SF_SG_SH_EUlSU_E0_NS1_11comp_targetILNS1_3genE0ELNS1_11target_archE4294967295ELNS1_3gpuE0ELNS1_3repE0EEENS1_38merge_mergepath_config_static_selectorELNS0_4arch9wavefront6targetE0EEEvSG_.uses_flat_scratch, 0
	.set _ZN7rocprim17ROCPRIM_400000_NS6detail17trampoline_kernelINS0_14default_configENS1_38merge_sort_block_merge_config_selectorI6__halfNS0_10empty_typeEEEZZNS1_27merge_sort_block_merge_implIS3_PS5_PS6_jNS1_19radix_merge_compareILb1ELb0ES5_NS0_19identity_decomposerEEEEE10hipError_tT0_T1_T2_jT3_P12ihipStream_tbPNSt15iterator_traitsISF_E10value_typeEPNSL_ISG_E10value_typeEPSH_NS1_7vsmem_tEENKUlT_SF_SG_SH_E_clIS9_S9_SA_SA_EESE_SU_SF_SG_SH_EUlSU_E0_NS1_11comp_targetILNS1_3genE0ELNS1_11target_archE4294967295ELNS1_3gpuE0ELNS1_3repE0EEENS1_38merge_mergepath_config_static_selectorELNS0_4arch9wavefront6targetE0EEEvSG_.has_dyn_sized_stack, 0
	.set _ZN7rocprim17ROCPRIM_400000_NS6detail17trampoline_kernelINS0_14default_configENS1_38merge_sort_block_merge_config_selectorI6__halfNS0_10empty_typeEEEZZNS1_27merge_sort_block_merge_implIS3_PS5_PS6_jNS1_19radix_merge_compareILb1ELb0ES5_NS0_19identity_decomposerEEEEE10hipError_tT0_T1_T2_jT3_P12ihipStream_tbPNSt15iterator_traitsISF_E10value_typeEPNSL_ISG_E10value_typeEPSH_NS1_7vsmem_tEENKUlT_SF_SG_SH_E_clIS9_S9_SA_SA_EESE_SU_SF_SG_SH_EUlSU_E0_NS1_11comp_targetILNS1_3genE0ELNS1_11target_archE4294967295ELNS1_3gpuE0ELNS1_3repE0EEENS1_38merge_mergepath_config_static_selectorELNS0_4arch9wavefront6targetE0EEEvSG_.has_recursion, 0
	.set _ZN7rocprim17ROCPRIM_400000_NS6detail17trampoline_kernelINS0_14default_configENS1_38merge_sort_block_merge_config_selectorI6__halfNS0_10empty_typeEEEZZNS1_27merge_sort_block_merge_implIS3_PS5_PS6_jNS1_19radix_merge_compareILb1ELb0ES5_NS0_19identity_decomposerEEEEE10hipError_tT0_T1_T2_jT3_P12ihipStream_tbPNSt15iterator_traitsISF_E10value_typeEPNSL_ISG_E10value_typeEPSH_NS1_7vsmem_tEENKUlT_SF_SG_SH_E_clIS9_S9_SA_SA_EESE_SU_SF_SG_SH_EUlSU_E0_NS1_11comp_targetILNS1_3genE0ELNS1_11target_archE4294967295ELNS1_3gpuE0ELNS1_3repE0EEENS1_38merge_mergepath_config_static_selectorELNS0_4arch9wavefront6targetE0EEEvSG_.has_indirect_call, 0
	.section	.AMDGPU.csdata,"",@progbits
; Kernel info:
; codeLenInByte = 4852
; TotalNumSgprs: 24
; NumVgprs: 28
; ScratchSize: 0
; MemoryBound: 0
; FloatMode: 240
; IeeeMode: 1
; LDSByteSize: 2112 bytes/workgroup (compile time only)
; SGPRBlocks: 0
; VGPRBlocks: 1
; NumSGPRsForWavesPerEU: 24
; NumVGPRsForWavesPerEU: 28
; NamedBarCnt: 0
; Occupancy: 16
; WaveLimiterHint : 1
; COMPUTE_PGM_RSRC2:SCRATCH_EN: 0
; COMPUTE_PGM_RSRC2:USER_SGPR: 2
; COMPUTE_PGM_RSRC2:TRAP_HANDLER: 0
; COMPUTE_PGM_RSRC2:TGID_X_EN: 1
; COMPUTE_PGM_RSRC2:TGID_Y_EN: 1
; COMPUTE_PGM_RSRC2:TGID_Z_EN: 1
; COMPUTE_PGM_RSRC2:TIDIG_COMP_CNT: 0
	.section	.text._ZN7rocprim17ROCPRIM_400000_NS6detail17trampoline_kernelINS0_14default_configENS1_38merge_sort_block_merge_config_selectorI6__halfNS0_10empty_typeEEEZZNS1_27merge_sort_block_merge_implIS3_PS5_PS6_jNS1_19radix_merge_compareILb1ELb0ES5_NS0_19identity_decomposerEEEEE10hipError_tT0_T1_T2_jT3_P12ihipStream_tbPNSt15iterator_traitsISF_E10value_typeEPNSL_ISG_E10value_typeEPSH_NS1_7vsmem_tEENKUlT_SF_SG_SH_E_clIS9_S9_SA_SA_EESE_SU_SF_SG_SH_EUlSU_E0_NS1_11comp_targetILNS1_3genE10ELNS1_11target_archE1201ELNS1_3gpuE5ELNS1_3repE0EEENS1_38merge_mergepath_config_static_selectorELNS0_4arch9wavefront6targetE0EEEvSG_,"axG",@progbits,_ZN7rocprim17ROCPRIM_400000_NS6detail17trampoline_kernelINS0_14default_configENS1_38merge_sort_block_merge_config_selectorI6__halfNS0_10empty_typeEEEZZNS1_27merge_sort_block_merge_implIS3_PS5_PS6_jNS1_19radix_merge_compareILb1ELb0ES5_NS0_19identity_decomposerEEEEE10hipError_tT0_T1_T2_jT3_P12ihipStream_tbPNSt15iterator_traitsISF_E10value_typeEPNSL_ISG_E10value_typeEPSH_NS1_7vsmem_tEENKUlT_SF_SG_SH_E_clIS9_S9_SA_SA_EESE_SU_SF_SG_SH_EUlSU_E0_NS1_11comp_targetILNS1_3genE10ELNS1_11target_archE1201ELNS1_3gpuE5ELNS1_3repE0EEENS1_38merge_mergepath_config_static_selectorELNS0_4arch9wavefront6targetE0EEEvSG_,comdat
	.protected	_ZN7rocprim17ROCPRIM_400000_NS6detail17trampoline_kernelINS0_14default_configENS1_38merge_sort_block_merge_config_selectorI6__halfNS0_10empty_typeEEEZZNS1_27merge_sort_block_merge_implIS3_PS5_PS6_jNS1_19radix_merge_compareILb1ELb0ES5_NS0_19identity_decomposerEEEEE10hipError_tT0_T1_T2_jT3_P12ihipStream_tbPNSt15iterator_traitsISF_E10value_typeEPNSL_ISG_E10value_typeEPSH_NS1_7vsmem_tEENKUlT_SF_SG_SH_E_clIS9_S9_SA_SA_EESE_SU_SF_SG_SH_EUlSU_E0_NS1_11comp_targetILNS1_3genE10ELNS1_11target_archE1201ELNS1_3gpuE5ELNS1_3repE0EEENS1_38merge_mergepath_config_static_selectorELNS0_4arch9wavefront6targetE0EEEvSG_ ; -- Begin function _ZN7rocprim17ROCPRIM_400000_NS6detail17trampoline_kernelINS0_14default_configENS1_38merge_sort_block_merge_config_selectorI6__halfNS0_10empty_typeEEEZZNS1_27merge_sort_block_merge_implIS3_PS5_PS6_jNS1_19radix_merge_compareILb1ELb0ES5_NS0_19identity_decomposerEEEEE10hipError_tT0_T1_T2_jT3_P12ihipStream_tbPNSt15iterator_traitsISF_E10value_typeEPNSL_ISG_E10value_typeEPSH_NS1_7vsmem_tEENKUlT_SF_SG_SH_E_clIS9_S9_SA_SA_EESE_SU_SF_SG_SH_EUlSU_E0_NS1_11comp_targetILNS1_3genE10ELNS1_11target_archE1201ELNS1_3gpuE5ELNS1_3repE0EEENS1_38merge_mergepath_config_static_selectorELNS0_4arch9wavefront6targetE0EEEvSG_
	.globl	_ZN7rocprim17ROCPRIM_400000_NS6detail17trampoline_kernelINS0_14default_configENS1_38merge_sort_block_merge_config_selectorI6__halfNS0_10empty_typeEEEZZNS1_27merge_sort_block_merge_implIS3_PS5_PS6_jNS1_19radix_merge_compareILb1ELb0ES5_NS0_19identity_decomposerEEEEE10hipError_tT0_T1_T2_jT3_P12ihipStream_tbPNSt15iterator_traitsISF_E10value_typeEPNSL_ISG_E10value_typeEPSH_NS1_7vsmem_tEENKUlT_SF_SG_SH_E_clIS9_S9_SA_SA_EESE_SU_SF_SG_SH_EUlSU_E0_NS1_11comp_targetILNS1_3genE10ELNS1_11target_archE1201ELNS1_3gpuE5ELNS1_3repE0EEENS1_38merge_mergepath_config_static_selectorELNS0_4arch9wavefront6targetE0EEEvSG_
	.p2align	8
	.type	_ZN7rocprim17ROCPRIM_400000_NS6detail17trampoline_kernelINS0_14default_configENS1_38merge_sort_block_merge_config_selectorI6__halfNS0_10empty_typeEEEZZNS1_27merge_sort_block_merge_implIS3_PS5_PS6_jNS1_19radix_merge_compareILb1ELb0ES5_NS0_19identity_decomposerEEEEE10hipError_tT0_T1_T2_jT3_P12ihipStream_tbPNSt15iterator_traitsISF_E10value_typeEPNSL_ISG_E10value_typeEPSH_NS1_7vsmem_tEENKUlT_SF_SG_SH_E_clIS9_S9_SA_SA_EESE_SU_SF_SG_SH_EUlSU_E0_NS1_11comp_targetILNS1_3genE10ELNS1_11target_archE1201ELNS1_3gpuE5ELNS1_3repE0EEENS1_38merge_mergepath_config_static_selectorELNS0_4arch9wavefront6targetE0EEEvSG_,@function
_ZN7rocprim17ROCPRIM_400000_NS6detail17trampoline_kernelINS0_14default_configENS1_38merge_sort_block_merge_config_selectorI6__halfNS0_10empty_typeEEEZZNS1_27merge_sort_block_merge_implIS3_PS5_PS6_jNS1_19radix_merge_compareILb1ELb0ES5_NS0_19identity_decomposerEEEEE10hipError_tT0_T1_T2_jT3_P12ihipStream_tbPNSt15iterator_traitsISF_E10value_typeEPNSL_ISG_E10value_typeEPSH_NS1_7vsmem_tEENKUlT_SF_SG_SH_E_clIS9_S9_SA_SA_EESE_SU_SF_SG_SH_EUlSU_E0_NS1_11comp_targetILNS1_3genE10ELNS1_11target_archE1201ELNS1_3gpuE5ELNS1_3repE0EEENS1_38merge_mergepath_config_static_selectorELNS0_4arch9wavefront6targetE0EEEvSG_: ; @_ZN7rocprim17ROCPRIM_400000_NS6detail17trampoline_kernelINS0_14default_configENS1_38merge_sort_block_merge_config_selectorI6__halfNS0_10empty_typeEEEZZNS1_27merge_sort_block_merge_implIS3_PS5_PS6_jNS1_19radix_merge_compareILb1ELb0ES5_NS0_19identity_decomposerEEEEE10hipError_tT0_T1_T2_jT3_P12ihipStream_tbPNSt15iterator_traitsISF_E10value_typeEPNSL_ISG_E10value_typeEPSH_NS1_7vsmem_tEENKUlT_SF_SG_SH_E_clIS9_S9_SA_SA_EESE_SU_SF_SG_SH_EUlSU_E0_NS1_11comp_targetILNS1_3genE10ELNS1_11target_archE1201ELNS1_3gpuE5ELNS1_3repE0EEENS1_38merge_mergepath_config_static_selectorELNS0_4arch9wavefront6targetE0EEEvSG_
; %bb.0:
	.section	.rodata,"a",@progbits
	.p2align	6, 0x0
	.amdhsa_kernel _ZN7rocprim17ROCPRIM_400000_NS6detail17trampoline_kernelINS0_14default_configENS1_38merge_sort_block_merge_config_selectorI6__halfNS0_10empty_typeEEEZZNS1_27merge_sort_block_merge_implIS3_PS5_PS6_jNS1_19radix_merge_compareILb1ELb0ES5_NS0_19identity_decomposerEEEEE10hipError_tT0_T1_T2_jT3_P12ihipStream_tbPNSt15iterator_traitsISF_E10value_typeEPNSL_ISG_E10value_typeEPSH_NS1_7vsmem_tEENKUlT_SF_SG_SH_E_clIS9_S9_SA_SA_EESE_SU_SF_SG_SH_EUlSU_E0_NS1_11comp_targetILNS1_3genE10ELNS1_11target_archE1201ELNS1_3gpuE5ELNS1_3repE0EEENS1_38merge_mergepath_config_static_selectorELNS0_4arch9wavefront6targetE0EEEvSG_
		.amdhsa_group_segment_fixed_size 0
		.amdhsa_private_segment_fixed_size 0
		.amdhsa_kernarg_size 64
		.amdhsa_user_sgpr_count 2
		.amdhsa_user_sgpr_dispatch_ptr 0
		.amdhsa_user_sgpr_queue_ptr 0
		.amdhsa_user_sgpr_kernarg_segment_ptr 1
		.amdhsa_user_sgpr_dispatch_id 0
		.amdhsa_user_sgpr_kernarg_preload_length 0
		.amdhsa_user_sgpr_kernarg_preload_offset 0
		.amdhsa_user_sgpr_private_segment_size 0
		.amdhsa_wavefront_size32 1
		.amdhsa_uses_dynamic_stack 0
		.amdhsa_enable_private_segment 0
		.amdhsa_system_sgpr_workgroup_id_x 1
		.amdhsa_system_sgpr_workgroup_id_y 0
		.amdhsa_system_sgpr_workgroup_id_z 0
		.amdhsa_system_sgpr_workgroup_info 0
		.amdhsa_system_vgpr_workitem_id 0
		.amdhsa_next_free_vgpr 1
		.amdhsa_next_free_sgpr 1
		.amdhsa_named_barrier_count 0
		.amdhsa_reserve_vcc 0
		.amdhsa_float_round_mode_32 0
		.amdhsa_float_round_mode_16_64 0
		.amdhsa_float_denorm_mode_32 3
		.amdhsa_float_denorm_mode_16_64 3
		.amdhsa_fp16_overflow 0
		.amdhsa_memory_ordered 1
		.amdhsa_forward_progress 1
		.amdhsa_inst_pref_size 0
		.amdhsa_round_robin_scheduling 0
		.amdhsa_exception_fp_ieee_invalid_op 0
		.amdhsa_exception_fp_denorm_src 0
		.amdhsa_exception_fp_ieee_div_zero 0
		.amdhsa_exception_fp_ieee_overflow 0
		.amdhsa_exception_fp_ieee_underflow 0
		.amdhsa_exception_fp_ieee_inexact 0
		.amdhsa_exception_int_div_zero 0
	.end_amdhsa_kernel
	.section	.text._ZN7rocprim17ROCPRIM_400000_NS6detail17trampoline_kernelINS0_14default_configENS1_38merge_sort_block_merge_config_selectorI6__halfNS0_10empty_typeEEEZZNS1_27merge_sort_block_merge_implIS3_PS5_PS6_jNS1_19radix_merge_compareILb1ELb0ES5_NS0_19identity_decomposerEEEEE10hipError_tT0_T1_T2_jT3_P12ihipStream_tbPNSt15iterator_traitsISF_E10value_typeEPNSL_ISG_E10value_typeEPSH_NS1_7vsmem_tEENKUlT_SF_SG_SH_E_clIS9_S9_SA_SA_EESE_SU_SF_SG_SH_EUlSU_E0_NS1_11comp_targetILNS1_3genE10ELNS1_11target_archE1201ELNS1_3gpuE5ELNS1_3repE0EEENS1_38merge_mergepath_config_static_selectorELNS0_4arch9wavefront6targetE0EEEvSG_,"axG",@progbits,_ZN7rocprim17ROCPRIM_400000_NS6detail17trampoline_kernelINS0_14default_configENS1_38merge_sort_block_merge_config_selectorI6__halfNS0_10empty_typeEEEZZNS1_27merge_sort_block_merge_implIS3_PS5_PS6_jNS1_19radix_merge_compareILb1ELb0ES5_NS0_19identity_decomposerEEEEE10hipError_tT0_T1_T2_jT3_P12ihipStream_tbPNSt15iterator_traitsISF_E10value_typeEPNSL_ISG_E10value_typeEPSH_NS1_7vsmem_tEENKUlT_SF_SG_SH_E_clIS9_S9_SA_SA_EESE_SU_SF_SG_SH_EUlSU_E0_NS1_11comp_targetILNS1_3genE10ELNS1_11target_archE1201ELNS1_3gpuE5ELNS1_3repE0EEENS1_38merge_mergepath_config_static_selectorELNS0_4arch9wavefront6targetE0EEEvSG_,comdat
.Lfunc_end2114:
	.size	_ZN7rocprim17ROCPRIM_400000_NS6detail17trampoline_kernelINS0_14default_configENS1_38merge_sort_block_merge_config_selectorI6__halfNS0_10empty_typeEEEZZNS1_27merge_sort_block_merge_implIS3_PS5_PS6_jNS1_19radix_merge_compareILb1ELb0ES5_NS0_19identity_decomposerEEEEE10hipError_tT0_T1_T2_jT3_P12ihipStream_tbPNSt15iterator_traitsISF_E10value_typeEPNSL_ISG_E10value_typeEPSH_NS1_7vsmem_tEENKUlT_SF_SG_SH_E_clIS9_S9_SA_SA_EESE_SU_SF_SG_SH_EUlSU_E0_NS1_11comp_targetILNS1_3genE10ELNS1_11target_archE1201ELNS1_3gpuE5ELNS1_3repE0EEENS1_38merge_mergepath_config_static_selectorELNS0_4arch9wavefront6targetE0EEEvSG_, .Lfunc_end2114-_ZN7rocprim17ROCPRIM_400000_NS6detail17trampoline_kernelINS0_14default_configENS1_38merge_sort_block_merge_config_selectorI6__halfNS0_10empty_typeEEEZZNS1_27merge_sort_block_merge_implIS3_PS5_PS6_jNS1_19radix_merge_compareILb1ELb0ES5_NS0_19identity_decomposerEEEEE10hipError_tT0_T1_T2_jT3_P12ihipStream_tbPNSt15iterator_traitsISF_E10value_typeEPNSL_ISG_E10value_typeEPSH_NS1_7vsmem_tEENKUlT_SF_SG_SH_E_clIS9_S9_SA_SA_EESE_SU_SF_SG_SH_EUlSU_E0_NS1_11comp_targetILNS1_3genE10ELNS1_11target_archE1201ELNS1_3gpuE5ELNS1_3repE0EEENS1_38merge_mergepath_config_static_selectorELNS0_4arch9wavefront6targetE0EEEvSG_
                                        ; -- End function
	.set _ZN7rocprim17ROCPRIM_400000_NS6detail17trampoline_kernelINS0_14default_configENS1_38merge_sort_block_merge_config_selectorI6__halfNS0_10empty_typeEEEZZNS1_27merge_sort_block_merge_implIS3_PS5_PS6_jNS1_19radix_merge_compareILb1ELb0ES5_NS0_19identity_decomposerEEEEE10hipError_tT0_T1_T2_jT3_P12ihipStream_tbPNSt15iterator_traitsISF_E10value_typeEPNSL_ISG_E10value_typeEPSH_NS1_7vsmem_tEENKUlT_SF_SG_SH_E_clIS9_S9_SA_SA_EESE_SU_SF_SG_SH_EUlSU_E0_NS1_11comp_targetILNS1_3genE10ELNS1_11target_archE1201ELNS1_3gpuE5ELNS1_3repE0EEENS1_38merge_mergepath_config_static_selectorELNS0_4arch9wavefront6targetE0EEEvSG_.num_vgpr, 0
	.set _ZN7rocprim17ROCPRIM_400000_NS6detail17trampoline_kernelINS0_14default_configENS1_38merge_sort_block_merge_config_selectorI6__halfNS0_10empty_typeEEEZZNS1_27merge_sort_block_merge_implIS3_PS5_PS6_jNS1_19radix_merge_compareILb1ELb0ES5_NS0_19identity_decomposerEEEEE10hipError_tT0_T1_T2_jT3_P12ihipStream_tbPNSt15iterator_traitsISF_E10value_typeEPNSL_ISG_E10value_typeEPSH_NS1_7vsmem_tEENKUlT_SF_SG_SH_E_clIS9_S9_SA_SA_EESE_SU_SF_SG_SH_EUlSU_E0_NS1_11comp_targetILNS1_3genE10ELNS1_11target_archE1201ELNS1_3gpuE5ELNS1_3repE0EEENS1_38merge_mergepath_config_static_selectorELNS0_4arch9wavefront6targetE0EEEvSG_.num_agpr, 0
	.set _ZN7rocprim17ROCPRIM_400000_NS6detail17trampoline_kernelINS0_14default_configENS1_38merge_sort_block_merge_config_selectorI6__halfNS0_10empty_typeEEEZZNS1_27merge_sort_block_merge_implIS3_PS5_PS6_jNS1_19radix_merge_compareILb1ELb0ES5_NS0_19identity_decomposerEEEEE10hipError_tT0_T1_T2_jT3_P12ihipStream_tbPNSt15iterator_traitsISF_E10value_typeEPNSL_ISG_E10value_typeEPSH_NS1_7vsmem_tEENKUlT_SF_SG_SH_E_clIS9_S9_SA_SA_EESE_SU_SF_SG_SH_EUlSU_E0_NS1_11comp_targetILNS1_3genE10ELNS1_11target_archE1201ELNS1_3gpuE5ELNS1_3repE0EEENS1_38merge_mergepath_config_static_selectorELNS0_4arch9wavefront6targetE0EEEvSG_.numbered_sgpr, 0
	.set _ZN7rocprim17ROCPRIM_400000_NS6detail17trampoline_kernelINS0_14default_configENS1_38merge_sort_block_merge_config_selectorI6__halfNS0_10empty_typeEEEZZNS1_27merge_sort_block_merge_implIS3_PS5_PS6_jNS1_19radix_merge_compareILb1ELb0ES5_NS0_19identity_decomposerEEEEE10hipError_tT0_T1_T2_jT3_P12ihipStream_tbPNSt15iterator_traitsISF_E10value_typeEPNSL_ISG_E10value_typeEPSH_NS1_7vsmem_tEENKUlT_SF_SG_SH_E_clIS9_S9_SA_SA_EESE_SU_SF_SG_SH_EUlSU_E0_NS1_11comp_targetILNS1_3genE10ELNS1_11target_archE1201ELNS1_3gpuE5ELNS1_3repE0EEENS1_38merge_mergepath_config_static_selectorELNS0_4arch9wavefront6targetE0EEEvSG_.num_named_barrier, 0
	.set _ZN7rocprim17ROCPRIM_400000_NS6detail17trampoline_kernelINS0_14default_configENS1_38merge_sort_block_merge_config_selectorI6__halfNS0_10empty_typeEEEZZNS1_27merge_sort_block_merge_implIS3_PS5_PS6_jNS1_19radix_merge_compareILb1ELb0ES5_NS0_19identity_decomposerEEEEE10hipError_tT0_T1_T2_jT3_P12ihipStream_tbPNSt15iterator_traitsISF_E10value_typeEPNSL_ISG_E10value_typeEPSH_NS1_7vsmem_tEENKUlT_SF_SG_SH_E_clIS9_S9_SA_SA_EESE_SU_SF_SG_SH_EUlSU_E0_NS1_11comp_targetILNS1_3genE10ELNS1_11target_archE1201ELNS1_3gpuE5ELNS1_3repE0EEENS1_38merge_mergepath_config_static_selectorELNS0_4arch9wavefront6targetE0EEEvSG_.private_seg_size, 0
	.set _ZN7rocprim17ROCPRIM_400000_NS6detail17trampoline_kernelINS0_14default_configENS1_38merge_sort_block_merge_config_selectorI6__halfNS0_10empty_typeEEEZZNS1_27merge_sort_block_merge_implIS3_PS5_PS6_jNS1_19radix_merge_compareILb1ELb0ES5_NS0_19identity_decomposerEEEEE10hipError_tT0_T1_T2_jT3_P12ihipStream_tbPNSt15iterator_traitsISF_E10value_typeEPNSL_ISG_E10value_typeEPSH_NS1_7vsmem_tEENKUlT_SF_SG_SH_E_clIS9_S9_SA_SA_EESE_SU_SF_SG_SH_EUlSU_E0_NS1_11comp_targetILNS1_3genE10ELNS1_11target_archE1201ELNS1_3gpuE5ELNS1_3repE0EEENS1_38merge_mergepath_config_static_selectorELNS0_4arch9wavefront6targetE0EEEvSG_.uses_vcc, 0
	.set _ZN7rocprim17ROCPRIM_400000_NS6detail17trampoline_kernelINS0_14default_configENS1_38merge_sort_block_merge_config_selectorI6__halfNS0_10empty_typeEEEZZNS1_27merge_sort_block_merge_implIS3_PS5_PS6_jNS1_19radix_merge_compareILb1ELb0ES5_NS0_19identity_decomposerEEEEE10hipError_tT0_T1_T2_jT3_P12ihipStream_tbPNSt15iterator_traitsISF_E10value_typeEPNSL_ISG_E10value_typeEPSH_NS1_7vsmem_tEENKUlT_SF_SG_SH_E_clIS9_S9_SA_SA_EESE_SU_SF_SG_SH_EUlSU_E0_NS1_11comp_targetILNS1_3genE10ELNS1_11target_archE1201ELNS1_3gpuE5ELNS1_3repE0EEENS1_38merge_mergepath_config_static_selectorELNS0_4arch9wavefront6targetE0EEEvSG_.uses_flat_scratch, 0
	.set _ZN7rocprim17ROCPRIM_400000_NS6detail17trampoline_kernelINS0_14default_configENS1_38merge_sort_block_merge_config_selectorI6__halfNS0_10empty_typeEEEZZNS1_27merge_sort_block_merge_implIS3_PS5_PS6_jNS1_19radix_merge_compareILb1ELb0ES5_NS0_19identity_decomposerEEEEE10hipError_tT0_T1_T2_jT3_P12ihipStream_tbPNSt15iterator_traitsISF_E10value_typeEPNSL_ISG_E10value_typeEPSH_NS1_7vsmem_tEENKUlT_SF_SG_SH_E_clIS9_S9_SA_SA_EESE_SU_SF_SG_SH_EUlSU_E0_NS1_11comp_targetILNS1_3genE10ELNS1_11target_archE1201ELNS1_3gpuE5ELNS1_3repE0EEENS1_38merge_mergepath_config_static_selectorELNS0_4arch9wavefront6targetE0EEEvSG_.has_dyn_sized_stack, 0
	.set _ZN7rocprim17ROCPRIM_400000_NS6detail17trampoline_kernelINS0_14default_configENS1_38merge_sort_block_merge_config_selectorI6__halfNS0_10empty_typeEEEZZNS1_27merge_sort_block_merge_implIS3_PS5_PS6_jNS1_19radix_merge_compareILb1ELb0ES5_NS0_19identity_decomposerEEEEE10hipError_tT0_T1_T2_jT3_P12ihipStream_tbPNSt15iterator_traitsISF_E10value_typeEPNSL_ISG_E10value_typeEPSH_NS1_7vsmem_tEENKUlT_SF_SG_SH_E_clIS9_S9_SA_SA_EESE_SU_SF_SG_SH_EUlSU_E0_NS1_11comp_targetILNS1_3genE10ELNS1_11target_archE1201ELNS1_3gpuE5ELNS1_3repE0EEENS1_38merge_mergepath_config_static_selectorELNS0_4arch9wavefront6targetE0EEEvSG_.has_recursion, 0
	.set _ZN7rocprim17ROCPRIM_400000_NS6detail17trampoline_kernelINS0_14default_configENS1_38merge_sort_block_merge_config_selectorI6__halfNS0_10empty_typeEEEZZNS1_27merge_sort_block_merge_implIS3_PS5_PS6_jNS1_19radix_merge_compareILb1ELb0ES5_NS0_19identity_decomposerEEEEE10hipError_tT0_T1_T2_jT3_P12ihipStream_tbPNSt15iterator_traitsISF_E10value_typeEPNSL_ISG_E10value_typeEPSH_NS1_7vsmem_tEENKUlT_SF_SG_SH_E_clIS9_S9_SA_SA_EESE_SU_SF_SG_SH_EUlSU_E0_NS1_11comp_targetILNS1_3genE10ELNS1_11target_archE1201ELNS1_3gpuE5ELNS1_3repE0EEENS1_38merge_mergepath_config_static_selectorELNS0_4arch9wavefront6targetE0EEEvSG_.has_indirect_call, 0
	.section	.AMDGPU.csdata,"",@progbits
; Kernel info:
; codeLenInByte = 0
; TotalNumSgprs: 0
; NumVgprs: 0
; ScratchSize: 0
; MemoryBound: 0
; FloatMode: 240
; IeeeMode: 1
; LDSByteSize: 0 bytes/workgroup (compile time only)
; SGPRBlocks: 0
; VGPRBlocks: 0
; NumSGPRsForWavesPerEU: 1
; NumVGPRsForWavesPerEU: 1
; NamedBarCnt: 0
; Occupancy: 16
; WaveLimiterHint : 0
; COMPUTE_PGM_RSRC2:SCRATCH_EN: 0
; COMPUTE_PGM_RSRC2:USER_SGPR: 2
; COMPUTE_PGM_RSRC2:TRAP_HANDLER: 0
; COMPUTE_PGM_RSRC2:TGID_X_EN: 1
; COMPUTE_PGM_RSRC2:TGID_Y_EN: 0
; COMPUTE_PGM_RSRC2:TGID_Z_EN: 0
; COMPUTE_PGM_RSRC2:TIDIG_COMP_CNT: 0
	.section	.text._ZN7rocprim17ROCPRIM_400000_NS6detail17trampoline_kernelINS0_14default_configENS1_38merge_sort_block_merge_config_selectorI6__halfNS0_10empty_typeEEEZZNS1_27merge_sort_block_merge_implIS3_PS5_PS6_jNS1_19radix_merge_compareILb1ELb0ES5_NS0_19identity_decomposerEEEEE10hipError_tT0_T1_T2_jT3_P12ihipStream_tbPNSt15iterator_traitsISF_E10value_typeEPNSL_ISG_E10value_typeEPSH_NS1_7vsmem_tEENKUlT_SF_SG_SH_E_clIS9_S9_SA_SA_EESE_SU_SF_SG_SH_EUlSU_E0_NS1_11comp_targetILNS1_3genE5ELNS1_11target_archE942ELNS1_3gpuE9ELNS1_3repE0EEENS1_38merge_mergepath_config_static_selectorELNS0_4arch9wavefront6targetE0EEEvSG_,"axG",@progbits,_ZN7rocprim17ROCPRIM_400000_NS6detail17trampoline_kernelINS0_14default_configENS1_38merge_sort_block_merge_config_selectorI6__halfNS0_10empty_typeEEEZZNS1_27merge_sort_block_merge_implIS3_PS5_PS6_jNS1_19radix_merge_compareILb1ELb0ES5_NS0_19identity_decomposerEEEEE10hipError_tT0_T1_T2_jT3_P12ihipStream_tbPNSt15iterator_traitsISF_E10value_typeEPNSL_ISG_E10value_typeEPSH_NS1_7vsmem_tEENKUlT_SF_SG_SH_E_clIS9_S9_SA_SA_EESE_SU_SF_SG_SH_EUlSU_E0_NS1_11comp_targetILNS1_3genE5ELNS1_11target_archE942ELNS1_3gpuE9ELNS1_3repE0EEENS1_38merge_mergepath_config_static_selectorELNS0_4arch9wavefront6targetE0EEEvSG_,comdat
	.protected	_ZN7rocprim17ROCPRIM_400000_NS6detail17trampoline_kernelINS0_14default_configENS1_38merge_sort_block_merge_config_selectorI6__halfNS0_10empty_typeEEEZZNS1_27merge_sort_block_merge_implIS3_PS5_PS6_jNS1_19radix_merge_compareILb1ELb0ES5_NS0_19identity_decomposerEEEEE10hipError_tT0_T1_T2_jT3_P12ihipStream_tbPNSt15iterator_traitsISF_E10value_typeEPNSL_ISG_E10value_typeEPSH_NS1_7vsmem_tEENKUlT_SF_SG_SH_E_clIS9_S9_SA_SA_EESE_SU_SF_SG_SH_EUlSU_E0_NS1_11comp_targetILNS1_3genE5ELNS1_11target_archE942ELNS1_3gpuE9ELNS1_3repE0EEENS1_38merge_mergepath_config_static_selectorELNS0_4arch9wavefront6targetE0EEEvSG_ ; -- Begin function _ZN7rocprim17ROCPRIM_400000_NS6detail17trampoline_kernelINS0_14default_configENS1_38merge_sort_block_merge_config_selectorI6__halfNS0_10empty_typeEEEZZNS1_27merge_sort_block_merge_implIS3_PS5_PS6_jNS1_19radix_merge_compareILb1ELb0ES5_NS0_19identity_decomposerEEEEE10hipError_tT0_T1_T2_jT3_P12ihipStream_tbPNSt15iterator_traitsISF_E10value_typeEPNSL_ISG_E10value_typeEPSH_NS1_7vsmem_tEENKUlT_SF_SG_SH_E_clIS9_S9_SA_SA_EESE_SU_SF_SG_SH_EUlSU_E0_NS1_11comp_targetILNS1_3genE5ELNS1_11target_archE942ELNS1_3gpuE9ELNS1_3repE0EEENS1_38merge_mergepath_config_static_selectorELNS0_4arch9wavefront6targetE0EEEvSG_
	.globl	_ZN7rocprim17ROCPRIM_400000_NS6detail17trampoline_kernelINS0_14default_configENS1_38merge_sort_block_merge_config_selectorI6__halfNS0_10empty_typeEEEZZNS1_27merge_sort_block_merge_implIS3_PS5_PS6_jNS1_19radix_merge_compareILb1ELb0ES5_NS0_19identity_decomposerEEEEE10hipError_tT0_T1_T2_jT3_P12ihipStream_tbPNSt15iterator_traitsISF_E10value_typeEPNSL_ISG_E10value_typeEPSH_NS1_7vsmem_tEENKUlT_SF_SG_SH_E_clIS9_S9_SA_SA_EESE_SU_SF_SG_SH_EUlSU_E0_NS1_11comp_targetILNS1_3genE5ELNS1_11target_archE942ELNS1_3gpuE9ELNS1_3repE0EEENS1_38merge_mergepath_config_static_selectorELNS0_4arch9wavefront6targetE0EEEvSG_
	.p2align	8
	.type	_ZN7rocprim17ROCPRIM_400000_NS6detail17trampoline_kernelINS0_14default_configENS1_38merge_sort_block_merge_config_selectorI6__halfNS0_10empty_typeEEEZZNS1_27merge_sort_block_merge_implIS3_PS5_PS6_jNS1_19radix_merge_compareILb1ELb0ES5_NS0_19identity_decomposerEEEEE10hipError_tT0_T1_T2_jT3_P12ihipStream_tbPNSt15iterator_traitsISF_E10value_typeEPNSL_ISG_E10value_typeEPSH_NS1_7vsmem_tEENKUlT_SF_SG_SH_E_clIS9_S9_SA_SA_EESE_SU_SF_SG_SH_EUlSU_E0_NS1_11comp_targetILNS1_3genE5ELNS1_11target_archE942ELNS1_3gpuE9ELNS1_3repE0EEENS1_38merge_mergepath_config_static_selectorELNS0_4arch9wavefront6targetE0EEEvSG_,@function
_ZN7rocprim17ROCPRIM_400000_NS6detail17trampoline_kernelINS0_14default_configENS1_38merge_sort_block_merge_config_selectorI6__halfNS0_10empty_typeEEEZZNS1_27merge_sort_block_merge_implIS3_PS5_PS6_jNS1_19radix_merge_compareILb1ELb0ES5_NS0_19identity_decomposerEEEEE10hipError_tT0_T1_T2_jT3_P12ihipStream_tbPNSt15iterator_traitsISF_E10value_typeEPNSL_ISG_E10value_typeEPSH_NS1_7vsmem_tEENKUlT_SF_SG_SH_E_clIS9_S9_SA_SA_EESE_SU_SF_SG_SH_EUlSU_E0_NS1_11comp_targetILNS1_3genE5ELNS1_11target_archE942ELNS1_3gpuE9ELNS1_3repE0EEENS1_38merge_mergepath_config_static_selectorELNS0_4arch9wavefront6targetE0EEEvSG_: ; @_ZN7rocprim17ROCPRIM_400000_NS6detail17trampoline_kernelINS0_14default_configENS1_38merge_sort_block_merge_config_selectorI6__halfNS0_10empty_typeEEEZZNS1_27merge_sort_block_merge_implIS3_PS5_PS6_jNS1_19radix_merge_compareILb1ELb0ES5_NS0_19identity_decomposerEEEEE10hipError_tT0_T1_T2_jT3_P12ihipStream_tbPNSt15iterator_traitsISF_E10value_typeEPNSL_ISG_E10value_typeEPSH_NS1_7vsmem_tEENKUlT_SF_SG_SH_E_clIS9_S9_SA_SA_EESE_SU_SF_SG_SH_EUlSU_E0_NS1_11comp_targetILNS1_3genE5ELNS1_11target_archE942ELNS1_3gpuE9ELNS1_3repE0EEENS1_38merge_mergepath_config_static_selectorELNS0_4arch9wavefront6targetE0EEEvSG_
; %bb.0:
	.section	.rodata,"a",@progbits
	.p2align	6, 0x0
	.amdhsa_kernel _ZN7rocprim17ROCPRIM_400000_NS6detail17trampoline_kernelINS0_14default_configENS1_38merge_sort_block_merge_config_selectorI6__halfNS0_10empty_typeEEEZZNS1_27merge_sort_block_merge_implIS3_PS5_PS6_jNS1_19radix_merge_compareILb1ELb0ES5_NS0_19identity_decomposerEEEEE10hipError_tT0_T1_T2_jT3_P12ihipStream_tbPNSt15iterator_traitsISF_E10value_typeEPNSL_ISG_E10value_typeEPSH_NS1_7vsmem_tEENKUlT_SF_SG_SH_E_clIS9_S9_SA_SA_EESE_SU_SF_SG_SH_EUlSU_E0_NS1_11comp_targetILNS1_3genE5ELNS1_11target_archE942ELNS1_3gpuE9ELNS1_3repE0EEENS1_38merge_mergepath_config_static_selectorELNS0_4arch9wavefront6targetE0EEEvSG_
		.amdhsa_group_segment_fixed_size 0
		.amdhsa_private_segment_fixed_size 0
		.amdhsa_kernarg_size 64
		.amdhsa_user_sgpr_count 2
		.amdhsa_user_sgpr_dispatch_ptr 0
		.amdhsa_user_sgpr_queue_ptr 0
		.amdhsa_user_sgpr_kernarg_segment_ptr 1
		.amdhsa_user_sgpr_dispatch_id 0
		.amdhsa_user_sgpr_kernarg_preload_length 0
		.amdhsa_user_sgpr_kernarg_preload_offset 0
		.amdhsa_user_sgpr_private_segment_size 0
		.amdhsa_wavefront_size32 1
		.amdhsa_uses_dynamic_stack 0
		.amdhsa_enable_private_segment 0
		.amdhsa_system_sgpr_workgroup_id_x 1
		.amdhsa_system_sgpr_workgroup_id_y 0
		.amdhsa_system_sgpr_workgroup_id_z 0
		.amdhsa_system_sgpr_workgroup_info 0
		.amdhsa_system_vgpr_workitem_id 0
		.amdhsa_next_free_vgpr 1
		.amdhsa_next_free_sgpr 1
		.amdhsa_named_barrier_count 0
		.amdhsa_reserve_vcc 0
		.amdhsa_float_round_mode_32 0
		.amdhsa_float_round_mode_16_64 0
		.amdhsa_float_denorm_mode_32 3
		.amdhsa_float_denorm_mode_16_64 3
		.amdhsa_fp16_overflow 0
		.amdhsa_memory_ordered 1
		.amdhsa_forward_progress 1
		.amdhsa_inst_pref_size 0
		.amdhsa_round_robin_scheduling 0
		.amdhsa_exception_fp_ieee_invalid_op 0
		.amdhsa_exception_fp_denorm_src 0
		.amdhsa_exception_fp_ieee_div_zero 0
		.amdhsa_exception_fp_ieee_overflow 0
		.amdhsa_exception_fp_ieee_underflow 0
		.amdhsa_exception_fp_ieee_inexact 0
		.amdhsa_exception_int_div_zero 0
	.end_amdhsa_kernel
	.section	.text._ZN7rocprim17ROCPRIM_400000_NS6detail17trampoline_kernelINS0_14default_configENS1_38merge_sort_block_merge_config_selectorI6__halfNS0_10empty_typeEEEZZNS1_27merge_sort_block_merge_implIS3_PS5_PS6_jNS1_19radix_merge_compareILb1ELb0ES5_NS0_19identity_decomposerEEEEE10hipError_tT0_T1_T2_jT3_P12ihipStream_tbPNSt15iterator_traitsISF_E10value_typeEPNSL_ISG_E10value_typeEPSH_NS1_7vsmem_tEENKUlT_SF_SG_SH_E_clIS9_S9_SA_SA_EESE_SU_SF_SG_SH_EUlSU_E0_NS1_11comp_targetILNS1_3genE5ELNS1_11target_archE942ELNS1_3gpuE9ELNS1_3repE0EEENS1_38merge_mergepath_config_static_selectorELNS0_4arch9wavefront6targetE0EEEvSG_,"axG",@progbits,_ZN7rocprim17ROCPRIM_400000_NS6detail17trampoline_kernelINS0_14default_configENS1_38merge_sort_block_merge_config_selectorI6__halfNS0_10empty_typeEEEZZNS1_27merge_sort_block_merge_implIS3_PS5_PS6_jNS1_19radix_merge_compareILb1ELb0ES5_NS0_19identity_decomposerEEEEE10hipError_tT0_T1_T2_jT3_P12ihipStream_tbPNSt15iterator_traitsISF_E10value_typeEPNSL_ISG_E10value_typeEPSH_NS1_7vsmem_tEENKUlT_SF_SG_SH_E_clIS9_S9_SA_SA_EESE_SU_SF_SG_SH_EUlSU_E0_NS1_11comp_targetILNS1_3genE5ELNS1_11target_archE942ELNS1_3gpuE9ELNS1_3repE0EEENS1_38merge_mergepath_config_static_selectorELNS0_4arch9wavefront6targetE0EEEvSG_,comdat
.Lfunc_end2115:
	.size	_ZN7rocprim17ROCPRIM_400000_NS6detail17trampoline_kernelINS0_14default_configENS1_38merge_sort_block_merge_config_selectorI6__halfNS0_10empty_typeEEEZZNS1_27merge_sort_block_merge_implIS3_PS5_PS6_jNS1_19radix_merge_compareILb1ELb0ES5_NS0_19identity_decomposerEEEEE10hipError_tT0_T1_T2_jT3_P12ihipStream_tbPNSt15iterator_traitsISF_E10value_typeEPNSL_ISG_E10value_typeEPSH_NS1_7vsmem_tEENKUlT_SF_SG_SH_E_clIS9_S9_SA_SA_EESE_SU_SF_SG_SH_EUlSU_E0_NS1_11comp_targetILNS1_3genE5ELNS1_11target_archE942ELNS1_3gpuE9ELNS1_3repE0EEENS1_38merge_mergepath_config_static_selectorELNS0_4arch9wavefront6targetE0EEEvSG_, .Lfunc_end2115-_ZN7rocprim17ROCPRIM_400000_NS6detail17trampoline_kernelINS0_14default_configENS1_38merge_sort_block_merge_config_selectorI6__halfNS0_10empty_typeEEEZZNS1_27merge_sort_block_merge_implIS3_PS5_PS6_jNS1_19radix_merge_compareILb1ELb0ES5_NS0_19identity_decomposerEEEEE10hipError_tT0_T1_T2_jT3_P12ihipStream_tbPNSt15iterator_traitsISF_E10value_typeEPNSL_ISG_E10value_typeEPSH_NS1_7vsmem_tEENKUlT_SF_SG_SH_E_clIS9_S9_SA_SA_EESE_SU_SF_SG_SH_EUlSU_E0_NS1_11comp_targetILNS1_3genE5ELNS1_11target_archE942ELNS1_3gpuE9ELNS1_3repE0EEENS1_38merge_mergepath_config_static_selectorELNS0_4arch9wavefront6targetE0EEEvSG_
                                        ; -- End function
	.set _ZN7rocprim17ROCPRIM_400000_NS6detail17trampoline_kernelINS0_14default_configENS1_38merge_sort_block_merge_config_selectorI6__halfNS0_10empty_typeEEEZZNS1_27merge_sort_block_merge_implIS3_PS5_PS6_jNS1_19radix_merge_compareILb1ELb0ES5_NS0_19identity_decomposerEEEEE10hipError_tT0_T1_T2_jT3_P12ihipStream_tbPNSt15iterator_traitsISF_E10value_typeEPNSL_ISG_E10value_typeEPSH_NS1_7vsmem_tEENKUlT_SF_SG_SH_E_clIS9_S9_SA_SA_EESE_SU_SF_SG_SH_EUlSU_E0_NS1_11comp_targetILNS1_3genE5ELNS1_11target_archE942ELNS1_3gpuE9ELNS1_3repE0EEENS1_38merge_mergepath_config_static_selectorELNS0_4arch9wavefront6targetE0EEEvSG_.num_vgpr, 0
	.set _ZN7rocprim17ROCPRIM_400000_NS6detail17trampoline_kernelINS0_14default_configENS1_38merge_sort_block_merge_config_selectorI6__halfNS0_10empty_typeEEEZZNS1_27merge_sort_block_merge_implIS3_PS5_PS6_jNS1_19radix_merge_compareILb1ELb0ES5_NS0_19identity_decomposerEEEEE10hipError_tT0_T1_T2_jT3_P12ihipStream_tbPNSt15iterator_traitsISF_E10value_typeEPNSL_ISG_E10value_typeEPSH_NS1_7vsmem_tEENKUlT_SF_SG_SH_E_clIS9_S9_SA_SA_EESE_SU_SF_SG_SH_EUlSU_E0_NS1_11comp_targetILNS1_3genE5ELNS1_11target_archE942ELNS1_3gpuE9ELNS1_3repE0EEENS1_38merge_mergepath_config_static_selectorELNS0_4arch9wavefront6targetE0EEEvSG_.num_agpr, 0
	.set _ZN7rocprim17ROCPRIM_400000_NS6detail17trampoline_kernelINS0_14default_configENS1_38merge_sort_block_merge_config_selectorI6__halfNS0_10empty_typeEEEZZNS1_27merge_sort_block_merge_implIS3_PS5_PS6_jNS1_19radix_merge_compareILb1ELb0ES5_NS0_19identity_decomposerEEEEE10hipError_tT0_T1_T2_jT3_P12ihipStream_tbPNSt15iterator_traitsISF_E10value_typeEPNSL_ISG_E10value_typeEPSH_NS1_7vsmem_tEENKUlT_SF_SG_SH_E_clIS9_S9_SA_SA_EESE_SU_SF_SG_SH_EUlSU_E0_NS1_11comp_targetILNS1_3genE5ELNS1_11target_archE942ELNS1_3gpuE9ELNS1_3repE0EEENS1_38merge_mergepath_config_static_selectorELNS0_4arch9wavefront6targetE0EEEvSG_.numbered_sgpr, 0
	.set _ZN7rocprim17ROCPRIM_400000_NS6detail17trampoline_kernelINS0_14default_configENS1_38merge_sort_block_merge_config_selectorI6__halfNS0_10empty_typeEEEZZNS1_27merge_sort_block_merge_implIS3_PS5_PS6_jNS1_19radix_merge_compareILb1ELb0ES5_NS0_19identity_decomposerEEEEE10hipError_tT0_T1_T2_jT3_P12ihipStream_tbPNSt15iterator_traitsISF_E10value_typeEPNSL_ISG_E10value_typeEPSH_NS1_7vsmem_tEENKUlT_SF_SG_SH_E_clIS9_S9_SA_SA_EESE_SU_SF_SG_SH_EUlSU_E0_NS1_11comp_targetILNS1_3genE5ELNS1_11target_archE942ELNS1_3gpuE9ELNS1_3repE0EEENS1_38merge_mergepath_config_static_selectorELNS0_4arch9wavefront6targetE0EEEvSG_.num_named_barrier, 0
	.set _ZN7rocprim17ROCPRIM_400000_NS6detail17trampoline_kernelINS0_14default_configENS1_38merge_sort_block_merge_config_selectorI6__halfNS0_10empty_typeEEEZZNS1_27merge_sort_block_merge_implIS3_PS5_PS6_jNS1_19radix_merge_compareILb1ELb0ES5_NS0_19identity_decomposerEEEEE10hipError_tT0_T1_T2_jT3_P12ihipStream_tbPNSt15iterator_traitsISF_E10value_typeEPNSL_ISG_E10value_typeEPSH_NS1_7vsmem_tEENKUlT_SF_SG_SH_E_clIS9_S9_SA_SA_EESE_SU_SF_SG_SH_EUlSU_E0_NS1_11comp_targetILNS1_3genE5ELNS1_11target_archE942ELNS1_3gpuE9ELNS1_3repE0EEENS1_38merge_mergepath_config_static_selectorELNS0_4arch9wavefront6targetE0EEEvSG_.private_seg_size, 0
	.set _ZN7rocprim17ROCPRIM_400000_NS6detail17trampoline_kernelINS0_14default_configENS1_38merge_sort_block_merge_config_selectorI6__halfNS0_10empty_typeEEEZZNS1_27merge_sort_block_merge_implIS3_PS5_PS6_jNS1_19radix_merge_compareILb1ELb0ES5_NS0_19identity_decomposerEEEEE10hipError_tT0_T1_T2_jT3_P12ihipStream_tbPNSt15iterator_traitsISF_E10value_typeEPNSL_ISG_E10value_typeEPSH_NS1_7vsmem_tEENKUlT_SF_SG_SH_E_clIS9_S9_SA_SA_EESE_SU_SF_SG_SH_EUlSU_E0_NS1_11comp_targetILNS1_3genE5ELNS1_11target_archE942ELNS1_3gpuE9ELNS1_3repE0EEENS1_38merge_mergepath_config_static_selectorELNS0_4arch9wavefront6targetE0EEEvSG_.uses_vcc, 0
	.set _ZN7rocprim17ROCPRIM_400000_NS6detail17trampoline_kernelINS0_14default_configENS1_38merge_sort_block_merge_config_selectorI6__halfNS0_10empty_typeEEEZZNS1_27merge_sort_block_merge_implIS3_PS5_PS6_jNS1_19radix_merge_compareILb1ELb0ES5_NS0_19identity_decomposerEEEEE10hipError_tT0_T1_T2_jT3_P12ihipStream_tbPNSt15iterator_traitsISF_E10value_typeEPNSL_ISG_E10value_typeEPSH_NS1_7vsmem_tEENKUlT_SF_SG_SH_E_clIS9_S9_SA_SA_EESE_SU_SF_SG_SH_EUlSU_E0_NS1_11comp_targetILNS1_3genE5ELNS1_11target_archE942ELNS1_3gpuE9ELNS1_3repE0EEENS1_38merge_mergepath_config_static_selectorELNS0_4arch9wavefront6targetE0EEEvSG_.uses_flat_scratch, 0
	.set _ZN7rocprim17ROCPRIM_400000_NS6detail17trampoline_kernelINS0_14default_configENS1_38merge_sort_block_merge_config_selectorI6__halfNS0_10empty_typeEEEZZNS1_27merge_sort_block_merge_implIS3_PS5_PS6_jNS1_19radix_merge_compareILb1ELb0ES5_NS0_19identity_decomposerEEEEE10hipError_tT0_T1_T2_jT3_P12ihipStream_tbPNSt15iterator_traitsISF_E10value_typeEPNSL_ISG_E10value_typeEPSH_NS1_7vsmem_tEENKUlT_SF_SG_SH_E_clIS9_S9_SA_SA_EESE_SU_SF_SG_SH_EUlSU_E0_NS1_11comp_targetILNS1_3genE5ELNS1_11target_archE942ELNS1_3gpuE9ELNS1_3repE0EEENS1_38merge_mergepath_config_static_selectorELNS0_4arch9wavefront6targetE0EEEvSG_.has_dyn_sized_stack, 0
	.set _ZN7rocprim17ROCPRIM_400000_NS6detail17trampoline_kernelINS0_14default_configENS1_38merge_sort_block_merge_config_selectorI6__halfNS0_10empty_typeEEEZZNS1_27merge_sort_block_merge_implIS3_PS5_PS6_jNS1_19radix_merge_compareILb1ELb0ES5_NS0_19identity_decomposerEEEEE10hipError_tT0_T1_T2_jT3_P12ihipStream_tbPNSt15iterator_traitsISF_E10value_typeEPNSL_ISG_E10value_typeEPSH_NS1_7vsmem_tEENKUlT_SF_SG_SH_E_clIS9_S9_SA_SA_EESE_SU_SF_SG_SH_EUlSU_E0_NS1_11comp_targetILNS1_3genE5ELNS1_11target_archE942ELNS1_3gpuE9ELNS1_3repE0EEENS1_38merge_mergepath_config_static_selectorELNS0_4arch9wavefront6targetE0EEEvSG_.has_recursion, 0
	.set _ZN7rocprim17ROCPRIM_400000_NS6detail17trampoline_kernelINS0_14default_configENS1_38merge_sort_block_merge_config_selectorI6__halfNS0_10empty_typeEEEZZNS1_27merge_sort_block_merge_implIS3_PS5_PS6_jNS1_19radix_merge_compareILb1ELb0ES5_NS0_19identity_decomposerEEEEE10hipError_tT0_T1_T2_jT3_P12ihipStream_tbPNSt15iterator_traitsISF_E10value_typeEPNSL_ISG_E10value_typeEPSH_NS1_7vsmem_tEENKUlT_SF_SG_SH_E_clIS9_S9_SA_SA_EESE_SU_SF_SG_SH_EUlSU_E0_NS1_11comp_targetILNS1_3genE5ELNS1_11target_archE942ELNS1_3gpuE9ELNS1_3repE0EEENS1_38merge_mergepath_config_static_selectorELNS0_4arch9wavefront6targetE0EEEvSG_.has_indirect_call, 0
	.section	.AMDGPU.csdata,"",@progbits
; Kernel info:
; codeLenInByte = 0
; TotalNumSgprs: 0
; NumVgprs: 0
; ScratchSize: 0
; MemoryBound: 0
; FloatMode: 240
; IeeeMode: 1
; LDSByteSize: 0 bytes/workgroup (compile time only)
; SGPRBlocks: 0
; VGPRBlocks: 0
; NumSGPRsForWavesPerEU: 1
; NumVGPRsForWavesPerEU: 1
; NamedBarCnt: 0
; Occupancy: 16
; WaveLimiterHint : 0
; COMPUTE_PGM_RSRC2:SCRATCH_EN: 0
; COMPUTE_PGM_RSRC2:USER_SGPR: 2
; COMPUTE_PGM_RSRC2:TRAP_HANDLER: 0
; COMPUTE_PGM_RSRC2:TGID_X_EN: 1
; COMPUTE_PGM_RSRC2:TGID_Y_EN: 0
; COMPUTE_PGM_RSRC2:TGID_Z_EN: 0
; COMPUTE_PGM_RSRC2:TIDIG_COMP_CNT: 0
	.section	.text._ZN7rocprim17ROCPRIM_400000_NS6detail17trampoline_kernelINS0_14default_configENS1_38merge_sort_block_merge_config_selectorI6__halfNS0_10empty_typeEEEZZNS1_27merge_sort_block_merge_implIS3_PS5_PS6_jNS1_19radix_merge_compareILb1ELb0ES5_NS0_19identity_decomposerEEEEE10hipError_tT0_T1_T2_jT3_P12ihipStream_tbPNSt15iterator_traitsISF_E10value_typeEPNSL_ISG_E10value_typeEPSH_NS1_7vsmem_tEENKUlT_SF_SG_SH_E_clIS9_S9_SA_SA_EESE_SU_SF_SG_SH_EUlSU_E0_NS1_11comp_targetILNS1_3genE4ELNS1_11target_archE910ELNS1_3gpuE8ELNS1_3repE0EEENS1_38merge_mergepath_config_static_selectorELNS0_4arch9wavefront6targetE0EEEvSG_,"axG",@progbits,_ZN7rocprim17ROCPRIM_400000_NS6detail17trampoline_kernelINS0_14default_configENS1_38merge_sort_block_merge_config_selectorI6__halfNS0_10empty_typeEEEZZNS1_27merge_sort_block_merge_implIS3_PS5_PS6_jNS1_19radix_merge_compareILb1ELb0ES5_NS0_19identity_decomposerEEEEE10hipError_tT0_T1_T2_jT3_P12ihipStream_tbPNSt15iterator_traitsISF_E10value_typeEPNSL_ISG_E10value_typeEPSH_NS1_7vsmem_tEENKUlT_SF_SG_SH_E_clIS9_S9_SA_SA_EESE_SU_SF_SG_SH_EUlSU_E0_NS1_11comp_targetILNS1_3genE4ELNS1_11target_archE910ELNS1_3gpuE8ELNS1_3repE0EEENS1_38merge_mergepath_config_static_selectorELNS0_4arch9wavefront6targetE0EEEvSG_,comdat
	.protected	_ZN7rocprim17ROCPRIM_400000_NS6detail17trampoline_kernelINS0_14default_configENS1_38merge_sort_block_merge_config_selectorI6__halfNS0_10empty_typeEEEZZNS1_27merge_sort_block_merge_implIS3_PS5_PS6_jNS1_19radix_merge_compareILb1ELb0ES5_NS0_19identity_decomposerEEEEE10hipError_tT0_T1_T2_jT3_P12ihipStream_tbPNSt15iterator_traitsISF_E10value_typeEPNSL_ISG_E10value_typeEPSH_NS1_7vsmem_tEENKUlT_SF_SG_SH_E_clIS9_S9_SA_SA_EESE_SU_SF_SG_SH_EUlSU_E0_NS1_11comp_targetILNS1_3genE4ELNS1_11target_archE910ELNS1_3gpuE8ELNS1_3repE0EEENS1_38merge_mergepath_config_static_selectorELNS0_4arch9wavefront6targetE0EEEvSG_ ; -- Begin function _ZN7rocprim17ROCPRIM_400000_NS6detail17trampoline_kernelINS0_14default_configENS1_38merge_sort_block_merge_config_selectorI6__halfNS0_10empty_typeEEEZZNS1_27merge_sort_block_merge_implIS3_PS5_PS6_jNS1_19radix_merge_compareILb1ELb0ES5_NS0_19identity_decomposerEEEEE10hipError_tT0_T1_T2_jT3_P12ihipStream_tbPNSt15iterator_traitsISF_E10value_typeEPNSL_ISG_E10value_typeEPSH_NS1_7vsmem_tEENKUlT_SF_SG_SH_E_clIS9_S9_SA_SA_EESE_SU_SF_SG_SH_EUlSU_E0_NS1_11comp_targetILNS1_3genE4ELNS1_11target_archE910ELNS1_3gpuE8ELNS1_3repE0EEENS1_38merge_mergepath_config_static_selectorELNS0_4arch9wavefront6targetE0EEEvSG_
	.globl	_ZN7rocprim17ROCPRIM_400000_NS6detail17trampoline_kernelINS0_14default_configENS1_38merge_sort_block_merge_config_selectorI6__halfNS0_10empty_typeEEEZZNS1_27merge_sort_block_merge_implIS3_PS5_PS6_jNS1_19radix_merge_compareILb1ELb0ES5_NS0_19identity_decomposerEEEEE10hipError_tT0_T1_T2_jT3_P12ihipStream_tbPNSt15iterator_traitsISF_E10value_typeEPNSL_ISG_E10value_typeEPSH_NS1_7vsmem_tEENKUlT_SF_SG_SH_E_clIS9_S9_SA_SA_EESE_SU_SF_SG_SH_EUlSU_E0_NS1_11comp_targetILNS1_3genE4ELNS1_11target_archE910ELNS1_3gpuE8ELNS1_3repE0EEENS1_38merge_mergepath_config_static_selectorELNS0_4arch9wavefront6targetE0EEEvSG_
	.p2align	8
	.type	_ZN7rocprim17ROCPRIM_400000_NS6detail17trampoline_kernelINS0_14default_configENS1_38merge_sort_block_merge_config_selectorI6__halfNS0_10empty_typeEEEZZNS1_27merge_sort_block_merge_implIS3_PS5_PS6_jNS1_19radix_merge_compareILb1ELb0ES5_NS0_19identity_decomposerEEEEE10hipError_tT0_T1_T2_jT3_P12ihipStream_tbPNSt15iterator_traitsISF_E10value_typeEPNSL_ISG_E10value_typeEPSH_NS1_7vsmem_tEENKUlT_SF_SG_SH_E_clIS9_S9_SA_SA_EESE_SU_SF_SG_SH_EUlSU_E0_NS1_11comp_targetILNS1_3genE4ELNS1_11target_archE910ELNS1_3gpuE8ELNS1_3repE0EEENS1_38merge_mergepath_config_static_selectorELNS0_4arch9wavefront6targetE0EEEvSG_,@function
_ZN7rocprim17ROCPRIM_400000_NS6detail17trampoline_kernelINS0_14default_configENS1_38merge_sort_block_merge_config_selectorI6__halfNS0_10empty_typeEEEZZNS1_27merge_sort_block_merge_implIS3_PS5_PS6_jNS1_19radix_merge_compareILb1ELb0ES5_NS0_19identity_decomposerEEEEE10hipError_tT0_T1_T2_jT3_P12ihipStream_tbPNSt15iterator_traitsISF_E10value_typeEPNSL_ISG_E10value_typeEPSH_NS1_7vsmem_tEENKUlT_SF_SG_SH_E_clIS9_S9_SA_SA_EESE_SU_SF_SG_SH_EUlSU_E0_NS1_11comp_targetILNS1_3genE4ELNS1_11target_archE910ELNS1_3gpuE8ELNS1_3repE0EEENS1_38merge_mergepath_config_static_selectorELNS0_4arch9wavefront6targetE0EEEvSG_: ; @_ZN7rocprim17ROCPRIM_400000_NS6detail17trampoline_kernelINS0_14default_configENS1_38merge_sort_block_merge_config_selectorI6__halfNS0_10empty_typeEEEZZNS1_27merge_sort_block_merge_implIS3_PS5_PS6_jNS1_19radix_merge_compareILb1ELb0ES5_NS0_19identity_decomposerEEEEE10hipError_tT0_T1_T2_jT3_P12ihipStream_tbPNSt15iterator_traitsISF_E10value_typeEPNSL_ISG_E10value_typeEPSH_NS1_7vsmem_tEENKUlT_SF_SG_SH_E_clIS9_S9_SA_SA_EESE_SU_SF_SG_SH_EUlSU_E0_NS1_11comp_targetILNS1_3genE4ELNS1_11target_archE910ELNS1_3gpuE8ELNS1_3repE0EEENS1_38merge_mergepath_config_static_selectorELNS0_4arch9wavefront6targetE0EEEvSG_
; %bb.0:
	.section	.rodata,"a",@progbits
	.p2align	6, 0x0
	.amdhsa_kernel _ZN7rocprim17ROCPRIM_400000_NS6detail17trampoline_kernelINS0_14default_configENS1_38merge_sort_block_merge_config_selectorI6__halfNS0_10empty_typeEEEZZNS1_27merge_sort_block_merge_implIS3_PS5_PS6_jNS1_19radix_merge_compareILb1ELb0ES5_NS0_19identity_decomposerEEEEE10hipError_tT0_T1_T2_jT3_P12ihipStream_tbPNSt15iterator_traitsISF_E10value_typeEPNSL_ISG_E10value_typeEPSH_NS1_7vsmem_tEENKUlT_SF_SG_SH_E_clIS9_S9_SA_SA_EESE_SU_SF_SG_SH_EUlSU_E0_NS1_11comp_targetILNS1_3genE4ELNS1_11target_archE910ELNS1_3gpuE8ELNS1_3repE0EEENS1_38merge_mergepath_config_static_selectorELNS0_4arch9wavefront6targetE0EEEvSG_
		.amdhsa_group_segment_fixed_size 0
		.amdhsa_private_segment_fixed_size 0
		.amdhsa_kernarg_size 64
		.amdhsa_user_sgpr_count 2
		.amdhsa_user_sgpr_dispatch_ptr 0
		.amdhsa_user_sgpr_queue_ptr 0
		.amdhsa_user_sgpr_kernarg_segment_ptr 1
		.amdhsa_user_sgpr_dispatch_id 0
		.amdhsa_user_sgpr_kernarg_preload_length 0
		.amdhsa_user_sgpr_kernarg_preload_offset 0
		.amdhsa_user_sgpr_private_segment_size 0
		.amdhsa_wavefront_size32 1
		.amdhsa_uses_dynamic_stack 0
		.amdhsa_enable_private_segment 0
		.amdhsa_system_sgpr_workgroup_id_x 1
		.amdhsa_system_sgpr_workgroup_id_y 0
		.amdhsa_system_sgpr_workgroup_id_z 0
		.amdhsa_system_sgpr_workgroup_info 0
		.amdhsa_system_vgpr_workitem_id 0
		.amdhsa_next_free_vgpr 1
		.amdhsa_next_free_sgpr 1
		.amdhsa_named_barrier_count 0
		.amdhsa_reserve_vcc 0
		.amdhsa_float_round_mode_32 0
		.amdhsa_float_round_mode_16_64 0
		.amdhsa_float_denorm_mode_32 3
		.amdhsa_float_denorm_mode_16_64 3
		.amdhsa_fp16_overflow 0
		.amdhsa_memory_ordered 1
		.amdhsa_forward_progress 1
		.amdhsa_inst_pref_size 0
		.amdhsa_round_robin_scheduling 0
		.amdhsa_exception_fp_ieee_invalid_op 0
		.amdhsa_exception_fp_denorm_src 0
		.amdhsa_exception_fp_ieee_div_zero 0
		.amdhsa_exception_fp_ieee_overflow 0
		.amdhsa_exception_fp_ieee_underflow 0
		.amdhsa_exception_fp_ieee_inexact 0
		.amdhsa_exception_int_div_zero 0
	.end_amdhsa_kernel
	.section	.text._ZN7rocprim17ROCPRIM_400000_NS6detail17trampoline_kernelINS0_14default_configENS1_38merge_sort_block_merge_config_selectorI6__halfNS0_10empty_typeEEEZZNS1_27merge_sort_block_merge_implIS3_PS5_PS6_jNS1_19radix_merge_compareILb1ELb0ES5_NS0_19identity_decomposerEEEEE10hipError_tT0_T1_T2_jT3_P12ihipStream_tbPNSt15iterator_traitsISF_E10value_typeEPNSL_ISG_E10value_typeEPSH_NS1_7vsmem_tEENKUlT_SF_SG_SH_E_clIS9_S9_SA_SA_EESE_SU_SF_SG_SH_EUlSU_E0_NS1_11comp_targetILNS1_3genE4ELNS1_11target_archE910ELNS1_3gpuE8ELNS1_3repE0EEENS1_38merge_mergepath_config_static_selectorELNS0_4arch9wavefront6targetE0EEEvSG_,"axG",@progbits,_ZN7rocprim17ROCPRIM_400000_NS6detail17trampoline_kernelINS0_14default_configENS1_38merge_sort_block_merge_config_selectorI6__halfNS0_10empty_typeEEEZZNS1_27merge_sort_block_merge_implIS3_PS5_PS6_jNS1_19radix_merge_compareILb1ELb0ES5_NS0_19identity_decomposerEEEEE10hipError_tT0_T1_T2_jT3_P12ihipStream_tbPNSt15iterator_traitsISF_E10value_typeEPNSL_ISG_E10value_typeEPSH_NS1_7vsmem_tEENKUlT_SF_SG_SH_E_clIS9_S9_SA_SA_EESE_SU_SF_SG_SH_EUlSU_E0_NS1_11comp_targetILNS1_3genE4ELNS1_11target_archE910ELNS1_3gpuE8ELNS1_3repE0EEENS1_38merge_mergepath_config_static_selectorELNS0_4arch9wavefront6targetE0EEEvSG_,comdat
.Lfunc_end2116:
	.size	_ZN7rocprim17ROCPRIM_400000_NS6detail17trampoline_kernelINS0_14default_configENS1_38merge_sort_block_merge_config_selectorI6__halfNS0_10empty_typeEEEZZNS1_27merge_sort_block_merge_implIS3_PS5_PS6_jNS1_19radix_merge_compareILb1ELb0ES5_NS0_19identity_decomposerEEEEE10hipError_tT0_T1_T2_jT3_P12ihipStream_tbPNSt15iterator_traitsISF_E10value_typeEPNSL_ISG_E10value_typeEPSH_NS1_7vsmem_tEENKUlT_SF_SG_SH_E_clIS9_S9_SA_SA_EESE_SU_SF_SG_SH_EUlSU_E0_NS1_11comp_targetILNS1_3genE4ELNS1_11target_archE910ELNS1_3gpuE8ELNS1_3repE0EEENS1_38merge_mergepath_config_static_selectorELNS0_4arch9wavefront6targetE0EEEvSG_, .Lfunc_end2116-_ZN7rocprim17ROCPRIM_400000_NS6detail17trampoline_kernelINS0_14default_configENS1_38merge_sort_block_merge_config_selectorI6__halfNS0_10empty_typeEEEZZNS1_27merge_sort_block_merge_implIS3_PS5_PS6_jNS1_19radix_merge_compareILb1ELb0ES5_NS0_19identity_decomposerEEEEE10hipError_tT0_T1_T2_jT3_P12ihipStream_tbPNSt15iterator_traitsISF_E10value_typeEPNSL_ISG_E10value_typeEPSH_NS1_7vsmem_tEENKUlT_SF_SG_SH_E_clIS9_S9_SA_SA_EESE_SU_SF_SG_SH_EUlSU_E0_NS1_11comp_targetILNS1_3genE4ELNS1_11target_archE910ELNS1_3gpuE8ELNS1_3repE0EEENS1_38merge_mergepath_config_static_selectorELNS0_4arch9wavefront6targetE0EEEvSG_
                                        ; -- End function
	.set _ZN7rocprim17ROCPRIM_400000_NS6detail17trampoline_kernelINS0_14default_configENS1_38merge_sort_block_merge_config_selectorI6__halfNS0_10empty_typeEEEZZNS1_27merge_sort_block_merge_implIS3_PS5_PS6_jNS1_19radix_merge_compareILb1ELb0ES5_NS0_19identity_decomposerEEEEE10hipError_tT0_T1_T2_jT3_P12ihipStream_tbPNSt15iterator_traitsISF_E10value_typeEPNSL_ISG_E10value_typeEPSH_NS1_7vsmem_tEENKUlT_SF_SG_SH_E_clIS9_S9_SA_SA_EESE_SU_SF_SG_SH_EUlSU_E0_NS1_11comp_targetILNS1_3genE4ELNS1_11target_archE910ELNS1_3gpuE8ELNS1_3repE0EEENS1_38merge_mergepath_config_static_selectorELNS0_4arch9wavefront6targetE0EEEvSG_.num_vgpr, 0
	.set _ZN7rocprim17ROCPRIM_400000_NS6detail17trampoline_kernelINS0_14default_configENS1_38merge_sort_block_merge_config_selectorI6__halfNS0_10empty_typeEEEZZNS1_27merge_sort_block_merge_implIS3_PS5_PS6_jNS1_19radix_merge_compareILb1ELb0ES5_NS0_19identity_decomposerEEEEE10hipError_tT0_T1_T2_jT3_P12ihipStream_tbPNSt15iterator_traitsISF_E10value_typeEPNSL_ISG_E10value_typeEPSH_NS1_7vsmem_tEENKUlT_SF_SG_SH_E_clIS9_S9_SA_SA_EESE_SU_SF_SG_SH_EUlSU_E0_NS1_11comp_targetILNS1_3genE4ELNS1_11target_archE910ELNS1_3gpuE8ELNS1_3repE0EEENS1_38merge_mergepath_config_static_selectorELNS0_4arch9wavefront6targetE0EEEvSG_.num_agpr, 0
	.set _ZN7rocprim17ROCPRIM_400000_NS6detail17trampoline_kernelINS0_14default_configENS1_38merge_sort_block_merge_config_selectorI6__halfNS0_10empty_typeEEEZZNS1_27merge_sort_block_merge_implIS3_PS5_PS6_jNS1_19radix_merge_compareILb1ELb0ES5_NS0_19identity_decomposerEEEEE10hipError_tT0_T1_T2_jT3_P12ihipStream_tbPNSt15iterator_traitsISF_E10value_typeEPNSL_ISG_E10value_typeEPSH_NS1_7vsmem_tEENKUlT_SF_SG_SH_E_clIS9_S9_SA_SA_EESE_SU_SF_SG_SH_EUlSU_E0_NS1_11comp_targetILNS1_3genE4ELNS1_11target_archE910ELNS1_3gpuE8ELNS1_3repE0EEENS1_38merge_mergepath_config_static_selectorELNS0_4arch9wavefront6targetE0EEEvSG_.numbered_sgpr, 0
	.set _ZN7rocprim17ROCPRIM_400000_NS6detail17trampoline_kernelINS0_14default_configENS1_38merge_sort_block_merge_config_selectorI6__halfNS0_10empty_typeEEEZZNS1_27merge_sort_block_merge_implIS3_PS5_PS6_jNS1_19radix_merge_compareILb1ELb0ES5_NS0_19identity_decomposerEEEEE10hipError_tT0_T1_T2_jT3_P12ihipStream_tbPNSt15iterator_traitsISF_E10value_typeEPNSL_ISG_E10value_typeEPSH_NS1_7vsmem_tEENKUlT_SF_SG_SH_E_clIS9_S9_SA_SA_EESE_SU_SF_SG_SH_EUlSU_E0_NS1_11comp_targetILNS1_3genE4ELNS1_11target_archE910ELNS1_3gpuE8ELNS1_3repE0EEENS1_38merge_mergepath_config_static_selectorELNS0_4arch9wavefront6targetE0EEEvSG_.num_named_barrier, 0
	.set _ZN7rocprim17ROCPRIM_400000_NS6detail17trampoline_kernelINS0_14default_configENS1_38merge_sort_block_merge_config_selectorI6__halfNS0_10empty_typeEEEZZNS1_27merge_sort_block_merge_implIS3_PS5_PS6_jNS1_19radix_merge_compareILb1ELb0ES5_NS0_19identity_decomposerEEEEE10hipError_tT0_T1_T2_jT3_P12ihipStream_tbPNSt15iterator_traitsISF_E10value_typeEPNSL_ISG_E10value_typeEPSH_NS1_7vsmem_tEENKUlT_SF_SG_SH_E_clIS9_S9_SA_SA_EESE_SU_SF_SG_SH_EUlSU_E0_NS1_11comp_targetILNS1_3genE4ELNS1_11target_archE910ELNS1_3gpuE8ELNS1_3repE0EEENS1_38merge_mergepath_config_static_selectorELNS0_4arch9wavefront6targetE0EEEvSG_.private_seg_size, 0
	.set _ZN7rocprim17ROCPRIM_400000_NS6detail17trampoline_kernelINS0_14default_configENS1_38merge_sort_block_merge_config_selectorI6__halfNS0_10empty_typeEEEZZNS1_27merge_sort_block_merge_implIS3_PS5_PS6_jNS1_19radix_merge_compareILb1ELb0ES5_NS0_19identity_decomposerEEEEE10hipError_tT0_T1_T2_jT3_P12ihipStream_tbPNSt15iterator_traitsISF_E10value_typeEPNSL_ISG_E10value_typeEPSH_NS1_7vsmem_tEENKUlT_SF_SG_SH_E_clIS9_S9_SA_SA_EESE_SU_SF_SG_SH_EUlSU_E0_NS1_11comp_targetILNS1_3genE4ELNS1_11target_archE910ELNS1_3gpuE8ELNS1_3repE0EEENS1_38merge_mergepath_config_static_selectorELNS0_4arch9wavefront6targetE0EEEvSG_.uses_vcc, 0
	.set _ZN7rocprim17ROCPRIM_400000_NS6detail17trampoline_kernelINS0_14default_configENS1_38merge_sort_block_merge_config_selectorI6__halfNS0_10empty_typeEEEZZNS1_27merge_sort_block_merge_implIS3_PS5_PS6_jNS1_19radix_merge_compareILb1ELb0ES5_NS0_19identity_decomposerEEEEE10hipError_tT0_T1_T2_jT3_P12ihipStream_tbPNSt15iterator_traitsISF_E10value_typeEPNSL_ISG_E10value_typeEPSH_NS1_7vsmem_tEENKUlT_SF_SG_SH_E_clIS9_S9_SA_SA_EESE_SU_SF_SG_SH_EUlSU_E0_NS1_11comp_targetILNS1_3genE4ELNS1_11target_archE910ELNS1_3gpuE8ELNS1_3repE0EEENS1_38merge_mergepath_config_static_selectorELNS0_4arch9wavefront6targetE0EEEvSG_.uses_flat_scratch, 0
	.set _ZN7rocprim17ROCPRIM_400000_NS6detail17trampoline_kernelINS0_14default_configENS1_38merge_sort_block_merge_config_selectorI6__halfNS0_10empty_typeEEEZZNS1_27merge_sort_block_merge_implIS3_PS5_PS6_jNS1_19radix_merge_compareILb1ELb0ES5_NS0_19identity_decomposerEEEEE10hipError_tT0_T1_T2_jT3_P12ihipStream_tbPNSt15iterator_traitsISF_E10value_typeEPNSL_ISG_E10value_typeEPSH_NS1_7vsmem_tEENKUlT_SF_SG_SH_E_clIS9_S9_SA_SA_EESE_SU_SF_SG_SH_EUlSU_E0_NS1_11comp_targetILNS1_3genE4ELNS1_11target_archE910ELNS1_3gpuE8ELNS1_3repE0EEENS1_38merge_mergepath_config_static_selectorELNS0_4arch9wavefront6targetE0EEEvSG_.has_dyn_sized_stack, 0
	.set _ZN7rocprim17ROCPRIM_400000_NS6detail17trampoline_kernelINS0_14default_configENS1_38merge_sort_block_merge_config_selectorI6__halfNS0_10empty_typeEEEZZNS1_27merge_sort_block_merge_implIS3_PS5_PS6_jNS1_19radix_merge_compareILb1ELb0ES5_NS0_19identity_decomposerEEEEE10hipError_tT0_T1_T2_jT3_P12ihipStream_tbPNSt15iterator_traitsISF_E10value_typeEPNSL_ISG_E10value_typeEPSH_NS1_7vsmem_tEENKUlT_SF_SG_SH_E_clIS9_S9_SA_SA_EESE_SU_SF_SG_SH_EUlSU_E0_NS1_11comp_targetILNS1_3genE4ELNS1_11target_archE910ELNS1_3gpuE8ELNS1_3repE0EEENS1_38merge_mergepath_config_static_selectorELNS0_4arch9wavefront6targetE0EEEvSG_.has_recursion, 0
	.set _ZN7rocprim17ROCPRIM_400000_NS6detail17trampoline_kernelINS0_14default_configENS1_38merge_sort_block_merge_config_selectorI6__halfNS0_10empty_typeEEEZZNS1_27merge_sort_block_merge_implIS3_PS5_PS6_jNS1_19radix_merge_compareILb1ELb0ES5_NS0_19identity_decomposerEEEEE10hipError_tT0_T1_T2_jT3_P12ihipStream_tbPNSt15iterator_traitsISF_E10value_typeEPNSL_ISG_E10value_typeEPSH_NS1_7vsmem_tEENKUlT_SF_SG_SH_E_clIS9_S9_SA_SA_EESE_SU_SF_SG_SH_EUlSU_E0_NS1_11comp_targetILNS1_3genE4ELNS1_11target_archE910ELNS1_3gpuE8ELNS1_3repE0EEENS1_38merge_mergepath_config_static_selectorELNS0_4arch9wavefront6targetE0EEEvSG_.has_indirect_call, 0
	.section	.AMDGPU.csdata,"",@progbits
; Kernel info:
; codeLenInByte = 0
; TotalNumSgprs: 0
; NumVgprs: 0
; ScratchSize: 0
; MemoryBound: 0
; FloatMode: 240
; IeeeMode: 1
; LDSByteSize: 0 bytes/workgroup (compile time only)
; SGPRBlocks: 0
; VGPRBlocks: 0
; NumSGPRsForWavesPerEU: 1
; NumVGPRsForWavesPerEU: 1
; NamedBarCnt: 0
; Occupancy: 16
; WaveLimiterHint : 0
; COMPUTE_PGM_RSRC2:SCRATCH_EN: 0
; COMPUTE_PGM_RSRC2:USER_SGPR: 2
; COMPUTE_PGM_RSRC2:TRAP_HANDLER: 0
; COMPUTE_PGM_RSRC2:TGID_X_EN: 1
; COMPUTE_PGM_RSRC2:TGID_Y_EN: 0
; COMPUTE_PGM_RSRC2:TGID_Z_EN: 0
; COMPUTE_PGM_RSRC2:TIDIG_COMP_CNT: 0
	.section	.text._ZN7rocprim17ROCPRIM_400000_NS6detail17trampoline_kernelINS0_14default_configENS1_38merge_sort_block_merge_config_selectorI6__halfNS0_10empty_typeEEEZZNS1_27merge_sort_block_merge_implIS3_PS5_PS6_jNS1_19radix_merge_compareILb1ELb0ES5_NS0_19identity_decomposerEEEEE10hipError_tT0_T1_T2_jT3_P12ihipStream_tbPNSt15iterator_traitsISF_E10value_typeEPNSL_ISG_E10value_typeEPSH_NS1_7vsmem_tEENKUlT_SF_SG_SH_E_clIS9_S9_SA_SA_EESE_SU_SF_SG_SH_EUlSU_E0_NS1_11comp_targetILNS1_3genE3ELNS1_11target_archE908ELNS1_3gpuE7ELNS1_3repE0EEENS1_38merge_mergepath_config_static_selectorELNS0_4arch9wavefront6targetE0EEEvSG_,"axG",@progbits,_ZN7rocprim17ROCPRIM_400000_NS6detail17trampoline_kernelINS0_14default_configENS1_38merge_sort_block_merge_config_selectorI6__halfNS0_10empty_typeEEEZZNS1_27merge_sort_block_merge_implIS3_PS5_PS6_jNS1_19radix_merge_compareILb1ELb0ES5_NS0_19identity_decomposerEEEEE10hipError_tT0_T1_T2_jT3_P12ihipStream_tbPNSt15iterator_traitsISF_E10value_typeEPNSL_ISG_E10value_typeEPSH_NS1_7vsmem_tEENKUlT_SF_SG_SH_E_clIS9_S9_SA_SA_EESE_SU_SF_SG_SH_EUlSU_E0_NS1_11comp_targetILNS1_3genE3ELNS1_11target_archE908ELNS1_3gpuE7ELNS1_3repE0EEENS1_38merge_mergepath_config_static_selectorELNS0_4arch9wavefront6targetE0EEEvSG_,comdat
	.protected	_ZN7rocprim17ROCPRIM_400000_NS6detail17trampoline_kernelINS0_14default_configENS1_38merge_sort_block_merge_config_selectorI6__halfNS0_10empty_typeEEEZZNS1_27merge_sort_block_merge_implIS3_PS5_PS6_jNS1_19radix_merge_compareILb1ELb0ES5_NS0_19identity_decomposerEEEEE10hipError_tT0_T1_T2_jT3_P12ihipStream_tbPNSt15iterator_traitsISF_E10value_typeEPNSL_ISG_E10value_typeEPSH_NS1_7vsmem_tEENKUlT_SF_SG_SH_E_clIS9_S9_SA_SA_EESE_SU_SF_SG_SH_EUlSU_E0_NS1_11comp_targetILNS1_3genE3ELNS1_11target_archE908ELNS1_3gpuE7ELNS1_3repE0EEENS1_38merge_mergepath_config_static_selectorELNS0_4arch9wavefront6targetE0EEEvSG_ ; -- Begin function _ZN7rocprim17ROCPRIM_400000_NS6detail17trampoline_kernelINS0_14default_configENS1_38merge_sort_block_merge_config_selectorI6__halfNS0_10empty_typeEEEZZNS1_27merge_sort_block_merge_implIS3_PS5_PS6_jNS1_19radix_merge_compareILb1ELb0ES5_NS0_19identity_decomposerEEEEE10hipError_tT0_T1_T2_jT3_P12ihipStream_tbPNSt15iterator_traitsISF_E10value_typeEPNSL_ISG_E10value_typeEPSH_NS1_7vsmem_tEENKUlT_SF_SG_SH_E_clIS9_S9_SA_SA_EESE_SU_SF_SG_SH_EUlSU_E0_NS1_11comp_targetILNS1_3genE3ELNS1_11target_archE908ELNS1_3gpuE7ELNS1_3repE0EEENS1_38merge_mergepath_config_static_selectorELNS0_4arch9wavefront6targetE0EEEvSG_
	.globl	_ZN7rocprim17ROCPRIM_400000_NS6detail17trampoline_kernelINS0_14default_configENS1_38merge_sort_block_merge_config_selectorI6__halfNS0_10empty_typeEEEZZNS1_27merge_sort_block_merge_implIS3_PS5_PS6_jNS1_19radix_merge_compareILb1ELb0ES5_NS0_19identity_decomposerEEEEE10hipError_tT0_T1_T2_jT3_P12ihipStream_tbPNSt15iterator_traitsISF_E10value_typeEPNSL_ISG_E10value_typeEPSH_NS1_7vsmem_tEENKUlT_SF_SG_SH_E_clIS9_S9_SA_SA_EESE_SU_SF_SG_SH_EUlSU_E0_NS1_11comp_targetILNS1_3genE3ELNS1_11target_archE908ELNS1_3gpuE7ELNS1_3repE0EEENS1_38merge_mergepath_config_static_selectorELNS0_4arch9wavefront6targetE0EEEvSG_
	.p2align	8
	.type	_ZN7rocprim17ROCPRIM_400000_NS6detail17trampoline_kernelINS0_14default_configENS1_38merge_sort_block_merge_config_selectorI6__halfNS0_10empty_typeEEEZZNS1_27merge_sort_block_merge_implIS3_PS5_PS6_jNS1_19radix_merge_compareILb1ELb0ES5_NS0_19identity_decomposerEEEEE10hipError_tT0_T1_T2_jT3_P12ihipStream_tbPNSt15iterator_traitsISF_E10value_typeEPNSL_ISG_E10value_typeEPSH_NS1_7vsmem_tEENKUlT_SF_SG_SH_E_clIS9_S9_SA_SA_EESE_SU_SF_SG_SH_EUlSU_E0_NS1_11comp_targetILNS1_3genE3ELNS1_11target_archE908ELNS1_3gpuE7ELNS1_3repE0EEENS1_38merge_mergepath_config_static_selectorELNS0_4arch9wavefront6targetE0EEEvSG_,@function
_ZN7rocprim17ROCPRIM_400000_NS6detail17trampoline_kernelINS0_14default_configENS1_38merge_sort_block_merge_config_selectorI6__halfNS0_10empty_typeEEEZZNS1_27merge_sort_block_merge_implIS3_PS5_PS6_jNS1_19radix_merge_compareILb1ELb0ES5_NS0_19identity_decomposerEEEEE10hipError_tT0_T1_T2_jT3_P12ihipStream_tbPNSt15iterator_traitsISF_E10value_typeEPNSL_ISG_E10value_typeEPSH_NS1_7vsmem_tEENKUlT_SF_SG_SH_E_clIS9_S9_SA_SA_EESE_SU_SF_SG_SH_EUlSU_E0_NS1_11comp_targetILNS1_3genE3ELNS1_11target_archE908ELNS1_3gpuE7ELNS1_3repE0EEENS1_38merge_mergepath_config_static_selectorELNS0_4arch9wavefront6targetE0EEEvSG_: ; @_ZN7rocprim17ROCPRIM_400000_NS6detail17trampoline_kernelINS0_14default_configENS1_38merge_sort_block_merge_config_selectorI6__halfNS0_10empty_typeEEEZZNS1_27merge_sort_block_merge_implIS3_PS5_PS6_jNS1_19radix_merge_compareILb1ELb0ES5_NS0_19identity_decomposerEEEEE10hipError_tT0_T1_T2_jT3_P12ihipStream_tbPNSt15iterator_traitsISF_E10value_typeEPNSL_ISG_E10value_typeEPSH_NS1_7vsmem_tEENKUlT_SF_SG_SH_E_clIS9_S9_SA_SA_EESE_SU_SF_SG_SH_EUlSU_E0_NS1_11comp_targetILNS1_3genE3ELNS1_11target_archE908ELNS1_3gpuE7ELNS1_3repE0EEENS1_38merge_mergepath_config_static_selectorELNS0_4arch9wavefront6targetE0EEEvSG_
; %bb.0:
	.section	.rodata,"a",@progbits
	.p2align	6, 0x0
	.amdhsa_kernel _ZN7rocprim17ROCPRIM_400000_NS6detail17trampoline_kernelINS0_14default_configENS1_38merge_sort_block_merge_config_selectorI6__halfNS0_10empty_typeEEEZZNS1_27merge_sort_block_merge_implIS3_PS5_PS6_jNS1_19radix_merge_compareILb1ELb0ES5_NS0_19identity_decomposerEEEEE10hipError_tT0_T1_T2_jT3_P12ihipStream_tbPNSt15iterator_traitsISF_E10value_typeEPNSL_ISG_E10value_typeEPSH_NS1_7vsmem_tEENKUlT_SF_SG_SH_E_clIS9_S9_SA_SA_EESE_SU_SF_SG_SH_EUlSU_E0_NS1_11comp_targetILNS1_3genE3ELNS1_11target_archE908ELNS1_3gpuE7ELNS1_3repE0EEENS1_38merge_mergepath_config_static_selectorELNS0_4arch9wavefront6targetE0EEEvSG_
		.amdhsa_group_segment_fixed_size 0
		.amdhsa_private_segment_fixed_size 0
		.amdhsa_kernarg_size 64
		.amdhsa_user_sgpr_count 2
		.amdhsa_user_sgpr_dispatch_ptr 0
		.amdhsa_user_sgpr_queue_ptr 0
		.amdhsa_user_sgpr_kernarg_segment_ptr 1
		.amdhsa_user_sgpr_dispatch_id 0
		.amdhsa_user_sgpr_kernarg_preload_length 0
		.amdhsa_user_sgpr_kernarg_preload_offset 0
		.amdhsa_user_sgpr_private_segment_size 0
		.amdhsa_wavefront_size32 1
		.amdhsa_uses_dynamic_stack 0
		.amdhsa_enable_private_segment 0
		.amdhsa_system_sgpr_workgroup_id_x 1
		.amdhsa_system_sgpr_workgroup_id_y 0
		.amdhsa_system_sgpr_workgroup_id_z 0
		.amdhsa_system_sgpr_workgroup_info 0
		.amdhsa_system_vgpr_workitem_id 0
		.amdhsa_next_free_vgpr 1
		.amdhsa_next_free_sgpr 1
		.amdhsa_named_barrier_count 0
		.amdhsa_reserve_vcc 0
		.amdhsa_float_round_mode_32 0
		.amdhsa_float_round_mode_16_64 0
		.amdhsa_float_denorm_mode_32 3
		.amdhsa_float_denorm_mode_16_64 3
		.amdhsa_fp16_overflow 0
		.amdhsa_memory_ordered 1
		.amdhsa_forward_progress 1
		.amdhsa_inst_pref_size 0
		.amdhsa_round_robin_scheduling 0
		.amdhsa_exception_fp_ieee_invalid_op 0
		.amdhsa_exception_fp_denorm_src 0
		.amdhsa_exception_fp_ieee_div_zero 0
		.amdhsa_exception_fp_ieee_overflow 0
		.amdhsa_exception_fp_ieee_underflow 0
		.amdhsa_exception_fp_ieee_inexact 0
		.amdhsa_exception_int_div_zero 0
	.end_amdhsa_kernel
	.section	.text._ZN7rocprim17ROCPRIM_400000_NS6detail17trampoline_kernelINS0_14default_configENS1_38merge_sort_block_merge_config_selectorI6__halfNS0_10empty_typeEEEZZNS1_27merge_sort_block_merge_implIS3_PS5_PS6_jNS1_19radix_merge_compareILb1ELb0ES5_NS0_19identity_decomposerEEEEE10hipError_tT0_T1_T2_jT3_P12ihipStream_tbPNSt15iterator_traitsISF_E10value_typeEPNSL_ISG_E10value_typeEPSH_NS1_7vsmem_tEENKUlT_SF_SG_SH_E_clIS9_S9_SA_SA_EESE_SU_SF_SG_SH_EUlSU_E0_NS1_11comp_targetILNS1_3genE3ELNS1_11target_archE908ELNS1_3gpuE7ELNS1_3repE0EEENS1_38merge_mergepath_config_static_selectorELNS0_4arch9wavefront6targetE0EEEvSG_,"axG",@progbits,_ZN7rocprim17ROCPRIM_400000_NS6detail17trampoline_kernelINS0_14default_configENS1_38merge_sort_block_merge_config_selectorI6__halfNS0_10empty_typeEEEZZNS1_27merge_sort_block_merge_implIS3_PS5_PS6_jNS1_19radix_merge_compareILb1ELb0ES5_NS0_19identity_decomposerEEEEE10hipError_tT0_T1_T2_jT3_P12ihipStream_tbPNSt15iterator_traitsISF_E10value_typeEPNSL_ISG_E10value_typeEPSH_NS1_7vsmem_tEENKUlT_SF_SG_SH_E_clIS9_S9_SA_SA_EESE_SU_SF_SG_SH_EUlSU_E0_NS1_11comp_targetILNS1_3genE3ELNS1_11target_archE908ELNS1_3gpuE7ELNS1_3repE0EEENS1_38merge_mergepath_config_static_selectorELNS0_4arch9wavefront6targetE0EEEvSG_,comdat
.Lfunc_end2117:
	.size	_ZN7rocprim17ROCPRIM_400000_NS6detail17trampoline_kernelINS0_14default_configENS1_38merge_sort_block_merge_config_selectorI6__halfNS0_10empty_typeEEEZZNS1_27merge_sort_block_merge_implIS3_PS5_PS6_jNS1_19radix_merge_compareILb1ELb0ES5_NS0_19identity_decomposerEEEEE10hipError_tT0_T1_T2_jT3_P12ihipStream_tbPNSt15iterator_traitsISF_E10value_typeEPNSL_ISG_E10value_typeEPSH_NS1_7vsmem_tEENKUlT_SF_SG_SH_E_clIS9_S9_SA_SA_EESE_SU_SF_SG_SH_EUlSU_E0_NS1_11comp_targetILNS1_3genE3ELNS1_11target_archE908ELNS1_3gpuE7ELNS1_3repE0EEENS1_38merge_mergepath_config_static_selectorELNS0_4arch9wavefront6targetE0EEEvSG_, .Lfunc_end2117-_ZN7rocprim17ROCPRIM_400000_NS6detail17trampoline_kernelINS0_14default_configENS1_38merge_sort_block_merge_config_selectorI6__halfNS0_10empty_typeEEEZZNS1_27merge_sort_block_merge_implIS3_PS5_PS6_jNS1_19radix_merge_compareILb1ELb0ES5_NS0_19identity_decomposerEEEEE10hipError_tT0_T1_T2_jT3_P12ihipStream_tbPNSt15iterator_traitsISF_E10value_typeEPNSL_ISG_E10value_typeEPSH_NS1_7vsmem_tEENKUlT_SF_SG_SH_E_clIS9_S9_SA_SA_EESE_SU_SF_SG_SH_EUlSU_E0_NS1_11comp_targetILNS1_3genE3ELNS1_11target_archE908ELNS1_3gpuE7ELNS1_3repE0EEENS1_38merge_mergepath_config_static_selectorELNS0_4arch9wavefront6targetE0EEEvSG_
                                        ; -- End function
	.set _ZN7rocprim17ROCPRIM_400000_NS6detail17trampoline_kernelINS0_14default_configENS1_38merge_sort_block_merge_config_selectorI6__halfNS0_10empty_typeEEEZZNS1_27merge_sort_block_merge_implIS3_PS5_PS6_jNS1_19radix_merge_compareILb1ELb0ES5_NS0_19identity_decomposerEEEEE10hipError_tT0_T1_T2_jT3_P12ihipStream_tbPNSt15iterator_traitsISF_E10value_typeEPNSL_ISG_E10value_typeEPSH_NS1_7vsmem_tEENKUlT_SF_SG_SH_E_clIS9_S9_SA_SA_EESE_SU_SF_SG_SH_EUlSU_E0_NS1_11comp_targetILNS1_3genE3ELNS1_11target_archE908ELNS1_3gpuE7ELNS1_3repE0EEENS1_38merge_mergepath_config_static_selectorELNS0_4arch9wavefront6targetE0EEEvSG_.num_vgpr, 0
	.set _ZN7rocprim17ROCPRIM_400000_NS6detail17trampoline_kernelINS0_14default_configENS1_38merge_sort_block_merge_config_selectorI6__halfNS0_10empty_typeEEEZZNS1_27merge_sort_block_merge_implIS3_PS5_PS6_jNS1_19radix_merge_compareILb1ELb0ES5_NS0_19identity_decomposerEEEEE10hipError_tT0_T1_T2_jT3_P12ihipStream_tbPNSt15iterator_traitsISF_E10value_typeEPNSL_ISG_E10value_typeEPSH_NS1_7vsmem_tEENKUlT_SF_SG_SH_E_clIS9_S9_SA_SA_EESE_SU_SF_SG_SH_EUlSU_E0_NS1_11comp_targetILNS1_3genE3ELNS1_11target_archE908ELNS1_3gpuE7ELNS1_3repE0EEENS1_38merge_mergepath_config_static_selectorELNS0_4arch9wavefront6targetE0EEEvSG_.num_agpr, 0
	.set _ZN7rocprim17ROCPRIM_400000_NS6detail17trampoline_kernelINS0_14default_configENS1_38merge_sort_block_merge_config_selectorI6__halfNS0_10empty_typeEEEZZNS1_27merge_sort_block_merge_implIS3_PS5_PS6_jNS1_19radix_merge_compareILb1ELb0ES5_NS0_19identity_decomposerEEEEE10hipError_tT0_T1_T2_jT3_P12ihipStream_tbPNSt15iterator_traitsISF_E10value_typeEPNSL_ISG_E10value_typeEPSH_NS1_7vsmem_tEENKUlT_SF_SG_SH_E_clIS9_S9_SA_SA_EESE_SU_SF_SG_SH_EUlSU_E0_NS1_11comp_targetILNS1_3genE3ELNS1_11target_archE908ELNS1_3gpuE7ELNS1_3repE0EEENS1_38merge_mergepath_config_static_selectorELNS0_4arch9wavefront6targetE0EEEvSG_.numbered_sgpr, 0
	.set _ZN7rocprim17ROCPRIM_400000_NS6detail17trampoline_kernelINS0_14default_configENS1_38merge_sort_block_merge_config_selectorI6__halfNS0_10empty_typeEEEZZNS1_27merge_sort_block_merge_implIS3_PS5_PS6_jNS1_19radix_merge_compareILb1ELb0ES5_NS0_19identity_decomposerEEEEE10hipError_tT0_T1_T2_jT3_P12ihipStream_tbPNSt15iterator_traitsISF_E10value_typeEPNSL_ISG_E10value_typeEPSH_NS1_7vsmem_tEENKUlT_SF_SG_SH_E_clIS9_S9_SA_SA_EESE_SU_SF_SG_SH_EUlSU_E0_NS1_11comp_targetILNS1_3genE3ELNS1_11target_archE908ELNS1_3gpuE7ELNS1_3repE0EEENS1_38merge_mergepath_config_static_selectorELNS0_4arch9wavefront6targetE0EEEvSG_.num_named_barrier, 0
	.set _ZN7rocprim17ROCPRIM_400000_NS6detail17trampoline_kernelINS0_14default_configENS1_38merge_sort_block_merge_config_selectorI6__halfNS0_10empty_typeEEEZZNS1_27merge_sort_block_merge_implIS3_PS5_PS6_jNS1_19radix_merge_compareILb1ELb0ES5_NS0_19identity_decomposerEEEEE10hipError_tT0_T1_T2_jT3_P12ihipStream_tbPNSt15iterator_traitsISF_E10value_typeEPNSL_ISG_E10value_typeEPSH_NS1_7vsmem_tEENKUlT_SF_SG_SH_E_clIS9_S9_SA_SA_EESE_SU_SF_SG_SH_EUlSU_E0_NS1_11comp_targetILNS1_3genE3ELNS1_11target_archE908ELNS1_3gpuE7ELNS1_3repE0EEENS1_38merge_mergepath_config_static_selectorELNS0_4arch9wavefront6targetE0EEEvSG_.private_seg_size, 0
	.set _ZN7rocprim17ROCPRIM_400000_NS6detail17trampoline_kernelINS0_14default_configENS1_38merge_sort_block_merge_config_selectorI6__halfNS0_10empty_typeEEEZZNS1_27merge_sort_block_merge_implIS3_PS5_PS6_jNS1_19radix_merge_compareILb1ELb0ES5_NS0_19identity_decomposerEEEEE10hipError_tT0_T1_T2_jT3_P12ihipStream_tbPNSt15iterator_traitsISF_E10value_typeEPNSL_ISG_E10value_typeEPSH_NS1_7vsmem_tEENKUlT_SF_SG_SH_E_clIS9_S9_SA_SA_EESE_SU_SF_SG_SH_EUlSU_E0_NS1_11comp_targetILNS1_3genE3ELNS1_11target_archE908ELNS1_3gpuE7ELNS1_3repE0EEENS1_38merge_mergepath_config_static_selectorELNS0_4arch9wavefront6targetE0EEEvSG_.uses_vcc, 0
	.set _ZN7rocprim17ROCPRIM_400000_NS6detail17trampoline_kernelINS0_14default_configENS1_38merge_sort_block_merge_config_selectorI6__halfNS0_10empty_typeEEEZZNS1_27merge_sort_block_merge_implIS3_PS5_PS6_jNS1_19radix_merge_compareILb1ELb0ES5_NS0_19identity_decomposerEEEEE10hipError_tT0_T1_T2_jT3_P12ihipStream_tbPNSt15iterator_traitsISF_E10value_typeEPNSL_ISG_E10value_typeEPSH_NS1_7vsmem_tEENKUlT_SF_SG_SH_E_clIS9_S9_SA_SA_EESE_SU_SF_SG_SH_EUlSU_E0_NS1_11comp_targetILNS1_3genE3ELNS1_11target_archE908ELNS1_3gpuE7ELNS1_3repE0EEENS1_38merge_mergepath_config_static_selectorELNS0_4arch9wavefront6targetE0EEEvSG_.uses_flat_scratch, 0
	.set _ZN7rocprim17ROCPRIM_400000_NS6detail17trampoline_kernelINS0_14default_configENS1_38merge_sort_block_merge_config_selectorI6__halfNS0_10empty_typeEEEZZNS1_27merge_sort_block_merge_implIS3_PS5_PS6_jNS1_19radix_merge_compareILb1ELb0ES5_NS0_19identity_decomposerEEEEE10hipError_tT0_T1_T2_jT3_P12ihipStream_tbPNSt15iterator_traitsISF_E10value_typeEPNSL_ISG_E10value_typeEPSH_NS1_7vsmem_tEENKUlT_SF_SG_SH_E_clIS9_S9_SA_SA_EESE_SU_SF_SG_SH_EUlSU_E0_NS1_11comp_targetILNS1_3genE3ELNS1_11target_archE908ELNS1_3gpuE7ELNS1_3repE0EEENS1_38merge_mergepath_config_static_selectorELNS0_4arch9wavefront6targetE0EEEvSG_.has_dyn_sized_stack, 0
	.set _ZN7rocprim17ROCPRIM_400000_NS6detail17trampoline_kernelINS0_14default_configENS1_38merge_sort_block_merge_config_selectorI6__halfNS0_10empty_typeEEEZZNS1_27merge_sort_block_merge_implIS3_PS5_PS6_jNS1_19radix_merge_compareILb1ELb0ES5_NS0_19identity_decomposerEEEEE10hipError_tT0_T1_T2_jT3_P12ihipStream_tbPNSt15iterator_traitsISF_E10value_typeEPNSL_ISG_E10value_typeEPSH_NS1_7vsmem_tEENKUlT_SF_SG_SH_E_clIS9_S9_SA_SA_EESE_SU_SF_SG_SH_EUlSU_E0_NS1_11comp_targetILNS1_3genE3ELNS1_11target_archE908ELNS1_3gpuE7ELNS1_3repE0EEENS1_38merge_mergepath_config_static_selectorELNS0_4arch9wavefront6targetE0EEEvSG_.has_recursion, 0
	.set _ZN7rocprim17ROCPRIM_400000_NS6detail17trampoline_kernelINS0_14default_configENS1_38merge_sort_block_merge_config_selectorI6__halfNS0_10empty_typeEEEZZNS1_27merge_sort_block_merge_implIS3_PS5_PS6_jNS1_19radix_merge_compareILb1ELb0ES5_NS0_19identity_decomposerEEEEE10hipError_tT0_T1_T2_jT3_P12ihipStream_tbPNSt15iterator_traitsISF_E10value_typeEPNSL_ISG_E10value_typeEPSH_NS1_7vsmem_tEENKUlT_SF_SG_SH_E_clIS9_S9_SA_SA_EESE_SU_SF_SG_SH_EUlSU_E0_NS1_11comp_targetILNS1_3genE3ELNS1_11target_archE908ELNS1_3gpuE7ELNS1_3repE0EEENS1_38merge_mergepath_config_static_selectorELNS0_4arch9wavefront6targetE0EEEvSG_.has_indirect_call, 0
	.section	.AMDGPU.csdata,"",@progbits
; Kernel info:
; codeLenInByte = 0
; TotalNumSgprs: 0
; NumVgprs: 0
; ScratchSize: 0
; MemoryBound: 0
; FloatMode: 240
; IeeeMode: 1
; LDSByteSize: 0 bytes/workgroup (compile time only)
; SGPRBlocks: 0
; VGPRBlocks: 0
; NumSGPRsForWavesPerEU: 1
; NumVGPRsForWavesPerEU: 1
; NamedBarCnt: 0
; Occupancy: 16
; WaveLimiterHint : 0
; COMPUTE_PGM_RSRC2:SCRATCH_EN: 0
; COMPUTE_PGM_RSRC2:USER_SGPR: 2
; COMPUTE_PGM_RSRC2:TRAP_HANDLER: 0
; COMPUTE_PGM_RSRC2:TGID_X_EN: 1
; COMPUTE_PGM_RSRC2:TGID_Y_EN: 0
; COMPUTE_PGM_RSRC2:TGID_Z_EN: 0
; COMPUTE_PGM_RSRC2:TIDIG_COMP_CNT: 0
	.section	.text._ZN7rocprim17ROCPRIM_400000_NS6detail17trampoline_kernelINS0_14default_configENS1_38merge_sort_block_merge_config_selectorI6__halfNS0_10empty_typeEEEZZNS1_27merge_sort_block_merge_implIS3_PS5_PS6_jNS1_19radix_merge_compareILb1ELb0ES5_NS0_19identity_decomposerEEEEE10hipError_tT0_T1_T2_jT3_P12ihipStream_tbPNSt15iterator_traitsISF_E10value_typeEPNSL_ISG_E10value_typeEPSH_NS1_7vsmem_tEENKUlT_SF_SG_SH_E_clIS9_S9_SA_SA_EESE_SU_SF_SG_SH_EUlSU_E0_NS1_11comp_targetILNS1_3genE2ELNS1_11target_archE906ELNS1_3gpuE6ELNS1_3repE0EEENS1_38merge_mergepath_config_static_selectorELNS0_4arch9wavefront6targetE0EEEvSG_,"axG",@progbits,_ZN7rocprim17ROCPRIM_400000_NS6detail17trampoline_kernelINS0_14default_configENS1_38merge_sort_block_merge_config_selectorI6__halfNS0_10empty_typeEEEZZNS1_27merge_sort_block_merge_implIS3_PS5_PS6_jNS1_19radix_merge_compareILb1ELb0ES5_NS0_19identity_decomposerEEEEE10hipError_tT0_T1_T2_jT3_P12ihipStream_tbPNSt15iterator_traitsISF_E10value_typeEPNSL_ISG_E10value_typeEPSH_NS1_7vsmem_tEENKUlT_SF_SG_SH_E_clIS9_S9_SA_SA_EESE_SU_SF_SG_SH_EUlSU_E0_NS1_11comp_targetILNS1_3genE2ELNS1_11target_archE906ELNS1_3gpuE6ELNS1_3repE0EEENS1_38merge_mergepath_config_static_selectorELNS0_4arch9wavefront6targetE0EEEvSG_,comdat
	.protected	_ZN7rocprim17ROCPRIM_400000_NS6detail17trampoline_kernelINS0_14default_configENS1_38merge_sort_block_merge_config_selectorI6__halfNS0_10empty_typeEEEZZNS1_27merge_sort_block_merge_implIS3_PS5_PS6_jNS1_19radix_merge_compareILb1ELb0ES5_NS0_19identity_decomposerEEEEE10hipError_tT0_T1_T2_jT3_P12ihipStream_tbPNSt15iterator_traitsISF_E10value_typeEPNSL_ISG_E10value_typeEPSH_NS1_7vsmem_tEENKUlT_SF_SG_SH_E_clIS9_S9_SA_SA_EESE_SU_SF_SG_SH_EUlSU_E0_NS1_11comp_targetILNS1_3genE2ELNS1_11target_archE906ELNS1_3gpuE6ELNS1_3repE0EEENS1_38merge_mergepath_config_static_selectorELNS0_4arch9wavefront6targetE0EEEvSG_ ; -- Begin function _ZN7rocprim17ROCPRIM_400000_NS6detail17trampoline_kernelINS0_14default_configENS1_38merge_sort_block_merge_config_selectorI6__halfNS0_10empty_typeEEEZZNS1_27merge_sort_block_merge_implIS3_PS5_PS6_jNS1_19radix_merge_compareILb1ELb0ES5_NS0_19identity_decomposerEEEEE10hipError_tT0_T1_T2_jT3_P12ihipStream_tbPNSt15iterator_traitsISF_E10value_typeEPNSL_ISG_E10value_typeEPSH_NS1_7vsmem_tEENKUlT_SF_SG_SH_E_clIS9_S9_SA_SA_EESE_SU_SF_SG_SH_EUlSU_E0_NS1_11comp_targetILNS1_3genE2ELNS1_11target_archE906ELNS1_3gpuE6ELNS1_3repE0EEENS1_38merge_mergepath_config_static_selectorELNS0_4arch9wavefront6targetE0EEEvSG_
	.globl	_ZN7rocprim17ROCPRIM_400000_NS6detail17trampoline_kernelINS0_14default_configENS1_38merge_sort_block_merge_config_selectorI6__halfNS0_10empty_typeEEEZZNS1_27merge_sort_block_merge_implIS3_PS5_PS6_jNS1_19radix_merge_compareILb1ELb0ES5_NS0_19identity_decomposerEEEEE10hipError_tT0_T1_T2_jT3_P12ihipStream_tbPNSt15iterator_traitsISF_E10value_typeEPNSL_ISG_E10value_typeEPSH_NS1_7vsmem_tEENKUlT_SF_SG_SH_E_clIS9_S9_SA_SA_EESE_SU_SF_SG_SH_EUlSU_E0_NS1_11comp_targetILNS1_3genE2ELNS1_11target_archE906ELNS1_3gpuE6ELNS1_3repE0EEENS1_38merge_mergepath_config_static_selectorELNS0_4arch9wavefront6targetE0EEEvSG_
	.p2align	8
	.type	_ZN7rocprim17ROCPRIM_400000_NS6detail17trampoline_kernelINS0_14default_configENS1_38merge_sort_block_merge_config_selectorI6__halfNS0_10empty_typeEEEZZNS1_27merge_sort_block_merge_implIS3_PS5_PS6_jNS1_19radix_merge_compareILb1ELb0ES5_NS0_19identity_decomposerEEEEE10hipError_tT0_T1_T2_jT3_P12ihipStream_tbPNSt15iterator_traitsISF_E10value_typeEPNSL_ISG_E10value_typeEPSH_NS1_7vsmem_tEENKUlT_SF_SG_SH_E_clIS9_S9_SA_SA_EESE_SU_SF_SG_SH_EUlSU_E0_NS1_11comp_targetILNS1_3genE2ELNS1_11target_archE906ELNS1_3gpuE6ELNS1_3repE0EEENS1_38merge_mergepath_config_static_selectorELNS0_4arch9wavefront6targetE0EEEvSG_,@function
_ZN7rocprim17ROCPRIM_400000_NS6detail17trampoline_kernelINS0_14default_configENS1_38merge_sort_block_merge_config_selectorI6__halfNS0_10empty_typeEEEZZNS1_27merge_sort_block_merge_implIS3_PS5_PS6_jNS1_19radix_merge_compareILb1ELb0ES5_NS0_19identity_decomposerEEEEE10hipError_tT0_T1_T2_jT3_P12ihipStream_tbPNSt15iterator_traitsISF_E10value_typeEPNSL_ISG_E10value_typeEPSH_NS1_7vsmem_tEENKUlT_SF_SG_SH_E_clIS9_S9_SA_SA_EESE_SU_SF_SG_SH_EUlSU_E0_NS1_11comp_targetILNS1_3genE2ELNS1_11target_archE906ELNS1_3gpuE6ELNS1_3repE0EEENS1_38merge_mergepath_config_static_selectorELNS0_4arch9wavefront6targetE0EEEvSG_: ; @_ZN7rocprim17ROCPRIM_400000_NS6detail17trampoline_kernelINS0_14default_configENS1_38merge_sort_block_merge_config_selectorI6__halfNS0_10empty_typeEEEZZNS1_27merge_sort_block_merge_implIS3_PS5_PS6_jNS1_19radix_merge_compareILb1ELb0ES5_NS0_19identity_decomposerEEEEE10hipError_tT0_T1_T2_jT3_P12ihipStream_tbPNSt15iterator_traitsISF_E10value_typeEPNSL_ISG_E10value_typeEPSH_NS1_7vsmem_tEENKUlT_SF_SG_SH_E_clIS9_S9_SA_SA_EESE_SU_SF_SG_SH_EUlSU_E0_NS1_11comp_targetILNS1_3genE2ELNS1_11target_archE906ELNS1_3gpuE6ELNS1_3repE0EEENS1_38merge_mergepath_config_static_selectorELNS0_4arch9wavefront6targetE0EEEvSG_
; %bb.0:
	.section	.rodata,"a",@progbits
	.p2align	6, 0x0
	.amdhsa_kernel _ZN7rocprim17ROCPRIM_400000_NS6detail17trampoline_kernelINS0_14default_configENS1_38merge_sort_block_merge_config_selectorI6__halfNS0_10empty_typeEEEZZNS1_27merge_sort_block_merge_implIS3_PS5_PS6_jNS1_19radix_merge_compareILb1ELb0ES5_NS0_19identity_decomposerEEEEE10hipError_tT0_T1_T2_jT3_P12ihipStream_tbPNSt15iterator_traitsISF_E10value_typeEPNSL_ISG_E10value_typeEPSH_NS1_7vsmem_tEENKUlT_SF_SG_SH_E_clIS9_S9_SA_SA_EESE_SU_SF_SG_SH_EUlSU_E0_NS1_11comp_targetILNS1_3genE2ELNS1_11target_archE906ELNS1_3gpuE6ELNS1_3repE0EEENS1_38merge_mergepath_config_static_selectorELNS0_4arch9wavefront6targetE0EEEvSG_
		.amdhsa_group_segment_fixed_size 0
		.amdhsa_private_segment_fixed_size 0
		.amdhsa_kernarg_size 64
		.amdhsa_user_sgpr_count 2
		.amdhsa_user_sgpr_dispatch_ptr 0
		.amdhsa_user_sgpr_queue_ptr 0
		.amdhsa_user_sgpr_kernarg_segment_ptr 1
		.amdhsa_user_sgpr_dispatch_id 0
		.amdhsa_user_sgpr_kernarg_preload_length 0
		.amdhsa_user_sgpr_kernarg_preload_offset 0
		.amdhsa_user_sgpr_private_segment_size 0
		.amdhsa_wavefront_size32 1
		.amdhsa_uses_dynamic_stack 0
		.amdhsa_enable_private_segment 0
		.amdhsa_system_sgpr_workgroup_id_x 1
		.amdhsa_system_sgpr_workgroup_id_y 0
		.amdhsa_system_sgpr_workgroup_id_z 0
		.amdhsa_system_sgpr_workgroup_info 0
		.amdhsa_system_vgpr_workitem_id 0
		.amdhsa_next_free_vgpr 1
		.amdhsa_next_free_sgpr 1
		.amdhsa_named_barrier_count 0
		.amdhsa_reserve_vcc 0
		.amdhsa_float_round_mode_32 0
		.amdhsa_float_round_mode_16_64 0
		.amdhsa_float_denorm_mode_32 3
		.amdhsa_float_denorm_mode_16_64 3
		.amdhsa_fp16_overflow 0
		.amdhsa_memory_ordered 1
		.amdhsa_forward_progress 1
		.amdhsa_inst_pref_size 0
		.amdhsa_round_robin_scheduling 0
		.amdhsa_exception_fp_ieee_invalid_op 0
		.amdhsa_exception_fp_denorm_src 0
		.amdhsa_exception_fp_ieee_div_zero 0
		.amdhsa_exception_fp_ieee_overflow 0
		.amdhsa_exception_fp_ieee_underflow 0
		.amdhsa_exception_fp_ieee_inexact 0
		.amdhsa_exception_int_div_zero 0
	.end_amdhsa_kernel
	.section	.text._ZN7rocprim17ROCPRIM_400000_NS6detail17trampoline_kernelINS0_14default_configENS1_38merge_sort_block_merge_config_selectorI6__halfNS0_10empty_typeEEEZZNS1_27merge_sort_block_merge_implIS3_PS5_PS6_jNS1_19radix_merge_compareILb1ELb0ES5_NS0_19identity_decomposerEEEEE10hipError_tT0_T1_T2_jT3_P12ihipStream_tbPNSt15iterator_traitsISF_E10value_typeEPNSL_ISG_E10value_typeEPSH_NS1_7vsmem_tEENKUlT_SF_SG_SH_E_clIS9_S9_SA_SA_EESE_SU_SF_SG_SH_EUlSU_E0_NS1_11comp_targetILNS1_3genE2ELNS1_11target_archE906ELNS1_3gpuE6ELNS1_3repE0EEENS1_38merge_mergepath_config_static_selectorELNS0_4arch9wavefront6targetE0EEEvSG_,"axG",@progbits,_ZN7rocprim17ROCPRIM_400000_NS6detail17trampoline_kernelINS0_14default_configENS1_38merge_sort_block_merge_config_selectorI6__halfNS0_10empty_typeEEEZZNS1_27merge_sort_block_merge_implIS3_PS5_PS6_jNS1_19radix_merge_compareILb1ELb0ES5_NS0_19identity_decomposerEEEEE10hipError_tT0_T1_T2_jT3_P12ihipStream_tbPNSt15iterator_traitsISF_E10value_typeEPNSL_ISG_E10value_typeEPSH_NS1_7vsmem_tEENKUlT_SF_SG_SH_E_clIS9_S9_SA_SA_EESE_SU_SF_SG_SH_EUlSU_E0_NS1_11comp_targetILNS1_3genE2ELNS1_11target_archE906ELNS1_3gpuE6ELNS1_3repE0EEENS1_38merge_mergepath_config_static_selectorELNS0_4arch9wavefront6targetE0EEEvSG_,comdat
.Lfunc_end2118:
	.size	_ZN7rocprim17ROCPRIM_400000_NS6detail17trampoline_kernelINS0_14default_configENS1_38merge_sort_block_merge_config_selectorI6__halfNS0_10empty_typeEEEZZNS1_27merge_sort_block_merge_implIS3_PS5_PS6_jNS1_19radix_merge_compareILb1ELb0ES5_NS0_19identity_decomposerEEEEE10hipError_tT0_T1_T2_jT3_P12ihipStream_tbPNSt15iterator_traitsISF_E10value_typeEPNSL_ISG_E10value_typeEPSH_NS1_7vsmem_tEENKUlT_SF_SG_SH_E_clIS9_S9_SA_SA_EESE_SU_SF_SG_SH_EUlSU_E0_NS1_11comp_targetILNS1_3genE2ELNS1_11target_archE906ELNS1_3gpuE6ELNS1_3repE0EEENS1_38merge_mergepath_config_static_selectorELNS0_4arch9wavefront6targetE0EEEvSG_, .Lfunc_end2118-_ZN7rocprim17ROCPRIM_400000_NS6detail17trampoline_kernelINS0_14default_configENS1_38merge_sort_block_merge_config_selectorI6__halfNS0_10empty_typeEEEZZNS1_27merge_sort_block_merge_implIS3_PS5_PS6_jNS1_19radix_merge_compareILb1ELb0ES5_NS0_19identity_decomposerEEEEE10hipError_tT0_T1_T2_jT3_P12ihipStream_tbPNSt15iterator_traitsISF_E10value_typeEPNSL_ISG_E10value_typeEPSH_NS1_7vsmem_tEENKUlT_SF_SG_SH_E_clIS9_S9_SA_SA_EESE_SU_SF_SG_SH_EUlSU_E0_NS1_11comp_targetILNS1_3genE2ELNS1_11target_archE906ELNS1_3gpuE6ELNS1_3repE0EEENS1_38merge_mergepath_config_static_selectorELNS0_4arch9wavefront6targetE0EEEvSG_
                                        ; -- End function
	.set _ZN7rocprim17ROCPRIM_400000_NS6detail17trampoline_kernelINS0_14default_configENS1_38merge_sort_block_merge_config_selectorI6__halfNS0_10empty_typeEEEZZNS1_27merge_sort_block_merge_implIS3_PS5_PS6_jNS1_19radix_merge_compareILb1ELb0ES5_NS0_19identity_decomposerEEEEE10hipError_tT0_T1_T2_jT3_P12ihipStream_tbPNSt15iterator_traitsISF_E10value_typeEPNSL_ISG_E10value_typeEPSH_NS1_7vsmem_tEENKUlT_SF_SG_SH_E_clIS9_S9_SA_SA_EESE_SU_SF_SG_SH_EUlSU_E0_NS1_11comp_targetILNS1_3genE2ELNS1_11target_archE906ELNS1_3gpuE6ELNS1_3repE0EEENS1_38merge_mergepath_config_static_selectorELNS0_4arch9wavefront6targetE0EEEvSG_.num_vgpr, 0
	.set _ZN7rocprim17ROCPRIM_400000_NS6detail17trampoline_kernelINS0_14default_configENS1_38merge_sort_block_merge_config_selectorI6__halfNS0_10empty_typeEEEZZNS1_27merge_sort_block_merge_implIS3_PS5_PS6_jNS1_19radix_merge_compareILb1ELb0ES5_NS0_19identity_decomposerEEEEE10hipError_tT0_T1_T2_jT3_P12ihipStream_tbPNSt15iterator_traitsISF_E10value_typeEPNSL_ISG_E10value_typeEPSH_NS1_7vsmem_tEENKUlT_SF_SG_SH_E_clIS9_S9_SA_SA_EESE_SU_SF_SG_SH_EUlSU_E0_NS1_11comp_targetILNS1_3genE2ELNS1_11target_archE906ELNS1_3gpuE6ELNS1_3repE0EEENS1_38merge_mergepath_config_static_selectorELNS0_4arch9wavefront6targetE0EEEvSG_.num_agpr, 0
	.set _ZN7rocprim17ROCPRIM_400000_NS6detail17trampoline_kernelINS0_14default_configENS1_38merge_sort_block_merge_config_selectorI6__halfNS0_10empty_typeEEEZZNS1_27merge_sort_block_merge_implIS3_PS5_PS6_jNS1_19radix_merge_compareILb1ELb0ES5_NS0_19identity_decomposerEEEEE10hipError_tT0_T1_T2_jT3_P12ihipStream_tbPNSt15iterator_traitsISF_E10value_typeEPNSL_ISG_E10value_typeEPSH_NS1_7vsmem_tEENKUlT_SF_SG_SH_E_clIS9_S9_SA_SA_EESE_SU_SF_SG_SH_EUlSU_E0_NS1_11comp_targetILNS1_3genE2ELNS1_11target_archE906ELNS1_3gpuE6ELNS1_3repE0EEENS1_38merge_mergepath_config_static_selectorELNS0_4arch9wavefront6targetE0EEEvSG_.numbered_sgpr, 0
	.set _ZN7rocprim17ROCPRIM_400000_NS6detail17trampoline_kernelINS0_14default_configENS1_38merge_sort_block_merge_config_selectorI6__halfNS0_10empty_typeEEEZZNS1_27merge_sort_block_merge_implIS3_PS5_PS6_jNS1_19radix_merge_compareILb1ELb0ES5_NS0_19identity_decomposerEEEEE10hipError_tT0_T1_T2_jT3_P12ihipStream_tbPNSt15iterator_traitsISF_E10value_typeEPNSL_ISG_E10value_typeEPSH_NS1_7vsmem_tEENKUlT_SF_SG_SH_E_clIS9_S9_SA_SA_EESE_SU_SF_SG_SH_EUlSU_E0_NS1_11comp_targetILNS1_3genE2ELNS1_11target_archE906ELNS1_3gpuE6ELNS1_3repE0EEENS1_38merge_mergepath_config_static_selectorELNS0_4arch9wavefront6targetE0EEEvSG_.num_named_barrier, 0
	.set _ZN7rocprim17ROCPRIM_400000_NS6detail17trampoline_kernelINS0_14default_configENS1_38merge_sort_block_merge_config_selectorI6__halfNS0_10empty_typeEEEZZNS1_27merge_sort_block_merge_implIS3_PS5_PS6_jNS1_19radix_merge_compareILb1ELb0ES5_NS0_19identity_decomposerEEEEE10hipError_tT0_T1_T2_jT3_P12ihipStream_tbPNSt15iterator_traitsISF_E10value_typeEPNSL_ISG_E10value_typeEPSH_NS1_7vsmem_tEENKUlT_SF_SG_SH_E_clIS9_S9_SA_SA_EESE_SU_SF_SG_SH_EUlSU_E0_NS1_11comp_targetILNS1_3genE2ELNS1_11target_archE906ELNS1_3gpuE6ELNS1_3repE0EEENS1_38merge_mergepath_config_static_selectorELNS0_4arch9wavefront6targetE0EEEvSG_.private_seg_size, 0
	.set _ZN7rocprim17ROCPRIM_400000_NS6detail17trampoline_kernelINS0_14default_configENS1_38merge_sort_block_merge_config_selectorI6__halfNS0_10empty_typeEEEZZNS1_27merge_sort_block_merge_implIS3_PS5_PS6_jNS1_19radix_merge_compareILb1ELb0ES5_NS0_19identity_decomposerEEEEE10hipError_tT0_T1_T2_jT3_P12ihipStream_tbPNSt15iterator_traitsISF_E10value_typeEPNSL_ISG_E10value_typeEPSH_NS1_7vsmem_tEENKUlT_SF_SG_SH_E_clIS9_S9_SA_SA_EESE_SU_SF_SG_SH_EUlSU_E0_NS1_11comp_targetILNS1_3genE2ELNS1_11target_archE906ELNS1_3gpuE6ELNS1_3repE0EEENS1_38merge_mergepath_config_static_selectorELNS0_4arch9wavefront6targetE0EEEvSG_.uses_vcc, 0
	.set _ZN7rocprim17ROCPRIM_400000_NS6detail17trampoline_kernelINS0_14default_configENS1_38merge_sort_block_merge_config_selectorI6__halfNS0_10empty_typeEEEZZNS1_27merge_sort_block_merge_implIS3_PS5_PS6_jNS1_19radix_merge_compareILb1ELb0ES5_NS0_19identity_decomposerEEEEE10hipError_tT0_T1_T2_jT3_P12ihipStream_tbPNSt15iterator_traitsISF_E10value_typeEPNSL_ISG_E10value_typeEPSH_NS1_7vsmem_tEENKUlT_SF_SG_SH_E_clIS9_S9_SA_SA_EESE_SU_SF_SG_SH_EUlSU_E0_NS1_11comp_targetILNS1_3genE2ELNS1_11target_archE906ELNS1_3gpuE6ELNS1_3repE0EEENS1_38merge_mergepath_config_static_selectorELNS0_4arch9wavefront6targetE0EEEvSG_.uses_flat_scratch, 0
	.set _ZN7rocprim17ROCPRIM_400000_NS6detail17trampoline_kernelINS0_14default_configENS1_38merge_sort_block_merge_config_selectorI6__halfNS0_10empty_typeEEEZZNS1_27merge_sort_block_merge_implIS3_PS5_PS6_jNS1_19radix_merge_compareILb1ELb0ES5_NS0_19identity_decomposerEEEEE10hipError_tT0_T1_T2_jT3_P12ihipStream_tbPNSt15iterator_traitsISF_E10value_typeEPNSL_ISG_E10value_typeEPSH_NS1_7vsmem_tEENKUlT_SF_SG_SH_E_clIS9_S9_SA_SA_EESE_SU_SF_SG_SH_EUlSU_E0_NS1_11comp_targetILNS1_3genE2ELNS1_11target_archE906ELNS1_3gpuE6ELNS1_3repE0EEENS1_38merge_mergepath_config_static_selectorELNS0_4arch9wavefront6targetE0EEEvSG_.has_dyn_sized_stack, 0
	.set _ZN7rocprim17ROCPRIM_400000_NS6detail17trampoline_kernelINS0_14default_configENS1_38merge_sort_block_merge_config_selectorI6__halfNS0_10empty_typeEEEZZNS1_27merge_sort_block_merge_implIS3_PS5_PS6_jNS1_19radix_merge_compareILb1ELb0ES5_NS0_19identity_decomposerEEEEE10hipError_tT0_T1_T2_jT3_P12ihipStream_tbPNSt15iterator_traitsISF_E10value_typeEPNSL_ISG_E10value_typeEPSH_NS1_7vsmem_tEENKUlT_SF_SG_SH_E_clIS9_S9_SA_SA_EESE_SU_SF_SG_SH_EUlSU_E0_NS1_11comp_targetILNS1_3genE2ELNS1_11target_archE906ELNS1_3gpuE6ELNS1_3repE0EEENS1_38merge_mergepath_config_static_selectorELNS0_4arch9wavefront6targetE0EEEvSG_.has_recursion, 0
	.set _ZN7rocprim17ROCPRIM_400000_NS6detail17trampoline_kernelINS0_14default_configENS1_38merge_sort_block_merge_config_selectorI6__halfNS0_10empty_typeEEEZZNS1_27merge_sort_block_merge_implIS3_PS5_PS6_jNS1_19radix_merge_compareILb1ELb0ES5_NS0_19identity_decomposerEEEEE10hipError_tT0_T1_T2_jT3_P12ihipStream_tbPNSt15iterator_traitsISF_E10value_typeEPNSL_ISG_E10value_typeEPSH_NS1_7vsmem_tEENKUlT_SF_SG_SH_E_clIS9_S9_SA_SA_EESE_SU_SF_SG_SH_EUlSU_E0_NS1_11comp_targetILNS1_3genE2ELNS1_11target_archE906ELNS1_3gpuE6ELNS1_3repE0EEENS1_38merge_mergepath_config_static_selectorELNS0_4arch9wavefront6targetE0EEEvSG_.has_indirect_call, 0
	.section	.AMDGPU.csdata,"",@progbits
; Kernel info:
; codeLenInByte = 0
; TotalNumSgprs: 0
; NumVgprs: 0
; ScratchSize: 0
; MemoryBound: 0
; FloatMode: 240
; IeeeMode: 1
; LDSByteSize: 0 bytes/workgroup (compile time only)
; SGPRBlocks: 0
; VGPRBlocks: 0
; NumSGPRsForWavesPerEU: 1
; NumVGPRsForWavesPerEU: 1
; NamedBarCnt: 0
; Occupancy: 16
; WaveLimiterHint : 0
; COMPUTE_PGM_RSRC2:SCRATCH_EN: 0
; COMPUTE_PGM_RSRC2:USER_SGPR: 2
; COMPUTE_PGM_RSRC2:TRAP_HANDLER: 0
; COMPUTE_PGM_RSRC2:TGID_X_EN: 1
; COMPUTE_PGM_RSRC2:TGID_Y_EN: 0
; COMPUTE_PGM_RSRC2:TGID_Z_EN: 0
; COMPUTE_PGM_RSRC2:TIDIG_COMP_CNT: 0
	.section	.text._ZN7rocprim17ROCPRIM_400000_NS6detail17trampoline_kernelINS0_14default_configENS1_38merge_sort_block_merge_config_selectorI6__halfNS0_10empty_typeEEEZZNS1_27merge_sort_block_merge_implIS3_PS5_PS6_jNS1_19radix_merge_compareILb1ELb0ES5_NS0_19identity_decomposerEEEEE10hipError_tT0_T1_T2_jT3_P12ihipStream_tbPNSt15iterator_traitsISF_E10value_typeEPNSL_ISG_E10value_typeEPSH_NS1_7vsmem_tEENKUlT_SF_SG_SH_E_clIS9_S9_SA_SA_EESE_SU_SF_SG_SH_EUlSU_E0_NS1_11comp_targetILNS1_3genE9ELNS1_11target_archE1100ELNS1_3gpuE3ELNS1_3repE0EEENS1_38merge_mergepath_config_static_selectorELNS0_4arch9wavefront6targetE0EEEvSG_,"axG",@progbits,_ZN7rocprim17ROCPRIM_400000_NS6detail17trampoline_kernelINS0_14default_configENS1_38merge_sort_block_merge_config_selectorI6__halfNS0_10empty_typeEEEZZNS1_27merge_sort_block_merge_implIS3_PS5_PS6_jNS1_19radix_merge_compareILb1ELb0ES5_NS0_19identity_decomposerEEEEE10hipError_tT0_T1_T2_jT3_P12ihipStream_tbPNSt15iterator_traitsISF_E10value_typeEPNSL_ISG_E10value_typeEPSH_NS1_7vsmem_tEENKUlT_SF_SG_SH_E_clIS9_S9_SA_SA_EESE_SU_SF_SG_SH_EUlSU_E0_NS1_11comp_targetILNS1_3genE9ELNS1_11target_archE1100ELNS1_3gpuE3ELNS1_3repE0EEENS1_38merge_mergepath_config_static_selectorELNS0_4arch9wavefront6targetE0EEEvSG_,comdat
	.protected	_ZN7rocprim17ROCPRIM_400000_NS6detail17trampoline_kernelINS0_14default_configENS1_38merge_sort_block_merge_config_selectorI6__halfNS0_10empty_typeEEEZZNS1_27merge_sort_block_merge_implIS3_PS5_PS6_jNS1_19radix_merge_compareILb1ELb0ES5_NS0_19identity_decomposerEEEEE10hipError_tT0_T1_T2_jT3_P12ihipStream_tbPNSt15iterator_traitsISF_E10value_typeEPNSL_ISG_E10value_typeEPSH_NS1_7vsmem_tEENKUlT_SF_SG_SH_E_clIS9_S9_SA_SA_EESE_SU_SF_SG_SH_EUlSU_E0_NS1_11comp_targetILNS1_3genE9ELNS1_11target_archE1100ELNS1_3gpuE3ELNS1_3repE0EEENS1_38merge_mergepath_config_static_selectorELNS0_4arch9wavefront6targetE0EEEvSG_ ; -- Begin function _ZN7rocprim17ROCPRIM_400000_NS6detail17trampoline_kernelINS0_14default_configENS1_38merge_sort_block_merge_config_selectorI6__halfNS0_10empty_typeEEEZZNS1_27merge_sort_block_merge_implIS3_PS5_PS6_jNS1_19radix_merge_compareILb1ELb0ES5_NS0_19identity_decomposerEEEEE10hipError_tT0_T1_T2_jT3_P12ihipStream_tbPNSt15iterator_traitsISF_E10value_typeEPNSL_ISG_E10value_typeEPSH_NS1_7vsmem_tEENKUlT_SF_SG_SH_E_clIS9_S9_SA_SA_EESE_SU_SF_SG_SH_EUlSU_E0_NS1_11comp_targetILNS1_3genE9ELNS1_11target_archE1100ELNS1_3gpuE3ELNS1_3repE0EEENS1_38merge_mergepath_config_static_selectorELNS0_4arch9wavefront6targetE0EEEvSG_
	.globl	_ZN7rocprim17ROCPRIM_400000_NS6detail17trampoline_kernelINS0_14default_configENS1_38merge_sort_block_merge_config_selectorI6__halfNS0_10empty_typeEEEZZNS1_27merge_sort_block_merge_implIS3_PS5_PS6_jNS1_19radix_merge_compareILb1ELb0ES5_NS0_19identity_decomposerEEEEE10hipError_tT0_T1_T2_jT3_P12ihipStream_tbPNSt15iterator_traitsISF_E10value_typeEPNSL_ISG_E10value_typeEPSH_NS1_7vsmem_tEENKUlT_SF_SG_SH_E_clIS9_S9_SA_SA_EESE_SU_SF_SG_SH_EUlSU_E0_NS1_11comp_targetILNS1_3genE9ELNS1_11target_archE1100ELNS1_3gpuE3ELNS1_3repE0EEENS1_38merge_mergepath_config_static_selectorELNS0_4arch9wavefront6targetE0EEEvSG_
	.p2align	8
	.type	_ZN7rocprim17ROCPRIM_400000_NS6detail17trampoline_kernelINS0_14default_configENS1_38merge_sort_block_merge_config_selectorI6__halfNS0_10empty_typeEEEZZNS1_27merge_sort_block_merge_implIS3_PS5_PS6_jNS1_19radix_merge_compareILb1ELb0ES5_NS0_19identity_decomposerEEEEE10hipError_tT0_T1_T2_jT3_P12ihipStream_tbPNSt15iterator_traitsISF_E10value_typeEPNSL_ISG_E10value_typeEPSH_NS1_7vsmem_tEENKUlT_SF_SG_SH_E_clIS9_S9_SA_SA_EESE_SU_SF_SG_SH_EUlSU_E0_NS1_11comp_targetILNS1_3genE9ELNS1_11target_archE1100ELNS1_3gpuE3ELNS1_3repE0EEENS1_38merge_mergepath_config_static_selectorELNS0_4arch9wavefront6targetE0EEEvSG_,@function
_ZN7rocprim17ROCPRIM_400000_NS6detail17trampoline_kernelINS0_14default_configENS1_38merge_sort_block_merge_config_selectorI6__halfNS0_10empty_typeEEEZZNS1_27merge_sort_block_merge_implIS3_PS5_PS6_jNS1_19radix_merge_compareILb1ELb0ES5_NS0_19identity_decomposerEEEEE10hipError_tT0_T1_T2_jT3_P12ihipStream_tbPNSt15iterator_traitsISF_E10value_typeEPNSL_ISG_E10value_typeEPSH_NS1_7vsmem_tEENKUlT_SF_SG_SH_E_clIS9_S9_SA_SA_EESE_SU_SF_SG_SH_EUlSU_E0_NS1_11comp_targetILNS1_3genE9ELNS1_11target_archE1100ELNS1_3gpuE3ELNS1_3repE0EEENS1_38merge_mergepath_config_static_selectorELNS0_4arch9wavefront6targetE0EEEvSG_: ; @_ZN7rocprim17ROCPRIM_400000_NS6detail17trampoline_kernelINS0_14default_configENS1_38merge_sort_block_merge_config_selectorI6__halfNS0_10empty_typeEEEZZNS1_27merge_sort_block_merge_implIS3_PS5_PS6_jNS1_19radix_merge_compareILb1ELb0ES5_NS0_19identity_decomposerEEEEE10hipError_tT0_T1_T2_jT3_P12ihipStream_tbPNSt15iterator_traitsISF_E10value_typeEPNSL_ISG_E10value_typeEPSH_NS1_7vsmem_tEENKUlT_SF_SG_SH_E_clIS9_S9_SA_SA_EESE_SU_SF_SG_SH_EUlSU_E0_NS1_11comp_targetILNS1_3genE9ELNS1_11target_archE1100ELNS1_3gpuE3ELNS1_3repE0EEENS1_38merge_mergepath_config_static_selectorELNS0_4arch9wavefront6targetE0EEEvSG_
; %bb.0:
	.section	.rodata,"a",@progbits
	.p2align	6, 0x0
	.amdhsa_kernel _ZN7rocprim17ROCPRIM_400000_NS6detail17trampoline_kernelINS0_14default_configENS1_38merge_sort_block_merge_config_selectorI6__halfNS0_10empty_typeEEEZZNS1_27merge_sort_block_merge_implIS3_PS5_PS6_jNS1_19radix_merge_compareILb1ELb0ES5_NS0_19identity_decomposerEEEEE10hipError_tT0_T1_T2_jT3_P12ihipStream_tbPNSt15iterator_traitsISF_E10value_typeEPNSL_ISG_E10value_typeEPSH_NS1_7vsmem_tEENKUlT_SF_SG_SH_E_clIS9_S9_SA_SA_EESE_SU_SF_SG_SH_EUlSU_E0_NS1_11comp_targetILNS1_3genE9ELNS1_11target_archE1100ELNS1_3gpuE3ELNS1_3repE0EEENS1_38merge_mergepath_config_static_selectorELNS0_4arch9wavefront6targetE0EEEvSG_
		.amdhsa_group_segment_fixed_size 0
		.amdhsa_private_segment_fixed_size 0
		.amdhsa_kernarg_size 64
		.amdhsa_user_sgpr_count 2
		.amdhsa_user_sgpr_dispatch_ptr 0
		.amdhsa_user_sgpr_queue_ptr 0
		.amdhsa_user_sgpr_kernarg_segment_ptr 1
		.amdhsa_user_sgpr_dispatch_id 0
		.amdhsa_user_sgpr_kernarg_preload_length 0
		.amdhsa_user_sgpr_kernarg_preload_offset 0
		.amdhsa_user_sgpr_private_segment_size 0
		.amdhsa_wavefront_size32 1
		.amdhsa_uses_dynamic_stack 0
		.amdhsa_enable_private_segment 0
		.amdhsa_system_sgpr_workgroup_id_x 1
		.amdhsa_system_sgpr_workgroup_id_y 0
		.amdhsa_system_sgpr_workgroup_id_z 0
		.amdhsa_system_sgpr_workgroup_info 0
		.amdhsa_system_vgpr_workitem_id 0
		.amdhsa_next_free_vgpr 1
		.amdhsa_next_free_sgpr 1
		.amdhsa_named_barrier_count 0
		.amdhsa_reserve_vcc 0
		.amdhsa_float_round_mode_32 0
		.amdhsa_float_round_mode_16_64 0
		.amdhsa_float_denorm_mode_32 3
		.amdhsa_float_denorm_mode_16_64 3
		.amdhsa_fp16_overflow 0
		.amdhsa_memory_ordered 1
		.amdhsa_forward_progress 1
		.amdhsa_inst_pref_size 0
		.amdhsa_round_robin_scheduling 0
		.amdhsa_exception_fp_ieee_invalid_op 0
		.amdhsa_exception_fp_denorm_src 0
		.amdhsa_exception_fp_ieee_div_zero 0
		.amdhsa_exception_fp_ieee_overflow 0
		.amdhsa_exception_fp_ieee_underflow 0
		.amdhsa_exception_fp_ieee_inexact 0
		.amdhsa_exception_int_div_zero 0
	.end_amdhsa_kernel
	.section	.text._ZN7rocprim17ROCPRIM_400000_NS6detail17trampoline_kernelINS0_14default_configENS1_38merge_sort_block_merge_config_selectorI6__halfNS0_10empty_typeEEEZZNS1_27merge_sort_block_merge_implIS3_PS5_PS6_jNS1_19radix_merge_compareILb1ELb0ES5_NS0_19identity_decomposerEEEEE10hipError_tT0_T1_T2_jT3_P12ihipStream_tbPNSt15iterator_traitsISF_E10value_typeEPNSL_ISG_E10value_typeEPSH_NS1_7vsmem_tEENKUlT_SF_SG_SH_E_clIS9_S9_SA_SA_EESE_SU_SF_SG_SH_EUlSU_E0_NS1_11comp_targetILNS1_3genE9ELNS1_11target_archE1100ELNS1_3gpuE3ELNS1_3repE0EEENS1_38merge_mergepath_config_static_selectorELNS0_4arch9wavefront6targetE0EEEvSG_,"axG",@progbits,_ZN7rocprim17ROCPRIM_400000_NS6detail17trampoline_kernelINS0_14default_configENS1_38merge_sort_block_merge_config_selectorI6__halfNS0_10empty_typeEEEZZNS1_27merge_sort_block_merge_implIS3_PS5_PS6_jNS1_19radix_merge_compareILb1ELb0ES5_NS0_19identity_decomposerEEEEE10hipError_tT0_T1_T2_jT3_P12ihipStream_tbPNSt15iterator_traitsISF_E10value_typeEPNSL_ISG_E10value_typeEPSH_NS1_7vsmem_tEENKUlT_SF_SG_SH_E_clIS9_S9_SA_SA_EESE_SU_SF_SG_SH_EUlSU_E0_NS1_11comp_targetILNS1_3genE9ELNS1_11target_archE1100ELNS1_3gpuE3ELNS1_3repE0EEENS1_38merge_mergepath_config_static_selectorELNS0_4arch9wavefront6targetE0EEEvSG_,comdat
.Lfunc_end2119:
	.size	_ZN7rocprim17ROCPRIM_400000_NS6detail17trampoline_kernelINS0_14default_configENS1_38merge_sort_block_merge_config_selectorI6__halfNS0_10empty_typeEEEZZNS1_27merge_sort_block_merge_implIS3_PS5_PS6_jNS1_19radix_merge_compareILb1ELb0ES5_NS0_19identity_decomposerEEEEE10hipError_tT0_T1_T2_jT3_P12ihipStream_tbPNSt15iterator_traitsISF_E10value_typeEPNSL_ISG_E10value_typeEPSH_NS1_7vsmem_tEENKUlT_SF_SG_SH_E_clIS9_S9_SA_SA_EESE_SU_SF_SG_SH_EUlSU_E0_NS1_11comp_targetILNS1_3genE9ELNS1_11target_archE1100ELNS1_3gpuE3ELNS1_3repE0EEENS1_38merge_mergepath_config_static_selectorELNS0_4arch9wavefront6targetE0EEEvSG_, .Lfunc_end2119-_ZN7rocprim17ROCPRIM_400000_NS6detail17trampoline_kernelINS0_14default_configENS1_38merge_sort_block_merge_config_selectorI6__halfNS0_10empty_typeEEEZZNS1_27merge_sort_block_merge_implIS3_PS5_PS6_jNS1_19radix_merge_compareILb1ELb0ES5_NS0_19identity_decomposerEEEEE10hipError_tT0_T1_T2_jT3_P12ihipStream_tbPNSt15iterator_traitsISF_E10value_typeEPNSL_ISG_E10value_typeEPSH_NS1_7vsmem_tEENKUlT_SF_SG_SH_E_clIS9_S9_SA_SA_EESE_SU_SF_SG_SH_EUlSU_E0_NS1_11comp_targetILNS1_3genE9ELNS1_11target_archE1100ELNS1_3gpuE3ELNS1_3repE0EEENS1_38merge_mergepath_config_static_selectorELNS0_4arch9wavefront6targetE0EEEvSG_
                                        ; -- End function
	.set _ZN7rocprim17ROCPRIM_400000_NS6detail17trampoline_kernelINS0_14default_configENS1_38merge_sort_block_merge_config_selectorI6__halfNS0_10empty_typeEEEZZNS1_27merge_sort_block_merge_implIS3_PS5_PS6_jNS1_19radix_merge_compareILb1ELb0ES5_NS0_19identity_decomposerEEEEE10hipError_tT0_T1_T2_jT3_P12ihipStream_tbPNSt15iterator_traitsISF_E10value_typeEPNSL_ISG_E10value_typeEPSH_NS1_7vsmem_tEENKUlT_SF_SG_SH_E_clIS9_S9_SA_SA_EESE_SU_SF_SG_SH_EUlSU_E0_NS1_11comp_targetILNS1_3genE9ELNS1_11target_archE1100ELNS1_3gpuE3ELNS1_3repE0EEENS1_38merge_mergepath_config_static_selectorELNS0_4arch9wavefront6targetE0EEEvSG_.num_vgpr, 0
	.set _ZN7rocprim17ROCPRIM_400000_NS6detail17trampoline_kernelINS0_14default_configENS1_38merge_sort_block_merge_config_selectorI6__halfNS0_10empty_typeEEEZZNS1_27merge_sort_block_merge_implIS3_PS5_PS6_jNS1_19radix_merge_compareILb1ELb0ES5_NS0_19identity_decomposerEEEEE10hipError_tT0_T1_T2_jT3_P12ihipStream_tbPNSt15iterator_traitsISF_E10value_typeEPNSL_ISG_E10value_typeEPSH_NS1_7vsmem_tEENKUlT_SF_SG_SH_E_clIS9_S9_SA_SA_EESE_SU_SF_SG_SH_EUlSU_E0_NS1_11comp_targetILNS1_3genE9ELNS1_11target_archE1100ELNS1_3gpuE3ELNS1_3repE0EEENS1_38merge_mergepath_config_static_selectorELNS0_4arch9wavefront6targetE0EEEvSG_.num_agpr, 0
	.set _ZN7rocprim17ROCPRIM_400000_NS6detail17trampoline_kernelINS0_14default_configENS1_38merge_sort_block_merge_config_selectorI6__halfNS0_10empty_typeEEEZZNS1_27merge_sort_block_merge_implIS3_PS5_PS6_jNS1_19radix_merge_compareILb1ELb0ES5_NS0_19identity_decomposerEEEEE10hipError_tT0_T1_T2_jT3_P12ihipStream_tbPNSt15iterator_traitsISF_E10value_typeEPNSL_ISG_E10value_typeEPSH_NS1_7vsmem_tEENKUlT_SF_SG_SH_E_clIS9_S9_SA_SA_EESE_SU_SF_SG_SH_EUlSU_E0_NS1_11comp_targetILNS1_3genE9ELNS1_11target_archE1100ELNS1_3gpuE3ELNS1_3repE0EEENS1_38merge_mergepath_config_static_selectorELNS0_4arch9wavefront6targetE0EEEvSG_.numbered_sgpr, 0
	.set _ZN7rocprim17ROCPRIM_400000_NS6detail17trampoline_kernelINS0_14default_configENS1_38merge_sort_block_merge_config_selectorI6__halfNS0_10empty_typeEEEZZNS1_27merge_sort_block_merge_implIS3_PS5_PS6_jNS1_19radix_merge_compareILb1ELb0ES5_NS0_19identity_decomposerEEEEE10hipError_tT0_T1_T2_jT3_P12ihipStream_tbPNSt15iterator_traitsISF_E10value_typeEPNSL_ISG_E10value_typeEPSH_NS1_7vsmem_tEENKUlT_SF_SG_SH_E_clIS9_S9_SA_SA_EESE_SU_SF_SG_SH_EUlSU_E0_NS1_11comp_targetILNS1_3genE9ELNS1_11target_archE1100ELNS1_3gpuE3ELNS1_3repE0EEENS1_38merge_mergepath_config_static_selectorELNS0_4arch9wavefront6targetE0EEEvSG_.num_named_barrier, 0
	.set _ZN7rocprim17ROCPRIM_400000_NS6detail17trampoline_kernelINS0_14default_configENS1_38merge_sort_block_merge_config_selectorI6__halfNS0_10empty_typeEEEZZNS1_27merge_sort_block_merge_implIS3_PS5_PS6_jNS1_19radix_merge_compareILb1ELb0ES5_NS0_19identity_decomposerEEEEE10hipError_tT0_T1_T2_jT3_P12ihipStream_tbPNSt15iterator_traitsISF_E10value_typeEPNSL_ISG_E10value_typeEPSH_NS1_7vsmem_tEENKUlT_SF_SG_SH_E_clIS9_S9_SA_SA_EESE_SU_SF_SG_SH_EUlSU_E0_NS1_11comp_targetILNS1_3genE9ELNS1_11target_archE1100ELNS1_3gpuE3ELNS1_3repE0EEENS1_38merge_mergepath_config_static_selectorELNS0_4arch9wavefront6targetE0EEEvSG_.private_seg_size, 0
	.set _ZN7rocprim17ROCPRIM_400000_NS6detail17trampoline_kernelINS0_14default_configENS1_38merge_sort_block_merge_config_selectorI6__halfNS0_10empty_typeEEEZZNS1_27merge_sort_block_merge_implIS3_PS5_PS6_jNS1_19radix_merge_compareILb1ELb0ES5_NS0_19identity_decomposerEEEEE10hipError_tT0_T1_T2_jT3_P12ihipStream_tbPNSt15iterator_traitsISF_E10value_typeEPNSL_ISG_E10value_typeEPSH_NS1_7vsmem_tEENKUlT_SF_SG_SH_E_clIS9_S9_SA_SA_EESE_SU_SF_SG_SH_EUlSU_E0_NS1_11comp_targetILNS1_3genE9ELNS1_11target_archE1100ELNS1_3gpuE3ELNS1_3repE0EEENS1_38merge_mergepath_config_static_selectorELNS0_4arch9wavefront6targetE0EEEvSG_.uses_vcc, 0
	.set _ZN7rocprim17ROCPRIM_400000_NS6detail17trampoline_kernelINS0_14default_configENS1_38merge_sort_block_merge_config_selectorI6__halfNS0_10empty_typeEEEZZNS1_27merge_sort_block_merge_implIS3_PS5_PS6_jNS1_19radix_merge_compareILb1ELb0ES5_NS0_19identity_decomposerEEEEE10hipError_tT0_T1_T2_jT3_P12ihipStream_tbPNSt15iterator_traitsISF_E10value_typeEPNSL_ISG_E10value_typeEPSH_NS1_7vsmem_tEENKUlT_SF_SG_SH_E_clIS9_S9_SA_SA_EESE_SU_SF_SG_SH_EUlSU_E0_NS1_11comp_targetILNS1_3genE9ELNS1_11target_archE1100ELNS1_3gpuE3ELNS1_3repE0EEENS1_38merge_mergepath_config_static_selectorELNS0_4arch9wavefront6targetE0EEEvSG_.uses_flat_scratch, 0
	.set _ZN7rocprim17ROCPRIM_400000_NS6detail17trampoline_kernelINS0_14default_configENS1_38merge_sort_block_merge_config_selectorI6__halfNS0_10empty_typeEEEZZNS1_27merge_sort_block_merge_implIS3_PS5_PS6_jNS1_19radix_merge_compareILb1ELb0ES5_NS0_19identity_decomposerEEEEE10hipError_tT0_T1_T2_jT3_P12ihipStream_tbPNSt15iterator_traitsISF_E10value_typeEPNSL_ISG_E10value_typeEPSH_NS1_7vsmem_tEENKUlT_SF_SG_SH_E_clIS9_S9_SA_SA_EESE_SU_SF_SG_SH_EUlSU_E0_NS1_11comp_targetILNS1_3genE9ELNS1_11target_archE1100ELNS1_3gpuE3ELNS1_3repE0EEENS1_38merge_mergepath_config_static_selectorELNS0_4arch9wavefront6targetE0EEEvSG_.has_dyn_sized_stack, 0
	.set _ZN7rocprim17ROCPRIM_400000_NS6detail17trampoline_kernelINS0_14default_configENS1_38merge_sort_block_merge_config_selectorI6__halfNS0_10empty_typeEEEZZNS1_27merge_sort_block_merge_implIS3_PS5_PS6_jNS1_19radix_merge_compareILb1ELb0ES5_NS0_19identity_decomposerEEEEE10hipError_tT0_T1_T2_jT3_P12ihipStream_tbPNSt15iterator_traitsISF_E10value_typeEPNSL_ISG_E10value_typeEPSH_NS1_7vsmem_tEENKUlT_SF_SG_SH_E_clIS9_S9_SA_SA_EESE_SU_SF_SG_SH_EUlSU_E0_NS1_11comp_targetILNS1_3genE9ELNS1_11target_archE1100ELNS1_3gpuE3ELNS1_3repE0EEENS1_38merge_mergepath_config_static_selectorELNS0_4arch9wavefront6targetE0EEEvSG_.has_recursion, 0
	.set _ZN7rocprim17ROCPRIM_400000_NS6detail17trampoline_kernelINS0_14default_configENS1_38merge_sort_block_merge_config_selectorI6__halfNS0_10empty_typeEEEZZNS1_27merge_sort_block_merge_implIS3_PS5_PS6_jNS1_19radix_merge_compareILb1ELb0ES5_NS0_19identity_decomposerEEEEE10hipError_tT0_T1_T2_jT3_P12ihipStream_tbPNSt15iterator_traitsISF_E10value_typeEPNSL_ISG_E10value_typeEPSH_NS1_7vsmem_tEENKUlT_SF_SG_SH_E_clIS9_S9_SA_SA_EESE_SU_SF_SG_SH_EUlSU_E0_NS1_11comp_targetILNS1_3genE9ELNS1_11target_archE1100ELNS1_3gpuE3ELNS1_3repE0EEENS1_38merge_mergepath_config_static_selectorELNS0_4arch9wavefront6targetE0EEEvSG_.has_indirect_call, 0
	.section	.AMDGPU.csdata,"",@progbits
; Kernel info:
; codeLenInByte = 0
; TotalNumSgprs: 0
; NumVgprs: 0
; ScratchSize: 0
; MemoryBound: 0
; FloatMode: 240
; IeeeMode: 1
; LDSByteSize: 0 bytes/workgroup (compile time only)
; SGPRBlocks: 0
; VGPRBlocks: 0
; NumSGPRsForWavesPerEU: 1
; NumVGPRsForWavesPerEU: 1
; NamedBarCnt: 0
; Occupancy: 16
; WaveLimiterHint : 0
; COMPUTE_PGM_RSRC2:SCRATCH_EN: 0
; COMPUTE_PGM_RSRC2:USER_SGPR: 2
; COMPUTE_PGM_RSRC2:TRAP_HANDLER: 0
; COMPUTE_PGM_RSRC2:TGID_X_EN: 1
; COMPUTE_PGM_RSRC2:TGID_Y_EN: 0
; COMPUTE_PGM_RSRC2:TGID_Z_EN: 0
; COMPUTE_PGM_RSRC2:TIDIG_COMP_CNT: 0
	.section	.text._ZN7rocprim17ROCPRIM_400000_NS6detail17trampoline_kernelINS0_14default_configENS1_38merge_sort_block_merge_config_selectorI6__halfNS0_10empty_typeEEEZZNS1_27merge_sort_block_merge_implIS3_PS5_PS6_jNS1_19radix_merge_compareILb1ELb0ES5_NS0_19identity_decomposerEEEEE10hipError_tT0_T1_T2_jT3_P12ihipStream_tbPNSt15iterator_traitsISF_E10value_typeEPNSL_ISG_E10value_typeEPSH_NS1_7vsmem_tEENKUlT_SF_SG_SH_E_clIS9_S9_SA_SA_EESE_SU_SF_SG_SH_EUlSU_E0_NS1_11comp_targetILNS1_3genE8ELNS1_11target_archE1030ELNS1_3gpuE2ELNS1_3repE0EEENS1_38merge_mergepath_config_static_selectorELNS0_4arch9wavefront6targetE0EEEvSG_,"axG",@progbits,_ZN7rocprim17ROCPRIM_400000_NS6detail17trampoline_kernelINS0_14default_configENS1_38merge_sort_block_merge_config_selectorI6__halfNS0_10empty_typeEEEZZNS1_27merge_sort_block_merge_implIS3_PS5_PS6_jNS1_19radix_merge_compareILb1ELb0ES5_NS0_19identity_decomposerEEEEE10hipError_tT0_T1_T2_jT3_P12ihipStream_tbPNSt15iterator_traitsISF_E10value_typeEPNSL_ISG_E10value_typeEPSH_NS1_7vsmem_tEENKUlT_SF_SG_SH_E_clIS9_S9_SA_SA_EESE_SU_SF_SG_SH_EUlSU_E0_NS1_11comp_targetILNS1_3genE8ELNS1_11target_archE1030ELNS1_3gpuE2ELNS1_3repE0EEENS1_38merge_mergepath_config_static_selectorELNS0_4arch9wavefront6targetE0EEEvSG_,comdat
	.protected	_ZN7rocprim17ROCPRIM_400000_NS6detail17trampoline_kernelINS0_14default_configENS1_38merge_sort_block_merge_config_selectorI6__halfNS0_10empty_typeEEEZZNS1_27merge_sort_block_merge_implIS3_PS5_PS6_jNS1_19radix_merge_compareILb1ELb0ES5_NS0_19identity_decomposerEEEEE10hipError_tT0_T1_T2_jT3_P12ihipStream_tbPNSt15iterator_traitsISF_E10value_typeEPNSL_ISG_E10value_typeEPSH_NS1_7vsmem_tEENKUlT_SF_SG_SH_E_clIS9_S9_SA_SA_EESE_SU_SF_SG_SH_EUlSU_E0_NS1_11comp_targetILNS1_3genE8ELNS1_11target_archE1030ELNS1_3gpuE2ELNS1_3repE0EEENS1_38merge_mergepath_config_static_selectorELNS0_4arch9wavefront6targetE0EEEvSG_ ; -- Begin function _ZN7rocprim17ROCPRIM_400000_NS6detail17trampoline_kernelINS0_14default_configENS1_38merge_sort_block_merge_config_selectorI6__halfNS0_10empty_typeEEEZZNS1_27merge_sort_block_merge_implIS3_PS5_PS6_jNS1_19radix_merge_compareILb1ELb0ES5_NS0_19identity_decomposerEEEEE10hipError_tT0_T1_T2_jT3_P12ihipStream_tbPNSt15iterator_traitsISF_E10value_typeEPNSL_ISG_E10value_typeEPSH_NS1_7vsmem_tEENKUlT_SF_SG_SH_E_clIS9_S9_SA_SA_EESE_SU_SF_SG_SH_EUlSU_E0_NS1_11comp_targetILNS1_3genE8ELNS1_11target_archE1030ELNS1_3gpuE2ELNS1_3repE0EEENS1_38merge_mergepath_config_static_selectorELNS0_4arch9wavefront6targetE0EEEvSG_
	.globl	_ZN7rocprim17ROCPRIM_400000_NS6detail17trampoline_kernelINS0_14default_configENS1_38merge_sort_block_merge_config_selectorI6__halfNS0_10empty_typeEEEZZNS1_27merge_sort_block_merge_implIS3_PS5_PS6_jNS1_19radix_merge_compareILb1ELb0ES5_NS0_19identity_decomposerEEEEE10hipError_tT0_T1_T2_jT3_P12ihipStream_tbPNSt15iterator_traitsISF_E10value_typeEPNSL_ISG_E10value_typeEPSH_NS1_7vsmem_tEENKUlT_SF_SG_SH_E_clIS9_S9_SA_SA_EESE_SU_SF_SG_SH_EUlSU_E0_NS1_11comp_targetILNS1_3genE8ELNS1_11target_archE1030ELNS1_3gpuE2ELNS1_3repE0EEENS1_38merge_mergepath_config_static_selectorELNS0_4arch9wavefront6targetE0EEEvSG_
	.p2align	8
	.type	_ZN7rocprim17ROCPRIM_400000_NS6detail17trampoline_kernelINS0_14default_configENS1_38merge_sort_block_merge_config_selectorI6__halfNS0_10empty_typeEEEZZNS1_27merge_sort_block_merge_implIS3_PS5_PS6_jNS1_19radix_merge_compareILb1ELb0ES5_NS0_19identity_decomposerEEEEE10hipError_tT0_T1_T2_jT3_P12ihipStream_tbPNSt15iterator_traitsISF_E10value_typeEPNSL_ISG_E10value_typeEPSH_NS1_7vsmem_tEENKUlT_SF_SG_SH_E_clIS9_S9_SA_SA_EESE_SU_SF_SG_SH_EUlSU_E0_NS1_11comp_targetILNS1_3genE8ELNS1_11target_archE1030ELNS1_3gpuE2ELNS1_3repE0EEENS1_38merge_mergepath_config_static_selectorELNS0_4arch9wavefront6targetE0EEEvSG_,@function
_ZN7rocprim17ROCPRIM_400000_NS6detail17trampoline_kernelINS0_14default_configENS1_38merge_sort_block_merge_config_selectorI6__halfNS0_10empty_typeEEEZZNS1_27merge_sort_block_merge_implIS3_PS5_PS6_jNS1_19radix_merge_compareILb1ELb0ES5_NS0_19identity_decomposerEEEEE10hipError_tT0_T1_T2_jT3_P12ihipStream_tbPNSt15iterator_traitsISF_E10value_typeEPNSL_ISG_E10value_typeEPSH_NS1_7vsmem_tEENKUlT_SF_SG_SH_E_clIS9_S9_SA_SA_EESE_SU_SF_SG_SH_EUlSU_E0_NS1_11comp_targetILNS1_3genE8ELNS1_11target_archE1030ELNS1_3gpuE2ELNS1_3repE0EEENS1_38merge_mergepath_config_static_selectorELNS0_4arch9wavefront6targetE0EEEvSG_: ; @_ZN7rocprim17ROCPRIM_400000_NS6detail17trampoline_kernelINS0_14default_configENS1_38merge_sort_block_merge_config_selectorI6__halfNS0_10empty_typeEEEZZNS1_27merge_sort_block_merge_implIS3_PS5_PS6_jNS1_19radix_merge_compareILb1ELb0ES5_NS0_19identity_decomposerEEEEE10hipError_tT0_T1_T2_jT3_P12ihipStream_tbPNSt15iterator_traitsISF_E10value_typeEPNSL_ISG_E10value_typeEPSH_NS1_7vsmem_tEENKUlT_SF_SG_SH_E_clIS9_S9_SA_SA_EESE_SU_SF_SG_SH_EUlSU_E0_NS1_11comp_targetILNS1_3genE8ELNS1_11target_archE1030ELNS1_3gpuE2ELNS1_3repE0EEENS1_38merge_mergepath_config_static_selectorELNS0_4arch9wavefront6targetE0EEEvSG_
; %bb.0:
	.section	.rodata,"a",@progbits
	.p2align	6, 0x0
	.amdhsa_kernel _ZN7rocprim17ROCPRIM_400000_NS6detail17trampoline_kernelINS0_14default_configENS1_38merge_sort_block_merge_config_selectorI6__halfNS0_10empty_typeEEEZZNS1_27merge_sort_block_merge_implIS3_PS5_PS6_jNS1_19radix_merge_compareILb1ELb0ES5_NS0_19identity_decomposerEEEEE10hipError_tT0_T1_T2_jT3_P12ihipStream_tbPNSt15iterator_traitsISF_E10value_typeEPNSL_ISG_E10value_typeEPSH_NS1_7vsmem_tEENKUlT_SF_SG_SH_E_clIS9_S9_SA_SA_EESE_SU_SF_SG_SH_EUlSU_E0_NS1_11comp_targetILNS1_3genE8ELNS1_11target_archE1030ELNS1_3gpuE2ELNS1_3repE0EEENS1_38merge_mergepath_config_static_selectorELNS0_4arch9wavefront6targetE0EEEvSG_
		.amdhsa_group_segment_fixed_size 0
		.amdhsa_private_segment_fixed_size 0
		.amdhsa_kernarg_size 64
		.amdhsa_user_sgpr_count 2
		.amdhsa_user_sgpr_dispatch_ptr 0
		.amdhsa_user_sgpr_queue_ptr 0
		.amdhsa_user_sgpr_kernarg_segment_ptr 1
		.amdhsa_user_sgpr_dispatch_id 0
		.amdhsa_user_sgpr_kernarg_preload_length 0
		.amdhsa_user_sgpr_kernarg_preload_offset 0
		.amdhsa_user_sgpr_private_segment_size 0
		.amdhsa_wavefront_size32 1
		.amdhsa_uses_dynamic_stack 0
		.amdhsa_enable_private_segment 0
		.amdhsa_system_sgpr_workgroup_id_x 1
		.amdhsa_system_sgpr_workgroup_id_y 0
		.amdhsa_system_sgpr_workgroup_id_z 0
		.amdhsa_system_sgpr_workgroup_info 0
		.amdhsa_system_vgpr_workitem_id 0
		.amdhsa_next_free_vgpr 1
		.amdhsa_next_free_sgpr 1
		.amdhsa_named_barrier_count 0
		.amdhsa_reserve_vcc 0
		.amdhsa_float_round_mode_32 0
		.amdhsa_float_round_mode_16_64 0
		.amdhsa_float_denorm_mode_32 3
		.amdhsa_float_denorm_mode_16_64 3
		.amdhsa_fp16_overflow 0
		.amdhsa_memory_ordered 1
		.amdhsa_forward_progress 1
		.amdhsa_inst_pref_size 0
		.amdhsa_round_robin_scheduling 0
		.amdhsa_exception_fp_ieee_invalid_op 0
		.amdhsa_exception_fp_denorm_src 0
		.amdhsa_exception_fp_ieee_div_zero 0
		.amdhsa_exception_fp_ieee_overflow 0
		.amdhsa_exception_fp_ieee_underflow 0
		.amdhsa_exception_fp_ieee_inexact 0
		.amdhsa_exception_int_div_zero 0
	.end_amdhsa_kernel
	.section	.text._ZN7rocprim17ROCPRIM_400000_NS6detail17trampoline_kernelINS0_14default_configENS1_38merge_sort_block_merge_config_selectorI6__halfNS0_10empty_typeEEEZZNS1_27merge_sort_block_merge_implIS3_PS5_PS6_jNS1_19radix_merge_compareILb1ELb0ES5_NS0_19identity_decomposerEEEEE10hipError_tT0_T1_T2_jT3_P12ihipStream_tbPNSt15iterator_traitsISF_E10value_typeEPNSL_ISG_E10value_typeEPSH_NS1_7vsmem_tEENKUlT_SF_SG_SH_E_clIS9_S9_SA_SA_EESE_SU_SF_SG_SH_EUlSU_E0_NS1_11comp_targetILNS1_3genE8ELNS1_11target_archE1030ELNS1_3gpuE2ELNS1_3repE0EEENS1_38merge_mergepath_config_static_selectorELNS0_4arch9wavefront6targetE0EEEvSG_,"axG",@progbits,_ZN7rocprim17ROCPRIM_400000_NS6detail17trampoline_kernelINS0_14default_configENS1_38merge_sort_block_merge_config_selectorI6__halfNS0_10empty_typeEEEZZNS1_27merge_sort_block_merge_implIS3_PS5_PS6_jNS1_19radix_merge_compareILb1ELb0ES5_NS0_19identity_decomposerEEEEE10hipError_tT0_T1_T2_jT3_P12ihipStream_tbPNSt15iterator_traitsISF_E10value_typeEPNSL_ISG_E10value_typeEPSH_NS1_7vsmem_tEENKUlT_SF_SG_SH_E_clIS9_S9_SA_SA_EESE_SU_SF_SG_SH_EUlSU_E0_NS1_11comp_targetILNS1_3genE8ELNS1_11target_archE1030ELNS1_3gpuE2ELNS1_3repE0EEENS1_38merge_mergepath_config_static_selectorELNS0_4arch9wavefront6targetE0EEEvSG_,comdat
.Lfunc_end2120:
	.size	_ZN7rocprim17ROCPRIM_400000_NS6detail17trampoline_kernelINS0_14default_configENS1_38merge_sort_block_merge_config_selectorI6__halfNS0_10empty_typeEEEZZNS1_27merge_sort_block_merge_implIS3_PS5_PS6_jNS1_19radix_merge_compareILb1ELb0ES5_NS0_19identity_decomposerEEEEE10hipError_tT0_T1_T2_jT3_P12ihipStream_tbPNSt15iterator_traitsISF_E10value_typeEPNSL_ISG_E10value_typeEPSH_NS1_7vsmem_tEENKUlT_SF_SG_SH_E_clIS9_S9_SA_SA_EESE_SU_SF_SG_SH_EUlSU_E0_NS1_11comp_targetILNS1_3genE8ELNS1_11target_archE1030ELNS1_3gpuE2ELNS1_3repE0EEENS1_38merge_mergepath_config_static_selectorELNS0_4arch9wavefront6targetE0EEEvSG_, .Lfunc_end2120-_ZN7rocprim17ROCPRIM_400000_NS6detail17trampoline_kernelINS0_14default_configENS1_38merge_sort_block_merge_config_selectorI6__halfNS0_10empty_typeEEEZZNS1_27merge_sort_block_merge_implIS3_PS5_PS6_jNS1_19radix_merge_compareILb1ELb0ES5_NS0_19identity_decomposerEEEEE10hipError_tT0_T1_T2_jT3_P12ihipStream_tbPNSt15iterator_traitsISF_E10value_typeEPNSL_ISG_E10value_typeEPSH_NS1_7vsmem_tEENKUlT_SF_SG_SH_E_clIS9_S9_SA_SA_EESE_SU_SF_SG_SH_EUlSU_E0_NS1_11comp_targetILNS1_3genE8ELNS1_11target_archE1030ELNS1_3gpuE2ELNS1_3repE0EEENS1_38merge_mergepath_config_static_selectorELNS0_4arch9wavefront6targetE0EEEvSG_
                                        ; -- End function
	.set _ZN7rocprim17ROCPRIM_400000_NS6detail17trampoline_kernelINS0_14default_configENS1_38merge_sort_block_merge_config_selectorI6__halfNS0_10empty_typeEEEZZNS1_27merge_sort_block_merge_implIS3_PS5_PS6_jNS1_19radix_merge_compareILb1ELb0ES5_NS0_19identity_decomposerEEEEE10hipError_tT0_T1_T2_jT3_P12ihipStream_tbPNSt15iterator_traitsISF_E10value_typeEPNSL_ISG_E10value_typeEPSH_NS1_7vsmem_tEENKUlT_SF_SG_SH_E_clIS9_S9_SA_SA_EESE_SU_SF_SG_SH_EUlSU_E0_NS1_11comp_targetILNS1_3genE8ELNS1_11target_archE1030ELNS1_3gpuE2ELNS1_3repE0EEENS1_38merge_mergepath_config_static_selectorELNS0_4arch9wavefront6targetE0EEEvSG_.num_vgpr, 0
	.set _ZN7rocprim17ROCPRIM_400000_NS6detail17trampoline_kernelINS0_14default_configENS1_38merge_sort_block_merge_config_selectorI6__halfNS0_10empty_typeEEEZZNS1_27merge_sort_block_merge_implIS3_PS5_PS6_jNS1_19radix_merge_compareILb1ELb0ES5_NS0_19identity_decomposerEEEEE10hipError_tT0_T1_T2_jT3_P12ihipStream_tbPNSt15iterator_traitsISF_E10value_typeEPNSL_ISG_E10value_typeEPSH_NS1_7vsmem_tEENKUlT_SF_SG_SH_E_clIS9_S9_SA_SA_EESE_SU_SF_SG_SH_EUlSU_E0_NS1_11comp_targetILNS1_3genE8ELNS1_11target_archE1030ELNS1_3gpuE2ELNS1_3repE0EEENS1_38merge_mergepath_config_static_selectorELNS0_4arch9wavefront6targetE0EEEvSG_.num_agpr, 0
	.set _ZN7rocprim17ROCPRIM_400000_NS6detail17trampoline_kernelINS0_14default_configENS1_38merge_sort_block_merge_config_selectorI6__halfNS0_10empty_typeEEEZZNS1_27merge_sort_block_merge_implIS3_PS5_PS6_jNS1_19radix_merge_compareILb1ELb0ES5_NS0_19identity_decomposerEEEEE10hipError_tT0_T1_T2_jT3_P12ihipStream_tbPNSt15iterator_traitsISF_E10value_typeEPNSL_ISG_E10value_typeEPSH_NS1_7vsmem_tEENKUlT_SF_SG_SH_E_clIS9_S9_SA_SA_EESE_SU_SF_SG_SH_EUlSU_E0_NS1_11comp_targetILNS1_3genE8ELNS1_11target_archE1030ELNS1_3gpuE2ELNS1_3repE0EEENS1_38merge_mergepath_config_static_selectorELNS0_4arch9wavefront6targetE0EEEvSG_.numbered_sgpr, 0
	.set _ZN7rocprim17ROCPRIM_400000_NS6detail17trampoline_kernelINS0_14default_configENS1_38merge_sort_block_merge_config_selectorI6__halfNS0_10empty_typeEEEZZNS1_27merge_sort_block_merge_implIS3_PS5_PS6_jNS1_19radix_merge_compareILb1ELb0ES5_NS0_19identity_decomposerEEEEE10hipError_tT0_T1_T2_jT3_P12ihipStream_tbPNSt15iterator_traitsISF_E10value_typeEPNSL_ISG_E10value_typeEPSH_NS1_7vsmem_tEENKUlT_SF_SG_SH_E_clIS9_S9_SA_SA_EESE_SU_SF_SG_SH_EUlSU_E0_NS1_11comp_targetILNS1_3genE8ELNS1_11target_archE1030ELNS1_3gpuE2ELNS1_3repE0EEENS1_38merge_mergepath_config_static_selectorELNS0_4arch9wavefront6targetE0EEEvSG_.num_named_barrier, 0
	.set _ZN7rocprim17ROCPRIM_400000_NS6detail17trampoline_kernelINS0_14default_configENS1_38merge_sort_block_merge_config_selectorI6__halfNS0_10empty_typeEEEZZNS1_27merge_sort_block_merge_implIS3_PS5_PS6_jNS1_19radix_merge_compareILb1ELb0ES5_NS0_19identity_decomposerEEEEE10hipError_tT0_T1_T2_jT3_P12ihipStream_tbPNSt15iterator_traitsISF_E10value_typeEPNSL_ISG_E10value_typeEPSH_NS1_7vsmem_tEENKUlT_SF_SG_SH_E_clIS9_S9_SA_SA_EESE_SU_SF_SG_SH_EUlSU_E0_NS1_11comp_targetILNS1_3genE8ELNS1_11target_archE1030ELNS1_3gpuE2ELNS1_3repE0EEENS1_38merge_mergepath_config_static_selectorELNS0_4arch9wavefront6targetE0EEEvSG_.private_seg_size, 0
	.set _ZN7rocprim17ROCPRIM_400000_NS6detail17trampoline_kernelINS0_14default_configENS1_38merge_sort_block_merge_config_selectorI6__halfNS0_10empty_typeEEEZZNS1_27merge_sort_block_merge_implIS3_PS5_PS6_jNS1_19radix_merge_compareILb1ELb0ES5_NS0_19identity_decomposerEEEEE10hipError_tT0_T1_T2_jT3_P12ihipStream_tbPNSt15iterator_traitsISF_E10value_typeEPNSL_ISG_E10value_typeEPSH_NS1_7vsmem_tEENKUlT_SF_SG_SH_E_clIS9_S9_SA_SA_EESE_SU_SF_SG_SH_EUlSU_E0_NS1_11comp_targetILNS1_3genE8ELNS1_11target_archE1030ELNS1_3gpuE2ELNS1_3repE0EEENS1_38merge_mergepath_config_static_selectorELNS0_4arch9wavefront6targetE0EEEvSG_.uses_vcc, 0
	.set _ZN7rocprim17ROCPRIM_400000_NS6detail17trampoline_kernelINS0_14default_configENS1_38merge_sort_block_merge_config_selectorI6__halfNS0_10empty_typeEEEZZNS1_27merge_sort_block_merge_implIS3_PS5_PS6_jNS1_19radix_merge_compareILb1ELb0ES5_NS0_19identity_decomposerEEEEE10hipError_tT0_T1_T2_jT3_P12ihipStream_tbPNSt15iterator_traitsISF_E10value_typeEPNSL_ISG_E10value_typeEPSH_NS1_7vsmem_tEENKUlT_SF_SG_SH_E_clIS9_S9_SA_SA_EESE_SU_SF_SG_SH_EUlSU_E0_NS1_11comp_targetILNS1_3genE8ELNS1_11target_archE1030ELNS1_3gpuE2ELNS1_3repE0EEENS1_38merge_mergepath_config_static_selectorELNS0_4arch9wavefront6targetE0EEEvSG_.uses_flat_scratch, 0
	.set _ZN7rocprim17ROCPRIM_400000_NS6detail17trampoline_kernelINS0_14default_configENS1_38merge_sort_block_merge_config_selectorI6__halfNS0_10empty_typeEEEZZNS1_27merge_sort_block_merge_implIS3_PS5_PS6_jNS1_19radix_merge_compareILb1ELb0ES5_NS0_19identity_decomposerEEEEE10hipError_tT0_T1_T2_jT3_P12ihipStream_tbPNSt15iterator_traitsISF_E10value_typeEPNSL_ISG_E10value_typeEPSH_NS1_7vsmem_tEENKUlT_SF_SG_SH_E_clIS9_S9_SA_SA_EESE_SU_SF_SG_SH_EUlSU_E0_NS1_11comp_targetILNS1_3genE8ELNS1_11target_archE1030ELNS1_3gpuE2ELNS1_3repE0EEENS1_38merge_mergepath_config_static_selectorELNS0_4arch9wavefront6targetE0EEEvSG_.has_dyn_sized_stack, 0
	.set _ZN7rocprim17ROCPRIM_400000_NS6detail17trampoline_kernelINS0_14default_configENS1_38merge_sort_block_merge_config_selectorI6__halfNS0_10empty_typeEEEZZNS1_27merge_sort_block_merge_implIS3_PS5_PS6_jNS1_19radix_merge_compareILb1ELb0ES5_NS0_19identity_decomposerEEEEE10hipError_tT0_T1_T2_jT3_P12ihipStream_tbPNSt15iterator_traitsISF_E10value_typeEPNSL_ISG_E10value_typeEPSH_NS1_7vsmem_tEENKUlT_SF_SG_SH_E_clIS9_S9_SA_SA_EESE_SU_SF_SG_SH_EUlSU_E0_NS1_11comp_targetILNS1_3genE8ELNS1_11target_archE1030ELNS1_3gpuE2ELNS1_3repE0EEENS1_38merge_mergepath_config_static_selectorELNS0_4arch9wavefront6targetE0EEEvSG_.has_recursion, 0
	.set _ZN7rocprim17ROCPRIM_400000_NS6detail17trampoline_kernelINS0_14default_configENS1_38merge_sort_block_merge_config_selectorI6__halfNS0_10empty_typeEEEZZNS1_27merge_sort_block_merge_implIS3_PS5_PS6_jNS1_19radix_merge_compareILb1ELb0ES5_NS0_19identity_decomposerEEEEE10hipError_tT0_T1_T2_jT3_P12ihipStream_tbPNSt15iterator_traitsISF_E10value_typeEPNSL_ISG_E10value_typeEPSH_NS1_7vsmem_tEENKUlT_SF_SG_SH_E_clIS9_S9_SA_SA_EESE_SU_SF_SG_SH_EUlSU_E0_NS1_11comp_targetILNS1_3genE8ELNS1_11target_archE1030ELNS1_3gpuE2ELNS1_3repE0EEENS1_38merge_mergepath_config_static_selectorELNS0_4arch9wavefront6targetE0EEEvSG_.has_indirect_call, 0
	.section	.AMDGPU.csdata,"",@progbits
; Kernel info:
; codeLenInByte = 0
; TotalNumSgprs: 0
; NumVgprs: 0
; ScratchSize: 0
; MemoryBound: 0
; FloatMode: 240
; IeeeMode: 1
; LDSByteSize: 0 bytes/workgroup (compile time only)
; SGPRBlocks: 0
; VGPRBlocks: 0
; NumSGPRsForWavesPerEU: 1
; NumVGPRsForWavesPerEU: 1
; NamedBarCnt: 0
; Occupancy: 16
; WaveLimiterHint : 0
; COMPUTE_PGM_RSRC2:SCRATCH_EN: 0
; COMPUTE_PGM_RSRC2:USER_SGPR: 2
; COMPUTE_PGM_RSRC2:TRAP_HANDLER: 0
; COMPUTE_PGM_RSRC2:TGID_X_EN: 1
; COMPUTE_PGM_RSRC2:TGID_Y_EN: 0
; COMPUTE_PGM_RSRC2:TGID_Z_EN: 0
; COMPUTE_PGM_RSRC2:TIDIG_COMP_CNT: 0
	.section	.text._ZN7rocprim17ROCPRIM_400000_NS6detail17trampoline_kernelINS0_14default_configENS1_38merge_sort_block_merge_config_selectorI6__halfNS0_10empty_typeEEEZZNS1_27merge_sort_block_merge_implIS3_PS5_PS6_jNS1_19radix_merge_compareILb1ELb0ES5_NS0_19identity_decomposerEEEEE10hipError_tT0_T1_T2_jT3_P12ihipStream_tbPNSt15iterator_traitsISF_E10value_typeEPNSL_ISG_E10value_typeEPSH_NS1_7vsmem_tEENKUlT_SF_SG_SH_E_clIS9_S9_SA_SA_EESE_SU_SF_SG_SH_EUlSU_E1_NS1_11comp_targetILNS1_3genE0ELNS1_11target_archE4294967295ELNS1_3gpuE0ELNS1_3repE0EEENS1_36merge_oddeven_config_static_selectorELNS0_4arch9wavefront6targetE0EEEvSG_,"axG",@progbits,_ZN7rocprim17ROCPRIM_400000_NS6detail17trampoline_kernelINS0_14default_configENS1_38merge_sort_block_merge_config_selectorI6__halfNS0_10empty_typeEEEZZNS1_27merge_sort_block_merge_implIS3_PS5_PS6_jNS1_19radix_merge_compareILb1ELb0ES5_NS0_19identity_decomposerEEEEE10hipError_tT0_T1_T2_jT3_P12ihipStream_tbPNSt15iterator_traitsISF_E10value_typeEPNSL_ISG_E10value_typeEPSH_NS1_7vsmem_tEENKUlT_SF_SG_SH_E_clIS9_S9_SA_SA_EESE_SU_SF_SG_SH_EUlSU_E1_NS1_11comp_targetILNS1_3genE0ELNS1_11target_archE4294967295ELNS1_3gpuE0ELNS1_3repE0EEENS1_36merge_oddeven_config_static_selectorELNS0_4arch9wavefront6targetE0EEEvSG_,comdat
	.protected	_ZN7rocprim17ROCPRIM_400000_NS6detail17trampoline_kernelINS0_14default_configENS1_38merge_sort_block_merge_config_selectorI6__halfNS0_10empty_typeEEEZZNS1_27merge_sort_block_merge_implIS3_PS5_PS6_jNS1_19radix_merge_compareILb1ELb0ES5_NS0_19identity_decomposerEEEEE10hipError_tT0_T1_T2_jT3_P12ihipStream_tbPNSt15iterator_traitsISF_E10value_typeEPNSL_ISG_E10value_typeEPSH_NS1_7vsmem_tEENKUlT_SF_SG_SH_E_clIS9_S9_SA_SA_EESE_SU_SF_SG_SH_EUlSU_E1_NS1_11comp_targetILNS1_3genE0ELNS1_11target_archE4294967295ELNS1_3gpuE0ELNS1_3repE0EEENS1_36merge_oddeven_config_static_selectorELNS0_4arch9wavefront6targetE0EEEvSG_ ; -- Begin function _ZN7rocprim17ROCPRIM_400000_NS6detail17trampoline_kernelINS0_14default_configENS1_38merge_sort_block_merge_config_selectorI6__halfNS0_10empty_typeEEEZZNS1_27merge_sort_block_merge_implIS3_PS5_PS6_jNS1_19radix_merge_compareILb1ELb0ES5_NS0_19identity_decomposerEEEEE10hipError_tT0_T1_T2_jT3_P12ihipStream_tbPNSt15iterator_traitsISF_E10value_typeEPNSL_ISG_E10value_typeEPSH_NS1_7vsmem_tEENKUlT_SF_SG_SH_E_clIS9_S9_SA_SA_EESE_SU_SF_SG_SH_EUlSU_E1_NS1_11comp_targetILNS1_3genE0ELNS1_11target_archE4294967295ELNS1_3gpuE0ELNS1_3repE0EEENS1_36merge_oddeven_config_static_selectorELNS0_4arch9wavefront6targetE0EEEvSG_
	.globl	_ZN7rocprim17ROCPRIM_400000_NS6detail17trampoline_kernelINS0_14default_configENS1_38merge_sort_block_merge_config_selectorI6__halfNS0_10empty_typeEEEZZNS1_27merge_sort_block_merge_implIS3_PS5_PS6_jNS1_19radix_merge_compareILb1ELb0ES5_NS0_19identity_decomposerEEEEE10hipError_tT0_T1_T2_jT3_P12ihipStream_tbPNSt15iterator_traitsISF_E10value_typeEPNSL_ISG_E10value_typeEPSH_NS1_7vsmem_tEENKUlT_SF_SG_SH_E_clIS9_S9_SA_SA_EESE_SU_SF_SG_SH_EUlSU_E1_NS1_11comp_targetILNS1_3genE0ELNS1_11target_archE4294967295ELNS1_3gpuE0ELNS1_3repE0EEENS1_36merge_oddeven_config_static_selectorELNS0_4arch9wavefront6targetE0EEEvSG_
	.p2align	8
	.type	_ZN7rocprim17ROCPRIM_400000_NS6detail17trampoline_kernelINS0_14default_configENS1_38merge_sort_block_merge_config_selectorI6__halfNS0_10empty_typeEEEZZNS1_27merge_sort_block_merge_implIS3_PS5_PS6_jNS1_19radix_merge_compareILb1ELb0ES5_NS0_19identity_decomposerEEEEE10hipError_tT0_T1_T2_jT3_P12ihipStream_tbPNSt15iterator_traitsISF_E10value_typeEPNSL_ISG_E10value_typeEPSH_NS1_7vsmem_tEENKUlT_SF_SG_SH_E_clIS9_S9_SA_SA_EESE_SU_SF_SG_SH_EUlSU_E1_NS1_11comp_targetILNS1_3genE0ELNS1_11target_archE4294967295ELNS1_3gpuE0ELNS1_3repE0EEENS1_36merge_oddeven_config_static_selectorELNS0_4arch9wavefront6targetE0EEEvSG_,@function
_ZN7rocprim17ROCPRIM_400000_NS6detail17trampoline_kernelINS0_14default_configENS1_38merge_sort_block_merge_config_selectorI6__halfNS0_10empty_typeEEEZZNS1_27merge_sort_block_merge_implIS3_PS5_PS6_jNS1_19radix_merge_compareILb1ELb0ES5_NS0_19identity_decomposerEEEEE10hipError_tT0_T1_T2_jT3_P12ihipStream_tbPNSt15iterator_traitsISF_E10value_typeEPNSL_ISG_E10value_typeEPSH_NS1_7vsmem_tEENKUlT_SF_SG_SH_E_clIS9_S9_SA_SA_EESE_SU_SF_SG_SH_EUlSU_E1_NS1_11comp_targetILNS1_3genE0ELNS1_11target_archE4294967295ELNS1_3gpuE0ELNS1_3repE0EEENS1_36merge_oddeven_config_static_selectorELNS0_4arch9wavefront6targetE0EEEvSG_: ; @_ZN7rocprim17ROCPRIM_400000_NS6detail17trampoline_kernelINS0_14default_configENS1_38merge_sort_block_merge_config_selectorI6__halfNS0_10empty_typeEEEZZNS1_27merge_sort_block_merge_implIS3_PS5_PS6_jNS1_19radix_merge_compareILb1ELb0ES5_NS0_19identity_decomposerEEEEE10hipError_tT0_T1_T2_jT3_P12ihipStream_tbPNSt15iterator_traitsISF_E10value_typeEPNSL_ISG_E10value_typeEPSH_NS1_7vsmem_tEENKUlT_SF_SG_SH_E_clIS9_S9_SA_SA_EESE_SU_SF_SG_SH_EUlSU_E1_NS1_11comp_targetILNS1_3genE0ELNS1_11target_archE4294967295ELNS1_3gpuE0ELNS1_3repE0EEENS1_36merge_oddeven_config_static_selectorELNS0_4arch9wavefront6targetE0EEEvSG_
; %bb.0:
	s_load_b32 s10, s[0:1], 0x20
	s_bfe_u32 s2, ttmp6, 0x4000c
	s_and_b32 s3, ttmp6, 15
	s_add_co_i32 s2, s2, 1
	s_getreg_b32 s4, hwreg(HW_REG_IB_STS2, 6, 4)
	s_mul_i32 s2, ttmp9, s2
	s_mov_b32 s9, 0
	s_add_co_i32 s3, s3, s2
	s_cmp_eq_u32 s4, 0
	s_cselect_b32 s13, ttmp9, s3
	s_wait_kmcnt 0x0
	s_lshr_b32 s2, s10, 8
	s_delay_alu instid0(SALU_CYCLE_1) | instskip(SKIP_4) | instid1(SALU_CYCLE_1)
	s_cmp_lg_u32 s13, s2
	s_cselect_b32 s3, -1, 0
	s_cmp_eq_u32 s13, s2
	s_cselect_b32 s11, -1, 0
	s_lshl_b32 s8, s13, 8
	s_sub_co_i32 s2, s10, s8
	s_delay_alu instid0(SALU_CYCLE_1) | instskip(SKIP_1) | instid1(SALU_CYCLE_1)
	v_cmp_gt_u32_e64 s2, s2, v0
	s_or_b32 s4, s3, s2
	s_and_saveexec_b32 s5, s4
	s_cbranch_execz .LBB2121_20
; %bb.1:
	s_clause 0x1
	s_load_b128 s[4:7], s[0:1], 0x0
	s_load_b32 s12, s[0:1], 0x24
	s_lshl_b64 s[14:15], s[8:9], 1
	v_add_nc_u32_e32 v3, s8, v0
	s_wait_kmcnt 0x0
	s_add_nc_u64 s[0:1], s[4:5], s[14:15]
	global_load_u16 v1, v0, s[0:1] scale_offset
	s_wait_xcnt 0x0
	s_lshr_b32 s0, s12, 8
	s_delay_alu instid0(SALU_CYCLE_1) | instskip(NEXT) | instid1(SALU_CYCLE_1)
	s_sub_co_i32 s1, 0, s0
	s_and_b32 s1, s13, s1
	s_delay_alu instid0(SALU_CYCLE_1) | instskip(SKIP_4) | instid1(SALU_CYCLE_1)
	s_and_b32 s0, s1, s0
	s_lshl_b32 s13, s1, 8
	s_sub_co_i32 s1, 0, s12
	s_cmp_eq_u32 s0, 0
	s_cselect_b32 s0, -1, 0
	s_and_b32 s14, s0, exec_lo
	s_cselect_b32 s1, s12, s1
	s_delay_alu instid0(SALU_CYCLE_1) | instskip(NEXT) | instid1(SALU_CYCLE_1)
	s_add_co_i32 s1, s1, s13
	s_cmp_gt_u32 s10, s1
	s_cbranch_scc1 .LBB2121_3
; %bb.2:
	v_cmp_gt_u32_e32 vcc_lo, s10, v3
	s_or_b32 s8, vcc_lo, s3
	s_delay_alu instid0(SALU_CYCLE_1)
	s_and_b32 s9, s8, exec_lo
	s_cbranch_execz .LBB2121_4
	s_branch .LBB2121_18
.LBB2121_3:
.LBB2121_4:
	s_wait_loadcnt 0x0
	v_add_f16_e32 v2, 0, v1
	s_min_u32 s3, s1, s10
	s_delay_alu instid0(SALU_CYCLE_1) | instskip(NEXT) | instid1(SALU_CYCLE_1)
	s_add_co_i32 s8, s13, s3
	v_subrev_nc_u32_e32 v0, s8, v3
	s_delay_alu instid0(VALU_DEP_2)
	v_cmp_lt_i16_e32 vcc_lo, -1, v2
	s_add_co_i32 s8, s3, s12
	s_min_u32 s12, s13, s3
	s_min_u32 s8, s8, s10
	s_mov_b32 s10, -1
	v_cndmask_b32_e64 v3, -1, 0xffff8000, vcc_lo
	v_add_nc_u32_e32 v0, s12, v0
	s_and_b32 vcc_lo, exec_lo, s11
	s_delay_alu instid0(VALU_DEP_2)
	v_xor_b32_e32 v2, v3, v2
                                        ; implicit-def: $vgpr3
	s_cbranch_vccz .LBB2121_12
; %bb.5:
	s_and_saveexec_b32 s10, s2
	s_cbranch_execz .LBB2121_11
; %bb.6:
	v_mov_b32_e32 v3, s3
	s_cmp_ge_u32 s1, s8
	s_cbranch_scc1 .LBB2121_10
; %bb.7:
	v_dual_mov_b32 v4, s8 :: v_dual_mov_b32 v3, s3
	s_mov_b32 s2, 0
.LBB2121_8:                             ; =>This Inner Loop Header: Depth=1
	s_delay_alu instid0(VALU_DEP_1) | instskip(NEXT) | instid1(VALU_DEP_1)
	v_add_nc_u32_e32 v5, v3, v4
	v_and_b32_e32 v6, -2, v5
	global_load_u16 v6, v6, s[4:5]
	s_wait_loadcnt 0x0
	v_add_f16_e32 v6, 0, v6
	s_delay_alu instid0(VALU_DEP_1) | instskip(SKIP_1) | instid1(VALU_DEP_1)
	v_cmp_lt_i16_e32 vcc_lo, -1, v6
	v_cndmask_b32_e64 v7, -1, 0xffff8000, vcc_lo
	v_xor_b32_e32 v6, v7, v6
	s_delay_alu instid0(VALU_DEP_1) | instskip(SKIP_3) | instid1(VALU_DEP_1)
	v_cmp_gt_u16_e32 vcc_lo, v6, v2
	v_cndmask_b32_e64 v7, 0, 1, vcc_lo
	v_cmp_le_u16_e32 vcc_lo, v2, v6
	v_cndmask_b32_e64 v6, 0, 1, vcc_lo
	v_dual_cndmask_b32 v6, v6, v7, s0 :: v_dual_lshrrev_b32 v5, 1, v5
	s_delay_alu instid0(VALU_DEP_1) | instskip(NEXT) | instid1(VALU_DEP_1)
	v_dual_add_nc_u32 v7, 1, v5 :: v_dual_bitop2_b32 v6, 1, v6 bitop3:0x40
	v_cmp_eq_u32_e32 vcc_lo, 1, v6
	s_delay_alu instid0(VALU_DEP_2) | instskip(NEXT) | instid1(VALU_DEP_1)
	v_dual_cndmask_b32 v4, v5, v4 :: v_dual_cndmask_b32 v3, v3, v7
	v_cmp_ge_u32_e32 vcc_lo, v3, v4
	s_or_b32 s2, vcc_lo, s2
	s_delay_alu instid0(SALU_CYCLE_1)
	s_and_not1_b32 exec_lo, exec_lo, s2
	s_cbranch_execnz .LBB2121_8
; %bb.9:
	s_or_b32 exec_lo, exec_lo, s2
.LBB2121_10:
	s_delay_alu instid0(VALU_DEP_1)
	v_add_nc_u32_e32 v3, v3, v0
	s_or_b32 s9, s9, exec_lo
.LBB2121_11:
	s_or_b32 exec_lo, exec_lo, s10
	s_mov_b32 s10, 0
.LBB2121_12:
	s_delay_alu instid0(SALU_CYCLE_1)
	s_and_b32 vcc_lo, exec_lo, s10
	s_cbranch_vccz .LBB2121_18
; %bb.13:
	v_mov_b32_e32 v3, s3
	s_cmp_ge_u32 s1, s8
	s_cbranch_scc1 .LBB2121_17
; %bb.14:
	v_dual_mov_b32 v4, s8 :: v_dual_mov_b32 v3, s3
	s_mov_b32 s1, 0
.LBB2121_15:                            ; =>This Inner Loop Header: Depth=1
	s_delay_alu instid0(VALU_DEP_1) | instskip(NEXT) | instid1(VALU_DEP_1)
	v_add_nc_u32_e32 v5, v3, v4
	v_and_b32_e32 v6, -2, v5
	global_load_u16 v6, v6, s[4:5]
	s_wait_loadcnt 0x0
	v_add_f16_e32 v6, 0, v6
	s_delay_alu instid0(VALU_DEP_1) | instskip(SKIP_1) | instid1(VALU_DEP_1)
	v_cmp_lt_i16_e32 vcc_lo, -1, v6
	v_cndmask_b32_e64 v7, -1, 0xffff8000, vcc_lo
	v_xor_b32_e32 v6, v7, v6
	s_delay_alu instid0(VALU_DEP_1) | instskip(SKIP_3) | instid1(VALU_DEP_1)
	v_cmp_gt_u16_e32 vcc_lo, v6, v2
	v_cndmask_b32_e64 v7, 0, 1, vcc_lo
	v_cmp_le_u16_e32 vcc_lo, v2, v6
	v_cndmask_b32_e64 v6, 0, 1, vcc_lo
	v_dual_cndmask_b32 v6, v6, v7, s0 :: v_dual_lshrrev_b32 v5, 1, v5
	s_delay_alu instid0(VALU_DEP_1) | instskip(NEXT) | instid1(VALU_DEP_1)
	v_dual_add_nc_u32 v7, 1, v5 :: v_dual_bitop2_b32 v6, 1, v6 bitop3:0x40
	v_cmp_eq_u32_e32 vcc_lo, 1, v6
	s_delay_alu instid0(VALU_DEP_2) | instskip(NEXT) | instid1(VALU_DEP_1)
	v_dual_cndmask_b32 v4, v5, v4 :: v_dual_cndmask_b32 v3, v3, v7
	v_cmp_ge_u32_e32 vcc_lo, v3, v4
	s_or_b32 s1, vcc_lo, s1
	s_delay_alu instid0(SALU_CYCLE_1)
	s_and_not1_b32 exec_lo, exec_lo, s1
	s_cbranch_execnz .LBB2121_15
; %bb.16:
	s_or_b32 exec_lo, exec_lo, s1
.LBB2121_17:
	s_delay_alu instid0(VALU_DEP_1)
	v_add_nc_u32_e32 v3, v3, v0
	s_mov_b32 s9, -1
.LBB2121_18:
	s_delay_alu instid0(SALU_CYCLE_1)
	s_and_b32 exec_lo, exec_lo, s9
	s_cbranch_execz .LBB2121_20
; %bb.19:
	s_wait_loadcnt 0x0
	global_store_b16 v3, v1, s[6:7] scale_offset
.LBB2121_20:
	s_endpgm
	.section	.rodata,"a",@progbits
	.p2align	6, 0x0
	.amdhsa_kernel _ZN7rocprim17ROCPRIM_400000_NS6detail17trampoline_kernelINS0_14default_configENS1_38merge_sort_block_merge_config_selectorI6__halfNS0_10empty_typeEEEZZNS1_27merge_sort_block_merge_implIS3_PS5_PS6_jNS1_19radix_merge_compareILb1ELb0ES5_NS0_19identity_decomposerEEEEE10hipError_tT0_T1_T2_jT3_P12ihipStream_tbPNSt15iterator_traitsISF_E10value_typeEPNSL_ISG_E10value_typeEPSH_NS1_7vsmem_tEENKUlT_SF_SG_SH_E_clIS9_S9_SA_SA_EESE_SU_SF_SG_SH_EUlSU_E1_NS1_11comp_targetILNS1_3genE0ELNS1_11target_archE4294967295ELNS1_3gpuE0ELNS1_3repE0EEENS1_36merge_oddeven_config_static_selectorELNS0_4arch9wavefront6targetE0EEEvSG_
		.amdhsa_group_segment_fixed_size 0
		.amdhsa_private_segment_fixed_size 0
		.amdhsa_kernarg_size 48
		.amdhsa_user_sgpr_count 2
		.amdhsa_user_sgpr_dispatch_ptr 0
		.amdhsa_user_sgpr_queue_ptr 0
		.amdhsa_user_sgpr_kernarg_segment_ptr 1
		.amdhsa_user_sgpr_dispatch_id 0
		.amdhsa_user_sgpr_kernarg_preload_length 0
		.amdhsa_user_sgpr_kernarg_preload_offset 0
		.amdhsa_user_sgpr_private_segment_size 0
		.amdhsa_wavefront_size32 1
		.amdhsa_uses_dynamic_stack 0
		.amdhsa_enable_private_segment 0
		.amdhsa_system_sgpr_workgroup_id_x 1
		.amdhsa_system_sgpr_workgroup_id_y 0
		.amdhsa_system_sgpr_workgroup_id_z 0
		.amdhsa_system_sgpr_workgroup_info 0
		.amdhsa_system_vgpr_workitem_id 0
		.amdhsa_next_free_vgpr 8
		.amdhsa_next_free_sgpr 16
		.amdhsa_named_barrier_count 0
		.amdhsa_reserve_vcc 1
		.amdhsa_float_round_mode_32 0
		.amdhsa_float_round_mode_16_64 0
		.amdhsa_float_denorm_mode_32 3
		.amdhsa_float_denorm_mode_16_64 3
		.amdhsa_fp16_overflow 0
		.amdhsa_memory_ordered 1
		.amdhsa_forward_progress 1
		.amdhsa_inst_pref_size 6
		.amdhsa_round_robin_scheduling 0
		.amdhsa_exception_fp_ieee_invalid_op 0
		.amdhsa_exception_fp_denorm_src 0
		.amdhsa_exception_fp_ieee_div_zero 0
		.amdhsa_exception_fp_ieee_overflow 0
		.amdhsa_exception_fp_ieee_underflow 0
		.amdhsa_exception_fp_ieee_inexact 0
		.amdhsa_exception_int_div_zero 0
	.end_amdhsa_kernel
	.section	.text._ZN7rocprim17ROCPRIM_400000_NS6detail17trampoline_kernelINS0_14default_configENS1_38merge_sort_block_merge_config_selectorI6__halfNS0_10empty_typeEEEZZNS1_27merge_sort_block_merge_implIS3_PS5_PS6_jNS1_19radix_merge_compareILb1ELb0ES5_NS0_19identity_decomposerEEEEE10hipError_tT0_T1_T2_jT3_P12ihipStream_tbPNSt15iterator_traitsISF_E10value_typeEPNSL_ISG_E10value_typeEPSH_NS1_7vsmem_tEENKUlT_SF_SG_SH_E_clIS9_S9_SA_SA_EESE_SU_SF_SG_SH_EUlSU_E1_NS1_11comp_targetILNS1_3genE0ELNS1_11target_archE4294967295ELNS1_3gpuE0ELNS1_3repE0EEENS1_36merge_oddeven_config_static_selectorELNS0_4arch9wavefront6targetE0EEEvSG_,"axG",@progbits,_ZN7rocprim17ROCPRIM_400000_NS6detail17trampoline_kernelINS0_14default_configENS1_38merge_sort_block_merge_config_selectorI6__halfNS0_10empty_typeEEEZZNS1_27merge_sort_block_merge_implIS3_PS5_PS6_jNS1_19radix_merge_compareILb1ELb0ES5_NS0_19identity_decomposerEEEEE10hipError_tT0_T1_T2_jT3_P12ihipStream_tbPNSt15iterator_traitsISF_E10value_typeEPNSL_ISG_E10value_typeEPSH_NS1_7vsmem_tEENKUlT_SF_SG_SH_E_clIS9_S9_SA_SA_EESE_SU_SF_SG_SH_EUlSU_E1_NS1_11comp_targetILNS1_3genE0ELNS1_11target_archE4294967295ELNS1_3gpuE0ELNS1_3repE0EEENS1_36merge_oddeven_config_static_selectorELNS0_4arch9wavefront6targetE0EEEvSG_,comdat
.Lfunc_end2121:
	.size	_ZN7rocprim17ROCPRIM_400000_NS6detail17trampoline_kernelINS0_14default_configENS1_38merge_sort_block_merge_config_selectorI6__halfNS0_10empty_typeEEEZZNS1_27merge_sort_block_merge_implIS3_PS5_PS6_jNS1_19radix_merge_compareILb1ELb0ES5_NS0_19identity_decomposerEEEEE10hipError_tT0_T1_T2_jT3_P12ihipStream_tbPNSt15iterator_traitsISF_E10value_typeEPNSL_ISG_E10value_typeEPSH_NS1_7vsmem_tEENKUlT_SF_SG_SH_E_clIS9_S9_SA_SA_EESE_SU_SF_SG_SH_EUlSU_E1_NS1_11comp_targetILNS1_3genE0ELNS1_11target_archE4294967295ELNS1_3gpuE0ELNS1_3repE0EEENS1_36merge_oddeven_config_static_selectorELNS0_4arch9wavefront6targetE0EEEvSG_, .Lfunc_end2121-_ZN7rocprim17ROCPRIM_400000_NS6detail17trampoline_kernelINS0_14default_configENS1_38merge_sort_block_merge_config_selectorI6__halfNS0_10empty_typeEEEZZNS1_27merge_sort_block_merge_implIS3_PS5_PS6_jNS1_19radix_merge_compareILb1ELb0ES5_NS0_19identity_decomposerEEEEE10hipError_tT0_T1_T2_jT3_P12ihipStream_tbPNSt15iterator_traitsISF_E10value_typeEPNSL_ISG_E10value_typeEPSH_NS1_7vsmem_tEENKUlT_SF_SG_SH_E_clIS9_S9_SA_SA_EESE_SU_SF_SG_SH_EUlSU_E1_NS1_11comp_targetILNS1_3genE0ELNS1_11target_archE4294967295ELNS1_3gpuE0ELNS1_3repE0EEENS1_36merge_oddeven_config_static_selectorELNS0_4arch9wavefront6targetE0EEEvSG_
                                        ; -- End function
	.set _ZN7rocprim17ROCPRIM_400000_NS6detail17trampoline_kernelINS0_14default_configENS1_38merge_sort_block_merge_config_selectorI6__halfNS0_10empty_typeEEEZZNS1_27merge_sort_block_merge_implIS3_PS5_PS6_jNS1_19radix_merge_compareILb1ELb0ES5_NS0_19identity_decomposerEEEEE10hipError_tT0_T1_T2_jT3_P12ihipStream_tbPNSt15iterator_traitsISF_E10value_typeEPNSL_ISG_E10value_typeEPSH_NS1_7vsmem_tEENKUlT_SF_SG_SH_E_clIS9_S9_SA_SA_EESE_SU_SF_SG_SH_EUlSU_E1_NS1_11comp_targetILNS1_3genE0ELNS1_11target_archE4294967295ELNS1_3gpuE0ELNS1_3repE0EEENS1_36merge_oddeven_config_static_selectorELNS0_4arch9wavefront6targetE0EEEvSG_.num_vgpr, 8
	.set _ZN7rocprim17ROCPRIM_400000_NS6detail17trampoline_kernelINS0_14default_configENS1_38merge_sort_block_merge_config_selectorI6__halfNS0_10empty_typeEEEZZNS1_27merge_sort_block_merge_implIS3_PS5_PS6_jNS1_19radix_merge_compareILb1ELb0ES5_NS0_19identity_decomposerEEEEE10hipError_tT0_T1_T2_jT3_P12ihipStream_tbPNSt15iterator_traitsISF_E10value_typeEPNSL_ISG_E10value_typeEPSH_NS1_7vsmem_tEENKUlT_SF_SG_SH_E_clIS9_S9_SA_SA_EESE_SU_SF_SG_SH_EUlSU_E1_NS1_11comp_targetILNS1_3genE0ELNS1_11target_archE4294967295ELNS1_3gpuE0ELNS1_3repE0EEENS1_36merge_oddeven_config_static_selectorELNS0_4arch9wavefront6targetE0EEEvSG_.num_agpr, 0
	.set _ZN7rocprim17ROCPRIM_400000_NS6detail17trampoline_kernelINS0_14default_configENS1_38merge_sort_block_merge_config_selectorI6__halfNS0_10empty_typeEEEZZNS1_27merge_sort_block_merge_implIS3_PS5_PS6_jNS1_19radix_merge_compareILb1ELb0ES5_NS0_19identity_decomposerEEEEE10hipError_tT0_T1_T2_jT3_P12ihipStream_tbPNSt15iterator_traitsISF_E10value_typeEPNSL_ISG_E10value_typeEPSH_NS1_7vsmem_tEENKUlT_SF_SG_SH_E_clIS9_S9_SA_SA_EESE_SU_SF_SG_SH_EUlSU_E1_NS1_11comp_targetILNS1_3genE0ELNS1_11target_archE4294967295ELNS1_3gpuE0ELNS1_3repE0EEENS1_36merge_oddeven_config_static_selectorELNS0_4arch9wavefront6targetE0EEEvSG_.numbered_sgpr, 16
	.set _ZN7rocprim17ROCPRIM_400000_NS6detail17trampoline_kernelINS0_14default_configENS1_38merge_sort_block_merge_config_selectorI6__halfNS0_10empty_typeEEEZZNS1_27merge_sort_block_merge_implIS3_PS5_PS6_jNS1_19radix_merge_compareILb1ELb0ES5_NS0_19identity_decomposerEEEEE10hipError_tT0_T1_T2_jT3_P12ihipStream_tbPNSt15iterator_traitsISF_E10value_typeEPNSL_ISG_E10value_typeEPSH_NS1_7vsmem_tEENKUlT_SF_SG_SH_E_clIS9_S9_SA_SA_EESE_SU_SF_SG_SH_EUlSU_E1_NS1_11comp_targetILNS1_3genE0ELNS1_11target_archE4294967295ELNS1_3gpuE0ELNS1_3repE0EEENS1_36merge_oddeven_config_static_selectorELNS0_4arch9wavefront6targetE0EEEvSG_.num_named_barrier, 0
	.set _ZN7rocprim17ROCPRIM_400000_NS6detail17trampoline_kernelINS0_14default_configENS1_38merge_sort_block_merge_config_selectorI6__halfNS0_10empty_typeEEEZZNS1_27merge_sort_block_merge_implIS3_PS5_PS6_jNS1_19radix_merge_compareILb1ELb0ES5_NS0_19identity_decomposerEEEEE10hipError_tT0_T1_T2_jT3_P12ihipStream_tbPNSt15iterator_traitsISF_E10value_typeEPNSL_ISG_E10value_typeEPSH_NS1_7vsmem_tEENKUlT_SF_SG_SH_E_clIS9_S9_SA_SA_EESE_SU_SF_SG_SH_EUlSU_E1_NS1_11comp_targetILNS1_3genE0ELNS1_11target_archE4294967295ELNS1_3gpuE0ELNS1_3repE0EEENS1_36merge_oddeven_config_static_selectorELNS0_4arch9wavefront6targetE0EEEvSG_.private_seg_size, 0
	.set _ZN7rocprim17ROCPRIM_400000_NS6detail17trampoline_kernelINS0_14default_configENS1_38merge_sort_block_merge_config_selectorI6__halfNS0_10empty_typeEEEZZNS1_27merge_sort_block_merge_implIS3_PS5_PS6_jNS1_19radix_merge_compareILb1ELb0ES5_NS0_19identity_decomposerEEEEE10hipError_tT0_T1_T2_jT3_P12ihipStream_tbPNSt15iterator_traitsISF_E10value_typeEPNSL_ISG_E10value_typeEPSH_NS1_7vsmem_tEENKUlT_SF_SG_SH_E_clIS9_S9_SA_SA_EESE_SU_SF_SG_SH_EUlSU_E1_NS1_11comp_targetILNS1_3genE0ELNS1_11target_archE4294967295ELNS1_3gpuE0ELNS1_3repE0EEENS1_36merge_oddeven_config_static_selectorELNS0_4arch9wavefront6targetE0EEEvSG_.uses_vcc, 1
	.set _ZN7rocprim17ROCPRIM_400000_NS6detail17trampoline_kernelINS0_14default_configENS1_38merge_sort_block_merge_config_selectorI6__halfNS0_10empty_typeEEEZZNS1_27merge_sort_block_merge_implIS3_PS5_PS6_jNS1_19radix_merge_compareILb1ELb0ES5_NS0_19identity_decomposerEEEEE10hipError_tT0_T1_T2_jT3_P12ihipStream_tbPNSt15iterator_traitsISF_E10value_typeEPNSL_ISG_E10value_typeEPSH_NS1_7vsmem_tEENKUlT_SF_SG_SH_E_clIS9_S9_SA_SA_EESE_SU_SF_SG_SH_EUlSU_E1_NS1_11comp_targetILNS1_3genE0ELNS1_11target_archE4294967295ELNS1_3gpuE0ELNS1_3repE0EEENS1_36merge_oddeven_config_static_selectorELNS0_4arch9wavefront6targetE0EEEvSG_.uses_flat_scratch, 0
	.set _ZN7rocprim17ROCPRIM_400000_NS6detail17trampoline_kernelINS0_14default_configENS1_38merge_sort_block_merge_config_selectorI6__halfNS0_10empty_typeEEEZZNS1_27merge_sort_block_merge_implIS3_PS5_PS6_jNS1_19radix_merge_compareILb1ELb0ES5_NS0_19identity_decomposerEEEEE10hipError_tT0_T1_T2_jT3_P12ihipStream_tbPNSt15iterator_traitsISF_E10value_typeEPNSL_ISG_E10value_typeEPSH_NS1_7vsmem_tEENKUlT_SF_SG_SH_E_clIS9_S9_SA_SA_EESE_SU_SF_SG_SH_EUlSU_E1_NS1_11comp_targetILNS1_3genE0ELNS1_11target_archE4294967295ELNS1_3gpuE0ELNS1_3repE0EEENS1_36merge_oddeven_config_static_selectorELNS0_4arch9wavefront6targetE0EEEvSG_.has_dyn_sized_stack, 0
	.set _ZN7rocprim17ROCPRIM_400000_NS6detail17trampoline_kernelINS0_14default_configENS1_38merge_sort_block_merge_config_selectorI6__halfNS0_10empty_typeEEEZZNS1_27merge_sort_block_merge_implIS3_PS5_PS6_jNS1_19radix_merge_compareILb1ELb0ES5_NS0_19identity_decomposerEEEEE10hipError_tT0_T1_T2_jT3_P12ihipStream_tbPNSt15iterator_traitsISF_E10value_typeEPNSL_ISG_E10value_typeEPSH_NS1_7vsmem_tEENKUlT_SF_SG_SH_E_clIS9_S9_SA_SA_EESE_SU_SF_SG_SH_EUlSU_E1_NS1_11comp_targetILNS1_3genE0ELNS1_11target_archE4294967295ELNS1_3gpuE0ELNS1_3repE0EEENS1_36merge_oddeven_config_static_selectorELNS0_4arch9wavefront6targetE0EEEvSG_.has_recursion, 0
	.set _ZN7rocprim17ROCPRIM_400000_NS6detail17trampoline_kernelINS0_14default_configENS1_38merge_sort_block_merge_config_selectorI6__halfNS0_10empty_typeEEEZZNS1_27merge_sort_block_merge_implIS3_PS5_PS6_jNS1_19radix_merge_compareILb1ELb0ES5_NS0_19identity_decomposerEEEEE10hipError_tT0_T1_T2_jT3_P12ihipStream_tbPNSt15iterator_traitsISF_E10value_typeEPNSL_ISG_E10value_typeEPSH_NS1_7vsmem_tEENKUlT_SF_SG_SH_E_clIS9_S9_SA_SA_EESE_SU_SF_SG_SH_EUlSU_E1_NS1_11comp_targetILNS1_3genE0ELNS1_11target_archE4294967295ELNS1_3gpuE0ELNS1_3repE0EEENS1_36merge_oddeven_config_static_selectorELNS0_4arch9wavefront6targetE0EEEvSG_.has_indirect_call, 0
	.section	.AMDGPU.csdata,"",@progbits
; Kernel info:
; codeLenInByte = 764
; TotalNumSgprs: 18
; NumVgprs: 8
; ScratchSize: 0
; MemoryBound: 0
; FloatMode: 240
; IeeeMode: 1
; LDSByteSize: 0 bytes/workgroup (compile time only)
; SGPRBlocks: 0
; VGPRBlocks: 0
; NumSGPRsForWavesPerEU: 18
; NumVGPRsForWavesPerEU: 8
; NamedBarCnt: 0
; Occupancy: 16
; WaveLimiterHint : 0
; COMPUTE_PGM_RSRC2:SCRATCH_EN: 0
; COMPUTE_PGM_RSRC2:USER_SGPR: 2
; COMPUTE_PGM_RSRC2:TRAP_HANDLER: 0
; COMPUTE_PGM_RSRC2:TGID_X_EN: 1
; COMPUTE_PGM_RSRC2:TGID_Y_EN: 0
; COMPUTE_PGM_RSRC2:TGID_Z_EN: 0
; COMPUTE_PGM_RSRC2:TIDIG_COMP_CNT: 0
	.section	.text._ZN7rocprim17ROCPRIM_400000_NS6detail17trampoline_kernelINS0_14default_configENS1_38merge_sort_block_merge_config_selectorI6__halfNS0_10empty_typeEEEZZNS1_27merge_sort_block_merge_implIS3_PS5_PS6_jNS1_19radix_merge_compareILb1ELb0ES5_NS0_19identity_decomposerEEEEE10hipError_tT0_T1_T2_jT3_P12ihipStream_tbPNSt15iterator_traitsISF_E10value_typeEPNSL_ISG_E10value_typeEPSH_NS1_7vsmem_tEENKUlT_SF_SG_SH_E_clIS9_S9_SA_SA_EESE_SU_SF_SG_SH_EUlSU_E1_NS1_11comp_targetILNS1_3genE10ELNS1_11target_archE1201ELNS1_3gpuE5ELNS1_3repE0EEENS1_36merge_oddeven_config_static_selectorELNS0_4arch9wavefront6targetE0EEEvSG_,"axG",@progbits,_ZN7rocprim17ROCPRIM_400000_NS6detail17trampoline_kernelINS0_14default_configENS1_38merge_sort_block_merge_config_selectorI6__halfNS0_10empty_typeEEEZZNS1_27merge_sort_block_merge_implIS3_PS5_PS6_jNS1_19radix_merge_compareILb1ELb0ES5_NS0_19identity_decomposerEEEEE10hipError_tT0_T1_T2_jT3_P12ihipStream_tbPNSt15iterator_traitsISF_E10value_typeEPNSL_ISG_E10value_typeEPSH_NS1_7vsmem_tEENKUlT_SF_SG_SH_E_clIS9_S9_SA_SA_EESE_SU_SF_SG_SH_EUlSU_E1_NS1_11comp_targetILNS1_3genE10ELNS1_11target_archE1201ELNS1_3gpuE5ELNS1_3repE0EEENS1_36merge_oddeven_config_static_selectorELNS0_4arch9wavefront6targetE0EEEvSG_,comdat
	.protected	_ZN7rocprim17ROCPRIM_400000_NS6detail17trampoline_kernelINS0_14default_configENS1_38merge_sort_block_merge_config_selectorI6__halfNS0_10empty_typeEEEZZNS1_27merge_sort_block_merge_implIS3_PS5_PS6_jNS1_19radix_merge_compareILb1ELb0ES5_NS0_19identity_decomposerEEEEE10hipError_tT0_T1_T2_jT3_P12ihipStream_tbPNSt15iterator_traitsISF_E10value_typeEPNSL_ISG_E10value_typeEPSH_NS1_7vsmem_tEENKUlT_SF_SG_SH_E_clIS9_S9_SA_SA_EESE_SU_SF_SG_SH_EUlSU_E1_NS1_11comp_targetILNS1_3genE10ELNS1_11target_archE1201ELNS1_3gpuE5ELNS1_3repE0EEENS1_36merge_oddeven_config_static_selectorELNS0_4arch9wavefront6targetE0EEEvSG_ ; -- Begin function _ZN7rocprim17ROCPRIM_400000_NS6detail17trampoline_kernelINS0_14default_configENS1_38merge_sort_block_merge_config_selectorI6__halfNS0_10empty_typeEEEZZNS1_27merge_sort_block_merge_implIS3_PS5_PS6_jNS1_19radix_merge_compareILb1ELb0ES5_NS0_19identity_decomposerEEEEE10hipError_tT0_T1_T2_jT3_P12ihipStream_tbPNSt15iterator_traitsISF_E10value_typeEPNSL_ISG_E10value_typeEPSH_NS1_7vsmem_tEENKUlT_SF_SG_SH_E_clIS9_S9_SA_SA_EESE_SU_SF_SG_SH_EUlSU_E1_NS1_11comp_targetILNS1_3genE10ELNS1_11target_archE1201ELNS1_3gpuE5ELNS1_3repE0EEENS1_36merge_oddeven_config_static_selectorELNS0_4arch9wavefront6targetE0EEEvSG_
	.globl	_ZN7rocprim17ROCPRIM_400000_NS6detail17trampoline_kernelINS0_14default_configENS1_38merge_sort_block_merge_config_selectorI6__halfNS0_10empty_typeEEEZZNS1_27merge_sort_block_merge_implIS3_PS5_PS6_jNS1_19radix_merge_compareILb1ELb0ES5_NS0_19identity_decomposerEEEEE10hipError_tT0_T1_T2_jT3_P12ihipStream_tbPNSt15iterator_traitsISF_E10value_typeEPNSL_ISG_E10value_typeEPSH_NS1_7vsmem_tEENKUlT_SF_SG_SH_E_clIS9_S9_SA_SA_EESE_SU_SF_SG_SH_EUlSU_E1_NS1_11comp_targetILNS1_3genE10ELNS1_11target_archE1201ELNS1_3gpuE5ELNS1_3repE0EEENS1_36merge_oddeven_config_static_selectorELNS0_4arch9wavefront6targetE0EEEvSG_
	.p2align	8
	.type	_ZN7rocprim17ROCPRIM_400000_NS6detail17trampoline_kernelINS0_14default_configENS1_38merge_sort_block_merge_config_selectorI6__halfNS0_10empty_typeEEEZZNS1_27merge_sort_block_merge_implIS3_PS5_PS6_jNS1_19radix_merge_compareILb1ELb0ES5_NS0_19identity_decomposerEEEEE10hipError_tT0_T1_T2_jT3_P12ihipStream_tbPNSt15iterator_traitsISF_E10value_typeEPNSL_ISG_E10value_typeEPSH_NS1_7vsmem_tEENKUlT_SF_SG_SH_E_clIS9_S9_SA_SA_EESE_SU_SF_SG_SH_EUlSU_E1_NS1_11comp_targetILNS1_3genE10ELNS1_11target_archE1201ELNS1_3gpuE5ELNS1_3repE0EEENS1_36merge_oddeven_config_static_selectorELNS0_4arch9wavefront6targetE0EEEvSG_,@function
_ZN7rocprim17ROCPRIM_400000_NS6detail17trampoline_kernelINS0_14default_configENS1_38merge_sort_block_merge_config_selectorI6__halfNS0_10empty_typeEEEZZNS1_27merge_sort_block_merge_implIS3_PS5_PS6_jNS1_19radix_merge_compareILb1ELb0ES5_NS0_19identity_decomposerEEEEE10hipError_tT0_T1_T2_jT3_P12ihipStream_tbPNSt15iterator_traitsISF_E10value_typeEPNSL_ISG_E10value_typeEPSH_NS1_7vsmem_tEENKUlT_SF_SG_SH_E_clIS9_S9_SA_SA_EESE_SU_SF_SG_SH_EUlSU_E1_NS1_11comp_targetILNS1_3genE10ELNS1_11target_archE1201ELNS1_3gpuE5ELNS1_3repE0EEENS1_36merge_oddeven_config_static_selectorELNS0_4arch9wavefront6targetE0EEEvSG_: ; @_ZN7rocprim17ROCPRIM_400000_NS6detail17trampoline_kernelINS0_14default_configENS1_38merge_sort_block_merge_config_selectorI6__halfNS0_10empty_typeEEEZZNS1_27merge_sort_block_merge_implIS3_PS5_PS6_jNS1_19radix_merge_compareILb1ELb0ES5_NS0_19identity_decomposerEEEEE10hipError_tT0_T1_T2_jT3_P12ihipStream_tbPNSt15iterator_traitsISF_E10value_typeEPNSL_ISG_E10value_typeEPSH_NS1_7vsmem_tEENKUlT_SF_SG_SH_E_clIS9_S9_SA_SA_EESE_SU_SF_SG_SH_EUlSU_E1_NS1_11comp_targetILNS1_3genE10ELNS1_11target_archE1201ELNS1_3gpuE5ELNS1_3repE0EEENS1_36merge_oddeven_config_static_selectorELNS0_4arch9wavefront6targetE0EEEvSG_
; %bb.0:
	.section	.rodata,"a",@progbits
	.p2align	6, 0x0
	.amdhsa_kernel _ZN7rocprim17ROCPRIM_400000_NS6detail17trampoline_kernelINS0_14default_configENS1_38merge_sort_block_merge_config_selectorI6__halfNS0_10empty_typeEEEZZNS1_27merge_sort_block_merge_implIS3_PS5_PS6_jNS1_19radix_merge_compareILb1ELb0ES5_NS0_19identity_decomposerEEEEE10hipError_tT0_T1_T2_jT3_P12ihipStream_tbPNSt15iterator_traitsISF_E10value_typeEPNSL_ISG_E10value_typeEPSH_NS1_7vsmem_tEENKUlT_SF_SG_SH_E_clIS9_S9_SA_SA_EESE_SU_SF_SG_SH_EUlSU_E1_NS1_11comp_targetILNS1_3genE10ELNS1_11target_archE1201ELNS1_3gpuE5ELNS1_3repE0EEENS1_36merge_oddeven_config_static_selectorELNS0_4arch9wavefront6targetE0EEEvSG_
		.amdhsa_group_segment_fixed_size 0
		.amdhsa_private_segment_fixed_size 0
		.amdhsa_kernarg_size 48
		.amdhsa_user_sgpr_count 2
		.amdhsa_user_sgpr_dispatch_ptr 0
		.amdhsa_user_sgpr_queue_ptr 0
		.amdhsa_user_sgpr_kernarg_segment_ptr 1
		.amdhsa_user_sgpr_dispatch_id 0
		.amdhsa_user_sgpr_kernarg_preload_length 0
		.amdhsa_user_sgpr_kernarg_preload_offset 0
		.amdhsa_user_sgpr_private_segment_size 0
		.amdhsa_wavefront_size32 1
		.amdhsa_uses_dynamic_stack 0
		.amdhsa_enable_private_segment 0
		.amdhsa_system_sgpr_workgroup_id_x 1
		.amdhsa_system_sgpr_workgroup_id_y 0
		.amdhsa_system_sgpr_workgroup_id_z 0
		.amdhsa_system_sgpr_workgroup_info 0
		.amdhsa_system_vgpr_workitem_id 0
		.amdhsa_next_free_vgpr 1
		.amdhsa_next_free_sgpr 1
		.amdhsa_named_barrier_count 0
		.amdhsa_reserve_vcc 0
		.amdhsa_float_round_mode_32 0
		.amdhsa_float_round_mode_16_64 0
		.amdhsa_float_denorm_mode_32 3
		.amdhsa_float_denorm_mode_16_64 3
		.amdhsa_fp16_overflow 0
		.amdhsa_memory_ordered 1
		.amdhsa_forward_progress 1
		.amdhsa_inst_pref_size 0
		.amdhsa_round_robin_scheduling 0
		.amdhsa_exception_fp_ieee_invalid_op 0
		.amdhsa_exception_fp_denorm_src 0
		.amdhsa_exception_fp_ieee_div_zero 0
		.amdhsa_exception_fp_ieee_overflow 0
		.amdhsa_exception_fp_ieee_underflow 0
		.amdhsa_exception_fp_ieee_inexact 0
		.amdhsa_exception_int_div_zero 0
	.end_amdhsa_kernel
	.section	.text._ZN7rocprim17ROCPRIM_400000_NS6detail17trampoline_kernelINS0_14default_configENS1_38merge_sort_block_merge_config_selectorI6__halfNS0_10empty_typeEEEZZNS1_27merge_sort_block_merge_implIS3_PS5_PS6_jNS1_19radix_merge_compareILb1ELb0ES5_NS0_19identity_decomposerEEEEE10hipError_tT0_T1_T2_jT3_P12ihipStream_tbPNSt15iterator_traitsISF_E10value_typeEPNSL_ISG_E10value_typeEPSH_NS1_7vsmem_tEENKUlT_SF_SG_SH_E_clIS9_S9_SA_SA_EESE_SU_SF_SG_SH_EUlSU_E1_NS1_11comp_targetILNS1_3genE10ELNS1_11target_archE1201ELNS1_3gpuE5ELNS1_3repE0EEENS1_36merge_oddeven_config_static_selectorELNS0_4arch9wavefront6targetE0EEEvSG_,"axG",@progbits,_ZN7rocprim17ROCPRIM_400000_NS6detail17trampoline_kernelINS0_14default_configENS1_38merge_sort_block_merge_config_selectorI6__halfNS0_10empty_typeEEEZZNS1_27merge_sort_block_merge_implIS3_PS5_PS6_jNS1_19radix_merge_compareILb1ELb0ES5_NS0_19identity_decomposerEEEEE10hipError_tT0_T1_T2_jT3_P12ihipStream_tbPNSt15iterator_traitsISF_E10value_typeEPNSL_ISG_E10value_typeEPSH_NS1_7vsmem_tEENKUlT_SF_SG_SH_E_clIS9_S9_SA_SA_EESE_SU_SF_SG_SH_EUlSU_E1_NS1_11comp_targetILNS1_3genE10ELNS1_11target_archE1201ELNS1_3gpuE5ELNS1_3repE0EEENS1_36merge_oddeven_config_static_selectorELNS0_4arch9wavefront6targetE0EEEvSG_,comdat
.Lfunc_end2122:
	.size	_ZN7rocprim17ROCPRIM_400000_NS6detail17trampoline_kernelINS0_14default_configENS1_38merge_sort_block_merge_config_selectorI6__halfNS0_10empty_typeEEEZZNS1_27merge_sort_block_merge_implIS3_PS5_PS6_jNS1_19radix_merge_compareILb1ELb0ES5_NS0_19identity_decomposerEEEEE10hipError_tT0_T1_T2_jT3_P12ihipStream_tbPNSt15iterator_traitsISF_E10value_typeEPNSL_ISG_E10value_typeEPSH_NS1_7vsmem_tEENKUlT_SF_SG_SH_E_clIS9_S9_SA_SA_EESE_SU_SF_SG_SH_EUlSU_E1_NS1_11comp_targetILNS1_3genE10ELNS1_11target_archE1201ELNS1_3gpuE5ELNS1_3repE0EEENS1_36merge_oddeven_config_static_selectorELNS0_4arch9wavefront6targetE0EEEvSG_, .Lfunc_end2122-_ZN7rocprim17ROCPRIM_400000_NS6detail17trampoline_kernelINS0_14default_configENS1_38merge_sort_block_merge_config_selectorI6__halfNS0_10empty_typeEEEZZNS1_27merge_sort_block_merge_implIS3_PS5_PS6_jNS1_19radix_merge_compareILb1ELb0ES5_NS0_19identity_decomposerEEEEE10hipError_tT0_T1_T2_jT3_P12ihipStream_tbPNSt15iterator_traitsISF_E10value_typeEPNSL_ISG_E10value_typeEPSH_NS1_7vsmem_tEENKUlT_SF_SG_SH_E_clIS9_S9_SA_SA_EESE_SU_SF_SG_SH_EUlSU_E1_NS1_11comp_targetILNS1_3genE10ELNS1_11target_archE1201ELNS1_3gpuE5ELNS1_3repE0EEENS1_36merge_oddeven_config_static_selectorELNS0_4arch9wavefront6targetE0EEEvSG_
                                        ; -- End function
	.set _ZN7rocprim17ROCPRIM_400000_NS6detail17trampoline_kernelINS0_14default_configENS1_38merge_sort_block_merge_config_selectorI6__halfNS0_10empty_typeEEEZZNS1_27merge_sort_block_merge_implIS3_PS5_PS6_jNS1_19radix_merge_compareILb1ELb0ES5_NS0_19identity_decomposerEEEEE10hipError_tT0_T1_T2_jT3_P12ihipStream_tbPNSt15iterator_traitsISF_E10value_typeEPNSL_ISG_E10value_typeEPSH_NS1_7vsmem_tEENKUlT_SF_SG_SH_E_clIS9_S9_SA_SA_EESE_SU_SF_SG_SH_EUlSU_E1_NS1_11comp_targetILNS1_3genE10ELNS1_11target_archE1201ELNS1_3gpuE5ELNS1_3repE0EEENS1_36merge_oddeven_config_static_selectorELNS0_4arch9wavefront6targetE0EEEvSG_.num_vgpr, 0
	.set _ZN7rocprim17ROCPRIM_400000_NS6detail17trampoline_kernelINS0_14default_configENS1_38merge_sort_block_merge_config_selectorI6__halfNS0_10empty_typeEEEZZNS1_27merge_sort_block_merge_implIS3_PS5_PS6_jNS1_19radix_merge_compareILb1ELb0ES5_NS0_19identity_decomposerEEEEE10hipError_tT0_T1_T2_jT3_P12ihipStream_tbPNSt15iterator_traitsISF_E10value_typeEPNSL_ISG_E10value_typeEPSH_NS1_7vsmem_tEENKUlT_SF_SG_SH_E_clIS9_S9_SA_SA_EESE_SU_SF_SG_SH_EUlSU_E1_NS1_11comp_targetILNS1_3genE10ELNS1_11target_archE1201ELNS1_3gpuE5ELNS1_3repE0EEENS1_36merge_oddeven_config_static_selectorELNS0_4arch9wavefront6targetE0EEEvSG_.num_agpr, 0
	.set _ZN7rocprim17ROCPRIM_400000_NS6detail17trampoline_kernelINS0_14default_configENS1_38merge_sort_block_merge_config_selectorI6__halfNS0_10empty_typeEEEZZNS1_27merge_sort_block_merge_implIS3_PS5_PS6_jNS1_19radix_merge_compareILb1ELb0ES5_NS0_19identity_decomposerEEEEE10hipError_tT0_T1_T2_jT3_P12ihipStream_tbPNSt15iterator_traitsISF_E10value_typeEPNSL_ISG_E10value_typeEPSH_NS1_7vsmem_tEENKUlT_SF_SG_SH_E_clIS9_S9_SA_SA_EESE_SU_SF_SG_SH_EUlSU_E1_NS1_11comp_targetILNS1_3genE10ELNS1_11target_archE1201ELNS1_3gpuE5ELNS1_3repE0EEENS1_36merge_oddeven_config_static_selectorELNS0_4arch9wavefront6targetE0EEEvSG_.numbered_sgpr, 0
	.set _ZN7rocprim17ROCPRIM_400000_NS6detail17trampoline_kernelINS0_14default_configENS1_38merge_sort_block_merge_config_selectorI6__halfNS0_10empty_typeEEEZZNS1_27merge_sort_block_merge_implIS3_PS5_PS6_jNS1_19radix_merge_compareILb1ELb0ES5_NS0_19identity_decomposerEEEEE10hipError_tT0_T1_T2_jT3_P12ihipStream_tbPNSt15iterator_traitsISF_E10value_typeEPNSL_ISG_E10value_typeEPSH_NS1_7vsmem_tEENKUlT_SF_SG_SH_E_clIS9_S9_SA_SA_EESE_SU_SF_SG_SH_EUlSU_E1_NS1_11comp_targetILNS1_3genE10ELNS1_11target_archE1201ELNS1_3gpuE5ELNS1_3repE0EEENS1_36merge_oddeven_config_static_selectorELNS0_4arch9wavefront6targetE0EEEvSG_.num_named_barrier, 0
	.set _ZN7rocprim17ROCPRIM_400000_NS6detail17trampoline_kernelINS0_14default_configENS1_38merge_sort_block_merge_config_selectorI6__halfNS0_10empty_typeEEEZZNS1_27merge_sort_block_merge_implIS3_PS5_PS6_jNS1_19radix_merge_compareILb1ELb0ES5_NS0_19identity_decomposerEEEEE10hipError_tT0_T1_T2_jT3_P12ihipStream_tbPNSt15iterator_traitsISF_E10value_typeEPNSL_ISG_E10value_typeEPSH_NS1_7vsmem_tEENKUlT_SF_SG_SH_E_clIS9_S9_SA_SA_EESE_SU_SF_SG_SH_EUlSU_E1_NS1_11comp_targetILNS1_3genE10ELNS1_11target_archE1201ELNS1_3gpuE5ELNS1_3repE0EEENS1_36merge_oddeven_config_static_selectorELNS0_4arch9wavefront6targetE0EEEvSG_.private_seg_size, 0
	.set _ZN7rocprim17ROCPRIM_400000_NS6detail17trampoline_kernelINS0_14default_configENS1_38merge_sort_block_merge_config_selectorI6__halfNS0_10empty_typeEEEZZNS1_27merge_sort_block_merge_implIS3_PS5_PS6_jNS1_19radix_merge_compareILb1ELb0ES5_NS0_19identity_decomposerEEEEE10hipError_tT0_T1_T2_jT3_P12ihipStream_tbPNSt15iterator_traitsISF_E10value_typeEPNSL_ISG_E10value_typeEPSH_NS1_7vsmem_tEENKUlT_SF_SG_SH_E_clIS9_S9_SA_SA_EESE_SU_SF_SG_SH_EUlSU_E1_NS1_11comp_targetILNS1_3genE10ELNS1_11target_archE1201ELNS1_3gpuE5ELNS1_3repE0EEENS1_36merge_oddeven_config_static_selectorELNS0_4arch9wavefront6targetE0EEEvSG_.uses_vcc, 0
	.set _ZN7rocprim17ROCPRIM_400000_NS6detail17trampoline_kernelINS0_14default_configENS1_38merge_sort_block_merge_config_selectorI6__halfNS0_10empty_typeEEEZZNS1_27merge_sort_block_merge_implIS3_PS5_PS6_jNS1_19radix_merge_compareILb1ELb0ES5_NS0_19identity_decomposerEEEEE10hipError_tT0_T1_T2_jT3_P12ihipStream_tbPNSt15iterator_traitsISF_E10value_typeEPNSL_ISG_E10value_typeEPSH_NS1_7vsmem_tEENKUlT_SF_SG_SH_E_clIS9_S9_SA_SA_EESE_SU_SF_SG_SH_EUlSU_E1_NS1_11comp_targetILNS1_3genE10ELNS1_11target_archE1201ELNS1_3gpuE5ELNS1_3repE0EEENS1_36merge_oddeven_config_static_selectorELNS0_4arch9wavefront6targetE0EEEvSG_.uses_flat_scratch, 0
	.set _ZN7rocprim17ROCPRIM_400000_NS6detail17trampoline_kernelINS0_14default_configENS1_38merge_sort_block_merge_config_selectorI6__halfNS0_10empty_typeEEEZZNS1_27merge_sort_block_merge_implIS3_PS5_PS6_jNS1_19radix_merge_compareILb1ELb0ES5_NS0_19identity_decomposerEEEEE10hipError_tT0_T1_T2_jT3_P12ihipStream_tbPNSt15iterator_traitsISF_E10value_typeEPNSL_ISG_E10value_typeEPSH_NS1_7vsmem_tEENKUlT_SF_SG_SH_E_clIS9_S9_SA_SA_EESE_SU_SF_SG_SH_EUlSU_E1_NS1_11comp_targetILNS1_3genE10ELNS1_11target_archE1201ELNS1_3gpuE5ELNS1_3repE0EEENS1_36merge_oddeven_config_static_selectorELNS0_4arch9wavefront6targetE0EEEvSG_.has_dyn_sized_stack, 0
	.set _ZN7rocprim17ROCPRIM_400000_NS6detail17trampoline_kernelINS0_14default_configENS1_38merge_sort_block_merge_config_selectorI6__halfNS0_10empty_typeEEEZZNS1_27merge_sort_block_merge_implIS3_PS5_PS6_jNS1_19radix_merge_compareILb1ELb0ES5_NS0_19identity_decomposerEEEEE10hipError_tT0_T1_T2_jT3_P12ihipStream_tbPNSt15iterator_traitsISF_E10value_typeEPNSL_ISG_E10value_typeEPSH_NS1_7vsmem_tEENKUlT_SF_SG_SH_E_clIS9_S9_SA_SA_EESE_SU_SF_SG_SH_EUlSU_E1_NS1_11comp_targetILNS1_3genE10ELNS1_11target_archE1201ELNS1_3gpuE5ELNS1_3repE0EEENS1_36merge_oddeven_config_static_selectorELNS0_4arch9wavefront6targetE0EEEvSG_.has_recursion, 0
	.set _ZN7rocprim17ROCPRIM_400000_NS6detail17trampoline_kernelINS0_14default_configENS1_38merge_sort_block_merge_config_selectorI6__halfNS0_10empty_typeEEEZZNS1_27merge_sort_block_merge_implIS3_PS5_PS6_jNS1_19radix_merge_compareILb1ELb0ES5_NS0_19identity_decomposerEEEEE10hipError_tT0_T1_T2_jT3_P12ihipStream_tbPNSt15iterator_traitsISF_E10value_typeEPNSL_ISG_E10value_typeEPSH_NS1_7vsmem_tEENKUlT_SF_SG_SH_E_clIS9_S9_SA_SA_EESE_SU_SF_SG_SH_EUlSU_E1_NS1_11comp_targetILNS1_3genE10ELNS1_11target_archE1201ELNS1_3gpuE5ELNS1_3repE0EEENS1_36merge_oddeven_config_static_selectorELNS0_4arch9wavefront6targetE0EEEvSG_.has_indirect_call, 0
	.section	.AMDGPU.csdata,"",@progbits
; Kernel info:
; codeLenInByte = 0
; TotalNumSgprs: 0
; NumVgprs: 0
; ScratchSize: 0
; MemoryBound: 0
; FloatMode: 240
; IeeeMode: 1
; LDSByteSize: 0 bytes/workgroup (compile time only)
; SGPRBlocks: 0
; VGPRBlocks: 0
; NumSGPRsForWavesPerEU: 1
; NumVGPRsForWavesPerEU: 1
; NamedBarCnt: 0
; Occupancy: 16
; WaveLimiterHint : 0
; COMPUTE_PGM_RSRC2:SCRATCH_EN: 0
; COMPUTE_PGM_RSRC2:USER_SGPR: 2
; COMPUTE_PGM_RSRC2:TRAP_HANDLER: 0
; COMPUTE_PGM_RSRC2:TGID_X_EN: 1
; COMPUTE_PGM_RSRC2:TGID_Y_EN: 0
; COMPUTE_PGM_RSRC2:TGID_Z_EN: 0
; COMPUTE_PGM_RSRC2:TIDIG_COMP_CNT: 0
	.section	.text._ZN7rocprim17ROCPRIM_400000_NS6detail17trampoline_kernelINS0_14default_configENS1_38merge_sort_block_merge_config_selectorI6__halfNS0_10empty_typeEEEZZNS1_27merge_sort_block_merge_implIS3_PS5_PS6_jNS1_19radix_merge_compareILb1ELb0ES5_NS0_19identity_decomposerEEEEE10hipError_tT0_T1_T2_jT3_P12ihipStream_tbPNSt15iterator_traitsISF_E10value_typeEPNSL_ISG_E10value_typeEPSH_NS1_7vsmem_tEENKUlT_SF_SG_SH_E_clIS9_S9_SA_SA_EESE_SU_SF_SG_SH_EUlSU_E1_NS1_11comp_targetILNS1_3genE5ELNS1_11target_archE942ELNS1_3gpuE9ELNS1_3repE0EEENS1_36merge_oddeven_config_static_selectorELNS0_4arch9wavefront6targetE0EEEvSG_,"axG",@progbits,_ZN7rocprim17ROCPRIM_400000_NS6detail17trampoline_kernelINS0_14default_configENS1_38merge_sort_block_merge_config_selectorI6__halfNS0_10empty_typeEEEZZNS1_27merge_sort_block_merge_implIS3_PS5_PS6_jNS1_19radix_merge_compareILb1ELb0ES5_NS0_19identity_decomposerEEEEE10hipError_tT0_T1_T2_jT3_P12ihipStream_tbPNSt15iterator_traitsISF_E10value_typeEPNSL_ISG_E10value_typeEPSH_NS1_7vsmem_tEENKUlT_SF_SG_SH_E_clIS9_S9_SA_SA_EESE_SU_SF_SG_SH_EUlSU_E1_NS1_11comp_targetILNS1_3genE5ELNS1_11target_archE942ELNS1_3gpuE9ELNS1_3repE0EEENS1_36merge_oddeven_config_static_selectorELNS0_4arch9wavefront6targetE0EEEvSG_,comdat
	.protected	_ZN7rocprim17ROCPRIM_400000_NS6detail17trampoline_kernelINS0_14default_configENS1_38merge_sort_block_merge_config_selectorI6__halfNS0_10empty_typeEEEZZNS1_27merge_sort_block_merge_implIS3_PS5_PS6_jNS1_19radix_merge_compareILb1ELb0ES5_NS0_19identity_decomposerEEEEE10hipError_tT0_T1_T2_jT3_P12ihipStream_tbPNSt15iterator_traitsISF_E10value_typeEPNSL_ISG_E10value_typeEPSH_NS1_7vsmem_tEENKUlT_SF_SG_SH_E_clIS9_S9_SA_SA_EESE_SU_SF_SG_SH_EUlSU_E1_NS1_11comp_targetILNS1_3genE5ELNS1_11target_archE942ELNS1_3gpuE9ELNS1_3repE0EEENS1_36merge_oddeven_config_static_selectorELNS0_4arch9wavefront6targetE0EEEvSG_ ; -- Begin function _ZN7rocprim17ROCPRIM_400000_NS6detail17trampoline_kernelINS0_14default_configENS1_38merge_sort_block_merge_config_selectorI6__halfNS0_10empty_typeEEEZZNS1_27merge_sort_block_merge_implIS3_PS5_PS6_jNS1_19radix_merge_compareILb1ELb0ES5_NS0_19identity_decomposerEEEEE10hipError_tT0_T1_T2_jT3_P12ihipStream_tbPNSt15iterator_traitsISF_E10value_typeEPNSL_ISG_E10value_typeEPSH_NS1_7vsmem_tEENKUlT_SF_SG_SH_E_clIS9_S9_SA_SA_EESE_SU_SF_SG_SH_EUlSU_E1_NS1_11comp_targetILNS1_3genE5ELNS1_11target_archE942ELNS1_3gpuE9ELNS1_3repE0EEENS1_36merge_oddeven_config_static_selectorELNS0_4arch9wavefront6targetE0EEEvSG_
	.globl	_ZN7rocprim17ROCPRIM_400000_NS6detail17trampoline_kernelINS0_14default_configENS1_38merge_sort_block_merge_config_selectorI6__halfNS0_10empty_typeEEEZZNS1_27merge_sort_block_merge_implIS3_PS5_PS6_jNS1_19radix_merge_compareILb1ELb0ES5_NS0_19identity_decomposerEEEEE10hipError_tT0_T1_T2_jT3_P12ihipStream_tbPNSt15iterator_traitsISF_E10value_typeEPNSL_ISG_E10value_typeEPSH_NS1_7vsmem_tEENKUlT_SF_SG_SH_E_clIS9_S9_SA_SA_EESE_SU_SF_SG_SH_EUlSU_E1_NS1_11comp_targetILNS1_3genE5ELNS1_11target_archE942ELNS1_3gpuE9ELNS1_3repE0EEENS1_36merge_oddeven_config_static_selectorELNS0_4arch9wavefront6targetE0EEEvSG_
	.p2align	8
	.type	_ZN7rocprim17ROCPRIM_400000_NS6detail17trampoline_kernelINS0_14default_configENS1_38merge_sort_block_merge_config_selectorI6__halfNS0_10empty_typeEEEZZNS1_27merge_sort_block_merge_implIS3_PS5_PS6_jNS1_19radix_merge_compareILb1ELb0ES5_NS0_19identity_decomposerEEEEE10hipError_tT0_T1_T2_jT3_P12ihipStream_tbPNSt15iterator_traitsISF_E10value_typeEPNSL_ISG_E10value_typeEPSH_NS1_7vsmem_tEENKUlT_SF_SG_SH_E_clIS9_S9_SA_SA_EESE_SU_SF_SG_SH_EUlSU_E1_NS1_11comp_targetILNS1_3genE5ELNS1_11target_archE942ELNS1_3gpuE9ELNS1_3repE0EEENS1_36merge_oddeven_config_static_selectorELNS0_4arch9wavefront6targetE0EEEvSG_,@function
_ZN7rocprim17ROCPRIM_400000_NS6detail17trampoline_kernelINS0_14default_configENS1_38merge_sort_block_merge_config_selectorI6__halfNS0_10empty_typeEEEZZNS1_27merge_sort_block_merge_implIS3_PS5_PS6_jNS1_19radix_merge_compareILb1ELb0ES5_NS0_19identity_decomposerEEEEE10hipError_tT0_T1_T2_jT3_P12ihipStream_tbPNSt15iterator_traitsISF_E10value_typeEPNSL_ISG_E10value_typeEPSH_NS1_7vsmem_tEENKUlT_SF_SG_SH_E_clIS9_S9_SA_SA_EESE_SU_SF_SG_SH_EUlSU_E1_NS1_11comp_targetILNS1_3genE5ELNS1_11target_archE942ELNS1_3gpuE9ELNS1_3repE0EEENS1_36merge_oddeven_config_static_selectorELNS0_4arch9wavefront6targetE0EEEvSG_: ; @_ZN7rocprim17ROCPRIM_400000_NS6detail17trampoline_kernelINS0_14default_configENS1_38merge_sort_block_merge_config_selectorI6__halfNS0_10empty_typeEEEZZNS1_27merge_sort_block_merge_implIS3_PS5_PS6_jNS1_19radix_merge_compareILb1ELb0ES5_NS0_19identity_decomposerEEEEE10hipError_tT0_T1_T2_jT3_P12ihipStream_tbPNSt15iterator_traitsISF_E10value_typeEPNSL_ISG_E10value_typeEPSH_NS1_7vsmem_tEENKUlT_SF_SG_SH_E_clIS9_S9_SA_SA_EESE_SU_SF_SG_SH_EUlSU_E1_NS1_11comp_targetILNS1_3genE5ELNS1_11target_archE942ELNS1_3gpuE9ELNS1_3repE0EEENS1_36merge_oddeven_config_static_selectorELNS0_4arch9wavefront6targetE0EEEvSG_
; %bb.0:
	.section	.rodata,"a",@progbits
	.p2align	6, 0x0
	.amdhsa_kernel _ZN7rocprim17ROCPRIM_400000_NS6detail17trampoline_kernelINS0_14default_configENS1_38merge_sort_block_merge_config_selectorI6__halfNS0_10empty_typeEEEZZNS1_27merge_sort_block_merge_implIS3_PS5_PS6_jNS1_19radix_merge_compareILb1ELb0ES5_NS0_19identity_decomposerEEEEE10hipError_tT0_T1_T2_jT3_P12ihipStream_tbPNSt15iterator_traitsISF_E10value_typeEPNSL_ISG_E10value_typeEPSH_NS1_7vsmem_tEENKUlT_SF_SG_SH_E_clIS9_S9_SA_SA_EESE_SU_SF_SG_SH_EUlSU_E1_NS1_11comp_targetILNS1_3genE5ELNS1_11target_archE942ELNS1_3gpuE9ELNS1_3repE0EEENS1_36merge_oddeven_config_static_selectorELNS0_4arch9wavefront6targetE0EEEvSG_
		.amdhsa_group_segment_fixed_size 0
		.amdhsa_private_segment_fixed_size 0
		.amdhsa_kernarg_size 48
		.amdhsa_user_sgpr_count 2
		.amdhsa_user_sgpr_dispatch_ptr 0
		.amdhsa_user_sgpr_queue_ptr 0
		.amdhsa_user_sgpr_kernarg_segment_ptr 1
		.amdhsa_user_sgpr_dispatch_id 0
		.amdhsa_user_sgpr_kernarg_preload_length 0
		.amdhsa_user_sgpr_kernarg_preload_offset 0
		.amdhsa_user_sgpr_private_segment_size 0
		.amdhsa_wavefront_size32 1
		.amdhsa_uses_dynamic_stack 0
		.amdhsa_enable_private_segment 0
		.amdhsa_system_sgpr_workgroup_id_x 1
		.amdhsa_system_sgpr_workgroup_id_y 0
		.amdhsa_system_sgpr_workgroup_id_z 0
		.amdhsa_system_sgpr_workgroup_info 0
		.amdhsa_system_vgpr_workitem_id 0
		.amdhsa_next_free_vgpr 1
		.amdhsa_next_free_sgpr 1
		.amdhsa_named_barrier_count 0
		.amdhsa_reserve_vcc 0
		.amdhsa_float_round_mode_32 0
		.amdhsa_float_round_mode_16_64 0
		.amdhsa_float_denorm_mode_32 3
		.amdhsa_float_denorm_mode_16_64 3
		.amdhsa_fp16_overflow 0
		.amdhsa_memory_ordered 1
		.amdhsa_forward_progress 1
		.amdhsa_inst_pref_size 0
		.amdhsa_round_robin_scheduling 0
		.amdhsa_exception_fp_ieee_invalid_op 0
		.amdhsa_exception_fp_denorm_src 0
		.amdhsa_exception_fp_ieee_div_zero 0
		.amdhsa_exception_fp_ieee_overflow 0
		.amdhsa_exception_fp_ieee_underflow 0
		.amdhsa_exception_fp_ieee_inexact 0
		.amdhsa_exception_int_div_zero 0
	.end_amdhsa_kernel
	.section	.text._ZN7rocprim17ROCPRIM_400000_NS6detail17trampoline_kernelINS0_14default_configENS1_38merge_sort_block_merge_config_selectorI6__halfNS0_10empty_typeEEEZZNS1_27merge_sort_block_merge_implIS3_PS5_PS6_jNS1_19radix_merge_compareILb1ELb0ES5_NS0_19identity_decomposerEEEEE10hipError_tT0_T1_T2_jT3_P12ihipStream_tbPNSt15iterator_traitsISF_E10value_typeEPNSL_ISG_E10value_typeEPSH_NS1_7vsmem_tEENKUlT_SF_SG_SH_E_clIS9_S9_SA_SA_EESE_SU_SF_SG_SH_EUlSU_E1_NS1_11comp_targetILNS1_3genE5ELNS1_11target_archE942ELNS1_3gpuE9ELNS1_3repE0EEENS1_36merge_oddeven_config_static_selectorELNS0_4arch9wavefront6targetE0EEEvSG_,"axG",@progbits,_ZN7rocprim17ROCPRIM_400000_NS6detail17trampoline_kernelINS0_14default_configENS1_38merge_sort_block_merge_config_selectorI6__halfNS0_10empty_typeEEEZZNS1_27merge_sort_block_merge_implIS3_PS5_PS6_jNS1_19radix_merge_compareILb1ELb0ES5_NS0_19identity_decomposerEEEEE10hipError_tT0_T1_T2_jT3_P12ihipStream_tbPNSt15iterator_traitsISF_E10value_typeEPNSL_ISG_E10value_typeEPSH_NS1_7vsmem_tEENKUlT_SF_SG_SH_E_clIS9_S9_SA_SA_EESE_SU_SF_SG_SH_EUlSU_E1_NS1_11comp_targetILNS1_3genE5ELNS1_11target_archE942ELNS1_3gpuE9ELNS1_3repE0EEENS1_36merge_oddeven_config_static_selectorELNS0_4arch9wavefront6targetE0EEEvSG_,comdat
.Lfunc_end2123:
	.size	_ZN7rocprim17ROCPRIM_400000_NS6detail17trampoline_kernelINS0_14default_configENS1_38merge_sort_block_merge_config_selectorI6__halfNS0_10empty_typeEEEZZNS1_27merge_sort_block_merge_implIS3_PS5_PS6_jNS1_19radix_merge_compareILb1ELb0ES5_NS0_19identity_decomposerEEEEE10hipError_tT0_T1_T2_jT3_P12ihipStream_tbPNSt15iterator_traitsISF_E10value_typeEPNSL_ISG_E10value_typeEPSH_NS1_7vsmem_tEENKUlT_SF_SG_SH_E_clIS9_S9_SA_SA_EESE_SU_SF_SG_SH_EUlSU_E1_NS1_11comp_targetILNS1_3genE5ELNS1_11target_archE942ELNS1_3gpuE9ELNS1_3repE0EEENS1_36merge_oddeven_config_static_selectorELNS0_4arch9wavefront6targetE0EEEvSG_, .Lfunc_end2123-_ZN7rocprim17ROCPRIM_400000_NS6detail17trampoline_kernelINS0_14default_configENS1_38merge_sort_block_merge_config_selectorI6__halfNS0_10empty_typeEEEZZNS1_27merge_sort_block_merge_implIS3_PS5_PS6_jNS1_19radix_merge_compareILb1ELb0ES5_NS0_19identity_decomposerEEEEE10hipError_tT0_T1_T2_jT3_P12ihipStream_tbPNSt15iterator_traitsISF_E10value_typeEPNSL_ISG_E10value_typeEPSH_NS1_7vsmem_tEENKUlT_SF_SG_SH_E_clIS9_S9_SA_SA_EESE_SU_SF_SG_SH_EUlSU_E1_NS1_11comp_targetILNS1_3genE5ELNS1_11target_archE942ELNS1_3gpuE9ELNS1_3repE0EEENS1_36merge_oddeven_config_static_selectorELNS0_4arch9wavefront6targetE0EEEvSG_
                                        ; -- End function
	.set _ZN7rocprim17ROCPRIM_400000_NS6detail17trampoline_kernelINS0_14default_configENS1_38merge_sort_block_merge_config_selectorI6__halfNS0_10empty_typeEEEZZNS1_27merge_sort_block_merge_implIS3_PS5_PS6_jNS1_19radix_merge_compareILb1ELb0ES5_NS0_19identity_decomposerEEEEE10hipError_tT0_T1_T2_jT3_P12ihipStream_tbPNSt15iterator_traitsISF_E10value_typeEPNSL_ISG_E10value_typeEPSH_NS1_7vsmem_tEENKUlT_SF_SG_SH_E_clIS9_S9_SA_SA_EESE_SU_SF_SG_SH_EUlSU_E1_NS1_11comp_targetILNS1_3genE5ELNS1_11target_archE942ELNS1_3gpuE9ELNS1_3repE0EEENS1_36merge_oddeven_config_static_selectorELNS0_4arch9wavefront6targetE0EEEvSG_.num_vgpr, 0
	.set _ZN7rocprim17ROCPRIM_400000_NS6detail17trampoline_kernelINS0_14default_configENS1_38merge_sort_block_merge_config_selectorI6__halfNS0_10empty_typeEEEZZNS1_27merge_sort_block_merge_implIS3_PS5_PS6_jNS1_19radix_merge_compareILb1ELb0ES5_NS0_19identity_decomposerEEEEE10hipError_tT0_T1_T2_jT3_P12ihipStream_tbPNSt15iterator_traitsISF_E10value_typeEPNSL_ISG_E10value_typeEPSH_NS1_7vsmem_tEENKUlT_SF_SG_SH_E_clIS9_S9_SA_SA_EESE_SU_SF_SG_SH_EUlSU_E1_NS1_11comp_targetILNS1_3genE5ELNS1_11target_archE942ELNS1_3gpuE9ELNS1_3repE0EEENS1_36merge_oddeven_config_static_selectorELNS0_4arch9wavefront6targetE0EEEvSG_.num_agpr, 0
	.set _ZN7rocprim17ROCPRIM_400000_NS6detail17trampoline_kernelINS0_14default_configENS1_38merge_sort_block_merge_config_selectorI6__halfNS0_10empty_typeEEEZZNS1_27merge_sort_block_merge_implIS3_PS5_PS6_jNS1_19radix_merge_compareILb1ELb0ES5_NS0_19identity_decomposerEEEEE10hipError_tT0_T1_T2_jT3_P12ihipStream_tbPNSt15iterator_traitsISF_E10value_typeEPNSL_ISG_E10value_typeEPSH_NS1_7vsmem_tEENKUlT_SF_SG_SH_E_clIS9_S9_SA_SA_EESE_SU_SF_SG_SH_EUlSU_E1_NS1_11comp_targetILNS1_3genE5ELNS1_11target_archE942ELNS1_3gpuE9ELNS1_3repE0EEENS1_36merge_oddeven_config_static_selectorELNS0_4arch9wavefront6targetE0EEEvSG_.numbered_sgpr, 0
	.set _ZN7rocprim17ROCPRIM_400000_NS6detail17trampoline_kernelINS0_14default_configENS1_38merge_sort_block_merge_config_selectorI6__halfNS0_10empty_typeEEEZZNS1_27merge_sort_block_merge_implIS3_PS5_PS6_jNS1_19radix_merge_compareILb1ELb0ES5_NS0_19identity_decomposerEEEEE10hipError_tT0_T1_T2_jT3_P12ihipStream_tbPNSt15iterator_traitsISF_E10value_typeEPNSL_ISG_E10value_typeEPSH_NS1_7vsmem_tEENKUlT_SF_SG_SH_E_clIS9_S9_SA_SA_EESE_SU_SF_SG_SH_EUlSU_E1_NS1_11comp_targetILNS1_3genE5ELNS1_11target_archE942ELNS1_3gpuE9ELNS1_3repE0EEENS1_36merge_oddeven_config_static_selectorELNS0_4arch9wavefront6targetE0EEEvSG_.num_named_barrier, 0
	.set _ZN7rocprim17ROCPRIM_400000_NS6detail17trampoline_kernelINS0_14default_configENS1_38merge_sort_block_merge_config_selectorI6__halfNS0_10empty_typeEEEZZNS1_27merge_sort_block_merge_implIS3_PS5_PS6_jNS1_19radix_merge_compareILb1ELb0ES5_NS0_19identity_decomposerEEEEE10hipError_tT0_T1_T2_jT3_P12ihipStream_tbPNSt15iterator_traitsISF_E10value_typeEPNSL_ISG_E10value_typeEPSH_NS1_7vsmem_tEENKUlT_SF_SG_SH_E_clIS9_S9_SA_SA_EESE_SU_SF_SG_SH_EUlSU_E1_NS1_11comp_targetILNS1_3genE5ELNS1_11target_archE942ELNS1_3gpuE9ELNS1_3repE0EEENS1_36merge_oddeven_config_static_selectorELNS0_4arch9wavefront6targetE0EEEvSG_.private_seg_size, 0
	.set _ZN7rocprim17ROCPRIM_400000_NS6detail17trampoline_kernelINS0_14default_configENS1_38merge_sort_block_merge_config_selectorI6__halfNS0_10empty_typeEEEZZNS1_27merge_sort_block_merge_implIS3_PS5_PS6_jNS1_19radix_merge_compareILb1ELb0ES5_NS0_19identity_decomposerEEEEE10hipError_tT0_T1_T2_jT3_P12ihipStream_tbPNSt15iterator_traitsISF_E10value_typeEPNSL_ISG_E10value_typeEPSH_NS1_7vsmem_tEENKUlT_SF_SG_SH_E_clIS9_S9_SA_SA_EESE_SU_SF_SG_SH_EUlSU_E1_NS1_11comp_targetILNS1_3genE5ELNS1_11target_archE942ELNS1_3gpuE9ELNS1_3repE0EEENS1_36merge_oddeven_config_static_selectorELNS0_4arch9wavefront6targetE0EEEvSG_.uses_vcc, 0
	.set _ZN7rocprim17ROCPRIM_400000_NS6detail17trampoline_kernelINS0_14default_configENS1_38merge_sort_block_merge_config_selectorI6__halfNS0_10empty_typeEEEZZNS1_27merge_sort_block_merge_implIS3_PS5_PS6_jNS1_19radix_merge_compareILb1ELb0ES5_NS0_19identity_decomposerEEEEE10hipError_tT0_T1_T2_jT3_P12ihipStream_tbPNSt15iterator_traitsISF_E10value_typeEPNSL_ISG_E10value_typeEPSH_NS1_7vsmem_tEENKUlT_SF_SG_SH_E_clIS9_S9_SA_SA_EESE_SU_SF_SG_SH_EUlSU_E1_NS1_11comp_targetILNS1_3genE5ELNS1_11target_archE942ELNS1_3gpuE9ELNS1_3repE0EEENS1_36merge_oddeven_config_static_selectorELNS0_4arch9wavefront6targetE0EEEvSG_.uses_flat_scratch, 0
	.set _ZN7rocprim17ROCPRIM_400000_NS6detail17trampoline_kernelINS0_14default_configENS1_38merge_sort_block_merge_config_selectorI6__halfNS0_10empty_typeEEEZZNS1_27merge_sort_block_merge_implIS3_PS5_PS6_jNS1_19radix_merge_compareILb1ELb0ES5_NS0_19identity_decomposerEEEEE10hipError_tT0_T1_T2_jT3_P12ihipStream_tbPNSt15iterator_traitsISF_E10value_typeEPNSL_ISG_E10value_typeEPSH_NS1_7vsmem_tEENKUlT_SF_SG_SH_E_clIS9_S9_SA_SA_EESE_SU_SF_SG_SH_EUlSU_E1_NS1_11comp_targetILNS1_3genE5ELNS1_11target_archE942ELNS1_3gpuE9ELNS1_3repE0EEENS1_36merge_oddeven_config_static_selectorELNS0_4arch9wavefront6targetE0EEEvSG_.has_dyn_sized_stack, 0
	.set _ZN7rocprim17ROCPRIM_400000_NS6detail17trampoline_kernelINS0_14default_configENS1_38merge_sort_block_merge_config_selectorI6__halfNS0_10empty_typeEEEZZNS1_27merge_sort_block_merge_implIS3_PS5_PS6_jNS1_19radix_merge_compareILb1ELb0ES5_NS0_19identity_decomposerEEEEE10hipError_tT0_T1_T2_jT3_P12ihipStream_tbPNSt15iterator_traitsISF_E10value_typeEPNSL_ISG_E10value_typeEPSH_NS1_7vsmem_tEENKUlT_SF_SG_SH_E_clIS9_S9_SA_SA_EESE_SU_SF_SG_SH_EUlSU_E1_NS1_11comp_targetILNS1_3genE5ELNS1_11target_archE942ELNS1_3gpuE9ELNS1_3repE0EEENS1_36merge_oddeven_config_static_selectorELNS0_4arch9wavefront6targetE0EEEvSG_.has_recursion, 0
	.set _ZN7rocprim17ROCPRIM_400000_NS6detail17trampoline_kernelINS0_14default_configENS1_38merge_sort_block_merge_config_selectorI6__halfNS0_10empty_typeEEEZZNS1_27merge_sort_block_merge_implIS3_PS5_PS6_jNS1_19radix_merge_compareILb1ELb0ES5_NS0_19identity_decomposerEEEEE10hipError_tT0_T1_T2_jT3_P12ihipStream_tbPNSt15iterator_traitsISF_E10value_typeEPNSL_ISG_E10value_typeEPSH_NS1_7vsmem_tEENKUlT_SF_SG_SH_E_clIS9_S9_SA_SA_EESE_SU_SF_SG_SH_EUlSU_E1_NS1_11comp_targetILNS1_3genE5ELNS1_11target_archE942ELNS1_3gpuE9ELNS1_3repE0EEENS1_36merge_oddeven_config_static_selectorELNS0_4arch9wavefront6targetE0EEEvSG_.has_indirect_call, 0
	.section	.AMDGPU.csdata,"",@progbits
; Kernel info:
; codeLenInByte = 0
; TotalNumSgprs: 0
; NumVgprs: 0
; ScratchSize: 0
; MemoryBound: 0
; FloatMode: 240
; IeeeMode: 1
; LDSByteSize: 0 bytes/workgroup (compile time only)
; SGPRBlocks: 0
; VGPRBlocks: 0
; NumSGPRsForWavesPerEU: 1
; NumVGPRsForWavesPerEU: 1
; NamedBarCnt: 0
; Occupancy: 16
; WaveLimiterHint : 0
; COMPUTE_PGM_RSRC2:SCRATCH_EN: 0
; COMPUTE_PGM_RSRC2:USER_SGPR: 2
; COMPUTE_PGM_RSRC2:TRAP_HANDLER: 0
; COMPUTE_PGM_RSRC2:TGID_X_EN: 1
; COMPUTE_PGM_RSRC2:TGID_Y_EN: 0
; COMPUTE_PGM_RSRC2:TGID_Z_EN: 0
; COMPUTE_PGM_RSRC2:TIDIG_COMP_CNT: 0
	.section	.text._ZN7rocprim17ROCPRIM_400000_NS6detail17trampoline_kernelINS0_14default_configENS1_38merge_sort_block_merge_config_selectorI6__halfNS0_10empty_typeEEEZZNS1_27merge_sort_block_merge_implIS3_PS5_PS6_jNS1_19radix_merge_compareILb1ELb0ES5_NS0_19identity_decomposerEEEEE10hipError_tT0_T1_T2_jT3_P12ihipStream_tbPNSt15iterator_traitsISF_E10value_typeEPNSL_ISG_E10value_typeEPSH_NS1_7vsmem_tEENKUlT_SF_SG_SH_E_clIS9_S9_SA_SA_EESE_SU_SF_SG_SH_EUlSU_E1_NS1_11comp_targetILNS1_3genE4ELNS1_11target_archE910ELNS1_3gpuE8ELNS1_3repE0EEENS1_36merge_oddeven_config_static_selectorELNS0_4arch9wavefront6targetE0EEEvSG_,"axG",@progbits,_ZN7rocprim17ROCPRIM_400000_NS6detail17trampoline_kernelINS0_14default_configENS1_38merge_sort_block_merge_config_selectorI6__halfNS0_10empty_typeEEEZZNS1_27merge_sort_block_merge_implIS3_PS5_PS6_jNS1_19radix_merge_compareILb1ELb0ES5_NS0_19identity_decomposerEEEEE10hipError_tT0_T1_T2_jT3_P12ihipStream_tbPNSt15iterator_traitsISF_E10value_typeEPNSL_ISG_E10value_typeEPSH_NS1_7vsmem_tEENKUlT_SF_SG_SH_E_clIS9_S9_SA_SA_EESE_SU_SF_SG_SH_EUlSU_E1_NS1_11comp_targetILNS1_3genE4ELNS1_11target_archE910ELNS1_3gpuE8ELNS1_3repE0EEENS1_36merge_oddeven_config_static_selectorELNS0_4arch9wavefront6targetE0EEEvSG_,comdat
	.protected	_ZN7rocprim17ROCPRIM_400000_NS6detail17trampoline_kernelINS0_14default_configENS1_38merge_sort_block_merge_config_selectorI6__halfNS0_10empty_typeEEEZZNS1_27merge_sort_block_merge_implIS3_PS5_PS6_jNS1_19radix_merge_compareILb1ELb0ES5_NS0_19identity_decomposerEEEEE10hipError_tT0_T1_T2_jT3_P12ihipStream_tbPNSt15iterator_traitsISF_E10value_typeEPNSL_ISG_E10value_typeEPSH_NS1_7vsmem_tEENKUlT_SF_SG_SH_E_clIS9_S9_SA_SA_EESE_SU_SF_SG_SH_EUlSU_E1_NS1_11comp_targetILNS1_3genE4ELNS1_11target_archE910ELNS1_3gpuE8ELNS1_3repE0EEENS1_36merge_oddeven_config_static_selectorELNS0_4arch9wavefront6targetE0EEEvSG_ ; -- Begin function _ZN7rocprim17ROCPRIM_400000_NS6detail17trampoline_kernelINS0_14default_configENS1_38merge_sort_block_merge_config_selectorI6__halfNS0_10empty_typeEEEZZNS1_27merge_sort_block_merge_implIS3_PS5_PS6_jNS1_19radix_merge_compareILb1ELb0ES5_NS0_19identity_decomposerEEEEE10hipError_tT0_T1_T2_jT3_P12ihipStream_tbPNSt15iterator_traitsISF_E10value_typeEPNSL_ISG_E10value_typeEPSH_NS1_7vsmem_tEENKUlT_SF_SG_SH_E_clIS9_S9_SA_SA_EESE_SU_SF_SG_SH_EUlSU_E1_NS1_11comp_targetILNS1_3genE4ELNS1_11target_archE910ELNS1_3gpuE8ELNS1_3repE0EEENS1_36merge_oddeven_config_static_selectorELNS0_4arch9wavefront6targetE0EEEvSG_
	.globl	_ZN7rocprim17ROCPRIM_400000_NS6detail17trampoline_kernelINS0_14default_configENS1_38merge_sort_block_merge_config_selectorI6__halfNS0_10empty_typeEEEZZNS1_27merge_sort_block_merge_implIS3_PS5_PS6_jNS1_19radix_merge_compareILb1ELb0ES5_NS0_19identity_decomposerEEEEE10hipError_tT0_T1_T2_jT3_P12ihipStream_tbPNSt15iterator_traitsISF_E10value_typeEPNSL_ISG_E10value_typeEPSH_NS1_7vsmem_tEENKUlT_SF_SG_SH_E_clIS9_S9_SA_SA_EESE_SU_SF_SG_SH_EUlSU_E1_NS1_11comp_targetILNS1_3genE4ELNS1_11target_archE910ELNS1_3gpuE8ELNS1_3repE0EEENS1_36merge_oddeven_config_static_selectorELNS0_4arch9wavefront6targetE0EEEvSG_
	.p2align	8
	.type	_ZN7rocprim17ROCPRIM_400000_NS6detail17trampoline_kernelINS0_14default_configENS1_38merge_sort_block_merge_config_selectorI6__halfNS0_10empty_typeEEEZZNS1_27merge_sort_block_merge_implIS3_PS5_PS6_jNS1_19radix_merge_compareILb1ELb0ES5_NS0_19identity_decomposerEEEEE10hipError_tT0_T1_T2_jT3_P12ihipStream_tbPNSt15iterator_traitsISF_E10value_typeEPNSL_ISG_E10value_typeEPSH_NS1_7vsmem_tEENKUlT_SF_SG_SH_E_clIS9_S9_SA_SA_EESE_SU_SF_SG_SH_EUlSU_E1_NS1_11comp_targetILNS1_3genE4ELNS1_11target_archE910ELNS1_3gpuE8ELNS1_3repE0EEENS1_36merge_oddeven_config_static_selectorELNS0_4arch9wavefront6targetE0EEEvSG_,@function
_ZN7rocprim17ROCPRIM_400000_NS6detail17trampoline_kernelINS0_14default_configENS1_38merge_sort_block_merge_config_selectorI6__halfNS0_10empty_typeEEEZZNS1_27merge_sort_block_merge_implIS3_PS5_PS6_jNS1_19radix_merge_compareILb1ELb0ES5_NS0_19identity_decomposerEEEEE10hipError_tT0_T1_T2_jT3_P12ihipStream_tbPNSt15iterator_traitsISF_E10value_typeEPNSL_ISG_E10value_typeEPSH_NS1_7vsmem_tEENKUlT_SF_SG_SH_E_clIS9_S9_SA_SA_EESE_SU_SF_SG_SH_EUlSU_E1_NS1_11comp_targetILNS1_3genE4ELNS1_11target_archE910ELNS1_3gpuE8ELNS1_3repE0EEENS1_36merge_oddeven_config_static_selectorELNS0_4arch9wavefront6targetE0EEEvSG_: ; @_ZN7rocprim17ROCPRIM_400000_NS6detail17trampoline_kernelINS0_14default_configENS1_38merge_sort_block_merge_config_selectorI6__halfNS0_10empty_typeEEEZZNS1_27merge_sort_block_merge_implIS3_PS5_PS6_jNS1_19radix_merge_compareILb1ELb0ES5_NS0_19identity_decomposerEEEEE10hipError_tT0_T1_T2_jT3_P12ihipStream_tbPNSt15iterator_traitsISF_E10value_typeEPNSL_ISG_E10value_typeEPSH_NS1_7vsmem_tEENKUlT_SF_SG_SH_E_clIS9_S9_SA_SA_EESE_SU_SF_SG_SH_EUlSU_E1_NS1_11comp_targetILNS1_3genE4ELNS1_11target_archE910ELNS1_3gpuE8ELNS1_3repE0EEENS1_36merge_oddeven_config_static_selectorELNS0_4arch9wavefront6targetE0EEEvSG_
; %bb.0:
	.section	.rodata,"a",@progbits
	.p2align	6, 0x0
	.amdhsa_kernel _ZN7rocprim17ROCPRIM_400000_NS6detail17trampoline_kernelINS0_14default_configENS1_38merge_sort_block_merge_config_selectorI6__halfNS0_10empty_typeEEEZZNS1_27merge_sort_block_merge_implIS3_PS5_PS6_jNS1_19radix_merge_compareILb1ELb0ES5_NS0_19identity_decomposerEEEEE10hipError_tT0_T1_T2_jT3_P12ihipStream_tbPNSt15iterator_traitsISF_E10value_typeEPNSL_ISG_E10value_typeEPSH_NS1_7vsmem_tEENKUlT_SF_SG_SH_E_clIS9_S9_SA_SA_EESE_SU_SF_SG_SH_EUlSU_E1_NS1_11comp_targetILNS1_3genE4ELNS1_11target_archE910ELNS1_3gpuE8ELNS1_3repE0EEENS1_36merge_oddeven_config_static_selectorELNS0_4arch9wavefront6targetE0EEEvSG_
		.amdhsa_group_segment_fixed_size 0
		.amdhsa_private_segment_fixed_size 0
		.amdhsa_kernarg_size 48
		.amdhsa_user_sgpr_count 2
		.amdhsa_user_sgpr_dispatch_ptr 0
		.amdhsa_user_sgpr_queue_ptr 0
		.amdhsa_user_sgpr_kernarg_segment_ptr 1
		.amdhsa_user_sgpr_dispatch_id 0
		.amdhsa_user_sgpr_kernarg_preload_length 0
		.amdhsa_user_sgpr_kernarg_preload_offset 0
		.amdhsa_user_sgpr_private_segment_size 0
		.amdhsa_wavefront_size32 1
		.amdhsa_uses_dynamic_stack 0
		.amdhsa_enable_private_segment 0
		.amdhsa_system_sgpr_workgroup_id_x 1
		.amdhsa_system_sgpr_workgroup_id_y 0
		.amdhsa_system_sgpr_workgroup_id_z 0
		.amdhsa_system_sgpr_workgroup_info 0
		.amdhsa_system_vgpr_workitem_id 0
		.amdhsa_next_free_vgpr 1
		.amdhsa_next_free_sgpr 1
		.amdhsa_named_barrier_count 0
		.amdhsa_reserve_vcc 0
		.amdhsa_float_round_mode_32 0
		.amdhsa_float_round_mode_16_64 0
		.amdhsa_float_denorm_mode_32 3
		.amdhsa_float_denorm_mode_16_64 3
		.amdhsa_fp16_overflow 0
		.amdhsa_memory_ordered 1
		.amdhsa_forward_progress 1
		.amdhsa_inst_pref_size 0
		.amdhsa_round_robin_scheduling 0
		.amdhsa_exception_fp_ieee_invalid_op 0
		.amdhsa_exception_fp_denorm_src 0
		.amdhsa_exception_fp_ieee_div_zero 0
		.amdhsa_exception_fp_ieee_overflow 0
		.amdhsa_exception_fp_ieee_underflow 0
		.amdhsa_exception_fp_ieee_inexact 0
		.amdhsa_exception_int_div_zero 0
	.end_amdhsa_kernel
	.section	.text._ZN7rocprim17ROCPRIM_400000_NS6detail17trampoline_kernelINS0_14default_configENS1_38merge_sort_block_merge_config_selectorI6__halfNS0_10empty_typeEEEZZNS1_27merge_sort_block_merge_implIS3_PS5_PS6_jNS1_19radix_merge_compareILb1ELb0ES5_NS0_19identity_decomposerEEEEE10hipError_tT0_T1_T2_jT3_P12ihipStream_tbPNSt15iterator_traitsISF_E10value_typeEPNSL_ISG_E10value_typeEPSH_NS1_7vsmem_tEENKUlT_SF_SG_SH_E_clIS9_S9_SA_SA_EESE_SU_SF_SG_SH_EUlSU_E1_NS1_11comp_targetILNS1_3genE4ELNS1_11target_archE910ELNS1_3gpuE8ELNS1_3repE0EEENS1_36merge_oddeven_config_static_selectorELNS0_4arch9wavefront6targetE0EEEvSG_,"axG",@progbits,_ZN7rocprim17ROCPRIM_400000_NS6detail17trampoline_kernelINS0_14default_configENS1_38merge_sort_block_merge_config_selectorI6__halfNS0_10empty_typeEEEZZNS1_27merge_sort_block_merge_implIS3_PS5_PS6_jNS1_19radix_merge_compareILb1ELb0ES5_NS0_19identity_decomposerEEEEE10hipError_tT0_T1_T2_jT3_P12ihipStream_tbPNSt15iterator_traitsISF_E10value_typeEPNSL_ISG_E10value_typeEPSH_NS1_7vsmem_tEENKUlT_SF_SG_SH_E_clIS9_S9_SA_SA_EESE_SU_SF_SG_SH_EUlSU_E1_NS1_11comp_targetILNS1_3genE4ELNS1_11target_archE910ELNS1_3gpuE8ELNS1_3repE0EEENS1_36merge_oddeven_config_static_selectorELNS0_4arch9wavefront6targetE0EEEvSG_,comdat
.Lfunc_end2124:
	.size	_ZN7rocprim17ROCPRIM_400000_NS6detail17trampoline_kernelINS0_14default_configENS1_38merge_sort_block_merge_config_selectorI6__halfNS0_10empty_typeEEEZZNS1_27merge_sort_block_merge_implIS3_PS5_PS6_jNS1_19radix_merge_compareILb1ELb0ES5_NS0_19identity_decomposerEEEEE10hipError_tT0_T1_T2_jT3_P12ihipStream_tbPNSt15iterator_traitsISF_E10value_typeEPNSL_ISG_E10value_typeEPSH_NS1_7vsmem_tEENKUlT_SF_SG_SH_E_clIS9_S9_SA_SA_EESE_SU_SF_SG_SH_EUlSU_E1_NS1_11comp_targetILNS1_3genE4ELNS1_11target_archE910ELNS1_3gpuE8ELNS1_3repE0EEENS1_36merge_oddeven_config_static_selectorELNS0_4arch9wavefront6targetE0EEEvSG_, .Lfunc_end2124-_ZN7rocprim17ROCPRIM_400000_NS6detail17trampoline_kernelINS0_14default_configENS1_38merge_sort_block_merge_config_selectorI6__halfNS0_10empty_typeEEEZZNS1_27merge_sort_block_merge_implIS3_PS5_PS6_jNS1_19radix_merge_compareILb1ELb0ES5_NS0_19identity_decomposerEEEEE10hipError_tT0_T1_T2_jT3_P12ihipStream_tbPNSt15iterator_traitsISF_E10value_typeEPNSL_ISG_E10value_typeEPSH_NS1_7vsmem_tEENKUlT_SF_SG_SH_E_clIS9_S9_SA_SA_EESE_SU_SF_SG_SH_EUlSU_E1_NS1_11comp_targetILNS1_3genE4ELNS1_11target_archE910ELNS1_3gpuE8ELNS1_3repE0EEENS1_36merge_oddeven_config_static_selectorELNS0_4arch9wavefront6targetE0EEEvSG_
                                        ; -- End function
	.set _ZN7rocprim17ROCPRIM_400000_NS6detail17trampoline_kernelINS0_14default_configENS1_38merge_sort_block_merge_config_selectorI6__halfNS0_10empty_typeEEEZZNS1_27merge_sort_block_merge_implIS3_PS5_PS6_jNS1_19radix_merge_compareILb1ELb0ES5_NS0_19identity_decomposerEEEEE10hipError_tT0_T1_T2_jT3_P12ihipStream_tbPNSt15iterator_traitsISF_E10value_typeEPNSL_ISG_E10value_typeEPSH_NS1_7vsmem_tEENKUlT_SF_SG_SH_E_clIS9_S9_SA_SA_EESE_SU_SF_SG_SH_EUlSU_E1_NS1_11comp_targetILNS1_3genE4ELNS1_11target_archE910ELNS1_3gpuE8ELNS1_3repE0EEENS1_36merge_oddeven_config_static_selectorELNS0_4arch9wavefront6targetE0EEEvSG_.num_vgpr, 0
	.set _ZN7rocprim17ROCPRIM_400000_NS6detail17trampoline_kernelINS0_14default_configENS1_38merge_sort_block_merge_config_selectorI6__halfNS0_10empty_typeEEEZZNS1_27merge_sort_block_merge_implIS3_PS5_PS6_jNS1_19radix_merge_compareILb1ELb0ES5_NS0_19identity_decomposerEEEEE10hipError_tT0_T1_T2_jT3_P12ihipStream_tbPNSt15iterator_traitsISF_E10value_typeEPNSL_ISG_E10value_typeEPSH_NS1_7vsmem_tEENKUlT_SF_SG_SH_E_clIS9_S9_SA_SA_EESE_SU_SF_SG_SH_EUlSU_E1_NS1_11comp_targetILNS1_3genE4ELNS1_11target_archE910ELNS1_3gpuE8ELNS1_3repE0EEENS1_36merge_oddeven_config_static_selectorELNS0_4arch9wavefront6targetE0EEEvSG_.num_agpr, 0
	.set _ZN7rocprim17ROCPRIM_400000_NS6detail17trampoline_kernelINS0_14default_configENS1_38merge_sort_block_merge_config_selectorI6__halfNS0_10empty_typeEEEZZNS1_27merge_sort_block_merge_implIS3_PS5_PS6_jNS1_19radix_merge_compareILb1ELb0ES5_NS0_19identity_decomposerEEEEE10hipError_tT0_T1_T2_jT3_P12ihipStream_tbPNSt15iterator_traitsISF_E10value_typeEPNSL_ISG_E10value_typeEPSH_NS1_7vsmem_tEENKUlT_SF_SG_SH_E_clIS9_S9_SA_SA_EESE_SU_SF_SG_SH_EUlSU_E1_NS1_11comp_targetILNS1_3genE4ELNS1_11target_archE910ELNS1_3gpuE8ELNS1_3repE0EEENS1_36merge_oddeven_config_static_selectorELNS0_4arch9wavefront6targetE0EEEvSG_.numbered_sgpr, 0
	.set _ZN7rocprim17ROCPRIM_400000_NS6detail17trampoline_kernelINS0_14default_configENS1_38merge_sort_block_merge_config_selectorI6__halfNS0_10empty_typeEEEZZNS1_27merge_sort_block_merge_implIS3_PS5_PS6_jNS1_19radix_merge_compareILb1ELb0ES5_NS0_19identity_decomposerEEEEE10hipError_tT0_T1_T2_jT3_P12ihipStream_tbPNSt15iterator_traitsISF_E10value_typeEPNSL_ISG_E10value_typeEPSH_NS1_7vsmem_tEENKUlT_SF_SG_SH_E_clIS9_S9_SA_SA_EESE_SU_SF_SG_SH_EUlSU_E1_NS1_11comp_targetILNS1_3genE4ELNS1_11target_archE910ELNS1_3gpuE8ELNS1_3repE0EEENS1_36merge_oddeven_config_static_selectorELNS0_4arch9wavefront6targetE0EEEvSG_.num_named_barrier, 0
	.set _ZN7rocprim17ROCPRIM_400000_NS6detail17trampoline_kernelINS0_14default_configENS1_38merge_sort_block_merge_config_selectorI6__halfNS0_10empty_typeEEEZZNS1_27merge_sort_block_merge_implIS3_PS5_PS6_jNS1_19radix_merge_compareILb1ELb0ES5_NS0_19identity_decomposerEEEEE10hipError_tT0_T1_T2_jT3_P12ihipStream_tbPNSt15iterator_traitsISF_E10value_typeEPNSL_ISG_E10value_typeEPSH_NS1_7vsmem_tEENKUlT_SF_SG_SH_E_clIS9_S9_SA_SA_EESE_SU_SF_SG_SH_EUlSU_E1_NS1_11comp_targetILNS1_3genE4ELNS1_11target_archE910ELNS1_3gpuE8ELNS1_3repE0EEENS1_36merge_oddeven_config_static_selectorELNS0_4arch9wavefront6targetE0EEEvSG_.private_seg_size, 0
	.set _ZN7rocprim17ROCPRIM_400000_NS6detail17trampoline_kernelINS0_14default_configENS1_38merge_sort_block_merge_config_selectorI6__halfNS0_10empty_typeEEEZZNS1_27merge_sort_block_merge_implIS3_PS5_PS6_jNS1_19radix_merge_compareILb1ELb0ES5_NS0_19identity_decomposerEEEEE10hipError_tT0_T1_T2_jT3_P12ihipStream_tbPNSt15iterator_traitsISF_E10value_typeEPNSL_ISG_E10value_typeEPSH_NS1_7vsmem_tEENKUlT_SF_SG_SH_E_clIS9_S9_SA_SA_EESE_SU_SF_SG_SH_EUlSU_E1_NS1_11comp_targetILNS1_3genE4ELNS1_11target_archE910ELNS1_3gpuE8ELNS1_3repE0EEENS1_36merge_oddeven_config_static_selectorELNS0_4arch9wavefront6targetE0EEEvSG_.uses_vcc, 0
	.set _ZN7rocprim17ROCPRIM_400000_NS6detail17trampoline_kernelINS0_14default_configENS1_38merge_sort_block_merge_config_selectorI6__halfNS0_10empty_typeEEEZZNS1_27merge_sort_block_merge_implIS3_PS5_PS6_jNS1_19radix_merge_compareILb1ELb0ES5_NS0_19identity_decomposerEEEEE10hipError_tT0_T1_T2_jT3_P12ihipStream_tbPNSt15iterator_traitsISF_E10value_typeEPNSL_ISG_E10value_typeEPSH_NS1_7vsmem_tEENKUlT_SF_SG_SH_E_clIS9_S9_SA_SA_EESE_SU_SF_SG_SH_EUlSU_E1_NS1_11comp_targetILNS1_3genE4ELNS1_11target_archE910ELNS1_3gpuE8ELNS1_3repE0EEENS1_36merge_oddeven_config_static_selectorELNS0_4arch9wavefront6targetE0EEEvSG_.uses_flat_scratch, 0
	.set _ZN7rocprim17ROCPRIM_400000_NS6detail17trampoline_kernelINS0_14default_configENS1_38merge_sort_block_merge_config_selectorI6__halfNS0_10empty_typeEEEZZNS1_27merge_sort_block_merge_implIS3_PS5_PS6_jNS1_19radix_merge_compareILb1ELb0ES5_NS0_19identity_decomposerEEEEE10hipError_tT0_T1_T2_jT3_P12ihipStream_tbPNSt15iterator_traitsISF_E10value_typeEPNSL_ISG_E10value_typeEPSH_NS1_7vsmem_tEENKUlT_SF_SG_SH_E_clIS9_S9_SA_SA_EESE_SU_SF_SG_SH_EUlSU_E1_NS1_11comp_targetILNS1_3genE4ELNS1_11target_archE910ELNS1_3gpuE8ELNS1_3repE0EEENS1_36merge_oddeven_config_static_selectorELNS0_4arch9wavefront6targetE0EEEvSG_.has_dyn_sized_stack, 0
	.set _ZN7rocprim17ROCPRIM_400000_NS6detail17trampoline_kernelINS0_14default_configENS1_38merge_sort_block_merge_config_selectorI6__halfNS0_10empty_typeEEEZZNS1_27merge_sort_block_merge_implIS3_PS5_PS6_jNS1_19radix_merge_compareILb1ELb0ES5_NS0_19identity_decomposerEEEEE10hipError_tT0_T1_T2_jT3_P12ihipStream_tbPNSt15iterator_traitsISF_E10value_typeEPNSL_ISG_E10value_typeEPSH_NS1_7vsmem_tEENKUlT_SF_SG_SH_E_clIS9_S9_SA_SA_EESE_SU_SF_SG_SH_EUlSU_E1_NS1_11comp_targetILNS1_3genE4ELNS1_11target_archE910ELNS1_3gpuE8ELNS1_3repE0EEENS1_36merge_oddeven_config_static_selectorELNS0_4arch9wavefront6targetE0EEEvSG_.has_recursion, 0
	.set _ZN7rocprim17ROCPRIM_400000_NS6detail17trampoline_kernelINS0_14default_configENS1_38merge_sort_block_merge_config_selectorI6__halfNS0_10empty_typeEEEZZNS1_27merge_sort_block_merge_implIS3_PS5_PS6_jNS1_19radix_merge_compareILb1ELb0ES5_NS0_19identity_decomposerEEEEE10hipError_tT0_T1_T2_jT3_P12ihipStream_tbPNSt15iterator_traitsISF_E10value_typeEPNSL_ISG_E10value_typeEPSH_NS1_7vsmem_tEENKUlT_SF_SG_SH_E_clIS9_S9_SA_SA_EESE_SU_SF_SG_SH_EUlSU_E1_NS1_11comp_targetILNS1_3genE4ELNS1_11target_archE910ELNS1_3gpuE8ELNS1_3repE0EEENS1_36merge_oddeven_config_static_selectorELNS0_4arch9wavefront6targetE0EEEvSG_.has_indirect_call, 0
	.section	.AMDGPU.csdata,"",@progbits
; Kernel info:
; codeLenInByte = 0
; TotalNumSgprs: 0
; NumVgprs: 0
; ScratchSize: 0
; MemoryBound: 0
; FloatMode: 240
; IeeeMode: 1
; LDSByteSize: 0 bytes/workgroup (compile time only)
; SGPRBlocks: 0
; VGPRBlocks: 0
; NumSGPRsForWavesPerEU: 1
; NumVGPRsForWavesPerEU: 1
; NamedBarCnt: 0
; Occupancy: 16
; WaveLimiterHint : 0
; COMPUTE_PGM_RSRC2:SCRATCH_EN: 0
; COMPUTE_PGM_RSRC2:USER_SGPR: 2
; COMPUTE_PGM_RSRC2:TRAP_HANDLER: 0
; COMPUTE_PGM_RSRC2:TGID_X_EN: 1
; COMPUTE_PGM_RSRC2:TGID_Y_EN: 0
; COMPUTE_PGM_RSRC2:TGID_Z_EN: 0
; COMPUTE_PGM_RSRC2:TIDIG_COMP_CNT: 0
	.section	.text._ZN7rocprim17ROCPRIM_400000_NS6detail17trampoline_kernelINS0_14default_configENS1_38merge_sort_block_merge_config_selectorI6__halfNS0_10empty_typeEEEZZNS1_27merge_sort_block_merge_implIS3_PS5_PS6_jNS1_19radix_merge_compareILb1ELb0ES5_NS0_19identity_decomposerEEEEE10hipError_tT0_T1_T2_jT3_P12ihipStream_tbPNSt15iterator_traitsISF_E10value_typeEPNSL_ISG_E10value_typeEPSH_NS1_7vsmem_tEENKUlT_SF_SG_SH_E_clIS9_S9_SA_SA_EESE_SU_SF_SG_SH_EUlSU_E1_NS1_11comp_targetILNS1_3genE3ELNS1_11target_archE908ELNS1_3gpuE7ELNS1_3repE0EEENS1_36merge_oddeven_config_static_selectorELNS0_4arch9wavefront6targetE0EEEvSG_,"axG",@progbits,_ZN7rocprim17ROCPRIM_400000_NS6detail17trampoline_kernelINS0_14default_configENS1_38merge_sort_block_merge_config_selectorI6__halfNS0_10empty_typeEEEZZNS1_27merge_sort_block_merge_implIS3_PS5_PS6_jNS1_19radix_merge_compareILb1ELb0ES5_NS0_19identity_decomposerEEEEE10hipError_tT0_T1_T2_jT3_P12ihipStream_tbPNSt15iterator_traitsISF_E10value_typeEPNSL_ISG_E10value_typeEPSH_NS1_7vsmem_tEENKUlT_SF_SG_SH_E_clIS9_S9_SA_SA_EESE_SU_SF_SG_SH_EUlSU_E1_NS1_11comp_targetILNS1_3genE3ELNS1_11target_archE908ELNS1_3gpuE7ELNS1_3repE0EEENS1_36merge_oddeven_config_static_selectorELNS0_4arch9wavefront6targetE0EEEvSG_,comdat
	.protected	_ZN7rocprim17ROCPRIM_400000_NS6detail17trampoline_kernelINS0_14default_configENS1_38merge_sort_block_merge_config_selectorI6__halfNS0_10empty_typeEEEZZNS1_27merge_sort_block_merge_implIS3_PS5_PS6_jNS1_19radix_merge_compareILb1ELb0ES5_NS0_19identity_decomposerEEEEE10hipError_tT0_T1_T2_jT3_P12ihipStream_tbPNSt15iterator_traitsISF_E10value_typeEPNSL_ISG_E10value_typeEPSH_NS1_7vsmem_tEENKUlT_SF_SG_SH_E_clIS9_S9_SA_SA_EESE_SU_SF_SG_SH_EUlSU_E1_NS1_11comp_targetILNS1_3genE3ELNS1_11target_archE908ELNS1_3gpuE7ELNS1_3repE0EEENS1_36merge_oddeven_config_static_selectorELNS0_4arch9wavefront6targetE0EEEvSG_ ; -- Begin function _ZN7rocprim17ROCPRIM_400000_NS6detail17trampoline_kernelINS0_14default_configENS1_38merge_sort_block_merge_config_selectorI6__halfNS0_10empty_typeEEEZZNS1_27merge_sort_block_merge_implIS3_PS5_PS6_jNS1_19radix_merge_compareILb1ELb0ES5_NS0_19identity_decomposerEEEEE10hipError_tT0_T1_T2_jT3_P12ihipStream_tbPNSt15iterator_traitsISF_E10value_typeEPNSL_ISG_E10value_typeEPSH_NS1_7vsmem_tEENKUlT_SF_SG_SH_E_clIS9_S9_SA_SA_EESE_SU_SF_SG_SH_EUlSU_E1_NS1_11comp_targetILNS1_3genE3ELNS1_11target_archE908ELNS1_3gpuE7ELNS1_3repE0EEENS1_36merge_oddeven_config_static_selectorELNS0_4arch9wavefront6targetE0EEEvSG_
	.globl	_ZN7rocprim17ROCPRIM_400000_NS6detail17trampoline_kernelINS0_14default_configENS1_38merge_sort_block_merge_config_selectorI6__halfNS0_10empty_typeEEEZZNS1_27merge_sort_block_merge_implIS3_PS5_PS6_jNS1_19radix_merge_compareILb1ELb0ES5_NS0_19identity_decomposerEEEEE10hipError_tT0_T1_T2_jT3_P12ihipStream_tbPNSt15iterator_traitsISF_E10value_typeEPNSL_ISG_E10value_typeEPSH_NS1_7vsmem_tEENKUlT_SF_SG_SH_E_clIS9_S9_SA_SA_EESE_SU_SF_SG_SH_EUlSU_E1_NS1_11comp_targetILNS1_3genE3ELNS1_11target_archE908ELNS1_3gpuE7ELNS1_3repE0EEENS1_36merge_oddeven_config_static_selectorELNS0_4arch9wavefront6targetE0EEEvSG_
	.p2align	8
	.type	_ZN7rocprim17ROCPRIM_400000_NS6detail17trampoline_kernelINS0_14default_configENS1_38merge_sort_block_merge_config_selectorI6__halfNS0_10empty_typeEEEZZNS1_27merge_sort_block_merge_implIS3_PS5_PS6_jNS1_19radix_merge_compareILb1ELb0ES5_NS0_19identity_decomposerEEEEE10hipError_tT0_T1_T2_jT3_P12ihipStream_tbPNSt15iterator_traitsISF_E10value_typeEPNSL_ISG_E10value_typeEPSH_NS1_7vsmem_tEENKUlT_SF_SG_SH_E_clIS9_S9_SA_SA_EESE_SU_SF_SG_SH_EUlSU_E1_NS1_11comp_targetILNS1_3genE3ELNS1_11target_archE908ELNS1_3gpuE7ELNS1_3repE0EEENS1_36merge_oddeven_config_static_selectorELNS0_4arch9wavefront6targetE0EEEvSG_,@function
_ZN7rocprim17ROCPRIM_400000_NS6detail17trampoline_kernelINS0_14default_configENS1_38merge_sort_block_merge_config_selectorI6__halfNS0_10empty_typeEEEZZNS1_27merge_sort_block_merge_implIS3_PS5_PS6_jNS1_19radix_merge_compareILb1ELb0ES5_NS0_19identity_decomposerEEEEE10hipError_tT0_T1_T2_jT3_P12ihipStream_tbPNSt15iterator_traitsISF_E10value_typeEPNSL_ISG_E10value_typeEPSH_NS1_7vsmem_tEENKUlT_SF_SG_SH_E_clIS9_S9_SA_SA_EESE_SU_SF_SG_SH_EUlSU_E1_NS1_11comp_targetILNS1_3genE3ELNS1_11target_archE908ELNS1_3gpuE7ELNS1_3repE0EEENS1_36merge_oddeven_config_static_selectorELNS0_4arch9wavefront6targetE0EEEvSG_: ; @_ZN7rocprim17ROCPRIM_400000_NS6detail17trampoline_kernelINS0_14default_configENS1_38merge_sort_block_merge_config_selectorI6__halfNS0_10empty_typeEEEZZNS1_27merge_sort_block_merge_implIS3_PS5_PS6_jNS1_19radix_merge_compareILb1ELb0ES5_NS0_19identity_decomposerEEEEE10hipError_tT0_T1_T2_jT3_P12ihipStream_tbPNSt15iterator_traitsISF_E10value_typeEPNSL_ISG_E10value_typeEPSH_NS1_7vsmem_tEENKUlT_SF_SG_SH_E_clIS9_S9_SA_SA_EESE_SU_SF_SG_SH_EUlSU_E1_NS1_11comp_targetILNS1_3genE3ELNS1_11target_archE908ELNS1_3gpuE7ELNS1_3repE0EEENS1_36merge_oddeven_config_static_selectorELNS0_4arch9wavefront6targetE0EEEvSG_
; %bb.0:
	.section	.rodata,"a",@progbits
	.p2align	6, 0x0
	.amdhsa_kernel _ZN7rocprim17ROCPRIM_400000_NS6detail17trampoline_kernelINS0_14default_configENS1_38merge_sort_block_merge_config_selectorI6__halfNS0_10empty_typeEEEZZNS1_27merge_sort_block_merge_implIS3_PS5_PS6_jNS1_19radix_merge_compareILb1ELb0ES5_NS0_19identity_decomposerEEEEE10hipError_tT0_T1_T2_jT3_P12ihipStream_tbPNSt15iterator_traitsISF_E10value_typeEPNSL_ISG_E10value_typeEPSH_NS1_7vsmem_tEENKUlT_SF_SG_SH_E_clIS9_S9_SA_SA_EESE_SU_SF_SG_SH_EUlSU_E1_NS1_11comp_targetILNS1_3genE3ELNS1_11target_archE908ELNS1_3gpuE7ELNS1_3repE0EEENS1_36merge_oddeven_config_static_selectorELNS0_4arch9wavefront6targetE0EEEvSG_
		.amdhsa_group_segment_fixed_size 0
		.amdhsa_private_segment_fixed_size 0
		.amdhsa_kernarg_size 48
		.amdhsa_user_sgpr_count 2
		.amdhsa_user_sgpr_dispatch_ptr 0
		.amdhsa_user_sgpr_queue_ptr 0
		.amdhsa_user_sgpr_kernarg_segment_ptr 1
		.amdhsa_user_sgpr_dispatch_id 0
		.amdhsa_user_sgpr_kernarg_preload_length 0
		.amdhsa_user_sgpr_kernarg_preload_offset 0
		.amdhsa_user_sgpr_private_segment_size 0
		.amdhsa_wavefront_size32 1
		.amdhsa_uses_dynamic_stack 0
		.amdhsa_enable_private_segment 0
		.amdhsa_system_sgpr_workgroup_id_x 1
		.amdhsa_system_sgpr_workgroup_id_y 0
		.amdhsa_system_sgpr_workgroup_id_z 0
		.amdhsa_system_sgpr_workgroup_info 0
		.amdhsa_system_vgpr_workitem_id 0
		.amdhsa_next_free_vgpr 1
		.amdhsa_next_free_sgpr 1
		.amdhsa_named_barrier_count 0
		.amdhsa_reserve_vcc 0
		.amdhsa_float_round_mode_32 0
		.amdhsa_float_round_mode_16_64 0
		.amdhsa_float_denorm_mode_32 3
		.amdhsa_float_denorm_mode_16_64 3
		.amdhsa_fp16_overflow 0
		.amdhsa_memory_ordered 1
		.amdhsa_forward_progress 1
		.amdhsa_inst_pref_size 0
		.amdhsa_round_robin_scheduling 0
		.amdhsa_exception_fp_ieee_invalid_op 0
		.amdhsa_exception_fp_denorm_src 0
		.amdhsa_exception_fp_ieee_div_zero 0
		.amdhsa_exception_fp_ieee_overflow 0
		.amdhsa_exception_fp_ieee_underflow 0
		.amdhsa_exception_fp_ieee_inexact 0
		.amdhsa_exception_int_div_zero 0
	.end_amdhsa_kernel
	.section	.text._ZN7rocprim17ROCPRIM_400000_NS6detail17trampoline_kernelINS0_14default_configENS1_38merge_sort_block_merge_config_selectorI6__halfNS0_10empty_typeEEEZZNS1_27merge_sort_block_merge_implIS3_PS5_PS6_jNS1_19radix_merge_compareILb1ELb0ES5_NS0_19identity_decomposerEEEEE10hipError_tT0_T1_T2_jT3_P12ihipStream_tbPNSt15iterator_traitsISF_E10value_typeEPNSL_ISG_E10value_typeEPSH_NS1_7vsmem_tEENKUlT_SF_SG_SH_E_clIS9_S9_SA_SA_EESE_SU_SF_SG_SH_EUlSU_E1_NS1_11comp_targetILNS1_3genE3ELNS1_11target_archE908ELNS1_3gpuE7ELNS1_3repE0EEENS1_36merge_oddeven_config_static_selectorELNS0_4arch9wavefront6targetE0EEEvSG_,"axG",@progbits,_ZN7rocprim17ROCPRIM_400000_NS6detail17trampoline_kernelINS0_14default_configENS1_38merge_sort_block_merge_config_selectorI6__halfNS0_10empty_typeEEEZZNS1_27merge_sort_block_merge_implIS3_PS5_PS6_jNS1_19radix_merge_compareILb1ELb0ES5_NS0_19identity_decomposerEEEEE10hipError_tT0_T1_T2_jT3_P12ihipStream_tbPNSt15iterator_traitsISF_E10value_typeEPNSL_ISG_E10value_typeEPSH_NS1_7vsmem_tEENKUlT_SF_SG_SH_E_clIS9_S9_SA_SA_EESE_SU_SF_SG_SH_EUlSU_E1_NS1_11comp_targetILNS1_3genE3ELNS1_11target_archE908ELNS1_3gpuE7ELNS1_3repE0EEENS1_36merge_oddeven_config_static_selectorELNS0_4arch9wavefront6targetE0EEEvSG_,comdat
.Lfunc_end2125:
	.size	_ZN7rocprim17ROCPRIM_400000_NS6detail17trampoline_kernelINS0_14default_configENS1_38merge_sort_block_merge_config_selectorI6__halfNS0_10empty_typeEEEZZNS1_27merge_sort_block_merge_implIS3_PS5_PS6_jNS1_19radix_merge_compareILb1ELb0ES5_NS0_19identity_decomposerEEEEE10hipError_tT0_T1_T2_jT3_P12ihipStream_tbPNSt15iterator_traitsISF_E10value_typeEPNSL_ISG_E10value_typeEPSH_NS1_7vsmem_tEENKUlT_SF_SG_SH_E_clIS9_S9_SA_SA_EESE_SU_SF_SG_SH_EUlSU_E1_NS1_11comp_targetILNS1_3genE3ELNS1_11target_archE908ELNS1_3gpuE7ELNS1_3repE0EEENS1_36merge_oddeven_config_static_selectorELNS0_4arch9wavefront6targetE0EEEvSG_, .Lfunc_end2125-_ZN7rocprim17ROCPRIM_400000_NS6detail17trampoline_kernelINS0_14default_configENS1_38merge_sort_block_merge_config_selectorI6__halfNS0_10empty_typeEEEZZNS1_27merge_sort_block_merge_implIS3_PS5_PS6_jNS1_19radix_merge_compareILb1ELb0ES5_NS0_19identity_decomposerEEEEE10hipError_tT0_T1_T2_jT3_P12ihipStream_tbPNSt15iterator_traitsISF_E10value_typeEPNSL_ISG_E10value_typeEPSH_NS1_7vsmem_tEENKUlT_SF_SG_SH_E_clIS9_S9_SA_SA_EESE_SU_SF_SG_SH_EUlSU_E1_NS1_11comp_targetILNS1_3genE3ELNS1_11target_archE908ELNS1_3gpuE7ELNS1_3repE0EEENS1_36merge_oddeven_config_static_selectorELNS0_4arch9wavefront6targetE0EEEvSG_
                                        ; -- End function
	.set _ZN7rocprim17ROCPRIM_400000_NS6detail17trampoline_kernelINS0_14default_configENS1_38merge_sort_block_merge_config_selectorI6__halfNS0_10empty_typeEEEZZNS1_27merge_sort_block_merge_implIS3_PS5_PS6_jNS1_19radix_merge_compareILb1ELb0ES5_NS0_19identity_decomposerEEEEE10hipError_tT0_T1_T2_jT3_P12ihipStream_tbPNSt15iterator_traitsISF_E10value_typeEPNSL_ISG_E10value_typeEPSH_NS1_7vsmem_tEENKUlT_SF_SG_SH_E_clIS9_S9_SA_SA_EESE_SU_SF_SG_SH_EUlSU_E1_NS1_11comp_targetILNS1_3genE3ELNS1_11target_archE908ELNS1_3gpuE7ELNS1_3repE0EEENS1_36merge_oddeven_config_static_selectorELNS0_4arch9wavefront6targetE0EEEvSG_.num_vgpr, 0
	.set _ZN7rocprim17ROCPRIM_400000_NS6detail17trampoline_kernelINS0_14default_configENS1_38merge_sort_block_merge_config_selectorI6__halfNS0_10empty_typeEEEZZNS1_27merge_sort_block_merge_implIS3_PS5_PS6_jNS1_19radix_merge_compareILb1ELb0ES5_NS0_19identity_decomposerEEEEE10hipError_tT0_T1_T2_jT3_P12ihipStream_tbPNSt15iterator_traitsISF_E10value_typeEPNSL_ISG_E10value_typeEPSH_NS1_7vsmem_tEENKUlT_SF_SG_SH_E_clIS9_S9_SA_SA_EESE_SU_SF_SG_SH_EUlSU_E1_NS1_11comp_targetILNS1_3genE3ELNS1_11target_archE908ELNS1_3gpuE7ELNS1_3repE0EEENS1_36merge_oddeven_config_static_selectorELNS0_4arch9wavefront6targetE0EEEvSG_.num_agpr, 0
	.set _ZN7rocprim17ROCPRIM_400000_NS6detail17trampoline_kernelINS0_14default_configENS1_38merge_sort_block_merge_config_selectorI6__halfNS0_10empty_typeEEEZZNS1_27merge_sort_block_merge_implIS3_PS5_PS6_jNS1_19radix_merge_compareILb1ELb0ES5_NS0_19identity_decomposerEEEEE10hipError_tT0_T1_T2_jT3_P12ihipStream_tbPNSt15iterator_traitsISF_E10value_typeEPNSL_ISG_E10value_typeEPSH_NS1_7vsmem_tEENKUlT_SF_SG_SH_E_clIS9_S9_SA_SA_EESE_SU_SF_SG_SH_EUlSU_E1_NS1_11comp_targetILNS1_3genE3ELNS1_11target_archE908ELNS1_3gpuE7ELNS1_3repE0EEENS1_36merge_oddeven_config_static_selectorELNS0_4arch9wavefront6targetE0EEEvSG_.numbered_sgpr, 0
	.set _ZN7rocprim17ROCPRIM_400000_NS6detail17trampoline_kernelINS0_14default_configENS1_38merge_sort_block_merge_config_selectorI6__halfNS0_10empty_typeEEEZZNS1_27merge_sort_block_merge_implIS3_PS5_PS6_jNS1_19radix_merge_compareILb1ELb0ES5_NS0_19identity_decomposerEEEEE10hipError_tT0_T1_T2_jT3_P12ihipStream_tbPNSt15iterator_traitsISF_E10value_typeEPNSL_ISG_E10value_typeEPSH_NS1_7vsmem_tEENKUlT_SF_SG_SH_E_clIS9_S9_SA_SA_EESE_SU_SF_SG_SH_EUlSU_E1_NS1_11comp_targetILNS1_3genE3ELNS1_11target_archE908ELNS1_3gpuE7ELNS1_3repE0EEENS1_36merge_oddeven_config_static_selectorELNS0_4arch9wavefront6targetE0EEEvSG_.num_named_barrier, 0
	.set _ZN7rocprim17ROCPRIM_400000_NS6detail17trampoline_kernelINS0_14default_configENS1_38merge_sort_block_merge_config_selectorI6__halfNS0_10empty_typeEEEZZNS1_27merge_sort_block_merge_implIS3_PS5_PS6_jNS1_19radix_merge_compareILb1ELb0ES5_NS0_19identity_decomposerEEEEE10hipError_tT0_T1_T2_jT3_P12ihipStream_tbPNSt15iterator_traitsISF_E10value_typeEPNSL_ISG_E10value_typeEPSH_NS1_7vsmem_tEENKUlT_SF_SG_SH_E_clIS9_S9_SA_SA_EESE_SU_SF_SG_SH_EUlSU_E1_NS1_11comp_targetILNS1_3genE3ELNS1_11target_archE908ELNS1_3gpuE7ELNS1_3repE0EEENS1_36merge_oddeven_config_static_selectorELNS0_4arch9wavefront6targetE0EEEvSG_.private_seg_size, 0
	.set _ZN7rocprim17ROCPRIM_400000_NS6detail17trampoline_kernelINS0_14default_configENS1_38merge_sort_block_merge_config_selectorI6__halfNS0_10empty_typeEEEZZNS1_27merge_sort_block_merge_implIS3_PS5_PS6_jNS1_19radix_merge_compareILb1ELb0ES5_NS0_19identity_decomposerEEEEE10hipError_tT0_T1_T2_jT3_P12ihipStream_tbPNSt15iterator_traitsISF_E10value_typeEPNSL_ISG_E10value_typeEPSH_NS1_7vsmem_tEENKUlT_SF_SG_SH_E_clIS9_S9_SA_SA_EESE_SU_SF_SG_SH_EUlSU_E1_NS1_11comp_targetILNS1_3genE3ELNS1_11target_archE908ELNS1_3gpuE7ELNS1_3repE0EEENS1_36merge_oddeven_config_static_selectorELNS0_4arch9wavefront6targetE0EEEvSG_.uses_vcc, 0
	.set _ZN7rocprim17ROCPRIM_400000_NS6detail17trampoline_kernelINS0_14default_configENS1_38merge_sort_block_merge_config_selectorI6__halfNS0_10empty_typeEEEZZNS1_27merge_sort_block_merge_implIS3_PS5_PS6_jNS1_19radix_merge_compareILb1ELb0ES5_NS0_19identity_decomposerEEEEE10hipError_tT0_T1_T2_jT3_P12ihipStream_tbPNSt15iterator_traitsISF_E10value_typeEPNSL_ISG_E10value_typeEPSH_NS1_7vsmem_tEENKUlT_SF_SG_SH_E_clIS9_S9_SA_SA_EESE_SU_SF_SG_SH_EUlSU_E1_NS1_11comp_targetILNS1_3genE3ELNS1_11target_archE908ELNS1_3gpuE7ELNS1_3repE0EEENS1_36merge_oddeven_config_static_selectorELNS0_4arch9wavefront6targetE0EEEvSG_.uses_flat_scratch, 0
	.set _ZN7rocprim17ROCPRIM_400000_NS6detail17trampoline_kernelINS0_14default_configENS1_38merge_sort_block_merge_config_selectorI6__halfNS0_10empty_typeEEEZZNS1_27merge_sort_block_merge_implIS3_PS5_PS6_jNS1_19radix_merge_compareILb1ELb0ES5_NS0_19identity_decomposerEEEEE10hipError_tT0_T1_T2_jT3_P12ihipStream_tbPNSt15iterator_traitsISF_E10value_typeEPNSL_ISG_E10value_typeEPSH_NS1_7vsmem_tEENKUlT_SF_SG_SH_E_clIS9_S9_SA_SA_EESE_SU_SF_SG_SH_EUlSU_E1_NS1_11comp_targetILNS1_3genE3ELNS1_11target_archE908ELNS1_3gpuE7ELNS1_3repE0EEENS1_36merge_oddeven_config_static_selectorELNS0_4arch9wavefront6targetE0EEEvSG_.has_dyn_sized_stack, 0
	.set _ZN7rocprim17ROCPRIM_400000_NS6detail17trampoline_kernelINS0_14default_configENS1_38merge_sort_block_merge_config_selectorI6__halfNS0_10empty_typeEEEZZNS1_27merge_sort_block_merge_implIS3_PS5_PS6_jNS1_19radix_merge_compareILb1ELb0ES5_NS0_19identity_decomposerEEEEE10hipError_tT0_T1_T2_jT3_P12ihipStream_tbPNSt15iterator_traitsISF_E10value_typeEPNSL_ISG_E10value_typeEPSH_NS1_7vsmem_tEENKUlT_SF_SG_SH_E_clIS9_S9_SA_SA_EESE_SU_SF_SG_SH_EUlSU_E1_NS1_11comp_targetILNS1_3genE3ELNS1_11target_archE908ELNS1_3gpuE7ELNS1_3repE0EEENS1_36merge_oddeven_config_static_selectorELNS0_4arch9wavefront6targetE0EEEvSG_.has_recursion, 0
	.set _ZN7rocprim17ROCPRIM_400000_NS6detail17trampoline_kernelINS0_14default_configENS1_38merge_sort_block_merge_config_selectorI6__halfNS0_10empty_typeEEEZZNS1_27merge_sort_block_merge_implIS3_PS5_PS6_jNS1_19radix_merge_compareILb1ELb0ES5_NS0_19identity_decomposerEEEEE10hipError_tT0_T1_T2_jT3_P12ihipStream_tbPNSt15iterator_traitsISF_E10value_typeEPNSL_ISG_E10value_typeEPSH_NS1_7vsmem_tEENKUlT_SF_SG_SH_E_clIS9_S9_SA_SA_EESE_SU_SF_SG_SH_EUlSU_E1_NS1_11comp_targetILNS1_3genE3ELNS1_11target_archE908ELNS1_3gpuE7ELNS1_3repE0EEENS1_36merge_oddeven_config_static_selectorELNS0_4arch9wavefront6targetE0EEEvSG_.has_indirect_call, 0
	.section	.AMDGPU.csdata,"",@progbits
; Kernel info:
; codeLenInByte = 0
; TotalNumSgprs: 0
; NumVgprs: 0
; ScratchSize: 0
; MemoryBound: 0
; FloatMode: 240
; IeeeMode: 1
; LDSByteSize: 0 bytes/workgroup (compile time only)
; SGPRBlocks: 0
; VGPRBlocks: 0
; NumSGPRsForWavesPerEU: 1
; NumVGPRsForWavesPerEU: 1
; NamedBarCnt: 0
; Occupancy: 16
; WaveLimiterHint : 0
; COMPUTE_PGM_RSRC2:SCRATCH_EN: 0
; COMPUTE_PGM_RSRC2:USER_SGPR: 2
; COMPUTE_PGM_RSRC2:TRAP_HANDLER: 0
; COMPUTE_PGM_RSRC2:TGID_X_EN: 1
; COMPUTE_PGM_RSRC2:TGID_Y_EN: 0
; COMPUTE_PGM_RSRC2:TGID_Z_EN: 0
; COMPUTE_PGM_RSRC2:TIDIG_COMP_CNT: 0
	.section	.text._ZN7rocprim17ROCPRIM_400000_NS6detail17trampoline_kernelINS0_14default_configENS1_38merge_sort_block_merge_config_selectorI6__halfNS0_10empty_typeEEEZZNS1_27merge_sort_block_merge_implIS3_PS5_PS6_jNS1_19radix_merge_compareILb1ELb0ES5_NS0_19identity_decomposerEEEEE10hipError_tT0_T1_T2_jT3_P12ihipStream_tbPNSt15iterator_traitsISF_E10value_typeEPNSL_ISG_E10value_typeEPSH_NS1_7vsmem_tEENKUlT_SF_SG_SH_E_clIS9_S9_SA_SA_EESE_SU_SF_SG_SH_EUlSU_E1_NS1_11comp_targetILNS1_3genE2ELNS1_11target_archE906ELNS1_3gpuE6ELNS1_3repE0EEENS1_36merge_oddeven_config_static_selectorELNS0_4arch9wavefront6targetE0EEEvSG_,"axG",@progbits,_ZN7rocprim17ROCPRIM_400000_NS6detail17trampoline_kernelINS0_14default_configENS1_38merge_sort_block_merge_config_selectorI6__halfNS0_10empty_typeEEEZZNS1_27merge_sort_block_merge_implIS3_PS5_PS6_jNS1_19radix_merge_compareILb1ELb0ES5_NS0_19identity_decomposerEEEEE10hipError_tT0_T1_T2_jT3_P12ihipStream_tbPNSt15iterator_traitsISF_E10value_typeEPNSL_ISG_E10value_typeEPSH_NS1_7vsmem_tEENKUlT_SF_SG_SH_E_clIS9_S9_SA_SA_EESE_SU_SF_SG_SH_EUlSU_E1_NS1_11comp_targetILNS1_3genE2ELNS1_11target_archE906ELNS1_3gpuE6ELNS1_3repE0EEENS1_36merge_oddeven_config_static_selectorELNS0_4arch9wavefront6targetE0EEEvSG_,comdat
	.protected	_ZN7rocprim17ROCPRIM_400000_NS6detail17trampoline_kernelINS0_14default_configENS1_38merge_sort_block_merge_config_selectorI6__halfNS0_10empty_typeEEEZZNS1_27merge_sort_block_merge_implIS3_PS5_PS6_jNS1_19radix_merge_compareILb1ELb0ES5_NS0_19identity_decomposerEEEEE10hipError_tT0_T1_T2_jT3_P12ihipStream_tbPNSt15iterator_traitsISF_E10value_typeEPNSL_ISG_E10value_typeEPSH_NS1_7vsmem_tEENKUlT_SF_SG_SH_E_clIS9_S9_SA_SA_EESE_SU_SF_SG_SH_EUlSU_E1_NS1_11comp_targetILNS1_3genE2ELNS1_11target_archE906ELNS1_3gpuE6ELNS1_3repE0EEENS1_36merge_oddeven_config_static_selectorELNS0_4arch9wavefront6targetE0EEEvSG_ ; -- Begin function _ZN7rocprim17ROCPRIM_400000_NS6detail17trampoline_kernelINS0_14default_configENS1_38merge_sort_block_merge_config_selectorI6__halfNS0_10empty_typeEEEZZNS1_27merge_sort_block_merge_implIS3_PS5_PS6_jNS1_19radix_merge_compareILb1ELb0ES5_NS0_19identity_decomposerEEEEE10hipError_tT0_T1_T2_jT3_P12ihipStream_tbPNSt15iterator_traitsISF_E10value_typeEPNSL_ISG_E10value_typeEPSH_NS1_7vsmem_tEENKUlT_SF_SG_SH_E_clIS9_S9_SA_SA_EESE_SU_SF_SG_SH_EUlSU_E1_NS1_11comp_targetILNS1_3genE2ELNS1_11target_archE906ELNS1_3gpuE6ELNS1_3repE0EEENS1_36merge_oddeven_config_static_selectorELNS0_4arch9wavefront6targetE0EEEvSG_
	.globl	_ZN7rocprim17ROCPRIM_400000_NS6detail17trampoline_kernelINS0_14default_configENS1_38merge_sort_block_merge_config_selectorI6__halfNS0_10empty_typeEEEZZNS1_27merge_sort_block_merge_implIS3_PS5_PS6_jNS1_19radix_merge_compareILb1ELb0ES5_NS0_19identity_decomposerEEEEE10hipError_tT0_T1_T2_jT3_P12ihipStream_tbPNSt15iterator_traitsISF_E10value_typeEPNSL_ISG_E10value_typeEPSH_NS1_7vsmem_tEENKUlT_SF_SG_SH_E_clIS9_S9_SA_SA_EESE_SU_SF_SG_SH_EUlSU_E1_NS1_11comp_targetILNS1_3genE2ELNS1_11target_archE906ELNS1_3gpuE6ELNS1_3repE0EEENS1_36merge_oddeven_config_static_selectorELNS0_4arch9wavefront6targetE0EEEvSG_
	.p2align	8
	.type	_ZN7rocprim17ROCPRIM_400000_NS6detail17trampoline_kernelINS0_14default_configENS1_38merge_sort_block_merge_config_selectorI6__halfNS0_10empty_typeEEEZZNS1_27merge_sort_block_merge_implIS3_PS5_PS6_jNS1_19radix_merge_compareILb1ELb0ES5_NS0_19identity_decomposerEEEEE10hipError_tT0_T1_T2_jT3_P12ihipStream_tbPNSt15iterator_traitsISF_E10value_typeEPNSL_ISG_E10value_typeEPSH_NS1_7vsmem_tEENKUlT_SF_SG_SH_E_clIS9_S9_SA_SA_EESE_SU_SF_SG_SH_EUlSU_E1_NS1_11comp_targetILNS1_3genE2ELNS1_11target_archE906ELNS1_3gpuE6ELNS1_3repE0EEENS1_36merge_oddeven_config_static_selectorELNS0_4arch9wavefront6targetE0EEEvSG_,@function
_ZN7rocprim17ROCPRIM_400000_NS6detail17trampoline_kernelINS0_14default_configENS1_38merge_sort_block_merge_config_selectorI6__halfNS0_10empty_typeEEEZZNS1_27merge_sort_block_merge_implIS3_PS5_PS6_jNS1_19radix_merge_compareILb1ELb0ES5_NS0_19identity_decomposerEEEEE10hipError_tT0_T1_T2_jT3_P12ihipStream_tbPNSt15iterator_traitsISF_E10value_typeEPNSL_ISG_E10value_typeEPSH_NS1_7vsmem_tEENKUlT_SF_SG_SH_E_clIS9_S9_SA_SA_EESE_SU_SF_SG_SH_EUlSU_E1_NS1_11comp_targetILNS1_3genE2ELNS1_11target_archE906ELNS1_3gpuE6ELNS1_3repE0EEENS1_36merge_oddeven_config_static_selectorELNS0_4arch9wavefront6targetE0EEEvSG_: ; @_ZN7rocprim17ROCPRIM_400000_NS6detail17trampoline_kernelINS0_14default_configENS1_38merge_sort_block_merge_config_selectorI6__halfNS0_10empty_typeEEEZZNS1_27merge_sort_block_merge_implIS3_PS5_PS6_jNS1_19radix_merge_compareILb1ELb0ES5_NS0_19identity_decomposerEEEEE10hipError_tT0_T1_T2_jT3_P12ihipStream_tbPNSt15iterator_traitsISF_E10value_typeEPNSL_ISG_E10value_typeEPSH_NS1_7vsmem_tEENKUlT_SF_SG_SH_E_clIS9_S9_SA_SA_EESE_SU_SF_SG_SH_EUlSU_E1_NS1_11comp_targetILNS1_3genE2ELNS1_11target_archE906ELNS1_3gpuE6ELNS1_3repE0EEENS1_36merge_oddeven_config_static_selectorELNS0_4arch9wavefront6targetE0EEEvSG_
; %bb.0:
	.section	.rodata,"a",@progbits
	.p2align	6, 0x0
	.amdhsa_kernel _ZN7rocprim17ROCPRIM_400000_NS6detail17trampoline_kernelINS0_14default_configENS1_38merge_sort_block_merge_config_selectorI6__halfNS0_10empty_typeEEEZZNS1_27merge_sort_block_merge_implIS3_PS5_PS6_jNS1_19radix_merge_compareILb1ELb0ES5_NS0_19identity_decomposerEEEEE10hipError_tT0_T1_T2_jT3_P12ihipStream_tbPNSt15iterator_traitsISF_E10value_typeEPNSL_ISG_E10value_typeEPSH_NS1_7vsmem_tEENKUlT_SF_SG_SH_E_clIS9_S9_SA_SA_EESE_SU_SF_SG_SH_EUlSU_E1_NS1_11comp_targetILNS1_3genE2ELNS1_11target_archE906ELNS1_3gpuE6ELNS1_3repE0EEENS1_36merge_oddeven_config_static_selectorELNS0_4arch9wavefront6targetE0EEEvSG_
		.amdhsa_group_segment_fixed_size 0
		.amdhsa_private_segment_fixed_size 0
		.amdhsa_kernarg_size 48
		.amdhsa_user_sgpr_count 2
		.amdhsa_user_sgpr_dispatch_ptr 0
		.amdhsa_user_sgpr_queue_ptr 0
		.amdhsa_user_sgpr_kernarg_segment_ptr 1
		.amdhsa_user_sgpr_dispatch_id 0
		.amdhsa_user_sgpr_kernarg_preload_length 0
		.amdhsa_user_sgpr_kernarg_preload_offset 0
		.amdhsa_user_sgpr_private_segment_size 0
		.amdhsa_wavefront_size32 1
		.amdhsa_uses_dynamic_stack 0
		.amdhsa_enable_private_segment 0
		.amdhsa_system_sgpr_workgroup_id_x 1
		.amdhsa_system_sgpr_workgroup_id_y 0
		.amdhsa_system_sgpr_workgroup_id_z 0
		.amdhsa_system_sgpr_workgroup_info 0
		.amdhsa_system_vgpr_workitem_id 0
		.amdhsa_next_free_vgpr 1
		.amdhsa_next_free_sgpr 1
		.amdhsa_named_barrier_count 0
		.amdhsa_reserve_vcc 0
		.amdhsa_float_round_mode_32 0
		.amdhsa_float_round_mode_16_64 0
		.amdhsa_float_denorm_mode_32 3
		.amdhsa_float_denorm_mode_16_64 3
		.amdhsa_fp16_overflow 0
		.amdhsa_memory_ordered 1
		.amdhsa_forward_progress 1
		.amdhsa_inst_pref_size 0
		.amdhsa_round_robin_scheduling 0
		.amdhsa_exception_fp_ieee_invalid_op 0
		.amdhsa_exception_fp_denorm_src 0
		.amdhsa_exception_fp_ieee_div_zero 0
		.amdhsa_exception_fp_ieee_overflow 0
		.amdhsa_exception_fp_ieee_underflow 0
		.amdhsa_exception_fp_ieee_inexact 0
		.amdhsa_exception_int_div_zero 0
	.end_amdhsa_kernel
	.section	.text._ZN7rocprim17ROCPRIM_400000_NS6detail17trampoline_kernelINS0_14default_configENS1_38merge_sort_block_merge_config_selectorI6__halfNS0_10empty_typeEEEZZNS1_27merge_sort_block_merge_implIS3_PS5_PS6_jNS1_19radix_merge_compareILb1ELb0ES5_NS0_19identity_decomposerEEEEE10hipError_tT0_T1_T2_jT3_P12ihipStream_tbPNSt15iterator_traitsISF_E10value_typeEPNSL_ISG_E10value_typeEPSH_NS1_7vsmem_tEENKUlT_SF_SG_SH_E_clIS9_S9_SA_SA_EESE_SU_SF_SG_SH_EUlSU_E1_NS1_11comp_targetILNS1_3genE2ELNS1_11target_archE906ELNS1_3gpuE6ELNS1_3repE0EEENS1_36merge_oddeven_config_static_selectorELNS0_4arch9wavefront6targetE0EEEvSG_,"axG",@progbits,_ZN7rocprim17ROCPRIM_400000_NS6detail17trampoline_kernelINS0_14default_configENS1_38merge_sort_block_merge_config_selectorI6__halfNS0_10empty_typeEEEZZNS1_27merge_sort_block_merge_implIS3_PS5_PS6_jNS1_19radix_merge_compareILb1ELb0ES5_NS0_19identity_decomposerEEEEE10hipError_tT0_T1_T2_jT3_P12ihipStream_tbPNSt15iterator_traitsISF_E10value_typeEPNSL_ISG_E10value_typeEPSH_NS1_7vsmem_tEENKUlT_SF_SG_SH_E_clIS9_S9_SA_SA_EESE_SU_SF_SG_SH_EUlSU_E1_NS1_11comp_targetILNS1_3genE2ELNS1_11target_archE906ELNS1_3gpuE6ELNS1_3repE0EEENS1_36merge_oddeven_config_static_selectorELNS0_4arch9wavefront6targetE0EEEvSG_,comdat
.Lfunc_end2126:
	.size	_ZN7rocprim17ROCPRIM_400000_NS6detail17trampoline_kernelINS0_14default_configENS1_38merge_sort_block_merge_config_selectorI6__halfNS0_10empty_typeEEEZZNS1_27merge_sort_block_merge_implIS3_PS5_PS6_jNS1_19radix_merge_compareILb1ELb0ES5_NS0_19identity_decomposerEEEEE10hipError_tT0_T1_T2_jT3_P12ihipStream_tbPNSt15iterator_traitsISF_E10value_typeEPNSL_ISG_E10value_typeEPSH_NS1_7vsmem_tEENKUlT_SF_SG_SH_E_clIS9_S9_SA_SA_EESE_SU_SF_SG_SH_EUlSU_E1_NS1_11comp_targetILNS1_3genE2ELNS1_11target_archE906ELNS1_3gpuE6ELNS1_3repE0EEENS1_36merge_oddeven_config_static_selectorELNS0_4arch9wavefront6targetE0EEEvSG_, .Lfunc_end2126-_ZN7rocprim17ROCPRIM_400000_NS6detail17trampoline_kernelINS0_14default_configENS1_38merge_sort_block_merge_config_selectorI6__halfNS0_10empty_typeEEEZZNS1_27merge_sort_block_merge_implIS3_PS5_PS6_jNS1_19radix_merge_compareILb1ELb0ES5_NS0_19identity_decomposerEEEEE10hipError_tT0_T1_T2_jT3_P12ihipStream_tbPNSt15iterator_traitsISF_E10value_typeEPNSL_ISG_E10value_typeEPSH_NS1_7vsmem_tEENKUlT_SF_SG_SH_E_clIS9_S9_SA_SA_EESE_SU_SF_SG_SH_EUlSU_E1_NS1_11comp_targetILNS1_3genE2ELNS1_11target_archE906ELNS1_3gpuE6ELNS1_3repE0EEENS1_36merge_oddeven_config_static_selectorELNS0_4arch9wavefront6targetE0EEEvSG_
                                        ; -- End function
	.set _ZN7rocprim17ROCPRIM_400000_NS6detail17trampoline_kernelINS0_14default_configENS1_38merge_sort_block_merge_config_selectorI6__halfNS0_10empty_typeEEEZZNS1_27merge_sort_block_merge_implIS3_PS5_PS6_jNS1_19radix_merge_compareILb1ELb0ES5_NS0_19identity_decomposerEEEEE10hipError_tT0_T1_T2_jT3_P12ihipStream_tbPNSt15iterator_traitsISF_E10value_typeEPNSL_ISG_E10value_typeEPSH_NS1_7vsmem_tEENKUlT_SF_SG_SH_E_clIS9_S9_SA_SA_EESE_SU_SF_SG_SH_EUlSU_E1_NS1_11comp_targetILNS1_3genE2ELNS1_11target_archE906ELNS1_3gpuE6ELNS1_3repE0EEENS1_36merge_oddeven_config_static_selectorELNS0_4arch9wavefront6targetE0EEEvSG_.num_vgpr, 0
	.set _ZN7rocprim17ROCPRIM_400000_NS6detail17trampoline_kernelINS0_14default_configENS1_38merge_sort_block_merge_config_selectorI6__halfNS0_10empty_typeEEEZZNS1_27merge_sort_block_merge_implIS3_PS5_PS6_jNS1_19radix_merge_compareILb1ELb0ES5_NS0_19identity_decomposerEEEEE10hipError_tT0_T1_T2_jT3_P12ihipStream_tbPNSt15iterator_traitsISF_E10value_typeEPNSL_ISG_E10value_typeEPSH_NS1_7vsmem_tEENKUlT_SF_SG_SH_E_clIS9_S9_SA_SA_EESE_SU_SF_SG_SH_EUlSU_E1_NS1_11comp_targetILNS1_3genE2ELNS1_11target_archE906ELNS1_3gpuE6ELNS1_3repE0EEENS1_36merge_oddeven_config_static_selectorELNS0_4arch9wavefront6targetE0EEEvSG_.num_agpr, 0
	.set _ZN7rocprim17ROCPRIM_400000_NS6detail17trampoline_kernelINS0_14default_configENS1_38merge_sort_block_merge_config_selectorI6__halfNS0_10empty_typeEEEZZNS1_27merge_sort_block_merge_implIS3_PS5_PS6_jNS1_19radix_merge_compareILb1ELb0ES5_NS0_19identity_decomposerEEEEE10hipError_tT0_T1_T2_jT3_P12ihipStream_tbPNSt15iterator_traitsISF_E10value_typeEPNSL_ISG_E10value_typeEPSH_NS1_7vsmem_tEENKUlT_SF_SG_SH_E_clIS9_S9_SA_SA_EESE_SU_SF_SG_SH_EUlSU_E1_NS1_11comp_targetILNS1_3genE2ELNS1_11target_archE906ELNS1_3gpuE6ELNS1_3repE0EEENS1_36merge_oddeven_config_static_selectorELNS0_4arch9wavefront6targetE0EEEvSG_.numbered_sgpr, 0
	.set _ZN7rocprim17ROCPRIM_400000_NS6detail17trampoline_kernelINS0_14default_configENS1_38merge_sort_block_merge_config_selectorI6__halfNS0_10empty_typeEEEZZNS1_27merge_sort_block_merge_implIS3_PS5_PS6_jNS1_19radix_merge_compareILb1ELb0ES5_NS0_19identity_decomposerEEEEE10hipError_tT0_T1_T2_jT3_P12ihipStream_tbPNSt15iterator_traitsISF_E10value_typeEPNSL_ISG_E10value_typeEPSH_NS1_7vsmem_tEENKUlT_SF_SG_SH_E_clIS9_S9_SA_SA_EESE_SU_SF_SG_SH_EUlSU_E1_NS1_11comp_targetILNS1_3genE2ELNS1_11target_archE906ELNS1_3gpuE6ELNS1_3repE0EEENS1_36merge_oddeven_config_static_selectorELNS0_4arch9wavefront6targetE0EEEvSG_.num_named_barrier, 0
	.set _ZN7rocprim17ROCPRIM_400000_NS6detail17trampoline_kernelINS0_14default_configENS1_38merge_sort_block_merge_config_selectorI6__halfNS0_10empty_typeEEEZZNS1_27merge_sort_block_merge_implIS3_PS5_PS6_jNS1_19radix_merge_compareILb1ELb0ES5_NS0_19identity_decomposerEEEEE10hipError_tT0_T1_T2_jT3_P12ihipStream_tbPNSt15iterator_traitsISF_E10value_typeEPNSL_ISG_E10value_typeEPSH_NS1_7vsmem_tEENKUlT_SF_SG_SH_E_clIS9_S9_SA_SA_EESE_SU_SF_SG_SH_EUlSU_E1_NS1_11comp_targetILNS1_3genE2ELNS1_11target_archE906ELNS1_3gpuE6ELNS1_3repE0EEENS1_36merge_oddeven_config_static_selectorELNS0_4arch9wavefront6targetE0EEEvSG_.private_seg_size, 0
	.set _ZN7rocprim17ROCPRIM_400000_NS6detail17trampoline_kernelINS0_14default_configENS1_38merge_sort_block_merge_config_selectorI6__halfNS0_10empty_typeEEEZZNS1_27merge_sort_block_merge_implIS3_PS5_PS6_jNS1_19radix_merge_compareILb1ELb0ES5_NS0_19identity_decomposerEEEEE10hipError_tT0_T1_T2_jT3_P12ihipStream_tbPNSt15iterator_traitsISF_E10value_typeEPNSL_ISG_E10value_typeEPSH_NS1_7vsmem_tEENKUlT_SF_SG_SH_E_clIS9_S9_SA_SA_EESE_SU_SF_SG_SH_EUlSU_E1_NS1_11comp_targetILNS1_3genE2ELNS1_11target_archE906ELNS1_3gpuE6ELNS1_3repE0EEENS1_36merge_oddeven_config_static_selectorELNS0_4arch9wavefront6targetE0EEEvSG_.uses_vcc, 0
	.set _ZN7rocprim17ROCPRIM_400000_NS6detail17trampoline_kernelINS0_14default_configENS1_38merge_sort_block_merge_config_selectorI6__halfNS0_10empty_typeEEEZZNS1_27merge_sort_block_merge_implIS3_PS5_PS6_jNS1_19radix_merge_compareILb1ELb0ES5_NS0_19identity_decomposerEEEEE10hipError_tT0_T1_T2_jT3_P12ihipStream_tbPNSt15iterator_traitsISF_E10value_typeEPNSL_ISG_E10value_typeEPSH_NS1_7vsmem_tEENKUlT_SF_SG_SH_E_clIS9_S9_SA_SA_EESE_SU_SF_SG_SH_EUlSU_E1_NS1_11comp_targetILNS1_3genE2ELNS1_11target_archE906ELNS1_3gpuE6ELNS1_3repE0EEENS1_36merge_oddeven_config_static_selectorELNS0_4arch9wavefront6targetE0EEEvSG_.uses_flat_scratch, 0
	.set _ZN7rocprim17ROCPRIM_400000_NS6detail17trampoline_kernelINS0_14default_configENS1_38merge_sort_block_merge_config_selectorI6__halfNS0_10empty_typeEEEZZNS1_27merge_sort_block_merge_implIS3_PS5_PS6_jNS1_19radix_merge_compareILb1ELb0ES5_NS0_19identity_decomposerEEEEE10hipError_tT0_T1_T2_jT3_P12ihipStream_tbPNSt15iterator_traitsISF_E10value_typeEPNSL_ISG_E10value_typeEPSH_NS1_7vsmem_tEENKUlT_SF_SG_SH_E_clIS9_S9_SA_SA_EESE_SU_SF_SG_SH_EUlSU_E1_NS1_11comp_targetILNS1_3genE2ELNS1_11target_archE906ELNS1_3gpuE6ELNS1_3repE0EEENS1_36merge_oddeven_config_static_selectorELNS0_4arch9wavefront6targetE0EEEvSG_.has_dyn_sized_stack, 0
	.set _ZN7rocprim17ROCPRIM_400000_NS6detail17trampoline_kernelINS0_14default_configENS1_38merge_sort_block_merge_config_selectorI6__halfNS0_10empty_typeEEEZZNS1_27merge_sort_block_merge_implIS3_PS5_PS6_jNS1_19radix_merge_compareILb1ELb0ES5_NS0_19identity_decomposerEEEEE10hipError_tT0_T1_T2_jT3_P12ihipStream_tbPNSt15iterator_traitsISF_E10value_typeEPNSL_ISG_E10value_typeEPSH_NS1_7vsmem_tEENKUlT_SF_SG_SH_E_clIS9_S9_SA_SA_EESE_SU_SF_SG_SH_EUlSU_E1_NS1_11comp_targetILNS1_3genE2ELNS1_11target_archE906ELNS1_3gpuE6ELNS1_3repE0EEENS1_36merge_oddeven_config_static_selectorELNS0_4arch9wavefront6targetE0EEEvSG_.has_recursion, 0
	.set _ZN7rocprim17ROCPRIM_400000_NS6detail17trampoline_kernelINS0_14default_configENS1_38merge_sort_block_merge_config_selectorI6__halfNS0_10empty_typeEEEZZNS1_27merge_sort_block_merge_implIS3_PS5_PS6_jNS1_19radix_merge_compareILb1ELb0ES5_NS0_19identity_decomposerEEEEE10hipError_tT0_T1_T2_jT3_P12ihipStream_tbPNSt15iterator_traitsISF_E10value_typeEPNSL_ISG_E10value_typeEPSH_NS1_7vsmem_tEENKUlT_SF_SG_SH_E_clIS9_S9_SA_SA_EESE_SU_SF_SG_SH_EUlSU_E1_NS1_11comp_targetILNS1_3genE2ELNS1_11target_archE906ELNS1_3gpuE6ELNS1_3repE0EEENS1_36merge_oddeven_config_static_selectorELNS0_4arch9wavefront6targetE0EEEvSG_.has_indirect_call, 0
	.section	.AMDGPU.csdata,"",@progbits
; Kernel info:
; codeLenInByte = 0
; TotalNumSgprs: 0
; NumVgprs: 0
; ScratchSize: 0
; MemoryBound: 0
; FloatMode: 240
; IeeeMode: 1
; LDSByteSize: 0 bytes/workgroup (compile time only)
; SGPRBlocks: 0
; VGPRBlocks: 0
; NumSGPRsForWavesPerEU: 1
; NumVGPRsForWavesPerEU: 1
; NamedBarCnt: 0
; Occupancy: 16
; WaveLimiterHint : 0
; COMPUTE_PGM_RSRC2:SCRATCH_EN: 0
; COMPUTE_PGM_RSRC2:USER_SGPR: 2
; COMPUTE_PGM_RSRC2:TRAP_HANDLER: 0
; COMPUTE_PGM_RSRC2:TGID_X_EN: 1
; COMPUTE_PGM_RSRC2:TGID_Y_EN: 0
; COMPUTE_PGM_RSRC2:TGID_Z_EN: 0
; COMPUTE_PGM_RSRC2:TIDIG_COMP_CNT: 0
	.section	.text._ZN7rocprim17ROCPRIM_400000_NS6detail17trampoline_kernelINS0_14default_configENS1_38merge_sort_block_merge_config_selectorI6__halfNS0_10empty_typeEEEZZNS1_27merge_sort_block_merge_implIS3_PS5_PS6_jNS1_19radix_merge_compareILb1ELb0ES5_NS0_19identity_decomposerEEEEE10hipError_tT0_T1_T2_jT3_P12ihipStream_tbPNSt15iterator_traitsISF_E10value_typeEPNSL_ISG_E10value_typeEPSH_NS1_7vsmem_tEENKUlT_SF_SG_SH_E_clIS9_S9_SA_SA_EESE_SU_SF_SG_SH_EUlSU_E1_NS1_11comp_targetILNS1_3genE9ELNS1_11target_archE1100ELNS1_3gpuE3ELNS1_3repE0EEENS1_36merge_oddeven_config_static_selectorELNS0_4arch9wavefront6targetE0EEEvSG_,"axG",@progbits,_ZN7rocprim17ROCPRIM_400000_NS6detail17trampoline_kernelINS0_14default_configENS1_38merge_sort_block_merge_config_selectorI6__halfNS0_10empty_typeEEEZZNS1_27merge_sort_block_merge_implIS3_PS5_PS6_jNS1_19radix_merge_compareILb1ELb0ES5_NS0_19identity_decomposerEEEEE10hipError_tT0_T1_T2_jT3_P12ihipStream_tbPNSt15iterator_traitsISF_E10value_typeEPNSL_ISG_E10value_typeEPSH_NS1_7vsmem_tEENKUlT_SF_SG_SH_E_clIS9_S9_SA_SA_EESE_SU_SF_SG_SH_EUlSU_E1_NS1_11comp_targetILNS1_3genE9ELNS1_11target_archE1100ELNS1_3gpuE3ELNS1_3repE0EEENS1_36merge_oddeven_config_static_selectorELNS0_4arch9wavefront6targetE0EEEvSG_,comdat
	.protected	_ZN7rocprim17ROCPRIM_400000_NS6detail17trampoline_kernelINS0_14default_configENS1_38merge_sort_block_merge_config_selectorI6__halfNS0_10empty_typeEEEZZNS1_27merge_sort_block_merge_implIS3_PS5_PS6_jNS1_19radix_merge_compareILb1ELb0ES5_NS0_19identity_decomposerEEEEE10hipError_tT0_T1_T2_jT3_P12ihipStream_tbPNSt15iterator_traitsISF_E10value_typeEPNSL_ISG_E10value_typeEPSH_NS1_7vsmem_tEENKUlT_SF_SG_SH_E_clIS9_S9_SA_SA_EESE_SU_SF_SG_SH_EUlSU_E1_NS1_11comp_targetILNS1_3genE9ELNS1_11target_archE1100ELNS1_3gpuE3ELNS1_3repE0EEENS1_36merge_oddeven_config_static_selectorELNS0_4arch9wavefront6targetE0EEEvSG_ ; -- Begin function _ZN7rocprim17ROCPRIM_400000_NS6detail17trampoline_kernelINS0_14default_configENS1_38merge_sort_block_merge_config_selectorI6__halfNS0_10empty_typeEEEZZNS1_27merge_sort_block_merge_implIS3_PS5_PS6_jNS1_19radix_merge_compareILb1ELb0ES5_NS0_19identity_decomposerEEEEE10hipError_tT0_T1_T2_jT3_P12ihipStream_tbPNSt15iterator_traitsISF_E10value_typeEPNSL_ISG_E10value_typeEPSH_NS1_7vsmem_tEENKUlT_SF_SG_SH_E_clIS9_S9_SA_SA_EESE_SU_SF_SG_SH_EUlSU_E1_NS1_11comp_targetILNS1_3genE9ELNS1_11target_archE1100ELNS1_3gpuE3ELNS1_3repE0EEENS1_36merge_oddeven_config_static_selectorELNS0_4arch9wavefront6targetE0EEEvSG_
	.globl	_ZN7rocprim17ROCPRIM_400000_NS6detail17trampoline_kernelINS0_14default_configENS1_38merge_sort_block_merge_config_selectorI6__halfNS0_10empty_typeEEEZZNS1_27merge_sort_block_merge_implIS3_PS5_PS6_jNS1_19radix_merge_compareILb1ELb0ES5_NS0_19identity_decomposerEEEEE10hipError_tT0_T1_T2_jT3_P12ihipStream_tbPNSt15iterator_traitsISF_E10value_typeEPNSL_ISG_E10value_typeEPSH_NS1_7vsmem_tEENKUlT_SF_SG_SH_E_clIS9_S9_SA_SA_EESE_SU_SF_SG_SH_EUlSU_E1_NS1_11comp_targetILNS1_3genE9ELNS1_11target_archE1100ELNS1_3gpuE3ELNS1_3repE0EEENS1_36merge_oddeven_config_static_selectorELNS0_4arch9wavefront6targetE0EEEvSG_
	.p2align	8
	.type	_ZN7rocprim17ROCPRIM_400000_NS6detail17trampoline_kernelINS0_14default_configENS1_38merge_sort_block_merge_config_selectorI6__halfNS0_10empty_typeEEEZZNS1_27merge_sort_block_merge_implIS3_PS5_PS6_jNS1_19radix_merge_compareILb1ELb0ES5_NS0_19identity_decomposerEEEEE10hipError_tT0_T1_T2_jT3_P12ihipStream_tbPNSt15iterator_traitsISF_E10value_typeEPNSL_ISG_E10value_typeEPSH_NS1_7vsmem_tEENKUlT_SF_SG_SH_E_clIS9_S9_SA_SA_EESE_SU_SF_SG_SH_EUlSU_E1_NS1_11comp_targetILNS1_3genE9ELNS1_11target_archE1100ELNS1_3gpuE3ELNS1_3repE0EEENS1_36merge_oddeven_config_static_selectorELNS0_4arch9wavefront6targetE0EEEvSG_,@function
_ZN7rocprim17ROCPRIM_400000_NS6detail17trampoline_kernelINS0_14default_configENS1_38merge_sort_block_merge_config_selectorI6__halfNS0_10empty_typeEEEZZNS1_27merge_sort_block_merge_implIS3_PS5_PS6_jNS1_19radix_merge_compareILb1ELb0ES5_NS0_19identity_decomposerEEEEE10hipError_tT0_T1_T2_jT3_P12ihipStream_tbPNSt15iterator_traitsISF_E10value_typeEPNSL_ISG_E10value_typeEPSH_NS1_7vsmem_tEENKUlT_SF_SG_SH_E_clIS9_S9_SA_SA_EESE_SU_SF_SG_SH_EUlSU_E1_NS1_11comp_targetILNS1_3genE9ELNS1_11target_archE1100ELNS1_3gpuE3ELNS1_3repE0EEENS1_36merge_oddeven_config_static_selectorELNS0_4arch9wavefront6targetE0EEEvSG_: ; @_ZN7rocprim17ROCPRIM_400000_NS6detail17trampoline_kernelINS0_14default_configENS1_38merge_sort_block_merge_config_selectorI6__halfNS0_10empty_typeEEEZZNS1_27merge_sort_block_merge_implIS3_PS5_PS6_jNS1_19radix_merge_compareILb1ELb0ES5_NS0_19identity_decomposerEEEEE10hipError_tT0_T1_T2_jT3_P12ihipStream_tbPNSt15iterator_traitsISF_E10value_typeEPNSL_ISG_E10value_typeEPSH_NS1_7vsmem_tEENKUlT_SF_SG_SH_E_clIS9_S9_SA_SA_EESE_SU_SF_SG_SH_EUlSU_E1_NS1_11comp_targetILNS1_3genE9ELNS1_11target_archE1100ELNS1_3gpuE3ELNS1_3repE0EEENS1_36merge_oddeven_config_static_selectorELNS0_4arch9wavefront6targetE0EEEvSG_
; %bb.0:
	.section	.rodata,"a",@progbits
	.p2align	6, 0x0
	.amdhsa_kernel _ZN7rocprim17ROCPRIM_400000_NS6detail17trampoline_kernelINS0_14default_configENS1_38merge_sort_block_merge_config_selectorI6__halfNS0_10empty_typeEEEZZNS1_27merge_sort_block_merge_implIS3_PS5_PS6_jNS1_19radix_merge_compareILb1ELb0ES5_NS0_19identity_decomposerEEEEE10hipError_tT0_T1_T2_jT3_P12ihipStream_tbPNSt15iterator_traitsISF_E10value_typeEPNSL_ISG_E10value_typeEPSH_NS1_7vsmem_tEENKUlT_SF_SG_SH_E_clIS9_S9_SA_SA_EESE_SU_SF_SG_SH_EUlSU_E1_NS1_11comp_targetILNS1_3genE9ELNS1_11target_archE1100ELNS1_3gpuE3ELNS1_3repE0EEENS1_36merge_oddeven_config_static_selectorELNS0_4arch9wavefront6targetE0EEEvSG_
		.amdhsa_group_segment_fixed_size 0
		.amdhsa_private_segment_fixed_size 0
		.amdhsa_kernarg_size 48
		.amdhsa_user_sgpr_count 2
		.amdhsa_user_sgpr_dispatch_ptr 0
		.amdhsa_user_sgpr_queue_ptr 0
		.amdhsa_user_sgpr_kernarg_segment_ptr 1
		.amdhsa_user_sgpr_dispatch_id 0
		.amdhsa_user_sgpr_kernarg_preload_length 0
		.amdhsa_user_sgpr_kernarg_preload_offset 0
		.amdhsa_user_sgpr_private_segment_size 0
		.amdhsa_wavefront_size32 1
		.amdhsa_uses_dynamic_stack 0
		.amdhsa_enable_private_segment 0
		.amdhsa_system_sgpr_workgroup_id_x 1
		.amdhsa_system_sgpr_workgroup_id_y 0
		.amdhsa_system_sgpr_workgroup_id_z 0
		.amdhsa_system_sgpr_workgroup_info 0
		.amdhsa_system_vgpr_workitem_id 0
		.amdhsa_next_free_vgpr 1
		.amdhsa_next_free_sgpr 1
		.amdhsa_named_barrier_count 0
		.amdhsa_reserve_vcc 0
		.amdhsa_float_round_mode_32 0
		.amdhsa_float_round_mode_16_64 0
		.amdhsa_float_denorm_mode_32 3
		.amdhsa_float_denorm_mode_16_64 3
		.amdhsa_fp16_overflow 0
		.amdhsa_memory_ordered 1
		.amdhsa_forward_progress 1
		.amdhsa_inst_pref_size 0
		.amdhsa_round_robin_scheduling 0
		.amdhsa_exception_fp_ieee_invalid_op 0
		.amdhsa_exception_fp_denorm_src 0
		.amdhsa_exception_fp_ieee_div_zero 0
		.amdhsa_exception_fp_ieee_overflow 0
		.amdhsa_exception_fp_ieee_underflow 0
		.amdhsa_exception_fp_ieee_inexact 0
		.amdhsa_exception_int_div_zero 0
	.end_amdhsa_kernel
	.section	.text._ZN7rocprim17ROCPRIM_400000_NS6detail17trampoline_kernelINS0_14default_configENS1_38merge_sort_block_merge_config_selectorI6__halfNS0_10empty_typeEEEZZNS1_27merge_sort_block_merge_implIS3_PS5_PS6_jNS1_19radix_merge_compareILb1ELb0ES5_NS0_19identity_decomposerEEEEE10hipError_tT0_T1_T2_jT3_P12ihipStream_tbPNSt15iterator_traitsISF_E10value_typeEPNSL_ISG_E10value_typeEPSH_NS1_7vsmem_tEENKUlT_SF_SG_SH_E_clIS9_S9_SA_SA_EESE_SU_SF_SG_SH_EUlSU_E1_NS1_11comp_targetILNS1_3genE9ELNS1_11target_archE1100ELNS1_3gpuE3ELNS1_3repE0EEENS1_36merge_oddeven_config_static_selectorELNS0_4arch9wavefront6targetE0EEEvSG_,"axG",@progbits,_ZN7rocprim17ROCPRIM_400000_NS6detail17trampoline_kernelINS0_14default_configENS1_38merge_sort_block_merge_config_selectorI6__halfNS0_10empty_typeEEEZZNS1_27merge_sort_block_merge_implIS3_PS5_PS6_jNS1_19radix_merge_compareILb1ELb0ES5_NS0_19identity_decomposerEEEEE10hipError_tT0_T1_T2_jT3_P12ihipStream_tbPNSt15iterator_traitsISF_E10value_typeEPNSL_ISG_E10value_typeEPSH_NS1_7vsmem_tEENKUlT_SF_SG_SH_E_clIS9_S9_SA_SA_EESE_SU_SF_SG_SH_EUlSU_E1_NS1_11comp_targetILNS1_3genE9ELNS1_11target_archE1100ELNS1_3gpuE3ELNS1_3repE0EEENS1_36merge_oddeven_config_static_selectorELNS0_4arch9wavefront6targetE0EEEvSG_,comdat
.Lfunc_end2127:
	.size	_ZN7rocprim17ROCPRIM_400000_NS6detail17trampoline_kernelINS0_14default_configENS1_38merge_sort_block_merge_config_selectorI6__halfNS0_10empty_typeEEEZZNS1_27merge_sort_block_merge_implIS3_PS5_PS6_jNS1_19radix_merge_compareILb1ELb0ES5_NS0_19identity_decomposerEEEEE10hipError_tT0_T1_T2_jT3_P12ihipStream_tbPNSt15iterator_traitsISF_E10value_typeEPNSL_ISG_E10value_typeEPSH_NS1_7vsmem_tEENKUlT_SF_SG_SH_E_clIS9_S9_SA_SA_EESE_SU_SF_SG_SH_EUlSU_E1_NS1_11comp_targetILNS1_3genE9ELNS1_11target_archE1100ELNS1_3gpuE3ELNS1_3repE0EEENS1_36merge_oddeven_config_static_selectorELNS0_4arch9wavefront6targetE0EEEvSG_, .Lfunc_end2127-_ZN7rocprim17ROCPRIM_400000_NS6detail17trampoline_kernelINS0_14default_configENS1_38merge_sort_block_merge_config_selectorI6__halfNS0_10empty_typeEEEZZNS1_27merge_sort_block_merge_implIS3_PS5_PS6_jNS1_19radix_merge_compareILb1ELb0ES5_NS0_19identity_decomposerEEEEE10hipError_tT0_T1_T2_jT3_P12ihipStream_tbPNSt15iterator_traitsISF_E10value_typeEPNSL_ISG_E10value_typeEPSH_NS1_7vsmem_tEENKUlT_SF_SG_SH_E_clIS9_S9_SA_SA_EESE_SU_SF_SG_SH_EUlSU_E1_NS1_11comp_targetILNS1_3genE9ELNS1_11target_archE1100ELNS1_3gpuE3ELNS1_3repE0EEENS1_36merge_oddeven_config_static_selectorELNS0_4arch9wavefront6targetE0EEEvSG_
                                        ; -- End function
	.set _ZN7rocprim17ROCPRIM_400000_NS6detail17trampoline_kernelINS0_14default_configENS1_38merge_sort_block_merge_config_selectorI6__halfNS0_10empty_typeEEEZZNS1_27merge_sort_block_merge_implIS3_PS5_PS6_jNS1_19radix_merge_compareILb1ELb0ES5_NS0_19identity_decomposerEEEEE10hipError_tT0_T1_T2_jT3_P12ihipStream_tbPNSt15iterator_traitsISF_E10value_typeEPNSL_ISG_E10value_typeEPSH_NS1_7vsmem_tEENKUlT_SF_SG_SH_E_clIS9_S9_SA_SA_EESE_SU_SF_SG_SH_EUlSU_E1_NS1_11comp_targetILNS1_3genE9ELNS1_11target_archE1100ELNS1_3gpuE3ELNS1_3repE0EEENS1_36merge_oddeven_config_static_selectorELNS0_4arch9wavefront6targetE0EEEvSG_.num_vgpr, 0
	.set _ZN7rocprim17ROCPRIM_400000_NS6detail17trampoline_kernelINS0_14default_configENS1_38merge_sort_block_merge_config_selectorI6__halfNS0_10empty_typeEEEZZNS1_27merge_sort_block_merge_implIS3_PS5_PS6_jNS1_19radix_merge_compareILb1ELb0ES5_NS0_19identity_decomposerEEEEE10hipError_tT0_T1_T2_jT3_P12ihipStream_tbPNSt15iterator_traitsISF_E10value_typeEPNSL_ISG_E10value_typeEPSH_NS1_7vsmem_tEENKUlT_SF_SG_SH_E_clIS9_S9_SA_SA_EESE_SU_SF_SG_SH_EUlSU_E1_NS1_11comp_targetILNS1_3genE9ELNS1_11target_archE1100ELNS1_3gpuE3ELNS1_3repE0EEENS1_36merge_oddeven_config_static_selectorELNS0_4arch9wavefront6targetE0EEEvSG_.num_agpr, 0
	.set _ZN7rocprim17ROCPRIM_400000_NS6detail17trampoline_kernelINS0_14default_configENS1_38merge_sort_block_merge_config_selectorI6__halfNS0_10empty_typeEEEZZNS1_27merge_sort_block_merge_implIS3_PS5_PS6_jNS1_19radix_merge_compareILb1ELb0ES5_NS0_19identity_decomposerEEEEE10hipError_tT0_T1_T2_jT3_P12ihipStream_tbPNSt15iterator_traitsISF_E10value_typeEPNSL_ISG_E10value_typeEPSH_NS1_7vsmem_tEENKUlT_SF_SG_SH_E_clIS9_S9_SA_SA_EESE_SU_SF_SG_SH_EUlSU_E1_NS1_11comp_targetILNS1_3genE9ELNS1_11target_archE1100ELNS1_3gpuE3ELNS1_3repE0EEENS1_36merge_oddeven_config_static_selectorELNS0_4arch9wavefront6targetE0EEEvSG_.numbered_sgpr, 0
	.set _ZN7rocprim17ROCPRIM_400000_NS6detail17trampoline_kernelINS0_14default_configENS1_38merge_sort_block_merge_config_selectorI6__halfNS0_10empty_typeEEEZZNS1_27merge_sort_block_merge_implIS3_PS5_PS6_jNS1_19radix_merge_compareILb1ELb0ES5_NS0_19identity_decomposerEEEEE10hipError_tT0_T1_T2_jT3_P12ihipStream_tbPNSt15iterator_traitsISF_E10value_typeEPNSL_ISG_E10value_typeEPSH_NS1_7vsmem_tEENKUlT_SF_SG_SH_E_clIS9_S9_SA_SA_EESE_SU_SF_SG_SH_EUlSU_E1_NS1_11comp_targetILNS1_3genE9ELNS1_11target_archE1100ELNS1_3gpuE3ELNS1_3repE0EEENS1_36merge_oddeven_config_static_selectorELNS0_4arch9wavefront6targetE0EEEvSG_.num_named_barrier, 0
	.set _ZN7rocprim17ROCPRIM_400000_NS6detail17trampoline_kernelINS0_14default_configENS1_38merge_sort_block_merge_config_selectorI6__halfNS0_10empty_typeEEEZZNS1_27merge_sort_block_merge_implIS3_PS5_PS6_jNS1_19radix_merge_compareILb1ELb0ES5_NS0_19identity_decomposerEEEEE10hipError_tT0_T1_T2_jT3_P12ihipStream_tbPNSt15iterator_traitsISF_E10value_typeEPNSL_ISG_E10value_typeEPSH_NS1_7vsmem_tEENKUlT_SF_SG_SH_E_clIS9_S9_SA_SA_EESE_SU_SF_SG_SH_EUlSU_E1_NS1_11comp_targetILNS1_3genE9ELNS1_11target_archE1100ELNS1_3gpuE3ELNS1_3repE0EEENS1_36merge_oddeven_config_static_selectorELNS0_4arch9wavefront6targetE0EEEvSG_.private_seg_size, 0
	.set _ZN7rocprim17ROCPRIM_400000_NS6detail17trampoline_kernelINS0_14default_configENS1_38merge_sort_block_merge_config_selectorI6__halfNS0_10empty_typeEEEZZNS1_27merge_sort_block_merge_implIS3_PS5_PS6_jNS1_19radix_merge_compareILb1ELb0ES5_NS0_19identity_decomposerEEEEE10hipError_tT0_T1_T2_jT3_P12ihipStream_tbPNSt15iterator_traitsISF_E10value_typeEPNSL_ISG_E10value_typeEPSH_NS1_7vsmem_tEENKUlT_SF_SG_SH_E_clIS9_S9_SA_SA_EESE_SU_SF_SG_SH_EUlSU_E1_NS1_11comp_targetILNS1_3genE9ELNS1_11target_archE1100ELNS1_3gpuE3ELNS1_3repE0EEENS1_36merge_oddeven_config_static_selectorELNS0_4arch9wavefront6targetE0EEEvSG_.uses_vcc, 0
	.set _ZN7rocprim17ROCPRIM_400000_NS6detail17trampoline_kernelINS0_14default_configENS1_38merge_sort_block_merge_config_selectorI6__halfNS0_10empty_typeEEEZZNS1_27merge_sort_block_merge_implIS3_PS5_PS6_jNS1_19radix_merge_compareILb1ELb0ES5_NS0_19identity_decomposerEEEEE10hipError_tT0_T1_T2_jT3_P12ihipStream_tbPNSt15iterator_traitsISF_E10value_typeEPNSL_ISG_E10value_typeEPSH_NS1_7vsmem_tEENKUlT_SF_SG_SH_E_clIS9_S9_SA_SA_EESE_SU_SF_SG_SH_EUlSU_E1_NS1_11comp_targetILNS1_3genE9ELNS1_11target_archE1100ELNS1_3gpuE3ELNS1_3repE0EEENS1_36merge_oddeven_config_static_selectorELNS0_4arch9wavefront6targetE0EEEvSG_.uses_flat_scratch, 0
	.set _ZN7rocprim17ROCPRIM_400000_NS6detail17trampoline_kernelINS0_14default_configENS1_38merge_sort_block_merge_config_selectorI6__halfNS0_10empty_typeEEEZZNS1_27merge_sort_block_merge_implIS3_PS5_PS6_jNS1_19radix_merge_compareILb1ELb0ES5_NS0_19identity_decomposerEEEEE10hipError_tT0_T1_T2_jT3_P12ihipStream_tbPNSt15iterator_traitsISF_E10value_typeEPNSL_ISG_E10value_typeEPSH_NS1_7vsmem_tEENKUlT_SF_SG_SH_E_clIS9_S9_SA_SA_EESE_SU_SF_SG_SH_EUlSU_E1_NS1_11comp_targetILNS1_3genE9ELNS1_11target_archE1100ELNS1_3gpuE3ELNS1_3repE0EEENS1_36merge_oddeven_config_static_selectorELNS0_4arch9wavefront6targetE0EEEvSG_.has_dyn_sized_stack, 0
	.set _ZN7rocprim17ROCPRIM_400000_NS6detail17trampoline_kernelINS0_14default_configENS1_38merge_sort_block_merge_config_selectorI6__halfNS0_10empty_typeEEEZZNS1_27merge_sort_block_merge_implIS3_PS5_PS6_jNS1_19radix_merge_compareILb1ELb0ES5_NS0_19identity_decomposerEEEEE10hipError_tT0_T1_T2_jT3_P12ihipStream_tbPNSt15iterator_traitsISF_E10value_typeEPNSL_ISG_E10value_typeEPSH_NS1_7vsmem_tEENKUlT_SF_SG_SH_E_clIS9_S9_SA_SA_EESE_SU_SF_SG_SH_EUlSU_E1_NS1_11comp_targetILNS1_3genE9ELNS1_11target_archE1100ELNS1_3gpuE3ELNS1_3repE0EEENS1_36merge_oddeven_config_static_selectorELNS0_4arch9wavefront6targetE0EEEvSG_.has_recursion, 0
	.set _ZN7rocprim17ROCPRIM_400000_NS6detail17trampoline_kernelINS0_14default_configENS1_38merge_sort_block_merge_config_selectorI6__halfNS0_10empty_typeEEEZZNS1_27merge_sort_block_merge_implIS3_PS5_PS6_jNS1_19radix_merge_compareILb1ELb0ES5_NS0_19identity_decomposerEEEEE10hipError_tT0_T1_T2_jT3_P12ihipStream_tbPNSt15iterator_traitsISF_E10value_typeEPNSL_ISG_E10value_typeEPSH_NS1_7vsmem_tEENKUlT_SF_SG_SH_E_clIS9_S9_SA_SA_EESE_SU_SF_SG_SH_EUlSU_E1_NS1_11comp_targetILNS1_3genE9ELNS1_11target_archE1100ELNS1_3gpuE3ELNS1_3repE0EEENS1_36merge_oddeven_config_static_selectorELNS0_4arch9wavefront6targetE0EEEvSG_.has_indirect_call, 0
	.section	.AMDGPU.csdata,"",@progbits
; Kernel info:
; codeLenInByte = 0
; TotalNumSgprs: 0
; NumVgprs: 0
; ScratchSize: 0
; MemoryBound: 0
; FloatMode: 240
; IeeeMode: 1
; LDSByteSize: 0 bytes/workgroup (compile time only)
; SGPRBlocks: 0
; VGPRBlocks: 0
; NumSGPRsForWavesPerEU: 1
; NumVGPRsForWavesPerEU: 1
; NamedBarCnt: 0
; Occupancy: 16
; WaveLimiterHint : 0
; COMPUTE_PGM_RSRC2:SCRATCH_EN: 0
; COMPUTE_PGM_RSRC2:USER_SGPR: 2
; COMPUTE_PGM_RSRC2:TRAP_HANDLER: 0
; COMPUTE_PGM_RSRC2:TGID_X_EN: 1
; COMPUTE_PGM_RSRC2:TGID_Y_EN: 0
; COMPUTE_PGM_RSRC2:TGID_Z_EN: 0
; COMPUTE_PGM_RSRC2:TIDIG_COMP_CNT: 0
	.section	.text._ZN7rocprim17ROCPRIM_400000_NS6detail17trampoline_kernelINS0_14default_configENS1_38merge_sort_block_merge_config_selectorI6__halfNS0_10empty_typeEEEZZNS1_27merge_sort_block_merge_implIS3_PS5_PS6_jNS1_19radix_merge_compareILb1ELb0ES5_NS0_19identity_decomposerEEEEE10hipError_tT0_T1_T2_jT3_P12ihipStream_tbPNSt15iterator_traitsISF_E10value_typeEPNSL_ISG_E10value_typeEPSH_NS1_7vsmem_tEENKUlT_SF_SG_SH_E_clIS9_S9_SA_SA_EESE_SU_SF_SG_SH_EUlSU_E1_NS1_11comp_targetILNS1_3genE8ELNS1_11target_archE1030ELNS1_3gpuE2ELNS1_3repE0EEENS1_36merge_oddeven_config_static_selectorELNS0_4arch9wavefront6targetE0EEEvSG_,"axG",@progbits,_ZN7rocprim17ROCPRIM_400000_NS6detail17trampoline_kernelINS0_14default_configENS1_38merge_sort_block_merge_config_selectorI6__halfNS0_10empty_typeEEEZZNS1_27merge_sort_block_merge_implIS3_PS5_PS6_jNS1_19radix_merge_compareILb1ELb0ES5_NS0_19identity_decomposerEEEEE10hipError_tT0_T1_T2_jT3_P12ihipStream_tbPNSt15iterator_traitsISF_E10value_typeEPNSL_ISG_E10value_typeEPSH_NS1_7vsmem_tEENKUlT_SF_SG_SH_E_clIS9_S9_SA_SA_EESE_SU_SF_SG_SH_EUlSU_E1_NS1_11comp_targetILNS1_3genE8ELNS1_11target_archE1030ELNS1_3gpuE2ELNS1_3repE0EEENS1_36merge_oddeven_config_static_selectorELNS0_4arch9wavefront6targetE0EEEvSG_,comdat
	.protected	_ZN7rocprim17ROCPRIM_400000_NS6detail17trampoline_kernelINS0_14default_configENS1_38merge_sort_block_merge_config_selectorI6__halfNS0_10empty_typeEEEZZNS1_27merge_sort_block_merge_implIS3_PS5_PS6_jNS1_19radix_merge_compareILb1ELb0ES5_NS0_19identity_decomposerEEEEE10hipError_tT0_T1_T2_jT3_P12ihipStream_tbPNSt15iterator_traitsISF_E10value_typeEPNSL_ISG_E10value_typeEPSH_NS1_7vsmem_tEENKUlT_SF_SG_SH_E_clIS9_S9_SA_SA_EESE_SU_SF_SG_SH_EUlSU_E1_NS1_11comp_targetILNS1_3genE8ELNS1_11target_archE1030ELNS1_3gpuE2ELNS1_3repE0EEENS1_36merge_oddeven_config_static_selectorELNS0_4arch9wavefront6targetE0EEEvSG_ ; -- Begin function _ZN7rocprim17ROCPRIM_400000_NS6detail17trampoline_kernelINS0_14default_configENS1_38merge_sort_block_merge_config_selectorI6__halfNS0_10empty_typeEEEZZNS1_27merge_sort_block_merge_implIS3_PS5_PS6_jNS1_19radix_merge_compareILb1ELb0ES5_NS0_19identity_decomposerEEEEE10hipError_tT0_T1_T2_jT3_P12ihipStream_tbPNSt15iterator_traitsISF_E10value_typeEPNSL_ISG_E10value_typeEPSH_NS1_7vsmem_tEENKUlT_SF_SG_SH_E_clIS9_S9_SA_SA_EESE_SU_SF_SG_SH_EUlSU_E1_NS1_11comp_targetILNS1_3genE8ELNS1_11target_archE1030ELNS1_3gpuE2ELNS1_3repE0EEENS1_36merge_oddeven_config_static_selectorELNS0_4arch9wavefront6targetE0EEEvSG_
	.globl	_ZN7rocprim17ROCPRIM_400000_NS6detail17trampoline_kernelINS0_14default_configENS1_38merge_sort_block_merge_config_selectorI6__halfNS0_10empty_typeEEEZZNS1_27merge_sort_block_merge_implIS3_PS5_PS6_jNS1_19radix_merge_compareILb1ELb0ES5_NS0_19identity_decomposerEEEEE10hipError_tT0_T1_T2_jT3_P12ihipStream_tbPNSt15iterator_traitsISF_E10value_typeEPNSL_ISG_E10value_typeEPSH_NS1_7vsmem_tEENKUlT_SF_SG_SH_E_clIS9_S9_SA_SA_EESE_SU_SF_SG_SH_EUlSU_E1_NS1_11comp_targetILNS1_3genE8ELNS1_11target_archE1030ELNS1_3gpuE2ELNS1_3repE0EEENS1_36merge_oddeven_config_static_selectorELNS0_4arch9wavefront6targetE0EEEvSG_
	.p2align	8
	.type	_ZN7rocprim17ROCPRIM_400000_NS6detail17trampoline_kernelINS0_14default_configENS1_38merge_sort_block_merge_config_selectorI6__halfNS0_10empty_typeEEEZZNS1_27merge_sort_block_merge_implIS3_PS5_PS6_jNS1_19radix_merge_compareILb1ELb0ES5_NS0_19identity_decomposerEEEEE10hipError_tT0_T1_T2_jT3_P12ihipStream_tbPNSt15iterator_traitsISF_E10value_typeEPNSL_ISG_E10value_typeEPSH_NS1_7vsmem_tEENKUlT_SF_SG_SH_E_clIS9_S9_SA_SA_EESE_SU_SF_SG_SH_EUlSU_E1_NS1_11comp_targetILNS1_3genE8ELNS1_11target_archE1030ELNS1_3gpuE2ELNS1_3repE0EEENS1_36merge_oddeven_config_static_selectorELNS0_4arch9wavefront6targetE0EEEvSG_,@function
_ZN7rocprim17ROCPRIM_400000_NS6detail17trampoline_kernelINS0_14default_configENS1_38merge_sort_block_merge_config_selectorI6__halfNS0_10empty_typeEEEZZNS1_27merge_sort_block_merge_implIS3_PS5_PS6_jNS1_19radix_merge_compareILb1ELb0ES5_NS0_19identity_decomposerEEEEE10hipError_tT0_T1_T2_jT3_P12ihipStream_tbPNSt15iterator_traitsISF_E10value_typeEPNSL_ISG_E10value_typeEPSH_NS1_7vsmem_tEENKUlT_SF_SG_SH_E_clIS9_S9_SA_SA_EESE_SU_SF_SG_SH_EUlSU_E1_NS1_11comp_targetILNS1_3genE8ELNS1_11target_archE1030ELNS1_3gpuE2ELNS1_3repE0EEENS1_36merge_oddeven_config_static_selectorELNS0_4arch9wavefront6targetE0EEEvSG_: ; @_ZN7rocprim17ROCPRIM_400000_NS6detail17trampoline_kernelINS0_14default_configENS1_38merge_sort_block_merge_config_selectorI6__halfNS0_10empty_typeEEEZZNS1_27merge_sort_block_merge_implIS3_PS5_PS6_jNS1_19radix_merge_compareILb1ELb0ES5_NS0_19identity_decomposerEEEEE10hipError_tT0_T1_T2_jT3_P12ihipStream_tbPNSt15iterator_traitsISF_E10value_typeEPNSL_ISG_E10value_typeEPSH_NS1_7vsmem_tEENKUlT_SF_SG_SH_E_clIS9_S9_SA_SA_EESE_SU_SF_SG_SH_EUlSU_E1_NS1_11comp_targetILNS1_3genE8ELNS1_11target_archE1030ELNS1_3gpuE2ELNS1_3repE0EEENS1_36merge_oddeven_config_static_selectorELNS0_4arch9wavefront6targetE0EEEvSG_
; %bb.0:
	.section	.rodata,"a",@progbits
	.p2align	6, 0x0
	.amdhsa_kernel _ZN7rocprim17ROCPRIM_400000_NS6detail17trampoline_kernelINS0_14default_configENS1_38merge_sort_block_merge_config_selectorI6__halfNS0_10empty_typeEEEZZNS1_27merge_sort_block_merge_implIS3_PS5_PS6_jNS1_19radix_merge_compareILb1ELb0ES5_NS0_19identity_decomposerEEEEE10hipError_tT0_T1_T2_jT3_P12ihipStream_tbPNSt15iterator_traitsISF_E10value_typeEPNSL_ISG_E10value_typeEPSH_NS1_7vsmem_tEENKUlT_SF_SG_SH_E_clIS9_S9_SA_SA_EESE_SU_SF_SG_SH_EUlSU_E1_NS1_11comp_targetILNS1_3genE8ELNS1_11target_archE1030ELNS1_3gpuE2ELNS1_3repE0EEENS1_36merge_oddeven_config_static_selectorELNS0_4arch9wavefront6targetE0EEEvSG_
		.amdhsa_group_segment_fixed_size 0
		.amdhsa_private_segment_fixed_size 0
		.amdhsa_kernarg_size 48
		.amdhsa_user_sgpr_count 2
		.amdhsa_user_sgpr_dispatch_ptr 0
		.amdhsa_user_sgpr_queue_ptr 0
		.amdhsa_user_sgpr_kernarg_segment_ptr 1
		.amdhsa_user_sgpr_dispatch_id 0
		.amdhsa_user_sgpr_kernarg_preload_length 0
		.amdhsa_user_sgpr_kernarg_preload_offset 0
		.amdhsa_user_sgpr_private_segment_size 0
		.amdhsa_wavefront_size32 1
		.amdhsa_uses_dynamic_stack 0
		.amdhsa_enable_private_segment 0
		.amdhsa_system_sgpr_workgroup_id_x 1
		.amdhsa_system_sgpr_workgroup_id_y 0
		.amdhsa_system_sgpr_workgroup_id_z 0
		.amdhsa_system_sgpr_workgroup_info 0
		.amdhsa_system_vgpr_workitem_id 0
		.amdhsa_next_free_vgpr 1
		.amdhsa_next_free_sgpr 1
		.amdhsa_named_barrier_count 0
		.amdhsa_reserve_vcc 0
		.amdhsa_float_round_mode_32 0
		.amdhsa_float_round_mode_16_64 0
		.amdhsa_float_denorm_mode_32 3
		.amdhsa_float_denorm_mode_16_64 3
		.amdhsa_fp16_overflow 0
		.amdhsa_memory_ordered 1
		.amdhsa_forward_progress 1
		.amdhsa_inst_pref_size 0
		.amdhsa_round_robin_scheduling 0
		.amdhsa_exception_fp_ieee_invalid_op 0
		.amdhsa_exception_fp_denorm_src 0
		.amdhsa_exception_fp_ieee_div_zero 0
		.amdhsa_exception_fp_ieee_overflow 0
		.amdhsa_exception_fp_ieee_underflow 0
		.amdhsa_exception_fp_ieee_inexact 0
		.amdhsa_exception_int_div_zero 0
	.end_amdhsa_kernel
	.section	.text._ZN7rocprim17ROCPRIM_400000_NS6detail17trampoline_kernelINS0_14default_configENS1_38merge_sort_block_merge_config_selectorI6__halfNS0_10empty_typeEEEZZNS1_27merge_sort_block_merge_implIS3_PS5_PS6_jNS1_19radix_merge_compareILb1ELb0ES5_NS0_19identity_decomposerEEEEE10hipError_tT0_T1_T2_jT3_P12ihipStream_tbPNSt15iterator_traitsISF_E10value_typeEPNSL_ISG_E10value_typeEPSH_NS1_7vsmem_tEENKUlT_SF_SG_SH_E_clIS9_S9_SA_SA_EESE_SU_SF_SG_SH_EUlSU_E1_NS1_11comp_targetILNS1_3genE8ELNS1_11target_archE1030ELNS1_3gpuE2ELNS1_3repE0EEENS1_36merge_oddeven_config_static_selectorELNS0_4arch9wavefront6targetE0EEEvSG_,"axG",@progbits,_ZN7rocprim17ROCPRIM_400000_NS6detail17trampoline_kernelINS0_14default_configENS1_38merge_sort_block_merge_config_selectorI6__halfNS0_10empty_typeEEEZZNS1_27merge_sort_block_merge_implIS3_PS5_PS6_jNS1_19radix_merge_compareILb1ELb0ES5_NS0_19identity_decomposerEEEEE10hipError_tT0_T1_T2_jT3_P12ihipStream_tbPNSt15iterator_traitsISF_E10value_typeEPNSL_ISG_E10value_typeEPSH_NS1_7vsmem_tEENKUlT_SF_SG_SH_E_clIS9_S9_SA_SA_EESE_SU_SF_SG_SH_EUlSU_E1_NS1_11comp_targetILNS1_3genE8ELNS1_11target_archE1030ELNS1_3gpuE2ELNS1_3repE0EEENS1_36merge_oddeven_config_static_selectorELNS0_4arch9wavefront6targetE0EEEvSG_,comdat
.Lfunc_end2128:
	.size	_ZN7rocprim17ROCPRIM_400000_NS6detail17trampoline_kernelINS0_14default_configENS1_38merge_sort_block_merge_config_selectorI6__halfNS0_10empty_typeEEEZZNS1_27merge_sort_block_merge_implIS3_PS5_PS6_jNS1_19radix_merge_compareILb1ELb0ES5_NS0_19identity_decomposerEEEEE10hipError_tT0_T1_T2_jT3_P12ihipStream_tbPNSt15iterator_traitsISF_E10value_typeEPNSL_ISG_E10value_typeEPSH_NS1_7vsmem_tEENKUlT_SF_SG_SH_E_clIS9_S9_SA_SA_EESE_SU_SF_SG_SH_EUlSU_E1_NS1_11comp_targetILNS1_3genE8ELNS1_11target_archE1030ELNS1_3gpuE2ELNS1_3repE0EEENS1_36merge_oddeven_config_static_selectorELNS0_4arch9wavefront6targetE0EEEvSG_, .Lfunc_end2128-_ZN7rocprim17ROCPRIM_400000_NS6detail17trampoline_kernelINS0_14default_configENS1_38merge_sort_block_merge_config_selectorI6__halfNS0_10empty_typeEEEZZNS1_27merge_sort_block_merge_implIS3_PS5_PS6_jNS1_19radix_merge_compareILb1ELb0ES5_NS0_19identity_decomposerEEEEE10hipError_tT0_T1_T2_jT3_P12ihipStream_tbPNSt15iterator_traitsISF_E10value_typeEPNSL_ISG_E10value_typeEPSH_NS1_7vsmem_tEENKUlT_SF_SG_SH_E_clIS9_S9_SA_SA_EESE_SU_SF_SG_SH_EUlSU_E1_NS1_11comp_targetILNS1_3genE8ELNS1_11target_archE1030ELNS1_3gpuE2ELNS1_3repE0EEENS1_36merge_oddeven_config_static_selectorELNS0_4arch9wavefront6targetE0EEEvSG_
                                        ; -- End function
	.set _ZN7rocprim17ROCPRIM_400000_NS6detail17trampoline_kernelINS0_14default_configENS1_38merge_sort_block_merge_config_selectorI6__halfNS0_10empty_typeEEEZZNS1_27merge_sort_block_merge_implIS3_PS5_PS6_jNS1_19radix_merge_compareILb1ELb0ES5_NS0_19identity_decomposerEEEEE10hipError_tT0_T1_T2_jT3_P12ihipStream_tbPNSt15iterator_traitsISF_E10value_typeEPNSL_ISG_E10value_typeEPSH_NS1_7vsmem_tEENKUlT_SF_SG_SH_E_clIS9_S9_SA_SA_EESE_SU_SF_SG_SH_EUlSU_E1_NS1_11comp_targetILNS1_3genE8ELNS1_11target_archE1030ELNS1_3gpuE2ELNS1_3repE0EEENS1_36merge_oddeven_config_static_selectorELNS0_4arch9wavefront6targetE0EEEvSG_.num_vgpr, 0
	.set _ZN7rocprim17ROCPRIM_400000_NS6detail17trampoline_kernelINS0_14default_configENS1_38merge_sort_block_merge_config_selectorI6__halfNS0_10empty_typeEEEZZNS1_27merge_sort_block_merge_implIS3_PS5_PS6_jNS1_19radix_merge_compareILb1ELb0ES5_NS0_19identity_decomposerEEEEE10hipError_tT0_T1_T2_jT3_P12ihipStream_tbPNSt15iterator_traitsISF_E10value_typeEPNSL_ISG_E10value_typeEPSH_NS1_7vsmem_tEENKUlT_SF_SG_SH_E_clIS9_S9_SA_SA_EESE_SU_SF_SG_SH_EUlSU_E1_NS1_11comp_targetILNS1_3genE8ELNS1_11target_archE1030ELNS1_3gpuE2ELNS1_3repE0EEENS1_36merge_oddeven_config_static_selectorELNS0_4arch9wavefront6targetE0EEEvSG_.num_agpr, 0
	.set _ZN7rocprim17ROCPRIM_400000_NS6detail17trampoline_kernelINS0_14default_configENS1_38merge_sort_block_merge_config_selectorI6__halfNS0_10empty_typeEEEZZNS1_27merge_sort_block_merge_implIS3_PS5_PS6_jNS1_19radix_merge_compareILb1ELb0ES5_NS0_19identity_decomposerEEEEE10hipError_tT0_T1_T2_jT3_P12ihipStream_tbPNSt15iterator_traitsISF_E10value_typeEPNSL_ISG_E10value_typeEPSH_NS1_7vsmem_tEENKUlT_SF_SG_SH_E_clIS9_S9_SA_SA_EESE_SU_SF_SG_SH_EUlSU_E1_NS1_11comp_targetILNS1_3genE8ELNS1_11target_archE1030ELNS1_3gpuE2ELNS1_3repE0EEENS1_36merge_oddeven_config_static_selectorELNS0_4arch9wavefront6targetE0EEEvSG_.numbered_sgpr, 0
	.set _ZN7rocprim17ROCPRIM_400000_NS6detail17trampoline_kernelINS0_14default_configENS1_38merge_sort_block_merge_config_selectorI6__halfNS0_10empty_typeEEEZZNS1_27merge_sort_block_merge_implIS3_PS5_PS6_jNS1_19radix_merge_compareILb1ELb0ES5_NS0_19identity_decomposerEEEEE10hipError_tT0_T1_T2_jT3_P12ihipStream_tbPNSt15iterator_traitsISF_E10value_typeEPNSL_ISG_E10value_typeEPSH_NS1_7vsmem_tEENKUlT_SF_SG_SH_E_clIS9_S9_SA_SA_EESE_SU_SF_SG_SH_EUlSU_E1_NS1_11comp_targetILNS1_3genE8ELNS1_11target_archE1030ELNS1_3gpuE2ELNS1_3repE0EEENS1_36merge_oddeven_config_static_selectorELNS0_4arch9wavefront6targetE0EEEvSG_.num_named_barrier, 0
	.set _ZN7rocprim17ROCPRIM_400000_NS6detail17trampoline_kernelINS0_14default_configENS1_38merge_sort_block_merge_config_selectorI6__halfNS0_10empty_typeEEEZZNS1_27merge_sort_block_merge_implIS3_PS5_PS6_jNS1_19radix_merge_compareILb1ELb0ES5_NS0_19identity_decomposerEEEEE10hipError_tT0_T1_T2_jT3_P12ihipStream_tbPNSt15iterator_traitsISF_E10value_typeEPNSL_ISG_E10value_typeEPSH_NS1_7vsmem_tEENKUlT_SF_SG_SH_E_clIS9_S9_SA_SA_EESE_SU_SF_SG_SH_EUlSU_E1_NS1_11comp_targetILNS1_3genE8ELNS1_11target_archE1030ELNS1_3gpuE2ELNS1_3repE0EEENS1_36merge_oddeven_config_static_selectorELNS0_4arch9wavefront6targetE0EEEvSG_.private_seg_size, 0
	.set _ZN7rocprim17ROCPRIM_400000_NS6detail17trampoline_kernelINS0_14default_configENS1_38merge_sort_block_merge_config_selectorI6__halfNS0_10empty_typeEEEZZNS1_27merge_sort_block_merge_implIS3_PS5_PS6_jNS1_19radix_merge_compareILb1ELb0ES5_NS0_19identity_decomposerEEEEE10hipError_tT0_T1_T2_jT3_P12ihipStream_tbPNSt15iterator_traitsISF_E10value_typeEPNSL_ISG_E10value_typeEPSH_NS1_7vsmem_tEENKUlT_SF_SG_SH_E_clIS9_S9_SA_SA_EESE_SU_SF_SG_SH_EUlSU_E1_NS1_11comp_targetILNS1_3genE8ELNS1_11target_archE1030ELNS1_3gpuE2ELNS1_3repE0EEENS1_36merge_oddeven_config_static_selectorELNS0_4arch9wavefront6targetE0EEEvSG_.uses_vcc, 0
	.set _ZN7rocprim17ROCPRIM_400000_NS6detail17trampoline_kernelINS0_14default_configENS1_38merge_sort_block_merge_config_selectorI6__halfNS0_10empty_typeEEEZZNS1_27merge_sort_block_merge_implIS3_PS5_PS6_jNS1_19radix_merge_compareILb1ELb0ES5_NS0_19identity_decomposerEEEEE10hipError_tT0_T1_T2_jT3_P12ihipStream_tbPNSt15iterator_traitsISF_E10value_typeEPNSL_ISG_E10value_typeEPSH_NS1_7vsmem_tEENKUlT_SF_SG_SH_E_clIS9_S9_SA_SA_EESE_SU_SF_SG_SH_EUlSU_E1_NS1_11comp_targetILNS1_3genE8ELNS1_11target_archE1030ELNS1_3gpuE2ELNS1_3repE0EEENS1_36merge_oddeven_config_static_selectorELNS0_4arch9wavefront6targetE0EEEvSG_.uses_flat_scratch, 0
	.set _ZN7rocprim17ROCPRIM_400000_NS6detail17trampoline_kernelINS0_14default_configENS1_38merge_sort_block_merge_config_selectorI6__halfNS0_10empty_typeEEEZZNS1_27merge_sort_block_merge_implIS3_PS5_PS6_jNS1_19radix_merge_compareILb1ELb0ES5_NS0_19identity_decomposerEEEEE10hipError_tT0_T1_T2_jT3_P12ihipStream_tbPNSt15iterator_traitsISF_E10value_typeEPNSL_ISG_E10value_typeEPSH_NS1_7vsmem_tEENKUlT_SF_SG_SH_E_clIS9_S9_SA_SA_EESE_SU_SF_SG_SH_EUlSU_E1_NS1_11comp_targetILNS1_3genE8ELNS1_11target_archE1030ELNS1_3gpuE2ELNS1_3repE0EEENS1_36merge_oddeven_config_static_selectorELNS0_4arch9wavefront6targetE0EEEvSG_.has_dyn_sized_stack, 0
	.set _ZN7rocprim17ROCPRIM_400000_NS6detail17trampoline_kernelINS0_14default_configENS1_38merge_sort_block_merge_config_selectorI6__halfNS0_10empty_typeEEEZZNS1_27merge_sort_block_merge_implIS3_PS5_PS6_jNS1_19radix_merge_compareILb1ELb0ES5_NS0_19identity_decomposerEEEEE10hipError_tT0_T1_T2_jT3_P12ihipStream_tbPNSt15iterator_traitsISF_E10value_typeEPNSL_ISG_E10value_typeEPSH_NS1_7vsmem_tEENKUlT_SF_SG_SH_E_clIS9_S9_SA_SA_EESE_SU_SF_SG_SH_EUlSU_E1_NS1_11comp_targetILNS1_3genE8ELNS1_11target_archE1030ELNS1_3gpuE2ELNS1_3repE0EEENS1_36merge_oddeven_config_static_selectorELNS0_4arch9wavefront6targetE0EEEvSG_.has_recursion, 0
	.set _ZN7rocprim17ROCPRIM_400000_NS6detail17trampoline_kernelINS0_14default_configENS1_38merge_sort_block_merge_config_selectorI6__halfNS0_10empty_typeEEEZZNS1_27merge_sort_block_merge_implIS3_PS5_PS6_jNS1_19radix_merge_compareILb1ELb0ES5_NS0_19identity_decomposerEEEEE10hipError_tT0_T1_T2_jT3_P12ihipStream_tbPNSt15iterator_traitsISF_E10value_typeEPNSL_ISG_E10value_typeEPSH_NS1_7vsmem_tEENKUlT_SF_SG_SH_E_clIS9_S9_SA_SA_EESE_SU_SF_SG_SH_EUlSU_E1_NS1_11comp_targetILNS1_3genE8ELNS1_11target_archE1030ELNS1_3gpuE2ELNS1_3repE0EEENS1_36merge_oddeven_config_static_selectorELNS0_4arch9wavefront6targetE0EEEvSG_.has_indirect_call, 0
	.section	.AMDGPU.csdata,"",@progbits
; Kernel info:
; codeLenInByte = 0
; TotalNumSgprs: 0
; NumVgprs: 0
; ScratchSize: 0
; MemoryBound: 0
; FloatMode: 240
; IeeeMode: 1
; LDSByteSize: 0 bytes/workgroup (compile time only)
; SGPRBlocks: 0
; VGPRBlocks: 0
; NumSGPRsForWavesPerEU: 1
; NumVGPRsForWavesPerEU: 1
; NamedBarCnt: 0
; Occupancy: 16
; WaveLimiterHint : 0
; COMPUTE_PGM_RSRC2:SCRATCH_EN: 0
; COMPUTE_PGM_RSRC2:USER_SGPR: 2
; COMPUTE_PGM_RSRC2:TRAP_HANDLER: 0
; COMPUTE_PGM_RSRC2:TGID_X_EN: 1
; COMPUTE_PGM_RSRC2:TGID_Y_EN: 0
; COMPUTE_PGM_RSRC2:TGID_Z_EN: 0
; COMPUTE_PGM_RSRC2:TIDIG_COMP_CNT: 0
	.section	.text._ZN7rocprim17ROCPRIM_400000_NS6detail17trampoline_kernelINS0_14default_configENS1_25transform_config_selectorI6__halfLb1EEEZNS1_14transform_implILb1ES3_S6_PS5_S8_NS0_8identityIS5_EEEE10hipError_tT2_T3_mT4_P12ihipStream_tbEUlT_E_NS1_11comp_targetILNS1_3genE0ELNS1_11target_archE4294967295ELNS1_3gpuE0ELNS1_3repE0EEENS1_30default_config_static_selectorELNS0_4arch9wavefront6targetE0EEEvT1_,"axG",@progbits,_ZN7rocprim17ROCPRIM_400000_NS6detail17trampoline_kernelINS0_14default_configENS1_25transform_config_selectorI6__halfLb1EEEZNS1_14transform_implILb1ES3_S6_PS5_S8_NS0_8identityIS5_EEEE10hipError_tT2_T3_mT4_P12ihipStream_tbEUlT_E_NS1_11comp_targetILNS1_3genE0ELNS1_11target_archE4294967295ELNS1_3gpuE0ELNS1_3repE0EEENS1_30default_config_static_selectorELNS0_4arch9wavefront6targetE0EEEvT1_,comdat
	.protected	_ZN7rocprim17ROCPRIM_400000_NS6detail17trampoline_kernelINS0_14default_configENS1_25transform_config_selectorI6__halfLb1EEEZNS1_14transform_implILb1ES3_S6_PS5_S8_NS0_8identityIS5_EEEE10hipError_tT2_T3_mT4_P12ihipStream_tbEUlT_E_NS1_11comp_targetILNS1_3genE0ELNS1_11target_archE4294967295ELNS1_3gpuE0ELNS1_3repE0EEENS1_30default_config_static_selectorELNS0_4arch9wavefront6targetE0EEEvT1_ ; -- Begin function _ZN7rocprim17ROCPRIM_400000_NS6detail17trampoline_kernelINS0_14default_configENS1_25transform_config_selectorI6__halfLb1EEEZNS1_14transform_implILb1ES3_S6_PS5_S8_NS0_8identityIS5_EEEE10hipError_tT2_T3_mT4_P12ihipStream_tbEUlT_E_NS1_11comp_targetILNS1_3genE0ELNS1_11target_archE4294967295ELNS1_3gpuE0ELNS1_3repE0EEENS1_30default_config_static_selectorELNS0_4arch9wavefront6targetE0EEEvT1_
	.globl	_ZN7rocprim17ROCPRIM_400000_NS6detail17trampoline_kernelINS0_14default_configENS1_25transform_config_selectorI6__halfLb1EEEZNS1_14transform_implILb1ES3_S6_PS5_S8_NS0_8identityIS5_EEEE10hipError_tT2_T3_mT4_P12ihipStream_tbEUlT_E_NS1_11comp_targetILNS1_3genE0ELNS1_11target_archE4294967295ELNS1_3gpuE0ELNS1_3repE0EEENS1_30default_config_static_selectorELNS0_4arch9wavefront6targetE0EEEvT1_
	.p2align	8
	.type	_ZN7rocprim17ROCPRIM_400000_NS6detail17trampoline_kernelINS0_14default_configENS1_25transform_config_selectorI6__halfLb1EEEZNS1_14transform_implILb1ES3_S6_PS5_S8_NS0_8identityIS5_EEEE10hipError_tT2_T3_mT4_P12ihipStream_tbEUlT_E_NS1_11comp_targetILNS1_3genE0ELNS1_11target_archE4294967295ELNS1_3gpuE0ELNS1_3repE0EEENS1_30default_config_static_selectorELNS0_4arch9wavefront6targetE0EEEvT1_,@function
_ZN7rocprim17ROCPRIM_400000_NS6detail17trampoline_kernelINS0_14default_configENS1_25transform_config_selectorI6__halfLb1EEEZNS1_14transform_implILb1ES3_S6_PS5_S8_NS0_8identityIS5_EEEE10hipError_tT2_T3_mT4_P12ihipStream_tbEUlT_E_NS1_11comp_targetILNS1_3genE0ELNS1_11target_archE4294967295ELNS1_3gpuE0ELNS1_3repE0EEENS1_30default_config_static_selectorELNS0_4arch9wavefront6targetE0EEEvT1_: ; @_ZN7rocprim17ROCPRIM_400000_NS6detail17trampoline_kernelINS0_14default_configENS1_25transform_config_selectorI6__halfLb1EEEZNS1_14transform_implILb1ES3_S6_PS5_S8_NS0_8identityIS5_EEEE10hipError_tT2_T3_mT4_P12ihipStream_tbEUlT_E_NS1_11comp_targetILNS1_3genE0ELNS1_11target_archE4294967295ELNS1_3gpuE0ELNS1_3repE0EEENS1_30default_config_static_selectorELNS0_4arch9wavefront6targetE0EEEvT1_
; %bb.0:
	s_load_b256 s[4:11], s[0:1], 0x0
	s_wait_kmcnt 0x0
	s_load_b32 s9, s[0:1], 0x28
                                        ; kill: killed $sgpr0_sgpr1
	s_wait_xcnt 0x0
	s_bfe_u32 s0, ttmp6, 0x4000c
	s_and_b32 s2, ttmp6, 15
	s_add_co_i32 s0, s0, 1
	s_getreg_b32 s12, hwreg(HW_REG_IB_STS2, 6, 4)
	s_mul_i32 s0, ttmp9, s0
	s_mov_b32 s1, 0
	s_add_co_i32 s0, s2, s0
	s_lshl_b64 s[2:3], s[6:7], 1
	s_cmp_eq_u32 s12, 0
	s_add_nc_u64 s[12:13], s[4:5], s[2:3]
	s_cselect_b32 s14, ttmp9, s0
	s_wait_kmcnt 0x0
	s_add_co_i32 s9, s9, -1
	s_lshl_b32 s0, s14, 9
	s_add_nc_u64 s[4:5], s[10:11], s[2:3]
	s_lshl_b64 s[6:7], s[0:1], 1
	s_mov_b32 s2, -1
	s_cmp_lg_u32 s14, s9
	s_add_nc_u64 s[10:11], s[12:13], s[6:7]
	s_cbranch_scc0 .LBB2129_2
; %bb.1:
	global_load_b64 v[2:3], v0, s[10:11] scale_offset th:TH_LOAD_NT
	s_add_nc_u64 s[12:13], s[4:5], s[6:7]
	s_mov_b32 s2, 0
	s_wait_loadcnt 0x0
	global_store_b64 v0, v[2:3], s[12:13] scale_offset
.LBB2129_2:
	s_and_not1_b32 vcc_lo, exec_lo, s2
	s_cbranch_vccnz .LBB2129_16
; %bb.3:
	s_sub_co_i32 s3, s8, s0
                                        ; implicit-def: $vgpr2
	s_delay_alu instid0(SALU_CYCLE_1)
	v_cmp_gt_u32_e32 vcc_lo, s3, v0
	s_wait_xcnt 0x0
	s_and_saveexec_b32 s0, vcc_lo
	s_cbranch_execz .LBB2129_5
; %bb.4:
	global_load_u16 v2, v0, s[10:11] scale_offset
.LBB2129_5:
	s_wait_xcnt 0x0
	s_or_b32 exec_lo, exec_lo, s0
	v_or_b32_e32 v1, 0x80, v0
                                        ; implicit-def: $vgpr3
	s_delay_alu instid0(VALU_DEP_1)
	v_cmp_gt_u32_e64 s0, s3, v1
	s_and_saveexec_b32 s1, s0
	s_cbranch_execz .LBB2129_7
; %bb.6:
	global_load_u16 v3, v0, s[10:11] offset:256 scale_offset
.LBB2129_7:
	s_wait_xcnt 0x0
	s_or_b32 exec_lo, exec_lo, s1
	v_or_b32_e32 v1, 0x100, v0
                                        ; implicit-def: $vgpr4
	s_delay_alu instid0(VALU_DEP_1)
	v_cmp_gt_u32_e64 s1, s3, v1
	s_and_saveexec_b32 s2, s1
	s_cbranch_execz .LBB2129_9
; %bb.8:
	global_load_u16 v4, v0, s[10:11] offset:512 scale_offset
.LBB2129_9:
	s_wait_xcnt 0x0
	s_or_b32 exec_lo, exec_lo, s2
	v_or_b32_e32 v1, 0x180, v0
	s_delay_alu instid0(VALU_DEP_1) | instskip(SKIP_2) | instid1(SALU_CYCLE_1)
	v_cmp_gt_u32_e64 s2, s3, v1
	v_cmp_le_u32_e64 s3, s3, v1
	s_and_saveexec_b32 s8, s3
	s_xor_b32 s3, exec_lo, s8
	s_delay_alu instid0(SALU_CYCLE_1) | instskip(NEXT) | instid1(SALU_CYCLE_1)
	s_or_saveexec_b32 s3, s3
                                        ; implicit-def: $vgpr5
	s_xor_b32 exec_lo, exec_lo, s3
	s_cbranch_execz .LBB2129_11
; %bb.10:
	global_load_u16 v5, v0, s[10:11] offset:768 scale_offset
.LBB2129_11:
	s_wait_xcnt 0x0
	s_or_b32 exec_lo, exec_lo, s3
	v_dual_mov_b32 v1, 0 :: v_dual_lshlrev_b32 v0, 1, v0
	s_add_nc_u64 s[4:5], s[4:5], s[6:7]
	s_delay_alu instid0(VALU_DEP_1) | instid1(SALU_CYCLE_1)
	v_add_nc_u64_e32 v[0:1], s[4:5], v[0:1]
	s_and_saveexec_b32 s3, vcc_lo
	s_cbranch_execnz .LBB2129_17
; %bb.12:
	s_or_b32 exec_lo, exec_lo, s3
	s_and_saveexec_b32 s3, s0
	s_cbranch_execnz .LBB2129_18
.LBB2129_13:
	s_or_b32 exec_lo, exec_lo, s3
	s_and_saveexec_b32 s0, s1
	s_cbranch_execnz .LBB2129_19
.LBB2129_14:
	s_or_b32 exec_lo, exec_lo, s0
	s_and_saveexec_b32 s0, s2
	s_cbranch_execz .LBB2129_16
.LBB2129_15:
	s_wait_loadcnt 0x0
	global_store_b16 v[0:1], v5, off offset:768
.LBB2129_16:
	s_endpgm
.LBB2129_17:
	s_wait_loadcnt 0x0
	global_store_b16 v[0:1], v2, off
	s_wait_xcnt 0x0
	s_or_b32 exec_lo, exec_lo, s3
	s_and_saveexec_b32 s3, s0
	s_cbranch_execz .LBB2129_13
.LBB2129_18:
	s_wait_loadcnt 0x0
	global_store_b16 v[0:1], v3, off offset:256
	s_wait_xcnt 0x0
	s_or_b32 exec_lo, exec_lo, s3
	s_and_saveexec_b32 s0, s1
	s_cbranch_execz .LBB2129_14
.LBB2129_19:
	s_wait_loadcnt 0x0
	global_store_b16 v[0:1], v4, off offset:512
	s_wait_xcnt 0x0
	s_or_b32 exec_lo, exec_lo, s0
	s_and_saveexec_b32 s0, s2
	s_cbranch_execnz .LBB2129_15
	s_branch .LBB2129_16
	.section	.rodata,"a",@progbits
	.p2align	6, 0x0
	.amdhsa_kernel _ZN7rocprim17ROCPRIM_400000_NS6detail17trampoline_kernelINS0_14default_configENS1_25transform_config_selectorI6__halfLb1EEEZNS1_14transform_implILb1ES3_S6_PS5_S8_NS0_8identityIS5_EEEE10hipError_tT2_T3_mT4_P12ihipStream_tbEUlT_E_NS1_11comp_targetILNS1_3genE0ELNS1_11target_archE4294967295ELNS1_3gpuE0ELNS1_3repE0EEENS1_30default_config_static_selectorELNS0_4arch9wavefront6targetE0EEEvT1_
		.amdhsa_group_segment_fixed_size 0
		.amdhsa_private_segment_fixed_size 0
		.amdhsa_kernarg_size 296
		.amdhsa_user_sgpr_count 2
		.amdhsa_user_sgpr_dispatch_ptr 0
		.amdhsa_user_sgpr_queue_ptr 0
		.amdhsa_user_sgpr_kernarg_segment_ptr 1
		.amdhsa_user_sgpr_dispatch_id 0
		.amdhsa_user_sgpr_kernarg_preload_length 0
		.amdhsa_user_sgpr_kernarg_preload_offset 0
		.amdhsa_user_sgpr_private_segment_size 0
		.amdhsa_wavefront_size32 1
		.amdhsa_uses_dynamic_stack 0
		.amdhsa_enable_private_segment 0
		.amdhsa_system_sgpr_workgroup_id_x 1
		.amdhsa_system_sgpr_workgroup_id_y 0
		.amdhsa_system_sgpr_workgroup_id_z 0
		.amdhsa_system_sgpr_workgroup_info 0
		.amdhsa_system_vgpr_workitem_id 0
		.amdhsa_next_free_vgpr 6
		.amdhsa_next_free_sgpr 15
		.amdhsa_named_barrier_count 0
		.amdhsa_reserve_vcc 1
		.amdhsa_float_round_mode_32 0
		.amdhsa_float_round_mode_16_64 0
		.amdhsa_float_denorm_mode_32 3
		.amdhsa_float_denorm_mode_16_64 3
		.amdhsa_fp16_overflow 0
		.amdhsa_memory_ordered 1
		.amdhsa_forward_progress 1
		.amdhsa_inst_pref_size 5
		.amdhsa_round_robin_scheduling 0
		.amdhsa_exception_fp_ieee_invalid_op 0
		.amdhsa_exception_fp_denorm_src 0
		.amdhsa_exception_fp_ieee_div_zero 0
		.amdhsa_exception_fp_ieee_overflow 0
		.amdhsa_exception_fp_ieee_underflow 0
		.amdhsa_exception_fp_ieee_inexact 0
		.amdhsa_exception_int_div_zero 0
	.end_amdhsa_kernel
	.section	.text._ZN7rocprim17ROCPRIM_400000_NS6detail17trampoline_kernelINS0_14default_configENS1_25transform_config_selectorI6__halfLb1EEEZNS1_14transform_implILb1ES3_S6_PS5_S8_NS0_8identityIS5_EEEE10hipError_tT2_T3_mT4_P12ihipStream_tbEUlT_E_NS1_11comp_targetILNS1_3genE0ELNS1_11target_archE4294967295ELNS1_3gpuE0ELNS1_3repE0EEENS1_30default_config_static_selectorELNS0_4arch9wavefront6targetE0EEEvT1_,"axG",@progbits,_ZN7rocprim17ROCPRIM_400000_NS6detail17trampoline_kernelINS0_14default_configENS1_25transform_config_selectorI6__halfLb1EEEZNS1_14transform_implILb1ES3_S6_PS5_S8_NS0_8identityIS5_EEEE10hipError_tT2_T3_mT4_P12ihipStream_tbEUlT_E_NS1_11comp_targetILNS1_3genE0ELNS1_11target_archE4294967295ELNS1_3gpuE0ELNS1_3repE0EEENS1_30default_config_static_selectorELNS0_4arch9wavefront6targetE0EEEvT1_,comdat
.Lfunc_end2129:
	.size	_ZN7rocprim17ROCPRIM_400000_NS6detail17trampoline_kernelINS0_14default_configENS1_25transform_config_selectorI6__halfLb1EEEZNS1_14transform_implILb1ES3_S6_PS5_S8_NS0_8identityIS5_EEEE10hipError_tT2_T3_mT4_P12ihipStream_tbEUlT_E_NS1_11comp_targetILNS1_3genE0ELNS1_11target_archE4294967295ELNS1_3gpuE0ELNS1_3repE0EEENS1_30default_config_static_selectorELNS0_4arch9wavefront6targetE0EEEvT1_, .Lfunc_end2129-_ZN7rocprim17ROCPRIM_400000_NS6detail17trampoline_kernelINS0_14default_configENS1_25transform_config_selectorI6__halfLb1EEEZNS1_14transform_implILb1ES3_S6_PS5_S8_NS0_8identityIS5_EEEE10hipError_tT2_T3_mT4_P12ihipStream_tbEUlT_E_NS1_11comp_targetILNS1_3genE0ELNS1_11target_archE4294967295ELNS1_3gpuE0ELNS1_3repE0EEENS1_30default_config_static_selectorELNS0_4arch9wavefront6targetE0EEEvT1_
                                        ; -- End function
	.set _ZN7rocprim17ROCPRIM_400000_NS6detail17trampoline_kernelINS0_14default_configENS1_25transform_config_selectorI6__halfLb1EEEZNS1_14transform_implILb1ES3_S6_PS5_S8_NS0_8identityIS5_EEEE10hipError_tT2_T3_mT4_P12ihipStream_tbEUlT_E_NS1_11comp_targetILNS1_3genE0ELNS1_11target_archE4294967295ELNS1_3gpuE0ELNS1_3repE0EEENS1_30default_config_static_selectorELNS0_4arch9wavefront6targetE0EEEvT1_.num_vgpr, 6
	.set _ZN7rocprim17ROCPRIM_400000_NS6detail17trampoline_kernelINS0_14default_configENS1_25transform_config_selectorI6__halfLb1EEEZNS1_14transform_implILb1ES3_S6_PS5_S8_NS0_8identityIS5_EEEE10hipError_tT2_T3_mT4_P12ihipStream_tbEUlT_E_NS1_11comp_targetILNS1_3genE0ELNS1_11target_archE4294967295ELNS1_3gpuE0ELNS1_3repE0EEENS1_30default_config_static_selectorELNS0_4arch9wavefront6targetE0EEEvT1_.num_agpr, 0
	.set _ZN7rocprim17ROCPRIM_400000_NS6detail17trampoline_kernelINS0_14default_configENS1_25transform_config_selectorI6__halfLb1EEEZNS1_14transform_implILb1ES3_S6_PS5_S8_NS0_8identityIS5_EEEE10hipError_tT2_T3_mT4_P12ihipStream_tbEUlT_E_NS1_11comp_targetILNS1_3genE0ELNS1_11target_archE4294967295ELNS1_3gpuE0ELNS1_3repE0EEENS1_30default_config_static_selectorELNS0_4arch9wavefront6targetE0EEEvT1_.numbered_sgpr, 15
	.set _ZN7rocprim17ROCPRIM_400000_NS6detail17trampoline_kernelINS0_14default_configENS1_25transform_config_selectorI6__halfLb1EEEZNS1_14transform_implILb1ES3_S6_PS5_S8_NS0_8identityIS5_EEEE10hipError_tT2_T3_mT4_P12ihipStream_tbEUlT_E_NS1_11comp_targetILNS1_3genE0ELNS1_11target_archE4294967295ELNS1_3gpuE0ELNS1_3repE0EEENS1_30default_config_static_selectorELNS0_4arch9wavefront6targetE0EEEvT1_.num_named_barrier, 0
	.set _ZN7rocprim17ROCPRIM_400000_NS6detail17trampoline_kernelINS0_14default_configENS1_25transform_config_selectorI6__halfLb1EEEZNS1_14transform_implILb1ES3_S6_PS5_S8_NS0_8identityIS5_EEEE10hipError_tT2_T3_mT4_P12ihipStream_tbEUlT_E_NS1_11comp_targetILNS1_3genE0ELNS1_11target_archE4294967295ELNS1_3gpuE0ELNS1_3repE0EEENS1_30default_config_static_selectorELNS0_4arch9wavefront6targetE0EEEvT1_.private_seg_size, 0
	.set _ZN7rocprim17ROCPRIM_400000_NS6detail17trampoline_kernelINS0_14default_configENS1_25transform_config_selectorI6__halfLb1EEEZNS1_14transform_implILb1ES3_S6_PS5_S8_NS0_8identityIS5_EEEE10hipError_tT2_T3_mT4_P12ihipStream_tbEUlT_E_NS1_11comp_targetILNS1_3genE0ELNS1_11target_archE4294967295ELNS1_3gpuE0ELNS1_3repE0EEENS1_30default_config_static_selectorELNS0_4arch9wavefront6targetE0EEEvT1_.uses_vcc, 1
	.set _ZN7rocprim17ROCPRIM_400000_NS6detail17trampoline_kernelINS0_14default_configENS1_25transform_config_selectorI6__halfLb1EEEZNS1_14transform_implILb1ES3_S6_PS5_S8_NS0_8identityIS5_EEEE10hipError_tT2_T3_mT4_P12ihipStream_tbEUlT_E_NS1_11comp_targetILNS1_3genE0ELNS1_11target_archE4294967295ELNS1_3gpuE0ELNS1_3repE0EEENS1_30default_config_static_selectorELNS0_4arch9wavefront6targetE0EEEvT1_.uses_flat_scratch, 0
	.set _ZN7rocprim17ROCPRIM_400000_NS6detail17trampoline_kernelINS0_14default_configENS1_25transform_config_selectorI6__halfLb1EEEZNS1_14transform_implILb1ES3_S6_PS5_S8_NS0_8identityIS5_EEEE10hipError_tT2_T3_mT4_P12ihipStream_tbEUlT_E_NS1_11comp_targetILNS1_3genE0ELNS1_11target_archE4294967295ELNS1_3gpuE0ELNS1_3repE0EEENS1_30default_config_static_selectorELNS0_4arch9wavefront6targetE0EEEvT1_.has_dyn_sized_stack, 0
	.set _ZN7rocprim17ROCPRIM_400000_NS6detail17trampoline_kernelINS0_14default_configENS1_25transform_config_selectorI6__halfLb1EEEZNS1_14transform_implILb1ES3_S6_PS5_S8_NS0_8identityIS5_EEEE10hipError_tT2_T3_mT4_P12ihipStream_tbEUlT_E_NS1_11comp_targetILNS1_3genE0ELNS1_11target_archE4294967295ELNS1_3gpuE0ELNS1_3repE0EEENS1_30default_config_static_selectorELNS0_4arch9wavefront6targetE0EEEvT1_.has_recursion, 0
	.set _ZN7rocprim17ROCPRIM_400000_NS6detail17trampoline_kernelINS0_14default_configENS1_25transform_config_selectorI6__halfLb1EEEZNS1_14transform_implILb1ES3_S6_PS5_S8_NS0_8identityIS5_EEEE10hipError_tT2_T3_mT4_P12ihipStream_tbEUlT_E_NS1_11comp_targetILNS1_3genE0ELNS1_11target_archE4294967295ELNS1_3gpuE0ELNS1_3repE0EEENS1_30default_config_static_selectorELNS0_4arch9wavefront6targetE0EEEvT1_.has_indirect_call, 0
	.section	.AMDGPU.csdata,"",@progbits
; Kernel info:
; codeLenInByte = 548
; TotalNumSgprs: 17
; NumVgprs: 6
; ScratchSize: 0
; MemoryBound: 0
; FloatMode: 240
; IeeeMode: 1
; LDSByteSize: 0 bytes/workgroup (compile time only)
; SGPRBlocks: 0
; VGPRBlocks: 0
; NumSGPRsForWavesPerEU: 17
; NumVGPRsForWavesPerEU: 6
; NamedBarCnt: 0
; Occupancy: 16
; WaveLimiterHint : 0
; COMPUTE_PGM_RSRC2:SCRATCH_EN: 0
; COMPUTE_PGM_RSRC2:USER_SGPR: 2
; COMPUTE_PGM_RSRC2:TRAP_HANDLER: 0
; COMPUTE_PGM_RSRC2:TGID_X_EN: 1
; COMPUTE_PGM_RSRC2:TGID_Y_EN: 0
; COMPUTE_PGM_RSRC2:TGID_Z_EN: 0
; COMPUTE_PGM_RSRC2:TIDIG_COMP_CNT: 0
	.section	.text._ZN7rocprim17ROCPRIM_400000_NS6detail17trampoline_kernelINS0_14default_configENS1_25transform_config_selectorI6__halfLb1EEEZNS1_14transform_implILb1ES3_S6_PS5_S8_NS0_8identityIS5_EEEE10hipError_tT2_T3_mT4_P12ihipStream_tbEUlT_E_NS1_11comp_targetILNS1_3genE10ELNS1_11target_archE1201ELNS1_3gpuE5ELNS1_3repE0EEENS1_30default_config_static_selectorELNS0_4arch9wavefront6targetE0EEEvT1_,"axG",@progbits,_ZN7rocprim17ROCPRIM_400000_NS6detail17trampoline_kernelINS0_14default_configENS1_25transform_config_selectorI6__halfLb1EEEZNS1_14transform_implILb1ES3_S6_PS5_S8_NS0_8identityIS5_EEEE10hipError_tT2_T3_mT4_P12ihipStream_tbEUlT_E_NS1_11comp_targetILNS1_3genE10ELNS1_11target_archE1201ELNS1_3gpuE5ELNS1_3repE0EEENS1_30default_config_static_selectorELNS0_4arch9wavefront6targetE0EEEvT1_,comdat
	.protected	_ZN7rocprim17ROCPRIM_400000_NS6detail17trampoline_kernelINS0_14default_configENS1_25transform_config_selectorI6__halfLb1EEEZNS1_14transform_implILb1ES3_S6_PS5_S8_NS0_8identityIS5_EEEE10hipError_tT2_T3_mT4_P12ihipStream_tbEUlT_E_NS1_11comp_targetILNS1_3genE10ELNS1_11target_archE1201ELNS1_3gpuE5ELNS1_3repE0EEENS1_30default_config_static_selectorELNS0_4arch9wavefront6targetE0EEEvT1_ ; -- Begin function _ZN7rocprim17ROCPRIM_400000_NS6detail17trampoline_kernelINS0_14default_configENS1_25transform_config_selectorI6__halfLb1EEEZNS1_14transform_implILb1ES3_S6_PS5_S8_NS0_8identityIS5_EEEE10hipError_tT2_T3_mT4_P12ihipStream_tbEUlT_E_NS1_11comp_targetILNS1_3genE10ELNS1_11target_archE1201ELNS1_3gpuE5ELNS1_3repE0EEENS1_30default_config_static_selectorELNS0_4arch9wavefront6targetE0EEEvT1_
	.globl	_ZN7rocprim17ROCPRIM_400000_NS6detail17trampoline_kernelINS0_14default_configENS1_25transform_config_selectorI6__halfLb1EEEZNS1_14transform_implILb1ES3_S6_PS5_S8_NS0_8identityIS5_EEEE10hipError_tT2_T3_mT4_P12ihipStream_tbEUlT_E_NS1_11comp_targetILNS1_3genE10ELNS1_11target_archE1201ELNS1_3gpuE5ELNS1_3repE0EEENS1_30default_config_static_selectorELNS0_4arch9wavefront6targetE0EEEvT1_
	.p2align	8
	.type	_ZN7rocprim17ROCPRIM_400000_NS6detail17trampoline_kernelINS0_14default_configENS1_25transform_config_selectorI6__halfLb1EEEZNS1_14transform_implILb1ES3_S6_PS5_S8_NS0_8identityIS5_EEEE10hipError_tT2_T3_mT4_P12ihipStream_tbEUlT_E_NS1_11comp_targetILNS1_3genE10ELNS1_11target_archE1201ELNS1_3gpuE5ELNS1_3repE0EEENS1_30default_config_static_selectorELNS0_4arch9wavefront6targetE0EEEvT1_,@function
_ZN7rocprim17ROCPRIM_400000_NS6detail17trampoline_kernelINS0_14default_configENS1_25transform_config_selectorI6__halfLb1EEEZNS1_14transform_implILb1ES3_S6_PS5_S8_NS0_8identityIS5_EEEE10hipError_tT2_T3_mT4_P12ihipStream_tbEUlT_E_NS1_11comp_targetILNS1_3genE10ELNS1_11target_archE1201ELNS1_3gpuE5ELNS1_3repE0EEENS1_30default_config_static_selectorELNS0_4arch9wavefront6targetE0EEEvT1_: ; @_ZN7rocprim17ROCPRIM_400000_NS6detail17trampoline_kernelINS0_14default_configENS1_25transform_config_selectorI6__halfLb1EEEZNS1_14transform_implILb1ES3_S6_PS5_S8_NS0_8identityIS5_EEEE10hipError_tT2_T3_mT4_P12ihipStream_tbEUlT_E_NS1_11comp_targetILNS1_3genE10ELNS1_11target_archE1201ELNS1_3gpuE5ELNS1_3repE0EEENS1_30default_config_static_selectorELNS0_4arch9wavefront6targetE0EEEvT1_
; %bb.0:
	.section	.rodata,"a",@progbits
	.p2align	6, 0x0
	.amdhsa_kernel _ZN7rocprim17ROCPRIM_400000_NS6detail17trampoline_kernelINS0_14default_configENS1_25transform_config_selectorI6__halfLb1EEEZNS1_14transform_implILb1ES3_S6_PS5_S8_NS0_8identityIS5_EEEE10hipError_tT2_T3_mT4_P12ihipStream_tbEUlT_E_NS1_11comp_targetILNS1_3genE10ELNS1_11target_archE1201ELNS1_3gpuE5ELNS1_3repE0EEENS1_30default_config_static_selectorELNS0_4arch9wavefront6targetE0EEEvT1_
		.amdhsa_group_segment_fixed_size 0
		.amdhsa_private_segment_fixed_size 0
		.amdhsa_kernarg_size 40
		.amdhsa_user_sgpr_count 2
		.amdhsa_user_sgpr_dispatch_ptr 0
		.amdhsa_user_sgpr_queue_ptr 0
		.amdhsa_user_sgpr_kernarg_segment_ptr 1
		.amdhsa_user_sgpr_dispatch_id 0
		.amdhsa_user_sgpr_kernarg_preload_length 0
		.amdhsa_user_sgpr_kernarg_preload_offset 0
		.amdhsa_user_sgpr_private_segment_size 0
		.amdhsa_wavefront_size32 1
		.amdhsa_uses_dynamic_stack 0
		.amdhsa_enable_private_segment 0
		.amdhsa_system_sgpr_workgroup_id_x 1
		.amdhsa_system_sgpr_workgroup_id_y 0
		.amdhsa_system_sgpr_workgroup_id_z 0
		.amdhsa_system_sgpr_workgroup_info 0
		.amdhsa_system_vgpr_workitem_id 0
		.amdhsa_next_free_vgpr 1
		.amdhsa_next_free_sgpr 1
		.amdhsa_named_barrier_count 0
		.amdhsa_reserve_vcc 0
		.amdhsa_float_round_mode_32 0
		.amdhsa_float_round_mode_16_64 0
		.amdhsa_float_denorm_mode_32 3
		.amdhsa_float_denorm_mode_16_64 3
		.amdhsa_fp16_overflow 0
		.amdhsa_memory_ordered 1
		.amdhsa_forward_progress 1
		.amdhsa_inst_pref_size 0
		.amdhsa_round_robin_scheduling 0
		.amdhsa_exception_fp_ieee_invalid_op 0
		.amdhsa_exception_fp_denorm_src 0
		.amdhsa_exception_fp_ieee_div_zero 0
		.amdhsa_exception_fp_ieee_overflow 0
		.amdhsa_exception_fp_ieee_underflow 0
		.amdhsa_exception_fp_ieee_inexact 0
		.amdhsa_exception_int_div_zero 0
	.end_amdhsa_kernel
	.section	.text._ZN7rocprim17ROCPRIM_400000_NS6detail17trampoline_kernelINS0_14default_configENS1_25transform_config_selectorI6__halfLb1EEEZNS1_14transform_implILb1ES3_S6_PS5_S8_NS0_8identityIS5_EEEE10hipError_tT2_T3_mT4_P12ihipStream_tbEUlT_E_NS1_11comp_targetILNS1_3genE10ELNS1_11target_archE1201ELNS1_3gpuE5ELNS1_3repE0EEENS1_30default_config_static_selectorELNS0_4arch9wavefront6targetE0EEEvT1_,"axG",@progbits,_ZN7rocprim17ROCPRIM_400000_NS6detail17trampoline_kernelINS0_14default_configENS1_25transform_config_selectorI6__halfLb1EEEZNS1_14transform_implILb1ES3_S6_PS5_S8_NS0_8identityIS5_EEEE10hipError_tT2_T3_mT4_P12ihipStream_tbEUlT_E_NS1_11comp_targetILNS1_3genE10ELNS1_11target_archE1201ELNS1_3gpuE5ELNS1_3repE0EEENS1_30default_config_static_selectorELNS0_4arch9wavefront6targetE0EEEvT1_,comdat
.Lfunc_end2130:
	.size	_ZN7rocprim17ROCPRIM_400000_NS6detail17trampoline_kernelINS0_14default_configENS1_25transform_config_selectorI6__halfLb1EEEZNS1_14transform_implILb1ES3_S6_PS5_S8_NS0_8identityIS5_EEEE10hipError_tT2_T3_mT4_P12ihipStream_tbEUlT_E_NS1_11comp_targetILNS1_3genE10ELNS1_11target_archE1201ELNS1_3gpuE5ELNS1_3repE0EEENS1_30default_config_static_selectorELNS0_4arch9wavefront6targetE0EEEvT1_, .Lfunc_end2130-_ZN7rocprim17ROCPRIM_400000_NS6detail17trampoline_kernelINS0_14default_configENS1_25transform_config_selectorI6__halfLb1EEEZNS1_14transform_implILb1ES3_S6_PS5_S8_NS0_8identityIS5_EEEE10hipError_tT2_T3_mT4_P12ihipStream_tbEUlT_E_NS1_11comp_targetILNS1_3genE10ELNS1_11target_archE1201ELNS1_3gpuE5ELNS1_3repE0EEENS1_30default_config_static_selectorELNS0_4arch9wavefront6targetE0EEEvT1_
                                        ; -- End function
	.set _ZN7rocprim17ROCPRIM_400000_NS6detail17trampoline_kernelINS0_14default_configENS1_25transform_config_selectorI6__halfLb1EEEZNS1_14transform_implILb1ES3_S6_PS5_S8_NS0_8identityIS5_EEEE10hipError_tT2_T3_mT4_P12ihipStream_tbEUlT_E_NS1_11comp_targetILNS1_3genE10ELNS1_11target_archE1201ELNS1_3gpuE5ELNS1_3repE0EEENS1_30default_config_static_selectorELNS0_4arch9wavefront6targetE0EEEvT1_.num_vgpr, 0
	.set _ZN7rocprim17ROCPRIM_400000_NS6detail17trampoline_kernelINS0_14default_configENS1_25transform_config_selectorI6__halfLb1EEEZNS1_14transform_implILb1ES3_S6_PS5_S8_NS0_8identityIS5_EEEE10hipError_tT2_T3_mT4_P12ihipStream_tbEUlT_E_NS1_11comp_targetILNS1_3genE10ELNS1_11target_archE1201ELNS1_3gpuE5ELNS1_3repE0EEENS1_30default_config_static_selectorELNS0_4arch9wavefront6targetE0EEEvT1_.num_agpr, 0
	.set _ZN7rocprim17ROCPRIM_400000_NS6detail17trampoline_kernelINS0_14default_configENS1_25transform_config_selectorI6__halfLb1EEEZNS1_14transform_implILb1ES3_S6_PS5_S8_NS0_8identityIS5_EEEE10hipError_tT2_T3_mT4_P12ihipStream_tbEUlT_E_NS1_11comp_targetILNS1_3genE10ELNS1_11target_archE1201ELNS1_3gpuE5ELNS1_3repE0EEENS1_30default_config_static_selectorELNS0_4arch9wavefront6targetE0EEEvT1_.numbered_sgpr, 0
	.set _ZN7rocprim17ROCPRIM_400000_NS6detail17trampoline_kernelINS0_14default_configENS1_25transform_config_selectorI6__halfLb1EEEZNS1_14transform_implILb1ES3_S6_PS5_S8_NS0_8identityIS5_EEEE10hipError_tT2_T3_mT4_P12ihipStream_tbEUlT_E_NS1_11comp_targetILNS1_3genE10ELNS1_11target_archE1201ELNS1_3gpuE5ELNS1_3repE0EEENS1_30default_config_static_selectorELNS0_4arch9wavefront6targetE0EEEvT1_.num_named_barrier, 0
	.set _ZN7rocprim17ROCPRIM_400000_NS6detail17trampoline_kernelINS0_14default_configENS1_25transform_config_selectorI6__halfLb1EEEZNS1_14transform_implILb1ES3_S6_PS5_S8_NS0_8identityIS5_EEEE10hipError_tT2_T3_mT4_P12ihipStream_tbEUlT_E_NS1_11comp_targetILNS1_3genE10ELNS1_11target_archE1201ELNS1_3gpuE5ELNS1_3repE0EEENS1_30default_config_static_selectorELNS0_4arch9wavefront6targetE0EEEvT1_.private_seg_size, 0
	.set _ZN7rocprim17ROCPRIM_400000_NS6detail17trampoline_kernelINS0_14default_configENS1_25transform_config_selectorI6__halfLb1EEEZNS1_14transform_implILb1ES3_S6_PS5_S8_NS0_8identityIS5_EEEE10hipError_tT2_T3_mT4_P12ihipStream_tbEUlT_E_NS1_11comp_targetILNS1_3genE10ELNS1_11target_archE1201ELNS1_3gpuE5ELNS1_3repE0EEENS1_30default_config_static_selectorELNS0_4arch9wavefront6targetE0EEEvT1_.uses_vcc, 0
	.set _ZN7rocprim17ROCPRIM_400000_NS6detail17trampoline_kernelINS0_14default_configENS1_25transform_config_selectorI6__halfLb1EEEZNS1_14transform_implILb1ES3_S6_PS5_S8_NS0_8identityIS5_EEEE10hipError_tT2_T3_mT4_P12ihipStream_tbEUlT_E_NS1_11comp_targetILNS1_3genE10ELNS1_11target_archE1201ELNS1_3gpuE5ELNS1_3repE0EEENS1_30default_config_static_selectorELNS0_4arch9wavefront6targetE0EEEvT1_.uses_flat_scratch, 0
	.set _ZN7rocprim17ROCPRIM_400000_NS6detail17trampoline_kernelINS0_14default_configENS1_25transform_config_selectorI6__halfLb1EEEZNS1_14transform_implILb1ES3_S6_PS5_S8_NS0_8identityIS5_EEEE10hipError_tT2_T3_mT4_P12ihipStream_tbEUlT_E_NS1_11comp_targetILNS1_3genE10ELNS1_11target_archE1201ELNS1_3gpuE5ELNS1_3repE0EEENS1_30default_config_static_selectorELNS0_4arch9wavefront6targetE0EEEvT1_.has_dyn_sized_stack, 0
	.set _ZN7rocprim17ROCPRIM_400000_NS6detail17trampoline_kernelINS0_14default_configENS1_25transform_config_selectorI6__halfLb1EEEZNS1_14transform_implILb1ES3_S6_PS5_S8_NS0_8identityIS5_EEEE10hipError_tT2_T3_mT4_P12ihipStream_tbEUlT_E_NS1_11comp_targetILNS1_3genE10ELNS1_11target_archE1201ELNS1_3gpuE5ELNS1_3repE0EEENS1_30default_config_static_selectorELNS0_4arch9wavefront6targetE0EEEvT1_.has_recursion, 0
	.set _ZN7rocprim17ROCPRIM_400000_NS6detail17trampoline_kernelINS0_14default_configENS1_25transform_config_selectorI6__halfLb1EEEZNS1_14transform_implILb1ES3_S6_PS5_S8_NS0_8identityIS5_EEEE10hipError_tT2_T3_mT4_P12ihipStream_tbEUlT_E_NS1_11comp_targetILNS1_3genE10ELNS1_11target_archE1201ELNS1_3gpuE5ELNS1_3repE0EEENS1_30default_config_static_selectorELNS0_4arch9wavefront6targetE0EEEvT1_.has_indirect_call, 0
	.section	.AMDGPU.csdata,"",@progbits
; Kernel info:
; codeLenInByte = 0
; TotalNumSgprs: 0
; NumVgprs: 0
; ScratchSize: 0
; MemoryBound: 0
; FloatMode: 240
; IeeeMode: 1
; LDSByteSize: 0 bytes/workgroup (compile time only)
; SGPRBlocks: 0
; VGPRBlocks: 0
; NumSGPRsForWavesPerEU: 1
; NumVGPRsForWavesPerEU: 1
; NamedBarCnt: 0
; Occupancy: 16
; WaveLimiterHint : 0
; COMPUTE_PGM_RSRC2:SCRATCH_EN: 0
; COMPUTE_PGM_RSRC2:USER_SGPR: 2
; COMPUTE_PGM_RSRC2:TRAP_HANDLER: 0
; COMPUTE_PGM_RSRC2:TGID_X_EN: 1
; COMPUTE_PGM_RSRC2:TGID_Y_EN: 0
; COMPUTE_PGM_RSRC2:TGID_Z_EN: 0
; COMPUTE_PGM_RSRC2:TIDIG_COMP_CNT: 0
	.section	.text._ZN7rocprim17ROCPRIM_400000_NS6detail17trampoline_kernelINS0_14default_configENS1_25transform_config_selectorI6__halfLb1EEEZNS1_14transform_implILb1ES3_S6_PS5_S8_NS0_8identityIS5_EEEE10hipError_tT2_T3_mT4_P12ihipStream_tbEUlT_E_NS1_11comp_targetILNS1_3genE5ELNS1_11target_archE942ELNS1_3gpuE9ELNS1_3repE0EEENS1_30default_config_static_selectorELNS0_4arch9wavefront6targetE0EEEvT1_,"axG",@progbits,_ZN7rocprim17ROCPRIM_400000_NS6detail17trampoline_kernelINS0_14default_configENS1_25transform_config_selectorI6__halfLb1EEEZNS1_14transform_implILb1ES3_S6_PS5_S8_NS0_8identityIS5_EEEE10hipError_tT2_T3_mT4_P12ihipStream_tbEUlT_E_NS1_11comp_targetILNS1_3genE5ELNS1_11target_archE942ELNS1_3gpuE9ELNS1_3repE0EEENS1_30default_config_static_selectorELNS0_4arch9wavefront6targetE0EEEvT1_,comdat
	.protected	_ZN7rocprim17ROCPRIM_400000_NS6detail17trampoline_kernelINS0_14default_configENS1_25transform_config_selectorI6__halfLb1EEEZNS1_14transform_implILb1ES3_S6_PS5_S8_NS0_8identityIS5_EEEE10hipError_tT2_T3_mT4_P12ihipStream_tbEUlT_E_NS1_11comp_targetILNS1_3genE5ELNS1_11target_archE942ELNS1_3gpuE9ELNS1_3repE0EEENS1_30default_config_static_selectorELNS0_4arch9wavefront6targetE0EEEvT1_ ; -- Begin function _ZN7rocprim17ROCPRIM_400000_NS6detail17trampoline_kernelINS0_14default_configENS1_25transform_config_selectorI6__halfLb1EEEZNS1_14transform_implILb1ES3_S6_PS5_S8_NS0_8identityIS5_EEEE10hipError_tT2_T3_mT4_P12ihipStream_tbEUlT_E_NS1_11comp_targetILNS1_3genE5ELNS1_11target_archE942ELNS1_3gpuE9ELNS1_3repE0EEENS1_30default_config_static_selectorELNS0_4arch9wavefront6targetE0EEEvT1_
	.globl	_ZN7rocprim17ROCPRIM_400000_NS6detail17trampoline_kernelINS0_14default_configENS1_25transform_config_selectorI6__halfLb1EEEZNS1_14transform_implILb1ES3_S6_PS5_S8_NS0_8identityIS5_EEEE10hipError_tT2_T3_mT4_P12ihipStream_tbEUlT_E_NS1_11comp_targetILNS1_3genE5ELNS1_11target_archE942ELNS1_3gpuE9ELNS1_3repE0EEENS1_30default_config_static_selectorELNS0_4arch9wavefront6targetE0EEEvT1_
	.p2align	8
	.type	_ZN7rocprim17ROCPRIM_400000_NS6detail17trampoline_kernelINS0_14default_configENS1_25transform_config_selectorI6__halfLb1EEEZNS1_14transform_implILb1ES3_S6_PS5_S8_NS0_8identityIS5_EEEE10hipError_tT2_T3_mT4_P12ihipStream_tbEUlT_E_NS1_11comp_targetILNS1_3genE5ELNS1_11target_archE942ELNS1_3gpuE9ELNS1_3repE0EEENS1_30default_config_static_selectorELNS0_4arch9wavefront6targetE0EEEvT1_,@function
_ZN7rocprim17ROCPRIM_400000_NS6detail17trampoline_kernelINS0_14default_configENS1_25transform_config_selectorI6__halfLb1EEEZNS1_14transform_implILb1ES3_S6_PS5_S8_NS0_8identityIS5_EEEE10hipError_tT2_T3_mT4_P12ihipStream_tbEUlT_E_NS1_11comp_targetILNS1_3genE5ELNS1_11target_archE942ELNS1_3gpuE9ELNS1_3repE0EEENS1_30default_config_static_selectorELNS0_4arch9wavefront6targetE0EEEvT1_: ; @_ZN7rocprim17ROCPRIM_400000_NS6detail17trampoline_kernelINS0_14default_configENS1_25transform_config_selectorI6__halfLb1EEEZNS1_14transform_implILb1ES3_S6_PS5_S8_NS0_8identityIS5_EEEE10hipError_tT2_T3_mT4_P12ihipStream_tbEUlT_E_NS1_11comp_targetILNS1_3genE5ELNS1_11target_archE942ELNS1_3gpuE9ELNS1_3repE0EEENS1_30default_config_static_selectorELNS0_4arch9wavefront6targetE0EEEvT1_
; %bb.0:
	.section	.rodata,"a",@progbits
	.p2align	6, 0x0
	.amdhsa_kernel _ZN7rocprim17ROCPRIM_400000_NS6detail17trampoline_kernelINS0_14default_configENS1_25transform_config_selectorI6__halfLb1EEEZNS1_14transform_implILb1ES3_S6_PS5_S8_NS0_8identityIS5_EEEE10hipError_tT2_T3_mT4_P12ihipStream_tbEUlT_E_NS1_11comp_targetILNS1_3genE5ELNS1_11target_archE942ELNS1_3gpuE9ELNS1_3repE0EEENS1_30default_config_static_selectorELNS0_4arch9wavefront6targetE0EEEvT1_
		.amdhsa_group_segment_fixed_size 0
		.amdhsa_private_segment_fixed_size 0
		.amdhsa_kernarg_size 40
		.amdhsa_user_sgpr_count 2
		.amdhsa_user_sgpr_dispatch_ptr 0
		.amdhsa_user_sgpr_queue_ptr 0
		.amdhsa_user_sgpr_kernarg_segment_ptr 1
		.amdhsa_user_sgpr_dispatch_id 0
		.amdhsa_user_sgpr_kernarg_preload_length 0
		.amdhsa_user_sgpr_kernarg_preload_offset 0
		.amdhsa_user_sgpr_private_segment_size 0
		.amdhsa_wavefront_size32 1
		.amdhsa_uses_dynamic_stack 0
		.amdhsa_enable_private_segment 0
		.amdhsa_system_sgpr_workgroup_id_x 1
		.amdhsa_system_sgpr_workgroup_id_y 0
		.amdhsa_system_sgpr_workgroup_id_z 0
		.amdhsa_system_sgpr_workgroup_info 0
		.amdhsa_system_vgpr_workitem_id 0
		.amdhsa_next_free_vgpr 1
		.amdhsa_next_free_sgpr 1
		.amdhsa_named_barrier_count 0
		.amdhsa_reserve_vcc 0
		.amdhsa_float_round_mode_32 0
		.amdhsa_float_round_mode_16_64 0
		.amdhsa_float_denorm_mode_32 3
		.amdhsa_float_denorm_mode_16_64 3
		.amdhsa_fp16_overflow 0
		.amdhsa_memory_ordered 1
		.amdhsa_forward_progress 1
		.amdhsa_inst_pref_size 0
		.amdhsa_round_robin_scheduling 0
		.amdhsa_exception_fp_ieee_invalid_op 0
		.amdhsa_exception_fp_denorm_src 0
		.amdhsa_exception_fp_ieee_div_zero 0
		.amdhsa_exception_fp_ieee_overflow 0
		.amdhsa_exception_fp_ieee_underflow 0
		.amdhsa_exception_fp_ieee_inexact 0
		.amdhsa_exception_int_div_zero 0
	.end_amdhsa_kernel
	.section	.text._ZN7rocprim17ROCPRIM_400000_NS6detail17trampoline_kernelINS0_14default_configENS1_25transform_config_selectorI6__halfLb1EEEZNS1_14transform_implILb1ES3_S6_PS5_S8_NS0_8identityIS5_EEEE10hipError_tT2_T3_mT4_P12ihipStream_tbEUlT_E_NS1_11comp_targetILNS1_3genE5ELNS1_11target_archE942ELNS1_3gpuE9ELNS1_3repE0EEENS1_30default_config_static_selectorELNS0_4arch9wavefront6targetE0EEEvT1_,"axG",@progbits,_ZN7rocprim17ROCPRIM_400000_NS6detail17trampoline_kernelINS0_14default_configENS1_25transform_config_selectorI6__halfLb1EEEZNS1_14transform_implILb1ES3_S6_PS5_S8_NS0_8identityIS5_EEEE10hipError_tT2_T3_mT4_P12ihipStream_tbEUlT_E_NS1_11comp_targetILNS1_3genE5ELNS1_11target_archE942ELNS1_3gpuE9ELNS1_3repE0EEENS1_30default_config_static_selectorELNS0_4arch9wavefront6targetE0EEEvT1_,comdat
.Lfunc_end2131:
	.size	_ZN7rocprim17ROCPRIM_400000_NS6detail17trampoline_kernelINS0_14default_configENS1_25transform_config_selectorI6__halfLb1EEEZNS1_14transform_implILb1ES3_S6_PS5_S8_NS0_8identityIS5_EEEE10hipError_tT2_T3_mT4_P12ihipStream_tbEUlT_E_NS1_11comp_targetILNS1_3genE5ELNS1_11target_archE942ELNS1_3gpuE9ELNS1_3repE0EEENS1_30default_config_static_selectorELNS0_4arch9wavefront6targetE0EEEvT1_, .Lfunc_end2131-_ZN7rocprim17ROCPRIM_400000_NS6detail17trampoline_kernelINS0_14default_configENS1_25transform_config_selectorI6__halfLb1EEEZNS1_14transform_implILb1ES3_S6_PS5_S8_NS0_8identityIS5_EEEE10hipError_tT2_T3_mT4_P12ihipStream_tbEUlT_E_NS1_11comp_targetILNS1_3genE5ELNS1_11target_archE942ELNS1_3gpuE9ELNS1_3repE0EEENS1_30default_config_static_selectorELNS0_4arch9wavefront6targetE0EEEvT1_
                                        ; -- End function
	.set _ZN7rocprim17ROCPRIM_400000_NS6detail17trampoline_kernelINS0_14default_configENS1_25transform_config_selectorI6__halfLb1EEEZNS1_14transform_implILb1ES3_S6_PS5_S8_NS0_8identityIS5_EEEE10hipError_tT2_T3_mT4_P12ihipStream_tbEUlT_E_NS1_11comp_targetILNS1_3genE5ELNS1_11target_archE942ELNS1_3gpuE9ELNS1_3repE0EEENS1_30default_config_static_selectorELNS0_4arch9wavefront6targetE0EEEvT1_.num_vgpr, 0
	.set _ZN7rocprim17ROCPRIM_400000_NS6detail17trampoline_kernelINS0_14default_configENS1_25transform_config_selectorI6__halfLb1EEEZNS1_14transform_implILb1ES3_S6_PS5_S8_NS0_8identityIS5_EEEE10hipError_tT2_T3_mT4_P12ihipStream_tbEUlT_E_NS1_11comp_targetILNS1_3genE5ELNS1_11target_archE942ELNS1_3gpuE9ELNS1_3repE0EEENS1_30default_config_static_selectorELNS0_4arch9wavefront6targetE0EEEvT1_.num_agpr, 0
	.set _ZN7rocprim17ROCPRIM_400000_NS6detail17trampoline_kernelINS0_14default_configENS1_25transform_config_selectorI6__halfLb1EEEZNS1_14transform_implILb1ES3_S6_PS5_S8_NS0_8identityIS5_EEEE10hipError_tT2_T3_mT4_P12ihipStream_tbEUlT_E_NS1_11comp_targetILNS1_3genE5ELNS1_11target_archE942ELNS1_3gpuE9ELNS1_3repE0EEENS1_30default_config_static_selectorELNS0_4arch9wavefront6targetE0EEEvT1_.numbered_sgpr, 0
	.set _ZN7rocprim17ROCPRIM_400000_NS6detail17trampoline_kernelINS0_14default_configENS1_25transform_config_selectorI6__halfLb1EEEZNS1_14transform_implILb1ES3_S6_PS5_S8_NS0_8identityIS5_EEEE10hipError_tT2_T3_mT4_P12ihipStream_tbEUlT_E_NS1_11comp_targetILNS1_3genE5ELNS1_11target_archE942ELNS1_3gpuE9ELNS1_3repE0EEENS1_30default_config_static_selectorELNS0_4arch9wavefront6targetE0EEEvT1_.num_named_barrier, 0
	.set _ZN7rocprim17ROCPRIM_400000_NS6detail17trampoline_kernelINS0_14default_configENS1_25transform_config_selectorI6__halfLb1EEEZNS1_14transform_implILb1ES3_S6_PS5_S8_NS0_8identityIS5_EEEE10hipError_tT2_T3_mT4_P12ihipStream_tbEUlT_E_NS1_11comp_targetILNS1_3genE5ELNS1_11target_archE942ELNS1_3gpuE9ELNS1_3repE0EEENS1_30default_config_static_selectorELNS0_4arch9wavefront6targetE0EEEvT1_.private_seg_size, 0
	.set _ZN7rocprim17ROCPRIM_400000_NS6detail17trampoline_kernelINS0_14default_configENS1_25transform_config_selectorI6__halfLb1EEEZNS1_14transform_implILb1ES3_S6_PS5_S8_NS0_8identityIS5_EEEE10hipError_tT2_T3_mT4_P12ihipStream_tbEUlT_E_NS1_11comp_targetILNS1_3genE5ELNS1_11target_archE942ELNS1_3gpuE9ELNS1_3repE0EEENS1_30default_config_static_selectorELNS0_4arch9wavefront6targetE0EEEvT1_.uses_vcc, 0
	.set _ZN7rocprim17ROCPRIM_400000_NS6detail17trampoline_kernelINS0_14default_configENS1_25transform_config_selectorI6__halfLb1EEEZNS1_14transform_implILb1ES3_S6_PS5_S8_NS0_8identityIS5_EEEE10hipError_tT2_T3_mT4_P12ihipStream_tbEUlT_E_NS1_11comp_targetILNS1_3genE5ELNS1_11target_archE942ELNS1_3gpuE9ELNS1_3repE0EEENS1_30default_config_static_selectorELNS0_4arch9wavefront6targetE0EEEvT1_.uses_flat_scratch, 0
	.set _ZN7rocprim17ROCPRIM_400000_NS6detail17trampoline_kernelINS0_14default_configENS1_25transform_config_selectorI6__halfLb1EEEZNS1_14transform_implILb1ES3_S6_PS5_S8_NS0_8identityIS5_EEEE10hipError_tT2_T3_mT4_P12ihipStream_tbEUlT_E_NS1_11comp_targetILNS1_3genE5ELNS1_11target_archE942ELNS1_3gpuE9ELNS1_3repE0EEENS1_30default_config_static_selectorELNS0_4arch9wavefront6targetE0EEEvT1_.has_dyn_sized_stack, 0
	.set _ZN7rocprim17ROCPRIM_400000_NS6detail17trampoline_kernelINS0_14default_configENS1_25transform_config_selectorI6__halfLb1EEEZNS1_14transform_implILb1ES3_S6_PS5_S8_NS0_8identityIS5_EEEE10hipError_tT2_T3_mT4_P12ihipStream_tbEUlT_E_NS1_11comp_targetILNS1_3genE5ELNS1_11target_archE942ELNS1_3gpuE9ELNS1_3repE0EEENS1_30default_config_static_selectorELNS0_4arch9wavefront6targetE0EEEvT1_.has_recursion, 0
	.set _ZN7rocprim17ROCPRIM_400000_NS6detail17trampoline_kernelINS0_14default_configENS1_25transform_config_selectorI6__halfLb1EEEZNS1_14transform_implILb1ES3_S6_PS5_S8_NS0_8identityIS5_EEEE10hipError_tT2_T3_mT4_P12ihipStream_tbEUlT_E_NS1_11comp_targetILNS1_3genE5ELNS1_11target_archE942ELNS1_3gpuE9ELNS1_3repE0EEENS1_30default_config_static_selectorELNS0_4arch9wavefront6targetE0EEEvT1_.has_indirect_call, 0
	.section	.AMDGPU.csdata,"",@progbits
; Kernel info:
; codeLenInByte = 0
; TotalNumSgprs: 0
; NumVgprs: 0
; ScratchSize: 0
; MemoryBound: 0
; FloatMode: 240
; IeeeMode: 1
; LDSByteSize: 0 bytes/workgroup (compile time only)
; SGPRBlocks: 0
; VGPRBlocks: 0
; NumSGPRsForWavesPerEU: 1
; NumVGPRsForWavesPerEU: 1
; NamedBarCnt: 0
; Occupancy: 16
; WaveLimiterHint : 0
; COMPUTE_PGM_RSRC2:SCRATCH_EN: 0
; COMPUTE_PGM_RSRC2:USER_SGPR: 2
; COMPUTE_PGM_RSRC2:TRAP_HANDLER: 0
; COMPUTE_PGM_RSRC2:TGID_X_EN: 1
; COMPUTE_PGM_RSRC2:TGID_Y_EN: 0
; COMPUTE_PGM_RSRC2:TGID_Z_EN: 0
; COMPUTE_PGM_RSRC2:TIDIG_COMP_CNT: 0
	.section	.text._ZN7rocprim17ROCPRIM_400000_NS6detail17trampoline_kernelINS0_14default_configENS1_25transform_config_selectorI6__halfLb1EEEZNS1_14transform_implILb1ES3_S6_PS5_S8_NS0_8identityIS5_EEEE10hipError_tT2_T3_mT4_P12ihipStream_tbEUlT_E_NS1_11comp_targetILNS1_3genE4ELNS1_11target_archE910ELNS1_3gpuE8ELNS1_3repE0EEENS1_30default_config_static_selectorELNS0_4arch9wavefront6targetE0EEEvT1_,"axG",@progbits,_ZN7rocprim17ROCPRIM_400000_NS6detail17trampoline_kernelINS0_14default_configENS1_25transform_config_selectorI6__halfLb1EEEZNS1_14transform_implILb1ES3_S6_PS5_S8_NS0_8identityIS5_EEEE10hipError_tT2_T3_mT4_P12ihipStream_tbEUlT_E_NS1_11comp_targetILNS1_3genE4ELNS1_11target_archE910ELNS1_3gpuE8ELNS1_3repE0EEENS1_30default_config_static_selectorELNS0_4arch9wavefront6targetE0EEEvT1_,comdat
	.protected	_ZN7rocprim17ROCPRIM_400000_NS6detail17trampoline_kernelINS0_14default_configENS1_25transform_config_selectorI6__halfLb1EEEZNS1_14transform_implILb1ES3_S6_PS5_S8_NS0_8identityIS5_EEEE10hipError_tT2_T3_mT4_P12ihipStream_tbEUlT_E_NS1_11comp_targetILNS1_3genE4ELNS1_11target_archE910ELNS1_3gpuE8ELNS1_3repE0EEENS1_30default_config_static_selectorELNS0_4arch9wavefront6targetE0EEEvT1_ ; -- Begin function _ZN7rocprim17ROCPRIM_400000_NS6detail17trampoline_kernelINS0_14default_configENS1_25transform_config_selectorI6__halfLb1EEEZNS1_14transform_implILb1ES3_S6_PS5_S8_NS0_8identityIS5_EEEE10hipError_tT2_T3_mT4_P12ihipStream_tbEUlT_E_NS1_11comp_targetILNS1_3genE4ELNS1_11target_archE910ELNS1_3gpuE8ELNS1_3repE0EEENS1_30default_config_static_selectorELNS0_4arch9wavefront6targetE0EEEvT1_
	.globl	_ZN7rocprim17ROCPRIM_400000_NS6detail17trampoline_kernelINS0_14default_configENS1_25transform_config_selectorI6__halfLb1EEEZNS1_14transform_implILb1ES3_S6_PS5_S8_NS0_8identityIS5_EEEE10hipError_tT2_T3_mT4_P12ihipStream_tbEUlT_E_NS1_11comp_targetILNS1_3genE4ELNS1_11target_archE910ELNS1_3gpuE8ELNS1_3repE0EEENS1_30default_config_static_selectorELNS0_4arch9wavefront6targetE0EEEvT1_
	.p2align	8
	.type	_ZN7rocprim17ROCPRIM_400000_NS6detail17trampoline_kernelINS0_14default_configENS1_25transform_config_selectorI6__halfLb1EEEZNS1_14transform_implILb1ES3_S6_PS5_S8_NS0_8identityIS5_EEEE10hipError_tT2_T3_mT4_P12ihipStream_tbEUlT_E_NS1_11comp_targetILNS1_3genE4ELNS1_11target_archE910ELNS1_3gpuE8ELNS1_3repE0EEENS1_30default_config_static_selectorELNS0_4arch9wavefront6targetE0EEEvT1_,@function
_ZN7rocprim17ROCPRIM_400000_NS6detail17trampoline_kernelINS0_14default_configENS1_25transform_config_selectorI6__halfLb1EEEZNS1_14transform_implILb1ES3_S6_PS5_S8_NS0_8identityIS5_EEEE10hipError_tT2_T3_mT4_P12ihipStream_tbEUlT_E_NS1_11comp_targetILNS1_3genE4ELNS1_11target_archE910ELNS1_3gpuE8ELNS1_3repE0EEENS1_30default_config_static_selectorELNS0_4arch9wavefront6targetE0EEEvT1_: ; @_ZN7rocprim17ROCPRIM_400000_NS6detail17trampoline_kernelINS0_14default_configENS1_25transform_config_selectorI6__halfLb1EEEZNS1_14transform_implILb1ES3_S6_PS5_S8_NS0_8identityIS5_EEEE10hipError_tT2_T3_mT4_P12ihipStream_tbEUlT_E_NS1_11comp_targetILNS1_3genE4ELNS1_11target_archE910ELNS1_3gpuE8ELNS1_3repE0EEENS1_30default_config_static_selectorELNS0_4arch9wavefront6targetE0EEEvT1_
; %bb.0:
	.section	.rodata,"a",@progbits
	.p2align	6, 0x0
	.amdhsa_kernel _ZN7rocprim17ROCPRIM_400000_NS6detail17trampoline_kernelINS0_14default_configENS1_25transform_config_selectorI6__halfLb1EEEZNS1_14transform_implILb1ES3_S6_PS5_S8_NS0_8identityIS5_EEEE10hipError_tT2_T3_mT4_P12ihipStream_tbEUlT_E_NS1_11comp_targetILNS1_3genE4ELNS1_11target_archE910ELNS1_3gpuE8ELNS1_3repE0EEENS1_30default_config_static_selectorELNS0_4arch9wavefront6targetE0EEEvT1_
		.amdhsa_group_segment_fixed_size 0
		.amdhsa_private_segment_fixed_size 0
		.amdhsa_kernarg_size 40
		.amdhsa_user_sgpr_count 2
		.amdhsa_user_sgpr_dispatch_ptr 0
		.amdhsa_user_sgpr_queue_ptr 0
		.amdhsa_user_sgpr_kernarg_segment_ptr 1
		.amdhsa_user_sgpr_dispatch_id 0
		.amdhsa_user_sgpr_kernarg_preload_length 0
		.amdhsa_user_sgpr_kernarg_preload_offset 0
		.amdhsa_user_sgpr_private_segment_size 0
		.amdhsa_wavefront_size32 1
		.amdhsa_uses_dynamic_stack 0
		.amdhsa_enable_private_segment 0
		.amdhsa_system_sgpr_workgroup_id_x 1
		.amdhsa_system_sgpr_workgroup_id_y 0
		.amdhsa_system_sgpr_workgroup_id_z 0
		.amdhsa_system_sgpr_workgroup_info 0
		.amdhsa_system_vgpr_workitem_id 0
		.amdhsa_next_free_vgpr 1
		.amdhsa_next_free_sgpr 1
		.amdhsa_named_barrier_count 0
		.amdhsa_reserve_vcc 0
		.amdhsa_float_round_mode_32 0
		.amdhsa_float_round_mode_16_64 0
		.amdhsa_float_denorm_mode_32 3
		.amdhsa_float_denorm_mode_16_64 3
		.amdhsa_fp16_overflow 0
		.amdhsa_memory_ordered 1
		.amdhsa_forward_progress 1
		.amdhsa_inst_pref_size 0
		.amdhsa_round_robin_scheduling 0
		.amdhsa_exception_fp_ieee_invalid_op 0
		.amdhsa_exception_fp_denorm_src 0
		.amdhsa_exception_fp_ieee_div_zero 0
		.amdhsa_exception_fp_ieee_overflow 0
		.amdhsa_exception_fp_ieee_underflow 0
		.amdhsa_exception_fp_ieee_inexact 0
		.amdhsa_exception_int_div_zero 0
	.end_amdhsa_kernel
	.section	.text._ZN7rocprim17ROCPRIM_400000_NS6detail17trampoline_kernelINS0_14default_configENS1_25transform_config_selectorI6__halfLb1EEEZNS1_14transform_implILb1ES3_S6_PS5_S8_NS0_8identityIS5_EEEE10hipError_tT2_T3_mT4_P12ihipStream_tbEUlT_E_NS1_11comp_targetILNS1_3genE4ELNS1_11target_archE910ELNS1_3gpuE8ELNS1_3repE0EEENS1_30default_config_static_selectorELNS0_4arch9wavefront6targetE0EEEvT1_,"axG",@progbits,_ZN7rocprim17ROCPRIM_400000_NS6detail17trampoline_kernelINS0_14default_configENS1_25transform_config_selectorI6__halfLb1EEEZNS1_14transform_implILb1ES3_S6_PS5_S8_NS0_8identityIS5_EEEE10hipError_tT2_T3_mT4_P12ihipStream_tbEUlT_E_NS1_11comp_targetILNS1_3genE4ELNS1_11target_archE910ELNS1_3gpuE8ELNS1_3repE0EEENS1_30default_config_static_selectorELNS0_4arch9wavefront6targetE0EEEvT1_,comdat
.Lfunc_end2132:
	.size	_ZN7rocprim17ROCPRIM_400000_NS6detail17trampoline_kernelINS0_14default_configENS1_25transform_config_selectorI6__halfLb1EEEZNS1_14transform_implILb1ES3_S6_PS5_S8_NS0_8identityIS5_EEEE10hipError_tT2_T3_mT4_P12ihipStream_tbEUlT_E_NS1_11comp_targetILNS1_3genE4ELNS1_11target_archE910ELNS1_3gpuE8ELNS1_3repE0EEENS1_30default_config_static_selectorELNS0_4arch9wavefront6targetE0EEEvT1_, .Lfunc_end2132-_ZN7rocprim17ROCPRIM_400000_NS6detail17trampoline_kernelINS0_14default_configENS1_25transform_config_selectorI6__halfLb1EEEZNS1_14transform_implILb1ES3_S6_PS5_S8_NS0_8identityIS5_EEEE10hipError_tT2_T3_mT4_P12ihipStream_tbEUlT_E_NS1_11comp_targetILNS1_3genE4ELNS1_11target_archE910ELNS1_3gpuE8ELNS1_3repE0EEENS1_30default_config_static_selectorELNS0_4arch9wavefront6targetE0EEEvT1_
                                        ; -- End function
	.set _ZN7rocprim17ROCPRIM_400000_NS6detail17trampoline_kernelINS0_14default_configENS1_25transform_config_selectorI6__halfLb1EEEZNS1_14transform_implILb1ES3_S6_PS5_S8_NS0_8identityIS5_EEEE10hipError_tT2_T3_mT4_P12ihipStream_tbEUlT_E_NS1_11comp_targetILNS1_3genE4ELNS1_11target_archE910ELNS1_3gpuE8ELNS1_3repE0EEENS1_30default_config_static_selectorELNS0_4arch9wavefront6targetE0EEEvT1_.num_vgpr, 0
	.set _ZN7rocprim17ROCPRIM_400000_NS6detail17trampoline_kernelINS0_14default_configENS1_25transform_config_selectorI6__halfLb1EEEZNS1_14transform_implILb1ES3_S6_PS5_S8_NS0_8identityIS5_EEEE10hipError_tT2_T3_mT4_P12ihipStream_tbEUlT_E_NS1_11comp_targetILNS1_3genE4ELNS1_11target_archE910ELNS1_3gpuE8ELNS1_3repE0EEENS1_30default_config_static_selectorELNS0_4arch9wavefront6targetE0EEEvT1_.num_agpr, 0
	.set _ZN7rocprim17ROCPRIM_400000_NS6detail17trampoline_kernelINS0_14default_configENS1_25transform_config_selectorI6__halfLb1EEEZNS1_14transform_implILb1ES3_S6_PS5_S8_NS0_8identityIS5_EEEE10hipError_tT2_T3_mT4_P12ihipStream_tbEUlT_E_NS1_11comp_targetILNS1_3genE4ELNS1_11target_archE910ELNS1_3gpuE8ELNS1_3repE0EEENS1_30default_config_static_selectorELNS0_4arch9wavefront6targetE0EEEvT1_.numbered_sgpr, 0
	.set _ZN7rocprim17ROCPRIM_400000_NS6detail17trampoline_kernelINS0_14default_configENS1_25transform_config_selectorI6__halfLb1EEEZNS1_14transform_implILb1ES3_S6_PS5_S8_NS0_8identityIS5_EEEE10hipError_tT2_T3_mT4_P12ihipStream_tbEUlT_E_NS1_11comp_targetILNS1_3genE4ELNS1_11target_archE910ELNS1_3gpuE8ELNS1_3repE0EEENS1_30default_config_static_selectorELNS0_4arch9wavefront6targetE0EEEvT1_.num_named_barrier, 0
	.set _ZN7rocprim17ROCPRIM_400000_NS6detail17trampoline_kernelINS0_14default_configENS1_25transform_config_selectorI6__halfLb1EEEZNS1_14transform_implILb1ES3_S6_PS5_S8_NS0_8identityIS5_EEEE10hipError_tT2_T3_mT4_P12ihipStream_tbEUlT_E_NS1_11comp_targetILNS1_3genE4ELNS1_11target_archE910ELNS1_3gpuE8ELNS1_3repE0EEENS1_30default_config_static_selectorELNS0_4arch9wavefront6targetE0EEEvT1_.private_seg_size, 0
	.set _ZN7rocprim17ROCPRIM_400000_NS6detail17trampoline_kernelINS0_14default_configENS1_25transform_config_selectorI6__halfLb1EEEZNS1_14transform_implILb1ES3_S6_PS5_S8_NS0_8identityIS5_EEEE10hipError_tT2_T3_mT4_P12ihipStream_tbEUlT_E_NS1_11comp_targetILNS1_3genE4ELNS1_11target_archE910ELNS1_3gpuE8ELNS1_3repE0EEENS1_30default_config_static_selectorELNS0_4arch9wavefront6targetE0EEEvT1_.uses_vcc, 0
	.set _ZN7rocprim17ROCPRIM_400000_NS6detail17trampoline_kernelINS0_14default_configENS1_25transform_config_selectorI6__halfLb1EEEZNS1_14transform_implILb1ES3_S6_PS5_S8_NS0_8identityIS5_EEEE10hipError_tT2_T3_mT4_P12ihipStream_tbEUlT_E_NS1_11comp_targetILNS1_3genE4ELNS1_11target_archE910ELNS1_3gpuE8ELNS1_3repE0EEENS1_30default_config_static_selectorELNS0_4arch9wavefront6targetE0EEEvT1_.uses_flat_scratch, 0
	.set _ZN7rocprim17ROCPRIM_400000_NS6detail17trampoline_kernelINS0_14default_configENS1_25transform_config_selectorI6__halfLb1EEEZNS1_14transform_implILb1ES3_S6_PS5_S8_NS0_8identityIS5_EEEE10hipError_tT2_T3_mT4_P12ihipStream_tbEUlT_E_NS1_11comp_targetILNS1_3genE4ELNS1_11target_archE910ELNS1_3gpuE8ELNS1_3repE0EEENS1_30default_config_static_selectorELNS0_4arch9wavefront6targetE0EEEvT1_.has_dyn_sized_stack, 0
	.set _ZN7rocprim17ROCPRIM_400000_NS6detail17trampoline_kernelINS0_14default_configENS1_25transform_config_selectorI6__halfLb1EEEZNS1_14transform_implILb1ES3_S6_PS5_S8_NS0_8identityIS5_EEEE10hipError_tT2_T3_mT4_P12ihipStream_tbEUlT_E_NS1_11comp_targetILNS1_3genE4ELNS1_11target_archE910ELNS1_3gpuE8ELNS1_3repE0EEENS1_30default_config_static_selectorELNS0_4arch9wavefront6targetE0EEEvT1_.has_recursion, 0
	.set _ZN7rocprim17ROCPRIM_400000_NS6detail17trampoline_kernelINS0_14default_configENS1_25transform_config_selectorI6__halfLb1EEEZNS1_14transform_implILb1ES3_S6_PS5_S8_NS0_8identityIS5_EEEE10hipError_tT2_T3_mT4_P12ihipStream_tbEUlT_E_NS1_11comp_targetILNS1_3genE4ELNS1_11target_archE910ELNS1_3gpuE8ELNS1_3repE0EEENS1_30default_config_static_selectorELNS0_4arch9wavefront6targetE0EEEvT1_.has_indirect_call, 0
	.section	.AMDGPU.csdata,"",@progbits
; Kernel info:
; codeLenInByte = 0
; TotalNumSgprs: 0
; NumVgprs: 0
; ScratchSize: 0
; MemoryBound: 0
; FloatMode: 240
; IeeeMode: 1
; LDSByteSize: 0 bytes/workgroup (compile time only)
; SGPRBlocks: 0
; VGPRBlocks: 0
; NumSGPRsForWavesPerEU: 1
; NumVGPRsForWavesPerEU: 1
; NamedBarCnt: 0
; Occupancy: 16
; WaveLimiterHint : 0
; COMPUTE_PGM_RSRC2:SCRATCH_EN: 0
; COMPUTE_PGM_RSRC2:USER_SGPR: 2
; COMPUTE_PGM_RSRC2:TRAP_HANDLER: 0
; COMPUTE_PGM_RSRC2:TGID_X_EN: 1
; COMPUTE_PGM_RSRC2:TGID_Y_EN: 0
; COMPUTE_PGM_RSRC2:TGID_Z_EN: 0
; COMPUTE_PGM_RSRC2:TIDIG_COMP_CNT: 0
	.section	.text._ZN7rocprim17ROCPRIM_400000_NS6detail17trampoline_kernelINS0_14default_configENS1_25transform_config_selectorI6__halfLb1EEEZNS1_14transform_implILb1ES3_S6_PS5_S8_NS0_8identityIS5_EEEE10hipError_tT2_T3_mT4_P12ihipStream_tbEUlT_E_NS1_11comp_targetILNS1_3genE3ELNS1_11target_archE908ELNS1_3gpuE7ELNS1_3repE0EEENS1_30default_config_static_selectorELNS0_4arch9wavefront6targetE0EEEvT1_,"axG",@progbits,_ZN7rocprim17ROCPRIM_400000_NS6detail17trampoline_kernelINS0_14default_configENS1_25transform_config_selectorI6__halfLb1EEEZNS1_14transform_implILb1ES3_S6_PS5_S8_NS0_8identityIS5_EEEE10hipError_tT2_T3_mT4_P12ihipStream_tbEUlT_E_NS1_11comp_targetILNS1_3genE3ELNS1_11target_archE908ELNS1_3gpuE7ELNS1_3repE0EEENS1_30default_config_static_selectorELNS0_4arch9wavefront6targetE0EEEvT1_,comdat
	.protected	_ZN7rocprim17ROCPRIM_400000_NS6detail17trampoline_kernelINS0_14default_configENS1_25transform_config_selectorI6__halfLb1EEEZNS1_14transform_implILb1ES3_S6_PS5_S8_NS0_8identityIS5_EEEE10hipError_tT2_T3_mT4_P12ihipStream_tbEUlT_E_NS1_11comp_targetILNS1_3genE3ELNS1_11target_archE908ELNS1_3gpuE7ELNS1_3repE0EEENS1_30default_config_static_selectorELNS0_4arch9wavefront6targetE0EEEvT1_ ; -- Begin function _ZN7rocprim17ROCPRIM_400000_NS6detail17trampoline_kernelINS0_14default_configENS1_25transform_config_selectorI6__halfLb1EEEZNS1_14transform_implILb1ES3_S6_PS5_S8_NS0_8identityIS5_EEEE10hipError_tT2_T3_mT4_P12ihipStream_tbEUlT_E_NS1_11comp_targetILNS1_3genE3ELNS1_11target_archE908ELNS1_3gpuE7ELNS1_3repE0EEENS1_30default_config_static_selectorELNS0_4arch9wavefront6targetE0EEEvT1_
	.globl	_ZN7rocprim17ROCPRIM_400000_NS6detail17trampoline_kernelINS0_14default_configENS1_25transform_config_selectorI6__halfLb1EEEZNS1_14transform_implILb1ES3_S6_PS5_S8_NS0_8identityIS5_EEEE10hipError_tT2_T3_mT4_P12ihipStream_tbEUlT_E_NS1_11comp_targetILNS1_3genE3ELNS1_11target_archE908ELNS1_3gpuE7ELNS1_3repE0EEENS1_30default_config_static_selectorELNS0_4arch9wavefront6targetE0EEEvT1_
	.p2align	8
	.type	_ZN7rocprim17ROCPRIM_400000_NS6detail17trampoline_kernelINS0_14default_configENS1_25transform_config_selectorI6__halfLb1EEEZNS1_14transform_implILb1ES3_S6_PS5_S8_NS0_8identityIS5_EEEE10hipError_tT2_T3_mT4_P12ihipStream_tbEUlT_E_NS1_11comp_targetILNS1_3genE3ELNS1_11target_archE908ELNS1_3gpuE7ELNS1_3repE0EEENS1_30default_config_static_selectorELNS0_4arch9wavefront6targetE0EEEvT1_,@function
_ZN7rocprim17ROCPRIM_400000_NS6detail17trampoline_kernelINS0_14default_configENS1_25transform_config_selectorI6__halfLb1EEEZNS1_14transform_implILb1ES3_S6_PS5_S8_NS0_8identityIS5_EEEE10hipError_tT2_T3_mT4_P12ihipStream_tbEUlT_E_NS1_11comp_targetILNS1_3genE3ELNS1_11target_archE908ELNS1_3gpuE7ELNS1_3repE0EEENS1_30default_config_static_selectorELNS0_4arch9wavefront6targetE0EEEvT1_: ; @_ZN7rocprim17ROCPRIM_400000_NS6detail17trampoline_kernelINS0_14default_configENS1_25transform_config_selectorI6__halfLb1EEEZNS1_14transform_implILb1ES3_S6_PS5_S8_NS0_8identityIS5_EEEE10hipError_tT2_T3_mT4_P12ihipStream_tbEUlT_E_NS1_11comp_targetILNS1_3genE3ELNS1_11target_archE908ELNS1_3gpuE7ELNS1_3repE0EEENS1_30default_config_static_selectorELNS0_4arch9wavefront6targetE0EEEvT1_
; %bb.0:
	.section	.rodata,"a",@progbits
	.p2align	6, 0x0
	.amdhsa_kernel _ZN7rocprim17ROCPRIM_400000_NS6detail17trampoline_kernelINS0_14default_configENS1_25transform_config_selectorI6__halfLb1EEEZNS1_14transform_implILb1ES3_S6_PS5_S8_NS0_8identityIS5_EEEE10hipError_tT2_T3_mT4_P12ihipStream_tbEUlT_E_NS1_11comp_targetILNS1_3genE3ELNS1_11target_archE908ELNS1_3gpuE7ELNS1_3repE0EEENS1_30default_config_static_selectorELNS0_4arch9wavefront6targetE0EEEvT1_
		.amdhsa_group_segment_fixed_size 0
		.amdhsa_private_segment_fixed_size 0
		.amdhsa_kernarg_size 40
		.amdhsa_user_sgpr_count 2
		.amdhsa_user_sgpr_dispatch_ptr 0
		.amdhsa_user_sgpr_queue_ptr 0
		.amdhsa_user_sgpr_kernarg_segment_ptr 1
		.amdhsa_user_sgpr_dispatch_id 0
		.amdhsa_user_sgpr_kernarg_preload_length 0
		.amdhsa_user_sgpr_kernarg_preload_offset 0
		.amdhsa_user_sgpr_private_segment_size 0
		.amdhsa_wavefront_size32 1
		.amdhsa_uses_dynamic_stack 0
		.amdhsa_enable_private_segment 0
		.amdhsa_system_sgpr_workgroup_id_x 1
		.amdhsa_system_sgpr_workgroup_id_y 0
		.amdhsa_system_sgpr_workgroup_id_z 0
		.amdhsa_system_sgpr_workgroup_info 0
		.amdhsa_system_vgpr_workitem_id 0
		.amdhsa_next_free_vgpr 1
		.amdhsa_next_free_sgpr 1
		.amdhsa_named_barrier_count 0
		.amdhsa_reserve_vcc 0
		.amdhsa_float_round_mode_32 0
		.amdhsa_float_round_mode_16_64 0
		.amdhsa_float_denorm_mode_32 3
		.amdhsa_float_denorm_mode_16_64 3
		.amdhsa_fp16_overflow 0
		.amdhsa_memory_ordered 1
		.amdhsa_forward_progress 1
		.amdhsa_inst_pref_size 0
		.amdhsa_round_robin_scheduling 0
		.amdhsa_exception_fp_ieee_invalid_op 0
		.amdhsa_exception_fp_denorm_src 0
		.amdhsa_exception_fp_ieee_div_zero 0
		.amdhsa_exception_fp_ieee_overflow 0
		.amdhsa_exception_fp_ieee_underflow 0
		.amdhsa_exception_fp_ieee_inexact 0
		.amdhsa_exception_int_div_zero 0
	.end_amdhsa_kernel
	.section	.text._ZN7rocprim17ROCPRIM_400000_NS6detail17trampoline_kernelINS0_14default_configENS1_25transform_config_selectorI6__halfLb1EEEZNS1_14transform_implILb1ES3_S6_PS5_S8_NS0_8identityIS5_EEEE10hipError_tT2_T3_mT4_P12ihipStream_tbEUlT_E_NS1_11comp_targetILNS1_3genE3ELNS1_11target_archE908ELNS1_3gpuE7ELNS1_3repE0EEENS1_30default_config_static_selectorELNS0_4arch9wavefront6targetE0EEEvT1_,"axG",@progbits,_ZN7rocprim17ROCPRIM_400000_NS6detail17trampoline_kernelINS0_14default_configENS1_25transform_config_selectorI6__halfLb1EEEZNS1_14transform_implILb1ES3_S6_PS5_S8_NS0_8identityIS5_EEEE10hipError_tT2_T3_mT4_P12ihipStream_tbEUlT_E_NS1_11comp_targetILNS1_3genE3ELNS1_11target_archE908ELNS1_3gpuE7ELNS1_3repE0EEENS1_30default_config_static_selectorELNS0_4arch9wavefront6targetE0EEEvT1_,comdat
.Lfunc_end2133:
	.size	_ZN7rocprim17ROCPRIM_400000_NS6detail17trampoline_kernelINS0_14default_configENS1_25transform_config_selectorI6__halfLb1EEEZNS1_14transform_implILb1ES3_S6_PS5_S8_NS0_8identityIS5_EEEE10hipError_tT2_T3_mT4_P12ihipStream_tbEUlT_E_NS1_11comp_targetILNS1_3genE3ELNS1_11target_archE908ELNS1_3gpuE7ELNS1_3repE0EEENS1_30default_config_static_selectorELNS0_4arch9wavefront6targetE0EEEvT1_, .Lfunc_end2133-_ZN7rocprim17ROCPRIM_400000_NS6detail17trampoline_kernelINS0_14default_configENS1_25transform_config_selectorI6__halfLb1EEEZNS1_14transform_implILb1ES3_S6_PS5_S8_NS0_8identityIS5_EEEE10hipError_tT2_T3_mT4_P12ihipStream_tbEUlT_E_NS1_11comp_targetILNS1_3genE3ELNS1_11target_archE908ELNS1_3gpuE7ELNS1_3repE0EEENS1_30default_config_static_selectorELNS0_4arch9wavefront6targetE0EEEvT1_
                                        ; -- End function
	.set _ZN7rocprim17ROCPRIM_400000_NS6detail17trampoline_kernelINS0_14default_configENS1_25transform_config_selectorI6__halfLb1EEEZNS1_14transform_implILb1ES3_S6_PS5_S8_NS0_8identityIS5_EEEE10hipError_tT2_T3_mT4_P12ihipStream_tbEUlT_E_NS1_11comp_targetILNS1_3genE3ELNS1_11target_archE908ELNS1_3gpuE7ELNS1_3repE0EEENS1_30default_config_static_selectorELNS0_4arch9wavefront6targetE0EEEvT1_.num_vgpr, 0
	.set _ZN7rocprim17ROCPRIM_400000_NS6detail17trampoline_kernelINS0_14default_configENS1_25transform_config_selectorI6__halfLb1EEEZNS1_14transform_implILb1ES3_S6_PS5_S8_NS0_8identityIS5_EEEE10hipError_tT2_T3_mT4_P12ihipStream_tbEUlT_E_NS1_11comp_targetILNS1_3genE3ELNS1_11target_archE908ELNS1_3gpuE7ELNS1_3repE0EEENS1_30default_config_static_selectorELNS0_4arch9wavefront6targetE0EEEvT1_.num_agpr, 0
	.set _ZN7rocprim17ROCPRIM_400000_NS6detail17trampoline_kernelINS0_14default_configENS1_25transform_config_selectorI6__halfLb1EEEZNS1_14transform_implILb1ES3_S6_PS5_S8_NS0_8identityIS5_EEEE10hipError_tT2_T3_mT4_P12ihipStream_tbEUlT_E_NS1_11comp_targetILNS1_3genE3ELNS1_11target_archE908ELNS1_3gpuE7ELNS1_3repE0EEENS1_30default_config_static_selectorELNS0_4arch9wavefront6targetE0EEEvT1_.numbered_sgpr, 0
	.set _ZN7rocprim17ROCPRIM_400000_NS6detail17trampoline_kernelINS0_14default_configENS1_25transform_config_selectorI6__halfLb1EEEZNS1_14transform_implILb1ES3_S6_PS5_S8_NS0_8identityIS5_EEEE10hipError_tT2_T3_mT4_P12ihipStream_tbEUlT_E_NS1_11comp_targetILNS1_3genE3ELNS1_11target_archE908ELNS1_3gpuE7ELNS1_3repE0EEENS1_30default_config_static_selectorELNS0_4arch9wavefront6targetE0EEEvT1_.num_named_barrier, 0
	.set _ZN7rocprim17ROCPRIM_400000_NS6detail17trampoline_kernelINS0_14default_configENS1_25transform_config_selectorI6__halfLb1EEEZNS1_14transform_implILb1ES3_S6_PS5_S8_NS0_8identityIS5_EEEE10hipError_tT2_T3_mT4_P12ihipStream_tbEUlT_E_NS1_11comp_targetILNS1_3genE3ELNS1_11target_archE908ELNS1_3gpuE7ELNS1_3repE0EEENS1_30default_config_static_selectorELNS0_4arch9wavefront6targetE0EEEvT1_.private_seg_size, 0
	.set _ZN7rocprim17ROCPRIM_400000_NS6detail17trampoline_kernelINS0_14default_configENS1_25transform_config_selectorI6__halfLb1EEEZNS1_14transform_implILb1ES3_S6_PS5_S8_NS0_8identityIS5_EEEE10hipError_tT2_T3_mT4_P12ihipStream_tbEUlT_E_NS1_11comp_targetILNS1_3genE3ELNS1_11target_archE908ELNS1_3gpuE7ELNS1_3repE0EEENS1_30default_config_static_selectorELNS0_4arch9wavefront6targetE0EEEvT1_.uses_vcc, 0
	.set _ZN7rocprim17ROCPRIM_400000_NS6detail17trampoline_kernelINS0_14default_configENS1_25transform_config_selectorI6__halfLb1EEEZNS1_14transform_implILb1ES3_S6_PS5_S8_NS0_8identityIS5_EEEE10hipError_tT2_T3_mT4_P12ihipStream_tbEUlT_E_NS1_11comp_targetILNS1_3genE3ELNS1_11target_archE908ELNS1_3gpuE7ELNS1_3repE0EEENS1_30default_config_static_selectorELNS0_4arch9wavefront6targetE0EEEvT1_.uses_flat_scratch, 0
	.set _ZN7rocprim17ROCPRIM_400000_NS6detail17trampoline_kernelINS0_14default_configENS1_25transform_config_selectorI6__halfLb1EEEZNS1_14transform_implILb1ES3_S6_PS5_S8_NS0_8identityIS5_EEEE10hipError_tT2_T3_mT4_P12ihipStream_tbEUlT_E_NS1_11comp_targetILNS1_3genE3ELNS1_11target_archE908ELNS1_3gpuE7ELNS1_3repE0EEENS1_30default_config_static_selectorELNS0_4arch9wavefront6targetE0EEEvT1_.has_dyn_sized_stack, 0
	.set _ZN7rocprim17ROCPRIM_400000_NS6detail17trampoline_kernelINS0_14default_configENS1_25transform_config_selectorI6__halfLb1EEEZNS1_14transform_implILb1ES3_S6_PS5_S8_NS0_8identityIS5_EEEE10hipError_tT2_T3_mT4_P12ihipStream_tbEUlT_E_NS1_11comp_targetILNS1_3genE3ELNS1_11target_archE908ELNS1_3gpuE7ELNS1_3repE0EEENS1_30default_config_static_selectorELNS0_4arch9wavefront6targetE0EEEvT1_.has_recursion, 0
	.set _ZN7rocprim17ROCPRIM_400000_NS6detail17trampoline_kernelINS0_14default_configENS1_25transform_config_selectorI6__halfLb1EEEZNS1_14transform_implILb1ES3_S6_PS5_S8_NS0_8identityIS5_EEEE10hipError_tT2_T3_mT4_P12ihipStream_tbEUlT_E_NS1_11comp_targetILNS1_3genE3ELNS1_11target_archE908ELNS1_3gpuE7ELNS1_3repE0EEENS1_30default_config_static_selectorELNS0_4arch9wavefront6targetE0EEEvT1_.has_indirect_call, 0
	.section	.AMDGPU.csdata,"",@progbits
; Kernel info:
; codeLenInByte = 0
; TotalNumSgprs: 0
; NumVgprs: 0
; ScratchSize: 0
; MemoryBound: 0
; FloatMode: 240
; IeeeMode: 1
; LDSByteSize: 0 bytes/workgroup (compile time only)
; SGPRBlocks: 0
; VGPRBlocks: 0
; NumSGPRsForWavesPerEU: 1
; NumVGPRsForWavesPerEU: 1
; NamedBarCnt: 0
; Occupancy: 16
; WaveLimiterHint : 0
; COMPUTE_PGM_RSRC2:SCRATCH_EN: 0
; COMPUTE_PGM_RSRC2:USER_SGPR: 2
; COMPUTE_PGM_RSRC2:TRAP_HANDLER: 0
; COMPUTE_PGM_RSRC2:TGID_X_EN: 1
; COMPUTE_PGM_RSRC2:TGID_Y_EN: 0
; COMPUTE_PGM_RSRC2:TGID_Z_EN: 0
; COMPUTE_PGM_RSRC2:TIDIG_COMP_CNT: 0
	.section	.text._ZN7rocprim17ROCPRIM_400000_NS6detail17trampoline_kernelINS0_14default_configENS1_25transform_config_selectorI6__halfLb1EEEZNS1_14transform_implILb1ES3_S6_PS5_S8_NS0_8identityIS5_EEEE10hipError_tT2_T3_mT4_P12ihipStream_tbEUlT_E_NS1_11comp_targetILNS1_3genE2ELNS1_11target_archE906ELNS1_3gpuE6ELNS1_3repE0EEENS1_30default_config_static_selectorELNS0_4arch9wavefront6targetE0EEEvT1_,"axG",@progbits,_ZN7rocprim17ROCPRIM_400000_NS6detail17trampoline_kernelINS0_14default_configENS1_25transform_config_selectorI6__halfLb1EEEZNS1_14transform_implILb1ES3_S6_PS5_S8_NS0_8identityIS5_EEEE10hipError_tT2_T3_mT4_P12ihipStream_tbEUlT_E_NS1_11comp_targetILNS1_3genE2ELNS1_11target_archE906ELNS1_3gpuE6ELNS1_3repE0EEENS1_30default_config_static_selectorELNS0_4arch9wavefront6targetE0EEEvT1_,comdat
	.protected	_ZN7rocprim17ROCPRIM_400000_NS6detail17trampoline_kernelINS0_14default_configENS1_25transform_config_selectorI6__halfLb1EEEZNS1_14transform_implILb1ES3_S6_PS5_S8_NS0_8identityIS5_EEEE10hipError_tT2_T3_mT4_P12ihipStream_tbEUlT_E_NS1_11comp_targetILNS1_3genE2ELNS1_11target_archE906ELNS1_3gpuE6ELNS1_3repE0EEENS1_30default_config_static_selectorELNS0_4arch9wavefront6targetE0EEEvT1_ ; -- Begin function _ZN7rocprim17ROCPRIM_400000_NS6detail17trampoline_kernelINS0_14default_configENS1_25transform_config_selectorI6__halfLb1EEEZNS1_14transform_implILb1ES3_S6_PS5_S8_NS0_8identityIS5_EEEE10hipError_tT2_T3_mT4_P12ihipStream_tbEUlT_E_NS1_11comp_targetILNS1_3genE2ELNS1_11target_archE906ELNS1_3gpuE6ELNS1_3repE0EEENS1_30default_config_static_selectorELNS0_4arch9wavefront6targetE0EEEvT1_
	.globl	_ZN7rocprim17ROCPRIM_400000_NS6detail17trampoline_kernelINS0_14default_configENS1_25transform_config_selectorI6__halfLb1EEEZNS1_14transform_implILb1ES3_S6_PS5_S8_NS0_8identityIS5_EEEE10hipError_tT2_T3_mT4_P12ihipStream_tbEUlT_E_NS1_11comp_targetILNS1_3genE2ELNS1_11target_archE906ELNS1_3gpuE6ELNS1_3repE0EEENS1_30default_config_static_selectorELNS0_4arch9wavefront6targetE0EEEvT1_
	.p2align	8
	.type	_ZN7rocprim17ROCPRIM_400000_NS6detail17trampoline_kernelINS0_14default_configENS1_25transform_config_selectorI6__halfLb1EEEZNS1_14transform_implILb1ES3_S6_PS5_S8_NS0_8identityIS5_EEEE10hipError_tT2_T3_mT4_P12ihipStream_tbEUlT_E_NS1_11comp_targetILNS1_3genE2ELNS1_11target_archE906ELNS1_3gpuE6ELNS1_3repE0EEENS1_30default_config_static_selectorELNS0_4arch9wavefront6targetE0EEEvT1_,@function
_ZN7rocprim17ROCPRIM_400000_NS6detail17trampoline_kernelINS0_14default_configENS1_25transform_config_selectorI6__halfLb1EEEZNS1_14transform_implILb1ES3_S6_PS5_S8_NS0_8identityIS5_EEEE10hipError_tT2_T3_mT4_P12ihipStream_tbEUlT_E_NS1_11comp_targetILNS1_3genE2ELNS1_11target_archE906ELNS1_3gpuE6ELNS1_3repE0EEENS1_30default_config_static_selectorELNS0_4arch9wavefront6targetE0EEEvT1_: ; @_ZN7rocprim17ROCPRIM_400000_NS6detail17trampoline_kernelINS0_14default_configENS1_25transform_config_selectorI6__halfLb1EEEZNS1_14transform_implILb1ES3_S6_PS5_S8_NS0_8identityIS5_EEEE10hipError_tT2_T3_mT4_P12ihipStream_tbEUlT_E_NS1_11comp_targetILNS1_3genE2ELNS1_11target_archE906ELNS1_3gpuE6ELNS1_3repE0EEENS1_30default_config_static_selectorELNS0_4arch9wavefront6targetE0EEEvT1_
; %bb.0:
	.section	.rodata,"a",@progbits
	.p2align	6, 0x0
	.amdhsa_kernel _ZN7rocprim17ROCPRIM_400000_NS6detail17trampoline_kernelINS0_14default_configENS1_25transform_config_selectorI6__halfLb1EEEZNS1_14transform_implILb1ES3_S6_PS5_S8_NS0_8identityIS5_EEEE10hipError_tT2_T3_mT4_P12ihipStream_tbEUlT_E_NS1_11comp_targetILNS1_3genE2ELNS1_11target_archE906ELNS1_3gpuE6ELNS1_3repE0EEENS1_30default_config_static_selectorELNS0_4arch9wavefront6targetE0EEEvT1_
		.amdhsa_group_segment_fixed_size 0
		.amdhsa_private_segment_fixed_size 0
		.amdhsa_kernarg_size 40
		.amdhsa_user_sgpr_count 2
		.amdhsa_user_sgpr_dispatch_ptr 0
		.amdhsa_user_sgpr_queue_ptr 0
		.amdhsa_user_sgpr_kernarg_segment_ptr 1
		.amdhsa_user_sgpr_dispatch_id 0
		.amdhsa_user_sgpr_kernarg_preload_length 0
		.amdhsa_user_sgpr_kernarg_preload_offset 0
		.amdhsa_user_sgpr_private_segment_size 0
		.amdhsa_wavefront_size32 1
		.amdhsa_uses_dynamic_stack 0
		.amdhsa_enable_private_segment 0
		.amdhsa_system_sgpr_workgroup_id_x 1
		.amdhsa_system_sgpr_workgroup_id_y 0
		.amdhsa_system_sgpr_workgroup_id_z 0
		.amdhsa_system_sgpr_workgroup_info 0
		.amdhsa_system_vgpr_workitem_id 0
		.amdhsa_next_free_vgpr 1
		.amdhsa_next_free_sgpr 1
		.amdhsa_named_barrier_count 0
		.amdhsa_reserve_vcc 0
		.amdhsa_float_round_mode_32 0
		.amdhsa_float_round_mode_16_64 0
		.amdhsa_float_denorm_mode_32 3
		.amdhsa_float_denorm_mode_16_64 3
		.amdhsa_fp16_overflow 0
		.amdhsa_memory_ordered 1
		.amdhsa_forward_progress 1
		.amdhsa_inst_pref_size 0
		.amdhsa_round_robin_scheduling 0
		.amdhsa_exception_fp_ieee_invalid_op 0
		.amdhsa_exception_fp_denorm_src 0
		.amdhsa_exception_fp_ieee_div_zero 0
		.amdhsa_exception_fp_ieee_overflow 0
		.amdhsa_exception_fp_ieee_underflow 0
		.amdhsa_exception_fp_ieee_inexact 0
		.amdhsa_exception_int_div_zero 0
	.end_amdhsa_kernel
	.section	.text._ZN7rocprim17ROCPRIM_400000_NS6detail17trampoline_kernelINS0_14default_configENS1_25transform_config_selectorI6__halfLb1EEEZNS1_14transform_implILb1ES3_S6_PS5_S8_NS0_8identityIS5_EEEE10hipError_tT2_T3_mT4_P12ihipStream_tbEUlT_E_NS1_11comp_targetILNS1_3genE2ELNS1_11target_archE906ELNS1_3gpuE6ELNS1_3repE0EEENS1_30default_config_static_selectorELNS0_4arch9wavefront6targetE0EEEvT1_,"axG",@progbits,_ZN7rocprim17ROCPRIM_400000_NS6detail17trampoline_kernelINS0_14default_configENS1_25transform_config_selectorI6__halfLb1EEEZNS1_14transform_implILb1ES3_S6_PS5_S8_NS0_8identityIS5_EEEE10hipError_tT2_T3_mT4_P12ihipStream_tbEUlT_E_NS1_11comp_targetILNS1_3genE2ELNS1_11target_archE906ELNS1_3gpuE6ELNS1_3repE0EEENS1_30default_config_static_selectorELNS0_4arch9wavefront6targetE0EEEvT1_,comdat
.Lfunc_end2134:
	.size	_ZN7rocprim17ROCPRIM_400000_NS6detail17trampoline_kernelINS0_14default_configENS1_25transform_config_selectorI6__halfLb1EEEZNS1_14transform_implILb1ES3_S6_PS5_S8_NS0_8identityIS5_EEEE10hipError_tT2_T3_mT4_P12ihipStream_tbEUlT_E_NS1_11comp_targetILNS1_3genE2ELNS1_11target_archE906ELNS1_3gpuE6ELNS1_3repE0EEENS1_30default_config_static_selectorELNS0_4arch9wavefront6targetE0EEEvT1_, .Lfunc_end2134-_ZN7rocprim17ROCPRIM_400000_NS6detail17trampoline_kernelINS0_14default_configENS1_25transform_config_selectorI6__halfLb1EEEZNS1_14transform_implILb1ES3_S6_PS5_S8_NS0_8identityIS5_EEEE10hipError_tT2_T3_mT4_P12ihipStream_tbEUlT_E_NS1_11comp_targetILNS1_3genE2ELNS1_11target_archE906ELNS1_3gpuE6ELNS1_3repE0EEENS1_30default_config_static_selectorELNS0_4arch9wavefront6targetE0EEEvT1_
                                        ; -- End function
	.set _ZN7rocprim17ROCPRIM_400000_NS6detail17trampoline_kernelINS0_14default_configENS1_25transform_config_selectorI6__halfLb1EEEZNS1_14transform_implILb1ES3_S6_PS5_S8_NS0_8identityIS5_EEEE10hipError_tT2_T3_mT4_P12ihipStream_tbEUlT_E_NS1_11comp_targetILNS1_3genE2ELNS1_11target_archE906ELNS1_3gpuE6ELNS1_3repE0EEENS1_30default_config_static_selectorELNS0_4arch9wavefront6targetE0EEEvT1_.num_vgpr, 0
	.set _ZN7rocprim17ROCPRIM_400000_NS6detail17trampoline_kernelINS0_14default_configENS1_25transform_config_selectorI6__halfLb1EEEZNS1_14transform_implILb1ES3_S6_PS5_S8_NS0_8identityIS5_EEEE10hipError_tT2_T3_mT4_P12ihipStream_tbEUlT_E_NS1_11comp_targetILNS1_3genE2ELNS1_11target_archE906ELNS1_3gpuE6ELNS1_3repE0EEENS1_30default_config_static_selectorELNS0_4arch9wavefront6targetE0EEEvT1_.num_agpr, 0
	.set _ZN7rocprim17ROCPRIM_400000_NS6detail17trampoline_kernelINS0_14default_configENS1_25transform_config_selectorI6__halfLb1EEEZNS1_14transform_implILb1ES3_S6_PS5_S8_NS0_8identityIS5_EEEE10hipError_tT2_T3_mT4_P12ihipStream_tbEUlT_E_NS1_11comp_targetILNS1_3genE2ELNS1_11target_archE906ELNS1_3gpuE6ELNS1_3repE0EEENS1_30default_config_static_selectorELNS0_4arch9wavefront6targetE0EEEvT1_.numbered_sgpr, 0
	.set _ZN7rocprim17ROCPRIM_400000_NS6detail17trampoline_kernelINS0_14default_configENS1_25transform_config_selectorI6__halfLb1EEEZNS1_14transform_implILb1ES3_S6_PS5_S8_NS0_8identityIS5_EEEE10hipError_tT2_T3_mT4_P12ihipStream_tbEUlT_E_NS1_11comp_targetILNS1_3genE2ELNS1_11target_archE906ELNS1_3gpuE6ELNS1_3repE0EEENS1_30default_config_static_selectorELNS0_4arch9wavefront6targetE0EEEvT1_.num_named_barrier, 0
	.set _ZN7rocprim17ROCPRIM_400000_NS6detail17trampoline_kernelINS0_14default_configENS1_25transform_config_selectorI6__halfLb1EEEZNS1_14transform_implILb1ES3_S6_PS5_S8_NS0_8identityIS5_EEEE10hipError_tT2_T3_mT4_P12ihipStream_tbEUlT_E_NS1_11comp_targetILNS1_3genE2ELNS1_11target_archE906ELNS1_3gpuE6ELNS1_3repE0EEENS1_30default_config_static_selectorELNS0_4arch9wavefront6targetE0EEEvT1_.private_seg_size, 0
	.set _ZN7rocprim17ROCPRIM_400000_NS6detail17trampoline_kernelINS0_14default_configENS1_25transform_config_selectorI6__halfLb1EEEZNS1_14transform_implILb1ES3_S6_PS5_S8_NS0_8identityIS5_EEEE10hipError_tT2_T3_mT4_P12ihipStream_tbEUlT_E_NS1_11comp_targetILNS1_3genE2ELNS1_11target_archE906ELNS1_3gpuE6ELNS1_3repE0EEENS1_30default_config_static_selectorELNS0_4arch9wavefront6targetE0EEEvT1_.uses_vcc, 0
	.set _ZN7rocprim17ROCPRIM_400000_NS6detail17trampoline_kernelINS0_14default_configENS1_25transform_config_selectorI6__halfLb1EEEZNS1_14transform_implILb1ES3_S6_PS5_S8_NS0_8identityIS5_EEEE10hipError_tT2_T3_mT4_P12ihipStream_tbEUlT_E_NS1_11comp_targetILNS1_3genE2ELNS1_11target_archE906ELNS1_3gpuE6ELNS1_3repE0EEENS1_30default_config_static_selectorELNS0_4arch9wavefront6targetE0EEEvT1_.uses_flat_scratch, 0
	.set _ZN7rocprim17ROCPRIM_400000_NS6detail17trampoline_kernelINS0_14default_configENS1_25transform_config_selectorI6__halfLb1EEEZNS1_14transform_implILb1ES3_S6_PS5_S8_NS0_8identityIS5_EEEE10hipError_tT2_T3_mT4_P12ihipStream_tbEUlT_E_NS1_11comp_targetILNS1_3genE2ELNS1_11target_archE906ELNS1_3gpuE6ELNS1_3repE0EEENS1_30default_config_static_selectorELNS0_4arch9wavefront6targetE0EEEvT1_.has_dyn_sized_stack, 0
	.set _ZN7rocprim17ROCPRIM_400000_NS6detail17trampoline_kernelINS0_14default_configENS1_25transform_config_selectorI6__halfLb1EEEZNS1_14transform_implILb1ES3_S6_PS5_S8_NS0_8identityIS5_EEEE10hipError_tT2_T3_mT4_P12ihipStream_tbEUlT_E_NS1_11comp_targetILNS1_3genE2ELNS1_11target_archE906ELNS1_3gpuE6ELNS1_3repE0EEENS1_30default_config_static_selectorELNS0_4arch9wavefront6targetE0EEEvT1_.has_recursion, 0
	.set _ZN7rocprim17ROCPRIM_400000_NS6detail17trampoline_kernelINS0_14default_configENS1_25transform_config_selectorI6__halfLb1EEEZNS1_14transform_implILb1ES3_S6_PS5_S8_NS0_8identityIS5_EEEE10hipError_tT2_T3_mT4_P12ihipStream_tbEUlT_E_NS1_11comp_targetILNS1_3genE2ELNS1_11target_archE906ELNS1_3gpuE6ELNS1_3repE0EEENS1_30default_config_static_selectorELNS0_4arch9wavefront6targetE0EEEvT1_.has_indirect_call, 0
	.section	.AMDGPU.csdata,"",@progbits
; Kernel info:
; codeLenInByte = 0
; TotalNumSgprs: 0
; NumVgprs: 0
; ScratchSize: 0
; MemoryBound: 0
; FloatMode: 240
; IeeeMode: 1
; LDSByteSize: 0 bytes/workgroup (compile time only)
; SGPRBlocks: 0
; VGPRBlocks: 0
; NumSGPRsForWavesPerEU: 1
; NumVGPRsForWavesPerEU: 1
; NamedBarCnt: 0
; Occupancy: 16
; WaveLimiterHint : 0
; COMPUTE_PGM_RSRC2:SCRATCH_EN: 0
; COMPUTE_PGM_RSRC2:USER_SGPR: 2
; COMPUTE_PGM_RSRC2:TRAP_HANDLER: 0
; COMPUTE_PGM_RSRC2:TGID_X_EN: 1
; COMPUTE_PGM_RSRC2:TGID_Y_EN: 0
; COMPUTE_PGM_RSRC2:TGID_Z_EN: 0
; COMPUTE_PGM_RSRC2:TIDIG_COMP_CNT: 0
	.section	.text._ZN7rocprim17ROCPRIM_400000_NS6detail17trampoline_kernelINS0_14default_configENS1_25transform_config_selectorI6__halfLb1EEEZNS1_14transform_implILb1ES3_S6_PS5_S8_NS0_8identityIS5_EEEE10hipError_tT2_T3_mT4_P12ihipStream_tbEUlT_E_NS1_11comp_targetILNS1_3genE9ELNS1_11target_archE1100ELNS1_3gpuE3ELNS1_3repE0EEENS1_30default_config_static_selectorELNS0_4arch9wavefront6targetE0EEEvT1_,"axG",@progbits,_ZN7rocprim17ROCPRIM_400000_NS6detail17trampoline_kernelINS0_14default_configENS1_25transform_config_selectorI6__halfLb1EEEZNS1_14transform_implILb1ES3_S6_PS5_S8_NS0_8identityIS5_EEEE10hipError_tT2_T3_mT4_P12ihipStream_tbEUlT_E_NS1_11comp_targetILNS1_3genE9ELNS1_11target_archE1100ELNS1_3gpuE3ELNS1_3repE0EEENS1_30default_config_static_selectorELNS0_4arch9wavefront6targetE0EEEvT1_,comdat
	.protected	_ZN7rocprim17ROCPRIM_400000_NS6detail17trampoline_kernelINS0_14default_configENS1_25transform_config_selectorI6__halfLb1EEEZNS1_14transform_implILb1ES3_S6_PS5_S8_NS0_8identityIS5_EEEE10hipError_tT2_T3_mT4_P12ihipStream_tbEUlT_E_NS1_11comp_targetILNS1_3genE9ELNS1_11target_archE1100ELNS1_3gpuE3ELNS1_3repE0EEENS1_30default_config_static_selectorELNS0_4arch9wavefront6targetE0EEEvT1_ ; -- Begin function _ZN7rocprim17ROCPRIM_400000_NS6detail17trampoline_kernelINS0_14default_configENS1_25transform_config_selectorI6__halfLb1EEEZNS1_14transform_implILb1ES3_S6_PS5_S8_NS0_8identityIS5_EEEE10hipError_tT2_T3_mT4_P12ihipStream_tbEUlT_E_NS1_11comp_targetILNS1_3genE9ELNS1_11target_archE1100ELNS1_3gpuE3ELNS1_3repE0EEENS1_30default_config_static_selectorELNS0_4arch9wavefront6targetE0EEEvT1_
	.globl	_ZN7rocprim17ROCPRIM_400000_NS6detail17trampoline_kernelINS0_14default_configENS1_25transform_config_selectorI6__halfLb1EEEZNS1_14transform_implILb1ES3_S6_PS5_S8_NS0_8identityIS5_EEEE10hipError_tT2_T3_mT4_P12ihipStream_tbEUlT_E_NS1_11comp_targetILNS1_3genE9ELNS1_11target_archE1100ELNS1_3gpuE3ELNS1_3repE0EEENS1_30default_config_static_selectorELNS0_4arch9wavefront6targetE0EEEvT1_
	.p2align	8
	.type	_ZN7rocprim17ROCPRIM_400000_NS6detail17trampoline_kernelINS0_14default_configENS1_25transform_config_selectorI6__halfLb1EEEZNS1_14transform_implILb1ES3_S6_PS5_S8_NS0_8identityIS5_EEEE10hipError_tT2_T3_mT4_P12ihipStream_tbEUlT_E_NS1_11comp_targetILNS1_3genE9ELNS1_11target_archE1100ELNS1_3gpuE3ELNS1_3repE0EEENS1_30default_config_static_selectorELNS0_4arch9wavefront6targetE0EEEvT1_,@function
_ZN7rocprim17ROCPRIM_400000_NS6detail17trampoline_kernelINS0_14default_configENS1_25transform_config_selectorI6__halfLb1EEEZNS1_14transform_implILb1ES3_S6_PS5_S8_NS0_8identityIS5_EEEE10hipError_tT2_T3_mT4_P12ihipStream_tbEUlT_E_NS1_11comp_targetILNS1_3genE9ELNS1_11target_archE1100ELNS1_3gpuE3ELNS1_3repE0EEENS1_30default_config_static_selectorELNS0_4arch9wavefront6targetE0EEEvT1_: ; @_ZN7rocprim17ROCPRIM_400000_NS6detail17trampoline_kernelINS0_14default_configENS1_25transform_config_selectorI6__halfLb1EEEZNS1_14transform_implILb1ES3_S6_PS5_S8_NS0_8identityIS5_EEEE10hipError_tT2_T3_mT4_P12ihipStream_tbEUlT_E_NS1_11comp_targetILNS1_3genE9ELNS1_11target_archE1100ELNS1_3gpuE3ELNS1_3repE0EEENS1_30default_config_static_selectorELNS0_4arch9wavefront6targetE0EEEvT1_
; %bb.0:
	.section	.rodata,"a",@progbits
	.p2align	6, 0x0
	.amdhsa_kernel _ZN7rocprim17ROCPRIM_400000_NS6detail17trampoline_kernelINS0_14default_configENS1_25transform_config_selectorI6__halfLb1EEEZNS1_14transform_implILb1ES3_S6_PS5_S8_NS0_8identityIS5_EEEE10hipError_tT2_T3_mT4_P12ihipStream_tbEUlT_E_NS1_11comp_targetILNS1_3genE9ELNS1_11target_archE1100ELNS1_3gpuE3ELNS1_3repE0EEENS1_30default_config_static_selectorELNS0_4arch9wavefront6targetE0EEEvT1_
		.amdhsa_group_segment_fixed_size 0
		.amdhsa_private_segment_fixed_size 0
		.amdhsa_kernarg_size 40
		.amdhsa_user_sgpr_count 2
		.amdhsa_user_sgpr_dispatch_ptr 0
		.amdhsa_user_sgpr_queue_ptr 0
		.amdhsa_user_sgpr_kernarg_segment_ptr 1
		.amdhsa_user_sgpr_dispatch_id 0
		.amdhsa_user_sgpr_kernarg_preload_length 0
		.amdhsa_user_sgpr_kernarg_preload_offset 0
		.amdhsa_user_sgpr_private_segment_size 0
		.amdhsa_wavefront_size32 1
		.amdhsa_uses_dynamic_stack 0
		.amdhsa_enable_private_segment 0
		.amdhsa_system_sgpr_workgroup_id_x 1
		.amdhsa_system_sgpr_workgroup_id_y 0
		.amdhsa_system_sgpr_workgroup_id_z 0
		.amdhsa_system_sgpr_workgroup_info 0
		.amdhsa_system_vgpr_workitem_id 0
		.amdhsa_next_free_vgpr 1
		.amdhsa_next_free_sgpr 1
		.amdhsa_named_barrier_count 0
		.amdhsa_reserve_vcc 0
		.amdhsa_float_round_mode_32 0
		.amdhsa_float_round_mode_16_64 0
		.amdhsa_float_denorm_mode_32 3
		.amdhsa_float_denorm_mode_16_64 3
		.amdhsa_fp16_overflow 0
		.amdhsa_memory_ordered 1
		.amdhsa_forward_progress 1
		.amdhsa_inst_pref_size 0
		.amdhsa_round_robin_scheduling 0
		.amdhsa_exception_fp_ieee_invalid_op 0
		.amdhsa_exception_fp_denorm_src 0
		.amdhsa_exception_fp_ieee_div_zero 0
		.amdhsa_exception_fp_ieee_overflow 0
		.amdhsa_exception_fp_ieee_underflow 0
		.amdhsa_exception_fp_ieee_inexact 0
		.amdhsa_exception_int_div_zero 0
	.end_amdhsa_kernel
	.section	.text._ZN7rocprim17ROCPRIM_400000_NS6detail17trampoline_kernelINS0_14default_configENS1_25transform_config_selectorI6__halfLb1EEEZNS1_14transform_implILb1ES3_S6_PS5_S8_NS0_8identityIS5_EEEE10hipError_tT2_T3_mT4_P12ihipStream_tbEUlT_E_NS1_11comp_targetILNS1_3genE9ELNS1_11target_archE1100ELNS1_3gpuE3ELNS1_3repE0EEENS1_30default_config_static_selectorELNS0_4arch9wavefront6targetE0EEEvT1_,"axG",@progbits,_ZN7rocprim17ROCPRIM_400000_NS6detail17trampoline_kernelINS0_14default_configENS1_25transform_config_selectorI6__halfLb1EEEZNS1_14transform_implILb1ES3_S6_PS5_S8_NS0_8identityIS5_EEEE10hipError_tT2_T3_mT4_P12ihipStream_tbEUlT_E_NS1_11comp_targetILNS1_3genE9ELNS1_11target_archE1100ELNS1_3gpuE3ELNS1_3repE0EEENS1_30default_config_static_selectorELNS0_4arch9wavefront6targetE0EEEvT1_,comdat
.Lfunc_end2135:
	.size	_ZN7rocprim17ROCPRIM_400000_NS6detail17trampoline_kernelINS0_14default_configENS1_25transform_config_selectorI6__halfLb1EEEZNS1_14transform_implILb1ES3_S6_PS5_S8_NS0_8identityIS5_EEEE10hipError_tT2_T3_mT4_P12ihipStream_tbEUlT_E_NS1_11comp_targetILNS1_3genE9ELNS1_11target_archE1100ELNS1_3gpuE3ELNS1_3repE0EEENS1_30default_config_static_selectorELNS0_4arch9wavefront6targetE0EEEvT1_, .Lfunc_end2135-_ZN7rocprim17ROCPRIM_400000_NS6detail17trampoline_kernelINS0_14default_configENS1_25transform_config_selectorI6__halfLb1EEEZNS1_14transform_implILb1ES3_S6_PS5_S8_NS0_8identityIS5_EEEE10hipError_tT2_T3_mT4_P12ihipStream_tbEUlT_E_NS1_11comp_targetILNS1_3genE9ELNS1_11target_archE1100ELNS1_3gpuE3ELNS1_3repE0EEENS1_30default_config_static_selectorELNS0_4arch9wavefront6targetE0EEEvT1_
                                        ; -- End function
	.set _ZN7rocprim17ROCPRIM_400000_NS6detail17trampoline_kernelINS0_14default_configENS1_25transform_config_selectorI6__halfLb1EEEZNS1_14transform_implILb1ES3_S6_PS5_S8_NS0_8identityIS5_EEEE10hipError_tT2_T3_mT4_P12ihipStream_tbEUlT_E_NS1_11comp_targetILNS1_3genE9ELNS1_11target_archE1100ELNS1_3gpuE3ELNS1_3repE0EEENS1_30default_config_static_selectorELNS0_4arch9wavefront6targetE0EEEvT1_.num_vgpr, 0
	.set _ZN7rocprim17ROCPRIM_400000_NS6detail17trampoline_kernelINS0_14default_configENS1_25transform_config_selectorI6__halfLb1EEEZNS1_14transform_implILb1ES3_S6_PS5_S8_NS0_8identityIS5_EEEE10hipError_tT2_T3_mT4_P12ihipStream_tbEUlT_E_NS1_11comp_targetILNS1_3genE9ELNS1_11target_archE1100ELNS1_3gpuE3ELNS1_3repE0EEENS1_30default_config_static_selectorELNS0_4arch9wavefront6targetE0EEEvT1_.num_agpr, 0
	.set _ZN7rocprim17ROCPRIM_400000_NS6detail17trampoline_kernelINS0_14default_configENS1_25transform_config_selectorI6__halfLb1EEEZNS1_14transform_implILb1ES3_S6_PS5_S8_NS0_8identityIS5_EEEE10hipError_tT2_T3_mT4_P12ihipStream_tbEUlT_E_NS1_11comp_targetILNS1_3genE9ELNS1_11target_archE1100ELNS1_3gpuE3ELNS1_3repE0EEENS1_30default_config_static_selectorELNS0_4arch9wavefront6targetE0EEEvT1_.numbered_sgpr, 0
	.set _ZN7rocprim17ROCPRIM_400000_NS6detail17trampoline_kernelINS0_14default_configENS1_25transform_config_selectorI6__halfLb1EEEZNS1_14transform_implILb1ES3_S6_PS5_S8_NS0_8identityIS5_EEEE10hipError_tT2_T3_mT4_P12ihipStream_tbEUlT_E_NS1_11comp_targetILNS1_3genE9ELNS1_11target_archE1100ELNS1_3gpuE3ELNS1_3repE0EEENS1_30default_config_static_selectorELNS0_4arch9wavefront6targetE0EEEvT1_.num_named_barrier, 0
	.set _ZN7rocprim17ROCPRIM_400000_NS6detail17trampoline_kernelINS0_14default_configENS1_25transform_config_selectorI6__halfLb1EEEZNS1_14transform_implILb1ES3_S6_PS5_S8_NS0_8identityIS5_EEEE10hipError_tT2_T3_mT4_P12ihipStream_tbEUlT_E_NS1_11comp_targetILNS1_3genE9ELNS1_11target_archE1100ELNS1_3gpuE3ELNS1_3repE0EEENS1_30default_config_static_selectorELNS0_4arch9wavefront6targetE0EEEvT1_.private_seg_size, 0
	.set _ZN7rocprim17ROCPRIM_400000_NS6detail17trampoline_kernelINS0_14default_configENS1_25transform_config_selectorI6__halfLb1EEEZNS1_14transform_implILb1ES3_S6_PS5_S8_NS0_8identityIS5_EEEE10hipError_tT2_T3_mT4_P12ihipStream_tbEUlT_E_NS1_11comp_targetILNS1_3genE9ELNS1_11target_archE1100ELNS1_3gpuE3ELNS1_3repE0EEENS1_30default_config_static_selectorELNS0_4arch9wavefront6targetE0EEEvT1_.uses_vcc, 0
	.set _ZN7rocprim17ROCPRIM_400000_NS6detail17trampoline_kernelINS0_14default_configENS1_25transform_config_selectorI6__halfLb1EEEZNS1_14transform_implILb1ES3_S6_PS5_S8_NS0_8identityIS5_EEEE10hipError_tT2_T3_mT4_P12ihipStream_tbEUlT_E_NS1_11comp_targetILNS1_3genE9ELNS1_11target_archE1100ELNS1_3gpuE3ELNS1_3repE0EEENS1_30default_config_static_selectorELNS0_4arch9wavefront6targetE0EEEvT1_.uses_flat_scratch, 0
	.set _ZN7rocprim17ROCPRIM_400000_NS6detail17trampoline_kernelINS0_14default_configENS1_25transform_config_selectorI6__halfLb1EEEZNS1_14transform_implILb1ES3_S6_PS5_S8_NS0_8identityIS5_EEEE10hipError_tT2_T3_mT4_P12ihipStream_tbEUlT_E_NS1_11comp_targetILNS1_3genE9ELNS1_11target_archE1100ELNS1_3gpuE3ELNS1_3repE0EEENS1_30default_config_static_selectorELNS0_4arch9wavefront6targetE0EEEvT1_.has_dyn_sized_stack, 0
	.set _ZN7rocprim17ROCPRIM_400000_NS6detail17trampoline_kernelINS0_14default_configENS1_25transform_config_selectorI6__halfLb1EEEZNS1_14transform_implILb1ES3_S6_PS5_S8_NS0_8identityIS5_EEEE10hipError_tT2_T3_mT4_P12ihipStream_tbEUlT_E_NS1_11comp_targetILNS1_3genE9ELNS1_11target_archE1100ELNS1_3gpuE3ELNS1_3repE0EEENS1_30default_config_static_selectorELNS0_4arch9wavefront6targetE0EEEvT1_.has_recursion, 0
	.set _ZN7rocprim17ROCPRIM_400000_NS6detail17trampoline_kernelINS0_14default_configENS1_25transform_config_selectorI6__halfLb1EEEZNS1_14transform_implILb1ES3_S6_PS5_S8_NS0_8identityIS5_EEEE10hipError_tT2_T3_mT4_P12ihipStream_tbEUlT_E_NS1_11comp_targetILNS1_3genE9ELNS1_11target_archE1100ELNS1_3gpuE3ELNS1_3repE0EEENS1_30default_config_static_selectorELNS0_4arch9wavefront6targetE0EEEvT1_.has_indirect_call, 0
	.section	.AMDGPU.csdata,"",@progbits
; Kernel info:
; codeLenInByte = 0
; TotalNumSgprs: 0
; NumVgprs: 0
; ScratchSize: 0
; MemoryBound: 0
; FloatMode: 240
; IeeeMode: 1
; LDSByteSize: 0 bytes/workgroup (compile time only)
; SGPRBlocks: 0
; VGPRBlocks: 0
; NumSGPRsForWavesPerEU: 1
; NumVGPRsForWavesPerEU: 1
; NamedBarCnt: 0
; Occupancy: 16
; WaveLimiterHint : 0
; COMPUTE_PGM_RSRC2:SCRATCH_EN: 0
; COMPUTE_PGM_RSRC2:USER_SGPR: 2
; COMPUTE_PGM_RSRC2:TRAP_HANDLER: 0
; COMPUTE_PGM_RSRC2:TGID_X_EN: 1
; COMPUTE_PGM_RSRC2:TGID_Y_EN: 0
; COMPUTE_PGM_RSRC2:TGID_Z_EN: 0
; COMPUTE_PGM_RSRC2:TIDIG_COMP_CNT: 0
	.section	.text._ZN7rocprim17ROCPRIM_400000_NS6detail17trampoline_kernelINS0_14default_configENS1_25transform_config_selectorI6__halfLb1EEEZNS1_14transform_implILb1ES3_S6_PS5_S8_NS0_8identityIS5_EEEE10hipError_tT2_T3_mT4_P12ihipStream_tbEUlT_E_NS1_11comp_targetILNS1_3genE8ELNS1_11target_archE1030ELNS1_3gpuE2ELNS1_3repE0EEENS1_30default_config_static_selectorELNS0_4arch9wavefront6targetE0EEEvT1_,"axG",@progbits,_ZN7rocprim17ROCPRIM_400000_NS6detail17trampoline_kernelINS0_14default_configENS1_25transform_config_selectorI6__halfLb1EEEZNS1_14transform_implILb1ES3_S6_PS5_S8_NS0_8identityIS5_EEEE10hipError_tT2_T3_mT4_P12ihipStream_tbEUlT_E_NS1_11comp_targetILNS1_3genE8ELNS1_11target_archE1030ELNS1_3gpuE2ELNS1_3repE0EEENS1_30default_config_static_selectorELNS0_4arch9wavefront6targetE0EEEvT1_,comdat
	.protected	_ZN7rocprim17ROCPRIM_400000_NS6detail17trampoline_kernelINS0_14default_configENS1_25transform_config_selectorI6__halfLb1EEEZNS1_14transform_implILb1ES3_S6_PS5_S8_NS0_8identityIS5_EEEE10hipError_tT2_T3_mT4_P12ihipStream_tbEUlT_E_NS1_11comp_targetILNS1_3genE8ELNS1_11target_archE1030ELNS1_3gpuE2ELNS1_3repE0EEENS1_30default_config_static_selectorELNS0_4arch9wavefront6targetE0EEEvT1_ ; -- Begin function _ZN7rocprim17ROCPRIM_400000_NS6detail17trampoline_kernelINS0_14default_configENS1_25transform_config_selectorI6__halfLb1EEEZNS1_14transform_implILb1ES3_S6_PS5_S8_NS0_8identityIS5_EEEE10hipError_tT2_T3_mT4_P12ihipStream_tbEUlT_E_NS1_11comp_targetILNS1_3genE8ELNS1_11target_archE1030ELNS1_3gpuE2ELNS1_3repE0EEENS1_30default_config_static_selectorELNS0_4arch9wavefront6targetE0EEEvT1_
	.globl	_ZN7rocprim17ROCPRIM_400000_NS6detail17trampoline_kernelINS0_14default_configENS1_25transform_config_selectorI6__halfLb1EEEZNS1_14transform_implILb1ES3_S6_PS5_S8_NS0_8identityIS5_EEEE10hipError_tT2_T3_mT4_P12ihipStream_tbEUlT_E_NS1_11comp_targetILNS1_3genE8ELNS1_11target_archE1030ELNS1_3gpuE2ELNS1_3repE0EEENS1_30default_config_static_selectorELNS0_4arch9wavefront6targetE0EEEvT1_
	.p2align	8
	.type	_ZN7rocprim17ROCPRIM_400000_NS6detail17trampoline_kernelINS0_14default_configENS1_25transform_config_selectorI6__halfLb1EEEZNS1_14transform_implILb1ES3_S6_PS5_S8_NS0_8identityIS5_EEEE10hipError_tT2_T3_mT4_P12ihipStream_tbEUlT_E_NS1_11comp_targetILNS1_3genE8ELNS1_11target_archE1030ELNS1_3gpuE2ELNS1_3repE0EEENS1_30default_config_static_selectorELNS0_4arch9wavefront6targetE0EEEvT1_,@function
_ZN7rocprim17ROCPRIM_400000_NS6detail17trampoline_kernelINS0_14default_configENS1_25transform_config_selectorI6__halfLb1EEEZNS1_14transform_implILb1ES3_S6_PS5_S8_NS0_8identityIS5_EEEE10hipError_tT2_T3_mT4_P12ihipStream_tbEUlT_E_NS1_11comp_targetILNS1_3genE8ELNS1_11target_archE1030ELNS1_3gpuE2ELNS1_3repE0EEENS1_30default_config_static_selectorELNS0_4arch9wavefront6targetE0EEEvT1_: ; @_ZN7rocprim17ROCPRIM_400000_NS6detail17trampoline_kernelINS0_14default_configENS1_25transform_config_selectorI6__halfLb1EEEZNS1_14transform_implILb1ES3_S6_PS5_S8_NS0_8identityIS5_EEEE10hipError_tT2_T3_mT4_P12ihipStream_tbEUlT_E_NS1_11comp_targetILNS1_3genE8ELNS1_11target_archE1030ELNS1_3gpuE2ELNS1_3repE0EEENS1_30default_config_static_selectorELNS0_4arch9wavefront6targetE0EEEvT1_
; %bb.0:
	.section	.rodata,"a",@progbits
	.p2align	6, 0x0
	.amdhsa_kernel _ZN7rocprim17ROCPRIM_400000_NS6detail17trampoline_kernelINS0_14default_configENS1_25transform_config_selectorI6__halfLb1EEEZNS1_14transform_implILb1ES3_S6_PS5_S8_NS0_8identityIS5_EEEE10hipError_tT2_T3_mT4_P12ihipStream_tbEUlT_E_NS1_11comp_targetILNS1_3genE8ELNS1_11target_archE1030ELNS1_3gpuE2ELNS1_3repE0EEENS1_30default_config_static_selectorELNS0_4arch9wavefront6targetE0EEEvT1_
		.amdhsa_group_segment_fixed_size 0
		.amdhsa_private_segment_fixed_size 0
		.amdhsa_kernarg_size 40
		.amdhsa_user_sgpr_count 2
		.amdhsa_user_sgpr_dispatch_ptr 0
		.amdhsa_user_sgpr_queue_ptr 0
		.amdhsa_user_sgpr_kernarg_segment_ptr 1
		.amdhsa_user_sgpr_dispatch_id 0
		.amdhsa_user_sgpr_kernarg_preload_length 0
		.amdhsa_user_sgpr_kernarg_preload_offset 0
		.amdhsa_user_sgpr_private_segment_size 0
		.amdhsa_wavefront_size32 1
		.amdhsa_uses_dynamic_stack 0
		.amdhsa_enable_private_segment 0
		.amdhsa_system_sgpr_workgroup_id_x 1
		.amdhsa_system_sgpr_workgroup_id_y 0
		.amdhsa_system_sgpr_workgroup_id_z 0
		.amdhsa_system_sgpr_workgroup_info 0
		.amdhsa_system_vgpr_workitem_id 0
		.amdhsa_next_free_vgpr 1
		.amdhsa_next_free_sgpr 1
		.amdhsa_named_barrier_count 0
		.amdhsa_reserve_vcc 0
		.amdhsa_float_round_mode_32 0
		.amdhsa_float_round_mode_16_64 0
		.amdhsa_float_denorm_mode_32 3
		.amdhsa_float_denorm_mode_16_64 3
		.amdhsa_fp16_overflow 0
		.amdhsa_memory_ordered 1
		.amdhsa_forward_progress 1
		.amdhsa_inst_pref_size 0
		.amdhsa_round_robin_scheduling 0
		.amdhsa_exception_fp_ieee_invalid_op 0
		.amdhsa_exception_fp_denorm_src 0
		.amdhsa_exception_fp_ieee_div_zero 0
		.amdhsa_exception_fp_ieee_overflow 0
		.amdhsa_exception_fp_ieee_underflow 0
		.amdhsa_exception_fp_ieee_inexact 0
		.amdhsa_exception_int_div_zero 0
	.end_amdhsa_kernel
	.section	.text._ZN7rocprim17ROCPRIM_400000_NS6detail17trampoline_kernelINS0_14default_configENS1_25transform_config_selectorI6__halfLb1EEEZNS1_14transform_implILb1ES3_S6_PS5_S8_NS0_8identityIS5_EEEE10hipError_tT2_T3_mT4_P12ihipStream_tbEUlT_E_NS1_11comp_targetILNS1_3genE8ELNS1_11target_archE1030ELNS1_3gpuE2ELNS1_3repE0EEENS1_30default_config_static_selectorELNS0_4arch9wavefront6targetE0EEEvT1_,"axG",@progbits,_ZN7rocprim17ROCPRIM_400000_NS6detail17trampoline_kernelINS0_14default_configENS1_25transform_config_selectorI6__halfLb1EEEZNS1_14transform_implILb1ES3_S6_PS5_S8_NS0_8identityIS5_EEEE10hipError_tT2_T3_mT4_P12ihipStream_tbEUlT_E_NS1_11comp_targetILNS1_3genE8ELNS1_11target_archE1030ELNS1_3gpuE2ELNS1_3repE0EEENS1_30default_config_static_selectorELNS0_4arch9wavefront6targetE0EEEvT1_,comdat
.Lfunc_end2136:
	.size	_ZN7rocprim17ROCPRIM_400000_NS6detail17trampoline_kernelINS0_14default_configENS1_25transform_config_selectorI6__halfLb1EEEZNS1_14transform_implILb1ES3_S6_PS5_S8_NS0_8identityIS5_EEEE10hipError_tT2_T3_mT4_P12ihipStream_tbEUlT_E_NS1_11comp_targetILNS1_3genE8ELNS1_11target_archE1030ELNS1_3gpuE2ELNS1_3repE0EEENS1_30default_config_static_selectorELNS0_4arch9wavefront6targetE0EEEvT1_, .Lfunc_end2136-_ZN7rocprim17ROCPRIM_400000_NS6detail17trampoline_kernelINS0_14default_configENS1_25transform_config_selectorI6__halfLb1EEEZNS1_14transform_implILb1ES3_S6_PS5_S8_NS0_8identityIS5_EEEE10hipError_tT2_T3_mT4_P12ihipStream_tbEUlT_E_NS1_11comp_targetILNS1_3genE8ELNS1_11target_archE1030ELNS1_3gpuE2ELNS1_3repE0EEENS1_30default_config_static_selectorELNS0_4arch9wavefront6targetE0EEEvT1_
                                        ; -- End function
	.set _ZN7rocprim17ROCPRIM_400000_NS6detail17trampoline_kernelINS0_14default_configENS1_25transform_config_selectorI6__halfLb1EEEZNS1_14transform_implILb1ES3_S6_PS5_S8_NS0_8identityIS5_EEEE10hipError_tT2_T3_mT4_P12ihipStream_tbEUlT_E_NS1_11comp_targetILNS1_3genE8ELNS1_11target_archE1030ELNS1_3gpuE2ELNS1_3repE0EEENS1_30default_config_static_selectorELNS0_4arch9wavefront6targetE0EEEvT1_.num_vgpr, 0
	.set _ZN7rocprim17ROCPRIM_400000_NS6detail17trampoline_kernelINS0_14default_configENS1_25transform_config_selectorI6__halfLb1EEEZNS1_14transform_implILb1ES3_S6_PS5_S8_NS0_8identityIS5_EEEE10hipError_tT2_T3_mT4_P12ihipStream_tbEUlT_E_NS1_11comp_targetILNS1_3genE8ELNS1_11target_archE1030ELNS1_3gpuE2ELNS1_3repE0EEENS1_30default_config_static_selectorELNS0_4arch9wavefront6targetE0EEEvT1_.num_agpr, 0
	.set _ZN7rocprim17ROCPRIM_400000_NS6detail17trampoline_kernelINS0_14default_configENS1_25transform_config_selectorI6__halfLb1EEEZNS1_14transform_implILb1ES3_S6_PS5_S8_NS0_8identityIS5_EEEE10hipError_tT2_T3_mT4_P12ihipStream_tbEUlT_E_NS1_11comp_targetILNS1_3genE8ELNS1_11target_archE1030ELNS1_3gpuE2ELNS1_3repE0EEENS1_30default_config_static_selectorELNS0_4arch9wavefront6targetE0EEEvT1_.numbered_sgpr, 0
	.set _ZN7rocprim17ROCPRIM_400000_NS6detail17trampoline_kernelINS0_14default_configENS1_25transform_config_selectorI6__halfLb1EEEZNS1_14transform_implILb1ES3_S6_PS5_S8_NS0_8identityIS5_EEEE10hipError_tT2_T3_mT4_P12ihipStream_tbEUlT_E_NS1_11comp_targetILNS1_3genE8ELNS1_11target_archE1030ELNS1_3gpuE2ELNS1_3repE0EEENS1_30default_config_static_selectorELNS0_4arch9wavefront6targetE0EEEvT1_.num_named_barrier, 0
	.set _ZN7rocprim17ROCPRIM_400000_NS6detail17trampoline_kernelINS0_14default_configENS1_25transform_config_selectorI6__halfLb1EEEZNS1_14transform_implILb1ES3_S6_PS5_S8_NS0_8identityIS5_EEEE10hipError_tT2_T3_mT4_P12ihipStream_tbEUlT_E_NS1_11comp_targetILNS1_3genE8ELNS1_11target_archE1030ELNS1_3gpuE2ELNS1_3repE0EEENS1_30default_config_static_selectorELNS0_4arch9wavefront6targetE0EEEvT1_.private_seg_size, 0
	.set _ZN7rocprim17ROCPRIM_400000_NS6detail17trampoline_kernelINS0_14default_configENS1_25transform_config_selectorI6__halfLb1EEEZNS1_14transform_implILb1ES3_S6_PS5_S8_NS0_8identityIS5_EEEE10hipError_tT2_T3_mT4_P12ihipStream_tbEUlT_E_NS1_11comp_targetILNS1_3genE8ELNS1_11target_archE1030ELNS1_3gpuE2ELNS1_3repE0EEENS1_30default_config_static_selectorELNS0_4arch9wavefront6targetE0EEEvT1_.uses_vcc, 0
	.set _ZN7rocprim17ROCPRIM_400000_NS6detail17trampoline_kernelINS0_14default_configENS1_25transform_config_selectorI6__halfLb1EEEZNS1_14transform_implILb1ES3_S6_PS5_S8_NS0_8identityIS5_EEEE10hipError_tT2_T3_mT4_P12ihipStream_tbEUlT_E_NS1_11comp_targetILNS1_3genE8ELNS1_11target_archE1030ELNS1_3gpuE2ELNS1_3repE0EEENS1_30default_config_static_selectorELNS0_4arch9wavefront6targetE0EEEvT1_.uses_flat_scratch, 0
	.set _ZN7rocprim17ROCPRIM_400000_NS6detail17trampoline_kernelINS0_14default_configENS1_25transform_config_selectorI6__halfLb1EEEZNS1_14transform_implILb1ES3_S6_PS5_S8_NS0_8identityIS5_EEEE10hipError_tT2_T3_mT4_P12ihipStream_tbEUlT_E_NS1_11comp_targetILNS1_3genE8ELNS1_11target_archE1030ELNS1_3gpuE2ELNS1_3repE0EEENS1_30default_config_static_selectorELNS0_4arch9wavefront6targetE0EEEvT1_.has_dyn_sized_stack, 0
	.set _ZN7rocprim17ROCPRIM_400000_NS6detail17trampoline_kernelINS0_14default_configENS1_25transform_config_selectorI6__halfLb1EEEZNS1_14transform_implILb1ES3_S6_PS5_S8_NS0_8identityIS5_EEEE10hipError_tT2_T3_mT4_P12ihipStream_tbEUlT_E_NS1_11comp_targetILNS1_3genE8ELNS1_11target_archE1030ELNS1_3gpuE2ELNS1_3repE0EEENS1_30default_config_static_selectorELNS0_4arch9wavefront6targetE0EEEvT1_.has_recursion, 0
	.set _ZN7rocprim17ROCPRIM_400000_NS6detail17trampoline_kernelINS0_14default_configENS1_25transform_config_selectorI6__halfLb1EEEZNS1_14transform_implILb1ES3_S6_PS5_S8_NS0_8identityIS5_EEEE10hipError_tT2_T3_mT4_P12ihipStream_tbEUlT_E_NS1_11comp_targetILNS1_3genE8ELNS1_11target_archE1030ELNS1_3gpuE2ELNS1_3repE0EEENS1_30default_config_static_selectorELNS0_4arch9wavefront6targetE0EEEvT1_.has_indirect_call, 0
	.section	.AMDGPU.csdata,"",@progbits
; Kernel info:
; codeLenInByte = 0
; TotalNumSgprs: 0
; NumVgprs: 0
; ScratchSize: 0
; MemoryBound: 0
; FloatMode: 240
; IeeeMode: 1
; LDSByteSize: 0 bytes/workgroup (compile time only)
; SGPRBlocks: 0
; VGPRBlocks: 0
; NumSGPRsForWavesPerEU: 1
; NumVGPRsForWavesPerEU: 1
; NamedBarCnt: 0
; Occupancy: 16
; WaveLimiterHint : 0
; COMPUTE_PGM_RSRC2:SCRATCH_EN: 0
; COMPUTE_PGM_RSRC2:USER_SGPR: 2
; COMPUTE_PGM_RSRC2:TRAP_HANDLER: 0
; COMPUTE_PGM_RSRC2:TGID_X_EN: 1
; COMPUTE_PGM_RSRC2:TGID_Y_EN: 0
; COMPUTE_PGM_RSRC2:TGID_Z_EN: 0
; COMPUTE_PGM_RSRC2:TIDIG_COMP_CNT: 0
	.section	.text._ZN7rocprim17ROCPRIM_400000_NS6detail17trampoline_kernelINS0_14default_configENS1_35radix_sort_onesweep_config_selectorI6__halfNS0_10empty_typeEEEZNS1_34radix_sort_onesweep_global_offsetsIS3_Lb1EPKS5_PS6_mNS0_19identity_decomposerEEE10hipError_tT1_T2_PT3_SG_jT4_jjP12ihipStream_tbEUlT_E_NS1_11comp_targetILNS1_3genE0ELNS1_11target_archE4294967295ELNS1_3gpuE0ELNS1_3repE0EEENS1_52radix_sort_onesweep_histogram_config_static_selectorELNS0_4arch9wavefront6targetE0EEEvSE_,"axG",@progbits,_ZN7rocprim17ROCPRIM_400000_NS6detail17trampoline_kernelINS0_14default_configENS1_35radix_sort_onesweep_config_selectorI6__halfNS0_10empty_typeEEEZNS1_34radix_sort_onesweep_global_offsetsIS3_Lb1EPKS5_PS6_mNS0_19identity_decomposerEEE10hipError_tT1_T2_PT3_SG_jT4_jjP12ihipStream_tbEUlT_E_NS1_11comp_targetILNS1_3genE0ELNS1_11target_archE4294967295ELNS1_3gpuE0ELNS1_3repE0EEENS1_52radix_sort_onesweep_histogram_config_static_selectorELNS0_4arch9wavefront6targetE0EEEvSE_,comdat
	.protected	_ZN7rocprim17ROCPRIM_400000_NS6detail17trampoline_kernelINS0_14default_configENS1_35radix_sort_onesweep_config_selectorI6__halfNS0_10empty_typeEEEZNS1_34radix_sort_onesweep_global_offsetsIS3_Lb1EPKS5_PS6_mNS0_19identity_decomposerEEE10hipError_tT1_T2_PT3_SG_jT4_jjP12ihipStream_tbEUlT_E_NS1_11comp_targetILNS1_3genE0ELNS1_11target_archE4294967295ELNS1_3gpuE0ELNS1_3repE0EEENS1_52radix_sort_onesweep_histogram_config_static_selectorELNS0_4arch9wavefront6targetE0EEEvSE_ ; -- Begin function _ZN7rocprim17ROCPRIM_400000_NS6detail17trampoline_kernelINS0_14default_configENS1_35radix_sort_onesweep_config_selectorI6__halfNS0_10empty_typeEEEZNS1_34radix_sort_onesweep_global_offsetsIS3_Lb1EPKS5_PS6_mNS0_19identity_decomposerEEE10hipError_tT1_T2_PT3_SG_jT4_jjP12ihipStream_tbEUlT_E_NS1_11comp_targetILNS1_3genE0ELNS1_11target_archE4294967295ELNS1_3gpuE0ELNS1_3repE0EEENS1_52radix_sort_onesweep_histogram_config_static_selectorELNS0_4arch9wavefront6targetE0EEEvSE_
	.globl	_ZN7rocprim17ROCPRIM_400000_NS6detail17trampoline_kernelINS0_14default_configENS1_35radix_sort_onesweep_config_selectorI6__halfNS0_10empty_typeEEEZNS1_34radix_sort_onesweep_global_offsetsIS3_Lb1EPKS5_PS6_mNS0_19identity_decomposerEEE10hipError_tT1_T2_PT3_SG_jT4_jjP12ihipStream_tbEUlT_E_NS1_11comp_targetILNS1_3genE0ELNS1_11target_archE4294967295ELNS1_3gpuE0ELNS1_3repE0EEENS1_52radix_sort_onesweep_histogram_config_static_selectorELNS0_4arch9wavefront6targetE0EEEvSE_
	.p2align	8
	.type	_ZN7rocprim17ROCPRIM_400000_NS6detail17trampoline_kernelINS0_14default_configENS1_35radix_sort_onesweep_config_selectorI6__halfNS0_10empty_typeEEEZNS1_34radix_sort_onesweep_global_offsetsIS3_Lb1EPKS5_PS6_mNS0_19identity_decomposerEEE10hipError_tT1_T2_PT3_SG_jT4_jjP12ihipStream_tbEUlT_E_NS1_11comp_targetILNS1_3genE0ELNS1_11target_archE4294967295ELNS1_3gpuE0ELNS1_3repE0EEENS1_52radix_sort_onesweep_histogram_config_static_selectorELNS0_4arch9wavefront6targetE0EEEvSE_,@function
_ZN7rocprim17ROCPRIM_400000_NS6detail17trampoline_kernelINS0_14default_configENS1_35radix_sort_onesweep_config_selectorI6__halfNS0_10empty_typeEEEZNS1_34radix_sort_onesweep_global_offsetsIS3_Lb1EPKS5_PS6_mNS0_19identity_decomposerEEE10hipError_tT1_T2_PT3_SG_jT4_jjP12ihipStream_tbEUlT_E_NS1_11comp_targetILNS1_3genE0ELNS1_11target_archE4294967295ELNS1_3gpuE0ELNS1_3repE0EEENS1_52radix_sort_onesweep_histogram_config_static_selectorELNS0_4arch9wavefront6targetE0EEEvSE_: ; @_ZN7rocprim17ROCPRIM_400000_NS6detail17trampoline_kernelINS0_14default_configENS1_35radix_sort_onesweep_config_selectorI6__halfNS0_10empty_typeEEEZNS1_34radix_sort_onesweep_global_offsetsIS3_Lb1EPKS5_PS6_mNS0_19identity_decomposerEEE10hipError_tT1_T2_PT3_SG_jT4_jjP12ihipStream_tbEUlT_E_NS1_11comp_targetILNS1_3genE0ELNS1_11target_archE4294967295ELNS1_3gpuE0ELNS1_3repE0EEENS1_52radix_sort_onesweep_histogram_config_static_selectorELNS0_4arch9wavefront6targetE0EEEvSE_
; %bb.0:
	s_clause 0x1
	s_load_b64 s[8:9], s[0:1], 0x18
	s_load_b128 s[4:7], s[0:1], 0x0
	s_bfe_u32 s10, ttmp6, 0x4000c
	s_load_b64 s[2:3], s[0:1], 0x24
	s_add_co_i32 s10, s10, 1
	s_and_b32 s11, ttmp6, 15
	s_mul_i32 s10, ttmp9, s10
	s_getreg_b32 s12, hwreg(HW_REG_IB_STS2, 6, 4)
	s_add_co_i32 s10, s11, s10
	s_cmp_eq_u32 s12, 0
	s_mov_b32 s11, 0
	s_cselect_b32 s10, ttmp9, s10
	s_wait_kmcnt 0x0
	v_cmp_le_u64_e64 s9, s[8:9], s[10:11]
	s_mul_u64 s[10:11], s[10:11], 0x3000
	s_delay_alu instid0(SALU_CYCLE_1)
	s_add_nc_u64 s[4:5], s[4:5], s[10:11]
	s_and_b32 vcc_lo, exec_lo, s9
	s_mov_b32 s9, -1
	s_cbranch_vccz .LBB2137_119
; %bb.1:
	s_load_b32 s1, s[0:1], 0x10
	s_wait_xcnt 0x0
	s_mul_i32 s0, s8, 0xffffe800
                                        ; implicit-def: $vgpr25
	s_wait_kmcnt 0x0
	s_add_co_i32 s1, s1, s0
	s_mov_b32 s0, exec_lo
	v_cmpx_gt_u32_e64 s1, v0
	s_cbranch_execz .LBB2137_3
; %bb.2:
	global_load_u16 v25, v0, s[4:5] scale_offset
.LBB2137_3:
	s_wait_xcnt 0x0
	s_or_b32 exec_lo, exec_lo, s0
	v_or_b32_e32 v23, 0x200, v0
	s_mov_b32 s0, exec_lo
                                        ; implicit-def: $vgpr24
	s_delay_alu instid0(VALU_DEP_1)
	v_cmpx_gt_u32_e64 s1, v23
	s_cbranch_execz .LBB2137_5
; %bb.4:
	global_load_u16 v24, v0, s[4:5] offset:1024 scale_offset
.LBB2137_5:
	s_wait_xcnt 0x0
	s_or_b32 exec_lo, exec_lo, s0
	v_or_b32_e32 v21, 0x400, v0
	s_mov_b32 s0, exec_lo
                                        ; implicit-def: $vgpr22
	s_delay_alu instid0(VALU_DEP_1)
	v_cmpx_gt_u32_e64 s1, v21
	s_cbranch_execz .LBB2137_7
; %bb.6:
	global_load_u16 v22, v0, s[4:5] offset:2048 scale_offset
.LBB2137_7:
	s_wait_xcnt 0x0
	s_or_b32 exec_lo, exec_lo, s0
	v_or_b32_e32 v19, 0x600, v0
	s_mov_b32 s0, exec_lo
                                        ; implicit-def: $vgpr20
	s_delay_alu instid0(VALU_DEP_1)
	v_cmpx_gt_u32_e64 s1, v19
	s_cbranch_execz .LBB2137_9
; %bb.8:
	global_load_u16 v20, v0, s[4:5] offset:3072 scale_offset
.LBB2137_9:
	s_wait_xcnt 0x0
	s_or_b32 exec_lo, exec_lo, s0
	v_or_b32_e32 v17, 0x800, v0
	s_mov_b32 s0, exec_lo
                                        ; implicit-def: $vgpr18
	s_delay_alu instid0(VALU_DEP_1)
	v_cmpx_gt_u32_e64 s1, v17
	s_cbranch_execz .LBB2137_11
; %bb.10:
	global_load_u16 v18, v0, s[4:5] offset:4096 scale_offset
.LBB2137_11:
	s_wait_xcnt 0x0
	s_or_b32 exec_lo, exec_lo, s0
	v_or_b32_e32 v15, 0xa00, v0
	s_mov_b32 s0, exec_lo
                                        ; implicit-def: $vgpr16
	s_delay_alu instid0(VALU_DEP_1)
	v_cmpx_gt_u32_e64 s1, v15
	s_cbranch_execz .LBB2137_13
; %bb.12:
	global_load_u16 v16, v0, s[4:5] offset:5120 scale_offset
.LBB2137_13:
	s_wait_xcnt 0x0
	s_or_b32 exec_lo, exec_lo, s0
	v_or_b32_e32 v13, 0xc00, v0
	s_mov_b32 s0, exec_lo
                                        ; implicit-def: $vgpr14
	s_delay_alu instid0(VALU_DEP_1)
	v_cmpx_gt_u32_e64 s1, v13
	s_cbranch_execz .LBB2137_15
; %bb.14:
	global_load_u16 v14, v0, s[4:5] offset:6144 scale_offset
.LBB2137_15:
	s_wait_xcnt 0x0
	s_or_b32 exec_lo, exec_lo, s0
	v_or_b32_e32 v11, 0xe00, v0
	s_mov_b32 s0, exec_lo
                                        ; implicit-def: $vgpr12
	s_delay_alu instid0(VALU_DEP_1)
	v_cmpx_gt_u32_e64 s1, v11
	s_cbranch_execz .LBB2137_17
; %bb.16:
	global_load_u16 v12, v0, s[4:5] offset:7168 scale_offset
.LBB2137_17:
	s_wait_xcnt 0x0
	s_or_b32 exec_lo, exec_lo, s0
	v_or_b32_e32 v9, 0x1000, v0
	s_mov_b32 s0, exec_lo
                                        ; implicit-def: $vgpr10
	s_delay_alu instid0(VALU_DEP_1)
	v_cmpx_gt_u32_e64 s1, v9
	s_cbranch_execz .LBB2137_19
; %bb.18:
	global_load_u16 v10, v0, s[4:5] offset:8192 scale_offset
.LBB2137_19:
	s_wait_xcnt 0x0
	s_or_b32 exec_lo, exec_lo, s0
	v_or_b32_e32 v7, 0x1200, v0
	s_mov_b32 s0, exec_lo
                                        ; implicit-def: $vgpr8
	s_delay_alu instid0(VALU_DEP_1)
	v_cmpx_gt_u32_e64 s1, v7
	s_cbranch_execz .LBB2137_21
; %bb.20:
	global_load_u16 v8, v0, s[4:5] offset:9216 scale_offset
.LBB2137_21:
	s_wait_xcnt 0x0
	s_or_b32 exec_lo, exec_lo, s0
	v_or_b32_e32 v5, 0x1400, v0
	s_mov_b32 s0, exec_lo
                                        ; implicit-def: $vgpr6
	s_delay_alu instid0(VALU_DEP_1)
	v_cmpx_gt_u32_e64 s1, v5
	s_cbranch_execz .LBB2137_23
; %bb.22:
	global_load_u16 v6, v0, s[4:5] offset:10240 scale_offset
.LBB2137_23:
	s_wait_xcnt 0x0
	s_or_b32 exec_lo, exec_lo, s0
	v_or_b32_e32 v3, 0x1600, v0
	s_mov_b32 s0, exec_lo
                                        ; implicit-def: $vgpr4
	s_delay_alu instid0(VALU_DEP_1)
	v_cmpx_gt_u32_e64 s1, v3
	s_cbranch_execz .LBB2137_25
; %bb.24:
	global_load_u16 v4, v0, s[4:5] offset:11264 scale_offset
.LBB2137_25:
	s_wait_xcnt 0x0
	s_or_b32 exec_lo, exec_lo, s0
	v_dual_mov_b32 v2, 0 :: v_dual_lshlrev_b32 v1, 2, v0
	s_mov_b32 s0, -1
	ds_store_2addr_stride64_b32 v1, v2, v2 offset1:8
	s_and_saveexec_b32 s8, s0
; %bb.26:
	ds_store_b32 v1, v2 offset:4096
; %bb.27:
	s_or_b32 exec_lo, exec_lo, s8
	s_and_saveexec_b32 s8, s0
; %bb.28:
	v_mov_b32_e32 v2, 0
	ds_store_b32 v1, v2 offset:6144
; %bb.29:
	s_or_b32 exec_lo, exec_lo, s8
	s_wait_loadcnt 0x0
	v_cmp_gt_i16_e32 vcc_lo, 0, v25
	s_cmp_le_u32 s3, s2
	s_wait_dscnt 0x0
	s_cselect_b32 s8, -1, 0
	s_barrier_signal -1
	v_cndmask_b32_e64 v26, 0x7fff, 0, vcc_lo
	s_and_b32 s0, s8, exec_lo
	v_cmp_le_u32_e32 vcc_lo, s1, v0
	s_cselect_b32 s9, 8, 10
	v_and_b32_e32 v2, 3, v0
	v_dual_mov_b32 v26, s9 :: v_dual_bitop2_b32 v25, v26, v25 bitop3:0x14
	s_nor_b32 s0, s8, vcc_lo
	s_barrier_wait -1
	s_and_saveexec_b32 s10, s0
	s_cbranch_execz .LBB2137_31
; %bb.30:
	v_cmp_ne_u16_e64 s0, 0x8000, v25
	v_lshlrev_b32_e32 v27, 2, v2
	s_delay_alu instid0(VALU_DEP_2) | instskip(SKIP_1) | instid1(SALU_CYCLE_1)
	v_cndmask_b32_e64 v26, 0x7fff, v25, s0
	s_sub_co_i32 s0, s3, s2
	s_min_u32 s0, s0, 8
	s_delay_alu instid0(VALU_DEP_1) | instskip(NEXT) | instid1(VALU_DEP_1)
	v_and_b32_e32 v26, 0xffff, v26
	v_lshrrev_b32_e32 v26, s2, v26
	s_delay_alu instid0(VALU_DEP_1) | instskip(NEXT) | instid1(VALU_DEP_1)
	v_bfe_u32 v26, v26, 0, s0
	v_lshl_or_b32 v26, v26, 4, v27
	v_mov_b32_e32 v27, 1
	ds_add_u32 v26, v27
	v_mov_b32_e32 v26, 0
.LBB2137_31:
	s_or_b32 exec_lo, exec_lo, s10
	s_mov_b32 s10, -1
	s_mov_b32 s11, exec_lo
	s_delay_alu instid0(VALU_DEP_1)
	v_cmpx_gt_i32_e32 10, v26
; %bb.32:
	v_cmp_eq_u32_e64 s0, 0, v26
	s_or_not1_b32 s10, s0, exec_lo
; %bb.33:
	s_or_b32 exec_lo, exec_lo, s11
	s_and_saveexec_b32 s0, s10
	s_cbranch_execz .LBB2137_36
; %bb.34:
	s_add_co_i32 s10, s2, 8
	s_delay_alu instid0(SALU_CYCLE_1) | instskip(SKIP_2) | instid1(SALU_CYCLE_1)
	s_cmp_gt_u32 s3, s10
	s_cselect_b32 s11, -1, 0
	s_xor_b32 s12, vcc_lo, -1
	s_and_b32 s11, s11, s12
	s_delay_alu instid0(SALU_CYCLE_1)
	s_and_b32 exec_lo, exec_lo, s11
	s_cbranch_execz .LBB2137_36
; %bb.35:
	v_cmp_ne_u16_e32 vcc_lo, 0x8000, v25
	v_dual_cndmask_b32 v25, 0x7fff, v25 :: v_dual_lshlrev_b32 v26, 2, v2
	s_delay_alu instid0(VALU_DEP_1) | instskip(NEXT) | instid1(VALU_DEP_1)
	v_and_b32_e32 v25, 0xffff, v25
	v_lshrrev_b32_e32 v25, s10, v25
	s_sub_co_i32 s10, s3, s10
	s_delay_alu instid0(SALU_CYCLE_1)
	s_min_u32 s10, s10, 8
	s_delay_alu instid0(VALU_DEP_1) | instid1(SALU_CYCLE_1)
	v_bfe_u32 v25, v25, 0, s10
	s_delay_alu instid0(VALU_DEP_1)
	v_lshl_or_b32 v25, v25, 4, v26
	v_mov_b32_e32 v26, 1
	ds_add_u32 v25, v26 offset:4096
.LBB2137_36:
	s_or_b32 exec_lo, exec_lo, s0
	v_cmp_gt_i16_e32 vcc_lo, 0, v24
	v_cndmask_b32_e64 v25, 0x7fff, 0, vcc_lo
	v_cmp_le_u32_e32 vcc_lo, s1, v23
	s_delay_alu instid0(VALU_DEP_2) | instskip(SKIP_1) | instid1(SALU_CYCLE_1)
	v_dual_mov_b32 v24, s9 :: v_dual_bitop2_b32 v23, v25, v24 bitop3:0x14
	s_nor_b32 s0, s8, vcc_lo
	s_and_saveexec_b32 s10, s0
	s_cbranch_execz .LBB2137_38
; %bb.37:
	s_delay_alu instid0(VALU_DEP_1) | instskip(SKIP_1) | instid1(VALU_DEP_2)
	v_cmp_ne_u16_e64 s0, 0x8000, v23
	v_lshlrev_b32_e32 v25, 2, v2
	v_cndmask_b32_e64 v24, 0x7fff, v23, s0
	s_sub_co_i32 s0, s3, s2
	s_delay_alu instid0(SALU_CYCLE_1) | instskip(NEXT) | instid1(VALU_DEP_1)
	s_min_u32 s0, s0, 8
	v_and_b32_e32 v24, 0xffff, v24
	s_delay_alu instid0(VALU_DEP_1) | instskip(NEXT) | instid1(VALU_DEP_1)
	v_lshrrev_b32_e32 v24, s2, v24
	v_bfe_u32 v24, v24, 0, s0
	s_delay_alu instid0(VALU_DEP_1)
	v_lshl_or_b32 v24, v24, 4, v25
	v_mov_b32_e32 v25, 1
	ds_add_u32 v24, v25
	v_mov_b32_e32 v24, 0
.LBB2137_38:
	s_or_b32 exec_lo, exec_lo, s10
	s_mov_b32 s10, -1
	s_mov_b32 s11, exec_lo
	s_delay_alu instid0(VALU_DEP_1)
	v_cmpx_gt_i32_e32 10, v24
; %bb.39:
	v_cmp_eq_u32_e64 s0, 0, v24
	s_or_not1_b32 s10, s0, exec_lo
; %bb.40:
	s_or_b32 exec_lo, exec_lo, s11
	s_and_saveexec_b32 s0, s10
	s_cbranch_execz .LBB2137_43
; %bb.41:
	s_add_co_i32 s10, s2, 8
	s_delay_alu instid0(SALU_CYCLE_1) | instskip(SKIP_2) | instid1(SALU_CYCLE_1)
	s_cmp_gt_u32 s3, s10
	s_cselect_b32 s11, -1, 0
	s_xor_b32 s12, vcc_lo, -1
	s_and_b32 s11, s11, s12
	s_delay_alu instid0(SALU_CYCLE_1)
	s_and_b32 exec_lo, exec_lo, s11
	s_cbranch_execz .LBB2137_43
; %bb.42:
	v_cmp_ne_u16_e32 vcc_lo, 0x8000, v23
	v_dual_cndmask_b32 v23, 0x7fff, v23 :: v_dual_lshlrev_b32 v24, 2, v2
	s_delay_alu instid0(VALU_DEP_1) | instskip(NEXT) | instid1(VALU_DEP_1)
	v_and_b32_e32 v23, 0xffff, v23
	v_lshrrev_b32_e32 v23, s10, v23
	s_sub_co_i32 s10, s3, s10
	s_delay_alu instid0(SALU_CYCLE_1)
	s_min_u32 s10, s10, 8
	s_delay_alu instid0(VALU_DEP_1) | instid1(SALU_CYCLE_1)
	v_bfe_u32 v23, v23, 0, s10
	s_delay_alu instid0(VALU_DEP_1)
	v_lshl_or_b32 v23, v23, 4, v24
	v_mov_b32_e32 v24, 1
	ds_add_u32 v23, v24 offset:4096
.LBB2137_43:
	s_or_b32 exec_lo, exec_lo, s0
	v_cmp_gt_i16_e32 vcc_lo, 0, v22
	v_cndmask_b32_e64 v23, 0x7fff, 0, vcc_lo
	v_cmp_le_u32_e32 vcc_lo, s1, v21
	s_delay_alu instid0(VALU_DEP_2) | instskip(SKIP_1) | instid1(SALU_CYCLE_1)
	v_dual_mov_b32 v22, s9 :: v_dual_bitop2_b32 v21, v23, v22 bitop3:0x14
	s_nor_b32 s0, s8, vcc_lo
	s_and_saveexec_b32 s10, s0
	s_cbranch_execz .LBB2137_45
; %bb.44:
	s_delay_alu instid0(VALU_DEP_1) | instskip(SKIP_1) | instid1(VALU_DEP_2)
	v_cmp_ne_u16_e64 s0, 0x8000, v21
	v_lshlrev_b32_e32 v23, 2, v2
	v_cndmask_b32_e64 v22, 0x7fff, v21, s0
	s_sub_co_i32 s0, s3, s2
	s_delay_alu instid0(SALU_CYCLE_1) | instskip(NEXT) | instid1(VALU_DEP_1)
	s_min_u32 s0, s0, 8
	v_and_b32_e32 v22, 0xffff, v22
	s_delay_alu instid0(VALU_DEP_1) | instskip(NEXT) | instid1(VALU_DEP_1)
	v_lshrrev_b32_e32 v22, s2, v22
	v_bfe_u32 v22, v22, 0, s0
	s_delay_alu instid0(VALU_DEP_1)
	v_lshl_or_b32 v22, v22, 4, v23
	v_mov_b32_e32 v23, 1
	ds_add_u32 v22, v23
	v_mov_b32_e32 v22, 0
.LBB2137_45:
	s_or_b32 exec_lo, exec_lo, s10
	s_mov_b32 s10, -1
	s_mov_b32 s11, exec_lo
	s_delay_alu instid0(VALU_DEP_1)
	v_cmpx_gt_i32_e32 10, v22
; %bb.46:
	v_cmp_eq_u32_e64 s0, 0, v22
	s_or_not1_b32 s10, s0, exec_lo
; %bb.47:
	s_or_b32 exec_lo, exec_lo, s11
	s_and_saveexec_b32 s0, s10
	s_cbranch_execz .LBB2137_50
; %bb.48:
	s_add_co_i32 s10, s2, 8
	s_delay_alu instid0(SALU_CYCLE_1) | instskip(SKIP_2) | instid1(SALU_CYCLE_1)
	s_cmp_gt_u32 s3, s10
	s_cselect_b32 s11, -1, 0
	s_xor_b32 s12, vcc_lo, -1
	s_and_b32 s11, s11, s12
	s_delay_alu instid0(SALU_CYCLE_1)
	s_and_b32 exec_lo, exec_lo, s11
	s_cbranch_execz .LBB2137_50
; %bb.49:
	v_cmp_ne_u16_e32 vcc_lo, 0x8000, v21
	v_dual_cndmask_b32 v21, 0x7fff, v21 :: v_dual_lshlrev_b32 v22, 2, v2
	s_delay_alu instid0(VALU_DEP_1) | instskip(NEXT) | instid1(VALU_DEP_1)
	v_and_b32_e32 v21, 0xffff, v21
	v_lshrrev_b32_e32 v21, s10, v21
	s_sub_co_i32 s10, s3, s10
	s_delay_alu instid0(SALU_CYCLE_1)
	s_min_u32 s10, s10, 8
	s_delay_alu instid0(VALU_DEP_1) | instid1(SALU_CYCLE_1)
	v_bfe_u32 v21, v21, 0, s10
	s_delay_alu instid0(VALU_DEP_1)
	v_lshl_or_b32 v21, v21, 4, v22
	v_mov_b32_e32 v22, 1
	ds_add_u32 v21, v22 offset:4096
.LBB2137_50:
	s_or_b32 exec_lo, exec_lo, s0
	v_cmp_gt_i16_e32 vcc_lo, 0, v20
	v_cndmask_b32_e64 v21, 0x7fff, 0, vcc_lo
	v_cmp_le_u32_e32 vcc_lo, s1, v19
	s_delay_alu instid0(VALU_DEP_2) | instskip(SKIP_1) | instid1(SALU_CYCLE_1)
	v_dual_mov_b32 v20, s9 :: v_dual_bitop2_b32 v19, v21, v20 bitop3:0x14
	s_nor_b32 s0, s8, vcc_lo
	s_and_saveexec_b32 s10, s0
	s_cbranch_execz .LBB2137_52
; %bb.51:
	s_delay_alu instid0(VALU_DEP_1) | instskip(SKIP_1) | instid1(VALU_DEP_2)
	v_cmp_ne_u16_e64 s0, 0x8000, v19
	v_lshlrev_b32_e32 v21, 2, v2
	v_cndmask_b32_e64 v20, 0x7fff, v19, s0
	s_sub_co_i32 s0, s3, s2
	s_delay_alu instid0(SALU_CYCLE_1) | instskip(NEXT) | instid1(VALU_DEP_1)
	s_min_u32 s0, s0, 8
	v_and_b32_e32 v20, 0xffff, v20
	s_delay_alu instid0(VALU_DEP_1) | instskip(NEXT) | instid1(VALU_DEP_1)
	v_lshrrev_b32_e32 v20, s2, v20
	v_bfe_u32 v20, v20, 0, s0
	s_delay_alu instid0(VALU_DEP_1)
	v_lshl_or_b32 v20, v20, 4, v21
	v_mov_b32_e32 v21, 1
	ds_add_u32 v20, v21
	v_mov_b32_e32 v20, 0
.LBB2137_52:
	s_or_b32 exec_lo, exec_lo, s10
	s_mov_b32 s10, -1
	s_mov_b32 s11, exec_lo
	s_delay_alu instid0(VALU_DEP_1)
	v_cmpx_gt_i32_e32 10, v20
; %bb.53:
	v_cmp_eq_u32_e64 s0, 0, v20
	s_or_not1_b32 s10, s0, exec_lo
; %bb.54:
	s_or_b32 exec_lo, exec_lo, s11
	s_and_saveexec_b32 s0, s10
	s_cbranch_execz .LBB2137_57
; %bb.55:
	s_add_co_i32 s10, s2, 8
	s_delay_alu instid0(SALU_CYCLE_1) | instskip(SKIP_2) | instid1(SALU_CYCLE_1)
	s_cmp_gt_u32 s3, s10
	s_cselect_b32 s11, -1, 0
	s_xor_b32 s12, vcc_lo, -1
	s_and_b32 s11, s11, s12
	s_delay_alu instid0(SALU_CYCLE_1)
	s_and_b32 exec_lo, exec_lo, s11
	s_cbranch_execz .LBB2137_57
; %bb.56:
	v_cmp_ne_u16_e32 vcc_lo, 0x8000, v19
	v_dual_cndmask_b32 v19, 0x7fff, v19 :: v_dual_lshlrev_b32 v20, 2, v2
	s_delay_alu instid0(VALU_DEP_1) | instskip(NEXT) | instid1(VALU_DEP_1)
	v_and_b32_e32 v19, 0xffff, v19
	v_lshrrev_b32_e32 v19, s10, v19
	s_sub_co_i32 s10, s3, s10
	s_delay_alu instid0(SALU_CYCLE_1)
	s_min_u32 s10, s10, 8
	s_delay_alu instid0(VALU_DEP_1) | instid1(SALU_CYCLE_1)
	v_bfe_u32 v19, v19, 0, s10
	s_delay_alu instid0(VALU_DEP_1)
	v_lshl_or_b32 v19, v19, 4, v20
	v_mov_b32_e32 v20, 1
	ds_add_u32 v19, v20 offset:4096
.LBB2137_57:
	s_or_b32 exec_lo, exec_lo, s0
	v_cmp_gt_i16_e32 vcc_lo, 0, v18
	v_cndmask_b32_e64 v19, 0x7fff, 0, vcc_lo
	v_cmp_le_u32_e32 vcc_lo, s1, v17
	s_delay_alu instid0(VALU_DEP_2) | instskip(SKIP_1) | instid1(SALU_CYCLE_1)
	v_dual_mov_b32 v18, s9 :: v_dual_bitop2_b32 v17, v19, v18 bitop3:0x14
	s_nor_b32 s0, s8, vcc_lo
	s_and_saveexec_b32 s10, s0
	s_cbranch_execz .LBB2137_59
; %bb.58:
	s_delay_alu instid0(VALU_DEP_1) | instskip(SKIP_1) | instid1(VALU_DEP_2)
	v_cmp_ne_u16_e64 s0, 0x8000, v17
	v_lshlrev_b32_e32 v19, 2, v2
	v_cndmask_b32_e64 v18, 0x7fff, v17, s0
	s_sub_co_i32 s0, s3, s2
	s_delay_alu instid0(SALU_CYCLE_1) | instskip(NEXT) | instid1(VALU_DEP_1)
	s_min_u32 s0, s0, 8
	v_and_b32_e32 v18, 0xffff, v18
	s_delay_alu instid0(VALU_DEP_1) | instskip(NEXT) | instid1(VALU_DEP_1)
	v_lshrrev_b32_e32 v18, s2, v18
	v_bfe_u32 v18, v18, 0, s0
	s_delay_alu instid0(VALU_DEP_1)
	v_lshl_or_b32 v18, v18, 4, v19
	v_mov_b32_e32 v19, 1
	ds_add_u32 v18, v19
	v_mov_b32_e32 v18, 0
.LBB2137_59:
	s_or_b32 exec_lo, exec_lo, s10
	s_mov_b32 s10, -1
	s_mov_b32 s11, exec_lo
	s_delay_alu instid0(VALU_DEP_1)
	v_cmpx_gt_i32_e32 10, v18
; %bb.60:
	v_cmp_eq_u32_e64 s0, 0, v18
	s_or_not1_b32 s10, s0, exec_lo
; %bb.61:
	s_or_b32 exec_lo, exec_lo, s11
	s_and_saveexec_b32 s0, s10
	s_cbranch_execz .LBB2137_64
; %bb.62:
	s_add_co_i32 s10, s2, 8
	s_delay_alu instid0(SALU_CYCLE_1) | instskip(SKIP_2) | instid1(SALU_CYCLE_1)
	s_cmp_gt_u32 s3, s10
	s_cselect_b32 s11, -1, 0
	s_xor_b32 s12, vcc_lo, -1
	s_and_b32 s11, s11, s12
	s_delay_alu instid0(SALU_CYCLE_1)
	s_and_b32 exec_lo, exec_lo, s11
	s_cbranch_execz .LBB2137_64
; %bb.63:
	v_cmp_ne_u16_e32 vcc_lo, 0x8000, v17
	v_dual_cndmask_b32 v17, 0x7fff, v17 :: v_dual_lshlrev_b32 v18, 2, v2
	s_delay_alu instid0(VALU_DEP_1) | instskip(NEXT) | instid1(VALU_DEP_1)
	v_and_b32_e32 v17, 0xffff, v17
	v_lshrrev_b32_e32 v17, s10, v17
	s_sub_co_i32 s10, s3, s10
	s_delay_alu instid0(SALU_CYCLE_1)
	s_min_u32 s10, s10, 8
	s_delay_alu instid0(VALU_DEP_1) | instid1(SALU_CYCLE_1)
	v_bfe_u32 v17, v17, 0, s10
	s_delay_alu instid0(VALU_DEP_1)
	v_lshl_or_b32 v17, v17, 4, v18
	v_mov_b32_e32 v18, 1
	ds_add_u32 v17, v18 offset:4096
.LBB2137_64:
	s_or_b32 exec_lo, exec_lo, s0
	v_cmp_gt_i16_e32 vcc_lo, 0, v16
	v_cndmask_b32_e64 v17, 0x7fff, 0, vcc_lo
	v_cmp_le_u32_e32 vcc_lo, s1, v15
	s_delay_alu instid0(VALU_DEP_2) | instskip(SKIP_1) | instid1(SALU_CYCLE_1)
	v_dual_mov_b32 v16, s9 :: v_dual_bitop2_b32 v15, v17, v16 bitop3:0x14
	s_nor_b32 s0, s8, vcc_lo
	s_and_saveexec_b32 s10, s0
	s_cbranch_execz .LBB2137_66
; %bb.65:
	s_delay_alu instid0(VALU_DEP_1) | instskip(SKIP_1) | instid1(VALU_DEP_2)
	v_cmp_ne_u16_e64 s0, 0x8000, v15
	v_lshlrev_b32_e32 v17, 2, v2
	v_cndmask_b32_e64 v16, 0x7fff, v15, s0
	s_sub_co_i32 s0, s3, s2
	s_delay_alu instid0(SALU_CYCLE_1) | instskip(NEXT) | instid1(VALU_DEP_1)
	s_min_u32 s0, s0, 8
	v_and_b32_e32 v16, 0xffff, v16
	s_delay_alu instid0(VALU_DEP_1) | instskip(NEXT) | instid1(VALU_DEP_1)
	v_lshrrev_b32_e32 v16, s2, v16
	v_bfe_u32 v16, v16, 0, s0
	s_delay_alu instid0(VALU_DEP_1)
	v_lshl_or_b32 v16, v16, 4, v17
	v_mov_b32_e32 v17, 1
	ds_add_u32 v16, v17
	v_mov_b32_e32 v16, 0
.LBB2137_66:
	s_or_b32 exec_lo, exec_lo, s10
	s_mov_b32 s10, -1
	s_mov_b32 s11, exec_lo
	s_delay_alu instid0(VALU_DEP_1)
	v_cmpx_gt_i32_e32 10, v16
; %bb.67:
	v_cmp_eq_u32_e64 s0, 0, v16
	s_or_not1_b32 s10, s0, exec_lo
; %bb.68:
	s_or_b32 exec_lo, exec_lo, s11
	s_and_saveexec_b32 s0, s10
	s_cbranch_execz .LBB2137_71
; %bb.69:
	s_add_co_i32 s10, s2, 8
	s_delay_alu instid0(SALU_CYCLE_1) | instskip(SKIP_2) | instid1(SALU_CYCLE_1)
	s_cmp_gt_u32 s3, s10
	s_cselect_b32 s11, -1, 0
	s_xor_b32 s12, vcc_lo, -1
	s_and_b32 s11, s11, s12
	s_delay_alu instid0(SALU_CYCLE_1)
	s_and_b32 exec_lo, exec_lo, s11
	s_cbranch_execz .LBB2137_71
; %bb.70:
	v_cmp_ne_u16_e32 vcc_lo, 0x8000, v15
	v_dual_cndmask_b32 v15, 0x7fff, v15 :: v_dual_lshlrev_b32 v16, 2, v2
	s_delay_alu instid0(VALU_DEP_1) | instskip(NEXT) | instid1(VALU_DEP_1)
	v_and_b32_e32 v15, 0xffff, v15
	v_lshrrev_b32_e32 v15, s10, v15
	s_sub_co_i32 s10, s3, s10
	s_delay_alu instid0(SALU_CYCLE_1)
	s_min_u32 s10, s10, 8
	s_delay_alu instid0(VALU_DEP_1) | instid1(SALU_CYCLE_1)
	v_bfe_u32 v15, v15, 0, s10
	s_delay_alu instid0(VALU_DEP_1)
	v_lshl_or_b32 v15, v15, 4, v16
	v_mov_b32_e32 v16, 1
	ds_add_u32 v15, v16 offset:4096
.LBB2137_71:
	s_or_b32 exec_lo, exec_lo, s0
	v_cmp_gt_i16_e32 vcc_lo, 0, v14
	v_cndmask_b32_e64 v15, 0x7fff, 0, vcc_lo
	v_cmp_le_u32_e32 vcc_lo, s1, v13
	s_delay_alu instid0(VALU_DEP_2) | instskip(SKIP_1) | instid1(SALU_CYCLE_1)
	v_dual_mov_b32 v14, s9 :: v_dual_bitop2_b32 v13, v15, v14 bitop3:0x14
	s_nor_b32 s0, s8, vcc_lo
	s_and_saveexec_b32 s10, s0
	s_cbranch_execz .LBB2137_73
; %bb.72:
	s_delay_alu instid0(VALU_DEP_1) | instskip(SKIP_1) | instid1(VALU_DEP_2)
	v_cmp_ne_u16_e64 s0, 0x8000, v13
	v_lshlrev_b32_e32 v15, 2, v2
	v_cndmask_b32_e64 v14, 0x7fff, v13, s0
	s_sub_co_i32 s0, s3, s2
	s_delay_alu instid0(SALU_CYCLE_1) | instskip(NEXT) | instid1(VALU_DEP_1)
	s_min_u32 s0, s0, 8
	v_and_b32_e32 v14, 0xffff, v14
	s_delay_alu instid0(VALU_DEP_1) | instskip(NEXT) | instid1(VALU_DEP_1)
	v_lshrrev_b32_e32 v14, s2, v14
	v_bfe_u32 v14, v14, 0, s0
	s_delay_alu instid0(VALU_DEP_1)
	v_lshl_or_b32 v14, v14, 4, v15
	v_mov_b32_e32 v15, 1
	ds_add_u32 v14, v15
	v_mov_b32_e32 v14, 0
.LBB2137_73:
	s_or_b32 exec_lo, exec_lo, s10
	s_mov_b32 s10, -1
	s_mov_b32 s11, exec_lo
	s_delay_alu instid0(VALU_DEP_1)
	v_cmpx_gt_i32_e32 10, v14
; %bb.74:
	v_cmp_eq_u32_e64 s0, 0, v14
	s_or_not1_b32 s10, s0, exec_lo
; %bb.75:
	s_or_b32 exec_lo, exec_lo, s11
	s_and_saveexec_b32 s0, s10
	s_cbranch_execz .LBB2137_78
; %bb.76:
	s_add_co_i32 s10, s2, 8
	s_delay_alu instid0(SALU_CYCLE_1) | instskip(SKIP_2) | instid1(SALU_CYCLE_1)
	s_cmp_gt_u32 s3, s10
	s_cselect_b32 s11, -1, 0
	s_xor_b32 s12, vcc_lo, -1
	s_and_b32 s11, s11, s12
	s_delay_alu instid0(SALU_CYCLE_1)
	s_and_b32 exec_lo, exec_lo, s11
	s_cbranch_execz .LBB2137_78
; %bb.77:
	v_cmp_ne_u16_e32 vcc_lo, 0x8000, v13
	v_dual_cndmask_b32 v13, 0x7fff, v13 :: v_dual_lshlrev_b32 v14, 2, v2
	s_delay_alu instid0(VALU_DEP_1) | instskip(NEXT) | instid1(VALU_DEP_1)
	v_and_b32_e32 v13, 0xffff, v13
	v_lshrrev_b32_e32 v13, s10, v13
	s_sub_co_i32 s10, s3, s10
	s_delay_alu instid0(SALU_CYCLE_1)
	s_min_u32 s10, s10, 8
	s_delay_alu instid0(VALU_DEP_1) | instid1(SALU_CYCLE_1)
	v_bfe_u32 v13, v13, 0, s10
	s_delay_alu instid0(VALU_DEP_1)
	v_lshl_or_b32 v13, v13, 4, v14
	v_mov_b32_e32 v14, 1
	ds_add_u32 v13, v14 offset:4096
.LBB2137_78:
	s_or_b32 exec_lo, exec_lo, s0
	v_cmp_gt_i16_e32 vcc_lo, 0, v12
	v_cndmask_b32_e64 v13, 0x7fff, 0, vcc_lo
	v_cmp_le_u32_e32 vcc_lo, s1, v11
	s_delay_alu instid0(VALU_DEP_2) | instskip(SKIP_1) | instid1(SALU_CYCLE_1)
	v_dual_mov_b32 v12, s9 :: v_dual_bitop2_b32 v11, v13, v12 bitop3:0x14
	s_nor_b32 s0, s8, vcc_lo
	s_and_saveexec_b32 s10, s0
	s_cbranch_execz .LBB2137_80
; %bb.79:
	s_delay_alu instid0(VALU_DEP_1) | instskip(SKIP_1) | instid1(VALU_DEP_2)
	v_cmp_ne_u16_e64 s0, 0x8000, v11
	v_lshlrev_b32_e32 v13, 2, v2
	v_cndmask_b32_e64 v12, 0x7fff, v11, s0
	s_sub_co_i32 s0, s3, s2
	s_delay_alu instid0(SALU_CYCLE_1) | instskip(NEXT) | instid1(VALU_DEP_1)
	s_min_u32 s0, s0, 8
	v_and_b32_e32 v12, 0xffff, v12
	s_delay_alu instid0(VALU_DEP_1) | instskip(NEXT) | instid1(VALU_DEP_1)
	v_lshrrev_b32_e32 v12, s2, v12
	v_bfe_u32 v12, v12, 0, s0
	s_delay_alu instid0(VALU_DEP_1)
	v_lshl_or_b32 v12, v12, 4, v13
	v_mov_b32_e32 v13, 1
	ds_add_u32 v12, v13
	v_mov_b32_e32 v12, 0
.LBB2137_80:
	s_or_b32 exec_lo, exec_lo, s10
	s_mov_b32 s10, -1
	s_mov_b32 s11, exec_lo
	s_delay_alu instid0(VALU_DEP_1)
	v_cmpx_gt_i32_e32 10, v12
; %bb.81:
	v_cmp_eq_u32_e64 s0, 0, v12
	s_or_not1_b32 s10, s0, exec_lo
; %bb.82:
	s_or_b32 exec_lo, exec_lo, s11
	s_and_saveexec_b32 s0, s10
	s_cbranch_execz .LBB2137_85
; %bb.83:
	s_add_co_i32 s10, s2, 8
	s_delay_alu instid0(SALU_CYCLE_1) | instskip(SKIP_2) | instid1(SALU_CYCLE_1)
	s_cmp_gt_u32 s3, s10
	s_cselect_b32 s11, -1, 0
	s_xor_b32 s12, vcc_lo, -1
	s_and_b32 s11, s11, s12
	s_delay_alu instid0(SALU_CYCLE_1)
	s_and_b32 exec_lo, exec_lo, s11
	s_cbranch_execz .LBB2137_85
; %bb.84:
	v_cmp_ne_u16_e32 vcc_lo, 0x8000, v11
	v_dual_cndmask_b32 v11, 0x7fff, v11 :: v_dual_lshlrev_b32 v12, 2, v2
	s_delay_alu instid0(VALU_DEP_1) | instskip(NEXT) | instid1(VALU_DEP_1)
	v_and_b32_e32 v11, 0xffff, v11
	v_lshrrev_b32_e32 v11, s10, v11
	s_sub_co_i32 s10, s3, s10
	s_delay_alu instid0(SALU_CYCLE_1)
	s_min_u32 s10, s10, 8
	s_delay_alu instid0(VALU_DEP_1) | instid1(SALU_CYCLE_1)
	v_bfe_u32 v11, v11, 0, s10
	s_delay_alu instid0(VALU_DEP_1)
	v_lshl_or_b32 v11, v11, 4, v12
	v_mov_b32_e32 v12, 1
	ds_add_u32 v11, v12 offset:4096
.LBB2137_85:
	s_or_b32 exec_lo, exec_lo, s0
	v_cmp_gt_i16_e32 vcc_lo, 0, v10
	v_cndmask_b32_e64 v11, 0x7fff, 0, vcc_lo
	v_cmp_le_u32_e32 vcc_lo, s1, v9
	s_delay_alu instid0(VALU_DEP_2) | instskip(SKIP_1) | instid1(SALU_CYCLE_1)
	v_dual_mov_b32 v10, s9 :: v_dual_bitop2_b32 v9, v11, v10 bitop3:0x14
	s_nor_b32 s0, s8, vcc_lo
	s_and_saveexec_b32 s10, s0
	s_cbranch_execz .LBB2137_87
; %bb.86:
	s_delay_alu instid0(VALU_DEP_1) | instskip(SKIP_1) | instid1(VALU_DEP_2)
	v_cmp_ne_u16_e64 s0, 0x8000, v9
	v_lshlrev_b32_e32 v11, 2, v2
	v_cndmask_b32_e64 v10, 0x7fff, v9, s0
	s_sub_co_i32 s0, s3, s2
	s_delay_alu instid0(SALU_CYCLE_1) | instskip(NEXT) | instid1(VALU_DEP_1)
	s_min_u32 s0, s0, 8
	v_and_b32_e32 v10, 0xffff, v10
	s_delay_alu instid0(VALU_DEP_1) | instskip(NEXT) | instid1(VALU_DEP_1)
	v_lshrrev_b32_e32 v10, s2, v10
	v_bfe_u32 v10, v10, 0, s0
	s_delay_alu instid0(VALU_DEP_1)
	v_lshl_or_b32 v10, v10, 4, v11
	v_mov_b32_e32 v11, 1
	ds_add_u32 v10, v11
	v_mov_b32_e32 v10, 0
.LBB2137_87:
	s_or_b32 exec_lo, exec_lo, s10
	s_mov_b32 s10, -1
	s_mov_b32 s11, exec_lo
	s_delay_alu instid0(VALU_DEP_1)
	v_cmpx_gt_i32_e32 10, v10
; %bb.88:
	v_cmp_eq_u32_e64 s0, 0, v10
	s_or_not1_b32 s10, s0, exec_lo
; %bb.89:
	s_or_b32 exec_lo, exec_lo, s11
	s_and_saveexec_b32 s0, s10
	s_cbranch_execz .LBB2137_92
; %bb.90:
	s_add_co_i32 s10, s2, 8
	s_delay_alu instid0(SALU_CYCLE_1) | instskip(SKIP_2) | instid1(SALU_CYCLE_1)
	s_cmp_gt_u32 s3, s10
	s_cselect_b32 s11, -1, 0
	s_xor_b32 s12, vcc_lo, -1
	s_and_b32 s11, s11, s12
	s_delay_alu instid0(SALU_CYCLE_1)
	s_and_b32 exec_lo, exec_lo, s11
	s_cbranch_execz .LBB2137_92
; %bb.91:
	v_cmp_ne_u16_e32 vcc_lo, 0x8000, v9
	v_dual_cndmask_b32 v9, 0x7fff, v9 :: v_dual_lshlrev_b32 v10, 2, v2
	s_delay_alu instid0(VALU_DEP_1) | instskip(NEXT) | instid1(VALU_DEP_1)
	v_and_b32_e32 v9, 0xffff, v9
	v_lshrrev_b32_e32 v9, s10, v9
	s_sub_co_i32 s10, s3, s10
	s_delay_alu instid0(SALU_CYCLE_1)
	s_min_u32 s10, s10, 8
	s_delay_alu instid0(VALU_DEP_1) | instid1(SALU_CYCLE_1)
	v_bfe_u32 v9, v9, 0, s10
	s_delay_alu instid0(VALU_DEP_1)
	v_lshl_or_b32 v9, v9, 4, v10
	v_mov_b32_e32 v10, 1
	ds_add_u32 v9, v10 offset:4096
.LBB2137_92:
	s_or_b32 exec_lo, exec_lo, s0
	v_cmp_gt_i16_e32 vcc_lo, 0, v8
	v_cndmask_b32_e64 v9, 0x7fff, 0, vcc_lo
	v_cmp_le_u32_e32 vcc_lo, s1, v7
	s_delay_alu instid0(VALU_DEP_2) | instskip(SKIP_1) | instid1(SALU_CYCLE_1)
	v_dual_mov_b32 v8, s9 :: v_dual_bitop2_b32 v7, v9, v8 bitop3:0x14
	s_nor_b32 s0, s8, vcc_lo
	s_and_saveexec_b32 s10, s0
	s_cbranch_execz .LBB2137_94
; %bb.93:
	s_delay_alu instid0(VALU_DEP_1) | instskip(SKIP_1) | instid1(VALU_DEP_2)
	v_cmp_ne_u16_e64 s0, 0x8000, v7
	v_lshlrev_b32_e32 v9, 2, v2
	v_cndmask_b32_e64 v8, 0x7fff, v7, s0
	s_sub_co_i32 s0, s3, s2
	s_delay_alu instid0(SALU_CYCLE_1) | instskip(NEXT) | instid1(VALU_DEP_1)
	s_min_u32 s0, s0, 8
	v_and_b32_e32 v8, 0xffff, v8
	s_delay_alu instid0(VALU_DEP_1) | instskip(NEXT) | instid1(VALU_DEP_1)
	v_lshrrev_b32_e32 v8, s2, v8
	v_bfe_u32 v8, v8, 0, s0
	s_delay_alu instid0(VALU_DEP_1)
	v_lshl_or_b32 v8, v8, 4, v9
	v_mov_b32_e32 v9, 1
	ds_add_u32 v8, v9
	v_mov_b32_e32 v8, 0
.LBB2137_94:
	s_or_b32 exec_lo, exec_lo, s10
	s_mov_b32 s10, -1
	s_mov_b32 s11, exec_lo
	s_delay_alu instid0(VALU_DEP_1)
	v_cmpx_gt_i32_e32 10, v8
; %bb.95:
	v_cmp_eq_u32_e64 s0, 0, v8
	s_or_not1_b32 s10, s0, exec_lo
; %bb.96:
	s_or_b32 exec_lo, exec_lo, s11
	s_and_saveexec_b32 s0, s10
	s_cbranch_execz .LBB2137_99
; %bb.97:
	s_add_co_i32 s10, s2, 8
	s_delay_alu instid0(SALU_CYCLE_1) | instskip(SKIP_2) | instid1(SALU_CYCLE_1)
	s_cmp_gt_u32 s3, s10
	s_cselect_b32 s11, -1, 0
	s_xor_b32 s12, vcc_lo, -1
	s_and_b32 s11, s11, s12
	s_delay_alu instid0(SALU_CYCLE_1)
	s_and_b32 exec_lo, exec_lo, s11
	s_cbranch_execz .LBB2137_99
; %bb.98:
	v_cmp_ne_u16_e32 vcc_lo, 0x8000, v7
	v_dual_cndmask_b32 v7, 0x7fff, v7 :: v_dual_lshlrev_b32 v8, 2, v2
	s_delay_alu instid0(VALU_DEP_1) | instskip(NEXT) | instid1(VALU_DEP_1)
	v_and_b32_e32 v7, 0xffff, v7
	v_lshrrev_b32_e32 v7, s10, v7
	s_sub_co_i32 s10, s3, s10
	s_delay_alu instid0(SALU_CYCLE_1)
	s_min_u32 s10, s10, 8
	s_delay_alu instid0(VALU_DEP_1) | instid1(SALU_CYCLE_1)
	v_bfe_u32 v7, v7, 0, s10
	s_delay_alu instid0(VALU_DEP_1)
	v_lshl_or_b32 v7, v7, 4, v8
	v_mov_b32_e32 v8, 1
	ds_add_u32 v7, v8 offset:4096
.LBB2137_99:
	s_or_b32 exec_lo, exec_lo, s0
	v_cmp_gt_i16_e32 vcc_lo, 0, v6
	v_cndmask_b32_e64 v7, 0x7fff, 0, vcc_lo
	v_cmp_le_u32_e32 vcc_lo, s1, v5
	s_delay_alu instid0(VALU_DEP_2) | instskip(SKIP_1) | instid1(SALU_CYCLE_1)
	v_dual_mov_b32 v6, s9 :: v_dual_bitop2_b32 v5, v7, v6 bitop3:0x14
	s_nor_b32 s0, s8, vcc_lo
	s_and_saveexec_b32 s10, s0
	s_cbranch_execz .LBB2137_101
; %bb.100:
	s_delay_alu instid0(VALU_DEP_1) | instskip(SKIP_1) | instid1(VALU_DEP_2)
	v_cmp_ne_u16_e64 s0, 0x8000, v5
	v_lshlrev_b32_e32 v7, 2, v2
	v_cndmask_b32_e64 v6, 0x7fff, v5, s0
	s_sub_co_i32 s0, s3, s2
	s_delay_alu instid0(SALU_CYCLE_1) | instskip(NEXT) | instid1(VALU_DEP_1)
	s_min_u32 s0, s0, 8
	v_and_b32_e32 v6, 0xffff, v6
	s_delay_alu instid0(VALU_DEP_1) | instskip(NEXT) | instid1(VALU_DEP_1)
	v_lshrrev_b32_e32 v6, s2, v6
	v_bfe_u32 v6, v6, 0, s0
	s_delay_alu instid0(VALU_DEP_1)
	v_lshl_or_b32 v6, v6, 4, v7
	v_mov_b32_e32 v7, 1
	ds_add_u32 v6, v7
	v_mov_b32_e32 v6, 0
.LBB2137_101:
	s_or_b32 exec_lo, exec_lo, s10
	s_mov_b32 s10, -1
	s_mov_b32 s11, exec_lo
	s_delay_alu instid0(VALU_DEP_1)
	v_cmpx_gt_i32_e32 10, v6
; %bb.102:
	v_cmp_eq_u32_e64 s0, 0, v6
	s_or_not1_b32 s10, s0, exec_lo
; %bb.103:
	s_or_b32 exec_lo, exec_lo, s11
	s_and_saveexec_b32 s0, s10
	s_cbranch_execz .LBB2137_106
; %bb.104:
	s_add_co_i32 s10, s2, 8
	s_delay_alu instid0(SALU_CYCLE_1) | instskip(SKIP_2) | instid1(SALU_CYCLE_1)
	s_cmp_gt_u32 s3, s10
	s_cselect_b32 s11, -1, 0
	s_xor_b32 s12, vcc_lo, -1
	s_and_b32 s11, s11, s12
	s_delay_alu instid0(SALU_CYCLE_1)
	s_and_b32 exec_lo, exec_lo, s11
	s_cbranch_execz .LBB2137_106
; %bb.105:
	v_cmp_ne_u16_e32 vcc_lo, 0x8000, v5
	v_dual_cndmask_b32 v5, 0x7fff, v5 :: v_dual_lshlrev_b32 v6, 2, v2
	s_delay_alu instid0(VALU_DEP_1) | instskip(NEXT) | instid1(VALU_DEP_1)
	v_and_b32_e32 v5, 0xffff, v5
	v_lshrrev_b32_e32 v5, s10, v5
	s_sub_co_i32 s10, s3, s10
	s_delay_alu instid0(SALU_CYCLE_1)
	s_min_u32 s10, s10, 8
	s_delay_alu instid0(VALU_DEP_1) | instid1(SALU_CYCLE_1)
	v_bfe_u32 v5, v5, 0, s10
	s_delay_alu instid0(VALU_DEP_1)
	v_lshl_or_b32 v5, v5, 4, v6
	v_mov_b32_e32 v6, 1
	ds_add_u32 v5, v6 offset:4096
.LBB2137_106:
	s_or_b32 exec_lo, exec_lo, s0
	v_cmp_gt_i16_e32 vcc_lo, 0, v4
	v_cndmask_b32_e64 v5, 0x7fff, 0, vcc_lo
	v_cmp_le_u32_e32 vcc_lo, s1, v3
	s_delay_alu instid0(VALU_DEP_2) | instskip(SKIP_1) | instid1(SALU_CYCLE_1)
	v_dual_mov_b32 v4, s9 :: v_dual_bitop2_b32 v3, v5, v4 bitop3:0x14
	s_nor_b32 s0, s8, vcc_lo
	s_and_saveexec_b32 s1, s0
	s_cbranch_execz .LBB2137_108
; %bb.107:
	s_delay_alu instid0(VALU_DEP_1) | instskip(SKIP_1) | instid1(VALU_DEP_2)
	v_cmp_ne_u16_e64 s0, 0x8000, v3
	v_lshlrev_b32_e32 v5, 2, v2
	v_cndmask_b32_e64 v4, 0x7fff, v3, s0
	s_sub_co_i32 s0, s3, s2
	s_delay_alu instid0(SALU_CYCLE_1) | instskip(NEXT) | instid1(VALU_DEP_1)
	s_min_u32 s0, s0, 8
	v_and_b32_e32 v4, 0xffff, v4
	s_delay_alu instid0(VALU_DEP_1) | instskip(NEXT) | instid1(VALU_DEP_1)
	v_lshrrev_b32_e32 v4, s2, v4
	v_bfe_u32 v4, v4, 0, s0
	s_delay_alu instid0(VALU_DEP_1)
	v_lshl_or_b32 v4, v4, 4, v5
	v_mov_b32_e32 v5, 1
	ds_add_u32 v4, v5
	v_mov_b32_e32 v4, 0
.LBB2137_108:
	s_or_b32 exec_lo, exec_lo, s1
	s_mov_b32 s1, -1
	s_mov_b32 s8, exec_lo
	s_delay_alu instid0(VALU_DEP_1)
	v_cmpx_gt_i32_e32 10, v4
; %bb.109:
	v_cmp_eq_u32_e64 s0, 0, v4
	s_or_not1_b32 s1, s0, exec_lo
; %bb.110:
	s_or_b32 exec_lo, exec_lo, s8
	s_and_saveexec_b32 s0, s1
	s_cbranch_execz .LBB2137_113
; %bb.111:
	s_add_co_i32 s1, s2, 8
	s_delay_alu instid0(SALU_CYCLE_1) | instskip(SKIP_2) | instid1(SALU_CYCLE_1)
	s_cmp_gt_u32 s3, s1
	s_cselect_b32 s8, -1, 0
	s_xor_b32 s9, vcc_lo, -1
	s_and_b32 s8, s8, s9
	s_delay_alu instid0(SALU_CYCLE_1)
	s_and_b32 exec_lo, exec_lo, s8
	s_cbranch_execz .LBB2137_113
; %bb.112:
	v_cmp_ne_u16_e32 vcc_lo, 0x8000, v3
	v_dual_cndmask_b32 v3, 0x7fff, v3 :: v_dual_lshlrev_b32 v2, 2, v2
	s_delay_alu instid0(VALU_DEP_1) | instskip(NEXT) | instid1(VALU_DEP_1)
	v_and_b32_e32 v3, 0xffff, v3
	v_lshrrev_b32_e32 v3, s1, v3
	s_sub_co_i32 s1, s3, s1
	s_delay_alu instid0(SALU_CYCLE_1)
	s_min_u32 s1, s1, 8
	s_delay_alu instid0(VALU_DEP_1) | instid1(SALU_CYCLE_1)
	v_bfe_u32 v3, v3, 0, s1
	s_delay_alu instid0(VALU_DEP_1)
	v_lshl_or_b32 v2, v3, 4, v2
	v_mov_b32_e32 v3, 1
	ds_add_u32 v2, v3 offset:4096
.LBB2137_113:
	s_or_b32 exec_lo, exec_lo, s0
	s_cmp_gt_u32 s3, s2
	s_wait_dscnt 0x0
	s_barrier_signal -1
	s_barrier_wait -1
	s_cbranch_scc0 .LBB2137_118
; %bb.114:
	v_mad_u32_u24 v1, v0, 12, v1
	v_dual_mov_b32 v3, 0 :: v_dual_mov_b32 v4, v0
	s_mov_b32 s0, s2
	v_cmp_gt_u32_e32 vcc_lo, 0x100, v0
	s_branch .LBB2137_116
.LBB2137_115:                           ;   in Loop: Header=BB2137_116 Depth=1
	s_wait_xcnt 0x0
	s_or_b32 exec_lo, exec_lo, s1
	v_add_nc_u32_e32 v4, 0x100, v4
	v_add_nc_u32_e32 v1, 0x1000, v1
	s_add_co_i32 s0, s0, 8
	s_delay_alu instid0(SALU_CYCLE_1)
	s_cmp_lt_u32 s0, s3
	s_cbranch_scc0 .LBB2137_118
.LBB2137_116:                           ; =>This Inner Loop Header: Depth=1
	s_and_saveexec_b32 s1, vcc_lo
	s_cbranch_execz .LBB2137_115
; %bb.117:                              ;   in Loop: Header=BB2137_116 Depth=1
	ds_load_2addr_b32 v[6:7], v1 offset1:1
	ds_load_2addr_b32 v[8:9], v1 offset0:2 offset1:3
	s_wait_dscnt 0x1
	v_add_nc_u32_e32 v2, v7, v6
	s_wait_dscnt 0x0
	s_delay_alu instid0(VALU_DEP_1)
	v_add3_u32 v2, v2, v8, v9
	global_atomic_add_u64 v4, v[2:3], s[6:7] scale_offset scope:SCOPE_DEV
	s_branch .LBB2137_115
.LBB2137_118:
	s_mov_b32 s9, 0
.LBB2137_119:
	s_delay_alu instid0(SALU_CYCLE_1)
	s_and_b32 vcc_lo, exec_lo, s9
	s_cbranch_vccz .LBB2137_164
; %bb.120:
	s_clause 0xb
	global_load_u16 v12, v0, s[4:5] scale_offset
	global_load_u16 v13, v0, s[4:5] offset:1024 scale_offset
	global_load_u16 v14, v0, s[4:5] offset:2048 scale_offset
	;; [unrolled: 1-line block ×11, first 2 shown]
	s_cmp_eq_u32 s2, 0
	v_dual_mov_b32 v2, 0 :: v_dual_lshlrev_b32 v15, 2, v0
	s_cselect_b32 s0, -1, 0
	s_cmp_eq_u32 s3, 16
	s_wait_xcnt 0x0
	v_cmp_gt_u32_e64 s4, 3, 1
	s_cselect_b32 s1, -1, 0
	s_delay_alu instid0(SALU_CYCLE_1)
	s_and_b32 s0, s0, s1
	s_mov_b32 s1, -1
	s_and_b32 vcc_lo, exec_lo, s0
	v_cmp_gt_u32_e64 s0, 3, 2
	s_cbranch_vccnz .LBB2137_157
; %bb.121:
	ds_store_2addr_stride64_b32 v15, v2, v2 offset1:8
	s_and_saveexec_b32 s1, s4
; %bb.122:
	v_mov_b32_e32 v2, 0
	ds_store_b32 v15, v2 offset:4096
; %bb.123:
	s_or_b32 exec_lo, exec_lo, s1
	s_and_saveexec_b32 s1, s0
; %bb.124:
	v_mov_b32_e32 v2, 0
	ds_store_b32 v15, v2 offset:6144
; %bb.125:
	s_or_b32 exec_lo, exec_lo, s1
	s_cmp_gt_u32 s3, s2
	s_wait_storecnt 0x0
	s_wait_loadcnt_dscnt 0x0
	s_cselect_b32 s1, -1, 0
	s_barrier_signal -1
	s_and_b32 vcc_lo, exec_lo, s1
	s_barrier_wait -1
	s_cbranch_vccz .LBB2137_151
; %bb.126:
	v_cmp_gt_i16_e32 vcc_lo, 0, v12
	s_sub_co_i32 s0, s3, s2
	s_add_co_i32 s4, s2, 8
	s_min_u32 s0, s0, 8
	s_mov_b32 s9, -1
	v_cndmask_b32_e64 v2, 0x7fff, 0, vcc_lo
	s_lshl_b32 s0, -1, s0
	v_mov_b32_e32 v18, 1
	s_not_b32 s5, s0
	s_cmp_le_u32 s3, s4
	v_xor_b32_e32 v2, v2, v12
	s_cselect_b32 s8, -1, 0
	s_delay_alu instid0(VALU_DEP_1) | instskip(SKIP_2) | instid1(VALU_DEP_2)
	v_cmp_ne_u16_e32 vcc_lo, 0x8000, v2
	v_cndmask_b32_e32 v2, 0x7fff, v2, vcc_lo
	v_cmp_gt_i16_e32 vcc_lo, 0, v13
	v_and_b32_e32 v16, 0xffff, v2
	v_and_b32_e32 v2, 3, v0
	s_delay_alu instid0(VALU_DEP_1) | instskip(NEXT) | instid1(VALU_DEP_1)
	v_dual_lshrrev_b32 v17, s2, v16 :: v_dual_lshlrev_b32 v3, 2, v2
	v_bitop3_b32 v17, v17, s0, v17 bitop3:0x30
	s_delay_alu instid0(VALU_DEP_1) | instskip(SKIP_3) | instid1(VALU_DEP_1)
	v_lshl_or_b32 v17, v17, 4, v3
	ds_add_u32 v17, v18
	v_cndmask_b32_e64 v17, 0x7fff, 0, vcc_lo
	s_and_b32 vcc_lo, exec_lo, s8
                                        ; implicit-def: $vgpr18
	v_xor_b32_e32 v17, v17, v13
	s_delay_alu instid0(VALU_DEP_1)
	v_cmp_ne_u16_e64 s0, 0x8000, v17
	s_cbranch_vccz .LBB2137_128
; %bb.127:
	v_cndmask_b32_e64 v18, 0x7fff, v17, s0
	s_mov_b32 s9, 0
	s_delay_alu instid0(VALU_DEP_1) | instskip(NEXT) | instid1(VALU_DEP_1)
	v_and_b32_e32 v18, 0xffff, v18
	v_lshrrev_b32_e32 v18, s2, v18
	s_delay_alu instid0(VALU_DEP_1) | instskip(NEXT) | instid1(VALU_DEP_1)
	v_and_b32_e32 v18, s5, v18
	v_lshlrev_b32_e32 v18, 4, v18
.LBB2137_128:
	s_and_not1_b32 vcc_lo, exec_lo, s9
	s_cbranch_vccnz .LBB2137_130
; %bb.129:
	v_cmp_ne_u16_e32 vcc_lo, 0x8000, v17
	s_sub_co_i32 s0, s3, s4
	v_mov_b32_e32 v19, 1
	s_min_u32 s0, s0, 8
	v_cndmask_b32_e32 v17, 0x7fff, v17, vcc_lo
	s_lshl_b32 s0, -1, s0
	s_delay_alu instid0(VALU_DEP_1) | instskip(NEXT) | instid1(VALU_DEP_1)
	v_and_b32_e32 v17, 0xffff, v17
	v_dual_lshrrev_b32 v16, s4, v16 :: v_dual_lshrrev_b32 v18, s2, v17
	s_delay_alu instid0(VALU_DEP_1) | instskip(NEXT) | instid1(VALU_DEP_2)
	v_bitop3_b32 v16, v16, s0, v16 bitop3:0x30
	v_and_b32_e32 v18, s5, v18
	s_delay_alu instid0(VALU_DEP_2) | instskip(NEXT) | instid1(VALU_DEP_2)
	v_lshl_or_b32 v16, v16, 4, v3
	v_lshl_or_b32 v18, v18, 4, v3
	ds_add_u32 v16, v19 offset:4096
	ds_add_u32 v18, v19
	v_lshrrev_b32_e32 v16, s4, v17
	s_delay_alu instid0(VALU_DEP_1) | instskip(NEXT) | instid1(VALU_DEP_1)
	v_bitop3_b32 v16, v16, s0, v16 bitop3:0x30
	v_lshl_add_u32 v18, v16, 4, 0x1000
.LBB2137_130:
	v_cmp_gt_i16_e32 vcc_lo, 0, v14
	s_mov_b32 s9, 0
	s_delay_alu instid0(VALU_DEP_2) | instskip(SKIP_1) | instid1(VALU_DEP_1)
	v_dual_mov_b32 v19, 1 :: v_dual_add_nc_u32 v18, v18, v3
	v_cndmask_b32_e64 v16, 0x7fff, 0, vcc_lo
	v_xor_b32_e32 v16, v16, v14
	s_delay_alu instid0(VALU_DEP_1) | instskip(SKIP_2) | instid1(VALU_DEP_2)
	v_cmp_ne_u16_e32 vcc_lo, 0x8000, v16
	v_cndmask_b32_e32 v16, 0x7fff, v16, vcc_lo
	v_cmp_gt_i16_e32 vcc_lo, 0, v7
	v_and_b32_e32 v16, 0xffff, v16
	s_delay_alu instid0(VALU_DEP_1) | instskip(NEXT) | instid1(VALU_DEP_1)
	v_lshrrev_b32_e32 v17, s2, v16
	v_and_b32_e32 v17, s5, v17
	s_delay_alu instid0(VALU_DEP_1) | instskip(SKIP_4) | instid1(VALU_DEP_1)
	v_lshl_or_b32 v17, v17, 4, v3
	ds_add_u32 v18, v19
	ds_add_u32 v17, v19
	v_cndmask_b32_e64 v17, 0x7fff, 0, vcc_lo
	s_and_b32 vcc_lo, exec_lo, s8
	v_xor_b32_e32 v17, v17, v7
	s_delay_alu instid0(VALU_DEP_1)
	v_cmp_ne_u16_e64 s0, 0x8000, v17
	s_cbranch_vccz .LBB2137_132
; %bb.131:
	v_cndmask_b32_e64 v18, 0x7fff, v17, s0
	s_delay_alu instid0(VALU_DEP_1) | instskip(NEXT) | instid1(VALU_DEP_1)
	v_and_b32_e32 v18, 0xffff, v18
	v_lshrrev_b32_e32 v18, s2, v18
	s_delay_alu instid0(VALU_DEP_1) | instskip(NEXT) | instid1(VALU_DEP_1)
	v_and_b32_e32 v18, s5, v18
	v_lshlrev_b32_e32 v18, 4, v18
	s_and_not1_b32 vcc_lo, exec_lo, s9
	s_cbranch_vccz .LBB2137_133
	s_branch .LBB2137_134
.LBB2137_132:
                                        ; implicit-def: $vgpr18
.LBB2137_133:
	v_cmp_ne_u16_e32 vcc_lo, 0x8000, v17
	s_sub_co_i32 s0, s3, s4
	v_mov_b32_e32 v19, 1
	s_min_u32 s0, s0, 8
	v_cndmask_b32_e32 v17, 0x7fff, v17, vcc_lo
	s_lshl_b32 s0, -1, s0
	s_delay_alu instid0(VALU_DEP_1) | instskip(NEXT) | instid1(VALU_DEP_1)
	v_and_b32_e32 v17, 0xffff, v17
	v_dual_lshrrev_b32 v16, s4, v16 :: v_dual_lshrrev_b32 v18, s2, v17
	s_delay_alu instid0(VALU_DEP_1) | instskip(NEXT) | instid1(VALU_DEP_2)
	v_bitop3_b32 v16, v16, s0, v16 bitop3:0x30
	v_and_b32_e32 v18, s5, v18
	s_delay_alu instid0(VALU_DEP_2) | instskip(NEXT) | instid1(VALU_DEP_2)
	v_lshl_or_b32 v16, v16, 4, v3
	v_lshl_or_b32 v18, v18, 4, v3
	ds_add_u32 v16, v19 offset:4096
	ds_add_u32 v18, v19
	v_lshrrev_b32_e32 v16, s4, v17
	s_delay_alu instid0(VALU_DEP_1) | instskip(NEXT) | instid1(VALU_DEP_1)
	v_bitop3_b32 v16, v16, s0, v16 bitop3:0x30
	v_lshl_add_u32 v18, v16, 4, 0x1000
.LBB2137_134:
	v_cmp_gt_i16_e32 vcc_lo, 0, v8
	s_mov_b32 s9, 0
	s_delay_alu instid0(VALU_DEP_2) | instskip(SKIP_1) | instid1(VALU_DEP_1)
	v_dual_mov_b32 v19, 1 :: v_dual_add_nc_u32 v18, v18, v3
	v_cndmask_b32_e64 v16, 0x7fff, 0, vcc_lo
	v_xor_b32_e32 v16, v16, v8
	s_delay_alu instid0(VALU_DEP_1) | instskip(SKIP_2) | instid1(VALU_DEP_2)
	v_cmp_ne_u16_e32 vcc_lo, 0x8000, v16
	v_cndmask_b32_e32 v16, 0x7fff, v16, vcc_lo
	v_cmp_gt_i16_e32 vcc_lo, 0, v9
	v_and_b32_e32 v16, 0xffff, v16
	s_delay_alu instid0(VALU_DEP_1) | instskip(NEXT) | instid1(VALU_DEP_1)
	v_lshrrev_b32_e32 v17, s2, v16
	v_and_b32_e32 v17, s5, v17
	s_delay_alu instid0(VALU_DEP_1) | instskip(SKIP_4) | instid1(VALU_DEP_1)
	v_lshl_or_b32 v17, v17, 4, v3
	ds_add_u32 v18, v19
	ds_add_u32 v17, v19
	v_cndmask_b32_e64 v17, 0x7fff, 0, vcc_lo
	s_and_b32 vcc_lo, exec_lo, s8
	v_xor_b32_e32 v17, v17, v9
	s_delay_alu instid0(VALU_DEP_1)
	v_cmp_ne_u16_e64 s0, 0x8000, v17
	s_cbranch_vccz .LBB2137_136
; %bb.135:
	v_cndmask_b32_e64 v18, 0x7fff, v17, s0
	s_delay_alu instid0(VALU_DEP_1) | instskip(NEXT) | instid1(VALU_DEP_1)
	v_and_b32_e32 v18, 0xffff, v18
	v_lshrrev_b32_e32 v18, s2, v18
	s_delay_alu instid0(VALU_DEP_1) | instskip(NEXT) | instid1(VALU_DEP_1)
	v_and_b32_e32 v18, s5, v18
	v_lshlrev_b32_e32 v18, 4, v18
	s_and_not1_b32 vcc_lo, exec_lo, s9
	s_cbranch_vccz .LBB2137_137
	s_branch .LBB2137_138
.LBB2137_136:
                                        ; implicit-def: $vgpr18
.LBB2137_137:
	v_cmp_ne_u16_e32 vcc_lo, 0x8000, v17
	s_sub_co_i32 s0, s3, s4
	v_mov_b32_e32 v19, 1
	s_min_u32 s0, s0, 8
	v_cndmask_b32_e32 v17, 0x7fff, v17, vcc_lo
	s_lshl_b32 s0, -1, s0
	s_delay_alu instid0(VALU_DEP_1) | instskip(NEXT) | instid1(VALU_DEP_1)
	v_and_b32_e32 v17, 0xffff, v17
	v_dual_lshrrev_b32 v16, s4, v16 :: v_dual_lshrrev_b32 v18, s2, v17
	s_delay_alu instid0(VALU_DEP_1) | instskip(NEXT) | instid1(VALU_DEP_2)
	v_bitop3_b32 v16, v16, s0, v16 bitop3:0x30
	v_and_b32_e32 v18, s5, v18
	s_delay_alu instid0(VALU_DEP_2) | instskip(NEXT) | instid1(VALU_DEP_2)
	v_lshl_or_b32 v16, v16, 4, v3
	v_lshl_or_b32 v18, v18, 4, v3
	ds_add_u32 v16, v19 offset:4096
	ds_add_u32 v18, v19
	v_lshrrev_b32_e32 v16, s4, v17
	s_delay_alu instid0(VALU_DEP_1) | instskip(NEXT) | instid1(VALU_DEP_1)
	v_bitop3_b32 v16, v16, s0, v16 bitop3:0x30
	v_lshl_add_u32 v18, v16, 4, 0x1000
.LBB2137_138:
	v_cmp_gt_i16_e32 vcc_lo, 0, v10
	s_mov_b32 s9, 0
	s_delay_alu instid0(VALU_DEP_2) | instskip(SKIP_1) | instid1(VALU_DEP_1)
	v_dual_mov_b32 v19, 1 :: v_dual_add_nc_u32 v18, v18, v3
	v_cndmask_b32_e64 v16, 0x7fff, 0, vcc_lo
	v_xor_b32_e32 v16, v16, v10
	s_delay_alu instid0(VALU_DEP_1) | instskip(SKIP_2) | instid1(VALU_DEP_2)
	v_cmp_ne_u16_e32 vcc_lo, 0x8000, v16
	v_cndmask_b32_e32 v16, 0x7fff, v16, vcc_lo
	v_cmp_gt_i16_e32 vcc_lo, 0, v11
	v_and_b32_e32 v16, 0xffff, v16
	s_delay_alu instid0(VALU_DEP_1) | instskip(NEXT) | instid1(VALU_DEP_1)
	v_lshrrev_b32_e32 v17, s2, v16
	v_and_b32_e32 v17, s5, v17
	s_delay_alu instid0(VALU_DEP_1) | instskip(SKIP_4) | instid1(VALU_DEP_1)
	v_lshl_or_b32 v17, v17, 4, v3
	ds_add_u32 v18, v19
	ds_add_u32 v17, v19
	v_cndmask_b32_e64 v17, 0x7fff, 0, vcc_lo
	s_and_b32 vcc_lo, exec_lo, s8
	v_xor_b32_e32 v17, v17, v11
	s_delay_alu instid0(VALU_DEP_1)
	v_cmp_ne_u16_e64 s0, 0x8000, v17
	s_cbranch_vccz .LBB2137_140
; %bb.139:
	v_cndmask_b32_e64 v18, 0x7fff, v17, s0
	s_delay_alu instid0(VALU_DEP_1) | instskip(NEXT) | instid1(VALU_DEP_1)
	v_and_b32_e32 v18, 0xffff, v18
	v_lshrrev_b32_e32 v18, s2, v18
	s_delay_alu instid0(VALU_DEP_1) | instskip(NEXT) | instid1(VALU_DEP_1)
	v_and_b32_e32 v18, s5, v18
	v_lshlrev_b32_e32 v18, 4, v18
	s_and_not1_b32 vcc_lo, exec_lo, s9
	s_cbranch_vccz .LBB2137_141
	s_branch .LBB2137_142
.LBB2137_140:
                                        ; implicit-def: $vgpr18
.LBB2137_141:
	v_cmp_ne_u16_e32 vcc_lo, 0x8000, v17
	s_sub_co_i32 s0, s3, s4
	v_mov_b32_e32 v19, 1
	s_min_u32 s0, s0, 8
	v_cndmask_b32_e32 v17, 0x7fff, v17, vcc_lo
	s_lshl_b32 s0, -1, s0
	s_delay_alu instid0(VALU_DEP_1) | instskip(NEXT) | instid1(VALU_DEP_1)
	v_and_b32_e32 v17, 0xffff, v17
	v_dual_lshrrev_b32 v16, s4, v16 :: v_dual_lshrrev_b32 v18, s2, v17
	s_delay_alu instid0(VALU_DEP_1) | instskip(NEXT) | instid1(VALU_DEP_2)
	v_bitop3_b32 v16, v16, s0, v16 bitop3:0x30
	v_and_b32_e32 v18, s5, v18
	s_delay_alu instid0(VALU_DEP_2) | instskip(NEXT) | instid1(VALU_DEP_2)
	v_lshl_or_b32 v16, v16, 4, v3
	v_lshl_or_b32 v18, v18, 4, v3
	ds_add_u32 v16, v19 offset:4096
	ds_add_u32 v18, v19
	v_lshrrev_b32_e32 v16, s4, v17
	s_delay_alu instid0(VALU_DEP_1) | instskip(NEXT) | instid1(VALU_DEP_1)
	v_bitop3_b32 v16, v16, s0, v16 bitop3:0x30
	v_lshl_add_u32 v18, v16, 4, 0x1000
.LBB2137_142:
	v_cmp_gt_i16_e32 vcc_lo, 0, v5
	s_mov_b32 s9, 0
	s_delay_alu instid0(VALU_DEP_2) | instskip(SKIP_1) | instid1(VALU_DEP_1)
	v_dual_mov_b32 v19, 1 :: v_dual_add_nc_u32 v18, v18, v3
	v_cndmask_b32_e64 v16, 0x7fff, 0, vcc_lo
	v_xor_b32_e32 v16, v16, v5
	s_delay_alu instid0(VALU_DEP_1) | instskip(SKIP_2) | instid1(VALU_DEP_2)
	v_cmp_ne_u16_e32 vcc_lo, 0x8000, v16
	v_cndmask_b32_e32 v16, 0x7fff, v16, vcc_lo
	v_cmp_gt_i16_e32 vcc_lo, 0, v6
	v_and_b32_e32 v16, 0xffff, v16
	s_delay_alu instid0(VALU_DEP_1) | instskip(NEXT) | instid1(VALU_DEP_1)
	v_lshrrev_b32_e32 v17, s2, v16
	v_and_b32_e32 v17, s5, v17
	s_delay_alu instid0(VALU_DEP_1) | instskip(SKIP_4) | instid1(VALU_DEP_1)
	v_lshl_or_b32 v17, v17, 4, v3
	ds_add_u32 v18, v19
	ds_add_u32 v17, v19
	v_cndmask_b32_e64 v17, 0x7fff, 0, vcc_lo
	s_and_b32 vcc_lo, exec_lo, s8
	v_xor_b32_e32 v17, v17, v6
	s_delay_alu instid0(VALU_DEP_1)
	v_cmp_ne_u16_e64 s0, 0x8000, v17
	s_cbranch_vccz .LBB2137_144
; %bb.143:
	v_cndmask_b32_e64 v18, 0x7fff, v17, s0
	s_delay_alu instid0(VALU_DEP_1) | instskip(NEXT) | instid1(VALU_DEP_1)
	v_and_b32_e32 v18, 0xffff, v18
	v_lshrrev_b32_e32 v18, s2, v18
	s_delay_alu instid0(VALU_DEP_1) | instskip(NEXT) | instid1(VALU_DEP_1)
	v_and_b32_e32 v18, s5, v18
	v_lshlrev_b32_e32 v18, 4, v18
	s_and_not1_b32 vcc_lo, exec_lo, s9
	s_cbranch_vccz .LBB2137_145
	s_branch .LBB2137_146
.LBB2137_144:
                                        ; implicit-def: $vgpr18
.LBB2137_145:
	v_cmp_ne_u16_e32 vcc_lo, 0x8000, v17
	s_sub_co_i32 s0, s3, s4
	v_mov_b32_e32 v19, 1
	s_min_u32 s0, s0, 8
	v_cndmask_b32_e32 v17, 0x7fff, v17, vcc_lo
	s_lshl_b32 s0, -1, s0
	s_delay_alu instid0(VALU_DEP_1) | instskip(NEXT) | instid1(VALU_DEP_1)
	v_and_b32_e32 v17, 0xffff, v17
	v_dual_lshrrev_b32 v16, s4, v16 :: v_dual_lshrrev_b32 v18, s2, v17
	s_delay_alu instid0(VALU_DEP_1) | instskip(NEXT) | instid1(VALU_DEP_2)
	v_bitop3_b32 v16, v16, s0, v16 bitop3:0x30
	v_and_b32_e32 v18, s5, v18
	s_delay_alu instid0(VALU_DEP_2) | instskip(NEXT) | instid1(VALU_DEP_2)
	v_lshl_or_b32 v16, v16, 4, v3
	v_lshl_or_b32 v18, v18, 4, v3
	ds_add_u32 v16, v19 offset:4096
	ds_add_u32 v18, v19
	v_lshrrev_b32_e32 v16, s4, v17
	s_delay_alu instid0(VALU_DEP_1) | instskip(NEXT) | instid1(VALU_DEP_1)
	v_bitop3_b32 v16, v16, s0, v16 bitop3:0x30
	v_lshl_add_u32 v18, v16, 4, 0x1000
.LBB2137_146:
	v_cmp_gt_i16_e32 vcc_lo, 0, v4
	s_delay_alu instid0(VALU_DEP_2) | instskip(SKIP_1) | instid1(VALU_DEP_1)
	v_dual_mov_b32 v19, 1 :: v_dual_add_nc_u32 v18, v18, v3
	v_cndmask_b32_e64 v16, 0x7fff, 0, vcc_lo
	v_xor_b32_e32 v16, v16, v4
	s_delay_alu instid0(VALU_DEP_1) | instskip(SKIP_2) | instid1(VALU_DEP_2)
	v_cmp_ne_u16_e32 vcc_lo, 0x8000, v16
	v_cndmask_b32_e32 v16, 0x7fff, v16, vcc_lo
	v_cmp_gt_i16_e32 vcc_lo, 0, v1
	v_and_b32_e32 v16, 0xffff, v16
	s_delay_alu instid0(VALU_DEP_1) | instskip(NEXT) | instid1(VALU_DEP_1)
	v_lshrrev_b32_e32 v17, s2, v16
	v_and_b32_e32 v17, s5, v17
	s_delay_alu instid0(VALU_DEP_1)
	v_lshl_or_b32 v17, v17, 4, v3
	ds_add_u32 v18, v19
	ds_add_u32 v17, v19
	v_cndmask_b32_e64 v17, 0x7fff, 0, vcc_lo
	s_and_b32 vcc_lo, exec_lo, s8
	s_mov_b32 s8, 0
	s_delay_alu instid0(VALU_DEP_1) | instskip(NEXT) | instid1(VALU_DEP_1)
	v_xor_b32_e32 v17, v17, v1
	v_cmp_ne_u16_e64 s0, 0x8000, v17
	s_cbranch_vccz .LBB2137_148
; %bb.147:
	v_cndmask_b32_e64 v18, 0x7fff, v17, s0
	s_delay_alu instid0(VALU_DEP_1) | instskip(NEXT) | instid1(VALU_DEP_1)
	v_and_b32_e32 v18, 0xffff, v18
	v_lshrrev_b32_e32 v18, s2, v18
	s_delay_alu instid0(VALU_DEP_1) | instskip(NEXT) | instid1(VALU_DEP_1)
	v_and_b32_e32 v18, s5, v18
	v_lshlrev_b32_e32 v18, 4, v18
	s_and_not1_b32 vcc_lo, exec_lo, s8
	s_cbranch_vccz .LBB2137_149
	s_branch .LBB2137_150
.LBB2137_148:
                                        ; implicit-def: $vgpr18
.LBB2137_149:
	v_cmp_ne_u16_e32 vcc_lo, 0x8000, v17
	s_sub_co_i32 s0, s3, s4
	v_mov_b32_e32 v19, 1
	s_min_u32 s0, s0, 8
	v_cndmask_b32_e32 v17, 0x7fff, v17, vcc_lo
	s_lshl_b32 s0, -1, s0
	s_delay_alu instid0(VALU_DEP_1) | instskip(NEXT) | instid1(VALU_DEP_1)
	v_and_b32_e32 v17, 0xffff, v17
	v_dual_lshrrev_b32 v16, s4, v16 :: v_dual_lshrrev_b32 v18, s2, v17
	s_delay_alu instid0(VALU_DEP_1) | instskip(NEXT) | instid1(VALU_DEP_2)
	v_bitop3_b32 v16, v16, s0, v16 bitop3:0x30
	v_and_b32_e32 v18, s5, v18
	s_delay_alu instid0(VALU_DEP_2) | instskip(NEXT) | instid1(VALU_DEP_2)
	v_lshl_or_b32 v16, v16, 4, v3
	v_lshl_or_b32 v3, v18, 4, v3
	ds_add_u32 v16, v19 offset:4096
	ds_add_u32 v3, v19
	v_lshrrev_b32_e32 v3, s4, v17
	s_delay_alu instid0(VALU_DEP_1) | instskip(NEXT) | instid1(VALU_DEP_1)
	v_bitop3_b32 v3, v3, s0, v3 bitop3:0x30
	v_lshl_add_u32 v18, v3, 4, 0x1000
.LBB2137_150:
	s_delay_alu instid0(VALU_DEP_1)
	v_lshl_add_u32 v2, v2, 2, v18
	v_mov_b32_e32 v3, 1
	ds_add_u32 v2, v3
.LBB2137_151:
	s_and_b32 vcc_lo, exec_lo, s1
	s_wait_dscnt 0x0
	s_barrier_signal -1
	s_barrier_wait -1
	s_cbranch_vccz .LBB2137_156
; %bb.152:
	v_dual_mov_b32 v3, 0 :: v_dual_lshlrev_b32 v16, 4, v0
	v_mov_b32_e32 v17, v0
	v_cmp_gt_u32_e32 vcc_lo, 0x100, v0
	s_branch .LBB2137_154
.LBB2137_153:                           ;   in Loop: Header=BB2137_154 Depth=1
	s_wait_xcnt 0x0
	s_or_b32 exec_lo, exec_lo, s0
	v_add_nc_u32_e32 v17, 0x100, v17
	v_add_nc_u32_e32 v16, 0x1000, v16
	s_add_co_i32 s2, s2, 8
	s_delay_alu instid0(SALU_CYCLE_1)
	s_cmp_ge_u32 s2, s3
	s_cbranch_scc1 .LBB2137_156
.LBB2137_154:                           ; =>This Inner Loop Header: Depth=1
	s_and_saveexec_b32 s0, vcc_lo
	s_cbranch_execz .LBB2137_153
; %bb.155:                              ;   in Loop: Header=BB2137_154 Depth=1
	ds_load_2addr_b32 v[18:19], v16 offset1:1
	ds_load_2addr_b32 v[20:21], v16 offset0:2 offset1:3
	s_wait_dscnt 0x1
	v_add_nc_u32_e32 v2, v19, v18
	s_wait_dscnt 0x0
	s_delay_alu instid0(VALU_DEP_1)
	v_add3_u32 v2, v2, v20, v21
	global_atomic_add_u64 v17, v[2:3], s[6:7] scale_offset scope:SCOPE_DEV
	s_branch .LBB2137_153
.LBB2137_156:
	s_mov_b32 s1, 0
.LBB2137_157:
	s_delay_alu instid0(SALU_CYCLE_1)
	s_and_b32 vcc_lo, exec_lo, s1
	s_cbranch_vccz .LBB2137_164
; %bb.158:
	v_mov_b32_e32 v2, 0
	v_cmp_gt_u32_e64 s0, 3, 2
	s_mov_b32 s1, exec_lo
	ds_store_2addr_stride64_b32 v15, v2, v2 offset1:8
	v_cmpx_gt_u32_e64 3, 1
; %bb.159:
	ds_store_b32 v15, v2 offset:4096
; %bb.160:
	s_or_b32 exec_lo, exec_lo, s1
	s_and_saveexec_b32 s1, s0
; %bb.161:
	v_mov_b32_e32 v2, 0
	ds_store_b32 v15, v2 offset:6144
; %bb.162:
	s_or_b32 exec_lo, exec_lo, s1
	s_wait_loadcnt 0xb
	v_cmp_gt_i16_e32 vcc_lo, 0, v12
	s_wait_storecnt 0x0
	s_wait_loadcnt_dscnt 0x0
	s_barrier_signal -1
	s_barrier_wait -1
	v_cndmask_b32_e64 v2, 0x7fff, 0, vcc_lo
	v_cmp_gt_i16_e32 vcc_lo, 0, v13
	s_mov_b32 s0, exec_lo
	s_delay_alu instid0(VALU_DEP_2) | instskip(SKIP_2) | instid1(VALU_DEP_2)
	v_xor_b32_e32 v2, v2, v12
	v_cndmask_b32_e64 v3, 0x7fff, 0, vcc_lo
	v_cmp_gt_i16_e32 vcc_lo, 0, v14
	v_xor_b32_e32 v3, v3, v13
	v_cndmask_b32_e64 v15, 0x7fff, 0, vcc_lo
	v_cmp_gt_i16_e32 vcc_lo, 0, v7
	s_delay_alu instid0(VALU_DEP_2) | instskip(SKIP_2) | instid1(VALU_DEP_2)
	v_xor_b32_e32 v12, v15, v14
	v_cndmask_b32_e64 v13, 0x7fff, 0, vcc_lo
	v_cmp_gt_i16_e32 vcc_lo, 0, v8
	v_xor_b32_e32 v7, v13, v7
	v_cndmask_b32_e64 v14, 0x7fff, 0, vcc_lo
	v_cmp_gt_i16_e32 vcc_lo, 0, v9
	;; [unrolled: 7-line block ×3, first 2 shown]
	v_cndmask_b32_e64 v17, 0x7fff, 0, vcc_lo
	v_cmp_gt_i16_e32 vcc_lo, 0, v5
	v_cndmask_b32_e64 v13, 0x7fff, 0, vcc_lo
	v_cmp_gt_i16_e32 vcc_lo, 0, v6
	s_delay_alu instid0(VALU_DEP_2) | instskip(SKIP_2) | instid1(VALU_DEP_2)
	v_xor_b32_e32 v5, v13, v5
	v_and_b32_e32 v13, 3, v0
	v_cndmask_b32_e64 v14, 0x7fff, 0, vcc_lo
	v_lshlrev_b32_e32 v13, 2, v13
	v_cmp_ne_u16_e32 vcc_lo, 0x8000, v2
	s_delay_alu instid0(VALU_DEP_3) | instskip(SKIP_2) | instid1(VALU_DEP_2)
	v_xor_b32_e32 v6, v14, v6
	v_cndmask_b32_e32 v2, 0x7fff, v2, vcc_lo
	v_cmp_gt_i16_e32 vcc_lo, 0, v4
	v_and_b32_e32 v2, 0xffff, v2
	v_cndmask_b32_e64 v15, 0x7fff, 0, vcc_lo
	v_cmp_gt_i16_e32 vcc_lo, 0, v1
	s_delay_alu instid0(VALU_DEP_2) | instskip(SKIP_3) | instid1(VALU_DEP_3)
	v_xor_b32_e32 v4, v15, v4
	v_cndmask_b32_e64 v14, 0x7fff, 0, vcc_lo
	v_lshlrev_b32_e32 v15, 4, v2
	v_cmp_ne_u16_e32 vcc_lo, 0x8000, v3
	v_dual_lshrrev_b32 v2, 4, v2 :: v_dual_bitop2_b32 v1, v14, v1 bitop3:0x14
	s_delay_alu instid0(VALU_DEP_3)
	v_and_or_b32 v14, 0xff0, v15, v13
	v_cndmask_b32_e32 v3, 0x7fff, v3, vcc_lo
	v_mov_b32_e32 v15, 1
	v_cmp_ne_u16_e32 vcc_lo, 0x8000, v12
	v_and_or_b32 v2, 0xff0, v2, v13
	ds_add_u32 v14, v15
	ds_add_u32 v2, v15 offset:4096
	v_and_b32_e32 v3, 0xffff, v3
	v_cndmask_b32_e32 v12, 0x7fff, v12, vcc_lo
	v_cmp_ne_u16_e32 vcc_lo, 0x8000, v7
	s_delay_alu instid0(VALU_DEP_3) | instskip(NEXT) | instid1(VALU_DEP_3)
	v_lshlrev_b32_e32 v2, 4, v3
	v_and_b32_e32 v12, 0xffff, v12
	v_cndmask_b32_e32 v7, 0x7fff, v7, vcc_lo
	v_dual_lshrrev_b32 v3, 4, v3 :: v_dual_bitop2_b32 v10, v16, v10 bitop3:0x14
	v_xor_b32_e32 v11, v17, v11
	v_and_or_b32 v2, 0xff0, v2, v13
	v_dual_lshlrev_b32 v14, 4, v12 :: v_dual_lshrrev_b32 v12, 4, v12
	v_and_b32_e32 v7, 0xffff, v7
	v_cmp_ne_u16_e32 vcc_lo, 0x8000, v8
	v_and_or_b32 v3, 0xff0, v3, v13
	ds_add_u32 v2, v15
	ds_add_u32 v3, v15 offset:4096
	v_and_or_b32 v2, 0xff0, v14, v13
	v_and_or_b32 v3, 0xff0, v12, v13
	v_dual_lshlrev_b32 v12, 4, v7 :: v_dual_lshrrev_b32 v7, 4, v7
	v_cndmask_b32_e32 v8, 0x7fff, v8, vcc_lo
	v_cmp_ne_u16_e32 vcc_lo, 0x8000, v9
	ds_add_u32 v2, v15
	ds_add_u32 v3, v15 offset:4096
	v_and_or_b32 v2, 0xff0, v12, v13
	v_and_or_b32 v3, 0xff0, v7, v13
	v_and_b32_e32 v7, 0xffff, v8
	v_cndmask_b32_e32 v8, 0x7fff, v9, vcc_lo
	ds_add_u32 v2, v15
	ds_add_u32 v3, v15 offset:4096
	v_cmp_ne_u16_e32 vcc_lo, 0x8000, v10
	v_dual_lshlrev_b32 v2, 4, v7 :: v_dual_lshrrev_b32 v3, 4, v7
	v_and_b32_e32 v7, 0xffff, v8
	v_cndmask_b32_e32 v8, 0x7fff, v10, vcc_lo
	s_delay_alu instid0(VALU_DEP_3) | instskip(SKIP_1) | instid1(VALU_DEP_4)
	v_and_or_b32 v2, 0xff0, v2, v13
	v_cmp_ne_u16_e32 vcc_lo, 0x8000, v11
	v_lshlrev_b32_e32 v9, 4, v7
	v_and_or_b32 v3, 0xff0, v3, v13
	v_lshrrev_b32_e32 v7, 4, v7
	v_and_b32_e32 v8, 0xffff, v8
	ds_add_u32 v2, v15
	ds_add_u32 v3, v15 offset:4096
	v_and_or_b32 v2, 0xff0, v9, v13
	v_cndmask_b32_e32 v9, 0x7fff, v11, vcc_lo
	v_cmp_ne_u16_e32 vcc_lo, 0x8000, v5
	v_and_or_b32 v3, 0xff0, v7, v13
	ds_add_u32 v2, v15
	ds_add_u32 v3, v15 offset:4096
	v_cndmask_b32_e32 v5, 0x7fff, v5, vcc_lo
	v_cmp_ne_u16_e32 vcc_lo, 0x8000, v6
	v_dual_lshlrev_b32 v7, 4, v8 :: v_dual_lshrrev_b32 v8, 4, v8
	v_cndmask_b32_e32 v6, 0x7fff, v6, vcc_lo
	s_delay_alu instid0(VALU_DEP_2) | instskip(SKIP_1) | instid1(VALU_DEP_4)
	v_and_or_b32 v2, 0xff0, v7, v13
	v_and_b32_e32 v7, 0xffff, v9
	v_and_or_b32 v3, 0xff0, v8, v13
	ds_add_u32 v2, v15
	ds_add_u32 v3, v15 offset:4096
	v_lshlrev_b32_e32 v2, 4, v7
	v_and_b32_e32 v5, 0xffff, v5
	v_lshrrev_b32_e32 v3, 4, v7
	v_cmp_ne_u16_e32 vcc_lo, 0x8000, v4
	v_and_b32_e32 v6, 0xffff, v6
	v_and_or_b32 v2, 0xff0, v2, v13
	v_lshlrev_b32_e32 v7, 4, v5
	v_and_or_b32 v3, 0xff0, v3, v13
	v_dual_cndmask_b32 v4, 0x7fff, v4 :: v_dual_lshrrev_b32 v5, 4, v5
	v_cmp_ne_u16_e32 vcc_lo, 0x8000, v1
	ds_add_u32 v2, v15
	ds_add_u32 v3, v15 offset:4096
	v_and_or_b32 v2, 0xff0, v7, v13
	v_and_or_b32 v3, 0xff0, v5, v13
	v_lshlrev_b32_e32 v5, 4, v6
	v_cndmask_b32_e32 v1, 0x7fff, v1, vcc_lo
	ds_add_u32 v2, v15
	ds_add_u32 v3, v15 offset:4096
	v_lshrrev_b32_e32 v3, 4, v6
	v_and_b32_e32 v2, 0xffff, v4
	v_and_or_b32 v5, 0xff0, v5, v13
	v_and_b32_e32 v1, 0xffff, v1
	s_delay_alu instid0(VALU_DEP_4) | instskip(NEXT) | instid1(VALU_DEP_4)
	v_and_or_b32 v3, 0xff0, v3, v13
	v_dual_lshlrev_b32 v4, 4, v2 :: v_dual_lshrrev_b32 v2, 4, v2
	ds_add_u32 v5, v15
	v_dual_lshlrev_b32 v5, 4, v1 :: v_dual_lshrrev_b32 v1, 4, v1
	v_and_or_b32 v4, 0xff0, v4, v13
	v_and_or_b32 v2, 0xff0, v2, v13
	s_delay_alu instid0(VALU_DEP_3) | instskip(NEXT) | instid1(VALU_DEP_4)
	v_and_or_b32 v5, 0xff0, v5, v13
	v_and_or_b32 v1, 0xff0, v1, v13
	ds_add_u32 v3, v15 offset:4096
	ds_add_u32 v4, v15
	ds_add_u32 v2, v15 offset:4096
	ds_add_u32 v5, v15
	ds_add_u32 v1, v15 offset:4096
	s_wait_dscnt 0x0
	s_barrier_signal -1
	s_barrier_wait -1
	v_cmpx_gt_u32_e32 0x100, v0
	s_cbranch_execz .LBB2137_164
; %bb.163:
	v_lshlrev_b32_e32 v1, 4, v0
	ds_load_2addr_b32 v[2:3], v1 offset1:1
	ds_load_2addr_b32 v[4:5], v1 offset0:2 offset1:3
	s_wait_dscnt 0x1
	v_dual_mov_b32 v3, 0 :: v_dual_add_nc_u32 v2, v3, v2
	s_wait_dscnt 0x0
	s_delay_alu instid0(VALU_DEP_1)
	v_add3_u32 v2, v2, v4, v5
	v_add_nc_u32_e32 v4, 0x1000, v1
	v_add_nc_u32_e32 v1, 0x1008, v1
	global_atomic_add_u64 v0, v[2:3], s[6:7] scale_offset scope:SCOPE_DEV
	ds_load_2addr_b32 v[4:5], v4 offset1:1
	ds_load_2addr_b32 v[6:7], v1 offset1:1
	s_wait_dscnt 0x1
	v_add_nc_u32_e32 v1, v5, v4
	s_wait_dscnt 0x0
	s_wait_xcnt 0x0
	s_delay_alu instid0(VALU_DEP_1)
	v_add3_u32 v2, v1, v6, v7
	global_atomic_add_u64 v0, v[2:3], s[6:7] offset:2048 scale_offset scope:SCOPE_DEV
.LBB2137_164:
	s_endpgm
	.section	.rodata,"a",@progbits
	.p2align	6, 0x0
	.amdhsa_kernel _ZN7rocprim17ROCPRIM_400000_NS6detail17trampoline_kernelINS0_14default_configENS1_35radix_sort_onesweep_config_selectorI6__halfNS0_10empty_typeEEEZNS1_34radix_sort_onesweep_global_offsetsIS3_Lb1EPKS5_PS6_mNS0_19identity_decomposerEEE10hipError_tT1_T2_PT3_SG_jT4_jjP12ihipStream_tbEUlT_E_NS1_11comp_targetILNS1_3genE0ELNS1_11target_archE4294967295ELNS1_3gpuE0ELNS1_3repE0EEENS1_52radix_sort_onesweep_histogram_config_static_selectorELNS0_4arch9wavefront6targetE0EEEvSE_
		.amdhsa_group_segment_fixed_size 8192
		.amdhsa_private_segment_fixed_size 0
		.amdhsa_kernarg_size 48
		.amdhsa_user_sgpr_count 2
		.amdhsa_user_sgpr_dispatch_ptr 0
		.amdhsa_user_sgpr_queue_ptr 0
		.amdhsa_user_sgpr_kernarg_segment_ptr 1
		.amdhsa_user_sgpr_dispatch_id 0
		.amdhsa_user_sgpr_kernarg_preload_length 0
		.amdhsa_user_sgpr_kernarg_preload_offset 0
		.amdhsa_user_sgpr_private_segment_size 0
		.amdhsa_wavefront_size32 1
		.amdhsa_uses_dynamic_stack 0
		.amdhsa_enable_private_segment 0
		.amdhsa_system_sgpr_workgroup_id_x 1
		.amdhsa_system_sgpr_workgroup_id_y 0
		.amdhsa_system_sgpr_workgroup_id_z 0
		.amdhsa_system_sgpr_workgroup_info 0
		.amdhsa_system_vgpr_workitem_id 0
		.amdhsa_next_free_vgpr 28
		.amdhsa_next_free_sgpr 13
		.amdhsa_named_barrier_count 0
		.amdhsa_reserve_vcc 1
		.amdhsa_float_round_mode_32 0
		.amdhsa_float_round_mode_16_64 0
		.amdhsa_float_denorm_mode_32 3
		.amdhsa_float_denorm_mode_16_64 3
		.amdhsa_fp16_overflow 0
		.amdhsa_memory_ordered 1
		.amdhsa_forward_progress 1
		.amdhsa_inst_pref_size 68
		.amdhsa_round_robin_scheduling 0
		.amdhsa_exception_fp_ieee_invalid_op 0
		.amdhsa_exception_fp_denorm_src 0
		.amdhsa_exception_fp_ieee_div_zero 0
		.amdhsa_exception_fp_ieee_overflow 0
		.amdhsa_exception_fp_ieee_underflow 0
		.amdhsa_exception_fp_ieee_inexact 0
		.amdhsa_exception_int_div_zero 0
	.end_amdhsa_kernel
	.section	.text._ZN7rocprim17ROCPRIM_400000_NS6detail17trampoline_kernelINS0_14default_configENS1_35radix_sort_onesweep_config_selectorI6__halfNS0_10empty_typeEEEZNS1_34radix_sort_onesweep_global_offsetsIS3_Lb1EPKS5_PS6_mNS0_19identity_decomposerEEE10hipError_tT1_T2_PT3_SG_jT4_jjP12ihipStream_tbEUlT_E_NS1_11comp_targetILNS1_3genE0ELNS1_11target_archE4294967295ELNS1_3gpuE0ELNS1_3repE0EEENS1_52radix_sort_onesweep_histogram_config_static_selectorELNS0_4arch9wavefront6targetE0EEEvSE_,"axG",@progbits,_ZN7rocprim17ROCPRIM_400000_NS6detail17trampoline_kernelINS0_14default_configENS1_35radix_sort_onesweep_config_selectorI6__halfNS0_10empty_typeEEEZNS1_34radix_sort_onesweep_global_offsetsIS3_Lb1EPKS5_PS6_mNS0_19identity_decomposerEEE10hipError_tT1_T2_PT3_SG_jT4_jjP12ihipStream_tbEUlT_E_NS1_11comp_targetILNS1_3genE0ELNS1_11target_archE4294967295ELNS1_3gpuE0ELNS1_3repE0EEENS1_52radix_sort_onesweep_histogram_config_static_selectorELNS0_4arch9wavefront6targetE0EEEvSE_,comdat
.Lfunc_end2137:
	.size	_ZN7rocprim17ROCPRIM_400000_NS6detail17trampoline_kernelINS0_14default_configENS1_35radix_sort_onesweep_config_selectorI6__halfNS0_10empty_typeEEEZNS1_34radix_sort_onesweep_global_offsetsIS3_Lb1EPKS5_PS6_mNS0_19identity_decomposerEEE10hipError_tT1_T2_PT3_SG_jT4_jjP12ihipStream_tbEUlT_E_NS1_11comp_targetILNS1_3genE0ELNS1_11target_archE4294967295ELNS1_3gpuE0ELNS1_3repE0EEENS1_52radix_sort_onesweep_histogram_config_static_selectorELNS0_4arch9wavefront6targetE0EEEvSE_, .Lfunc_end2137-_ZN7rocprim17ROCPRIM_400000_NS6detail17trampoline_kernelINS0_14default_configENS1_35radix_sort_onesweep_config_selectorI6__halfNS0_10empty_typeEEEZNS1_34radix_sort_onesweep_global_offsetsIS3_Lb1EPKS5_PS6_mNS0_19identity_decomposerEEE10hipError_tT1_T2_PT3_SG_jT4_jjP12ihipStream_tbEUlT_E_NS1_11comp_targetILNS1_3genE0ELNS1_11target_archE4294967295ELNS1_3gpuE0ELNS1_3repE0EEENS1_52radix_sort_onesweep_histogram_config_static_selectorELNS0_4arch9wavefront6targetE0EEEvSE_
                                        ; -- End function
	.set _ZN7rocprim17ROCPRIM_400000_NS6detail17trampoline_kernelINS0_14default_configENS1_35radix_sort_onesweep_config_selectorI6__halfNS0_10empty_typeEEEZNS1_34radix_sort_onesweep_global_offsetsIS3_Lb1EPKS5_PS6_mNS0_19identity_decomposerEEE10hipError_tT1_T2_PT3_SG_jT4_jjP12ihipStream_tbEUlT_E_NS1_11comp_targetILNS1_3genE0ELNS1_11target_archE4294967295ELNS1_3gpuE0ELNS1_3repE0EEENS1_52radix_sort_onesweep_histogram_config_static_selectorELNS0_4arch9wavefront6targetE0EEEvSE_.num_vgpr, 28
	.set _ZN7rocprim17ROCPRIM_400000_NS6detail17trampoline_kernelINS0_14default_configENS1_35radix_sort_onesweep_config_selectorI6__halfNS0_10empty_typeEEEZNS1_34radix_sort_onesweep_global_offsetsIS3_Lb1EPKS5_PS6_mNS0_19identity_decomposerEEE10hipError_tT1_T2_PT3_SG_jT4_jjP12ihipStream_tbEUlT_E_NS1_11comp_targetILNS1_3genE0ELNS1_11target_archE4294967295ELNS1_3gpuE0ELNS1_3repE0EEENS1_52radix_sort_onesweep_histogram_config_static_selectorELNS0_4arch9wavefront6targetE0EEEvSE_.num_agpr, 0
	.set _ZN7rocprim17ROCPRIM_400000_NS6detail17trampoline_kernelINS0_14default_configENS1_35radix_sort_onesweep_config_selectorI6__halfNS0_10empty_typeEEEZNS1_34radix_sort_onesweep_global_offsetsIS3_Lb1EPKS5_PS6_mNS0_19identity_decomposerEEE10hipError_tT1_T2_PT3_SG_jT4_jjP12ihipStream_tbEUlT_E_NS1_11comp_targetILNS1_3genE0ELNS1_11target_archE4294967295ELNS1_3gpuE0ELNS1_3repE0EEENS1_52radix_sort_onesweep_histogram_config_static_selectorELNS0_4arch9wavefront6targetE0EEEvSE_.numbered_sgpr, 13
	.set _ZN7rocprim17ROCPRIM_400000_NS6detail17trampoline_kernelINS0_14default_configENS1_35radix_sort_onesweep_config_selectorI6__halfNS0_10empty_typeEEEZNS1_34radix_sort_onesweep_global_offsetsIS3_Lb1EPKS5_PS6_mNS0_19identity_decomposerEEE10hipError_tT1_T2_PT3_SG_jT4_jjP12ihipStream_tbEUlT_E_NS1_11comp_targetILNS1_3genE0ELNS1_11target_archE4294967295ELNS1_3gpuE0ELNS1_3repE0EEENS1_52radix_sort_onesweep_histogram_config_static_selectorELNS0_4arch9wavefront6targetE0EEEvSE_.num_named_barrier, 0
	.set _ZN7rocprim17ROCPRIM_400000_NS6detail17trampoline_kernelINS0_14default_configENS1_35radix_sort_onesweep_config_selectorI6__halfNS0_10empty_typeEEEZNS1_34radix_sort_onesweep_global_offsetsIS3_Lb1EPKS5_PS6_mNS0_19identity_decomposerEEE10hipError_tT1_T2_PT3_SG_jT4_jjP12ihipStream_tbEUlT_E_NS1_11comp_targetILNS1_3genE0ELNS1_11target_archE4294967295ELNS1_3gpuE0ELNS1_3repE0EEENS1_52radix_sort_onesweep_histogram_config_static_selectorELNS0_4arch9wavefront6targetE0EEEvSE_.private_seg_size, 0
	.set _ZN7rocprim17ROCPRIM_400000_NS6detail17trampoline_kernelINS0_14default_configENS1_35radix_sort_onesweep_config_selectorI6__halfNS0_10empty_typeEEEZNS1_34radix_sort_onesweep_global_offsetsIS3_Lb1EPKS5_PS6_mNS0_19identity_decomposerEEE10hipError_tT1_T2_PT3_SG_jT4_jjP12ihipStream_tbEUlT_E_NS1_11comp_targetILNS1_3genE0ELNS1_11target_archE4294967295ELNS1_3gpuE0ELNS1_3repE0EEENS1_52radix_sort_onesweep_histogram_config_static_selectorELNS0_4arch9wavefront6targetE0EEEvSE_.uses_vcc, 1
	.set _ZN7rocprim17ROCPRIM_400000_NS6detail17trampoline_kernelINS0_14default_configENS1_35radix_sort_onesweep_config_selectorI6__halfNS0_10empty_typeEEEZNS1_34radix_sort_onesweep_global_offsetsIS3_Lb1EPKS5_PS6_mNS0_19identity_decomposerEEE10hipError_tT1_T2_PT3_SG_jT4_jjP12ihipStream_tbEUlT_E_NS1_11comp_targetILNS1_3genE0ELNS1_11target_archE4294967295ELNS1_3gpuE0ELNS1_3repE0EEENS1_52radix_sort_onesweep_histogram_config_static_selectorELNS0_4arch9wavefront6targetE0EEEvSE_.uses_flat_scratch, 0
	.set _ZN7rocprim17ROCPRIM_400000_NS6detail17trampoline_kernelINS0_14default_configENS1_35radix_sort_onesweep_config_selectorI6__halfNS0_10empty_typeEEEZNS1_34radix_sort_onesweep_global_offsetsIS3_Lb1EPKS5_PS6_mNS0_19identity_decomposerEEE10hipError_tT1_T2_PT3_SG_jT4_jjP12ihipStream_tbEUlT_E_NS1_11comp_targetILNS1_3genE0ELNS1_11target_archE4294967295ELNS1_3gpuE0ELNS1_3repE0EEENS1_52radix_sort_onesweep_histogram_config_static_selectorELNS0_4arch9wavefront6targetE0EEEvSE_.has_dyn_sized_stack, 0
	.set _ZN7rocprim17ROCPRIM_400000_NS6detail17trampoline_kernelINS0_14default_configENS1_35radix_sort_onesweep_config_selectorI6__halfNS0_10empty_typeEEEZNS1_34radix_sort_onesweep_global_offsetsIS3_Lb1EPKS5_PS6_mNS0_19identity_decomposerEEE10hipError_tT1_T2_PT3_SG_jT4_jjP12ihipStream_tbEUlT_E_NS1_11comp_targetILNS1_3genE0ELNS1_11target_archE4294967295ELNS1_3gpuE0ELNS1_3repE0EEENS1_52radix_sort_onesweep_histogram_config_static_selectorELNS0_4arch9wavefront6targetE0EEEvSE_.has_recursion, 0
	.set _ZN7rocprim17ROCPRIM_400000_NS6detail17trampoline_kernelINS0_14default_configENS1_35radix_sort_onesweep_config_selectorI6__halfNS0_10empty_typeEEEZNS1_34radix_sort_onesweep_global_offsetsIS3_Lb1EPKS5_PS6_mNS0_19identity_decomposerEEE10hipError_tT1_T2_PT3_SG_jT4_jjP12ihipStream_tbEUlT_E_NS1_11comp_targetILNS1_3genE0ELNS1_11target_archE4294967295ELNS1_3gpuE0ELNS1_3repE0EEENS1_52radix_sort_onesweep_histogram_config_static_selectorELNS0_4arch9wavefront6targetE0EEEvSE_.has_indirect_call, 0
	.section	.AMDGPU.csdata,"",@progbits
; Kernel info:
; codeLenInByte = 8668
; TotalNumSgprs: 15
; NumVgprs: 28
; ScratchSize: 0
; MemoryBound: 0
; FloatMode: 240
; IeeeMode: 1
; LDSByteSize: 8192 bytes/workgroup (compile time only)
; SGPRBlocks: 0
; VGPRBlocks: 1
; NumSGPRsForWavesPerEU: 15
; NumVGPRsForWavesPerEU: 28
; NamedBarCnt: 0
; Occupancy: 16
; WaveLimiterHint : 1
; COMPUTE_PGM_RSRC2:SCRATCH_EN: 0
; COMPUTE_PGM_RSRC2:USER_SGPR: 2
; COMPUTE_PGM_RSRC2:TRAP_HANDLER: 0
; COMPUTE_PGM_RSRC2:TGID_X_EN: 1
; COMPUTE_PGM_RSRC2:TGID_Y_EN: 0
; COMPUTE_PGM_RSRC2:TGID_Z_EN: 0
; COMPUTE_PGM_RSRC2:TIDIG_COMP_CNT: 0
	.section	.text._ZN7rocprim17ROCPRIM_400000_NS6detail17trampoline_kernelINS0_14default_configENS1_35radix_sort_onesweep_config_selectorI6__halfNS0_10empty_typeEEEZNS1_34radix_sort_onesweep_global_offsetsIS3_Lb1EPKS5_PS6_mNS0_19identity_decomposerEEE10hipError_tT1_T2_PT3_SG_jT4_jjP12ihipStream_tbEUlT_E_NS1_11comp_targetILNS1_3genE6ELNS1_11target_archE950ELNS1_3gpuE13ELNS1_3repE0EEENS1_52radix_sort_onesweep_histogram_config_static_selectorELNS0_4arch9wavefront6targetE0EEEvSE_,"axG",@progbits,_ZN7rocprim17ROCPRIM_400000_NS6detail17trampoline_kernelINS0_14default_configENS1_35radix_sort_onesweep_config_selectorI6__halfNS0_10empty_typeEEEZNS1_34radix_sort_onesweep_global_offsetsIS3_Lb1EPKS5_PS6_mNS0_19identity_decomposerEEE10hipError_tT1_T2_PT3_SG_jT4_jjP12ihipStream_tbEUlT_E_NS1_11comp_targetILNS1_3genE6ELNS1_11target_archE950ELNS1_3gpuE13ELNS1_3repE0EEENS1_52radix_sort_onesweep_histogram_config_static_selectorELNS0_4arch9wavefront6targetE0EEEvSE_,comdat
	.protected	_ZN7rocprim17ROCPRIM_400000_NS6detail17trampoline_kernelINS0_14default_configENS1_35radix_sort_onesweep_config_selectorI6__halfNS0_10empty_typeEEEZNS1_34radix_sort_onesweep_global_offsetsIS3_Lb1EPKS5_PS6_mNS0_19identity_decomposerEEE10hipError_tT1_T2_PT3_SG_jT4_jjP12ihipStream_tbEUlT_E_NS1_11comp_targetILNS1_3genE6ELNS1_11target_archE950ELNS1_3gpuE13ELNS1_3repE0EEENS1_52radix_sort_onesweep_histogram_config_static_selectorELNS0_4arch9wavefront6targetE0EEEvSE_ ; -- Begin function _ZN7rocprim17ROCPRIM_400000_NS6detail17trampoline_kernelINS0_14default_configENS1_35radix_sort_onesweep_config_selectorI6__halfNS0_10empty_typeEEEZNS1_34radix_sort_onesweep_global_offsetsIS3_Lb1EPKS5_PS6_mNS0_19identity_decomposerEEE10hipError_tT1_T2_PT3_SG_jT4_jjP12ihipStream_tbEUlT_E_NS1_11comp_targetILNS1_3genE6ELNS1_11target_archE950ELNS1_3gpuE13ELNS1_3repE0EEENS1_52radix_sort_onesweep_histogram_config_static_selectorELNS0_4arch9wavefront6targetE0EEEvSE_
	.globl	_ZN7rocprim17ROCPRIM_400000_NS6detail17trampoline_kernelINS0_14default_configENS1_35radix_sort_onesweep_config_selectorI6__halfNS0_10empty_typeEEEZNS1_34radix_sort_onesweep_global_offsetsIS3_Lb1EPKS5_PS6_mNS0_19identity_decomposerEEE10hipError_tT1_T2_PT3_SG_jT4_jjP12ihipStream_tbEUlT_E_NS1_11comp_targetILNS1_3genE6ELNS1_11target_archE950ELNS1_3gpuE13ELNS1_3repE0EEENS1_52radix_sort_onesweep_histogram_config_static_selectorELNS0_4arch9wavefront6targetE0EEEvSE_
	.p2align	8
	.type	_ZN7rocprim17ROCPRIM_400000_NS6detail17trampoline_kernelINS0_14default_configENS1_35radix_sort_onesweep_config_selectorI6__halfNS0_10empty_typeEEEZNS1_34radix_sort_onesweep_global_offsetsIS3_Lb1EPKS5_PS6_mNS0_19identity_decomposerEEE10hipError_tT1_T2_PT3_SG_jT4_jjP12ihipStream_tbEUlT_E_NS1_11comp_targetILNS1_3genE6ELNS1_11target_archE950ELNS1_3gpuE13ELNS1_3repE0EEENS1_52radix_sort_onesweep_histogram_config_static_selectorELNS0_4arch9wavefront6targetE0EEEvSE_,@function
_ZN7rocprim17ROCPRIM_400000_NS6detail17trampoline_kernelINS0_14default_configENS1_35radix_sort_onesweep_config_selectorI6__halfNS0_10empty_typeEEEZNS1_34radix_sort_onesweep_global_offsetsIS3_Lb1EPKS5_PS6_mNS0_19identity_decomposerEEE10hipError_tT1_T2_PT3_SG_jT4_jjP12ihipStream_tbEUlT_E_NS1_11comp_targetILNS1_3genE6ELNS1_11target_archE950ELNS1_3gpuE13ELNS1_3repE0EEENS1_52radix_sort_onesweep_histogram_config_static_selectorELNS0_4arch9wavefront6targetE0EEEvSE_: ; @_ZN7rocprim17ROCPRIM_400000_NS6detail17trampoline_kernelINS0_14default_configENS1_35radix_sort_onesweep_config_selectorI6__halfNS0_10empty_typeEEEZNS1_34radix_sort_onesweep_global_offsetsIS3_Lb1EPKS5_PS6_mNS0_19identity_decomposerEEE10hipError_tT1_T2_PT3_SG_jT4_jjP12ihipStream_tbEUlT_E_NS1_11comp_targetILNS1_3genE6ELNS1_11target_archE950ELNS1_3gpuE13ELNS1_3repE0EEENS1_52radix_sort_onesweep_histogram_config_static_selectorELNS0_4arch9wavefront6targetE0EEEvSE_
; %bb.0:
	.section	.rodata,"a",@progbits
	.p2align	6, 0x0
	.amdhsa_kernel _ZN7rocprim17ROCPRIM_400000_NS6detail17trampoline_kernelINS0_14default_configENS1_35radix_sort_onesweep_config_selectorI6__halfNS0_10empty_typeEEEZNS1_34radix_sort_onesweep_global_offsetsIS3_Lb1EPKS5_PS6_mNS0_19identity_decomposerEEE10hipError_tT1_T2_PT3_SG_jT4_jjP12ihipStream_tbEUlT_E_NS1_11comp_targetILNS1_3genE6ELNS1_11target_archE950ELNS1_3gpuE13ELNS1_3repE0EEENS1_52radix_sort_onesweep_histogram_config_static_selectorELNS0_4arch9wavefront6targetE0EEEvSE_
		.amdhsa_group_segment_fixed_size 0
		.amdhsa_private_segment_fixed_size 0
		.amdhsa_kernarg_size 48
		.amdhsa_user_sgpr_count 2
		.amdhsa_user_sgpr_dispatch_ptr 0
		.amdhsa_user_sgpr_queue_ptr 0
		.amdhsa_user_sgpr_kernarg_segment_ptr 1
		.amdhsa_user_sgpr_dispatch_id 0
		.amdhsa_user_sgpr_kernarg_preload_length 0
		.amdhsa_user_sgpr_kernarg_preload_offset 0
		.amdhsa_user_sgpr_private_segment_size 0
		.amdhsa_wavefront_size32 1
		.amdhsa_uses_dynamic_stack 0
		.amdhsa_enable_private_segment 0
		.amdhsa_system_sgpr_workgroup_id_x 1
		.amdhsa_system_sgpr_workgroup_id_y 0
		.amdhsa_system_sgpr_workgroup_id_z 0
		.amdhsa_system_sgpr_workgroup_info 0
		.amdhsa_system_vgpr_workitem_id 0
		.amdhsa_next_free_vgpr 1
		.amdhsa_next_free_sgpr 1
		.amdhsa_named_barrier_count 0
		.amdhsa_reserve_vcc 0
		.amdhsa_float_round_mode_32 0
		.amdhsa_float_round_mode_16_64 0
		.amdhsa_float_denorm_mode_32 3
		.amdhsa_float_denorm_mode_16_64 3
		.amdhsa_fp16_overflow 0
		.amdhsa_memory_ordered 1
		.amdhsa_forward_progress 1
		.amdhsa_inst_pref_size 0
		.amdhsa_round_robin_scheduling 0
		.amdhsa_exception_fp_ieee_invalid_op 0
		.amdhsa_exception_fp_denorm_src 0
		.amdhsa_exception_fp_ieee_div_zero 0
		.amdhsa_exception_fp_ieee_overflow 0
		.amdhsa_exception_fp_ieee_underflow 0
		.amdhsa_exception_fp_ieee_inexact 0
		.amdhsa_exception_int_div_zero 0
	.end_amdhsa_kernel
	.section	.text._ZN7rocprim17ROCPRIM_400000_NS6detail17trampoline_kernelINS0_14default_configENS1_35radix_sort_onesweep_config_selectorI6__halfNS0_10empty_typeEEEZNS1_34radix_sort_onesweep_global_offsetsIS3_Lb1EPKS5_PS6_mNS0_19identity_decomposerEEE10hipError_tT1_T2_PT3_SG_jT4_jjP12ihipStream_tbEUlT_E_NS1_11comp_targetILNS1_3genE6ELNS1_11target_archE950ELNS1_3gpuE13ELNS1_3repE0EEENS1_52radix_sort_onesweep_histogram_config_static_selectorELNS0_4arch9wavefront6targetE0EEEvSE_,"axG",@progbits,_ZN7rocprim17ROCPRIM_400000_NS6detail17trampoline_kernelINS0_14default_configENS1_35radix_sort_onesweep_config_selectorI6__halfNS0_10empty_typeEEEZNS1_34radix_sort_onesweep_global_offsetsIS3_Lb1EPKS5_PS6_mNS0_19identity_decomposerEEE10hipError_tT1_T2_PT3_SG_jT4_jjP12ihipStream_tbEUlT_E_NS1_11comp_targetILNS1_3genE6ELNS1_11target_archE950ELNS1_3gpuE13ELNS1_3repE0EEENS1_52radix_sort_onesweep_histogram_config_static_selectorELNS0_4arch9wavefront6targetE0EEEvSE_,comdat
.Lfunc_end2138:
	.size	_ZN7rocprim17ROCPRIM_400000_NS6detail17trampoline_kernelINS0_14default_configENS1_35radix_sort_onesweep_config_selectorI6__halfNS0_10empty_typeEEEZNS1_34radix_sort_onesweep_global_offsetsIS3_Lb1EPKS5_PS6_mNS0_19identity_decomposerEEE10hipError_tT1_T2_PT3_SG_jT4_jjP12ihipStream_tbEUlT_E_NS1_11comp_targetILNS1_3genE6ELNS1_11target_archE950ELNS1_3gpuE13ELNS1_3repE0EEENS1_52radix_sort_onesweep_histogram_config_static_selectorELNS0_4arch9wavefront6targetE0EEEvSE_, .Lfunc_end2138-_ZN7rocprim17ROCPRIM_400000_NS6detail17trampoline_kernelINS0_14default_configENS1_35radix_sort_onesweep_config_selectorI6__halfNS0_10empty_typeEEEZNS1_34radix_sort_onesweep_global_offsetsIS3_Lb1EPKS5_PS6_mNS0_19identity_decomposerEEE10hipError_tT1_T2_PT3_SG_jT4_jjP12ihipStream_tbEUlT_E_NS1_11comp_targetILNS1_3genE6ELNS1_11target_archE950ELNS1_3gpuE13ELNS1_3repE0EEENS1_52radix_sort_onesweep_histogram_config_static_selectorELNS0_4arch9wavefront6targetE0EEEvSE_
                                        ; -- End function
	.set _ZN7rocprim17ROCPRIM_400000_NS6detail17trampoline_kernelINS0_14default_configENS1_35radix_sort_onesweep_config_selectorI6__halfNS0_10empty_typeEEEZNS1_34radix_sort_onesweep_global_offsetsIS3_Lb1EPKS5_PS6_mNS0_19identity_decomposerEEE10hipError_tT1_T2_PT3_SG_jT4_jjP12ihipStream_tbEUlT_E_NS1_11comp_targetILNS1_3genE6ELNS1_11target_archE950ELNS1_3gpuE13ELNS1_3repE0EEENS1_52radix_sort_onesweep_histogram_config_static_selectorELNS0_4arch9wavefront6targetE0EEEvSE_.num_vgpr, 0
	.set _ZN7rocprim17ROCPRIM_400000_NS6detail17trampoline_kernelINS0_14default_configENS1_35radix_sort_onesweep_config_selectorI6__halfNS0_10empty_typeEEEZNS1_34radix_sort_onesweep_global_offsetsIS3_Lb1EPKS5_PS6_mNS0_19identity_decomposerEEE10hipError_tT1_T2_PT3_SG_jT4_jjP12ihipStream_tbEUlT_E_NS1_11comp_targetILNS1_3genE6ELNS1_11target_archE950ELNS1_3gpuE13ELNS1_3repE0EEENS1_52radix_sort_onesweep_histogram_config_static_selectorELNS0_4arch9wavefront6targetE0EEEvSE_.num_agpr, 0
	.set _ZN7rocprim17ROCPRIM_400000_NS6detail17trampoline_kernelINS0_14default_configENS1_35radix_sort_onesweep_config_selectorI6__halfNS0_10empty_typeEEEZNS1_34radix_sort_onesweep_global_offsetsIS3_Lb1EPKS5_PS6_mNS0_19identity_decomposerEEE10hipError_tT1_T2_PT3_SG_jT4_jjP12ihipStream_tbEUlT_E_NS1_11comp_targetILNS1_3genE6ELNS1_11target_archE950ELNS1_3gpuE13ELNS1_3repE0EEENS1_52radix_sort_onesweep_histogram_config_static_selectorELNS0_4arch9wavefront6targetE0EEEvSE_.numbered_sgpr, 0
	.set _ZN7rocprim17ROCPRIM_400000_NS6detail17trampoline_kernelINS0_14default_configENS1_35radix_sort_onesweep_config_selectorI6__halfNS0_10empty_typeEEEZNS1_34radix_sort_onesweep_global_offsetsIS3_Lb1EPKS5_PS6_mNS0_19identity_decomposerEEE10hipError_tT1_T2_PT3_SG_jT4_jjP12ihipStream_tbEUlT_E_NS1_11comp_targetILNS1_3genE6ELNS1_11target_archE950ELNS1_3gpuE13ELNS1_3repE0EEENS1_52radix_sort_onesweep_histogram_config_static_selectorELNS0_4arch9wavefront6targetE0EEEvSE_.num_named_barrier, 0
	.set _ZN7rocprim17ROCPRIM_400000_NS6detail17trampoline_kernelINS0_14default_configENS1_35radix_sort_onesweep_config_selectorI6__halfNS0_10empty_typeEEEZNS1_34radix_sort_onesweep_global_offsetsIS3_Lb1EPKS5_PS6_mNS0_19identity_decomposerEEE10hipError_tT1_T2_PT3_SG_jT4_jjP12ihipStream_tbEUlT_E_NS1_11comp_targetILNS1_3genE6ELNS1_11target_archE950ELNS1_3gpuE13ELNS1_3repE0EEENS1_52radix_sort_onesweep_histogram_config_static_selectorELNS0_4arch9wavefront6targetE0EEEvSE_.private_seg_size, 0
	.set _ZN7rocprim17ROCPRIM_400000_NS6detail17trampoline_kernelINS0_14default_configENS1_35radix_sort_onesweep_config_selectorI6__halfNS0_10empty_typeEEEZNS1_34radix_sort_onesweep_global_offsetsIS3_Lb1EPKS5_PS6_mNS0_19identity_decomposerEEE10hipError_tT1_T2_PT3_SG_jT4_jjP12ihipStream_tbEUlT_E_NS1_11comp_targetILNS1_3genE6ELNS1_11target_archE950ELNS1_3gpuE13ELNS1_3repE0EEENS1_52radix_sort_onesweep_histogram_config_static_selectorELNS0_4arch9wavefront6targetE0EEEvSE_.uses_vcc, 0
	.set _ZN7rocprim17ROCPRIM_400000_NS6detail17trampoline_kernelINS0_14default_configENS1_35radix_sort_onesweep_config_selectorI6__halfNS0_10empty_typeEEEZNS1_34radix_sort_onesweep_global_offsetsIS3_Lb1EPKS5_PS6_mNS0_19identity_decomposerEEE10hipError_tT1_T2_PT3_SG_jT4_jjP12ihipStream_tbEUlT_E_NS1_11comp_targetILNS1_3genE6ELNS1_11target_archE950ELNS1_3gpuE13ELNS1_3repE0EEENS1_52radix_sort_onesweep_histogram_config_static_selectorELNS0_4arch9wavefront6targetE0EEEvSE_.uses_flat_scratch, 0
	.set _ZN7rocprim17ROCPRIM_400000_NS6detail17trampoline_kernelINS0_14default_configENS1_35radix_sort_onesweep_config_selectorI6__halfNS0_10empty_typeEEEZNS1_34radix_sort_onesweep_global_offsetsIS3_Lb1EPKS5_PS6_mNS0_19identity_decomposerEEE10hipError_tT1_T2_PT3_SG_jT4_jjP12ihipStream_tbEUlT_E_NS1_11comp_targetILNS1_3genE6ELNS1_11target_archE950ELNS1_3gpuE13ELNS1_3repE0EEENS1_52radix_sort_onesweep_histogram_config_static_selectorELNS0_4arch9wavefront6targetE0EEEvSE_.has_dyn_sized_stack, 0
	.set _ZN7rocprim17ROCPRIM_400000_NS6detail17trampoline_kernelINS0_14default_configENS1_35radix_sort_onesweep_config_selectorI6__halfNS0_10empty_typeEEEZNS1_34radix_sort_onesweep_global_offsetsIS3_Lb1EPKS5_PS6_mNS0_19identity_decomposerEEE10hipError_tT1_T2_PT3_SG_jT4_jjP12ihipStream_tbEUlT_E_NS1_11comp_targetILNS1_3genE6ELNS1_11target_archE950ELNS1_3gpuE13ELNS1_3repE0EEENS1_52radix_sort_onesweep_histogram_config_static_selectorELNS0_4arch9wavefront6targetE0EEEvSE_.has_recursion, 0
	.set _ZN7rocprim17ROCPRIM_400000_NS6detail17trampoline_kernelINS0_14default_configENS1_35radix_sort_onesweep_config_selectorI6__halfNS0_10empty_typeEEEZNS1_34radix_sort_onesweep_global_offsetsIS3_Lb1EPKS5_PS6_mNS0_19identity_decomposerEEE10hipError_tT1_T2_PT3_SG_jT4_jjP12ihipStream_tbEUlT_E_NS1_11comp_targetILNS1_3genE6ELNS1_11target_archE950ELNS1_3gpuE13ELNS1_3repE0EEENS1_52radix_sort_onesweep_histogram_config_static_selectorELNS0_4arch9wavefront6targetE0EEEvSE_.has_indirect_call, 0
	.section	.AMDGPU.csdata,"",@progbits
; Kernel info:
; codeLenInByte = 0
; TotalNumSgprs: 0
; NumVgprs: 0
; ScratchSize: 0
; MemoryBound: 0
; FloatMode: 240
; IeeeMode: 1
; LDSByteSize: 0 bytes/workgroup (compile time only)
; SGPRBlocks: 0
; VGPRBlocks: 0
; NumSGPRsForWavesPerEU: 1
; NumVGPRsForWavesPerEU: 1
; NamedBarCnt: 0
; Occupancy: 16
; WaveLimiterHint : 0
; COMPUTE_PGM_RSRC2:SCRATCH_EN: 0
; COMPUTE_PGM_RSRC2:USER_SGPR: 2
; COMPUTE_PGM_RSRC2:TRAP_HANDLER: 0
; COMPUTE_PGM_RSRC2:TGID_X_EN: 1
; COMPUTE_PGM_RSRC2:TGID_Y_EN: 0
; COMPUTE_PGM_RSRC2:TGID_Z_EN: 0
; COMPUTE_PGM_RSRC2:TIDIG_COMP_CNT: 0
	.section	.text._ZN7rocprim17ROCPRIM_400000_NS6detail17trampoline_kernelINS0_14default_configENS1_35radix_sort_onesweep_config_selectorI6__halfNS0_10empty_typeEEEZNS1_34radix_sort_onesweep_global_offsetsIS3_Lb1EPKS5_PS6_mNS0_19identity_decomposerEEE10hipError_tT1_T2_PT3_SG_jT4_jjP12ihipStream_tbEUlT_E_NS1_11comp_targetILNS1_3genE5ELNS1_11target_archE942ELNS1_3gpuE9ELNS1_3repE0EEENS1_52radix_sort_onesweep_histogram_config_static_selectorELNS0_4arch9wavefront6targetE0EEEvSE_,"axG",@progbits,_ZN7rocprim17ROCPRIM_400000_NS6detail17trampoline_kernelINS0_14default_configENS1_35radix_sort_onesweep_config_selectorI6__halfNS0_10empty_typeEEEZNS1_34radix_sort_onesweep_global_offsetsIS3_Lb1EPKS5_PS6_mNS0_19identity_decomposerEEE10hipError_tT1_T2_PT3_SG_jT4_jjP12ihipStream_tbEUlT_E_NS1_11comp_targetILNS1_3genE5ELNS1_11target_archE942ELNS1_3gpuE9ELNS1_3repE0EEENS1_52radix_sort_onesweep_histogram_config_static_selectorELNS0_4arch9wavefront6targetE0EEEvSE_,comdat
	.protected	_ZN7rocprim17ROCPRIM_400000_NS6detail17trampoline_kernelINS0_14default_configENS1_35radix_sort_onesweep_config_selectorI6__halfNS0_10empty_typeEEEZNS1_34radix_sort_onesweep_global_offsetsIS3_Lb1EPKS5_PS6_mNS0_19identity_decomposerEEE10hipError_tT1_T2_PT3_SG_jT4_jjP12ihipStream_tbEUlT_E_NS1_11comp_targetILNS1_3genE5ELNS1_11target_archE942ELNS1_3gpuE9ELNS1_3repE0EEENS1_52radix_sort_onesweep_histogram_config_static_selectorELNS0_4arch9wavefront6targetE0EEEvSE_ ; -- Begin function _ZN7rocprim17ROCPRIM_400000_NS6detail17trampoline_kernelINS0_14default_configENS1_35radix_sort_onesweep_config_selectorI6__halfNS0_10empty_typeEEEZNS1_34radix_sort_onesweep_global_offsetsIS3_Lb1EPKS5_PS6_mNS0_19identity_decomposerEEE10hipError_tT1_T2_PT3_SG_jT4_jjP12ihipStream_tbEUlT_E_NS1_11comp_targetILNS1_3genE5ELNS1_11target_archE942ELNS1_3gpuE9ELNS1_3repE0EEENS1_52radix_sort_onesweep_histogram_config_static_selectorELNS0_4arch9wavefront6targetE0EEEvSE_
	.globl	_ZN7rocprim17ROCPRIM_400000_NS6detail17trampoline_kernelINS0_14default_configENS1_35radix_sort_onesweep_config_selectorI6__halfNS0_10empty_typeEEEZNS1_34radix_sort_onesweep_global_offsetsIS3_Lb1EPKS5_PS6_mNS0_19identity_decomposerEEE10hipError_tT1_T2_PT3_SG_jT4_jjP12ihipStream_tbEUlT_E_NS1_11comp_targetILNS1_3genE5ELNS1_11target_archE942ELNS1_3gpuE9ELNS1_3repE0EEENS1_52radix_sort_onesweep_histogram_config_static_selectorELNS0_4arch9wavefront6targetE0EEEvSE_
	.p2align	8
	.type	_ZN7rocprim17ROCPRIM_400000_NS6detail17trampoline_kernelINS0_14default_configENS1_35radix_sort_onesweep_config_selectorI6__halfNS0_10empty_typeEEEZNS1_34radix_sort_onesweep_global_offsetsIS3_Lb1EPKS5_PS6_mNS0_19identity_decomposerEEE10hipError_tT1_T2_PT3_SG_jT4_jjP12ihipStream_tbEUlT_E_NS1_11comp_targetILNS1_3genE5ELNS1_11target_archE942ELNS1_3gpuE9ELNS1_3repE0EEENS1_52radix_sort_onesweep_histogram_config_static_selectorELNS0_4arch9wavefront6targetE0EEEvSE_,@function
_ZN7rocprim17ROCPRIM_400000_NS6detail17trampoline_kernelINS0_14default_configENS1_35radix_sort_onesweep_config_selectorI6__halfNS0_10empty_typeEEEZNS1_34radix_sort_onesweep_global_offsetsIS3_Lb1EPKS5_PS6_mNS0_19identity_decomposerEEE10hipError_tT1_T2_PT3_SG_jT4_jjP12ihipStream_tbEUlT_E_NS1_11comp_targetILNS1_3genE5ELNS1_11target_archE942ELNS1_3gpuE9ELNS1_3repE0EEENS1_52radix_sort_onesweep_histogram_config_static_selectorELNS0_4arch9wavefront6targetE0EEEvSE_: ; @_ZN7rocprim17ROCPRIM_400000_NS6detail17trampoline_kernelINS0_14default_configENS1_35radix_sort_onesweep_config_selectorI6__halfNS0_10empty_typeEEEZNS1_34radix_sort_onesweep_global_offsetsIS3_Lb1EPKS5_PS6_mNS0_19identity_decomposerEEE10hipError_tT1_T2_PT3_SG_jT4_jjP12ihipStream_tbEUlT_E_NS1_11comp_targetILNS1_3genE5ELNS1_11target_archE942ELNS1_3gpuE9ELNS1_3repE0EEENS1_52radix_sort_onesweep_histogram_config_static_selectorELNS0_4arch9wavefront6targetE0EEEvSE_
; %bb.0:
	.section	.rodata,"a",@progbits
	.p2align	6, 0x0
	.amdhsa_kernel _ZN7rocprim17ROCPRIM_400000_NS6detail17trampoline_kernelINS0_14default_configENS1_35radix_sort_onesweep_config_selectorI6__halfNS0_10empty_typeEEEZNS1_34radix_sort_onesweep_global_offsetsIS3_Lb1EPKS5_PS6_mNS0_19identity_decomposerEEE10hipError_tT1_T2_PT3_SG_jT4_jjP12ihipStream_tbEUlT_E_NS1_11comp_targetILNS1_3genE5ELNS1_11target_archE942ELNS1_3gpuE9ELNS1_3repE0EEENS1_52radix_sort_onesweep_histogram_config_static_selectorELNS0_4arch9wavefront6targetE0EEEvSE_
		.amdhsa_group_segment_fixed_size 0
		.amdhsa_private_segment_fixed_size 0
		.amdhsa_kernarg_size 48
		.amdhsa_user_sgpr_count 2
		.amdhsa_user_sgpr_dispatch_ptr 0
		.amdhsa_user_sgpr_queue_ptr 0
		.amdhsa_user_sgpr_kernarg_segment_ptr 1
		.amdhsa_user_sgpr_dispatch_id 0
		.amdhsa_user_sgpr_kernarg_preload_length 0
		.amdhsa_user_sgpr_kernarg_preload_offset 0
		.amdhsa_user_sgpr_private_segment_size 0
		.amdhsa_wavefront_size32 1
		.amdhsa_uses_dynamic_stack 0
		.amdhsa_enable_private_segment 0
		.amdhsa_system_sgpr_workgroup_id_x 1
		.amdhsa_system_sgpr_workgroup_id_y 0
		.amdhsa_system_sgpr_workgroup_id_z 0
		.amdhsa_system_sgpr_workgroup_info 0
		.amdhsa_system_vgpr_workitem_id 0
		.amdhsa_next_free_vgpr 1
		.amdhsa_next_free_sgpr 1
		.amdhsa_named_barrier_count 0
		.amdhsa_reserve_vcc 0
		.amdhsa_float_round_mode_32 0
		.amdhsa_float_round_mode_16_64 0
		.amdhsa_float_denorm_mode_32 3
		.amdhsa_float_denorm_mode_16_64 3
		.amdhsa_fp16_overflow 0
		.amdhsa_memory_ordered 1
		.amdhsa_forward_progress 1
		.amdhsa_inst_pref_size 0
		.amdhsa_round_robin_scheduling 0
		.amdhsa_exception_fp_ieee_invalid_op 0
		.amdhsa_exception_fp_denorm_src 0
		.amdhsa_exception_fp_ieee_div_zero 0
		.amdhsa_exception_fp_ieee_overflow 0
		.amdhsa_exception_fp_ieee_underflow 0
		.amdhsa_exception_fp_ieee_inexact 0
		.amdhsa_exception_int_div_zero 0
	.end_amdhsa_kernel
	.section	.text._ZN7rocprim17ROCPRIM_400000_NS6detail17trampoline_kernelINS0_14default_configENS1_35radix_sort_onesweep_config_selectorI6__halfNS0_10empty_typeEEEZNS1_34radix_sort_onesweep_global_offsetsIS3_Lb1EPKS5_PS6_mNS0_19identity_decomposerEEE10hipError_tT1_T2_PT3_SG_jT4_jjP12ihipStream_tbEUlT_E_NS1_11comp_targetILNS1_3genE5ELNS1_11target_archE942ELNS1_3gpuE9ELNS1_3repE0EEENS1_52radix_sort_onesweep_histogram_config_static_selectorELNS0_4arch9wavefront6targetE0EEEvSE_,"axG",@progbits,_ZN7rocprim17ROCPRIM_400000_NS6detail17trampoline_kernelINS0_14default_configENS1_35radix_sort_onesweep_config_selectorI6__halfNS0_10empty_typeEEEZNS1_34radix_sort_onesweep_global_offsetsIS3_Lb1EPKS5_PS6_mNS0_19identity_decomposerEEE10hipError_tT1_T2_PT3_SG_jT4_jjP12ihipStream_tbEUlT_E_NS1_11comp_targetILNS1_3genE5ELNS1_11target_archE942ELNS1_3gpuE9ELNS1_3repE0EEENS1_52radix_sort_onesweep_histogram_config_static_selectorELNS0_4arch9wavefront6targetE0EEEvSE_,comdat
.Lfunc_end2139:
	.size	_ZN7rocprim17ROCPRIM_400000_NS6detail17trampoline_kernelINS0_14default_configENS1_35radix_sort_onesweep_config_selectorI6__halfNS0_10empty_typeEEEZNS1_34radix_sort_onesweep_global_offsetsIS3_Lb1EPKS5_PS6_mNS0_19identity_decomposerEEE10hipError_tT1_T2_PT3_SG_jT4_jjP12ihipStream_tbEUlT_E_NS1_11comp_targetILNS1_3genE5ELNS1_11target_archE942ELNS1_3gpuE9ELNS1_3repE0EEENS1_52radix_sort_onesweep_histogram_config_static_selectorELNS0_4arch9wavefront6targetE0EEEvSE_, .Lfunc_end2139-_ZN7rocprim17ROCPRIM_400000_NS6detail17trampoline_kernelINS0_14default_configENS1_35radix_sort_onesweep_config_selectorI6__halfNS0_10empty_typeEEEZNS1_34radix_sort_onesweep_global_offsetsIS3_Lb1EPKS5_PS6_mNS0_19identity_decomposerEEE10hipError_tT1_T2_PT3_SG_jT4_jjP12ihipStream_tbEUlT_E_NS1_11comp_targetILNS1_3genE5ELNS1_11target_archE942ELNS1_3gpuE9ELNS1_3repE0EEENS1_52radix_sort_onesweep_histogram_config_static_selectorELNS0_4arch9wavefront6targetE0EEEvSE_
                                        ; -- End function
	.set _ZN7rocprim17ROCPRIM_400000_NS6detail17trampoline_kernelINS0_14default_configENS1_35radix_sort_onesweep_config_selectorI6__halfNS0_10empty_typeEEEZNS1_34radix_sort_onesweep_global_offsetsIS3_Lb1EPKS5_PS6_mNS0_19identity_decomposerEEE10hipError_tT1_T2_PT3_SG_jT4_jjP12ihipStream_tbEUlT_E_NS1_11comp_targetILNS1_3genE5ELNS1_11target_archE942ELNS1_3gpuE9ELNS1_3repE0EEENS1_52radix_sort_onesweep_histogram_config_static_selectorELNS0_4arch9wavefront6targetE0EEEvSE_.num_vgpr, 0
	.set _ZN7rocprim17ROCPRIM_400000_NS6detail17trampoline_kernelINS0_14default_configENS1_35radix_sort_onesweep_config_selectorI6__halfNS0_10empty_typeEEEZNS1_34radix_sort_onesweep_global_offsetsIS3_Lb1EPKS5_PS6_mNS0_19identity_decomposerEEE10hipError_tT1_T2_PT3_SG_jT4_jjP12ihipStream_tbEUlT_E_NS1_11comp_targetILNS1_3genE5ELNS1_11target_archE942ELNS1_3gpuE9ELNS1_3repE0EEENS1_52radix_sort_onesweep_histogram_config_static_selectorELNS0_4arch9wavefront6targetE0EEEvSE_.num_agpr, 0
	.set _ZN7rocprim17ROCPRIM_400000_NS6detail17trampoline_kernelINS0_14default_configENS1_35radix_sort_onesweep_config_selectorI6__halfNS0_10empty_typeEEEZNS1_34radix_sort_onesweep_global_offsetsIS3_Lb1EPKS5_PS6_mNS0_19identity_decomposerEEE10hipError_tT1_T2_PT3_SG_jT4_jjP12ihipStream_tbEUlT_E_NS1_11comp_targetILNS1_3genE5ELNS1_11target_archE942ELNS1_3gpuE9ELNS1_3repE0EEENS1_52radix_sort_onesweep_histogram_config_static_selectorELNS0_4arch9wavefront6targetE0EEEvSE_.numbered_sgpr, 0
	.set _ZN7rocprim17ROCPRIM_400000_NS6detail17trampoline_kernelINS0_14default_configENS1_35radix_sort_onesweep_config_selectorI6__halfNS0_10empty_typeEEEZNS1_34radix_sort_onesweep_global_offsetsIS3_Lb1EPKS5_PS6_mNS0_19identity_decomposerEEE10hipError_tT1_T2_PT3_SG_jT4_jjP12ihipStream_tbEUlT_E_NS1_11comp_targetILNS1_3genE5ELNS1_11target_archE942ELNS1_3gpuE9ELNS1_3repE0EEENS1_52radix_sort_onesweep_histogram_config_static_selectorELNS0_4arch9wavefront6targetE0EEEvSE_.num_named_barrier, 0
	.set _ZN7rocprim17ROCPRIM_400000_NS6detail17trampoline_kernelINS0_14default_configENS1_35radix_sort_onesweep_config_selectorI6__halfNS0_10empty_typeEEEZNS1_34radix_sort_onesweep_global_offsetsIS3_Lb1EPKS5_PS6_mNS0_19identity_decomposerEEE10hipError_tT1_T2_PT3_SG_jT4_jjP12ihipStream_tbEUlT_E_NS1_11comp_targetILNS1_3genE5ELNS1_11target_archE942ELNS1_3gpuE9ELNS1_3repE0EEENS1_52radix_sort_onesweep_histogram_config_static_selectorELNS0_4arch9wavefront6targetE0EEEvSE_.private_seg_size, 0
	.set _ZN7rocprim17ROCPRIM_400000_NS6detail17trampoline_kernelINS0_14default_configENS1_35radix_sort_onesweep_config_selectorI6__halfNS0_10empty_typeEEEZNS1_34radix_sort_onesweep_global_offsetsIS3_Lb1EPKS5_PS6_mNS0_19identity_decomposerEEE10hipError_tT1_T2_PT3_SG_jT4_jjP12ihipStream_tbEUlT_E_NS1_11comp_targetILNS1_3genE5ELNS1_11target_archE942ELNS1_3gpuE9ELNS1_3repE0EEENS1_52radix_sort_onesweep_histogram_config_static_selectorELNS0_4arch9wavefront6targetE0EEEvSE_.uses_vcc, 0
	.set _ZN7rocprim17ROCPRIM_400000_NS6detail17trampoline_kernelINS0_14default_configENS1_35radix_sort_onesweep_config_selectorI6__halfNS0_10empty_typeEEEZNS1_34radix_sort_onesweep_global_offsetsIS3_Lb1EPKS5_PS6_mNS0_19identity_decomposerEEE10hipError_tT1_T2_PT3_SG_jT4_jjP12ihipStream_tbEUlT_E_NS1_11comp_targetILNS1_3genE5ELNS1_11target_archE942ELNS1_3gpuE9ELNS1_3repE0EEENS1_52radix_sort_onesweep_histogram_config_static_selectorELNS0_4arch9wavefront6targetE0EEEvSE_.uses_flat_scratch, 0
	.set _ZN7rocprim17ROCPRIM_400000_NS6detail17trampoline_kernelINS0_14default_configENS1_35radix_sort_onesweep_config_selectorI6__halfNS0_10empty_typeEEEZNS1_34radix_sort_onesweep_global_offsetsIS3_Lb1EPKS5_PS6_mNS0_19identity_decomposerEEE10hipError_tT1_T2_PT3_SG_jT4_jjP12ihipStream_tbEUlT_E_NS1_11comp_targetILNS1_3genE5ELNS1_11target_archE942ELNS1_3gpuE9ELNS1_3repE0EEENS1_52radix_sort_onesweep_histogram_config_static_selectorELNS0_4arch9wavefront6targetE0EEEvSE_.has_dyn_sized_stack, 0
	.set _ZN7rocprim17ROCPRIM_400000_NS6detail17trampoline_kernelINS0_14default_configENS1_35radix_sort_onesweep_config_selectorI6__halfNS0_10empty_typeEEEZNS1_34radix_sort_onesweep_global_offsetsIS3_Lb1EPKS5_PS6_mNS0_19identity_decomposerEEE10hipError_tT1_T2_PT3_SG_jT4_jjP12ihipStream_tbEUlT_E_NS1_11comp_targetILNS1_3genE5ELNS1_11target_archE942ELNS1_3gpuE9ELNS1_3repE0EEENS1_52radix_sort_onesweep_histogram_config_static_selectorELNS0_4arch9wavefront6targetE0EEEvSE_.has_recursion, 0
	.set _ZN7rocprim17ROCPRIM_400000_NS6detail17trampoline_kernelINS0_14default_configENS1_35radix_sort_onesweep_config_selectorI6__halfNS0_10empty_typeEEEZNS1_34radix_sort_onesweep_global_offsetsIS3_Lb1EPKS5_PS6_mNS0_19identity_decomposerEEE10hipError_tT1_T2_PT3_SG_jT4_jjP12ihipStream_tbEUlT_E_NS1_11comp_targetILNS1_3genE5ELNS1_11target_archE942ELNS1_3gpuE9ELNS1_3repE0EEENS1_52radix_sort_onesweep_histogram_config_static_selectorELNS0_4arch9wavefront6targetE0EEEvSE_.has_indirect_call, 0
	.section	.AMDGPU.csdata,"",@progbits
; Kernel info:
; codeLenInByte = 0
; TotalNumSgprs: 0
; NumVgprs: 0
; ScratchSize: 0
; MemoryBound: 0
; FloatMode: 240
; IeeeMode: 1
; LDSByteSize: 0 bytes/workgroup (compile time only)
; SGPRBlocks: 0
; VGPRBlocks: 0
; NumSGPRsForWavesPerEU: 1
; NumVGPRsForWavesPerEU: 1
; NamedBarCnt: 0
; Occupancy: 16
; WaveLimiterHint : 0
; COMPUTE_PGM_RSRC2:SCRATCH_EN: 0
; COMPUTE_PGM_RSRC2:USER_SGPR: 2
; COMPUTE_PGM_RSRC2:TRAP_HANDLER: 0
; COMPUTE_PGM_RSRC2:TGID_X_EN: 1
; COMPUTE_PGM_RSRC2:TGID_Y_EN: 0
; COMPUTE_PGM_RSRC2:TGID_Z_EN: 0
; COMPUTE_PGM_RSRC2:TIDIG_COMP_CNT: 0
	.section	.text._ZN7rocprim17ROCPRIM_400000_NS6detail17trampoline_kernelINS0_14default_configENS1_35radix_sort_onesweep_config_selectorI6__halfNS0_10empty_typeEEEZNS1_34radix_sort_onesweep_global_offsetsIS3_Lb1EPKS5_PS6_mNS0_19identity_decomposerEEE10hipError_tT1_T2_PT3_SG_jT4_jjP12ihipStream_tbEUlT_E_NS1_11comp_targetILNS1_3genE2ELNS1_11target_archE906ELNS1_3gpuE6ELNS1_3repE0EEENS1_52radix_sort_onesweep_histogram_config_static_selectorELNS0_4arch9wavefront6targetE0EEEvSE_,"axG",@progbits,_ZN7rocprim17ROCPRIM_400000_NS6detail17trampoline_kernelINS0_14default_configENS1_35radix_sort_onesweep_config_selectorI6__halfNS0_10empty_typeEEEZNS1_34radix_sort_onesweep_global_offsetsIS3_Lb1EPKS5_PS6_mNS0_19identity_decomposerEEE10hipError_tT1_T2_PT3_SG_jT4_jjP12ihipStream_tbEUlT_E_NS1_11comp_targetILNS1_3genE2ELNS1_11target_archE906ELNS1_3gpuE6ELNS1_3repE0EEENS1_52radix_sort_onesweep_histogram_config_static_selectorELNS0_4arch9wavefront6targetE0EEEvSE_,comdat
	.protected	_ZN7rocprim17ROCPRIM_400000_NS6detail17trampoline_kernelINS0_14default_configENS1_35radix_sort_onesweep_config_selectorI6__halfNS0_10empty_typeEEEZNS1_34radix_sort_onesweep_global_offsetsIS3_Lb1EPKS5_PS6_mNS0_19identity_decomposerEEE10hipError_tT1_T2_PT3_SG_jT4_jjP12ihipStream_tbEUlT_E_NS1_11comp_targetILNS1_3genE2ELNS1_11target_archE906ELNS1_3gpuE6ELNS1_3repE0EEENS1_52radix_sort_onesweep_histogram_config_static_selectorELNS0_4arch9wavefront6targetE0EEEvSE_ ; -- Begin function _ZN7rocprim17ROCPRIM_400000_NS6detail17trampoline_kernelINS0_14default_configENS1_35radix_sort_onesweep_config_selectorI6__halfNS0_10empty_typeEEEZNS1_34radix_sort_onesweep_global_offsetsIS3_Lb1EPKS5_PS6_mNS0_19identity_decomposerEEE10hipError_tT1_T2_PT3_SG_jT4_jjP12ihipStream_tbEUlT_E_NS1_11comp_targetILNS1_3genE2ELNS1_11target_archE906ELNS1_3gpuE6ELNS1_3repE0EEENS1_52radix_sort_onesweep_histogram_config_static_selectorELNS0_4arch9wavefront6targetE0EEEvSE_
	.globl	_ZN7rocprim17ROCPRIM_400000_NS6detail17trampoline_kernelINS0_14default_configENS1_35radix_sort_onesweep_config_selectorI6__halfNS0_10empty_typeEEEZNS1_34radix_sort_onesweep_global_offsetsIS3_Lb1EPKS5_PS6_mNS0_19identity_decomposerEEE10hipError_tT1_T2_PT3_SG_jT4_jjP12ihipStream_tbEUlT_E_NS1_11comp_targetILNS1_3genE2ELNS1_11target_archE906ELNS1_3gpuE6ELNS1_3repE0EEENS1_52radix_sort_onesweep_histogram_config_static_selectorELNS0_4arch9wavefront6targetE0EEEvSE_
	.p2align	8
	.type	_ZN7rocprim17ROCPRIM_400000_NS6detail17trampoline_kernelINS0_14default_configENS1_35radix_sort_onesweep_config_selectorI6__halfNS0_10empty_typeEEEZNS1_34radix_sort_onesweep_global_offsetsIS3_Lb1EPKS5_PS6_mNS0_19identity_decomposerEEE10hipError_tT1_T2_PT3_SG_jT4_jjP12ihipStream_tbEUlT_E_NS1_11comp_targetILNS1_3genE2ELNS1_11target_archE906ELNS1_3gpuE6ELNS1_3repE0EEENS1_52radix_sort_onesweep_histogram_config_static_selectorELNS0_4arch9wavefront6targetE0EEEvSE_,@function
_ZN7rocprim17ROCPRIM_400000_NS6detail17trampoline_kernelINS0_14default_configENS1_35radix_sort_onesweep_config_selectorI6__halfNS0_10empty_typeEEEZNS1_34radix_sort_onesweep_global_offsetsIS3_Lb1EPKS5_PS6_mNS0_19identity_decomposerEEE10hipError_tT1_T2_PT3_SG_jT4_jjP12ihipStream_tbEUlT_E_NS1_11comp_targetILNS1_3genE2ELNS1_11target_archE906ELNS1_3gpuE6ELNS1_3repE0EEENS1_52radix_sort_onesweep_histogram_config_static_selectorELNS0_4arch9wavefront6targetE0EEEvSE_: ; @_ZN7rocprim17ROCPRIM_400000_NS6detail17trampoline_kernelINS0_14default_configENS1_35radix_sort_onesweep_config_selectorI6__halfNS0_10empty_typeEEEZNS1_34radix_sort_onesweep_global_offsetsIS3_Lb1EPKS5_PS6_mNS0_19identity_decomposerEEE10hipError_tT1_T2_PT3_SG_jT4_jjP12ihipStream_tbEUlT_E_NS1_11comp_targetILNS1_3genE2ELNS1_11target_archE906ELNS1_3gpuE6ELNS1_3repE0EEENS1_52radix_sort_onesweep_histogram_config_static_selectorELNS0_4arch9wavefront6targetE0EEEvSE_
; %bb.0:
	.section	.rodata,"a",@progbits
	.p2align	6, 0x0
	.amdhsa_kernel _ZN7rocprim17ROCPRIM_400000_NS6detail17trampoline_kernelINS0_14default_configENS1_35radix_sort_onesweep_config_selectorI6__halfNS0_10empty_typeEEEZNS1_34radix_sort_onesweep_global_offsetsIS3_Lb1EPKS5_PS6_mNS0_19identity_decomposerEEE10hipError_tT1_T2_PT3_SG_jT4_jjP12ihipStream_tbEUlT_E_NS1_11comp_targetILNS1_3genE2ELNS1_11target_archE906ELNS1_3gpuE6ELNS1_3repE0EEENS1_52radix_sort_onesweep_histogram_config_static_selectorELNS0_4arch9wavefront6targetE0EEEvSE_
		.amdhsa_group_segment_fixed_size 0
		.amdhsa_private_segment_fixed_size 0
		.amdhsa_kernarg_size 48
		.amdhsa_user_sgpr_count 2
		.amdhsa_user_sgpr_dispatch_ptr 0
		.amdhsa_user_sgpr_queue_ptr 0
		.amdhsa_user_sgpr_kernarg_segment_ptr 1
		.amdhsa_user_sgpr_dispatch_id 0
		.amdhsa_user_sgpr_kernarg_preload_length 0
		.amdhsa_user_sgpr_kernarg_preload_offset 0
		.amdhsa_user_sgpr_private_segment_size 0
		.amdhsa_wavefront_size32 1
		.amdhsa_uses_dynamic_stack 0
		.amdhsa_enable_private_segment 0
		.amdhsa_system_sgpr_workgroup_id_x 1
		.amdhsa_system_sgpr_workgroup_id_y 0
		.amdhsa_system_sgpr_workgroup_id_z 0
		.amdhsa_system_sgpr_workgroup_info 0
		.amdhsa_system_vgpr_workitem_id 0
		.amdhsa_next_free_vgpr 1
		.amdhsa_next_free_sgpr 1
		.amdhsa_named_barrier_count 0
		.amdhsa_reserve_vcc 0
		.amdhsa_float_round_mode_32 0
		.amdhsa_float_round_mode_16_64 0
		.amdhsa_float_denorm_mode_32 3
		.amdhsa_float_denorm_mode_16_64 3
		.amdhsa_fp16_overflow 0
		.amdhsa_memory_ordered 1
		.amdhsa_forward_progress 1
		.amdhsa_inst_pref_size 0
		.amdhsa_round_robin_scheduling 0
		.amdhsa_exception_fp_ieee_invalid_op 0
		.amdhsa_exception_fp_denorm_src 0
		.amdhsa_exception_fp_ieee_div_zero 0
		.amdhsa_exception_fp_ieee_overflow 0
		.amdhsa_exception_fp_ieee_underflow 0
		.amdhsa_exception_fp_ieee_inexact 0
		.amdhsa_exception_int_div_zero 0
	.end_amdhsa_kernel
	.section	.text._ZN7rocprim17ROCPRIM_400000_NS6detail17trampoline_kernelINS0_14default_configENS1_35radix_sort_onesweep_config_selectorI6__halfNS0_10empty_typeEEEZNS1_34radix_sort_onesweep_global_offsetsIS3_Lb1EPKS5_PS6_mNS0_19identity_decomposerEEE10hipError_tT1_T2_PT3_SG_jT4_jjP12ihipStream_tbEUlT_E_NS1_11comp_targetILNS1_3genE2ELNS1_11target_archE906ELNS1_3gpuE6ELNS1_3repE0EEENS1_52radix_sort_onesweep_histogram_config_static_selectorELNS0_4arch9wavefront6targetE0EEEvSE_,"axG",@progbits,_ZN7rocprim17ROCPRIM_400000_NS6detail17trampoline_kernelINS0_14default_configENS1_35radix_sort_onesweep_config_selectorI6__halfNS0_10empty_typeEEEZNS1_34radix_sort_onesweep_global_offsetsIS3_Lb1EPKS5_PS6_mNS0_19identity_decomposerEEE10hipError_tT1_T2_PT3_SG_jT4_jjP12ihipStream_tbEUlT_E_NS1_11comp_targetILNS1_3genE2ELNS1_11target_archE906ELNS1_3gpuE6ELNS1_3repE0EEENS1_52radix_sort_onesweep_histogram_config_static_selectorELNS0_4arch9wavefront6targetE0EEEvSE_,comdat
.Lfunc_end2140:
	.size	_ZN7rocprim17ROCPRIM_400000_NS6detail17trampoline_kernelINS0_14default_configENS1_35radix_sort_onesweep_config_selectorI6__halfNS0_10empty_typeEEEZNS1_34radix_sort_onesweep_global_offsetsIS3_Lb1EPKS5_PS6_mNS0_19identity_decomposerEEE10hipError_tT1_T2_PT3_SG_jT4_jjP12ihipStream_tbEUlT_E_NS1_11comp_targetILNS1_3genE2ELNS1_11target_archE906ELNS1_3gpuE6ELNS1_3repE0EEENS1_52radix_sort_onesweep_histogram_config_static_selectorELNS0_4arch9wavefront6targetE0EEEvSE_, .Lfunc_end2140-_ZN7rocprim17ROCPRIM_400000_NS6detail17trampoline_kernelINS0_14default_configENS1_35radix_sort_onesweep_config_selectorI6__halfNS0_10empty_typeEEEZNS1_34radix_sort_onesweep_global_offsetsIS3_Lb1EPKS5_PS6_mNS0_19identity_decomposerEEE10hipError_tT1_T2_PT3_SG_jT4_jjP12ihipStream_tbEUlT_E_NS1_11comp_targetILNS1_3genE2ELNS1_11target_archE906ELNS1_3gpuE6ELNS1_3repE0EEENS1_52radix_sort_onesweep_histogram_config_static_selectorELNS0_4arch9wavefront6targetE0EEEvSE_
                                        ; -- End function
	.set _ZN7rocprim17ROCPRIM_400000_NS6detail17trampoline_kernelINS0_14default_configENS1_35radix_sort_onesweep_config_selectorI6__halfNS0_10empty_typeEEEZNS1_34radix_sort_onesweep_global_offsetsIS3_Lb1EPKS5_PS6_mNS0_19identity_decomposerEEE10hipError_tT1_T2_PT3_SG_jT4_jjP12ihipStream_tbEUlT_E_NS1_11comp_targetILNS1_3genE2ELNS1_11target_archE906ELNS1_3gpuE6ELNS1_3repE0EEENS1_52radix_sort_onesweep_histogram_config_static_selectorELNS0_4arch9wavefront6targetE0EEEvSE_.num_vgpr, 0
	.set _ZN7rocprim17ROCPRIM_400000_NS6detail17trampoline_kernelINS0_14default_configENS1_35radix_sort_onesweep_config_selectorI6__halfNS0_10empty_typeEEEZNS1_34radix_sort_onesweep_global_offsetsIS3_Lb1EPKS5_PS6_mNS0_19identity_decomposerEEE10hipError_tT1_T2_PT3_SG_jT4_jjP12ihipStream_tbEUlT_E_NS1_11comp_targetILNS1_3genE2ELNS1_11target_archE906ELNS1_3gpuE6ELNS1_3repE0EEENS1_52radix_sort_onesweep_histogram_config_static_selectorELNS0_4arch9wavefront6targetE0EEEvSE_.num_agpr, 0
	.set _ZN7rocprim17ROCPRIM_400000_NS6detail17trampoline_kernelINS0_14default_configENS1_35radix_sort_onesweep_config_selectorI6__halfNS0_10empty_typeEEEZNS1_34radix_sort_onesweep_global_offsetsIS3_Lb1EPKS5_PS6_mNS0_19identity_decomposerEEE10hipError_tT1_T2_PT3_SG_jT4_jjP12ihipStream_tbEUlT_E_NS1_11comp_targetILNS1_3genE2ELNS1_11target_archE906ELNS1_3gpuE6ELNS1_3repE0EEENS1_52radix_sort_onesweep_histogram_config_static_selectorELNS0_4arch9wavefront6targetE0EEEvSE_.numbered_sgpr, 0
	.set _ZN7rocprim17ROCPRIM_400000_NS6detail17trampoline_kernelINS0_14default_configENS1_35radix_sort_onesweep_config_selectorI6__halfNS0_10empty_typeEEEZNS1_34radix_sort_onesweep_global_offsetsIS3_Lb1EPKS5_PS6_mNS0_19identity_decomposerEEE10hipError_tT1_T2_PT3_SG_jT4_jjP12ihipStream_tbEUlT_E_NS1_11comp_targetILNS1_3genE2ELNS1_11target_archE906ELNS1_3gpuE6ELNS1_3repE0EEENS1_52radix_sort_onesweep_histogram_config_static_selectorELNS0_4arch9wavefront6targetE0EEEvSE_.num_named_barrier, 0
	.set _ZN7rocprim17ROCPRIM_400000_NS6detail17trampoline_kernelINS0_14default_configENS1_35radix_sort_onesweep_config_selectorI6__halfNS0_10empty_typeEEEZNS1_34radix_sort_onesweep_global_offsetsIS3_Lb1EPKS5_PS6_mNS0_19identity_decomposerEEE10hipError_tT1_T2_PT3_SG_jT4_jjP12ihipStream_tbEUlT_E_NS1_11comp_targetILNS1_3genE2ELNS1_11target_archE906ELNS1_3gpuE6ELNS1_3repE0EEENS1_52radix_sort_onesweep_histogram_config_static_selectorELNS0_4arch9wavefront6targetE0EEEvSE_.private_seg_size, 0
	.set _ZN7rocprim17ROCPRIM_400000_NS6detail17trampoline_kernelINS0_14default_configENS1_35radix_sort_onesweep_config_selectorI6__halfNS0_10empty_typeEEEZNS1_34radix_sort_onesweep_global_offsetsIS3_Lb1EPKS5_PS6_mNS0_19identity_decomposerEEE10hipError_tT1_T2_PT3_SG_jT4_jjP12ihipStream_tbEUlT_E_NS1_11comp_targetILNS1_3genE2ELNS1_11target_archE906ELNS1_3gpuE6ELNS1_3repE0EEENS1_52radix_sort_onesweep_histogram_config_static_selectorELNS0_4arch9wavefront6targetE0EEEvSE_.uses_vcc, 0
	.set _ZN7rocprim17ROCPRIM_400000_NS6detail17trampoline_kernelINS0_14default_configENS1_35radix_sort_onesweep_config_selectorI6__halfNS0_10empty_typeEEEZNS1_34radix_sort_onesweep_global_offsetsIS3_Lb1EPKS5_PS6_mNS0_19identity_decomposerEEE10hipError_tT1_T2_PT3_SG_jT4_jjP12ihipStream_tbEUlT_E_NS1_11comp_targetILNS1_3genE2ELNS1_11target_archE906ELNS1_3gpuE6ELNS1_3repE0EEENS1_52radix_sort_onesweep_histogram_config_static_selectorELNS0_4arch9wavefront6targetE0EEEvSE_.uses_flat_scratch, 0
	.set _ZN7rocprim17ROCPRIM_400000_NS6detail17trampoline_kernelINS0_14default_configENS1_35radix_sort_onesweep_config_selectorI6__halfNS0_10empty_typeEEEZNS1_34radix_sort_onesweep_global_offsetsIS3_Lb1EPKS5_PS6_mNS0_19identity_decomposerEEE10hipError_tT1_T2_PT3_SG_jT4_jjP12ihipStream_tbEUlT_E_NS1_11comp_targetILNS1_3genE2ELNS1_11target_archE906ELNS1_3gpuE6ELNS1_3repE0EEENS1_52radix_sort_onesweep_histogram_config_static_selectorELNS0_4arch9wavefront6targetE0EEEvSE_.has_dyn_sized_stack, 0
	.set _ZN7rocprim17ROCPRIM_400000_NS6detail17trampoline_kernelINS0_14default_configENS1_35radix_sort_onesweep_config_selectorI6__halfNS0_10empty_typeEEEZNS1_34radix_sort_onesweep_global_offsetsIS3_Lb1EPKS5_PS6_mNS0_19identity_decomposerEEE10hipError_tT1_T2_PT3_SG_jT4_jjP12ihipStream_tbEUlT_E_NS1_11comp_targetILNS1_3genE2ELNS1_11target_archE906ELNS1_3gpuE6ELNS1_3repE0EEENS1_52radix_sort_onesweep_histogram_config_static_selectorELNS0_4arch9wavefront6targetE0EEEvSE_.has_recursion, 0
	.set _ZN7rocprim17ROCPRIM_400000_NS6detail17trampoline_kernelINS0_14default_configENS1_35radix_sort_onesweep_config_selectorI6__halfNS0_10empty_typeEEEZNS1_34radix_sort_onesweep_global_offsetsIS3_Lb1EPKS5_PS6_mNS0_19identity_decomposerEEE10hipError_tT1_T2_PT3_SG_jT4_jjP12ihipStream_tbEUlT_E_NS1_11comp_targetILNS1_3genE2ELNS1_11target_archE906ELNS1_3gpuE6ELNS1_3repE0EEENS1_52radix_sort_onesweep_histogram_config_static_selectorELNS0_4arch9wavefront6targetE0EEEvSE_.has_indirect_call, 0
	.section	.AMDGPU.csdata,"",@progbits
; Kernel info:
; codeLenInByte = 0
; TotalNumSgprs: 0
; NumVgprs: 0
; ScratchSize: 0
; MemoryBound: 0
; FloatMode: 240
; IeeeMode: 1
; LDSByteSize: 0 bytes/workgroup (compile time only)
; SGPRBlocks: 0
; VGPRBlocks: 0
; NumSGPRsForWavesPerEU: 1
; NumVGPRsForWavesPerEU: 1
; NamedBarCnt: 0
; Occupancy: 16
; WaveLimiterHint : 0
; COMPUTE_PGM_RSRC2:SCRATCH_EN: 0
; COMPUTE_PGM_RSRC2:USER_SGPR: 2
; COMPUTE_PGM_RSRC2:TRAP_HANDLER: 0
; COMPUTE_PGM_RSRC2:TGID_X_EN: 1
; COMPUTE_PGM_RSRC2:TGID_Y_EN: 0
; COMPUTE_PGM_RSRC2:TGID_Z_EN: 0
; COMPUTE_PGM_RSRC2:TIDIG_COMP_CNT: 0
	.section	.text._ZN7rocprim17ROCPRIM_400000_NS6detail17trampoline_kernelINS0_14default_configENS1_35radix_sort_onesweep_config_selectorI6__halfNS0_10empty_typeEEEZNS1_34radix_sort_onesweep_global_offsetsIS3_Lb1EPKS5_PS6_mNS0_19identity_decomposerEEE10hipError_tT1_T2_PT3_SG_jT4_jjP12ihipStream_tbEUlT_E_NS1_11comp_targetILNS1_3genE4ELNS1_11target_archE910ELNS1_3gpuE8ELNS1_3repE0EEENS1_52radix_sort_onesweep_histogram_config_static_selectorELNS0_4arch9wavefront6targetE0EEEvSE_,"axG",@progbits,_ZN7rocprim17ROCPRIM_400000_NS6detail17trampoline_kernelINS0_14default_configENS1_35radix_sort_onesweep_config_selectorI6__halfNS0_10empty_typeEEEZNS1_34radix_sort_onesweep_global_offsetsIS3_Lb1EPKS5_PS6_mNS0_19identity_decomposerEEE10hipError_tT1_T2_PT3_SG_jT4_jjP12ihipStream_tbEUlT_E_NS1_11comp_targetILNS1_3genE4ELNS1_11target_archE910ELNS1_3gpuE8ELNS1_3repE0EEENS1_52radix_sort_onesweep_histogram_config_static_selectorELNS0_4arch9wavefront6targetE0EEEvSE_,comdat
	.protected	_ZN7rocprim17ROCPRIM_400000_NS6detail17trampoline_kernelINS0_14default_configENS1_35radix_sort_onesweep_config_selectorI6__halfNS0_10empty_typeEEEZNS1_34radix_sort_onesweep_global_offsetsIS3_Lb1EPKS5_PS6_mNS0_19identity_decomposerEEE10hipError_tT1_T2_PT3_SG_jT4_jjP12ihipStream_tbEUlT_E_NS1_11comp_targetILNS1_3genE4ELNS1_11target_archE910ELNS1_3gpuE8ELNS1_3repE0EEENS1_52radix_sort_onesweep_histogram_config_static_selectorELNS0_4arch9wavefront6targetE0EEEvSE_ ; -- Begin function _ZN7rocprim17ROCPRIM_400000_NS6detail17trampoline_kernelINS0_14default_configENS1_35radix_sort_onesweep_config_selectorI6__halfNS0_10empty_typeEEEZNS1_34radix_sort_onesweep_global_offsetsIS3_Lb1EPKS5_PS6_mNS0_19identity_decomposerEEE10hipError_tT1_T2_PT3_SG_jT4_jjP12ihipStream_tbEUlT_E_NS1_11comp_targetILNS1_3genE4ELNS1_11target_archE910ELNS1_3gpuE8ELNS1_3repE0EEENS1_52radix_sort_onesweep_histogram_config_static_selectorELNS0_4arch9wavefront6targetE0EEEvSE_
	.globl	_ZN7rocprim17ROCPRIM_400000_NS6detail17trampoline_kernelINS0_14default_configENS1_35radix_sort_onesweep_config_selectorI6__halfNS0_10empty_typeEEEZNS1_34radix_sort_onesweep_global_offsetsIS3_Lb1EPKS5_PS6_mNS0_19identity_decomposerEEE10hipError_tT1_T2_PT3_SG_jT4_jjP12ihipStream_tbEUlT_E_NS1_11comp_targetILNS1_3genE4ELNS1_11target_archE910ELNS1_3gpuE8ELNS1_3repE0EEENS1_52radix_sort_onesweep_histogram_config_static_selectorELNS0_4arch9wavefront6targetE0EEEvSE_
	.p2align	8
	.type	_ZN7rocprim17ROCPRIM_400000_NS6detail17trampoline_kernelINS0_14default_configENS1_35radix_sort_onesweep_config_selectorI6__halfNS0_10empty_typeEEEZNS1_34radix_sort_onesweep_global_offsetsIS3_Lb1EPKS5_PS6_mNS0_19identity_decomposerEEE10hipError_tT1_T2_PT3_SG_jT4_jjP12ihipStream_tbEUlT_E_NS1_11comp_targetILNS1_3genE4ELNS1_11target_archE910ELNS1_3gpuE8ELNS1_3repE0EEENS1_52radix_sort_onesweep_histogram_config_static_selectorELNS0_4arch9wavefront6targetE0EEEvSE_,@function
_ZN7rocprim17ROCPRIM_400000_NS6detail17trampoline_kernelINS0_14default_configENS1_35radix_sort_onesweep_config_selectorI6__halfNS0_10empty_typeEEEZNS1_34radix_sort_onesweep_global_offsetsIS3_Lb1EPKS5_PS6_mNS0_19identity_decomposerEEE10hipError_tT1_T2_PT3_SG_jT4_jjP12ihipStream_tbEUlT_E_NS1_11comp_targetILNS1_3genE4ELNS1_11target_archE910ELNS1_3gpuE8ELNS1_3repE0EEENS1_52radix_sort_onesweep_histogram_config_static_selectorELNS0_4arch9wavefront6targetE0EEEvSE_: ; @_ZN7rocprim17ROCPRIM_400000_NS6detail17trampoline_kernelINS0_14default_configENS1_35radix_sort_onesweep_config_selectorI6__halfNS0_10empty_typeEEEZNS1_34radix_sort_onesweep_global_offsetsIS3_Lb1EPKS5_PS6_mNS0_19identity_decomposerEEE10hipError_tT1_T2_PT3_SG_jT4_jjP12ihipStream_tbEUlT_E_NS1_11comp_targetILNS1_3genE4ELNS1_11target_archE910ELNS1_3gpuE8ELNS1_3repE0EEENS1_52radix_sort_onesweep_histogram_config_static_selectorELNS0_4arch9wavefront6targetE0EEEvSE_
; %bb.0:
	.section	.rodata,"a",@progbits
	.p2align	6, 0x0
	.amdhsa_kernel _ZN7rocprim17ROCPRIM_400000_NS6detail17trampoline_kernelINS0_14default_configENS1_35radix_sort_onesweep_config_selectorI6__halfNS0_10empty_typeEEEZNS1_34radix_sort_onesweep_global_offsetsIS3_Lb1EPKS5_PS6_mNS0_19identity_decomposerEEE10hipError_tT1_T2_PT3_SG_jT4_jjP12ihipStream_tbEUlT_E_NS1_11comp_targetILNS1_3genE4ELNS1_11target_archE910ELNS1_3gpuE8ELNS1_3repE0EEENS1_52radix_sort_onesweep_histogram_config_static_selectorELNS0_4arch9wavefront6targetE0EEEvSE_
		.amdhsa_group_segment_fixed_size 0
		.amdhsa_private_segment_fixed_size 0
		.amdhsa_kernarg_size 48
		.amdhsa_user_sgpr_count 2
		.amdhsa_user_sgpr_dispatch_ptr 0
		.amdhsa_user_sgpr_queue_ptr 0
		.amdhsa_user_sgpr_kernarg_segment_ptr 1
		.amdhsa_user_sgpr_dispatch_id 0
		.amdhsa_user_sgpr_kernarg_preload_length 0
		.amdhsa_user_sgpr_kernarg_preload_offset 0
		.amdhsa_user_sgpr_private_segment_size 0
		.amdhsa_wavefront_size32 1
		.amdhsa_uses_dynamic_stack 0
		.amdhsa_enable_private_segment 0
		.amdhsa_system_sgpr_workgroup_id_x 1
		.amdhsa_system_sgpr_workgroup_id_y 0
		.amdhsa_system_sgpr_workgroup_id_z 0
		.amdhsa_system_sgpr_workgroup_info 0
		.amdhsa_system_vgpr_workitem_id 0
		.amdhsa_next_free_vgpr 1
		.amdhsa_next_free_sgpr 1
		.amdhsa_named_barrier_count 0
		.amdhsa_reserve_vcc 0
		.amdhsa_float_round_mode_32 0
		.amdhsa_float_round_mode_16_64 0
		.amdhsa_float_denorm_mode_32 3
		.amdhsa_float_denorm_mode_16_64 3
		.amdhsa_fp16_overflow 0
		.amdhsa_memory_ordered 1
		.amdhsa_forward_progress 1
		.amdhsa_inst_pref_size 0
		.amdhsa_round_robin_scheduling 0
		.amdhsa_exception_fp_ieee_invalid_op 0
		.amdhsa_exception_fp_denorm_src 0
		.amdhsa_exception_fp_ieee_div_zero 0
		.amdhsa_exception_fp_ieee_overflow 0
		.amdhsa_exception_fp_ieee_underflow 0
		.amdhsa_exception_fp_ieee_inexact 0
		.amdhsa_exception_int_div_zero 0
	.end_amdhsa_kernel
	.section	.text._ZN7rocprim17ROCPRIM_400000_NS6detail17trampoline_kernelINS0_14default_configENS1_35radix_sort_onesweep_config_selectorI6__halfNS0_10empty_typeEEEZNS1_34radix_sort_onesweep_global_offsetsIS3_Lb1EPKS5_PS6_mNS0_19identity_decomposerEEE10hipError_tT1_T2_PT3_SG_jT4_jjP12ihipStream_tbEUlT_E_NS1_11comp_targetILNS1_3genE4ELNS1_11target_archE910ELNS1_3gpuE8ELNS1_3repE0EEENS1_52radix_sort_onesweep_histogram_config_static_selectorELNS0_4arch9wavefront6targetE0EEEvSE_,"axG",@progbits,_ZN7rocprim17ROCPRIM_400000_NS6detail17trampoline_kernelINS0_14default_configENS1_35radix_sort_onesweep_config_selectorI6__halfNS0_10empty_typeEEEZNS1_34radix_sort_onesweep_global_offsetsIS3_Lb1EPKS5_PS6_mNS0_19identity_decomposerEEE10hipError_tT1_T2_PT3_SG_jT4_jjP12ihipStream_tbEUlT_E_NS1_11comp_targetILNS1_3genE4ELNS1_11target_archE910ELNS1_3gpuE8ELNS1_3repE0EEENS1_52radix_sort_onesweep_histogram_config_static_selectorELNS0_4arch9wavefront6targetE0EEEvSE_,comdat
.Lfunc_end2141:
	.size	_ZN7rocprim17ROCPRIM_400000_NS6detail17trampoline_kernelINS0_14default_configENS1_35radix_sort_onesweep_config_selectorI6__halfNS0_10empty_typeEEEZNS1_34radix_sort_onesweep_global_offsetsIS3_Lb1EPKS5_PS6_mNS0_19identity_decomposerEEE10hipError_tT1_T2_PT3_SG_jT4_jjP12ihipStream_tbEUlT_E_NS1_11comp_targetILNS1_3genE4ELNS1_11target_archE910ELNS1_3gpuE8ELNS1_3repE0EEENS1_52radix_sort_onesweep_histogram_config_static_selectorELNS0_4arch9wavefront6targetE0EEEvSE_, .Lfunc_end2141-_ZN7rocprim17ROCPRIM_400000_NS6detail17trampoline_kernelINS0_14default_configENS1_35radix_sort_onesweep_config_selectorI6__halfNS0_10empty_typeEEEZNS1_34radix_sort_onesweep_global_offsetsIS3_Lb1EPKS5_PS6_mNS0_19identity_decomposerEEE10hipError_tT1_T2_PT3_SG_jT4_jjP12ihipStream_tbEUlT_E_NS1_11comp_targetILNS1_3genE4ELNS1_11target_archE910ELNS1_3gpuE8ELNS1_3repE0EEENS1_52radix_sort_onesweep_histogram_config_static_selectorELNS0_4arch9wavefront6targetE0EEEvSE_
                                        ; -- End function
	.set _ZN7rocprim17ROCPRIM_400000_NS6detail17trampoline_kernelINS0_14default_configENS1_35radix_sort_onesweep_config_selectorI6__halfNS0_10empty_typeEEEZNS1_34radix_sort_onesweep_global_offsetsIS3_Lb1EPKS5_PS6_mNS0_19identity_decomposerEEE10hipError_tT1_T2_PT3_SG_jT4_jjP12ihipStream_tbEUlT_E_NS1_11comp_targetILNS1_3genE4ELNS1_11target_archE910ELNS1_3gpuE8ELNS1_3repE0EEENS1_52radix_sort_onesweep_histogram_config_static_selectorELNS0_4arch9wavefront6targetE0EEEvSE_.num_vgpr, 0
	.set _ZN7rocprim17ROCPRIM_400000_NS6detail17trampoline_kernelINS0_14default_configENS1_35radix_sort_onesweep_config_selectorI6__halfNS0_10empty_typeEEEZNS1_34radix_sort_onesweep_global_offsetsIS3_Lb1EPKS5_PS6_mNS0_19identity_decomposerEEE10hipError_tT1_T2_PT3_SG_jT4_jjP12ihipStream_tbEUlT_E_NS1_11comp_targetILNS1_3genE4ELNS1_11target_archE910ELNS1_3gpuE8ELNS1_3repE0EEENS1_52radix_sort_onesweep_histogram_config_static_selectorELNS0_4arch9wavefront6targetE0EEEvSE_.num_agpr, 0
	.set _ZN7rocprim17ROCPRIM_400000_NS6detail17trampoline_kernelINS0_14default_configENS1_35radix_sort_onesweep_config_selectorI6__halfNS0_10empty_typeEEEZNS1_34radix_sort_onesweep_global_offsetsIS3_Lb1EPKS5_PS6_mNS0_19identity_decomposerEEE10hipError_tT1_T2_PT3_SG_jT4_jjP12ihipStream_tbEUlT_E_NS1_11comp_targetILNS1_3genE4ELNS1_11target_archE910ELNS1_3gpuE8ELNS1_3repE0EEENS1_52radix_sort_onesweep_histogram_config_static_selectorELNS0_4arch9wavefront6targetE0EEEvSE_.numbered_sgpr, 0
	.set _ZN7rocprim17ROCPRIM_400000_NS6detail17trampoline_kernelINS0_14default_configENS1_35radix_sort_onesweep_config_selectorI6__halfNS0_10empty_typeEEEZNS1_34radix_sort_onesweep_global_offsetsIS3_Lb1EPKS5_PS6_mNS0_19identity_decomposerEEE10hipError_tT1_T2_PT3_SG_jT4_jjP12ihipStream_tbEUlT_E_NS1_11comp_targetILNS1_3genE4ELNS1_11target_archE910ELNS1_3gpuE8ELNS1_3repE0EEENS1_52radix_sort_onesweep_histogram_config_static_selectorELNS0_4arch9wavefront6targetE0EEEvSE_.num_named_barrier, 0
	.set _ZN7rocprim17ROCPRIM_400000_NS6detail17trampoline_kernelINS0_14default_configENS1_35radix_sort_onesweep_config_selectorI6__halfNS0_10empty_typeEEEZNS1_34radix_sort_onesweep_global_offsetsIS3_Lb1EPKS5_PS6_mNS0_19identity_decomposerEEE10hipError_tT1_T2_PT3_SG_jT4_jjP12ihipStream_tbEUlT_E_NS1_11comp_targetILNS1_3genE4ELNS1_11target_archE910ELNS1_3gpuE8ELNS1_3repE0EEENS1_52radix_sort_onesweep_histogram_config_static_selectorELNS0_4arch9wavefront6targetE0EEEvSE_.private_seg_size, 0
	.set _ZN7rocprim17ROCPRIM_400000_NS6detail17trampoline_kernelINS0_14default_configENS1_35radix_sort_onesweep_config_selectorI6__halfNS0_10empty_typeEEEZNS1_34radix_sort_onesweep_global_offsetsIS3_Lb1EPKS5_PS6_mNS0_19identity_decomposerEEE10hipError_tT1_T2_PT3_SG_jT4_jjP12ihipStream_tbEUlT_E_NS1_11comp_targetILNS1_3genE4ELNS1_11target_archE910ELNS1_3gpuE8ELNS1_3repE0EEENS1_52radix_sort_onesweep_histogram_config_static_selectorELNS0_4arch9wavefront6targetE0EEEvSE_.uses_vcc, 0
	.set _ZN7rocprim17ROCPRIM_400000_NS6detail17trampoline_kernelINS0_14default_configENS1_35radix_sort_onesweep_config_selectorI6__halfNS0_10empty_typeEEEZNS1_34radix_sort_onesweep_global_offsetsIS3_Lb1EPKS5_PS6_mNS0_19identity_decomposerEEE10hipError_tT1_T2_PT3_SG_jT4_jjP12ihipStream_tbEUlT_E_NS1_11comp_targetILNS1_3genE4ELNS1_11target_archE910ELNS1_3gpuE8ELNS1_3repE0EEENS1_52radix_sort_onesweep_histogram_config_static_selectorELNS0_4arch9wavefront6targetE0EEEvSE_.uses_flat_scratch, 0
	.set _ZN7rocprim17ROCPRIM_400000_NS6detail17trampoline_kernelINS0_14default_configENS1_35radix_sort_onesweep_config_selectorI6__halfNS0_10empty_typeEEEZNS1_34radix_sort_onesweep_global_offsetsIS3_Lb1EPKS5_PS6_mNS0_19identity_decomposerEEE10hipError_tT1_T2_PT3_SG_jT4_jjP12ihipStream_tbEUlT_E_NS1_11comp_targetILNS1_3genE4ELNS1_11target_archE910ELNS1_3gpuE8ELNS1_3repE0EEENS1_52radix_sort_onesweep_histogram_config_static_selectorELNS0_4arch9wavefront6targetE0EEEvSE_.has_dyn_sized_stack, 0
	.set _ZN7rocprim17ROCPRIM_400000_NS6detail17trampoline_kernelINS0_14default_configENS1_35radix_sort_onesweep_config_selectorI6__halfNS0_10empty_typeEEEZNS1_34radix_sort_onesweep_global_offsetsIS3_Lb1EPKS5_PS6_mNS0_19identity_decomposerEEE10hipError_tT1_T2_PT3_SG_jT4_jjP12ihipStream_tbEUlT_E_NS1_11comp_targetILNS1_3genE4ELNS1_11target_archE910ELNS1_3gpuE8ELNS1_3repE0EEENS1_52radix_sort_onesweep_histogram_config_static_selectorELNS0_4arch9wavefront6targetE0EEEvSE_.has_recursion, 0
	.set _ZN7rocprim17ROCPRIM_400000_NS6detail17trampoline_kernelINS0_14default_configENS1_35radix_sort_onesweep_config_selectorI6__halfNS0_10empty_typeEEEZNS1_34radix_sort_onesweep_global_offsetsIS3_Lb1EPKS5_PS6_mNS0_19identity_decomposerEEE10hipError_tT1_T2_PT3_SG_jT4_jjP12ihipStream_tbEUlT_E_NS1_11comp_targetILNS1_3genE4ELNS1_11target_archE910ELNS1_3gpuE8ELNS1_3repE0EEENS1_52radix_sort_onesweep_histogram_config_static_selectorELNS0_4arch9wavefront6targetE0EEEvSE_.has_indirect_call, 0
	.section	.AMDGPU.csdata,"",@progbits
; Kernel info:
; codeLenInByte = 0
; TotalNumSgprs: 0
; NumVgprs: 0
; ScratchSize: 0
; MemoryBound: 0
; FloatMode: 240
; IeeeMode: 1
; LDSByteSize: 0 bytes/workgroup (compile time only)
; SGPRBlocks: 0
; VGPRBlocks: 0
; NumSGPRsForWavesPerEU: 1
; NumVGPRsForWavesPerEU: 1
; NamedBarCnt: 0
; Occupancy: 16
; WaveLimiterHint : 0
; COMPUTE_PGM_RSRC2:SCRATCH_EN: 0
; COMPUTE_PGM_RSRC2:USER_SGPR: 2
; COMPUTE_PGM_RSRC2:TRAP_HANDLER: 0
; COMPUTE_PGM_RSRC2:TGID_X_EN: 1
; COMPUTE_PGM_RSRC2:TGID_Y_EN: 0
; COMPUTE_PGM_RSRC2:TGID_Z_EN: 0
; COMPUTE_PGM_RSRC2:TIDIG_COMP_CNT: 0
	.section	.text._ZN7rocprim17ROCPRIM_400000_NS6detail17trampoline_kernelINS0_14default_configENS1_35radix_sort_onesweep_config_selectorI6__halfNS0_10empty_typeEEEZNS1_34radix_sort_onesweep_global_offsetsIS3_Lb1EPKS5_PS6_mNS0_19identity_decomposerEEE10hipError_tT1_T2_PT3_SG_jT4_jjP12ihipStream_tbEUlT_E_NS1_11comp_targetILNS1_3genE3ELNS1_11target_archE908ELNS1_3gpuE7ELNS1_3repE0EEENS1_52radix_sort_onesweep_histogram_config_static_selectorELNS0_4arch9wavefront6targetE0EEEvSE_,"axG",@progbits,_ZN7rocprim17ROCPRIM_400000_NS6detail17trampoline_kernelINS0_14default_configENS1_35radix_sort_onesweep_config_selectorI6__halfNS0_10empty_typeEEEZNS1_34radix_sort_onesweep_global_offsetsIS3_Lb1EPKS5_PS6_mNS0_19identity_decomposerEEE10hipError_tT1_T2_PT3_SG_jT4_jjP12ihipStream_tbEUlT_E_NS1_11comp_targetILNS1_3genE3ELNS1_11target_archE908ELNS1_3gpuE7ELNS1_3repE0EEENS1_52radix_sort_onesweep_histogram_config_static_selectorELNS0_4arch9wavefront6targetE0EEEvSE_,comdat
	.protected	_ZN7rocprim17ROCPRIM_400000_NS6detail17trampoline_kernelINS0_14default_configENS1_35radix_sort_onesweep_config_selectorI6__halfNS0_10empty_typeEEEZNS1_34radix_sort_onesweep_global_offsetsIS3_Lb1EPKS5_PS6_mNS0_19identity_decomposerEEE10hipError_tT1_T2_PT3_SG_jT4_jjP12ihipStream_tbEUlT_E_NS1_11comp_targetILNS1_3genE3ELNS1_11target_archE908ELNS1_3gpuE7ELNS1_3repE0EEENS1_52radix_sort_onesweep_histogram_config_static_selectorELNS0_4arch9wavefront6targetE0EEEvSE_ ; -- Begin function _ZN7rocprim17ROCPRIM_400000_NS6detail17trampoline_kernelINS0_14default_configENS1_35radix_sort_onesweep_config_selectorI6__halfNS0_10empty_typeEEEZNS1_34radix_sort_onesweep_global_offsetsIS3_Lb1EPKS5_PS6_mNS0_19identity_decomposerEEE10hipError_tT1_T2_PT3_SG_jT4_jjP12ihipStream_tbEUlT_E_NS1_11comp_targetILNS1_3genE3ELNS1_11target_archE908ELNS1_3gpuE7ELNS1_3repE0EEENS1_52radix_sort_onesweep_histogram_config_static_selectorELNS0_4arch9wavefront6targetE0EEEvSE_
	.globl	_ZN7rocprim17ROCPRIM_400000_NS6detail17trampoline_kernelINS0_14default_configENS1_35radix_sort_onesweep_config_selectorI6__halfNS0_10empty_typeEEEZNS1_34radix_sort_onesweep_global_offsetsIS3_Lb1EPKS5_PS6_mNS0_19identity_decomposerEEE10hipError_tT1_T2_PT3_SG_jT4_jjP12ihipStream_tbEUlT_E_NS1_11comp_targetILNS1_3genE3ELNS1_11target_archE908ELNS1_3gpuE7ELNS1_3repE0EEENS1_52radix_sort_onesweep_histogram_config_static_selectorELNS0_4arch9wavefront6targetE0EEEvSE_
	.p2align	8
	.type	_ZN7rocprim17ROCPRIM_400000_NS6detail17trampoline_kernelINS0_14default_configENS1_35radix_sort_onesweep_config_selectorI6__halfNS0_10empty_typeEEEZNS1_34radix_sort_onesweep_global_offsetsIS3_Lb1EPKS5_PS6_mNS0_19identity_decomposerEEE10hipError_tT1_T2_PT3_SG_jT4_jjP12ihipStream_tbEUlT_E_NS1_11comp_targetILNS1_3genE3ELNS1_11target_archE908ELNS1_3gpuE7ELNS1_3repE0EEENS1_52radix_sort_onesweep_histogram_config_static_selectorELNS0_4arch9wavefront6targetE0EEEvSE_,@function
_ZN7rocprim17ROCPRIM_400000_NS6detail17trampoline_kernelINS0_14default_configENS1_35radix_sort_onesweep_config_selectorI6__halfNS0_10empty_typeEEEZNS1_34radix_sort_onesweep_global_offsetsIS3_Lb1EPKS5_PS6_mNS0_19identity_decomposerEEE10hipError_tT1_T2_PT3_SG_jT4_jjP12ihipStream_tbEUlT_E_NS1_11comp_targetILNS1_3genE3ELNS1_11target_archE908ELNS1_3gpuE7ELNS1_3repE0EEENS1_52radix_sort_onesweep_histogram_config_static_selectorELNS0_4arch9wavefront6targetE0EEEvSE_: ; @_ZN7rocprim17ROCPRIM_400000_NS6detail17trampoline_kernelINS0_14default_configENS1_35radix_sort_onesweep_config_selectorI6__halfNS0_10empty_typeEEEZNS1_34radix_sort_onesweep_global_offsetsIS3_Lb1EPKS5_PS6_mNS0_19identity_decomposerEEE10hipError_tT1_T2_PT3_SG_jT4_jjP12ihipStream_tbEUlT_E_NS1_11comp_targetILNS1_3genE3ELNS1_11target_archE908ELNS1_3gpuE7ELNS1_3repE0EEENS1_52radix_sort_onesweep_histogram_config_static_selectorELNS0_4arch9wavefront6targetE0EEEvSE_
; %bb.0:
	.section	.rodata,"a",@progbits
	.p2align	6, 0x0
	.amdhsa_kernel _ZN7rocprim17ROCPRIM_400000_NS6detail17trampoline_kernelINS0_14default_configENS1_35radix_sort_onesweep_config_selectorI6__halfNS0_10empty_typeEEEZNS1_34radix_sort_onesweep_global_offsetsIS3_Lb1EPKS5_PS6_mNS0_19identity_decomposerEEE10hipError_tT1_T2_PT3_SG_jT4_jjP12ihipStream_tbEUlT_E_NS1_11comp_targetILNS1_3genE3ELNS1_11target_archE908ELNS1_3gpuE7ELNS1_3repE0EEENS1_52radix_sort_onesweep_histogram_config_static_selectorELNS0_4arch9wavefront6targetE0EEEvSE_
		.amdhsa_group_segment_fixed_size 0
		.amdhsa_private_segment_fixed_size 0
		.amdhsa_kernarg_size 48
		.amdhsa_user_sgpr_count 2
		.amdhsa_user_sgpr_dispatch_ptr 0
		.amdhsa_user_sgpr_queue_ptr 0
		.amdhsa_user_sgpr_kernarg_segment_ptr 1
		.amdhsa_user_sgpr_dispatch_id 0
		.amdhsa_user_sgpr_kernarg_preload_length 0
		.amdhsa_user_sgpr_kernarg_preload_offset 0
		.amdhsa_user_sgpr_private_segment_size 0
		.amdhsa_wavefront_size32 1
		.amdhsa_uses_dynamic_stack 0
		.amdhsa_enable_private_segment 0
		.amdhsa_system_sgpr_workgroup_id_x 1
		.amdhsa_system_sgpr_workgroup_id_y 0
		.amdhsa_system_sgpr_workgroup_id_z 0
		.amdhsa_system_sgpr_workgroup_info 0
		.amdhsa_system_vgpr_workitem_id 0
		.amdhsa_next_free_vgpr 1
		.amdhsa_next_free_sgpr 1
		.amdhsa_named_barrier_count 0
		.amdhsa_reserve_vcc 0
		.amdhsa_float_round_mode_32 0
		.amdhsa_float_round_mode_16_64 0
		.amdhsa_float_denorm_mode_32 3
		.amdhsa_float_denorm_mode_16_64 3
		.amdhsa_fp16_overflow 0
		.amdhsa_memory_ordered 1
		.amdhsa_forward_progress 1
		.amdhsa_inst_pref_size 0
		.amdhsa_round_robin_scheduling 0
		.amdhsa_exception_fp_ieee_invalid_op 0
		.amdhsa_exception_fp_denorm_src 0
		.amdhsa_exception_fp_ieee_div_zero 0
		.amdhsa_exception_fp_ieee_overflow 0
		.amdhsa_exception_fp_ieee_underflow 0
		.amdhsa_exception_fp_ieee_inexact 0
		.amdhsa_exception_int_div_zero 0
	.end_amdhsa_kernel
	.section	.text._ZN7rocprim17ROCPRIM_400000_NS6detail17trampoline_kernelINS0_14default_configENS1_35radix_sort_onesweep_config_selectorI6__halfNS0_10empty_typeEEEZNS1_34radix_sort_onesweep_global_offsetsIS3_Lb1EPKS5_PS6_mNS0_19identity_decomposerEEE10hipError_tT1_T2_PT3_SG_jT4_jjP12ihipStream_tbEUlT_E_NS1_11comp_targetILNS1_3genE3ELNS1_11target_archE908ELNS1_3gpuE7ELNS1_3repE0EEENS1_52radix_sort_onesweep_histogram_config_static_selectorELNS0_4arch9wavefront6targetE0EEEvSE_,"axG",@progbits,_ZN7rocprim17ROCPRIM_400000_NS6detail17trampoline_kernelINS0_14default_configENS1_35radix_sort_onesweep_config_selectorI6__halfNS0_10empty_typeEEEZNS1_34radix_sort_onesweep_global_offsetsIS3_Lb1EPKS5_PS6_mNS0_19identity_decomposerEEE10hipError_tT1_T2_PT3_SG_jT4_jjP12ihipStream_tbEUlT_E_NS1_11comp_targetILNS1_3genE3ELNS1_11target_archE908ELNS1_3gpuE7ELNS1_3repE0EEENS1_52radix_sort_onesweep_histogram_config_static_selectorELNS0_4arch9wavefront6targetE0EEEvSE_,comdat
.Lfunc_end2142:
	.size	_ZN7rocprim17ROCPRIM_400000_NS6detail17trampoline_kernelINS0_14default_configENS1_35radix_sort_onesweep_config_selectorI6__halfNS0_10empty_typeEEEZNS1_34radix_sort_onesweep_global_offsetsIS3_Lb1EPKS5_PS6_mNS0_19identity_decomposerEEE10hipError_tT1_T2_PT3_SG_jT4_jjP12ihipStream_tbEUlT_E_NS1_11comp_targetILNS1_3genE3ELNS1_11target_archE908ELNS1_3gpuE7ELNS1_3repE0EEENS1_52radix_sort_onesweep_histogram_config_static_selectorELNS0_4arch9wavefront6targetE0EEEvSE_, .Lfunc_end2142-_ZN7rocprim17ROCPRIM_400000_NS6detail17trampoline_kernelINS0_14default_configENS1_35radix_sort_onesweep_config_selectorI6__halfNS0_10empty_typeEEEZNS1_34radix_sort_onesweep_global_offsetsIS3_Lb1EPKS5_PS6_mNS0_19identity_decomposerEEE10hipError_tT1_T2_PT3_SG_jT4_jjP12ihipStream_tbEUlT_E_NS1_11comp_targetILNS1_3genE3ELNS1_11target_archE908ELNS1_3gpuE7ELNS1_3repE0EEENS1_52radix_sort_onesweep_histogram_config_static_selectorELNS0_4arch9wavefront6targetE0EEEvSE_
                                        ; -- End function
	.set _ZN7rocprim17ROCPRIM_400000_NS6detail17trampoline_kernelINS0_14default_configENS1_35radix_sort_onesweep_config_selectorI6__halfNS0_10empty_typeEEEZNS1_34radix_sort_onesweep_global_offsetsIS3_Lb1EPKS5_PS6_mNS0_19identity_decomposerEEE10hipError_tT1_T2_PT3_SG_jT4_jjP12ihipStream_tbEUlT_E_NS1_11comp_targetILNS1_3genE3ELNS1_11target_archE908ELNS1_3gpuE7ELNS1_3repE0EEENS1_52radix_sort_onesweep_histogram_config_static_selectorELNS0_4arch9wavefront6targetE0EEEvSE_.num_vgpr, 0
	.set _ZN7rocprim17ROCPRIM_400000_NS6detail17trampoline_kernelINS0_14default_configENS1_35radix_sort_onesweep_config_selectorI6__halfNS0_10empty_typeEEEZNS1_34radix_sort_onesweep_global_offsetsIS3_Lb1EPKS5_PS6_mNS0_19identity_decomposerEEE10hipError_tT1_T2_PT3_SG_jT4_jjP12ihipStream_tbEUlT_E_NS1_11comp_targetILNS1_3genE3ELNS1_11target_archE908ELNS1_3gpuE7ELNS1_3repE0EEENS1_52radix_sort_onesweep_histogram_config_static_selectorELNS0_4arch9wavefront6targetE0EEEvSE_.num_agpr, 0
	.set _ZN7rocprim17ROCPRIM_400000_NS6detail17trampoline_kernelINS0_14default_configENS1_35radix_sort_onesweep_config_selectorI6__halfNS0_10empty_typeEEEZNS1_34radix_sort_onesweep_global_offsetsIS3_Lb1EPKS5_PS6_mNS0_19identity_decomposerEEE10hipError_tT1_T2_PT3_SG_jT4_jjP12ihipStream_tbEUlT_E_NS1_11comp_targetILNS1_3genE3ELNS1_11target_archE908ELNS1_3gpuE7ELNS1_3repE0EEENS1_52radix_sort_onesweep_histogram_config_static_selectorELNS0_4arch9wavefront6targetE0EEEvSE_.numbered_sgpr, 0
	.set _ZN7rocprim17ROCPRIM_400000_NS6detail17trampoline_kernelINS0_14default_configENS1_35radix_sort_onesweep_config_selectorI6__halfNS0_10empty_typeEEEZNS1_34radix_sort_onesweep_global_offsetsIS3_Lb1EPKS5_PS6_mNS0_19identity_decomposerEEE10hipError_tT1_T2_PT3_SG_jT4_jjP12ihipStream_tbEUlT_E_NS1_11comp_targetILNS1_3genE3ELNS1_11target_archE908ELNS1_3gpuE7ELNS1_3repE0EEENS1_52radix_sort_onesweep_histogram_config_static_selectorELNS0_4arch9wavefront6targetE0EEEvSE_.num_named_barrier, 0
	.set _ZN7rocprim17ROCPRIM_400000_NS6detail17trampoline_kernelINS0_14default_configENS1_35radix_sort_onesweep_config_selectorI6__halfNS0_10empty_typeEEEZNS1_34radix_sort_onesweep_global_offsetsIS3_Lb1EPKS5_PS6_mNS0_19identity_decomposerEEE10hipError_tT1_T2_PT3_SG_jT4_jjP12ihipStream_tbEUlT_E_NS1_11comp_targetILNS1_3genE3ELNS1_11target_archE908ELNS1_3gpuE7ELNS1_3repE0EEENS1_52radix_sort_onesweep_histogram_config_static_selectorELNS0_4arch9wavefront6targetE0EEEvSE_.private_seg_size, 0
	.set _ZN7rocprim17ROCPRIM_400000_NS6detail17trampoline_kernelINS0_14default_configENS1_35radix_sort_onesweep_config_selectorI6__halfNS0_10empty_typeEEEZNS1_34radix_sort_onesweep_global_offsetsIS3_Lb1EPKS5_PS6_mNS0_19identity_decomposerEEE10hipError_tT1_T2_PT3_SG_jT4_jjP12ihipStream_tbEUlT_E_NS1_11comp_targetILNS1_3genE3ELNS1_11target_archE908ELNS1_3gpuE7ELNS1_3repE0EEENS1_52radix_sort_onesweep_histogram_config_static_selectorELNS0_4arch9wavefront6targetE0EEEvSE_.uses_vcc, 0
	.set _ZN7rocprim17ROCPRIM_400000_NS6detail17trampoline_kernelINS0_14default_configENS1_35radix_sort_onesweep_config_selectorI6__halfNS0_10empty_typeEEEZNS1_34radix_sort_onesweep_global_offsetsIS3_Lb1EPKS5_PS6_mNS0_19identity_decomposerEEE10hipError_tT1_T2_PT3_SG_jT4_jjP12ihipStream_tbEUlT_E_NS1_11comp_targetILNS1_3genE3ELNS1_11target_archE908ELNS1_3gpuE7ELNS1_3repE0EEENS1_52radix_sort_onesweep_histogram_config_static_selectorELNS0_4arch9wavefront6targetE0EEEvSE_.uses_flat_scratch, 0
	.set _ZN7rocprim17ROCPRIM_400000_NS6detail17trampoline_kernelINS0_14default_configENS1_35radix_sort_onesweep_config_selectorI6__halfNS0_10empty_typeEEEZNS1_34radix_sort_onesweep_global_offsetsIS3_Lb1EPKS5_PS6_mNS0_19identity_decomposerEEE10hipError_tT1_T2_PT3_SG_jT4_jjP12ihipStream_tbEUlT_E_NS1_11comp_targetILNS1_3genE3ELNS1_11target_archE908ELNS1_3gpuE7ELNS1_3repE0EEENS1_52radix_sort_onesweep_histogram_config_static_selectorELNS0_4arch9wavefront6targetE0EEEvSE_.has_dyn_sized_stack, 0
	.set _ZN7rocprim17ROCPRIM_400000_NS6detail17trampoline_kernelINS0_14default_configENS1_35radix_sort_onesweep_config_selectorI6__halfNS0_10empty_typeEEEZNS1_34radix_sort_onesweep_global_offsetsIS3_Lb1EPKS5_PS6_mNS0_19identity_decomposerEEE10hipError_tT1_T2_PT3_SG_jT4_jjP12ihipStream_tbEUlT_E_NS1_11comp_targetILNS1_3genE3ELNS1_11target_archE908ELNS1_3gpuE7ELNS1_3repE0EEENS1_52radix_sort_onesweep_histogram_config_static_selectorELNS0_4arch9wavefront6targetE0EEEvSE_.has_recursion, 0
	.set _ZN7rocprim17ROCPRIM_400000_NS6detail17trampoline_kernelINS0_14default_configENS1_35radix_sort_onesweep_config_selectorI6__halfNS0_10empty_typeEEEZNS1_34radix_sort_onesweep_global_offsetsIS3_Lb1EPKS5_PS6_mNS0_19identity_decomposerEEE10hipError_tT1_T2_PT3_SG_jT4_jjP12ihipStream_tbEUlT_E_NS1_11comp_targetILNS1_3genE3ELNS1_11target_archE908ELNS1_3gpuE7ELNS1_3repE0EEENS1_52radix_sort_onesweep_histogram_config_static_selectorELNS0_4arch9wavefront6targetE0EEEvSE_.has_indirect_call, 0
	.section	.AMDGPU.csdata,"",@progbits
; Kernel info:
; codeLenInByte = 0
; TotalNumSgprs: 0
; NumVgprs: 0
; ScratchSize: 0
; MemoryBound: 0
; FloatMode: 240
; IeeeMode: 1
; LDSByteSize: 0 bytes/workgroup (compile time only)
; SGPRBlocks: 0
; VGPRBlocks: 0
; NumSGPRsForWavesPerEU: 1
; NumVGPRsForWavesPerEU: 1
; NamedBarCnt: 0
; Occupancy: 16
; WaveLimiterHint : 0
; COMPUTE_PGM_RSRC2:SCRATCH_EN: 0
; COMPUTE_PGM_RSRC2:USER_SGPR: 2
; COMPUTE_PGM_RSRC2:TRAP_HANDLER: 0
; COMPUTE_PGM_RSRC2:TGID_X_EN: 1
; COMPUTE_PGM_RSRC2:TGID_Y_EN: 0
; COMPUTE_PGM_RSRC2:TGID_Z_EN: 0
; COMPUTE_PGM_RSRC2:TIDIG_COMP_CNT: 0
	.section	.text._ZN7rocprim17ROCPRIM_400000_NS6detail17trampoline_kernelINS0_14default_configENS1_35radix_sort_onesweep_config_selectorI6__halfNS0_10empty_typeEEEZNS1_34radix_sort_onesweep_global_offsetsIS3_Lb1EPKS5_PS6_mNS0_19identity_decomposerEEE10hipError_tT1_T2_PT3_SG_jT4_jjP12ihipStream_tbEUlT_E_NS1_11comp_targetILNS1_3genE10ELNS1_11target_archE1201ELNS1_3gpuE5ELNS1_3repE0EEENS1_52radix_sort_onesweep_histogram_config_static_selectorELNS0_4arch9wavefront6targetE0EEEvSE_,"axG",@progbits,_ZN7rocprim17ROCPRIM_400000_NS6detail17trampoline_kernelINS0_14default_configENS1_35radix_sort_onesweep_config_selectorI6__halfNS0_10empty_typeEEEZNS1_34radix_sort_onesweep_global_offsetsIS3_Lb1EPKS5_PS6_mNS0_19identity_decomposerEEE10hipError_tT1_T2_PT3_SG_jT4_jjP12ihipStream_tbEUlT_E_NS1_11comp_targetILNS1_3genE10ELNS1_11target_archE1201ELNS1_3gpuE5ELNS1_3repE0EEENS1_52radix_sort_onesweep_histogram_config_static_selectorELNS0_4arch9wavefront6targetE0EEEvSE_,comdat
	.protected	_ZN7rocprim17ROCPRIM_400000_NS6detail17trampoline_kernelINS0_14default_configENS1_35radix_sort_onesweep_config_selectorI6__halfNS0_10empty_typeEEEZNS1_34radix_sort_onesweep_global_offsetsIS3_Lb1EPKS5_PS6_mNS0_19identity_decomposerEEE10hipError_tT1_T2_PT3_SG_jT4_jjP12ihipStream_tbEUlT_E_NS1_11comp_targetILNS1_3genE10ELNS1_11target_archE1201ELNS1_3gpuE5ELNS1_3repE0EEENS1_52radix_sort_onesweep_histogram_config_static_selectorELNS0_4arch9wavefront6targetE0EEEvSE_ ; -- Begin function _ZN7rocprim17ROCPRIM_400000_NS6detail17trampoline_kernelINS0_14default_configENS1_35radix_sort_onesweep_config_selectorI6__halfNS0_10empty_typeEEEZNS1_34radix_sort_onesweep_global_offsetsIS3_Lb1EPKS5_PS6_mNS0_19identity_decomposerEEE10hipError_tT1_T2_PT3_SG_jT4_jjP12ihipStream_tbEUlT_E_NS1_11comp_targetILNS1_3genE10ELNS1_11target_archE1201ELNS1_3gpuE5ELNS1_3repE0EEENS1_52radix_sort_onesweep_histogram_config_static_selectorELNS0_4arch9wavefront6targetE0EEEvSE_
	.globl	_ZN7rocprim17ROCPRIM_400000_NS6detail17trampoline_kernelINS0_14default_configENS1_35radix_sort_onesweep_config_selectorI6__halfNS0_10empty_typeEEEZNS1_34radix_sort_onesweep_global_offsetsIS3_Lb1EPKS5_PS6_mNS0_19identity_decomposerEEE10hipError_tT1_T2_PT3_SG_jT4_jjP12ihipStream_tbEUlT_E_NS1_11comp_targetILNS1_3genE10ELNS1_11target_archE1201ELNS1_3gpuE5ELNS1_3repE0EEENS1_52radix_sort_onesweep_histogram_config_static_selectorELNS0_4arch9wavefront6targetE0EEEvSE_
	.p2align	8
	.type	_ZN7rocprim17ROCPRIM_400000_NS6detail17trampoline_kernelINS0_14default_configENS1_35radix_sort_onesweep_config_selectorI6__halfNS0_10empty_typeEEEZNS1_34radix_sort_onesweep_global_offsetsIS3_Lb1EPKS5_PS6_mNS0_19identity_decomposerEEE10hipError_tT1_T2_PT3_SG_jT4_jjP12ihipStream_tbEUlT_E_NS1_11comp_targetILNS1_3genE10ELNS1_11target_archE1201ELNS1_3gpuE5ELNS1_3repE0EEENS1_52radix_sort_onesweep_histogram_config_static_selectorELNS0_4arch9wavefront6targetE0EEEvSE_,@function
_ZN7rocprim17ROCPRIM_400000_NS6detail17trampoline_kernelINS0_14default_configENS1_35radix_sort_onesweep_config_selectorI6__halfNS0_10empty_typeEEEZNS1_34radix_sort_onesweep_global_offsetsIS3_Lb1EPKS5_PS6_mNS0_19identity_decomposerEEE10hipError_tT1_T2_PT3_SG_jT4_jjP12ihipStream_tbEUlT_E_NS1_11comp_targetILNS1_3genE10ELNS1_11target_archE1201ELNS1_3gpuE5ELNS1_3repE0EEENS1_52radix_sort_onesweep_histogram_config_static_selectorELNS0_4arch9wavefront6targetE0EEEvSE_: ; @_ZN7rocprim17ROCPRIM_400000_NS6detail17trampoline_kernelINS0_14default_configENS1_35radix_sort_onesweep_config_selectorI6__halfNS0_10empty_typeEEEZNS1_34radix_sort_onesweep_global_offsetsIS3_Lb1EPKS5_PS6_mNS0_19identity_decomposerEEE10hipError_tT1_T2_PT3_SG_jT4_jjP12ihipStream_tbEUlT_E_NS1_11comp_targetILNS1_3genE10ELNS1_11target_archE1201ELNS1_3gpuE5ELNS1_3repE0EEENS1_52radix_sort_onesweep_histogram_config_static_selectorELNS0_4arch9wavefront6targetE0EEEvSE_
; %bb.0:
	.section	.rodata,"a",@progbits
	.p2align	6, 0x0
	.amdhsa_kernel _ZN7rocprim17ROCPRIM_400000_NS6detail17trampoline_kernelINS0_14default_configENS1_35radix_sort_onesweep_config_selectorI6__halfNS0_10empty_typeEEEZNS1_34radix_sort_onesweep_global_offsetsIS3_Lb1EPKS5_PS6_mNS0_19identity_decomposerEEE10hipError_tT1_T2_PT3_SG_jT4_jjP12ihipStream_tbEUlT_E_NS1_11comp_targetILNS1_3genE10ELNS1_11target_archE1201ELNS1_3gpuE5ELNS1_3repE0EEENS1_52radix_sort_onesweep_histogram_config_static_selectorELNS0_4arch9wavefront6targetE0EEEvSE_
		.amdhsa_group_segment_fixed_size 0
		.amdhsa_private_segment_fixed_size 0
		.amdhsa_kernarg_size 48
		.amdhsa_user_sgpr_count 2
		.amdhsa_user_sgpr_dispatch_ptr 0
		.amdhsa_user_sgpr_queue_ptr 0
		.amdhsa_user_sgpr_kernarg_segment_ptr 1
		.amdhsa_user_sgpr_dispatch_id 0
		.amdhsa_user_sgpr_kernarg_preload_length 0
		.amdhsa_user_sgpr_kernarg_preload_offset 0
		.amdhsa_user_sgpr_private_segment_size 0
		.amdhsa_wavefront_size32 1
		.amdhsa_uses_dynamic_stack 0
		.amdhsa_enable_private_segment 0
		.amdhsa_system_sgpr_workgroup_id_x 1
		.amdhsa_system_sgpr_workgroup_id_y 0
		.amdhsa_system_sgpr_workgroup_id_z 0
		.amdhsa_system_sgpr_workgroup_info 0
		.amdhsa_system_vgpr_workitem_id 0
		.amdhsa_next_free_vgpr 1
		.amdhsa_next_free_sgpr 1
		.amdhsa_named_barrier_count 0
		.amdhsa_reserve_vcc 0
		.amdhsa_float_round_mode_32 0
		.amdhsa_float_round_mode_16_64 0
		.amdhsa_float_denorm_mode_32 3
		.amdhsa_float_denorm_mode_16_64 3
		.amdhsa_fp16_overflow 0
		.amdhsa_memory_ordered 1
		.amdhsa_forward_progress 1
		.amdhsa_inst_pref_size 0
		.amdhsa_round_robin_scheduling 0
		.amdhsa_exception_fp_ieee_invalid_op 0
		.amdhsa_exception_fp_denorm_src 0
		.amdhsa_exception_fp_ieee_div_zero 0
		.amdhsa_exception_fp_ieee_overflow 0
		.amdhsa_exception_fp_ieee_underflow 0
		.amdhsa_exception_fp_ieee_inexact 0
		.amdhsa_exception_int_div_zero 0
	.end_amdhsa_kernel
	.section	.text._ZN7rocprim17ROCPRIM_400000_NS6detail17trampoline_kernelINS0_14default_configENS1_35radix_sort_onesweep_config_selectorI6__halfNS0_10empty_typeEEEZNS1_34radix_sort_onesweep_global_offsetsIS3_Lb1EPKS5_PS6_mNS0_19identity_decomposerEEE10hipError_tT1_T2_PT3_SG_jT4_jjP12ihipStream_tbEUlT_E_NS1_11comp_targetILNS1_3genE10ELNS1_11target_archE1201ELNS1_3gpuE5ELNS1_3repE0EEENS1_52radix_sort_onesweep_histogram_config_static_selectorELNS0_4arch9wavefront6targetE0EEEvSE_,"axG",@progbits,_ZN7rocprim17ROCPRIM_400000_NS6detail17trampoline_kernelINS0_14default_configENS1_35radix_sort_onesweep_config_selectorI6__halfNS0_10empty_typeEEEZNS1_34radix_sort_onesweep_global_offsetsIS3_Lb1EPKS5_PS6_mNS0_19identity_decomposerEEE10hipError_tT1_T2_PT3_SG_jT4_jjP12ihipStream_tbEUlT_E_NS1_11comp_targetILNS1_3genE10ELNS1_11target_archE1201ELNS1_3gpuE5ELNS1_3repE0EEENS1_52radix_sort_onesweep_histogram_config_static_selectorELNS0_4arch9wavefront6targetE0EEEvSE_,comdat
.Lfunc_end2143:
	.size	_ZN7rocprim17ROCPRIM_400000_NS6detail17trampoline_kernelINS0_14default_configENS1_35radix_sort_onesweep_config_selectorI6__halfNS0_10empty_typeEEEZNS1_34radix_sort_onesweep_global_offsetsIS3_Lb1EPKS5_PS6_mNS0_19identity_decomposerEEE10hipError_tT1_T2_PT3_SG_jT4_jjP12ihipStream_tbEUlT_E_NS1_11comp_targetILNS1_3genE10ELNS1_11target_archE1201ELNS1_3gpuE5ELNS1_3repE0EEENS1_52radix_sort_onesweep_histogram_config_static_selectorELNS0_4arch9wavefront6targetE0EEEvSE_, .Lfunc_end2143-_ZN7rocprim17ROCPRIM_400000_NS6detail17trampoline_kernelINS0_14default_configENS1_35radix_sort_onesweep_config_selectorI6__halfNS0_10empty_typeEEEZNS1_34radix_sort_onesweep_global_offsetsIS3_Lb1EPKS5_PS6_mNS0_19identity_decomposerEEE10hipError_tT1_T2_PT3_SG_jT4_jjP12ihipStream_tbEUlT_E_NS1_11comp_targetILNS1_3genE10ELNS1_11target_archE1201ELNS1_3gpuE5ELNS1_3repE0EEENS1_52radix_sort_onesweep_histogram_config_static_selectorELNS0_4arch9wavefront6targetE0EEEvSE_
                                        ; -- End function
	.set _ZN7rocprim17ROCPRIM_400000_NS6detail17trampoline_kernelINS0_14default_configENS1_35radix_sort_onesweep_config_selectorI6__halfNS0_10empty_typeEEEZNS1_34radix_sort_onesweep_global_offsetsIS3_Lb1EPKS5_PS6_mNS0_19identity_decomposerEEE10hipError_tT1_T2_PT3_SG_jT4_jjP12ihipStream_tbEUlT_E_NS1_11comp_targetILNS1_3genE10ELNS1_11target_archE1201ELNS1_3gpuE5ELNS1_3repE0EEENS1_52radix_sort_onesweep_histogram_config_static_selectorELNS0_4arch9wavefront6targetE0EEEvSE_.num_vgpr, 0
	.set _ZN7rocprim17ROCPRIM_400000_NS6detail17trampoline_kernelINS0_14default_configENS1_35radix_sort_onesweep_config_selectorI6__halfNS0_10empty_typeEEEZNS1_34radix_sort_onesweep_global_offsetsIS3_Lb1EPKS5_PS6_mNS0_19identity_decomposerEEE10hipError_tT1_T2_PT3_SG_jT4_jjP12ihipStream_tbEUlT_E_NS1_11comp_targetILNS1_3genE10ELNS1_11target_archE1201ELNS1_3gpuE5ELNS1_3repE0EEENS1_52radix_sort_onesweep_histogram_config_static_selectorELNS0_4arch9wavefront6targetE0EEEvSE_.num_agpr, 0
	.set _ZN7rocprim17ROCPRIM_400000_NS6detail17trampoline_kernelINS0_14default_configENS1_35radix_sort_onesweep_config_selectorI6__halfNS0_10empty_typeEEEZNS1_34radix_sort_onesweep_global_offsetsIS3_Lb1EPKS5_PS6_mNS0_19identity_decomposerEEE10hipError_tT1_T2_PT3_SG_jT4_jjP12ihipStream_tbEUlT_E_NS1_11comp_targetILNS1_3genE10ELNS1_11target_archE1201ELNS1_3gpuE5ELNS1_3repE0EEENS1_52radix_sort_onesweep_histogram_config_static_selectorELNS0_4arch9wavefront6targetE0EEEvSE_.numbered_sgpr, 0
	.set _ZN7rocprim17ROCPRIM_400000_NS6detail17trampoline_kernelINS0_14default_configENS1_35radix_sort_onesweep_config_selectorI6__halfNS0_10empty_typeEEEZNS1_34radix_sort_onesweep_global_offsetsIS3_Lb1EPKS5_PS6_mNS0_19identity_decomposerEEE10hipError_tT1_T2_PT3_SG_jT4_jjP12ihipStream_tbEUlT_E_NS1_11comp_targetILNS1_3genE10ELNS1_11target_archE1201ELNS1_3gpuE5ELNS1_3repE0EEENS1_52radix_sort_onesweep_histogram_config_static_selectorELNS0_4arch9wavefront6targetE0EEEvSE_.num_named_barrier, 0
	.set _ZN7rocprim17ROCPRIM_400000_NS6detail17trampoline_kernelINS0_14default_configENS1_35radix_sort_onesweep_config_selectorI6__halfNS0_10empty_typeEEEZNS1_34radix_sort_onesweep_global_offsetsIS3_Lb1EPKS5_PS6_mNS0_19identity_decomposerEEE10hipError_tT1_T2_PT3_SG_jT4_jjP12ihipStream_tbEUlT_E_NS1_11comp_targetILNS1_3genE10ELNS1_11target_archE1201ELNS1_3gpuE5ELNS1_3repE0EEENS1_52radix_sort_onesweep_histogram_config_static_selectorELNS0_4arch9wavefront6targetE0EEEvSE_.private_seg_size, 0
	.set _ZN7rocprim17ROCPRIM_400000_NS6detail17trampoline_kernelINS0_14default_configENS1_35radix_sort_onesweep_config_selectorI6__halfNS0_10empty_typeEEEZNS1_34radix_sort_onesweep_global_offsetsIS3_Lb1EPKS5_PS6_mNS0_19identity_decomposerEEE10hipError_tT1_T2_PT3_SG_jT4_jjP12ihipStream_tbEUlT_E_NS1_11comp_targetILNS1_3genE10ELNS1_11target_archE1201ELNS1_3gpuE5ELNS1_3repE0EEENS1_52radix_sort_onesweep_histogram_config_static_selectorELNS0_4arch9wavefront6targetE0EEEvSE_.uses_vcc, 0
	.set _ZN7rocprim17ROCPRIM_400000_NS6detail17trampoline_kernelINS0_14default_configENS1_35radix_sort_onesweep_config_selectorI6__halfNS0_10empty_typeEEEZNS1_34radix_sort_onesweep_global_offsetsIS3_Lb1EPKS5_PS6_mNS0_19identity_decomposerEEE10hipError_tT1_T2_PT3_SG_jT4_jjP12ihipStream_tbEUlT_E_NS1_11comp_targetILNS1_3genE10ELNS1_11target_archE1201ELNS1_3gpuE5ELNS1_3repE0EEENS1_52radix_sort_onesweep_histogram_config_static_selectorELNS0_4arch9wavefront6targetE0EEEvSE_.uses_flat_scratch, 0
	.set _ZN7rocprim17ROCPRIM_400000_NS6detail17trampoline_kernelINS0_14default_configENS1_35radix_sort_onesweep_config_selectorI6__halfNS0_10empty_typeEEEZNS1_34radix_sort_onesweep_global_offsetsIS3_Lb1EPKS5_PS6_mNS0_19identity_decomposerEEE10hipError_tT1_T2_PT3_SG_jT4_jjP12ihipStream_tbEUlT_E_NS1_11comp_targetILNS1_3genE10ELNS1_11target_archE1201ELNS1_3gpuE5ELNS1_3repE0EEENS1_52radix_sort_onesweep_histogram_config_static_selectorELNS0_4arch9wavefront6targetE0EEEvSE_.has_dyn_sized_stack, 0
	.set _ZN7rocprim17ROCPRIM_400000_NS6detail17trampoline_kernelINS0_14default_configENS1_35radix_sort_onesweep_config_selectorI6__halfNS0_10empty_typeEEEZNS1_34radix_sort_onesweep_global_offsetsIS3_Lb1EPKS5_PS6_mNS0_19identity_decomposerEEE10hipError_tT1_T2_PT3_SG_jT4_jjP12ihipStream_tbEUlT_E_NS1_11comp_targetILNS1_3genE10ELNS1_11target_archE1201ELNS1_3gpuE5ELNS1_3repE0EEENS1_52radix_sort_onesweep_histogram_config_static_selectorELNS0_4arch9wavefront6targetE0EEEvSE_.has_recursion, 0
	.set _ZN7rocprim17ROCPRIM_400000_NS6detail17trampoline_kernelINS0_14default_configENS1_35radix_sort_onesweep_config_selectorI6__halfNS0_10empty_typeEEEZNS1_34radix_sort_onesweep_global_offsetsIS3_Lb1EPKS5_PS6_mNS0_19identity_decomposerEEE10hipError_tT1_T2_PT3_SG_jT4_jjP12ihipStream_tbEUlT_E_NS1_11comp_targetILNS1_3genE10ELNS1_11target_archE1201ELNS1_3gpuE5ELNS1_3repE0EEENS1_52radix_sort_onesweep_histogram_config_static_selectorELNS0_4arch9wavefront6targetE0EEEvSE_.has_indirect_call, 0
	.section	.AMDGPU.csdata,"",@progbits
; Kernel info:
; codeLenInByte = 0
; TotalNumSgprs: 0
; NumVgprs: 0
; ScratchSize: 0
; MemoryBound: 0
; FloatMode: 240
; IeeeMode: 1
; LDSByteSize: 0 bytes/workgroup (compile time only)
; SGPRBlocks: 0
; VGPRBlocks: 0
; NumSGPRsForWavesPerEU: 1
; NumVGPRsForWavesPerEU: 1
; NamedBarCnt: 0
; Occupancy: 16
; WaveLimiterHint : 0
; COMPUTE_PGM_RSRC2:SCRATCH_EN: 0
; COMPUTE_PGM_RSRC2:USER_SGPR: 2
; COMPUTE_PGM_RSRC2:TRAP_HANDLER: 0
; COMPUTE_PGM_RSRC2:TGID_X_EN: 1
; COMPUTE_PGM_RSRC2:TGID_Y_EN: 0
; COMPUTE_PGM_RSRC2:TGID_Z_EN: 0
; COMPUTE_PGM_RSRC2:TIDIG_COMP_CNT: 0
	.section	.text._ZN7rocprim17ROCPRIM_400000_NS6detail17trampoline_kernelINS0_14default_configENS1_35radix_sort_onesweep_config_selectorI6__halfNS0_10empty_typeEEEZNS1_34radix_sort_onesweep_global_offsetsIS3_Lb1EPKS5_PS6_mNS0_19identity_decomposerEEE10hipError_tT1_T2_PT3_SG_jT4_jjP12ihipStream_tbEUlT_E_NS1_11comp_targetILNS1_3genE9ELNS1_11target_archE1100ELNS1_3gpuE3ELNS1_3repE0EEENS1_52radix_sort_onesweep_histogram_config_static_selectorELNS0_4arch9wavefront6targetE0EEEvSE_,"axG",@progbits,_ZN7rocprim17ROCPRIM_400000_NS6detail17trampoline_kernelINS0_14default_configENS1_35radix_sort_onesweep_config_selectorI6__halfNS0_10empty_typeEEEZNS1_34radix_sort_onesweep_global_offsetsIS3_Lb1EPKS5_PS6_mNS0_19identity_decomposerEEE10hipError_tT1_T2_PT3_SG_jT4_jjP12ihipStream_tbEUlT_E_NS1_11comp_targetILNS1_3genE9ELNS1_11target_archE1100ELNS1_3gpuE3ELNS1_3repE0EEENS1_52radix_sort_onesweep_histogram_config_static_selectorELNS0_4arch9wavefront6targetE0EEEvSE_,comdat
	.protected	_ZN7rocprim17ROCPRIM_400000_NS6detail17trampoline_kernelINS0_14default_configENS1_35radix_sort_onesweep_config_selectorI6__halfNS0_10empty_typeEEEZNS1_34radix_sort_onesweep_global_offsetsIS3_Lb1EPKS5_PS6_mNS0_19identity_decomposerEEE10hipError_tT1_T2_PT3_SG_jT4_jjP12ihipStream_tbEUlT_E_NS1_11comp_targetILNS1_3genE9ELNS1_11target_archE1100ELNS1_3gpuE3ELNS1_3repE0EEENS1_52radix_sort_onesweep_histogram_config_static_selectorELNS0_4arch9wavefront6targetE0EEEvSE_ ; -- Begin function _ZN7rocprim17ROCPRIM_400000_NS6detail17trampoline_kernelINS0_14default_configENS1_35radix_sort_onesweep_config_selectorI6__halfNS0_10empty_typeEEEZNS1_34radix_sort_onesweep_global_offsetsIS3_Lb1EPKS5_PS6_mNS0_19identity_decomposerEEE10hipError_tT1_T2_PT3_SG_jT4_jjP12ihipStream_tbEUlT_E_NS1_11comp_targetILNS1_3genE9ELNS1_11target_archE1100ELNS1_3gpuE3ELNS1_3repE0EEENS1_52radix_sort_onesweep_histogram_config_static_selectorELNS0_4arch9wavefront6targetE0EEEvSE_
	.globl	_ZN7rocprim17ROCPRIM_400000_NS6detail17trampoline_kernelINS0_14default_configENS1_35radix_sort_onesweep_config_selectorI6__halfNS0_10empty_typeEEEZNS1_34radix_sort_onesweep_global_offsetsIS3_Lb1EPKS5_PS6_mNS0_19identity_decomposerEEE10hipError_tT1_T2_PT3_SG_jT4_jjP12ihipStream_tbEUlT_E_NS1_11comp_targetILNS1_3genE9ELNS1_11target_archE1100ELNS1_3gpuE3ELNS1_3repE0EEENS1_52radix_sort_onesweep_histogram_config_static_selectorELNS0_4arch9wavefront6targetE0EEEvSE_
	.p2align	8
	.type	_ZN7rocprim17ROCPRIM_400000_NS6detail17trampoline_kernelINS0_14default_configENS1_35radix_sort_onesweep_config_selectorI6__halfNS0_10empty_typeEEEZNS1_34radix_sort_onesweep_global_offsetsIS3_Lb1EPKS5_PS6_mNS0_19identity_decomposerEEE10hipError_tT1_T2_PT3_SG_jT4_jjP12ihipStream_tbEUlT_E_NS1_11comp_targetILNS1_3genE9ELNS1_11target_archE1100ELNS1_3gpuE3ELNS1_3repE0EEENS1_52radix_sort_onesweep_histogram_config_static_selectorELNS0_4arch9wavefront6targetE0EEEvSE_,@function
_ZN7rocprim17ROCPRIM_400000_NS6detail17trampoline_kernelINS0_14default_configENS1_35radix_sort_onesweep_config_selectorI6__halfNS0_10empty_typeEEEZNS1_34radix_sort_onesweep_global_offsetsIS3_Lb1EPKS5_PS6_mNS0_19identity_decomposerEEE10hipError_tT1_T2_PT3_SG_jT4_jjP12ihipStream_tbEUlT_E_NS1_11comp_targetILNS1_3genE9ELNS1_11target_archE1100ELNS1_3gpuE3ELNS1_3repE0EEENS1_52radix_sort_onesweep_histogram_config_static_selectorELNS0_4arch9wavefront6targetE0EEEvSE_: ; @_ZN7rocprim17ROCPRIM_400000_NS6detail17trampoline_kernelINS0_14default_configENS1_35radix_sort_onesweep_config_selectorI6__halfNS0_10empty_typeEEEZNS1_34radix_sort_onesweep_global_offsetsIS3_Lb1EPKS5_PS6_mNS0_19identity_decomposerEEE10hipError_tT1_T2_PT3_SG_jT4_jjP12ihipStream_tbEUlT_E_NS1_11comp_targetILNS1_3genE9ELNS1_11target_archE1100ELNS1_3gpuE3ELNS1_3repE0EEENS1_52radix_sort_onesweep_histogram_config_static_selectorELNS0_4arch9wavefront6targetE0EEEvSE_
; %bb.0:
	.section	.rodata,"a",@progbits
	.p2align	6, 0x0
	.amdhsa_kernel _ZN7rocprim17ROCPRIM_400000_NS6detail17trampoline_kernelINS0_14default_configENS1_35radix_sort_onesweep_config_selectorI6__halfNS0_10empty_typeEEEZNS1_34radix_sort_onesweep_global_offsetsIS3_Lb1EPKS5_PS6_mNS0_19identity_decomposerEEE10hipError_tT1_T2_PT3_SG_jT4_jjP12ihipStream_tbEUlT_E_NS1_11comp_targetILNS1_3genE9ELNS1_11target_archE1100ELNS1_3gpuE3ELNS1_3repE0EEENS1_52radix_sort_onesweep_histogram_config_static_selectorELNS0_4arch9wavefront6targetE0EEEvSE_
		.amdhsa_group_segment_fixed_size 0
		.amdhsa_private_segment_fixed_size 0
		.amdhsa_kernarg_size 48
		.amdhsa_user_sgpr_count 2
		.amdhsa_user_sgpr_dispatch_ptr 0
		.amdhsa_user_sgpr_queue_ptr 0
		.amdhsa_user_sgpr_kernarg_segment_ptr 1
		.amdhsa_user_sgpr_dispatch_id 0
		.amdhsa_user_sgpr_kernarg_preload_length 0
		.amdhsa_user_sgpr_kernarg_preload_offset 0
		.amdhsa_user_sgpr_private_segment_size 0
		.amdhsa_wavefront_size32 1
		.amdhsa_uses_dynamic_stack 0
		.amdhsa_enable_private_segment 0
		.amdhsa_system_sgpr_workgroup_id_x 1
		.amdhsa_system_sgpr_workgroup_id_y 0
		.amdhsa_system_sgpr_workgroup_id_z 0
		.amdhsa_system_sgpr_workgroup_info 0
		.amdhsa_system_vgpr_workitem_id 0
		.amdhsa_next_free_vgpr 1
		.amdhsa_next_free_sgpr 1
		.amdhsa_named_barrier_count 0
		.amdhsa_reserve_vcc 0
		.amdhsa_float_round_mode_32 0
		.amdhsa_float_round_mode_16_64 0
		.amdhsa_float_denorm_mode_32 3
		.amdhsa_float_denorm_mode_16_64 3
		.amdhsa_fp16_overflow 0
		.amdhsa_memory_ordered 1
		.amdhsa_forward_progress 1
		.amdhsa_inst_pref_size 0
		.amdhsa_round_robin_scheduling 0
		.amdhsa_exception_fp_ieee_invalid_op 0
		.amdhsa_exception_fp_denorm_src 0
		.amdhsa_exception_fp_ieee_div_zero 0
		.amdhsa_exception_fp_ieee_overflow 0
		.amdhsa_exception_fp_ieee_underflow 0
		.amdhsa_exception_fp_ieee_inexact 0
		.amdhsa_exception_int_div_zero 0
	.end_amdhsa_kernel
	.section	.text._ZN7rocprim17ROCPRIM_400000_NS6detail17trampoline_kernelINS0_14default_configENS1_35radix_sort_onesweep_config_selectorI6__halfNS0_10empty_typeEEEZNS1_34radix_sort_onesweep_global_offsetsIS3_Lb1EPKS5_PS6_mNS0_19identity_decomposerEEE10hipError_tT1_T2_PT3_SG_jT4_jjP12ihipStream_tbEUlT_E_NS1_11comp_targetILNS1_3genE9ELNS1_11target_archE1100ELNS1_3gpuE3ELNS1_3repE0EEENS1_52radix_sort_onesweep_histogram_config_static_selectorELNS0_4arch9wavefront6targetE0EEEvSE_,"axG",@progbits,_ZN7rocprim17ROCPRIM_400000_NS6detail17trampoline_kernelINS0_14default_configENS1_35radix_sort_onesweep_config_selectorI6__halfNS0_10empty_typeEEEZNS1_34radix_sort_onesweep_global_offsetsIS3_Lb1EPKS5_PS6_mNS0_19identity_decomposerEEE10hipError_tT1_T2_PT3_SG_jT4_jjP12ihipStream_tbEUlT_E_NS1_11comp_targetILNS1_3genE9ELNS1_11target_archE1100ELNS1_3gpuE3ELNS1_3repE0EEENS1_52radix_sort_onesweep_histogram_config_static_selectorELNS0_4arch9wavefront6targetE0EEEvSE_,comdat
.Lfunc_end2144:
	.size	_ZN7rocprim17ROCPRIM_400000_NS6detail17trampoline_kernelINS0_14default_configENS1_35radix_sort_onesweep_config_selectorI6__halfNS0_10empty_typeEEEZNS1_34radix_sort_onesweep_global_offsetsIS3_Lb1EPKS5_PS6_mNS0_19identity_decomposerEEE10hipError_tT1_T2_PT3_SG_jT4_jjP12ihipStream_tbEUlT_E_NS1_11comp_targetILNS1_3genE9ELNS1_11target_archE1100ELNS1_3gpuE3ELNS1_3repE0EEENS1_52radix_sort_onesweep_histogram_config_static_selectorELNS0_4arch9wavefront6targetE0EEEvSE_, .Lfunc_end2144-_ZN7rocprim17ROCPRIM_400000_NS6detail17trampoline_kernelINS0_14default_configENS1_35radix_sort_onesweep_config_selectorI6__halfNS0_10empty_typeEEEZNS1_34radix_sort_onesweep_global_offsetsIS3_Lb1EPKS5_PS6_mNS0_19identity_decomposerEEE10hipError_tT1_T2_PT3_SG_jT4_jjP12ihipStream_tbEUlT_E_NS1_11comp_targetILNS1_3genE9ELNS1_11target_archE1100ELNS1_3gpuE3ELNS1_3repE0EEENS1_52radix_sort_onesweep_histogram_config_static_selectorELNS0_4arch9wavefront6targetE0EEEvSE_
                                        ; -- End function
	.set _ZN7rocprim17ROCPRIM_400000_NS6detail17trampoline_kernelINS0_14default_configENS1_35radix_sort_onesweep_config_selectorI6__halfNS0_10empty_typeEEEZNS1_34radix_sort_onesweep_global_offsetsIS3_Lb1EPKS5_PS6_mNS0_19identity_decomposerEEE10hipError_tT1_T2_PT3_SG_jT4_jjP12ihipStream_tbEUlT_E_NS1_11comp_targetILNS1_3genE9ELNS1_11target_archE1100ELNS1_3gpuE3ELNS1_3repE0EEENS1_52radix_sort_onesweep_histogram_config_static_selectorELNS0_4arch9wavefront6targetE0EEEvSE_.num_vgpr, 0
	.set _ZN7rocprim17ROCPRIM_400000_NS6detail17trampoline_kernelINS0_14default_configENS1_35radix_sort_onesweep_config_selectorI6__halfNS0_10empty_typeEEEZNS1_34radix_sort_onesweep_global_offsetsIS3_Lb1EPKS5_PS6_mNS0_19identity_decomposerEEE10hipError_tT1_T2_PT3_SG_jT4_jjP12ihipStream_tbEUlT_E_NS1_11comp_targetILNS1_3genE9ELNS1_11target_archE1100ELNS1_3gpuE3ELNS1_3repE0EEENS1_52radix_sort_onesweep_histogram_config_static_selectorELNS0_4arch9wavefront6targetE0EEEvSE_.num_agpr, 0
	.set _ZN7rocprim17ROCPRIM_400000_NS6detail17trampoline_kernelINS0_14default_configENS1_35radix_sort_onesweep_config_selectorI6__halfNS0_10empty_typeEEEZNS1_34radix_sort_onesweep_global_offsetsIS3_Lb1EPKS5_PS6_mNS0_19identity_decomposerEEE10hipError_tT1_T2_PT3_SG_jT4_jjP12ihipStream_tbEUlT_E_NS1_11comp_targetILNS1_3genE9ELNS1_11target_archE1100ELNS1_3gpuE3ELNS1_3repE0EEENS1_52radix_sort_onesweep_histogram_config_static_selectorELNS0_4arch9wavefront6targetE0EEEvSE_.numbered_sgpr, 0
	.set _ZN7rocprim17ROCPRIM_400000_NS6detail17trampoline_kernelINS0_14default_configENS1_35radix_sort_onesweep_config_selectorI6__halfNS0_10empty_typeEEEZNS1_34radix_sort_onesweep_global_offsetsIS3_Lb1EPKS5_PS6_mNS0_19identity_decomposerEEE10hipError_tT1_T2_PT3_SG_jT4_jjP12ihipStream_tbEUlT_E_NS1_11comp_targetILNS1_3genE9ELNS1_11target_archE1100ELNS1_3gpuE3ELNS1_3repE0EEENS1_52radix_sort_onesweep_histogram_config_static_selectorELNS0_4arch9wavefront6targetE0EEEvSE_.num_named_barrier, 0
	.set _ZN7rocprim17ROCPRIM_400000_NS6detail17trampoline_kernelINS0_14default_configENS1_35radix_sort_onesweep_config_selectorI6__halfNS0_10empty_typeEEEZNS1_34radix_sort_onesweep_global_offsetsIS3_Lb1EPKS5_PS6_mNS0_19identity_decomposerEEE10hipError_tT1_T2_PT3_SG_jT4_jjP12ihipStream_tbEUlT_E_NS1_11comp_targetILNS1_3genE9ELNS1_11target_archE1100ELNS1_3gpuE3ELNS1_3repE0EEENS1_52radix_sort_onesweep_histogram_config_static_selectorELNS0_4arch9wavefront6targetE0EEEvSE_.private_seg_size, 0
	.set _ZN7rocprim17ROCPRIM_400000_NS6detail17trampoline_kernelINS0_14default_configENS1_35radix_sort_onesweep_config_selectorI6__halfNS0_10empty_typeEEEZNS1_34radix_sort_onesweep_global_offsetsIS3_Lb1EPKS5_PS6_mNS0_19identity_decomposerEEE10hipError_tT1_T2_PT3_SG_jT4_jjP12ihipStream_tbEUlT_E_NS1_11comp_targetILNS1_3genE9ELNS1_11target_archE1100ELNS1_3gpuE3ELNS1_3repE0EEENS1_52radix_sort_onesweep_histogram_config_static_selectorELNS0_4arch9wavefront6targetE0EEEvSE_.uses_vcc, 0
	.set _ZN7rocprim17ROCPRIM_400000_NS6detail17trampoline_kernelINS0_14default_configENS1_35radix_sort_onesweep_config_selectorI6__halfNS0_10empty_typeEEEZNS1_34radix_sort_onesweep_global_offsetsIS3_Lb1EPKS5_PS6_mNS0_19identity_decomposerEEE10hipError_tT1_T2_PT3_SG_jT4_jjP12ihipStream_tbEUlT_E_NS1_11comp_targetILNS1_3genE9ELNS1_11target_archE1100ELNS1_3gpuE3ELNS1_3repE0EEENS1_52radix_sort_onesweep_histogram_config_static_selectorELNS0_4arch9wavefront6targetE0EEEvSE_.uses_flat_scratch, 0
	.set _ZN7rocprim17ROCPRIM_400000_NS6detail17trampoline_kernelINS0_14default_configENS1_35radix_sort_onesweep_config_selectorI6__halfNS0_10empty_typeEEEZNS1_34radix_sort_onesweep_global_offsetsIS3_Lb1EPKS5_PS6_mNS0_19identity_decomposerEEE10hipError_tT1_T2_PT3_SG_jT4_jjP12ihipStream_tbEUlT_E_NS1_11comp_targetILNS1_3genE9ELNS1_11target_archE1100ELNS1_3gpuE3ELNS1_3repE0EEENS1_52radix_sort_onesweep_histogram_config_static_selectorELNS0_4arch9wavefront6targetE0EEEvSE_.has_dyn_sized_stack, 0
	.set _ZN7rocprim17ROCPRIM_400000_NS6detail17trampoline_kernelINS0_14default_configENS1_35radix_sort_onesweep_config_selectorI6__halfNS0_10empty_typeEEEZNS1_34radix_sort_onesweep_global_offsetsIS3_Lb1EPKS5_PS6_mNS0_19identity_decomposerEEE10hipError_tT1_T2_PT3_SG_jT4_jjP12ihipStream_tbEUlT_E_NS1_11comp_targetILNS1_3genE9ELNS1_11target_archE1100ELNS1_3gpuE3ELNS1_3repE0EEENS1_52radix_sort_onesweep_histogram_config_static_selectorELNS0_4arch9wavefront6targetE0EEEvSE_.has_recursion, 0
	.set _ZN7rocprim17ROCPRIM_400000_NS6detail17trampoline_kernelINS0_14default_configENS1_35radix_sort_onesweep_config_selectorI6__halfNS0_10empty_typeEEEZNS1_34radix_sort_onesweep_global_offsetsIS3_Lb1EPKS5_PS6_mNS0_19identity_decomposerEEE10hipError_tT1_T2_PT3_SG_jT4_jjP12ihipStream_tbEUlT_E_NS1_11comp_targetILNS1_3genE9ELNS1_11target_archE1100ELNS1_3gpuE3ELNS1_3repE0EEENS1_52radix_sort_onesweep_histogram_config_static_selectorELNS0_4arch9wavefront6targetE0EEEvSE_.has_indirect_call, 0
	.section	.AMDGPU.csdata,"",@progbits
; Kernel info:
; codeLenInByte = 0
; TotalNumSgprs: 0
; NumVgprs: 0
; ScratchSize: 0
; MemoryBound: 0
; FloatMode: 240
; IeeeMode: 1
; LDSByteSize: 0 bytes/workgroup (compile time only)
; SGPRBlocks: 0
; VGPRBlocks: 0
; NumSGPRsForWavesPerEU: 1
; NumVGPRsForWavesPerEU: 1
; NamedBarCnt: 0
; Occupancy: 16
; WaveLimiterHint : 0
; COMPUTE_PGM_RSRC2:SCRATCH_EN: 0
; COMPUTE_PGM_RSRC2:USER_SGPR: 2
; COMPUTE_PGM_RSRC2:TRAP_HANDLER: 0
; COMPUTE_PGM_RSRC2:TGID_X_EN: 1
; COMPUTE_PGM_RSRC2:TGID_Y_EN: 0
; COMPUTE_PGM_RSRC2:TGID_Z_EN: 0
; COMPUTE_PGM_RSRC2:TIDIG_COMP_CNT: 0
	.section	.text._ZN7rocprim17ROCPRIM_400000_NS6detail17trampoline_kernelINS0_14default_configENS1_35radix_sort_onesweep_config_selectorI6__halfNS0_10empty_typeEEEZNS1_34radix_sort_onesweep_global_offsetsIS3_Lb1EPKS5_PS6_mNS0_19identity_decomposerEEE10hipError_tT1_T2_PT3_SG_jT4_jjP12ihipStream_tbEUlT_E_NS1_11comp_targetILNS1_3genE8ELNS1_11target_archE1030ELNS1_3gpuE2ELNS1_3repE0EEENS1_52radix_sort_onesweep_histogram_config_static_selectorELNS0_4arch9wavefront6targetE0EEEvSE_,"axG",@progbits,_ZN7rocprim17ROCPRIM_400000_NS6detail17trampoline_kernelINS0_14default_configENS1_35radix_sort_onesweep_config_selectorI6__halfNS0_10empty_typeEEEZNS1_34radix_sort_onesweep_global_offsetsIS3_Lb1EPKS5_PS6_mNS0_19identity_decomposerEEE10hipError_tT1_T2_PT3_SG_jT4_jjP12ihipStream_tbEUlT_E_NS1_11comp_targetILNS1_3genE8ELNS1_11target_archE1030ELNS1_3gpuE2ELNS1_3repE0EEENS1_52radix_sort_onesweep_histogram_config_static_selectorELNS0_4arch9wavefront6targetE0EEEvSE_,comdat
	.protected	_ZN7rocprim17ROCPRIM_400000_NS6detail17trampoline_kernelINS0_14default_configENS1_35radix_sort_onesweep_config_selectorI6__halfNS0_10empty_typeEEEZNS1_34radix_sort_onesweep_global_offsetsIS3_Lb1EPKS5_PS6_mNS0_19identity_decomposerEEE10hipError_tT1_T2_PT3_SG_jT4_jjP12ihipStream_tbEUlT_E_NS1_11comp_targetILNS1_3genE8ELNS1_11target_archE1030ELNS1_3gpuE2ELNS1_3repE0EEENS1_52radix_sort_onesweep_histogram_config_static_selectorELNS0_4arch9wavefront6targetE0EEEvSE_ ; -- Begin function _ZN7rocprim17ROCPRIM_400000_NS6detail17trampoline_kernelINS0_14default_configENS1_35radix_sort_onesweep_config_selectorI6__halfNS0_10empty_typeEEEZNS1_34radix_sort_onesweep_global_offsetsIS3_Lb1EPKS5_PS6_mNS0_19identity_decomposerEEE10hipError_tT1_T2_PT3_SG_jT4_jjP12ihipStream_tbEUlT_E_NS1_11comp_targetILNS1_3genE8ELNS1_11target_archE1030ELNS1_3gpuE2ELNS1_3repE0EEENS1_52radix_sort_onesweep_histogram_config_static_selectorELNS0_4arch9wavefront6targetE0EEEvSE_
	.globl	_ZN7rocprim17ROCPRIM_400000_NS6detail17trampoline_kernelINS0_14default_configENS1_35radix_sort_onesweep_config_selectorI6__halfNS0_10empty_typeEEEZNS1_34radix_sort_onesweep_global_offsetsIS3_Lb1EPKS5_PS6_mNS0_19identity_decomposerEEE10hipError_tT1_T2_PT3_SG_jT4_jjP12ihipStream_tbEUlT_E_NS1_11comp_targetILNS1_3genE8ELNS1_11target_archE1030ELNS1_3gpuE2ELNS1_3repE0EEENS1_52radix_sort_onesweep_histogram_config_static_selectorELNS0_4arch9wavefront6targetE0EEEvSE_
	.p2align	8
	.type	_ZN7rocprim17ROCPRIM_400000_NS6detail17trampoline_kernelINS0_14default_configENS1_35radix_sort_onesweep_config_selectorI6__halfNS0_10empty_typeEEEZNS1_34radix_sort_onesweep_global_offsetsIS3_Lb1EPKS5_PS6_mNS0_19identity_decomposerEEE10hipError_tT1_T2_PT3_SG_jT4_jjP12ihipStream_tbEUlT_E_NS1_11comp_targetILNS1_3genE8ELNS1_11target_archE1030ELNS1_3gpuE2ELNS1_3repE0EEENS1_52radix_sort_onesweep_histogram_config_static_selectorELNS0_4arch9wavefront6targetE0EEEvSE_,@function
_ZN7rocprim17ROCPRIM_400000_NS6detail17trampoline_kernelINS0_14default_configENS1_35radix_sort_onesweep_config_selectorI6__halfNS0_10empty_typeEEEZNS1_34radix_sort_onesweep_global_offsetsIS3_Lb1EPKS5_PS6_mNS0_19identity_decomposerEEE10hipError_tT1_T2_PT3_SG_jT4_jjP12ihipStream_tbEUlT_E_NS1_11comp_targetILNS1_3genE8ELNS1_11target_archE1030ELNS1_3gpuE2ELNS1_3repE0EEENS1_52radix_sort_onesweep_histogram_config_static_selectorELNS0_4arch9wavefront6targetE0EEEvSE_: ; @_ZN7rocprim17ROCPRIM_400000_NS6detail17trampoline_kernelINS0_14default_configENS1_35radix_sort_onesweep_config_selectorI6__halfNS0_10empty_typeEEEZNS1_34radix_sort_onesweep_global_offsetsIS3_Lb1EPKS5_PS6_mNS0_19identity_decomposerEEE10hipError_tT1_T2_PT3_SG_jT4_jjP12ihipStream_tbEUlT_E_NS1_11comp_targetILNS1_3genE8ELNS1_11target_archE1030ELNS1_3gpuE2ELNS1_3repE0EEENS1_52radix_sort_onesweep_histogram_config_static_selectorELNS0_4arch9wavefront6targetE0EEEvSE_
; %bb.0:
	.section	.rodata,"a",@progbits
	.p2align	6, 0x0
	.amdhsa_kernel _ZN7rocprim17ROCPRIM_400000_NS6detail17trampoline_kernelINS0_14default_configENS1_35radix_sort_onesweep_config_selectorI6__halfNS0_10empty_typeEEEZNS1_34radix_sort_onesweep_global_offsetsIS3_Lb1EPKS5_PS6_mNS0_19identity_decomposerEEE10hipError_tT1_T2_PT3_SG_jT4_jjP12ihipStream_tbEUlT_E_NS1_11comp_targetILNS1_3genE8ELNS1_11target_archE1030ELNS1_3gpuE2ELNS1_3repE0EEENS1_52radix_sort_onesweep_histogram_config_static_selectorELNS0_4arch9wavefront6targetE0EEEvSE_
		.amdhsa_group_segment_fixed_size 0
		.amdhsa_private_segment_fixed_size 0
		.amdhsa_kernarg_size 48
		.amdhsa_user_sgpr_count 2
		.amdhsa_user_sgpr_dispatch_ptr 0
		.amdhsa_user_sgpr_queue_ptr 0
		.amdhsa_user_sgpr_kernarg_segment_ptr 1
		.amdhsa_user_sgpr_dispatch_id 0
		.amdhsa_user_sgpr_kernarg_preload_length 0
		.amdhsa_user_sgpr_kernarg_preload_offset 0
		.amdhsa_user_sgpr_private_segment_size 0
		.amdhsa_wavefront_size32 1
		.amdhsa_uses_dynamic_stack 0
		.amdhsa_enable_private_segment 0
		.amdhsa_system_sgpr_workgroup_id_x 1
		.amdhsa_system_sgpr_workgroup_id_y 0
		.amdhsa_system_sgpr_workgroup_id_z 0
		.amdhsa_system_sgpr_workgroup_info 0
		.amdhsa_system_vgpr_workitem_id 0
		.amdhsa_next_free_vgpr 1
		.amdhsa_next_free_sgpr 1
		.amdhsa_named_barrier_count 0
		.amdhsa_reserve_vcc 0
		.amdhsa_float_round_mode_32 0
		.amdhsa_float_round_mode_16_64 0
		.amdhsa_float_denorm_mode_32 3
		.amdhsa_float_denorm_mode_16_64 3
		.amdhsa_fp16_overflow 0
		.amdhsa_memory_ordered 1
		.amdhsa_forward_progress 1
		.amdhsa_inst_pref_size 0
		.amdhsa_round_robin_scheduling 0
		.amdhsa_exception_fp_ieee_invalid_op 0
		.amdhsa_exception_fp_denorm_src 0
		.amdhsa_exception_fp_ieee_div_zero 0
		.amdhsa_exception_fp_ieee_overflow 0
		.amdhsa_exception_fp_ieee_underflow 0
		.amdhsa_exception_fp_ieee_inexact 0
		.amdhsa_exception_int_div_zero 0
	.end_amdhsa_kernel
	.section	.text._ZN7rocprim17ROCPRIM_400000_NS6detail17trampoline_kernelINS0_14default_configENS1_35radix_sort_onesweep_config_selectorI6__halfNS0_10empty_typeEEEZNS1_34radix_sort_onesweep_global_offsetsIS3_Lb1EPKS5_PS6_mNS0_19identity_decomposerEEE10hipError_tT1_T2_PT3_SG_jT4_jjP12ihipStream_tbEUlT_E_NS1_11comp_targetILNS1_3genE8ELNS1_11target_archE1030ELNS1_3gpuE2ELNS1_3repE0EEENS1_52radix_sort_onesweep_histogram_config_static_selectorELNS0_4arch9wavefront6targetE0EEEvSE_,"axG",@progbits,_ZN7rocprim17ROCPRIM_400000_NS6detail17trampoline_kernelINS0_14default_configENS1_35radix_sort_onesweep_config_selectorI6__halfNS0_10empty_typeEEEZNS1_34radix_sort_onesweep_global_offsetsIS3_Lb1EPKS5_PS6_mNS0_19identity_decomposerEEE10hipError_tT1_T2_PT3_SG_jT4_jjP12ihipStream_tbEUlT_E_NS1_11comp_targetILNS1_3genE8ELNS1_11target_archE1030ELNS1_3gpuE2ELNS1_3repE0EEENS1_52radix_sort_onesweep_histogram_config_static_selectorELNS0_4arch9wavefront6targetE0EEEvSE_,comdat
.Lfunc_end2145:
	.size	_ZN7rocprim17ROCPRIM_400000_NS6detail17trampoline_kernelINS0_14default_configENS1_35radix_sort_onesweep_config_selectorI6__halfNS0_10empty_typeEEEZNS1_34radix_sort_onesweep_global_offsetsIS3_Lb1EPKS5_PS6_mNS0_19identity_decomposerEEE10hipError_tT1_T2_PT3_SG_jT4_jjP12ihipStream_tbEUlT_E_NS1_11comp_targetILNS1_3genE8ELNS1_11target_archE1030ELNS1_3gpuE2ELNS1_3repE0EEENS1_52radix_sort_onesweep_histogram_config_static_selectorELNS0_4arch9wavefront6targetE0EEEvSE_, .Lfunc_end2145-_ZN7rocprim17ROCPRIM_400000_NS6detail17trampoline_kernelINS0_14default_configENS1_35radix_sort_onesweep_config_selectorI6__halfNS0_10empty_typeEEEZNS1_34radix_sort_onesweep_global_offsetsIS3_Lb1EPKS5_PS6_mNS0_19identity_decomposerEEE10hipError_tT1_T2_PT3_SG_jT4_jjP12ihipStream_tbEUlT_E_NS1_11comp_targetILNS1_3genE8ELNS1_11target_archE1030ELNS1_3gpuE2ELNS1_3repE0EEENS1_52radix_sort_onesweep_histogram_config_static_selectorELNS0_4arch9wavefront6targetE0EEEvSE_
                                        ; -- End function
	.set _ZN7rocprim17ROCPRIM_400000_NS6detail17trampoline_kernelINS0_14default_configENS1_35radix_sort_onesweep_config_selectorI6__halfNS0_10empty_typeEEEZNS1_34radix_sort_onesweep_global_offsetsIS3_Lb1EPKS5_PS6_mNS0_19identity_decomposerEEE10hipError_tT1_T2_PT3_SG_jT4_jjP12ihipStream_tbEUlT_E_NS1_11comp_targetILNS1_3genE8ELNS1_11target_archE1030ELNS1_3gpuE2ELNS1_3repE0EEENS1_52radix_sort_onesweep_histogram_config_static_selectorELNS0_4arch9wavefront6targetE0EEEvSE_.num_vgpr, 0
	.set _ZN7rocprim17ROCPRIM_400000_NS6detail17trampoline_kernelINS0_14default_configENS1_35radix_sort_onesweep_config_selectorI6__halfNS0_10empty_typeEEEZNS1_34radix_sort_onesweep_global_offsetsIS3_Lb1EPKS5_PS6_mNS0_19identity_decomposerEEE10hipError_tT1_T2_PT3_SG_jT4_jjP12ihipStream_tbEUlT_E_NS1_11comp_targetILNS1_3genE8ELNS1_11target_archE1030ELNS1_3gpuE2ELNS1_3repE0EEENS1_52radix_sort_onesweep_histogram_config_static_selectorELNS0_4arch9wavefront6targetE0EEEvSE_.num_agpr, 0
	.set _ZN7rocprim17ROCPRIM_400000_NS6detail17trampoline_kernelINS0_14default_configENS1_35radix_sort_onesweep_config_selectorI6__halfNS0_10empty_typeEEEZNS1_34radix_sort_onesweep_global_offsetsIS3_Lb1EPKS5_PS6_mNS0_19identity_decomposerEEE10hipError_tT1_T2_PT3_SG_jT4_jjP12ihipStream_tbEUlT_E_NS1_11comp_targetILNS1_3genE8ELNS1_11target_archE1030ELNS1_3gpuE2ELNS1_3repE0EEENS1_52radix_sort_onesweep_histogram_config_static_selectorELNS0_4arch9wavefront6targetE0EEEvSE_.numbered_sgpr, 0
	.set _ZN7rocprim17ROCPRIM_400000_NS6detail17trampoline_kernelINS0_14default_configENS1_35radix_sort_onesweep_config_selectorI6__halfNS0_10empty_typeEEEZNS1_34radix_sort_onesweep_global_offsetsIS3_Lb1EPKS5_PS6_mNS0_19identity_decomposerEEE10hipError_tT1_T2_PT3_SG_jT4_jjP12ihipStream_tbEUlT_E_NS1_11comp_targetILNS1_3genE8ELNS1_11target_archE1030ELNS1_3gpuE2ELNS1_3repE0EEENS1_52radix_sort_onesweep_histogram_config_static_selectorELNS0_4arch9wavefront6targetE0EEEvSE_.num_named_barrier, 0
	.set _ZN7rocprim17ROCPRIM_400000_NS6detail17trampoline_kernelINS0_14default_configENS1_35radix_sort_onesweep_config_selectorI6__halfNS0_10empty_typeEEEZNS1_34radix_sort_onesweep_global_offsetsIS3_Lb1EPKS5_PS6_mNS0_19identity_decomposerEEE10hipError_tT1_T2_PT3_SG_jT4_jjP12ihipStream_tbEUlT_E_NS1_11comp_targetILNS1_3genE8ELNS1_11target_archE1030ELNS1_3gpuE2ELNS1_3repE0EEENS1_52radix_sort_onesweep_histogram_config_static_selectorELNS0_4arch9wavefront6targetE0EEEvSE_.private_seg_size, 0
	.set _ZN7rocprim17ROCPRIM_400000_NS6detail17trampoline_kernelINS0_14default_configENS1_35radix_sort_onesweep_config_selectorI6__halfNS0_10empty_typeEEEZNS1_34radix_sort_onesweep_global_offsetsIS3_Lb1EPKS5_PS6_mNS0_19identity_decomposerEEE10hipError_tT1_T2_PT3_SG_jT4_jjP12ihipStream_tbEUlT_E_NS1_11comp_targetILNS1_3genE8ELNS1_11target_archE1030ELNS1_3gpuE2ELNS1_3repE0EEENS1_52radix_sort_onesweep_histogram_config_static_selectorELNS0_4arch9wavefront6targetE0EEEvSE_.uses_vcc, 0
	.set _ZN7rocprim17ROCPRIM_400000_NS6detail17trampoline_kernelINS0_14default_configENS1_35radix_sort_onesweep_config_selectorI6__halfNS0_10empty_typeEEEZNS1_34radix_sort_onesweep_global_offsetsIS3_Lb1EPKS5_PS6_mNS0_19identity_decomposerEEE10hipError_tT1_T2_PT3_SG_jT4_jjP12ihipStream_tbEUlT_E_NS1_11comp_targetILNS1_3genE8ELNS1_11target_archE1030ELNS1_3gpuE2ELNS1_3repE0EEENS1_52radix_sort_onesweep_histogram_config_static_selectorELNS0_4arch9wavefront6targetE0EEEvSE_.uses_flat_scratch, 0
	.set _ZN7rocprim17ROCPRIM_400000_NS6detail17trampoline_kernelINS0_14default_configENS1_35radix_sort_onesweep_config_selectorI6__halfNS0_10empty_typeEEEZNS1_34radix_sort_onesweep_global_offsetsIS3_Lb1EPKS5_PS6_mNS0_19identity_decomposerEEE10hipError_tT1_T2_PT3_SG_jT4_jjP12ihipStream_tbEUlT_E_NS1_11comp_targetILNS1_3genE8ELNS1_11target_archE1030ELNS1_3gpuE2ELNS1_3repE0EEENS1_52radix_sort_onesweep_histogram_config_static_selectorELNS0_4arch9wavefront6targetE0EEEvSE_.has_dyn_sized_stack, 0
	.set _ZN7rocprim17ROCPRIM_400000_NS6detail17trampoline_kernelINS0_14default_configENS1_35radix_sort_onesweep_config_selectorI6__halfNS0_10empty_typeEEEZNS1_34radix_sort_onesweep_global_offsetsIS3_Lb1EPKS5_PS6_mNS0_19identity_decomposerEEE10hipError_tT1_T2_PT3_SG_jT4_jjP12ihipStream_tbEUlT_E_NS1_11comp_targetILNS1_3genE8ELNS1_11target_archE1030ELNS1_3gpuE2ELNS1_3repE0EEENS1_52radix_sort_onesweep_histogram_config_static_selectorELNS0_4arch9wavefront6targetE0EEEvSE_.has_recursion, 0
	.set _ZN7rocprim17ROCPRIM_400000_NS6detail17trampoline_kernelINS0_14default_configENS1_35radix_sort_onesweep_config_selectorI6__halfNS0_10empty_typeEEEZNS1_34radix_sort_onesweep_global_offsetsIS3_Lb1EPKS5_PS6_mNS0_19identity_decomposerEEE10hipError_tT1_T2_PT3_SG_jT4_jjP12ihipStream_tbEUlT_E_NS1_11comp_targetILNS1_3genE8ELNS1_11target_archE1030ELNS1_3gpuE2ELNS1_3repE0EEENS1_52radix_sort_onesweep_histogram_config_static_selectorELNS0_4arch9wavefront6targetE0EEEvSE_.has_indirect_call, 0
	.section	.AMDGPU.csdata,"",@progbits
; Kernel info:
; codeLenInByte = 0
; TotalNumSgprs: 0
; NumVgprs: 0
; ScratchSize: 0
; MemoryBound: 0
; FloatMode: 240
; IeeeMode: 1
; LDSByteSize: 0 bytes/workgroup (compile time only)
; SGPRBlocks: 0
; VGPRBlocks: 0
; NumSGPRsForWavesPerEU: 1
; NumVGPRsForWavesPerEU: 1
; NamedBarCnt: 0
; Occupancy: 16
; WaveLimiterHint : 0
; COMPUTE_PGM_RSRC2:SCRATCH_EN: 0
; COMPUTE_PGM_RSRC2:USER_SGPR: 2
; COMPUTE_PGM_RSRC2:TRAP_HANDLER: 0
; COMPUTE_PGM_RSRC2:TGID_X_EN: 1
; COMPUTE_PGM_RSRC2:TGID_Y_EN: 0
; COMPUTE_PGM_RSRC2:TGID_Z_EN: 0
; COMPUTE_PGM_RSRC2:TIDIG_COMP_CNT: 0
	.section	.text._ZN7rocprim17ROCPRIM_400000_NS6detail17trampoline_kernelINS0_14default_configENS1_35radix_sort_onesweep_config_selectorI6__halfNS0_10empty_typeEEEZNS1_34radix_sort_onesweep_global_offsetsIS3_Lb1EPKS5_PS6_mNS0_19identity_decomposerEEE10hipError_tT1_T2_PT3_SG_jT4_jjP12ihipStream_tbEUlT_E0_NS1_11comp_targetILNS1_3genE0ELNS1_11target_archE4294967295ELNS1_3gpuE0ELNS1_3repE0EEENS1_52radix_sort_onesweep_histogram_config_static_selectorELNS0_4arch9wavefront6targetE0EEEvSE_,"axG",@progbits,_ZN7rocprim17ROCPRIM_400000_NS6detail17trampoline_kernelINS0_14default_configENS1_35radix_sort_onesweep_config_selectorI6__halfNS0_10empty_typeEEEZNS1_34radix_sort_onesweep_global_offsetsIS3_Lb1EPKS5_PS6_mNS0_19identity_decomposerEEE10hipError_tT1_T2_PT3_SG_jT4_jjP12ihipStream_tbEUlT_E0_NS1_11comp_targetILNS1_3genE0ELNS1_11target_archE4294967295ELNS1_3gpuE0ELNS1_3repE0EEENS1_52radix_sort_onesweep_histogram_config_static_selectorELNS0_4arch9wavefront6targetE0EEEvSE_,comdat
	.protected	_ZN7rocprim17ROCPRIM_400000_NS6detail17trampoline_kernelINS0_14default_configENS1_35radix_sort_onesweep_config_selectorI6__halfNS0_10empty_typeEEEZNS1_34radix_sort_onesweep_global_offsetsIS3_Lb1EPKS5_PS6_mNS0_19identity_decomposerEEE10hipError_tT1_T2_PT3_SG_jT4_jjP12ihipStream_tbEUlT_E0_NS1_11comp_targetILNS1_3genE0ELNS1_11target_archE4294967295ELNS1_3gpuE0ELNS1_3repE0EEENS1_52radix_sort_onesweep_histogram_config_static_selectorELNS0_4arch9wavefront6targetE0EEEvSE_ ; -- Begin function _ZN7rocprim17ROCPRIM_400000_NS6detail17trampoline_kernelINS0_14default_configENS1_35radix_sort_onesweep_config_selectorI6__halfNS0_10empty_typeEEEZNS1_34radix_sort_onesweep_global_offsetsIS3_Lb1EPKS5_PS6_mNS0_19identity_decomposerEEE10hipError_tT1_T2_PT3_SG_jT4_jjP12ihipStream_tbEUlT_E0_NS1_11comp_targetILNS1_3genE0ELNS1_11target_archE4294967295ELNS1_3gpuE0ELNS1_3repE0EEENS1_52radix_sort_onesweep_histogram_config_static_selectorELNS0_4arch9wavefront6targetE0EEEvSE_
	.globl	_ZN7rocprim17ROCPRIM_400000_NS6detail17trampoline_kernelINS0_14default_configENS1_35radix_sort_onesweep_config_selectorI6__halfNS0_10empty_typeEEEZNS1_34radix_sort_onesweep_global_offsetsIS3_Lb1EPKS5_PS6_mNS0_19identity_decomposerEEE10hipError_tT1_T2_PT3_SG_jT4_jjP12ihipStream_tbEUlT_E0_NS1_11comp_targetILNS1_3genE0ELNS1_11target_archE4294967295ELNS1_3gpuE0ELNS1_3repE0EEENS1_52radix_sort_onesweep_histogram_config_static_selectorELNS0_4arch9wavefront6targetE0EEEvSE_
	.p2align	8
	.type	_ZN7rocprim17ROCPRIM_400000_NS6detail17trampoline_kernelINS0_14default_configENS1_35radix_sort_onesweep_config_selectorI6__halfNS0_10empty_typeEEEZNS1_34radix_sort_onesweep_global_offsetsIS3_Lb1EPKS5_PS6_mNS0_19identity_decomposerEEE10hipError_tT1_T2_PT3_SG_jT4_jjP12ihipStream_tbEUlT_E0_NS1_11comp_targetILNS1_3genE0ELNS1_11target_archE4294967295ELNS1_3gpuE0ELNS1_3repE0EEENS1_52radix_sort_onesweep_histogram_config_static_selectorELNS0_4arch9wavefront6targetE0EEEvSE_,@function
_ZN7rocprim17ROCPRIM_400000_NS6detail17trampoline_kernelINS0_14default_configENS1_35radix_sort_onesweep_config_selectorI6__halfNS0_10empty_typeEEEZNS1_34radix_sort_onesweep_global_offsetsIS3_Lb1EPKS5_PS6_mNS0_19identity_decomposerEEE10hipError_tT1_T2_PT3_SG_jT4_jjP12ihipStream_tbEUlT_E0_NS1_11comp_targetILNS1_3genE0ELNS1_11target_archE4294967295ELNS1_3gpuE0ELNS1_3repE0EEENS1_52radix_sort_onesweep_histogram_config_static_selectorELNS0_4arch9wavefront6targetE0EEEvSE_: ; @_ZN7rocprim17ROCPRIM_400000_NS6detail17trampoline_kernelINS0_14default_configENS1_35radix_sort_onesweep_config_selectorI6__halfNS0_10empty_typeEEEZNS1_34radix_sort_onesweep_global_offsetsIS3_Lb1EPKS5_PS6_mNS0_19identity_decomposerEEE10hipError_tT1_T2_PT3_SG_jT4_jjP12ihipStream_tbEUlT_E0_NS1_11comp_targetILNS1_3genE0ELNS1_11target_archE4294967295ELNS1_3gpuE0ELNS1_3repE0EEENS1_52radix_sort_onesweep_histogram_config_static_selectorELNS0_4arch9wavefront6targetE0EEEvSE_
; %bb.0:
	s_load_b64 s[0:1], s[0:1], 0x0
	s_bfe_u32 s2, ttmp6, 0x4000c
	s_and_b32 s3, ttmp6, 15
	s_add_co_i32 s2, s2, 1
	s_getreg_b32 s4, hwreg(HW_REG_IB_STS2, 6, 4)
	s_mul_i32 s2, ttmp9, s2
	v_cmp_gt_u32_e32 vcc_lo, 0x100, v0
	s_add_co_i32 s3, s3, s2
	s_cmp_eq_u32 s4, 0
                                        ; implicit-def: $vgpr2_vgpr3
	s_cselect_b32 s2, ttmp9, s3
	s_mov_b32 s3, 0
	s_lshl_b32 s2, s2, 8
	s_delay_alu instid0(SALU_CYCLE_1)
	s_lshl_b64 s[2:3], s[2:3], 3
	s_wait_kmcnt 0x0
	s_add_nc_u64 s[6:7], s[0:1], s[2:3]
	s_and_saveexec_b32 s0, vcc_lo
	s_cbranch_execz .LBB2146_2
; %bb.1:
	global_load_b64 v[2:3], v0, s[6:7] scale_offset
.LBB2146_2:
	s_wait_xcnt 0x0
	s_or_b32 exec_lo, exec_lo, s0
	v_mbcnt_lo_u32_b32 v1, -1, 0
	s_wait_loadcnt 0x0
	v_mov_b32_dpp v6, v2 row_shr:1 row_mask:0xf bank_mask:0xf
	v_mov_b32_dpp v9, v3 row_shr:1 row_mask:0xf bank_mask:0xf
	s_delay_alu instid0(VALU_DEP_3) | instskip(NEXT) | instid1(VALU_DEP_1)
	v_dual_mov_b32 v4, v2 :: v_dual_bitop2_b32 v10, 15, v1 bitop3:0x40
	v_cmp_ne_u32_e64 s0, 0, v10
	s_and_saveexec_b32 s1, s0
; %bb.3:
	v_mov_b32_e32 v8, 0
	s_delay_alu instid0(VALU_DEP_1) | instskip(NEXT) | instid1(VALU_DEP_1)
	v_mov_b32_e32 v7, v8
	v_add_nc_u64_e32 v[4:5], v[2:3], v[6:7]
	s_delay_alu instid0(VALU_DEP_1)
	v_add_nc_u64_e32 v[2:3], v[8:9], v[4:5]
; %bb.4:
	s_or_b32 exec_lo, exec_lo, s1
	v_mov_b32_dpp v6, v4 row_shr:2 row_mask:0xf bank_mask:0xf
	s_delay_alu instid0(VALU_DEP_2)
	v_mov_b32_dpp v9, v3 row_shr:2 row_mask:0xf bank_mask:0xf
	v_cmp_lt_u32_e64 s1, 1, v10
	s_and_saveexec_b32 s2, s1
; %bb.5:
	v_mov_b32_e32 v8, 0
	s_delay_alu instid0(VALU_DEP_1) | instskip(NEXT) | instid1(VALU_DEP_1)
	v_mov_b32_e32 v7, v8
	v_add_nc_u64_e32 v[4:5], v[2:3], v[6:7]
	s_delay_alu instid0(VALU_DEP_1)
	v_add_nc_u64_e32 v[2:3], v[8:9], v[4:5]
; %bb.6:
	s_or_b32 exec_lo, exec_lo, s2
	v_mov_b32_dpp v6, v4 row_shr:4 row_mask:0xf bank_mask:0xf
	s_delay_alu instid0(VALU_DEP_2)
	v_mov_b32_dpp v9, v3 row_shr:4 row_mask:0xf bank_mask:0xf
	v_cmp_lt_u32_e64 s2, 3, v10
	;; [unrolled: 14-line block ×3, first 2 shown]
	s_and_saveexec_b32 s4, s3
; %bb.9:
	v_mov_b32_e32 v8, 0
	s_delay_alu instid0(VALU_DEP_1) | instskip(NEXT) | instid1(VALU_DEP_1)
	v_mov_b32_e32 v7, v8
	v_add_nc_u64_e32 v[4:5], v[2:3], v[6:7]
	s_delay_alu instid0(VALU_DEP_1)
	v_add_nc_u64_e32 v[2:3], v[8:9], v[4:5]
; %bb.10:
	s_or_b32 exec_lo, exec_lo, s4
	ds_swizzle_b32 v4, v4 offset:swizzle(BROADCAST,32,15)
	ds_swizzle_b32 v7, v3 offset:swizzle(BROADCAST,32,15)
	v_and_b32_e32 v5, 16, v1
	s_mov_b32 s5, exec_lo
	s_delay_alu instid0(VALU_DEP_1)
	v_cmpx_ne_u32_e32 0, v5
	s_cbranch_execz .LBB2146_12
; %bb.11:
	v_mov_b32_e32 v6, 0
	s_delay_alu instid0(VALU_DEP_1) | instskip(SKIP_1) | instid1(VALU_DEP_1)
	v_mov_b32_e32 v5, v6
	s_wait_dscnt 0x1
	v_add_nc_u64_e32 v[2:3], v[2:3], v[4:5]
	s_wait_dscnt 0x0
	s_delay_alu instid0(VALU_DEP_1)
	v_add_nc_u64_e32 v[2:3], v[2:3], v[6:7]
.LBB2146_12:
	s_or_b32 exec_lo, exec_lo, s5
	s_wait_dscnt 0x1
	v_dual_lshrrev_b32 v12, 5, v0 :: v_dual_bitop2_b32 v4, 31, v0 bitop3:0x54
	s_mov_b32 s5, exec_lo
	s_delay_alu instid0(VALU_DEP_1)
	v_cmpx_eq_u32_e64 v0, v4
; %bb.13:
	s_delay_alu instid0(VALU_DEP_2)
	v_lshlrev_b32_e32 v4, 3, v12
	ds_store_b64 v4, v[2:3]
; %bb.14:
	s_or_b32 exec_lo, exec_lo, s5
	s_delay_alu instid0(SALU_CYCLE_1)
	s_mov_b32 s5, exec_lo
	s_wait_dscnt 0x0
	s_barrier_signal -1
	s_barrier_wait -1
	v_cmpx_gt_u32_e32 16, v0
	s_cbranch_execz .LBB2146_24
; %bb.15:
	v_lshlrev_b32_e32 v13, 3, v0
	ds_load_b64 v[4:5], v13
	s_wait_dscnt 0x0
	v_mov_b32_dpp v8, v4 row_shr:1 row_mask:0xf bank_mask:0xf
	v_mov_b32_dpp v11, v5 row_shr:1 row_mask:0xf bank_mask:0xf
	v_mov_b32_e32 v6, v4
	s_and_saveexec_b32 s4, s0
; %bb.16:
	v_mov_b32_e32 v10, 0
	s_delay_alu instid0(VALU_DEP_1) | instskip(NEXT) | instid1(VALU_DEP_1)
	v_mov_b32_e32 v9, v10
	v_add_nc_u64_e32 v[6:7], v[4:5], v[8:9]
	s_delay_alu instid0(VALU_DEP_1)
	v_add_nc_u64_e32 v[4:5], v[10:11], v[6:7]
; %bb.17:
	s_or_b32 exec_lo, exec_lo, s4
	v_mov_b32_dpp v8, v6 row_shr:2 row_mask:0xf bank_mask:0xf
	s_delay_alu instid0(VALU_DEP_2)
	v_mov_b32_dpp v11, v5 row_shr:2 row_mask:0xf bank_mask:0xf
	s_and_saveexec_b32 s0, s1
; %bb.18:
	v_mov_b32_e32 v10, 0
	s_delay_alu instid0(VALU_DEP_1) | instskip(NEXT) | instid1(VALU_DEP_1)
	v_mov_b32_e32 v9, v10
	v_add_nc_u64_e32 v[6:7], v[4:5], v[8:9]
	s_delay_alu instid0(VALU_DEP_1)
	v_add_nc_u64_e32 v[4:5], v[10:11], v[6:7]
; %bb.19:
	s_or_b32 exec_lo, exec_lo, s0
	v_mov_b32_dpp v8, v6 row_shr:4 row_mask:0xf bank_mask:0xf
	s_delay_alu instid0(VALU_DEP_2)
	v_mov_b32_dpp v11, v5 row_shr:4 row_mask:0xf bank_mask:0xf
	;; [unrolled: 13-line block ×3, first 2 shown]
	s_and_saveexec_b32 s0, s3
; %bb.22:
	v_mov_b32_e32 v8, 0
	s_delay_alu instid0(VALU_DEP_1) | instskip(NEXT) | instid1(VALU_DEP_1)
	v_mov_b32_e32 v7, v8
	v_add_nc_u64_e32 v[4:5], v[4:5], v[6:7]
	s_delay_alu instid0(VALU_DEP_1)
	v_add_nc_u64_e32 v[4:5], v[4:5], v[8:9]
; %bb.23:
	s_or_b32 exec_lo, exec_lo, s0
	ds_store_b64 v13, v[4:5]
.LBB2146_24:
	s_or_b32 exec_lo, exec_lo, s5
	v_mov_b64_e32 v[4:5], 0
	s_mov_b32 s1, exec_lo
	s_wait_dscnt 0x0
	s_barrier_signal -1
	s_barrier_wait -1
	v_cmpx_lt_u32_e32 31, v0
; %bb.25:
	v_lshl_add_u32 v4, v12, 3, -8
	ds_load_b64 v[4:5], v4
; %bb.26:
	s_or_b32 exec_lo, exec_lo, s1
	v_add_nc_u32_e32 v6, -1, v1
	s_wait_dscnt 0x0
	v_add_nc_u64_e32 v[2:3], v[4:5], v[2:3]
	s_delay_alu instid0(VALU_DEP_2) | instskip(NEXT) | instid1(VALU_DEP_1)
	v_cmp_gt_i32_e64 s0, 0, v6
	v_cndmask_b32_e64 v6, v6, v1, s0
	s_delay_alu instid0(VALU_DEP_1)
	v_lshlrev_b32_e32 v6, 2, v6
	ds_bpermute_b32 v2, v6, v2
	ds_bpermute_b32 v3, v6, v3
	s_and_saveexec_b32 s0, vcc_lo
	s_cbranch_execz .LBB2146_28
; %bb.27:
	v_cmp_eq_u32_e32 vcc_lo, 0, v1
	s_wait_dscnt 0x0
	v_dual_cndmask_b32 v3, v3, v5 :: v_dual_cndmask_b32 v2, v2, v4
	global_store_b64 v0, v[2:3], s[6:7] scale_offset
.LBB2146_28:
	s_endpgm
	.section	.rodata,"a",@progbits
	.p2align	6, 0x0
	.amdhsa_kernel _ZN7rocprim17ROCPRIM_400000_NS6detail17trampoline_kernelINS0_14default_configENS1_35radix_sort_onesweep_config_selectorI6__halfNS0_10empty_typeEEEZNS1_34radix_sort_onesweep_global_offsetsIS3_Lb1EPKS5_PS6_mNS0_19identity_decomposerEEE10hipError_tT1_T2_PT3_SG_jT4_jjP12ihipStream_tbEUlT_E0_NS1_11comp_targetILNS1_3genE0ELNS1_11target_archE4294967295ELNS1_3gpuE0ELNS1_3repE0EEENS1_52radix_sort_onesweep_histogram_config_static_selectorELNS0_4arch9wavefront6targetE0EEEvSE_
		.amdhsa_group_segment_fixed_size 128
		.amdhsa_private_segment_fixed_size 0
		.amdhsa_kernarg_size 8
		.amdhsa_user_sgpr_count 2
		.amdhsa_user_sgpr_dispatch_ptr 0
		.amdhsa_user_sgpr_queue_ptr 0
		.amdhsa_user_sgpr_kernarg_segment_ptr 1
		.amdhsa_user_sgpr_dispatch_id 0
		.amdhsa_user_sgpr_kernarg_preload_length 0
		.amdhsa_user_sgpr_kernarg_preload_offset 0
		.amdhsa_user_sgpr_private_segment_size 0
		.amdhsa_wavefront_size32 1
		.amdhsa_uses_dynamic_stack 0
		.amdhsa_enable_private_segment 0
		.amdhsa_system_sgpr_workgroup_id_x 1
		.amdhsa_system_sgpr_workgroup_id_y 0
		.amdhsa_system_sgpr_workgroup_id_z 0
		.amdhsa_system_sgpr_workgroup_info 0
		.amdhsa_system_vgpr_workitem_id 0
		.amdhsa_next_free_vgpr 14
		.amdhsa_next_free_sgpr 8
		.amdhsa_named_barrier_count 0
		.amdhsa_reserve_vcc 1
		.amdhsa_float_round_mode_32 0
		.amdhsa_float_round_mode_16_64 0
		.amdhsa_float_denorm_mode_32 3
		.amdhsa_float_denorm_mode_16_64 3
		.amdhsa_fp16_overflow 0
		.amdhsa_memory_ordered 1
		.amdhsa_forward_progress 1
		.amdhsa_inst_pref_size 7
		.amdhsa_round_robin_scheduling 0
		.amdhsa_exception_fp_ieee_invalid_op 0
		.amdhsa_exception_fp_denorm_src 0
		.amdhsa_exception_fp_ieee_div_zero 0
		.amdhsa_exception_fp_ieee_overflow 0
		.amdhsa_exception_fp_ieee_underflow 0
		.amdhsa_exception_fp_ieee_inexact 0
		.amdhsa_exception_int_div_zero 0
	.end_amdhsa_kernel
	.section	.text._ZN7rocprim17ROCPRIM_400000_NS6detail17trampoline_kernelINS0_14default_configENS1_35radix_sort_onesweep_config_selectorI6__halfNS0_10empty_typeEEEZNS1_34radix_sort_onesweep_global_offsetsIS3_Lb1EPKS5_PS6_mNS0_19identity_decomposerEEE10hipError_tT1_T2_PT3_SG_jT4_jjP12ihipStream_tbEUlT_E0_NS1_11comp_targetILNS1_3genE0ELNS1_11target_archE4294967295ELNS1_3gpuE0ELNS1_3repE0EEENS1_52radix_sort_onesweep_histogram_config_static_selectorELNS0_4arch9wavefront6targetE0EEEvSE_,"axG",@progbits,_ZN7rocprim17ROCPRIM_400000_NS6detail17trampoline_kernelINS0_14default_configENS1_35radix_sort_onesweep_config_selectorI6__halfNS0_10empty_typeEEEZNS1_34radix_sort_onesweep_global_offsetsIS3_Lb1EPKS5_PS6_mNS0_19identity_decomposerEEE10hipError_tT1_T2_PT3_SG_jT4_jjP12ihipStream_tbEUlT_E0_NS1_11comp_targetILNS1_3genE0ELNS1_11target_archE4294967295ELNS1_3gpuE0ELNS1_3repE0EEENS1_52radix_sort_onesweep_histogram_config_static_selectorELNS0_4arch9wavefront6targetE0EEEvSE_,comdat
.Lfunc_end2146:
	.size	_ZN7rocprim17ROCPRIM_400000_NS6detail17trampoline_kernelINS0_14default_configENS1_35radix_sort_onesweep_config_selectorI6__halfNS0_10empty_typeEEEZNS1_34radix_sort_onesweep_global_offsetsIS3_Lb1EPKS5_PS6_mNS0_19identity_decomposerEEE10hipError_tT1_T2_PT3_SG_jT4_jjP12ihipStream_tbEUlT_E0_NS1_11comp_targetILNS1_3genE0ELNS1_11target_archE4294967295ELNS1_3gpuE0ELNS1_3repE0EEENS1_52radix_sort_onesweep_histogram_config_static_selectorELNS0_4arch9wavefront6targetE0EEEvSE_, .Lfunc_end2146-_ZN7rocprim17ROCPRIM_400000_NS6detail17trampoline_kernelINS0_14default_configENS1_35radix_sort_onesweep_config_selectorI6__halfNS0_10empty_typeEEEZNS1_34radix_sort_onesweep_global_offsetsIS3_Lb1EPKS5_PS6_mNS0_19identity_decomposerEEE10hipError_tT1_T2_PT3_SG_jT4_jjP12ihipStream_tbEUlT_E0_NS1_11comp_targetILNS1_3genE0ELNS1_11target_archE4294967295ELNS1_3gpuE0ELNS1_3repE0EEENS1_52radix_sort_onesweep_histogram_config_static_selectorELNS0_4arch9wavefront6targetE0EEEvSE_
                                        ; -- End function
	.set _ZN7rocprim17ROCPRIM_400000_NS6detail17trampoline_kernelINS0_14default_configENS1_35radix_sort_onesweep_config_selectorI6__halfNS0_10empty_typeEEEZNS1_34radix_sort_onesweep_global_offsetsIS3_Lb1EPKS5_PS6_mNS0_19identity_decomposerEEE10hipError_tT1_T2_PT3_SG_jT4_jjP12ihipStream_tbEUlT_E0_NS1_11comp_targetILNS1_3genE0ELNS1_11target_archE4294967295ELNS1_3gpuE0ELNS1_3repE0EEENS1_52radix_sort_onesweep_histogram_config_static_selectorELNS0_4arch9wavefront6targetE0EEEvSE_.num_vgpr, 14
	.set _ZN7rocprim17ROCPRIM_400000_NS6detail17trampoline_kernelINS0_14default_configENS1_35radix_sort_onesweep_config_selectorI6__halfNS0_10empty_typeEEEZNS1_34radix_sort_onesweep_global_offsetsIS3_Lb1EPKS5_PS6_mNS0_19identity_decomposerEEE10hipError_tT1_T2_PT3_SG_jT4_jjP12ihipStream_tbEUlT_E0_NS1_11comp_targetILNS1_3genE0ELNS1_11target_archE4294967295ELNS1_3gpuE0ELNS1_3repE0EEENS1_52radix_sort_onesweep_histogram_config_static_selectorELNS0_4arch9wavefront6targetE0EEEvSE_.num_agpr, 0
	.set _ZN7rocprim17ROCPRIM_400000_NS6detail17trampoline_kernelINS0_14default_configENS1_35radix_sort_onesweep_config_selectorI6__halfNS0_10empty_typeEEEZNS1_34radix_sort_onesweep_global_offsetsIS3_Lb1EPKS5_PS6_mNS0_19identity_decomposerEEE10hipError_tT1_T2_PT3_SG_jT4_jjP12ihipStream_tbEUlT_E0_NS1_11comp_targetILNS1_3genE0ELNS1_11target_archE4294967295ELNS1_3gpuE0ELNS1_3repE0EEENS1_52radix_sort_onesweep_histogram_config_static_selectorELNS0_4arch9wavefront6targetE0EEEvSE_.numbered_sgpr, 8
	.set _ZN7rocprim17ROCPRIM_400000_NS6detail17trampoline_kernelINS0_14default_configENS1_35radix_sort_onesweep_config_selectorI6__halfNS0_10empty_typeEEEZNS1_34radix_sort_onesweep_global_offsetsIS3_Lb1EPKS5_PS6_mNS0_19identity_decomposerEEE10hipError_tT1_T2_PT3_SG_jT4_jjP12ihipStream_tbEUlT_E0_NS1_11comp_targetILNS1_3genE0ELNS1_11target_archE4294967295ELNS1_3gpuE0ELNS1_3repE0EEENS1_52radix_sort_onesweep_histogram_config_static_selectorELNS0_4arch9wavefront6targetE0EEEvSE_.num_named_barrier, 0
	.set _ZN7rocprim17ROCPRIM_400000_NS6detail17trampoline_kernelINS0_14default_configENS1_35radix_sort_onesweep_config_selectorI6__halfNS0_10empty_typeEEEZNS1_34radix_sort_onesweep_global_offsetsIS3_Lb1EPKS5_PS6_mNS0_19identity_decomposerEEE10hipError_tT1_T2_PT3_SG_jT4_jjP12ihipStream_tbEUlT_E0_NS1_11comp_targetILNS1_3genE0ELNS1_11target_archE4294967295ELNS1_3gpuE0ELNS1_3repE0EEENS1_52radix_sort_onesweep_histogram_config_static_selectorELNS0_4arch9wavefront6targetE0EEEvSE_.private_seg_size, 0
	.set _ZN7rocprim17ROCPRIM_400000_NS6detail17trampoline_kernelINS0_14default_configENS1_35radix_sort_onesweep_config_selectorI6__halfNS0_10empty_typeEEEZNS1_34radix_sort_onesweep_global_offsetsIS3_Lb1EPKS5_PS6_mNS0_19identity_decomposerEEE10hipError_tT1_T2_PT3_SG_jT4_jjP12ihipStream_tbEUlT_E0_NS1_11comp_targetILNS1_3genE0ELNS1_11target_archE4294967295ELNS1_3gpuE0ELNS1_3repE0EEENS1_52radix_sort_onesweep_histogram_config_static_selectorELNS0_4arch9wavefront6targetE0EEEvSE_.uses_vcc, 1
	.set _ZN7rocprim17ROCPRIM_400000_NS6detail17trampoline_kernelINS0_14default_configENS1_35radix_sort_onesweep_config_selectorI6__halfNS0_10empty_typeEEEZNS1_34radix_sort_onesweep_global_offsetsIS3_Lb1EPKS5_PS6_mNS0_19identity_decomposerEEE10hipError_tT1_T2_PT3_SG_jT4_jjP12ihipStream_tbEUlT_E0_NS1_11comp_targetILNS1_3genE0ELNS1_11target_archE4294967295ELNS1_3gpuE0ELNS1_3repE0EEENS1_52radix_sort_onesweep_histogram_config_static_selectorELNS0_4arch9wavefront6targetE0EEEvSE_.uses_flat_scratch, 0
	.set _ZN7rocprim17ROCPRIM_400000_NS6detail17trampoline_kernelINS0_14default_configENS1_35radix_sort_onesweep_config_selectorI6__halfNS0_10empty_typeEEEZNS1_34radix_sort_onesweep_global_offsetsIS3_Lb1EPKS5_PS6_mNS0_19identity_decomposerEEE10hipError_tT1_T2_PT3_SG_jT4_jjP12ihipStream_tbEUlT_E0_NS1_11comp_targetILNS1_3genE0ELNS1_11target_archE4294967295ELNS1_3gpuE0ELNS1_3repE0EEENS1_52radix_sort_onesweep_histogram_config_static_selectorELNS0_4arch9wavefront6targetE0EEEvSE_.has_dyn_sized_stack, 0
	.set _ZN7rocprim17ROCPRIM_400000_NS6detail17trampoline_kernelINS0_14default_configENS1_35radix_sort_onesweep_config_selectorI6__halfNS0_10empty_typeEEEZNS1_34radix_sort_onesweep_global_offsetsIS3_Lb1EPKS5_PS6_mNS0_19identity_decomposerEEE10hipError_tT1_T2_PT3_SG_jT4_jjP12ihipStream_tbEUlT_E0_NS1_11comp_targetILNS1_3genE0ELNS1_11target_archE4294967295ELNS1_3gpuE0ELNS1_3repE0EEENS1_52radix_sort_onesweep_histogram_config_static_selectorELNS0_4arch9wavefront6targetE0EEEvSE_.has_recursion, 0
	.set _ZN7rocprim17ROCPRIM_400000_NS6detail17trampoline_kernelINS0_14default_configENS1_35radix_sort_onesweep_config_selectorI6__halfNS0_10empty_typeEEEZNS1_34radix_sort_onesweep_global_offsetsIS3_Lb1EPKS5_PS6_mNS0_19identity_decomposerEEE10hipError_tT1_T2_PT3_SG_jT4_jjP12ihipStream_tbEUlT_E0_NS1_11comp_targetILNS1_3genE0ELNS1_11target_archE4294967295ELNS1_3gpuE0ELNS1_3repE0EEENS1_52radix_sort_onesweep_histogram_config_static_selectorELNS0_4arch9wavefront6targetE0EEEvSE_.has_indirect_call, 0
	.section	.AMDGPU.csdata,"",@progbits
; Kernel info:
; codeLenInByte = 896
; TotalNumSgprs: 10
; NumVgprs: 14
; ScratchSize: 0
; MemoryBound: 0
; FloatMode: 240
; IeeeMode: 1
; LDSByteSize: 128 bytes/workgroup (compile time only)
; SGPRBlocks: 0
; VGPRBlocks: 0
; NumSGPRsForWavesPerEU: 10
; NumVGPRsForWavesPerEU: 14
; NamedBarCnt: 0
; Occupancy: 16
; WaveLimiterHint : 0
; COMPUTE_PGM_RSRC2:SCRATCH_EN: 0
; COMPUTE_PGM_RSRC2:USER_SGPR: 2
; COMPUTE_PGM_RSRC2:TRAP_HANDLER: 0
; COMPUTE_PGM_RSRC2:TGID_X_EN: 1
; COMPUTE_PGM_RSRC2:TGID_Y_EN: 0
; COMPUTE_PGM_RSRC2:TGID_Z_EN: 0
; COMPUTE_PGM_RSRC2:TIDIG_COMP_CNT: 0
	.section	.text._ZN7rocprim17ROCPRIM_400000_NS6detail17trampoline_kernelINS0_14default_configENS1_35radix_sort_onesweep_config_selectorI6__halfNS0_10empty_typeEEEZNS1_34radix_sort_onesweep_global_offsetsIS3_Lb1EPKS5_PS6_mNS0_19identity_decomposerEEE10hipError_tT1_T2_PT3_SG_jT4_jjP12ihipStream_tbEUlT_E0_NS1_11comp_targetILNS1_3genE6ELNS1_11target_archE950ELNS1_3gpuE13ELNS1_3repE0EEENS1_52radix_sort_onesweep_histogram_config_static_selectorELNS0_4arch9wavefront6targetE0EEEvSE_,"axG",@progbits,_ZN7rocprim17ROCPRIM_400000_NS6detail17trampoline_kernelINS0_14default_configENS1_35radix_sort_onesweep_config_selectorI6__halfNS0_10empty_typeEEEZNS1_34radix_sort_onesweep_global_offsetsIS3_Lb1EPKS5_PS6_mNS0_19identity_decomposerEEE10hipError_tT1_T2_PT3_SG_jT4_jjP12ihipStream_tbEUlT_E0_NS1_11comp_targetILNS1_3genE6ELNS1_11target_archE950ELNS1_3gpuE13ELNS1_3repE0EEENS1_52radix_sort_onesweep_histogram_config_static_selectorELNS0_4arch9wavefront6targetE0EEEvSE_,comdat
	.protected	_ZN7rocprim17ROCPRIM_400000_NS6detail17trampoline_kernelINS0_14default_configENS1_35radix_sort_onesweep_config_selectorI6__halfNS0_10empty_typeEEEZNS1_34radix_sort_onesweep_global_offsetsIS3_Lb1EPKS5_PS6_mNS0_19identity_decomposerEEE10hipError_tT1_T2_PT3_SG_jT4_jjP12ihipStream_tbEUlT_E0_NS1_11comp_targetILNS1_3genE6ELNS1_11target_archE950ELNS1_3gpuE13ELNS1_3repE0EEENS1_52radix_sort_onesweep_histogram_config_static_selectorELNS0_4arch9wavefront6targetE0EEEvSE_ ; -- Begin function _ZN7rocprim17ROCPRIM_400000_NS6detail17trampoline_kernelINS0_14default_configENS1_35radix_sort_onesweep_config_selectorI6__halfNS0_10empty_typeEEEZNS1_34radix_sort_onesweep_global_offsetsIS3_Lb1EPKS5_PS6_mNS0_19identity_decomposerEEE10hipError_tT1_T2_PT3_SG_jT4_jjP12ihipStream_tbEUlT_E0_NS1_11comp_targetILNS1_3genE6ELNS1_11target_archE950ELNS1_3gpuE13ELNS1_3repE0EEENS1_52radix_sort_onesweep_histogram_config_static_selectorELNS0_4arch9wavefront6targetE0EEEvSE_
	.globl	_ZN7rocprim17ROCPRIM_400000_NS6detail17trampoline_kernelINS0_14default_configENS1_35radix_sort_onesweep_config_selectorI6__halfNS0_10empty_typeEEEZNS1_34radix_sort_onesweep_global_offsetsIS3_Lb1EPKS5_PS6_mNS0_19identity_decomposerEEE10hipError_tT1_T2_PT3_SG_jT4_jjP12ihipStream_tbEUlT_E0_NS1_11comp_targetILNS1_3genE6ELNS1_11target_archE950ELNS1_3gpuE13ELNS1_3repE0EEENS1_52radix_sort_onesweep_histogram_config_static_selectorELNS0_4arch9wavefront6targetE0EEEvSE_
	.p2align	8
	.type	_ZN7rocprim17ROCPRIM_400000_NS6detail17trampoline_kernelINS0_14default_configENS1_35radix_sort_onesweep_config_selectorI6__halfNS0_10empty_typeEEEZNS1_34radix_sort_onesweep_global_offsetsIS3_Lb1EPKS5_PS6_mNS0_19identity_decomposerEEE10hipError_tT1_T2_PT3_SG_jT4_jjP12ihipStream_tbEUlT_E0_NS1_11comp_targetILNS1_3genE6ELNS1_11target_archE950ELNS1_3gpuE13ELNS1_3repE0EEENS1_52radix_sort_onesweep_histogram_config_static_selectorELNS0_4arch9wavefront6targetE0EEEvSE_,@function
_ZN7rocprim17ROCPRIM_400000_NS6detail17trampoline_kernelINS0_14default_configENS1_35radix_sort_onesweep_config_selectorI6__halfNS0_10empty_typeEEEZNS1_34radix_sort_onesweep_global_offsetsIS3_Lb1EPKS5_PS6_mNS0_19identity_decomposerEEE10hipError_tT1_T2_PT3_SG_jT4_jjP12ihipStream_tbEUlT_E0_NS1_11comp_targetILNS1_3genE6ELNS1_11target_archE950ELNS1_3gpuE13ELNS1_3repE0EEENS1_52radix_sort_onesweep_histogram_config_static_selectorELNS0_4arch9wavefront6targetE0EEEvSE_: ; @_ZN7rocprim17ROCPRIM_400000_NS6detail17trampoline_kernelINS0_14default_configENS1_35radix_sort_onesweep_config_selectorI6__halfNS0_10empty_typeEEEZNS1_34radix_sort_onesweep_global_offsetsIS3_Lb1EPKS5_PS6_mNS0_19identity_decomposerEEE10hipError_tT1_T2_PT3_SG_jT4_jjP12ihipStream_tbEUlT_E0_NS1_11comp_targetILNS1_3genE6ELNS1_11target_archE950ELNS1_3gpuE13ELNS1_3repE0EEENS1_52radix_sort_onesweep_histogram_config_static_selectorELNS0_4arch9wavefront6targetE0EEEvSE_
; %bb.0:
	.section	.rodata,"a",@progbits
	.p2align	6, 0x0
	.amdhsa_kernel _ZN7rocprim17ROCPRIM_400000_NS6detail17trampoline_kernelINS0_14default_configENS1_35radix_sort_onesweep_config_selectorI6__halfNS0_10empty_typeEEEZNS1_34radix_sort_onesweep_global_offsetsIS3_Lb1EPKS5_PS6_mNS0_19identity_decomposerEEE10hipError_tT1_T2_PT3_SG_jT4_jjP12ihipStream_tbEUlT_E0_NS1_11comp_targetILNS1_3genE6ELNS1_11target_archE950ELNS1_3gpuE13ELNS1_3repE0EEENS1_52radix_sort_onesweep_histogram_config_static_selectorELNS0_4arch9wavefront6targetE0EEEvSE_
		.amdhsa_group_segment_fixed_size 0
		.amdhsa_private_segment_fixed_size 0
		.amdhsa_kernarg_size 8
		.amdhsa_user_sgpr_count 2
		.amdhsa_user_sgpr_dispatch_ptr 0
		.amdhsa_user_sgpr_queue_ptr 0
		.amdhsa_user_sgpr_kernarg_segment_ptr 1
		.amdhsa_user_sgpr_dispatch_id 0
		.amdhsa_user_sgpr_kernarg_preload_length 0
		.amdhsa_user_sgpr_kernarg_preload_offset 0
		.amdhsa_user_sgpr_private_segment_size 0
		.amdhsa_wavefront_size32 1
		.amdhsa_uses_dynamic_stack 0
		.amdhsa_enable_private_segment 0
		.amdhsa_system_sgpr_workgroup_id_x 1
		.amdhsa_system_sgpr_workgroup_id_y 0
		.amdhsa_system_sgpr_workgroup_id_z 0
		.amdhsa_system_sgpr_workgroup_info 0
		.amdhsa_system_vgpr_workitem_id 0
		.amdhsa_next_free_vgpr 1
		.amdhsa_next_free_sgpr 1
		.amdhsa_named_barrier_count 0
		.amdhsa_reserve_vcc 0
		.amdhsa_float_round_mode_32 0
		.amdhsa_float_round_mode_16_64 0
		.amdhsa_float_denorm_mode_32 3
		.amdhsa_float_denorm_mode_16_64 3
		.amdhsa_fp16_overflow 0
		.amdhsa_memory_ordered 1
		.amdhsa_forward_progress 1
		.amdhsa_inst_pref_size 0
		.amdhsa_round_robin_scheduling 0
		.amdhsa_exception_fp_ieee_invalid_op 0
		.amdhsa_exception_fp_denorm_src 0
		.amdhsa_exception_fp_ieee_div_zero 0
		.amdhsa_exception_fp_ieee_overflow 0
		.amdhsa_exception_fp_ieee_underflow 0
		.amdhsa_exception_fp_ieee_inexact 0
		.amdhsa_exception_int_div_zero 0
	.end_amdhsa_kernel
	.section	.text._ZN7rocprim17ROCPRIM_400000_NS6detail17trampoline_kernelINS0_14default_configENS1_35radix_sort_onesweep_config_selectorI6__halfNS0_10empty_typeEEEZNS1_34radix_sort_onesweep_global_offsetsIS3_Lb1EPKS5_PS6_mNS0_19identity_decomposerEEE10hipError_tT1_T2_PT3_SG_jT4_jjP12ihipStream_tbEUlT_E0_NS1_11comp_targetILNS1_3genE6ELNS1_11target_archE950ELNS1_3gpuE13ELNS1_3repE0EEENS1_52radix_sort_onesweep_histogram_config_static_selectorELNS0_4arch9wavefront6targetE0EEEvSE_,"axG",@progbits,_ZN7rocprim17ROCPRIM_400000_NS6detail17trampoline_kernelINS0_14default_configENS1_35radix_sort_onesweep_config_selectorI6__halfNS0_10empty_typeEEEZNS1_34radix_sort_onesweep_global_offsetsIS3_Lb1EPKS5_PS6_mNS0_19identity_decomposerEEE10hipError_tT1_T2_PT3_SG_jT4_jjP12ihipStream_tbEUlT_E0_NS1_11comp_targetILNS1_3genE6ELNS1_11target_archE950ELNS1_3gpuE13ELNS1_3repE0EEENS1_52radix_sort_onesweep_histogram_config_static_selectorELNS0_4arch9wavefront6targetE0EEEvSE_,comdat
.Lfunc_end2147:
	.size	_ZN7rocprim17ROCPRIM_400000_NS6detail17trampoline_kernelINS0_14default_configENS1_35radix_sort_onesweep_config_selectorI6__halfNS0_10empty_typeEEEZNS1_34radix_sort_onesweep_global_offsetsIS3_Lb1EPKS5_PS6_mNS0_19identity_decomposerEEE10hipError_tT1_T2_PT3_SG_jT4_jjP12ihipStream_tbEUlT_E0_NS1_11comp_targetILNS1_3genE6ELNS1_11target_archE950ELNS1_3gpuE13ELNS1_3repE0EEENS1_52radix_sort_onesweep_histogram_config_static_selectorELNS0_4arch9wavefront6targetE0EEEvSE_, .Lfunc_end2147-_ZN7rocprim17ROCPRIM_400000_NS6detail17trampoline_kernelINS0_14default_configENS1_35radix_sort_onesweep_config_selectorI6__halfNS0_10empty_typeEEEZNS1_34radix_sort_onesweep_global_offsetsIS3_Lb1EPKS5_PS6_mNS0_19identity_decomposerEEE10hipError_tT1_T2_PT3_SG_jT4_jjP12ihipStream_tbEUlT_E0_NS1_11comp_targetILNS1_3genE6ELNS1_11target_archE950ELNS1_3gpuE13ELNS1_3repE0EEENS1_52radix_sort_onesweep_histogram_config_static_selectorELNS0_4arch9wavefront6targetE0EEEvSE_
                                        ; -- End function
	.set _ZN7rocprim17ROCPRIM_400000_NS6detail17trampoline_kernelINS0_14default_configENS1_35radix_sort_onesweep_config_selectorI6__halfNS0_10empty_typeEEEZNS1_34radix_sort_onesweep_global_offsetsIS3_Lb1EPKS5_PS6_mNS0_19identity_decomposerEEE10hipError_tT1_T2_PT3_SG_jT4_jjP12ihipStream_tbEUlT_E0_NS1_11comp_targetILNS1_3genE6ELNS1_11target_archE950ELNS1_3gpuE13ELNS1_3repE0EEENS1_52radix_sort_onesweep_histogram_config_static_selectorELNS0_4arch9wavefront6targetE0EEEvSE_.num_vgpr, 0
	.set _ZN7rocprim17ROCPRIM_400000_NS6detail17trampoline_kernelINS0_14default_configENS1_35radix_sort_onesweep_config_selectorI6__halfNS0_10empty_typeEEEZNS1_34radix_sort_onesweep_global_offsetsIS3_Lb1EPKS5_PS6_mNS0_19identity_decomposerEEE10hipError_tT1_T2_PT3_SG_jT4_jjP12ihipStream_tbEUlT_E0_NS1_11comp_targetILNS1_3genE6ELNS1_11target_archE950ELNS1_3gpuE13ELNS1_3repE0EEENS1_52radix_sort_onesweep_histogram_config_static_selectorELNS0_4arch9wavefront6targetE0EEEvSE_.num_agpr, 0
	.set _ZN7rocprim17ROCPRIM_400000_NS6detail17trampoline_kernelINS0_14default_configENS1_35radix_sort_onesweep_config_selectorI6__halfNS0_10empty_typeEEEZNS1_34radix_sort_onesweep_global_offsetsIS3_Lb1EPKS5_PS6_mNS0_19identity_decomposerEEE10hipError_tT1_T2_PT3_SG_jT4_jjP12ihipStream_tbEUlT_E0_NS1_11comp_targetILNS1_3genE6ELNS1_11target_archE950ELNS1_3gpuE13ELNS1_3repE0EEENS1_52radix_sort_onesweep_histogram_config_static_selectorELNS0_4arch9wavefront6targetE0EEEvSE_.numbered_sgpr, 0
	.set _ZN7rocprim17ROCPRIM_400000_NS6detail17trampoline_kernelINS0_14default_configENS1_35radix_sort_onesweep_config_selectorI6__halfNS0_10empty_typeEEEZNS1_34radix_sort_onesweep_global_offsetsIS3_Lb1EPKS5_PS6_mNS0_19identity_decomposerEEE10hipError_tT1_T2_PT3_SG_jT4_jjP12ihipStream_tbEUlT_E0_NS1_11comp_targetILNS1_3genE6ELNS1_11target_archE950ELNS1_3gpuE13ELNS1_3repE0EEENS1_52radix_sort_onesweep_histogram_config_static_selectorELNS0_4arch9wavefront6targetE0EEEvSE_.num_named_barrier, 0
	.set _ZN7rocprim17ROCPRIM_400000_NS6detail17trampoline_kernelINS0_14default_configENS1_35radix_sort_onesweep_config_selectorI6__halfNS0_10empty_typeEEEZNS1_34radix_sort_onesweep_global_offsetsIS3_Lb1EPKS5_PS6_mNS0_19identity_decomposerEEE10hipError_tT1_T2_PT3_SG_jT4_jjP12ihipStream_tbEUlT_E0_NS1_11comp_targetILNS1_3genE6ELNS1_11target_archE950ELNS1_3gpuE13ELNS1_3repE0EEENS1_52radix_sort_onesweep_histogram_config_static_selectorELNS0_4arch9wavefront6targetE0EEEvSE_.private_seg_size, 0
	.set _ZN7rocprim17ROCPRIM_400000_NS6detail17trampoline_kernelINS0_14default_configENS1_35radix_sort_onesweep_config_selectorI6__halfNS0_10empty_typeEEEZNS1_34radix_sort_onesweep_global_offsetsIS3_Lb1EPKS5_PS6_mNS0_19identity_decomposerEEE10hipError_tT1_T2_PT3_SG_jT4_jjP12ihipStream_tbEUlT_E0_NS1_11comp_targetILNS1_3genE6ELNS1_11target_archE950ELNS1_3gpuE13ELNS1_3repE0EEENS1_52radix_sort_onesweep_histogram_config_static_selectorELNS0_4arch9wavefront6targetE0EEEvSE_.uses_vcc, 0
	.set _ZN7rocprim17ROCPRIM_400000_NS6detail17trampoline_kernelINS0_14default_configENS1_35radix_sort_onesweep_config_selectorI6__halfNS0_10empty_typeEEEZNS1_34radix_sort_onesweep_global_offsetsIS3_Lb1EPKS5_PS6_mNS0_19identity_decomposerEEE10hipError_tT1_T2_PT3_SG_jT4_jjP12ihipStream_tbEUlT_E0_NS1_11comp_targetILNS1_3genE6ELNS1_11target_archE950ELNS1_3gpuE13ELNS1_3repE0EEENS1_52radix_sort_onesweep_histogram_config_static_selectorELNS0_4arch9wavefront6targetE0EEEvSE_.uses_flat_scratch, 0
	.set _ZN7rocprim17ROCPRIM_400000_NS6detail17trampoline_kernelINS0_14default_configENS1_35radix_sort_onesweep_config_selectorI6__halfNS0_10empty_typeEEEZNS1_34radix_sort_onesweep_global_offsetsIS3_Lb1EPKS5_PS6_mNS0_19identity_decomposerEEE10hipError_tT1_T2_PT3_SG_jT4_jjP12ihipStream_tbEUlT_E0_NS1_11comp_targetILNS1_3genE6ELNS1_11target_archE950ELNS1_3gpuE13ELNS1_3repE0EEENS1_52radix_sort_onesweep_histogram_config_static_selectorELNS0_4arch9wavefront6targetE0EEEvSE_.has_dyn_sized_stack, 0
	.set _ZN7rocprim17ROCPRIM_400000_NS6detail17trampoline_kernelINS0_14default_configENS1_35radix_sort_onesweep_config_selectorI6__halfNS0_10empty_typeEEEZNS1_34radix_sort_onesweep_global_offsetsIS3_Lb1EPKS5_PS6_mNS0_19identity_decomposerEEE10hipError_tT1_T2_PT3_SG_jT4_jjP12ihipStream_tbEUlT_E0_NS1_11comp_targetILNS1_3genE6ELNS1_11target_archE950ELNS1_3gpuE13ELNS1_3repE0EEENS1_52radix_sort_onesweep_histogram_config_static_selectorELNS0_4arch9wavefront6targetE0EEEvSE_.has_recursion, 0
	.set _ZN7rocprim17ROCPRIM_400000_NS6detail17trampoline_kernelINS0_14default_configENS1_35radix_sort_onesweep_config_selectorI6__halfNS0_10empty_typeEEEZNS1_34radix_sort_onesweep_global_offsetsIS3_Lb1EPKS5_PS6_mNS0_19identity_decomposerEEE10hipError_tT1_T2_PT3_SG_jT4_jjP12ihipStream_tbEUlT_E0_NS1_11comp_targetILNS1_3genE6ELNS1_11target_archE950ELNS1_3gpuE13ELNS1_3repE0EEENS1_52radix_sort_onesweep_histogram_config_static_selectorELNS0_4arch9wavefront6targetE0EEEvSE_.has_indirect_call, 0
	.section	.AMDGPU.csdata,"",@progbits
; Kernel info:
; codeLenInByte = 0
; TotalNumSgprs: 0
; NumVgprs: 0
; ScratchSize: 0
; MemoryBound: 0
; FloatMode: 240
; IeeeMode: 1
; LDSByteSize: 0 bytes/workgroup (compile time only)
; SGPRBlocks: 0
; VGPRBlocks: 0
; NumSGPRsForWavesPerEU: 1
; NumVGPRsForWavesPerEU: 1
; NamedBarCnt: 0
; Occupancy: 16
; WaveLimiterHint : 0
; COMPUTE_PGM_RSRC2:SCRATCH_EN: 0
; COMPUTE_PGM_RSRC2:USER_SGPR: 2
; COMPUTE_PGM_RSRC2:TRAP_HANDLER: 0
; COMPUTE_PGM_RSRC2:TGID_X_EN: 1
; COMPUTE_PGM_RSRC2:TGID_Y_EN: 0
; COMPUTE_PGM_RSRC2:TGID_Z_EN: 0
; COMPUTE_PGM_RSRC2:TIDIG_COMP_CNT: 0
	.section	.text._ZN7rocprim17ROCPRIM_400000_NS6detail17trampoline_kernelINS0_14default_configENS1_35radix_sort_onesweep_config_selectorI6__halfNS0_10empty_typeEEEZNS1_34radix_sort_onesweep_global_offsetsIS3_Lb1EPKS5_PS6_mNS0_19identity_decomposerEEE10hipError_tT1_T2_PT3_SG_jT4_jjP12ihipStream_tbEUlT_E0_NS1_11comp_targetILNS1_3genE5ELNS1_11target_archE942ELNS1_3gpuE9ELNS1_3repE0EEENS1_52radix_sort_onesweep_histogram_config_static_selectorELNS0_4arch9wavefront6targetE0EEEvSE_,"axG",@progbits,_ZN7rocprim17ROCPRIM_400000_NS6detail17trampoline_kernelINS0_14default_configENS1_35radix_sort_onesweep_config_selectorI6__halfNS0_10empty_typeEEEZNS1_34radix_sort_onesweep_global_offsetsIS3_Lb1EPKS5_PS6_mNS0_19identity_decomposerEEE10hipError_tT1_T2_PT3_SG_jT4_jjP12ihipStream_tbEUlT_E0_NS1_11comp_targetILNS1_3genE5ELNS1_11target_archE942ELNS1_3gpuE9ELNS1_3repE0EEENS1_52radix_sort_onesweep_histogram_config_static_selectorELNS0_4arch9wavefront6targetE0EEEvSE_,comdat
	.protected	_ZN7rocprim17ROCPRIM_400000_NS6detail17trampoline_kernelINS0_14default_configENS1_35radix_sort_onesweep_config_selectorI6__halfNS0_10empty_typeEEEZNS1_34radix_sort_onesweep_global_offsetsIS3_Lb1EPKS5_PS6_mNS0_19identity_decomposerEEE10hipError_tT1_T2_PT3_SG_jT4_jjP12ihipStream_tbEUlT_E0_NS1_11comp_targetILNS1_3genE5ELNS1_11target_archE942ELNS1_3gpuE9ELNS1_3repE0EEENS1_52radix_sort_onesweep_histogram_config_static_selectorELNS0_4arch9wavefront6targetE0EEEvSE_ ; -- Begin function _ZN7rocprim17ROCPRIM_400000_NS6detail17trampoline_kernelINS0_14default_configENS1_35radix_sort_onesweep_config_selectorI6__halfNS0_10empty_typeEEEZNS1_34radix_sort_onesweep_global_offsetsIS3_Lb1EPKS5_PS6_mNS0_19identity_decomposerEEE10hipError_tT1_T2_PT3_SG_jT4_jjP12ihipStream_tbEUlT_E0_NS1_11comp_targetILNS1_3genE5ELNS1_11target_archE942ELNS1_3gpuE9ELNS1_3repE0EEENS1_52radix_sort_onesweep_histogram_config_static_selectorELNS0_4arch9wavefront6targetE0EEEvSE_
	.globl	_ZN7rocprim17ROCPRIM_400000_NS6detail17trampoline_kernelINS0_14default_configENS1_35radix_sort_onesweep_config_selectorI6__halfNS0_10empty_typeEEEZNS1_34radix_sort_onesweep_global_offsetsIS3_Lb1EPKS5_PS6_mNS0_19identity_decomposerEEE10hipError_tT1_T2_PT3_SG_jT4_jjP12ihipStream_tbEUlT_E0_NS1_11comp_targetILNS1_3genE5ELNS1_11target_archE942ELNS1_3gpuE9ELNS1_3repE0EEENS1_52radix_sort_onesweep_histogram_config_static_selectorELNS0_4arch9wavefront6targetE0EEEvSE_
	.p2align	8
	.type	_ZN7rocprim17ROCPRIM_400000_NS6detail17trampoline_kernelINS0_14default_configENS1_35radix_sort_onesweep_config_selectorI6__halfNS0_10empty_typeEEEZNS1_34radix_sort_onesweep_global_offsetsIS3_Lb1EPKS5_PS6_mNS0_19identity_decomposerEEE10hipError_tT1_T2_PT3_SG_jT4_jjP12ihipStream_tbEUlT_E0_NS1_11comp_targetILNS1_3genE5ELNS1_11target_archE942ELNS1_3gpuE9ELNS1_3repE0EEENS1_52radix_sort_onesweep_histogram_config_static_selectorELNS0_4arch9wavefront6targetE0EEEvSE_,@function
_ZN7rocprim17ROCPRIM_400000_NS6detail17trampoline_kernelINS0_14default_configENS1_35radix_sort_onesweep_config_selectorI6__halfNS0_10empty_typeEEEZNS1_34radix_sort_onesweep_global_offsetsIS3_Lb1EPKS5_PS6_mNS0_19identity_decomposerEEE10hipError_tT1_T2_PT3_SG_jT4_jjP12ihipStream_tbEUlT_E0_NS1_11comp_targetILNS1_3genE5ELNS1_11target_archE942ELNS1_3gpuE9ELNS1_3repE0EEENS1_52radix_sort_onesweep_histogram_config_static_selectorELNS0_4arch9wavefront6targetE0EEEvSE_: ; @_ZN7rocprim17ROCPRIM_400000_NS6detail17trampoline_kernelINS0_14default_configENS1_35radix_sort_onesweep_config_selectorI6__halfNS0_10empty_typeEEEZNS1_34radix_sort_onesweep_global_offsetsIS3_Lb1EPKS5_PS6_mNS0_19identity_decomposerEEE10hipError_tT1_T2_PT3_SG_jT4_jjP12ihipStream_tbEUlT_E0_NS1_11comp_targetILNS1_3genE5ELNS1_11target_archE942ELNS1_3gpuE9ELNS1_3repE0EEENS1_52radix_sort_onesweep_histogram_config_static_selectorELNS0_4arch9wavefront6targetE0EEEvSE_
; %bb.0:
	.section	.rodata,"a",@progbits
	.p2align	6, 0x0
	.amdhsa_kernel _ZN7rocprim17ROCPRIM_400000_NS6detail17trampoline_kernelINS0_14default_configENS1_35radix_sort_onesweep_config_selectorI6__halfNS0_10empty_typeEEEZNS1_34radix_sort_onesweep_global_offsetsIS3_Lb1EPKS5_PS6_mNS0_19identity_decomposerEEE10hipError_tT1_T2_PT3_SG_jT4_jjP12ihipStream_tbEUlT_E0_NS1_11comp_targetILNS1_3genE5ELNS1_11target_archE942ELNS1_3gpuE9ELNS1_3repE0EEENS1_52radix_sort_onesweep_histogram_config_static_selectorELNS0_4arch9wavefront6targetE0EEEvSE_
		.amdhsa_group_segment_fixed_size 0
		.amdhsa_private_segment_fixed_size 0
		.amdhsa_kernarg_size 8
		.amdhsa_user_sgpr_count 2
		.amdhsa_user_sgpr_dispatch_ptr 0
		.amdhsa_user_sgpr_queue_ptr 0
		.amdhsa_user_sgpr_kernarg_segment_ptr 1
		.amdhsa_user_sgpr_dispatch_id 0
		.amdhsa_user_sgpr_kernarg_preload_length 0
		.amdhsa_user_sgpr_kernarg_preload_offset 0
		.amdhsa_user_sgpr_private_segment_size 0
		.amdhsa_wavefront_size32 1
		.amdhsa_uses_dynamic_stack 0
		.amdhsa_enable_private_segment 0
		.amdhsa_system_sgpr_workgroup_id_x 1
		.amdhsa_system_sgpr_workgroup_id_y 0
		.amdhsa_system_sgpr_workgroup_id_z 0
		.amdhsa_system_sgpr_workgroup_info 0
		.amdhsa_system_vgpr_workitem_id 0
		.amdhsa_next_free_vgpr 1
		.amdhsa_next_free_sgpr 1
		.amdhsa_named_barrier_count 0
		.amdhsa_reserve_vcc 0
		.amdhsa_float_round_mode_32 0
		.amdhsa_float_round_mode_16_64 0
		.amdhsa_float_denorm_mode_32 3
		.amdhsa_float_denorm_mode_16_64 3
		.amdhsa_fp16_overflow 0
		.amdhsa_memory_ordered 1
		.amdhsa_forward_progress 1
		.amdhsa_inst_pref_size 0
		.amdhsa_round_robin_scheduling 0
		.amdhsa_exception_fp_ieee_invalid_op 0
		.amdhsa_exception_fp_denorm_src 0
		.amdhsa_exception_fp_ieee_div_zero 0
		.amdhsa_exception_fp_ieee_overflow 0
		.amdhsa_exception_fp_ieee_underflow 0
		.amdhsa_exception_fp_ieee_inexact 0
		.amdhsa_exception_int_div_zero 0
	.end_amdhsa_kernel
	.section	.text._ZN7rocprim17ROCPRIM_400000_NS6detail17trampoline_kernelINS0_14default_configENS1_35radix_sort_onesweep_config_selectorI6__halfNS0_10empty_typeEEEZNS1_34radix_sort_onesweep_global_offsetsIS3_Lb1EPKS5_PS6_mNS0_19identity_decomposerEEE10hipError_tT1_T2_PT3_SG_jT4_jjP12ihipStream_tbEUlT_E0_NS1_11comp_targetILNS1_3genE5ELNS1_11target_archE942ELNS1_3gpuE9ELNS1_3repE0EEENS1_52radix_sort_onesweep_histogram_config_static_selectorELNS0_4arch9wavefront6targetE0EEEvSE_,"axG",@progbits,_ZN7rocprim17ROCPRIM_400000_NS6detail17trampoline_kernelINS0_14default_configENS1_35radix_sort_onesweep_config_selectorI6__halfNS0_10empty_typeEEEZNS1_34radix_sort_onesweep_global_offsetsIS3_Lb1EPKS5_PS6_mNS0_19identity_decomposerEEE10hipError_tT1_T2_PT3_SG_jT4_jjP12ihipStream_tbEUlT_E0_NS1_11comp_targetILNS1_3genE5ELNS1_11target_archE942ELNS1_3gpuE9ELNS1_3repE0EEENS1_52radix_sort_onesweep_histogram_config_static_selectorELNS0_4arch9wavefront6targetE0EEEvSE_,comdat
.Lfunc_end2148:
	.size	_ZN7rocprim17ROCPRIM_400000_NS6detail17trampoline_kernelINS0_14default_configENS1_35radix_sort_onesweep_config_selectorI6__halfNS0_10empty_typeEEEZNS1_34radix_sort_onesweep_global_offsetsIS3_Lb1EPKS5_PS6_mNS0_19identity_decomposerEEE10hipError_tT1_T2_PT3_SG_jT4_jjP12ihipStream_tbEUlT_E0_NS1_11comp_targetILNS1_3genE5ELNS1_11target_archE942ELNS1_3gpuE9ELNS1_3repE0EEENS1_52radix_sort_onesweep_histogram_config_static_selectorELNS0_4arch9wavefront6targetE0EEEvSE_, .Lfunc_end2148-_ZN7rocprim17ROCPRIM_400000_NS6detail17trampoline_kernelINS0_14default_configENS1_35radix_sort_onesweep_config_selectorI6__halfNS0_10empty_typeEEEZNS1_34radix_sort_onesweep_global_offsetsIS3_Lb1EPKS5_PS6_mNS0_19identity_decomposerEEE10hipError_tT1_T2_PT3_SG_jT4_jjP12ihipStream_tbEUlT_E0_NS1_11comp_targetILNS1_3genE5ELNS1_11target_archE942ELNS1_3gpuE9ELNS1_3repE0EEENS1_52radix_sort_onesweep_histogram_config_static_selectorELNS0_4arch9wavefront6targetE0EEEvSE_
                                        ; -- End function
	.set _ZN7rocprim17ROCPRIM_400000_NS6detail17trampoline_kernelINS0_14default_configENS1_35radix_sort_onesweep_config_selectorI6__halfNS0_10empty_typeEEEZNS1_34radix_sort_onesweep_global_offsetsIS3_Lb1EPKS5_PS6_mNS0_19identity_decomposerEEE10hipError_tT1_T2_PT3_SG_jT4_jjP12ihipStream_tbEUlT_E0_NS1_11comp_targetILNS1_3genE5ELNS1_11target_archE942ELNS1_3gpuE9ELNS1_3repE0EEENS1_52radix_sort_onesweep_histogram_config_static_selectorELNS0_4arch9wavefront6targetE0EEEvSE_.num_vgpr, 0
	.set _ZN7rocprim17ROCPRIM_400000_NS6detail17trampoline_kernelINS0_14default_configENS1_35radix_sort_onesweep_config_selectorI6__halfNS0_10empty_typeEEEZNS1_34radix_sort_onesweep_global_offsetsIS3_Lb1EPKS5_PS6_mNS0_19identity_decomposerEEE10hipError_tT1_T2_PT3_SG_jT4_jjP12ihipStream_tbEUlT_E0_NS1_11comp_targetILNS1_3genE5ELNS1_11target_archE942ELNS1_3gpuE9ELNS1_3repE0EEENS1_52radix_sort_onesweep_histogram_config_static_selectorELNS0_4arch9wavefront6targetE0EEEvSE_.num_agpr, 0
	.set _ZN7rocprim17ROCPRIM_400000_NS6detail17trampoline_kernelINS0_14default_configENS1_35radix_sort_onesweep_config_selectorI6__halfNS0_10empty_typeEEEZNS1_34radix_sort_onesweep_global_offsetsIS3_Lb1EPKS5_PS6_mNS0_19identity_decomposerEEE10hipError_tT1_T2_PT3_SG_jT4_jjP12ihipStream_tbEUlT_E0_NS1_11comp_targetILNS1_3genE5ELNS1_11target_archE942ELNS1_3gpuE9ELNS1_3repE0EEENS1_52radix_sort_onesweep_histogram_config_static_selectorELNS0_4arch9wavefront6targetE0EEEvSE_.numbered_sgpr, 0
	.set _ZN7rocprim17ROCPRIM_400000_NS6detail17trampoline_kernelINS0_14default_configENS1_35radix_sort_onesweep_config_selectorI6__halfNS0_10empty_typeEEEZNS1_34radix_sort_onesweep_global_offsetsIS3_Lb1EPKS5_PS6_mNS0_19identity_decomposerEEE10hipError_tT1_T2_PT3_SG_jT4_jjP12ihipStream_tbEUlT_E0_NS1_11comp_targetILNS1_3genE5ELNS1_11target_archE942ELNS1_3gpuE9ELNS1_3repE0EEENS1_52radix_sort_onesweep_histogram_config_static_selectorELNS0_4arch9wavefront6targetE0EEEvSE_.num_named_barrier, 0
	.set _ZN7rocprim17ROCPRIM_400000_NS6detail17trampoline_kernelINS0_14default_configENS1_35radix_sort_onesweep_config_selectorI6__halfNS0_10empty_typeEEEZNS1_34radix_sort_onesweep_global_offsetsIS3_Lb1EPKS5_PS6_mNS0_19identity_decomposerEEE10hipError_tT1_T2_PT3_SG_jT4_jjP12ihipStream_tbEUlT_E0_NS1_11comp_targetILNS1_3genE5ELNS1_11target_archE942ELNS1_3gpuE9ELNS1_3repE0EEENS1_52radix_sort_onesweep_histogram_config_static_selectorELNS0_4arch9wavefront6targetE0EEEvSE_.private_seg_size, 0
	.set _ZN7rocprim17ROCPRIM_400000_NS6detail17trampoline_kernelINS0_14default_configENS1_35radix_sort_onesweep_config_selectorI6__halfNS0_10empty_typeEEEZNS1_34radix_sort_onesweep_global_offsetsIS3_Lb1EPKS5_PS6_mNS0_19identity_decomposerEEE10hipError_tT1_T2_PT3_SG_jT4_jjP12ihipStream_tbEUlT_E0_NS1_11comp_targetILNS1_3genE5ELNS1_11target_archE942ELNS1_3gpuE9ELNS1_3repE0EEENS1_52radix_sort_onesweep_histogram_config_static_selectorELNS0_4arch9wavefront6targetE0EEEvSE_.uses_vcc, 0
	.set _ZN7rocprim17ROCPRIM_400000_NS6detail17trampoline_kernelINS0_14default_configENS1_35radix_sort_onesweep_config_selectorI6__halfNS0_10empty_typeEEEZNS1_34radix_sort_onesweep_global_offsetsIS3_Lb1EPKS5_PS6_mNS0_19identity_decomposerEEE10hipError_tT1_T2_PT3_SG_jT4_jjP12ihipStream_tbEUlT_E0_NS1_11comp_targetILNS1_3genE5ELNS1_11target_archE942ELNS1_3gpuE9ELNS1_3repE0EEENS1_52radix_sort_onesweep_histogram_config_static_selectorELNS0_4arch9wavefront6targetE0EEEvSE_.uses_flat_scratch, 0
	.set _ZN7rocprim17ROCPRIM_400000_NS6detail17trampoline_kernelINS0_14default_configENS1_35radix_sort_onesweep_config_selectorI6__halfNS0_10empty_typeEEEZNS1_34radix_sort_onesweep_global_offsetsIS3_Lb1EPKS5_PS6_mNS0_19identity_decomposerEEE10hipError_tT1_T2_PT3_SG_jT4_jjP12ihipStream_tbEUlT_E0_NS1_11comp_targetILNS1_3genE5ELNS1_11target_archE942ELNS1_3gpuE9ELNS1_3repE0EEENS1_52radix_sort_onesweep_histogram_config_static_selectorELNS0_4arch9wavefront6targetE0EEEvSE_.has_dyn_sized_stack, 0
	.set _ZN7rocprim17ROCPRIM_400000_NS6detail17trampoline_kernelINS0_14default_configENS1_35radix_sort_onesweep_config_selectorI6__halfNS0_10empty_typeEEEZNS1_34radix_sort_onesweep_global_offsetsIS3_Lb1EPKS5_PS6_mNS0_19identity_decomposerEEE10hipError_tT1_T2_PT3_SG_jT4_jjP12ihipStream_tbEUlT_E0_NS1_11comp_targetILNS1_3genE5ELNS1_11target_archE942ELNS1_3gpuE9ELNS1_3repE0EEENS1_52radix_sort_onesweep_histogram_config_static_selectorELNS0_4arch9wavefront6targetE0EEEvSE_.has_recursion, 0
	.set _ZN7rocprim17ROCPRIM_400000_NS6detail17trampoline_kernelINS0_14default_configENS1_35radix_sort_onesweep_config_selectorI6__halfNS0_10empty_typeEEEZNS1_34radix_sort_onesweep_global_offsetsIS3_Lb1EPKS5_PS6_mNS0_19identity_decomposerEEE10hipError_tT1_T2_PT3_SG_jT4_jjP12ihipStream_tbEUlT_E0_NS1_11comp_targetILNS1_3genE5ELNS1_11target_archE942ELNS1_3gpuE9ELNS1_3repE0EEENS1_52radix_sort_onesweep_histogram_config_static_selectorELNS0_4arch9wavefront6targetE0EEEvSE_.has_indirect_call, 0
	.section	.AMDGPU.csdata,"",@progbits
; Kernel info:
; codeLenInByte = 0
; TotalNumSgprs: 0
; NumVgprs: 0
; ScratchSize: 0
; MemoryBound: 0
; FloatMode: 240
; IeeeMode: 1
; LDSByteSize: 0 bytes/workgroup (compile time only)
; SGPRBlocks: 0
; VGPRBlocks: 0
; NumSGPRsForWavesPerEU: 1
; NumVGPRsForWavesPerEU: 1
; NamedBarCnt: 0
; Occupancy: 16
; WaveLimiterHint : 0
; COMPUTE_PGM_RSRC2:SCRATCH_EN: 0
; COMPUTE_PGM_RSRC2:USER_SGPR: 2
; COMPUTE_PGM_RSRC2:TRAP_HANDLER: 0
; COMPUTE_PGM_RSRC2:TGID_X_EN: 1
; COMPUTE_PGM_RSRC2:TGID_Y_EN: 0
; COMPUTE_PGM_RSRC2:TGID_Z_EN: 0
; COMPUTE_PGM_RSRC2:TIDIG_COMP_CNT: 0
	.section	.text._ZN7rocprim17ROCPRIM_400000_NS6detail17trampoline_kernelINS0_14default_configENS1_35radix_sort_onesweep_config_selectorI6__halfNS0_10empty_typeEEEZNS1_34radix_sort_onesweep_global_offsetsIS3_Lb1EPKS5_PS6_mNS0_19identity_decomposerEEE10hipError_tT1_T2_PT3_SG_jT4_jjP12ihipStream_tbEUlT_E0_NS1_11comp_targetILNS1_3genE2ELNS1_11target_archE906ELNS1_3gpuE6ELNS1_3repE0EEENS1_52radix_sort_onesweep_histogram_config_static_selectorELNS0_4arch9wavefront6targetE0EEEvSE_,"axG",@progbits,_ZN7rocprim17ROCPRIM_400000_NS6detail17trampoline_kernelINS0_14default_configENS1_35radix_sort_onesweep_config_selectorI6__halfNS0_10empty_typeEEEZNS1_34radix_sort_onesweep_global_offsetsIS3_Lb1EPKS5_PS6_mNS0_19identity_decomposerEEE10hipError_tT1_T2_PT3_SG_jT4_jjP12ihipStream_tbEUlT_E0_NS1_11comp_targetILNS1_3genE2ELNS1_11target_archE906ELNS1_3gpuE6ELNS1_3repE0EEENS1_52radix_sort_onesweep_histogram_config_static_selectorELNS0_4arch9wavefront6targetE0EEEvSE_,comdat
	.protected	_ZN7rocprim17ROCPRIM_400000_NS6detail17trampoline_kernelINS0_14default_configENS1_35radix_sort_onesweep_config_selectorI6__halfNS0_10empty_typeEEEZNS1_34radix_sort_onesweep_global_offsetsIS3_Lb1EPKS5_PS6_mNS0_19identity_decomposerEEE10hipError_tT1_T2_PT3_SG_jT4_jjP12ihipStream_tbEUlT_E0_NS1_11comp_targetILNS1_3genE2ELNS1_11target_archE906ELNS1_3gpuE6ELNS1_3repE0EEENS1_52radix_sort_onesweep_histogram_config_static_selectorELNS0_4arch9wavefront6targetE0EEEvSE_ ; -- Begin function _ZN7rocprim17ROCPRIM_400000_NS6detail17trampoline_kernelINS0_14default_configENS1_35radix_sort_onesweep_config_selectorI6__halfNS0_10empty_typeEEEZNS1_34radix_sort_onesweep_global_offsetsIS3_Lb1EPKS5_PS6_mNS0_19identity_decomposerEEE10hipError_tT1_T2_PT3_SG_jT4_jjP12ihipStream_tbEUlT_E0_NS1_11comp_targetILNS1_3genE2ELNS1_11target_archE906ELNS1_3gpuE6ELNS1_3repE0EEENS1_52radix_sort_onesweep_histogram_config_static_selectorELNS0_4arch9wavefront6targetE0EEEvSE_
	.globl	_ZN7rocprim17ROCPRIM_400000_NS6detail17trampoline_kernelINS0_14default_configENS1_35radix_sort_onesweep_config_selectorI6__halfNS0_10empty_typeEEEZNS1_34radix_sort_onesweep_global_offsetsIS3_Lb1EPKS5_PS6_mNS0_19identity_decomposerEEE10hipError_tT1_T2_PT3_SG_jT4_jjP12ihipStream_tbEUlT_E0_NS1_11comp_targetILNS1_3genE2ELNS1_11target_archE906ELNS1_3gpuE6ELNS1_3repE0EEENS1_52radix_sort_onesweep_histogram_config_static_selectorELNS0_4arch9wavefront6targetE0EEEvSE_
	.p2align	8
	.type	_ZN7rocprim17ROCPRIM_400000_NS6detail17trampoline_kernelINS0_14default_configENS1_35radix_sort_onesweep_config_selectorI6__halfNS0_10empty_typeEEEZNS1_34radix_sort_onesweep_global_offsetsIS3_Lb1EPKS5_PS6_mNS0_19identity_decomposerEEE10hipError_tT1_T2_PT3_SG_jT4_jjP12ihipStream_tbEUlT_E0_NS1_11comp_targetILNS1_3genE2ELNS1_11target_archE906ELNS1_3gpuE6ELNS1_3repE0EEENS1_52radix_sort_onesweep_histogram_config_static_selectorELNS0_4arch9wavefront6targetE0EEEvSE_,@function
_ZN7rocprim17ROCPRIM_400000_NS6detail17trampoline_kernelINS0_14default_configENS1_35radix_sort_onesweep_config_selectorI6__halfNS0_10empty_typeEEEZNS1_34radix_sort_onesweep_global_offsetsIS3_Lb1EPKS5_PS6_mNS0_19identity_decomposerEEE10hipError_tT1_T2_PT3_SG_jT4_jjP12ihipStream_tbEUlT_E0_NS1_11comp_targetILNS1_3genE2ELNS1_11target_archE906ELNS1_3gpuE6ELNS1_3repE0EEENS1_52radix_sort_onesweep_histogram_config_static_selectorELNS0_4arch9wavefront6targetE0EEEvSE_: ; @_ZN7rocprim17ROCPRIM_400000_NS6detail17trampoline_kernelINS0_14default_configENS1_35radix_sort_onesweep_config_selectorI6__halfNS0_10empty_typeEEEZNS1_34radix_sort_onesweep_global_offsetsIS3_Lb1EPKS5_PS6_mNS0_19identity_decomposerEEE10hipError_tT1_T2_PT3_SG_jT4_jjP12ihipStream_tbEUlT_E0_NS1_11comp_targetILNS1_3genE2ELNS1_11target_archE906ELNS1_3gpuE6ELNS1_3repE0EEENS1_52radix_sort_onesweep_histogram_config_static_selectorELNS0_4arch9wavefront6targetE0EEEvSE_
; %bb.0:
	.section	.rodata,"a",@progbits
	.p2align	6, 0x0
	.amdhsa_kernel _ZN7rocprim17ROCPRIM_400000_NS6detail17trampoline_kernelINS0_14default_configENS1_35radix_sort_onesweep_config_selectorI6__halfNS0_10empty_typeEEEZNS1_34radix_sort_onesweep_global_offsetsIS3_Lb1EPKS5_PS6_mNS0_19identity_decomposerEEE10hipError_tT1_T2_PT3_SG_jT4_jjP12ihipStream_tbEUlT_E0_NS1_11comp_targetILNS1_3genE2ELNS1_11target_archE906ELNS1_3gpuE6ELNS1_3repE0EEENS1_52radix_sort_onesweep_histogram_config_static_selectorELNS0_4arch9wavefront6targetE0EEEvSE_
		.amdhsa_group_segment_fixed_size 0
		.amdhsa_private_segment_fixed_size 0
		.amdhsa_kernarg_size 8
		.amdhsa_user_sgpr_count 2
		.amdhsa_user_sgpr_dispatch_ptr 0
		.amdhsa_user_sgpr_queue_ptr 0
		.amdhsa_user_sgpr_kernarg_segment_ptr 1
		.amdhsa_user_sgpr_dispatch_id 0
		.amdhsa_user_sgpr_kernarg_preload_length 0
		.amdhsa_user_sgpr_kernarg_preload_offset 0
		.amdhsa_user_sgpr_private_segment_size 0
		.amdhsa_wavefront_size32 1
		.amdhsa_uses_dynamic_stack 0
		.amdhsa_enable_private_segment 0
		.amdhsa_system_sgpr_workgroup_id_x 1
		.amdhsa_system_sgpr_workgroup_id_y 0
		.amdhsa_system_sgpr_workgroup_id_z 0
		.amdhsa_system_sgpr_workgroup_info 0
		.amdhsa_system_vgpr_workitem_id 0
		.amdhsa_next_free_vgpr 1
		.amdhsa_next_free_sgpr 1
		.amdhsa_named_barrier_count 0
		.amdhsa_reserve_vcc 0
		.amdhsa_float_round_mode_32 0
		.amdhsa_float_round_mode_16_64 0
		.amdhsa_float_denorm_mode_32 3
		.amdhsa_float_denorm_mode_16_64 3
		.amdhsa_fp16_overflow 0
		.amdhsa_memory_ordered 1
		.amdhsa_forward_progress 1
		.amdhsa_inst_pref_size 0
		.amdhsa_round_robin_scheduling 0
		.amdhsa_exception_fp_ieee_invalid_op 0
		.amdhsa_exception_fp_denorm_src 0
		.amdhsa_exception_fp_ieee_div_zero 0
		.amdhsa_exception_fp_ieee_overflow 0
		.amdhsa_exception_fp_ieee_underflow 0
		.amdhsa_exception_fp_ieee_inexact 0
		.amdhsa_exception_int_div_zero 0
	.end_amdhsa_kernel
	.section	.text._ZN7rocprim17ROCPRIM_400000_NS6detail17trampoline_kernelINS0_14default_configENS1_35radix_sort_onesweep_config_selectorI6__halfNS0_10empty_typeEEEZNS1_34radix_sort_onesweep_global_offsetsIS3_Lb1EPKS5_PS6_mNS0_19identity_decomposerEEE10hipError_tT1_T2_PT3_SG_jT4_jjP12ihipStream_tbEUlT_E0_NS1_11comp_targetILNS1_3genE2ELNS1_11target_archE906ELNS1_3gpuE6ELNS1_3repE0EEENS1_52radix_sort_onesweep_histogram_config_static_selectorELNS0_4arch9wavefront6targetE0EEEvSE_,"axG",@progbits,_ZN7rocprim17ROCPRIM_400000_NS6detail17trampoline_kernelINS0_14default_configENS1_35radix_sort_onesweep_config_selectorI6__halfNS0_10empty_typeEEEZNS1_34radix_sort_onesweep_global_offsetsIS3_Lb1EPKS5_PS6_mNS0_19identity_decomposerEEE10hipError_tT1_T2_PT3_SG_jT4_jjP12ihipStream_tbEUlT_E0_NS1_11comp_targetILNS1_3genE2ELNS1_11target_archE906ELNS1_3gpuE6ELNS1_3repE0EEENS1_52radix_sort_onesweep_histogram_config_static_selectorELNS0_4arch9wavefront6targetE0EEEvSE_,comdat
.Lfunc_end2149:
	.size	_ZN7rocprim17ROCPRIM_400000_NS6detail17trampoline_kernelINS0_14default_configENS1_35radix_sort_onesweep_config_selectorI6__halfNS0_10empty_typeEEEZNS1_34radix_sort_onesweep_global_offsetsIS3_Lb1EPKS5_PS6_mNS0_19identity_decomposerEEE10hipError_tT1_T2_PT3_SG_jT4_jjP12ihipStream_tbEUlT_E0_NS1_11comp_targetILNS1_3genE2ELNS1_11target_archE906ELNS1_3gpuE6ELNS1_3repE0EEENS1_52radix_sort_onesweep_histogram_config_static_selectorELNS0_4arch9wavefront6targetE0EEEvSE_, .Lfunc_end2149-_ZN7rocprim17ROCPRIM_400000_NS6detail17trampoline_kernelINS0_14default_configENS1_35radix_sort_onesweep_config_selectorI6__halfNS0_10empty_typeEEEZNS1_34radix_sort_onesweep_global_offsetsIS3_Lb1EPKS5_PS6_mNS0_19identity_decomposerEEE10hipError_tT1_T2_PT3_SG_jT4_jjP12ihipStream_tbEUlT_E0_NS1_11comp_targetILNS1_3genE2ELNS1_11target_archE906ELNS1_3gpuE6ELNS1_3repE0EEENS1_52radix_sort_onesweep_histogram_config_static_selectorELNS0_4arch9wavefront6targetE0EEEvSE_
                                        ; -- End function
	.set _ZN7rocprim17ROCPRIM_400000_NS6detail17trampoline_kernelINS0_14default_configENS1_35radix_sort_onesweep_config_selectorI6__halfNS0_10empty_typeEEEZNS1_34radix_sort_onesweep_global_offsetsIS3_Lb1EPKS5_PS6_mNS0_19identity_decomposerEEE10hipError_tT1_T2_PT3_SG_jT4_jjP12ihipStream_tbEUlT_E0_NS1_11comp_targetILNS1_3genE2ELNS1_11target_archE906ELNS1_3gpuE6ELNS1_3repE0EEENS1_52radix_sort_onesweep_histogram_config_static_selectorELNS0_4arch9wavefront6targetE0EEEvSE_.num_vgpr, 0
	.set _ZN7rocprim17ROCPRIM_400000_NS6detail17trampoline_kernelINS0_14default_configENS1_35radix_sort_onesweep_config_selectorI6__halfNS0_10empty_typeEEEZNS1_34radix_sort_onesweep_global_offsetsIS3_Lb1EPKS5_PS6_mNS0_19identity_decomposerEEE10hipError_tT1_T2_PT3_SG_jT4_jjP12ihipStream_tbEUlT_E0_NS1_11comp_targetILNS1_3genE2ELNS1_11target_archE906ELNS1_3gpuE6ELNS1_3repE0EEENS1_52radix_sort_onesweep_histogram_config_static_selectorELNS0_4arch9wavefront6targetE0EEEvSE_.num_agpr, 0
	.set _ZN7rocprim17ROCPRIM_400000_NS6detail17trampoline_kernelINS0_14default_configENS1_35radix_sort_onesweep_config_selectorI6__halfNS0_10empty_typeEEEZNS1_34radix_sort_onesweep_global_offsetsIS3_Lb1EPKS5_PS6_mNS0_19identity_decomposerEEE10hipError_tT1_T2_PT3_SG_jT4_jjP12ihipStream_tbEUlT_E0_NS1_11comp_targetILNS1_3genE2ELNS1_11target_archE906ELNS1_3gpuE6ELNS1_3repE0EEENS1_52radix_sort_onesweep_histogram_config_static_selectorELNS0_4arch9wavefront6targetE0EEEvSE_.numbered_sgpr, 0
	.set _ZN7rocprim17ROCPRIM_400000_NS6detail17trampoline_kernelINS0_14default_configENS1_35radix_sort_onesweep_config_selectorI6__halfNS0_10empty_typeEEEZNS1_34radix_sort_onesweep_global_offsetsIS3_Lb1EPKS5_PS6_mNS0_19identity_decomposerEEE10hipError_tT1_T2_PT3_SG_jT4_jjP12ihipStream_tbEUlT_E0_NS1_11comp_targetILNS1_3genE2ELNS1_11target_archE906ELNS1_3gpuE6ELNS1_3repE0EEENS1_52radix_sort_onesweep_histogram_config_static_selectorELNS0_4arch9wavefront6targetE0EEEvSE_.num_named_barrier, 0
	.set _ZN7rocprim17ROCPRIM_400000_NS6detail17trampoline_kernelINS0_14default_configENS1_35radix_sort_onesweep_config_selectorI6__halfNS0_10empty_typeEEEZNS1_34radix_sort_onesweep_global_offsetsIS3_Lb1EPKS5_PS6_mNS0_19identity_decomposerEEE10hipError_tT1_T2_PT3_SG_jT4_jjP12ihipStream_tbEUlT_E0_NS1_11comp_targetILNS1_3genE2ELNS1_11target_archE906ELNS1_3gpuE6ELNS1_3repE0EEENS1_52radix_sort_onesweep_histogram_config_static_selectorELNS0_4arch9wavefront6targetE0EEEvSE_.private_seg_size, 0
	.set _ZN7rocprim17ROCPRIM_400000_NS6detail17trampoline_kernelINS0_14default_configENS1_35radix_sort_onesweep_config_selectorI6__halfNS0_10empty_typeEEEZNS1_34radix_sort_onesweep_global_offsetsIS3_Lb1EPKS5_PS6_mNS0_19identity_decomposerEEE10hipError_tT1_T2_PT3_SG_jT4_jjP12ihipStream_tbEUlT_E0_NS1_11comp_targetILNS1_3genE2ELNS1_11target_archE906ELNS1_3gpuE6ELNS1_3repE0EEENS1_52radix_sort_onesweep_histogram_config_static_selectorELNS0_4arch9wavefront6targetE0EEEvSE_.uses_vcc, 0
	.set _ZN7rocprim17ROCPRIM_400000_NS6detail17trampoline_kernelINS0_14default_configENS1_35radix_sort_onesweep_config_selectorI6__halfNS0_10empty_typeEEEZNS1_34radix_sort_onesweep_global_offsetsIS3_Lb1EPKS5_PS6_mNS0_19identity_decomposerEEE10hipError_tT1_T2_PT3_SG_jT4_jjP12ihipStream_tbEUlT_E0_NS1_11comp_targetILNS1_3genE2ELNS1_11target_archE906ELNS1_3gpuE6ELNS1_3repE0EEENS1_52radix_sort_onesweep_histogram_config_static_selectorELNS0_4arch9wavefront6targetE0EEEvSE_.uses_flat_scratch, 0
	.set _ZN7rocprim17ROCPRIM_400000_NS6detail17trampoline_kernelINS0_14default_configENS1_35radix_sort_onesweep_config_selectorI6__halfNS0_10empty_typeEEEZNS1_34radix_sort_onesweep_global_offsetsIS3_Lb1EPKS5_PS6_mNS0_19identity_decomposerEEE10hipError_tT1_T2_PT3_SG_jT4_jjP12ihipStream_tbEUlT_E0_NS1_11comp_targetILNS1_3genE2ELNS1_11target_archE906ELNS1_3gpuE6ELNS1_3repE0EEENS1_52radix_sort_onesweep_histogram_config_static_selectorELNS0_4arch9wavefront6targetE0EEEvSE_.has_dyn_sized_stack, 0
	.set _ZN7rocprim17ROCPRIM_400000_NS6detail17trampoline_kernelINS0_14default_configENS1_35radix_sort_onesweep_config_selectorI6__halfNS0_10empty_typeEEEZNS1_34radix_sort_onesweep_global_offsetsIS3_Lb1EPKS5_PS6_mNS0_19identity_decomposerEEE10hipError_tT1_T2_PT3_SG_jT4_jjP12ihipStream_tbEUlT_E0_NS1_11comp_targetILNS1_3genE2ELNS1_11target_archE906ELNS1_3gpuE6ELNS1_3repE0EEENS1_52radix_sort_onesweep_histogram_config_static_selectorELNS0_4arch9wavefront6targetE0EEEvSE_.has_recursion, 0
	.set _ZN7rocprim17ROCPRIM_400000_NS6detail17trampoline_kernelINS0_14default_configENS1_35radix_sort_onesweep_config_selectorI6__halfNS0_10empty_typeEEEZNS1_34radix_sort_onesweep_global_offsetsIS3_Lb1EPKS5_PS6_mNS0_19identity_decomposerEEE10hipError_tT1_T2_PT3_SG_jT4_jjP12ihipStream_tbEUlT_E0_NS1_11comp_targetILNS1_3genE2ELNS1_11target_archE906ELNS1_3gpuE6ELNS1_3repE0EEENS1_52radix_sort_onesweep_histogram_config_static_selectorELNS0_4arch9wavefront6targetE0EEEvSE_.has_indirect_call, 0
	.section	.AMDGPU.csdata,"",@progbits
; Kernel info:
; codeLenInByte = 0
; TotalNumSgprs: 0
; NumVgprs: 0
; ScratchSize: 0
; MemoryBound: 0
; FloatMode: 240
; IeeeMode: 1
; LDSByteSize: 0 bytes/workgroup (compile time only)
; SGPRBlocks: 0
; VGPRBlocks: 0
; NumSGPRsForWavesPerEU: 1
; NumVGPRsForWavesPerEU: 1
; NamedBarCnt: 0
; Occupancy: 16
; WaveLimiterHint : 0
; COMPUTE_PGM_RSRC2:SCRATCH_EN: 0
; COMPUTE_PGM_RSRC2:USER_SGPR: 2
; COMPUTE_PGM_RSRC2:TRAP_HANDLER: 0
; COMPUTE_PGM_RSRC2:TGID_X_EN: 1
; COMPUTE_PGM_RSRC2:TGID_Y_EN: 0
; COMPUTE_PGM_RSRC2:TGID_Z_EN: 0
; COMPUTE_PGM_RSRC2:TIDIG_COMP_CNT: 0
	.section	.text._ZN7rocprim17ROCPRIM_400000_NS6detail17trampoline_kernelINS0_14default_configENS1_35radix_sort_onesweep_config_selectorI6__halfNS0_10empty_typeEEEZNS1_34radix_sort_onesweep_global_offsetsIS3_Lb1EPKS5_PS6_mNS0_19identity_decomposerEEE10hipError_tT1_T2_PT3_SG_jT4_jjP12ihipStream_tbEUlT_E0_NS1_11comp_targetILNS1_3genE4ELNS1_11target_archE910ELNS1_3gpuE8ELNS1_3repE0EEENS1_52radix_sort_onesweep_histogram_config_static_selectorELNS0_4arch9wavefront6targetE0EEEvSE_,"axG",@progbits,_ZN7rocprim17ROCPRIM_400000_NS6detail17trampoline_kernelINS0_14default_configENS1_35radix_sort_onesweep_config_selectorI6__halfNS0_10empty_typeEEEZNS1_34radix_sort_onesweep_global_offsetsIS3_Lb1EPKS5_PS6_mNS0_19identity_decomposerEEE10hipError_tT1_T2_PT3_SG_jT4_jjP12ihipStream_tbEUlT_E0_NS1_11comp_targetILNS1_3genE4ELNS1_11target_archE910ELNS1_3gpuE8ELNS1_3repE0EEENS1_52radix_sort_onesweep_histogram_config_static_selectorELNS0_4arch9wavefront6targetE0EEEvSE_,comdat
	.protected	_ZN7rocprim17ROCPRIM_400000_NS6detail17trampoline_kernelINS0_14default_configENS1_35radix_sort_onesweep_config_selectorI6__halfNS0_10empty_typeEEEZNS1_34radix_sort_onesweep_global_offsetsIS3_Lb1EPKS5_PS6_mNS0_19identity_decomposerEEE10hipError_tT1_T2_PT3_SG_jT4_jjP12ihipStream_tbEUlT_E0_NS1_11comp_targetILNS1_3genE4ELNS1_11target_archE910ELNS1_3gpuE8ELNS1_3repE0EEENS1_52radix_sort_onesweep_histogram_config_static_selectorELNS0_4arch9wavefront6targetE0EEEvSE_ ; -- Begin function _ZN7rocprim17ROCPRIM_400000_NS6detail17trampoline_kernelINS0_14default_configENS1_35radix_sort_onesweep_config_selectorI6__halfNS0_10empty_typeEEEZNS1_34radix_sort_onesweep_global_offsetsIS3_Lb1EPKS5_PS6_mNS0_19identity_decomposerEEE10hipError_tT1_T2_PT3_SG_jT4_jjP12ihipStream_tbEUlT_E0_NS1_11comp_targetILNS1_3genE4ELNS1_11target_archE910ELNS1_3gpuE8ELNS1_3repE0EEENS1_52radix_sort_onesweep_histogram_config_static_selectorELNS0_4arch9wavefront6targetE0EEEvSE_
	.globl	_ZN7rocprim17ROCPRIM_400000_NS6detail17trampoline_kernelINS0_14default_configENS1_35radix_sort_onesweep_config_selectorI6__halfNS0_10empty_typeEEEZNS1_34radix_sort_onesweep_global_offsetsIS3_Lb1EPKS5_PS6_mNS0_19identity_decomposerEEE10hipError_tT1_T2_PT3_SG_jT4_jjP12ihipStream_tbEUlT_E0_NS1_11comp_targetILNS1_3genE4ELNS1_11target_archE910ELNS1_3gpuE8ELNS1_3repE0EEENS1_52radix_sort_onesweep_histogram_config_static_selectorELNS0_4arch9wavefront6targetE0EEEvSE_
	.p2align	8
	.type	_ZN7rocprim17ROCPRIM_400000_NS6detail17trampoline_kernelINS0_14default_configENS1_35radix_sort_onesweep_config_selectorI6__halfNS0_10empty_typeEEEZNS1_34radix_sort_onesweep_global_offsetsIS3_Lb1EPKS5_PS6_mNS0_19identity_decomposerEEE10hipError_tT1_T2_PT3_SG_jT4_jjP12ihipStream_tbEUlT_E0_NS1_11comp_targetILNS1_3genE4ELNS1_11target_archE910ELNS1_3gpuE8ELNS1_3repE0EEENS1_52radix_sort_onesweep_histogram_config_static_selectorELNS0_4arch9wavefront6targetE0EEEvSE_,@function
_ZN7rocprim17ROCPRIM_400000_NS6detail17trampoline_kernelINS0_14default_configENS1_35radix_sort_onesweep_config_selectorI6__halfNS0_10empty_typeEEEZNS1_34radix_sort_onesweep_global_offsetsIS3_Lb1EPKS5_PS6_mNS0_19identity_decomposerEEE10hipError_tT1_T2_PT3_SG_jT4_jjP12ihipStream_tbEUlT_E0_NS1_11comp_targetILNS1_3genE4ELNS1_11target_archE910ELNS1_3gpuE8ELNS1_3repE0EEENS1_52radix_sort_onesweep_histogram_config_static_selectorELNS0_4arch9wavefront6targetE0EEEvSE_: ; @_ZN7rocprim17ROCPRIM_400000_NS6detail17trampoline_kernelINS0_14default_configENS1_35radix_sort_onesweep_config_selectorI6__halfNS0_10empty_typeEEEZNS1_34radix_sort_onesweep_global_offsetsIS3_Lb1EPKS5_PS6_mNS0_19identity_decomposerEEE10hipError_tT1_T2_PT3_SG_jT4_jjP12ihipStream_tbEUlT_E0_NS1_11comp_targetILNS1_3genE4ELNS1_11target_archE910ELNS1_3gpuE8ELNS1_3repE0EEENS1_52radix_sort_onesweep_histogram_config_static_selectorELNS0_4arch9wavefront6targetE0EEEvSE_
; %bb.0:
	.section	.rodata,"a",@progbits
	.p2align	6, 0x0
	.amdhsa_kernel _ZN7rocprim17ROCPRIM_400000_NS6detail17trampoline_kernelINS0_14default_configENS1_35radix_sort_onesweep_config_selectorI6__halfNS0_10empty_typeEEEZNS1_34radix_sort_onesweep_global_offsetsIS3_Lb1EPKS5_PS6_mNS0_19identity_decomposerEEE10hipError_tT1_T2_PT3_SG_jT4_jjP12ihipStream_tbEUlT_E0_NS1_11comp_targetILNS1_3genE4ELNS1_11target_archE910ELNS1_3gpuE8ELNS1_3repE0EEENS1_52radix_sort_onesweep_histogram_config_static_selectorELNS0_4arch9wavefront6targetE0EEEvSE_
		.amdhsa_group_segment_fixed_size 0
		.amdhsa_private_segment_fixed_size 0
		.amdhsa_kernarg_size 8
		.amdhsa_user_sgpr_count 2
		.amdhsa_user_sgpr_dispatch_ptr 0
		.amdhsa_user_sgpr_queue_ptr 0
		.amdhsa_user_sgpr_kernarg_segment_ptr 1
		.amdhsa_user_sgpr_dispatch_id 0
		.amdhsa_user_sgpr_kernarg_preload_length 0
		.amdhsa_user_sgpr_kernarg_preload_offset 0
		.amdhsa_user_sgpr_private_segment_size 0
		.amdhsa_wavefront_size32 1
		.amdhsa_uses_dynamic_stack 0
		.amdhsa_enable_private_segment 0
		.amdhsa_system_sgpr_workgroup_id_x 1
		.amdhsa_system_sgpr_workgroup_id_y 0
		.amdhsa_system_sgpr_workgroup_id_z 0
		.amdhsa_system_sgpr_workgroup_info 0
		.amdhsa_system_vgpr_workitem_id 0
		.amdhsa_next_free_vgpr 1
		.amdhsa_next_free_sgpr 1
		.amdhsa_named_barrier_count 0
		.amdhsa_reserve_vcc 0
		.amdhsa_float_round_mode_32 0
		.amdhsa_float_round_mode_16_64 0
		.amdhsa_float_denorm_mode_32 3
		.amdhsa_float_denorm_mode_16_64 3
		.amdhsa_fp16_overflow 0
		.amdhsa_memory_ordered 1
		.amdhsa_forward_progress 1
		.amdhsa_inst_pref_size 0
		.amdhsa_round_robin_scheduling 0
		.amdhsa_exception_fp_ieee_invalid_op 0
		.amdhsa_exception_fp_denorm_src 0
		.amdhsa_exception_fp_ieee_div_zero 0
		.amdhsa_exception_fp_ieee_overflow 0
		.amdhsa_exception_fp_ieee_underflow 0
		.amdhsa_exception_fp_ieee_inexact 0
		.amdhsa_exception_int_div_zero 0
	.end_amdhsa_kernel
	.section	.text._ZN7rocprim17ROCPRIM_400000_NS6detail17trampoline_kernelINS0_14default_configENS1_35radix_sort_onesweep_config_selectorI6__halfNS0_10empty_typeEEEZNS1_34radix_sort_onesweep_global_offsetsIS3_Lb1EPKS5_PS6_mNS0_19identity_decomposerEEE10hipError_tT1_T2_PT3_SG_jT4_jjP12ihipStream_tbEUlT_E0_NS1_11comp_targetILNS1_3genE4ELNS1_11target_archE910ELNS1_3gpuE8ELNS1_3repE0EEENS1_52radix_sort_onesweep_histogram_config_static_selectorELNS0_4arch9wavefront6targetE0EEEvSE_,"axG",@progbits,_ZN7rocprim17ROCPRIM_400000_NS6detail17trampoline_kernelINS0_14default_configENS1_35radix_sort_onesweep_config_selectorI6__halfNS0_10empty_typeEEEZNS1_34radix_sort_onesweep_global_offsetsIS3_Lb1EPKS5_PS6_mNS0_19identity_decomposerEEE10hipError_tT1_T2_PT3_SG_jT4_jjP12ihipStream_tbEUlT_E0_NS1_11comp_targetILNS1_3genE4ELNS1_11target_archE910ELNS1_3gpuE8ELNS1_3repE0EEENS1_52radix_sort_onesweep_histogram_config_static_selectorELNS0_4arch9wavefront6targetE0EEEvSE_,comdat
.Lfunc_end2150:
	.size	_ZN7rocprim17ROCPRIM_400000_NS6detail17trampoline_kernelINS0_14default_configENS1_35radix_sort_onesweep_config_selectorI6__halfNS0_10empty_typeEEEZNS1_34radix_sort_onesweep_global_offsetsIS3_Lb1EPKS5_PS6_mNS0_19identity_decomposerEEE10hipError_tT1_T2_PT3_SG_jT4_jjP12ihipStream_tbEUlT_E0_NS1_11comp_targetILNS1_3genE4ELNS1_11target_archE910ELNS1_3gpuE8ELNS1_3repE0EEENS1_52radix_sort_onesweep_histogram_config_static_selectorELNS0_4arch9wavefront6targetE0EEEvSE_, .Lfunc_end2150-_ZN7rocprim17ROCPRIM_400000_NS6detail17trampoline_kernelINS0_14default_configENS1_35radix_sort_onesweep_config_selectorI6__halfNS0_10empty_typeEEEZNS1_34radix_sort_onesweep_global_offsetsIS3_Lb1EPKS5_PS6_mNS0_19identity_decomposerEEE10hipError_tT1_T2_PT3_SG_jT4_jjP12ihipStream_tbEUlT_E0_NS1_11comp_targetILNS1_3genE4ELNS1_11target_archE910ELNS1_3gpuE8ELNS1_3repE0EEENS1_52radix_sort_onesweep_histogram_config_static_selectorELNS0_4arch9wavefront6targetE0EEEvSE_
                                        ; -- End function
	.set _ZN7rocprim17ROCPRIM_400000_NS6detail17trampoline_kernelINS0_14default_configENS1_35radix_sort_onesweep_config_selectorI6__halfNS0_10empty_typeEEEZNS1_34radix_sort_onesweep_global_offsetsIS3_Lb1EPKS5_PS6_mNS0_19identity_decomposerEEE10hipError_tT1_T2_PT3_SG_jT4_jjP12ihipStream_tbEUlT_E0_NS1_11comp_targetILNS1_3genE4ELNS1_11target_archE910ELNS1_3gpuE8ELNS1_3repE0EEENS1_52radix_sort_onesweep_histogram_config_static_selectorELNS0_4arch9wavefront6targetE0EEEvSE_.num_vgpr, 0
	.set _ZN7rocprim17ROCPRIM_400000_NS6detail17trampoline_kernelINS0_14default_configENS1_35radix_sort_onesweep_config_selectorI6__halfNS0_10empty_typeEEEZNS1_34radix_sort_onesweep_global_offsetsIS3_Lb1EPKS5_PS6_mNS0_19identity_decomposerEEE10hipError_tT1_T2_PT3_SG_jT4_jjP12ihipStream_tbEUlT_E0_NS1_11comp_targetILNS1_3genE4ELNS1_11target_archE910ELNS1_3gpuE8ELNS1_3repE0EEENS1_52radix_sort_onesweep_histogram_config_static_selectorELNS0_4arch9wavefront6targetE0EEEvSE_.num_agpr, 0
	.set _ZN7rocprim17ROCPRIM_400000_NS6detail17trampoline_kernelINS0_14default_configENS1_35radix_sort_onesweep_config_selectorI6__halfNS0_10empty_typeEEEZNS1_34radix_sort_onesweep_global_offsetsIS3_Lb1EPKS5_PS6_mNS0_19identity_decomposerEEE10hipError_tT1_T2_PT3_SG_jT4_jjP12ihipStream_tbEUlT_E0_NS1_11comp_targetILNS1_3genE4ELNS1_11target_archE910ELNS1_3gpuE8ELNS1_3repE0EEENS1_52radix_sort_onesweep_histogram_config_static_selectorELNS0_4arch9wavefront6targetE0EEEvSE_.numbered_sgpr, 0
	.set _ZN7rocprim17ROCPRIM_400000_NS6detail17trampoline_kernelINS0_14default_configENS1_35radix_sort_onesweep_config_selectorI6__halfNS0_10empty_typeEEEZNS1_34radix_sort_onesweep_global_offsetsIS3_Lb1EPKS5_PS6_mNS0_19identity_decomposerEEE10hipError_tT1_T2_PT3_SG_jT4_jjP12ihipStream_tbEUlT_E0_NS1_11comp_targetILNS1_3genE4ELNS1_11target_archE910ELNS1_3gpuE8ELNS1_3repE0EEENS1_52radix_sort_onesweep_histogram_config_static_selectorELNS0_4arch9wavefront6targetE0EEEvSE_.num_named_barrier, 0
	.set _ZN7rocprim17ROCPRIM_400000_NS6detail17trampoline_kernelINS0_14default_configENS1_35radix_sort_onesweep_config_selectorI6__halfNS0_10empty_typeEEEZNS1_34radix_sort_onesweep_global_offsetsIS3_Lb1EPKS5_PS6_mNS0_19identity_decomposerEEE10hipError_tT1_T2_PT3_SG_jT4_jjP12ihipStream_tbEUlT_E0_NS1_11comp_targetILNS1_3genE4ELNS1_11target_archE910ELNS1_3gpuE8ELNS1_3repE0EEENS1_52radix_sort_onesweep_histogram_config_static_selectorELNS0_4arch9wavefront6targetE0EEEvSE_.private_seg_size, 0
	.set _ZN7rocprim17ROCPRIM_400000_NS6detail17trampoline_kernelINS0_14default_configENS1_35radix_sort_onesweep_config_selectorI6__halfNS0_10empty_typeEEEZNS1_34radix_sort_onesweep_global_offsetsIS3_Lb1EPKS5_PS6_mNS0_19identity_decomposerEEE10hipError_tT1_T2_PT3_SG_jT4_jjP12ihipStream_tbEUlT_E0_NS1_11comp_targetILNS1_3genE4ELNS1_11target_archE910ELNS1_3gpuE8ELNS1_3repE0EEENS1_52radix_sort_onesweep_histogram_config_static_selectorELNS0_4arch9wavefront6targetE0EEEvSE_.uses_vcc, 0
	.set _ZN7rocprim17ROCPRIM_400000_NS6detail17trampoline_kernelINS0_14default_configENS1_35radix_sort_onesweep_config_selectorI6__halfNS0_10empty_typeEEEZNS1_34radix_sort_onesweep_global_offsetsIS3_Lb1EPKS5_PS6_mNS0_19identity_decomposerEEE10hipError_tT1_T2_PT3_SG_jT4_jjP12ihipStream_tbEUlT_E0_NS1_11comp_targetILNS1_3genE4ELNS1_11target_archE910ELNS1_3gpuE8ELNS1_3repE0EEENS1_52radix_sort_onesweep_histogram_config_static_selectorELNS0_4arch9wavefront6targetE0EEEvSE_.uses_flat_scratch, 0
	.set _ZN7rocprim17ROCPRIM_400000_NS6detail17trampoline_kernelINS0_14default_configENS1_35radix_sort_onesweep_config_selectorI6__halfNS0_10empty_typeEEEZNS1_34radix_sort_onesweep_global_offsetsIS3_Lb1EPKS5_PS6_mNS0_19identity_decomposerEEE10hipError_tT1_T2_PT3_SG_jT4_jjP12ihipStream_tbEUlT_E0_NS1_11comp_targetILNS1_3genE4ELNS1_11target_archE910ELNS1_3gpuE8ELNS1_3repE0EEENS1_52radix_sort_onesweep_histogram_config_static_selectorELNS0_4arch9wavefront6targetE0EEEvSE_.has_dyn_sized_stack, 0
	.set _ZN7rocprim17ROCPRIM_400000_NS6detail17trampoline_kernelINS0_14default_configENS1_35radix_sort_onesweep_config_selectorI6__halfNS0_10empty_typeEEEZNS1_34radix_sort_onesweep_global_offsetsIS3_Lb1EPKS5_PS6_mNS0_19identity_decomposerEEE10hipError_tT1_T2_PT3_SG_jT4_jjP12ihipStream_tbEUlT_E0_NS1_11comp_targetILNS1_3genE4ELNS1_11target_archE910ELNS1_3gpuE8ELNS1_3repE0EEENS1_52radix_sort_onesweep_histogram_config_static_selectorELNS0_4arch9wavefront6targetE0EEEvSE_.has_recursion, 0
	.set _ZN7rocprim17ROCPRIM_400000_NS6detail17trampoline_kernelINS0_14default_configENS1_35radix_sort_onesweep_config_selectorI6__halfNS0_10empty_typeEEEZNS1_34radix_sort_onesweep_global_offsetsIS3_Lb1EPKS5_PS6_mNS0_19identity_decomposerEEE10hipError_tT1_T2_PT3_SG_jT4_jjP12ihipStream_tbEUlT_E0_NS1_11comp_targetILNS1_3genE4ELNS1_11target_archE910ELNS1_3gpuE8ELNS1_3repE0EEENS1_52radix_sort_onesweep_histogram_config_static_selectorELNS0_4arch9wavefront6targetE0EEEvSE_.has_indirect_call, 0
	.section	.AMDGPU.csdata,"",@progbits
; Kernel info:
; codeLenInByte = 0
; TotalNumSgprs: 0
; NumVgprs: 0
; ScratchSize: 0
; MemoryBound: 0
; FloatMode: 240
; IeeeMode: 1
; LDSByteSize: 0 bytes/workgroup (compile time only)
; SGPRBlocks: 0
; VGPRBlocks: 0
; NumSGPRsForWavesPerEU: 1
; NumVGPRsForWavesPerEU: 1
; NamedBarCnt: 0
; Occupancy: 16
; WaveLimiterHint : 0
; COMPUTE_PGM_RSRC2:SCRATCH_EN: 0
; COMPUTE_PGM_RSRC2:USER_SGPR: 2
; COMPUTE_PGM_RSRC2:TRAP_HANDLER: 0
; COMPUTE_PGM_RSRC2:TGID_X_EN: 1
; COMPUTE_PGM_RSRC2:TGID_Y_EN: 0
; COMPUTE_PGM_RSRC2:TGID_Z_EN: 0
; COMPUTE_PGM_RSRC2:TIDIG_COMP_CNT: 0
	.section	.text._ZN7rocprim17ROCPRIM_400000_NS6detail17trampoline_kernelINS0_14default_configENS1_35radix_sort_onesweep_config_selectorI6__halfNS0_10empty_typeEEEZNS1_34radix_sort_onesweep_global_offsetsIS3_Lb1EPKS5_PS6_mNS0_19identity_decomposerEEE10hipError_tT1_T2_PT3_SG_jT4_jjP12ihipStream_tbEUlT_E0_NS1_11comp_targetILNS1_3genE3ELNS1_11target_archE908ELNS1_3gpuE7ELNS1_3repE0EEENS1_52radix_sort_onesweep_histogram_config_static_selectorELNS0_4arch9wavefront6targetE0EEEvSE_,"axG",@progbits,_ZN7rocprim17ROCPRIM_400000_NS6detail17trampoline_kernelINS0_14default_configENS1_35radix_sort_onesweep_config_selectorI6__halfNS0_10empty_typeEEEZNS1_34radix_sort_onesweep_global_offsetsIS3_Lb1EPKS5_PS6_mNS0_19identity_decomposerEEE10hipError_tT1_T2_PT3_SG_jT4_jjP12ihipStream_tbEUlT_E0_NS1_11comp_targetILNS1_3genE3ELNS1_11target_archE908ELNS1_3gpuE7ELNS1_3repE0EEENS1_52radix_sort_onesweep_histogram_config_static_selectorELNS0_4arch9wavefront6targetE0EEEvSE_,comdat
	.protected	_ZN7rocprim17ROCPRIM_400000_NS6detail17trampoline_kernelINS0_14default_configENS1_35radix_sort_onesweep_config_selectorI6__halfNS0_10empty_typeEEEZNS1_34radix_sort_onesweep_global_offsetsIS3_Lb1EPKS5_PS6_mNS0_19identity_decomposerEEE10hipError_tT1_T2_PT3_SG_jT4_jjP12ihipStream_tbEUlT_E0_NS1_11comp_targetILNS1_3genE3ELNS1_11target_archE908ELNS1_3gpuE7ELNS1_3repE0EEENS1_52radix_sort_onesweep_histogram_config_static_selectorELNS0_4arch9wavefront6targetE0EEEvSE_ ; -- Begin function _ZN7rocprim17ROCPRIM_400000_NS6detail17trampoline_kernelINS0_14default_configENS1_35radix_sort_onesweep_config_selectorI6__halfNS0_10empty_typeEEEZNS1_34radix_sort_onesweep_global_offsetsIS3_Lb1EPKS5_PS6_mNS0_19identity_decomposerEEE10hipError_tT1_T2_PT3_SG_jT4_jjP12ihipStream_tbEUlT_E0_NS1_11comp_targetILNS1_3genE3ELNS1_11target_archE908ELNS1_3gpuE7ELNS1_3repE0EEENS1_52radix_sort_onesweep_histogram_config_static_selectorELNS0_4arch9wavefront6targetE0EEEvSE_
	.globl	_ZN7rocprim17ROCPRIM_400000_NS6detail17trampoline_kernelINS0_14default_configENS1_35radix_sort_onesweep_config_selectorI6__halfNS0_10empty_typeEEEZNS1_34radix_sort_onesweep_global_offsetsIS3_Lb1EPKS5_PS6_mNS0_19identity_decomposerEEE10hipError_tT1_T2_PT3_SG_jT4_jjP12ihipStream_tbEUlT_E0_NS1_11comp_targetILNS1_3genE3ELNS1_11target_archE908ELNS1_3gpuE7ELNS1_3repE0EEENS1_52radix_sort_onesweep_histogram_config_static_selectorELNS0_4arch9wavefront6targetE0EEEvSE_
	.p2align	8
	.type	_ZN7rocprim17ROCPRIM_400000_NS6detail17trampoline_kernelINS0_14default_configENS1_35radix_sort_onesweep_config_selectorI6__halfNS0_10empty_typeEEEZNS1_34radix_sort_onesweep_global_offsetsIS3_Lb1EPKS5_PS6_mNS0_19identity_decomposerEEE10hipError_tT1_T2_PT3_SG_jT4_jjP12ihipStream_tbEUlT_E0_NS1_11comp_targetILNS1_3genE3ELNS1_11target_archE908ELNS1_3gpuE7ELNS1_3repE0EEENS1_52radix_sort_onesweep_histogram_config_static_selectorELNS0_4arch9wavefront6targetE0EEEvSE_,@function
_ZN7rocprim17ROCPRIM_400000_NS6detail17trampoline_kernelINS0_14default_configENS1_35radix_sort_onesweep_config_selectorI6__halfNS0_10empty_typeEEEZNS1_34radix_sort_onesweep_global_offsetsIS3_Lb1EPKS5_PS6_mNS0_19identity_decomposerEEE10hipError_tT1_T2_PT3_SG_jT4_jjP12ihipStream_tbEUlT_E0_NS1_11comp_targetILNS1_3genE3ELNS1_11target_archE908ELNS1_3gpuE7ELNS1_3repE0EEENS1_52radix_sort_onesweep_histogram_config_static_selectorELNS0_4arch9wavefront6targetE0EEEvSE_: ; @_ZN7rocprim17ROCPRIM_400000_NS6detail17trampoline_kernelINS0_14default_configENS1_35radix_sort_onesweep_config_selectorI6__halfNS0_10empty_typeEEEZNS1_34radix_sort_onesweep_global_offsetsIS3_Lb1EPKS5_PS6_mNS0_19identity_decomposerEEE10hipError_tT1_T2_PT3_SG_jT4_jjP12ihipStream_tbEUlT_E0_NS1_11comp_targetILNS1_3genE3ELNS1_11target_archE908ELNS1_3gpuE7ELNS1_3repE0EEENS1_52radix_sort_onesweep_histogram_config_static_selectorELNS0_4arch9wavefront6targetE0EEEvSE_
; %bb.0:
	.section	.rodata,"a",@progbits
	.p2align	6, 0x0
	.amdhsa_kernel _ZN7rocprim17ROCPRIM_400000_NS6detail17trampoline_kernelINS0_14default_configENS1_35radix_sort_onesweep_config_selectorI6__halfNS0_10empty_typeEEEZNS1_34radix_sort_onesweep_global_offsetsIS3_Lb1EPKS5_PS6_mNS0_19identity_decomposerEEE10hipError_tT1_T2_PT3_SG_jT4_jjP12ihipStream_tbEUlT_E0_NS1_11comp_targetILNS1_3genE3ELNS1_11target_archE908ELNS1_3gpuE7ELNS1_3repE0EEENS1_52radix_sort_onesweep_histogram_config_static_selectorELNS0_4arch9wavefront6targetE0EEEvSE_
		.amdhsa_group_segment_fixed_size 0
		.amdhsa_private_segment_fixed_size 0
		.amdhsa_kernarg_size 8
		.amdhsa_user_sgpr_count 2
		.amdhsa_user_sgpr_dispatch_ptr 0
		.amdhsa_user_sgpr_queue_ptr 0
		.amdhsa_user_sgpr_kernarg_segment_ptr 1
		.amdhsa_user_sgpr_dispatch_id 0
		.amdhsa_user_sgpr_kernarg_preload_length 0
		.amdhsa_user_sgpr_kernarg_preload_offset 0
		.amdhsa_user_sgpr_private_segment_size 0
		.amdhsa_wavefront_size32 1
		.amdhsa_uses_dynamic_stack 0
		.amdhsa_enable_private_segment 0
		.amdhsa_system_sgpr_workgroup_id_x 1
		.amdhsa_system_sgpr_workgroup_id_y 0
		.amdhsa_system_sgpr_workgroup_id_z 0
		.amdhsa_system_sgpr_workgroup_info 0
		.amdhsa_system_vgpr_workitem_id 0
		.amdhsa_next_free_vgpr 1
		.amdhsa_next_free_sgpr 1
		.amdhsa_named_barrier_count 0
		.amdhsa_reserve_vcc 0
		.amdhsa_float_round_mode_32 0
		.amdhsa_float_round_mode_16_64 0
		.amdhsa_float_denorm_mode_32 3
		.amdhsa_float_denorm_mode_16_64 3
		.amdhsa_fp16_overflow 0
		.amdhsa_memory_ordered 1
		.amdhsa_forward_progress 1
		.amdhsa_inst_pref_size 0
		.amdhsa_round_robin_scheduling 0
		.amdhsa_exception_fp_ieee_invalid_op 0
		.amdhsa_exception_fp_denorm_src 0
		.amdhsa_exception_fp_ieee_div_zero 0
		.amdhsa_exception_fp_ieee_overflow 0
		.amdhsa_exception_fp_ieee_underflow 0
		.amdhsa_exception_fp_ieee_inexact 0
		.amdhsa_exception_int_div_zero 0
	.end_amdhsa_kernel
	.section	.text._ZN7rocprim17ROCPRIM_400000_NS6detail17trampoline_kernelINS0_14default_configENS1_35radix_sort_onesweep_config_selectorI6__halfNS0_10empty_typeEEEZNS1_34radix_sort_onesweep_global_offsetsIS3_Lb1EPKS5_PS6_mNS0_19identity_decomposerEEE10hipError_tT1_T2_PT3_SG_jT4_jjP12ihipStream_tbEUlT_E0_NS1_11comp_targetILNS1_3genE3ELNS1_11target_archE908ELNS1_3gpuE7ELNS1_3repE0EEENS1_52radix_sort_onesweep_histogram_config_static_selectorELNS0_4arch9wavefront6targetE0EEEvSE_,"axG",@progbits,_ZN7rocprim17ROCPRIM_400000_NS6detail17trampoline_kernelINS0_14default_configENS1_35radix_sort_onesweep_config_selectorI6__halfNS0_10empty_typeEEEZNS1_34radix_sort_onesweep_global_offsetsIS3_Lb1EPKS5_PS6_mNS0_19identity_decomposerEEE10hipError_tT1_T2_PT3_SG_jT4_jjP12ihipStream_tbEUlT_E0_NS1_11comp_targetILNS1_3genE3ELNS1_11target_archE908ELNS1_3gpuE7ELNS1_3repE0EEENS1_52radix_sort_onesweep_histogram_config_static_selectorELNS0_4arch9wavefront6targetE0EEEvSE_,comdat
.Lfunc_end2151:
	.size	_ZN7rocprim17ROCPRIM_400000_NS6detail17trampoline_kernelINS0_14default_configENS1_35radix_sort_onesweep_config_selectorI6__halfNS0_10empty_typeEEEZNS1_34radix_sort_onesweep_global_offsetsIS3_Lb1EPKS5_PS6_mNS0_19identity_decomposerEEE10hipError_tT1_T2_PT3_SG_jT4_jjP12ihipStream_tbEUlT_E0_NS1_11comp_targetILNS1_3genE3ELNS1_11target_archE908ELNS1_3gpuE7ELNS1_3repE0EEENS1_52radix_sort_onesweep_histogram_config_static_selectorELNS0_4arch9wavefront6targetE0EEEvSE_, .Lfunc_end2151-_ZN7rocprim17ROCPRIM_400000_NS6detail17trampoline_kernelINS0_14default_configENS1_35radix_sort_onesweep_config_selectorI6__halfNS0_10empty_typeEEEZNS1_34radix_sort_onesweep_global_offsetsIS3_Lb1EPKS5_PS6_mNS0_19identity_decomposerEEE10hipError_tT1_T2_PT3_SG_jT4_jjP12ihipStream_tbEUlT_E0_NS1_11comp_targetILNS1_3genE3ELNS1_11target_archE908ELNS1_3gpuE7ELNS1_3repE0EEENS1_52radix_sort_onesweep_histogram_config_static_selectorELNS0_4arch9wavefront6targetE0EEEvSE_
                                        ; -- End function
	.set _ZN7rocprim17ROCPRIM_400000_NS6detail17trampoline_kernelINS0_14default_configENS1_35radix_sort_onesweep_config_selectorI6__halfNS0_10empty_typeEEEZNS1_34radix_sort_onesweep_global_offsetsIS3_Lb1EPKS5_PS6_mNS0_19identity_decomposerEEE10hipError_tT1_T2_PT3_SG_jT4_jjP12ihipStream_tbEUlT_E0_NS1_11comp_targetILNS1_3genE3ELNS1_11target_archE908ELNS1_3gpuE7ELNS1_3repE0EEENS1_52radix_sort_onesweep_histogram_config_static_selectorELNS0_4arch9wavefront6targetE0EEEvSE_.num_vgpr, 0
	.set _ZN7rocprim17ROCPRIM_400000_NS6detail17trampoline_kernelINS0_14default_configENS1_35radix_sort_onesweep_config_selectorI6__halfNS0_10empty_typeEEEZNS1_34radix_sort_onesweep_global_offsetsIS3_Lb1EPKS5_PS6_mNS0_19identity_decomposerEEE10hipError_tT1_T2_PT3_SG_jT4_jjP12ihipStream_tbEUlT_E0_NS1_11comp_targetILNS1_3genE3ELNS1_11target_archE908ELNS1_3gpuE7ELNS1_3repE0EEENS1_52radix_sort_onesweep_histogram_config_static_selectorELNS0_4arch9wavefront6targetE0EEEvSE_.num_agpr, 0
	.set _ZN7rocprim17ROCPRIM_400000_NS6detail17trampoline_kernelINS0_14default_configENS1_35radix_sort_onesweep_config_selectorI6__halfNS0_10empty_typeEEEZNS1_34radix_sort_onesweep_global_offsetsIS3_Lb1EPKS5_PS6_mNS0_19identity_decomposerEEE10hipError_tT1_T2_PT3_SG_jT4_jjP12ihipStream_tbEUlT_E0_NS1_11comp_targetILNS1_3genE3ELNS1_11target_archE908ELNS1_3gpuE7ELNS1_3repE0EEENS1_52radix_sort_onesweep_histogram_config_static_selectorELNS0_4arch9wavefront6targetE0EEEvSE_.numbered_sgpr, 0
	.set _ZN7rocprim17ROCPRIM_400000_NS6detail17trampoline_kernelINS0_14default_configENS1_35radix_sort_onesweep_config_selectorI6__halfNS0_10empty_typeEEEZNS1_34radix_sort_onesweep_global_offsetsIS3_Lb1EPKS5_PS6_mNS0_19identity_decomposerEEE10hipError_tT1_T2_PT3_SG_jT4_jjP12ihipStream_tbEUlT_E0_NS1_11comp_targetILNS1_3genE3ELNS1_11target_archE908ELNS1_3gpuE7ELNS1_3repE0EEENS1_52radix_sort_onesweep_histogram_config_static_selectorELNS0_4arch9wavefront6targetE0EEEvSE_.num_named_barrier, 0
	.set _ZN7rocprim17ROCPRIM_400000_NS6detail17trampoline_kernelINS0_14default_configENS1_35radix_sort_onesweep_config_selectorI6__halfNS0_10empty_typeEEEZNS1_34radix_sort_onesweep_global_offsetsIS3_Lb1EPKS5_PS6_mNS0_19identity_decomposerEEE10hipError_tT1_T2_PT3_SG_jT4_jjP12ihipStream_tbEUlT_E0_NS1_11comp_targetILNS1_3genE3ELNS1_11target_archE908ELNS1_3gpuE7ELNS1_3repE0EEENS1_52radix_sort_onesweep_histogram_config_static_selectorELNS0_4arch9wavefront6targetE0EEEvSE_.private_seg_size, 0
	.set _ZN7rocprim17ROCPRIM_400000_NS6detail17trampoline_kernelINS0_14default_configENS1_35radix_sort_onesweep_config_selectorI6__halfNS0_10empty_typeEEEZNS1_34radix_sort_onesweep_global_offsetsIS3_Lb1EPKS5_PS6_mNS0_19identity_decomposerEEE10hipError_tT1_T2_PT3_SG_jT4_jjP12ihipStream_tbEUlT_E0_NS1_11comp_targetILNS1_3genE3ELNS1_11target_archE908ELNS1_3gpuE7ELNS1_3repE0EEENS1_52radix_sort_onesweep_histogram_config_static_selectorELNS0_4arch9wavefront6targetE0EEEvSE_.uses_vcc, 0
	.set _ZN7rocprim17ROCPRIM_400000_NS6detail17trampoline_kernelINS0_14default_configENS1_35radix_sort_onesweep_config_selectorI6__halfNS0_10empty_typeEEEZNS1_34radix_sort_onesweep_global_offsetsIS3_Lb1EPKS5_PS6_mNS0_19identity_decomposerEEE10hipError_tT1_T2_PT3_SG_jT4_jjP12ihipStream_tbEUlT_E0_NS1_11comp_targetILNS1_3genE3ELNS1_11target_archE908ELNS1_3gpuE7ELNS1_3repE0EEENS1_52radix_sort_onesweep_histogram_config_static_selectorELNS0_4arch9wavefront6targetE0EEEvSE_.uses_flat_scratch, 0
	.set _ZN7rocprim17ROCPRIM_400000_NS6detail17trampoline_kernelINS0_14default_configENS1_35radix_sort_onesweep_config_selectorI6__halfNS0_10empty_typeEEEZNS1_34radix_sort_onesweep_global_offsetsIS3_Lb1EPKS5_PS6_mNS0_19identity_decomposerEEE10hipError_tT1_T2_PT3_SG_jT4_jjP12ihipStream_tbEUlT_E0_NS1_11comp_targetILNS1_3genE3ELNS1_11target_archE908ELNS1_3gpuE7ELNS1_3repE0EEENS1_52radix_sort_onesweep_histogram_config_static_selectorELNS0_4arch9wavefront6targetE0EEEvSE_.has_dyn_sized_stack, 0
	.set _ZN7rocprim17ROCPRIM_400000_NS6detail17trampoline_kernelINS0_14default_configENS1_35radix_sort_onesweep_config_selectorI6__halfNS0_10empty_typeEEEZNS1_34radix_sort_onesweep_global_offsetsIS3_Lb1EPKS5_PS6_mNS0_19identity_decomposerEEE10hipError_tT1_T2_PT3_SG_jT4_jjP12ihipStream_tbEUlT_E0_NS1_11comp_targetILNS1_3genE3ELNS1_11target_archE908ELNS1_3gpuE7ELNS1_3repE0EEENS1_52radix_sort_onesweep_histogram_config_static_selectorELNS0_4arch9wavefront6targetE0EEEvSE_.has_recursion, 0
	.set _ZN7rocprim17ROCPRIM_400000_NS6detail17trampoline_kernelINS0_14default_configENS1_35radix_sort_onesweep_config_selectorI6__halfNS0_10empty_typeEEEZNS1_34radix_sort_onesweep_global_offsetsIS3_Lb1EPKS5_PS6_mNS0_19identity_decomposerEEE10hipError_tT1_T2_PT3_SG_jT4_jjP12ihipStream_tbEUlT_E0_NS1_11comp_targetILNS1_3genE3ELNS1_11target_archE908ELNS1_3gpuE7ELNS1_3repE0EEENS1_52radix_sort_onesweep_histogram_config_static_selectorELNS0_4arch9wavefront6targetE0EEEvSE_.has_indirect_call, 0
	.section	.AMDGPU.csdata,"",@progbits
; Kernel info:
; codeLenInByte = 0
; TotalNumSgprs: 0
; NumVgprs: 0
; ScratchSize: 0
; MemoryBound: 0
; FloatMode: 240
; IeeeMode: 1
; LDSByteSize: 0 bytes/workgroup (compile time only)
; SGPRBlocks: 0
; VGPRBlocks: 0
; NumSGPRsForWavesPerEU: 1
; NumVGPRsForWavesPerEU: 1
; NamedBarCnt: 0
; Occupancy: 16
; WaveLimiterHint : 0
; COMPUTE_PGM_RSRC2:SCRATCH_EN: 0
; COMPUTE_PGM_RSRC2:USER_SGPR: 2
; COMPUTE_PGM_RSRC2:TRAP_HANDLER: 0
; COMPUTE_PGM_RSRC2:TGID_X_EN: 1
; COMPUTE_PGM_RSRC2:TGID_Y_EN: 0
; COMPUTE_PGM_RSRC2:TGID_Z_EN: 0
; COMPUTE_PGM_RSRC2:TIDIG_COMP_CNT: 0
	.section	.text._ZN7rocprim17ROCPRIM_400000_NS6detail17trampoline_kernelINS0_14default_configENS1_35radix_sort_onesweep_config_selectorI6__halfNS0_10empty_typeEEEZNS1_34radix_sort_onesweep_global_offsetsIS3_Lb1EPKS5_PS6_mNS0_19identity_decomposerEEE10hipError_tT1_T2_PT3_SG_jT4_jjP12ihipStream_tbEUlT_E0_NS1_11comp_targetILNS1_3genE10ELNS1_11target_archE1201ELNS1_3gpuE5ELNS1_3repE0EEENS1_52radix_sort_onesweep_histogram_config_static_selectorELNS0_4arch9wavefront6targetE0EEEvSE_,"axG",@progbits,_ZN7rocprim17ROCPRIM_400000_NS6detail17trampoline_kernelINS0_14default_configENS1_35radix_sort_onesweep_config_selectorI6__halfNS0_10empty_typeEEEZNS1_34radix_sort_onesweep_global_offsetsIS3_Lb1EPKS5_PS6_mNS0_19identity_decomposerEEE10hipError_tT1_T2_PT3_SG_jT4_jjP12ihipStream_tbEUlT_E0_NS1_11comp_targetILNS1_3genE10ELNS1_11target_archE1201ELNS1_3gpuE5ELNS1_3repE0EEENS1_52radix_sort_onesweep_histogram_config_static_selectorELNS0_4arch9wavefront6targetE0EEEvSE_,comdat
	.protected	_ZN7rocprim17ROCPRIM_400000_NS6detail17trampoline_kernelINS0_14default_configENS1_35radix_sort_onesweep_config_selectorI6__halfNS0_10empty_typeEEEZNS1_34radix_sort_onesweep_global_offsetsIS3_Lb1EPKS5_PS6_mNS0_19identity_decomposerEEE10hipError_tT1_T2_PT3_SG_jT4_jjP12ihipStream_tbEUlT_E0_NS1_11comp_targetILNS1_3genE10ELNS1_11target_archE1201ELNS1_3gpuE5ELNS1_3repE0EEENS1_52radix_sort_onesweep_histogram_config_static_selectorELNS0_4arch9wavefront6targetE0EEEvSE_ ; -- Begin function _ZN7rocprim17ROCPRIM_400000_NS6detail17trampoline_kernelINS0_14default_configENS1_35radix_sort_onesweep_config_selectorI6__halfNS0_10empty_typeEEEZNS1_34radix_sort_onesweep_global_offsetsIS3_Lb1EPKS5_PS6_mNS0_19identity_decomposerEEE10hipError_tT1_T2_PT3_SG_jT4_jjP12ihipStream_tbEUlT_E0_NS1_11comp_targetILNS1_3genE10ELNS1_11target_archE1201ELNS1_3gpuE5ELNS1_3repE0EEENS1_52radix_sort_onesweep_histogram_config_static_selectorELNS0_4arch9wavefront6targetE0EEEvSE_
	.globl	_ZN7rocprim17ROCPRIM_400000_NS6detail17trampoline_kernelINS0_14default_configENS1_35radix_sort_onesweep_config_selectorI6__halfNS0_10empty_typeEEEZNS1_34radix_sort_onesweep_global_offsetsIS3_Lb1EPKS5_PS6_mNS0_19identity_decomposerEEE10hipError_tT1_T2_PT3_SG_jT4_jjP12ihipStream_tbEUlT_E0_NS1_11comp_targetILNS1_3genE10ELNS1_11target_archE1201ELNS1_3gpuE5ELNS1_3repE0EEENS1_52radix_sort_onesweep_histogram_config_static_selectorELNS0_4arch9wavefront6targetE0EEEvSE_
	.p2align	8
	.type	_ZN7rocprim17ROCPRIM_400000_NS6detail17trampoline_kernelINS0_14default_configENS1_35radix_sort_onesweep_config_selectorI6__halfNS0_10empty_typeEEEZNS1_34radix_sort_onesweep_global_offsetsIS3_Lb1EPKS5_PS6_mNS0_19identity_decomposerEEE10hipError_tT1_T2_PT3_SG_jT4_jjP12ihipStream_tbEUlT_E0_NS1_11comp_targetILNS1_3genE10ELNS1_11target_archE1201ELNS1_3gpuE5ELNS1_3repE0EEENS1_52radix_sort_onesweep_histogram_config_static_selectorELNS0_4arch9wavefront6targetE0EEEvSE_,@function
_ZN7rocprim17ROCPRIM_400000_NS6detail17trampoline_kernelINS0_14default_configENS1_35radix_sort_onesweep_config_selectorI6__halfNS0_10empty_typeEEEZNS1_34radix_sort_onesweep_global_offsetsIS3_Lb1EPKS5_PS6_mNS0_19identity_decomposerEEE10hipError_tT1_T2_PT3_SG_jT4_jjP12ihipStream_tbEUlT_E0_NS1_11comp_targetILNS1_3genE10ELNS1_11target_archE1201ELNS1_3gpuE5ELNS1_3repE0EEENS1_52radix_sort_onesweep_histogram_config_static_selectorELNS0_4arch9wavefront6targetE0EEEvSE_: ; @_ZN7rocprim17ROCPRIM_400000_NS6detail17trampoline_kernelINS0_14default_configENS1_35radix_sort_onesweep_config_selectorI6__halfNS0_10empty_typeEEEZNS1_34radix_sort_onesweep_global_offsetsIS3_Lb1EPKS5_PS6_mNS0_19identity_decomposerEEE10hipError_tT1_T2_PT3_SG_jT4_jjP12ihipStream_tbEUlT_E0_NS1_11comp_targetILNS1_3genE10ELNS1_11target_archE1201ELNS1_3gpuE5ELNS1_3repE0EEENS1_52radix_sort_onesweep_histogram_config_static_selectorELNS0_4arch9wavefront6targetE0EEEvSE_
; %bb.0:
	.section	.rodata,"a",@progbits
	.p2align	6, 0x0
	.amdhsa_kernel _ZN7rocprim17ROCPRIM_400000_NS6detail17trampoline_kernelINS0_14default_configENS1_35radix_sort_onesweep_config_selectorI6__halfNS0_10empty_typeEEEZNS1_34radix_sort_onesweep_global_offsetsIS3_Lb1EPKS5_PS6_mNS0_19identity_decomposerEEE10hipError_tT1_T2_PT3_SG_jT4_jjP12ihipStream_tbEUlT_E0_NS1_11comp_targetILNS1_3genE10ELNS1_11target_archE1201ELNS1_3gpuE5ELNS1_3repE0EEENS1_52radix_sort_onesweep_histogram_config_static_selectorELNS0_4arch9wavefront6targetE0EEEvSE_
		.amdhsa_group_segment_fixed_size 0
		.amdhsa_private_segment_fixed_size 0
		.amdhsa_kernarg_size 8
		.amdhsa_user_sgpr_count 2
		.amdhsa_user_sgpr_dispatch_ptr 0
		.amdhsa_user_sgpr_queue_ptr 0
		.amdhsa_user_sgpr_kernarg_segment_ptr 1
		.amdhsa_user_sgpr_dispatch_id 0
		.amdhsa_user_sgpr_kernarg_preload_length 0
		.amdhsa_user_sgpr_kernarg_preload_offset 0
		.amdhsa_user_sgpr_private_segment_size 0
		.amdhsa_wavefront_size32 1
		.amdhsa_uses_dynamic_stack 0
		.amdhsa_enable_private_segment 0
		.amdhsa_system_sgpr_workgroup_id_x 1
		.amdhsa_system_sgpr_workgroup_id_y 0
		.amdhsa_system_sgpr_workgroup_id_z 0
		.amdhsa_system_sgpr_workgroup_info 0
		.amdhsa_system_vgpr_workitem_id 0
		.amdhsa_next_free_vgpr 1
		.amdhsa_next_free_sgpr 1
		.amdhsa_named_barrier_count 0
		.amdhsa_reserve_vcc 0
		.amdhsa_float_round_mode_32 0
		.amdhsa_float_round_mode_16_64 0
		.amdhsa_float_denorm_mode_32 3
		.amdhsa_float_denorm_mode_16_64 3
		.amdhsa_fp16_overflow 0
		.amdhsa_memory_ordered 1
		.amdhsa_forward_progress 1
		.amdhsa_inst_pref_size 0
		.amdhsa_round_robin_scheduling 0
		.amdhsa_exception_fp_ieee_invalid_op 0
		.amdhsa_exception_fp_denorm_src 0
		.amdhsa_exception_fp_ieee_div_zero 0
		.amdhsa_exception_fp_ieee_overflow 0
		.amdhsa_exception_fp_ieee_underflow 0
		.amdhsa_exception_fp_ieee_inexact 0
		.amdhsa_exception_int_div_zero 0
	.end_amdhsa_kernel
	.section	.text._ZN7rocprim17ROCPRIM_400000_NS6detail17trampoline_kernelINS0_14default_configENS1_35radix_sort_onesweep_config_selectorI6__halfNS0_10empty_typeEEEZNS1_34radix_sort_onesweep_global_offsetsIS3_Lb1EPKS5_PS6_mNS0_19identity_decomposerEEE10hipError_tT1_T2_PT3_SG_jT4_jjP12ihipStream_tbEUlT_E0_NS1_11comp_targetILNS1_3genE10ELNS1_11target_archE1201ELNS1_3gpuE5ELNS1_3repE0EEENS1_52radix_sort_onesweep_histogram_config_static_selectorELNS0_4arch9wavefront6targetE0EEEvSE_,"axG",@progbits,_ZN7rocprim17ROCPRIM_400000_NS6detail17trampoline_kernelINS0_14default_configENS1_35radix_sort_onesweep_config_selectorI6__halfNS0_10empty_typeEEEZNS1_34radix_sort_onesweep_global_offsetsIS3_Lb1EPKS5_PS6_mNS0_19identity_decomposerEEE10hipError_tT1_T2_PT3_SG_jT4_jjP12ihipStream_tbEUlT_E0_NS1_11comp_targetILNS1_3genE10ELNS1_11target_archE1201ELNS1_3gpuE5ELNS1_3repE0EEENS1_52radix_sort_onesweep_histogram_config_static_selectorELNS0_4arch9wavefront6targetE0EEEvSE_,comdat
.Lfunc_end2152:
	.size	_ZN7rocprim17ROCPRIM_400000_NS6detail17trampoline_kernelINS0_14default_configENS1_35radix_sort_onesweep_config_selectorI6__halfNS0_10empty_typeEEEZNS1_34radix_sort_onesweep_global_offsetsIS3_Lb1EPKS5_PS6_mNS0_19identity_decomposerEEE10hipError_tT1_T2_PT3_SG_jT4_jjP12ihipStream_tbEUlT_E0_NS1_11comp_targetILNS1_3genE10ELNS1_11target_archE1201ELNS1_3gpuE5ELNS1_3repE0EEENS1_52radix_sort_onesweep_histogram_config_static_selectorELNS0_4arch9wavefront6targetE0EEEvSE_, .Lfunc_end2152-_ZN7rocprim17ROCPRIM_400000_NS6detail17trampoline_kernelINS0_14default_configENS1_35radix_sort_onesweep_config_selectorI6__halfNS0_10empty_typeEEEZNS1_34radix_sort_onesweep_global_offsetsIS3_Lb1EPKS5_PS6_mNS0_19identity_decomposerEEE10hipError_tT1_T2_PT3_SG_jT4_jjP12ihipStream_tbEUlT_E0_NS1_11comp_targetILNS1_3genE10ELNS1_11target_archE1201ELNS1_3gpuE5ELNS1_3repE0EEENS1_52radix_sort_onesweep_histogram_config_static_selectorELNS0_4arch9wavefront6targetE0EEEvSE_
                                        ; -- End function
	.set _ZN7rocprim17ROCPRIM_400000_NS6detail17trampoline_kernelINS0_14default_configENS1_35radix_sort_onesweep_config_selectorI6__halfNS0_10empty_typeEEEZNS1_34radix_sort_onesweep_global_offsetsIS3_Lb1EPKS5_PS6_mNS0_19identity_decomposerEEE10hipError_tT1_T2_PT3_SG_jT4_jjP12ihipStream_tbEUlT_E0_NS1_11comp_targetILNS1_3genE10ELNS1_11target_archE1201ELNS1_3gpuE5ELNS1_3repE0EEENS1_52radix_sort_onesweep_histogram_config_static_selectorELNS0_4arch9wavefront6targetE0EEEvSE_.num_vgpr, 0
	.set _ZN7rocprim17ROCPRIM_400000_NS6detail17trampoline_kernelINS0_14default_configENS1_35radix_sort_onesweep_config_selectorI6__halfNS0_10empty_typeEEEZNS1_34radix_sort_onesweep_global_offsetsIS3_Lb1EPKS5_PS6_mNS0_19identity_decomposerEEE10hipError_tT1_T2_PT3_SG_jT4_jjP12ihipStream_tbEUlT_E0_NS1_11comp_targetILNS1_3genE10ELNS1_11target_archE1201ELNS1_3gpuE5ELNS1_3repE0EEENS1_52radix_sort_onesweep_histogram_config_static_selectorELNS0_4arch9wavefront6targetE0EEEvSE_.num_agpr, 0
	.set _ZN7rocprim17ROCPRIM_400000_NS6detail17trampoline_kernelINS0_14default_configENS1_35radix_sort_onesweep_config_selectorI6__halfNS0_10empty_typeEEEZNS1_34radix_sort_onesweep_global_offsetsIS3_Lb1EPKS5_PS6_mNS0_19identity_decomposerEEE10hipError_tT1_T2_PT3_SG_jT4_jjP12ihipStream_tbEUlT_E0_NS1_11comp_targetILNS1_3genE10ELNS1_11target_archE1201ELNS1_3gpuE5ELNS1_3repE0EEENS1_52radix_sort_onesweep_histogram_config_static_selectorELNS0_4arch9wavefront6targetE0EEEvSE_.numbered_sgpr, 0
	.set _ZN7rocprim17ROCPRIM_400000_NS6detail17trampoline_kernelINS0_14default_configENS1_35radix_sort_onesweep_config_selectorI6__halfNS0_10empty_typeEEEZNS1_34radix_sort_onesweep_global_offsetsIS3_Lb1EPKS5_PS6_mNS0_19identity_decomposerEEE10hipError_tT1_T2_PT3_SG_jT4_jjP12ihipStream_tbEUlT_E0_NS1_11comp_targetILNS1_3genE10ELNS1_11target_archE1201ELNS1_3gpuE5ELNS1_3repE0EEENS1_52radix_sort_onesweep_histogram_config_static_selectorELNS0_4arch9wavefront6targetE0EEEvSE_.num_named_barrier, 0
	.set _ZN7rocprim17ROCPRIM_400000_NS6detail17trampoline_kernelINS0_14default_configENS1_35radix_sort_onesweep_config_selectorI6__halfNS0_10empty_typeEEEZNS1_34radix_sort_onesweep_global_offsetsIS3_Lb1EPKS5_PS6_mNS0_19identity_decomposerEEE10hipError_tT1_T2_PT3_SG_jT4_jjP12ihipStream_tbEUlT_E0_NS1_11comp_targetILNS1_3genE10ELNS1_11target_archE1201ELNS1_3gpuE5ELNS1_3repE0EEENS1_52radix_sort_onesweep_histogram_config_static_selectorELNS0_4arch9wavefront6targetE0EEEvSE_.private_seg_size, 0
	.set _ZN7rocprim17ROCPRIM_400000_NS6detail17trampoline_kernelINS0_14default_configENS1_35radix_sort_onesweep_config_selectorI6__halfNS0_10empty_typeEEEZNS1_34radix_sort_onesweep_global_offsetsIS3_Lb1EPKS5_PS6_mNS0_19identity_decomposerEEE10hipError_tT1_T2_PT3_SG_jT4_jjP12ihipStream_tbEUlT_E0_NS1_11comp_targetILNS1_3genE10ELNS1_11target_archE1201ELNS1_3gpuE5ELNS1_3repE0EEENS1_52radix_sort_onesweep_histogram_config_static_selectorELNS0_4arch9wavefront6targetE0EEEvSE_.uses_vcc, 0
	.set _ZN7rocprim17ROCPRIM_400000_NS6detail17trampoline_kernelINS0_14default_configENS1_35radix_sort_onesweep_config_selectorI6__halfNS0_10empty_typeEEEZNS1_34radix_sort_onesweep_global_offsetsIS3_Lb1EPKS5_PS6_mNS0_19identity_decomposerEEE10hipError_tT1_T2_PT3_SG_jT4_jjP12ihipStream_tbEUlT_E0_NS1_11comp_targetILNS1_3genE10ELNS1_11target_archE1201ELNS1_3gpuE5ELNS1_3repE0EEENS1_52radix_sort_onesweep_histogram_config_static_selectorELNS0_4arch9wavefront6targetE0EEEvSE_.uses_flat_scratch, 0
	.set _ZN7rocprim17ROCPRIM_400000_NS6detail17trampoline_kernelINS0_14default_configENS1_35radix_sort_onesweep_config_selectorI6__halfNS0_10empty_typeEEEZNS1_34radix_sort_onesweep_global_offsetsIS3_Lb1EPKS5_PS6_mNS0_19identity_decomposerEEE10hipError_tT1_T2_PT3_SG_jT4_jjP12ihipStream_tbEUlT_E0_NS1_11comp_targetILNS1_3genE10ELNS1_11target_archE1201ELNS1_3gpuE5ELNS1_3repE0EEENS1_52radix_sort_onesweep_histogram_config_static_selectorELNS0_4arch9wavefront6targetE0EEEvSE_.has_dyn_sized_stack, 0
	.set _ZN7rocprim17ROCPRIM_400000_NS6detail17trampoline_kernelINS0_14default_configENS1_35radix_sort_onesweep_config_selectorI6__halfNS0_10empty_typeEEEZNS1_34radix_sort_onesweep_global_offsetsIS3_Lb1EPKS5_PS6_mNS0_19identity_decomposerEEE10hipError_tT1_T2_PT3_SG_jT4_jjP12ihipStream_tbEUlT_E0_NS1_11comp_targetILNS1_3genE10ELNS1_11target_archE1201ELNS1_3gpuE5ELNS1_3repE0EEENS1_52radix_sort_onesweep_histogram_config_static_selectorELNS0_4arch9wavefront6targetE0EEEvSE_.has_recursion, 0
	.set _ZN7rocprim17ROCPRIM_400000_NS6detail17trampoline_kernelINS0_14default_configENS1_35radix_sort_onesweep_config_selectorI6__halfNS0_10empty_typeEEEZNS1_34radix_sort_onesweep_global_offsetsIS3_Lb1EPKS5_PS6_mNS0_19identity_decomposerEEE10hipError_tT1_T2_PT3_SG_jT4_jjP12ihipStream_tbEUlT_E0_NS1_11comp_targetILNS1_3genE10ELNS1_11target_archE1201ELNS1_3gpuE5ELNS1_3repE0EEENS1_52radix_sort_onesweep_histogram_config_static_selectorELNS0_4arch9wavefront6targetE0EEEvSE_.has_indirect_call, 0
	.section	.AMDGPU.csdata,"",@progbits
; Kernel info:
; codeLenInByte = 0
; TotalNumSgprs: 0
; NumVgprs: 0
; ScratchSize: 0
; MemoryBound: 0
; FloatMode: 240
; IeeeMode: 1
; LDSByteSize: 0 bytes/workgroup (compile time only)
; SGPRBlocks: 0
; VGPRBlocks: 0
; NumSGPRsForWavesPerEU: 1
; NumVGPRsForWavesPerEU: 1
; NamedBarCnt: 0
; Occupancy: 16
; WaveLimiterHint : 0
; COMPUTE_PGM_RSRC2:SCRATCH_EN: 0
; COMPUTE_PGM_RSRC2:USER_SGPR: 2
; COMPUTE_PGM_RSRC2:TRAP_HANDLER: 0
; COMPUTE_PGM_RSRC2:TGID_X_EN: 1
; COMPUTE_PGM_RSRC2:TGID_Y_EN: 0
; COMPUTE_PGM_RSRC2:TGID_Z_EN: 0
; COMPUTE_PGM_RSRC2:TIDIG_COMP_CNT: 0
	.section	.text._ZN7rocprim17ROCPRIM_400000_NS6detail17trampoline_kernelINS0_14default_configENS1_35radix_sort_onesweep_config_selectorI6__halfNS0_10empty_typeEEEZNS1_34radix_sort_onesweep_global_offsetsIS3_Lb1EPKS5_PS6_mNS0_19identity_decomposerEEE10hipError_tT1_T2_PT3_SG_jT4_jjP12ihipStream_tbEUlT_E0_NS1_11comp_targetILNS1_3genE9ELNS1_11target_archE1100ELNS1_3gpuE3ELNS1_3repE0EEENS1_52radix_sort_onesweep_histogram_config_static_selectorELNS0_4arch9wavefront6targetE0EEEvSE_,"axG",@progbits,_ZN7rocprim17ROCPRIM_400000_NS6detail17trampoline_kernelINS0_14default_configENS1_35radix_sort_onesweep_config_selectorI6__halfNS0_10empty_typeEEEZNS1_34radix_sort_onesweep_global_offsetsIS3_Lb1EPKS5_PS6_mNS0_19identity_decomposerEEE10hipError_tT1_T2_PT3_SG_jT4_jjP12ihipStream_tbEUlT_E0_NS1_11comp_targetILNS1_3genE9ELNS1_11target_archE1100ELNS1_3gpuE3ELNS1_3repE0EEENS1_52radix_sort_onesweep_histogram_config_static_selectorELNS0_4arch9wavefront6targetE0EEEvSE_,comdat
	.protected	_ZN7rocprim17ROCPRIM_400000_NS6detail17trampoline_kernelINS0_14default_configENS1_35radix_sort_onesweep_config_selectorI6__halfNS0_10empty_typeEEEZNS1_34radix_sort_onesweep_global_offsetsIS3_Lb1EPKS5_PS6_mNS0_19identity_decomposerEEE10hipError_tT1_T2_PT3_SG_jT4_jjP12ihipStream_tbEUlT_E0_NS1_11comp_targetILNS1_3genE9ELNS1_11target_archE1100ELNS1_3gpuE3ELNS1_3repE0EEENS1_52radix_sort_onesweep_histogram_config_static_selectorELNS0_4arch9wavefront6targetE0EEEvSE_ ; -- Begin function _ZN7rocprim17ROCPRIM_400000_NS6detail17trampoline_kernelINS0_14default_configENS1_35radix_sort_onesweep_config_selectorI6__halfNS0_10empty_typeEEEZNS1_34radix_sort_onesweep_global_offsetsIS3_Lb1EPKS5_PS6_mNS0_19identity_decomposerEEE10hipError_tT1_T2_PT3_SG_jT4_jjP12ihipStream_tbEUlT_E0_NS1_11comp_targetILNS1_3genE9ELNS1_11target_archE1100ELNS1_3gpuE3ELNS1_3repE0EEENS1_52radix_sort_onesweep_histogram_config_static_selectorELNS0_4arch9wavefront6targetE0EEEvSE_
	.globl	_ZN7rocprim17ROCPRIM_400000_NS6detail17trampoline_kernelINS0_14default_configENS1_35radix_sort_onesweep_config_selectorI6__halfNS0_10empty_typeEEEZNS1_34radix_sort_onesweep_global_offsetsIS3_Lb1EPKS5_PS6_mNS0_19identity_decomposerEEE10hipError_tT1_T2_PT3_SG_jT4_jjP12ihipStream_tbEUlT_E0_NS1_11comp_targetILNS1_3genE9ELNS1_11target_archE1100ELNS1_3gpuE3ELNS1_3repE0EEENS1_52radix_sort_onesweep_histogram_config_static_selectorELNS0_4arch9wavefront6targetE0EEEvSE_
	.p2align	8
	.type	_ZN7rocprim17ROCPRIM_400000_NS6detail17trampoline_kernelINS0_14default_configENS1_35radix_sort_onesweep_config_selectorI6__halfNS0_10empty_typeEEEZNS1_34radix_sort_onesweep_global_offsetsIS3_Lb1EPKS5_PS6_mNS0_19identity_decomposerEEE10hipError_tT1_T2_PT3_SG_jT4_jjP12ihipStream_tbEUlT_E0_NS1_11comp_targetILNS1_3genE9ELNS1_11target_archE1100ELNS1_3gpuE3ELNS1_3repE0EEENS1_52radix_sort_onesweep_histogram_config_static_selectorELNS0_4arch9wavefront6targetE0EEEvSE_,@function
_ZN7rocprim17ROCPRIM_400000_NS6detail17trampoline_kernelINS0_14default_configENS1_35radix_sort_onesweep_config_selectorI6__halfNS0_10empty_typeEEEZNS1_34radix_sort_onesweep_global_offsetsIS3_Lb1EPKS5_PS6_mNS0_19identity_decomposerEEE10hipError_tT1_T2_PT3_SG_jT4_jjP12ihipStream_tbEUlT_E0_NS1_11comp_targetILNS1_3genE9ELNS1_11target_archE1100ELNS1_3gpuE3ELNS1_3repE0EEENS1_52radix_sort_onesweep_histogram_config_static_selectorELNS0_4arch9wavefront6targetE0EEEvSE_: ; @_ZN7rocprim17ROCPRIM_400000_NS6detail17trampoline_kernelINS0_14default_configENS1_35radix_sort_onesweep_config_selectorI6__halfNS0_10empty_typeEEEZNS1_34radix_sort_onesweep_global_offsetsIS3_Lb1EPKS5_PS6_mNS0_19identity_decomposerEEE10hipError_tT1_T2_PT3_SG_jT4_jjP12ihipStream_tbEUlT_E0_NS1_11comp_targetILNS1_3genE9ELNS1_11target_archE1100ELNS1_3gpuE3ELNS1_3repE0EEENS1_52radix_sort_onesweep_histogram_config_static_selectorELNS0_4arch9wavefront6targetE0EEEvSE_
; %bb.0:
	.section	.rodata,"a",@progbits
	.p2align	6, 0x0
	.amdhsa_kernel _ZN7rocprim17ROCPRIM_400000_NS6detail17trampoline_kernelINS0_14default_configENS1_35radix_sort_onesweep_config_selectorI6__halfNS0_10empty_typeEEEZNS1_34radix_sort_onesweep_global_offsetsIS3_Lb1EPKS5_PS6_mNS0_19identity_decomposerEEE10hipError_tT1_T2_PT3_SG_jT4_jjP12ihipStream_tbEUlT_E0_NS1_11comp_targetILNS1_3genE9ELNS1_11target_archE1100ELNS1_3gpuE3ELNS1_3repE0EEENS1_52radix_sort_onesweep_histogram_config_static_selectorELNS0_4arch9wavefront6targetE0EEEvSE_
		.amdhsa_group_segment_fixed_size 0
		.amdhsa_private_segment_fixed_size 0
		.amdhsa_kernarg_size 8
		.amdhsa_user_sgpr_count 2
		.amdhsa_user_sgpr_dispatch_ptr 0
		.amdhsa_user_sgpr_queue_ptr 0
		.amdhsa_user_sgpr_kernarg_segment_ptr 1
		.amdhsa_user_sgpr_dispatch_id 0
		.amdhsa_user_sgpr_kernarg_preload_length 0
		.amdhsa_user_sgpr_kernarg_preload_offset 0
		.amdhsa_user_sgpr_private_segment_size 0
		.amdhsa_wavefront_size32 1
		.amdhsa_uses_dynamic_stack 0
		.amdhsa_enable_private_segment 0
		.amdhsa_system_sgpr_workgroup_id_x 1
		.amdhsa_system_sgpr_workgroup_id_y 0
		.amdhsa_system_sgpr_workgroup_id_z 0
		.amdhsa_system_sgpr_workgroup_info 0
		.amdhsa_system_vgpr_workitem_id 0
		.amdhsa_next_free_vgpr 1
		.amdhsa_next_free_sgpr 1
		.amdhsa_named_barrier_count 0
		.amdhsa_reserve_vcc 0
		.amdhsa_float_round_mode_32 0
		.amdhsa_float_round_mode_16_64 0
		.amdhsa_float_denorm_mode_32 3
		.amdhsa_float_denorm_mode_16_64 3
		.amdhsa_fp16_overflow 0
		.amdhsa_memory_ordered 1
		.amdhsa_forward_progress 1
		.amdhsa_inst_pref_size 0
		.amdhsa_round_robin_scheduling 0
		.amdhsa_exception_fp_ieee_invalid_op 0
		.amdhsa_exception_fp_denorm_src 0
		.amdhsa_exception_fp_ieee_div_zero 0
		.amdhsa_exception_fp_ieee_overflow 0
		.amdhsa_exception_fp_ieee_underflow 0
		.amdhsa_exception_fp_ieee_inexact 0
		.amdhsa_exception_int_div_zero 0
	.end_amdhsa_kernel
	.section	.text._ZN7rocprim17ROCPRIM_400000_NS6detail17trampoline_kernelINS0_14default_configENS1_35radix_sort_onesweep_config_selectorI6__halfNS0_10empty_typeEEEZNS1_34radix_sort_onesweep_global_offsetsIS3_Lb1EPKS5_PS6_mNS0_19identity_decomposerEEE10hipError_tT1_T2_PT3_SG_jT4_jjP12ihipStream_tbEUlT_E0_NS1_11comp_targetILNS1_3genE9ELNS1_11target_archE1100ELNS1_3gpuE3ELNS1_3repE0EEENS1_52radix_sort_onesweep_histogram_config_static_selectorELNS0_4arch9wavefront6targetE0EEEvSE_,"axG",@progbits,_ZN7rocprim17ROCPRIM_400000_NS6detail17trampoline_kernelINS0_14default_configENS1_35radix_sort_onesweep_config_selectorI6__halfNS0_10empty_typeEEEZNS1_34radix_sort_onesweep_global_offsetsIS3_Lb1EPKS5_PS6_mNS0_19identity_decomposerEEE10hipError_tT1_T2_PT3_SG_jT4_jjP12ihipStream_tbEUlT_E0_NS1_11comp_targetILNS1_3genE9ELNS1_11target_archE1100ELNS1_3gpuE3ELNS1_3repE0EEENS1_52radix_sort_onesweep_histogram_config_static_selectorELNS0_4arch9wavefront6targetE0EEEvSE_,comdat
.Lfunc_end2153:
	.size	_ZN7rocprim17ROCPRIM_400000_NS6detail17trampoline_kernelINS0_14default_configENS1_35radix_sort_onesweep_config_selectorI6__halfNS0_10empty_typeEEEZNS1_34radix_sort_onesweep_global_offsetsIS3_Lb1EPKS5_PS6_mNS0_19identity_decomposerEEE10hipError_tT1_T2_PT3_SG_jT4_jjP12ihipStream_tbEUlT_E0_NS1_11comp_targetILNS1_3genE9ELNS1_11target_archE1100ELNS1_3gpuE3ELNS1_3repE0EEENS1_52radix_sort_onesweep_histogram_config_static_selectorELNS0_4arch9wavefront6targetE0EEEvSE_, .Lfunc_end2153-_ZN7rocprim17ROCPRIM_400000_NS6detail17trampoline_kernelINS0_14default_configENS1_35radix_sort_onesweep_config_selectorI6__halfNS0_10empty_typeEEEZNS1_34radix_sort_onesweep_global_offsetsIS3_Lb1EPKS5_PS6_mNS0_19identity_decomposerEEE10hipError_tT1_T2_PT3_SG_jT4_jjP12ihipStream_tbEUlT_E0_NS1_11comp_targetILNS1_3genE9ELNS1_11target_archE1100ELNS1_3gpuE3ELNS1_3repE0EEENS1_52radix_sort_onesweep_histogram_config_static_selectorELNS0_4arch9wavefront6targetE0EEEvSE_
                                        ; -- End function
	.set _ZN7rocprim17ROCPRIM_400000_NS6detail17trampoline_kernelINS0_14default_configENS1_35radix_sort_onesweep_config_selectorI6__halfNS0_10empty_typeEEEZNS1_34radix_sort_onesweep_global_offsetsIS3_Lb1EPKS5_PS6_mNS0_19identity_decomposerEEE10hipError_tT1_T2_PT3_SG_jT4_jjP12ihipStream_tbEUlT_E0_NS1_11comp_targetILNS1_3genE9ELNS1_11target_archE1100ELNS1_3gpuE3ELNS1_3repE0EEENS1_52radix_sort_onesweep_histogram_config_static_selectorELNS0_4arch9wavefront6targetE0EEEvSE_.num_vgpr, 0
	.set _ZN7rocprim17ROCPRIM_400000_NS6detail17trampoline_kernelINS0_14default_configENS1_35radix_sort_onesweep_config_selectorI6__halfNS0_10empty_typeEEEZNS1_34radix_sort_onesweep_global_offsetsIS3_Lb1EPKS5_PS6_mNS0_19identity_decomposerEEE10hipError_tT1_T2_PT3_SG_jT4_jjP12ihipStream_tbEUlT_E0_NS1_11comp_targetILNS1_3genE9ELNS1_11target_archE1100ELNS1_3gpuE3ELNS1_3repE0EEENS1_52radix_sort_onesweep_histogram_config_static_selectorELNS0_4arch9wavefront6targetE0EEEvSE_.num_agpr, 0
	.set _ZN7rocprim17ROCPRIM_400000_NS6detail17trampoline_kernelINS0_14default_configENS1_35radix_sort_onesweep_config_selectorI6__halfNS0_10empty_typeEEEZNS1_34radix_sort_onesweep_global_offsetsIS3_Lb1EPKS5_PS6_mNS0_19identity_decomposerEEE10hipError_tT1_T2_PT3_SG_jT4_jjP12ihipStream_tbEUlT_E0_NS1_11comp_targetILNS1_3genE9ELNS1_11target_archE1100ELNS1_3gpuE3ELNS1_3repE0EEENS1_52radix_sort_onesweep_histogram_config_static_selectorELNS0_4arch9wavefront6targetE0EEEvSE_.numbered_sgpr, 0
	.set _ZN7rocprim17ROCPRIM_400000_NS6detail17trampoline_kernelINS0_14default_configENS1_35radix_sort_onesweep_config_selectorI6__halfNS0_10empty_typeEEEZNS1_34radix_sort_onesweep_global_offsetsIS3_Lb1EPKS5_PS6_mNS0_19identity_decomposerEEE10hipError_tT1_T2_PT3_SG_jT4_jjP12ihipStream_tbEUlT_E0_NS1_11comp_targetILNS1_3genE9ELNS1_11target_archE1100ELNS1_3gpuE3ELNS1_3repE0EEENS1_52radix_sort_onesweep_histogram_config_static_selectorELNS0_4arch9wavefront6targetE0EEEvSE_.num_named_barrier, 0
	.set _ZN7rocprim17ROCPRIM_400000_NS6detail17trampoline_kernelINS0_14default_configENS1_35radix_sort_onesweep_config_selectorI6__halfNS0_10empty_typeEEEZNS1_34radix_sort_onesweep_global_offsetsIS3_Lb1EPKS5_PS6_mNS0_19identity_decomposerEEE10hipError_tT1_T2_PT3_SG_jT4_jjP12ihipStream_tbEUlT_E0_NS1_11comp_targetILNS1_3genE9ELNS1_11target_archE1100ELNS1_3gpuE3ELNS1_3repE0EEENS1_52radix_sort_onesweep_histogram_config_static_selectorELNS0_4arch9wavefront6targetE0EEEvSE_.private_seg_size, 0
	.set _ZN7rocprim17ROCPRIM_400000_NS6detail17trampoline_kernelINS0_14default_configENS1_35radix_sort_onesweep_config_selectorI6__halfNS0_10empty_typeEEEZNS1_34radix_sort_onesweep_global_offsetsIS3_Lb1EPKS5_PS6_mNS0_19identity_decomposerEEE10hipError_tT1_T2_PT3_SG_jT4_jjP12ihipStream_tbEUlT_E0_NS1_11comp_targetILNS1_3genE9ELNS1_11target_archE1100ELNS1_3gpuE3ELNS1_3repE0EEENS1_52radix_sort_onesweep_histogram_config_static_selectorELNS0_4arch9wavefront6targetE0EEEvSE_.uses_vcc, 0
	.set _ZN7rocprim17ROCPRIM_400000_NS6detail17trampoline_kernelINS0_14default_configENS1_35radix_sort_onesweep_config_selectorI6__halfNS0_10empty_typeEEEZNS1_34radix_sort_onesweep_global_offsetsIS3_Lb1EPKS5_PS6_mNS0_19identity_decomposerEEE10hipError_tT1_T2_PT3_SG_jT4_jjP12ihipStream_tbEUlT_E0_NS1_11comp_targetILNS1_3genE9ELNS1_11target_archE1100ELNS1_3gpuE3ELNS1_3repE0EEENS1_52radix_sort_onesweep_histogram_config_static_selectorELNS0_4arch9wavefront6targetE0EEEvSE_.uses_flat_scratch, 0
	.set _ZN7rocprim17ROCPRIM_400000_NS6detail17trampoline_kernelINS0_14default_configENS1_35radix_sort_onesweep_config_selectorI6__halfNS0_10empty_typeEEEZNS1_34radix_sort_onesweep_global_offsetsIS3_Lb1EPKS5_PS6_mNS0_19identity_decomposerEEE10hipError_tT1_T2_PT3_SG_jT4_jjP12ihipStream_tbEUlT_E0_NS1_11comp_targetILNS1_3genE9ELNS1_11target_archE1100ELNS1_3gpuE3ELNS1_3repE0EEENS1_52radix_sort_onesweep_histogram_config_static_selectorELNS0_4arch9wavefront6targetE0EEEvSE_.has_dyn_sized_stack, 0
	.set _ZN7rocprim17ROCPRIM_400000_NS6detail17trampoline_kernelINS0_14default_configENS1_35radix_sort_onesweep_config_selectorI6__halfNS0_10empty_typeEEEZNS1_34radix_sort_onesweep_global_offsetsIS3_Lb1EPKS5_PS6_mNS0_19identity_decomposerEEE10hipError_tT1_T2_PT3_SG_jT4_jjP12ihipStream_tbEUlT_E0_NS1_11comp_targetILNS1_3genE9ELNS1_11target_archE1100ELNS1_3gpuE3ELNS1_3repE0EEENS1_52radix_sort_onesweep_histogram_config_static_selectorELNS0_4arch9wavefront6targetE0EEEvSE_.has_recursion, 0
	.set _ZN7rocprim17ROCPRIM_400000_NS6detail17trampoline_kernelINS0_14default_configENS1_35radix_sort_onesweep_config_selectorI6__halfNS0_10empty_typeEEEZNS1_34radix_sort_onesweep_global_offsetsIS3_Lb1EPKS5_PS6_mNS0_19identity_decomposerEEE10hipError_tT1_T2_PT3_SG_jT4_jjP12ihipStream_tbEUlT_E0_NS1_11comp_targetILNS1_3genE9ELNS1_11target_archE1100ELNS1_3gpuE3ELNS1_3repE0EEENS1_52radix_sort_onesweep_histogram_config_static_selectorELNS0_4arch9wavefront6targetE0EEEvSE_.has_indirect_call, 0
	.section	.AMDGPU.csdata,"",@progbits
; Kernel info:
; codeLenInByte = 0
; TotalNumSgprs: 0
; NumVgprs: 0
; ScratchSize: 0
; MemoryBound: 0
; FloatMode: 240
; IeeeMode: 1
; LDSByteSize: 0 bytes/workgroup (compile time only)
; SGPRBlocks: 0
; VGPRBlocks: 0
; NumSGPRsForWavesPerEU: 1
; NumVGPRsForWavesPerEU: 1
; NamedBarCnt: 0
; Occupancy: 16
; WaveLimiterHint : 0
; COMPUTE_PGM_RSRC2:SCRATCH_EN: 0
; COMPUTE_PGM_RSRC2:USER_SGPR: 2
; COMPUTE_PGM_RSRC2:TRAP_HANDLER: 0
; COMPUTE_PGM_RSRC2:TGID_X_EN: 1
; COMPUTE_PGM_RSRC2:TGID_Y_EN: 0
; COMPUTE_PGM_RSRC2:TGID_Z_EN: 0
; COMPUTE_PGM_RSRC2:TIDIG_COMP_CNT: 0
	.section	.text._ZN7rocprim17ROCPRIM_400000_NS6detail17trampoline_kernelINS0_14default_configENS1_35radix_sort_onesweep_config_selectorI6__halfNS0_10empty_typeEEEZNS1_34radix_sort_onesweep_global_offsetsIS3_Lb1EPKS5_PS6_mNS0_19identity_decomposerEEE10hipError_tT1_T2_PT3_SG_jT4_jjP12ihipStream_tbEUlT_E0_NS1_11comp_targetILNS1_3genE8ELNS1_11target_archE1030ELNS1_3gpuE2ELNS1_3repE0EEENS1_52radix_sort_onesweep_histogram_config_static_selectorELNS0_4arch9wavefront6targetE0EEEvSE_,"axG",@progbits,_ZN7rocprim17ROCPRIM_400000_NS6detail17trampoline_kernelINS0_14default_configENS1_35radix_sort_onesweep_config_selectorI6__halfNS0_10empty_typeEEEZNS1_34radix_sort_onesweep_global_offsetsIS3_Lb1EPKS5_PS6_mNS0_19identity_decomposerEEE10hipError_tT1_T2_PT3_SG_jT4_jjP12ihipStream_tbEUlT_E0_NS1_11comp_targetILNS1_3genE8ELNS1_11target_archE1030ELNS1_3gpuE2ELNS1_3repE0EEENS1_52radix_sort_onesweep_histogram_config_static_selectorELNS0_4arch9wavefront6targetE0EEEvSE_,comdat
	.protected	_ZN7rocprim17ROCPRIM_400000_NS6detail17trampoline_kernelINS0_14default_configENS1_35radix_sort_onesweep_config_selectorI6__halfNS0_10empty_typeEEEZNS1_34radix_sort_onesweep_global_offsetsIS3_Lb1EPKS5_PS6_mNS0_19identity_decomposerEEE10hipError_tT1_T2_PT3_SG_jT4_jjP12ihipStream_tbEUlT_E0_NS1_11comp_targetILNS1_3genE8ELNS1_11target_archE1030ELNS1_3gpuE2ELNS1_3repE0EEENS1_52radix_sort_onesweep_histogram_config_static_selectorELNS0_4arch9wavefront6targetE0EEEvSE_ ; -- Begin function _ZN7rocprim17ROCPRIM_400000_NS6detail17trampoline_kernelINS0_14default_configENS1_35radix_sort_onesweep_config_selectorI6__halfNS0_10empty_typeEEEZNS1_34radix_sort_onesweep_global_offsetsIS3_Lb1EPKS5_PS6_mNS0_19identity_decomposerEEE10hipError_tT1_T2_PT3_SG_jT4_jjP12ihipStream_tbEUlT_E0_NS1_11comp_targetILNS1_3genE8ELNS1_11target_archE1030ELNS1_3gpuE2ELNS1_3repE0EEENS1_52radix_sort_onesweep_histogram_config_static_selectorELNS0_4arch9wavefront6targetE0EEEvSE_
	.globl	_ZN7rocprim17ROCPRIM_400000_NS6detail17trampoline_kernelINS0_14default_configENS1_35radix_sort_onesweep_config_selectorI6__halfNS0_10empty_typeEEEZNS1_34radix_sort_onesweep_global_offsetsIS3_Lb1EPKS5_PS6_mNS0_19identity_decomposerEEE10hipError_tT1_T2_PT3_SG_jT4_jjP12ihipStream_tbEUlT_E0_NS1_11comp_targetILNS1_3genE8ELNS1_11target_archE1030ELNS1_3gpuE2ELNS1_3repE0EEENS1_52radix_sort_onesweep_histogram_config_static_selectorELNS0_4arch9wavefront6targetE0EEEvSE_
	.p2align	8
	.type	_ZN7rocprim17ROCPRIM_400000_NS6detail17trampoline_kernelINS0_14default_configENS1_35radix_sort_onesweep_config_selectorI6__halfNS0_10empty_typeEEEZNS1_34radix_sort_onesweep_global_offsetsIS3_Lb1EPKS5_PS6_mNS0_19identity_decomposerEEE10hipError_tT1_T2_PT3_SG_jT4_jjP12ihipStream_tbEUlT_E0_NS1_11comp_targetILNS1_3genE8ELNS1_11target_archE1030ELNS1_3gpuE2ELNS1_3repE0EEENS1_52radix_sort_onesweep_histogram_config_static_selectorELNS0_4arch9wavefront6targetE0EEEvSE_,@function
_ZN7rocprim17ROCPRIM_400000_NS6detail17trampoline_kernelINS0_14default_configENS1_35radix_sort_onesweep_config_selectorI6__halfNS0_10empty_typeEEEZNS1_34radix_sort_onesweep_global_offsetsIS3_Lb1EPKS5_PS6_mNS0_19identity_decomposerEEE10hipError_tT1_T2_PT3_SG_jT4_jjP12ihipStream_tbEUlT_E0_NS1_11comp_targetILNS1_3genE8ELNS1_11target_archE1030ELNS1_3gpuE2ELNS1_3repE0EEENS1_52radix_sort_onesweep_histogram_config_static_selectorELNS0_4arch9wavefront6targetE0EEEvSE_: ; @_ZN7rocprim17ROCPRIM_400000_NS6detail17trampoline_kernelINS0_14default_configENS1_35radix_sort_onesweep_config_selectorI6__halfNS0_10empty_typeEEEZNS1_34radix_sort_onesweep_global_offsetsIS3_Lb1EPKS5_PS6_mNS0_19identity_decomposerEEE10hipError_tT1_T2_PT3_SG_jT4_jjP12ihipStream_tbEUlT_E0_NS1_11comp_targetILNS1_3genE8ELNS1_11target_archE1030ELNS1_3gpuE2ELNS1_3repE0EEENS1_52radix_sort_onesweep_histogram_config_static_selectorELNS0_4arch9wavefront6targetE0EEEvSE_
; %bb.0:
	.section	.rodata,"a",@progbits
	.p2align	6, 0x0
	.amdhsa_kernel _ZN7rocprim17ROCPRIM_400000_NS6detail17trampoline_kernelINS0_14default_configENS1_35radix_sort_onesweep_config_selectorI6__halfNS0_10empty_typeEEEZNS1_34radix_sort_onesweep_global_offsetsIS3_Lb1EPKS5_PS6_mNS0_19identity_decomposerEEE10hipError_tT1_T2_PT3_SG_jT4_jjP12ihipStream_tbEUlT_E0_NS1_11comp_targetILNS1_3genE8ELNS1_11target_archE1030ELNS1_3gpuE2ELNS1_3repE0EEENS1_52radix_sort_onesweep_histogram_config_static_selectorELNS0_4arch9wavefront6targetE0EEEvSE_
		.amdhsa_group_segment_fixed_size 0
		.amdhsa_private_segment_fixed_size 0
		.amdhsa_kernarg_size 8
		.amdhsa_user_sgpr_count 2
		.amdhsa_user_sgpr_dispatch_ptr 0
		.amdhsa_user_sgpr_queue_ptr 0
		.amdhsa_user_sgpr_kernarg_segment_ptr 1
		.amdhsa_user_sgpr_dispatch_id 0
		.amdhsa_user_sgpr_kernarg_preload_length 0
		.amdhsa_user_sgpr_kernarg_preload_offset 0
		.amdhsa_user_sgpr_private_segment_size 0
		.amdhsa_wavefront_size32 1
		.amdhsa_uses_dynamic_stack 0
		.amdhsa_enable_private_segment 0
		.amdhsa_system_sgpr_workgroup_id_x 1
		.amdhsa_system_sgpr_workgroup_id_y 0
		.amdhsa_system_sgpr_workgroup_id_z 0
		.amdhsa_system_sgpr_workgroup_info 0
		.amdhsa_system_vgpr_workitem_id 0
		.amdhsa_next_free_vgpr 1
		.amdhsa_next_free_sgpr 1
		.amdhsa_named_barrier_count 0
		.amdhsa_reserve_vcc 0
		.amdhsa_float_round_mode_32 0
		.amdhsa_float_round_mode_16_64 0
		.amdhsa_float_denorm_mode_32 3
		.amdhsa_float_denorm_mode_16_64 3
		.amdhsa_fp16_overflow 0
		.amdhsa_memory_ordered 1
		.amdhsa_forward_progress 1
		.amdhsa_inst_pref_size 0
		.amdhsa_round_robin_scheduling 0
		.amdhsa_exception_fp_ieee_invalid_op 0
		.amdhsa_exception_fp_denorm_src 0
		.amdhsa_exception_fp_ieee_div_zero 0
		.amdhsa_exception_fp_ieee_overflow 0
		.amdhsa_exception_fp_ieee_underflow 0
		.amdhsa_exception_fp_ieee_inexact 0
		.amdhsa_exception_int_div_zero 0
	.end_amdhsa_kernel
	.section	.text._ZN7rocprim17ROCPRIM_400000_NS6detail17trampoline_kernelINS0_14default_configENS1_35radix_sort_onesweep_config_selectorI6__halfNS0_10empty_typeEEEZNS1_34radix_sort_onesweep_global_offsetsIS3_Lb1EPKS5_PS6_mNS0_19identity_decomposerEEE10hipError_tT1_T2_PT3_SG_jT4_jjP12ihipStream_tbEUlT_E0_NS1_11comp_targetILNS1_3genE8ELNS1_11target_archE1030ELNS1_3gpuE2ELNS1_3repE0EEENS1_52radix_sort_onesweep_histogram_config_static_selectorELNS0_4arch9wavefront6targetE0EEEvSE_,"axG",@progbits,_ZN7rocprim17ROCPRIM_400000_NS6detail17trampoline_kernelINS0_14default_configENS1_35radix_sort_onesweep_config_selectorI6__halfNS0_10empty_typeEEEZNS1_34radix_sort_onesweep_global_offsetsIS3_Lb1EPKS5_PS6_mNS0_19identity_decomposerEEE10hipError_tT1_T2_PT3_SG_jT4_jjP12ihipStream_tbEUlT_E0_NS1_11comp_targetILNS1_3genE8ELNS1_11target_archE1030ELNS1_3gpuE2ELNS1_3repE0EEENS1_52radix_sort_onesweep_histogram_config_static_selectorELNS0_4arch9wavefront6targetE0EEEvSE_,comdat
.Lfunc_end2154:
	.size	_ZN7rocprim17ROCPRIM_400000_NS6detail17trampoline_kernelINS0_14default_configENS1_35radix_sort_onesweep_config_selectorI6__halfNS0_10empty_typeEEEZNS1_34radix_sort_onesweep_global_offsetsIS3_Lb1EPKS5_PS6_mNS0_19identity_decomposerEEE10hipError_tT1_T2_PT3_SG_jT4_jjP12ihipStream_tbEUlT_E0_NS1_11comp_targetILNS1_3genE8ELNS1_11target_archE1030ELNS1_3gpuE2ELNS1_3repE0EEENS1_52radix_sort_onesweep_histogram_config_static_selectorELNS0_4arch9wavefront6targetE0EEEvSE_, .Lfunc_end2154-_ZN7rocprim17ROCPRIM_400000_NS6detail17trampoline_kernelINS0_14default_configENS1_35radix_sort_onesweep_config_selectorI6__halfNS0_10empty_typeEEEZNS1_34radix_sort_onesweep_global_offsetsIS3_Lb1EPKS5_PS6_mNS0_19identity_decomposerEEE10hipError_tT1_T2_PT3_SG_jT4_jjP12ihipStream_tbEUlT_E0_NS1_11comp_targetILNS1_3genE8ELNS1_11target_archE1030ELNS1_3gpuE2ELNS1_3repE0EEENS1_52radix_sort_onesweep_histogram_config_static_selectorELNS0_4arch9wavefront6targetE0EEEvSE_
                                        ; -- End function
	.set _ZN7rocprim17ROCPRIM_400000_NS6detail17trampoline_kernelINS0_14default_configENS1_35radix_sort_onesweep_config_selectorI6__halfNS0_10empty_typeEEEZNS1_34radix_sort_onesweep_global_offsetsIS3_Lb1EPKS5_PS6_mNS0_19identity_decomposerEEE10hipError_tT1_T2_PT3_SG_jT4_jjP12ihipStream_tbEUlT_E0_NS1_11comp_targetILNS1_3genE8ELNS1_11target_archE1030ELNS1_3gpuE2ELNS1_3repE0EEENS1_52radix_sort_onesweep_histogram_config_static_selectorELNS0_4arch9wavefront6targetE0EEEvSE_.num_vgpr, 0
	.set _ZN7rocprim17ROCPRIM_400000_NS6detail17trampoline_kernelINS0_14default_configENS1_35radix_sort_onesweep_config_selectorI6__halfNS0_10empty_typeEEEZNS1_34radix_sort_onesweep_global_offsetsIS3_Lb1EPKS5_PS6_mNS0_19identity_decomposerEEE10hipError_tT1_T2_PT3_SG_jT4_jjP12ihipStream_tbEUlT_E0_NS1_11comp_targetILNS1_3genE8ELNS1_11target_archE1030ELNS1_3gpuE2ELNS1_3repE0EEENS1_52radix_sort_onesweep_histogram_config_static_selectorELNS0_4arch9wavefront6targetE0EEEvSE_.num_agpr, 0
	.set _ZN7rocprim17ROCPRIM_400000_NS6detail17trampoline_kernelINS0_14default_configENS1_35radix_sort_onesweep_config_selectorI6__halfNS0_10empty_typeEEEZNS1_34radix_sort_onesweep_global_offsetsIS3_Lb1EPKS5_PS6_mNS0_19identity_decomposerEEE10hipError_tT1_T2_PT3_SG_jT4_jjP12ihipStream_tbEUlT_E0_NS1_11comp_targetILNS1_3genE8ELNS1_11target_archE1030ELNS1_3gpuE2ELNS1_3repE0EEENS1_52radix_sort_onesweep_histogram_config_static_selectorELNS0_4arch9wavefront6targetE0EEEvSE_.numbered_sgpr, 0
	.set _ZN7rocprim17ROCPRIM_400000_NS6detail17trampoline_kernelINS0_14default_configENS1_35radix_sort_onesweep_config_selectorI6__halfNS0_10empty_typeEEEZNS1_34radix_sort_onesweep_global_offsetsIS3_Lb1EPKS5_PS6_mNS0_19identity_decomposerEEE10hipError_tT1_T2_PT3_SG_jT4_jjP12ihipStream_tbEUlT_E0_NS1_11comp_targetILNS1_3genE8ELNS1_11target_archE1030ELNS1_3gpuE2ELNS1_3repE0EEENS1_52radix_sort_onesweep_histogram_config_static_selectorELNS0_4arch9wavefront6targetE0EEEvSE_.num_named_barrier, 0
	.set _ZN7rocprim17ROCPRIM_400000_NS6detail17trampoline_kernelINS0_14default_configENS1_35radix_sort_onesweep_config_selectorI6__halfNS0_10empty_typeEEEZNS1_34radix_sort_onesweep_global_offsetsIS3_Lb1EPKS5_PS6_mNS0_19identity_decomposerEEE10hipError_tT1_T2_PT3_SG_jT4_jjP12ihipStream_tbEUlT_E0_NS1_11comp_targetILNS1_3genE8ELNS1_11target_archE1030ELNS1_3gpuE2ELNS1_3repE0EEENS1_52radix_sort_onesweep_histogram_config_static_selectorELNS0_4arch9wavefront6targetE0EEEvSE_.private_seg_size, 0
	.set _ZN7rocprim17ROCPRIM_400000_NS6detail17trampoline_kernelINS0_14default_configENS1_35radix_sort_onesweep_config_selectorI6__halfNS0_10empty_typeEEEZNS1_34radix_sort_onesweep_global_offsetsIS3_Lb1EPKS5_PS6_mNS0_19identity_decomposerEEE10hipError_tT1_T2_PT3_SG_jT4_jjP12ihipStream_tbEUlT_E0_NS1_11comp_targetILNS1_3genE8ELNS1_11target_archE1030ELNS1_3gpuE2ELNS1_3repE0EEENS1_52radix_sort_onesweep_histogram_config_static_selectorELNS0_4arch9wavefront6targetE0EEEvSE_.uses_vcc, 0
	.set _ZN7rocprim17ROCPRIM_400000_NS6detail17trampoline_kernelINS0_14default_configENS1_35radix_sort_onesweep_config_selectorI6__halfNS0_10empty_typeEEEZNS1_34radix_sort_onesweep_global_offsetsIS3_Lb1EPKS5_PS6_mNS0_19identity_decomposerEEE10hipError_tT1_T2_PT3_SG_jT4_jjP12ihipStream_tbEUlT_E0_NS1_11comp_targetILNS1_3genE8ELNS1_11target_archE1030ELNS1_3gpuE2ELNS1_3repE0EEENS1_52radix_sort_onesweep_histogram_config_static_selectorELNS0_4arch9wavefront6targetE0EEEvSE_.uses_flat_scratch, 0
	.set _ZN7rocprim17ROCPRIM_400000_NS6detail17trampoline_kernelINS0_14default_configENS1_35radix_sort_onesweep_config_selectorI6__halfNS0_10empty_typeEEEZNS1_34radix_sort_onesweep_global_offsetsIS3_Lb1EPKS5_PS6_mNS0_19identity_decomposerEEE10hipError_tT1_T2_PT3_SG_jT4_jjP12ihipStream_tbEUlT_E0_NS1_11comp_targetILNS1_3genE8ELNS1_11target_archE1030ELNS1_3gpuE2ELNS1_3repE0EEENS1_52radix_sort_onesweep_histogram_config_static_selectorELNS0_4arch9wavefront6targetE0EEEvSE_.has_dyn_sized_stack, 0
	.set _ZN7rocprim17ROCPRIM_400000_NS6detail17trampoline_kernelINS0_14default_configENS1_35radix_sort_onesweep_config_selectorI6__halfNS0_10empty_typeEEEZNS1_34radix_sort_onesweep_global_offsetsIS3_Lb1EPKS5_PS6_mNS0_19identity_decomposerEEE10hipError_tT1_T2_PT3_SG_jT4_jjP12ihipStream_tbEUlT_E0_NS1_11comp_targetILNS1_3genE8ELNS1_11target_archE1030ELNS1_3gpuE2ELNS1_3repE0EEENS1_52radix_sort_onesweep_histogram_config_static_selectorELNS0_4arch9wavefront6targetE0EEEvSE_.has_recursion, 0
	.set _ZN7rocprim17ROCPRIM_400000_NS6detail17trampoline_kernelINS0_14default_configENS1_35radix_sort_onesweep_config_selectorI6__halfNS0_10empty_typeEEEZNS1_34radix_sort_onesweep_global_offsetsIS3_Lb1EPKS5_PS6_mNS0_19identity_decomposerEEE10hipError_tT1_T2_PT3_SG_jT4_jjP12ihipStream_tbEUlT_E0_NS1_11comp_targetILNS1_3genE8ELNS1_11target_archE1030ELNS1_3gpuE2ELNS1_3repE0EEENS1_52radix_sort_onesweep_histogram_config_static_selectorELNS0_4arch9wavefront6targetE0EEEvSE_.has_indirect_call, 0
	.section	.AMDGPU.csdata,"",@progbits
; Kernel info:
; codeLenInByte = 0
; TotalNumSgprs: 0
; NumVgprs: 0
; ScratchSize: 0
; MemoryBound: 0
; FloatMode: 240
; IeeeMode: 1
; LDSByteSize: 0 bytes/workgroup (compile time only)
; SGPRBlocks: 0
; VGPRBlocks: 0
; NumSGPRsForWavesPerEU: 1
; NumVGPRsForWavesPerEU: 1
; NamedBarCnt: 0
; Occupancy: 16
; WaveLimiterHint : 0
; COMPUTE_PGM_RSRC2:SCRATCH_EN: 0
; COMPUTE_PGM_RSRC2:USER_SGPR: 2
; COMPUTE_PGM_RSRC2:TRAP_HANDLER: 0
; COMPUTE_PGM_RSRC2:TGID_X_EN: 1
; COMPUTE_PGM_RSRC2:TGID_Y_EN: 0
; COMPUTE_PGM_RSRC2:TGID_Z_EN: 0
; COMPUTE_PGM_RSRC2:TIDIG_COMP_CNT: 0
	.section	.text._ZN7rocprim17ROCPRIM_400000_NS6detail17trampoline_kernelINS0_14default_configENS1_25transform_config_selectorI6__halfLb1EEEZNS1_14transform_implILb1ES3_S6_PKS5_PS5_NS0_8identityIS5_EEEE10hipError_tT2_T3_mT4_P12ihipStream_tbEUlT_E_NS1_11comp_targetILNS1_3genE0ELNS1_11target_archE4294967295ELNS1_3gpuE0ELNS1_3repE0EEENS1_30default_config_static_selectorELNS0_4arch9wavefront6targetE0EEEvT1_,"axG",@progbits,_ZN7rocprim17ROCPRIM_400000_NS6detail17trampoline_kernelINS0_14default_configENS1_25transform_config_selectorI6__halfLb1EEEZNS1_14transform_implILb1ES3_S6_PKS5_PS5_NS0_8identityIS5_EEEE10hipError_tT2_T3_mT4_P12ihipStream_tbEUlT_E_NS1_11comp_targetILNS1_3genE0ELNS1_11target_archE4294967295ELNS1_3gpuE0ELNS1_3repE0EEENS1_30default_config_static_selectorELNS0_4arch9wavefront6targetE0EEEvT1_,comdat
	.protected	_ZN7rocprim17ROCPRIM_400000_NS6detail17trampoline_kernelINS0_14default_configENS1_25transform_config_selectorI6__halfLb1EEEZNS1_14transform_implILb1ES3_S6_PKS5_PS5_NS0_8identityIS5_EEEE10hipError_tT2_T3_mT4_P12ihipStream_tbEUlT_E_NS1_11comp_targetILNS1_3genE0ELNS1_11target_archE4294967295ELNS1_3gpuE0ELNS1_3repE0EEENS1_30default_config_static_selectorELNS0_4arch9wavefront6targetE0EEEvT1_ ; -- Begin function _ZN7rocprim17ROCPRIM_400000_NS6detail17trampoline_kernelINS0_14default_configENS1_25transform_config_selectorI6__halfLb1EEEZNS1_14transform_implILb1ES3_S6_PKS5_PS5_NS0_8identityIS5_EEEE10hipError_tT2_T3_mT4_P12ihipStream_tbEUlT_E_NS1_11comp_targetILNS1_3genE0ELNS1_11target_archE4294967295ELNS1_3gpuE0ELNS1_3repE0EEENS1_30default_config_static_selectorELNS0_4arch9wavefront6targetE0EEEvT1_
	.globl	_ZN7rocprim17ROCPRIM_400000_NS6detail17trampoline_kernelINS0_14default_configENS1_25transform_config_selectorI6__halfLb1EEEZNS1_14transform_implILb1ES3_S6_PKS5_PS5_NS0_8identityIS5_EEEE10hipError_tT2_T3_mT4_P12ihipStream_tbEUlT_E_NS1_11comp_targetILNS1_3genE0ELNS1_11target_archE4294967295ELNS1_3gpuE0ELNS1_3repE0EEENS1_30default_config_static_selectorELNS0_4arch9wavefront6targetE0EEEvT1_
	.p2align	8
	.type	_ZN7rocprim17ROCPRIM_400000_NS6detail17trampoline_kernelINS0_14default_configENS1_25transform_config_selectorI6__halfLb1EEEZNS1_14transform_implILb1ES3_S6_PKS5_PS5_NS0_8identityIS5_EEEE10hipError_tT2_T3_mT4_P12ihipStream_tbEUlT_E_NS1_11comp_targetILNS1_3genE0ELNS1_11target_archE4294967295ELNS1_3gpuE0ELNS1_3repE0EEENS1_30default_config_static_selectorELNS0_4arch9wavefront6targetE0EEEvT1_,@function
_ZN7rocprim17ROCPRIM_400000_NS6detail17trampoline_kernelINS0_14default_configENS1_25transform_config_selectorI6__halfLb1EEEZNS1_14transform_implILb1ES3_S6_PKS5_PS5_NS0_8identityIS5_EEEE10hipError_tT2_T3_mT4_P12ihipStream_tbEUlT_E_NS1_11comp_targetILNS1_3genE0ELNS1_11target_archE4294967295ELNS1_3gpuE0ELNS1_3repE0EEENS1_30default_config_static_selectorELNS0_4arch9wavefront6targetE0EEEvT1_: ; @_ZN7rocprim17ROCPRIM_400000_NS6detail17trampoline_kernelINS0_14default_configENS1_25transform_config_selectorI6__halfLb1EEEZNS1_14transform_implILb1ES3_S6_PKS5_PS5_NS0_8identityIS5_EEEE10hipError_tT2_T3_mT4_P12ihipStream_tbEUlT_E_NS1_11comp_targetILNS1_3genE0ELNS1_11target_archE4294967295ELNS1_3gpuE0ELNS1_3repE0EEENS1_30default_config_static_selectorELNS0_4arch9wavefront6targetE0EEEvT1_
; %bb.0:
	s_load_b256 s[4:11], s[0:1], 0x0
	s_wait_kmcnt 0x0
	s_load_b32 s9, s[0:1], 0x28
                                        ; kill: killed $sgpr0_sgpr1
	s_wait_xcnt 0x0
	s_bfe_u32 s0, ttmp6, 0x4000c
	s_and_b32 s2, ttmp6, 15
	s_add_co_i32 s0, s0, 1
	s_getreg_b32 s12, hwreg(HW_REG_IB_STS2, 6, 4)
	s_mul_i32 s0, ttmp9, s0
	s_mov_b32 s1, 0
	s_add_co_i32 s0, s2, s0
	s_lshl_b64 s[2:3], s[6:7], 1
	s_cmp_eq_u32 s12, 0
	s_add_nc_u64 s[12:13], s[4:5], s[2:3]
	s_cselect_b32 s14, ttmp9, s0
	s_wait_kmcnt 0x0
	s_add_co_i32 s9, s9, -1
	s_lshl_b32 s0, s14, 9
	s_add_nc_u64 s[4:5], s[10:11], s[2:3]
	s_lshl_b64 s[6:7], s[0:1], 1
	s_mov_b32 s2, -1
	s_cmp_lg_u32 s14, s9
	s_add_nc_u64 s[10:11], s[12:13], s[6:7]
	s_cbranch_scc0 .LBB2155_2
; %bb.1:
	global_load_b64 v[2:3], v0, s[10:11] scale_offset th:TH_LOAD_NT
	s_add_nc_u64 s[12:13], s[4:5], s[6:7]
	s_mov_b32 s2, 0
	s_wait_loadcnt 0x0
	global_store_b64 v0, v[2:3], s[12:13] scale_offset
.LBB2155_2:
	s_and_not1_b32 vcc_lo, exec_lo, s2
	s_cbranch_vccnz .LBB2155_16
; %bb.3:
	s_sub_co_i32 s3, s8, s0
                                        ; implicit-def: $vgpr2
	s_delay_alu instid0(SALU_CYCLE_1)
	v_cmp_gt_u32_e32 vcc_lo, s3, v0
	s_wait_xcnt 0x0
	s_and_saveexec_b32 s0, vcc_lo
	s_cbranch_execz .LBB2155_5
; %bb.4:
	global_load_u16 v2, v0, s[10:11] scale_offset
.LBB2155_5:
	s_wait_xcnt 0x0
	s_or_b32 exec_lo, exec_lo, s0
	v_or_b32_e32 v1, 0x80, v0
                                        ; implicit-def: $vgpr3
	s_delay_alu instid0(VALU_DEP_1)
	v_cmp_gt_u32_e64 s0, s3, v1
	s_and_saveexec_b32 s1, s0
	s_cbranch_execz .LBB2155_7
; %bb.6:
	global_load_u16 v3, v0, s[10:11] offset:256 scale_offset
.LBB2155_7:
	s_wait_xcnt 0x0
	s_or_b32 exec_lo, exec_lo, s1
	v_or_b32_e32 v1, 0x100, v0
                                        ; implicit-def: $vgpr4
	s_delay_alu instid0(VALU_DEP_1)
	v_cmp_gt_u32_e64 s1, s3, v1
	s_and_saveexec_b32 s2, s1
	s_cbranch_execz .LBB2155_9
; %bb.8:
	global_load_u16 v4, v0, s[10:11] offset:512 scale_offset
.LBB2155_9:
	s_wait_xcnt 0x0
	s_or_b32 exec_lo, exec_lo, s2
	v_or_b32_e32 v1, 0x180, v0
	s_delay_alu instid0(VALU_DEP_1) | instskip(SKIP_2) | instid1(SALU_CYCLE_1)
	v_cmp_gt_u32_e64 s2, s3, v1
	v_cmp_le_u32_e64 s3, s3, v1
	s_and_saveexec_b32 s8, s3
	s_xor_b32 s3, exec_lo, s8
	s_delay_alu instid0(SALU_CYCLE_1) | instskip(NEXT) | instid1(SALU_CYCLE_1)
	s_or_saveexec_b32 s3, s3
                                        ; implicit-def: $vgpr5
	s_xor_b32 exec_lo, exec_lo, s3
	s_cbranch_execz .LBB2155_11
; %bb.10:
	global_load_u16 v5, v0, s[10:11] offset:768 scale_offset
.LBB2155_11:
	s_wait_xcnt 0x0
	s_or_b32 exec_lo, exec_lo, s3
	v_dual_mov_b32 v1, 0 :: v_dual_lshlrev_b32 v0, 1, v0
	s_add_nc_u64 s[4:5], s[4:5], s[6:7]
	s_delay_alu instid0(VALU_DEP_1) | instid1(SALU_CYCLE_1)
	v_add_nc_u64_e32 v[0:1], s[4:5], v[0:1]
	s_and_saveexec_b32 s3, vcc_lo
	s_cbranch_execnz .LBB2155_17
; %bb.12:
	s_or_b32 exec_lo, exec_lo, s3
	s_and_saveexec_b32 s3, s0
	s_cbranch_execnz .LBB2155_18
.LBB2155_13:
	s_or_b32 exec_lo, exec_lo, s3
	s_and_saveexec_b32 s0, s1
	s_cbranch_execnz .LBB2155_19
.LBB2155_14:
	s_or_b32 exec_lo, exec_lo, s0
	s_and_saveexec_b32 s0, s2
	s_cbranch_execz .LBB2155_16
.LBB2155_15:
	s_wait_loadcnt 0x0
	global_store_b16 v[0:1], v5, off offset:768
.LBB2155_16:
	s_endpgm
.LBB2155_17:
	s_wait_loadcnt 0x0
	global_store_b16 v[0:1], v2, off
	s_wait_xcnt 0x0
	s_or_b32 exec_lo, exec_lo, s3
	s_and_saveexec_b32 s3, s0
	s_cbranch_execz .LBB2155_13
.LBB2155_18:
	s_wait_loadcnt 0x0
	global_store_b16 v[0:1], v3, off offset:256
	s_wait_xcnt 0x0
	s_or_b32 exec_lo, exec_lo, s3
	s_and_saveexec_b32 s0, s1
	s_cbranch_execz .LBB2155_14
.LBB2155_19:
	s_wait_loadcnt 0x0
	global_store_b16 v[0:1], v4, off offset:512
	s_wait_xcnt 0x0
	s_or_b32 exec_lo, exec_lo, s0
	s_and_saveexec_b32 s0, s2
	s_cbranch_execnz .LBB2155_15
	s_branch .LBB2155_16
	.section	.rodata,"a",@progbits
	.p2align	6, 0x0
	.amdhsa_kernel _ZN7rocprim17ROCPRIM_400000_NS6detail17trampoline_kernelINS0_14default_configENS1_25transform_config_selectorI6__halfLb1EEEZNS1_14transform_implILb1ES3_S6_PKS5_PS5_NS0_8identityIS5_EEEE10hipError_tT2_T3_mT4_P12ihipStream_tbEUlT_E_NS1_11comp_targetILNS1_3genE0ELNS1_11target_archE4294967295ELNS1_3gpuE0ELNS1_3repE0EEENS1_30default_config_static_selectorELNS0_4arch9wavefront6targetE0EEEvT1_
		.amdhsa_group_segment_fixed_size 0
		.amdhsa_private_segment_fixed_size 0
		.amdhsa_kernarg_size 296
		.amdhsa_user_sgpr_count 2
		.amdhsa_user_sgpr_dispatch_ptr 0
		.amdhsa_user_sgpr_queue_ptr 0
		.amdhsa_user_sgpr_kernarg_segment_ptr 1
		.amdhsa_user_sgpr_dispatch_id 0
		.amdhsa_user_sgpr_kernarg_preload_length 0
		.amdhsa_user_sgpr_kernarg_preload_offset 0
		.amdhsa_user_sgpr_private_segment_size 0
		.amdhsa_wavefront_size32 1
		.amdhsa_uses_dynamic_stack 0
		.amdhsa_enable_private_segment 0
		.amdhsa_system_sgpr_workgroup_id_x 1
		.amdhsa_system_sgpr_workgroup_id_y 0
		.amdhsa_system_sgpr_workgroup_id_z 0
		.amdhsa_system_sgpr_workgroup_info 0
		.amdhsa_system_vgpr_workitem_id 0
		.amdhsa_next_free_vgpr 6
		.amdhsa_next_free_sgpr 15
		.amdhsa_named_barrier_count 0
		.amdhsa_reserve_vcc 1
		.amdhsa_float_round_mode_32 0
		.amdhsa_float_round_mode_16_64 0
		.amdhsa_float_denorm_mode_32 3
		.amdhsa_float_denorm_mode_16_64 3
		.amdhsa_fp16_overflow 0
		.amdhsa_memory_ordered 1
		.amdhsa_forward_progress 1
		.amdhsa_inst_pref_size 5
		.amdhsa_round_robin_scheduling 0
		.amdhsa_exception_fp_ieee_invalid_op 0
		.amdhsa_exception_fp_denorm_src 0
		.amdhsa_exception_fp_ieee_div_zero 0
		.amdhsa_exception_fp_ieee_overflow 0
		.amdhsa_exception_fp_ieee_underflow 0
		.amdhsa_exception_fp_ieee_inexact 0
		.amdhsa_exception_int_div_zero 0
	.end_amdhsa_kernel
	.section	.text._ZN7rocprim17ROCPRIM_400000_NS6detail17trampoline_kernelINS0_14default_configENS1_25transform_config_selectorI6__halfLb1EEEZNS1_14transform_implILb1ES3_S6_PKS5_PS5_NS0_8identityIS5_EEEE10hipError_tT2_T3_mT4_P12ihipStream_tbEUlT_E_NS1_11comp_targetILNS1_3genE0ELNS1_11target_archE4294967295ELNS1_3gpuE0ELNS1_3repE0EEENS1_30default_config_static_selectorELNS0_4arch9wavefront6targetE0EEEvT1_,"axG",@progbits,_ZN7rocprim17ROCPRIM_400000_NS6detail17trampoline_kernelINS0_14default_configENS1_25transform_config_selectorI6__halfLb1EEEZNS1_14transform_implILb1ES3_S6_PKS5_PS5_NS0_8identityIS5_EEEE10hipError_tT2_T3_mT4_P12ihipStream_tbEUlT_E_NS1_11comp_targetILNS1_3genE0ELNS1_11target_archE4294967295ELNS1_3gpuE0ELNS1_3repE0EEENS1_30default_config_static_selectorELNS0_4arch9wavefront6targetE0EEEvT1_,comdat
.Lfunc_end2155:
	.size	_ZN7rocprim17ROCPRIM_400000_NS6detail17trampoline_kernelINS0_14default_configENS1_25transform_config_selectorI6__halfLb1EEEZNS1_14transform_implILb1ES3_S6_PKS5_PS5_NS0_8identityIS5_EEEE10hipError_tT2_T3_mT4_P12ihipStream_tbEUlT_E_NS1_11comp_targetILNS1_3genE0ELNS1_11target_archE4294967295ELNS1_3gpuE0ELNS1_3repE0EEENS1_30default_config_static_selectorELNS0_4arch9wavefront6targetE0EEEvT1_, .Lfunc_end2155-_ZN7rocprim17ROCPRIM_400000_NS6detail17trampoline_kernelINS0_14default_configENS1_25transform_config_selectorI6__halfLb1EEEZNS1_14transform_implILb1ES3_S6_PKS5_PS5_NS0_8identityIS5_EEEE10hipError_tT2_T3_mT4_P12ihipStream_tbEUlT_E_NS1_11comp_targetILNS1_3genE0ELNS1_11target_archE4294967295ELNS1_3gpuE0ELNS1_3repE0EEENS1_30default_config_static_selectorELNS0_4arch9wavefront6targetE0EEEvT1_
                                        ; -- End function
	.set _ZN7rocprim17ROCPRIM_400000_NS6detail17trampoline_kernelINS0_14default_configENS1_25transform_config_selectorI6__halfLb1EEEZNS1_14transform_implILb1ES3_S6_PKS5_PS5_NS0_8identityIS5_EEEE10hipError_tT2_T3_mT4_P12ihipStream_tbEUlT_E_NS1_11comp_targetILNS1_3genE0ELNS1_11target_archE4294967295ELNS1_3gpuE0ELNS1_3repE0EEENS1_30default_config_static_selectorELNS0_4arch9wavefront6targetE0EEEvT1_.num_vgpr, 6
	.set _ZN7rocprim17ROCPRIM_400000_NS6detail17trampoline_kernelINS0_14default_configENS1_25transform_config_selectorI6__halfLb1EEEZNS1_14transform_implILb1ES3_S6_PKS5_PS5_NS0_8identityIS5_EEEE10hipError_tT2_T3_mT4_P12ihipStream_tbEUlT_E_NS1_11comp_targetILNS1_3genE0ELNS1_11target_archE4294967295ELNS1_3gpuE0ELNS1_3repE0EEENS1_30default_config_static_selectorELNS0_4arch9wavefront6targetE0EEEvT1_.num_agpr, 0
	.set _ZN7rocprim17ROCPRIM_400000_NS6detail17trampoline_kernelINS0_14default_configENS1_25transform_config_selectorI6__halfLb1EEEZNS1_14transform_implILb1ES3_S6_PKS5_PS5_NS0_8identityIS5_EEEE10hipError_tT2_T3_mT4_P12ihipStream_tbEUlT_E_NS1_11comp_targetILNS1_3genE0ELNS1_11target_archE4294967295ELNS1_3gpuE0ELNS1_3repE0EEENS1_30default_config_static_selectorELNS0_4arch9wavefront6targetE0EEEvT1_.numbered_sgpr, 15
	.set _ZN7rocprim17ROCPRIM_400000_NS6detail17trampoline_kernelINS0_14default_configENS1_25transform_config_selectorI6__halfLb1EEEZNS1_14transform_implILb1ES3_S6_PKS5_PS5_NS0_8identityIS5_EEEE10hipError_tT2_T3_mT4_P12ihipStream_tbEUlT_E_NS1_11comp_targetILNS1_3genE0ELNS1_11target_archE4294967295ELNS1_3gpuE0ELNS1_3repE0EEENS1_30default_config_static_selectorELNS0_4arch9wavefront6targetE0EEEvT1_.num_named_barrier, 0
	.set _ZN7rocprim17ROCPRIM_400000_NS6detail17trampoline_kernelINS0_14default_configENS1_25transform_config_selectorI6__halfLb1EEEZNS1_14transform_implILb1ES3_S6_PKS5_PS5_NS0_8identityIS5_EEEE10hipError_tT2_T3_mT4_P12ihipStream_tbEUlT_E_NS1_11comp_targetILNS1_3genE0ELNS1_11target_archE4294967295ELNS1_3gpuE0ELNS1_3repE0EEENS1_30default_config_static_selectorELNS0_4arch9wavefront6targetE0EEEvT1_.private_seg_size, 0
	.set _ZN7rocprim17ROCPRIM_400000_NS6detail17trampoline_kernelINS0_14default_configENS1_25transform_config_selectorI6__halfLb1EEEZNS1_14transform_implILb1ES3_S6_PKS5_PS5_NS0_8identityIS5_EEEE10hipError_tT2_T3_mT4_P12ihipStream_tbEUlT_E_NS1_11comp_targetILNS1_3genE0ELNS1_11target_archE4294967295ELNS1_3gpuE0ELNS1_3repE0EEENS1_30default_config_static_selectorELNS0_4arch9wavefront6targetE0EEEvT1_.uses_vcc, 1
	.set _ZN7rocprim17ROCPRIM_400000_NS6detail17trampoline_kernelINS0_14default_configENS1_25transform_config_selectorI6__halfLb1EEEZNS1_14transform_implILb1ES3_S6_PKS5_PS5_NS0_8identityIS5_EEEE10hipError_tT2_T3_mT4_P12ihipStream_tbEUlT_E_NS1_11comp_targetILNS1_3genE0ELNS1_11target_archE4294967295ELNS1_3gpuE0ELNS1_3repE0EEENS1_30default_config_static_selectorELNS0_4arch9wavefront6targetE0EEEvT1_.uses_flat_scratch, 0
	.set _ZN7rocprim17ROCPRIM_400000_NS6detail17trampoline_kernelINS0_14default_configENS1_25transform_config_selectorI6__halfLb1EEEZNS1_14transform_implILb1ES3_S6_PKS5_PS5_NS0_8identityIS5_EEEE10hipError_tT2_T3_mT4_P12ihipStream_tbEUlT_E_NS1_11comp_targetILNS1_3genE0ELNS1_11target_archE4294967295ELNS1_3gpuE0ELNS1_3repE0EEENS1_30default_config_static_selectorELNS0_4arch9wavefront6targetE0EEEvT1_.has_dyn_sized_stack, 0
	.set _ZN7rocprim17ROCPRIM_400000_NS6detail17trampoline_kernelINS0_14default_configENS1_25transform_config_selectorI6__halfLb1EEEZNS1_14transform_implILb1ES3_S6_PKS5_PS5_NS0_8identityIS5_EEEE10hipError_tT2_T3_mT4_P12ihipStream_tbEUlT_E_NS1_11comp_targetILNS1_3genE0ELNS1_11target_archE4294967295ELNS1_3gpuE0ELNS1_3repE0EEENS1_30default_config_static_selectorELNS0_4arch9wavefront6targetE0EEEvT1_.has_recursion, 0
	.set _ZN7rocprim17ROCPRIM_400000_NS6detail17trampoline_kernelINS0_14default_configENS1_25transform_config_selectorI6__halfLb1EEEZNS1_14transform_implILb1ES3_S6_PKS5_PS5_NS0_8identityIS5_EEEE10hipError_tT2_T3_mT4_P12ihipStream_tbEUlT_E_NS1_11comp_targetILNS1_3genE0ELNS1_11target_archE4294967295ELNS1_3gpuE0ELNS1_3repE0EEENS1_30default_config_static_selectorELNS0_4arch9wavefront6targetE0EEEvT1_.has_indirect_call, 0
	.section	.AMDGPU.csdata,"",@progbits
; Kernel info:
; codeLenInByte = 548
; TotalNumSgprs: 17
; NumVgprs: 6
; ScratchSize: 0
; MemoryBound: 0
; FloatMode: 240
; IeeeMode: 1
; LDSByteSize: 0 bytes/workgroup (compile time only)
; SGPRBlocks: 0
; VGPRBlocks: 0
; NumSGPRsForWavesPerEU: 17
; NumVGPRsForWavesPerEU: 6
; NamedBarCnt: 0
; Occupancy: 16
; WaveLimiterHint : 0
; COMPUTE_PGM_RSRC2:SCRATCH_EN: 0
; COMPUTE_PGM_RSRC2:USER_SGPR: 2
; COMPUTE_PGM_RSRC2:TRAP_HANDLER: 0
; COMPUTE_PGM_RSRC2:TGID_X_EN: 1
; COMPUTE_PGM_RSRC2:TGID_Y_EN: 0
; COMPUTE_PGM_RSRC2:TGID_Z_EN: 0
; COMPUTE_PGM_RSRC2:TIDIG_COMP_CNT: 0
	.section	.text._ZN7rocprim17ROCPRIM_400000_NS6detail17trampoline_kernelINS0_14default_configENS1_25transform_config_selectorI6__halfLb1EEEZNS1_14transform_implILb1ES3_S6_PKS5_PS5_NS0_8identityIS5_EEEE10hipError_tT2_T3_mT4_P12ihipStream_tbEUlT_E_NS1_11comp_targetILNS1_3genE10ELNS1_11target_archE1201ELNS1_3gpuE5ELNS1_3repE0EEENS1_30default_config_static_selectorELNS0_4arch9wavefront6targetE0EEEvT1_,"axG",@progbits,_ZN7rocprim17ROCPRIM_400000_NS6detail17trampoline_kernelINS0_14default_configENS1_25transform_config_selectorI6__halfLb1EEEZNS1_14transform_implILb1ES3_S6_PKS5_PS5_NS0_8identityIS5_EEEE10hipError_tT2_T3_mT4_P12ihipStream_tbEUlT_E_NS1_11comp_targetILNS1_3genE10ELNS1_11target_archE1201ELNS1_3gpuE5ELNS1_3repE0EEENS1_30default_config_static_selectorELNS0_4arch9wavefront6targetE0EEEvT1_,comdat
	.protected	_ZN7rocprim17ROCPRIM_400000_NS6detail17trampoline_kernelINS0_14default_configENS1_25transform_config_selectorI6__halfLb1EEEZNS1_14transform_implILb1ES3_S6_PKS5_PS5_NS0_8identityIS5_EEEE10hipError_tT2_T3_mT4_P12ihipStream_tbEUlT_E_NS1_11comp_targetILNS1_3genE10ELNS1_11target_archE1201ELNS1_3gpuE5ELNS1_3repE0EEENS1_30default_config_static_selectorELNS0_4arch9wavefront6targetE0EEEvT1_ ; -- Begin function _ZN7rocprim17ROCPRIM_400000_NS6detail17trampoline_kernelINS0_14default_configENS1_25transform_config_selectorI6__halfLb1EEEZNS1_14transform_implILb1ES3_S6_PKS5_PS5_NS0_8identityIS5_EEEE10hipError_tT2_T3_mT4_P12ihipStream_tbEUlT_E_NS1_11comp_targetILNS1_3genE10ELNS1_11target_archE1201ELNS1_3gpuE5ELNS1_3repE0EEENS1_30default_config_static_selectorELNS0_4arch9wavefront6targetE0EEEvT1_
	.globl	_ZN7rocprim17ROCPRIM_400000_NS6detail17trampoline_kernelINS0_14default_configENS1_25transform_config_selectorI6__halfLb1EEEZNS1_14transform_implILb1ES3_S6_PKS5_PS5_NS0_8identityIS5_EEEE10hipError_tT2_T3_mT4_P12ihipStream_tbEUlT_E_NS1_11comp_targetILNS1_3genE10ELNS1_11target_archE1201ELNS1_3gpuE5ELNS1_3repE0EEENS1_30default_config_static_selectorELNS0_4arch9wavefront6targetE0EEEvT1_
	.p2align	8
	.type	_ZN7rocprim17ROCPRIM_400000_NS6detail17trampoline_kernelINS0_14default_configENS1_25transform_config_selectorI6__halfLb1EEEZNS1_14transform_implILb1ES3_S6_PKS5_PS5_NS0_8identityIS5_EEEE10hipError_tT2_T3_mT4_P12ihipStream_tbEUlT_E_NS1_11comp_targetILNS1_3genE10ELNS1_11target_archE1201ELNS1_3gpuE5ELNS1_3repE0EEENS1_30default_config_static_selectorELNS0_4arch9wavefront6targetE0EEEvT1_,@function
_ZN7rocprim17ROCPRIM_400000_NS6detail17trampoline_kernelINS0_14default_configENS1_25transform_config_selectorI6__halfLb1EEEZNS1_14transform_implILb1ES3_S6_PKS5_PS5_NS0_8identityIS5_EEEE10hipError_tT2_T3_mT4_P12ihipStream_tbEUlT_E_NS1_11comp_targetILNS1_3genE10ELNS1_11target_archE1201ELNS1_3gpuE5ELNS1_3repE0EEENS1_30default_config_static_selectorELNS0_4arch9wavefront6targetE0EEEvT1_: ; @_ZN7rocprim17ROCPRIM_400000_NS6detail17trampoline_kernelINS0_14default_configENS1_25transform_config_selectorI6__halfLb1EEEZNS1_14transform_implILb1ES3_S6_PKS5_PS5_NS0_8identityIS5_EEEE10hipError_tT2_T3_mT4_P12ihipStream_tbEUlT_E_NS1_11comp_targetILNS1_3genE10ELNS1_11target_archE1201ELNS1_3gpuE5ELNS1_3repE0EEENS1_30default_config_static_selectorELNS0_4arch9wavefront6targetE0EEEvT1_
; %bb.0:
	.section	.rodata,"a",@progbits
	.p2align	6, 0x0
	.amdhsa_kernel _ZN7rocprim17ROCPRIM_400000_NS6detail17trampoline_kernelINS0_14default_configENS1_25transform_config_selectorI6__halfLb1EEEZNS1_14transform_implILb1ES3_S6_PKS5_PS5_NS0_8identityIS5_EEEE10hipError_tT2_T3_mT4_P12ihipStream_tbEUlT_E_NS1_11comp_targetILNS1_3genE10ELNS1_11target_archE1201ELNS1_3gpuE5ELNS1_3repE0EEENS1_30default_config_static_selectorELNS0_4arch9wavefront6targetE0EEEvT1_
		.amdhsa_group_segment_fixed_size 0
		.amdhsa_private_segment_fixed_size 0
		.amdhsa_kernarg_size 40
		.amdhsa_user_sgpr_count 2
		.amdhsa_user_sgpr_dispatch_ptr 0
		.amdhsa_user_sgpr_queue_ptr 0
		.amdhsa_user_sgpr_kernarg_segment_ptr 1
		.amdhsa_user_sgpr_dispatch_id 0
		.amdhsa_user_sgpr_kernarg_preload_length 0
		.amdhsa_user_sgpr_kernarg_preload_offset 0
		.amdhsa_user_sgpr_private_segment_size 0
		.amdhsa_wavefront_size32 1
		.amdhsa_uses_dynamic_stack 0
		.amdhsa_enable_private_segment 0
		.amdhsa_system_sgpr_workgroup_id_x 1
		.amdhsa_system_sgpr_workgroup_id_y 0
		.amdhsa_system_sgpr_workgroup_id_z 0
		.amdhsa_system_sgpr_workgroup_info 0
		.amdhsa_system_vgpr_workitem_id 0
		.amdhsa_next_free_vgpr 1
		.amdhsa_next_free_sgpr 1
		.amdhsa_named_barrier_count 0
		.amdhsa_reserve_vcc 0
		.amdhsa_float_round_mode_32 0
		.amdhsa_float_round_mode_16_64 0
		.amdhsa_float_denorm_mode_32 3
		.amdhsa_float_denorm_mode_16_64 3
		.amdhsa_fp16_overflow 0
		.amdhsa_memory_ordered 1
		.amdhsa_forward_progress 1
		.amdhsa_inst_pref_size 0
		.amdhsa_round_robin_scheduling 0
		.amdhsa_exception_fp_ieee_invalid_op 0
		.amdhsa_exception_fp_denorm_src 0
		.amdhsa_exception_fp_ieee_div_zero 0
		.amdhsa_exception_fp_ieee_overflow 0
		.amdhsa_exception_fp_ieee_underflow 0
		.amdhsa_exception_fp_ieee_inexact 0
		.amdhsa_exception_int_div_zero 0
	.end_amdhsa_kernel
	.section	.text._ZN7rocprim17ROCPRIM_400000_NS6detail17trampoline_kernelINS0_14default_configENS1_25transform_config_selectorI6__halfLb1EEEZNS1_14transform_implILb1ES3_S6_PKS5_PS5_NS0_8identityIS5_EEEE10hipError_tT2_T3_mT4_P12ihipStream_tbEUlT_E_NS1_11comp_targetILNS1_3genE10ELNS1_11target_archE1201ELNS1_3gpuE5ELNS1_3repE0EEENS1_30default_config_static_selectorELNS0_4arch9wavefront6targetE0EEEvT1_,"axG",@progbits,_ZN7rocprim17ROCPRIM_400000_NS6detail17trampoline_kernelINS0_14default_configENS1_25transform_config_selectorI6__halfLb1EEEZNS1_14transform_implILb1ES3_S6_PKS5_PS5_NS0_8identityIS5_EEEE10hipError_tT2_T3_mT4_P12ihipStream_tbEUlT_E_NS1_11comp_targetILNS1_3genE10ELNS1_11target_archE1201ELNS1_3gpuE5ELNS1_3repE0EEENS1_30default_config_static_selectorELNS0_4arch9wavefront6targetE0EEEvT1_,comdat
.Lfunc_end2156:
	.size	_ZN7rocprim17ROCPRIM_400000_NS6detail17trampoline_kernelINS0_14default_configENS1_25transform_config_selectorI6__halfLb1EEEZNS1_14transform_implILb1ES3_S6_PKS5_PS5_NS0_8identityIS5_EEEE10hipError_tT2_T3_mT4_P12ihipStream_tbEUlT_E_NS1_11comp_targetILNS1_3genE10ELNS1_11target_archE1201ELNS1_3gpuE5ELNS1_3repE0EEENS1_30default_config_static_selectorELNS0_4arch9wavefront6targetE0EEEvT1_, .Lfunc_end2156-_ZN7rocprim17ROCPRIM_400000_NS6detail17trampoline_kernelINS0_14default_configENS1_25transform_config_selectorI6__halfLb1EEEZNS1_14transform_implILb1ES3_S6_PKS5_PS5_NS0_8identityIS5_EEEE10hipError_tT2_T3_mT4_P12ihipStream_tbEUlT_E_NS1_11comp_targetILNS1_3genE10ELNS1_11target_archE1201ELNS1_3gpuE5ELNS1_3repE0EEENS1_30default_config_static_selectorELNS0_4arch9wavefront6targetE0EEEvT1_
                                        ; -- End function
	.set _ZN7rocprim17ROCPRIM_400000_NS6detail17trampoline_kernelINS0_14default_configENS1_25transform_config_selectorI6__halfLb1EEEZNS1_14transform_implILb1ES3_S6_PKS5_PS5_NS0_8identityIS5_EEEE10hipError_tT2_T3_mT4_P12ihipStream_tbEUlT_E_NS1_11comp_targetILNS1_3genE10ELNS1_11target_archE1201ELNS1_3gpuE5ELNS1_3repE0EEENS1_30default_config_static_selectorELNS0_4arch9wavefront6targetE0EEEvT1_.num_vgpr, 0
	.set _ZN7rocprim17ROCPRIM_400000_NS6detail17trampoline_kernelINS0_14default_configENS1_25transform_config_selectorI6__halfLb1EEEZNS1_14transform_implILb1ES3_S6_PKS5_PS5_NS0_8identityIS5_EEEE10hipError_tT2_T3_mT4_P12ihipStream_tbEUlT_E_NS1_11comp_targetILNS1_3genE10ELNS1_11target_archE1201ELNS1_3gpuE5ELNS1_3repE0EEENS1_30default_config_static_selectorELNS0_4arch9wavefront6targetE0EEEvT1_.num_agpr, 0
	.set _ZN7rocprim17ROCPRIM_400000_NS6detail17trampoline_kernelINS0_14default_configENS1_25transform_config_selectorI6__halfLb1EEEZNS1_14transform_implILb1ES3_S6_PKS5_PS5_NS0_8identityIS5_EEEE10hipError_tT2_T3_mT4_P12ihipStream_tbEUlT_E_NS1_11comp_targetILNS1_3genE10ELNS1_11target_archE1201ELNS1_3gpuE5ELNS1_3repE0EEENS1_30default_config_static_selectorELNS0_4arch9wavefront6targetE0EEEvT1_.numbered_sgpr, 0
	.set _ZN7rocprim17ROCPRIM_400000_NS6detail17trampoline_kernelINS0_14default_configENS1_25transform_config_selectorI6__halfLb1EEEZNS1_14transform_implILb1ES3_S6_PKS5_PS5_NS0_8identityIS5_EEEE10hipError_tT2_T3_mT4_P12ihipStream_tbEUlT_E_NS1_11comp_targetILNS1_3genE10ELNS1_11target_archE1201ELNS1_3gpuE5ELNS1_3repE0EEENS1_30default_config_static_selectorELNS0_4arch9wavefront6targetE0EEEvT1_.num_named_barrier, 0
	.set _ZN7rocprim17ROCPRIM_400000_NS6detail17trampoline_kernelINS0_14default_configENS1_25transform_config_selectorI6__halfLb1EEEZNS1_14transform_implILb1ES3_S6_PKS5_PS5_NS0_8identityIS5_EEEE10hipError_tT2_T3_mT4_P12ihipStream_tbEUlT_E_NS1_11comp_targetILNS1_3genE10ELNS1_11target_archE1201ELNS1_3gpuE5ELNS1_3repE0EEENS1_30default_config_static_selectorELNS0_4arch9wavefront6targetE0EEEvT1_.private_seg_size, 0
	.set _ZN7rocprim17ROCPRIM_400000_NS6detail17trampoline_kernelINS0_14default_configENS1_25transform_config_selectorI6__halfLb1EEEZNS1_14transform_implILb1ES3_S6_PKS5_PS5_NS0_8identityIS5_EEEE10hipError_tT2_T3_mT4_P12ihipStream_tbEUlT_E_NS1_11comp_targetILNS1_3genE10ELNS1_11target_archE1201ELNS1_3gpuE5ELNS1_3repE0EEENS1_30default_config_static_selectorELNS0_4arch9wavefront6targetE0EEEvT1_.uses_vcc, 0
	.set _ZN7rocprim17ROCPRIM_400000_NS6detail17trampoline_kernelINS0_14default_configENS1_25transform_config_selectorI6__halfLb1EEEZNS1_14transform_implILb1ES3_S6_PKS5_PS5_NS0_8identityIS5_EEEE10hipError_tT2_T3_mT4_P12ihipStream_tbEUlT_E_NS1_11comp_targetILNS1_3genE10ELNS1_11target_archE1201ELNS1_3gpuE5ELNS1_3repE0EEENS1_30default_config_static_selectorELNS0_4arch9wavefront6targetE0EEEvT1_.uses_flat_scratch, 0
	.set _ZN7rocprim17ROCPRIM_400000_NS6detail17trampoline_kernelINS0_14default_configENS1_25transform_config_selectorI6__halfLb1EEEZNS1_14transform_implILb1ES3_S6_PKS5_PS5_NS0_8identityIS5_EEEE10hipError_tT2_T3_mT4_P12ihipStream_tbEUlT_E_NS1_11comp_targetILNS1_3genE10ELNS1_11target_archE1201ELNS1_3gpuE5ELNS1_3repE0EEENS1_30default_config_static_selectorELNS0_4arch9wavefront6targetE0EEEvT1_.has_dyn_sized_stack, 0
	.set _ZN7rocprim17ROCPRIM_400000_NS6detail17trampoline_kernelINS0_14default_configENS1_25transform_config_selectorI6__halfLb1EEEZNS1_14transform_implILb1ES3_S6_PKS5_PS5_NS0_8identityIS5_EEEE10hipError_tT2_T3_mT4_P12ihipStream_tbEUlT_E_NS1_11comp_targetILNS1_3genE10ELNS1_11target_archE1201ELNS1_3gpuE5ELNS1_3repE0EEENS1_30default_config_static_selectorELNS0_4arch9wavefront6targetE0EEEvT1_.has_recursion, 0
	.set _ZN7rocprim17ROCPRIM_400000_NS6detail17trampoline_kernelINS0_14default_configENS1_25transform_config_selectorI6__halfLb1EEEZNS1_14transform_implILb1ES3_S6_PKS5_PS5_NS0_8identityIS5_EEEE10hipError_tT2_T3_mT4_P12ihipStream_tbEUlT_E_NS1_11comp_targetILNS1_3genE10ELNS1_11target_archE1201ELNS1_3gpuE5ELNS1_3repE0EEENS1_30default_config_static_selectorELNS0_4arch9wavefront6targetE0EEEvT1_.has_indirect_call, 0
	.section	.AMDGPU.csdata,"",@progbits
; Kernel info:
; codeLenInByte = 0
; TotalNumSgprs: 0
; NumVgprs: 0
; ScratchSize: 0
; MemoryBound: 0
; FloatMode: 240
; IeeeMode: 1
; LDSByteSize: 0 bytes/workgroup (compile time only)
; SGPRBlocks: 0
; VGPRBlocks: 0
; NumSGPRsForWavesPerEU: 1
; NumVGPRsForWavesPerEU: 1
; NamedBarCnt: 0
; Occupancy: 16
; WaveLimiterHint : 0
; COMPUTE_PGM_RSRC2:SCRATCH_EN: 0
; COMPUTE_PGM_RSRC2:USER_SGPR: 2
; COMPUTE_PGM_RSRC2:TRAP_HANDLER: 0
; COMPUTE_PGM_RSRC2:TGID_X_EN: 1
; COMPUTE_PGM_RSRC2:TGID_Y_EN: 0
; COMPUTE_PGM_RSRC2:TGID_Z_EN: 0
; COMPUTE_PGM_RSRC2:TIDIG_COMP_CNT: 0
	.section	.text._ZN7rocprim17ROCPRIM_400000_NS6detail17trampoline_kernelINS0_14default_configENS1_25transform_config_selectorI6__halfLb1EEEZNS1_14transform_implILb1ES3_S6_PKS5_PS5_NS0_8identityIS5_EEEE10hipError_tT2_T3_mT4_P12ihipStream_tbEUlT_E_NS1_11comp_targetILNS1_3genE5ELNS1_11target_archE942ELNS1_3gpuE9ELNS1_3repE0EEENS1_30default_config_static_selectorELNS0_4arch9wavefront6targetE0EEEvT1_,"axG",@progbits,_ZN7rocprim17ROCPRIM_400000_NS6detail17trampoline_kernelINS0_14default_configENS1_25transform_config_selectorI6__halfLb1EEEZNS1_14transform_implILb1ES3_S6_PKS5_PS5_NS0_8identityIS5_EEEE10hipError_tT2_T3_mT4_P12ihipStream_tbEUlT_E_NS1_11comp_targetILNS1_3genE5ELNS1_11target_archE942ELNS1_3gpuE9ELNS1_3repE0EEENS1_30default_config_static_selectorELNS0_4arch9wavefront6targetE0EEEvT1_,comdat
	.protected	_ZN7rocprim17ROCPRIM_400000_NS6detail17trampoline_kernelINS0_14default_configENS1_25transform_config_selectorI6__halfLb1EEEZNS1_14transform_implILb1ES3_S6_PKS5_PS5_NS0_8identityIS5_EEEE10hipError_tT2_T3_mT4_P12ihipStream_tbEUlT_E_NS1_11comp_targetILNS1_3genE5ELNS1_11target_archE942ELNS1_3gpuE9ELNS1_3repE0EEENS1_30default_config_static_selectorELNS0_4arch9wavefront6targetE0EEEvT1_ ; -- Begin function _ZN7rocprim17ROCPRIM_400000_NS6detail17trampoline_kernelINS0_14default_configENS1_25transform_config_selectorI6__halfLb1EEEZNS1_14transform_implILb1ES3_S6_PKS5_PS5_NS0_8identityIS5_EEEE10hipError_tT2_T3_mT4_P12ihipStream_tbEUlT_E_NS1_11comp_targetILNS1_3genE5ELNS1_11target_archE942ELNS1_3gpuE9ELNS1_3repE0EEENS1_30default_config_static_selectorELNS0_4arch9wavefront6targetE0EEEvT1_
	.globl	_ZN7rocprim17ROCPRIM_400000_NS6detail17trampoline_kernelINS0_14default_configENS1_25transform_config_selectorI6__halfLb1EEEZNS1_14transform_implILb1ES3_S6_PKS5_PS5_NS0_8identityIS5_EEEE10hipError_tT2_T3_mT4_P12ihipStream_tbEUlT_E_NS1_11comp_targetILNS1_3genE5ELNS1_11target_archE942ELNS1_3gpuE9ELNS1_3repE0EEENS1_30default_config_static_selectorELNS0_4arch9wavefront6targetE0EEEvT1_
	.p2align	8
	.type	_ZN7rocprim17ROCPRIM_400000_NS6detail17trampoline_kernelINS0_14default_configENS1_25transform_config_selectorI6__halfLb1EEEZNS1_14transform_implILb1ES3_S6_PKS5_PS5_NS0_8identityIS5_EEEE10hipError_tT2_T3_mT4_P12ihipStream_tbEUlT_E_NS1_11comp_targetILNS1_3genE5ELNS1_11target_archE942ELNS1_3gpuE9ELNS1_3repE0EEENS1_30default_config_static_selectorELNS0_4arch9wavefront6targetE0EEEvT1_,@function
_ZN7rocprim17ROCPRIM_400000_NS6detail17trampoline_kernelINS0_14default_configENS1_25transform_config_selectorI6__halfLb1EEEZNS1_14transform_implILb1ES3_S6_PKS5_PS5_NS0_8identityIS5_EEEE10hipError_tT2_T3_mT4_P12ihipStream_tbEUlT_E_NS1_11comp_targetILNS1_3genE5ELNS1_11target_archE942ELNS1_3gpuE9ELNS1_3repE0EEENS1_30default_config_static_selectorELNS0_4arch9wavefront6targetE0EEEvT1_: ; @_ZN7rocprim17ROCPRIM_400000_NS6detail17trampoline_kernelINS0_14default_configENS1_25transform_config_selectorI6__halfLb1EEEZNS1_14transform_implILb1ES3_S6_PKS5_PS5_NS0_8identityIS5_EEEE10hipError_tT2_T3_mT4_P12ihipStream_tbEUlT_E_NS1_11comp_targetILNS1_3genE5ELNS1_11target_archE942ELNS1_3gpuE9ELNS1_3repE0EEENS1_30default_config_static_selectorELNS0_4arch9wavefront6targetE0EEEvT1_
; %bb.0:
	.section	.rodata,"a",@progbits
	.p2align	6, 0x0
	.amdhsa_kernel _ZN7rocprim17ROCPRIM_400000_NS6detail17trampoline_kernelINS0_14default_configENS1_25transform_config_selectorI6__halfLb1EEEZNS1_14transform_implILb1ES3_S6_PKS5_PS5_NS0_8identityIS5_EEEE10hipError_tT2_T3_mT4_P12ihipStream_tbEUlT_E_NS1_11comp_targetILNS1_3genE5ELNS1_11target_archE942ELNS1_3gpuE9ELNS1_3repE0EEENS1_30default_config_static_selectorELNS0_4arch9wavefront6targetE0EEEvT1_
		.amdhsa_group_segment_fixed_size 0
		.amdhsa_private_segment_fixed_size 0
		.amdhsa_kernarg_size 40
		.amdhsa_user_sgpr_count 2
		.amdhsa_user_sgpr_dispatch_ptr 0
		.amdhsa_user_sgpr_queue_ptr 0
		.amdhsa_user_sgpr_kernarg_segment_ptr 1
		.amdhsa_user_sgpr_dispatch_id 0
		.amdhsa_user_sgpr_kernarg_preload_length 0
		.amdhsa_user_sgpr_kernarg_preload_offset 0
		.amdhsa_user_sgpr_private_segment_size 0
		.amdhsa_wavefront_size32 1
		.amdhsa_uses_dynamic_stack 0
		.amdhsa_enable_private_segment 0
		.amdhsa_system_sgpr_workgroup_id_x 1
		.amdhsa_system_sgpr_workgroup_id_y 0
		.amdhsa_system_sgpr_workgroup_id_z 0
		.amdhsa_system_sgpr_workgroup_info 0
		.amdhsa_system_vgpr_workitem_id 0
		.amdhsa_next_free_vgpr 1
		.amdhsa_next_free_sgpr 1
		.amdhsa_named_barrier_count 0
		.amdhsa_reserve_vcc 0
		.amdhsa_float_round_mode_32 0
		.amdhsa_float_round_mode_16_64 0
		.amdhsa_float_denorm_mode_32 3
		.amdhsa_float_denorm_mode_16_64 3
		.amdhsa_fp16_overflow 0
		.amdhsa_memory_ordered 1
		.amdhsa_forward_progress 1
		.amdhsa_inst_pref_size 0
		.amdhsa_round_robin_scheduling 0
		.amdhsa_exception_fp_ieee_invalid_op 0
		.amdhsa_exception_fp_denorm_src 0
		.amdhsa_exception_fp_ieee_div_zero 0
		.amdhsa_exception_fp_ieee_overflow 0
		.amdhsa_exception_fp_ieee_underflow 0
		.amdhsa_exception_fp_ieee_inexact 0
		.amdhsa_exception_int_div_zero 0
	.end_amdhsa_kernel
	.section	.text._ZN7rocprim17ROCPRIM_400000_NS6detail17trampoline_kernelINS0_14default_configENS1_25transform_config_selectorI6__halfLb1EEEZNS1_14transform_implILb1ES3_S6_PKS5_PS5_NS0_8identityIS5_EEEE10hipError_tT2_T3_mT4_P12ihipStream_tbEUlT_E_NS1_11comp_targetILNS1_3genE5ELNS1_11target_archE942ELNS1_3gpuE9ELNS1_3repE0EEENS1_30default_config_static_selectorELNS0_4arch9wavefront6targetE0EEEvT1_,"axG",@progbits,_ZN7rocprim17ROCPRIM_400000_NS6detail17trampoline_kernelINS0_14default_configENS1_25transform_config_selectorI6__halfLb1EEEZNS1_14transform_implILb1ES3_S6_PKS5_PS5_NS0_8identityIS5_EEEE10hipError_tT2_T3_mT4_P12ihipStream_tbEUlT_E_NS1_11comp_targetILNS1_3genE5ELNS1_11target_archE942ELNS1_3gpuE9ELNS1_3repE0EEENS1_30default_config_static_selectorELNS0_4arch9wavefront6targetE0EEEvT1_,comdat
.Lfunc_end2157:
	.size	_ZN7rocprim17ROCPRIM_400000_NS6detail17trampoline_kernelINS0_14default_configENS1_25transform_config_selectorI6__halfLb1EEEZNS1_14transform_implILb1ES3_S6_PKS5_PS5_NS0_8identityIS5_EEEE10hipError_tT2_T3_mT4_P12ihipStream_tbEUlT_E_NS1_11comp_targetILNS1_3genE5ELNS1_11target_archE942ELNS1_3gpuE9ELNS1_3repE0EEENS1_30default_config_static_selectorELNS0_4arch9wavefront6targetE0EEEvT1_, .Lfunc_end2157-_ZN7rocprim17ROCPRIM_400000_NS6detail17trampoline_kernelINS0_14default_configENS1_25transform_config_selectorI6__halfLb1EEEZNS1_14transform_implILb1ES3_S6_PKS5_PS5_NS0_8identityIS5_EEEE10hipError_tT2_T3_mT4_P12ihipStream_tbEUlT_E_NS1_11comp_targetILNS1_3genE5ELNS1_11target_archE942ELNS1_3gpuE9ELNS1_3repE0EEENS1_30default_config_static_selectorELNS0_4arch9wavefront6targetE0EEEvT1_
                                        ; -- End function
	.set _ZN7rocprim17ROCPRIM_400000_NS6detail17trampoline_kernelINS0_14default_configENS1_25transform_config_selectorI6__halfLb1EEEZNS1_14transform_implILb1ES3_S6_PKS5_PS5_NS0_8identityIS5_EEEE10hipError_tT2_T3_mT4_P12ihipStream_tbEUlT_E_NS1_11comp_targetILNS1_3genE5ELNS1_11target_archE942ELNS1_3gpuE9ELNS1_3repE0EEENS1_30default_config_static_selectorELNS0_4arch9wavefront6targetE0EEEvT1_.num_vgpr, 0
	.set _ZN7rocprim17ROCPRIM_400000_NS6detail17trampoline_kernelINS0_14default_configENS1_25transform_config_selectorI6__halfLb1EEEZNS1_14transform_implILb1ES3_S6_PKS5_PS5_NS0_8identityIS5_EEEE10hipError_tT2_T3_mT4_P12ihipStream_tbEUlT_E_NS1_11comp_targetILNS1_3genE5ELNS1_11target_archE942ELNS1_3gpuE9ELNS1_3repE0EEENS1_30default_config_static_selectorELNS0_4arch9wavefront6targetE0EEEvT1_.num_agpr, 0
	.set _ZN7rocprim17ROCPRIM_400000_NS6detail17trampoline_kernelINS0_14default_configENS1_25transform_config_selectorI6__halfLb1EEEZNS1_14transform_implILb1ES3_S6_PKS5_PS5_NS0_8identityIS5_EEEE10hipError_tT2_T3_mT4_P12ihipStream_tbEUlT_E_NS1_11comp_targetILNS1_3genE5ELNS1_11target_archE942ELNS1_3gpuE9ELNS1_3repE0EEENS1_30default_config_static_selectorELNS0_4arch9wavefront6targetE0EEEvT1_.numbered_sgpr, 0
	.set _ZN7rocprim17ROCPRIM_400000_NS6detail17trampoline_kernelINS0_14default_configENS1_25transform_config_selectorI6__halfLb1EEEZNS1_14transform_implILb1ES3_S6_PKS5_PS5_NS0_8identityIS5_EEEE10hipError_tT2_T3_mT4_P12ihipStream_tbEUlT_E_NS1_11comp_targetILNS1_3genE5ELNS1_11target_archE942ELNS1_3gpuE9ELNS1_3repE0EEENS1_30default_config_static_selectorELNS0_4arch9wavefront6targetE0EEEvT1_.num_named_barrier, 0
	.set _ZN7rocprim17ROCPRIM_400000_NS6detail17trampoline_kernelINS0_14default_configENS1_25transform_config_selectorI6__halfLb1EEEZNS1_14transform_implILb1ES3_S6_PKS5_PS5_NS0_8identityIS5_EEEE10hipError_tT2_T3_mT4_P12ihipStream_tbEUlT_E_NS1_11comp_targetILNS1_3genE5ELNS1_11target_archE942ELNS1_3gpuE9ELNS1_3repE0EEENS1_30default_config_static_selectorELNS0_4arch9wavefront6targetE0EEEvT1_.private_seg_size, 0
	.set _ZN7rocprim17ROCPRIM_400000_NS6detail17trampoline_kernelINS0_14default_configENS1_25transform_config_selectorI6__halfLb1EEEZNS1_14transform_implILb1ES3_S6_PKS5_PS5_NS0_8identityIS5_EEEE10hipError_tT2_T3_mT4_P12ihipStream_tbEUlT_E_NS1_11comp_targetILNS1_3genE5ELNS1_11target_archE942ELNS1_3gpuE9ELNS1_3repE0EEENS1_30default_config_static_selectorELNS0_4arch9wavefront6targetE0EEEvT1_.uses_vcc, 0
	.set _ZN7rocprim17ROCPRIM_400000_NS6detail17trampoline_kernelINS0_14default_configENS1_25transform_config_selectorI6__halfLb1EEEZNS1_14transform_implILb1ES3_S6_PKS5_PS5_NS0_8identityIS5_EEEE10hipError_tT2_T3_mT4_P12ihipStream_tbEUlT_E_NS1_11comp_targetILNS1_3genE5ELNS1_11target_archE942ELNS1_3gpuE9ELNS1_3repE0EEENS1_30default_config_static_selectorELNS0_4arch9wavefront6targetE0EEEvT1_.uses_flat_scratch, 0
	.set _ZN7rocprim17ROCPRIM_400000_NS6detail17trampoline_kernelINS0_14default_configENS1_25transform_config_selectorI6__halfLb1EEEZNS1_14transform_implILb1ES3_S6_PKS5_PS5_NS0_8identityIS5_EEEE10hipError_tT2_T3_mT4_P12ihipStream_tbEUlT_E_NS1_11comp_targetILNS1_3genE5ELNS1_11target_archE942ELNS1_3gpuE9ELNS1_3repE0EEENS1_30default_config_static_selectorELNS0_4arch9wavefront6targetE0EEEvT1_.has_dyn_sized_stack, 0
	.set _ZN7rocprim17ROCPRIM_400000_NS6detail17trampoline_kernelINS0_14default_configENS1_25transform_config_selectorI6__halfLb1EEEZNS1_14transform_implILb1ES3_S6_PKS5_PS5_NS0_8identityIS5_EEEE10hipError_tT2_T3_mT4_P12ihipStream_tbEUlT_E_NS1_11comp_targetILNS1_3genE5ELNS1_11target_archE942ELNS1_3gpuE9ELNS1_3repE0EEENS1_30default_config_static_selectorELNS0_4arch9wavefront6targetE0EEEvT1_.has_recursion, 0
	.set _ZN7rocprim17ROCPRIM_400000_NS6detail17trampoline_kernelINS0_14default_configENS1_25transform_config_selectorI6__halfLb1EEEZNS1_14transform_implILb1ES3_S6_PKS5_PS5_NS0_8identityIS5_EEEE10hipError_tT2_T3_mT4_P12ihipStream_tbEUlT_E_NS1_11comp_targetILNS1_3genE5ELNS1_11target_archE942ELNS1_3gpuE9ELNS1_3repE0EEENS1_30default_config_static_selectorELNS0_4arch9wavefront6targetE0EEEvT1_.has_indirect_call, 0
	.section	.AMDGPU.csdata,"",@progbits
; Kernel info:
; codeLenInByte = 0
; TotalNumSgprs: 0
; NumVgprs: 0
; ScratchSize: 0
; MemoryBound: 0
; FloatMode: 240
; IeeeMode: 1
; LDSByteSize: 0 bytes/workgroup (compile time only)
; SGPRBlocks: 0
; VGPRBlocks: 0
; NumSGPRsForWavesPerEU: 1
; NumVGPRsForWavesPerEU: 1
; NamedBarCnt: 0
; Occupancy: 16
; WaveLimiterHint : 0
; COMPUTE_PGM_RSRC2:SCRATCH_EN: 0
; COMPUTE_PGM_RSRC2:USER_SGPR: 2
; COMPUTE_PGM_RSRC2:TRAP_HANDLER: 0
; COMPUTE_PGM_RSRC2:TGID_X_EN: 1
; COMPUTE_PGM_RSRC2:TGID_Y_EN: 0
; COMPUTE_PGM_RSRC2:TGID_Z_EN: 0
; COMPUTE_PGM_RSRC2:TIDIG_COMP_CNT: 0
	.section	.text._ZN7rocprim17ROCPRIM_400000_NS6detail17trampoline_kernelINS0_14default_configENS1_25transform_config_selectorI6__halfLb1EEEZNS1_14transform_implILb1ES3_S6_PKS5_PS5_NS0_8identityIS5_EEEE10hipError_tT2_T3_mT4_P12ihipStream_tbEUlT_E_NS1_11comp_targetILNS1_3genE4ELNS1_11target_archE910ELNS1_3gpuE8ELNS1_3repE0EEENS1_30default_config_static_selectorELNS0_4arch9wavefront6targetE0EEEvT1_,"axG",@progbits,_ZN7rocprim17ROCPRIM_400000_NS6detail17trampoline_kernelINS0_14default_configENS1_25transform_config_selectorI6__halfLb1EEEZNS1_14transform_implILb1ES3_S6_PKS5_PS5_NS0_8identityIS5_EEEE10hipError_tT2_T3_mT4_P12ihipStream_tbEUlT_E_NS1_11comp_targetILNS1_3genE4ELNS1_11target_archE910ELNS1_3gpuE8ELNS1_3repE0EEENS1_30default_config_static_selectorELNS0_4arch9wavefront6targetE0EEEvT1_,comdat
	.protected	_ZN7rocprim17ROCPRIM_400000_NS6detail17trampoline_kernelINS0_14default_configENS1_25transform_config_selectorI6__halfLb1EEEZNS1_14transform_implILb1ES3_S6_PKS5_PS5_NS0_8identityIS5_EEEE10hipError_tT2_T3_mT4_P12ihipStream_tbEUlT_E_NS1_11comp_targetILNS1_3genE4ELNS1_11target_archE910ELNS1_3gpuE8ELNS1_3repE0EEENS1_30default_config_static_selectorELNS0_4arch9wavefront6targetE0EEEvT1_ ; -- Begin function _ZN7rocprim17ROCPRIM_400000_NS6detail17trampoline_kernelINS0_14default_configENS1_25transform_config_selectorI6__halfLb1EEEZNS1_14transform_implILb1ES3_S6_PKS5_PS5_NS0_8identityIS5_EEEE10hipError_tT2_T3_mT4_P12ihipStream_tbEUlT_E_NS1_11comp_targetILNS1_3genE4ELNS1_11target_archE910ELNS1_3gpuE8ELNS1_3repE0EEENS1_30default_config_static_selectorELNS0_4arch9wavefront6targetE0EEEvT1_
	.globl	_ZN7rocprim17ROCPRIM_400000_NS6detail17trampoline_kernelINS0_14default_configENS1_25transform_config_selectorI6__halfLb1EEEZNS1_14transform_implILb1ES3_S6_PKS5_PS5_NS0_8identityIS5_EEEE10hipError_tT2_T3_mT4_P12ihipStream_tbEUlT_E_NS1_11comp_targetILNS1_3genE4ELNS1_11target_archE910ELNS1_3gpuE8ELNS1_3repE0EEENS1_30default_config_static_selectorELNS0_4arch9wavefront6targetE0EEEvT1_
	.p2align	8
	.type	_ZN7rocprim17ROCPRIM_400000_NS6detail17trampoline_kernelINS0_14default_configENS1_25transform_config_selectorI6__halfLb1EEEZNS1_14transform_implILb1ES3_S6_PKS5_PS5_NS0_8identityIS5_EEEE10hipError_tT2_T3_mT4_P12ihipStream_tbEUlT_E_NS1_11comp_targetILNS1_3genE4ELNS1_11target_archE910ELNS1_3gpuE8ELNS1_3repE0EEENS1_30default_config_static_selectorELNS0_4arch9wavefront6targetE0EEEvT1_,@function
_ZN7rocprim17ROCPRIM_400000_NS6detail17trampoline_kernelINS0_14default_configENS1_25transform_config_selectorI6__halfLb1EEEZNS1_14transform_implILb1ES3_S6_PKS5_PS5_NS0_8identityIS5_EEEE10hipError_tT2_T3_mT4_P12ihipStream_tbEUlT_E_NS1_11comp_targetILNS1_3genE4ELNS1_11target_archE910ELNS1_3gpuE8ELNS1_3repE0EEENS1_30default_config_static_selectorELNS0_4arch9wavefront6targetE0EEEvT1_: ; @_ZN7rocprim17ROCPRIM_400000_NS6detail17trampoline_kernelINS0_14default_configENS1_25transform_config_selectorI6__halfLb1EEEZNS1_14transform_implILb1ES3_S6_PKS5_PS5_NS0_8identityIS5_EEEE10hipError_tT2_T3_mT4_P12ihipStream_tbEUlT_E_NS1_11comp_targetILNS1_3genE4ELNS1_11target_archE910ELNS1_3gpuE8ELNS1_3repE0EEENS1_30default_config_static_selectorELNS0_4arch9wavefront6targetE0EEEvT1_
; %bb.0:
	.section	.rodata,"a",@progbits
	.p2align	6, 0x0
	.amdhsa_kernel _ZN7rocprim17ROCPRIM_400000_NS6detail17trampoline_kernelINS0_14default_configENS1_25transform_config_selectorI6__halfLb1EEEZNS1_14transform_implILb1ES3_S6_PKS5_PS5_NS0_8identityIS5_EEEE10hipError_tT2_T3_mT4_P12ihipStream_tbEUlT_E_NS1_11comp_targetILNS1_3genE4ELNS1_11target_archE910ELNS1_3gpuE8ELNS1_3repE0EEENS1_30default_config_static_selectorELNS0_4arch9wavefront6targetE0EEEvT1_
		.amdhsa_group_segment_fixed_size 0
		.amdhsa_private_segment_fixed_size 0
		.amdhsa_kernarg_size 40
		.amdhsa_user_sgpr_count 2
		.amdhsa_user_sgpr_dispatch_ptr 0
		.amdhsa_user_sgpr_queue_ptr 0
		.amdhsa_user_sgpr_kernarg_segment_ptr 1
		.amdhsa_user_sgpr_dispatch_id 0
		.amdhsa_user_sgpr_kernarg_preload_length 0
		.amdhsa_user_sgpr_kernarg_preload_offset 0
		.amdhsa_user_sgpr_private_segment_size 0
		.amdhsa_wavefront_size32 1
		.amdhsa_uses_dynamic_stack 0
		.amdhsa_enable_private_segment 0
		.amdhsa_system_sgpr_workgroup_id_x 1
		.amdhsa_system_sgpr_workgroup_id_y 0
		.amdhsa_system_sgpr_workgroup_id_z 0
		.amdhsa_system_sgpr_workgroup_info 0
		.amdhsa_system_vgpr_workitem_id 0
		.amdhsa_next_free_vgpr 1
		.amdhsa_next_free_sgpr 1
		.amdhsa_named_barrier_count 0
		.amdhsa_reserve_vcc 0
		.amdhsa_float_round_mode_32 0
		.amdhsa_float_round_mode_16_64 0
		.amdhsa_float_denorm_mode_32 3
		.amdhsa_float_denorm_mode_16_64 3
		.amdhsa_fp16_overflow 0
		.amdhsa_memory_ordered 1
		.amdhsa_forward_progress 1
		.amdhsa_inst_pref_size 0
		.amdhsa_round_robin_scheduling 0
		.amdhsa_exception_fp_ieee_invalid_op 0
		.amdhsa_exception_fp_denorm_src 0
		.amdhsa_exception_fp_ieee_div_zero 0
		.amdhsa_exception_fp_ieee_overflow 0
		.amdhsa_exception_fp_ieee_underflow 0
		.amdhsa_exception_fp_ieee_inexact 0
		.amdhsa_exception_int_div_zero 0
	.end_amdhsa_kernel
	.section	.text._ZN7rocprim17ROCPRIM_400000_NS6detail17trampoline_kernelINS0_14default_configENS1_25transform_config_selectorI6__halfLb1EEEZNS1_14transform_implILb1ES3_S6_PKS5_PS5_NS0_8identityIS5_EEEE10hipError_tT2_T3_mT4_P12ihipStream_tbEUlT_E_NS1_11comp_targetILNS1_3genE4ELNS1_11target_archE910ELNS1_3gpuE8ELNS1_3repE0EEENS1_30default_config_static_selectorELNS0_4arch9wavefront6targetE0EEEvT1_,"axG",@progbits,_ZN7rocprim17ROCPRIM_400000_NS6detail17trampoline_kernelINS0_14default_configENS1_25transform_config_selectorI6__halfLb1EEEZNS1_14transform_implILb1ES3_S6_PKS5_PS5_NS0_8identityIS5_EEEE10hipError_tT2_T3_mT4_P12ihipStream_tbEUlT_E_NS1_11comp_targetILNS1_3genE4ELNS1_11target_archE910ELNS1_3gpuE8ELNS1_3repE0EEENS1_30default_config_static_selectorELNS0_4arch9wavefront6targetE0EEEvT1_,comdat
.Lfunc_end2158:
	.size	_ZN7rocprim17ROCPRIM_400000_NS6detail17trampoline_kernelINS0_14default_configENS1_25transform_config_selectorI6__halfLb1EEEZNS1_14transform_implILb1ES3_S6_PKS5_PS5_NS0_8identityIS5_EEEE10hipError_tT2_T3_mT4_P12ihipStream_tbEUlT_E_NS1_11comp_targetILNS1_3genE4ELNS1_11target_archE910ELNS1_3gpuE8ELNS1_3repE0EEENS1_30default_config_static_selectorELNS0_4arch9wavefront6targetE0EEEvT1_, .Lfunc_end2158-_ZN7rocprim17ROCPRIM_400000_NS6detail17trampoline_kernelINS0_14default_configENS1_25transform_config_selectorI6__halfLb1EEEZNS1_14transform_implILb1ES3_S6_PKS5_PS5_NS0_8identityIS5_EEEE10hipError_tT2_T3_mT4_P12ihipStream_tbEUlT_E_NS1_11comp_targetILNS1_3genE4ELNS1_11target_archE910ELNS1_3gpuE8ELNS1_3repE0EEENS1_30default_config_static_selectorELNS0_4arch9wavefront6targetE0EEEvT1_
                                        ; -- End function
	.set _ZN7rocprim17ROCPRIM_400000_NS6detail17trampoline_kernelINS0_14default_configENS1_25transform_config_selectorI6__halfLb1EEEZNS1_14transform_implILb1ES3_S6_PKS5_PS5_NS0_8identityIS5_EEEE10hipError_tT2_T3_mT4_P12ihipStream_tbEUlT_E_NS1_11comp_targetILNS1_3genE4ELNS1_11target_archE910ELNS1_3gpuE8ELNS1_3repE0EEENS1_30default_config_static_selectorELNS0_4arch9wavefront6targetE0EEEvT1_.num_vgpr, 0
	.set _ZN7rocprim17ROCPRIM_400000_NS6detail17trampoline_kernelINS0_14default_configENS1_25transform_config_selectorI6__halfLb1EEEZNS1_14transform_implILb1ES3_S6_PKS5_PS5_NS0_8identityIS5_EEEE10hipError_tT2_T3_mT4_P12ihipStream_tbEUlT_E_NS1_11comp_targetILNS1_3genE4ELNS1_11target_archE910ELNS1_3gpuE8ELNS1_3repE0EEENS1_30default_config_static_selectorELNS0_4arch9wavefront6targetE0EEEvT1_.num_agpr, 0
	.set _ZN7rocprim17ROCPRIM_400000_NS6detail17trampoline_kernelINS0_14default_configENS1_25transform_config_selectorI6__halfLb1EEEZNS1_14transform_implILb1ES3_S6_PKS5_PS5_NS0_8identityIS5_EEEE10hipError_tT2_T3_mT4_P12ihipStream_tbEUlT_E_NS1_11comp_targetILNS1_3genE4ELNS1_11target_archE910ELNS1_3gpuE8ELNS1_3repE0EEENS1_30default_config_static_selectorELNS0_4arch9wavefront6targetE0EEEvT1_.numbered_sgpr, 0
	.set _ZN7rocprim17ROCPRIM_400000_NS6detail17trampoline_kernelINS0_14default_configENS1_25transform_config_selectorI6__halfLb1EEEZNS1_14transform_implILb1ES3_S6_PKS5_PS5_NS0_8identityIS5_EEEE10hipError_tT2_T3_mT4_P12ihipStream_tbEUlT_E_NS1_11comp_targetILNS1_3genE4ELNS1_11target_archE910ELNS1_3gpuE8ELNS1_3repE0EEENS1_30default_config_static_selectorELNS0_4arch9wavefront6targetE0EEEvT1_.num_named_barrier, 0
	.set _ZN7rocprim17ROCPRIM_400000_NS6detail17trampoline_kernelINS0_14default_configENS1_25transform_config_selectorI6__halfLb1EEEZNS1_14transform_implILb1ES3_S6_PKS5_PS5_NS0_8identityIS5_EEEE10hipError_tT2_T3_mT4_P12ihipStream_tbEUlT_E_NS1_11comp_targetILNS1_3genE4ELNS1_11target_archE910ELNS1_3gpuE8ELNS1_3repE0EEENS1_30default_config_static_selectorELNS0_4arch9wavefront6targetE0EEEvT1_.private_seg_size, 0
	.set _ZN7rocprim17ROCPRIM_400000_NS6detail17trampoline_kernelINS0_14default_configENS1_25transform_config_selectorI6__halfLb1EEEZNS1_14transform_implILb1ES3_S6_PKS5_PS5_NS0_8identityIS5_EEEE10hipError_tT2_T3_mT4_P12ihipStream_tbEUlT_E_NS1_11comp_targetILNS1_3genE4ELNS1_11target_archE910ELNS1_3gpuE8ELNS1_3repE0EEENS1_30default_config_static_selectorELNS0_4arch9wavefront6targetE0EEEvT1_.uses_vcc, 0
	.set _ZN7rocprim17ROCPRIM_400000_NS6detail17trampoline_kernelINS0_14default_configENS1_25transform_config_selectorI6__halfLb1EEEZNS1_14transform_implILb1ES3_S6_PKS5_PS5_NS0_8identityIS5_EEEE10hipError_tT2_T3_mT4_P12ihipStream_tbEUlT_E_NS1_11comp_targetILNS1_3genE4ELNS1_11target_archE910ELNS1_3gpuE8ELNS1_3repE0EEENS1_30default_config_static_selectorELNS0_4arch9wavefront6targetE0EEEvT1_.uses_flat_scratch, 0
	.set _ZN7rocprim17ROCPRIM_400000_NS6detail17trampoline_kernelINS0_14default_configENS1_25transform_config_selectorI6__halfLb1EEEZNS1_14transform_implILb1ES3_S6_PKS5_PS5_NS0_8identityIS5_EEEE10hipError_tT2_T3_mT4_P12ihipStream_tbEUlT_E_NS1_11comp_targetILNS1_3genE4ELNS1_11target_archE910ELNS1_3gpuE8ELNS1_3repE0EEENS1_30default_config_static_selectorELNS0_4arch9wavefront6targetE0EEEvT1_.has_dyn_sized_stack, 0
	.set _ZN7rocprim17ROCPRIM_400000_NS6detail17trampoline_kernelINS0_14default_configENS1_25transform_config_selectorI6__halfLb1EEEZNS1_14transform_implILb1ES3_S6_PKS5_PS5_NS0_8identityIS5_EEEE10hipError_tT2_T3_mT4_P12ihipStream_tbEUlT_E_NS1_11comp_targetILNS1_3genE4ELNS1_11target_archE910ELNS1_3gpuE8ELNS1_3repE0EEENS1_30default_config_static_selectorELNS0_4arch9wavefront6targetE0EEEvT1_.has_recursion, 0
	.set _ZN7rocprim17ROCPRIM_400000_NS6detail17trampoline_kernelINS0_14default_configENS1_25transform_config_selectorI6__halfLb1EEEZNS1_14transform_implILb1ES3_S6_PKS5_PS5_NS0_8identityIS5_EEEE10hipError_tT2_T3_mT4_P12ihipStream_tbEUlT_E_NS1_11comp_targetILNS1_3genE4ELNS1_11target_archE910ELNS1_3gpuE8ELNS1_3repE0EEENS1_30default_config_static_selectorELNS0_4arch9wavefront6targetE0EEEvT1_.has_indirect_call, 0
	.section	.AMDGPU.csdata,"",@progbits
; Kernel info:
; codeLenInByte = 0
; TotalNumSgprs: 0
; NumVgprs: 0
; ScratchSize: 0
; MemoryBound: 0
; FloatMode: 240
; IeeeMode: 1
; LDSByteSize: 0 bytes/workgroup (compile time only)
; SGPRBlocks: 0
; VGPRBlocks: 0
; NumSGPRsForWavesPerEU: 1
; NumVGPRsForWavesPerEU: 1
; NamedBarCnt: 0
; Occupancy: 16
; WaveLimiterHint : 0
; COMPUTE_PGM_RSRC2:SCRATCH_EN: 0
; COMPUTE_PGM_RSRC2:USER_SGPR: 2
; COMPUTE_PGM_RSRC2:TRAP_HANDLER: 0
; COMPUTE_PGM_RSRC2:TGID_X_EN: 1
; COMPUTE_PGM_RSRC2:TGID_Y_EN: 0
; COMPUTE_PGM_RSRC2:TGID_Z_EN: 0
; COMPUTE_PGM_RSRC2:TIDIG_COMP_CNT: 0
	.section	.text._ZN7rocprim17ROCPRIM_400000_NS6detail17trampoline_kernelINS0_14default_configENS1_25transform_config_selectorI6__halfLb1EEEZNS1_14transform_implILb1ES3_S6_PKS5_PS5_NS0_8identityIS5_EEEE10hipError_tT2_T3_mT4_P12ihipStream_tbEUlT_E_NS1_11comp_targetILNS1_3genE3ELNS1_11target_archE908ELNS1_3gpuE7ELNS1_3repE0EEENS1_30default_config_static_selectorELNS0_4arch9wavefront6targetE0EEEvT1_,"axG",@progbits,_ZN7rocprim17ROCPRIM_400000_NS6detail17trampoline_kernelINS0_14default_configENS1_25transform_config_selectorI6__halfLb1EEEZNS1_14transform_implILb1ES3_S6_PKS5_PS5_NS0_8identityIS5_EEEE10hipError_tT2_T3_mT4_P12ihipStream_tbEUlT_E_NS1_11comp_targetILNS1_3genE3ELNS1_11target_archE908ELNS1_3gpuE7ELNS1_3repE0EEENS1_30default_config_static_selectorELNS0_4arch9wavefront6targetE0EEEvT1_,comdat
	.protected	_ZN7rocprim17ROCPRIM_400000_NS6detail17trampoline_kernelINS0_14default_configENS1_25transform_config_selectorI6__halfLb1EEEZNS1_14transform_implILb1ES3_S6_PKS5_PS5_NS0_8identityIS5_EEEE10hipError_tT2_T3_mT4_P12ihipStream_tbEUlT_E_NS1_11comp_targetILNS1_3genE3ELNS1_11target_archE908ELNS1_3gpuE7ELNS1_3repE0EEENS1_30default_config_static_selectorELNS0_4arch9wavefront6targetE0EEEvT1_ ; -- Begin function _ZN7rocprim17ROCPRIM_400000_NS6detail17trampoline_kernelINS0_14default_configENS1_25transform_config_selectorI6__halfLb1EEEZNS1_14transform_implILb1ES3_S6_PKS5_PS5_NS0_8identityIS5_EEEE10hipError_tT2_T3_mT4_P12ihipStream_tbEUlT_E_NS1_11comp_targetILNS1_3genE3ELNS1_11target_archE908ELNS1_3gpuE7ELNS1_3repE0EEENS1_30default_config_static_selectorELNS0_4arch9wavefront6targetE0EEEvT1_
	.globl	_ZN7rocprim17ROCPRIM_400000_NS6detail17trampoline_kernelINS0_14default_configENS1_25transform_config_selectorI6__halfLb1EEEZNS1_14transform_implILb1ES3_S6_PKS5_PS5_NS0_8identityIS5_EEEE10hipError_tT2_T3_mT4_P12ihipStream_tbEUlT_E_NS1_11comp_targetILNS1_3genE3ELNS1_11target_archE908ELNS1_3gpuE7ELNS1_3repE0EEENS1_30default_config_static_selectorELNS0_4arch9wavefront6targetE0EEEvT1_
	.p2align	8
	.type	_ZN7rocprim17ROCPRIM_400000_NS6detail17trampoline_kernelINS0_14default_configENS1_25transform_config_selectorI6__halfLb1EEEZNS1_14transform_implILb1ES3_S6_PKS5_PS5_NS0_8identityIS5_EEEE10hipError_tT2_T3_mT4_P12ihipStream_tbEUlT_E_NS1_11comp_targetILNS1_3genE3ELNS1_11target_archE908ELNS1_3gpuE7ELNS1_3repE0EEENS1_30default_config_static_selectorELNS0_4arch9wavefront6targetE0EEEvT1_,@function
_ZN7rocprim17ROCPRIM_400000_NS6detail17trampoline_kernelINS0_14default_configENS1_25transform_config_selectorI6__halfLb1EEEZNS1_14transform_implILb1ES3_S6_PKS5_PS5_NS0_8identityIS5_EEEE10hipError_tT2_T3_mT4_P12ihipStream_tbEUlT_E_NS1_11comp_targetILNS1_3genE3ELNS1_11target_archE908ELNS1_3gpuE7ELNS1_3repE0EEENS1_30default_config_static_selectorELNS0_4arch9wavefront6targetE0EEEvT1_: ; @_ZN7rocprim17ROCPRIM_400000_NS6detail17trampoline_kernelINS0_14default_configENS1_25transform_config_selectorI6__halfLb1EEEZNS1_14transform_implILb1ES3_S6_PKS5_PS5_NS0_8identityIS5_EEEE10hipError_tT2_T3_mT4_P12ihipStream_tbEUlT_E_NS1_11comp_targetILNS1_3genE3ELNS1_11target_archE908ELNS1_3gpuE7ELNS1_3repE0EEENS1_30default_config_static_selectorELNS0_4arch9wavefront6targetE0EEEvT1_
; %bb.0:
	.section	.rodata,"a",@progbits
	.p2align	6, 0x0
	.amdhsa_kernel _ZN7rocprim17ROCPRIM_400000_NS6detail17trampoline_kernelINS0_14default_configENS1_25transform_config_selectorI6__halfLb1EEEZNS1_14transform_implILb1ES3_S6_PKS5_PS5_NS0_8identityIS5_EEEE10hipError_tT2_T3_mT4_P12ihipStream_tbEUlT_E_NS1_11comp_targetILNS1_3genE3ELNS1_11target_archE908ELNS1_3gpuE7ELNS1_3repE0EEENS1_30default_config_static_selectorELNS0_4arch9wavefront6targetE0EEEvT1_
		.amdhsa_group_segment_fixed_size 0
		.amdhsa_private_segment_fixed_size 0
		.amdhsa_kernarg_size 40
		.amdhsa_user_sgpr_count 2
		.amdhsa_user_sgpr_dispatch_ptr 0
		.amdhsa_user_sgpr_queue_ptr 0
		.amdhsa_user_sgpr_kernarg_segment_ptr 1
		.amdhsa_user_sgpr_dispatch_id 0
		.amdhsa_user_sgpr_kernarg_preload_length 0
		.amdhsa_user_sgpr_kernarg_preload_offset 0
		.amdhsa_user_sgpr_private_segment_size 0
		.amdhsa_wavefront_size32 1
		.amdhsa_uses_dynamic_stack 0
		.amdhsa_enable_private_segment 0
		.amdhsa_system_sgpr_workgroup_id_x 1
		.amdhsa_system_sgpr_workgroup_id_y 0
		.amdhsa_system_sgpr_workgroup_id_z 0
		.amdhsa_system_sgpr_workgroup_info 0
		.amdhsa_system_vgpr_workitem_id 0
		.amdhsa_next_free_vgpr 1
		.amdhsa_next_free_sgpr 1
		.amdhsa_named_barrier_count 0
		.amdhsa_reserve_vcc 0
		.amdhsa_float_round_mode_32 0
		.amdhsa_float_round_mode_16_64 0
		.amdhsa_float_denorm_mode_32 3
		.amdhsa_float_denorm_mode_16_64 3
		.amdhsa_fp16_overflow 0
		.amdhsa_memory_ordered 1
		.amdhsa_forward_progress 1
		.amdhsa_inst_pref_size 0
		.amdhsa_round_robin_scheduling 0
		.amdhsa_exception_fp_ieee_invalid_op 0
		.amdhsa_exception_fp_denorm_src 0
		.amdhsa_exception_fp_ieee_div_zero 0
		.amdhsa_exception_fp_ieee_overflow 0
		.amdhsa_exception_fp_ieee_underflow 0
		.amdhsa_exception_fp_ieee_inexact 0
		.amdhsa_exception_int_div_zero 0
	.end_amdhsa_kernel
	.section	.text._ZN7rocprim17ROCPRIM_400000_NS6detail17trampoline_kernelINS0_14default_configENS1_25transform_config_selectorI6__halfLb1EEEZNS1_14transform_implILb1ES3_S6_PKS5_PS5_NS0_8identityIS5_EEEE10hipError_tT2_T3_mT4_P12ihipStream_tbEUlT_E_NS1_11comp_targetILNS1_3genE3ELNS1_11target_archE908ELNS1_3gpuE7ELNS1_3repE0EEENS1_30default_config_static_selectorELNS0_4arch9wavefront6targetE0EEEvT1_,"axG",@progbits,_ZN7rocprim17ROCPRIM_400000_NS6detail17trampoline_kernelINS0_14default_configENS1_25transform_config_selectorI6__halfLb1EEEZNS1_14transform_implILb1ES3_S6_PKS5_PS5_NS0_8identityIS5_EEEE10hipError_tT2_T3_mT4_P12ihipStream_tbEUlT_E_NS1_11comp_targetILNS1_3genE3ELNS1_11target_archE908ELNS1_3gpuE7ELNS1_3repE0EEENS1_30default_config_static_selectorELNS0_4arch9wavefront6targetE0EEEvT1_,comdat
.Lfunc_end2159:
	.size	_ZN7rocprim17ROCPRIM_400000_NS6detail17trampoline_kernelINS0_14default_configENS1_25transform_config_selectorI6__halfLb1EEEZNS1_14transform_implILb1ES3_S6_PKS5_PS5_NS0_8identityIS5_EEEE10hipError_tT2_T3_mT4_P12ihipStream_tbEUlT_E_NS1_11comp_targetILNS1_3genE3ELNS1_11target_archE908ELNS1_3gpuE7ELNS1_3repE0EEENS1_30default_config_static_selectorELNS0_4arch9wavefront6targetE0EEEvT1_, .Lfunc_end2159-_ZN7rocprim17ROCPRIM_400000_NS6detail17trampoline_kernelINS0_14default_configENS1_25transform_config_selectorI6__halfLb1EEEZNS1_14transform_implILb1ES3_S6_PKS5_PS5_NS0_8identityIS5_EEEE10hipError_tT2_T3_mT4_P12ihipStream_tbEUlT_E_NS1_11comp_targetILNS1_3genE3ELNS1_11target_archE908ELNS1_3gpuE7ELNS1_3repE0EEENS1_30default_config_static_selectorELNS0_4arch9wavefront6targetE0EEEvT1_
                                        ; -- End function
	.set _ZN7rocprim17ROCPRIM_400000_NS6detail17trampoline_kernelINS0_14default_configENS1_25transform_config_selectorI6__halfLb1EEEZNS1_14transform_implILb1ES3_S6_PKS5_PS5_NS0_8identityIS5_EEEE10hipError_tT2_T3_mT4_P12ihipStream_tbEUlT_E_NS1_11comp_targetILNS1_3genE3ELNS1_11target_archE908ELNS1_3gpuE7ELNS1_3repE0EEENS1_30default_config_static_selectorELNS0_4arch9wavefront6targetE0EEEvT1_.num_vgpr, 0
	.set _ZN7rocprim17ROCPRIM_400000_NS6detail17trampoline_kernelINS0_14default_configENS1_25transform_config_selectorI6__halfLb1EEEZNS1_14transform_implILb1ES3_S6_PKS5_PS5_NS0_8identityIS5_EEEE10hipError_tT2_T3_mT4_P12ihipStream_tbEUlT_E_NS1_11comp_targetILNS1_3genE3ELNS1_11target_archE908ELNS1_3gpuE7ELNS1_3repE0EEENS1_30default_config_static_selectorELNS0_4arch9wavefront6targetE0EEEvT1_.num_agpr, 0
	.set _ZN7rocprim17ROCPRIM_400000_NS6detail17trampoline_kernelINS0_14default_configENS1_25transform_config_selectorI6__halfLb1EEEZNS1_14transform_implILb1ES3_S6_PKS5_PS5_NS0_8identityIS5_EEEE10hipError_tT2_T3_mT4_P12ihipStream_tbEUlT_E_NS1_11comp_targetILNS1_3genE3ELNS1_11target_archE908ELNS1_3gpuE7ELNS1_3repE0EEENS1_30default_config_static_selectorELNS0_4arch9wavefront6targetE0EEEvT1_.numbered_sgpr, 0
	.set _ZN7rocprim17ROCPRIM_400000_NS6detail17trampoline_kernelINS0_14default_configENS1_25transform_config_selectorI6__halfLb1EEEZNS1_14transform_implILb1ES3_S6_PKS5_PS5_NS0_8identityIS5_EEEE10hipError_tT2_T3_mT4_P12ihipStream_tbEUlT_E_NS1_11comp_targetILNS1_3genE3ELNS1_11target_archE908ELNS1_3gpuE7ELNS1_3repE0EEENS1_30default_config_static_selectorELNS0_4arch9wavefront6targetE0EEEvT1_.num_named_barrier, 0
	.set _ZN7rocprim17ROCPRIM_400000_NS6detail17trampoline_kernelINS0_14default_configENS1_25transform_config_selectorI6__halfLb1EEEZNS1_14transform_implILb1ES3_S6_PKS5_PS5_NS0_8identityIS5_EEEE10hipError_tT2_T3_mT4_P12ihipStream_tbEUlT_E_NS1_11comp_targetILNS1_3genE3ELNS1_11target_archE908ELNS1_3gpuE7ELNS1_3repE0EEENS1_30default_config_static_selectorELNS0_4arch9wavefront6targetE0EEEvT1_.private_seg_size, 0
	.set _ZN7rocprim17ROCPRIM_400000_NS6detail17trampoline_kernelINS0_14default_configENS1_25transform_config_selectorI6__halfLb1EEEZNS1_14transform_implILb1ES3_S6_PKS5_PS5_NS0_8identityIS5_EEEE10hipError_tT2_T3_mT4_P12ihipStream_tbEUlT_E_NS1_11comp_targetILNS1_3genE3ELNS1_11target_archE908ELNS1_3gpuE7ELNS1_3repE0EEENS1_30default_config_static_selectorELNS0_4arch9wavefront6targetE0EEEvT1_.uses_vcc, 0
	.set _ZN7rocprim17ROCPRIM_400000_NS6detail17trampoline_kernelINS0_14default_configENS1_25transform_config_selectorI6__halfLb1EEEZNS1_14transform_implILb1ES3_S6_PKS5_PS5_NS0_8identityIS5_EEEE10hipError_tT2_T3_mT4_P12ihipStream_tbEUlT_E_NS1_11comp_targetILNS1_3genE3ELNS1_11target_archE908ELNS1_3gpuE7ELNS1_3repE0EEENS1_30default_config_static_selectorELNS0_4arch9wavefront6targetE0EEEvT1_.uses_flat_scratch, 0
	.set _ZN7rocprim17ROCPRIM_400000_NS6detail17trampoline_kernelINS0_14default_configENS1_25transform_config_selectorI6__halfLb1EEEZNS1_14transform_implILb1ES3_S6_PKS5_PS5_NS0_8identityIS5_EEEE10hipError_tT2_T3_mT4_P12ihipStream_tbEUlT_E_NS1_11comp_targetILNS1_3genE3ELNS1_11target_archE908ELNS1_3gpuE7ELNS1_3repE0EEENS1_30default_config_static_selectorELNS0_4arch9wavefront6targetE0EEEvT1_.has_dyn_sized_stack, 0
	.set _ZN7rocprim17ROCPRIM_400000_NS6detail17trampoline_kernelINS0_14default_configENS1_25transform_config_selectorI6__halfLb1EEEZNS1_14transform_implILb1ES3_S6_PKS5_PS5_NS0_8identityIS5_EEEE10hipError_tT2_T3_mT4_P12ihipStream_tbEUlT_E_NS1_11comp_targetILNS1_3genE3ELNS1_11target_archE908ELNS1_3gpuE7ELNS1_3repE0EEENS1_30default_config_static_selectorELNS0_4arch9wavefront6targetE0EEEvT1_.has_recursion, 0
	.set _ZN7rocprim17ROCPRIM_400000_NS6detail17trampoline_kernelINS0_14default_configENS1_25transform_config_selectorI6__halfLb1EEEZNS1_14transform_implILb1ES3_S6_PKS5_PS5_NS0_8identityIS5_EEEE10hipError_tT2_T3_mT4_P12ihipStream_tbEUlT_E_NS1_11comp_targetILNS1_3genE3ELNS1_11target_archE908ELNS1_3gpuE7ELNS1_3repE0EEENS1_30default_config_static_selectorELNS0_4arch9wavefront6targetE0EEEvT1_.has_indirect_call, 0
	.section	.AMDGPU.csdata,"",@progbits
; Kernel info:
; codeLenInByte = 0
; TotalNumSgprs: 0
; NumVgprs: 0
; ScratchSize: 0
; MemoryBound: 0
; FloatMode: 240
; IeeeMode: 1
; LDSByteSize: 0 bytes/workgroup (compile time only)
; SGPRBlocks: 0
; VGPRBlocks: 0
; NumSGPRsForWavesPerEU: 1
; NumVGPRsForWavesPerEU: 1
; NamedBarCnt: 0
; Occupancy: 16
; WaveLimiterHint : 0
; COMPUTE_PGM_RSRC2:SCRATCH_EN: 0
; COMPUTE_PGM_RSRC2:USER_SGPR: 2
; COMPUTE_PGM_RSRC2:TRAP_HANDLER: 0
; COMPUTE_PGM_RSRC2:TGID_X_EN: 1
; COMPUTE_PGM_RSRC2:TGID_Y_EN: 0
; COMPUTE_PGM_RSRC2:TGID_Z_EN: 0
; COMPUTE_PGM_RSRC2:TIDIG_COMP_CNT: 0
	.section	.text._ZN7rocprim17ROCPRIM_400000_NS6detail17trampoline_kernelINS0_14default_configENS1_25transform_config_selectorI6__halfLb1EEEZNS1_14transform_implILb1ES3_S6_PKS5_PS5_NS0_8identityIS5_EEEE10hipError_tT2_T3_mT4_P12ihipStream_tbEUlT_E_NS1_11comp_targetILNS1_3genE2ELNS1_11target_archE906ELNS1_3gpuE6ELNS1_3repE0EEENS1_30default_config_static_selectorELNS0_4arch9wavefront6targetE0EEEvT1_,"axG",@progbits,_ZN7rocprim17ROCPRIM_400000_NS6detail17trampoline_kernelINS0_14default_configENS1_25transform_config_selectorI6__halfLb1EEEZNS1_14transform_implILb1ES3_S6_PKS5_PS5_NS0_8identityIS5_EEEE10hipError_tT2_T3_mT4_P12ihipStream_tbEUlT_E_NS1_11comp_targetILNS1_3genE2ELNS1_11target_archE906ELNS1_3gpuE6ELNS1_3repE0EEENS1_30default_config_static_selectorELNS0_4arch9wavefront6targetE0EEEvT1_,comdat
	.protected	_ZN7rocprim17ROCPRIM_400000_NS6detail17trampoline_kernelINS0_14default_configENS1_25transform_config_selectorI6__halfLb1EEEZNS1_14transform_implILb1ES3_S6_PKS5_PS5_NS0_8identityIS5_EEEE10hipError_tT2_T3_mT4_P12ihipStream_tbEUlT_E_NS1_11comp_targetILNS1_3genE2ELNS1_11target_archE906ELNS1_3gpuE6ELNS1_3repE0EEENS1_30default_config_static_selectorELNS0_4arch9wavefront6targetE0EEEvT1_ ; -- Begin function _ZN7rocprim17ROCPRIM_400000_NS6detail17trampoline_kernelINS0_14default_configENS1_25transform_config_selectorI6__halfLb1EEEZNS1_14transform_implILb1ES3_S6_PKS5_PS5_NS0_8identityIS5_EEEE10hipError_tT2_T3_mT4_P12ihipStream_tbEUlT_E_NS1_11comp_targetILNS1_3genE2ELNS1_11target_archE906ELNS1_3gpuE6ELNS1_3repE0EEENS1_30default_config_static_selectorELNS0_4arch9wavefront6targetE0EEEvT1_
	.globl	_ZN7rocprim17ROCPRIM_400000_NS6detail17trampoline_kernelINS0_14default_configENS1_25transform_config_selectorI6__halfLb1EEEZNS1_14transform_implILb1ES3_S6_PKS5_PS5_NS0_8identityIS5_EEEE10hipError_tT2_T3_mT4_P12ihipStream_tbEUlT_E_NS1_11comp_targetILNS1_3genE2ELNS1_11target_archE906ELNS1_3gpuE6ELNS1_3repE0EEENS1_30default_config_static_selectorELNS0_4arch9wavefront6targetE0EEEvT1_
	.p2align	8
	.type	_ZN7rocprim17ROCPRIM_400000_NS6detail17trampoline_kernelINS0_14default_configENS1_25transform_config_selectorI6__halfLb1EEEZNS1_14transform_implILb1ES3_S6_PKS5_PS5_NS0_8identityIS5_EEEE10hipError_tT2_T3_mT4_P12ihipStream_tbEUlT_E_NS1_11comp_targetILNS1_3genE2ELNS1_11target_archE906ELNS1_3gpuE6ELNS1_3repE0EEENS1_30default_config_static_selectorELNS0_4arch9wavefront6targetE0EEEvT1_,@function
_ZN7rocprim17ROCPRIM_400000_NS6detail17trampoline_kernelINS0_14default_configENS1_25transform_config_selectorI6__halfLb1EEEZNS1_14transform_implILb1ES3_S6_PKS5_PS5_NS0_8identityIS5_EEEE10hipError_tT2_T3_mT4_P12ihipStream_tbEUlT_E_NS1_11comp_targetILNS1_3genE2ELNS1_11target_archE906ELNS1_3gpuE6ELNS1_3repE0EEENS1_30default_config_static_selectorELNS0_4arch9wavefront6targetE0EEEvT1_: ; @_ZN7rocprim17ROCPRIM_400000_NS6detail17trampoline_kernelINS0_14default_configENS1_25transform_config_selectorI6__halfLb1EEEZNS1_14transform_implILb1ES3_S6_PKS5_PS5_NS0_8identityIS5_EEEE10hipError_tT2_T3_mT4_P12ihipStream_tbEUlT_E_NS1_11comp_targetILNS1_3genE2ELNS1_11target_archE906ELNS1_3gpuE6ELNS1_3repE0EEENS1_30default_config_static_selectorELNS0_4arch9wavefront6targetE0EEEvT1_
; %bb.0:
	.section	.rodata,"a",@progbits
	.p2align	6, 0x0
	.amdhsa_kernel _ZN7rocprim17ROCPRIM_400000_NS6detail17trampoline_kernelINS0_14default_configENS1_25transform_config_selectorI6__halfLb1EEEZNS1_14transform_implILb1ES3_S6_PKS5_PS5_NS0_8identityIS5_EEEE10hipError_tT2_T3_mT4_P12ihipStream_tbEUlT_E_NS1_11comp_targetILNS1_3genE2ELNS1_11target_archE906ELNS1_3gpuE6ELNS1_3repE0EEENS1_30default_config_static_selectorELNS0_4arch9wavefront6targetE0EEEvT1_
		.amdhsa_group_segment_fixed_size 0
		.amdhsa_private_segment_fixed_size 0
		.amdhsa_kernarg_size 40
		.amdhsa_user_sgpr_count 2
		.amdhsa_user_sgpr_dispatch_ptr 0
		.amdhsa_user_sgpr_queue_ptr 0
		.amdhsa_user_sgpr_kernarg_segment_ptr 1
		.amdhsa_user_sgpr_dispatch_id 0
		.amdhsa_user_sgpr_kernarg_preload_length 0
		.amdhsa_user_sgpr_kernarg_preload_offset 0
		.amdhsa_user_sgpr_private_segment_size 0
		.amdhsa_wavefront_size32 1
		.amdhsa_uses_dynamic_stack 0
		.amdhsa_enable_private_segment 0
		.amdhsa_system_sgpr_workgroup_id_x 1
		.amdhsa_system_sgpr_workgroup_id_y 0
		.amdhsa_system_sgpr_workgroup_id_z 0
		.amdhsa_system_sgpr_workgroup_info 0
		.amdhsa_system_vgpr_workitem_id 0
		.amdhsa_next_free_vgpr 1
		.amdhsa_next_free_sgpr 1
		.amdhsa_named_barrier_count 0
		.amdhsa_reserve_vcc 0
		.amdhsa_float_round_mode_32 0
		.amdhsa_float_round_mode_16_64 0
		.amdhsa_float_denorm_mode_32 3
		.amdhsa_float_denorm_mode_16_64 3
		.amdhsa_fp16_overflow 0
		.amdhsa_memory_ordered 1
		.amdhsa_forward_progress 1
		.amdhsa_inst_pref_size 0
		.amdhsa_round_robin_scheduling 0
		.amdhsa_exception_fp_ieee_invalid_op 0
		.amdhsa_exception_fp_denorm_src 0
		.amdhsa_exception_fp_ieee_div_zero 0
		.amdhsa_exception_fp_ieee_overflow 0
		.amdhsa_exception_fp_ieee_underflow 0
		.amdhsa_exception_fp_ieee_inexact 0
		.amdhsa_exception_int_div_zero 0
	.end_amdhsa_kernel
	.section	.text._ZN7rocprim17ROCPRIM_400000_NS6detail17trampoline_kernelINS0_14default_configENS1_25transform_config_selectorI6__halfLb1EEEZNS1_14transform_implILb1ES3_S6_PKS5_PS5_NS0_8identityIS5_EEEE10hipError_tT2_T3_mT4_P12ihipStream_tbEUlT_E_NS1_11comp_targetILNS1_3genE2ELNS1_11target_archE906ELNS1_3gpuE6ELNS1_3repE0EEENS1_30default_config_static_selectorELNS0_4arch9wavefront6targetE0EEEvT1_,"axG",@progbits,_ZN7rocprim17ROCPRIM_400000_NS6detail17trampoline_kernelINS0_14default_configENS1_25transform_config_selectorI6__halfLb1EEEZNS1_14transform_implILb1ES3_S6_PKS5_PS5_NS0_8identityIS5_EEEE10hipError_tT2_T3_mT4_P12ihipStream_tbEUlT_E_NS1_11comp_targetILNS1_3genE2ELNS1_11target_archE906ELNS1_3gpuE6ELNS1_3repE0EEENS1_30default_config_static_selectorELNS0_4arch9wavefront6targetE0EEEvT1_,comdat
.Lfunc_end2160:
	.size	_ZN7rocprim17ROCPRIM_400000_NS6detail17trampoline_kernelINS0_14default_configENS1_25transform_config_selectorI6__halfLb1EEEZNS1_14transform_implILb1ES3_S6_PKS5_PS5_NS0_8identityIS5_EEEE10hipError_tT2_T3_mT4_P12ihipStream_tbEUlT_E_NS1_11comp_targetILNS1_3genE2ELNS1_11target_archE906ELNS1_3gpuE6ELNS1_3repE0EEENS1_30default_config_static_selectorELNS0_4arch9wavefront6targetE0EEEvT1_, .Lfunc_end2160-_ZN7rocprim17ROCPRIM_400000_NS6detail17trampoline_kernelINS0_14default_configENS1_25transform_config_selectorI6__halfLb1EEEZNS1_14transform_implILb1ES3_S6_PKS5_PS5_NS0_8identityIS5_EEEE10hipError_tT2_T3_mT4_P12ihipStream_tbEUlT_E_NS1_11comp_targetILNS1_3genE2ELNS1_11target_archE906ELNS1_3gpuE6ELNS1_3repE0EEENS1_30default_config_static_selectorELNS0_4arch9wavefront6targetE0EEEvT1_
                                        ; -- End function
	.set _ZN7rocprim17ROCPRIM_400000_NS6detail17trampoline_kernelINS0_14default_configENS1_25transform_config_selectorI6__halfLb1EEEZNS1_14transform_implILb1ES3_S6_PKS5_PS5_NS0_8identityIS5_EEEE10hipError_tT2_T3_mT4_P12ihipStream_tbEUlT_E_NS1_11comp_targetILNS1_3genE2ELNS1_11target_archE906ELNS1_3gpuE6ELNS1_3repE0EEENS1_30default_config_static_selectorELNS0_4arch9wavefront6targetE0EEEvT1_.num_vgpr, 0
	.set _ZN7rocprim17ROCPRIM_400000_NS6detail17trampoline_kernelINS0_14default_configENS1_25transform_config_selectorI6__halfLb1EEEZNS1_14transform_implILb1ES3_S6_PKS5_PS5_NS0_8identityIS5_EEEE10hipError_tT2_T3_mT4_P12ihipStream_tbEUlT_E_NS1_11comp_targetILNS1_3genE2ELNS1_11target_archE906ELNS1_3gpuE6ELNS1_3repE0EEENS1_30default_config_static_selectorELNS0_4arch9wavefront6targetE0EEEvT1_.num_agpr, 0
	.set _ZN7rocprim17ROCPRIM_400000_NS6detail17trampoline_kernelINS0_14default_configENS1_25transform_config_selectorI6__halfLb1EEEZNS1_14transform_implILb1ES3_S6_PKS5_PS5_NS0_8identityIS5_EEEE10hipError_tT2_T3_mT4_P12ihipStream_tbEUlT_E_NS1_11comp_targetILNS1_3genE2ELNS1_11target_archE906ELNS1_3gpuE6ELNS1_3repE0EEENS1_30default_config_static_selectorELNS0_4arch9wavefront6targetE0EEEvT1_.numbered_sgpr, 0
	.set _ZN7rocprim17ROCPRIM_400000_NS6detail17trampoline_kernelINS0_14default_configENS1_25transform_config_selectorI6__halfLb1EEEZNS1_14transform_implILb1ES3_S6_PKS5_PS5_NS0_8identityIS5_EEEE10hipError_tT2_T3_mT4_P12ihipStream_tbEUlT_E_NS1_11comp_targetILNS1_3genE2ELNS1_11target_archE906ELNS1_3gpuE6ELNS1_3repE0EEENS1_30default_config_static_selectorELNS0_4arch9wavefront6targetE0EEEvT1_.num_named_barrier, 0
	.set _ZN7rocprim17ROCPRIM_400000_NS6detail17trampoline_kernelINS0_14default_configENS1_25transform_config_selectorI6__halfLb1EEEZNS1_14transform_implILb1ES3_S6_PKS5_PS5_NS0_8identityIS5_EEEE10hipError_tT2_T3_mT4_P12ihipStream_tbEUlT_E_NS1_11comp_targetILNS1_3genE2ELNS1_11target_archE906ELNS1_3gpuE6ELNS1_3repE0EEENS1_30default_config_static_selectorELNS0_4arch9wavefront6targetE0EEEvT1_.private_seg_size, 0
	.set _ZN7rocprim17ROCPRIM_400000_NS6detail17trampoline_kernelINS0_14default_configENS1_25transform_config_selectorI6__halfLb1EEEZNS1_14transform_implILb1ES3_S6_PKS5_PS5_NS0_8identityIS5_EEEE10hipError_tT2_T3_mT4_P12ihipStream_tbEUlT_E_NS1_11comp_targetILNS1_3genE2ELNS1_11target_archE906ELNS1_3gpuE6ELNS1_3repE0EEENS1_30default_config_static_selectorELNS0_4arch9wavefront6targetE0EEEvT1_.uses_vcc, 0
	.set _ZN7rocprim17ROCPRIM_400000_NS6detail17trampoline_kernelINS0_14default_configENS1_25transform_config_selectorI6__halfLb1EEEZNS1_14transform_implILb1ES3_S6_PKS5_PS5_NS0_8identityIS5_EEEE10hipError_tT2_T3_mT4_P12ihipStream_tbEUlT_E_NS1_11comp_targetILNS1_3genE2ELNS1_11target_archE906ELNS1_3gpuE6ELNS1_3repE0EEENS1_30default_config_static_selectorELNS0_4arch9wavefront6targetE0EEEvT1_.uses_flat_scratch, 0
	.set _ZN7rocprim17ROCPRIM_400000_NS6detail17trampoline_kernelINS0_14default_configENS1_25transform_config_selectorI6__halfLb1EEEZNS1_14transform_implILb1ES3_S6_PKS5_PS5_NS0_8identityIS5_EEEE10hipError_tT2_T3_mT4_P12ihipStream_tbEUlT_E_NS1_11comp_targetILNS1_3genE2ELNS1_11target_archE906ELNS1_3gpuE6ELNS1_3repE0EEENS1_30default_config_static_selectorELNS0_4arch9wavefront6targetE0EEEvT1_.has_dyn_sized_stack, 0
	.set _ZN7rocprim17ROCPRIM_400000_NS6detail17trampoline_kernelINS0_14default_configENS1_25transform_config_selectorI6__halfLb1EEEZNS1_14transform_implILb1ES3_S6_PKS5_PS5_NS0_8identityIS5_EEEE10hipError_tT2_T3_mT4_P12ihipStream_tbEUlT_E_NS1_11comp_targetILNS1_3genE2ELNS1_11target_archE906ELNS1_3gpuE6ELNS1_3repE0EEENS1_30default_config_static_selectorELNS0_4arch9wavefront6targetE0EEEvT1_.has_recursion, 0
	.set _ZN7rocprim17ROCPRIM_400000_NS6detail17trampoline_kernelINS0_14default_configENS1_25transform_config_selectorI6__halfLb1EEEZNS1_14transform_implILb1ES3_S6_PKS5_PS5_NS0_8identityIS5_EEEE10hipError_tT2_T3_mT4_P12ihipStream_tbEUlT_E_NS1_11comp_targetILNS1_3genE2ELNS1_11target_archE906ELNS1_3gpuE6ELNS1_3repE0EEENS1_30default_config_static_selectorELNS0_4arch9wavefront6targetE0EEEvT1_.has_indirect_call, 0
	.section	.AMDGPU.csdata,"",@progbits
; Kernel info:
; codeLenInByte = 0
; TotalNumSgprs: 0
; NumVgprs: 0
; ScratchSize: 0
; MemoryBound: 0
; FloatMode: 240
; IeeeMode: 1
; LDSByteSize: 0 bytes/workgroup (compile time only)
; SGPRBlocks: 0
; VGPRBlocks: 0
; NumSGPRsForWavesPerEU: 1
; NumVGPRsForWavesPerEU: 1
; NamedBarCnt: 0
; Occupancy: 16
; WaveLimiterHint : 0
; COMPUTE_PGM_RSRC2:SCRATCH_EN: 0
; COMPUTE_PGM_RSRC2:USER_SGPR: 2
; COMPUTE_PGM_RSRC2:TRAP_HANDLER: 0
; COMPUTE_PGM_RSRC2:TGID_X_EN: 1
; COMPUTE_PGM_RSRC2:TGID_Y_EN: 0
; COMPUTE_PGM_RSRC2:TGID_Z_EN: 0
; COMPUTE_PGM_RSRC2:TIDIG_COMP_CNT: 0
	.section	.text._ZN7rocprim17ROCPRIM_400000_NS6detail17trampoline_kernelINS0_14default_configENS1_25transform_config_selectorI6__halfLb1EEEZNS1_14transform_implILb1ES3_S6_PKS5_PS5_NS0_8identityIS5_EEEE10hipError_tT2_T3_mT4_P12ihipStream_tbEUlT_E_NS1_11comp_targetILNS1_3genE9ELNS1_11target_archE1100ELNS1_3gpuE3ELNS1_3repE0EEENS1_30default_config_static_selectorELNS0_4arch9wavefront6targetE0EEEvT1_,"axG",@progbits,_ZN7rocprim17ROCPRIM_400000_NS6detail17trampoline_kernelINS0_14default_configENS1_25transform_config_selectorI6__halfLb1EEEZNS1_14transform_implILb1ES3_S6_PKS5_PS5_NS0_8identityIS5_EEEE10hipError_tT2_T3_mT4_P12ihipStream_tbEUlT_E_NS1_11comp_targetILNS1_3genE9ELNS1_11target_archE1100ELNS1_3gpuE3ELNS1_3repE0EEENS1_30default_config_static_selectorELNS0_4arch9wavefront6targetE0EEEvT1_,comdat
	.protected	_ZN7rocprim17ROCPRIM_400000_NS6detail17trampoline_kernelINS0_14default_configENS1_25transform_config_selectorI6__halfLb1EEEZNS1_14transform_implILb1ES3_S6_PKS5_PS5_NS0_8identityIS5_EEEE10hipError_tT2_T3_mT4_P12ihipStream_tbEUlT_E_NS1_11comp_targetILNS1_3genE9ELNS1_11target_archE1100ELNS1_3gpuE3ELNS1_3repE0EEENS1_30default_config_static_selectorELNS0_4arch9wavefront6targetE0EEEvT1_ ; -- Begin function _ZN7rocprim17ROCPRIM_400000_NS6detail17trampoline_kernelINS0_14default_configENS1_25transform_config_selectorI6__halfLb1EEEZNS1_14transform_implILb1ES3_S6_PKS5_PS5_NS0_8identityIS5_EEEE10hipError_tT2_T3_mT4_P12ihipStream_tbEUlT_E_NS1_11comp_targetILNS1_3genE9ELNS1_11target_archE1100ELNS1_3gpuE3ELNS1_3repE0EEENS1_30default_config_static_selectorELNS0_4arch9wavefront6targetE0EEEvT1_
	.globl	_ZN7rocprim17ROCPRIM_400000_NS6detail17trampoline_kernelINS0_14default_configENS1_25transform_config_selectorI6__halfLb1EEEZNS1_14transform_implILb1ES3_S6_PKS5_PS5_NS0_8identityIS5_EEEE10hipError_tT2_T3_mT4_P12ihipStream_tbEUlT_E_NS1_11comp_targetILNS1_3genE9ELNS1_11target_archE1100ELNS1_3gpuE3ELNS1_3repE0EEENS1_30default_config_static_selectorELNS0_4arch9wavefront6targetE0EEEvT1_
	.p2align	8
	.type	_ZN7rocprim17ROCPRIM_400000_NS6detail17trampoline_kernelINS0_14default_configENS1_25transform_config_selectorI6__halfLb1EEEZNS1_14transform_implILb1ES3_S6_PKS5_PS5_NS0_8identityIS5_EEEE10hipError_tT2_T3_mT4_P12ihipStream_tbEUlT_E_NS1_11comp_targetILNS1_3genE9ELNS1_11target_archE1100ELNS1_3gpuE3ELNS1_3repE0EEENS1_30default_config_static_selectorELNS0_4arch9wavefront6targetE0EEEvT1_,@function
_ZN7rocprim17ROCPRIM_400000_NS6detail17trampoline_kernelINS0_14default_configENS1_25transform_config_selectorI6__halfLb1EEEZNS1_14transform_implILb1ES3_S6_PKS5_PS5_NS0_8identityIS5_EEEE10hipError_tT2_T3_mT4_P12ihipStream_tbEUlT_E_NS1_11comp_targetILNS1_3genE9ELNS1_11target_archE1100ELNS1_3gpuE3ELNS1_3repE0EEENS1_30default_config_static_selectorELNS0_4arch9wavefront6targetE0EEEvT1_: ; @_ZN7rocprim17ROCPRIM_400000_NS6detail17trampoline_kernelINS0_14default_configENS1_25transform_config_selectorI6__halfLb1EEEZNS1_14transform_implILb1ES3_S6_PKS5_PS5_NS0_8identityIS5_EEEE10hipError_tT2_T3_mT4_P12ihipStream_tbEUlT_E_NS1_11comp_targetILNS1_3genE9ELNS1_11target_archE1100ELNS1_3gpuE3ELNS1_3repE0EEENS1_30default_config_static_selectorELNS0_4arch9wavefront6targetE0EEEvT1_
; %bb.0:
	.section	.rodata,"a",@progbits
	.p2align	6, 0x0
	.amdhsa_kernel _ZN7rocprim17ROCPRIM_400000_NS6detail17trampoline_kernelINS0_14default_configENS1_25transform_config_selectorI6__halfLb1EEEZNS1_14transform_implILb1ES3_S6_PKS5_PS5_NS0_8identityIS5_EEEE10hipError_tT2_T3_mT4_P12ihipStream_tbEUlT_E_NS1_11comp_targetILNS1_3genE9ELNS1_11target_archE1100ELNS1_3gpuE3ELNS1_3repE0EEENS1_30default_config_static_selectorELNS0_4arch9wavefront6targetE0EEEvT1_
		.amdhsa_group_segment_fixed_size 0
		.amdhsa_private_segment_fixed_size 0
		.amdhsa_kernarg_size 40
		.amdhsa_user_sgpr_count 2
		.amdhsa_user_sgpr_dispatch_ptr 0
		.amdhsa_user_sgpr_queue_ptr 0
		.amdhsa_user_sgpr_kernarg_segment_ptr 1
		.amdhsa_user_sgpr_dispatch_id 0
		.amdhsa_user_sgpr_kernarg_preload_length 0
		.amdhsa_user_sgpr_kernarg_preload_offset 0
		.amdhsa_user_sgpr_private_segment_size 0
		.amdhsa_wavefront_size32 1
		.amdhsa_uses_dynamic_stack 0
		.amdhsa_enable_private_segment 0
		.amdhsa_system_sgpr_workgroup_id_x 1
		.amdhsa_system_sgpr_workgroup_id_y 0
		.amdhsa_system_sgpr_workgroup_id_z 0
		.amdhsa_system_sgpr_workgroup_info 0
		.amdhsa_system_vgpr_workitem_id 0
		.amdhsa_next_free_vgpr 1
		.amdhsa_next_free_sgpr 1
		.amdhsa_named_barrier_count 0
		.amdhsa_reserve_vcc 0
		.amdhsa_float_round_mode_32 0
		.amdhsa_float_round_mode_16_64 0
		.amdhsa_float_denorm_mode_32 3
		.amdhsa_float_denorm_mode_16_64 3
		.amdhsa_fp16_overflow 0
		.amdhsa_memory_ordered 1
		.amdhsa_forward_progress 1
		.amdhsa_inst_pref_size 0
		.amdhsa_round_robin_scheduling 0
		.amdhsa_exception_fp_ieee_invalid_op 0
		.amdhsa_exception_fp_denorm_src 0
		.amdhsa_exception_fp_ieee_div_zero 0
		.amdhsa_exception_fp_ieee_overflow 0
		.amdhsa_exception_fp_ieee_underflow 0
		.amdhsa_exception_fp_ieee_inexact 0
		.amdhsa_exception_int_div_zero 0
	.end_amdhsa_kernel
	.section	.text._ZN7rocprim17ROCPRIM_400000_NS6detail17trampoline_kernelINS0_14default_configENS1_25transform_config_selectorI6__halfLb1EEEZNS1_14transform_implILb1ES3_S6_PKS5_PS5_NS0_8identityIS5_EEEE10hipError_tT2_T3_mT4_P12ihipStream_tbEUlT_E_NS1_11comp_targetILNS1_3genE9ELNS1_11target_archE1100ELNS1_3gpuE3ELNS1_3repE0EEENS1_30default_config_static_selectorELNS0_4arch9wavefront6targetE0EEEvT1_,"axG",@progbits,_ZN7rocprim17ROCPRIM_400000_NS6detail17trampoline_kernelINS0_14default_configENS1_25transform_config_selectorI6__halfLb1EEEZNS1_14transform_implILb1ES3_S6_PKS5_PS5_NS0_8identityIS5_EEEE10hipError_tT2_T3_mT4_P12ihipStream_tbEUlT_E_NS1_11comp_targetILNS1_3genE9ELNS1_11target_archE1100ELNS1_3gpuE3ELNS1_3repE0EEENS1_30default_config_static_selectorELNS0_4arch9wavefront6targetE0EEEvT1_,comdat
.Lfunc_end2161:
	.size	_ZN7rocprim17ROCPRIM_400000_NS6detail17trampoline_kernelINS0_14default_configENS1_25transform_config_selectorI6__halfLb1EEEZNS1_14transform_implILb1ES3_S6_PKS5_PS5_NS0_8identityIS5_EEEE10hipError_tT2_T3_mT4_P12ihipStream_tbEUlT_E_NS1_11comp_targetILNS1_3genE9ELNS1_11target_archE1100ELNS1_3gpuE3ELNS1_3repE0EEENS1_30default_config_static_selectorELNS0_4arch9wavefront6targetE0EEEvT1_, .Lfunc_end2161-_ZN7rocprim17ROCPRIM_400000_NS6detail17trampoline_kernelINS0_14default_configENS1_25transform_config_selectorI6__halfLb1EEEZNS1_14transform_implILb1ES3_S6_PKS5_PS5_NS0_8identityIS5_EEEE10hipError_tT2_T3_mT4_P12ihipStream_tbEUlT_E_NS1_11comp_targetILNS1_3genE9ELNS1_11target_archE1100ELNS1_3gpuE3ELNS1_3repE0EEENS1_30default_config_static_selectorELNS0_4arch9wavefront6targetE0EEEvT1_
                                        ; -- End function
	.set _ZN7rocprim17ROCPRIM_400000_NS6detail17trampoline_kernelINS0_14default_configENS1_25transform_config_selectorI6__halfLb1EEEZNS1_14transform_implILb1ES3_S6_PKS5_PS5_NS0_8identityIS5_EEEE10hipError_tT2_T3_mT4_P12ihipStream_tbEUlT_E_NS1_11comp_targetILNS1_3genE9ELNS1_11target_archE1100ELNS1_3gpuE3ELNS1_3repE0EEENS1_30default_config_static_selectorELNS0_4arch9wavefront6targetE0EEEvT1_.num_vgpr, 0
	.set _ZN7rocprim17ROCPRIM_400000_NS6detail17trampoline_kernelINS0_14default_configENS1_25transform_config_selectorI6__halfLb1EEEZNS1_14transform_implILb1ES3_S6_PKS5_PS5_NS0_8identityIS5_EEEE10hipError_tT2_T3_mT4_P12ihipStream_tbEUlT_E_NS1_11comp_targetILNS1_3genE9ELNS1_11target_archE1100ELNS1_3gpuE3ELNS1_3repE0EEENS1_30default_config_static_selectorELNS0_4arch9wavefront6targetE0EEEvT1_.num_agpr, 0
	.set _ZN7rocprim17ROCPRIM_400000_NS6detail17trampoline_kernelINS0_14default_configENS1_25transform_config_selectorI6__halfLb1EEEZNS1_14transform_implILb1ES3_S6_PKS5_PS5_NS0_8identityIS5_EEEE10hipError_tT2_T3_mT4_P12ihipStream_tbEUlT_E_NS1_11comp_targetILNS1_3genE9ELNS1_11target_archE1100ELNS1_3gpuE3ELNS1_3repE0EEENS1_30default_config_static_selectorELNS0_4arch9wavefront6targetE0EEEvT1_.numbered_sgpr, 0
	.set _ZN7rocprim17ROCPRIM_400000_NS6detail17trampoline_kernelINS0_14default_configENS1_25transform_config_selectorI6__halfLb1EEEZNS1_14transform_implILb1ES3_S6_PKS5_PS5_NS0_8identityIS5_EEEE10hipError_tT2_T3_mT4_P12ihipStream_tbEUlT_E_NS1_11comp_targetILNS1_3genE9ELNS1_11target_archE1100ELNS1_3gpuE3ELNS1_3repE0EEENS1_30default_config_static_selectorELNS0_4arch9wavefront6targetE0EEEvT1_.num_named_barrier, 0
	.set _ZN7rocprim17ROCPRIM_400000_NS6detail17trampoline_kernelINS0_14default_configENS1_25transform_config_selectorI6__halfLb1EEEZNS1_14transform_implILb1ES3_S6_PKS5_PS5_NS0_8identityIS5_EEEE10hipError_tT2_T3_mT4_P12ihipStream_tbEUlT_E_NS1_11comp_targetILNS1_3genE9ELNS1_11target_archE1100ELNS1_3gpuE3ELNS1_3repE0EEENS1_30default_config_static_selectorELNS0_4arch9wavefront6targetE0EEEvT1_.private_seg_size, 0
	.set _ZN7rocprim17ROCPRIM_400000_NS6detail17trampoline_kernelINS0_14default_configENS1_25transform_config_selectorI6__halfLb1EEEZNS1_14transform_implILb1ES3_S6_PKS5_PS5_NS0_8identityIS5_EEEE10hipError_tT2_T3_mT4_P12ihipStream_tbEUlT_E_NS1_11comp_targetILNS1_3genE9ELNS1_11target_archE1100ELNS1_3gpuE3ELNS1_3repE0EEENS1_30default_config_static_selectorELNS0_4arch9wavefront6targetE0EEEvT1_.uses_vcc, 0
	.set _ZN7rocprim17ROCPRIM_400000_NS6detail17trampoline_kernelINS0_14default_configENS1_25transform_config_selectorI6__halfLb1EEEZNS1_14transform_implILb1ES3_S6_PKS5_PS5_NS0_8identityIS5_EEEE10hipError_tT2_T3_mT4_P12ihipStream_tbEUlT_E_NS1_11comp_targetILNS1_3genE9ELNS1_11target_archE1100ELNS1_3gpuE3ELNS1_3repE0EEENS1_30default_config_static_selectorELNS0_4arch9wavefront6targetE0EEEvT1_.uses_flat_scratch, 0
	.set _ZN7rocprim17ROCPRIM_400000_NS6detail17trampoline_kernelINS0_14default_configENS1_25transform_config_selectorI6__halfLb1EEEZNS1_14transform_implILb1ES3_S6_PKS5_PS5_NS0_8identityIS5_EEEE10hipError_tT2_T3_mT4_P12ihipStream_tbEUlT_E_NS1_11comp_targetILNS1_3genE9ELNS1_11target_archE1100ELNS1_3gpuE3ELNS1_3repE0EEENS1_30default_config_static_selectorELNS0_4arch9wavefront6targetE0EEEvT1_.has_dyn_sized_stack, 0
	.set _ZN7rocprim17ROCPRIM_400000_NS6detail17trampoline_kernelINS0_14default_configENS1_25transform_config_selectorI6__halfLb1EEEZNS1_14transform_implILb1ES3_S6_PKS5_PS5_NS0_8identityIS5_EEEE10hipError_tT2_T3_mT4_P12ihipStream_tbEUlT_E_NS1_11comp_targetILNS1_3genE9ELNS1_11target_archE1100ELNS1_3gpuE3ELNS1_3repE0EEENS1_30default_config_static_selectorELNS0_4arch9wavefront6targetE0EEEvT1_.has_recursion, 0
	.set _ZN7rocprim17ROCPRIM_400000_NS6detail17trampoline_kernelINS0_14default_configENS1_25transform_config_selectorI6__halfLb1EEEZNS1_14transform_implILb1ES3_S6_PKS5_PS5_NS0_8identityIS5_EEEE10hipError_tT2_T3_mT4_P12ihipStream_tbEUlT_E_NS1_11comp_targetILNS1_3genE9ELNS1_11target_archE1100ELNS1_3gpuE3ELNS1_3repE0EEENS1_30default_config_static_selectorELNS0_4arch9wavefront6targetE0EEEvT1_.has_indirect_call, 0
	.section	.AMDGPU.csdata,"",@progbits
; Kernel info:
; codeLenInByte = 0
; TotalNumSgprs: 0
; NumVgprs: 0
; ScratchSize: 0
; MemoryBound: 0
; FloatMode: 240
; IeeeMode: 1
; LDSByteSize: 0 bytes/workgroup (compile time only)
; SGPRBlocks: 0
; VGPRBlocks: 0
; NumSGPRsForWavesPerEU: 1
; NumVGPRsForWavesPerEU: 1
; NamedBarCnt: 0
; Occupancy: 16
; WaveLimiterHint : 0
; COMPUTE_PGM_RSRC2:SCRATCH_EN: 0
; COMPUTE_PGM_RSRC2:USER_SGPR: 2
; COMPUTE_PGM_RSRC2:TRAP_HANDLER: 0
; COMPUTE_PGM_RSRC2:TGID_X_EN: 1
; COMPUTE_PGM_RSRC2:TGID_Y_EN: 0
; COMPUTE_PGM_RSRC2:TGID_Z_EN: 0
; COMPUTE_PGM_RSRC2:TIDIG_COMP_CNT: 0
	.section	.text._ZN7rocprim17ROCPRIM_400000_NS6detail17trampoline_kernelINS0_14default_configENS1_25transform_config_selectorI6__halfLb1EEEZNS1_14transform_implILb1ES3_S6_PKS5_PS5_NS0_8identityIS5_EEEE10hipError_tT2_T3_mT4_P12ihipStream_tbEUlT_E_NS1_11comp_targetILNS1_3genE8ELNS1_11target_archE1030ELNS1_3gpuE2ELNS1_3repE0EEENS1_30default_config_static_selectorELNS0_4arch9wavefront6targetE0EEEvT1_,"axG",@progbits,_ZN7rocprim17ROCPRIM_400000_NS6detail17trampoline_kernelINS0_14default_configENS1_25transform_config_selectorI6__halfLb1EEEZNS1_14transform_implILb1ES3_S6_PKS5_PS5_NS0_8identityIS5_EEEE10hipError_tT2_T3_mT4_P12ihipStream_tbEUlT_E_NS1_11comp_targetILNS1_3genE8ELNS1_11target_archE1030ELNS1_3gpuE2ELNS1_3repE0EEENS1_30default_config_static_selectorELNS0_4arch9wavefront6targetE0EEEvT1_,comdat
	.protected	_ZN7rocprim17ROCPRIM_400000_NS6detail17trampoline_kernelINS0_14default_configENS1_25transform_config_selectorI6__halfLb1EEEZNS1_14transform_implILb1ES3_S6_PKS5_PS5_NS0_8identityIS5_EEEE10hipError_tT2_T3_mT4_P12ihipStream_tbEUlT_E_NS1_11comp_targetILNS1_3genE8ELNS1_11target_archE1030ELNS1_3gpuE2ELNS1_3repE0EEENS1_30default_config_static_selectorELNS0_4arch9wavefront6targetE0EEEvT1_ ; -- Begin function _ZN7rocprim17ROCPRIM_400000_NS6detail17trampoline_kernelINS0_14default_configENS1_25transform_config_selectorI6__halfLb1EEEZNS1_14transform_implILb1ES3_S6_PKS5_PS5_NS0_8identityIS5_EEEE10hipError_tT2_T3_mT4_P12ihipStream_tbEUlT_E_NS1_11comp_targetILNS1_3genE8ELNS1_11target_archE1030ELNS1_3gpuE2ELNS1_3repE0EEENS1_30default_config_static_selectorELNS0_4arch9wavefront6targetE0EEEvT1_
	.globl	_ZN7rocprim17ROCPRIM_400000_NS6detail17trampoline_kernelINS0_14default_configENS1_25transform_config_selectorI6__halfLb1EEEZNS1_14transform_implILb1ES3_S6_PKS5_PS5_NS0_8identityIS5_EEEE10hipError_tT2_T3_mT4_P12ihipStream_tbEUlT_E_NS1_11comp_targetILNS1_3genE8ELNS1_11target_archE1030ELNS1_3gpuE2ELNS1_3repE0EEENS1_30default_config_static_selectorELNS0_4arch9wavefront6targetE0EEEvT1_
	.p2align	8
	.type	_ZN7rocprim17ROCPRIM_400000_NS6detail17trampoline_kernelINS0_14default_configENS1_25transform_config_selectorI6__halfLb1EEEZNS1_14transform_implILb1ES3_S6_PKS5_PS5_NS0_8identityIS5_EEEE10hipError_tT2_T3_mT4_P12ihipStream_tbEUlT_E_NS1_11comp_targetILNS1_3genE8ELNS1_11target_archE1030ELNS1_3gpuE2ELNS1_3repE0EEENS1_30default_config_static_selectorELNS0_4arch9wavefront6targetE0EEEvT1_,@function
_ZN7rocprim17ROCPRIM_400000_NS6detail17trampoline_kernelINS0_14default_configENS1_25transform_config_selectorI6__halfLb1EEEZNS1_14transform_implILb1ES3_S6_PKS5_PS5_NS0_8identityIS5_EEEE10hipError_tT2_T3_mT4_P12ihipStream_tbEUlT_E_NS1_11comp_targetILNS1_3genE8ELNS1_11target_archE1030ELNS1_3gpuE2ELNS1_3repE0EEENS1_30default_config_static_selectorELNS0_4arch9wavefront6targetE0EEEvT1_: ; @_ZN7rocprim17ROCPRIM_400000_NS6detail17trampoline_kernelINS0_14default_configENS1_25transform_config_selectorI6__halfLb1EEEZNS1_14transform_implILb1ES3_S6_PKS5_PS5_NS0_8identityIS5_EEEE10hipError_tT2_T3_mT4_P12ihipStream_tbEUlT_E_NS1_11comp_targetILNS1_3genE8ELNS1_11target_archE1030ELNS1_3gpuE2ELNS1_3repE0EEENS1_30default_config_static_selectorELNS0_4arch9wavefront6targetE0EEEvT1_
; %bb.0:
	.section	.rodata,"a",@progbits
	.p2align	6, 0x0
	.amdhsa_kernel _ZN7rocprim17ROCPRIM_400000_NS6detail17trampoline_kernelINS0_14default_configENS1_25transform_config_selectorI6__halfLb1EEEZNS1_14transform_implILb1ES3_S6_PKS5_PS5_NS0_8identityIS5_EEEE10hipError_tT2_T3_mT4_P12ihipStream_tbEUlT_E_NS1_11comp_targetILNS1_3genE8ELNS1_11target_archE1030ELNS1_3gpuE2ELNS1_3repE0EEENS1_30default_config_static_selectorELNS0_4arch9wavefront6targetE0EEEvT1_
		.amdhsa_group_segment_fixed_size 0
		.amdhsa_private_segment_fixed_size 0
		.amdhsa_kernarg_size 40
		.amdhsa_user_sgpr_count 2
		.amdhsa_user_sgpr_dispatch_ptr 0
		.amdhsa_user_sgpr_queue_ptr 0
		.amdhsa_user_sgpr_kernarg_segment_ptr 1
		.amdhsa_user_sgpr_dispatch_id 0
		.amdhsa_user_sgpr_kernarg_preload_length 0
		.amdhsa_user_sgpr_kernarg_preload_offset 0
		.amdhsa_user_sgpr_private_segment_size 0
		.amdhsa_wavefront_size32 1
		.amdhsa_uses_dynamic_stack 0
		.amdhsa_enable_private_segment 0
		.amdhsa_system_sgpr_workgroup_id_x 1
		.amdhsa_system_sgpr_workgroup_id_y 0
		.amdhsa_system_sgpr_workgroup_id_z 0
		.amdhsa_system_sgpr_workgroup_info 0
		.amdhsa_system_vgpr_workitem_id 0
		.amdhsa_next_free_vgpr 1
		.amdhsa_next_free_sgpr 1
		.amdhsa_named_barrier_count 0
		.amdhsa_reserve_vcc 0
		.amdhsa_float_round_mode_32 0
		.amdhsa_float_round_mode_16_64 0
		.amdhsa_float_denorm_mode_32 3
		.amdhsa_float_denorm_mode_16_64 3
		.amdhsa_fp16_overflow 0
		.amdhsa_memory_ordered 1
		.amdhsa_forward_progress 1
		.amdhsa_inst_pref_size 0
		.amdhsa_round_robin_scheduling 0
		.amdhsa_exception_fp_ieee_invalid_op 0
		.amdhsa_exception_fp_denorm_src 0
		.amdhsa_exception_fp_ieee_div_zero 0
		.amdhsa_exception_fp_ieee_overflow 0
		.amdhsa_exception_fp_ieee_underflow 0
		.amdhsa_exception_fp_ieee_inexact 0
		.amdhsa_exception_int_div_zero 0
	.end_amdhsa_kernel
	.section	.text._ZN7rocprim17ROCPRIM_400000_NS6detail17trampoline_kernelINS0_14default_configENS1_25transform_config_selectorI6__halfLb1EEEZNS1_14transform_implILb1ES3_S6_PKS5_PS5_NS0_8identityIS5_EEEE10hipError_tT2_T3_mT4_P12ihipStream_tbEUlT_E_NS1_11comp_targetILNS1_3genE8ELNS1_11target_archE1030ELNS1_3gpuE2ELNS1_3repE0EEENS1_30default_config_static_selectorELNS0_4arch9wavefront6targetE0EEEvT1_,"axG",@progbits,_ZN7rocprim17ROCPRIM_400000_NS6detail17trampoline_kernelINS0_14default_configENS1_25transform_config_selectorI6__halfLb1EEEZNS1_14transform_implILb1ES3_S6_PKS5_PS5_NS0_8identityIS5_EEEE10hipError_tT2_T3_mT4_P12ihipStream_tbEUlT_E_NS1_11comp_targetILNS1_3genE8ELNS1_11target_archE1030ELNS1_3gpuE2ELNS1_3repE0EEENS1_30default_config_static_selectorELNS0_4arch9wavefront6targetE0EEEvT1_,comdat
.Lfunc_end2162:
	.size	_ZN7rocprim17ROCPRIM_400000_NS6detail17trampoline_kernelINS0_14default_configENS1_25transform_config_selectorI6__halfLb1EEEZNS1_14transform_implILb1ES3_S6_PKS5_PS5_NS0_8identityIS5_EEEE10hipError_tT2_T3_mT4_P12ihipStream_tbEUlT_E_NS1_11comp_targetILNS1_3genE8ELNS1_11target_archE1030ELNS1_3gpuE2ELNS1_3repE0EEENS1_30default_config_static_selectorELNS0_4arch9wavefront6targetE0EEEvT1_, .Lfunc_end2162-_ZN7rocprim17ROCPRIM_400000_NS6detail17trampoline_kernelINS0_14default_configENS1_25transform_config_selectorI6__halfLb1EEEZNS1_14transform_implILb1ES3_S6_PKS5_PS5_NS0_8identityIS5_EEEE10hipError_tT2_T3_mT4_P12ihipStream_tbEUlT_E_NS1_11comp_targetILNS1_3genE8ELNS1_11target_archE1030ELNS1_3gpuE2ELNS1_3repE0EEENS1_30default_config_static_selectorELNS0_4arch9wavefront6targetE0EEEvT1_
                                        ; -- End function
	.set _ZN7rocprim17ROCPRIM_400000_NS6detail17trampoline_kernelINS0_14default_configENS1_25transform_config_selectorI6__halfLb1EEEZNS1_14transform_implILb1ES3_S6_PKS5_PS5_NS0_8identityIS5_EEEE10hipError_tT2_T3_mT4_P12ihipStream_tbEUlT_E_NS1_11comp_targetILNS1_3genE8ELNS1_11target_archE1030ELNS1_3gpuE2ELNS1_3repE0EEENS1_30default_config_static_selectorELNS0_4arch9wavefront6targetE0EEEvT1_.num_vgpr, 0
	.set _ZN7rocprim17ROCPRIM_400000_NS6detail17trampoline_kernelINS0_14default_configENS1_25transform_config_selectorI6__halfLb1EEEZNS1_14transform_implILb1ES3_S6_PKS5_PS5_NS0_8identityIS5_EEEE10hipError_tT2_T3_mT4_P12ihipStream_tbEUlT_E_NS1_11comp_targetILNS1_3genE8ELNS1_11target_archE1030ELNS1_3gpuE2ELNS1_3repE0EEENS1_30default_config_static_selectorELNS0_4arch9wavefront6targetE0EEEvT1_.num_agpr, 0
	.set _ZN7rocprim17ROCPRIM_400000_NS6detail17trampoline_kernelINS0_14default_configENS1_25transform_config_selectorI6__halfLb1EEEZNS1_14transform_implILb1ES3_S6_PKS5_PS5_NS0_8identityIS5_EEEE10hipError_tT2_T3_mT4_P12ihipStream_tbEUlT_E_NS1_11comp_targetILNS1_3genE8ELNS1_11target_archE1030ELNS1_3gpuE2ELNS1_3repE0EEENS1_30default_config_static_selectorELNS0_4arch9wavefront6targetE0EEEvT1_.numbered_sgpr, 0
	.set _ZN7rocprim17ROCPRIM_400000_NS6detail17trampoline_kernelINS0_14default_configENS1_25transform_config_selectorI6__halfLb1EEEZNS1_14transform_implILb1ES3_S6_PKS5_PS5_NS0_8identityIS5_EEEE10hipError_tT2_T3_mT4_P12ihipStream_tbEUlT_E_NS1_11comp_targetILNS1_3genE8ELNS1_11target_archE1030ELNS1_3gpuE2ELNS1_3repE0EEENS1_30default_config_static_selectorELNS0_4arch9wavefront6targetE0EEEvT1_.num_named_barrier, 0
	.set _ZN7rocprim17ROCPRIM_400000_NS6detail17trampoline_kernelINS0_14default_configENS1_25transform_config_selectorI6__halfLb1EEEZNS1_14transform_implILb1ES3_S6_PKS5_PS5_NS0_8identityIS5_EEEE10hipError_tT2_T3_mT4_P12ihipStream_tbEUlT_E_NS1_11comp_targetILNS1_3genE8ELNS1_11target_archE1030ELNS1_3gpuE2ELNS1_3repE0EEENS1_30default_config_static_selectorELNS0_4arch9wavefront6targetE0EEEvT1_.private_seg_size, 0
	.set _ZN7rocprim17ROCPRIM_400000_NS6detail17trampoline_kernelINS0_14default_configENS1_25transform_config_selectorI6__halfLb1EEEZNS1_14transform_implILb1ES3_S6_PKS5_PS5_NS0_8identityIS5_EEEE10hipError_tT2_T3_mT4_P12ihipStream_tbEUlT_E_NS1_11comp_targetILNS1_3genE8ELNS1_11target_archE1030ELNS1_3gpuE2ELNS1_3repE0EEENS1_30default_config_static_selectorELNS0_4arch9wavefront6targetE0EEEvT1_.uses_vcc, 0
	.set _ZN7rocprim17ROCPRIM_400000_NS6detail17trampoline_kernelINS0_14default_configENS1_25transform_config_selectorI6__halfLb1EEEZNS1_14transform_implILb1ES3_S6_PKS5_PS5_NS0_8identityIS5_EEEE10hipError_tT2_T3_mT4_P12ihipStream_tbEUlT_E_NS1_11comp_targetILNS1_3genE8ELNS1_11target_archE1030ELNS1_3gpuE2ELNS1_3repE0EEENS1_30default_config_static_selectorELNS0_4arch9wavefront6targetE0EEEvT1_.uses_flat_scratch, 0
	.set _ZN7rocprim17ROCPRIM_400000_NS6detail17trampoline_kernelINS0_14default_configENS1_25transform_config_selectorI6__halfLb1EEEZNS1_14transform_implILb1ES3_S6_PKS5_PS5_NS0_8identityIS5_EEEE10hipError_tT2_T3_mT4_P12ihipStream_tbEUlT_E_NS1_11comp_targetILNS1_3genE8ELNS1_11target_archE1030ELNS1_3gpuE2ELNS1_3repE0EEENS1_30default_config_static_selectorELNS0_4arch9wavefront6targetE0EEEvT1_.has_dyn_sized_stack, 0
	.set _ZN7rocprim17ROCPRIM_400000_NS6detail17trampoline_kernelINS0_14default_configENS1_25transform_config_selectorI6__halfLb1EEEZNS1_14transform_implILb1ES3_S6_PKS5_PS5_NS0_8identityIS5_EEEE10hipError_tT2_T3_mT4_P12ihipStream_tbEUlT_E_NS1_11comp_targetILNS1_3genE8ELNS1_11target_archE1030ELNS1_3gpuE2ELNS1_3repE0EEENS1_30default_config_static_selectorELNS0_4arch9wavefront6targetE0EEEvT1_.has_recursion, 0
	.set _ZN7rocprim17ROCPRIM_400000_NS6detail17trampoline_kernelINS0_14default_configENS1_25transform_config_selectorI6__halfLb1EEEZNS1_14transform_implILb1ES3_S6_PKS5_PS5_NS0_8identityIS5_EEEE10hipError_tT2_T3_mT4_P12ihipStream_tbEUlT_E_NS1_11comp_targetILNS1_3genE8ELNS1_11target_archE1030ELNS1_3gpuE2ELNS1_3repE0EEENS1_30default_config_static_selectorELNS0_4arch9wavefront6targetE0EEEvT1_.has_indirect_call, 0
	.section	.AMDGPU.csdata,"",@progbits
; Kernel info:
; codeLenInByte = 0
; TotalNumSgprs: 0
; NumVgprs: 0
; ScratchSize: 0
; MemoryBound: 0
; FloatMode: 240
; IeeeMode: 1
; LDSByteSize: 0 bytes/workgroup (compile time only)
; SGPRBlocks: 0
; VGPRBlocks: 0
; NumSGPRsForWavesPerEU: 1
; NumVGPRsForWavesPerEU: 1
; NamedBarCnt: 0
; Occupancy: 16
; WaveLimiterHint : 0
; COMPUTE_PGM_RSRC2:SCRATCH_EN: 0
; COMPUTE_PGM_RSRC2:USER_SGPR: 2
; COMPUTE_PGM_RSRC2:TRAP_HANDLER: 0
; COMPUTE_PGM_RSRC2:TGID_X_EN: 1
; COMPUTE_PGM_RSRC2:TGID_Y_EN: 0
; COMPUTE_PGM_RSRC2:TGID_Z_EN: 0
; COMPUTE_PGM_RSRC2:TIDIG_COMP_CNT: 0
	.section	.text._ZN7rocprim17ROCPRIM_400000_NS6detail17trampoline_kernelINS0_14default_configENS1_35radix_sort_onesweep_config_selectorI6__halfNS0_10empty_typeEEEZZNS1_29radix_sort_onesweep_iterationIS3_Lb1EPKS5_PS5_PS6_SC_mNS0_19identity_decomposerENS1_16block_id_wrapperIjLb1EEEEE10hipError_tT1_PNSt15iterator_traitsISH_E10value_typeET2_T3_PNSI_ISN_E10value_typeET4_T5_PSS_ST_PNS1_23onesweep_lookback_stateEbbT6_jjT7_P12ihipStream_tbENKUlT_T0_SH_SM_E_clISA_SB_SC_SC_EEDaS10_S11_SH_SM_EUlS10_E_NS1_11comp_targetILNS1_3genE0ELNS1_11target_archE4294967295ELNS1_3gpuE0ELNS1_3repE0EEENS1_47radix_sort_onesweep_sort_config_static_selectorELNS0_4arch9wavefront6targetE0EEEvSH_,"axG",@progbits,_ZN7rocprim17ROCPRIM_400000_NS6detail17trampoline_kernelINS0_14default_configENS1_35radix_sort_onesweep_config_selectorI6__halfNS0_10empty_typeEEEZZNS1_29radix_sort_onesweep_iterationIS3_Lb1EPKS5_PS5_PS6_SC_mNS0_19identity_decomposerENS1_16block_id_wrapperIjLb1EEEEE10hipError_tT1_PNSt15iterator_traitsISH_E10value_typeET2_T3_PNSI_ISN_E10value_typeET4_T5_PSS_ST_PNS1_23onesweep_lookback_stateEbbT6_jjT7_P12ihipStream_tbENKUlT_T0_SH_SM_E_clISA_SB_SC_SC_EEDaS10_S11_SH_SM_EUlS10_E_NS1_11comp_targetILNS1_3genE0ELNS1_11target_archE4294967295ELNS1_3gpuE0ELNS1_3repE0EEENS1_47radix_sort_onesweep_sort_config_static_selectorELNS0_4arch9wavefront6targetE0EEEvSH_,comdat
	.protected	_ZN7rocprim17ROCPRIM_400000_NS6detail17trampoline_kernelINS0_14default_configENS1_35radix_sort_onesweep_config_selectorI6__halfNS0_10empty_typeEEEZZNS1_29radix_sort_onesweep_iterationIS3_Lb1EPKS5_PS5_PS6_SC_mNS0_19identity_decomposerENS1_16block_id_wrapperIjLb1EEEEE10hipError_tT1_PNSt15iterator_traitsISH_E10value_typeET2_T3_PNSI_ISN_E10value_typeET4_T5_PSS_ST_PNS1_23onesweep_lookback_stateEbbT6_jjT7_P12ihipStream_tbENKUlT_T0_SH_SM_E_clISA_SB_SC_SC_EEDaS10_S11_SH_SM_EUlS10_E_NS1_11comp_targetILNS1_3genE0ELNS1_11target_archE4294967295ELNS1_3gpuE0ELNS1_3repE0EEENS1_47radix_sort_onesweep_sort_config_static_selectorELNS0_4arch9wavefront6targetE0EEEvSH_ ; -- Begin function _ZN7rocprim17ROCPRIM_400000_NS6detail17trampoline_kernelINS0_14default_configENS1_35radix_sort_onesweep_config_selectorI6__halfNS0_10empty_typeEEEZZNS1_29radix_sort_onesweep_iterationIS3_Lb1EPKS5_PS5_PS6_SC_mNS0_19identity_decomposerENS1_16block_id_wrapperIjLb1EEEEE10hipError_tT1_PNSt15iterator_traitsISH_E10value_typeET2_T3_PNSI_ISN_E10value_typeET4_T5_PSS_ST_PNS1_23onesweep_lookback_stateEbbT6_jjT7_P12ihipStream_tbENKUlT_T0_SH_SM_E_clISA_SB_SC_SC_EEDaS10_S11_SH_SM_EUlS10_E_NS1_11comp_targetILNS1_3genE0ELNS1_11target_archE4294967295ELNS1_3gpuE0ELNS1_3repE0EEENS1_47radix_sort_onesweep_sort_config_static_selectorELNS0_4arch9wavefront6targetE0EEEvSH_
	.globl	_ZN7rocprim17ROCPRIM_400000_NS6detail17trampoline_kernelINS0_14default_configENS1_35radix_sort_onesweep_config_selectorI6__halfNS0_10empty_typeEEEZZNS1_29radix_sort_onesweep_iterationIS3_Lb1EPKS5_PS5_PS6_SC_mNS0_19identity_decomposerENS1_16block_id_wrapperIjLb1EEEEE10hipError_tT1_PNSt15iterator_traitsISH_E10value_typeET2_T3_PNSI_ISN_E10value_typeET4_T5_PSS_ST_PNS1_23onesweep_lookback_stateEbbT6_jjT7_P12ihipStream_tbENKUlT_T0_SH_SM_E_clISA_SB_SC_SC_EEDaS10_S11_SH_SM_EUlS10_E_NS1_11comp_targetILNS1_3genE0ELNS1_11target_archE4294967295ELNS1_3gpuE0ELNS1_3repE0EEENS1_47radix_sort_onesweep_sort_config_static_selectorELNS0_4arch9wavefront6targetE0EEEvSH_
	.p2align	8
	.type	_ZN7rocprim17ROCPRIM_400000_NS6detail17trampoline_kernelINS0_14default_configENS1_35radix_sort_onesweep_config_selectorI6__halfNS0_10empty_typeEEEZZNS1_29radix_sort_onesweep_iterationIS3_Lb1EPKS5_PS5_PS6_SC_mNS0_19identity_decomposerENS1_16block_id_wrapperIjLb1EEEEE10hipError_tT1_PNSt15iterator_traitsISH_E10value_typeET2_T3_PNSI_ISN_E10value_typeET4_T5_PSS_ST_PNS1_23onesweep_lookback_stateEbbT6_jjT7_P12ihipStream_tbENKUlT_T0_SH_SM_E_clISA_SB_SC_SC_EEDaS10_S11_SH_SM_EUlS10_E_NS1_11comp_targetILNS1_3genE0ELNS1_11target_archE4294967295ELNS1_3gpuE0ELNS1_3repE0EEENS1_47radix_sort_onesweep_sort_config_static_selectorELNS0_4arch9wavefront6targetE0EEEvSH_,@function
_ZN7rocprim17ROCPRIM_400000_NS6detail17trampoline_kernelINS0_14default_configENS1_35radix_sort_onesweep_config_selectorI6__halfNS0_10empty_typeEEEZZNS1_29radix_sort_onesweep_iterationIS3_Lb1EPKS5_PS5_PS6_SC_mNS0_19identity_decomposerENS1_16block_id_wrapperIjLb1EEEEE10hipError_tT1_PNSt15iterator_traitsISH_E10value_typeET2_T3_PNSI_ISN_E10value_typeET4_T5_PSS_ST_PNS1_23onesweep_lookback_stateEbbT6_jjT7_P12ihipStream_tbENKUlT_T0_SH_SM_E_clISA_SB_SC_SC_EEDaS10_S11_SH_SM_EUlS10_E_NS1_11comp_targetILNS1_3genE0ELNS1_11target_archE4294967295ELNS1_3gpuE0ELNS1_3repE0EEENS1_47radix_sort_onesweep_sort_config_static_selectorELNS0_4arch9wavefront6targetE0EEEvSH_: ; @_ZN7rocprim17ROCPRIM_400000_NS6detail17trampoline_kernelINS0_14default_configENS1_35radix_sort_onesweep_config_selectorI6__halfNS0_10empty_typeEEEZZNS1_29radix_sort_onesweep_iterationIS3_Lb1EPKS5_PS5_PS6_SC_mNS0_19identity_decomposerENS1_16block_id_wrapperIjLb1EEEEE10hipError_tT1_PNSt15iterator_traitsISH_E10value_typeET2_T3_PNSI_ISN_E10value_typeET4_T5_PSS_ST_PNS1_23onesweep_lookback_stateEbbT6_jjT7_P12ihipStream_tbENKUlT_T0_SH_SM_E_clISA_SB_SC_SC_EEDaS10_S11_SH_SM_EUlS10_E_NS1_11comp_targetILNS1_3genE0ELNS1_11target_archE4294967295ELNS1_3gpuE0ELNS1_3repE0EEENS1_47radix_sort_onesweep_sort_config_static_selectorELNS0_4arch9wavefront6targetE0EEEvSH_
; %bb.0:
	s_clause 0x1
	s_load_b128 s[12:15], s[0:1], 0x28
	s_load_b64 s[10:11], s[0:1], 0x38
	v_and_b32_e32 v14, 0x3ff, v0
	s_delay_alu instid0(VALU_DEP_1)
	v_cmp_eq_u32_e64 s2, 0, v14
	s_and_saveexec_b32 s3, s2
	s_cbranch_execz .LBB2163_4
; %bb.1:
	s_mov_b32 s5, exec_lo
	s_mov_b32 s4, exec_lo
	v_mbcnt_lo_u32_b32 v1, s5, 0
                                        ; implicit-def: $vgpr2
	s_delay_alu instid0(VALU_DEP_1)
	v_cmpx_eq_u32_e32 0, v1
	s_cbranch_execz .LBB2163_3
; %bb.2:
	s_load_b64 s[6:7], s[0:1], 0x50
	s_bcnt1_i32_b32 s5, s5
	s_delay_alu instid0(SALU_CYCLE_1)
	v_dual_mov_b32 v2, 0 :: v_dual_mov_b32 v3, s5
	s_wait_xcnt 0x0
	s_wait_kmcnt 0x0
	global_atomic_add_u32 v2, v2, v3, s[6:7] th:TH_ATOMIC_RETURN scope:SCOPE_DEV
.LBB2163_3:
	s_wait_xcnt 0x0
	s_or_b32 exec_lo, exec_lo, s4
	s_wait_loadcnt 0x0
	v_readfirstlane_b32 s4, v2
	s_delay_alu instid0(VALU_DEP_1)
	v_dual_mov_b32 v2, 0 :: v_dual_add_nc_u32 v1, s4, v1
	ds_store_b32 v2, v1 offset:18496
.LBB2163_4:
	s_or_b32 exec_lo, exec_lo, s3
	v_mov_b32_e32 v3, 0
	s_clause 0x2
	s_load_b128 s[16:19], s[0:1], 0x0
	s_load_b32 s3, s[0:1], 0x20
	s_load_b96 s[20:22], s[0:1], 0x44
	s_wait_dscnt 0x0
	s_barrier_signal -1
	s_barrier_wait -1
	ds_load_b32 v1, v3 offset:18496
	v_mbcnt_lo_u32_b32 v15, -1, 0
	v_and_b32_e32 v16, 0x3e0, v14
	s_mov_b32 s4, -1
	s_add_nc_u64 s[26:27], s[0:1], 0x58
	s_getreg_b32 s28, hwreg(HW_REG_IB_STS2, 6, 4)
	s_wait_dscnt 0x0
	s_barrier_signal -1
	s_barrier_wait -1
	s_wait_kmcnt 0x0
	v_cmp_le_u32_e32 vcc_lo, s22, v1
	v_readfirstlane_b32 s23, v1
	s_mul_i32 s24, s23, 0x1800
	s_cbranch_vccz .LBB2163_100
; %bb.5:
	s_mov_b32 s25, 0
	v_mul_u32_u24_e32 v1, 12, v16
	v_lshlrev_b32_e32 v2, 1, v15
	s_lshl_b64 s[4:5], s[24:25], 1
	s_mulk_i32 s22, 0xe800
	s_add_nc_u64 s[4:5], s[16:17], s[4:5]
	v_or_b32_e32 v10, v15, v1
	v_add_nc_u64_e32 v[4:5], s[4:5], v[2:3]
	v_dual_mov_b32 v11, -1 :: v_dual_lshlrev_b32 v2, 1, v1
	v_mov_b32_e32 v1, -1
	s_add_co_i32 s22, s22, s3
	s_mov_b32 s3, exec_lo
	s_delay_alu instid0(VALU_DEP_2)
	v_add_nc_u64_e32 v[2:3], v[4:5], v[2:3]
	v_cmpx_gt_u32_e64 s22, v10
	s_cbranch_execz .LBB2163_7
; %bb.6:
	global_load_u16 v1, v[2:3], off
.LBB2163_7:
	s_wait_xcnt 0x0
	s_or_b32 exec_lo, exec_lo, s3
	v_or_b32_e32 v4, 32, v10
	s_mov_b32 s3, exec_lo
	s_delay_alu instid0(VALU_DEP_1)
	v_cmpx_gt_u32_e64 s22, v4
	s_cbranch_execz .LBB2163_9
; %bb.8:
	global_load_u16 v11, v[2:3], off offset:64
.LBB2163_9:
	s_wait_xcnt 0x0
	s_or_b32 exec_lo, exec_lo, s3
	v_dual_mov_b32 v21, -1 :: v_dual_bitop2_b32 v4, 64, v10 bitop3:0x54
	v_mov_b32_e32 v17, -1
	s_mov_b32 s3, exec_lo
	s_delay_alu instid0(VALU_DEP_2)
	v_cmpx_gt_u32_e64 s22, v4
	s_cbranch_execz .LBB2163_11
; %bb.10:
	global_load_u16 v17, v[2:3], off offset:128
.LBB2163_11:
	s_wait_xcnt 0x0
	s_or_b32 exec_lo, exec_lo, s3
	v_or_b32_e32 v4, 0x60, v10
	s_mov_b32 s3, exec_lo
	s_delay_alu instid0(VALU_DEP_1)
	v_cmpx_gt_u32_e64 s22, v4
	s_cbranch_execz .LBB2163_13
; %bb.12:
	global_load_u16 v21, v[2:3], off offset:192
.LBB2163_13:
	s_wait_xcnt 0x0
	s_or_b32 exec_lo, exec_lo, s3
	v_dual_mov_b32 v25, -1 :: v_dual_add_nc_u32 v4, 0x80, v10
	v_mov_b32_e32 v30, -1
	s_mov_b32 s3, exec_lo
	s_delay_alu instid0(VALU_DEP_2)
	v_cmpx_gt_u32_e64 s22, v4
	s_cbranch_execz .LBB2163_15
; %bb.14:
	global_load_u16 v25, v[2:3], off offset:256
.LBB2163_15:
	s_wait_xcnt 0x0
	s_or_b32 exec_lo, exec_lo, s3
	v_add_nc_u32_e32 v4, 0xa0, v10
	s_mov_b32 s3, exec_lo
	s_delay_alu instid0(VALU_DEP_1)
	v_cmpx_gt_u32_e64 s22, v4
	s_cbranch_execz .LBB2163_17
; %bb.16:
	global_load_u16 v30, v[2:3], off offset:320
.LBB2163_17:
	s_wait_xcnt 0x0
	s_or_b32 exec_lo, exec_lo, s3
	v_dual_mov_b32 v9, -1 :: v_dual_add_nc_u32 v4, 0xc0, v10
	v_mov_b32_e32 v8, -1
	s_mov_b32 s3, exec_lo
	s_delay_alu instid0(VALU_DEP_2)
	v_cmpx_gt_u32_e64 s22, v4
	s_cbranch_execz .LBB2163_19
; %bb.18:
	global_load_u16 v9, v[2:3], off offset:384
.LBB2163_19:
	s_wait_xcnt 0x0
	s_or_b32 exec_lo, exec_lo, s3
	v_add_nc_u32_e32 v4, 0xe0, v10
	s_mov_b32 s3, exec_lo
	s_delay_alu instid0(VALU_DEP_1)
	v_cmpx_gt_u32_e64 s22, v4
	s_cbranch_execz .LBB2163_21
; %bb.20:
	global_load_u16 v8, v[2:3], off offset:448
.LBB2163_21:
	s_wait_xcnt 0x0
	s_or_b32 exec_lo, exec_lo, s3
	v_dual_mov_b32 v7, -1 :: v_dual_add_nc_u32 v4, 0x100, v10
	v_mov_b32_e32 v6, -1
	s_mov_b32 s3, exec_lo
	s_delay_alu instid0(VALU_DEP_2)
	v_cmpx_gt_u32_e64 s22, v4
	s_cbranch_execz .LBB2163_23
; %bb.22:
	global_load_u16 v7, v[2:3], off offset:512
.LBB2163_23:
	s_wait_xcnt 0x0
	s_or_b32 exec_lo, exec_lo, s3
	v_add_nc_u32_e32 v4, 0x120, v10
	s_mov_b32 s3, exec_lo
	s_delay_alu instid0(VALU_DEP_1)
	v_cmpx_gt_u32_e64 s22, v4
	s_cbranch_execz .LBB2163_25
; %bb.24:
	global_load_u16 v6, v[2:3], off offset:576
.LBB2163_25:
	s_wait_xcnt 0x0
	s_or_b32 exec_lo, exec_lo, s3
	v_dual_mov_b32 v4, -1 :: v_dual_add_nc_u32 v5, 0x140, v10
	s_delay_alu instid0(VALU_DEP_1)
	v_cmp_gt_u32_e32 vcc_lo, s22, v5
	v_mov_b32_e32 v5, -1
	s_and_saveexec_b32 s3, vcc_lo
	s_cbranch_execz .LBB2163_27
; %bb.26:
	global_load_u16 v5, v[2:3], off offset:640
.LBB2163_27:
	s_wait_xcnt 0x0
	s_or_b32 exec_lo, exec_lo, s3
	v_add_nc_u32_e32 v10, 0x160, v10
	s_mov_b32 s3, exec_lo
	s_delay_alu instid0(VALU_DEP_1)
	v_cmpx_gt_u32_e64 s22, v10
	s_cbranch_execz .LBB2163_29
; %bb.28:
	global_load_u16 v4, v[2:3], off offset:704
.LBB2163_29:
	s_wait_xcnt 0x0
	s_or_b32 exec_lo, exec_lo, s3
	s_wait_loadcnt 0x0
	v_cmp_gt_i16_e32 vcc_lo, 0, v1
	s_clause 0x1
	s_load_b32 s25, s[0:1], 0x58
	s_load_u16 s3, s[0:1], 0x66
	s_bfe_u32 s4, ttmp6, 0x4000c
	s_and_b32 s5, ttmp6, 15
	s_add_co_i32 s4, s4, 1
	v_cndmask_b32_e64 v2, 0x7fff, 0, vcc_lo
	s_mul_i32 s4, ttmp9, s4
	v_bfe_u32 v3, v0, 10, 10
	s_add_co_i32 s5, s5, s4
	s_cmp_eq_u32 s28, 0
	v_xor_b32_e32 v1, v2, v1
	s_cselect_b32 s4, ttmp9, s5
	v_bfe_u32 v10, v0, 20, 10
	s_mov_b32 s5, 0
	s_delay_alu instid0(VALU_DEP_2)
	v_cmp_ne_u16_e32 vcc_lo, 0x8000, v1
	s_wait_kmcnt 0x0
	s_cmp_lt_u32 s4, s25
	v_cndmask_b32_e32 v2, 0x7fff, v1, vcc_lo
	s_cselect_b32 s4, 12, 18
	s_lshl_b32 s6, -1, s21
	v_mad_u32_u24 v3, v10, s3, v3
	s_add_nc_u64 s[4:5], s[26:27], s[4:5]
	v_and_b32_e32 v2, 0xffff, v2
	s_load_u16 s7, s[4:5], 0x0
	s_not_b32 s29, s6
	s_delay_alu instid0(VALU_DEP_1) | instskip(NEXT) | instid1(VALU_DEP_1)
	v_lshrrev_b32_e32 v2, s20, v2
	v_bitop3_b32 v10, v2, 1, s6 bitop3:0x40
	v_bitop3_b32 v13, v2, s6, v2 bitop3:0x30
	s_delay_alu instid0(VALU_DEP_2) | instskip(NEXT) | instid1(VALU_DEP_1)
	v_add_co_u32 v2, s3, v10, -1
	v_cndmask_b32_e64 v10, 0, 1, s3
	s_delay_alu instid0(VALU_DEP_3) | instskip(SKIP_1) | instid1(VALU_DEP_3)
	v_dual_lshlrev_b32 v12, 30, v13 :: v_dual_lshlrev_b32 v18, 29, v13
	v_dual_lshlrev_b32 v19, 28, v13 :: v_dual_lshlrev_b32 v20, 27, v13
	v_cmp_ne_u32_e32 vcc_lo, 0, v10
	s_delay_alu instid0(VALU_DEP_3)
	v_not_b32_e32 v10, v12
	v_cmp_gt_i32_e64 s3, 0, v12
	s_wait_xcnt 0x0
	v_cmp_gt_i32_e64 s4, 0, v18
	v_not_b32_e32 v12, v18
	v_not_b32_e32 v18, v19
	v_ashrrev_i32_e32 v10, 31, v10
	v_cmp_gt_i32_e64 s5, 0, v19
	v_dual_lshlrev_b32 v19, 26, v13 :: v_dual_bitop2_b32 v2, vcc_lo, v2 bitop3:0x14
	s_delay_alu instid0(VALU_DEP_4) | instskip(NEXT) | instid1(VALU_DEP_4)
	v_dual_ashrrev_i32 v12, 31, v12 :: v_dual_ashrrev_i32 v18, 31, v18
	v_xor_b32_e32 v10, s3, v10
	v_not_b32_e32 v22, v20
	v_cmp_gt_i32_e32 vcc_lo, 0, v20
	s_delay_alu instid0(VALU_DEP_4)
	v_xor_b32_e32 v12, s4, v12
	v_xor_b32_e32 v18, s5, v18
	v_cmp_gt_i32_e64 s3, 0, v19
	v_dual_ashrrev_i32 v20, 31, v22 :: v_dual_lshlrev_b32 v22, 25, v13
	v_bitop3_b32 v2, v2, v10, exec_lo bitop3:0x80
	v_not_b32_e32 v10, v19
	v_lshlrev_b32_e32 v19, 24, v13
	s_delay_alu instid0(VALU_DEP_3) | instskip(NEXT) | instid1(VALU_DEP_3)
	v_bitop3_b32 v2, v2, v18, v12 bitop3:0x80
	v_dual_ashrrev_i32 v10, 31, v10 :: v_dual_bitop2_b32 v18, vcc_lo, v20 bitop3:0x14
	v_not_b32_e32 v12, v22
	s_delay_alu instid0(VALU_DEP_4) | instskip(SKIP_1) | instid1(VALU_DEP_4)
	v_not_b32_e32 v20, v19
	v_cmp_gt_i32_e32 vcc_lo, 0, v22
	v_xor_b32_e32 v10, s3, v10
	v_cmp_gt_i32_e64 s3, 0, v19
	v_ashrrev_i32_e32 v22, 31, v12
	v_ashrrev_i32_e32 v19, 31, v20
	s_wait_kmcnt 0x0
	v_mad_u32 v20, v3, s7, v14
	v_bitop3_b32 v2, v2, v10, v18 bitop3:0x80
	v_mul_u32_u24_e32 v12, 36, v14
	v_xor_b32_e32 v3, vcc_lo, v22
	v_dual_mov_b32 v18, 0 :: v_dual_bitop2_b32 v10, s3, v19 bitop3:0x14
	ds_store_2addr_b32 v12, v18, v18 offset0:16 offset1:17
	ds_store_2addr_b32 v12, v18, v18 offset0:18 offset1:19
	;; [unrolled: 1-line block ×4, first 2 shown]
	v_bitop3_b32 v3, v2, v10, v3 bitop3:0x80
	v_lshrrev_b32_e32 v2, 5, v20
	ds_store_b32 v12, v18 offset:96
	s_wait_dscnt 0x0
	s_barrier_signal -1
	v_mbcnt_lo_u32_b32 v10, v3, 0
	v_lshlrev_b32_e32 v2, 2, v2
	v_cmp_ne_u32_e64 s3, 0, v3
	s_barrier_wait -1
	s_delay_alu instid0(VALU_DEP_3) | instskip(NEXT) | instid1(VALU_DEP_3)
	v_cmp_eq_u32_e32 vcc_lo, 0, v10
	v_mad_u32_u24 v13, 0x44, v13, v2
	; wave barrier
	s_and_b32 s4, s3, vcc_lo
	s_delay_alu instid0(SALU_CYCLE_1)
	s_and_saveexec_b32 s3, s4
; %bb.30:
	v_bcnt_u32_b32 v3, v3, 0
	ds_store_b32 v13, v3 offset:64
; %bb.31:
	s_or_b32 exec_lo, exec_lo, s3
	v_cmp_gt_i16_e32 vcc_lo, 0, v11
	; wave barrier
	v_cndmask_b32_e64 v3, 0x7fff, 0, vcc_lo
	s_delay_alu instid0(VALU_DEP_1) | instskip(NEXT) | instid1(VALU_DEP_1)
	v_xor_b32_e32 v11, v3, v11
	v_cmp_ne_u16_e32 vcc_lo, 0x8000, v11
	v_cndmask_b32_e32 v3, 0x7fff, v11, vcc_lo
	s_delay_alu instid0(VALU_DEP_1) | instskip(NEXT) | instid1(VALU_DEP_1)
	v_and_b32_e32 v3, 0xffff, v3
	v_lshrrev_b32_e32 v3, s20, v3
	s_delay_alu instid0(VALU_DEP_1) | instskip(NEXT) | instid1(VALU_DEP_1)
	v_bitop3_b32 v18, v3, 1, s29 bitop3:0x80
	v_add_co_u32 v18, s3, v18, -1
	s_delay_alu instid0(VALU_DEP_1) | instskip(NEXT) | instid1(VALU_DEP_1)
	v_cndmask_b32_e64 v19, 0, 1, s3
	v_cmp_ne_u32_e32 vcc_lo, 0, v19
	s_delay_alu instid0(VALU_DEP_3) | instskip(SKIP_1) | instid1(VALU_DEP_1)
	v_xor_b32_e32 v18, vcc_lo, v18
	v_and_b32_e32 v3, s29, v3
	v_dual_lshlrev_b32 v20, 30, v3 :: v_dual_lshlrev_b32 v22, 29, v3
	v_dual_lshlrev_b32 v23, 28, v3 :: v_dual_lshlrev_b32 v24, 27, v3
	v_lshlrev_b32_e32 v26, 26, v3
	s_delay_alu instid0(VALU_DEP_3)
	v_cmp_gt_i32_e64 s3, 0, v20
	v_not_b32_e32 v19, v20
	v_cmp_gt_i32_e64 s4, 0, v22
	v_not_b32_e32 v20, v22
	v_not_b32_e32 v22, v23
	v_cmp_gt_i32_e64 s5, 0, v23
	v_cmp_gt_i32_e64 s6, 0, v24
	v_not_b32_e32 v23, v24
	v_not_b32_e32 v24, v26
	v_dual_ashrrev_i32 v22, 31, v22 :: v_dual_ashrrev_i32 v19, 31, v19
	v_ashrrev_i32_e32 v20, 31, v20
	s_delay_alu instid0(VALU_DEP_3) | instskip(NEXT) | instid1(VALU_DEP_2)
	v_dual_ashrrev_i32 v24, 31, v24 :: v_dual_lshlrev_b32 v27, 25, v3
	v_dual_lshlrev_b32 v28, 24, v3 :: v_dual_bitop2_b32 v20, s4, v20 bitop3:0x14
	s_delay_alu instid0(VALU_DEP_4)
	v_xor_b32_e32 v22, s5, v22
	v_xor_b32_e32 v19, s3, v19
	v_cmp_gt_i32_e64 s7, 0, v26
	v_cmp_gt_i32_e64 s8, 0, v27
	v_not_b32_e32 v26, v27
	v_not_b32_e32 v27, v28
	v_ashrrev_i32_e32 v23, 31, v23
	v_bitop3_b32 v18, v18, v19, exec_lo bitop3:0x80
	v_cmp_gt_i32_e64 s9, 0, v28
	s_delay_alu instid0(VALU_DEP_4)
	v_dual_ashrrev_i32 v19, 31, v26 :: v_dual_ashrrev_i32 v26, 31, v27
	v_xor_b32_e32 v24, s7, v24
	v_xor_b32_e32 v23, s6, v23
	v_bitop3_b32 v18, v18, v22, v20 bitop3:0x80
	v_mad_u32_u24 v20, 0x44, v3, v2
	v_xor_b32_e32 v3, s8, v19
	v_xor_b32_e32 v19, s9, v26
	s_delay_alu instid0(VALU_DEP_4) | instskip(SKIP_2) | instid1(VALU_DEP_1)
	v_bitop3_b32 v22, v18, v24, v23 bitop3:0x80
	ds_load_b32 v18, v20 offset:64
	; wave barrier
	v_bitop3_b32 v3, v22, v19, v3 bitop3:0x80
	v_mbcnt_lo_u32_b32 v19, v3, 0
	v_cmp_ne_u32_e64 s3, 0, v3
	s_delay_alu instid0(VALU_DEP_2) | instskip(SKIP_1) | instid1(SALU_CYCLE_1)
	v_cmp_eq_u32_e32 vcc_lo, 0, v19
	s_and_b32 s4, s3, vcc_lo
	s_and_saveexec_b32 s3, s4
	s_cbranch_execz .LBB2163_33
; %bb.32:
	s_wait_dscnt 0x0
	v_bcnt_u32_b32 v3, v3, v18
	ds_store_b32 v20, v3 offset:64
.LBB2163_33:
	s_or_b32 exec_lo, exec_lo, s3
	v_cmp_gt_i16_e32 vcc_lo, 0, v17
	; wave barrier
	v_cndmask_b32_e64 v3, 0x7fff, 0, vcc_lo
	s_delay_alu instid0(VALU_DEP_1) | instskip(NEXT) | instid1(VALU_DEP_1)
	v_xor_b32_e32 v17, v3, v17
	v_cmp_ne_u16_e32 vcc_lo, 0x8000, v17
	v_cndmask_b32_e32 v3, 0x7fff, v17, vcc_lo
	s_delay_alu instid0(VALU_DEP_1) | instskip(NEXT) | instid1(VALU_DEP_1)
	v_and_b32_e32 v3, 0xffff, v3
	v_lshrrev_b32_e32 v3, s20, v3
	s_delay_alu instid0(VALU_DEP_1) | instskip(SKIP_1) | instid1(VALU_DEP_2)
	v_bitop3_b32 v22, v3, 1, s29 bitop3:0x80
	v_and_b32_e32 v3, s29, v3
	v_add_co_u32 v22, s3, v22, -1
	s_delay_alu instid0(VALU_DEP_1) | instskip(NEXT) | instid1(VALU_DEP_3)
	v_cndmask_b32_e64 v23, 0, 1, s3
	v_dual_lshlrev_b32 v24, 30, v3 :: v_dual_lshlrev_b32 v26, 29, v3
	v_lshlrev_b32_e32 v27, 28, v3
	s_delay_alu instid0(VALU_DEP_3) | instskip(NEXT) | instid1(VALU_DEP_3)
	v_cmp_ne_u32_e32 vcc_lo, 0, v23
	v_cmp_gt_i32_e64 s3, 0, v24
	v_not_b32_e32 v23, v24
	v_cmp_gt_i32_e64 s4, 0, v26
	v_not_b32_e32 v24, v26
	v_not_b32_e32 v26, v27
	s_delay_alu instid0(VALU_DEP_2) | instskip(NEXT) | instid1(VALU_DEP_2)
	v_dual_ashrrev_i32 v24, 31, v24 :: v_dual_bitop2_b32 v22, vcc_lo, v22 bitop3:0x14
	v_dual_ashrrev_i32 v26, 31, v26 :: v_dual_lshlrev_b32 v28, 27, v3
	v_dual_lshlrev_b32 v29, 26, v3 :: v_dual_lshlrev_b32 v31, 25, v3
	v_cmp_gt_i32_e64 s5, 0, v27
	v_lshlrev_b32_e32 v32, 24, v3
	s_delay_alu instid0(VALU_DEP_4)
	v_cmp_gt_i32_e64 s6, 0, v28
	v_not_b32_e32 v27, v28
	v_not_b32_e32 v28, v29
	v_ashrrev_i32_e32 v23, 31, v23
	v_cmp_gt_i32_e64 s7, 0, v29
	v_cmp_gt_i32_e64 s8, 0, v31
	v_not_b32_e32 v29, v31
	s_delay_alu instid0(VALU_DEP_4) | instskip(SKIP_3) | instid1(VALU_DEP_4)
	v_dual_ashrrev_i32 v28, 31, v28 :: v_dual_bitop2_b32 v23, s3, v23 bitop3:0x14
	v_not_b32_e32 v31, v32
	v_dual_ashrrev_i32 v27, 31, v27 :: v_dual_bitop2_b32 v24, s4, v24 bitop3:0x14
	v_xor_b32_e32 v26, s5, v26
	v_bitop3_b32 v22, v22, v23, exec_lo bitop3:0x80
	v_cmp_gt_i32_e64 s9, 0, v32
	v_dual_ashrrev_i32 v23, 31, v29 :: v_dual_ashrrev_i32 v29, 31, v31
	v_xor_b32_e32 v28, s7, v28
	v_xor_b32_e32 v27, s6, v27
	v_bitop3_b32 v22, v22, v26, v24 bitop3:0x80
	v_mad_u32_u24 v24, 0x44, v3, v2
	v_xor_b32_e32 v3, s8, v23
	v_xor_b32_e32 v23, s9, v29
	s_delay_alu instid0(VALU_DEP_4) | instskip(SKIP_2) | instid1(VALU_DEP_1)
	v_bitop3_b32 v26, v22, v28, v27 bitop3:0x80
	ds_load_b32 v22, v24 offset:64
	; wave barrier
	v_bitop3_b32 v3, v26, v23, v3 bitop3:0x80
	v_mbcnt_lo_u32_b32 v23, v3, 0
	v_cmp_ne_u32_e64 s3, 0, v3
	s_delay_alu instid0(VALU_DEP_2) | instskip(SKIP_1) | instid1(SALU_CYCLE_1)
	v_cmp_eq_u32_e32 vcc_lo, 0, v23
	s_and_b32 s4, s3, vcc_lo
	s_and_saveexec_b32 s3, s4
	s_cbranch_execz .LBB2163_35
; %bb.34:
	s_wait_dscnt 0x0
	v_bcnt_u32_b32 v3, v3, v22
	ds_store_b32 v24, v3 offset:64
.LBB2163_35:
	s_or_b32 exec_lo, exec_lo, s3
	v_cmp_gt_i16_e32 vcc_lo, 0, v21
	; wave barrier
	v_cndmask_b32_e64 v3, 0x7fff, 0, vcc_lo
	s_delay_alu instid0(VALU_DEP_1) | instskip(NEXT) | instid1(VALU_DEP_1)
	v_xor_b32_e32 v21, v3, v21
	v_cmp_ne_u16_e32 vcc_lo, 0x8000, v21
	v_cndmask_b32_e32 v3, 0x7fff, v21, vcc_lo
	s_delay_alu instid0(VALU_DEP_1) | instskip(NEXT) | instid1(VALU_DEP_1)
	v_and_b32_e32 v3, 0xffff, v3
	v_lshrrev_b32_e32 v3, s20, v3
	s_delay_alu instid0(VALU_DEP_1) | instskip(SKIP_1) | instid1(VALU_DEP_2)
	v_bitop3_b32 v26, v3, 1, s29 bitop3:0x80
	v_and_b32_e32 v3, s29, v3
	v_add_co_u32 v26, s3, v26, -1
	s_delay_alu instid0(VALU_DEP_1) | instskip(NEXT) | instid1(VALU_DEP_3)
	v_cndmask_b32_e64 v27, 0, 1, s3
	v_dual_lshlrev_b32 v28, 30, v3 :: v_dual_lshlrev_b32 v29, 29, v3
	v_lshlrev_b32_e32 v31, 28, v3
	s_delay_alu instid0(VALU_DEP_3) | instskip(NEXT) | instid1(VALU_DEP_3)
	v_cmp_ne_u32_e32 vcc_lo, 0, v27
	v_cmp_gt_i32_e64 s3, 0, v28
	v_not_b32_e32 v27, v28
	v_cmp_gt_i32_e64 s4, 0, v29
	v_not_b32_e32 v28, v29
	v_not_b32_e32 v29, v31
	s_delay_alu instid0(VALU_DEP_2) | instskip(NEXT) | instid1(VALU_DEP_2)
	v_dual_ashrrev_i32 v28, 31, v28 :: v_dual_bitop2_b32 v26, vcc_lo, v26 bitop3:0x14
	v_dual_ashrrev_i32 v29, 31, v29 :: v_dual_lshlrev_b32 v32, 27, v3
	v_dual_lshlrev_b32 v33, 26, v3 :: v_dual_lshlrev_b32 v34, 25, v3
	v_lshlrev_b32_e32 v35, 24, v3
	v_cmp_gt_i32_e64 s5, 0, v31
	s_delay_alu instid0(VALU_DEP_4)
	v_cmp_gt_i32_e64 s6, 0, v32
	v_not_b32_e32 v31, v32
	v_not_b32_e32 v32, v33
	v_ashrrev_i32_e32 v27, 31, v27
	v_cmp_gt_i32_e64 s7, 0, v33
	v_cmp_gt_i32_e64 s8, 0, v34
	v_not_b32_e32 v33, v34
	v_not_b32_e32 v34, v35
	v_dual_ashrrev_i32 v32, 31, v32 :: v_dual_bitop2_b32 v27, s3, v27 bitop3:0x14
	v_dual_ashrrev_i32 v31, 31, v31 :: v_dual_bitop2_b32 v28, s4, v28 bitop3:0x14
	v_xor_b32_e32 v29, s5, v29
	v_cmp_gt_i32_e64 s9, 0, v35
	s_delay_alu instid0(VALU_DEP_4) | instskip(NEXT) | instid1(VALU_DEP_4)
	v_bitop3_b32 v26, v26, v27, exec_lo bitop3:0x80
	v_dual_ashrrev_i32 v27, 31, v33 :: v_dual_bitop2_b32 v31, s6, v31 bitop3:0x14
	v_dual_ashrrev_i32 v33, 31, v34 :: v_dual_bitop2_b32 v32, s7, v32 bitop3:0x14
	s_delay_alu instid0(VALU_DEP_3) | instskip(SKIP_1) | instid1(VALU_DEP_4)
	v_bitop3_b32 v26, v26, v29, v28 bitop3:0x80
	v_mad_u32_u24 v28, 0x44, v3, v2
	v_xor_b32_e32 v3, s8, v27
	s_delay_alu instid0(VALU_DEP_4) | instskip(NEXT) | instid1(VALU_DEP_4)
	v_xor_b32_e32 v27, s9, v33
	v_bitop3_b32 v29, v26, v32, v31 bitop3:0x80
	ds_load_b32 v26, v28 offset:64
	; wave barrier
	v_bitop3_b32 v3, v29, v27, v3 bitop3:0x80
	s_delay_alu instid0(VALU_DEP_1) | instskip(SKIP_1) | instid1(VALU_DEP_2)
	v_mbcnt_lo_u32_b32 v27, v3, 0
	v_cmp_ne_u32_e64 s3, 0, v3
	v_cmp_eq_u32_e32 vcc_lo, 0, v27
	s_and_b32 s4, s3, vcc_lo
	s_delay_alu instid0(SALU_CYCLE_1)
	s_and_saveexec_b32 s3, s4
	s_cbranch_execz .LBB2163_37
; %bb.36:
	s_wait_dscnt 0x0
	v_bcnt_u32_b32 v3, v3, v26
	ds_store_b32 v28, v3 offset:64
.LBB2163_37:
	s_or_b32 exec_lo, exec_lo, s3
	v_cmp_gt_i16_e32 vcc_lo, 0, v25
	; wave barrier
	v_cndmask_b32_e64 v3, 0x7fff, 0, vcc_lo
	s_delay_alu instid0(VALU_DEP_1) | instskip(NEXT) | instid1(VALU_DEP_1)
	v_xor_b32_e32 v25, v3, v25
	v_cmp_ne_u16_e32 vcc_lo, 0x8000, v25
	v_cndmask_b32_e32 v3, 0x7fff, v25, vcc_lo
	s_delay_alu instid0(VALU_DEP_1) | instskip(NEXT) | instid1(VALU_DEP_1)
	v_and_b32_e32 v3, 0xffff, v3
	v_lshrrev_b32_e32 v3, s20, v3
	s_delay_alu instid0(VALU_DEP_1) | instskip(SKIP_1) | instid1(VALU_DEP_2)
	v_bitop3_b32 v29, v3, 1, s29 bitop3:0x80
	v_and_b32_e32 v3, s29, v3
	v_add_co_u32 v29, s3, v29, -1
	s_delay_alu instid0(VALU_DEP_1) | instskip(NEXT) | instid1(VALU_DEP_3)
	v_cndmask_b32_e64 v31, 0, 1, s3
	v_dual_lshlrev_b32 v32, 30, v3 :: v_dual_lshlrev_b32 v33, 29, v3
	v_lshlrev_b32_e32 v34, 28, v3
	s_delay_alu instid0(VALU_DEP_3) | instskip(NEXT) | instid1(VALU_DEP_3)
	v_cmp_ne_u32_e32 vcc_lo, 0, v31
	v_cmp_gt_i32_e64 s3, 0, v32
	v_not_b32_e32 v31, v32
	v_cmp_gt_i32_e64 s4, 0, v33
	v_not_b32_e32 v32, v33
	v_not_b32_e32 v33, v34
	s_delay_alu instid0(VALU_DEP_2) | instskip(NEXT) | instid1(VALU_DEP_2)
	v_dual_ashrrev_i32 v32, 31, v32 :: v_dual_bitop2_b32 v29, vcc_lo, v29 bitop3:0x14
	v_dual_ashrrev_i32 v33, 31, v33 :: v_dual_lshlrev_b32 v35, 27, v3
	v_dual_lshlrev_b32 v36, 26, v3 :: v_dual_lshlrev_b32 v37, 25, v3
	v_lshlrev_b32_e32 v38, 24, v3
	v_cmp_gt_i32_e64 s5, 0, v34
	s_delay_alu instid0(VALU_DEP_4)
	v_not_b32_e32 v34, v35
	v_ashrrev_i32_e32 v31, 31, v31
	v_cmp_gt_i32_e64 s6, 0, v35
	v_cmp_gt_i32_e64 s7, 0, v36
	v_not_b32_e32 v35, v36
	v_cmp_gt_i32_e64 s8, 0, v37
	v_not_b32_e32 v36, v37
	v_not_b32_e32 v37, v38
	v_dual_ashrrev_i32 v34, 31, v34 :: v_dual_bitop2_b32 v31, s3, v31 bitop3:0x14
	v_dual_ashrrev_i32 v35, 31, v35 :: v_dual_bitop2_b32 v32, s4, v32 bitop3:0x14
	v_xor_b32_e32 v33, s5, v33
	v_cmp_gt_i32_e64 s9, 0, v38
	s_delay_alu instid0(VALU_DEP_4) | instskip(SKIP_3) | instid1(VALU_DEP_4)
	v_bitop3_b32 v29, v29, v31, exec_lo bitop3:0x80
	v_dual_ashrrev_i32 v31, 31, v36 :: v_dual_ashrrev_i32 v36, 31, v37
	v_xor_b32_e32 v34, s6, v34
	v_xor_b32_e32 v35, s7, v35
	v_bitop3_b32 v29, v29, v33, v32 bitop3:0x80
	v_mad_u32_u24 v32, 0x44, v3, v2
	v_xor_b32_e32 v3, s8, v31
	v_xor_b32_e32 v31, s9, v36
	s_delay_alu instid0(VALU_DEP_4) | instskip(SKIP_2) | instid1(VALU_DEP_1)
	v_bitop3_b32 v33, v29, v35, v34 bitop3:0x80
	ds_load_b32 v29, v32 offset:64
	; wave barrier
	v_bitop3_b32 v3, v33, v31, v3 bitop3:0x80
	v_mbcnt_lo_u32_b32 v31, v3, 0
	v_cmp_ne_u32_e64 s3, 0, v3
	s_delay_alu instid0(VALU_DEP_2) | instskip(SKIP_1) | instid1(SALU_CYCLE_1)
	v_cmp_eq_u32_e32 vcc_lo, 0, v31
	s_and_b32 s4, s3, vcc_lo
	s_and_saveexec_b32 s3, s4
	s_cbranch_execz .LBB2163_39
; %bb.38:
	s_wait_dscnt 0x0
	v_bcnt_u32_b32 v3, v3, v29
	ds_store_b32 v32, v3 offset:64
.LBB2163_39:
	s_or_b32 exec_lo, exec_lo, s3
	v_cmp_gt_i16_e32 vcc_lo, 0, v30
	; wave barrier
	v_cndmask_b32_e64 v3, 0x7fff, 0, vcc_lo
	s_delay_alu instid0(VALU_DEP_1) | instskip(NEXT) | instid1(VALU_DEP_1)
	v_xor_b32_e32 v30, v3, v30
	v_cmp_ne_u16_e32 vcc_lo, 0x8000, v30
	v_cndmask_b32_e32 v3, 0x7fff, v30, vcc_lo
	s_delay_alu instid0(VALU_DEP_1) | instskip(NEXT) | instid1(VALU_DEP_1)
	v_and_b32_e32 v3, 0xffff, v3
	v_lshrrev_b32_e32 v3, s20, v3
	s_delay_alu instid0(VALU_DEP_1) | instskip(SKIP_1) | instid1(VALU_DEP_2)
	v_bitop3_b32 v33, v3, 1, s29 bitop3:0x80
	v_and_b32_e32 v3, s29, v3
	v_add_co_u32 v33, s3, v33, -1
	s_delay_alu instid0(VALU_DEP_1) | instskip(NEXT) | instid1(VALU_DEP_3)
	v_cndmask_b32_e64 v34, 0, 1, s3
	v_lshlrev_b32_e32 v35, 30, v3
	s_delay_alu instid0(VALU_DEP_2) | instskip(NEXT) | instid1(VALU_DEP_2)
	v_cmp_ne_u32_e32 vcc_lo, 0, v34
	v_not_b32_e32 v34, v35
	s_delay_alu instid0(VALU_DEP_1) | instskip(SKIP_4) | instid1(VALU_DEP_4)
	v_dual_ashrrev_i32 v34, 31, v34 :: v_dual_bitop2_b32 v33, vcc_lo, v33 bitop3:0x14
	v_dual_lshlrev_b32 v36, 29, v3 :: v_dual_lshlrev_b32 v37, 28, v3
	v_dual_lshlrev_b32 v38, 27, v3 :: v_dual_lshlrev_b32 v39, 26, v3
	v_lshlrev_b32_e32 v40, 25, v3
	v_cmp_gt_i32_e64 s3, 0, v35
	v_cmp_gt_i32_e64 s4, 0, v36
	v_not_b32_e32 v35, v36
	v_not_b32_e32 v36, v37
	v_lshlrev_b32_e32 v41, 24, v3
	v_cmp_gt_i32_e64 s5, 0, v37
	v_cmp_gt_i32_e64 s6, 0, v38
	v_not_b32_e32 v37, v38
	v_not_b32_e32 v38, v39
	v_dual_ashrrev_i32 v35, 31, v35 :: v_dual_bitop2_b32 v34, s3, v34 bitop3:0x14
	v_ashrrev_i32_e32 v36, 31, v36
	v_cmp_gt_i32_e64 s7, 0, v39
	v_cmp_gt_i32_e64 s8, 0, v40
	v_not_b32_e32 v39, v40
	v_not_b32_e32 v40, v41
	v_dual_ashrrev_i32 v37, 31, v37 :: v_dual_ashrrev_i32 v38, 31, v38
	v_xor_b32_e32 v35, s4, v35
	v_xor_b32_e32 v36, s5, v36
	v_bitop3_b32 v33, v33, v34, exec_lo bitop3:0x80
	v_cmp_gt_i32_e64 s9, 0, v41
	v_dual_ashrrev_i32 v34, 31, v39 :: v_dual_ashrrev_i32 v39, 31, v40
	v_xor_b32_e32 v37, s6, v37
	v_xor_b32_e32 v38, s7, v38
	v_bitop3_b32 v33, v33, v36, v35 bitop3:0x80
	v_mad_u32_u24 v36, 0x44, v3, v2
	v_xor_b32_e32 v3, s8, v34
	v_xor_b32_e32 v34, s9, v39
	s_delay_alu instid0(VALU_DEP_4) | instskip(SKIP_2) | instid1(VALU_DEP_1)
	v_bitop3_b32 v35, v33, v38, v37 bitop3:0x80
	ds_load_b32 v33, v36 offset:64
	; wave barrier
	v_bitop3_b32 v3, v35, v34, v3 bitop3:0x80
	v_mbcnt_lo_u32_b32 v34, v3, 0
	v_cmp_ne_u32_e64 s3, 0, v3
	s_delay_alu instid0(VALU_DEP_2) | instskip(SKIP_1) | instid1(SALU_CYCLE_1)
	v_cmp_eq_u32_e32 vcc_lo, 0, v34
	s_and_b32 s4, s3, vcc_lo
	s_and_saveexec_b32 s3, s4
	s_cbranch_execz .LBB2163_41
; %bb.40:
	s_wait_dscnt 0x0
	v_bcnt_u32_b32 v3, v3, v33
	ds_store_b32 v36, v3 offset:64
.LBB2163_41:
	s_or_b32 exec_lo, exec_lo, s3
	v_cmp_gt_i16_e32 vcc_lo, 0, v9
	; wave barrier
	v_cndmask_b32_e64 v3, 0x7fff, 0, vcc_lo
	s_delay_alu instid0(VALU_DEP_1) | instskip(NEXT) | instid1(VALU_DEP_1)
	v_xor_b32_e32 v35, v3, v9
	v_cmp_ne_u16_e32 vcc_lo, 0x8000, v35
	v_cndmask_b32_e32 v3, 0x7fff, v35, vcc_lo
	s_delay_alu instid0(VALU_DEP_1) | instskip(NEXT) | instid1(VALU_DEP_1)
	v_and_b32_e32 v3, 0xffff, v3
	v_lshrrev_b32_e32 v3, s20, v3
	s_delay_alu instid0(VALU_DEP_1) | instskip(SKIP_1) | instid1(VALU_DEP_2)
	v_bitop3_b32 v9, v3, 1, s29 bitop3:0x80
	v_and_b32_e32 v3, s29, v3
	v_add_co_u32 v9, s3, v9, -1
	s_delay_alu instid0(VALU_DEP_1) | instskip(NEXT) | instid1(VALU_DEP_3)
	v_cndmask_b32_e64 v37, 0, 1, s3
	v_lshlrev_b32_e32 v38, 30, v3
	s_delay_alu instid0(VALU_DEP_2) | instskip(NEXT) | instid1(VALU_DEP_2)
	v_cmp_ne_u32_e32 vcc_lo, 0, v37
	v_not_b32_e32 v37, v38
	v_xor_b32_e32 v9, vcc_lo, v9
	s_delay_alu instid0(VALU_DEP_2) | instskip(SKIP_3) | instid1(VALU_DEP_4)
	v_dual_ashrrev_i32 v37, 31, v37 :: v_dual_lshlrev_b32 v39, 29, v3
	v_dual_lshlrev_b32 v40, 28, v3 :: v_dual_lshlrev_b32 v41, 27, v3
	v_dual_lshlrev_b32 v42, 26, v3 :: v_dual_lshlrev_b32 v43, 25, v3
	v_cmp_gt_i32_e64 s3, 0, v38
	v_cmp_gt_i32_e64 s4, 0, v39
	v_not_b32_e32 v38, v39
	v_not_b32_e32 v39, v40
	v_lshlrev_b32_e32 v44, 24, v3
	v_cmp_gt_i32_e64 s5, 0, v40
	v_cmp_gt_i32_e64 s6, 0, v41
	v_not_b32_e32 v40, v41
	v_not_b32_e32 v41, v42
	v_dual_ashrrev_i32 v38, 31, v38 :: v_dual_ashrrev_i32 v39, 31, v39
	v_xor_b32_e32 v37, s3, v37
	v_cmp_gt_i32_e64 s7, 0, v42
	v_cmp_gt_i32_e64 s8, 0, v43
	v_not_b32_e32 v42, v43
	v_not_b32_e32 v43, v44
	v_dual_ashrrev_i32 v40, 31, v40 :: v_dual_ashrrev_i32 v41, 31, v41
	v_xor_b32_e32 v38, s4, v38
	v_xor_b32_e32 v39, s5, v39
	v_bitop3_b32 v9, v9, v37, exec_lo bitop3:0x80
	v_cmp_gt_i32_e64 s9, 0, v44
	v_dual_ashrrev_i32 v37, 31, v42 :: v_dual_ashrrev_i32 v42, 31, v43
	v_xor_b32_e32 v43, s6, v40
	v_xor_b32_e32 v41, s7, v41
	v_bitop3_b32 v9, v9, v39, v38 bitop3:0x80
	v_mad_u32_u24 v40, 0x44, v3, v2
	v_xor_b32_e32 v3, s8, v37
	v_xor_b32_e32 v37, s9, v42
	s_delay_alu instid0(VALU_DEP_4) | instskip(SKIP_2) | instid1(VALU_DEP_1)
	v_bitop3_b32 v9, v9, v41, v43 bitop3:0x80
	ds_load_b32 v38, v40 offset:64
	; wave barrier
	v_bitop3_b32 v3, v9, v37, v3 bitop3:0x80
	v_mbcnt_lo_u32_b32 v39, v3, 0
	v_cmp_ne_u32_e64 s3, 0, v3
	s_delay_alu instid0(VALU_DEP_2) | instskip(SKIP_1) | instid1(SALU_CYCLE_1)
	v_cmp_eq_u32_e32 vcc_lo, 0, v39
	s_and_b32 s4, s3, vcc_lo
	s_and_saveexec_b32 s3, s4
	s_cbranch_execz .LBB2163_43
; %bb.42:
	s_wait_dscnt 0x0
	v_bcnt_u32_b32 v3, v3, v38
	ds_store_b32 v40, v3 offset:64
.LBB2163_43:
	s_or_b32 exec_lo, exec_lo, s3
	v_cmp_gt_i16_e32 vcc_lo, 0, v8
	; wave barrier
	v_cndmask_b32_e64 v3, 0x7fff, 0, vcc_lo
	s_delay_alu instid0(VALU_DEP_1) | instskip(NEXT) | instid1(VALU_DEP_1)
	v_xor_b32_e32 v37, v3, v8
	v_cmp_ne_u16_e32 vcc_lo, 0x8000, v37
	v_cndmask_b32_e32 v3, 0x7fff, v37, vcc_lo
	s_delay_alu instid0(VALU_DEP_1) | instskip(NEXT) | instid1(VALU_DEP_1)
	v_and_b32_e32 v3, 0xffff, v3
	v_lshrrev_b32_e32 v3, s20, v3
	s_delay_alu instid0(VALU_DEP_1) | instskip(SKIP_1) | instid1(VALU_DEP_2)
	v_bitop3_b32 v8, v3, 1, s29 bitop3:0x80
	v_and_b32_e32 v3, s29, v3
	v_add_co_u32 v8, s3, v8, -1
	s_delay_alu instid0(VALU_DEP_1) | instskip(NEXT) | instid1(VALU_DEP_3)
	v_cndmask_b32_e64 v9, 0, 1, s3
	v_lshlrev_b32_e32 v41, 30, v3
	s_delay_alu instid0(VALU_DEP_2) | instskip(NEXT) | instid1(VALU_DEP_2)
	v_cmp_ne_u32_e32 vcc_lo, 0, v9
	v_not_b32_e32 v9, v41
	s_delay_alu instid0(VALU_DEP_1) | instskip(SKIP_4) | instid1(VALU_DEP_4)
	v_dual_ashrrev_i32 v9, 31, v9 :: v_dual_bitop2_b32 v8, vcc_lo, v8 bitop3:0x14
	v_dual_lshlrev_b32 v42, 29, v3 :: v_dual_lshlrev_b32 v43, 28, v3
	v_dual_lshlrev_b32 v44, 27, v3 :: v_dual_lshlrev_b32 v45, 26, v3
	v_lshlrev_b32_e32 v46, 25, v3
	v_cmp_gt_i32_e64 s3, 0, v41
	v_cmp_gt_i32_e64 s4, 0, v42
	v_not_b32_e32 v41, v42
	v_not_b32_e32 v42, v43
	v_lshlrev_b32_e32 v47, 24, v3
	v_cmp_gt_i32_e64 s5, 0, v43
	v_cmp_gt_i32_e64 s6, 0, v44
	v_not_b32_e32 v43, v44
	v_not_b32_e32 v44, v45
	v_dual_ashrrev_i32 v41, 31, v41 :: v_dual_ashrrev_i32 v42, 31, v42
	v_xor_b32_e32 v9, s3, v9
	v_cmp_gt_i32_e64 s7, 0, v45
	v_cmp_gt_i32_e64 s8, 0, v46
	v_not_b32_e32 v45, v46
	v_not_b32_e32 v46, v47
	v_dual_ashrrev_i32 v43, 31, v43 :: v_dual_ashrrev_i32 v44, 31, v44
	v_xor_b32_e32 v41, s4, v41
	v_xor_b32_e32 v42, s5, v42
	v_bitop3_b32 v8, v8, v9, exec_lo bitop3:0x80
	v_cmp_gt_i32_e64 s9, 0, v47
	v_dual_ashrrev_i32 v9, 31, v45 :: v_dual_ashrrev_i32 v45, 31, v46
	v_xor_b32_e32 v43, s6, v43
	v_xor_b32_e32 v46, s7, v44
	v_bitop3_b32 v8, v8, v42, v41 bitop3:0x80
	v_mad_u32_u24 v44, 0x44, v3, v2
	v_xor_b32_e32 v3, s8, v9
	v_xor_b32_e32 v9, s9, v45
	s_delay_alu instid0(VALU_DEP_4) | instskip(SKIP_2) | instid1(VALU_DEP_1)
	v_bitop3_b32 v8, v8, v46, v43 bitop3:0x80
	ds_load_b32 v42, v44 offset:64
	; wave barrier
	v_bitop3_b32 v3, v8, v9, v3 bitop3:0x80
	v_mbcnt_lo_u32_b32 v43, v3, 0
	v_cmp_ne_u32_e64 s3, 0, v3
	s_delay_alu instid0(VALU_DEP_2) | instskip(SKIP_1) | instid1(SALU_CYCLE_1)
	v_cmp_eq_u32_e32 vcc_lo, 0, v43
	s_and_b32 s4, s3, vcc_lo
	s_and_saveexec_b32 s3, s4
	s_cbranch_execz .LBB2163_45
; %bb.44:
	s_wait_dscnt 0x0
	v_bcnt_u32_b32 v3, v3, v42
	ds_store_b32 v44, v3 offset:64
.LBB2163_45:
	s_or_b32 exec_lo, exec_lo, s3
	v_cmp_gt_i16_e32 vcc_lo, 0, v7
	; wave barrier
	v_cndmask_b32_e64 v3, 0x7fff, 0, vcc_lo
	s_delay_alu instid0(VALU_DEP_1) | instskip(NEXT) | instid1(VALU_DEP_1)
	v_xor_b32_e32 v41, v3, v7
	v_cmp_ne_u16_e32 vcc_lo, 0x8000, v41
	v_cndmask_b32_e32 v3, 0x7fff, v41, vcc_lo
	s_delay_alu instid0(VALU_DEP_1) | instskip(NEXT) | instid1(VALU_DEP_1)
	v_and_b32_e32 v3, 0xffff, v3
	v_lshrrev_b32_e32 v3, s20, v3
	s_delay_alu instid0(VALU_DEP_1) | instskip(SKIP_1) | instid1(VALU_DEP_2)
	v_bitop3_b32 v7, v3, 1, s29 bitop3:0x80
	v_and_b32_e32 v3, s29, v3
	v_add_co_u32 v7, s3, v7, -1
	s_delay_alu instid0(VALU_DEP_1) | instskip(NEXT) | instid1(VALU_DEP_3)
	v_cndmask_b32_e64 v8, 0, 1, s3
	v_dual_lshlrev_b32 v9, 30, v3 :: v_dual_lshlrev_b32 v45, 29, v3
	v_lshlrev_b32_e32 v46, 28, v3
	s_delay_alu instid0(VALU_DEP_3) | instskip(NEXT) | instid1(VALU_DEP_3)
	v_cmp_ne_u32_e32 vcc_lo, 0, v8
	v_cmp_gt_i32_e64 s3, 0, v9
	v_not_b32_e32 v8, v9
	v_cmp_gt_i32_e64 s4, 0, v45
	v_not_b32_e32 v9, v45
	v_not_b32_e32 v45, v46
	s_delay_alu instid0(VALU_DEP_2) | instskip(NEXT) | instid1(VALU_DEP_2)
	v_dual_ashrrev_i32 v8, 31, v8 :: v_dual_ashrrev_i32 v9, 31, v9
	v_dual_ashrrev_i32 v45, 31, v45 :: v_dual_lshlrev_b32 v47, 27, v3
	v_dual_lshlrev_b32 v48, 26, v3 :: v_dual_lshlrev_b32 v49, 25, v3
	s_delay_alu instid0(VALU_DEP_3) | instskip(SKIP_1) | instid1(VALU_DEP_4)
	v_dual_lshlrev_b32 v50, 24, v3 :: v_dual_bitop2_b32 v8, s3, v8 bitop3:0x14
	v_cmp_gt_i32_e64 s5, 0, v46
	v_cmp_gt_i32_e64 s6, 0, v47
	v_not_b32_e32 v46, v47
	v_cmp_gt_i32_e64 s7, 0, v48
	v_not_b32_e32 v47, v48
	v_not_b32_e32 v48, v49
	v_xor_b32_e32 v7, vcc_lo, v7
	v_cmp_gt_i32_e64 s8, 0, v49
	v_not_b32_e32 v49, v50
	v_dual_ashrrev_i32 v46, 31, v46 :: v_dual_ashrrev_i32 v47, 31, v47
	v_xor_b32_e32 v9, s4, v9
	v_xor_b32_e32 v45, s5, v45
	v_bitop3_b32 v7, v7, v8, exec_lo bitop3:0x80
	v_cmp_gt_i32_e64 s9, 0, v50
	v_dual_ashrrev_i32 v8, 31, v48 :: v_dual_ashrrev_i32 v49, 31, v49
	v_xor_b32_e32 v46, s6, v46
	v_xor_b32_e32 v47, s7, v47
	v_bitop3_b32 v7, v7, v45, v9 bitop3:0x80
	v_mad_u32_u24 v48, 0x44, v3, v2
	v_xor_b32_e32 v3, s8, v8
	v_xor_b32_e32 v8, s9, v49
	s_delay_alu instid0(VALU_DEP_4) | instskip(SKIP_2) | instid1(VALU_DEP_1)
	v_bitop3_b32 v7, v7, v47, v46 bitop3:0x80
	ds_load_b32 v46, v48 offset:64
	; wave barrier
	v_bitop3_b32 v3, v7, v8, v3 bitop3:0x80
	v_mbcnt_lo_u32_b32 v47, v3, 0
	v_cmp_ne_u32_e64 s3, 0, v3
	s_delay_alu instid0(VALU_DEP_2) | instskip(SKIP_1) | instid1(SALU_CYCLE_1)
	v_cmp_eq_u32_e32 vcc_lo, 0, v47
	s_and_b32 s4, s3, vcc_lo
	s_and_saveexec_b32 s3, s4
	s_cbranch_execz .LBB2163_47
; %bb.46:
	s_wait_dscnt 0x0
	v_bcnt_u32_b32 v3, v3, v46
	ds_store_b32 v48, v3 offset:64
.LBB2163_47:
	s_or_b32 exec_lo, exec_lo, s3
	v_cmp_gt_i16_e32 vcc_lo, 0, v6
	; wave barrier
	v_cndmask_b32_e64 v3, 0x7fff, 0, vcc_lo
	s_delay_alu instid0(VALU_DEP_1) | instskip(NEXT) | instid1(VALU_DEP_1)
	v_xor_b32_e32 v45, v3, v6
	v_cmp_ne_u16_e32 vcc_lo, 0x8000, v45
	v_cndmask_b32_e32 v3, 0x7fff, v45, vcc_lo
	s_delay_alu instid0(VALU_DEP_1) | instskip(NEXT) | instid1(VALU_DEP_1)
	v_and_b32_e32 v3, 0xffff, v3
	v_lshrrev_b32_e32 v3, s20, v3
	s_delay_alu instid0(VALU_DEP_1) | instskip(SKIP_1) | instid1(VALU_DEP_2)
	v_bitop3_b32 v6, v3, 1, s29 bitop3:0x80
	v_and_b32_e32 v3, s29, v3
	v_add_co_u32 v6, s3, v6, -1
	s_delay_alu instid0(VALU_DEP_1) | instskip(NEXT) | instid1(VALU_DEP_3)
	v_cndmask_b32_e64 v7, 0, 1, s3
	v_dual_lshlrev_b32 v8, 30, v3 :: v_dual_lshlrev_b32 v9, 29, v3
	v_lshlrev_b32_e32 v49, 28, v3
	s_delay_alu instid0(VALU_DEP_3) | instskip(NEXT) | instid1(VALU_DEP_3)
	v_cmp_ne_u32_e32 vcc_lo, 0, v7
	v_cmp_gt_i32_e64 s3, 0, v8
	v_not_b32_e32 v7, v8
	v_cmp_gt_i32_e64 s4, 0, v9
	v_not_b32_e32 v8, v9
	v_not_b32_e32 v9, v49
	s_delay_alu instid0(VALU_DEP_2) | instskip(NEXT) | instid1(VALU_DEP_2)
	v_dual_ashrrev_i32 v8, 31, v8 :: v_dual_bitop2_b32 v6, vcc_lo, v6 bitop3:0x14
	v_dual_ashrrev_i32 v9, 31, v9 :: v_dual_lshlrev_b32 v50, 27, v3
	v_dual_lshlrev_b32 v51, 26, v3 :: v_dual_lshlrev_b32 v52, 25, v3
	v_cmp_gt_i32_e64 s5, 0, v49
	v_lshlrev_b32_e32 v53, 24, v3
	s_delay_alu instid0(VALU_DEP_4) | instskip(SKIP_4) | instid1(VALU_DEP_4)
	v_not_b32_e32 v49, v50
	v_ashrrev_i32_e32 v7, 31, v7
	v_cmp_gt_i32_e64 s6, 0, v50
	v_not_b32_e32 v50, v51
	v_cmp_gt_i32_e64 s7, 0, v51
	v_dual_ashrrev_i32 v49, 31, v49 :: v_dual_bitop2_b32 v7, s3, v7 bitop3:0x14
	v_cmp_gt_i32_e64 s8, 0, v52
	v_not_b32_e32 v51, v52
	v_not_b32_e32 v52, v53
	v_dual_ashrrev_i32 v50, 31, v50 :: v_dual_bitop2_b32 v8, s4, v8 bitop3:0x14
	v_xor_b32_e32 v9, s5, v9
	v_bitop3_b32 v6, v6, v7, exec_lo bitop3:0x80
	v_cmp_gt_i32_e64 s9, 0, v53
	v_dual_ashrrev_i32 v7, 31, v51 :: v_dual_ashrrev_i32 v51, 31, v52
	v_xor_b32_e32 v49, s6, v49
	v_xor_b32_e32 v50, s7, v50
	v_bitop3_b32 v6, v6, v9, v8 bitop3:0x80
	v_mad_u32_u24 v52, 0x44, v3, v2
	v_xor_b32_e32 v3, s8, v7
	v_xor_b32_e32 v7, s9, v51
	s_delay_alu instid0(VALU_DEP_4) | instskip(SKIP_2) | instid1(VALU_DEP_1)
	v_bitop3_b32 v6, v6, v50, v49 bitop3:0x80
	ds_load_b32 v49, v52 offset:64
	; wave barrier
	v_bitop3_b32 v3, v6, v7, v3 bitop3:0x80
	v_mbcnt_lo_u32_b32 v51, v3, 0
	v_cmp_ne_u32_e64 s3, 0, v3
	s_delay_alu instid0(VALU_DEP_2) | instskip(SKIP_1) | instid1(SALU_CYCLE_1)
	v_cmp_eq_u32_e32 vcc_lo, 0, v51
	s_and_b32 s4, s3, vcc_lo
	s_and_saveexec_b32 s3, s4
	s_cbranch_execz .LBB2163_49
; %bb.48:
	s_wait_dscnt 0x0
	v_bcnt_u32_b32 v3, v3, v49
	ds_store_b32 v52, v3 offset:64
.LBB2163_49:
	s_or_b32 exec_lo, exec_lo, s3
	v_cmp_gt_i16_e32 vcc_lo, 0, v5
	; wave barrier
	v_cndmask_b32_e64 v3, 0x7fff, 0, vcc_lo
	s_delay_alu instid0(VALU_DEP_1) | instskip(NEXT) | instid1(VALU_DEP_1)
	v_xor_b32_e32 v50, v3, v5
	v_cmp_ne_u16_e32 vcc_lo, 0x8000, v50
	v_cndmask_b32_e32 v3, 0x7fff, v50, vcc_lo
	s_delay_alu instid0(VALU_DEP_1) | instskip(NEXT) | instid1(VALU_DEP_1)
	v_and_b32_e32 v3, 0xffff, v3
	v_lshrrev_b32_e32 v3, s20, v3
	s_delay_alu instid0(VALU_DEP_1) | instskip(SKIP_1) | instid1(VALU_DEP_2)
	v_bitop3_b32 v5, v3, 1, s29 bitop3:0x80
	v_and_b32_e32 v3, s29, v3
	v_add_co_u32 v5, s3, v5, -1
	s_delay_alu instid0(VALU_DEP_1) | instskip(NEXT) | instid1(VALU_DEP_3)
	v_cndmask_b32_e64 v6, 0, 1, s3
	v_lshlrev_b32_e32 v7, 30, v3
	s_delay_alu instid0(VALU_DEP_2) | instskip(NEXT) | instid1(VALU_DEP_2)
	v_cmp_ne_u32_e32 vcc_lo, 0, v6
	v_not_b32_e32 v6, v7
	s_delay_alu instid0(VALU_DEP_1) | instskip(SKIP_4) | instid1(VALU_DEP_4)
	v_dual_ashrrev_i32 v6, 31, v6 :: v_dual_bitop2_b32 v5, vcc_lo, v5 bitop3:0x14
	v_dual_lshlrev_b32 v8, 29, v3 :: v_dual_lshlrev_b32 v9, 28, v3
	v_dual_lshlrev_b32 v53, 27, v3 :: v_dual_lshlrev_b32 v54, 26, v3
	v_lshlrev_b32_e32 v55, 25, v3
	v_cmp_gt_i32_e64 s3, 0, v7
	v_cmp_gt_i32_e64 s4, 0, v8
	v_not_b32_e32 v7, v8
	v_not_b32_e32 v8, v9
	v_lshlrev_b32_e32 v56, 24, v3
	v_cmp_gt_i32_e64 s5, 0, v9
	v_cmp_gt_i32_e64 s6, 0, v53
	v_not_b32_e32 v9, v53
	v_not_b32_e32 v53, v54
	v_dual_ashrrev_i32 v7, 31, v7 :: v_dual_bitop2_b32 v6, s3, v6 bitop3:0x14
	v_ashrrev_i32_e32 v8, 31, v8
	v_cmp_gt_i32_e64 s7, 0, v54
	v_cmp_gt_i32_e64 s8, 0, v55
	v_not_b32_e32 v54, v55
	v_not_b32_e32 v55, v56
	v_dual_ashrrev_i32 v9, 31, v9 :: v_dual_bitop2_b32 v7, s4, v7 bitop3:0x14
	v_dual_ashrrev_i32 v53, 31, v53 :: v_dual_bitop2_b32 v8, s5, v8 bitop3:0x14
	v_bitop3_b32 v5, v5, v6, exec_lo bitop3:0x80
	v_cmp_gt_i32_e64 s9, 0, v56
	v_dual_ashrrev_i32 v6, 31, v54 :: v_dual_ashrrev_i32 v54, 31, v55
	v_xor_b32_e32 v9, s6, v9
	v_xor_b32_e32 v53, s7, v53
	v_bitop3_b32 v5, v5, v8, v7 bitop3:0x80
	v_mad_u32_u24 v57, 0x44, v3, v2
	v_xor_b32_e32 v3, s8, v6
	v_xor_b32_e32 v6, s9, v54
	s_delay_alu instid0(VALU_DEP_4) | instskip(SKIP_2) | instid1(VALU_DEP_1)
	v_bitop3_b32 v5, v5, v53, v9 bitop3:0x80
	ds_load_b32 v53, v57 offset:64
	; wave barrier
	v_bitop3_b32 v3, v5, v6, v3 bitop3:0x80
	v_mbcnt_lo_u32_b32 v54, v3, 0
	v_cmp_ne_u32_e64 s3, 0, v3
	s_delay_alu instid0(VALU_DEP_2) | instskip(SKIP_1) | instid1(SALU_CYCLE_1)
	v_cmp_eq_u32_e32 vcc_lo, 0, v54
	s_and_b32 s4, s3, vcc_lo
	s_and_saveexec_b32 s3, s4
	s_cbranch_execz .LBB2163_51
; %bb.50:
	s_wait_dscnt 0x0
	v_bcnt_u32_b32 v3, v3, v53
	ds_store_b32 v57, v3 offset:64
.LBB2163_51:
	s_or_b32 exec_lo, exec_lo, s3
	v_cmp_gt_i16_e32 vcc_lo, 0, v4
	; wave barrier
	v_cndmask_b32_e64 v3, 0x7fff, 0, vcc_lo
	s_delay_alu instid0(VALU_DEP_1) | instskip(NEXT) | instid1(VALU_DEP_1)
	v_xor_b32_e32 v55, v3, v4
	v_cmp_ne_u16_e32 vcc_lo, 0x8000, v55
	v_cndmask_b32_e32 v3, 0x7fff, v55, vcc_lo
	s_delay_alu instid0(VALU_DEP_1) | instskip(NEXT) | instid1(VALU_DEP_1)
	v_and_b32_e32 v3, 0xffff, v3
	v_lshrrev_b32_e32 v3, s20, v3
	s_delay_alu instid0(VALU_DEP_1) | instskip(SKIP_1) | instid1(VALU_DEP_2)
	v_bitop3_b32 v4, v3, 1, s29 bitop3:0x80
	v_and_b32_e32 v3, s29, v3
	v_add_co_u32 v4, s3, v4, -1
	s_delay_alu instid0(VALU_DEP_1) | instskip(NEXT) | instid1(VALU_DEP_3)
	v_cndmask_b32_e64 v5, 0, 1, s3
	v_lshlrev_b32_e32 v6, 30, v3
	s_delay_alu instid0(VALU_DEP_2) | instskip(NEXT) | instid1(VALU_DEP_2)
	v_cmp_ne_u32_e32 vcc_lo, 0, v5
	v_not_b32_e32 v5, v6
	s_delay_alu instid0(VALU_DEP_1) | instskip(SKIP_4) | instid1(VALU_DEP_4)
	v_dual_ashrrev_i32 v5, 31, v5 :: v_dual_bitop2_b32 v4, vcc_lo, v4 bitop3:0x14
	v_dual_lshlrev_b32 v7, 29, v3 :: v_dual_lshlrev_b32 v8, 28, v3
	v_dual_lshlrev_b32 v9, 27, v3 :: v_dual_lshlrev_b32 v56, 26, v3
	v_lshlrev_b32_e32 v58, 25, v3
	v_cmp_gt_i32_e64 s3, 0, v6
	v_cmp_gt_i32_e64 s4, 0, v7
	v_not_b32_e32 v6, v7
	v_not_b32_e32 v7, v8
	v_lshlrev_b32_e32 v59, 24, v3
	v_cmp_gt_i32_e64 s5, 0, v8
	v_cmp_gt_i32_e64 s6, 0, v9
	v_not_b32_e32 v8, v9
	v_not_b32_e32 v9, v56
	v_dual_ashrrev_i32 v6, 31, v6 :: v_dual_ashrrev_i32 v7, 31, v7
	v_xor_b32_e32 v5, s3, v5
	v_cmp_gt_i32_e64 s7, 0, v56
	v_cmp_gt_i32_e64 s8, 0, v58
	v_not_b32_e32 v56, v58
	v_not_b32_e32 v58, v59
	v_dual_ashrrev_i32 v8, 31, v8 :: v_dual_ashrrev_i32 v9, 31, v9
	v_xor_b32_e32 v6, s4, v6
	v_xor_b32_e32 v7, s5, v7
	v_bitop3_b32 v4, v4, v5, exec_lo bitop3:0x80
	v_cmp_gt_i32_e64 s9, 0, v59
	v_dual_ashrrev_i32 v5, 31, v56 :: v_dual_ashrrev_i32 v56, 31, v58
	v_xor_b32_e32 v8, s6, v8
	v_xor_b32_e32 v9, s7, v9
	v_bitop3_b32 v4, v4, v7, v6 bitop3:0x80
	v_mad_u32_u24 v59, 0x44, v3, v2
	v_xor_b32_e32 v2, s8, v5
	v_xor_b32_e32 v3, s9, v56
	s_delay_alu instid0(VALU_DEP_4) | instskip(SKIP_2) | instid1(VALU_DEP_1)
	v_bitop3_b32 v4, v4, v9, v8 bitop3:0x80
	ds_load_b32 v56, v59 offset:64
	; wave barrier
	v_bitop3_b32 v2, v4, v3, v2 bitop3:0x80
	v_mbcnt_lo_u32_b32 v58, v2, 0
	v_cmp_ne_u32_e64 s3, 0, v2
	s_delay_alu instid0(VALU_DEP_2) | instskip(SKIP_1) | instid1(SALU_CYCLE_1)
	v_cmp_eq_u32_e32 vcc_lo, 0, v58
	s_and_b32 s4, s3, vcc_lo
	s_and_saveexec_b32 s3, s4
	s_cbranch_execz .LBB2163_53
; %bb.52:
	s_wait_dscnt 0x0
	v_bcnt_u32_b32 v2, v2, v56
	ds_store_b32 v59, v2 offset:64
.LBB2163_53:
	s_or_b32 exec_lo, exec_lo, s3
	; wave barrier
	s_wait_dscnt 0x0
	s_barrier_signal -1
	s_barrier_wait -1
	ds_load_2addr_b32 v[8:9], v12 offset0:16 offset1:17
	ds_load_2addr_b32 v[6:7], v12 offset0:18 offset1:19
	;; [unrolled: 1-line block ×4, first 2 shown]
	ds_load_b32 v60, v12 offset:96
	s_mov_b32 s7, exec_lo
	s_wait_dscnt 0x3
	v_add3_u32 v61, v9, v8, v6
	s_wait_dscnt 0x2
	s_delay_alu instid0(VALU_DEP_1) | instskip(SKIP_1) | instid1(VALU_DEP_1)
	v_add3_u32 v61, v61, v7, v4
	s_wait_dscnt 0x1
	v_add3_u32 v61, v61, v5, v2
	s_wait_dscnt 0x0
	s_delay_alu instid0(VALU_DEP_1) | instskip(SKIP_1) | instid1(VALU_DEP_2)
	v_add3_u32 v60, v61, v3, v60
	v_and_b32_e32 v61, 15, v15
	v_mov_b32_dpp v62, v60 row_shr:1 row_mask:0xf bank_mask:0xf
	s_delay_alu instid0(VALU_DEP_2) | instskip(NEXT) | instid1(VALU_DEP_2)
	v_cmp_eq_u32_e32 vcc_lo, 0, v61
	v_cndmask_b32_e64 v62, v62, 0, vcc_lo
	s_delay_alu instid0(VALU_DEP_1) | instskip(SKIP_3) | instid1(VALU_DEP_4)
	v_add_nc_u32_e32 v60, v62, v60
	v_cmp_lt_u32_e64 s3, 1, v61
	v_cmp_lt_u32_e64 s4, 3, v61
	;; [unrolled: 1-line block ×3, first 2 shown]
	v_mov_b32_dpp v62, v60 row_shr:2 row_mask:0xf bank_mask:0xf
	s_delay_alu instid0(VALU_DEP_1) | instskip(NEXT) | instid1(VALU_DEP_1)
	v_cndmask_b32_e64 v62, 0, v62, s3
	v_add_nc_u32_e32 v60, v60, v62
	s_delay_alu instid0(VALU_DEP_1) | instskip(NEXT) | instid1(VALU_DEP_1)
	v_mov_b32_dpp v62, v60 row_shr:4 row_mask:0xf bank_mask:0xf
	v_cndmask_b32_e64 v62, 0, v62, s4
	s_delay_alu instid0(VALU_DEP_1) | instskip(NEXT) | instid1(VALU_DEP_1)
	v_add_nc_u32_e32 v60, v60, v62
	v_mov_b32_dpp v62, v60 row_shr:8 row_mask:0xf bank_mask:0xf
	s_delay_alu instid0(VALU_DEP_1) | instskip(SKIP_1) | instid1(VALU_DEP_2)
	v_cndmask_b32_e64 v61, 0, v62, s5
	v_bfe_i32 v62, v15, 4, 1
	v_add_nc_u32_e32 v60, v60, v61
	ds_swizzle_b32 v61, v60 offset:swizzle(BROADCAST,32,15)
	s_wait_dscnt 0x0
	v_and_b32_e32 v61, v62, v61
	v_min_u32_e32 v62, 0x1e0, v16
	s_delay_alu instid0(VALU_DEP_2) | instskip(NEXT) | instid1(VALU_DEP_2)
	v_dual_add_nc_u32 v60, v60, v61 :: v_dual_lshrrev_b32 v61, 5, v14
	v_or_b32_e32 v62, 31, v62
	s_delay_alu instid0(VALU_DEP_1)
	v_cmpx_eq_u32_e64 v14, v62
; %bb.54:
	s_delay_alu instid0(VALU_DEP_3)
	v_lshlrev_b32_e32 v62, 2, v61
	ds_store_b32 v62, v60
; %bb.55:
	s_or_b32 exec_lo, exec_lo, s7
	s_delay_alu instid0(SALU_CYCLE_1)
	s_mov_b32 s7, exec_lo
	s_wait_dscnt 0x0
	s_barrier_signal -1
	s_barrier_wait -1
	v_cmpx_gt_u32_e32 16, v14
	s_cbranch_execz .LBB2163_57
; %bb.56:
	v_lshlrev_b32_e32 v62, 2, v14
	ds_load_b32 v63, v62
	s_wait_dscnt 0x0
	v_mov_b32_dpp v64, v63 row_shr:1 row_mask:0xf bank_mask:0xf
	s_delay_alu instid0(VALU_DEP_1) | instskip(NEXT) | instid1(VALU_DEP_1)
	v_cndmask_b32_e64 v64, v64, 0, vcc_lo
	v_add_nc_u32_e32 v63, v64, v63
	s_delay_alu instid0(VALU_DEP_1) | instskip(NEXT) | instid1(VALU_DEP_1)
	v_mov_b32_dpp v64, v63 row_shr:2 row_mask:0xf bank_mask:0xf
	v_cndmask_b32_e64 v64, 0, v64, s3
	s_delay_alu instid0(VALU_DEP_1) | instskip(NEXT) | instid1(VALU_DEP_1)
	v_add_nc_u32_e32 v63, v63, v64
	v_mov_b32_dpp v64, v63 row_shr:4 row_mask:0xf bank_mask:0xf
	s_delay_alu instid0(VALU_DEP_1) | instskip(NEXT) | instid1(VALU_DEP_1)
	v_cndmask_b32_e64 v64, 0, v64, s4
	v_add_nc_u32_e32 v63, v63, v64
	s_delay_alu instid0(VALU_DEP_1) | instskip(NEXT) | instid1(VALU_DEP_1)
	v_mov_b32_dpp v64, v63 row_shr:8 row_mask:0xf bank_mask:0xf
	v_cndmask_b32_e64 v64, 0, v64, s5
	s_delay_alu instid0(VALU_DEP_1)
	v_add_nc_u32_e32 v63, v63, v64
	ds_store_b32 v62, v63
.LBB2163_57:
	s_or_b32 exec_lo, exec_lo, s7
	v_mov_b32_e32 v62, 0
	s_mov_b32 s3, exec_lo
	s_wait_dscnt 0x0
	s_barrier_signal -1
	s_barrier_wait -1
	v_cmpx_lt_u32_e32 31, v14
; %bb.58:
	v_lshl_add_u32 v61, v61, 2, -4
	ds_load_b32 v62, v61
; %bb.59:
	s_or_b32 exec_lo, exec_lo, s3
	v_sub_co_u32 v61, vcc_lo, v15, 1
	s_wait_dscnt 0x0
	v_add_nc_u32_e32 v60, v62, v60
	s_delay_alu instid0(VALU_DEP_2) | instskip(NEXT) | instid1(VALU_DEP_1)
	v_cmp_gt_i32_e64 s3, 0, v61
	v_cndmask_b32_e64 v61, v61, v15, s3
	v_cmp_gt_u32_e64 s3, 0x100, v14
	s_delay_alu instid0(VALU_DEP_2) | instskip(SKIP_4) | instid1(VALU_DEP_2)
	v_lshlrev_b32_e32 v61, 2, v61
	ds_bpermute_b32 v60, v61, v60
	s_wait_dscnt 0x0
	v_cndmask_b32_e32 v60, v60, v62, vcc_lo
	v_cmp_lt_u32_e32 vcc_lo, 0xff, v14
	v_cndmask_b32_e64 v60, v60, 0, s2
	s_delay_alu instid0(VALU_DEP_1) | instskip(NEXT) | instid1(VALU_DEP_1)
	v_add_nc_u32_e32 v8, v60, v8
	v_add_nc_u32_e32 v9, v8, v9
	s_delay_alu instid0(VALU_DEP_1) | instskip(NEXT) | instid1(VALU_DEP_1)
	v_add_nc_u32_e32 v6, v9, v6
	v_add_nc_u32_e32 v7, v6, v7
	;; [unrolled: 3-line block ×4, first 2 shown]
	ds_store_2addr_b32 v12, v60, v8 offset0:16 offset1:17
	ds_store_2addr_b32 v12, v9, v6 offset0:18 offset1:19
	;; [unrolled: 1-line block ×4, first 2 shown]
	ds_store_b32 v12, v3 offset:96
	s_wait_dscnt 0x0
	s_barrier_signal -1
	s_barrier_wait -1
	ds_load_b32 v61, v13 offset:64
	ds_load_b32 v62, v20 offset:64
	;; [unrolled: 1-line block ×12, first 2 shown]
	v_mov_b64_e32 v[2:3], 0
                                        ; implicit-def: $vgpr4
	s_and_saveexec_b32 s5, s3
	s_cbranch_execz .LBB2163_63
; %bb.60:
	v_mul_u32_u24_e32 v2, 0x44, v14
	v_dual_mov_b32 v3, 0x1800 :: v_dual_add_nc_u32 v4, 1, v14
	s_mov_b32 s6, exec_lo
	ds_load_b32 v2, v2 offset:64
	v_cmpx_ne_u32_e32 0x100, v4
; %bb.61:
	v_mul_u32_u24_e32 v3, 0x44, v4
	ds_load_b32 v3, v3 offset:64
; %bb.62:
	s_or_b32 exec_lo, exec_lo, s6
	s_wait_dscnt 0x0
	v_dual_mov_b32 v3, 0 :: v_dual_sub_nc_u32 v4, v3, v2
.LBB2163_63:
	s_or_b32 exec_lo, exec_lo, s5
	v_dual_lshlrev_b32 v10, 1, v10 :: v_dual_lshlrev_b32 v19, 1, v19
	s_wait_dscnt 0xa
	v_lshlrev_b32_e32 v28, 1, v62
	v_dual_lshlrev_b32 v18, 1, v18 :: v_dual_lshlrev_b32 v23, 1, v23
	s_delay_alu instid0(VALU_DEP_3) | instskip(SKIP_2) | instid1(VALU_DEP_3)
	v_lshl_add_u32 v10, v61, 1, v10
	v_lshlrev_b32_e32 v22, 1, v22
	s_wait_dscnt 0x0
	v_add3_u32 v18, v28, v19, v18
	v_lshlrev_b32_e32 v19, 1, v60
	s_barrier_signal -1
	s_barrier_wait -1
	ds_store_b16 v10, v1 offset:2048
	ds_store_b16 v18, v11 offset:2048
	v_lshlrev_b32_e32 v10, 1, v24
	v_add3_u32 v1, v19, v23, v22
	v_dual_lshlrev_b32 v11, 1, v27 :: v_dual_lshlrev_b32 v18, 1, v26
	v_dual_lshlrev_b32 v22, 1, v29 :: v_dual_lshlrev_b32 v23, 1, v34
	;; [unrolled: 1-line block ×6, first 2 shown]
	ds_store_b16 v1, v17 offset:2048
	v_add3_u32 v1, v10, v11, v18
	v_add3_u32 v11, v13, v23, v24
	v_dual_lshlrev_b32 v13, 1, v43 :: v_dual_lshlrev_b32 v17, 1, v42
	v_add3_u32 v10, v19, v20, v22
	v_add3_u32 v12, v12, v26, v27
	ds_store_b16 v1, v21 offset:2048
	ds_store_b16 v10, v25 offset:2048
	;; [unrolled: 1-line block ×4, first 2 shown]
	v_add3_u32 v1, v9, v13, v17
	v_dual_lshlrev_b32 v8, 1, v8 :: v_dual_lshlrev_b32 v9, 1, v47
	v_dual_lshlrev_b32 v10, 1, v46 :: v_dual_lshlrev_b32 v7, 1, v7
	;; [unrolled: 1-line block ×6, first 2 shown]
	ds_store_b16 v1, v37 offset:2048
	v_add3_u32 v8, v8, v9, v10
	v_add3_u32 v9, v7, v11, v12
	v_dual_mov_b32 v7, 0 :: v_dual_lshlrev_b32 v1, 3, v14
	v_add3_u32 v6, v6, v13, v17
	v_add3_u32 v5, v5, v18, v19
	ds_store_b16 v8, v41 offset:2048
	ds_store_b16 v9, v45 offset:2048
	;; [unrolled: 1-line block ×4, first 2 shown]
	s_and_saveexec_b32 s4, s3
	s_cbranch_execz .LBB2163_73
; %bb.64:
	v_lshl_add_u32 v6, s23, 8, v14
	v_dual_mov_b32 v10, 0 :: v_dual_bitop2_b32 v5, 2.0, v4 bitop3:0x54
	s_mov_b32 s5, 0
	s_mov_b32 s6, s23
	s_delay_alu instid0(VALU_DEP_2)
	v_lshl_add_u64 v[8:9], v[6:7], 2, s[10:11]
	global_store_b32 v6, v5, s[10:11] scale_offset scope:SCOPE_DEV
                                        ; implicit-def: $sgpr3
	s_branch .LBB2163_67
.LBB2163_65:                            ;   in Loop: Header=BB2163_67 Depth=1
	s_or_b32 exec_lo, exec_lo, s8
.LBB2163_66:                            ;   in Loop: Header=BB2163_67 Depth=1
	s_delay_alu instid0(SALU_CYCLE_1) | instskip(SKIP_2) | instid1(VALU_DEP_2)
	s_or_b32 exec_lo, exec_lo, s7
	v_and_b32_e32 v6, 0x3fffffff, v5
	v_cmp_gt_i32_e64 s3, -2.0, v5
	v_add_nc_u32_e32 v10, v6, v10
	s_and_b32 s7, exec_lo, s3
	s_delay_alu instid0(SALU_CYCLE_1) | instskip(NEXT) | instid1(SALU_CYCLE_1)
	s_or_b32 s5, s7, s5
	s_and_not1_b32 exec_lo, exec_lo, s5
	s_cbranch_execz .LBB2163_72
.LBB2163_67:                            ; =>This Loop Header: Depth=1
                                        ;     Child Loop BB2163_70 Depth 2
	s_or_b32 s3, s3, exec_lo
	s_cmp_eq_u32 s6, 0
	s_cbranch_scc1 .LBB2163_71
; %bb.68:                               ;   in Loop: Header=BB2163_67 Depth=1
	s_add_co_i32 s6, s6, -1
	s_mov_b32 s7, exec_lo
	s_wait_xcnt 0x0
	v_lshl_or_b32 v6, s6, 8, v14
	global_load_b32 v5, v6, s[10:11] scale_offset scope:SCOPE_DEV
	s_wait_loadcnt 0x0
	v_cmpx_gt_u32_e32 2.0, v5
	s_cbranch_execz .LBB2163_66
; %bb.69:                               ;   in Loop: Header=BB2163_67 Depth=1
	v_lshl_add_u64 v[12:13], v[6:7], 2, s[10:11]
	s_mov_b32 s8, 0
.LBB2163_70:                            ;   Parent Loop BB2163_67 Depth=1
                                        ; =>  This Inner Loop Header: Depth=2
	global_load_b32 v5, v[12:13], off scope:SCOPE_DEV
	s_wait_loadcnt 0x0
	v_cmp_lt_u32_e64 s3, 0x3fffffff, v5
	s_or_b32 s8, s3, s8
	s_wait_xcnt 0x0
	s_and_not1_b32 exec_lo, exec_lo, s8
	s_cbranch_execnz .LBB2163_70
	s_branch .LBB2163_65
.LBB2163_71:                            ;   in Loop: Header=BB2163_67 Depth=1
                                        ; implicit-def: $sgpr6
	s_and_b32 s7, exec_lo, s3
	s_delay_alu instid0(SALU_CYCLE_1)
	s_or_b32 s5, s7, s5
	s_wait_xcnt 0x0
	s_and_not1_b32 exec_lo, exec_lo, s5
	s_cbranch_execnz .LBB2163_67
.LBB2163_72:
	s_or_b32 exec_lo, exec_lo, s5
	v_dual_add_nc_u32 v5, v10, v4 :: v_dual_mov_b32 v11, 0
	s_delay_alu instid0(VALU_DEP_1)
	v_or_b32_e32 v5, 0x80000000, v5
	global_store_b32 v[8:9], v5, off scope:SCOPE_DEV
	global_load_b64 v[6:7], v14, s[12:13] scale_offset
	s_wait_xcnt 0x1
	v_sub_nc_u64_e32 v[8:9], v[10:11], v[2:3]
	s_wait_loadcnt 0x0
	s_delay_alu instid0(VALU_DEP_1)
	v_add_nc_u64_e32 v[6:7], v[8:9], v[6:7]
	ds_store_b64 v1, v[6:7]
.LBB2163_73:
	s_wait_xcnt 0x0
	s_or_b32 exec_lo, exec_lo, s4
	v_mad_i32_i24 v5, v14, -6, v1
	s_mov_b32 s4, exec_lo
	s_wait_storecnt_dscnt 0x0
	s_barrier_signal -1
	s_barrier_wait -1
	v_cmpx_gt_u32_e64 s22, v14
	s_cbranch_execz .LBB2163_75
; %bb.74:
	ds_load_u16 v10, v5 offset:2048
	v_dual_mov_b32 v9, 0 :: v_dual_lshlrev_b32 v8, 1, v14
	s_wait_dscnt 0x0
	v_cmp_ne_u16_e64 s3, 0x8000, v10
	s_delay_alu instid0(VALU_DEP_1) | instskip(SKIP_1) | instid1(VALU_DEP_2)
	v_cndmask_b32_e64 v6, 0x7fff, v10, s3
	v_cmp_gt_i16_e64 s3, 0, v10
	v_and_b32_e32 v6, 0xffff, v6
	s_delay_alu instid0(VALU_DEP_2) | instskip(NEXT) | instid1(VALU_DEP_2)
	v_cndmask_b32_e64 v11, 0x7fff, 0, s3
	v_lshrrev_b32_e32 v6, s20, v6
	s_delay_alu instid0(VALU_DEP_1) | instskip(NEXT) | instid1(VALU_DEP_1)
	v_and_b32_e32 v6, s29, v6
	v_lshlrev_b32_e32 v6, 3, v6
	ds_load_b64 v[6:7], v6
	s_wait_dscnt 0x0
	v_lshl_add_u64 v[6:7], v[6:7], 1, s[18:19]
	s_delay_alu instid0(VALU_DEP_1)
	v_add_nc_u64_e32 v[6:7], v[6:7], v[8:9]
	v_xor_b32_e32 v8, v11, v10
	global_store_b16 v[6:7], v8, off
.LBB2163_75:
	s_wait_xcnt 0x0
	s_or_b32 exec_lo, exec_lo, s4
	v_add_nc_u32_e32 v6, 0x200, v14
	s_mov_b32 s4, exec_lo
	s_delay_alu instid0(VALU_DEP_1)
	v_cmpx_gt_u32_e64 s22, v6
	s_cbranch_execz .LBB2163_77
; %bb.76:
	ds_load_u16 v10, v5 offset:3072
	v_dual_mov_b32 v9, 0 :: v_dual_lshlrev_b32 v8, 1, v14
	s_wait_dscnt 0x0
	v_cmp_ne_u16_e64 s3, 0x8000, v10
	s_delay_alu instid0(VALU_DEP_1) | instskip(SKIP_1) | instid1(VALU_DEP_2)
	v_cndmask_b32_e64 v6, 0x7fff, v10, s3
	v_cmp_gt_i16_e64 s3, 0, v10
	v_and_b32_e32 v6, 0xffff, v6
	s_delay_alu instid0(VALU_DEP_2) | instskip(NEXT) | instid1(VALU_DEP_2)
	v_cndmask_b32_e64 v11, 0x7fff, 0, s3
	v_lshrrev_b32_e32 v6, s20, v6
	s_delay_alu instid0(VALU_DEP_1) | instskip(NEXT) | instid1(VALU_DEP_1)
	v_and_b32_e32 v6, s29, v6
	v_lshlrev_b32_e32 v6, 3, v6
	ds_load_b64 v[6:7], v6
	s_wait_dscnt 0x0
	v_lshl_add_u64 v[6:7], v[6:7], 1, s[18:19]
	s_delay_alu instid0(VALU_DEP_1)
	v_add_nc_u64_e32 v[6:7], v[6:7], v[8:9]
	v_xor_b32_e32 v8, v11, v10
	global_store_b16 v[6:7], v8, off offset:1024
.LBB2163_77:
	s_wait_xcnt 0x0
	s_or_b32 exec_lo, exec_lo, s4
	v_or_b32_e32 v6, 0x400, v14
	s_mov_b32 s4, exec_lo
	s_delay_alu instid0(VALU_DEP_1)
	v_cmpx_gt_u32_e64 s22, v6
	s_cbranch_execz .LBB2163_79
; %bb.78:
	ds_load_u16 v10, v5 offset:4096
	v_dual_mov_b32 v9, 0 :: v_dual_lshlrev_b32 v8, 1, v14
	s_wait_dscnt 0x0
	v_cmp_ne_u16_e64 s3, 0x8000, v10
	s_delay_alu instid0(VALU_DEP_1) | instskip(SKIP_1) | instid1(VALU_DEP_2)
	v_cndmask_b32_e64 v6, 0x7fff, v10, s3
	v_cmp_gt_i16_e64 s3, 0, v10
	v_and_b32_e32 v6, 0xffff, v6
	s_delay_alu instid0(VALU_DEP_2) | instskip(NEXT) | instid1(VALU_DEP_2)
	v_cndmask_b32_e64 v11, 0x7fff, 0, s3
	v_lshrrev_b32_e32 v6, s20, v6
	s_delay_alu instid0(VALU_DEP_1) | instskip(NEXT) | instid1(VALU_DEP_1)
	v_and_b32_e32 v6, s29, v6
	v_lshlrev_b32_e32 v6, 3, v6
	ds_load_b64 v[6:7], v6
	s_wait_dscnt 0x0
	v_lshl_add_u64 v[6:7], v[6:7], 1, s[18:19]
	s_delay_alu instid0(VALU_DEP_1)
	v_add_nc_u64_e32 v[6:7], v[6:7], v[8:9]
	v_xor_b32_e32 v8, v11, v10
	global_store_b16 v[6:7], v8, off offset:2048
.LBB2163_79:
	s_wait_xcnt 0x0
	s_or_b32 exec_lo, exec_lo, s4
	v_add_nc_u32_e32 v6, 0x600, v14
	s_mov_b32 s4, exec_lo
	s_delay_alu instid0(VALU_DEP_1)
	v_cmpx_gt_u32_e64 s22, v6
	s_cbranch_execz .LBB2163_81
; %bb.80:
	ds_load_u16 v10, v5 offset:5120
	v_dual_mov_b32 v9, 0 :: v_dual_lshlrev_b32 v8, 1, v14
	s_wait_dscnt 0x0
	v_cmp_ne_u16_e64 s3, 0x8000, v10
	s_delay_alu instid0(VALU_DEP_1) | instskip(SKIP_1) | instid1(VALU_DEP_2)
	v_cndmask_b32_e64 v6, 0x7fff, v10, s3
	v_cmp_gt_i16_e64 s3, 0, v10
	v_and_b32_e32 v6, 0xffff, v6
	s_delay_alu instid0(VALU_DEP_2) | instskip(NEXT) | instid1(VALU_DEP_2)
	v_cndmask_b32_e64 v11, 0x7fff, 0, s3
	v_lshrrev_b32_e32 v6, s20, v6
	s_delay_alu instid0(VALU_DEP_1) | instskip(NEXT) | instid1(VALU_DEP_1)
	v_and_b32_e32 v6, s29, v6
	v_lshlrev_b32_e32 v6, 3, v6
	ds_load_b64 v[6:7], v6
	s_wait_dscnt 0x0
	v_lshl_add_u64 v[6:7], v[6:7], 1, s[18:19]
	s_delay_alu instid0(VALU_DEP_1)
	v_add_nc_u64_e32 v[6:7], v[6:7], v[8:9]
	v_xor_b32_e32 v8, v11, v10
	global_store_b16 v[6:7], v8, off offset:3072
.LBB2163_81:
	s_wait_xcnt 0x0
	s_or_b32 exec_lo, exec_lo, s4
	v_or_b32_e32 v6, 0x800, v14
	s_mov_b32 s4, exec_lo
	s_delay_alu instid0(VALU_DEP_1)
	v_cmpx_gt_u32_e64 s22, v6
	s_cbranch_execz .LBB2163_83
; %bb.82:
	ds_load_u16 v10, v5 offset:6144
	v_dual_mov_b32 v9, 0 :: v_dual_lshlrev_b32 v8, 1, v14
	s_wait_dscnt 0x0
	v_cmp_ne_u16_e64 s3, 0x8000, v10
	s_delay_alu instid0(VALU_DEP_1) | instskip(SKIP_1) | instid1(VALU_DEP_2)
	v_cndmask_b32_e64 v6, 0x7fff, v10, s3
	v_cmp_gt_i16_e64 s3, 0, v10
	v_and_b32_e32 v6, 0xffff, v6
	s_delay_alu instid0(VALU_DEP_2) | instskip(NEXT) | instid1(VALU_DEP_2)
	v_cndmask_b32_e64 v11, 0x7fff, 0, s3
	v_lshrrev_b32_e32 v6, s20, v6
	s_delay_alu instid0(VALU_DEP_1) | instskip(NEXT) | instid1(VALU_DEP_1)
	v_and_b32_e32 v6, s29, v6
	v_lshlrev_b32_e32 v6, 3, v6
	ds_load_b64 v[6:7], v6
	s_wait_dscnt 0x0
	v_lshl_add_u64 v[6:7], v[6:7], 1, s[18:19]
	s_delay_alu instid0(VALU_DEP_1)
	v_add_nc_u64_e32 v[6:7], v[6:7], v[8:9]
	v_xor_b32_e32 v8, v11, v10
	global_store_b16 v[6:7], v8, off offset:4096
.LBB2163_83:
	;; [unrolled: 60-line block ×3, first 2 shown]
	s_wait_xcnt 0x0
	s_or_b32 exec_lo, exec_lo, s4
	v_add_nc_u32_e32 v6, 0xe00, v14
	s_mov_b32 s4, exec_lo
	s_delay_alu instid0(VALU_DEP_1)
	v_cmpx_gt_u32_e64 s22, v6
	s_cbranch_execz .LBB2163_89
; %bb.88:
	ds_load_u16 v5, v5 offset:9216
	v_dual_mov_b32 v9, 0 :: v_dual_lshlrev_b32 v8, 1, v14
	s_wait_dscnt 0x0
	v_cmp_ne_u16_e64 s3, 0x8000, v5
	s_delay_alu instid0(VALU_DEP_1) | instskip(SKIP_1) | instid1(VALU_DEP_2)
	v_cndmask_b32_e64 v6, 0x7fff, v5, s3
	v_cmp_gt_i16_e64 s3, 0, v5
	v_and_b32_e32 v6, 0xffff, v6
	s_delay_alu instid0(VALU_DEP_2) | instskip(NEXT) | instid1(VALU_DEP_1)
	v_cndmask_b32_e64 v10, 0x7fff, 0, s3
	v_dual_lshrrev_b32 v6, s20, v6 :: v_dual_bitop2_b32 v5, v10, v5 bitop3:0x14
	s_delay_alu instid0(VALU_DEP_1) | instskip(NEXT) | instid1(VALU_DEP_1)
	v_and_b32_e32 v6, s29, v6
	v_lshlrev_b32_e32 v6, 3, v6
	ds_load_b64 v[6:7], v6
	s_wait_dscnt 0x0
	v_lshl_add_u64 v[6:7], v[6:7], 1, s[18:19]
	s_delay_alu instid0(VALU_DEP_1)
	v_add_nc_u64_e32 v[6:7], v[6:7], v[8:9]
	global_store_b16 v[6:7], v5, off offset:7168
.LBB2163_89:
	s_wait_xcnt 0x0
	s_or_b32 exec_lo, exec_lo, s4
	v_or_b32_e32 v5, 0x1000, v14
	s_mov_b32 s4, exec_lo
	s_delay_alu instid0(VALU_DEP_1)
	v_cmpx_gt_u32_e64 s22, v5
	s_cbranch_execz .LBB2163_91
; %bb.90:
	v_lshlrev_b32_e32 v6, 1, v14
	ds_load_u16 v5, v6 offset:10240
	s_wait_dscnt 0x0
	v_cmp_ne_u16_e64 s3, 0x8000, v5
	s_delay_alu instid0(VALU_DEP_1) | instskip(SKIP_1) | instid1(VALU_DEP_2)
	v_cndmask_b32_e64 v7, 0x7fff, v5, s3
	v_cmp_gt_i16_e64 s3, 0, v5
	v_and_b32_e32 v7, 0xffff, v7
	s_delay_alu instid0(VALU_DEP_2) | instskip(NEXT) | instid1(VALU_DEP_1)
	v_cndmask_b32_e64 v10, 0x7fff, 0, s3
	v_dual_lshrrev_b32 v7, s20, v7 :: v_dual_bitop2_b32 v5, v10, v5 bitop3:0x14
	s_delay_alu instid0(VALU_DEP_1) | instskip(NEXT) | instid1(VALU_DEP_1)
	v_and_b32_e32 v7, s29, v7
	v_lshlrev_b32_e32 v7, 3, v7
	ds_load_b64 v[8:9], v7
	v_mov_b32_e32 v7, 0
	s_wait_dscnt 0x0
	v_lshl_add_u64 v[8:9], v[8:9], 1, s[18:19]
	s_delay_alu instid0(VALU_DEP_1)
	v_add_nc_u64_e32 v[6:7], v[8:9], v[6:7]
	global_store_b16 v[6:7], v5, off offset:8192
.LBB2163_91:
	s_wait_xcnt 0x0
	s_or_b32 exec_lo, exec_lo, s4
	v_add_nc_u32_e32 v5, 0x1200, v14
	s_mov_b32 s4, exec_lo
	s_delay_alu instid0(VALU_DEP_1)
	v_cmpx_gt_u32_e64 s22, v5
	s_cbranch_execz .LBB2163_93
; %bb.92:
	v_lshlrev_b32_e32 v6, 1, v14
	ds_load_u16 v5, v6 offset:11264
	s_wait_dscnt 0x0
	v_cmp_ne_u16_e64 s3, 0x8000, v5
	s_delay_alu instid0(VALU_DEP_1) | instskip(SKIP_1) | instid1(VALU_DEP_2)
	v_cndmask_b32_e64 v7, 0x7fff, v5, s3
	v_cmp_gt_i16_e64 s3, 0, v5
	v_and_b32_e32 v7, 0xffff, v7
	s_delay_alu instid0(VALU_DEP_2) | instskip(NEXT) | instid1(VALU_DEP_1)
	v_cndmask_b32_e64 v10, 0x7fff, 0, s3
	v_dual_lshrrev_b32 v7, s20, v7 :: v_dual_bitop2_b32 v5, v10, v5 bitop3:0x14
	s_delay_alu instid0(VALU_DEP_1) | instskip(NEXT) | instid1(VALU_DEP_1)
	v_and_b32_e32 v7, s29, v7
	v_lshlrev_b32_e32 v7, 3, v7
	ds_load_b64 v[8:9], v7
	v_mov_b32_e32 v7, 0
	s_wait_dscnt 0x0
	v_lshl_add_u64 v[8:9], v[8:9], 1, s[18:19]
	s_delay_alu instid0(VALU_DEP_1)
	v_add_nc_u64_e32 v[6:7], v[8:9], v[6:7]
	global_store_b16 v[6:7], v5, off offset:9216
.LBB2163_93:
	s_wait_xcnt 0x0
	s_or_b32 exec_lo, exec_lo, s4
	v_or_b32_e32 v5, 0x1400, v14
	s_mov_b32 s4, exec_lo
	s_delay_alu instid0(VALU_DEP_1)
	v_cmpx_gt_u32_e64 s22, v5
	s_cbranch_execz .LBB2163_95
; %bb.94:
	v_lshlrev_b32_e32 v6, 1, v14
	ds_load_u16 v5, v6 offset:12288
	s_wait_dscnt 0x0
	v_cmp_ne_u16_e64 s3, 0x8000, v5
	s_delay_alu instid0(VALU_DEP_1) | instskip(SKIP_1) | instid1(VALU_DEP_2)
	v_cndmask_b32_e64 v7, 0x7fff, v5, s3
	v_cmp_gt_i16_e64 s3, 0, v5
	v_and_b32_e32 v7, 0xffff, v7
	s_delay_alu instid0(VALU_DEP_2) | instskip(NEXT) | instid1(VALU_DEP_1)
	v_cndmask_b32_e64 v10, 0x7fff, 0, s3
	v_dual_lshrrev_b32 v7, s20, v7 :: v_dual_bitop2_b32 v5, v10, v5 bitop3:0x14
	s_delay_alu instid0(VALU_DEP_1) | instskip(NEXT) | instid1(VALU_DEP_1)
	v_and_b32_e32 v7, s29, v7
	v_lshlrev_b32_e32 v7, 3, v7
	ds_load_b64 v[8:9], v7
	v_mov_b32_e32 v7, 0
	s_wait_dscnt 0x0
	v_lshl_add_u64 v[8:9], v[8:9], 1, s[18:19]
	s_delay_alu instid0(VALU_DEP_1)
	v_add_nc_u64_e32 v[6:7], v[8:9], v[6:7]
	global_store_b16 v[6:7], v5, off offset:10240
.LBB2163_95:
	s_wait_xcnt 0x0
	s_or_b32 exec_lo, exec_lo, s4
	v_add_nc_u32_e32 v5, 0x1600, v14
	s_mov_b32 s4, exec_lo
	s_delay_alu instid0(VALU_DEP_1)
	v_cmpx_gt_u32_e64 s22, v5
	s_cbranch_execz .LBB2163_97
; %bb.96:
	v_lshlrev_b32_e32 v6, 1, v14
	ds_load_u16 v5, v6 offset:13312
	s_wait_dscnt 0x0
	v_cmp_ne_u16_e64 s3, 0x8000, v5
	s_delay_alu instid0(VALU_DEP_1) | instskip(SKIP_1) | instid1(VALU_DEP_2)
	v_cndmask_b32_e64 v7, 0x7fff, v5, s3
	v_cmp_gt_i16_e64 s3, 0, v5
	v_and_b32_e32 v7, 0xffff, v7
	s_delay_alu instid0(VALU_DEP_2) | instskip(NEXT) | instid1(VALU_DEP_1)
	v_cndmask_b32_e64 v10, 0x7fff, 0, s3
	v_dual_lshrrev_b32 v7, s20, v7 :: v_dual_bitop2_b32 v5, v10, v5 bitop3:0x14
	s_delay_alu instid0(VALU_DEP_1) | instskip(NEXT) | instid1(VALU_DEP_1)
	v_and_b32_e32 v7, s29, v7
	v_lshlrev_b32_e32 v7, 3, v7
	ds_load_b64 v[8:9], v7
	v_mov_b32_e32 v7, 0
	s_wait_dscnt 0x0
	v_lshl_add_u64 v[8:9], v[8:9], 1, s[18:19]
	s_delay_alu instid0(VALU_DEP_1)
	v_add_nc_u64_e32 v[6:7], v[8:9], v[6:7]
	global_store_b16 v[6:7], v5, off offset:11264
.LBB2163_97:
	s_wait_xcnt 0x0
	s_or_b32 exec_lo, exec_lo, s4
	s_add_co_i32 s25, s25, -1
	s_delay_alu instid0(SALU_CYCLE_1) | instskip(SKIP_2) | instid1(SALU_CYCLE_1)
	s_cmp_eq_u32 s23, s25
	s_cselect_b32 s3, -1, 0
	s_xor_b32 s4, vcc_lo, -1
	s_and_b32 s4, s4, s3
	s_delay_alu instid0(SALU_CYCLE_1)
	s_and_saveexec_b32 s3, s4
	s_cbranch_execz .LBB2163_99
; %bb.98:
	ds_load_b64 v[6:7], v1
	v_mov_b32_e32 v5, 0
	s_delay_alu instid0(VALU_DEP_1) | instskip(SKIP_1) | instid1(VALU_DEP_1)
	v_add_nc_u64_e32 v[2:3], v[2:3], v[4:5]
	s_wait_dscnt 0x0
	v_add_nc_u64_e32 v[2:3], v[2:3], v[6:7]
	global_store_b64 v14, v[2:3], s[14:15] scale_offset
.LBB2163_99:
	s_wait_xcnt 0x0
	s_or_b32 exec_lo, exec_lo, s3
	s_mov_b32 s4, 0
.LBB2163_100:
	s_delay_alu instid0(SALU_CYCLE_1)
	s_and_b32 vcc_lo, exec_lo, s4
	s_cbranch_vccz .LBB2163_147
; %bb.101:
	s_mov_b32 s25, 0
	v_dual_mov_b32 v9, 0 :: v_dual_lshlrev_b32 v8, 1, v15
	s_lshl_b64 s[4:5], s[24:25], 1
	v_mul_u32_u24_e32 v1, 12, v16
	s_add_nc_u64 s[4:5], s[16:17], s[4:5]
	v_bfe_u32 v12, v0, 10, 10
	v_add_nc_u64_e32 v[2:3], s[4:5], v[8:9]
	v_bfe_u32 v0, v0, 20, 10
	v_lshlrev_b32_e32 v8, 1, v1
	s_delay_alu instid0(VALU_DEP_1)
	v_add_nc_u64_e32 v[18:19], v[2:3], v[8:9]
	s_clause 0xb
	global_load_u16 v8, v[18:19], off
	global_load_u16 v10, v[18:19], off offset:64
	global_load_u16 v13, v[18:19], off offset:128
	;; [unrolled: 1-line block ×11, first 2 shown]
	s_clause 0x1
	s_load_b32 s8, s[0:1], 0x58
	s_load_u16 s3, s[0:1], 0x66
	s_wait_xcnt 0x0
	s_bfe_u32 s0, ttmp6, 0x4000c
	s_and_b32 s1, ttmp6, 15
	s_add_co_i32 s0, s0, 1
	s_delay_alu instid0(SALU_CYCLE_1) | instskip(NEXT) | instid1(SALU_CYCLE_1)
	s_mul_i32 s0, ttmp9, s0
	s_add_co_i32 s1, s1, s0
	s_cmp_eq_u32 s28, 0
	s_cselect_b32 s0, ttmp9, s1
	s_wait_kmcnt 0x0
	s_cmp_lt_u32 s0, s8
	v_mad_u32_u24 v0, v0, s3, v12
	s_cselect_b32 s24, 12, 18
	s_lshl_b32 s9, -1, s21
	s_add_nc_u64 s[0:1], s[26:27], s[24:25]
	s_load_u16 s16, s[0:1], 0x0
	s_wait_kmcnt 0x0
	v_mad_u32 v0, v0, s16, v14
	s_delay_alu instid0(VALU_DEP_1) | instskip(NEXT) | instid1(VALU_DEP_1)
	v_lshrrev_b32_e32 v0, 5, v0
	v_lshlrev_b32_e32 v0, 2, v0
	s_wait_loadcnt 0xb
	v_cmp_gt_i16_e32 vcc_lo, 0, v8
	v_cndmask_b32_e64 v11, 0x7fff, 0, vcc_lo
	s_delay_alu instid0(VALU_DEP_1) | instskip(NEXT) | instid1(VALU_DEP_1)
	v_xor_b32_e32 v8, v11, v8
	v_cmp_ne_u16_e32 vcc_lo, 0x8000, v8
	v_cndmask_b32_e32 v11, 0x7fff, v8, vcc_lo
	s_delay_alu instid0(VALU_DEP_1) | instskip(NEXT) | instid1(VALU_DEP_1)
	v_and_b32_e32 v11, 0xffff, v11
	v_lshrrev_b32_e32 v11, s20, v11
	s_delay_alu instid0(VALU_DEP_1) | instskip(SKIP_2) | instid1(VALU_DEP_2)
	v_bitop3_b32 v12, v11, 1, s9 bitop3:0x40
	v_bitop3_b32 v18, v11, s9, v11 bitop3:0x30
	s_not_b32 s9, s9
	v_add_co_u32 v11, s0, v12, -1
	s_delay_alu instid0(VALU_DEP_1) | instskip(NEXT) | instid1(VALU_DEP_3)
	v_cndmask_b32_e64 v12, 0, 1, s0
	v_dual_lshlrev_b32 v17, 30, v18 :: v_dual_lshlrev_b32 v19, 29, v18
	v_dual_lshlrev_b32 v21, 28, v18 :: v_dual_lshlrev_b32 v22, 27, v18
	s_delay_alu instid0(VALU_DEP_3) | instskip(NEXT) | instid1(VALU_DEP_3)
	v_cmp_ne_u32_e32 vcc_lo, 0, v12
	v_not_b32_e32 v12, v17
	v_dual_lshlrev_b32 v23, 26, v18 :: v_dual_lshlrev_b32 v25, 25, v18
	v_lshlrev_b32_e32 v26, 24, v18
	v_cmp_gt_i32_e64 s0, 0, v17
	v_cmp_gt_i32_e64 s1, 0, v19
	v_not_b32_e32 v17, v19
	v_not_b32_e32 v19, v21
	v_ashrrev_i32_e32 v12, 31, v12
	v_cmp_gt_i32_e64 s3, 0, v21
	v_cmp_gt_i32_e64 s4, 0, v22
	v_not_b32_e32 v21, v22
	v_not_b32_e32 v22, v23
	v_dual_ashrrev_i32 v17, 31, v17 :: v_dual_bitop2_b32 v11, vcc_lo, v11 bitop3:0x14
	v_dual_ashrrev_i32 v19, 31, v19 :: v_dual_bitop2_b32 v12, s0, v12 bitop3:0x14
	v_cmp_gt_i32_e64 s5, 0, v23
	v_cmp_gt_i32_e64 s6, 0, v25
	v_not_b32_e32 v23, v25
	v_not_b32_e32 v25, v26
	v_dual_ashrrev_i32 v21, 31, v21 :: v_dual_ashrrev_i32 v22, 31, v22
	v_xor_b32_e32 v17, s1, v17
	v_xor_b32_e32 v19, s3, v19
	v_bitop3_b32 v11, v11, v12, exec_lo bitop3:0x80
	v_cmp_gt_i32_e64 s7, 0, v26
	v_dual_ashrrev_i32 v12, 31, v23 :: v_dual_ashrrev_i32 v23, 31, v25
	v_xor_b32_e32 v21, s4, v21
	v_xor_b32_e32 v22, s5, v22
	v_bitop3_b32 v11, v11, v19, v17 bitop3:0x80
	s_delay_alu instid0(VALU_DEP_4) | instskip(SKIP_1) | instid1(VALU_DEP_3)
	v_xor_b32_e32 v12, s6, v12
	v_xor_b32_e32 v17, s7, v23
	v_bitop3_b32 v19, v11, v22, v21 bitop3:0x80
	v_mul_u32_u24_e32 v11, 36, v14
	ds_store_2addr_b32 v11, v9, v9 offset0:16 offset1:17
	ds_store_2addr_b32 v11, v9, v9 offset0:18 offset1:19
	;; [unrolled: 1-line block ×4, first 2 shown]
	v_bitop3_b32 v17, v19, v17, v12 bitop3:0x80
	ds_store_b32 v11, v9 offset:96
	v_mad_u32_u24 v12, 0x44, v18, v0
	s_wait_storecnt 0x0
	s_wait_loadcnt_dscnt 0x0
	s_barrier_signal -1
	v_mbcnt_lo_u32_b32 v9, v17, 0
	v_cmp_ne_u32_e64 s0, 0, v17
	s_barrier_wait -1
	s_delay_alu instid0(VALU_DEP_2) | instskip(SKIP_1) | instid1(SALU_CYCLE_1)
	v_cmp_eq_u32_e32 vcc_lo, 0, v9
	; wave barrier
	s_and_b32 s1, s0, vcc_lo
	s_and_saveexec_b32 s0, s1
; %bb.102:
	v_bcnt_u32_b32 v17, v17, 0
	ds_store_b32 v12, v17 offset:64
; %bb.103:
	s_or_b32 exec_lo, exec_lo, s0
	v_cmp_gt_i16_e32 vcc_lo, 0, v10
	; wave barrier
	v_cndmask_b32_e64 v17, 0x7fff, 0, vcc_lo
	s_delay_alu instid0(VALU_DEP_1) | instskip(NEXT) | instid1(VALU_DEP_1)
	v_xor_b32_e32 v10, v17, v10
	v_cmp_ne_u16_e32 vcc_lo, 0x8000, v10
	v_cndmask_b32_e32 v17, 0x7fff, v10, vcc_lo
	s_delay_alu instid0(VALU_DEP_1) | instskip(NEXT) | instid1(VALU_DEP_1)
	v_and_b32_e32 v17, 0xffff, v17
	v_lshrrev_b32_e32 v17, s20, v17
	s_delay_alu instid0(VALU_DEP_1) | instskip(SKIP_1) | instid1(VALU_DEP_2)
	v_bitop3_b32 v18, v17, 1, s9 bitop3:0x80
	v_and_b32_e32 v17, s9, v17
	v_add_co_u32 v18, s0, v18, -1
	s_delay_alu instid0(VALU_DEP_1) | instskip(NEXT) | instid1(VALU_DEP_3)
	v_cndmask_b32_e64 v19, 0, 1, s0
	v_lshlrev_b32_e32 v21, 30, v17
	s_delay_alu instid0(VALU_DEP_2) | instskip(NEXT) | instid1(VALU_DEP_2)
	v_cmp_ne_u32_e32 vcc_lo, 0, v19
	v_not_b32_e32 v19, v21
	s_delay_alu instid0(VALU_DEP_1) | instskip(SKIP_4) | instid1(VALU_DEP_4)
	v_dual_ashrrev_i32 v19, 31, v19 :: v_dual_bitop2_b32 v18, vcc_lo, v18 bitop3:0x14
	v_dual_lshlrev_b32 v22, 29, v17 :: v_dual_lshlrev_b32 v23, 28, v17
	v_dual_lshlrev_b32 v25, 27, v17 :: v_dual_lshlrev_b32 v26, 26, v17
	v_lshlrev_b32_e32 v27, 25, v17
	v_cmp_gt_i32_e64 s0, 0, v21
	v_cmp_gt_i32_e64 s1, 0, v22
	v_not_b32_e32 v21, v22
	v_not_b32_e32 v22, v23
	v_lshlrev_b32_e32 v28, 24, v17
	v_cmp_gt_i32_e64 s3, 0, v23
	v_cmp_gt_i32_e64 s4, 0, v25
	v_not_b32_e32 v23, v25
	v_not_b32_e32 v25, v26
	v_dual_ashrrev_i32 v21, 31, v21 :: v_dual_ashrrev_i32 v22, 31, v22
	v_xor_b32_e32 v19, s0, v19
	v_cmp_gt_i32_e64 s5, 0, v26
	v_cmp_gt_i32_e64 s6, 0, v27
	v_not_b32_e32 v26, v27
	v_not_b32_e32 v27, v28
	v_dual_ashrrev_i32 v23, 31, v23 :: v_dual_bitop2_b32 v21, s1, v21 bitop3:0x14
	v_dual_ashrrev_i32 v25, 31, v25 :: v_dual_bitop2_b32 v22, s3, v22 bitop3:0x14
	s_delay_alu instid0(VALU_DEP_3) | instskip(SKIP_4) | instid1(VALU_DEP_4)
	v_ashrrev_i32_e32 v27, 31, v27
	v_bitop3_b32 v18, v18, v19, exec_lo bitop3:0x80
	v_cmp_gt_i32_e64 s7, 0, v28
	v_dual_ashrrev_i32 v26, 31, v26 :: v_dual_bitop2_b32 v23, s4, v23 bitop3:0x14
	v_xor_b32_e32 v25, s5, v25
	v_bitop3_b32 v18, v18, v22, v21 bitop3:0x80
	v_mad_u32_u24 v19, 0x44, v17, v0
	s_delay_alu instid0(VALU_DEP_4) | instskip(SKIP_1) | instid1(VALU_DEP_4)
	v_xor_b32_e32 v21, s6, v26
	v_xor_b32_e32 v22, s7, v27
	v_bitop3_b32 v18, v18, v25, v23 bitop3:0x80
	ds_load_b32 v17, v19 offset:64
	; wave barrier
	v_bitop3_b32 v21, v18, v22, v21 bitop3:0x80
	s_delay_alu instid0(VALU_DEP_1) | instskip(SKIP_1) | instid1(VALU_DEP_2)
	v_mbcnt_lo_u32_b32 v18, v21, 0
	v_cmp_ne_u32_e64 s0, 0, v21
	v_cmp_eq_u32_e32 vcc_lo, 0, v18
	s_and_b32 s1, s0, vcc_lo
	s_delay_alu instid0(SALU_CYCLE_1)
	s_and_saveexec_b32 s0, s1
	s_cbranch_execz .LBB2163_105
; %bb.104:
	s_wait_dscnt 0x0
	v_bcnt_u32_b32 v21, v21, v17
	ds_store_b32 v19, v21 offset:64
.LBB2163_105:
	s_or_b32 exec_lo, exec_lo, s0
	v_cmp_gt_i16_e32 vcc_lo, 0, v13
	; wave barrier
	v_cndmask_b32_e64 v21, 0x7fff, 0, vcc_lo
	s_delay_alu instid0(VALU_DEP_1) | instskip(NEXT) | instid1(VALU_DEP_1)
	v_xor_b32_e32 v13, v21, v13
	v_cmp_ne_u16_e32 vcc_lo, 0x8000, v13
	v_cndmask_b32_e32 v21, 0x7fff, v13, vcc_lo
	s_delay_alu instid0(VALU_DEP_1) | instskip(NEXT) | instid1(VALU_DEP_1)
	v_and_b32_e32 v21, 0xffff, v21
	v_lshrrev_b32_e32 v21, s20, v21
	s_delay_alu instid0(VALU_DEP_1) | instskip(NEXT) | instid1(VALU_DEP_1)
	v_bitop3_b32 v22, v21, 1, s9 bitop3:0x80
	v_add_co_u32 v22, s0, v22, -1
	s_delay_alu instid0(VALU_DEP_1) | instskip(NEXT) | instid1(VALU_DEP_1)
	v_cndmask_b32_e64 v23, 0, 1, s0
	v_cmp_ne_u32_e32 vcc_lo, 0, v23
	s_delay_alu instid0(VALU_DEP_3) | instskip(SKIP_1) | instid1(VALU_DEP_1)
	v_xor_b32_e32 v22, vcc_lo, v22
	v_and_b32_e32 v21, s9, v21
	v_dual_lshlrev_b32 v25, 30, v21 :: v_dual_lshlrev_b32 v26, 29, v21
	v_dual_lshlrev_b32 v27, 28, v21 :: v_dual_lshlrev_b32 v28, 27, v21
	s_delay_alu instid0(VALU_DEP_2) | instskip(SKIP_1) | instid1(VALU_DEP_4)
	v_cmp_gt_i32_e64 s0, 0, v25
	v_not_b32_e32 v23, v25
	v_cmp_gt_i32_e64 s1, 0, v26
	v_not_b32_e32 v25, v26
	;; [unrolled: 2-line block ×3, first 2 shown]
	v_not_b32_e32 v27, v28
	v_ashrrev_i32_e32 v23, 31, v23
	v_cmp_gt_i32_e64 s4, 0, v28
	s_delay_alu instid0(VALU_DEP_3) | instskip(SKIP_1) | instid1(VALU_DEP_4)
	v_dual_ashrrev_i32 v26, 31, v26 :: v_dual_ashrrev_i32 v27, 31, v27
	v_dual_lshlrev_b32 v29, 26, v21 :: v_dual_lshlrev_b32 v30, 25, v21
	v_dual_lshlrev_b32 v31, 24, v21 :: v_dual_bitop2_b32 v23, s0, v23 bitop3:0x14
	s_delay_alu instid0(VALU_DEP_3) | instskip(NEXT) | instid1(VALU_DEP_3)
	v_xor_b32_e32 v27, s4, v27
	v_not_b32_e32 v28, v29
	v_ashrrev_i32_e32 v25, 31, v25
	v_cmp_gt_i32_e64 s5, 0, v29
	v_cmp_gt_i32_e64 s6, 0, v30
	v_not_b32_e32 v29, v30
	v_not_b32_e32 v30, v31
	v_dual_ashrrev_i32 v28, 31, v28 :: v_dual_bitop2_b32 v25, s1, v25 bitop3:0x14
	s_delay_alu instid0(VALU_DEP_3) | instskip(SKIP_2) | instid1(VALU_DEP_4)
	v_dual_ashrrev_i32 v29, 31, v29 :: v_dual_bitop2_b32 v26, s3, v26 bitop3:0x14
	v_bitop3_b32 v22, v22, v23, exec_lo bitop3:0x80
	v_cmp_gt_i32_e64 s7, 0, v31
	v_dual_ashrrev_i32 v30, 31, v30 :: v_dual_bitop2_b32 v28, s5, v28 bitop3:0x14
	v_mad_u32_u24 v23, 0x44, v21, v0
	s_delay_alu instid0(VALU_DEP_4) | instskip(SKIP_1) | instid1(VALU_DEP_4)
	v_bitop3_b32 v22, v22, v26, v25 bitop3:0x80
	v_xor_b32_e32 v25, s6, v29
	v_xor_b32_e32 v26, s7, v30
	ds_load_b32 v21, v23 offset:64
	v_bitop3_b32 v22, v22, v28, v27 bitop3:0x80
	; wave barrier
	s_delay_alu instid0(VALU_DEP_1) | instskip(NEXT) | instid1(VALU_DEP_1)
	v_bitop3_b32 v25, v22, v26, v25 bitop3:0x80
	v_mbcnt_lo_u32_b32 v22, v25, 0
	v_cmp_ne_u32_e64 s0, 0, v25
	s_delay_alu instid0(VALU_DEP_2) | instskip(SKIP_1) | instid1(SALU_CYCLE_1)
	v_cmp_eq_u32_e32 vcc_lo, 0, v22
	s_and_b32 s1, s0, vcc_lo
	s_and_saveexec_b32 s0, s1
	s_cbranch_execz .LBB2163_107
; %bb.106:
	s_wait_dscnt 0x0
	v_bcnt_u32_b32 v25, v25, v21
	ds_store_b32 v23, v25 offset:64
.LBB2163_107:
	s_or_b32 exec_lo, exec_lo, s0
	v_cmp_gt_i16_e32 vcc_lo, 0, v20
	; wave barrier
	v_cndmask_b32_e64 v25, 0x7fff, 0, vcc_lo
	s_delay_alu instid0(VALU_DEP_1) | instskip(NEXT) | instid1(VALU_DEP_1)
	v_xor_b32_e32 v20, v25, v20
	v_cmp_ne_u16_e32 vcc_lo, 0x8000, v20
	v_cndmask_b32_e32 v25, 0x7fff, v20, vcc_lo
	s_delay_alu instid0(VALU_DEP_1) | instskip(NEXT) | instid1(VALU_DEP_1)
	v_and_b32_e32 v25, 0xffff, v25
	v_lshrrev_b32_e32 v25, s20, v25
	s_delay_alu instid0(VALU_DEP_1) | instskip(SKIP_1) | instid1(VALU_DEP_2)
	v_bitop3_b32 v26, v25, 1, s9 bitop3:0x80
	v_and_b32_e32 v25, s9, v25
	v_add_co_u32 v26, s0, v26, -1
	s_delay_alu instid0(VALU_DEP_1) | instskip(NEXT) | instid1(VALU_DEP_3)
	v_cndmask_b32_e64 v27, 0, 1, s0
	v_lshlrev_b32_e32 v28, 30, v25
	s_delay_alu instid0(VALU_DEP_2) | instskip(NEXT) | instid1(VALU_DEP_2)
	v_cmp_ne_u32_e32 vcc_lo, 0, v27
	v_not_b32_e32 v27, v28
	s_delay_alu instid0(VALU_DEP_1) | instskip(SKIP_4) | instid1(VALU_DEP_4)
	v_dual_ashrrev_i32 v27, 31, v27 :: v_dual_bitop2_b32 v26, vcc_lo, v26 bitop3:0x14
	v_dual_lshlrev_b32 v29, 29, v25 :: v_dual_lshlrev_b32 v30, 28, v25
	v_dual_lshlrev_b32 v31, 27, v25 :: v_dual_lshlrev_b32 v32, 26, v25
	v_lshlrev_b32_e32 v33, 25, v25
	v_cmp_gt_i32_e64 s0, 0, v28
	v_cmp_gt_i32_e64 s1, 0, v29
	v_not_b32_e32 v28, v29
	v_not_b32_e32 v29, v30
	v_lshlrev_b32_e32 v34, 24, v25
	v_cmp_gt_i32_e64 s3, 0, v30
	v_cmp_gt_i32_e64 s4, 0, v31
	v_not_b32_e32 v30, v31
	v_cmp_gt_i32_e64 s5, 0, v32
	v_not_b32_e32 v31, v32
	v_not_b32_e32 v32, v33
	v_dual_ashrrev_i32 v28, 31, v28 :: v_dual_ashrrev_i32 v29, 31, v29
	v_xor_b32_e32 v27, s0, v27
	v_cmp_gt_i32_e64 s6, 0, v33
	v_not_b32_e32 v33, v34
	v_dual_ashrrev_i32 v30, 31, v30 :: v_dual_ashrrev_i32 v31, 31, v31
	v_xor_b32_e32 v28, s1, v28
	v_dual_ashrrev_i32 v32, 31, v32 :: v_dual_bitop2_b32 v29, s3, v29 bitop3:0x14
	v_bitop3_b32 v26, v26, v27, exec_lo bitop3:0x80
	v_cmp_gt_i32_e64 s7, 0, v34
	v_dual_ashrrev_i32 v33, 31, v33 :: v_dual_bitop2_b32 v30, s4, v30 bitop3:0x14
	v_xor_b32_e32 v31, s5, v31
	s_delay_alu instid0(VALU_DEP_4) | instskip(SKIP_3) | instid1(VALU_DEP_4)
	v_bitop3_b32 v26, v26, v29, v28 bitop3:0x80
	v_mad_u32_u24 v27, 0x44, v25, v0
	v_xor_b32_e32 v28, s6, v32
	v_xor_b32_e32 v29, s7, v33
	v_bitop3_b32 v26, v26, v31, v30 bitop3:0x80
	ds_load_b32 v25, v27 offset:64
	; wave barrier
	v_bitop3_b32 v28, v26, v29, v28 bitop3:0x80
	s_delay_alu instid0(VALU_DEP_1) | instskip(SKIP_1) | instid1(VALU_DEP_2)
	v_mbcnt_lo_u32_b32 v26, v28, 0
	v_cmp_ne_u32_e64 s0, 0, v28
	v_cmp_eq_u32_e32 vcc_lo, 0, v26
	s_and_b32 s1, s0, vcc_lo
	s_delay_alu instid0(SALU_CYCLE_1)
	s_and_saveexec_b32 s0, s1
	s_cbranch_execz .LBB2163_109
; %bb.108:
	s_wait_dscnt 0x0
	v_bcnt_u32_b32 v28, v28, v25
	ds_store_b32 v27, v28 offset:64
.LBB2163_109:
	s_or_b32 exec_lo, exec_lo, s0
	v_cmp_gt_i16_e32 vcc_lo, 0, v24
	; wave barrier
	v_cndmask_b32_e64 v28, 0x7fff, 0, vcc_lo
	s_delay_alu instid0(VALU_DEP_1) | instskip(NEXT) | instid1(VALU_DEP_1)
	v_xor_b32_e32 v24, v28, v24
	v_cmp_ne_u16_e32 vcc_lo, 0x8000, v24
	v_cndmask_b32_e32 v28, 0x7fff, v24, vcc_lo
	s_delay_alu instid0(VALU_DEP_1) | instskip(NEXT) | instid1(VALU_DEP_1)
	v_and_b32_e32 v28, 0xffff, v28
	v_lshrrev_b32_e32 v28, s20, v28
	s_delay_alu instid0(VALU_DEP_1) | instskip(NEXT) | instid1(VALU_DEP_1)
	v_bitop3_b32 v29, v28, 1, s9 bitop3:0x80
	v_add_co_u32 v29, s0, v29, -1
	s_delay_alu instid0(VALU_DEP_1) | instskip(NEXT) | instid1(VALU_DEP_1)
	v_cndmask_b32_e64 v30, 0, 1, s0
	v_cmp_ne_u32_e32 vcc_lo, 0, v30
	s_delay_alu instid0(VALU_DEP_3) | instskip(SKIP_1) | instid1(VALU_DEP_1)
	v_xor_b32_e32 v29, vcc_lo, v29
	v_and_b32_e32 v28, s9, v28
	v_dual_lshlrev_b32 v31, 30, v28 :: v_dual_lshlrev_b32 v32, 29, v28
	v_dual_lshlrev_b32 v33, 28, v28 :: v_dual_lshlrev_b32 v34, 27, v28
	s_delay_alu instid0(VALU_DEP_2) | instskip(SKIP_1) | instid1(VALU_DEP_4)
	v_cmp_gt_i32_e64 s0, 0, v31
	v_not_b32_e32 v30, v31
	v_cmp_gt_i32_e64 s1, 0, v32
	v_not_b32_e32 v31, v32
	;; [unrolled: 2-line block ×3, first 2 shown]
	v_not_b32_e32 v33, v34
	v_ashrrev_i32_e32 v30, 31, v30
	v_cmp_gt_i32_e64 s4, 0, v34
	s_delay_alu instid0(VALU_DEP_3) | instskip(SKIP_1) | instid1(VALU_DEP_4)
	v_dual_ashrrev_i32 v31, 31, v31 :: v_dual_ashrrev_i32 v33, 31, v33
	v_dual_lshlrev_b32 v35, 26, v28 :: v_dual_lshlrev_b32 v36, 25, v28
	v_dual_lshlrev_b32 v37, 24, v28 :: v_dual_bitop2_b32 v30, s0, v30 bitop3:0x14
	s_delay_alu instid0(VALU_DEP_3) | instskip(NEXT) | instid1(VALU_DEP_3)
	v_xor_b32_e32 v33, s4, v33
	v_not_b32_e32 v34, v35
	v_ashrrev_i32_e32 v32, 31, v32
	v_cmp_gt_i32_e64 s5, 0, v35
	v_cmp_gt_i32_e64 s6, 0, v36
	v_not_b32_e32 v35, v36
	v_not_b32_e32 v36, v37
	v_dual_ashrrev_i32 v34, 31, v34 :: v_dual_bitop2_b32 v31, s1, v31 bitop3:0x14
	v_xor_b32_e32 v32, s3, v32
	v_bitop3_b32 v29, v29, v30, exec_lo bitop3:0x80
	v_cmp_gt_i32_e64 s7, 0, v37
	v_dual_ashrrev_i32 v30, 31, v35 :: v_dual_ashrrev_i32 v35, 31, v36
	v_xor_b32_e32 v34, s5, v34
	s_delay_alu instid0(VALU_DEP_4) | instskip(SKIP_1) | instid1(VALU_DEP_4)
	v_bitop3_b32 v29, v29, v32, v31 bitop3:0x80
	v_mad_u32_u24 v31, 0x44, v28, v0
	v_xor_b32_e32 v30, s6, v30
	v_xor_b32_e32 v32, s7, v35
	s_delay_alu instid0(VALU_DEP_4) | instskip(SKIP_2) | instid1(VALU_DEP_1)
	v_bitop3_b32 v29, v29, v34, v33 bitop3:0x80
	ds_load_b32 v28, v31 offset:64
	; wave barrier
	v_bitop3_b32 v29, v29, v32, v30 bitop3:0x80
	v_mbcnt_lo_u32_b32 v30, v29, 0
	v_cmp_ne_u32_e64 s0, 0, v29
	s_delay_alu instid0(VALU_DEP_2) | instskip(SKIP_1) | instid1(SALU_CYCLE_1)
	v_cmp_eq_u32_e32 vcc_lo, 0, v30
	s_and_b32 s1, s0, vcc_lo
	s_and_saveexec_b32 s0, s1
	s_cbranch_execz .LBB2163_111
; %bb.110:
	s_wait_dscnt 0x0
	v_bcnt_u32_b32 v29, v29, v28
	ds_store_b32 v31, v29 offset:64
.LBB2163_111:
	s_or_b32 exec_lo, exec_lo, s0
	v_cmp_gt_i16_e32 vcc_lo, 0, v7
	; wave barrier
	v_cndmask_b32_e64 v29, 0x7fff, 0, vcc_lo
	s_delay_alu instid0(VALU_DEP_1) | instskip(NEXT) | instid1(VALU_DEP_1)
	v_xor_b32_e32 v29, v29, v7
	v_cmp_ne_u16_e32 vcc_lo, 0x8000, v29
	v_cndmask_b32_e32 v7, 0x7fff, v29, vcc_lo
	s_delay_alu instid0(VALU_DEP_1) | instskip(NEXT) | instid1(VALU_DEP_1)
	v_and_b32_e32 v7, 0xffff, v7
	v_lshrrev_b32_e32 v7, s20, v7
	s_delay_alu instid0(VALU_DEP_1) | instskip(SKIP_1) | instid1(VALU_DEP_2)
	v_bitop3_b32 v32, v7, 1, s9 bitop3:0x80
	v_and_b32_e32 v7, s9, v7
	v_add_co_u32 v32, s0, v32, -1
	s_delay_alu instid0(VALU_DEP_1) | instskip(NEXT) | instid1(VALU_DEP_3)
	v_cndmask_b32_e64 v33, 0, 1, s0
	v_lshlrev_b32_e32 v34, 30, v7
	s_delay_alu instid0(VALU_DEP_2) | instskip(NEXT) | instid1(VALU_DEP_2)
	v_cmp_ne_u32_e32 vcc_lo, 0, v33
	v_not_b32_e32 v33, v34
	s_delay_alu instid0(VALU_DEP_1) | instskip(SKIP_4) | instid1(VALU_DEP_4)
	v_dual_ashrrev_i32 v33, 31, v33 :: v_dual_bitop2_b32 v32, vcc_lo, v32 bitop3:0x14
	v_dual_lshlrev_b32 v35, 29, v7 :: v_dual_lshlrev_b32 v36, 28, v7
	v_dual_lshlrev_b32 v37, 27, v7 :: v_dual_lshlrev_b32 v38, 26, v7
	v_lshlrev_b32_e32 v39, 25, v7
	v_cmp_gt_i32_e64 s0, 0, v34
	v_cmp_gt_i32_e64 s1, 0, v35
	v_not_b32_e32 v34, v35
	v_not_b32_e32 v35, v36
	v_lshlrev_b32_e32 v40, 24, v7
	v_cmp_gt_i32_e64 s3, 0, v36
	v_cmp_gt_i32_e64 s4, 0, v37
	v_not_b32_e32 v36, v37
	v_not_b32_e32 v37, v38
	v_dual_ashrrev_i32 v34, 31, v34 :: v_dual_ashrrev_i32 v35, 31, v35
	v_xor_b32_e32 v33, s0, v33
	v_cmp_gt_i32_e64 s5, 0, v38
	v_cmp_gt_i32_e64 s6, 0, v39
	v_not_b32_e32 v38, v39
	v_not_b32_e32 v39, v40
	v_dual_ashrrev_i32 v36, 31, v36 :: v_dual_ashrrev_i32 v37, 31, v37
	v_xor_b32_e32 v34, s1, v34
	v_xor_b32_e32 v35, s3, v35
	v_bitop3_b32 v32, v32, v33, exec_lo bitop3:0x80
	v_cmp_gt_i32_e64 s7, 0, v40
	v_dual_ashrrev_i32 v33, 31, v38 :: v_dual_ashrrev_i32 v38, 31, v39
	v_xor_b32_e32 v36, s4, v36
	v_xor_b32_e32 v37, s5, v37
	v_bitop3_b32 v32, v32, v35, v34 bitop3:0x80
	v_mad_u32_u24 v35, 0x44, v7, v0
	v_xor_b32_e32 v7, s6, v33
	v_xor_b32_e32 v33, s7, v38
	s_delay_alu instid0(VALU_DEP_4) | instskip(SKIP_2) | instid1(VALU_DEP_1)
	v_bitop3_b32 v34, v32, v37, v36 bitop3:0x80
	ds_load_b32 v32, v35 offset:64
	; wave barrier
	v_bitop3_b32 v7, v34, v33, v7 bitop3:0x80
	v_mbcnt_lo_u32_b32 v33, v7, 0
	v_cmp_ne_u32_e64 s0, 0, v7
	s_delay_alu instid0(VALU_DEP_2) | instskip(SKIP_1) | instid1(SALU_CYCLE_1)
	v_cmp_eq_u32_e32 vcc_lo, 0, v33
	s_and_b32 s1, s0, vcc_lo
	s_and_saveexec_b32 s0, s1
	s_cbranch_execz .LBB2163_113
; %bb.112:
	s_wait_dscnt 0x0
	v_bcnt_u32_b32 v7, v7, v32
	ds_store_b32 v35, v7 offset:64
.LBB2163_113:
	s_or_b32 exec_lo, exec_lo, s0
	v_cmp_gt_i16_e32 vcc_lo, 0, v6
	; wave barrier
	v_cndmask_b32_e64 v7, 0x7fff, 0, vcc_lo
	s_delay_alu instid0(VALU_DEP_1) | instskip(NEXT) | instid1(VALU_DEP_1)
	v_xor_b32_e32 v34, v7, v6
	v_cmp_ne_u16_e32 vcc_lo, 0x8000, v34
	v_cndmask_b32_e32 v6, 0x7fff, v34, vcc_lo
	s_delay_alu instid0(VALU_DEP_1) | instskip(NEXT) | instid1(VALU_DEP_1)
	v_and_b32_e32 v6, 0xffff, v6
	v_lshrrev_b32_e32 v6, s20, v6
	s_delay_alu instid0(VALU_DEP_1) | instskip(SKIP_1) | instid1(VALU_DEP_2)
	v_bitop3_b32 v7, v6, 1, s9 bitop3:0x80
	v_and_b32_e32 v6, s9, v6
	v_add_co_u32 v7, s0, v7, -1
	s_delay_alu instid0(VALU_DEP_1) | instskip(NEXT) | instid1(VALU_DEP_3)
	v_cndmask_b32_e64 v36, 0, 1, s0
	v_lshlrev_b32_e32 v37, 30, v6
	s_delay_alu instid0(VALU_DEP_2) | instskip(NEXT) | instid1(VALU_DEP_2)
	v_cmp_ne_u32_e32 vcc_lo, 0, v36
	v_not_b32_e32 v36, v37
	s_delay_alu instid0(VALU_DEP_1) | instskip(SKIP_4) | instid1(VALU_DEP_4)
	v_dual_ashrrev_i32 v36, 31, v36 :: v_dual_bitop2_b32 v7, vcc_lo, v7 bitop3:0x14
	v_dual_lshlrev_b32 v38, 29, v6 :: v_dual_lshlrev_b32 v39, 28, v6
	v_dual_lshlrev_b32 v40, 27, v6 :: v_dual_lshlrev_b32 v41, 26, v6
	v_lshlrev_b32_e32 v42, 25, v6
	v_cmp_gt_i32_e64 s0, 0, v37
	v_cmp_gt_i32_e64 s1, 0, v38
	v_not_b32_e32 v37, v38
	v_not_b32_e32 v38, v39
	v_lshlrev_b32_e32 v43, 24, v6
	v_cmp_gt_i32_e64 s3, 0, v39
	v_cmp_gt_i32_e64 s4, 0, v40
	v_not_b32_e32 v39, v40
	v_not_b32_e32 v40, v41
	v_dual_ashrrev_i32 v37, 31, v37 :: v_dual_ashrrev_i32 v38, 31, v38
	v_xor_b32_e32 v36, s0, v36
	v_cmp_gt_i32_e64 s5, 0, v41
	v_cmp_gt_i32_e64 s6, 0, v42
	v_not_b32_e32 v41, v42
	v_not_b32_e32 v42, v43
	v_dual_ashrrev_i32 v39, 31, v39 :: v_dual_ashrrev_i32 v40, 31, v40
	v_xor_b32_e32 v37, s1, v37
	v_xor_b32_e32 v38, s3, v38
	v_bitop3_b32 v7, v7, v36, exec_lo bitop3:0x80
	v_cmp_gt_i32_e64 s7, 0, v43
	v_dual_ashrrev_i32 v36, 31, v41 :: v_dual_ashrrev_i32 v41, 31, v42
	v_xor_b32_e32 v42, s4, v39
	v_xor_b32_e32 v40, s5, v40
	v_bitop3_b32 v7, v7, v38, v37 bitop3:0x80
	v_mad_u32_u24 v39, 0x44, v6, v0
	v_xor_b32_e32 v6, s6, v36
	v_xor_b32_e32 v36, s7, v41
	s_delay_alu instid0(VALU_DEP_4) | instskip(SKIP_2) | instid1(VALU_DEP_1)
	v_bitop3_b32 v7, v7, v40, v42 bitop3:0x80
	ds_load_b32 v37, v39 offset:64
	; wave barrier
	v_bitop3_b32 v6, v7, v36, v6 bitop3:0x80
	v_mbcnt_lo_u32_b32 v38, v6, 0
	v_cmp_ne_u32_e64 s0, 0, v6
	s_delay_alu instid0(VALU_DEP_2) | instskip(SKIP_1) | instid1(SALU_CYCLE_1)
	v_cmp_eq_u32_e32 vcc_lo, 0, v38
	s_and_b32 s1, s0, vcc_lo
	s_and_saveexec_b32 s0, s1
	s_cbranch_execz .LBB2163_115
; %bb.114:
	s_wait_dscnt 0x0
	v_bcnt_u32_b32 v6, v6, v37
	ds_store_b32 v39, v6 offset:64
.LBB2163_115:
	s_or_b32 exec_lo, exec_lo, s0
	v_cmp_gt_i16_e32 vcc_lo, 0, v5
	; wave barrier
	v_cndmask_b32_e64 v6, 0x7fff, 0, vcc_lo
	s_delay_alu instid0(VALU_DEP_1) | instskip(NEXT) | instid1(VALU_DEP_1)
	v_xor_b32_e32 v36, v6, v5
	v_cmp_ne_u16_e32 vcc_lo, 0x8000, v36
	v_cndmask_b32_e32 v5, 0x7fff, v36, vcc_lo
	s_delay_alu instid0(VALU_DEP_1) | instskip(NEXT) | instid1(VALU_DEP_1)
	v_and_b32_e32 v5, 0xffff, v5
	v_lshrrev_b32_e32 v5, s20, v5
	s_delay_alu instid0(VALU_DEP_1) | instskip(SKIP_1) | instid1(VALU_DEP_2)
	v_bitop3_b32 v6, v5, 1, s9 bitop3:0x80
	v_and_b32_e32 v5, s9, v5
	v_add_co_u32 v6, s0, v6, -1
	s_delay_alu instid0(VALU_DEP_1) | instskip(NEXT) | instid1(VALU_DEP_3)
	v_cndmask_b32_e64 v7, 0, 1, s0
	v_lshlrev_b32_e32 v40, 30, v5
	s_delay_alu instid0(VALU_DEP_2) | instskip(NEXT) | instid1(VALU_DEP_2)
	v_cmp_ne_u32_e32 vcc_lo, 0, v7
	v_not_b32_e32 v7, v40
	s_delay_alu instid0(VALU_DEP_1) | instskip(SKIP_4) | instid1(VALU_DEP_4)
	v_dual_ashrrev_i32 v7, 31, v7 :: v_dual_bitop2_b32 v6, vcc_lo, v6 bitop3:0x14
	v_dual_lshlrev_b32 v41, 29, v5 :: v_dual_lshlrev_b32 v42, 28, v5
	v_dual_lshlrev_b32 v43, 27, v5 :: v_dual_lshlrev_b32 v44, 26, v5
	;; [unrolled: 1-line block ×3, first 2 shown]
	v_cmp_gt_i32_e64 s0, 0, v40
	v_cmp_gt_i32_e64 s1, 0, v41
	v_not_b32_e32 v40, v41
	v_not_b32_e32 v41, v42
	v_cmp_gt_i32_e64 s3, 0, v42
	v_cmp_gt_i32_e64 s4, 0, v43
	v_not_b32_e32 v42, v43
	v_cmp_gt_i32_e64 s5, 0, v44
	v_not_b32_e32 v43, v44
	;; [unrolled: 2-line block ×3, first 2 shown]
	v_not_b32_e32 v45, v46
	v_dual_ashrrev_i32 v40, 31, v40 :: v_dual_ashrrev_i32 v41, 31, v41
	v_dual_ashrrev_i32 v42, 31, v42 :: v_dual_bitop2_b32 v7, s0, v7 bitop3:0x14
	s_delay_alu instid0(VALU_DEP_2) | instskip(NEXT) | instid1(VALU_DEP_3)
	v_dual_ashrrev_i32 v43, 31, v43 :: v_dual_bitop2_b32 v40, s1, v40 bitop3:0x14
	v_xor_b32_e32 v41, s3, v41
	s_delay_alu instid0(VALU_DEP_3)
	v_bitop3_b32 v6, v6, v7, exec_lo bitop3:0x80
	v_cmp_gt_i32_e64 s7, 0, v46
	v_dual_ashrrev_i32 v7, 31, v44 :: v_dual_ashrrev_i32 v44, 31, v45
	v_xor_b32_e32 v42, s4, v42
	v_xor_b32_e32 v45, s5, v43
	v_bitop3_b32 v6, v6, v41, v40 bitop3:0x80
	v_mad_u32_u24 v43, 0x44, v5, v0
	v_xor_b32_e32 v5, s6, v7
	v_xor_b32_e32 v7, s7, v44
	s_delay_alu instid0(VALU_DEP_4) | instskip(SKIP_2) | instid1(VALU_DEP_1)
	v_bitop3_b32 v6, v6, v45, v42 bitop3:0x80
	ds_load_b32 v41, v43 offset:64
	; wave barrier
	v_bitop3_b32 v5, v6, v7, v5 bitop3:0x80
	v_mbcnt_lo_u32_b32 v42, v5, 0
	v_cmp_ne_u32_e64 s0, 0, v5
	s_delay_alu instid0(VALU_DEP_2) | instskip(SKIP_1) | instid1(SALU_CYCLE_1)
	v_cmp_eq_u32_e32 vcc_lo, 0, v42
	s_and_b32 s1, s0, vcc_lo
	s_and_saveexec_b32 s0, s1
	s_cbranch_execz .LBB2163_117
; %bb.116:
	s_wait_dscnt 0x0
	v_bcnt_u32_b32 v5, v5, v41
	ds_store_b32 v43, v5 offset:64
.LBB2163_117:
	s_or_b32 exec_lo, exec_lo, s0
	v_cmp_gt_i16_e32 vcc_lo, 0, v4
	; wave barrier
	v_cndmask_b32_e64 v5, 0x7fff, 0, vcc_lo
	s_delay_alu instid0(VALU_DEP_1) | instskip(NEXT) | instid1(VALU_DEP_1)
	v_xor_b32_e32 v40, v5, v4
	v_cmp_ne_u16_e32 vcc_lo, 0x8000, v40
	v_cndmask_b32_e32 v4, 0x7fff, v40, vcc_lo
	s_delay_alu instid0(VALU_DEP_1) | instskip(NEXT) | instid1(VALU_DEP_1)
	v_and_b32_e32 v4, 0xffff, v4
	v_lshrrev_b32_e32 v4, s20, v4
	s_delay_alu instid0(VALU_DEP_1) | instskip(SKIP_1) | instid1(VALU_DEP_2)
	v_bitop3_b32 v5, v4, 1, s9 bitop3:0x80
	v_and_b32_e32 v4, s9, v4
	v_add_co_u32 v5, s0, v5, -1
	s_delay_alu instid0(VALU_DEP_1) | instskip(NEXT) | instid1(VALU_DEP_3)
	v_cndmask_b32_e64 v6, 0, 1, s0
	v_lshlrev_b32_e32 v7, 30, v4
	s_delay_alu instid0(VALU_DEP_2) | instskip(NEXT) | instid1(VALU_DEP_2)
	v_cmp_ne_u32_e32 vcc_lo, 0, v6
	v_not_b32_e32 v6, v7
	s_delay_alu instid0(VALU_DEP_1) | instskip(SKIP_4) | instid1(VALU_DEP_4)
	v_dual_ashrrev_i32 v6, 31, v6 :: v_dual_bitop2_b32 v5, vcc_lo, v5 bitop3:0x14
	v_dual_lshlrev_b32 v44, 29, v4 :: v_dual_lshlrev_b32 v45, 28, v4
	v_dual_lshlrev_b32 v46, 27, v4 :: v_dual_lshlrev_b32 v47, 26, v4
	v_lshlrev_b32_e32 v48, 25, v4
	v_cmp_gt_i32_e64 s0, 0, v7
	v_cmp_gt_i32_e64 s1, 0, v44
	v_not_b32_e32 v7, v44
	v_not_b32_e32 v44, v45
	v_lshlrev_b32_e32 v49, 24, v4
	v_cmp_gt_i32_e64 s3, 0, v45
	v_cmp_gt_i32_e64 s4, 0, v46
	v_not_b32_e32 v45, v46
	v_not_b32_e32 v46, v47
	v_dual_ashrrev_i32 v7, 31, v7 :: v_dual_ashrrev_i32 v44, 31, v44
	v_xor_b32_e32 v6, s0, v6
	v_cmp_gt_i32_e64 s5, 0, v47
	v_cmp_gt_i32_e64 s6, 0, v48
	v_not_b32_e32 v47, v48
	v_not_b32_e32 v48, v49
	v_dual_ashrrev_i32 v45, 31, v45 :: v_dual_ashrrev_i32 v46, 31, v46
	v_xor_b32_e32 v7, s1, v7
	v_xor_b32_e32 v44, s3, v44
	v_bitop3_b32 v5, v5, v6, exec_lo bitop3:0x80
	v_cmp_gt_i32_e64 s7, 0, v49
	v_dual_ashrrev_i32 v6, 31, v47 :: v_dual_ashrrev_i32 v48, 31, v48
	v_xor_b32_e32 v45, s4, v45
	v_xor_b32_e32 v46, s5, v46
	v_bitop3_b32 v5, v5, v44, v7 bitop3:0x80
	v_mad_u32_u24 v47, 0x44, v4, v0
	v_xor_b32_e32 v4, s6, v6
	v_xor_b32_e32 v6, s7, v48
	s_delay_alu instid0(VALU_DEP_4) | instskip(SKIP_2) | instid1(VALU_DEP_1)
	v_bitop3_b32 v5, v5, v46, v45 bitop3:0x80
	ds_load_b32 v45, v47 offset:64
	; wave barrier
	v_bitop3_b32 v4, v5, v6, v4 bitop3:0x80
	v_mbcnt_lo_u32_b32 v46, v4, 0
	v_cmp_ne_u32_e64 s0, 0, v4
	s_delay_alu instid0(VALU_DEP_2) | instskip(SKIP_1) | instid1(SALU_CYCLE_1)
	v_cmp_eq_u32_e32 vcc_lo, 0, v46
	s_and_b32 s1, s0, vcc_lo
	s_and_saveexec_b32 s0, s1
	s_cbranch_execz .LBB2163_119
; %bb.118:
	s_wait_dscnt 0x0
	v_bcnt_u32_b32 v4, v4, v45
	ds_store_b32 v47, v4 offset:64
.LBB2163_119:
	s_or_b32 exec_lo, exec_lo, s0
	v_cmp_gt_i16_e32 vcc_lo, 0, v3
	; wave barrier
	v_cndmask_b32_e64 v4, 0x7fff, 0, vcc_lo
	s_delay_alu instid0(VALU_DEP_1) | instskip(NEXT) | instid1(VALU_DEP_1)
	v_xor_b32_e32 v44, v4, v3
	v_cmp_ne_u16_e32 vcc_lo, 0x8000, v44
	v_cndmask_b32_e32 v3, 0x7fff, v44, vcc_lo
	s_delay_alu instid0(VALU_DEP_1) | instskip(NEXT) | instid1(VALU_DEP_1)
	v_and_b32_e32 v3, 0xffff, v3
	v_lshrrev_b32_e32 v3, s20, v3
	s_delay_alu instid0(VALU_DEP_1) | instskip(SKIP_1) | instid1(VALU_DEP_2)
	v_bitop3_b32 v4, v3, 1, s9 bitop3:0x80
	v_and_b32_e32 v3, s9, v3
	v_add_co_u32 v4, s0, v4, -1
	s_delay_alu instid0(VALU_DEP_1) | instskip(NEXT) | instid1(VALU_DEP_3)
	v_cndmask_b32_e64 v5, 0, 1, s0
	v_lshlrev_b32_e32 v6, 30, v3
	s_delay_alu instid0(VALU_DEP_2) | instskip(NEXT) | instid1(VALU_DEP_2)
	v_cmp_ne_u32_e32 vcc_lo, 0, v5
	v_not_b32_e32 v5, v6
	s_delay_alu instid0(VALU_DEP_1) | instskip(SKIP_4) | instid1(VALU_DEP_4)
	v_dual_ashrrev_i32 v5, 31, v5 :: v_dual_bitop2_b32 v4, vcc_lo, v4 bitop3:0x14
	v_dual_lshlrev_b32 v7, 29, v3 :: v_dual_lshlrev_b32 v48, 28, v3
	v_dual_lshlrev_b32 v49, 27, v3 :: v_dual_lshlrev_b32 v50, 26, v3
	v_lshlrev_b32_e32 v51, 25, v3
	v_cmp_gt_i32_e64 s0, 0, v6
	v_cmp_gt_i32_e64 s1, 0, v7
	v_not_b32_e32 v6, v7
	v_not_b32_e32 v7, v48
	v_lshlrev_b32_e32 v52, 24, v3
	v_cmp_gt_i32_e64 s3, 0, v48
	v_cmp_gt_i32_e64 s4, 0, v49
	v_not_b32_e32 v48, v49
	v_not_b32_e32 v49, v50
	v_dual_ashrrev_i32 v6, 31, v6 :: v_dual_ashrrev_i32 v7, 31, v7
	v_xor_b32_e32 v5, s0, v5
	v_cmp_gt_i32_e64 s5, 0, v50
	v_cmp_gt_i32_e64 s6, 0, v51
	v_not_b32_e32 v50, v51
	v_not_b32_e32 v51, v52
	v_dual_ashrrev_i32 v48, 31, v48 :: v_dual_ashrrev_i32 v49, 31, v49
	v_xor_b32_e32 v6, s1, v6
	v_xor_b32_e32 v7, s3, v7
	v_bitop3_b32 v4, v4, v5, exec_lo bitop3:0x80
	v_cmp_gt_i32_e64 s7, 0, v52
	v_dual_ashrrev_i32 v5, 31, v50 :: v_dual_ashrrev_i32 v50, 31, v51
	v_xor_b32_e32 v48, s4, v48
	v_xor_b32_e32 v49, s5, v49
	v_bitop3_b32 v4, v4, v7, v6 bitop3:0x80
	v_mad_u32_u24 v51, 0x44, v3, v0
	v_xor_b32_e32 v3, s6, v5
	v_xor_b32_e32 v5, s7, v50
	s_delay_alu instid0(VALU_DEP_4) | instskip(SKIP_2) | instid1(VALU_DEP_1)
	v_bitop3_b32 v4, v4, v49, v48 bitop3:0x80
	ds_load_b32 v48, v51 offset:64
	; wave barrier
	v_bitop3_b32 v3, v4, v5, v3 bitop3:0x80
	v_mbcnt_lo_u32_b32 v50, v3, 0
	v_cmp_ne_u32_e64 s0, 0, v3
	s_delay_alu instid0(VALU_DEP_2) | instskip(SKIP_1) | instid1(SALU_CYCLE_1)
	v_cmp_eq_u32_e32 vcc_lo, 0, v50
	s_and_b32 s1, s0, vcc_lo
	s_and_saveexec_b32 s0, s1
	s_cbranch_execz .LBB2163_121
; %bb.120:
	s_wait_dscnt 0x0
	v_bcnt_u32_b32 v3, v3, v48
	ds_store_b32 v51, v3 offset:64
.LBB2163_121:
	s_or_b32 exec_lo, exec_lo, s0
	v_cmp_gt_i16_e32 vcc_lo, 0, v2
	; wave barrier
	v_cndmask_b32_e64 v3, 0x7fff, 0, vcc_lo
	s_delay_alu instid0(VALU_DEP_1) | instskip(NEXT) | instid1(VALU_DEP_1)
	v_xor_b32_e32 v49, v3, v2
	v_cmp_ne_u16_e32 vcc_lo, 0x8000, v49
	v_cndmask_b32_e32 v2, 0x7fff, v49, vcc_lo
	s_delay_alu instid0(VALU_DEP_1) | instskip(NEXT) | instid1(VALU_DEP_1)
	v_and_b32_e32 v2, 0xffff, v2
	v_lshrrev_b32_e32 v2, s20, v2
	s_delay_alu instid0(VALU_DEP_1) | instskip(SKIP_1) | instid1(VALU_DEP_2)
	v_bitop3_b32 v3, v2, 1, s9 bitop3:0x80
	v_and_b32_e32 v2, s9, v2
	v_add_co_u32 v3, s0, v3, -1
	s_delay_alu instid0(VALU_DEP_1) | instskip(NEXT) | instid1(VALU_DEP_3)
	v_cndmask_b32_e64 v4, 0, 1, s0
	v_lshlrev_b32_e32 v5, 30, v2
	s_delay_alu instid0(VALU_DEP_2) | instskip(NEXT) | instid1(VALU_DEP_2)
	v_cmp_ne_u32_e32 vcc_lo, 0, v4
	v_not_b32_e32 v4, v5
	s_delay_alu instid0(VALU_DEP_1) | instskip(SKIP_4) | instid1(VALU_DEP_4)
	v_dual_ashrrev_i32 v4, 31, v4 :: v_dual_bitop2_b32 v3, vcc_lo, v3 bitop3:0x14
	v_dual_lshlrev_b32 v6, 29, v2 :: v_dual_lshlrev_b32 v7, 28, v2
	v_dual_lshlrev_b32 v52, 27, v2 :: v_dual_lshlrev_b32 v53, 26, v2
	;; [unrolled: 1-line block ×3, first 2 shown]
	v_cmp_gt_i32_e64 s0, 0, v5
	v_cmp_gt_i32_e64 s1, 0, v6
	v_not_b32_e32 v5, v6
	v_not_b32_e32 v6, v7
	v_cmp_gt_i32_e64 s3, 0, v7
	v_cmp_gt_i32_e64 s4, 0, v52
	v_not_b32_e32 v7, v52
	v_cmp_gt_i32_e64 s5, 0, v53
	v_not_b32_e32 v52, v53
	;; [unrolled: 2-line block ×3, first 2 shown]
	v_not_b32_e32 v54, v55
	v_dual_ashrrev_i32 v5, 31, v5 :: v_dual_ashrrev_i32 v6, 31, v6
	v_dual_ashrrev_i32 v7, 31, v7 :: v_dual_bitop2_b32 v4, s0, v4 bitop3:0x14
	s_delay_alu instid0(VALU_DEP_2) | instskip(NEXT) | instid1(VALU_DEP_3)
	v_dual_ashrrev_i32 v52, 31, v52 :: v_dual_bitop2_b32 v5, s1, v5 bitop3:0x14
	v_xor_b32_e32 v6, s3, v6
	s_delay_alu instid0(VALU_DEP_3)
	v_bitop3_b32 v3, v3, v4, exec_lo bitop3:0x80
	v_cmp_gt_i32_e64 s7, 0, v55
	v_dual_ashrrev_i32 v4, 31, v53 :: v_dual_ashrrev_i32 v53, 31, v54
	v_xor_b32_e32 v7, s4, v7
	v_xor_b32_e32 v52, s5, v52
	v_bitop3_b32 v3, v3, v6, v5 bitop3:0x80
	v_mad_u32_u24 v56, 0x44, v2, v0
	v_xor_b32_e32 v2, s6, v4
	v_xor_b32_e32 v4, s7, v53
	s_delay_alu instid0(VALU_DEP_4) | instskip(SKIP_2) | instid1(VALU_DEP_1)
	v_bitop3_b32 v3, v3, v52, v7 bitop3:0x80
	ds_load_b32 v52, v56 offset:64
	; wave barrier
	v_bitop3_b32 v2, v3, v4, v2 bitop3:0x80
	v_mbcnt_lo_u32_b32 v53, v2, 0
	v_cmp_ne_u32_e64 s0, 0, v2
	s_delay_alu instid0(VALU_DEP_2) | instskip(SKIP_1) | instid1(SALU_CYCLE_1)
	v_cmp_eq_u32_e32 vcc_lo, 0, v53
	s_and_b32 s1, s0, vcc_lo
	s_and_saveexec_b32 s0, s1
	s_cbranch_execz .LBB2163_123
; %bb.122:
	s_wait_dscnt 0x0
	v_bcnt_u32_b32 v2, v2, v52
	ds_store_b32 v56, v2 offset:64
.LBB2163_123:
	s_or_b32 exec_lo, exec_lo, s0
	v_cmp_gt_i16_e32 vcc_lo, 0, v1
	; wave barrier
	v_cndmask_b32_e64 v2, 0x7fff, 0, vcc_lo
	s_delay_alu instid0(VALU_DEP_1) | instskip(NEXT) | instid1(VALU_DEP_1)
	v_xor_b32_e32 v54, v2, v1
	v_cmp_ne_u16_e32 vcc_lo, 0x8000, v54
	v_cndmask_b32_e32 v1, 0x7fff, v54, vcc_lo
	s_delay_alu instid0(VALU_DEP_1) | instskip(NEXT) | instid1(VALU_DEP_1)
	v_and_b32_e32 v1, 0xffff, v1
	v_lshrrev_b32_e32 v1, s20, v1
	s_delay_alu instid0(VALU_DEP_1) | instskip(SKIP_1) | instid1(VALU_DEP_2)
	v_bitop3_b32 v2, v1, 1, s9 bitop3:0x80
	v_and_b32_e32 v1, s9, v1
	v_add_co_u32 v2, s0, v2, -1
	s_delay_alu instid0(VALU_DEP_1) | instskip(NEXT) | instid1(VALU_DEP_3)
	v_cndmask_b32_e64 v3, 0, 1, s0
	v_lshlrev_b32_e32 v4, 30, v1
	s_delay_alu instid0(VALU_DEP_2) | instskip(NEXT) | instid1(VALU_DEP_2)
	v_cmp_ne_u32_e32 vcc_lo, 0, v3
	v_not_b32_e32 v3, v4
	s_delay_alu instid0(VALU_DEP_1) | instskip(SKIP_4) | instid1(VALU_DEP_4)
	v_dual_ashrrev_i32 v3, 31, v3 :: v_dual_bitop2_b32 v2, vcc_lo, v2 bitop3:0x14
	v_dual_lshlrev_b32 v5, 29, v1 :: v_dual_lshlrev_b32 v6, 28, v1
	v_dual_lshlrev_b32 v7, 27, v1 :: v_dual_lshlrev_b32 v55, 26, v1
	v_lshlrev_b32_e32 v57, 25, v1
	v_cmp_gt_i32_e64 s0, 0, v4
	v_cmp_gt_i32_e64 s1, 0, v5
	v_not_b32_e32 v4, v5
	v_not_b32_e32 v5, v6
	v_lshlrev_b32_e32 v58, 24, v1
	v_cmp_gt_i32_e64 s3, 0, v6
	v_cmp_gt_i32_e64 s4, 0, v7
	v_not_b32_e32 v6, v7
	v_not_b32_e32 v7, v55
	v_dual_ashrrev_i32 v4, 31, v4 :: v_dual_ashrrev_i32 v5, 31, v5
	v_xor_b32_e32 v3, s0, v3
	v_cmp_gt_i32_e64 s5, 0, v55
	v_cmp_gt_i32_e64 s6, 0, v57
	v_not_b32_e32 v55, v57
	v_not_b32_e32 v57, v58
	v_dual_ashrrev_i32 v6, 31, v6 :: v_dual_ashrrev_i32 v7, 31, v7
	v_xor_b32_e32 v4, s1, v4
	v_xor_b32_e32 v5, s3, v5
	v_bitop3_b32 v2, v2, v3, exec_lo bitop3:0x80
	v_cmp_gt_i32_e64 s7, 0, v58
	v_dual_ashrrev_i32 v3, 31, v55 :: v_dual_ashrrev_i32 v55, 31, v57
	v_xor_b32_e32 v6, s4, v6
	v_xor_b32_e32 v7, s5, v7
	v_bitop3_b32 v2, v2, v5, v4 bitop3:0x80
	v_mad_u32_u24 v58, 0x44, v1, v0
	v_xor_b32_e32 v0, s6, v3
	v_xor_b32_e32 v1, s7, v55
	s_delay_alu instid0(VALU_DEP_4) | instskip(SKIP_2) | instid1(VALU_DEP_1)
	v_bitop3_b32 v2, v2, v7, v6 bitop3:0x80
	ds_load_b32 v55, v58 offset:64
	; wave barrier
	v_bitop3_b32 v0, v2, v1, v0 bitop3:0x80
	v_mbcnt_lo_u32_b32 v57, v0, 0
	v_cmp_ne_u32_e64 s0, 0, v0
	s_delay_alu instid0(VALU_DEP_2) | instskip(SKIP_1) | instid1(SALU_CYCLE_1)
	v_cmp_eq_u32_e32 vcc_lo, 0, v57
	s_and_b32 s1, s0, vcc_lo
	s_and_saveexec_b32 s0, s1
	s_cbranch_execz .LBB2163_125
; %bb.124:
	s_wait_dscnt 0x0
	v_bcnt_u32_b32 v0, v0, v55
	ds_store_b32 v58, v0 offset:64
.LBB2163_125:
	s_or_b32 exec_lo, exec_lo, s0
	; wave barrier
	s_wait_dscnt 0x0
	s_barrier_signal -1
	s_barrier_wait -1
	ds_load_2addr_b32 v[6:7], v11 offset0:16 offset1:17
	ds_load_2addr_b32 v[4:5], v11 offset0:18 offset1:19
	;; [unrolled: 1-line block ×4, first 2 shown]
	ds_load_b32 v59, v11 offset:96
	v_min_u32_e32 v16, 0x1e0, v16
	s_mov_b32 s5, exec_lo
	s_delay_alu instid0(VALU_DEP_1) | instskip(SKIP_3) | instid1(VALU_DEP_1)
	v_or_b32_e32 v62, 31, v16
	s_wait_dscnt 0x3
	v_add3_u32 v60, v7, v6, v4
	s_wait_dscnt 0x2
	v_add3_u32 v60, v60, v5, v2
	s_wait_dscnt 0x1
	s_delay_alu instid0(VALU_DEP_1) | instskip(SKIP_1) | instid1(VALU_DEP_1)
	v_add3_u32 v60, v60, v3, v0
	s_wait_dscnt 0x0
	v_add3_u32 v59, v60, v1, v59
	v_and_b32_e32 v60, 15, v15
	s_delay_alu instid0(VALU_DEP_2) | instskip(NEXT) | instid1(VALU_DEP_2)
	v_mov_b32_dpp v61, v59 row_shr:1 row_mask:0xf bank_mask:0xf
	v_cmp_eq_u32_e32 vcc_lo, 0, v60
	v_cmp_lt_u32_e64 s0, 1, v60
	s_delay_alu instid0(VALU_DEP_3) | instskip(NEXT) | instid1(VALU_DEP_1)
	v_cndmask_b32_e64 v61, v61, 0, vcc_lo
	v_add_nc_u32_e32 v59, v61, v59
	s_delay_alu instid0(VALU_DEP_1) | instskip(NEXT) | instid1(VALU_DEP_1)
	v_mov_b32_dpp v61, v59 row_shr:2 row_mask:0xf bank_mask:0xf
	v_cndmask_b32_e64 v61, 0, v61, s0
	v_cmp_lt_u32_e64 s3, 7, v60
	v_cmp_lt_u32_e64 s1, 3, v60
	s_delay_alu instid0(VALU_DEP_3) | instskip(NEXT) | instid1(VALU_DEP_1)
	v_add_nc_u32_e32 v59, v59, v61
	v_mov_b32_dpp v61, v59 row_shr:4 row_mask:0xf bank_mask:0xf
	s_delay_alu instid0(VALU_DEP_1) | instskip(NEXT) | instid1(VALU_DEP_1)
	v_cndmask_b32_e64 v61, 0, v61, s1
	v_add_nc_u32_e32 v59, v59, v61
	s_delay_alu instid0(VALU_DEP_1) | instskip(NEXT) | instid1(VALU_DEP_1)
	v_mov_b32_dpp v61, v59 row_shr:8 row_mask:0xf bank_mask:0xf
	v_cndmask_b32_e64 v60, 0, v61, s3
	v_bfe_i32 v61, v15, 4, 1
	s_delay_alu instid0(VALU_DEP_2) | instskip(SKIP_3) | instid1(VALU_DEP_1)
	v_add_nc_u32_e32 v60, v59, v60
	ds_swizzle_b32 v59, v60 offset:swizzle(BROADCAST,32,15)
	s_wait_dscnt 0x0
	v_dual_lshrrev_b32 v59, 5, v14 :: v_dual_bitop2_b32 v61, v61, v59 bitop3:0x40
	v_add_nc_u32_e32 v16, v60, v61
	v_cmpx_eq_u32_e64 v14, v62
; %bb.126:
	s_delay_alu instid0(VALU_DEP_3)
	v_lshlrev_b32_e32 v60, 2, v59
	ds_store_b32 v60, v16
; %bb.127:
	s_or_b32 exec_lo, exec_lo, s5
	s_delay_alu instid0(SALU_CYCLE_1)
	s_mov_b32 s5, exec_lo
	s_wait_dscnt 0x0
	s_barrier_signal -1
	s_barrier_wait -1
	v_cmpx_gt_u32_e32 16, v14
	s_cbranch_execz .LBB2163_129
; %bb.128:
	v_lshlrev_b32_e32 v60, 2, v14
	ds_load_b32 v61, v60
	s_wait_dscnt 0x0
	v_mov_b32_dpp v62, v61 row_shr:1 row_mask:0xf bank_mask:0xf
	s_delay_alu instid0(VALU_DEP_1) | instskip(NEXT) | instid1(VALU_DEP_1)
	v_cndmask_b32_e64 v62, v62, 0, vcc_lo
	v_add_nc_u32_e32 v61, v62, v61
	s_delay_alu instid0(VALU_DEP_1) | instskip(NEXT) | instid1(VALU_DEP_1)
	v_mov_b32_dpp v62, v61 row_shr:2 row_mask:0xf bank_mask:0xf
	v_cndmask_b32_e64 v62, 0, v62, s0
	s_delay_alu instid0(VALU_DEP_1) | instskip(NEXT) | instid1(VALU_DEP_1)
	v_add_nc_u32_e32 v61, v61, v62
	v_mov_b32_dpp v62, v61 row_shr:4 row_mask:0xf bank_mask:0xf
	s_delay_alu instid0(VALU_DEP_1) | instskip(NEXT) | instid1(VALU_DEP_1)
	v_cndmask_b32_e64 v62, 0, v62, s1
	v_add_nc_u32_e32 v61, v61, v62
	s_delay_alu instid0(VALU_DEP_1) | instskip(NEXT) | instid1(VALU_DEP_1)
	v_mov_b32_dpp v62, v61 row_shr:8 row_mask:0xf bank_mask:0xf
	v_cndmask_b32_e64 v62, 0, v62, s3
	s_delay_alu instid0(VALU_DEP_1)
	v_add_nc_u32_e32 v61, v61, v62
	ds_store_b32 v60, v61
.LBB2163_129:
	s_or_b32 exec_lo, exec_lo, s5
	v_mov_b32_e32 v60, 0
	s_mov_b32 s0, exec_lo
	s_wait_dscnt 0x0
	s_barrier_signal -1
	s_barrier_wait -1
	v_cmpx_lt_u32_e32 31, v14
; %bb.130:
	v_lshl_add_u32 v59, v59, 2, -4
	ds_load_b32 v60, v59
; %bb.131:
	s_or_b32 exec_lo, exec_lo, s0
	v_sub_co_u32 v59, vcc_lo, v15, 1
	s_wait_dscnt 0x0
	v_add_nc_u32_e32 v16, v60, v16
	s_delay_alu instid0(VALU_DEP_2) | instskip(NEXT) | instid1(VALU_DEP_1)
	v_cmp_gt_i32_e64 s0, 0, v59
	v_cndmask_b32_e64 v15, v59, v15, s0
	v_cmp_gt_u32_e64 s0, 0x100, v14
	s_delay_alu instid0(VALU_DEP_2) | instskip(SKIP_4) | instid1(VALU_DEP_2)
	v_lshlrev_b32_e32 v15, 2, v15
	ds_bpermute_b32 v15, v15, v16
	s_wait_dscnt 0x0
	v_cndmask_b32_e32 v15, v15, v60, vcc_lo
	v_cmp_lt_u32_e32 vcc_lo, 0xff, v14
	v_cndmask_b32_e64 v15, v15, 0, s2
	s_delay_alu instid0(VALU_DEP_1) | instskip(NEXT) | instid1(VALU_DEP_1)
	v_add_nc_u32_e32 v6, v15, v6
	v_add_nc_u32_e32 v7, v6, v7
	s_delay_alu instid0(VALU_DEP_1) | instskip(NEXT) | instid1(VALU_DEP_1)
	v_add_nc_u32_e32 v4, v7, v4
	v_add_nc_u32_e32 v5, v4, v5
	;; [unrolled: 3-line block ×4, first 2 shown]
	ds_store_2addr_b32 v11, v15, v6 offset0:16 offset1:17
	ds_store_2addr_b32 v11, v7, v4 offset0:18 offset1:19
	;; [unrolled: 1-line block ×4, first 2 shown]
	ds_store_b32 v11, v1 offset:96
	s_wait_dscnt 0x0
	s_barrier_signal -1
	s_barrier_wait -1
	ds_load_b32 v59, v12 offset:64
	ds_load_b32 v60, v19 offset:64
	;; [unrolled: 1-line block ×12, first 2 shown]
	v_mov_b64_e32 v[0:1], 0
                                        ; implicit-def: $vgpr2
	s_and_saveexec_b32 s2, s0
	s_cbranch_execz .LBB2163_135
; %bb.132:
	v_mul_u32_u24_e32 v0, 0x44, v14
	v_dual_mov_b32 v1, 0x1800 :: v_dual_add_nc_u32 v2, 1, v14
	s_mov_b32 s3, exec_lo
	ds_load_b32 v0, v0 offset:64
	v_cmpx_ne_u32_e32 0x100, v2
; %bb.133:
	v_mul_u32_u24_e32 v1, 0x44, v2
	ds_load_b32 v1, v1 offset:64
; %bb.134:
	s_or_b32 exec_lo, exec_lo, s3
	s_wait_dscnt 0x0
	v_dual_mov_b32 v1, 0 :: v_dual_sub_nc_u32 v2, v1, v0
.LBB2163_135:
	s_or_b32 exec_lo, exec_lo, s2
	s_wait_dscnt 0xa
	v_dual_lshlrev_b32 v9, 1, v9 :: v_dual_lshlrev_b32 v23, 1, v60
	v_dual_lshlrev_b32 v18, 1, v18 :: v_dual_lshlrev_b32 v17, 1, v17
	v_lshlrev_b32_e32 v21, 1, v21
	s_delay_alu instid0(VALU_DEP_3)
	v_lshl_add_u32 v9, v59, 1, v9
	s_wait_dscnt 0x0
	s_barrier_signal -1
	v_add3_u32 v17, v23, v18, v17
	v_dual_lshlrev_b32 v18, 1, v19 :: v_dual_lshlrev_b32 v19, 1, v22
	s_barrier_wait -1
	ds_store_b16 v9, v8 offset:2048
	ds_store_b16 v17, v10 offset:2048
	v_lshlrev_b32_e32 v9, 1, v16
	v_add3_u32 v8, v18, v19, v21
	v_dual_lshlrev_b32 v10, 1, v26 :: v_dual_lshlrev_b32 v16, 1, v25
	v_dual_lshlrev_b32 v18, 1, v28 :: v_dual_lshlrev_b32 v19, 1, v33
	;; [unrolled: 1-line block ×6, first 2 shown]
	ds_store_b16 v8, v13 offset:2048
	v_add3_u32 v8, v9, v10, v16
	v_add3_u32 v10, v12, v19, v21
	v_dual_lshlrev_b32 v12, 1, v42 :: v_dual_lshlrev_b32 v13, 1, v41
	v_add3_u32 v9, v15, v17, v18
	v_add3_u32 v11, v11, v22, v23
	ds_store_b16 v8, v20 offset:2048
	ds_store_b16 v9, v24 offset:2048
	;; [unrolled: 1-line block ×4, first 2 shown]
	v_add3_u32 v7, v7, v12, v13
	v_dual_lshlrev_b32 v6, 1, v6 :: v_dual_lshlrev_b32 v9, 1, v45
	v_dual_lshlrev_b32 v8, 1, v46 :: v_dual_lshlrev_b32 v5, 1, v5
	;; [unrolled: 1-line block ×6, first 2 shown]
	ds_store_b16 v7, v36 offset:2048
	v_add3_u32 v6, v6, v8, v9
	v_add3_u32 v7, v5, v10, v11
	;; [unrolled: 1-line block ×3, first 2 shown]
	v_dual_mov_b32 v5, 0 :: v_dual_lshlrev_b32 v3, 3, v14
	v_add3_u32 v4, v4, v12, v13
	ds_store_b16 v6, v40 offset:2048
	ds_store_b16 v7, v44 offset:2048
	;; [unrolled: 1-line block ×4, first 2 shown]
	s_and_saveexec_b32 s1, s0
	s_cbranch_execz .LBB2163_145
; %bb.136:
	v_lshl_add_u32 v4, s23, 8, v14
	v_dual_mov_b32 v8, 0 :: v_dual_bitop2_b32 v9, 2.0, v2 bitop3:0x54
	s_mov_b32 s2, 0
	s_mov_b32 s3, s23
	s_delay_alu instid0(VALU_DEP_2)
	v_lshl_add_u64 v[6:7], v[4:5], 2, s[10:11]
	global_store_b32 v4, v9, s[10:11] scale_offset scope:SCOPE_DEV
                                        ; implicit-def: $sgpr0
	s_branch .LBB2163_139
.LBB2163_137:                           ;   in Loop: Header=BB2163_139 Depth=1
	s_or_b32 exec_lo, exec_lo, s5
.LBB2163_138:                           ;   in Loop: Header=BB2163_139 Depth=1
	s_delay_alu instid0(SALU_CYCLE_1) | instskip(SKIP_2) | instid1(VALU_DEP_2)
	s_or_b32 exec_lo, exec_lo, s4
	v_and_b32_e32 v4, 0x3fffffff, v9
	v_cmp_gt_i32_e64 s0, -2.0, v9
	v_add_nc_u32_e32 v8, v4, v8
	s_and_b32 s4, exec_lo, s0
	s_delay_alu instid0(SALU_CYCLE_1) | instskip(NEXT) | instid1(SALU_CYCLE_1)
	s_or_b32 s2, s4, s2
	s_and_not1_b32 exec_lo, exec_lo, s2
	s_cbranch_execz .LBB2163_144
.LBB2163_139:                           ; =>This Loop Header: Depth=1
                                        ;     Child Loop BB2163_142 Depth 2
	s_or_b32 s0, s0, exec_lo
	s_cmp_eq_u32 s3, 0
	s_cbranch_scc1 .LBB2163_143
; %bb.140:                              ;   in Loop: Header=BB2163_139 Depth=1
	s_add_co_i32 s3, s3, -1
	s_mov_b32 s4, exec_lo
	s_wait_xcnt 0x0
	v_lshl_or_b32 v4, s3, 8, v14
	global_load_b32 v9, v4, s[10:11] scale_offset scope:SCOPE_DEV
	s_wait_loadcnt 0x0
	v_cmpx_gt_u32_e32 2.0, v9
	s_cbranch_execz .LBB2163_138
; %bb.141:                              ;   in Loop: Header=BB2163_139 Depth=1
	v_lshl_add_u64 v[10:11], v[4:5], 2, s[10:11]
	s_mov_b32 s5, 0
.LBB2163_142:                           ;   Parent Loop BB2163_139 Depth=1
                                        ; =>  This Inner Loop Header: Depth=2
	global_load_b32 v9, v[10:11], off scope:SCOPE_DEV
	s_wait_loadcnt 0x0
	v_cmp_lt_u32_e64 s0, 0x3fffffff, v9
	s_or_b32 s5, s0, s5
	s_wait_xcnt 0x0
	s_and_not1_b32 exec_lo, exec_lo, s5
	s_cbranch_execnz .LBB2163_142
	s_branch .LBB2163_137
.LBB2163_143:                           ;   in Loop: Header=BB2163_139 Depth=1
                                        ; implicit-def: $sgpr3
	s_and_b32 s4, exec_lo, s0
	s_delay_alu instid0(SALU_CYCLE_1)
	s_or_b32 s2, s4, s2
	s_wait_xcnt 0x0
	s_and_not1_b32 exec_lo, exec_lo, s2
	s_cbranch_execnz .LBB2163_139
.LBB2163_144:
	s_or_b32 exec_lo, exec_lo, s2
	v_dual_mov_b32 v9, 0 :: v_dual_add_nc_u32 v4, v8, v2
	s_delay_alu instid0(VALU_DEP_1) | instskip(SKIP_4) | instid1(VALU_DEP_1)
	v_or_b32_e32 v4, 0x80000000, v4
	global_store_b32 v[6:7], v4, off scope:SCOPE_DEV
	global_load_b64 v[4:5], v14, s[12:13] scale_offset
	v_sub_nc_u64_e32 v[6:7], v[8:9], v[0:1]
	s_wait_loadcnt 0x0
	v_add_nc_u64_e32 v[4:5], v[6:7], v[4:5]
	ds_store_b64 v3, v[4:5]
.LBB2163_145:
	s_wait_xcnt 0x0
	s_or_b32 exec_lo, exec_lo, s1
	v_mad_i32_i24 v15, v14, -6, v3
	s_wait_storecnt_dscnt 0x0
	s_barrier_signal -1
	s_barrier_wait -1
	ds_load_u16 v16, v15 offset:2048
	ds_load_u16 v17, v15 offset:3072
	;; [unrolled: 1-line block ×8, first 2 shown]
	v_dual_mov_b32 v5, 0 :: v_dual_lshlrev_b32 v4, 1, v14
	s_add_co_i32 s8, s8, -1
	s_delay_alu instid0(SALU_CYCLE_1) | instskip(SKIP_2) | instid1(VALU_DEP_1)
	s_cmp_eq_u32 s23, s8
	s_wait_dscnt 0x7
	v_cmp_ne_u16_e64 s0, 0x8000, v16
	v_cndmask_b32_e64 v6, 0x7fff, v16, s0
	v_cmp_gt_i16_e64 s0, 0, v16
	s_delay_alu instid0(VALU_DEP_2) | instskip(NEXT) | instid1(VALU_DEP_2)
	v_and_b32_e32 v6, 0xffff, v6
	v_cndmask_b32_e64 v24, 0x7fff, 0, s0
	s_wait_dscnt 0x6
	v_cmp_ne_u16_e64 s0, 0x8000, v17
	s_delay_alu instid0(VALU_DEP_2) | instskip(NEXT) | instid1(VALU_DEP_2)
	v_xor_b32_e32 v24, v24, v16
	v_cndmask_b32_e64 v7, 0x7fff, v17, s0
	s_wait_dscnt 0x5
	v_cmp_ne_u16_e64 s0, 0x8000, v18
	s_delay_alu instid0(VALU_DEP_2) | instskip(NEXT) | instid1(VALU_DEP_2)
	v_and_b32_e32 v7, 0xffff, v7
	v_cndmask_b32_e64 v8, 0x7fff, v18, s0
	s_wait_dscnt 0x4
	v_cmp_ne_u16_e64 s0, 0x8000, v19
	s_delay_alu instid0(VALU_DEP_3) | instskip(NEXT) | instid1(VALU_DEP_3)
	v_dual_lshrrev_b32 v6, s20, v6 :: v_dual_lshrrev_b32 v7, s20, v7
	v_and_b32_e32 v8, 0xffff, v8
	s_delay_alu instid0(VALU_DEP_3) | instskip(SKIP_1) | instid1(VALU_DEP_4)
	v_cndmask_b32_e64 v9, 0x7fff, v19, s0
	v_cmp_gt_i16_e64 s0, 0, v17
	v_and_b32_e32 v7, s9, v7
	v_and_b32_e32 v6, s9, v6
	s_delay_alu instid0(VALU_DEP_4) | instskip(NEXT) | instid1(VALU_DEP_4)
	v_and_b32_e32 v9, 0xffff, v9
	v_cndmask_b32_e64 v25, 0x7fff, 0, s0
	s_wait_dscnt 0x3
	v_cmp_ne_u16_e64 s0, 0x8000, v20
	v_dual_lshrrev_b32 v8, s20, v8 :: v_dual_lshlrev_b32 v11, 3, v7
	v_dual_lshrrev_b32 v9, s20, v9 :: v_dual_lshlrev_b32 v6, 3, v6
	s_delay_alu instid0(VALU_DEP_3) | instskip(SKIP_1) | instid1(VALU_DEP_2)
	v_cndmask_b32_e64 v10, 0x7fff, v20, s0
	v_cmp_gt_i16_e64 s0, 0, v18
	v_and_b32_e32 v10, 0xffff, v10
	v_and_b32_e32 v8, s9, v8
	;; [unrolled: 1-line block ×3, first 2 shown]
	s_delay_alu instid0(VALU_DEP_4) | instskip(SKIP_1) | instid1(VALU_DEP_4)
	v_cndmask_b32_e64 v27, 0x7fff, 0, s0
	v_cmp_gt_i16_e64 s0, 0, v19
	v_dual_lshrrev_b32 v26, s20, v10 :: v_dual_lshlrev_b32 v10, 3, v8
	s_delay_alu instid0(VALU_DEP_4)
	v_lshlrev_b32_e32 v12, 3, v9
	ds_load_b64 v[6:7], v6
	ds_load_b64 v[8:9], v11
	v_cndmask_b32_e64 v28, 0x7fff, 0, s0
	s_wait_dscnt 0x4
	v_cmp_ne_u16_e64 s0, 0x8000, v21
	v_and_b32_e32 v26, s9, v26
	ds_load_b64 v[10:11], v10
	ds_load_b64 v[12:13], v12
	v_xor_b32_e32 v19, v28, v19
	v_cndmask_b32_e64 v29, 0x7fff, v21, s0
	s_wait_dscnt 0x5
	v_cmp_ne_u16_e64 s0, 0x8000, v22
	v_lshlrev_b32_e32 v26, 3, v26
	s_delay_alu instid0(VALU_DEP_2) | instskip(SKIP_1) | instid1(VALU_DEP_2)
	v_cndmask_b32_e64 v30, 0x7fff, v22, s0
	v_cmp_gt_i16_e64 s0, 0, v20
	v_and_b32_e32 v28, 0xffff, v30
	s_wait_dscnt 0x3
	v_lshl_add_u64 v[6:7], v[6:7], 1, s[18:19]
	v_xor_b32_e32 v18, v27, v18
	v_and_b32_e32 v27, 0xffff, v29
	v_xor_b32_e32 v25, v25, v17
	ds_load_b64 v[16:17], v26
	ds_load_u16 v26, v15 offset:10240
	ds_load_u16 v31, v15 offset:11264
	ds_load_u16 v32, v15 offset:12288
	ds_load_u16 v15, v15 offset:13312
	s_wait_dscnt 0x7
	v_lshl_add_u64 v[8:9], v[8:9], 1, s[18:19]
	s_wait_dscnt 0x6
	v_lshl_add_u64 v[10:11], v[10:11], 1, s[18:19]
	v_add_nc_u64_e32 v[6:7], v[6:7], v[4:5]
	s_wait_dscnt 0x5
	v_lshl_add_u64 v[12:13], v[12:13], 1, s[18:19]
	v_add_nc_u64_e32 v[8:9], v[8:9], v[4:5]
	v_add_nc_u64_e32 v[10:11], v[10:11], v[4:5]
	s_clause 0x1
	global_store_b16 v[6:7], v24, off
	global_store_b16 v[8:9], v25, off offset:1024
	s_wait_xcnt 0x1
	v_cndmask_b32_e64 v6, 0x7fff, 0, s0
	v_cmp_ne_u16_e64 s0, 0x8000, v23
	s_wait_xcnt 0x0
	v_dual_lshrrev_b32 v8, s20, v27 :: v_dual_lshrrev_b32 v9, s20, v28
	global_store_b16 v[10:11], v18, off offset:2048
	v_add_nc_u64_e32 v[12:13], v[12:13], v[4:5]
	s_wait_xcnt 0x0
	v_cndmask_b32_e64 v10, 0x7fff, v23, s0
	s_wait_dscnt 0x3
	v_cmp_ne_u16_e64 s0, 0x8000, v26
	v_and_b32_e32 v8, s9, v8
	v_and_b32_e32 v9, s9, v9
	s_delay_alu instid0(VALU_DEP_3)
	v_cndmask_b32_e64 v11, 0x7fff, v26, s0
	s_wait_dscnt 0x2
	v_cmp_ne_u16_e64 s0, 0x8000, v31
	v_lshlrev_b32_e32 v8, 3, v8
	global_store_b16 v[12:13], v19, off offset:3072
	s_wait_xcnt 0x0
	v_dual_lshlrev_b32 v13, 3, v9 :: v_dual_bitop2_b32 v12, v6, v20 bitop3:0x14
	v_lshl_add_u64 v[6:7], v[16:17], 1, s[18:19]
	v_and_b32_e32 v16, 0xffff, v10
	v_and_b32_e32 v17, 0xffff, v11
	v_cndmask_b32_e64 v18, 0x7fff, v31, s0
	ds_load_b64 v[8:9], v8
	ds_load_b64 v[10:11], v13
	v_cmp_gt_i16_e64 s0, 0, v21
	v_dual_lshrrev_b32 v13, s20, v16 :: v_dual_lshrrev_b32 v16, s20, v17
	v_and_b32_e32 v17, 0xffff, v18
	v_add_nc_u64_e32 v[6:7], v[6:7], v[4:5]
	s_delay_alu instid0(VALU_DEP_4)
	v_cndmask_b32_e64 v18, 0x7fff, 0, s0
	s_wait_dscnt 0x3
	v_cmp_ne_u16_e64 s0, 0x8000, v32
	v_dual_lshrrev_b32 v17, s20, v17 :: v_dual_bitop2_b32 v16, s9, v16 bitop3:0x40
	v_and_b32_e32 v13, s9, v13
	global_store_b16 v[6:7], v12, off offset:4096
	s_wait_xcnt 0x0
	v_dual_lshlrev_b32 v12, 3, v16 :: v_dual_bitop2_b32 v16, s9, v17 bitop3:0x40
	v_cndmask_b32_e64 v17, 0x7fff, v32, s0
	s_wait_dscnt 0x2
	v_cmp_ne_u16_e64 s0, 0x8000, v15
	s_wait_dscnt 0x1
	v_lshl_add_u64 v[8:9], v[8:9], 1, s[18:19]
	v_and_b32_e32 v17, 0xffff, v17
	s_delay_alu instid0(VALU_DEP_3)
	v_cndmask_b32_e64 v19, 0x7fff, v15, s0
	v_cmp_gt_i16_e64 s0, 0, v22
	s_wait_dscnt 0x0
	v_lshl_add_u64 v[10:11], v[10:11], 1, s[18:19]
	v_add_nc_u64_e32 v[8:9], v[8:9], v[4:5]
	v_lshrrev_b32_e32 v20, s20, v17
	v_and_b32_e32 v19, 0xffff, v19
	v_lshlrev_b32_e32 v6, 3, v13
	v_dual_lshlrev_b32 v16, 3, v16 :: v_dual_bitop2_b32 v18, v18, v21 bitop3:0x14
	v_cndmask_b32_e64 v21, 0x7fff, 0, s0
	s_delay_alu instid0(VALU_DEP_4)
	v_lshrrev_b32_e32 v19, s20, v19
	ds_load_b64 v[6:7], v6
	ds_load_b64 v[12:13], v12
	v_add_nc_u64_e32 v[10:11], v[10:11], v[4:5]
	ds_load_b64 v[16:17], v16
	v_xor_b32_e32 v21, v21, v22
	v_and_b32_e32 v19, s9, v19
	v_and_b32_e32 v20, s9, v20
	v_cmp_gt_i16_e64 s0, 0, v23
	s_clause 0x1
	global_store_b16 v[8:9], v18, off offset:5120
	global_store_b16 v[10:11], v21, off offset:6144
	v_dual_lshlrev_b32 v19, 3, v19 :: v_dual_lshlrev_b32 v20, 3, v20
	v_cndmask_b32_e64 v22, 0x7fff, 0, s0
	v_cmp_gt_i16_e64 s0, 0, v26
	s_wait_xcnt 0x0
	ds_load_b64 v[10:11], v19
	ds_load_b64 v[8:9], v20
	v_xor_b32_e32 v18, v22, v23
	v_cndmask_b32_e64 v19, 0x7fff, 0, s0
	v_cmp_gt_i16_e64 s0, 0, v31
	s_wait_dscnt 0x4
	v_lshl_add_u64 v[6:7], v[6:7], 1, s[18:19]
	s_wait_dscnt 0x3
	v_lshl_add_u64 v[12:13], v[12:13], 1, s[18:19]
	;; [unrolled: 2-line block ×3, first 2 shown]
	v_cndmask_b32_e64 v20, 0x7fff, 0, s0
	v_cmp_gt_i16_e64 s0, 0, v32
	v_add_nc_u64_e32 v[6:7], v[6:7], v[4:5]
	v_add_nc_u64_e32 v[12:13], v[12:13], v[4:5]
	;; [unrolled: 1-line block ×3, first 2 shown]
	v_xor_b32_e32 v19, v19, v26
	v_xor_b32_e32 v20, v20, v31
	v_cndmask_b32_e64 v21, 0x7fff, 0, s0
	v_cmp_gt_i16_e64 s0, 0, v15
	s_clause 0x2
	global_store_b16 v[6:7], v18, off offset:7168
	global_store_b16 v[12:13], v19, off offset:8192
	;; [unrolled: 1-line block ×3, first 2 shown]
	s_wait_dscnt 0x0
	s_wait_xcnt 0x2
	v_lshl_add_u64 v[6:7], v[8:9], 1, s[18:19]
	v_lshl_add_u64 v[8:9], v[10:11], 1, s[18:19]
	v_cndmask_b32_e64 v10, 0x7fff, 0, s0
	s_wait_xcnt 0x1
	v_xor_b32_e32 v12, v21, v32
	s_cselect_b32 s0, -1, 0
	v_add_nc_u64_e32 v[6:7], v[6:7], v[4:5]
	v_add_nc_u64_e32 v[8:9], v[8:9], v[4:5]
	v_xor_b32_e32 v4, v10, v15
	s_xor_b32 s1, vcc_lo, -1
	s_delay_alu instid0(SALU_CYCLE_1)
	s_and_b32 s0, s1, s0
	s_clause 0x1
	global_store_b16 v[6:7], v12, off offset:10240
	global_store_b16 v[8:9], v4, off offset:11264
	s_wait_xcnt 0x0
	s_and_saveexec_b32 s1, s0
	s_cbranch_execz .LBB2163_147
; %bb.146:
	ds_load_b64 v[6:7], v3
	v_mov_b32_e32 v3, v5
	s_delay_alu instid0(VALU_DEP_1) | instskip(SKIP_1) | instid1(VALU_DEP_1)
	v_add_nc_u64_e32 v[0:1], v[0:1], v[2:3]
	s_wait_dscnt 0x0
	v_add_nc_u64_e32 v[0:1], v[0:1], v[6:7]
	global_store_b64 v14, v[0:1], s[14:15] scale_offset
.LBB2163_147:
	s_sendmsg sendmsg(MSG_DEALLOC_VGPRS)
	s_endpgm
	.section	.rodata,"a",@progbits
	.p2align	6, 0x0
	.amdhsa_kernel _ZN7rocprim17ROCPRIM_400000_NS6detail17trampoline_kernelINS0_14default_configENS1_35radix_sort_onesweep_config_selectorI6__halfNS0_10empty_typeEEEZZNS1_29radix_sort_onesweep_iterationIS3_Lb1EPKS5_PS5_PS6_SC_mNS0_19identity_decomposerENS1_16block_id_wrapperIjLb1EEEEE10hipError_tT1_PNSt15iterator_traitsISH_E10value_typeET2_T3_PNSI_ISN_E10value_typeET4_T5_PSS_ST_PNS1_23onesweep_lookback_stateEbbT6_jjT7_P12ihipStream_tbENKUlT_T0_SH_SM_E_clISA_SB_SC_SC_EEDaS10_S11_SH_SM_EUlS10_E_NS1_11comp_targetILNS1_3genE0ELNS1_11target_archE4294967295ELNS1_3gpuE0ELNS1_3repE0EEENS1_47radix_sort_onesweep_sort_config_static_selectorELNS0_4arch9wavefront6targetE0EEEvSH_
		.amdhsa_group_segment_fixed_size 18504
		.amdhsa_private_segment_fixed_size 0
		.amdhsa_kernarg_size 344
		.amdhsa_user_sgpr_count 2
		.amdhsa_user_sgpr_dispatch_ptr 0
		.amdhsa_user_sgpr_queue_ptr 0
		.amdhsa_user_sgpr_kernarg_segment_ptr 1
		.amdhsa_user_sgpr_dispatch_id 0
		.amdhsa_user_sgpr_kernarg_preload_length 0
		.amdhsa_user_sgpr_kernarg_preload_offset 0
		.amdhsa_user_sgpr_private_segment_size 0
		.amdhsa_wavefront_size32 1
		.amdhsa_uses_dynamic_stack 0
		.amdhsa_enable_private_segment 0
		.amdhsa_system_sgpr_workgroup_id_x 1
		.amdhsa_system_sgpr_workgroup_id_y 0
		.amdhsa_system_sgpr_workgroup_id_z 0
		.amdhsa_system_sgpr_workgroup_info 0
		.amdhsa_system_vgpr_workitem_id 2
		.amdhsa_next_free_vgpr 65
		.amdhsa_next_free_sgpr 30
		.amdhsa_named_barrier_count 0
		.amdhsa_reserve_vcc 1
		.amdhsa_float_round_mode_32 0
		.amdhsa_float_round_mode_16_64 0
		.amdhsa_float_denorm_mode_32 3
		.amdhsa_float_denorm_mode_16_64 3
		.amdhsa_fp16_overflow 0
		.amdhsa_memory_ordered 1
		.amdhsa_forward_progress 1
		.amdhsa_inst_pref_size 148
		.amdhsa_round_robin_scheduling 0
		.amdhsa_exception_fp_ieee_invalid_op 0
		.amdhsa_exception_fp_denorm_src 0
		.amdhsa_exception_fp_ieee_div_zero 0
		.amdhsa_exception_fp_ieee_overflow 0
		.amdhsa_exception_fp_ieee_underflow 0
		.amdhsa_exception_fp_ieee_inexact 0
		.amdhsa_exception_int_div_zero 0
	.end_amdhsa_kernel
	.section	.text._ZN7rocprim17ROCPRIM_400000_NS6detail17trampoline_kernelINS0_14default_configENS1_35radix_sort_onesweep_config_selectorI6__halfNS0_10empty_typeEEEZZNS1_29radix_sort_onesweep_iterationIS3_Lb1EPKS5_PS5_PS6_SC_mNS0_19identity_decomposerENS1_16block_id_wrapperIjLb1EEEEE10hipError_tT1_PNSt15iterator_traitsISH_E10value_typeET2_T3_PNSI_ISN_E10value_typeET4_T5_PSS_ST_PNS1_23onesweep_lookback_stateEbbT6_jjT7_P12ihipStream_tbENKUlT_T0_SH_SM_E_clISA_SB_SC_SC_EEDaS10_S11_SH_SM_EUlS10_E_NS1_11comp_targetILNS1_3genE0ELNS1_11target_archE4294967295ELNS1_3gpuE0ELNS1_3repE0EEENS1_47radix_sort_onesweep_sort_config_static_selectorELNS0_4arch9wavefront6targetE0EEEvSH_,"axG",@progbits,_ZN7rocprim17ROCPRIM_400000_NS6detail17trampoline_kernelINS0_14default_configENS1_35radix_sort_onesweep_config_selectorI6__halfNS0_10empty_typeEEEZZNS1_29radix_sort_onesweep_iterationIS3_Lb1EPKS5_PS5_PS6_SC_mNS0_19identity_decomposerENS1_16block_id_wrapperIjLb1EEEEE10hipError_tT1_PNSt15iterator_traitsISH_E10value_typeET2_T3_PNSI_ISN_E10value_typeET4_T5_PSS_ST_PNS1_23onesweep_lookback_stateEbbT6_jjT7_P12ihipStream_tbENKUlT_T0_SH_SM_E_clISA_SB_SC_SC_EEDaS10_S11_SH_SM_EUlS10_E_NS1_11comp_targetILNS1_3genE0ELNS1_11target_archE4294967295ELNS1_3gpuE0ELNS1_3repE0EEENS1_47radix_sort_onesweep_sort_config_static_selectorELNS0_4arch9wavefront6targetE0EEEvSH_,comdat
.Lfunc_end2163:
	.size	_ZN7rocprim17ROCPRIM_400000_NS6detail17trampoline_kernelINS0_14default_configENS1_35radix_sort_onesweep_config_selectorI6__halfNS0_10empty_typeEEEZZNS1_29radix_sort_onesweep_iterationIS3_Lb1EPKS5_PS5_PS6_SC_mNS0_19identity_decomposerENS1_16block_id_wrapperIjLb1EEEEE10hipError_tT1_PNSt15iterator_traitsISH_E10value_typeET2_T3_PNSI_ISN_E10value_typeET4_T5_PSS_ST_PNS1_23onesweep_lookback_stateEbbT6_jjT7_P12ihipStream_tbENKUlT_T0_SH_SM_E_clISA_SB_SC_SC_EEDaS10_S11_SH_SM_EUlS10_E_NS1_11comp_targetILNS1_3genE0ELNS1_11target_archE4294967295ELNS1_3gpuE0ELNS1_3repE0EEENS1_47radix_sort_onesweep_sort_config_static_selectorELNS0_4arch9wavefront6targetE0EEEvSH_, .Lfunc_end2163-_ZN7rocprim17ROCPRIM_400000_NS6detail17trampoline_kernelINS0_14default_configENS1_35radix_sort_onesweep_config_selectorI6__halfNS0_10empty_typeEEEZZNS1_29radix_sort_onesweep_iterationIS3_Lb1EPKS5_PS5_PS6_SC_mNS0_19identity_decomposerENS1_16block_id_wrapperIjLb1EEEEE10hipError_tT1_PNSt15iterator_traitsISH_E10value_typeET2_T3_PNSI_ISN_E10value_typeET4_T5_PSS_ST_PNS1_23onesweep_lookback_stateEbbT6_jjT7_P12ihipStream_tbENKUlT_T0_SH_SM_E_clISA_SB_SC_SC_EEDaS10_S11_SH_SM_EUlS10_E_NS1_11comp_targetILNS1_3genE0ELNS1_11target_archE4294967295ELNS1_3gpuE0ELNS1_3repE0EEENS1_47radix_sort_onesweep_sort_config_static_selectorELNS0_4arch9wavefront6targetE0EEEvSH_
                                        ; -- End function
	.set _ZN7rocprim17ROCPRIM_400000_NS6detail17trampoline_kernelINS0_14default_configENS1_35radix_sort_onesweep_config_selectorI6__halfNS0_10empty_typeEEEZZNS1_29radix_sort_onesweep_iterationIS3_Lb1EPKS5_PS5_PS6_SC_mNS0_19identity_decomposerENS1_16block_id_wrapperIjLb1EEEEE10hipError_tT1_PNSt15iterator_traitsISH_E10value_typeET2_T3_PNSI_ISN_E10value_typeET4_T5_PSS_ST_PNS1_23onesweep_lookback_stateEbbT6_jjT7_P12ihipStream_tbENKUlT_T0_SH_SM_E_clISA_SB_SC_SC_EEDaS10_S11_SH_SM_EUlS10_E_NS1_11comp_targetILNS1_3genE0ELNS1_11target_archE4294967295ELNS1_3gpuE0ELNS1_3repE0EEENS1_47radix_sort_onesweep_sort_config_static_selectorELNS0_4arch9wavefront6targetE0EEEvSH_.num_vgpr, 65
	.set _ZN7rocprim17ROCPRIM_400000_NS6detail17trampoline_kernelINS0_14default_configENS1_35radix_sort_onesweep_config_selectorI6__halfNS0_10empty_typeEEEZZNS1_29radix_sort_onesweep_iterationIS3_Lb1EPKS5_PS5_PS6_SC_mNS0_19identity_decomposerENS1_16block_id_wrapperIjLb1EEEEE10hipError_tT1_PNSt15iterator_traitsISH_E10value_typeET2_T3_PNSI_ISN_E10value_typeET4_T5_PSS_ST_PNS1_23onesweep_lookback_stateEbbT6_jjT7_P12ihipStream_tbENKUlT_T0_SH_SM_E_clISA_SB_SC_SC_EEDaS10_S11_SH_SM_EUlS10_E_NS1_11comp_targetILNS1_3genE0ELNS1_11target_archE4294967295ELNS1_3gpuE0ELNS1_3repE0EEENS1_47radix_sort_onesweep_sort_config_static_selectorELNS0_4arch9wavefront6targetE0EEEvSH_.num_agpr, 0
	.set _ZN7rocprim17ROCPRIM_400000_NS6detail17trampoline_kernelINS0_14default_configENS1_35radix_sort_onesweep_config_selectorI6__halfNS0_10empty_typeEEEZZNS1_29radix_sort_onesweep_iterationIS3_Lb1EPKS5_PS5_PS6_SC_mNS0_19identity_decomposerENS1_16block_id_wrapperIjLb1EEEEE10hipError_tT1_PNSt15iterator_traitsISH_E10value_typeET2_T3_PNSI_ISN_E10value_typeET4_T5_PSS_ST_PNS1_23onesweep_lookback_stateEbbT6_jjT7_P12ihipStream_tbENKUlT_T0_SH_SM_E_clISA_SB_SC_SC_EEDaS10_S11_SH_SM_EUlS10_E_NS1_11comp_targetILNS1_3genE0ELNS1_11target_archE4294967295ELNS1_3gpuE0ELNS1_3repE0EEENS1_47radix_sort_onesweep_sort_config_static_selectorELNS0_4arch9wavefront6targetE0EEEvSH_.numbered_sgpr, 30
	.set _ZN7rocprim17ROCPRIM_400000_NS6detail17trampoline_kernelINS0_14default_configENS1_35radix_sort_onesweep_config_selectorI6__halfNS0_10empty_typeEEEZZNS1_29radix_sort_onesweep_iterationIS3_Lb1EPKS5_PS5_PS6_SC_mNS0_19identity_decomposerENS1_16block_id_wrapperIjLb1EEEEE10hipError_tT1_PNSt15iterator_traitsISH_E10value_typeET2_T3_PNSI_ISN_E10value_typeET4_T5_PSS_ST_PNS1_23onesweep_lookback_stateEbbT6_jjT7_P12ihipStream_tbENKUlT_T0_SH_SM_E_clISA_SB_SC_SC_EEDaS10_S11_SH_SM_EUlS10_E_NS1_11comp_targetILNS1_3genE0ELNS1_11target_archE4294967295ELNS1_3gpuE0ELNS1_3repE0EEENS1_47radix_sort_onesweep_sort_config_static_selectorELNS0_4arch9wavefront6targetE0EEEvSH_.num_named_barrier, 0
	.set _ZN7rocprim17ROCPRIM_400000_NS6detail17trampoline_kernelINS0_14default_configENS1_35radix_sort_onesweep_config_selectorI6__halfNS0_10empty_typeEEEZZNS1_29radix_sort_onesweep_iterationIS3_Lb1EPKS5_PS5_PS6_SC_mNS0_19identity_decomposerENS1_16block_id_wrapperIjLb1EEEEE10hipError_tT1_PNSt15iterator_traitsISH_E10value_typeET2_T3_PNSI_ISN_E10value_typeET4_T5_PSS_ST_PNS1_23onesweep_lookback_stateEbbT6_jjT7_P12ihipStream_tbENKUlT_T0_SH_SM_E_clISA_SB_SC_SC_EEDaS10_S11_SH_SM_EUlS10_E_NS1_11comp_targetILNS1_3genE0ELNS1_11target_archE4294967295ELNS1_3gpuE0ELNS1_3repE0EEENS1_47radix_sort_onesweep_sort_config_static_selectorELNS0_4arch9wavefront6targetE0EEEvSH_.private_seg_size, 0
	.set _ZN7rocprim17ROCPRIM_400000_NS6detail17trampoline_kernelINS0_14default_configENS1_35radix_sort_onesweep_config_selectorI6__halfNS0_10empty_typeEEEZZNS1_29radix_sort_onesweep_iterationIS3_Lb1EPKS5_PS5_PS6_SC_mNS0_19identity_decomposerENS1_16block_id_wrapperIjLb1EEEEE10hipError_tT1_PNSt15iterator_traitsISH_E10value_typeET2_T3_PNSI_ISN_E10value_typeET4_T5_PSS_ST_PNS1_23onesweep_lookback_stateEbbT6_jjT7_P12ihipStream_tbENKUlT_T0_SH_SM_E_clISA_SB_SC_SC_EEDaS10_S11_SH_SM_EUlS10_E_NS1_11comp_targetILNS1_3genE0ELNS1_11target_archE4294967295ELNS1_3gpuE0ELNS1_3repE0EEENS1_47radix_sort_onesweep_sort_config_static_selectorELNS0_4arch9wavefront6targetE0EEEvSH_.uses_vcc, 1
	.set _ZN7rocprim17ROCPRIM_400000_NS6detail17trampoline_kernelINS0_14default_configENS1_35radix_sort_onesweep_config_selectorI6__halfNS0_10empty_typeEEEZZNS1_29radix_sort_onesweep_iterationIS3_Lb1EPKS5_PS5_PS6_SC_mNS0_19identity_decomposerENS1_16block_id_wrapperIjLb1EEEEE10hipError_tT1_PNSt15iterator_traitsISH_E10value_typeET2_T3_PNSI_ISN_E10value_typeET4_T5_PSS_ST_PNS1_23onesweep_lookback_stateEbbT6_jjT7_P12ihipStream_tbENKUlT_T0_SH_SM_E_clISA_SB_SC_SC_EEDaS10_S11_SH_SM_EUlS10_E_NS1_11comp_targetILNS1_3genE0ELNS1_11target_archE4294967295ELNS1_3gpuE0ELNS1_3repE0EEENS1_47radix_sort_onesweep_sort_config_static_selectorELNS0_4arch9wavefront6targetE0EEEvSH_.uses_flat_scratch, 0
	.set _ZN7rocprim17ROCPRIM_400000_NS6detail17trampoline_kernelINS0_14default_configENS1_35radix_sort_onesweep_config_selectorI6__halfNS0_10empty_typeEEEZZNS1_29radix_sort_onesweep_iterationIS3_Lb1EPKS5_PS5_PS6_SC_mNS0_19identity_decomposerENS1_16block_id_wrapperIjLb1EEEEE10hipError_tT1_PNSt15iterator_traitsISH_E10value_typeET2_T3_PNSI_ISN_E10value_typeET4_T5_PSS_ST_PNS1_23onesweep_lookback_stateEbbT6_jjT7_P12ihipStream_tbENKUlT_T0_SH_SM_E_clISA_SB_SC_SC_EEDaS10_S11_SH_SM_EUlS10_E_NS1_11comp_targetILNS1_3genE0ELNS1_11target_archE4294967295ELNS1_3gpuE0ELNS1_3repE0EEENS1_47radix_sort_onesweep_sort_config_static_selectorELNS0_4arch9wavefront6targetE0EEEvSH_.has_dyn_sized_stack, 0
	.set _ZN7rocprim17ROCPRIM_400000_NS6detail17trampoline_kernelINS0_14default_configENS1_35radix_sort_onesweep_config_selectorI6__halfNS0_10empty_typeEEEZZNS1_29radix_sort_onesweep_iterationIS3_Lb1EPKS5_PS5_PS6_SC_mNS0_19identity_decomposerENS1_16block_id_wrapperIjLb1EEEEE10hipError_tT1_PNSt15iterator_traitsISH_E10value_typeET2_T3_PNSI_ISN_E10value_typeET4_T5_PSS_ST_PNS1_23onesweep_lookback_stateEbbT6_jjT7_P12ihipStream_tbENKUlT_T0_SH_SM_E_clISA_SB_SC_SC_EEDaS10_S11_SH_SM_EUlS10_E_NS1_11comp_targetILNS1_3genE0ELNS1_11target_archE4294967295ELNS1_3gpuE0ELNS1_3repE0EEENS1_47radix_sort_onesweep_sort_config_static_selectorELNS0_4arch9wavefront6targetE0EEEvSH_.has_recursion, 0
	.set _ZN7rocprim17ROCPRIM_400000_NS6detail17trampoline_kernelINS0_14default_configENS1_35radix_sort_onesweep_config_selectorI6__halfNS0_10empty_typeEEEZZNS1_29radix_sort_onesweep_iterationIS3_Lb1EPKS5_PS5_PS6_SC_mNS0_19identity_decomposerENS1_16block_id_wrapperIjLb1EEEEE10hipError_tT1_PNSt15iterator_traitsISH_E10value_typeET2_T3_PNSI_ISN_E10value_typeET4_T5_PSS_ST_PNS1_23onesweep_lookback_stateEbbT6_jjT7_P12ihipStream_tbENKUlT_T0_SH_SM_E_clISA_SB_SC_SC_EEDaS10_S11_SH_SM_EUlS10_E_NS1_11comp_targetILNS1_3genE0ELNS1_11target_archE4294967295ELNS1_3gpuE0ELNS1_3repE0EEENS1_47radix_sort_onesweep_sort_config_static_selectorELNS0_4arch9wavefront6targetE0EEEvSH_.has_indirect_call, 0
	.section	.AMDGPU.csdata,"",@progbits
; Kernel info:
; codeLenInByte = 18880
; TotalNumSgprs: 32
; NumVgprs: 65
; ScratchSize: 0
; MemoryBound: 0
; FloatMode: 240
; IeeeMode: 1
; LDSByteSize: 18504 bytes/workgroup (compile time only)
; SGPRBlocks: 0
; VGPRBlocks: 4
; NumSGPRsForWavesPerEU: 32
; NumVGPRsForWavesPerEU: 65
; NamedBarCnt: 0
; Occupancy: 12
; WaveLimiterHint : 0
; COMPUTE_PGM_RSRC2:SCRATCH_EN: 0
; COMPUTE_PGM_RSRC2:USER_SGPR: 2
; COMPUTE_PGM_RSRC2:TRAP_HANDLER: 0
; COMPUTE_PGM_RSRC2:TGID_X_EN: 1
; COMPUTE_PGM_RSRC2:TGID_Y_EN: 0
; COMPUTE_PGM_RSRC2:TGID_Z_EN: 0
; COMPUTE_PGM_RSRC2:TIDIG_COMP_CNT: 2
	.section	.text._ZN7rocprim17ROCPRIM_400000_NS6detail17trampoline_kernelINS0_14default_configENS1_35radix_sort_onesweep_config_selectorI6__halfNS0_10empty_typeEEEZZNS1_29radix_sort_onesweep_iterationIS3_Lb1EPKS5_PS5_PS6_SC_mNS0_19identity_decomposerENS1_16block_id_wrapperIjLb1EEEEE10hipError_tT1_PNSt15iterator_traitsISH_E10value_typeET2_T3_PNSI_ISN_E10value_typeET4_T5_PSS_ST_PNS1_23onesweep_lookback_stateEbbT6_jjT7_P12ihipStream_tbENKUlT_T0_SH_SM_E_clISA_SB_SC_SC_EEDaS10_S11_SH_SM_EUlS10_E_NS1_11comp_targetILNS1_3genE6ELNS1_11target_archE950ELNS1_3gpuE13ELNS1_3repE0EEENS1_47radix_sort_onesweep_sort_config_static_selectorELNS0_4arch9wavefront6targetE0EEEvSH_,"axG",@progbits,_ZN7rocprim17ROCPRIM_400000_NS6detail17trampoline_kernelINS0_14default_configENS1_35radix_sort_onesweep_config_selectorI6__halfNS0_10empty_typeEEEZZNS1_29radix_sort_onesweep_iterationIS3_Lb1EPKS5_PS5_PS6_SC_mNS0_19identity_decomposerENS1_16block_id_wrapperIjLb1EEEEE10hipError_tT1_PNSt15iterator_traitsISH_E10value_typeET2_T3_PNSI_ISN_E10value_typeET4_T5_PSS_ST_PNS1_23onesweep_lookback_stateEbbT6_jjT7_P12ihipStream_tbENKUlT_T0_SH_SM_E_clISA_SB_SC_SC_EEDaS10_S11_SH_SM_EUlS10_E_NS1_11comp_targetILNS1_3genE6ELNS1_11target_archE950ELNS1_3gpuE13ELNS1_3repE0EEENS1_47radix_sort_onesweep_sort_config_static_selectorELNS0_4arch9wavefront6targetE0EEEvSH_,comdat
	.protected	_ZN7rocprim17ROCPRIM_400000_NS6detail17trampoline_kernelINS0_14default_configENS1_35radix_sort_onesweep_config_selectorI6__halfNS0_10empty_typeEEEZZNS1_29radix_sort_onesweep_iterationIS3_Lb1EPKS5_PS5_PS6_SC_mNS0_19identity_decomposerENS1_16block_id_wrapperIjLb1EEEEE10hipError_tT1_PNSt15iterator_traitsISH_E10value_typeET2_T3_PNSI_ISN_E10value_typeET4_T5_PSS_ST_PNS1_23onesweep_lookback_stateEbbT6_jjT7_P12ihipStream_tbENKUlT_T0_SH_SM_E_clISA_SB_SC_SC_EEDaS10_S11_SH_SM_EUlS10_E_NS1_11comp_targetILNS1_3genE6ELNS1_11target_archE950ELNS1_3gpuE13ELNS1_3repE0EEENS1_47radix_sort_onesweep_sort_config_static_selectorELNS0_4arch9wavefront6targetE0EEEvSH_ ; -- Begin function _ZN7rocprim17ROCPRIM_400000_NS6detail17trampoline_kernelINS0_14default_configENS1_35radix_sort_onesweep_config_selectorI6__halfNS0_10empty_typeEEEZZNS1_29radix_sort_onesweep_iterationIS3_Lb1EPKS5_PS5_PS6_SC_mNS0_19identity_decomposerENS1_16block_id_wrapperIjLb1EEEEE10hipError_tT1_PNSt15iterator_traitsISH_E10value_typeET2_T3_PNSI_ISN_E10value_typeET4_T5_PSS_ST_PNS1_23onesweep_lookback_stateEbbT6_jjT7_P12ihipStream_tbENKUlT_T0_SH_SM_E_clISA_SB_SC_SC_EEDaS10_S11_SH_SM_EUlS10_E_NS1_11comp_targetILNS1_3genE6ELNS1_11target_archE950ELNS1_3gpuE13ELNS1_3repE0EEENS1_47radix_sort_onesweep_sort_config_static_selectorELNS0_4arch9wavefront6targetE0EEEvSH_
	.globl	_ZN7rocprim17ROCPRIM_400000_NS6detail17trampoline_kernelINS0_14default_configENS1_35radix_sort_onesweep_config_selectorI6__halfNS0_10empty_typeEEEZZNS1_29radix_sort_onesweep_iterationIS3_Lb1EPKS5_PS5_PS6_SC_mNS0_19identity_decomposerENS1_16block_id_wrapperIjLb1EEEEE10hipError_tT1_PNSt15iterator_traitsISH_E10value_typeET2_T3_PNSI_ISN_E10value_typeET4_T5_PSS_ST_PNS1_23onesweep_lookback_stateEbbT6_jjT7_P12ihipStream_tbENKUlT_T0_SH_SM_E_clISA_SB_SC_SC_EEDaS10_S11_SH_SM_EUlS10_E_NS1_11comp_targetILNS1_3genE6ELNS1_11target_archE950ELNS1_3gpuE13ELNS1_3repE0EEENS1_47radix_sort_onesweep_sort_config_static_selectorELNS0_4arch9wavefront6targetE0EEEvSH_
	.p2align	8
	.type	_ZN7rocprim17ROCPRIM_400000_NS6detail17trampoline_kernelINS0_14default_configENS1_35radix_sort_onesweep_config_selectorI6__halfNS0_10empty_typeEEEZZNS1_29radix_sort_onesweep_iterationIS3_Lb1EPKS5_PS5_PS6_SC_mNS0_19identity_decomposerENS1_16block_id_wrapperIjLb1EEEEE10hipError_tT1_PNSt15iterator_traitsISH_E10value_typeET2_T3_PNSI_ISN_E10value_typeET4_T5_PSS_ST_PNS1_23onesweep_lookback_stateEbbT6_jjT7_P12ihipStream_tbENKUlT_T0_SH_SM_E_clISA_SB_SC_SC_EEDaS10_S11_SH_SM_EUlS10_E_NS1_11comp_targetILNS1_3genE6ELNS1_11target_archE950ELNS1_3gpuE13ELNS1_3repE0EEENS1_47radix_sort_onesweep_sort_config_static_selectorELNS0_4arch9wavefront6targetE0EEEvSH_,@function
_ZN7rocprim17ROCPRIM_400000_NS6detail17trampoline_kernelINS0_14default_configENS1_35radix_sort_onesweep_config_selectorI6__halfNS0_10empty_typeEEEZZNS1_29radix_sort_onesweep_iterationIS3_Lb1EPKS5_PS5_PS6_SC_mNS0_19identity_decomposerENS1_16block_id_wrapperIjLb1EEEEE10hipError_tT1_PNSt15iterator_traitsISH_E10value_typeET2_T3_PNSI_ISN_E10value_typeET4_T5_PSS_ST_PNS1_23onesweep_lookback_stateEbbT6_jjT7_P12ihipStream_tbENKUlT_T0_SH_SM_E_clISA_SB_SC_SC_EEDaS10_S11_SH_SM_EUlS10_E_NS1_11comp_targetILNS1_3genE6ELNS1_11target_archE950ELNS1_3gpuE13ELNS1_3repE0EEENS1_47radix_sort_onesweep_sort_config_static_selectorELNS0_4arch9wavefront6targetE0EEEvSH_: ; @_ZN7rocprim17ROCPRIM_400000_NS6detail17trampoline_kernelINS0_14default_configENS1_35radix_sort_onesweep_config_selectorI6__halfNS0_10empty_typeEEEZZNS1_29radix_sort_onesweep_iterationIS3_Lb1EPKS5_PS5_PS6_SC_mNS0_19identity_decomposerENS1_16block_id_wrapperIjLb1EEEEE10hipError_tT1_PNSt15iterator_traitsISH_E10value_typeET2_T3_PNSI_ISN_E10value_typeET4_T5_PSS_ST_PNS1_23onesweep_lookback_stateEbbT6_jjT7_P12ihipStream_tbENKUlT_T0_SH_SM_E_clISA_SB_SC_SC_EEDaS10_S11_SH_SM_EUlS10_E_NS1_11comp_targetILNS1_3genE6ELNS1_11target_archE950ELNS1_3gpuE13ELNS1_3repE0EEENS1_47radix_sort_onesweep_sort_config_static_selectorELNS0_4arch9wavefront6targetE0EEEvSH_
; %bb.0:
	.section	.rodata,"a",@progbits
	.p2align	6, 0x0
	.amdhsa_kernel _ZN7rocprim17ROCPRIM_400000_NS6detail17trampoline_kernelINS0_14default_configENS1_35radix_sort_onesweep_config_selectorI6__halfNS0_10empty_typeEEEZZNS1_29radix_sort_onesweep_iterationIS3_Lb1EPKS5_PS5_PS6_SC_mNS0_19identity_decomposerENS1_16block_id_wrapperIjLb1EEEEE10hipError_tT1_PNSt15iterator_traitsISH_E10value_typeET2_T3_PNSI_ISN_E10value_typeET4_T5_PSS_ST_PNS1_23onesweep_lookback_stateEbbT6_jjT7_P12ihipStream_tbENKUlT_T0_SH_SM_E_clISA_SB_SC_SC_EEDaS10_S11_SH_SM_EUlS10_E_NS1_11comp_targetILNS1_3genE6ELNS1_11target_archE950ELNS1_3gpuE13ELNS1_3repE0EEENS1_47radix_sort_onesweep_sort_config_static_selectorELNS0_4arch9wavefront6targetE0EEEvSH_
		.amdhsa_group_segment_fixed_size 0
		.amdhsa_private_segment_fixed_size 0
		.amdhsa_kernarg_size 88
		.amdhsa_user_sgpr_count 2
		.amdhsa_user_sgpr_dispatch_ptr 0
		.amdhsa_user_sgpr_queue_ptr 0
		.amdhsa_user_sgpr_kernarg_segment_ptr 1
		.amdhsa_user_sgpr_dispatch_id 0
		.amdhsa_user_sgpr_kernarg_preload_length 0
		.amdhsa_user_sgpr_kernarg_preload_offset 0
		.amdhsa_user_sgpr_private_segment_size 0
		.amdhsa_wavefront_size32 1
		.amdhsa_uses_dynamic_stack 0
		.amdhsa_enable_private_segment 0
		.amdhsa_system_sgpr_workgroup_id_x 1
		.amdhsa_system_sgpr_workgroup_id_y 0
		.amdhsa_system_sgpr_workgroup_id_z 0
		.amdhsa_system_sgpr_workgroup_info 0
		.amdhsa_system_vgpr_workitem_id 0
		.amdhsa_next_free_vgpr 1
		.amdhsa_next_free_sgpr 1
		.amdhsa_named_barrier_count 0
		.amdhsa_reserve_vcc 0
		.amdhsa_float_round_mode_32 0
		.amdhsa_float_round_mode_16_64 0
		.amdhsa_float_denorm_mode_32 3
		.amdhsa_float_denorm_mode_16_64 3
		.amdhsa_fp16_overflow 0
		.amdhsa_memory_ordered 1
		.amdhsa_forward_progress 1
		.amdhsa_inst_pref_size 0
		.amdhsa_round_robin_scheduling 0
		.amdhsa_exception_fp_ieee_invalid_op 0
		.amdhsa_exception_fp_denorm_src 0
		.amdhsa_exception_fp_ieee_div_zero 0
		.amdhsa_exception_fp_ieee_overflow 0
		.amdhsa_exception_fp_ieee_underflow 0
		.amdhsa_exception_fp_ieee_inexact 0
		.amdhsa_exception_int_div_zero 0
	.end_amdhsa_kernel
	.section	.text._ZN7rocprim17ROCPRIM_400000_NS6detail17trampoline_kernelINS0_14default_configENS1_35radix_sort_onesweep_config_selectorI6__halfNS0_10empty_typeEEEZZNS1_29radix_sort_onesweep_iterationIS3_Lb1EPKS5_PS5_PS6_SC_mNS0_19identity_decomposerENS1_16block_id_wrapperIjLb1EEEEE10hipError_tT1_PNSt15iterator_traitsISH_E10value_typeET2_T3_PNSI_ISN_E10value_typeET4_T5_PSS_ST_PNS1_23onesweep_lookback_stateEbbT6_jjT7_P12ihipStream_tbENKUlT_T0_SH_SM_E_clISA_SB_SC_SC_EEDaS10_S11_SH_SM_EUlS10_E_NS1_11comp_targetILNS1_3genE6ELNS1_11target_archE950ELNS1_3gpuE13ELNS1_3repE0EEENS1_47radix_sort_onesweep_sort_config_static_selectorELNS0_4arch9wavefront6targetE0EEEvSH_,"axG",@progbits,_ZN7rocprim17ROCPRIM_400000_NS6detail17trampoline_kernelINS0_14default_configENS1_35radix_sort_onesweep_config_selectorI6__halfNS0_10empty_typeEEEZZNS1_29radix_sort_onesweep_iterationIS3_Lb1EPKS5_PS5_PS6_SC_mNS0_19identity_decomposerENS1_16block_id_wrapperIjLb1EEEEE10hipError_tT1_PNSt15iterator_traitsISH_E10value_typeET2_T3_PNSI_ISN_E10value_typeET4_T5_PSS_ST_PNS1_23onesweep_lookback_stateEbbT6_jjT7_P12ihipStream_tbENKUlT_T0_SH_SM_E_clISA_SB_SC_SC_EEDaS10_S11_SH_SM_EUlS10_E_NS1_11comp_targetILNS1_3genE6ELNS1_11target_archE950ELNS1_3gpuE13ELNS1_3repE0EEENS1_47radix_sort_onesweep_sort_config_static_selectorELNS0_4arch9wavefront6targetE0EEEvSH_,comdat
.Lfunc_end2164:
	.size	_ZN7rocprim17ROCPRIM_400000_NS6detail17trampoline_kernelINS0_14default_configENS1_35radix_sort_onesweep_config_selectorI6__halfNS0_10empty_typeEEEZZNS1_29radix_sort_onesweep_iterationIS3_Lb1EPKS5_PS5_PS6_SC_mNS0_19identity_decomposerENS1_16block_id_wrapperIjLb1EEEEE10hipError_tT1_PNSt15iterator_traitsISH_E10value_typeET2_T3_PNSI_ISN_E10value_typeET4_T5_PSS_ST_PNS1_23onesweep_lookback_stateEbbT6_jjT7_P12ihipStream_tbENKUlT_T0_SH_SM_E_clISA_SB_SC_SC_EEDaS10_S11_SH_SM_EUlS10_E_NS1_11comp_targetILNS1_3genE6ELNS1_11target_archE950ELNS1_3gpuE13ELNS1_3repE0EEENS1_47radix_sort_onesweep_sort_config_static_selectorELNS0_4arch9wavefront6targetE0EEEvSH_, .Lfunc_end2164-_ZN7rocprim17ROCPRIM_400000_NS6detail17trampoline_kernelINS0_14default_configENS1_35radix_sort_onesweep_config_selectorI6__halfNS0_10empty_typeEEEZZNS1_29radix_sort_onesweep_iterationIS3_Lb1EPKS5_PS5_PS6_SC_mNS0_19identity_decomposerENS1_16block_id_wrapperIjLb1EEEEE10hipError_tT1_PNSt15iterator_traitsISH_E10value_typeET2_T3_PNSI_ISN_E10value_typeET4_T5_PSS_ST_PNS1_23onesweep_lookback_stateEbbT6_jjT7_P12ihipStream_tbENKUlT_T0_SH_SM_E_clISA_SB_SC_SC_EEDaS10_S11_SH_SM_EUlS10_E_NS1_11comp_targetILNS1_3genE6ELNS1_11target_archE950ELNS1_3gpuE13ELNS1_3repE0EEENS1_47radix_sort_onesweep_sort_config_static_selectorELNS0_4arch9wavefront6targetE0EEEvSH_
                                        ; -- End function
	.set _ZN7rocprim17ROCPRIM_400000_NS6detail17trampoline_kernelINS0_14default_configENS1_35radix_sort_onesweep_config_selectorI6__halfNS0_10empty_typeEEEZZNS1_29radix_sort_onesweep_iterationIS3_Lb1EPKS5_PS5_PS6_SC_mNS0_19identity_decomposerENS1_16block_id_wrapperIjLb1EEEEE10hipError_tT1_PNSt15iterator_traitsISH_E10value_typeET2_T3_PNSI_ISN_E10value_typeET4_T5_PSS_ST_PNS1_23onesweep_lookback_stateEbbT6_jjT7_P12ihipStream_tbENKUlT_T0_SH_SM_E_clISA_SB_SC_SC_EEDaS10_S11_SH_SM_EUlS10_E_NS1_11comp_targetILNS1_3genE6ELNS1_11target_archE950ELNS1_3gpuE13ELNS1_3repE0EEENS1_47radix_sort_onesweep_sort_config_static_selectorELNS0_4arch9wavefront6targetE0EEEvSH_.num_vgpr, 0
	.set _ZN7rocprim17ROCPRIM_400000_NS6detail17trampoline_kernelINS0_14default_configENS1_35radix_sort_onesweep_config_selectorI6__halfNS0_10empty_typeEEEZZNS1_29radix_sort_onesweep_iterationIS3_Lb1EPKS5_PS5_PS6_SC_mNS0_19identity_decomposerENS1_16block_id_wrapperIjLb1EEEEE10hipError_tT1_PNSt15iterator_traitsISH_E10value_typeET2_T3_PNSI_ISN_E10value_typeET4_T5_PSS_ST_PNS1_23onesweep_lookback_stateEbbT6_jjT7_P12ihipStream_tbENKUlT_T0_SH_SM_E_clISA_SB_SC_SC_EEDaS10_S11_SH_SM_EUlS10_E_NS1_11comp_targetILNS1_3genE6ELNS1_11target_archE950ELNS1_3gpuE13ELNS1_3repE0EEENS1_47radix_sort_onesweep_sort_config_static_selectorELNS0_4arch9wavefront6targetE0EEEvSH_.num_agpr, 0
	.set _ZN7rocprim17ROCPRIM_400000_NS6detail17trampoline_kernelINS0_14default_configENS1_35radix_sort_onesweep_config_selectorI6__halfNS0_10empty_typeEEEZZNS1_29radix_sort_onesweep_iterationIS3_Lb1EPKS5_PS5_PS6_SC_mNS0_19identity_decomposerENS1_16block_id_wrapperIjLb1EEEEE10hipError_tT1_PNSt15iterator_traitsISH_E10value_typeET2_T3_PNSI_ISN_E10value_typeET4_T5_PSS_ST_PNS1_23onesweep_lookback_stateEbbT6_jjT7_P12ihipStream_tbENKUlT_T0_SH_SM_E_clISA_SB_SC_SC_EEDaS10_S11_SH_SM_EUlS10_E_NS1_11comp_targetILNS1_3genE6ELNS1_11target_archE950ELNS1_3gpuE13ELNS1_3repE0EEENS1_47radix_sort_onesweep_sort_config_static_selectorELNS0_4arch9wavefront6targetE0EEEvSH_.numbered_sgpr, 0
	.set _ZN7rocprim17ROCPRIM_400000_NS6detail17trampoline_kernelINS0_14default_configENS1_35radix_sort_onesweep_config_selectorI6__halfNS0_10empty_typeEEEZZNS1_29radix_sort_onesweep_iterationIS3_Lb1EPKS5_PS5_PS6_SC_mNS0_19identity_decomposerENS1_16block_id_wrapperIjLb1EEEEE10hipError_tT1_PNSt15iterator_traitsISH_E10value_typeET2_T3_PNSI_ISN_E10value_typeET4_T5_PSS_ST_PNS1_23onesweep_lookback_stateEbbT6_jjT7_P12ihipStream_tbENKUlT_T0_SH_SM_E_clISA_SB_SC_SC_EEDaS10_S11_SH_SM_EUlS10_E_NS1_11comp_targetILNS1_3genE6ELNS1_11target_archE950ELNS1_3gpuE13ELNS1_3repE0EEENS1_47radix_sort_onesweep_sort_config_static_selectorELNS0_4arch9wavefront6targetE0EEEvSH_.num_named_barrier, 0
	.set _ZN7rocprim17ROCPRIM_400000_NS6detail17trampoline_kernelINS0_14default_configENS1_35radix_sort_onesweep_config_selectorI6__halfNS0_10empty_typeEEEZZNS1_29radix_sort_onesweep_iterationIS3_Lb1EPKS5_PS5_PS6_SC_mNS0_19identity_decomposerENS1_16block_id_wrapperIjLb1EEEEE10hipError_tT1_PNSt15iterator_traitsISH_E10value_typeET2_T3_PNSI_ISN_E10value_typeET4_T5_PSS_ST_PNS1_23onesweep_lookback_stateEbbT6_jjT7_P12ihipStream_tbENKUlT_T0_SH_SM_E_clISA_SB_SC_SC_EEDaS10_S11_SH_SM_EUlS10_E_NS1_11comp_targetILNS1_3genE6ELNS1_11target_archE950ELNS1_3gpuE13ELNS1_3repE0EEENS1_47radix_sort_onesweep_sort_config_static_selectorELNS0_4arch9wavefront6targetE0EEEvSH_.private_seg_size, 0
	.set _ZN7rocprim17ROCPRIM_400000_NS6detail17trampoline_kernelINS0_14default_configENS1_35radix_sort_onesweep_config_selectorI6__halfNS0_10empty_typeEEEZZNS1_29radix_sort_onesweep_iterationIS3_Lb1EPKS5_PS5_PS6_SC_mNS0_19identity_decomposerENS1_16block_id_wrapperIjLb1EEEEE10hipError_tT1_PNSt15iterator_traitsISH_E10value_typeET2_T3_PNSI_ISN_E10value_typeET4_T5_PSS_ST_PNS1_23onesweep_lookback_stateEbbT6_jjT7_P12ihipStream_tbENKUlT_T0_SH_SM_E_clISA_SB_SC_SC_EEDaS10_S11_SH_SM_EUlS10_E_NS1_11comp_targetILNS1_3genE6ELNS1_11target_archE950ELNS1_3gpuE13ELNS1_3repE0EEENS1_47radix_sort_onesweep_sort_config_static_selectorELNS0_4arch9wavefront6targetE0EEEvSH_.uses_vcc, 0
	.set _ZN7rocprim17ROCPRIM_400000_NS6detail17trampoline_kernelINS0_14default_configENS1_35radix_sort_onesweep_config_selectorI6__halfNS0_10empty_typeEEEZZNS1_29radix_sort_onesweep_iterationIS3_Lb1EPKS5_PS5_PS6_SC_mNS0_19identity_decomposerENS1_16block_id_wrapperIjLb1EEEEE10hipError_tT1_PNSt15iterator_traitsISH_E10value_typeET2_T3_PNSI_ISN_E10value_typeET4_T5_PSS_ST_PNS1_23onesweep_lookback_stateEbbT6_jjT7_P12ihipStream_tbENKUlT_T0_SH_SM_E_clISA_SB_SC_SC_EEDaS10_S11_SH_SM_EUlS10_E_NS1_11comp_targetILNS1_3genE6ELNS1_11target_archE950ELNS1_3gpuE13ELNS1_3repE0EEENS1_47radix_sort_onesweep_sort_config_static_selectorELNS0_4arch9wavefront6targetE0EEEvSH_.uses_flat_scratch, 0
	.set _ZN7rocprim17ROCPRIM_400000_NS6detail17trampoline_kernelINS0_14default_configENS1_35radix_sort_onesweep_config_selectorI6__halfNS0_10empty_typeEEEZZNS1_29radix_sort_onesweep_iterationIS3_Lb1EPKS5_PS5_PS6_SC_mNS0_19identity_decomposerENS1_16block_id_wrapperIjLb1EEEEE10hipError_tT1_PNSt15iterator_traitsISH_E10value_typeET2_T3_PNSI_ISN_E10value_typeET4_T5_PSS_ST_PNS1_23onesweep_lookback_stateEbbT6_jjT7_P12ihipStream_tbENKUlT_T0_SH_SM_E_clISA_SB_SC_SC_EEDaS10_S11_SH_SM_EUlS10_E_NS1_11comp_targetILNS1_3genE6ELNS1_11target_archE950ELNS1_3gpuE13ELNS1_3repE0EEENS1_47radix_sort_onesweep_sort_config_static_selectorELNS0_4arch9wavefront6targetE0EEEvSH_.has_dyn_sized_stack, 0
	.set _ZN7rocprim17ROCPRIM_400000_NS6detail17trampoline_kernelINS0_14default_configENS1_35radix_sort_onesweep_config_selectorI6__halfNS0_10empty_typeEEEZZNS1_29radix_sort_onesweep_iterationIS3_Lb1EPKS5_PS5_PS6_SC_mNS0_19identity_decomposerENS1_16block_id_wrapperIjLb1EEEEE10hipError_tT1_PNSt15iterator_traitsISH_E10value_typeET2_T3_PNSI_ISN_E10value_typeET4_T5_PSS_ST_PNS1_23onesweep_lookback_stateEbbT6_jjT7_P12ihipStream_tbENKUlT_T0_SH_SM_E_clISA_SB_SC_SC_EEDaS10_S11_SH_SM_EUlS10_E_NS1_11comp_targetILNS1_3genE6ELNS1_11target_archE950ELNS1_3gpuE13ELNS1_3repE0EEENS1_47radix_sort_onesweep_sort_config_static_selectorELNS0_4arch9wavefront6targetE0EEEvSH_.has_recursion, 0
	.set _ZN7rocprim17ROCPRIM_400000_NS6detail17trampoline_kernelINS0_14default_configENS1_35radix_sort_onesweep_config_selectorI6__halfNS0_10empty_typeEEEZZNS1_29radix_sort_onesweep_iterationIS3_Lb1EPKS5_PS5_PS6_SC_mNS0_19identity_decomposerENS1_16block_id_wrapperIjLb1EEEEE10hipError_tT1_PNSt15iterator_traitsISH_E10value_typeET2_T3_PNSI_ISN_E10value_typeET4_T5_PSS_ST_PNS1_23onesweep_lookback_stateEbbT6_jjT7_P12ihipStream_tbENKUlT_T0_SH_SM_E_clISA_SB_SC_SC_EEDaS10_S11_SH_SM_EUlS10_E_NS1_11comp_targetILNS1_3genE6ELNS1_11target_archE950ELNS1_3gpuE13ELNS1_3repE0EEENS1_47radix_sort_onesweep_sort_config_static_selectorELNS0_4arch9wavefront6targetE0EEEvSH_.has_indirect_call, 0
	.section	.AMDGPU.csdata,"",@progbits
; Kernel info:
; codeLenInByte = 0
; TotalNumSgprs: 0
; NumVgprs: 0
; ScratchSize: 0
; MemoryBound: 0
; FloatMode: 240
; IeeeMode: 1
; LDSByteSize: 0 bytes/workgroup (compile time only)
; SGPRBlocks: 0
; VGPRBlocks: 0
; NumSGPRsForWavesPerEU: 1
; NumVGPRsForWavesPerEU: 1
; NamedBarCnt: 0
; Occupancy: 16
; WaveLimiterHint : 0
; COMPUTE_PGM_RSRC2:SCRATCH_EN: 0
; COMPUTE_PGM_RSRC2:USER_SGPR: 2
; COMPUTE_PGM_RSRC2:TRAP_HANDLER: 0
; COMPUTE_PGM_RSRC2:TGID_X_EN: 1
; COMPUTE_PGM_RSRC2:TGID_Y_EN: 0
; COMPUTE_PGM_RSRC2:TGID_Z_EN: 0
; COMPUTE_PGM_RSRC2:TIDIG_COMP_CNT: 0
	.section	.text._ZN7rocprim17ROCPRIM_400000_NS6detail17trampoline_kernelINS0_14default_configENS1_35radix_sort_onesweep_config_selectorI6__halfNS0_10empty_typeEEEZZNS1_29radix_sort_onesweep_iterationIS3_Lb1EPKS5_PS5_PS6_SC_mNS0_19identity_decomposerENS1_16block_id_wrapperIjLb1EEEEE10hipError_tT1_PNSt15iterator_traitsISH_E10value_typeET2_T3_PNSI_ISN_E10value_typeET4_T5_PSS_ST_PNS1_23onesweep_lookback_stateEbbT6_jjT7_P12ihipStream_tbENKUlT_T0_SH_SM_E_clISA_SB_SC_SC_EEDaS10_S11_SH_SM_EUlS10_E_NS1_11comp_targetILNS1_3genE5ELNS1_11target_archE942ELNS1_3gpuE9ELNS1_3repE0EEENS1_47radix_sort_onesweep_sort_config_static_selectorELNS0_4arch9wavefront6targetE0EEEvSH_,"axG",@progbits,_ZN7rocprim17ROCPRIM_400000_NS6detail17trampoline_kernelINS0_14default_configENS1_35radix_sort_onesweep_config_selectorI6__halfNS0_10empty_typeEEEZZNS1_29radix_sort_onesweep_iterationIS3_Lb1EPKS5_PS5_PS6_SC_mNS0_19identity_decomposerENS1_16block_id_wrapperIjLb1EEEEE10hipError_tT1_PNSt15iterator_traitsISH_E10value_typeET2_T3_PNSI_ISN_E10value_typeET4_T5_PSS_ST_PNS1_23onesweep_lookback_stateEbbT6_jjT7_P12ihipStream_tbENKUlT_T0_SH_SM_E_clISA_SB_SC_SC_EEDaS10_S11_SH_SM_EUlS10_E_NS1_11comp_targetILNS1_3genE5ELNS1_11target_archE942ELNS1_3gpuE9ELNS1_3repE0EEENS1_47radix_sort_onesweep_sort_config_static_selectorELNS0_4arch9wavefront6targetE0EEEvSH_,comdat
	.protected	_ZN7rocprim17ROCPRIM_400000_NS6detail17trampoline_kernelINS0_14default_configENS1_35radix_sort_onesweep_config_selectorI6__halfNS0_10empty_typeEEEZZNS1_29radix_sort_onesweep_iterationIS3_Lb1EPKS5_PS5_PS6_SC_mNS0_19identity_decomposerENS1_16block_id_wrapperIjLb1EEEEE10hipError_tT1_PNSt15iterator_traitsISH_E10value_typeET2_T3_PNSI_ISN_E10value_typeET4_T5_PSS_ST_PNS1_23onesweep_lookback_stateEbbT6_jjT7_P12ihipStream_tbENKUlT_T0_SH_SM_E_clISA_SB_SC_SC_EEDaS10_S11_SH_SM_EUlS10_E_NS1_11comp_targetILNS1_3genE5ELNS1_11target_archE942ELNS1_3gpuE9ELNS1_3repE0EEENS1_47radix_sort_onesweep_sort_config_static_selectorELNS0_4arch9wavefront6targetE0EEEvSH_ ; -- Begin function _ZN7rocprim17ROCPRIM_400000_NS6detail17trampoline_kernelINS0_14default_configENS1_35radix_sort_onesweep_config_selectorI6__halfNS0_10empty_typeEEEZZNS1_29radix_sort_onesweep_iterationIS3_Lb1EPKS5_PS5_PS6_SC_mNS0_19identity_decomposerENS1_16block_id_wrapperIjLb1EEEEE10hipError_tT1_PNSt15iterator_traitsISH_E10value_typeET2_T3_PNSI_ISN_E10value_typeET4_T5_PSS_ST_PNS1_23onesweep_lookback_stateEbbT6_jjT7_P12ihipStream_tbENKUlT_T0_SH_SM_E_clISA_SB_SC_SC_EEDaS10_S11_SH_SM_EUlS10_E_NS1_11comp_targetILNS1_3genE5ELNS1_11target_archE942ELNS1_3gpuE9ELNS1_3repE0EEENS1_47radix_sort_onesweep_sort_config_static_selectorELNS0_4arch9wavefront6targetE0EEEvSH_
	.globl	_ZN7rocprim17ROCPRIM_400000_NS6detail17trampoline_kernelINS0_14default_configENS1_35radix_sort_onesweep_config_selectorI6__halfNS0_10empty_typeEEEZZNS1_29radix_sort_onesweep_iterationIS3_Lb1EPKS5_PS5_PS6_SC_mNS0_19identity_decomposerENS1_16block_id_wrapperIjLb1EEEEE10hipError_tT1_PNSt15iterator_traitsISH_E10value_typeET2_T3_PNSI_ISN_E10value_typeET4_T5_PSS_ST_PNS1_23onesweep_lookback_stateEbbT6_jjT7_P12ihipStream_tbENKUlT_T0_SH_SM_E_clISA_SB_SC_SC_EEDaS10_S11_SH_SM_EUlS10_E_NS1_11comp_targetILNS1_3genE5ELNS1_11target_archE942ELNS1_3gpuE9ELNS1_3repE0EEENS1_47radix_sort_onesweep_sort_config_static_selectorELNS0_4arch9wavefront6targetE0EEEvSH_
	.p2align	8
	.type	_ZN7rocprim17ROCPRIM_400000_NS6detail17trampoline_kernelINS0_14default_configENS1_35radix_sort_onesweep_config_selectorI6__halfNS0_10empty_typeEEEZZNS1_29radix_sort_onesweep_iterationIS3_Lb1EPKS5_PS5_PS6_SC_mNS0_19identity_decomposerENS1_16block_id_wrapperIjLb1EEEEE10hipError_tT1_PNSt15iterator_traitsISH_E10value_typeET2_T3_PNSI_ISN_E10value_typeET4_T5_PSS_ST_PNS1_23onesweep_lookback_stateEbbT6_jjT7_P12ihipStream_tbENKUlT_T0_SH_SM_E_clISA_SB_SC_SC_EEDaS10_S11_SH_SM_EUlS10_E_NS1_11comp_targetILNS1_3genE5ELNS1_11target_archE942ELNS1_3gpuE9ELNS1_3repE0EEENS1_47radix_sort_onesweep_sort_config_static_selectorELNS0_4arch9wavefront6targetE0EEEvSH_,@function
_ZN7rocprim17ROCPRIM_400000_NS6detail17trampoline_kernelINS0_14default_configENS1_35radix_sort_onesweep_config_selectorI6__halfNS0_10empty_typeEEEZZNS1_29radix_sort_onesweep_iterationIS3_Lb1EPKS5_PS5_PS6_SC_mNS0_19identity_decomposerENS1_16block_id_wrapperIjLb1EEEEE10hipError_tT1_PNSt15iterator_traitsISH_E10value_typeET2_T3_PNSI_ISN_E10value_typeET4_T5_PSS_ST_PNS1_23onesweep_lookback_stateEbbT6_jjT7_P12ihipStream_tbENKUlT_T0_SH_SM_E_clISA_SB_SC_SC_EEDaS10_S11_SH_SM_EUlS10_E_NS1_11comp_targetILNS1_3genE5ELNS1_11target_archE942ELNS1_3gpuE9ELNS1_3repE0EEENS1_47radix_sort_onesweep_sort_config_static_selectorELNS0_4arch9wavefront6targetE0EEEvSH_: ; @_ZN7rocprim17ROCPRIM_400000_NS6detail17trampoline_kernelINS0_14default_configENS1_35radix_sort_onesweep_config_selectorI6__halfNS0_10empty_typeEEEZZNS1_29radix_sort_onesweep_iterationIS3_Lb1EPKS5_PS5_PS6_SC_mNS0_19identity_decomposerENS1_16block_id_wrapperIjLb1EEEEE10hipError_tT1_PNSt15iterator_traitsISH_E10value_typeET2_T3_PNSI_ISN_E10value_typeET4_T5_PSS_ST_PNS1_23onesweep_lookback_stateEbbT6_jjT7_P12ihipStream_tbENKUlT_T0_SH_SM_E_clISA_SB_SC_SC_EEDaS10_S11_SH_SM_EUlS10_E_NS1_11comp_targetILNS1_3genE5ELNS1_11target_archE942ELNS1_3gpuE9ELNS1_3repE0EEENS1_47radix_sort_onesweep_sort_config_static_selectorELNS0_4arch9wavefront6targetE0EEEvSH_
; %bb.0:
	.section	.rodata,"a",@progbits
	.p2align	6, 0x0
	.amdhsa_kernel _ZN7rocprim17ROCPRIM_400000_NS6detail17trampoline_kernelINS0_14default_configENS1_35radix_sort_onesweep_config_selectorI6__halfNS0_10empty_typeEEEZZNS1_29radix_sort_onesweep_iterationIS3_Lb1EPKS5_PS5_PS6_SC_mNS0_19identity_decomposerENS1_16block_id_wrapperIjLb1EEEEE10hipError_tT1_PNSt15iterator_traitsISH_E10value_typeET2_T3_PNSI_ISN_E10value_typeET4_T5_PSS_ST_PNS1_23onesweep_lookback_stateEbbT6_jjT7_P12ihipStream_tbENKUlT_T0_SH_SM_E_clISA_SB_SC_SC_EEDaS10_S11_SH_SM_EUlS10_E_NS1_11comp_targetILNS1_3genE5ELNS1_11target_archE942ELNS1_3gpuE9ELNS1_3repE0EEENS1_47radix_sort_onesweep_sort_config_static_selectorELNS0_4arch9wavefront6targetE0EEEvSH_
		.amdhsa_group_segment_fixed_size 0
		.amdhsa_private_segment_fixed_size 0
		.amdhsa_kernarg_size 88
		.amdhsa_user_sgpr_count 2
		.amdhsa_user_sgpr_dispatch_ptr 0
		.amdhsa_user_sgpr_queue_ptr 0
		.amdhsa_user_sgpr_kernarg_segment_ptr 1
		.amdhsa_user_sgpr_dispatch_id 0
		.amdhsa_user_sgpr_kernarg_preload_length 0
		.amdhsa_user_sgpr_kernarg_preload_offset 0
		.amdhsa_user_sgpr_private_segment_size 0
		.amdhsa_wavefront_size32 1
		.amdhsa_uses_dynamic_stack 0
		.amdhsa_enable_private_segment 0
		.amdhsa_system_sgpr_workgroup_id_x 1
		.amdhsa_system_sgpr_workgroup_id_y 0
		.amdhsa_system_sgpr_workgroup_id_z 0
		.amdhsa_system_sgpr_workgroup_info 0
		.amdhsa_system_vgpr_workitem_id 0
		.amdhsa_next_free_vgpr 1
		.amdhsa_next_free_sgpr 1
		.amdhsa_named_barrier_count 0
		.amdhsa_reserve_vcc 0
		.amdhsa_float_round_mode_32 0
		.amdhsa_float_round_mode_16_64 0
		.amdhsa_float_denorm_mode_32 3
		.amdhsa_float_denorm_mode_16_64 3
		.amdhsa_fp16_overflow 0
		.amdhsa_memory_ordered 1
		.amdhsa_forward_progress 1
		.amdhsa_inst_pref_size 0
		.amdhsa_round_robin_scheduling 0
		.amdhsa_exception_fp_ieee_invalid_op 0
		.amdhsa_exception_fp_denorm_src 0
		.amdhsa_exception_fp_ieee_div_zero 0
		.amdhsa_exception_fp_ieee_overflow 0
		.amdhsa_exception_fp_ieee_underflow 0
		.amdhsa_exception_fp_ieee_inexact 0
		.amdhsa_exception_int_div_zero 0
	.end_amdhsa_kernel
	.section	.text._ZN7rocprim17ROCPRIM_400000_NS6detail17trampoline_kernelINS0_14default_configENS1_35radix_sort_onesweep_config_selectorI6__halfNS0_10empty_typeEEEZZNS1_29radix_sort_onesweep_iterationIS3_Lb1EPKS5_PS5_PS6_SC_mNS0_19identity_decomposerENS1_16block_id_wrapperIjLb1EEEEE10hipError_tT1_PNSt15iterator_traitsISH_E10value_typeET2_T3_PNSI_ISN_E10value_typeET4_T5_PSS_ST_PNS1_23onesweep_lookback_stateEbbT6_jjT7_P12ihipStream_tbENKUlT_T0_SH_SM_E_clISA_SB_SC_SC_EEDaS10_S11_SH_SM_EUlS10_E_NS1_11comp_targetILNS1_3genE5ELNS1_11target_archE942ELNS1_3gpuE9ELNS1_3repE0EEENS1_47radix_sort_onesweep_sort_config_static_selectorELNS0_4arch9wavefront6targetE0EEEvSH_,"axG",@progbits,_ZN7rocprim17ROCPRIM_400000_NS6detail17trampoline_kernelINS0_14default_configENS1_35radix_sort_onesweep_config_selectorI6__halfNS0_10empty_typeEEEZZNS1_29radix_sort_onesweep_iterationIS3_Lb1EPKS5_PS5_PS6_SC_mNS0_19identity_decomposerENS1_16block_id_wrapperIjLb1EEEEE10hipError_tT1_PNSt15iterator_traitsISH_E10value_typeET2_T3_PNSI_ISN_E10value_typeET4_T5_PSS_ST_PNS1_23onesweep_lookback_stateEbbT6_jjT7_P12ihipStream_tbENKUlT_T0_SH_SM_E_clISA_SB_SC_SC_EEDaS10_S11_SH_SM_EUlS10_E_NS1_11comp_targetILNS1_3genE5ELNS1_11target_archE942ELNS1_3gpuE9ELNS1_3repE0EEENS1_47radix_sort_onesweep_sort_config_static_selectorELNS0_4arch9wavefront6targetE0EEEvSH_,comdat
.Lfunc_end2165:
	.size	_ZN7rocprim17ROCPRIM_400000_NS6detail17trampoline_kernelINS0_14default_configENS1_35radix_sort_onesweep_config_selectorI6__halfNS0_10empty_typeEEEZZNS1_29radix_sort_onesweep_iterationIS3_Lb1EPKS5_PS5_PS6_SC_mNS0_19identity_decomposerENS1_16block_id_wrapperIjLb1EEEEE10hipError_tT1_PNSt15iterator_traitsISH_E10value_typeET2_T3_PNSI_ISN_E10value_typeET4_T5_PSS_ST_PNS1_23onesweep_lookback_stateEbbT6_jjT7_P12ihipStream_tbENKUlT_T0_SH_SM_E_clISA_SB_SC_SC_EEDaS10_S11_SH_SM_EUlS10_E_NS1_11comp_targetILNS1_3genE5ELNS1_11target_archE942ELNS1_3gpuE9ELNS1_3repE0EEENS1_47radix_sort_onesweep_sort_config_static_selectorELNS0_4arch9wavefront6targetE0EEEvSH_, .Lfunc_end2165-_ZN7rocprim17ROCPRIM_400000_NS6detail17trampoline_kernelINS0_14default_configENS1_35radix_sort_onesweep_config_selectorI6__halfNS0_10empty_typeEEEZZNS1_29radix_sort_onesweep_iterationIS3_Lb1EPKS5_PS5_PS6_SC_mNS0_19identity_decomposerENS1_16block_id_wrapperIjLb1EEEEE10hipError_tT1_PNSt15iterator_traitsISH_E10value_typeET2_T3_PNSI_ISN_E10value_typeET4_T5_PSS_ST_PNS1_23onesweep_lookback_stateEbbT6_jjT7_P12ihipStream_tbENKUlT_T0_SH_SM_E_clISA_SB_SC_SC_EEDaS10_S11_SH_SM_EUlS10_E_NS1_11comp_targetILNS1_3genE5ELNS1_11target_archE942ELNS1_3gpuE9ELNS1_3repE0EEENS1_47radix_sort_onesweep_sort_config_static_selectorELNS0_4arch9wavefront6targetE0EEEvSH_
                                        ; -- End function
	.set _ZN7rocprim17ROCPRIM_400000_NS6detail17trampoline_kernelINS0_14default_configENS1_35radix_sort_onesweep_config_selectorI6__halfNS0_10empty_typeEEEZZNS1_29radix_sort_onesweep_iterationIS3_Lb1EPKS5_PS5_PS6_SC_mNS0_19identity_decomposerENS1_16block_id_wrapperIjLb1EEEEE10hipError_tT1_PNSt15iterator_traitsISH_E10value_typeET2_T3_PNSI_ISN_E10value_typeET4_T5_PSS_ST_PNS1_23onesweep_lookback_stateEbbT6_jjT7_P12ihipStream_tbENKUlT_T0_SH_SM_E_clISA_SB_SC_SC_EEDaS10_S11_SH_SM_EUlS10_E_NS1_11comp_targetILNS1_3genE5ELNS1_11target_archE942ELNS1_3gpuE9ELNS1_3repE0EEENS1_47radix_sort_onesweep_sort_config_static_selectorELNS0_4arch9wavefront6targetE0EEEvSH_.num_vgpr, 0
	.set _ZN7rocprim17ROCPRIM_400000_NS6detail17trampoline_kernelINS0_14default_configENS1_35radix_sort_onesweep_config_selectorI6__halfNS0_10empty_typeEEEZZNS1_29radix_sort_onesweep_iterationIS3_Lb1EPKS5_PS5_PS6_SC_mNS0_19identity_decomposerENS1_16block_id_wrapperIjLb1EEEEE10hipError_tT1_PNSt15iterator_traitsISH_E10value_typeET2_T3_PNSI_ISN_E10value_typeET4_T5_PSS_ST_PNS1_23onesweep_lookback_stateEbbT6_jjT7_P12ihipStream_tbENKUlT_T0_SH_SM_E_clISA_SB_SC_SC_EEDaS10_S11_SH_SM_EUlS10_E_NS1_11comp_targetILNS1_3genE5ELNS1_11target_archE942ELNS1_3gpuE9ELNS1_3repE0EEENS1_47radix_sort_onesweep_sort_config_static_selectorELNS0_4arch9wavefront6targetE0EEEvSH_.num_agpr, 0
	.set _ZN7rocprim17ROCPRIM_400000_NS6detail17trampoline_kernelINS0_14default_configENS1_35radix_sort_onesweep_config_selectorI6__halfNS0_10empty_typeEEEZZNS1_29radix_sort_onesweep_iterationIS3_Lb1EPKS5_PS5_PS6_SC_mNS0_19identity_decomposerENS1_16block_id_wrapperIjLb1EEEEE10hipError_tT1_PNSt15iterator_traitsISH_E10value_typeET2_T3_PNSI_ISN_E10value_typeET4_T5_PSS_ST_PNS1_23onesweep_lookback_stateEbbT6_jjT7_P12ihipStream_tbENKUlT_T0_SH_SM_E_clISA_SB_SC_SC_EEDaS10_S11_SH_SM_EUlS10_E_NS1_11comp_targetILNS1_3genE5ELNS1_11target_archE942ELNS1_3gpuE9ELNS1_3repE0EEENS1_47radix_sort_onesweep_sort_config_static_selectorELNS0_4arch9wavefront6targetE0EEEvSH_.numbered_sgpr, 0
	.set _ZN7rocprim17ROCPRIM_400000_NS6detail17trampoline_kernelINS0_14default_configENS1_35radix_sort_onesweep_config_selectorI6__halfNS0_10empty_typeEEEZZNS1_29radix_sort_onesweep_iterationIS3_Lb1EPKS5_PS5_PS6_SC_mNS0_19identity_decomposerENS1_16block_id_wrapperIjLb1EEEEE10hipError_tT1_PNSt15iterator_traitsISH_E10value_typeET2_T3_PNSI_ISN_E10value_typeET4_T5_PSS_ST_PNS1_23onesweep_lookback_stateEbbT6_jjT7_P12ihipStream_tbENKUlT_T0_SH_SM_E_clISA_SB_SC_SC_EEDaS10_S11_SH_SM_EUlS10_E_NS1_11comp_targetILNS1_3genE5ELNS1_11target_archE942ELNS1_3gpuE9ELNS1_3repE0EEENS1_47radix_sort_onesweep_sort_config_static_selectorELNS0_4arch9wavefront6targetE0EEEvSH_.num_named_barrier, 0
	.set _ZN7rocprim17ROCPRIM_400000_NS6detail17trampoline_kernelINS0_14default_configENS1_35radix_sort_onesweep_config_selectorI6__halfNS0_10empty_typeEEEZZNS1_29radix_sort_onesweep_iterationIS3_Lb1EPKS5_PS5_PS6_SC_mNS0_19identity_decomposerENS1_16block_id_wrapperIjLb1EEEEE10hipError_tT1_PNSt15iterator_traitsISH_E10value_typeET2_T3_PNSI_ISN_E10value_typeET4_T5_PSS_ST_PNS1_23onesweep_lookback_stateEbbT6_jjT7_P12ihipStream_tbENKUlT_T0_SH_SM_E_clISA_SB_SC_SC_EEDaS10_S11_SH_SM_EUlS10_E_NS1_11comp_targetILNS1_3genE5ELNS1_11target_archE942ELNS1_3gpuE9ELNS1_3repE0EEENS1_47radix_sort_onesweep_sort_config_static_selectorELNS0_4arch9wavefront6targetE0EEEvSH_.private_seg_size, 0
	.set _ZN7rocprim17ROCPRIM_400000_NS6detail17trampoline_kernelINS0_14default_configENS1_35radix_sort_onesweep_config_selectorI6__halfNS0_10empty_typeEEEZZNS1_29radix_sort_onesweep_iterationIS3_Lb1EPKS5_PS5_PS6_SC_mNS0_19identity_decomposerENS1_16block_id_wrapperIjLb1EEEEE10hipError_tT1_PNSt15iterator_traitsISH_E10value_typeET2_T3_PNSI_ISN_E10value_typeET4_T5_PSS_ST_PNS1_23onesweep_lookback_stateEbbT6_jjT7_P12ihipStream_tbENKUlT_T0_SH_SM_E_clISA_SB_SC_SC_EEDaS10_S11_SH_SM_EUlS10_E_NS1_11comp_targetILNS1_3genE5ELNS1_11target_archE942ELNS1_3gpuE9ELNS1_3repE0EEENS1_47radix_sort_onesweep_sort_config_static_selectorELNS0_4arch9wavefront6targetE0EEEvSH_.uses_vcc, 0
	.set _ZN7rocprim17ROCPRIM_400000_NS6detail17trampoline_kernelINS0_14default_configENS1_35radix_sort_onesweep_config_selectorI6__halfNS0_10empty_typeEEEZZNS1_29radix_sort_onesweep_iterationIS3_Lb1EPKS5_PS5_PS6_SC_mNS0_19identity_decomposerENS1_16block_id_wrapperIjLb1EEEEE10hipError_tT1_PNSt15iterator_traitsISH_E10value_typeET2_T3_PNSI_ISN_E10value_typeET4_T5_PSS_ST_PNS1_23onesweep_lookback_stateEbbT6_jjT7_P12ihipStream_tbENKUlT_T0_SH_SM_E_clISA_SB_SC_SC_EEDaS10_S11_SH_SM_EUlS10_E_NS1_11comp_targetILNS1_3genE5ELNS1_11target_archE942ELNS1_3gpuE9ELNS1_3repE0EEENS1_47radix_sort_onesweep_sort_config_static_selectorELNS0_4arch9wavefront6targetE0EEEvSH_.uses_flat_scratch, 0
	.set _ZN7rocprim17ROCPRIM_400000_NS6detail17trampoline_kernelINS0_14default_configENS1_35radix_sort_onesweep_config_selectorI6__halfNS0_10empty_typeEEEZZNS1_29radix_sort_onesweep_iterationIS3_Lb1EPKS5_PS5_PS6_SC_mNS0_19identity_decomposerENS1_16block_id_wrapperIjLb1EEEEE10hipError_tT1_PNSt15iterator_traitsISH_E10value_typeET2_T3_PNSI_ISN_E10value_typeET4_T5_PSS_ST_PNS1_23onesweep_lookback_stateEbbT6_jjT7_P12ihipStream_tbENKUlT_T0_SH_SM_E_clISA_SB_SC_SC_EEDaS10_S11_SH_SM_EUlS10_E_NS1_11comp_targetILNS1_3genE5ELNS1_11target_archE942ELNS1_3gpuE9ELNS1_3repE0EEENS1_47radix_sort_onesweep_sort_config_static_selectorELNS0_4arch9wavefront6targetE0EEEvSH_.has_dyn_sized_stack, 0
	.set _ZN7rocprim17ROCPRIM_400000_NS6detail17trampoline_kernelINS0_14default_configENS1_35radix_sort_onesweep_config_selectorI6__halfNS0_10empty_typeEEEZZNS1_29radix_sort_onesweep_iterationIS3_Lb1EPKS5_PS5_PS6_SC_mNS0_19identity_decomposerENS1_16block_id_wrapperIjLb1EEEEE10hipError_tT1_PNSt15iterator_traitsISH_E10value_typeET2_T3_PNSI_ISN_E10value_typeET4_T5_PSS_ST_PNS1_23onesweep_lookback_stateEbbT6_jjT7_P12ihipStream_tbENKUlT_T0_SH_SM_E_clISA_SB_SC_SC_EEDaS10_S11_SH_SM_EUlS10_E_NS1_11comp_targetILNS1_3genE5ELNS1_11target_archE942ELNS1_3gpuE9ELNS1_3repE0EEENS1_47radix_sort_onesweep_sort_config_static_selectorELNS0_4arch9wavefront6targetE0EEEvSH_.has_recursion, 0
	.set _ZN7rocprim17ROCPRIM_400000_NS6detail17trampoline_kernelINS0_14default_configENS1_35radix_sort_onesweep_config_selectorI6__halfNS0_10empty_typeEEEZZNS1_29radix_sort_onesweep_iterationIS3_Lb1EPKS5_PS5_PS6_SC_mNS0_19identity_decomposerENS1_16block_id_wrapperIjLb1EEEEE10hipError_tT1_PNSt15iterator_traitsISH_E10value_typeET2_T3_PNSI_ISN_E10value_typeET4_T5_PSS_ST_PNS1_23onesweep_lookback_stateEbbT6_jjT7_P12ihipStream_tbENKUlT_T0_SH_SM_E_clISA_SB_SC_SC_EEDaS10_S11_SH_SM_EUlS10_E_NS1_11comp_targetILNS1_3genE5ELNS1_11target_archE942ELNS1_3gpuE9ELNS1_3repE0EEENS1_47radix_sort_onesweep_sort_config_static_selectorELNS0_4arch9wavefront6targetE0EEEvSH_.has_indirect_call, 0
	.section	.AMDGPU.csdata,"",@progbits
; Kernel info:
; codeLenInByte = 0
; TotalNumSgprs: 0
; NumVgprs: 0
; ScratchSize: 0
; MemoryBound: 0
; FloatMode: 240
; IeeeMode: 1
; LDSByteSize: 0 bytes/workgroup (compile time only)
; SGPRBlocks: 0
; VGPRBlocks: 0
; NumSGPRsForWavesPerEU: 1
; NumVGPRsForWavesPerEU: 1
; NamedBarCnt: 0
; Occupancy: 16
; WaveLimiterHint : 0
; COMPUTE_PGM_RSRC2:SCRATCH_EN: 0
; COMPUTE_PGM_RSRC2:USER_SGPR: 2
; COMPUTE_PGM_RSRC2:TRAP_HANDLER: 0
; COMPUTE_PGM_RSRC2:TGID_X_EN: 1
; COMPUTE_PGM_RSRC2:TGID_Y_EN: 0
; COMPUTE_PGM_RSRC2:TGID_Z_EN: 0
; COMPUTE_PGM_RSRC2:TIDIG_COMP_CNT: 0
	.section	.text._ZN7rocprim17ROCPRIM_400000_NS6detail17trampoline_kernelINS0_14default_configENS1_35radix_sort_onesweep_config_selectorI6__halfNS0_10empty_typeEEEZZNS1_29radix_sort_onesweep_iterationIS3_Lb1EPKS5_PS5_PS6_SC_mNS0_19identity_decomposerENS1_16block_id_wrapperIjLb1EEEEE10hipError_tT1_PNSt15iterator_traitsISH_E10value_typeET2_T3_PNSI_ISN_E10value_typeET4_T5_PSS_ST_PNS1_23onesweep_lookback_stateEbbT6_jjT7_P12ihipStream_tbENKUlT_T0_SH_SM_E_clISA_SB_SC_SC_EEDaS10_S11_SH_SM_EUlS10_E_NS1_11comp_targetILNS1_3genE2ELNS1_11target_archE906ELNS1_3gpuE6ELNS1_3repE0EEENS1_47radix_sort_onesweep_sort_config_static_selectorELNS0_4arch9wavefront6targetE0EEEvSH_,"axG",@progbits,_ZN7rocprim17ROCPRIM_400000_NS6detail17trampoline_kernelINS0_14default_configENS1_35radix_sort_onesweep_config_selectorI6__halfNS0_10empty_typeEEEZZNS1_29radix_sort_onesweep_iterationIS3_Lb1EPKS5_PS5_PS6_SC_mNS0_19identity_decomposerENS1_16block_id_wrapperIjLb1EEEEE10hipError_tT1_PNSt15iterator_traitsISH_E10value_typeET2_T3_PNSI_ISN_E10value_typeET4_T5_PSS_ST_PNS1_23onesweep_lookback_stateEbbT6_jjT7_P12ihipStream_tbENKUlT_T0_SH_SM_E_clISA_SB_SC_SC_EEDaS10_S11_SH_SM_EUlS10_E_NS1_11comp_targetILNS1_3genE2ELNS1_11target_archE906ELNS1_3gpuE6ELNS1_3repE0EEENS1_47radix_sort_onesweep_sort_config_static_selectorELNS0_4arch9wavefront6targetE0EEEvSH_,comdat
	.protected	_ZN7rocprim17ROCPRIM_400000_NS6detail17trampoline_kernelINS0_14default_configENS1_35radix_sort_onesweep_config_selectorI6__halfNS0_10empty_typeEEEZZNS1_29radix_sort_onesweep_iterationIS3_Lb1EPKS5_PS5_PS6_SC_mNS0_19identity_decomposerENS1_16block_id_wrapperIjLb1EEEEE10hipError_tT1_PNSt15iterator_traitsISH_E10value_typeET2_T3_PNSI_ISN_E10value_typeET4_T5_PSS_ST_PNS1_23onesweep_lookback_stateEbbT6_jjT7_P12ihipStream_tbENKUlT_T0_SH_SM_E_clISA_SB_SC_SC_EEDaS10_S11_SH_SM_EUlS10_E_NS1_11comp_targetILNS1_3genE2ELNS1_11target_archE906ELNS1_3gpuE6ELNS1_3repE0EEENS1_47radix_sort_onesweep_sort_config_static_selectorELNS0_4arch9wavefront6targetE0EEEvSH_ ; -- Begin function _ZN7rocprim17ROCPRIM_400000_NS6detail17trampoline_kernelINS0_14default_configENS1_35radix_sort_onesweep_config_selectorI6__halfNS0_10empty_typeEEEZZNS1_29radix_sort_onesweep_iterationIS3_Lb1EPKS5_PS5_PS6_SC_mNS0_19identity_decomposerENS1_16block_id_wrapperIjLb1EEEEE10hipError_tT1_PNSt15iterator_traitsISH_E10value_typeET2_T3_PNSI_ISN_E10value_typeET4_T5_PSS_ST_PNS1_23onesweep_lookback_stateEbbT6_jjT7_P12ihipStream_tbENKUlT_T0_SH_SM_E_clISA_SB_SC_SC_EEDaS10_S11_SH_SM_EUlS10_E_NS1_11comp_targetILNS1_3genE2ELNS1_11target_archE906ELNS1_3gpuE6ELNS1_3repE0EEENS1_47radix_sort_onesweep_sort_config_static_selectorELNS0_4arch9wavefront6targetE0EEEvSH_
	.globl	_ZN7rocprim17ROCPRIM_400000_NS6detail17trampoline_kernelINS0_14default_configENS1_35radix_sort_onesweep_config_selectorI6__halfNS0_10empty_typeEEEZZNS1_29radix_sort_onesweep_iterationIS3_Lb1EPKS5_PS5_PS6_SC_mNS0_19identity_decomposerENS1_16block_id_wrapperIjLb1EEEEE10hipError_tT1_PNSt15iterator_traitsISH_E10value_typeET2_T3_PNSI_ISN_E10value_typeET4_T5_PSS_ST_PNS1_23onesweep_lookback_stateEbbT6_jjT7_P12ihipStream_tbENKUlT_T0_SH_SM_E_clISA_SB_SC_SC_EEDaS10_S11_SH_SM_EUlS10_E_NS1_11comp_targetILNS1_3genE2ELNS1_11target_archE906ELNS1_3gpuE6ELNS1_3repE0EEENS1_47radix_sort_onesweep_sort_config_static_selectorELNS0_4arch9wavefront6targetE0EEEvSH_
	.p2align	8
	.type	_ZN7rocprim17ROCPRIM_400000_NS6detail17trampoline_kernelINS0_14default_configENS1_35radix_sort_onesweep_config_selectorI6__halfNS0_10empty_typeEEEZZNS1_29radix_sort_onesweep_iterationIS3_Lb1EPKS5_PS5_PS6_SC_mNS0_19identity_decomposerENS1_16block_id_wrapperIjLb1EEEEE10hipError_tT1_PNSt15iterator_traitsISH_E10value_typeET2_T3_PNSI_ISN_E10value_typeET4_T5_PSS_ST_PNS1_23onesweep_lookback_stateEbbT6_jjT7_P12ihipStream_tbENKUlT_T0_SH_SM_E_clISA_SB_SC_SC_EEDaS10_S11_SH_SM_EUlS10_E_NS1_11comp_targetILNS1_3genE2ELNS1_11target_archE906ELNS1_3gpuE6ELNS1_3repE0EEENS1_47radix_sort_onesweep_sort_config_static_selectorELNS0_4arch9wavefront6targetE0EEEvSH_,@function
_ZN7rocprim17ROCPRIM_400000_NS6detail17trampoline_kernelINS0_14default_configENS1_35radix_sort_onesweep_config_selectorI6__halfNS0_10empty_typeEEEZZNS1_29radix_sort_onesweep_iterationIS3_Lb1EPKS5_PS5_PS6_SC_mNS0_19identity_decomposerENS1_16block_id_wrapperIjLb1EEEEE10hipError_tT1_PNSt15iterator_traitsISH_E10value_typeET2_T3_PNSI_ISN_E10value_typeET4_T5_PSS_ST_PNS1_23onesweep_lookback_stateEbbT6_jjT7_P12ihipStream_tbENKUlT_T0_SH_SM_E_clISA_SB_SC_SC_EEDaS10_S11_SH_SM_EUlS10_E_NS1_11comp_targetILNS1_3genE2ELNS1_11target_archE906ELNS1_3gpuE6ELNS1_3repE0EEENS1_47radix_sort_onesweep_sort_config_static_selectorELNS0_4arch9wavefront6targetE0EEEvSH_: ; @_ZN7rocprim17ROCPRIM_400000_NS6detail17trampoline_kernelINS0_14default_configENS1_35radix_sort_onesweep_config_selectorI6__halfNS0_10empty_typeEEEZZNS1_29radix_sort_onesweep_iterationIS3_Lb1EPKS5_PS5_PS6_SC_mNS0_19identity_decomposerENS1_16block_id_wrapperIjLb1EEEEE10hipError_tT1_PNSt15iterator_traitsISH_E10value_typeET2_T3_PNSI_ISN_E10value_typeET4_T5_PSS_ST_PNS1_23onesweep_lookback_stateEbbT6_jjT7_P12ihipStream_tbENKUlT_T0_SH_SM_E_clISA_SB_SC_SC_EEDaS10_S11_SH_SM_EUlS10_E_NS1_11comp_targetILNS1_3genE2ELNS1_11target_archE906ELNS1_3gpuE6ELNS1_3repE0EEENS1_47radix_sort_onesweep_sort_config_static_selectorELNS0_4arch9wavefront6targetE0EEEvSH_
; %bb.0:
	.section	.rodata,"a",@progbits
	.p2align	6, 0x0
	.amdhsa_kernel _ZN7rocprim17ROCPRIM_400000_NS6detail17trampoline_kernelINS0_14default_configENS1_35radix_sort_onesweep_config_selectorI6__halfNS0_10empty_typeEEEZZNS1_29radix_sort_onesweep_iterationIS3_Lb1EPKS5_PS5_PS6_SC_mNS0_19identity_decomposerENS1_16block_id_wrapperIjLb1EEEEE10hipError_tT1_PNSt15iterator_traitsISH_E10value_typeET2_T3_PNSI_ISN_E10value_typeET4_T5_PSS_ST_PNS1_23onesweep_lookback_stateEbbT6_jjT7_P12ihipStream_tbENKUlT_T0_SH_SM_E_clISA_SB_SC_SC_EEDaS10_S11_SH_SM_EUlS10_E_NS1_11comp_targetILNS1_3genE2ELNS1_11target_archE906ELNS1_3gpuE6ELNS1_3repE0EEENS1_47radix_sort_onesweep_sort_config_static_selectorELNS0_4arch9wavefront6targetE0EEEvSH_
		.amdhsa_group_segment_fixed_size 0
		.amdhsa_private_segment_fixed_size 0
		.amdhsa_kernarg_size 88
		.amdhsa_user_sgpr_count 2
		.amdhsa_user_sgpr_dispatch_ptr 0
		.amdhsa_user_sgpr_queue_ptr 0
		.amdhsa_user_sgpr_kernarg_segment_ptr 1
		.amdhsa_user_sgpr_dispatch_id 0
		.amdhsa_user_sgpr_kernarg_preload_length 0
		.amdhsa_user_sgpr_kernarg_preload_offset 0
		.amdhsa_user_sgpr_private_segment_size 0
		.amdhsa_wavefront_size32 1
		.amdhsa_uses_dynamic_stack 0
		.amdhsa_enable_private_segment 0
		.amdhsa_system_sgpr_workgroup_id_x 1
		.amdhsa_system_sgpr_workgroup_id_y 0
		.amdhsa_system_sgpr_workgroup_id_z 0
		.amdhsa_system_sgpr_workgroup_info 0
		.amdhsa_system_vgpr_workitem_id 0
		.amdhsa_next_free_vgpr 1
		.amdhsa_next_free_sgpr 1
		.amdhsa_named_barrier_count 0
		.amdhsa_reserve_vcc 0
		.amdhsa_float_round_mode_32 0
		.amdhsa_float_round_mode_16_64 0
		.amdhsa_float_denorm_mode_32 3
		.amdhsa_float_denorm_mode_16_64 3
		.amdhsa_fp16_overflow 0
		.amdhsa_memory_ordered 1
		.amdhsa_forward_progress 1
		.amdhsa_inst_pref_size 0
		.amdhsa_round_robin_scheduling 0
		.amdhsa_exception_fp_ieee_invalid_op 0
		.amdhsa_exception_fp_denorm_src 0
		.amdhsa_exception_fp_ieee_div_zero 0
		.amdhsa_exception_fp_ieee_overflow 0
		.amdhsa_exception_fp_ieee_underflow 0
		.amdhsa_exception_fp_ieee_inexact 0
		.amdhsa_exception_int_div_zero 0
	.end_amdhsa_kernel
	.section	.text._ZN7rocprim17ROCPRIM_400000_NS6detail17trampoline_kernelINS0_14default_configENS1_35radix_sort_onesweep_config_selectorI6__halfNS0_10empty_typeEEEZZNS1_29radix_sort_onesweep_iterationIS3_Lb1EPKS5_PS5_PS6_SC_mNS0_19identity_decomposerENS1_16block_id_wrapperIjLb1EEEEE10hipError_tT1_PNSt15iterator_traitsISH_E10value_typeET2_T3_PNSI_ISN_E10value_typeET4_T5_PSS_ST_PNS1_23onesweep_lookback_stateEbbT6_jjT7_P12ihipStream_tbENKUlT_T0_SH_SM_E_clISA_SB_SC_SC_EEDaS10_S11_SH_SM_EUlS10_E_NS1_11comp_targetILNS1_3genE2ELNS1_11target_archE906ELNS1_3gpuE6ELNS1_3repE0EEENS1_47radix_sort_onesweep_sort_config_static_selectorELNS0_4arch9wavefront6targetE0EEEvSH_,"axG",@progbits,_ZN7rocprim17ROCPRIM_400000_NS6detail17trampoline_kernelINS0_14default_configENS1_35radix_sort_onesweep_config_selectorI6__halfNS0_10empty_typeEEEZZNS1_29radix_sort_onesweep_iterationIS3_Lb1EPKS5_PS5_PS6_SC_mNS0_19identity_decomposerENS1_16block_id_wrapperIjLb1EEEEE10hipError_tT1_PNSt15iterator_traitsISH_E10value_typeET2_T3_PNSI_ISN_E10value_typeET4_T5_PSS_ST_PNS1_23onesweep_lookback_stateEbbT6_jjT7_P12ihipStream_tbENKUlT_T0_SH_SM_E_clISA_SB_SC_SC_EEDaS10_S11_SH_SM_EUlS10_E_NS1_11comp_targetILNS1_3genE2ELNS1_11target_archE906ELNS1_3gpuE6ELNS1_3repE0EEENS1_47radix_sort_onesweep_sort_config_static_selectorELNS0_4arch9wavefront6targetE0EEEvSH_,comdat
.Lfunc_end2166:
	.size	_ZN7rocprim17ROCPRIM_400000_NS6detail17trampoline_kernelINS0_14default_configENS1_35radix_sort_onesweep_config_selectorI6__halfNS0_10empty_typeEEEZZNS1_29radix_sort_onesweep_iterationIS3_Lb1EPKS5_PS5_PS6_SC_mNS0_19identity_decomposerENS1_16block_id_wrapperIjLb1EEEEE10hipError_tT1_PNSt15iterator_traitsISH_E10value_typeET2_T3_PNSI_ISN_E10value_typeET4_T5_PSS_ST_PNS1_23onesweep_lookback_stateEbbT6_jjT7_P12ihipStream_tbENKUlT_T0_SH_SM_E_clISA_SB_SC_SC_EEDaS10_S11_SH_SM_EUlS10_E_NS1_11comp_targetILNS1_3genE2ELNS1_11target_archE906ELNS1_3gpuE6ELNS1_3repE0EEENS1_47radix_sort_onesweep_sort_config_static_selectorELNS0_4arch9wavefront6targetE0EEEvSH_, .Lfunc_end2166-_ZN7rocprim17ROCPRIM_400000_NS6detail17trampoline_kernelINS0_14default_configENS1_35radix_sort_onesweep_config_selectorI6__halfNS0_10empty_typeEEEZZNS1_29radix_sort_onesweep_iterationIS3_Lb1EPKS5_PS5_PS6_SC_mNS0_19identity_decomposerENS1_16block_id_wrapperIjLb1EEEEE10hipError_tT1_PNSt15iterator_traitsISH_E10value_typeET2_T3_PNSI_ISN_E10value_typeET4_T5_PSS_ST_PNS1_23onesweep_lookback_stateEbbT6_jjT7_P12ihipStream_tbENKUlT_T0_SH_SM_E_clISA_SB_SC_SC_EEDaS10_S11_SH_SM_EUlS10_E_NS1_11comp_targetILNS1_3genE2ELNS1_11target_archE906ELNS1_3gpuE6ELNS1_3repE0EEENS1_47radix_sort_onesweep_sort_config_static_selectorELNS0_4arch9wavefront6targetE0EEEvSH_
                                        ; -- End function
	.set _ZN7rocprim17ROCPRIM_400000_NS6detail17trampoline_kernelINS0_14default_configENS1_35radix_sort_onesweep_config_selectorI6__halfNS0_10empty_typeEEEZZNS1_29radix_sort_onesweep_iterationIS3_Lb1EPKS5_PS5_PS6_SC_mNS0_19identity_decomposerENS1_16block_id_wrapperIjLb1EEEEE10hipError_tT1_PNSt15iterator_traitsISH_E10value_typeET2_T3_PNSI_ISN_E10value_typeET4_T5_PSS_ST_PNS1_23onesweep_lookback_stateEbbT6_jjT7_P12ihipStream_tbENKUlT_T0_SH_SM_E_clISA_SB_SC_SC_EEDaS10_S11_SH_SM_EUlS10_E_NS1_11comp_targetILNS1_3genE2ELNS1_11target_archE906ELNS1_3gpuE6ELNS1_3repE0EEENS1_47radix_sort_onesweep_sort_config_static_selectorELNS0_4arch9wavefront6targetE0EEEvSH_.num_vgpr, 0
	.set _ZN7rocprim17ROCPRIM_400000_NS6detail17trampoline_kernelINS0_14default_configENS1_35radix_sort_onesweep_config_selectorI6__halfNS0_10empty_typeEEEZZNS1_29radix_sort_onesweep_iterationIS3_Lb1EPKS5_PS5_PS6_SC_mNS0_19identity_decomposerENS1_16block_id_wrapperIjLb1EEEEE10hipError_tT1_PNSt15iterator_traitsISH_E10value_typeET2_T3_PNSI_ISN_E10value_typeET4_T5_PSS_ST_PNS1_23onesweep_lookback_stateEbbT6_jjT7_P12ihipStream_tbENKUlT_T0_SH_SM_E_clISA_SB_SC_SC_EEDaS10_S11_SH_SM_EUlS10_E_NS1_11comp_targetILNS1_3genE2ELNS1_11target_archE906ELNS1_3gpuE6ELNS1_3repE0EEENS1_47radix_sort_onesweep_sort_config_static_selectorELNS0_4arch9wavefront6targetE0EEEvSH_.num_agpr, 0
	.set _ZN7rocprim17ROCPRIM_400000_NS6detail17trampoline_kernelINS0_14default_configENS1_35radix_sort_onesweep_config_selectorI6__halfNS0_10empty_typeEEEZZNS1_29radix_sort_onesweep_iterationIS3_Lb1EPKS5_PS5_PS6_SC_mNS0_19identity_decomposerENS1_16block_id_wrapperIjLb1EEEEE10hipError_tT1_PNSt15iterator_traitsISH_E10value_typeET2_T3_PNSI_ISN_E10value_typeET4_T5_PSS_ST_PNS1_23onesweep_lookback_stateEbbT6_jjT7_P12ihipStream_tbENKUlT_T0_SH_SM_E_clISA_SB_SC_SC_EEDaS10_S11_SH_SM_EUlS10_E_NS1_11comp_targetILNS1_3genE2ELNS1_11target_archE906ELNS1_3gpuE6ELNS1_3repE0EEENS1_47radix_sort_onesweep_sort_config_static_selectorELNS0_4arch9wavefront6targetE0EEEvSH_.numbered_sgpr, 0
	.set _ZN7rocprim17ROCPRIM_400000_NS6detail17trampoline_kernelINS0_14default_configENS1_35radix_sort_onesweep_config_selectorI6__halfNS0_10empty_typeEEEZZNS1_29radix_sort_onesweep_iterationIS3_Lb1EPKS5_PS5_PS6_SC_mNS0_19identity_decomposerENS1_16block_id_wrapperIjLb1EEEEE10hipError_tT1_PNSt15iterator_traitsISH_E10value_typeET2_T3_PNSI_ISN_E10value_typeET4_T5_PSS_ST_PNS1_23onesweep_lookback_stateEbbT6_jjT7_P12ihipStream_tbENKUlT_T0_SH_SM_E_clISA_SB_SC_SC_EEDaS10_S11_SH_SM_EUlS10_E_NS1_11comp_targetILNS1_3genE2ELNS1_11target_archE906ELNS1_3gpuE6ELNS1_3repE0EEENS1_47radix_sort_onesweep_sort_config_static_selectorELNS0_4arch9wavefront6targetE0EEEvSH_.num_named_barrier, 0
	.set _ZN7rocprim17ROCPRIM_400000_NS6detail17trampoline_kernelINS0_14default_configENS1_35radix_sort_onesweep_config_selectorI6__halfNS0_10empty_typeEEEZZNS1_29radix_sort_onesweep_iterationIS3_Lb1EPKS5_PS5_PS6_SC_mNS0_19identity_decomposerENS1_16block_id_wrapperIjLb1EEEEE10hipError_tT1_PNSt15iterator_traitsISH_E10value_typeET2_T3_PNSI_ISN_E10value_typeET4_T5_PSS_ST_PNS1_23onesweep_lookback_stateEbbT6_jjT7_P12ihipStream_tbENKUlT_T0_SH_SM_E_clISA_SB_SC_SC_EEDaS10_S11_SH_SM_EUlS10_E_NS1_11comp_targetILNS1_3genE2ELNS1_11target_archE906ELNS1_3gpuE6ELNS1_3repE0EEENS1_47radix_sort_onesweep_sort_config_static_selectorELNS0_4arch9wavefront6targetE0EEEvSH_.private_seg_size, 0
	.set _ZN7rocprim17ROCPRIM_400000_NS6detail17trampoline_kernelINS0_14default_configENS1_35radix_sort_onesweep_config_selectorI6__halfNS0_10empty_typeEEEZZNS1_29radix_sort_onesweep_iterationIS3_Lb1EPKS5_PS5_PS6_SC_mNS0_19identity_decomposerENS1_16block_id_wrapperIjLb1EEEEE10hipError_tT1_PNSt15iterator_traitsISH_E10value_typeET2_T3_PNSI_ISN_E10value_typeET4_T5_PSS_ST_PNS1_23onesweep_lookback_stateEbbT6_jjT7_P12ihipStream_tbENKUlT_T0_SH_SM_E_clISA_SB_SC_SC_EEDaS10_S11_SH_SM_EUlS10_E_NS1_11comp_targetILNS1_3genE2ELNS1_11target_archE906ELNS1_3gpuE6ELNS1_3repE0EEENS1_47radix_sort_onesweep_sort_config_static_selectorELNS0_4arch9wavefront6targetE0EEEvSH_.uses_vcc, 0
	.set _ZN7rocprim17ROCPRIM_400000_NS6detail17trampoline_kernelINS0_14default_configENS1_35radix_sort_onesweep_config_selectorI6__halfNS0_10empty_typeEEEZZNS1_29radix_sort_onesweep_iterationIS3_Lb1EPKS5_PS5_PS6_SC_mNS0_19identity_decomposerENS1_16block_id_wrapperIjLb1EEEEE10hipError_tT1_PNSt15iterator_traitsISH_E10value_typeET2_T3_PNSI_ISN_E10value_typeET4_T5_PSS_ST_PNS1_23onesweep_lookback_stateEbbT6_jjT7_P12ihipStream_tbENKUlT_T0_SH_SM_E_clISA_SB_SC_SC_EEDaS10_S11_SH_SM_EUlS10_E_NS1_11comp_targetILNS1_3genE2ELNS1_11target_archE906ELNS1_3gpuE6ELNS1_3repE0EEENS1_47radix_sort_onesweep_sort_config_static_selectorELNS0_4arch9wavefront6targetE0EEEvSH_.uses_flat_scratch, 0
	.set _ZN7rocprim17ROCPRIM_400000_NS6detail17trampoline_kernelINS0_14default_configENS1_35radix_sort_onesweep_config_selectorI6__halfNS0_10empty_typeEEEZZNS1_29radix_sort_onesweep_iterationIS3_Lb1EPKS5_PS5_PS6_SC_mNS0_19identity_decomposerENS1_16block_id_wrapperIjLb1EEEEE10hipError_tT1_PNSt15iterator_traitsISH_E10value_typeET2_T3_PNSI_ISN_E10value_typeET4_T5_PSS_ST_PNS1_23onesweep_lookback_stateEbbT6_jjT7_P12ihipStream_tbENKUlT_T0_SH_SM_E_clISA_SB_SC_SC_EEDaS10_S11_SH_SM_EUlS10_E_NS1_11comp_targetILNS1_3genE2ELNS1_11target_archE906ELNS1_3gpuE6ELNS1_3repE0EEENS1_47radix_sort_onesweep_sort_config_static_selectorELNS0_4arch9wavefront6targetE0EEEvSH_.has_dyn_sized_stack, 0
	.set _ZN7rocprim17ROCPRIM_400000_NS6detail17trampoline_kernelINS0_14default_configENS1_35radix_sort_onesweep_config_selectorI6__halfNS0_10empty_typeEEEZZNS1_29radix_sort_onesweep_iterationIS3_Lb1EPKS5_PS5_PS6_SC_mNS0_19identity_decomposerENS1_16block_id_wrapperIjLb1EEEEE10hipError_tT1_PNSt15iterator_traitsISH_E10value_typeET2_T3_PNSI_ISN_E10value_typeET4_T5_PSS_ST_PNS1_23onesweep_lookback_stateEbbT6_jjT7_P12ihipStream_tbENKUlT_T0_SH_SM_E_clISA_SB_SC_SC_EEDaS10_S11_SH_SM_EUlS10_E_NS1_11comp_targetILNS1_3genE2ELNS1_11target_archE906ELNS1_3gpuE6ELNS1_3repE0EEENS1_47radix_sort_onesweep_sort_config_static_selectorELNS0_4arch9wavefront6targetE0EEEvSH_.has_recursion, 0
	.set _ZN7rocprim17ROCPRIM_400000_NS6detail17trampoline_kernelINS0_14default_configENS1_35radix_sort_onesweep_config_selectorI6__halfNS0_10empty_typeEEEZZNS1_29radix_sort_onesweep_iterationIS3_Lb1EPKS5_PS5_PS6_SC_mNS0_19identity_decomposerENS1_16block_id_wrapperIjLb1EEEEE10hipError_tT1_PNSt15iterator_traitsISH_E10value_typeET2_T3_PNSI_ISN_E10value_typeET4_T5_PSS_ST_PNS1_23onesweep_lookback_stateEbbT6_jjT7_P12ihipStream_tbENKUlT_T0_SH_SM_E_clISA_SB_SC_SC_EEDaS10_S11_SH_SM_EUlS10_E_NS1_11comp_targetILNS1_3genE2ELNS1_11target_archE906ELNS1_3gpuE6ELNS1_3repE0EEENS1_47radix_sort_onesweep_sort_config_static_selectorELNS0_4arch9wavefront6targetE0EEEvSH_.has_indirect_call, 0
	.section	.AMDGPU.csdata,"",@progbits
; Kernel info:
; codeLenInByte = 0
; TotalNumSgprs: 0
; NumVgprs: 0
; ScratchSize: 0
; MemoryBound: 0
; FloatMode: 240
; IeeeMode: 1
; LDSByteSize: 0 bytes/workgroup (compile time only)
; SGPRBlocks: 0
; VGPRBlocks: 0
; NumSGPRsForWavesPerEU: 1
; NumVGPRsForWavesPerEU: 1
; NamedBarCnt: 0
; Occupancy: 16
; WaveLimiterHint : 0
; COMPUTE_PGM_RSRC2:SCRATCH_EN: 0
; COMPUTE_PGM_RSRC2:USER_SGPR: 2
; COMPUTE_PGM_RSRC2:TRAP_HANDLER: 0
; COMPUTE_PGM_RSRC2:TGID_X_EN: 1
; COMPUTE_PGM_RSRC2:TGID_Y_EN: 0
; COMPUTE_PGM_RSRC2:TGID_Z_EN: 0
; COMPUTE_PGM_RSRC2:TIDIG_COMP_CNT: 0
	.section	.text._ZN7rocprim17ROCPRIM_400000_NS6detail17trampoline_kernelINS0_14default_configENS1_35radix_sort_onesweep_config_selectorI6__halfNS0_10empty_typeEEEZZNS1_29radix_sort_onesweep_iterationIS3_Lb1EPKS5_PS5_PS6_SC_mNS0_19identity_decomposerENS1_16block_id_wrapperIjLb1EEEEE10hipError_tT1_PNSt15iterator_traitsISH_E10value_typeET2_T3_PNSI_ISN_E10value_typeET4_T5_PSS_ST_PNS1_23onesweep_lookback_stateEbbT6_jjT7_P12ihipStream_tbENKUlT_T0_SH_SM_E_clISA_SB_SC_SC_EEDaS10_S11_SH_SM_EUlS10_E_NS1_11comp_targetILNS1_3genE4ELNS1_11target_archE910ELNS1_3gpuE8ELNS1_3repE0EEENS1_47radix_sort_onesweep_sort_config_static_selectorELNS0_4arch9wavefront6targetE0EEEvSH_,"axG",@progbits,_ZN7rocprim17ROCPRIM_400000_NS6detail17trampoline_kernelINS0_14default_configENS1_35radix_sort_onesweep_config_selectorI6__halfNS0_10empty_typeEEEZZNS1_29radix_sort_onesweep_iterationIS3_Lb1EPKS5_PS5_PS6_SC_mNS0_19identity_decomposerENS1_16block_id_wrapperIjLb1EEEEE10hipError_tT1_PNSt15iterator_traitsISH_E10value_typeET2_T3_PNSI_ISN_E10value_typeET4_T5_PSS_ST_PNS1_23onesweep_lookback_stateEbbT6_jjT7_P12ihipStream_tbENKUlT_T0_SH_SM_E_clISA_SB_SC_SC_EEDaS10_S11_SH_SM_EUlS10_E_NS1_11comp_targetILNS1_3genE4ELNS1_11target_archE910ELNS1_3gpuE8ELNS1_3repE0EEENS1_47radix_sort_onesweep_sort_config_static_selectorELNS0_4arch9wavefront6targetE0EEEvSH_,comdat
	.protected	_ZN7rocprim17ROCPRIM_400000_NS6detail17trampoline_kernelINS0_14default_configENS1_35radix_sort_onesweep_config_selectorI6__halfNS0_10empty_typeEEEZZNS1_29radix_sort_onesweep_iterationIS3_Lb1EPKS5_PS5_PS6_SC_mNS0_19identity_decomposerENS1_16block_id_wrapperIjLb1EEEEE10hipError_tT1_PNSt15iterator_traitsISH_E10value_typeET2_T3_PNSI_ISN_E10value_typeET4_T5_PSS_ST_PNS1_23onesweep_lookback_stateEbbT6_jjT7_P12ihipStream_tbENKUlT_T0_SH_SM_E_clISA_SB_SC_SC_EEDaS10_S11_SH_SM_EUlS10_E_NS1_11comp_targetILNS1_3genE4ELNS1_11target_archE910ELNS1_3gpuE8ELNS1_3repE0EEENS1_47radix_sort_onesweep_sort_config_static_selectorELNS0_4arch9wavefront6targetE0EEEvSH_ ; -- Begin function _ZN7rocprim17ROCPRIM_400000_NS6detail17trampoline_kernelINS0_14default_configENS1_35radix_sort_onesweep_config_selectorI6__halfNS0_10empty_typeEEEZZNS1_29radix_sort_onesweep_iterationIS3_Lb1EPKS5_PS5_PS6_SC_mNS0_19identity_decomposerENS1_16block_id_wrapperIjLb1EEEEE10hipError_tT1_PNSt15iterator_traitsISH_E10value_typeET2_T3_PNSI_ISN_E10value_typeET4_T5_PSS_ST_PNS1_23onesweep_lookback_stateEbbT6_jjT7_P12ihipStream_tbENKUlT_T0_SH_SM_E_clISA_SB_SC_SC_EEDaS10_S11_SH_SM_EUlS10_E_NS1_11comp_targetILNS1_3genE4ELNS1_11target_archE910ELNS1_3gpuE8ELNS1_3repE0EEENS1_47radix_sort_onesweep_sort_config_static_selectorELNS0_4arch9wavefront6targetE0EEEvSH_
	.globl	_ZN7rocprim17ROCPRIM_400000_NS6detail17trampoline_kernelINS0_14default_configENS1_35radix_sort_onesweep_config_selectorI6__halfNS0_10empty_typeEEEZZNS1_29radix_sort_onesweep_iterationIS3_Lb1EPKS5_PS5_PS6_SC_mNS0_19identity_decomposerENS1_16block_id_wrapperIjLb1EEEEE10hipError_tT1_PNSt15iterator_traitsISH_E10value_typeET2_T3_PNSI_ISN_E10value_typeET4_T5_PSS_ST_PNS1_23onesweep_lookback_stateEbbT6_jjT7_P12ihipStream_tbENKUlT_T0_SH_SM_E_clISA_SB_SC_SC_EEDaS10_S11_SH_SM_EUlS10_E_NS1_11comp_targetILNS1_3genE4ELNS1_11target_archE910ELNS1_3gpuE8ELNS1_3repE0EEENS1_47radix_sort_onesweep_sort_config_static_selectorELNS0_4arch9wavefront6targetE0EEEvSH_
	.p2align	8
	.type	_ZN7rocprim17ROCPRIM_400000_NS6detail17trampoline_kernelINS0_14default_configENS1_35radix_sort_onesweep_config_selectorI6__halfNS0_10empty_typeEEEZZNS1_29radix_sort_onesweep_iterationIS3_Lb1EPKS5_PS5_PS6_SC_mNS0_19identity_decomposerENS1_16block_id_wrapperIjLb1EEEEE10hipError_tT1_PNSt15iterator_traitsISH_E10value_typeET2_T3_PNSI_ISN_E10value_typeET4_T5_PSS_ST_PNS1_23onesweep_lookback_stateEbbT6_jjT7_P12ihipStream_tbENKUlT_T0_SH_SM_E_clISA_SB_SC_SC_EEDaS10_S11_SH_SM_EUlS10_E_NS1_11comp_targetILNS1_3genE4ELNS1_11target_archE910ELNS1_3gpuE8ELNS1_3repE0EEENS1_47radix_sort_onesweep_sort_config_static_selectorELNS0_4arch9wavefront6targetE0EEEvSH_,@function
_ZN7rocprim17ROCPRIM_400000_NS6detail17trampoline_kernelINS0_14default_configENS1_35radix_sort_onesweep_config_selectorI6__halfNS0_10empty_typeEEEZZNS1_29radix_sort_onesweep_iterationIS3_Lb1EPKS5_PS5_PS6_SC_mNS0_19identity_decomposerENS1_16block_id_wrapperIjLb1EEEEE10hipError_tT1_PNSt15iterator_traitsISH_E10value_typeET2_T3_PNSI_ISN_E10value_typeET4_T5_PSS_ST_PNS1_23onesweep_lookback_stateEbbT6_jjT7_P12ihipStream_tbENKUlT_T0_SH_SM_E_clISA_SB_SC_SC_EEDaS10_S11_SH_SM_EUlS10_E_NS1_11comp_targetILNS1_3genE4ELNS1_11target_archE910ELNS1_3gpuE8ELNS1_3repE0EEENS1_47radix_sort_onesweep_sort_config_static_selectorELNS0_4arch9wavefront6targetE0EEEvSH_: ; @_ZN7rocprim17ROCPRIM_400000_NS6detail17trampoline_kernelINS0_14default_configENS1_35radix_sort_onesweep_config_selectorI6__halfNS0_10empty_typeEEEZZNS1_29radix_sort_onesweep_iterationIS3_Lb1EPKS5_PS5_PS6_SC_mNS0_19identity_decomposerENS1_16block_id_wrapperIjLb1EEEEE10hipError_tT1_PNSt15iterator_traitsISH_E10value_typeET2_T3_PNSI_ISN_E10value_typeET4_T5_PSS_ST_PNS1_23onesweep_lookback_stateEbbT6_jjT7_P12ihipStream_tbENKUlT_T0_SH_SM_E_clISA_SB_SC_SC_EEDaS10_S11_SH_SM_EUlS10_E_NS1_11comp_targetILNS1_3genE4ELNS1_11target_archE910ELNS1_3gpuE8ELNS1_3repE0EEENS1_47radix_sort_onesweep_sort_config_static_selectorELNS0_4arch9wavefront6targetE0EEEvSH_
; %bb.0:
	.section	.rodata,"a",@progbits
	.p2align	6, 0x0
	.amdhsa_kernel _ZN7rocprim17ROCPRIM_400000_NS6detail17trampoline_kernelINS0_14default_configENS1_35radix_sort_onesweep_config_selectorI6__halfNS0_10empty_typeEEEZZNS1_29radix_sort_onesweep_iterationIS3_Lb1EPKS5_PS5_PS6_SC_mNS0_19identity_decomposerENS1_16block_id_wrapperIjLb1EEEEE10hipError_tT1_PNSt15iterator_traitsISH_E10value_typeET2_T3_PNSI_ISN_E10value_typeET4_T5_PSS_ST_PNS1_23onesweep_lookback_stateEbbT6_jjT7_P12ihipStream_tbENKUlT_T0_SH_SM_E_clISA_SB_SC_SC_EEDaS10_S11_SH_SM_EUlS10_E_NS1_11comp_targetILNS1_3genE4ELNS1_11target_archE910ELNS1_3gpuE8ELNS1_3repE0EEENS1_47radix_sort_onesweep_sort_config_static_selectorELNS0_4arch9wavefront6targetE0EEEvSH_
		.amdhsa_group_segment_fixed_size 0
		.amdhsa_private_segment_fixed_size 0
		.amdhsa_kernarg_size 88
		.amdhsa_user_sgpr_count 2
		.amdhsa_user_sgpr_dispatch_ptr 0
		.amdhsa_user_sgpr_queue_ptr 0
		.amdhsa_user_sgpr_kernarg_segment_ptr 1
		.amdhsa_user_sgpr_dispatch_id 0
		.amdhsa_user_sgpr_kernarg_preload_length 0
		.amdhsa_user_sgpr_kernarg_preload_offset 0
		.amdhsa_user_sgpr_private_segment_size 0
		.amdhsa_wavefront_size32 1
		.amdhsa_uses_dynamic_stack 0
		.amdhsa_enable_private_segment 0
		.amdhsa_system_sgpr_workgroup_id_x 1
		.amdhsa_system_sgpr_workgroup_id_y 0
		.amdhsa_system_sgpr_workgroup_id_z 0
		.amdhsa_system_sgpr_workgroup_info 0
		.amdhsa_system_vgpr_workitem_id 0
		.amdhsa_next_free_vgpr 1
		.amdhsa_next_free_sgpr 1
		.amdhsa_named_barrier_count 0
		.amdhsa_reserve_vcc 0
		.amdhsa_float_round_mode_32 0
		.amdhsa_float_round_mode_16_64 0
		.amdhsa_float_denorm_mode_32 3
		.amdhsa_float_denorm_mode_16_64 3
		.amdhsa_fp16_overflow 0
		.amdhsa_memory_ordered 1
		.amdhsa_forward_progress 1
		.amdhsa_inst_pref_size 0
		.amdhsa_round_robin_scheduling 0
		.amdhsa_exception_fp_ieee_invalid_op 0
		.amdhsa_exception_fp_denorm_src 0
		.amdhsa_exception_fp_ieee_div_zero 0
		.amdhsa_exception_fp_ieee_overflow 0
		.amdhsa_exception_fp_ieee_underflow 0
		.amdhsa_exception_fp_ieee_inexact 0
		.amdhsa_exception_int_div_zero 0
	.end_amdhsa_kernel
	.section	.text._ZN7rocprim17ROCPRIM_400000_NS6detail17trampoline_kernelINS0_14default_configENS1_35radix_sort_onesweep_config_selectorI6__halfNS0_10empty_typeEEEZZNS1_29radix_sort_onesweep_iterationIS3_Lb1EPKS5_PS5_PS6_SC_mNS0_19identity_decomposerENS1_16block_id_wrapperIjLb1EEEEE10hipError_tT1_PNSt15iterator_traitsISH_E10value_typeET2_T3_PNSI_ISN_E10value_typeET4_T5_PSS_ST_PNS1_23onesweep_lookback_stateEbbT6_jjT7_P12ihipStream_tbENKUlT_T0_SH_SM_E_clISA_SB_SC_SC_EEDaS10_S11_SH_SM_EUlS10_E_NS1_11comp_targetILNS1_3genE4ELNS1_11target_archE910ELNS1_3gpuE8ELNS1_3repE0EEENS1_47radix_sort_onesweep_sort_config_static_selectorELNS0_4arch9wavefront6targetE0EEEvSH_,"axG",@progbits,_ZN7rocprim17ROCPRIM_400000_NS6detail17trampoline_kernelINS0_14default_configENS1_35radix_sort_onesweep_config_selectorI6__halfNS0_10empty_typeEEEZZNS1_29radix_sort_onesweep_iterationIS3_Lb1EPKS5_PS5_PS6_SC_mNS0_19identity_decomposerENS1_16block_id_wrapperIjLb1EEEEE10hipError_tT1_PNSt15iterator_traitsISH_E10value_typeET2_T3_PNSI_ISN_E10value_typeET4_T5_PSS_ST_PNS1_23onesweep_lookback_stateEbbT6_jjT7_P12ihipStream_tbENKUlT_T0_SH_SM_E_clISA_SB_SC_SC_EEDaS10_S11_SH_SM_EUlS10_E_NS1_11comp_targetILNS1_3genE4ELNS1_11target_archE910ELNS1_3gpuE8ELNS1_3repE0EEENS1_47radix_sort_onesweep_sort_config_static_selectorELNS0_4arch9wavefront6targetE0EEEvSH_,comdat
.Lfunc_end2167:
	.size	_ZN7rocprim17ROCPRIM_400000_NS6detail17trampoline_kernelINS0_14default_configENS1_35radix_sort_onesweep_config_selectorI6__halfNS0_10empty_typeEEEZZNS1_29radix_sort_onesweep_iterationIS3_Lb1EPKS5_PS5_PS6_SC_mNS0_19identity_decomposerENS1_16block_id_wrapperIjLb1EEEEE10hipError_tT1_PNSt15iterator_traitsISH_E10value_typeET2_T3_PNSI_ISN_E10value_typeET4_T5_PSS_ST_PNS1_23onesweep_lookback_stateEbbT6_jjT7_P12ihipStream_tbENKUlT_T0_SH_SM_E_clISA_SB_SC_SC_EEDaS10_S11_SH_SM_EUlS10_E_NS1_11comp_targetILNS1_3genE4ELNS1_11target_archE910ELNS1_3gpuE8ELNS1_3repE0EEENS1_47radix_sort_onesweep_sort_config_static_selectorELNS0_4arch9wavefront6targetE0EEEvSH_, .Lfunc_end2167-_ZN7rocprim17ROCPRIM_400000_NS6detail17trampoline_kernelINS0_14default_configENS1_35radix_sort_onesweep_config_selectorI6__halfNS0_10empty_typeEEEZZNS1_29radix_sort_onesweep_iterationIS3_Lb1EPKS5_PS5_PS6_SC_mNS0_19identity_decomposerENS1_16block_id_wrapperIjLb1EEEEE10hipError_tT1_PNSt15iterator_traitsISH_E10value_typeET2_T3_PNSI_ISN_E10value_typeET4_T5_PSS_ST_PNS1_23onesweep_lookback_stateEbbT6_jjT7_P12ihipStream_tbENKUlT_T0_SH_SM_E_clISA_SB_SC_SC_EEDaS10_S11_SH_SM_EUlS10_E_NS1_11comp_targetILNS1_3genE4ELNS1_11target_archE910ELNS1_3gpuE8ELNS1_3repE0EEENS1_47radix_sort_onesweep_sort_config_static_selectorELNS0_4arch9wavefront6targetE0EEEvSH_
                                        ; -- End function
	.set _ZN7rocprim17ROCPRIM_400000_NS6detail17trampoline_kernelINS0_14default_configENS1_35radix_sort_onesweep_config_selectorI6__halfNS0_10empty_typeEEEZZNS1_29radix_sort_onesweep_iterationIS3_Lb1EPKS5_PS5_PS6_SC_mNS0_19identity_decomposerENS1_16block_id_wrapperIjLb1EEEEE10hipError_tT1_PNSt15iterator_traitsISH_E10value_typeET2_T3_PNSI_ISN_E10value_typeET4_T5_PSS_ST_PNS1_23onesweep_lookback_stateEbbT6_jjT7_P12ihipStream_tbENKUlT_T0_SH_SM_E_clISA_SB_SC_SC_EEDaS10_S11_SH_SM_EUlS10_E_NS1_11comp_targetILNS1_3genE4ELNS1_11target_archE910ELNS1_3gpuE8ELNS1_3repE0EEENS1_47radix_sort_onesweep_sort_config_static_selectorELNS0_4arch9wavefront6targetE0EEEvSH_.num_vgpr, 0
	.set _ZN7rocprim17ROCPRIM_400000_NS6detail17trampoline_kernelINS0_14default_configENS1_35radix_sort_onesweep_config_selectorI6__halfNS0_10empty_typeEEEZZNS1_29radix_sort_onesweep_iterationIS3_Lb1EPKS5_PS5_PS6_SC_mNS0_19identity_decomposerENS1_16block_id_wrapperIjLb1EEEEE10hipError_tT1_PNSt15iterator_traitsISH_E10value_typeET2_T3_PNSI_ISN_E10value_typeET4_T5_PSS_ST_PNS1_23onesweep_lookback_stateEbbT6_jjT7_P12ihipStream_tbENKUlT_T0_SH_SM_E_clISA_SB_SC_SC_EEDaS10_S11_SH_SM_EUlS10_E_NS1_11comp_targetILNS1_3genE4ELNS1_11target_archE910ELNS1_3gpuE8ELNS1_3repE0EEENS1_47radix_sort_onesweep_sort_config_static_selectorELNS0_4arch9wavefront6targetE0EEEvSH_.num_agpr, 0
	.set _ZN7rocprim17ROCPRIM_400000_NS6detail17trampoline_kernelINS0_14default_configENS1_35radix_sort_onesweep_config_selectorI6__halfNS0_10empty_typeEEEZZNS1_29radix_sort_onesweep_iterationIS3_Lb1EPKS5_PS5_PS6_SC_mNS0_19identity_decomposerENS1_16block_id_wrapperIjLb1EEEEE10hipError_tT1_PNSt15iterator_traitsISH_E10value_typeET2_T3_PNSI_ISN_E10value_typeET4_T5_PSS_ST_PNS1_23onesweep_lookback_stateEbbT6_jjT7_P12ihipStream_tbENKUlT_T0_SH_SM_E_clISA_SB_SC_SC_EEDaS10_S11_SH_SM_EUlS10_E_NS1_11comp_targetILNS1_3genE4ELNS1_11target_archE910ELNS1_3gpuE8ELNS1_3repE0EEENS1_47radix_sort_onesweep_sort_config_static_selectorELNS0_4arch9wavefront6targetE0EEEvSH_.numbered_sgpr, 0
	.set _ZN7rocprim17ROCPRIM_400000_NS6detail17trampoline_kernelINS0_14default_configENS1_35radix_sort_onesweep_config_selectorI6__halfNS0_10empty_typeEEEZZNS1_29radix_sort_onesweep_iterationIS3_Lb1EPKS5_PS5_PS6_SC_mNS0_19identity_decomposerENS1_16block_id_wrapperIjLb1EEEEE10hipError_tT1_PNSt15iterator_traitsISH_E10value_typeET2_T3_PNSI_ISN_E10value_typeET4_T5_PSS_ST_PNS1_23onesweep_lookback_stateEbbT6_jjT7_P12ihipStream_tbENKUlT_T0_SH_SM_E_clISA_SB_SC_SC_EEDaS10_S11_SH_SM_EUlS10_E_NS1_11comp_targetILNS1_3genE4ELNS1_11target_archE910ELNS1_3gpuE8ELNS1_3repE0EEENS1_47radix_sort_onesweep_sort_config_static_selectorELNS0_4arch9wavefront6targetE0EEEvSH_.num_named_barrier, 0
	.set _ZN7rocprim17ROCPRIM_400000_NS6detail17trampoline_kernelINS0_14default_configENS1_35radix_sort_onesweep_config_selectorI6__halfNS0_10empty_typeEEEZZNS1_29radix_sort_onesweep_iterationIS3_Lb1EPKS5_PS5_PS6_SC_mNS0_19identity_decomposerENS1_16block_id_wrapperIjLb1EEEEE10hipError_tT1_PNSt15iterator_traitsISH_E10value_typeET2_T3_PNSI_ISN_E10value_typeET4_T5_PSS_ST_PNS1_23onesweep_lookback_stateEbbT6_jjT7_P12ihipStream_tbENKUlT_T0_SH_SM_E_clISA_SB_SC_SC_EEDaS10_S11_SH_SM_EUlS10_E_NS1_11comp_targetILNS1_3genE4ELNS1_11target_archE910ELNS1_3gpuE8ELNS1_3repE0EEENS1_47radix_sort_onesweep_sort_config_static_selectorELNS0_4arch9wavefront6targetE0EEEvSH_.private_seg_size, 0
	.set _ZN7rocprim17ROCPRIM_400000_NS6detail17trampoline_kernelINS0_14default_configENS1_35radix_sort_onesweep_config_selectorI6__halfNS0_10empty_typeEEEZZNS1_29radix_sort_onesweep_iterationIS3_Lb1EPKS5_PS5_PS6_SC_mNS0_19identity_decomposerENS1_16block_id_wrapperIjLb1EEEEE10hipError_tT1_PNSt15iterator_traitsISH_E10value_typeET2_T3_PNSI_ISN_E10value_typeET4_T5_PSS_ST_PNS1_23onesweep_lookback_stateEbbT6_jjT7_P12ihipStream_tbENKUlT_T0_SH_SM_E_clISA_SB_SC_SC_EEDaS10_S11_SH_SM_EUlS10_E_NS1_11comp_targetILNS1_3genE4ELNS1_11target_archE910ELNS1_3gpuE8ELNS1_3repE0EEENS1_47radix_sort_onesweep_sort_config_static_selectorELNS0_4arch9wavefront6targetE0EEEvSH_.uses_vcc, 0
	.set _ZN7rocprim17ROCPRIM_400000_NS6detail17trampoline_kernelINS0_14default_configENS1_35radix_sort_onesweep_config_selectorI6__halfNS0_10empty_typeEEEZZNS1_29radix_sort_onesweep_iterationIS3_Lb1EPKS5_PS5_PS6_SC_mNS0_19identity_decomposerENS1_16block_id_wrapperIjLb1EEEEE10hipError_tT1_PNSt15iterator_traitsISH_E10value_typeET2_T3_PNSI_ISN_E10value_typeET4_T5_PSS_ST_PNS1_23onesweep_lookback_stateEbbT6_jjT7_P12ihipStream_tbENKUlT_T0_SH_SM_E_clISA_SB_SC_SC_EEDaS10_S11_SH_SM_EUlS10_E_NS1_11comp_targetILNS1_3genE4ELNS1_11target_archE910ELNS1_3gpuE8ELNS1_3repE0EEENS1_47radix_sort_onesweep_sort_config_static_selectorELNS0_4arch9wavefront6targetE0EEEvSH_.uses_flat_scratch, 0
	.set _ZN7rocprim17ROCPRIM_400000_NS6detail17trampoline_kernelINS0_14default_configENS1_35radix_sort_onesweep_config_selectorI6__halfNS0_10empty_typeEEEZZNS1_29radix_sort_onesweep_iterationIS3_Lb1EPKS5_PS5_PS6_SC_mNS0_19identity_decomposerENS1_16block_id_wrapperIjLb1EEEEE10hipError_tT1_PNSt15iterator_traitsISH_E10value_typeET2_T3_PNSI_ISN_E10value_typeET4_T5_PSS_ST_PNS1_23onesweep_lookback_stateEbbT6_jjT7_P12ihipStream_tbENKUlT_T0_SH_SM_E_clISA_SB_SC_SC_EEDaS10_S11_SH_SM_EUlS10_E_NS1_11comp_targetILNS1_3genE4ELNS1_11target_archE910ELNS1_3gpuE8ELNS1_3repE0EEENS1_47radix_sort_onesweep_sort_config_static_selectorELNS0_4arch9wavefront6targetE0EEEvSH_.has_dyn_sized_stack, 0
	.set _ZN7rocprim17ROCPRIM_400000_NS6detail17trampoline_kernelINS0_14default_configENS1_35radix_sort_onesweep_config_selectorI6__halfNS0_10empty_typeEEEZZNS1_29radix_sort_onesweep_iterationIS3_Lb1EPKS5_PS5_PS6_SC_mNS0_19identity_decomposerENS1_16block_id_wrapperIjLb1EEEEE10hipError_tT1_PNSt15iterator_traitsISH_E10value_typeET2_T3_PNSI_ISN_E10value_typeET4_T5_PSS_ST_PNS1_23onesweep_lookback_stateEbbT6_jjT7_P12ihipStream_tbENKUlT_T0_SH_SM_E_clISA_SB_SC_SC_EEDaS10_S11_SH_SM_EUlS10_E_NS1_11comp_targetILNS1_3genE4ELNS1_11target_archE910ELNS1_3gpuE8ELNS1_3repE0EEENS1_47radix_sort_onesweep_sort_config_static_selectorELNS0_4arch9wavefront6targetE0EEEvSH_.has_recursion, 0
	.set _ZN7rocprim17ROCPRIM_400000_NS6detail17trampoline_kernelINS0_14default_configENS1_35radix_sort_onesweep_config_selectorI6__halfNS0_10empty_typeEEEZZNS1_29radix_sort_onesweep_iterationIS3_Lb1EPKS5_PS5_PS6_SC_mNS0_19identity_decomposerENS1_16block_id_wrapperIjLb1EEEEE10hipError_tT1_PNSt15iterator_traitsISH_E10value_typeET2_T3_PNSI_ISN_E10value_typeET4_T5_PSS_ST_PNS1_23onesweep_lookback_stateEbbT6_jjT7_P12ihipStream_tbENKUlT_T0_SH_SM_E_clISA_SB_SC_SC_EEDaS10_S11_SH_SM_EUlS10_E_NS1_11comp_targetILNS1_3genE4ELNS1_11target_archE910ELNS1_3gpuE8ELNS1_3repE0EEENS1_47radix_sort_onesweep_sort_config_static_selectorELNS0_4arch9wavefront6targetE0EEEvSH_.has_indirect_call, 0
	.section	.AMDGPU.csdata,"",@progbits
; Kernel info:
; codeLenInByte = 0
; TotalNumSgprs: 0
; NumVgprs: 0
; ScratchSize: 0
; MemoryBound: 0
; FloatMode: 240
; IeeeMode: 1
; LDSByteSize: 0 bytes/workgroup (compile time only)
; SGPRBlocks: 0
; VGPRBlocks: 0
; NumSGPRsForWavesPerEU: 1
; NumVGPRsForWavesPerEU: 1
; NamedBarCnt: 0
; Occupancy: 16
; WaveLimiterHint : 0
; COMPUTE_PGM_RSRC2:SCRATCH_EN: 0
; COMPUTE_PGM_RSRC2:USER_SGPR: 2
; COMPUTE_PGM_RSRC2:TRAP_HANDLER: 0
; COMPUTE_PGM_RSRC2:TGID_X_EN: 1
; COMPUTE_PGM_RSRC2:TGID_Y_EN: 0
; COMPUTE_PGM_RSRC2:TGID_Z_EN: 0
; COMPUTE_PGM_RSRC2:TIDIG_COMP_CNT: 0
	.section	.text._ZN7rocprim17ROCPRIM_400000_NS6detail17trampoline_kernelINS0_14default_configENS1_35radix_sort_onesweep_config_selectorI6__halfNS0_10empty_typeEEEZZNS1_29radix_sort_onesweep_iterationIS3_Lb1EPKS5_PS5_PS6_SC_mNS0_19identity_decomposerENS1_16block_id_wrapperIjLb1EEEEE10hipError_tT1_PNSt15iterator_traitsISH_E10value_typeET2_T3_PNSI_ISN_E10value_typeET4_T5_PSS_ST_PNS1_23onesweep_lookback_stateEbbT6_jjT7_P12ihipStream_tbENKUlT_T0_SH_SM_E_clISA_SB_SC_SC_EEDaS10_S11_SH_SM_EUlS10_E_NS1_11comp_targetILNS1_3genE3ELNS1_11target_archE908ELNS1_3gpuE7ELNS1_3repE0EEENS1_47radix_sort_onesweep_sort_config_static_selectorELNS0_4arch9wavefront6targetE0EEEvSH_,"axG",@progbits,_ZN7rocprim17ROCPRIM_400000_NS6detail17trampoline_kernelINS0_14default_configENS1_35radix_sort_onesweep_config_selectorI6__halfNS0_10empty_typeEEEZZNS1_29radix_sort_onesweep_iterationIS3_Lb1EPKS5_PS5_PS6_SC_mNS0_19identity_decomposerENS1_16block_id_wrapperIjLb1EEEEE10hipError_tT1_PNSt15iterator_traitsISH_E10value_typeET2_T3_PNSI_ISN_E10value_typeET4_T5_PSS_ST_PNS1_23onesweep_lookback_stateEbbT6_jjT7_P12ihipStream_tbENKUlT_T0_SH_SM_E_clISA_SB_SC_SC_EEDaS10_S11_SH_SM_EUlS10_E_NS1_11comp_targetILNS1_3genE3ELNS1_11target_archE908ELNS1_3gpuE7ELNS1_3repE0EEENS1_47radix_sort_onesweep_sort_config_static_selectorELNS0_4arch9wavefront6targetE0EEEvSH_,comdat
	.protected	_ZN7rocprim17ROCPRIM_400000_NS6detail17trampoline_kernelINS0_14default_configENS1_35radix_sort_onesweep_config_selectorI6__halfNS0_10empty_typeEEEZZNS1_29radix_sort_onesweep_iterationIS3_Lb1EPKS5_PS5_PS6_SC_mNS0_19identity_decomposerENS1_16block_id_wrapperIjLb1EEEEE10hipError_tT1_PNSt15iterator_traitsISH_E10value_typeET2_T3_PNSI_ISN_E10value_typeET4_T5_PSS_ST_PNS1_23onesweep_lookback_stateEbbT6_jjT7_P12ihipStream_tbENKUlT_T0_SH_SM_E_clISA_SB_SC_SC_EEDaS10_S11_SH_SM_EUlS10_E_NS1_11comp_targetILNS1_3genE3ELNS1_11target_archE908ELNS1_3gpuE7ELNS1_3repE0EEENS1_47radix_sort_onesweep_sort_config_static_selectorELNS0_4arch9wavefront6targetE0EEEvSH_ ; -- Begin function _ZN7rocprim17ROCPRIM_400000_NS6detail17trampoline_kernelINS0_14default_configENS1_35radix_sort_onesweep_config_selectorI6__halfNS0_10empty_typeEEEZZNS1_29radix_sort_onesweep_iterationIS3_Lb1EPKS5_PS5_PS6_SC_mNS0_19identity_decomposerENS1_16block_id_wrapperIjLb1EEEEE10hipError_tT1_PNSt15iterator_traitsISH_E10value_typeET2_T3_PNSI_ISN_E10value_typeET4_T5_PSS_ST_PNS1_23onesweep_lookback_stateEbbT6_jjT7_P12ihipStream_tbENKUlT_T0_SH_SM_E_clISA_SB_SC_SC_EEDaS10_S11_SH_SM_EUlS10_E_NS1_11comp_targetILNS1_3genE3ELNS1_11target_archE908ELNS1_3gpuE7ELNS1_3repE0EEENS1_47radix_sort_onesweep_sort_config_static_selectorELNS0_4arch9wavefront6targetE0EEEvSH_
	.globl	_ZN7rocprim17ROCPRIM_400000_NS6detail17trampoline_kernelINS0_14default_configENS1_35radix_sort_onesweep_config_selectorI6__halfNS0_10empty_typeEEEZZNS1_29radix_sort_onesweep_iterationIS3_Lb1EPKS5_PS5_PS6_SC_mNS0_19identity_decomposerENS1_16block_id_wrapperIjLb1EEEEE10hipError_tT1_PNSt15iterator_traitsISH_E10value_typeET2_T3_PNSI_ISN_E10value_typeET4_T5_PSS_ST_PNS1_23onesweep_lookback_stateEbbT6_jjT7_P12ihipStream_tbENKUlT_T0_SH_SM_E_clISA_SB_SC_SC_EEDaS10_S11_SH_SM_EUlS10_E_NS1_11comp_targetILNS1_3genE3ELNS1_11target_archE908ELNS1_3gpuE7ELNS1_3repE0EEENS1_47radix_sort_onesweep_sort_config_static_selectorELNS0_4arch9wavefront6targetE0EEEvSH_
	.p2align	8
	.type	_ZN7rocprim17ROCPRIM_400000_NS6detail17trampoline_kernelINS0_14default_configENS1_35radix_sort_onesweep_config_selectorI6__halfNS0_10empty_typeEEEZZNS1_29radix_sort_onesweep_iterationIS3_Lb1EPKS5_PS5_PS6_SC_mNS0_19identity_decomposerENS1_16block_id_wrapperIjLb1EEEEE10hipError_tT1_PNSt15iterator_traitsISH_E10value_typeET2_T3_PNSI_ISN_E10value_typeET4_T5_PSS_ST_PNS1_23onesweep_lookback_stateEbbT6_jjT7_P12ihipStream_tbENKUlT_T0_SH_SM_E_clISA_SB_SC_SC_EEDaS10_S11_SH_SM_EUlS10_E_NS1_11comp_targetILNS1_3genE3ELNS1_11target_archE908ELNS1_3gpuE7ELNS1_3repE0EEENS1_47radix_sort_onesweep_sort_config_static_selectorELNS0_4arch9wavefront6targetE0EEEvSH_,@function
_ZN7rocprim17ROCPRIM_400000_NS6detail17trampoline_kernelINS0_14default_configENS1_35radix_sort_onesweep_config_selectorI6__halfNS0_10empty_typeEEEZZNS1_29radix_sort_onesweep_iterationIS3_Lb1EPKS5_PS5_PS6_SC_mNS0_19identity_decomposerENS1_16block_id_wrapperIjLb1EEEEE10hipError_tT1_PNSt15iterator_traitsISH_E10value_typeET2_T3_PNSI_ISN_E10value_typeET4_T5_PSS_ST_PNS1_23onesweep_lookback_stateEbbT6_jjT7_P12ihipStream_tbENKUlT_T0_SH_SM_E_clISA_SB_SC_SC_EEDaS10_S11_SH_SM_EUlS10_E_NS1_11comp_targetILNS1_3genE3ELNS1_11target_archE908ELNS1_3gpuE7ELNS1_3repE0EEENS1_47radix_sort_onesweep_sort_config_static_selectorELNS0_4arch9wavefront6targetE0EEEvSH_: ; @_ZN7rocprim17ROCPRIM_400000_NS6detail17trampoline_kernelINS0_14default_configENS1_35radix_sort_onesweep_config_selectorI6__halfNS0_10empty_typeEEEZZNS1_29radix_sort_onesweep_iterationIS3_Lb1EPKS5_PS5_PS6_SC_mNS0_19identity_decomposerENS1_16block_id_wrapperIjLb1EEEEE10hipError_tT1_PNSt15iterator_traitsISH_E10value_typeET2_T3_PNSI_ISN_E10value_typeET4_T5_PSS_ST_PNS1_23onesweep_lookback_stateEbbT6_jjT7_P12ihipStream_tbENKUlT_T0_SH_SM_E_clISA_SB_SC_SC_EEDaS10_S11_SH_SM_EUlS10_E_NS1_11comp_targetILNS1_3genE3ELNS1_11target_archE908ELNS1_3gpuE7ELNS1_3repE0EEENS1_47radix_sort_onesweep_sort_config_static_selectorELNS0_4arch9wavefront6targetE0EEEvSH_
; %bb.0:
	.section	.rodata,"a",@progbits
	.p2align	6, 0x0
	.amdhsa_kernel _ZN7rocprim17ROCPRIM_400000_NS6detail17trampoline_kernelINS0_14default_configENS1_35radix_sort_onesweep_config_selectorI6__halfNS0_10empty_typeEEEZZNS1_29radix_sort_onesweep_iterationIS3_Lb1EPKS5_PS5_PS6_SC_mNS0_19identity_decomposerENS1_16block_id_wrapperIjLb1EEEEE10hipError_tT1_PNSt15iterator_traitsISH_E10value_typeET2_T3_PNSI_ISN_E10value_typeET4_T5_PSS_ST_PNS1_23onesweep_lookback_stateEbbT6_jjT7_P12ihipStream_tbENKUlT_T0_SH_SM_E_clISA_SB_SC_SC_EEDaS10_S11_SH_SM_EUlS10_E_NS1_11comp_targetILNS1_3genE3ELNS1_11target_archE908ELNS1_3gpuE7ELNS1_3repE0EEENS1_47radix_sort_onesweep_sort_config_static_selectorELNS0_4arch9wavefront6targetE0EEEvSH_
		.amdhsa_group_segment_fixed_size 0
		.amdhsa_private_segment_fixed_size 0
		.amdhsa_kernarg_size 88
		.amdhsa_user_sgpr_count 2
		.amdhsa_user_sgpr_dispatch_ptr 0
		.amdhsa_user_sgpr_queue_ptr 0
		.amdhsa_user_sgpr_kernarg_segment_ptr 1
		.amdhsa_user_sgpr_dispatch_id 0
		.amdhsa_user_sgpr_kernarg_preload_length 0
		.amdhsa_user_sgpr_kernarg_preload_offset 0
		.amdhsa_user_sgpr_private_segment_size 0
		.amdhsa_wavefront_size32 1
		.amdhsa_uses_dynamic_stack 0
		.amdhsa_enable_private_segment 0
		.amdhsa_system_sgpr_workgroup_id_x 1
		.amdhsa_system_sgpr_workgroup_id_y 0
		.amdhsa_system_sgpr_workgroup_id_z 0
		.amdhsa_system_sgpr_workgroup_info 0
		.amdhsa_system_vgpr_workitem_id 0
		.amdhsa_next_free_vgpr 1
		.amdhsa_next_free_sgpr 1
		.amdhsa_named_barrier_count 0
		.amdhsa_reserve_vcc 0
		.amdhsa_float_round_mode_32 0
		.amdhsa_float_round_mode_16_64 0
		.amdhsa_float_denorm_mode_32 3
		.amdhsa_float_denorm_mode_16_64 3
		.amdhsa_fp16_overflow 0
		.amdhsa_memory_ordered 1
		.amdhsa_forward_progress 1
		.amdhsa_inst_pref_size 0
		.amdhsa_round_robin_scheduling 0
		.amdhsa_exception_fp_ieee_invalid_op 0
		.amdhsa_exception_fp_denorm_src 0
		.amdhsa_exception_fp_ieee_div_zero 0
		.amdhsa_exception_fp_ieee_overflow 0
		.amdhsa_exception_fp_ieee_underflow 0
		.amdhsa_exception_fp_ieee_inexact 0
		.amdhsa_exception_int_div_zero 0
	.end_amdhsa_kernel
	.section	.text._ZN7rocprim17ROCPRIM_400000_NS6detail17trampoline_kernelINS0_14default_configENS1_35radix_sort_onesweep_config_selectorI6__halfNS0_10empty_typeEEEZZNS1_29radix_sort_onesweep_iterationIS3_Lb1EPKS5_PS5_PS6_SC_mNS0_19identity_decomposerENS1_16block_id_wrapperIjLb1EEEEE10hipError_tT1_PNSt15iterator_traitsISH_E10value_typeET2_T3_PNSI_ISN_E10value_typeET4_T5_PSS_ST_PNS1_23onesweep_lookback_stateEbbT6_jjT7_P12ihipStream_tbENKUlT_T0_SH_SM_E_clISA_SB_SC_SC_EEDaS10_S11_SH_SM_EUlS10_E_NS1_11comp_targetILNS1_3genE3ELNS1_11target_archE908ELNS1_3gpuE7ELNS1_3repE0EEENS1_47radix_sort_onesweep_sort_config_static_selectorELNS0_4arch9wavefront6targetE0EEEvSH_,"axG",@progbits,_ZN7rocprim17ROCPRIM_400000_NS6detail17trampoline_kernelINS0_14default_configENS1_35radix_sort_onesweep_config_selectorI6__halfNS0_10empty_typeEEEZZNS1_29radix_sort_onesweep_iterationIS3_Lb1EPKS5_PS5_PS6_SC_mNS0_19identity_decomposerENS1_16block_id_wrapperIjLb1EEEEE10hipError_tT1_PNSt15iterator_traitsISH_E10value_typeET2_T3_PNSI_ISN_E10value_typeET4_T5_PSS_ST_PNS1_23onesweep_lookback_stateEbbT6_jjT7_P12ihipStream_tbENKUlT_T0_SH_SM_E_clISA_SB_SC_SC_EEDaS10_S11_SH_SM_EUlS10_E_NS1_11comp_targetILNS1_3genE3ELNS1_11target_archE908ELNS1_3gpuE7ELNS1_3repE0EEENS1_47radix_sort_onesweep_sort_config_static_selectorELNS0_4arch9wavefront6targetE0EEEvSH_,comdat
.Lfunc_end2168:
	.size	_ZN7rocprim17ROCPRIM_400000_NS6detail17trampoline_kernelINS0_14default_configENS1_35radix_sort_onesweep_config_selectorI6__halfNS0_10empty_typeEEEZZNS1_29radix_sort_onesweep_iterationIS3_Lb1EPKS5_PS5_PS6_SC_mNS0_19identity_decomposerENS1_16block_id_wrapperIjLb1EEEEE10hipError_tT1_PNSt15iterator_traitsISH_E10value_typeET2_T3_PNSI_ISN_E10value_typeET4_T5_PSS_ST_PNS1_23onesweep_lookback_stateEbbT6_jjT7_P12ihipStream_tbENKUlT_T0_SH_SM_E_clISA_SB_SC_SC_EEDaS10_S11_SH_SM_EUlS10_E_NS1_11comp_targetILNS1_3genE3ELNS1_11target_archE908ELNS1_3gpuE7ELNS1_3repE0EEENS1_47radix_sort_onesweep_sort_config_static_selectorELNS0_4arch9wavefront6targetE0EEEvSH_, .Lfunc_end2168-_ZN7rocprim17ROCPRIM_400000_NS6detail17trampoline_kernelINS0_14default_configENS1_35radix_sort_onesweep_config_selectorI6__halfNS0_10empty_typeEEEZZNS1_29radix_sort_onesweep_iterationIS3_Lb1EPKS5_PS5_PS6_SC_mNS0_19identity_decomposerENS1_16block_id_wrapperIjLb1EEEEE10hipError_tT1_PNSt15iterator_traitsISH_E10value_typeET2_T3_PNSI_ISN_E10value_typeET4_T5_PSS_ST_PNS1_23onesweep_lookback_stateEbbT6_jjT7_P12ihipStream_tbENKUlT_T0_SH_SM_E_clISA_SB_SC_SC_EEDaS10_S11_SH_SM_EUlS10_E_NS1_11comp_targetILNS1_3genE3ELNS1_11target_archE908ELNS1_3gpuE7ELNS1_3repE0EEENS1_47radix_sort_onesweep_sort_config_static_selectorELNS0_4arch9wavefront6targetE0EEEvSH_
                                        ; -- End function
	.set _ZN7rocprim17ROCPRIM_400000_NS6detail17trampoline_kernelINS0_14default_configENS1_35radix_sort_onesweep_config_selectorI6__halfNS0_10empty_typeEEEZZNS1_29radix_sort_onesweep_iterationIS3_Lb1EPKS5_PS5_PS6_SC_mNS0_19identity_decomposerENS1_16block_id_wrapperIjLb1EEEEE10hipError_tT1_PNSt15iterator_traitsISH_E10value_typeET2_T3_PNSI_ISN_E10value_typeET4_T5_PSS_ST_PNS1_23onesweep_lookback_stateEbbT6_jjT7_P12ihipStream_tbENKUlT_T0_SH_SM_E_clISA_SB_SC_SC_EEDaS10_S11_SH_SM_EUlS10_E_NS1_11comp_targetILNS1_3genE3ELNS1_11target_archE908ELNS1_3gpuE7ELNS1_3repE0EEENS1_47radix_sort_onesweep_sort_config_static_selectorELNS0_4arch9wavefront6targetE0EEEvSH_.num_vgpr, 0
	.set _ZN7rocprim17ROCPRIM_400000_NS6detail17trampoline_kernelINS0_14default_configENS1_35radix_sort_onesweep_config_selectorI6__halfNS0_10empty_typeEEEZZNS1_29radix_sort_onesweep_iterationIS3_Lb1EPKS5_PS5_PS6_SC_mNS0_19identity_decomposerENS1_16block_id_wrapperIjLb1EEEEE10hipError_tT1_PNSt15iterator_traitsISH_E10value_typeET2_T3_PNSI_ISN_E10value_typeET4_T5_PSS_ST_PNS1_23onesweep_lookback_stateEbbT6_jjT7_P12ihipStream_tbENKUlT_T0_SH_SM_E_clISA_SB_SC_SC_EEDaS10_S11_SH_SM_EUlS10_E_NS1_11comp_targetILNS1_3genE3ELNS1_11target_archE908ELNS1_3gpuE7ELNS1_3repE0EEENS1_47radix_sort_onesweep_sort_config_static_selectorELNS0_4arch9wavefront6targetE0EEEvSH_.num_agpr, 0
	.set _ZN7rocprim17ROCPRIM_400000_NS6detail17trampoline_kernelINS0_14default_configENS1_35radix_sort_onesweep_config_selectorI6__halfNS0_10empty_typeEEEZZNS1_29radix_sort_onesweep_iterationIS3_Lb1EPKS5_PS5_PS6_SC_mNS0_19identity_decomposerENS1_16block_id_wrapperIjLb1EEEEE10hipError_tT1_PNSt15iterator_traitsISH_E10value_typeET2_T3_PNSI_ISN_E10value_typeET4_T5_PSS_ST_PNS1_23onesweep_lookback_stateEbbT6_jjT7_P12ihipStream_tbENKUlT_T0_SH_SM_E_clISA_SB_SC_SC_EEDaS10_S11_SH_SM_EUlS10_E_NS1_11comp_targetILNS1_3genE3ELNS1_11target_archE908ELNS1_3gpuE7ELNS1_3repE0EEENS1_47radix_sort_onesweep_sort_config_static_selectorELNS0_4arch9wavefront6targetE0EEEvSH_.numbered_sgpr, 0
	.set _ZN7rocprim17ROCPRIM_400000_NS6detail17trampoline_kernelINS0_14default_configENS1_35radix_sort_onesweep_config_selectorI6__halfNS0_10empty_typeEEEZZNS1_29radix_sort_onesweep_iterationIS3_Lb1EPKS5_PS5_PS6_SC_mNS0_19identity_decomposerENS1_16block_id_wrapperIjLb1EEEEE10hipError_tT1_PNSt15iterator_traitsISH_E10value_typeET2_T3_PNSI_ISN_E10value_typeET4_T5_PSS_ST_PNS1_23onesweep_lookback_stateEbbT6_jjT7_P12ihipStream_tbENKUlT_T0_SH_SM_E_clISA_SB_SC_SC_EEDaS10_S11_SH_SM_EUlS10_E_NS1_11comp_targetILNS1_3genE3ELNS1_11target_archE908ELNS1_3gpuE7ELNS1_3repE0EEENS1_47radix_sort_onesweep_sort_config_static_selectorELNS0_4arch9wavefront6targetE0EEEvSH_.num_named_barrier, 0
	.set _ZN7rocprim17ROCPRIM_400000_NS6detail17trampoline_kernelINS0_14default_configENS1_35radix_sort_onesweep_config_selectorI6__halfNS0_10empty_typeEEEZZNS1_29radix_sort_onesweep_iterationIS3_Lb1EPKS5_PS5_PS6_SC_mNS0_19identity_decomposerENS1_16block_id_wrapperIjLb1EEEEE10hipError_tT1_PNSt15iterator_traitsISH_E10value_typeET2_T3_PNSI_ISN_E10value_typeET4_T5_PSS_ST_PNS1_23onesweep_lookback_stateEbbT6_jjT7_P12ihipStream_tbENKUlT_T0_SH_SM_E_clISA_SB_SC_SC_EEDaS10_S11_SH_SM_EUlS10_E_NS1_11comp_targetILNS1_3genE3ELNS1_11target_archE908ELNS1_3gpuE7ELNS1_3repE0EEENS1_47radix_sort_onesweep_sort_config_static_selectorELNS0_4arch9wavefront6targetE0EEEvSH_.private_seg_size, 0
	.set _ZN7rocprim17ROCPRIM_400000_NS6detail17trampoline_kernelINS0_14default_configENS1_35radix_sort_onesweep_config_selectorI6__halfNS0_10empty_typeEEEZZNS1_29radix_sort_onesweep_iterationIS3_Lb1EPKS5_PS5_PS6_SC_mNS0_19identity_decomposerENS1_16block_id_wrapperIjLb1EEEEE10hipError_tT1_PNSt15iterator_traitsISH_E10value_typeET2_T3_PNSI_ISN_E10value_typeET4_T5_PSS_ST_PNS1_23onesweep_lookback_stateEbbT6_jjT7_P12ihipStream_tbENKUlT_T0_SH_SM_E_clISA_SB_SC_SC_EEDaS10_S11_SH_SM_EUlS10_E_NS1_11comp_targetILNS1_3genE3ELNS1_11target_archE908ELNS1_3gpuE7ELNS1_3repE0EEENS1_47radix_sort_onesweep_sort_config_static_selectorELNS0_4arch9wavefront6targetE0EEEvSH_.uses_vcc, 0
	.set _ZN7rocprim17ROCPRIM_400000_NS6detail17trampoline_kernelINS0_14default_configENS1_35radix_sort_onesweep_config_selectorI6__halfNS0_10empty_typeEEEZZNS1_29radix_sort_onesweep_iterationIS3_Lb1EPKS5_PS5_PS6_SC_mNS0_19identity_decomposerENS1_16block_id_wrapperIjLb1EEEEE10hipError_tT1_PNSt15iterator_traitsISH_E10value_typeET2_T3_PNSI_ISN_E10value_typeET4_T5_PSS_ST_PNS1_23onesweep_lookback_stateEbbT6_jjT7_P12ihipStream_tbENKUlT_T0_SH_SM_E_clISA_SB_SC_SC_EEDaS10_S11_SH_SM_EUlS10_E_NS1_11comp_targetILNS1_3genE3ELNS1_11target_archE908ELNS1_3gpuE7ELNS1_3repE0EEENS1_47radix_sort_onesweep_sort_config_static_selectorELNS0_4arch9wavefront6targetE0EEEvSH_.uses_flat_scratch, 0
	.set _ZN7rocprim17ROCPRIM_400000_NS6detail17trampoline_kernelINS0_14default_configENS1_35radix_sort_onesweep_config_selectorI6__halfNS0_10empty_typeEEEZZNS1_29radix_sort_onesweep_iterationIS3_Lb1EPKS5_PS5_PS6_SC_mNS0_19identity_decomposerENS1_16block_id_wrapperIjLb1EEEEE10hipError_tT1_PNSt15iterator_traitsISH_E10value_typeET2_T3_PNSI_ISN_E10value_typeET4_T5_PSS_ST_PNS1_23onesweep_lookback_stateEbbT6_jjT7_P12ihipStream_tbENKUlT_T0_SH_SM_E_clISA_SB_SC_SC_EEDaS10_S11_SH_SM_EUlS10_E_NS1_11comp_targetILNS1_3genE3ELNS1_11target_archE908ELNS1_3gpuE7ELNS1_3repE0EEENS1_47radix_sort_onesweep_sort_config_static_selectorELNS0_4arch9wavefront6targetE0EEEvSH_.has_dyn_sized_stack, 0
	.set _ZN7rocprim17ROCPRIM_400000_NS6detail17trampoline_kernelINS0_14default_configENS1_35radix_sort_onesweep_config_selectorI6__halfNS0_10empty_typeEEEZZNS1_29radix_sort_onesweep_iterationIS3_Lb1EPKS5_PS5_PS6_SC_mNS0_19identity_decomposerENS1_16block_id_wrapperIjLb1EEEEE10hipError_tT1_PNSt15iterator_traitsISH_E10value_typeET2_T3_PNSI_ISN_E10value_typeET4_T5_PSS_ST_PNS1_23onesweep_lookback_stateEbbT6_jjT7_P12ihipStream_tbENKUlT_T0_SH_SM_E_clISA_SB_SC_SC_EEDaS10_S11_SH_SM_EUlS10_E_NS1_11comp_targetILNS1_3genE3ELNS1_11target_archE908ELNS1_3gpuE7ELNS1_3repE0EEENS1_47radix_sort_onesweep_sort_config_static_selectorELNS0_4arch9wavefront6targetE0EEEvSH_.has_recursion, 0
	.set _ZN7rocprim17ROCPRIM_400000_NS6detail17trampoline_kernelINS0_14default_configENS1_35radix_sort_onesweep_config_selectorI6__halfNS0_10empty_typeEEEZZNS1_29radix_sort_onesweep_iterationIS3_Lb1EPKS5_PS5_PS6_SC_mNS0_19identity_decomposerENS1_16block_id_wrapperIjLb1EEEEE10hipError_tT1_PNSt15iterator_traitsISH_E10value_typeET2_T3_PNSI_ISN_E10value_typeET4_T5_PSS_ST_PNS1_23onesweep_lookback_stateEbbT6_jjT7_P12ihipStream_tbENKUlT_T0_SH_SM_E_clISA_SB_SC_SC_EEDaS10_S11_SH_SM_EUlS10_E_NS1_11comp_targetILNS1_3genE3ELNS1_11target_archE908ELNS1_3gpuE7ELNS1_3repE0EEENS1_47radix_sort_onesweep_sort_config_static_selectorELNS0_4arch9wavefront6targetE0EEEvSH_.has_indirect_call, 0
	.section	.AMDGPU.csdata,"",@progbits
; Kernel info:
; codeLenInByte = 0
; TotalNumSgprs: 0
; NumVgprs: 0
; ScratchSize: 0
; MemoryBound: 0
; FloatMode: 240
; IeeeMode: 1
; LDSByteSize: 0 bytes/workgroup (compile time only)
; SGPRBlocks: 0
; VGPRBlocks: 0
; NumSGPRsForWavesPerEU: 1
; NumVGPRsForWavesPerEU: 1
; NamedBarCnt: 0
; Occupancy: 16
; WaveLimiterHint : 0
; COMPUTE_PGM_RSRC2:SCRATCH_EN: 0
; COMPUTE_PGM_RSRC2:USER_SGPR: 2
; COMPUTE_PGM_RSRC2:TRAP_HANDLER: 0
; COMPUTE_PGM_RSRC2:TGID_X_EN: 1
; COMPUTE_PGM_RSRC2:TGID_Y_EN: 0
; COMPUTE_PGM_RSRC2:TGID_Z_EN: 0
; COMPUTE_PGM_RSRC2:TIDIG_COMP_CNT: 0
	.section	.text._ZN7rocprim17ROCPRIM_400000_NS6detail17trampoline_kernelINS0_14default_configENS1_35radix_sort_onesweep_config_selectorI6__halfNS0_10empty_typeEEEZZNS1_29radix_sort_onesweep_iterationIS3_Lb1EPKS5_PS5_PS6_SC_mNS0_19identity_decomposerENS1_16block_id_wrapperIjLb1EEEEE10hipError_tT1_PNSt15iterator_traitsISH_E10value_typeET2_T3_PNSI_ISN_E10value_typeET4_T5_PSS_ST_PNS1_23onesweep_lookback_stateEbbT6_jjT7_P12ihipStream_tbENKUlT_T0_SH_SM_E_clISA_SB_SC_SC_EEDaS10_S11_SH_SM_EUlS10_E_NS1_11comp_targetILNS1_3genE10ELNS1_11target_archE1201ELNS1_3gpuE5ELNS1_3repE0EEENS1_47radix_sort_onesweep_sort_config_static_selectorELNS0_4arch9wavefront6targetE0EEEvSH_,"axG",@progbits,_ZN7rocprim17ROCPRIM_400000_NS6detail17trampoline_kernelINS0_14default_configENS1_35radix_sort_onesweep_config_selectorI6__halfNS0_10empty_typeEEEZZNS1_29radix_sort_onesweep_iterationIS3_Lb1EPKS5_PS5_PS6_SC_mNS0_19identity_decomposerENS1_16block_id_wrapperIjLb1EEEEE10hipError_tT1_PNSt15iterator_traitsISH_E10value_typeET2_T3_PNSI_ISN_E10value_typeET4_T5_PSS_ST_PNS1_23onesweep_lookback_stateEbbT6_jjT7_P12ihipStream_tbENKUlT_T0_SH_SM_E_clISA_SB_SC_SC_EEDaS10_S11_SH_SM_EUlS10_E_NS1_11comp_targetILNS1_3genE10ELNS1_11target_archE1201ELNS1_3gpuE5ELNS1_3repE0EEENS1_47radix_sort_onesweep_sort_config_static_selectorELNS0_4arch9wavefront6targetE0EEEvSH_,comdat
	.protected	_ZN7rocprim17ROCPRIM_400000_NS6detail17trampoline_kernelINS0_14default_configENS1_35radix_sort_onesweep_config_selectorI6__halfNS0_10empty_typeEEEZZNS1_29radix_sort_onesweep_iterationIS3_Lb1EPKS5_PS5_PS6_SC_mNS0_19identity_decomposerENS1_16block_id_wrapperIjLb1EEEEE10hipError_tT1_PNSt15iterator_traitsISH_E10value_typeET2_T3_PNSI_ISN_E10value_typeET4_T5_PSS_ST_PNS1_23onesweep_lookback_stateEbbT6_jjT7_P12ihipStream_tbENKUlT_T0_SH_SM_E_clISA_SB_SC_SC_EEDaS10_S11_SH_SM_EUlS10_E_NS1_11comp_targetILNS1_3genE10ELNS1_11target_archE1201ELNS1_3gpuE5ELNS1_3repE0EEENS1_47radix_sort_onesweep_sort_config_static_selectorELNS0_4arch9wavefront6targetE0EEEvSH_ ; -- Begin function _ZN7rocprim17ROCPRIM_400000_NS6detail17trampoline_kernelINS0_14default_configENS1_35radix_sort_onesweep_config_selectorI6__halfNS0_10empty_typeEEEZZNS1_29radix_sort_onesweep_iterationIS3_Lb1EPKS5_PS5_PS6_SC_mNS0_19identity_decomposerENS1_16block_id_wrapperIjLb1EEEEE10hipError_tT1_PNSt15iterator_traitsISH_E10value_typeET2_T3_PNSI_ISN_E10value_typeET4_T5_PSS_ST_PNS1_23onesweep_lookback_stateEbbT6_jjT7_P12ihipStream_tbENKUlT_T0_SH_SM_E_clISA_SB_SC_SC_EEDaS10_S11_SH_SM_EUlS10_E_NS1_11comp_targetILNS1_3genE10ELNS1_11target_archE1201ELNS1_3gpuE5ELNS1_3repE0EEENS1_47radix_sort_onesweep_sort_config_static_selectorELNS0_4arch9wavefront6targetE0EEEvSH_
	.globl	_ZN7rocprim17ROCPRIM_400000_NS6detail17trampoline_kernelINS0_14default_configENS1_35radix_sort_onesweep_config_selectorI6__halfNS0_10empty_typeEEEZZNS1_29radix_sort_onesweep_iterationIS3_Lb1EPKS5_PS5_PS6_SC_mNS0_19identity_decomposerENS1_16block_id_wrapperIjLb1EEEEE10hipError_tT1_PNSt15iterator_traitsISH_E10value_typeET2_T3_PNSI_ISN_E10value_typeET4_T5_PSS_ST_PNS1_23onesweep_lookback_stateEbbT6_jjT7_P12ihipStream_tbENKUlT_T0_SH_SM_E_clISA_SB_SC_SC_EEDaS10_S11_SH_SM_EUlS10_E_NS1_11comp_targetILNS1_3genE10ELNS1_11target_archE1201ELNS1_3gpuE5ELNS1_3repE0EEENS1_47radix_sort_onesweep_sort_config_static_selectorELNS0_4arch9wavefront6targetE0EEEvSH_
	.p2align	8
	.type	_ZN7rocprim17ROCPRIM_400000_NS6detail17trampoline_kernelINS0_14default_configENS1_35radix_sort_onesweep_config_selectorI6__halfNS0_10empty_typeEEEZZNS1_29radix_sort_onesweep_iterationIS3_Lb1EPKS5_PS5_PS6_SC_mNS0_19identity_decomposerENS1_16block_id_wrapperIjLb1EEEEE10hipError_tT1_PNSt15iterator_traitsISH_E10value_typeET2_T3_PNSI_ISN_E10value_typeET4_T5_PSS_ST_PNS1_23onesweep_lookback_stateEbbT6_jjT7_P12ihipStream_tbENKUlT_T0_SH_SM_E_clISA_SB_SC_SC_EEDaS10_S11_SH_SM_EUlS10_E_NS1_11comp_targetILNS1_3genE10ELNS1_11target_archE1201ELNS1_3gpuE5ELNS1_3repE0EEENS1_47radix_sort_onesweep_sort_config_static_selectorELNS0_4arch9wavefront6targetE0EEEvSH_,@function
_ZN7rocprim17ROCPRIM_400000_NS6detail17trampoline_kernelINS0_14default_configENS1_35radix_sort_onesweep_config_selectorI6__halfNS0_10empty_typeEEEZZNS1_29radix_sort_onesweep_iterationIS3_Lb1EPKS5_PS5_PS6_SC_mNS0_19identity_decomposerENS1_16block_id_wrapperIjLb1EEEEE10hipError_tT1_PNSt15iterator_traitsISH_E10value_typeET2_T3_PNSI_ISN_E10value_typeET4_T5_PSS_ST_PNS1_23onesweep_lookback_stateEbbT6_jjT7_P12ihipStream_tbENKUlT_T0_SH_SM_E_clISA_SB_SC_SC_EEDaS10_S11_SH_SM_EUlS10_E_NS1_11comp_targetILNS1_3genE10ELNS1_11target_archE1201ELNS1_3gpuE5ELNS1_3repE0EEENS1_47radix_sort_onesweep_sort_config_static_selectorELNS0_4arch9wavefront6targetE0EEEvSH_: ; @_ZN7rocprim17ROCPRIM_400000_NS6detail17trampoline_kernelINS0_14default_configENS1_35radix_sort_onesweep_config_selectorI6__halfNS0_10empty_typeEEEZZNS1_29radix_sort_onesweep_iterationIS3_Lb1EPKS5_PS5_PS6_SC_mNS0_19identity_decomposerENS1_16block_id_wrapperIjLb1EEEEE10hipError_tT1_PNSt15iterator_traitsISH_E10value_typeET2_T3_PNSI_ISN_E10value_typeET4_T5_PSS_ST_PNS1_23onesweep_lookback_stateEbbT6_jjT7_P12ihipStream_tbENKUlT_T0_SH_SM_E_clISA_SB_SC_SC_EEDaS10_S11_SH_SM_EUlS10_E_NS1_11comp_targetILNS1_3genE10ELNS1_11target_archE1201ELNS1_3gpuE5ELNS1_3repE0EEENS1_47radix_sort_onesweep_sort_config_static_selectorELNS0_4arch9wavefront6targetE0EEEvSH_
; %bb.0:
	.section	.rodata,"a",@progbits
	.p2align	6, 0x0
	.amdhsa_kernel _ZN7rocprim17ROCPRIM_400000_NS6detail17trampoline_kernelINS0_14default_configENS1_35radix_sort_onesweep_config_selectorI6__halfNS0_10empty_typeEEEZZNS1_29radix_sort_onesweep_iterationIS3_Lb1EPKS5_PS5_PS6_SC_mNS0_19identity_decomposerENS1_16block_id_wrapperIjLb1EEEEE10hipError_tT1_PNSt15iterator_traitsISH_E10value_typeET2_T3_PNSI_ISN_E10value_typeET4_T5_PSS_ST_PNS1_23onesweep_lookback_stateEbbT6_jjT7_P12ihipStream_tbENKUlT_T0_SH_SM_E_clISA_SB_SC_SC_EEDaS10_S11_SH_SM_EUlS10_E_NS1_11comp_targetILNS1_3genE10ELNS1_11target_archE1201ELNS1_3gpuE5ELNS1_3repE0EEENS1_47radix_sort_onesweep_sort_config_static_selectorELNS0_4arch9wavefront6targetE0EEEvSH_
		.amdhsa_group_segment_fixed_size 0
		.amdhsa_private_segment_fixed_size 0
		.amdhsa_kernarg_size 88
		.amdhsa_user_sgpr_count 2
		.amdhsa_user_sgpr_dispatch_ptr 0
		.amdhsa_user_sgpr_queue_ptr 0
		.amdhsa_user_sgpr_kernarg_segment_ptr 1
		.amdhsa_user_sgpr_dispatch_id 0
		.amdhsa_user_sgpr_kernarg_preload_length 0
		.amdhsa_user_sgpr_kernarg_preload_offset 0
		.amdhsa_user_sgpr_private_segment_size 0
		.amdhsa_wavefront_size32 1
		.amdhsa_uses_dynamic_stack 0
		.amdhsa_enable_private_segment 0
		.amdhsa_system_sgpr_workgroup_id_x 1
		.amdhsa_system_sgpr_workgroup_id_y 0
		.amdhsa_system_sgpr_workgroup_id_z 0
		.amdhsa_system_sgpr_workgroup_info 0
		.amdhsa_system_vgpr_workitem_id 0
		.amdhsa_next_free_vgpr 1
		.amdhsa_next_free_sgpr 1
		.amdhsa_named_barrier_count 0
		.amdhsa_reserve_vcc 0
		.amdhsa_float_round_mode_32 0
		.amdhsa_float_round_mode_16_64 0
		.amdhsa_float_denorm_mode_32 3
		.amdhsa_float_denorm_mode_16_64 3
		.amdhsa_fp16_overflow 0
		.amdhsa_memory_ordered 1
		.amdhsa_forward_progress 1
		.amdhsa_inst_pref_size 0
		.amdhsa_round_robin_scheduling 0
		.amdhsa_exception_fp_ieee_invalid_op 0
		.amdhsa_exception_fp_denorm_src 0
		.amdhsa_exception_fp_ieee_div_zero 0
		.amdhsa_exception_fp_ieee_overflow 0
		.amdhsa_exception_fp_ieee_underflow 0
		.amdhsa_exception_fp_ieee_inexact 0
		.amdhsa_exception_int_div_zero 0
	.end_amdhsa_kernel
	.section	.text._ZN7rocprim17ROCPRIM_400000_NS6detail17trampoline_kernelINS0_14default_configENS1_35radix_sort_onesweep_config_selectorI6__halfNS0_10empty_typeEEEZZNS1_29radix_sort_onesweep_iterationIS3_Lb1EPKS5_PS5_PS6_SC_mNS0_19identity_decomposerENS1_16block_id_wrapperIjLb1EEEEE10hipError_tT1_PNSt15iterator_traitsISH_E10value_typeET2_T3_PNSI_ISN_E10value_typeET4_T5_PSS_ST_PNS1_23onesweep_lookback_stateEbbT6_jjT7_P12ihipStream_tbENKUlT_T0_SH_SM_E_clISA_SB_SC_SC_EEDaS10_S11_SH_SM_EUlS10_E_NS1_11comp_targetILNS1_3genE10ELNS1_11target_archE1201ELNS1_3gpuE5ELNS1_3repE0EEENS1_47radix_sort_onesweep_sort_config_static_selectorELNS0_4arch9wavefront6targetE0EEEvSH_,"axG",@progbits,_ZN7rocprim17ROCPRIM_400000_NS6detail17trampoline_kernelINS0_14default_configENS1_35radix_sort_onesweep_config_selectorI6__halfNS0_10empty_typeEEEZZNS1_29radix_sort_onesweep_iterationIS3_Lb1EPKS5_PS5_PS6_SC_mNS0_19identity_decomposerENS1_16block_id_wrapperIjLb1EEEEE10hipError_tT1_PNSt15iterator_traitsISH_E10value_typeET2_T3_PNSI_ISN_E10value_typeET4_T5_PSS_ST_PNS1_23onesweep_lookback_stateEbbT6_jjT7_P12ihipStream_tbENKUlT_T0_SH_SM_E_clISA_SB_SC_SC_EEDaS10_S11_SH_SM_EUlS10_E_NS1_11comp_targetILNS1_3genE10ELNS1_11target_archE1201ELNS1_3gpuE5ELNS1_3repE0EEENS1_47radix_sort_onesweep_sort_config_static_selectorELNS0_4arch9wavefront6targetE0EEEvSH_,comdat
.Lfunc_end2169:
	.size	_ZN7rocprim17ROCPRIM_400000_NS6detail17trampoline_kernelINS0_14default_configENS1_35radix_sort_onesweep_config_selectorI6__halfNS0_10empty_typeEEEZZNS1_29radix_sort_onesweep_iterationIS3_Lb1EPKS5_PS5_PS6_SC_mNS0_19identity_decomposerENS1_16block_id_wrapperIjLb1EEEEE10hipError_tT1_PNSt15iterator_traitsISH_E10value_typeET2_T3_PNSI_ISN_E10value_typeET4_T5_PSS_ST_PNS1_23onesweep_lookback_stateEbbT6_jjT7_P12ihipStream_tbENKUlT_T0_SH_SM_E_clISA_SB_SC_SC_EEDaS10_S11_SH_SM_EUlS10_E_NS1_11comp_targetILNS1_3genE10ELNS1_11target_archE1201ELNS1_3gpuE5ELNS1_3repE0EEENS1_47radix_sort_onesweep_sort_config_static_selectorELNS0_4arch9wavefront6targetE0EEEvSH_, .Lfunc_end2169-_ZN7rocprim17ROCPRIM_400000_NS6detail17trampoline_kernelINS0_14default_configENS1_35radix_sort_onesweep_config_selectorI6__halfNS0_10empty_typeEEEZZNS1_29radix_sort_onesweep_iterationIS3_Lb1EPKS5_PS5_PS6_SC_mNS0_19identity_decomposerENS1_16block_id_wrapperIjLb1EEEEE10hipError_tT1_PNSt15iterator_traitsISH_E10value_typeET2_T3_PNSI_ISN_E10value_typeET4_T5_PSS_ST_PNS1_23onesweep_lookback_stateEbbT6_jjT7_P12ihipStream_tbENKUlT_T0_SH_SM_E_clISA_SB_SC_SC_EEDaS10_S11_SH_SM_EUlS10_E_NS1_11comp_targetILNS1_3genE10ELNS1_11target_archE1201ELNS1_3gpuE5ELNS1_3repE0EEENS1_47radix_sort_onesweep_sort_config_static_selectorELNS0_4arch9wavefront6targetE0EEEvSH_
                                        ; -- End function
	.set _ZN7rocprim17ROCPRIM_400000_NS6detail17trampoline_kernelINS0_14default_configENS1_35radix_sort_onesweep_config_selectorI6__halfNS0_10empty_typeEEEZZNS1_29radix_sort_onesweep_iterationIS3_Lb1EPKS5_PS5_PS6_SC_mNS0_19identity_decomposerENS1_16block_id_wrapperIjLb1EEEEE10hipError_tT1_PNSt15iterator_traitsISH_E10value_typeET2_T3_PNSI_ISN_E10value_typeET4_T5_PSS_ST_PNS1_23onesweep_lookback_stateEbbT6_jjT7_P12ihipStream_tbENKUlT_T0_SH_SM_E_clISA_SB_SC_SC_EEDaS10_S11_SH_SM_EUlS10_E_NS1_11comp_targetILNS1_3genE10ELNS1_11target_archE1201ELNS1_3gpuE5ELNS1_3repE0EEENS1_47radix_sort_onesweep_sort_config_static_selectorELNS0_4arch9wavefront6targetE0EEEvSH_.num_vgpr, 0
	.set _ZN7rocprim17ROCPRIM_400000_NS6detail17trampoline_kernelINS0_14default_configENS1_35radix_sort_onesweep_config_selectorI6__halfNS0_10empty_typeEEEZZNS1_29radix_sort_onesweep_iterationIS3_Lb1EPKS5_PS5_PS6_SC_mNS0_19identity_decomposerENS1_16block_id_wrapperIjLb1EEEEE10hipError_tT1_PNSt15iterator_traitsISH_E10value_typeET2_T3_PNSI_ISN_E10value_typeET4_T5_PSS_ST_PNS1_23onesweep_lookback_stateEbbT6_jjT7_P12ihipStream_tbENKUlT_T0_SH_SM_E_clISA_SB_SC_SC_EEDaS10_S11_SH_SM_EUlS10_E_NS1_11comp_targetILNS1_3genE10ELNS1_11target_archE1201ELNS1_3gpuE5ELNS1_3repE0EEENS1_47radix_sort_onesweep_sort_config_static_selectorELNS0_4arch9wavefront6targetE0EEEvSH_.num_agpr, 0
	.set _ZN7rocprim17ROCPRIM_400000_NS6detail17trampoline_kernelINS0_14default_configENS1_35radix_sort_onesweep_config_selectorI6__halfNS0_10empty_typeEEEZZNS1_29radix_sort_onesweep_iterationIS3_Lb1EPKS5_PS5_PS6_SC_mNS0_19identity_decomposerENS1_16block_id_wrapperIjLb1EEEEE10hipError_tT1_PNSt15iterator_traitsISH_E10value_typeET2_T3_PNSI_ISN_E10value_typeET4_T5_PSS_ST_PNS1_23onesweep_lookback_stateEbbT6_jjT7_P12ihipStream_tbENKUlT_T0_SH_SM_E_clISA_SB_SC_SC_EEDaS10_S11_SH_SM_EUlS10_E_NS1_11comp_targetILNS1_3genE10ELNS1_11target_archE1201ELNS1_3gpuE5ELNS1_3repE0EEENS1_47radix_sort_onesweep_sort_config_static_selectorELNS0_4arch9wavefront6targetE0EEEvSH_.numbered_sgpr, 0
	.set _ZN7rocprim17ROCPRIM_400000_NS6detail17trampoline_kernelINS0_14default_configENS1_35radix_sort_onesweep_config_selectorI6__halfNS0_10empty_typeEEEZZNS1_29radix_sort_onesweep_iterationIS3_Lb1EPKS5_PS5_PS6_SC_mNS0_19identity_decomposerENS1_16block_id_wrapperIjLb1EEEEE10hipError_tT1_PNSt15iterator_traitsISH_E10value_typeET2_T3_PNSI_ISN_E10value_typeET4_T5_PSS_ST_PNS1_23onesweep_lookback_stateEbbT6_jjT7_P12ihipStream_tbENKUlT_T0_SH_SM_E_clISA_SB_SC_SC_EEDaS10_S11_SH_SM_EUlS10_E_NS1_11comp_targetILNS1_3genE10ELNS1_11target_archE1201ELNS1_3gpuE5ELNS1_3repE0EEENS1_47radix_sort_onesweep_sort_config_static_selectorELNS0_4arch9wavefront6targetE0EEEvSH_.num_named_barrier, 0
	.set _ZN7rocprim17ROCPRIM_400000_NS6detail17trampoline_kernelINS0_14default_configENS1_35radix_sort_onesweep_config_selectorI6__halfNS0_10empty_typeEEEZZNS1_29radix_sort_onesweep_iterationIS3_Lb1EPKS5_PS5_PS6_SC_mNS0_19identity_decomposerENS1_16block_id_wrapperIjLb1EEEEE10hipError_tT1_PNSt15iterator_traitsISH_E10value_typeET2_T3_PNSI_ISN_E10value_typeET4_T5_PSS_ST_PNS1_23onesweep_lookback_stateEbbT6_jjT7_P12ihipStream_tbENKUlT_T0_SH_SM_E_clISA_SB_SC_SC_EEDaS10_S11_SH_SM_EUlS10_E_NS1_11comp_targetILNS1_3genE10ELNS1_11target_archE1201ELNS1_3gpuE5ELNS1_3repE0EEENS1_47radix_sort_onesweep_sort_config_static_selectorELNS0_4arch9wavefront6targetE0EEEvSH_.private_seg_size, 0
	.set _ZN7rocprim17ROCPRIM_400000_NS6detail17trampoline_kernelINS0_14default_configENS1_35radix_sort_onesweep_config_selectorI6__halfNS0_10empty_typeEEEZZNS1_29radix_sort_onesweep_iterationIS3_Lb1EPKS5_PS5_PS6_SC_mNS0_19identity_decomposerENS1_16block_id_wrapperIjLb1EEEEE10hipError_tT1_PNSt15iterator_traitsISH_E10value_typeET2_T3_PNSI_ISN_E10value_typeET4_T5_PSS_ST_PNS1_23onesweep_lookback_stateEbbT6_jjT7_P12ihipStream_tbENKUlT_T0_SH_SM_E_clISA_SB_SC_SC_EEDaS10_S11_SH_SM_EUlS10_E_NS1_11comp_targetILNS1_3genE10ELNS1_11target_archE1201ELNS1_3gpuE5ELNS1_3repE0EEENS1_47radix_sort_onesweep_sort_config_static_selectorELNS0_4arch9wavefront6targetE0EEEvSH_.uses_vcc, 0
	.set _ZN7rocprim17ROCPRIM_400000_NS6detail17trampoline_kernelINS0_14default_configENS1_35radix_sort_onesweep_config_selectorI6__halfNS0_10empty_typeEEEZZNS1_29radix_sort_onesweep_iterationIS3_Lb1EPKS5_PS5_PS6_SC_mNS0_19identity_decomposerENS1_16block_id_wrapperIjLb1EEEEE10hipError_tT1_PNSt15iterator_traitsISH_E10value_typeET2_T3_PNSI_ISN_E10value_typeET4_T5_PSS_ST_PNS1_23onesweep_lookback_stateEbbT6_jjT7_P12ihipStream_tbENKUlT_T0_SH_SM_E_clISA_SB_SC_SC_EEDaS10_S11_SH_SM_EUlS10_E_NS1_11comp_targetILNS1_3genE10ELNS1_11target_archE1201ELNS1_3gpuE5ELNS1_3repE0EEENS1_47radix_sort_onesweep_sort_config_static_selectorELNS0_4arch9wavefront6targetE0EEEvSH_.uses_flat_scratch, 0
	.set _ZN7rocprim17ROCPRIM_400000_NS6detail17trampoline_kernelINS0_14default_configENS1_35radix_sort_onesweep_config_selectorI6__halfNS0_10empty_typeEEEZZNS1_29radix_sort_onesweep_iterationIS3_Lb1EPKS5_PS5_PS6_SC_mNS0_19identity_decomposerENS1_16block_id_wrapperIjLb1EEEEE10hipError_tT1_PNSt15iterator_traitsISH_E10value_typeET2_T3_PNSI_ISN_E10value_typeET4_T5_PSS_ST_PNS1_23onesweep_lookback_stateEbbT6_jjT7_P12ihipStream_tbENKUlT_T0_SH_SM_E_clISA_SB_SC_SC_EEDaS10_S11_SH_SM_EUlS10_E_NS1_11comp_targetILNS1_3genE10ELNS1_11target_archE1201ELNS1_3gpuE5ELNS1_3repE0EEENS1_47radix_sort_onesweep_sort_config_static_selectorELNS0_4arch9wavefront6targetE0EEEvSH_.has_dyn_sized_stack, 0
	.set _ZN7rocprim17ROCPRIM_400000_NS6detail17trampoline_kernelINS0_14default_configENS1_35radix_sort_onesweep_config_selectorI6__halfNS0_10empty_typeEEEZZNS1_29radix_sort_onesweep_iterationIS3_Lb1EPKS5_PS5_PS6_SC_mNS0_19identity_decomposerENS1_16block_id_wrapperIjLb1EEEEE10hipError_tT1_PNSt15iterator_traitsISH_E10value_typeET2_T3_PNSI_ISN_E10value_typeET4_T5_PSS_ST_PNS1_23onesweep_lookback_stateEbbT6_jjT7_P12ihipStream_tbENKUlT_T0_SH_SM_E_clISA_SB_SC_SC_EEDaS10_S11_SH_SM_EUlS10_E_NS1_11comp_targetILNS1_3genE10ELNS1_11target_archE1201ELNS1_3gpuE5ELNS1_3repE0EEENS1_47radix_sort_onesweep_sort_config_static_selectorELNS0_4arch9wavefront6targetE0EEEvSH_.has_recursion, 0
	.set _ZN7rocprim17ROCPRIM_400000_NS6detail17trampoline_kernelINS0_14default_configENS1_35radix_sort_onesweep_config_selectorI6__halfNS0_10empty_typeEEEZZNS1_29radix_sort_onesweep_iterationIS3_Lb1EPKS5_PS5_PS6_SC_mNS0_19identity_decomposerENS1_16block_id_wrapperIjLb1EEEEE10hipError_tT1_PNSt15iterator_traitsISH_E10value_typeET2_T3_PNSI_ISN_E10value_typeET4_T5_PSS_ST_PNS1_23onesweep_lookback_stateEbbT6_jjT7_P12ihipStream_tbENKUlT_T0_SH_SM_E_clISA_SB_SC_SC_EEDaS10_S11_SH_SM_EUlS10_E_NS1_11comp_targetILNS1_3genE10ELNS1_11target_archE1201ELNS1_3gpuE5ELNS1_3repE0EEENS1_47radix_sort_onesweep_sort_config_static_selectorELNS0_4arch9wavefront6targetE0EEEvSH_.has_indirect_call, 0
	.section	.AMDGPU.csdata,"",@progbits
; Kernel info:
; codeLenInByte = 0
; TotalNumSgprs: 0
; NumVgprs: 0
; ScratchSize: 0
; MemoryBound: 0
; FloatMode: 240
; IeeeMode: 1
; LDSByteSize: 0 bytes/workgroup (compile time only)
; SGPRBlocks: 0
; VGPRBlocks: 0
; NumSGPRsForWavesPerEU: 1
; NumVGPRsForWavesPerEU: 1
; NamedBarCnt: 0
; Occupancy: 16
; WaveLimiterHint : 0
; COMPUTE_PGM_RSRC2:SCRATCH_EN: 0
; COMPUTE_PGM_RSRC2:USER_SGPR: 2
; COMPUTE_PGM_RSRC2:TRAP_HANDLER: 0
; COMPUTE_PGM_RSRC2:TGID_X_EN: 1
; COMPUTE_PGM_RSRC2:TGID_Y_EN: 0
; COMPUTE_PGM_RSRC2:TGID_Z_EN: 0
; COMPUTE_PGM_RSRC2:TIDIG_COMP_CNT: 0
	.section	.text._ZN7rocprim17ROCPRIM_400000_NS6detail17trampoline_kernelINS0_14default_configENS1_35radix_sort_onesweep_config_selectorI6__halfNS0_10empty_typeEEEZZNS1_29radix_sort_onesweep_iterationIS3_Lb1EPKS5_PS5_PS6_SC_mNS0_19identity_decomposerENS1_16block_id_wrapperIjLb1EEEEE10hipError_tT1_PNSt15iterator_traitsISH_E10value_typeET2_T3_PNSI_ISN_E10value_typeET4_T5_PSS_ST_PNS1_23onesweep_lookback_stateEbbT6_jjT7_P12ihipStream_tbENKUlT_T0_SH_SM_E_clISA_SB_SC_SC_EEDaS10_S11_SH_SM_EUlS10_E_NS1_11comp_targetILNS1_3genE9ELNS1_11target_archE1100ELNS1_3gpuE3ELNS1_3repE0EEENS1_47radix_sort_onesweep_sort_config_static_selectorELNS0_4arch9wavefront6targetE0EEEvSH_,"axG",@progbits,_ZN7rocprim17ROCPRIM_400000_NS6detail17trampoline_kernelINS0_14default_configENS1_35radix_sort_onesweep_config_selectorI6__halfNS0_10empty_typeEEEZZNS1_29radix_sort_onesweep_iterationIS3_Lb1EPKS5_PS5_PS6_SC_mNS0_19identity_decomposerENS1_16block_id_wrapperIjLb1EEEEE10hipError_tT1_PNSt15iterator_traitsISH_E10value_typeET2_T3_PNSI_ISN_E10value_typeET4_T5_PSS_ST_PNS1_23onesweep_lookback_stateEbbT6_jjT7_P12ihipStream_tbENKUlT_T0_SH_SM_E_clISA_SB_SC_SC_EEDaS10_S11_SH_SM_EUlS10_E_NS1_11comp_targetILNS1_3genE9ELNS1_11target_archE1100ELNS1_3gpuE3ELNS1_3repE0EEENS1_47radix_sort_onesweep_sort_config_static_selectorELNS0_4arch9wavefront6targetE0EEEvSH_,comdat
	.protected	_ZN7rocprim17ROCPRIM_400000_NS6detail17trampoline_kernelINS0_14default_configENS1_35radix_sort_onesweep_config_selectorI6__halfNS0_10empty_typeEEEZZNS1_29radix_sort_onesweep_iterationIS3_Lb1EPKS5_PS5_PS6_SC_mNS0_19identity_decomposerENS1_16block_id_wrapperIjLb1EEEEE10hipError_tT1_PNSt15iterator_traitsISH_E10value_typeET2_T3_PNSI_ISN_E10value_typeET4_T5_PSS_ST_PNS1_23onesweep_lookback_stateEbbT6_jjT7_P12ihipStream_tbENKUlT_T0_SH_SM_E_clISA_SB_SC_SC_EEDaS10_S11_SH_SM_EUlS10_E_NS1_11comp_targetILNS1_3genE9ELNS1_11target_archE1100ELNS1_3gpuE3ELNS1_3repE0EEENS1_47radix_sort_onesweep_sort_config_static_selectorELNS0_4arch9wavefront6targetE0EEEvSH_ ; -- Begin function _ZN7rocprim17ROCPRIM_400000_NS6detail17trampoline_kernelINS0_14default_configENS1_35radix_sort_onesweep_config_selectorI6__halfNS0_10empty_typeEEEZZNS1_29radix_sort_onesweep_iterationIS3_Lb1EPKS5_PS5_PS6_SC_mNS0_19identity_decomposerENS1_16block_id_wrapperIjLb1EEEEE10hipError_tT1_PNSt15iterator_traitsISH_E10value_typeET2_T3_PNSI_ISN_E10value_typeET4_T5_PSS_ST_PNS1_23onesweep_lookback_stateEbbT6_jjT7_P12ihipStream_tbENKUlT_T0_SH_SM_E_clISA_SB_SC_SC_EEDaS10_S11_SH_SM_EUlS10_E_NS1_11comp_targetILNS1_3genE9ELNS1_11target_archE1100ELNS1_3gpuE3ELNS1_3repE0EEENS1_47radix_sort_onesweep_sort_config_static_selectorELNS0_4arch9wavefront6targetE0EEEvSH_
	.globl	_ZN7rocprim17ROCPRIM_400000_NS6detail17trampoline_kernelINS0_14default_configENS1_35radix_sort_onesweep_config_selectorI6__halfNS0_10empty_typeEEEZZNS1_29radix_sort_onesweep_iterationIS3_Lb1EPKS5_PS5_PS6_SC_mNS0_19identity_decomposerENS1_16block_id_wrapperIjLb1EEEEE10hipError_tT1_PNSt15iterator_traitsISH_E10value_typeET2_T3_PNSI_ISN_E10value_typeET4_T5_PSS_ST_PNS1_23onesweep_lookback_stateEbbT6_jjT7_P12ihipStream_tbENKUlT_T0_SH_SM_E_clISA_SB_SC_SC_EEDaS10_S11_SH_SM_EUlS10_E_NS1_11comp_targetILNS1_3genE9ELNS1_11target_archE1100ELNS1_3gpuE3ELNS1_3repE0EEENS1_47radix_sort_onesweep_sort_config_static_selectorELNS0_4arch9wavefront6targetE0EEEvSH_
	.p2align	8
	.type	_ZN7rocprim17ROCPRIM_400000_NS6detail17trampoline_kernelINS0_14default_configENS1_35radix_sort_onesweep_config_selectorI6__halfNS0_10empty_typeEEEZZNS1_29radix_sort_onesweep_iterationIS3_Lb1EPKS5_PS5_PS6_SC_mNS0_19identity_decomposerENS1_16block_id_wrapperIjLb1EEEEE10hipError_tT1_PNSt15iterator_traitsISH_E10value_typeET2_T3_PNSI_ISN_E10value_typeET4_T5_PSS_ST_PNS1_23onesweep_lookback_stateEbbT6_jjT7_P12ihipStream_tbENKUlT_T0_SH_SM_E_clISA_SB_SC_SC_EEDaS10_S11_SH_SM_EUlS10_E_NS1_11comp_targetILNS1_3genE9ELNS1_11target_archE1100ELNS1_3gpuE3ELNS1_3repE0EEENS1_47radix_sort_onesweep_sort_config_static_selectorELNS0_4arch9wavefront6targetE0EEEvSH_,@function
_ZN7rocprim17ROCPRIM_400000_NS6detail17trampoline_kernelINS0_14default_configENS1_35radix_sort_onesweep_config_selectorI6__halfNS0_10empty_typeEEEZZNS1_29radix_sort_onesweep_iterationIS3_Lb1EPKS5_PS5_PS6_SC_mNS0_19identity_decomposerENS1_16block_id_wrapperIjLb1EEEEE10hipError_tT1_PNSt15iterator_traitsISH_E10value_typeET2_T3_PNSI_ISN_E10value_typeET4_T5_PSS_ST_PNS1_23onesweep_lookback_stateEbbT6_jjT7_P12ihipStream_tbENKUlT_T0_SH_SM_E_clISA_SB_SC_SC_EEDaS10_S11_SH_SM_EUlS10_E_NS1_11comp_targetILNS1_3genE9ELNS1_11target_archE1100ELNS1_3gpuE3ELNS1_3repE0EEENS1_47radix_sort_onesweep_sort_config_static_selectorELNS0_4arch9wavefront6targetE0EEEvSH_: ; @_ZN7rocprim17ROCPRIM_400000_NS6detail17trampoline_kernelINS0_14default_configENS1_35radix_sort_onesweep_config_selectorI6__halfNS0_10empty_typeEEEZZNS1_29radix_sort_onesweep_iterationIS3_Lb1EPKS5_PS5_PS6_SC_mNS0_19identity_decomposerENS1_16block_id_wrapperIjLb1EEEEE10hipError_tT1_PNSt15iterator_traitsISH_E10value_typeET2_T3_PNSI_ISN_E10value_typeET4_T5_PSS_ST_PNS1_23onesweep_lookback_stateEbbT6_jjT7_P12ihipStream_tbENKUlT_T0_SH_SM_E_clISA_SB_SC_SC_EEDaS10_S11_SH_SM_EUlS10_E_NS1_11comp_targetILNS1_3genE9ELNS1_11target_archE1100ELNS1_3gpuE3ELNS1_3repE0EEENS1_47radix_sort_onesweep_sort_config_static_selectorELNS0_4arch9wavefront6targetE0EEEvSH_
; %bb.0:
	.section	.rodata,"a",@progbits
	.p2align	6, 0x0
	.amdhsa_kernel _ZN7rocprim17ROCPRIM_400000_NS6detail17trampoline_kernelINS0_14default_configENS1_35radix_sort_onesweep_config_selectorI6__halfNS0_10empty_typeEEEZZNS1_29radix_sort_onesweep_iterationIS3_Lb1EPKS5_PS5_PS6_SC_mNS0_19identity_decomposerENS1_16block_id_wrapperIjLb1EEEEE10hipError_tT1_PNSt15iterator_traitsISH_E10value_typeET2_T3_PNSI_ISN_E10value_typeET4_T5_PSS_ST_PNS1_23onesweep_lookback_stateEbbT6_jjT7_P12ihipStream_tbENKUlT_T0_SH_SM_E_clISA_SB_SC_SC_EEDaS10_S11_SH_SM_EUlS10_E_NS1_11comp_targetILNS1_3genE9ELNS1_11target_archE1100ELNS1_3gpuE3ELNS1_3repE0EEENS1_47radix_sort_onesweep_sort_config_static_selectorELNS0_4arch9wavefront6targetE0EEEvSH_
		.amdhsa_group_segment_fixed_size 0
		.amdhsa_private_segment_fixed_size 0
		.amdhsa_kernarg_size 88
		.amdhsa_user_sgpr_count 2
		.amdhsa_user_sgpr_dispatch_ptr 0
		.amdhsa_user_sgpr_queue_ptr 0
		.amdhsa_user_sgpr_kernarg_segment_ptr 1
		.amdhsa_user_sgpr_dispatch_id 0
		.amdhsa_user_sgpr_kernarg_preload_length 0
		.amdhsa_user_sgpr_kernarg_preload_offset 0
		.amdhsa_user_sgpr_private_segment_size 0
		.amdhsa_wavefront_size32 1
		.amdhsa_uses_dynamic_stack 0
		.amdhsa_enable_private_segment 0
		.amdhsa_system_sgpr_workgroup_id_x 1
		.amdhsa_system_sgpr_workgroup_id_y 0
		.amdhsa_system_sgpr_workgroup_id_z 0
		.amdhsa_system_sgpr_workgroup_info 0
		.amdhsa_system_vgpr_workitem_id 0
		.amdhsa_next_free_vgpr 1
		.amdhsa_next_free_sgpr 1
		.amdhsa_named_barrier_count 0
		.amdhsa_reserve_vcc 0
		.amdhsa_float_round_mode_32 0
		.amdhsa_float_round_mode_16_64 0
		.amdhsa_float_denorm_mode_32 3
		.amdhsa_float_denorm_mode_16_64 3
		.amdhsa_fp16_overflow 0
		.amdhsa_memory_ordered 1
		.amdhsa_forward_progress 1
		.amdhsa_inst_pref_size 0
		.amdhsa_round_robin_scheduling 0
		.amdhsa_exception_fp_ieee_invalid_op 0
		.amdhsa_exception_fp_denorm_src 0
		.amdhsa_exception_fp_ieee_div_zero 0
		.amdhsa_exception_fp_ieee_overflow 0
		.amdhsa_exception_fp_ieee_underflow 0
		.amdhsa_exception_fp_ieee_inexact 0
		.amdhsa_exception_int_div_zero 0
	.end_amdhsa_kernel
	.section	.text._ZN7rocprim17ROCPRIM_400000_NS6detail17trampoline_kernelINS0_14default_configENS1_35radix_sort_onesweep_config_selectorI6__halfNS0_10empty_typeEEEZZNS1_29radix_sort_onesweep_iterationIS3_Lb1EPKS5_PS5_PS6_SC_mNS0_19identity_decomposerENS1_16block_id_wrapperIjLb1EEEEE10hipError_tT1_PNSt15iterator_traitsISH_E10value_typeET2_T3_PNSI_ISN_E10value_typeET4_T5_PSS_ST_PNS1_23onesweep_lookback_stateEbbT6_jjT7_P12ihipStream_tbENKUlT_T0_SH_SM_E_clISA_SB_SC_SC_EEDaS10_S11_SH_SM_EUlS10_E_NS1_11comp_targetILNS1_3genE9ELNS1_11target_archE1100ELNS1_3gpuE3ELNS1_3repE0EEENS1_47radix_sort_onesweep_sort_config_static_selectorELNS0_4arch9wavefront6targetE0EEEvSH_,"axG",@progbits,_ZN7rocprim17ROCPRIM_400000_NS6detail17trampoline_kernelINS0_14default_configENS1_35radix_sort_onesweep_config_selectorI6__halfNS0_10empty_typeEEEZZNS1_29radix_sort_onesweep_iterationIS3_Lb1EPKS5_PS5_PS6_SC_mNS0_19identity_decomposerENS1_16block_id_wrapperIjLb1EEEEE10hipError_tT1_PNSt15iterator_traitsISH_E10value_typeET2_T3_PNSI_ISN_E10value_typeET4_T5_PSS_ST_PNS1_23onesweep_lookback_stateEbbT6_jjT7_P12ihipStream_tbENKUlT_T0_SH_SM_E_clISA_SB_SC_SC_EEDaS10_S11_SH_SM_EUlS10_E_NS1_11comp_targetILNS1_3genE9ELNS1_11target_archE1100ELNS1_3gpuE3ELNS1_3repE0EEENS1_47radix_sort_onesweep_sort_config_static_selectorELNS0_4arch9wavefront6targetE0EEEvSH_,comdat
.Lfunc_end2170:
	.size	_ZN7rocprim17ROCPRIM_400000_NS6detail17trampoline_kernelINS0_14default_configENS1_35radix_sort_onesweep_config_selectorI6__halfNS0_10empty_typeEEEZZNS1_29radix_sort_onesweep_iterationIS3_Lb1EPKS5_PS5_PS6_SC_mNS0_19identity_decomposerENS1_16block_id_wrapperIjLb1EEEEE10hipError_tT1_PNSt15iterator_traitsISH_E10value_typeET2_T3_PNSI_ISN_E10value_typeET4_T5_PSS_ST_PNS1_23onesweep_lookback_stateEbbT6_jjT7_P12ihipStream_tbENKUlT_T0_SH_SM_E_clISA_SB_SC_SC_EEDaS10_S11_SH_SM_EUlS10_E_NS1_11comp_targetILNS1_3genE9ELNS1_11target_archE1100ELNS1_3gpuE3ELNS1_3repE0EEENS1_47radix_sort_onesweep_sort_config_static_selectorELNS0_4arch9wavefront6targetE0EEEvSH_, .Lfunc_end2170-_ZN7rocprim17ROCPRIM_400000_NS6detail17trampoline_kernelINS0_14default_configENS1_35radix_sort_onesweep_config_selectorI6__halfNS0_10empty_typeEEEZZNS1_29radix_sort_onesweep_iterationIS3_Lb1EPKS5_PS5_PS6_SC_mNS0_19identity_decomposerENS1_16block_id_wrapperIjLb1EEEEE10hipError_tT1_PNSt15iterator_traitsISH_E10value_typeET2_T3_PNSI_ISN_E10value_typeET4_T5_PSS_ST_PNS1_23onesweep_lookback_stateEbbT6_jjT7_P12ihipStream_tbENKUlT_T0_SH_SM_E_clISA_SB_SC_SC_EEDaS10_S11_SH_SM_EUlS10_E_NS1_11comp_targetILNS1_3genE9ELNS1_11target_archE1100ELNS1_3gpuE3ELNS1_3repE0EEENS1_47radix_sort_onesweep_sort_config_static_selectorELNS0_4arch9wavefront6targetE0EEEvSH_
                                        ; -- End function
	.set _ZN7rocprim17ROCPRIM_400000_NS6detail17trampoline_kernelINS0_14default_configENS1_35radix_sort_onesweep_config_selectorI6__halfNS0_10empty_typeEEEZZNS1_29radix_sort_onesweep_iterationIS3_Lb1EPKS5_PS5_PS6_SC_mNS0_19identity_decomposerENS1_16block_id_wrapperIjLb1EEEEE10hipError_tT1_PNSt15iterator_traitsISH_E10value_typeET2_T3_PNSI_ISN_E10value_typeET4_T5_PSS_ST_PNS1_23onesweep_lookback_stateEbbT6_jjT7_P12ihipStream_tbENKUlT_T0_SH_SM_E_clISA_SB_SC_SC_EEDaS10_S11_SH_SM_EUlS10_E_NS1_11comp_targetILNS1_3genE9ELNS1_11target_archE1100ELNS1_3gpuE3ELNS1_3repE0EEENS1_47radix_sort_onesweep_sort_config_static_selectorELNS0_4arch9wavefront6targetE0EEEvSH_.num_vgpr, 0
	.set _ZN7rocprim17ROCPRIM_400000_NS6detail17trampoline_kernelINS0_14default_configENS1_35radix_sort_onesweep_config_selectorI6__halfNS0_10empty_typeEEEZZNS1_29radix_sort_onesweep_iterationIS3_Lb1EPKS5_PS5_PS6_SC_mNS0_19identity_decomposerENS1_16block_id_wrapperIjLb1EEEEE10hipError_tT1_PNSt15iterator_traitsISH_E10value_typeET2_T3_PNSI_ISN_E10value_typeET4_T5_PSS_ST_PNS1_23onesweep_lookback_stateEbbT6_jjT7_P12ihipStream_tbENKUlT_T0_SH_SM_E_clISA_SB_SC_SC_EEDaS10_S11_SH_SM_EUlS10_E_NS1_11comp_targetILNS1_3genE9ELNS1_11target_archE1100ELNS1_3gpuE3ELNS1_3repE0EEENS1_47radix_sort_onesweep_sort_config_static_selectorELNS0_4arch9wavefront6targetE0EEEvSH_.num_agpr, 0
	.set _ZN7rocprim17ROCPRIM_400000_NS6detail17trampoline_kernelINS0_14default_configENS1_35radix_sort_onesweep_config_selectorI6__halfNS0_10empty_typeEEEZZNS1_29radix_sort_onesweep_iterationIS3_Lb1EPKS5_PS5_PS6_SC_mNS0_19identity_decomposerENS1_16block_id_wrapperIjLb1EEEEE10hipError_tT1_PNSt15iterator_traitsISH_E10value_typeET2_T3_PNSI_ISN_E10value_typeET4_T5_PSS_ST_PNS1_23onesweep_lookback_stateEbbT6_jjT7_P12ihipStream_tbENKUlT_T0_SH_SM_E_clISA_SB_SC_SC_EEDaS10_S11_SH_SM_EUlS10_E_NS1_11comp_targetILNS1_3genE9ELNS1_11target_archE1100ELNS1_3gpuE3ELNS1_3repE0EEENS1_47radix_sort_onesweep_sort_config_static_selectorELNS0_4arch9wavefront6targetE0EEEvSH_.numbered_sgpr, 0
	.set _ZN7rocprim17ROCPRIM_400000_NS6detail17trampoline_kernelINS0_14default_configENS1_35radix_sort_onesweep_config_selectorI6__halfNS0_10empty_typeEEEZZNS1_29radix_sort_onesweep_iterationIS3_Lb1EPKS5_PS5_PS6_SC_mNS0_19identity_decomposerENS1_16block_id_wrapperIjLb1EEEEE10hipError_tT1_PNSt15iterator_traitsISH_E10value_typeET2_T3_PNSI_ISN_E10value_typeET4_T5_PSS_ST_PNS1_23onesweep_lookback_stateEbbT6_jjT7_P12ihipStream_tbENKUlT_T0_SH_SM_E_clISA_SB_SC_SC_EEDaS10_S11_SH_SM_EUlS10_E_NS1_11comp_targetILNS1_3genE9ELNS1_11target_archE1100ELNS1_3gpuE3ELNS1_3repE0EEENS1_47radix_sort_onesweep_sort_config_static_selectorELNS0_4arch9wavefront6targetE0EEEvSH_.num_named_barrier, 0
	.set _ZN7rocprim17ROCPRIM_400000_NS6detail17trampoline_kernelINS0_14default_configENS1_35radix_sort_onesweep_config_selectorI6__halfNS0_10empty_typeEEEZZNS1_29radix_sort_onesweep_iterationIS3_Lb1EPKS5_PS5_PS6_SC_mNS0_19identity_decomposerENS1_16block_id_wrapperIjLb1EEEEE10hipError_tT1_PNSt15iterator_traitsISH_E10value_typeET2_T3_PNSI_ISN_E10value_typeET4_T5_PSS_ST_PNS1_23onesweep_lookback_stateEbbT6_jjT7_P12ihipStream_tbENKUlT_T0_SH_SM_E_clISA_SB_SC_SC_EEDaS10_S11_SH_SM_EUlS10_E_NS1_11comp_targetILNS1_3genE9ELNS1_11target_archE1100ELNS1_3gpuE3ELNS1_3repE0EEENS1_47radix_sort_onesweep_sort_config_static_selectorELNS0_4arch9wavefront6targetE0EEEvSH_.private_seg_size, 0
	.set _ZN7rocprim17ROCPRIM_400000_NS6detail17trampoline_kernelINS0_14default_configENS1_35radix_sort_onesweep_config_selectorI6__halfNS0_10empty_typeEEEZZNS1_29radix_sort_onesweep_iterationIS3_Lb1EPKS5_PS5_PS6_SC_mNS0_19identity_decomposerENS1_16block_id_wrapperIjLb1EEEEE10hipError_tT1_PNSt15iterator_traitsISH_E10value_typeET2_T3_PNSI_ISN_E10value_typeET4_T5_PSS_ST_PNS1_23onesweep_lookback_stateEbbT6_jjT7_P12ihipStream_tbENKUlT_T0_SH_SM_E_clISA_SB_SC_SC_EEDaS10_S11_SH_SM_EUlS10_E_NS1_11comp_targetILNS1_3genE9ELNS1_11target_archE1100ELNS1_3gpuE3ELNS1_3repE0EEENS1_47radix_sort_onesweep_sort_config_static_selectorELNS0_4arch9wavefront6targetE0EEEvSH_.uses_vcc, 0
	.set _ZN7rocprim17ROCPRIM_400000_NS6detail17trampoline_kernelINS0_14default_configENS1_35radix_sort_onesweep_config_selectorI6__halfNS0_10empty_typeEEEZZNS1_29radix_sort_onesweep_iterationIS3_Lb1EPKS5_PS5_PS6_SC_mNS0_19identity_decomposerENS1_16block_id_wrapperIjLb1EEEEE10hipError_tT1_PNSt15iterator_traitsISH_E10value_typeET2_T3_PNSI_ISN_E10value_typeET4_T5_PSS_ST_PNS1_23onesweep_lookback_stateEbbT6_jjT7_P12ihipStream_tbENKUlT_T0_SH_SM_E_clISA_SB_SC_SC_EEDaS10_S11_SH_SM_EUlS10_E_NS1_11comp_targetILNS1_3genE9ELNS1_11target_archE1100ELNS1_3gpuE3ELNS1_3repE0EEENS1_47radix_sort_onesweep_sort_config_static_selectorELNS0_4arch9wavefront6targetE0EEEvSH_.uses_flat_scratch, 0
	.set _ZN7rocprim17ROCPRIM_400000_NS6detail17trampoline_kernelINS0_14default_configENS1_35radix_sort_onesweep_config_selectorI6__halfNS0_10empty_typeEEEZZNS1_29radix_sort_onesweep_iterationIS3_Lb1EPKS5_PS5_PS6_SC_mNS0_19identity_decomposerENS1_16block_id_wrapperIjLb1EEEEE10hipError_tT1_PNSt15iterator_traitsISH_E10value_typeET2_T3_PNSI_ISN_E10value_typeET4_T5_PSS_ST_PNS1_23onesweep_lookback_stateEbbT6_jjT7_P12ihipStream_tbENKUlT_T0_SH_SM_E_clISA_SB_SC_SC_EEDaS10_S11_SH_SM_EUlS10_E_NS1_11comp_targetILNS1_3genE9ELNS1_11target_archE1100ELNS1_3gpuE3ELNS1_3repE0EEENS1_47radix_sort_onesweep_sort_config_static_selectorELNS0_4arch9wavefront6targetE0EEEvSH_.has_dyn_sized_stack, 0
	.set _ZN7rocprim17ROCPRIM_400000_NS6detail17trampoline_kernelINS0_14default_configENS1_35radix_sort_onesweep_config_selectorI6__halfNS0_10empty_typeEEEZZNS1_29radix_sort_onesweep_iterationIS3_Lb1EPKS5_PS5_PS6_SC_mNS0_19identity_decomposerENS1_16block_id_wrapperIjLb1EEEEE10hipError_tT1_PNSt15iterator_traitsISH_E10value_typeET2_T3_PNSI_ISN_E10value_typeET4_T5_PSS_ST_PNS1_23onesweep_lookback_stateEbbT6_jjT7_P12ihipStream_tbENKUlT_T0_SH_SM_E_clISA_SB_SC_SC_EEDaS10_S11_SH_SM_EUlS10_E_NS1_11comp_targetILNS1_3genE9ELNS1_11target_archE1100ELNS1_3gpuE3ELNS1_3repE0EEENS1_47radix_sort_onesweep_sort_config_static_selectorELNS0_4arch9wavefront6targetE0EEEvSH_.has_recursion, 0
	.set _ZN7rocprim17ROCPRIM_400000_NS6detail17trampoline_kernelINS0_14default_configENS1_35radix_sort_onesweep_config_selectorI6__halfNS0_10empty_typeEEEZZNS1_29radix_sort_onesweep_iterationIS3_Lb1EPKS5_PS5_PS6_SC_mNS0_19identity_decomposerENS1_16block_id_wrapperIjLb1EEEEE10hipError_tT1_PNSt15iterator_traitsISH_E10value_typeET2_T3_PNSI_ISN_E10value_typeET4_T5_PSS_ST_PNS1_23onesweep_lookback_stateEbbT6_jjT7_P12ihipStream_tbENKUlT_T0_SH_SM_E_clISA_SB_SC_SC_EEDaS10_S11_SH_SM_EUlS10_E_NS1_11comp_targetILNS1_3genE9ELNS1_11target_archE1100ELNS1_3gpuE3ELNS1_3repE0EEENS1_47radix_sort_onesweep_sort_config_static_selectorELNS0_4arch9wavefront6targetE0EEEvSH_.has_indirect_call, 0
	.section	.AMDGPU.csdata,"",@progbits
; Kernel info:
; codeLenInByte = 0
; TotalNumSgprs: 0
; NumVgprs: 0
; ScratchSize: 0
; MemoryBound: 0
; FloatMode: 240
; IeeeMode: 1
; LDSByteSize: 0 bytes/workgroup (compile time only)
; SGPRBlocks: 0
; VGPRBlocks: 0
; NumSGPRsForWavesPerEU: 1
; NumVGPRsForWavesPerEU: 1
; NamedBarCnt: 0
; Occupancy: 16
; WaveLimiterHint : 0
; COMPUTE_PGM_RSRC2:SCRATCH_EN: 0
; COMPUTE_PGM_RSRC2:USER_SGPR: 2
; COMPUTE_PGM_RSRC2:TRAP_HANDLER: 0
; COMPUTE_PGM_RSRC2:TGID_X_EN: 1
; COMPUTE_PGM_RSRC2:TGID_Y_EN: 0
; COMPUTE_PGM_RSRC2:TGID_Z_EN: 0
; COMPUTE_PGM_RSRC2:TIDIG_COMP_CNT: 0
	.section	.text._ZN7rocprim17ROCPRIM_400000_NS6detail17trampoline_kernelINS0_14default_configENS1_35radix_sort_onesweep_config_selectorI6__halfNS0_10empty_typeEEEZZNS1_29radix_sort_onesweep_iterationIS3_Lb1EPKS5_PS5_PS6_SC_mNS0_19identity_decomposerENS1_16block_id_wrapperIjLb1EEEEE10hipError_tT1_PNSt15iterator_traitsISH_E10value_typeET2_T3_PNSI_ISN_E10value_typeET4_T5_PSS_ST_PNS1_23onesweep_lookback_stateEbbT6_jjT7_P12ihipStream_tbENKUlT_T0_SH_SM_E_clISA_SB_SC_SC_EEDaS10_S11_SH_SM_EUlS10_E_NS1_11comp_targetILNS1_3genE8ELNS1_11target_archE1030ELNS1_3gpuE2ELNS1_3repE0EEENS1_47radix_sort_onesweep_sort_config_static_selectorELNS0_4arch9wavefront6targetE0EEEvSH_,"axG",@progbits,_ZN7rocprim17ROCPRIM_400000_NS6detail17trampoline_kernelINS0_14default_configENS1_35radix_sort_onesweep_config_selectorI6__halfNS0_10empty_typeEEEZZNS1_29radix_sort_onesweep_iterationIS3_Lb1EPKS5_PS5_PS6_SC_mNS0_19identity_decomposerENS1_16block_id_wrapperIjLb1EEEEE10hipError_tT1_PNSt15iterator_traitsISH_E10value_typeET2_T3_PNSI_ISN_E10value_typeET4_T5_PSS_ST_PNS1_23onesweep_lookback_stateEbbT6_jjT7_P12ihipStream_tbENKUlT_T0_SH_SM_E_clISA_SB_SC_SC_EEDaS10_S11_SH_SM_EUlS10_E_NS1_11comp_targetILNS1_3genE8ELNS1_11target_archE1030ELNS1_3gpuE2ELNS1_3repE0EEENS1_47radix_sort_onesweep_sort_config_static_selectorELNS0_4arch9wavefront6targetE0EEEvSH_,comdat
	.protected	_ZN7rocprim17ROCPRIM_400000_NS6detail17trampoline_kernelINS0_14default_configENS1_35radix_sort_onesweep_config_selectorI6__halfNS0_10empty_typeEEEZZNS1_29radix_sort_onesweep_iterationIS3_Lb1EPKS5_PS5_PS6_SC_mNS0_19identity_decomposerENS1_16block_id_wrapperIjLb1EEEEE10hipError_tT1_PNSt15iterator_traitsISH_E10value_typeET2_T3_PNSI_ISN_E10value_typeET4_T5_PSS_ST_PNS1_23onesweep_lookback_stateEbbT6_jjT7_P12ihipStream_tbENKUlT_T0_SH_SM_E_clISA_SB_SC_SC_EEDaS10_S11_SH_SM_EUlS10_E_NS1_11comp_targetILNS1_3genE8ELNS1_11target_archE1030ELNS1_3gpuE2ELNS1_3repE0EEENS1_47radix_sort_onesweep_sort_config_static_selectorELNS0_4arch9wavefront6targetE0EEEvSH_ ; -- Begin function _ZN7rocprim17ROCPRIM_400000_NS6detail17trampoline_kernelINS0_14default_configENS1_35radix_sort_onesweep_config_selectorI6__halfNS0_10empty_typeEEEZZNS1_29radix_sort_onesweep_iterationIS3_Lb1EPKS5_PS5_PS6_SC_mNS0_19identity_decomposerENS1_16block_id_wrapperIjLb1EEEEE10hipError_tT1_PNSt15iterator_traitsISH_E10value_typeET2_T3_PNSI_ISN_E10value_typeET4_T5_PSS_ST_PNS1_23onesweep_lookback_stateEbbT6_jjT7_P12ihipStream_tbENKUlT_T0_SH_SM_E_clISA_SB_SC_SC_EEDaS10_S11_SH_SM_EUlS10_E_NS1_11comp_targetILNS1_3genE8ELNS1_11target_archE1030ELNS1_3gpuE2ELNS1_3repE0EEENS1_47radix_sort_onesweep_sort_config_static_selectorELNS0_4arch9wavefront6targetE0EEEvSH_
	.globl	_ZN7rocprim17ROCPRIM_400000_NS6detail17trampoline_kernelINS0_14default_configENS1_35radix_sort_onesweep_config_selectorI6__halfNS0_10empty_typeEEEZZNS1_29radix_sort_onesweep_iterationIS3_Lb1EPKS5_PS5_PS6_SC_mNS0_19identity_decomposerENS1_16block_id_wrapperIjLb1EEEEE10hipError_tT1_PNSt15iterator_traitsISH_E10value_typeET2_T3_PNSI_ISN_E10value_typeET4_T5_PSS_ST_PNS1_23onesweep_lookback_stateEbbT6_jjT7_P12ihipStream_tbENKUlT_T0_SH_SM_E_clISA_SB_SC_SC_EEDaS10_S11_SH_SM_EUlS10_E_NS1_11comp_targetILNS1_3genE8ELNS1_11target_archE1030ELNS1_3gpuE2ELNS1_3repE0EEENS1_47radix_sort_onesweep_sort_config_static_selectorELNS0_4arch9wavefront6targetE0EEEvSH_
	.p2align	8
	.type	_ZN7rocprim17ROCPRIM_400000_NS6detail17trampoline_kernelINS0_14default_configENS1_35radix_sort_onesweep_config_selectorI6__halfNS0_10empty_typeEEEZZNS1_29radix_sort_onesweep_iterationIS3_Lb1EPKS5_PS5_PS6_SC_mNS0_19identity_decomposerENS1_16block_id_wrapperIjLb1EEEEE10hipError_tT1_PNSt15iterator_traitsISH_E10value_typeET2_T3_PNSI_ISN_E10value_typeET4_T5_PSS_ST_PNS1_23onesweep_lookback_stateEbbT6_jjT7_P12ihipStream_tbENKUlT_T0_SH_SM_E_clISA_SB_SC_SC_EEDaS10_S11_SH_SM_EUlS10_E_NS1_11comp_targetILNS1_3genE8ELNS1_11target_archE1030ELNS1_3gpuE2ELNS1_3repE0EEENS1_47radix_sort_onesweep_sort_config_static_selectorELNS0_4arch9wavefront6targetE0EEEvSH_,@function
_ZN7rocprim17ROCPRIM_400000_NS6detail17trampoline_kernelINS0_14default_configENS1_35radix_sort_onesweep_config_selectorI6__halfNS0_10empty_typeEEEZZNS1_29radix_sort_onesweep_iterationIS3_Lb1EPKS5_PS5_PS6_SC_mNS0_19identity_decomposerENS1_16block_id_wrapperIjLb1EEEEE10hipError_tT1_PNSt15iterator_traitsISH_E10value_typeET2_T3_PNSI_ISN_E10value_typeET4_T5_PSS_ST_PNS1_23onesweep_lookback_stateEbbT6_jjT7_P12ihipStream_tbENKUlT_T0_SH_SM_E_clISA_SB_SC_SC_EEDaS10_S11_SH_SM_EUlS10_E_NS1_11comp_targetILNS1_3genE8ELNS1_11target_archE1030ELNS1_3gpuE2ELNS1_3repE0EEENS1_47radix_sort_onesweep_sort_config_static_selectorELNS0_4arch9wavefront6targetE0EEEvSH_: ; @_ZN7rocprim17ROCPRIM_400000_NS6detail17trampoline_kernelINS0_14default_configENS1_35radix_sort_onesweep_config_selectorI6__halfNS0_10empty_typeEEEZZNS1_29radix_sort_onesweep_iterationIS3_Lb1EPKS5_PS5_PS6_SC_mNS0_19identity_decomposerENS1_16block_id_wrapperIjLb1EEEEE10hipError_tT1_PNSt15iterator_traitsISH_E10value_typeET2_T3_PNSI_ISN_E10value_typeET4_T5_PSS_ST_PNS1_23onesweep_lookback_stateEbbT6_jjT7_P12ihipStream_tbENKUlT_T0_SH_SM_E_clISA_SB_SC_SC_EEDaS10_S11_SH_SM_EUlS10_E_NS1_11comp_targetILNS1_3genE8ELNS1_11target_archE1030ELNS1_3gpuE2ELNS1_3repE0EEENS1_47radix_sort_onesweep_sort_config_static_selectorELNS0_4arch9wavefront6targetE0EEEvSH_
; %bb.0:
	.section	.rodata,"a",@progbits
	.p2align	6, 0x0
	.amdhsa_kernel _ZN7rocprim17ROCPRIM_400000_NS6detail17trampoline_kernelINS0_14default_configENS1_35radix_sort_onesweep_config_selectorI6__halfNS0_10empty_typeEEEZZNS1_29radix_sort_onesweep_iterationIS3_Lb1EPKS5_PS5_PS6_SC_mNS0_19identity_decomposerENS1_16block_id_wrapperIjLb1EEEEE10hipError_tT1_PNSt15iterator_traitsISH_E10value_typeET2_T3_PNSI_ISN_E10value_typeET4_T5_PSS_ST_PNS1_23onesweep_lookback_stateEbbT6_jjT7_P12ihipStream_tbENKUlT_T0_SH_SM_E_clISA_SB_SC_SC_EEDaS10_S11_SH_SM_EUlS10_E_NS1_11comp_targetILNS1_3genE8ELNS1_11target_archE1030ELNS1_3gpuE2ELNS1_3repE0EEENS1_47radix_sort_onesweep_sort_config_static_selectorELNS0_4arch9wavefront6targetE0EEEvSH_
		.amdhsa_group_segment_fixed_size 0
		.amdhsa_private_segment_fixed_size 0
		.amdhsa_kernarg_size 88
		.amdhsa_user_sgpr_count 2
		.amdhsa_user_sgpr_dispatch_ptr 0
		.amdhsa_user_sgpr_queue_ptr 0
		.amdhsa_user_sgpr_kernarg_segment_ptr 1
		.amdhsa_user_sgpr_dispatch_id 0
		.amdhsa_user_sgpr_kernarg_preload_length 0
		.amdhsa_user_sgpr_kernarg_preload_offset 0
		.amdhsa_user_sgpr_private_segment_size 0
		.amdhsa_wavefront_size32 1
		.amdhsa_uses_dynamic_stack 0
		.amdhsa_enable_private_segment 0
		.amdhsa_system_sgpr_workgroup_id_x 1
		.amdhsa_system_sgpr_workgroup_id_y 0
		.amdhsa_system_sgpr_workgroup_id_z 0
		.amdhsa_system_sgpr_workgroup_info 0
		.amdhsa_system_vgpr_workitem_id 0
		.amdhsa_next_free_vgpr 1
		.amdhsa_next_free_sgpr 1
		.amdhsa_named_barrier_count 0
		.amdhsa_reserve_vcc 0
		.amdhsa_float_round_mode_32 0
		.amdhsa_float_round_mode_16_64 0
		.amdhsa_float_denorm_mode_32 3
		.amdhsa_float_denorm_mode_16_64 3
		.amdhsa_fp16_overflow 0
		.amdhsa_memory_ordered 1
		.amdhsa_forward_progress 1
		.amdhsa_inst_pref_size 0
		.amdhsa_round_robin_scheduling 0
		.amdhsa_exception_fp_ieee_invalid_op 0
		.amdhsa_exception_fp_denorm_src 0
		.amdhsa_exception_fp_ieee_div_zero 0
		.amdhsa_exception_fp_ieee_overflow 0
		.amdhsa_exception_fp_ieee_underflow 0
		.amdhsa_exception_fp_ieee_inexact 0
		.amdhsa_exception_int_div_zero 0
	.end_amdhsa_kernel
	.section	.text._ZN7rocprim17ROCPRIM_400000_NS6detail17trampoline_kernelINS0_14default_configENS1_35radix_sort_onesweep_config_selectorI6__halfNS0_10empty_typeEEEZZNS1_29radix_sort_onesweep_iterationIS3_Lb1EPKS5_PS5_PS6_SC_mNS0_19identity_decomposerENS1_16block_id_wrapperIjLb1EEEEE10hipError_tT1_PNSt15iterator_traitsISH_E10value_typeET2_T3_PNSI_ISN_E10value_typeET4_T5_PSS_ST_PNS1_23onesweep_lookback_stateEbbT6_jjT7_P12ihipStream_tbENKUlT_T0_SH_SM_E_clISA_SB_SC_SC_EEDaS10_S11_SH_SM_EUlS10_E_NS1_11comp_targetILNS1_3genE8ELNS1_11target_archE1030ELNS1_3gpuE2ELNS1_3repE0EEENS1_47radix_sort_onesweep_sort_config_static_selectorELNS0_4arch9wavefront6targetE0EEEvSH_,"axG",@progbits,_ZN7rocprim17ROCPRIM_400000_NS6detail17trampoline_kernelINS0_14default_configENS1_35radix_sort_onesweep_config_selectorI6__halfNS0_10empty_typeEEEZZNS1_29radix_sort_onesweep_iterationIS3_Lb1EPKS5_PS5_PS6_SC_mNS0_19identity_decomposerENS1_16block_id_wrapperIjLb1EEEEE10hipError_tT1_PNSt15iterator_traitsISH_E10value_typeET2_T3_PNSI_ISN_E10value_typeET4_T5_PSS_ST_PNS1_23onesweep_lookback_stateEbbT6_jjT7_P12ihipStream_tbENKUlT_T0_SH_SM_E_clISA_SB_SC_SC_EEDaS10_S11_SH_SM_EUlS10_E_NS1_11comp_targetILNS1_3genE8ELNS1_11target_archE1030ELNS1_3gpuE2ELNS1_3repE0EEENS1_47radix_sort_onesweep_sort_config_static_selectorELNS0_4arch9wavefront6targetE0EEEvSH_,comdat
.Lfunc_end2171:
	.size	_ZN7rocprim17ROCPRIM_400000_NS6detail17trampoline_kernelINS0_14default_configENS1_35radix_sort_onesweep_config_selectorI6__halfNS0_10empty_typeEEEZZNS1_29radix_sort_onesweep_iterationIS3_Lb1EPKS5_PS5_PS6_SC_mNS0_19identity_decomposerENS1_16block_id_wrapperIjLb1EEEEE10hipError_tT1_PNSt15iterator_traitsISH_E10value_typeET2_T3_PNSI_ISN_E10value_typeET4_T5_PSS_ST_PNS1_23onesweep_lookback_stateEbbT6_jjT7_P12ihipStream_tbENKUlT_T0_SH_SM_E_clISA_SB_SC_SC_EEDaS10_S11_SH_SM_EUlS10_E_NS1_11comp_targetILNS1_3genE8ELNS1_11target_archE1030ELNS1_3gpuE2ELNS1_3repE0EEENS1_47radix_sort_onesweep_sort_config_static_selectorELNS0_4arch9wavefront6targetE0EEEvSH_, .Lfunc_end2171-_ZN7rocprim17ROCPRIM_400000_NS6detail17trampoline_kernelINS0_14default_configENS1_35radix_sort_onesweep_config_selectorI6__halfNS0_10empty_typeEEEZZNS1_29radix_sort_onesweep_iterationIS3_Lb1EPKS5_PS5_PS6_SC_mNS0_19identity_decomposerENS1_16block_id_wrapperIjLb1EEEEE10hipError_tT1_PNSt15iterator_traitsISH_E10value_typeET2_T3_PNSI_ISN_E10value_typeET4_T5_PSS_ST_PNS1_23onesweep_lookback_stateEbbT6_jjT7_P12ihipStream_tbENKUlT_T0_SH_SM_E_clISA_SB_SC_SC_EEDaS10_S11_SH_SM_EUlS10_E_NS1_11comp_targetILNS1_3genE8ELNS1_11target_archE1030ELNS1_3gpuE2ELNS1_3repE0EEENS1_47radix_sort_onesweep_sort_config_static_selectorELNS0_4arch9wavefront6targetE0EEEvSH_
                                        ; -- End function
	.set _ZN7rocprim17ROCPRIM_400000_NS6detail17trampoline_kernelINS0_14default_configENS1_35radix_sort_onesweep_config_selectorI6__halfNS0_10empty_typeEEEZZNS1_29radix_sort_onesweep_iterationIS3_Lb1EPKS5_PS5_PS6_SC_mNS0_19identity_decomposerENS1_16block_id_wrapperIjLb1EEEEE10hipError_tT1_PNSt15iterator_traitsISH_E10value_typeET2_T3_PNSI_ISN_E10value_typeET4_T5_PSS_ST_PNS1_23onesweep_lookback_stateEbbT6_jjT7_P12ihipStream_tbENKUlT_T0_SH_SM_E_clISA_SB_SC_SC_EEDaS10_S11_SH_SM_EUlS10_E_NS1_11comp_targetILNS1_3genE8ELNS1_11target_archE1030ELNS1_3gpuE2ELNS1_3repE0EEENS1_47radix_sort_onesweep_sort_config_static_selectorELNS0_4arch9wavefront6targetE0EEEvSH_.num_vgpr, 0
	.set _ZN7rocprim17ROCPRIM_400000_NS6detail17trampoline_kernelINS0_14default_configENS1_35radix_sort_onesweep_config_selectorI6__halfNS0_10empty_typeEEEZZNS1_29radix_sort_onesweep_iterationIS3_Lb1EPKS5_PS5_PS6_SC_mNS0_19identity_decomposerENS1_16block_id_wrapperIjLb1EEEEE10hipError_tT1_PNSt15iterator_traitsISH_E10value_typeET2_T3_PNSI_ISN_E10value_typeET4_T5_PSS_ST_PNS1_23onesweep_lookback_stateEbbT6_jjT7_P12ihipStream_tbENKUlT_T0_SH_SM_E_clISA_SB_SC_SC_EEDaS10_S11_SH_SM_EUlS10_E_NS1_11comp_targetILNS1_3genE8ELNS1_11target_archE1030ELNS1_3gpuE2ELNS1_3repE0EEENS1_47radix_sort_onesweep_sort_config_static_selectorELNS0_4arch9wavefront6targetE0EEEvSH_.num_agpr, 0
	.set _ZN7rocprim17ROCPRIM_400000_NS6detail17trampoline_kernelINS0_14default_configENS1_35radix_sort_onesweep_config_selectorI6__halfNS0_10empty_typeEEEZZNS1_29radix_sort_onesweep_iterationIS3_Lb1EPKS5_PS5_PS6_SC_mNS0_19identity_decomposerENS1_16block_id_wrapperIjLb1EEEEE10hipError_tT1_PNSt15iterator_traitsISH_E10value_typeET2_T3_PNSI_ISN_E10value_typeET4_T5_PSS_ST_PNS1_23onesweep_lookback_stateEbbT6_jjT7_P12ihipStream_tbENKUlT_T0_SH_SM_E_clISA_SB_SC_SC_EEDaS10_S11_SH_SM_EUlS10_E_NS1_11comp_targetILNS1_3genE8ELNS1_11target_archE1030ELNS1_3gpuE2ELNS1_3repE0EEENS1_47radix_sort_onesweep_sort_config_static_selectorELNS0_4arch9wavefront6targetE0EEEvSH_.numbered_sgpr, 0
	.set _ZN7rocprim17ROCPRIM_400000_NS6detail17trampoline_kernelINS0_14default_configENS1_35radix_sort_onesweep_config_selectorI6__halfNS0_10empty_typeEEEZZNS1_29radix_sort_onesweep_iterationIS3_Lb1EPKS5_PS5_PS6_SC_mNS0_19identity_decomposerENS1_16block_id_wrapperIjLb1EEEEE10hipError_tT1_PNSt15iterator_traitsISH_E10value_typeET2_T3_PNSI_ISN_E10value_typeET4_T5_PSS_ST_PNS1_23onesweep_lookback_stateEbbT6_jjT7_P12ihipStream_tbENKUlT_T0_SH_SM_E_clISA_SB_SC_SC_EEDaS10_S11_SH_SM_EUlS10_E_NS1_11comp_targetILNS1_3genE8ELNS1_11target_archE1030ELNS1_3gpuE2ELNS1_3repE0EEENS1_47radix_sort_onesweep_sort_config_static_selectorELNS0_4arch9wavefront6targetE0EEEvSH_.num_named_barrier, 0
	.set _ZN7rocprim17ROCPRIM_400000_NS6detail17trampoline_kernelINS0_14default_configENS1_35radix_sort_onesweep_config_selectorI6__halfNS0_10empty_typeEEEZZNS1_29radix_sort_onesweep_iterationIS3_Lb1EPKS5_PS5_PS6_SC_mNS0_19identity_decomposerENS1_16block_id_wrapperIjLb1EEEEE10hipError_tT1_PNSt15iterator_traitsISH_E10value_typeET2_T3_PNSI_ISN_E10value_typeET4_T5_PSS_ST_PNS1_23onesweep_lookback_stateEbbT6_jjT7_P12ihipStream_tbENKUlT_T0_SH_SM_E_clISA_SB_SC_SC_EEDaS10_S11_SH_SM_EUlS10_E_NS1_11comp_targetILNS1_3genE8ELNS1_11target_archE1030ELNS1_3gpuE2ELNS1_3repE0EEENS1_47radix_sort_onesweep_sort_config_static_selectorELNS0_4arch9wavefront6targetE0EEEvSH_.private_seg_size, 0
	.set _ZN7rocprim17ROCPRIM_400000_NS6detail17trampoline_kernelINS0_14default_configENS1_35radix_sort_onesweep_config_selectorI6__halfNS0_10empty_typeEEEZZNS1_29radix_sort_onesweep_iterationIS3_Lb1EPKS5_PS5_PS6_SC_mNS0_19identity_decomposerENS1_16block_id_wrapperIjLb1EEEEE10hipError_tT1_PNSt15iterator_traitsISH_E10value_typeET2_T3_PNSI_ISN_E10value_typeET4_T5_PSS_ST_PNS1_23onesweep_lookback_stateEbbT6_jjT7_P12ihipStream_tbENKUlT_T0_SH_SM_E_clISA_SB_SC_SC_EEDaS10_S11_SH_SM_EUlS10_E_NS1_11comp_targetILNS1_3genE8ELNS1_11target_archE1030ELNS1_3gpuE2ELNS1_3repE0EEENS1_47radix_sort_onesweep_sort_config_static_selectorELNS0_4arch9wavefront6targetE0EEEvSH_.uses_vcc, 0
	.set _ZN7rocprim17ROCPRIM_400000_NS6detail17trampoline_kernelINS0_14default_configENS1_35radix_sort_onesweep_config_selectorI6__halfNS0_10empty_typeEEEZZNS1_29radix_sort_onesweep_iterationIS3_Lb1EPKS5_PS5_PS6_SC_mNS0_19identity_decomposerENS1_16block_id_wrapperIjLb1EEEEE10hipError_tT1_PNSt15iterator_traitsISH_E10value_typeET2_T3_PNSI_ISN_E10value_typeET4_T5_PSS_ST_PNS1_23onesweep_lookback_stateEbbT6_jjT7_P12ihipStream_tbENKUlT_T0_SH_SM_E_clISA_SB_SC_SC_EEDaS10_S11_SH_SM_EUlS10_E_NS1_11comp_targetILNS1_3genE8ELNS1_11target_archE1030ELNS1_3gpuE2ELNS1_3repE0EEENS1_47radix_sort_onesweep_sort_config_static_selectorELNS0_4arch9wavefront6targetE0EEEvSH_.uses_flat_scratch, 0
	.set _ZN7rocprim17ROCPRIM_400000_NS6detail17trampoline_kernelINS0_14default_configENS1_35radix_sort_onesweep_config_selectorI6__halfNS0_10empty_typeEEEZZNS1_29radix_sort_onesweep_iterationIS3_Lb1EPKS5_PS5_PS6_SC_mNS0_19identity_decomposerENS1_16block_id_wrapperIjLb1EEEEE10hipError_tT1_PNSt15iterator_traitsISH_E10value_typeET2_T3_PNSI_ISN_E10value_typeET4_T5_PSS_ST_PNS1_23onesweep_lookback_stateEbbT6_jjT7_P12ihipStream_tbENKUlT_T0_SH_SM_E_clISA_SB_SC_SC_EEDaS10_S11_SH_SM_EUlS10_E_NS1_11comp_targetILNS1_3genE8ELNS1_11target_archE1030ELNS1_3gpuE2ELNS1_3repE0EEENS1_47radix_sort_onesweep_sort_config_static_selectorELNS0_4arch9wavefront6targetE0EEEvSH_.has_dyn_sized_stack, 0
	.set _ZN7rocprim17ROCPRIM_400000_NS6detail17trampoline_kernelINS0_14default_configENS1_35radix_sort_onesweep_config_selectorI6__halfNS0_10empty_typeEEEZZNS1_29radix_sort_onesweep_iterationIS3_Lb1EPKS5_PS5_PS6_SC_mNS0_19identity_decomposerENS1_16block_id_wrapperIjLb1EEEEE10hipError_tT1_PNSt15iterator_traitsISH_E10value_typeET2_T3_PNSI_ISN_E10value_typeET4_T5_PSS_ST_PNS1_23onesweep_lookback_stateEbbT6_jjT7_P12ihipStream_tbENKUlT_T0_SH_SM_E_clISA_SB_SC_SC_EEDaS10_S11_SH_SM_EUlS10_E_NS1_11comp_targetILNS1_3genE8ELNS1_11target_archE1030ELNS1_3gpuE2ELNS1_3repE0EEENS1_47radix_sort_onesweep_sort_config_static_selectorELNS0_4arch9wavefront6targetE0EEEvSH_.has_recursion, 0
	.set _ZN7rocprim17ROCPRIM_400000_NS6detail17trampoline_kernelINS0_14default_configENS1_35radix_sort_onesweep_config_selectorI6__halfNS0_10empty_typeEEEZZNS1_29radix_sort_onesweep_iterationIS3_Lb1EPKS5_PS5_PS6_SC_mNS0_19identity_decomposerENS1_16block_id_wrapperIjLb1EEEEE10hipError_tT1_PNSt15iterator_traitsISH_E10value_typeET2_T3_PNSI_ISN_E10value_typeET4_T5_PSS_ST_PNS1_23onesweep_lookback_stateEbbT6_jjT7_P12ihipStream_tbENKUlT_T0_SH_SM_E_clISA_SB_SC_SC_EEDaS10_S11_SH_SM_EUlS10_E_NS1_11comp_targetILNS1_3genE8ELNS1_11target_archE1030ELNS1_3gpuE2ELNS1_3repE0EEENS1_47radix_sort_onesweep_sort_config_static_selectorELNS0_4arch9wavefront6targetE0EEEvSH_.has_indirect_call, 0
	.section	.AMDGPU.csdata,"",@progbits
; Kernel info:
; codeLenInByte = 0
; TotalNumSgprs: 0
; NumVgprs: 0
; ScratchSize: 0
; MemoryBound: 0
; FloatMode: 240
; IeeeMode: 1
; LDSByteSize: 0 bytes/workgroup (compile time only)
; SGPRBlocks: 0
; VGPRBlocks: 0
; NumSGPRsForWavesPerEU: 1
; NumVGPRsForWavesPerEU: 1
; NamedBarCnt: 0
; Occupancy: 16
; WaveLimiterHint : 0
; COMPUTE_PGM_RSRC2:SCRATCH_EN: 0
; COMPUTE_PGM_RSRC2:USER_SGPR: 2
; COMPUTE_PGM_RSRC2:TRAP_HANDLER: 0
; COMPUTE_PGM_RSRC2:TGID_X_EN: 1
; COMPUTE_PGM_RSRC2:TGID_Y_EN: 0
; COMPUTE_PGM_RSRC2:TGID_Z_EN: 0
; COMPUTE_PGM_RSRC2:TIDIG_COMP_CNT: 0
	.section	.text._ZN7rocprim17ROCPRIM_400000_NS6detail17trampoline_kernelINS0_14default_configENS1_35radix_sort_onesweep_config_selectorI6__halfNS0_10empty_typeEEEZZNS1_29radix_sort_onesweep_iterationIS3_Lb1EPKS5_PS5_PS6_SC_mNS0_19identity_decomposerENS1_16block_id_wrapperIjLb1EEEEE10hipError_tT1_PNSt15iterator_traitsISH_E10value_typeET2_T3_PNSI_ISN_E10value_typeET4_T5_PSS_ST_PNS1_23onesweep_lookback_stateEbbT6_jjT7_P12ihipStream_tbENKUlT_T0_SH_SM_E_clISB_SB_SC_SC_EEDaS10_S11_SH_SM_EUlS10_E_NS1_11comp_targetILNS1_3genE0ELNS1_11target_archE4294967295ELNS1_3gpuE0ELNS1_3repE0EEENS1_47radix_sort_onesweep_sort_config_static_selectorELNS0_4arch9wavefront6targetE0EEEvSH_,"axG",@progbits,_ZN7rocprim17ROCPRIM_400000_NS6detail17trampoline_kernelINS0_14default_configENS1_35radix_sort_onesweep_config_selectorI6__halfNS0_10empty_typeEEEZZNS1_29radix_sort_onesweep_iterationIS3_Lb1EPKS5_PS5_PS6_SC_mNS0_19identity_decomposerENS1_16block_id_wrapperIjLb1EEEEE10hipError_tT1_PNSt15iterator_traitsISH_E10value_typeET2_T3_PNSI_ISN_E10value_typeET4_T5_PSS_ST_PNS1_23onesweep_lookback_stateEbbT6_jjT7_P12ihipStream_tbENKUlT_T0_SH_SM_E_clISB_SB_SC_SC_EEDaS10_S11_SH_SM_EUlS10_E_NS1_11comp_targetILNS1_3genE0ELNS1_11target_archE4294967295ELNS1_3gpuE0ELNS1_3repE0EEENS1_47radix_sort_onesweep_sort_config_static_selectorELNS0_4arch9wavefront6targetE0EEEvSH_,comdat
	.protected	_ZN7rocprim17ROCPRIM_400000_NS6detail17trampoline_kernelINS0_14default_configENS1_35radix_sort_onesweep_config_selectorI6__halfNS0_10empty_typeEEEZZNS1_29radix_sort_onesweep_iterationIS3_Lb1EPKS5_PS5_PS6_SC_mNS0_19identity_decomposerENS1_16block_id_wrapperIjLb1EEEEE10hipError_tT1_PNSt15iterator_traitsISH_E10value_typeET2_T3_PNSI_ISN_E10value_typeET4_T5_PSS_ST_PNS1_23onesweep_lookback_stateEbbT6_jjT7_P12ihipStream_tbENKUlT_T0_SH_SM_E_clISB_SB_SC_SC_EEDaS10_S11_SH_SM_EUlS10_E_NS1_11comp_targetILNS1_3genE0ELNS1_11target_archE4294967295ELNS1_3gpuE0ELNS1_3repE0EEENS1_47radix_sort_onesweep_sort_config_static_selectorELNS0_4arch9wavefront6targetE0EEEvSH_ ; -- Begin function _ZN7rocprim17ROCPRIM_400000_NS6detail17trampoline_kernelINS0_14default_configENS1_35radix_sort_onesweep_config_selectorI6__halfNS0_10empty_typeEEEZZNS1_29radix_sort_onesweep_iterationIS3_Lb1EPKS5_PS5_PS6_SC_mNS0_19identity_decomposerENS1_16block_id_wrapperIjLb1EEEEE10hipError_tT1_PNSt15iterator_traitsISH_E10value_typeET2_T3_PNSI_ISN_E10value_typeET4_T5_PSS_ST_PNS1_23onesweep_lookback_stateEbbT6_jjT7_P12ihipStream_tbENKUlT_T0_SH_SM_E_clISB_SB_SC_SC_EEDaS10_S11_SH_SM_EUlS10_E_NS1_11comp_targetILNS1_3genE0ELNS1_11target_archE4294967295ELNS1_3gpuE0ELNS1_3repE0EEENS1_47radix_sort_onesweep_sort_config_static_selectorELNS0_4arch9wavefront6targetE0EEEvSH_
	.globl	_ZN7rocprim17ROCPRIM_400000_NS6detail17trampoline_kernelINS0_14default_configENS1_35radix_sort_onesweep_config_selectorI6__halfNS0_10empty_typeEEEZZNS1_29radix_sort_onesweep_iterationIS3_Lb1EPKS5_PS5_PS6_SC_mNS0_19identity_decomposerENS1_16block_id_wrapperIjLb1EEEEE10hipError_tT1_PNSt15iterator_traitsISH_E10value_typeET2_T3_PNSI_ISN_E10value_typeET4_T5_PSS_ST_PNS1_23onesweep_lookback_stateEbbT6_jjT7_P12ihipStream_tbENKUlT_T0_SH_SM_E_clISB_SB_SC_SC_EEDaS10_S11_SH_SM_EUlS10_E_NS1_11comp_targetILNS1_3genE0ELNS1_11target_archE4294967295ELNS1_3gpuE0ELNS1_3repE0EEENS1_47radix_sort_onesweep_sort_config_static_selectorELNS0_4arch9wavefront6targetE0EEEvSH_
	.p2align	8
	.type	_ZN7rocprim17ROCPRIM_400000_NS6detail17trampoline_kernelINS0_14default_configENS1_35radix_sort_onesweep_config_selectorI6__halfNS0_10empty_typeEEEZZNS1_29radix_sort_onesweep_iterationIS3_Lb1EPKS5_PS5_PS6_SC_mNS0_19identity_decomposerENS1_16block_id_wrapperIjLb1EEEEE10hipError_tT1_PNSt15iterator_traitsISH_E10value_typeET2_T3_PNSI_ISN_E10value_typeET4_T5_PSS_ST_PNS1_23onesweep_lookback_stateEbbT6_jjT7_P12ihipStream_tbENKUlT_T0_SH_SM_E_clISB_SB_SC_SC_EEDaS10_S11_SH_SM_EUlS10_E_NS1_11comp_targetILNS1_3genE0ELNS1_11target_archE4294967295ELNS1_3gpuE0ELNS1_3repE0EEENS1_47radix_sort_onesweep_sort_config_static_selectorELNS0_4arch9wavefront6targetE0EEEvSH_,@function
_ZN7rocprim17ROCPRIM_400000_NS6detail17trampoline_kernelINS0_14default_configENS1_35radix_sort_onesweep_config_selectorI6__halfNS0_10empty_typeEEEZZNS1_29radix_sort_onesweep_iterationIS3_Lb1EPKS5_PS5_PS6_SC_mNS0_19identity_decomposerENS1_16block_id_wrapperIjLb1EEEEE10hipError_tT1_PNSt15iterator_traitsISH_E10value_typeET2_T3_PNSI_ISN_E10value_typeET4_T5_PSS_ST_PNS1_23onesweep_lookback_stateEbbT6_jjT7_P12ihipStream_tbENKUlT_T0_SH_SM_E_clISB_SB_SC_SC_EEDaS10_S11_SH_SM_EUlS10_E_NS1_11comp_targetILNS1_3genE0ELNS1_11target_archE4294967295ELNS1_3gpuE0ELNS1_3repE0EEENS1_47radix_sort_onesweep_sort_config_static_selectorELNS0_4arch9wavefront6targetE0EEEvSH_: ; @_ZN7rocprim17ROCPRIM_400000_NS6detail17trampoline_kernelINS0_14default_configENS1_35radix_sort_onesweep_config_selectorI6__halfNS0_10empty_typeEEEZZNS1_29radix_sort_onesweep_iterationIS3_Lb1EPKS5_PS5_PS6_SC_mNS0_19identity_decomposerENS1_16block_id_wrapperIjLb1EEEEE10hipError_tT1_PNSt15iterator_traitsISH_E10value_typeET2_T3_PNSI_ISN_E10value_typeET4_T5_PSS_ST_PNS1_23onesweep_lookback_stateEbbT6_jjT7_P12ihipStream_tbENKUlT_T0_SH_SM_E_clISB_SB_SC_SC_EEDaS10_S11_SH_SM_EUlS10_E_NS1_11comp_targetILNS1_3genE0ELNS1_11target_archE4294967295ELNS1_3gpuE0ELNS1_3repE0EEENS1_47radix_sort_onesweep_sort_config_static_selectorELNS0_4arch9wavefront6targetE0EEEvSH_
; %bb.0:
	s_clause 0x1
	s_load_b128 s[12:15], s[0:1], 0x28
	s_load_b64 s[10:11], s[0:1], 0x38
	v_and_b32_e32 v14, 0x3ff, v0
	s_delay_alu instid0(VALU_DEP_1)
	v_cmp_eq_u32_e64 s2, 0, v14
	s_and_saveexec_b32 s3, s2
	s_cbranch_execz .LBB2172_4
; %bb.1:
	s_mov_b32 s5, exec_lo
	s_mov_b32 s4, exec_lo
	v_mbcnt_lo_u32_b32 v1, s5, 0
                                        ; implicit-def: $vgpr2
	s_delay_alu instid0(VALU_DEP_1)
	v_cmpx_eq_u32_e32 0, v1
	s_cbranch_execz .LBB2172_3
; %bb.2:
	s_load_b64 s[6:7], s[0:1], 0x50
	s_bcnt1_i32_b32 s5, s5
	s_delay_alu instid0(SALU_CYCLE_1)
	v_dual_mov_b32 v2, 0 :: v_dual_mov_b32 v3, s5
	s_wait_xcnt 0x0
	s_wait_kmcnt 0x0
	global_atomic_add_u32 v2, v2, v3, s[6:7] th:TH_ATOMIC_RETURN scope:SCOPE_DEV
.LBB2172_3:
	s_wait_xcnt 0x0
	s_or_b32 exec_lo, exec_lo, s4
	s_wait_loadcnt 0x0
	v_readfirstlane_b32 s4, v2
	s_delay_alu instid0(VALU_DEP_1)
	v_dual_mov_b32 v2, 0 :: v_dual_add_nc_u32 v1, s4, v1
	ds_store_b32 v2, v1 offset:18496
.LBB2172_4:
	s_or_b32 exec_lo, exec_lo, s3
	v_mov_b32_e32 v3, 0
	s_clause 0x2
	s_load_b128 s[16:19], s[0:1], 0x0
	s_load_b32 s3, s[0:1], 0x20
	s_load_b96 s[20:22], s[0:1], 0x44
	s_wait_dscnt 0x0
	s_barrier_signal -1
	s_barrier_wait -1
	ds_load_b32 v1, v3 offset:18496
	v_mbcnt_lo_u32_b32 v15, -1, 0
	v_and_b32_e32 v16, 0x3e0, v14
	s_mov_b32 s4, -1
	s_add_nc_u64 s[26:27], s[0:1], 0x58
	s_getreg_b32 s28, hwreg(HW_REG_IB_STS2, 6, 4)
	s_wait_dscnt 0x0
	s_barrier_signal -1
	s_barrier_wait -1
	s_wait_kmcnt 0x0
	v_cmp_le_u32_e32 vcc_lo, s22, v1
	v_readfirstlane_b32 s23, v1
	s_mul_i32 s24, s23, 0x1800
	s_cbranch_vccz .LBB2172_100
; %bb.5:
	s_mov_b32 s25, 0
	v_mul_u32_u24_e32 v1, 12, v16
	v_lshlrev_b32_e32 v2, 1, v15
	s_lshl_b64 s[4:5], s[24:25], 1
	s_mulk_i32 s22, 0xe800
	s_add_nc_u64 s[4:5], s[16:17], s[4:5]
	v_or_b32_e32 v10, v15, v1
	v_add_nc_u64_e32 v[4:5], s[4:5], v[2:3]
	v_dual_mov_b32 v11, -1 :: v_dual_lshlrev_b32 v2, 1, v1
	v_mov_b32_e32 v1, -1
	s_add_co_i32 s22, s22, s3
	s_mov_b32 s3, exec_lo
	s_delay_alu instid0(VALU_DEP_2)
	v_add_nc_u64_e32 v[2:3], v[4:5], v[2:3]
	v_cmpx_gt_u32_e64 s22, v10
	s_cbranch_execz .LBB2172_7
; %bb.6:
	global_load_u16 v1, v[2:3], off
.LBB2172_7:
	s_wait_xcnt 0x0
	s_or_b32 exec_lo, exec_lo, s3
	v_or_b32_e32 v4, 32, v10
	s_mov_b32 s3, exec_lo
	s_delay_alu instid0(VALU_DEP_1)
	v_cmpx_gt_u32_e64 s22, v4
	s_cbranch_execz .LBB2172_9
; %bb.8:
	global_load_u16 v11, v[2:3], off offset:64
.LBB2172_9:
	s_wait_xcnt 0x0
	s_or_b32 exec_lo, exec_lo, s3
	v_dual_mov_b32 v21, -1 :: v_dual_bitop2_b32 v4, 64, v10 bitop3:0x54
	v_mov_b32_e32 v17, -1
	s_mov_b32 s3, exec_lo
	s_delay_alu instid0(VALU_DEP_2)
	v_cmpx_gt_u32_e64 s22, v4
	s_cbranch_execz .LBB2172_11
; %bb.10:
	global_load_u16 v17, v[2:3], off offset:128
.LBB2172_11:
	s_wait_xcnt 0x0
	s_or_b32 exec_lo, exec_lo, s3
	v_or_b32_e32 v4, 0x60, v10
	s_mov_b32 s3, exec_lo
	s_delay_alu instid0(VALU_DEP_1)
	v_cmpx_gt_u32_e64 s22, v4
	s_cbranch_execz .LBB2172_13
; %bb.12:
	global_load_u16 v21, v[2:3], off offset:192
.LBB2172_13:
	s_wait_xcnt 0x0
	s_or_b32 exec_lo, exec_lo, s3
	v_dual_mov_b32 v25, -1 :: v_dual_add_nc_u32 v4, 0x80, v10
	v_mov_b32_e32 v30, -1
	s_mov_b32 s3, exec_lo
	s_delay_alu instid0(VALU_DEP_2)
	v_cmpx_gt_u32_e64 s22, v4
	s_cbranch_execz .LBB2172_15
; %bb.14:
	global_load_u16 v25, v[2:3], off offset:256
.LBB2172_15:
	s_wait_xcnt 0x0
	s_or_b32 exec_lo, exec_lo, s3
	v_add_nc_u32_e32 v4, 0xa0, v10
	s_mov_b32 s3, exec_lo
	s_delay_alu instid0(VALU_DEP_1)
	v_cmpx_gt_u32_e64 s22, v4
	s_cbranch_execz .LBB2172_17
; %bb.16:
	global_load_u16 v30, v[2:3], off offset:320
.LBB2172_17:
	s_wait_xcnt 0x0
	s_or_b32 exec_lo, exec_lo, s3
	v_dual_mov_b32 v9, -1 :: v_dual_add_nc_u32 v4, 0xc0, v10
	v_mov_b32_e32 v8, -1
	s_mov_b32 s3, exec_lo
	s_delay_alu instid0(VALU_DEP_2)
	v_cmpx_gt_u32_e64 s22, v4
	s_cbranch_execz .LBB2172_19
; %bb.18:
	global_load_u16 v9, v[2:3], off offset:384
.LBB2172_19:
	s_wait_xcnt 0x0
	s_or_b32 exec_lo, exec_lo, s3
	v_add_nc_u32_e32 v4, 0xe0, v10
	s_mov_b32 s3, exec_lo
	s_delay_alu instid0(VALU_DEP_1)
	v_cmpx_gt_u32_e64 s22, v4
	s_cbranch_execz .LBB2172_21
; %bb.20:
	global_load_u16 v8, v[2:3], off offset:448
.LBB2172_21:
	s_wait_xcnt 0x0
	s_or_b32 exec_lo, exec_lo, s3
	v_dual_mov_b32 v7, -1 :: v_dual_add_nc_u32 v4, 0x100, v10
	v_mov_b32_e32 v6, -1
	s_mov_b32 s3, exec_lo
	s_delay_alu instid0(VALU_DEP_2)
	v_cmpx_gt_u32_e64 s22, v4
	s_cbranch_execz .LBB2172_23
; %bb.22:
	global_load_u16 v7, v[2:3], off offset:512
.LBB2172_23:
	s_wait_xcnt 0x0
	s_or_b32 exec_lo, exec_lo, s3
	v_add_nc_u32_e32 v4, 0x120, v10
	s_mov_b32 s3, exec_lo
	s_delay_alu instid0(VALU_DEP_1)
	v_cmpx_gt_u32_e64 s22, v4
	s_cbranch_execz .LBB2172_25
; %bb.24:
	global_load_u16 v6, v[2:3], off offset:576
.LBB2172_25:
	s_wait_xcnt 0x0
	s_or_b32 exec_lo, exec_lo, s3
	v_dual_mov_b32 v4, -1 :: v_dual_add_nc_u32 v5, 0x140, v10
	s_delay_alu instid0(VALU_DEP_1)
	v_cmp_gt_u32_e32 vcc_lo, s22, v5
	v_mov_b32_e32 v5, -1
	s_and_saveexec_b32 s3, vcc_lo
	s_cbranch_execz .LBB2172_27
; %bb.26:
	global_load_u16 v5, v[2:3], off offset:640
.LBB2172_27:
	s_wait_xcnt 0x0
	s_or_b32 exec_lo, exec_lo, s3
	v_add_nc_u32_e32 v10, 0x160, v10
	s_mov_b32 s3, exec_lo
	s_delay_alu instid0(VALU_DEP_1)
	v_cmpx_gt_u32_e64 s22, v10
	s_cbranch_execz .LBB2172_29
; %bb.28:
	global_load_u16 v4, v[2:3], off offset:704
.LBB2172_29:
	s_wait_xcnt 0x0
	s_or_b32 exec_lo, exec_lo, s3
	s_wait_loadcnt 0x0
	v_cmp_gt_i16_e32 vcc_lo, 0, v1
	s_clause 0x1
	s_load_b32 s25, s[0:1], 0x58
	s_load_u16 s3, s[0:1], 0x66
	s_bfe_u32 s4, ttmp6, 0x4000c
	s_and_b32 s5, ttmp6, 15
	s_add_co_i32 s4, s4, 1
	v_cndmask_b32_e64 v2, 0x7fff, 0, vcc_lo
	s_mul_i32 s4, ttmp9, s4
	v_bfe_u32 v3, v0, 10, 10
	s_add_co_i32 s5, s5, s4
	s_cmp_eq_u32 s28, 0
	v_xor_b32_e32 v1, v2, v1
	s_cselect_b32 s4, ttmp9, s5
	v_bfe_u32 v10, v0, 20, 10
	s_mov_b32 s5, 0
	s_delay_alu instid0(VALU_DEP_2)
	v_cmp_ne_u16_e32 vcc_lo, 0x8000, v1
	s_wait_kmcnt 0x0
	s_cmp_lt_u32 s4, s25
	v_cndmask_b32_e32 v2, 0x7fff, v1, vcc_lo
	s_cselect_b32 s4, 12, 18
	s_lshl_b32 s6, -1, s21
	v_mad_u32_u24 v3, v10, s3, v3
	s_add_nc_u64 s[4:5], s[26:27], s[4:5]
	v_and_b32_e32 v2, 0xffff, v2
	s_load_u16 s7, s[4:5], 0x0
	s_not_b32 s29, s6
	s_delay_alu instid0(VALU_DEP_1) | instskip(NEXT) | instid1(VALU_DEP_1)
	v_lshrrev_b32_e32 v2, s20, v2
	v_bitop3_b32 v10, v2, 1, s6 bitop3:0x40
	v_bitop3_b32 v13, v2, s6, v2 bitop3:0x30
	s_delay_alu instid0(VALU_DEP_2) | instskip(NEXT) | instid1(VALU_DEP_1)
	v_add_co_u32 v2, s3, v10, -1
	v_cndmask_b32_e64 v10, 0, 1, s3
	s_delay_alu instid0(VALU_DEP_3) | instskip(SKIP_1) | instid1(VALU_DEP_3)
	v_dual_lshlrev_b32 v12, 30, v13 :: v_dual_lshlrev_b32 v18, 29, v13
	v_dual_lshlrev_b32 v19, 28, v13 :: v_dual_lshlrev_b32 v20, 27, v13
	v_cmp_ne_u32_e32 vcc_lo, 0, v10
	s_delay_alu instid0(VALU_DEP_3)
	v_not_b32_e32 v10, v12
	v_cmp_gt_i32_e64 s3, 0, v12
	s_wait_xcnt 0x0
	v_cmp_gt_i32_e64 s4, 0, v18
	v_not_b32_e32 v12, v18
	v_not_b32_e32 v18, v19
	v_ashrrev_i32_e32 v10, 31, v10
	v_cmp_gt_i32_e64 s5, 0, v19
	v_dual_lshlrev_b32 v19, 26, v13 :: v_dual_bitop2_b32 v2, vcc_lo, v2 bitop3:0x14
	s_delay_alu instid0(VALU_DEP_4) | instskip(NEXT) | instid1(VALU_DEP_4)
	v_dual_ashrrev_i32 v12, 31, v12 :: v_dual_ashrrev_i32 v18, 31, v18
	v_xor_b32_e32 v10, s3, v10
	v_not_b32_e32 v22, v20
	v_cmp_gt_i32_e32 vcc_lo, 0, v20
	s_delay_alu instid0(VALU_DEP_4)
	v_xor_b32_e32 v12, s4, v12
	v_xor_b32_e32 v18, s5, v18
	v_cmp_gt_i32_e64 s3, 0, v19
	v_dual_ashrrev_i32 v20, 31, v22 :: v_dual_lshlrev_b32 v22, 25, v13
	v_bitop3_b32 v2, v2, v10, exec_lo bitop3:0x80
	v_not_b32_e32 v10, v19
	v_lshlrev_b32_e32 v19, 24, v13
	s_delay_alu instid0(VALU_DEP_3) | instskip(NEXT) | instid1(VALU_DEP_3)
	v_bitop3_b32 v2, v2, v18, v12 bitop3:0x80
	v_dual_ashrrev_i32 v10, 31, v10 :: v_dual_bitop2_b32 v18, vcc_lo, v20 bitop3:0x14
	v_not_b32_e32 v12, v22
	s_delay_alu instid0(VALU_DEP_4) | instskip(SKIP_1) | instid1(VALU_DEP_4)
	v_not_b32_e32 v20, v19
	v_cmp_gt_i32_e32 vcc_lo, 0, v22
	v_xor_b32_e32 v10, s3, v10
	v_cmp_gt_i32_e64 s3, 0, v19
	v_ashrrev_i32_e32 v22, 31, v12
	v_ashrrev_i32_e32 v19, 31, v20
	s_wait_kmcnt 0x0
	v_mad_u32 v20, v3, s7, v14
	v_bitop3_b32 v2, v2, v10, v18 bitop3:0x80
	v_mul_u32_u24_e32 v12, 36, v14
	v_xor_b32_e32 v3, vcc_lo, v22
	v_dual_mov_b32 v18, 0 :: v_dual_bitop2_b32 v10, s3, v19 bitop3:0x14
	ds_store_2addr_b32 v12, v18, v18 offset0:16 offset1:17
	ds_store_2addr_b32 v12, v18, v18 offset0:18 offset1:19
	;; [unrolled: 1-line block ×4, first 2 shown]
	v_bitop3_b32 v3, v2, v10, v3 bitop3:0x80
	v_lshrrev_b32_e32 v2, 5, v20
	ds_store_b32 v12, v18 offset:96
	s_wait_dscnt 0x0
	s_barrier_signal -1
	v_mbcnt_lo_u32_b32 v10, v3, 0
	v_lshlrev_b32_e32 v2, 2, v2
	v_cmp_ne_u32_e64 s3, 0, v3
	s_barrier_wait -1
	s_delay_alu instid0(VALU_DEP_3) | instskip(NEXT) | instid1(VALU_DEP_3)
	v_cmp_eq_u32_e32 vcc_lo, 0, v10
	v_mad_u32_u24 v13, 0x44, v13, v2
	; wave barrier
	s_and_b32 s4, s3, vcc_lo
	s_delay_alu instid0(SALU_CYCLE_1)
	s_and_saveexec_b32 s3, s4
; %bb.30:
	v_bcnt_u32_b32 v3, v3, 0
	ds_store_b32 v13, v3 offset:64
; %bb.31:
	s_or_b32 exec_lo, exec_lo, s3
	v_cmp_gt_i16_e32 vcc_lo, 0, v11
	; wave barrier
	v_cndmask_b32_e64 v3, 0x7fff, 0, vcc_lo
	s_delay_alu instid0(VALU_DEP_1) | instskip(NEXT) | instid1(VALU_DEP_1)
	v_xor_b32_e32 v11, v3, v11
	v_cmp_ne_u16_e32 vcc_lo, 0x8000, v11
	v_cndmask_b32_e32 v3, 0x7fff, v11, vcc_lo
	s_delay_alu instid0(VALU_DEP_1) | instskip(NEXT) | instid1(VALU_DEP_1)
	v_and_b32_e32 v3, 0xffff, v3
	v_lshrrev_b32_e32 v3, s20, v3
	s_delay_alu instid0(VALU_DEP_1) | instskip(NEXT) | instid1(VALU_DEP_1)
	v_bitop3_b32 v18, v3, 1, s29 bitop3:0x80
	v_add_co_u32 v18, s3, v18, -1
	s_delay_alu instid0(VALU_DEP_1) | instskip(NEXT) | instid1(VALU_DEP_1)
	v_cndmask_b32_e64 v19, 0, 1, s3
	v_cmp_ne_u32_e32 vcc_lo, 0, v19
	s_delay_alu instid0(VALU_DEP_3) | instskip(SKIP_1) | instid1(VALU_DEP_1)
	v_xor_b32_e32 v18, vcc_lo, v18
	v_and_b32_e32 v3, s29, v3
	v_dual_lshlrev_b32 v20, 30, v3 :: v_dual_lshlrev_b32 v22, 29, v3
	v_dual_lshlrev_b32 v23, 28, v3 :: v_dual_lshlrev_b32 v24, 27, v3
	v_lshlrev_b32_e32 v26, 26, v3
	s_delay_alu instid0(VALU_DEP_3)
	v_cmp_gt_i32_e64 s3, 0, v20
	v_not_b32_e32 v19, v20
	v_cmp_gt_i32_e64 s4, 0, v22
	v_not_b32_e32 v20, v22
	v_not_b32_e32 v22, v23
	v_cmp_gt_i32_e64 s5, 0, v23
	v_cmp_gt_i32_e64 s6, 0, v24
	v_not_b32_e32 v23, v24
	v_not_b32_e32 v24, v26
	v_dual_ashrrev_i32 v22, 31, v22 :: v_dual_ashrrev_i32 v19, 31, v19
	v_ashrrev_i32_e32 v20, 31, v20
	s_delay_alu instid0(VALU_DEP_3) | instskip(NEXT) | instid1(VALU_DEP_2)
	v_dual_ashrrev_i32 v24, 31, v24 :: v_dual_lshlrev_b32 v27, 25, v3
	v_dual_lshlrev_b32 v28, 24, v3 :: v_dual_bitop2_b32 v20, s4, v20 bitop3:0x14
	s_delay_alu instid0(VALU_DEP_4)
	v_xor_b32_e32 v22, s5, v22
	v_xor_b32_e32 v19, s3, v19
	v_cmp_gt_i32_e64 s7, 0, v26
	v_cmp_gt_i32_e64 s8, 0, v27
	v_not_b32_e32 v26, v27
	v_not_b32_e32 v27, v28
	v_ashrrev_i32_e32 v23, 31, v23
	v_bitop3_b32 v18, v18, v19, exec_lo bitop3:0x80
	v_cmp_gt_i32_e64 s9, 0, v28
	s_delay_alu instid0(VALU_DEP_4)
	v_dual_ashrrev_i32 v19, 31, v26 :: v_dual_ashrrev_i32 v26, 31, v27
	v_xor_b32_e32 v24, s7, v24
	v_xor_b32_e32 v23, s6, v23
	v_bitop3_b32 v18, v18, v22, v20 bitop3:0x80
	v_mad_u32_u24 v20, 0x44, v3, v2
	v_xor_b32_e32 v3, s8, v19
	v_xor_b32_e32 v19, s9, v26
	s_delay_alu instid0(VALU_DEP_4) | instskip(SKIP_2) | instid1(VALU_DEP_1)
	v_bitop3_b32 v22, v18, v24, v23 bitop3:0x80
	ds_load_b32 v18, v20 offset:64
	; wave barrier
	v_bitop3_b32 v3, v22, v19, v3 bitop3:0x80
	v_mbcnt_lo_u32_b32 v19, v3, 0
	v_cmp_ne_u32_e64 s3, 0, v3
	s_delay_alu instid0(VALU_DEP_2) | instskip(SKIP_1) | instid1(SALU_CYCLE_1)
	v_cmp_eq_u32_e32 vcc_lo, 0, v19
	s_and_b32 s4, s3, vcc_lo
	s_and_saveexec_b32 s3, s4
	s_cbranch_execz .LBB2172_33
; %bb.32:
	s_wait_dscnt 0x0
	v_bcnt_u32_b32 v3, v3, v18
	ds_store_b32 v20, v3 offset:64
.LBB2172_33:
	s_or_b32 exec_lo, exec_lo, s3
	v_cmp_gt_i16_e32 vcc_lo, 0, v17
	; wave barrier
	v_cndmask_b32_e64 v3, 0x7fff, 0, vcc_lo
	s_delay_alu instid0(VALU_DEP_1) | instskip(NEXT) | instid1(VALU_DEP_1)
	v_xor_b32_e32 v17, v3, v17
	v_cmp_ne_u16_e32 vcc_lo, 0x8000, v17
	v_cndmask_b32_e32 v3, 0x7fff, v17, vcc_lo
	s_delay_alu instid0(VALU_DEP_1) | instskip(NEXT) | instid1(VALU_DEP_1)
	v_and_b32_e32 v3, 0xffff, v3
	v_lshrrev_b32_e32 v3, s20, v3
	s_delay_alu instid0(VALU_DEP_1) | instskip(SKIP_1) | instid1(VALU_DEP_2)
	v_bitop3_b32 v22, v3, 1, s29 bitop3:0x80
	v_and_b32_e32 v3, s29, v3
	v_add_co_u32 v22, s3, v22, -1
	s_delay_alu instid0(VALU_DEP_1) | instskip(NEXT) | instid1(VALU_DEP_3)
	v_cndmask_b32_e64 v23, 0, 1, s3
	v_dual_lshlrev_b32 v24, 30, v3 :: v_dual_lshlrev_b32 v26, 29, v3
	v_lshlrev_b32_e32 v27, 28, v3
	s_delay_alu instid0(VALU_DEP_3) | instskip(NEXT) | instid1(VALU_DEP_3)
	v_cmp_ne_u32_e32 vcc_lo, 0, v23
	v_cmp_gt_i32_e64 s3, 0, v24
	v_not_b32_e32 v23, v24
	v_cmp_gt_i32_e64 s4, 0, v26
	v_not_b32_e32 v24, v26
	v_not_b32_e32 v26, v27
	s_delay_alu instid0(VALU_DEP_2) | instskip(NEXT) | instid1(VALU_DEP_2)
	v_dual_ashrrev_i32 v24, 31, v24 :: v_dual_bitop2_b32 v22, vcc_lo, v22 bitop3:0x14
	v_dual_ashrrev_i32 v26, 31, v26 :: v_dual_lshlrev_b32 v28, 27, v3
	v_dual_lshlrev_b32 v29, 26, v3 :: v_dual_lshlrev_b32 v31, 25, v3
	v_cmp_gt_i32_e64 s5, 0, v27
	v_lshlrev_b32_e32 v32, 24, v3
	s_delay_alu instid0(VALU_DEP_4)
	v_cmp_gt_i32_e64 s6, 0, v28
	v_not_b32_e32 v27, v28
	v_not_b32_e32 v28, v29
	v_ashrrev_i32_e32 v23, 31, v23
	v_cmp_gt_i32_e64 s7, 0, v29
	v_cmp_gt_i32_e64 s8, 0, v31
	v_not_b32_e32 v29, v31
	s_delay_alu instid0(VALU_DEP_4) | instskip(SKIP_3) | instid1(VALU_DEP_4)
	v_dual_ashrrev_i32 v28, 31, v28 :: v_dual_bitop2_b32 v23, s3, v23 bitop3:0x14
	v_not_b32_e32 v31, v32
	v_dual_ashrrev_i32 v27, 31, v27 :: v_dual_bitop2_b32 v24, s4, v24 bitop3:0x14
	v_xor_b32_e32 v26, s5, v26
	v_bitop3_b32 v22, v22, v23, exec_lo bitop3:0x80
	v_cmp_gt_i32_e64 s9, 0, v32
	v_dual_ashrrev_i32 v23, 31, v29 :: v_dual_ashrrev_i32 v29, 31, v31
	v_xor_b32_e32 v28, s7, v28
	v_xor_b32_e32 v27, s6, v27
	v_bitop3_b32 v22, v22, v26, v24 bitop3:0x80
	v_mad_u32_u24 v24, 0x44, v3, v2
	v_xor_b32_e32 v3, s8, v23
	v_xor_b32_e32 v23, s9, v29
	s_delay_alu instid0(VALU_DEP_4) | instskip(SKIP_2) | instid1(VALU_DEP_1)
	v_bitop3_b32 v26, v22, v28, v27 bitop3:0x80
	ds_load_b32 v22, v24 offset:64
	; wave barrier
	v_bitop3_b32 v3, v26, v23, v3 bitop3:0x80
	v_mbcnt_lo_u32_b32 v23, v3, 0
	v_cmp_ne_u32_e64 s3, 0, v3
	s_delay_alu instid0(VALU_DEP_2) | instskip(SKIP_1) | instid1(SALU_CYCLE_1)
	v_cmp_eq_u32_e32 vcc_lo, 0, v23
	s_and_b32 s4, s3, vcc_lo
	s_and_saveexec_b32 s3, s4
	s_cbranch_execz .LBB2172_35
; %bb.34:
	s_wait_dscnt 0x0
	v_bcnt_u32_b32 v3, v3, v22
	ds_store_b32 v24, v3 offset:64
.LBB2172_35:
	s_or_b32 exec_lo, exec_lo, s3
	v_cmp_gt_i16_e32 vcc_lo, 0, v21
	; wave barrier
	v_cndmask_b32_e64 v3, 0x7fff, 0, vcc_lo
	s_delay_alu instid0(VALU_DEP_1) | instskip(NEXT) | instid1(VALU_DEP_1)
	v_xor_b32_e32 v21, v3, v21
	v_cmp_ne_u16_e32 vcc_lo, 0x8000, v21
	v_cndmask_b32_e32 v3, 0x7fff, v21, vcc_lo
	s_delay_alu instid0(VALU_DEP_1) | instskip(NEXT) | instid1(VALU_DEP_1)
	v_and_b32_e32 v3, 0xffff, v3
	v_lshrrev_b32_e32 v3, s20, v3
	s_delay_alu instid0(VALU_DEP_1) | instskip(SKIP_1) | instid1(VALU_DEP_2)
	v_bitop3_b32 v26, v3, 1, s29 bitop3:0x80
	v_and_b32_e32 v3, s29, v3
	v_add_co_u32 v26, s3, v26, -1
	s_delay_alu instid0(VALU_DEP_1) | instskip(NEXT) | instid1(VALU_DEP_3)
	v_cndmask_b32_e64 v27, 0, 1, s3
	v_dual_lshlrev_b32 v28, 30, v3 :: v_dual_lshlrev_b32 v29, 29, v3
	v_lshlrev_b32_e32 v31, 28, v3
	s_delay_alu instid0(VALU_DEP_3) | instskip(NEXT) | instid1(VALU_DEP_3)
	v_cmp_ne_u32_e32 vcc_lo, 0, v27
	v_cmp_gt_i32_e64 s3, 0, v28
	v_not_b32_e32 v27, v28
	v_cmp_gt_i32_e64 s4, 0, v29
	v_not_b32_e32 v28, v29
	v_not_b32_e32 v29, v31
	s_delay_alu instid0(VALU_DEP_2) | instskip(NEXT) | instid1(VALU_DEP_2)
	v_dual_ashrrev_i32 v28, 31, v28 :: v_dual_bitop2_b32 v26, vcc_lo, v26 bitop3:0x14
	v_dual_ashrrev_i32 v29, 31, v29 :: v_dual_lshlrev_b32 v32, 27, v3
	v_dual_lshlrev_b32 v33, 26, v3 :: v_dual_lshlrev_b32 v34, 25, v3
	v_lshlrev_b32_e32 v35, 24, v3
	v_cmp_gt_i32_e64 s5, 0, v31
	s_delay_alu instid0(VALU_DEP_4)
	v_cmp_gt_i32_e64 s6, 0, v32
	v_not_b32_e32 v31, v32
	v_not_b32_e32 v32, v33
	v_ashrrev_i32_e32 v27, 31, v27
	v_cmp_gt_i32_e64 s7, 0, v33
	v_cmp_gt_i32_e64 s8, 0, v34
	v_not_b32_e32 v33, v34
	v_not_b32_e32 v34, v35
	v_dual_ashrrev_i32 v32, 31, v32 :: v_dual_bitop2_b32 v27, s3, v27 bitop3:0x14
	v_dual_ashrrev_i32 v31, 31, v31 :: v_dual_bitop2_b32 v28, s4, v28 bitop3:0x14
	v_xor_b32_e32 v29, s5, v29
	v_cmp_gt_i32_e64 s9, 0, v35
	s_delay_alu instid0(VALU_DEP_4) | instskip(NEXT) | instid1(VALU_DEP_4)
	v_bitop3_b32 v26, v26, v27, exec_lo bitop3:0x80
	v_dual_ashrrev_i32 v27, 31, v33 :: v_dual_bitop2_b32 v31, s6, v31 bitop3:0x14
	v_dual_ashrrev_i32 v33, 31, v34 :: v_dual_bitop2_b32 v32, s7, v32 bitop3:0x14
	s_delay_alu instid0(VALU_DEP_3) | instskip(SKIP_1) | instid1(VALU_DEP_4)
	v_bitop3_b32 v26, v26, v29, v28 bitop3:0x80
	v_mad_u32_u24 v28, 0x44, v3, v2
	v_xor_b32_e32 v3, s8, v27
	s_delay_alu instid0(VALU_DEP_4) | instskip(NEXT) | instid1(VALU_DEP_4)
	v_xor_b32_e32 v27, s9, v33
	v_bitop3_b32 v29, v26, v32, v31 bitop3:0x80
	ds_load_b32 v26, v28 offset:64
	; wave barrier
	v_bitop3_b32 v3, v29, v27, v3 bitop3:0x80
	s_delay_alu instid0(VALU_DEP_1) | instskip(SKIP_1) | instid1(VALU_DEP_2)
	v_mbcnt_lo_u32_b32 v27, v3, 0
	v_cmp_ne_u32_e64 s3, 0, v3
	v_cmp_eq_u32_e32 vcc_lo, 0, v27
	s_and_b32 s4, s3, vcc_lo
	s_delay_alu instid0(SALU_CYCLE_1)
	s_and_saveexec_b32 s3, s4
	s_cbranch_execz .LBB2172_37
; %bb.36:
	s_wait_dscnt 0x0
	v_bcnt_u32_b32 v3, v3, v26
	ds_store_b32 v28, v3 offset:64
.LBB2172_37:
	s_or_b32 exec_lo, exec_lo, s3
	v_cmp_gt_i16_e32 vcc_lo, 0, v25
	; wave barrier
	v_cndmask_b32_e64 v3, 0x7fff, 0, vcc_lo
	s_delay_alu instid0(VALU_DEP_1) | instskip(NEXT) | instid1(VALU_DEP_1)
	v_xor_b32_e32 v25, v3, v25
	v_cmp_ne_u16_e32 vcc_lo, 0x8000, v25
	v_cndmask_b32_e32 v3, 0x7fff, v25, vcc_lo
	s_delay_alu instid0(VALU_DEP_1) | instskip(NEXT) | instid1(VALU_DEP_1)
	v_and_b32_e32 v3, 0xffff, v3
	v_lshrrev_b32_e32 v3, s20, v3
	s_delay_alu instid0(VALU_DEP_1) | instskip(SKIP_1) | instid1(VALU_DEP_2)
	v_bitop3_b32 v29, v3, 1, s29 bitop3:0x80
	v_and_b32_e32 v3, s29, v3
	v_add_co_u32 v29, s3, v29, -1
	s_delay_alu instid0(VALU_DEP_1) | instskip(NEXT) | instid1(VALU_DEP_3)
	v_cndmask_b32_e64 v31, 0, 1, s3
	v_dual_lshlrev_b32 v32, 30, v3 :: v_dual_lshlrev_b32 v33, 29, v3
	v_lshlrev_b32_e32 v34, 28, v3
	s_delay_alu instid0(VALU_DEP_3) | instskip(NEXT) | instid1(VALU_DEP_3)
	v_cmp_ne_u32_e32 vcc_lo, 0, v31
	v_cmp_gt_i32_e64 s3, 0, v32
	v_not_b32_e32 v31, v32
	v_cmp_gt_i32_e64 s4, 0, v33
	v_not_b32_e32 v32, v33
	v_not_b32_e32 v33, v34
	s_delay_alu instid0(VALU_DEP_2) | instskip(NEXT) | instid1(VALU_DEP_2)
	v_dual_ashrrev_i32 v32, 31, v32 :: v_dual_bitop2_b32 v29, vcc_lo, v29 bitop3:0x14
	v_dual_ashrrev_i32 v33, 31, v33 :: v_dual_lshlrev_b32 v35, 27, v3
	v_dual_lshlrev_b32 v36, 26, v3 :: v_dual_lshlrev_b32 v37, 25, v3
	v_lshlrev_b32_e32 v38, 24, v3
	v_cmp_gt_i32_e64 s5, 0, v34
	s_delay_alu instid0(VALU_DEP_4)
	v_not_b32_e32 v34, v35
	v_ashrrev_i32_e32 v31, 31, v31
	v_cmp_gt_i32_e64 s6, 0, v35
	v_cmp_gt_i32_e64 s7, 0, v36
	v_not_b32_e32 v35, v36
	v_cmp_gt_i32_e64 s8, 0, v37
	v_not_b32_e32 v36, v37
	v_not_b32_e32 v37, v38
	v_dual_ashrrev_i32 v34, 31, v34 :: v_dual_bitop2_b32 v31, s3, v31 bitop3:0x14
	v_dual_ashrrev_i32 v35, 31, v35 :: v_dual_bitop2_b32 v32, s4, v32 bitop3:0x14
	v_xor_b32_e32 v33, s5, v33
	v_cmp_gt_i32_e64 s9, 0, v38
	s_delay_alu instid0(VALU_DEP_4) | instskip(SKIP_3) | instid1(VALU_DEP_4)
	v_bitop3_b32 v29, v29, v31, exec_lo bitop3:0x80
	v_dual_ashrrev_i32 v31, 31, v36 :: v_dual_ashrrev_i32 v36, 31, v37
	v_xor_b32_e32 v34, s6, v34
	v_xor_b32_e32 v35, s7, v35
	v_bitop3_b32 v29, v29, v33, v32 bitop3:0x80
	v_mad_u32_u24 v32, 0x44, v3, v2
	v_xor_b32_e32 v3, s8, v31
	v_xor_b32_e32 v31, s9, v36
	s_delay_alu instid0(VALU_DEP_4) | instskip(SKIP_2) | instid1(VALU_DEP_1)
	v_bitop3_b32 v33, v29, v35, v34 bitop3:0x80
	ds_load_b32 v29, v32 offset:64
	; wave barrier
	v_bitop3_b32 v3, v33, v31, v3 bitop3:0x80
	v_mbcnt_lo_u32_b32 v31, v3, 0
	v_cmp_ne_u32_e64 s3, 0, v3
	s_delay_alu instid0(VALU_DEP_2) | instskip(SKIP_1) | instid1(SALU_CYCLE_1)
	v_cmp_eq_u32_e32 vcc_lo, 0, v31
	s_and_b32 s4, s3, vcc_lo
	s_and_saveexec_b32 s3, s4
	s_cbranch_execz .LBB2172_39
; %bb.38:
	s_wait_dscnt 0x0
	v_bcnt_u32_b32 v3, v3, v29
	ds_store_b32 v32, v3 offset:64
.LBB2172_39:
	s_or_b32 exec_lo, exec_lo, s3
	v_cmp_gt_i16_e32 vcc_lo, 0, v30
	; wave barrier
	v_cndmask_b32_e64 v3, 0x7fff, 0, vcc_lo
	s_delay_alu instid0(VALU_DEP_1) | instskip(NEXT) | instid1(VALU_DEP_1)
	v_xor_b32_e32 v30, v3, v30
	v_cmp_ne_u16_e32 vcc_lo, 0x8000, v30
	v_cndmask_b32_e32 v3, 0x7fff, v30, vcc_lo
	s_delay_alu instid0(VALU_DEP_1) | instskip(NEXT) | instid1(VALU_DEP_1)
	v_and_b32_e32 v3, 0xffff, v3
	v_lshrrev_b32_e32 v3, s20, v3
	s_delay_alu instid0(VALU_DEP_1) | instskip(SKIP_1) | instid1(VALU_DEP_2)
	v_bitop3_b32 v33, v3, 1, s29 bitop3:0x80
	v_and_b32_e32 v3, s29, v3
	v_add_co_u32 v33, s3, v33, -1
	s_delay_alu instid0(VALU_DEP_1) | instskip(NEXT) | instid1(VALU_DEP_3)
	v_cndmask_b32_e64 v34, 0, 1, s3
	v_lshlrev_b32_e32 v35, 30, v3
	s_delay_alu instid0(VALU_DEP_2) | instskip(NEXT) | instid1(VALU_DEP_2)
	v_cmp_ne_u32_e32 vcc_lo, 0, v34
	v_not_b32_e32 v34, v35
	s_delay_alu instid0(VALU_DEP_1) | instskip(SKIP_4) | instid1(VALU_DEP_4)
	v_dual_ashrrev_i32 v34, 31, v34 :: v_dual_bitop2_b32 v33, vcc_lo, v33 bitop3:0x14
	v_dual_lshlrev_b32 v36, 29, v3 :: v_dual_lshlrev_b32 v37, 28, v3
	v_dual_lshlrev_b32 v38, 27, v3 :: v_dual_lshlrev_b32 v39, 26, v3
	v_lshlrev_b32_e32 v40, 25, v3
	v_cmp_gt_i32_e64 s3, 0, v35
	v_cmp_gt_i32_e64 s4, 0, v36
	v_not_b32_e32 v35, v36
	v_not_b32_e32 v36, v37
	v_lshlrev_b32_e32 v41, 24, v3
	v_cmp_gt_i32_e64 s5, 0, v37
	v_cmp_gt_i32_e64 s6, 0, v38
	v_not_b32_e32 v37, v38
	v_not_b32_e32 v38, v39
	v_dual_ashrrev_i32 v35, 31, v35 :: v_dual_bitop2_b32 v34, s3, v34 bitop3:0x14
	v_ashrrev_i32_e32 v36, 31, v36
	v_cmp_gt_i32_e64 s7, 0, v39
	v_cmp_gt_i32_e64 s8, 0, v40
	v_not_b32_e32 v39, v40
	v_not_b32_e32 v40, v41
	v_dual_ashrrev_i32 v37, 31, v37 :: v_dual_ashrrev_i32 v38, 31, v38
	v_xor_b32_e32 v35, s4, v35
	v_xor_b32_e32 v36, s5, v36
	v_bitop3_b32 v33, v33, v34, exec_lo bitop3:0x80
	v_cmp_gt_i32_e64 s9, 0, v41
	v_dual_ashrrev_i32 v34, 31, v39 :: v_dual_ashrrev_i32 v39, 31, v40
	v_xor_b32_e32 v37, s6, v37
	v_xor_b32_e32 v38, s7, v38
	v_bitop3_b32 v33, v33, v36, v35 bitop3:0x80
	v_mad_u32_u24 v36, 0x44, v3, v2
	v_xor_b32_e32 v3, s8, v34
	v_xor_b32_e32 v34, s9, v39
	s_delay_alu instid0(VALU_DEP_4) | instskip(SKIP_2) | instid1(VALU_DEP_1)
	v_bitop3_b32 v35, v33, v38, v37 bitop3:0x80
	ds_load_b32 v33, v36 offset:64
	; wave barrier
	v_bitop3_b32 v3, v35, v34, v3 bitop3:0x80
	v_mbcnt_lo_u32_b32 v34, v3, 0
	v_cmp_ne_u32_e64 s3, 0, v3
	s_delay_alu instid0(VALU_DEP_2) | instskip(SKIP_1) | instid1(SALU_CYCLE_1)
	v_cmp_eq_u32_e32 vcc_lo, 0, v34
	s_and_b32 s4, s3, vcc_lo
	s_and_saveexec_b32 s3, s4
	s_cbranch_execz .LBB2172_41
; %bb.40:
	s_wait_dscnt 0x0
	v_bcnt_u32_b32 v3, v3, v33
	ds_store_b32 v36, v3 offset:64
.LBB2172_41:
	s_or_b32 exec_lo, exec_lo, s3
	v_cmp_gt_i16_e32 vcc_lo, 0, v9
	; wave barrier
	v_cndmask_b32_e64 v3, 0x7fff, 0, vcc_lo
	s_delay_alu instid0(VALU_DEP_1) | instskip(NEXT) | instid1(VALU_DEP_1)
	v_xor_b32_e32 v35, v3, v9
	v_cmp_ne_u16_e32 vcc_lo, 0x8000, v35
	v_cndmask_b32_e32 v3, 0x7fff, v35, vcc_lo
	s_delay_alu instid0(VALU_DEP_1) | instskip(NEXT) | instid1(VALU_DEP_1)
	v_and_b32_e32 v3, 0xffff, v3
	v_lshrrev_b32_e32 v3, s20, v3
	s_delay_alu instid0(VALU_DEP_1) | instskip(SKIP_1) | instid1(VALU_DEP_2)
	v_bitop3_b32 v9, v3, 1, s29 bitop3:0x80
	v_and_b32_e32 v3, s29, v3
	v_add_co_u32 v9, s3, v9, -1
	s_delay_alu instid0(VALU_DEP_1) | instskip(NEXT) | instid1(VALU_DEP_3)
	v_cndmask_b32_e64 v37, 0, 1, s3
	v_lshlrev_b32_e32 v38, 30, v3
	s_delay_alu instid0(VALU_DEP_2) | instskip(NEXT) | instid1(VALU_DEP_2)
	v_cmp_ne_u32_e32 vcc_lo, 0, v37
	v_not_b32_e32 v37, v38
	v_xor_b32_e32 v9, vcc_lo, v9
	s_delay_alu instid0(VALU_DEP_2) | instskip(SKIP_3) | instid1(VALU_DEP_4)
	v_dual_ashrrev_i32 v37, 31, v37 :: v_dual_lshlrev_b32 v39, 29, v3
	v_dual_lshlrev_b32 v40, 28, v3 :: v_dual_lshlrev_b32 v41, 27, v3
	v_dual_lshlrev_b32 v42, 26, v3 :: v_dual_lshlrev_b32 v43, 25, v3
	v_cmp_gt_i32_e64 s3, 0, v38
	v_cmp_gt_i32_e64 s4, 0, v39
	v_not_b32_e32 v38, v39
	v_not_b32_e32 v39, v40
	v_lshlrev_b32_e32 v44, 24, v3
	v_cmp_gt_i32_e64 s5, 0, v40
	v_cmp_gt_i32_e64 s6, 0, v41
	v_not_b32_e32 v40, v41
	v_not_b32_e32 v41, v42
	v_dual_ashrrev_i32 v38, 31, v38 :: v_dual_ashrrev_i32 v39, 31, v39
	v_xor_b32_e32 v37, s3, v37
	v_cmp_gt_i32_e64 s7, 0, v42
	v_cmp_gt_i32_e64 s8, 0, v43
	v_not_b32_e32 v42, v43
	v_not_b32_e32 v43, v44
	v_dual_ashrrev_i32 v40, 31, v40 :: v_dual_ashrrev_i32 v41, 31, v41
	v_xor_b32_e32 v38, s4, v38
	v_xor_b32_e32 v39, s5, v39
	v_bitop3_b32 v9, v9, v37, exec_lo bitop3:0x80
	v_cmp_gt_i32_e64 s9, 0, v44
	v_dual_ashrrev_i32 v37, 31, v42 :: v_dual_ashrrev_i32 v42, 31, v43
	v_xor_b32_e32 v43, s6, v40
	v_xor_b32_e32 v41, s7, v41
	v_bitop3_b32 v9, v9, v39, v38 bitop3:0x80
	v_mad_u32_u24 v40, 0x44, v3, v2
	v_xor_b32_e32 v3, s8, v37
	v_xor_b32_e32 v37, s9, v42
	s_delay_alu instid0(VALU_DEP_4) | instskip(SKIP_2) | instid1(VALU_DEP_1)
	v_bitop3_b32 v9, v9, v41, v43 bitop3:0x80
	ds_load_b32 v38, v40 offset:64
	; wave barrier
	v_bitop3_b32 v3, v9, v37, v3 bitop3:0x80
	v_mbcnt_lo_u32_b32 v39, v3, 0
	v_cmp_ne_u32_e64 s3, 0, v3
	s_delay_alu instid0(VALU_DEP_2) | instskip(SKIP_1) | instid1(SALU_CYCLE_1)
	v_cmp_eq_u32_e32 vcc_lo, 0, v39
	s_and_b32 s4, s3, vcc_lo
	s_and_saveexec_b32 s3, s4
	s_cbranch_execz .LBB2172_43
; %bb.42:
	s_wait_dscnt 0x0
	v_bcnt_u32_b32 v3, v3, v38
	ds_store_b32 v40, v3 offset:64
.LBB2172_43:
	s_or_b32 exec_lo, exec_lo, s3
	v_cmp_gt_i16_e32 vcc_lo, 0, v8
	; wave barrier
	v_cndmask_b32_e64 v3, 0x7fff, 0, vcc_lo
	s_delay_alu instid0(VALU_DEP_1) | instskip(NEXT) | instid1(VALU_DEP_1)
	v_xor_b32_e32 v37, v3, v8
	v_cmp_ne_u16_e32 vcc_lo, 0x8000, v37
	v_cndmask_b32_e32 v3, 0x7fff, v37, vcc_lo
	s_delay_alu instid0(VALU_DEP_1) | instskip(NEXT) | instid1(VALU_DEP_1)
	v_and_b32_e32 v3, 0xffff, v3
	v_lshrrev_b32_e32 v3, s20, v3
	s_delay_alu instid0(VALU_DEP_1) | instskip(SKIP_1) | instid1(VALU_DEP_2)
	v_bitop3_b32 v8, v3, 1, s29 bitop3:0x80
	v_and_b32_e32 v3, s29, v3
	v_add_co_u32 v8, s3, v8, -1
	s_delay_alu instid0(VALU_DEP_1) | instskip(NEXT) | instid1(VALU_DEP_3)
	v_cndmask_b32_e64 v9, 0, 1, s3
	v_lshlrev_b32_e32 v41, 30, v3
	s_delay_alu instid0(VALU_DEP_2) | instskip(NEXT) | instid1(VALU_DEP_2)
	v_cmp_ne_u32_e32 vcc_lo, 0, v9
	v_not_b32_e32 v9, v41
	s_delay_alu instid0(VALU_DEP_1) | instskip(SKIP_4) | instid1(VALU_DEP_4)
	v_dual_ashrrev_i32 v9, 31, v9 :: v_dual_bitop2_b32 v8, vcc_lo, v8 bitop3:0x14
	v_dual_lshlrev_b32 v42, 29, v3 :: v_dual_lshlrev_b32 v43, 28, v3
	v_dual_lshlrev_b32 v44, 27, v3 :: v_dual_lshlrev_b32 v45, 26, v3
	v_lshlrev_b32_e32 v46, 25, v3
	v_cmp_gt_i32_e64 s3, 0, v41
	v_cmp_gt_i32_e64 s4, 0, v42
	v_not_b32_e32 v41, v42
	v_not_b32_e32 v42, v43
	v_lshlrev_b32_e32 v47, 24, v3
	v_cmp_gt_i32_e64 s5, 0, v43
	v_cmp_gt_i32_e64 s6, 0, v44
	v_not_b32_e32 v43, v44
	v_not_b32_e32 v44, v45
	v_dual_ashrrev_i32 v41, 31, v41 :: v_dual_ashrrev_i32 v42, 31, v42
	v_xor_b32_e32 v9, s3, v9
	v_cmp_gt_i32_e64 s7, 0, v45
	v_cmp_gt_i32_e64 s8, 0, v46
	v_not_b32_e32 v45, v46
	v_not_b32_e32 v46, v47
	v_dual_ashrrev_i32 v43, 31, v43 :: v_dual_ashrrev_i32 v44, 31, v44
	v_xor_b32_e32 v41, s4, v41
	v_xor_b32_e32 v42, s5, v42
	v_bitop3_b32 v8, v8, v9, exec_lo bitop3:0x80
	v_cmp_gt_i32_e64 s9, 0, v47
	v_dual_ashrrev_i32 v9, 31, v45 :: v_dual_ashrrev_i32 v45, 31, v46
	v_xor_b32_e32 v43, s6, v43
	v_xor_b32_e32 v46, s7, v44
	v_bitop3_b32 v8, v8, v42, v41 bitop3:0x80
	v_mad_u32_u24 v44, 0x44, v3, v2
	v_xor_b32_e32 v3, s8, v9
	v_xor_b32_e32 v9, s9, v45
	s_delay_alu instid0(VALU_DEP_4) | instskip(SKIP_2) | instid1(VALU_DEP_1)
	v_bitop3_b32 v8, v8, v46, v43 bitop3:0x80
	ds_load_b32 v42, v44 offset:64
	; wave barrier
	v_bitop3_b32 v3, v8, v9, v3 bitop3:0x80
	v_mbcnt_lo_u32_b32 v43, v3, 0
	v_cmp_ne_u32_e64 s3, 0, v3
	s_delay_alu instid0(VALU_DEP_2) | instskip(SKIP_1) | instid1(SALU_CYCLE_1)
	v_cmp_eq_u32_e32 vcc_lo, 0, v43
	s_and_b32 s4, s3, vcc_lo
	s_and_saveexec_b32 s3, s4
	s_cbranch_execz .LBB2172_45
; %bb.44:
	s_wait_dscnt 0x0
	v_bcnt_u32_b32 v3, v3, v42
	ds_store_b32 v44, v3 offset:64
.LBB2172_45:
	s_or_b32 exec_lo, exec_lo, s3
	v_cmp_gt_i16_e32 vcc_lo, 0, v7
	; wave barrier
	v_cndmask_b32_e64 v3, 0x7fff, 0, vcc_lo
	s_delay_alu instid0(VALU_DEP_1) | instskip(NEXT) | instid1(VALU_DEP_1)
	v_xor_b32_e32 v41, v3, v7
	v_cmp_ne_u16_e32 vcc_lo, 0x8000, v41
	v_cndmask_b32_e32 v3, 0x7fff, v41, vcc_lo
	s_delay_alu instid0(VALU_DEP_1) | instskip(NEXT) | instid1(VALU_DEP_1)
	v_and_b32_e32 v3, 0xffff, v3
	v_lshrrev_b32_e32 v3, s20, v3
	s_delay_alu instid0(VALU_DEP_1) | instskip(SKIP_1) | instid1(VALU_DEP_2)
	v_bitop3_b32 v7, v3, 1, s29 bitop3:0x80
	v_and_b32_e32 v3, s29, v3
	v_add_co_u32 v7, s3, v7, -1
	s_delay_alu instid0(VALU_DEP_1) | instskip(NEXT) | instid1(VALU_DEP_3)
	v_cndmask_b32_e64 v8, 0, 1, s3
	v_dual_lshlrev_b32 v9, 30, v3 :: v_dual_lshlrev_b32 v45, 29, v3
	v_lshlrev_b32_e32 v46, 28, v3
	s_delay_alu instid0(VALU_DEP_3) | instskip(NEXT) | instid1(VALU_DEP_3)
	v_cmp_ne_u32_e32 vcc_lo, 0, v8
	v_cmp_gt_i32_e64 s3, 0, v9
	v_not_b32_e32 v8, v9
	v_cmp_gt_i32_e64 s4, 0, v45
	v_not_b32_e32 v9, v45
	v_not_b32_e32 v45, v46
	s_delay_alu instid0(VALU_DEP_2) | instskip(NEXT) | instid1(VALU_DEP_2)
	v_dual_ashrrev_i32 v8, 31, v8 :: v_dual_ashrrev_i32 v9, 31, v9
	v_dual_ashrrev_i32 v45, 31, v45 :: v_dual_lshlrev_b32 v47, 27, v3
	v_dual_lshlrev_b32 v48, 26, v3 :: v_dual_lshlrev_b32 v49, 25, v3
	s_delay_alu instid0(VALU_DEP_3) | instskip(SKIP_1) | instid1(VALU_DEP_4)
	v_dual_lshlrev_b32 v50, 24, v3 :: v_dual_bitop2_b32 v8, s3, v8 bitop3:0x14
	v_cmp_gt_i32_e64 s5, 0, v46
	v_cmp_gt_i32_e64 s6, 0, v47
	v_not_b32_e32 v46, v47
	v_cmp_gt_i32_e64 s7, 0, v48
	v_not_b32_e32 v47, v48
	v_not_b32_e32 v48, v49
	v_xor_b32_e32 v7, vcc_lo, v7
	v_cmp_gt_i32_e64 s8, 0, v49
	v_not_b32_e32 v49, v50
	v_dual_ashrrev_i32 v46, 31, v46 :: v_dual_ashrrev_i32 v47, 31, v47
	v_xor_b32_e32 v9, s4, v9
	v_xor_b32_e32 v45, s5, v45
	v_bitop3_b32 v7, v7, v8, exec_lo bitop3:0x80
	v_cmp_gt_i32_e64 s9, 0, v50
	v_dual_ashrrev_i32 v8, 31, v48 :: v_dual_ashrrev_i32 v49, 31, v49
	v_xor_b32_e32 v46, s6, v46
	v_xor_b32_e32 v47, s7, v47
	v_bitop3_b32 v7, v7, v45, v9 bitop3:0x80
	v_mad_u32_u24 v48, 0x44, v3, v2
	v_xor_b32_e32 v3, s8, v8
	v_xor_b32_e32 v8, s9, v49
	s_delay_alu instid0(VALU_DEP_4) | instskip(SKIP_2) | instid1(VALU_DEP_1)
	v_bitop3_b32 v7, v7, v47, v46 bitop3:0x80
	ds_load_b32 v46, v48 offset:64
	; wave barrier
	v_bitop3_b32 v3, v7, v8, v3 bitop3:0x80
	v_mbcnt_lo_u32_b32 v47, v3, 0
	v_cmp_ne_u32_e64 s3, 0, v3
	s_delay_alu instid0(VALU_DEP_2) | instskip(SKIP_1) | instid1(SALU_CYCLE_1)
	v_cmp_eq_u32_e32 vcc_lo, 0, v47
	s_and_b32 s4, s3, vcc_lo
	s_and_saveexec_b32 s3, s4
	s_cbranch_execz .LBB2172_47
; %bb.46:
	s_wait_dscnt 0x0
	v_bcnt_u32_b32 v3, v3, v46
	ds_store_b32 v48, v3 offset:64
.LBB2172_47:
	s_or_b32 exec_lo, exec_lo, s3
	v_cmp_gt_i16_e32 vcc_lo, 0, v6
	; wave barrier
	v_cndmask_b32_e64 v3, 0x7fff, 0, vcc_lo
	s_delay_alu instid0(VALU_DEP_1) | instskip(NEXT) | instid1(VALU_DEP_1)
	v_xor_b32_e32 v45, v3, v6
	v_cmp_ne_u16_e32 vcc_lo, 0x8000, v45
	v_cndmask_b32_e32 v3, 0x7fff, v45, vcc_lo
	s_delay_alu instid0(VALU_DEP_1) | instskip(NEXT) | instid1(VALU_DEP_1)
	v_and_b32_e32 v3, 0xffff, v3
	v_lshrrev_b32_e32 v3, s20, v3
	s_delay_alu instid0(VALU_DEP_1) | instskip(SKIP_1) | instid1(VALU_DEP_2)
	v_bitop3_b32 v6, v3, 1, s29 bitop3:0x80
	v_and_b32_e32 v3, s29, v3
	v_add_co_u32 v6, s3, v6, -1
	s_delay_alu instid0(VALU_DEP_1) | instskip(NEXT) | instid1(VALU_DEP_3)
	v_cndmask_b32_e64 v7, 0, 1, s3
	v_dual_lshlrev_b32 v8, 30, v3 :: v_dual_lshlrev_b32 v9, 29, v3
	v_lshlrev_b32_e32 v49, 28, v3
	s_delay_alu instid0(VALU_DEP_3) | instskip(NEXT) | instid1(VALU_DEP_3)
	v_cmp_ne_u32_e32 vcc_lo, 0, v7
	v_cmp_gt_i32_e64 s3, 0, v8
	v_not_b32_e32 v7, v8
	v_cmp_gt_i32_e64 s4, 0, v9
	v_not_b32_e32 v8, v9
	v_not_b32_e32 v9, v49
	s_delay_alu instid0(VALU_DEP_2) | instskip(NEXT) | instid1(VALU_DEP_2)
	v_dual_ashrrev_i32 v8, 31, v8 :: v_dual_bitop2_b32 v6, vcc_lo, v6 bitop3:0x14
	v_dual_ashrrev_i32 v9, 31, v9 :: v_dual_lshlrev_b32 v50, 27, v3
	v_dual_lshlrev_b32 v51, 26, v3 :: v_dual_lshlrev_b32 v52, 25, v3
	v_cmp_gt_i32_e64 s5, 0, v49
	v_lshlrev_b32_e32 v53, 24, v3
	s_delay_alu instid0(VALU_DEP_4) | instskip(SKIP_4) | instid1(VALU_DEP_4)
	v_not_b32_e32 v49, v50
	v_ashrrev_i32_e32 v7, 31, v7
	v_cmp_gt_i32_e64 s6, 0, v50
	v_not_b32_e32 v50, v51
	v_cmp_gt_i32_e64 s7, 0, v51
	v_dual_ashrrev_i32 v49, 31, v49 :: v_dual_bitop2_b32 v7, s3, v7 bitop3:0x14
	v_cmp_gt_i32_e64 s8, 0, v52
	v_not_b32_e32 v51, v52
	v_not_b32_e32 v52, v53
	v_dual_ashrrev_i32 v50, 31, v50 :: v_dual_bitop2_b32 v8, s4, v8 bitop3:0x14
	v_xor_b32_e32 v9, s5, v9
	v_bitop3_b32 v6, v6, v7, exec_lo bitop3:0x80
	v_cmp_gt_i32_e64 s9, 0, v53
	v_dual_ashrrev_i32 v7, 31, v51 :: v_dual_ashrrev_i32 v51, 31, v52
	v_xor_b32_e32 v49, s6, v49
	v_xor_b32_e32 v50, s7, v50
	v_bitop3_b32 v6, v6, v9, v8 bitop3:0x80
	v_mad_u32_u24 v52, 0x44, v3, v2
	v_xor_b32_e32 v3, s8, v7
	v_xor_b32_e32 v7, s9, v51
	s_delay_alu instid0(VALU_DEP_4) | instskip(SKIP_2) | instid1(VALU_DEP_1)
	v_bitop3_b32 v6, v6, v50, v49 bitop3:0x80
	ds_load_b32 v49, v52 offset:64
	; wave barrier
	v_bitop3_b32 v3, v6, v7, v3 bitop3:0x80
	v_mbcnt_lo_u32_b32 v51, v3, 0
	v_cmp_ne_u32_e64 s3, 0, v3
	s_delay_alu instid0(VALU_DEP_2) | instskip(SKIP_1) | instid1(SALU_CYCLE_1)
	v_cmp_eq_u32_e32 vcc_lo, 0, v51
	s_and_b32 s4, s3, vcc_lo
	s_and_saveexec_b32 s3, s4
	s_cbranch_execz .LBB2172_49
; %bb.48:
	s_wait_dscnt 0x0
	v_bcnt_u32_b32 v3, v3, v49
	ds_store_b32 v52, v3 offset:64
.LBB2172_49:
	s_or_b32 exec_lo, exec_lo, s3
	v_cmp_gt_i16_e32 vcc_lo, 0, v5
	; wave barrier
	v_cndmask_b32_e64 v3, 0x7fff, 0, vcc_lo
	s_delay_alu instid0(VALU_DEP_1) | instskip(NEXT) | instid1(VALU_DEP_1)
	v_xor_b32_e32 v50, v3, v5
	v_cmp_ne_u16_e32 vcc_lo, 0x8000, v50
	v_cndmask_b32_e32 v3, 0x7fff, v50, vcc_lo
	s_delay_alu instid0(VALU_DEP_1) | instskip(NEXT) | instid1(VALU_DEP_1)
	v_and_b32_e32 v3, 0xffff, v3
	v_lshrrev_b32_e32 v3, s20, v3
	s_delay_alu instid0(VALU_DEP_1) | instskip(SKIP_1) | instid1(VALU_DEP_2)
	v_bitop3_b32 v5, v3, 1, s29 bitop3:0x80
	v_and_b32_e32 v3, s29, v3
	v_add_co_u32 v5, s3, v5, -1
	s_delay_alu instid0(VALU_DEP_1) | instskip(NEXT) | instid1(VALU_DEP_3)
	v_cndmask_b32_e64 v6, 0, 1, s3
	v_lshlrev_b32_e32 v7, 30, v3
	s_delay_alu instid0(VALU_DEP_2) | instskip(NEXT) | instid1(VALU_DEP_2)
	v_cmp_ne_u32_e32 vcc_lo, 0, v6
	v_not_b32_e32 v6, v7
	s_delay_alu instid0(VALU_DEP_1) | instskip(SKIP_4) | instid1(VALU_DEP_4)
	v_dual_ashrrev_i32 v6, 31, v6 :: v_dual_bitop2_b32 v5, vcc_lo, v5 bitop3:0x14
	v_dual_lshlrev_b32 v8, 29, v3 :: v_dual_lshlrev_b32 v9, 28, v3
	v_dual_lshlrev_b32 v53, 27, v3 :: v_dual_lshlrev_b32 v54, 26, v3
	v_lshlrev_b32_e32 v55, 25, v3
	v_cmp_gt_i32_e64 s3, 0, v7
	v_cmp_gt_i32_e64 s4, 0, v8
	v_not_b32_e32 v7, v8
	v_not_b32_e32 v8, v9
	v_lshlrev_b32_e32 v56, 24, v3
	v_cmp_gt_i32_e64 s5, 0, v9
	v_cmp_gt_i32_e64 s6, 0, v53
	v_not_b32_e32 v9, v53
	v_not_b32_e32 v53, v54
	v_dual_ashrrev_i32 v7, 31, v7 :: v_dual_bitop2_b32 v6, s3, v6 bitop3:0x14
	v_ashrrev_i32_e32 v8, 31, v8
	v_cmp_gt_i32_e64 s7, 0, v54
	v_cmp_gt_i32_e64 s8, 0, v55
	v_not_b32_e32 v54, v55
	v_not_b32_e32 v55, v56
	v_dual_ashrrev_i32 v9, 31, v9 :: v_dual_bitop2_b32 v7, s4, v7 bitop3:0x14
	v_dual_ashrrev_i32 v53, 31, v53 :: v_dual_bitop2_b32 v8, s5, v8 bitop3:0x14
	v_bitop3_b32 v5, v5, v6, exec_lo bitop3:0x80
	v_cmp_gt_i32_e64 s9, 0, v56
	v_dual_ashrrev_i32 v6, 31, v54 :: v_dual_ashrrev_i32 v54, 31, v55
	v_xor_b32_e32 v9, s6, v9
	v_xor_b32_e32 v53, s7, v53
	v_bitop3_b32 v5, v5, v8, v7 bitop3:0x80
	v_mad_u32_u24 v57, 0x44, v3, v2
	v_xor_b32_e32 v3, s8, v6
	v_xor_b32_e32 v6, s9, v54
	s_delay_alu instid0(VALU_DEP_4) | instskip(SKIP_2) | instid1(VALU_DEP_1)
	v_bitop3_b32 v5, v5, v53, v9 bitop3:0x80
	ds_load_b32 v53, v57 offset:64
	; wave barrier
	v_bitop3_b32 v3, v5, v6, v3 bitop3:0x80
	v_mbcnt_lo_u32_b32 v54, v3, 0
	v_cmp_ne_u32_e64 s3, 0, v3
	s_delay_alu instid0(VALU_DEP_2) | instskip(SKIP_1) | instid1(SALU_CYCLE_1)
	v_cmp_eq_u32_e32 vcc_lo, 0, v54
	s_and_b32 s4, s3, vcc_lo
	s_and_saveexec_b32 s3, s4
	s_cbranch_execz .LBB2172_51
; %bb.50:
	s_wait_dscnt 0x0
	v_bcnt_u32_b32 v3, v3, v53
	ds_store_b32 v57, v3 offset:64
.LBB2172_51:
	s_or_b32 exec_lo, exec_lo, s3
	v_cmp_gt_i16_e32 vcc_lo, 0, v4
	; wave barrier
	v_cndmask_b32_e64 v3, 0x7fff, 0, vcc_lo
	s_delay_alu instid0(VALU_DEP_1) | instskip(NEXT) | instid1(VALU_DEP_1)
	v_xor_b32_e32 v55, v3, v4
	v_cmp_ne_u16_e32 vcc_lo, 0x8000, v55
	v_cndmask_b32_e32 v3, 0x7fff, v55, vcc_lo
	s_delay_alu instid0(VALU_DEP_1) | instskip(NEXT) | instid1(VALU_DEP_1)
	v_and_b32_e32 v3, 0xffff, v3
	v_lshrrev_b32_e32 v3, s20, v3
	s_delay_alu instid0(VALU_DEP_1) | instskip(SKIP_1) | instid1(VALU_DEP_2)
	v_bitop3_b32 v4, v3, 1, s29 bitop3:0x80
	v_and_b32_e32 v3, s29, v3
	v_add_co_u32 v4, s3, v4, -1
	s_delay_alu instid0(VALU_DEP_1) | instskip(NEXT) | instid1(VALU_DEP_3)
	v_cndmask_b32_e64 v5, 0, 1, s3
	v_lshlrev_b32_e32 v6, 30, v3
	s_delay_alu instid0(VALU_DEP_2) | instskip(NEXT) | instid1(VALU_DEP_2)
	v_cmp_ne_u32_e32 vcc_lo, 0, v5
	v_not_b32_e32 v5, v6
	s_delay_alu instid0(VALU_DEP_1) | instskip(SKIP_4) | instid1(VALU_DEP_4)
	v_dual_ashrrev_i32 v5, 31, v5 :: v_dual_bitop2_b32 v4, vcc_lo, v4 bitop3:0x14
	v_dual_lshlrev_b32 v7, 29, v3 :: v_dual_lshlrev_b32 v8, 28, v3
	v_dual_lshlrev_b32 v9, 27, v3 :: v_dual_lshlrev_b32 v56, 26, v3
	v_lshlrev_b32_e32 v58, 25, v3
	v_cmp_gt_i32_e64 s3, 0, v6
	v_cmp_gt_i32_e64 s4, 0, v7
	v_not_b32_e32 v6, v7
	v_not_b32_e32 v7, v8
	v_lshlrev_b32_e32 v59, 24, v3
	v_cmp_gt_i32_e64 s5, 0, v8
	v_cmp_gt_i32_e64 s6, 0, v9
	v_not_b32_e32 v8, v9
	v_not_b32_e32 v9, v56
	v_dual_ashrrev_i32 v6, 31, v6 :: v_dual_ashrrev_i32 v7, 31, v7
	v_xor_b32_e32 v5, s3, v5
	v_cmp_gt_i32_e64 s7, 0, v56
	v_cmp_gt_i32_e64 s8, 0, v58
	v_not_b32_e32 v56, v58
	v_not_b32_e32 v58, v59
	v_dual_ashrrev_i32 v8, 31, v8 :: v_dual_ashrrev_i32 v9, 31, v9
	v_xor_b32_e32 v6, s4, v6
	v_xor_b32_e32 v7, s5, v7
	v_bitop3_b32 v4, v4, v5, exec_lo bitop3:0x80
	v_cmp_gt_i32_e64 s9, 0, v59
	v_dual_ashrrev_i32 v5, 31, v56 :: v_dual_ashrrev_i32 v56, 31, v58
	v_xor_b32_e32 v8, s6, v8
	v_xor_b32_e32 v9, s7, v9
	v_bitop3_b32 v4, v4, v7, v6 bitop3:0x80
	v_mad_u32_u24 v59, 0x44, v3, v2
	v_xor_b32_e32 v2, s8, v5
	v_xor_b32_e32 v3, s9, v56
	s_delay_alu instid0(VALU_DEP_4) | instskip(SKIP_2) | instid1(VALU_DEP_1)
	v_bitop3_b32 v4, v4, v9, v8 bitop3:0x80
	ds_load_b32 v56, v59 offset:64
	; wave barrier
	v_bitop3_b32 v2, v4, v3, v2 bitop3:0x80
	v_mbcnt_lo_u32_b32 v58, v2, 0
	v_cmp_ne_u32_e64 s3, 0, v2
	s_delay_alu instid0(VALU_DEP_2) | instskip(SKIP_1) | instid1(SALU_CYCLE_1)
	v_cmp_eq_u32_e32 vcc_lo, 0, v58
	s_and_b32 s4, s3, vcc_lo
	s_and_saveexec_b32 s3, s4
	s_cbranch_execz .LBB2172_53
; %bb.52:
	s_wait_dscnt 0x0
	v_bcnt_u32_b32 v2, v2, v56
	ds_store_b32 v59, v2 offset:64
.LBB2172_53:
	s_or_b32 exec_lo, exec_lo, s3
	; wave barrier
	s_wait_dscnt 0x0
	s_barrier_signal -1
	s_barrier_wait -1
	ds_load_2addr_b32 v[8:9], v12 offset0:16 offset1:17
	ds_load_2addr_b32 v[6:7], v12 offset0:18 offset1:19
	;; [unrolled: 1-line block ×4, first 2 shown]
	ds_load_b32 v60, v12 offset:96
	s_mov_b32 s7, exec_lo
	s_wait_dscnt 0x3
	v_add3_u32 v61, v9, v8, v6
	s_wait_dscnt 0x2
	s_delay_alu instid0(VALU_DEP_1) | instskip(SKIP_1) | instid1(VALU_DEP_1)
	v_add3_u32 v61, v61, v7, v4
	s_wait_dscnt 0x1
	v_add3_u32 v61, v61, v5, v2
	s_wait_dscnt 0x0
	s_delay_alu instid0(VALU_DEP_1) | instskip(SKIP_1) | instid1(VALU_DEP_2)
	v_add3_u32 v60, v61, v3, v60
	v_and_b32_e32 v61, 15, v15
	v_mov_b32_dpp v62, v60 row_shr:1 row_mask:0xf bank_mask:0xf
	s_delay_alu instid0(VALU_DEP_2) | instskip(NEXT) | instid1(VALU_DEP_2)
	v_cmp_eq_u32_e32 vcc_lo, 0, v61
	v_cndmask_b32_e64 v62, v62, 0, vcc_lo
	s_delay_alu instid0(VALU_DEP_1) | instskip(SKIP_3) | instid1(VALU_DEP_4)
	v_add_nc_u32_e32 v60, v62, v60
	v_cmp_lt_u32_e64 s3, 1, v61
	v_cmp_lt_u32_e64 s4, 3, v61
	;; [unrolled: 1-line block ×3, first 2 shown]
	v_mov_b32_dpp v62, v60 row_shr:2 row_mask:0xf bank_mask:0xf
	s_delay_alu instid0(VALU_DEP_1) | instskip(NEXT) | instid1(VALU_DEP_1)
	v_cndmask_b32_e64 v62, 0, v62, s3
	v_add_nc_u32_e32 v60, v60, v62
	s_delay_alu instid0(VALU_DEP_1) | instskip(NEXT) | instid1(VALU_DEP_1)
	v_mov_b32_dpp v62, v60 row_shr:4 row_mask:0xf bank_mask:0xf
	v_cndmask_b32_e64 v62, 0, v62, s4
	s_delay_alu instid0(VALU_DEP_1) | instskip(NEXT) | instid1(VALU_DEP_1)
	v_add_nc_u32_e32 v60, v60, v62
	v_mov_b32_dpp v62, v60 row_shr:8 row_mask:0xf bank_mask:0xf
	s_delay_alu instid0(VALU_DEP_1) | instskip(SKIP_1) | instid1(VALU_DEP_2)
	v_cndmask_b32_e64 v61, 0, v62, s5
	v_bfe_i32 v62, v15, 4, 1
	v_add_nc_u32_e32 v60, v60, v61
	ds_swizzle_b32 v61, v60 offset:swizzle(BROADCAST,32,15)
	s_wait_dscnt 0x0
	v_and_b32_e32 v61, v62, v61
	v_min_u32_e32 v62, 0x1e0, v16
	s_delay_alu instid0(VALU_DEP_2) | instskip(NEXT) | instid1(VALU_DEP_2)
	v_dual_add_nc_u32 v60, v60, v61 :: v_dual_lshrrev_b32 v61, 5, v14
	v_or_b32_e32 v62, 31, v62
	s_delay_alu instid0(VALU_DEP_1)
	v_cmpx_eq_u32_e64 v14, v62
; %bb.54:
	s_delay_alu instid0(VALU_DEP_3)
	v_lshlrev_b32_e32 v62, 2, v61
	ds_store_b32 v62, v60
; %bb.55:
	s_or_b32 exec_lo, exec_lo, s7
	s_delay_alu instid0(SALU_CYCLE_1)
	s_mov_b32 s7, exec_lo
	s_wait_dscnt 0x0
	s_barrier_signal -1
	s_barrier_wait -1
	v_cmpx_gt_u32_e32 16, v14
	s_cbranch_execz .LBB2172_57
; %bb.56:
	v_lshlrev_b32_e32 v62, 2, v14
	ds_load_b32 v63, v62
	s_wait_dscnt 0x0
	v_mov_b32_dpp v64, v63 row_shr:1 row_mask:0xf bank_mask:0xf
	s_delay_alu instid0(VALU_DEP_1) | instskip(NEXT) | instid1(VALU_DEP_1)
	v_cndmask_b32_e64 v64, v64, 0, vcc_lo
	v_add_nc_u32_e32 v63, v64, v63
	s_delay_alu instid0(VALU_DEP_1) | instskip(NEXT) | instid1(VALU_DEP_1)
	v_mov_b32_dpp v64, v63 row_shr:2 row_mask:0xf bank_mask:0xf
	v_cndmask_b32_e64 v64, 0, v64, s3
	s_delay_alu instid0(VALU_DEP_1) | instskip(NEXT) | instid1(VALU_DEP_1)
	v_add_nc_u32_e32 v63, v63, v64
	v_mov_b32_dpp v64, v63 row_shr:4 row_mask:0xf bank_mask:0xf
	s_delay_alu instid0(VALU_DEP_1) | instskip(NEXT) | instid1(VALU_DEP_1)
	v_cndmask_b32_e64 v64, 0, v64, s4
	v_add_nc_u32_e32 v63, v63, v64
	s_delay_alu instid0(VALU_DEP_1) | instskip(NEXT) | instid1(VALU_DEP_1)
	v_mov_b32_dpp v64, v63 row_shr:8 row_mask:0xf bank_mask:0xf
	v_cndmask_b32_e64 v64, 0, v64, s5
	s_delay_alu instid0(VALU_DEP_1)
	v_add_nc_u32_e32 v63, v63, v64
	ds_store_b32 v62, v63
.LBB2172_57:
	s_or_b32 exec_lo, exec_lo, s7
	v_mov_b32_e32 v62, 0
	s_mov_b32 s3, exec_lo
	s_wait_dscnt 0x0
	s_barrier_signal -1
	s_barrier_wait -1
	v_cmpx_lt_u32_e32 31, v14
; %bb.58:
	v_lshl_add_u32 v61, v61, 2, -4
	ds_load_b32 v62, v61
; %bb.59:
	s_or_b32 exec_lo, exec_lo, s3
	v_sub_co_u32 v61, vcc_lo, v15, 1
	s_wait_dscnt 0x0
	v_add_nc_u32_e32 v60, v62, v60
	s_delay_alu instid0(VALU_DEP_2) | instskip(NEXT) | instid1(VALU_DEP_1)
	v_cmp_gt_i32_e64 s3, 0, v61
	v_cndmask_b32_e64 v61, v61, v15, s3
	v_cmp_gt_u32_e64 s3, 0x100, v14
	s_delay_alu instid0(VALU_DEP_2) | instskip(SKIP_4) | instid1(VALU_DEP_2)
	v_lshlrev_b32_e32 v61, 2, v61
	ds_bpermute_b32 v60, v61, v60
	s_wait_dscnt 0x0
	v_cndmask_b32_e32 v60, v60, v62, vcc_lo
	v_cmp_lt_u32_e32 vcc_lo, 0xff, v14
	v_cndmask_b32_e64 v60, v60, 0, s2
	s_delay_alu instid0(VALU_DEP_1) | instskip(NEXT) | instid1(VALU_DEP_1)
	v_add_nc_u32_e32 v8, v60, v8
	v_add_nc_u32_e32 v9, v8, v9
	s_delay_alu instid0(VALU_DEP_1) | instskip(NEXT) | instid1(VALU_DEP_1)
	v_add_nc_u32_e32 v6, v9, v6
	v_add_nc_u32_e32 v7, v6, v7
	;; [unrolled: 3-line block ×4, first 2 shown]
	ds_store_2addr_b32 v12, v60, v8 offset0:16 offset1:17
	ds_store_2addr_b32 v12, v9, v6 offset0:18 offset1:19
	;; [unrolled: 1-line block ×4, first 2 shown]
	ds_store_b32 v12, v3 offset:96
	s_wait_dscnt 0x0
	s_barrier_signal -1
	s_barrier_wait -1
	ds_load_b32 v61, v13 offset:64
	ds_load_b32 v62, v20 offset:64
	;; [unrolled: 1-line block ×12, first 2 shown]
	v_mov_b64_e32 v[2:3], 0
                                        ; implicit-def: $vgpr4
	s_and_saveexec_b32 s5, s3
	s_cbranch_execz .LBB2172_63
; %bb.60:
	v_mul_u32_u24_e32 v2, 0x44, v14
	v_dual_mov_b32 v3, 0x1800 :: v_dual_add_nc_u32 v4, 1, v14
	s_mov_b32 s6, exec_lo
	ds_load_b32 v2, v2 offset:64
	v_cmpx_ne_u32_e32 0x100, v4
; %bb.61:
	v_mul_u32_u24_e32 v3, 0x44, v4
	ds_load_b32 v3, v3 offset:64
; %bb.62:
	s_or_b32 exec_lo, exec_lo, s6
	s_wait_dscnt 0x0
	v_dual_mov_b32 v3, 0 :: v_dual_sub_nc_u32 v4, v3, v2
.LBB2172_63:
	s_or_b32 exec_lo, exec_lo, s5
	v_dual_lshlrev_b32 v10, 1, v10 :: v_dual_lshlrev_b32 v19, 1, v19
	s_wait_dscnt 0xa
	v_lshlrev_b32_e32 v28, 1, v62
	v_dual_lshlrev_b32 v18, 1, v18 :: v_dual_lshlrev_b32 v23, 1, v23
	s_delay_alu instid0(VALU_DEP_3) | instskip(SKIP_2) | instid1(VALU_DEP_3)
	v_lshl_add_u32 v10, v61, 1, v10
	v_lshlrev_b32_e32 v22, 1, v22
	s_wait_dscnt 0x0
	v_add3_u32 v18, v28, v19, v18
	v_lshlrev_b32_e32 v19, 1, v60
	s_barrier_signal -1
	s_barrier_wait -1
	ds_store_b16 v10, v1 offset:2048
	ds_store_b16 v18, v11 offset:2048
	v_lshlrev_b32_e32 v10, 1, v24
	v_add3_u32 v1, v19, v23, v22
	v_dual_lshlrev_b32 v11, 1, v27 :: v_dual_lshlrev_b32 v18, 1, v26
	v_dual_lshlrev_b32 v22, 1, v29 :: v_dual_lshlrev_b32 v23, 1, v34
	;; [unrolled: 1-line block ×6, first 2 shown]
	ds_store_b16 v1, v17 offset:2048
	v_add3_u32 v1, v10, v11, v18
	v_add3_u32 v11, v13, v23, v24
	v_dual_lshlrev_b32 v13, 1, v43 :: v_dual_lshlrev_b32 v17, 1, v42
	v_add3_u32 v10, v19, v20, v22
	v_add3_u32 v12, v12, v26, v27
	ds_store_b16 v1, v21 offset:2048
	ds_store_b16 v10, v25 offset:2048
	;; [unrolled: 1-line block ×4, first 2 shown]
	v_add3_u32 v1, v9, v13, v17
	v_dual_lshlrev_b32 v8, 1, v8 :: v_dual_lshlrev_b32 v9, 1, v47
	v_dual_lshlrev_b32 v10, 1, v46 :: v_dual_lshlrev_b32 v7, 1, v7
	;; [unrolled: 1-line block ×6, first 2 shown]
	ds_store_b16 v1, v37 offset:2048
	v_add3_u32 v8, v8, v9, v10
	v_add3_u32 v9, v7, v11, v12
	v_dual_mov_b32 v7, 0 :: v_dual_lshlrev_b32 v1, 3, v14
	v_add3_u32 v6, v6, v13, v17
	v_add3_u32 v5, v5, v18, v19
	ds_store_b16 v8, v41 offset:2048
	ds_store_b16 v9, v45 offset:2048
	;; [unrolled: 1-line block ×4, first 2 shown]
	s_and_saveexec_b32 s4, s3
	s_cbranch_execz .LBB2172_73
; %bb.64:
	v_lshl_add_u32 v6, s23, 8, v14
	v_dual_mov_b32 v10, 0 :: v_dual_bitop2_b32 v5, 2.0, v4 bitop3:0x54
	s_mov_b32 s5, 0
	s_mov_b32 s6, s23
	s_delay_alu instid0(VALU_DEP_2)
	v_lshl_add_u64 v[8:9], v[6:7], 2, s[10:11]
	global_store_b32 v6, v5, s[10:11] scale_offset scope:SCOPE_DEV
                                        ; implicit-def: $sgpr3
	s_branch .LBB2172_67
.LBB2172_65:                            ;   in Loop: Header=BB2172_67 Depth=1
	s_or_b32 exec_lo, exec_lo, s8
.LBB2172_66:                            ;   in Loop: Header=BB2172_67 Depth=1
	s_delay_alu instid0(SALU_CYCLE_1) | instskip(SKIP_2) | instid1(VALU_DEP_2)
	s_or_b32 exec_lo, exec_lo, s7
	v_and_b32_e32 v6, 0x3fffffff, v5
	v_cmp_gt_i32_e64 s3, -2.0, v5
	v_add_nc_u32_e32 v10, v6, v10
	s_and_b32 s7, exec_lo, s3
	s_delay_alu instid0(SALU_CYCLE_1) | instskip(NEXT) | instid1(SALU_CYCLE_1)
	s_or_b32 s5, s7, s5
	s_and_not1_b32 exec_lo, exec_lo, s5
	s_cbranch_execz .LBB2172_72
.LBB2172_67:                            ; =>This Loop Header: Depth=1
                                        ;     Child Loop BB2172_70 Depth 2
	s_or_b32 s3, s3, exec_lo
	s_cmp_eq_u32 s6, 0
	s_cbranch_scc1 .LBB2172_71
; %bb.68:                               ;   in Loop: Header=BB2172_67 Depth=1
	s_add_co_i32 s6, s6, -1
	s_mov_b32 s7, exec_lo
	s_wait_xcnt 0x0
	v_lshl_or_b32 v6, s6, 8, v14
	global_load_b32 v5, v6, s[10:11] scale_offset scope:SCOPE_DEV
	s_wait_loadcnt 0x0
	v_cmpx_gt_u32_e32 2.0, v5
	s_cbranch_execz .LBB2172_66
; %bb.69:                               ;   in Loop: Header=BB2172_67 Depth=1
	v_lshl_add_u64 v[12:13], v[6:7], 2, s[10:11]
	s_mov_b32 s8, 0
.LBB2172_70:                            ;   Parent Loop BB2172_67 Depth=1
                                        ; =>  This Inner Loop Header: Depth=2
	global_load_b32 v5, v[12:13], off scope:SCOPE_DEV
	s_wait_loadcnt 0x0
	v_cmp_lt_u32_e64 s3, 0x3fffffff, v5
	s_or_b32 s8, s3, s8
	s_wait_xcnt 0x0
	s_and_not1_b32 exec_lo, exec_lo, s8
	s_cbranch_execnz .LBB2172_70
	s_branch .LBB2172_65
.LBB2172_71:                            ;   in Loop: Header=BB2172_67 Depth=1
                                        ; implicit-def: $sgpr6
	s_and_b32 s7, exec_lo, s3
	s_delay_alu instid0(SALU_CYCLE_1)
	s_or_b32 s5, s7, s5
	s_wait_xcnt 0x0
	s_and_not1_b32 exec_lo, exec_lo, s5
	s_cbranch_execnz .LBB2172_67
.LBB2172_72:
	s_or_b32 exec_lo, exec_lo, s5
	v_dual_add_nc_u32 v5, v10, v4 :: v_dual_mov_b32 v11, 0
	s_delay_alu instid0(VALU_DEP_1)
	v_or_b32_e32 v5, 0x80000000, v5
	global_store_b32 v[8:9], v5, off scope:SCOPE_DEV
	global_load_b64 v[6:7], v14, s[12:13] scale_offset
	s_wait_xcnt 0x1
	v_sub_nc_u64_e32 v[8:9], v[10:11], v[2:3]
	s_wait_loadcnt 0x0
	s_delay_alu instid0(VALU_DEP_1)
	v_add_nc_u64_e32 v[6:7], v[8:9], v[6:7]
	ds_store_b64 v1, v[6:7]
.LBB2172_73:
	s_wait_xcnt 0x0
	s_or_b32 exec_lo, exec_lo, s4
	v_mad_i32_i24 v5, v14, -6, v1
	s_mov_b32 s4, exec_lo
	s_wait_storecnt_dscnt 0x0
	s_barrier_signal -1
	s_barrier_wait -1
	v_cmpx_gt_u32_e64 s22, v14
	s_cbranch_execz .LBB2172_75
; %bb.74:
	ds_load_u16 v10, v5 offset:2048
	v_dual_mov_b32 v9, 0 :: v_dual_lshlrev_b32 v8, 1, v14
	s_wait_dscnt 0x0
	v_cmp_ne_u16_e64 s3, 0x8000, v10
	s_delay_alu instid0(VALU_DEP_1) | instskip(SKIP_1) | instid1(VALU_DEP_2)
	v_cndmask_b32_e64 v6, 0x7fff, v10, s3
	v_cmp_gt_i16_e64 s3, 0, v10
	v_and_b32_e32 v6, 0xffff, v6
	s_delay_alu instid0(VALU_DEP_2) | instskip(NEXT) | instid1(VALU_DEP_2)
	v_cndmask_b32_e64 v11, 0x7fff, 0, s3
	v_lshrrev_b32_e32 v6, s20, v6
	s_delay_alu instid0(VALU_DEP_1) | instskip(NEXT) | instid1(VALU_DEP_1)
	v_and_b32_e32 v6, s29, v6
	v_lshlrev_b32_e32 v6, 3, v6
	ds_load_b64 v[6:7], v6
	s_wait_dscnt 0x0
	v_lshl_add_u64 v[6:7], v[6:7], 1, s[18:19]
	s_delay_alu instid0(VALU_DEP_1)
	v_add_nc_u64_e32 v[6:7], v[6:7], v[8:9]
	v_xor_b32_e32 v8, v11, v10
	global_store_b16 v[6:7], v8, off
.LBB2172_75:
	s_wait_xcnt 0x0
	s_or_b32 exec_lo, exec_lo, s4
	v_add_nc_u32_e32 v6, 0x200, v14
	s_mov_b32 s4, exec_lo
	s_delay_alu instid0(VALU_DEP_1)
	v_cmpx_gt_u32_e64 s22, v6
	s_cbranch_execz .LBB2172_77
; %bb.76:
	ds_load_u16 v10, v5 offset:3072
	v_dual_mov_b32 v9, 0 :: v_dual_lshlrev_b32 v8, 1, v14
	s_wait_dscnt 0x0
	v_cmp_ne_u16_e64 s3, 0x8000, v10
	s_delay_alu instid0(VALU_DEP_1) | instskip(SKIP_1) | instid1(VALU_DEP_2)
	v_cndmask_b32_e64 v6, 0x7fff, v10, s3
	v_cmp_gt_i16_e64 s3, 0, v10
	v_and_b32_e32 v6, 0xffff, v6
	s_delay_alu instid0(VALU_DEP_2) | instskip(NEXT) | instid1(VALU_DEP_2)
	v_cndmask_b32_e64 v11, 0x7fff, 0, s3
	v_lshrrev_b32_e32 v6, s20, v6
	s_delay_alu instid0(VALU_DEP_1) | instskip(NEXT) | instid1(VALU_DEP_1)
	v_and_b32_e32 v6, s29, v6
	v_lshlrev_b32_e32 v6, 3, v6
	ds_load_b64 v[6:7], v6
	s_wait_dscnt 0x0
	v_lshl_add_u64 v[6:7], v[6:7], 1, s[18:19]
	s_delay_alu instid0(VALU_DEP_1)
	v_add_nc_u64_e32 v[6:7], v[6:7], v[8:9]
	v_xor_b32_e32 v8, v11, v10
	global_store_b16 v[6:7], v8, off offset:1024
.LBB2172_77:
	s_wait_xcnt 0x0
	s_or_b32 exec_lo, exec_lo, s4
	v_or_b32_e32 v6, 0x400, v14
	s_mov_b32 s4, exec_lo
	s_delay_alu instid0(VALU_DEP_1)
	v_cmpx_gt_u32_e64 s22, v6
	s_cbranch_execz .LBB2172_79
; %bb.78:
	ds_load_u16 v10, v5 offset:4096
	v_dual_mov_b32 v9, 0 :: v_dual_lshlrev_b32 v8, 1, v14
	s_wait_dscnt 0x0
	v_cmp_ne_u16_e64 s3, 0x8000, v10
	s_delay_alu instid0(VALU_DEP_1) | instskip(SKIP_1) | instid1(VALU_DEP_2)
	v_cndmask_b32_e64 v6, 0x7fff, v10, s3
	v_cmp_gt_i16_e64 s3, 0, v10
	v_and_b32_e32 v6, 0xffff, v6
	s_delay_alu instid0(VALU_DEP_2) | instskip(NEXT) | instid1(VALU_DEP_2)
	v_cndmask_b32_e64 v11, 0x7fff, 0, s3
	v_lshrrev_b32_e32 v6, s20, v6
	s_delay_alu instid0(VALU_DEP_1) | instskip(NEXT) | instid1(VALU_DEP_1)
	v_and_b32_e32 v6, s29, v6
	v_lshlrev_b32_e32 v6, 3, v6
	ds_load_b64 v[6:7], v6
	s_wait_dscnt 0x0
	v_lshl_add_u64 v[6:7], v[6:7], 1, s[18:19]
	s_delay_alu instid0(VALU_DEP_1)
	v_add_nc_u64_e32 v[6:7], v[6:7], v[8:9]
	v_xor_b32_e32 v8, v11, v10
	global_store_b16 v[6:7], v8, off offset:2048
.LBB2172_79:
	s_wait_xcnt 0x0
	s_or_b32 exec_lo, exec_lo, s4
	v_add_nc_u32_e32 v6, 0x600, v14
	s_mov_b32 s4, exec_lo
	s_delay_alu instid0(VALU_DEP_1)
	v_cmpx_gt_u32_e64 s22, v6
	s_cbranch_execz .LBB2172_81
; %bb.80:
	ds_load_u16 v10, v5 offset:5120
	v_dual_mov_b32 v9, 0 :: v_dual_lshlrev_b32 v8, 1, v14
	s_wait_dscnt 0x0
	v_cmp_ne_u16_e64 s3, 0x8000, v10
	s_delay_alu instid0(VALU_DEP_1) | instskip(SKIP_1) | instid1(VALU_DEP_2)
	v_cndmask_b32_e64 v6, 0x7fff, v10, s3
	v_cmp_gt_i16_e64 s3, 0, v10
	v_and_b32_e32 v6, 0xffff, v6
	s_delay_alu instid0(VALU_DEP_2) | instskip(NEXT) | instid1(VALU_DEP_2)
	v_cndmask_b32_e64 v11, 0x7fff, 0, s3
	v_lshrrev_b32_e32 v6, s20, v6
	s_delay_alu instid0(VALU_DEP_1) | instskip(NEXT) | instid1(VALU_DEP_1)
	v_and_b32_e32 v6, s29, v6
	v_lshlrev_b32_e32 v6, 3, v6
	ds_load_b64 v[6:7], v6
	s_wait_dscnt 0x0
	v_lshl_add_u64 v[6:7], v[6:7], 1, s[18:19]
	s_delay_alu instid0(VALU_DEP_1)
	v_add_nc_u64_e32 v[6:7], v[6:7], v[8:9]
	v_xor_b32_e32 v8, v11, v10
	global_store_b16 v[6:7], v8, off offset:3072
.LBB2172_81:
	s_wait_xcnt 0x0
	s_or_b32 exec_lo, exec_lo, s4
	v_or_b32_e32 v6, 0x800, v14
	s_mov_b32 s4, exec_lo
	s_delay_alu instid0(VALU_DEP_1)
	v_cmpx_gt_u32_e64 s22, v6
	s_cbranch_execz .LBB2172_83
; %bb.82:
	ds_load_u16 v10, v5 offset:6144
	v_dual_mov_b32 v9, 0 :: v_dual_lshlrev_b32 v8, 1, v14
	s_wait_dscnt 0x0
	v_cmp_ne_u16_e64 s3, 0x8000, v10
	s_delay_alu instid0(VALU_DEP_1) | instskip(SKIP_1) | instid1(VALU_DEP_2)
	v_cndmask_b32_e64 v6, 0x7fff, v10, s3
	v_cmp_gt_i16_e64 s3, 0, v10
	v_and_b32_e32 v6, 0xffff, v6
	s_delay_alu instid0(VALU_DEP_2) | instskip(NEXT) | instid1(VALU_DEP_2)
	v_cndmask_b32_e64 v11, 0x7fff, 0, s3
	v_lshrrev_b32_e32 v6, s20, v6
	s_delay_alu instid0(VALU_DEP_1) | instskip(NEXT) | instid1(VALU_DEP_1)
	v_and_b32_e32 v6, s29, v6
	v_lshlrev_b32_e32 v6, 3, v6
	ds_load_b64 v[6:7], v6
	s_wait_dscnt 0x0
	v_lshl_add_u64 v[6:7], v[6:7], 1, s[18:19]
	s_delay_alu instid0(VALU_DEP_1)
	v_add_nc_u64_e32 v[6:7], v[6:7], v[8:9]
	v_xor_b32_e32 v8, v11, v10
	global_store_b16 v[6:7], v8, off offset:4096
.LBB2172_83:
	;; [unrolled: 60-line block ×3, first 2 shown]
	s_wait_xcnt 0x0
	s_or_b32 exec_lo, exec_lo, s4
	v_add_nc_u32_e32 v6, 0xe00, v14
	s_mov_b32 s4, exec_lo
	s_delay_alu instid0(VALU_DEP_1)
	v_cmpx_gt_u32_e64 s22, v6
	s_cbranch_execz .LBB2172_89
; %bb.88:
	ds_load_u16 v5, v5 offset:9216
	v_dual_mov_b32 v9, 0 :: v_dual_lshlrev_b32 v8, 1, v14
	s_wait_dscnt 0x0
	v_cmp_ne_u16_e64 s3, 0x8000, v5
	s_delay_alu instid0(VALU_DEP_1) | instskip(SKIP_1) | instid1(VALU_DEP_2)
	v_cndmask_b32_e64 v6, 0x7fff, v5, s3
	v_cmp_gt_i16_e64 s3, 0, v5
	v_and_b32_e32 v6, 0xffff, v6
	s_delay_alu instid0(VALU_DEP_2) | instskip(NEXT) | instid1(VALU_DEP_1)
	v_cndmask_b32_e64 v10, 0x7fff, 0, s3
	v_dual_lshrrev_b32 v6, s20, v6 :: v_dual_bitop2_b32 v5, v10, v5 bitop3:0x14
	s_delay_alu instid0(VALU_DEP_1) | instskip(NEXT) | instid1(VALU_DEP_1)
	v_and_b32_e32 v6, s29, v6
	v_lshlrev_b32_e32 v6, 3, v6
	ds_load_b64 v[6:7], v6
	s_wait_dscnt 0x0
	v_lshl_add_u64 v[6:7], v[6:7], 1, s[18:19]
	s_delay_alu instid0(VALU_DEP_1)
	v_add_nc_u64_e32 v[6:7], v[6:7], v[8:9]
	global_store_b16 v[6:7], v5, off offset:7168
.LBB2172_89:
	s_wait_xcnt 0x0
	s_or_b32 exec_lo, exec_lo, s4
	v_or_b32_e32 v5, 0x1000, v14
	s_mov_b32 s4, exec_lo
	s_delay_alu instid0(VALU_DEP_1)
	v_cmpx_gt_u32_e64 s22, v5
	s_cbranch_execz .LBB2172_91
; %bb.90:
	v_lshlrev_b32_e32 v6, 1, v14
	ds_load_u16 v5, v6 offset:10240
	s_wait_dscnt 0x0
	v_cmp_ne_u16_e64 s3, 0x8000, v5
	s_delay_alu instid0(VALU_DEP_1) | instskip(SKIP_1) | instid1(VALU_DEP_2)
	v_cndmask_b32_e64 v7, 0x7fff, v5, s3
	v_cmp_gt_i16_e64 s3, 0, v5
	v_and_b32_e32 v7, 0xffff, v7
	s_delay_alu instid0(VALU_DEP_2) | instskip(NEXT) | instid1(VALU_DEP_1)
	v_cndmask_b32_e64 v10, 0x7fff, 0, s3
	v_dual_lshrrev_b32 v7, s20, v7 :: v_dual_bitop2_b32 v5, v10, v5 bitop3:0x14
	s_delay_alu instid0(VALU_DEP_1) | instskip(NEXT) | instid1(VALU_DEP_1)
	v_and_b32_e32 v7, s29, v7
	v_lshlrev_b32_e32 v7, 3, v7
	ds_load_b64 v[8:9], v7
	v_mov_b32_e32 v7, 0
	s_wait_dscnt 0x0
	v_lshl_add_u64 v[8:9], v[8:9], 1, s[18:19]
	s_delay_alu instid0(VALU_DEP_1)
	v_add_nc_u64_e32 v[6:7], v[8:9], v[6:7]
	global_store_b16 v[6:7], v5, off offset:8192
.LBB2172_91:
	s_wait_xcnt 0x0
	s_or_b32 exec_lo, exec_lo, s4
	v_add_nc_u32_e32 v5, 0x1200, v14
	s_mov_b32 s4, exec_lo
	s_delay_alu instid0(VALU_DEP_1)
	v_cmpx_gt_u32_e64 s22, v5
	s_cbranch_execz .LBB2172_93
; %bb.92:
	v_lshlrev_b32_e32 v6, 1, v14
	ds_load_u16 v5, v6 offset:11264
	s_wait_dscnt 0x0
	v_cmp_ne_u16_e64 s3, 0x8000, v5
	s_delay_alu instid0(VALU_DEP_1) | instskip(SKIP_1) | instid1(VALU_DEP_2)
	v_cndmask_b32_e64 v7, 0x7fff, v5, s3
	v_cmp_gt_i16_e64 s3, 0, v5
	v_and_b32_e32 v7, 0xffff, v7
	s_delay_alu instid0(VALU_DEP_2) | instskip(NEXT) | instid1(VALU_DEP_1)
	v_cndmask_b32_e64 v10, 0x7fff, 0, s3
	v_dual_lshrrev_b32 v7, s20, v7 :: v_dual_bitop2_b32 v5, v10, v5 bitop3:0x14
	s_delay_alu instid0(VALU_DEP_1) | instskip(NEXT) | instid1(VALU_DEP_1)
	v_and_b32_e32 v7, s29, v7
	v_lshlrev_b32_e32 v7, 3, v7
	ds_load_b64 v[8:9], v7
	v_mov_b32_e32 v7, 0
	s_wait_dscnt 0x0
	v_lshl_add_u64 v[8:9], v[8:9], 1, s[18:19]
	s_delay_alu instid0(VALU_DEP_1)
	v_add_nc_u64_e32 v[6:7], v[8:9], v[6:7]
	global_store_b16 v[6:7], v5, off offset:9216
.LBB2172_93:
	s_wait_xcnt 0x0
	s_or_b32 exec_lo, exec_lo, s4
	v_or_b32_e32 v5, 0x1400, v14
	s_mov_b32 s4, exec_lo
	s_delay_alu instid0(VALU_DEP_1)
	v_cmpx_gt_u32_e64 s22, v5
	s_cbranch_execz .LBB2172_95
; %bb.94:
	v_lshlrev_b32_e32 v6, 1, v14
	ds_load_u16 v5, v6 offset:12288
	s_wait_dscnt 0x0
	v_cmp_ne_u16_e64 s3, 0x8000, v5
	s_delay_alu instid0(VALU_DEP_1) | instskip(SKIP_1) | instid1(VALU_DEP_2)
	v_cndmask_b32_e64 v7, 0x7fff, v5, s3
	v_cmp_gt_i16_e64 s3, 0, v5
	v_and_b32_e32 v7, 0xffff, v7
	s_delay_alu instid0(VALU_DEP_2) | instskip(NEXT) | instid1(VALU_DEP_1)
	v_cndmask_b32_e64 v10, 0x7fff, 0, s3
	v_dual_lshrrev_b32 v7, s20, v7 :: v_dual_bitop2_b32 v5, v10, v5 bitop3:0x14
	s_delay_alu instid0(VALU_DEP_1) | instskip(NEXT) | instid1(VALU_DEP_1)
	v_and_b32_e32 v7, s29, v7
	v_lshlrev_b32_e32 v7, 3, v7
	ds_load_b64 v[8:9], v7
	v_mov_b32_e32 v7, 0
	s_wait_dscnt 0x0
	v_lshl_add_u64 v[8:9], v[8:9], 1, s[18:19]
	s_delay_alu instid0(VALU_DEP_1)
	v_add_nc_u64_e32 v[6:7], v[8:9], v[6:7]
	global_store_b16 v[6:7], v5, off offset:10240
.LBB2172_95:
	s_wait_xcnt 0x0
	s_or_b32 exec_lo, exec_lo, s4
	v_add_nc_u32_e32 v5, 0x1600, v14
	s_mov_b32 s4, exec_lo
	s_delay_alu instid0(VALU_DEP_1)
	v_cmpx_gt_u32_e64 s22, v5
	s_cbranch_execz .LBB2172_97
; %bb.96:
	v_lshlrev_b32_e32 v6, 1, v14
	ds_load_u16 v5, v6 offset:13312
	s_wait_dscnt 0x0
	v_cmp_ne_u16_e64 s3, 0x8000, v5
	s_delay_alu instid0(VALU_DEP_1) | instskip(SKIP_1) | instid1(VALU_DEP_2)
	v_cndmask_b32_e64 v7, 0x7fff, v5, s3
	v_cmp_gt_i16_e64 s3, 0, v5
	v_and_b32_e32 v7, 0xffff, v7
	s_delay_alu instid0(VALU_DEP_2) | instskip(NEXT) | instid1(VALU_DEP_1)
	v_cndmask_b32_e64 v10, 0x7fff, 0, s3
	v_dual_lshrrev_b32 v7, s20, v7 :: v_dual_bitop2_b32 v5, v10, v5 bitop3:0x14
	s_delay_alu instid0(VALU_DEP_1) | instskip(NEXT) | instid1(VALU_DEP_1)
	v_and_b32_e32 v7, s29, v7
	v_lshlrev_b32_e32 v7, 3, v7
	ds_load_b64 v[8:9], v7
	v_mov_b32_e32 v7, 0
	s_wait_dscnt 0x0
	v_lshl_add_u64 v[8:9], v[8:9], 1, s[18:19]
	s_delay_alu instid0(VALU_DEP_1)
	v_add_nc_u64_e32 v[6:7], v[8:9], v[6:7]
	global_store_b16 v[6:7], v5, off offset:11264
.LBB2172_97:
	s_wait_xcnt 0x0
	s_or_b32 exec_lo, exec_lo, s4
	s_add_co_i32 s25, s25, -1
	s_delay_alu instid0(SALU_CYCLE_1) | instskip(SKIP_2) | instid1(SALU_CYCLE_1)
	s_cmp_eq_u32 s23, s25
	s_cselect_b32 s3, -1, 0
	s_xor_b32 s4, vcc_lo, -1
	s_and_b32 s4, s4, s3
	s_delay_alu instid0(SALU_CYCLE_1)
	s_and_saveexec_b32 s3, s4
	s_cbranch_execz .LBB2172_99
; %bb.98:
	ds_load_b64 v[6:7], v1
	v_mov_b32_e32 v5, 0
	s_delay_alu instid0(VALU_DEP_1) | instskip(SKIP_1) | instid1(VALU_DEP_1)
	v_add_nc_u64_e32 v[2:3], v[2:3], v[4:5]
	s_wait_dscnt 0x0
	v_add_nc_u64_e32 v[2:3], v[2:3], v[6:7]
	global_store_b64 v14, v[2:3], s[14:15] scale_offset
.LBB2172_99:
	s_wait_xcnt 0x0
	s_or_b32 exec_lo, exec_lo, s3
	s_mov_b32 s4, 0
.LBB2172_100:
	s_delay_alu instid0(SALU_CYCLE_1)
	s_and_b32 vcc_lo, exec_lo, s4
	s_cbranch_vccz .LBB2172_147
; %bb.101:
	s_mov_b32 s25, 0
	v_dual_mov_b32 v9, 0 :: v_dual_lshlrev_b32 v8, 1, v15
	s_lshl_b64 s[4:5], s[24:25], 1
	v_mul_u32_u24_e32 v1, 12, v16
	s_add_nc_u64 s[4:5], s[16:17], s[4:5]
	v_bfe_u32 v12, v0, 10, 10
	v_add_nc_u64_e32 v[2:3], s[4:5], v[8:9]
	v_bfe_u32 v0, v0, 20, 10
	v_lshlrev_b32_e32 v8, 1, v1
	s_delay_alu instid0(VALU_DEP_1)
	v_add_nc_u64_e32 v[18:19], v[2:3], v[8:9]
	s_clause 0xb
	global_load_u16 v8, v[18:19], off
	global_load_u16 v10, v[18:19], off offset:64
	global_load_u16 v13, v[18:19], off offset:128
	global_load_u16 v20, v[18:19], off offset:192
	global_load_u16 v24, v[18:19], off offset:256
	global_load_u16 v7, v[18:19], off offset:320
	global_load_u16 v6, v[18:19], off offset:384
	global_load_u16 v5, v[18:19], off offset:448
	global_load_u16 v4, v[18:19], off offset:512
	global_load_u16 v3, v[18:19], off offset:576
	global_load_u16 v2, v[18:19], off offset:640
	global_load_u16 v1, v[18:19], off offset:704
	s_clause 0x1
	s_load_b32 s8, s[0:1], 0x58
	s_load_u16 s3, s[0:1], 0x66
	s_wait_xcnt 0x0
	s_bfe_u32 s0, ttmp6, 0x4000c
	s_and_b32 s1, ttmp6, 15
	s_add_co_i32 s0, s0, 1
	s_delay_alu instid0(SALU_CYCLE_1) | instskip(NEXT) | instid1(SALU_CYCLE_1)
	s_mul_i32 s0, ttmp9, s0
	s_add_co_i32 s1, s1, s0
	s_cmp_eq_u32 s28, 0
	s_cselect_b32 s0, ttmp9, s1
	s_wait_kmcnt 0x0
	s_cmp_lt_u32 s0, s8
	v_mad_u32_u24 v0, v0, s3, v12
	s_cselect_b32 s24, 12, 18
	s_lshl_b32 s9, -1, s21
	s_add_nc_u64 s[0:1], s[26:27], s[24:25]
	s_load_u16 s16, s[0:1], 0x0
	s_wait_kmcnt 0x0
	v_mad_u32 v0, v0, s16, v14
	s_delay_alu instid0(VALU_DEP_1) | instskip(NEXT) | instid1(VALU_DEP_1)
	v_lshrrev_b32_e32 v0, 5, v0
	v_lshlrev_b32_e32 v0, 2, v0
	s_wait_loadcnt 0xb
	v_cmp_gt_i16_e32 vcc_lo, 0, v8
	v_cndmask_b32_e64 v11, 0x7fff, 0, vcc_lo
	s_delay_alu instid0(VALU_DEP_1) | instskip(NEXT) | instid1(VALU_DEP_1)
	v_xor_b32_e32 v8, v11, v8
	v_cmp_ne_u16_e32 vcc_lo, 0x8000, v8
	v_cndmask_b32_e32 v11, 0x7fff, v8, vcc_lo
	s_delay_alu instid0(VALU_DEP_1) | instskip(NEXT) | instid1(VALU_DEP_1)
	v_and_b32_e32 v11, 0xffff, v11
	v_lshrrev_b32_e32 v11, s20, v11
	s_delay_alu instid0(VALU_DEP_1) | instskip(SKIP_2) | instid1(VALU_DEP_2)
	v_bitop3_b32 v12, v11, 1, s9 bitop3:0x40
	v_bitop3_b32 v18, v11, s9, v11 bitop3:0x30
	s_not_b32 s9, s9
	v_add_co_u32 v11, s0, v12, -1
	s_delay_alu instid0(VALU_DEP_1) | instskip(NEXT) | instid1(VALU_DEP_3)
	v_cndmask_b32_e64 v12, 0, 1, s0
	v_dual_lshlrev_b32 v17, 30, v18 :: v_dual_lshlrev_b32 v19, 29, v18
	v_dual_lshlrev_b32 v21, 28, v18 :: v_dual_lshlrev_b32 v22, 27, v18
	s_delay_alu instid0(VALU_DEP_3) | instskip(NEXT) | instid1(VALU_DEP_3)
	v_cmp_ne_u32_e32 vcc_lo, 0, v12
	v_not_b32_e32 v12, v17
	v_dual_lshlrev_b32 v23, 26, v18 :: v_dual_lshlrev_b32 v25, 25, v18
	v_lshlrev_b32_e32 v26, 24, v18
	v_cmp_gt_i32_e64 s0, 0, v17
	v_cmp_gt_i32_e64 s1, 0, v19
	v_not_b32_e32 v17, v19
	v_not_b32_e32 v19, v21
	v_ashrrev_i32_e32 v12, 31, v12
	v_cmp_gt_i32_e64 s3, 0, v21
	v_cmp_gt_i32_e64 s4, 0, v22
	v_not_b32_e32 v21, v22
	v_not_b32_e32 v22, v23
	v_dual_ashrrev_i32 v17, 31, v17 :: v_dual_bitop2_b32 v11, vcc_lo, v11 bitop3:0x14
	v_dual_ashrrev_i32 v19, 31, v19 :: v_dual_bitop2_b32 v12, s0, v12 bitop3:0x14
	v_cmp_gt_i32_e64 s5, 0, v23
	v_cmp_gt_i32_e64 s6, 0, v25
	v_not_b32_e32 v23, v25
	v_not_b32_e32 v25, v26
	v_dual_ashrrev_i32 v21, 31, v21 :: v_dual_ashrrev_i32 v22, 31, v22
	v_xor_b32_e32 v17, s1, v17
	v_xor_b32_e32 v19, s3, v19
	v_bitop3_b32 v11, v11, v12, exec_lo bitop3:0x80
	v_cmp_gt_i32_e64 s7, 0, v26
	v_dual_ashrrev_i32 v12, 31, v23 :: v_dual_ashrrev_i32 v23, 31, v25
	v_xor_b32_e32 v21, s4, v21
	v_xor_b32_e32 v22, s5, v22
	v_bitop3_b32 v11, v11, v19, v17 bitop3:0x80
	s_delay_alu instid0(VALU_DEP_4) | instskip(SKIP_1) | instid1(VALU_DEP_3)
	v_xor_b32_e32 v12, s6, v12
	v_xor_b32_e32 v17, s7, v23
	v_bitop3_b32 v19, v11, v22, v21 bitop3:0x80
	v_mul_u32_u24_e32 v11, 36, v14
	ds_store_2addr_b32 v11, v9, v9 offset0:16 offset1:17
	ds_store_2addr_b32 v11, v9, v9 offset0:18 offset1:19
	;; [unrolled: 1-line block ×4, first 2 shown]
	v_bitop3_b32 v17, v19, v17, v12 bitop3:0x80
	ds_store_b32 v11, v9 offset:96
	v_mad_u32_u24 v12, 0x44, v18, v0
	s_wait_storecnt 0x0
	s_wait_loadcnt_dscnt 0x0
	s_barrier_signal -1
	v_mbcnt_lo_u32_b32 v9, v17, 0
	v_cmp_ne_u32_e64 s0, 0, v17
	s_barrier_wait -1
	s_delay_alu instid0(VALU_DEP_2) | instskip(SKIP_1) | instid1(SALU_CYCLE_1)
	v_cmp_eq_u32_e32 vcc_lo, 0, v9
	; wave barrier
	s_and_b32 s1, s0, vcc_lo
	s_and_saveexec_b32 s0, s1
; %bb.102:
	v_bcnt_u32_b32 v17, v17, 0
	ds_store_b32 v12, v17 offset:64
; %bb.103:
	s_or_b32 exec_lo, exec_lo, s0
	v_cmp_gt_i16_e32 vcc_lo, 0, v10
	; wave barrier
	v_cndmask_b32_e64 v17, 0x7fff, 0, vcc_lo
	s_delay_alu instid0(VALU_DEP_1) | instskip(NEXT) | instid1(VALU_DEP_1)
	v_xor_b32_e32 v10, v17, v10
	v_cmp_ne_u16_e32 vcc_lo, 0x8000, v10
	v_cndmask_b32_e32 v17, 0x7fff, v10, vcc_lo
	s_delay_alu instid0(VALU_DEP_1) | instskip(NEXT) | instid1(VALU_DEP_1)
	v_and_b32_e32 v17, 0xffff, v17
	v_lshrrev_b32_e32 v17, s20, v17
	s_delay_alu instid0(VALU_DEP_1) | instskip(SKIP_1) | instid1(VALU_DEP_2)
	v_bitop3_b32 v18, v17, 1, s9 bitop3:0x80
	v_and_b32_e32 v17, s9, v17
	v_add_co_u32 v18, s0, v18, -1
	s_delay_alu instid0(VALU_DEP_1) | instskip(NEXT) | instid1(VALU_DEP_3)
	v_cndmask_b32_e64 v19, 0, 1, s0
	v_lshlrev_b32_e32 v21, 30, v17
	s_delay_alu instid0(VALU_DEP_2) | instskip(NEXT) | instid1(VALU_DEP_2)
	v_cmp_ne_u32_e32 vcc_lo, 0, v19
	v_not_b32_e32 v19, v21
	s_delay_alu instid0(VALU_DEP_1) | instskip(SKIP_4) | instid1(VALU_DEP_4)
	v_dual_ashrrev_i32 v19, 31, v19 :: v_dual_bitop2_b32 v18, vcc_lo, v18 bitop3:0x14
	v_dual_lshlrev_b32 v22, 29, v17 :: v_dual_lshlrev_b32 v23, 28, v17
	v_dual_lshlrev_b32 v25, 27, v17 :: v_dual_lshlrev_b32 v26, 26, v17
	v_lshlrev_b32_e32 v27, 25, v17
	v_cmp_gt_i32_e64 s0, 0, v21
	v_cmp_gt_i32_e64 s1, 0, v22
	v_not_b32_e32 v21, v22
	v_not_b32_e32 v22, v23
	v_lshlrev_b32_e32 v28, 24, v17
	v_cmp_gt_i32_e64 s3, 0, v23
	v_cmp_gt_i32_e64 s4, 0, v25
	v_not_b32_e32 v23, v25
	v_not_b32_e32 v25, v26
	v_dual_ashrrev_i32 v21, 31, v21 :: v_dual_ashrrev_i32 v22, 31, v22
	v_xor_b32_e32 v19, s0, v19
	v_cmp_gt_i32_e64 s5, 0, v26
	v_cmp_gt_i32_e64 s6, 0, v27
	v_not_b32_e32 v26, v27
	v_not_b32_e32 v27, v28
	v_dual_ashrrev_i32 v23, 31, v23 :: v_dual_bitop2_b32 v21, s1, v21 bitop3:0x14
	v_dual_ashrrev_i32 v25, 31, v25 :: v_dual_bitop2_b32 v22, s3, v22 bitop3:0x14
	s_delay_alu instid0(VALU_DEP_3) | instskip(SKIP_4) | instid1(VALU_DEP_4)
	v_ashrrev_i32_e32 v27, 31, v27
	v_bitop3_b32 v18, v18, v19, exec_lo bitop3:0x80
	v_cmp_gt_i32_e64 s7, 0, v28
	v_dual_ashrrev_i32 v26, 31, v26 :: v_dual_bitop2_b32 v23, s4, v23 bitop3:0x14
	v_xor_b32_e32 v25, s5, v25
	v_bitop3_b32 v18, v18, v22, v21 bitop3:0x80
	v_mad_u32_u24 v19, 0x44, v17, v0
	s_delay_alu instid0(VALU_DEP_4) | instskip(SKIP_1) | instid1(VALU_DEP_4)
	v_xor_b32_e32 v21, s6, v26
	v_xor_b32_e32 v22, s7, v27
	v_bitop3_b32 v18, v18, v25, v23 bitop3:0x80
	ds_load_b32 v17, v19 offset:64
	; wave barrier
	v_bitop3_b32 v21, v18, v22, v21 bitop3:0x80
	s_delay_alu instid0(VALU_DEP_1) | instskip(SKIP_1) | instid1(VALU_DEP_2)
	v_mbcnt_lo_u32_b32 v18, v21, 0
	v_cmp_ne_u32_e64 s0, 0, v21
	v_cmp_eq_u32_e32 vcc_lo, 0, v18
	s_and_b32 s1, s0, vcc_lo
	s_delay_alu instid0(SALU_CYCLE_1)
	s_and_saveexec_b32 s0, s1
	s_cbranch_execz .LBB2172_105
; %bb.104:
	s_wait_dscnt 0x0
	v_bcnt_u32_b32 v21, v21, v17
	ds_store_b32 v19, v21 offset:64
.LBB2172_105:
	s_or_b32 exec_lo, exec_lo, s0
	v_cmp_gt_i16_e32 vcc_lo, 0, v13
	; wave barrier
	v_cndmask_b32_e64 v21, 0x7fff, 0, vcc_lo
	s_delay_alu instid0(VALU_DEP_1) | instskip(NEXT) | instid1(VALU_DEP_1)
	v_xor_b32_e32 v13, v21, v13
	v_cmp_ne_u16_e32 vcc_lo, 0x8000, v13
	v_cndmask_b32_e32 v21, 0x7fff, v13, vcc_lo
	s_delay_alu instid0(VALU_DEP_1) | instskip(NEXT) | instid1(VALU_DEP_1)
	v_and_b32_e32 v21, 0xffff, v21
	v_lshrrev_b32_e32 v21, s20, v21
	s_delay_alu instid0(VALU_DEP_1) | instskip(NEXT) | instid1(VALU_DEP_1)
	v_bitop3_b32 v22, v21, 1, s9 bitop3:0x80
	v_add_co_u32 v22, s0, v22, -1
	s_delay_alu instid0(VALU_DEP_1) | instskip(NEXT) | instid1(VALU_DEP_1)
	v_cndmask_b32_e64 v23, 0, 1, s0
	v_cmp_ne_u32_e32 vcc_lo, 0, v23
	s_delay_alu instid0(VALU_DEP_3) | instskip(SKIP_1) | instid1(VALU_DEP_1)
	v_xor_b32_e32 v22, vcc_lo, v22
	v_and_b32_e32 v21, s9, v21
	v_dual_lshlrev_b32 v25, 30, v21 :: v_dual_lshlrev_b32 v26, 29, v21
	v_dual_lshlrev_b32 v27, 28, v21 :: v_dual_lshlrev_b32 v28, 27, v21
	s_delay_alu instid0(VALU_DEP_2) | instskip(SKIP_1) | instid1(VALU_DEP_4)
	v_cmp_gt_i32_e64 s0, 0, v25
	v_not_b32_e32 v23, v25
	v_cmp_gt_i32_e64 s1, 0, v26
	v_not_b32_e32 v25, v26
	;; [unrolled: 2-line block ×3, first 2 shown]
	v_not_b32_e32 v27, v28
	v_ashrrev_i32_e32 v23, 31, v23
	v_cmp_gt_i32_e64 s4, 0, v28
	s_delay_alu instid0(VALU_DEP_3) | instskip(SKIP_1) | instid1(VALU_DEP_4)
	v_dual_ashrrev_i32 v26, 31, v26 :: v_dual_ashrrev_i32 v27, 31, v27
	v_dual_lshlrev_b32 v29, 26, v21 :: v_dual_lshlrev_b32 v30, 25, v21
	v_dual_lshlrev_b32 v31, 24, v21 :: v_dual_bitop2_b32 v23, s0, v23 bitop3:0x14
	s_delay_alu instid0(VALU_DEP_3) | instskip(NEXT) | instid1(VALU_DEP_3)
	v_xor_b32_e32 v27, s4, v27
	v_not_b32_e32 v28, v29
	v_ashrrev_i32_e32 v25, 31, v25
	v_cmp_gt_i32_e64 s5, 0, v29
	v_cmp_gt_i32_e64 s6, 0, v30
	v_not_b32_e32 v29, v30
	v_not_b32_e32 v30, v31
	v_dual_ashrrev_i32 v28, 31, v28 :: v_dual_bitop2_b32 v25, s1, v25 bitop3:0x14
	s_delay_alu instid0(VALU_DEP_3) | instskip(SKIP_2) | instid1(VALU_DEP_4)
	v_dual_ashrrev_i32 v29, 31, v29 :: v_dual_bitop2_b32 v26, s3, v26 bitop3:0x14
	v_bitop3_b32 v22, v22, v23, exec_lo bitop3:0x80
	v_cmp_gt_i32_e64 s7, 0, v31
	v_dual_ashrrev_i32 v30, 31, v30 :: v_dual_bitop2_b32 v28, s5, v28 bitop3:0x14
	v_mad_u32_u24 v23, 0x44, v21, v0
	s_delay_alu instid0(VALU_DEP_4) | instskip(SKIP_1) | instid1(VALU_DEP_4)
	v_bitop3_b32 v22, v22, v26, v25 bitop3:0x80
	v_xor_b32_e32 v25, s6, v29
	v_xor_b32_e32 v26, s7, v30
	ds_load_b32 v21, v23 offset:64
	v_bitop3_b32 v22, v22, v28, v27 bitop3:0x80
	; wave barrier
	s_delay_alu instid0(VALU_DEP_1) | instskip(NEXT) | instid1(VALU_DEP_1)
	v_bitop3_b32 v25, v22, v26, v25 bitop3:0x80
	v_mbcnt_lo_u32_b32 v22, v25, 0
	v_cmp_ne_u32_e64 s0, 0, v25
	s_delay_alu instid0(VALU_DEP_2) | instskip(SKIP_1) | instid1(SALU_CYCLE_1)
	v_cmp_eq_u32_e32 vcc_lo, 0, v22
	s_and_b32 s1, s0, vcc_lo
	s_and_saveexec_b32 s0, s1
	s_cbranch_execz .LBB2172_107
; %bb.106:
	s_wait_dscnt 0x0
	v_bcnt_u32_b32 v25, v25, v21
	ds_store_b32 v23, v25 offset:64
.LBB2172_107:
	s_or_b32 exec_lo, exec_lo, s0
	v_cmp_gt_i16_e32 vcc_lo, 0, v20
	; wave barrier
	v_cndmask_b32_e64 v25, 0x7fff, 0, vcc_lo
	s_delay_alu instid0(VALU_DEP_1) | instskip(NEXT) | instid1(VALU_DEP_1)
	v_xor_b32_e32 v20, v25, v20
	v_cmp_ne_u16_e32 vcc_lo, 0x8000, v20
	v_cndmask_b32_e32 v25, 0x7fff, v20, vcc_lo
	s_delay_alu instid0(VALU_DEP_1) | instskip(NEXT) | instid1(VALU_DEP_1)
	v_and_b32_e32 v25, 0xffff, v25
	v_lshrrev_b32_e32 v25, s20, v25
	s_delay_alu instid0(VALU_DEP_1) | instskip(SKIP_1) | instid1(VALU_DEP_2)
	v_bitop3_b32 v26, v25, 1, s9 bitop3:0x80
	v_and_b32_e32 v25, s9, v25
	v_add_co_u32 v26, s0, v26, -1
	s_delay_alu instid0(VALU_DEP_1) | instskip(NEXT) | instid1(VALU_DEP_3)
	v_cndmask_b32_e64 v27, 0, 1, s0
	v_lshlrev_b32_e32 v28, 30, v25
	s_delay_alu instid0(VALU_DEP_2) | instskip(NEXT) | instid1(VALU_DEP_2)
	v_cmp_ne_u32_e32 vcc_lo, 0, v27
	v_not_b32_e32 v27, v28
	s_delay_alu instid0(VALU_DEP_1) | instskip(SKIP_4) | instid1(VALU_DEP_4)
	v_dual_ashrrev_i32 v27, 31, v27 :: v_dual_bitop2_b32 v26, vcc_lo, v26 bitop3:0x14
	v_dual_lshlrev_b32 v29, 29, v25 :: v_dual_lshlrev_b32 v30, 28, v25
	v_dual_lshlrev_b32 v31, 27, v25 :: v_dual_lshlrev_b32 v32, 26, v25
	v_lshlrev_b32_e32 v33, 25, v25
	v_cmp_gt_i32_e64 s0, 0, v28
	v_cmp_gt_i32_e64 s1, 0, v29
	v_not_b32_e32 v28, v29
	v_not_b32_e32 v29, v30
	v_lshlrev_b32_e32 v34, 24, v25
	v_cmp_gt_i32_e64 s3, 0, v30
	v_cmp_gt_i32_e64 s4, 0, v31
	v_not_b32_e32 v30, v31
	v_cmp_gt_i32_e64 s5, 0, v32
	v_not_b32_e32 v31, v32
	v_not_b32_e32 v32, v33
	v_dual_ashrrev_i32 v28, 31, v28 :: v_dual_ashrrev_i32 v29, 31, v29
	v_xor_b32_e32 v27, s0, v27
	v_cmp_gt_i32_e64 s6, 0, v33
	v_not_b32_e32 v33, v34
	v_dual_ashrrev_i32 v30, 31, v30 :: v_dual_ashrrev_i32 v31, 31, v31
	v_xor_b32_e32 v28, s1, v28
	v_dual_ashrrev_i32 v32, 31, v32 :: v_dual_bitop2_b32 v29, s3, v29 bitop3:0x14
	v_bitop3_b32 v26, v26, v27, exec_lo bitop3:0x80
	v_cmp_gt_i32_e64 s7, 0, v34
	v_dual_ashrrev_i32 v33, 31, v33 :: v_dual_bitop2_b32 v30, s4, v30 bitop3:0x14
	v_xor_b32_e32 v31, s5, v31
	s_delay_alu instid0(VALU_DEP_4) | instskip(SKIP_3) | instid1(VALU_DEP_4)
	v_bitop3_b32 v26, v26, v29, v28 bitop3:0x80
	v_mad_u32_u24 v27, 0x44, v25, v0
	v_xor_b32_e32 v28, s6, v32
	v_xor_b32_e32 v29, s7, v33
	v_bitop3_b32 v26, v26, v31, v30 bitop3:0x80
	ds_load_b32 v25, v27 offset:64
	; wave barrier
	v_bitop3_b32 v28, v26, v29, v28 bitop3:0x80
	s_delay_alu instid0(VALU_DEP_1) | instskip(SKIP_1) | instid1(VALU_DEP_2)
	v_mbcnt_lo_u32_b32 v26, v28, 0
	v_cmp_ne_u32_e64 s0, 0, v28
	v_cmp_eq_u32_e32 vcc_lo, 0, v26
	s_and_b32 s1, s0, vcc_lo
	s_delay_alu instid0(SALU_CYCLE_1)
	s_and_saveexec_b32 s0, s1
	s_cbranch_execz .LBB2172_109
; %bb.108:
	s_wait_dscnt 0x0
	v_bcnt_u32_b32 v28, v28, v25
	ds_store_b32 v27, v28 offset:64
.LBB2172_109:
	s_or_b32 exec_lo, exec_lo, s0
	v_cmp_gt_i16_e32 vcc_lo, 0, v24
	; wave barrier
	v_cndmask_b32_e64 v28, 0x7fff, 0, vcc_lo
	s_delay_alu instid0(VALU_DEP_1) | instskip(NEXT) | instid1(VALU_DEP_1)
	v_xor_b32_e32 v24, v28, v24
	v_cmp_ne_u16_e32 vcc_lo, 0x8000, v24
	v_cndmask_b32_e32 v28, 0x7fff, v24, vcc_lo
	s_delay_alu instid0(VALU_DEP_1) | instskip(NEXT) | instid1(VALU_DEP_1)
	v_and_b32_e32 v28, 0xffff, v28
	v_lshrrev_b32_e32 v28, s20, v28
	s_delay_alu instid0(VALU_DEP_1) | instskip(NEXT) | instid1(VALU_DEP_1)
	v_bitop3_b32 v29, v28, 1, s9 bitop3:0x80
	v_add_co_u32 v29, s0, v29, -1
	s_delay_alu instid0(VALU_DEP_1) | instskip(NEXT) | instid1(VALU_DEP_1)
	v_cndmask_b32_e64 v30, 0, 1, s0
	v_cmp_ne_u32_e32 vcc_lo, 0, v30
	s_delay_alu instid0(VALU_DEP_3) | instskip(SKIP_1) | instid1(VALU_DEP_1)
	v_xor_b32_e32 v29, vcc_lo, v29
	v_and_b32_e32 v28, s9, v28
	v_dual_lshlrev_b32 v31, 30, v28 :: v_dual_lshlrev_b32 v32, 29, v28
	v_dual_lshlrev_b32 v33, 28, v28 :: v_dual_lshlrev_b32 v34, 27, v28
	s_delay_alu instid0(VALU_DEP_2) | instskip(SKIP_1) | instid1(VALU_DEP_4)
	v_cmp_gt_i32_e64 s0, 0, v31
	v_not_b32_e32 v30, v31
	v_cmp_gt_i32_e64 s1, 0, v32
	v_not_b32_e32 v31, v32
	;; [unrolled: 2-line block ×3, first 2 shown]
	v_not_b32_e32 v33, v34
	v_ashrrev_i32_e32 v30, 31, v30
	v_cmp_gt_i32_e64 s4, 0, v34
	s_delay_alu instid0(VALU_DEP_3) | instskip(SKIP_1) | instid1(VALU_DEP_4)
	v_dual_ashrrev_i32 v31, 31, v31 :: v_dual_ashrrev_i32 v33, 31, v33
	v_dual_lshlrev_b32 v35, 26, v28 :: v_dual_lshlrev_b32 v36, 25, v28
	v_dual_lshlrev_b32 v37, 24, v28 :: v_dual_bitop2_b32 v30, s0, v30 bitop3:0x14
	s_delay_alu instid0(VALU_DEP_3) | instskip(NEXT) | instid1(VALU_DEP_3)
	v_xor_b32_e32 v33, s4, v33
	v_not_b32_e32 v34, v35
	v_ashrrev_i32_e32 v32, 31, v32
	v_cmp_gt_i32_e64 s5, 0, v35
	v_cmp_gt_i32_e64 s6, 0, v36
	v_not_b32_e32 v35, v36
	v_not_b32_e32 v36, v37
	v_dual_ashrrev_i32 v34, 31, v34 :: v_dual_bitop2_b32 v31, s1, v31 bitop3:0x14
	v_xor_b32_e32 v32, s3, v32
	v_bitop3_b32 v29, v29, v30, exec_lo bitop3:0x80
	v_cmp_gt_i32_e64 s7, 0, v37
	v_dual_ashrrev_i32 v30, 31, v35 :: v_dual_ashrrev_i32 v35, 31, v36
	v_xor_b32_e32 v34, s5, v34
	s_delay_alu instid0(VALU_DEP_4) | instskip(SKIP_1) | instid1(VALU_DEP_4)
	v_bitop3_b32 v29, v29, v32, v31 bitop3:0x80
	v_mad_u32_u24 v31, 0x44, v28, v0
	v_xor_b32_e32 v30, s6, v30
	v_xor_b32_e32 v32, s7, v35
	s_delay_alu instid0(VALU_DEP_4) | instskip(SKIP_2) | instid1(VALU_DEP_1)
	v_bitop3_b32 v29, v29, v34, v33 bitop3:0x80
	ds_load_b32 v28, v31 offset:64
	; wave barrier
	v_bitop3_b32 v29, v29, v32, v30 bitop3:0x80
	v_mbcnt_lo_u32_b32 v30, v29, 0
	v_cmp_ne_u32_e64 s0, 0, v29
	s_delay_alu instid0(VALU_DEP_2) | instskip(SKIP_1) | instid1(SALU_CYCLE_1)
	v_cmp_eq_u32_e32 vcc_lo, 0, v30
	s_and_b32 s1, s0, vcc_lo
	s_and_saveexec_b32 s0, s1
	s_cbranch_execz .LBB2172_111
; %bb.110:
	s_wait_dscnt 0x0
	v_bcnt_u32_b32 v29, v29, v28
	ds_store_b32 v31, v29 offset:64
.LBB2172_111:
	s_or_b32 exec_lo, exec_lo, s0
	v_cmp_gt_i16_e32 vcc_lo, 0, v7
	; wave barrier
	v_cndmask_b32_e64 v29, 0x7fff, 0, vcc_lo
	s_delay_alu instid0(VALU_DEP_1) | instskip(NEXT) | instid1(VALU_DEP_1)
	v_xor_b32_e32 v29, v29, v7
	v_cmp_ne_u16_e32 vcc_lo, 0x8000, v29
	v_cndmask_b32_e32 v7, 0x7fff, v29, vcc_lo
	s_delay_alu instid0(VALU_DEP_1) | instskip(NEXT) | instid1(VALU_DEP_1)
	v_and_b32_e32 v7, 0xffff, v7
	v_lshrrev_b32_e32 v7, s20, v7
	s_delay_alu instid0(VALU_DEP_1) | instskip(SKIP_1) | instid1(VALU_DEP_2)
	v_bitop3_b32 v32, v7, 1, s9 bitop3:0x80
	v_and_b32_e32 v7, s9, v7
	v_add_co_u32 v32, s0, v32, -1
	s_delay_alu instid0(VALU_DEP_1) | instskip(NEXT) | instid1(VALU_DEP_3)
	v_cndmask_b32_e64 v33, 0, 1, s0
	v_lshlrev_b32_e32 v34, 30, v7
	s_delay_alu instid0(VALU_DEP_2) | instskip(NEXT) | instid1(VALU_DEP_2)
	v_cmp_ne_u32_e32 vcc_lo, 0, v33
	v_not_b32_e32 v33, v34
	s_delay_alu instid0(VALU_DEP_1) | instskip(SKIP_4) | instid1(VALU_DEP_4)
	v_dual_ashrrev_i32 v33, 31, v33 :: v_dual_bitop2_b32 v32, vcc_lo, v32 bitop3:0x14
	v_dual_lshlrev_b32 v35, 29, v7 :: v_dual_lshlrev_b32 v36, 28, v7
	v_dual_lshlrev_b32 v37, 27, v7 :: v_dual_lshlrev_b32 v38, 26, v7
	v_lshlrev_b32_e32 v39, 25, v7
	v_cmp_gt_i32_e64 s0, 0, v34
	v_cmp_gt_i32_e64 s1, 0, v35
	v_not_b32_e32 v34, v35
	v_not_b32_e32 v35, v36
	v_lshlrev_b32_e32 v40, 24, v7
	v_cmp_gt_i32_e64 s3, 0, v36
	v_cmp_gt_i32_e64 s4, 0, v37
	v_not_b32_e32 v36, v37
	v_not_b32_e32 v37, v38
	v_dual_ashrrev_i32 v34, 31, v34 :: v_dual_ashrrev_i32 v35, 31, v35
	v_xor_b32_e32 v33, s0, v33
	v_cmp_gt_i32_e64 s5, 0, v38
	v_cmp_gt_i32_e64 s6, 0, v39
	v_not_b32_e32 v38, v39
	v_not_b32_e32 v39, v40
	v_dual_ashrrev_i32 v36, 31, v36 :: v_dual_ashrrev_i32 v37, 31, v37
	v_xor_b32_e32 v34, s1, v34
	v_xor_b32_e32 v35, s3, v35
	v_bitop3_b32 v32, v32, v33, exec_lo bitop3:0x80
	v_cmp_gt_i32_e64 s7, 0, v40
	v_dual_ashrrev_i32 v33, 31, v38 :: v_dual_ashrrev_i32 v38, 31, v39
	v_xor_b32_e32 v36, s4, v36
	v_xor_b32_e32 v37, s5, v37
	v_bitop3_b32 v32, v32, v35, v34 bitop3:0x80
	v_mad_u32_u24 v35, 0x44, v7, v0
	v_xor_b32_e32 v7, s6, v33
	v_xor_b32_e32 v33, s7, v38
	s_delay_alu instid0(VALU_DEP_4) | instskip(SKIP_2) | instid1(VALU_DEP_1)
	v_bitop3_b32 v34, v32, v37, v36 bitop3:0x80
	ds_load_b32 v32, v35 offset:64
	; wave barrier
	v_bitop3_b32 v7, v34, v33, v7 bitop3:0x80
	v_mbcnt_lo_u32_b32 v33, v7, 0
	v_cmp_ne_u32_e64 s0, 0, v7
	s_delay_alu instid0(VALU_DEP_2) | instskip(SKIP_1) | instid1(SALU_CYCLE_1)
	v_cmp_eq_u32_e32 vcc_lo, 0, v33
	s_and_b32 s1, s0, vcc_lo
	s_and_saveexec_b32 s0, s1
	s_cbranch_execz .LBB2172_113
; %bb.112:
	s_wait_dscnt 0x0
	v_bcnt_u32_b32 v7, v7, v32
	ds_store_b32 v35, v7 offset:64
.LBB2172_113:
	s_or_b32 exec_lo, exec_lo, s0
	v_cmp_gt_i16_e32 vcc_lo, 0, v6
	; wave barrier
	v_cndmask_b32_e64 v7, 0x7fff, 0, vcc_lo
	s_delay_alu instid0(VALU_DEP_1) | instskip(NEXT) | instid1(VALU_DEP_1)
	v_xor_b32_e32 v34, v7, v6
	v_cmp_ne_u16_e32 vcc_lo, 0x8000, v34
	v_cndmask_b32_e32 v6, 0x7fff, v34, vcc_lo
	s_delay_alu instid0(VALU_DEP_1) | instskip(NEXT) | instid1(VALU_DEP_1)
	v_and_b32_e32 v6, 0xffff, v6
	v_lshrrev_b32_e32 v6, s20, v6
	s_delay_alu instid0(VALU_DEP_1) | instskip(SKIP_1) | instid1(VALU_DEP_2)
	v_bitop3_b32 v7, v6, 1, s9 bitop3:0x80
	v_and_b32_e32 v6, s9, v6
	v_add_co_u32 v7, s0, v7, -1
	s_delay_alu instid0(VALU_DEP_1) | instskip(NEXT) | instid1(VALU_DEP_3)
	v_cndmask_b32_e64 v36, 0, 1, s0
	v_lshlrev_b32_e32 v37, 30, v6
	s_delay_alu instid0(VALU_DEP_2) | instskip(NEXT) | instid1(VALU_DEP_2)
	v_cmp_ne_u32_e32 vcc_lo, 0, v36
	v_not_b32_e32 v36, v37
	s_delay_alu instid0(VALU_DEP_1) | instskip(SKIP_4) | instid1(VALU_DEP_4)
	v_dual_ashrrev_i32 v36, 31, v36 :: v_dual_bitop2_b32 v7, vcc_lo, v7 bitop3:0x14
	v_dual_lshlrev_b32 v38, 29, v6 :: v_dual_lshlrev_b32 v39, 28, v6
	v_dual_lshlrev_b32 v40, 27, v6 :: v_dual_lshlrev_b32 v41, 26, v6
	v_lshlrev_b32_e32 v42, 25, v6
	v_cmp_gt_i32_e64 s0, 0, v37
	v_cmp_gt_i32_e64 s1, 0, v38
	v_not_b32_e32 v37, v38
	v_not_b32_e32 v38, v39
	v_lshlrev_b32_e32 v43, 24, v6
	v_cmp_gt_i32_e64 s3, 0, v39
	v_cmp_gt_i32_e64 s4, 0, v40
	v_not_b32_e32 v39, v40
	v_not_b32_e32 v40, v41
	v_dual_ashrrev_i32 v37, 31, v37 :: v_dual_ashrrev_i32 v38, 31, v38
	v_xor_b32_e32 v36, s0, v36
	v_cmp_gt_i32_e64 s5, 0, v41
	v_cmp_gt_i32_e64 s6, 0, v42
	v_not_b32_e32 v41, v42
	v_not_b32_e32 v42, v43
	v_dual_ashrrev_i32 v39, 31, v39 :: v_dual_ashrrev_i32 v40, 31, v40
	v_xor_b32_e32 v37, s1, v37
	v_xor_b32_e32 v38, s3, v38
	v_bitop3_b32 v7, v7, v36, exec_lo bitop3:0x80
	v_cmp_gt_i32_e64 s7, 0, v43
	v_dual_ashrrev_i32 v36, 31, v41 :: v_dual_ashrrev_i32 v41, 31, v42
	v_xor_b32_e32 v42, s4, v39
	v_xor_b32_e32 v40, s5, v40
	v_bitop3_b32 v7, v7, v38, v37 bitop3:0x80
	v_mad_u32_u24 v39, 0x44, v6, v0
	v_xor_b32_e32 v6, s6, v36
	v_xor_b32_e32 v36, s7, v41
	s_delay_alu instid0(VALU_DEP_4) | instskip(SKIP_2) | instid1(VALU_DEP_1)
	v_bitop3_b32 v7, v7, v40, v42 bitop3:0x80
	ds_load_b32 v37, v39 offset:64
	; wave barrier
	v_bitop3_b32 v6, v7, v36, v6 bitop3:0x80
	v_mbcnt_lo_u32_b32 v38, v6, 0
	v_cmp_ne_u32_e64 s0, 0, v6
	s_delay_alu instid0(VALU_DEP_2) | instskip(SKIP_1) | instid1(SALU_CYCLE_1)
	v_cmp_eq_u32_e32 vcc_lo, 0, v38
	s_and_b32 s1, s0, vcc_lo
	s_and_saveexec_b32 s0, s1
	s_cbranch_execz .LBB2172_115
; %bb.114:
	s_wait_dscnt 0x0
	v_bcnt_u32_b32 v6, v6, v37
	ds_store_b32 v39, v6 offset:64
.LBB2172_115:
	s_or_b32 exec_lo, exec_lo, s0
	v_cmp_gt_i16_e32 vcc_lo, 0, v5
	; wave barrier
	v_cndmask_b32_e64 v6, 0x7fff, 0, vcc_lo
	s_delay_alu instid0(VALU_DEP_1) | instskip(NEXT) | instid1(VALU_DEP_1)
	v_xor_b32_e32 v36, v6, v5
	v_cmp_ne_u16_e32 vcc_lo, 0x8000, v36
	v_cndmask_b32_e32 v5, 0x7fff, v36, vcc_lo
	s_delay_alu instid0(VALU_DEP_1) | instskip(NEXT) | instid1(VALU_DEP_1)
	v_and_b32_e32 v5, 0xffff, v5
	v_lshrrev_b32_e32 v5, s20, v5
	s_delay_alu instid0(VALU_DEP_1) | instskip(SKIP_1) | instid1(VALU_DEP_2)
	v_bitop3_b32 v6, v5, 1, s9 bitop3:0x80
	v_and_b32_e32 v5, s9, v5
	v_add_co_u32 v6, s0, v6, -1
	s_delay_alu instid0(VALU_DEP_1) | instskip(NEXT) | instid1(VALU_DEP_3)
	v_cndmask_b32_e64 v7, 0, 1, s0
	v_lshlrev_b32_e32 v40, 30, v5
	s_delay_alu instid0(VALU_DEP_2) | instskip(NEXT) | instid1(VALU_DEP_2)
	v_cmp_ne_u32_e32 vcc_lo, 0, v7
	v_not_b32_e32 v7, v40
	s_delay_alu instid0(VALU_DEP_1) | instskip(SKIP_4) | instid1(VALU_DEP_4)
	v_dual_ashrrev_i32 v7, 31, v7 :: v_dual_bitop2_b32 v6, vcc_lo, v6 bitop3:0x14
	v_dual_lshlrev_b32 v41, 29, v5 :: v_dual_lshlrev_b32 v42, 28, v5
	v_dual_lshlrev_b32 v43, 27, v5 :: v_dual_lshlrev_b32 v44, 26, v5
	;; [unrolled: 1-line block ×3, first 2 shown]
	v_cmp_gt_i32_e64 s0, 0, v40
	v_cmp_gt_i32_e64 s1, 0, v41
	v_not_b32_e32 v40, v41
	v_not_b32_e32 v41, v42
	v_cmp_gt_i32_e64 s3, 0, v42
	v_cmp_gt_i32_e64 s4, 0, v43
	v_not_b32_e32 v42, v43
	v_cmp_gt_i32_e64 s5, 0, v44
	v_not_b32_e32 v43, v44
	;; [unrolled: 2-line block ×3, first 2 shown]
	v_not_b32_e32 v45, v46
	v_dual_ashrrev_i32 v40, 31, v40 :: v_dual_ashrrev_i32 v41, 31, v41
	v_dual_ashrrev_i32 v42, 31, v42 :: v_dual_bitop2_b32 v7, s0, v7 bitop3:0x14
	s_delay_alu instid0(VALU_DEP_2) | instskip(NEXT) | instid1(VALU_DEP_3)
	v_dual_ashrrev_i32 v43, 31, v43 :: v_dual_bitop2_b32 v40, s1, v40 bitop3:0x14
	v_xor_b32_e32 v41, s3, v41
	s_delay_alu instid0(VALU_DEP_3)
	v_bitop3_b32 v6, v6, v7, exec_lo bitop3:0x80
	v_cmp_gt_i32_e64 s7, 0, v46
	v_dual_ashrrev_i32 v7, 31, v44 :: v_dual_ashrrev_i32 v44, 31, v45
	v_xor_b32_e32 v42, s4, v42
	v_xor_b32_e32 v45, s5, v43
	v_bitop3_b32 v6, v6, v41, v40 bitop3:0x80
	v_mad_u32_u24 v43, 0x44, v5, v0
	v_xor_b32_e32 v5, s6, v7
	v_xor_b32_e32 v7, s7, v44
	s_delay_alu instid0(VALU_DEP_4) | instskip(SKIP_2) | instid1(VALU_DEP_1)
	v_bitop3_b32 v6, v6, v45, v42 bitop3:0x80
	ds_load_b32 v41, v43 offset:64
	; wave barrier
	v_bitop3_b32 v5, v6, v7, v5 bitop3:0x80
	v_mbcnt_lo_u32_b32 v42, v5, 0
	v_cmp_ne_u32_e64 s0, 0, v5
	s_delay_alu instid0(VALU_DEP_2) | instskip(SKIP_1) | instid1(SALU_CYCLE_1)
	v_cmp_eq_u32_e32 vcc_lo, 0, v42
	s_and_b32 s1, s0, vcc_lo
	s_and_saveexec_b32 s0, s1
	s_cbranch_execz .LBB2172_117
; %bb.116:
	s_wait_dscnt 0x0
	v_bcnt_u32_b32 v5, v5, v41
	ds_store_b32 v43, v5 offset:64
.LBB2172_117:
	s_or_b32 exec_lo, exec_lo, s0
	v_cmp_gt_i16_e32 vcc_lo, 0, v4
	; wave barrier
	v_cndmask_b32_e64 v5, 0x7fff, 0, vcc_lo
	s_delay_alu instid0(VALU_DEP_1) | instskip(NEXT) | instid1(VALU_DEP_1)
	v_xor_b32_e32 v40, v5, v4
	v_cmp_ne_u16_e32 vcc_lo, 0x8000, v40
	v_cndmask_b32_e32 v4, 0x7fff, v40, vcc_lo
	s_delay_alu instid0(VALU_DEP_1) | instskip(NEXT) | instid1(VALU_DEP_1)
	v_and_b32_e32 v4, 0xffff, v4
	v_lshrrev_b32_e32 v4, s20, v4
	s_delay_alu instid0(VALU_DEP_1) | instskip(SKIP_1) | instid1(VALU_DEP_2)
	v_bitop3_b32 v5, v4, 1, s9 bitop3:0x80
	v_and_b32_e32 v4, s9, v4
	v_add_co_u32 v5, s0, v5, -1
	s_delay_alu instid0(VALU_DEP_1) | instskip(NEXT) | instid1(VALU_DEP_3)
	v_cndmask_b32_e64 v6, 0, 1, s0
	v_lshlrev_b32_e32 v7, 30, v4
	s_delay_alu instid0(VALU_DEP_2) | instskip(NEXT) | instid1(VALU_DEP_2)
	v_cmp_ne_u32_e32 vcc_lo, 0, v6
	v_not_b32_e32 v6, v7
	s_delay_alu instid0(VALU_DEP_1) | instskip(SKIP_4) | instid1(VALU_DEP_4)
	v_dual_ashrrev_i32 v6, 31, v6 :: v_dual_bitop2_b32 v5, vcc_lo, v5 bitop3:0x14
	v_dual_lshlrev_b32 v44, 29, v4 :: v_dual_lshlrev_b32 v45, 28, v4
	v_dual_lshlrev_b32 v46, 27, v4 :: v_dual_lshlrev_b32 v47, 26, v4
	v_lshlrev_b32_e32 v48, 25, v4
	v_cmp_gt_i32_e64 s0, 0, v7
	v_cmp_gt_i32_e64 s1, 0, v44
	v_not_b32_e32 v7, v44
	v_not_b32_e32 v44, v45
	v_lshlrev_b32_e32 v49, 24, v4
	v_cmp_gt_i32_e64 s3, 0, v45
	v_cmp_gt_i32_e64 s4, 0, v46
	v_not_b32_e32 v45, v46
	v_not_b32_e32 v46, v47
	v_dual_ashrrev_i32 v7, 31, v7 :: v_dual_ashrrev_i32 v44, 31, v44
	v_xor_b32_e32 v6, s0, v6
	v_cmp_gt_i32_e64 s5, 0, v47
	v_cmp_gt_i32_e64 s6, 0, v48
	v_not_b32_e32 v47, v48
	v_not_b32_e32 v48, v49
	v_dual_ashrrev_i32 v45, 31, v45 :: v_dual_ashrrev_i32 v46, 31, v46
	v_xor_b32_e32 v7, s1, v7
	v_xor_b32_e32 v44, s3, v44
	v_bitop3_b32 v5, v5, v6, exec_lo bitop3:0x80
	v_cmp_gt_i32_e64 s7, 0, v49
	v_dual_ashrrev_i32 v6, 31, v47 :: v_dual_ashrrev_i32 v48, 31, v48
	v_xor_b32_e32 v45, s4, v45
	v_xor_b32_e32 v46, s5, v46
	v_bitop3_b32 v5, v5, v44, v7 bitop3:0x80
	v_mad_u32_u24 v47, 0x44, v4, v0
	v_xor_b32_e32 v4, s6, v6
	v_xor_b32_e32 v6, s7, v48
	s_delay_alu instid0(VALU_DEP_4) | instskip(SKIP_2) | instid1(VALU_DEP_1)
	v_bitop3_b32 v5, v5, v46, v45 bitop3:0x80
	ds_load_b32 v45, v47 offset:64
	; wave barrier
	v_bitop3_b32 v4, v5, v6, v4 bitop3:0x80
	v_mbcnt_lo_u32_b32 v46, v4, 0
	v_cmp_ne_u32_e64 s0, 0, v4
	s_delay_alu instid0(VALU_DEP_2) | instskip(SKIP_1) | instid1(SALU_CYCLE_1)
	v_cmp_eq_u32_e32 vcc_lo, 0, v46
	s_and_b32 s1, s0, vcc_lo
	s_and_saveexec_b32 s0, s1
	s_cbranch_execz .LBB2172_119
; %bb.118:
	s_wait_dscnt 0x0
	v_bcnt_u32_b32 v4, v4, v45
	ds_store_b32 v47, v4 offset:64
.LBB2172_119:
	s_or_b32 exec_lo, exec_lo, s0
	v_cmp_gt_i16_e32 vcc_lo, 0, v3
	; wave barrier
	v_cndmask_b32_e64 v4, 0x7fff, 0, vcc_lo
	s_delay_alu instid0(VALU_DEP_1) | instskip(NEXT) | instid1(VALU_DEP_1)
	v_xor_b32_e32 v44, v4, v3
	v_cmp_ne_u16_e32 vcc_lo, 0x8000, v44
	v_cndmask_b32_e32 v3, 0x7fff, v44, vcc_lo
	s_delay_alu instid0(VALU_DEP_1) | instskip(NEXT) | instid1(VALU_DEP_1)
	v_and_b32_e32 v3, 0xffff, v3
	v_lshrrev_b32_e32 v3, s20, v3
	s_delay_alu instid0(VALU_DEP_1) | instskip(SKIP_1) | instid1(VALU_DEP_2)
	v_bitop3_b32 v4, v3, 1, s9 bitop3:0x80
	v_and_b32_e32 v3, s9, v3
	v_add_co_u32 v4, s0, v4, -1
	s_delay_alu instid0(VALU_DEP_1) | instskip(NEXT) | instid1(VALU_DEP_3)
	v_cndmask_b32_e64 v5, 0, 1, s0
	v_lshlrev_b32_e32 v6, 30, v3
	s_delay_alu instid0(VALU_DEP_2) | instskip(NEXT) | instid1(VALU_DEP_2)
	v_cmp_ne_u32_e32 vcc_lo, 0, v5
	v_not_b32_e32 v5, v6
	s_delay_alu instid0(VALU_DEP_1) | instskip(SKIP_4) | instid1(VALU_DEP_4)
	v_dual_ashrrev_i32 v5, 31, v5 :: v_dual_bitop2_b32 v4, vcc_lo, v4 bitop3:0x14
	v_dual_lshlrev_b32 v7, 29, v3 :: v_dual_lshlrev_b32 v48, 28, v3
	v_dual_lshlrev_b32 v49, 27, v3 :: v_dual_lshlrev_b32 v50, 26, v3
	v_lshlrev_b32_e32 v51, 25, v3
	v_cmp_gt_i32_e64 s0, 0, v6
	v_cmp_gt_i32_e64 s1, 0, v7
	v_not_b32_e32 v6, v7
	v_not_b32_e32 v7, v48
	v_lshlrev_b32_e32 v52, 24, v3
	v_cmp_gt_i32_e64 s3, 0, v48
	v_cmp_gt_i32_e64 s4, 0, v49
	v_not_b32_e32 v48, v49
	v_not_b32_e32 v49, v50
	v_dual_ashrrev_i32 v6, 31, v6 :: v_dual_ashrrev_i32 v7, 31, v7
	v_xor_b32_e32 v5, s0, v5
	v_cmp_gt_i32_e64 s5, 0, v50
	v_cmp_gt_i32_e64 s6, 0, v51
	v_not_b32_e32 v50, v51
	v_not_b32_e32 v51, v52
	v_dual_ashrrev_i32 v48, 31, v48 :: v_dual_ashrrev_i32 v49, 31, v49
	v_xor_b32_e32 v6, s1, v6
	v_xor_b32_e32 v7, s3, v7
	v_bitop3_b32 v4, v4, v5, exec_lo bitop3:0x80
	v_cmp_gt_i32_e64 s7, 0, v52
	v_dual_ashrrev_i32 v5, 31, v50 :: v_dual_ashrrev_i32 v50, 31, v51
	v_xor_b32_e32 v48, s4, v48
	v_xor_b32_e32 v49, s5, v49
	v_bitop3_b32 v4, v4, v7, v6 bitop3:0x80
	v_mad_u32_u24 v51, 0x44, v3, v0
	v_xor_b32_e32 v3, s6, v5
	v_xor_b32_e32 v5, s7, v50
	s_delay_alu instid0(VALU_DEP_4) | instskip(SKIP_2) | instid1(VALU_DEP_1)
	v_bitop3_b32 v4, v4, v49, v48 bitop3:0x80
	ds_load_b32 v48, v51 offset:64
	; wave barrier
	v_bitop3_b32 v3, v4, v5, v3 bitop3:0x80
	v_mbcnt_lo_u32_b32 v50, v3, 0
	v_cmp_ne_u32_e64 s0, 0, v3
	s_delay_alu instid0(VALU_DEP_2) | instskip(SKIP_1) | instid1(SALU_CYCLE_1)
	v_cmp_eq_u32_e32 vcc_lo, 0, v50
	s_and_b32 s1, s0, vcc_lo
	s_and_saveexec_b32 s0, s1
	s_cbranch_execz .LBB2172_121
; %bb.120:
	s_wait_dscnt 0x0
	v_bcnt_u32_b32 v3, v3, v48
	ds_store_b32 v51, v3 offset:64
.LBB2172_121:
	s_or_b32 exec_lo, exec_lo, s0
	v_cmp_gt_i16_e32 vcc_lo, 0, v2
	; wave barrier
	v_cndmask_b32_e64 v3, 0x7fff, 0, vcc_lo
	s_delay_alu instid0(VALU_DEP_1) | instskip(NEXT) | instid1(VALU_DEP_1)
	v_xor_b32_e32 v49, v3, v2
	v_cmp_ne_u16_e32 vcc_lo, 0x8000, v49
	v_cndmask_b32_e32 v2, 0x7fff, v49, vcc_lo
	s_delay_alu instid0(VALU_DEP_1) | instskip(NEXT) | instid1(VALU_DEP_1)
	v_and_b32_e32 v2, 0xffff, v2
	v_lshrrev_b32_e32 v2, s20, v2
	s_delay_alu instid0(VALU_DEP_1) | instskip(SKIP_1) | instid1(VALU_DEP_2)
	v_bitop3_b32 v3, v2, 1, s9 bitop3:0x80
	v_and_b32_e32 v2, s9, v2
	v_add_co_u32 v3, s0, v3, -1
	s_delay_alu instid0(VALU_DEP_1) | instskip(NEXT) | instid1(VALU_DEP_3)
	v_cndmask_b32_e64 v4, 0, 1, s0
	v_lshlrev_b32_e32 v5, 30, v2
	s_delay_alu instid0(VALU_DEP_2) | instskip(NEXT) | instid1(VALU_DEP_2)
	v_cmp_ne_u32_e32 vcc_lo, 0, v4
	v_not_b32_e32 v4, v5
	s_delay_alu instid0(VALU_DEP_1) | instskip(SKIP_4) | instid1(VALU_DEP_4)
	v_dual_ashrrev_i32 v4, 31, v4 :: v_dual_bitop2_b32 v3, vcc_lo, v3 bitop3:0x14
	v_dual_lshlrev_b32 v6, 29, v2 :: v_dual_lshlrev_b32 v7, 28, v2
	v_dual_lshlrev_b32 v52, 27, v2 :: v_dual_lshlrev_b32 v53, 26, v2
	;; [unrolled: 1-line block ×3, first 2 shown]
	v_cmp_gt_i32_e64 s0, 0, v5
	v_cmp_gt_i32_e64 s1, 0, v6
	v_not_b32_e32 v5, v6
	v_not_b32_e32 v6, v7
	v_cmp_gt_i32_e64 s3, 0, v7
	v_cmp_gt_i32_e64 s4, 0, v52
	v_not_b32_e32 v7, v52
	v_cmp_gt_i32_e64 s5, 0, v53
	v_not_b32_e32 v52, v53
	;; [unrolled: 2-line block ×3, first 2 shown]
	v_not_b32_e32 v54, v55
	v_dual_ashrrev_i32 v5, 31, v5 :: v_dual_ashrrev_i32 v6, 31, v6
	v_dual_ashrrev_i32 v7, 31, v7 :: v_dual_bitop2_b32 v4, s0, v4 bitop3:0x14
	s_delay_alu instid0(VALU_DEP_2) | instskip(NEXT) | instid1(VALU_DEP_3)
	v_dual_ashrrev_i32 v52, 31, v52 :: v_dual_bitop2_b32 v5, s1, v5 bitop3:0x14
	v_xor_b32_e32 v6, s3, v6
	s_delay_alu instid0(VALU_DEP_3)
	v_bitop3_b32 v3, v3, v4, exec_lo bitop3:0x80
	v_cmp_gt_i32_e64 s7, 0, v55
	v_dual_ashrrev_i32 v4, 31, v53 :: v_dual_ashrrev_i32 v53, 31, v54
	v_xor_b32_e32 v7, s4, v7
	v_xor_b32_e32 v52, s5, v52
	v_bitop3_b32 v3, v3, v6, v5 bitop3:0x80
	v_mad_u32_u24 v56, 0x44, v2, v0
	v_xor_b32_e32 v2, s6, v4
	v_xor_b32_e32 v4, s7, v53
	s_delay_alu instid0(VALU_DEP_4) | instskip(SKIP_2) | instid1(VALU_DEP_1)
	v_bitop3_b32 v3, v3, v52, v7 bitop3:0x80
	ds_load_b32 v52, v56 offset:64
	; wave barrier
	v_bitop3_b32 v2, v3, v4, v2 bitop3:0x80
	v_mbcnt_lo_u32_b32 v53, v2, 0
	v_cmp_ne_u32_e64 s0, 0, v2
	s_delay_alu instid0(VALU_DEP_2) | instskip(SKIP_1) | instid1(SALU_CYCLE_1)
	v_cmp_eq_u32_e32 vcc_lo, 0, v53
	s_and_b32 s1, s0, vcc_lo
	s_and_saveexec_b32 s0, s1
	s_cbranch_execz .LBB2172_123
; %bb.122:
	s_wait_dscnt 0x0
	v_bcnt_u32_b32 v2, v2, v52
	ds_store_b32 v56, v2 offset:64
.LBB2172_123:
	s_or_b32 exec_lo, exec_lo, s0
	v_cmp_gt_i16_e32 vcc_lo, 0, v1
	; wave barrier
	v_cndmask_b32_e64 v2, 0x7fff, 0, vcc_lo
	s_delay_alu instid0(VALU_DEP_1) | instskip(NEXT) | instid1(VALU_DEP_1)
	v_xor_b32_e32 v54, v2, v1
	v_cmp_ne_u16_e32 vcc_lo, 0x8000, v54
	v_cndmask_b32_e32 v1, 0x7fff, v54, vcc_lo
	s_delay_alu instid0(VALU_DEP_1) | instskip(NEXT) | instid1(VALU_DEP_1)
	v_and_b32_e32 v1, 0xffff, v1
	v_lshrrev_b32_e32 v1, s20, v1
	s_delay_alu instid0(VALU_DEP_1) | instskip(SKIP_1) | instid1(VALU_DEP_2)
	v_bitop3_b32 v2, v1, 1, s9 bitop3:0x80
	v_and_b32_e32 v1, s9, v1
	v_add_co_u32 v2, s0, v2, -1
	s_delay_alu instid0(VALU_DEP_1) | instskip(NEXT) | instid1(VALU_DEP_3)
	v_cndmask_b32_e64 v3, 0, 1, s0
	v_lshlrev_b32_e32 v4, 30, v1
	s_delay_alu instid0(VALU_DEP_2) | instskip(NEXT) | instid1(VALU_DEP_2)
	v_cmp_ne_u32_e32 vcc_lo, 0, v3
	v_not_b32_e32 v3, v4
	s_delay_alu instid0(VALU_DEP_1) | instskip(SKIP_4) | instid1(VALU_DEP_4)
	v_dual_ashrrev_i32 v3, 31, v3 :: v_dual_bitop2_b32 v2, vcc_lo, v2 bitop3:0x14
	v_dual_lshlrev_b32 v5, 29, v1 :: v_dual_lshlrev_b32 v6, 28, v1
	v_dual_lshlrev_b32 v7, 27, v1 :: v_dual_lshlrev_b32 v55, 26, v1
	v_lshlrev_b32_e32 v57, 25, v1
	v_cmp_gt_i32_e64 s0, 0, v4
	v_cmp_gt_i32_e64 s1, 0, v5
	v_not_b32_e32 v4, v5
	v_not_b32_e32 v5, v6
	v_lshlrev_b32_e32 v58, 24, v1
	v_cmp_gt_i32_e64 s3, 0, v6
	v_cmp_gt_i32_e64 s4, 0, v7
	v_not_b32_e32 v6, v7
	v_not_b32_e32 v7, v55
	v_dual_ashrrev_i32 v4, 31, v4 :: v_dual_ashrrev_i32 v5, 31, v5
	v_xor_b32_e32 v3, s0, v3
	v_cmp_gt_i32_e64 s5, 0, v55
	v_cmp_gt_i32_e64 s6, 0, v57
	v_not_b32_e32 v55, v57
	v_not_b32_e32 v57, v58
	v_dual_ashrrev_i32 v6, 31, v6 :: v_dual_ashrrev_i32 v7, 31, v7
	v_xor_b32_e32 v4, s1, v4
	v_xor_b32_e32 v5, s3, v5
	v_bitop3_b32 v2, v2, v3, exec_lo bitop3:0x80
	v_cmp_gt_i32_e64 s7, 0, v58
	v_dual_ashrrev_i32 v3, 31, v55 :: v_dual_ashrrev_i32 v55, 31, v57
	v_xor_b32_e32 v6, s4, v6
	v_xor_b32_e32 v7, s5, v7
	v_bitop3_b32 v2, v2, v5, v4 bitop3:0x80
	v_mad_u32_u24 v58, 0x44, v1, v0
	v_xor_b32_e32 v0, s6, v3
	v_xor_b32_e32 v1, s7, v55
	s_delay_alu instid0(VALU_DEP_4) | instskip(SKIP_2) | instid1(VALU_DEP_1)
	v_bitop3_b32 v2, v2, v7, v6 bitop3:0x80
	ds_load_b32 v55, v58 offset:64
	; wave barrier
	v_bitop3_b32 v0, v2, v1, v0 bitop3:0x80
	v_mbcnt_lo_u32_b32 v57, v0, 0
	v_cmp_ne_u32_e64 s0, 0, v0
	s_delay_alu instid0(VALU_DEP_2) | instskip(SKIP_1) | instid1(SALU_CYCLE_1)
	v_cmp_eq_u32_e32 vcc_lo, 0, v57
	s_and_b32 s1, s0, vcc_lo
	s_and_saveexec_b32 s0, s1
	s_cbranch_execz .LBB2172_125
; %bb.124:
	s_wait_dscnt 0x0
	v_bcnt_u32_b32 v0, v0, v55
	ds_store_b32 v58, v0 offset:64
.LBB2172_125:
	s_or_b32 exec_lo, exec_lo, s0
	; wave barrier
	s_wait_dscnt 0x0
	s_barrier_signal -1
	s_barrier_wait -1
	ds_load_2addr_b32 v[6:7], v11 offset0:16 offset1:17
	ds_load_2addr_b32 v[4:5], v11 offset0:18 offset1:19
	;; [unrolled: 1-line block ×4, first 2 shown]
	ds_load_b32 v59, v11 offset:96
	v_min_u32_e32 v16, 0x1e0, v16
	s_mov_b32 s5, exec_lo
	s_delay_alu instid0(VALU_DEP_1) | instskip(SKIP_3) | instid1(VALU_DEP_1)
	v_or_b32_e32 v62, 31, v16
	s_wait_dscnt 0x3
	v_add3_u32 v60, v7, v6, v4
	s_wait_dscnt 0x2
	v_add3_u32 v60, v60, v5, v2
	s_wait_dscnt 0x1
	s_delay_alu instid0(VALU_DEP_1) | instskip(SKIP_1) | instid1(VALU_DEP_1)
	v_add3_u32 v60, v60, v3, v0
	s_wait_dscnt 0x0
	v_add3_u32 v59, v60, v1, v59
	v_and_b32_e32 v60, 15, v15
	s_delay_alu instid0(VALU_DEP_2) | instskip(NEXT) | instid1(VALU_DEP_2)
	v_mov_b32_dpp v61, v59 row_shr:1 row_mask:0xf bank_mask:0xf
	v_cmp_eq_u32_e32 vcc_lo, 0, v60
	v_cmp_lt_u32_e64 s0, 1, v60
	s_delay_alu instid0(VALU_DEP_3) | instskip(NEXT) | instid1(VALU_DEP_1)
	v_cndmask_b32_e64 v61, v61, 0, vcc_lo
	v_add_nc_u32_e32 v59, v61, v59
	s_delay_alu instid0(VALU_DEP_1) | instskip(NEXT) | instid1(VALU_DEP_1)
	v_mov_b32_dpp v61, v59 row_shr:2 row_mask:0xf bank_mask:0xf
	v_cndmask_b32_e64 v61, 0, v61, s0
	v_cmp_lt_u32_e64 s3, 7, v60
	v_cmp_lt_u32_e64 s1, 3, v60
	s_delay_alu instid0(VALU_DEP_3) | instskip(NEXT) | instid1(VALU_DEP_1)
	v_add_nc_u32_e32 v59, v59, v61
	v_mov_b32_dpp v61, v59 row_shr:4 row_mask:0xf bank_mask:0xf
	s_delay_alu instid0(VALU_DEP_1) | instskip(NEXT) | instid1(VALU_DEP_1)
	v_cndmask_b32_e64 v61, 0, v61, s1
	v_add_nc_u32_e32 v59, v59, v61
	s_delay_alu instid0(VALU_DEP_1) | instskip(NEXT) | instid1(VALU_DEP_1)
	v_mov_b32_dpp v61, v59 row_shr:8 row_mask:0xf bank_mask:0xf
	v_cndmask_b32_e64 v60, 0, v61, s3
	v_bfe_i32 v61, v15, 4, 1
	s_delay_alu instid0(VALU_DEP_2) | instskip(SKIP_3) | instid1(VALU_DEP_1)
	v_add_nc_u32_e32 v60, v59, v60
	ds_swizzle_b32 v59, v60 offset:swizzle(BROADCAST,32,15)
	s_wait_dscnt 0x0
	v_dual_lshrrev_b32 v59, 5, v14 :: v_dual_bitop2_b32 v61, v61, v59 bitop3:0x40
	v_add_nc_u32_e32 v16, v60, v61
	v_cmpx_eq_u32_e64 v14, v62
; %bb.126:
	s_delay_alu instid0(VALU_DEP_3)
	v_lshlrev_b32_e32 v60, 2, v59
	ds_store_b32 v60, v16
; %bb.127:
	s_or_b32 exec_lo, exec_lo, s5
	s_delay_alu instid0(SALU_CYCLE_1)
	s_mov_b32 s5, exec_lo
	s_wait_dscnt 0x0
	s_barrier_signal -1
	s_barrier_wait -1
	v_cmpx_gt_u32_e32 16, v14
	s_cbranch_execz .LBB2172_129
; %bb.128:
	v_lshlrev_b32_e32 v60, 2, v14
	ds_load_b32 v61, v60
	s_wait_dscnt 0x0
	v_mov_b32_dpp v62, v61 row_shr:1 row_mask:0xf bank_mask:0xf
	s_delay_alu instid0(VALU_DEP_1) | instskip(NEXT) | instid1(VALU_DEP_1)
	v_cndmask_b32_e64 v62, v62, 0, vcc_lo
	v_add_nc_u32_e32 v61, v62, v61
	s_delay_alu instid0(VALU_DEP_1) | instskip(NEXT) | instid1(VALU_DEP_1)
	v_mov_b32_dpp v62, v61 row_shr:2 row_mask:0xf bank_mask:0xf
	v_cndmask_b32_e64 v62, 0, v62, s0
	s_delay_alu instid0(VALU_DEP_1) | instskip(NEXT) | instid1(VALU_DEP_1)
	v_add_nc_u32_e32 v61, v61, v62
	v_mov_b32_dpp v62, v61 row_shr:4 row_mask:0xf bank_mask:0xf
	s_delay_alu instid0(VALU_DEP_1) | instskip(NEXT) | instid1(VALU_DEP_1)
	v_cndmask_b32_e64 v62, 0, v62, s1
	v_add_nc_u32_e32 v61, v61, v62
	s_delay_alu instid0(VALU_DEP_1) | instskip(NEXT) | instid1(VALU_DEP_1)
	v_mov_b32_dpp v62, v61 row_shr:8 row_mask:0xf bank_mask:0xf
	v_cndmask_b32_e64 v62, 0, v62, s3
	s_delay_alu instid0(VALU_DEP_1)
	v_add_nc_u32_e32 v61, v61, v62
	ds_store_b32 v60, v61
.LBB2172_129:
	s_or_b32 exec_lo, exec_lo, s5
	v_mov_b32_e32 v60, 0
	s_mov_b32 s0, exec_lo
	s_wait_dscnt 0x0
	s_barrier_signal -1
	s_barrier_wait -1
	v_cmpx_lt_u32_e32 31, v14
; %bb.130:
	v_lshl_add_u32 v59, v59, 2, -4
	ds_load_b32 v60, v59
; %bb.131:
	s_or_b32 exec_lo, exec_lo, s0
	v_sub_co_u32 v59, vcc_lo, v15, 1
	s_wait_dscnt 0x0
	v_add_nc_u32_e32 v16, v60, v16
	s_delay_alu instid0(VALU_DEP_2) | instskip(NEXT) | instid1(VALU_DEP_1)
	v_cmp_gt_i32_e64 s0, 0, v59
	v_cndmask_b32_e64 v15, v59, v15, s0
	v_cmp_gt_u32_e64 s0, 0x100, v14
	s_delay_alu instid0(VALU_DEP_2) | instskip(SKIP_4) | instid1(VALU_DEP_2)
	v_lshlrev_b32_e32 v15, 2, v15
	ds_bpermute_b32 v15, v15, v16
	s_wait_dscnt 0x0
	v_cndmask_b32_e32 v15, v15, v60, vcc_lo
	v_cmp_lt_u32_e32 vcc_lo, 0xff, v14
	v_cndmask_b32_e64 v15, v15, 0, s2
	s_delay_alu instid0(VALU_DEP_1) | instskip(NEXT) | instid1(VALU_DEP_1)
	v_add_nc_u32_e32 v6, v15, v6
	v_add_nc_u32_e32 v7, v6, v7
	s_delay_alu instid0(VALU_DEP_1) | instskip(NEXT) | instid1(VALU_DEP_1)
	v_add_nc_u32_e32 v4, v7, v4
	v_add_nc_u32_e32 v5, v4, v5
	;; [unrolled: 3-line block ×4, first 2 shown]
	ds_store_2addr_b32 v11, v15, v6 offset0:16 offset1:17
	ds_store_2addr_b32 v11, v7, v4 offset0:18 offset1:19
	;; [unrolled: 1-line block ×4, first 2 shown]
	ds_store_b32 v11, v1 offset:96
	s_wait_dscnt 0x0
	s_barrier_signal -1
	s_barrier_wait -1
	ds_load_b32 v59, v12 offset:64
	ds_load_b32 v60, v19 offset:64
	;; [unrolled: 1-line block ×12, first 2 shown]
	v_mov_b64_e32 v[0:1], 0
                                        ; implicit-def: $vgpr2
	s_and_saveexec_b32 s2, s0
	s_cbranch_execz .LBB2172_135
; %bb.132:
	v_mul_u32_u24_e32 v0, 0x44, v14
	v_dual_mov_b32 v1, 0x1800 :: v_dual_add_nc_u32 v2, 1, v14
	s_mov_b32 s3, exec_lo
	ds_load_b32 v0, v0 offset:64
	v_cmpx_ne_u32_e32 0x100, v2
; %bb.133:
	v_mul_u32_u24_e32 v1, 0x44, v2
	ds_load_b32 v1, v1 offset:64
; %bb.134:
	s_or_b32 exec_lo, exec_lo, s3
	s_wait_dscnt 0x0
	v_dual_mov_b32 v1, 0 :: v_dual_sub_nc_u32 v2, v1, v0
.LBB2172_135:
	s_or_b32 exec_lo, exec_lo, s2
	s_wait_dscnt 0xa
	v_dual_lshlrev_b32 v9, 1, v9 :: v_dual_lshlrev_b32 v23, 1, v60
	v_dual_lshlrev_b32 v18, 1, v18 :: v_dual_lshlrev_b32 v17, 1, v17
	v_lshlrev_b32_e32 v21, 1, v21
	s_delay_alu instid0(VALU_DEP_3)
	v_lshl_add_u32 v9, v59, 1, v9
	s_wait_dscnt 0x0
	s_barrier_signal -1
	v_add3_u32 v17, v23, v18, v17
	v_dual_lshlrev_b32 v18, 1, v19 :: v_dual_lshlrev_b32 v19, 1, v22
	s_barrier_wait -1
	ds_store_b16 v9, v8 offset:2048
	ds_store_b16 v17, v10 offset:2048
	v_lshlrev_b32_e32 v9, 1, v16
	v_add3_u32 v8, v18, v19, v21
	v_dual_lshlrev_b32 v10, 1, v26 :: v_dual_lshlrev_b32 v16, 1, v25
	v_dual_lshlrev_b32 v18, 1, v28 :: v_dual_lshlrev_b32 v19, 1, v33
	;; [unrolled: 1-line block ×6, first 2 shown]
	ds_store_b16 v8, v13 offset:2048
	v_add3_u32 v8, v9, v10, v16
	v_add3_u32 v10, v12, v19, v21
	v_dual_lshlrev_b32 v12, 1, v42 :: v_dual_lshlrev_b32 v13, 1, v41
	v_add3_u32 v9, v15, v17, v18
	v_add3_u32 v11, v11, v22, v23
	ds_store_b16 v8, v20 offset:2048
	ds_store_b16 v9, v24 offset:2048
	;; [unrolled: 1-line block ×4, first 2 shown]
	v_add3_u32 v7, v7, v12, v13
	v_dual_lshlrev_b32 v6, 1, v6 :: v_dual_lshlrev_b32 v9, 1, v45
	v_dual_lshlrev_b32 v8, 1, v46 :: v_dual_lshlrev_b32 v5, 1, v5
	;; [unrolled: 1-line block ×6, first 2 shown]
	ds_store_b16 v7, v36 offset:2048
	v_add3_u32 v6, v6, v8, v9
	v_add3_u32 v7, v5, v10, v11
	;; [unrolled: 1-line block ×3, first 2 shown]
	v_dual_mov_b32 v5, 0 :: v_dual_lshlrev_b32 v3, 3, v14
	v_add3_u32 v4, v4, v12, v13
	ds_store_b16 v6, v40 offset:2048
	ds_store_b16 v7, v44 offset:2048
	;; [unrolled: 1-line block ×4, first 2 shown]
	s_and_saveexec_b32 s1, s0
	s_cbranch_execz .LBB2172_145
; %bb.136:
	v_lshl_add_u32 v4, s23, 8, v14
	v_dual_mov_b32 v8, 0 :: v_dual_bitop2_b32 v9, 2.0, v2 bitop3:0x54
	s_mov_b32 s2, 0
	s_mov_b32 s3, s23
	s_delay_alu instid0(VALU_DEP_2)
	v_lshl_add_u64 v[6:7], v[4:5], 2, s[10:11]
	global_store_b32 v4, v9, s[10:11] scale_offset scope:SCOPE_DEV
                                        ; implicit-def: $sgpr0
	s_branch .LBB2172_139
.LBB2172_137:                           ;   in Loop: Header=BB2172_139 Depth=1
	s_or_b32 exec_lo, exec_lo, s5
.LBB2172_138:                           ;   in Loop: Header=BB2172_139 Depth=1
	s_delay_alu instid0(SALU_CYCLE_1) | instskip(SKIP_2) | instid1(VALU_DEP_2)
	s_or_b32 exec_lo, exec_lo, s4
	v_and_b32_e32 v4, 0x3fffffff, v9
	v_cmp_gt_i32_e64 s0, -2.0, v9
	v_add_nc_u32_e32 v8, v4, v8
	s_and_b32 s4, exec_lo, s0
	s_delay_alu instid0(SALU_CYCLE_1) | instskip(NEXT) | instid1(SALU_CYCLE_1)
	s_or_b32 s2, s4, s2
	s_and_not1_b32 exec_lo, exec_lo, s2
	s_cbranch_execz .LBB2172_144
.LBB2172_139:                           ; =>This Loop Header: Depth=1
                                        ;     Child Loop BB2172_142 Depth 2
	s_or_b32 s0, s0, exec_lo
	s_cmp_eq_u32 s3, 0
	s_cbranch_scc1 .LBB2172_143
; %bb.140:                              ;   in Loop: Header=BB2172_139 Depth=1
	s_add_co_i32 s3, s3, -1
	s_mov_b32 s4, exec_lo
	s_wait_xcnt 0x0
	v_lshl_or_b32 v4, s3, 8, v14
	global_load_b32 v9, v4, s[10:11] scale_offset scope:SCOPE_DEV
	s_wait_loadcnt 0x0
	v_cmpx_gt_u32_e32 2.0, v9
	s_cbranch_execz .LBB2172_138
; %bb.141:                              ;   in Loop: Header=BB2172_139 Depth=1
	v_lshl_add_u64 v[10:11], v[4:5], 2, s[10:11]
	s_mov_b32 s5, 0
.LBB2172_142:                           ;   Parent Loop BB2172_139 Depth=1
                                        ; =>  This Inner Loop Header: Depth=2
	global_load_b32 v9, v[10:11], off scope:SCOPE_DEV
	s_wait_loadcnt 0x0
	v_cmp_lt_u32_e64 s0, 0x3fffffff, v9
	s_or_b32 s5, s0, s5
	s_wait_xcnt 0x0
	s_and_not1_b32 exec_lo, exec_lo, s5
	s_cbranch_execnz .LBB2172_142
	s_branch .LBB2172_137
.LBB2172_143:                           ;   in Loop: Header=BB2172_139 Depth=1
                                        ; implicit-def: $sgpr3
	s_and_b32 s4, exec_lo, s0
	s_delay_alu instid0(SALU_CYCLE_1)
	s_or_b32 s2, s4, s2
	s_wait_xcnt 0x0
	s_and_not1_b32 exec_lo, exec_lo, s2
	s_cbranch_execnz .LBB2172_139
.LBB2172_144:
	s_or_b32 exec_lo, exec_lo, s2
	v_dual_mov_b32 v9, 0 :: v_dual_add_nc_u32 v4, v8, v2
	s_delay_alu instid0(VALU_DEP_1) | instskip(SKIP_4) | instid1(VALU_DEP_1)
	v_or_b32_e32 v4, 0x80000000, v4
	global_store_b32 v[6:7], v4, off scope:SCOPE_DEV
	global_load_b64 v[4:5], v14, s[12:13] scale_offset
	v_sub_nc_u64_e32 v[6:7], v[8:9], v[0:1]
	s_wait_loadcnt 0x0
	v_add_nc_u64_e32 v[4:5], v[6:7], v[4:5]
	ds_store_b64 v3, v[4:5]
.LBB2172_145:
	s_wait_xcnt 0x0
	s_or_b32 exec_lo, exec_lo, s1
	v_mad_i32_i24 v15, v14, -6, v3
	s_wait_storecnt_dscnt 0x0
	s_barrier_signal -1
	s_barrier_wait -1
	ds_load_u16 v16, v15 offset:2048
	ds_load_u16 v17, v15 offset:3072
	;; [unrolled: 1-line block ×8, first 2 shown]
	v_dual_mov_b32 v5, 0 :: v_dual_lshlrev_b32 v4, 1, v14
	s_add_co_i32 s8, s8, -1
	s_delay_alu instid0(SALU_CYCLE_1) | instskip(SKIP_2) | instid1(VALU_DEP_1)
	s_cmp_eq_u32 s23, s8
	s_wait_dscnt 0x7
	v_cmp_ne_u16_e64 s0, 0x8000, v16
	v_cndmask_b32_e64 v6, 0x7fff, v16, s0
	v_cmp_gt_i16_e64 s0, 0, v16
	s_delay_alu instid0(VALU_DEP_2) | instskip(NEXT) | instid1(VALU_DEP_2)
	v_and_b32_e32 v6, 0xffff, v6
	v_cndmask_b32_e64 v24, 0x7fff, 0, s0
	s_wait_dscnt 0x6
	v_cmp_ne_u16_e64 s0, 0x8000, v17
	s_delay_alu instid0(VALU_DEP_2) | instskip(NEXT) | instid1(VALU_DEP_2)
	v_xor_b32_e32 v24, v24, v16
	v_cndmask_b32_e64 v7, 0x7fff, v17, s0
	s_wait_dscnt 0x5
	v_cmp_ne_u16_e64 s0, 0x8000, v18
	s_delay_alu instid0(VALU_DEP_2) | instskip(NEXT) | instid1(VALU_DEP_2)
	v_and_b32_e32 v7, 0xffff, v7
	v_cndmask_b32_e64 v8, 0x7fff, v18, s0
	s_wait_dscnt 0x4
	v_cmp_ne_u16_e64 s0, 0x8000, v19
	s_delay_alu instid0(VALU_DEP_3) | instskip(NEXT) | instid1(VALU_DEP_3)
	v_dual_lshrrev_b32 v6, s20, v6 :: v_dual_lshrrev_b32 v7, s20, v7
	v_and_b32_e32 v8, 0xffff, v8
	s_delay_alu instid0(VALU_DEP_3) | instskip(SKIP_1) | instid1(VALU_DEP_4)
	v_cndmask_b32_e64 v9, 0x7fff, v19, s0
	v_cmp_gt_i16_e64 s0, 0, v17
	v_and_b32_e32 v7, s9, v7
	v_and_b32_e32 v6, s9, v6
	s_delay_alu instid0(VALU_DEP_4) | instskip(NEXT) | instid1(VALU_DEP_4)
	v_and_b32_e32 v9, 0xffff, v9
	v_cndmask_b32_e64 v25, 0x7fff, 0, s0
	s_wait_dscnt 0x3
	v_cmp_ne_u16_e64 s0, 0x8000, v20
	v_dual_lshrrev_b32 v8, s20, v8 :: v_dual_lshlrev_b32 v11, 3, v7
	v_dual_lshrrev_b32 v9, s20, v9 :: v_dual_lshlrev_b32 v6, 3, v6
	s_delay_alu instid0(VALU_DEP_3) | instskip(SKIP_1) | instid1(VALU_DEP_2)
	v_cndmask_b32_e64 v10, 0x7fff, v20, s0
	v_cmp_gt_i16_e64 s0, 0, v18
	v_and_b32_e32 v10, 0xffff, v10
	v_and_b32_e32 v8, s9, v8
	;; [unrolled: 1-line block ×3, first 2 shown]
	s_delay_alu instid0(VALU_DEP_4) | instskip(SKIP_1) | instid1(VALU_DEP_4)
	v_cndmask_b32_e64 v27, 0x7fff, 0, s0
	v_cmp_gt_i16_e64 s0, 0, v19
	v_dual_lshrrev_b32 v26, s20, v10 :: v_dual_lshlrev_b32 v10, 3, v8
	s_delay_alu instid0(VALU_DEP_4)
	v_lshlrev_b32_e32 v12, 3, v9
	ds_load_b64 v[6:7], v6
	ds_load_b64 v[8:9], v11
	v_cndmask_b32_e64 v28, 0x7fff, 0, s0
	s_wait_dscnt 0x4
	v_cmp_ne_u16_e64 s0, 0x8000, v21
	v_and_b32_e32 v26, s9, v26
	ds_load_b64 v[10:11], v10
	ds_load_b64 v[12:13], v12
	v_xor_b32_e32 v19, v28, v19
	v_cndmask_b32_e64 v29, 0x7fff, v21, s0
	s_wait_dscnt 0x5
	v_cmp_ne_u16_e64 s0, 0x8000, v22
	v_lshlrev_b32_e32 v26, 3, v26
	s_delay_alu instid0(VALU_DEP_2) | instskip(SKIP_1) | instid1(VALU_DEP_2)
	v_cndmask_b32_e64 v30, 0x7fff, v22, s0
	v_cmp_gt_i16_e64 s0, 0, v20
	v_and_b32_e32 v28, 0xffff, v30
	s_wait_dscnt 0x3
	v_lshl_add_u64 v[6:7], v[6:7], 1, s[18:19]
	v_xor_b32_e32 v18, v27, v18
	v_and_b32_e32 v27, 0xffff, v29
	v_xor_b32_e32 v25, v25, v17
	ds_load_b64 v[16:17], v26
	ds_load_u16 v26, v15 offset:10240
	ds_load_u16 v31, v15 offset:11264
	;; [unrolled: 1-line block ×4, first 2 shown]
	s_wait_dscnt 0x7
	v_lshl_add_u64 v[8:9], v[8:9], 1, s[18:19]
	s_wait_dscnt 0x6
	v_lshl_add_u64 v[10:11], v[10:11], 1, s[18:19]
	v_add_nc_u64_e32 v[6:7], v[6:7], v[4:5]
	s_wait_dscnt 0x5
	v_lshl_add_u64 v[12:13], v[12:13], 1, s[18:19]
	v_add_nc_u64_e32 v[8:9], v[8:9], v[4:5]
	v_add_nc_u64_e32 v[10:11], v[10:11], v[4:5]
	s_clause 0x1
	global_store_b16 v[6:7], v24, off
	global_store_b16 v[8:9], v25, off offset:1024
	s_wait_xcnt 0x1
	v_cndmask_b32_e64 v6, 0x7fff, 0, s0
	v_cmp_ne_u16_e64 s0, 0x8000, v23
	s_wait_xcnt 0x0
	v_dual_lshrrev_b32 v8, s20, v27 :: v_dual_lshrrev_b32 v9, s20, v28
	global_store_b16 v[10:11], v18, off offset:2048
	v_add_nc_u64_e32 v[12:13], v[12:13], v[4:5]
	s_wait_xcnt 0x0
	v_cndmask_b32_e64 v10, 0x7fff, v23, s0
	s_wait_dscnt 0x3
	v_cmp_ne_u16_e64 s0, 0x8000, v26
	v_and_b32_e32 v8, s9, v8
	v_and_b32_e32 v9, s9, v9
	s_delay_alu instid0(VALU_DEP_3)
	v_cndmask_b32_e64 v11, 0x7fff, v26, s0
	s_wait_dscnt 0x2
	v_cmp_ne_u16_e64 s0, 0x8000, v31
	v_lshlrev_b32_e32 v8, 3, v8
	global_store_b16 v[12:13], v19, off offset:3072
	s_wait_xcnt 0x0
	v_dual_lshlrev_b32 v13, 3, v9 :: v_dual_bitop2_b32 v12, v6, v20 bitop3:0x14
	v_lshl_add_u64 v[6:7], v[16:17], 1, s[18:19]
	v_and_b32_e32 v16, 0xffff, v10
	v_and_b32_e32 v17, 0xffff, v11
	v_cndmask_b32_e64 v18, 0x7fff, v31, s0
	ds_load_b64 v[8:9], v8
	ds_load_b64 v[10:11], v13
	v_cmp_gt_i16_e64 s0, 0, v21
	v_dual_lshrrev_b32 v13, s20, v16 :: v_dual_lshrrev_b32 v16, s20, v17
	v_and_b32_e32 v17, 0xffff, v18
	v_add_nc_u64_e32 v[6:7], v[6:7], v[4:5]
	s_delay_alu instid0(VALU_DEP_4)
	v_cndmask_b32_e64 v18, 0x7fff, 0, s0
	s_wait_dscnt 0x3
	v_cmp_ne_u16_e64 s0, 0x8000, v32
	v_dual_lshrrev_b32 v17, s20, v17 :: v_dual_bitop2_b32 v16, s9, v16 bitop3:0x40
	v_and_b32_e32 v13, s9, v13
	global_store_b16 v[6:7], v12, off offset:4096
	s_wait_xcnt 0x0
	v_dual_lshlrev_b32 v12, 3, v16 :: v_dual_bitop2_b32 v16, s9, v17 bitop3:0x40
	v_cndmask_b32_e64 v17, 0x7fff, v32, s0
	s_wait_dscnt 0x2
	v_cmp_ne_u16_e64 s0, 0x8000, v15
	s_wait_dscnt 0x1
	v_lshl_add_u64 v[8:9], v[8:9], 1, s[18:19]
	v_and_b32_e32 v17, 0xffff, v17
	s_delay_alu instid0(VALU_DEP_3)
	v_cndmask_b32_e64 v19, 0x7fff, v15, s0
	v_cmp_gt_i16_e64 s0, 0, v22
	s_wait_dscnt 0x0
	v_lshl_add_u64 v[10:11], v[10:11], 1, s[18:19]
	v_add_nc_u64_e32 v[8:9], v[8:9], v[4:5]
	v_lshrrev_b32_e32 v20, s20, v17
	v_and_b32_e32 v19, 0xffff, v19
	v_lshlrev_b32_e32 v6, 3, v13
	v_dual_lshlrev_b32 v16, 3, v16 :: v_dual_bitop2_b32 v18, v18, v21 bitop3:0x14
	v_cndmask_b32_e64 v21, 0x7fff, 0, s0
	s_delay_alu instid0(VALU_DEP_4)
	v_lshrrev_b32_e32 v19, s20, v19
	ds_load_b64 v[6:7], v6
	ds_load_b64 v[12:13], v12
	v_add_nc_u64_e32 v[10:11], v[10:11], v[4:5]
	ds_load_b64 v[16:17], v16
	v_xor_b32_e32 v21, v21, v22
	v_and_b32_e32 v19, s9, v19
	v_and_b32_e32 v20, s9, v20
	v_cmp_gt_i16_e64 s0, 0, v23
	s_clause 0x1
	global_store_b16 v[8:9], v18, off offset:5120
	global_store_b16 v[10:11], v21, off offset:6144
	v_dual_lshlrev_b32 v19, 3, v19 :: v_dual_lshlrev_b32 v20, 3, v20
	v_cndmask_b32_e64 v22, 0x7fff, 0, s0
	v_cmp_gt_i16_e64 s0, 0, v26
	s_wait_xcnt 0x0
	ds_load_b64 v[10:11], v19
	ds_load_b64 v[8:9], v20
	v_xor_b32_e32 v18, v22, v23
	v_cndmask_b32_e64 v19, 0x7fff, 0, s0
	v_cmp_gt_i16_e64 s0, 0, v31
	s_wait_dscnt 0x4
	v_lshl_add_u64 v[6:7], v[6:7], 1, s[18:19]
	s_wait_dscnt 0x3
	v_lshl_add_u64 v[12:13], v[12:13], 1, s[18:19]
	;; [unrolled: 2-line block ×3, first 2 shown]
	v_cndmask_b32_e64 v20, 0x7fff, 0, s0
	v_cmp_gt_i16_e64 s0, 0, v32
	v_add_nc_u64_e32 v[6:7], v[6:7], v[4:5]
	v_add_nc_u64_e32 v[12:13], v[12:13], v[4:5]
	;; [unrolled: 1-line block ×3, first 2 shown]
	v_xor_b32_e32 v19, v19, v26
	v_xor_b32_e32 v20, v20, v31
	v_cndmask_b32_e64 v21, 0x7fff, 0, s0
	v_cmp_gt_i16_e64 s0, 0, v15
	s_clause 0x2
	global_store_b16 v[6:7], v18, off offset:7168
	global_store_b16 v[12:13], v19, off offset:8192
	;; [unrolled: 1-line block ×3, first 2 shown]
	s_wait_dscnt 0x0
	s_wait_xcnt 0x2
	v_lshl_add_u64 v[6:7], v[8:9], 1, s[18:19]
	v_lshl_add_u64 v[8:9], v[10:11], 1, s[18:19]
	v_cndmask_b32_e64 v10, 0x7fff, 0, s0
	s_wait_xcnt 0x1
	v_xor_b32_e32 v12, v21, v32
	s_cselect_b32 s0, -1, 0
	v_add_nc_u64_e32 v[6:7], v[6:7], v[4:5]
	v_add_nc_u64_e32 v[8:9], v[8:9], v[4:5]
	v_xor_b32_e32 v4, v10, v15
	s_xor_b32 s1, vcc_lo, -1
	s_delay_alu instid0(SALU_CYCLE_1)
	s_and_b32 s0, s1, s0
	s_clause 0x1
	global_store_b16 v[6:7], v12, off offset:10240
	global_store_b16 v[8:9], v4, off offset:11264
	s_wait_xcnt 0x0
	s_and_saveexec_b32 s1, s0
	s_cbranch_execz .LBB2172_147
; %bb.146:
	ds_load_b64 v[6:7], v3
	v_mov_b32_e32 v3, v5
	s_delay_alu instid0(VALU_DEP_1) | instskip(SKIP_1) | instid1(VALU_DEP_1)
	v_add_nc_u64_e32 v[0:1], v[0:1], v[2:3]
	s_wait_dscnt 0x0
	v_add_nc_u64_e32 v[0:1], v[0:1], v[6:7]
	global_store_b64 v14, v[0:1], s[14:15] scale_offset
.LBB2172_147:
	s_sendmsg sendmsg(MSG_DEALLOC_VGPRS)
	s_endpgm
	.section	.rodata,"a",@progbits
	.p2align	6, 0x0
	.amdhsa_kernel _ZN7rocprim17ROCPRIM_400000_NS6detail17trampoline_kernelINS0_14default_configENS1_35radix_sort_onesweep_config_selectorI6__halfNS0_10empty_typeEEEZZNS1_29radix_sort_onesweep_iterationIS3_Lb1EPKS5_PS5_PS6_SC_mNS0_19identity_decomposerENS1_16block_id_wrapperIjLb1EEEEE10hipError_tT1_PNSt15iterator_traitsISH_E10value_typeET2_T3_PNSI_ISN_E10value_typeET4_T5_PSS_ST_PNS1_23onesweep_lookback_stateEbbT6_jjT7_P12ihipStream_tbENKUlT_T0_SH_SM_E_clISB_SB_SC_SC_EEDaS10_S11_SH_SM_EUlS10_E_NS1_11comp_targetILNS1_3genE0ELNS1_11target_archE4294967295ELNS1_3gpuE0ELNS1_3repE0EEENS1_47radix_sort_onesweep_sort_config_static_selectorELNS0_4arch9wavefront6targetE0EEEvSH_
		.amdhsa_group_segment_fixed_size 18504
		.amdhsa_private_segment_fixed_size 0
		.amdhsa_kernarg_size 344
		.amdhsa_user_sgpr_count 2
		.amdhsa_user_sgpr_dispatch_ptr 0
		.amdhsa_user_sgpr_queue_ptr 0
		.amdhsa_user_sgpr_kernarg_segment_ptr 1
		.amdhsa_user_sgpr_dispatch_id 0
		.amdhsa_user_sgpr_kernarg_preload_length 0
		.amdhsa_user_sgpr_kernarg_preload_offset 0
		.amdhsa_user_sgpr_private_segment_size 0
		.amdhsa_wavefront_size32 1
		.amdhsa_uses_dynamic_stack 0
		.amdhsa_enable_private_segment 0
		.amdhsa_system_sgpr_workgroup_id_x 1
		.amdhsa_system_sgpr_workgroup_id_y 0
		.amdhsa_system_sgpr_workgroup_id_z 0
		.amdhsa_system_sgpr_workgroup_info 0
		.amdhsa_system_vgpr_workitem_id 2
		.amdhsa_next_free_vgpr 65
		.amdhsa_next_free_sgpr 30
		.amdhsa_named_barrier_count 0
		.amdhsa_reserve_vcc 1
		.amdhsa_float_round_mode_32 0
		.amdhsa_float_round_mode_16_64 0
		.amdhsa_float_denorm_mode_32 3
		.amdhsa_float_denorm_mode_16_64 3
		.amdhsa_fp16_overflow 0
		.amdhsa_memory_ordered 1
		.amdhsa_forward_progress 1
		.amdhsa_inst_pref_size 148
		.amdhsa_round_robin_scheduling 0
		.amdhsa_exception_fp_ieee_invalid_op 0
		.amdhsa_exception_fp_denorm_src 0
		.amdhsa_exception_fp_ieee_div_zero 0
		.amdhsa_exception_fp_ieee_overflow 0
		.amdhsa_exception_fp_ieee_underflow 0
		.amdhsa_exception_fp_ieee_inexact 0
		.amdhsa_exception_int_div_zero 0
	.end_amdhsa_kernel
	.section	.text._ZN7rocprim17ROCPRIM_400000_NS6detail17trampoline_kernelINS0_14default_configENS1_35radix_sort_onesweep_config_selectorI6__halfNS0_10empty_typeEEEZZNS1_29radix_sort_onesweep_iterationIS3_Lb1EPKS5_PS5_PS6_SC_mNS0_19identity_decomposerENS1_16block_id_wrapperIjLb1EEEEE10hipError_tT1_PNSt15iterator_traitsISH_E10value_typeET2_T3_PNSI_ISN_E10value_typeET4_T5_PSS_ST_PNS1_23onesweep_lookback_stateEbbT6_jjT7_P12ihipStream_tbENKUlT_T0_SH_SM_E_clISB_SB_SC_SC_EEDaS10_S11_SH_SM_EUlS10_E_NS1_11comp_targetILNS1_3genE0ELNS1_11target_archE4294967295ELNS1_3gpuE0ELNS1_3repE0EEENS1_47radix_sort_onesweep_sort_config_static_selectorELNS0_4arch9wavefront6targetE0EEEvSH_,"axG",@progbits,_ZN7rocprim17ROCPRIM_400000_NS6detail17trampoline_kernelINS0_14default_configENS1_35radix_sort_onesweep_config_selectorI6__halfNS0_10empty_typeEEEZZNS1_29radix_sort_onesweep_iterationIS3_Lb1EPKS5_PS5_PS6_SC_mNS0_19identity_decomposerENS1_16block_id_wrapperIjLb1EEEEE10hipError_tT1_PNSt15iterator_traitsISH_E10value_typeET2_T3_PNSI_ISN_E10value_typeET4_T5_PSS_ST_PNS1_23onesweep_lookback_stateEbbT6_jjT7_P12ihipStream_tbENKUlT_T0_SH_SM_E_clISB_SB_SC_SC_EEDaS10_S11_SH_SM_EUlS10_E_NS1_11comp_targetILNS1_3genE0ELNS1_11target_archE4294967295ELNS1_3gpuE0ELNS1_3repE0EEENS1_47radix_sort_onesweep_sort_config_static_selectorELNS0_4arch9wavefront6targetE0EEEvSH_,comdat
.Lfunc_end2172:
	.size	_ZN7rocprim17ROCPRIM_400000_NS6detail17trampoline_kernelINS0_14default_configENS1_35radix_sort_onesweep_config_selectorI6__halfNS0_10empty_typeEEEZZNS1_29radix_sort_onesweep_iterationIS3_Lb1EPKS5_PS5_PS6_SC_mNS0_19identity_decomposerENS1_16block_id_wrapperIjLb1EEEEE10hipError_tT1_PNSt15iterator_traitsISH_E10value_typeET2_T3_PNSI_ISN_E10value_typeET4_T5_PSS_ST_PNS1_23onesweep_lookback_stateEbbT6_jjT7_P12ihipStream_tbENKUlT_T0_SH_SM_E_clISB_SB_SC_SC_EEDaS10_S11_SH_SM_EUlS10_E_NS1_11comp_targetILNS1_3genE0ELNS1_11target_archE4294967295ELNS1_3gpuE0ELNS1_3repE0EEENS1_47radix_sort_onesweep_sort_config_static_selectorELNS0_4arch9wavefront6targetE0EEEvSH_, .Lfunc_end2172-_ZN7rocprim17ROCPRIM_400000_NS6detail17trampoline_kernelINS0_14default_configENS1_35radix_sort_onesweep_config_selectorI6__halfNS0_10empty_typeEEEZZNS1_29radix_sort_onesweep_iterationIS3_Lb1EPKS5_PS5_PS6_SC_mNS0_19identity_decomposerENS1_16block_id_wrapperIjLb1EEEEE10hipError_tT1_PNSt15iterator_traitsISH_E10value_typeET2_T3_PNSI_ISN_E10value_typeET4_T5_PSS_ST_PNS1_23onesweep_lookback_stateEbbT6_jjT7_P12ihipStream_tbENKUlT_T0_SH_SM_E_clISB_SB_SC_SC_EEDaS10_S11_SH_SM_EUlS10_E_NS1_11comp_targetILNS1_3genE0ELNS1_11target_archE4294967295ELNS1_3gpuE0ELNS1_3repE0EEENS1_47radix_sort_onesweep_sort_config_static_selectorELNS0_4arch9wavefront6targetE0EEEvSH_
                                        ; -- End function
	.set _ZN7rocprim17ROCPRIM_400000_NS6detail17trampoline_kernelINS0_14default_configENS1_35radix_sort_onesweep_config_selectorI6__halfNS0_10empty_typeEEEZZNS1_29radix_sort_onesweep_iterationIS3_Lb1EPKS5_PS5_PS6_SC_mNS0_19identity_decomposerENS1_16block_id_wrapperIjLb1EEEEE10hipError_tT1_PNSt15iterator_traitsISH_E10value_typeET2_T3_PNSI_ISN_E10value_typeET4_T5_PSS_ST_PNS1_23onesweep_lookback_stateEbbT6_jjT7_P12ihipStream_tbENKUlT_T0_SH_SM_E_clISB_SB_SC_SC_EEDaS10_S11_SH_SM_EUlS10_E_NS1_11comp_targetILNS1_3genE0ELNS1_11target_archE4294967295ELNS1_3gpuE0ELNS1_3repE0EEENS1_47radix_sort_onesweep_sort_config_static_selectorELNS0_4arch9wavefront6targetE0EEEvSH_.num_vgpr, 65
	.set _ZN7rocprim17ROCPRIM_400000_NS6detail17trampoline_kernelINS0_14default_configENS1_35radix_sort_onesweep_config_selectorI6__halfNS0_10empty_typeEEEZZNS1_29radix_sort_onesweep_iterationIS3_Lb1EPKS5_PS5_PS6_SC_mNS0_19identity_decomposerENS1_16block_id_wrapperIjLb1EEEEE10hipError_tT1_PNSt15iterator_traitsISH_E10value_typeET2_T3_PNSI_ISN_E10value_typeET4_T5_PSS_ST_PNS1_23onesweep_lookback_stateEbbT6_jjT7_P12ihipStream_tbENKUlT_T0_SH_SM_E_clISB_SB_SC_SC_EEDaS10_S11_SH_SM_EUlS10_E_NS1_11comp_targetILNS1_3genE0ELNS1_11target_archE4294967295ELNS1_3gpuE0ELNS1_3repE0EEENS1_47radix_sort_onesweep_sort_config_static_selectorELNS0_4arch9wavefront6targetE0EEEvSH_.num_agpr, 0
	.set _ZN7rocprim17ROCPRIM_400000_NS6detail17trampoline_kernelINS0_14default_configENS1_35radix_sort_onesweep_config_selectorI6__halfNS0_10empty_typeEEEZZNS1_29radix_sort_onesweep_iterationIS3_Lb1EPKS5_PS5_PS6_SC_mNS0_19identity_decomposerENS1_16block_id_wrapperIjLb1EEEEE10hipError_tT1_PNSt15iterator_traitsISH_E10value_typeET2_T3_PNSI_ISN_E10value_typeET4_T5_PSS_ST_PNS1_23onesweep_lookback_stateEbbT6_jjT7_P12ihipStream_tbENKUlT_T0_SH_SM_E_clISB_SB_SC_SC_EEDaS10_S11_SH_SM_EUlS10_E_NS1_11comp_targetILNS1_3genE0ELNS1_11target_archE4294967295ELNS1_3gpuE0ELNS1_3repE0EEENS1_47radix_sort_onesweep_sort_config_static_selectorELNS0_4arch9wavefront6targetE0EEEvSH_.numbered_sgpr, 30
	.set _ZN7rocprim17ROCPRIM_400000_NS6detail17trampoline_kernelINS0_14default_configENS1_35radix_sort_onesweep_config_selectorI6__halfNS0_10empty_typeEEEZZNS1_29radix_sort_onesweep_iterationIS3_Lb1EPKS5_PS5_PS6_SC_mNS0_19identity_decomposerENS1_16block_id_wrapperIjLb1EEEEE10hipError_tT1_PNSt15iterator_traitsISH_E10value_typeET2_T3_PNSI_ISN_E10value_typeET4_T5_PSS_ST_PNS1_23onesweep_lookback_stateEbbT6_jjT7_P12ihipStream_tbENKUlT_T0_SH_SM_E_clISB_SB_SC_SC_EEDaS10_S11_SH_SM_EUlS10_E_NS1_11comp_targetILNS1_3genE0ELNS1_11target_archE4294967295ELNS1_3gpuE0ELNS1_3repE0EEENS1_47radix_sort_onesweep_sort_config_static_selectorELNS0_4arch9wavefront6targetE0EEEvSH_.num_named_barrier, 0
	.set _ZN7rocprim17ROCPRIM_400000_NS6detail17trampoline_kernelINS0_14default_configENS1_35radix_sort_onesweep_config_selectorI6__halfNS0_10empty_typeEEEZZNS1_29radix_sort_onesweep_iterationIS3_Lb1EPKS5_PS5_PS6_SC_mNS0_19identity_decomposerENS1_16block_id_wrapperIjLb1EEEEE10hipError_tT1_PNSt15iterator_traitsISH_E10value_typeET2_T3_PNSI_ISN_E10value_typeET4_T5_PSS_ST_PNS1_23onesweep_lookback_stateEbbT6_jjT7_P12ihipStream_tbENKUlT_T0_SH_SM_E_clISB_SB_SC_SC_EEDaS10_S11_SH_SM_EUlS10_E_NS1_11comp_targetILNS1_3genE0ELNS1_11target_archE4294967295ELNS1_3gpuE0ELNS1_3repE0EEENS1_47radix_sort_onesweep_sort_config_static_selectorELNS0_4arch9wavefront6targetE0EEEvSH_.private_seg_size, 0
	.set _ZN7rocprim17ROCPRIM_400000_NS6detail17trampoline_kernelINS0_14default_configENS1_35radix_sort_onesweep_config_selectorI6__halfNS0_10empty_typeEEEZZNS1_29radix_sort_onesweep_iterationIS3_Lb1EPKS5_PS5_PS6_SC_mNS0_19identity_decomposerENS1_16block_id_wrapperIjLb1EEEEE10hipError_tT1_PNSt15iterator_traitsISH_E10value_typeET2_T3_PNSI_ISN_E10value_typeET4_T5_PSS_ST_PNS1_23onesweep_lookback_stateEbbT6_jjT7_P12ihipStream_tbENKUlT_T0_SH_SM_E_clISB_SB_SC_SC_EEDaS10_S11_SH_SM_EUlS10_E_NS1_11comp_targetILNS1_3genE0ELNS1_11target_archE4294967295ELNS1_3gpuE0ELNS1_3repE0EEENS1_47radix_sort_onesweep_sort_config_static_selectorELNS0_4arch9wavefront6targetE0EEEvSH_.uses_vcc, 1
	.set _ZN7rocprim17ROCPRIM_400000_NS6detail17trampoline_kernelINS0_14default_configENS1_35radix_sort_onesweep_config_selectorI6__halfNS0_10empty_typeEEEZZNS1_29radix_sort_onesweep_iterationIS3_Lb1EPKS5_PS5_PS6_SC_mNS0_19identity_decomposerENS1_16block_id_wrapperIjLb1EEEEE10hipError_tT1_PNSt15iterator_traitsISH_E10value_typeET2_T3_PNSI_ISN_E10value_typeET4_T5_PSS_ST_PNS1_23onesweep_lookback_stateEbbT6_jjT7_P12ihipStream_tbENKUlT_T0_SH_SM_E_clISB_SB_SC_SC_EEDaS10_S11_SH_SM_EUlS10_E_NS1_11comp_targetILNS1_3genE0ELNS1_11target_archE4294967295ELNS1_3gpuE0ELNS1_3repE0EEENS1_47radix_sort_onesweep_sort_config_static_selectorELNS0_4arch9wavefront6targetE0EEEvSH_.uses_flat_scratch, 0
	.set _ZN7rocprim17ROCPRIM_400000_NS6detail17trampoline_kernelINS0_14default_configENS1_35radix_sort_onesweep_config_selectorI6__halfNS0_10empty_typeEEEZZNS1_29radix_sort_onesweep_iterationIS3_Lb1EPKS5_PS5_PS6_SC_mNS0_19identity_decomposerENS1_16block_id_wrapperIjLb1EEEEE10hipError_tT1_PNSt15iterator_traitsISH_E10value_typeET2_T3_PNSI_ISN_E10value_typeET4_T5_PSS_ST_PNS1_23onesweep_lookback_stateEbbT6_jjT7_P12ihipStream_tbENKUlT_T0_SH_SM_E_clISB_SB_SC_SC_EEDaS10_S11_SH_SM_EUlS10_E_NS1_11comp_targetILNS1_3genE0ELNS1_11target_archE4294967295ELNS1_3gpuE0ELNS1_3repE0EEENS1_47radix_sort_onesweep_sort_config_static_selectorELNS0_4arch9wavefront6targetE0EEEvSH_.has_dyn_sized_stack, 0
	.set _ZN7rocprim17ROCPRIM_400000_NS6detail17trampoline_kernelINS0_14default_configENS1_35radix_sort_onesweep_config_selectorI6__halfNS0_10empty_typeEEEZZNS1_29radix_sort_onesweep_iterationIS3_Lb1EPKS5_PS5_PS6_SC_mNS0_19identity_decomposerENS1_16block_id_wrapperIjLb1EEEEE10hipError_tT1_PNSt15iterator_traitsISH_E10value_typeET2_T3_PNSI_ISN_E10value_typeET4_T5_PSS_ST_PNS1_23onesweep_lookback_stateEbbT6_jjT7_P12ihipStream_tbENKUlT_T0_SH_SM_E_clISB_SB_SC_SC_EEDaS10_S11_SH_SM_EUlS10_E_NS1_11comp_targetILNS1_3genE0ELNS1_11target_archE4294967295ELNS1_3gpuE0ELNS1_3repE0EEENS1_47radix_sort_onesweep_sort_config_static_selectorELNS0_4arch9wavefront6targetE0EEEvSH_.has_recursion, 0
	.set _ZN7rocprim17ROCPRIM_400000_NS6detail17trampoline_kernelINS0_14default_configENS1_35radix_sort_onesweep_config_selectorI6__halfNS0_10empty_typeEEEZZNS1_29radix_sort_onesweep_iterationIS3_Lb1EPKS5_PS5_PS6_SC_mNS0_19identity_decomposerENS1_16block_id_wrapperIjLb1EEEEE10hipError_tT1_PNSt15iterator_traitsISH_E10value_typeET2_T3_PNSI_ISN_E10value_typeET4_T5_PSS_ST_PNS1_23onesweep_lookback_stateEbbT6_jjT7_P12ihipStream_tbENKUlT_T0_SH_SM_E_clISB_SB_SC_SC_EEDaS10_S11_SH_SM_EUlS10_E_NS1_11comp_targetILNS1_3genE0ELNS1_11target_archE4294967295ELNS1_3gpuE0ELNS1_3repE0EEENS1_47radix_sort_onesweep_sort_config_static_selectorELNS0_4arch9wavefront6targetE0EEEvSH_.has_indirect_call, 0
	.section	.AMDGPU.csdata,"",@progbits
; Kernel info:
; codeLenInByte = 18880
; TotalNumSgprs: 32
; NumVgprs: 65
; ScratchSize: 0
; MemoryBound: 0
; FloatMode: 240
; IeeeMode: 1
; LDSByteSize: 18504 bytes/workgroup (compile time only)
; SGPRBlocks: 0
; VGPRBlocks: 4
; NumSGPRsForWavesPerEU: 32
; NumVGPRsForWavesPerEU: 65
; NamedBarCnt: 0
; Occupancy: 12
; WaveLimiterHint : 0
; COMPUTE_PGM_RSRC2:SCRATCH_EN: 0
; COMPUTE_PGM_RSRC2:USER_SGPR: 2
; COMPUTE_PGM_RSRC2:TRAP_HANDLER: 0
; COMPUTE_PGM_RSRC2:TGID_X_EN: 1
; COMPUTE_PGM_RSRC2:TGID_Y_EN: 0
; COMPUTE_PGM_RSRC2:TGID_Z_EN: 0
; COMPUTE_PGM_RSRC2:TIDIG_COMP_CNT: 2
	.section	.text._ZN7rocprim17ROCPRIM_400000_NS6detail17trampoline_kernelINS0_14default_configENS1_35radix_sort_onesweep_config_selectorI6__halfNS0_10empty_typeEEEZZNS1_29radix_sort_onesweep_iterationIS3_Lb1EPKS5_PS5_PS6_SC_mNS0_19identity_decomposerENS1_16block_id_wrapperIjLb1EEEEE10hipError_tT1_PNSt15iterator_traitsISH_E10value_typeET2_T3_PNSI_ISN_E10value_typeET4_T5_PSS_ST_PNS1_23onesweep_lookback_stateEbbT6_jjT7_P12ihipStream_tbENKUlT_T0_SH_SM_E_clISB_SB_SC_SC_EEDaS10_S11_SH_SM_EUlS10_E_NS1_11comp_targetILNS1_3genE6ELNS1_11target_archE950ELNS1_3gpuE13ELNS1_3repE0EEENS1_47radix_sort_onesweep_sort_config_static_selectorELNS0_4arch9wavefront6targetE0EEEvSH_,"axG",@progbits,_ZN7rocprim17ROCPRIM_400000_NS6detail17trampoline_kernelINS0_14default_configENS1_35radix_sort_onesweep_config_selectorI6__halfNS0_10empty_typeEEEZZNS1_29radix_sort_onesweep_iterationIS3_Lb1EPKS5_PS5_PS6_SC_mNS0_19identity_decomposerENS1_16block_id_wrapperIjLb1EEEEE10hipError_tT1_PNSt15iterator_traitsISH_E10value_typeET2_T3_PNSI_ISN_E10value_typeET4_T5_PSS_ST_PNS1_23onesweep_lookback_stateEbbT6_jjT7_P12ihipStream_tbENKUlT_T0_SH_SM_E_clISB_SB_SC_SC_EEDaS10_S11_SH_SM_EUlS10_E_NS1_11comp_targetILNS1_3genE6ELNS1_11target_archE950ELNS1_3gpuE13ELNS1_3repE0EEENS1_47radix_sort_onesweep_sort_config_static_selectorELNS0_4arch9wavefront6targetE0EEEvSH_,comdat
	.protected	_ZN7rocprim17ROCPRIM_400000_NS6detail17trampoline_kernelINS0_14default_configENS1_35radix_sort_onesweep_config_selectorI6__halfNS0_10empty_typeEEEZZNS1_29radix_sort_onesweep_iterationIS3_Lb1EPKS5_PS5_PS6_SC_mNS0_19identity_decomposerENS1_16block_id_wrapperIjLb1EEEEE10hipError_tT1_PNSt15iterator_traitsISH_E10value_typeET2_T3_PNSI_ISN_E10value_typeET4_T5_PSS_ST_PNS1_23onesweep_lookback_stateEbbT6_jjT7_P12ihipStream_tbENKUlT_T0_SH_SM_E_clISB_SB_SC_SC_EEDaS10_S11_SH_SM_EUlS10_E_NS1_11comp_targetILNS1_3genE6ELNS1_11target_archE950ELNS1_3gpuE13ELNS1_3repE0EEENS1_47radix_sort_onesweep_sort_config_static_selectorELNS0_4arch9wavefront6targetE0EEEvSH_ ; -- Begin function _ZN7rocprim17ROCPRIM_400000_NS6detail17trampoline_kernelINS0_14default_configENS1_35radix_sort_onesweep_config_selectorI6__halfNS0_10empty_typeEEEZZNS1_29radix_sort_onesweep_iterationIS3_Lb1EPKS5_PS5_PS6_SC_mNS0_19identity_decomposerENS1_16block_id_wrapperIjLb1EEEEE10hipError_tT1_PNSt15iterator_traitsISH_E10value_typeET2_T3_PNSI_ISN_E10value_typeET4_T5_PSS_ST_PNS1_23onesweep_lookback_stateEbbT6_jjT7_P12ihipStream_tbENKUlT_T0_SH_SM_E_clISB_SB_SC_SC_EEDaS10_S11_SH_SM_EUlS10_E_NS1_11comp_targetILNS1_3genE6ELNS1_11target_archE950ELNS1_3gpuE13ELNS1_3repE0EEENS1_47radix_sort_onesweep_sort_config_static_selectorELNS0_4arch9wavefront6targetE0EEEvSH_
	.globl	_ZN7rocprim17ROCPRIM_400000_NS6detail17trampoline_kernelINS0_14default_configENS1_35radix_sort_onesweep_config_selectorI6__halfNS0_10empty_typeEEEZZNS1_29radix_sort_onesweep_iterationIS3_Lb1EPKS5_PS5_PS6_SC_mNS0_19identity_decomposerENS1_16block_id_wrapperIjLb1EEEEE10hipError_tT1_PNSt15iterator_traitsISH_E10value_typeET2_T3_PNSI_ISN_E10value_typeET4_T5_PSS_ST_PNS1_23onesweep_lookback_stateEbbT6_jjT7_P12ihipStream_tbENKUlT_T0_SH_SM_E_clISB_SB_SC_SC_EEDaS10_S11_SH_SM_EUlS10_E_NS1_11comp_targetILNS1_3genE6ELNS1_11target_archE950ELNS1_3gpuE13ELNS1_3repE0EEENS1_47radix_sort_onesweep_sort_config_static_selectorELNS0_4arch9wavefront6targetE0EEEvSH_
	.p2align	8
	.type	_ZN7rocprim17ROCPRIM_400000_NS6detail17trampoline_kernelINS0_14default_configENS1_35radix_sort_onesweep_config_selectorI6__halfNS0_10empty_typeEEEZZNS1_29radix_sort_onesweep_iterationIS3_Lb1EPKS5_PS5_PS6_SC_mNS0_19identity_decomposerENS1_16block_id_wrapperIjLb1EEEEE10hipError_tT1_PNSt15iterator_traitsISH_E10value_typeET2_T3_PNSI_ISN_E10value_typeET4_T5_PSS_ST_PNS1_23onesweep_lookback_stateEbbT6_jjT7_P12ihipStream_tbENKUlT_T0_SH_SM_E_clISB_SB_SC_SC_EEDaS10_S11_SH_SM_EUlS10_E_NS1_11comp_targetILNS1_3genE6ELNS1_11target_archE950ELNS1_3gpuE13ELNS1_3repE0EEENS1_47radix_sort_onesweep_sort_config_static_selectorELNS0_4arch9wavefront6targetE0EEEvSH_,@function
_ZN7rocprim17ROCPRIM_400000_NS6detail17trampoline_kernelINS0_14default_configENS1_35radix_sort_onesweep_config_selectorI6__halfNS0_10empty_typeEEEZZNS1_29radix_sort_onesweep_iterationIS3_Lb1EPKS5_PS5_PS6_SC_mNS0_19identity_decomposerENS1_16block_id_wrapperIjLb1EEEEE10hipError_tT1_PNSt15iterator_traitsISH_E10value_typeET2_T3_PNSI_ISN_E10value_typeET4_T5_PSS_ST_PNS1_23onesweep_lookback_stateEbbT6_jjT7_P12ihipStream_tbENKUlT_T0_SH_SM_E_clISB_SB_SC_SC_EEDaS10_S11_SH_SM_EUlS10_E_NS1_11comp_targetILNS1_3genE6ELNS1_11target_archE950ELNS1_3gpuE13ELNS1_3repE0EEENS1_47radix_sort_onesweep_sort_config_static_selectorELNS0_4arch9wavefront6targetE0EEEvSH_: ; @_ZN7rocprim17ROCPRIM_400000_NS6detail17trampoline_kernelINS0_14default_configENS1_35radix_sort_onesweep_config_selectorI6__halfNS0_10empty_typeEEEZZNS1_29radix_sort_onesweep_iterationIS3_Lb1EPKS5_PS5_PS6_SC_mNS0_19identity_decomposerENS1_16block_id_wrapperIjLb1EEEEE10hipError_tT1_PNSt15iterator_traitsISH_E10value_typeET2_T3_PNSI_ISN_E10value_typeET4_T5_PSS_ST_PNS1_23onesweep_lookback_stateEbbT6_jjT7_P12ihipStream_tbENKUlT_T0_SH_SM_E_clISB_SB_SC_SC_EEDaS10_S11_SH_SM_EUlS10_E_NS1_11comp_targetILNS1_3genE6ELNS1_11target_archE950ELNS1_3gpuE13ELNS1_3repE0EEENS1_47radix_sort_onesweep_sort_config_static_selectorELNS0_4arch9wavefront6targetE0EEEvSH_
; %bb.0:
	.section	.rodata,"a",@progbits
	.p2align	6, 0x0
	.amdhsa_kernel _ZN7rocprim17ROCPRIM_400000_NS6detail17trampoline_kernelINS0_14default_configENS1_35radix_sort_onesweep_config_selectorI6__halfNS0_10empty_typeEEEZZNS1_29radix_sort_onesweep_iterationIS3_Lb1EPKS5_PS5_PS6_SC_mNS0_19identity_decomposerENS1_16block_id_wrapperIjLb1EEEEE10hipError_tT1_PNSt15iterator_traitsISH_E10value_typeET2_T3_PNSI_ISN_E10value_typeET4_T5_PSS_ST_PNS1_23onesweep_lookback_stateEbbT6_jjT7_P12ihipStream_tbENKUlT_T0_SH_SM_E_clISB_SB_SC_SC_EEDaS10_S11_SH_SM_EUlS10_E_NS1_11comp_targetILNS1_3genE6ELNS1_11target_archE950ELNS1_3gpuE13ELNS1_3repE0EEENS1_47radix_sort_onesweep_sort_config_static_selectorELNS0_4arch9wavefront6targetE0EEEvSH_
		.amdhsa_group_segment_fixed_size 0
		.amdhsa_private_segment_fixed_size 0
		.amdhsa_kernarg_size 88
		.amdhsa_user_sgpr_count 2
		.amdhsa_user_sgpr_dispatch_ptr 0
		.amdhsa_user_sgpr_queue_ptr 0
		.amdhsa_user_sgpr_kernarg_segment_ptr 1
		.amdhsa_user_sgpr_dispatch_id 0
		.amdhsa_user_sgpr_kernarg_preload_length 0
		.amdhsa_user_sgpr_kernarg_preload_offset 0
		.amdhsa_user_sgpr_private_segment_size 0
		.amdhsa_wavefront_size32 1
		.amdhsa_uses_dynamic_stack 0
		.amdhsa_enable_private_segment 0
		.amdhsa_system_sgpr_workgroup_id_x 1
		.amdhsa_system_sgpr_workgroup_id_y 0
		.amdhsa_system_sgpr_workgroup_id_z 0
		.amdhsa_system_sgpr_workgroup_info 0
		.amdhsa_system_vgpr_workitem_id 0
		.amdhsa_next_free_vgpr 1
		.amdhsa_next_free_sgpr 1
		.amdhsa_named_barrier_count 0
		.amdhsa_reserve_vcc 0
		.amdhsa_float_round_mode_32 0
		.amdhsa_float_round_mode_16_64 0
		.amdhsa_float_denorm_mode_32 3
		.amdhsa_float_denorm_mode_16_64 3
		.amdhsa_fp16_overflow 0
		.amdhsa_memory_ordered 1
		.amdhsa_forward_progress 1
		.amdhsa_inst_pref_size 0
		.amdhsa_round_robin_scheduling 0
		.amdhsa_exception_fp_ieee_invalid_op 0
		.amdhsa_exception_fp_denorm_src 0
		.amdhsa_exception_fp_ieee_div_zero 0
		.amdhsa_exception_fp_ieee_overflow 0
		.amdhsa_exception_fp_ieee_underflow 0
		.amdhsa_exception_fp_ieee_inexact 0
		.amdhsa_exception_int_div_zero 0
	.end_amdhsa_kernel
	.section	.text._ZN7rocprim17ROCPRIM_400000_NS6detail17trampoline_kernelINS0_14default_configENS1_35radix_sort_onesweep_config_selectorI6__halfNS0_10empty_typeEEEZZNS1_29radix_sort_onesweep_iterationIS3_Lb1EPKS5_PS5_PS6_SC_mNS0_19identity_decomposerENS1_16block_id_wrapperIjLb1EEEEE10hipError_tT1_PNSt15iterator_traitsISH_E10value_typeET2_T3_PNSI_ISN_E10value_typeET4_T5_PSS_ST_PNS1_23onesweep_lookback_stateEbbT6_jjT7_P12ihipStream_tbENKUlT_T0_SH_SM_E_clISB_SB_SC_SC_EEDaS10_S11_SH_SM_EUlS10_E_NS1_11comp_targetILNS1_3genE6ELNS1_11target_archE950ELNS1_3gpuE13ELNS1_3repE0EEENS1_47radix_sort_onesweep_sort_config_static_selectorELNS0_4arch9wavefront6targetE0EEEvSH_,"axG",@progbits,_ZN7rocprim17ROCPRIM_400000_NS6detail17trampoline_kernelINS0_14default_configENS1_35radix_sort_onesweep_config_selectorI6__halfNS0_10empty_typeEEEZZNS1_29radix_sort_onesweep_iterationIS3_Lb1EPKS5_PS5_PS6_SC_mNS0_19identity_decomposerENS1_16block_id_wrapperIjLb1EEEEE10hipError_tT1_PNSt15iterator_traitsISH_E10value_typeET2_T3_PNSI_ISN_E10value_typeET4_T5_PSS_ST_PNS1_23onesweep_lookback_stateEbbT6_jjT7_P12ihipStream_tbENKUlT_T0_SH_SM_E_clISB_SB_SC_SC_EEDaS10_S11_SH_SM_EUlS10_E_NS1_11comp_targetILNS1_3genE6ELNS1_11target_archE950ELNS1_3gpuE13ELNS1_3repE0EEENS1_47radix_sort_onesweep_sort_config_static_selectorELNS0_4arch9wavefront6targetE0EEEvSH_,comdat
.Lfunc_end2173:
	.size	_ZN7rocprim17ROCPRIM_400000_NS6detail17trampoline_kernelINS0_14default_configENS1_35radix_sort_onesweep_config_selectorI6__halfNS0_10empty_typeEEEZZNS1_29radix_sort_onesweep_iterationIS3_Lb1EPKS5_PS5_PS6_SC_mNS0_19identity_decomposerENS1_16block_id_wrapperIjLb1EEEEE10hipError_tT1_PNSt15iterator_traitsISH_E10value_typeET2_T3_PNSI_ISN_E10value_typeET4_T5_PSS_ST_PNS1_23onesweep_lookback_stateEbbT6_jjT7_P12ihipStream_tbENKUlT_T0_SH_SM_E_clISB_SB_SC_SC_EEDaS10_S11_SH_SM_EUlS10_E_NS1_11comp_targetILNS1_3genE6ELNS1_11target_archE950ELNS1_3gpuE13ELNS1_3repE0EEENS1_47radix_sort_onesweep_sort_config_static_selectorELNS0_4arch9wavefront6targetE0EEEvSH_, .Lfunc_end2173-_ZN7rocprim17ROCPRIM_400000_NS6detail17trampoline_kernelINS0_14default_configENS1_35radix_sort_onesweep_config_selectorI6__halfNS0_10empty_typeEEEZZNS1_29radix_sort_onesweep_iterationIS3_Lb1EPKS5_PS5_PS6_SC_mNS0_19identity_decomposerENS1_16block_id_wrapperIjLb1EEEEE10hipError_tT1_PNSt15iterator_traitsISH_E10value_typeET2_T3_PNSI_ISN_E10value_typeET4_T5_PSS_ST_PNS1_23onesweep_lookback_stateEbbT6_jjT7_P12ihipStream_tbENKUlT_T0_SH_SM_E_clISB_SB_SC_SC_EEDaS10_S11_SH_SM_EUlS10_E_NS1_11comp_targetILNS1_3genE6ELNS1_11target_archE950ELNS1_3gpuE13ELNS1_3repE0EEENS1_47radix_sort_onesweep_sort_config_static_selectorELNS0_4arch9wavefront6targetE0EEEvSH_
                                        ; -- End function
	.set _ZN7rocprim17ROCPRIM_400000_NS6detail17trampoline_kernelINS0_14default_configENS1_35radix_sort_onesweep_config_selectorI6__halfNS0_10empty_typeEEEZZNS1_29radix_sort_onesweep_iterationIS3_Lb1EPKS5_PS5_PS6_SC_mNS0_19identity_decomposerENS1_16block_id_wrapperIjLb1EEEEE10hipError_tT1_PNSt15iterator_traitsISH_E10value_typeET2_T3_PNSI_ISN_E10value_typeET4_T5_PSS_ST_PNS1_23onesweep_lookback_stateEbbT6_jjT7_P12ihipStream_tbENKUlT_T0_SH_SM_E_clISB_SB_SC_SC_EEDaS10_S11_SH_SM_EUlS10_E_NS1_11comp_targetILNS1_3genE6ELNS1_11target_archE950ELNS1_3gpuE13ELNS1_3repE0EEENS1_47radix_sort_onesweep_sort_config_static_selectorELNS0_4arch9wavefront6targetE0EEEvSH_.num_vgpr, 0
	.set _ZN7rocprim17ROCPRIM_400000_NS6detail17trampoline_kernelINS0_14default_configENS1_35radix_sort_onesweep_config_selectorI6__halfNS0_10empty_typeEEEZZNS1_29radix_sort_onesweep_iterationIS3_Lb1EPKS5_PS5_PS6_SC_mNS0_19identity_decomposerENS1_16block_id_wrapperIjLb1EEEEE10hipError_tT1_PNSt15iterator_traitsISH_E10value_typeET2_T3_PNSI_ISN_E10value_typeET4_T5_PSS_ST_PNS1_23onesweep_lookback_stateEbbT6_jjT7_P12ihipStream_tbENKUlT_T0_SH_SM_E_clISB_SB_SC_SC_EEDaS10_S11_SH_SM_EUlS10_E_NS1_11comp_targetILNS1_3genE6ELNS1_11target_archE950ELNS1_3gpuE13ELNS1_3repE0EEENS1_47radix_sort_onesweep_sort_config_static_selectorELNS0_4arch9wavefront6targetE0EEEvSH_.num_agpr, 0
	.set _ZN7rocprim17ROCPRIM_400000_NS6detail17trampoline_kernelINS0_14default_configENS1_35radix_sort_onesweep_config_selectorI6__halfNS0_10empty_typeEEEZZNS1_29radix_sort_onesweep_iterationIS3_Lb1EPKS5_PS5_PS6_SC_mNS0_19identity_decomposerENS1_16block_id_wrapperIjLb1EEEEE10hipError_tT1_PNSt15iterator_traitsISH_E10value_typeET2_T3_PNSI_ISN_E10value_typeET4_T5_PSS_ST_PNS1_23onesweep_lookback_stateEbbT6_jjT7_P12ihipStream_tbENKUlT_T0_SH_SM_E_clISB_SB_SC_SC_EEDaS10_S11_SH_SM_EUlS10_E_NS1_11comp_targetILNS1_3genE6ELNS1_11target_archE950ELNS1_3gpuE13ELNS1_3repE0EEENS1_47radix_sort_onesweep_sort_config_static_selectorELNS0_4arch9wavefront6targetE0EEEvSH_.numbered_sgpr, 0
	.set _ZN7rocprim17ROCPRIM_400000_NS6detail17trampoline_kernelINS0_14default_configENS1_35radix_sort_onesweep_config_selectorI6__halfNS0_10empty_typeEEEZZNS1_29radix_sort_onesweep_iterationIS3_Lb1EPKS5_PS5_PS6_SC_mNS0_19identity_decomposerENS1_16block_id_wrapperIjLb1EEEEE10hipError_tT1_PNSt15iterator_traitsISH_E10value_typeET2_T3_PNSI_ISN_E10value_typeET4_T5_PSS_ST_PNS1_23onesweep_lookback_stateEbbT6_jjT7_P12ihipStream_tbENKUlT_T0_SH_SM_E_clISB_SB_SC_SC_EEDaS10_S11_SH_SM_EUlS10_E_NS1_11comp_targetILNS1_3genE6ELNS1_11target_archE950ELNS1_3gpuE13ELNS1_3repE0EEENS1_47radix_sort_onesweep_sort_config_static_selectorELNS0_4arch9wavefront6targetE0EEEvSH_.num_named_barrier, 0
	.set _ZN7rocprim17ROCPRIM_400000_NS6detail17trampoline_kernelINS0_14default_configENS1_35radix_sort_onesweep_config_selectorI6__halfNS0_10empty_typeEEEZZNS1_29radix_sort_onesweep_iterationIS3_Lb1EPKS5_PS5_PS6_SC_mNS0_19identity_decomposerENS1_16block_id_wrapperIjLb1EEEEE10hipError_tT1_PNSt15iterator_traitsISH_E10value_typeET2_T3_PNSI_ISN_E10value_typeET4_T5_PSS_ST_PNS1_23onesweep_lookback_stateEbbT6_jjT7_P12ihipStream_tbENKUlT_T0_SH_SM_E_clISB_SB_SC_SC_EEDaS10_S11_SH_SM_EUlS10_E_NS1_11comp_targetILNS1_3genE6ELNS1_11target_archE950ELNS1_3gpuE13ELNS1_3repE0EEENS1_47radix_sort_onesweep_sort_config_static_selectorELNS0_4arch9wavefront6targetE0EEEvSH_.private_seg_size, 0
	.set _ZN7rocprim17ROCPRIM_400000_NS6detail17trampoline_kernelINS0_14default_configENS1_35radix_sort_onesweep_config_selectorI6__halfNS0_10empty_typeEEEZZNS1_29radix_sort_onesweep_iterationIS3_Lb1EPKS5_PS5_PS6_SC_mNS0_19identity_decomposerENS1_16block_id_wrapperIjLb1EEEEE10hipError_tT1_PNSt15iterator_traitsISH_E10value_typeET2_T3_PNSI_ISN_E10value_typeET4_T5_PSS_ST_PNS1_23onesweep_lookback_stateEbbT6_jjT7_P12ihipStream_tbENKUlT_T0_SH_SM_E_clISB_SB_SC_SC_EEDaS10_S11_SH_SM_EUlS10_E_NS1_11comp_targetILNS1_3genE6ELNS1_11target_archE950ELNS1_3gpuE13ELNS1_3repE0EEENS1_47radix_sort_onesweep_sort_config_static_selectorELNS0_4arch9wavefront6targetE0EEEvSH_.uses_vcc, 0
	.set _ZN7rocprim17ROCPRIM_400000_NS6detail17trampoline_kernelINS0_14default_configENS1_35radix_sort_onesweep_config_selectorI6__halfNS0_10empty_typeEEEZZNS1_29radix_sort_onesweep_iterationIS3_Lb1EPKS5_PS5_PS6_SC_mNS0_19identity_decomposerENS1_16block_id_wrapperIjLb1EEEEE10hipError_tT1_PNSt15iterator_traitsISH_E10value_typeET2_T3_PNSI_ISN_E10value_typeET4_T5_PSS_ST_PNS1_23onesweep_lookback_stateEbbT6_jjT7_P12ihipStream_tbENKUlT_T0_SH_SM_E_clISB_SB_SC_SC_EEDaS10_S11_SH_SM_EUlS10_E_NS1_11comp_targetILNS1_3genE6ELNS1_11target_archE950ELNS1_3gpuE13ELNS1_3repE0EEENS1_47radix_sort_onesweep_sort_config_static_selectorELNS0_4arch9wavefront6targetE0EEEvSH_.uses_flat_scratch, 0
	.set _ZN7rocprim17ROCPRIM_400000_NS6detail17trampoline_kernelINS0_14default_configENS1_35radix_sort_onesweep_config_selectorI6__halfNS0_10empty_typeEEEZZNS1_29radix_sort_onesweep_iterationIS3_Lb1EPKS5_PS5_PS6_SC_mNS0_19identity_decomposerENS1_16block_id_wrapperIjLb1EEEEE10hipError_tT1_PNSt15iterator_traitsISH_E10value_typeET2_T3_PNSI_ISN_E10value_typeET4_T5_PSS_ST_PNS1_23onesweep_lookback_stateEbbT6_jjT7_P12ihipStream_tbENKUlT_T0_SH_SM_E_clISB_SB_SC_SC_EEDaS10_S11_SH_SM_EUlS10_E_NS1_11comp_targetILNS1_3genE6ELNS1_11target_archE950ELNS1_3gpuE13ELNS1_3repE0EEENS1_47radix_sort_onesweep_sort_config_static_selectorELNS0_4arch9wavefront6targetE0EEEvSH_.has_dyn_sized_stack, 0
	.set _ZN7rocprim17ROCPRIM_400000_NS6detail17trampoline_kernelINS0_14default_configENS1_35radix_sort_onesweep_config_selectorI6__halfNS0_10empty_typeEEEZZNS1_29radix_sort_onesweep_iterationIS3_Lb1EPKS5_PS5_PS6_SC_mNS0_19identity_decomposerENS1_16block_id_wrapperIjLb1EEEEE10hipError_tT1_PNSt15iterator_traitsISH_E10value_typeET2_T3_PNSI_ISN_E10value_typeET4_T5_PSS_ST_PNS1_23onesweep_lookback_stateEbbT6_jjT7_P12ihipStream_tbENKUlT_T0_SH_SM_E_clISB_SB_SC_SC_EEDaS10_S11_SH_SM_EUlS10_E_NS1_11comp_targetILNS1_3genE6ELNS1_11target_archE950ELNS1_3gpuE13ELNS1_3repE0EEENS1_47radix_sort_onesweep_sort_config_static_selectorELNS0_4arch9wavefront6targetE0EEEvSH_.has_recursion, 0
	.set _ZN7rocprim17ROCPRIM_400000_NS6detail17trampoline_kernelINS0_14default_configENS1_35radix_sort_onesweep_config_selectorI6__halfNS0_10empty_typeEEEZZNS1_29radix_sort_onesweep_iterationIS3_Lb1EPKS5_PS5_PS6_SC_mNS0_19identity_decomposerENS1_16block_id_wrapperIjLb1EEEEE10hipError_tT1_PNSt15iterator_traitsISH_E10value_typeET2_T3_PNSI_ISN_E10value_typeET4_T5_PSS_ST_PNS1_23onesweep_lookback_stateEbbT6_jjT7_P12ihipStream_tbENKUlT_T0_SH_SM_E_clISB_SB_SC_SC_EEDaS10_S11_SH_SM_EUlS10_E_NS1_11comp_targetILNS1_3genE6ELNS1_11target_archE950ELNS1_3gpuE13ELNS1_3repE0EEENS1_47radix_sort_onesweep_sort_config_static_selectorELNS0_4arch9wavefront6targetE0EEEvSH_.has_indirect_call, 0
	.section	.AMDGPU.csdata,"",@progbits
; Kernel info:
; codeLenInByte = 0
; TotalNumSgprs: 0
; NumVgprs: 0
; ScratchSize: 0
; MemoryBound: 0
; FloatMode: 240
; IeeeMode: 1
; LDSByteSize: 0 bytes/workgroup (compile time only)
; SGPRBlocks: 0
; VGPRBlocks: 0
; NumSGPRsForWavesPerEU: 1
; NumVGPRsForWavesPerEU: 1
; NamedBarCnt: 0
; Occupancy: 16
; WaveLimiterHint : 0
; COMPUTE_PGM_RSRC2:SCRATCH_EN: 0
; COMPUTE_PGM_RSRC2:USER_SGPR: 2
; COMPUTE_PGM_RSRC2:TRAP_HANDLER: 0
; COMPUTE_PGM_RSRC2:TGID_X_EN: 1
; COMPUTE_PGM_RSRC2:TGID_Y_EN: 0
; COMPUTE_PGM_RSRC2:TGID_Z_EN: 0
; COMPUTE_PGM_RSRC2:TIDIG_COMP_CNT: 0
	.section	.text._ZN7rocprim17ROCPRIM_400000_NS6detail17trampoline_kernelINS0_14default_configENS1_35radix_sort_onesweep_config_selectorI6__halfNS0_10empty_typeEEEZZNS1_29radix_sort_onesweep_iterationIS3_Lb1EPKS5_PS5_PS6_SC_mNS0_19identity_decomposerENS1_16block_id_wrapperIjLb1EEEEE10hipError_tT1_PNSt15iterator_traitsISH_E10value_typeET2_T3_PNSI_ISN_E10value_typeET4_T5_PSS_ST_PNS1_23onesweep_lookback_stateEbbT6_jjT7_P12ihipStream_tbENKUlT_T0_SH_SM_E_clISB_SB_SC_SC_EEDaS10_S11_SH_SM_EUlS10_E_NS1_11comp_targetILNS1_3genE5ELNS1_11target_archE942ELNS1_3gpuE9ELNS1_3repE0EEENS1_47radix_sort_onesweep_sort_config_static_selectorELNS0_4arch9wavefront6targetE0EEEvSH_,"axG",@progbits,_ZN7rocprim17ROCPRIM_400000_NS6detail17trampoline_kernelINS0_14default_configENS1_35radix_sort_onesweep_config_selectorI6__halfNS0_10empty_typeEEEZZNS1_29radix_sort_onesweep_iterationIS3_Lb1EPKS5_PS5_PS6_SC_mNS0_19identity_decomposerENS1_16block_id_wrapperIjLb1EEEEE10hipError_tT1_PNSt15iterator_traitsISH_E10value_typeET2_T3_PNSI_ISN_E10value_typeET4_T5_PSS_ST_PNS1_23onesweep_lookback_stateEbbT6_jjT7_P12ihipStream_tbENKUlT_T0_SH_SM_E_clISB_SB_SC_SC_EEDaS10_S11_SH_SM_EUlS10_E_NS1_11comp_targetILNS1_3genE5ELNS1_11target_archE942ELNS1_3gpuE9ELNS1_3repE0EEENS1_47radix_sort_onesweep_sort_config_static_selectorELNS0_4arch9wavefront6targetE0EEEvSH_,comdat
	.protected	_ZN7rocprim17ROCPRIM_400000_NS6detail17trampoline_kernelINS0_14default_configENS1_35radix_sort_onesweep_config_selectorI6__halfNS0_10empty_typeEEEZZNS1_29radix_sort_onesweep_iterationIS3_Lb1EPKS5_PS5_PS6_SC_mNS0_19identity_decomposerENS1_16block_id_wrapperIjLb1EEEEE10hipError_tT1_PNSt15iterator_traitsISH_E10value_typeET2_T3_PNSI_ISN_E10value_typeET4_T5_PSS_ST_PNS1_23onesweep_lookback_stateEbbT6_jjT7_P12ihipStream_tbENKUlT_T0_SH_SM_E_clISB_SB_SC_SC_EEDaS10_S11_SH_SM_EUlS10_E_NS1_11comp_targetILNS1_3genE5ELNS1_11target_archE942ELNS1_3gpuE9ELNS1_3repE0EEENS1_47radix_sort_onesweep_sort_config_static_selectorELNS0_4arch9wavefront6targetE0EEEvSH_ ; -- Begin function _ZN7rocprim17ROCPRIM_400000_NS6detail17trampoline_kernelINS0_14default_configENS1_35radix_sort_onesweep_config_selectorI6__halfNS0_10empty_typeEEEZZNS1_29radix_sort_onesweep_iterationIS3_Lb1EPKS5_PS5_PS6_SC_mNS0_19identity_decomposerENS1_16block_id_wrapperIjLb1EEEEE10hipError_tT1_PNSt15iterator_traitsISH_E10value_typeET2_T3_PNSI_ISN_E10value_typeET4_T5_PSS_ST_PNS1_23onesweep_lookback_stateEbbT6_jjT7_P12ihipStream_tbENKUlT_T0_SH_SM_E_clISB_SB_SC_SC_EEDaS10_S11_SH_SM_EUlS10_E_NS1_11comp_targetILNS1_3genE5ELNS1_11target_archE942ELNS1_3gpuE9ELNS1_3repE0EEENS1_47radix_sort_onesweep_sort_config_static_selectorELNS0_4arch9wavefront6targetE0EEEvSH_
	.globl	_ZN7rocprim17ROCPRIM_400000_NS6detail17trampoline_kernelINS0_14default_configENS1_35radix_sort_onesweep_config_selectorI6__halfNS0_10empty_typeEEEZZNS1_29radix_sort_onesweep_iterationIS3_Lb1EPKS5_PS5_PS6_SC_mNS0_19identity_decomposerENS1_16block_id_wrapperIjLb1EEEEE10hipError_tT1_PNSt15iterator_traitsISH_E10value_typeET2_T3_PNSI_ISN_E10value_typeET4_T5_PSS_ST_PNS1_23onesweep_lookback_stateEbbT6_jjT7_P12ihipStream_tbENKUlT_T0_SH_SM_E_clISB_SB_SC_SC_EEDaS10_S11_SH_SM_EUlS10_E_NS1_11comp_targetILNS1_3genE5ELNS1_11target_archE942ELNS1_3gpuE9ELNS1_3repE0EEENS1_47radix_sort_onesweep_sort_config_static_selectorELNS0_4arch9wavefront6targetE0EEEvSH_
	.p2align	8
	.type	_ZN7rocprim17ROCPRIM_400000_NS6detail17trampoline_kernelINS0_14default_configENS1_35radix_sort_onesweep_config_selectorI6__halfNS0_10empty_typeEEEZZNS1_29radix_sort_onesweep_iterationIS3_Lb1EPKS5_PS5_PS6_SC_mNS0_19identity_decomposerENS1_16block_id_wrapperIjLb1EEEEE10hipError_tT1_PNSt15iterator_traitsISH_E10value_typeET2_T3_PNSI_ISN_E10value_typeET4_T5_PSS_ST_PNS1_23onesweep_lookback_stateEbbT6_jjT7_P12ihipStream_tbENKUlT_T0_SH_SM_E_clISB_SB_SC_SC_EEDaS10_S11_SH_SM_EUlS10_E_NS1_11comp_targetILNS1_3genE5ELNS1_11target_archE942ELNS1_3gpuE9ELNS1_3repE0EEENS1_47radix_sort_onesweep_sort_config_static_selectorELNS0_4arch9wavefront6targetE0EEEvSH_,@function
_ZN7rocprim17ROCPRIM_400000_NS6detail17trampoline_kernelINS0_14default_configENS1_35radix_sort_onesweep_config_selectorI6__halfNS0_10empty_typeEEEZZNS1_29radix_sort_onesweep_iterationIS3_Lb1EPKS5_PS5_PS6_SC_mNS0_19identity_decomposerENS1_16block_id_wrapperIjLb1EEEEE10hipError_tT1_PNSt15iterator_traitsISH_E10value_typeET2_T3_PNSI_ISN_E10value_typeET4_T5_PSS_ST_PNS1_23onesweep_lookback_stateEbbT6_jjT7_P12ihipStream_tbENKUlT_T0_SH_SM_E_clISB_SB_SC_SC_EEDaS10_S11_SH_SM_EUlS10_E_NS1_11comp_targetILNS1_3genE5ELNS1_11target_archE942ELNS1_3gpuE9ELNS1_3repE0EEENS1_47radix_sort_onesweep_sort_config_static_selectorELNS0_4arch9wavefront6targetE0EEEvSH_: ; @_ZN7rocprim17ROCPRIM_400000_NS6detail17trampoline_kernelINS0_14default_configENS1_35radix_sort_onesweep_config_selectorI6__halfNS0_10empty_typeEEEZZNS1_29radix_sort_onesweep_iterationIS3_Lb1EPKS5_PS5_PS6_SC_mNS0_19identity_decomposerENS1_16block_id_wrapperIjLb1EEEEE10hipError_tT1_PNSt15iterator_traitsISH_E10value_typeET2_T3_PNSI_ISN_E10value_typeET4_T5_PSS_ST_PNS1_23onesweep_lookback_stateEbbT6_jjT7_P12ihipStream_tbENKUlT_T0_SH_SM_E_clISB_SB_SC_SC_EEDaS10_S11_SH_SM_EUlS10_E_NS1_11comp_targetILNS1_3genE5ELNS1_11target_archE942ELNS1_3gpuE9ELNS1_3repE0EEENS1_47radix_sort_onesweep_sort_config_static_selectorELNS0_4arch9wavefront6targetE0EEEvSH_
; %bb.0:
	.section	.rodata,"a",@progbits
	.p2align	6, 0x0
	.amdhsa_kernel _ZN7rocprim17ROCPRIM_400000_NS6detail17trampoline_kernelINS0_14default_configENS1_35radix_sort_onesweep_config_selectorI6__halfNS0_10empty_typeEEEZZNS1_29radix_sort_onesweep_iterationIS3_Lb1EPKS5_PS5_PS6_SC_mNS0_19identity_decomposerENS1_16block_id_wrapperIjLb1EEEEE10hipError_tT1_PNSt15iterator_traitsISH_E10value_typeET2_T3_PNSI_ISN_E10value_typeET4_T5_PSS_ST_PNS1_23onesweep_lookback_stateEbbT6_jjT7_P12ihipStream_tbENKUlT_T0_SH_SM_E_clISB_SB_SC_SC_EEDaS10_S11_SH_SM_EUlS10_E_NS1_11comp_targetILNS1_3genE5ELNS1_11target_archE942ELNS1_3gpuE9ELNS1_3repE0EEENS1_47radix_sort_onesweep_sort_config_static_selectorELNS0_4arch9wavefront6targetE0EEEvSH_
		.amdhsa_group_segment_fixed_size 0
		.amdhsa_private_segment_fixed_size 0
		.amdhsa_kernarg_size 88
		.amdhsa_user_sgpr_count 2
		.amdhsa_user_sgpr_dispatch_ptr 0
		.amdhsa_user_sgpr_queue_ptr 0
		.amdhsa_user_sgpr_kernarg_segment_ptr 1
		.amdhsa_user_sgpr_dispatch_id 0
		.amdhsa_user_sgpr_kernarg_preload_length 0
		.amdhsa_user_sgpr_kernarg_preload_offset 0
		.amdhsa_user_sgpr_private_segment_size 0
		.amdhsa_wavefront_size32 1
		.amdhsa_uses_dynamic_stack 0
		.amdhsa_enable_private_segment 0
		.amdhsa_system_sgpr_workgroup_id_x 1
		.amdhsa_system_sgpr_workgroup_id_y 0
		.amdhsa_system_sgpr_workgroup_id_z 0
		.amdhsa_system_sgpr_workgroup_info 0
		.amdhsa_system_vgpr_workitem_id 0
		.amdhsa_next_free_vgpr 1
		.amdhsa_next_free_sgpr 1
		.amdhsa_named_barrier_count 0
		.amdhsa_reserve_vcc 0
		.amdhsa_float_round_mode_32 0
		.amdhsa_float_round_mode_16_64 0
		.amdhsa_float_denorm_mode_32 3
		.amdhsa_float_denorm_mode_16_64 3
		.amdhsa_fp16_overflow 0
		.amdhsa_memory_ordered 1
		.amdhsa_forward_progress 1
		.amdhsa_inst_pref_size 0
		.amdhsa_round_robin_scheduling 0
		.amdhsa_exception_fp_ieee_invalid_op 0
		.amdhsa_exception_fp_denorm_src 0
		.amdhsa_exception_fp_ieee_div_zero 0
		.amdhsa_exception_fp_ieee_overflow 0
		.amdhsa_exception_fp_ieee_underflow 0
		.amdhsa_exception_fp_ieee_inexact 0
		.amdhsa_exception_int_div_zero 0
	.end_amdhsa_kernel
	.section	.text._ZN7rocprim17ROCPRIM_400000_NS6detail17trampoline_kernelINS0_14default_configENS1_35radix_sort_onesweep_config_selectorI6__halfNS0_10empty_typeEEEZZNS1_29radix_sort_onesweep_iterationIS3_Lb1EPKS5_PS5_PS6_SC_mNS0_19identity_decomposerENS1_16block_id_wrapperIjLb1EEEEE10hipError_tT1_PNSt15iterator_traitsISH_E10value_typeET2_T3_PNSI_ISN_E10value_typeET4_T5_PSS_ST_PNS1_23onesweep_lookback_stateEbbT6_jjT7_P12ihipStream_tbENKUlT_T0_SH_SM_E_clISB_SB_SC_SC_EEDaS10_S11_SH_SM_EUlS10_E_NS1_11comp_targetILNS1_3genE5ELNS1_11target_archE942ELNS1_3gpuE9ELNS1_3repE0EEENS1_47radix_sort_onesweep_sort_config_static_selectorELNS0_4arch9wavefront6targetE0EEEvSH_,"axG",@progbits,_ZN7rocprim17ROCPRIM_400000_NS6detail17trampoline_kernelINS0_14default_configENS1_35radix_sort_onesweep_config_selectorI6__halfNS0_10empty_typeEEEZZNS1_29radix_sort_onesweep_iterationIS3_Lb1EPKS5_PS5_PS6_SC_mNS0_19identity_decomposerENS1_16block_id_wrapperIjLb1EEEEE10hipError_tT1_PNSt15iterator_traitsISH_E10value_typeET2_T3_PNSI_ISN_E10value_typeET4_T5_PSS_ST_PNS1_23onesweep_lookback_stateEbbT6_jjT7_P12ihipStream_tbENKUlT_T0_SH_SM_E_clISB_SB_SC_SC_EEDaS10_S11_SH_SM_EUlS10_E_NS1_11comp_targetILNS1_3genE5ELNS1_11target_archE942ELNS1_3gpuE9ELNS1_3repE0EEENS1_47radix_sort_onesweep_sort_config_static_selectorELNS0_4arch9wavefront6targetE0EEEvSH_,comdat
.Lfunc_end2174:
	.size	_ZN7rocprim17ROCPRIM_400000_NS6detail17trampoline_kernelINS0_14default_configENS1_35radix_sort_onesweep_config_selectorI6__halfNS0_10empty_typeEEEZZNS1_29radix_sort_onesweep_iterationIS3_Lb1EPKS5_PS5_PS6_SC_mNS0_19identity_decomposerENS1_16block_id_wrapperIjLb1EEEEE10hipError_tT1_PNSt15iterator_traitsISH_E10value_typeET2_T3_PNSI_ISN_E10value_typeET4_T5_PSS_ST_PNS1_23onesweep_lookback_stateEbbT6_jjT7_P12ihipStream_tbENKUlT_T0_SH_SM_E_clISB_SB_SC_SC_EEDaS10_S11_SH_SM_EUlS10_E_NS1_11comp_targetILNS1_3genE5ELNS1_11target_archE942ELNS1_3gpuE9ELNS1_3repE0EEENS1_47radix_sort_onesweep_sort_config_static_selectorELNS0_4arch9wavefront6targetE0EEEvSH_, .Lfunc_end2174-_ZN7rocprim17ROCPRIM_400000_NS6detail17trampoline_kernelINS0_14default_configENS1_35radix_sort_onesweep_config_selectorI6__halfNS0_10empty_typeEEEZZNS1_29radix_sort_onesweep_iterationIS3_Lb1EPKS5_PS5_PS6_SC_mNS0_19identity_decomposerENS1_16block_id_wrapperIjLb1EEEEE10hipError_tT1_PNSt15iterator_traitsISH_E10value_typeET2_T3_PNSI_ISN_E10value_typeET4_T5_PSS_ST_PNS1_23onesweep_lookback_stateEbbT6_jjT7_P12ihipStream_tbENKUlT_T0_SH_SM_E_clISB_SB_SC_SC_EEDaS10_S11_SH_SM_EUlS10_E_NS1_11comp_targetILNS1_3genE5ELNS1_11target_archE942ELNS1_3gpuE9ELNS1_3repE0EEENS1_47radix_sort_onesweep_sort_config_static_selectorELNS0_4arch9wavefront6targetE0EEEvSH_
                                        ; -- End function
	.set _ZN7rocprim17ROCPRIM_400000_NS6detail17trampoline_kernelINS0_14default_configENS1_35radix_sort_onesweep_config_selectorI6__halfNS0_10empty_typeEEEZZNS1_29radix_sort_onesweep_iterationIS3_Lb1EPKS5_PS5_PS6_SC_mNS0_19identity_decomposerENS1_16block_id_wrapperIjLb1EEEEE10hipError_tT1_PNSt15iterator_traitsISH_E10value_typeET2_T3_PNSI_ISN_E10value_typeET4_T5_PSS_ST_PNS1_23onesweep_lookback_stateEbbT6_jjT7_P12ihipStream_tbENKUlT_T0_SH_SM_E_clISB_SB_SC_SC_EEDaS10_S11_SH_SM_EUlS10_E_NS1_11comp_targetILNS1_3genE5ELNS1_11target_archE942ELNS1_3gpuE9ELNS1_3repE0EEENS1_47radix_sort_onesweep_sort_config_static_selectorELNS0_4arch9wavefront6targetE0EEEvSH_.num_vgpr, 0
	.set _ZN7rocprim17ROCPRIM_400000_NS6detail17trampoline_kernelINS0_14default_configENS1_35radix_sort_onesweep_config_selectorI6__halfNS0_10empty_typeEEEZZNS1_29radix_sort_onesweep_iterationIS3_Lb1EPKS5_PS5_PS6_SC_mNS0_19identity_decomposerENS1_16block_id_wrapperIjLb1EEEEE10hipError_tT1_PNSt15iterator_traitsISH_E10value_typeET2_T3_PNSI_ISN_E10value_typeET4_T5_PSS_ST_PNS1_23onesweep_lookback_stateEbbT6_jjT7_P12ihipStream_tbENKUlT_T0_SH_SM_E_clISB_SB_SC_SC_EEDaS10_S11_SH_SM_EUlS10_E_NS1_11comp_targetILNS1_3genE5ELNS1_11target_archE942ELNS1_3gpuE9ELNS1_3repE0EEENS1_47radix_sort_onesweep_sort_config_static_selectorELNS0_4arch9wavefront6targetE0EEEvSH_.num_agpr, 0
	.set _ZN7rocprim17ROCPRIM_400000_NS6detail17trampoline_kernelINS0_14default_configENS1_35radix_sort_onesweep_config_selectorI6__halfNS0_10empty_typeEEEZZNS1_29radix_sort_onesweep_iterationIS3_Lb1EPKS5_PS5_PS6_SC_mNS0_19identity_decomposerENS1_16block_id_wrapperIjLb1EEEEE10hipError_tT1_PNSt15iterator_traitsISH_E10value_typeET2_T3_PNSI_ISN_E10value_typeET4_T5_PSS_ST_PNS1_23onesweep_lookback_stateEbbT6_jjT7_P12ihipStream_tbENKUlT_T0_SH_SM_E_clISB_SB_SC_SC_EEDaS10_S11_SH_SM_EUlS10_E_NS1_11comp_targetILNS1_3genE5ELNS1_11target_archE942ELNS1_3gpuE9ELNS1_3repE0EEENS1_47radix_sort_onesweep_sort_config_static_selectorELNS0_4arch9wavefront6targetE0EEEvSH_.numbered_sgpr, 0
	.set _ZN7rocprim17ROCPRIM_400000_NS6detail17trampoline_kernelINS0_14default_configENS1_35radix_sort_onesweep_config_selectorI6__halfNS0_10empty_typeEEEZZNS1_29radix_sort_onesweep_iterationIS3_Lb1EPKS5_PS5_PS6_SC_mNS0_19identity_decomposerENS1_16block_id_wrapperIjLb1EEEEE10hipError_tT1_PNSt15iterator_traitsISH_E10value_typeET2_T3_PNSI_ISN_E10value_typeET4_T5_PSS_ST_PNS1_23onesweep_lookback_stateEbbT6_jjT7_P12ihipStream_tbENKUlT_T0_SH_SM_E_clISB_SB_SC_SC_EEDaS10_S11_SH_SM_EUlS10_E_NS1_11comp_targetILNS1_3genE5ELNS1_11target_archE942ELNS1_3gpuE9ELNS1_3repE0EEENS1_47radix_sort_onesweep_sort_config_static_selectorELNS0_4arch9wavefront6targetE0EEEvSH_.num_named_barrier, 0
	.set _ZN7rocprim17ROCPRIM_400000_NS6detail17trampoline_kernelINS0_14default_configENS1_35radix_sort_onesweep_config_selectorI6__halfNS0_10empty_typeEEEZZNS1_29radix_sort_onesweep_iterationIS3_Lb1EPKS5_PS5_PS6_SC_mNS0_19identity_decomposerENS1_16block_id_wrapperIjLb1EEEEE10hipError_tT1_PNSt15iterator_traitsISH_E10value_typeET2_T3_PNSI_ISN_E10value_typeET4_T5_PSS_ST_PNS1_23onesweep_lookback_stateEbbT6_jjT7_P12ihipStream_tbENKUlT_T0_SH_SM_E_clISB_SB_SC_SC_EEDaS10_S11_SH_SM_EUlS10_E_NS1_11comp_targetILNS1_3genE5ELNS1_11target_archE942ELNS1_3gpuE9ELNS1_3repE0EEENS1_47radix_sort_onesweep_sort_config_static_selectorELNS0_4arch9wavefront6targetE0EEEvSH_.private_seg_size, 0
	.set _ZN7rocprim17ROCPRIM_400000_NS6detail17trampoline_kernelINS0_14default_configENS1_35radix_sort_onesweep_config_selectorI6__halfNS0_10empty_typeEEEZZNS1_29radix_sort_onesweep_iterationIS3_Lb1EPKS5_PS5_PS6_SC_mNS0_19identity_decomposerENS1_16block_id_wrapperIjLb1EEEEE10hipError_tT1_PNSt15iterator_traitsISH_E10value_typeET2_T3_PNSI_ISN_E10value_typeET4_T5_PSS_ST_PNS1_23onesweep_lookback_stateEbbT6_jjT7_P12ihipStream_tbENKUlT_T0_SH_SM_E_clISB_SB_SC_SC_EEDaS10_S11_SH_SM_EUlS10_E_NS1_11comp_targetILNS1_3genE5ELNS1_11target_archE942ELNS1_3gpuE9ELNS1_3repE0EEENS1_47radix_sort_onesweep_sort_config_static_selectorELNS0_4arch9wavefront6targetE0EEEvSH_.uses_vcc, 0
	.set _ZN7rocprim17ROCPRIM_400000_NS6detail17trampoline_kernelINS0_14default_configENS1_35radix_sort_onesweep_config_selectorI6__halfNS0_10empty_typeEEEZZNS1_29radix_sort_onesweep_iterationIS3_Lb1EPKS5_PS5_PS6_SC_mNS0_19identity_decomposerENS1_16block_id_wrapperIjLb1EEEEE10hipError_tT1_PNSt15iterator_traitsISH_E10value_typeET2_T3_PNSI_ISN_E10value_typeET4_T5_PSS_ST_PNS1_23onesweep_lookback_stateEbbT6_jjT7_P12ihipStream_tbENKUlT_T0_SH_SM_E_clISB_SB_SC_SC_EEDaS10_S11_SH_SM_EUlS10_E_NS1_11comp_targetILNS1_3genE5ELNS1_11target_archE942ELNS1_3gpuE9ELNS1_3repE0EEENS1_47radix_sort_onesweep_sort_config_static_selectorELNS0_4arch9wavefront6targetE0EEEvSH_.uses_flat_scratch, 0
	.set _ZN7rocprim17ROCPRIM_400000_NS6detail17trampoline_kernelINS0_14default_configENS1_35radix_sort_onesweep_config_selectorI6__halfNS0_10empty_typeEEEZZNS1_29radix_sort_onesweep_iterationIS3_Lb1EPKS5_PS5_PS6_SC_mNS0_19identity_decomposerENS1_16block_id_wrapperIjLb1EEEEE10hipError_tT1_PNSt15iterator_traitsISH_E10value_typeET2_T3_PNSI_ISN_E10value_typeET4_T5_PSS_ST_PNS1_23onesweep_lookback_stateEbbT6_jjT7_P12ihipStream_tbENKUlT_T0_SH_SM_E_clISB_SB_SC_SC_EEDaS10_S11_SH_SM_EUlS10_E_NS1_11comp_targetILNS1_3genE5ELNS1_11target_archE942ELNS1_3gpuE9ELNS1_3repE0EEENS1_47radix_sort_onesweep_sort_config_static_selectorELNS0_4arch9wavefront6targetE0EEEvSH_.has_dyn_sized_stack, 0
	.set _ZN7rocprim17ROCPRIM_400000_NS6detail17trampoline_kernelINS0_14default_configENS1_35radix_sort_onesweep_config_selectorI6__halfNS0_10empty_typeEEEZZNS1_29radix_sort_onesweep_iterationIS3_Lb1EPKS5_PS5_PS6_SC_mNS0_19identity_decomposerENS1_16block_id_wrapperIjLb1EEEEE10hipError_tT1_PNSt15iterator_traitsISH_E10value_typeET2_T3_PNSI_ISN_E10value_typeET4_T5_PSS_ST_PNS1_23onesweep_lookback_stateEbbT6_jjT7_P12ihipStream_tbENKUlT_T0_SH_SM_E_clISB_SB_SC_SC_EEDaS10_S11_SH_SM_EUlS10_E_NS1_11comp_targetILNS1_3genE5ELNS1_11target_archE942ELNS1_3gpuE9ELNS1_3repE0EEENS1_47radix_sort_onesweep_sort_config_static_selectorELNS0_4arch9wavefront6targetE0EEEvSH_.has_recursion, 0
	.set _ZN7rocprim17ROCPRIM_400000_NS6detail17trampoline_kernelINS0_14default_configENS1_35radix_sort_onesweep_config_selectorI6__halfNS0_10empty_typeEEEZZNS1_29radix_sort_onesweep_iterationIS3_Lb1EPKS5_PS5_PS6_SC_mNS0_19identity_decomposerENS1_16block_id_wrapperIjLb1EEEEE10hipError_tT1_PNSt15iterator_traitsISH_E10value_typeET2_T3_PNSI_ISN_E10value_typeET4_T5_PSS_ST_PNS1_23onesweep_lookback_stateEbbT6_jjT7_P12ihipStream_tbENKUlT_T0_SH_SM_E_clISB_SB_SC_SC_EEDaS10_S11_SH_SM_EUlS10_E_NS1_11comp_targetILNS1_3genE5ELNS1_11target_archE942ELNS1_3gpuE9ELNS1_3repE0EEENS1_47radix_sort_onesweep_sort_config_static_selectorELNS0_4arch9wavefront6targetE0EEEvSH_.has_indirect_call, 0
	.section	.AMDGPU.csdata,"",@progbits
; Kernel info:
; codeLenInByte = 0
; TotalNumSgprs: 0
; NumVgprs: 0
; ScratchSize: 0
; MemoryBound: 0
; FloatMode: 240
; IeeeMode: 1
; LDSByteSize: 0 bytes/workgroup (compile time only)
; SGPRBlocks: 0
; VGPRBlocks: 0
; NumSGPRsForWavesPerEU: 1
; NumVGPRsForWavesPerEU: 1
; NamedBarCnt: 0
; Occupancy: 16
; WaveLimiterHint : 0
; COMPUTE_PGM_RSRC2:SCRATCH_EN: 0
; COMPUTE_PGM_RSRC2:USER_SGPR: 2
; COMPUTE_PGM_RSRC2:TRAP_HANDLER: 0
; COMPUTE_PGM_RSRC2:TGID_X_EN: 1
; COMPUTE_PGM_RSRC2:TGID_Y_EN: 0
; COMPUTE_PGM_RSRC2:TGID_Z_EN: 0
; COMPUTE_PGM_RSRC2:TIDIG_COMP_CNT: 0
	.section	.text._ZN7rocprim17ROCPRIM_400000_NS6detail17trampoline_kernelINS0_14default_configENS1_35radix_sort_onesweep_config_selectorI6__halfNS0_10empty_typeEEEZZNS1_29radix_sort_onesweep_iterationIS3_Lb1EPKS5_PS5_PS6_SC_mNS0_19identity_decomposerENS1_16block_id_wrapperIjLb1EEEEE10hipError_tT1_PNSt15iterator_traitsISH_E10value_typeET2_T3_PNSI_ISN_E10value_typeET4_T5_PSS_ST_PNS1_23onesweep_lookback_stateEbbT6_jjT7_P12ihipStream_tbENKUlT_T0_SH_SM_E_clISB_SB_SC_SC_EEDaS10_S11_SH_SM_EUlS10_E_NS1_11comp_targetILNS1_3genE2ELNS1_11target_archE906ELNS1_3gpuE6ELNS1_3repE0EEENS1_47radix_sort_onesweep_sort_config_static_selectorELNS0_4arch9wavefront6targetE0EEEvSH_,"axG",@progbits,_ZN7rocprim17ROCPRIM_400000_NS6detail17trampoline_kernelINS0_14default_configENS1_35radix_sort_onesweep_config_selectorI6__halfNS0_10empty_typeEEEZZNS1_29radix_sort_onesweep_iterationIS3_Lb1EPKS5_PS5_PS6_SC_mNS0_19identity_decomposerENS1_16block_id_wrapperIjLb1EEEEE10hipError_tT1_PNSt15iterator_traitsISH_E10value_typeET2_T3_PNSI_ISN_E10value_typeET4_T5_PSS_ST_PNS1_23onesweep_lookback_stateEbbT6_jjT7_P12ihipStream_tbENKUlT_T0_SH_SM_E_clISB_SB_SC_SC_EEDaS10_S11_SH_SM_EUlS10_E_NS1_11comp_targetILNS1_3genE2ELNS1_11target_archE906ELNS1_3gpuE6ELNS1_3repE0EEENS1_47radix_sort_onesweep_sort_config_static_selectorELNS0_4arch9wavefront6targetE0EEEvSH_,comdat
	.protected	_ZN7rocprim17ROCPRIM_400000_NS6detail17trampoline_kernelINS0_14default_configENS1_35radix_sort_onesweep_config_selectorI6__halfNS0_10empty_typeEEEZZNS1_29radix_sort_onesweep_iterationIS3_Lb1EPKS5_PS5_PS6_SC_mNS0_19identity_decomposerENS1_16block_id_wrapperIjLb1EEEEE10hipError_tT1_PNSt15iterator_traitsISH_E10value_typeET2_T3_PNSI_ISN_E10value_typeET4_T5_PSS_ST_PNS1_23onesweep_lookback_stateEbbT6_jjT7_P12ihipStream_tbENKUlT_T0_SH_SM_E_clISB_SB_SC_SC_EEDaS10_S11_SH_SM_EUlS10_E_NS1_11comp_targetILNS1_3genE2ELNS1_11target_archE906ELNS1_3gpuE6ELNS1_3repE0EEENS1_47radix_sort_onesweep_sort_config_static_selectorELNS0_4arch9wavefront6targetE0EEEvSH_ ; -- Begin function _ZN7rocprim17ROCPRIM_400000_NS6detail17trampoline_kernelINS0_14default_configENS1_35radix_sort_onesweep_config_selectorI6__halfNS0_10empty_typeEEEZZNS1_29radix_sort_onesweep_iterationIS3_Lb1EPKS5_PS5_PS6_SC_mNS0_19identity_decomposerENS1_16block_id_wrapperIjLb1EEEEE10hipError_tT1_PNSt15iterator_traitsISH_E10value_typeET2_T3_PNSI_ISN_E10value_typeET4_T5_PSS_ST_PNS1_23onesweep_lookback_stateEbbT6_jjT7_P12ihipStream_tbENKUlT_T0_SH_SM_E_clISB_SB_SC_SC_EEDaS10_S11_SH_SM_EUlS10_E_NS1_11comp_targetILNS1_3genE2ELNS1_11target_archE906ELNS1_3gpuE6ELNS1_3repE0EEENS1_47radix_sort_onesweep_sort_config_static_selectorELNS0_4arch9wavefront6targetE0EEEvSH_
	.globl	_ZN7rocprim17ROCPRIM_400000_NS6detail17trampoline_kernelINS0_14default_configENS1_35radix_sort_onesweep_config_selectorI6__halfNS0_10empty_typeEEEZZNS1_29radix_sort_onesweep_iterationIS3_Lb1EPKS5_PS5_PS6_SC_mNS0_19identity_decomposerENS1_16block_id_wrapperIjLb1EEEEE10hipError_tT1_PNSt15iterator_traitsISH_E10value_typeET2_T3_PNSI_ISN_E10value_typeET4_T5_PSS_ST_PNS1_23onesweep_lookback_stateEbbT6_jjT7_P12ihipStream_tbENKUlT_T0_SH_SM_E_clISB_SB_SC_SC_EEDaS10_S11_SH_SM_EUlS10_E_NS1_11comp_targetILNS1_3genE2ELNS1_11target_archE906ELNS1_3gpuE6ELNS1_3repE0EEENS1_47radix_sort_onesweep_sort_config_static_selectorELNS0_4arch9wavefront6targetE0EEEvSH_
	.p2align	8
	.type	_ZN7rocprim17ROCPRIM_400000_NS6detail17trampoline_kernelINS0_14default_configENS1_35radix_sort_onesweep_config_selectorI6__halfNS0_10empty_typeEEEZZNS1_29radix_sort_onesweep_iterationIS3_Lb1EPKS5_PS5_PS6_SC_mNS0_19identity_decomposerENS1_16block_id_wrapperIjLb1EEEEE10hipError_tT1_PNSt15iterator_traitsISH_E10value_typeET2_T3_PNSI_ISN_E10value_typeET4_T5_PSS_ST_PNS1_23onesweep_lookback_stateEbbT6_jjT7_P12ihipStream_tbENKUlT_T0_SH_SM_E_clISB_SB_SC_SC_EEDaS10_S11_SH_SM_EUlS10_E_NS1_11comp_targetILNS1_3genE2ELNS1_11target_archE906ELNS1_3gpuE6ELNS1_3repE0EEENS1_47radix_sort_onesweep_sort_config_static_selectorELNS0_4arch9wavefront6targetE0EEEvSH_,@function
_ZN7rocprim17ROCPRIM_400000_NS6detail17trampoline_kernelINS0_14default_configENS1_35radix_sort_onesweep_config_selectorI6__halfNS0_10empty_typeEEEZZNS1_29radix_sort_onesweep_iterationIS3_Lb1EPKS5_PS5_PS6_SC_mNS0_19identity_decomposerENS1_16block_id_wrapperIjLb1EEEEE10hipError_tT1_PNSt15iterator_traitsISH_E10value_typeET2_T3_PNSI_ISN_E10value_typeET4_T5_PSS_ST_PNS1_23onesweep_lookback_stateEbbT6_jjT7_P12ihipStream_tbENKUlT_T0_SH_SM_E_clISB_SB_SC_SC_EEDaS10_S11_SH_SM_EUlS10_E_NS1_11comp_targetILNS1_3genE2ELNS1_11target_archE906ELNS1_3gpuE6ELNS1_3repE0EEENS1_47radix_sort_onesweep_sort_config_static_selectorELNS0_4arch9wavefront6targetE0EEEvSH_: ; @_ZN7rocprim17ROCPRIM_400000_NS6detail17trampoline_kernelINS0_14default_configENS1_35radix_sort_onesweep_config_selectorI6__halfNS0_10empty_typeEEEZZNS1_29radix_sort_onesweep_iterationIS3_Lb1EPKS5_PS5_PS6_SC_mNS0_19identity_decomposerENS1_16block_id_wrapperIjLb1EEEEE10hipError_tT1_PNSt15iterator_traitsISH_E10value_typeET2_T3_PNSI_ISN_E10value_typeET4_T5_PSS_ST_PNS1_23onesweep_lookback_stateEbbT6_jjT7_P12ihipStream_tbENKUlT_T0_SH_SM_E_clISB_SB_SC_SC_EEDaS10_S11_SH_SM_EUlS10_E_NS1_11comp_targetILNS1_3genE2ELNS1_11target_archE906ELNS1_3gpuE6ELNS1_3repE0EEENS1_47radix_sort_onesweep_sort_config_static_selectorELNS0_4arch9wavefront6targetE0EEEvSH_
; %bb.0:
	.section	.rodata,"a",@progbits
	.p2align	6, 0x0
	.amdhsa_kernel _ZN7rocprim17ROCPRIM_400000_NS6detail17trampoline_kernelINS0_14default_configENS1_35radix_sort_onesweep_config_selectorI6__halfNS0_10empty_typeEEEZZNS1_29radix_sort_onesweep_iterationIS3_Lb1EPKS5_PS5_PS6_SC_mNS0_19identity_decomposerENS1_16block_id_wrapperIjLb1EEEEE10hipError_tT1_PNSt15iterator_traitsISH_E10value_typeET2_T3_PNSI_ISN_E10value_typeET4_T5_PSS_ST_PNS1_23onesweep_lookback_stateEbbT6_jjT7_P12ihipStream_tbENKUlT_T0_SH_SM_E_clISB_SB_SC_SC_EEDaS10_S11_SH_SM_EUlS10_E_NS1_11comp_targetILNS1_3genE2ELNS1_11target_archE906ELNS1_3gpuE6ELNS1_3repE0EEENS1_47radix_sort_onesweep_sort_config_static_selectorELNS0_4arch9wavefront6targetE0EEEvSH_
		.amdhsa_group_segment_fixed_size 0
		.amdhsa_private_segment_fixed_size 0
		.amdhsa_kernarg_size 88
		.amdhsa_user_sgpr_count 2
		.amdhsa_user_sgpr_dispatch_ptr 0
		.amdhsa_user_sgpr_queue_ptr 0
		.amdhsa_user_sgpr_kernarg_segment_ptr 1
		.amdhsa_user_sgpr_dispatch_id 0
		.amdhsa_user_sgpr_kernarg_preload_length 0
		.amdhsa_user_sgpr_kernarg_preload_offset 0
		.amdhsa_user_sgpr_private_segment_size 0
		.amdhsa_wavefront_size32 1
		.amdhsa_uses_dynamic_stack 0
		.amdhsa_enable_private_segment 0
		.amdhsa_system_sgpr_workgroup_id_x 1
		.amdhsa_system_sgpr_workgroup_id_y 0
		.amdhsa_system_sgpr_workgroup_id_z 0
		.amdhsa_system_sgpr_workgroup_info 0
		.amdhsa_system_vgpr_workitem_id 0
		.amdhsa_next_free_vgpr 1
		.amdhsa_next_free_sgpr 1
		.amdhsa_named_barrier_count 0
		.amdhsa_reserve_vcc 0
		.amdhsa_float_round_mode_32 0
		.amdhsa_float_round_mode_16_64 0
		.amdhsa_float_denorm_mode_32 3
		.amdhsa_float_denorm_mode_16_64 3
		.amdhsa_fp16_overflow 0
		.amdhsa_memory_ordered 1
		.amdhsa_forward_progress 1
		.amdhsa_inst_pref_size 0
		.amdhsa_round_robin_scheduling 0
		.amdhsa_exception_fp_ieee_invalid_op 0
		.amdhsa_exception_fp_denorm_src 0
		.amdhsa_exception_fp_ieee_div_zero 0
		.amdhsa_exception_fp_ieee_overflow 0
		.amdhsa_exception_fp_ieee_underflow 0
		.amdhsa_exception_fp_ieee_inexact 0
		.amdhsa_exception_int_div_zero 0
	.end_amdhsa_kernel
	.section	.text._ZN7rocprim17ROCPRIM_400000_NS6detail17trampoline_kernelINS0_14default_configENS1_35radix_sort_onesweep_config_selectorI6__halfNS0_10empty_typeEEEZZNS1_29radix_sort_onesweep_iterationIS3_Lb1EPKS5_PS5_PS6_SC_mNS0_19identity_decomposerENS1_16block_id_wrapperIjLb1EEEEE10hipError_tT1_PNSt15iterator_traitsISH_E10value_typeET2_T3_PNSI_ISN_E10value_typeET4_T5_PSS_ST_PNS1_23onesweep_lookback_stateEbbT6_jjT7_P12ihipStream_tbENKUlT_T0_SH_SM_E_clISB_SB_SC_SC_EEDaS10_S11_SH_SM_EUlS10_E_NS1_11comp_targetILNS1_3genE2ELNS1_11target_archE906ELNS1_3gpuE6ELNS1_3repE0EEENS1_47radix_sort_onesweep_sort_config_static_selectorELNS0_4arch9wavefront6targetE0EEEvSH_,"axG",@progbits,_ZN7rocprim17ROCPRIM_400000_NS6detail17trampoline_kernelINS0_14default_configENS1_35radix_sort_onesweep_config_selectorI6__halfNS0_10empty_typeEEEZZNS1_29radix_sort_onesweep_iterationIS3_Lb1EPKS5_PS5_PS6_SC_mNS0_19identity_decomposerENS1_16block_id_wrapperIjLb1EEEEE10hipError_tT1_PNSt15iterator_traitsISH_E10value_typeET2_T3_PNSI_ISN_E10value_typeET4_T5_PSS_ST_PNS1_23onesweep_lookback_stateEbbT6_jjT7_P12ihipStream_tbENKUlT_T0_SH_SM_E_clISB_SB_SC_SC_EEDaS10_S11_SH_SM_EUlS10_E_NS1_11comp_targetILNS1_3genE2ELNS1_11target_archE906ELNS1_3gpuE6ELNS1_3repE0EEENS1_47radix_sort_onesweep_sort_config_static_selectorELNS0_4arch9wavefront6targetE0EEEvSH_,comdat
.Lfunc_end2175:
	.size	_ZN7rocprim17ROCPRIM_400000_NS6detail17trampoline_kernelINS0_14default_configENS1_35radix_sort_onesweep_config_selectorI6__halfNS0_10empty_typeEEEZZNS1_29radix_sort_onesweep_iterationIS3_Lb1EPKS5_PS5_PS6_SC_mNS0_19identity_decomposerENS1_16block_id_wrapperIjLb1EEEEE10hipError_tT1_PNSt15iterator_traitsISH_E10value_typeET2_T3_PNSI_ISN_E10value_typeET4_T5_PSS_ST_PNS1_23onesweep_lookback_stateEbbT6_jjT7_P12ihipStream_tbENKUlT_T0_SH_SM_E_clISB_SB_SC_SC_EEDaS10_S11_SH_SM_EUlS10_E_NS1_11comp_targetILNS1_3genE2ELNS1_11target_archE906ELNS1_3gpuE6ELNS1_3repE0EEENS1_47radix_sort_onesweep_sort_config_static_selectorELNS0_4arch9wavefront6targetE0EEEvSH_, .Lfunc_end2175-_ZN7rocprim17ROCPRIM_400000_NS6detail17trampoline_kernelINS0_14default_configENS1_35radix_sort_onesweep_config_selectorI6__halfNS0_10empty_typeEEEZZNS1_29radix_sort_onesweep_iterationIS3_Lb1EPKS5_PS5_PS6_SC_mNS0_19identity_decomposerENS1_16block_id_wrapperIjLb1EEEEE10hipError_tT1_PNSt15iterator_traitsISH_E10value_typeET2_T3_PNSI_ISN_E10value_typeET4_T5_PSS_ST_PNS1_23onesweep_lookback_stateEbbT6_jjT7_P12ihipStream_tbENKUlT_T0_SH_SM_E_clISB_SB_SC_SC_EEDaS10_S11_SH_SM_EUlS10_E_NS1_11comp_targetILNS1_3genE2ELNS1_11target_archE906ELNS1_3gpuE6ELNS1_3repE0EEENS1_47radix_sort_onesweep_sort_config_static_selectorELNS0_4arch9wavefront6targetE0EEEvSH_
                                        ; -- End function
	.set _ZN7rocprim17ROCPRIM_400000_NS6detail17trampoline_kernelINS0_14default_configENS1_35radix_sort_onesweep_config_selectorI6__halfNS0_10empty_typeEEEZZNS1_29radix_sort_onesweep_iterationIS3_Lb1EPKS5_PS5_PS6_SC_mNS0_19identity_decomposerENS1_16block_id_wrapperIjLb1EEEEE10hipError_tT1_PNSt15iterator_traitsISH_E10value_typeET2_T3_PNSI_ISN_E10value_typeET4_T5_PSS_ST_PNS1_23onesweep_lookback_stateEbbT6_jjT7_P12ihipStream_tbENKUlT_T0_SH_SM_E_clISB_SB_SC_SC_EEDaS10_S11_SH_SM_EUlS10_E_NS1_11comp_targetILNS1_3genE2ELNS1_11target_archE906ELNS1_3gpuE6ELNS1_3repE0EEENS1_47radix_sort_onesweep_sort_config_static_selectorELNS0_4arch9wavefront6targetE0EEEvSH_.num_vgpr, 0
	.set _ZN7rocprim17ROCPRIM_400000_NS6detail17trampoline_kernelINS0_14default_configENS1_35radix_sort_onesweep_config_selectorI6__halfNS0_10empty_typeEEEZZNS1_29radix_sort_onesweep_iterationIS3_Lb1EPKS5_PS5_PS6_SC_mNS0_19identity_decomposerENS1_16block_id_wrapperIjLb1EEEEE10hipError_tT1_PNSt15iterator_traitsISH_E10value_typeET2_T3_PNSI_ISN_E10value_typeET4_T5_PSS_ST_PNS1_23onesweep_lookback_stateEbbT6_jjT7_P12ihipStream_tbENKUlT_T0_SH_SM_E_clISB_SB_SC_SC_EEDaS10_S11_SH_SM_EUlS10_E_NS1_11comp_targetILNS1_3genE2ELNS1_11target_archE906ELNS1_3gpuE6ELNS1_3repE0EEENS1_47radix_sort_onesweep_sort_config_static_selectorELNS0_4arch9wavefront6targetE0EEEvSH_.num_agpr, 0
	.set _ZN7rocprim17ROCPRIM_400000_NS6detail17trampoline_kernelINS0_14default_configENS1_35radix_sort_onesweep_config_selectorI6__halfNS0_10empty_typeEEEZZNS1_29radix_sort_onesweep_iterationIS3_Lb1EPKS5_PS5_PS6_SC_mNS0_19identity_decomposerENS1_16block_id_wrapperIjLb1EEEEE10hipError_tT1_PNSt15iterator_traitsISH_E10value_typeET2_T3_PNSI_ISN_E10value_typeET4_T5_PSS_ST_PNS1_23onesweep_lookback_stateEbbT6_jjT7_P12ihipStream_tbENKUlT_T0_SH_SM_E_clISB_SB_SC_SC_EEDaS10_S11_SH_SM_EUlS10_E_NS1_11comp_targetILNS1_3genE2ELNS1_11target_archE906ELNS1_3gpuE6ELNS1_3repE0EEENS1_47radix_sort_onesweep_sort_config_static_selectorELNS0_4arch9wavefront6targetE0EEEvSH_.numbered_sgpr, 0
	.set _ZN7rocprim17ROCPRIM_400000_NS6detail17trampoline_kernelINS0_14default_configENS1_35radix_sort_onesweep_config_selectorI6__halfNS0_10empty_typeEEEZZNS1_29radix_sort_onesweep_iterationIS3_Lb1EPKS5_PS5_PS6_SC_mNS0_19identity_decomposerENS1_16block_id_wrapperIjLb1EEEEE10hipError_tT1_PNSt15iterator_traitsISH_E10value_typeET2_T3_PNSI_ISN_E10value_typeET4_T5_PSS_ST_PNS1_23onesweep_lookback_stateEbbT6_jjT7_P12ihipStream_tbENKUlT_T0_SH_SM_E_clISB_SB_SC_SC_EEDaS10_S11_SH_SM_EUlS10_E_NS1_11comp_targetILNS1_3genE2ELNS1_11target_archE906ELNS1_3gpuE6ELNS1_3repE0EEENS1_47radix_sort_onesweep_sort_config_static_selectorELNS0_4arch9wavefront6targetE0EEEvSH_.num_named_barrier, 0
	.set _ZN7rocprim17ROCPRIM_400000_NS6detail17trampoline_kernelINS0_14default_configENS1_35radix_sort_onesweep_config_selectorI6__halfNS0_10empty_typeEEEZZNS1_29radix_sort_onesweep_iterationIS3_Lb1EPKS5_PS5_PS6_SC_mNS0_19identity_decomposerENS1_16block_id_wrapperIjLb1EEEEE10hipError_tT1_PNSt15iterator_traitsISH_E10value_typeET2_T3_PNSI_ISN_E10value_typeET4_T5_PSS_ST_PNS1_23onesweep_lookback_stateEbbT6_jjT7_P12ihipStream_tbENKUlT_T0_SH_SM_E_clISB_SB_SC_SC_EEDaS10_S11_SH_SM_EUlS10_E_NS1_11comp_targetILNS1_3genE2ELNS1_11target_archE906ELNS1_3gpuE6ELNS1_3repE0EEENS1_47radix_sort_onesweep_sort_config_static_selectorELNS0_4arch9wavefront6targetE0EEEvSH_.private_seg_size, 0
	.set _ZN7rocprim17ROCPRIM_400000_NS6detail17trampoline_kernelINS0_14default_configENS1_35radix_sort_onesweep_config_selectorI6__halfNS0_10empty_typeEEEZZNS1_29radix_sort_onesweep_iterationIS3_Lb1EPKS5_PS5_PS6_SC_mNS0_19identity_decomposerENS1_16block_id_wrapperIjLb1EEEEE10hipError_tT1_PNSt15iterator_traitsISH_E10value_typeET2_T3_PNSI_ISN_E10value_typeET4_T5_PSS_ST_PNS1_23onesweep_lookback_stateEbbT6_jjT7_P12ihipStream_tbENKUlT_T0_SH_SM_E_clISB_SB_SC_SC_EEDaS10_S11_SH_SM_EUlS10_E_NS1_11comp_targetILNS1_3genE2ELNS1_11target_archE906ELNS1_3gpuE6ELNS1_3repE0EEENS1_47radix_sort_onesweep_sort_config_static_selectorELNS0_4arch9wavefront6targetE0EEEvSH_.uses_vcc, 0
	.set _ZN7rocprim17ROCPRIM_400000_NS6detail17trampoline_kernelINS0_14default_configENS1_35radix_sort_onesweep_config_selectorI6__halfNS0_10empty_typeEEEZZNS1_29radix_sort_onesweep_iterationIS3_Lb1EPKS5_PS5_PS6_SC_mNS0_19identity_decomposerENS1_16block_id_wrapperIjLb1EEEEE10hipError_tT1_PNSt15iterator_traitsISH_E10value_typeET2_T3_PNSI_ISN_E10value_typeET4_T5_PSS_ST_PNS1_23onesweep_lookback_stateEbbT6_jjT7_P12ihipStream_tbENKUlT_T0_SH_SM_E_clISB_SB_SC_SC_EEDaS10_S11_SH_SM_EUlS10_E_NS1_11comp_targetILNS1_3genE2ELNS1_11target_archE906ELNS1_3gpuE6ELNS1_3repE0EEENS1_47radix_sort_onesweep_sort_config_static_selectorELNS0_4arch9wavefront6targetE0EEEvSH_.uses_flat_scratch, 0
	.set _ZN7rocprim17ROCPRIM_400000_NS6detail17trampoline_kernelINS0_14default_configENS1_35radix_sort_onesweep_config_selectorI6__halfNS0_10empty_typeEEEZZNS1_29radix_sort_onesweep_iterationIS3_Lb1EPKS5_PS5_PS6_SC_mNS0_19identity_decomposerENS1_16block_id_wrapperIjLb1EEEEE10hipError_tT1_PNSt15iterator_traitsISH_E10value_typeET2_T3_PNSI_ISN_E10value_typeET4_T5_PSS_ST_PNS1_23onesweep_lookback_stateEbbT6_jjT7_P12ihipStream_tbENKUlT_T0_SH_SM_E_clISB_SB_SC_SC_EEDaS10_S11_SH_SM_EUlS10_E_NS1_11comp_targetILNS1_3genE2ELNS1_11target_archE906ELNS1_3gpuE6ELNS1_3repE0EEENS1_47radix_sort_onesweep_sort_config_static_selectorELNS0_4arch9wavefront6targetE0EEEvSH_.has_dyn_sized_stack, 0
	.set _ZN7rocprim17ROCPRIM_400000_NS6detail17trampoline_kernelINS0_14default_configENS1_35radix_sort_onesweep_config_selectorI6__halfNS0_10empty_typeEEEZZNS1_29radix_sort_onesweep_iterationIS3_Lb1EPKS5_PS5_PS6_SC_mNS0_19identity_decomposerENS1_16block_id_wrapperIjLb1EEEEE10hipError_tT1_PNSt15iterator_traitsISH_E10value_typeET2_T3_PNSI_ISN_E10value_typeET4_T5_PSS_ST_PNS1_23onesweep_lookback_stateEbbT6_jjT7_P12ihipStream_tbENKUlT_T0_SH_SM_E_clISB_SB_SC_SC_EEDaS10_S11_SH_SM_EUlS10_E_NS1_11comp_targetILNS1_3genE2ELNS1_11target_archE906ELNS1_3gpuE6ELNS1_3repE0EEENS1_47radix_sort_onesweep_sort_config_static_selectorELNS0_4arch9wavefront6targetE0EEEvSH_.has_recursion, 0
	.set _ZN7rocprim17ROCPRIM_400000_NS6detail17trampoline_kernelINS0_14default_configENS1_35radix_sort_onesweep_config_selectorI6__halfNS0_10empty_typeEEEZZNS1_29radix_sort_onesweep_iterationIS3_Lb1EPKS5_PS5_PS6_SC_mNS0_19identity_decomposerENS1_16block_id_wrapperIjLb1EEEEE10hipError_tT1_PNSt15iterator_traitsISH_E10value_typeET2_T3_PNSI_ISN_E10value_typeET4_T5_PSS_ST_PNS1_23onesweep_lookback_stateEbbT6_jjT7_P12ihipStream_tbENKUlT_T0_SH_SM_E_clISB_SB_SC_SC_EEDaS10_S11_SH_SM_EUlS10_E_NS1_11comp_targetILNS1_3genE2ELNS1_11target_archE906ELNS1_3gpuE6ELNS1_3repE0EEENS1_47radix_sort_onesweep_sort_config_static_selectorELNS0_4arch9wavefront6targetE0EEEvSH_.has_indirect_call, 0
	.section	.AMDGPU.csdata,"",@progbits
; Kernel info:
; codeLenInByte = 0
; TotalNumSgprs: 0
; NumVgprs: 0
; ScratchSize: 0
; MemoryBound: 0
; FloatMode: 240
; IeeeMode: 1
; LDSByteSize: 0 bytes/workgroup (compile time only)
; SGPRBlocks: 0
; VGPRBlocks: 0
; NumSGPRsForWavesPerEU: 1
; NumVGPRsForWavesPerEU: 1
; NamedBarCnt: 0
; Occupancy: 16
; WaveLimiterHint : 0
; COMPUTE_PGM_RSRC2:SCRATCH_EN: 0
; COMPUTE_PGM_RSRC2:USER_SGPR: 2
; COMPUTE_PGM_RSRC2:TRAP_HANDLER: 0
; COMPUTE_PGM_RSRC2:TGID_X_EN: 1
; COMPUTE_PGM_RSRC2:TGID_Y_EN: 0
; COMPUTE_PGM_RSRC2:TGID_Z_EN: 0
; COMPUTE_PGM_RSRC2:TIDIG_COMP_CNT: 0
	.section	.text._ZN7rocprim17ROCPRIM_400000_NS6detail17trampoline_kernelINS0_14default_configENS1_35radix_sort_onesweep_config_selectorI6__halfNS0_10empty_typeEEEZZNS1_29radix_sort_onesweep_iterationIS3_Lb1EPKS5_PS5_PS6_SC_mNS0_19identity_decomposerENS1_16block_id_wrapperIjLb1EEEEE10hipError_tT1_PNSt15iterator_traitsISH_E10value_typeET2_T3_PNSI_ISN_E10value_typeET4_T5_PSS_ST_PNS1_23onesweep_lookback_stateEbbT6_jjT7_P12ihipStream_tbENKUlT_T0_SH_SM_E_clISB_SB_SC_SC_EEDaS10_S11_SH_SM_EUlS10_E_NS1_11comp_targetILNS1_3genE4ELNS1_11target_archE910ELNS1_3gpuE8ELNS1_3repE0EEENS1_47radix_sort_onesweep_sort_config_static_selectorELNS0_4arch9wavefront6targetE0EEEvSH_,"axG",@progbits,_ZN7rocprim17ROCPRIM_400000_NS6detail17trampoline_kernelINS0_14default_configENS1_35radix_sort_onesweep_config_selectorI6__halfNS0_10empty_typeEEEZZNS1_29radix_sort_onesweep_iterationIS3_Lb1EPKS5_PS5_PS6_SC_mNS0_19identity_decomposerENS1_16block_id_wrapperIjLb1EEEEE10hipError_tT1_PNSt15iterator_traitsISH_E10value_typeET2_T3_PNSI_ISN_E10value_typeET4_T5_PSS_ST_PNS1_23onesweep_lookback_stateEbbT6_jjT7_P12ihipStream_tbENKUlT_T0_SH_SM_E_clISB_SB_SC_SC_EEDaS10_S11_SH_SM_EUlS10_E_NS1_11comp_targetILNS1_3genE4ELNS1_11target_archE910ELNS1_3gpuE8ELNS1_3repE0EEENS1_47radix_sort_onesweep_sort_config_static_selectorELNS0_4arch9wavefront6targetE0EEEvSH_,comdat
	.protected	_ZN7rocprim17ROCPRIM_400000_NS6detail17trampoline_kernelINS0_14default_configENS1_35radix_sort_onesweep_config_selectorI6__halfNS0_10empty_typeEEEZZNS1_29radix_sort_onesweep_iterationIS3_Lb1EPKS5_PS5_PS6_SC_mNS0_19identity_decomposerENS1_16block_id_wrapperIjLb1EEEEE10hipError_tT1_PNSt15iterator_traitsISH_E10value_typeET2_T3_PNSI_ISN_E10value_typeET4_T5_PSS_ST_PNS1_23onesweep_lookback_stateEbbT6_jjT7_P12ihipStream_tbENKUlT_T0_SH_SM_E_clISB_SB_SC_SC_EEDaS10_S11_SH_SM_EUlS10_E_NS1_11comp_targetILNS1_3genE4ELNS1_11target_archE910ELNS1_3gpuE8ELNS1_3repE0EEENS1_47radix_sort_onesweep_sort_config_static_selectorELNS0_4arch9wavefront6targetE0EEEvSH_ ; -- Begin function _ZN7rocprim17ROCPRIM_400000_NS6detail17trampoline_kernelINS0_14default_configENS1_35radix_sort_onesweep_config_selectorI6__halfNS0_10empty_typeEEEZZNS1_29radix_sort_onesweep_iterationIS3_Lb1EPKS5_PS5_PS6_SC_mNS0_19identity_decomposerENS1_16block_id_wrapperIjLb1EEEEE10hipError_tT1_PNSt15iterator_traitsISH_E10value_typeET2_T3_PNSI_ISN_E10value_typeET4_T5_PSS_ST_PNS1_23onesweep_lookback_stateEbbT6_jjT7_P12ihipStream_tbENKUlT_T0_SH_SM_E_clISB_SB_SC_SC_EEDaS10_S11_SH_SM_EUlS10_E_NS1_11comp_targetILNS1_3genE4ELNS1_11target_archE910ELNS1_3gpuE8ELNS1_3repE0EEENS1_47radix_sort_onesweep_sort_config_static_selectorELNS0_4arch9wavefront6targetE0EEEvSH_
	.globl	_ZN7rocprim17ROCPRIM_400000_NS6detail17trampoline_kernelINS0_14default_configENS1_35radix_sort_onesweep_config_selectorI6__halfNS0_10empty_typeEEEZZNS1_29radix_sort_onesweep_iterationIS3_Lb1EPKS5_PS5_PS6_SC_mNS0_19identity_decomposerENS1_16block_id_wrapperIjLb1EEEEE10hipError_tT1_PNSt15iterator_traitsISH_E10value_typeET2_T3_PNSI_ISN_E10value_typeET4_T5_PSS_ST_PNS1_23onesweep_lookback_stateEbbT6_jjT7_P12ihipStream_tbENKUlT_T0_SH_SM_E_clISB_SB_SC_SC_EEDaS10_S11_SH_SM_EUlS10_E_NS1_11comp_targetILNS1_3genE4ELNS1_11target_archE910ELNS1_3gpuE8ELNS1_3repE0EEENS1_47radix_sort_onesweep_sort_config_static_selectorELNS0_4arch9wavefront6targetE0EEEvSH_
	.p2align	8
	.type	_ZN7rocprim17ROCPRIM_400000_NS6detail17trampoline_kernelINS0_14default_configENS1_35radix_sort_onesweep_config_selectorI6__halfNS0_10empty_typeEEEZZNS1_29radix_sort_onesweep_iterationIS3_Lb1EPKS5_PS5_PS6_SC_mNS0_19identity_decomposerENS1_16block_id_wrapperIjLb1EEEEE10hipError_tT1_PNSt15iterator_traitsISH_E10value_typeET2_T3_PNSI_ISN_E10value_typeET4_T5_PSS_ST_PNS1_23onesweep_lookback_stateEbbT6_jjT7_P12ihipStream_tbENKUlT_T0_SH_SM_E_clISB_SB_SC_SC_EEDaS10_S11_SH_SM_EUlS10_E_NS1_11comp_targetILNS1_3genE4ELNS1_11target_archE910ELNS1_3gpuE8ELNS1_3repE0EEENS1_47radix_sort_onesweep_sort_config_static_selectorELNS0_4arch9wavefront6targetE0EEEvSH_,@function
_ZN7rocprim17ROCPRIM_400000_NS6detail17trampoline_kernelINS0_14default_configENS1_35radix_sort_onesweep_config_selectorI6__halfNS0_10empty_typeEEEZZNS1_29radix_sort_onesweep_iterationIS3_Lb1EPKS5_PS5_PS6_SC_mNS0_19identity_decomposerENS1_16block_id_wrapperIjLb1EEEEE10hipError_tT1_PNSt15iterator_traitsISH_E10value_typeET2_T3_PNSI_ISN_E10value_typeET4_T5_PSS_ST_PNS1_23onesweep_lookback_stateEbbT6_jjT7_P12ihipStream_tbENKUlT_T0_SH_SM_E_clISB_SB_SC_SC_EEDaS10_S11_SH_SM_EUlS10_E_NS1_11comp_targetILNS1_3genE4ELNS1_11target_archE910ELNS1_3gpuE8ELNS1_3repE0EEENS1_47radix_sort_onesweep_sort_config_static_selectorELNS0_4arch9wavefront6targetE0EEEvSH_: ; @_ZN7rocprim17ROCPRIM_400000_NS6detail17trampoline_kernelINS0_14default_configENS1_35radix_sort_onesweep_config_selectorI6__halfNS0_10empty_typeEEEZZNS1_29radix_sort_onesweep_iterationIS3_Lb1EPKS5_PS5_PS6_SC_mNS0_19identity_decomposerENS1_16block_id_wrapperIjLb1EEEEE10hipError_tT1_PNSt15iterator_traitsISH_E10value_typeET2_T3_PNSI_ISN_E10value_typeET4_T5_PSS_ST_PNS1_23onesweep_lookback_stateEbbT6_jjT7_P12ihipStream_tbENKUlT_T0_SH_SM_E_clISB_SB_SC_SC_EEDaS10_S11_SH_SM_EUlS10_E_NS1_11comp_targetILNS1_3genE4ELNS1_11target_archE910ELNS1_3gpuE8ELNS1_3repE0EEENS1_47radix_sort_onesweep_sort_config_static_selectorELNS0_4arch9wavefront6targetE0EEEvSH_
; %bb.0:
	.section	.rodata,"a",@progbits
	.p2align	6, 0x0
	.amdhsa_kernel _ZN7rocprim17ROCPRIM_400000_NS6detail17trampoline_kernelINS0_14default_configENS1_35radix_sort_onesweep_config_selectorI6__halfNS0_10empty_typeEEEZZNS1_29radix_sort_onesweep_iterationIS3_Lb1EPKS5_PS5_PS6_SC_mNS0_19identity_decomposerENS1_16block_id_wrapperIjLb1EEEEE10hipError_tT1_PNSt15iterator_traitsISH_E10value_typeET2_T3_PNSI_ISN_E10value_typeET4_T5_PSS_ST_PNS1_23onesweep_lookback_stateEbbT6_jjT7_P12ihipStream_tbENKUlT_T0_SH_SM_E_clISB_SB_SC_SC_EEDaS10_S11_SH_SM_EUlS10_E_NS1_11comp_targetILNS1_3genE4ELNS1_11target_archE910ELNS1_3gpuE8ELNS1_3repE0EEENS1_47radix_sort_onesweep_sort_config_static_selectorELNS0_4arch9wavefront6targetE0EEEvSH_
		.amdhsa_group_segment_fixed_size 0
		.amdhsa_private_segment_fixed_size 0
		.amdhsa_kernarg_size 88
		.amdhsa_user_sgpr_count 2
		.amdhsa_user_sgpr_dispatch_ptr 0
		.amdhsa_user_sgpr_queue_ptr 0
		.amdhsa_user_sgpr_kernarg_segment_ptr 1
		.amdhsa_user_sgpr_dispatch_id 0
		.amdhsa_user_sgpr_kernarg_preload_length 0
		.amdhsa_user_sgpr_kernarg_preload_offset 0
		.amdhsa_user_sgpr_private_segment_size 0
		.amdhsa_wavefront_size32 1
		.amdhsa_uses_dynamic_stack 0
		.amdhsa_enable_private_segment 0
		.amdhsa_system_sgpr_workgroup_id_x 1
		.amdhsa_system_sgpr_workgroup_id_y 0
		.amdhsa_system_sgpr_workgroup_id_z 0
		.amdhsa_system_sgpr_workgroup_info 0
		.amdhsa_system_vgpr_workitem_id 0
		.amdhsa_next_free_vgpr 1
		.amdhsa_next_free_sgpr 1
		.amdhsa_named_barrier_count 0
		.amdhsa_reserve_vcc 0
		.amdhsa_float_round_mode_32 0
		.amdhsa_float_round_mode_16_64 0
		.amdhsa_float_denorm_mode_32 3
		.amdhsa_float_denorm_mode_16_64 3
		.amdhsa_fp16_overflow 0
		.amdhsa_memory_ordered 1
		.amdhsa_forward_progress 1
		.amdhsa_inst_pref_size 0
		.amdhsa_round_robin_scheduling 0
		.amdhsa_exception_fp_ieee_invalid_op 0
		.amdhsa_exception_fp_denorm_src 0
		.amdhsa_exception_fp_ieee_div_zero 0
		.amdhsa_exception_fp_ieee_overflow 0
		.amdhsa_exception_fp_ieee_underflow 0
		.amdhsa_exception_fp_ieee_inexact 0
		.amdhsa_exception_int_div_zero 0
	.end_amdhsa_kernel
	.section	.text._ZN7rocprim17ROCPRIM_400000_NS6detail17trampoline_kernelINS0_14default_configENS1_35radix_sort_onesweep_config_selectorI6__halfNS0_10empty_typeEEEZZNS1_29radix_sort_onesweep_iterationIS3_Lb1EPKS5_PS5_PS6_SC_mNS0_19identity_decomposerENS1_16block_id_wrapperIjLb1EEEEE10hipError_tT1_PNSt15iterator_traitsISH_E10value_typeET2_T3_PNSI_ISN_E10value_typeET4_T5_PSS_ST_PNS1_23onesweep_lookback_stateEbbT6_jjT7_P12ihipStream_tbENKUlT_T0_SH_SM_E_clISB_SB_SC_SC_EEDaS10_S11_SH_SM_EUlS10_E_NS1_11comp_targetILNS1_3genE4ELNS1_11target_archE910ELNS1_3gpuE8ELNS1_3repE0EEENS1_47radix_sort_onesweep_sort_config_static_selectorELNS0_4arch9wavefront6targetE0EEEvSH_,"axG",@progbits,_ZN7rocprim17ROCPRIM_400000_NS6detail17trampoline_kernelINS0_14default_configENS1_35radix_sort_onesweep_config_selectorI6__halfNS0_10empty_typeEEEZZNS1_29radix_sort_onesweep_iterationIS3_Lb1EPKS5_PS5_PS6_SC_mNS0_19identity_decomposerENS1_16block_id_wrapperIjLb1EEEEE10hipError_tT1_PNSt15iterator_traitsISH_E10value_typeET2_T3_PNSI_ISN_E10value_typeET4_T5_PSS_ST_PNS1_23onesweep_lookback_stateEbbT6_jjT7_P12ihipStream_tbENKUlT_T0_SH_SM_E_clISB_SB_SC_SC_EEDaS10_S11_SH_SM_EUlS10_E_NS1_11comp_targetILNS1_3genE4ELNS1_11target_archE910ELNS1_3gpuE8ELNS1_3repE0EEENS1_47radix_sort_onesweep_sort_config_static_selectorELNS0_4arch9wavefront6targetE0EEEvSH_,comdat
.Lfunc_end2176:
	.size	_ZN7rocprim17ROCPRIM_400000_NS6detail17trampoline_kernelINS0_14default_configENS1_35radix_sort_onesweep_config_selectorI6__halfNS0_10empty_typeEEEZZNS1_29radix_sort_onesweep_iterationIS3_Lb1EPKS5_PS5_PS6_SC_mNS0_19identity_decomposerENS1_16block_id_wrapperIjLb1EEEEE10hipError_tT1_PNSt15iterator_traitsISH_E10value_typeET2_T3_PNSI_ISN_E10value_typeET4_T5_PSS_ST_PNS1_23onesweep_lookback_stateEbbT6_jjT7_P12ihipStream_tbENKUlT_T0_SH_SM_E_clISB_SB_SC_SC_EEDaS10_S11_SH_SM_EUlS10_E_NS1_11comp_targetILNS1_3genE4ELNS1_11target_archE910ELNS1_3gpuE8ELNS1_3repE0EEENS1_47radix_sort_onesweep_sort_config_static_selectorELNS0_4arch9wavefront6targetE0EEEvSH_, .Lfunc_end2176-_ZN7rocprim17ROCPRIM_400000_NS6detail17trampoline_kernelINS0_14default_configENS1_35radix_sort_onesweep_config_selectorI6__halfNS0_10empty_typeEEEZZNS1_29radix_sort_onesweep_iterationIS3_Lb1EPKS5_PS5_PS6_SC_mNS0_19identity_decomposerENS1_16block_id_wrapperIjLb1EEEEE10hipError_tT1_PNSt15iterator_traitsISH_E10value_typeET2_T3_PNSI_ISN_E10value_typeET4_T5_PSS_ST_PNS1_23onesweep_lookback_stateEbbT6_jjT7_P12ihipStream_tbENKUlT_T0_SH_SM_E_clISB_SB_SC_SC_EEDaS10_S11_SH_SM_EUlS10_E_NS1_11comp_targetILNS1_3genE4ELNS1_11target_archE910ELNS1_3gpuE8ELNS1_3repE0EEENS1_47radix_sort_onesweep_sort_config_static_selectorELNS0_4arch9wavefront6targetE0EEEvSH_
                                        ; -- End function
	.set _ZN7rocprim17ROCPRIM_400000_NS6detail17trampoline_kernelINS0_14default_configENS1_35radix_sort_onesweep_config_selectorI6__halfNS0_10empty_typeEEEZZNS1_29radix_sort_onesweep_iterationIS3_Lb1EPKS5_PS5_PS6_SC_mNS0_19identity_decomposerENS1_16block_id_wrapperIjLb1EEEEE10hipError_tT1_PNSt15iterator_traitsISH_E10value_typeET2_T3_PNSI_ISN_E10value_typeET4_T5_PSS_ST_PNS1_23onesweep_lookback_stateEbbT6_jjT7_P12ihipStream_tbENKUlT_T0_SH_SM_E_clISB_SB_SC_SC_EEDaS10_S11_SH_SM_EUlS10_E_NS1_11comp_targetILNS1_3genE4ELNS1_11target_archE910ELNS1_3gpuE8ELNS1_3repE0EEENS1_47radix_sort_onesweep_sort_config_static_selectorELNS0_4arch9wavefront6targetE0EEEvSH_.num_vgpr, 0
	.set _ZN7rocprim17ROCPRIM_400000_NS6detail17trampoline_kernelINS0_14default_configENS1_35radix_sort_onesweep_config_selectorI6__halfNS0_10empty_typeEEEZZNS1_29radix_sort_onesweep_iterationIS3_Lb1EPKS5_PS5_PS6_SC_mNS0_19identity_decomposerENS1_16block_id_wrapperIjLb1EEEEE10hipError_tT1_PNSt15iterator_traitsISH_E10value_typeET2_T3_PNSI_ISN_E10value_typeET4_T5_PSS_ST_PNS1_23onesweep_lookback_stateEbbT6_jjT7_P12ihipStream_tbENKUlT_T0_SH_SM_E_clISB_SB_SC_SC_EEDaS10_S11_SH_SM_EUlS10_E_NS1_11comp_targetILNS1_3genE4ELNS1_11target_archE910ELNS1_3gpuE8ELNS1_3repE0EEENS1_47radix_sort_onesweep_sort_config_static_selectorELNS0_4arch9wavefront6targetE0EEEvSH_.num_agpr, 0
	.set _ZN7rocprim17ROCPRIM_400000_NS6detail17trampoline_kernelINS0_14default_configENS1_35radix_sort_onesweep_config_selectorI6__halfNS0_10empty_typeEEEZZNS1_29radix_sort_onesweep_iterationIS3_Lb1EPKS5_PS5_PS6_SC_mNS0_19identity_decomposerENS1_16block_id_wrapperIjLb1EEEEE10hipError_tT1_PNSt15iterator_traitsISH_E10value_typeET2_T3_PNSI_ISN_E10value_typeET4_T5_PSS_ST_PNS1_23onesweep_lookback_stateEbbT6_jjT7_P12ihipStream_tbENKUlT_T0_SH_SM_E_clISB_SB_SC_SC_EEDaS10_S11_SH_SM_EUlS10_E_NS1_11comp_targetILNS1_3genE4ELNS1_11target_archE910ELNS1_3gpuE8ELNS1_3repE0EEENS1_47radix_sort_onesweep_sort_config_static_selectorELNS0_4arch9wavefront6targetE0EEEvSH_.numbered_sgpr, 0
	.set _ZN7rocprim17ROCPRIM_400000_NS6detail17trampoline_kernelINS0_14default_configENS1_35radix_sort_onesweep_config_selectorI6__halfNS0_10empty_typeEEEZZNS1_29radix_sort_onesweep_iterationIS3_Lb1EPKS5_PS5_PS6_SC_mNS0_19identity_decomposerENS1_16block_id_wrapperIjLb1EEEEE10hipError_tT1_PNSt15iterator_traitsISH_E10value_typeET2_T3_PNSI_ISN_E10value_typeET4_T5_PSS_ST_PNS1_23onesweep_lookback_stateEbbT6_jjT7_P12ihipStream_tbENKUlT_T0_SH_SM_E_clISB_SB_SC_SC_EEDaS10_S11_SH_SM_EUlS10_E_NS1_11comp_targetILNS1_3genE4ELNS1_11target_archE910ELNS1_3gpuE8ELNS1_3repE0EEENS1_47radix_sort_onesweep_sort_config_static_selectorELNS0_4arch9wavefront6targetE0EEEvSH_.num_named_barrier, 0
	.set _ZN7rocprim17ROCPRIM_400000_NS6detail17trampoline_kernelINS0_14default_configENS1_35radix_sort_onesweep_config_selectorI6__halfNS0_10empty_typeEEEZZNS1_29radix_sort_onesweep_iterationIS3_Lb1EPKS5_PS5_PS6_SC_mNS0_19identity_decomposerENS1_16block_id_wrapperIjLb1EEEEE10hipError_tT1_PNSt15iterator_traitsISH_E10value_typeET2_T3_PNSI_ISN_E10value_typeET4_T5_PSS_ST_PNS1_23onesweep_lookback_stateEbbT6_jjT7_P12ihipStream_tbENKUlT_T0_SH_SM_E_clISB_SB_SC_SC_EEDaS10_S11_SH_SM_EUlS10_E_NS1_11comp_targetILNS1_3genE4ELNS1_11target_archE910ELNS1_3gpuE8ELNS1_3repE0EEENS1_47radix_sort_onesweep_sort_config_static_selectorELNS0_4arch9wavefront6targetE0EEEvSH_.private_seg_size, 0
	.set _ZN7rocprim17ROCPRIM_400000_NS6detail17trampoline_kernelINS0_14default_configENS1_35radix_sort_onesweep_config_selectorI6__halfNS0_10empty_typeEEEZZNS1_29radix_sort_onesweep_iterationIS3_Lb1EPKS5_PS5_PS6_SC_mNS0_19identity_decomposerENS1_16block_id_wrapperIjLb1EEEEE10hipError_tT1_PNSt15iterator_traitsISH_E10value_typeET2_T3_PNSI_ISN_E10value_typeET4_T5_PSS_ST_PNS1_23onesweep_lookback_stateEbbT6_jjT7_P12ihipStream_tbENKUlT_T0_SH_SM_E_clISB_SB_SC_SC_EEDaS10_S11_SH_SM_EUlS10_E_NS1_11comp_targetILNS1_3genE4ELNS1_11target_archE910ELNS1_3gpuE8ELNS1_3repE0EEENS1_47radix_sort_onesweep_sort_config_static_selectorELNS0_4arch9wavefront6targetE0EEEvSH_.uses_vcc, 0
	.set _ZN7rocprim17ROCPRIM_400000_NS6detail17trampoline_kernelINS0_14default_configENS1_35radix_sort_onesweep_config_selectorI6__halfNS0_10empty_typeEEEZZNS1_29radix_sort_onesweep_iterationIS3_Lb1EPKS5_PS5_PS6_SC_mNS0_19identity_decomposerENS1_16block_id_wrapperIjLb1EEEEE10hipError_tT1_PNSt15iterator_traitsISH_E10value_typeET2_T3_PNSI_ISN_E10value_typeET4_T5_PSS_ST_PNS1_23onesweep_lookback_stateEbbT6_jjT7_P12ihipStream_tbENKUlT_T0_SH_SM_E_clISB_SB_SC_SC_EEDaS10_S11_SH_SM_EUlS10_E_NS1_11comp_targetILNS1_3genE4ELNS1_11target_archE910ELNS1_3gpuE8ELNS1_3repE0EEENS1_47radix_sort_onesweep_sort_config_static_selectorELNS0_4arch9wavefront6targetE0EEEvSH_.uses_flat_scratch, 0
	.set _ZN7rocprim17ROCPRIM_400000_NS6detail17trampoline_kernelINS0_14default_configENS1_35radix_sort_onesweep_config_selectorI6__halfNS0_10empty_typeEEEZZNS1_29radix_sort_onesweep_iterationIS3_Lb1EPKS5_PS5_PS6_SC_mNS0_19identity_decomposerENS1_16block_id_wrapperIjLb1EEEEE10hipError_tT1_PNSt15iterator_traitsISH_E10value_typeET2_T3_PNSI_ISN_E10value_typeET4_T5_PSS_ST_PNS1_23onesweep_lookback_stateEbbT6_jjT7_P12ihipStream_tbENKUlT_T0_SH_SM_E_clISB_SB_SC_SC_EEDaS10_S11_SH_SM_EUlS10_E_NS1_11comp_targetILNS1_3genE4ELNS1_11target_archE910ELNS1_3gpuE8ELNS1_3repE0EEENS1_47radix_sort_onesweep_sort_config_static_selectorELNS0_4arch9wavefront6targetE0EEEvSH_.has_dyn_sized_stack, 0
	.set _ZN7rocprim17ROCPRIM_400000_NS6detail17trampoline_kernelINS0_14default_configENS1_35radix_sort_onesweep_config_selectorI6__halfNS0_10empty_typeEEEZZNS1_29radix_sort_onesweep_iterationIS3_Lb1EPKS5_PS5_PS6_SC_mNS0_19identity_decomposerENS1_16block_id_wrapperIjLb1EEEEE10hipError_tT1_PNSt15iterator_traitsISH_E10value_typeET2_T3_PNSI_ISN_E10value_typeET4_T5_PSS_ST_PNS1_23onesweep_lookback_stateEbbT6_jjT7_P12ihipStream_tbENKUlT_T0_SH_SM_E_clISB_SB_SC_SC_EEDaS10_S11_SH_SM_EUlS10_E_NS1_11comp_targetILNS1_3genE4ELNS1_11target_archE910ELNS1_3gpuE8ELNS1_3repE0EEENS1_47radix_sort_onesweep_sort_config_static_selectorELNS0_4arch9wavefront6targetE0EEEvSH_.has_recursion, 0
	.set _ZN7rocprim17ROCPRIM_400000_NS6detail17trampoline_kernelINS0_14default_configENS1_35radix_sort_onesweep_config_selectorI6__halfNS0_10empty_typeEEEZZNS1_29radix_sort_onesweep_iterationIS3_Lb1EPKS5_PS5_PS6_SC_mNS0_19identity_decomposerENS1_16block_id_wrapperIjLb1EEEEE10hipError_tT1_PNSt15iterator_traitsISH_E10value_typeET2_T3_PNSI_ISN_E10value_typeET4_T5_PSS_ST_PNS1_23onesweep_lookback_stateEbbT6_jjT7_P12ihipStream_tbENKUlT_T0_SH_SM_E_clISB_SB_SC_SC_EEDaS10_S11_SH_SM_EUlS10_E_NS1_11comp_targetILNS1_3genE4ELNS1_11target_archE910ELNS1_3gpuE8ELNS1_3repE0EEENS1_47radix_sort_onesweep_sort_config_static_selectorELNS0_4arch9wavefront6targetE0EEEvSH_.has_indirect_call, 0
	.section	.AMDGPU.csdata,"",@progbits
; Kernel info:
; codeLenInByte = 0
; TotalNumSgprs: 0
; NumVgprs: 0
; ScratchSize: 0
; MemoryBound: 0
; FloatMode: 240
; IeeeMode: 1
; LDSByteSize: 0 bytes/workgroup (compile time only)
; SGPRBlocks: 0
; VGPRBlocks: 0
; NumSGPRsForWavesPerEU: 1
; NumVGPRsForWavesPerEU: 1
; NamedBarCnt: 0
; Occupancy: 16
; WaveLimiterHint : 0
; COMPUTE_PGM_RSRC2:SCRATCH_EN: 0
; COMPUTE_PGM_RSRC2:USER_SGPR: 2
; COMPUTE_PGM_RSRC2:TRAP_HANDLER: 0
; COMPUTE_PGM_RSRC2:TGID_X_EN: 1
; COMPUTE_PGM_RSRC2:TGID_Y_EN: 0
; COMPUTE_PGM_RSRC2:TGID_Z_EN: 0
; COMPUTE_PGM_RSRC2:TIDIG_COMP_CNT: 0
	.section	.text._ZN7rocprim17ROCPRIM_400000_NS6detail17trampoline_kernelINS0_14default_configENS1_35radix_sort_onesweep_config_selectorI6__halfNS0_10empty_typeEEEZZNS1_29radix_sort_onesweep_iterationIS3_Lb1EPKS5_PS5_PS6_SC_mNS0_19identity_decomposerENS1_16block_id_wrapperIjLb1EEEEE10hipError_tT1_PNSt15iterator_traitsISH_E10value_typeET2_T3_PNSI_ISN_E10value_typeET4_T5_PSS_ST_PNS1_23onesweep_lookback_stateEbbT6_jjT7_P12ihipStream_tbENKUlT_T0_SH_SM_E_clISB_SB_SC_SC_EEDaS10_S11_SH_SM_EUlS10_E_NS1_11comp_targetILNS1_3genE3ELNS1_11target_archE908ELNS1_3gpuE7ELNS1_3repE0EEENS1_47radix_sort_onesweep_sort_config_static_selectorELNS0_4arch9wavefront6targetE0EEEvSH_,"axG",@progbits,_ZN7rocprim17ROCPRIM_400000_NS6detail17trampoline_kernelINS0_14default_configENS1_35radix_sort_onesweep_config_selectorI6__halfNS0_10empty_typeEEEZZNS1_29radix_sort_onesweep_iterationIS3_Lb1EPKS5_PS5_PS6_SC_mNS0_19identity_decomposerENS1_16block_id_wrapperIjLb1EEEEE10hipError_tT1_PNSt15iterator_traitsISH_E10value_typeET2_T3_PNSI_ISN_E10value_typeET4_T5_PSS_ST_PNS1_23onesweep_lookback_stateEbbT6_jjT7_P12ihipStream_tbENKUlT_T0_SH_SM_E_clISB_SB_SC_SC_EEDaS10_S11_SH_SM_EUlS10_E_NS1_11comp_targetILNS1_3genE3ELNS1_11target_archE908ELNS1_3gpuE7ELNS1_3repE0EEENS1_47radix_sort_onesweep_sort_config_static_selectorELNS0_4arch9wavefront6targetE0EEEvSH_,comdat
	.protected	_ZN7rocprim17ROCPRIM_400000_NS6detail17trampoline_kernelINS0_14default_configENS1_35radix_sort_onesweep_config_selectorI6__halfNS0_10empty_typeEEEZZNS1_29radix_sort_onesweep_iterationIS3_Lb1EPKS5_PS5_PS6_SC_mNS0_19identity_decomposerENS1_16block_id_wrapperIjLb1EEEEE10hipError_tT1_PNSt15iterator_traitsISH_E10value_typeET2_T3_PNSI_ISN_E10value_typeET4_T5_PSS_ST_PNS1_23onesweep_lookback_stateEbbT6_jjT7_P12ihipStream_tbENKUlT_T0_SH_SM_E_clISB_SB_SC_SC_EEDaS10_S11_SH_SM_EUlS10_E_NS1_11comp_targetILNS1_3genE3ELNS1_11target_archE908ELNS1_3gpuE7ELNS1_3repE0EEENS1_47radix_sort_onesweep_sort_config_static_selectorELNS0_4arch9wavefront6targetE0EEEvSH_ ; -- Begin function _ZN7rocprim17ROCPRIM_400000_NS6detail17trampoline_kernelINS0_14default_configENS1_35radix_sort_onesweep_config_selectorI6__halfNS0_10empty_typeEEEZZNS1_29radix_sort_onesweep_iterationIS3_Lb1EPKS5_PS5_PS6_SC_mNS0_19identity_decomposerENS1_16block_id_wrapperIjLb1EEEEE10hipError_tT1_PNSt15iterator_traitsISH_E10value_typeET2_T3_PNSI_ISN_E10value_typeET4_T5_PSS_ST_PNS1_23onesweep_lookback_stateEbbT6_jjT7_P12ihipStream_tbENKUlT_T0_SH_SM_E_clISB_SB_SC_SC_EEDaS10_S11_SH_SM_EUlS10_E_NS1_11comp_targetILNS1_3genE3ELNS1_11target_archE908ELNS1_3gpuE7ELNS1_3repE0EEENS1_47radix_sort_onesweep_sort_config_static_selectorELNS0_4arch9wavefront6targetE0EEEvSH_
	.globl	_ZN7rocprim17ROCPRIM_400000_NS6detail17trampoline_kernelINS0_14default_configENS1_35radix_sort_onesweep_config_selectorI6__halfNS0_10empty_typeEEEZZNS1_29radix_sort_onesweep_iterationIS3_Lb1EPKS5_PS5_PS6_SC_mNS0_19identity_decomposerENS1_16block_id_wrapperIjLb1EEEEE10hipError_tT1_PNSt15iterator_traitsISH_E10value_typeET2_T3_PNSI_ISN_E10value_typeET4_T5_PSS_ST_PNS1_23onesweep_lookback_stateEbbT6_jjT7_P12ihipStream_tbENKUlT_T0_SH_SM_E_clISB_SB_SC_SC_EEDaS10_S11_SH_SM_EUlS10_E_NS1_11comp_targetILNS1_3genE3ELNS1_11target_archE908ELNS1_3gpuE7ELNS1_3repE0EEENS1_47radix_sort_onesweep_sort_config_static_selectorELNS0_4arch9wavefront6targetE0EEEvSH_
	.p2align	8
	.type	_ZN7rocprim17ROCPRIM_400000_NS6detail17trampoline_kernelINS0_14default_configENS1_35radix_sort_onesweep_config_selectorI6__halfNS0_10empty_typeEEEZZNS1_29radix_sort_onesweep_iterationIS3_Lb1EPKS5_PS5_PS6_SC_mNS0_19identity_decomposerENS1_16block_id_wrapperIjLb1EEEEE10hipError_tT1_PNSt15iterator_traitsISH_E10value_typeET2_T3_PNSI_ISN_E10value_typeET4_T5_PSS_ST_PNS1_23onesweep_lookback_stateEbbT6_jjT7_P12ihipStream_tbENKUlT_T0_SH_SM_E_clISB_SB_SC_SC_EEDaS10_S11_SH_SM_EUlS10_E_NS1_11comp_targetILNS1_3genE3ELNS1_11target_archE908ELNS1_3gpuE7ELNS1_3repE0EEENS1_47radix_sort_onesweep_sort_config_static_selectorELNS0_4arch9wavefront6targetE0EEEvSH_,@function
_ZN7rocprim17ROCPRIM_400000_NS6detail17trampoline_kernelINS0_14default_configENS1_35radix_sort_onesweep_config_selectorI6__halfNS0_10empty_typeEEEZZNS1_29radix_sort_onesweep_iterationIS3_Lb1EPKS5_PS5_PS6_SC_mNS0_19identity_decomposerENS1_16block_id_wrapperIjLb1EEEEE10hipError_tT1_PNSt15iterator_traitsISH_E10value_typeET2_T3_PNSI_ISN_E10value_typeET4_T5_PSS_ST_PNS1_23onesweep_lookback_stateEbbT6_jjT7_P12ihipStream_tbENKUlT_T0_SH_SM_E_clISB_SB_SC_SC_EEDaS10_S11_SH_SM_EUlS10_E_NS1_11comp_targetILNS1_3genE3ELNS1_11target_archE908ELNS1_3gpuE7ELNS1_3repE0EEENS1_47radix_sort_onesweep_sort_config_static_selectorELNS0_4arch9wavefront6targetE0EEEvSH_: ; @_ZN7rocprim17ROCPRIM_400000_NS6detail17trampoline_kernelINS0_14default_configENS1_35radix_sort_onesweep_config_selectorI6__halfNS0_10empty_typeEEEZZNS1_29radix_sort_onesweep_iterationIS3_Lb1EPKS5_PS5_PS6_SC_mNS0_19identity_decomposerENS1_16block_id_wrapperIjLb1EEEEE10hipError_tT1_PNSt15iterator_traitsISH_E10value_typeET2_T3_PNSI_ISN_E10value_typeET4_T5_PSS_ST_PNS1_23onesweep_lookback_stateEbbT6_jjT7_P12ihipStream_tbENKUlT_T0_SH_SM_E_clISB_SB_SC_SC_EEDaS10_S11_SH_SM_EUlS10_E_NS1_11comp_targetILNS1_3genE3ELNS1_11target_archE908ELNS1_3gpuE7ELNS1_3repE0EEENS1_47radix_sort_onesweep_sort_config_static_selectorELNS0_4arch9wavefront6targetE0EEEvSH_
; %bb.0:
	.section	.rodata,"a",@progbits
	.p2align	6, 0x0
	.amdhsa_kernel _ZN7rocprim17ROCPRIM_400000_NS6detail17trampoline_kernelINS0_14default_configENS1_35radix_sort_onesweep_config_selectorI6__halfNS0_10empty_typeEEEZZNS1_29radix_sort_onesweep_iterationIS3_Lb1EPKS5_PS5_PS6_SC_mNS0_19identity_decomposerENS1_16block_id_wrapperIjLb1EEEEE10hipError_tT1_PNSt15iterator_traitsISH_E10value_typeET2_T3_PNSI_ISN_E10value_typeET4_T5_PSS_ST_PNS1_23onesweep_lookback_stateEbbT6_jjT7_P12ihipStream_tbENKUlT_T0_SH_SM_E_clISB_SB_SC_SC_EEDaS10_S11_SH_SM_EUlS10_E_NS1_11comp_targetILNS1_3genE3ELNS1_11target_archE908ELNS1_3gpuE7ELNS1_3repE0EEENS1_47radix_sort_onesweep_sort_config_static_selectorELNS0_4arch9wavefront6targetE0EEEvSH_
		.amdhsa_group_segment_fixed_size 0
		.amdhsa_private_segment_fixed_size 0
		.amdhsa_kernarg_size 88
		.amdhsa_user_sgpr_count 2
		.amdhsa_user_sgpr_dispatch_ptr 0
		.amdhsa_user_sgpr_queue_ptr 0
		.amdhsa_user_sgpr_kernarg_segment_ptr 1
		.amdhsa_user_sgpr_dispatch_id 0
		.amdhsa_user_sgpr_kernarg_preload_length 0
		.amdhsa_user_sgpr_kernarg_preload_offset 0
		.amdhsa_user_sgpr_private_segment_size 0
		.amdhsa_wavefront_size32 1
		.amdhsa_uses_dynamic_stack 0
		.amdhsa_enable_private_segment 0
		.amdhsa_system_sgpr_workgroup_id_x 1
		.amdhsa_system_sgpr_workgroup_id_y 0
		.amdhsa_system_sgpr_workgroup_id_z 0
		.amdhsa_system_sgpr_workgroup_info 0
		.amdhsa_system_vgpr_workitem_id 0
		.amdhsa_next_free_vgpr 1
		.amdhsa_next_free_sgpr 1
		.amdhsa_named_barrier_count 0
		.amdhsa_reserve_vcc 0
		.amdhsa_float_round_mode_32 0
		.amdhsa_float_round_mode_16_64 0
		.amdhsa_float_denorm_mode_32 3
		.amdhsa_float_denorm_mode_16_64 3
		.amdhsa_fp16_overflow 0
		.amdhsa_memory_ordered 1
		.amdhsa_forward_progress 1
		.amdhsa_inst_pref_size 0
		.amdhsa_round_robin_scheduling 0
		.amdhsa_exception_fp_ieee_invalid_op 0
		.amdhsa_exception_fp_denorm_src 0
		.amdhsa_exception_fp_ieee_div_zero 0
		.amdhsa_exception_fp_ieee_overflow 0
		.amdhsa_exception_fp_ieee_underflow 0
		.amdhsa_exception_fp_ieee_inexact 0
		.amdhsa_exception_int_div_zero 0
	.end_amdhsa_kernel
	.section	.text._ZN7rocprim17ROCPRIM_400000_NS6detail17trampoline_kernelINS0_14default_configENS1_35radix_sort_onesweep_config_selectorI6__halfNS0_10empty_typeEEEZZNS1_29radix_sort_onesweep_iterationIS3_Lb1EPKS5_PS5_PS6_SC_mNS0_19identity_decomposerENS1_16block_id_wrapperIjLb1EEEEE10hipError_tT1_PNSt15iterator_traitsISH_E10value_typeET2_T3_PNSI_ISN_E10value_typeET4_T5_PSS_ST_PNS1_23onesweep_lookback_stateEbbT6_jjT7_P12ihipStream_tbENKUlT_T0_SH_SM_E_clISB_SB_SC_SC_EEDaS10_S11_SH_SM_EUlS10_E_NS1_11comp_targetILNS1_3genE3ELNS1_11target_archE908ELNS1_3gpuE7ELNS1_3repE0EEENS1_47radix_sort_onesweep_sort_config_static_selectorELNS0_4arch9wavefront6targetE0EEEvSH_,"axG",@progbits,_ZN7rocprim17ROCPRIM_400000_NS6detail17trampoline_kernelINS0_14default_configENS1_35radix_sort_onesweep_config_selectorI6__halfNS0_10empty_typeEEEZZNS1_29radix_sort_onesweep_iterationIS3_Lb1EPKS5_PS5_PS6_SC_mNS0_19identity_decomposerENS1_16block_id_wrapperIjLb1EEEEE10hipError_tT1_PNSt15iterator_traitsISH_E10value_typeET2_T3_PNSI_ISN_E10value_typeET4_T5_PSS_ST_PNS1_23onesweep_lookback_stateEbbT6_jjT7_P12ihipStream_tbENKUlT_T0_SH_SM_E_clISB_SB_SC_SC_EEDaS10_S11_SH_SM_EUlS10_E_NS1_11comp_targetILNS1_3genE3ELNS1_11target_archE908ELNS1_3gpuE7ELNS1_3repE0EEENS1_47radix_sort_onesweep_sort_config_static_selectorELNS0_4arch9wavefront6targetE0EEEvSH_,comdat
.Lfunc_end2177:
	.size	_ZN7rocprim17ROCPRIM_400000_NS6detail17trampoline_kernelINS0_14default_configENS1_35radix_sort_onesweep_config_selectorI6__halfNS0_10empty_typeEEEZZNS1_29radix_sort_onesweep_iterationIS3_Lb1EPKS5_PS5_PS6_SC_mNS0_19identity_decomposerENS1_16block_id_wrapperIjLb1EEEEE10hipError_tT1_PNSt15iterator_traitsISH_E10value_typeET2_T3_PNSI_ISN_E10value_typeET4_T5_PSS_ST_PNS1_23onesweep_lookback_stateEbbT6_jjT7_P12ihipStream_tbENKUlT_T0_SH_SM_E_clISB_SB_SC_SC_EEDaS10_S11_SH_SM_EUlS10_E_NS1_11comp_targetILNS1_3genE3ELNS1_11target_archE908ELNS1_3gpuE7ELNS1_3repE0EEENS1_47radix_sort_onesweep_sort_config_static_selectorELNS0_4arch9wavefront6targetE0EEEvSH_, .Lfunc_end2177-_ZN7rocprim17ROCPRIM_400000_NS6detail17trampoline_kernelINS0_14default_configENS1_35radix_sort_onesweep_config_selectorI6__halfNS0_10empty_typeEEEZZNS1_29radix_sort_onesweep_iterationIS3_Lb1EPKS5_PS5_PS6_SC_mNS0_19identity_decomposerENS1_16block_id_wrapperIjLb1EEEEE10hipError_tT1_PNSt15iterator_traitsISH_E10value_typeET2_T3_PNSI_ISN_E10value_typeET4_T5_PSS_ST_PNS1_23onesweep_lookback_stateEbbT6_jjT7_P12ihipStream_tbENKUlT_T0_SH_SM_E_clISB_SB_SC_SC_EEDaS10_S11_SH_SM_EUlS10_E_NS1_11comp_targetILNS1_3genE3ELNS1_11target_archE908ELNS1_3gpuE7ELNS1_3repE0EEENS1_47radix_sort_onesweep_sort_config_static_selectorELNS0_4arch9wavefront6targetE0EEEvSH_
                                        ; -- End function
	.set _ZN7rocprim17ROCPRIM_400000_NS6detail17trampoline_kernelINS0_14default_configENS1_35radix_sort_onesweep_config_selectorI6__halfNS0_10empty_typeEEEZZNS1_29radix_sort_onesweep_iterationIS3_Lb1EPKS5_PS5_PS6_SC_mNS0_19identity_decomposerENS1_16block_id_wrapperIjLb1EEEEE10hipError_tT1_PNSt15iterator_traitsISH_E10value_typeET2_T3_PNSI_ISN_E10value_typeET4_T5_PSS_ST_PNS1_23onesweep_lookback_stateEbbT6_jjT7_P12ihipStream_tbENKUlT_T0_SH_SM_E_clISB_SB_SC_SC_EEDaS10_S11_SH_SM_EUlS10_E_NS1_11comp_targetILNS1_3genE3ELNS1_11target_archE908ELNS1_3gpuE7ELNS1_3repE0EEENS1_47radix_sort_onesweep_sort_config_static_selectorELNS0_4arch9wavefront6targetE0EEEvSH_.num_vgpr, 0
	.set _ZN7rocprim17ROCPRIM_400000_NS6detail17trampoline_kernelINS0_14default_configENS1_35radix_sort_onesweep_config_selectorI6__halfNS0_10empty_typeEEEZZNS1_29radix_sort_onesweep_iterationIS3_Lb1EPKS5_PS5_PS6_SC_mNS0_19identity_decomposerENS1_16block_id_wrapperIjLb1EEEEE10hipError_tT1_PNSt15iterator_traitsISH_E10value_typeET2_T3_PNSI_ISN_E10value_typeET4_T5_PSS_ST_PNS1_23onesweep_lookback_stateEbbT6_jjT7_P12ihipStream_tbENKUlT_T0_SH_SM_E_clISB_SB_SC_SC_EEDaS10_S11_SH_SM_EUlS10_E_NS1_11comp_targetILNS1_3genE3ELNS1_11target_archE908ELNS1_3gpuE7ELNS1_3repE0EEENS1_47radix_sort_onesweep_sort_config_static_selectorELNS0_4arch9wavefront6targetE0EEEvSH_.num_agpr, 0
	.set _ZN7rocprim17ROCPRIM_400000_NS6detail17trampoline_kernelINS0_14default_configENS1_35radix_sort_onesweep_config_selectorI6__halfNS0_10empty_typeEEEZZNS1_29radix_sort_onesweep_iterationIS3_Lb1EPKS5_PS5_PS6_SC_mNS0_19identity_decomposerENS1_16block_id_wrapperIjLb1EEEEE10hipError_tT1_PNSt15iterator_traitsISH_E10value_typeET2_T3_PNSI_ISN_E10value_typeET4_T5_PSS_ST_PNS1_23onesweep_lookback_stateEbbT6_jjT7_P12ihipStream_tbENKUlT_T0_SH_SM_E_clISB_SB_SC_SC_EEDaS10_S11_SH_SM_EUlS10_E_NS1_11comp_targetILNS1_3genE3ELNS1_11target_archE908ELNS1_3gpuE7ELNS1_3repE0EEENS1_47radix_sort_onesweep_sort_config_static_selectorELNS0_4arch9wavefront6targetE0EEEvSH_.numbered_sgpr, 0
	.set _ZN7rocprim17ROCPRIM_400000_NS6detail17trampoline_kernelINS0_14default_configENS1_35radix_sort_onesweep_config_selectorI6__halfNS0_10empty_typeEEEZZNS1_29radix_sort_onesweep_iterationIS3_Lb1EPKS5_PS5_PS6_SC_mNS0_19identity_decomposerENS1_16block_id_wrapperIjLb1EEEEE10hipError_tT1_PNSt15iterator_traitsISH_E10value_typeET2_T3_PNSI_ISN_E10value_typeET4_T5_PSS_ST_PNS1_23onesweep_lookback_stateEbbT6_jjT7_P12ihipStream_tbENKUlT_T0_SH_SM_E_clISB_SB_SC_SC_EEDaS10_S11_SH_SM_EUlS10_E_NS1_11comp_targetILNS1_3genE3ELNS1_11target_archE908ELNS1_3gpuE7ELNS1_3repE0EEENS1_47radix_sort_onesweep_sort_config_static_selectorELNS0_4arch9wavefront6targetE0EEEvSH_.num_named_barrier, 0
	.set _ZN7rocprim17ROCPRIM_400000_NS6detail17trampoline_kernelINS0_14default_configENS1_35radix_sort_onesweep_config_selectorI6__halfNS0_10empty_typeEEEZZNS1_29radix_sort_onesweep_iterationIS3_Lb1EPKS5_PS5_PS6_SC_mNS0_19identity_decomposerENS1_16block_id_wrapperIjLb1EEEEE10hipError_tT1_PNSt15iterator_traitsISH_E10value_typeET2_T3_PNSI_ISN_E10value_typeET4_T5_PSS_ST_PNS1_23onesweep_lookback_stateEbbT6_jjT7_P12ihipStream_tbENKUlT_T0_SH_SM_E_clISB_SB_SC_SC_EEDaS10_S11_SH_SM_EUlS10_E_NS1_11comp_targetILNS1_3genE3ELNS1_11target_archE908ELNS1_3gpuE7ELNS1_3repE0EEENS1_47radix_sort_onesweep_sort_config_static_selectorELNS0_4arch9wavefront6targetE0EEEvSH_.private_seg_size, 0
	.set _ZN7rocprim17ROCPRIM_400000_NS6detail17trampoline_kernelINS0_14default_configENS1_35radix_sort_onesweep_config_selectorI6__halfNS0_10empty_typeEEEZZNS1_29radix_sort_onesweep_iterationIS3_Lb1EPKS5_PS5_PS6_SC_mNS0_19identity_decomposerENS1_16block_id_wrapperIjLb1EEEEE10hipError_tT1_PNSt15iterator_traitsISH_E10value_typeET2_T3_PNSI_ISN_E10value_typeET4_T5_PSS_ST_PNS1_23onesweep_lookback_stateEbbT6_jjT7_P12ihipStream_tbENKUlT_T0_SH_SM_E_clISB_SB_SC_SC_EEDaS10_S11_SH_SM_EUlS10_E_NS1_11comp_targetILNS1_3genE3ELNS1_11target_archE908ELNS1_3gpuE7ELNS1_3repE0EEENS1_47radix_sort_onesweep_sort_config_static_selectorELNS0_4arch9wavefront6targetE0EEEvSH_.uses_vcc, 0
	.set _ZN7rocprim17ROCPRIM_400000_NS6detail17trampoline_kernelINS0_14default_configENS1_35radix_sort_onesweep_config_selectorI6__halfNS0_10empty_typeEEEZZNS1_29radix_sort_onesweep_iterationIS3_Lb1EPKS5_PS5_PS6_SC_mNS0_19identity_decomposerENS1_16block_id_wrapperIjLb1EEEEE10hipError_tT1_PNSt15iterator_traitsISH_E10value_typeET2_T3_PNSI_ISN_E10value_typeET4_T5_PSS_ST_PNS1_23onesweep_lookback_stateEbbT6_jjT7_P12ihipStream_tbENKUlT_T0_SH_SM_E_clISB_SB_SC_SC_EEDaS10_S11_SH_SM_EUlS10_E_NS1_11comp_targetILNS1_3genE3ELNS1_11target_archE908ELNS1_3gpuE7ELNS1_3repE0EEENS1_47radix_sort_onesweep_sort_config_static_selectorELNS0_4arch9wavefront6targetE0EEEvSH_.uses_flat_scratch, 0
	.set _ZN7rocprim17ROCPRIM_400000_NS6detail17trampoline_kernelINS0_14default_configENS1_35radix_sort_onesweep_config_selectorI6__halfNS0_10empty_typeEEEZZNS1_29radix_sort_onesweep_iterationIS3_Lb1EPKS5_PS5_PS6_SC_mNS0_19identity_decomposerENS1_16block_id_wrapperIjLb1EEEEE10hipError_tT1_PNSt15iterator_traitsISH_E10value_typeET2_T3_PNSI_ISN_E10value_typeET4_T5_PSS_ST_PNS1_23onesweep_lookback_stateEbbT6_jjT7_P12ihipStream_tbENKUlT_T0_SH_SM_E_clISB_SB_SC_SC_EEDaS10_S11_SH_SM_EUlS10_E_NS1_11comp_targetILNS1_3genE3ELNS1_11target_archE908ELNS1_3gpuE7ELNS1_3repE0EEENS1_47radix_sort_onesweep_sort_config_static_selectorELNS0_4arch9wavefront6targetE0EEEvSH_.has_dyn_sized_stack, 0
	.set _ZN7rocprim17ROCPRIM_400000_NS6detail17trampoline_kernelINS0_14default_configENS1_35radix_sort_onesweep_config_selectorI6__halfNS0_10empty_typeEEEZZNS1_29radix_sort_onesweep_iterationIS3_Lb1EPKS5_PS5_PS6_SC_mNS0_19identity_decomposerENS1_16block_id_wrapperIjLb1EEEEE10hipError_tT1_PNSt15iterator_traitsISH_E10value_typeET2_T3_PNSI_ISN_E10value_typeET4_T5_PSS_ST_PNS1_23onesweep_lookback_stateEbbT6_jjT7_P12ihipStream_tbENKUlT_T0_SH_SM_E_clISB_SB_SC_SC_EEDaS10_S11_SH_SM_EUlS10_E_NS1_11comp_targetILNS1_3genE3ELNS1_11target_archE908ELNS1_3gpuE7ELNS1_3repE0EEENS1_47radix_sort_onesweep_sort_config_static_selectorELNS0_4arch9wavefront6targetE0EEEvSH_.has_recursion, 0
	.set _ZN7rocprim17ROCPRIM_400000_NS6detail17trampoline_kernelINS0_14default_configENS1_35radix_sort_onesweep_config_selectorI6__halfNS0_10empty_typeEEEZZNS1_29radix_sort_onesweep_iterationIS3_Lb1EPKS5_PS5_PS6_SC_mNS0_19identity_decomposerENS1_16block_id_wrapperIjLb1EEEEE10hipError_tT1_PNSt15iterator_traitsISH_E10value_typeET2_T3_PNSI_ISN_E10value_typeET4_T5_PSS_ST_PNS1_23onesweep_lookback_stateEbbT6_jjT7_P12ihipStream_tbENKUlT_T0_SH_SM_E_clISB_SB_SC_SC_EEDaS10_S11_SH_SM_EUlS10_E_NS1_11comp_targetILNS1_3genE3ELNS1_11target_archE908ELNS1_3gpuE7ELNS1_3repE0EEENS1_47radix_sort_onesweep_sort_config_static_selectorELNS0_4arch9wavefront6targetE0EEEvSH_.has_indirect_call, 0
	.section	.AMDGPU.csdata,"",@progbits
; Kernel info:
; codeLenInByte = 0
; TotalNumSgprs: 0
; NumVgprs: 0
; ScratchSize: 0
; MemoryBound: 0
; FloatMode: 240
; IeeeMode: 1
; LDSByteSize: 0 bytes/workgroup (compile time only)
; SGPRBlocks: 0
; VGPRBlocks: 0
; NumSGPRsForWavesPerEU: 1
; NumVGPRsForWavesPerEU: 1
; NamedBarCnt: 0
; Occupancy: 16
; WaveLimiterHint : 0
; COMPUTE_PGM_RSRC2:SCRATCH_EN: 0
; COMPUTE_PGM_RSRC2:USER_SGPR: 2
; COMPUTE_PGM_RSRC2:TRAP_HANDLER: 0
; COMPUTE_PGM_RSRC2:TGID_X_EN: 1
; COMPUTE_PGM_RSRC2:TGID_Y_EN: 0
; COMPUTE_PGM_RSRC2:TGID_Z_EN: 0
; COMPUTE_PGM_RSRC2:TIDIG_COMP_CNT: 0
	.section	.text._ZN7rocprim17ROCPRIM_400000_NS6detail17trampoline_kernelINS0_14default_configENS1_35radix_sort_onesweep_config_selectorI6__halfNS0_10empty_typeEEEZZNS1_29radix_sort_onesweep_iterationIS3_Lb1EPKS5_PS5_PS6_SC_mNS0_19identity_decomposerENS1_16block_id_wrapperIjLb1EEEEE10hipError_tT1_PNSt15iterator_traitsISH_E10value_typeET2_T3_PNSI_ISN_E10value_typeET4_T5_PSS_ST_PNS1_23onesweep_lookback_stateEbbT6_jjT7_P12ihipStream_tbENKUlT_T0_SH_SM_E_clISB_SB_SC_SC_EEDaS10_S11_SH_SM_EUlS10_E_NS1_11comp_targetILNS1_3genE10ELNS1_11target_archE1201ELNS1_3gpuE5ELNS1_3repE0EEENS1_47radix_sort_onesweep_sort_config_static_selectorELNS0_4arch9wavefront6targetE0EEEvSH_,"axG",@progbits,_ZN7rocprim17ROCPRIM_400000_NS6detail17trampoline_kernelINS0_14default_configENS1_35radix_sort_onesweep_config_selectorI6__halfNS0_10empty_typeEEEZZNS1_29radix_sort_onesweep_iterationIS3_Lb1EPKS5_PS5_PS6_SC_mNS0_19identity_decomposerENS1_16block_id_wrapperIjLb1EEEEE10hipError_tT1_PNSt15iterator_traitsISH_E10value_typeET2_T3_PNSI_ISN_E10value_typeET4_T5_PSS_ST_PNS1_23onesweep_lookback_stateEbbT6_jjT7_P12ihipStream_tbENKUlT_T0_SH_SM_E_clISB_SB_SC_SC_EEDaS10_S11_SH_SM_EUlS10_E_NS1_11comp_targetILNS1_3genE10ELNS1_11target_archE1201ELNS1_3gpuE5ELNS1_3repE0EEENS1_47radix_sort_onesweep_sort_config_static_selectorELNS0_4arch9wavefront6targetE0EEEvSH_,comdat
	.protected	_ZN7rocprim17ROCPRIM_400000_NS6detail17trampoline_kernelINS0_14default_configENS1_35radix_sort_onesweep_config_selectorI6__halfNS0_10empty_typeEEEZZNS1_29radix_sort_onesweep_iterationIS3_Lb1EPKS5_PS5_PS6_SC_mNS0_19identity_decomposerENS1_16block_id_wrapperIjLb1EEEEE10hipError_tT1_PNSt15iterator_traitsISH_E10value_typeET2_T3_PNSI_ISN_E10value_typeET4_T5_PSS_ST_PNS1_23onesweep_lookback_stateEbbT6_jjT7_P12ihipStream_tbENKUlT_T0_SH_SM_E_clISB_SB_SC_SC_EEDaS10_S11_SH_SM_EUlS10_E_NS1_11comp_targetILNS1_3genE10ELNS1_11target_archE1201ELNS1_3gpuE5ELNS1_3repE0EEENS1_47radix_sort_onesweep_sort_config_static_selectorELNS0_4arch9wavefront6targetE0EEEvSH_ ; -- Begin function _ZN7rocprim17ROCPRIM_400000_NS6detail17trampoline_kernelINS0_14default_configENS1_35radix_sort_onesweep_config_selectorI6__halfNS0_10empty_typeEEEZZNS1_29radix_sort_onesweep_iterationIS3_Lb1EPKS5_PS5_PS6_SC_mNS0_19identity_decomposerENS1_16block_id_wrapperIjLb1EEEEE10hipError_tT1_PNSt15iterator_traitsISH_E10value_typeET2_T3_PNSI_ISN_E10value_typeET4_T5_PSS_ST_PNS1_23onesweep_lookback_stateEbbT6_jjT7_P12ihipStream_tbENKUlT_T0_SH_SM_E_clISB_SB_SC_SC_EEDaS10_S11_SH_SM_EUlS10_E_NS1_11comp_targetILNS1_3genE10ELNS1_11target_archE1201ELNS1_3gpuE5ELNS1_3repE0EEENS1_47radix_sort_onesweep_sort_config_static_selectorELNS0_4arch9wavefront6targetE0EEEvSH_
	.globl	_ZN7rocprim17ROCPRIM_400000_NS6detail17trampoline_kernelINS0_14default_configENS1_35radix_sort_onesweep_config_selectorI6__halfNS0_10empty_typeEEEZZNS1_29radix_sort_onesweep_iterationIS3_Lb1EPKS5_PS5_PS6_SC_mNS0_19identity_decomposerENS1_16block_id_wrapperIjLb1EEEEE10hipError_tT1_PNSt15iterator_traitsISH_E10value_typeET2_T3_PNSI_ISN_E10value_typeET4_T5_PSS_ST_PNS1_23onesweep_lookback_stateEbbT6_jjT7_P12ihipStream_tbENKUlT_T0_SH_SM_E_clISB_SB_SC_SC_EEDaS10_S11_SH_SM_EUlS10_E_NS1_11comp_targetILNS1_3genE10ELNS1_11target_archE1201ELNS1_3gpuE5ELNS1_3repE0EEENS1_47radix_sort_onesweep_sort_config_static_selectorELNS0_4arch9wavefront6targetE0EEEvSH_
	.p2align	8
	.type	_ZN7rocprim17ROCPRIM_400000_NS6detail17trampoline_kernelINS0_14default_configENS1_35radix_sort_onesweep_config_selectorI6__halfNS0_10empty_typeEEEZZNS1_29radix_sort_onesweep_iterationIS3_Lb1EPKS5_PS5_PS6_SC_mNS0_19identity_decomposerENS1_16block_id_wrapperIjLb1EEEEE10hipError_tT1_PNSt15iterator_traitsISH_E10value_typeET2_T3_PNSI_ISN_E10value_typeET4_T5_PSS_ST_PNS1_23onesweep_lookback_stateEbbT6_jjT7_P12ihipStream_tbENKUlT_T0_SH_SM_E_clISB_SB_SC_SC_EEDaS10_S11_SH_SM_EUlS10_E_NS1_11comp_targetILNS1_3genE10ELNS1_11target_archE1201ELNS1_3gpuE5ELNS1_3repE0EEENS1_47radix_sort_onesweep_sort_config_static_selectorELNS0_4arch9wavefront6targetE0EEEvSH_,@function
_ZN7rocprim17ROCPRIM_400000_NS6detail17trampoline_kernelINS0_14default_configENS1_35radix_sort_onesweep_config_selectorI6__halfNS0_10empty_typeEEEZZNS1_29radix_sort_onesweep_iterationIS3_Lb1EPKS5_PS5_PS6_SC_mNS0_19identity_decomposerENS1_16block_id_wrapperIjLb1EEEEE10hipError_tT1_PNSt15iterator_traitsISH_E10value_typeET2_T3_PNSI_ISN_E10value_typeET4_T5_PSS_ST_PNS1_23onesweep_lookback_stateEbbT6_jjT7_P12ihipStream_tbENKUlT_T0_SH_SM_E_clISB_SB_SC_SC_EEDaS10_S11_SH_SM_EUlS10_E_NS1_11comp_targetILNS1_3genE10ELNS1_11target_archE1201ELNS1_3gpuE5ELNS1_3repE0EEENS1_47radix_sort_onesweep_sort_config_static_selectorELNS0_4arch9wavefront6targetE0EEEvSH_: ; @_ZN7rocprim17ROCPRIM_400000_NS6detail17trampoline_kernelINS0_14default_configENS1_35radix_sort_onesweep_config_selectorI6__halfNS0_10empty_typeEEEZZNS1_29radix_sort_onesweep_iterationIS3_Lb1EPKS5_PS5_PS6_SC_mNS0_19identity_decomposerENS1_16block_id_wrapperIjLb1EEEEE10hipError_tT1_PNSt15iterator_traitsISH_E10value_typeET2_T3_PNSI_ISN_E10value_typeET4_T5_PSS_ST_PNS1_23onesweep_lookback_stateEbbT6_jjT7_P12ihipStream_tbENKUlT_T0_SH_SM_E_clISB_SB_SC_SC_EEDaS10_S11_SH_SM_EUlS10_E_NS1_11comp_targetILNS1_3genE10ELNS1_11target_archE1201ELNS1_3gpuE5ELNS1_3repE0EEENS1_47radix_sort_onesweep_sort_config_static_selectorELNS0_4arch9wavefront6targetE0EEEvSH_
; %bb.0:
	.section	.rodata,"a",@progbits
	.p2align	6, 0x0
	.amdhsa_kernel _ZN7rocprim17ROCPRIM_400000_NS6detail17trampoline_kernelINS0_14default_configENS1_35radix_sort_onesweep_config_selectorI6__halfNS0_10empty_typeEEEZZNS1_29radix_sort_onesweep_iterationIS3_Lb1EPKS5_PS5_PS6_SC_mNS0_19identity_decomposerENS1_16block_id_wrapperIjLb1EEEEE10hipError_tT1_PNSt15iterator_traitsISH_E10value_typeET2_T3_PNSI_ISN_E10value_typeET4_T5_PSS_ST_PNS1_23onesweep_lookback_stateEbbT6_jjT7_P12ihipStream_tbENKUlT_T0_SH_SM_E_clISB_SB_SC_SC_EEDaS10_S11_SH_SM_EUlS10_E_NS1_11comp_targetILNS1_3genE10ELNS1_11target_archE1201ELNS1_3gpuE5ELNS1_3repE0EEENS1_47radix_sort_onesweep_sort_config_static_selectorELNS0_4arch9wavefront6targetE0EEEvSH_
		.amdhsa_group_segment_fixed_size 0
		.amdhsa_private_segment_fixed_size 0
		.amdhsa_kernarg_size 88
		.amdhsa_user_sgpr_count 2
		.amdhsa_user_sgpr_dispatch_ptr 0
		.amdhsa_user_sgpr_queue_ptr 0
		.amdhsa_user_sgpr_kernarg_segment_ptr 1
		.amdhsa_user_sgpr_dispatch_id 0
		.amdhsa_user_sgpr_kernarg_preload_length 0
		.amdhsa_user_sgpr_kernarg_preload_offset 0
		.amdhsa_user_sgpr_private_segment_size 0
		.amdhsa_wavefront_size32 1
		.amdhsa_uses_dynamic_stack 0
		.amdhsa_enable_private_segment 0
		.amdhsa_system_sgpr_workgroup_id_x 1
		.amdhsa_system_sgpr_workgroup_id_y 0
		.amdhsa_system_sgpr_workgroup_id_z 0
		.amdhsa_system_sgpr_workgroup_info 0
		.amdhsa_system_vgpr_workitem_id 0
		.amdhsa_next_free_vgpr 1
		.amdhsa_next_free_sgpr 1
		.amdhsa_named_barrier_count 0
		.amdhsa_reserve_vcc 0
		.amdhsa_float_round_mode_32 0
		.amdhsa_float_round_mode_16_64 0
		.amdhsa_float_denorm_mode_32 3
		.amdhsa_float_denorm_mode_16_64 3
		.amdhsa_fp16_overflow 0
		.amdhsa_memory_ordered 1
		.amdhsa_forward_progress 1
		.amdhsa_inst_pref_size 0
		.amdhsa_round_robin_scheduling 0
		.amdhsa_exception_fp_ieee_invalid_op 0
		.amdhsa_exception_fp_denorm_src 0
		.amdhsa_exception_fp_ieee_div_zero 0
		.amdhsa_exception_fp_ieee_overflow 0
		.amdhsa_exception_fp_ieee_underflow 0
		.amdhsa_exception_fp_ieee_inexact 0
		.amdhsa_exception_int_div_zero 0
	.end_amdhsa_kernel
	.section	.text._ZN7rocprim17ROCPRIM_400000_NS6detail17trampoline_kernelINS0_14default_configENS1_35radix_sort_onesweep_config_selectorI6__halfNS0_10empty_typeEEEZZNS1_29radix_sort_onesweep_iterationIS3_Lb1EPKS5_PS5_PS6_SC_mNS0_19identity_decomposerENS1_16block_id_wrapperIjLb1EEEEE10hipError_tT1_PNSt15iterator_traitsISH_E10value_typeET2_T3_PNSI_ISN_E10value_typeET4_T5_PSS_ST_PNS1_23onesweep_lookback_stateEbbT6_jjT7_P12ihipStream_tbENKUlT_T0_SH_SM_E_clISB_SB_SC_SC_EEDaS10_S11_SH_SM_EUlS10_E_NS1_11comp_targetILNS1_3genE10ELNS1_11target_archE1201ELNS1_3gpuE5ELNS1_3repE0EEENS1_47radix_sort_onesweep_sort_config_static_selectorELNS0_4arch9wavefront6targetE0EEEvSH_,"axG",@progbits,_ZN7rocprim17ROCPRIM_400000_NS6detail17trampoline_kernelINS0_14default_configENS1_35radix_sort_onesweep_config_selectorI6__halfNS0_10empty_typeEEEZZNS1_29radix_sort_onesweep_iterationIS3_Lb1EPKS5_PS5_PS6_SC_mNS0_19identity_decomposerENS1_16block_id_wrapperIjLb1EEEEE10hipError_tT1_PNSt15iterator_traitsISH_E10value_typeET2_T3_PNSI_ISN_E10value_typeET4_T5_PSS_ST_PNS1_23onesweep_lookback_stateEbbT6_jjT7_P12ihipStream_tbENKUlT_T0_SH_SM_E_clISB_SB_SC_SC_EEDaS10_S11_SH_SM_EUlS10_E_NS1_11comp_targetILNS1_3genE10ELNS1_11target_archE1201ELNS1_3gpuE5ELNS1_3repE0EEENS1_47radix_sort_onesweep_sort_config_static_selectorELNS0_4arch9wavefront6targetE0EEEvSH_,comdat
.Lfunc_end2178:
	.size	_ZN7rocprim17ROCPRIM_400000_NS6detail17trampoline_kernelINS0_14default_configENS1_35radix_sort_onesweep_config_selectorI6__halfNS0_10empty_typeEEEZZNS1_29radix_sort_onesweep_iterationIS3_Lb1EPKS5_PS5_PS6_SC_mNS0_19identity_decomposerENS1_16block_id_wrapperIjLb1EEEEE10hipError_tT1_PNSt15iterator_traitsISH_E10value_typeET2_T3_PNSI_ISN_E10value_typeET4_T5_PSS_ST_PNS1_23onesweep_lookback_stateEbbT6_jjT7_P12ihipStream_tbENKUlT_T0_SH_SM_E_clISB_SB_SC_SC_EEDaS10_S11_SH_SM_EUlS10_E_NS1_11comp_targetILNS1_3genE10ELNS1_11target_archE1201ELNS1_3gpuE5ELNS1_3repE0EEENS1_47radix_sort_onesweep_sort_config_static_selectorELNS0_4arch9wavefront6targetE0EEEvSH_, .Lfunc_end2178-_ZN7rocprim17ROCPRIM_400000_NS6detail17trampoline_kernelINS0_14default_configENS1_35radix_sort_onesweep_config_selectorI6__halfNS0_10empty_typeEEEZZNS1_29radix_sort_onesweep_iterationIS3_Lb1EPKS5_PS5_PS6_SC_mNS0_19identity_decomposerENS1_16block_id_wrapperIjLb1EEEEE10hipError_tT1_PNSt15iterator_traitsISH_E10value_typeET2_T3_PNSI_ISN_E10value_typeET4_T5_PSS_ST_PNS1_23onesweep_lookback_stateEbbT6_jjT7_P12ihipStream_tbENKUlT_T0_SH_SM_E_clISB_SB_SC_SC_EEDaS10_S11_SH_SM_EUlS10_E_NS1_11comp_targetILNS1_3genE10ELNS1_11target_archE1201ELNS1_3gpuE5ELNS1_3repE0EEENS1_47radix_sort_onesweep_sort_config_static_selectorELNS0_4arch9wavefront6targetE0EEEvSH_
                                        ; -- End function
	.set _ZN7rocprim17ROCPRIM_400000_NS6detail17trampoline_kernelINS0_14default_configENS1_35radix_sort_onesweep_config_selectorI6__halfNS0_10empty_typeEEEZZNS1_29radix_sort_onesweep_iterationIS3_Lb1EPKS5_PS5_PS6_SC_mNS0_19identity_decomposerENS1_16block_id_wrapperIjLb1EEEEE10hipError_tT1_PNSt15iterator_traitsISH_E10value_typeET2_T3_PNSI_ISN_E10value_typeET4_T5_PSS_ST_PNS1_23onesweep_lookback_stateEbbT6_jjT7_P12ihipStream_tbENKUlT_T0_SH_SM_E_clISB_SB_SC_SC_EEDaS10_S11_SH_SM_EUlS10_E_NS1_11comp_targetILNS1_3genE10ELNS1_11target_archE1201ELNS1_3gpuE5ELNS1_3repE0EEENS1_47radix_sort_onesweep_sort_config_static_selectorELNS0_4arch9wavefront6targetE0EEEvSH_.num_vgpr, 0
	.set _ZN7rocprim17ROCPRIM_400000_NS6detail17trampoline_kernelINS0_14default_configENS1_35radix_sort_onesweep_config_selectorI6__halfNS0_10empty_typeEEEZZNS1_29radix_sort_onesweep_iterationIS3_Lb1EPKS5_PS5_PS6_SC_mNS0_19identity_decomposerENS1_16block_id_wrapperIjLb1EEEEE10hipError_tT1_PNSt15iterator_traitsISH_E10value_typeET2_T3_PNSI_ISN_E10value_typeET4_T5_PSS_ST_PNS1_23onesweep_lookback_stateEbbT6_jjT7_P12ihipStream_tbENKUlT_T0_SH_SM_E_clISB_SB_SC_SC_EEDaS10_S11_SH_SM_EUlS10_E_NS1_11comp_targetILNS1_3genE10ELNS1_11target_archE1201ELNS1_3gpuE5ELNS1_3repE0EEENS1_47radix_sort_onesweep_sort_config_static_selectorELNS0_4arch9wavefront6targetE0EEEvSH_.num_agpr, 0
	.set _ZN7rocprim17ROCPRIM_400000_NS6detail17trampoline_kernelINS0_14default_configENS1_35radix_sort_onesweep_config_selectorI6__halfNS0_10empty_typeEEEZZNS1_29radix_sort_onesweep_iterationIS3_Lb1EPKS5_PS5_PS6_SC_mNS0_19identity_decomposerENS1_16block_id_wrapperIjLb1EEEEE10hipError_tT1_PNSt15iterator_traitsISH_E10value_typeET2_T3_PNSI_ISN_E10value_typeET4_T5_PSS_ST_PNS1_23onesweep_lookback_stateEbbT6_jjT7_P12ihipStream_tbENKUlT_T0_SH_SM_E_clISB_SB_SC_SC_EEDaS10_S11_SH_SM_EUlS10_E_NS1_11comp_targetILNS1_3genE10ELNS1_11target_archE1201ELNS1_3gpuE5ELNS1_3repE0EEENS1_47radix_sort_onesweep_sort_config_static_selectorELNS0_4arch9wavefront6targetE0EEEvSH_.numbered_sgpr, 0
	.set _ZN7rocprim17ROCPRIM_400000_NS6detail17trampoline_kernelINS0_14default_configENS1_35radix_sort_onesweep_config_selectorI6__halfNS0_10empty_typeEEEZZNS1_29radix_sort_onesweep_iterationIS3_Lb1EPKS5_PS5_PS6_SC_mNS0_19identity_decomposerENS1_16block_id_wrapperIjLb1EEEEE10hipError_tT1_PNSt15iterator_traitsISH_E10value_typeET2_T3_PNSI_ISN_E10value_typeET4_T5_PSS_ST_PNS1_23onesweep_lookback_stateEbbT6_jjT7_P12ihipStream_tbENKUlT_T0_SH_SM_E_clISB_SB_SC_SC_EEDaS10_S11_SH_SM_EUlS10_E_NS1_11comp_targetILNS1_3genE10ELNS1_11target_archE1201ELNS1_3gpuE5ELNS1_3repE0EEENS1_47radix_sort_onesweep_sort_config_static_selectorELNS0_4arch9wavefront6targetE0EEEvSH_.num_named_barrier, 0
	.set _ZN7rocprim17ROCPRIM_400000_NS6detail17trampoline_kernelINS0_14default_configENS1_35radix_sort_onesweep_config_selectorI6__halfNS0_10empty_typeEEEZZNS1_29radix_sort_onesweep_iterationIS3_Lb1EPKS5_PS5_PS6_SC_mNS0_19identity_decomposerENS1_16block_id_wrapperIjLb1EEEEE10hipError_tT1_PNSt15iterator_traitsISH_E10value_typeET2_T3_PNSI_ISN_E10value_typeET4_T5_PSS_ST_PNS1_23onesweep_lookback_stateEbbT6_jjT7_P12ihipStream_tbENKUlT_T0_SH_SM_E_clISB_SB_SC_SC_EEDaS10_S11_SH_SM_EUlS10_E_NS1_11comp_targetILNS1_3genE10ELNS1_11target_archE1201ELNS1_3gpuE5ELNS1_3repE0EEENS1_47radix_sort_onesweep_sort_config_static_selectorELNS0_4arch9wavefront6targetE0EEEvSH_.private_seg_size, 0
	.set _ZN7rocprim17ROCPRIM_400000_NS6detail17trampoline_kernelINS0_14default_configENS1_35radix_sort_onesweep_config_selectorI6__halfNS0_10empty_typeEEEZZNS1_29radix_sort_onesweep_iterationIS3_Lb1EPKS5_PS5_PS6_SC_mNS0_19identity_decomposerENS1_16block_id_wrapperIjLb1EEEEE10hipError_tT1_PNSt15iterator_traitsISH_E10value_typeET2_T3_PNSI_ISN_E10value_typeET4_T5_PSS_ST_PNS1_23onesweep_lookback_stateEbbT6_jjT7_P12ihipStream_tbENKUlT_T0_SH_SM_E_clISB_SB_SC_SC_EEDaS10_S11_SH_SM_EUlS10_E_NS1_11comp_targetILNS1_3genE10ELNS1_11target_archE1201ELNS1_3gpuE5ELNS1_3repE0EEENS1_47radix_sort_onesweep_sort_config_static_selectorELNS0_4arch9wavefront6targetE0EEEvSH_.uses_vcc, 0
	.set _ZN7rocprim17ROCPRIM_400000_NS6detail17trampoline_kernelINS0_14default_configENS1_35radix_sort_onesweep_config_selectorI6__halfNS0_10empty_typeEEEZZNS1_29radix_sort_onesweep_iterationIS3_Lb1EPKS5_PS5_PS6_SC_mNS0_19identity_decomposerENS1_16block_id_wrapperIjLb1EEEEE10hipError_tT1_PNSt15iterator_traitsISH_E10value_typeET2_T3_PNSI_ISN_E10value_typeET4_T5_PSS_ST_PNS1_23onesweep_lookback_stateEbbT6_jjT7_P12ihipStream_tbENKUlT_T0_SH_SM_E_clISB_SB_SC_SC_EEDaS10_S11_SH_SM_EUlS10_E_NS1_11comp_targetILNS1_3genE10ELNS1_11target_archE1201ELNS1_3gpuE5ELNS1_3repE0EEENS1_47radix_sort_onesweep_sort_config_static_selectorELNS0_4arch9wavefront6targetE0EEEvSH_.uses_flat_scratch, 0
	.set _ZN7rocprim17ROCPRIM_400000_NS6detail17trampoline_kernelINS0_14default_configENS1_35radix_sort_onesweep_config_selectorI6__halfNS0_10empty_typeEEEZZNS1_29radix_sort_onesweep_iterationIS3_Lb1EPKS5_PS5_PS6_SC_mNS0_19identity_decomposerENS1_16block_id_wrapperIjLb1EEEEE10hipError_tT1_PNSt15iterator_traitsISH_E10value_typeET2_T3_PNSI_ISN_E10value_typeET4_T5_PSS_ST_PNS1_23onesweep_lookback_stateEbbT6_jjT7_P12ihipStream_tbENKUlT_T0_SH_SM_E_clISB_SB_SC_SC_EEDaS10_S11_SH_SM_EUlS10_E_NS1_11comp_targetILNS1_3genE10ELNS1_11target_archE1201ELNS1_3gpuE5ELNS1_3repE0EEENS1_47radix_sort_onesweep_sort_config_static_selectorELNS0_4arch9wavefront6targetE0EEEvSH_.has_dyn_sized_stack, 0
	.set _ZN7rocprim17ROCPRIM_400000_NS6detail17trampoline_kernelINS0_14default_configENS1_35radix_sort_onesweep_config_selectorI6__halfNS0_10empty_typeEEEZZNS1_29radix_sort_onesweep_iterationIS3_Lb1EPKS5_PS5_PS6_SC_mNS0_19identity_decomposerENS1_16block_id_wrapperIjLb1EEEEE10hipError_tT1_PNSt15iterator_traitsISH_E10value_typeET2_T3_PNSI_ISN_E10value_typeET4_T5_PSS_ST_PNS1_23onesweep_lookback_stateEbbT6_jjT7_P12ihipStream_tbENKUlT_T0_SH_SM_E_clISB_SB_SC_SC_EEDaS10_S11_SH_SM_EUlS10_E_NS1_11comp_targetILNS1_3genE10ELNS1_11target_archE1201ELNS1_3gpuE5ELNS1_3repE0EEENS1_47radix_sort_onesweep_sort_config_static_selectorELNS0_4arch9wavefront6targetE0EEEvSH_.has_recursion, 0
	.set _ZN7rocprim17ROCPRIM_400000_NS6detail17trampoline_kernelINS0_14default_configENS1_35radix_sort_onesweep_config_selectorI6__halfNS0_10empty_typeEEEZZNS1_29radix_sort_onesweep_iterationIS3_Lb1EPKS5_PS5_PS6_SC_mNS0_19identity_decomposerENS1_16block_id_wrapperIjLb1EEEEE10hipError_tT1_PNSt15iterator_traitsISH_E10value_typeET2_T3_PNSI_ISN_E10value_typeET4_T5_PSS_ST_PNS1_23onesweep_lookback_stateEbbT6_jjT7_P12ihipStream_tbENKUlT_T0_SH_SM_E_clISB_SB_SC_SC_EEDaS10_S11_SH_SM_EUlS10_E_NS1_11comp_targetILNS1_3genE10ELNS1_11target_archE1201ELNS1_3gpuE5ELNS1_3repE0EEENS1_47radix_sort_onesweep_sort_config_static_selectorELNS0_4arch9wavefront6targetE0EEEvSH_.has_indirect_call, 0
	.section	.AMDGPU.csdata,"",@progbits
; Kernel info:
; codeLenInByte = 0
; TotalNumSgprs: 0
; NumVgprs: 0
; ScratchSize: 0
; MemoryBound: 0
; FloatMode: 240
; IeeeMode: 1
; LDSByteSize: 0 bytes/workgroup (compile time only)
; SGPRBlocks: 0
; VGPRBlocks: 0
; NumSGPRsForWavesPerEU: 1
; NumVGPRsForWavesPerEU: 1
; NamedBarCnt: 0
; Occupancy: 16
; WaveLimiterHint : 0
; COMPUTE_PGM_RSRC2:SCRATCH_EN: 0
; COMPUTE_PGM_RSRC2:USER_SGPR: 2
; COMPUTE_PGM_RSRC2:TRAP_HANDLER: 0
; COMPUTE_PGM_RSRC2:TGID_X_EN: 1
; COMPUTE_PGM_RSRC2:TGID_Y_EN: 0
; COMPUTE_PGM_RSRC2:TGID_Z_EN: 0
; COMPUTE_PGM_RSRC2:TIDIG_COMP_CNT: 0
	.section	.text._ZN7rocprim17ROCPRIM_400000_NS6detail17trampoline_kernelINS0_14default_configENS1_35radix_sort_onesweep_config_selectorI6__halfNS0_10empty_typeEEEZZNS1_29radix_sort_onesweep_iterationIS3_Lb1EPKS5_PS5_PS6_SC_mNS0_19identity_decomposerENS1_16block_id_wrapperIjLb1EEEEE10hipError_tT1_PNSt15iterator_traitsISH_E10value_typeET2_T3_PNSI_ISN_E10value_typeET4_T5_PSS_ST_PNS1_23onesweep_lookback_stateEbbT6_jjT7_P12ihipStream_tbENKUlT_T0_SH_SM_E_clISB_SB_SC_SC_EEDaS10_S11_SH_SM_EUlS10_E_NS1_11comp_targetILNS1_3genE9ELNS1_11target_archE1100ELNS1_3gpuE3ELNS1_3repE0EEENS1_47radix_sort_onesweep_sort_config_static_selectorELNS0_4arch9wavefront6targetE0EEEvSH_,"axG",@progbits,_ZN7rocprim17ROCPRIM_400000_NS6detail17trampoline_kernelINS0_14default_configENS1_35radix_sort_onesweep_config_selectorI6__halfNS0_10empty_typeEEEZZNS1_29radix_sort_onesweep_iterationIS3_Lb1EPKS5_PS5_PS6_SC_mNS0_19identity_decomposerENS1_16block_id_wrapperIjLb1EEEEE10hipError_tT1_PNSt15iterator_traitsISH_E10value_typeET2_T3_PNSI_ISN_E10value_typeET4_T5_PSS_ST_PNS1_23onesweep_lookback_stateEbbT6_jjT7_P12ihipStream_tbENKUlT_T0_SH_SM_E_clISB_SB_SC_SC_EEDaS10_S11_SH_SM_EUlS10_E_NS1_11comp_targetILNS1_3genE9ELNS1_11target_archE1100ELNS1_3gpuE3ELNS1_3repE0EEENS1_47radix_sort_onesweep_sort_config_static_selectorELNS0_4arch9wavefront6targetE0EEEvSH_,comdat
	.protected	_ZN7rocprim17ROCPRIM_400000_NS6detail17trampoline_kernelINS0_14default_configENS1_35radix_sort_onesweep_config_selectorI6__halfNS0_10empty_typeEEEZZNS1_29radix_sort_onesweep_iterationIS3_Lb1EPKS5_PS5_PS6_SC_mNS0_19identity_decomposerENS1_16block_id_wrapperIjLb1EEEEE10hipError_tT1_PNSt15iterator_traitsISH_E10value_typeET2_T3_PNSI_ISN_E10value_typeET4_T5_PSS_ST_PNS1_23onesweep_lookback_stateEbbT6_jjT7_P12ihipStream_tbENKUlT_T0_SH_SM_E_clISB_SB_SC_SC_EEDaS10_S11_SH_SM_EUlS10_E_NS1_11comp_targetILNS1_3genE9ELNS1_11target_archE1100ELNS1_3gpuE3ELNS1_3repE0EEENS1_47radix_sort_onesweep_sort_config_static_selectorELNS0_4arch9wavefront6targetE0EEEvSH_ ; -- Begin function _ZN7rocprim17ROCPRIM_400000_NS6detail17trampoline_kernelINS0_14default_configENS1_35radix_sort_onesweep_config_selectorI6__halfNS0_10empty_typeEEEZZNS1_29radix_sort_onesweep_iterationIS3_Lb1EPKS5_PS5_PS6_SC_mNS0_19identity_decomposerENS1_16block_id_wrapperIjLb1EEEEE10hipError_tT1_PNSt15iterator_traitsISH_E10value_typeET2_T3_PNSI_ISN_E10value_typeET4_T5_PSS_ST_PNS1_23onesweep_lookback_stateEbbT6_jjT7_P12ihipStream_tbENKUlT_T0_SH_SM_E_clISB_SB_SC_SC_EEDaS10_S11_SH_SM_EUlS10_E_NS1_11comp_targetILNS1_3genE9ELNS1_11target_archE1100ELNS1_3gpuE3ELNS1_3repE0EEENS1_47radix_sort_onesweep_sort_config_static_selectorELNS0_4arch9wavefront6targetE0EEEvSH_
	.globl	_ZN7rocprim17ROCPRIM_400000_NS6detail17trampoline_kernelINS0_14default_configENS1_35radix_sort_onesweep_config_selectorI6__halfNS0_10empty_typeEEEZZNS1_29radix_sort_onesweep_iterationIS3_Lb1EPKS5_PS5_PS6_SC_mNS0_19identity_decomposerENS1_16block_id_wrapperIjLb1EEEEE10hipError_tT1_PNSt15iterator_traitsISH_E10value_typeET2_T3_PNSI_ISN_E10value_typeET4_T5_PSS_ST_PNS1_23onesweep_lookback_stateEbbT6_jjT7_P12ihipStream_tbENKUlT_T0_SH_SM_E_clISB_SB_SC_SC_EEDaS10_S11_SH_SM_EUlS10_E_NS1_11comp_targetILNS1_3genE9ELNS1_11target_archE1100ELNS1_3gpuE3ELNS1_3repE0EEENS1_47radix_sort_onesweep_sort_config_static_selectorELNS0_4arch9wavefront6targetE0EEEvSH_
	.p2align	8
	.type	_ZN7rocprim17ROCPRIM_400000_NS6detail17trampoline_kernelINS0_14default_configENS1_35radix_sort_onesweep_config_selectorI6__halfNS0_10empty_typeEEEZZNS1_29radix_sort_onesweep_iterationIS3_Lb1EPKS5_PS5_PS6_SC_mNS0_19identity_decomposerENS1_16block_id_wrapperIjLb1EEEEE10hipError_tT1_PNSt15iterator_traitsISH_E10value_typeET2_T3_PNSI_ISN_E10value_typeET4_T5_PSS_ST_PNS1_23onesweep_lookback_stateEbbT6_jjT7_P12ihipStream_tbENKUlT_T0_SH_SM_E_clISB_SB_SC_SC_EEDaS10_S11_SH_SM_EUlS10_E_NS1_11comp_targetILNS1_3genE9ELNS1_11target_archE1100ELNS1_3gpuE3ELNS1_3repE0EEENS1_47radix_sort_onesweep_sort_config_static_selectorELNS0_4arch9wavefront6targetE0EEEvSH_,@function
_ZN7rocprim17ROCPRIM_400000_NS6detail17trampoline_kernelINS0_14default_configENS1_35radix_sort_onesweep_config_selectorI6__halfNS0_10empty_typeEEEZZNS1_29radix_sort_onesweep_iterationIS3_Lb1EPKS5_PS5_PS6_SC_mNS0_19identity_decomposerENS1_16block_id_wrapperIjLb1EEEEE10hipError_tT1_PNSt15iterator_traitsISH_E10value_typeET2_T3_PNSI_ISN_E10value_typeET4_T5_PSS_ST_PNS1_23onesweep_lookback_stateEbbT6_jjT7_P12ihipStream_tbENKUlT_T0_SH_SM_E_clISB_SB_SC_SC_EEDaS10_S11_SH_SM_EUlS10_E_NS1_11comp_targetILNS1_3genE9ELNS1_11target_archE1100ELNS1_3gpuE3ELNS1_3repE0EEENS1_47radix_sort_onesweep_sort_config_static_selectorELNS0_4arch9wavefront6targetE0EEEvSH_: ; @_ZN7rocprim17ROCPRIM_400000_NS6detail17trampoline_kernelINS0_14default_configENS1_35radix_sort_onesweep_config_selectorI6__halfNS0_10empty_typeEEEZZNS1_29radix_sort_onesweep_iterationIS3_Lb1EPKS5_PS5_PS6_SC_mNS0_19identity_decomposerENS1_16block_id_wrapperIjLb1EEEEE10hipError_tT1_PNSt15iterator_traitsISH_E10value_typeET2_T3_PNSI_ISN_E10value_typeET4_T5_PSS_ST_PNS1_23onesweep_lookback_stateEbbT6_jjT7_P12ihipStream_tbENKUlT_T0_SH_SM_E_clISB_SB_SC_SC_EEDaS10_S11_SH_SM_EUlS10_E_NS1_11comp_targetILNS1_3genE9ELNS1_11target_archE1100ELNS1_3gpuE3ELNS1_3repE0EEENS1_47radix_sort_onesweep_sort_config_static_selectorELNS0_4arch9wavefront6targetE0EEEvSH_
; %bb.0:
	.section	.rodata,"a",@progbits
	.p2align	6, 0x0
	.amdhsa_kernel _ZN7rocprim17ROCPRIM_400000_NS6detail17trampoline_kernelINS0_14default_configENS1_35radix_sort_onesweep_config_selectorI6__halfNS0_10empty_typeEEEZZNS1_29radix_sort_onesweep_iterationIS3_Lb1EPKS5_PS5_PS6_SC_mNS0_19identity_decomposerENS1_16block_id_wrapperIjLb1EEEEE10hipError_tT1_PNSt15iterator_traitsISH_E10value_typeET2_T3_PNSI_ISN_E10value_typeET4_T5_PSS_ST_PNS1_23onesweep_lookback_stateEbbT6_jjT7_P12ihipStream_tbENKUlT_T0_SH_SM_E_clISB_SB_SC_SC_EEDaS10_S11_SH_SM_EUlS10_E_NS1_11comp_targetILNS1_3genE9ELNS1_11target_archE1100ELNS1_3gpuE3ELNS1_3repE0EEENS1_47radix_sort_onesweep_sort_config_static_selectorELNS0_4arch9wavefront6targetE0EEEvSH_
		.amdhsa_group_segment_fixed_size 0
		.amdhsa_private_segment_fixed_size 0
		.amdhsa_kernarg_size 88
		.amdhsa_user_sgpr_count 2
		.amdhsa_user_sgpr_dispatch_ptr 0
		.amdhsa_user_sgpr_queue_ptr 0
		.amdhsa_user_sgpr_kernarg_segment_ptr 1
		.amdhsa_user_sgpr_dispatch_id 0
		.amdhsa_user_sgpr_kernarg_preload_length 0
		.amdhsa_user_sgpr_kernarg_preload_offset 0
		.amdhsa_user_sgpr_private_segment_size 0
		.amdhsa_wavefront_size32 1
		.amdhsa_uses_dynamic_stack 0
		.amdhsa_enable_private_segment 0
		.amdhsa_system_sgpr_workgroup_id_x 1
		.amdhsa_system_sgpr_workgroup_id_y 0
		.amdhsa_system_sgpr_workgroup_id_z 0
		.amdhsa_system_sgpr_workgroup_info 0
		.amdhsa_system_vgpr_workitem_id 0
		.amdhsa_next_free_vgpr 1
		.amdhsa_next_free_sgpr 1
		.amdhsa_named_barrier_count 0
		.amdhsa_reserve_vcc 0
		.amdhsa_float_round_mode_32 0
		.amdhsa_float_round_mode_16_64 0
		.amdhsa_float_denorm_mode_32 3
		.amdhsa_float_denorm_mode_16_64 3
		.amdhsa_fp16_overflow 0
		.amdhsa_memory_ordered 1
		.amdhsa_forward_progress 1
		.amdhsa_inst_pref_size 0
		.amdhsa_round_robin_scheduling 0
		.amdhsa_exception_fp_ieee_invalid_op 0
		.amdhsa_exception_fp_denorm_src 0
		.amdhsa_exception_fp_ieee_div_zero 0
		.amdhsa_exception_fp_ieee_overflow 0
		.amdhsa_exception_fp_ieee_underflow 0
		.amdhsa_exception_fp_ieee_inexact 0
		.amdhsa_exception_int_div_zero 0
	.end_amdhsa_kernel
	.section	.text._ZN7rocprim17ROCPRIM_400000_NS6detail17trampoline_kernelINS0_14default_configENS1_35radix_sort_onesweep_config_selectorI6__halfNS0_10empty_typeEEEZZNS1_29radix_sort_onesweep_iterationIS3_Lb1EPKS5_PS5_PS6_SC_mNS0_19identity_decomposerENS1_16block_id_wrapperIjLb1EEEEE10hipError_tT1_PNSt15iterator_traitsISH_E10value_typeET2_T3_PNSI_ISN_E10value_typeET4_T5_PSS_ST_PNS1_23onesweep_lookback_stateEbbT6_jjT7_P12ihipStream_tbENKUlT_T0_SH_SM_E_clISB_SB_SC_SC_EEDaS10_S11_SH_SM_EUlS10_E_NS1_11comp_targetILNS1_3genE9ELNS1_11target_archE1100ELNS1_3gpuE3ELNS1_3repE0EEENS1_47radix_sort_onesweep_sort_config_static_selectorELNS0_4arch9wavefront6targetE0EEEvSH_,"axG",@progbits,_ZN7rocprim17ROCPRIM_400000_NS6detail17trampoline_kernelINS0_14default_configENS1_35radix_sort_onesweep_config_selectorI6__halfNS0_10empty_typeEEEZZNS1_29radix_sort_onesweep_iterationIS3_Lb1EPKS5_PS5_PS6_SC_mNS0_19identity_decomposerENS1_16block_id_wrapperIjLb1EEEEE10hipError_tT1_PNSt15iterator_traitsISH_E10value_typeET2_T3_PNSI_ISN_E10value_typeET4_T5_PSS_ST_PNS1_23onesweep_lookback_stateEbbT6_jjT7_P12ihipStream_tbENKUlT_T0_SH_SM_E_clISB_SB_SC_SC_EEDaS10_S11_SH_SM_EUlS10_E_NS1_11comp_targetILNS1_3genE9ELNS1_11target_archE1100ELNS1_3gpuE3ELNS1_3repE0EEENS1_47radix_sort_onesweep_sort_config_static_selectorELNS0_4arch9wavefront6targetE0EEEvSH_,comdat
.Lfunc_end2179:
	.size	_ZN7rocprim17ROCPRIM_400000_NS6detail17trampoline_kernelINS0_14default_configENS1_35radix_sort_onesweep_config_selectorI6__halfNS0_10empty_typeEEEZZNS1_29radix_sort_onesweep_iterationIS3_Lb1EPKS5_PS5_PS6_SC_mNS0_19identity_decomposerENS1_16block_id_wrapperIjLb1EEEEE10hipError_tT1_PNSt15iterator_traitsISH_E10value_typeET2_T3_PNSI_ISN_E10value_typeET4_T5_PSS_ST_PNS1_23onesweep_lookback_stateEbbT6_jjT7_P12ihipStream_tbENKUlT_T0_SH_SM_E_clISB_SB_SC_SC_EEDaS10_S11_SH_SM_EUlS10_E_NS1_11comp_targetILNS1_3genE9ELNS1_11target_archE1100ELNS1_3gpuE3ELNS1_3repE0EEENS1_47radix_sort_onesweep_sort_config_static_selectorELNS0_4arch9wavefront6targetE0EEEvSH_, .Lfunc_end2179-_ZN7rocprim17ROCPRIM_400000_NS6detail17trampoline_kernelINS0_14default_configENS1_35radix_sort_onesweep_config_selectorI6__halfNS0_10empty_typeEEEZZNS1_29radix_sort_onesweep_iterationIS3_Lb1EPKS5_PS5_PS6_SC_mNS0_19identity_decomposerENS1_16block_id_wrapperIjLb1EEEEE10hipError_tT1_PNSt15iterator_traitsISH_E10value_typeET2_T3_PNSI_ISN_E10value_typeET4_T5_PSS_ST_PNS1_23onesweep_lookback_stateEbbT6_jjT7_P12ihipStream_tbENKUlT_T0_SH_SM_E_clISB_SB_SC_SC_EEDaS10_S11_SH_SM_EUlS10_E_NS1_11comp_targetILNS1_3genE9ELNS1_11target_archE1100ELNS1_3gpuE3ELNS1_3repE0EEENS1_47radix_sort_onesweep_sort_config_static_selectorELNS0_4arch9wavefront6targetE0EEEvSH_
                                        ; -- End function
	.set _ZN7rocprim17ROCPRIM_400000_NS6detail17trampoline_kernelINS0_14default_configENS1_35radix_sort_onesweep_config_selectorI6__halfNS0_10empty_typeEEEZZNS1_29radix_sort_onesweep_iterationIS3_Lb1EPKS5_PS5_PS6_SC_mNS0_19identity_decomposerENS1_16block_id_wrapperIjLb1EEEEE10hipError_tT1_PNSt15iterator_traitsISH_E10value_typeET2_T3_PNSI_ISN_E10value_typeET4_T5_PSS_ST_PNS1_23onesweep_lookback_stateEbbT6_jjT7_P12ihipStream_tbENKUlT_T0_SH_SM_E_clISB_SB_SC_SC_EEDaS10_S11_SH_SM_EUlS10_E_NS1_11comp_targetILNS1_3genE9ELNS1_11target_archE1100ELNS1_3gpuE3ELNS1_3repE0EEENS1_47radix_sort_onesweep_sort_config_static_selectorELNS0_4arch9wavefront6targetE0EEEvSH_.num_vgpr, 0
	.set _ZN7rocprim17ROCPRIM_400000_NS6detail17trampoline_kernelINS0_14default_configENS1_35radix_sort_onesweep_config_selectorI6__halfNS0_10empty_typeEEEZZNS1_29radix_sort_onesweep_iterationIS3_Lb1EPKS5_PS5_PS6_SC_mNS0_19identity_decomposerENS1_16block_id_wrapperIjLb1EEEEE10hipError_tT1_PNSt15iterator_traitsISH_E10value_typeET2_T3_PNSI_ISN_E10value_typeET4_T5_PSS_ST_PNS1_23onesweep_lookback_stateEbbT6_jjT7_P12ihipStream_tbENKUlT_T0_SH_SM_E_clISB_SB_SC_SC_EEDaS10_S11_SH_SM_EUlS10_E_NS1_11comp_targetILNS1_3genE9ELNS1_11target_archE1100ELNS1_3gpuE3ELNS1_3repE0EEENS1_47radix_sort_onesweep_sort_config_static_selectorELNS0_4arch9wavefront6targetE0EEEvSH_.num_agpr, 0
	.set _ZN7rocprim17ROCPRIM_400000_NS6detail17trampoline_kernelINS0_14default_configENS1_35radix_sort_onesweep_config_selectorI6__halfNS0_10empty_typeEEEZZNS1_29radix_sort_onesweep_iterationIS3_Lb1EPKS5_PS5_PS6_SC_mNS0_19identity_decomposerENS1_16block_id_wrapperIjLb1EEEEE10hipError_tT1_PNSt15iterator_traitsISH_E10value_typeET2_T3_PNSI_ISN_E10value_typeET4_T5_PSS_ST_PNS1_23onesweep_lookback_stateEbbT6_jjT7_P12ihipStream_tbENKUlT_T0_SH_SM_E_clISB_SB_SC_SC_EEDaS10_S11_SH_SM_EUlS10_E_NS1_11comp_targetILNS1_3genE9ELNS1_11target_archE1100ELNS1_3gpuE3ELNS1_3repE0EEENS1_47radix_sort_onesweep_sort_config_static_selectorELNS0_4arch9wavefront6targetE0EEEvSH_.numbered_sgpr, 0
	.set _ZN7rocprim17ROCPRIM_400000_NS6detail17trampoline_kernelINS0_14default_configENS1_35radix_sort_onesweep_config_selectorI6__halfNS0_10empty_typeEEEZZNS1_29radix_sort_onesweep_iterationIS3_Lb1EPKS5_PS5_PS6_SC_mNS0_19identity_decomposerENS1_16block_id_wrapperIjLb1EEEEE10hipError_tT1_PNSt15iterator_traitsISH_E10value_typeET2_T3_PNSI_ISN_E10value_typeET4_T5_PSS_ST_PNS1_23onesweep_lookback_stateEbbT6_jjT7_P12ihipStream_tbENKUlT_T0_SH_SM_E_clISB_SB_SC_SC_EEDaS10_S11_SH_SM_EUlS10_E_NS1_11comp_targetILNS1_3genE9ELNS1_11target_archE1100ELNS1_3gpuE3ELNS1_3repE0EEENS1_47radix_sort_onesweep_sort_config_static_selectorELNS0_4arch9wavefront6targetE0EEEvSH_.num_named_barrier, 0
	.set _ZN7rocprim17ROCPRIM_400000_NS6detail17trampoline_kernelINS0_14default_configENS1_35radix_sort_onesweep_config_selectorI6__halfNS0_10empty_typeEEEZZNS1_29radix_sort_onesweep_iterationIS3_Lb1EPKS5_PS5_PS6_SC_mNS0_19identity_decomposerENS1_16block_id_wrapperIjLb1EEEEE10hipError_tT1_PNSt15iterator_traitsISH_E10value_typeET2_T3_PNSI_ISN_E10value_typeET4_T5_PSS_ST_PNS1_23onesweep_lookback_stateEbbT6_jjT7_P12ihipStream_tbENKUlT_T0_SH_SM_E_clISB_SB_SC_SC_EEDaS10_S11_SH_SM_EUlS10_E_NS1_11comp_targetILNS1_3genE9ELNS1_11target_archE1100ELNS1_3gpuE3ELNS1_3repE0EEENS1_47radix_sort_onesweep_sort_config_static_selectorELNS0_4arch9wavefront6targetE0EEEvSH_.private_seg_size, 0
	.set _ZN7rocprim17ROCPRIM_400000_NS6detail17trampoline_kernelINS0_14default_configENS1_35radix_sort_onesweep_config_selectorI6__halfNS0_10empty_typeEEEZZNS1_29radix_sort_onesweep_iterationIS3_Lb1EPKS5_PS5_PS6_SC_mNS0_19identity_decomposerENS1_16block_id_wrapperIjLb1EEEEE10hipError_tT1_PNSt15iterator_traitsISH_E10value_typeET2_T3_PNSI_ISN_E10value_typeET4_T5_PSS_ST_PNS1_23onesweep_lookback_stateEbbT6_jjT7_P12ihipStream_tbENKUlT_T0_SH_SM_E_clISB_SB_SC_SC_EEDaS10_S11_SH_SM_EUlS10_E_NS1_11comp_targetILNS1_3genE9ELNS1_11target_archE1100ELNS1_3gpuE3ELNS1_3repE0EEENS1_47radix_sort_onesweep_sort_config_static_selectorELNS0_4arch9wavefront6targetE0EEEvSH_.uses_vcc, 0
	.set _ZN7rocprim17ROCPRIM_400000_NS6detail17trampoline_kernelINS0_14default_configENS1_35radix_sort_onesweep_config_selectorI6__halfNS0_10empty_typeEEEZZNS1_29radix_sort_onesweep_iterationIS3_Lb1EPKS5_PS5_PS6_SC_mNS0_19identity_decomposerENS1_16block_id_wrapperIjLb1EEEEE10hipError_tT1_PNSt15iterator_traitsISH_E10value_typeET2_T3_PNSI_ISN_E10value_typeET4_T5_PSS_ST_PNS1_23onesweep_lookback_stateEbbT6_jjT7_P12ihipStream_tbENKUlT_T0_SH_SM_E_clISB_SB_SC_SC_EEDaS10_S11_SH_SM_EUlS10_E_NS1_11comp_targetILNS1_3genE9ELNS1_11target_archE1100ELNS1_3gpuE3ELNS1_3repE0EEENS1_47radix_sort_onesweep_sort_config_static_selectorELNS0_4arch9wavefront6targetE0EEEvSH_.uses_flat_scratch, 0
	.set _ZN7rocprim17ROCPRIM_400000_NS6detail17trampoline_kernelINS0_14default_configENS1_35radix_sort_onesweep_config_selectorI6__halfNS0_10empty_typeEEEZZNS1_29radix_sort_onesweep_iterationIS3_Lb1EPKS5_PS5_PS6_SC_mNS0_19identity_decomposerENS1_16block_id_wrapperIjLb1EEEEE10hipError_tT1_PNSt15iterator_traitsISH_E10value_typeET2_T3_PNSI_ISN_E10value_typeET4_T5_PSS_ST_PNS1_23onesweep_lookback_stateEbbT6_jjT7_P12ihipStream_tbENKUlT_T0_SH_SM_E_clISB_SB_SC_SC_EEDaS10_S11_SH_SM_EUlS10_E_NS1_11comp_targetILNS1_3genE9ELNS1_11target_archE1100ELNS1_3gpuE3ELNS1_3repE0EEENS1_47radix_sort_onesweep_sort_config_static_selectorELNS0_4arch9wavefront6targetE0EEEvSH_.has_dyn_sized_stack, 0
	.set _ZN7rocprim17ROCPRIM_400000_NS6detail17trampoline_kernelINS0_14default_configENS1_35radix_sort_onesweep_config_selectorI6__halfNS0_10empty_typeEEEZZNS1_29radix_sort_onesweep_iterationIS3_Lb1EPKS5_PS5_PS6_SC_mNS0_19identity_decomposerENS1_16block_id_wrapperIjLb1EEEEE10hipError_tT1_PNSt15iterator_traitsISH_E10value_typeET2_T3_PNSI_ISN_E10value_typeET4_T5_PSS_ST_PNS1_23onesweep_lookback_stateEbbT6_jjT7_P12ihipStream_tbENKUlT_T0_SH_SM_E_clISB_SB_SC_SC_EEDaS10_S11_SH_SM_EUlS10_E_NS1_11comp_targetILNS1_3genE9ELNS1_11target_archE1100ELNS1_3gpuE3ELNS1_3repE0EEENS1_47radix_sort_onesweep_sort_config_static_selectorELNS0_4arch9wavefront6targetE0EEEvSH_.has_recursion, 0
	.set _ZN7rocprim17ROCPRIM_400000_NS6detail17trampoline_kernelINS0_14default_configENS1_35radix_sort_onesweep_config_selectorI6__halfNS0_10empty_typeEEEZZNS1_29radix_sort_onesweep_iterationIS3_Lb1EPKS5_PS5_PS6_SC_mNS0_19identity_decomposerENS1_16block_id_wrapperIjLb1EEEEE10hipError_tT1_PNSt15iterator_traitsISH_E10value_typeET2_T3_PNSI_ISN_E10value_typeET4_T5_PSS_ST_PNS1_23onesweep_lookback_stateEbbT6_jjT7_P12ihipStream_tbENKUlT_T0_SH_SM_E_clISB_SB_SC_SC_EEDaS10_S11_SH_SM_EUlS10_E_NS1_11comp_targetILNS1_3genE9ELNS1_11target_archE1100ELNS1_3gpuE3ELNS1_3repE0EEENS1_47radix_sort_onesweep_sort_config_static_selectorELNS0_4arch9wavefront6targetE0EEEvSH_.has_indirect_call, 0
	.section	.AMDGPU.csdata,"",@progbits
; Kernel info:
; codeLenInByte = 0
; TotalNumSgprs: 0
; NumVgprs: 0
; ScratchSize: 0
; MemoryBound: 0
; FloatMode: 240
; IeeeMode: 1
; LDSByteSize: 0 bytes/workgroup (compile time only)
; SGPRBlocks: 0
; VGPRBlocks: 0
; NumSGPRsForWavesPerEU: 1
; NumVGPRsForWavesPerEU: 1
; NamedBarCnt: 0
; Occupancy: 16
; WaveLimiterHint : 0
; COMPUTE_PGM_RSRC2:SCRATCH_EN: 0
; COMPUTE_PGM_RSRC2:USER_SGPR: 2
; COMPUTE_PGM_RSRC2:TRAP_HANDLER: 0
; COMPUTE_PGM_RSRC2:TGID_X_EN: 1
; COMPUTE_PGM_RSRC2:TGID_Y_EN: 0
; COMPUTE_PGM_RSRC2:TGID_Z_EN: 0
; COMPUTE_PGM_RSRC2:TIDIG_COMP_CNT: 0
	.section	.text._ZN7rocprim17ROCPRIM_400000_NS6detail17trampoline_kernelINS0_14default_configENS1_35radix_sort_onesweep_config_selectorI6__halfNS0_10empty_typeEEEZZNS1_29radix_sort_onesweep_iterationIS3_Lb1EPKS5_PS5_PS6_SC_mNS0_19identity_decomposerENS1_16block_id_wrapperIjLb1EEEEE10hipError_tT1_PNSt15iterator_traitsISH_E10value_typeET2_T3_PNSI_ISN_E10value_typeET4_T5_PSS_ST_PNS1_23onesweep_lookback_stateEbbT6_jjT7_P12ihipStream_tbENKUlT_T0_SH_SM_E_clISB_SB_SC_SC_EEDaS10_S11_SH_SM_EUlS10_E_NS1_11comp_targetILNS1_3genE8ELNS1_11target_archE1030ELNS1_3gpuE2ELNS1_3repE0EEENS1_47radix_sort_onesweep_sort_config_static_selectorELNS0_4arch9wavefront6targetE0EEEvSH_,"axG",@progbits,_ZN7rocprim17ROCPRIM_400000_NS6detail17trampoline_kernelINS0_14default_configENS1_35radix_sort_onesweep_config_selectorI6__halfNS0_10empty_typeEEEZZNS1_29radix_sort_onesweep_iterationIS3_Lb1EPKS5_PS5_PS6_SC_mNS0_19identity_decomposerENS1_16block_id_wrapperIjLb1EEEEE10hipError_tT1_PNSt15iterator_traitsISH_E10value_typeET2_T3_PNSI_ISN_E10value_typeET4_T5_PSS_ST_PNS1_23onesweep_lookback_stateEbbT6_jjT7_P12ihipStream_tbENKUlT_T0_SH_SM_E_clISB_SB_SC_SC_EEDaS10_S11_SH_SM_EUlS10_E_NS1_11comp_targetILNS1_3genE8ELNS1_11target_archE1030ELNS1_3gpuE2ELNS1_3repE0EEENS1_47radix_sort_onesweep_sort_config_static_selectorELNS0_4arch9wavefront6targetE0EEEvSH_,comdat
	.protected	_ZN7rocprim17ROCPRIM_400000_NS6detail17trampoline_kernelINS0_14default_configENS1_35radix_sort_onesweep_config_selectorI6__halfNS0_10empty_typeEEEZZNS1_29radix_sort_onesweep_iterationIS3_Lb1EPKS5_PS5_PS6_SC_mNS0_19identity_decomposerENS1_16block_id_wrapperIjLb1EEEEE10hipError_tT1_PNSt15iterator_traitsISH_E10value_typeET2_T3_PNSI_ISN_E10value_typeET4_T5_PSS_ST_PNS1_23onesweep_lookback_stateEbbT6_jjT7_P12ihipStream_tbENKUlT_T0_SH_SM_E_clISB_SB_SC_SC_EEDaS10_S11_SH_SM_EUlS10_E_NS1_11comp_targetILNS1_3genE8ELNS1_11target_archE1030ELNS1_3gpuE2ELNS1_3repE0EEENS1_47radix_sort_onesweep_sort_config_static_selectorELNS0_4arch9wavefront6targetE0EEEvSH_ ; -- Begin function _ZN7rocprim17ROCPRIM_400000_NS6detail17trampoline_kernelINS0_14default_configENS1_35radix_sort_onesweep_config_selectorI6__halfNS0_10empty_typeEEEZZNS1_29radix_sort_onesweep_iterationIS3_Lb1EPKS5_PS5_PS6_SC_mNS0_19identity_decomposerENS1_16block_id_wrapperIjLb1EEEEE10hipError_tT1_PNSt15iterator_traitsISH_E10value_typeET2_T3_PNSI_ISN_E10value_typeET4_T5_PSS_ST_PNS1_23onesweep_lookback_stateEbbT6_jjT7_P12ihipStream_tbENKUlT_T0_SH_SM_E_clISB_SB_SC_SC_EEDaS10_S11_SH_SM_EUlS10_E_NS1_11comp_targetILNS1_3genE8ELNS1_11target_archE1030ELNS1_3gpuE2ELNS1_3repE0EEENS1_47radix_sort_onesweep_sort_config_static_selectorELNS0_4arch9wavefront6targetE0EEEvSH_
	.globl	_ZN7rocprim17ROCPRIM_400000_NS6detail17trampoline_kernelINS0_14default_configENS1_35radix_sort_onesweep_config_selectorI6__halfNS0_10empty_typeEEEZZNS1_29radix_sort_onesweep_iterationIS3_Lb1EPKS5_PS5_PS6_SC_mNS0_19identity_decomposerENS1_16block_id_wrapperIjLb1EEEEE10hipError_tT1_PNSt15iterator_traitsISH_E10value_typeET2_T3_PNSI_ISN_E10value_typeET4_T5_PSS_ST_PNS1_23onesweep_lookback_stateEbbT6_jjT7_P12ihipStream_tbENKUlT_T0_SH_SM_E_clISB_SB_SC_SC_EEDaS10_S11_SH_SM_EUlS10_E_NS1_11comp_targetILNS1_3genE8ELNS1_11target_archE1030ELNS1_3gpuE2ELNS1_3repE0EEENS1_47radix_sort_onesweep_sort_config_static_selectorELNS0_4arch9wavefront6targetE0EEEvSH_
	.p2align	8
	.type	_ZN7rocprim17ROCPRIM_400000_NS6detail17trampoline_kernelINS0_14default_configENS1_35radix_sort_onesweep_config_selectorI6__halfNS0_10empty_typeEEEZZNS1_29radix_sort_onesweep_iterationIS3_Lb1EPKS5_PS5_PS6_SC_mNS0_19identity_decomposerENS1_16block_id_wrapperIjLb1EEEEE10hipError_tT1_PNSt15iterator_traitsISH_E10value_typeET2_T3_PNSI_ISN_E10value_typeET4_T5_PSS_ST_PNS1_23onesweep_lookback_stateEbbT6_jjT7_P12ihipStream_tbENKUlT_T0_SH_SM_E_clISB_SB_SC_SC_EEDaS10_S11_SH_SM_EUlS10_E_NS1_11comp_targetILNS1_3genE8ELNS1_11target_archE1030ELNS1_3gpuE2ELNS1_3repE0EEENS1_47radix_sort_onesweep_sort_config_static_selectorELNS0_4arch9wavefront6targetE0EEEvSH_,@function
_ZN7rocprim17ROCPRIM_400000_NS6detail17trampoline_kernelINS0_14default_configENS1_35radix_sort_onesweep_config_selectorI6__halfNS0_10empty_typeEEEZZNS1_29radix_sort_onesweep_iterationIS3_Lb1EPKS5_PS5_PS6_SC_mNS0_19identity_decomposerENS1_16block_id_wrapperIjLb1EEEEE10hipError_tT1_PNSt15iterator_traitsISH_E10value_typeET2_T3_PNSI_ISN_E10value_typeET4_T5_PSS_ST_PNS1_23onesweep_lookback_stateEbbT6_jjT7_P12ihipStream_tbENKUlT_T0_SH_SM_E_clISB_SB_SC_SC_EEDaS10_S11_SH_SM_EUlS10_E_NS1_11comp_targetILNS1_3genE8ELNS1_11target_archE1030ELNS1_3gpuE2ELNS1_3repE0EEENS1_47radix_sort_onesweep_sort_config_static_selectorELNS0_4arch9wavefront6targetE0EEEvSH_: ; @_ZN7rocprim17ROCPRIM_400000_NS6detail17trampoline_kernelINS0_14default_configENS1_35radix_sort_onesweep_config_selectorI6__halfNS0_10empty_typeEEEZZNS1_29radix_sort_onesweep_iterationIS3_Lb1EPKS5_PS5_PS6_SC_mNS0_19identity_decomposerENS1_16block_id_wrapperIjLb1EEEEE10hipError_tT1_PNSt15iterator_traitsISH_E10value_typeET2_T3_PNSI_ISN_E10value_typeET4_T5_PSS_ST_PNS1_23onesweep_lookback_stateEbbT6_jjT7_P12ihipStream_tbENKUlT_T0_SH_SM_E_clISB_SB_SC_SC_EEDaS10_S11_SH_SM_EUlS10_E_NS1_11comp_targetILNS1_3genE8ELNS1_11target_archE1030ELNS1_3gpuE2ELNS1_3repE0EEENS1_47radix_sort_onesweep_sort_config_static_selectorELNS0_4arch9wavefront6targetE0EEEvSH_
; %bb.0:
	.section	.rodata,"a",@progbits
	.p2align	6, 0x0
	.amdhsa_kernel _ZN7rocprim17ROCPRIM_400000_NS6detail17trampoline_kernelINS0_14default_configENS1_35radix_sort_onesweep_config_selectorI6__halfNS0_10empty_typeEEEZZNS1_29radix_sort_onesweep_iterationIS3_Lb1EPKS5_PS5_PS6_SC_mNS0_19identity_decomposerENS1_16block_id_wrapperIjLb1EEEEE10hipError_tT1_PNSt15iterator_traitsISH_E10value_typeET2_T3_PNSI_ISN_E10value_typeET4_T5_PSS_ST_PNS1_23onesweep_lookback_stateEbbT6_jjT7_P12ihipStream_tbENKUlT_T0_SH_SM_E_clISB_SB_SC_SC_EEDaS10_S11_SH_SM_EUlS10_E_NS1_11comp_targetILNS1_3genE8ELNS1_11target_archE1030ELNS1_3gpuE2ELNS1_3repE0EEENS1_47radix_sort_onesweep_sort_config_static_selectorELNS0_4arch9wavefront6targetE0EEEvSH_
		.amdhsa_group_segment_fixed_size 0
		.amdhsa_private_segment_fixed_size 0
		.amdhsa_kernarg_size 88
		.amdhsa_user_sgpr_count 2
		.amdhsa_user_sgpr_dispatch_ptr 0
		.amdhsa_user_sgpr_queue_ptr 0
		.amdhsa_user_sgpr_kernarg_segment_ptr 1
		.amdhsa_user_sgpr_dispatch_id 0
		.amdhsa_user_sgpr_kernarg_preload_length 0
		.amdhsa_user_sgpr_kernarg_preload_offset 0
		.amdhsa_user_sgpr_private_segment_size 0
		.amdhsa_wavefront_size32 1
		.amdhsa_uses_dynamic_stack 0
		.amdhsa_enable_private_segment 0
		.amdhsa_system_sgpr_workgroup_id_x 1
		.amdhsa_system_sgpr_workgroup_id_y 0
		.amdhsa_system_sgpr_workgroup_id_z 0
		.amdhsa_system_sgpr_workgroup_info 0
		.amdhsa_system_vgpr_workitem_id 0
		.amdhsa_next_free_vgpr 1
		.amdhsa_next_free_sgpr 1
		.amdhsa_named_barrier_count 0
		.amdhsa_reserve_vcc 0
		.amdhsa_float_round_mode_32 0
		.amdhsa_float_round_mode_16_64 0
		.amdhsa_float_denorm_mode_32 3
		.amdhsa_float_denorm_mode_16_64 3
		.amdhsa_fp16_overflow 0
		.amdhsa_memory_ordered 1
		.amdhsa_forward_progress 1
		.amdhsa_inst_pref_size 0
		.amdhsa_round_robin_scheduling 0
		.amdhsa_exception_fp_ieee_invalid_op 0
		.amdhsa_exception_fp_denorm_src 0
		.amdhsa_exception_fp_ieee_div_zero 0
		.amdhsa_exception_fp_ieee_overflow 0
		.amdhsa_exception_fp_ieee_underflow 0
		.amdhsa_exception_fp_ieee_inexact 0
		.amdhsa_exception_int_div_zero 0
	.end_amdhsa_kernel
	.section	.text._ZN7rocprim17ROCPRIM_400000_NS6detail17trampoline_kernelINS0_14default_configENS1_35radix_sort_onesweep_config_selectorI6__halfNS0_10empty_typeEEEZZNS1_29radix_sort_onesweep_iterationIS3_Lb1EPKS5_PS5_PS6_SC_mNS0_19identity_decomposerENS1_16block_id_wrapperIjLb1EEEEE10hipError_tT1_PNSt15iterator_traitsISH_E10value_typeET2_T3_PNSI_ISN_E10value_typeET4_T5_PSS_ST_PNS1_23onesweep_lookback_stateEbbT6_jjT7_P12ihipStream_tbENKUlT_T0_SH_SM_E_clISB_SB_SC_SC_EEDaS10_S11_SH_SM_EUlS10_E_NS1_11comp_targetILNS1_3genE8ELNS1_11target_archE1030ELNS1_3gpuE2ELNS1_3repE0EEENS1_47radix_sort_onesweep_sort_config_static_selectorELNS0_4arch9wavefront6targetE0EEEvSH_,"axG",@progbits,_ZN7rocprim17ROCPRIM_400000_NS6detail17trampoline_kernelINS0_14default_configENS1_35radix_sort_onesweep_config_selectorI6__halfNS0_10empty_typeEEEZZNS1_29radix_sort_onesweep_iterationIS3_Lb1EPKS5_PS5_PS6_SC_mNS0_19identity_decomposerENS1_16block_id_wrapperIjLb1EEEEE10hipError_tT1_PNSt15iterator_traitsISH_E10value_typeET2_T3_PNSI_ISN_E10value_typeET4_T5_PSS_ST_PNS1_23onesweep_lookback_stateEbbT6_jjT7_P12ihipStream_tbENKUlT_T0_SH_SM_E_clISB_SB_SC_SC_EEDaS10_S11_SH_SM_EUlS10_E_NS1_11comp_targetILNS1_3genE8ELNS1_11target_archE1030ELNS1_3gpuE2ELNS1_3repE0EEENS1_47radix_sort_onesweep_sort_config_static_selectorELNS0_4arch9wavefront6targetE0EEEvSH_,comdat
.Lfunc_end2180:
	.size	_ZN7rocprim17ROCPRIM_400000_NS6detail17trampoline_kernelINS0_14default_configENS1_35radix_sort_onesweep_config_selectorI6__halfNS0_10empty_typeEEEZZNS1_29radix_sort_onesweep_iterationIS3_Lb1EPKS5_PS5_PS6_SC_mNS0_19identity_decomposerENS1_16block_id_wrapperIjLb1EEEEE10hipError_tT1_PNSt15iterator_traitsISH_E10value_typeET2_T3_PNSI_ISN_E10value_typeET4_T5_PSS_ST_PNS1_23onesweep_lookback_stateEbbT6_jjT7_P12ihipStream_tbENKUlT_T0_SH_SM_E_clISB_SB_SC_SC_EEDaS10_S11_SH_SM_EUlS10_E_NS1_11comp_targetILNS1_3genE8ELNS1_11target_archE1030ELNS1_3gpuE2ELNS1_3repE0EEENS1_47radix_sort_onesweep_sort_config_static_selectorELNS0_4arch9wavefront6targetE0EEEvSH_, .Lfunc_end2180-_ZN7rocprim17ROCPRIM_400000_NS6detail17trampoline_kernelINS0_14default_configENS1_35radix_sort_onesweep_config_selectorI6__halfNS0_10empty_typeEEEZZNS1_29radix_sort_onesweep_iterationIS3_Lb1EPKS5_PS5_PS6_SC_mNS0_19identity_decomposerENS1_16block_id_wrapperIjLb1EEEEE10hipError_tT1_PNSt15iterator_traitsISH_E10value_typeET2_T3_PNSI_ISN_E10value_typeET4_T5_PSS_ST_PNS1_23onesweep_lookback_stateEbbT6_jjT7_P12ihipStream_tbENKUlT_T0_SH_SM_E_clISB_SB_SC_SC_EEDaS10_S11_SH_SM_EUlS10_E_NS1_11comp_targetILNS1_3genE8ELNS1_11target_archE1030ELNS1_3gpuE2ELNS1_3repE0EEENS1_47radix_sort_onesweep_sort_config_static_selectorELNS0_4arch9wavefront6targetE0EEEvSH_
                                        ; -- End function
	.set _ZN7rocprim17ROCPRIM_400000_NS6detail17trampoline_kernelINS0_14default_configENS1_35radix_sort_onesweep_config_selectorI6__halfNS0_10empty_typeEEEZZNS1_29radix_sort_onesweep_iterationIS3_Lb1EPKS5_PS5_PS6_SC_mNS0_19identity_decomposerENS1_16block_id_wrapperIjLb1EEEEE10hipError_tT1_PNSt15iterator_traitsISH_E10value_typeET2_T3_PNSI_ISN_E10value_typeET4_T5_PSS_ST_PNS1_23onesweep_lookback_stateEbbT6_jjT7_P12ihipStream_tbENKUlT_T0_SH_SM_E_clISB_SB_SC_SC_EEDaS10_S11_SH_SM_EUlS10_E_NS1_11comp_targetILNS1_3genE8ELNS1_11target_archE1030ELNS1_3gpuE2ELNS1_3repE0EEENS1_47radix_sort_onesweep_sort_config_static_selectorELNS0_4arch9wavefront6targetE0EEEvSH_.num_vgpr, 0
	.set _ZN7rocprim17ROCPRIM_400000_NS6detail17trampoline_kernelINS0_14default_configENS1_35radix_sort_onesweep_config_selectorI6__halfNS0_10empty_typeEEEZZNS1_29radix_sort_onesweep_iterationIS3_Lb1EPKS5_PS5_PS6_SC_mNS0_19identity_decomposerENS1_16block_id_wrapperIjLb1EEEEE10hipError_tT1_PNSt15iterator_traitsISH_E10value_typeET2_T3_PNSI_ISN_E10value_typeET4_T5_PSS_ST_PNS1_23onesweep_lookback_stateEbbT6_jjT7_P12ihipStream_tbENKUlT_T0_SH_SM_E_clISB_SB_SC_SC_EEDaS10_S11_SH_SM_EUlS10_E_NS1_11comp_targetILNS1_3genE8ELNS1_11target_archE1030ELNS1_3gpuE2ELNS1_3repE0EEENS1_47radix_sort_onesweep_sort_config_static_selectorELNS0_4arch9wavefront6targetE0EEEvSH_.num_agpr, 0
	.set _ZN7rocprim17ROCPRIM_400000_NS6detail17trampoline_kernelINS0_14default_configENS1_35radix_sort_onesweep_config_selectorI6__halfNS0_10empty_typeEEEZZNS1_29radix_sort_onesweep_iterationIS3_Lb1EPKS5_PS5_PS6_SC_mNS0_19identity_decomposerENS1_16block_id_wrapperIjLb1EEEEE10hipError_tT1_PNSt15iterator_traitsISH_E10value_typeET2_T3_PNSI_ISN_E10value_typeET4_T5_PSS_ST_PNS1_23onesweep_lookback_stateEbbT6_jjT7_P12ihipStream_tbENKUlT_T0_SH_SM_E_clISB_SB_SC_SC_EEDaS10_S11_SH_SM_EUlS10_E_NS1_11comp_targetILNS1_3genE8ELNS1_11target_archE1030ELNS1_3gpuE2ELNS1_3repE0EEENS1_47radix_sort_onesweep_sort_config_static_selectorELNS0_4arch9wavefront6targetE0EEEvSH_.numbered_sgpr, 0
	.set _ZN7rocprim17ROCPRIM_400000_NS6detail17trampoline_kernelINS0_14default_configENS1_35radix_sort_onesweep_config_selectorI6__halfNS0_10empty_typeEEEZZNS1_29radix_sort_onesweep_iterationIS3_Lb1EPKS5_PS5_PS6_SC_mNS0_19identity_decomposerENS1_16block_id_wrapperIjLb1EEEEE10hipError_tT1_PNSt15iterator_traitsISH_E10value_typeET2_T3_PNSI_ISN_E10value_typeET4_T5_PSS_ST_PNS1_23onesweep_lookback_stateEbbT6_jjT7_P12ihipStream_tbENKUlT_T0_SH_SM_E_clISB_SB_SC_SC_EEDaS10_S11_SH_SM_EUlS10_E_NS1_11comp_targetILNS1_3genE8ELNS1_11target_archE1030ELNS1_3gpuE2ELNS1_3repE0EEENS1_47radix_sort_onesweep_sort_config_static_selectorELNS0_4arch9wavefront6targetE0EEEvSH_.num_named_barrier, 0
	.set _ZN7rocprim17ROCPRIM_400000_NS6detail17trampoline_kernelINS0_14default_configENS1_35radix_sort_onesweep_config_selectorI6__halfNS0_10empty_typeEEEZZNS1_29radix_sort_onesweep_iterationIS3_Lb1EPKS5_PS5_PS6_SC_mNS0_19identity_decomposerENS1_16block_id_wrapperIjLb1EEEEE10hipError_tT1_PNSt15iterator_traitsISH_E10value_typeET2_T3_PNSI_ISN_E10value_typeET4_T5_PSS_ST_PNS1_23onesweep_lookback_stateEbbT6_jjT7_P12ihipStream_tbENKUlT_T0_SH_SM_E_clISB_SB_SC_SC_EEDaS10_S11_SH_SM_EUlS10_E_NS1_11comp_targetILNS1_3genE8ELNS1_11target_archE1030ELNS1_3gpuE2ELNS1_3repE0EEENS1_47radix_sort_onesweep_sort_config_static_selectorELNS0_4arch9wavefront6targetE0EEEvSH_.private_seg_size, 0
	.set _ZN7rocprim17ROCPRIM_400000_NS6detail17trampoline_kernelINS0_14default_configENS1_35radix_sort_onesweep_config_selectorI6__halfNS0_10empty_typeEEEZZNS1_29radix_sort_onesweep_iterationIS3_Lb1EPKS5_PS5_PS6_SC_mNS0_19identity_decomposerENS1_16block_id_wrapperIjLb1EEEEE10hipError_tT1_PNSt15iterator_traitsISH_E10value_typeET2_T3_PNSI_ISN_E10value_typeET4_T5_PSS_ST_PNS1_23onesweep_lookback_stateEbbT6_jjT7_P12ihipStream_tbENKUlT_T0_SH_SM_E_clISB_SB_SC_SC_EEDaS10_S11_SH_SM_EUlS10_E_NS1_11comp_targetILNS1_3genE8ELNS1_11target_archE1030ELNS1_3gpuE2ELNS1_3repE0EEENS1_47radix_sort_onesweep_sort_config_static_selectorELNS0_4arch9wavefront6targetE0EEEvSH_.uses_vcc, 0
	.set _ZN7rocprim17ROCPRIM_400000_NS6detail17trampoline_kernelINS0_14default_configENS1_35radix_sort_onesweep_config_selectorI6__halfNS0_10empty_typeEEEZZNS1_29radix_sort_onesweep_iterationIS3_Lb1EPKS5_PS5_PS6_SC_mNS0_19identity_decomposerENS1_16block_id_wrapperIjLb1EEEEE10hipError_tT1_PNSt15iterator_traitsISH_E10value_typeET2_T3_PNSI_ISN_E10value_typeET4_T5_PSS_ST_PNS1_23onesweep_lookback_stateEbbT6_jjT7_P12ihipStream_tbENKUlT_T0_SH_SM_E_clISB_SB_SC_SC_EEDaS10_S11_SH_SM_EUlS10_E_NS1_11comp_targetILNS1_3genE8ELNS1_11target_archE1030ELNS1_3gpuE2ELNS1_3repE0EEENS1_47radix_sort_onesweep_sort_config_static_selectorELNS0_4arch9wavefront6targetE0EEEvSH_.uses_flat_scratch, 0
	.set _ZN7rocprim17ROCPRIM_400000_NS6detail17trampoline_kernelINS0_14default_configENS1_35radix_sort_onesweep_config_selectorI6__halfNS0_10empty_typeEEEZZNS1_29radix_sort_onesweep_iterationIS3_Lb1EPKS5_PS5_PS6_SC_mNS0_19identity_decomposerENS1_16block_id_wrapperIjLb1EEEEE10hipError_tT1_PNSt15iterator_traitsISH_E10value_typeET2_T3_PNSI_ISN_E10value_typeET4_T5_PSS_ST_PNS1_23onesweep_lookback_stateEbbT6_jjT7_P12ihipStream_tbENKUlT_T0_SH_SM_E_clISB_SB_SC_SC_EEDaS10_S11_SH_SM_EUlS10_E_NS1_11comp_targetILNS1_3genE8ELNS1_11target_archE1030ELNS1_3gpuE2ELNS1_3repE0EEENS1_47radix_sort_onesweep_sort_config_static_selectorELNS0_4arch9wavefront6targetE0EEEvSH_.has_dyn_sized_stack, 0
	.set _ZN7rocprim17ROCPRIM_400000_NS6detail17trampoline_kernelINS0_14default_configENS1_35radix_sort_onesweep_config_selectorI6__halfNS0_10empty_typeEEEZZNS1_29radix_sort_onesweep_iterationIS3_Lb1EPKS5_PS5_PS6_SC_mNS0_19identity_decomposerENS1_16block_id_wrapperIjLb1EEEEE10hipError_tT1_PNSt15iterator_traitsISH_E10value_typeET2_T3_PNSI_ISN_E10value_typeET4_T5_PSS_ST_PNS1_23onesweep_lookback_stateEbbT6_jjT7_P12ihipStream_tbENKUlT_T0_SH_SM_E_clISB_SB_SC_SC_EEDaS10_S11_SH_SM_EUlS10_E_NS1_11comp_targetILNS1_3genE8ELNS1_11target_archE1030ELNS1_3gpuE2ELNS1_3repE0EEENS1_47radix_sort_onesweep_sort_config_static_selectorELNS0_4arch9wavefront6targetE0EEEvSH_.has_recursion, 0
	.set _ZN7rocprim17ROCPRIM_400000_NS6detail17trampoline_kernelINS0_14default_configENS1_35radix_sort_onesweep_config_selectorI6__halfNS0_10empty_typeEEEZZNS1_29radix_sort_onesweep_iterationIS3_Lb1EPKS5_PS5_PS6_SC_mNS0_19identity_decomposerENS1_16block_id_wrapperIjLb1EEEEE10hipError_tT1_PNSt15iterator_traitsISH_E10value_typeET2_T3_PNSI_ISN_E10value_typeET4_T5_PSS_ST_PNS1_23onesweep_lookback_stateEbbT6_jjT7_P12ihipStream_tbENKUlT_T0_SH_SM_E_clISB_SB_SC_SC_EEDaS10_S11_SH_SM_EUlS10_E_NS1_11comp_targetILNS1_3genE8ELNS1_11target_archE1030ELNS1_3gpuE2ELNS1_3repE0EEENS1_47radix_sort_onesweep_sort_config_static_selectorELNS0_4arch9wavefront6targetE0EEEvSH_.has_indirect_call, 0
	.section	.AMDGPU.csdata,"",@progbits
; Kernel info:
; codeLenInByte = 0
; TotalNumSgprs: 0
; NumVgprs: 0
; ScratchSize: 0
; MemoryBound: 0
; FloatMode: 240
; IeeeMode: 1
; LDSByteSize: 0 bytes/workgroup (compile time only)
; SGPRBlocks: 0
; VGPRBlocks: 0
; NumSGPRsForWavesPerEU: 1
; NumVGPRsForWavesPerEU: 1
; NamedBarCnt: 0
; Occupancy: 16
; WaveLimiterHint : 0
; COMPUTE_PGM_RSRC2:SCRATCH_EN: 0
; COMPUTE_PGM_RSRC2:USER_SGPR: 2
; COMPUTE_PGM_RSRC2:TRAP_HANDLER: 0
; COMPUTE_PGM_RSRC2:TGID_X_EN: 1
; COMPUTE_PGM_RSRC2:TGID_Y_EN: 0
; COMPUTE_PGM_RSRC2:TGID_Z_EN: 0
; COMPUTE_PGM_RSRC2:TIDIG_COMP_CNT: 0
	.section	.text._ZN7rocprim17ROCPRIM_400000_NS6detail17trampoline_kernelINS0_14default_configENS1_35radix_sort_onesweep_config_selectorI6__halfNS0_10empty_typeEEEZZNS1_29radix_sort_onesweep_iterationIS3_Lb1EPKS5_PS5_PS6_SC_mNS0_19identity_decomposerENS1_16block_id_wrapperIjLb0EEEEE10hipError_tT1_PNSt15iterator_traitsISH_E10value_typeET2_T3_PNSI_ISN_E10value_typeET4_T5_PSS_ST_PNS1_23onesweep_lookback_stateEbbT6_jjT7_P12ihipStream_tbENKUlT_T0_SH_SM_E_clISA_SB_SC_SC_EEDaS10_S11_SH_SM_EUlS10_E_NS1_11comp_targetILNS1_3genE0ELNS1_11target_archE4294967295ELNS1_3gpuE0ELNS1_3repE0EEENS1_47radix_sort_onesweep_sort_config_static_selectorELNS0_4arch9wavefront6targetE0EEEvSH_,"axG",@progbits,_ZN7rocprim17ROCPRIM_400000_NS6detail17trampoline_kernelINS0_14default_configENS1_35radix_sort_onesweep_config_selectorI6__halfNS0_10empty_typeEEEZZNS1_29radix_sort_onesweep_iterationIS3_Lb1EPKS5_PS5_PS6_SC_mNS0_19identity_decomposerENS1_16block_id_wrapperIjLb0EEEEE10hipError_tT1_PNSt15iterator_traitsISH_E10value_typeET2_T3_PNSI_ISN_E10value_typeET4_T5_PSS_ST_PNS1_23onesweep_lookback_stateEbbT6_jjT7_P12ihipStream_tbENKUlT_T0_SH_SM_E_clISA_SB_SC_SC_EEDaS10_S11_SH_SM_EUlS10_E_NS1_11comp_targetILNS1_3genE0ELNS1_11target_archE4294967295ELNS1_3gpuE0ELNS1_3repE0EEENS1_47radix_sort_onesweep_sort_config_static_selectorELNS0_4arch9wavefront6targetE0EEEvSH_,comdat
	.protected	_ZN7rocprim17ROCPRIM_400000_NS6detail17trampoline_kernelINS0_14default_configENS1_35radix_sort_onesweep_config_selectorI6__halfNS0_10empty_typeEEEZZNS1_29radix_sort_onesweep_iterationIS3_Lb1EPKS5_PS5_PS6_SC_mNS0_19identity_decomposerENS1_16block_id_wrapperIjLb0EEEEE10hipError_tT1_PNSt15iterator_traitsISH_E10value_typeET2_T3_PNSI_ISN_E10value_typeET4_T5_PSS_ST_PNS1_23onesweep_lookback_stateEbbT6_jjT7_P12ihipStream_tbENKUlT_T0_SH_SM_E_clISA_SB_SC_SC_EEDaS10_S11_SH_SM_EUlS10_E_NS1_11comp_targetILNS1_3genE0ELNS1_11target_archE4294967295ELNS1_3gpuE0ELNS1_3repE0EEENS1_47radix_sort_onesweep_sort_config_static_selectorELNS0_4arch9wavefront6targetE0EEEvSH_ ; -- Begin function _ZN7rocprim17ROCPRIM_400000_NS6detail17trampoline_kernelINS0_14default_configENS1_35radix_sort_onesweep_config_selectorI6__halfNS0_10empty_typeEEEZZNS1_29radix_sort_onesweep_iterationIS3_Lb1EPKS5_PS5_PS6_SC_mNS0_19identity_decomposerENS1_16block_id_wrapperIjLb0EEEEE10hipError_tT1_PNSt15iterator_traitsISH_E10value_typeET2_T3_PNSI_ISN_E10value_typeET4_T5_PSS_ST_PNS1_23onesweep_lookback_stateEbbT6_jjT7_P12ihipStream_tbENKUlT_T0_SH_SM_E_clISA_SB_SC_SC_EEDaS10_S11_SH_SM_EUlS10_E_NS1_11comp_targetILNS1_3genE0ELNS1_11target_archE4294967295ELNS1_3gpuE0ELNS1_3repE0EEENS1_47radix_sort_onesweep_sort_config_static_selectorELNS0_4arch9wavefront6targetE0EEEvSH_
	.globl	_ZN7rocprim17ROCPRIM_400000_NS6detail17trampoline_kernelINS0_14default_configENS1_35radix_sort_onesweep_config_selectorI6__halfNS0_10empty_typeEEEZZNS1_29radix_sort_onesweep_iterationIS3_Lb1EPKS5_PS5_PS6_SC_mNS0_19identity_decomposerENS1_16block_id_wrapperIjLb0EEEEE10hipError_tT1_PNSt15iterator_traitsISH_E10value_typeET2_T3_PNSI_ISN_E10value_typeET4_T5_PSS_ST_PNS1_23onesweep_lookback_stateEbbT6_jjT7_P12ihipStream_tbENKUlT_T0_SH_SM_E_clISA_SB_SC_SC_EEDaS10_S11_SH_SM_EUlS10_E_NS1_11comp_targetILNS1_3genE0ELNS1_11target_archE4294967295ELNS1_3gpuE0ELNS1_3repE0EEENS1_47radix_sort_onesweep_sort_config_static_selectorELNS0_4arch9wavefront6targetE0EEEvSH_
	.p2align	8
	.type	_ZN7rocprim17ROCPRIM_400000_NS6detail17trampoline_kernelINS0_14default_configENS1_35radix_sort_onesweep_config_selectorI6__halfNS0_10empty_typeEEEZZNS1_29radix_sort_onesweep_iterationIS3_Lb1EPKS5_PS5_PS6_SC_mNS0_19identity_decomposerENS1_16block_id_wrapperIjLb0EEEEE10hipError_tT1_PNSt15iterator_traitsISH_E10value_typeET2_T3_PNSI_ISN_E10value_typeET4_T5_PSS_ST_PNS1_23onesweep_lookback_stateEbbT6_jjT7_P12ihipStream_tbENKUlT_T0_SH_SM_E_clISA_SB_SC_SC_EEDaS10_S11_SH_SM_EUlS10_E_NS1_11comp_targetILNS1_3genE0ELNS1_11target_archE4294967295ELNS1_3gpuE0ELNS1_3repE0EEENS1_47radix_sort_onesweep_sort_config_static_selectorELNS0_4arch9wavefront6targetE0EEEvSH_,@function
_ZN7rocprim17ROCPRIM_400000_NS6detail17trampoline_kernelINS0_14default_configENS1_35radix_sort_onesweep_config_selectorI6__halfNS0_10empty_typeEEEZZNS1_29radix_sort_onesweep_iterationIS3_Lb1EPKS5_PS5_PS6_SC_mNS0_19identity_decomposerENS1_16block_id_wrapperIjLb0EEEEE10hipError_tT1_PNSt15iterator_traitsISH_E10value_typeET2_T3_PNSI_ISN_E10value_typeET4_T5_PSS_ST_PNS1_23onesweep_lookback_stateEbbT6_jjT7_P12ihipStream_tbENKUlT_T0_SH_SM_E_clISA_SB_SC_SC_EEDaS10_S11_SH_SM_EUlS10_E_NS1_11comp_targetILNS1_3genE0ELNS1_11target_archE4294967295ELNS1_3gpuE0ELNS1_3repE0EEENS1_47radix_sort_onesweep_sort_config_static_selectorELNS0_4arch9wavefront6targetE0EEEvSH_: ; @_ZN7rocprim17ROCPRIM_400000_NS6detail17trampoline_kernelINS0_14default_configENS1_35radix_sort_onesweep_config_selectorI6__halfNS0_10empty_typeEEEZZNS1_29radix_sort_onesweep_iterationIS3_Lb1EPKS5_PS5_PS6_SC_mNS0_19identity_decomposerENS1_16block_id_wrapperIjLb0EEEEE10hipError_tT1_PNSt15iterator_traitsISH_E10value_typeET2_T3_PNSI_ISN_E10value_typeET4_T5_PSS_ST_PNS1_23onesweep_lookback_stateEbbT6_jjT7_P12ihipStream_tbENKUlT_T0_SH_SM_E_clISA_SB_SC_SC_EEDaS10_S11_SH_SM_EUlS10_E_NS1_11comp_targetILNS1_3genE0ELNS1_11target_archE4294967295ELNS1_3gpuE0ELNS1_3repE0EEENS1_47radix_sort_onesweep_sort_config_static_selectorELNS0_4arch9wavefront6targetE0EEEvSH_
; %bb.0:
	s_clause 0x3
	s_load_b96 s[20:22], s[0:1], 0x44
	s_load_b64 s[10:11], s[0:1], 0x38
	s_load_b128 s[16:19], s[0:1], 0x0
	s_load_b128 s[12:15], s[0:1], 0x28
	s_bfe_u32 s2, ttmp6, 0x4000c
	s_and_b32 s3, ttmp6, 15
	s_add_co_i32 s2, s2, 1
	s_getreg_b32 s4, hwreg(HW_REG_IB_STS2, 6, 4)
	s_mul_i32 s5, ttmp9, s2
	v_mbcnt_lo_u32_b32 v14, -1, 0
	s_add_co_i32 s3, s3, s5
	s_cmp_eq_u32 s4, 0
	v_and_b32_e32 v15, 0x1e0, v0
	s_cselect_b32 s9, ttmp9, s3
	s_mov_b32 s25, 0
	s_mov_b32 s2, -1
	s_mul_i32 s24, s9, 0x1800
	s_add_nc_u64 s[26:27], s[0:1], 0x58
	s_wait_kmcnt 0x0
	s_cmp_ge_u32 s9, s22
	s_cbranch_scc0 .LBB2181_96
; %bb.1:
	s_load_b32 s4, s[0:1], 0x20
	v_dual_mov_b32 v3, 0 :: v_dual_lshlrev_b32 v2, 1, v14
	s_lshl_b64 s[2:3], s[24:25], 1
	v_mul_u32_u24_e32 v1, 12, v15
	s_add_nc_u64 s[2:3], s[16:17], s[2:3]
	v_dual_mov_b32 v12, -1 :: v_dual_mov_b32 v10, -1
	v_add_nc_u64_e32 v[4:5], s[2:3], v[2:3]
	s_delay_alu instid0(VALU_DEP_3) | instskip(SKIP_1) | instid1(VALU_DEP_1)
	v_dual_lshlrev_b32 v2, 1, v1 :: v_dual_bitop2_b32 v1, v14, v1 bitop3:0x54
	s_mul_i32 s2, s22, 0xffffe800
	v_add_nc_u64_e32 v[2:3], v[4:5], v[2:3]
	s_wait_kmcnt 0x0
	s_add_co_i32 s22, s4, s2
	s_mov_b32 s2, exec_lo
	v_cmpx_gt_u32_e64 s22, v1
	s_cbranch_execz .LBB2181_3
; %bb.2:
	global_load_u16 v10, v[2:3], off
.LBB2181_3:
	s_wait_xcnt 0x0
	s_or_b32 exec_lo, exec_lo, s2
	v_or_b32_e32 v4, 32, v1
	s_mov_b32 s2, exec_lo
	s_delay_alu instid0(VALU_DEP_1)
	v_cmpx_gt_u32_e64 s22, v4
	s_cbranch_execz .LBB2181_5
; %bb.4:
	global_load_u16 v12, v[2:3], off offset:64
.LBB2181_5:
	s_wait_xcnt 0x0
	s_or_b32 exec_lo, exec_lo, s2
	v_dual_mov_b32 v21, -1 :: v_dual_bitop2_b32 v4, 64, v1 bitop3:0x54
	v_mov_b32_e32 v17, -1
	s_mov_b32 s2, exec_lo
	s_delay_alu instid0(VALU_DEP_2)
	v_cmpx_gt_u32_e64 s22, v4
	s_cbranch_execz .LBB2181_7
; %bb.6:
	global_load_u16 v17, v[2:3], off offset:128
.LBB2181_7:
	s_wait_xcnt 0x0
	s_or_b32 exec_lo, exec_lo, s2
	v_or_b32_e32 v4, 0x60, v1
	s_mov_b32 s2, exec_lo
	s_delay_alu instid0(VALU_DEP_1)
	v_cmpx_gt_u32_e64 s22, v4
	s_cbranch_execz .LBB2181_9
; %bb.8:
	global_load_u16 v21, v[2:3], off offset:192
.LBB2181_9:
	s_wait_xcnt 0x0
	s_or_b32 exec_lo, exec_lo, s2
	v_dual_mov_b32 v25, -1 :: v_dual_add_nc_u32 v4, 0x80, v1
	v_mov_b32_e32 v30, -1
	s_mov_b32 s2, exec_lo
	s_delay_alu instid0(VALU_DEP_2)
	v_cmpx_gt_u32_e64 s22, v4
	s_cbranch_execz .LBB2181_11
; %bb.10:
	global_load_u16 v25, v[2:3], off offset:256
.LBB2181_11:
	s_wait_xcnt 0x0
	s_or_b32 exec_lo, exec_lo, s2
	v_add_nc_u32_e32 v4, 0xa0, v1
	s_mov_b32 s2, exec_lo
	s_delay_alu instid0(VALU_DEP_1)
	v_cmpx_gt_u32_e64 s22, v4
	s_cbranch_execz .LBB2181_13
; %bb.12:
	global_load_u16 v30, v[2:3], off offset:320
.LBB2181_13:
	s_wait_xcnt 0x0
	s_or_b32 exec_lo, exec_lo, s2
	v_dual_mov_b32 v9, -1 :: v_dual_add_nc_u32 v4, 0xc0, v1
	v_mov_b32_e32 v8, -1
	s_mov_b32 s2, exec_lo
	s_delay_alu instid0(VALU_DEP_2)
	v_cmpx_gt_u32_e64 s22, v4
	s_cbranch_execz .LBB2181_15
; %bb.14:
	global_load_u16 v9, v[2:3], off offset:384
.LBB2181_15:
	s_wait_xcnt 0x0
	s_or_b32 exec_lo, exec_lo, s2
	v_add_nc_u32_e32 v4, 0xe0, v1
	;; [unrolled: 21-line block ×3, first 2 shown]
	s_mov_b32 s2, exec_lo
	s_delay_alu instid0(VALU_DEP_1)
	v_cmpx_gt_u32_e64 s22, v4
	s_cbranch_execz .LBB2181_21
; %bb.20:
	global_load_u16 v6, v[2:3], off offset:576
.LBB2181_21:
	s_wait_xcnt 0x0
	s_or_b32 exec_lo, exec_lo, s2
	v_dual_mov_b32 v4, -1 :: v_dual_add_nc_u32 v5, 0x140, v1
	s_delay_alu instid0(VALU_DEP_1)
	v_cmp_gt_u32_e32 vcc_lo, s22, v5
	v_mov_b32_e32 v5, -1
	s_and_saveexec_b32 s2, vcc_lo
	s_cbranch_execz .LBB2181_23
; %bb.22:
	global_load_u16 v5, v[2:3], off offset:640
.LBB2181_23:
	s_wait_xcnt 0x0
	s_or_b32 exec_lo, exec_lo, s2
	v_add_nc_u32_e32 v11, 0x160, v1
	v_and_b32_e32 v1, 0x3ff, v0
	s_mov_b32 s2, exec_lo
	s_delay_alu instid0(VALU_DEP_2)
	v_cmpx_gt_u32_e64 s22, v11
	s_cbranch_execz .LBB2181_25
; %bb.24:
	global_load_u16 v4, v[2:3], off offset:704
.LBB2181_25:
	s_wait_xcnt 0x0
	s_or_b32 exec_lo, exec_lo, s2
	s_wait_loadcnt 0x0
	v_cmp_gt_i16_e32 vcc_lo, 0, v10
	s_clause 0x1
	s_load_b32 s23, s[0:1], 0x58
	s_load_u16 s4, s[0:1], 0x66
	v_bfe_u32 v3, v0, 10, 10
	v_bfe_u32 v11, v0, 20, 10
	s_mov_b32 s3, 0
	v_cndmask_b32_e64 v2, 0x7fff, 0, vcc_lo
	s_delay_alu instid0(VALU_DEP_1) | instskip(NEXT) | instid1(VALU_DEP_1)
	v_xor_b32_e32 v10, v2, v10
	v_cmp_ne_u16_e32 vcc_lo, 0x8000, v10
	s_wait_kmcnt 0x0
	s_cmp_lt_u32 s9, s23
	v_cndmask_b32_e32 v2, 0x7fff, v10, vcc_lo
	s_cselect_b32 s2, 12, 18
	s_lshl_b32 s7, -1, s21
	v_mad_u32_u24 v3, v11, s4, v3
	s_add_nc_u64 s[2:3], s[26:27], s[2:3]
	v_and_b32_e32 v2, 0xffff, v2
	s_load_u16 s8, s[2:3], 0x0
	s_not_b32 s25, s7
	s_delay_alu instid0(VALU_DEP_1) | instskip(NEXT) | instid1(VALU_DEP_1)
	v_lshrrev_b32_e32 v2, s20, v2
	v_bitop3_b32 v16, v2, s7, v2 bitop3:0x30
	s_delay_alu instid0(VALU_DEP_1) | instskip(SKIP_4) | instid1(VALU_DEP_3)
	v_lshlrev_b32_e32 v18, 29, v16
	v_bitop3_b32 v11, v2, 1, s7 bitop3:0x40
	v_dual_lshlrev_b32 v13, 30, v16 :: v_dual_lshlrev_b32 v19, 28, v16
	v_dual_lshlrev_b32 v20, 27, v16 :: v_dual_lshlrev_b32 v22, 26, v16
	s_wait_xcnt 0x0
	v_add_co_u32 v2, s2, v11, -1
	s_delay_alu instid0(VALU_DEP_1) | instskip(SKIP_3) | instid1(VALU_DEP_4)
	v_cndmask_b32_e64 v11, 0, 1, s2
	v_cmp_gt_i32_e64 s2, 0, v13
	v_cmp_gt_i32_e64 s3, 0, v18
	v_dual_lshlrev_b32 v23, 25, v16 :: v_dual_lshlrev_b32 v24, 24, v16
	v_cmp_ne_u32_e32 vcc_lo, 0, v11
	v_not_b32_e32 v11, v13
	v_not_b32_e32 v13, v18
	;; [unrolled: 1-line block ×3, first 2 shown]
	v_cmp_gt_i32_e64 s4, 0, v19
	v_cmp_gt_i32_e64 s5, 0, v20
	v_dual_ashrrev_i32 v11, 31, v11 :: v_dual_bitop2_b32 v2, vcc_lo, v2 bitop3:0x14
	v_not_b32_e32 v19, v20
	v_not_b32_e32 v20, v22
	v_dual_ashrrev_i32 v13, 31, v13 :: v_dual_ashrrev_i32 v18, 31, v18
	s_delay_alu instid0(VALU_DEP_4) | instskip(SKIP_1) | instid1(VALU_DEP_3)
	v_xor_b32_e32 v11, s2, v11
	v_cmp_gt_i32_e64 s6, 0, v22
	v_dual_ashrrev_i32 v19, 31, v19 :: v_dual_bitop2_b32 v13, s3, v13 bitop3:0x14
	v_ashrrev_i32_e32 v20, 31, v20
	s_delay_alu instid0(VALU_DEP_4)
	v_bitop3_b32 v2, v2, v11, exec_lo bitop3:0x80
	v_not_b32_e32 v11, v23
	v_xor_b32_e32 v18, s4, v18
	v_not_b32_e32 v22, v24
	v_xor_b32_e32 v19, s5, v19
	v_xor_b32_e32 v20, s6, v20
	v_cmp_gt_i32_e32 vcc_lo, 0, v23
	v_ashrrev_i32_e32 v11, 31, v11
	v_bitop3_b32 v2, v2, v18, v13 bitop3:0x80
	v_cmp_gt_i32_e64 s2, 0, v24
	v_ashrrev_i32_e32 v13, 31, v22
	s_wait_kmcnt 0x0
	v_mad_u32 v22, v3, s8, v1
	v_mov_b32_e32 v18, 0
	v_bitop3_b32 v2, v2, v20, v19 bitop3:0x80
	v_xor_b32_e32 v3, vcc_lo, v11
	v_xor_b32_e32 v11, s2, v13
	v_mul_u32_u24_e32 v13, 36, v1
	ds_store_2addr_b32 v13, v18, v18 offset0:16 offset1:17
	ds_store_2addr_b32 v13, v18, v18 offset0:18 offset1:19
	;; [unrolled: 1-line block ×4, first 2 shown]
	v_bitop3_b32 v3, v2, v11, v3 bitop3:0x80
	v_lshrrev_b32_e32 v2, 5, v22
	ds_store_b32 v13, v18 offset:96
	s_wait_dscnt 0x0
	s_barrier_signal -1
	v_mbcnt_lo_u32_b32 v11, v3, 0
	v_lshlrev_b32_e32 v2, 2, v2
	v_cmp_ne_u32_e64 s2, 0, v3
	s_barrier_wait -1
	s_delay_alu instid0(VALU_DEP_3) | instskip(NEXT) | instid1(VALU_DEP_3)
	v_cmp_eq_u32_e32 vcc_lo, 0, v11
	v_mad_u32_u24 v16, 0x44, v16, v2
	; wave barrier
	s_and_b32 s3, s2, vcc_lo
	s_delay_alu instid0(SALU_CYCLE_1)
	s_and_saveexec_b32 s2, s3
; %bb.26:
	v_bcnt_u32_b32 v3, v3, 0
	ds_store_b32 v16, v3 offset:64
; %bb.27:
	s_or_b32 exec_lo, exec_lo, s2
	v_cmp_gt_i16_e32 vcc_lo, 0, v12
	; wave barrier
	v_cndmask_b32_e64 v3, 0x7fff, 0, vcc_lo
	s_delay_alu instid0(VALU_DEP_1) | instskip(NEXT) | instid1(VALU_DEP_1)
	v_xor_b32_e32 v12, v3, v12
	v_cmp_ne_u16_e32 vcc_lo, 0x8000, v12
	v_cndmask_b32_e32 v3, 0x7fff, v12, vcc_lo
	s_delay_alu instid0(VALU_DEP_1) | instskip(NEXT) | instid1(VALU_DEP_1)
	v_and_b32_e32 v3, 0xffff, v3
	v_lshrrev_b32_e32 v3, s20, v3
	s_delay_alu instid0(VALU_DEP_1) | instskip(SKIP_1) | instid1(VALU_DEP_2)
	v_bitop3_b32 v18, v3, 1, s25 bitop3:0x80
	v_and_b32_e32 v3, s25, v3
	v_add_co_u32 v18, s2, v18, -1
	s_delay_alu instid0(VALU_DEP_1) | instskip(NEXT) | instid1(VALU_DEP_3)
	v_cndmask_b32_e64 v19, 0, 1, s2
	v_dual_lshlrev_b32 v20, 30, v3 :: v_dual_lshlrev_b32 v22, 29, v3
	s_delay_alu instid0(VALU_DEP_2) | instskip(NEXT) | instid1(VALU_DEP_2)
	v_cmp_ne_u32_e32 vcc_lo, 0, v19
	v_cmp_gt_i32_e64 s2, 0, v20
	v_not_b32_e32 v19, v20
	s_delay_alu instid0(VALU_DEP_4) | instskip(SKIP_1) | instid1(VALU_DEP_2)
	v_not_b32_e32 v20, v22
	v_cmp_gt_i32_e64 s3, 0, v22
	v_dual_ashrrev_i32 v20, 31, v20 :: v_dual_bitop2_b32 v18, vcc_lo, v18 bitop3:0x14
	v_dual_lshlrev_b32 v23, 28, v3 :: v_dual_lshlrev_b32 v24, 27, v3
	v_dual_lshlrev_b32 v26, 26, v3 :: v_dual_lshlrev_b32 v27, 25, v3
	v_lshlrev_b32_e32 v28, 24, v3
	s_delay_alu instid0(VALU_DEP_3) | instskip(SKIP_4) | instid1(VALU_DEP_4)
	v_cmp_gt_i32_e64 s4, 0, v23
	v_not_b32_e32 v22, v23
	v_cmp_gt_i32_e64 s5, 0, v24
	v_not_b32_e32 v23, v24
	v_not_b32_e32 v24, v26
	v_dual_ashrrev_i32 v19, 31, v19 :: v_dual_ashrrev_i32 v22, 31, v22
	v_cmp_gt_i32_e64 s6, 0, v26
	v_cmp_gt_i32_e64 s7, 0, v27
	s_delay_alu instid0(VALU_DEP_3)
	v_dual_ashrrev_i32 v24, 31, v24 :: v_dual_bitop2_b32 v19, s2, v19 bitop3:0x14
	v_not_b32_e32 v26, v27
	v_not_b32_e32 v27, v28
	v_dual_ashrrev_i32 v23, 31, v23 :: v_dual_bitop2_b32 v20, s3, v20 bitop3:0x14
	v_xor_b32_e32 v22, s4, v22
	v_bitop3_b32 v18, v18, v19, exec_lo bitop3:0x80
	v_cmp_gt_i32_e64 s8, 0, v28
	s_delay_alu instid0(VALU_DEP_4) | instskip(SKIP_1) | instid1(VALU_DEP_4)
	v_dual_ashrrev_i32 v19, 31, v26 :: v_dual_bitop2_b32 v23, s5, v23 bitop3:0x14
	v_dual_ashrrev_i32 v26, 31, v27 :: v_dual_bitop2_b32 v24, s6, v24 bitop3:0x14
	v_bitop3_b32 v18, v18, v22, v20 bitop3:0x80
	v_mad_u32_u24 v20, 0x44, v3, v2
	s_delay_alu instid0(VALU_DEP_4) | instskip(NEXT) | instid1(VALU_DEP_4)
	v_xor_b32_e32 v3, s7, v19
	v_xor_b32_e32 v19, s8, v26
	s_delay_alu instid0(VALU_DEP_4) | instskip(SKIP_2) | instid1(VALU_DEP_1)
	v_bitop3_b32 v22, v18, v24, v23 bitop3:0x80
	ds_load_b32 v18, v20 offset:64
	; wave barrier
	v_bitop3_b32 v3, v22, v19, v3 bitop3:0x80
	v_mbcnt_lo_u32_b32 v19, v3, 0
	v_cmp_ne_u32_e64 s2, 0, v3
	s_delay_alu instid0(VALU_DEP_2) | instskip(SKIP_1) | instid1(SALU_CYCLE_1)
	v_cmp_eq_u32_e32 vcc_lo, 0, v19
	s_and_b32 s3, s2, vcc_lo
	s_and_saveexec_b32 s2, s3
	s_cbranch_execz .LBB2181_29
; %bb.28:
	s_wait_dscnt 0x0
	v_bcnt_u32_b32 v3, v3, v18
	ds_store_b32 v20, v3 offset:64
.LBB2181_29:
	s_or_b32 exec_lo, exec_lo, s2
	v_cmp_gt_i16_e32 vcc_lo, 0, v17
	; wave barrier
	v_cndmask_b32_e64 v3, 0x7fff, 0, vcc_lo
	s_delay_alu instid0(VALU_DEP_1) | instskip(NEXT) | instid1(VALU_DEP_1)
	v_xor_b32_e32 v17, v3, v17
	v_cmp_ne_u16_e32 vcc_lo, 0x8000, v17
	v_cndmask_b32_e32 v3, 0x7fff, v17, vcc_lo
	s_delay_alu instid0(VALU_DEP_1) | instskip(NEXT) | instid1(VALU_DEP_1)
	v_and_b32_e32 v3, 0xffff, v3
	v_lshrrev_b32_e32 v3, s20, v3
	s_delay_alu instid0(VALU_DEP_1) | instskip(SKIP_1) | instid1(VALU_DEP_2)
	v_bitop3_b32 v22, v3, 1, s25 bitop3:0x80
	v_and_b32_e32 v3, s25, v3
	v_add_co_u32 v22, s2, v22, -1
	s_delay_alu instid0(VALU_DEP_1) | instskip(NEXT) | instid1(VALU_DEP_3)
	v_cndmask_b32_e64 v23, 0, 1, s2
	v_dual_lshlrev_b32 v24, 30, v3 :: v_dual_lshlrev_b32 v26, 29, v3
	v_lshlrev_b32_e32 v27, 28, v3
	s_delay_alu instid0(VALU_DEP_3) | instskip(NEXT) | instid1(VALU_DEP_3)
	v_cmp_ne_u32_e32 vcc_lo, 0, v23
	v_cmp_gt_i32_e64 s2, 0, v24
	v_not_b32_e32 v23, v24
	v_cmp_gt_i32_e64 s3, 0, v26
	v_not_b32_e32 v24, v26
	v_not_b32_e32 v26, v27
	s_delay_alu instid0(VALU_DEP_2) | instskip(NEXT) | instid1(VALU_DEP_2)
	v_dual_ashrrev_i32 v24, 31, v24 :: v_dual_bitop2_b32 v22, vcc_lo, v22 bitop3:0x14
	v_dual_ashrrev_i32 v26, 31, v26 :: v_dual_lshlrev_b32 v28, 27, v3
	v_dual_lshlrev_b32 v29, 26, v3 :: v_dual_lshlrev_b32 v31, 25, v3
	v_cmp_gt_i32_e64 s4, 0, v27
	v_lshlrev_b32_e32 v32, 24, v3
	s_delay_alu instid0(VALU_DEP_4)
	v_cmp_gt_i32_e64 s5, 0, v28
	v_not_b32_e32 v27, v28
	v_not_b32_e32 v28, v29
	v_ashrrev_i32_e32 v23, 31, v23
	v_cmp_gt_i32_e64 s6, 0, v29
	v_cmp_gt_i32_e64 s7, 0, v31
	v_not_b32_e32 v29, v31
	s_delay_alu instid0(VALU_DEP_4) | instskip(SKIP_3) | instid1(VALU_DEP_4)
	v_dual_ashrrev_i32 v28, 31, v28 :: v_dual_bitop2_b32 v23, s2, v23 bitop3:0x14
	v_not_b32_e32 v31, v32
	v_dual_ashrrev_i32 v27, 31, v27 :: v_dual_bitop2_b32 v24, s3, v24 bitop3:0x14
	v_xor_b32_e32 v26, s4, v26
	v_bitop3_b32 v22, v22, v23, exec_lo bitop3:0x80
	v_cmp_gt_i32_e64 s8, 0, v32
	v_dual_ashrrev_i32 v23, 31, v29 :: v_dual_ashrrev_i32 v29, 31, v31
	v_xor_b32_e32 v28, s6, v28
	v_xor_b32_e32 v27, s5, v27
	v_bitop3_b32 v22, v22, v26, v24 bitop3:0x80
	v_mad_u32_u24 v24, 0x44, v3, v2
	v_xor_b32_e32 v3, s7, v23
	v_xor_b32_e32 v23, s8, v29
	s_delay_alu instid0(VALU_DEP_4) | instskip(SKIP_2) | instid1(VALU_DEP_1)
	v_bitop3_b32 v26, v22, v28, v27 bitop3:0x80
	ds_load_b32 v22, v24 offset:64
	; wave barrier
	v_bitop3_b32 v3, v26, v23, v3 bitop3:0x80
	v_mbcnt_lo_u32_b32 v23, v3, 0
	v_cmp_ne_u32_e64 s2, 0, v3
	s_delay_alu instid0(VALU_DEP_2) | instskip(SKIP_1) | instid1(SALU_CYCLE_1)
	v_cmp_eq_u32_e32 vcc_lo, 0, v23
	s_and_b32 s3, s2, vcc_lo
	s_and_saveexec_b32 s2, s3
	s_cbranch_execz .LBB2181_31
; %bb.30:
	s_wait_dscnt 0x0
	v_bcnt_u32_b32 v3, v3, v22
	ds_store_b32 v24, v3 offset:64
.LBB2181_31:
	s_or_b32 exec_lo, exec_lo, s2
	v_cmp_gt_i16_e32 vcc_lo, 0, v21
	; wave barrier
	v_cndmask_b32_e64 v3, 0x7fff, 0, vcc_lo
	s_delay_alu instid0(VALU_DEP_1) | instskip(NEXT) | instid1(VALU_DEP_1)
	v_xor_b32_e32 v21, v3, v21
	v_cmp_ne_u16_e32 vcc_lo, 0x8000, v21
	v_cndmask_b32_e32 v3, 0x7fff, v21, vcc_lo
	s_delay_alu instid0(VALU_DEP_1) | instskip(NEXT) | instid1(VALU_DEP_1)
	v_and_b32_e32 v3, 0xffff, v3
	v_lshrrev_b32_e32 v3, s20, v3
	s_delay_alu instid0(VALU_DEP_1) | instskip(SKIP_1) | instid1(VALU_DEP_2)
	v_bitop3_b32 v26, v3, 1, s25 bitop3:0x80
	v_and_b32_e32 v3, s25, v3
	v_add_co_u32 v26, s2, v26, -1
	s_delay_alu instid0(VALU_DEP_1) | instskip(NEXT) | instid1(VALU_DEP_3)
	v_cndmask_b32_e64 v27, 0, 1, s2
	v_dual_lshlrev_b32 v28, 30, v3 :: v_dual_lshlrev_b32 v29, 29, v3
	v_lshlrev_b32_e32 v31, 28, v3
	s_delay_alu instid0(VALU_DEP_3) | instskip(NEXT) | instid1(VALU_DEP_3)
	v_cmp_ne_u32_e32 vcc_lo, 0, v27
	v_cmp_gt_i32_e64 s2, 0, v28
	v_not_b32_e32 v27, v28
	v_cmp_gt_i32_e64 s3, 0, v29
	v_not_b32_e32 v28, v29
	v_not_b32_e32 v29, v31
	s_delay_alu instid0(VALU_DEP_2) | instskip(NEXT) | instid1(VALU_DEP_2)
	v_dual_ashrrev_i32 v28, 31, v28 :: v_dual_bitop2_b32 v26, vcc_lo, v26 bitop3:0x14
	v_dual_ashrrev_i32 v29, 31, v29 :: v_dual_lshlrev_b32 v32, 27, v3
	v_dual_lshlrev_b32 v33, 26, v3 :: v_dual_lshlrev_b32 v34, 25, v3
	v_lshlrev_b32_e32 v35, 24, v3
	v_cmp_gt_i32_e64 s4, 0, v31
	s_delay_alu instid0(VALU_DEP_4)
	v_cmp_gt_i32_e64 s5, 0, v32
	v_not_b32_e32 v31, v32
	v_not_b32_e32 v32, v33
	v_ashrrev_i32_e32 v27, 31, v27
	v_cmp_gt_i32_e64 s6, 0, v33
	v_cmp_gt_i32_e64 s7, 0, v34
	v_not_b32_e32 v33, v34
	v_not_b32_e32 v34, v35
	v_dual_ashrrev_i32 v32, 31, v32 :: v_dual_bitop2_b32 v27, s2, v27 bitop3:0x14
	v_dual_ashrrev_i32 v31, 31, v31 :: v_dual_bitop2_b32 v28, s3, v28 bitop3:0x14
	v_xor_b32_e32 v29, s4, v29
	v_cmp_gt_i32_e64 s8, 0, v35
	s_delay_alu instid0(VALU_DEP_4) | instskip(NEXT) | instid1(VALU_DEP_4)
	v_bitop3_b32 v26, v26, v27, exec_lo bitop3:0x80
	v_dual_ashrrev_i32 v27, 31, v33 :: v_dual_bitop2_b32 v31, s5, v31 bitop3:0x14
	v_dual_ashrrev_i32 v33, 31, v34 :: v_dual_bitop2_b32 v32, s6, v32 bitop3:0x14
	s_delay_alu instid0(VALU_DEP_3) | instskip(SKIP_1) | instid1(VALU_DEP_4)
	v_bitop3_b32 v26, v26, v29, v28 bitop3:0x80
	v_mad_u32_u24 v28, 0x44, v3, v2
	v_xor_b32_e32 v3, s7, v27
	s_delay_alu instid0(VALU_DEP_4) | instskip(NEXT) | instid1(VALU_DEP_4)
	v_xor_b32_e32 v27, s8, v33
	v_bitop3_b32 v29, v26, v32, v31 bitop3:0x80
	ds_load_b32 v26, v28 offset:64
	; wave barrier
	v_bitop3_b32 v3, v29, v27, v3 bitop3:0x80
	s_delay_alu instid0(VALU_DEP_1) | instskip(SKIP_1) | instid1(VALU_DEP_2)
	v_mbcnt_lo_u32_b32 v27, v3, 0
	v_cmp_ne_u32_e64 s2, 0, v3
	v_cmp_eq_u32_e32 vcc_lo, 0, v27
	s_and_b32 s3, s2, vcc_lo
	s_delay_alu instid0(SALU_CYCLE_1)
	s_and_saveexec_b32 s2, s3
	s_cbranch_execz .LBB2181_33
; %bb.32:
	s_wait_dscnt 0x0
	v_bcnt_u32_b32 v3, v3, v26
	ds_store_b32 v28, v3 offset:64
.LBB2181_33:
	s_or_b32 exec_lo, exec_lo, s2
	v_cmp_gt_i16_e32 vcc_lo, 0, v25
	; wave barrier
	v_cndmask_b32_e64 v3, 0x7fff, 0, vcc_lo
	s_delay_alu instid0(VALU_DEP_1) | instskip(NEXT) | instid1(VALU_DEP_1)
	v_xor_b32_e32 v25, v3, v25
	v_cmp_ne_u16_e32 vcc_lo, 0x8000, v25
	v_cndmask_b32_e32 v3, 0x7fff, v25, vcc_lo
	s_delay_alu instid0(VALU_DEP_1) | instskip(NEXT) | instid1(VALU_DEP_1)
	v_and_b32_e32 v3, 0xffff, v3
	v_lshrrev_b32_e32 v3, s20, v3
	s_delay_alu instid0(VALU_DEP_1) | instskip(SKIP_1) | instid1(VALU_DEP_2)
	v_bitop3_b32 v29, v3, 1, s25 bitop3:0x80
	v_and_b32_e32 v3, s25, v3
	v_add_co_u32 v29, s2, v29, -1
	s_delay_alu instid0(VALU_DEP_1) | instskip(NEXT) | instid1(VALU_DEP_3)
	v_cndmask_b32_e64 v31, 0, 1, s2
	v_dual_lshlrev_b32 v32, 30, v3 :: v_dual_lshlrev_b32 v33, 29, v3
	v_lshlrev_b32_e32 v34, 28, v3
	s_delay_alu instid0(VALU_DEP_3) | instskip(NEXT) | instid1(VALU_DEP_3)
	v_cmp_ne_u32_e32 vcc_lo, 0, v31
	v_cmp_gt_i32_e64 s2, 0, v32
	v_not_b32_e32 v31, v32
	v_cmp_gt_i32_e64 s3, 0, v33
	v_not_b32_e32 v32, v33
	v_not_b32_e32 v33, v34
	s_delay_alu instid0(VALU_DEP_2) | instskip(NEXT) | instid1(VALU_DEP_2)
	v_dual_ashrrev_i32 v32, 31, v32 :: v_dual_bitop2_b32 v29, vcc_lo, v29 bitop3:0x14
	v_dual_ashrrev_i32 v33, 31, v33 :: v_dual_lshlrev_b32 v35, 27, v3
	v_dual_lshlrev_b32 v36, 26, v3 :: v_dual_lshlrev_b32 v37, 25, v3
	v_lshlrev_b32_e32 v38, 24, v3
	v_cmp_gt_i32_e64 s4, 0, v34
	s_delay_alu instid0(VALU_DEP_4)
	v_not_b32_e32 v34, v35
	v_ashrrev_i32_e32 v31, 31, v31
	v_cmp_gt_i32_e64 s5, 0, v35
	v_cmp_gt_i32_e64 s6, 0, v36
	v_not_b32_e32 v35, v36
	v_cmp_gt_i32_e64 s7, 0, v37
	v_not_b32_e32 v36, v37
	v_not_b32_e32 v37, v38
	v_dual_ashrrev_i32 v34, 31, v34 :: v_dual_bitop2_b32 v31, s2, v31 bitop3:0x14
	v_dual_ashrrev_i32 v35, 31, v35 :: v_dual_bitop2_b32 v32, s3, v32 bitop3:0x14
	v_xor_b32_e32 v33, s4, v33
	v_cmp_gt_i32_e64 s8, 0, v38
	s_delay_alu instid0(VALU_DEP_4) | instskip(SKIP_3) | instid1(VALU_DEP_4)
	v_bitop3_b32 v29, v29, v31, exec_lo bitop3:0x80
	v_dual_ashrrev_i32 v31, 31, v36 :: v_dual_ashrrev_i32 v36, 31, v37
	v_xor_b32_e32 v34, s5, v34
	v_xor_b32_e32 v35, s6, v35
	v_bitop3_b32 v29, v29, v33, v32 bitop3:0x80
	v_mad_u32_u24 v32, 0x44, v3, v2
	v_xor_b32_e32 v3, s7, v31
	v_xor_b32_e32 v31, s8, v36
	s_delay_alu instid0(VALU_DEP_4) | instskip(SKIP_2) | instid1(VALU_DEP_1)
	v_bitop3_b32 v33, v29, v35, v34 bitop3:0x80
	ds_load_b32 v29, v32 offset:64
	; wave barrier
	v_bitop3_b32 v3, v33, v31, v3 bitop3:0x80
	v_mbcnt_lo_u32_b32 v31, v3, 0
	v_cmp_ne_u32_e64 s2, 0, v3
	s_delay_alu instid0(VALU_DEP_2) | instskip(SKIP_1) | instid1(SALU_CYCLE_1)
	v_cmp_eq_u32_e32 vcc_lo, 0, v31
	s_and_b32 s3, s2, vcc_lo
	s_and_saveexec_b32 s2, s3
	s_cbranch_execz .LBB2181_35
; %bb.34:
	s_wait_dscnt 0x0
	v_bcnt_u32_b32 v3, v3, v29
	ds_store_b32 v32, v3 offset:64
.LBB2181_35:
	s_or_b32 exec_lo, exec_lo, s2
	v_cmp_gt_i16_e32 vcc_lo, 0, v30
	; wave barrier
	v_cndmask_b32_e64 v3, 0x7fff, 0, vcc_lo
	s_delay_alu instid0(VALU_DEP_1) | instskip(NEXT) | instid1(VALU_DEP_1)
	v_xor_b32_e32 v30, v3, v30
	v_cmp_ne_u16_e32 vcc_lo, 0x8000, v30
	v_cndmask_b32_e32 v3, 0x7fff, v30, vcc_lo
	s_delay_alu instid0(VALU_DEP_1) | instskip(NEXT) | instid1(VALU_DEP_1)
	v_and_b32_e32 v3, 0xffff, v3
	v_lshrrev_b32_e32 v3, s20, v3
	s_delay_alu instid0(VALU_DEP_1) | instskip(SKIP_1) | instid1(VALU_DEP_2)
	v_bitop3_b32 v33, v3, 1, s25 bitop3:0x80
	v_and_b32_e32 v3, s25, v3
	v_add_co_u32 v33, s2, v33, -1
	s_delay_alu instid0(VALU_DEP_1) | instskip(NEXT) | instid1(VALU_DEP_3)
	v_cndmask_b32_e64 v34, 0, 1, s2
	v_lshlrev_b32_e32 v35, 30, v3
	s_delay_alu instid0(VALU_DEP_2) | instskip(NEXT) | instid1(VALU_DEP_2)
	v_cmp_ne_u32_e32 vcc_lo, 0, v34
	v_not_b32_e32 v34, v35
	s_delay_alu instid0(VALU_DEP_1) | instskip(SKIP_4) | instid1(VALU_DEP_4)
	v_dual_ashrrev_i32 v34, 31, v34 :: v_dual_bitop2_b32 v33, vcc_lo, v33 bitop3:0x14
	v_dual_lshlrev_b32 v36, 29, v3 :: v_dual_lshlrev_b32 v37, 28, v3
	v_dual_lshlrev_b32 v38, 27, v3 :: v_dual_lshlrev_b32 v39, 26, v3
	v_lshlrev_b32_e32 v40, 25, v3
	v_cmp_gt_i32_e64 s2, 0, v35
	v_cmp_gt_i32_e64 s3, 0, v36
	v_not_b32_e32 v35, v36
	v_not_b32_e32 v36, v37
	v_lshlrev_b32_e32 v41, 24, v3
	v_cmp_gt_i32_e64 s4, 0, v37
	v_cmp_gt_i32_e64 s5, 0, v38
	v_not_b32_e32 v37, v38
	v_not_b32_e32 v38, v39
	v_dual_ashrrev_i32 v35, 31, v35 :: v_dual_bitop2_b32 v34, s2, v34 bitop3:0x14
	v_ashrrev_i32_e32 v36, 31, v36
	v_cmp_gt_i32_e64 s6, 0, v39
	v_cmp_gt_i32_e64 s7, 0, v40
	v_not_b32_e32 v39, v40
	v_not_b32_e32 v40, v41
	v_dual_ashrrev_i32 v37, 31, v37 :: v_dual_ashrrev_i32 v38, 31, v38
	v_xor_b32_e32 v35, s3, v35
	v_xor_b32_e32 v36, s4, v36
	v_bitop3_b32 v33, v33, v34, exec_lo bitop3:0x80
	v_cmp_gt_i32_e64 s8, 0, v41
	v_dual_ashrrev_i32 v34, 31, v39 :: v_dual_ashrrev_i32 v39, 31, v40
	v_xor_b32_e32 v37, s5, v37
	v_xor_b32_e32 v38, s6, v38
	v_bitop3_b32 v33, v33, v36, v35 bitop3:0x80
	v_mad_u32_u24 v36, 0x44, v3, v2
	v_xor_b32_e32 v3, s7, v34
	v_xor_b32_e32 v34, s8, v39
	s_delay_alu instid0(VALU_DEP_4) | instskip(SKIP_2) | instid1(VALU_DEP_1)
	v_bitop3_b32 v35, v33, v38, v37 bitop3:0x80
	ds_load_b32 v33, v36 offset:64
	; wave barrier
	v_bitop3_b32 v3, v35, v34, v3 bitop3:0x80
	v_mbcnt_lo_u32_b32 v34, v3, 0
	v_cmp_ne_u32_e64 s2, 0, v3
	s_delay_alu instid0(VALU_DEP_2) | instskip(SKIP_1) | instid1(SALU_CYCLE_1)
	v_cmp_eq_u32_e32 vcc_lo, 0, v34
	s_and_b32 s3, s2, vcc_lo
	s_and_saveexec_b32 s2, s3
	s_cbranch_execz .LBB2181_37
; %bb.36:
	s_wait_dscnt 0x0
	v_bcnt_u32_b32 v3, v3, v33
	ds_store_b32 v36, v3 offset:64
.LBB2181_37:
	s_or_b32 exec_lo, exec_lo, s2
	v_cmp_gt_i16_e32 vcc_lo, 0, v9
	; wave barrier
	v_cndmask_b32_e64 v3, 0x7fff, 0, vcc_lo
	s_delay_alu instid0(VALU_DEP_1) | instskip(NEXT) | instid1(VALU_DEP_1)
	v_xor_b32_e32 v35, v3, v9
	v_cmp_ne_u16_e32 vcc_lo, 0x8000, v35
	v_cndmask_b32_e32 v3, 0x7fff, v35, vcc_lo
	s_delay_alu instid0(VALU_DEP_1) | instskip(NEXT) | instid1(VALU_DEP_1)
	v_and_b32_e32 v3, 0xffff, v3
	v_lshrrev_b32_e32 v3, s20, v3
	s_delay_alu instid0(VALU_DEP_1) | instskip(SKIP_1) | instid1(VALU_DEP_2)
	v_bitop3_b32 v9, v3, 1, s25 bitop3:0x80
	v_and_b32_e32 v3, s25, v3
	v_add_co_u32 v9, s2, v9, -1
	s_delay_alu instid0(VALU_DEP_1) | instskip(NEXT) | instid1(VALU_DEP_3)
	v_cndmask_b32_e64 v37, 0, 1, s2
	v_lshlrev_b32_e32 v38, 30, v3
	s_delay_alu instid0(VALU_DEP_2) | instskip(NEXT) | instid1(VALU_DEP_2)
	v_cmp_ne_u32_e32 vcc_lo, 0, v37
	v_not_b32_e32 v37, v38
	v_xor_b32_e32 v9, vcc_lo, v9
	s_delay_alu instid0(VALU_DEP_2) | instskip(SKIP_3) | instid1(VALU_DEP_4)
	v_dual_ashrrev_i32 v37, 31, v37 :: v_dual_lshlrev_b32 v39, 29, v3
	v_dual_lshlrev_b32 v40, 28, v3 :: v_dual_lshlrev_b32 v41, 27, v3
	v_dual_lshlrev_b32 v42, 26, v3 :: v_dual_lshlrev_b32 v43, 25, v3
	v_cmp_gt_i32_e64 s2, 0, v38
	v_cmp_gt_i32_e64 s3, 0, v39
	v_not_b32_e32 v38, v39
	v_not_b32_e32 v39, v40
	v_lshlrev_b32_e32 v44, 24, v3
	v_cmp_gt_i32_e64 s4, 0, v40
	v_cmp_gt_i32_e64 s5, 0, v41
	v_not_b32_e32 v40, v41
	v_not_b32_e32 v41, v42
	v_dual_ashrrev_i32 v38, 31, v38 :: v_dual_ashrrev_i32 v39, 31, v39
	v_xor_b32_e32 v37, s2, v37
	v_cmp_gt_i32_e64 s6, 0, v42
	v_cmp_gt_i32_e64 s7, 0, v43
	v_not_b32_e32 v42, v43
	v_not_b32_e32 v43, v44
	v_dual_ashrrev_i32 v40, 31, v40 :: v_dual_ashrrev_i32 v41, 31, v41
	v_xor_b32_e32 v38, s3, v38
	v_xor_b32_e32 v39, s4, v39
	v_bitop3_b32 v9, v9, v37, exec_lo bitop3:0x80
	v_cmp_gt_i32_e64 s8, 0, v44
	v_dual_ashrrev_i32 v37, 31, v42 :: v_dual_ashrrev_i32 v42, 31, v43
	v_xor_b32_e32 v43, s5, v40
	v_xor_b32_e32 v41, s6, v41
	v_bitop3_b32 v9, v9, v39, v38 bitop3:0x80
	v_mad_u32_u24 v40, 0x44, v3, v2
	v_xor_b32_e32 v3, s7, v37
	v_xor_b32_e32 v37, s8, v42
	s_delay_alu instid0(VALU_DEP_4) | instskip(SKIP_2) | instid1(VALU_DEP_1)
	v_bitop3_b32 v9, v9, v41, v43 bitop3:0x80
	ds_load_b32 v38, v40 offset:64
	; wave barrier
	v_bitop3_b32 v3, v9, v37, v3 bitop3:0x80
	v_mbcnt_lo_u32_b32 v39, v3, 0
	v_cmp_ne_u32_e64 s2, 0, v3
	s_delay_alu instid0(VALU_DEP_2) | instskip(SKIP_1) | instid1(SALU_CYCLE_1)
	v_cmp_eq_u32_e32 vcc_lo, 0, v39
	s_and_b32 s3, s2, vcc_lo
	s_and_saveexec_b32 s2, s3
	s_cbranch_execz .LBB2181_39
; %bb.38:
	s_wait_dscnt 0x0
	v_bcnt_u32_b32 v3, v3, v38
	ds_store_b32 v40, v3 offset:64
.LBB2181_39:
	s_or_b32 exec_lo, exec_lo, s2
	v_cmp_gt_i16_e32 vcc_lo, 0, v8
	; wave barrier
	v_cndmask_b32_e64 v3, 0x7fff, 0, vcc_lo
	s_delay_alu instid0(VALU_DEP_1) | instskip(NEXT) | instid1(VALU_DEP_1)
	v_xor_b32_e32 v37, v3, v8
	v_cmp_ne_u16_e32 vcc_lo, 0x8000, v37
	v_cndmask_b32_e32 v3, 0x7fff, v37, vcc_lo
	s_delay_alu instid0(VALU_DEP_1) | instskip(NEXT) | instid1(VALU_DEP_1)
	v_and_b32_e32 v3, 0xffff, v3
	v_lshrrev_b32_e32 v3, s20, v3
	s_delay_alu instid0(VALU_DEP_1) | instskip(SKIP_1) | instid1(VALU_DEP_2)
	v_bitop3_b32 v8, v3, 1, s25 bitop3:0x80
	v_and_b32_e32 v3, s25, v3
	v_add_co_u32 v8, s2, v8, -1
	s_delay_alu instid0(VALU_DEP_1) | instskip(NEXT) | instid1(VALU_DEP_3)
	v_cndmask_b32_e64 v9, 0, 1, s2
	v_lshlrev_b32_e32 v41, 30, v3
	s_delay_alu instid0(VALU_DEP_2) | instskip(NEXT) | instid1(VALU_DEP_2)
	v_cmp_ne_u32_e32 vcc_lo, 0, v9
	v_not_b32_e32 v9, v41
	s_delay_alu instid0(VALU_DEP_1) | instskip(SKIP_4) | instid1(VALU_DEP_4)
	v_dual_ashrrev_i32 v9, 31, v9 :: v_dual_bitop2_b32 v8, vcc_lo, v8 bitop3:0x14
	v_dual_lshlrev_b32 v42, 29, v3 :: v_dual_lshlrev_b32 v43, 28, v3
	v_dual_lshlrev_b32 v44, 27, v3 :: v_dual_lshlrev_b32 v45, 26, v3
	v_lshlrev_b32_e32 v46, 25, v3
	v_cmp_gt_i32_e64 s2, 0, v41
	v_cmp_gt_i32_e64 s3, 0, v42
	v_not_b32_e32 v41, v42
	v_not_b32_e32 v42, v43
	v_lshlrev_b32_e32 v47, 24, v3
	v_cmp_gt_i32_e64 s4, 0, v43
	v_cmp_gt_i32_e64 s5, 0, v44
	v_not_b32_e32 v43, v44
	v_not_b32_e32 v44, v45
	v_dual_ashrrev_i32 v41, 31, v41 :: v_dual_ashrrev_i32 v42, 31, v42
	v_xor_b32_e32 v9, s2, v9
	v_cmp_gt_i32_e64 s6, 0, v45
	v_cmp_gt_i32_e64 s7, 0, v46
	v_not_b32_e32 v45, v46
	v_not_b32_e32 v46, v47
	v_dual_ashrrev_i32 v43, 31, v43 :: v_dual_ashrrev_i32 v44, 31, v44
	v_xor_b32_e32 v41, s3, v41
	v_xor_b32_e32 v42, s4, v42
	v_bitop3_b32 v8, v8, v9, exec_lo bitop3:0x80
	v_cmp_gt_i32_e64 s8, 0, v47
	v_dual_ashrrev_i32 v9, 31, v45 :: v_dual_ashrrev_i32 v45, 31, v46
	v_xor_b32_e32 v43, s5, v43
	v_xor_b32_e32 v46, s6, v44
	v_bitop3_b32 v8, v8, v42, v41 bitop3:0x80
	v_mad_u32_u24 v44, 0x44, v3, v2
	v_xor_b32_e32 v3, s7, v9
	v_xor_b32_e32 v9, s8, v45
	s_delay_alu instid0(VALU_DEP_4) | instskip(SKIP_2) | instid1(VALU_DEP_1)
	v_bitop3_b32 v8, v8, v46, v43 bitop3:0x80
	ds_load_b32 v42, v44 offset:64
	; wave barrier
	v_bitop3_b32 v3, v8, v9, v3 bitop3:0x80
	v_mbcnt_lo_u32_b32 v43, v3, 0
	v_cmp_ne_u32_e64 s2, 0, v3
	s_delay_alu instid0(VALU_DEP_2) | instskip(SKIP_1) | instid1(SALU_CYCLE_1)
	v_cmp_eq_u32_e32 vcc_lo, 0, v43
	s_and_b32 s3, s2, vcc_lo
	s_and_saveexec_b32 s2, s3
	s_cbranch_execz .LBB2181_41
; %bb.40:
	s_wait_dscnt 0x0
	v_bcnt_u32_b32 v3, v3, v42
	ds_store_b32 v44, v3 offset:64
.LBB2181_41:
	s_or_b32 exec_lo, exec_lo, s2
	v_cmp_gt_i16_e32 vcc_lo, 0, v7
	; wave barrier
	v_cndmask_b32_e64 v3, 0x7fff, 0, vcc_lo
	s_delay_alu instid0(VALU_DEP_1) | instskip(NEXT) | instid1(VALU_DEP_1)
	v_xor_b32_e32 v41, v3, v7
	v_cmp_ne_u16_e32 vcc_lo, 0x8000, v41
	v_cndmask_b32_e32 v3, 0x7fff, v41, vcc_lo
	s_delay_alu instid0(VALU_DEP_1) | instskip(NEXT) | instid1(VALU_DEP_1)
	v_and_b32_e32 v3, 0xffff, v3
	v_lshrrev_b32_e32 v3, s20, v3
	s_delay_alu instid0(VALU_DEP_1) | instskip(SKIP_1) | instid1(VALU_DEP_2)
	v_bitop3_b32 v7, v3, 1, s25 bitop3:0x80
	v_and_b32_e32 v3, s25, v3
	v_add_co_u32 v7, s2, v7, -1
	s_delay_alu instid0(VALU_DEP_1) | instskip(NEXT) | instid1(VALU_DEP_3)
	v_cndmask_b32_e64 v8, 0, 1, s2
	v_dual_lshlrev_b32 v9, 30, v3 :: v_dual_lshlrev_b32 v45, 29, v3
	v_lshlrev_b32_e32 v46, 28, v3
	s_delay_alu instid0(VALU_DEP_3) | instskip(NEXT) | instid1(VALU_DEP_3)
	v_cmp_ne_u32_e32 vcc_lo, 0, v8
	v_cmp_gt_i32_e64 s2, 0, v9
	v_not_b32_e32 v8, v9
	v_cmp_gt_i32_e64 s3, 0, v45
	v_not_b32_e32 v9, v45
	v_not_b32_e32 v45, v46
	s_delay_alu instid0(VALU_DEP_2) | instskip(NEXT) | instid1(VALU_DEP_2)
	v_dual_ashrrev_i32 v8, 31, v8 :: v_dual_ashrrev_i32 v9, 31, v9
	v_dual_ashrrev_i32 v45, 31, v45 :: v_dual_lshlrev_b32 v47, 27, v3
	v_dual_lshlrev_b32 v48, 26, v3 :: v_dual_lshlrev_b32 v49, 25, v3
	s_delay_alu instid0(VALU_DEP_3) | instskip(SKIP_1) | instid1(VALU_DEP_4)
	v_dual_lshlrev_b32 v50, 24, v3 :: v_dual_bitop2_b32 v8, s2, v8 bitop3:0x14
	v_cmp_gt_i32_e64 s4, 0, v46
	v_cmp_gt_i32_e64 s5, 0, v47
	v_not_b32_e32 v46, v47
	v_cmp_gt_i32_e64 s6, 0, v48
	v_not_b32_e32 v47, v48
	v_not_b32_e32 v48, v49
	v_xor_b32_e32 v7, vcc_lo, v7
	v_cmp_gt_i32_e64 s7, 0, v49
	v_not_b32_e32 v49, v50
	v_dual_ashrrev_i32 v46, 31, v46 :: v_dual_ashrrev_i32 v47, 31, v47
	v_xor_b32_e32 v9, s3, v9
	v_xor_b32_e32 v45, s4, v45
	v_bitop3_b32 v7, v7, v8, exec_lo bitop3:0x80
	v_cmp_gt_i32_e64 s8, 0, v50
	v_dual_ashrrev_i32 v8, 31, v48 :: v_dual_ashrrev_i32 v49, 31, v49
	v_xor_b32_e32 v46, s5, v46
	v_xor_b32_e32 v47, s6, v47
	v_bitop3_b32 v7, v7, v45, v9 bitop3:0x80
	v_mad_u32_u24 v48, 0x44, v3, v2
	v_xor_b32_e32 v3, s7, v8
	v_xor_b32_e32 v8, s8, v49
	s_delay_alu instid0(VALU_DEP_4) | instskip(SKIP_2) | instid1(VALU_DEP_1)
	v_bitop3_b32 v7, v7, v47, v46 bitop3:0x80
	ds_load_b32 v46, v48 offset:64
	; wave barrier
	v_bitop3_b32 v3, v7, v8, v3 bitop3:0x80
	v_mbcnt_lo_u32_b32 v47, v3, 0
	v_cmp_ne_u32_e64 s2, 0, v3
	s_delay_alu instid0(VALU_DEP_2) | instskip(SKIP_1) | instid1(SALU_CYCLE_1)
	v_cmp_eq_u32_e32 vcc_lo, 0, v47
	s_and_b32 s3, s2, vcc_lo
	s_and_saveexec_b32 s2, s3
	s_cbranch_execz .LBB2181_43
; %bb.42:
	s_wait_dscnt 0x0
	v_bcnt_u32_b32 v3, v3, v46
	ds_store_b32 v48, v3 offset:64
.LBB2181_43:
	s_or_b32 exec_lo, exec_lo, s2
	v_cmp_gt_i16_e32 vcc_lo, 0, v6
	; wave barrier
	v_cndmask_b32_e64 v3, 0x7fff, 0, vcc_lo
	s_delay_alu instid0(VALU_DEP_1) | instskip(NEXT) | instid1(VALU_DEP_1)
	v_xor_b32_e32 v45, v3, v6
	v_cmp_ne_u16_e32 vcc_lo, 0x8000, v45
	v_cndmask_b32_e32 v3, 0x7fff, v45, vcc_lo
	s_delay_alu instid0(VALU_DEP_1) | instskip(NEXT) | instid1(VALU_DEP_1)
	v_and_b32_e32 v3, 0xffff, v3
	v_lshrrev_b32_e32 v3, s20, v3
	s_delay_alu instid0(VALU_DEP_1) | instskip(SKIP_1) | instid1(VALU_DEP_2)
	v_bitop3_b32 v6, v3, 1, s25 bitop3:0x80
	v_and_b32_e32 v3, s25, v3
	v_add_co_u32 v6, s2, v6, -1
	s_delay_alu instid0(VALU_DEP_1) | instskip(NEXT) | instid1(VALU_DEP_3)
	v_cndmask_b32_e64 v7, 0, 1, s2
	v_dual_lshlrev_b32 v8, 30, v3 :: v_dual_lshlrev_b32 v9, 29, v3
	v_lshlrev_b32_e32 v49, 28, v3
	s_delay_alu instid0(VALU_DEP_3) | instskip(NEXT) | instid1(VALU_DEP_3)
	v_cmp_ne_u32_e32 vcc_lo, 0, v7
	v_cmp_gt_i32_e64 s2, 0, v8
	v_not_b32_e32 v7, v8
	v_cmp_gt_i32_e64 s3, 0, v9
	v_not_b32_e32 v8, v9
	v_not_b32_e32 v9, v49
	s_delay_alu instid0(VALU_DEP_2) | instskip(NEXT) | instid1(VALU_DEP_2)
	v_dual_ashrrev_i32 v8, 31, v8 :: v_dual_bitop2_b32 v6, vcc_lo, v6 bitop3:0x14
	v_dual_ashrrev_i32 v9, 31, v9 :: v_dual_lshlrev_b32 v50, 27, v3
	v_dual_lshlrev_b32 v51, 26, v3 :: v_dual_lshlrev_b32 v52, 25, v3
	v_cmp_gt_i32_e64 s4, 0, v49
	v_lshlrev_b32_e32 v53, 24, v3
	s_delay_alu instid0(VALU_DEP_4) | instskip(SKIP_4) | instid1(VALU_DEP_4)
	v_not_b32_e32 v49, v50
	v_ashrrev_i32_e32 v7, 31, v7
	v_cmp_gt_i32_e64 s5, 0, v50
	v_not_b32_e32 v50, v51
	v_cmp_gt_i32_e64 s6, 0, v51
	v_dual_ashrrev_i32 v49, 31, v49 :: v_dual_bitop2_b32 v7, s2, v7 bitop3:0x14
	v_cmp_gt_i32_e64 s7, 0, v52
	v_not_b32_e32 v51, v52
	v_not_b32_e32 v52, v53
	v_dual_ashrrev_i32 v50, 31, v50 :: v_dual_bitop2_b32 v8, s3, v8 bitop3:0x14
	v_xor_b32_e32 v9, s4, v9
	v_bitop3_b32 v6, v6, v7, exec_lo bitop3:0x80
	v_cmp_gt_i32_e64 s8, 0, v53
	v_dual_ashrrev_i32 v7, 31, v51 :: v_dual_ashrrev_i32 v51, 31, v52
	v_xor_b32_e32 v49, s5, v49
	v_xor_b32_e32 v50, s6, v50
	v_bitop3_b32 v6, v6, v9, v8 bitop3:0x80
	v_mad_u32_u24 v52, 0x44, v3, v2
	v_xor_b32_e32 v3, s7, v7
	v_xor_b32_e32 v7, s8, v51
	s_delay_alu instid0(VALU_DEP_4) | instskip(SKIP_2) | instid1(VALU_DEP_1)
	v_bitop3_b32 v6, v6, v50, v49 bitop3:0x80
	ds_load_b32 v49, v52 offset:64
	; wave barrier
	v_bitop3_b32 v3, v6, v7, v3 bitop3:0x80
	v_mbcnt_lo_u32_b32 v51, v3, 0
	v_cmp_ne_u32_e64 s2, 0, v3
	s_delay_alu instid0(VALU_DEP_2) | instskip(SKIP_1) | instid1(SALU_CYCLE_1)
	v_cmp_eq_u32_e32 vcc_lo, 0, v51
	s_and_b32 s3, s2, vcc_lo
	s_and_saveexec_b32 s2, s3
	s_cbranch_execz .LBB2181_45
; %bb.44:
	s_wait_dscnt 0x0
	v_bcnt_u32_b32 v3, v3, v49
	ds_store_b32 v52, v3 offset:64
.LBB2181_45:
	s_or_b32 exec_lo, exec_lo, s2
	v_cmp_gt_i16_e32 vcc_lo, 0, v5
	; wave barrier
	v_cndmask_b32_e64 v3, 0x7fff, 0, vcc_lo
	s_delay_alu instid0(VALU_DEP_1) | instskip(NEXT) | instid1(VALU_DEP_1)
	v_xor_b32_e32 v50, v3, v5
	v_cmp_ne_u16_e32 vcc_lo, 0x8000, v50
	v_cndmask_b32_e32 v3, 0x7fff, v50, vcc_lo
	s_delay_alu instid0(VALU_DEP_1) | instskip(NEXT) | instid1(VALU_DEP_1)
	v_and_b32_e32 v3, 0xffff, v3
	v_lshrrev_b32_e32 v3, s20, v3
	s_delay_alu instid0(VALU_DEP_1) | instskip(SKIP_1) | instid1(VALU_DEP_2)
	v_bitop3_b32 v5, v3, 1, s25 bitop3:0x80
	v_and_b32_e32 v3, s25, v3
	v_add_co_u32 v5, s2, v5, -1
	s_delay_alu instid0(VALU_DEP_1) | instskip(NEXT) | instid1(VALU_DEP_3)
	v_cndmask_b32_e64 v6, 0, 1, s2
	v_lshlrev_b32_e32 v7, 30, v3
	s_delay_alu instid0(VALU_DEP_2) | instskip(NEXT) | instid1(VALU_DEP_2)
	v_cmp_ne_u32_e32 vcc_lo, 0, v6
	v_not_b32_e32 v6, v7
	s_delay_alu instid0(VALU_DEP_1) | instskip(SKIP_4) | instid1(VALU_DEP_4)
	v_dual_ashrrev_i32 v6, 31, v6 :: v_dual_bitop2_b32 v5, vcc_lo, v5 bitop3:0x14
	v_dual_lshlrev_b32 v8, 29, v3 :: v_dual_lshlrev_b32 v9, 28, v3
	v_dual_lshlrev_b32 v53, 27, v3 :: v_dual_lshlrev_b32 v54, 26, v3
	v_lshlrev_b32_e32 v55, 25, v3
	v_cmp_gt_i32_e64 s2, 0, v7
	v_cmp_gt_i32_e64 s3, 0, v8
	v_not_b32_e32 v7, v8
	v_not_b32_e32 v8, v9
	v_lshlrev_b32_e32 v56, 24, v3
	v_cmp_gt_i32_e64 s4, 0, v9
	v_cmp_gt_i32_e64 s5, 0, v53
	v_not_b32_e32 v9, v53
	v_not_b32_e32 v53, v54
	v_dual_ashrrev_i32 v7, 31, v7 :: v_dual_bitop2_b32 v6, s2, v6 bitop3:0x14
	v_ashrrev_i32_e32 v8, 31, v8
	v_cmp_gt_i32_e64 s6, 0, v54
	v_cmp_gt_i32_e64 s7, 0, v55
	v_not_b32_e32 v54, v55
	v_not_b32_e32 v55, v56
	v_dual_ashrrev_i32 v9, 31, v9 :: v_dual_bitop2_b32 v7, s3, v7 bitop3:0x14
	v_dual_ashrrev_i32 v53, 31, v53 :: v_dual_bitop2_b32 v8, s4, v8 bitop3:0x14
	v_bitop3_b32 v5, v5, v6, exec_lo bitop3:0x80
	v_cmp_gt_i32_e64 s8, 0, v56
	v_dual_ashrrev_i32 v6, 31, v54 :: v_dual_ashrrev_i32 v54, 31, v55
	v_xor_b32_e32 v9, s5, v9
	v_xor_b32_e32 v53, s6, v53
	v_bitop3_b32 v5, v5, v8, v7 bitop3:0x80
	v_mad_u32_u24 v57, 0x44, v3, v2
	v_xor_b32_e32 v3, s7, v6
	v_xor_b32_e32 v6, s8, v54
	s_delay_alu instid0(VALU_DEP_4) | instskip(SKIP_2) | instid1(VALU_DEP_1)
	v_bitop3_b32 v5, v5, v53, v9 bitop3:0x80
	ds_load_b32 v53, v57 offset:64
	; wave barrier
	v_bitop3_b32 v3, v5, v6, v3 bitop3:0x80
	v_mbcnt_lo_u32_b32 v54, v3, 0
	v_cmp_ne_u32_e64 s2, 0, v3
	s_delay_alu instid0(VALU_DEP_2) | instskip(SKIP_1) | instid1(SALU_CYCLE_1)
	v_cmp_eq_u32_e32 vcc_lo, 0, v54
	s_and_b32 s3, s2, vcc_lo
	s_and_saveexec_b32 s2, s3
	s_cbranch_execz .LBB2181_47
; %bb.46:
	s_wait_dscnt 0x0
	v_bcnt_u32_b32 v3, v3, v53
	ds_store_b32 v57, v3 offset:64
.LBB2181_47:
	s_or_b32 exec_lo, exec_lo, s2
	v_cmp_gt_i16_e32 vcc_lo, 0, v4
	; wave barrier
	v_cndmask_b32_e64 v3, 0x7fff, 0, vcc_lo
	s_delay_alu instid0(VALU_DEP_1) | instskip(NEXT) | instid1(VALU_DEP_1)
	v_xor_b32_e32 v55, v3, v4
	v_cmp_ne_u16_e32 vcc_lo, 0x8000, v55
	v_cndmask_b32_e32 v3, 0x7fff, v55, vcc_lo
	s_delay_alu instid0(VALU_DEP_1) | instskip(NEXT) | instid1(VALU_DEP_1)
	v_and_b32_e32 v3, 0xffff, v3
	v_lshrrev_b32_e32 v3, s20, v3
	s_delay_alu instid0(VALU_DEP_1) | instskip(SKIP_1) | instid1(VALU_DEP_2)
	v_bitop3_b32 v4, v3, 1, s25 bitop3:0x80
	v_and_b32_e32 v3, s25, v3
	v_add_co_u32 v4, s2, v4, -1
	s_delay_alu instid0(VALU_DEP_1) | instskip(NEXT) | instid1(VALU_DEP_3)
	v_cndmask_b32_e64 v5, 0, 1, s2
	v_lshlrev_b32_e32 v6, 30, v3
	s_delay_alu instid0(VALU_DEP_2) | instskip(NEXT) | instid1(VALU_DEP_2)
	v_cmp_ne_u32_e32 vcc_lo, 0, v5
	v_not_b32_e32 v5, v6
	s_delay_alu instid0(VALU_DEP_1) | instskip(SKIP_4) | instid1(VALU_DEP_4)
	v_dual_ashrrev_i32 v5, 31, v5 :: v_dual_bitop2_b32 v4, vcc_lo, v4 bitop3:0x14
	v_dual_lshlrev_b32 v7, 29, v3 :: v_dual_lshlrev_b32 v8, 28, v3
	v_dual_lshlrev_b32 v9, 27, v3 :: v_dual_lshlrev_b32 v56, 26, v3
	v_lshlrev_b32_e32 v58, 25, v3
	v_cmp_gt_i32_e64 s2, 0, v6
	v_cmp_gt_i32_e64 s3, 0, v7
	v_not_b32_e32 v6, v7
	v_not_b32_e32 v7, v8
	v_lshlrev_b32_e32 v59, 24, v3
	v_cmp_gt_i32_e64 s4, 0, v8
	v_cmp_gt_i32_e64 s5, 0, v9
	v_not_b32_e32 v8, v9
	v_not_b32_e32 v9, v56
	v_dual_ashrrev_i32 v6, 31, v6 :: v_dual_ashrrev_i32 v7, 31, v7
	v_xor_b32_e32 v5, s2, v5
	v_cmp_gt_i32_e64 s6, 0, v56
	v_cmp_gt_i32_e64 s7, 0, v58
	v_not_b32_e32 v56, v58
	v_not_b32_e32 v58, v59
	v_dual_ashrrev_i32 v8, 31, v8 :: v_dual_ashrrev_i32 v9, 31, v9
	v_xor_b32_e32 v6, s3, v6
	v_xor_b32_e32 v7, s4, v7
	v_bitop3_b32 v4, v4, v5, exec_lo bitop3:0x80
	v_cmp_gt_i32_e64 s8, 0, v59
	v_dual_ashrrev_i32 v5, 31, v56 :: v_dual_ashrrev_i32 v56, 31, v58
	v_xor_b32_e32 v8, s5, v8
	v_xor_b32_e32 v9, s6, v9
	v_bitop3_b32 v4, v4, v7, v6 bitop3:0x80
	v_mad_u32_u24 v59, 0x44, v3, v2
	v_xor_b32_e32 v2, s7, v5
	v_xor_b32_e32 v3, s8, v56
	s_delay_alu instid0(VALU_DEP_4) | instskip(SKIP_2) | instid1(VALU_DEP_1)
	v_bitop3_b32 v4, v4, v9, v8 bitop3:0x80
	ds_load_b32 v56, v59 offset:64
	; wave barrier
	v_bitop3_b32 v2, v4, v3, v2 bitop3:0x80
	v_mbcnt_lo_u32_b32 v58, v2, 0
	v_cmp_ne_u32_e64 s2, 0, v2
	s_delay_alu instid0(VALU_DEP_2) | instskip(SKIP_1) | instid1(SALU_CYCLE_1)
	v_cmp_eq_u32_e32 vcc_lo, 0, v58
	s_and_b32 s3, s2, vcc_lo
	s_and_saveexec_b32 s2, s3
	s_cbranch_execz .LBB2181_49
; %bb.48:
	s_wait_dscnt 0x0
	v_bcnt_u32_b32 v2, v2, v56
	ds_store_b32 v59, v2 offset:64
.LBB2181_49:
	s_or_b32 exec_lo, exec_lo, s2
	; wave barrier
	s_wait_dscnt 0x0
	s_barrier_signal -1
	s_barrier_wait -1
	ds_load_2addr_b32 v[8:9], v13 offset0:16 offset1:17
	ds_load_2addr_b32 v[6:7], v13 offset0:18 offset1:19
	;; [unrolled: 1-line block ×4, first 2 shown]
	ds_load_b32 v60, v13 offset:96
	s_mov_b32 s6, exec_lo
	s_wait_dscnt 0x3
	v_add3_u32 v61, v9, v8, v6
	s_wait_dscnt 0x2
	s_delay_alu instid0(VALU_DEP_1) | instskip(SKIP_1) | instid1(VALU_DEP_1)
	v_add3_u32 v61, v61, v7, v4
	s_wait_dscnt 0x1
	v_add3_u32 v61, v61, v5, v2
	s_wait_dscnt 0x0
	s_delay_alu instid0(VALU_DEP_1) | instskip(SKIP_1) | instid1(VALU_DEP_2)
	v_add3_u32 v60, v61, v3, v60
	v_and_b32_e32 v61, 15, v14
	v_mov_b32_dpp v62, v60 row_shr:1 row_mask:0xf bank_mask:0xf
	s_delay_alu instid0(VALU_DEP_2) | instskip(NEXT) | instid1(VALU_DEP_2)
	v_cmp_eq_u32_e32 vcc_lo, 0, v61
	v_cndmask_b32_e64 v62, v62, 0, vcc_lo
	s_delay_alu instid0(VALU_DEP_1) | instskip(SKIP_3) | instid1(VALU_DEP_4)
	v_add_nc_u32_e32 v60, v62, v60
	v_cmp_lt_u32_e64 s2, 1, v61
	v_cmp_lt_u32_e64 s3, 3, v61
	;; [unrolled: 1-line block ×3, first 2 shown]
	v_mov_b32_dpp v62, v60 row_shr:2 row_mask:0xf bank_mask:0xf
	s_delay_alu instid0(VALU_DEP_1) | instskip(NEXT) | instid1(VALU_DEP_1)
	v_cndmask_b32_e64 v62, 0, v62, s2
	v_add_nc_u32_e32 v60, v60, v62
	s_delay_alu instid0(VALU_DEP_1) | instskip(NEXT) | instid1(VALU_DEP_1)
	v_mov_b32_dpp v62, v60 row_shr:4 row_mask:0xf bank_mask:0xf
	v_cndmask_b32_e64 v62, 0, v62, s3
	s_delay_alu instid0(VALU_DEP_1) | instskip(NEXT) | instid1(VALU_DEP_1)
	v_add_nc_u32_e32 v60, v60, v62
	v_mov_b32_dpp v62, v60 row_shr:8 row_mask:0xf bank_mask:0xf
	s_delay_alu instid0(VALU_DEP_1) | instskip(SKIP_1) | instid1(VALU_DEP_2)
	v_cndmask_b32_e64 v61, 0, v62, s4
	v_bfe_i32 v62, v14, 4, 1
	v_add_nc_u32_e32 v60, v60, v61
	ds_swizzle_b32 v61, v60 offset:swizzle(BROADCAST,32,15)
	s_wait_dscnt 0x0
	v_and_b32_e32 v61, v62, v61
	v_min_u32_e32 v62, 0x1e0, v15
	s_delay_alu instid0(VALU_DEP_1) | instskip(SKIP_1) | instid1(VALU_DEP_2)
	v_dual_add_nc_u32 v60, v60, v61 :: v_dual_bitop2_b32 v62, 31, v62 bitop3:0x54
	v_lshrrev_b32_e32 v61, 5, v1
	v_cmpx_eq_u32_e64 v1, v62
; %bb.50:
	s_delay_alu instid0(VALU_DEP_2)
	v_lshlrev_b32_e32 v62, 2, v61
	ds_store_b32 v62, v60
; %bb.51:
	s_or_b32 exec_lo, exec_lo, s6
	s_delay_alu instid0(SALU_CYCLE_1)
	s_mov_b32 s6, exec_lo
	s_wait_dscnt 0x0
	s_barrier_signal -1
	s_barrier_wait -1
	v_cmpx_gt_u32_e32 16, v1
	s_cbranch_execz .LBB2181_53
; %bb.52:
	v_lshlrev_b32_e32 v62, 2, v1
	ds_load_b32 v63, v62
	s_wait_dscnt 0x0
	v_mov_b32_dpp v64, v63 row_shr:1 row_mask:0xf bank_mask:0xf
	s_delay_alu instid0(VALU_DEP_1) | instskip(NEXT) | instid1(VALU_DEP_1)
	v_cndmask_b32_e64 v64, v64, 0, vcc_lo
	v_add_nc_u32_e32 v63, v64, v63
	s_delay_alu instid0(VALU_DEP_1) | instskip(NEXT) | instid1(VALU_DEP_1)
	v_mov_b32_dpp v64, v63 row_shr:2 row_mask:0xf bank_mask:0xf
	v_cndmask_b32_e64 v64, 0, v64, s2
	s_delay_alu instid0(VALU_DEP_1) | instskip(NEXT) | instid1(VALU_DEP_1)
	v_add_nc_u32_e32 v63, v63, v64
	v_mov_b32_dpp v64, v63 row_shr:4 row_mask:0xf bank_mask:0xf
	s_delay_alu instid0(VALU_DEP_1) | instskip(NEXT) | instid1(VALU_DEP_1)
	v_cndmask_b32_e64 v64, 0, v64, s3
	v_add_nc_u32_e32 v63, v63, v64
	s_delay_alu instid0(VALU_DEP_1) | instskip(NEXT) | instid1(VALU_DEP_1)
	v_mov_b32_dpp v64, v63 row_shr:8 row_mask:0xf bank_mask:0xf
	v_cndmask_b32_e64 v64, 0, v64, s4
	s_delay_alu instid0(VALU_DEP_1)
	v_add_nc_u32_e32 v63, v63, v64
	ds_store_b32 v62, v63
.LBB2181_53:
	s_or_b32 exec_lo, exec_lo, s6
	v_mov_b32_e32 v62, 0
	s_mov_b32 s2, exec_lo
	s_wait_dscnt 0x0
	s_barrier_signal -1
	s_barrier_wait -1
	v_cmpx_lt_u32_e32 31, v1
; %bb.54:
	v_lshl_add_u32 v61, v61, 2, -4
	ds_load_b32 v62, v61
; %bb.55:
	s_or_b32 exec_lo, exec_lo, s2
	v_sub_co_u32 v61, vcc_lo, v14, 1
	s_wait_dscnt 0x0
	v_add_nc_u32_e32 v60, v62, v60
	s_delay_alu instid0(VALU_DEP_2) | instskip(NEXT) | instid1(VALU_DEP_1)
	v_cmp_gt_i32_e64 s2, 0, v61
	v_cndmask_b32_e64 v61, v61, v14, s2
	v_cmp_gt_u32_e64 s2, 0x100, v1
	s_delay_alu instid0(VALU_DEP_2) | instskip(SKIP_4) | instid1(VALU_DEP_2)
	v_lshlrev_b32_e32 v61, 2, v61
	ds_bpermute_b32 v60, v61, v60
	s_wait_dscnt 0x0
	v_cndmask_b32_e32 v60, v60, v62, vcc_lo
	v_cmp_ne_u32_e32 vcc_lo, 0, v1
	v_cndmask_b32_e32 v60, 0, v60, vcc_lo
	v_cmp_lt_u32_e32 vcc_lo, 0xff, v1
	s_delay_alu instid0(VALU_DEP_2) | instskip(NEXT) | instid1(VALU_DEP_1)
	v_add_nc_u32_e32 v8, v60, v8
	v_add_nc_u32_e32 v9, v8, v9
	s_delay_alu instid0(VALU_DEP_1) | instskip(NEXT) | instid1(VALU_DEP_1)
	v_add_nc_u32_e32 v6, v9, v6
	v_add_nc_u32_e32 v7, v6, v7
	s_delay_alu instid0(VALU_DEP_1) | instskip(NEXT) | instid1(VALU_DEP_1)
	;; [unrolled: 3-line block ×3, first 2 shown]
	v_add_nc_u32_e32 v2, v5, v2
	v_add_nc_u32_e32 v3, v2, v3
	ds_store_2addr_b32 v13, v60, v8 offset0:16 offset1:17
	ds_store_2addr_b32 v13, v9, v6 offset0:18 offset1:19
	;; [unrolled: 1-line block ×4, first 2 shown]
	ds_store_b32 v13, v3 offset:96
	s_wait_dscnt 0x0
	s_barrier_signal -1
	s_barrier_wait -1
	ds_load_b32 v61, v16 offset:64
	ds_load_b32 v62, v20 offset:64
	;; [unrolled: 1-line block ×12, first 2 shown]
	v_mov_b64_e32 v[2:3], 0
                                        ; implicit-def: $vgpr4
	s_and_saveexec_b32 s4, s2
	s_cbranch_execz .LBB2181_59
; %bb.56:
	v_mul_u32_u24_e32 v2, 0x44, v1
	v_dual_mov_b32 v3, 0x1800 :: v_dual_add_nc_u32 v4, 1, v1
	s_mov_b32 s5, exec_lo
	ds_load_b32 v2, v2 offset:64
	v_cmpx_ne_u32_e32 0x100, v4
; %bb.57:
	v_mul_u32_u24_e32 v3, 0x44, v4
	ds_load_b32 v3, v3 offset:64
; %bb.58:
	s_or_b32 exec_lo, exec_lo, s5
	s_wait_dscnt 0x0
	v_dual_mov_b32 v3, 0 :: v_dual_sub_nc_u32 v4, v3, v2
.LBB2181_59:
	s_or_b32 exec_lo, exec_lo, s4
	s_wait_dscnt 0xa
	v_dual_lshlrev_b32 v11, 1, v11 :: v_dual_lshlrev_b32 v28, 1, v62
	v_dual_lshlrev_b32 v19, 1, v19 :: v_dual_lshlrev_b32 v18, 1, v18
	v_lshlrev_b32_e32 v22, 1, v22
	s_delay_alu instid0(VALU_DEP_3)
	v_lshl_add_u32 v11, v61, 1, v11
	v_lshlrev_b32_e32 v23, 1, v23
	s_wait_dscnt 0x0
	v_add3_u32 v18, v28, v19, v18
	v_lshlrev_b32_e32 v19, 1, v60
	s_barrier_signal -1
	s_barrier_wait -1
	ds_store_b16 v11, v10 offset:2048
	ds_store_b16 v18, v12 offset:2048
	v_lshlrev_b32_e32 v11, 1, v24
	v_add3_u32 v10, v19, v23, v22
	v_dual_lshlrev_b32 v12, 1, v27 :: v_dual_lshlrev_b32 v18, 1, v26
	v_dual_lshlrev_b32 v22, 1, v29 :: v_dual_lshlrev_b32 v16, 1, v16
	;; [unrolled: 1-line block ×6, first 2 shown]
	ds_store_b16 v10, v17 offset:2048
	v_add3_u32 v10, v11, v12, v18
	v_add3_u32 v12, v16, v23, v24
	v_dual_lshlrev_b32 v16, 1, v43 :: v_dual_lshlrev_b32 v17, 1, v42
	v_add3_u32 v11, v19, v20, v22
	v_add3_u32 v13, v13, v26, v27
	ds_store_b16 v10, v21 offset:2048
	ds_store_b16 v11, v25 offset:2048
	;; [unrolled: 1-line block ×4, first 2 shown]
	v_add3_u32 v9, v9, v16, v17
	v_dual_lshlrev_b32 v8, 1, v8 :: v_dual_lshlrev_b32 v10, 1, v47
	v_dual_lshlrev_b32 v11, 1, v46 :: v_dual_lshlrev_b32 v7, 1, v7
	v_dual_lshlrev_b32 v12, 1, v51 :: v_dual_lshlrev_b32 v13, 1, v49
	v_dual_lshlrev_b32 v16, 1, v54 :: v_dual_lshlrev_b32 v5, 1, v5
	v_dual_lshlrev_b32 v18, 1, v58 :: v_dual_lshlrev_b32 v19, 1, v56
	v_dual_lshlrev_b32 v6, 1, v6 :: v_dual_lshlrev_b32 v17, 1, v53
	ds_store_b16 v9, v37 offset:2048
	v_add3_u32 v8, v8, v10, v11
	v_add3_u32 v9, v7, v12, v13
	;; [unrolled: 1-line block ×3, first 2 shown]
	v_dual_mov_b32 v7, 0 :: v_dual_lshlrev_b32 v5, 3, v1
	v_add3_u32 v6, v6, v16, v17
	ds_store_b16 v8, v41 offset:2048
	ds_store_b16 v9, v45 offset:2048
	;; [unrolled: 1-line block ×4, first 2 shown]
	s_and_saveexec_b32 s3, s2
	s_cbranch_execz .LBB2181_69
; %bb.60:
	v_lshl_add_u32 v6, s9, 8, v1
	v_dual_mov_b32 v10, 0 :: v_dual_bitop2_b32 v11, 2.0, v4 bitop3:0x54
	s_mov_b32 s4, 0
	s_mov_b32 s5, s9
	s_delay_alu instid0(VALU_DEP_2)
	v_lshl_add_u64 v[8:9], v[6:7], 2, s[10:11]
	global_store_b32 v6, v11, s[10:11] scale_offset scope:SCOPE_DEV
                                        ; implicit-def: $sgpr2
	s_branch .LBB2181_63
.LBB2181_61:                            ;   in Loop: Header=BB2181_63 Depth=1
	s_or_b32 exec_lo, exec_lo, s7
.LBB2181_62:                            ;   in Loop: Header=BB2181_63 Depth=1
	s_delay_alu instid0(SALU_CYCLE_1) | instskip(SKIP_2) | instid1(VALU_DEP_2)
	s_or_b32 exec_lo, exec_lo, s6
	v_and_b32_e32 v6, 0x3fffffff, v11
	v_cmp_gt_i32_e64 s2, -2.0, v11
	v_add_nc_u32_e32 v10, v6, v10
	s_and_b32 s6, exec_lo, s2
	s_delay_alu instid0(SALU_CYCLE_1) | instskip(NEXT) | instid1(SALU_CYCLE_1)
	s_or_b32 s4, s6, s4
	s_and_not1_b32 exec_lo, exec_lo, s4
	s_cbranch_execz .LBB2181_68
.LBB2181_63:                            ; =>This Loop Header: Depth=1
                                        ;     Child Loop BB2181_66 Depth 2
	s_or_b32 s2, s2, exec_lo
	s_cmp_eq_u32 s5, 0
	s_cbranch_scc1 .LBB2181_67
; %bb.64:                               ;   in Loop: Header=BB2181_63 Depth=1
	s_add_co_i32 s5, s5, -1
	s_mov_b32 s6, exec_lo
	s_wait_xcnt 0x0
	v_lshl_or_b32 v6, s5, 8, v1
	global_load_b32 v11, v6, s[10:11] scale_offset scope:SCOPE_DEV
	s_wait_loadcnt 0x0
	v_cmpx_gt_u32_e32 2.0, v11
	s_cbranch_execz .LBB2181_62
; %bb.65:                               ;   in Loop: Header=BB2181_63 Depth=1
	v_lshl_add_u64 v[12:13], v[6:7], 2, s[10:11]
	s_mov_b32 s7, 0
.LBB2181_66:                            ;   Parent Loop BB2181_63 Depth=1
                                        ; =>  This Inner Loop Header: Depth=2
	global_load_b32 v11, v[12:13], off scope:SCOPE_DEV
	s_wait_loadcnt 0x0
	v_cmp_lt_u32_e64 s2, 0x3fffffff, v11
	s_or_b32 s7, s2, s7
	s_wait_xcnt 0x0
	s_and_not1_b32 exec_lo, exec_lo, s7
	s_cbranch_execnz .LBB2181_66
	s_branch .LBB2181_61
.LBB2181_67:                            ;   in Loop: Header=BB2181_63 Depth=1
                                        ; implicit-def: $sgpr5
	s_and_b32 s6, exec_lo, s2
	s_delay_alu instid0(SALU_CYCLE_1)
	s_or_b32 s4, s6, s4
	s_wait_xcnt 0x0
	s_and_not1_b32 exec_lo, exec_lo, s4
	s_cbranch_execnz .LBB2181_63
.LBB2181_68:
	s_or_b32 exec_lo, exec_lo, s4
	v_dual_mov_b32 v11, 0 :: v_dual_add_nc_u32 v6, v10, v4
	s_delay_alu instid0(VALU_DEP_1) | instskip(SKIP_4) | instid1(VALU_DEP_1)
	v_or_b32_e32 v6, 0x80000000, v6
	global_store_b32 v[8:9], v6, off scope:SCOPE_DEV
	global_load_b64 v[6:7], v1, s[12:13] scale_offset
	v_sub_nc_u64_e32 v[8:9], v[10:11], v[2:3]
	s_wait_loadcnt 0x0
	v_add_nc_u64_e32 v[6:7], v[8:9], v[6:7]
	ds_store_b64 v5, v[6:7]
.LBB2181_69:
	s_wait_xcnt 0x0
	s_or_b32 exec_lo, exec_lo, s3
	v_mad_i32_i24 v8, v1, -6, v5
	v_lshlrev_b32_e32 v6, 1, v1
	s_mov_b32 s3, exec_lo
	s_wait_storecnt_dscnt 0x0
	s_barrier_signal -1
	s_barrier_wait -1
	v_cmpx_gt_u32_e64 s22, v1
	s_cbranch_execz .LBB2181_71
; %bb.70:
	ds_load_u16 v9, v8 offset:2048
	s_wait_dscnt 0x0
	v_cmp_ne_u16_e64 s2, 0x8000, v9
	s_delay_alu instid0(VALU_DEP_1) | instskip(SKIP_1) | instid1(VALU_DEP_2)
	v_cndmask_b32_e64 v7, 0x7fff, v9, s2
	v_cmp_gt_i16_e64 s2, 0, v9
	v_and_b32_e32 v7, 0xffff, v7
	s_delay_alu instid0(VALU_DEP_2) | instskip(NEXT) | instid1(VALU_DEP_2)
	v_cndmask_b32_e64 v12, 0x7fff, 0, s2
	v_lshrrev_b32_e32 v7, s20, v7
	s_delay_alu instid0(VALU_DEP_1) | instskip(NEXT) | instid1(VALU_DEP_1)
	v_and_b32_e32 v7, s25, v7
	v_lshlrev_b32_e32 v7, 3, v7
	ds_load_b64 v[10:11], v7
	v_mov_b32_e32 v7, 0
	s_wait_dscnt 0x0
	v_lshl_add_u64 v[10:11], v[10:11], 1, s[18:19]
	s_delay_alu instid0(VALU_DEP_1)
	v_add_nc_u64_e32 v[10:11], v[10:11], v[6:7]
	v_xor_b32_e32 v7, v12, v9
	global_store_b16 v[10:11], v7, off
.LBB2181_71:
	s_wait_xcnt 0x0
	s_or_b32 exec_lo, exec_lo, s3
	v_add_nc_u32_e32 v7, 0x200, v1
	s_mov_b32 s3, exec_lo
	s_delay_alu instid0(VALU_DEP_1)
	v_cmpx_gt_u32_e64 s22, v7
	s_cbranch_execz .LBB2181_73
; %bb.72:
	ds_load_u16 v9, v8 offset:3072
	s_wait_dscnt 0x0
	v_cmp_ne_u16_e64 s2, 0x8000, v9
	s_delay_alu instid0(VALU_DEP_1) | instskip(SKIP_1) | instid1(VALU_DEP_2)
	v_cndmask_b32_e64 v7, 0x7fff, v9, s2
	v_cmp_gt_i16_e64 s2, 0, v9
	v_and_b32_e32 v7, 0xffff, v7
	s_delay_alu instid0(VALU_DEP_2) | instskip(NEXT) | instid1(VALU_DEP_2)
	v_cndmask_b32_e64 v12, 0x7fff, 0, s2
	v_lshrrev_b32_e32 v7, s20, v7
	s_delay_alu instid0(VALU_DEP_1) | instskip(NEXT) | instid1(VALU_DEP_1)
	v_and_b32_e32 v7, s25, v7
	v_lshlrev_b32_e32 v7, 3, v7
	ds_load_b64 v[10:11], v7
	v_mov_b32_e32 v7, 0
	s_wait_dscnt 0x0
	v_lshl_add_u64 v[10:11], v[10:11], 1, s[18:19]
	s_delay_alu instid0(VALU_DEP_1)
	v_add_nc_u64_e32 v[10:11], v[10:11], v[6:7]
	v_xor_b32_e32 v7, v12, v9
	global_store_b16 v[10:11], v7, off offset:1024
.LBB2181_73:
	s_wait_xcnt 0x0
	s_or_b32 exec_lo, exec_lo, s3
	v_or_b32_e32 v7, 0x400, v1
	s_mov_b32 s3, exec_lo
	s_delay_alu instid0(VALU_DEP_1)
	v_cmpx_gt_u32_e64 s22, v7
	s_cbranch_execz .LBB2181_75
; %bb.74:
	ds_load_u16 v9, v8 offset:4096
	s_wait_dscnt 0x0
	v_cmp_ne_u16_e64 s2, 0x8000, v9
	s_delay_alu instid0(VALU_DEP_1) | instskip(SKIP_1) | instid1(VALU_DEP_2)
	v_cndmask_b32_e64 v7, 0x7fff, v9, s2
	v_cmp_gt_i16_e64 s2, 0, v9
	v_and_b32_e32 v7, 0xffff, v7
	s_delay_alu instid0(VALU_DEP_2) | instskip(NEXT) | instid1(VALU_DEP_2)
	v_cndmask_b32_e64 v12, 0x7fff, 0, s2
	v_lshrrev_b32_e32 v7, s20, v7
	s_delay_alu instid0(VALU_DEP_1) | instskip(NEXT) | instid1(VALU_DEP_1)
	v_and_b32_e32 v7, s25, v7
	v_lshlrev_b32_e32 v7, 3, v7
	ds_load_b64 v[10:11], v7
	v_mov_b32_e32 v7, 0
	s_wait_dscnt 0x0
	v_lshl_add_u64 v[10:11], v[10:11], 1, s[18:19]
	s_delay_alu instid0(VALU_DEP_1)
	v_add_nc_u64_e32 v[10:11], v[10:11], v[6:7]
	v_xor_b32_e32 v7, v12, v9
	global_store_b16 v[10:11], v7, off offset:2048
.LBB2181_75:
	s_wait_xcnt 0x0
	s_or_b32 exec_lo, exec_lo, s3
	v_add_nc_u32_e32 v7, 0x600, v1
	s_mov_b32 s3, exec_lo
	s_delay_alu instid0(VALU_DEP_1)
	v_cmpx_gt_u32_e64 s22, v7
	s_cbranch_execz .LBB2181_77
; %bb.76:
	ds_load_u16 v9, v8 offset:5120
	s_wait_dscnt 0x0
	v_cmp_ne_u16_e64 s2, 0x8000, v9
	s_delay_alu instid0(VALU_DEP_1) | instskip(SKIP_1) | instid1(VALU_DEP_2)
	v_cndmask_b32_e64 v7, 0x7fff, v9, s2
	v_cmp_gt_i16_e64 s2, 0, v9
	v_and_b32_e32 v7, 0xffff, v7
	s_delay_alu instid0(VALU_DEP_2) | instskip(NEXT) | instid1(VALU_DEP_2)
	v_cndmask_b32_e64 v12, 0x7fff, 0, s2
	v_lshrrev_b32_e32 v7, s20, v7
	s_delay_alu instid0(VALU_DEP_1) | instskip(NEXT) | instid1(VALU_DEP_1)
	v_and_b32_e32 v7, s25, v7
	v_lshlrev_b32_e32 v7, 3, v7
	ds_load_b64 v[10:11], v7
	v_mov_b32_e32 v7, 0
	s_wait_dscnt 0x0
	v_lshl_add_u64 v[10:11], v[10:11], 1, s[18:19]
	s_delay_alu instid0(VALU_DEP_1)
	v_add_nc_u64_e32 v[10:11], v[10:11], v[6:7]
	v_xor_b32_e32 v7, v12, v9
	global_store_b16 v[10:11], v7, off offset:3072
.LBB2181_77:
	s_wait_xcnt 0x0
	s_or_b32 exec_lo, exec_lo, s3
	v_or_b32_e32 v7, 0x800, v1
	s_mov_b32 s3, exec_lo
	s_delay_alu instid0(VALU_DEP_1)
	v_cmpx_gt_u32_e64 s22, v7
	s_cbranch_execz .LBB2181_79
; %bb.78:
	ds_load_u16 v9, v8 offset:6144
	s_wait_dscnt 0x0
	v_cmp_ne_u16_e64 s2, 0x8000, v9
	s_delay_alu instid0(VALU_DEP_1) | instskip(SKIP_1) | instid1(VALU_DEP_2)
	v_cndmask_b32_e64 v7, 0x7fff, v9, s2
	v_cmp_gt_i16_e64 s2, 0, v9
	v_and_b32_e32 v7, 0xffff, v7
	s_delay_alu instid0(VALU_DEP_2) | instskip(NEXT) | instid1(VALU_DEP_2)
	v_cndmask_b32_e64 v12, 0x7fff, 0, s2
	v_lshrrev_b32_e32 v7, s20, v7
	s_delay_alu instid0(VALU_DEP_1) | instskip(NEXT) | instid1(VALU_DEP_1)
	v_and_b32_e32 v7, s25, v7
	v_lshlrev_b32_e32 v7, 3, v7
	ds_load_b64 v[10:11], v7
	v_mov_b32_e32 v7, 0
	s_wait_dscnt 0x0
	v_lshl_add_u64 v[10:11], v[10:11], 1, s[18:19]
	s_delay_alu instid0(VALU_DEP_1)
	v_add_nc_u64_e32 v[10:11], v[10:11], v[6:7]
	v_xor_b32_e32 v7, v12, v9
	global_store_b16 v[10:11], v7, off offset:4096
.LBB2181_79:
	s_wait_xcnt 0x0
	s_or_b32 exec_lo, exec_lo, s3
	v_add_nc_u32_e32 v7, 0xa00, v1
	s_mov_b32 s3, exec_lo
	s_delay_alu instid0(VALU_DEP_1)
	v_cmpx_gt_u32_e64 s22, v7
	s_cbranch_execz .LBB2181_81
; %bb.80:
	ds_load_u16 v9, v8 offset:7168
	s_wait_dscnt 0x0
	v_cmp_ne_u16_e64 s2, 0x8000, v9
	s_delay_alu instid0(VALU_DEP_1) | instskip(SKIP_1) | instid1(VALU_DEP_2)
	v_cndmask_b32_e64 v7, 0x7fff, v9, s2
	v_cmp_gt_i16_e64 s2, 0, v9
	v_and_b32_e32 v7, 0xffff, v7
	s_delay_alu instid0(VALU_DEP_2) | instskip(NEXT) | instid1(VALU_DEP_2)
	v_cndmask_b32_e64 v12, 0x7fff, 0, s2
	v_lshrrev_b32_e32 v7, s20, v7
	s_delay_alu instid0(VALU_DEP_1) | instskip(NEXT) | instid1(VALU_DEP_1)
	v_and_b32_e32 v7, s25, v7
	v_lshlrev_b32_e32 v7, 3, v7
	ds_load_b64 v[10:11], v7
	v_mov_b32_e32 v7, 0
	s_wait_dscnt 0x0
	v_lshl_add_u64 v[10:11], v[10:11], 1, s[18:19]
	s_delay_alu instid0(VALU_DEP_1)
	v_add_nc_u64_e32 v[10:11], v[10:11], v[6:7]
	v_xor_b32_e32 v7, v12, v9
	global_store_b16 v[10:11], v7, off offset:5120
.LBB2181_81:
	s_wait_xcnt 0x0
	s_or_b32 exec_lo, exec_lo, s3
	v_or_b32_e32 v7, 0xc00, v1
	s_mov_b32 s3, exec_lo
	s_delay_alu instid0(VALU_DEP_1)
	v_cmpx_gt_u32_e64 s22, v7
	s_cbranch_execz .LBB2181_83
; %bb.82:
	ds_load_u16 v9, v8 offset:8192
	s_wait_dscnt 0x0
	v_cmp_ne_u16_e64 s2, 0x8000, v9
	s_delay_alu instid0(VALU_DEP_1) | instskip(SKIP_1) | instid1(VALU_DEP_2)
	v_cndmask_b32_e64 v7, 0x7fff, v9, s2
	v_cmp_gt_i16_e64 s2, 0, v9
	v_and_b32_e32 v7, 0xffff, v7
	s_delay_alu instid0(VALU_DEP_2) | instskip(NEXT) | instid1(VALU_DEP_2)
	v_cndmask_b32_e64 v12, 0x7fff, 0, s2
	v_lshrrev_b32_e32 v7, s20, v7
	s_delay_alu instid0(VALU_DEP_1) | instskip(NEXT) | instid1(VALU_DEP_1)
	v_and_b32_e32 v7, s25, v7
	v_lshlrev_b32_e32 v7, 3, v7
	ds_load_b64 v[10:11], v7
	v_mov_b32_e32 v7, 0
	s_wait_dscnt 0x0
	v_lshl_add_u64 v[10:11], v[10:11], 1, s[18:19]
	s_delay_alu instid0(VALU_DEP_1)
	v_add_nc_u64_e32 v[10:11], v[10:11], v[6:7]
	v_xor_b32_e32 v7, v12, v9
	global_store_b16 v[10:11], v7, off offset:6144
.LBB2181_83:
	s_wait_xcnt 0x0
	s_or_b32 exec_lo, exec_lo, s3
	v_add_nc_u32_e32 v7, 0xe00, v1
	s_mov_b32 s3, exec_lo
	s_delay_alu instid0(VALU_DEP_1)
	v_cmpx_gt_u32_e64 s22, v7
	s_cbranch_execz .LBB2181_85
; %bb.84:
	ds_load_u16 v10, v8 offset:9216
	s_wait_dscnt 0x0
	v_cmp_ne_u16_e64 s2, 0x8000, v10
	s_delay_alu instid0(VALU_DEP_1) | instskip(SKIP_1) | instid1(VALU_DEP_2)
	v_cndmask_b32_e64 v7, 0x7fff, v10, s2
	v_cmp_gt_i16_e64 s2, 0, v10
	v_and_b32_e32 v7, 0xffff, v7
	s_delay_alu instid0(VALU_DEP_2) | instskip(NEXT) | instid1(VALU_DEP_2)
	v_cndmask_b32_e64 v11, 0x7fff, 0, s2
	v_lshrrev_b32_e32 v7, s20, v7
	s_delay_alu instid0(VALU_DEP_1) | instskip(NEXT) | instid1(VALU_DEP_1)
	v_and_b32_e32 v7, s25, v7
	v_lshlrev_b32_e32 v7, 3, v7
	ds_load_b64 v[8:9], v7
	v_mov_b32_e32 v7, 0
	s_wait_dscnt 0x0
	v_lshl_add_u64 v[8:9], v[8:9], 1, s[18:19]
	s_delay_alu instid0(VALU_DEP_1)
	v_add_nc_u64_e32 v[8:9], v[8:9], v[6:7]
	v_xor_b32_e32 v7, v11, v10
	global_store_b16 v[8:9], v7, off offset:7168
.LBB2181_85:
	s_wait_xcnt 0x0
	s_or_b32 exec_lo, exec_lo, s3
	v_or_b32_e32 v7, 0x1000, v1
	s_mov_b32 s3, exec_lo
	s_delay_alu instid0(VALU_DEP_1)
	v_cmpx_gt_u32_e64 s22, v7
	s_cbranch_execz .LBB2181_87
; %bb.86:
	ds_load_u16 v10, v6 offset:10240
	s_wait_dscnt 0x0
	v_cmp_ne_u16_e64 s2, 0x8000, v10
	s_delay_alu instid0(VALU_DEP_1) | instskip(SKIP_1) | instid1(VALU_DEP_2)
	v_cndmask_b32_e64 v7, 0x7fff, v10, s2
	v_cmp_gt_i16_e64 s2, 0, v10
	v_and_b32_e32 v7, 0xffff, v7
	s_delay_alu instid0(VALU_DEP_2) | instskip(NEXT) | instid1(VALU_DEP_2)
	v_cndmask_b32_e64 v11, 0x7fff, 0, s2
	v_lshrrev_b32_e32 v7, s20, v7
	s_delay_alu instid0(VALU_DEP_1) | instskip(NEXT) | instid1(VALU_DEP_1)
	v_and_b32_e32 v7, s25, v7
	v_lshlrev_b32_e32 v7, 3, v7
	ds_load_b64 v[8:9], v7
	v_mov_b32_e32 v7, 0
	s_wait_dscnt 0x0
	v_lshl_add_u64 v[8:9], v[8:9], 1, s[18:19]
	s_delay_alu instid0(VALU_DEP_1)
	v_add_nc_u64_e32 v[8:9], v[8:9], v[6:7]
	v_xor_b32_e32 v7, v11, v10
	global_store_b16 v[8:9], v7, off offset:8192
.LBB2181_87:
	s_wait_xcnt 0x0
	s_or_b32 exec_lo, exec_lo, s3
	v_add_nc_u32_e32 v7, 0x1200, v1
	s_mov_b32 s3, exec_lo
	s_delay_alu instid0(VALU_DEP_1)
	v_cmpx_gt_u32_e64 s22, v7
	s_cbranch_execz .LBB2181_89
; %bb.88:
	ds_load_u16 v10, v6 offset:11264
	s_wait_dscnt 0x0
	v_cmp_ne_u16_e64 s2, 0x8000, v10
	s_delay_alu instid0(VALU_DEP_1) | instskip(SKIP_1) | instid1(VALU_DEP_2)
	v_cndmask_b32_e64 v7, 0x7fff, v10, s2
	v_cmp_gt_i16_e64 s2, 0, v10
	v_and_b32_e32 v7, 0xffff, v7
	s_delay_alu instid0(VALU_DEP_2) | instskip(NEXT) | instid1(VALU_DEP_2)
	v_cndmask_b32_e64 v11, 0x7fff, 0, s2
	v_lshrrev_b32_e32 v7, s20, v7
	s_delay_alu instid0(VALU_DEP_1) | instskip(NEXT) | instid1(VALU_DEP_1)
	v_and_b32_e32 v7, s25, v7
	v_lshlrev_b32_e32 v7, 3, v7
	ds_load_b64 v[8:9], v7
	v_mov_b32_e32 v7, 0
	s_wait_dscnt 0x0
	v_lshl_add_u64 v[8:9], v[8:9], 1, s[18:19]
	s_delay_alu instid0(VALU_DEP_1)
	v_add_nc_u64_e32 v[8:9], v[8:9], v[6:7]
	v_xor_b32_e32 v7, v11, v10
	global_store_b16 v[8:9], v7, off offset:9216
.LBB2181_89:
	s_wait_xcnt 0x0
	s_or_b32 exec_lo, exec_lo, s3
	v_or_b32_e32 v7, 0x1400, v1
	s_mov_b32 s3, exec_lo
	s_delay_alu instid0(VALU_DEP_1)
	v_cmpx_gt_u32_e64 s22, v7
	s_cbranch_execz .LBB2181_91
; %bb.90:
	ds_load_u16 v10, v6 offset:12288
	s_wait_dscnt 0x0
	v_cmp_ne_u16_e64 s2, 0x8000, v10
	s_delay_alu instid0(VALU_DEP_1) | instskip(SKIP_1) | instid1(VALU_DEP_2)
	v_cndmask_b32_e64 v7, 0x7fff, v10, s2
	v_cmp_gt_i16_e64 s2, 0, v10
	v_and_b32_e32 v7, 0xffff, v7
	s_delay_alu instid0(VALU_DEP_2) | instskip(NEXT) | instid1(VALU_DEP_2)
	v_cndmask_b32_e64 v11, 0x7fff, 0, s2
	v_lshrrev_b32_e32 v7, s20, v7
	s_delay_alu instid0(VALU_DEP_1) | instskip(NEXT) | instid1(VALU_DEP_1)
	v_and_b32_e32 v7, s25, v7
	v_lshlrev_b32_e32 v7, 3, v7
	ds_load_b64 v[8:9], v7
	v_mov_b32_e32 v7, 0
	s_wait_dscnt 0x0
	v_lshl_add_u64 v[8:9], v[8:9], 1, s[18:19]
	s_delay_alu instid0(VALU_DEP_1)
	v_add_nc_u64_e32 v[8:9], v[8:9], v[6:7]
	v_xor_b32_e32 v7, v11, v10
	global_store_b16 v[8:9], v7, off offset:10240
.LBB2181_91:
	s_wait_xcnt 0x0
	s_or_b32 exec_lo, exec_lo, s3
	v_add_nc_u32_e32 v7, 0x1600, v1
	s_mov_b32 s3, exec_lo
	s_delay_alu instid0(VALU_DEP_1)
	v_cmpx_gt_u32_e64 s22, v7
	s_cbranch_execz .LBB2181_93
; %bb.92:
	ds_load_u16 v10, v6 offset:13312
	s_wait_dscnt 0x0
	v_cmp_ne_u16_e64 s2, 0x8000, v10
	s_delay_alu instid0(VALU_DEP_1) | instskip(SKIP_1) | instid1(VALU_DEP_2)
	v_cndmask_b32_e64 v7, 0x7fff, v10, s2
	v_cmp_gt_i16_e64 s2, 0, v10
	v_and_b32_e32 v7, 0xffff, v7
	s_delay_alu instid0(VALU_DEP_2) | instskip(NEXT) | instid1(VALU_DEP_2)
	v_cndmask_b32_e64 v11, 0x7fff, 0, s2
	v_lshrrev_b32_e32 v7, s20, v7
	s_delay_alu instid0(VALU_DEP_1) | instskip(NEXT) | instid1(VALU_DEP_1)
	v_and_b32_e32 v7, s25, v7
	v_lshlrev_b32_e32 v7, 3, v7
	ds_load_b64 v[8:9], v7
	v_mov_b32_e32 v7, 0
	s_wait_dscnt 0x0
	v_lshl_add_u64 v[8:9], v[8:9], 1, s[18:19]
	s_delay_alu instid0(VALU_DEP_1)
	v_add_nc_u64_e32 v[6:7], v[8:9], v[6:7]
	v_xor_b32_e32 v8, v11, v10
	global_store_b16 v[6:7], v8, off offset:11264
.LBB2181_93:
	s_wait_xcnt 0x0
	s_or_b32 exec_lo, exec_lo, s3
	s_add_co_i32 s23, s23, -1
	s_delay_alu instid0(SALU_CYCLE_1) | instskip(SKIP_2) | instid1(SALU_CYCLE_1)
	s_cmp_eq_u32 s9, s23
	s_cselect_b32 s2, -1, 0
	s_xor_b32 s3, vcc_lo, -1
	s_and_b32 s3, s3, s2
	s_delay_alu instid0(SALU_CYCLE_1)
	s_and_saveexec_b32 s2, s3
	s_cbranch_execz .LBB2181_95
; %bb.94:
	ds_load_b64 v[6:7], v5
	v_mov_b32_e32 v5, 0
	s_delay_alu instid0(VALU_DEP_1) | instskip(SKIP_1) | instid1(VALU_DEP_1)
	v_add_nc_u64_e32 v[2:3], v[2:3], v[4:5]
	s_wait_dscnt 0x0
	v_add_nc_u64_e32 v[2:3], v[2:3], v[6:7]
	global_store_b64 v1, v[2:3], s[14:15] scale_offset
.LBB2181_95:
	s_wait_xcnt 0x0
	s_or_b32 exec_lo, exec_lo, s2
	s_mov_b32 s2, 0
.LBB2181_96:
	s_delay_alu instid0(SALU_CYCLE_1)
	s_and_b32 vcc_lo, exec_lo, s2
	s_cbranch_vccz .LBB2181_143
; %bb.97:
	s_mov_b32 s25, 0
	v_dual_mov_b32 v9, 0 :: v_dual_lshlrev_b32 v8, 1, v14
	s_lshl_b64 s[2:3], s[24:25], 1
	v_mul_u32_u24_e32 v1, 12, v15
	s_add_nc_u64 s[2:3], s[16:17], s[2:3]
	v_bfe_u32 v17, v0, 20, 10
	v_add_nc_u64_e32 v[2:3], s[2:3], v[8:9]
	s_delay_alu instid0(VALU_DEP_3) | instskip(NEXT) | instid1(VALU_DEP_1)
	v_lshlrev_b32_e32 v8, 1, v1
	v_add_nc_u64_e32 v[12:13], v[2:3], v[8:9]
	s_clause 0xb
	global_load_u16 v8, v[12:13], off
	global_load_u16 v10, v[12:13], off offset:64
	global_load_u16 v16, v[12:13], off offset:128
	;; [unrolled: 1-line block ×11, first 2 shown]
	s_clause 0x1
	s_load_b32 s7, s[0:1], 0x58
	s_load_u16 s2, s[0:1], 0x66
	v_bfe_u32 v13, v0, 10, 10
	v_and_b32_e32 v12, 0x3ff, v0
	s_wait_kmcnt 0x0
	s_cmp_lt_u32 s9, s7
	s_delay_alu instid0(VALU_DEP_2)
	v_mad_u32_u24 v0, v17, s2, v13
	s_cselect_b32 s24, 12, 18
	s_lshl_b32 s8, -1, s21
	s_add_nc_u64 s[0:1], s[26:27], s[24:25]
	s_load_u16 s16, s[0:1], 0x0
	s_wait_kmcnt 0x0
	v_mad_u32 v0, v0, s16, v12
	s_delay_alu instid0(VALU_DEP_1) | instskip(NEXT) | instid1(VALU_DEP_1)
	v_lshrrev_b32_e32 v0, 5, v0
	v_lshlrev_b32_e32 v0, 2, v0
	s_wait_loadcnt 0xb
	v_cmp_gt_i16_e32 vcc_lo, 0, v8
	v_cndmask_b32_e64 v11, 0x7fff, 0, vcc_lo
	s_delay_alu instid0(VALU_DEP_1) | instskip(NEXT) | instid1(VALU_DEP_1)
	v_xor_b32_e32 v8, v11, v8
	v_cmp_ne_u16_e32 vcc_lo, 0x8000, v8
	v_cndmask_b32_e32 v11, 0x7fff, v8, vcc_lo
	s_delay_alu instid0(VALU_DEP_1) | instskip(NEXT) | instid1(VALU_DEP_1)
	v_and_b32_e32 v11, 0xffff, v11
	v_lshrrev_b32_e32 v11, s20, v11
	s_delay_alu instid0(VALU_DEP_1) | instskip(SKIP_2) | instid1(VALU_DEP_2)
	v_bitop3_b32 v13, v11, 1, s8 bitop3:0x40
	v_bitop3_b32 v18, v11, s8, v11 bitop3:0x30
	s_not_b32 s8, s8
	v_add_co_u32 v11, s0, v13, -1
	s_delay_alu instid0(VALU_DEP_1) | instskip(NEXT) | instid1(VALU_DEP_3)
	v_cndmask_b32_e64 v13, 0, 1, s0
	v_dual_lshlrev_b32 v17, 30, v18 :: v_dual_lshlrev_b32 v19, 29, v18
	v_dual_lshlrev_b32 v21, 28, v18 :: v_dual_lshlrev_b32 v22, 27, v18
	s_delay_alu instid0(VALU_DEP_3) | instskip(NEXT) | instid1(VALU_DEP_3)
	v_cmp_ne_u32_e32 vcc_lo, 0, v13
	v_not_b32_e32 v13, v17
	v_dual_lshlrev_b32 v23, 26, v18 :: v_dual_lshlrev_b32 v25, 25, v18
	v_lshlrev_b32_e32 v26, 24, v18
	v_cmp_gt_i32_e64 s0, 0, v17
	v_cmp_gt_i32_e64 s1, 0, v19
	v_not_b32_e32 v17, v19
	v_not_b32_e32 v19, v21
	v_ashrrev_i32_e32 v13, 31, v13
	v_cmp_gt_i32_e64 s2, 0, v21
	v_cmp_gt_i32_e64 s3, 0, v22
	v_not_b32_e32 v21, v22
	v_not_b32_e32 v22, v23
	v_dual_ashrrev_i32 v17, 31, v17 :: v_dual_bitop2_b32 v11, vcc_lo, v11 bitop3:0x14
	v_dual_ashrrev_i32 v19, 31, v19 :: v_dual_bitop2_b32 v13, s0, v13 bitop3:0x14
	v_cmp_gt_i32_e64 s4, 0, v23
	v_cmp_gt_i32_e64 s5, 0, v25
	v_not_b32_e32 v23, v25
	v_not_b32_e32 v25, v26
	v_dual_ashrrev_i32 v21, 31, v21 :: v_dual_ashrrev_i32 v22, 31, v22
	v_xor_b32_e32 v17, s1, v17
	v_xor_b32_e32 v19, s2, v19
	v_bitop3_b32 v11, v11, v13, exec_lo bitop3:0x80
	v_cmp_gt_i32_e64 s6, 0, v26
	v_dual_ashrrev_i32 v13, 31, v23 :: v_dual_ashrrev_i32 v23, 31, v25
	v_xor_b32_e32 v21, s3, v21
	v_xor_b32_e32 v22, s4, v22
	v_bitop3_b32 v11, v11, v19, v17 bitop3:0x80
	s_delay_alu instid0(VALU_DEP_4) | instskip(SKIP_1) | instid1(VALU_DEP_3)
	v_xor_b32_e32 v13, s5, v13
	v_xor_b32_e32 v17, s6, v23
	v_bitop3_b32 v19, v11, v22, v21 bitop3:0x80
	v_mul_u32_u24_e32 v11, 36, v12
	ds_store_2addr_b32 v11, v9, v9 offset0:16 offset1:17
	ds_store_2addr_b32 v11, v9, v9 offset0:18 offset1:19
	;; [unrolled: 1-line block ×4, first 2 shown]
	v_bitop3_b32 v17, v19, v17, v13 bitop3:0x80
	ds_store_b32 v11, v9 offset:96
	v_mad_u32_u24 v13, 0x44, v18, v0
	s_wait_storecnt 0x0
	s_wait_loadcnt_dscnt 0x0
	s_barrier_signal -1
	v_mbcnt_lo_u32_b32 v9, v17, 0
	v_cmp_ne_u32_e64 s0, 0, v17
	s_barrier_wait -1
	s_delay_alu instid0(VALU_DEP_2) | instskip(SKIP_1) | instid1(SALU_CYCLE_1)
	v_cmp_eq_u32_e32 vcc_lo, 0, v9
	; wave barrier
	s_and_b32 s1, s0, vcc_lo
	s_and_saveexec_b32 s0, s1
; %bb.98:
	v_bcnt_u32_b32 v17, v17, 0
	ds_store_b32 v13, v17 offset:64
; %bb.99:
	s_or_b32 exec_lo, exec_lo, s0
	v_cmp_gt_i16_e32 vcc_lo, 0, v10
	; wave barrier
	v_cndmask_b32_e64 v17, 0x7fff, 0, vcc_lo
	s_delay_alu instid0(VALU_DEP_1) | instskip(NEXT) | instid1(VALU_DEP_1)
	v_xor_b32_e32 v10, v17, v10
	v_cmp_ne_u16_e32 vcc_lo, 0x8000, v10
	v_cndmask_b32_e32 v17, 0x7fff, v10, vcc_lo
	s_delay_alu instid0(VALU_DEP_1) | instskip(NEXT) | instid1(VALU_DEP_1)
	v_and_b32_e32 v17, 0xffff, v17
	v_lshrrev_b32_e32 v17, s20, v17
	s_delay_alu instid0(VALU_DEP_1) | instskip(SKIP_1) | instid1(VALU_DEP_2)
	v_bitop3_b32 v18, v17, 1, s8 bitop3:0x80
	v_and_b32_e32 v17, s8, v17
	v_add_co_u32 v18, s0, v18, -1
	s_delay_alu instid0(VALU_DEP_1) | instskip(NEXT) | instid1(VALU_DEP_3)
	v_cndmask_b32_e64 v19, 0, 1, s0
	v_lshlrev_b32_e32 v21, 30, v17
	s_delay_alu instid0(VALU_DEP_2) | instskip(NEXT) | instid1(VALU_DEP_2)
	v_cmp_ne_u32_e32 vcc_lo, 0, v19
	v_not_b32_e32 v19, v21
	s_delay_alu instid0(VALU_DEP_1) | instskip(SKIP_4) | instid1(VALU_DEP_4)
	v_dual_ashrrev_i32 v19, 31, v19 :: v_dual_bitop2_b32 v18, vcc_lo, v18 bitop3:0x14
	v_dual_lshlrev_b32 v22, 29, v17 :: v_dual_lshlrev_b32 v23, 28, v17
	v_dual_lshlrev_b32 v25, 27, v17 :: v_dual_lshlrev_b32 v26, 26, v17
	v_lshlrev_b32_e32 v27, 25, v17
	v_cmp_gt_i32_e64 s0, 0, v21
	v_cmp_gt_i32_e64 s1, 0, v22
	v_not_b32_e32 v21, v22
	v_not_b32_e32 v22, v23
	v_lshlrev_b32_e32 v28, 24, v17
	v_cmp_gt_i32_e64 s2, 0, v23
	v_cmp_gt_i32_e64 s3, 0, v25
	v_not_b32_e32 v23, v25
	v_not_b32_e32 v25, v26
	v_dual_ashrrev_i32 v21, 31, v21 :: v_dual_ashrrev_i32 v22, 31, v22
	v_xor_b32_e32 v19, s0, v19
	v_cmp_gt_i32_e64 s4, 0, v26
	v_cmp_gt_i32_e64 s5, 0, v27
	v_not_b32_e32 v26, v27
	v_not_b32_e32 v27, v28
	v_dual_ashrrev_i32 v23, 31, v23 :: v_dual_bitop2_b32 v21, s1, v21 bitop3:0x14
	v_dual_ashrrev_i32 v25, 31, v25 :: v_dual_bitop2_b32 v22, s2, v22 bitop3:0x14
	s_delay_alu instid0(VALU_DEP_3) | instskip(SKIP_4) | instid1(VALU_DEP_4)
	v_ashrrev_i32_e32 v27, 31, v27
	v_bitop3_b32 v18, v18, v19, exec_lo bitop3:0x80
	v_cmp_gt_i32_e64 s6, 0, v28
	v_dual_ashrrev_i32 v26, 31, v26 :: v_dual_bitop2_b32 v23, s3, v23 bitop3:0x14
	v_xor_b32_e32 v25, s4, v25
	v_bitop3_b32 v18, v18, v22, v21 bitop3:0x80
	v_mad_u32_u24 v19, 0x44, v17, v0
	s_delay_alu instid0(VALU_DEP_4) | instskip(SKIP_1) | instid1(VALU_DEP_4)
	v_xor_b32_e32 v21, s5, v26
	v_xor_b32_e32 v22, s6, v27
	v_bitop3_b32 v18, v18, v25, v23 bitop3:0x80
	ds_load_b32 v17, v19 offset:64
	; wave barrier
	v_bitop3_b32 v21, v18, v22, v21 bitop3:0x80
	s_delay_alu instid0(VALU_DEP_1) | instskip(SKIP_1) | instid1(VALU_DEP_2)
	v_mbcnt_lo_u32_b32 v18, v21, 0
	v_cmp_ne_u32_e64 s0, 0, v21
	v_cmp_eq_u32_e32 vcc_lo, 0, v18
	s_and_b32 s1, s0, vcc_lo
	s_delay_alu instid0(SALU_CYCLE_1)
	s_and_saveexec_b32 s0, s1
	s_cbranch_execz .LBB2181_101
; %bb.100:
	s_wait_dscnt 0x0
	v_bcnt_u32_b32 v21, v21, v17
	ds_store_b32 v19, v21 offset:64
.LBB2181_101:
	s_or_b32 exec_lo, exec_lo, s0
	v_cmp_gt_i16_e32 vcc_lo, 0, v16
	; wave barrier
	v_cndmask_b32_e64 v21, 0x7fff, 0, vcc_lo
	s_delay_alu instid0(VALU_DEP_1) | instskip(NEXT) | instid1(VALU_DEP_1)
	v_xor_b32_e32 v16, v21, v16
	v_cmp_ne_u16_e32 vcc_lo, 0x8000, v16
	v_cndmask_b32_e32 v21, 0x7fff, v16, vcc_lo
	s_delay_alu instid0(VALU_DEP_1) | instskip(NEXT) | instid1(VALU_DEP_1)
	v_and_b32_e32 v21, 0xffff, v21
	v_lshrrev_b32_e32 v21, s20, v21
	s_delay_alu instid0(VALU_DEP_1) | instskip(SKIP_1) | instid1(VALU_DEP_2)
	v_bitop3_b32 v22, v21, 1, s8 bitop3:0x80
	v_and_b32_e32 v21, s8, v21
	v_add_co_u32 v22, s0, v22, -1
	s_delay_alu instid0(VALU_DEP_1) | instskip(NEXT) | instid1(VALU_DEP_3)
	v_cndmask_b32_e64 v23, 0, 1, s0
	v_lshlrev_b32_e32 v25, 30, v21
	s_delay_alu instid0(VALU_DEP_2) | instskip(NEXT) | instid1(VALU_DEP_2)
	v_cmp_ne_u32_e32 vcc_lo, 0, v23
	v_not_b32_e32 v23, v25
	s_delay_alu instid0(VALU_DEP_1) | instskip(SKIP_4) | instid1(VALU_DEP_4)
	v_dual_ashrrev_i32 v23, 31, v23 :: v_dual_bitop2_b32 v22, vcc_lo, v22 bitop3:0x14
	v_dual_lshlrev_b32 v26, 29, v21 :: v_dual_lshlrev_b32 v27, 28, v21
	v_dual_lshlrev_b32 v28, 27, v21 :: v_dual_lshlrev_b32 v29, 26, v21
	v_lshlrev_b32_e32 v30, 25, v21
	v_cmp_gt_i32_e64 s0, 0, v25
	v_cmp_gt_i32_e64 s1, 0, v26
	v_not_b32_e32 v25, v26
	v_not_b32_e32 v26, v27
	v_lshlrev_b32_e32 v31, 24, v21
	v_cmp_gt_i32_e64 s2, 0, v27
	v_cmp_gt_i32_e64 s3, 0, v28
	v_not_b32_e32 v27, v28
	v_not_b32_e32 v28, v29
	v_dual_ashrrev_i32 v25, 31, v25 :: v_dual_bitop2_b32 v23, s0, v23 bitop3:0x14
	v_ashrrev_i32_e32 v26, 31, v26
	v_cmp_gt_i32_e64 s4, 0, v29
	v_cmp_gt_i32_e64 s5, 0, v30
	v_not_b32_e32 v29, v30
	v_not_b32_e32 v30, v31
	v_dual_ashrrev_i32 v27, 31, v27 :: v_dual_ashrrev_i32 v28, 31, v28
	v_xor_b32_e32 v25, s1, v25
	s_delay_alu instid0(VALU_DEP_4) | instskip(SKIP_4) | instid1(VALU_DEP_4)
	v_dual_ashrrev_i32 v29, 31, v29 :: v_dual_bitop2_b32 v26, s2, v26 bitop3:0x14
	v_bitop3_b32 v22, v22, v23, exec_lo bitop3:0x80
	v_cmp_gt_i32_e64 s6, 0, v31
	v_dual_ashrrev_i32 v30, 31, v30 :: v_dual_bitop2_b32 v27, s3, v27 bitop3:0x14
	v_xor_b32_e32 v28, s4, v28
	v_bitop3_b32 v22, v22, v26, v25 bitop3:0x80
	v_mad_u32_u24 v23, 0x44, v21, v0
	v_xor_b32_e32 v25, s5, v29
	v_xor_b32_e32 v26, s6, v30
	s_delay_alu instid0(VALU_DEP_4) | instskip(SKIP_2) | instid1(VALU_DEP_1)
	v_bitop3_b32 v22, v22, v28, v27 bitop3:0x80
	ds_load_b32 v21, v23 offset:64
	; wave barrier
	v_bitop3_b32 v25, v22, v26, v25 bitop3:0x80
	v_mbcnt_lo_u32_b32 v22, v25, 0
	v_cmp_ne_u32_e64 s0, 0, v25
	s_delay_alu instid0(VALU_DEP_2) | instskip(SKIP_1) | instid1(SALU_CYCLE_1)
	v_cmp_eq_u32_e32 vcc_lo, 0, v22
	s_and_b32 s1, s0, vcc_lo
	s_and_saveexec_b32 s0, s1
	s_cbranch_execz .LBB2181_103
; %bb.102:
	s_wait_dscnt 0x0
	v_bcnt_u32_b32 v25, v25, v21
	ds_store_b32 v23, v25 offset:64
.LBB2181_103:
	s_or_b32 exec_lo, exec_lo, s0
	v_cmp_gt_i16_e32 vcc_lo, 0, v20
	; wave barrier
	v_cndmask_b32_e64 v25, 0x7fff, 0, vcc_lo
	s_delay_alu instid0(VALU_DEP_1) | instskip(NEXT) | instid1(VALU_DEP_1)
	v_xor_b32_e32 v20, v25, v20
	v_cmp_ne_u16_e32 vcc_lo, 0x8000, v20
	v_cndmask_b32_e32 v25, 0x7fff, v20, vcc_lo
	s_delay_alu instid0(VALU_DEP_1) | instskip(NEXT) | instid1(VALU_DEP_1)
	v_and_b32_e32 v25, 0xffff, v25
	v_lshrrev_b32_e32 v25, s20, v25
	s_delay_alu instid0(VALU_DEP_1) | instskip(SKIP_1) | instid1(VALU_DEP_2)
	v_bitop3_b32 v26, v25, 1, s8 bitop3:0x80
	v_and_b32_e32 v25, s8, v25
	v_add_co_u32 v26, s0, v26, -1
	s_delay_alu instid0(VALU_DEP_1) | instskip(NEXT) | instid1(VALU_DEP_3)
	v_cndmask_b32_e64 v27, 0, 1, s0
	v_lshlrev_b32_e32 v28, 30, v25
	s_delay_alu instid0(VALU_DEP_2) | instskip(NEXT) | instid1(VALU_DEP_2)
	v_cmp_ne_u32_e32 vcc_lo, 0, v27
	v_not_b32_e32 v27, v28
	s_delay_alu instid0(VALU_DEP_1) | instskip(SKIP_4) | instid1(VALU_DEP_4)
	v_dual_ashrrev_i32 v27, 31, v27 :: v_dual_bitop2_b32 v26, vcc_lo, v26 bitop3:0x14
	v_dual_lshlrev_b32 v29, 29, v25 :: v_dual_lshlrev_b32 v30, 28, v25
	v_dual_lshlrev_b32 v31, 27, v25 :: v_dual_lshlrev_b32 v32, 26, v25
	v_lshlrev_b32_e32 v33, 25, v25
	v_cmp_gt_i32_e64 s0, 0, v28
	v_cmp_gt_i32_e64 s1, 0, v29
	v_not_b32_e32 v28, v29
	v_not_b32_e32 v29, v30
	v_lshlrev_b32_e32 v34, 24, v25
	v_cmp_gt_i32_e64 s2, 0, v30
	v_cmp_gt_i32_e64 s3, 0, v31
	v_not_b32_e32 v30, v31
	v_cmp_gt_i32_e64 s4, 0, v32
	v_not_b32_e32 v31, v32
	v_not_b32_e32 v32, v33
	v_dual_ashrrev_i32 v28, 31, v28 :: v_dual_ashrrev_i32 v29, 31, v29
	v_xor_b32_e32 v27, s0, v27
	v_cmp_gt_i32_e64 s5, 0, v33
	v_not_b32_e32 v33, v34
	v_dual_ashrrev_i32 v30, 31, v30 :: v_dual_ashrrev_i32 v31, 31, v31
	v_xor_b32_e32 v28, s1, v28
	v_dual_ashrrev_i32 v32, 31, v32 :: v_dual_bitop2_b32 v29, s2, v29 bitop3:0x14
	v_bitop3_b32 v26, v26, v27, exec_lo bitop3:0x80
	v_cmp_gt_i32_e64 s6, 0, v34
	v_dual_ashrrev_i32 v33, 31, v33 :: v_dual_bitop2_b32 v30, s3, v30 bitop3:0x14
	v_xor_b32_e32 v31, s4, v31
	s_delay_alu instid0(VALU_DEP_4) | instskip(SKIP_3) | instid1(VALU_DEP_4)
	v_bitop3_b32 v26, v26, v29, v28 bitop3:0x80
	v_mad_u32_u24 v27, 0x44, v25, v0
	v_xor_b32_e32 v28, s5, v32
	v_xor_b32_e32 v29, s6, v33
	v_bitop3_b32 v26, v26, v31, v30 bitop3:0x80
	ds_load_b32 v25, v27 offset:64
	; wave barrier
	v_bitop3_b32 v28, v26, v29, v28 bitop3:0x80
	s_delay_alu instid0(VALU_DEP_1) | instskip(SKIP_1) | instid1(VALU_DEP_2)
	v_mbcnt_lo_u32_b32 v26, v28, 0
	v_cmp_ne_u32_e64 s0, 0, v28
	v_cmp_eq_u32_e32 vcc_lo, 0, v26
	s_and_b32 s1, s0, vcc_lo
	s_delay_alu instid0(SALU_CYCLE_1)
	s_and_saveexec_b32 s0, s1
	s_cbranch_execz .LBB2181_105
; %bb.104:
	s_wait_dscnt 0x0
	v_bcnt_u32_b32 v28, v28, v25
	ds_store_b32 v27, v28 offset:64
.LBB2181_105:
	s_or_b32 exec_lo, exec_lo, s0
	v_cmp_gt_i16_e32 vcc_lo, 0, v24
	; wave barrier
	v_cndmask_b32_e64 v28, 0x7fff, 0, vcc_lo
	s_delay_alu instid0(VALU_DEP_1) | instskip(NEXT) | instid1(VALU_DEP_1)
	v_xor_b32_e32 v24, v28, v24
	v_cmp_ne_u16_e32 vcc_lo, 0x8000, v24
	v_cndmask_b32_e32 v28, 0x7fff, v24, vcc_lo
	s_delay_alu instid0(VALU_DEP_1) | instskip(NEXT) | instid1(VALU_DEP_1)
	v_and_b32_e32 v28, 0xffff, v28
	v_lshrrev_b32_e32 v28, s20, v28
	s_delay_alu instid0(VALU_DEP_1) | instskip(NEXT) | instid1(VALU_DEP_1)
	v_bitop3_b32 v29, v28, 1, s8 bitop3:0x80
	v_add_co_u32 v29, s0, v29, -1
	s_delay_alu instid0(VALU_DEP_1) | instskip(NEXT) | instid1(VALU_DEP_1)
	v_cndmask_b32_e64 v30, 0, 1, s0
	v_cmp_ne_u32_e32 vcc_lo, 0, v30
	s_delay_alu instid0(VALU_DEP_3) | instskip(SKIP_1) | instid1(VALU_DEP_1)
	v_xor_b32_e32 v29, vcc_lo, v29
	v_and_b32_e32 v28, s8, v28
	v_dual_lshlrev_b32 v31, 30, v28 :: v_dual_lshlrev_b32 v32, 29, v28
	v_dual_lshlrev_b32 v33, 28, v28 :: v_dual_lshlrev_b32 v34, 27, v28
	s_delay_alu instid0(VALU_DEP_2) | instskip(SKIP_1) | instid1(VALU_DEP_4)
	v_cmp_gt_i32_e64 s0, 0, v31
	v_not_b32_e32 v30, v31
	v_cmp_gt_i32_e64 s1, 0, v32
	v_not_b32_e32 v31, v32
	v_cmp_gt_i32_e64 s2, 0, v33
	v_not_b32_e32 v32, v33
	v_not_b32_e32 v33, v34
	v_ashrrev_i32_e32 v30, 31, v30
	v_cmp_gt_i32_e64 s3, 0, v34
	s_delay_alu instid0(VALU_DEP_3) | instskip(SKIP_1) | instid1(VALU_DEP_4)
	v_dual_ashrrev_i32 v31, 31, v31 :: v_dual_ashrrev_i32 v33, 31, v33
	v_dual_lshlrev_b32 v35, 26, v28 :: v_dual_lshlrev_b32 v36, 25, v28
	v_dual_lshlrev_b32 v37, 24, v28 :: v_dual_bitop2_b32 v30, s0, v30 bitop3:0x14
	s_delay_alu instid0(VALU_DEP_3) | instskip(NEXT) | instid1(VALU_DEP_3)
	v_xor_b32_e32 v33, s3, v33
	v_not_b32_e32 v34, v35
	v_ashrrev_i32_e32 v32, 31, v32
	v_cmp_gt_i32_e64 s4, 0, v35
	v_cmp_gt_i32_e64 s5, 0, v36
	v_not_b32_e32 v35, v36
	v_not_b32_e32 v36, v37
	v_dual_ashrrev_i32 v34, 31, v34 :: v_dual_bitop2_b32 v31, s1, v31 bitop3:0x14
	v_xor_b32_e32 v32, s2, v32
	v_bitop3_b32 v29, v29, v30, exec_lo bitop3:0x80
	v_cmp_gt_i32_e64 s6, 0, v37
	v_dual_ashrrev_i32 v30, 31, v35 :: v_dual_ashrrev_i32 v35, 31, v36
	v_xor_b32_e32 v34, s4, v34
	s_delay_alu instid0(VALU_DEP_4) | instskip(SKIP_1) | instid1(VALU_DEP_4)
	v_bitop3_b32 v29, v29, v32, v31 bitop3:0x80
	v_mad_u32_u24 v31, 0x44, v28, v0
	v_xor_b32_e32 v30, s5, v30
	v_xor_b32_e32 v32, s6, v35
	s_delay_alu instid0(VALU_DEP_4) | instskip(SKIP_2) | instid1(VALU_DEP_1)
	v_bitop3_b32 v29, v29, v34, v33 bitop3:0x80
	ds_load_b32 v28, v31 offset:64
	; wave barrier
	v_bitop3_b32 v29, v29, v32, v30 bitop3:0x80
	v_mbcnt_lo_u32_b32 v30, v29, 0
	v_cmp_ne_u32_e64 s0, 0, v29
	s_delay_alu instid0(VALU_DEP_2) | instskip(SKIP_1) | instid1(SALU_CYCLE_1)
	v_cmp_eq_u32_e32 vcc_lo, 0, v30
	s_and_b32 s1, s0, vcc_lo
	s_and_saveexec_b32 s0, s1
	s_cbranch_execz .LBB2181_107
; %bb.106:
	s_wait_dscnt 0x0
	v_bcnt_u32_b32 v29, v29, v28
	ds_store_b32 v31, v29 offset:64
.LBB2181_107:
	s_or_b32 exec_lo, exec_lo, s0
	v_cmp_gt_i16_e32 vcc_lo, 0, v7
	; wave barrier
	v_cndmask_b32_e64 v29, 0x7fff, 0, vcc_lo
	s_delay_alu instid0(VALU_DEP_1) | instskip(NEXT) | instid1(VALU_DEP_1)
	v_xor_b32_e32 v29, v29, v7
	v_cmp_ne_u16_e32 vcc_lo, 0x8000, v29
	v_cndmask_b32_e32 v7, 0x7fff, v29, vcc_lo
	s_delay_alu instid0(VALU_DEP_1) | instskip(NEXT) | instid1(VALU_DEP_1)
	v_and_b32_e32 v7, 0xffff, v7
	v_lshrrev_b32_e32 v7, s20, v7
	s_delay_alu instid0(VALU_DEP_1) | instskip(SKIP_1) | instid1(VALU_DEP_2)
	v_bitop3_b32 v32, v7, 1, s8 bitop3:0x80
	v_and_b32_e32 v7, s8, v7
	v_add_co_u32 v32, s0, v32, -1
	s_delay_alu instid0(VALU_DEP_1) | instskip(NEXT) | instid1(VALU_DEP_3)
	v_cndmask_b32_e64 v33, 0, 1, s0
	v_lshlrev_b32_e32 v34, 30, v7
	s_delay_alu instid0(VALU_DEP_2) | instskip(NEXT) | instid1(VALU_DEP_2)
	v_cmp_ne_u32_e32 vcc_lo, 0, v33
	v_not_b32_e32 v33, v34
	s_delay_alu instid0(VALU_DEP_1) | instskip(SKIP_4) | instid1(VALU_DEP_4)
	v_dual_ashrrev_i32 v33, 31, v33 :: v_dual_bitop2_b32 v32, vcc_lo, v32 bitop3:0x14
	v_dual_lshlrev_b32 v35, 29, v7 :: v_dual_lshlrev_b32 v36, 28, v7
	v_dual_lshlrev_b32 v37, 27, v7 :: v_dual_lshlrev_b32 v38, 26, v7
	v_lshlrev_b32_e32 v39, 25, v7
	v_cmp_gt_i32_e64 s0, 0, v34
	v_cmp_gt_i32_e64 s1, 0, v35
	v_not_b32_e32 v34, v35
	v_not_b32_e32 v35, v36
	v_lshlrev_b32_e32 v40, 24, v7
	v_cmp_gt_i32_e64 s2, 0, v36
	v_cmp_gt_i32_e64 s3, 0, v37
	v_not_b32_e32 v36, v37
	v_not_b32_e32 v37, v38
	v_dual_ashrrev_i32 v34, 31, v34 :: v_dual_ashrrev_i32 v35, 31, v35
	v_xor_b32_e32 v33, s0, v33
	v_cmp_gt_i32_e64 s4, 0, v38
	v_cmp_gt_i32_e64 s5, 0, v39
	v_not_b32_e32 v38, v39
	v_not_b32_e32 v39, v40
	v_dual_ashrrev_i32 v36, 31, v36 :: v_dual_ashrrev_i32 v37, 31, v37
	v_xor_b32_e32 v34, s1, v34
	v_xor_b32_e32 v35, s2, v35
	v_bitop3_b32 v32, v32, v33, exec_lo bitop3:0x80
	v_cmp_gt_i32_e64 s6, 0, v40
	v_dual_ashrrev_i32 v33, 31, v38 :: v_dual_ashrrev_i32 v38, 31, v39
	v_xor_b32_e32 v36, s3, v36
	v_xor_b32_e32 v37, s4, v37
	v_bitop3_b32 v32, v32, v35, v34 bitop3:0x80
	v_mad_u32_u24 v35, 0x44, v7, v0
	v_xor_b32_e32 v7, s5, v33
	v_xor_b32_e32 v33, s6, v38
	s_delay_alu instid0(VALU_DEP_4) | instskip(SKIP_2) | instid1(VALU_DEP_1)
	v_bitop3_b32 v34, v32, v37, v36 bitop3:0x80
	ds_load_b32 v32, v35 offset:64
	; wave barrier
	v_bitop3_b32 v7, v34, v33, v7 bitop3:0x80
	v_mbcnt_lo_u32_b32 v33, v7, 0
	v_cmp_ne_u32_e64 s0, 0, v7
	s_delay_alu instid0(VALU_DEP_2) | instskip(SKIP_1) | instid1(SALU_CYCLE_1)
	v_cmp_eq_u32_e32 vcc_lo, 0, v33
	s_and_b32 s1, s0, vcc_lo
	s_and_saveexec_b32 s0, s1
	s_cbranch_execz .LBB2181_109
; %bb.108:
	s_wait_dscnt 0x0
	v_bcnt_u32_b32 v7, v7, v32
	ds_store_b32 v35, v7 offset:64
.LBB2181_109:
	s_or_b32 exec_lo, exec_lo, s0
	v_cmp_gt_i16_e32 vcc_lo, 0, v6
	; wave barrier
	v_cndmask_b32_e64 v7, 0x7fff, 0, vcc_lo
	s_delay_alu instid0(VALU_DEP_1) | instskip(NEXT) | instid1(VALU_DEP_1)
	v_xor_b32_e32 v34, v7, v6
	v_cmp_ne_u16_e32 vcc_lo, 0x8000, v34
	v_cndmask_b32_e32 v6, 0x7fff, v34, vcc_lo
	s_delay_alu instid0(VALU_DEP_1) | instskip(NEXT) | instid1(VALU_DEP_1)
	v_and_b32_e32 v6, 0xffff, v6
	v_lshrrev_b32_e32 v6, s20, v6
	s_delay_alu instid0(VALU_DEP_1) | instskip(SKIP_1) | instid1(VALU_DEP_2)
	v_bitop3_b32 v7, v6, 1, s8 bitop3:0x80
	v_and_b32_e32 v6, s8, v6
	v_add_co_u32 v7, s0, v7, -1
	s_delay_alu instid0(VALU_DEP_1) | instskip(NEXT) | instid1(VALU_DEP_3)
	v_cndmask_b32_e64 v36, 0, 1, s0
	v_lshlrev_b32_e32 v37, 30, v6
	s_delay_alu instid0(VALU_DEP_2) | instskip(NEXT) | instid1(VALU_DEP_2)
	v_cmp_ne_u32_e32 vcc_lo, 0, v36
	v_not_b32_e32 v36, v37
	s_delay_alu instid0(VALU_DEP_1) | instskip(SKIP_4) | instid1(VALU_DEP_4)
	v_dual_ashrrev_i32 v36, 31, v36 :: v_dual_bitop2_b32 v7, vcc_lo, v7 bitop3:0x14
	v_dual_lshlrev_b32 v38, 29, v6 :: v_dual_lshlrev_b32 v39, 28, v6
	v_dual_lshlrev_b32 v40, 27, v6 :: v_dual_lshlrev_b32 v41, 26, v6
	v_lshlrev_b32_e32 v42, 25, v6
	v_cmp_gt_i32_e64 s0, 0, v37
	v_cmp_gt_i32_e64 s1, 0, v38
	v_not_b32_e32 v37, v38
	v_not_b32_e32 v38, v39
	v_lshlrev_b32_e32 v43, 24, v6
	v_cmp_gt_i32_e64 s2, 0, v39
	v_cmp_gt_i32_e64 s3, 0, v40
	v_not_b32_e32 v39, v40
	v_not_b32_e32 v40, v41
	v_dual_ashrrev_i32 v37, 31, v37 :: v_dual_ashrrev_i32 v38, 31, v38
	v_xor_b32_e32 v36, s0, v36
	v_cmp_gt_i32_e64 s4, 0, v41
	v_cmp_gt_i32_e64 s5, 0, v42
	v_not_b32_e32 v41, v42
	v_not_b32_e32 v42, v43
	v_dual_ashrrev_i32 v39, 31, v39 :: v_dual_ashrrev_i32 v40, 31, v40
	v_xor_b32_e32 v37, s1, v37
	v_xor_b32_e32 v38, s2, v38
	v_bitop3_b32 v7, v7, v36, exec_lo bitop3:0x80
	v_cmp_gt_i32_e64 s6, 0, v43
	v_dual_ashrrev_i32 v36, 31, v41 :: v_dual_ashrrev_i32 v41, 31, v42
	v_xor_b32_e32 v42, s3, v39
	v_xor_b32_e32 v40, s4, v40
	v_bitop3_b32 v7, v7, v38, v37 bitop3:0x80
	v_mad_u32_u24 v39, 0x44, v6, v0
	v_xor_b32_e32 v6, s5, v36
	v_xor_b32_e32 v36, s6, v41
	s_delay_alu instid0(VALU_DEP_4) | instskip(SKIP_2) | instid1(VALU_DEP_1)
	v_bitop3_b32 v7, v7, v40, v42 bitop3:0x80
	ds_load_b32 v37, v39 offset:64
	; wave barrier
	v_bitop3_b32 v6, v7, v36, v6 bitop3:0x80
	v_mbcnt_lo_u32_b32 v38, v6, 0
	v_cmp_ne_u32_e64 s0, 0, v6
	s_delay_alu instid0(VALU_DEP_2) | instskip(SKIP_1) | instid1(SALU_CYCLE_1)
	v_cmp_eq_u32_e32 vcc_lo, 0, v38
	s_and_b32 s1, s0, vcc_lo
	s_and_saveexec_b32 s0, s1
	s_cbranch_execz .LBB2181_111
; %bb.110:
	s_wait_dscnt 0x0
	v_bcnt_u32_b32 v6, v6, v37
	ds_store_b32 v39, v6 offset:64
.LBB2181_111:
	s_or_b32 exec_lo, exec_lo, s0
	v_cmp_gt_i16_e32 vcc_lo, 0, v5
	; wave barrier
	v_cndmask_b32_e64 v6, 0x7fff, 0, vcc_lo
	s_delay_alu instid0(VALU_DEP_1) | instskip(NEXT) | instid1(VALU_DEP_1)
	v_xor_b32_e32 v36, v6, v5
	v_cmp_ne_u16_e32 vcc_lo, 0x8000, v36
	v_cndmask_b32_e32 v5, 0x7fff, v36, vcc_lo
	s_delay_alu instid0(VALU_DEP_1) | instskip(NEXT) | instid1(VALU_DEP_1)
	v_and_b32_e32 v5, 0xffff, v5
	v_lshrrev_b32_e32 v5, s20, v5
	s_delay_alu instid0(VALU_DEP_1) | instskip(SKIP_1) | instid1(VALU_DEP_2)
	v_bitop3_b32 v6, v5, 1, s8 bitop3:0x80
	v_and_b32_e32 v5, s8, v5
	v_add_co_u32 v6, s0, v6, -1
	s_delay_alu instid0(VALU_DEP_1) | instskip(NEXT) | instid1(VALU_DEP_3)
	v_cndmask_b32_e64 v7, 0, 1, s0
	v_lshlrev_b32_e32 v40, 30, v5
	s_delay_alu instid0(VALU_DEP_2) | instskip(NEXT) | instid1(VALU_DEP_2)
	v_cmp_ne_u32_e32 vcc_lo, 0, v7
	v_not_b32_e32 v7, v40
	s_delay_alu instid0(VALU_DEP_1) | instskip(SKIP_4) | instid1(VALU_DEP_4)
	v_dual_ashrrev_i32 v7, 31, v7 :: v_dual_bitop2_b32 v6, vcc_lo, v6 bitop3:0x14
	v_dual_lshlrev_b32 v41, 29, v5 :: v_dual_lshlrev_b32 v42, 28, v5
	v_dual_lshlrev_b32 v43, 27, v5 :: v_dual_lshlrev_b32 v44, 26, v5
	;; [unrolled: 1-line block ×3, first 2 shown]
	v_cmp_gt_i32_e64 s0, 0, v40
	v_cmp_gt_i32_e64 s1, 0, v41
	v_not_b32_e32 v40, v41
	v_not_b32_e32 v41, v42
	v_cmp_gt_i32_e64 s2, 0, v42
	v_cmp_gt_i32_e64 s3, 0, v43
	v_not_b32_e32 v42, v43
	v_cmp_gt_i32_e64 s4, 0, v44
	v_not_b32_e32 v43, v44
	;; [unrolled: 2-line block ×3, first 2 shown]
	v_not_b32_e32 v45, v46
	v_dual_ashrrev_i32 v40, 31, v40 :: v_dual_ashrrev_i32 v41, 31, v41
	v_dual_ashrrev_i32 v42, 31, v42 :: v_dual_bitop2_b32 v7, s0, v7 bitop3:0x14
	s_delay_alu instid0(VALU_DEP_2) | instskip(NEXT) | instid1(VALU_DEP_3)
	v_dual_ashrrev_i32 v43, 31, v43 :: v_dual_bitop2_b32 v40, s1, v40 bitop3:0x14
	v_xor_b32_e32 v41, s2, v41
	s_delay_alu instid0(VALU_DEP_3)
	v_bitop3_b32 v6, v6, v7, exec_lo bitop3:0x80
	v_cmp_gt_i32_e64 s6, 0, v46
	v_dual_ashrrev_i32 v7, 31, v44 :: v_dual_ashrrev_i32 v44, 31, v45
	v_xor_b32_e32 v42, s3, v42
	v_xor_b32_e32 v45, s4, v43
	v_bitop3_b32 v6, v6, v41, v40 bitop3:0x80
	v_mad_u32_u24 v43, 0x44, v5, v0
	v_xor_b32_e32 v5, s5, v7
	v_xor_b32_e32 v7, s6, v44
	s_delay_alu instid0(VALU_DEP_4) | instskip(SKIP_2) | instid1(VALU_DEP_1)
	v_bitop3_b32 v6, v6, v45, v42 bitop3:0x80
	ds_load_b32 v41, v43 offset:64
	; wave barrier
	v_bitop3_b32 v5, v6, v7, v5 bitop3:0x80
	v_mbcnt_lo_u32_b32 v42, v5, 0
	v_cmp_ne_u32_e64 s0, 0, v5
	s_delay_alu instid0(VALU_DEP_2) | instskip(SKIP_1) | instid1(SALU_CYCLE_1)
	v_cmp_eq_u32_e32 vcc_lo, 0, v42
	s_and_b32 s1, s0, vcc_lo
	s_and_saveexec_b32 s0, s1
	s_cbranch_execz .LBB2181_113
; %bb.112:
	s_wait_dscnt 0x0
	v_bcnt_u32_b32 v5, v5, v41
	ds_store_b32 v43, v5 offset:64
.LBB2181_113:
	s_or_b32 exec_lo, exec_lo, s0
	v_cmp_gt_i16_e32 vcc_lo, 0, v4
	; wave barrier
	v_cndmask_b32_e64 v5, 0x7fff, 0, vcc_lo
	s_delay_alu instid0(VALU_DEP_1) | instskip(NEXT) | instid1(VALU_DEP_1)
	v_xor_b32_e32 v40, v5, v4
	v_cmp_ne_u16_e32 vcc_lo, 0x8000, v40
	v_cndmask_b32_e32 v4, 0x7fff, v40, vcc_lo
	s_delay_alu instid0(VALU_DEP_1) | instskip(NEXT) | instid1(VALU_DEP_1)
	v_and_b32_e32 v4, 0xffff, v4
	v_lshrrev_b32_e32 v4, s20, v4
	s_delay_alu instid0(VALU_DEP_1) | instskip(SKIP_1) | instid1(VALU_DEP_2)
	v_bitop3_b32 v5, v4, 1, s8 bitop3:0x80
	v_and_b32_e32 v4, s8, v4
	v_add_co_u32 v5, s0, v5, -1
	s_delay_alu instid0(VALU_DEP_1) | instskip(NEXT) | instid1(VALU_DEP_3)
	v_cndmask_b32_e64 v6, 0, 1, s0
	v_lshlrev_b32_e32 v7, 30, v4
	s_delay_alu instid0(VALU_DEP_2) | instskip(NEXT) | instid1(VALU_DEP_2)
	v_cmp_ne_u32_e32 vcc_lo, 0, v6
	v_not_b32_e32 v6, v7
	s_delay_alu instid0(VALU_DEP_1) | instskip(SKIP_4) | instid1(VALU_DEP_4)
	v_dual_ashrrev_i32 v6, 31, v6 :: v_dual_bitop2_b32 v5, vcc_lo, v5 bitop3:0x14
	v_dual_lshlrev_b32 v44, 29, v4 :: v_dual_lshlrev_b32 v45, 28, v4
	v_dual_lshlrev_b32 v46, 27, v4 :: v_dual_lshlrev_b32 v47, 26, v4
	v_lshlrev_b32_e32 v48, 25, v4
	v_cmp_gt_i32_e64 s0, 0, v7
	v_cmp_gt_i32_e64 s1, 0, v44
	v_not_b32_e32 v7, v44
	v_not_b32_e32 v44, v45
	v_lshlrev_b32_e32 v49, 24, v4
	v_cmp_gt_i32_e64 s2, 0, v45
	v_cmp_gt_i32_e64 s3, 0, v46
	v_not_b32_e32 v45, v46
	v_not_b32_e32 v46, v47
	v_dual_ashrrev_i32 v7, 31, v7 :: v_dual_ashrrev_i32 v44, 31, v44
	v_xor_b32_e32 v6, s0, v6
	v_cmp_gt_i32_e64 s4, 0, v47
	v_cmp_gt_i32_e64 s5, 0, v48
	v_not_b32_e32 v47, v48
	v_not_b32_e32 v48, v49
	v_dual_ashrrev_i32 v45, 31, v45 :: v_dual_ashrrev_i32 v46, 31, v46
	v_xor_b32_e32 v7, s1, v7
	v_xor_b32_e32 v44, s2, v44
	v_bitop3_b32 v5, v5, v6, exec_lo bitop3:0x80
	v_cmp_gt_i32_e64 s6, 0, v49
	v_dual_ashrrev_i32 v6, 31, v47 :: v_dual_ashrrev_i32 v48, 31, v48
	v_xor_b32_e32 v45, s3, v45
	v_xor_b32_e32 v46, s4, v46
	v_bitop3_b32 v5, v5, v44, v7 bitop3:0x80
	v_mad_u32_u24 v47, 0x44, v4, v0
	v_xor_b32_e32 v4, s5, v6
	v_xor_b32_e32 v6, s6, v48
	s_delay_alu instid0(VALU_DEP_4) | instskip(SKIP_2) | instid1(VALU_DEP_1)
	v_bitop3_b32 v5, v5, v46, v45 bitop3:0x80
	ds_load_b32 v45, v47 offset:64
	; wave barrier
	v_bitop3_b32 v4, v5, v6, v4 bitop3:0x80
	v_mbcnt_lo_u32_b32 v46, v4, 0
	v_cmp_ne_u32_e64 s0, 0, v4
	s_delay_alu instid0(VALU_DEP_2) | instskip(SKIP_1) | instid1(SALU_CYCLE_1)
	v_cmp_eq_u32_e32 vcc_lo, 0, v46
	s_and_b32 s1, s0, vcc_lo
	s_and_saveexec_b32 s0, s1
	s_cbranch_execz .LBB2181_115
; %bb.114:
	s_wait_dscnt 0x0
	v_bcnt_u32_b32 v4, v4, v45
	ds_store_b32 v47, v4 offset:64
.LBB2181_115:
	s_or_b32 exec_lo, exec_lo, s0
	v_cmp_gt_i16_e32 vcc_lo, 0, v3
	; wave barrier
	v_cndmask_b32_e64 v4, 0x7fff, 0, vcc_lo
	s_delay_alu instid0(VALU_DEP_1) | instskip(NEXT) | instid1(VALU_DEP_1)
	v_xor_b32_e32 v44, v4, v3
	v_cmp_ne_u16_e32 vcc_lo, 0x8000, v44
	v_cndmask_b32_e32 v3, 0x7fff, v44, vcc_lo
	s_delay_alu instid0(VALU_DEP_1) | instskip(NEXT) | instid1(VALU_DEP_1)
	v_and_b32_e32 v3, 0xffff, v3
	v_lshrrev_b32_e32 v3, s20, v3
	s_delay_alu instid0(VALU_DEP_1) | instskip(SKIP_1) | instid1(VALU_DEP_2)
	v_bitop3_b32 v4, v3, 1, s8 bitop3:0x80
	v_and_b32_e32 v3, s8, v3
	v_add_co_u32 v4, s0, v4, -1
	s_delay_alu instid0(VALU_DEP_1) | instskip(NEXT) | instid1(VALU_DEP_3)
	v_cndmask_b32_e64 v5, 0, 1, s0
	v_lshlrev_b32_e32 v6, 30, v3
	s_delay_alu instid0(VALU_DEP_2) | instskip(NEXT) | instid1(VALU_DEP_2)
	v_cmp_ne_u32_e32 vcc_lo, 0, v5
	v_not_b32_e32 v5, v6
	s_delay_alu instid0(VALU_DEP_1) | instskip(SKIP_4) | instid1(VALU_DEP_4)
	v_dual_ashrrev_i32 v5, 31, v5 :: v_dual_bitop2_b32 v4, vcc_lo, v4 bitop3:0x14
	v_dual_lshlrev_b32 v7, 29, v3 :: v_dual_lshlrev_b32 v48, 28, v3
	v_dual_lshlrev_b32 v49, 27, v3 :: v_dual_lshlrev_b32 v50, 26, v3
	v_lshlrev_b32_e32 v51, 25, v3
	v_cmp_gt_i32_e64 s0, 0, v6
	v_cmp_gt_i32_e64 s1, 0, v7
	v_not_b32_e32 v6, v7
	v_not_b32_e32 v7, v48
	v_lshlrev_b32_e32 v52, 24, v3
	v_cmp_gt_i32_e64 s2, 0, v48
	v_cmp_gt_i32_e64 s3, 0, v49
	v_not_b32_e32 v48, v49
	v_not_b32_e32 v49, v50
	v_dual_ashrrev_i32 v6, 31, v6 :: v_dual_ashrrev_i32 v7, 31, v7
	v_xor_b32_e32 v5, s0, v5
	v_cmp_gt_i32_e64 s4, 0, v50
	v_cmp_gt_i32_e64 s5, 0, v51
	v_not_b32_e32 v50, v51
	v_not_b32_e32 v51, v52
	v_dual_ashrrev_i32 v48, 31, v48 :: v_dual_ashrrev_i32 v49, 31, v49
	v_xor_b32_e32 v6, s1, v6
	v_xor_b32_e32 v7, s2, v7
	v_bitop3_b32 v4, v4, v5, exec_lo bitop3:0x80
	v_cmp_gt_i32_e64 s6, 0, v52
	v_dual_ashrrev_i32 v5, 31, v50 :: v_dual_ashrrev_i32 v50, 31, v51
	v_xor_b32_e32 v48, s3, v48
	v_xor_b32_e32 v49, s4, v49
	v_bitop3_b32 v4, v4, v7, v6 bitop3:0x80
	v_mad_u32_u24 v51, 0x44, v3, v0
	v_xor_b32_e32 v3, s5, v5
	v_xor_b32_e32 v5, s6, v50
	s_delay_alu instid0(VALU_DEP_4) | instskip(SKIP_2) | instid1(VALU_DEP_1)
	v_bitop3_b32 v4, v4, v49, v48 bitop3:0x80
	ds_load_b32 v48, v51 offset:64
	; wave barrier
	v_bitop3_b32 v3, v4, v5, v3 bitop3:0x80
	v_mbcnt_lo_u32_b32 v50, v3, 0
	v_cmp_ne_u32_e64 s0, 0, v3
	s_delay_alu instid0(VALU_DEP_2) | instskip(SKIP_1) | instid1(SALU_CYCLE_1)
	v_cmp_eq_u32_e32 vcc_lo, 0, v50
	s_and_b32 s1, s0, vcc_lo
	s_and_saveexec_b32 s0, s1
	s_cbranch_execz .LBB2181_117
; %bb.116:
	s_wait_dscnt 0x0
	v_bcnt_u32_b32 v3, v3, v48
	ds_store_b32 v51, v3 offset:64
.LBB2181_117:
	s_or_b32 exec_lo, exec_lo, s0
	v_cmp_gt_i16_e32 vcc_lo, 0, v2
	; wave barrier
	v_cndmask_b32_e64 v3, 0x7fff, 0, vcc_lo
	s_delay_alu instid0(VALU_DEP_1) | instskip(NEXT) | instid1(VALU_DEP_1)
	v_xor_b32_e32 v49, v3, v2
	v_cmp_ne_u16_e32 vcc_lo, 0x8000, v49
	v_cndmask_b32_e32 v2, 0x7fff, v49, vcc_lo
	s_delay_alu instid0(VALU_DEP_1) | instskip(NEXT) | instid1(VALU_DEP_1)
	v_and_b32_e32 v2, 0xffff, v2
	v_lshrrev_b32_e32 v2, s20, v2
	s_delay_alu instid0(VALU_DEP_1) | instskip(SKIP_1) | instid1(VALU_DEP_2)
	v_bitop3_b32 v3, v2, 1, s8 bitop3:0x80
	v_and_b32_e32 v2, s8, v2
	v_add_co_u32 v3, s0, v3, -1
	s_delay_alu instid0(VALU_DEP_1) | instskip(NEXT) | instid1(VALU_DEP_3)
	v_cndmask_b32_e64 v4, 0, 1, s0
	v_lshlrev_b32_e32 v5, 30, v2
	s_delay_alu instid0(VALU_DEP_2) | instskip(NEXT) | instid1(VALU_DEP_2)
	v_cmp_ne_u32_e32 vcc_lo, 0, v4
	v_not_b32_e32 v4, v5
	s_delay_alu instid0(VALU_DEP_1) | instskip(SKIP_4) | instid1(VALU_DEP_4)
	v_dual_ashrrev_i32 v4, 31, v4 :: v_dual_bitop2_b32 v3, vcc_lo, v3 bitop3:0x14
	v_dual_lshlrev_b32 v6, 29, v2 :: v_dual_lshlrev_b32 v7, 28, v2
	v_dual_lshlrev_b32 v52, 27, v2 :: v_dual_lshlrev_b32 v53, 26, v2
	v_dual_lshlrev_b32 v54, 25, v2 :: v_dual_lshlrev_b32 v55, 24, v2
	v_cmp_gt_i32_e64 s0, 0, v5
	v_cmp_gt_i32_e64 s1, 0, v6
	v_not_b32_e32 v5, v6
	v_not_b32_e32 v6, v7
	v_cmp_gt_i32_e64 s2, 0, v7
	v_cmp_gt_i32_e64 s3, 0, v52
	v_not_b32_e32 v7, v52
	v_cmp_gt_i32_e64 s4, 0, v53
	v_not_b32_e32 v52, v53
	;; [unrolled: 2-line block ×3, first 2 shown]
	v_not_b32_e32 v54, v55
	v_dual_ashrrev_i32 v5, 31, v5 :: v_dual_ashrrev_i32 v6, 31, v6
	v_dual_ashrrev_i32 v7, 31, v7 :: v_dual_bitop2_b32 v4, s0, v4 bitop3:0x14
	s_delay_alu instid0(VALU_DEP_2) | instskip(NEXT) | instid1(VALU_DEP_3)
	v_dual_ashrrev_i32 v52, 31, v52 :: v_dual_bitop2_b32 v5, s1, v5 bitop3:0x14
	v_xor_b32_e32 v6, s2, v6
	s_delay_alu instid0(VALU_DEP_3)
	v_bitop3_b32 v3, v3, v4, exec_lo bitop3:0x80
	v_cmp_gt_i32_e64 s6, 0, v55
	v_dual_ashrrev_i32 v4, 31, v53 :: v_dual_ashrrev_i32 v53, 31, v54
	v_xor_b32_e32 v7, s3, v7
	v_xor_b32_e32 v52, s4, v52
	v_bitop3_b32 v3, v3, v6, v5 bitop3:0x80
	v_mad_u32_u24 v56, 0x44, v2, v0
	v_xor_b32_e32 v2, s5, v4
	v_xor_b32_e32 v4, s6, v53
	s_delay_alu instid0(VALU_DEP_4) | instskip(SKIP_2) | instid1(VALU_DEP_1)
	v_bitop3_b32 v3, v3, v52, v7 bitop3:0x80
	ds_load_b32 v52, v56 offset:64
	; wave barrier
	v_bitop3_b32 v2, v3, v4, v2 bitop3:0x80
	v_mbcnt_lo_u32_b32 v53, v2, 0
	v_cmp_ne_u32_e64 s0, 0, v2
	s_delay_alu instid0(VALU_DEP_2) | instskip(SKIP_1) | instid1(SALU_CYCLE_1)
	v_cmp_eq_u32_e32 vcc_lo, 0, v53
	s_and_b32 s1, s0, vcc_lo
	s_and_saveexec_b32 s0, s1
	s_cbranch_execz .LBB2181_119
; %bb.118:
	s_wait_dscnt 0x0
	v_bcnt_u32_b32 v2, v2, v52
	ds_store_b32 v56, v2 offset:64
.LBB2181_119:
	s_or_b32 exec_lo, exec_lo, s0
	v_cmp_gt_i16_e32 vcc_lo, 0, v1
	; wave barrier
	v_cndmask_b32_e64 v2, 0x7fff, 0, vcc_lo
	s_delay_alu instid0(VALU_DEP_1) | instskip(NEXT) | instid1(VALU_DEP_1)
	v_xor_b32_e32 v54, v2, v1
	v_cmp_ne_u16_e32 vcc_lo, 0x8000, v54
	v_cndmask_b32_e32 v1, 0x7fff, v54, vcc_lo
	s_delay_alu instid0(VALU_DEP_1) | instskip(NEXT) | instid1(VALU_DEP_1)
	v_and_b32_e32 v1, 0xffff, v1
	v_lshrrev_b32_e32 v1, s20, v1
	s_delay_alu instid0(VALU_DEP_1) | instskip(SKIP_1) | instid1(VALU_DEP_2)
	v_bitop3_b32 v2, v1, 1, s8 bitop3:0x80
	v_and_b32_e32 v1, s8, v1
	v_add_co_u32 v2, s0, v2, -1
	s_delay_alu instid0(VALU_DEP_1) | instskip(NEXT) | instid1(VALU_DEP_3)
	v_cndmask_b32_e64 v3, 0, 1, s0
	v_lshlrev_b32_e32 v4, 30, v1
	s_delay_alu instid0(VALU_DEP_2) | instskip(NEXT) | instid1(VALU_DEP_2)
	v_cmp_ne_u32_e32 vcc_lo, 0, v3
	v_not_b32_e32 v3, v4
	s_delay_alu instid0(VALU_DEP_1) | instskip(SKIP_4) | instid1(VALU_DEP_4)
	v_dual_ashrrev_i32 v3, 31, v3 :: v_dual_bitop2_b32 v2, vcc_lo, v2 bitop3:0x14
	v_dual_lshlrev_b32 v5, 29, v1 :: v_dual_lshlrev_b32 v6, 28, v1
	v_dual_lshlrev_b32 v7, 27, v1 :: v_dual_lshlrev_b32 v55, 26, v1
	v_lshlrev_b32_e32 v57, 25, v1
	v_cmp_gt_i32_e64 s0, 0, v4
	v_cmp_gt_i32_e64 s1, 0, v5
	v_not_b32_e32 v4, v5
	v_not_b32_e32 v5, v6
	v_lshlrev_b32_e32 v58, 24, v1
	v_cmp_gt_i32_e64 s2, 0, v6
	v_cmp_gt_i32_e64 s3, 0, v7
	v_not_b32_e32 v6, v7
	v_not_b32_e32 v7, v55
	v_dual_ashrrev_i32 v4, 31, v4 :: v_dual_ashrrev_i32 v5, 31, v5
	v_xor_b32_e32 v3, s0, v3
	v_cmp_gt_i32_e64 s4, 0, v55
	v_cmp_gt_i32_e64 s5, 0, v57
	v_not_b32_e32 v55, v57
	v_not_b32_e32 v57, v58
	v_dual_ashrrev_i32 v6, 31, v6 :: v_dual_ashrrev_i32 v7, 31, v7
	v_xor_b32_e32 v4, s1, v4
	v_xor_b32_e32 v5, s2, v5
	v_bitop3_b32 v2, v2, v3, exec_lo bitop3:0x80
	v_cmp_gt_i32_e64 s6, 0, v58
	v_dual_ashrrev_i32 v3, 31, v55 :: v_dual_ashrrev_i32 v55, 31, v57
	v_xor_b32_e32 v6, s3, v6
	v_xor_b32_e32 v7, s4, v7
	v_bitop3_b32 v2, v2, v5, v4 bitop3:0x80
	v_mad_u32_u24 v58, 0x44, v1, v0
	v_xor_b32_e32 v0, s5, v3
	v_xor_b32_e32 v1, s6, v55
	s_delay_alu instid0(VALU_DEP_4) | instskip(SKIP_2) | instid1(VALU_DEP_1)
	v_bitop3_b32 v2, v2, v7, v6 bitop3:0x80
	ds_load_b32 v55, v58 offset:64
	; wave barrier
	v_bitop3_b32 v0, v2, v1, v0 bitop3:0x80
	v_mbcnt_lo_u32_b32 v57, v0, 0
	v_cmp_ne_u32_e64 s0, 0, v0
	s_delay_alu instid0(VALU_DEP_2) | instskip(SKIP_1) | instid1(SALU_CYCLE_1)
	v_cmp_eq_u32_e32 vcc_lo, 0, v57
	s_and_b32 s1, s0, vcc_lo
	s_and_saveexec_b32 s0, s1
	s_cbranch_execz .LBB2181_121
; %bb.120:
	s_wait_dscnt 0x0
	v_bcnt_u32_b32 v0, v0, v55
	ds_store_b32 v58, v0 offset:64
.LBB2181_121:
	s_or_b32 exec_lo, exec_lo, s0
	; wave barrier
	s_wait_dscnt 0x0
	s_barrier_signal -1
	s_barrier_wait -1
	ds_load_2addr_b32 v[6:7], v11 offset0:16 offset1:17
	ds_load_2addr_b32 v[4:5], v11 offset0:18 offset1:19
	;; [unrolled: 1-line block ×4, first 2 shown]
	ds_load_b32 v59, v11 offset:96
	v_min_u32_e32 v15, 0x1e0, v15
	s_mov_b32 s4, exec_lo
	s_wait_dscnt 0x3
	v_add3_u32 v60, v7, v6, v4
	s_wait_dscnt 0x2
	s_delay_alu instid0(VALU_DEP_1) | instskip(SKIP_1) | instid1(VALU_DEP_1)
	v_add3_u32 v60, v60, v5, v2
	s_wait_dscnt 0x1
	v_add3_u32 v60, v60, v3, v0
	s_wait_dscnt 0x0
	s_delay_alu instid0(VALU_DEP_1) | instskip(SKIP_1) | instid1(VALU_DEP_2)
	v_add3_u32 v59, v60, v1, v59
	v_and_b32_e32 v60, 15, v14
	v_mov_b32_dpp v61, v59 row_shr:1 row_mask:0xf bank_mask:0xf
	s_delay_alu instid0(VALU_DEP_2) | instskip(NEXT) | instid1(VALU_DEP_2)
	v_cmp_eq_u32_e32 vcc_lo, 0, v60
	v_cndmask_b32_e64 v61, v61, 0, vcc_lo
	s_delay_alu instid0(VALU_DEP_1) | instskip(SKIP_3) | instid1(VALU_DEP_4)
	v_add_nc_u32_e32 v59, v61, v59
	v_cmp_lt_u32_e64 s0, 1, v60
	v_cmp_lt_u32_e64 s1, 3, v60
	;; [unrolled: 1-line block ×3, first 2 shown]
	v_mov_b32_dpp v61, v59 row_shr:2 row_mask:0xf bank_mask:0xf
	s_delay_alu instid0(VALU_DEP_1) | instskip(NEXT) | instid1(VALU_DEP_1)
	v_cndmask_b32_e64 v61, 0, v61, s0
	v_add_nc_u32_e32 v59, v59, v61
	s_delay_alu instid0(VALU_DEP_1) | instskip(NEXT) | instid1(VALU_DEP_1)
	v_mov_b32_dpp v61, v59 row_shr:4 row_mask:0xf bank_mask:0xf
	v_cndmask_b32_e64 v61, 0, v61, s1
	s_delay_alu instid0(VALU_DEP_1) | instskip(NEXT) | instid1(VALU_DEP_1)
	v_add_nc_u32_e32 v59, v59, v61
	v_mov_b32_dpp v61, v59 row_shr:8 row_mask:0xf bank_mask:0xf
	s_delay_alu instid0(VALU_DEP_1) | instskip(SKIP_1) | instid1(VALU_DEP_2)
	v_cndmask_b32_e64 v60, 0, v61, s2
	v_bfe_i32 v61, v14, 4, 1
	v_add_nc_u32_e32 v60, v59, v60
	ds_swizzle_b32 v59, v60 offset:swizzle(BROADCAST,32,15)
	s_wait_dscnt 0x0
	v_dual_lshrrev_b32 v59, 5, v12 :: v_dual_bitop2_b32 v61, v61, v59 bitop3:0x40
	s_delay_alu instid0(VALU_DEP_1) | instskip(NEXT) | instid1(VALU_DEP_1)
	v_dual_add_nc_u32 v15, v60, v61 :: v_dual_bitop2_b32 v62, 31, v15 bitop3:0x54
	v_cmpx_eq_u32_e64 v12, v62
; %bb.122:
	s_delay_alu instid0(VALU_DEP_3)
	v_lshlrev_b32_e32 v60, 2, v59
	ds_store_b32 v60, v15
; %bb.123:
	s_or_b32 exec_lo, exec_lo, s4
	s_delay_alu instid0(SALU_CYCLE_1)
	s_mov_b32 s4, exec_lo
	s_wait_dscnt 0x0
	s_barrier_signal -1
	s_barrier_wait -1
	v_cmpx_gt_u32_e32 16, v12
	s_cbranch_execz .LBB2181_125
; %bb.124:
	v_lshlrev_b32_e32 v60, 2, v12
	ds_load_b32 v61, v60
	s_wait_dscnt 0x0
	v_mov_b32_dpp v62, v61 row_shr:1 row_mask:0xf bank_mask:0xf
	s_delay_alu instid0(VALU_DEP_1) | instskip(NEXT) | instid1(VALU_DEP_1)
	v_cndmask_b32_e64 v62, v62, 0, vcc_lo
	v_add_nc_u32_e32 v61, v62, v61
	s_delay_alu instid0(VALU_DEP_1) | instskip(NEXT) | instid1(VALU_DEP_1)
	v_mov_b32_dpp v62, v61 row_shr:2 row_mask:0xf bank_mask:0xf
	v_cndmask_b32_e64 v62, 0, v62, s0
	s_delay_alu instid0(VALU_DEP_1) | instskip(NEXT) | instid1(VALU_DEP_1)
	v_add_nc_u32_e32 v61, v61, v62
	v_mov_b32_dpp v62, v61 row_shr:4 row_mask:0xf bank_mask:0xf
	s_delay_alu instid0(VALU_DEP_1) | instskip(NEXT) | instid1(VALU_DEP_1)
	v_cndmask_b32_e64 v62, 0, v62, s1
	v_add_nc_u32_e32 v61, v61, v62
	s_delay_alu instid0(VALU_DEP_1) | instskip(NEXT) | instid1(VALU_DEP_1)
	v_mov_b32_dpp v62, v61 row_shr:8 row_mask:0xf bank_mask:0xf
	v_cndmask_b32_e64 v62, 0, v62, s2
	s_delay_alu instid0(VALU_DEP_1)
	v_add_nc_u32_e32 v61, v61, v62
	ds_store_b32 v60, v61
.LBB2181_125:
	s_or_b32 exec_lo, exec_lo, s4
	v_mov_b32_e32 v60, 0
	s_mov_b32 s0, exec_lo
	s_wait_dscnt 0x0
	s_barrier_signal -1
	s_barrier_wait -1
	v_cmpx_lt_u32_e32 31, v12
; %bb.126:
	v_lshl_add_u32 v59, v59, 2, -4
	ds_load_b32 v60, v59
; %bb.127:
	s_or_b32 exec_lo, exec_lo, s0
	v_sub_co_u32 v59, vcc_lo, v14, 1
	s_wait_dscnt 0x0
	v_add_nc_u32_e32 v15, v60, v15
	s_delay_alu instid0(VALU_DEP_2) | instskip(NEXT) | instid1(VALU_DEP_1)
	v_cmp_gt_i32_e64 s0, 0, v59
	v_cndmask_b32_e64 v14, v59, v14, s0
	v_cmp_gt_u32_e64 s0, 0x100, v12
	s_delay_alu instid0(VALU_DEP_2) | instskip(SKIP_4) | instid1(VALU_DEP_2)
	v_lshlrev_b32_e32 v14, 2, v14
	ds_bpermute_b32 v14, v14, v15
	s_wait_dscnt 0x0
	v_cndmask_b32_e32 v14, v14, v60, vcc_lo
	v_cmp_ne_u32_e32 vcc_lo, 0, v12
	v_cndmask_b32_e32 v14, 0, v14, vcc_lo
	v_cmp_lt_u32_e32 vcc_lo, 0xff, v12
	s_delay_alu instid0(VALU_DEP_2) | instskip(NEXT) | instid1(VALU_DEP_1)
	v_add_nc_u32_e32 v6, v14, v6
	v_add_nc_u32_e32 v7, v6, v7
	s_delay_alu instid0(VALU_DEP_1) | instskip(NEXT) | instid1(VALU_DEP_1)
	v_add_nc_u32_e32 v4, v7, v4
	v_add_nc_u32_e32 v5, v4, v5
	s_delay_alu instid0(VALU_DEP_1) | instskip(NEXT) | instid1(VALU_DEP_1)
	v_add_nc_u32_e32 v2, v5, v2
	v_add_nc_u32_e32 v3, v2, v3
	s_delay_alu instid0(VALU_DEP_1) | instskip(NEXT) | instid1(VALU_DEP_1)
	v_add_nc_u32_e32 v0, v3, v0
	v_add_nc_u32_e32 v1, v0, v1
	ds_store_2addr_b32 v11, v14, v6 offset0:16 offset1:17
	ds_store_2addr_b32 v11, v7, v4 offset0:18 offset1:19
	;; [unrolled: 1-line block ×4, first 2 shown]
	ds_store_b32 v11, v1 offset:96
	s_wait_dscnt 0x0
	s_barrier_signal -1
	s_barrier_wait -1
	ds_load_b32 v59, v13 offset:64
	ds_load_b32 v60, v19 offset:64
	;; [unrolled: 1-line block ×12, first 2 shown]
	v_mov_b64_e32 v[0:1], 0
                                        ; implicit-def: $vgpr2
	s_and_saveexec_b32 s2, s0
	s_cbranch_execz .LBB2181_131
; %bb.128:
	v_mul_u32_u24_e32 v0, 0x44, v12
	v_dual_mov_b32 v1, 0x1800 :: v_dual_add_nc_u32 v2, 1, v12
	s_mov_b32 s3, exec_lo
	ds_load_b32 v0, v0 offset:64
	v_cmpx_ne_u32_e32 0x100, v2
; %bb.129:
	v_mul_u32_u24_e32 v1, 0x44, v2
	ds_load_b32 v1, v1 offset:64
; %bb.130:
	s_or_b32 exec_lo, exec_lo, s3
	s_wait_dscnt 0x0
	v_dual_mov_b32 v1, 0 :: v_dual_sub_nc_u32 v2, v1, v0
.LBB2181_131:
	s_or_b32 exec_lo, exec_lo, s2
	s_wait_dscnt 0xa
	v_dual_lshlrev_b32 v9, 1, v9 :: v_dual_lshlrev_b32 v23, 1, v60
	v_dual_lshlrev_b32 v18, 1, v18 :: v_dual_lshlrev_b32 v17, 1, v17
	v_lshlrev_b32_e32 v21, 1, v21
	s_delay_alu instid0(VALU_DEP_3)
	v_lshl_add_u32 v9, v59, 1, v9
	s_wait_dscnt 0x0
	s_barrier_signal -1
	v_add3_u32 v17, v23, v18, v17
	v_dual_lshlrev_b32 v18, 1, v19 :: v_dual_lshlrev_b32 v19, 1, v22
	s_barrier_wait -1
	ds_store_b16 v9, v8 offset:2048
	ds_store_b16 v17, v10 offset:2048
	v_lshlrev_b32_e32 v9, 1, v15
	v_add3_u32 v8, v18, v19, v21
	v_dual_lshlrev_b32 v10, 1, v26 :: v_dual_lshlrev_b32 v15, 1, v25
	v_dual_lshlrev_b32 v14, 1, v14 :: v_dual_lshlrev_b32 v18, 1, v28
	v_dual_lshlrev_b32 v17, 1, v30 :: v_dual_lshlrev_b32 v13, 1, v13
	v_dual_lshlrev_b32 v19, 1, v33 :: v_dual_lshlrev_b32 v21, 1, v32
	v_dual_lshlrev_b32 v11, 1, v11 :: v_dual_lshlrev_b32 v22, 1, v38
	v_dual_lshlrev_b32 v23, 1, v37 :: v_dual_lshlrev_b32 v7, 1, v7
	ds_store_b16 v8, v16 offset:2048
	v_add3_u32 v8, v9, v10, v15
	v_add3_u32 v9, v14, v17, v18
	;; [unrolled: 1-line block ×3, first 2 shown]
	v_dual_lshlrev_b32 v13, 1, v42 :: v_dual_lshlrev_b32 v14, 1, v41
	v_add3_u32 v11, v11, v22, v23
	ds_store_b16 v8, v20 offset:2048
	ds_store_b16 v9, v24 offset:2048
	ds_store_b16 v10, v29 offset:2048
	ds_store_b16 v11, v34 offset:2048
	v_dual_lshlrev_b32 v6, 1, v6 :: v_dual_lshlrev_b32 v9, 1, v45
	v_add3_u32 v7, v7, v13, v14
	v_dual_lshlrev_b32 v8, 1, v46 :: v_dual_lshlrev_b32 v5, 1, v5
	v_dual_lshlrev_b32 v10, 1, v50 :: v_dual_lshlrev_b32 v11, 1, v48
	;; [unrolled: 1-line block ×5, first 2 shown]
	ds_store_b16 v7, v36 offset:2048
	v_add3_u32 v6, v6, v8, v9
	v_add3_u32 v7, v5, v10, v11
	;; [unrolled: 1-line block ×3, first 2 shown]
	v_dual_mov_b32 v5, 0 :: v_dual_lshlrev_b32 v3, 3, v12
	v_add3_u32 v4, v4, v13, v14
	ds_store_b16 v6, v40 offset:2048
	ds_store_b16 v7, v44 offset:2048
	;; [unrolled: 1-line block ×4, first 2 shown]
	s_and_saveexec_b32 s1, s0
	s_cbranch_execz .LBB2181_141
; %bb.132:
	v_lshl_add_u32 v4, s9, 8, v12
	v_dual_mov_b32 v8, 0 :: v_dual_bitop2_b32 v9, 2.0, v2 bitop3:0x54
	s_mov_b32 s2, 0
	s_mov_b32 s3, s9
	s_delay_alu instid0(VALU_DEP_2)
	v_lshl_add_u64 v[6:7], v[4:5], 2, s[10:11]
	global_store_b32 v4, v9, s[10:11] scale_offset scope:SCOPE_DEV
                                        ; implicit-def: $sgpr0
	s_branch .LBB2181_135
.LBB2181_133:                           ;   in Loop: Header=BB2181_135 Depth=1
	s_or_b32 exec_lo, exec_lo, s5
.LBB2181_134:                           ;   in Loop: Header=BB2181_135 Depth=1
	s_delay_alu instid0(SALU_CYCLE_1) | instskip(SKIP_2) | instid1(VALU_DEP_2)
	s_or_b32 exec_lo, exec_lo, s4
	v_and_b32_e32 v4, 0x3fffffff, v9
	v_cmp_gt_i32_e64 s0, -2.0, v9
	v_add_nc_u32_e32 v8, v4, v8
	s_and_b32 s4, exec_lo, s0
	s_delay_alu instid0(SALU_CYCLE_1) | instskip(NEXT) | instid1(SALU_CYCLE_1)
	s_or_b32 s2, s4, s2
	s_and_not1_b32 exec_lo, exec_lo, s2
	s_cbranch_execz .LBB2181_140
.LBB2181_135:                           ; =>This Loop Header: Depth=1
                                        ;     Child Loop BB2181_138 Depth 2
	s_or_b32 s0, s0, exec_lo
	s_cmp_eq_u32 s3, 0
	s_cbranch_scc1 .LBB2181_139
; %bb.136:                              ;   in Loop: Header=BB2181_135 Depth=1
	s_add_co_i32 s3, s3, -1
	s_mov_b32 s4, exec_lo
	s_wait_xcnt 0x0
	v_lshl_or_b32 v4, s3, 8, v12
	global_load_b32 v9, v4, s[10:11] scale_offset scope:SCOPE_DEV
	s_wait_loadcnt 0x0
	v_cmpx_gt_u32_e32 2.0, v9
	s_cbranch_execz .LBB2181_134
; %bb.137:                              ;   in Loop: Header=BB2181_135 Depth=1
	v_lshl_add_u64 v[10:11], v[4:5], 2, s[10:11]
	s_mov_b32 s5, 0
.LBB2181_138:                           ;   Parent Loop BB2181_135 Depth=1
                                        ; =>  This Inner Loop Header: Depth=2
	global_load_b32 v9, v[10:11], off scope:SCOPE_DEV
	s_wait_loadcnt 0x0
	v_cmp_lt_u32_e64 s0, 0x3fffffff, v9
	s_or_b32 s5, s0, s5
	s_wait_xcnt 0x0
	s_and_not1_b32 exec_lo, exec_lo, s5
	s_cbranch_execnz .LBB2181_138
	s_branch .LBB2181_133
.LBB2181_139:                           ;   in Loop: Header=BB2181_135 Depth=1
                                        ; implicit-def: $sgpr3
	s_and_b32 s4, exec_lo, s0
	s_delay_alu instid0(SALU_CYCLE_1)
	s_or_b32 s2, s4, s2
	s_wait_xcnt 0x0
	s_and_not1_b32 exec_lo, exec_lo, s2
	s_cbranch_execnz .LBB2181_135
.LBB2181_140:
	s_or_b32 exec_lo, exec_lo, s2
	v_dual_mov_b32 v9, 0 :: v_dual_add_nc_u32 v4, v8, v2
	s_delay_alu instid0(VALU_DEP_1) | instskip(SKIP_4) | instid1(VALU_DEP_1)
	v_or_b32_e32 v4, 0x80000000, v4
	global_store_b32 v[6:7], v4, off scope:SCOPE_DEV
	global_load_b64 v[4:5], v12, s[12:13] scale_offset
	v_sub_nc_u64_e32 v[6:7], v[8:9], v[0:1]
	s_wait_loadcnt 0x0
	v_add_nc_u64_e32 v[4:5], v[6:7], v[4:5]
	ds_store_b64 v3, v[4:5]
.LBB2181_141:
	s_wait_xcnt 0x0
	s_or_b32 exec_lo, exec_lo, s1
	v_mad_i32_i24 v13, v12, -6, v3
	s_wait_storecnt_dscnt 0x0
	s_barrier_signal -1
	s_barrier_wait -1
	ds_load_u16 v16, v13 offset:2048
	ds_load_u16 v17, v13 offset:3072
	;; [unrolled: 1-line block ×8, first 2 shown]
	v_dual_mov_b32 v5, 0 :: v_dual_lshlrev_b32 v4, 1, v12
	s_add_co_i32 s7, s7, -1
	s_delay_alu instid0(SALU_CYCLE_1) | instskip(SKIP_2) | instid1(VALU_DEP_1)
	s_cmp_eq_u32 s9, s7
	s_wait_dscnt 0x7
	v_cmp_ne_u16_e64 s0, 0x8000, v16
	v_cndmask_b32_e64 v6, 0x7fff, v16, s0
	v_cmp_gt_i16_e64 s0, 0, v16
	s_delay_alu instid0(VALU_DEP_2) | instskip(NEXT) | instid1(VALU_DEP_2)
	v_and_b32_e32 v6, 0xffff, v6
	v_cndmask_b32_e64 v24, 0x7fff, 0, s0
	s_wait_dscnt 0x6
	v_cmp_ne_u16_e64 s0, 0x8000, v17
	s_delay_alu instid0(VALU_DEP_2) | instskip(NEXT) | instid1(VALU_DEP_2)
	v_xor_b32_e32 v24, v24, v16
	v_cndmask_b32_e64 v7, 0x7fff, v17, s0
	s_wait_dscnt 0x5
	v_cmp_ne_u16_e64 s0, 0x8000, v18
	s_delay_alu instid0(VALU_DEP_2) | instskip(NEXT) | instid1(VALU_DEP_2)
	v_and_b32_e32 v7, 0xffff, v7
	v_cndmask_b32_e64 v8, 0x7fff, v18, s0
	s_wait_dscnt 0x4
	v_cmp_ne_u16_e64 s0, 0x8000, v19
	s_delay_alu instid0(VALU_DEP_3) | instskip(NEXT) | instid1(VALU_DEP_3)
	v_dual_lshrrev_b32 v6, s20, v6 :: v_dual_lshrrev_b32 v7, s20, v7
	v_and_b32_e32 v8, 0xffff, v8
	s_delay_alu instid0(VALU_DEP_3) | instskip(SKIP_1) | instid1(VALU_DEP_4)
	v_cndmask_b32_e64 v9, 0x7fff, v19, s0
	v_cmp_gt_i16_e64 s0, 0, v17
	v_and_b32_e32 v7, s8, v7
	v_and_b32_e32 v6, s8, v6
	s_delay_alu instid0(VALU_DEP_4) | instskip(NEXT) | instid1(VALU_DEP_4)
	v_and_b32_e32 v9, 0xffff, v9
	v_cndmask_b32_e64 v25, 0x7fff, 0, s0
	s_wait_dscnt 0x3
	v_cmp_ne_u16_e64 s0, 0x8000, v20
	v_dual_lshrrev_b32 v8, s20, v8 :: v_dual_lshlrev_b32 v11, 3, v7
	v_dual_lshrrev_b32 v9, s20, v9 :: v_dual_lshlrev_b32 v6, 3, v6
	s_delay_alu instid0(VALU_DEP_3) | instskip(SKIP_1) | instid1(VALU_DEP_2)
	v_cndmask_b32_e64 v10, 0x7fff, v20, s0
	v_cmp_gt_i16_e64 s0, 0, v18
	v_and_b32_e32 v10, 0xffff, v10
	v_and_b32_e32 v8, s8, v8
	;; [unrolled: 1-line block ×3, first 2 shown]
	s_delay_alu instid0(VALU_DEP_4) | instskip(SKIP_1) | instid1(VALU_DEP_4)
	v_cndmask_b32_e64 v27, 0x7fff, 0, s0
	v_cmp_gt_i16_e64 s0, 0, v19
	v_dual_lshrrev_b32 v26, s20, v10 :: v_dual_lshlrev_b32 v10, 3, v8
	s_delay_alu instid0(VALU_DEP_4)
	v_lshlrev_b32_e32 v14, 3, v9
	ds_load_b64 v[6:7], v6
	ds_load_b64 v[8:9], v11
	v_cndmask_b32_e64 v28, 0x7fff, 0, s0
	s_wait_dscnt 0x4
	v_cmp_ne_u16_e64 s0, 0x8000, v21
	v_and_b32_e32 v26, s8, v26
	ds_load_b64 v[10:11], v10
	ds_load_b64 v[14:15], v14
	v_xor_b32_e32 v19, v28, v19
	v_cndmask_b32_e64 v29, 0x7fff, v21, s0
	s_wait_dscnt 0x5
	v_cmp_ne_u16_e64 s0, 0x8000, v22
	v_lshlrev_b32_e32 v26, 3, v26
	s_delay_alu instid0(VALU_DEP_2) | instskip(SKIP_1) | instid1(VALU_DEP_2)
	v_cndmask_b32_e64 v30, 0x7fff, v22, s0
	v_cmp_gt_i16_e64 s0, 0, v20
	v_and_b32_e32 v28, 0xffff, v30
	s_wait_dscnt 0x3
	v_lshl_add_u64 v[6:7], v[6:7], 1, s[18:19]
	v_xor_b32_e32 v18, v27, v18
	v_and_b32_e32 v27, 0xffff, v29
	v_xor_b32_e32 v25, v25, v17
	ds_load_b64 v[16:17], v26
	ds_load_u16 v26, v13 offset:10240
	ds_load_u16 v31, v13 offset:11264
	ds_load_u16 v32, v13 offset:12288
	ds_load_u16 v13, v13 offset:13312
	s_wait_dscnt 0x7
	v_lshl_add_u64 v[8:9], v[8:9], 1, s[18:19]
	s_wait_dscnt 0x6
	v_lshl_add_u64 v[10:11], v[10:11], 1, s[18:19]
	v_add_nc_u64_e32 v[6:7], v[6:7], v[4:5]
	s_wait_dscnt 0x5
	v_lshl_add_u64 v[14:15], v[14:15], 1, s[18:19]
	v_add_nc_u64_e32 v[8:9], v[8:9], v[4:5]
	v_add_nc_u64_e32 v[10:11], v[10:11], v[4:5]
	s_clause 0x1
	global_store_b16 v[6:7], v24, off
	global_store_b16 v[8:9], v25, off offset:1024
	s_wait_xcnt 0x1
	v_cndmask_b32_e64 v6, 0x7fff, 0, s0
	v_cmp_ne_u16_e64 s0, 0x8000, v23
	s_wait_xcnt 0x0
	v_dual_lshrrev_b32 v8, s20, v27 :: v_dual_lshrrev_b32 v9, s20, v28
	global_store_b16 v[10:11], v18, off offset:2048
	v_add_nc_u64_e32 v[14:15], v[14:15], v[4:5]
	s_wait_xcnt 0x0
	v_cndmask_b32_e64 v10, 0x7fff, v23, s0
	s_wait_dscnt 0x3
	v_cmp_ne_u16_e64 s0, 0x8000, v26
	v_and_b32_e32 v8, s8, v8
	v_and_b32_e32 v9, s8, v9
	s_delay_alu instid0(VALU_DEP_3)
	v_cndmask_b32_e64 v11, 0x7fff, v26, s0
	s_wait_dscnt 0x2
	v_cmp_ne_u16_e64 s0, 0x8000, v31
	v_lshlrev_b32_e32 v8, 3, v8
	global_store_b16 v[14:15], v19, off offset:3072
	s_wait_xcnt 0x0
	v_dual_lshlrev_b32 v15, 3, v9 :: v_dual_bitop2_b32 v14, v6, v20 bitop3:0x14
	v_lshl_add_u64 v[6:7], v[16:17], 1, s[18:19]
	v_and_b32_e32 v16, 0xffff, v10
	v_and_b32_e32 v17, 0xffff, v11
	v_cndmask_b32_e64 v18, 0x7fff, v31, s0
	ds_load_b64 v[8:9], v8
	ds_load_b64 v[10:11], v15
	v_cmp_gt_i16_e64 s0, 0, v21
	v_dual_lshrrev_b32 v15, s20, v16 :: v_dual_lshrrev_b32 v16, s20, v17
	v_and_b32_e32 v17, 0xffff, v18
	v_add_nc_u64_e32 v[6:7], v[6:7], v[4:5]
	s_delay_alu instid0(VALU_DEP_4) | instskip(NEXT) | instid1(VALU_DEP_4)
	v_cndmask_b32_e64 v18, 0x7fff, 0, s0
	v_and_b32_e32 v15, s8, v15
	s_wait_dscnt 0x3
	v_cmp_ne_u16_e64 s0, 0x8000, v32
	v_dual_lshrrev_b32 v17, s20, v17 :: v_dual_bitop2_b32 v16, s8, v16 bitop3:0x40
	global_store_b16 v[6:7], v14, off offset:4096
	s_wait_xcnt 0x0
	v_dual_lshlrev_b32 v6, 3, v15 :: v_dual_bitop2_b32 v18, v18, v21 bitop3:0x14
	v_dual_lshlrev_b32 v14, 3, v16 :: v_dual_bitop2_b32 v16, s8, v17 bitop3:0x40
	v_cndmask_b32_e64 v17, 0x7fff, v32, s0
	s_wait_dscnt 0x2
	v_cmp_ne_u16_e64 s0, 0x8000, v13
	s_wait_dscnt 0x1
	v_lshl_add_u64 v[8:9], v[8:9], 1, s[18:19]
	s_wait_dscnt 0x0
	v_lshl_add_u64 v[10:11], v[10:11], 1, s[18:19]
	ds_load_b64 v[6:7], v6
	ds_load_b64 v[14:15], v14
	v_and_b32_e32 v17, 0xffff, v17
	v_cndmask_b32_e64 v19, 0x7fff, v13, s0
	v_cmp_gt_i16_e64 s0, 0, v22
	v_add_nc_u64_e32 v[8:9], v[8:9], v[4:5]
	v_add_nc_u64_e32 v[10:11], v[10:11], v[4:5]
	v_lshrrev_b32_e32 v20, s20, v17
	v_and_b32_e32 v19, 0xffff, v19
	v_lshlrev_b32_e32 v16, 3, v16
	v_cndmask_b32_e64 v21, 0x7fff, 0, s0
	v_cmp_gt_i16_e64 s0, 0, v23
	s_delay_alu instid0(VALU_DEP_4)
	v_lshrrev_b32_e32 v19, s20, v19
	ds_load_b64 v[16:17], v16
	v_xor_b32_e32 v21, v21, v22
	s_clause 0x1
	global_store_b16 v[8:9], v18, off offset:5120
	global_store_b16 v[10:11], v21, off offset:6144
	v_and_b32_e32 v19, s8, v19
	v_and_b32_e32 v20, s8, v20
	v_cndmask_b32_e64 v22, 0x7fff, 0, s0
	v_cmp_gt_i16_e64 s0, 0, v26
	s_wait_dscnt 0x2
	v_lshl_add_u64 v[6:7], v[6:7], 1, s[18:19]
	v_dual_lshlrev_b32 v19, 3, v19 :: v_dual_lshlrev_b32 v20, 3, v20
	s_wait_dscnt 0x1
	v_lshl_add_u64 v[14:15], v[14:15], 1, s[18:19]
	s_wait_xcnt 0x1
	v_xor_b32_e32 v18, v22, v23
	v_add_nc_u64_e32 v[6:7], v[6:7], v[4:5]
	s_wait_xcnt 0x0
	ds_load_b64 v[10:11], v19
	ds_load_b64 v[8:9], v20
	v_cndmask_b32_e64 v19, 0x7fff, 0, s0
	v_cmp_gt_i16_e64 s0, 0, v31
	s_wait_dscnt 0x2
	v_lshl_add_u64 v[16:17], v[16:17], 1, s[18:19]
	v_add_nc_u64_e32 v[14:15], v[14:15], v[4:5]
	v_xor_b32_e32 v19, v19, v26
	v_cndmask_b32_e64 v20, 0x7fff, 0, s0
	v_cmp_gt_i16_e64 s0, 0, v32
	v_add_nc_u64_e32 v[16:17], v[16:17], v[4:5]
	s_delay_alu instid0(VALU_DEP_3) | instskip(NEXT) | instid1(VALU_DEP_3)
	v_xor_b32_e32 v20, v20, v31
	v_cndmask_b32_e64 v21, 0x7fff, 0, s0
	v_cmp_gt_i16_e64 s0, 0, v13
	s_clause 0x2
	global_store_b16 v[6:7], v18, off offset:7168
	global_store_b16 v[14:15], v19, off offset:8192
	global_store_b16 v[16:17], v20, off offset:9216
	s_wait_xcnt 0x1
	v_xor_b32_e32 v14, v21, v32
	s_wait_dscnt 0x0
	v_lshl_add_u64 v[6:7], v[8:9], 1, s[18:19]
	v_lshl_add_u64 v[8:9], v[10:11], 1, s[18:19]
	v_cndmask_b32_e64 v10, 0x7fff, 0, s0
	s_cselect_b32 s0, -1, 0
	s_xor_b32 s1, vcc_lo, -1
	v_add_nc_u64_e32 v[6:7], v[6:7], v[4:5]
	v_add_nc_u64_e32 v[8:9], v[8:9], v[4:5]
	v_xor_b32_e32 v4, v10, v13
	s_and_b32 s0, s1, s0
	s_clause 0x1
	global_store_b16 v[6:7], v14, off offset:10240
	global_store_b16 v[8:9], v4, off offset:11264
	s_wait_xcnt 0x0
	s_and_saveexec_b32 s1, s0
	s_cbranch_execz .LBB2181_143
; %bb.142:
	ds_load_b64 v[6:7], v3
	v_mov_b32_e32 v3, v5
	s_delay_alu instid0(VALU_DEP_1) | instskip(SKIP_1) | instid1(VALU_DEP_1)
	v_add_nc_u64_e32 v[0:1], v[0:1], v[2:3]
	s_wait_dscnt 0x0
	v_add_nc_u64_e32 v[0:1], v[0:1], v[6:7]
	global_store_b64 v12, v[0:1], s[14:15] scale_offset
.LBB2181_143:
	s_sendmsg sendmsg(MSG_DEALLOC_VGPRS)
	s_endpgm
	.section	.rodata,"a",@progbits
	.p2align	6, 0x0
	.amdhsa_kernel _ZN7rocprim17ROCPRIM_400000_NS6detail17trampoline_kernelINS0_14default_configENS1_35radix_sort_onesweep_config_selectorI6__halfNS0_10empty_typeEEEZZNS1_29radix_sort_onesweep_iterationIS3_Lb1EPKS5_PS5_PS6_SC_mNS0_19identity_decomposerENS1_16block_id_wrapperIjLb0EEEEE10hipError_tT1_PNSt15iterator_traitsISH_E10value_typeET2_T3_PNSI_ISN_E10value_typeET4_T5_PSS_ST_PNS1_23onesweep_lookback_stateEbbT6_jjT7_P12ihipStream_tbENKUlT_T0_SH_SM_E_clISA_SB_SC_SC_EEDaS10_S11_SH_SM_EUlS10_E_NS1_11comp_targetILNS1_3genE0ELNS1_11target_archE4294967295ELNS1_3gpuE0ELNS1_3repE0EEENS1_47radix_sort_onesweep_sort_config_static_selectorELNS0_4arch9wavefront6targetE0EEEvSH_
		.amdhsa_group_segment_fixed_size 18504
		.amdhsa_private_segment_fixed_size 0
		.amdhsa_kernarg_size 344
		.amdhsa_user_sgpr_count 2
		.amdhsa_user_sgpr_dispatch_ptr 0
		.amdhsa_user_sgpr_queue_ptr 0
		.amdhsa_user_sgpr_kernarg_segment_ptr 1
		.amdhsa_user_sgpr_dispatch_id 0
		.amdhsa_user_sgpr_kernarg_preload_length 0
		.amdhsa_user_sgpr_kernarg_preload_offset 0
		.amdhsa_user_sgpr_private_segment_size 0
		.amdhsa_wavefront_size32 1
		.amdhsa_uses_dynamic_stack 0
		.amdhsa_enable_private_segment 0
		.amdhsa_system_sgpr_workgroup_id_x 1
		.amdhsa_system_sgpr_workgroup_id_y 0
		.amdhsa_system_sgpr_workgroup_id_z 0
		.amdhsa_system_sgpr_workgroup_info 0
		.amdhsa_system_vgpr_workitem_id 2
		.amdhsa_next_free_vgpr 65
		.amdhsa_next_free_sgpr 28
		.amdhsa_named_barrier_count 0
		.amdhsa_reserve_vcc 1
		.amdhsa_float_round_mode_32 0
		.amdhsa_float_round_mode_16_64 0
		.amdhsa_float_denorm_mode_32 3
		.amdhsa_float_denorm_mode_16_64 3
		.amdhsa_fp16_overflow 0
		.amdhsa_memory_ordered 1
		.amdhsa_forward_progress 1
		.amdhsa_inst_pref_size 146
		.amdhsa_round_robin_scheduling 0
		.amdhsa_exception_fp_ieee_invalid_op 0
		.amdhsa_exception_fp_denorm_src 0
		.amdhsa_exception_fp_ieee_div_zero 0
		.amdhsa_exception_fp_ieee_overflow 0
		.amdhsa_exception_fp_ieee_underflow 0
		.amdhsa_exception_fp_ieee_inexact 0
		.amdhsa_exception_int_div_zero 0
	.end_amdhsa_kernel
	.section	.text._ZN7rocprim17ROCPRIM_400000_NS6detail17trampoline_kernelINS0_14default_configENS1_35radix_sort_onesweep_config_selectorI6__halfNS0_10empty_typeEEEZZNS1_29radix_sort_onesweep_iterationIS3_Lb1EPKS5_PS5_PS6_SC_mNS0_19identity_decomposerENS1_16block_id_wrapperIjLb0EEEEE10hipError_tT1_PNSt15iterator_traitsISH_E10value_typeET2_T3_PNSI_ISN_E10value_typeET4_T5_PSS_ST_PNS1_23onesweep_lookback_stateEbbT6_jjT7_P12ihipStream_tbENKUlT_T0_SH_SM_E_clISA_SB_SC_SC_EEDaS10_S11_SH_SM_EUlS10_E_NS1_11comp_targetILNS1_3genE0ELNS1_11target_archE4294967295ELNS1_3gpuE0ELNS1_3repE0EEENS1_47radix_sort_onesweep_sort_config_static_selectorELNS0_4arch9wavefront6targetE0EEEvSH_,"axG",@progbits,_ZN7rocprim17ROCPRIM_400000_NS6detail17trampoline_kernelINS0_14default_configENS1_35radix_sort_onesweep_config_selectorI6__halfNS0_10empty_typeEEEZZNS1_29radix_sort_onesweep_iterationIS3_Lb1EPKS5_PS5_PS6_SC_mNS0_19identity_decomposerENS1_16block_id_wrapperIjLb0EEEEE10hipError_tT1_PNSt15iterator_traitsISH_E10value_typeET2_T3_PNSI_ISN_E10value_typeET4_T5_PSS_ST_PNS1_23onesweep_lookback_stateEbbT6_jjT7_P12ihipStream_tbENKUlT_T0_SH_SM_E_clISA_SB_SC_SC_EEDaS10_S11_SH_SM_EUlS10_E_NS1_11comp_targetILNS1_3genE0ELNS1_11target_archE4294967295ELNS1_3gpuE0ELNS1_3repE0EEENS1_47radix_sort_onesweep_sort_config_static_selectorELNS0_4arch9wavefront6targetE0EEEvSH_,comdat
.Lfunc_end2181:
	.size	_ZN7rocprim17ROCPRIM_400000_NS6detail17trampoline_kernelINS0_14default_configENS1_35radix_sort_onesweep_config_selectorI6__halfNS0_10empty_typeEEEZZNS1_29radix_sort_onesweep_iterationIS3_Lb1EPKS5_PS5_PS6_SC_mNS0_19identity_decomposerENS1_16block_id_wrapperIjLb0EEEEE10hipError_tT1_PNSt15iterator_traitsISH_E10value_typeET2_T3_PNSI_ISN_E10value_typeET4_T5_PSS_ST_PNS1_23onesweep_lookback_stateEbbT6_jjT7_P12ihipStream_tbENKUlT_T0_SH_SM_E_clISA_SB_SC_SC_EEDaS10_S11_SH_SM_EUlS10_E_NS1_11comp_targetILNS1_3genE0ELNS1_11target_archE4294967295ELNS1_3gpuE0ELNS1_3repE0EEENS1_47radix_sort_onesweep_sort_config_static_selectorELNS0_4arch9wavefront6targetE0EEEvSH_, .Lfunc_end2181-_ZN7rocprim17ROCPRIM_400000_NS6detail17trampoline_kernelINS0_14default_configENS1_35radix_sort_onesweep_config_selectorI6__halfNS0_10empty_typeEEEZZNS1_29radix_sort_onesweep_iterationIS3_Lb1EPKS5_PS5_PS6_SC_mNS0_19identity_decomposerENS1_16block_id_wrapperIjLb0EEEEE10hipError_tT1_PNSt15iterator_traitsISH_E10value_typeET2_T3_PNSI_ISN_E10value_typeET4_T5_PSS_ST_PNS1_23onesweep_lookback_stateEbbT6_jjT7_P12ihipStream_tbENKUlT_T0_SH_SM_E_clISA_SB_SC_SC_EEDaS10_S11_SH_SM_EUlS10_E_NS1_11comp_targetILNS1_3genE0ELNS1_11target_archE4294967295ELNS1_3gpuE0ELNS1_3repE0EEENS1_47radix_sort_onesweep_sort_config_static_selectorELNS0_4arch9wavefront6targetE0EEEvSH_
                                        ; -- End function
	.set _ZN7rocprim17ROCPRIM_400000_NS6detail17trampoline_kernelINS0_14default_configENS1_35radix_sort_onesweep_config_selectorI6__halfNS0_10empty_typeEEEZZNS1_29radix_sort_onesweep_iterationIS3_Lb1EPKS5_PS5_PS6_SC_mNS0_19identity_decomposerENS1_16block_id_wrapperIjLb0EEEEE10hipError_tT1_PNSt15iterator_traitsISH_E10value_typeET2_T3_PNSI_ISN_E10value_typeET4_T5_PSS_ST_PNS1_23onesweep_lookback_stateEbbT6_jjT7_P12ihipStream_tbENKUlT_T0_SH_SM_E_clISA_SB_SC_SC_EEDaS10_S11_SH_SM_EUlS10_E_NS1_11comp_targetILNS1_3genE0ELNS1_11target_archE4294967295ELNS1_3gpuE0ELNS1_3repE0EEENS1_47radix_sort_onesweep_sort_config_static_selectorELNS0_4arch9wavefront6targetE0EEEvSH_.num_vgpr, 65
	.set _ZN7rocprim17ROCPRIM_400000_NS6detail17trampoline_kernelINS0_14default_configENS1_35radix_sort_onesweep_config_selectorI6__halfNS0_10empty_typeEEEZZNS1_29radix_sort_onesweep_iterationIS3_Lb1EPKS5_PS5_PS6_SC_mNS0_19identity_decomposerENS1_16block_id_wrapperIjLb0EEEEE10hipError_tT1_PNSt15iterator_traitsISH_E10value_typeET2_T3_PNSI_ISN_E10value_typeET4_T5_PSS_ST_PNS1_23onesweep_lookback_stateEbbT6_jjT7_P12ihipStream_tbENKUlT_T0_SH_SM_E_clISA_SB_SC_SC_EEDaS10_S11_SH_SM_EUlS10_E_NS1_11comp_targetILNS1_3genE0ELNS1_11target_archE4294967295ELNS1_3gpuE0ELNS1_3repE0EEENS1_47radix_sort_onesweep_sort_config_static_selectorELNS0_4arch9wavefront6targetE0EEEvSH_.num_agpr, 0
	.set _ZN7rocprim17ROCPRIM_400000_NS6detail17trampoline_kernelINS0_14default_configENS1_35radix_sort_onesweep_config_selectorI6__halfNS0_10empty_typeEEEZZNS1_29radix_sort_onesweep_iterationIS3_Lb1EPKS5_PS5_PS6_SC_mNS0_19identity_decomposerENS1_16block_id_wrapperIjLb0EEEEE10hipError_tT1_PNSt15iterator_traitsISH_E10value_typeET2_T3_PNSI_ISN_E10value_typeET4_T5_PSS_ST_PNS1_23onesweep_lookback_stateEbbT6_jjT7_P12ihipStream_tbENKUlT_T0_SH_SM_E_clISA_SB_SC_SC_EEDaS10_S11_SH_SM_EUlS10_E_NS1_11comp_targetILNS1_3genE0ELNS1_11target_archE4294967295ELNS1_3gpuE0ELNS1_3repE0EEENS1_47radix_sort_onesweep_sort_config_static_selectorELNS0_4arch9wavefront6targetE0EEEvSH_.numbered_sgpr, 28
	.set _ZN7rocprim17ROCPRIM_400000_NS6detail17trampoline_kernelINS0_14default_configENS1_35radix_sort_onesweep_config_selectorI6__halfNS0_10empty_typeEEEZZNS1_29radix_sort_onesweep_iterationIS3_Lb1EPKS5_PS5_PS6_SC_mNS0_19identity_decomposerENS1_16block_id_wrapperIjLb0EEEEE10hipError_tT1_PNSt15iterator_traitsISH_E10value_typeET2_T3_PNSI_ISN_E10value_typeET4_T5_PSS_ST_PNS1_23onesweep_lookback_stateEbbT6_jjT7_P12ihipStream_tbENKUlT_T0_SH_SM_E_clISA_SB_SC_SC_EEDaS10_S11_SH_SM_EUlS10_E_NS1_11comp_targetILNS1_3genE0ELNS1_11target_archE4294967295ELNS1_3gpuE0ELNS1_3repE0EEENS1_47radix_sort_onesweep_sort_config_static_selectorELNS0_4arch9wavefront6targetE0EEEvSH_.num_named_barrier, 0
	.set _ZN7rocprim17ROCPRIM_400000_NS6detail17trampoline_kernelINS0_14default_configENS1_35radix_sort_onesweep_config_selectorI6__halfNS0_10empty_typeEEEZZNS1_29radix_sort_onesweep_iterationIS3_Lb1EPKS5_PS5_PS6_SC_mNS0_19identity_decomposerENS1_16block_id_wrapperIjLb0EEEEE10hipError_tT1_PNSt15iterator_traitsISH_E10value_typeET2_T3_PNSI_ISN_E10value_typeET4_T5_PSS_ST_PNS1_23onesweep_lookback_stateEbbT6_jjT7_P12ihipStream_tbENKUlT_T0_SH_SM_E_clISA_SB_SC_SC_EEDaS10_S11_SH_SM_EUlS10_E_NS1_11comp_targetILNS1_3genE0ELNS1_11target_archE4294967295ELNS1_3gpuE0ELNS1_3repE0EEENS1_47radix_sort_onesweep_sort_config_static_selectorELNS0_4arch9wavefront6targetE0EEEvSH_.private_seg_size, 0
	.set _ZN7rocprim17ROCPRIM_400000_NS6detail17trampoline_kernelINS0_14default_configENS1_35radix_sort_onesweep_config_selectorI6__halfNS0_10empty_typeEEEZZNS1_29radix_sort_onesweep_iterationIS3_Lb1EPKS5_PS5_PS6_SC_mNS0_19identity_decomposerENS1_16block_id_wrapperIjLb0EEEEE10hipError_tT1_PNSt15iterator_traitsISH_E10value_typeET2_T3_PNSI_ISN_E10value_typeET4_T5_PSS_ST_PNS1_23onesweep_lookback_stateEbbT6_jjT7_P12ihipStream_tbENKUlT_T0_SH_SM_E_clISA_SB_SC_SC_EEDaS10_S11_SH_SM_EUlS10_E_NS1_11comp_targetILNS1_3genE0ELNS1_11target_archE4294967295ELNS1_3gpuE0ELNS1_3repE0EEENS1_47radix_sort_onesweep_sort_config_static_selectorELNS0_4arch9wavefront6targetE0EEEvSH_.uses_vcc, 1
	.set _ZN7rocprim17ROCPRIM_400000_NS6detail17trampoline_kernelINS0_14default_configENS1_35radix_sort_onesweep_config_selectorI6__halfNS0_10empty_typeEEEZZNS1_29radix_sort_onesweep_iterationIS3_Lb1EPKS5_PS5_PS6_SC_mNS0_19identity_decomposerENS1_16block_id_wrapperIjLb0EEEEE10hipError_tT1_PNSt15iterator_traitsISH_E10value_typeET2_T3_PNSI_ISN_E10value_typeET4_T5_PSS_ST_PNS1_23onesweep_lookback_stateEbbT6_jjT7_P12ihipStream_tbENKUlT_T0_SH_SM_E_clISA_SB_SC_SC_EEDaS10_S11_SH_SM_EUlS10_E_NS1_11comp_targetILNS1_3genE0ELNS1_11target_archE4294967295ELNS1_3gpuE0ELNS1_3repE0EEENS1_47radix_sort_onesweep_sort_config_static_selectorELNS0_4arch9wavefront6targetE0EEEvSH_.uses_flat_scratch, 0
	.set _ZN7rocprim17ROCPRIM_400000_NS6detail17trampoline_kernelINS0_14default_configENS1_35radix_sort_onesweep_config_selectorI6__halfNS0_10empty_typeEEEZZNS1_29radix_sort_onesweep_iterationIS3_Lb1EPKS5_PS5_PS6_SC_mNS0_19identity_decomposerENS1_16block_id_wrapperIjLb0EEEEE10hipError_tT1_PNSt15iterator_traitsISH_E10value_typeET2_T3_PNSI_ISN_E10value_typeET4_T5_PSS_ST_PNS1_23onesweep_lookback_stateEbbT6_jjT7_P12ihipStream_tbENKUlT_T0_SH_SM_E_clISA_SB_SC_SC_EEDaS10_S11_SH_SM_EUlS10_E_NS1_11comp_targetILNS1_3genE0ELNS1_11target_archE4294967295ELNS1_3gpuE0ELNS1_3repE0EEENS1_47radix_sort_onesweep_sort_config_static_selectorELNS0_4arch9wavefront6targetE0EEEvSH_.has_dyn_sized_stack, 0
	.set _ZN7rocprim17ROCPRIM_400000_NS6detail17trampoline_kernelINS0_14default_configENS1_35radix_sort_onesweep_config_selectorI6__halfNS0_10empty_typeEEEZZNS1_29radix_sort_onesweep_iterationIS3_Lb1EPKS5_PS5_PS6_SC_mNS0_19identity_decomposerENS1_16block_id_wrapperIjLb0EEEEE10hipError_tT1_PNSt15iterator_traitsISH_E10value_typeET2_T3_PNSI_ISN_E10value_typeET4_T5_PSS_ST_PNS1_23onesweep_lookback_stateEbbT6_jjT7_P12ihipStream_tbENKUlT_T0_SH_SM_E_clISA_SB_SC_SC_EEDaS10_S11_SH_SM_EUlS10_E_NS1_11comp_targetILNS1_3genE0ELNS1_11target_archE4294967295ELNS1_3gpuE0ELNS1_3repE0EEENS1_47radix_sort_onesweep_sort_config_static_selectorELNS0_4arch9wavefront6targetE0EEEvSH_.has_recursion, 0
	.set _ZN7rocprim17ROCPRIM_400000_NS6detail17trampoline_kernelINS0_14default_configENS1_35radix_sort_onesweep_config_selectorI6__halfNS0_10empty_typeEEEZZNS1_29radix_sort_onesweep_iterationIS3_Lb1EPKS5_PS5_PS6_SC_mNS0_19identity_decomposerENS1_16block_id_wrapperIjLb0EEEEE10hipError_tT1_PNSt15iterator_traitsISH_E10value_typeET2_T3_PNSI_ISN_E10value_typeET4_T5_PSS_ST_PNS1_23onesweep_lookback_stateEbbT6_jjT7_P12ihipStream_tbENKUlT_T0_SH_SM_E_clISA_SB_SC_SC_EEDaS10_S11_SH_SM_EUlS10_E_NS1_11comp_targetILNS1_3genE0ELNS1_11target_archE4294967295ELNS1_3gpuE0ELNS1_3repE0EEENS1_47radix_sort_onesweep_sort_config_static_selectorELNS0_4arch9wavefront6targetE0EEEvSH_.has_indirect_call, 0
	.section	.AMDGPU.csdata,"",@progbits
; Kernel info:
; codeLenInByte = 18604
; TotalNumSgprs: 30
; NumVgprs: 65
; ScratchSize: 0
; MemoryBound: 0
; FloatMode: 240
; IeeeMode: 1
; LDSByteSize: 18504 bytes/workgroup (compile time only)
; SGPRBlocks: 0
; VGPRBlocks: 4
; NumSGPRsForWavesPerEU: 30
; NumVGPRsForWavesPerEU: 65
; NamedBarCnt: 0
; Occupancy: 12
; WaveLimiterHint : 0
; COMPUTE_PGM_RSRC2:SCRATCH_EN: 0
; COMPUTE_PGM_RSRC2:USER_SGPR: 2
; COMPUTE_PGM_RSRC2:TRAP_HANDLER: 0
; COMPUTE_PGM_RSRC2:TGID_X_EN: 1
; COMPUTE_PGM_RSRC2:TGID_Y_EN: 0
; COMPUTE_PGM_RSRC2:TGID_Z_EN: 0
; COMPUTE_PGM_RSRC2:TIDIG_COMP_CNT: 2
	.section	.text._ZN7rocprim17ROCPRIM_400000_NS6detail17trampoline_kernelINS0_14default_configENS1_35radix_sort_onesweep_config_selectorI6__halfNS0_10empty_typeEEEZZNS1_29radix_sort_onesweep_iterationIS3_Lb1EPKS5_PS5_PS6_SC_mNS0_19identity_decomposerENS1_16block_id_wrapperIjLb0EEEEE10hipError_tT1_PNSt15iterator_traitsISH_E10value_typeET2_T3_PNSI_ISN_E10value_typeET4_T5_PSS_ST_PNS1_23onesweep_lookback_stateEbbT6_jjT7_P12ihipStream_tbENKUlT_T0_SH_SM_E_clISA_SB_SC_SC_EEDaS10_S11_SH_SM_EUlS10_E_NS1_11comp_targetILNS1_3genE6ELNS1_11target_archE950ELNS1_3gpuE13ELNS1_3repE0EEENS1_47radix_sort_onesweep_sort_config_static_selectorELNS0_4arch9wavefront6targetE0EEEvSH_,"axG",@progbits,_ZN7rocprim17ROCPRIM_400000_NS6detail17trampoline_kernelINS0_14default_configENS1_35radix_sort_onesweep_config_selectorI6__halfNS0_10empty_typeEEEZZNS1_29radix_sort_onesweep_iterationIS3_Lb1EPKS5_PS5_PS6_SC_mNS0_19identity_decomposerENS1_16block_id_wrapperIjLb0EEEEE10hipError_tT1_PNSt15iterator_traitsISH_E10value_typeET2_T3_PNSI_ISN_E10value_typeET4_T5_PSS_ST_PNS1_23onesweep_lookback_stateEbbT6_jjT7_P12ihipStream_tbENKUlT_T0_SH_SM_E_clISA_SB_SC_SC_EEDaS10_S11_SH_SM_EUlS10_E_NS1_11comp_targetILNS1_3genE6ELNS1_11target_archE950ELNS1_3gpuE13ELNS1_3repE0EEENS1_47radix_sort_onesweep_sort_config_static_selectorELNS0_4arch9wavefront6targetE0EEEvSH_,comdat
	.protected	_ZN7rocprim17ROCPRIM_400000_NS6detail17trampoline_kernelINS0_14default_configENS1_35radix_sort_onesweep_config_selectorI6__halfNS0_10empty_typeEEEZZNS1_29radix_sort_onesweep_iterationIS3_Lb1EPKS5_PS5_PS6_SC_mNS0_19identity_decomposerENS1_16block_id_wrapperIjLb0EEEEE10hipError_tT1_PNSt15iterator_traitsISH_E10value_typeET2_T3_PNSI_ISN_E10value_typeET4_T5_PSS_ST_PNS1_23onesweep_lookback_stateEbbT6_jjT7_P12ihipStream_tbENKUlT_T0_SH_SM_E_clISA_SB_SC_SC_EEDaS10_S11_SH_SM_EUlS10_E_NS1_11comp_targetILNS1_3genE6ELNS1_11target_archE950ELNS1_3gpuE13ELNS1_3repE0EEENS1_47radix_sort_onesweep_sort_config_static_selectorELNS0_4arch9wavefront6targetE0EEEvSH_ ; -- Begin function _ZN7rocprim17ROCPRIM_400000_NS6detail17trampoline_kernelINS0_14default_configENS1_35radix_sort_onesweep_config_selectorI6__halfNS0_10empty_typeEEEZZNS1_29radix_sort_onesweep_iterationIS3_Lb1EPKS5_PS5_PS6_SC_mNS0_19identity_decomposerENS1_16block_id_wrapperIjLb0EEEEE10hipError_tT1_PNSt15iterator_traitsISH_E10value_typeET2_T3_PNSI_ISN_E10value_typeET4_T5_PSS_ST_PNS1_23onesweep_lookback_stateEbbT6_jjT7_P12ihipStream_tbENKUlT_T0_SH_SM_E_clISA_SB_SC_SC_EEDaS10_S11_SH_SM_EUlS10_E_NS1_11comp_targetILNS1_3genE6ELNS1_11target_archE950ELNS1_3gpuE13ELNS1_3repE0EEENS1_47radix_sort_onesweep_sort_config_static_selectorELNS0_4arch9wavefront6targetE0EEEvSH_
	.globl	_ZN7rocprim17ROCPRIM_400000_NS6detail17trampoline_kernelINS0_14default_configENS1_35radix_sort_onesweep_config_selectorI6__halfNS0_10empty_typeEEEZZNS1_29radix_sort_onesweep_iterationIS3_Lb1EPKS5_PS5_PS6_SC_mNS0_19identity_decomposerENS1_16block_id_wrapperIjLb0EEEEE10hipError_tT1_PNSt15iterator_traitsISH_E10value_typeET2_T3_PNSI_ISN_E10value_typeET4_T5_PSS_ST_PNS1_23onesweep_lookback_stateEbbT6_jjT7_P12ihipStream_tbENKUlT_T0_SH_SM_E_clISA_SB_SC_SC_EEDaS10_S11_SH_SM_EUlS10_E_NS1_11comp_targetILNS1_3genE6ELNS1_11target_archE950ELNS1_3gpuE13ELNS1_3repE0EEENS1_47radix_sort_onesweep_sort_config_static_selectorELNS0_4arch9wavefront6targetE0EEEvSH_
	.p2align	8
	.type	_ZN7rocprim17ROCPRIM_400000_NS6detail17trampoline_kernelINS0_14default_configENS1_35radix_sort_onesweep_config_selectorI6__halfNS0_10empty_typeEEEZZNS1_29radix_sort_onesweep_iterationIS3_Lb1EPKS5_PS5_PS6_SC_mNS0_19identity_decomposerENS1_16block_id_wrapperIjLb0EEEEE10hipError_tT1_PNSt15iterator_traitsISH_E10value_typeET2_T3_PNSI_ISN_E10value_typeET4_T5_PSS_ST_PNS1_23onesweep_lookback_stateEbbT6_jjT7_P12ihipStream_tbENKUlT_T0_SH_SM_E_clISA_SB_SC_SC_EEDaS10_S11_SH_SM_EUlS10_E_NS1_11comp_targetILNS1_3genE6ELNS1_11target_archE950ELNS1_3gpuE13ELNS1_3repE0EEENS1_47radix_sort_onesweep_sort_config_static_selectorELNS0_4arch9wavefront6targetE0EEEvSH_,@function
_ZN7rocprim17ROCPRIM_400000_NS6detail17trampoline_kernelINS0_14default_configENS1_35radix_sort_onesweep_config_selectorI6__halfNS0_10empty_typeEEEZZNS1_29radix_sort_onesweep_iterationIS3_Lb1EPKS5_PS5_PS6_SC_mNS0_19identity_decomposerENS1_16block_id_wrapperIjLb0EEEEE10hipError_tT1_PNSt15iterator_traitsISH_E10value_typeET2_T3_PNSI_ISN_E10value_typeET4_T5_PSS_ST_PNS1_23onesweep_lookback_stateEbbT6_jjT7_P12ihipStream_tbENKUlT_T0_SH_SM_E_clISA_SB_SC_SC_EEDaS10_S11_SH_SM_EUlS10_E_NS1_11comp_targetILNS1_3genE6ELNS1_11target_archE950ELNS1_3gpuE13ELNS1_3repE0EEENS1_47radix_sort_onesweep_sort_config_static_selectorELNS0_4arch9wavefront6targetE0EEEvSH_: ; @_ZN7rocprim17ROCPRIM_400000_NS6detail17trampoline_kernelINS0_14default_configENS1_35radix_sort_onesweep_config_selectorI6__halfNS0_10empty_typeEEEZZNS1_29radix_sort_onesweep_iterationIS3_Lb1EPKS5_PS5_PS6_SC_mNS0_19identity_decomposerENS1_16block_id_wrapperIjLb0EEEEE10hipError_tT1_PNSt15iterator_traitsISH_E10value_typeET2_T3_PNSI_ISN_E10value_typeET4_T5_PSS_ST_PNS1_23onesweep_lookback_stateEbbT6_jjT7_P12ihipStream_tbENKUlT_T0_SH_SM_E_clISA_SB_SC_SC_EEDaS10_S11_SH_SM_EUlS10_E_NS1_11comp_targetILNS1_3genE6ELNS1_11target_archE950ELNS1_3gpuE13ELNS1_3repE0EEENS1_47radix_sort_onesweep_sort_config_static_selectorELNS0_4arch9wavefront6targetE0EEEvSH_
; %bb.0:
	.section	.rodata,"a",@progbits
	.p2align	6, 0x0
	.amdhsa_kernel _ZN7rocprim17ROCPRIM_400000_NS6detail17trampoline_kernelINS0_14default_configENS1_35radix_sort_onesweep_config_selectorI6__halfNS0_10empty_typeEEEZZNS1_29radix_sort_onesweep_iterationIS3_Lb1EPKS5_PS5_PS6_SC_mNS0_19identity_decomposerENS1_16block_id_wrapperIjLb0EEEEE10hipError_tT1_PNSt15iterator_traitsISH_E10value_typeET2_T3_PNSI_ISN_E10value_typeET4_T5_PSS_ST_PNS1_23onesweep_lookback_stateEbbT6_jjT7_P12ihipStream_tbENKUlT_T0_SH_SM_E_clISA_SB_SC_SC_EEDaS10_S11_SH_SM_EUlS10_E_NS1_11comp_targetILNS1_3genE6ELNS1_11target_archE950ELNS1_3gpuE13ELNS1_3repE0EEENS1_47radix_sort_onesweep_sort_config_static_selectorELNS0_4arch9wavefront6targetE0EEEvSH_
		.amdhsa_group_segment_fixed_size 0
		.amdhsa_private_segment_fixed_size 0
		.amdhsa_kernarg_size 88
		.amdhsa_user_sgpr_count 2
		.amdhsa_user_sgpr_dispatch_ptr 0
		.amdhsa_user_sgpr_queue_ptr 0
		.amdhsa_user_sgpr_kernarg_segment_ptr 1
		.amdhsa_user_sgpr_dispatch_id 0
		.amdhsa_user_sgpr_kernarg_preload_length 0
		.amdhsa_user_sgpr_kernarg_preload_offset 0
		.amdhsa_user_sgpr_private_segment_size 0
		.amdhsa_wavefront_size32 1
		.amdhsa_uses_dynamic_stack 0
		.amdhsa_enable_private_segment 0
		.amdhsa_system_sgpr_workgroup_id_x 1
		.amdhsa_system_sgpr_workgroup_id_y 0
		.amdhsa_system_sgpr_workgroup_id_z 0
		.amdhsa_system_sgpr_workgroup_info 0
		.amdhsa_system_vgpr_workitem_id 0
		.amdhsa_next_free_vgpr 1
		.amdhsa_next_free_sgpr 1
		.amdhsa_named_barrier_count 0
		.amdhsa_reserve_vcc 0
		.amdhsa_float_round_mode_32 0
		.amdhsa_float_round_mode_16_64 0
		.amdhsa_float_denorm_mode_32 3
		.amdhsa_float_denorm_mode_16_64 3
		.amdhsa_fp16_overflow 0
		.amdhsa_memory_ordered 1
		.amdhsa_forward_progress 1
		.amdhsa_inst_pref_size 0
		.amdhsa_round_robin_scheduling 0
		.amdhsa_exception_fp_ieee_invalid_op 0
		.amdhsa_exception_fp_denorm_src 0
		.amdhsa_exception_fp_ieee_div_zero 0
		.amdhsa_exception_fp_ieee_overflow 0
		.amdhsa_exception_fp_ieee_underflow 0
		.amdhsa_exception_fp_ieee_inexact 0
		.amdhsa_exception_int_div_zero 0
	.end_amdhsa_kernel
	.section	.text._ZN7rocprim17ROCPRIM_400000_NS6detail17trampoline_kernelINS0_14default_configENS1_35radix_sort_onesweep_config_selectorI6__halfNS0_10empty_typeEEEZZNS1_29radix_sort_onesweep_iterationIS3_Lb1EPKS5_PS5_PS6_SC_mNS0_19identity_decomposerENS1_16block_id_wrapperIjLb0EEEEE10hipError_tT1_PNSt15iterator_traitsISH_E10value_typeET2_T3_PNSI_ISN_E10value_typeET4_T5_PSS_ST_PNS1_23onesweep_lookback_stateEbbT6_jjT7_P12ihipStream_tbENKUlT_T0_SH_SM_E_clISA_SB_SC_SC_EEDaS10_S11_SH_SM_EUlS10_E_NS1_11comp_targetILNS1_3genE6ELNS1_11target_archE950ELNS1_3gpuE13ELNS1_3repE0EEENS1_47radix_sort_onesweep_sort_config_static_selectorELNS0_4arch9wavefront6targetE0EEEvSH_,"axG",@progbits,_ZN7rocprim17ROCPRIM_400000_NS6detail17trampoline_kernelINS0_14default_configENS1_35radix_sort_onesweep_config_selectorI6__halfNS0_10empty_typeEEEZZNS1_29radix_sort_onesweep_iterationIS3_Lb1EPKS5_PS5_PS6_SC_mNS0_19identity_decomposerENS1_16block_id_wrapperIjLb0EEEEE10hipError_tT1_PNSt15iterator_traitsISH_E10value_typeET2_T3_PNSI_ISN_E10value_typeET4_T5_PSS_ST_PNS1_23onesweep_lookback_stateEbbT6_jjT7_P12ihipStream_tbENKUlT_T0_SH_SM_E_clISA_SB_SC_SC_EEDaS10_S11_SH_SM_EUlS10_E_NS1_11comp_targetILNS1_3genE6ELNS1_11target_archE950ELNS1_3gpuE13ELNS1_3repE0EEENS1_47radix_sort_onesweep_sort_config_static_selectorELNS0_4arch9wavefront6targetE0EEEvSH_,comdat
.Lfunc_end2182:
	.size	_ZN7rocprim17ROCPRIM_400000_NS6detail17trampoline_kernelINS0_14default_configENS1_35radix_sort_onesweep_config_selectorI6__halfNS0_10empty_typeEEEZZNS1_29radix_sort_onesweep_iterationIS3_Lb1EPKS5_PS5_PS6_SC_mNS0_19identity_decomposerENS1_16block_id_wrapperIjLb0EEEEE10hipError_tT1_PNSt15iterator_traitsISH_E10value_typeET2_T3_PNSI_ISN_E10value_typeET4_T5_PSS_ST_PNS1_23onesweep_lookback_stateEbbT6_jjT7_P12ihipStream_tbENKUlT_T0_SH_SM_E_clISA_SB_SC_SC_EEDaS10_S11_SH_SM_EUlS10_E_NS1_11comp_targetILNS1_3genE6ELNS1_11target_archE950ELNS1_3gpuE13ELNS1_3repE0EEENS1_47radix_sort_onesweep_sort_config_static_selectorELNS0_4arch9wavefront6targetE0EEEvSH_, .Lfunc_end2182-_ZN7rocprim17ROCPRIM_400000_NS6detail17trampoline_kernelINS0_14default_configENS1_35radix_sort_onesweep_config_selectorI6__halfNS0_10empty_typeEEEZZNS1_29radix_sort_onesweep_iterationIS3_Lb1EPKS5_PS5_PS6_SC_mNS0_19identity_decomposerENS1_16block_id_wrapperIjLb0EEEEE10hipError_tT1_PNSt15iterator_traitsISH_E10value_typeET2_T3_PNSI_ISN_E10value_typeET4_T5_PSS_ST_PNS1_23onesweep_lookback_stateEbbT6_jjT7_P12ihipStream_tbENKUlT_T0_SH_SM_E_clISA_SB_SC_SC_EEDaS10_S11_SH_SM_EUlS10_E_NS1_11comp_targetILNS1_3genE6ELNS1_11target_archE950ELNS1_3gpuE13ELNS1_3repE0EEENS1_47radix_sort_onesweep_sort_config_static_selectorELNS0_4arch9wavefront6targetE0EEEvSH_
                                        ; -- End function
	.set _ZN7rocprim17ROCPRIM_400000_NS6detail17trampoline_kernelINS0_14default_configENS1_35radix_sort_onesweep_config_selectorI6__halfNS0_10empty_typeEEEZZNS1_29radix_sort_onesweep_iterationIS3_Lb1EPKS5_PS5_PS6_SC_mNS0_19identity_decomposerENS1_16block_id_wrapperIjLb0EEEEE10hipError_tT1_PNSt15iterator_traitsISH_E10value_typeET2_T3_PNSI_ISN_E10value_typeET4_T5_PSS_ST_PNS1_23onesweep_lookback_stateEbbT6_jjT7_P12ihipStream_tbENKUlT_T0_SH_SM_E_clISA_SB_SC_SC_EEDaS10_S11_SH_SM_EUlS10_E_NS1_11comp_targetILNS1_3genE6ELNS1_11target_archE950ELNS1_3gpuE13ELNS1_3repE0EEENS1_47radix_sort_onesweep_sort_config_static_selectorELNS0_4arch9wavefront6targetE0EEEvSH_.num_vgpr, 0
	.set _ZN7rocprim17ROCPRIM_400000_NS6detail17trampoline_kernelINS0_14default_configENS1_35radix_sort_onesweep_config_selectorI6__halfNS0_10empty_typeEEEZZNS1_29radix_sort_onesweep_iterationIS3_Lb1EPKS5_PS5_PS6_SC_mNS0_19identity_decomposerENS1_16block_id_wrapperIjLb0EEEEE10hipError_tT1_PNSt15iterator_traitsISH_E10value_typeET2_T3_PNSI_ISN_E10value_typeET4_T5_PSS_ST_PNS1_23onesweep_lookback_stateEbbT6_jjT7_P12ihipStream_tbENKUlT_T0_SH_SM_E_clISA_SB_SC_SC_EEDaS10_S11_SH_SM_EUlS10_E_NS1_11comp_targetILNS1_3genE6ELNS1_11target_archE950ELNS1_3gpuE13ELNS1_3repE0EEENS1_47radix_sort_onesweep_sort_config_static_selectorELNS0_4arch9wavefront6targetE0EEEvSH_.num_agpr, 0
	.set _ZN7rocprim17ROCPRIM_400000_NS6detail17trampoline_kernelINS0_14default_configENS1_35radix_sort_onesweep_config_selectorI6__halfNS0_10empty_typeEEEZZNS1_29radix_sort_onesweep_iterationIS3_Lb1EPKS5_PS5_PS6_SC_mNS0_19identity_decomposerENS1_16block_id_wrapperIjLb0EEEEE10hipError_tT1_PNSt15iterator_traitsISH_E10value_typeET2_T3_PNSI_ISN_E10value_typeET4_T5_PSS_ST_PNS1_23onesweep_lookback_stateEbbT6_jjT7_P12ihipStream_tbENKUlT_T0_SH_SM_E_clISA_SB_SC_SC_EEDaS10_S11_SH_SM_EUlS10_E_NS1_11comp_targetILNS1_3genE6ELNS1_11target_archE950ELNS1_3gpuE13ELNS1_3repE0EEENS1_47radix_sort_onesweep_sort_config_static_selectorELNS0_4arch9wavefront6targetE0EEEvSH_.numbered_sgpr, 0
	.set _ZN7rocprim17ROCPRIM_400000_NS6detail17trampoline_kernelINS0_14default_configENS1_35radix_sort_onesweep_config_selectorI6__halfNS0_10empty_typeEEEZZNS1_29radix_sort_onesweep_iterationIS3_Lb1EPKS5_PS5_PS6_SC_mNS0_19identity_decomposerENS1_16block_id_wrapperIjLb0EEEEE10hipError_tT1_PNSt15iterator_traitsISH_E10value_typeET2_T3_PNSI_ISN_E10value_typeET4_T5_PSS_ST_PNS1_23onesweep_lookback_stateEbbT6_jjT7_P12ihipStream_tbENKUlT_T0_SH_SM_E_clISA_SB_SC_SC_EEDaS10_S11_SH_SM_EUlS10_E_NS1_11comp_targetILNS1_3genE6ELNS1_11target_archE950ELNS1_3gpuE13ELNS1_3repE0EEENS1_47radix_sort_onesweep_sort_config_static_selectorELNS0_4arch9wavefront6targetE0EEEvSH_.num_named_barrier, 0
	.set _ZN7rocprim17ROCPRIM_400000_NS6detail17trampoline_kernelINS0_14default_configENS1_35radix_sort_onesweep_config_selectorI6__halfNS0_10empty_typeEEEZZNS1_29radix_sort_onesweep_iterationIS3_Lb1EPKS5_PS5_PS6_SC_mNS0_19identity_decomposerENS1_16block_id_wrapperIjLb0EEEEE10hipError_tT1_PNSt15iterator_traitsISH_E10value_typeET2_T3_PNSI_ISN_E10value_typeET4_T5_PSS_ST_PNS1_23onesweep_lookback_stateEbbT6_jjT7_P12ihipStream_tbENKUlT_T0_SH_SM_E_clISA_SB_SC_SC_EEDaS10_S11_SH_SM_EUlS10_E_NS1_11comp_targetILNS1_3genE6ELNS1_11target_archE950ELNS1_3gpuE13ELNS1_3repE0EEENS1_47radix_sort_onesweep_sort_config_static_selectorELNS0_4arch9wavefront6targetE0EEEvSH_.private_seg_size, 0
	.set _ZN7rocprim17ROCPRIM_400000_NS6detail17trampoline_kernelINS0_14default_configENS1_35radix_sort_onesweep_config_selectorI6__halfNS0_10empty_typeEEEZZNS1_29radix_sort_onesweep_iterationIS3_Lb1EPKS5_PS5_PS6_SC_mNS0_19identity_decomposerENS1_16block_id_wrapperIjLb0EEEEE10hipError_tT1_PNSt15iterator_traitsISH_E10value_typeET2_T3_PNSI_ISN_E10value_typeET4_T5_PSS_ST_PNS1_23onesweep_lookback_stateEbbT6_jjT7_P12ihipStream_tbENKUlT_T0_SH_SM_E_clISA_SB_SC_SC_EEDaS10_S11_SH_SM_EUlS10_E_NS1_11comp_targetILNS1_3genE6ELNS1_11target_archE950ELNS1_3gpuE13ELNS1_3repE0EEENS1_47radix_sort_onesweep_sort_config_static_selectorELNS0_4arch9wavefront6targetE0EEEvSH_.uses_vcc, 0
	.set _ZN7rocprim17ROCPRIM_400000_NS6detail17trampoline_kernelINS0_14default_configENS1_35radix_sort_onesweep_config_selectorI6__halfNS0_10empty_typeEEEZZNS1_29radix_sort_onesweep_iterationIS3_Lb1EPKS5_PS5_PS6_SC_mNS0_19identity_decomposerENS1_16block_id_wrapperIjLb0EEEEE10hipError_tT1_PNSt15iterator_traitsISH_E10value_typeET2_T3_PNSI_ISN_E10value_typeET4_T5_PSS_ST_PNS1_23onesweep_lookback_stateEbbT6_jjT7_P12ihipStream_tbENKUlT_T0_SH_SM_E_clISA_SB_SC_SC_EEDaS10_S11_SH_SM_EUlS10_E_NS1_11comp_targetILNS1_3genE6ELNS1_11target_archE950ELNS1_3gpuE13ELNS1_3repE0EEENS1_47radix_sort_onesweep_sort_config_static_selectorELNS0_4arch9wavefront6targetE0EEEvSH_.uses_flat_scratch, 0
	.set _ZN7rocprim17ROCPRIM_400000_NS6detail17trampoline_kernelINS0_14default_configENS1_35radix_sort_onesweep_config_selectorI6__halfNS0_10empty_typeEEEZZNS1_29radix_sort_onesweep_iterationIS3_Lb1EPKS5_PS5_PS6_SC_mNS0_19identity_decomposerENS1_16block_id_wrapperIjLb0EEEEE10hipError_tT1_PNSt15iterator_traitsISH_E10value_typeET2_T3_PNSI_ISN_E10value_typeET4_T5_PSS_ST_PNS1_23onesweep_lookback_stateEbbT6_jjT7_P12ihipStream_tbENKUlT_T0_SH_SM_E_clISA_SB_SC_SC_EEDaS10_S11_SH_SM_EUlS10_E_NS1_11comp_targetILNS1_3genE6ELNS1_11target_archE950ELNS1_3gpuE13ELNS1_3repE0EEENS1_47radix_sort_onesweep_sort_config_static_selectorELNS0_4arch9wavefront6targetE0EEEvSH_.has_dyn_sized_stack, 0
	.set _ZN7rocprim17ROCPRIM_400000_NS6detail17trampoline_kernelINS0_14default_configENS1_35radix_sort_onesweep_config_selectorI6__halfNS0_10empty_typeEEEZZNS1_29radix_sort_onesweep_iterationIS3_Lb1EPKS5_PS5_PS6_SC_mNS0_19identity_decomposerENS1_16block_id_wrapperIjLb0EEEEE10hipError_tT1_PNSt15iterator_traitsISH_E10value_typeET2_T3_PNSI_ISN_E10value_typeET4_T5_PSS_ST_PNS1_23onesweep_lookback_stateEbbT6_jjT7_P12ihipStream_tbENKUlT_T0_SH_SM_E_clISA_SB_SC_SC_EEDaS10_S11_SH_SM_EUlS10_E_NS1_11comp_targetILNS1_3genE6ELNS1_11target_archE950ELNS1_3gpuE13ELNS1_3repE0EEENS1_47radix_sort_onesweep_sort_config_static_selectorELNS0_4arch9wavefront6targetE0EEEvSH_.has_recursion, 0
	.set _ZN7rocprim17ROCPRIM_400000_NS6detail17trampoline_kernelINS0_14default_configENS1_35radix_sort_onesweep_config_selectorI6__halfNS0_10empty_typeEEEZZNS1_29radix_sort_onesweep_iterationIS3_Lb1EPKS5_PS5_PS6_SC_mNS0_19identity_decomposerENS1_16block_id_wrapperIjLb0EEEEE10hipError_tT1_PNSt15iterator_traitsISH_E10value_typeET2_T3_PNSI_ISN_E10value_typeET4_T5_PSS_ST_PNS1_23onesweep_lookback_stateEbbT6_jjT7_P12ihipStream_tbENKUlT_T0_SH_SM_E_clISA_SB_SC_SC_EEDaS10_S11_SH_SM_EUlS10_E_NS1_11comp_targetILNS1_3genE6ELNS1_11target_archE950ELNS1_3gpuE13ELNS1_3repE0EEENS1_47radix_sort_onesweep_sort_config_static_selectorELNS0_4arch9wavefront6targetE0EEEvSH_.has_indirect_call, 0
	.section	.AMDGPU.csdata,"",@progbits
; Kernel info:
; codeLenInByte = 0
; TotalNumSgprs: 0
; NumVgprs: 0
; ScratchSize: 0
; MemoryBound: 0
; FloatMode: 240
; IeeeMode: 1
; LDSByteSize: 0 bytes/workgroup (compile time only)
; SGPRBlocks: 0
; VGPRBlocks: 0
; NumSGPRsForWavesPerEU: 1
; NumVGPRsForWavesPerEU: 1
; NamedBarCnt: 0
; Occupancy: 16
; WaveLimiterHint : 0
; COMPUTE_PGM_RSRC2:SCRATCH_EN: 0
; COMPUTE_PGM_RSRC2:USER_SGPR: 2
; COMPUTE_PGM_RSRC2:TRAP_HANDLER: 0
; COMPUTE_PGM_RSRC2:TGID_X_EN: 1
; COMPUTE_PGM_RSRC2:TGID_Y_EN: 0
; COMPUTE_PGM_RSRC2:TGID_Z_EN: 0
; COMPUTE_PGM_RSRC2:TIDIG_COMP_CNT: 0
	.section	.text._ZN7rocprim17ROCPRIM_400000_NS6detail17trampoline_kernelINS0_14default_configENS1_35radix_sort_onesweep_config_selectorI6__halfNS0_10empty_typeEEEZZNS1_29radix_sort_onesweep_iterationIS3_Lb1EPKS5_PS5_PS6_SC_mNS0_19identity_decomposerENS1_16block_id_wrapperIjLb0EEEEE10hipError_tT1_PNSt15iterator_traitsISH_E10value_typeET2_T3_PNSI_ISN_E10value_typeET4_T5_PSS_ST_PNS1_23onesweep_lookback_stateEbbT6_jjT7_P12ihipStream_tbENKUlT_T0_SH_SM_E_clISA_SB_SC_SC_EEDaS10_S11_SH_SM_EUlS10_E_NS1_11comp_targetILNS1_3genE5ELNS1_11target_archE942ELNS1_3gpuE9ELNS1_3repE0EEENS1_47radix_sort_onesweep_sort_config_static_selectorELNS0_4arch9wavefront6targetE0EEEvSH_,"axG",@progbits,_ZN7rocprim17ROCPRIM_400000_NS6detail17trampoline_kernelINS0_14default_configENS1_35radix_sort_onesweep_config_selectorI6__halfNS0_10empty_typeEEEZZNS1_29radix_sort_onesweep_iterationIS3_Lb1EPKS5_PS5_PS6_SC_mNS0_19identity_decomposerENS1_16block_id_wrapperIjLb0EEEEE10hipError_tT1_PNSt15iterator_traitsISH_E10value_typeET2_T3_PNSI_ISN_E10value_typeET4_T5_PSS_ST_PNS1_23onesweep_lookback_stateEbbT6_jjT7_P12ihipStream_tbENKUlT_T0_SH_SM_E_clISA_SB_SC_SC_EEDaS10_S11_SH_SM_EUlS10_E_NS1_11comp_targetILNS1_3genE5ELNS1_11target_archE942ELNS1_3gpuE9ELNS1_3repE0EEENS1_47radix_sort_onesweep_sort_config_static_selectorELNS0_4arch9wavefront6targetE0EEEvSH_,comdat
	.protected	_ZN7rocprim17ROCPRIM_400000_NS6detail17trampoline_kernelINS0_14default_configENS1_35radix_sort_onesweep_config_selectorI6__halfNS0_10empty_typeEEEZZNS1_29radix_sort_onesweep_iterationIS3_Lb1EPKS5_PS5_PS6_SC_mNS0_19identity_decomposerENS1_16block_id_wrapperIjLb0EEEEE10hipError_tT1_PNSt15iterator_traitsISH_E10value_typeET2_T3_PNSI_ISN_E10value_typeET4_T5_PSS_ST_PNS1_23onesweep_lookback_stateEbbT6_jjT7_P12ihipStream_tbENKUlT_T0_SH_SM_E_clISA_SB_SC_SC_EEDaS10_S11_SH_SM_EUlS10_E_NS1_11comp_targetILNS1_3genE5ELNS1_11target_archE942ELNS1_3gpuE9ELNS1_3repE0EEENS1_47radix_sort_onesweep_sort_config_static_selectorELNS0_4arch9wavefront6targetE0EEEvSH_ ; -- Begin function _ZN7rocprim17ROCPRIM_400000_NS6detail17trampoline_kernelINS0_14default_configENS1_35radix_sort_onesweep_config_selectorI6__halfNS0_10empty_typeEEEZZNS1_29radix_sort_onesweep_iterationIS3_Lb1EPKS5_PS5_PS6_SC_mNS0_19identity_decomposerENS1_16block_id_wrapperIjLb0EEEEE10hipError_tT1_PNSt15iterator_traitsISH_E10value_typeET2_T3_PNSI_ISN_E10value_typeET4_T5_PSS_ST_PNS1_23onesweep_lookback_stateEbbT6_jjT7_P12ihipStream_tbENKUlT_T0_SH_SM_E_clISA_SB_SC_SC_EEDaS10_S11_SH_SM_EUlS10_E_NS1_11comp_targetILNS1_3genE5ELNS1_11target_archE942ELNS1_3gpuE9ELNS1_3repE0EEENS1_47radix_sort_onesweep_sort_config_static_selectorELNS0_4arch9wavefront6targetE0EEEvSH_
	.globl	_ZN7rocprim17ROCPRIM_400000_NS6detail17trampoline_kernelINS0_14default_configENS1_35radix_sort_onesweep_config_selectorI6__halfNS0_10empty_typeEEEZZNS1_29radix_sort_onesweep_iterationIS3_Lb1EPKS5_PS5_PS6_SC_mNS0_19identity_decomposerENS1_16block_id_wrapperIjLb0EEEEE10hipError_tT1_PNSt15iterator_traitsISH_E10value_typeET2_T3_PNSI_ISN_E10value_typeET4_T5_PSS_ST_PNS1_23onesweep_lookback_stateEbbT6_jjT7_P12ihipStream_tbENKUlT_T0_SH_SM_E_clISA_SB_SC_SC_EEDaS10_S11_SH_SM_EUlS10_E_NS1_11comp_targetILNS1_3genE5ELNS1_11target_archE942ELNS1_3gpuE9ELNS1_3repE0EEENS1_47radix_sort_onesweep_sort_config_static_selectorELNS0_4arch9wavefront6targetE0EEEvSH_
	.p2align	8
	.type	_ZN7rocprim17ROCPRIM_400000_NS6detail17trampoline_kernelINS0_14default_configENS1_35radix_sort_onesweep_config_selectorI6__halfNS0_10empty_typeEEEZZNS1_29radix_sort_onesweep_iterationIS3_Lb1EPKS5_PS5_PS6_SC_mNS0_19identity_decomposerENS1_16block_id_wrapperIjLb0EEEEE10hipError_tT1_PNSt15iterator_traitsISH_E10value_typeET2_T3_PNSI_ISN_E10value_typeET4_T5_PSS_ST_PNS1_23onesweep_lookback_stateEbbT6_jjT7_P12ihipStream_tbENKUlT_T0_SH_SM_E_clISA_SB_SC_SC_EEDaS10_S11_SH_SM_EUlS10_E_NS1_11comp_targetILNS1_3genE5ELNS1_11target_archE942ELNS1_3gpuE9ELNS1_3repE0EEENS1_47radix_sort_onesweep_sort_config_static_selectorELNS0_4arch9wavefront6targetE0EEEvSH_,@function
_ZN7rocprim17ROCPRIM_400000_NS6detail17trampoline_kernelINS0_14default_configENS1_35radix_sort_onesweep_config_selectorI6__halfNS0_10empty_typeEEEZZNS1_29radix_sort_onesweep_iterationIS3_Lb1EPKS5_PS5_PS6_SC_mNS0_19identity_decomposerENS1_16block_id_wrapperIjLb0EEEEE10hipError_tT1_PNSt15iterator_traitsISH_E10value_typeET2_T3_PNSI_ISN_E10value_typeET4_T5_PSS_ST_PNS1_23onesweep_lookback_stateEbbT6_jjT7_P12ihipStream_tbENKUlT_T0_SH_SM_E_clISA_SB_SC_SC_EEDaS10_S11_SH_SM_EUlS10_E_NS1_11comp_targetILNS1_3genE5ELNS1_11target_archE942ELNS1_3gpuE9ELNS1_3repE0EEENS1_47radix_sort_onesweep_sort_config_static_selectorELNS0_4arch9wavefront6targetE0EEEvSH_: ; @_ZN7rocprim17ROCPRIM_400000_NS6detail17trampoline_kernelINS0_14default_configENS1_35radix_sort_onesweep_config_selectorI6__halfNS0_10empty_typeEEEZZNS1_29radix_sort_onesweep_iterationIS3_Lb1EPKS5_PS5_PS6_SC_mNS0_19identity_decomposerENS1_16block_id_wrapperIjLb0EEEEE10hipError_tT1_PNSt15iterator_traitsISH_E10value_typeET2_T3_PNSI_ISN_E10value_typeET4_T5_PSS_ST_PNS1_23onesweep_lookback_stateEbbT6_jjT7_P12ihipStream_tbENKUlT_T0_SH_SM_E_clISA_SB_SC_SC_EEDaS10_S11_SH_SM_EUlS10_E_NS1_11comp_targetILNS1_3genE5ELNS1_11target_archE942ELNS1_3gpuE9ELNS1_3repE0EEENS1_47radix_sort_onesweep_sort_config_static_selectorELNS0_4arch9wavefront6targetE0EEEvSH_
; %bb.0:
	.section	.rodata,"a",@progbits
	.p2align	6, 0x0
	.amdhsa_kernel _ZN7rocprim17ROCPRIM_400000_NS6detail17trampoline_kernelINS0_14default_configENS1_35radix_sort_onesweep_config_selectorI6__halfNS0_10empty_typeEEEZZNS1_29radix_sort_onesweep_iterationIS3_Lb1EPKS5_PS5_PS6_SC_mNS0_19identity_decomposerENS1_16block_id_wrapperIjLb0EEEEE10hipError_tT1_PNSt15iterator_traitsISH_E10value_typeET2_T3_PNSI_ISN_E10value_typeET4_T5_PSS_ST_PNS1_23onesweep_lookback_stateEbbT6_jjT7_P12ihipStream_tbENKUlT_T0_SH_SM_E_clISA_SB_SC_SC_EEDaS10_S11_SH_SM_EUlS10_E_NS1_11comp_targetILNS1_3genE5ELNS1_11target_archE942ELNS1_3gpuE9ELNS1_3repE0EEENS1_47radix_sort_onesweep_sort_config_static_selectorELNS0_4arch9wavefront6targetE0EEEvSH_
		.amdhsa_group_segment_fixed_size 0
		.amdhsa_private_segment_fixed_size 0
		.amdhsa_kernarg_size 88
		.amdhsa_user_sgpr_count 2
		.amdhsa_user_sgpr_dispatch_ptr 0
		.amdhsa_user_sgpr_queue_ptr 0
		.amdhsa_user_sgpr_kernarg_segment_ptr 1
		.amdhsa_user_sgpr_dispatch_id 0
		.amdhsa_user_sgpr_kernarg_preload_length 0
		.amdhsa_user_sgpr_kernarg_preload_offset 0
		.amdhsa_user_sgpr_private_segment_size 0
		.amdhsa_wavefront_size32 1
		.amdhsa_uses_dynamic_stack 0
		.amdhsa_enable_private_segment 0
		.amdhsa_system_sgpr_workgroup_id_x 1
		.amdhsa_system_sgpr_workgroup_id_y 0
		.amdhsa_system_sgpr_workgroup_id_z 0
		.amdhsa_system_sgpr_workgroup_info 0
		.amdhsa_system_vgpr_workitem_id 0
		.amdhsa_next_free_vgpr 1
		.amdhsa_next_free_sgpr 1
		.amdhsa_named_barrier_count 0
		.amdhsa_reserve_vcc 0
		.amdhsa_float_round_mode_32 0
		.amdhsa_float_round_mode_16_64 0
		.amdhsa_float_denorm_mode_32 3
		.amdhsa_float_denorm_mode_16_64 3
		.amdhsa_fp16_overflow 0
		.amdhsa_memory_ordered 1
		.amdhsa_forward_progress 1
		.amdhsa_inst_pref_size 0
		.amdhsa_round_robin_scheduling 0
		.amdhsa_exception_fp_ieee_invalid_op 0
		.amdhsa_exception_fp_denorm_src 0
		.amdhsa_exception_fp_ieee_div_zero 0
		.amdhsa_exception_fp_ieee_overflow 0
		.amdhsa_exception_fp_ieee_underflow 0
		.amdhsa_exception_fp_ieee_inexact 0
		.amdhsa_exception_int_div_zero 0
	.end_amdhsa_kernel
	.section	.text._ZN7rocprim17ROCPRIM_400000_NS6detail17trampoline_kernelINS0_14default_configENS1_35radix_sort_onesweep_config_selectorI6__halfNS0_10empty_typeEEEZZNS1_29radix_sort_onesweep_iterationIS3_Lb1EPKS5_PS5_PS6_SC_mNS0_19identity_decomposerENS1_16block_id_wrapperIjLb0EEEEE10hipError_tT1_PNSt15iterator_traitsISH_E10value_typeET2_T3_PNSI_ISN_E10value_typeET4_T5_PSS_ST_PNS1_23onesweep_lookback_stateEbbT6_jjT7_P12ihipStream_tbENKUlT_T0_SH_SM_E_clISA_SB_SC_SC_EEDaS10_S11_SH_SM_EUlS10_E_NS1_11comp_targetILNS1_3genE5ELNS1_11target_archE942ELNS1_3gpuE9ELNS1_3repE0EEENS1_47radix_sort_onesweep_sort_config_static_selectorELNS0_4arch9wavefront6targetE0EEEvSH_,"axG",@progbits,_ZN7rocprim17ROCPRIM_400000_NS6detail17trampoline_kernelINS0_14default_configENS1_35radix_sort_onesweep_config_selectorI6__halfNS0_10empty_typeEEEZZNS1_29radix_sort_onesweep_iterationIS3_Lb1EPKS5_PS5_PS6_SC_mNS0_19identity_decomposerENS1_16block_id_wrapperIjLb0EEEEE10hipError_tT1_PNSt15iterator_traitsISH_E10value_typeET2_T3_PNSI_ISN_E10value_typeET4_T5_PSS_ST_PNS1_23onesweep_lookback_stateEbbT6_jjT7_P12ihipStream_tbENKUlT_T0_SH_SM_E_clISA_SB_SC_SC_EEDaS10_S11_SH_SM_EUlS10_E_NS1_11comp_targetILNS1_3genE5ELNS1_11target_archE942ELNS1_3gpuE9ELNS1_3repE0EEENS1_47radix_sort_onesweep_sort_config_static_selectorELNS0_4arch9wavefront6targetE0EEEvSH_,comdat
.Lfunc_end2183:
	.size	_ZN7rocprim17ROCPRIM_400000_NS6detail17trampoline_kernelINS0_14default_configENS1_35radix_sort_onesweep_config_selectorI6__halfNS0_10empty_typeEEEZZNS1_29radix_sort_onesweep_iterationIS3_Lb1EPKS5_PS5_PS6_SC_mNS0_19identity_decomposerENS1_16block_id_wrapperIjLb0EEEEE10hipError_tT1_PNSt15iterator_traitsISH_E10value_typeET2_T3_PNSI_ISN_E10value_typeET4_T5_PSS_ST_PNS1_23onesweep_lookback_stateEbbT6_jjT7_P12ihipStream_tbENKUlT_T0_SH_SM_E_clISA_SB_SC_SC_EEDaS10_S11_SH_SM_EUlS10_E_NS1_11comp_targetILNS1_3genE5ELNS1_11target_archE942ELNS1_3gpuE9ELNS1_3repE0EEENS1_47radix_sort_onesweep_sort_config_static_selectorELNS0_4arch9wavefront6targetE0EEEvSH_, .Lfunc_end2183-_ZN7rocprim17ROCPRIM_400000_NS6detail17trampoline_kernelINS0_14default_configENS1_35radix_sort_onesweep_config_selectorI6__halfNS0_10empty_typeEEEZZNS1_29radix_sort_onesweep_iterationIS3_Lb1EPKS5_PS5_PS6_SC_mNS0_19identity_decomposerENS1_16block_id_wrapperIjLb0EEEEE10hipError_tT1_PNSt15iterator_traitsISH_E10value_typeET2_T3_PNSI_ISN_E10value_typeET4_T5_PSS_ST_PNS1_23onesweep_lookback_stateEbbT6_jjT7_P12ihipStream_tbENKUlT_T0_SH_SM_E_clISA_SB_SC_SC_EEDaS10_S11_SH_SM_EUlS10_E_NS1_11comp_targetILNS1_3genE5ELNS1_11target_archE942ELNS1_3gpuE9ELNS1_3repE0EEENS1_47radix_sort_onesweep_sort_config_static_selectorELNS0_4arch9wavefront6targetE0EEEvSH_
                                        ; -- End function
	.set _ZN7rocprim17ROCPRIM_400000_NS6detail17trampoline_kernelINS0_14default_configENS1_35radix_sort_onesweep_config_selectorI6__halfNS0_10empty_typeEEEZZNS1_29radix_sort_onesweep_iterationIS3_Lb1EPKS5_PS5_PS6_SC_mNS0_19identity_decomposerENS1_16block_id_wrapperIjLb0EEEEE10hipError_tT1_PNSt15iterator_traitsISH_E10value_typeET2_T3_PNSI_ISN_E10value_typeET4_T5_PSS_ST_PNS1_23onesweep_lookback_stateEbbT6_jjT7_P12ihipStream_tbENKUlT_T0_SH_SM_E_clISA_SB_SC_SC_EEDaS10_S11_SH_SM_EUlS10_E_NS1_11comp_targetILNS1_3genE5ELNS1_11target_archE942ELNS1_3gpuE9ELNS1_3repE0EEENS1_47radix_sort_onesweep_sort_config_static_selectorELNS0_4arch9wavefront6targetE0EEEvSH_.num_vgpr, 0
	.set _ZN7rocprim17ROCPRIM_400000_NS6detail17trampoline_kernelINS0_14default_configENS1_35radix_sort_onesweep_config_selectorI6__halfNS0_10empty_typeEEEZZNS1_29radix_sort_onesweep_iterationIS3_Lb1EPKS5_PS5_PS6_SC_mNS0_19identity_decomposerENS1_16block_id_wrapperIjLb0EEEEE10hipError_tT1_PNSt15iterator_traitsISH_E10value_typeET2_T3_PNSI_ISN_E10value_typeET4_T5_PSS_ST_PNS1_23onesweep_lookback_stateEbbT6_jjT7_P12ihipStream_tbENKUlT_T0_SH_SM_E_clISA_SB_SC_SC_EEDaS10_S11_SH_SM_EUlS10_E_NS1_11comp_targetILNS1_3genE5ELNS1_11target_archE942ELNS1_3gpuE9ELNS1_3repE0EEENS1_47radix_sort_onesweep_sort_config_static_selectorELNS0_4arch9wavefront6targetE0EEEvSH_.num_agpr, 0
	.set _ZN7rocprim17ROCPRIM_400000_NS6detail17trampoline_kernelINS0_14default_configENS1_35radix_sort_onesweep_config_selectorI6__halfNS0_10empty_typeEEEZZNS1_29radix_sort_onesweep_iterationIS3_Lb1EPKS5_PS5_PS6_SC_mNS0_19identity_decomposerENS1_16block_id_wrapperIjLb0EEEEE10hipError_tT1_PNSt15iterator_traitsISH_E10value_typeET2_T3_PNSI_ISN_E10value_typeET4_T5_PSS_ST_PNS1_23onesweep_lookback_stateEbbT6_jjT7_P12ihipStream_tbENKUlT_T0_SH_SM_E_clISA_SB_SC_SC_EEDaS10_S11_SH_SM_EUlS10_E_NS1_11comp_targetILNS1_3genE5ELNS1_11target_archE942ELNS1_3gpuE9ELNS1_3repE0EEENS1_47radix_sort_onesweep_sort_config_static_selectorELNS0_4arch9wavefront6targetE0EEEvSH_.numbered_sgpr, 0
	.set _ZN7rocprim17ROCPRIM_400000_NS6detail17trampoline_kernelINS0_14default_configENS1_35radix_sort_onesweep_config_selectorI6__halfNS0_10empty_typeEEEZZNS1_29radix_sort_onesweep_iterationIS3_Lb1EPKS5_PS5_PS6_SC_mNS0_19identity_decomposerENS1_16block_id_wrapperIjLb0EEEEE10hipError_tT1_PNSt15iterator_traitsISH_E10value_typeET2_T3_PNSI_ISN_E10value_typeET4_T5_PSS_ST_PNS1_23onesweep_lookback_stateEbbT6_jjT7_P12ihipStream_tbENKUlT_T0_SH_SM_E_clISA_SB_SC_SC_EEDaS10_S11_SH_SM_EUlS10_E_NS1_11comp_targetILNS1_3genE5ELNS1_11target_archE942ELNS1_3gpuE9ELNS1_3repE0EEENS1_47radix_sort_onesweep_sort_config_static_selectorELNS0_4arch9wavefront6targetE0EEEvSH_.num_named_barrier, 0
	.set _ZN7rocprim17ROCPRIM_400000_NS6detail17trampoline_kernelINS0_14default_configENS1_35radix_sort_onesweep_config_selectorI6__halfNS0_10empty_typeEEEZZNS1_29radix_sort_onesweep_iterationIS3_Lb1EPKS5_PS5_PS6_SC_mNS0_19identity_decomposerENS1_16block_id_wrapperIjLb0EEEEE10hipError_tT1_PNSt15iterator_traitsISH_E10value_typeET2_T3_PNSI_ISN_E10value_typeET4_T5_PSS_ST_PNS1_23onesweep_lookback_stateEbbT6_jjT7_P12ihipStream_tbENKUlT_T0_SH_SM_E_clISA_SB_SC_SC_EEDaS10_S11_SH_SM_EUlS10_E_NS1_11comp_targetILNS1_3genE5ELNS1_11target_archE942ELNS1_3gpuE9ELNS1_3repE0EEENS1_47radix_sort_onesweep_sort_config_static_selectorELNS0_4arch9wavefront6targetE0EEEvSH_.private_seg_size, 0
	.set _ZN7rocprim17ROCPRIM_400000_NS6detail17trampoline_kernelINS0_14default_configENS1_35radix_sort_onesweep_config_selectorI6__halfNS0_10empty_typeEEEZZNS1_29radix_sort_onesweep_iterationIS3_Lb1EPKS5_PS5_PS6_SC_mNS0_19identity_decomposerENS1_16block_id_wrapperIjLb0EEEEE10hipError_tT1_PNSt15iterator_traitsISH_E10value_typeET2_T3_PNSI_ISN_E10value_typeET4_T5_PSS_ST_PNS1_23onesweep_lookback_stateEbbT6_jjT7_P12ihipStream_tbENKUlT_T0_SH_SM_E_clISA_SB_SC_SC_EEDaS10_S11_SH_SM_EUlS10_E_NS1_11comp_targetILNS1_3genE5ELNS1_11target_archE942ELNS1_3gpuE9ELNS1_3repE0EEENS1_47radix_sort_onesweep_sort_config_static_selectorELNS0_4arch9wavefront6targetE0EEEvSH_.uses_vcc, 0
	.set _ZN7rocprim17ROCPRIM_400000_NS6detail17trampoline_kernelINS0_14default_configENS1_35radix_sort_onesweep_config_selectorI6__halfNS0_10empty_typeEEEZZNS1_29radix_sort_onesweep_iterationIS3_Lb1EPKS5_PS5_PS6_SC_mNS0_19identity_decomposerENS1_16block_id_wrapperIjLb0EEEEE10hipError_tT1_PNSt15iterator_traitsISH_E10value_typeET2_T3_PNSI_ISN_E10value_typeET4_T5_PSS_ST_PNS1_23onesweep_lookback_stateEbbT6_jjT7_P12ihipStream_tbENKUlT_T0_SH_SM_E_clISA_SB_SC_SC_EEDaS10_S11_SH_SM_EUlS10_E_NS1_11comp_targetILNS1_3genE5ELNS1_11target_archE942ELNS1_3gpuE9ELNS1_3repE0EEENS1_47radix_sort_onesweep_sort_config_static_selectorELNS0_4arch9wavefront6targetE0EEEvSH_.uses_flat_scratch, 0
	.set _ZN7rocprim17ROCPRIM_400000_NS6detail17trampoline_kernelINS0_14default_configENS1_35radix_sort_onesweep_config_selectorI6__halfNS0_10empty_typeEEEZZNS1_29radix_sort_onesweep_iterationIS3_Lb1EPKS5_PS5_PS6_SC_mNS0_19identity_decomposerENS1_16block_id_wrapperIjLb0EEEEE10hipError_tT1_PNSt15iterator_traitsISH_E10value_typeET2_T3_PNSI_ISN_E10value_typeET4_T5_PSS_ST_PNS1_23onesweep_lookback_stateEbbT6_jjT7_P12ihipStream_tbENKUlT_T0_SH_SM_E_clISA_SB_SC_SC_EEDaS10_S11_SH_SM_EUlS10_E_NS1_11comp_targetILNS1_3genE5ELNS1_11target_archE942ELNS1_3gpuE9ELNS1_3repE0EEENS1_47radix_sort_onesweep_sort_config_static_selectorELNS0_4arch9wavefront6targetE0EEEvSH_.has_dyn_sized_stack, 0
	.set _ZN7rocprim17ROCPRIM_400000_NS6detail17trampoline_kernelINS0_14default_configENS1_35radix_sort_onesweep_config_selectorI6__halfNS0_10empty_typeEEEZZNS1_29radix_sort_onesweep_iterationIS3_Lb1EPKS5_PS5_PS6_SC_mNS0_19identity_decomposerENS1_16block_id_wrapperIjLb0EEEEE10hipError_tT1_PNSt15iterator_traitsISH_E10value_typeET2_T3_PNSI_ISN_E10value_typeET4_T5_PSS_ST_PNS1_23onesweep_lookback_stateEbbT6_jjT7_P12ihipStream_tbENKUlT_T0_SH_SM_E_clISA_SB_SC_SC_EEDaS10_S11_SH_SM_EUlS10_E_NS1_11comp_targetILNS1_3genE5ELNS1_11target_archE942ELNS1_3gpuE9ELNS1_3repE0EEENS1_47radix_sort_onesweep_sort_config_static_selectorELNS0_4arch9wavefront6targetE0EEEvSH_.has_recursion, 0
	.set _ZN7rocprim17ROCPRIM_400000_NS6detail17trampoline_kernelINS0_14default_configENS1_35radix_sort_onesweep_config_selectorI6__halfNS0_10empty_typeEEEZZNS1_29radix_sort_onesweep_iterationIS3_Lb1EPKS5_PS5_PS6_SC_mNS0_19identity_decomposerENS1_16block_id_wrapperIjLb0EEEEE10hipError_tT1_PNSt15iterator_traitsISH_E10value_typeET2_T3_PNSI_ISN_E10value_typeET4_T5_PSS_ST_PNS1_23onesweep_lookback_stateEbbT6_jjT7_P12ihipStream_tbENKUlT_T0_SH_SM_E_clISA_SB_SC_SC_EEDaS10_S11_SH_SM_EUlS10_E_NS1_11comp_targetILNS1_3genE5ELNS1_11target_archE942ELNS1_3gpuE9ELNS1_3repE0EEENS1_47radix_sort_onesweep_sort_config_static_selectorELNS0_4arch9wavefront6targetE0EEEvSH_.has_indirect_call, 0
	.section	.AMDGPU.csdata,"",@progbits
; Kernel info:
; codeLenInByte = 0
; TotalNumSgprs: 0
; NumVgprs: 0
; ScratchSize: 0
; MemoryBound: 0
; FloatMode: 240
; IeeeMode: 1
; LDSByteSize: 0 bytes/workgroup (compile time only)
; SGPRBlocks: 0
; VGPRBlocks: 0
; NumSGPRsForWavesPerEU: 1
; NumVGPRsForWavesPerEU: 1
; NamedBarCnt: 0
; Occupancy: 16
; WaveLimiterHint : 0
; COMPUTE_PGM_RSRC2:SCRATCH_EN: 0
; COMPUTE_PGM_RSRC2:USER_SGPR: 2
; COMPUTE_PGM_RSRC2:TRAP_HANDLER: 0
; COMPUTE_PGM_RSRC2:TGID_X_EN: 1
; COMPUTE_PGM_RSRC2:TGID_Y_EN: 0
; COMPUTE_PGM_RSRC2:TGID_Z_EN: 0
; COMPUTE_PGM_RSRC2:TIDIG_COMP_CNT: 0
	.section	.text._ZN7rocprim17ROCPRIM_400000_NS6detail17trampoline_kernelINS0_14default_configENS1_35radix_sort_onesweep_config_selectorI6__halfNS0_10empty_typeEEEZZNS1_29radix_sort_onesweep_iterationIS3_Lb1EPKS5_PS5_PS6_SC_mNS0_19identity_decomposerENS1_16block_id_wrapperIjLb0EEEEE10hipError_tT1_PNSt15iterator_traitsISH_E10value_typeET2_T3_PNSI_ISN_E10value_typeET4_T5_PSS_ST_PNS1_23onesweep_lookback_stateEbbT6_jjT7_P12ihipStream_tbENKUlT_T0_SH_SM_E_clISA_SB_SC_SC_EEDaS10_S11_SH_SM_EUlS10_E_NS1_11comp_targetILNS1_3genE2ELNS1_11target_archE906ELNS1_3gpuE6ELNS1_3repE0EEENS1_47radix_sort_onesweep_sort_config_static_selectorELNS0_4arch9wavefront6targetE0EEEvSH_,"axG",@progbits,_ZN7rocprim17ROCPRIM_400000_NS6detail17trampoline_kernelINS0_14default_configENS1_35radix_sort_onesweep_config_selectorI6__halfNS0_10empty_typeEEEZZNS1_29radix_sort_onesweep_iterationIS3_Lb1EPKS5_PS5_PS6_SC_mNS0_19identity_decomposerENS1_16block_id_wrapperIjLb0EEEEE10hipError_tT1_PNSt15iterator_traitsISH_E10value_typeET2_T3_PNSI_ISN_E10value_typeET4_T5_PSS_ST_PNS1_23onesweep_lookback_stateEbbT6_jjT7_P12ihipStream_tbENKUlT_T0_SH_SM_E_clISA_SB_SC_SC_EEDaS10_S11_SH_SM_EUlS10_E_NS1_11comp_targetILNS1_3genE2ELNS1_11target_archE906ELNS1_3gpuE6ELNS1_3repE0EEENS1_47radix_sort_onesweep_sort_config_static_selectorELNS0_4arch9wavefront6targetE0EEEvSH_,comdat
	.protected	_ZN7rocprim17ROCPRIM_400000_NS6detail17trampoline_kernelINS0_14default_configENS1_35radix_sort_onesweep_config_selectorI6__halfNS0_10empty_typeEEEZZNS1_29radix_sort_onesweep_iterationIS3_Lb1EPKS5_PS5_PS6_SC_mNS0_19identity_decomposerENS1_16block_id_wrapperIjLb0EEEEE10hipError_tT1_PNSt15iterator_traitsISH_E10value_typeET2_T3_PNSI_ISN_E10value_typeET4_T5_PSS_ST_PNS1_23onesweep_lookback_stateEbbT6_jjT7_P12ihipStream_tbENKUlT_T0_SH_SM_E_clISA_SB_SC_SC_EEDaS10_S11_SH_SM_EUlS10_E_NS1_11comp_targetILNS1_3genE2ELNS1_11target_archE906ELNS1_3gpuE6ELNS1_3repE0EEENS1_47radix_sort_onesweep_sort_config_static_selectorELNS0_4arch9wavefront6targetE0EEEvSH_ ; -- Begin function _ZN7rocprim17ROCPRIM_400000_NS6detail17trampoline_kernelINS0_14default_configENS1_35radix_sort_onesweep_config_selectorI6__halfNS0_10empty_typeEEEZZNS1_29radix_sort_onesweep_iterationIS3_Lb1EPKS5_PS5_PS6_SC_mNS0_19identity_decomposerENS1_16block_id_wrapperIjLb0EEEEE10hipError_tT1_PNSt15iterator_traitsISH_E10value_typeET2_T3_PNSI_ISN_E10value_typeET4_T5_PSS_ST_PNS1_23onesweep_lookback_stateEbbT6_jjT7_P12ihipStream_tbENKUlT_T0_SH_SM_E_clISA_SB_SC_SC_EEDaS10_S11_SH_SM_EUlS10_E_NS1_11comp_targetILNS1_3genE2ELNS1_11target_archE906ELNS1_3gpuE6ELNS1_3repE0EEENS1_47radix_sort_onesweep_sort_config_static_selectorELNS0_4arch9wavefront6targetE0EEEvSH_
	.globl	_ZN7rocprim17ROCPRIM_400000_NS6detail17trampoline_kernelINS0_14default_configENS1_35radix_sort_onesweep_config_selectorI6__halfNS0_10empty_typeEEEZZNS1_29radix_sort_onesweep_iterationIS3_Lb1EPKS5_PS5_PS6_SC_mNS0_19identity_decomposerENS1_16block_id_wrapperIjLb0EEEEE10hipError_tT1_PNSt15iterator_traitsISH_E10value_typeET2_T3_PNSI_ISN_E10value_typeET4_T5_PSS_ST_PNS1_23onesweep_lookback_stateEbbT6_jjT7_P12ihipStream_tbENKUlT_T0_SH_SM_E_clISA_SB_SC_SC_EEDaS10_S11_SH_SM_EUlS10_E_NS1_11comp_targetILNS1_3genE2ELNS1_11target_archE906ELNS1_3gpuE6ELNS1_3repE0EEENS1_47radix_sort_onesweep_sort_config_static_selectorELNS0_4arch9wavefront6targetE0EEEvSH_
	.p2align	8
	.type	_ZN7rocprim17ROCPRIM_400000_NS6detail17trampoline_kernelINS0_14default_configENS1_35radix_sort_onesweep_config_selectorI6__halfNS0_10empty_typeEEEZZNS1_29radix_sort_onesweep_iterationIS3_Lb1EPKS5_PS5_PS6_SC_mNS0_19identity_decomposerENS1_16block_id_wrapperIjLb0EEEEE10hipError_tT1_PNSt15iterator_traitsISH_E10value_typeET2_T3_PNSI_ISN_E10value_typeET4_T5_PSS_ST_PNS1_23onesweep_lookback_stateEbbT6_jjT7_P12ihipStream_tbENKUlT_T0_SH_SM_E_clISA_SB_SC_SC_EEDaS10_S11_SH_SM_EUlS10_E_NS1_11comp_targetILNS1_3genE2ELNS1_11target_archE906ELNS1_3gpuE6ELNS1_3repE0EEENS1_47radix_sort_onesweep_sort_config_static_selectorELNS0_4arch9wavefront6targetE0EEEvSH_,@function
_ZN7rocprim17ROCPRIM_400000_NS6detail17trampoline_kernelINS0_14default_configENS1_35radix_sort_onesweep_config_selectorI6__halfNS0_10empty_typeEEEZZNS1_29radix_sort_onesweep_iterationIS3_Lb1EPKS5_PS5_PS6_SC_mNS0_19identity_decomposerENS1_16block_id_wrapperIjLb0EEEEE10hipError_tT1_PNSt15iterator_traitsISH_E10value_typeET2_T3_PNSI_ISN_E10value_typeET4_T5_PSS_ST_PNS1_23onesweep_lookback_stateEbbT6_jjT7_P12ihipStream_tbENKUlT_T0_SH_SM_E_clISA_SB_SC_SC_EEDaS10_S11_SH_SM_EUlS10_E_NS1_11comp_targetILNS1_3genE2ELNS1_11target_archE906ELNS1_3gpuE6ELNS1_3repE0EEENS1_47radix_sort_onesweep_sort_config_static_selectorELNS0_4arch9wavefront6targetE0EEEvSH_: ; @_ZN7rocprim17ROCPRIM_400000_NS6detail17trampoline_kernelINS0_14default_configENS1_35radix_sort_onesweep_config_selectorI6__halfNS0_10empty_typeEEEZZNS1_29radix_sort_onesweep_iterationIS3_Lb1EPKS5_PS5_PS6_SC_mNS0_19identity_decomposerENS1_16block_id_wrapperIjLb0EEEEE10hipError_tT1_PNSt15iterator_traitsISH_E10value_typeET2_T3_PNSI_ISN_E10value_typeET4_T5_PSS_ST_PNS1_23onesweep_lookback_stateEbbT6_jjT7_P12ihipStream_tbENKUlT_T0_SH_SM_E_clISA_SB_SC_SC_EEDaS10_S11_SH_SM_EUlS10_E_NS1_11comp_targetILNS1_3genE2ELNS1_11target_archE906ELNS1_3gpuE6ELNS1_3repE0EEENS1_47radix_sort_onesweep_sort_config_static_selectorELNS0_4arch9wavefront6targetE0EEEvSH_
; %bb.0:
	.section	.rodata,"a",@progbits
	.p2align	6, 0x0
	.amdhsa_kernel _ZN7rocprim17ROCPRIM_400000_NS6detail17trampoline_kernelINS0_14default_configENS1_35radix_sort_onesweep_config_selectorI6__halfNS0_10empty_typeEEEZZNS1_29radix_sort_onesweep_iterationIS3_Lb1EPKS5_PS5_PS6_SC_mNS0_19identity_decomposerENS1_16block_id_wrapperIjLb0EEEEE10hipError_tT1_PNSt15iterator_traitsISH_E10value_typeET2_T3_PNSI_ISN_E10value_typeET4_T5_PSS_ST_PNS1_23onesweep_lookback_stateEbbT6_jjT7_P12ihipStream_tbENKUlT_T0_SH_SM_E_clISA_SB_SC_SC_EEDaS10_S11_SH_SM_EUlS10_E_NS1_11comp_targetILNS1_3genE2ELNS1_11target_archE906ELNS1_3gpuE6ELNS1_3repE0EEENS1_47radix_sort_onesweep_sort_config_static_selectorELNS0_4arch9wavefront6targetE0EEEvSH_
		.amdhsa_group_segment_fixed_size 0
		.amdhsa_private_segment_fixed_size 0
		.amdhsa_kernarg_size 88
		.amdhsa_user_sgpr_count 2
		.amdhsa_user_sgpr_dispatch_ptr 0
		.amdhsa_user_sgpr_queue_ptr 0
		.amdhsa_user_sgpr_kernarg_segment_ptr 1
		.amdhsa_user_sgpr_dispatch_id 0
		.amdhsa_user_sgpr_kernarg_preload_length 0
		.amdhsa_user_sgpr_kernarg_preload_offset 0
		.amdhsa_user_sgpr_private_segment_size 0
		.amdhsa_wavefront_size32 1
		.amdhsa_uses_dynamic_stack 0
		.amdhsa_enable_private_segment 0
		.amdhsa_system_sgpr_workgroup_id_x 1
		.amdhsa_system_sgpr_workgroup_id_y 0
		.amdhsa_system_sgpr_workgroup_id_z 0
		.amdhsa_system_sgpr_workgroup_info 0
		.amdhsa_system_vgpr_workitem_id 0
		.amdhsa_next_free_vgpr 1
		.amdhsa_next_free_sgpr 1
		.amdhsa_named_barrier_count 0
		.amdhsa_reserve_vcc 0
		.amdhsa_float_round_mode_32 0
		.amdhsa_float_round_mode_16_64 0
		.amdhsa_float_denorm_mode_32 3
		.amdhsa_float_denorm_mode_16_64 3
		.amdhsa_fp16_overflow 0
		.amdhsa_memory_ordered 1
		.amdhsa_forward_progress 1
		.amdhsa_inst_pref_size 0
		.amdhsa_round_robin_scheduling 0
		.amdhsa_exception_fp_ieee_invalid_op 0
		.amdhsa_exception_fp_denorm_src 0
		.amdhsa_exception_fp_ieee_div_zero 0
		.amdhsa_exception_fp_ieee_overflow 0
		.amdhsa_exception_fp_ieee_underflow 0
		.amdhsa_exception_fp_ieee_inexact 0
		.amdhsa_exception_int_div_zero 0
	.end_amdhsa_kernel
	.section	.text._ZN7rocprim17ROCPRIM_400000_NS6detail17trampoline_kernelINS0_14default_configENS1_35radix_sort_onesweep_config_selectorI6__halfNS0_10empty_typeEEEZZNS1_29radix_sort_onesweep_iterationIS3_Lb1EPKS5_PS5_PS6_SC_mNS0_19identity_decomposerENS1_16block_id_wrapperIjLb0EEEEE10hipError_tT1_PNSt15iterator_traitsISH_E10value_typeET2_T3_PNSI_ISN_E10value_typeET4_T5_PSS_ST_PNS1_23onesweep_lookback_stateEbbT6_jjT7_P12ihipStream_tbENKUlT_T0_SH_SM_E_clISA_SB_SC_SC_EEDaS10_S11_SH_SM_EUlS10_E_NS1_11comp_targetILNS1_3genE2ELNS1_11target_archE906ELNS1_3gpuE6ELNS1_3repE0EEENS1_47radix_sort_onesweep_sort_config_static_selectorELNS0_4arch9wavefront6targetE0EEEvSH_,"axG",@progbits,_ZN7rocprim17ROCPRIM_400000_NS6detail17trampoline_kernelINS0_14default_configENS1_35radix_sort_onesweep_config_selectorI6__halfNS0_10empty_typeEEEZZNS1_29radix_sort_onesweep_iterationIS3_Lb1EPKS5_PS5_PS6_SC_mNS0_19identity_decomposerENS1_16block_id_wrapperIjLb0EEEEE10hipError_tT1_PNSt15iterator_traitsISH_E10value_typeET2_T3_PNSI_ISN_E10value_typeET4_T5_PSS_ST_PNS1_23onesweep_lookback_stateEbbT6_jjT7_P12ihipStream_tbENKUlT_T0_SH_SM_E_clISA_SB_SC_SC_EEDaS10_S11_SH_SM_EUlS10_E_NS1_11comp_targetILNS1_3genE2ELNS1_11target_archE906ELNS1_3gpuE6ELNS1_3repE0EEENS1_47radix_sort_onesweep_sort_config_static_selectorELNS0_4arch9wavefront6targetE0EEEvSH_,comdat
.Lfunc_end2184:
	.size	_ZN7rocprim17ROCPRIM_400000_NS6detail17trampoline_kernelINS0_14default_configENS1_35radix_sort_onesweep_config_selectorI6__halfNS0_10empty_typeEEEZZNS1_29radix_sort_onesweep_iterationIS3_Lb1EPKS5_PS5_PS6_SC_mNS0_19identity_decomposerENS1_16block_id_wrapperIjLb0EEEEE10hipError_tT1_PNSt15iterator_traitsISH_E10value_typeET2_T3_PNSI_ISN_E10value_typeET4_T5_PSS_ST_PNS1_23onesweep_lookback_stateEbbT6_jjT7_P12ihipStream_tbENKUlT_T0_SH_SM_E_clISA_SB_SC_SC_EEDaS10_S11_SH_SM_EUlS10_E_NS1_11comp_targetILNS1_3genE2ELNS1_11target_archE906ELNS1_3gpuE6ELNS1_3repE0EEENS1_47radix_sort_onesweep_sort_config_static_selectorELNS0_4arch9wavefront6targetE0EEEvSH_, .Lfunc_end2184-_ZN7rocprim17ROCPRIM_400000_NS6detail17trampoline_kernelINS0_14default_configENS1_35radix_sort_onesweep_config_selectorI6__halfNS0_10empty_typeEEEZZNS1_29radix_sort_onesweep_iterationIS3_Lb1EPKS5_PS5_PS6_SC_mNS0_19identity_decomposerENS1_16block_id_wrapperIjLb0EEEEE10hipError_tT1_PNSt15iterator_traitsISH_E10value_typeET2_T3_PNSI_ISN_E10value_typeET4_T5_PSS_ST_PNS1_23onesweep_lookback_stateEbbT6_jjT7_P12ihipStream_tbENKUlT_T0_SH_SM_E_clISA_SB_SC_SC_EEDaS10_S11_SH_SM_EUlS10_E_NS1_11comp_targetILNS1_3genE2ELNS1_11target_archE906ELNS1_3gpuE6ELNS1_3repE0EEENS1_47radix_sort_onesweep_sort_config_static_selectorELNS0_4arch9wavefront6targetE0EEEvSH_
                                        ; -- End function
	.set _ZN7rocprim17ROCPRIM_400000_NS6detail17trampoline_kernelINS0_14default_configENS1_35radix_sort_onesweep_config_selectorI6__halfNS0_10empty_typeEEEZZNS1_29radix_sort_onesweep_iterationIS3_Lb1EPKS5_PS5_PS6_SC_mNS0_19identity_decomposerENS1_16block_id_wrapperIjLb0EEEEE10hipError_tT1_PNSt15iterator_traitsISH_E10value_typeET2_T3_PNSI_ISN_E10value_typeET4_T5_PSS_ST_PNS1_23onesweep_lookback_stateEbbT6_jjT7_P12ihipStream_tbENKUlT_T0_SH_SM_E_clISA_SB_SC_SC_EEDaS10_S11_SH_SM_EUlS10_E_NS1_11comp_targetILNS1_3genE2ELNS1_11target_archE906ELNS1_3gpuE6ELNS1_3repE0EEENS1_47radix_sort_onesweep_sort_config_static_selectorELNS0_4arch9wavefront6targetE0EEEvSH_.num_vgpr, 0
	.set _ZN7rocprim17ROCPRIM_400000_NS6detail17trampoline_kernelINS0_14default_configENS1_35radix_sort_onesweep_config_selectorI6__halfNS0_10empty_typeEEEZZNS1_29radix_sort_onesweep_iterationIS3_Lb1EPKS5_PS5_PS6_SC_mNS0_19identity_decomposerENS1_16block_id_wrapperIjLb0EEEEE10hipError_tT1_PNSt15iterator_traitsISH_E10value_typeET2_T3_PNSI_ISN_E10value_typeET4_T5_PSS_ST_PNS1_23onesweep_lookback_stateEbbT6_jjT7_P12ihipStream_tbENKUlT_T0_SH_SM_E_clISA_SB_SC_SC_EEDaS10_S11_SH_SM_EUlS10_E_NS1_11comp_targetILNS1_3genE2ELNS1_11target_archE906ELNS1_3gpuE6ELNS1_3repE0EEENS1_47radix_sort_onesweep_sort_config_static_selectorELNS0_4arch9wavefront6targetE0EEEvSH_.num_agpr, 0
	.set _ZN7rocprim17ROCPRIM_400000_NS6detail17trampoline_kernelINS0_14default_configENS1_35radix_sort_onesweep_config_selectorI6__halfNS0_10empty_typeEEEZZNS1_29radix_sort_onesweep_iterationIS3_Lb1EPKS5_PS5_PS6_SC_mNS0_19identity_decomposerENS1_16block_id_wrapperIjLb0EEEEE10hipError_tT1_PNSt15iterator_traitsISH_E10value_typeET2_T3_PNSI_ISN_E10value_typeET4_T5_PSS_ST_PNS1_23onesweep_lookback_stateEbbT6_jjT7_P12ihipStream_tbENKUlT_T0_SH_SM_E_clISA_SB_SC_SC_EEDaS10_S11_SH_SM_EUlS10_E_NS1_11comp_targetILNS1_3genE2ELNS1_11target_archE906ELNS1_3gpuE6ELNS1_3repE0EEENS1_47radix_sort_onesweep_sort_config_static_selectorELNS0_4arch9wavefront6targetE0EEEvSH_.numbered_sgpr, 0
	.set _ZN7rocprim17ROCPRIM_400000_NS6detail17trampoline_kernelINS0_14default_configENS1_35radix_sort_onesweep_config_selectorI6__halfNS0_10empty_typeEEEZZNS1_29radix_sort_onesweep_iterationIS3_Lb1EPKS5_PS5_PS6_SC_mNS0_19identity_decomposerENS1_16block_id_wrapperIjLb0EEEEE10hipError_tT1_PNSt15iterator_traitsISH_E10value_typeET2_T3_PNSI_ISN_E10value_typeET4_T5_PSS_ST_PNS1_23onesweep_lookback_stateEbbT6_jjT7_P12ihipStream_tbENKUlT_T0_SH_SM_E_clISA_SB_SC_SC_EEDaS10_S11_SH_SM_EUlS10_E_NS1_11comp_targetILNS1_3genE2ELNS1_11target_archE906ELNS1_3gpuE6ELNS1_3repE0EEENS1_47radix_sort_onesweep_sort_config_static_selectorELNS0_4arch9wavefront6targetE0EEEvSH_.num_named_barrier, 0
	.set _ZN7rocprim17ROCPRIM_400000_NS6detail17trampoline_kernelINS0_14default_configENS1_35radix_sort_onesweep_config_selectorI6__halfNS0_10empty_typeEEEZZNS1_29radix_sort_onesweep_iterationIS3_Lb1EPKS5_PS5_PS6_SC_mNS0_19identity_decomposerENS1_16block_id_wrapperIjLb0EEEEE10hipError_tT1_PNSt15iterator_traitsISH_E10value_typeET2_T3_PNSI_ISN_E10value_typeET4_T5_PSS_ST_PNS1_23onesweep_lookback_stateEbbT6_jjT7_P12ihipStream_tbENKUlT_T0_SH_SM_E_clISA_SB_SC_SC_EEDaS10_S11_SH_SM_EUlS10_E_NS1_11comp_targetILNS1_3genE2ELNS1_11target_archE906ELNS1_3gpuE6ELNS1_3repE0EEENS1_47radix_sort_onesweep_sort_config_static_selectorELNS0_4arch9wavefront6targetE0EEEvSH_.private_seg_size, 0
	.set _ZN7rocprim17ROCPRIM_400000_NS6detail17trampoline_kernelINS0_14default_configENS1_35radix_sort_onesweep_config_selectorI6__halfNS0_10empty_typeEEEZZNS1_29radix_sort_onesweep_iterationIS3_Lb1EPKS5_PS5_PS6_SC_mNS0_19identity_decomposerENS1_16block_id_wrapperIjLb0EEEEE10hipError_tT1_PNSt15iterator_traitsISH_E10value_typeET2_T3_PNSI_ISN_E10value_typeET4_T5_PSS_ST_PNS1_23onesweep_lookback_stateEbbT6_jjT7_P12ihipStream_tbENKUlT_T0_SH_SM_E_clISA_SB_SC_SC_EEDaS10_S11_SH_SM_EUlS10_E_NS1_11comp_targetILNS1_3genE2ELNS1_11target_archE906ELNS1_3gpuE6ELNS1_3repE0EEENS1_47radix_sort_onesweep_sort_config_static_selectorELNS0_4arch9wavefront6targetE0EEEvSH_.uses_vcc, 0
	.set _ZN7rocprim17ROCPRIM_400000_NS6detail17trampoline_kernelINS0_14default_configENS1_35radix_sort_onesweep_config_selectorI6__halfNS0_10empty_typeEEEZZNS1_29radix_sort_onesweep_iterationIS3_Lb1EPKS5_PS5_PS6_SC_mNS0_19identity_decomposerENS1_16block_id_wrapperIjLb0EEEEE10hipError_tT1_PNSt15iterator_traitsISH_E10value_typeET2_T3_PNSI_ISN_E10value_typeET4_T5_PSS_ST_PNS1_23onesweep_lookback_stateEbbT6_jjT7_P12ihipStream_tbENKUlT_T0_SH_SM_E_clISA_SB_SC_SC_EEDaS10_S11_SH_SM_EUlS10_E_NS1_11comp_targetILNS1_3genE2ELNS1_11target_archE906ELNS1_3gpuE6ELNS1_3repE0EEENS1_47radix_sort_onesweep_sort_config_static_selectorELNS0_4arch9wavefront6targetE0EEEvSH_.uses_flat_scratch, 0
	.set _ZN7rocprim17ROCPRIM_400000_NS6detail17trampoline_kernelINS0_14default_configENS1_35radix_sort_onesweep_config_selectorI6__halfNS0_10empty_typeEEEZZNS1_29radix_sort_onesweep_iterationIS3_Lb1EPKS5_PS5_PS6_SC_mNS0_19identity_decomposerENS1_16block_id_wrapperIjLb0EEEEE10hipError_tT1_PNSt15iterator_traitsISH_E10value_typeET2_T3_PNSI_ISN_E10value_typeET4_T5_PSS_ST_PNS1_23onesweep_lookback_stateEbbT6_jjT7_P12ihipStream_tbENKUlT_T0_SH_SM_E_clISA_SB_SC_SC_EEDaS10_S11_SH_SM_EUlS10_E_NS1_11comp_targetILNS1_3genE2ELNS1_11target_archE906ELNS1_3gpuE6ELNS1_3repE0EEENS1_47radix_sort_onesweep_sort_config_static_selectorELNS0_4arch9wavefront6targetE0EEEvSH_.has_dyn_sized_stack, 0
	.set _ZN7rocprim17ROCPRIM_400000_NS6detail17trampoline_kernelINS0_14default_configENS1_35radix_sort_onesweep_config_selectorI6__halfNS0_10empty_typeEEEZZNS1_29radix_sort_onesweep_iterationIS3_Lb1EPKS5_PS5_PS6_SC_mNS0_19identity_decomposerENS1_16block_id_wrapperIjLb0EEEEE10hipError_tT1_PNSt15iterator_traitsISH_E10value_typeET2_T3_PNSI_ISN_E10value_typeET4_T5_PSS_ST_PNS1_23onesweep_lookback_stateEbbT6_jjT7_P12ihipStream_tbENKUlT_T0_SH_SM_E_clISA_SB_SC_SC_EEDaS10_S11_SH_SM_EUlS10_E_NS1_11comp_targetILNS1_3genE2ELNS1_11target_archE906ELNS1_3gpuE6ELNS1_3repE0EEENS1_47radix_sort_onesweep_sort_config_static_selectorELNS0_4arch9wavefront6targetE0EEEvSH_.has_recursion, 0
	.set _ZN7rocprim17ROCPRIM_400000_NS6detail17trampoline_kernelINS0_14default_configENS1_35radix_sort_onesweep_config_selectorI6__halfNS0_10empty_typeEEEZZNS1_29radix_sort_onesweep_iterationIS3_Lb1EPKS5_PS5_PS6_SC_mNS0_19identity_decomposerENS1_16block_id_wrapperIjLb0EEEEE10hipError_tT1_PNSt15iterator_traitsISH_E10value_typeET2_T3_PNSI_ISN_E10value_typeET4_T5_PSS_ST_PNS1_23onesweep_lookback_stateEbbT6_jjT7_P12ihipStream_tbENKUlT_T0_SH_SM_E_clISA_SB_SC_SC_EEDaS10_S11_SH_SM_EUlS10_E_NS1_11comp_targetILNS1_3genE2ELNS1_11target_archE906ELNS1_3gpuE6ELNS1_3repE0EEENS1_47radix_sort_onesweep_sort_config_static_selectorELNS0_4arch9wavefront6targetE0EEEvSH_.has_indirect_call, 0
	.section	.AMDGPU.csdata,"",@progbits
; Kernel info:
; codeLenInByte = 0
; TotalNumSgprs: 0
; NumVgprs: 0
; ScratchSize: 0
; MemoryBound: 0
; FloatMode: 240
; IeeeMode: 1
; LDSByteSize: 0 bytes/workgroup (compile time only)
; SGPRBlocks: 0
; VGPRBlocks: 0
; NumSGPRsForWavesPerEU: 1
; NumVGPRsForWavesPerEU: 1
; NamedBarCnt: 0
; Occupancy: 16
; WaveLimiterHint : 0
; COMPUTE_PGM_RSRC2:SCRATCH_EN: 0
; COMPUTE_PGM_RSRC2:USER_SGPR: 2
; COMPUTE_PGM_RSRC2:TRAP_HANDLER: 0
; COMPUTE_PGM_RSRC2:TGID_X_EN: 1
; COMPUTE_PGM_RSRC2:TGID_Y_EN: 0
; COMPUTE_PGM_RSRC2:TGID_Z_EN: 0
; COMPUTE_PGM_RSRC2:TIDIG_COMP_CNT: 0
	.section	.text._ZN7rocprim17ROCPRIM_400000_NS6detail17trampoline_kernelINS0_14default_configENS1_35radix_sort_onesweep_config_selectorI6__halfNS0_10empty_typeEEEZZNS1_29radix_sort_onesweep_iterationIS3_Lb1EPKS5_PS5_PS6_SC_mNS0_19identity_decomposerENS1_16block_id_wrapperIjLb0EEEEE10hipError_tT1_PNSt15iterator_traitsISH_E10value_typeET2_T3_PNSI_ISN_E10value_typeET4_T5_PSS_ST_PNS1_23onesweep_lookback_stateEbbT6_jjT7_P12ihipStream_tbENKUlT_T0_SH_SM_E_clISA_SB_SC_SC_EEDaS10_S11_SH_SM_EUlS10_E_NS1_11comp_targetILNS1_3genE4ELNS1_11target_archE910ELNS1_3gpuE8ELNS1_3repE0EEENS1_47radix_sort_onesweep_sort_config_static_selectorELNS0_4arch9wavefront6targetE0EEEvSH_,"axG",@progbits,_ZN7rocprim17ROCPRIM_400000_NS6detail17trampoline_kernelINS0_14default_configENS1_35radix_sort_onesweep_config_selectorI6__halfNS0_10empty_typeEEEZZNS1_29radix_sort_onesweep_iterationIS3_Lb1EPKS5_PS5_PS6_SC_mNS0_19identity_decomposerENS1_16block_id_wrapperIjLb0EEEEE10hipError_tT1_PNSt15iterator_traitsISH_E10value_typeET2_T3_PNSI_ISN_E10value_typeET4_T5_PSS_ST_PNS1_23onesweep_lookback_stateEbbT6_jjT7_P12ihipStream_tbENKUlT_T0_SH_SM_E_clISA_SB_SC_SC_EEDaS10_S11_SH_SM_EUlS10_E_NS1_11comp_targetILNS1_3genE4ELNS1_11target_archE910ELNS1_3gpuE8ELNS1_3repE0EEENS1_47radix_sort_onesweep_sort_config_static_selectorELNS0_4arch9wavefront6targetE0EEEvSH_,comdat
	.protected	_ZN7rocprim17ROCPRIM_400000_NS6detail17trampoline_kernelINS0_14default_configENS1_35radix_sort_onesweep_config_selectorI6__halfNS0_10empty_typeEEEZZNS1_29radix_sort_onesweep_iterationIS3_Lb1EPKS5_PS5_PS6_SC_mNS0_19identity_decomposerENS1_16block_id_wrapperIjLb0EEEEE10hipError_tT1_PNSt15iterator_traitsISH_E10value_typeET2_T3_PNSI_ISN_E10value_typeET4_T5_PSS_ST_PNS1_23onesweep_lookback_stateEbbT6_jjT7_P12ihipStream_tbENKUlT_T0_SH_SM_E_clISA_SB_SC_SC_EEDaS10_S11_SH_SM_EUlS10_E_NS1_11comp_targetILNS1_3genE4ELNS1_11target_archE910ELNS1_3gpuE8ELNS1_3repE0EEENS1_47radix_sort_onesweep_sort_config_static_selectorELNS0_4arch9wavefront6targetE0EEEvSH_ ; -- Begin function _ZN7rocprim17ROCPRIM_400000_NS6detail17trampoline_kernelINS0_14default_configENS1_35radix_sort_onesweep_config_selectorI6__halfNS0_10empty_typeEEEZZNS1_29radix_sort_onesweep_iterationIS3_Lb1EPKS5_PS5_PS6_SC_mNS0_19identity_decomposerENS1_16block_id_wrapperIjLb0EEEEE10hipError_tT1_PNSt15iterator_traitsISH_E10value_typeET2_T3_PNSI_ISN_E10value_typeET4_T5_PSS_ST_PNS1_23onesweep_lookback_stateEbbT6_jjT7_P12ihipStream_tbENKUlT_T0_SH_SM_E_clISA_SB_SC_SC_EEDaS10_S11_SH_SM_EUlS10_E_NS1_11comp_targetILNS1_3genE4ELNS1_11target_archE910ELNS1_3gpuE8ELNS1_3repE0EEENS1_47radix_sort_onesweep_sort_config_static_selectorELNS0_4arch9wavefront6targetE0EEEvSH_
	.globl	_ZN7rocprim17ROCPRIM_400000_NS6detail17trampoline_kernelINS0_14default_configENS1_35radix_sort_onesweep_config_selectorI6__halfNS0_10empty_typeEEEZZNS1_29radix_sort_onesweep_iterationIS3_Lb1EPKS5_PS5_PS6_SC_mNS0_19identity_decomposerENS1_16block_id_wrapperIjLb0EEEEE10hipError_tT1_PNSt15iterator_traitsISH_E10value_typeET2_T3_PNSI_ISN_E10value_typeET4_T5_PSS_ST_PNS1_23onesweep_lookback_stateEbbT6_jjT7_P12ihipStream_tbENKUlT_T0_SH_SM_E_clISA_SB_SC_SC_EEDaS10_S11_SH_SM_EUlS10_E_NS1_11comp_targetILNS1_3genE4ELNS1_11target_archE910ELNS1_3gpuE8ELNS1_3repE0EEENS1_47radix_sort_onesweep_sort_config_static_selectorELNS0_4arch9wavefront6targetE0EEEvSH_
	.p2align	8
	.type	_ZN7rocprim17ROCPRIM_400000_NS6detail17trampoline_kernelINS0_14default_configENS1_35radix_sort_onesweep_config_selectorI6__halfNS0_10empty_typeEEEZZNS1_29radix_sort_onesweep_iterationIS3_Lb1EPKS5_PS5_PS6_SC_mNS0_19identity_decomposerENS1_16block_id_wrapperIjLb0EEEEE10hipError_tT1_PNSt15iterator_traitsISH_E10value_typeET2_T3_PNSI_ISN_E10value_typeET4_T5_PSS_ST_PNS1_23onesweep_lookback_stateEbbT6_jjT7_P12ihipStream_tbENKUlT_T0_SH_SM_E_clISA_SB_SC_SC_EEDaS10_S11_SH_SM_EUlS10_E_NS1_11comp_targetILNS1_3genE4ELNS1_11target_archE910ELNS1_3gpuE8ELNS1_3repE0EEENS1_47radix_sort_onesweep_sort_config_static_selectorELNS0_4arch9wavefront6targetE0EEEvSH_,@function
_ZN7rocprim17ROCPRIM_400000_NS6detail17trampoline_kernelINS0_14default_configENS1_35radix_sort_onesweep_config_selectorI6__halfNS0_10empty_typeEEEZZNS1_29radix_sort_onesweep_iterationIS3_Lb1EPKS5_PS5_PS6_SC_mNS0_19identity_decomposerENS1_16block_id_wrapperIjLb0EEEEE10hipError_tT1_PNSt15iterator_traitsISH_E10value_typeET2_T3_PNSI_ISN_E10value_typeET4_T5_PSS_ST_PNS1_23onesweep_lookback_stateEbbT6_jjT7_P12ihipStream_tbENKUlT_T0_SH_SM_E_clISA_SB_SC_SC_EEDaS10_S11_SH_SM_EUlS10_E_NS1_11comp_targetILNS1_3genE4ELNS1_11target_archE910ELNS1_3gpuE8ELNS1_3repE0EEENS1_47radix_sort_onesweep_sort_config_static_selectorELNS0_4arch9wavefront6targetE0EEEvSH_: ; @_ZN7rocprim17ROCPRIM_400000_NS6detail17trampoline_kernelINS0_14default_configENS1_35radix_sort_onesweep_config_selectorI6__halfNS0_10empty_typeEEEZZNS1_29radix_sort_onesweep_iterationIS3_Lb1EPKS5_PS5_PS6_SC_mNS0_19identity_decomposerENS1_16block_id_wrapperIjLb0EEEEE10hipError_tT1_PNSt15iterator_traitsISH_E10value_typeET2_T3_PNSI_ISN_E10value_typeET4_T5_PSS_ST_PNS1_23onesweep_lookback_stateEbbT6_jjT7_P12ihipStream_tbENKUlT_T0_SH_SM_E_clISA_SB_SC_SC_EEDaS10_S11_SH_SM_EUlS10_E_NS1_11comp_targetILNS1_3genE4ELNS1_11target_archE910ELNS1_3gpuE8ELNS1_3repE0EEENS1_47radix_sort_onesweep_sort_config_static_selectorELNS0_4arch9wavefront6targetE0EEEvSH_
; %bb.0:
	.section	.rodata,"a",@progbits
	.p2align	6, 0x0
	.amdhsa_kernel _ZN7rocprim17ROCPRIM_400000_NS6detail17trampoline_kernelINS0_14default_configENS1_35radix_sort_onesweep_config_selectorI6__halfNS0_10empty_typeEEEZZNS1_29radix_sort_onesweep_iterationIS3_Lb1EPKS5_PS5_PS6_SC_mNS0_19identity_decomposerENS1_16block_id_wrapperIjLb0EEEEE10hipError_tT1_PNSt15iterator_traitsISH_E10value_typeET2_T3_PNSI_ISN_E10value_typeET4_T5_PSS_ST_PNS1_23onesweep_lookback_stateEbbT6_jjT7_P12ihipStream_tbENKUlT_T0_SH_SM_E_clISA_SB_SC_SC_EEDaS10_S11_SH_SM_EUlS10_E_NS1_11comp_targetILNS1_3genE4ELNS1_11target_archE910ELNS1_3gpuE8ELNS1_3repE0EEENS1_47radix_sort_onesweep_sort_config_static_selectorELNS0_4arch9wavefront6targetE0EEEvSH_
		.amdhsa_group_segment_fixed_size 0
		.amdhsa_private_segment_fixed_size 0
		.amdhsa_kernarg_size 88
		.amdhsa_user_sgpr_count 2
		.amdhsa_user_sgpr_dispatch_ptr 0
		.amdhsa_user_sgpr_queue_ptr 0
		.amdhsa_user_sgpr_kernarg_segment_ptr 1
		.amdhsa_user_sgpr_dispatch_id 0
		.amdhsa_user_sgpr_kernarg_preload_length 0
		.amdhsa_user_sgpr_kernarg_preload_offset 0
		.amdhsa_user_sgpr_private_segment_size 0
		.amdhsa_wavefront_size32 1
		.amdhsa_uses_dynamic_stack 0
		.amdhsa_enable_private_segment 0
		.amdhsa_system_sgpr_workgroup_id_x 1
		.amdhsa_system_sgpr_workgroup_id_y 0
		.amdhsa_system_sgpr_workgroup_id_z 0
		.amdhsa_system_sgpr_workgroup_info 0
		.amdhsa_system_vgpr_workitem_id 0
		.amdhsa_next_free_vgpr 1
		.amdhsa_next_free_sgpr 1
		.amdhsa_named_barrier_count 0
		.amdhsa_reserve_vcc 0
		.amdhsa_float_round_mode_32 0
		.amdhsa_float_round_mode_16_64 0
		.amdhsa_float_denorm_mode_32 3
		.amdhsa_float_denorm_mode_16_64 3
		.amdhsa_fp16_overflow 0
		.amdhsa_memory_ordered 1
		.amdhsa_forward_progress 1
		.amdhsa_inst_pref_size 0
		.amdhsa_round_robin_scheduling 0
		.amdhsa_exception_fp_ieee_invalid_op 0
		.amdhsa_exception_fp_denorm_src 0
		.amdhsa_exception_fp_ieee_div_zero 0
		.amdhsa_exception_fp_ieee_overflow 0
		.amdhsa_exception_fp_ieee_underflow 0
		.amdhsa_exception_fp_ieee_inexact 0
		.amdhsa_exception_int_div_zero 0
	.end_amdhsa_kernel
	.section	.text._ZN7rocprim17ROCPRIM_400000_NS6detail17trampoline_kernelINS0_14default_configENS1_35radix_sort_onesweep_config_selectorI6__halfNS0_10empty_typeEEEZZNS1_29radix_sort_onesweep_iterationIS3_Lb1EPKS5_PS5_PS6_SC_mNS0_19identity_decomposerENS1_16block_id_wrapperIjLb0EEEEE10hipError_tT1_PNSt15iterator_traitsISH_E10value_typeET2_T3_PNSI_ISN_E10value_typeET4_T5_PSS_ST_PNS1_23onesweep_lookback_stateEbbT6_jjT7_P12ihipStream_tbENKUlT_T0_SH_SM_E_clISA_SB_SC_SC_EEDaS10_S11_SH_SM_EUlS10_E_NS1_11comp_targetILNS1_3genE4ELNS1_11target_archE910ELNS1_3gpuE8ELNS1_3repE0EEENS1_47radix_sort_onesweep_sort_config_static_selectorELNS0_4arch9wavefront6targetE0EEEvSH_,"axG",@progbits,_ZN7rocprim17ROCPRIM_400000_NS6detail17trampoline_kernelINS0_14default_configENS1_35radix_sort_onesweep_config_selectorI6__halfNS0_10empty_typeEEEZZNS1_29radix_sort_onesweep_iterationIS3_Lb1EPKS5_PS5_PS6_SC_mNS0_19identity_decomposerENS1_16block_id_wrapperIjLb0EEEEE10hipError_tT1_PNSt15iterator_traitsISH_E10value_typeET2_T3_PNSI_ISN_E10value_typeET4_T5_PSS_ST_PNS1_23onesweep_lookback_stateEbbT6_jjT7_P12ihipStream_tbENKUlT_T0_SH_SM_E_clISA_SB_SC_SC_EEDaS10_S11_SH_SM_EUlS10_E_NS1_11comp_targetILNS1_3genE4ELNS1_11target_archE910ELNS1_3gpuE8ELNS1_3repE0EEENS1_47radix_sort_onesweep_sort_config_static_selectorELNS0_4arch9wavefront6targetE0EEEvSH_,comdat
.Lfunc_end2185:
	.size	_ZN7rocprim17ROCPRIM_400000_NS6detail17trampoline_kernelINS0_14default_configENS1_35radix_sort_onesweep_config_selectorI6__halfNS0_10empty_typeEEEZZNS1_29radix_sort_onesweep_iterationIS3_Lb1EPKS5_PS5_PS6_SC_mNS0_19identity_decomposerENS1_16block_id_wrapperIjLb0EEEEE10hipError_tT1_PNSt15iterator_traitsISH_E10value_typeET2_T3_PNSI_ISN_E10value_typeET4_T5_PSS_ST_PNS1_23onesweep_lookback_stateEbbT6_jjT7_P12ihipStream_tbENKUlT_T0_SH_SM_E_clISA_SB_SC_SC_EEDaS10_S11_SH_SM_EUlS10_E_NS1_11comp_targetILNS1_3genE4ELNS1_11target_archE910ELNS1_3gpuE8ELNS1_3repE0EEENS1_47radix_sort_onesweep_sort_config_static_selectorELNS0_4arch9wavefront6targetE0EEEvSH_, .Lfunc_end2185-_ZN7rocprim17ROCPRIM_400000_NS6detail17trampoline_kernelINS0_14default_configENS1_35radix_sort_onesweep_config_selectorI6__halfNS0_10empty_typeEEEZZNS1_29radix_sort_onesweep_iterationIS3_Lb1EPKS5_PS5_PS6_SC_mNS0_19identity_decomposerENS1_16block_id_wrapperIjLb0EEEEE10hipError_tT1_PNSt15iterator_traitsISH_E10value_typeET2_T3_PNSI_ISN_E10value_typeET4_T5_PSS_ST_PNS1_23onesweep_lookback_stateEbbT6_jjT7_P12ihipStream_tbENKUlT_T0_SH_SM_E_clISA_SB_SC_SC_EEDaS10_S11_SH_SM_EUlS10_E_NS1_11comp_targetILNS1_3genE4ELNS1_11target_archE910ELNS1_3gpuE8ELNS1_3repE0EEENS1_47radix_sort_onesweep_sort_config_static_selectorELNS0_4arch9wavefront6targetE0EEEvSH_
                                        ; -- End function
	.set _ZN7rocprim17ROCPRIM_400000_NS6detail17trampoline_kernelINS0_14default_configENS1_35radix_sort_onesweep_config_selectorI6__halfNS0_10empty_typeEEEZZNS1_29radix_sort_onesweep_iterationIS3_Lb1EPKS5_PS5_PS6_SC_mNS0_19identity_decomposerENS1_16block_id_wrapperIjLb0EEEEE10hipError_tT1_PNSt15iterator_traitsISH_E10value_typeET2_T3_PNSI_ISN_E10value_typeET4_T5_PSS_ST_PNS1_23onesweep_lookback_stateEbbT6_jjT7_P12ihipStream_tbENKUlT_T0_SH_SM_E_clISA_SB_SC_SC_EEDaS10_S11_SH_SM_EUlS10_E_NS1_11comp_targetILNS1_3genE4ELNS1_11target_archE910ELNS1_3gpuE8ELNS1_3repE0EEENS1_47radix_sort_onesweep_sort_config_static_selectorELNS0_4arch9wavefront6targetE0EEEvSH_.num_vgpr, 0
	.set _ZN7rocprim17ROCPRIM_400000_NS6detail17trampoline_kernelINS0_14default_configENS1_35radix_sort_onesweep_config_selectorI6__halfNS0_10empty_typeEEEZZNS1_29radix_sort_onesweep_iterationIS3_Lb1EPKS5_PS5_PS6_SC_mNS0_19identity_decomposerENS1_16block_id_wrapperIjLb0EEEEE10hipError_tT1_PNSt15iterator_traitsISH_E10value_typeET2_T3_PNSI_ISN_E10value_typeET4_T5_PSS_ST_PNS1_23onesweep_lookback_stateEbbT6_jjT7_P12ihipStream_tbENKUlT_T0_SH_SM_E_clISA_SB_SC_SC_EEDaS10_S11_SH_SM_EUlS10_E_NS1_11comp_targetILNS1_3genE4ELNS1_11target_archE910ELNS1_3gpuE8ELNS1_3repE0EEENS1_47radix_sort_onesweep_sort_config_static_selectorELNS0_4arch9wavefront6targetE0EEEvSH_.num_agpr, 0
	.set _ZN7rocprim17ROCPRIM_400000_NS6detail17trampoline_kernelINS0_14default_configENS1_35radix_sort_onesweep_config_selectorI6__halfNS0_10empty_typeEEEZZNS1_29radix_sort_onesweep_iterationIS3_Lb1EPKS5_PS5_PS6_SC_mNS0_19identity_decomposerENS1_16block_id_wrapperIjLb0EEEEE10hipError_tT1_PNSt15iterator_traitsISH_E10value_typeET2_T3_PNSI_ISN_E10value_typeET4_T5_PSS_ST_PNS1_23onesweep_lookback_stateEbbT6_jjT7_P12ihipStream_tbENKUlT_T0_SH_SM_E_clISA_SB_SC_SC_EEDaS10_S11_SH_SM_EUlS10_E_NS1_11comp_targetILNS1_3genE4ELNS1_11target_archE910ELNS1_3gpuE8ELNS1_3repE0EEENS1_47radix_sort_onesweep_sort_config_static_selectorELNS0_4arch9wavefront6targetE0EEEvSH_.numbered_sgpr, 0
	.set _ZN7rocprim17ROCPRIM_400000_NS6detail17trampoline_kernelINS0_14default_configENS1_35radix_sort_onesweep_config_selectorI6__halfNS0_10empty_typeEEEZZNS1_29radix_sort_onesweep_iterationIS3_Lb1EPKS5_PS5_PS6_SC_mNS0_19identity_decomposerENS1_16block_id_wrapperIjLb0EEEEE10hipError_tT1_PNSt15iterator_traitsISH_E10value_typeET2_T3_PNSI_ISN_E10value_typeET4_T5_PSS_ST_PNS1_23onesweep_lookback_stateEbbT6_jjT7_P12ihipStream_tbENKUlT_T0_SH_SM_E_clISA_SB_SC_SC_EEDaS10_S11_SH_SM_EUlS10_E_NS1_11comp_targetILNS1_3genE4ELNS1_11target_archE910ELNS1_3gpuE8ELNS1_3repE0EEENS1_47radix_sort_onesweep_sort_config_static_selectorELNS0_4arch9wavefront6targetE0EEEvSH_.num_named_barrier, 0
	.set _ZN7rocprim17ROCPRIM_400000_NS6detail17trampoline_kernelINS0_14default_configENS1_35radix_sort_onesweep_config_selectorI6__halfNS0_10empty_typeEEEZZNS1_29radix_sort_onesweep_iterationIS3_Lb1EPKS5_PS5_PS6_SC_mNS0_19identity_decomposerENS1_16block_id_wrapperIjLb0EEEEE10hipError_tT1_PNSt15iterator_traitsISH_E10value_typeET2_T3_PNSI_ISN_E10value_typeET4_T5_PSS_ST_PNS1_23onesweep_lookback_stateEbbT6_jjT7_P12ihipStream_tbENKUlT_T0_SH_SM_E_clISA_SB_SC_SC_EEDaS10_S11_SH_SM_EUlS10_E_NS1_11comp_targetILNS1_3genE4ELNS1_11target_archE910ELNS1_3gpuE8ELNS1_3repE0EEENS1_47radix_sort_onesweep_sort_config_static_selectorELNS0_4arch9wavefront6targetE0EEEvSH_.private_seg_size, 0
	.set _ZN7rocprim17ROCPRIM_400000_NS6detail17trampoline_kernelINS0_14default_configENS1_35radix_sort_onesweep_config_selectorI6__halfNS0_10empty_typeEEEZZNS1_29radix_sort_onesweep_iterationIS3_Lb1EPKS5_PS5_PS6_SC_mNS0_19identity_decomposerENS1_16block_id_wrapperIjLb0EEEEE10hipError_tT1_PNSt15iterator_traitsISH_E10value_typeET2_T3_PNSI_ISN_E10value_typeET4_T5_PSS_ST_PNS1_23onesweep_lookback_stateEbbT6_jjT7_P12ihipStream_tbENKUlT_T0_SH_SM_E_clISA_SB_SC_SC_EEDaS10_S11_SH_SM_EUlS10_E_NS1_11comp_targetILNS1_3genE4ELNS1_11target_archE910ELNS1_3gpuE8ELNS1_3repE0EEENS1_47radix_sort_onesweep_sort_config_static_selectorELNS0_4arch9wavefront6targetE0EEEvSH_.uses_vcc, 0
	.set _ZN7rocprim17ROCPRIM_400000_NS6detail17trampoline_kernelINS0_14default_configENS1_35radix_sort_onesweep_config_selectorI6__halfNS0_10empty_typeEEEZZNS1_29radix_sort_onesweep_iterationIS3_Lb1EPKS5_PS5_PS6_SC_mNS0_19identity_decomposerENS1_16block_id_wrapperIjLb0EEEEE10hipError_tT1_PNSt15iterator_traitsISH_E10value_typeET2_T3_PNSI_ISN_E10value_typeET4_T5_PSS_ST_PNS1_23onesweep_lookback_stateEbbT6_jjT7_P12ihipStream_tbENKUlT_T0_SH_SM_E_clISA_SB_SC_SC_EEDaS10_S11_SH_SM_EUlS10_E_NS1_11comp_targetILNS1_3genE4ELNS1_11target_archE910ELNS1_3gpuE8ELNS1_3repE0EEENS1_47radix_sort_onesweep_sort_config_static_selectorELNS0_4arch9wavefront6targetE0EEEvSH_.uses_flat_scratch, 0
	.set _ZN7rocprim17ROCPRIM_400000_NS6detail17trampoline_kernelINS0_14default_configENS1_35radix_sort_onesweep_config_selectorI6__halfNS0_10empty_typeEEEZZNS1_29radix_sort_onesweep_iterationIS3_Lb1EPKS5_PS5_PS6_SC_mNS0_19identity_decomposerENS1_16block_id_wrapperIjLb0EEEEE10hipError_tT1_PNSt15iterator_traitsISH_E10value_typeET2_T3_PNSI_ISN_E10value_typeET4_T5_PSS_ST_PNS1_23onesweep_lookback_stateEbbT6_jjT7_P12ihipStream_tbENKUlT_T0_SH_SM_E_clISA_SB_SC_SC_EEDaS10_S11_SH_SM_EUlS10_E_NS1_11comp_targetILNS1_3genE4ELNS1_11target_archE910ELNS1_3gpuE8ELNS1_3repE0EEENS1_47radix_sort_onesweep_sort_config_static_selectorELNS0_4arch9wavefront6targetE0EEEvSH_.has_dyn_sized_stack, 0
	.set _ZN7rocprim17ROCPRIM_400000_NS6detail17trampoline_kernelINS0_14default_configENS1_35radix_sort_onesweep_config_selectorI6__halfNS0_10empty_typeEEEZZNS1_29radix_sort_onesweep_iterationIS3_Lb1EPKS5_PS5_PS6_SC_mNS0_19identity_decomposerENS1_16block_id_wrapperIjLb0EEEEE10hipError_tT1_PNSt15iterator_traitsISH_E10value_typeET2_T3_PNSI_ISN_E10value_typeET4_T5_PSS_ST_PNS1_23onesweep_lookback_stateEbbT6_jjT7_P12ihipStream_tbENKUlT_T0_SH_SM_E_clISA_SB_SC_SC_EEDaS10_S11_SH_SM_EUlS10_E_NS1_11comp_targetILNS1_3genE4ELNS1_11target_archE910ELNS1_3gpuE8ELNS1_3repE0EEENS1_47radix_sort_onesweep_sort_config_static_selectorELNS0_4arch9wavefront6targetE0EEEvSH_.has_recursion, 0
	.set _ZN7rocprim17ROCPRIM_400000_NS6detail17trampoline_kernelINS0_14default_configENS1_35radix_sort_onesweep_config_selectorI6__halfNS0_10empty_typeEEEZZNS1_29radix_sort_onesweep_iterationIS3_Lb1EPKS5_PS5_PS6_SC_mNS0_19identity_decomposerENS1_16block_id_wrapperIjLb0EEEEE10hipError_tT1_PNSt15iterator_traitsISH_E10value_typeET2_T3_PNSI_ISN_E10value_typeET4_T5_PSS_ST_PNS1_23onesweep_lookback_stateEbbT6_jjT7_P12ihipStream_tbENKUlT_T0_SH_SM_E_clISA_SB_SC_SC_EEDaS10_S11_SH_SM_EUlS10_E_NS1_11comp_targetILNS1_3genE4ELNS1_11target_archE910ELNS1_3gpuE8ELNS1_3repE0EEENS1_47radix_sort_onesweep_sort_config_static_selectorELNS0_4arch9wavefront6targetE0EEEvSH_.has_indirect_call, 0
	.section	.AMDGPU.csdata,"",@progbits
; Kernel info:
; codeLenInByte = 0
; TotalNumSgprs: 0
; NumVgprs: 0
; ScratchSize: 0
; MemoryBound: 0
; FloatMode: 240
; IeeeMode: 1
; LDSByteSize: 0 bytes/workgroup (compile time only)
; SGPRBlocks: 0
; VGPRBlocks: 0
; NumSGPRsForWavesPerEU: 1
; NumVGPRsForWavesPerEU: 1
; NamedBarCnt: 0
; Occupancy: 16
; WaveLimiterHint : 0
; COMPUTE_PGM_RSRC2:SCRATCH_EN: 0
; COMPUTE_PGM_RSRC2:USER_SGPR: 2
; COMPUTE_PGM_RSRC2:TRAP_HANDLER: 0
; COMPUTE_PGM_RSRC2:TGID_X_EN: 1
; COMPUTE_PGM_RSRC2:TGID_Y_EN: 0
; COMPUTE_PGM_RSRC2:TGID_Z_EN: 0
; COMPUTE_PGM_RSRC2:TIDIG_COMP_CNT: 0
	.section	.text._ZN7rocprim17ROCPRIM_400000_NS6detail17trampoline_kernelINS0_14default_configENS1_35radix_sort_onesweep_config_selectorI6__halfNS0_10empty_typeEEEZZNS1_29radix_sort_onesweep_iterationIS3_Lb1EPKS5_PS5_PS6_SC_mNS0_19identity_decomposerENS1_16block_id_wrapperIjLb0EEEEE10hipError_tT1_PNSt15iterator_traitsISH_E10value_typeET2_T3_PNSI_ISN_E10value_typeET4_T5_PSS_ST_PNS1_23onesweep_lookback_stateEbbT6_jjT7_P12ihipStream_tbENKUlT_T0_SH_SM_E_clISA_SB_SC_SC_EEDaS10_S11_SH_SM_EUlS10_E_NS1_11comp_targetILNS1_3genE3ELNS1_11target_archE908ELNS1_3gpuE7ELNS1_3repE0EEENS1_47radix_sort_onesweep_sort_config_static_selectorELNS0_4arch9wavefront6targetE0EEEvSH_,"axG",@progbits,_ZN7rocprim17ROCPRIM_400000_NS6detail17trampoline_kernelINS0_14default_configENS1_35radix_sort_onesweep_config_selectorI6__halfNS0_10empty_typeEEEZZNS1_29radix_sort_onesweep_iterationIS3_Lb1EPKS5_PS5_PS6_SC_mNS0_19identity_decomposerENS1_16block_id_wrapperIjLb0EEEEE10hipError_tT1_PNSt15iterator_traitsISH_E10value_typeET2_T3_PNSI_ISN_E10value_typeET4_T5_PSS_ST_PNS1_23onesweep_lookback_stateEbbT6_jjT7_P12ihipStream_tbENKUlT_T0_SH_SM_E_clISA_SB_SC_SC_EEDaS10_S11_SH_SM_EUlS10_E_NS1_11comp_targetILNS1_3genE3ELNS1_11target_archE908ELNS1_3gpuE7ELNS1_3repE0EEENS1_47radix_sort_onesweep_sort_config_static_selectorELNS0_4arch9wavefront6targetE0EEEvSH_,comdat
	.protected	_ZN7rocprim17ROCPRIM_400000_NS6detail17trampoline_kernelINS0_14default_configENS1_35radix_sort_onesweep_config_selectorI6__halfNS0_10empty_typeEEEZZNS1_29radix_sort_onesweep_iterationIS3_Lb1EPKS5_PS5_PS6_SC_mNS0_19identity_decomposerENS1_16block_id_wrapperIjLb0EEEEE10hipError_tT1_PNSt15iterator_traitsISH_E10value_typeET2_T3_PNSI_ISN_E10value_typeET4_T5_PSS_ST_PNS1_23onesweep_lookback_stateEbbT6_jjT7_P12ihipStream_tbENKUlT_T0_SH_SM_E_clISA_SB_SC_SC_EEDaS10_S11_SH_SM_EUlS10_E_NS1_11comp_targetILNS1_3genE3ELNS1_11target_archE908ELNS1_3gpuE7ELNS1_3repE0EEENS1_47radix_sort_onesweep_sort_config_static_selectorELNS0_4arch9wavefront6targetE0EEEvSH_ ; -- Begin function _ZN7rocprim17ROCPRIM_400000_NS6detail17trampoline_kernelINS0_14default_configENS1_35radix_sort_onesweep_config_selectorI6__halfNS0_10empty_typeEEEZZNS1_29radix_sort_onesweep_iterationIS3_Lb1EPKS5_PS5_PS6_SC_mNS0_19identity_decomposerENS1_16block_id_wrapperIjLb0EEEEE10hipError_tT1_PNSt15iterator_traitsISH_E10value_typeET2_T3_PNSI_ISN_E10value_typeET4_T5_PSS_ST_PNS1_23onesweep_lookback_stateEbbT6_jjT7_P12ihipStream_tbENKUlT_T0_SH_SM_E_clISA_SB_SC_SC_EEDaS10_S11_SH_SM_EUlS10_E_NS1_11comp_targetILNS1_3genE3ELNS1_11target_archE908ELNS1_3gpuE7ELNS1_3repE0EEENS1_47radix_sort_onesweep_sort_config_static_selectorELNS0_4arch9wavefront6targetE0EEEvSH_
	.globl	_ZN7rocprim17ROCPRIM_400000_NS6detail17trampoline_kernelINS0_14default_configENS1_35radix_sort_onesweep_config_selectorI6__halfNS0_10empty_typeEEEZZNS1_29radix_sort_onesweep_iterationIS3_Lb1EPKS5_PS5_PS6_SC_mNS0_19identity_decomposerENS1_16block_id_wrapperIjLb0EEEEE10hipError_tT1_PNSt15iterator_traitsISH_E10value_typeET2_T3_PNSI_ISN_E10value_typeET4_T5_PSS_ST_PNS1_23onesweep_lookback_stateEbbT6_jjT7_P12ihipStream_tbENKUlT_T0_SH_SM_E_clISA_SB_SC_SC_EEDaS10_S11_SH_SM_EUlS10_E_NS1_11comp_targetILNS1_3genE3ELNS1_11target_archE908ELNS1_3gpuE7ELNS1_3repE0EEENS1_47radix_sort_onesweep_sort_config_static_selectorELNS0_4arch9wavefront6targetE0EEEvSH_
	.p2align	8
	.type	_ZN7rocprim17ROCPRIM_400000_NS6detail17trampoline_kernelINS0_14default_configENS1_35radix_sort_onesweep_config_selectorI6__halfNS0_10empty_typeEEEZZNS1_29radix_sort_onesweep_iterationIS3_Lb1EPKS5_PS5_PS6_SC_mNS0_19identity_decomposerENS1_16block_id_wrapperIjLb0EEEEE10hipError_tT1_PNSt15iterator_traitsISH_E10value_typeET2_T3_PNSI_ISN_E10value_typeET4_T5_PSS_ST_PNS1_23onesweep_lookback_stateEbbT6_jjT7_P12ihipStream_tbENKUlT_T0_SH_SM_E_clISA_SB_SC_SC_EEDaS10_S11_SH_SM_EUlS10_E_NS1_11comp_targetILNS1_3genE3ELNS1_11target_archE908ELNS1_3gpuE7ELNS1_3repE0EEENS1_47radix_sort_onesweep_sort_config_static_selectorELNS0_4arch9wavefront6targetE0EEEvSH_,@function
_ZN7rocprim17ROCPRIM_400000_NS6detail17trampoline_kernelINS0_14default_configENS1_35radix_sort_onesweep_config_selectorI6__halfNS0_10empty_typeEEEZZNS1_29radix_sort_onesweep_iterationIS3_Lb1EPKS5_PS5_PS6_SC_mNS0_19identity_decomposerENS1_16block_id_wrapperIjLb0EEEEE10hipError_tT1_PNSt15iterator_traitsISH_E10value_typeET2_T3_PNSI_ISN_E10value_typeET4_T5_PSS_ST_PNS1_23onesweep_lookback_stateEbbT6_jjT7_P12ihipStream_tbENKUlT_T0_SH_SM_E_clISA_SB_SC_SC_EEDaS10_S11_SH_SM_EUlS10_E_NS1_11comp_targetILNS1_3genE3ELNS1_11target_archE908ELNS1_3gpuE7ELNS1_3repE0EEENS1_47radix_sort_onesweep_sort_config_static_selectorELNS0_4arch9wavefront6targetE0EEEvSH_: ; @_ZN7rocprim17ROCPRIM_400000_NS6detail17trampoline_kernelINS0_14default_configENS1_35radix_sort_onesweep_config_selectorI6__halfNS0_10empty_typeEEEZZNS1_29radix_sort_onesweep_iterationIS3_Lb1EPKS5_PS5_PS6_SC_mNS0_19identity_decomposerENS1_16block_id_wrapperIjLb0EEEEE10hipError_tT1_PNSt15iterator_traitsISH_E10value_typeET2_T3_PNSI_ISN_E10value_typeET4_T5_PSS_ST_PNS1_23onesweep_lookback_stateEbbT6_jjT7_P12ihipStream_tbENKUlT_T0_SH_SM_E_clISA_SB_SC_SC_EEDaS10_S11_SH_SM_EUlS10_E_NS1_11comp_targetILNS1_3genE3ELNS1_11target_archE908ELNS1_3gpuE7ELNS1_3repE0EEENS1_47radix_sort_onesweep_sort_config_static_selectorELNS0_4arch9wavefront6targetE0EEEvSH_
; %bb.0:
	.section	.rodata,"a",@progbits
	.p2align	6, 0x0
	.amdhsa_kernel _ZN7rocprim17ROCPRIM_400000_NS6detail17trampoline_kernelINS0_14default_configENS1_35radix_sort_onesweep_config_selectorI6__halfNS0_10empty_typeEEEZZNS1_29radix_sort_onesweep_iterationIS3_Lb1EPKS5_PS5_PS6_SC_mNS0_19identity_decomposerENS1_16block_id_wrapperIjLb0EEEEE10hipError_tT1_PNSt15iterator_traitsISH_E10value_typeET2_T3_PNSI_ISN_E10value_typeET4_T5_PSS_ST_PNS1_23onesweep_lookback_stateEbbT6_jjT7_P12ihipStream_tbENKUlT_T0_SH_SM_E_clISA_SB_SC_SC_EEDaS10_S11_SH_SM_EUlS10_E_NS1_11comp_targetILNS1_3genE3ELNS1_11target_archE908ELNS1_3gpuE7ELNS1_3repE0EEENS1_47radix_sort_onesweep_sort_config_static_selectorELNS0_4arch9wavefront6targetE0EEEvSH_
		.amdhsa_group_segment_fixed_size 0
		.amdhsa_private_segment_fixed_size 0
		.amdhsa_kernarg_size 88
		.amdhsa_user_sgpr_count 2
		.amdhsa_user_sgpr_dispatch_ptr 0
		.amdhsa_user_sgpr_queue_ptr 0
		.amdhsa_user_sgpr_kernarg_segment_ptr 1
		.amdhsa_user_sgpr_dispatch_id 0
		.amdhsa_user_sgpr_kernarg_preload_length 0
		.amdhsa_user_sgpr_kernarg_preload_offset 0
		.amdhsa_user_sgpr_private_segment_size 0
		.amdhsa_wavefront_size32 1
		.amdhsa_uses_dynamic_stack 0
		.amdhsa_enable_private_segment 0
		.amdhsa_system_sgpr_workgroup_id_x 1
		.amdhsa_system_sgpr_workgroup_id_y 0
		.amdhsa_system_sgpr_workgroup_id_z 0
		.amdhsa_system_sgpr_workgroup_info 0
		.amdhsa_system_vgpr_workitem_id 0
		.amdhsa_next_free_vgpr 1
		.amdhsa_next_free_sgpr 1
		.amdhsa_named_barrier_count 0
		.amdhsa_reserve_vcc 0
		.amdhsa_float_round_mode_32 0
		.amdhsa_float_round_mode_16_64 0
		.amdhsa_float_denorm_mode_32 3
		.amdhsa_float_denorm_mode_16_64 3
		.amdhsa_fp16_overflow 0
		.amdhsa_memory_ordered 1
		.amdhsa_forward_progress 1
		.amdhsa_inst_pref_size 0
		.amdhsa_round_robin_scheduling 0
		.amdhsa_exception_fp_ieee_invalid_op 0
		.amdhsa_exception_fp_denorm_src 0
		.amdhsa_exception_fp_ieee_div_zero 0
		.amdhsa_exception_fp_ieee_overflow 0
		.amdhsa_exception_fp_ieee_underflow 0
		.amdhsa_exception_fp_ieee_inexact 0
		.amdhsa_exception_int_div_zero 0
	.end_amdhsa_kernel
	.section	.text._ZN7rocprim17ROCPRIM_400000_NS6detail17trampoline_kernelINS0_14default_configENS1_35radix_sort_onesweep_config_selectorI6__halfNS0_10empty_typeEEEZZNS1_29radix_sort_onesweep_iterationIS3_Lb1EPKS5_PS5_PS6_SC_mNS0_19identity_decomposerENS1_16block_id_wrapperIjLb0EEEEE10hipError_tT1_PNSt15iterator_traitsISH_E10value_typeET2_T3_PNSI_ISN_E10value_typeET4_T5_PSS_ST_PNS1_23onesweep_lookback_stateEbbT6_jjT7_P12ihipStream_tbENKUlT_T0_SH_SM_E_clISA_SB_SC_SC_EEDaS10_S11_SH_SM_EUlS10_E_NS1_11comp_targetILNS1_3genE3ELNS1_11target_archE908ELNS1_3gpuE7ELNS1_3repE0EEENS1_47radix_sort_onesweep_sort_config_static_selectorELNS0_4arch9wavefront6targetE0EEEvSH_,"axG",@progbits,_ZN7rocprim17ROCPRIM_400000_NS6detail17trampoline_kernelINS0_14default_configENS1_35radix_sort_onesweep_config_selectorI6__halfNS0_10empty_typeEEEZZNS1_29radix_sort_onesweep_iterationIS3_Lb1EPKS5_PS5_PS6_SC_mNS0_19identity_decomposerENS1_16block_id_wrapperIjLb0EEEEE10hipError_tT1_PNSt15iterator_traitsISH_E10value_typeET2_T3_PNSI_ISN_E10value_typeET4_T5_PSS_ST_PNS1_23onesweep_lookback_stateEbbT6_jjT7_P12ihipStream_tbENKUlT_T0_SH_SM_E_clISA_SB_SC_SC_EEDaS10_S11_SH_SM_EUlS10_E_NS1_11comp_targetILNS1_3genE3ELNS1_11target_archE908ELNS1_3gpuE7ELNS1_3repE0EEENS1_47radix_sort_onesweep_sort_config_static_selectorELNS0_4arch9wavefront6targetE0EEEvSH_,comdat
.Lfunc_end2186:
	.size	_ZN7rocprim17ROCPRIM_400000_NS6detail17trampoline_kernelINS0_14default_configENS1_35radix_sort_onesweep_config_selectorI6__halfNS0_10empty_typeEEEZZNS1_29radix_sort_onesweep_iterationIS3_Lb1EPKS5_PS5_PS6_SC_mNS0_19identity_decomposerENS1_16block_id_wrapperIjLb0EEEEE10hipError_tT1_PNSt15iterator_traitsISH_E10value_typeET2_T3_PNSI_ISN_E10value_typeET4_T5_PSS_ST_PNS1_23onesweep_lookback_stateEbbT6_jjT7_P12ihipStream_tbENKUlT_T0_SH_SM_E_clISA_SB_SC_SC_EEDaS10_S11_SH_SM_EUlS10_E_NS1_11comp_targetILNS1_3genE3ELNS1_11target_archE908ELNS1_3gpuE7ELNS1_3repE0EEENS1_47radix_sort_onesweep_sort_config_static_selectorELNS0_4arch9wavefront6targetE0EEEvSH_, .Lfunc_end2186-_ZN7rocprim17ROCPRIM_400000_NS6detail17trampoline_kernelINS0_14default_configENS1_35radix_sort_onesweep_config_selectorI6__halfNS0_10empty_typeEEEZZNS1_29radix_sort_onesweep_iterationIS3_Lb1EPKS5_PS5_PS6_SC_mNS0_19identity_decomposerENS1_16block_id_wrapperIjLb0EEEEE10hipError_tT1_PNSt15iterator_traitsISH_E10value_typeET2_T3_PNSI_ISN_E10value_typeET4_T5_PSS_ST_PNS1_23onesweep_lookback_stateEbbT6_jjT7_P12ihipStream_tbENKUlT_T0_SH_SM_E_clISA_SB_SC_SC_EEDaS10_S11_SH_SM_EUlS10_E_NS1_11comp_targetILNS1_3genE3ELNS1_11target_archE908ELNS1_3gpuE7ELNS1_3repE0EEENS1_47radix_sort_onesweep_sort_config_static_selectorELNS0_4arch9wavefront6targetE0EEEvSH_
                                        ; -- End function
	.set _ZN7rocprim17ROCPRIM_400000_NS6detail17trampoline_kernelINS0_14default_configENS1_35radix_sort_onesweep_config_selectorI6__halfNS0_10empty_typeEEEZZNS1_29radix_sort_onesweep_iterationIS3_Lb1EPKS5_PS5_PS6_SC_mNS0_19identity_decomposerENS1_16block_id_wrapperIjLb0EEEEE10hipError_tT1_PNSt15iterator_traitsISH_E10value_typeET2_T3_PNSI_ISN_E10value_typeET4_T5_PSS_ST_PNS1_23onesweep_lookback_stateEbbT6_jjT7_P12ihipStream_tbENKUlT_T0_SH_SM_E_clISA_SB_SC_SC_EEDaS10_S11_SH_SM_EUlS10_E_NS1_11comp_targetILNS1_3genE3ELNS1_11target_archE908ELNS1_3gpuE7ELNS1_3repE0EEENS1_47radix_sort_onesweep_sort_config_static_selectorELNS0_4arch9wavefront6targetE0EEEvSH_.num_vgpr, 0
	.set _ZN7rocprim17ROCPRIM_400000_NS6detail17trampoline_kernelINS0_14default_configENS1_35radix_sort_onesweep_config_selectorI6__halfNS0_10empty_typeEEEZZNS1_29radix_sort_onesweep_iterationIS3_Lb1EPKS5_PS5_PS6_SC_mNS0_19identity_decomposerENS1_16block_id_wrapperIjLb0EEEEE10hipError_tT1_PNSt15iterator_traitsISH_E10value_typeET2_T3_PNSI_ISN_E10value_typeET4_T5_PSS_ST_PNS1_23onesweep_lookback_stateEbbT6_jjT7_P12ihipStream_tbENKUlT_T0_SH_SM_E_clISA_SB_SC_SC_EEDaS10_S11_SH_SM_EUlS10_E_NS1_11comp_targetILNS1_3genE3ELNS1_11target_archE908ELNS1_3gpuE7ELNS1_3repE0EEENS1_47radix_sort_onesweep_sort_config_static_selectorELNS0_4arch9wavefront6targetE0EEEvSH_.num_agpr, 0
	.set _ZN7rocprim17ROCPRIM_400000_NS6detail17trampoline_kernelINS0_14default_configENS1_35radix_sort_onesweep_config_selectorI6__halfNS0_10empty_typeEEEZZNS1_29radix_sort_onesweep_iterationIS3_Lb1EPKS5_PS5_PS6_SC_mNS0_19identity_decomposerENS1_16block_id_wrapperIjLb0EEEEE10hipError_tT1_PNSt15iterator_traitsISH_E10value_typeET2_T3_PNSI_ISN_E10value_typeET4_T5_PSS_ST_PNS1_23onesweep_lookback_stateEbbT6_jjT7_P12ihipStream_tbENKUlT_T0_SH_SM_E_clISA_SB_SC_SC_EEDaS10_S11_SH_SM_EUlS10_E_NS1_11comp_targetILNS1_3genE3ELNS1_11target_archE908ELNS1_3gpuE7ELNS1_3repE0EEENS1_47radix_sort_onesweep_sort_config_static_selectorELNS0_4arch9wavefront6targetE0EEEvSH_.numbered_sgpr, 0
	.set _ZN7rocprim17ROCPRIM_400000_NS6detail17trampoline_kernelINS0_14default_configENS1_35radix_sort_onesweep_config_selectorI6__halfNS0_10empty_typeEEEZZNS1_29radix_sort_onesweep_iterationIS3_Lb1EPKS5_PS5_PS6_SC_mNS0_19identity_decomposerENS1_16block_id_wrapperIjLb0EEEEE10hipError_tT1_PNSt15iterator_traitsISH_E10value_typeET2_T3_PNSI_ISN_E10value_typeET4_T5_PSS_ST_PNS1_23onesweep_lookback_stateEbbT6_jjT7_P12ihipStream_tbENKUlT_T0_SH_SM_E_clISA_SB_SC_SC_EEDaS10_S11_SH_SM_EUlS10_E_NS1_11comp_targetILNS1_3genE3ELNS1_11target_archE908ELNS1_3gpuE7ELNS1_3repE0EEENS1_47radix_sort_onesweep_sort_config_static_selectorELNS0_4arch9wavefront6targetE0EEEvSH_.num_named_barrier, 0
	.set _ZN7rocprim17ROCPRIM_400000_NS6detail17trampoline_kernelINS0_14default_configENS1_35radix_sort_onesweep_config_selectorI6__halfNS0_10empty_typeEEEZZNS1_29radix_sort_onesweep_iterationIS3_Lb1EPKS5_PS5_PS6_SC_mNS0_19identity_decomposerENS1_16block_id_wrapperIjLb0EEEEE10hipError_tT1_PNSt15iterator_traitsISH_E10value_typeET2_T3_PNSI_ISN_E10value_typeET4_T5_PSS_ST_PNS1_23onesweep_lookback_stateEbbT6_jjT7_P12ihipStream_tbENKUlT_T0_SH_SM_E_clISA_SB_SC_SC_EEDaS10_S11_SH_SM_EUlS10_E_NS1_11comp_targetILNS1_3genE3ELNS1_11target_archE908ELNS1_3gpuE7ELNS1_3repE0EEENS1_47radix_sort_onesweep_sort_config_static_selectorELNS0_4arch9wavefront6targetE0EEEvSH_.private_seg_size, 0
	.set _ZN7rocprim17ROCPRIM_400000_NS6detail17trampoline_kernelINS0_14default_configENS1_35radix_sort_onesweep_config_selectorI6__halfNS0_10empty_typeEEEZZNS1_29radix_sort_onesweep_iterationIS3_Lb1EPKS5_PS5_PS6_SC_mNS0_19identity_decomposerENS1_16block_id_wrapperIjLb0EEEEE10hipError_tT1_PNSt15iterator_traitsISH_E10value_typeET2_T3_PNSI_ISN_E10value_typeET4_T5_PSS_ST_PNS1_23onesweep_lookback_stateEbbT6_jjT7_P12ihipStream_tbENKUlT_T0_SH_SM_E_clISA_SB_SC_SC_EEDaS10_S11_SH_SM_EUlS10_E_NS1_11comp_targetILNS1_3genE3ELNS1_11target_archE908ELNS1_3gpuE7ELNS1_3repE0EEENS1_47radix_sort_onesweep_sort_config_static_selectorELNS0_4arch9wavefront6targetE0EEEvSH_.uses_vcc, 0
	.set _ZN7rocprim17ROCPRIM_400000_NS6detail17trampoline_kernelINS0_14default_configENS1_35radix_sort_onesweep_config_selectorI6__halfNS0_10empty_typeEEEZZNS1_29radix_sort_onesweep_iterationIS3_Lb1EPKS5_PS5_PS6_SC_mNS0_19identity_decomposerENS1_16block_id_wrapperIjLb0EEEEE10hipError_tT1_PNSt15iterator_traitsISH_E10value_typeET2_T3_PNSI_ISN_E10value_typeET4_T5_PSS_ST_PNS1_23onesweep_lookback_stateEbbT6_jjT7_P12ihipStream_tbENKUlT_T0_SH_SM_E_clISA_SB_SC_SC_EEDaS10_S11_SH_SM_EUlS10_E_NS1_11comp_targetILNS1_3genE3ELNS1_11target_archE908ELNS1_3gpuE7ELNS1_3repE0EEENS1_47radix_sort_onesweep_sort_config_static_selectorELNS0_4arch9wavefront6targetE0EEEvSH_.uses_flat_scratch, 0
	.set _ZN7rocprim17ROCPRIM_400000_NS6detail17trampoline_kernelINS0_14default_configENS1_35radix_sort_onesweep_config_selectorI6__halfNS0_10empty_typeEEEZZNS1_29radix_sort_onesweep_iterationIS3_Lb1EPKS5_PS5_PS6_SC_mNS0_19identity_decomposerENS1_16block_id_wrapperIjLb0EEEEE10hipError_tT1_PNSt15iterator_traitsISH_E10value_typeET2_T3_PNSI_ISN_E10value_typeET4_T5_PSS_ST_PNS1_23onesweep_lookback_stateEbbT6_jjT7_P12ihipStream_tbENKUlT_T0_SH_SM_E_clISA_SB_SC_SC_EEDaS10_S11_SH_SM_EUlS10_E_NS1_11comp_targetILNS1_3genE3ELNS1_11target_archE908ELNS1_3gpuE7ELNS1_3repE0EEENS1_47radix_sort_onesweep_sort_config_static_selectorELNS0_4arch9wavefront6targetE0EEEvSH_.has_dyn_sized_stack, 0
	.set _ZN7rocprim17ROCPRIM_400000_NS6detail17trampoline_kernelINS0_14default_configENS1_35radix_sort_onesweep_config_selectorI6__halfNS0_10empty_typeEEEZZNS1_29radix_sort_onesweep_iterationIS3_Lb1EPKS5_PS5_PS6_SC_mNS0_19identity_decomposerENS1_16block_id_wrapperIjLb0EEEEE10hipError_tT1_PNSt15iterator_traitsISH_E10value_typeET2_T3_PNSI_ISN_E10value_typeET4_T5_PSS_ST_PNS1_23onesweep_lookback_stateEbbT6_jjT7_P12ihipStream_tbENKUlT_T0_SH_SM_E_clISA_SB_SC_SC_EEDaS10_S11_SH_SM_EUlS10_E_NS1_11comp_targetILNS1_3genE3ELNS1_11target_archE908ELNS1_3gpuE7ELNS1_3repE0EEENS1_47radix_sort_onesweep_sort_config_static_selectorELNS0_4arch9wavefront6targetE0EEEvSH_.has_recursion, 0
	.set _ZN7rocprim17ROCPRIM_400000_NS6detail17trampoline_kernelINS0_14default_configENS1_35radix_sort_onesweep_config_selectorI6__halfNS0_10empty_typeEEEZZNS1_29radix_sort_onesweep_iterationIS3_Lb1EPKS5_PS5_PS6_SC_mNS0_19identity_decomposerENS1_16block_id_wrapperIjLb0EEEEE10hipError_tT1_PNSt15iterator_traitsISH_E10value_typeET2_T3_PNSI_ISN_E10value_typeET4_T5_PSS_ST_PNS1_23onesweep_lookback_stateEbbT6_jjT7_P12ihipStream_tbENKUlT_T0_SH_SM_E_clISA_SB_SC_SC_EEDaS10_S11_SH_SM_EUlS10_E_NS1_11comp_targetILNS1_3genE3ELNS1_11target_archE908ELNS1_3gpuE7ELNS1_3repE0EEENS1_47radix_sort_onesweep_sort_config_static_selectorELNS0_4arch9wavefront6targetE0EEEvSH_.has_indirect_call, 0
	.section	.AMDGPU.csdata,"",@progbits
; Kernel info:
; codeLenInByte = 0
; TotalNumSgprs: 0
; NumVgprs: 0
; ScratchSize: 0
; MemoryBound: 0
; FloatMode: 240
; IeeeMode: 1
; LDSByteSize: 0 bytes/workgroup (compile time only)
; SGPRBlocks: 0
; VGPRBlocks: 0
; NumSGPRsForWavesPerEU: 1
; NumVGPRsForWavesPerEU: 1
; NamedBarCnt: 0
; Occupancy: 16
; WaveLimiterHint : 0
; COMPUTE_PGM_RSRC2:SCRATCH_EN: 0
; COMPUTE_PGM_RSRC2:USER_SGPR: 2
; COMPUTE_PGM_RSRC2:TRAP_HANDLER: 0
; COMPUTE_PGM_RSRC2:TGID_X_EN: 1
; COMPUTE_PGM_RSRC2:TGID_Y_EN: 0
; COMPUTE_PGM_RSRC2:TGID_Z_EN: 0
; COMPUTE_PGM_RSRC2:TIDIG_COMP_CNT: 0
	.section	.text._ZN7rocprim17ROCPRIM_400000_NS6detail17trampoline_kernelINS0_14default_configENS1_35radix_sort_onesweep_config_selectorI6__halfNS0_10empty_typeEEEZZNS1_29radix_sort_onesweep_iterationIS3_Lb1EPKS5_PS5_PS6_SC_mNS0_19identity_decomposerENS1_16block_id_wrapperIjLb0EEEEE10hipError_tT1_PNSt15iterator_traitsISH_E10value_typeET2_T3_PNSI_ISN_E10value_typeET4_T5_PSS_ST_PNS1_23onesweep_lookback_stateEbbT6_jjT7_P12ihipStream_tbENKUlT_T0_SH_SM_E_clISA_SB_SC_SC_EEDaS10_S11_SH_SM_EUlS10_E_NS1_11comp_targetILNS1_3genE10ELNS1_11target_archE1201ELNS1_3gpuE5ELNS1_3repE0EEENS1_47radix_sort_onesweep_sort_config_static_selectorELNS0_4arch9wavefront6targetE0EEEvSH_,"axG",@progbits,_ZN7rocprim17ROCPRIM_400000_NS6detail17trampoline_kernelINS0_14default_configENS1_35radix_sort_onesweep_config_selectorI6__halfNS0_10empty_typeEEEZZNS1_29radix_sort_onesweep_iterationIS3_Lb1EPKS5_PS5_PS6_SC_mNS0_19identity_decomposerENS1_16block_id_wrapperIjLb0EEEEE10hipError_tT1_PNSt15iterator_traitsISH_E10value_typeET2_T3_PNSI_ISN_E10value_typeET4_T5_PSS_ST_PNS1_23onesweep_lookback_stateEbbT6_jjT7_P12ihipStream_tbENKUlT_T0_SH_SM_E_clISA_SB_SC_SC_EEDaS10_S11_SH_SM_EUlS10_E_NS1_11comp_targetILNS1_3genE10ELNS1_11target_archE1201ELNS1_3gpuE5ELNS1_3repE0EEENS1_47radix_sort_onesweep_sort_config_static_selectorELNS0_4arch9wavefront6targetE0EEEvSH_,comdat
	.protected	_ZN7rocprim17ROCPRIM_400000_NS6detail17trampoline_kernelINS0_14default_configENS1_35radix_sort_onesweep_config_selectorI6__halfNS0_10empty_typeEEEZZNS1_29radix_sort_onesweep_iterationIS3_Lb1EPKS5_PS5_PS6_SC_mNS0_19identity_decomposerENS1_16block_id_wrapperIjLb0EEEEE10hipError_tT1_PNSt15iterator_traitsISH_E10value_typeET2_T3_PNSI_ISN_E10value_typeET4_T5_PSS_ST_PNS1_23onesweep_lookback_stateEbbT6_jjT7_P12ihipStream_tbENKUlT_T0_SH_SM_E_clISA_SB_SC_SC_EEDaS10_S11_SH_SM_EUlS10_E_NS1_11comp_targetILNS1_3genE10ELNS1_11target_archE1201ELNS1_3gpuE5ELNS1_3repE0EEENS1_47radix_sort_onesweep_sort_config_static_selectorELNS0_4arch9wavefront6targetE0EEEvSH_ ; -- Begin function _ZN7rocprim17ROCPRIM_400000_NS6detail17trampoline_kernelINS0_14default_configENS1_35radix_sort_onesweep_config_selectorI6__halfNS0_10empty_typeEEEZZNS1_29radix_sort_onesweep_iterationIS3_Lb1EPKS5_PS5_PS6_SC_mNS0_19identity_decomposerENS1_16block_id_wrapperIjLb0EEEEE10hipError_tT1_PNSt15iterator_traitsISH_E10value_typeET2_T3_PNSI_ISN_E10value_typeET4_T5_PSS_ST_PNS1_23onesweep_lookback_stateEbbT6_jjT7_P12ihipStream_tbENKUlT_T0_SH_SM_E_clISA_SB_SC_SC_EEDaS10_S11_SH_SM_EUlS10_E_NS1_11comp_targetILNS1_3genE10ELNS1_11target_archE1201ELNS1_3gpuE5ELNS1_3repE0EEENS1_47radix_sort_onesweep_sort_config_static_selectorELNS0_4arch9wavefront6targetE0EEEvSH_
	.globl	_ZN7rocprim17ROCPRIM_400000_NS6detail17trampoline_kernelINS0_14default_configENS1_35radix_sort_onesweep_config_selectorI6__halfNS0_10empty_typeEEEZZNS1_29radix_sort_onesweep_iterationIS3_Lb1EPKS5_PS5_PS6_SC_mNS0_19identity_decomposerENS1_16block_id_wrapperIjLb0EEEEE10hipError_tT1_PNSt15iterator_traitsISH_E10value_typeET2_T3_PNSI_ISN_E10value_typeET4_T5_PSS_ST_PNS1_23onesweep_lookback_stateEbbT6_jjT7_P12ihipStream_tbENKUlT_T0_SH_SM_E_clISA_SB_SC_SC_EEDaS10_S11_SH_SM_EUlS10_E_NS1_11comp_targetILNS1_3genE10ELNS1_11target_archE1201ELNS1_3gpuE5ELNS1_3repE0EEENS1_47radix_sort_onesweep_sort_config_static_selectorELNS0_4arch9wavefront6targetE0EEEvSH_
	.p2align	8
	.type	_ZN7rocprim17ROCPRIM_400000_NS6detail17trampoline_kernelINS0_14default_configENS1_35radix_sort_onesweep_config_selectorI6__halfNS0_10empty_typeEEEZZNS1_29radix_sort_onesweep_iterationIS3_Lb1EPKS5_PS5_PS6_SC_mNS0_19identity_decomposerENS1_16block_id_wrapperIjLb0EEEEE10hipError_tT1_PNSt15iterator_traitsISH_E10value_typeET2_T3_PNSI_ISN_E10value_typeET4_T5_PSS_ST_PNS1_23onesweep_lookback_stateEbbT6_jjT7_P12ihipStream_tbENKUlT_T0_SH_SM_E_clISA_SB_SC_SC_EEDaS10_S11_SH_SM_EUlS10_E_NS1_11comp_targetILNS1_3genE10ELNS1_11target_archE1201ELNS1_3gpuE5ELNS1_3repE0EEENS1_47radix_sort_onesweep_sort_config_static_selectorELNS0_4arch9wavefront6targetE0EEEvSH_,@function
_ZN7rocprim17ROCPRIM_400000_NS6detail17trampoline_kernelINS0_14default_configENS1_35radix_sort_onesweep_config_selectorI6__halfNS0_10empty_typeEEEZZNS1_29radix_sort_onesweep_iterationIS3_Lb1EPKS5_PS5_PS6_SC_mNS0_19identity_decomposerENS1_16block_id_wrapperIjLb0EEEEE10hipError_tT1_PNSt15iterator_traitsISH_E10value_typeET2_T3_PNSI_ISN_E10value_typeET4_T5_PSS_ST_PNS1_23onesweep_lookback_stateEbbT6_jjT7_P12ihipStream_tbENKUlT_T0_SH_SM_E_clISA_SB_SC_SC_EEDaS10_S11_SH_SM_EUlS10_E_NS1_11comp_targetILNS1_3genE10ELNS1_11target_archE1201ELNS1_3gpuE5ELNS1_3repE0EEENS1_47radix_sort_onesweep_sort_config_static_selectorELNS0_4arch9wavefront6targetE0EEEvSH_: ; @_ZN7rocprim17ROCPRIM_400000_NS6detail17trampoline_kernelINS0_14default_configENS1_35radix_sort_onesweep_config_selectorI6__halfNS0_10empty_typeEEEZZNS1_29radix_sort_onesweep_iterationIS3_Lb1EPKS5_PS5_PS6_SC_mNS0_19identity_decomposerENS1_16block_id_wrapperIjLb0EEEEE10hipError_tT1_PNSt15iterator_traitsISH_E10value_typeET2_T3_PNSI_ISN_E10value_typeET4_T5_PSS_ST_PNS1_23onesweep_lookback_stateEbbT6_jjT7_P12ihipStream_tbENKUlT_T0_SH_SM_E_clISA_SB_SC_SC_EEDaS10_S11_SH_SM_EUlS10_E_NS1_11comp_targetILNS1_3genE10ELNS1_11target_archE1201ELNS1_3gpuE5ELNS1_3repE0EEENS1_47radix_sort_onesweep_sort_config_static_selectorELNS0_4arch9wavefront6targetE0EEEvSH_
; %bb.0:
	.section	.rodata,"a",@progbits
	.p2align	6, 0x0
	.amdhsa_kernel _ZN7rocprim17ROCPRIM_400000_NS6detail17trampoline_kernelINS0_14default_configENS1_35radix_sort_onesweep_config_selectorI6__halfNS0_10empty_typeEEEZZNS1_29radix_sort_onesweep_iterationIS3_Lb1EPKS5_PS5_PS6_SC_mNS0_19identity_decomposerENS1_16block_id_wrapperIjLb0EEEEE10hipError_tT1_PNSt15iterator_traitsISH_E10value_typeET2_T3_PNSI_ISN_E10value_typeET4_T5_PSS_ST_PNS1_23onesweep_lookback_stateEbbT6_jjT7_P12ihipStream_tbENKUlT_T0_SH_SM_E_clISA_SB_SC_SC_EEDaS10_S11_SH_SM_EUlS10_E_NS1_11comp_targetILNS1_3genE10ELNS1_11target_archE1201ELNS1_3gpuE5ELNS1_3repE0EEENS1_47radix_sort_onesweep_sort_config_static_selectorELNS0_4arch9wavefront6targetE0EEEvSH_
		.amdhsa_group_segment_fixed_size 0
		.amdhsa_private_segment_fixed_size 0
		.amdhsa_kernarg_size 88
		.amdhsa_user_sgpr_count 2
		.amdhsa_user_sgpr_dispatch_ptr 0
		.amdhsa_user_sgpr_queue_ptr 0
		.amdhsa_user_sgpr_kernarg_segment_ptr 1
		.amdhsa_user_sgpr_dispatch_id 0
		.amdhsa_user_sgpr_kernarg_preload_length 0
		.amdhsa_user_sgpr_kernarg_preload_offset 0
		.amdhsa_user_sgpr_private_segment_size 0
		.amdhsa_wavefront_size32 1
		.amdhsa_uses_dynamic_stack 0
		.amdhsa_enable_private_segment 0
		.amdhsa_system_sgpr_workgroup_id_x 1
		.amdhsa_system_sgpr_workgroup_id_y 0
		.amdhsa_system_sgpr_workgroup_id_z 0
		.amdhsa_system_sgpr_workgroup_info 0
		.amdhsa_system_vgpr_workitem_id 0
		.amdhsa_next_free_vgpr 1
		.amdhsa_next_free_sgpr 1
		.amdhsa_named_barrier_count 0
		.amdhsa_reserve_vcc 0
		.amdhsa_float_round_mode_32 0
		.amdhsa_float_round_mode_16_64 0
		.amdhsa_float_denorm_mode_32 3
		.amdhsa_float_denorm_mode_16_64 3
		.amdhsa_fp16_overflow 0
		.amdhsa_memory_ordered 1
		.amdhsa_forward_progress 1
		.amdhsa_inst_pref_size 0
		.amdhsa_round_robin_scheduling 0
		.amdhsa_exception_fp_ieee_invalid_op 0
		.amdhsa_exception_fp_denorm_src 0
		.amdhsa_exception_fp_ieee_div_zero 0
		.amdhsa_exception_fp_ieee_overflow 0
		.amdhsa_exception_fp_ieee_underflow 0
		.amdhsa_exception_fp_ieee_inexact 0
		.amdhsa_exception_int_div_zero 0
	.end_amdhsa_kernel
	.section	.text._ZN7rocprim17ROCPRIM_400000_NS6detail17trampoline_kernelINS0_14default_configENS1_35radix_sort_onesweep_config_selectorI6__halfNS0_10empty_typeEEEZZNS1_29radix_sort_onesweep_iterationIS3_Lb1EPKS5_PS5_PS6_SC_mNS0_19identity_decomposerENS1_16block_id_wrapperIjLb0EEEEE10hipError_tT1_PNSt15iterator_traitsISH_E10value_typeET2_T3_PNSI_ISN_E10value_typeET4_T5_PSS_ST_PNS1_23onesweep_lookback_stateEbbT6_jjT7_P12ihipStream_tbENKUlT_T0_SH_SM_E_clISA_SB_SC_SC_EEDaS10_S11_SH_SM_EUlS10_E_NS1_11comp_targetILNS1_3genE10ELNS1_11target_archE1201ELNS1_3gpuE5ELNS1_3repE0EEENS1_47radix_sort_onesweep_sort_config_static_selectorELNS0_4arch9wavefront6targetE0EEEvSH_,"axG",@progbits,_ZN7rocprim17ROCPRIM_400000_NS6detail17trampoline_kernelINS0_14default_configENS1_35radix_sort_onesweep_config_selectorI6__halfNS0_10empty_typeEEEZZNS1_29radix_sort_onesweep_iterationIS3_Lb1EPKS5_PS5_PS6_SC_mNS0_19identity_decomposerENS1_16block_id_wrapperIjLb0EEEEE10hipError_tT1_PNSt15iterator_traitsISH_E10value_typeET2_T3_PNSI_ISN_E10value_typeET4_T5_PSS_ST_PNS1_23onesweep_lookback_stateEbbT6_jjT7_P12ihipStream_tbENKUlT_T0_SH_SM_E_clISA_SB_SC_SC_EEDaS10_S11_SH_SM_EUlS10_E_NS1_11comp_targetILNS1_3genE10ELNS1_11target_archE1201ELNS1_3gpuE5ELNS1_3repE0EEENS1_47radix_sort_onesweep_sort_config_static_selectorELNS0_4arch9wavefront6targetE0EEEvSH_,comdat
.Lfunc_end2187:
	.size	_ZN7rocprim17ROCPRIM_400000_NS6detail17trampoline_kernelINS0_14default_configENS1_35radix_sort_onesweep_config_selectorI6__halfNS0_10empty_typeEEEZZNS1_29radix_sort_onesweep_iterationIS3_Lb1EPKS5_PS5_PS6_SC_mNS0_19identity_decomposerENS1_16block_id_wrapperIjLb0EEEEE10hipError_tT1_PNSt15iterator_traitsISH_E10value_typeET2_T3_PNSI_ISN_E10value_typeET4_T5_PSS_ST_PNS1_23onesweep_lookback_stateEbbT6_jjT7_P12ihipStream_tbENKUlT_T0_SH_SM_E_clISA_SB_SC_SC_EEDaS10_S11_SH_SM_EUlS10_E_NS1_11comp_targetILNS1_3genE10ELNS1_11target_archE1201ELNS1_3gpuE5ELNS1_3repE0EEENS1_47radix_sort_onesweep_sort_config_static_selectorELNS0_4arch9wavefront6targetE0EEEvSH_, .Lfunc_end2187-_ZN7rocprim17ROCPRIM_400000_NS6detail17trampoline_kernelINS0_14default_configENS1_35radix_sort_onesweep_config_selectorI6__halfNS0_10empty_typeEEEZZNS1_29radix_sort_onesweep_iterationIS3_Lb1EPKS5_PS5_PS6_SC_mNS0_19identity_decomposerENS1_16block_id_wrapperIjLb0EEEEE10hipError_tT1_PNSt15iterator_traitsISH_E10value_typeET2_T3_PNSI_ISN_E10value_typeET4_T5_PSS_ST_PNS1_23onesweep_lookback_stateEbbT6_jjT7_P12ihipStream_tbENKUlT_T0_SH_SM_E_clISA_SB_SC_SC_EEDaS10_S11_SH_SM_EUlS10_E_NS1_11comp_targetILNS1_3genE10ELNS1_11target_archE1201ELNS1_3gpuE5ELNS1_3repE0EEENS1_47radix_sort_onesweep_sort_config_static_selectorELNS0_4arch9wavefront6targetE0EEEvSH_
                                        ; -- End function
	.set _ZN7rocprim17ROCPRIM_400000_NS6detail17trampoline_kernelINS0_14default_configENS1_35radix_sort_onesweep_config_selectorI6__halfNS0_10empty_typeEEEZZNS1_29radix_sort_onesweep_iterationIS3_Lb1EPKS5_PS5_PS6_SC_mNS0_19identity_decomposerENS1_16block_id_wrapperIjLb0EEEEE10hipError_tT1_PNSt15iterator_traitsISH_E10value_typeET2_T3_PNSI_ISN_E10value_typeET4_T5_PSS_ST_PNS1_23onesweep_lookback_stateEbbT6_jjT7_P12ihipStream_tbENKUlT_T0_SH_SM_E_clISA_SB_SC_SC_EEDaS10_S11_SH_SM_EUlS10_E_NS1_11comp_targetILNS1_3genE10ELNS1_11target_archE1201ELNS1_3gpuE5ELNS1_3repE0EEENS1_47radix_sort_onesweep_sort_config_static_selectorELNS0_4arch9wavefront6targetE0EEEvSH_.num_vgpr, 0
	.set _ZN7rocprim17ROCPRIM_400000_NS6detail17trampoline_kernelINS0_14default_configENS1_35radix_sort_onesweep_config_selectorI6__halfNS0_10empty_typeEEEZZNS1_29radix_sort_onesweep_iterationIS3_Lb1EPKS5_PS5_PS6_SC_mNS0_19identity_decomposerENS1_16block_id_wrapperIjLb0EEEEE10hipError_tT1_PNSt15iterator_traitsISH_E10value_typeET2_T3_PNSI_ISN_E10value_typeET4_T5_PSS_ST_PNS1_23onesweep_lookback_stateEbbT6_jjT7_P12ihipStream_tbENKUlT_T0_SH_SM_E_clISA_SB_SC_SC_EEDaS10_S11_SH_SM_EUlS10_E_NS1_11comp_targetILNS1_3genE10ELNS1_11target_archE1201ELNS1_3gpuE5ELNS1_3repE0EEENS1_47radix_sort_onesweep_sort_config_static_selectorELNS0_4arch9wavefront6targetE0EEEvSH_.num_agpr, 0
	.set _ZN7rocprim17ROCPRIM_400000_NS6detail17trampoline_kernelINS0_14default_configENS1_35radix_sort_onesweep_config_selectorI6__halfNS0_10empty_typeEEEZZNS1_29radix_sort_onesweep_iterationIS3_Lb1EPKS5_PS5_PS6_SC_mNS0_19identity_decomposerENS1_16block_id_wrapperIjLb0EEEEE10hipError_tT1_PNSt15iterator_traitsISH_E10value_typeET2_T3_PNSI_ISN_E10value_typeET4_T5_PSS_ST_PNS1_23onesweep_lookback_stateEbbT6_jjT7_P12ihipStream_tbENKUlT_T0_SH_SM_E_clISA_SB_SC_SC_EEDaS10_S11_SH_SM_EUlS10_E_NS1_11comp_targetILNS1_3genE10ELNS1_11target_archE1201ELNS1_3gpuE5ELNS1_3repE0EEENS1_47radix_sort_onesweep_sort_config_static_selectorELNS0_4arch9wavefront6targetE0EEEvSH_.numbered_sgpr, 0
	.set _ZN7rocprim17ROCPRIM_400000_NS6detail17trampoline_kernelINS0_14default_configENS1_35radix_sort_onesweep_config_selectorI6__halfNS0_10empty_typeEEEZZNS1_29radix_sort_onesweep_iterationIS3_Lb1EPKS5_PS5_PS6_SC_mNS0_19identity_decomposerENS1_16block_id_wrapperIjLb0EEEEE10hipError_tT1_PNSt15iterator_traitsISH_E10value_typeET2_T3_PNSI_ISN_E10value_typeET4_T5_PSS_ST_PNS1_23onesweep_lookback_stateEbbT6_jjT7_P12ihipStream_tbENKUlT_T0_SH_SM_E_clISA_SB_SC_SC_EEDaS10_S11_SH_SM_EUlS10_E_NS1_11comp_targetILNS1_3genE10ELNS1_11target_archE1201ELNS1_3gpuE5ELNS1_3repE0EEENS1_47radix_sort_onesweep_sort_config_static_selectorELNS0_4arch9wavefront6targetE0EEEvSH_.num_named_barrier, 0
	.set _ZN7rocprim17ROCPRIM_400000_NS6detail17trampoline_kernelINS0_14default_configENS1_35radix_sort_onesweep_config_selectorI6__halfNS0_10empty_typeEEEZZNS1_29radix_sort_onesweep_iterationIS3_Lb1EPKS5_PS5_PS6_SC_mNS0_19identity_decomposerENS1_16block_id_wrapperIjLb0EEEEE10hipError_tT1_PNSt15iterator_traitsISH_E10value_typeET2_T3_PNSI_ISN_E10value_typeET4_T5_PSS_ST_PNS1_23onesweep_lookback_stateEbbT6_jjT7_P12ihipStream_tbENKUlT_T0_SH_SM_E_clISA_SB_SC_SC_EEDaS10_S11_SH_SM_EUlS10_E_NS1_11comp_targetILNS1_3genE10ELNS1_11target_archE1201ELNS1_3gpuE5ELNS1_3repE0EEENS1_47radix_sort_onesweep_sort_config_static_selectorELNS0_4arch9wavefront6targetE0EEEvSH_.private_seg_size, 0
	.set _ZN7rocprim17ROCPRIM_400000_NS6detail17trampoline_kernelINS0_14default_configENS1_35radix_sort_onesweep_config_selectorI6__halfNS0_10empty_typeEEEZZNS1_29radix_sort_onesweep_iterationIS3_Lb1EPKS5_PS5_PS6_SC_mNS0_19identity_decomposerENS1_16block_id_wrapperIjLb0EEEEE10hipError_tT1_PNSt15iterator_traitsISH_E10value_typeET2_T3_PNSI_ISN_E10value_typeET4_T5_PSS_ST_PNS1_23onesweep_lookback_stateEbbT6_jjT7_P12ihipStream_tbENKUlT_T0_SH_SM_E_clISA_SB_SC_SC_EEDaS10_S11_SH_SM_EUlS10_E_NS1_11comp_targetILNS1_3genE10ELNS1_11target_archE1201ELNS1_3gpuE5ELNS1_3repE0EEENS1_47radix_sort_onesweep_sort_config_static_selectorELNS0_4arch9wavefront6targetE0EEEvSH_.uses_vcc, 0
	.set _ZN7rocprim17ROCPRIM_400000_NS6detail17trampoline_kernelINS0_14default_configENS1_35radix_sort_onesweep_config_selectorI6__halfNS0_10empty_typeEEEZZNS1_29radix_sort_onesweep_iterationIS3_Lb1EPKS5_PS5_PS6_SC_mNS0_19identity_decomposerENS1_16block_id_wrapperIjLb0EEEEE10hipError_tT1_PNSt15iterator_traitsISH_E10value_typeET2_T3_PNSI_ISN_E10value_typeET4_T5_PSS_ST_PNS1_23onesweep_lookback_stateEbbT6_jjT7_P12ihipStream_tbENKUlT_T0_SH_SM_E_clISA_SB_SC_SC_EEDaS10_S11_SH_SM_EUlS10_E_NS1_11comp_targetILNS1_3genE10ELNS1_11target_archE1201ELNS1_3gpuE5ELNS1_3repE0EEENS1_47radix_sort_onesweep_sort_config_static_selectorELNS0_4arch9wavefront6targetE0EEEvSH_.uses_flat_scratch, 0
	.set _ZN7rocprim17ROCPRIM_400000_NS6detail17trampoline_kernelINS0_14default_configENS1_35radix_sort_onesweep_config_selectorI6__halfNS0_10empty_typeEEEZZNS1_29radix_sort_onesweep_iterationIS3_Lb1EPKS5_PS5_PS6_SC_mNS0_19identity_decomposerENS1_16block_id_wrapperIjLb0EEEEE10hipError_tT1_PNSt15iterator_traitsISH_E10value_typeET2_T3_PNSI_ISN_E10value_typeET4_T5_PSS_ST_PNS1_23onesweep_lookback_stateEbbT6_jjT7_P12ihipStream_tbENKUlT_T0_SH_SM_E_clISA_SB_SC_SC_EEDaS10_S11_SH_SM_EUlS10_E_NS1_11comp_targetILNS1_3genE10ELNS1_11target_archE1201ELNS1_3gpuE5ELNS1_3repE0EEENS1_47radix_sort_onesweep_sort_config_static_selectorELNS0_4arch9wavefront6targetE0EEEvSH_.has_dyn_sized_stack, 0
	.set _ZN7rocprim17ROCPRIM_400000_NS6detail17trampoline_kernelINS0_14default_configENS1_35radix_sort_onesweep_config_selectorI6__halfNS0_10empty_typeEEEZZNS1_29radix_sort_onesweep_iterationIS3_Lb1EPKS5_PS5_PS6_SC_mNS0_19identity_decomposerENS1_16block_id_wrapperIjLb0EEEEE10hipError_tT1_PNSt15iterator_traitsISH_E10value_typeET2_T3_PNSI_ISN_E10value_typeET4_T5_PSS_ST_PNS1_23onesweep_lookback_stateEbbT6_jjT7_P12ihipStream_tbENKUlT_T0_SH_SM_E_clISA_SB_SC_SC_EEDaS10_S11_SH_SM_EUlS10_E_NS1_11comp_targetILNS1_3genE10ELNS1_11target_archE1201ELNS1_3gpuE5ELNS1_3repE0EEENS1_47radix_sort_onesweep_sort_config_static_selectorELNS0_4arch9wavefront6targetE0EEEvSH_.has_recursion, 0
	.set _ZN7rocprim17ROCPRIM_400000_NS6detail17trampoline_kernelINS0_14default_configENS1_35radix_sort_onesweep_config_selectorI6__halfNS0_10empty_typeEEEZZNS1_29radix_sort_onesweep_iterationIS3_Lb1EPKS5_PS5_PS6_SC_mNS0_19identity_decomposerENS1_16block_id_wrapperIjLb0EEEEE10hipError_tT1_PNSt15iterator_traitsISH_E10value_typeET2_T3_PNSI_ISN_E10value_typeET4_T5_PSS_ST_PNS1_23onesweep_lookback_stateEbbT6_jjT7_P12ihipStream_tbENKUlT_T0_SH_SM_E_clISA_SB_SC_SC_EEDaS10_S11_SH_SM_EUlS10_E_NS1_11comp_targetILNS1_3genE10ELNS1_11target_archE1201ELNS1_3gpuE5ELNS1_3repE0EEENS1_47radix_sort_onesweep_sort_config_static_selectorELNS0_4arch9wavefront6targetE0EEEvSH_.has_indirect_call, 0
	.section	.AMDGPU.csdata,"",@progbits
; Kernel info:
; codeLenInByte = 0
; TotalNumSgprs: 0
; NumVgprs: 0
; ScratchSize: 0
; MemoryBound: 0
; FloatMode: 240
; IeeeMode: 1
; LDSByteSize: 0 bytes/workgroup (compile time only)
; SGPRBlocks: 0
; VGPRBlocks: 0
; NumSGPRsForWavesPerEU: 1
; NumVGPRsForWavesPerEU: 1
; NamedBarCnt: 0
; Occupancy: 16
; WaveLimiterHint : 0
; COMPUTE_PGM_RSRC2:SCRATCH_EN: 0
; COMPUTE_PGM_RSRC2:USER_SGPR: 2
; COMPUTE_PGM_RSRC2:TRAP_HANDLER: 0
; COMPUTE_PGM_RSRC2:TGID_X_EN: 1
; COMPUTE_PGM_RSRC2:TGID_Y_EN: 0
; COMPUTE_PGM_RSRC2:TGID_Z_EN: 0
; COMPUTE_PGM_RSRC2:TIDIG_COMP_CNT: 0
	.section	.text._ZN7rocprim17ROCPRIM_400000_NS6detail17trampoline_kernelINS0_14default_configENS1_35radix_sort_onesweep_config_selectorI6__halfNS0_10empty_typeEEEZZNS1_29radix_sort_onesweep_iterationIS3_Lb1EPKS5_PS5_PS6_SC_mNS0_19identity_decomposerENS1_16block_id_wrapperIjLb0EEEEE10hipError_tT1_PNSt15iterator_traitsISH_E10value_typeET2_T3_PNSI_ISN_E10value_typeET4_T5_PSS_ST_PNS1_23onesweep_lookback_stateEbbT6_jjT7_P12ihipStream_tbENKUlT_T0_SH_SM_E_clISA_SB_SC_SC_EEDaS10_S11_SH_SM_EUlS10_E_NS1_11comp_targetILNS1_3genE9ELNS1_11target_archE1100ELNS1_3gpuE3ELNS1_3repE0EEENS1_47radix_sort_onesweep_sort_config_static_selectorELNS0_4arch9wavefront6targetE0EEEvSH_,"axG",@progbits,_ZN7rocprim17ROCPRIM_400000_NS6detail17trampoline_kernelINS0_14default_configENS1_35radix_sort_onesweep_config_selectorI6__halfNS0_10empty_typeEEEZZNS1_29radix_sort_onesweep_iterationIS3_Lb1EPKS5_PS5_PS6_SC_mNS0_19identity_decomposerENS1_16block_id_wrapperIjLb0EEEEE10hipError_tT1_PNSt15iterator_traitsISH_E10value_typeET2_T3_PNSI_ISN_E10value_typeET4_T5_PSS_ST_PNS1_23onesweep_lookback_stateEbbT6_jjT7_P12ihipStream_tbENKUlT_T0_SH_SM_E_clISA_SB_SC_SC_EEDaS10_S11_SH_SM_EUlS10_E_NS1_11comp_targetILNS1_3genE9ELNS1_11target_archE1100ELNS1_3gpuE3ELNS1_3repE0EEENS1_47radix_sort_onesweep_sort_config_static_selectorELNS0_4arch9wavefront6targetE0EEEvSH_,comdat
	.protected	_ZN7rocprim17ROCPRIM_400000_NS6detail17trampoline_kernelINS0_14default_configENS1_35radix_sort_onesweep_config_selectorI6__halfNS0_10empty_typeEEEZZNS1_29radix_sort_onesweep_iterationIS3_Lb1EPKS5_PS5_PS6_SC_mNS0_19identity_decomposerENS1_16block_id_wrapperIjLb0EEEEE10hipError_tT1_PNSt15iterator_traitsISH_E10value_typeET2_T3_PNSI_ISN_E10value_typeET4_T5_PSS_ST_PNS1_23onesweep_lookback_stateEbbT6_jjT7_P12ihipStream_tbENKUlT_T0_SH_SM_E_clISA_SB_SC_SC_EEDaS10_S11_SH_SM_EUlS10_E_NS1_11comp_targetILNS1_3genE9ELNS1_11target_archE1100ELNS1_3gpuE3ELNS1_3repE0EEENS1_47radix_sort_onesweep_sort_config_static_selectorELNS0_4arch9wavefront6targetE0EEEvSH_ ; -- Begin function _ZN7rocprim17ROCPRIM_400000_NS6detail17trampoline_kernelINS0_14default_configENS1_35radix_sort_onesweep_config_selectorI6__halfNS0_10empty_typeEEEZZNS1_29radix_sort_onesweep_iterationIS3_Lb1EPKS5_PS5_PS6_SC_mNS0_19identity_decomposerENS1_16block_id_wrapperIjLb0EEEEE10hipError_tT1_PNSt15iterator_traitsISH_E10value_typeET2_T3_PNSI_ISN_E10value_typeET4_T5_PSS_ST_PNS1_23onesweep_lookback_stateEbbT6_jjT7_P12ihipStream_tbENKUlT_T0_SH_SM_E_clISA_SB_SC_SC_EEDaS10_S11_SH_SM_EUlS10_E_NS1_11comp_targetILNS1_3genE9ELNS1_11target_archE1100ELNS1_3gpuE3ELNS1_3repE0EEENS1_47radix_sort_onesweep_sort_config_static_selectorELNS0_4arch9wavefront6targetE0EEEvSH_
	.globl	_ZN7rocprim17ROCPRIM_400000_NS6detail17trampoline_kernelINS0_14default_configENS1_35radix_sort_onesweep_config_selectorI6__halfNS0_10empty_typeEEEZZNS1_29radix_sort_onesweep_iterationIS3_Lb1EPKS5_PS5_PS6_SC_mNS0_19identity_decomposerENS1_16block_id_wrapperIjLb0EEEEE10hipError_tT1_PNSt15iterator_traitsISH_E10value_typeET2_T3_PNSI_ISN_E10value_typeET4_T5_PSS_ST_PNS1_23onesweep_lookback_stateEbbT6_jjT7_P12ihipStream_tbENKUlT_T0_SH_SM_E_clISA_SB_SC_SC_EEDaS10_S11_SH_SM_EUlS10_E_NS1_11comp_targetILNS1_3genE9ELNS1_11target_archE1100ELNS1_3gpuE3ELNS1_3repE0EEENS1_47radix_sort_onesweep_sort_config_static_selectorELNS0_4arch9wavefront6targetE0EEEvSH_
	.p2align	8
	.type	_ZN7rocprim17ROCPRIM_400000_NS6detail17trampoline_kernelINS0_14default_configENS1_35radix_sort_onesweep_config_selectorI6__halfNS0_10empty_typeEEEZZNS1_29radix_sort_onesweep_iterationIS3_Lb1EPKS5_PS5_PS6_SC_mNS0_19identity_decomposerENS1_16block_id_wrapperIjLb0EEEEE10hipError_tT1_PNSt15iterator_traitsISH_E10value_typeET2_T3_PNSI_ISN_E10value_typeET4_T5_PSS_ST_PNS1_23onesweep_lookback_stateEbbT6_jjT7_P12ihipStream_tbENKUlT_T0_SH_SM_E_clISA_SB_SC_SC_EEDaS10_S11_SH_SM_EUlS10_E_NS1_11comp_targetILNS1_3genE9ELNS1_11target_archE1100ELNS1_3gpuE3ELNS1_3repE0EEENS1_47radix_sort_onesweep_sort_config_static_selectorELNS0_4arch9wavefront6targetE0EEEvSH_,@function
_ZN7rocprim17ROCPRIM_400000_NS6detail17trampoline_kernelINS0_14default_configENS1_35radix_sort_onesweep_config_selectorI6__halfNS0_10empty_typeEEEZZNS1_29radix_sort_onesweep_iterationIS3_Lb1EPKS5_PS5_PS6_SC_mNS0_19identity_decomposerENS1_16block_id_wrapperIjLb0EEEEE10hipError_tT1_PNSt15iterator_traitsISH_E10value_typeET2_T3_PNSI_ISN_E10value_typeET4_T5_PSS_ST_PNS1_23onesweep_lookback_stateEbbT6_jjT7_P12ihipStream_tbENKUlT_T0_SH_SM_E_clISA_SB_SC_SC_EEDaS10_S11_SH_SM_EUlS10_E_NS1_11comp_targetILNS1_3genE9ELNS1_11target_archE1100ELNS1_3gpuE3ELNS1_3repE0EEENS1_47radix_sort_onesweep_sort_config_static_selectorELNS0_4arch9wavefront6targetE0EEEvSH_: ; @_ZN7rocprim17ROCPRIM_400000_NS6detail17trampoline_kernelINS0_14default_configENS1_35radix_sort_onesweep_config_selectorI6__halfNS0_10empty_typeEEEZZNS1_29radix_sort_onesweep_iterationIS3_Lb1EPKS5_PS5_PS6_SC_mNS0_19identity_decomposerENS1_16block_id_wrapperIjLb0EEEEE10hipError_tT1_PNSt15iterator_traitsISH_E10value_typeET2_T3_PNSI_ISN_E10value_typeET4_T5_PSS_ST_PNS1_23onesweep_lookback_stateEbbT6_jjT7_P12ihipStream_tbENKUlT_T0_SH_SM_E_clISA_SB_SC_SC_EEDaS10_S11_SH_SM_EUlS10_E_NS1_11comp_targetILNS1_3genE9ELNS1_11target_archE1100ELNS1_3gpuE3ELNS1_3repE0EEENS1_47radix_sort_onesweep_sort_config_static_selectorELNS0_4arch9wavefront6targetE0EEEvSH_
; %bb.0:
	.section	.rodata,"a",@progbits
	.p2align	6, 0x0
	.amdhsa_kernel _ZN7rocprim17ROCPRIM_400000_NS6detail17trampoline_kernelINS0_14default_configENS1_35radix_sort_onesweep_config_selectorI6__halfNS0_10empty_typeEEEZZNS1_29radix_sort_onesweep_iterationIS3_Lb1EPKS5_PS5_PS6_SC_mNS0_19identity_decomposerENS1_16block_id_wrapperIjLb0EEEEE10hipError_tT1_PNSt15iterator_traitsISH_E10value_typeET2_T3_PNSI_ISN_E10value_typeET4_T5_PSS_ST_PNS1_23onesweep_lookback_stateEbbT6_jjT7_P12ihipStream_tbENKUlT_T0_SH_SM_E_clISA_SB_SC_SC_EEDaS10_S11_SH_SM_EUlS10_E_NS1_11comp_targetILNS1_3genE9ELNS1_11target_archE1100ELNS1_3gpuE3ELNS1_3repE0EEENS1_47radix_sort_onesweep_sort_config_static_selectorELNS0_4arch9wavefront6targetE0EEEvSH_
		.amdhsa_group_segment_fixed_size 0
		.amdhsa_private_segment_fixed_size 0
		.amdhsa_kernarg_size 88
		.amdhsa_user_sgpr_count 2
		.amdhsa_user_sgpr_dispatch_ptr 0
		.amdhsa_user_sgpr_queue_ptr 0
		.amdhsa_user_sgpr_kernarg_segment_ptr 1
		.amdhsa_user_sgpr_dispatch_id 0
		.amdhsa_user_sgpr_kernarg_preload_length 0
		.amdhsa_user_sgpr_kernarg_preload_offset 0
		.amdhsa_user_sgpr_private_segment_size 0
		.amdhsa_wavefront_size32 1
		.amdhsa_uses_dynamic_stack 0
		.amdhsa_enable_private_segment 0
		.amdhsa_system_sgpr_workgroup_id_x 1
		.amdhsa_system_sgpr_workgroup_id_y 0
		.amdhsa_system_sgpr_workgroup_id_z 0
		.amdhsa_system_sgpr_workgroup_info 0
		.amdhsa_system_vgpr_workitem_id 0
		.amdhsa_next_free_vgpr 1
		.amdhsa_next_free_sgpr 1
		.amdhsa_named_barrier_count 0
		.amdhsa_reserve_vcc 0
		.amdhsa_float_round_mode_32 0
		.amdhsa_float_round_mode_16_64 0
		.amdhsa_float_denorm_mode_32 3
		.amdhsa_float_denorm_mode_16_64 3
		.amdhsa_fp16_overflow 0
		.amdhsa_memory_ordered 1
		.amdhsa_forward_progress 1
		.amdhsa_inst_pref_size 0
		.amdhsa_round_robin_scheduling 0
		.amdhsa_exception_fp_ieee_invalid_op 0
		.amdhsa_exception_fp_denorm_src 0
		.amdhsa_exception_fp_ieee_div_zero 0
		.amdhsa_exception_fp_ieee_overflow 0
		.amdhsa_exception_fp_ieee_underflow 0
		.amdhsa_exception_fp_ieee_inexact 0
		.amdhsa_exception_int_div_zero 0
	.end_amdhsa_kernel
	.section	.text._ZN7rocprim17ROCPRIM_400000_NS6detail17trampoline_kernelINS0_14default_configENS1_35radix_sort_onesweep_config_selectorI6__halfNS0_10empty_typeEEEZZNS1_29radix_sort_onesweep_iterationIS3_Lb1EPKS5_PS5_PS6_SC_mNS0_19identity_decomposerENS1_16block_id_wrapperIjLb0EEEEE10hipError_tT1_PNSt15iterator_traitsISH_E10value_typeET2_T3_PNSI_ISN_E10value_typeET4_T5_PSS_ST_PNS1_23onesweep_lookback_stateEbbT6_jjT7_P12ihipStream_tbENKUlT_T0_SH_SM_E_clISA_SB_SC_SC_EEDaS10_S11_SH_SM_EUlS10_E_NS1_11comp_targetILNS1_3genE9ELNS1_11target_archE1100ELNS1_3gpuE3ELNS1_3repE0EEENS1_47radix_sort_onesweep_sort_config_static_selectorELNS0_4arch9wavefront6targetE0EEEvSH_,"axG",@progbits,_ZN7rocprim17ROCPRIM_400000_NS6detail17trampoline_kernelINS0_14default_configENS1_35radix_sort_onesweep_config_selectorI6__halfNS0_10empty_typeEEEZZNS1_29radix_sort_onesweep_iterationIS3_Lb1EPKS5_PS5_PS6_SC_mNS0_19identity_decomposerENS1_16block_id_wrapperIjLb0EEEEE10hipError_tT1_PNSt15iterator_traitsISH_E10value_typeET2_T3_PNSI_ISN_E10value_typeET4_T5_PSS_ST_PNS1_23onesweep_lookback_stateEbbT6_jjT7_P12ihipStream_tbENKUlT_T0_SH_SM_E_clISA_SB_SC_SC_EEDaS10_S11_SH_SM_EUlS10_E_NS1_11comp_targetILNS1_3genE9ELNS1_11target_archE1100ELNS1_3gpuE3ELNS1_3repE0EEENS1_47radix_sort_onesweep_sort_config_static_selectorELNS0_4arch9wavefront6targetE0EEEvSH_,comdat
.Lfunc_end2188:
	.size	_ZN7rocprim17ROCPRIM_400000_NS6detail17trampoline_kernelINS0_14default_configENS1_35radix_sort_onesweep_config_selectorI6__halfNS0_10empty_typeEEEZZNS1_29radix_sort_onesweep_iterationIS3_Lb1EPKS5_PS5_PS6_SC_mNS0_19identity_decomposerENS1_16block_id_wrapperIjLb0EEEEE10hipError_tT1_PNSt15iterator_traitsISH_E10value_typeET2_T3_PNSI_ISN_E10value_typeET4_T5_PSS_ST_PNS1_23onesweep_lookback_stateEbbT6_jjT7_P12ihipStream_tbENKUlT_T0_SH_SM_E_clISA_SB_SC_SC_EEDaS10_S11_SH_SM_EUlS10_E_NS1_11comp_targetILNS1_3genE9ELNS1_11target_archE1100ELNS1_3gpuE3ELNS1_3repE0EEENS1_47radix_sort_onesweep_sort_config_static_selectorELNS0_4arch9wavefront6targetE0EEEvSH_, .Lfunc_end2188-_ZN7rocprim17ROCPRIM_400000_NS6detail17trampoline_kernelINS0_14default_configENS1_35radix_sort_onesweep_config_selectorI6__halfNS0_10empty_typeEEEZZNS1_29radix_sort_onesweep_iterationIS3_Lb1EPKS5_PS5_PS6_SC_mNS0_19identity_decomposerENS1_16block_id_wrapperIjLb0EEEEE10hipError_tT1_PNSt15iterator_traitsISH_E10value_typeET2_T3_PNSI_ISN_E10value_typeET4_T5_PSS_ST_PNS1_23onesweep_lookback_stateEbbT6_jjT7_P12ihipStream_tbENKUlT_T0_SH_SM_E_clISA_SB_SC_SC_EEDaS10_S11_SH_SM_EUlS10_E_NS1_11comp_targetILNS1_3genE9ELNS1_11target_archE1100ELNS1_3gpuE3ELNS1_3repE0EEENS1_47radix_sort_onesweep_sort_config_static_selectorELNS0_4arch9wavefront6targetE0EEEvSH_
                                        ; -- End function
	.set _ZN7rocprim17ROCPRIM_400000_NS6detail17trampoline_kernelINS0_14default_configENS1_35radix_sort_onesweep_config_selectorI6__halfNS0_10empty_typeEEEZZNS1_29radix_sort_onesweep_iterationIS3_Lb1EPKS5_PS5_PS6_SC_mNS0_19identity_decomposerENS1_16block_id_wrapperIjLb0EEEEE10hipError_tT1_PNSt15iterator_traitsISH_E10value_typeET2_T3_PNSI_ISN_E10value_typeET4_T5_PSS_ST_PNS1_23onesweep_lookback_stateEbbT6_jjT7_P12ihipStream_tbENKUlT_T0_SH_SM_E_clISA_SB_SC_SC_EEDaS10_S11_SH_SM_EUlS10_E_NS1_11comp_targetILNS1_3genE9ELNS1_11target_archE1100ELNS1_3gpuE3ELNS1_3repE0EEENS1_47radix_sort_onesweep_sort_config_static_selectorELNS0_4arch9wavefront6targetE0EEEvSH_.num_vgpr, 0
	.set _ZN7rocprim17ROCPRIM_400000_NS6detail17trampoline_kernelINS0_14default_configENS1_35radix_sort_onesweep_config_selectorI6__halfNS0_10empty_typeEEEZZNS1_29radix_sort_onesweep_iterationIS3_Lb1EPKS5_PS5_PS6_SC_mNS0_19identity_decomposerENS1_16block_id_wrapperIjLb0EEEEE10hipError_tT1_PNSt15iterator_traitsISH_E10value_typeET2_T3_PNSI_ISN_E10value_typeET4_T5_PSS_ST_PNS1_23onesweep_lookback_stateEbbT6_jjT7_P12ihipStream_tbENKUlT_T0_SH_SM_E_clISA_SB_SC_SC_EEDaS10_S11_SH_SM_EUlS10_E_NS1_11comp_targetILNS1_3genE9ELNS1_11target_archE1100ELNS1_3gpuE3ELNS1_3repE0EEENS1_47radix_sort_onesweep_sort_config_static_selectorELNS0_4arch9wavefront6targetE0EEEvSH_.num_agpr, 0
	.set _ZN7rocprim17ROCPRIM_400000_NS6detail17trampoline_kernelINS0_14default_configENS1_35radix_sort_onesweep_config_selectorI6__halfNS0_10empty_typeEEEZZNS1_29radix_sort_onesweep_iterationIS3_Lb1EPKS5_PS5_PS6_SC_mNS0_19identity_decomposerENS1_16block_id_wrapperIjLb0EEEEE10hipError_tT1_PNSt15iterator_traitsISH_E10value_typeET2_T3_PNSI_ISN_E10value_typeET4_T5_PSS_ST_PNS1_23onesweep_lookback_stateEbbT6_jjT7_P12ihipStream_tbENKUlT_T0_SH_SM_E_clISA_SB_SC_SC_EEDaS10_S11_SH_SM_EUlS10_E_NS1_11comp_targetILNS1_3genE9ELNS1_11target_archE1100ELNS1_3gpuE3ELNS1_3repE0EEENS1_47radix_sort_onesweep_sort_config_static_selectorELNS0_4arch9wavefront6targetE0EEEvSH_.numbered_sgpr, 0
	.set _ZN7rocprim17ROCPRIM_400000_NS6detail17trampoline_kernelINS0_14default_configENS1_35radix_sort_onesweep_config_selectorI6__halfNS0_10empty_typeEEEZZNS1_29radix_sort_onesweep_iterationIS3_Lb1EPKS5_PS5_PS6_SC_mNS0_19identity_decomposerENS1_16block_id_wrapperIjLb0EEEEE10hipError_tT1_PNSt15iterator_traitsISH_E10value_typeET2_T3_PNSI_ISN_E10value_typeET4_T5_PSS_ST_PNS1_23onesweep_lookback_stateEbbT6_jjT7_P12ihipStream_tbENKUlT_T0_SH_SM_E_clISA_SB_SC_SC_EEDaS10_S11_SH_SM_EUlS10_E_NS1_11comp_targetILNS1_3genE9ELNS1_11target_archE1100ELNS1_3gpuE3ELNS1_3repE0EEENS1_47radix_sort_onesweep_sort_config_static_selectorELNS0_4arch9wavefront6targetE0EEEvSH_.num_named_barrier, 0
	.set _ZN7rocprim17ROCPRIM_400000_NS6detail17trampoline_kernelINS0_14default_configENS1_35radix_sort_onesweep_config_selectorI6__halfNS0_10empty_typeEEEZZNS1_29radix_sort_onesweep_iterationIS3_Lb1EPKS5_PS5_PS6_SC_mNS0_19identity_decomposerENS1_16block_id_wrapperIjLb0EEEEE10hipError_tT1_PNSt15iterator_traitsISH_E10value_typeET2_T3_PNSI_ISN_E10value_typeET4_T5_PSS_ST_PNS1_23onesweep_lookback_stateEbbT6_jjT7_P12ihipStream_tbENKUlT_T0_SH_SM_E_clISA_SB_SC_SC_EEDaS10_S11_SH_SM_EUlS10_E_NS1_11comp_targetILNS1_3genE9ELNS1_11target_archE1100ELNS1_3gpuE3ELNS1_3repE0EEENS1_47radix_sort_onesweep_sort_config_static_selectorELNS0_4arch9wavefront6targetE0EEEvSH_.private_seg_size, 0
	.set _ZN7rocprim17ROCPRIM_400000_NS6detail17trampoline_kernelINS0_14default_configENS1_35radix_sort_onesweep_config_selectorI6__halfNS0_10empty_typeEEEZZNS1_29radix_sort_onesweep_iterationIS3_Lb1EPKS5_PS5_PS6_SC_mNS0_19identity_decomposerENS1_16block_id_wrapperIjLb0EEEEE10hipError_tT1_PNSt15iterator_traitsISH_E10value_typeET2_T3_PNSI_ISN_E10value_typeET4_T5_PSS_ST_PNS1_23onesweep_lookback_stateEbbT6_jjT7_P12ihipStream_tbENKUlT_T0_SH_SM_E_clISA_SB_SC_SC_EEDaS10_S11_SH_SM_EUlS10_E_NS1_11comp_targetILNS1_3genE9ELNS1_11target_archE1100ELNS1_3gpuE3ELNS1_3repE0EEENS1_47radix_sort_onesweep_sort_config_static_selectorELNS0_4arch9wavefront6targetE0EEEvSH_.uses_vcc, 0
	.set _ZN7rocprim17ROCPRIM_400000_NS6detail17trampoline_kernelINS0_14default_configENS1_35radix_sort_onesweep_config_selectorI6__halfNS0_10empty_typeEEEZZNS1_29radix_sort_onesweep_iterationIS3_Lb1EPKS5_PS5_PS6_SC_mNS0_19identity_decomposerENS1_16block_id_wrapperIjLb0EEEEE10hipError_tT1_PNSt15iterator_traitsISH_E10value_typeET2_T3_PNSI_ISN_E10value_typeET4_T5_PSS_ST_PNS1_23onesweep_lookback_stateEbbT6_jjT7_P12ihipStream_tbENKUlT_T0_SH_SM_E_clISA_SB_SC_SC_EEDaS10_S11_SH_SM_EUlS10_E_NS1_11comp_targetILNS1_3genE9ELNS1_11target_archE1100ELNS1_3gpuE3ELNS1_3repE0EEENS1_47radix_sort_onesweep_sort_config_static_selectorELNS0_4arch9wavefront6targetE0EEEvSH_.uses_flat_scratch, 0
	.set _ZN7rocprim17ROCPRIM_400000_NS6detail17trampoline_kernelINS0_14default_configENS1_35radix_sort_onesweep_config_selectorI6__halfNS0_10empty_typeEEEZZNS1_29radix_sort_onesweep_iterationIS3_Lb1EPKS5_PS5_PS6_SC_mNS0_19identity_decomposerENS1_16block_id_wrapperIjLb0EEEEE10hipError_tT1_PNSt15iterator_traitsISH_E10value_typeET2_T3_PNSI_ISN_E10value_typeET4_T5_PSS_ST_PNS1_23onesweep_lookback_stateEbbT6_jjT7_P12ihipStream_tbENKUlT_T0_SH_SM_E_clISA_SB_SC_SC_EEDaS10_S11_SH_SM_EUlS10_E_NS1_11comp_targetILNS1_3genE9ELNS1_11target_archE1100ELNS1_3gpuE3ELNS1_3repE0EEENS1_47radix_sort_onesweep_sort_config_static_selectorELNS0_4arch9wavefront6targetE0EEEvSH_.has_dyn_sized_stack, 0
	.set _ZN7rocprim17ROCPRIM_400000_NS6detail17trampoline_kernelINS0_14default_configENS1_35radix_sort_onesweep_config_selectorI6__halfNS0_10empty_typeEEEZZNS1_29radix_sort_onesweep_iterationIS3_Lb1EPKS5_PS5_PS6_SC_mNS0_19identity_decomposerENS1_16block_id_wrapperIjLb0EEEEE10hipError_tT1_PNSt15iterator_traitsISH_E10value_typeET2_T3_PNSI_ISN_E10value_typeET4_T5_PSS_ST_PNS1_23onesweep_lookback_stateEbbT6_jjT7_P12ihipStream_tbENKUlT_T0_SH_SM_E_clISA_SB_SC_SC_EEDaS10_S11_SH_SM_EUlS10_E_NS1_11comp_targetILNS1_3genE9ELNS1_11target_archE1100ELNS1_3gpuE3ELNS1_3repE0EEENS1_47radix_sort_onesweep_sort_config_static_selectorELNS0_4arch9wavefront6targetE0EEEvSH_.has_recursion, 0
	.set _ZN7rocprim17ROCPRIM_400000_NS6detail17trampoline_kernelINS0_14default_configENS1_35radix_sort_onesweep_config_selectorI6__halfNS0_10empty_typeEEEZZNS1_29radix_sort_onesweep_iterationIS3_Lb1EPKS5_PS5_PS6_SC_mNS0_19identity_decomposerENS1_16block_id_wrapperIjLb0EEEEE10hipError_tT1_PNSt15iterator_traitsISH_E10value_typeET2_T3_PNSI_ISN_E10value_typeET4_T5_PSS_ST_PNS1_23onesweep_lookback_stateEbbT6_jjT7_P12ihipStream_tbENKUlT_T0_SH_SM_E_clISA_SB_SC_SC_EEDaS10_S11_SH_SM_EUlS10_E_NS1_11comp_targetILNS1_3genE9ELNS1_11target_archE1100ELNS1_3gpuE3ELNS1_3repE0EEENS1_47radix_sort_onesweep_sort_config_static_selectorELNS0_4arch9wavefront6targetE0EEEvSH_.has_indirect_call, 0
	.section	.AMDGPU.csdata,"",@progbits
; Kernel info:
; codeLenInByte = 0
; TotalNumSgprs: 0
; NumVgprs: 0
; ScratchSize: 0
; MemoryBound: 0
; FloatMode: 240
; IeeeMode: 1
; LDSByteSize: 0 bytes/workgroup (compile time only)
; SGPRBlocks: 0
; VGPRBlocks: 0
; NumSGPRsForWavesPerEU: 1
; NumVGPRsForWavesPerEU: 1
; NamedBarCnt: 0
; Occupancy: 16
; WaveLimiterHint : 0
; COMPUTE_PGM_RSRC2:SCRATCH_EN: 0
; COMPUTE_PGM_RSRC2:USER_SGPR: 2
; COMPUTE_PGM_RSRC2:TRAP_HANDLER: 0
; COMPUTE_PGM_RSRC2:TGID_X_EN: 1
; COMPUTE_PGM_RSRC2:TGID_Y_EN: 0
; COMPUTE_PGM_RSRC2:TGID_Z_EN: 0
; COMPUTE_PGM_RSRC2:TIDIG_COMP_CNT: 0
	.section	.text._ZN7rocprim17ROCPRIM_400000_NS6detail17trampoline_kernelINS0_14default_configENS1_35radix_sort_onesweep_config_selectorI6__halfNS0_10empty_typeEEEZZNS1_29radix_sort_onesweep_iterationIS3_Lb1EPKS5_PS5_PS6_SC_mNS0_19identity_decomposerENS1_16block_id_wrapperIjLb0EEEEE10hipError_tT1_PNSt15iterator_traitsISH_E10value_typeET2_T3_PNSI_ISN_E10value_typeET4_T5_PSS_ST_PNS1_23onesweep_lookback_stateEbbT6_jjT7_P12ihipStream_tbENKUlT_T0_SH_SM_E_clISA_SB_SC_SC_EEDaS10_S11_SH_SM_EUlS10_E_NS1_11comp_targetILNS1_3genE8ELNS1_11target_archE1030ELNS1_3gpuE2ELNS1_3repE0EEENS1_47radix_sort_onesweep_sort_config_static_selectorELNS0_4arch9wavefront6targetE0EEEvSH_,"axG",@progbits,_ZN7rocprim17ROCPRIM_400000_NS6detail17trampoline_kernelINS0_14default_configENS1_35radix_sort_onesweep_config_selectorI6__halfNS0_10empty_typeEEEZZNS1_29radix_sort_onesweep_iterationIS3_Lb1EPKS5_PS5_PS6_SC_mNS0_19identity_decomposerENS1_16block_id_wrapperIjLb0EEEEE10hipError_tT1_PNSt15iterator_traitsISH_E10value_typeET2_T3_PNSI_ISN_E10value_typeET4_T5_PSS_ST_PNS1_23onesweep_lookback_stateEbbT6_jjT7_P12ihipStream_tbENKUlT_T0_SH_SM_E_clISA_SB_SC_SC_EEDaS10_S11_SH_SM_EUlS10_E_NS1_11comp_targetILNS1_3genE8ELNS1_11target_archE1030ELNS1_3gpuE2ELNS1_3repE0EEENS1_47radix_sort_onesweep_sort_config_static_selectorELNS0_4arch9wavefront6targetE0EEEvSH_,comdat
	.protected	_ZN7rocprim17ROCPRIM_400000_NS6detail17trampoline_kernelINS0_14default_configENS1_35radix_sort_onesweep_config_selectorI6__halfNS0_10empty_typeEEEZZNS1_29radix_sort_onesweep_iterationIS3_Lb1EPKS5_PS5_PS6_SC_mNS0_19identity_decomposerENS1_16block_id_wrapperIjLb0EEEEE10hipError_tT1_PNSt15iterator_traitsISH_E10value_typeET2_T3_PNSI_ISN_E10value_typeET4_T5_PSS_ST_PNS1_23onesweep_lookback_stateEbbT6_jjT7_P12ihipStream_tbENKUlT_T0_SH_SM_E_clISA_SB_SC_SC_EEDaS10_S11_SH_SM_EUlS10_E_NS1_11comp_targetILNS1_3genE8ELNS1_11target_archE1030ELNS1_3gpuE2ELNS1_3repE0EEENS1_47radix_sort_onesweep_sort_config_static_selectorELNS0_4arch9wavefront6targetE0EEEvSH_ ; -- Begin function _ZN7rocprim17ROCPRIM_400000_NS6detail17trampoline_kernelINS0_14default_configENS1_35radix_sort_onesweep_config_selectorI6__halfNS0_10empty_typeEEEZZNS1_29radix_sort_onesweep_iterationIS3_Lb1EPKS5_PS5_PS6_SC_mNS0_19identity_decomposerENS1_16block_id_wrapperIjLb0EEEEE10hipError_tT1_PNSt15iterator_traitsISH_E10value_typeET2_T3_PNSI_ISN_E10value_typeET4_T5_PSS_ST_PNS1_23onesweep_lookback_stateEbbT6_jjT7_P12ihipStream_tbENKUlT_T0_SH_SM_E_clISA_SB_SC_SC_EEDaS10_S11_SH_SM_EUlS10_E_NS1_11comp_targetILNS1_3genE8ELNS1_11target_archE1030ELNS1_3gpuE2ELNS1_3repE0EEENS1_47radix_sort_onesweep_sort_config_static_selectorELNS0_4arch9wavefront6targetE0EEEvSH_
	.globl	_ZN7rocprim17ROCPRIM_400000_NS6detail17trampoline_kernelINS0_14default_configENS1_35radix_sort_onesweep_config_selectorI6__halfNS0_10empty_typeEEEZZNS1_29radix_sort_onesweep_iterationIS3_Lb1EPKS5_PS5_PS6_SC_mNS0_19identity_decomposerENS1_16block_id_wrapperIjLb0EEEEE10hipError_tT1_PNSt15iterator_traitsISH_E10value_typeET2_T3_PNSI_ISN_E10value_typeET4_T5_PSS_ST_PNS1_23onesweep_lookback_stateEbbT6_jjT7_P12ihipStream_tbENKUlT_T0_SH_SM_E_clISA_SB_SC_SC_EEDaS10_S11_SH_SM_EUlS10_E_NS1_11comp_targetILNS1_3genE8ELNS1_11target_archE1030ELNS1_3gpuE2ELNS1_3repE0EEENS1_47radix_sort_onesweep_sort_config_static_selectorELNS0_4arch9wavefront6targetE0EEEvSH_
	.p2align	8
	.type	_ZN7rocprim17ROCPRIM_400000_NS6detail17trampoline_kernelINS0_14default_configENS1_35radix_sort_onesweep_config_selectorI6__halfNS0_10empty_typeEEEZZNS1_29radix_sort_onesweep_iterationIS3_Lb1EPKS5_PS5_PS6_SC_mNS0_19identity_decomposerENS1_16block_id_wrapperIjLb0EEEEE10hipError_tT1_PNSt15iterator_traitsISH_E10value_typeET2_T3_PNSI_ISN_E10value_typeET4_T5_PSS_ST_PNS1_23onesweep_lookback_stateEbbT6_jjT7_P12ihipStream_tbENKUlT_T0_SH_SM_E_clISA_SB_SC_SC_EEDaS10_S11_SH_SM_EUlS10_E_NS1_11comp_targetILNS1_3genE8ELNS1_11target_archE1030ELNS1_3gpuE2ELNS1_3repE0EEENS1_47radix_sort_onesweep_sort_config_static_selectorELNS0_4arch9wavefront6targetE0EEEvSH_,@function
_ZN7rocprim17ROCPRIM_400000_NS6detail17trampoline_kernelINS0_14default_configENS1_35radix_sort_onesweep_config_selectorI6__halfNS0_10empty_typeEEEZZNS1_29radix_sort_onesweep_iterationIS3_Lb1EPKS5_PS5_PS6_SC_mNS0_19identity_decomposerENS1_16block_id_wrapperIjLb0EEEEE10hipError_tT1_PNSt15iterator_traitsISH_E10value_typeET2_T3_PNSI_ISN_E10value_typeET4_T5_PSS_ST_PNS1_23onesweep_lookback_stateEbbT6_jjT7_P12ihipStream_tbENKUlT_T0_SH_SM_E_clISA_SB_SC_SC_EEDaS10_S11_SH_SM_EUlS10_E_NS1_11comp_targetILNS1_3genE8ELNS1_11target_archE1030ELNS1_3gpuE2ELNS1_3repE0EEENS1_47radix_sort_onesweep_sort_config_static_selectorELNS0_4arch9wavefront6targetE0EEEvSH_: ; @_ZN7rocprim17ROCPRIM_400000_NS6detail17trampoline_kernelINS0_14default_configENS1_35radix_sort_onesweep_config_selectorI6__halfNS0_10empty_typeEEEZZNS1_29radix_sort_onesweep_iterationIS3_Lb1EPKS5_PS5_PS6_SC_mNS0_19identity_decomposerENS1_16block_id_wrapperIjLb0EEEEE10hipError_tT1_PNSt15iterator_traitsISH_E10value_typeET2_T3_PNSI_ISN_E10value_typeET4_T5_PSS_ST_PNS1_23onesweep_lookback_stateEbbT6_jjT7_P12ihipStream_tbENKUlT_T0_SH_SM_E_clISA_SB_SC_SC_EEDaS10_S11_SH_SM_EUlS10_E_NS1_11comp_targetILNS1_3genE8ELNS1_11target_archE1030ELNS1_3gpuE2ELNS1_3repE0EEENS1_47radix_sort_onesweep_sort_config_static_selectorELNS0_4arch9wavefront6targetE0EEEvSH_
; %bb.0:
	.section	.rodata,"a",@progbits
	.p2align	6, 0x0
	.amdhsa_kernel _ZN7rocprim17ROCPRIM_400000_NS6detail17trampoline_kernelINS0_14default_configENS1_35radix_sort_onesweep_config_selectorI6__halfNS0_10empty_typeEEEZZNS1_29radix_sort_onesweep_iterationIS3_Lb1EPKS5_PS5_PS6_SC_mNS0_19identity_decomposerENS1_16block_id_wrapperIjLb0EEEEE10hipError_tT1_PNSt15iterator_traitsISH_E10value_typeET2_T3_PNSI_ISN_E10value_typeET4_T5_PSS_ST_PNS1_23onesweep_lookback_stateEbbT6_jjT7_P12ihipStream_tbENKUlT_T0_SH_SM_E_clISA_SB_SC_SC_EEDaS10_S11_SH_SM_EUlS10_E_NS1_11comp_targetILNS1_3genE8ELNS1_11target_archE1030ELNS1_3gpuE2ELNS1_3repE0EEENS1_47radix_sort_onesweep_sort_config_static_selectorELNS0_4arch9wavefront6targetE0EEEvSH_
		.amdhsa_group_segment_fixed_size 0
		.amdhsa_private_segment_fixed_size 0
		.amdhsa_kernarg_size 88
		.amdhsa_user_sgpr_count 2
		.amdhsa_user_sgpr_dispatch_ptr 0
		.amdhsa_user_sgpr_queue_ptr 0
		.amdhsa_user_sgpr_kernarg_segment_ptr 1
		.amdhsa_user_sgpr_dispatch_id 0
		.amdhsa_user_sgpr_kernarg_preload_length 0
		.amdhsa_user_sgpr_kernarg_preload_offset 0
		.amdhsa_user_sgpr_private_segment_size 0
		.amdhsa_wavefront_size32 1
		.amdhsa_uses_dynamic_stack 0
		.amdhsa_enable_private_segment 0
		.amdhsa_system_sgpr_workgroup_id_x 1
		.amdhsa_system_sgpr_workgroup_id_y 0
		.amdhsa_system_sgpr_workgroup_id_z 0
		.amdhsa_system_sgpr_workgroup_info 0
		.amdhsa_system_vgpr_workitem_id 0
		.amdhsa_next_free_vgpr 1
		.amdhsa_next_free_sgpr 1
		.amdhsa_named_barrier_count 0
		.amdhsa_reserve_vcc 0
		.amdhsa_float_round_mode_32 0
		.amdhsa_float_round_mode_16_64 0
		.amdhsa_float_denorm_mode_32 3
		.amdhsa_float_denorm_mode_16_64 3
		.amdhsa_fp16_overflow 0
		.amdhsa_memory_ordered 1
		.amdhsa_forward_progress 1
		.amdhsa_inst_pref_size 0
		.amdhsa_round_robin_scheduling 0
		.amdhsa_exception_fp_ieee_invalid_op 0
		.amdhsa_exception_fp_denorm_src 0
		.amdhsa_exception_fp_ieee_div_zero 0
		.amdhsa_exception_fp_ieee_overflow 0
		.amdhsa_exception_fp_ieee_underflow 0
		.amdhsa_exception_fp_ieee_inexact 0
		.amdhsa_exception_int_div_zero 0
	.end_amdhsa_kernel
	.section	.text._ZN7rocprim17ROCPRIM_400000_NS6detail17trampoline_kernelINS0_14default_configENS1_35radix_sort_onesweep_config_selectorI6__halfNS0_10empty_typeEEEZZNS1_29radix_sort_onesweep_iterationIS3_Lb1EPKS5_PS5_PS6_SC_mNS0_19identity_decomposerENS1_16block_id_wrapperIjLb0EEEEE10hipError_tT1_PNSt15iterator_traitsISH_E10value_typeET2_T3_PNSI_ISN_E10value_typeET4_T5_PSS_ST_PNS1_23onesweep_lookback_stateEbbT6_jjT7_P12ihipStream_tbENKUlT_T0_SH_SM_E_clISA_SB_SC_SC_EEDaS10_S11_SH_SM_EUlS10_E_NS1_11comp_targetILNS1_3genE8ELNS1_11target_archE1030ELNS1_3gpuE2ELNS1_3repE0EEENS1_47radix_sort_onesweep_sort_config_static_selectorELNS0_4arch9wavefront6targetE0EEEvSH_,"axG",@progbits,_ZN7rocprim17ROCPRIM_400000_NS6detail17trampoline_kernelINS0_14default_configENS1_35radix_sort_onesweep_config_selectorI6__halfNS0_10empty_typeEEEZZNS1_29radix_sort_onesweep_iterationIS3_Lb1EPKS5_PS5_PS6_SC_mNS0_19identity_decomposerENS1_16block_id_wrapperIjLb0EEEEE10hipError_tT1_PNSt15iterator_traitsISH_E10value_typeET2_T3_PNSI_ISN_E10value_typeET4_T5_PSS_ST_PNS1_23onesweep_lookback_stateEbbT6_jjT7_P12ihipStream_tbENKUlT_T0_SH_SM_E_clISA_SB_SC_SC_EEDaS10_S11_SH_SM_EUlS10_E_NS1_11comp_targetILNS1_3genE8ELNS1_11target_archE1030ELNS1_3gpuE2ELNS1_3repE0EEENS1_47radix_sort_onesweep_sort_config_static_selectorELNS0_4arch9wavefront6targetE0EEEvSH_,comdat
.Lfunc_end2189:
	.size	_ZN7rocprim17ROCPRIM_400000_NS6detail17trampoline_kernelINS0_14default_configENS1_35radix_sort_onesweep_config_selectorI6__halfNS0_10empty_typeEEEZZNS1_29radix_sort_onesweep_iterationIS3_Lb1EPKS5_PS5_PS6_SC_mNS0_19identity_decomposerENS1_16block_id_wrapperIjLb0EEEEE10hipError_tT1_PNSt15iterator_traitsISH_E10value_typeET2_T3_PNSI_ISN_E10value_typeET4_T5_PSS_ST_PNS1_23onesweep_lookback_stateEbbT6_jjT7_P12ihipStream_tbENKUlT_T0_SH_SM_E_clISA_SB_SC_SC_EEDaS10_S11_SH_SM_EUlS10_E_NS1_11comp_targetILNS1_3genE8ELNS1_11target_archE1030ELNS1_3gpuE2ELNS1_3repE0EEENS1_47radix_sort_onesweep_sort_config_static_selectorELNS0_4arch9wavefront6targetE0EEEvSH_, .Lfunc_end2189-_ZN7rocprim17ROCPRIM_400000_NS6detail17trampoline_kernelINS0_14default_configENS1_35radix_sort_onesweep_config_selectorI6__halfNS0_10empty_typeEEEZZNS1_29radix_sort_onesweep_iterationIS3_Lb1EPKS5_PS5_PS6_SC_mNS0_19identity_decomposerENS1_16block_id_wrapperIjLb0EEEEE10hipError_tT1_PNSt15iterator_traitsISH_E10value_typeET2_T3_PNSI_ISN_E10value_typeET4_T5_PSS_ST_PNS1_23onesweep_lookback_stateEbbT6_jjT7_P12ihipStream_tbENKUlT_T0_SH_SM_E_clISA_SB_SC_SC_EEDaS10_S11_SH_SM_EUlS10_E_NS1_11comp_targetILNS1_3genE8ELNS1_11target_archE1030ELNS1_3gpuE2ELNS1_3repE0EEENS1_47radix_sort_onesweep_sort_config_static_selectorELNS0_4arch9wavefront6targetE0EEEvSH_
                                        ; -- End function
	.set _ZN7rocprim17ROCPRIM_400000_NS6detail17trampoline_kernelINS0_14default_configENS1_35radix_sort_onesweep_config_selectorI6__halfNS0_10empty_typeEEEZZNS1_29radix_sort_onesweep_iterationIS3_Lb1EPKS5_PS5_PS6_SC_mNS0_19identity_decomposerENS1_16block_id_wrapperIjLb0EEEEE10hipError_tT1_PNSt15iterator_traitsISH_E10value_typeET2_T3_PNSI_ISN_E10value_typeET4_T5_PSS_ST_PNS1_23onesweep_lookback_stateEbbT6_jjT7_P12ihipStream_tbENKUlT_T0_SH_SM_E_clISA_SB_SC_SC_EEDaS10_S11_SH_SM_EUlS10_E_NS1_11comp_targetILNS1_3genE8ELNS1_11target_archE1030ELNS1_3gpuE2ELNS1_3repE0EEENS1_47radix_sort_onesweep_sort_config_static_selectorELNS0_4arch9wavefront6targetE0EEEvSH_.num_vgpr, 0
	.set _ZN7rocprim17ROCPRIM_400000_NS6detail17trampoline_kernelINS0_14default_configENS1_35radix_sort_onesweep_config_selectorI6__halfNS0_10empty_typeEEEZZNS1_29radix_sort_onesweep_iterationIS3_Lb1EPKS5_PS5_PS6_SC_mNS0_19identity_decomposerENS1_16block_id_wrapperIjLb0EEEEE10hipError_tT1_PNSt15iterator_traitsISH_E10value_typeET2_T3_PNSI_ISN_E10value_typeET4_T5_PSS_ST_PNS1_23onesweep_lookback_stateEbbT6_jjT7_P12ihipStream_tbENKUlT_T0_SH_SM_E_clISA_SB_SC_SC_EEDaS10_S11_SH_SM_EUlS10_E_NS1_11comp_targetILNS1_3genE8ELNS1_11target_archE1030ELNS1_3gpuE2ELNS1_3repE0EEENS1_47radix_sort_onesweep_sort_config_static_selectorELNS0_4arch9wavefront6targetE0EEEvSH_.num_agpr, 0
	.set _ZN7rocprim17ROCPRIM_400000_NS6detail17trampoline_kernelINS0_14default_configENS1_35radix_sort_onesweep_config_selectorI6__halfNS0_10empty_typeEEEZZNS1_29radix_sort_onesweep_iterationIS3_Lb1EPKS5_PS5_PS6_SC_mNS0_19identity_decomposerENS1_16block_id_wrapperIjLb0EEEEE10hipError_tT1_PNSt15iterator_traitsISH_E10value_typeET2_T3_PNSI_ISN_E10value_typeET4_T5_PSS_ST_PNS1_23onesweep_lookback_stateEbbT6_jjT7_P12ihipStream_tbENKUlT_T0_SH_SM_E_clISA_SB_SC_SC_EEDaS10_S11_SH_SM_EUlS10_E_NS1_11comp_targetILNS1_3genE8ELNS1_11target_archE1030ELNS1_3gpuE2ELNS1_3repE0EEENS1_47radix_sort_onesweep_sort_config_static_selectorELNS0_4arch9wavefront6targetE0EEEvSH_.numbered_sgpr, 0
	.set _ZN7rocprim17ROCPRIM_400000_NS6detail17trampoline_kernelINS0_14default_configENS1_35radix_sort_onesweep_config_selectorI6__halfNS0_10empty_typeEEEZZNS1_29radix_sort_onesweep_iterationIS3_Lb1EPKS5_PS5_PS6_SC_mNS0_19identity_decomposerENS1_16block_id_wrapperIjLb0EEEEE10hipError_tT1_PNSt15iterator_traitsISH_E10value_typeET2_T3_PNSI_ISN_E10value_typeET4_T5_PSS_ST_PNS1_23onesweep_lookback_stateEbbT6_jjT7_P12ihipStream_tbENKUlT_T0_SH_SM_E_clISA_SB_SC_SC_EEDaS10_S11_SH_SM_EUlS10_E_NS1_11comp_targetILNS1_3genE8ELNS1_11target_archE1030ELNS1_3gpuE2ELNS1_3repE0EEENS1_47radix_sort_onesweep_sort_config_static_selectorELNS0_4arch9wavefront6targetE0EEEvSH_.num_named_barrier, 0
	.set _ZN7rocprim17ROCPRIM_400000_NS6detail17trampoline_kernelINS0_14default_configENS1_35radix_sort_onesweep_config_selectorI6__halfNS0_10empty_typeEEEZZNS1_29radix_sort_onesweep_iterationIS3_Lb1EPKS5_PS5_PS6_SC_mNS0_19identity_decomposerENS1_16block_id_wrapperIjLb0EEEEE10hipError_tT1_PNSt15iterator_traitsISH_E10value_typeET2_T3_PNSI_ISN_E10value_typeET4_T5_PSS_ST_PNS1_23onesweep_lookback_stateEbbT6_jjT7_P12ihipStream_tbENKUlT_T0_SH_SM_E_clISA_SB_SC_SC_EEDaS10_S11_SH_SM_EUlS10_E_NS1_11comp_targetILNS1_3genE8ELNS1_11target_archE1030ELNS1_3gpuE2ELNS1_3repE0EEENS1_47radix_sort_onesweep_sort_config_static_selectorELNS0_4arch9wavefront6targetE0EEEvSH_.private_seg_size, 0
	.set _ZN7rocprim17ROCPRIM_400000_NS6detail17trampoline_kernelINS0_14default_configENS1_35radix_sort_onesweep_config_selectorI6__halfNS0_10empty_typeEEEZZNS1_29radix_sort_onesweep_iterationIS3_Lb1EPKS5_PS5_PS6_SC_mNS0_19identity_decomposerENS1_16block_id_wrapperIjLb0EEEEE10hipError_tT1_PNSt15iterator_traitsISH_E10value_typeET2_T3_PNSI_ISN_E10value_typeET4_T5_PSS_ST_PNS1_23onesweep_lookback_stateEbbT6_jjT7_P12ihipStream_tbENKUlT_T0_SH_SM_E_clISA_SB_SC_SC_EEDaS10_S11_SH_SM_EUlS10_E_NS1_11comp_targetILNS1_3genE8ELNS1_11target_archE1030ELNS1_3gpuE2ELNS1_3repE0EEENS1_47radix_sort_onesweep_sort_config_static_selectorELNS0_4arch9wavefront6targetE0EEEvSH_.uses_vcc, 0
	.set _ZN7rocprim17ROCPRIM_400000_NS6detail17trampoline_kernelINS0_14default_configENS1_35radix_sort_onesweep_config_selectorI6__halfNS0_10empty_typeEEEZZNS1_29radix_sort_onesweep_iterationIS3_Lb1EPKS5_PS5_PS6_SC_mNS0_19identity_decomposerENS1_16block_id_wrapperIjLb0EEEEE10hipError_tT1_PNSt15iterator_traitsISH_E10value_typeET2_T3_PNSI_ISN_E10value_typeET4_T5_PSS_ST_PNS1_23onesweep_lookback_stateEbbT6_jjT7_P12ihipStream_tbENKUlT_T0_SH_SM_E_clISA_SB_SC_SC_EEDaS10_S11_SH_SM_EUlS10_E_NS1_11comp_targetILNS1_3genE8ELNS1_11target_archE1030ELNS1_3gpuE2ELNS1_3repE0EEENS1_47radix_sort_onesweep_sort_config_static_selectorELNS0_4arch9wavefront6targetE0EEEvSH_.uses_flat_scratch, 0
	.set _ZN7rocprim17ROCPRIM_400000_NS6detail17trampoline_kernelINS0_14default_configENS1_35radix_sort_onesweep_config_selectorI6__halfNS0_10empty_typeEEEZZNS1_29radix_sort_onesweep_iterationIS3_Lb1EPKS5_PS5_PS6_SC_mNS0_19identity_decomposerENS1_16block_id_wrapperIjLb0EEEEE10hipError_tT1_PNSt15iterator_traitsISH_E10value_typeET2_T3_PNSI_ISN_E10value_typeET4_T5_PSS_ST_PNS1_23onesweep_lookback_stateEbbT6_jjT7_P12ihipStream_tbENKUlT_T0_SH_SM_E_clISA_SB_SC_SC_EEDaS10_S11_SH_SM_EUlS10_E_NS1_11comp_targetILNS1_3genE8ELNS1_11target_archE1030ELNS1_3gpuE2ELNS1_3repE0EEENS1_47radix_sort_onesweep_sort_config_static_selectorELNS0_4arch9wavefront6targetE0EEEvSH_.has_dyn_sized_stack, 0
	.set _ZN7rocprim17ROCPRIM_400000_NS6detail17trampoline_kernelINS0_14default_configENS1_35radix_sort_onesweep_config_selectorI6__halfNS0_10empty_typeEEEZZNS1_29radix_sort_onesweep_iterationIS3_Lb1EPKS5_PS5_PS6_SC_mNS0_19identity_decomposerENS1_16block_id_wrapperIjLb0EEEEE10hipError_tT1_PNSt15iterator_traitsISH_E10value_typeET2_T3_PNSI_ISN_E10value_typeET4_T5_PSS_ST_PNS1_23onesweep_lookback_stateEbbT6_jjT7_P12ihipStream_tbENKUlT_T0_SH_SM_E_clISA_SB_SC_SC_EEDaS10_S11_SH_SM_EUlS10_E_NS1_11comp_targetILNS1_3genE8ELNS1_11target_archE1030ELNS1_3gpuE2ELNS1_3repE0EEENS1_47radix_sort_onesweep_sort_config_static_selectorELNS0_4arch9wavefront6targetE0EEEvSH_.has_recursion, 0
	.set _ZN7rocprim17ROCPRIM_400000_NS6detail17trampoline_kernelINS0_14default_configENS1_35radix_sort_onesweep_config_selectorI6__halfNS0_10empty_typeEEEZZNS1_29radix_sort_onesweep_iterationIS3_Lb1EPKS5_PS5_PS6_SC_mNS0_19identity_decomposerENS1_16block_id_wrapperIjLb0EEEEE10hipError_tT1_PNSt15iterator_traitsISH_E10value_typeET2_T3_PNSI_ISN_E10value_typeET4_T5_PSS_ST_PNS1_23onesweep_lookback_stateEbbT6_jjT7_P12ihipStream_tbENKUlT_T0_SH_SM_E_clISA_SB_SC_SC_EEDaS10_S11_SH_SM_EUlS10_E_NS1_11comp_targetILNS1_3genE8ELNS1_11target_archE1030ELNS1_3gpuE2ELNS1_3repE0EEENS1_47radix_sort_onesweep_sort_config_static_selectorELNS0_4arch9wavefront6targetE0EEEvSH_.has_indirect_call, 0
	.section	.AMDGPU.csdata,"",@progbits
; Kernel info:
; codeLenInByte = 0
; TotalNumSgprs: 0
; NumVgprs: 0
; ScratchSize: 0
; MemoryBound: 0
; FloatMode: 240
; IeeeMode: 1
; LDSByteSize: 0 bytes/workgroup (compile time only)
; SGPRBlocks: 0
; VGPRBlocks: 0
; NumSGPRsForWavesPerEU: 1
; NumVGPRsForWavesPerEU: 1
; NamedBarCnt: 0
; Occupancy: 16
; WaveLimiterHint : 0
; COMPUTE_PGM_RSRC2:SCRATCH_EN: 0
; COMPUTE_PGM_RSRC2:USER_SGPR: 2
; COMPUTE_PGM_RSRC2:TRAP_HANDLER: 0
; COMPUTE_PGM_RSRC2:TGID_X_EN: 1
; COMPUTE_PGM_RSRC2:TGID_Y_EN: 0
; COMPUTE_PGM_RSRC2:TGID_Z_EN: 0
; COMPUTE_PGM_RSRC2:TIDIG_COMP_CNT: 0
	.section	.text._ZN7rocprim17ROCPRIM_400000_NS6detail17trampoline_kernelINS0_14default_configENS1_35radix_sort_onesweep_config_selectorI6__halfNS0_10empty_typeEEEZZNS1_29radix_sort_onesweep_iterationIS3_Lb1EPKS5_PS5_PS6_SC_mNS0_19identity_decomposerENS1_16block_id_wrapperIjLb0EEEEE10hipError_tT1_PNSt15iterator_traitsISH_E10value_typeET2_T3_PNSI_ISN_E10value_typeET4_T5_PSS_ST_PNS1_23onesweep_lookback_stateEbbT6_jjT7_P12ihipStream_tbENKUlT_T0_SH_SM_E_clISB_SB_SC_SC_EEDaS10_S11_SH_SM_EUlS10_E_NS1_11comp_targetILNS1_3genE0ELNS1_11target_archE4294967295ELNS1_3gpuE0ELNS1_3repE0EEENS1_47radix_sort_onesweep_sort_config_static_selectorELNS0_4arch9wavefront6targetE0EEEvSH_,"axG",@progbits,_ZN7rocprim17ROCPRIM_400000_NS6detail17trampoline_kernelINS0_14default_configENS1_35radix_sort_onesweep_config_selectorI6__halfNS0_10empty_typeEEEZZNS1_29radix_sort_onesweep_iterationIS3_Lb1EPKS5_PS5_PS6_SC_mNS0_19identity_decomposerENS1_16block_id_wrapperIjLb0EEEEE10hipError_tT1_PNSt15iterator_traitsISH_E10value_typeET2_T3_PNSI_ISN_E10value_typeET4_T5_PSS_ST_PNS1_23onesweep_lookback_stateEbbT6_jjT7_P12ihipStream_tbENKUlT_T0_SH_SM_E_clISB_SB_SC_SC_EEDaS10_S11_SH_SM_EUlS10_E_NS1_11comp_targetILNS1_3genE0ELNS1_11target_archE4294967295ELNS1_3gpuE0ELNS1_3repE0EEENS1_47radix_sort_onesweep_sort_config_static_selectorELNS0_4arch9wavefront6targetE0EEEvSH_,comdat
	.protected	_ZN7rocprim17ROCPRIM_400000_NS6detail17trampoline_kernelINS0_14default_configENS1_35radix_sort_onesweep_config_selectorI6__halfNS0_10empty_typeEEEZZNS1_29radix_sort_onesweep_iterationIS3_Lb1EPKS5_PS5_PS6_SC_mNS0_19identity_decomposerENS1_16block_id_wrapperIjLb0EEEEE10hipError_tT1_PNSt15iterator_traitsISH_E10value_typeET2_T3_PNSI_ISN_E10value_typeET4_T5_PSS_ST_PNS1_23onesweep_lookback_stateEbbT6_jjT7_P12ihipStream_tbENKUlT_T0_SH_SM_E_clISB_SB_SC_SC_EEDaS10_S11_SH_SM_EUlS10_E_NS1_11comp_targetILNS1_3genE0ELNS1_11target_archE4294967295ELNS1_3gpuE0ELNS1_3repE0EEENS1_47radix_sort_onesweep_sort_config_static_selectorELNS0_4arch9wavefront6targetE0EEEvSH_ ; -- Begin function _ZN7rocprim17ROCPRIM_400000_NS6detail17trampoline_kernelINS0_14default_configENS1_35radix_sort_onesweep_config_selectorI6__halfNS0_10empty_typeEEEZZNS1_29radix_sort_onesweep_iterationIS3_Lb1EPKS5_PS5_PS6_SC_mNS0_19identity_decomposerENS1_16block_id_wrapperIjLb0EEEEE10hipError_tT1_PNSt15iterator_traitsISH_E10value_typeET2_T3_PNSI_ISN_E10value_typeET4_T5_PSS_ST_PNS1_23onesweep_lookback_stateEbbT6_jjT7_P12ihipStream_tbENKUlT_T0_SH_SM_E_clISB_SB_SC_SC_EEDaS10_S11_SH_SM_EUlS10_E_NS1_11comp_targetILNS1_3genE0ELNS1_11target_archE4294967295ELNS1_3gpuE0ELNS1_3repE0EEENS1_47radix_sort_onesweep_sort_config_static_selectorELNS0_4arch9wavefront6targetE0EEEvSH_
	.globl	_ZN7rocprim17ROCPRIM_400000_NS6detail17trampoline_kernelINS0_14default_configENS1_35radix_sort_onesweep_config_selectorI6__halfNS0_10empty_typeEEEZZNS1_29radix_sort_onesweep_iterationIS3_Lb1EPKS5_PS5_PS6_SC_mNS0_19identity_decomposerENS1_16block_id_wrapperIjLb0EEEEE10hipError_tT1_PNSt15iterator_traitsISH_E10value_typeET2_T3_PNSI_ISN_E10value_typeET4_T5_PSS_ST_PNS1_23onesweep_lookback_stateEbbT6_jjT7_P12ihipStream_tbENKUlT_T0_SH_SM_E_clISB_SB_SC_SC_EEDaS10_S11_SH_SM_EUlS10_E_NS1_11comp_targetILNS1_3genE0ELNS1_11target_archE4294967295ELNS1_3gpuE0ELNS1_3repE0EEENS1_47radix_sort_onesweep_sort_config_static_selectorELNS0_4arch9wavefront6targetE0EEEvSH_
	.p2align	8
	.type	_ZN7rocprim17ROCPRIM_400000_NS6detail17trampoline_kernelINS0_14default_configENS1_35radix_sort_onesweep_config_selectorI6__halfNS0_10empty_typeEEEZZNS1_29radix_sort_onesweep_iterationIS3_Lb1EPKS5_PS5_PS6_SC_mNS0_19identity_decomposerENS1_16block_id_wrapperIjLb0EEEEE10hipError_tT1_PNSt15iterator_traitsISH_E10value_typeET2_T3_PNSI_ISN_E10value_typeET4_T5_PSS_ST_PNS1_23onesweep_lookback_stateEbbT6_jjT7_P12ihipStream_tbENKUlT_T0_SH_SM_E_clISB_SB_SC_SC_EEDaS10_S11_SH_SM_EUlS10_E_NS1_11comp_targetILNS1_3genE0ELNS1_11target_archE4294967295ELNS1_3gpuE0ELNS1_3repE0EEENS1_47radix_sort_onesweep_sort_config_static_selectorELNS0_4arch9wavefront6targetE0EEEvSH_,@function
_ZN7rocprim17ROCPRIM_400000_NS6detail17trampoline_kernelINS0_14default_configENS1_35radix_sort_onesweep_config_selectorI6__halfNS0_10empty_typeEEEZZNS1_29radix_sort_onesweep_iterationIS3_Lb1EPKS5_PS5_PS6_SC_mNS0_19identity_decomposerENS1_16block_id_wrapperIjLb0EEEEE10hipError_tT1_PNSt15iterator_traitsISH_E10value_typeET2_T3_PNSI_ISN_E10value_typeET4_T5_PSS_ST_PNS1_23onesweep_lookback_stateEbbT6_jjT7_P12ihipStream_tbENKUlT_T0_SH_SM_E_clISB_SB_SC_SC_EEDaS10_S11_SH_SM_EUlS10_E_NS1_11comp_targetILNS1_3genE0ELNS1_11target_archE4294967295ELNS1_3gpuE0ELNS1_3repE0EEENS1_47radix_sort_onesweep_sort_config_static_selectorELNS0_4arch9wavefront6targetE0EEEvSH_: ; @_ZN7rocprim17ROCPRIM_400000_NS6detail17trampoline_kernelINS0_14default_configENS1_35radix_sort_onesweep_config_selectorI6__halfNS0_10empty_typeEEEZZNS1_29radix_sort_onesweep_iterationIS3_Lb1EPKS5_PS5_PS6_SC_mNS0_19identity_decomposerENS1_16block_id_wrapperIjLb0EEEEE10hipError_tT1_PNSt15iterator_traitsISH_E10value_typeET2_T3_PNSI_ISN_E10value_typeET4_T5_PSS_ST_PNS1_23onesweep_lookback_stateEbbT6_jjT7_P12ihipStream_tbENKUlT_T0_SH_SM_E_clISB_SB_SC_SC_EEDaS10_S11_SH_SM_EUlS10_E_NS1_11comp_targetILNS1_3genE0ELNS1_11target_archE4294967295ELNS1_3gpuE0ELNS1_3repE0EEENS1_47radix_sort_onesweep_sort_config_static_selectorELNS0_4arch9wavefront6targetE0EEEvSH_
; %bb.0:
	s_clause 0x3
	s_load_b96 s[20:22], s[0:1], 0x44
	s_load_b64 s[10:11], s[0:1], 0x38
	s_load_b128 s[16:19], s[0:1], 0x0
	s_load_b128 s[12:15], s[0:1], 0x28
	s_bfe_u32 s2, ttmp6, 0x4000c
	s_and_b32 s3, ttmp6, 15
	s_add_co_i32 s2, s2, 1
	s_getreg_b32 s4, hwreg(HW_REG_IB_STS2, 6, 4)
	s_mul_i32 s5, ttmp9, s2
	v_mbcnt_lo_u32_b32 v14, -1, 0
	s_add_co_i32 s3, s3, s5
	s_cmp_eq_u32 s4, 0
	v_and_b32_e32 v15, 0x1e0, v0
	s_cselect_b32 s9, ttmp9, s3
	s_mov_b32 s25, 0
	s_mov_b32 s2, -1
	s_mul_i32 s24, s9, 0x1800
	s_add_nc_u64 s[26:27], s[0:1], 0x58
	s_wait_kmcnt 0x0
	s_cmp_ge_u32 s9, s22
	s_cbranch_scc0 .LBB2190_96
; %bb.1:
	s_load_b32 s4, s[0:1], 0x20
	v_dual_mov_b32 v3, 0 :: v_dual_lshlrev_b32 v2, 1, v14
	s_lshl_b64 s[2:3], s[24:25], 1
	v_mul_u32_u24_e32 v1, 12, v15
	s_add_nc_u64 s[2:3], s[16:17], s[2:3]
	v_dual_mov_b32 v12, -1 :: v_dual_mov_b32 v10, -1
	v_add_nc_u64_e32 v[4:5], s[2:3], v[2:3]
	s_delay_alu instid0(VALU_DEP_3) | instskip(SKIP_1) | instid1(VALU_DEP_1)
	v_dual_lshlrev_b32 v2, 1, v1 :: v_dual_bitop2_b32 v1, v14, v1 bitop3:0x54
	s_mul_i32 s2, s22, 0xffffe800
	v_add_nc_u64_e32 v[2:3], v[4:5], v[2:3]
	s_wait_kmcnt 0x0
	s_add_co_i32 s22, s4, s2
	s_mov_b32 s2, exec_lo
	v_cmpx_gt_u32_e64 s22, v1
	s_cbranch_execz .LBB2190_3
; %bb.2:
	global_load_u16 v10, v[2:3], off
.LBB2190_3:
	s_wait_xcnt 0x0
	s_or_b32 exec_lo, exec_lo, s2
	v_or_b32_e32 v4, 32, v1
	s_mov_b32 s2, exec_lo
	s_delay_alu instid0(VALU_DEP_1)
	v_cmpx_gt_u32_e64 s22, v4
	s_cbranch_execz .LBB2190_5
; %bb.4:
	global_load_u16 v12, v[2:3], off offset:64
.LBB2190_5:
	s_wait_xcnt 0x0
	s_or_b32 exec_lo, exec_lo, s2
	v_dual_mov_b32 v21, -1 :: v_dual_bitop2_b32 v4, 64, v1 bitop3:0x54
	v_mov_b32_e32 v17, -1
	s_mov_b32 s2, exec_lo
	s_delay_alu instid0(VALU_DEP_2)
	v_cmpx_gt_u32_e64 s22, v4
	s_cbranch_execz .LBB2190_7
; %bb.6:
	global_load_u16 v17, v[2:3], off offset:128
.LBB2190_7:
	s_wait_xcnt 0x0
	s_or_b32 exec_lo, exec_lo, s2
	v_or_b32_e32 v4, 0x60, v1
	s_mov_b32 s2, exec_lo
	s_delay_alu instid0(VALU_DEP_1)
	v_cmpx_gt_u32_e64 s22, v4
	s_cbranch_execz .LBB2190_9
; %bb.8:
	global_load_u16 v21, v[2:3], off offset:192
.LBB2190_9:
	s_wait_xcnt 0x0
	s_or_b32 exec_lo, exec_lo, s2
	v_dual_mov_b32 v25, -1 :: v_dual_add_nc_u32 v4, 0x80, v1
	v_mov_b32_e32 v30, -1
	s_mov_b32 s2, exec_lo
	s_delay_alu instid0(VALU_DEP_2)
	v_cmpx_gt_u32_e64 s22, v4
	s_cbranch_execz .LBB2190_11
; %bb.10:
	global_load_u16 v25, v[2:3], off offset:256
.LBB2190_11:
	s_wait_xcnt 0x0
	s_or_b32 exec_lo, exec_lo, s2
	v_add_nc_u32_e32 v4, 0xa0, v1
	s_mov_b32 s2, exec_lo
	s_delay_alu instid0(VALU_DEP_1)
	v_cmpx_gt_u32_e64 s22, v4
	s_cbranch_execz .LBB2190_13
; %bb.12:
	global_load_u16 v30, v[2:3], off offset:320
.LBB2190_13:
	s_wait_xcnt 0x0
	s_or_b32 exec_lo, exec_lo, s2
	v_dual_mov_b32 v9, -1 :: v_dual_add_nc_u32 v4, 0xc0, v1
	v_mov_b32_e32 v8, -1
	s_mov_b32 s2, exec_lo
	s_delay_alu instid0(VALU_DEP_2)
	v_cmpx_gt_u32_e64 s22, v4
	s_cbranch_execz .LBB2190_15
; %bb.14:
	global_load_u16 v9, v[2:3], off offset:384
.LBB2190_15:
	s_wait_xcnt 0x0
	s_or_b32 exec_lo, exec_lo, s2
	v_add_nc_u32_e32 v4, 0xe0, v1
	;; [unrolled: 21-line block ×3, first 2 shown]
	s_mov_b32 s2, exec_lo
	s_delay_alu instid0(VALU_DEP_1)
	v_cmpx_gt_u32_e64 s22, v4
	s_cbranch_execz .LBB2190_21
; %bb.20:
	global_load_u16 v6, v[2:3], off offset:576
.LBB2190_21:
	s_wait_xcnt 0x0
	s_or_b32 exec_lo, exec_lo, s2
	v_dual_mov_b32 v4, -1 :: v_dual_add_nc_u32 v5, 0x140, v1
	s_delay_alu instid0(VALU_DEP_1)
	v_cmp_gt_u32_e32 vcc_lo, s22, v5
	v_mov_b32_e32 v5, -1
	s_and_saveexec_b32 s2, vcc_lo
	s_cbranch_execz .LBB2190_23
; %bb.22:
	global_load_u16 v5, v[2:3], off offset:640
.LBB2190_23:
	s_wait_xcnt 0x0
	s_or_b32 exec_lo, exec_lo, s2
	v_add_nc_u32_e32 v11, 0x160, v1
	v_and_b32_e32 v1, 0x3ff, v0
	s_mov_b32 s2, exec_lo
	s_delay_alu instid0(VALU_DEP_2)
	v_cmpx_gt_u32_e64 s22, v11
	s_cbranch_execz .LBB2190_25
; %bb.24:
	global_load_u16 v4, v[2:3], off offset:704
.LBB2190_25:
	s_wait_xcnt 0x0
	s_or_b32 exec_lo, exec_lo, s2
	s_wait_loadcnt 0x0
	v_cmp_gt_i16_e32 vcc_lo, 0, v10
	s_clause 0x1
	s_load_b32 s23, s[0:1], 0x58
	s_load_u16 s4, s[0:1], 0x66
	v_bfe_u32 v3, v0, 10, 10
	v_bfe_u32 v11, v0, 20, 10
	s_mov_b32 s3, 0
	v_cndmask_b32_e64 v2, 0x7fff, 0, vcc_lo
	s_delay_alu instid0(VALU_DEP_1) | instskip(NEXT) | instid1(VALU_DEP_1)
	v_xor_b32_e32 v10, v2, v10
	v_cmp_ne_u16_e32 vcc_lo, 0x8000, v10
	s_wait_kmcnt 0x0
	s_cmp_lt_u32 s9, s23
	v_cndmask_b32_e32 v2, 0x7fff, v10, vcc_lo
	s_cselect_b32 s2, 12, 18
	s_lshl_b32 s7, -1, s21
	v_mad_u32_u24 v3, v11, s4, v3
	s_add_nc_u64 s[2:3], s[26:27], s[2:3]
	v_and_b32_e32 v2, 0xffff, v2
	s_load_u16 s8, s[2:3], 0x0
	s_not_b32 s25, s7
	s_delay_alu instid0(VALU_DEP_1) | instskip(NEXT) | instid1(VALU_DEP_1)
	v_lshrrev_b32_e32 v2, s20, v2
	v_bitop3_b32 v16, v2, s7, v2 bitop3:0x30
	s_delay_alu instid0(VALU_DEP_1) | instskip(SKIP_4) | instid1(VALU_DEP_3)
	v_lshlrev_b32_e32 v18, 29, v16
	v_bitop3_b32 v11, v2, 1, s7 bitop3:0x40
	v_dual_lshlrev_b32 v13, 30, v16 :: v_dual_lshlrev_b32 v19, 28, v16
	v_dual_lshlrev_b32 v20, 27, v16 :: v_dual_lshlrev_b32 v22, 26, v16
	s_wait_xcnt 0x0
	v_add_co_u32 v2, s2, v11, -1
	s_delay_alu instid0(VALU_DEP_1) | instskip(SKIP_3) | instid1(VALU_DEP_4)
	v_cndmask_b32_e64 v11, 0, 1, s2
	v_cmp_gt_i32_e64 s2, 0, v13
	v_cmp_gt_i32_e64 s3, 0, v18
	v_dual_lshlrev_b32 v23, 25, v16 :: v_dual_lshlrev_b32 v24, 24, v16
	v_cmp_ne_u32_e32 vcc_lo, 0, v11
	v_not_b32_e32 v11, v13
	v_not_b32_e32 v13, v18
	v_not_b32_e32 v18, v19
	v_cmp_gt_i32_e64 s4, 0, v19
	v_cmp_gt_i32_e64 s5, 0, v20
	v_dual_ashrrev_i32 v11, 31, v11 :: v_dual_bitop2_b32 v2, vcc_lo, v2 bitop3:0x14
	v_not_b32_e32 v19, v20
	v_not_b32_e32 v20, v22
	v_dual_ashrrev_i32 v13, 31, v13 :: v_dual_ashrrev_i32 v18, 31, v18
	s_delay_alu instid0(VALU_DEP_4) | instskip(SKIP_1) | instid1(VALU_DEP_3)
	v_xor_b32_e32 v11, s2, v11
	v_cmp_gt_i32_e64 s6, 0, v22
	v_dual_ashrrev_i32 v19, 31, v19 :: v_dual_bitop2_b32 v13, s3, v13 bitop3:0x14
	v_ashrrev_i32_e32 v20, 31, v20
	s_delay_alu instid0(VALU_DEP_4)
	v_bitop3_b32 v2, v2, v11, exec_lo bitop3:0x80
	v_not_b32_e32 v11, v23
	v_xor_b32_e32 v18, s4, v18
	v_not_b32_e32 v22, v24
	v_xor_b32_e32 v19, s5, v19
	v_xor_b32_e32 v20, s6, v20
	v_cmp_gt_i32_e32 vcc_lo, 0, v23
	v_ashrrev_i32_e32 v11, 31, v11
	v_bitop3_b32 v2, v2, v18, v13 bitop3:0x80
	v_cmp_gt_i32_e64 s2, 0, v24
	v_ashrrev_i32_e32 v13, 31, v22
	s_wait_kmcnt 0x0
	v_mad_u32 v22, v3, s8, v1
	v_mov_b32_e32 v18, 0
	v_bitop3_b32 v2, v2, v20, v19 bitop3:0x80
	v_xor_b32_e32 v3, vcc_lo, v11
	v_xor_b32_e32 v11, s2, v13
	v_mul_u32_u24_e32 v13, 36, v1
	ds_store_2addr_b32 v13, v18, v18 offset0:16 offset1:17
	ds_store_2addr_b32 v13, v18, v18 offset0:18 offset1:19
	ds_store_2addr_b32 v13, v18, v18 offset0:20 offset1:21
	ds_store_2addr_b32 v13, v18, v18 offset0:22 offset1:23
	v_bitop3_b32 v3, v2, v11, v3 bitop3:0x80
	v_lshrrev_b32_e32 v2, 5, v22
	ds_store_b32 v13, v18 offset:96
	s_wait_dscnt 0x0
	s_barrier_signal -1
	v_mbcnt_lo_u32_b32 v11, v3, 0
	v_lshlrev_b32_e32 v2, 2, v2
	v_cmp_ne_u32_e64 s2, 0, v3
	s_barrier_wait -1
	s_delay_alu instid0(VALU_DEP_3) | instskip(NEXT) | instid1(VALU_DEP_3)
	v_cmp_eq_u32_e32 vcc_lo, 0, v11
	v_mad_u32_u24 v16, 0x44, v16, v2
	; wave barrier
	s_and_b32 s3, s2, vcc_lo
	s_delay_alu instid0(SALU_CYCLE_1)
	s_and_saveexec_b32 s2, s3
; %bb.26:
	v_bcnt_u32_b32 v3, v3, 0
	ds_store_b32 v16, v3 offset:64
; %bb.27:
	s_or_b32 exec_lo, exec_lo, s2
	v_cmp_gt_i16_e32 vcc_lo, 0, v12
	; wave barrier
	v_cndmask_b32_e64 v3, 0x7fff, 0, vcc_lo
	s_delay_alu instid0(VALU_DEP_1) | instskip(NEXT) | instid1(VALU_DEP_1)
	v_xor_b32_e32 v12, v3, v12
	v_cmp_ne_u16_e32 vcc_lo, 0x8000, v12
	v_cndmask_b32_e32 v3, 0x7fff, v12, vcc_lo
	s_delay_alu instid0(VALU_DEP_1) | instskip(NEXT) | instid1(VALU_DEP_1)
	v_and_b32_e32 v3, 0xffff, v3
	v_lshrrev_b32_e32 v3, s20, v3
	s_delay_alu instid0(VALU_DEP_1) | instskip(SKIP_1) | instid1(VALU_DEP_2)
	v_bitop3_b32 v18, v3, 1, s25 bitop3:0x80
	v_and_b32_e32 v3, s25, v3
	v_add_co_u32 v18, s2, v18, -1
	s_delay_alu instid0(VALU_DEP_1) | instskip(NEXT) | instid1(VALU_DEP_3)
	v_cndmask_b32_e64 v19, 0, 1, s2
	v_dual_lshlrev_b32 v20, 30, v3 :: v_dual_lshlrev_b32 v22, 29, v3
	s_delay_alu instid0(VALU_DEP_2) | instskip(NEXT) | instid1(VALU_DEP_2)
	v_cmp_ne_u32_e32 vcc_lo, 0, v19
	v_cmp_gt_i32_e64 s2, 0, v20
	v_not_b32_e32 v19, v20
	s_delay_alu instid0(VALU_DEP_4) | instskip(SKIP_1) | instid1(VALU_DEP_2)
	v_not_b32_e32 v20, v22
	v_cmp_gt_i32_e64 s3, 0, v22
	v_dual_ashrrev_i32 v20, 31, v20 :: v_dual_bitop2_b32 v18, vcc_lo, v18 bitop3:0x14
	v_dual_lshlrev_b32 v23, 28, v3 :: v_dual_lshlrev_b32 v24, 27, v3
	v_dual_lshlrev_b32 v26, 26, v3 :: v_dual_lshlrev_b32 v27, 25, v3
	v_lshlrev_b32_e32 v28, 24, v3
	s_delay_alu instid0(VALU_DEP_3) | instskip(SKIP_4) | instid1(VALU_DEP_4)
	v_cmp_gt_i32_e64 s4, 0, v23
	v_not_b32_e32 v22, v23
	v_cmp_gt_i32_e64 s5, 0, v24
	v_not_b32_e32 v23, v24
	v_not_b32_e32 v24, v26
	v_dual_ashrrev_i32 v19, 31, v19 :: v_dual_ashrrev_i32 v22, 31, v22
	v_cmp_gt_i32_e64 s6, 0, v26
	v_cmp_gt_i32_e64 s7, 0, v27
	s_delay_alu instid0(VALU_DEP_3)
	v_dual_ashrrev_i32 v24, 31, v24 :: v_dual_bitop2_b32 v19, s2, v19 bitop3:0x14
	v_not_b32_e32 v26, v27
	v_not_b32_e32 v27, v28
	v_dual_ashrrev_i32 v23, 31, v23 :: v_dual_bitop2_b32 v20, s3, v20 bitop3:0x14
	v_xor_b32_e32 v22, s4, v22
	v_bitop3_b32 v18, v18, v19, exec_lo bitop3:0x80
	v_cmp_gt_i32_e64 s8, 0, v28
	s_delay_alu instid0(VALU_DEP_4) | instskip(SKIP_1) | instid1(VALU_DEP_4)
	v_dual_ashrrev_i32 v19, 31, v26 :: v_dual_bitop2_b32 v23, s5, v23 bitop3:0x14
	v_dual_ashrrev_i32 v26, 31, v27 :: v_dual_bitop2_b32 v24, s6, v24 bitop3:0x14
	v_bitop3_b32 v18, v18, v22, v20 bitop3:0x80
	v_mad_u32_u24 v20, 0x44, v3, v2
	s_delay_alu instid0(VALU_DEP_4) | instskip(NEXT) | instid1(VALU_DEP_4)
	v_xor_b32_e32 v3, s7, v19
	v_xor_b32_e32 v19, s8, v26
	s_delay_alu instid0(VALU_DEP_4) | instskip(SKIP_2) | instid1(VALU_DEP_1)
	v_bitop3_b32 v22, v18, v24, v23 bitop3:0x80
	ds_load_b32 v18, v20 offset:64
	; wave barrier
	v_bitop3_b32 v3, v22, v19, v3 bitop3:0x80
	v_mbcnt_lo_u32_b32 v19, v3, 0
	v_cmp_ne_u32_e64 s2, 0, v3
	s_delay_alu instid0(VALU_DEP_2) | instskip(SKIP_1) | instid1(SALU_CYCLE_1)
	v_cmp_eq_u32_e32 vcc_lo, 0, v19
	s_and_b32 s3, s2, vcc_lo
	s_and_saveexec_b32 s2, s3
	s_cbranch_execz .LBB2190_29
; %bb.28:
	s_wait_dscnt 0x0
	v_bcnt_u32_b32 v3, v3, v18
	ds_store_b32 v20, v3 offset:64
.LBB2190_29:
	s_or_b32 exec_lo, exec_lo, s2
	v_cmp_gt_i16_e32 vcc_lo, 0, v17
	; wave barrier
	v_cndmask_b32_e64 v3, 0x7fff, 0, vcc_lo
	s_delay_alu instid0(VALU_DEP_1) | instskip(NEXT) | instid1(VALU_DEP_1)
	v_xor_b32_e32 v17, v3, v17
	v_cmp_ne_u16_e32 vcc_lo, 0x8000, v17
	v_cndmask_b32_e32 v3, 0x7fff, v17, vcc_lo
	s_delay_alu instid0(VALU_DEP_1) | instskip(NEXT) | instid1(VALU_DEP_1)
	v_and_b32_e32 v3, 0xffff, v3
	v_lshrrev_b32_e32 v3, s20, v3
	s_delay_alu instid0(VALU_DEP_1) | instskip(SKIP_1) | instid1(VALU_DEP_2)
	v_bitop3_b32 v22, v3, 1, s25 bitop3:0x80
	v_and_b32_e32 v3, s25, v3
	v_add_co_u32 v22, s2, v22, -1
	s_delay_alu instid0(VALU_DEP_1) | instskip(NEXT) | instid1(VALU_DEP_3)
	v_cndmask_b32_e64 v23, 0, 1, s2
	v_dual_lshlrev_b32 v24, 30, v3 :: v_dual_lshlrev_b32 v26, 29, v3
	v_lshlrev_b32_e32 v27, 28, v3
	s_delay_alu instid0(VALU_DEP_3) | instskip(NEXT) | instid1(VALU_DEP_3)
	v_cmp_ne_u32_e32 vcc_lo, 0, v23
	v_cmp_gt_i32_e64 s2, 0, v24
	v_not_b32_e32 v23, v24
	v_cmp_gt_i32_e64 s3, 0, v26
	v_not_b32_e32 v24, v26
	v_not_b32_e32 v26, v27
	s_delay_alu instid0(VALU_DEP_2) | instskip(NEXT) | instid1(VALU_DEP_2)
	v_dual_ashrrev_i32 v24, 31, v24 :: v_dual_bitop2_b32 v22, vcc_lo, v22 bitop3:0x14
	v_dual_ashrrev_i32 v26, 31, v26 :: v_dual_lshlrev_b32 v28, 27, v3
	v_dual_lshlrev_b32 v29, 26, v3 :: v_dual_lshlrev_b32 v31, 25, v3
	v_cmp_gt_i32_e64 s4, 0, v27
	v_lshlrev_b32_e32 v32, 24, v3
	s_delay_alu instid0(VALU_DEP_4)
	v_cmp_gt_i32_e64 s5, 0, v28
	v_not_b32_e32 v27, v28
	v_not_b32_e32 v28, v29
	v_ashrrev_i32_e32 v23, 31, v23
	v_cmp_gt_i32_e64 s6, 0, v29
	v_cmp_gt_i32_e64 s7, 0, v31
	v_not_b32_e32 v29, v31
	s_delay_alu instid0(VALU_DEP_4) | instskip(SKIP_3) | instid1(VALU_DEP_4)
	v_dual_ashrrev_i32 v28, 31, v28 :: v_dual_bitop2_b32 v23, s2, v23 bitop3:0x14
	v_not_b32_e32 v31, v32
	v_dual_ashrrev_i32 v27, 31, v27 :: v_dual_bitop2_b32 v24, s3, v24 bitop3:0x14
	v_xor_b32_e32 v26, s4, v26
	v_bitop3_b32 v22, v22, v23, exec_lo bitop3:0x80
	v_cmp_gt_i32_e64 s8, 0, v32
	v_dual_ashrrev_i32 v23, 31, v29 :: v_dual_ashrrev_i32 v29, 31, v31
	v_xor_b32_e32 v28, s6, v28
	v_xor_b32_e32 v27, s5, v27
	v_bitop3_b32 v22, v22, v26, v24 bitop3:0x80
	v_mad_u32_u24 v24, 0x44, v3, v2
	v_xor_b32_e32 v3, s7, v23
	v_xor_b32_e32 v23, s8, v29
	s_delay_alu instid0(VALU_DEP_4) | instskip(SKIP_2) | instid1(VALU_DEP_1)
	v_bitop3_b32 v26, v22, v28, v27 bitop3:0x80
	ds_load_b32 v22, v24 offset:64
	; wave barrier
	v_bitop3_b32 v3, v26, v23, v3 bitop3:0x80
	v_mbcnt_lo_u32_b32 v23, v3, 0
	v_cmp_ne_u32_e64 s2, 0, v3
	s_delay_alu instid0(VALU_DEP_2) | instskip(SKIP_1) | instid1(SALU_CYCLE_1)
	v_cmp_eq_u32_e32 vcc_lo, 0, v23
	s_and_b32 s3, s2, vcc_lo
	s_and_saveexec_b32 s2, s3
	s_cbranch_execz .LBB2190_31
; %bb.30:
	s_wait_dscnt 0x0
	v_bcnt_u32_b32 v3, v3, v22
	ds_store_b32 v24, v3 offset:64
.LBB2190_31:
	s_or_b32 exec_lo, exec_lo, s2
	v_cmp_gt_i16_e32 vcc_lo, 0, v21
	; wave barrier
	v_cndmask_b32_e64 v3, 0x7fff, 0, vcc_lo
	s_delay_alu instid0(VALU_DEP_1) | instskip(NEXT) | instid1(VALU_DEP_1)
	v_xor_b32_e32 v21, v3, v21
	v_cmp_ne_u16_e32 vcc_lo, 0x8000, v21
	v_cndmask_b32_e32 v3, 0x7fff, v21, vcc_lo
	s_delay_alu instid0(VALU_DEP_1) | instskip(NEXT) | instid1(VALU_DEP_1)
	v_and_b32_e32 v3, 0xffff, v3
	v_lshrrev_b32_e32 v3, s20, v3
	s_delay_alu instid0(VALU_DEP_1) | instskip(SKIP_1) | instid1(VALU_DEP_2)
	v_bitop3_b32 v26, v3, 1, s25 bitop3:0x80
	v_and_b32_e32 v3, s25, v3
	v_add_co_u32 v26, s2, v26, -1
	s_delay_alu instid0(VALU_DEP_1) | instskip(NEXT) | instid1(VALU_DEP_3)
	v_cndmask_b32_e64 v27, 0, 1, s2
	v_dual_lshlrev_b32 v28, 30, v3 :: v_dual_lshlrev_b32 v29, 29, v3
	v_lshlrev_b32_e32 v31, 28, v3
	s_delay_alu instid0(VALU_DEP_3) | instskip(NEXT) | instid1(VALU_DEP_3)
	v_cmp_ne_u32_e32 vcc_lo, 0, v27
	v_cmp_gt_i32_e64 s2, 0, v28
	v_not_b32_e32 v27, v28
	v_cmp_gt_i32_e64 s3, 0, v29
	v_not_b32_e32 v28, v29
	v_not_b32_e32 v29, v31
	s_delay_alu instid0(VALU_DEP_2) | instskip(NEXT) | instid1(VALU_DEP_2)
	v_dual_ashrrev_i32 v28, 31, v28 :: v_dual_bitop2_b32 v26, vcc_lo, v26 bitop3:0x14
	v_dual_ashrrev_i32 v29, 31, v29 :: v_dual_lshlrev_b32 v32, 27, v3
	v_dual_lshlrev_b32 v33, 26, v3 :: v_dual_lshlrev_b32 v34, 25, v3
	v_lshlrev_b32_e32 v35, 24, v3
	v_cmp_gt_i32_e64 s4, 0, v31
	s_delay_alu instid0(VALU_DEP_4)
	v_cmp_gt_i32_e64 s5, 0, v32
	v_not_b32_e32 v31, v32
	v_not_b32_e32 v32, v33
	v_ashrrev_i32_e32 v27, 31, v27
	v_cmp_gt_i32_e64 s6, 0, v33
	v_cmp_gt_i32_e64 s7, 0, v34
	v_not_b32_e32 v33, v34
	v_not_b32_e32 v34, v35
	v_dual_ashrrev_i32 v32, 31, v32 :: v_dual_bitop2_b32 v27, s2, v27 bitop3:0x14
	v_dual_ashrrev_i32 v31, 31, v31 :: v_dual_bitop2_b32 v28, s3, v28 bitop3:0x14
	v_xor_b32_e32 v29, s4, v29
	v_cmp_gt_i32_e64 s8, 0, v35
	s_delay_alu instid0(VALU_DEP_4) | instskip(NEXT) | instid1(VALU_DEP_4)
	v_bitop3_b32 v26, v26, v27, exec_lo bitop3:0x80
	v_dual_ashrrev_i32 v27, 31, v33 :: v_dual_bitop2_b32 v31, s5, v31 bitop3:0x14
	v_dual_ashrrev_i32 v33, 31, v34 :: v_dual_bitop2_b32 v32, s6, v32 bitop3:0x14
	s_delay_alu instid0(VALU_DEP_3) | instskip(SKIP_1) | instid1(VALU_DEP_4)
	v_bitop3_b32 v26, v26, v29, v28 bitop3:0x80
	v_mad_u32_u24 v28, 0x44, v3, v2
	v_xor_b32_e32 v3, s7, v27
	s_delay_alu instid0(VALU_DEP_4) | instskip(NEXT) | instid1(VALU_DEP_4)
	v_xor_b32_e32 v27, s8, v33
	v_bitop3_b32 v29, v26, v32, v31 bitop3:0x80
	ds_load_b32 v26, v28 offset:64
	; wave barrier
	v_bitop3_b32 v3, v29, v27, v3 bitop3:0x80
	s_delay_alu instid0(VALU_DEP_1) | instskip(SKIP_1) | instid1(VALU_DEP_2)
	v_mbcnt_lo_u32_b32 v27, v3, 0
	v_cmp_ne_u32_e64 s2, 0, v3
	v_cmp_eq_u32_e32 vcc_lo, 0, v27
	s_and_b32 s3, s2, vcc_lo
	s_delay_alu instid0(SALU_CYCLE_1)
	s_and_saveexec_b32 s2, s3
	s_cbranch_execz .LBB2190_33
; %bb.32:
	s_wait_dscnt 0x0
	v_bcnt_u32_b32 v3, v3, v26
	ds_store_b32 v28, v3 offset:64
.LBB2190_33:
	s_or_b32 exec_lo, exec_lo, s2
	v_cmp_gt_i16_e32 vcc_lo, 0, v25
	; wave barrier
	v_cndmask_b32_e64 v3, 0x7fff, 0, vcc_lo
	s_delay_alu instid0(VALU_DEP_1) | instskip(NEXT) | instid1(VALU_DEP_1)
	v_xor_b32_e32 v25, v3, v25
	v_cmp_ne_u16_e32 vcc_lo, 0x8000, v25
	v_cndmask_b32_e32 v3, 0x7fff, v25, vcc_lo
	s_delay_alu instid0(VALU_DEP_1) | instskip(NEXT) | instid1(VALU_DEP_1)
	v_and_b32_e32 v3, 0xffff, v3
	v_lshrrev_b32_e32 v3, s20, v3
	s_delay_alu instid0(VALU_DEP_1) | instskip(SKIP_1) | instid1(VALU_DEP_2)
	v_bitop3_b32 v29, v3, 1, s25 bitop3:0x80
	v_and_b32_e32 v3, s25, v3
	v_add_co_u32 v29, s2, v29, -1
	s_delay_alu instid0(VALU_DEP_1) | instskip(NEXT) | instid1(VALU_DEP_3)
	v_cndmask_b32_e64 v31, 0, 1, s2
	v_dual_lshlrev_b32 v32, 30, v3 :: v_dual_lshlrev_b32 v33, 29, v3
	v_lshlrev_b32_e32 v34, 28, v3
	s_delay_alu instid0(VALU_DEP_3) | instskip(NEXT) | instid1(VALU_DEP_3)
	v_cmp_ne_u32_e32 vcc_lo, 0, v31
	v_cmp_gt_i32_e64 s2, 0, v32
	v_not_b32_e32 v31, v32
	v_cmp_gt_i32_e64 s3, 0, v33
	v_not_b32_e32 v32, v33
	v_not_b32_e32 v33, v34
	s_delay_alu instid0(VALU_DEP_2) | instskip(NEXT) | instid1(VALU_DEP_2)
	v_dual_ashrrev_i32 v32, 31, v32 :: v_dual_bitop2_b32 v29, vcc_lo, v29 bitop3:0x14
	v_dual_ashrrev_i32 v33, 31, v33 :: v_dual_lshlrev_b32 v35, 27, v3
	v_dual_lshlrev_b32 v36, 26, v3 :: v_dual_lshlrev_b32 v37, 25, v3
	v_lshlrev_b32_e32 v38, 24, v3
	v_cmp_gt_i32_e64 s4, 0, v34
	s_delay_alu instid0(VALU_DEP_4)
	v_not_b32_e32 v34, v35
	v_ashrrev_i32_e32 v31, 31, v31
	v_cmp_gt_i32_e64 s5, 0, v35
	v_cmp_gt_i32_e64 s6, 0, v36
	v_not_b32_e32 v35, v36
	v_cmp_gt_i32_e64 s7, 0, v37
	v_not_b32_e32 v36, v37
	v_not_b32_e32 v37, v38
	v_dual_ashrrev_i32 v34, 31, v34 :: v_dual_bitop2_b32 v31, s2, v31 bitop3:0x14
	v_dual_ashrrev_i32 v35, 31, v35 :: v_dual_bitop2_b32 v32, s3, v32 bitop3:0x14
	v_xor_b32_e32 v33, s4, v33
	v_cmp_gt_i32_e64 s8, 0, v38
	s_delay_alu instid0(VALU_DEP_4) | instskip(SKIP_3) | instid1(VALU_DEP_4)
	v_bitop3_b32 v29, v29, v31, exec_lo bitop3:0x80
	v_dual_ashrrev_i32 v31, 31, v36 :: v_dual_ashrrev_i32 v36, 31, v37
	v_xor_b32_e32 v34, s5, v34
	v_xor_b32_e32 v35, s6, v35
	v_bitop3_b32 v29, v29, v33, v32 bitop3:0x80
	v_mad_u32_u24 v32, 0x44, v3, v2
	v_xor_b32_e32 v3, s7, v31
	v_xor_b32_e32 v31, s8, v36
	s_delay_alu instid0(VALU_DEP_4) | instskip(SKIP_2) | instid1(VALU_DEP_1)
	v_bitop3_b32 v33, v29, v35, v34 bitop3:0x80
	ds_load_b32 v29, v32 offset:64
	; wave barrier
	v_bitop3_b32 v3, v33, v31, v3 bitop3:0x80
	v_mbcnt_lo_u32_b32 v31, v3, 0
	v_cmp_ne_u32_e64 s2, 0, v3
	s_delay_alu instid0(VALU_DEP_2) | instskip(SKIP_1) | instid1(SALU_CYCLE_1)
	v_cmp_eq_u32_e32 vcc_lo, 0, v31
	s_and_b32 s3, s2, vcc_lo
	s_and_saveexec_b32 s2, s3
	s_cbranch_execz .LBB2190_35
; %bb.34:
	s_wait_dscnt 0x0
	v_bcnt_u32_b32 v3, v3, v29
	ds_store_b32 v32, v3 offset:64
.LBB2190_35:
	s_or_b32 exec_lo, exec_lo, s2
	v_cmp_gt_i16_e32 vcc_lo, 0, v30
	; wave barrier
	v_cndmask_b32_e64 v3, 0x7fff, 0, vcc_lo
	s_delay_alu instid0(VALU_DEP_1) | instskip(NEXT) | instid1(VALU_DEP_1)
	v_xor_b32_e32 v30, v3, v30
	v_cmp_ne_u16_e32 vcc_lo, 0x8000, v30
	v_cndmask_b32_e32 v3, 0x7fff, v30, vcc_lo
	s_delay_alu instid0(VALU_DEP_1) | instskip(NEXT) | instid1(VALU_DEP_1)
	v_and_b32_e32 v3, 0xffff, v3
	v_lshrrev_b32_e32 v3, s20, v3
	s_delay_alu instid0(VALU_DEP_1) | instskip(SKIP_1) | instid1(VALU_DEP_2)
	v_bitop3_b32 v33, v3, 1, s25 bitop3:0x80
	v_and_b32_e32 v3, s25, v3
	v_add_co_u32 v33, s2, v33, -1
	s_delay_alu instid0(VALU_DEP_1) | instskip(NEXT) | instid1(VALU_DEP_3)
	v_cndmask_b32_e64 v34, 0, 1, s2
	v_lshlrev_b32_e32 v35, 30, v3
	s_delay_alu instid0(VALU_DEP_2) | instskip(NEXT) | instid1(VALU_DEP_2)
	v_cmp_ne_u32_e32 vcc_lo, 0, v34
	v_not_b32_e32 v34, v35
	s_delay_alu instid0(VALU_DEP_1) | instskip(SKIP_4) | instid1(VALU_DEP_4)
	v_dual_ashrrev_i32 v34, 31, v34 :: v_dual_bitop2_b32 v33, vcc_lo, v33 bitop3:0x14
	v_dual_lshlrev_b32 v36, 29, v3 :: v_dual_lshlrev_b32 v37, 28, v3
	v_dual_lshlrev_b32 v38, 27, v3 :: v_dual_lshlrev_b32 v39, 26, v3
	v_lshlrev_b32_e32 v40, 25, v3
	v_cmp_gt_i32_e64 s2, 0, v35
	v_cmp_gt_i32_e64 s3, 0, v36
	v_not_b32_e32 v35, v36
	v_not_b32_e32 v36, v37
	v_lshlrev_b32_e32 v41, 24, v3
	v_cmp_gt_i32_e64 s4, 0, v37
	v_cmp_gt_i32_e64 s5, 0, v38
	v_not_b32_e32 v37, v38
	v_not_b32_e32 v38, v39
	v_dual_ashrrev_i32 v35, 31, v35 :: v_dual_bitop2_b32 v34, s2, v34 bitop3:0x14
	v_ashrrev_i32_e32 v36, 31, v36
	v_cmp_gt_i32_e64 s6, 0, v39
	v_cmp_gt_i32_e64 s7, 0, v40
	v_not_b32_e32 v39, v40
	v_not_b32_e32 v40, v41
	v_dual_ashrrev_i32 v37, 31, v37 :: v_dual_ashrrev_i32 v38, 31, v38
	v_xor_b32_e32 v35, s3, v35
	v_xor_b32_e32 v36, s4, v36
	v_bitop3_b32 v33, v33, v34, exec_lo bitop3:0x80
	v_cmp_gt_i32_e64 s8, 0, v41
	v_dual_ashrrev_i32 v34, 31, v39 :: v_dual_ashrrev_i32 v39, 31, v40
	v_xor_b32_e32 v37, s5, v37
	v_xor_b32_e32 v38, s6, v38
	v_bitop3_b32 v33, v33, v36, v35 bitop3:0x80
	v_mad_u32_u24 v36, 0x44, v3, v2
	v_xor_b32_e32 v3, s7, v34
	v_xor_b32_e32 v34, s8, v39
	s_delay_alu instid0(VALU_DEP_4) | instskip(SKIP_2) | instid1(VALU_DEP_1)
	v_bitop3_b32 v35, v33, v38, v37 bitop3:0x80
	ds_load_b32 v33, v36 offset:64
	; wave barrier
	v_bitop3_b32 v3, v35, v34, v3 bitop3:0x80
	v_mbcnt_lo_u32_b32 v34, v3, 0
	v_cmp_ne_u32_e64 s2, 0, v3
	s_delay_alu instid0(VALU_DEP_2) | instskip(SKIP_1) | instid1(SALU_CYCLE_1)
	v_cmp_eq_u32_e32 vcc_lo, 0, v34
	s_and_b32 s3, s2, vcc_lo
	s_and_saveexec_b32 s2, s3
	s_cbranch_execz .LBB2190_37
; %bb.36:
	s_wait_dscnt 0x0
	v_bcnt_u32_b32 v3, v3, v33
	ds_store_b32 v36, v3 offset:64
.LBB2190_37:
	s_or_b32 exec_lo, exec_lo, s2
	v_cmp_gt_i16_e32 vcc_lo, 0, v9
	; wave barrier
	v_cndmask_b32_e64 v3, 0x7fff, 0, vcc_lo
	s_delay_alu instid0(VALU_DEP_1) | instskip(NEXT) | instid1(VALU_DEP_1)
	v_xor_b32_e32 v35, v3, v9
	v_cmp_ne_u16_e32 vcc_lo, 0x8000, v35
	v_cndmask_b32_e32 v3, 0x7fff, v35, vcc_lo
	s_delay_alu instid0(VALU_DEP_1) | instskip(NEXT) | instid1(VALU_DEP_1)
	v_and_b32_e32 v3, 0xffff, v3
	v_lshrrev_b32_e32 v3, s20, v3
	s_delay_alu instid0(VALU_DEP_1) | instskip(SKIP_1) | instid1(VALU_DEP_2)
	v_bitop3_b32 v9, v3, 1, s25 bitop3:0x80
	v_and_b32_e32 v3, s25, v3
	v_add_co_u32 v9, s2, v9, -1
	s_delay_alu instid0(VALU_DEP_1) | instskip(NEXT) | instid1(VALU_DEP_3)
	v_cndmask_b32_e64 v37, 0, 1, s2
	v_lshlrev_b32_e32 v38, 30, v3
	s_delay_alu instid0(VALU_DEP_2) | instskip(NEXT) | instid1(VALU_DEP_2)
	v_cmp_ne_u32_e32 vcc_lo, 0, v37
	v_not_b32_e32 v37, v38
	v_xor_b32_e32 v9, vcc_lo, v9
	s_delay_alu instid0(VALU_DEP_2) | instskip(SKIP_3) | instid1(VALU_DEP_4)
	v_dual_ashrrev_i32 v37, 31, v37 :: v_dual_lshlrev_b32 v39, 29, v3
	v_dual_lshlrev_b32 v40, 28, v3 :: v_dual_lshlrev_b32 v41, 27, v3
	v_dual_lshlrev_b32 v42, 26, v3 :: v_dual_lshlrev_b32 v43, 25, v3
	v_cmp_gt_i32_e64 s2, 0, v38
	v_cmp_gt_i32_e64 s3, 0, v39
	v_not_b32_e32 v38, v39
	v_not_b32_e32 v39, v40
	v_lshlrev_b32_e32 v44, 24, v3
	v_cmp_gt_i32_e64 s4, 0, v40
	v_cmp_gt_i32_e64 s5, 0, v41
	v_not_b32_e32 v40, v41
	v_not_b32_e32 v41, v42
	v_dual_ashrrev_i32 v38, 31, v38 :: v_dual_ashrrev_i32 v39, 31, v39
	v_xor_b32_e32 v37, s2, v37
	v_cmp_gt_i32_e64 s6, 0, v42
	v_cmp_gt_i32_e64 s7, 0, v43
	v_not_b32_e32 v42, v43
	v_not_b32_e32 v43, v44
	v_dual_ashrrev_i32 v40, 31, v40 :: v_dual_ashrrev_i32 v41, 31, v41
	v_xor_b32_e32 v38, s3, v38
	v_xor_b32_e32 v39, s4, v39
	v_bitop3_b32 v9, v9, v37, exec_lo bitop3:0x80
	v_cmp_gt_i32_e64 s8, 0, v44
	v_dual_ashrrev_i32 v37, 31, v42 :: v_dual_ashrrev_i32 v42, 31, v43
	v_xor_b32_e32 v43, s5, v40
	v_xor_b32_e32 v41, s6, v41
	v_bitop3_b32 v9, v9, v39, v38 bitop3:0x80
	v_mad_u32_u24 v40, 0x44, v3, v2
	v_xor_b32_e32 v3, s7, v37
	v_xor_b32_e32 v37, s8, v42
	s_delay_alu instid0(VALU_DEP_4) | instskip(SKIP_2) | instid1(VALU_DEP_1)
	v_bitop3_b32 v9, v9, v41, v43 bitop3:0x80
	ds_load_b32 v38, v40 offset:64
	; wave barrier
	v_bitop3_b32 v3, v9, v37, v3 bitop3:0x80
	v_mbcnt_lo_u32_b32 v39, v3, 0
	v_cmp_ne_u32_e64 s2, 0, v3
	s_delay_alu instid0(VALU_DEP_2) | instskip(SKIP_1) | instid1(SALU_CYCLE_1)
	v_cmp_eq_u32_e32 vcc_lo, 0, v39
	s_and_b32 s3, s2, vcc_lo
	s_and_saveexec_b32 s2, s3
	s_cbranch_execz .LBB2190_39
; %bb.38:
	s_wait_dscnt 0x0
	v_bcnt_u32_b32 v3, v3, v38
	ds_store_b32 v40, v3 offset:64
.LBB2190_39:
	s_or_b32 exec_lo, exec_lo, s2
	v_cmp_gt_i16_e32 vcc_lo, 0, v8
	; wave barrier
	v_cndmask_b32_e64 v3, 0x7fff, 0, vcc_lo
	s_delay_alu instid0(VALU_DEP_1) | instskip(NEXT) | instid1(VALU_DEP_1)
	v_xor_b32_e32 v37, v3, v8
	v_cmp_ne_u16_e32 vcc_lo, 0x8000, v37
	v_cndmask_b32_e32 v3, 0x7fff, v37, vcc_lo
	s_delay_alu instid0(VALU_DEP_1) | instskip(NEXT) | instid1(VALU_DEP_1)
	v_and_b32_e32 v3, 0xffff, v3
	v_lshrrev_b32_e32 v3, s20, v3
	s_delay_alu instid0(VALU_DEP_1) | instskip(SKIP_1) | instid1(VALU_DEP_2)
	v_bitop3_b32 v8, v3, 1, s25 bitop3:0x80
	v_and_b32_e32 v3, s25, v3
	v_add_co_u32 v8, s2, v8, -1
	s_delay_alu instid0(VALU_DEP_1) | instskip(NEXT) | instid1(VALU_DEP_3)
	v_cndmask_b32_e64 v9, 0, 1, s2
	v_lshlrev_b32_e32 v41, 30, v3
	s_delay_alu instid0(VALU_DEP_2) | instskip(NEXT) | instid1(VALU_DEP_2)
	v_cmp_ne_u32_e32 vcc_lo, 0, v9
	v_not_b32_e32 v9, v41
	s_delay_alu instid0(VALU_DEP_1) | instskip(SKIP_4) | instid1(VALU_DEP_4)
	v_dual_ashrrev_i32 v9, 31, v9 :: v_dual_bitop2_b32 v8, vcc_lo, v8 bitop3:0x14
	v_dual_lshlrev_b32 v42, 29, v3 :: v_dual_lshlrev_b32 v43, 28, v3
	v_dual_lshlrev_b32 v44, 27, v3 :: v_dual_lshlrev_b32 v45, 26, v3
	v_lshlrev_b32_e32 v46, 25, v3
	v_cmp_gt_i32_e64 s2, 0, v41
	v_cmp_gt_i32_e64 s3, 0, v42
	v_not_b32_e32 v41, v42
	v_not_b32_e32 v42, v43
	v_lshlrev_b32_e32 v47, 24, v3
	v_cmp_gt_i32_e64 s4, 0, v43
	v_cmp_gt_i32_e64 s5, 0, v44
	v_not_b32_e32 v43, v44
	v_not_b32_e32 v44, v45
	v_dual_ashrrev_i32 v41, 31, v41 :: v_dual_ashrrev_i32 v42, 31, v42
	v_xor_b32_e32 v9, s2, v9
	v_cmp_gt_i32_e64 s6, 0, v45
	v_cmp_gt_i32_e64 s7, 0, v46
	v_not_b32_e32 v45, v46
	v_not_b32_e32 v46, v47
	v_dual_ashrrev_i32 v43, 31, v43 :: v_dual_ashrrev_i32 v44, 31, v44
	v_xor_b32_e32 v41, s3, v41
	v_xor_b32_e32 v42, s4, v42
	v_bitop3_b32 v8, v8, v9, exec_lo bitop3:0x80
	v_cmp_gt_i32_e64 s8, 0, v47
	v_dual_ashrrev_i32 v9, 31, v45 :: v_dual_ashrrev_i32 v45, 31, v46
	v_xor_b32_e32 v43, s5, v43
	v_xor_b32_e32 v46, s6, v44
	v_bitop3_b32 v8, v8, v42, v41 bitop3:0x80
	v_mad_u32_u24 v44, 0x44, v3, v2
	v_xor_b32_e32 v3, s7, v9
	v_xor_b32_e32 v9, s8, v45
	s_delay_alu instid0(VALU_DEP_4) | instskip(SKIP_2) | instid1(VALU_DEP_1)
	v_bitop3_b32 v8, v8, v46, v43 bitop3:0x80
	ds_load_b32 v42, v44 offset:64
	; wave barrier
	v_bitop3_b32 v3, v8, v9, v3 bitop3:0x80
	v_mbcnt_lo_u32_b32 v43, v3, 0
	v_cmp_ne_u32_e64 s2, 0, v3
	s_delay_alu instid0(VALU_DEP_2) | instskip(SKIP_1) | instid1(SALU_CYCLE_1)
	v_cmp_eq_u32_e32 vcc_lo, 0, v43
	s_and_b32 s3, s2, vcc_lo
	s_and_saveexec_b32 s2, s3
	s_cbranch_execz .LBB2190_41
; %bb.40:
	s_wait_dscnt 0x0
	v_bcnt_u32_b32 v3, v3, v42
	ds_store_b32 v44, v3 offset:64
.LBB2190_41:
	s_or_b32 exec_lo, exec_lo, s2
	v_cmp_gt_i16_e32 vcc_lo, 0, v7
	; wave barrier
	v_cndmask_b32_e64 v3, 0x7fff, 0, vcc_lo
	s_delay_alu instid0(VALU_DEP_1) | instskip(NEXT) | instid1(VALU_DEP_1)
	v_xor_b32_e32 v41, v3, v7
	v_cmp_ne_u16_e32 vcc_lo, 0x8000, v41
	v_cndmask_b32_e32 v3, 0x7fff, v41, vcc_lo
	s_delay_alu instid0(VALU_DEP_1) | instskip(NEXT) | instid1(VALU_DEP_1)
	v_and_b32_e32 v3, 0xffff, v3
	v_lshrrev_b32_e32 v3, s20, v3
	s_delay_alu instid0(VALU_DEP_1) | instskip(SKIP_1) | instid1(VALU_DEP_2)
	v_bitop3_b32 v7, v3, 1, s25 bitop3:0x80
	v_and_b32_e32 v3, s25, v3
	v_add_co_u32 v7, s2, v7, -1
	s_delay_alu instid0(VALU_DEP_1) | instskip(NEXT) | instid1(VALU_DEP_3)
	v_cndmask_b32_e64 v8, 0, 1, s2
	v_dual_lshlrev_b32 v9, 30, v3 :: v_dual_lshlrev_b32 v45, 29, v3
	v_lshlrev_b32_e32 v46, 28, v3
	s_delay_alu instid0(VALU_DEP_3) | instskip(NEXT) | instid1(VALU_DEP_3)
	v_cmp_ne_u32_e32 vcc_lo, 0, v8
	v_cmp_gt_i32_e64 s2, 0, v9
	v_not_b32_e32 v8, v9
	v_cmp_gt_i32_e64 s3, 0, v45
	v_not_b32_e32 v9, v45
	v_not_b32_e32 v45, v46
	s_delay_alu instid0(VALU_DEP_2) | instskip(NEXT) | instid1(VALU_DEP_2)
	v_dual_ashrrev_i32 v8, 31, v8 :: v_dual_ashrrev_i32 v9, 31, v9
	v_dual_ashrrev_i32 v45, 31, v45 :: v_dual_lshlrev_b32 v47, 27, v3
	v_dual_lshlrev_b32 v48, 26, v3 :: v_dual_lshlrev_b32 v49, 25, v3
	s_delay_alu instid0(VALU_DEP_3) | instskip(SKIP_1) | instid1(VALU_DEP_4)
	v_dual_lshlrev_b32 v50, 24, v3 :: v_dual_bitop2_b32 v8, s2, v8 bitop3:0x14
	v_cmp_gt_i32_e64 s4, 0, v46
	v_cmp_gt_i32_e64 s5, 0, v47
	v_not_b32_e32 v46, v47
	v_cmp_gt_i32_e64 s6, 0, v48
	v_not_b32_e32 v47, v48
	v_not_b32_e32 v48, v49
	v_xor_b32_e32 v7, vcc_lo, v7
	v_cmp_gt_i32_e64 s7, 0, v49
	v_not_b32_e32 v49, v50
	v_dual_ashrrev_i32 v46, 31, v46 :: v_dual_ashrrev_i32 v47, 31, v47
	v_xor_b32_e32 v9, s3, v9
	v_xor_b32_e32 v45, s4, v45
	v_bitop3_b32 v7, v7, v8, exec_lo bitop3:0x80
	v_cmp_gt_i32_e64 s8, 0, v50
	v_dual_ashrrev_i32 v8, 31, v48 :: v_dual_ashrrev_i32 v49, 31, v49
	v_xor_b32_e32 v46, s5, v46
	v_xor_b32_e32 v47, s6, v47
	v_bitop3_b32 v7, v7, v45, v9 bitop3:0x80
	v_mad_u32_u24 v48, 0x44, v3, v2
	v_xor_b32_e32 v3, s7, v8
	v_xor_b32_e32 v8, s8, v49
	s_delay_alu instid0(VALU_DEP_4) | instskip(SKIP_2) | instid1(VALU_DEP_1)
	v_bitop3_b32 v7, v7, v47, v46 bitop3:0x80
	ds_load_b32 v46, v48 offset:64
	; wave barrier
	v_bitop3_b32 v3, v7, v8, v3 bitop3:0x80
	v_mbcnt_lo_u32_b32 v47, v3, 0
	v_cmp_ne_u32_e64 s2, 0, v3
	s_delay_alu instid0(VALU_DEP_2) | instskip(SKIP_1) | instid1(SALU_CYCLE_1)
	v_cmp_eq_u32_e32 vcc_lo, 0, v47
	s_and_b32 s3, s2, vcc_lo
	s_and_saveexec_b32 s2, s3
	s_cbranch_execz .LBB2190_43
; %bb.42:
	s_wait_dscnt 0x0
	v_bcnt_u32_b32 v3, v3, v46
	ds_store_b32 v48, v3 offset:64
.LBB2190_43:
	s_or_b32 exec_lo, exec_lo, s2
	v_cmp_gt_i16_e32 vcc_lo, 0, v6
	; wave barrier
	v_cndmask_b32_e64 v3, 0x7fff, 0, vcc_lo
	s_delay_alu instid0(VALU_DEP_1) | instskip(NEXT) | instid1(VALU_DEP_1)
	v_xor_b32_e32 v45, v3, v6
	v_cmp_ne_u16_e32 vcc_lo, 0x8000, v45
	v_cndmask_b32_e32 v3, 0x7fff, v45, vcc_lo
	s_delay_alu instid0(VALU_DEP_1) | instskip(NEXT) | instid1(VALU_DEP_1)
	v_and_b32_e32 v3, 0xffff, v3
	v_lshrrev_b32_e32 v3, s20, v3
	s_delay_alu instid0(VALU_DEP_1) | instskip(SKIP_1) | instid1(VALU_DEP_2)
	v_bitop3_b32 v6, v3, 1, s25 bitop3:0x80
	v_and_b32_e32 v3, s25, v3
	v_add_co_u32 v6, s2, v6, -1
	s_delay_alu instid0(VALU_DEP_1) | instskip(NEXT) | instid1(VALU_DEP_3)
	v_cndmask_b32_e64 v7, 0, 1, s2
	v_dual_lshlrev_b32 v8, 30, v3 :: v_dual_lshlrev_b32 v9, 29, v3
	v_lshlrev_b32_e32 v49, 28, v3
	s_delay_alu instid0(VALU_DEP_3) | instskip(NEXT) | instid1(VALU_DEP_3)
	v_cmp_ne_u32_e32 vcc_lo, 0, v7
	v_cmp_gt_i32_e64 s2, 0, v8
	v_not_b32_e32 v7, v8
	v_cmp_gt_i32_e64 s3, 0, v9
	v_not_b32_e32 v8, v9
	v_not_b32_e32 v9, v49
	s_delay_alu instid0(VALU_DEP_2) | instskip(NEXT) | instid1(VALU_DEP_2)
	v_dual_ashrrev_i32 v8, 31, v8 :: v_dual_bitop2_b32 v6, vcc_lo, v6 bitop3:0x14
	v_dual_ashrrev_i32 v9, 31, v9 :: v_dual_lshlrev_b32 v50, 27, v3
	v_dual_lshlrev_b32 v51, 26, v3 :: v_dual_lshlrev_b32 v52, 25, v3
	v_cmp_gt_i32_e64 s4, 0, v49
	v_lshlrev_b32_e32 v53, 24, v3
	s_delay_alu instid0(VALU_DEP_4) | instskip(SKIP_4) | instid1(VALU_DEP_4)
	v_not_b32_e32 v49, v50
	v_ashrrev_i32_e32 v7, 31, v7
	v_cmp_gt_i32_e64 s5, 0, v50
	v_not_b32_e32 v50, v51
	v_cmp_gt_i32_e64 s6, 0, v51
	v_dual_ashrrev_i32 v49, 31, v49 :: v_dual_bitop2_b32 v7, s2, v7 bitop3:0x14
	v_cmp_gt_i32_e64 s7, 0, v52
	v_not_b32_e32 v51, v52
	v_not_b32_e32 v52, v53
	v_dual_ashrrev_i32 v50, 31, v50 :: v_dual_bitop2_b32 v8, s3, v8 bitop3:0x14
	v_xor_b32_e32 v9, s4, v9
	v_bitop3_b32 v6, v6, v7, exec_lo bitop3:0x80
	v_cmp_gt_i32_e64 s8, 0, v53
	v_dual_ashrrev_i32 v7, 31, v51 :: v_dual_ashrrev_i32 v51, 31, v52
	v_xor_b32_e32 v49, s5, v49
	v_xor_b32_e32 v50, s6, v50
	v_bitop3_b32 v6, v6, v9, v8 bitop3:0x80
	v_mad_u32_u24 v52, 0x44, v3, v2
	v_xor_b32_e32 v3, s7, v7
	v_xor_b32_e32 v7, s8, v51
	s_delay_alu instid0(VALU_DEP_4) | instskip(SKIP_2) | instid1(VALU_DEP_1)
	v_bitop3_b32 v6, v6, v50, v49 bitop3:0x80
	ds_load_b32 v49, v52 offset:64
	; wave barrier
	v_bitop3_b32 v3, v6, v7, v3 bitop3:0x80
	v_mbcnt_lo_u32_b32 v51, v3, 0
	v_cmp_ne_u32_e64 s2, 0, v3
	s_delay_alu instid0(VALU_DEP_2) | instskip(SKIP_1) | instid1(SALU_CYCLE_1)
	v_cmp_eq_u32_e32 vcc_lo, 0, v51
	s_and_b32 s3, s2, vcc_lo
	s_and_saveexec_b32 s2, s3
	s_cbranch_execz .LBB2190_45
; %bb.44:
	s_wait_dscnt 0x0
	v_bcnt_u32_b32 v3, v3, v49
	ds_store_b32 v52, v3 offset:64
.LBB2190_45:
	s_or_b32 exec_lo, exec_lo, s2
	v_cmp_gt_i16_e32 vcc_lo, 0, v5
	; wave barrier
	v_cndmask_b32_e64 v3, 0x7fff, 0, vcc_lo
	s_delay_alu instid0(VALU_DEP_1) | instskip(NEXT) | instid1(VALU_DEP_1)
	v_xor_b32_e32 v50, v3, v5
	v_cmp_ne_u16_e32 vcc_lo, 0x8000, v50
	v_cndmask_b32_e32 v3, 0x7fff, v50, vcc_lo
	s_delay_alu instid0(VALU_DEP_1) | instskip(NEXT) | instid1(VALU_DEP_1)
	v_and_b32_e32 v3, 0xffff, v3
	v_lshrrev_b32_e32 v3, s20, v3
	s_delay_alu instid0(VALU_DEP_1) | instskip(SKIP_1) | instid1(VALU_DEP_2)
	v_bitop3_b32 v5, v3, 1, s25 bitop3:0x80
	v_and_b32_e32 v3, s25, v3
	v_add_co_u32 v5, s2, v5, -1
	s_delay_alu instid0(VALU_DEP_1) | instskip(NEXT) | instid1(VALU_DEP_3)
	v_cndmask_b32_e64 v6, 0, 1, s2
	v_lshlrev_b32_e32 v7, 30, v3
	s_delay_alu instid0(VALU_DEP_2) | instskip(NEXT) | instid1(VALU_DEP_2)
	v_cmp_ne_u32_e32 vcc_lo, 0, v6
	v_not_b32_e32 v6, v7
	s_delay_alu instid0(VALU_DEP_1) | instskip(SKIP_4) | instid1(VALU_DEP_4)
	v_dual_ashrrev_i32 v6, 31, v6 :: v_dual_bitop2_b32 v5, vcc_lo, v5 bitop3:0x14
	v_dual_lshlrev_b32 v8, 29, v3 :: v_dual_lshlrev_b32 v9, 28, v3
	v_dual_lshlrev_b32 v53, 27, v3 :: v_dual_lshlrev_b32 v54, 26, v3
	v_lshlrev_b32_e32 v55, 25, v3
	v_cmp_gt_i32_e64 s2, 0, v7
	v_cmp_gt_i32_e64 s3, 0, v8
	v_not_b32_e32 v7, v8
	v_not_b32_e32 v8, v9
	v_lshlrev_b32_e32 v56, 24, v3
	v_cmp_gt_i32_e64 s4, 0, v9
	v_cmp_gt_i32_e64 s5, 0, v53
	v_not_b32_e32 v9, v53
	v_not_b32_e32 v53, v54
	v_dual_ashrrev_i32 v7, 31, v7 :: v_dual_bitop2_b32 v6, s2, v6 bitop3:0x14
	v_ashrrev_i32_e32 v8, 31, v8
	v_cmp_gt_i32_e64 s6, 0, v54
	v_cmp_gt_i32_e64 s7, 0, v55
	v_not_b32_e32 v54, v55
	v_not_b32_e32 v55, v56
	v_dual_ashrrev_i32 v9, 31, v9 :: v_dual_bitop2_b32 v7, s3, v7 bitop3:0x14
	v_dual_ashrrev_i32 v53, 31, v53 :: v_dual_bitop2_b32 v8, s4, v8 bitop3:0x14
	v_bitop3_b32 v5, v5, v6, exec_lo bitop3:0x80
	v_cmp_gt_i32_e64 s8, 0, v56
	v_dual_ashrrev_i32 v6, 31, v54 :: v_dual_ashrrev_i32 v54, 31, v55
	v_xor_b32_e32 v9, s5, v9
	v_xor_b32_e32 v53, s6, v53
	v_bitop3_b32 v5, v5, v8, v7 bitop3:0x80
	v_mad_u32_u24 v57, 0x44, v3, v2
	v_xor_b32_e32 v3, s7, v6
	v_xor_b32_e32 v6, s8, v54
	s_delay_alu instid0(VALU_DEP_4) | instskip(SKIP_2) | instid1(VALU_DEP_1)
	v_bitop3_b32 v5, v5, v53, v9 bitop3:0x80
	ds_load_b32 v53, v57 offset:64
	; wave barrier
	v_bitop3_b32 v3, v5, v6, v3 bitop3:0x80
	v_mbcnt_lo_u32_b32 v54, v3, 0
	v_cmp_ne_u32_e64 s2, 0, v3
	s_delay_alu instid0(VALU_DEP_2) | instskip(SKIP_1) | instid1(SALU_CYCLE_1)
	v_cmp_eq_u32_e32 vcc_lo, 0, v54
	s_and_b32 s3, s2, vcc_lo
	s_and_saveexec_b32 s2, s3
	s_cbranch_execz .LBB2190_47
; %bb.46:
	s_wait_dscnt 0x0
	v_bcnt_u32_b32 v3, v3, v53
	ds_store_b32 v57, v3 offset:64
.LBB2190_47:
	s_or_b32 exec_lo, exec_lo, s2
	v_cmp_gt_i16_e32 vcc_lo, 0, v4
	; wave barrier
	v_cndmask_b32_e64 v3, 0x7fff, 0, vcc_lo
	s_delay_alu instid0(VALU_DEP_1) | instskip(NEXT) | instid1(VALU_DEP_1)
	v_xor_b32_e32 v55, v3, v4
	v_cmp_ne_u16_e32 vcc_lo, 0x8000, v55
	v_cndmask_b32_e32 v3, 0x7fff, v55, vcc_lo
	s_delay_alu instid0(VALU_DEP_1) | instskip(NEXT) | instid1(VALU_DEP_1)
	v_and_b32_e32 v3, 0xffff, v3
	v_lshrrev_b32_e32 v3, s20, v3
	s_delay_alu instid0(VALU_DEP_1) | instskip(SKIP_1) | instid1(VALU_DEP_2)
	v_bitop3_b32 v4, v3, 1, s25 bitop3:0x80
	v_and_b32_e32 v3, s25, v3
	v_add_co_u32 v4, s2, v4, -1
	s_delay_alu instid0(VALU_DEP_1) | instskip(NEXT) | instid1(VALU_DEP_3)
	v_cndmask_b32_e64 v5, 0, 1, s2
	v_lshlrev_b32_e32 v6, 30, v3
	s_delay_alu instid0(VALU_DEP_2) | instskip(NEXT) | instid1(VALU_DEP_2)
	v_cmp_ne_u32_e32 vcc_lo, 0, v5
	v_not_b32_e32 v5, v6
	s_delay_alu instid0(VALU_DEP_1) | instskip(SKIP_4) | instid1(VALU_DEP_4)
	v_dual_ashrrev_i32 v5, 31, v5 :: v_dual_bitop2_b32 v4, vcc_lo, v4 bitop3:0x14
	v_dual_lshlrev_b32 v7, 29, v3 :: v_dual_lshlrev_b32 v8, 28, v3
	v_dual_lshlrev_b32 v9, 27, v3 :: v_dual_lshlrev_b32 v56, 26, v3
	v_lshlrev_b32_e32 v58, 25, v3
	v_cmp_gt_i32_e64 s2, 0, v6
	v_cmp_gt_i32_e64 s3, 0, v7
	v_not_b32_e32 v6, v7
	v_not_b32_e32 v7, v8
	v_lshlrev_b32_e32 v59, 24, v3
	v_cmp_gt_i32_e64 s4, 0, v8
	v_cmp_gt_i32_e64 s5, 0, v9
	v_not_b32_e32 v8, v9
	v_not_b32_e32 v9, v56
	v_dual_ashrrev_i32 v6, 31, v6 :: v_dual_ashrrev_i32 v7, 31, v7
	v_xor_b32_e32 v5, s2, v5
	v_cmp_gt_i32_e64 s6, 0, v56
	v_cmp_gt_i32_e64 s7, 0, v58
	v_not_b32_e32 v56, v58
	v_not_b32_e32 v58, v59
	v_dual_ashrrev_i32 v8, 31, v8 :: v_dual_ashrrev_i32 v9, 31, v9
	v_xor_b32_e32 v6, s3, v6
	v_xor_b32_e32 v7, s4, v7
	v_bitop3_b32 v4, v4, v5, exec_lo bitop3:0x80
	v_cmp_gt_i32_e64 s8, 0, v59
	v_dual_ashrrev_i32 v5, 31, v56 :: v_dual_ashrrev_i32 v56, 31, v58
	v_xor_b32_e32 v8, s5, v8
	v_xor_b32_e32 v9, s6, v9
	v_bitop3_b32 v4, v4, v7, v6 bitop3:0x80
	v_mad_u32_u24 v59, 0x44, v3, v2
	v_xor_b32_e32 v2, s7, v5
	v_xor_b32_e32 v3, s8, v56
	s_delay_alu instid0(VALU_DEP_4) | instskip(SKIP_2) | instid1(VALU_DEP_1)
	v_bitop3_b32 v4, v4, v9, v8 bitop3:0x80
	ds_load_b32 v56, v59 offset:64
	; wave barrier
	v_bitop3_b32 v2, v4, v3, v2 bitop3:0x80
	v_mbcnt_lo_u32_b32 v58, v2, 0
	v_cmp_ne_u32_e64 s2, 0, v2
	s_delay_alu instid0(VALU_DEP_2) | instskip(SKIP_1) | instid1(SALU_CYCLE_1)
	v_cmp_eq_u32_e32 vcc_lo, 0, v58
	s_and_b32 s3, s2, vcc_lo
	s_and_saveexec_b32 s2, s3
	s_cbranch_execz .LBB2190_49
; %bb.48:
	s_wait_dscnt 0x0
	v_bcnt_u32_b32 v2, v2, v56
	ds_store_b32 v59, v2 offset:64
.LBB2190_49:
	s_or_b32 exec_lo, exec_lo, s2
	; wave barrier
	s_wait_dscnt 0x0
	s_barrier_signal -1
	s_barrier_wait -1
	ds_load_2addr_b32 v[8:9], v13 offset0:16 offset1:17
	ds_load_2addr_b32 v[6:7], v13 offset0:18 offset1:19
	;; [unrolled: 1-line block ×4, first 2 shown]
	ds_load_b32 v60, v13 offset:96
	s_mov_b32 s6, exec_lo
	s_wait_dscnt 0x3
	v_add3_u32 v61, v9, v8, v6
	s_wait_dscnt 0x2
	s_delay_alu instid0(VALU_DEP_1) | instskip(SKIP_1) | instid1(VALU_DEP_1)
	v_add3_u32 v61, v61, v7, v4
	s_wait_dscnt 0x1
	v_add3_u32 v61, v61, v5, v2
	s_wait_dscnt 0x0
	s_delay_alu instid0(VALU_DEP_1) | instskip(SKIP_1) | instid1(VALU_DEP_2)
	v_add3_u32 v60, v61, v3, v60
	v_and_b32_e32 v61, 15, v14
	v_mov_b32_dpp v62, v60 row_shr:1 row_mask:0xf bank_mask:0xf
	s_delay_alu instid0(VALU_DEP_2) | instskip(NEXT) | instid1(VALU_DEP_2)
	v_cmp_eq_u32_e32 vcc_lo, 0, v61
	v_cndmask_b32_e64 v62, v62, 0, vcc_lo
	s_delay_alu instid0(VALU_DEP_1) | instskip(SKIP_3) | instid1(VALU_DEP_4)
	v_add_nc_u32_e32 v60, v62, v60
	v_cmp_lt_u32_e64 s2, 1, v61
	v_cmp_lt_u32_e64 s3, 3, v61
	;; [unrolled: 1-line block ×3, first 2 shown]
	v_mov_b32_dpp v62, v60 row_shr:2 row_mask:0xf bank_mask:0xf
	s_delay_alu instid0(VALU_DEP_1) | instskip(NEXT) | instid1(VALU_DEP_1)
	v_cndmask_b32_e64 v62, 0, v62, s2
	v_add_nc_u32_e32 v60, v60, v62
	s_delay_alu instid0(VALU_DEP_1) | instskip(NEXT) | instid1(VALU_DEP_1)
	v_mov_b32_dpp v62, v60 row_shr:4 row_mask:0xf bank_mask:0xf
	v_cndmask_b32_e64 v62, 0, v62, s3
	s_delay_alu instid0(VALU_DEP_1) | instskip(NEXT) | instid1(VALU_DEP_1)
	v_add_nc_u32_e32 v60, v60, v62
	v_mov_b32_dpp v62, v60 row_shr:8 row_mask:0xf bank_mask:0xf
	s_delay_alu instid0(VALU_DEP_1) | instskip(SKIP_1) | instid1(VALU_DEP_2)
	v_cndmask_b32_e64 v61, 0, v62, s4
	v_bfe_i32 v62, v14, 4, 1
	v_add_nc_u32_e32 v60, v60, v61
	ds_swizzle_b32 v61, v60 offset:swizzle(BROADCAST,32,15)
	s_wait_dscnt 0x0
	v_and_b32_e32 v61, v62, v61
	v_min_u32_e32 v62, 0x1e0, v15
	s_delay_alu instid0(VALU_DEP_1) | instskip(SKIP_1) | instid1(VALU_DEP_2)
	v_dual_add_nc_u32 v60, v60, v61 :: v_dual_bitop2_b32 v62, 31, v62 bitop3:0x54
	v_lshrrev_b32_e32 v61, 5, v1
	v_cmpx_eq_u32_e64 v1, v62
; %bb.50:
	s_delay_alu instid0(VALU_DEP_2)
	v_lshlrev_b32_e32 v62, 2, v61
	ds_store_b32 v62, v60
; %bb.51:
	s_or_b32 exec_lo, exec_lo, s6
	s_delay_alu instid0(SALU_CYCLE_1)
	s_mov_b32 s6, exec_lo
	s_wait_dscnt 0x0
	s_barrier_signal -1
	s_barrier_wait -1
	v_cmpx_gt_u32_e32 16, v1
	s_cbranch_execz .LBB2190_53
; %bb.52:
	v_lshlrev_b32_e32 v62, 2, v1
	ds_load_b32 v63, v62
	s_wait_dscnt 0x0
	v_mov_b32_dpp v64, v63 row_shr:1 row_mask:0xf bank_mask:0xf
	s_delay_alu instid0(VALU_DEP_1) | instskip(NEXT) | instid1(VALU_DEP_1)
	v_cndmask_b32_e64 v64, v64, 0, vcc_lo
	v_add_nc_u32_e32 v63, v64, v63
	s_delay_alu instid0(VALU_DEP_1) | instskip(NEXT) | instid1(VALU_DEP_1)
	v_mov_b32_dpp v64, v63 row_shr:2 row_mask:0xf bank_mask:0xf
	v_cndmask_b32_e64 v64, 0, v64, s2
	s_delay_alu instid0(VALU_DEP_1) | instskip(NEXT) | instid1(VALU_DEP_1)
	v_add_nc_u32_e32 v63, v63, v64
	v_mov_b32_dpp v64, v63 row_shr:4 row_mask:0xf bank_mask:0xf
	s_delay_alu instid0(VALU_DEP_1) | instskip(NEXT) | instid1(VALU_DEP_1)
	v_cndmask_b32_e64 v64, 0, v64, s3
	v_add_nc_u32_e32 v63, v63, v64
	s_delay_alu instid0(VALU_DEP_1) | instskip(NEXT) | instid1(VALU_DEP_1)
	v_mov_b32_dpp v64, v63 row_shr:8 row_mask:0xf bank_mask:0xf
	v_cndmask_b32_e64 v64, 0, v64, s4
	s_delay_alu instid0(VALU_DEP_1)
	v_add_nc_u32_e32 v63, v63, v64
	ds_store_b32 v62, v63
.LBB2190_53:
	s_or_b32 exec_lo, exec_lo, s6
	v_mov_b32_e32 v62, 0
	s_mov_b32 s2, exec_lo
	s_wait_dscnt 0x0
	s_barrier_signal -1
	s_barrier_wait -1
	v_cmpx_lt_u32_e32 31, v1
; %bb.54:
	v_lshl_add_u32 v61, v61, 2, -4
	ds_load_b32 v62, v61
; %bb.55:
	s_or_b32 exec_lo, exec_lo, s2
	v_sub_co_u32 v61, vcc_lo, v14, 1
	s_wait_dscnt 0x0
	v_add_nc_u32_e32 v60, v62, v60
	s_delay_alu instid0(VALU_DEP_2) | instskip(NEXT) | instid1(VALU_DEP_1)
	v_cmp_gt_i32_e64 s2, 0, v61
	v_cndmask_b32_e64 v61, v61, v14, s2
	v_cmp_gt_u32_e64 s2, 0x100, v1
	s_delay_alu instid0(VALU_DEP_2) | instskip(SKIP_4) | instid1(VALU_DEP_2)
	v_lshlrev_b32_e32 v61, 2, v61
	ds_bpermute_b32 v60, v61, v60
	s_wait_dscnt 0x0
	v_cndmask_b32_e32 v60, v60, v62, vcc_lo
	v_cmp_ne_u32_e32 vcc_lo, 0, v1
	v_cndmask_b32_e32 v60, 0, v60, vcc_lo
	v_cmp_lt_u32_e32 vcc_lo, 0xff, v1
	s_delay_alu instid0(VALU_DEP_2) | instskip(NEXT) | instid1(VALU_DEP_1)
	v_add_nc_u32_e32 v8, v60, v8
	v_add_nc_u32_e32 v9, v8, v9
	s_delay_alu instid0(VALU_DEP_1) | instskip(NEXT) | instid1(VALU_DEP_1)
	v_add_nc_u32_e32 v6, v9, v6
	v_add_nc_u32_e32 v7, v6, v7
	s_delay_alu instid0(VALU_DEP_1) | instskip(NEXT) | instid1(VALU_DEP_1)
	;; [unrolled: 3-line block ×3, first 2 shown]
	v_add_nc_u32_e32 v2, v5, v2
	v_add_nc_u32_e32 v3, v2, v3
	ds_store_2addr_b32 v13, v60, v8 offset0:16 offset1:17
	ds_store_2addr_b32 v13, v9, v6 offset0:18 offset1:19
	ds_store_2addr_b32 v13, v7, v4 offset0:20 offset1:21
	ds_store_2addr_b32 v13, v5, v2 offset0:22 offset1:23
	ds_store_b32 v13, v3 offset:96
	s_wait_dscnt 0x0
	s_barrier_signal -1
	s_barrier_wait -1
	ds_load_b32 v61, v16 offset:64
	ds_load_b32 v62, v20 offset:64
	;; [unrolled: 1-line block ×12, first 2 shown]
	v_mov_b64_e32 v[2:3], 0
                                        ; implicit-def: $vgpr4
	s_and_saveexec_b32 s4, s2
	s_cbranch_execz .LBB2190_59
; %bb.56:
	v_mul_u32_u24_e32 v2, 0x44, v1
	v_dual_mov_b32 v3, 0x1800 :: v_dual_add_nc_u32 v4, 1, v1
	s_mov_b32 s5, exec_lo
	ds_load_b32 v2, v2 offset:64
	v_cmpx_ne_u32_e32 0x100, v4
; %bb.57:
	v_mul_u32_u24_e32 v3, 0x44, v4
	ds_load_b32 v3, v3 offset:64
; %bb.58:
	s_or_b32 exec_lo, exec_lo, s5
	s_wait_dscnt 0x0
	v_dual_mov_b32 v3, 0 :: v_dual_sub_nc_u32 v4, v3, v2
.LBB2190_59:
	s_or_b32 exec_lo, exec_lo, s4
	s_wait_dscnt 0xa
	v_dual_lshlrev_b32 v11, 1, v11 :: v_dual_lshlrev_b32 v28, 1, v62
	v_dual_lshlrev_b32 v19, 1, v19 :: v_dual_lshlrev_b32 v18, 1, v18
	v_lshlrev_b32_e32 v22, 1, v22
	s_delay_alu instid0(VALU_DEP_3)
	v_lshl_add_u32 v11, v61, 1, v11
	v_lshlrev_b32_e32 v23, 1, v23
	s_wait_dscnt 0x0
	v_add3_u32 v18, v28, v19, v18
	v_lshlrev_b32_e32 v19, 1, v60
	s_barrier_signal -1
	s_barrier_wait -1
	ds_store_b16 v11, v10 offset:2048
	ds_store_b16 v18, v12 offset:2048
	v_lshlrev_b32_e32 v11, 1, v24
	v_add3_u32 v10, v19, v23, v22
	v_dual_lshlrev_b32 v12, 1, v27 :: v_dual_lshlrev_b32 v18, 1, v26
	v_dual_lshlrev_b32 v22, 1, v29 :: v_dual_lshlrev_b32 v16, 1, v16
	;; [unrolled: 1-line block ×6, first 2 shown]
	ds_store_b16 v10, v17 offset:2048
	v_add3_u32 v10, v11, v12, v18
	v_add3_u32 v12, v16, v23, v24
	v_dual_lshlrev_b32 v16, 1, v43 :: v_dual_lshlrev_b32 v17, 1, v42
	v_add3_u32 v11, v19, v20, v22
	v_add3_u32 v13, v13, v26, v27
	ds_store_b16 v10, v21 offset:2048
	ds_store_b16 v11, v25 offset:2048
	;; [unrolled: 1-line block ×4, first 2 shown]
	v_add3_u32 v9, v9, v16, v17
	v_dual_lshlrev_b32 v8, 1, v8 :: v_dual_lshlrev_b32 v10, 1, v47
	v_dual_lshlrev_b32 v11, 1, v46 :: v_dual_lshlrev_b32 v7, 1, v7
	;; [unrolled: 1-line block ×6, first 2 shown]
	ds_store_b16 v9, v37 offset:2048
	v_add3_u32 v8, v8, v10, v11
	v_add3_u32 v9, v7, v12, v13
	;; [unrolled: 1-line block ×3, first 2 shown]
	v_dual_mov_b32 v7, 0 :: v_dual_lshlrev_b32 v5, 3, v1
	v_add3_u32 v6, v6, v16, v17
	ds_store_b16 v8, v41 offset:2048
	ds_store_b16 v9, v45 offset:2048
	;; [unrolled: 1-line block ×4, first 2 shown]
	s_and_saveexec_b32 s3, s2
	s_cbranch_execz .LBB2190_69
; %bb.60:
	v_lshl_add_u32 v6, s9, 8, v1
	v_dual_mov_b32 v10, 0 :: v_dual_bitop2_b32 v11, 2.0, v4 bitop3:0x54
	s_mov_b32 s4, 0
	s_mov_b32 s5, s9
	s_delay_alu instid0(VALU_DEP_2)
	v_lshl_add_u64 v[8:9], v[6:7], 2, s[10:11]
	global_store_b32 v6, v11, s[10:11] scale_offset scope:SCOPE_DEV
                                        ; implicit-def: $sgpr2
	s_branch .LBB2190_63
.LBB2190_61:                            ;   in Loop: Header=BB2190_63 Depth=1
	s_or_b32 exec_lo, exec_lo, s7
.LBB2190_62:                            ;   in Loop: Header=BB2190_63 Depth=1
	s_delay_alu instid0(SALU_CYCLE_1) | instskip(SKIP_2) | instid1(VALU_DEP_2)
	s_or_b32 exec_lo, exec_lo, s6
	v_and_b32_e32 v6, 0x3fffffff, v11
	v_cmp_gt_i32_e64 s2, -2.0, v11
	v_add_nc_u32_e32 v10, v6, v10
	s_and_b32 s6, exec_lo, s2
	s_delay_alu instid0(SALU_CYCLE_1) | instskip(NEXT) | instid1(SALU_CYCLE_1)
	s_or_b32 s4, s6, s4
	s_and_not1_b32 exec_lo, exec_lo, s4
	s_cbranch_execz .LBB2190_68
.LBB2190_63:                            ; =>This Loop Header: Depth=1
                                        ;     Child Loop BB2190_66 Depth 2
	s_or_b32 s2, s2, exec_lo
	s_cmp_eq_u32 s5, 0
	s_cbranch_scc1 .LBB2190_67
; %bb.64:                               ;   in Loop: Header=BB2190_63 Depth=1
	s_add_co_i32 s5, s5, -1
	s_mov_b32 s6, exec_lo
	s_wait_xcnt 0x0
	v_lshl_or_b32 v6, s5, 8, v1
	global_load_b32 v11, v6, s[10:11] scale_offset scope:SCOPE_DEV
	s_wait_loadcnt 0x0
	v_cmpx_gt_u32_e32 2.0, v11
	s_cbranch_execz .LBB2190_62
; %bb.65:                               ;   in Loop: Header=BB2190_63 Depth=1
	v_lshl_add_u64 v[12:13], v[6:7], 2, s[10:11]
	s_mov_b32 s7, 0
.LBB2190_66:                            ;   Parent Loop BB2190_63 Depth=1
                                        ; =>  This Inner Loop Header: Depth=2
	global_load_b32 v11, v[12:13], off scope:SCOPE_DEV
	s_wait_loadcnt 0x0
	v_cmp_lt_u32_e64 s2, 0x3fffffff, v11
	s_or_b32 s7, s2, s7
	s_wait_xcnt 0x0
	s_and_not1_b32 exec_lo, exec_lo, s7
	s_cbranch_execnz .LBB2190_66
	s_branch .LBB2190_61
.LBB2190_67:                            ;   in Loop: Header=BB2190_63 Depth=1
                                        ; implicit-def: $sgpr5
	s_and_b32 s6, exec_lo, s2
	s_delay_alu instid0(SALU_CYCLE_1)
	s_or_b32 s4, s6, s4
	s_wait_xcnt 0x0
	s_and_not1_b32 exec_lo, exec_lo, s4
	s_cbranch_execnz .LBB2190_63
.LBB2190_68:
	s_or_b32 exec_lo, exec_lo, s4
	v_dual_mov_b32 v11, 0 :: v_dual_add_nc_u32 v6, v10, v4
	s_delay_alu instid0(VALU_DEP_1) | instskip(SKIP_4) | instid1(VALU_DEP_1)
	v_or_b32_e32 v6, 0x80000000, v6
	global_store_b32 v[8:9], v6, off scope:SCOPE_DEV
	global_load_b64 v[6:7], v1, s[12:13] scale_offset
	v_sub_nc_u64_e32 v[8:9], v[10:11], v[2:3]
	s_wait_loadcnt 0x0
	v_add_nc_u64_e32 v[6:7], v[8:9], v[6:7]
	ds_store_b64 v5, v[6:7]
.LBB2190_69:
	s_wait_xcnt 0x0
	s_or_b32 exec_lo, exec_lo, s3
	v_mad_i32_i24 v8, v1, -6, v5
	v_lshlrev_b32_e32 v6, 1, v1
	s_mov_b32 s3, exec_lo
	s_wait_storecnt_dscnt 0x0
	s_barrier_signal -1
	s_barrier_wait -1
	v_cmpx_gt_u32_e64 s22, v1
	s_cbranch_execz .LBB2190_71
; %bb.70:
	ds_load_u16 v9, v8 offset:2048
	s_wait_dscnt 0x0
	v_cmp_ne_u16_e64 s2, 0x8000, v9
	s_delay_alu instid0(VALU_DEP_1) | instskip(SKIP_1) | instid1(VALU_DEP_2)
	v_cndmask_b32_e64 v7, 0x7fff, v9, s2
	v_cmp_gt_i16_e64 s2, 0, v9
	v_and_b32_e32 v7, 0xffff, v7
	s_delay_alu instid0(VALU_DEP_2) | instskip(NEXT) | instid1(VALU_DEP_2)
	v_cndmask_b32_e64 v12, 0x7fff, 0, s2
	v_lshrrev_b32_e32 v7, s20, v7
	s_delay_alu instid0(VALU_DEP_1) | instskip(NEXT) | instid1(VALU_DEP_1)
	v_and_b32_e32 v7, s25, v7
	v_lshlrev_b32_e32 v7, 3, v7
	ds_load_b64 v[10:11], v7
	v_mov_b32_e32 v7, 0
	s_wait_dscnt 0x0
	v_lshl_add_u64 v[10:11], v[10:11], 1, s[18:19]
	s_delay_alu instid0(VALU_DEP_1)
	v_add_nc_u64_e32 v[10:11], v[10:11], v[6:7]
	v_xor_b32_e32 v7, v12, v9
	global_store_b16 v[10:11], v7, off
.LBB2190_71:
	s_wait_xcnt 0x0
	s_or_b32 exec_lo, exec_lo, s3
	v_add_nc_u32_e32 v7, 0x200, v1
	s_mov_b32 s3, exec_lo
	s_delay_alu instid0(VALU_DEP_1)
	v_cmpx_gt_u32_e64 s22, v7
	s_cbranch_execz .LBB2190_73
; %bb.72:
	ds_load_u16 v9, v8 offset:3072
	s_wait_dscnt 0x0
	v_cmp_ne_u16_e64 s2, 0x8000, v9
	s_delay_alu instid0(VALU_DEP_1) | instskip(SKIP_1) | instid1(VALU_DEP_2)
	v_cndmask_b32_e64 v7, 0x7fff, v9, s2
	v_cmp_gt_i16_e64 s2, 0, v9
	v_and_b32_e32 v7, 0xffff, v7
	s_delay_alu instid0(VALU_DEP_2) | instskip(NEXT) | instid1(VALU_DEP_2)
	v_cndmask_b32_e64 v12, 0x7fff, 0, s2
	v_lshrrev_b32_e32 v7, s20, v7
	s_delay_alu instid0(VALU_DEP_1) | instskip(NEXT) | instid1(VALU_DEP_1)
	v_and_b32_e32 v7, s25, v7
	v_lshlrev_b32_e32 v7, 3, v7
	ds_load_b64 v[10:11], v7
	v_mov_b32_e32 v7, 0
	s_wait_dscnt 0x0
	v_lshl_add_u64 v[10:11], v[10:11], 1, s[18:19]
	s_delay_alu instid0(VALU_DEP_1)
	v_add_nc_u64_e32 v[10:11], v[10:11], v[6:7]
	v_xor_b32_e32 v7, v12, v9
	global_store_b16 v[10:11], v7, off offset:1024
.LBB2190_73:
	s_wait_xcnt 0x0
	s_or_b32 exec_lo, exec_lo, s3
	v_or_b32_e32 v7, 0x400, v1
	s_mov_b32 s3, exec_lo
	s_delay_alu instid0(VALU_DEP_1)
	v_cmpx_gt_u32_e64 s22, v7
	s_cbranch_execz .LBB2190_75
; %bb.74:
	ds_load_u16 v9, v8 offset:4096
	s_wait_dscnt 0x0
	v_cmp_ne_u16_e64 s2, 0x8000, v9
	s_delay_alu instid0(VALU_DEP_1) | instskip(SKIP_1) | instid1(VALU_DEP_2)
	v_cndmask_b32_e64 v7, 0x7fff, v9, s2
	v_cmp_gt_i16_e64 s2, 0, v9
	v_and_b32_e32 v7, 0xffff, v7
	s_delay_alu instid0(VALU_DEP_2) | instskip(NEXT) | instid1(VALU_DEP_2)
	v_cndmask_b32_e64 v12, 0x7fff, 0, s2
	v_lshrrev_b32_e32 v7, s20, v7
	s_delay_alu instid0(VALU_DEP_1) | instskip(NEXT) | instid1(VALU_DEP_1)
	v_and_b32_e32 v7, s25, v7
	v_lshlrev_b32_e32 v7, 3, v7
	ds_load_b64 v[10:11], v7
	v_mov_b32_e32 v7, 0
	s_wait_dscnt 0x0
	v_lshl_add_u64 v[10:11], v[10:11], 1, s[18:19]
	s_delay_alu instid0(VALU_DEP_1)
	v_add_nc_u64_e32 v[10:11], v[10:11], v[6:7]
	v_xor_b32_e32 v7, v12, v9
	global_store_b16 v[10:11], v7, off offset:2048
.LBB2190_75:
	s_wait_xcnt 0x0
	s_or_b32 exec_lo, exec_lo, s3
	v_add_nc_u32_e32 v7, 0x600, v1
	s_mov_b32 s3, exec_lo
	s_delay_alu instid0(VALU_DEP_1)
	v_cmpx_gt_u32_e64 s22, v7
	s_cbranch_execz .LBB2190_77
; %bb.76:
	ds_load_u16 v9, v8 offset:5120
	s_wait_dscnt 0x0
	v_cmp_ne_u16_e64 s2, 0x8000, v9
	s_delay_alu instid0(VALU_DEP_1) | instskip(SKIP_1) | instid1(VALU_DEP_2)
	v_cndmask_b32_e64 v7, 0x7fff, v9, s2
	v_cmp_gt_i16_e64 s2, 0, v9
	v_and_b32_e32 v7, 0xffff, v7
	s_delay_alu instid0(VALU_DEP_2) | instskip(NEXT) | instid1(VALU_DEP_2)
	v_cndmask_b32_e64 v12, 0x7fff, 0, s2
	v_lshrrev_b32_e32 v7, s20, v7
	s_delay_alu instid0(VALU_DEP_1) | instskip(NEXT) | instid1(VALU_DEP_1)
	v_and_b32_e32 v7, s25, v7
	v_lshlrev_b32_e32 v7, 3, v7
	ds_load_b64 v[10:11], v7
	v_mov_b32_e32 v7, 0
	s_wait_dscnt 0x0
	v_lshl_add_u64 v[10:11], v[10:11], 1, s[18:19]
	s_delay_alu instid0(VALU_DEP_1)
	v_add_nc_u64_e32 v[10:11], v[10:11], v[6:7]
	v_xor_b32_e32 v7, v12, v9
	global_store_b16 v[10:11], v7, off offset:3072
.LBB2190_77:
	s_wait_xcnt 0x0
	s_or_b32 exec_lo, exec_lo, s3
	v_or_b32_e32 v7, 0x800, v1
	s_mov_b32 s3, exec_lo
	s_delay_alu instid0(VALU_DEP_1)
	v_cmpx_gt_u32_e64 s22, v7
	s_cbranch_execz .LBB2190_79
; %bb.78:
	ds_load_u16 v9, v8 offset:6144
	s_wait_dscnt 0x0
	v_cmp_ne_u16_e64 s2, 0x8000, v9
	s_delay_alu instid0(VALU_DEP_1) | instskip(SKIP_1) | instid1(VALU_DEP_2)
	v_cndmask_b32_e64 v7, 0x7fff, v9, s2
	v_cmp_gt_i16_e64 s2, 0, v9
	v_and_b32_e32 v7, 0xffff, v7
	s_delay_alu instid0(VALU_DEP_2) | instskip(NEXT) | instid1(VALU_DEP_2)
	v_cndmask_b32_e64 v12, 0x7fff, 0, s2
	v_lshrrev_b32_e32 v7, s20, v7
	s_delay_alu instid0(VALU_DEP_1) | instskip(NEXT) | instid1(VALU_DEP_1)
	v_and_b32_e32 v7, s25, v7
	v_lshlrev_b32_e32 v7, 3, v7
	ds_load_b64 v[10:11], v7
	v_mov_b32_e32 v7, 0
	s_wait_dscnt 0x0
	v_lshl_add_u64 v[10:11], v[10:11], 1, s[18:19]
	s_delay_alu instid0(VALU_DEP_1)
	v_add_nc_u64_e32 v[10:11], v[10:11], v[6:7]
	v_xor_b32_e32 v7, v12, v9
	global_store_b16 v[10:11], v7, off offset:4096
.LBB2190_79:
	;; [unrolled: 60-line block ×5, first 2 shown]
	s_wait_xcnt 0x0
	s_or_b32 exec_lo, exec_lo, s3
	v_add_nc_u32_e32 v7, 0x1600, v1
	s_mov_b32 s3, exec_lo
	s_delay_alu instid0(VALU_DEP_1)
	v_cmpx_gt_u32_e64 s22, v7
	s_cbranch_execz .LBB2190_93
; %bb.92:
	ds_load_u16 v10, v6 offset:13312
	s_wait_dscnt 0x0
	v_cmp_ne_u16_e64 s2, 0x8000, v10
	s_delay_alu instid0(VALU_DEP_1) | instskip(SKIP_1) | instid1(VALU_DEP_2)
	v_cndmask_b32_e64 v7, 0x7fff, v10, s2
	v_cmp_gt_i16_e64 s2, 0, v10
	v_and_b32_e32 v7, 0xffff, v7
	s_delay_alu instid0(VALU_DEP_2) | instskip(NEXT) | instid1(VALU_DEP_2)
	v_cndmask_b32_e64 v11, 0x7fff, 0, s2
	v_lshrrev_b32_e32 v7, s20, v7
	s_delay_alu instid0(VALU_DEP_1) | instskip(NEXT) | instid1(VALU_DEP_1)
	v_and_b32_e32 v7, s25, v7
	v_lshlrev_b32_e32 v7, 3, v7
	ds_load_b64 v[8:9], v7
	v_mov_b32_e32 v7, 0
	s_wait_dscnt 0x0
	v_lshl_add_u64 v[8:9], v[8:9], 1, s[18:19]
	s_delay_alu instid0(VALU_DEP_1)
	v_add_nc_u64_e32 v[6:7], v[8:9], v[6:7]
	v_xor_b32_e32 v8, v11, v10
	global_store_b16 v[6:7], v8, off offset:11264
.LBB2190_93:
	s_wait_xcnt 0x0
	s_or_b32 exec_lo, exec_lo, s3
	s_add_co_i32 s23, s23, -1
	s_delay_alu instid0(SALU_CYCLE_1) | instskip(SKIP_2) | instid1(SALU_CYCLE_1)
	s_cmp_eq_u32 s9, s23
	s_cselect_b32 s2, -1, 0
	s_xor_b32 s3, vcc_lo, -1
	s_and_b32 s3, s3, s2
	s_delay_alu instid0(SALU_CYCLE_1)
	s_and_saveexec_b32 s2, s3
	s_cbranch_execz .LBB2190_95
; %bb.94:
	ds_load_b64 v[6:7], v5
	v_mov_b32_e32 v5, 0
	s_delay_alu instid0(VALU_DEP_1) | instskip(SKIP_1) | instid1(VALU_DEP_1)
	v_add_nc_u64_e32 v[2:3], v[2:3], v[4:5]
	s_wait_dscnt 0x0
	v_add_nc_u64_e32 v[2:3], v[2:3], v[6:7]
	global_store_b64 v1, v[2:3], s[14:15] scale_offset
.LBB2190_95:
	s_wait_xcnt 0x0
	s_or_b32 exec_lo, exec_lo, s2
	s_mov_b32 s2, 0
.LBB2190_96:
	s_delay_alu instid0(SALU_CYCLE_1)
	s_and_b32 vcc_lo, exec_lo, s2
	s_cbranch_vccz .LBB2190_143
; %bb.97:
	s_mov_b32 s25, 0
	v_dual_mov_b32 v9, 0 :: v_dual_lshlrev_b32 v8, 1, v14
	s_lshl_b64 s[2:3], s[24:25], 1
	v_mul_u32_u24_e32 v1, 12, v15
	s_add_nc_u64 s[2:3], s[16:17], s[2:3]
	v_bfe_u32 v17, v0, 20, 10
	v_add_nc_u64_e32 v[2:3], s[2:3], v[8:9]
	s_delay_alu instid0(VALU_DEP_3) | instskip(NEXT) | instid1(VALU_DEP_1)
	v_lshlrev_b32_e32 v8, 1, v1
	v_add_nc_u64_e32 v[12:13], v[2:3], v[8:9]
	s_clause 0xb
	global_load_u16 v8, v[12:13], off
	global_load_u16 v10, v[12:13], off offset:64
	global_load_u16 v16, v[12:13], off offset:128
	;; [unrolled: 1-line block ×11, first 2 shown]
	s_clause 0x1
	s_load_b32 s7, s[0:1], 0x58
	s_load_u16 s2, s[0:1], 0x66
	v_bfe_u32 v13, v0, 10, 10
	v_and_b32_e32 v12, 0x3ff, v0
	s_wait_kmcnt 0x0
	s_cmp_lt_u32 s9, s7
	s_delay_alu instid0(VALU_DEP_2)
	v_mad_u32_u24 v0, v17, s2, v13
	s_cselect_b32 s24, 12, 18
	s_lshl_b32 s8, -1, s21
	s_add_nc_u64 s[0:1], s[26:27], s[24:25]
	s_load_u16 s16, s[0:1], 0x0
	s_wait_kmcnt 0x0
	v_mad_u32 v0, v0, s16, v12
	s_delay_alu instid0(VALU_DEP_1) | instskip(NEXT) | instid1(VALU_DEP_1)
	v_lshrrev_b32_e32 v0, 5, v0
	v_lshlrev_b32_e32 v0, 2, v0
	s_wait_loadcnt 0xb
	v_cmp_gt_i16_e32 vcc_lo, 0, v8
	v_cndmask_b32_e64 v11, 0x7fff, 0, vcc_lo
	s_delay_alu instid0(VALU_DEP_1) | instskip(NEXT) | instid1(VALU_DEP_1)
	v_xor_b32_e32 v8, v11, v8
	v_cmp_ne_u16_e32 vcc_lo, 0x8000, v8
	v_cndmask_b32_e32 v11, 0x7fff, v8, vcc_lo
	s_delay_alu instid0(VALU_DEP_1) | instskip(NEXT) | instid1(VALU_DEP_1)
	v_and_b32_e32 v11, 0xffff, v11
	v_lshrrev_b32_e32 v11, s20, v11
	s_delay_alu instid0(VALU_DEP_1) | instskip(SKIP_2) | instid1(VALU_DEP_2)
	v_bitop3_b32 v13, v11, 1, s8 bitop3:0x40
	v_bitop3_b32 v18, v11, s8, v11 bitop3:0x30
	s_not_b32 s8, s8
	v_add_co_u32 v11, s0, v13, -1
	s_delay_alu instid0(VALU_DEP_1) | instskip(NEXT) | instid1(VALU_DEP_3)
	v_cndmask_b32_e64 v13, 0, 1, s0
	v_dual_lshlrev_b32 v17, 30, v18 :: v_dual_lshlrev_b32 v19, 29, v18
	v_dual_lshlrev_b32 v21, 28, v18 :: v_dual_lshlrev_b32 v22, 27, v18
	s_delay_alu instid0(VALU_DEP_3) | instskip(NEXT) | instid1(VALU_DEP_3)
	v_cmp_ne_u32_e32 vcc_lo, 0, v13
	v_not_b32_e32 v13, v17
	v_dual_lshlrev_b32 v23, 26, v18 :: v_dual_lshlrev_b32 v25, 25, v18
	v_lshlrev_b32_e32 v26, 24, v18
	v_cmp_gt_i32_e64 s0, 0, v17
	v_cmp_gt_i32_e64 s1, 0, v19
	v_not_b32_e32 v17, v19
	v_not_b32_e32 v19, v21
	v_ashrrev_i32_e32 v13, 31, v13
	v_cmp_gt_i32_e64 s2, 0, v21
	v_cmp_gt_i32_e64 s3, 0, v22
	v_not_b32_e32 v21, v22
	v_not_b32_e32 v22, v23
	v_dual_ashrrev_i32 v17, 31, v17 :: v_dual_bitop2_b32 v11, vcc_lo, v11 bitop3:0x14
	v_dual_ashrrev_i32 v19, 31, v19 :: v_dual_bitop2_b32 v13, s0, v13 bitop3:0x14
	v_cmp_gt_i32_e64 s4, 0, v23
	v_cmp_gt_i32_e64 s5, 0, v25
	v_not_b32_e32 v23, v25
	v_not_b32_e32 v25, v26
	v_dual_ashrrev_i32 v21, 31, v21 :: v_dual_ashrrev_i32 v22, 31, v22
	v_xor_b32_e32 v17, s1, v17
	v_xor_b32_e32 v19, s2, v19
	v_bitop3_b32 v11, v11, v13, exec_lo bitop3:0x80
	v_cmp_gt_i32_e64 s6, 0, v26
	v_dual_ashrrev_i32 v13, 31, v23 :: v_dual_ashrrev_i32 v23, 31, v25
	v_xor_b32_e32 v21, s3, v21
	v_xor_b32_e32 v22, s4, v22
	v_bitop3_b32 v11, v11, v19, v17 bitop3:0x80
	s_delay_alu instid0(VALU_DEP_4) | instskip(SKIP_1) | instid1(VALU_DEP_3)
	v_xor_b32_e32 v13, s5, v13
	v_xor_b32_e32 v17, s6, v23
	v_bitop3_b32 v19, v11, v22, v21 bitop3:0x80
	v_mul_u32_u24_e32 v11, 36, v12
	ds_store_2addr_b32 v11, v9, v9 offset0:16 offset1:17
	ds_store_2addr_b32 v11, v9, v9 offset0:18 offset1:19
	;; [unrolled: 1-line block ×4, first 2 shown]
	v_bitop3_b32 v17, v19, v17, v13 bitop3:0x80
	ds_store_b32 v11, v9 offset:96
	v_mad_u32_u24 v13, 0x44, v18, v0
	s_wait_storecnt 0x0
	s_wait_loadcnt_dscnt 0x0
	s_barrier_signal -1
	v_mbcnt_lo_u32_b32 v9, v17, 0
	v_cmp_ne_u32_e64 s0, 0, v17
	s_barrier_wait -1
	s_delay_alu instid0(VALU_DEP_2) | instskip(SKIP_1) | instid1(SALU_CYCLE_1)
	v_cmp_eq_u32_e32 vcc_lo, 0, v9
	; wave barrier
	s_and_b32 s1, s0, vcc_lo
	s_and_saveexec_b32 s0, s1
; %bb.98:
	v_bcnt_u32_b32 v17, v17, 0
	ds_store_b32 v13, v17 offset:64
; %bb.99:
	s_or_b32 exec_lo, exec_lo, s0
	v_cmp_gt_i16_e32 vcc_lo, 0, v10
	; wave barrier
	v_cndmask_b32_e64 v17, 0x7fff, 0, vcc_lo
	s_delay_alu instid0(VALU_DEP_1) | instskip(NEXT) | instid1(VALU_DEP_1)
	v_xor_b32_e32 v10, v17, v10
	v_cmp_ne_u16_e32 vcc_lo, 0x8000, v10
	v_cndmask_b32_e32 v17, 0x7fff, v10, vcc_lo
	s_delay_alu instid0(VALU_DEP_1) | instskip(NEXT) | instid1(VALU_DEP_1)
	v_and_b32_e32 v17, 0xffff, v17
	v_lshrrev_b32_e32 v17, s20, v17
	s_delay_alu instid0(VALU_DEP_1) | instskip(SKIP_1) | instid1(VALU_DEP_2)
	v_bitop3_b32 v18, v17, 1, s8 bitop3:0x80
	v_and_b32_e32 v17, s8, v17
	v_add_co_u32 v18, s0, v18, -1
	s_delay_alu instid0(VALU_DEP_1) | instskip(NEXT) | instid1(VALU_DEP_3)
	v_cndmask_b32_e64 v19, 0, 1, s0
	v_lshlrev_b32_e32 v21, 30, v17
	s_delay_alu instid0(VALU_DEP_2) | instskip(NEXT) | instid1(VALU_DEP_2)
	v_cmp_ne_u32_e32 vcc_lo, 0, v19
	v_not_b32_e32 v19, v21
	s_delay_alu instid0(VALU_DEP_1) | instskip(SKIP_4) | instid1(VALU_DEP_4)
	v_dual_ashrrev_i32 v19, 31, v19 :: v_dual_bitop2_b32 v18, vcc_lo, v18 bitop3:0x14
	v_dual_lshlrev_b32 v22, 29, v17 :: v_dual_lshlrev_b32 v23, 28, v17
	v_dual_lshlrev_b32 v25, 27, v17 :: v_dual_lshlrev_b32 v26, 26, v17
	v_lshlrev_b32_e32 v27, 25, v17
	v_cmp_gt_i32_e64 s0, 0, v21
	v_cmp_gt_i32_e64 s1, 0, v22
	v_not_b32_e32 v21, v22
	v_not_b32_e32 v22, v23
	v_lshlrev_b32_e32 v28, 24, v17
	v_cmp_gt_i32_e64 s2, 0, v23
	v_cmp_gt_i32_e64 s3, 0, v25
	v_not_b32_e32 v23, v25
	v_not_b32_e32 v25, v26
	v_dual_ashrrev_i32 v21, 31, v21 :: v_dual_ashrrev_i32 v22, 31, v22
	v_xor_b32_e32 v19, s0, v19
	v_cmp_gt_i32_e64 s4, 0, v26
	v_cmp_gt_i32_e64 s5, 0, v27
	v_not_b32_e32 v26, v27
	v_not_b32_e32 v27, v28
	v_dual_ashrrev_i32 v23, 31, v23 :: v_dual_bitop2_b32 v21, s1, v21 bitop3:0x14
	v_dual_ashrrev_i32 v25, 31, v25 :: v_dual_bitop2_b32 v22, s2, v22 bitop3:0x14
	s_delay_alu instid0(VALU_DEP_3) | instskip(SKIP_4) | instid1(VALU_DEP_4)
	v_ashrrev_i32_e32 v27, 31, v27
	v_bitop3_b32 v18, v18, v19, exec_lo bitop3:0x80
	v_cmp_gt_i32_e64 s6, 0, v28
	v_dual_ashrrev_i32 v26, 31, v26 :: v_dual_bitop2_b32 v23, s3, v23 bitop3:0x14
	v_xor_b32_e32 v25, s4, v25
	v_bitop3_b32 v18, v18, v22, v21 bitop3:0x80
	v_mad_u32_u24 v19, 0x44, v17, v0
	s_delay_alu instid0(VALU_DEP_4) | instskip(SKIP_1) | instid1(VALU_DEP_4)
	v_xor_b32_e32 v21, s5, v26
	v_xor_b32_e32 v22, s6, v27
	v_bitop3_b32 v18, v18, v25, v23 bitop3:0x80
	ds_load_b32 v17, v19 offset:64
	; wave barrier
	v_bitop3_b32 v21, v18, v22, v21 bitop3:0x80
	s_delay_alu instid0(VALU_DEP_1) | instskip(SKIP_1) | instid1(VALU_DEP_2)
	v_mbcnt_lo_u32_b32 v18, v21, 0
	v_cmp_ne_u32_e64 s0, 0, v21
	v_cmp_eq_u32_e32 vcc_lo, 0, v18
	s_and_b32 s1, s0, vcc_lo
	s_delay_alu instid0(SALU_CYCLE_1)
	s_and_saveexec_b32 s0, s1
	s_cbranch_execz .LBB2190_101
; %bb.100:
	s_wait_dscnt 0x0
	v_bcnt_u32_b32 v21, v21, v17
	ds_store_b32 v19, v21 offset:64
.LBB2190_101:
	s_or_b32 exec_lo, exec_lo, s0
	v_cmp_gt_i16_e32 vcc_lo, 0, v16
	; wave barrier
	v_cndmask_b32_e64 v21, 0x7fff, 0, vcc_lo
	s_delay_alu instid0(VALU_DEP_1) | instskip(NEXT) | instid1(VALU_DEP_1)
	v_xor_b32_e32 v16, v21, v16
	v_cmp_ne_u16_e32 vcc_lo, 0x8000, v16
	v_cndmask_b32_e32 v21, 0x7fff, v16, vcc_lo
	s_delay_alu instid0(VALU_DEP_1) | instskip(NEXT) | instid1(VALU_DEP_1)
	v_and_b32_e32 v21, 0xffff, v21
	v_lshrrev_b32_e32 v21, s20, v21
	s_delay_alu instid0(VALU_DEP_1) | instskip(SKIP_1) | instid1(VALU_DEP_2)
	v_bitop3_b32 v22, v21, 1, s8 bitop3:0x80
	v_and_b32_e32 v21, s8, v21
	v_add_co_u32 v22, s0, v22, -1
	s_delay_alu instid0(VALU_DEP_1) | instskip(NEXT) | instid1(VALU_DEP_3)
	v_cndmask_b32_e64 v23, 0, 1, s0
	v_lshlrev_b32_e32 v25, 30, v21
	s_delay_alu instid0(VALU_DEP_2) | instskip(NEXT) | instid1(VALU_DEP_2)
	v_cmp_ne_u32_e32 vcc_lo, 0, v23
	v_not_b32_e32 v23, v25
	s_delay_alu instid0(VALU_DEP_1) | instskip(SKIP_4) | instid1(VALU_DEP_4)
	v_dual_ashrrev_i32 v23, 31, v23 :: v_dual_bitop2_b32 v22, vcc_lo, v22 bitop3:0x14
	v_dual_lshlrev_b32 v26, 29, v21 :: v_dual_lshlrev_b32 v27, 28, v21
	v_dual_lshlrev_b32 v28, 27, v21 :: v_dual_lshlrev_b32 v29, 26, v21
	v_lshlrev_b32_e32 v30, 25, v21
	v_cmp_gt_i32_e64 s0, 0, v25
	v_cmp_gt_i32_e64 s1, 0, v26
	v_not_b32_e32 v25, v26
	v_not_b32_e32 v26, v27
	v_lshlrev_b32_e32 v31, 24, v21
	v_cmp_gt_i32_e64 s2, 0, v27
	v_cmp_gt_i32_e64 s3, 0, v28
	v_not_b32_e32 v27, v28
	v_not_b32_e32 v28, v29
	v_dual_ashrrev_i32 v25, 31, v25 :: v_dual_bitop2_b32 v23, s0, v23 bitop3:0x14
	v_ashrrev_i32_e32 v26, 31, v26
	v_cmp_gt_i32_e64 s4, 0, v29
	v_cmp_gt_i32_e64 s5, 0, v30
	v_not_b32_e32 v29, v30
	v_not_b32_e32 v30, v31
	v_dual_ashrrev_i32 v27, 31, v27 :: v_dual_ashrrev_i32 v28, 31, v28
	v_xor_b32_e32 v25, s1, v25
	s_delay_alu instid0(VALU_DEP_4) | instskip(SKIP_4) | instid1(VALU_DEP_4)
	v_dual_ashrrev_i32 v29, 31, v29 :: v_dual_bitop2_b32 v26, s2, v26 bitop3:0x14
	v_bitop3_b32 v22, v22, v23, exec_lo bitop3:0x80
	v_cmp_gt_i32_e64 s6, 0, v31
	v_dual_ashrrev_i32 v30, 31, v30 :: v_dual_bitop2_b32 v27, s3, v27 bitop3:0x14
	v_xor_b32_e32 v28, s4, v28
	v_bitop3_b32 v22, v22, v26, v25 bitop3:0x80
	v_mad_u32_u24 v23, 0x44, v21, v0
	v_xor_b32_e32 v25, s5, v29
	v_xor_b32_e32 v26, s6, v30
	s_delay_alu instid0(VALU_DEP_4) | instskip(SKIP_2) | instid1(VALU_DEP_1)
	v_bitop3_b32 v22, v22, v28, v27 bitop3:0x80
	ds_load_b32 v21, v23 offset:64
	; wave barrier
	v_bitop3_b32 v25, v22, v26, v25 bitop3:0x80
	v_mbcnt_lo_u32_b32 v22, v25, 0
	v_cmp_ne_u32_e64 s0, 0, v25
	s_delay_alu instid0(VALU_DEP_2) | instskip(SKIP_1) | instid1(SALU_CYCLE_1)
	v_cmp_eq_u32_e32 vcc_lo, 0, v22
	s_and_b32 s1, s0, vcc_lo
	s_and_saveexec_b32 s0, s1
	s_cbranch_execz .LBB2190_103
; %bb.102:
	s_wait_dscnt 0x0
	v_bcnt_u32_b32 v25, v25, v21
	ds_store_b32 v23, v25 offset:64
.LBB2190_103:
	s_or_b32 exec_lo, exec_lo, s0
	v_cmp_gt_i16_e32 vcc_lo, 0, v20
	; wave barrier
	v_cndmask_b32_e64 v25, 0x7fff, 0, vcc_lo
	s_delay_alu instid0(VALU_DEP_1) | instskip(NEXT) | instid1(VALU_DEP_1)
	v_xor_b32_e32 v20, v25, v20
	v_cmp_ne_u16_e32 vcc_lo, 0x8000, v20
	v_cndmask_b32_e32 v25, 0x7fff, v20, vcc_lo
	s_delay_alu instid0(VALU_DEP_1) | instskip(NEXT) | instid1(VALU_DEP_1)
	v_and_b32_e32 v25, 0xffff, v25
	v_lshrrev_b32_e32 v25, s20, v25
	s_delay_alu instid0(VALU_DEP_1) | instskip(SKIP_1) | instid1(VALU_DEP_2)
	v_bitop3_b32 v26, v25, 1, s8 bitop3:0x80
	v_and_b32_e32 v25, s8, v25
	v_add_co_u32 v26, s0, v26, -1
	s_delay_alu instid0(VALU_DEP_1) | instskip(NEXT) | instid1(VALU_DEP_3)
	v_cndmask_b32_e64 v27, 0, 1, s0
	v_lshlrev_b32_e32 v28, 30, v25
	s_delay_alu instid0(VALU_DEP_2) | instskip(NEXT) | instid1(VALU_DEP_2)
	v_cmp_ne_u32_e32 vcc_lo, 0, v27
	v_not_b32_e32 v27, v28
	s_delay_alu instid0(VALU_DEP_1) | instskip(SKIP_4) | instid1(VALU_DEP_4)
	v_dual_ashrrev_i32 v27, 31, v27 :: v_dual_bitop2_b32 v26, vcc_lo, v26 bitop3:0x14
	v_dual_lshlrev_b32 v29, 29, v25 :: v_dual_lshlrev_b32 v30, 28, v25
	v_dual_lshlrev_b32 v31, 27, v25 :: v_dual_lshlrev_b32 v32, 26, v25
	v_lshlrev_b32_e32 v33, 25, v25
	v_cmp_gt_i32_e64 s0, 0, v28
	v_cmp_gt_i32_e64 s1, 0, v29
	v_not_b32_e32 v28, v29
	v_not_b32_e32 v29, v30
	v_lshlrev_b32_e32 v34, 24, v25
	v_cmp_gt_i32_e64 s2, 0, v30
	v_cmp_gt_i32_e64 s3, 0, v31
	v_not_b32_e32 v30, v31
	v_cmp_gt_i32_e64 s4, 0, v32
	v_not_b32_e32 v31, v32
	v_not_b32_e32 v32, v33
	v_dual_ashrrev_i32 v28, 31, v28 :: v_dual_ashrrev_i32 v29, 31, v29
	v_xor_b32_e32 v27, s0, v27
	v_cmp_gt_i32_e64 s5, 0, v33
	v_not_b32_e32 v33, v34
	v_dual_ashrrev_i32 v30, 31, v30 :: v_dual_ashrrev_i32 v31, 31, v31
	v_xor_b32_e32 v28, s1, v28
	v_dual_ashrrev_i32 v32, 31, v32 :: v_dual_bitop2_b32 v29, s2, v29 bitop3:0x14
	v_bitop3_b32 v26, v26, v27, exec_lo bitop3:0x80
	v_cmp_gt_i32_e64 s6, 0, v34
	v_dual_ashrrev_i32 v33, 31, v33 :: v_dual_bitop2_b32 v30, s3, v30 bitop3:0x14
	v_xor_b32_e32 v31, s4, v31
	s_delay_alu instid0(VALU_DEP_4) | instskip(SKIP_3) | instid1(VALU_DEP_4)
	v_bitop3_b32 v26, v26, v29, v28 bitop3:0x80
	v_mad_u32_u24 v27, 0x44, v25, v0
	v_xor_b32_e32 v28, s5, v32
	v_xor_b32_e32 v29, s6, v33
	v_bitop3_b32 v26, v26, v31, v30 bitop3:0x80
	ds_load_b32 v25, v27 offset:64
	; wave barrier
	v_bitop3_b32 v28, v26, v29, v28 bitop3:0x80
	s_delay_alu instid0(VALU_DEP_1) | instskip(SKIP_1) | instid1(VALU_DEP_2)
	v_mbcnt_lo_u32_b32 v26, v28, 0
	v_cmp_ne_u32_e64 s0, 0, v28
	v_cmp_eq_u32_e32 vcc_lo, 0, v26
	s_and_b32 s1, s0, vcc_lo
	s_delay_alu instid0(SALU_CYCLE_1)
	s_and_saveexec_b32 s0, s1
	s_cbranch_execz .LBB2190_105
; %bb.104:
	s_wait_dscnt 0x0
	v_bcnt_u32_b32 v28, v28, v25
	ds_store_b32 v27, v28 offset:64
.LBB2190_105:
	s_or_b32 exec_lo, exec_lo, s0
	v_cmp_gt_i16_e32 vcc_lo, 0, v24
	; wave barrier
	v_cndmask_b32_e64 v28, 0x7fff, 0, vcc_lo
	s_delay_alu instid0(VALU_DEP_1) | instskip(NEXT) | instid1(VALU_DEP_1)
	v_xor_b32_e32 v24, v28, v24
	v_cmp_ne_u16_e32 vcc_lo, 0x8000, v24
	v_cndmask_b32_e32 v28, 0x7fff, v24, vcc_lo
	s_delay_alu instid0(VALU_DEP_1) | instskip(NEXT) | instid1(VALU_DEP_1)
	v_and_b32_e32 v28, 0xffff, v28
	v_lshrrev_b32_e32 v28, s20, v28
	s_delay_alu instid0(VALU_DEP_1) | instskip(NEXT) | instid1(VALU_DEP_1)
	v_bitop3_b32 v29, v28, 1, s8 bitop3:0x80
	v_add_co_u32 v29, s0, v29, -1
	s_delay_alu instid0(VALU_DEP_1) | instskip(NEXT) | instid1(VALU_DEP_1)
	v_cndmask_b32_e64 v30, 0, 1, s0
	v_cmp_ne_u32_e32 vcc_lo, 0, v30
	s_delay_alu instid0(VALU_DEP_3) | instskip(SKIP_1) | instid1(VALU_DEP_1)
	v_xor_b32_e32 v29, vcc_lo, v29
	v_and_b32_e32 v28, s8, v28
	v_dual_lshlrev_b32 v31, 30, v28 :: v_dual_lshlrev_b32 v32, 29, v28
	v_dual_lshlrev_b32 v33, 28, v28 :: v_dual_lshlrev_b32 v34, 27, v28
	s_delay_alu instid0(VALU_DEP_2) | instskip(SKIP_1) | instid1(VALU_DEP_4)
	v_cmp_gt_i32_e64 s0, 0, v31
	v_not_b32_e32 v30, v31
	v_cmp_gt_i32_e64 s1, 0, v32
	v_not_b32_e32 v31, v32
	;; [unrolled: 2-line block ×3, first 2 shown]
	v_not_b32_e32 v33, v34
	v_ashrrev_i32_e32 v30, 31, v30
	v_cmp_gt_i32_e64 s3, 0, v34
	s_delay_alu instid0(VALU_DEP_3) | instskip(SKIP_1) | instid1(VALU_DEP_4)
	v_dual_ashrrev_i32 v31, 31, v31 :: v_dual_ashrrev_i32 v33, 31, v33
	v_dual_lshlrev_b32 v35, 26, v28 :: v_dual_lshlrev_b32 v36, 25, v28
	v_dual_lshlrev_b32 v37, 24, v28 :: v_dual_bitop2_b32 v30, s0, v30 bitop3:0x14
	s_delay_alu instid0(VALU_DEP_3) | instskip(NEXT) | instid1(VALU_DEP_3)
	v_xor_b32_e32 v33, s3, v33
	v_not_b32_e32 v34, v35
	v_ashrrev_i32_e32 v32, 31, v32
	v_cmp_gt_i32_e64 s4, 0, v35
	v_cmp_gt_i32_e64 s5, 0, v36
	v_not_b32_e32 v35, v36
	v_not_b32_e32 v36, v37
	v_dual_ashrrev_i32 v34, 31, v34 :: v_dual_bitop2_b32 v31, s1, v31 bitop3:0x14
	v_xor_b32_e32 v32, s2, v32
	v_bitop3_b32 v29, v29, v30, exec_lo bitop3:0x80
	v_cmp_gt_i32_e64 s6, 0, v37
	v_dual_ashrrev_i32 v30, 31, v35 :: v_dual_ashrrev_i32 v35, 31, v36
	v_xor_b32_e32 v34, s4, v34
	s_delay_alu instid0(VALU_DEP_4) | instskip(SKIP_1) | instid1(VALU_DEP_4)
	v_bitop3_b32 v29, v29, v32, v31 bitop3:0x80
	v_mad_u32_u24 v31, 0x44, v28, v0
	v_xor_b32_e32 v30, s5, v30
	v_xor_b32_e32 v32, s6, v35
	s_delay_alu instid0(VALU_DEP_4) | instskip(SKIP_2) | instid1(VALU_DEP_1)
	v_bitop3_b32 v29, v29, v34, v33 bitop3:0x80
	ds_load_b32 v28, v31 offset:64
	; wave barrier
	v_bitop3_b32 v29, v29, v32, v30 bitop3:0x80
	v_mbcnt_lo_u32_b32 v30, v29, 0
	v_cmp_ne_u32_e64 s0, 0, v29
	s_delay_alu instid0(VALU_DEP_2) | instskip(SKIP_1) | instid1(SALU_CYCLE_1)
	v_cmp_eq_u32_e32 vcc_lo, 0, v30
	s_and_b32 s1, s0, vcc_lo
	s_and_saveexec_b32 s0, s1
	s_cbranch_execz .LBB2190_107
; %bb.106:
	s_wait_dscnt 0x0
	v_bcnt_u32_b32 v29, v29, v28
	ds_store_b32 v31, v29 offset:64
.LBB2190_107:
	s_or_b32 exec_lo, exec_lo, s0
	v_cmp_gt_i16_e32 vcc_lo, 0, v7
	; wave barrier
	v_cndmask_b32_e64 v29, 0x7fff, 0, vcc_lo
	s_delay_alu instid0(VALU_DEP_1) | instskip(NEXT) | instid1(VALU_DEP_1)
	v_xor_b32_e32 v29, v29, v7
	v_cmp_ne_u16_e32 vcc_lo, 0x8000, v29
	v_cndmask_b32_e32 v7, 0x7fff, v29, vcc_lo
	s_delay_alu instid0(VALU_DEP_1) | instskip(NEXT) | instid1(VALU_DEP_1)
	v_and_b32_e32 v7, 0xffff, v7
	v_lshrrev_b32_e32 v7, s20, v7
	s_delay_alu instid0(VALU_DEP_1) | instskip(SKIP_1) | instid1(VALU_DEP_2)
	v_bitop3_b32 v32, v7, 1, s8 bitop3:0x80
	v_and_b32_e32 v7, s8, v7
	v_add_co_u32 v32, s0, v32, -1
	s_delay_alu instid0(VALU_DEP_1) | instskip(NEXT) | instid1(VALU_DEP_3)
	v_cndmask_b32_e64 v33, 0, 1, s0
	v_lshlrev_b32_e32 v34, 30, v7
	s_delay_alu instid0(VALU_DEP_2) | instskip(NEXT) | instid1(VALU_DEP_2)
	v_cmp_ne_u32_e32 vcc_lo, 0, v33
	v_not_b32_e32 v33, v34
	s_delay_alu instid0(VALU_DEP_1) | instskip(SKIP_4) | instid1(VALU_DEP_4)
	v_dual_ashrrev_i32 v33, 31, v33 :: v_dual_bitop2_b32 v32, vcc_lo, v32 bitop3:0x14
	v_dual_lshlrev_b32 v35, 29, v7 :: v_dual_lshlrev_b32 v36, 28, v7
	v_dual_lshlrev_b32 v37, 27, v7 :: v_dual_lshlrev_b32 v38, 26, v7
	v_lshlrev_b32_e32 v39, 25, v7
	v_cmp_gt_i32_e64 s0, 0, v34
	v_cmp_gt_i32_e64 s1, 0, v35
	v_not_b32_e32 v34, v35
	v_not_b32_e32 v35, v36
	v_lshlrev_b32_e32 v40, 24, v7
	v_cmp_gt_i32_e64 s2, 0, v36
	v_cmp_gt_i32_e64 s3, 0, v37
	v_not_b32_e32 v36, v37
	v_not_b32_e32 v37, v38
	v_dual_ashrrev_i32 v34, 31, v34 :: v_dual_ashrrev_i32 v35, 31, v35
	v_xor_b32_e32 v33, s0, v33
	v_cmp_gt_i32_e64 s4, 0, v38
	v_cmp_gt_i32_e64 s5, 0, v39
	v_not_b32_e32 v38, v39
	v_not_b32_e32 v39, v40
	v_dual_ashrrev_i32 v36, 31, v36 :: v_dual_ashrrev_i32 v37, 31, v37
	v_xor_b32_e32 v34, s1, v34
	v_xor_b32_e32 v35, s2, v35
	v_bitop3_b32 v32, v32, v33, exec_lo bitop3:0x80
	v_cmp_gt_i32_e64 s6, 0, v40
	v_dual_ashrrev_i32 v33, 31, v38 :: v_dual_ashrrev_i32 v38, 31, v39
	v_xor_b32_e32 v36, s3, v36
	v_xor_b32_e32 v37, s4, v37
	v_bitop3_b32 v32, v32, v35, v34 bitop3:0x80
	v_mad_u32_u24 v35, 0x44, v7, v0
	v_xor_b32_e32 v7, s5, v33
	v_xor_b32_e32 v33, s6, v38
	s_delay_alu instid0(VALU_DEP_4) | instskip(SKIP_2) | instid1(VALU_DEP_1)
	v_bitop3_b32 v34, v32, v37, v36 bitop3:0x80
	ds_load_b32 v32, v35 offset:64
	; wave barrier
	v_bitop3_b32 v7, v34, v33, v7 bitop3:0x80
	v_mbcnt_lo_u32_b32 v33, v7, 0
	v_cmp_ne_u32_e64 s0, 0, v7
	s_delay_alu instid0(VALU_DEP_2) | instskip(SKIP_1) | instid1(SALU_CYCLE_1)
	v_cmp_eq_u32_e32 vcc_lo, 0, v33
	s_and_b32 s1, s0, vcc_lo
	s_and_saveexec_b32 s0, s1
	s_cbranch_execz .LBB2190_109
; %bb.108:
	s_wait_dscnt 0x0
	v_bcnt_u32_b32 v7, v7, v32
	ds_store_b32 v35, v7 offset:64
.LBB2190_109:
	s_or_b32 exec_lo, exec_lo, s0
	v_cmp_gt_i16_e32 vcc_lo, 0, v6
	; wave barrier
	v_cndmask_b32_e64 v7, 0x7fff, 0, vcc_lo
	s_delay_alu instid0(VALU_DEP_1) | instskip(NEXT) | instid1(VALU_DEP_1)
	v_xor_b32_e32 v34, v7, v6
	v_cmp_ne_u16_e32 vcc_lo, 0x8000, v34
	v_cndmask_b32_e32 v6, 0x7fff, v34, vcc_lo
	s_delay_alu instid0(VALU_DEP_1) | instskip(NEXT) | instid1(VALU_DEP_1)
	v_and_b32_e32 v6, 0xffff, v6
	v_lshrrev_b32_e32 v6, s20, v6
	s_delay_alu instid0(VALU_DEP_1) | instskip(SKIP_1) | instid1(VALU_DEP_2)
	v_bitop3_b32 v7, v6, 1, s8 bitop3:0x80
	v_and_b32_e32 v6, s8, v6
	v_add_co_u32 v7, s0, v7, -1
	s_delay_alu instid0(VALU_DEP_1) | instskip(NEXT) | instid1(VALU_DEP_3)
	v_cndmask_b32_e64 v36, 0, 1, s0
	v_lshlrev_b32_e32 v37, 30, v6
	s_delay_alu instid0(VALU_DEP_2) | instskip(NEXT) | instid1(VALU_DEP_2)
	v_cmp_ne_u32_e32 vcc_lo, 0, v36
	v_not_b32_e32 v36, v37
	s_delay_alu instid0(VALU_DEP_1) | instskip(SKIP_4) | instid1(VALU_DEP_4)
	v_dual_ashrrev_i32 v36, 31, v36 :: v_dual_bitop2_b32 v7, vcc_lo, v7 bitop3:0x14
	v_dual_lshlrev_b32 v38, 29, v6 :: v_dual_lshlrev_b32 v39, 28, v6
	v_dual_lshlrev_b32 v40, 27, v6 :: v_dual_lshlrev_b32 v41, 26, v6
	v_lshlrev_b32_e32 v42, 25, v6
	v_cmp_gt_i32_e64 s0, 0, v37
	v_cmp_gt_i32_e64 s1, 0, v38
	v_not_b32_e32 v37, v38
	v_not_b32_e32 v38, v39
	v_lshlrev_b32_e32 v43, 24, v6
	v_cmp_gt_i32_e64 s2, 0, v39
	v_cmp_gt_i32_e64 s3, 0, v40
	v_not_b32_e32 v39, v40
	v_not_b32_e32 v40, v41
	v_dual_ashrrev_i32 v37, 31, v37 :: v_dual_ashrrev_i32 v38, 31, v38
	v_xor_b32_e32 v36, s0, v36
	v_cmp_gt_i32_e64 s4, 0, v41
	v_cmp_gt_i32_e64 s5, 0, v42
	v_not_b32_e32 v41, v42
	v_not_b32_e32 v42, v43
	v_dual_ashrrev_i32 v39, 31, v39 :: v_dual_ashrrev_i32 v40, 31, v40
	v_xor_b32_e32 v37, s1, v37
	v_xor_b32_e32 v38, s2, v38
	v_bitop3_b32 v7, v7, v36, exec_lo bitop3:0x80
	v_cmp_gt_i32_e64 s6, 0, v43
	v_dual_ashrrev_i32 v36, 31, v41 :: v_dual_ashrrev_i32 v41, 31, v42
	v_xor_b32_e32 v42, s3, v39
	v_xor_b32_e32 v40, s4, v40
	v_bitop3_b32 v7, v7, v38, v37 bitop3:0x80
	v_mad_u32_u24 v39, 0x44, v6, v0
	v_xor_b32_e32 v6, s5, v36
	v_xor_b32_e32 v36, s6, v41
	s_delay_alu instid0(VALU_DEP_4) | instskip(SKIP_2) | instid1(VALU_DEP_1)
	v_bitop3_b32 v7, v7, v40, v42 bitop3:0x80
	ds_load_b32 v37, v39 offset:64
	; wave barrier
	v_bitop3_b32 v6, v7, v36, v6 bitop3:0x80
	v_mbcnt_lo_u32_b32 v38, v6, 0
	v_cmp_ne_u32_e64 s0, 0, v6
	s_delay_alu instid0(VALU_DEP_2) | instskip(SKIP_1) | instid1(SALU_CYCLE_1)
	v_cmp_eq_u32_e32 vcc_lo, 0, v38
	s_and_b32 s1, s0, vcc_lo
	s_and_saveexec_b32 s0, s1
	s_cbranch_execz .LBB2190_111
; %bb.110:
	s_wait_dscnt 0x0
	v_bcnt_u32_b32 v6, v6, v37
	ds_store_b32 v39, v6 offset:64
.LBB2190_111:
	s_or_b32 exec_lo, exec_lo, s0
	v_cmp_gt_i16_e32 vcc_lo, 0, v5
	; wave barrier
	v_cndmask_b32_e64 v6, 0x7fff, 0, vcc_lo
	s_delay_alu instid0(VALU_DEP_1) | instskip(NEXT) | instid1(VALU_DEP_1)
	v_xor_b32_e32 v36, v6, v5
	v_cmp_ne_u16_e32 vcc_lo, 0x8000, v36
	v_cndmask_b32_e32 v5, 0x7fff, v36, vcc_lo
	s_delay_alu instid0(VALU_DEP_1) | instskip(NEXT) | instid1(VALU_DEP_1)
	v_and_b32_e32 v5, 0xffff, v5
	v_lshrrev_b32_e32 v5, s20, v5
	s_delay_alu instid0(VALU_DEP_1) | instskip(SKIP_1) | instid1(VALU_DEP_2)
	v_bitop3_b32 v6, v5, 1, s8 bitop3:0x80
	v_and_b32_e32 v5, s8, v5
	v_add_co_u32 v6, s0, v6, -1
	s_delay_alu instid0(VALU_DEP_1) | instskip(NEXT) | instid1(VALU_DEP_3)
	v_cndmask_b32_e64 v7, 0, 1, s0
	v_lshlrev_b32_e32 v40, 30, v5
	s_delay_alu instid0(VALU_DEP_2) | instskip(NEXT) | instid1(VALU_DEP_2)
	v_cmp_ne_u32_e32 vcc_lo, 0, v7
	v_not_b32_e32 v7, v40
	s_delay_alu instid0(VALU_DEP_1) | instskip(SKIP_4) | instid1(VALU_DEP_4)
	v_dual_ashrrev_i32 v7, 31, v7 :: v_dual_bitop2_b32 v6, vcc_lo, v6 bitop3:0x14
	v_dual_lshlrev_b32 v41, 29, v5 :: v_dual_lshlrev_b32 v42, 28, v5
	v_dual_lshlrev_b32 v43, 27, v5 :: v_dual_lshlrev_b32 v44, 26, v5
	;; [unrolled: 1-line block ×3, first 2 shown]
	v_cmp_gt_i32_e64 s0, 0, v40
	v_cmp_gt_i32_e64 s1, 0, v41
	v_not_b32_e32 v40, v41
	v_not_b32_e32 v41, v42
	v_cmp_gt_i32_e64 s2, 0, v42
	v_cmp_gt_i32_e64 s3, 0, v43
	v_not_b32_e32 v42, v43
	v_cmp_gt_i32_e64 s4, 0, v44
	v_not_b32_e32 v43, v44
	;; [unrolled: 2-line block ×3, first 2 shown]
	v_not_b32_e32 v45, v46
	v_dual_ashrrev_i32 v40, 31, v40 :: v_dual_ashrrev_i32 v41, 31, v41
	v_dual_ashrrev_i32 v42, 31, v42 :: v_dual_bitop2_b32 v7, s0, v7 bitop3:0x14
	s_delay_alu instid0(VALU_DEP_2) | instskip(NEXT) | instid1(VALU_DEP_3)
	v_dual_ashrrev_i32 v43, 31, v43 :: v_dual_bitop2_b32 v40, s1, v40 bitop3:0x14
	v_xor_b32_e32 v41, s2, v41
	s_delay_alu instid0(VALU_DEP_3)
	v_bitop3_b32 v6, v6, v7, exec_lo bitop3:0x80
	v_cmp_gt_i32_e64 s6, 0, v46
	v_dual_ashrrev_i32 v7, 31, v44 :: v_dual_ashrrev_i32 v44, 31, v45
	v_xor_b32_e32 v42, s3, v42
	v_xor_b32_e32 v45, s4, v43
	v_bitop3_b32 v6, v6, v41, v40 bitop3:0x80
	v_mad_u32_u24 v43, 0x44, v5, v0
	v_xor_b32_e32 v5, s5, v7
	v_xor_b32_e32 v7, s6, v44
	s_delay_alu instid0(VALU_DEP_4) | instskip(SKIP_2) | instid1(VALU_DEP_1)
	v_bitop3_b32 v6, v6, v45, v42 bitop3:0x80
	ds_load_b32 v41, v43 offset:64
	; wave barrier
	v_bitop3_b32 v5, v6, v7, v5 bitop3:0x80
	v_mbcnt_lo_u32_b32 v42, v5, 0
	v_cmp_ne_u32_e64 s0, 0, v5
	s_delay_alu instid0(VALU_DEP_2) | instskip(SKIP_1) | instid1(SALU_CYCLE_1)
	v_cmp_eq_u32_e32 vcc_lo, 0, v42
	s_and_b32 s1, s0, vcc_lo
	s_and_saveexec_b32 s0, s1
	s_cbranch_execz .LBB2190_113
; %bb.112:
	s_wait_dscnt 0x0
	v_bcnt_u32_b32 v5, v5, v41
	ds_store_b32 v43, v5 offset:64
.LBB2190_113:
	s_or_b32 exec_lo, exec_lo, s0
	v_cmp_gt_i16_e32 vcc_lo, 0, v4
	; wave barrier
	v_cndmask_b32_e64 v5, 0x7fff, 0, vcc_lo
	s_delay_alu instid0(VALU_DEP_1) | instskip(NEXT) | instid1(VALU_DEP_1)
	v_xor_b32_e32 v40, v5, v4
	v_cmp_ne_u16_e32 vcc_lo, 0x8000, v40
	v_cndmask_b32_e32 v4, 0x7fff, v40, vcc_lo
	s_delay_alu instid0(VALU_DEP_1) | instskip(NEXT) | instid1(VALU_DEP_1)
	v_and_b32_e32 v4, 0xffff, v4
	v_lshrrev_b32_e32 v4, s20, v4
	s_delay_alu instid0(VALU_DEP_1) | instskip(SKIP_1) | instid1(VALU_DEP_2)
	v_bitop3_b32 v5, v4, 1, s8 bitop3:0x80
	v_and_b32_e32 v4, s8, v4
	v_add_co_u32 v5, s0, v5, -1
	s_delay_alu instid0(VALU_DEP_1) | instskip(NEXT) | instid1(VALU_DEP_3)
	v_cndmask_b32_e64 v6, 0, 1, s0
	v_lshlrev_b32_e32 v7, 30, v4
	s_delay_alu instid0(VALU_DEP_2) | instskip(NEXT) | instid1(VALU_DEP_2)
	v_cmp_ne_u32_e32 vcc_lo, 0, v6
	v_not_b32_e32 v6, v7
	s_delay_alu instid0(VALU_DEP_1) | instskip(SKIP_4) | instid1(VALU_DEP_4)
	v_dual_ashrrev_i32 v6, 31, v6 :: v_dual_bitop2_b32 v5, vcc_lo, v5 bitop3:0x14
	v_dual_lshlrev_b32 v44, 29, v4 :: v_dual_lshlrev_b32 v45, 28, v4
	v_dual_lshlrev_b32 v46, 27, v4 :: v_dual_lshlrev_b32 v47, 26, v4
	v_lshlrev_b32_e32 v48, 25, v4
	v_cmp_gt_i32_e64 s0, 0, v7
	v_cmp_gt_i32_e64 s1, 0, v44
	v_not_b32_e32 v7, v44
	v_not_b32_e32 v44, v45
	v_lshlrev_b32_e32 v49, 24, v4
	v_cmp_gt_i32_e64 s2, 0, v45
	v_cmp_gt_i32_e64 s3, 0, v46
	v_not_b32_e32 v45, v46
	v_not_b32_e32 v46, v47
	v_dual_ashrrev_i32 v7, 31, v7 :: v_dual_ashrrev_i32 v44, 31, v44
	v_xor_b32_e32 v6, s0, v6
	v_cmp_gt_i32_e64 s4, 0, v47
	v_cmp_gt_i32_e64 s5, 0, v48
	v_not_b32_e32 v47, v48
	v_not_b32_e32 v48, v49
	v_dual_ashrrev_i32 v45, 31, v45 :: v_dual_ashrrev_i32 v46, 31, v46
	v_xor_b32_e32 v7, s1, v7
	v_xor_b32_e32 v44, s2, v44
	v_bitop3_b32 v5, v5, v6, exec_lo bitop3:0x80
	v_cmp_gt_i32_e64 s6, 0, v49
	v_dual_ashrrev_i32 v6, 31, v47 :: v_dual_ashrrev_i32 v48, 31, v48
	v_xor_b32_e32 v45, s3, v45
	v_xor_b32_e32 v46, s4, v46
	v_bitop3_b32 v5, v5, v44, v7 bitop3:0x80
	v_mad_u32_u24 v47, 0x44, v4, v0
	v_xor_b32_e32 v4, s5, v6
	v_xor_b32_e32 v6, s6, v48
	s_delay_alu instid0(VALU_DEP_4) | instskip(SKIP_2) | instid1(VALU_DEP_1)
	v_bitop3_b32 v5, v5, v46, v45 bitop3:0x80
	ds_load_b32 v45, v47 offset:64
	; wave barrier
	v_bitop3_b32 v4, v5, v6, v4 bitop3:0x80
	v_mbcnt_lo_u32_b32 v46, v4, 0
	v_cmp_ne_u32_e64 s0, 0, v4
	s_delay_alu instid0(VALU_DEP_2) | instskip(SKIP_1) | instid1(SALU_CYCLE_1)
	v_cmp_eq_u32_e32 vcc_lo, 0, v46
	s_and_b32 s1, s0, vcc_lo
	s_and_saveexec_b32 s0, s1
	s_cbranch_execz .LBB2190_115
; %bb.114:
	s_wait_dscnt 0x0
	v_bcnt_u32_b32 v4, v4, v45
	ds_store_b32 v47, v4 offset:64
.LBB2190_115:
	s_or_b32 exec_lo, exec_lo, s0
	v_cmp_gt_i16_e32 vcc_lo, 0, v3
	; wave barrier
	v_cndmask_b32_e64 v4, 0x7fff, 0, vcc_lo
	s_delay_alu instid0(VALU_DEP_1) | instskip(NEXT) | instid1(VALU_DEP_1)
	v_xor_b32_e32 v44, v4, v3
	v_cmp_ne_u16_e32 vcc_lo, 0x8000, v44
	v_cndmask_b32_e32 v3, 0x7fff, v44, vcc_lo
	s_delay_alu instid0(VALU_DEP_1) | instskip(NEXT) | instid1(VALU_DEP_1)
	v_and_b32_e32 v3, 0xffff, v3
	v_lshrrev_b32_e32 v3, s20, v3
	s_delay_alu instid0(VALU_DEP_1) | instskip(SKIP_1) | instid1(VALU_DEP_2)
	v_bitop3_b32 v4, v3, 1, s8 bitop3:0x80
	v_and_b32_e32 v3, s8, v3
	v_add_co_u32 v4, s0, v4, -1
	s_delay_alu instid0(VALU_DEP_1) | instskip(NEXT) | instid1(VALU_DEP_3)
	v_cndmask_b32_e64 v5, 0, 1, s0
	v_lshlrev_b32_e32 v6, 30, v3
	s_delay_alu instid0(VALU_DEP_2) | instskip(NEXT) | instid1(VALU_DEP_2)
	v_cmp_ne_u32_e32 vcc_lo, 0, v5
	v_not_b32_e32 v5, v6
	s_delay_alu instid0(VALU_DEP_1) | instskip(SKIP_4) | instid1(VALU_DEP_4)
	v_dual_ashrrev_i32 v5, 31, v5 :: v_dual_bitop2_b32 v4, vcc_lo, v4 bitop3:0x14
	v_dual_lshlrev_b32 v7, 29, v3 :: v_dual_lshlrev_b32 v48, 28, v3
	v_dual_lshlrev_b32 v49, 27, v3 :: v_dual_lshlrev_b32 v50, 26, v3
	v_lshlrev_b32_e32 v51, 25, v3
	v_cmp_gt_i32_e64 s0, 0, v6
	v_cmp_gt_i32_e64 s1, 0, v7
	v_not_b32_e32 v6, v7
	v_not_b32_e32 v7, v48
	v_lshlrev_b32_e32 v52, 24, v3
	v_cmp_gt_i32_e64 s2, 0, v48
	v_cmp_gt_i32_e64 s3, 0, v49
	v_not_b32_e32 v48, v49
	v_not_b32_e32 v49, v50
	v_dual_ashrrev_i32 v6, 31, v6 :: v_dual_ashrrev_i32 v7, 31, v7
	v_xor_b32_e32 v5, s0, v5
	v_cmp_gt_i32_e64 s4, 0, v50
	v_cmp_gt_i32_e64 s5, 0, v51
	v_not_b32_e32 v50, v51
	v_not_b32_e32 v51, v52
	v_dual_ashrrev_i32 v48, 31, v48 :: v_dual_ashrrev_i32 v49, 31, v49
	v_xor_b32_e32 v6, s1, v6
	v_xor_b32_e32 v7, s2, v7
	v_bitop3_b32 v4, v4, v5, exec_lo bitop3:0x80
	v_cmp_gt_i32_e64 s6, 0, v52
	v_dual_ashrrev_i32 v5, 31, v50 :: v_dual_ashrrev_i32 v50, 31, v51
	v_xor_b32_e32 v48, s3, v48
	v_xor_b32_e32 v49, s4, v49
	v_bitop3_b32 v4, v4, v7, v6 bitop3:0x80
	v_mad_u32_u24 v51, 0x44, v3, v0
	v_xor_b32_e32 v3, s5, v5
	v_xor_b32_e32 v5, s6, v50
	s_delay_alu instid0(VALU_DEP_4) | instskip(SKIP_2) | instid1(VALU_DEP_1)
	v_bitop3_b32 v4, v4, v49, v48 bitop3:0x80
	ds_load_b32 v48, v51 offset:64
	; wave barrier
	v_bitop3_b32 v3, v4, v5, v3 bitop3:0x80
	v_mbcnt_lo_u32_b32 v50, v3, 0
	v_cmp_ne_u32_e64 s0, 0, v3
	s_delay_alu instid0(VALU_DEP_2) | instskip(SKIP_1) | instid1(SALU_CYCLE_1)
	v_cmp_eq_u32_e32 vcc_lo, 0, v50
	s_and_b32 s1, s0, vcc_lo
	s_and_saveexec_b32 s0, s1
	s_cbranch_execz .LBB2190_117
; %bb.116:
	s_wait_dscnt 0x0
	v_bcnt_u32_b32 v3, v3, v48
	ds_store_b32 v51, v3 offset:64
.LBB2190_117:
	s_or_b32 exec_lo, exec_lo, s0
	v_cmp_gt_i16_e32 vcc_lo, 0, v2
	; wave barrier
	v_cndmask_b32_e64 v3, 0x7fff, 0, vcc_lo
	s_delay_alu instid0(VALU_DEP_1) | instskip(NEXT) | instid1(VALU_DEP_1)
	v_xor_b32_e32 v49, v3, v2
	v_cmp_ne_u16_e32 vcc_lo, 0x8000, v49
	v_cndmask_b32_e32 v2, 0x7fff, v49, vcc_lo
	s_delay_alu instid0(VALU_DEP_1) | instskip(NEXT) | instid1(VALU_DEP_1)
	v_and_b32_e32 v2, 0xffff, v2
	v_lshrrev_b32_e32 v2, s20, v2
	s_delay_alu instid0(VALU_DEP_1) | instskip(SKIP_1) | instid1(VALU_DEP_2)
	v_bitop3_b32 v3, v2, 1, s8 bitop3:0x80
	v_and_b32_e32 v2, s8, v2
	v_add_co_u32 v3, s0, v3, -1
	s_delay_alu instid0(VALU_DEP_1) | instskip(NEXT) | instid1(VALU_DEP_3)
	v_cndmask_b32_e64 v4, 0, 1, s0
	v_lshlrev_b32_e32 v5, 30, v2
	s_delay_alu instid0(VALU_DEP_2) | instskip(NEXT) | instid1(VALU_DEP_2)
	v_cmp_ne_u32_e32 vcc_lo, 0, v4
	v_not_b32_e32 v4, v5
	s_delay_alu instid0(VALU_DEP_1) | instskip(SKIP_4) | instid1(VALU_DEP_4)
	v_dual_ashrrev_i32 v4, 31, v4 :: v_dual_bitop2_b32 v3, vcc_lo, v3 bitop3:0x14
	v_dual_lshlrev_b32 v6, 29, v2 :: v_dual_lshlrev_b32 v7, 28, v2
	v_dual_lshlrev_b32 v52, 27, v2 :: v_dual_lshlrev_b32 v53, 26, v2
	;; [unrolled: 1-line block ×3, first 2 shown]
	v_cmp_gt_i32_e64 s0, 0, v5
	v_cmp_gt_i32_e64 s1, 0, v6
	v_not_b32_e32 v5, v6
	v_not_b32_e32 v6, v7
	v_cmp_gt_i32_e64 s2, 0, v7
	v_cmp_gt_i32_e64 s3, 0, v52
	v_not_b32_e32 v7, v52
	v_cmp_gt_i32_e64 s4, 0, v53
	v_not_b32_e32 v52, v53
	v_cmp_gt_i32_e64 s5, 0, v54
	v_not_b32_e32 v53, v54
	v_not_b32_e32 v54, v55
	v_dual_ashrrev_i32 v5, 31, v5 :: v_dual_ashrrev_i32 v6, 31, v6
	v_dual_ashrrev_i32 v7, 31, v7 :: v_dual_bitop2_b32 v4, s0, v4 bitop3:0x14
	s_delay_alu instid0(VALU_DEP_2) | instskip(NEXT) | instid1(VALU_DEP_3)
	v_dual_ashrrev_i32 v52, 31, v52 :: v_dual_bitop2_b32 v5, s1, v5 bitop3:0x14
	v_xor_b32_e32 v6, s2, v6
	s_delay_alu instid0(VALU_DEP_3)
	v_bitop3_b32 v3, v3, v4, exec_lo bitop3:0x80
	v_cmp_gt_i32_e64 s6, 0, v55
	v_dual_ashrrev_i32 v4, 31, v53 :: v_dual_ashrrev_i32 v53, 31, v54
	v_xor_b32_e32 v7, s3, v7
	v_xor_b32_e32 v52, s4, v52
	v_bitop3_b32 v3, v3, v6, v5 bitop3:0x80
	v_mad_u32_u24 v56, 0x44, v2, v0
	v_xor_b32_e32 v2, s5, v4
	v_xor_b32_e32 v4, s6, v53
	s_delay_alu instid0(VALU_DEP_4) | instskip(SKIP_2) | instid1(VALU_DEP_1)
	v_bitop3_b32 v3, v3, v52, v7 bitop3:0x80
	ds_load_b32 v52, v56 offset:64
	; wave barrier
	v_bitop3_b32 v2, v3, v4, v2 bitop3:0x80
	v_mbcnt_lo_u32_b32 v53, v2, 0
	v_cmp_ne_u32_e64 s0, 0, v2
	s_delay_alu instid0(VALU_DEP_2) | instskip(SKIP_1) | instid1(SALU_CYCLE_1)
	v_cmp_eq_u32_e32 vcc_lo, 0, v53
	s_and_b32 s1, s0, vcc_lo
	s_and_saveexec_b32 s0, s1
	s_cbranch_execz .LBB2190_119
; %bb.118:
	s_wait_dscnt 0x0
	v_bcnt_u32_b32 v2, v2, v52
	ds_store_b32 v56, v2 offset:64
.LBB2190_119:
	s_or_b32 exec_lo, exec_lo, s0
	v_cmp_gt_i16_e32 vcc_lo, 0, v1
	; wave barrier
	v_cndmask_b32_e64 v2, 0x7fff, 0, vcc_lo
	s_delay_alu instid0(VALU_DEP_1) | instskip(NEXT) | instid1(VALU_DEP_1)
	v_xor_b32_e32 v54, v2, v1
	v_cmp_ne_u16_e32 vcc_lo, 0x8000, v54
	v_cndmask_b32_e32 v1, 0x7fff, v54, vcc_lo
	s_delay_alu instid0(VALU_DEP_1) | instskip(NEXT) | instid1(VALU_DEP_1)
	v_and_b32_e32 v1, 0xffff, v1
	v_lshrrev_b32_e32 v1, s20, v1
	s_delay_alu instid0(VALU_DEP_1) | instskip(SKIP_1) | instid1(VALU_DEP_2)
	v_bitop3_b32 v2, v1, 1, s8 bitop3:0x80
	v_and_b32_e32 v1, s8, v1
	v_add_co_u32 v2, s0, v2, -1
	s_delay_alu instid0(VALU_DEP_1) | instskip(NEXT) | instid1(VALU_DEP_3)
	v_cndmask_b32_e64 v3, 0, 1, s0
	v_lshlrev_b32_e32 v4, 30, v1
	s_delay_alu instid0(VALU_DEP_2) | instskip(NEXT) | instid1(VALU_DEP_2)
	v_cmp_ne_u32_e32 vcc_lo, 0, v3
	v_not_b32_e32 v3, v4
	s_delay_alu instid0(VALU_DEP_1) | instskip(SKIP_4) | instid1(VALU_DEP_4)
	v_dual_ashrrev_i32 v3, 31, v3 :: v_dual_bitop2_b32 v2, vcc_lo, v2 bitop3:0x14
	v_dual_lshlrev_b32 v5, 29, v1 :: v_dual_lshlrev_b32 v6, 28, v1
	v_dual_lshlrev_b32 v7, 27, v1 :: v_dual_lshlrev_b32 v55, 26, v1
	v_lshlrev_b32_e32 v57, 25, v1
	v_cmp_gt_i32_e64 s0, 0, v4
	v_cmp_gt_i32_e64 s1, 0, v5
	v_not_b32_e32 v4, v5
	v_not_b32_e32 v5, v6
	v_lshlrev_b32_e32 v58, 24, v1
	v_cmp_gt_i32_e64 s2, 0, v6
	v_cmp_gt_i32_e64 s3, 0, v7
	v_not_b32_e32 v6, v7
	v_not_b32_e32 v7, v55
	v_dual_ashrrev_i32 v4, 31, v4 :: v_dual_ashrrev_i32 v5, 31, v5
	v_xor_b32_e32 v3, s0, v3
	v_cmp_gt_i32_e64 s4, 0, v55
	v_cmp_gt_i32_e64 s5, 0, v57
	v_not_b32_e32 v55, v57
	v_not_b32_e32 v57, v58
	v_dual_ashrrev_i32 v6, 31, v6 :: v_dual_ashrrev_i32 v7, 31, v7
	v_xor_b32_e32 v4, s1, v4
	v_xor_b32_e32 v5, s2, v5
	v_bitop3_b32 v2, v2, v3, exec_lo bitop3:0x80
	v_cmp_gt_i32_e64 s6, 0, v58
	v_dual_ashrrev_i32 v3, 31, v55 :: v_dual_ashrrev_i32 v55, 31, v57
	v_xor_b32_e32 v6, s3, v6
	v_xor_b32_e32 v7, s4, v7
	v_bitop3_b32 v2, v2, v5, v4 bitop3:0x80
	v_mad_u32_u24 v58, 0x44, v1, v0
	v_xor_b32_e32 v0, s5, v3
	v_xor_b32_e32 v1, s6, v55
	s_delay_alu instid0(VALU_DEP_4) | instskip(SKIP_2) | instid1(VALU_DEP_1)
	v_bitop3_b32 v2, v2, v7, v6 bitop3:0x80
	ds_load_b32 v55, v58 offset:64
	; wave barrier
	v_bitop3_b32 v0, v2, v1, v0 bitop3:0x80
	v_mbcnt_lo_u32_b32 v57, v0, 0
	v_cmp_ne_u32_e64 s0, 0, v0
	s_delay_alu instid0(VALU_DEP_2) | instskip(SKIP_1) | instid1(SALU_CYCLE_1)
	v_cmp_eq_u32_e32 vcc_lo, 0, v57
	s_and_b32 s1, s0, vcc_lo
	s_and_saveexec_b32 s0, s1
	s_cbranch_execz .LBB2190_121
; %bb.120:
	s_wait_dscnt 0x0
	v_bcnt_u32_b32 v0, v0, v55
	ds_store_b32 v58, v0 offset:64
.LBB2190_121:
	s_or_b32 exec_lo, exec_lo, s0
	; wave barrier
	s_wait_dscnt 0x0
	s_barrier_signal -1
	s_barrier_wait -1
	ds_load_2addr_b32 v[6:7], v11 offset0:16 offset1:17
	ds_load_2addr_b32 v[4:5], v11 offset0:18 offset1:19
	;; [unrolled: 1-line block ×4, first 2 shown]
	ds_load_b32 v59, v11 offset:96
	v_min_u32_e32 v15, 0x1e0, v15
	s_mov_b32 s4, exec_lo
	s_wait_dscnt 0x3
	v_add3_u32 v60, v7, v6, v4
	s_wait_dscnt 0x2
	s_delay_alu instid0(VALU_DEP_1) | instskip(SKIP_1) | instid1(VALU_DEP_1)
	v_add3_u32 v60, v60, v5, v2
	s_wait_dscnt 0x1
	v_add3_u32 v60, v60, v3, v0
	s_wait_dscnt 0x0
	s_delay_alu instid0(VALU_DEP_1) | instskip(SKIP_1) | instid1(VALU_DEP_2)
	v_add3_u32 v59, v60, v1, v59
	v_and_b32_e32 v60, 15, v14
	v_mov_b32_dpp v61, v59 row_shr:1 row_mask:0xf bank_mask:0xf
	s_delay_alu instid0(VALU_DEP_2) | instskip(NEXT) | instid1(VALU_DEP_2)
	v_cmp_eq_u32_e32 vcc_lo, 0, v60
	v_cndmask_b32_e64 v61, v61, 0, vcc_lo
	s_delay_alu instid0(VALU_DEP_1) | instskip(SKIP_3) | instid1(VALU_DEP_4)
	v_add_nc_u32_e32 v59, v61, v59
	v_cmp_lt_u32_e64 s0, 1, v60
	v_cmp_lt_u32_e64 s1, 3, v60
	;; [unrolled: 1-line block ×3, first 2 shown]
	v_mov_b32_dpp v61, v59 row_shr:2 row_mask:0xf bank_mask:0xf
	s_delay_alu instid0(VALU_DEP_1) | instskip(NEXT) | instid1(VALU_DEP_1)
	v_cndmask_b32_e64 v61, 0, v61, s0
	v_add_nc_u32_e32 v59, v59, v61
	s_delay_alu instid0(VALU_DEP_1) | instskip(NEXT) | instid1(VALU_DEP_1)
	v_mov_b32_dpp v61, v59 row_shr:4 row_mask:0xf bank_mask:0xf
	v_cndmask_b32_e64 v61, 0, v61, s1
	s_delay_alu instid0(VALU_DEP_1) | instskip(NEXT) | instid1(VALU_DEP_1)
	v_add_nc_u32_e32 v59, v59, v61
	v_mov_b32_dpp v61, v59 row_shr:8 row_mask:0xf bank_mask:0xf
	s_delay_alu instid0(VALU_DEP_1) | instskip(SKIP_1) | instid1(VALU_DEP_2)
	v_cndmask_b32_e64 v60, 0, v61, s2
	v_bfe_i32 v61, v14, 4, 1
	v_add_nc_u32_e32 v60, v59, v60
	ds_swizzle_b32 v59, v60 offset:swizzle(BROADCAST,32,15)
	s_wait_dscnt 0x0
	v_dual_lshrrev_b32 v59, 5, v12 :: v_dual_bitop2_b32 v61, v61, v59 bitop3:0x40
	s_delay_alu instid0(VALU_DEP_1) | instskip(NEXT) | instid1(VALU_DEP_1)
	v_dual_add_nc_u32 v15, v60, v61 :: v_dual_bitop2_b32 v62, 31, v15 bitop3:0x54
	v_cmpx_eq_u32_e64 v12, v62
; %bb.122:
	s_delay_alu instid0(VALU_DEP_3)
	v_lshlrev_b32_e32 v60, 2, v59
	ds_store_b32 v60, v15
; %bb.123:
	s_or_b32 exec_lo, exec_lo, s4
	s_delay_alu instid0(SALU_CYCLE_1)
	s_mov_b32 s4, exec_lo
	s_wait_dscnt 0x0
	s_barrier_signal -1
	s_barrier_wait -1
	v_cmpx_gt_u32_e32 16, v12
	s_cbranch_execz .LBB2190_125
; %bb.124:
	v_lshlrev_b32_e32 v60, 2, v12
	ds_load_b32 v61, v60
	s_wait_dscnt 0x0
	v_mov_b32_dpp v62, v61 row_shr:1 row_mask:0xf bank_mask:0xf
	s_delay_alu instid0(VALU_DEP_1) | instskip(NEXT) | instid1(VALU_DEP_1)
	v_cndmask_b32_e64 v62, v62, 0, vcc_lo
	v_add_nc_u32_e32 v61, v62, v61
	s_delay_alu instid0(VALU_DEP_1) | instskip(NEXT) | instid1(VALU_DEP_1)
	v_mov_b32_dpp v62, v61 row_shr:2 row_mask:0xf bank_mask:0xf
	v_cndmask_b32_e64 v62, 0, v62, s0
	s_delay_alu instid0(VALU_DEP_1) | instskip(NEXT) | instid1(VALU_DEP_1)
	v_add_nc_u32_e32 v61, v61, v62
	v_mov_b32_dpp v62, v61 row_shr:4 row_mask:0xf bank_mask:0xf
	s_delay_alu instid0(VALU_DEP_1) | instskip(NEXT) | instid1(VALU_DEP_1)
	v_cndmask_b32_e64 v62, 0, v62, s1
	v_add_nc_u32_e32 v61, v61, v62
	s_delay_alu instid0(VALU_DEP_1) | instskip(NEXT) | instid1(VALU_DEP_1)
	v_mov_b32_dpp v62, v61 row_shr:8 row_mask:0xf bank_mask:0xf
	v_cndmask_b32_e64 v62, 0, v62, s2
	s_delay_alu instid0(VALU_DEP_1)
	v_add_nc_u32_e32 v61, v61, v62
	ds_store_b32 v60, v61
.LBB2190_125:
	s_or_b32 exec_lo, exec_lo, s4
	v_mov_b32_e32 v60, 0
	s_mov_b32 s0, exec_lo
	s_wait_dscnt 0x0
	s_barrier_signal -1
	s_barrier_wait -1
	v_cmpx_lt_u32_e32 31, v12
; %bb.126:
	v_lshl_add_u32 v59, v59, 2, -4
	ds_load_b32 v60, v59
; %bb.127:
	s_or_b32 exec_lo, exec_lo, s0
	v_sub_co_u32 v59, vcc_lo, v14, 1
	s_wait_dscnt 0x0
	v_add_nc_u32_e32 v15, v60, v15
	s_delay_alu instid0(VALU_DEP_2) | instskip(NEXT) | instid1(VALU_DEP_1)
	v_cmp_gt_i32_e64 s0, 0, v59
	v_cndmask_b32_e64 v14, v59, v14, s0
	v_cmp_gt_u32_e64 s0, 0x100, v12
	s_delay_alu instid0(VALU_DEP_2) | instskip(SKIP_4) | instid1(VALU_DEP_2)
	v_lshlrev_b32_e32 v14, 2, v14
	ds_bpermute_b32 v14, v14, v15
	s_wait_dscnt 0x0
	v_cndmask_b32_e32 v14, v14, v60, vcc_lo
	v_cmp_ne_u32_e32 vcc_lo, 0, v12
	v_cndmask_b32_e32 v14, 0, v14, vcc_lo
	v_cmp_lt_u32_e32 vcc_lo, 0xff, v12
	s_delay_alu instid0(VALU_DEP_2) | instskip(NEXT) | instid1(VALU_DEP_1)
	v_add_nc_u32_e32 v6, v14, v6
	v_add_nc_u32_e32 v7, v6, v7
	s_delay_alu instid0(VALU_DEP_1) | instskip(NEXT) | instid1(VALU_DEP_1)
	v_add_nc_u32_e32 v4, v7, v4
	v_add_nc_u32_e32 v5, v4, v5
	s_delay_alu instid0(VALU_DEP_1) | instskip(NEXT) | instid1(VALU_DEP_1)
	;; [unrolled: 3-line block ×3, first 2 shown]
	v_add_nc_u32_e32 v0, v3, v0
	v_add_nc_u32_e32 v1, v0, v1
	ds_store_2addr_b32 v11, v14, v6 offset0:16 offset1:17
	ds_store_2addr_b32 v11, v7, v4 offset0:18 offset1:19
	;; [unrolled: 1-line block ×4, first 2 shown]
	ds_store_b32 v11, v1 offset:96
	s_wait_dscnt 0x0
	s_barrier_signal -1
	s_barrier_wait -1
	ds_load_b32 v59, v13 offset:64
	ds_load_b32 v60, v19 offset:64
	;; [unrolled: 1-line block ×12, first 2 shown]
	v_mov_b64_e32 v[0:1], 0
                                        ; implicit-def: $vgpr2
	s_and_saveexec_b32 s2, s0
	s_cbranch_execz .LBB2190_131
; %bb.128:
	v_mul_u32_u24_e32 v0, 0x44, v12
	v_dual_mov_b32 v1, 0x1800 :: v_dual_add_nc_u32 v2, 1, v12
	s_mov_b32 s3, exec_lo
	ds_load_b32 v0, v0 offset:64
	v_cmpx_ne_u32_e32 0x100, v2
; %bb.129:
	v_mul_u32_u24_e32 v1, 0x44, v2
	ds_load_b32 v1, v1 offset:64
; %bb.130:
	s_or_b32 exec_lo, exec_lo, s3
	s_wait_dscnt 0x0
	v_dual_mov_b32 v1, 0 :: v_dual_sub_nc_u32 v2, v1, v0
.LBB2190_131:
	s_or_b32 exec_lo, exec_lo, s2
	s_wait_dscnt 0xa
	v_dual_lshlrev_b32 v9, 1, v9 :: v_dual_lshlrev_b32 v23, 1, v60
	v_dual_lshlrev_b32 v18, 1, v18 :: v_dual_lshlrev_b32 v17, 1, v17
	v_lshlrev_b32_e32 v21, 1, v21
	s_delay_alu instid0(VALU_DEP_3)
	v_lshl_add_u32 v9, v59, 1, v9
	s_wait_dscnt 0x0
	s_barrier_signal -1
	v_add3_u32 v17, v23, v18, v17
	v_dual_lshlrev_b32 v18, 1, v19 :: v_dual_lshlrev_b32 v19, 1, v22
	s_barrier_wait -1
	ds_store_b16 v9, v8 offset:2048
	ds_store_b16 v17, v10 offset:2048
	v_lshlrev_b32_e32 v9, 1, v15
	v_add3_u32 v8, v18, v19, v21
	v_dual_lshlrev_b32 v10, 1, v26 :: v_dual_lshlrev_b32 v15, 1, v25
	v_dual_lshlrev_b32 v14, 1, v14 :: v_dual_lshlrev_b32 v18, 1, v28
	;; [unrolled: 1-line block ×6, first 2 shown]
	ds_store_b16 v8, v16 offset:2048
	v_add3_u32 v8, v9, v10, v15
	v_add3_u32 v9, v14, v17, v18
	v_add3_u32 v10, v13, v19, v21
	v_dual_lshlrev_b32 v13, 1, v42 :: v_dual_lshlrev_b32 v14, 1, v41
	v_add3_u32 v11, v11, v22, v23
	ds_store_b16 v8, v20 offset:2048
	ds_store_b16 v9, v24 offset:2048
	;; [unrolled: 1-line block ×4, first 2 shown]
	v_dual_lshlrev_b32 v6, 1, v6 :: v_dual_lshlrev_b32 v9, 1, v45
	v_add3_u32 v7, v7, v13, v14
	v_dual_lshlrev_b32 v8, 1, v46 :: v_dual_lshlrev_b32 v5, 1, v5
	v_dual_lshlrev_b32 v10, 1, v50 :: v_dual_lshlrev_b32 v11, 1, v48
	;; [unrolled: 1-line block ×5, first 2 shown]
	ds_store_b16 v7, v36 offset:2048
	v_add3_u32 v6, v6, v8, v9
	v_add3_u32 v7, v5, v10, v11
	;; [unrolled: 1-line block ×3, first 2 shown]
	v_dual_mov_b32 v5, 0 :: v_dual_lshlrev_b32 v3, 3, v12
	v_add3_u32 v4, v4, v13, v14
	ds_store_b16 v6, v40 offset:2048
	ds_store_b16 v7, v44 offset:2048
	;; [unrolled: 1-line block ×4, first 2 shown]
	s_and_saveexec_b32 s1, s0
	s_cbranch_execz .LBB2190_141
; %bb.132:
	v_lshl_add_u32 v4, s9, 8, v12
	v_dual_mov_b32 v8, 0 :: v_dual_bitop2_b32 v9, 2.0, v2 bitop3:0x54
	s_mov_b32 s2, 0
	s_mov_b32 s3, s9
	s_delay_alu instid0(VALU_DEP_2)
	v_lshl_add_u64 v[6:7], v[4:5], 2, s[10:11]
	global_store_b32 v4, v9, s[10:11] scale_offset scope:SCOPE_DEV
                                        ; implicit-def: $sgpr0
	s_branch .LBB2190_135
.LBB2190_133:                           ;   in Loop: Header=BB2190_135 Depth=1
	s_or_b32 exec_lo, exec_lo, s5
.LBB2190_134:                           ;   in Loop: Header=BB2190_135 Depth=1
	s_delay_alu instid0(SALU_CYCLE_1) | instskip(SKIP_2) | instid1(VALU_DEP_2)
	s_or_b32 exec_lo, exec_lo, s4
	v_and_b32_e32 v4, 0x3fffffff, v9
	v_cmp_gt_i32_e64 s0, -2.0, v9
	v_add_nc_u32_e32 v8, v4, v8
	s_and_b32 s4, exec_lo, s0
	s_delay_alu instid0(SALU_CYCLE_1) | instskip(NEXT) | instid1(SALU_CYCLE_1)
	s_or_b32 s2, s4, s2
	s_and_not1_b32 exec_lo, exec_lo, s2
	s_cbranch_execz .LBB2190_140
.LBB2190_135:                           ; =>This Loop Header: Depth=1
                                        ;     Child Loop BB2190_138 Depth 2
	s_or_b32 s0, s0, exec_lo
	s_cmp_eq_u32 s3, 0
	s_cbranch_scc1 .LBB2190_139
; %bb.136:                              ;   in Loop: Header=BB2190_135 Depth=1
	s_add_co_i32 s3, s3, -1
	s_mov_b32 s4, exec_lo
	s_wait_xcnt 0x0
	v_lshl_or_b32 v4, s3, 8, v12
	global_load_b32 v9, v4, s[10:11] scale_offset scope:SCOPE_DEV
	s_wait_loadcnt 0x0
	v_cmpx_gt_u32_e32 2.0, v9
	s_cbranch_execz .LBB2190_134
; %bb.137:                              ;   in Loop: Header=BB2190_135 Depth=1
	v_lshl_add_u64 v[10:11], v[4:5], 2, s[10:11]
	s_mov_b32 s5, 0
.LBB2190_138:                           ;   Parent Loop BB2190_135 Depth=1
                                        ; =>  This Inner Loop Header: Depth=2
	global_load_b32 v9, v[10:11], off scope:SCOPE_DEV
	s_wait_loadcnt 0x0
	v_cmp_lt_u32_e64 s0, 0x3fffffff, v9
	s_or_b32 s5, s0, s5
	s_wait_xcnt 0x0
	s_and_not1_b32 exec_lo, exec_lo, s5
	s_cbranch_execnz .LBB2190_138
	s_branch .LBB2190_133
.LBB2190_139:                           ;   in Loop: Header=BB2190_135 Depth=1
                                        ; implicit-def: $sgpr3
	s_and_b32 s4, exec_lo, s0
	s_delay_alu instid0(SALU_CYCLE_1)
	s_or_b32 s2, s4, s2
	s_wait_xcnt 0x0
	s_and_not1_b32 exec_lo, exec_lo, s2
	s_cbranch_execnz .LBB2190_135
.LBB2190_140:
	s_or_b32 exec_lo, exec_lo, s2
	v_dual_mov_b32 v9, 0 :: v_dual_add_nc_u32 v4, v8, v2
	s_delay_alu instid0(VALU_DEP_1) | instskip(SKIP_4) | instid1(VALU_DEP_1)
	v_or_b32_e32 v4, 0x80000000, v4
	global_store_b32 v[6:7], v4, off scope:SCOPE_DEV
	global_load_b64 v[4:5], v12, s[12:13] scale_offset
	v_sub_nc_u64_e32 v[6:7], v[8:9], v[0:1]
	s_wait_loadcnt 0x0
	v_add_nc_u64_e32 v[4:5], v[6:7], v[4:5]
	ds_store_b64 v3, v[4:5]
.LBB2190_141:
	s_wait_xcnt 0x0
	s_or_b32 exec_lo, exec_lo, s1
	v_mad_i32_i24 v13, v12, -6, v3
	s_wait_storecnt_dscnt 0x0
	s_barrier_signal -1
	s_barrier_wait -1
	ds_load_u16 v16, v13 offset:2048
	ds_load_u16 v17, v13 offset:3072
	;; [unrolled: 1-line block ×8, first 2 shown]
	v_dual_mov_b32 v5, 0 :: v_dual_lshlrev_b32 v4, 1, v12
	s_add_co_i32 s7, s7, -1
	s_delay_alu instid0(SALU_CYCLE_1) | instskip(SKIP_2) | instid1(VALU_DEP_1)
	s_cmp_eq_u32 s9, s7
	s_wait_dscnt 0x7
	v_cmp_ne_u16_e64 s0, 0x8000, v16
	v_cndmask_b32_e64 v6, 0x7fff, v16, s0
	v_cmp_gt_i16_e64 s0, 0, v16
	s_delay_alu instid0(VALU_DEP_2) | instskip(NEXT) | instid1(VALU_DEP_2)
	v_and_b32_e32 v6, 0xffff, v6
	v_cndmask_b32_e64 v24, 0x7fff, 0, s0
	s_wait_dscnt 0x6
	v_cmp_ne_u16_e64 s0, 0x8000, v17
	s_delay_alu instid0(VALU_DEP_2) | instskip(NEXT) | instid1(VALU_DEP_2)
	v_xor_b32_e32 v24, v24, v16
	v_cndmask_b32_e64 v7, 0x7fff, v17, s0
	s_wait_dscnt 0x5
	v_cmp_ne_u16_e64 s0, 0x8000, v18
	s_delay_alu instid0(VALU_DEP_2) | instskip(NEXT) | instid1(VALU_DEP_2)
	v_and_b32_e32 v7, 0xffff, v7
	v_cndmask_b32_e64 v8, 0x7fff, v18, s0
	s_wait_dscnt 0x4
	v_cmp_ne_u16_e64 s0, 0x8000, v19
	s_delay_alu instid0(VALU_DEP_3) | instskip(NEXT) | instid1(VALU_DEP_3)
	v_dual_lshrrev_b32 v6, s20, v6 :: v_dual_lshrrev_b32 v7, s20, v7
	v_and_b32_e32 v8, 0xffff, v8
	s_delay_alu instid0(VALU_DEP_3) | instskip(SKIP_1) | instid1(VALU_DEP_4)
	v_cndmask_b32_e64 v9, 0x7fff, v19, s0
	v_cmp_gt_i16_e64 s0, 0, v17
	v_and_b32_e32 v7, s8, v7
	v_and_b32_e32 v6, s8, v6
	s_delay_alu instid0(VALU_DEP_4) | instskip(NEXT) | instid1(VALU_DEP_4)
	v_and_b32_e32 v9, 0xffff, v9
	v_cndmask_b32_e64 v25, 0x7fff, 0, s0
	s_wait_dscnt 0x3
	v_cmp_ne_u16_e64 s0, 0x8000, v20
	v_dual_lshrrev_b32 v8, s20, v8 :: v_dual_lshlrev_b32 v11, 3, v7
	v_dual_lshrrev_b32 v9, s20, v9 :: v_dual_lshlrev_b32 v6, 3, v6
	s_delay_alu instid0(VALU_DEP_3) | instskip(SKIP_1) | instid1(VALU_DEP_2)
	v_cndmask_b32_e64 v10, 0x7fff, v20, s0
	v_cmp_gt_i16_e64 s0, 0, v18
	v_and_b32_e32 v10, 0xffff, v10
	v_and_b32_e32 v8, s8, v8
	;; [unrolled: 1-line block ×3, first 2 shown]
	s_delay_alu instid0(VALU_DEP_4) | instskip(SKIP_1) | instid1(VALU_DEP_4)
	v_cndmask_b32_e64 v27, 0x7fff, 0, s0
	v_cmp_gt_i16_e64 s0, 0, v19
	v_dual_lshrrev_b32 v26, s20, v10 :: v_dual_lshlrev_b32 v10, 3, v8
	s_delay_alu instid0(VALU_DEP_4)
	v_lshlrev_b32_e32 v14, 3, v9
	ds_load_b64 v[6:7], v6
	ds_load_b64 v[8:9], v11
	v_cndmask_b32_e64 v28, 0x7fff, 0, s0
	s_wait_dscnt 0x4
	v_cmp_ne_u16_e64 s0, 0x8000, v21
	v_and_b32_e32 v26, s8, v26
	ds_load_b64 v[10:11], v10
	ds_load_b64 v[14:15], v14
	v_xor_b32_e32 v19, v28, v19
	v_cndmask_b32_e64 v29, 0x7fff, v21, s0
	s_wait_dscnt 0x5
	v_cmp_ne_u16_e64 s0, 0x8000, v22
	v_lshlrev_b32_e32 v26, 3, v26
	s_delay_alu instid0(VALU_DEP_2) | instskip(SKIP_1) | instid1(VALU_DEP_2)
	v_cndmask_b32_e64 v30, 0x7fff, v22, s0
	v_cmp_gt_i16_e64 s0, 0, v20
	v_and_b32_e32 v28, 0xffff, v30
	s_wait_dscnt 0x3
	v_lshl_add_u64 v[6:7], v[6:7], 1, s[18:19]
	v_xor_b32_e32 v18, v27, v18
	v_and_b32_e32 v27, 0xffff, v29
	v_xor_b32_e32 v25, v25, v17
	ds_load_b64 v[16:17], v26
	ds_load_u16 v26, v13 offset:10240
	ds_load_u16 v31, v13 offset:11264
	;; [unrolled: 1-line block ×4, first 2 shown]
	s_wait_dscnt 0x7
	v_lshl_add_u64 v[8:9], v[8:9], 1, s[18:19]
	s_wait_dscnt 0x6
	v_lshl_add_u64 v[10:11], v[10:11], 1, s[18:19]
	v_add_nc_u64_e32 v[6:7], v[6:7], v[4:5]
	s_wait_dscnt 0x5
	v_lshl_add_u64 v[14:15], v[14:15], 1, s[18:19]
	v_add_nc_u64_e32 v[8:9], v[8:9], v[4:5]
	v_add_nc_u64_e32 v[10:11], v[10:11], v[4:5]
	s_clause 0x1
	global_store_b16 v[6:7], v24, off
	global_store_b16 v[8:9], v25, off offset:1024
	s_wait_xcnt 0x1
	v_cndmask_b32_e64 v6, 0x7fff, 0, s0
	v_cmp_ne_u16_e64 s0, 0x8000, v23
	s_wait_xcnt 0x0
	v_dual_lshrrev_b32 v8, s20, v27 :: v_dual_lshrrev_b32 v9, s20, v28
	global_store_b16 v[10:11], v18, off offset:2048
	v_add_nc_u64_e32 v[14:15], v[14:15], v[4:5]
	s_wait_xcnt 0x0
	v_cndmask_b32_e64 v10, 0x7fff, v23, s0
	s_wait_dscnt 0x3
	v_cmp_ne_u16_e64 s0, 0x8000, v26
	v_and_b32_e32 v8, s8, v8
	v_and_b32_e32 v9, s8, v9
	s_delay_alu instid0(VALU_DEP_3)
	v_cndmask_b32_e64 v11, 0x7fff, v26, s0
	s_wait_dscnt 0x2
	v_cmp_ne_u16_e64 s0, 0x8000, v31
	v_lshlrev_b32_e32 v8, 3, v8
	global_store_b16 v[14:15], v19, off offset:3072
	s_wait_xcnt 0x0
	v_dual_lshlrev_b32 v15, 3, v9 :: v_dual_bitop2_b32 v14, v6, v20 bitop3:0x14
	v_lshl_add_u64 v[6:7], v[16:17], 1, s[18:19]
	v_and_b32_e32 v16, 0xffff, v10
	v_and_b32_e32 v17, 0xffff, v11
	v_cndmask_b32_e64 v18, 0x7fff, v31, s0
	ds_load_b64 v[8:9], v8
	ds_load_b64 v[10:11], v15
	v_cmp_gt_i16_e64 s0, 0, v21
	v_dual_lshrrev_b32 v15, s20, v16 :: v_dual_lshrrev_b32 v16, s20, v17
	v_and_b32_e32 v17, 0xffff, v18
	v_add_nc_u64_e32 v[6:7], v[6:7], v[4:5]
	s_delay_alu instid0(VALU_DEP_4) | instskip(NEXT) | instid1(VALU_DEP_4)
	v_cndmask_b32_e64 v18, 0x7fff, 0, s0
	v_and_b32_e32 v15, s8, v15
	s_wait_dscnt 0x3
	v_cmp_ne_u16_e64 s0, 0x8000, v32
	v_dual_lshrrev_b32 v17, s20, v17 :: v_dual_bitop2_b32 v16, s8, v16 bitop3:0x40
	global_store_b16 v[6:7], v14, off offset:4096
	s_wait_xcnt 0x0
	v_dual_lshlrev_b32 v6, 3, v15 :: v_dual_bitop2_b32 v18, v18, v21 bitop3:0x14
	v_dual_lshlrev_b32 v14, 3, v16 :: v_dual_bitop2_b32 v16, s8, v17 bitop3:0x40
	v_cndmask_b32_e64 v17, 0x7fff, v32, s0
	s_wait_dscnt 0x2
	v_cmp_ne_u16_e64 s0, 0x8000, v13
	s_wait_dscnt 0x1
	v_lshl_add_u64 v[8:9], v[8:9], 1, s[18:19]
	s_wait_dscnt 0x0
	v_lshl_add_u64 v[10:11], v[10:11], 1, s[18:19]
	ds_load_b64 v[6:7], v6
	ds_load_b64 v[14:15], v14
	v_and_b32_e32 v17, 0xffff, v17
	v_cndmask_b32_e64 v19, 0x7fff, v13, s0
	v_cmp_gt_i16_e64 s0, 0, v22
	v_add_nc_u64_e32 v[8:9], v[8:9], v[4:5]
	v_add_nc_u64_e32 v[10:11], v[10:11], v[4:5]
	v_lshrrev_b32_e32 v20, s20, v17
	v_and_b32_e32 v19, 0xffff, v19
	v_lshlrev_b32_e32 v16, 3, v16
	v_cndmask_b32_e64 v21, 0x7fff, 0, s0
	v_cmp_gt_i16_e64 s0, 0, v23
	s_delay_alu instid0(VALU_DEP_4)
	v_lshrrev_b32_e32 v19, s20, v19
	ds_load_b64 v[16:17], v16
	v_xor_b32_e32 v21, v21, v22
	s_clause 0x1
	global_store_b16 v[8:9], v18, off offset:5120
	global_store_b16 v[10:11], v21, off offset:6144
	v_and_b32_e32 v19, s8, v19
	v_and_b32_e32 v20, s8, v20
	v_cndmask_b32_e64 v22, 0x7fff, 0, s0
	v_cmp_gt_i16_e64 s0, 0, v26
	s_wait_dscnt 0x2
	v_lshl_add_u64 v[6:7], v[6:7], 1, s[18:19]
	v_dual_lshlrev_b32 v19, 3, v19 :: v_dual_lshlrev_b32 v20, 3, v20
	s_wait_dscnt 0x1
	v_lshl_add_u64 v[14:15], v[14:15], 1, s[18:19]
	s_wait_xcnt 0x1
	v_xor_b32_e32 v18, v22, v23
	v_add_nc_u64_e32 v[6:7], v[6:7], v[4:5]
	s_wait_xcnt 0x0
	ds_load_b64 v[10:11], v19
	ds_load_b64 v[8:9], v20
	v_cndmask_b32_e64 v19, 0x7fff, 0, s0
	v_cmp_gt_i16_e64 s0, 0, v31
	s_wait_dscnt 0x2
	v_lshl_add_u64 v[16:17], v[16:17], 1, s[18:19]
	v_add_nc_u64_e32 v[14:15], v[14:15], v[4:5]
	v_xor_b32_e32 v19, v19, v26
	v_cndmask_b32_e64 v20, 0x7fff, 0, s0
	v_cmp_gt_i16_e64 s0, 0, v32
	v_add_nc_u64_e32 v[16:17], v[16:17], v[4:5]
	s_delay_alu instid0(VALU_DEP_3) | instskip(NEXT) | instid1(VALU_DEP_3)
	v_xor_b32_e32 v20, v20, v31
	v_cndmask_b32_e64 v21, 0x7fff, 0, s0
	v_cmp_gt_i16_e64 s0, 0, v13
	s_clause 0x2
	global_store_b16 v[6:7], v18, off offset:7168
	global_store_b16 v[14:15], v19, off offset:8192
	;; [unrolled: 1-line block ×3, first 2 shown]
	s_wait_xcnt 0x1
	v_xor_b32_e32 v14, v21, v32
	s_wait_dscnt 0x0
	v_lshl_add_u64 v[6:7], v[8:9], 1, s[18:19]
	v_lshl_add_u64 v[8:9], v[10:11], 1, s[18:19]
	v_cndmask_b32_e64 v10, 0x7fff, 0, s0
	s_cselect_b32 s0, -1, 0
	s_xor_b32 s1, vcc_lo, -1
	v_add_nc_u64_e32 v[6:7], v[6:7], v[4:5]
	v_add_nc_u64_e32 v[8:9], v[8:9], v[4:5]
	v_xor_b32_e32 v4, v10, v13
	s_and_b32 s0, s1, s0
	s_clause 0x1
	global_store_b16 v[6:7], v14, off offset:10240
	global_store_b16 v[8:9], v4, off offset:11264
	s_wait_xcnt 0x0
	s_and_saveexec_b32 s1, s0
	s_cbranch_execz .LBB2190_143
; %bb.142:
	ds_load_b64 v[6:7], v3
	v_mov_b32_e32 v3, v5
	s_delay_alu instid0(VALU_DEP_1) | instskip(SKIP_1) | instid1(VALU_DEP_1)
	v_add_nc_u64_e32 v[0:1], v[0:1], v[2:3]
	s_wait_dscnt 0x0
	v_add_nc_u64_e32 v[0:1], v[0:1], v[6:7]
	global_store_b64 v12, v[0:1], s[14:15] scale_offset
.LBB2190_143:
	s_sendmsg sendmsg(MSG_DEALLOC_VGPRS)
	s_endpgm
	.section	.rodata,"a",@progbits
	.p2align	6, 0x0
	.amdhsa_kernel _ZN7rocprim17ROCPRIM_400000_NS6detail17trampoline_kernelINS0_14default_configENS1_35radix_sort_onesweep_config_selectorI6__halfNS0_10empty_typeEEEZZNS1_29radix_sort_onesweep_iterationIS3_Lb1EPKS5_PS5_PS6_SC_mNS0_19identity_decomposerENS1_16block_id_wrapperIjLb0EEEEE10hipError_tT1_PNSt15iterator_traitsISH_E10value_typeET2_T3_PNSI_ISN_E10value_typeET4_T5_PSS_ST_PNS1_23onesweep_lookback_stateEbbT6_jjT7_P12ihipStream_tbENKUlT_T0_SH_SM_E_clISB_SB_SC_SC_EEDaS10_S11_SH_SM_EUlS10_E_NS1_11comp_targetILNS1_3genE0ELNS1_11target_archE4294967295ELNS1_3gpuE0ELNS1_3repE0EEENS1_47radix_sort_onesweep_sort_config_static_selectorELNS0_4arch9wavefront6targetE0EEEvSH_
		.amdhsa_group_segment_fixed_size 18504
		.amdhsa_private_segment_fixed_size 0
		.amdhsa_kernarg_size 344
		.amdhsa_user_sgpr_count 2
		.amdhsa_user_sgpr_dispatch_ptr 0
		.amdhsa_user_sgpr_queue_ptr 0
		.amdhsa_user_sgpr_kernarg_segment_ptr 1
		.amdhsa_user_sgpr_dispatch_id 0
		.amdhsa_user_sgpr_kernarg_preload_length 0
		.amdhsa_user_sgpr_kernarg_preload_offset 0
		.amdhsa_user_sgpr_private_segment_size 0
		.amdhsa_wavefront_size32 1
		.amdhsa_uses_dynamic_stack 0
		.amdhsa_enable_private_segment 0
		.amdhsa_system_sgpr_workgroup_id_x 1
		.amdhsa_system_sgpr_workgroup_id_y 0
		.amdhsa_system_sgpr_workgroup_id_z 0
		.amdhsa_system_sgpr_workgroup_info 0
		.amdhsa_system_vgpr_workitem_id 2
		.amdhsa_next_free_vgpr 65
		.amdhsa_next_free_sgpr 28
		.amdhsa_named_barrier_count 0
		.amdhsa_reserve_vcc 1
		.amdhsa_float_round_mode_32 0
		.amdhsa_float_round_mode_16_64 0
		.amdhsa_float_denorm_mode_32 3
		.amdhsa_float_denorm_mode_16_64 3
		.amdhsa_fp16_overflow 0
		.amdhsa_memory_ordered 1
		.amdhsa_forward_progress 1
		.amdhsa_inst_pref_size 146
		.amdhsa_round_robin_scheduling 0
		.amdhsa_exception_fp_ieee_invalid_op 0
		.amdhsa_exception_fp_denorm_src 0
		.amdhsa_exception_fp_ieee_div_zero 0
		.amdhsa_exception_fp_ieee_overflow 0
		.amdhsa_exception_fp_ieee_underflow 0
		.amdhsa_exception_fp_ieee_inexact 0
		.amdhsa_exception_int_div_zero 0
	.end_amdhsa_kernel
	.section	.text._ZN7rocprim17ROCPRIM_400000_NS6detail17trampoline_kernelINS0_14default_configENS1_35radix_sort_onesweep_config_selectorI6__halfNS0_10empty_typeEEEZZNS1_29radix_sort_onesweep_iterationIS3_Lb1EPKS5_PS5_PS6_SC_mNS0_19identity_decomposerENS1_16block_id_wrapperIjLb0EEEEE10hipError_tT1_PNSt15iterator_traitsISH_E10value_typeET2_T3_PNSI_ISN_E10value_typeET4_T5_PSS_ST_PNS1_23onesweep_lookback_stateEbbT6_jjT7_P12ihipStream_tbENKUlT_T0_SH_SM_E_clISB_SB_SC_SC_EEDaS10_S11_SH_SM_EUlS10_E_NS1_11comp_targetILNS1_3genE0ELNS1_11target_archE4294967295ELNS1_3gpuE0ELNS1_3repE0EEENS1_47radix_sort_onesweep_sort_config_static_selectorELNS0_4arch9wavefront6targetE0EEEvSH_,"axG",@progbits,_ZN7rocprim17ROCPRIM_400000_NS6detail17trampoline_kernelINS0_14default_configENS1_35radix_sort_onesweep_config_selectorI6__halfNS0_10empty_typeEEEZZNS1_29radix_sort_onesweep_iterationIS3_Lb1EPKS5_PS5_PS6_SC_mNS0_19identity_decomposerENS1_16block_id_wrapperIjLb0EEEEE10hipError_tT1_PNSt15iterator_traitsISH_E10value_typeET2_T3_PNSI_ISN_E10value_typeET4_T5_PSS_ST_PNS1_23onesweep_lookback_stateEbbT6_jjT7_P12ihipStream_tbENKUlT_T0_SH_SM_E_clISB_SB_SC_SC_EEDaS10_S11_SH_SM_EUlS10_E_NS1_11comp_targetILNS1_3genE0ELNS1_11target_archE4294967295ELNS1_3gpuE0ELNS1_3repE0EEENS1_47radix_sort_onesweep_sort_config_static_selectorELNS0_4arch9wavefront6targetE0EEEvSH_,comdat
.Lfunc_end2190:
	.size	_ZN7rocprim17ROCPRIM_400000_NS6detail17trampoline_kernelINS0_14default_configENS1_35radix_sort_onesweep_config_selectorI6__halfNS0_10empty_typeEEEZZNS1_29radix_sort_onesweep_iterationIS3_Lb1EPKS5_PS5_PS6_SC_mNS0_19identity_decomposerENS1_16block_id_wrapperIjLb0EEEEE10hipError_tT1_PNSt15iterator_traitsISH_E10value_typeET2_T3_PNSI_ISN_E10value_typeET4_T5_PSS_ST_PNS1_23onesweep_lookback_stateEbbT6_jjT7_P12ihipStream_tbENKUlT_T0_SH_SM_E_clISB_SB_SC_SC_EEDaS10_S11_SH_SM_EUlS10_E_NS1_11comp_targetILNS1_3genE0ELNS1_11target_archE4294967295ELNS1_3gpuE0ELNS1_3repE0EEENS1_47radix_sort_onesweep_sort_config_static_selectorELNS0_4arch9wavefront6targetE0EEEvSH_, .Lfunc_end2190-_ZN7rocprim17ROCPRIM_400000_NS6detail17trampoline_kernelINS0_14default_configENS1_35radix_sort_onesweep_config_selectorI6__halfNS0_10empty_typeEEEZZNS1_29radix_sort_onesweep_iterationIS3_Lb1EPKS5_PS5_PS6_SC_mNS0_19identity_decomposerENS1_16block_id_wrapperIjLb0EEEEE10hipError_tT1_PNSt15iterator_traitsISH_E10value_typeET2_T3_PNSI_ISN_E10value_typeET4_T5_PSS_ST_PNS1_23onesweep_lookback_stateEbbT6_jjT7_P12ihipStream_tbENKUlT_T0_SH_SM_E_clISB_SB_SC_SC_EEDaS10_S11_SH_SM_EUlS10_E_NS1_11comp_targetILNS1_3genE0ELNS1_11target_archE4294967295ELNS1_3gpuE0ELNS1_3repE0EEENS1_47radix_sort_onesweep_sort_config_static_selectorELNS0_4arch9wavefront6targetE0EEEvSH_
                                        ; -- End function
	.set _ZN7rocprim17ROCPRIM_400000_NS6detail17trampoline_kernelINS0_14default_configENS1_35radix_sort_onesweep_config_selectorI6__halfNS0_10empty_typeEEEZZNS1_29radix_sort_onesweep_iterationIS3_Lb1EPKS5_PS5_PS6_SC_mNS0_19identity_decomposerENS1_16block_id_wrapperIjLb0EEEEE10hipError_tT1_PNSt15iterator_traitsISH_E10value_typeET2_T3_PNSI_ISN_E10value_typeET4_T5_PSS_ST_PNS1_23onesweep_lookback_stateEbbT6_jjT7_P12ihipStream_tbENKUlT_T0_SH_SM_E_clISB_SB_SC_SC_EEDaS10_S11_SH_SM_EUlS10_E_NS1_11comp_targetILNS1_3genE0ELNS1_11target_archE4294967295ELNS1_3gpuE0ELNS1_3repE0EEENS1_47radix_sort_onesweep_sort_config_static_selectorELNS0_4arch9wavefront6targetE0EEEvSH_.num_vgpr, 65
	.set _ZN7rocprim17ROCPRIM_400000_NS6detail17trampoline_kernelINS0_14default_configENS1_35radix_sort_onesweep_config_selectorI6__halfNS0_10empty_typeEEEZZNS1_29radix_sort_onesweep_iterationIS3_Lb1EPKS5_PS5_PS6_SC_mNS0_19identity_decomposerENS1_16block_id_wrapperIjLb0EEEEE10hipError_tT1_PNSt15iterator_traitsISH_E10value_typeET2_T3_PNSI_ISN_E10value_typeET4_T5_PSS_ST_PNS1_23onesweep_lookback_stateEbbT6_jjT7_P12ihipStream_tbENKUlT_T0_SH_SM_E_clISB_SB_SC_SC_EEDaS10_S11_SH_SM_EUlS10_E_NS1_11comp_targetILNS1_3genE0ELNS1_11target_archE4294967295ELNS1_3gpuE0ELNS1_3repE0EEENS1_47radix_sort_onesweep_sort_config_static_selectorELNS0_4arch9wavefront6targetE0EEEvSH_.num_agpr, 0
	.set _ZN7rocprim17ROCPRIM_400000_NS6detail17trampoline_kernelINS0_14default_configENS1_35radix_sort_onesweep_config_selectorI6__halfNS0_10empty_typeEEEZZNS1_29radix_sort_onesweep_iterationIS3_Lb1EPKS5_PS5_PS6_SC_mNS0_19identity_decomposerENS1_16block_id_wrapperIjLb0EEEEE10hipError_tT1_PNSt15iterator_traitsISH_E10value_typeET2_T3_PNSI_ISN_E10value_typeET4_T5_PSS_ST_PNS1_23onesweep_lookback_stateEbbT6_jjT7_P12ihipStream_tbENKUlT_T0_SH_SM_E_clISB_SB_SC_SC_EEDaS10_S11_SH_SM_EUlS10_E_NS1_11comp_targetILNS1_3genE0ELNS1_11target_archE4294967295ELNS1_3gpuE0ELNS1_3repE0EEENS1_47radix_sort_onesweep_sort_config_static_selectorELNS0_4arch9wavefront6targetE0EEEvSH_.numbered_sgpr, 28
	.set _ZN7rocprim17ROCPRIM_400000_NS6detail17trampoline_kernelINS0_14default_configENS1_35radix_sort_onesweep_config_selectorI6__halfNS0_10empty_typeEEEZZNS1_29radix_sort_onesweep_iterationIS3_Lb1EPKS5_PS5_PS6_SC_mNS0_19identity_decomposerENS1_16block_id_wrapperIjLb0EEEEE10hipError_tT1_PNSt15iterator_traitsISH_E10value_typeET2_T3_PNSI_ISN_E10value_typeET4_T5_PSS_ST_PNS1_23onesweep_lookback_stateEbbT6_jjT7_P12ihipStream_tbENKUlT_T0_SH_SM_E_clISB_SB_SC_SC_EEDaS10_S11_SH_SM_EUlS10_E_NS1_11comp_targetILNS1_3genE0ELNS1_11target_archE4294967295ELNS1_3gpuE0ELNS1_3repE0EEENS1_47radix_sort_onesweep_sort_config_static_selectorELNS0_4arch9wavefront6targetE0EEEvSH_.num_named_barrier, 0
	.set _ZN7rocprim17ROCPRIM_400000_NS6detail17trampoline_kernelINS0_14default_configENS1_35radix_sort_onesweep_config_selectorI6__halfNS0_10empty_typeEEEZZNS1_29radix_sort_onesweep_iterationIS3_Lb1EPKS5_PS5_PS6_SC_mNS0_19identity_decomposerENS1_16block_id_wrapperIjLb0EEEEE10hipError_tT1_PNSt15iterator_traitsISH_E10value_typeET2_T3_PNSI_ISN_E10value_typeET4_T5_PSS_ST_PNS1_23onesweep_lookback_stateEbbT6_jjT7_P12ihipStream_tbENKUlT_T0_SH_SM_E_clISB_SB_SC_SC_EEDaS10_S11_SH_SM_EUlS10_E_NS1_11comp_targetILNS1_3genE0ELNS1_11target_archE4294967295ELNS1_3gpuE0ELNS1_3repE0EEENS1_47radix_sort_onesweep_sort_config_static_selectorELNS0_4arch9wavefront6targetE0EEEvSH_.private_seg_size, 0
	.set _ZN7rocprim17ROCPRIM_400000_NS6detail17trampoline_kernelINS0_14default_configENS1_35radix_sort_onesweep_config_selectorI6__halfNS0_10empty_typeEEEZZNS1_29radix_sort_onesweep_iterationIS3_Lb1EPKS5_PS5_PS6_SC_mNS0_19identity_decomposerENS1_16block_id_wrapperIjLb0EEEEE10hipError_tT1_PNSt15iterator_traitsISH_E10value_typeET2_T3_PNSI_ISN_E10value_typeET4_T5_PSS_ST_PNS1_23onesweep_lookback_stateEbbT6_jjT7_P12ihipStream_tbENKUlT_T0_SH_SM_E_clISB_SB_SC_SC_EEDaS10_S11_SH_SM_EUlS10_E_NS1_11comp_targetILNS1_3genE0ELNS1_11target_archE4294967295ELNS1_3gpuE0ELNS1_3repE0EEENS1_47radix_sort_onesweep_sort_config_static_selectorELNS0_4arch9wavefront6targetE0EEEvSH_.uses_vcc, 1
	.set _ZN7rocprim17ROCPRIM_400000_NS6detail17trampoline_kernelINS0_14default_configENS1_35radix_sort_onesweep_config_selectorI6__halfNS0_10empty_typeEEEZZNS1_29radix_sort_onesweep_iterationIS3_Lb1EPKS5_PS5_PS6_SC_mNS0_19identity_decomposerENS1_16block_id_wrapperIjLb0EEEEE10hipError_tT1_PNSt15iterator_traitsISH_E10value_typeET2_T3_PNSI_ISN_E10value_typeET4_T5_PSS_ST_PNS1_23onesweep_lookback_stateEbbT6_jjT7_P12ihipStream_tbENKUlT_T0_SH_SM_E_clISB_SB_SC_SC_EEDaS10_S11_SH_SM_EUlS10_E_NS1_11comp_targetILNS1_3genE0ELNS1_11target_archE4294967295ELNS1_3gpuE0ELNS1_3repE0EEENS1_47radix_sort_onesweep_sort_config_static_selectorELNS0_4arch9wavefront6targetE0EEEvSH_.uses_flat_scratch, 0
	.set _ZN7rocprim17ROCPRIM_400000_NS6detail17trampoline_kernelINS0_14default_configENS1_35radix_sort_onesweep_config_selectorI6__halfNS0_10empty_typeEEEZZNS1_29radix_sort_onesweep_iterationIS3_Lb1EPKS5_PS5_PS6_SC_mNS0_19identity_decomposerENS1_16block_id_wrapperIjLb0EEEEE10hipError_tT1_PNSt15iterator_traitsISH_E10value_typeET2_T3_PNSI_ISN_E10value_typeET4_T5_PSS_ST_PNS1_23onesweep_lookback_stateEbbT6_jjT7_P12ihipStream_tbENKUlT_T0_SH_SM_E_clISB_SB_SC_SC_EEDaS10_S11_SH_SM_EUlS10_E_NS1_11comp_targetILNS1_3genE0ELNS1_11target_archE4294967295ELNS1_3gpuE0ELNS1_3repE0EEENS1_47radix_sort_onesweep_sort_config_static_selectorELNS0_4arch9wavefront6targetE0EEEvSH_.has_dyn_sized_stack, 0
	.set _ZN7rocprim17ROCPRIM_400000_NS6detail17trampoline_kernelINS0_14default_configENS1_35radix_sort_onesweep_config_selectorI6__halfNS0_10empty_typeEEEZZNS1_29radix_sort_onesweep_iterationIS3_Lb1EPKS5_PS5_PS6_SC_mNS0_19identity_decomposerENS1_16block_id_wrapperIjLb0EEEEE10hipError_tT1_PNSt15iterator_traitsISH_E10value_typeET2_T3_PNSI_ISN_E10value_typeET4_T5_PSS_ST_PNS1_23onesweep_lookback_stateEbbT6_jjT7_P12ihipStream_tbENKUlT_T0_SH_SM_E_clISB_SB_SC_SC_EEDaS10_S11_SH_SM_EUlS10_E_NS1_11comp_targetILNS1_3genE0ELNS1_11target_archE4294967295ELNS1_3gpuE0ELNS1_3repE0EEENS1_47radix_sort_onesweep_sort_config_static_selectorELNS0_4arch9wavefront6targetE0EEEvSH_.has_recursion, 0
	.set _ZN7rocprim17ROCPRIM_400000_NS6detail17trampoline_kernelINS0_14default_configENS1_35radix_sort_onesweep_config_selectorI6__halfNS0_10empty_typeEEEZZNS1_29radix_sort_onesweep_iterationIS3_Lb1EPKS5_PS5_PS6_SC_mNS0_19identity_decomposerENS1_16block_id_wrapperIjLb0EEEEE10hipError_tT1_PNSt15iterator_traitsISH_E10value_typeET2_T3_PNSI_ISN_E10value_typeET4_T5_PSS_ST_PNS1_23onesweep_lookback_stateEbbT6_jjT7_P12ihipStream_tbENKUlT_T0_SH_SM_E_clISB_SB_SC_SC_EEDaS10_S11_SH_SM_EUlS10_E_NS1_11comp_targetILNS1_3genE0ELNS1_11target_archE4294967295ELNS1_3gpuE0ELNS1_3repE0EEENS1_47radix_sort_onesweep_sort_config_static_selectorELNS0_4arch9wavefront6targetE0EEEvSH_.has_indirect_call, 0
	.section	.AMDGPU.csdata,"",@progbits
; Kernel info:
; codeLenInByte = 18604
; TotalNumSgprs: 30
; NumVgprs: 65
; ScratchSize: 0
; MemoryBound: 0
; FloatMode: 240
; IeeeMode: 1
; LDSByteSize: 18504 bytes/workgroup (compile time only)
; SGPRBlocks: 0
; VGPRBlocks: 4
; NumSGPRsForWavesPerEU: 30
; NumVGPRsForWavesPerEU: 65
; NamedBarCnt: 0
; Occupancy: 12
; WaveLimiterHint : 0
; COMPUTE_PGM_RSRC2:SCRATCH_EN: 0
; COMPUTE_PGM_RSRC2:USER_SGPR: 2
; COMPUTE_PGM_RSRC2:TRAP_HANDLER: 0
; COMPUTE_PGM_RSRC2:TGID_X_EN: 1
; COMPUTE_PGM_RSRC2:TGID_Y_EN: 0
; COMPUTE_PGM_RSRC2:TGID_Z_EN: 0
; COMPUTE_PGM_RSRC2:TIDIG_COMP_CNT: 2
	.section	.text._ZN7rocprim17ROCPRIM_400000_NS6detail17trampoline_kernelINS0_14default_configENS1_35radix_sort_onesweep_config_selectorI6__halfNS0_10empty_typeEEEZZNS1_29radix_sort_onesweep_iterationIS3_Lb1EPKS5_PS5_PS6_SC_mNS0_19identity_decomposerENS1_16block_id_wrapperIjLb0EEEEE10hipError_tT1_PNSt15iterator_traitsISH_E10value_typeET2_T3_PNSI_ISN_E10value_typeET4_T5_PSS_ST_PNS1_23onesweep_lookback_stateEbbT6_jjT7_P12ihipStream_tbENKUlT_T0_SH_SM_E_clISB_SB_SC_SC_EEDaS10_S11_SH_SM_EUlS10_E_NS1_11comp_targetILNS1_3genE6ELNS1_11target_archE950ELNS1_3gpuE13ELNS1_3repE0EEENS1_47radix_sort_onesweep_sort_config_static_selectorELNS0_4arch9wavefront6targetE0EEEvSH_,"axG",@progbits,_ZN7rocprim17ROCPRIM_400000_NS6detail17trampoline_kernelINS0_14default_configENS1_35radix_sort_onesweep_config_selectorI6__halfNS0_10empty_typeEEEZZNS1_29radix_sort_onesweep_iterationIS3_Lb1EPKS5_PS5_PS6_SC_mNS0_19identity_decomposerENS1_16block_id_wrapperIjLb0EEEEE10hipError_tT1_PNSt15iterator_traitsISH_E10value_typeET2_T3_PNSI_ISN_E10value_typeET4_T5_PSS_ST_PNS1_23onesweep_lookback_stateEbbT6_jjT7_P12ihipStream_tbENKUlT_T0_SH_SM_E_clISB_SB_SC_SC_EEDaS10_S11_SH_SM_EUlS10_E_NS1_11comp_targetILNS1_3genE6ELNS1_11target_archE950ELNS1_3gpuE13ELNS1_3repE0EEENS1_47radix_sort_onesweep_sort_config_static_selectorELNS0_4arch9wavefront6targetE0EEEvSH_,comdat
	.protected	_ZN7rocprim17ROCPRIM_400000_NS6detail17trampoline_kernelINS0_14default_configENS1_35radix_sort_onesweep_config_selectorI6__halfNS0_10empty_typeEEEZZNS1_29radix_sort_onesweep_iterationIS3_Lb1EPKS5_PS5_PS6_SC_mNS0_19identity_decomposerENS1_16block_id_wrapperIjLb0EEEEE10hipError_tT1_PNSt15iterator_traitsISH_E10value_typeET2_T3_PNSI_ISN_E10value_typeET4_T5_PSS_ST_PNS1_23onesweep_lookback_stateEbbT6_jjT7_P12ihipStream_tbENKUlT_T0_SH_SM_E_clISB_SB_SC_SC_EEDaS10_S11_SH_SM_EUlS10_E_NS1_11comp_targetILNS1_3genE6ELNS1_11target_archE950ELNS1_3gpuE13ELNS1_3repE0EEENS1_47radix_sort_onesweep_sort_config_static_selectorELNS0_4arch9wavefront6targetE0EEEvSH_ ; -- Begin function _ZN7rocprim17ROCPRIM_400000_NS6detail17trampoline_kernelINS0_14default_configENS1_35radix_sort_onesweep_config_selectorI6__halfNS0_10empty_typeEEEZZNS1_29radix_sort_onesweep_iterationIS3_Lb1EPKS5_PS5_PS6_SC_mNS0_19identity_decomposerENS1_16block_id_wrapperIjLb0EEEEE10hipError_tT1_PNSt15iterator_traitsISH_E10value_typeET2_T3_PNSI_ISN_E10value_typeET4_T5_PSS_ST_PNS1_23onesweep_lookback_stateEbbT6_jjT7_P12ihipStream_tbENKUlT_T0_SH_SM_E_clISB_SB_SC_SC_EEDaS10_S11_SH_SM_EUlS10_E_NS1_11comp_targetILNS1_3genE6ELNS1_11target_archE950ELNS1_3gpuE13ELNS1_3repE0EEENS1_47radix_sort_onesweep_sort_config_static_selectorELNS0_4arch9wavefront6targetE0EEEvSH_
	.globl	_ZN7rocprim17ROCPRIM_400000_NS6detail17trampoline_kernelINS0_14default_configENS1_35radix_sort_onesweep_config_selectorI6__halfNS0_10empty_typeEEEZZNS1_29radix_sort_onesweep_iterationIS3_Lb1EPKS5_PS5_PS6_SC_mNS0_19identity_decomposerENS1_16block_id_wrapperIjLb0EEEEE10hipError_tT1_PNSt15iterator_traitsISH_E10value_typeET2_T3_PNSI_ISN_E10value_typeET4_T5_PSS_ST_PNS1_23onesweep_lookback_stateEbbT6_jjT7_P12ihipStream_tbENKUlT_T0_SH_SM_E_clISB_SB_SC_SC_EEDaS10_S11_SH_SM_EUlS10_E_NS1_11comp_targetILNS1_3genE6ELNS1_11target_archE950ELNS1_3gpuE13ELNS1_3repE0EEENS1_47radix_sort_onesweep_sort_config_static_selectorELNS0_4arch9wavefront6targetE0EEEvSH_
	.p2align	8
	.type	_ZN7rocprim17ROCPRIM_400000_NS6detail17trampoline_kernelINS0_14default_configENS1_35radix_sort_onesweep_config_selectorI6__halfNS0_10empty_typeEEEZZNS1_29radix_sort_onesweep_iterationIS3_Lb1EPKS5_PS5_PS6_SC_mNS0_19identity_decomposerENS1_16block_id_wrapperIjLb0EEEEE10hipError_tT1_PNSt15iterator_traitsISH_E10value_typeET2_T3_PNSI_ISN_E10value_typeET4_T5_PSS_ST_PNS1_23onesweep_lookback_stateEbbT6_jjT7_P12ihipStream_tbENKUlT_T0_SH_SM_E_clISB_SB_SC_SC_EEDaS10_S11_SH_SM_EUlS10_E_NS1_11comp_targetILNS1_3genE6ELNS1_11target_archE950ELNS1_3gpuE13ELNS1_3repE0EEENS1_47radix_sort_onesweep_sort_config_static_selectorELNS0_4arch9wavefront6targetE0EEEvSH_,@function
_ZN7rocprim17ROCPRIM_400000_NS6detail17trampoline_kernelINS0_14default_configENS1_35radix_sort_onesweep_config_selectorI6__halfNS0_10empty_typeEEEZZNS1_29radix_sort_onesweep_iterationIS3_Lb1EPKS5_PS5_PS6_SC_mNS0_19identity_decomposerENS1_16block_id_wrapperIjLb0EEEEE10hipError_tT1_PNSt15iterator_traitsISH_E10value_typeET2_T3_PNSI_ISN_E10value_typeET4_T5_PSS_ST_PNS1_23onesweep_lookback_stateEbbT6_jjT7_P12ihipStream_tbENKUlT_T0_SH_SM_E_clISB_SB_SC_SC_EEDaS10_S11_SH_SM_EUlS10_E_NS1_11comp_targetILNS1_3genE6ELNS1_11target_archE950ELNS1_3gpuE13ELNS1_3repE0EEENS1_47radix_sort_onesweep_sort_config_static_selectorELNS0_4arch9wavefront6targetE0EEEvSH_: ; @_ZN7rocprim17ROCPRIM_400000_NS6detail17trampoline_kernelINS0_14default_configENS1_35radix_sort_onesweep_config_selectorI6__halfNS0_10empty_typeEEEZZNS1_29radix_sort_onesweep_iterationIS3_Lb1EPKS5_PS5_PS6_SC_mNS0_19identity_decomposerENS1_16block_id_wrapperIjLb0EEEEE10hipError_tT1_PNSt15iterator_traitsISH_E10value_typeET2_T3_PNSI_ISN_E10value_typeET4_T5_PSS_ST_PNS1_23onesweep_lookback_stateEbbT6_jjT7_P12ihipStream_tbENKUlT_T0_SH_SM_E_clISB_SB_SC_SC_EEDaS10_S11_SH_SM_EUlS10_E_NS1_11comp_targetILNS1_3genE6ELNS1_11target_archE950ELNS1_3gpuE13ELNS1_3repE0EEENS1_47radix_sort_onesweep_sort_config_static_selectorELNS0_4arch9wavefront6targetE0EEEvSH_
; %bb.0:
	.section	.rodata,"a",@progbits
	.p2align	6, 0x0
	.amdhsa_kernel _ZN7rocprim17ROCPRIM_400000_NS6detail17trampoline_kernelINS0_14default_configENS1_35radix_sort_onesweep_config_selectorI6__halfNS0_10empty_typeEEEZZNS1_29radix_sort_onesweep_iterationIS3_Lb1EPKS5_PS5_PS6_SC_mNS0_19identity_decomposerENS1_16block_id_wrapperIjLb0EEEEE10hipError_tT1_PNSt15iterator_traitsISH_E10value_typeET2_T3_PNSI_ISN_E10value_typeET4_T5_PSS_ST_PNS1_23onesweep_lookback_stateEbbT6_jjT7_P12ihipStream_tbENKUlT_T0_SH_SM_E_clISB_SB_SC_SC_EEDaS10_S11_SH_SM_EUlS10_E_NS1_11comp_targetILNS1_3genE6ELNS1_11target_archE950ELNS1_3gpuE13ELNS1_3repE0EEENS1_47radix_sort_onesweep_sort_config_static_selectorELNS0_4arch9wavefront6targetE0EEEvSH_
		.amdhsa_group_segment_fixed_size 0
		.amdhsa_private_segment_fixed_size 0
		.amdhsa_kernarg_size 88
		.amdhsa_user_sgpr_count 2
		.amdhsa_user_sgpr_dispatch_ptr 0
		.amdhsa_user_sgpr_queue_ptr 0
		.amdhsa_user_sgpr_kernarg_segment_ptr 1
		.amdhsa_user_sgpr_dispatch_id 0
		.amdhsa_user_sgpr_kernarg_preload_length 0
		.amdhsa_user_sgpr_kernarg_preload_offset 0
		.amdhsa_user_sgpr_private_segment_size 0
		.amdhsa_wavefront_size32 1
		.amdhsa_uses_dynamic_stack 0
		.amdhsa_enable_private_segment 0
		.amdhsa_system_sgpr_workgroup_id_x 1
		.amdhsa_system_sgpr_workgroup_id_y 0
		.amdhsa_system_sgpr_workgroup_id_z 0
		.amdhsa_system_sgpr_workgroup_info 0
		.amdhsa_system_vgpr_workitem_id 0
		.amdhsa_next_free_vgpr 1
		.amdhsa_next_free_sgpr 1
		.amdhsa_named_barrier_count 0
		.amdhsa_reserve_vcc 0
		.amdhsa_float_round_mode_32 0
		.amdhsa_float_round_mode_16_64 0
		.amdhsa_float_denorm_mode_32 3
		.amdhsa_float_denorm_mode_16_64 3
		.amdhsa_fp16_overflow 0
		.amdhsa_memory_ordered 1
		.amdhsa_forward_progress 1
		.amdhsa_inst_pref_size 0
		.amdhsa_round_robin_scheduling 0
		.amdhsa_exception_fp_ieee_invalid_op 0
		.amdhsa_exception_fp_denorm_src 0
		.amdhsa_exception_fp_ieee_div_zero 0
		.amdhsa_exception_fp_ieee_overflow 0
		.amdhsa_exception_fp_ieee_underflow 0
		.amdhsa_exception_fp_ieee_inexact 0
		.amdhsa_exception_int_div_zero 0
	.end_amdhsa_kernel
	.section	.text._ZN7rocprim17ROCPRIM_400000_NS6detail17trampoline_kernelINS0_14default_configENS1_35radix_sort_onesweep_config_selectorI6__halfNS0_10empty_typeEEEZZNS1_29radix_sort_onesweep_iterationIS3_Lb1EPKS5_PS5_PS6_SC_mNS0_19identity_decomposerENS1_16block_id_wrapperIjLb0EEEEE10hipError_tT1_PNSt15iterator_traitsISH_E10value_typeET2_T3_PNSI_ISN_E10value_typeET4_T5_PSS_ST_PNS1_23onesweep_lookback_stateEbbT6_jjT7_P12ihipStream_tbENKUlT_T0_SH_SM_E_clISB_SB_SC_SC_EEDaS10_S11_SH_SM_EUlS10_E_NS1_11comp_targetILNS1_3genE6ELNS1_11target_archE950ELNS1_3gpuE13ELNS1_3repE0EEENS1_47radix_sort_onesweep_sort_config_static_selectorELNS0_4arch9wavefront6targetE0EEEvSH_,"axG",@progbits,_ZN7rocprim17ROCPRIM_400000_NS6detail17trampoline_kernelINS0_14default_configENS1_35radix_sort_onesweep_config_selectorI6__halfNS0_10empty_typeEEEZZNS1_29radix_sort_onesweep_iterationIS3_Lb1EPKS5_PS5_PS6_SC_mNS0_19identity_decomposerENS1_16block_id_wrapperIjLb0EEEEE10hipError_tT1_PNSt15iterator_traitsISH_E10value_typeET2_T3_PNSI_ISN_E10value_typeET4_T5_PSS_ST_PNS1_23onesweep_lookback_stateEbbT6_jjT7_P12ihipStream_tbENKUlT_T0_SH_SM_E_clISB_SB_SC_SC_EEDaS10_S11_SH_SM_EUlS10_E_NS1_11comp_targetILNS1_3genE6ELNS1_11target_archE950ELNS1_3gpuE13ELNS1_3repE0EEENS1_47radix_sort_onesweep_sort_config_static_selectorELNS0_4arch9wavefront6targetE0EEEvSH_,comdat
.Lfunc_end2191:
	.size	_ZN7rocprim17ROCPRIM_400000_NS6detail17trampoline_kernelINS0_14default_configENS1_35radix_sort_onesweep_config_selectorI6__halfNS0_10empty_typeEEEZZNS1_29radix_sort_onesweep_iterationIS3_Lb1EPKS5_PS5_PS6_SC_mNS0_19identity_decomposerENS1_16block_id_wrapperIjLb0EEEEE10hipError_tT1_PNSt15iterator_traitsISH_E10value_typeET2_T3_PNSI_ISN_E10value_typeET4_T5_PSS_ST_PNS1_23onesweep_lookback_stateEbbT6_jjT7_P12ihipStream_tbENKUlT_T0_SH_SM_E_clISB_SB_SC_SC_EEDaS10_S11_SH_SM_EUlS10_E_NS1_11comp_targetILNS1_3genE6ELNS1_11target_archE950ELNS1_3gpuE13ELNS1_3repE0EEENS1_47radix_sort_onesweep_sort_config_static_selectorELNS0_4arch9wavefront6targetE0EEEvSH_, .Lfunc_end2191-_ZN7rocprim17ROCPRIM_400000_NS6detail17trampoline_kernelINS0_14default_configENS1_35radix_sort_onesweep_config_selectorI6__halfNS0_10empty_typeEEEZZNS1_29radix_sort_onesweep_iterationIS3_Lb1EPKS5_PS5_PS6_SC_mNS0_19identity_decomposerENS1_16block_id_wrapperIjLb0EEEEE10hipError_tT1_PNSt15iterator_traitsISH_E10value_typeET2_T3_PNSI_ISN_E10value_typeET4_T5_PSS_ST_PNS1_23onesweep_lookback_stateEbbT6_jjT7_P12ihipStream_tbENKUlT_T0_SH_SM_E_clISB_SB_SC_SC_EEDaS10_S11_SH_SM_EUlS10_E_NS1_11comp_targetILNS1_3genE6ELNS1_11target_archE950ELNS1_3gpuE13ELNS1_3repE0EEENS1_47radix_sort_onesweep_sort_config_static_selectorELNS0_4arch9wavefront6targetE0EEEvSH_
                                        ; -- End function
	.set _ZN7rocprim17ROCPRIM_400000_NS6detail17trampoline_kernelINS0_14default_configENS1_35radix_sort_onesweep_config_selectorI6__halfNS0_10empty_typeEEEZZNS1_29radix_sort_onesweep_iterationIS3_Lb1EPKS5_PS5_PS6_SC_mNS0_19identity_decomposerENS1_16block_id_wrapperIjLb0EEEEE10hipError_tT1_PNSt15iterator_traitsISH_E10value_typeET2_T3_PNSI_ISN_E10value_typeET4_T5_PSS_ST_PNS1_23onesweep_lookback_stateEbbT6_jjT7_P12ihipStream_tbENKUlT_T0_SH_SM_E_clISB_SB_SC_SC_EEDaS10_S11_SH_SM_EUlS10_E_NS1_11comp_targetILNS1_3genE6ELNS1_11target_archE950ELNS1_3gpuE13ELNS1_3repE0EEENS1_47radix_sort_onesweep_sort_config_static_selectorELNS0_4arch9wavefront6targetE0EEEvSH_.num_vgpr, 0
	.set _ZN7rocprim17ROCPRIM_400000_NS6detail17trampoline_kernelINS0_14default_configENS1_35radix_sort_onesweep_config_selectorI6__halfNS0_10empty_typeEEEZZNS1_29radix_sort_onesweep_iterationIS3_Lb1EPKS5_PS5_PS6_SC_mNS0_19identity_decomposerENS1_16block_id_wrapperIjLb0EEEEE10hipError_tT1_PNSt15iterator_traitsISH_E10value_typeET2_T3_PNSI_ISN_E10value_typeET4_T5_PSS_ST_PNS1_23onesweep_lookback_stateEbbT6_jjT7_P12ihipStream_tbENKUlT_T0_SH_SM_E_clISB_SB_SC_SC_EEDaS10_S11_SH_SM_EUlS10_E_NS1_11comp_targetILNS1_3genE6ELNS1_11target_archE950ELNS1_3gpuE13ELNS1_3repE0EEENS1_47radix_sort_onesweep_sort_config_static_selectorELNS0_4arch9wavefront6targetE0EEEvSH_.num_agpr, 0
	.set _ZN7rocprim17ROCPRIM_400000_NS6detail17trampoline_kernelINS0_14default_configENS1_35radix_sort_onesweep_config_selectorI6__halfNS0_10empty_typeEEEZZNS1_29radix_sort_onesweep_iterationIS3_Lb1EPKS5_PS5_PS6_SC_mNS0_19identity_decomposerENS1_16block_id_wrapperIjLb0EEEEE10hipError_tT1_PNSt15iterator_traitsISH_E10value_typeET2_T3_PNSI_ISN_E10value_typeET4_T5_PSS_ST_PNS1_23onesweep_lookback_stateEbbT6_jjT7_P12ihipStream_tbENKUlT_T0_SH_SM_E_clISB_SB_SC_SC_EEDaS10_S11_SH_SM_EUlS10_E_NS1_11comp_targetILNS1_3genE6ELNS1_11target_archE950ELNS1_3gpuE13ELNS1_3repE0EEENS1_47radix_sort_onesweep_sort_config_static_selectorELNS0_4arch9wavefront6targetE0EEEvSH_.numbered_sgpr, 0
	.set _ZN7rocprim17ROCPRIM_400000_NS6detail17trampoline_kernelINS0_14default_configENS1_35radix_sort_onesweep_config_selectorI6__halfNS0_10empty_typeEEEZZNS1_29radix_sort_onesweep_iterationIS3_Lb1EPKS5_PS5_PS6_SC_mNS0_19identity_decomposerENS1_16block_id_wrapperIjLb0EEEEE10hipError_tT1_PNSt15iterator_traitsISH_E10value_typeET2_T3_PNSI_ISN_E10value_typeET4_T5_PSS_ST_PNS1_23onesweep_lookback_stateEbbT6_jjT7_P12ihipStream_tbENKUlT_T0_SH_SM_E_clISB_SB_SC_SC_EEDaS10_S11_SH_SM_EUlS10_E_NS1_11comp_targetILNS1_3genE6ELNS1_11target_archE950ELNS1_3gpuE13ELNS1_3repE0EEENS1_47radix_sort_onesweep_sort_config_static_selectorELNS0_4arch9wavefront6targetE0EEEvSH_.num_named_barrier, 0
	.set _ZN7rocprim17ROCPRIM_400000_NS6detail17trampoline_kernelINS0_14default_configENS1_35radix_sort_onesweep_config_selectorI6__halfNS0_10empty_typeEEEZZNS1_29radix_sort_onesweep_iterationIS3_Lb1EPKS5_PS5_PS6_SC_mNS0_19identity_decomposerENS1_16block_id_wrapperIjLb0EEEEE10hipError_tT1_PNSt15iterator_traitsISH_E10value_typeET2_T3_PNSI_ISN_E10value_typeET4_T5_PSS_ST_PNS1_23onesweep_lookback_stateEbbT6_jjT7_P12ihipStream_tbENKUlT_T0_SH_SM_E_clISB_SB_SC_SC_EEDaS10_S11_SH_SM_EUlS10_E_NS1_11comp_targetILNS1_3genE6ELNS1_11target_archE950ELNS1_3gpuE13ELNS1_3repE0EEENS1_47radix_sort_onesweep_sort_config_static_selectorELNS0_4arch9wavefront6targetE0EEEvSH_.private_seg_size, 0
	.set _ZN7rocprim17ROCPRIM_400000_NS6detail17trampoline_kernelINS0_14default_configENS1_35radix_sort_onesweep_config_selectorI6__halfNS0_10empty_typeEEEZZNS1_29radix_sort_onesweep_iterationIS3_Lb1EPKS5_PS5_PS6_SC_mNS0_19identity_decomposerENS1_16block_id_wrapperIjLb0EEEEE10hipError_tT1_PNSt15iterator_traitsISH_E10value_typeET2_T3_PNSI_ISN_E10value_typeET4_T5_PSS_ST_PNS1_23onesweep_lookback_stateEbbT6_jjT7_P12ihipStream_tbENKUlT_T0_SH_SM_E_clISB_SB_SC_SC_EEDaS10_S11_SH_SM_EUlS10_E_NS1_11comp_targetILNS1_3genE6ELNS1_11target_archE950ELNS1_3gpuE13ELNS1_3repE0EEENS1_47radix_sort_onesweep_sort_config_static_selectorELNS0_4arch9wavefront6targetE0EEEvSH_.uses_vcc, 0
	.set _ZN7rocprim17ROCPRIM_400000_NS6detail17trampoline_kernelINS0_14default_configENS1_35radix_sort_onesweep_config_selectorI6__halfNS0_10empty_typeEEEZZNS1_29radix_sort_onesweep_iterationIS3_Lb1EPKS5_PS5_PS6_SC_mNS0_19identity_decomposerENS1_16block_id_wrapperIjLb0EEEEE10hipError_tT1_PNSt15iterator_traitsISH_E10value_typeET2_T3_PNSI_ISN_E10value_typeET4_T5_PSS_ST_PNS1_23onesweep_lookback_stateEbbT6_jjT7_P12ihipStream_tbENKUlT_T0_SH_SM_E_clISB_SB_SC_SC_EEDaS10_S11_SH_SM_EUlS10_E_NS1_11comp_targetILNS1_3genE6ELNS1_11target_archE950ELNS1_3gpuE13ELNS1_3repE0EEENS1_47radix_sort_onesweep_sort_config_static_selectorELNS0_4arch9wavefront6targetE0EEEvSH_.uses_flat_scratch, 0
	.set _ZN7rocprim17ROCPRIM_400000_NS6detail17trampoline_kernelINS0_14default_configENS1_35radix_sort_onesweep_config_selectorI6__halfNS0_10empty_typeEEEZZNS1_29radix_sort_onesweep_iterationIS3_Lb1EPKS5_PS5_PS6_SC_mNS0_19identity_decomposerENS1_16block_id_wrapperIjLb0EEEEE10hipError_tT1_PNSt15iterator_traitsISH_E10value_typeET2_T3_PNSI_ISN_E10value_typeET4_T5_PSS_ST_PNS1_23onesweep_lookback_stateEbbT6_jjT7_P12ihipStream_tbENKUlT_T0_SH_SM_E_clISB_SB_SC_SC_EEDaS10_S11_SH_SM_EUlS10_E_NS1_11comp_targetILNS1_3genE6ELNS1_11target_archE950ELNS1_3gpuE13ELNS1_3repE0EEENS1_47radix_sort_onesweep_sort_config_static_selectorELNS0_4arch9wavefront6targetE0EEEvSH_.has_dyn_sized_stack, 0
	.set _ZN7rocprim17ROCPRIM_400000_NS6detail17trampoline_kernelINS0_14default_configENS1_35radix_sort_onesweep_config_selectorI6__halfNS0_10empty_typeEEEZZNS1_29radix_sort_onesweep_iterationIS3_Lb1EPKS5_PS5_PS6_SC_mNS0_19identity_decomposerENS1_16block_id_wrapperIjLb0EEEEE10hipError_tT1_PNSt15iterator_traitsISH_E10value_typeET2_T3_PNSI_ISN_E10value_typeET4_T5_PSS_ST_PNS1_23onesweep_lookback_stateEbbT6_jjT7_P12ihipStream_tbENKUlT_T0_SH_SM_E_clISB_SB_SC_SC_EEDaS10_S11_SH_SM_EUlS10_E_NS1_11comp_targetILNS1_3genE6ELNS1_11target_archE950ELNS1_3gpuE13ELNS1_3repE0EEENS1_47radix_sort_onesweep_sort_config_static_selectorELNS0_4arch9wavefront6targetE0EEEvSH_.has_recursion, 0
	.set _ZN7rocprim17ROCPRIM_400000_NS6detail17trampoline_kernelINS0_14default_configENS1_35radix_sort_onesweep_config_selectorI6__halfNS0_10empty_typeEEEZZNS1_29radix_sort_onesweep_iterationIS3_Lb1EPKS5_PS5_PS6_SC_mNS0_19identity_decomposerENS1_16block_id_wrapperIjLb0EEEEE10hipError_tT1_PNSt15iterator_traitsISH_E10value_typeET2_T3_PNSI_ISN_E10value_typeET4_T5_PSS_ST_PNS1_23onesweep_lookback_stateEbbT6_jjT7_P12ihipStream_tbENKUlT_T0_SH_SM_E_clISB_SB_SC_SC_EEDaS10_S11_SH_SM_EUlS10_E_NS1_11comp_targetILNS1_3genE6ELNS1_11target_archE950ELNS1_3gpuE13ELNS1_3repE0EEENS1_47radix_sort_onesweep_sort_config_static_selectorELNS0_4arch9wavefront6targetE0EEEvSH_.has_indirect_call, 0
	.section	.AMDGPU.csdata,"",@progbits
; Kernel info:
; codeLenInByte = 0
; TotalNumSgprs: 0
; NumVgprs: 0
; ScratchSize: 0
; MemoryBound: 0
; FloatMode: 240
; IeeeMode: 1
; LDSByteSize: 0 bytes/workgroup (compile time only)
; SGPRBlocks: 0
; VGPRBlocks: 0
; NumSGPRsForWavesPerEU: 1
; NumVGPRsForWavesPerEU: 1
; NamedBarCnt: 0
; Occupancy: 16
; WaveLimiterHint : 0
; COMPUTE_PGM_RSRC2:SCRATCH_EN: 0
; COMPUTE_PGM_RSRC2:USER_SGPR: 2
; COMPUTE_PGM_RSRC2:TRAP_HANDLER: 0
; COMPUTE_PGM_RSRC2:TGID_X_EN: 1
; COMPUTE_PGM_RSRC2:TGID_Y_EN: 0
; COMPUTE_PGM_RSRC2:TGID_Z_EN: 0
; COMPUTE_PGM_RSRC2:TIDIG_COMP_CNT: 0
	.section	.text._ZN7rocprim17ROCPRIM_400000_NS6detail17trampoline_kernelINS0_14default_configENS1_35radix_sort_onesweep_config_selectorI6__halfNS0_10empty_typeEEEZZNS1_29radix_sort_onesweep_iterationIS3_Lb1EPKS5_PS5_PS6_SC_mNS0_19identity_decomposerENS1_16block_id_wrapperIjLb0EEEEE10hipError_tT1_PNSt15iterator_traitsISH_E10value_typeET2_T3_PNSI_ISN_E10value_typeET4_T5_PSS_ST_PNS1_23onesweep_lookback_stateEbbT6_jjT7_P12ihipStream_tbENKUlT_T0_SH_SM_E_clISB_SB_SC_SC_EEDaS10_S11_SH_SM_EUlS10_E_NS1_11comp_targetILNS1_3genE5ELNS1_11target_archE942ELNS1_3gpuE9ELNS1_3repE0EEENS1_47radix_sort_onesweep_sort_config_static_selectorELNS0_4arch9wavefront6targetE0EEEvSH_,"axG",@progbits,_ZN7rocprim17ROCPRIM_400000_NS6detail17trampoline_kernelINS0_14default_configENS1_35radix_sort_onesweep_config_selectorI6__halfNS0_10empty_typeEEEZZNS1_29radix_sort_onesweep_iterationIS3_Lb1EPKS5_PS5_PS6_SC_mNS0_19identity_decomposerENS1_16block_id_wrapperIjLb0EEEEE10hipError_tT1_PNSt15iterator_traitsISH_E10value_typeET2_T3_PNSI_ISN_E10value_typeET4_T5_PSS_ST_PNS1_23onesweep_lookback_stateEbbT6_jjT7_P12ihipStream_tbENKUlT_T0_SH_SM_E_clISB_SB_SC_SC_EEDaS10_S11_SH_SM_EUlS10_E_NS1_11comp_targetILNS1_3genE5ELNS1_11target_archE942ELNS1_3gpuE9ELNS1_3repE0EEENS1_47radix_sort_onesweep_sort_config_static_selectorELNS0_4arch9wavefront6targetE0EEEvSH_,comdat
	.protected	_ZN7rocprim17ROCPRIM_400000_NS6detail17trampoline_kernelINS0_14default_configENS1_35radix_sort_onesweep_config_selectorI6__halfNS0_10empty_typeEEEZZNS1_29radix_sort_onesweep_iterationIS3_Lb1EPKS5_PS5_PS6_SC_mNS0_19identity_decomposerENS1_16block_id_wrapperIjLb0EEEEE10hipError_tT1_PNSt15iterator_traitsISH_E10value_typeET2_T3_PNSI_ISN_E10value_typeET4_T5_PSS_ST_PNS1_23onesweep_lookback_stateEbbT6_jjT7_P12ihipStream_tbENKUlT_T0_SH_SM_E_clISB_SB_SC_SC_EEDaS10_S11_SH_SM_EUlS10_E_NS1_11comp_targetILNS1_3genE5ELNS1_11target_archE942ELNS1_3gpuE9ELNS1_3repE0EEENS1_47radix_sort_onesweep_sort_config_static_selectorELNS0_4arch9wavefront6targetE0EEEvSH_ ; -- Begin function _ZN7rocprim17ROCPRIM_400000_NS6detail17trampoline_kernelINS0_14default_configENS1_35radix_sort_onesweep_config_selectorI6__halfNS0_10empty_typeEEEZZNS1_29radix_sort_onesweep_iterationIS3_Lb1EPKS5_PS5_PS6_SC_mNS0_19identity_decomposerENS1_16block_id_wrapperIjLb0EEEEE10hipError_tT1_PNSt15iterator_traitsISH_E10value_typeET2_T3_PNSI_ISN_E10value_typeET4_T5_PSS_ST_PNS1_23onesweep_lookback_stateEbbT6_jjT7_P12ihipStream_tbENKUlT_T0_SH_SM_E_clISB_SB_SC_SC_EEDaS10_S11_SH_SM_EUlS10_E_NS1_11comp_targetILNS1_3genE5ELNS1_11target_archE942ELNS1_3gpuE9ELNS1_3repE0EEENS1_47radix_sort_onesweep_sort_config_static_selectorELNS0_4arch9wavefront6targetE0EEEvSH_
	.globl	_ZN7rocprim17ROCPRIM_400000_NS6detail17trampoline_kernelINS0_14default_configENS1_35radix_sort_onesweep_config_selectorI6__halfNS0_10empty_typeEEEZZNS1_29radix_sort_onesweep_iterationIS3_Lb1EPKS5_PS5_PS6_SC_mNS0_19identity_decomposerENS1_16block_id_wrapperIjLb0EEEEE10hipError_tT1_PNSt15iterator_traitsISH_E10value_typeET2_T3_PNSI_ISN_E10value_typeET4_T5_PSS_ST_PNS1_23onesweep_lookback_stateEbbT6_jjT7_P12ihipStream_tbENKUlT_T0_SH_SM_E_clISB_SB_SC_SC_EEDaS10_S11_SH_SM_EUlS10_E_NS1_11comp_targetILNS1_3genE5ELNS1_11target_archE942ELNS1_3gpuE9ELNS1_3repE0EEENS1_47radix_sort_onesweep_sort_config_static_selectorELNS0_4arch9wavefront6targetE0EEEvSH_
	.p2align	8
	.type	_ZN7rocprim17ROCPRIM_400000_NS6detail17trampoline_kernelINS0_14default_configENS1_35radix_sort_onesweep_config_selectorI6__halfNS0_10empty_typeEEEZZNS1_29radix_sort_onesweep_iterationIS3_Lb1EPKS5_PS5_PS6_SC_mNS0_19identity_decomposerENS1_16block_id_wrapperIjLb0EEEEE10hipError_tT1_PNSt15iterator_traitsISH_E10value_typeET2_T3_PNSI_ISN_E10value_typeET4_T5_PSS_ST_PNS1_23onesweep_lookback_stateEbbT6_jjT7_P12ihipStream_tbENKUlT_T0_SH_SM_E_clISB_SB_SC_SC_EEDaS10_S11_SH_SM_EUlS10_E_NS1_11comp_targetILNS1_3genE5ELNS1_11target_archE942ELNS1_3gpuE9ELNS1_3repE0EEENS1_47radix_sort_onesweep_sort_config_static_selectorELNS0_4arch9wavefront6targetE0EEEvSH_,@function
_ZN7rocprim17ROCPRIM_400000_NS6detail17trampoline_kernelINS0_14default_configENS1_35radix_sort_onesweep_config_selectorI6__halfNS0_10empty_typeEEEZZNS1_29radix_sort_onesweep_iterationIS3_Lb1EPKS5_PS5_PS6_SC_mNS0_19identity_decomposerENS1_16block_id_wrapperIjLb0EEEEE10hipError_tT1_PNSt15iterator_traitsISH_E10value_typeET2_T3_PNSI_ISN_E10value_typeET4_T5_PSS_ST_PNS1_23onesweep_lookback_stateEbbT6_jjT7_P12ihipStream_tbENKUlT_T0_SH_SM_E_clISB_SB_SC_SC_EEDaS10_S11_SH_SM_EUlS10_E_NS1_11comp_targetILNS1_3genE5ELNS1_11target_archE942ELNS1_3gpuE9ELNS1_3repE0EEENS1_47radix_sort_onesweep_sort_config_static_selectorELNS0_4arch9wavefront6targetE0EEEvSH_: ; @_ZN7rocprim17ROCPRIM_400000_NS6detail17trampoline_kernelINS0_14default_configENS1_35radix_sort_onesweep_config_selectorI6__halfNS0_10empty_typeEEEZZNS1_29radix_sort_onesweep_iterationIS3_Lb1EPKS5_PS5_PS6_SC_mNS0_19identity_decomposerENS1_16block_id_wrapperIjLb0EEEEE10hipError_tT1_PNSt15iterator_traitsISH_E10value_typeET2_T3_PNSI_ISN_E10value_typeET4_T5_PSS_ST_PNS1_23onesweep_lookback_stateEbbT6_jjT7_P12ihipStream_tbENKUlT_T0_SH_SM_E_clISB_SB_SC_SC_EEDaS10_S11_SH_SM_EUlS10_E_NS1_11comp_targetILNS1_3genE5ELNS1_11target_archE942ELNS1_3gpuE9ELNS1_3repE0EEENS1_47radix_sort_onesweep_sort_config_static_selectorELNS0_4arch9wavefront6targetE0EEEvSH_
; %bb.0:
	.section	.rodata,"a",@progbits
	.p2align	6, 0x0
	.amdhsa_kernel _ZN7rocprim17ROCPRIM_400000_NS6detail17trampoline_kernelINS0_14default_configENS1_35radix_sort_onesweep_config_selectorI6__halfNS0_10empty_typeEEEZZNS1_29radix_sort_onesweep_iterationIS3_Lb1EPKS5_PS5_PS6_SC_mNS0_19identity_decomposerENS1_16block_id_wrapperIjLb0EEEEE10hipError_tT1_PNSt15iterator_traitsISH_E10value_typeET2_T3_PNSI_ISN_E10value_typeET4_T5_PSS_ST_PNS1_23onesweep_lookback_stateEbbT6_jjT7_P12ihipStream_tbENKUlT_T0_SH_SM_E_clISB_SB_SC_SC_EEDaS10_S11_SH_SM_EUlS10_E_NS1_11comp_targetILNS1_3genE5ELNS1_11target_archE942ELNS1_3gpuE9ELNS1_3repE0EEENS1_47radix_sort_onesweep_sort_config_static_selectorELNS0_4arch9wavefront6targetE0EEEvSH_
		.amdhsa_group_segment_fixed_size 0
		.amdhsa_private_segment_fixed_size 0
		.amdhsa_kernarg_size 88
		.amdhsa_user_sgpr_count 2
		.amdhsa_user_sgpr_dispatch_ptr 0
		.amdhsa_user_sgpr_queue_ptr 0
		.amdhsa_user_sgpr_kernarg_segment_ptr 1
		.amdhsa_user_sgpr_dispatch_id 0
		.amdhsa_user_sgpr_kernarg_preload_length 0
		.amdhsa_user_sgpr_kernarg_preload_offset 0
		.amdhsa_user_sgpr_private_segment_size 0
		.amdhsa_wavefront_size32 1
		.amdhsa_uses_dynamic_stack 0
		.amdhsa_enable_private_segment 0
		.amdhsa_system_sgpr_workgroup_id_x 1
		.amdhsa_system_sgpr_workgroup_id_y 0
		.amdhsa_system_sgpr_workgroup_id_z 0
		.amdhsa_system_sgpr_workgroup_info 0
		.amdhsa_system_vgpr_workitem_id 0
		.amdhsa_next_free_vgpr 1
		.amdhsa_next_free_sgpr 1
		.amdhsa_named_barrier_count 0
		.amdhsa_reserve_vcc 0
		.amdhsa_float_round_mode_32 0
		.amdhsa_float_round_mode_16_64 0
		.amdhsa_float_denorm_mode_32 3
		.amdhsa_float_denorm_mode_16_64 3
		.amdhsa_fp16_overflow 0
		.amdhsa_memory_ordered 1
		.amdhsa_forward_progress 1
		.amdhsa_inst_pref_size 0
		.amdhsa_round_robin_scheduling 0
		.amdhsa_exception_fp_ieee_invalid_op 0
		.amdhsa_exception_fp_denorm_src 0
		.amdhsa_exception_fp_ieee_div_zero 0
		.amdhsa_exception_fp_ieee_overflow 0
		.amdhsa_exception_fp_ieee_underflow 0
		.amdhsa_exception_fp_ieee_inexact 0
		.amdhsa_exception_int_div_zero 0
	.end_amdhsa_kernel
	.section	.text._ZN7rocprim17ROCPRIM_400000_NS6detail17trampoline_kernelINS0_14default_configENS1_35radix_sort_onesweep_config_selectorI6__halfNS0_10empty_typeEEEZZNS1_29radix_sort_onesweep_iterationIS3_Lb1EPKS5_PS5_PS6_SC_mNS0_19identity_decomposerENS1_16block_id_wrapperIjLb0EEEEE10hipError_tT1_PNSt15iterator_traitsISH_E10value_typeET2_T3_PNSI_ISN_E10value_typeET4_T5_PSS_ST_PNS1_23onesweep_lookback_stateEbbT6_jjT7_P12ihipStream_tbENKUlT_T0_SH_SM_E_clISB_SB_SC_SC_EEDaS10_S11_SH_SM_EUlS10_E_NS1_11comp_targetILNS1_3genE5ELNS1_11target_archE942ELNS1_3gpuE9ELNS1_3repE0EEENS1_47radix_sort_onesweep_sort_config_static_selectorELNS0_4arch9wavefront6targetE0EEEvSH_,"axG",@progbits,_ZN7rocprim17ROCPRIM_400000_NS6detail17trampoline_kernelINS0_14default_configENS1_35radix_sort_onesweep_config_selectorI6__halfNS0_10empty_typeEEEZZNS1_29radix_sort_onesweep_iterationIS3_Lb1EPKS5_PS5_PS6_SC_mNS0_19identity_decomposerENS1_16block_id_wrapperIjLb0EEEEE10hipError_tT1_PNSt15iterator_traitsISH_E10value_typeET2_T3_PNSI_ISN_E10value_typeET4_T5_PSS_ST_PNS1_23onesweep_lookback_stateEbbT6_jjT7_P12ihipStream_tbENKUlT_T0_SH_SM_E_clISB_SB_SC_SC_EEDaS10_S11_SH_SM_EUlS10_E_NS1_11comp_targetILNS1_3genE5ELNS1_11target_archE942ELNS1_3gpuE9ELNS1_3repE0EEENS1_47radix_sort_onesweep_sort_config_static_selectorELNS0_4arch9wavefront6targetE0EEEvSH_,comdat
.Lfunc_end2192:
	.size	_ZN7rocprim17ROCPRIM_400000_NS6detail17trampoline_kernelINS0_14default_configENS1_35radix_sort_onesweep_config_selectorI6__halfNS0_10empty_typeEEEZZNS1_29radix_sort_onesweep_iterationIS3_Lb1EPKS5_PS5_PS6_SC_mNS0_19identity_decomposerENS1_16block_id_wrapperIjLb0EEEEE10hipError_tT1_PNSt15iterator_traitsISH_E10value_typeET2_T3_PNSI_ISN_E10value_typeET4_T5_PSS_ST_PNS1_23onesweep_lookback_stateEbbT6_jjT7_P12ihipStream_tbENKUlT_T0_SH_SM_E_clISB_SB_SC_SC_EEDaS10_S11_SH_SM_EUlS10_E_NS1_11comp_targetILNS1_3genE5ELNS1_11target_archE942ELNS1_3gpuE9ELNS1_3repE0EEENS1_47radix_sort_onesweep_sort_config_static_selectorELNS0_4arch9wavefront6targetE0EEEvSH_, .Lfunc_end2192-_ZN7rocprim17ROCPRIM_400000_NS6detail17trampoline_kernelINS0_14default_configENS1_35radix_sort_onesweep_config_selectorI6__halfNS0_10empty_typeEEEZZNS1_29radix_sort_onesweep_iterationIS3_Lb1EPKS5_PS5_PS6_SC_mNS0_19identity_decomposerENS1_16block_id_wrapperIjLb0EEEEE10hipError_tT1_PNSt15iterator_traitsISH_E10value_typeET2_T3_PNSI_ISN_E10value_typeET4_T5_PSS_ST_PNS1_23onesweep_lookback_stateEbbT6_jjT7_P12ihipStream_tbENKUlT_T0_SH_SM_E_clISB_SB_SC_SC_EEDaS10_S11_SH_SM_EUlS10_E_NS1_11comp_targetILNS1_3genE5ELNS1_11target_archE942ELNS1_3gpuE9ELNS1_3repE0EEENS1_47radix_sort_onesweep_sort_config_static_selectorELNS0_4arch9wavefront6targetE0EEEvSH_
                                        ; -- End function
	.set _ZN7rocprim17ROCPRIM_400000_NS6detail17trampoline_kernelINS0_14default_configENS1_35radix_sort_onesweep_config_selectorI6__halfNS0_10empty_typeEEEZZNS1_29radix_sort_onesweep_iterationIS3_Lb1EPKS5_PS5_PS6_SC_mNS0_19identity_decomposerENS1_16block_id_wrapperIjLb0EEEEE10hipError_tT1_PNSt15iterator_traitsISH_E10value_typeET2_T3_PNSI_ISN_E10value_typeET4_T5_PSS_ST_PNS1_23onesweep_lookback_stateEbbT6_jjT7_P12ihipStream_tbENKUlT_T0_SH_SM_E_clISB_SB_SC_SC_EEDaS10_S11_SH_SM_EUlS10_E_NS1_11comp_targetILNS1_3genE5ELNS1_11target_archE942ELNS1_3gpuE9ELNS1_3repE0EEENS1_47radix_sort_onesweep_sort_config_static_selectorELNS0_4arch9wavefront6targetE0EEEvSH_.num_vgpr, 0
	.set _ZN7rocprim17ROCPRIM_400000_NS6detail17trampoline_kernelINS0_14default_configENS1_35radix_sort_onesweep_config_selectorI6__halfNS0_10empty_typeEEEZZNS1_29radix_sort_onesweep_iterationIS3_Lb1EPKS5_PS5_PS6_SC_mNS0_19identity_decomposerENS1_16block_id_wrapperIjLb0EEEEE10hipError_tT1_PNSt15iterator_traitsISH_E10value_typeET2_T3_PNSI_ISN_E10value_typeET4_T5_PSS_ST_PNS1_23onesweep_lookback_stateEbbT6_jjT7_P12ihipStream_tbENKUlT_T0_SH_SM_E_clISB_SB_SC_SC_EEDaS10_S11_SH_SM_EUlS10_E_NS1_11comp_targetILNS1_3genE5ELNS1_11target_archE942ELNS1_3gpuE9ELNS1_3repE0EEENS1_47radix_sort_onesweep_sort_config_static_selectorELNS0_4arch9wavefront6targetE0EEEvSH_.num_agpr, 0
	.set _ZN7rocprim17ROCPRIM_400000_NS6detail17trampoline_kernelINS0_14default_configENS1_35radix_sort_onesweep_config_selectorI6__halfNS0_10empty_typeEEEZZNS1_29radix_sort_onesweep_iterationIS3_Lb1EPKS5_PS5_PS6_SC_mNS0_19identity_decomposerENS1_16block_id_wrapperIjLb0EEEEE10hipError_tT1_PNSt15iterator_traitsISH_E10value_typeET2_T3_PNSI_ISN_E10value_typeET4_T5_PSS_ST_PNS1_23onesweep_lookback_stateEbbT6_jjT7_P12ihipStream_tbENKUlT_T0_SH_SM_E_clISB_SB_SC_SC_EEDaS10_S11_SH_SM_EUlS10_E_NS1_11comp_targetILNS1_3genE5ELNS1_11target_archE942ELNS1_3gpuE9ELNS1_3repE0EEENS1_47radix_sort_onesweep_sort_config_static_selectorELNS0_4arch9wavefront6targetE0EEEvSH_.numbered_sgpr, 0
	.set _ZN7rocprim17ROCPRIM_400000_NS6detail17trampoline_kernelINS0_14default_configENS1_35radix_sort_onesweep_config_selectorI6__halfNS0_10empty_typeEEEZZNS1_29radix_sort_onesweep_iterationIS3_Lb1EPKS5_PS5_PS6_SC_mNS0_19identity_decomposerENS1_16block_id_wrapperIjLb0EEEEE10hipError_tT1_PNSt15iterator_traitsISH_E10value_typeET2_T3_PNSI_ISN_E10value_typeET4_T5_PSS_ST_PNS1_23onesweep_lookback_stateEbbT6_jjT7_P12ihipStream_tbENKUlT_T0_SH_SM_E_clISB_SB_SC_SC_EEDaS10_S11_SH_SM_EUlS10_E_NS1_11comp_targetILNS1_3genE5ELNS1_11target_archE942ELNS1_3gpuE9ELNS1_3repE0EEENS1_47radix_sort_onesweep_sort_config_static_selectorELNS0_4arch9wavefront6targetE0EEEvSH_.num_named_barrier, 0
	.set _ZN7rocprim17ROCPRIM_400000_NS6detail17trampoline_kernelINS0_14default_configENS1_35radix_sort_onesweep_config_selectorI6__halfNS0_10empty_typeEEEZZNS1_29radix_sort_onesweep_iterationIS3_Lb1EPKS5_PS5_PS6_SC_mNS0_19identity_decomposerENS1_16block_id_wrapperIjLb0EEEEE10hipError_tT1_PNSt15iterator_traitsISH_E10value_typeET2_T3_PNSI_ISN_E10value_typeET4_T5_PSS_ST_PNS1_23onesweep_lookback_stateEbbT6_jjT7_P12ihipStream_tbENKUlT_T0_SH_SM_E_clISB_SB_SC_SC_EEDaS10_S11_SH_SM_EUlS10_E_NS1_11comp_targetILNS1_3genE5ELNS1_11target_archE942ELNS1_3gpuE9ELNS1_3repE0EEENS1_47radix_sort_onesweep_sort_config_static_selectorELNS0_4arch9wavefront6targetE0EEEvSH_.private_seg_size, 0
	.set _ZN7rocprim17ROCPRIM_400000_NS6detail17trampoline_kernelINS0_14default_configENS1_35radix_sort_onesweep_config_selectorI6__halfNS0_10empty_typeEEEZZNS1_29radix_sort_onesweep_iterationIS3_Lb1EPKS5_PS5_PS6_SC_mNS0_19identity_decomposerENS1_16block_id_wrapperIjLb0EEEEE10hipError_tT1_PNSt15iterator_traitsISH_E10value_typeET2_T3_PNSI_ISN_E10value_typeET4_T5_PSS_ST_PNS1_23onesweep_lookback_stateEbbT6_jjT7_P12ihipStream_tbENKUlT_T0_SH_SM_E_clISB_SB_SC_SC_EEDaS10_S11_SH_SM_EUlS10_E_NS1_11comp_targetILNS1_3genE5ELNS1_11target_archE942ELNS1_3gpuE9ELNS1_3repE0EEENS1_47radix_sort_onesweep_sort_config_static_selectorELNS0_4arch9wavefront6targetE0EEEvSH_.uses_vcc, 0
	.set _ZN7rocprim17ROCPRIM_400000_NS6detail17trampoline_kernelINS0_14default_configENS1_35radix_sort_onesweep_config_selectorI6__halfNS0_10empty_typeEEEZZNS1_29radix_sort_onesweep_iterationIS3_Lb1EPKS5_PS5_PS6_SC_mNS0_19identity_decomposerENS1_16block_id_wrapperIjLb0EEEEE10hipError_tT1_PNSt15iterator_traitsISH_E10value_typeET2_T3_PNSI_ISN_E10value_typeET4_T5_PSS_ST_PNS1_23onesweep_lookback_stateEbbT6_jjT7_P12ihipStream_tbENKUlT_T0_SH_SM_E_clISB_SB_SC_SC_EEDaS10_S11_SH_SM_EUlS10_E_NS1_11comp_targetILNS1_3genE5ELNS1_11target_archE942ELNS1_3gpuE9ELNS1_3repE0EEENS1_47radix_sort_onesweep_sort_config_static_selectorELNS0_4arch9wavefront6targetE0EEEvSH_.uses_flat_scratch, 0
	.set _ZN7rocprim17ROCPRIM_400000_NS6detail17trampoline_kernelINS0_14default_configENS1_35radix_sort_onesweep_config_selectorI6__halfNS0_10empty_typeEEEZZNS1_29radix_sort_onesweep_iterationIS3_Lb1EPKS5_PS5_PS6_SC_mNS0_19identity_decomposerENS1_16block_id_wrapperIjLb0EEEEE10hipError_tT1_PNSt15iterator_traitsISH_E10value_typeET2_T3_PNSI_ISN_E10value_typeET4_T5_PSS_ST_PNS1_23onesweep_lookback_stateEbbT6_jjT7_P12ihipStream_tbENKUlT_T0_SH_SM_E_clISB_SB_SC_SC_EEDaS10_S11_SH_SM_EUlS10_E_NS1_11comp_targetILNS1_3genE5ELNS1_11target_archE942ELNS1_3gpuE9ELNS1_3repE0EEENS1_47radix_sort_onesweep_sort_config_static_selectorELNS0_4arch9wavefront6targetE0EEEvSH_.has_dyn_sized_stack, 0
	.set _ZN7rocprim17ROCPRIM_400000_NS6detail17trampoline_kernelINS0_14default_configENS1_35radix_sort_onesweep_config_selectorI6__halfNS0_10empty_typeEEEZZNS1_29radix_sort_onesweep_iterationIS3_Lb1EPKS5_PS5_PS6_SC_mNS0_19identity_decomposerENS1_16block_id_wrapperIjLb0EEEEE10hipError_tT1_PNSt15iterator_traitsISH_E10value_typeET2_T3_PNSI_ISN_E10value_typeET4_T5_PSS_ST_PNS1_23onesweep_lookback_stateEbbT6_jjT7_P12ihipStream_tbENKUlT_T0_SH_SM_E_clISB_SB_SC_SC_EEDaS10_S11_SH_SM_EUlS10_E_NS1_11comp_targetILNS1_3genE5ELNS1_11target_archE942ELNS1_3gpuE9ELNS1_3repE0EEENS1_47radix_sort_onesweep_sort_config_static_selectorELNS0_4arch9wavefront6targetE0EEEvSH_.has_recursion, 0
	.set _ZN7rocprim17ROCPRIM_400000_NS6detail17trampoline_kernelINS0_14default_configENS1_35radix_sort_onesweep_config_selectorI6__halfNS0_10empty_typeEEEZZNS1_29radix_sort_onesweep_iterationIS3_Lb1EPKS5_PS5_PS6_SC_mNS0_19identity_decomposerENS1_16block_id_wrapperIjLb0EEEEE10hipError_tT1_PNSt15iterator_traitsISH_E10value_typeET2_T3_PNSI_ISN_E10value_typeET4_T5_PSS_ST_PNS1_23onesweep_lookback_stateEbbT6_jjT7_P12ihipStream_tbENKUlT_T0_SH_SM_E_clISB_SB_SC_SC_EEDaS10_S11_SH_SM_EUlS10_E_NS1_11comp_targetILNS1_3genE5ELNS1_11target_archE942ELNS1_3gpuE9ELNS1_3repE0EEENS1_47radix_sort_onesweep_sort_config_static_selectorELNS0_4arch9wavefront6targetE0EEEvSH_.has_indirect_call, 0
	.section	.AMDGPU.csdata,"",@progbits
; Kernel info:
; codeLenInByte = 0
; TotalNumSgprs: 0
; NumVgprs: 0
; ScratchSize: 0
; MemoryBound: 0
; FloatMode: 240
; IeeeMode: 1
; LDSByteSize: 0 bytes/workgroup (compile time only)
; SGPRBlocks: 0
; VGPRBlocks: 0
; NumSGPRsForWavesPerEU: 1
; NumVGPRsForWavesPerEU: 1
; NamedBarCnt: 0
; Occupancy: 16
; WaveLimiterHint : 0
; COMPUTE_PGM_RSRC2:SCRATCH_EN: 0
; COMPUTE_PGM_RSRC2:USER_SGPR: 2
; COMPUTE_PGM_RSRC2:TRAP_HANDLER: 0
; COMPUTE_PGM_RSRC2:TGID_X_EN: 1
; COMPUTE_PGM_RSRC2:TGID_Y_EN: 0
; COMPUTE_PGM_RSRC2:TGID_Z_EN: 0
; COMPUTE_PGM_RSRC2:TIDIG_COMP_CNT: 0
	.section	.text._ZN7rocprim17ROCPRIM_400000_NS6detail17trampoline_kernelINS0_14default_configENS1_35radix_sort_onesweep_config_selectorI6__halfNS0_10empty_typeEEEZZNS1_29radix_sort_onesweep_iterationIS3_Lb1EPKS5_PS5_PS6_SC_mNS0_19identity_decomposerENS1_16block_id_wrapperIjLb0EEEEE10hipError_tT1_PNSt15iterator_traitsISH_E10value_typeET2_T3_PNSI_ISN_E10value_typeET4_T5_PSS_ST_PNS1_23onesweep_lookback_stateEbbT6_jjT7_P12ihipStream_tbENKUlT_T0_SH_SM_E_clISB_SB_SC_SC_EEDaS10_S11_SH_SM_EUlS10_E_NS1_11comp_targetILNS1_3genE2ELNS1_11target_archE906ELNS1_3gpuE6ELNS1_3repE0EEENS1_47radix_sort_onesweep_sort_config_static_selectorELNS0_4arch9wavefront6targetE0EEEvSH_,"axG",@progbits,_ZN7rocprim17ROCPRIM_400000_NS6detail17trampoline_kernelINS0_14default_configENS1_35radix_sort_onesweep_config_selectorI6__halfNS0_10empty_typeEEEZZNS1_29radix_sort_onesweep_iterationIS3_Lb1EPKS5_PS5_PS6_SC_mNS0_19identity_decomposerENS1_16block_id_wrapperIjLb0EEEEE10hipError_tT1_PNSt15iterator_traitsISH_E10value_typeET2_T3_PNSI_ISN_E10value_typeET4_T5_PSS_ST_PNS1_23onesweep_lookback_stateEbbT6_jjT7_P12ihipStream_tbENKUlT_T0_SH_SM_E_clISB_SB_SC_SC_EEDaS10_S11_SH_SM_EUlS10_E_NS1_11comp_targetILNS1_3genE2ELNS1_11target_archE906ELNS1_3gpuE6ELNS1_3repE0EEENS1_47radix_sort_onesweep_sort_config_static_selectorELNS0_4arch9wavefront6targetE0EEEvSH_,comdat
	.protected	_ZN7rocprim17ROCPRIM_400000_NS6detail17trampoline_kernelINS0_14default_configENS1_35radix_sort_onesweep_config_selectorI6__halfNS0_10empty_typeEEEZZNS1_29radix_sort_onesweep_iterationIS3_Lb1EPKS5_PS5_PS6_SC_mNS0_19identity_decomposerENS1_16block_id_wrapperIjLb0EEEEE10hipError_tT1_PNSt15iterator_traitsISH_E10value_typeET2_T3_PNSI_ISN_E10value_typeET4_T5_PSS_ST_PNS1_23onesweep_lookback_stateEbbT6_jjT7_P12ihipStream_tbENKUlT_T0_SH_SM_E_clISB_SB_SC_SC_EEDaS10_S11_SH_SM_EUlS10_E_NS1_11comp_targetILNS1_3genE2ELNS1_11target_archE906ELNS1_3gpuE6ELNS1_3repE0EEENS1_47radix_sort_onesweep_sort_config_static_selectorELNS0_4arch9wavefront6targetE0EEEvSH_ ; -- Begin function _ZN7rocprim17ROCPRIM_400000_NS6detail17trampoline_kernelINS0_14default_configENS1_35radix_sort_onesweep_config_selectorI6__halfNS0_10empty_typeEEEZZNS1_29radix_sort_onesweep_iterationIS3_Lb1EPKS5_PS5_PS6_SC_mNS0_19identity_decomposerENS1_16block_id_wrapperIjLb0EEEEE10hipError_tT1_PNSt15iterator_traitsISH_E10value_typeET2_T3_PNSI_ISN_E10value_typeET4_T5_PSS_ST_PNS1_23onesweep_lookback_stateEbbT6_jjT7_P12ihipStream_tbENKUlT_T0_SH_SM_E_clISB_SB_SC_SC_EEDaS10_S11_SH_SM_EUlS10_E_NS1_11comp_targetILNS1_3genE2ELNS1_11target_archE906ELNS1_3gpuE6ELNS1_3repE0EEENS1_47radix_sort_onesweep_sort_config_static_selectorELNS0_4arch9wavefront6targetE0EEEvSH_
	.globl	_ZN7rocprim17ROCPRIM_400000_NS6detail17trampoline_kernelINS0_14default_configENS1_35radix_sort_onesweep_config_selectorI6__halfNS0_10empty_typeEEEZZNS1_29radix_sort_onesweep_iterationIS3_Lb1EPKS5_PS5_PS6_SC_mNS0_19identity_decomposerENS1_16block_id_wrapperIjLb0EEEEE10hipError_tT1_PNSt15iterator_traitsISH_E10value_typeET2_T3_PNSI_ISN_E10value_typeET4_T5_PSS_ST_PNS1_23onesweep_lookback_stateEbbT6_jjT7_P12ihipStream_tbENKUlT_T0_SH_SM_E_clISB_SB_SC_SC_EEDaS10_S11_SH_SM_EUlS10_E_NS1_11comp_targetILNS1_3genE2ELNS1_11target_archE906ELNS1_3gpuE6ELNS1_3repE0EEENS1_47radix_sort_onesweep_sort_config_static_selectorELNS0_4arch9wavefront6targetE0EEEvSH_
	.p2align	8
	.type	_ZN7rocprim17ROCPRIM_400000_NS6detail17trampoline_kernelINS0_14default_configENS1_35radix_sort_onesweep_config_selectorI6__halfNS0_10empty_typeEEEZZNS1_29radix_sort_onesweep_iterationIS3_Lb1EPKS5_PS5_PS6_SC_mNS0_19identity_decomposerENS1_16block_id_wrapperIjLb0EEEEE10hipError_tT1_PNSt15iterator_traitsISH_E10value_typeET2_T3_PNSI_ISN_E10value_typeET4_T5_PSS_ST_PNS1_23onesweep_lookback_stateEbbT6_jjT7_P12ihipStream_tbENKUlT_T0_SH_SM_E_clISB_SB_SC_SC_EEDaS10_S11_SH_SM_EUlS10_E_NS1_11comp_targetILNS1_3genE2ELNS1_11target_archE906ELNS1_3gpuE6ELNS1_3repE0EEENS1_47radix_sort_onesweep_sort_config_static_selectorELNS0_4arch9wavefront6targetE0EEEvSH_,@function
_ZN7rocprim17ROCPRIM_400000_NS6detail17trampoline_kernelINS0_14default_configENS1_35radix_sort_onesweep_config_selectorI6__halfNS0_10empty_typeEEEZZNS1_29radix_sort_onesweep_iterationIS3_Lb1EPKS5_PS5_PS6_SC_mNS0_19identity_decomposerENS1_16block_id_wrapperIjLb0EEEEE10hipError_tT1_PNSt15iterator_traitsISH_E10value_typeET2_T3_PNSI_ISN_E10value_typeET4_T5_PSS_ST_PNS1_23onesweep_lookback_stateEbbT6_jjT7_P12ihipStream_tbENKUlT_T0_SH_SM_E_clISB_SB_SC_SC_EEDaS10_S11_SH_SM_EUlS10_E_NS1_11comp_targetILNS1_3genE2ELNS1_11target_archE906ELNS1_3gpuE6ELNS1_3repE0EEENS1_47radix_sort_onesweep_sort_config_static_selectorELNS0_4arch9wavefront6targetE0EEEvSH_: ; @_ZN7rocprim17ROCPRIM_400000_NS6detail17trampoline_kernelINS0_14default_configENS1_35radix_sort_onesweep_config_selectorI6__halfNS0_10empty_typeEEEZZNS1_29radix_sort_onesweep_iterationIS3_Lb1EPKS5_PS5_PS6_SC_mNS0_19identity_decomposerENS1_16block_id_wrapperIjLb0EEEEE10hipError_tT1_PNSt15iterator_traitsISH_E10value_typeET2_T3_PNSI_ISN_E10value_typeET4_T5_PSS_ST_PNS1_23onesweep_lookback_stateEbbT6_jjT7_P12ihipStream_tbENKUlT_T0_SH_SM_E_clISB_SB_SC_SC_EEDaS10_S11_SH_SM_EUlS10_E_NS1_11comp_targetILNS1_3genE2ELNS1_11target_archE906ELNS1_3gpuE6ELNS1_3repE0EEENS1_47radix_sort_onesweep_sort_config_static_selectorELNS0_4arch9wavefront6targetE0EEEvSH_
; %bb.0:
	.section	.rodata,"a",@progbits
	.p2align	6, 0x0
	.amdhsa_kernel _ZN7rocprim17ROCPRIM_400000_NS6detail17trampoline_kernelINS0_14default_configENS1_35radix_sort_onesweep_config_selectorI6__halfNS0_10empty_typeEEEZZNS1_29radix_sort_onesweep_iterationIS3_Lb1EPKS5_PS5_PS6_SC_mNS0_19identity_decomposerENS1_16block_id_wrapperIjLb0EEEEE10hipError_tT1_PNSt15iterator_traitsISH_E10value_typeET2_T3_PNSI_ISN_E10value_typeET4_T5_PSS_ST_PNS1_23onesweep_lookback_stateEbbT6_jjT7_P12ihipStream_tbENKUlT_T0_SH_SM_E_clISB_SB_SC_SC_EEDaS10_S11_SH_SM_EUlS10_E_NS1_11comp_targetILNS1_3genE2ELNS1_11target_archE906ELNS1_3gpuE6ELNS1_3repE0EEENS1_47radix_sort_onesweep_sort_config_static_selectorELNS0_4arch9wavefront6targetE0EEEvSH_
		.amdhsa_group_segment_fixed_size 0
		.amdhsa_private_segment_fixed_size 0
		.amdhsa_kernarg_size 88
		.amdhsa_user_sgpr_count 2
		.amdhsa_user_sgpr_dispatch_ptr 0
		.amdhsa_user_sgpr_queue_ptr 0
		.amdhsa_user_sgpr_kernarg_segment_ptr 1
		.amdhsa_user_sgpr_dispatch_id 0
		.amdhsa_user_sgpr_kernarg_preload_length 0
		.amdhsa_user_sgpr_kernarg_preload_offset 0
		.amdhsa_user_sgpr_private_segment_size 0
		.amdhsa_wavefront_size32 1
		.amdhsa_uses_dynamic_stack 0
		.amdhsa_enable_private_segment 0
		.amdhsa_system_sgpr_workgroup_id_x 1
		.amdhsa_system_sgpr_workgroup_id_y 0
		.amdhsa_system_sgpr_workgroup_id_z 0
		.amdhsa_system_sgpr_workgroup_info 0
		.amdhsa_system_vgpr_workitem_id 0
		.amdhsa_next_free_vgpr 1
		.amdhsa_next_free_sgpr 1
		.amdhsa_named_barrier_count 0
		.amdhsa_reserve_vcc 0
		.amdhsa_float_round_mode_32 0
		.amdhsa_float_round_mode_16_64 0
		.amdhsa_float_denorm_mode_32 3
		.amdhsa_float_denorm_mode_16_64 3
		.amdhsa_fp16_overflow 0
		.amdhsa_memory_ordered 1
		.amdhsa_forward_progress 1
		.amdhsa_inst_pref_size 0
		.amdhsa_round_robin_scheduling 0
		.amdhsa_exception_fp_ieee_invalid_op 0
		.amdhsa_exception_fp_denorm_src 0
		.amdhsa_exception_fp_ieee_div_zero 0
		.amdhsa_exception_fp_ieee_overflow 0
		.amdhsa_exception_fp_ieee_underflow 0
		.amdhsa_exception_fp_ieee_inexact 0
		.amdhsa_exception_int_div_zero 0
	.end_amdhsa_kernel
	.section	.text._ZN7rocprim17ROCPRIM_400000_NS6detail17trampoline_kernelINS0_14default_configENS1_35radix_sort_onesweep_config_selectorI6__halfNS0_10empty_typeEEEZZNS1_29radix_sort_onesweep_iterationIS3_Lb1EPKS5_PS5_PS6_SC_mNS0_19identity_decomposerENS1_16block_id_wrapperIjLb0EEEEE10hipError_tT1_PNSt15iterator_traitsISH_E10value_typeET2_T3_PNSI_ISN_E10value_typeET4_T5_PSS_ST_PNS1_23onesweep_lookback_stateEbbT6_jjT7_P12ihipStream_tbENKUlT_T0_SH_SM_E_clISB_SB_SC_SC_EEDaS10_S11_SH_SM_EUlS10_E_NS1_11comp_targetILNS1_3genE2ELNS1_11target_archE906ELNS1_3gpuE6ELNS1_3repE0EEENS1_47radix_sort_onesweep_sort_config_static_selectorELNS0_4arch9wavefront6targetE0EEEvSH_,"axG",@progbits,_ZN7rocprim17ROCPRIM_400000_NS6detail17trampoline_kernelINS0_14default_configENS1_35radix_sort_onesweep_config_selectorI6__halfNS0_10empty_typeEEEZZNS1_29radix_sort_onesweep_iterationIS3_Lb1EPKS5_PS5_PS6_SC_mNS0_19identity_decomposerENS1_16block_id_wrapperIjLb0EEEEE10hipError_tT1_PNSt15iterator_traitsISH_E10value_typeET2_T3_PNSI_ISN_E10value_typeET4_T5_PSS_ST_PNS1_23onesweep_lookback_stateEbbT6_jjT7_P12ihipStream_tbENKUlT_T0_SH_SM_E_clISB_SB_SC_SC_EEDaS10_S11_SH_SM_EUlS10_E_NS1_11comp_targetILNS1_3genE2ELNS1_11target_archE906ELNS1_3gpuE6ELNS1_3repE0EEENS1_47radix_sort_onesweep_sort_config_static_selectorELNS0_4arch9wavefront6targetE0EEEvSH_,comdat
.Lfunc_end2193:
	.size	_ZN7rocprim17ROCPRIM_400000_NS6detail17trampoline_kernelINS0_14default_configENS1_35radix_sort_onesweep_config_selectorI6__halfNS0_10empty_typeEEEZZNS1_29radix_sort_onesweep_iterationIS3_Lb1EPKS5_PS5_PS6_SC_mNS0_19identity_decomposerENS1_16block_id_wrapperIjLb0EEEEE10hipError_tT1_PNSt15iterator_traitsISH_E10value_typeET2_T3_PNSI_ISN_E10value_typeET4_T5_PSS_ST_PNS1_23onesweep_lookback_stateEbbT6_jjT7_P12ihipStream_tbENKUlT_T0_SH_SM_E_clISB_SB_SC_SC_EEDaS10_S11_SH_SM_EUlS10_E_NS1_11comp_targetILNS1_3genE2ELNS1_11target_archE906ELNS1_3gpuE6ELNS1_3repE0EEENS1_47radix_sort_onesweep_sort_config_static_selectorELNS0_4arch9wavefront6targetE0EEEvSH_, .Lfunc_end2193-_ZN7rocprim17ROCPRIM_400000_NS6detail17trampoline_kernelINS0_14default_configENS1_35radix_sort_onesweep_config_selectorI6__halfNS0_10empty_typeEEEZZNS1_29radix_sort_onesweep_iterationIS3_Lb1EPKS5_PS5_PS6_SC_mNS0_19identity_decomposerENS1_16block_id_wrapperIjLb0EEEEE10hipError_tT1_PNSt15iterator_traitsISH_E10value_typeET2_T3_PNSI_ISN_E10value_typeET4_T5_PSS_ST_PNS1_23onesweep_lookback_stateEbbT6_jjT7_P12ihipStream_tbENKUlT_T0_SH_SM_E_clISB_SB_SC_SC_EEDaS10_S11_SH_SM_EUlS10_E_NS1_11comp_targetILNS1_3genE2ELNS1_11target_archE906ELNS1_3gpuE6ELNS1_3repE0EEENS1_47radix_sort_onesweep_sort_config_static_selectorELNS0_4arch9wavefront6targetE0EEEvSH_
                                        ; -- End function
	.set _ZN7rocprim17ROCPRIM_400000_NS6detail17trampoline_kernelINS0_14default_configENS1_35radix_sort_onesweep_config_selectorI6__halfNS0_10empty_typeEEEZZNS1_29radix_sort_onesweep_iterationIS3_Lb1EPKS5_PS5_PS6_SC_mNS0_19identity_decomposerENS1_16block_id_wrapperIjLb0EEEEE10hipError_tT1_PNSt15iterator_traitsISH_E10value_typeET2_T3_PNSI_ISN_E10value_typeET4_T5_PSS_ST_PNS1_23onesweep_lookback_stateEbbT6_jjT7_P12ihipStream_tbENKUlT_T0_SH_SM_E_clISB_SB_SC_SC_EEDaS10_S11_SH_SM_EUlS10_E_NS1_11comp_targetILNS1_3genE2ELNS1_11target_archE906ELNS1_3gpuE6ELNS1_3repE0EEENS1_47radix_sort_onesweep_sort_config_static_selectorELNS0_4arch9wavefront6targetE0EEEvSH_.num_vgpr, 0
	.set _ZN7rocprim17ROCPRIM_400000_NS6detail17trampoline_kernelINS0_14default_configENS1_35radix_sort_onesweep_config_selectorI6__halfNS0_10empty_typeEEEZZNS1_29radix_sort_onesweep_iterationIS3_Lb1EPKS5_PS5_PS6_SC_mNS0_19identity_decomposerENS1_16block_id_wrapperIjLb0EEEEE10hipError_tT1_PNSt15iterator_traitsISH_E10value_typeET2_T3_PNSI_ISN_E10value_typeET4_T5_PSS_ST_PNS1_23onesweep_lookback_stateEbbT6_jjT7_P12ihipStream_tbENKUlT_T0_SH_SM_E_clISB_SB_SC_SC_EEDaS10_S11_SH_SM_EUlS10_E_NS1_11comp_targetILNS1_3genE2ELNS1_11target_archE906ELNS1_3gpuE6ELNS1_3repE0EEENS1_47radix_sort_onesweep_sort_config_static_selectorELNS0_4arch9wavefront6targetE0EEEvSH_.num_agpr, 0
	.set _ZN7rocprim17ROCPRIM_400000_NS6detail17trampoline_kernelINS0_14default_configENS1_35radix_sort_onesweep_config_selectorI6__halfNS0_10empty_typeEEEZZNS1_29radix_sort_onesweep_iterationIS3_Lb1EPKS5_PS5_PS6_SC_mNS0_19identity_decomposerENS1_16block_id_wrapperIjLb0EEEEE10hipError_tT1_PNSt15iterator_traitsISH_E10value_typeET2_T3_PNSI_ISN_E10value_typeET4_T5_PSS_ST_PNS1_23onesweep_lookback_stateEbbT6_jjT7_P12ihipStream_tbENKUlT_T0_SH_SM_E_clISB_SB_SC_SC_EEDaS10_S11_SH_SM_EUlS10_E_NS1_11comp_targetILNS1_3genE2ELNS1_11target_archE906ELNS1_3gpuE6ELNS1_3repE0EEENS1_47radix_sort_onesweep_sort_config_static_selectorELNS0_4arch9wavefront6targetE0EEEvSH_.numbered_sgpr, 0
	.set _ZN7rocprim17ROCPRIM_400000_NS6detail17trampoline_kernelINS0_14default_configENS1_35radix_sort_onesweep_config_selectorI6__halfNS0_10empty_typeEEEZZNS1_29radix_sort_onesweep_iterationIS3_Lb1EPKS5_PS5_PS6_SC_mNS0_19identity_decomposerENS1_16block_id_wrapperIjLb0EEEEE10hipError_tT1_PNSt15iterator_traitsISH_E10value_typeET2_T3_PNSI_ISN_E10value_typeET4_T5_PSS_ST_PNS1_23onesweep_lookback_stateEbbT6_jjT7_P12ihipStream_tbENKUlT_T0_SH_SM_E_clISB_SB_SC_SC_EEDaS10_S11_SH_SM_EUlS10_E_NS1_11comp_targetILNS1_3genE2ELNS1_11target_archE906ELNS1_3gpuE6ELNS1_3repE0EEENS1_47radix_sort_onesweep_sort_config_static_selectorELNS0_4arch9wavefront6targetE0EEEvSH_.num_named_barrier, 0
	.set _ZN7rocprim17ROCPRIM_400000_NS6detail17trampoline_kernelINS0_14default_configENS1_35radix_sort_onesweep_config_selectorI6__halfNS0_10empty_typeEEEZZNS1_29radix_sort_onesweep_iterationIS3_Lb1EPKS5_PS5_PS6_SC_mNS0_19identity_decomposerENS1_16block_id_wrapperIjLb0EEEEE10hipError_tT1_PNSt15iterator_traitsISH_E10value_typeET2_T3_PNSI_ISN_E10value_typeET4_T5_PSS_ST_PNS1_23onesweep_lookback_stateEbbT6_jjT7_P12ihipStream_tbENKUlT_T0_SH_SM_E_clISB_SB_SC_SC_EEDaS10_S11_SH_SM_EUlS10_E_NS1_11comp_targetILNS1_3genE2ELNS1_11target_archE906ELNS1_3gpuE6ELNS1_3repE0EEENS1_47radix_sort_onesweep_sort_config_static_selectorELNS0_4arch9wavefront6targetE0EEEvSH_.private_seg_size, 0
	.set _ZN7rocprim17ROCPRIM_400000_NS6detail17trampoline_kernelINS0_14default_configENS1_35radix_sort_onesweep_config_selectorI6__halfNS0_10empty_typeEEEZZNS1_29radix_sort_onesweep_iterationIS3_Lb1EPKS5_PS5_PS6_SC_mNS0_19identity_decomposerENS1_16block_id_wrapperIjLb0EEEEE10hipError_tT1_PNSt15iterator_traitsISH_E10value_typeET2_T3_PNSI_ISN_E10value_typeET4_T5_PSS_ST_PNS1_23onesweep_lookback_stateEbbT6_jjT7_P12ihipStream_tbENKUlT_T0_SH_SM_E_clISB_SB_SC_SC_EEDaS10_S11_SH_SM_EUlS10_E_NS1_11comp_targetILNS1_3genE2ELNS1_11target_archE906ELNS1_3gpuE6ELNS1_3repE0EEENS1_47radix_sort_onesweep_sort_config_static_selectorELNS0_4arch9wavefront6targetE0EEEvSH_.uses_vcc, 0
	.set _ZN7rocprim17ROCPRIM_400000_NS6detail17trampoline_kernelINS0_14default_configENS1_35radix_sort_onesweep_config_selectorI6__halfNS0_10empty_typeEEEZZNS1_29radix_sort_onesweep_iterationIS3_Lb1EPKS5_PS5_PS6_SC_mNS0_19identity_decomposerENS1_16block_id_wrapperIjLb0EEEEE10hipError_tT1_PNSt15iterator_traitsISH_E10value_typeET2_T3_PNSI_ISN_E10value_typeET4_T5_PSS_ST_PNS1_23onesweep_lookback_stateEbbT6_jjT7_P12ihipStream_tbENKUlT_T0_SH_SM_E_clISB_SB_SC_SC_EEDaS10_S11_SH_SM_EUlS10_E_NS1_11comp_targetILNS1_3genE2ELNS1_11target_archE906ELNS1_3gpuE6ELNS1_3repE0EEENS1_47radix_sort_onesweep_sort_config_static_selectorELNS0_4arch9wavefront6targetE0EEEvSH_.uses_flat_scratch, 0
	.set _ZN7rocprim17ROCPRIM_400000_NS6detail17trampoline_kernelINS0_14default_configENS1_35radix_sort_onesweep_config_selectorI6__halfNS0_10empty_typeEEEZZNS1_29radix_sort_onesweep_iterationIS3_Lb1EPKS5_PS5_PS6_SC_mNS0_19identity_decomposerENS1_16block_id_wrapperIjLb0EEEEE10hipError_tT1_PNSt15iterator_traitsISH_E10value_typeET2_T3_PNSI_ISN_E10value_typeET4_T5_PSS_ST_PNS1_23onesweep_lookback_stateEbbT6_jjT7_P12ihipStream_tbENKUlT_T0_SH_SM_E_clISB_SB_SC_SC_EEDaS10_S11_SH_SM_EUlS10_E_NS1_11comp_targetILNS1_3genE2ELNS1_11target_archE906ELNS1_3gpuE6ELNS1_3repE0EEENS1_47radix_sort_onesweep_sort_config_static_selectorELNS0_4arch9wavefront6targetE0EEEvSH_.has_dyn_sized_stack, 0
	.set _ZN7rocprim17ROCPRIM_400000_NS6detail17trampoline_kernelINS0_14default_configENS1_35radix_sort_onesweep_config_selectorI6__halfNS0_10empty_typeEEEZZNS1_29radix_sort_onesweep_iterationIS3_Lb1EPKS5_PS5_PS6_SC_mNS0_19identity_decomposerENS1_16block_id_wrapperIjLb0EEEEE10hipError_tT1_PNSt15iterator_traitsISH_E10value_typeET2_T3_PNSI_ISN_E10value_typeET4_T5_PSS_ST_PNS1_23onesweep_lookback_stateEbbT6_jjT7_P12ihipStream_tbENKUlT_T0_SH_SM_E_clISB_SB_SC_SC_EEDaS10_S11_SH_SM_EUlS10_E_NS1_11comp_targetILNS1_3genE2ELNS1_11target_archE906ELNS1_3gpuE6ELNS1_3repE0EEENS1_47radix_sort_onesweep_sort_config_static_selectorELNS0_4arch9wavefront6targetE0EEEvSH_.has_recursion, 0
	.set _ZN7rocprim17ROCPRIM_400000_NS6detail17trampoline_kernelINS0_14default_configENS1_35radix_sort_onesweep_config_selectorI6__halfNS0_10empty_typeEEEZZNS1_29radix_sort_onesweep_iterationIS3_Lb1EPKS5_PS5_PS6_SC_mNS0_19identity_decomposerENS1_16block_id_wrapperIjLb0EEEEE10hipError_tT1_PNSt15iterator_traitsISH_E10value_typeET2_T3_PNSI_ISN_E10value_typeET4_T5_PSS_ST_PNS1_23onesweep_lookback_stateEbbT6_jjT7_P12ihipStream_tbENKUlT_T0_SH_SM_E_clISB_SB_SC_SC_EEDaS10_S11_SH_SM_EUlS10_E_NS1_11comp_targetILNS1_3genE2ELNS1_11target_archE906ELNS1_3gpuE6ELNS1_3repE0EEENS1_47radix_sort_onesweep_sort_config_static_selectorELNS0_4arch9wavefront6targetE0EEEvSH_.has_indirect_call, 0
	.section	.AMDGPU.csdata,"",@progbits
; Kernel info:
; codeLenInByte = 0
; TotalNumSgprs: 0
; NumVgprs: 0
; ScratchSize: 0
; MemoryBound: 0
; FloatMode: 240
; IeeeMode: 1
; LDSByteSize: 0 bytes/workgroup (compile time only)
; SGPRBlocks: 0
; VGPRBlocks: 0
; NumSGPRsForWavesPerEU: 1
; NumVGPRsForWavesPerEU: 1
; NamedBarCnt: 0
; Occupancy: 16
; WaveLimiterHint : 0
; COMPUTE_PGM_RSRC2:SCRATCH_EN: 0
; COMPUTE_PGM_RSRC2:USER_SGPR: 2
; COMPUTE_PGM_RSRC2:TRAP_HANDLER: 0
; COMPUTE_PGM_RSRC2:TGID_X_EN: 1
; COMPUTE_PGM_RSRC2:TGID_Y_EN: 0
; COMPUTE_PGM_RSRC2:TGID_Z_EN: 0
; COMPUTE_PGM_RSRC2:TIDIG_COMP_CNT: 0
	.section	.text._ZN7rocprim17ROCPRIM_400000_NS6detail17trampoline_kernelINS0_14default_configENS1_35radix_sort_onesweep_config_selectorI6__halfNS0_10empty_typeEEEZZNS1_29radix_sort_onesweep_iterationIS3_Lb1EPKS5_PS5_PS6_SC_mNS0_19identity_decomposerENS1_16block_id_wrapperIjLb0EEEEE10hipError_tT1_PNSt15iterator_traitsISH_E10value_typeET2_T3_PNSI_ISN_E10value_typeET4_T5_PSS_ST_PNS1_23onesweep_lookback_stateEbbT6_jjT7_P12ihipStream_tbENKUlT_T0_SH_SM_E_clISB_SB_SC_SC_EEDaS10_S11_SH_SM_EUlS10_E_NS1_11comp_targetILNS1_3genE4ELNS1_11target_archE910ELNS1_3gpuE8ELNS1_3repE0EEENS1_47radix_sort_onesweep_sort_config_static_selectorELNS0_4arch9wavefront6targetE0EEEvSH_,"axG",@progbits,_ZN7rocprim17ROCPRIM_400000_NS6detail17trampoline_kernelINS0_14default_configENS1_35radix_sort_onesweep_config_selectorI6__halfNS0_10empty_typeEEEZZNS1_29radix_sort_onesweep_iterationIS3_Lb1EPKS5_PS5_PS6_SC_mNS0_19identity_decomposerENS1_16block_id_wrapperIjLb0EEEEE10hipError_tT1_PNSt15iterator_traitsISH_E10value_typeET2_T3_PNSI_ISN_E10value_typeET4_T5_PSS_ST_PNS1_23onesweep_lookback_stateEbbT6_jjT7_P12ihipStream_tbENKUlT_T0_SH_SM_E_clISB_SB_SC_SC_EEDaS10_S11_SH_SM_EUlS10_E_NS1_11comp_targetILNS1_3genE4ELNS1_11target_archE910ELNS1_3gpuE8ELNS1_3repE0EEENS1_47radix_sort_onesweep_sort_config_static_selectorELNS0_4arch9wavefront6targetE0EEEvSH_,comdat
	.protected	_ZN7rocprim17ROCPRIM_400000_NS6detail17trampoline_kernelINS0_14default_configENS1_35radix_sort_onesweep_config_selectorI6__halfNS0_10empty_typeEEEZZNS1_29radix_sort_onesweep_iterationIS3_Lb1EPKS5_PS5_PS6_SC_mNS0_19identity_decomposerENS1_16block_id_wrapperIjLb0EEEEE10hipError_tT1_PNSt15iterator_traitsISH_E10value_typeET2_T3_PNSI_ISN_E10value_typeET4_T5_PSS_ST_PNS1_23onesweep_lookback_stateEbbT6_jjT7_P12ihipStream_tbENKUlT_T0_SH_SM_E_clISB_SB_SC_SC_EEDaS10_S11_SH_SM_EUlS10_E_NS1_11comp_targetILNS1_3genE4ELNS1_11target_archE910ELNS1_3gpuE8ELNS1_3repE0EEENS1_47radix_sort_onesweep_sort_config_static_selectorELNS0_4arch9wavefront6targetE0EEEvSH_ ; -- Begin function _ZN7rocprim17ROCPRIM_400000_NS6detail17trampoline_kernelINS0_14default_configENS1_35radix_sort_onesweep_config_selectorI6__halfNS0_10empty_typeEEEZZNS1_29radix_sort_onesweep_iterationIS3_Lb1EPKS5_PS5_PS6_SC_mNS0_19identity_decomposerENS1_16block_id_wrapperIjLb0EEEEE10hipError_tT1_PNSt15iterator_traitsISH_E10value_typeET2_T3_PNSI_ISN_E10value_typeET4_T5_PSS_ST_PNS1_23onesweep_lookback_stateEbbT6_jjT7_P12ihipStream_tbENKUlT_T0_SH_SM_E_clISB_SB_SC_SC_EEDaS10_S11_SH_SM_EUlS10_E_NS1_11comp_targetILNS1_3genE4ELNS1_11target_archE910ELNS1_3gpuE8ELNS1_3repE0EEENS1_47radix_sort_onesweep_sort_config_static_selectorELNS0_4arch9wavefront6targetE0EEEvSH_
	.globl	_ZN7rocprim17ROCPRIM_400000_NS6detail17trampoline_kernelINS0_14default_configENS1_35radix_sort_onesweep_config_selectorI6__halfNS0_10empty_typeEEEZZNS1_29radix_sort_onesweep_iterationIS3_Lb1EPKS5_PS5_PS6_SC_mNS0_19identity_decomposerENS1_16block_id_wrapperIjLb0EEEEE10hipError_tT1_PNSt15iterator_traitsISH_E10value_typeET2_T3_PNSI_ISN_E10value_typeET4_T5_PSS_ST_PNS1_23onesweep_lookback_stateEbbT6_jjT7_P12ihipStream_tbENKUlT_T0_SH_SM_E_clISB_SB_SC_SC_EEDaS10_S11_SH_SM_EUlS10_E_NS1_11comp_targetILNS1_3genE4ELNS1_11target_archE910ELNS1_3gpuE8ELNS1_3repE0EEENS1_47radix_sort_onesweep_sort_config_static_selectorELNS0_4arch9wavefront6targetE0EEEvSH_
	.p2align	8
	.type	_ZN7rocprim17ROCPRIM_400000_NS6detail17trampoline_kernelINS0_14default_configENS1_35radix_sort_onesweep_config_selectorI6__halfNS0_10empty_typeEEEZZNS1_29radix_sort_onesweep_iterationIS3_Lb1EPKS5_PS5_PS6_SC_mNS0_19identity_decomposerENS1_16block_id_wrapperIjLb0EEEEE10hipError_tT1_PNSt15iterator_traitsISH_E10value_typeET2_T3_PNSI_ISN_E10value_typeET4_T5_PSS_ST_PNS1_23onesweep_lookback_stateEbbT6_jjT7_P12ihipStream_tbENKUlT_T0_SH_SM_E_clISB_SB_SC_SC_EEDaS10_S11_SH_SM_EUlS10_E_NS1_11comp_targetILNS1_3genE4ELNS1_11target_archE910ELNS1_3gpuE8ELNS1_3repE0EEENS1_47radix_sort_onesweep_sort_config_static_selectorELNS0_4arch9wavefront6targetE0EEEvSH_,@function
_ZN7rocprim17ROCPRIM_400000_NS6detail17trampoline_kernelINS0_14default_configENS1_35radix_sort_onesweep_config_selectorI6__halfNS0_10empty_typeEEEZZNS1_29radix_sort_onesweep_iterationIS3_Lb1EPKS5_PS5_PS6_SC_mNS0_19identity_decomposerENS1_16block_id_wrapperIjLb0EEEEE10hipError_tT1_PNSt15iterator_traitsISH_E10value_typeET2_T3_PNSI_ISN_E10value_typeET4_T5_PSS_ST_PNS1_23onesweep_lookback_stateEbbT6_jjT7_P12ihipStream_tbENKUlT_T0_SH_SM_E_clISB_SB_SC_SC_EEDaS10_S11_SH_SM_EUlS10_E_NS1_11comp_targetILNS1_3genE4ELNS1_11target_archE910ELNS1_3gpuE8ELNS1_3repE0EEENS1_47radix_sort_onesweep_sort_config_static_selectorELNS0_4arch9wavefront6targetE0EEEvSH_: ; @_ZN7rocprim17ROCPRIM_400000_NS6detail17trampoline_kernelINS0_14default_configENS1_35radix_sort_onesweep_config_selectorI6__halfNS0_10empty_typeEEEZZNS1_29radix_sort_onesweep_iterationIS3_Lb1EPKS5_PS5_PS6_SC_mNS0_19identity_decomposerENS1_16block_id_wrapperIjLb0EEEEE10hipError_tT1_PNSt15iterator_traitsISH_E10value_typeET2_T3_PNSI_ISN_E10value_typeET4_T5_PSS_ST_PNS1_23onesweep_lookback_stateEbbT6_jjT7_P12ihipStream_tbENKUlT_T0_SH_SM_E_clISB_SB_SC_SC_EEDaS10_S11_SH_SM_EUlS10_E_NS1_11comp_targetILNS1_3genE4ELNS1_11target_archE910ELNS1_3gpuE8ELNS1_3repE0EEENS1_47radix_sort_onesweep_sort_config_static_selectorELNS0_4arch9wavefront6targetE0EEEvSH_
; %bb.0:
	.section	.rodata,"a",@progbits
	.p2align	6, 0x0
	.amdhsa_kernel _ZN7rocprim17ROCPRIM_400000_NS6detail17trampoline_kernelINS0_14default_configENS1_35radix_sort_onesweep_config_selectorI6__halfNS0_10empty_typeEEEZZNS1_29radix_sort_onesweep_iterationIS3_Lb1EPKS5_PS5_PS6_SC_mNS0_19identity_decomposerENS1_16block_id_wrapperIjLb0EEEEE10hipError_tT1_PNSt15iterator_traitsISH_E10value_typeET2_T3_PNSI_ISN_E10value_typeET4_T5_PSS_ST_PNS1_23onesweep_lookback_stateEbbT6_jjT7_P12ihipStream_tbENKUlT_T0_SH_SM_E_clISB_SB_SC_SC_EEDaS10_S11_SH_SM_EUlS10_E_NS1_11comp_targetILNS1_3genE4ELNS1_11target_archE910ELNS1_3gpuE8ELNS1_3repE0EEENS1_47radix_sort_onesweep_sort_config_static_selectorELNS0_4arch9wavefront6targetE0EEEvSH_
		.amdhsa_group_segment_fixed_size 0
		.amdhsa_private_segment_fixed_size 0
		.amdhsa_kernarg_size 88
		.amdhsa_user_sgpr_count 2
		.amdhsa_user_sgpr_dispatch_ptr 0
		.amdhsa_user_sgpr_queue_ptr 0
		.amdhsa_user_sgpr_kernarg_segment_ptr 1
		.amdhsa_user_sgpr_dispatch_id 0
		.amdhsa_user_sgpr_kernarg_preload_length 0
		.amdhsa_user_sgpr_kernarg_preload_offset 0
		.amdhsa_user_sgpr_private_segment_size 0
		.amdhsa_wavefront_size32 1
		.amdhsa_uses_dynamic_stack 0
		.amdhsa_enable_private_segment 0
		.amdhsa_system_sgpr_workgroup_id_x 1
		.amdhsa_system_sgpr_workgroup_id_y 0
		.amdhsa_system_sgpr_workgroup_id_z 0
		.amdhsa_system_sgpr_workgroup_info 0
		.amdhsa_system_vgpr_workitem_id 0
		.amdhsa_next_free_vgpr 1
		.amdhsa_next_free_sgpr 1
		.amdhsa_named_barrier_count 0
		.amdhsa_reserve_vcc 0
		.amdhsa_float_round_mode_32 0
		.amdhsa_float_round_mode_16_64 0
		.amdhsa_float_denorm_mode_32 3
		.amdhsa_float_denorm_mode_16_64 3
		.amdhsa_fp16_overflow 0
		.amdhsa_memory_ordered 1
		.amdhsa_forward_progress 1
		.amdhsa_inst_pref_size 0
		.amdhsa_round_robin_scheduling 0
		.amdhsa_exception_fp_ieee_invalid_op 0
		.amdhsa_exception_fp_denorm_src 0
		.amdhsa_exception_fp_ieee_div_zero 0
		.amdhsa_exception_fp_ieee_overflow 0
		.amdhsa_exception_fp_ieee_underflow 0
		.amdhsa_exception_fp_ieee_inexact 0
		.amdhsa_exception_int_div_zero 0
	.end_amdhsa_kernel
	.section	.text._ZN7rocprim17ROCPRIM_400000_NS6detail17trampoline_kernelINS0_14default_configENS1_35radix_sort_onesweep_config_selectorI6__halfNS0_10empty_typeEEEZZNS1_29radix_sort_onesweep_iterationIS3_Lb1EPKS5_PS5_PS6_SC_mNS0_19identity_decomposerENS1_16block_id_wrapperIjLb0EEEEE10hipError_tT1_PNSt15iterator_traitsISH_E10value_typeET2_T3_PNSI_ISN_E10value_typeET4_T5_PSS_ST_PNS1_23onesweep_lookback_stateEbbT6_jjT7_P12ihipStream_tbENKUlT_T0_SH_SM_E_clISB_SB_SC_SC_EEDaS10_S11_SH_SM_EUlS10_E_NS1_11comp_targetILNS1_3genE4ELNS1_11target_archE910ELNS1_3gpuE8ELNS1_3repE0EEENS1_47radix_sort_onesweep_sort_config_static_selectorELNS0_4arch9wavefront6targetE0EEEvSH_,"axG",@progbits,_ZN7rocprim17ROCPRIM_400000_NS6detail17trampoline_kernelINS0_14default_configENS1_35radix_sort_onesweep_config_selectorI6__halfNS0_10empty_typeEEEZZNS1_29radix_sort_onesweep_iterationIS3_Lb1EPKS5_PS5_PS6_SC_mNS0_19identity_decomposerENS1_16block_id_wrapperIjLb0EEEEE10hipError_tT1_PNSt15iterator_traitsISH_E10value_typeET2_T3_PNSI_ISN_E10value_typeET4_T5_PSS_ST_PNS1_23onesweep_lookback_stateEbbT6_jjT7_P12ihipStream_tbENKUlT_T0_SH_SM_E_clISB_SB_SC_SC_EEDaS10_S11_SH_SM_EUlS10_E_NS1_11comp_targetILNS1_3genE4ELNS1_11target_archE910ELNS1_3gpuE8ELNS1_3repE0EEENS1_47radix_sort_onesweep_sort_config_static_selectorELNS0_4arch9wavefront6targetE0EEEvSH_,comdat
.Lfunc_end2194:
	.size	_ZN7rocprim17ROCPRIM_400000_NS6detail17trampoline_kernelINS0_14default_configENS1_35radix_sort_onesweep_config_selectorI6__halfNS0_10empty_typeEEEZZNS1_29radix_sort_onesweep_iterationIS3_Lb1EPKS5_PS5_PS6_SC_mNS0_19identity_decomposerENS1_16block_id_wrapperIjLb0EEEEE10hipError_tT1_PNSt15iterator_traitsISH_E10value_typeET2_T3_PNSI_ISN_E10value_typeET4_T5_PSS_ST_PNS1_23onesweep_lookback_stateEbbT6_jjT7_P12ihipStream_tbENKUlT_T0_SH_SM_E_clISB_SB_SC_SC_EEDaS10_S11_SH_SM_EUlS10_E_NS1_11comp_targetILNS1_3genE4ELNS1_11target_archE910ELNS1_3gpuE8ELNS1_3repE0EEENS1_47radix_sort_onesweep_sort_config_static_selectorELNS0_4arch9wavefront6targetE0EEEvSH_, .Lfunc_end2194-_ZN7rocprim17ROCPRIM_400000_NS6detail17trampoline_kernelINS0_14default_configENS1_35radix_sort_onesweep_config_selectorI6__halfNS0_10empty_typeEEEZZNS1_29radix_sort_onesweep_iterationIS3_Lb1EPKS5_PS5_PS6_SC_mNS0_19identity_decomposerENS1_16block_id_wrapperIjLb0EEEEE10hipError_tT1_PNSt15iterator_traitsISH_E10value_typeET2_T3_PNSI_ISN_E10value_typeET4_T5_PSS_ST_PNS1_23onesweep_lookback_stateEbbT6_jjT7_P12ihipStream_tbENKUlT_T0_SH_SM_E_clISB_SB_SC_SC_EEDaS10_S11_SH_SM_EUlS10_E_NS1_11comp_targetILNS1_3genE4ELNS1_11target_archE910ELNS1_3gpuE8ELNS1_3repE0EEENS1_47radix_sort_onesweep_sort_config_static_selectorELNS0_4arch9wavefront6targetE0EEEvSH_
                                        ; -- End function
	.set _ZN7rocprim17ROCPRIM_400000_NS6detail17trampoline_kernelINS0_14default_configENS1_35radix_sort_onesweep_config_selectorI6__halfNS0_10empty_typeEEEZZNS1_29radix_sort_onesweep_iterationIS3_Lb1EPKS5_PS5_PS6_SC_mNS0_19identity_decomposerENS1_16block_id_wrapperIjLb0EEEEE10hipError_tT1_PNSt15iterator_traitsISH_E10value_typeET2_T3_PNSI_ISN_E10value_typeET4_T5_PSS_ST_PNS1_23onesweep_lookback_stateEbbT6_jjT7_P12ihipStream_tbENKUlT_T0_SH_SM_E_clISB_SB_SC_SC_EEDaS10_S11_SH_SM_EUlS10_E_NS1_11comp_targetILNS1_3genE4ELNS1_11target_archE910ELNS1_3gpuE8ELNS1_3repE0EEENS1_47radix_sort_onesweep_sort_config_static_selectorELNS0_4arch9wavefront6targetE0EEEvSH_.num_vgpr, 0
	.set _ZN7rocprim17ROCPRIM_400000_NS6detail17trampoline_kernelINS0_14default_configENS1_35radix_sort_onesweep_config_selectorI6__halfNS0_10empty_typeEEEZZNS1_29radix_sort_onesweep_iterationIS3_Lb1EPKS5_PS5_PS6_SC_mNS0_19identity_decomposerENS1_16block_id_wrapperIjLb0EEEEE10hipError_tT1_PNSt15iterator_traitsISH_E10value_typeET2_T3_PNSI_ISN_E10value_typeET4_T5_PSS_ST_PNS1_23onesweep_lookback_stateEbbT6_jjT7_P12ihipStream_tbENKUlT_T0_SH_SM_E_clISB_SB_SC_SC_EEDaS10_S11_SH_SM_EUlS10_E_NS1_11comp_targetILNS1_3genE4ELNS1_11target_archE910ELNS1_3gpuE8ELNS1_3repE0EEENS1_47radix_sort_onesweep_sort_config_static_selectorELNS0_4arch9wavefront6targetE0EEEvSH_.num_agpr, 0
	.set _ZN7rocprim17ROCPRIM_400000_NS6detail17trampoline_kernelINS0_14default_configENS1_35radix_sort_onesweep_config_selectorI6__halfNS0_10empty_typeEEEZZNS1_29radix_sort_onesweep_iterationIS3_Lb1EPKS5_PS5_PS6_SC_mNS0_19identity_decomposerENS1_16block_id_wrapperIjLb0EEEEE10hipError_tT1_PNSt15iterator_traitsISH_E10value_typeET2_T3_PNSI_ISN_E10value_typeET4_T5_PSS_ST_PNS1_23onesweep_lookback_stateEbbT6_jjT7_P12ihipStream_tbENKUlT_T0_SH_SM_E_clISB_SB_SC_SC_EEDaS10_S11_SH_SM_EUlS10_E_NS1_11comp_targetILNS1_3genE4ELNS1_11target_archE910ELNS1_3gpuE8ELNS1_3repE0EEENS1_47radix_sort_onesweep_sort_config_static_selectorELNS0_4arch9wavefront6targetE0EEEvSH_.numbered_sgpr, 0
	.set _ZN7rocprim17ROCPRIM_400000_NS6detail17trampoline_kernelINS0_14default_configENS1_35radix_sort_onesweep_config_selectorI6__halfNS0_10empty_typeEEEZZNS1_29radix_sort_onesweep_iterationIS3_Lb1EPKS5_PS5_PS6_SC_mNS0_19identity_decomposerENS1_16block_id_wrapperIjLb0EEEEE10hipError_tT1_PNSt15iterator_traitsISH_E10value_typeET2_T3_PNSI_ISN_E10value_typeET4_T5_PSS_ST_PNS1_23onesweep_lookback_stateEbbT6_jjT7_P12ihipStream_tbENKUlT_T0_SH_SM_E_clISB_SB_SC_SC_EEDaS10_S11_SH_SM_EUlS10_E_NS1_11comp_targetILNS1_3genE4ELNS1_11target_archE910ELNS1_3gpuE8ELNS1_3repE0EEENS1_47radix_sort_onesweep_sort_config_static_selectorELNS0_4arch9wavefront6targetE0EEEvSH_.num_named_barrier, 0
	.set _ZN7rocprim17ROCPRIM_400000_NS6detail17trampoline_kernelINS0_14default_configENS1_35radix_sort_onesweep_config_selectorI6__halfNS0_10empty_typeEEEZZNS1_29radix_sort_onesweep_iterationIS3_Lb1EPKS5_PS5_PS6_SC_mNS0_19identity_decomposerENS1_16block_id_wrapperIjLb0EEEEE10hipError_tT1_PNSt15iterator_traitsISH_E10value_typeET2_T3_PNSI_ISN_E10value_typeET4_T5_PSS_ST_PNS1_23onesweep_lookback_stateEbbT6_jjT7_P12ihipStream_tbENKUlT_T0_SH_SM_E_clISB_SB_SC_SC_EEDaS10_S11_SH_SM_EUlS10_E_NS1_11comp_targetILNS1_3genE4ELNS1_11target_archE910ELNS1_3gpuE8ELNS1_3repE0EEENS1_47radix_sort_onesweep_sort_config_static_selectorELNS0_4arch9wavefront6targetE0EEEvSH_.private_seg_size, 0
	.set _ZN7rocprim17ROCPRIM_400000_NS6detail17trampoline_kernelINS0_14default_configENS1_35radix_sort_onesweep_config_selectorI6__halfNS0_10empty_typeEEEZZNS1_29radix_sort_onesweep_iterationIS3_Lb1EPKS5_PS5_PS6_SC_mNS0_19identity_decomposerENS1_16block_id_wrapperIjLb0EEEEE10hipError_tT1_PNSt15iterator_traitsISH_E10value_typeET2_T3_PNSI_ISN_E10value_typeET4_T5_PSS_ST_PNS1_23onesweep_lookback_stateEbbT6_jjT7_P12ihipStream_tbENKUlT_T0_SH_SM_E_clISB_SB_SC_SC_EEDaS10_S11_SH_SM_EUlS10_E_NS1_11comp_targetILNS1_3genE4ELNS1_11target_archE910ELNS1_3gpuE8ELNS1_3repE0EEENS1_47radix_sort_onesweep_sort_config_static_selectorELNS0_4arch9wavefront6targetE0EEEvSH_.uses_vcc, 0
	.set _ZN7rocprim17ROCPRIM_400000_NS6detail17trampoline_kernelINS0_14default_configENS1_35radix_sort_onesweep_config_selectorI6__halfNS0_10empty_typeEEEZZNS1_29radix_sort_onesweep_iterationIS3_Lb1EPKS5_PS5_PS6_SC_mNS0_19identity_decomposerENS1_16block_id_wrapperIjLb0EEEEE10hipError_tT1_PNSt15iterator_traitsISH_E10value_typeET2_T3_PNSI_ISN_E10value_typeET4_T5_PSS_ST_PNS1_23onesweep_lookback_stateEbbT6_jjT7_P12ihipStream_tbENKUlT_T0_SH_SM_E_clISB_SB_SC_SC_EEDaS10_S11_SH_SM_EUlS10_E_NS1_11comp_targetILNS1_3genE4ELNS1_11target_archE910ELNS1_3gpuE8ELNS1_3repE0EEENS1_47radix_sort_onesweep_sort_config_static_selectorELNS0_4arch9wavefront6targetE0EEEvSH_.uses_flat_scratch, 0
	.set _ZN7rocprim17ROCPRIM_400000_NS6detail17trampoline_kernelINS0_14default_configENS1_35radix_sort_onesweep_config_selectorI6__halfNS0_10empty_typeEEEZZNS1_29radix_sort_onesweep_iterationIS3_Lb1EPKS5_PS5_PS6_SC_mNS0_19identity_decomposerENS1_16block_id_wrapperIjLb0EEEEE10hipError_tT1_PNSt15iterator_traitsISH_E10value_typeET2_T3_PNSI_ISN_E10value_typeET4_T5_PSS_ST_PNS1_23onesweep_lookback_stateEbbT6_jjT7_P12ihipStream_tbENKUlT_T0_SH_SM_E_clISB_SB_SC_SC_EEDaS10_S11_SH_SM_EUlS10_E_NS1_11comp_targetILNS1_3genE4ELNS1_11target_archE910ELNS1_3gpuE8ELNS1_3repE0EEENS1_47radix_sort_onesweep_sort_config_static_selectorELNS0_4arch9wavefront6targetE0EEEvSH_.has_dyn_sized_stack, 0
	.set _ZN7rocprim17ROCPRIM_400000_NS6detail17trampoline_kernelINS0_14default_configENS1_35radix_sort_onesweep_config_selectorI6__halfNS0_10empty_typeEEEZZNS1_29radix_sort_onesweep_iterationIS3_Lb1EPKS5_PS5_PS6_SC_mNS0_19identity_decomposerENS1_16block_id_wrapperIjLb0EEEEE10hipError_tT1_PNSt15iterator_traitsISH_E10value_typeET2_T3_PNSI_ISN_E10value_typeET4_T5_PSS_ST_PNS1_23onesweep_lookback_stateEbbT6_jjT7_P12ihipStream_tbENKUlT_T0_SH_SM_E_clISB_SB_SC_SC_EEDaS10_S11_SH_SM_EUlS10_E_NS1_11comp_targetILNS1_3genE4ELNS1_11target_archE910ELNS1_3gpuE8ELNS1_3repE0EEENS1_47radix_sort_onesweep_sort_config_static_selectorELNS0_4arch9wavefront6targetE0EEEvSH_.has_recursion, 0
	.set _ZN7rocprim17ROCPRIM_400000_NS6detail17trampoline_kernelINS0_14default_configENS1_35radix_sort_onesweep_config_selectorI6__halfNS0_10empty_typeEEEZZNS1_29radix_sort_onesweep_iterationIS3_Lb1EPKS5_PS5_PS6_SC_mNS0_19identity_decomposerENS1_16block_id_wrapperIjLb0EEEEE10hipError_tT1_PNSt15iterator_traitsISH_E10value_typeET2_T3_PNSI_ISN_E10value_typeET4_T5_PSS_ST_PNS1_23onesweep_lookback_stateEbbT6_jjT7_P12ihipStream_tbENKUlT_T0_SH_SM_E_clISB_SB_SC_SC_EEDaS10_S11_SH_SM_EUlS10_E_NS1_11comp_targetILNS1_3genE4ELNS1_11target_archE910ELNS1_3gpuE8ELNS1_3repE0EEENS1_47radix_sort_onesweep_sort_config_static_selectorELNS0_4arch9wavefront6targetE0EEEvSH_.has_indirect_call, 0
	.section	.AMDGPU.csdata,"",@progbits
; Kernel info:
; codeLenInByte = 0
; TotalNumSgprs: 0
; NumVgprs: 0
; ScratchSize: 0
; MemoryBound: 0
; FloatMode: 240
; IeeeMode: 1
; LDSByteSize: 0 bytes/workgroup (compile time only)
; SGPRBlocks: 0
; VGPRBlocks: 0
; NumSGPRsForWavesPerEU: 1
; NumVGPRsForWavesPerEU: 1
; NamedBarCnt: 0
; Occupancy: 16
; WaveLimiterHint : 0
; COMPUTE_PGM_RSRC2:SCRATCH_EN: 0
; COMPUTE_PGM_RSRC2:USER_SGPR: 2
; COMPUTE_PGM_RSRC2:TRAP_HANDLER: 0
; COMPUTE_PGM_RSRC2:TGID_X_EN: 1
; COMPUTE_PGM_RSRC2:TGID_Y_EN: 0
; COMPUTE_PGM_RSRC2:TGID_Z_EN: 0
; COMPUTE_PGM_RSRC2:TIDIG_COMP_CNT: 0
	.section	.text._ZN7rocprim17ROCPRIM_400000_NS6detail17trampoline_kernelINS0_14default_configENS1_35radix_sort_onesweep_config_selectorI6__halfNS0_10empty_typeEEEZZNS1_29radix_sort_onesweep_iterationIS3_Lb1EPKS5_PS5_PS6_SC_mNS0_19identity_decomposerENS1_16block_id_wrapperIjLb0EEEEE10hipError_tT1_PNSt15iterator_traitsISH_E10value_typeET2_T3_PNSI_ISN_E10value_typeET4_T5_PSS_ST_PNS1_23onesweep_lookback_stateEbbT6_jjT7_P12ihipStream_tbENKUlT_T0_SH_SM_E_clISB_SB_SC_SC_EEDaS10_S11_SH_SM_EUlS10_E_NS1_11comp_targetILNS1_3genE3ELNS1_11target_archE908ELNS1_3gpuE7ELNS1_3repE0EEENS1_47radix_sort_onesweep_sort_config_static_selectorELNS0_4arch9wavefront6targetE0EEEvSH_,"axG",@progbits,_ZN7rocprim17ROCPRIM_400000_NS6detail17trampoline_kernelINS0_14default_configENS1_35radix_sort_onesweep_config_selectorI6__halfNS0_10empty_typeEEEZZNS1_29radix_sort_onesweep_iterationIS3_Lb1EPKS5_PS5_PS6_SC_mNS0_19identity_decomposerENS1_16block_id_wrapperIjLb0EEEEE10hipError_tT1_PNSt15iterator_traitsISH_E10value_typeET2_T3_PNSI_ISN_E10value_typeET4_T5_PSS_ST_PNS1_23onesweep_lookback_stateEbbT6_jjT7_P12ihipStream_tbENKUlT_T0_SH_SM_E_clISB_SB_SC_SC_EEDaS10_S11_SH_SM_EUlS10_E_NS1_11comp_targetILNS1_3genE3ELNS1_11target_archE908ELNS1_3gpuE7ELNS1_3repE0EEENS1_47radix_sort_onesweep_sort_config_static_selectorELNS0_4arch9wavefront6targetE0EEEvSH_,comdat
	.protected	_ZN7rocprim17ROCPRIM_400000_NS6detail17trampoline_kernelINS0_14default_configENS1_35radix_sort_onesweep_config_selectorI6__halfNS0_10empty_typeEEEZZNS1_29radix_sort_onesweep_iterationIS3_Lb1EPKS5_PS5_PS6_SC_mNS0_19identity_decomposerENS1_16block_id_wrapperIjLb0EEEEE10hipError_tT1_PNSt15iterator_traitsISH_E10value_typeET2_T3_PNSI_ISN_E10value_typeET4_T5_PSS_ST_PNS1_23onesweep_lookback_stateEbbT6_jjT7_P12ihipStream_tbENKUlT_T0_SH_SM_E_clISB_SB_SC_SC_EEDaS10_S11_SH_SM_EUlS10_E_NS1_11comp_targetILNS1_3genE3ELNS1_11target_archE908ELNS1_3gpuE7ELNS1_3repE0EEENS1_47radix_sort_onesweep_sort_config_static_selectorELNS0_4arch9wavefront6targetE0EEEvSH_ ; -- Begin function _ZN7rocprim17ROCPRIM_400000_NS6detail17trampoline_kernelINS0_14default_configENS1_35radix_sort_onesweep_config_selectorI6__halfNS0_10empty_typeEEEZZNS1_29radix_sort_onesweep_iterationIS3_Lb1EPKS5_PS5_PS6_SC_mNS0_19identity_decomposerENS1_16block_id_wrapperIjLb0EEEEE10hipError_tT1_PNSt15iterator_traitsISH_E10value_typeET2_T3_PNSI_ISN_E10value_typeET4_T5_PSS_ST_PNS1_23onesweep_lookback_stateEbbT6_jjT7_P12ihipStream_tbENKUlT_T0_SH_SM_E_clISB_SB_SC_SC_EEDaS10_S11_SH_SM_EUlS10_E_NS1_11comp_targetILNS1_3genE3ELNS1_11target_archE908ELNS1_3gpuE7ELNS1_3repE0EEENS1_47radix_sort_onesweep_sort_config_static_selectorELNS0_4arch9wavefront6targetE0EEEvSH_
	.globl	_ZN7rocprim17ROCPRIM_400000_NS6detail17trampoline_kernelINS0_14default_configENS1_35radix_sort_onesweep_config_selectorI6__halfNS0_10empty_typeEEEZZNS1_29radix_sort_onesweep_iterationIS3_Lb1EPKS5_PS5_PS6_SC_mNS0_19identity_decomposerENS1_16block_id_wrapperIjLb0EEEEE10hipError_tT1_PNSt15iterator_traitsISH_E10value_typeET2_T3_PNSI_ISN_E10value_typeET4_T5_PSS_ST_PNS1_23onesweep_lookback_stateEbbT6_jjT7_P12ihipStream_tbENKUlT_T0_SH_SM_E_clISB_SB_SC_SC_EEDaS10_S11_SH_SM_EUlS10_E_NS1_11comp_targetILNS1_3genE3ELNS1_11target_archE908ELNS1_3gpuE7ELNS1_3repE0EEENS1_47radix_sort_onesweep_sort_config_static_selectorELNS0_4arch9wavefront6targetE0EEEvSH_
	.p2align	8
	.type	_ZN7rocprim17ROCPRIM_400000_NS6detail17trampoline_kernelINS0_14default_configENS1_35radix_sort_onesweep_config_selectorI6__halfNS0_10empty_typeEEEZZNS1_29radix_sort_onesweep_iterationIS3_Lb1EPKS5_PS5_PS6_SC_mNS0_19identity_decomposerENS1_16block_id_wrapperIjLb0EEEEE10hipError_tT1_PNSt15iterator_traitsISH_E10value_typeET2_T3_PNSI_ISN_E10value_typeET4_T5_PSS_ST_PNS1_23onesweep_lookback_stateEbbT6_jjT7_P12ihipStream_tbENKUlT_T0_SH_SM_E_clISB_SB_SC_SC_EEDaS10_S11_SH_SM_EUlS10_E_NS1_11comp_targetILNS1_3genE3ELNS1_11target_archE908ELNS1_3gpuE7ELNS1_3repE0EEENS1_47radix_sort_onesweep_sort_config_static_selectorELNS0_4arch9wavefront6targetE0EEEvSH_,@function
_ZN7rocprim17ROCPRIM_400000_NS6detail17trampoline_kernelINS0_14default_configENS1_35radix_sort_onesweep_config_selectorI6__halfNS0_10empty_typeEEEZZNS1_29radix_sort_onesweep_iterationIS3_Lb1EPKS5_PS5_PS6_SC_mNS0_19identity_decomposerENS1_16block_id_wrapperIjLb0EEEEE10hipError_tT1_PNSt15iterator_traitsISH_E10value_typeET2_T3_PNSI_ISN_E10value_typeET4_T5_PSS_ST_PNS1_23onesweep_lookback_stateEbbT6_jjT7_P12ihipStream_tbENKUlT_T0_SH_SM_E_clISB_SB_SC_SC_EEDaS10_S11_SH_SM_EUlS10_E_NS1_11comp_targetILNS1_3genE3ELNS1_11target_archE908ELNS1_3gpuE7ELNS1_3repE0EEENS1_47radix_sort_onesweep_sort_config_static_selectorELNS0_4arch9wavefront6targetE0EEEvSH_: ; @_ZN7rocprim17ROCPRIM_400000_NS6detail17trampoline_kernelINS0_14default_configENS1_35radix_sort_onesweep_config_selectorI6__halfNS0_10empty_typeEEEZZNS1_29radix_sort_onesweep_iterationIS3_Lb1EPKS5_PS5_PS6_SC_mNS0_19identity_decomposerENS1_16block_id_wrapperIjLb0EEEEE10hipError_tT1_PNSt15iterator_traitsISH_E10value_typeET2_T3_PNSI_ISN_E10value_typeET4_T5_PSS_ST_PNS1_23onesweep_lookback_stateEbbT6_jjT7_P12ihipStream_tbENKUlT_T0_SH_SM_E_clISB_SB_SC_SC_EEDaS10_S11_SH_SM_EUlS10_E_NS1_11comp_targetILNS1_3genE3ELNS1_11target_archE908ELNS1_3gpuE7ELNS1_3repE0EEENS1_47radix_sort_onesweep_sort_config_static_selectorELNS0_4arch9wavefront6targetE0EEEvSH_
; %bb.0:
	.section	.rodata,"a",@progbits
	.p2align	6, 0x0
	.amdhsa_kernel _ZN7rocprim17ROCPRIM_400000_NS6detail17trampoline_kernelINS0_14default_configENS1_35radix_sort_onesweep_config_selectorI6__halfNS0_10empty_typeEEEZZNS1_29radix_sort_onesweep_iterationIS3_Lb1EPKS5_PS5_PS6_SC_mNS0_19identity_decomposerENS1_16block_id_wrapperIjLb0EEEEE10hipError_tT1_PNSt15iterator_traitsISH_E10value_typeET2_T3_PNSI_ISN_E10value_typeET4_T5_PSS_ST_PNS1_23onesweep_lookback_stateEbbT6_jjT7_P12ihipStream_tbENKUlT_T0_SH_SM_E_clISB_SB_SC_SC_EEDaS10_S11_SH_SM_EUlS10_E_NS1_11comp_targetILNS1_3genE3ELNS1_11target_archE908ELNS1_3gpuE7ELNS1_3repE0EEENS1_47radix_sort_onesweep_sort_config_static_selectorELNS0_4arch9wavefront6targetE0EEEvSH_
		.amdhsa_group_segment_fixed_size 0
		.amdhsa_private_segment_fixed_size 0
		.amdhsa_kernarg_size 88
		.amdhsa_user_sgpr_count 2
		.amdhsa_user_sgpr_dispatch_ptr 0
		.amdhsa_user_sgpr_queue_ptr 0
		.amdhsa_user_sgpr_kernarg_segment_ptr 1
		.amdhsa_user_sgpr_dispatch_id 0
		.amdhsa_user_sgpr_kernarg_preload_length 0
		.amdhsa_user_sgpr_kernarg_preload_offset 0
		.amdhsa_user_sgpr_private_segment_size 0
		.amdhsa_wavefront_size32 1
		.amdhsa_uses_dynamic_stack 0
		.amdhsa_enable_private_segment 0
		.amdhsa_system_sgpr_workgroup_id_x 1
		.amdhsa_system_sgpr_workgroup_id_y 0
		.amdhsa_system_sgpr_workgroup_id_z 0
		.amdhsa_system_sgpr_workgroup_info 0
		.amdhsa_system_vgpr_workitem_id 0
		.amdhsa_next_free_vgpr 1
		.amdhsa_next_free_sgpr 1
		.amdhsa_named_barrier_count 0
		.amdhsa_reserve_vcc 0
		.amdhsa_float_round_mode_32 0
		.amdhsa_float_round_mode_16_64 0
		.amdhsa_float_denorm_mode_32 3
		.amdhsa_float_denorm_mode_16_64 3
		.amdhsa_fp16_overflow 0
		.amdhsa_memory_ordered 1
		.amdhsa_forward_progress 1
		.amdhsa_inst_pref_size 0
		.amdhsa_round_robin_scheduling 0
		.amdhsa_exception_fp_ieee_invalid_op 0
		.amdhsa_exception_fp_denorm_src 0
		.amdhsa_exception_fp_ieee_div_zero 0
		.amdhsa_exception_fp_ieee_overflow 0
		.amdhsa_exception_fp_ieee_underflow 0
		.amdhsa_exception_fp_ieee_inexact 0
		.amdhsa_exception_int_div_zero 0
	.end_amdhsa_kernel
	.section	.text._ZN7rocprim17ROCPRIM_400000_NS6detail17trampoline_kernelINS0_14default_configENS1_35radix_sort_onesweep_config_selectorI6__halfNS0_10empty_typeEEEZZNS1_29radix_sort_onesweep_iterationIS3_Lb1EPKS5_PS5_PS6_SC_mNS0_19identity_decomposerENS1_16block_id_wrapperIjLb0EEEEE10hipError_tT1_PNSt15iterator_traitsISH_E10value_typeET2_T3_PNSI_ISN_E10value_typeET4_T5_PSS_ST_PNS1_23onesweep_lookback_stateEbbT6_jjT7_P12ihipStream_tbENKUlT_T0_SH_SM_E_clISB_SB_SC_SC_EEDaS10_S11_SH_SM_EUlS10_E_NS1_11comp_targetILNS1_3genE3ELNS1_11target_archE908ELNS1_3gpuE7ELNS1_3repE0EEENS1_47radix_sort_onesweep_sort_config_static_selectorELNS0_4arch9wavefront6targetE0EEEvSH_,"axG",@progbits,_ZN7rocprim17ROCPRIM_400000_NS6detail17trampoline_kernelINS0_14default_configENS1_35radix_sort_onesweep_config_selectorI6__halfNS0_10empty_typeEEEZZNS1_29radix_sort_onesweep_iterationIS3_Lb1EPKS5_PS5_PS6_SC_mNS0_19identity_decomposerENS1_16block_id_wrapperIjLb0EEEEE10hipError_tT1_PNSt15iterator_traitsISH_E10value_typeET2_T3_PNSI_ISN_E10value_typeET4_T5_PSS_ST_PNS1_23onesweep_lookback_stateEbbT6_jjT7_P12ihipStream_tbENKUlT_T0_SH_SM_E_clISB_SB_SC_SC_EEDaS10_S11_SH_SM_EUlS10_E_NS1_11comp_targetILNS1_3genE3ELNS1_11target_archE908ELNS1_3gpuE7ELNS1_3repE0EEENS1_47radix_sort_onesweep_sort_config_static_selectorELNS0_4arch9wavefront6targetE0EEEvSH_,comdat
.Lfunc_end2195:
	.size	_ZN7rocprim17ROCPRIM_400000_NS6detail17trampoline_kernelINS0_14default_configENS1_35radix_sort_onesweep_config_selectorI6__halfNS0_10empty_typeEEEZZNS1_29radix_sort_onesweep_iterationIS3_Lb1EPKS5_PS5_PS6_SC_mNS0_19identity_decomposerENS1_16block_id_wrapperIjLb0EEEEE10hipError_tT1_PNSt15iterator_traitsISH_E10value_typeET2_T3_PNSI_ISN_E10value_typeET4_T5_PSS_ST_PNS1_23onesweep_lookback_stateEbbT6_jjT7_P12ihipStream_tbENKUlT_T0_SH_SM_E_clISB_SB_SC_SC_EEDaS10_S11_SH_SM_EUlS10_E_NS1_11comp_targetILNS1_3genE3ELNS1_11target_archE908ELNS1_3gpuE7ELNS1_3repE0EEENS1_47radix_sort_onesweep_sort_config_static_selectorELNS0_4arch9wavefront6targetE0EEEvSH_, .Lfunc_end2195-_ZN7rocprim17ROCPRIM_400000_NS6detail17trampoline_kernelINS0_14default_configENS1_35radix_sort_onesweep_config_selectorI6__halfNS0_10empty_typeEEEZZNS1_29radix_sort_onesweep_iterationIS3_Lb1EPKS5_PS5_PS6_SC_mNS0_19identity_decomposerENS1_16block_id_wrapperIjLb0EEEEE10hipError_tT1_PNSt15iterator_traitsISH_E10value_typeET2_T3_PNSI_ISN_E10value_typeET4_T5_PSS_ST_PNS1_23onesweep_lookback_stateEbbT6_jjT7_P12ihipStream_tbENKUlT_T0_SH_SM_E_clISB_SB_SC_SC_EEDaS10_S11_SH_SM_EUlS10_E_NS1_11comp_targetILNS1_3genE3ELNS1_11target_archE908ELNS1_3gpuE7ELNS1_3repE0EEENS1_47radix_sort_onesweep_sort_config_static_selectorELNS0_4arch9wavefront6targetE0EEEvSH_
                                        ; -- End function
	.set _ZN7rocprim17ROCPRIM_400000_NS6detail17trampoline_kernelINS0_14default_configENS1_35radix_sort_onesweep_config_selectorI6__halfNS0_10empty_typeEEEZZNS1_29radix_sort_onesweep_iterationIS3_Lb1EPKS5_PS5_PS6_SC_mNS0_19identity_decomposerENS1_16block_id_wrapperIjLb0EEEEE10hipError_tT1_PNSt15iterator_traitsISH_E10value_typeET2_T3_PNSI_ISN_E10value_typeET4_T5_PSS_ST_PNS1_23onesweep_lookback_stateEbbT6_jjT7_P12ihipStream_tbENKUlT_T0_SH_SM_E_clISB_SB_SC_SC_EEDaS10_S11_SH_SM_EUlS10_E_NS1_11comp_targetILNS1_3genE3ELNS1_11target_archE908ELNS1_3gpuE7ELNS1_3repE0EEENS1_47radix_sort_onesweep_sort_config_static_selectorELNS0_4arch9wavefront6targetE0EEEvSH_.num_vgpr, 0
	.set _ZN7rocprim17ROCPRIM_400000_NS6detail17trampoline_kernelINS0_14default_configENS1_35radix_sort_onesweep_config_selectorI6__halfNS0_10empty_typeEEEZZNS1_29radix_sort_onesweep_iterationIS3_Lb1EPKS5_PS5_PS6_SC_mNS0_19identity_decomposerENS1_16block_id_wrapperIjLb0EEEEE10hipError_tT1_PNSt15iterator_traitsISH_E10value_typeET2_T3_PNSI_ISN_E10value_typeET4_T5_PSS_ST_PNS1_23onesweep_lookback_stateEbbT6_jjT7_P12ihipStream_tbENKUlT_T0_SH_SM_E_clISB_SB_SC_SC_EEDaS10_S11_SH_SM_EUlS10_E_NS1_11comp_targetILNS1_3genE3ELNS1_11target_archE908ELNS1_3gpuE7ELNS1_3repE0EEENS1_47radix_sort_onesweep_sort_config_static_selectorELNS0_4arch9wavefront6targetE0EEEvSH_.num_agpr, 0
	.set _ZN7rocprim17ROCPRIM_400000_NS6detail17trampoline_kernelINS0_14default_configENS1_35radix_sort_onesweep_config_selectorI6__halfNS0_10empty_typeEEEZZNS1_29radix_sort_onesweep_iterationIS3_Lb1EPKS5_PS5_PS6_SC_mNS0_19identity_decomposerENS1_16block_id_wrapperIjLb0EEEEE10hipError_tT1_PNSt15iterator_traitsISH_E10value_typeET2_T3_PNSI_ISN_E10value_typeET4_T5_PSS_ST_PNS1_23onesweep_lookback_stateEbbT6_jjT7_P12ihipStream_tbENKUlT_T0_SH_SM_E_clISB_SB_SC_SC_EEDaS10_S11_SH_SM_EUlS10_E_NS1_11comp_targetILNS1_3genE3ELNS1_11target_archE908ELNS1_3gpuE7ELNS1_3repE0EEENS1_47radix_sort_onesweep_sort_config_static_selectorELNS0_4arch9wavefront6targetE0EEEvSH_.numbered_sgpr, 0
	.set _ZN7rocprim17ROCPRIM_400000_NS6detail17trampoline_kernelINS0_14default_configENS1_35radix_sort_onesweep_config_selectorI6__halfNS0_10empty_typeEEEZZNS1_29radix_sort_onesweep_iterationIS3_Lb1EPKS5_PS5_PS6_SC_mNS0_19identity_decomposerENS1_16block_id_wrapperIjLb0EEEEE10hipError_tT1_PNSt15iterator_traitsISH_E10value_typeET2_T3_PNSI_ISN_E10value_typeET4_T5_PSS_ST_PNS1_23onesweep_lookback_stateEbbT6_jjT7_P12ihipStream_tbENKUlT_T0_SH_SM_E_clISB_SB_SC_SC_EEDaS10_S11_SH_SM_EUlS10_E_NS1_11comp_targetILNS1_3genE3ELNS1_11target_archE908ELNS1_3gpuE7ELNS1_3repE0EEENS1_47radix_sort_onesweep_sort_config_static_selectorELNS0_4arch9wavefront6targetE0EEEvSH_.num_named_barrier, 0
	.set _ZN7rocprim17ROCPRIM_400000_NS6detail17trampoline_kernelINS0_14default_configENS1_35radix_sort_onesweep_config_selectorI6__halfNS0_10empty_typeEEEZZNS1_29radix_sort_onesweep_iterationIS3_Lb1EPKS5_PS5_PS6_SC_mNS0_19identity_decomposerENS1_16block_id_wrapperIjLb0EEEEE10hipError_tT1_PNSt15iterator_traitsISH_E10value_typeET2_T3_PNSI_ISN_E10value_typeET4_T5_PSS_ST_PNS1_23onesweep_lookback_stateEbbT6_jjT7_P12ihipStream_tbENKUlT_T0_SH_SM_E_clISB_SB_SC_SC_EEDaS10_S11_SH_SM_EUlS10_E_NS1_11comp_targetILNS1_3genE3ELNS1_11target_archE908ELNS1_3gpuE7ELNS1_3repE0EEENS1_47radix_sort_onesweep_sort_config_static_selectorELNS0_4arch9wavefront6targetE0EEEvSH_.private_seg_size, 0
	.set _ZN7rocprim17ROCPRIM_400000_NS6detail17trampoline_kernelINS0_14default_configENS1_35radix_sort_onesweep_config_selectorI6__halfNS0_10empty_typeEEEZZNS1_29radix_sort_onesweep_iterationIS3_Lb1EPKS5_PS5_PS6_SC_mNS0_19identity_decomposerENS1_16block_id_wrapperIjLb0EEEEE10hipError_tT1_PNSt15iterator_traitsISH_E10value_typeET2_T3_PNSI_ISN_E10value_typeET4_T5_PSS_ST_PNS1_23onesweep_lookback_stateEbbT6_jjT7_P12ihipStream_tbENKUlT_T0_SH_SM_E_clISB_SB_SC_SC_EEDaS10_S11_SH_SM_EUlS10_E_NS1_11comp_targetILNS1_3genE3ELNS1_11target_archE908ELNS1_3gpuE7ELNS1_3repE0EEENS1_47radix_sort_onesweep_sort_config_static_selectorELNS0_4arch9wavefront6targetE0EEEvSH_.uses_vcc, 0
	.set _ZN7rocprim17ROCPRIM_400000_NS6detail17trampoline_kernelINS0_14default_configENS1_35radix_sort_onesweep_config_selectorI6__halfNS0_10empty_typeEEEZZNS1_29radix_sort_onesweep_iterationIS3_Lb1EPKS5_PS5_PS6_SC_mNS0_19identity_decomposerENS1_16block_id_wrapperIjLb0EEEEE10hipError_tT1_PNSt15iterator_traitsISH_E10value_typeET2_T3_PNSI_ISN_E10value_typeET4_T5_PSS_ST_PNS1_23onesweep_lookback_stateEbbT6_jjT7_P12ihipStream_tbENKUlT_T0_SH_SM_E_clISB_SB_SC_SC_EEDaS10_S11_SH_SM_EUlS10_E_NS1_11comp_targetILNS1_3genE3ELNS1_11target_archE908ELNS1_3gpuE7ELNS1_3repE0EEENS1_47radix_sort_onesweep_sort_config_static_selectorELNS0_4arch9wavefront6targetE0EEEvSH_.uses_flat_scratch, 0
	.set _ZN7rocprim17ROCPRIM_400000_NS6detail17trampoline_kernelINS0_14default_configENS1_35radix_sort_onesweep_config_selectorI6__halfNS0_10empty_typeEEEZZNS1_29radix_sort_onesweep_iterationIS3_Lb1EPKS5_PS5_PS6_SC_mNS0_19identity_decomposerENS1_16block_id_wrapperIjLb0EEEEE10hipError_tT1_PNSt15iterator_traitsISH_E10value_typeET2_T3_PNSI_ISN_E10value_typeET4_T5_PSS_ST_PNS1_23onesweep_lookback_stateEbbT6_jjT7_P12ihipStream_tbENKUlT_T0_SH_SM_E_clISB_SB_SC_SC_EEDaS10_S11_SH_SM_EUlS10_E_NS1_11comp_targetILNS1_3genE3ELNS1_11target_archE908ELNS1_3gpuE7ELNS1_3repE0EEENS1_47radix_sort_onesweep_sort_config_static_selectorELNS0_4arch9wavefront6targetE0EEEvSH_.has_dyn_sized_stack, 0
	.set _ZN7rocprim17ROCPRIM_400000_NS6detail17trampoline_kernelINS0_14default_configENS1_35radix_sort_onesweep_config_selectorI6__halfNS0_10empty_typeEEEZZNS1_29radix_sort_onesweep_iterationIS3_Lb1EPKS5_PS5_PS6_SC_mNS0_19identity_decomposerENS1_16block_id_wrapperIjLb0EEEEE10hipError_tT1_PNSt15iterator_traitsISH_E10value_typeET2_T3_PNSI_ISN_E10value_typeET4_T5_PSS_ST_PNS1_23onesweep_lookback_stateEbbT6_jjT7_P12ihipStream_tbENKUlT_T0_SH_SM_E_clISB_SB_SC_SC_EEDaS10_S11_SH_SM_EUlS10_E_NS1_11comp_targetILNS1_3genE3ELNS1_11target_archE908ELNS1_3gpuE7ELNS1_3repE0EEENS1_47radix_sort_onesweep_sort_config_static_selectorELNS0_4arch9wavefront6targetE0EEEvSH_.has_recursion, 0
	.set _ZN7rocprim17ROCPRIM_400000_NS6detail17trampoline_kernelINS0_14default_configENS1_35radix_sort_onesweep_config_selectorI6__halfNS0_10empty_typeEEEZZNS1_29radix_sort_onesweep_iterationIS3_Lb1EPKS5_PS5_PS6_SC_mNS0_19identity_decomposerENS1_16block_id_wrapperIjLb0EEEEE10hipError_tT1_PNSt15iterator_traitsISH_E10value_typeET2_T3_PNSI_ISN_E10value_typeET4_T5_PSS_ST_PNS1_23onesweep_lookback_stateEbbT6_jjT7_P12ihipStream_tbENKUlT_T0_SH_SM_E_clISB_SB_SC_SC_EEDaS10_S11_SH_SM_EUlS10_E_NS1_11comp_targetILNS1_3genE3ELNS1_11target_archE908ELNS1_3gpuE7ELNS1_3repE0EEENS1_47radix_sort_onesweep_sort_config_static_selectorELNS0_4arch9wavefront6targetE0EEEvSH_.has_indirect_call, 0
	.section	.AMDGPU.csdata,"",@progbits
; Kernel info:
; codeLenInByte = 0
; TotalNumSgprs: 0
; NumVgprs: 0
; ScratchSize: 0
; MemoryBound: 0
; FloatMode: 240
; IeeeMode: 1
; LDSByteSize: 0 bytes/workgroup (compile time only)
; SGPRBlocks: 0
; VGPRBlocks: 0
; NumSGPRsForWavesPerEU: 1
; NumVGPRsForWavesPerEU: 1
; NamedBarCnt: 0
; Occupancy: 16
; WaveLimiterHint : 0
; COMPUTE_PGM_RSRC2:SCRATCH_EN: 0
; COMPUTE_PGM_RSRC2:USER_SGPR: 2
; COMPUTE_PGM_RSRC2:TRAP_HANDLER: 0
; COMPUTE_PGM_RSRC2:TGID_X_EN: 1
; COMPUTE_PGM_RSRC2:TGID_Y_EN: 0
; COMPUTE_PGM_RSRC2:TGID_Z_EN: 0
; COMPUTE_PGM_RSRC2:TIDIG_COMP_CNT: 0
	.section	.text._ZN7rocprim17ROCPRIM_400000_NS6detail17trampoline_kernelINS0_14default_configENS1_35radix_sort_onesweep_config_selectorI6__halfNS0_10empty_typeEEEZZNS1_29radix_sort_onesweep_iterationIS3_Lb1EPKS5_PS5_PS6_SC_mNS0_19identity_decomposerENS1_16block_id_wrapperIjLb0EEEEE10hipError_tT1_PNSt15iterator_traitsISH_E10value_typeET2_T3_PNSI_ISN_E10value_typeET4_T5_PSS_ST_PNS1_23onesweep_lookback_stateEbbT6_jjT7_P12ihipStream_tbENKUlT_T0_SH_SM_E_clISB_SB_SC_SC_EEDaS10_S11_SH_SM_EUlS10_E_NS1_11comp_targetILNS1_3genE10ELNS1_11target_archE1201ELNS1_3gpuE5ELNS1_3repE0EEENS1_47radix_sort_onesweep_sort_config_static_selectorELNS0_4arch9wavefront6targetE0EEEvSH_,"axG",@progbits,_ZN7rocprim17ROCPRIM_400000_NS6detail17trampoline_kernelINS0_14default_configENS1_35radix_sort_onesweep_config_selectorI6__halfNS0_10empty_typeEEEZZNS1_29radix_sort_onesweep_iterationIS3_Lb1EPKS5_PS5_PS6_SC_mNS0_19identity_decomposerENS1_16block_id_wrapperIjLb0EEEEE10hipError_tT1_PNSt15iterator_traitsISH_E10value_typeET2_T3_PNSI_ISN_E10value_typeET4_T5_PSS_ST_PNS1_23onesweep_lookback_stateEbbT6_jjT7_P12ihipStream_tbENKUlT_T0_SH_SM_E_clISB_SB_SC_SC_EEDaS10_S11_SH_SM_EUlS10_E_NS1_11comp_targetILNS1_3genE10ELNS1_11target_archE1201ELNS1_3gpuE5ELNS1_3repE0EEENS1_47radix_sort_onesweep_sort_config_static_selectorELNS0_4arch9wavefront6targetE0EEEvSH_,comdat
	.protected	_ZN7rocprim17ROCPRIM_400000_NS6detail17trampoline_kernelINS0_14default_configENS1_35radix_sort_onesweep_config_selectorI6__halfNS0_10empty_typeEEEZZNS1_29radix_sort_onesweep_iterationIS3_Lb1EPKS5_PS5_PS6_SC_mNS0_19identity_decomposerENS1_16block_id_wrapperIjLb0EEEEE10hipError_tT1_PNSt15iterator_traitsISH_E10value_typeET2_T3_PNSI_ISN_E10value_typeET4_T5_PSS_ST_PNS1_23onesweep_lookback_stateEbbT6_jjT7_P12ihipStream_tbENKUlT_T0_SH_SM_E_clISB_SB_SC_SC_EEDaS10_S11_SH_SM_EUlS10_E_NS1_11comp_targetILNS1_3genE10ELNS1_11target_archE1201ELNS1_3gpuE5ELNS1_3repE0EEENS1_47radix_sort_onesweep_sort_config_static_selectorELNS0_4arch9wavefront6targetE0EEEvSH_ ; -- Begin function _ZN7rocprim17ROCPRIM_400000_NS6detail17trampoline_kernelINS0_14default_configENS1_35radix_sort_onesweep_config_selectorI6__halfNS0_10empty_typeEEEZZNS1_29radix_sort_onesweep_iterationIS3_Lb1EPKS5_PS5_PS6_SC_mNS0_19identity_decomposerENS1_16block_id_wrapperIjLb0EEEEE10hipError_tT1_PNSt15iterator_traitsISH_E10value_typeET2_T3_PNSI_ISN_E10value_typeET4_T5_PSS_ST_PNS1_23onesweep_lookback_stateEbbT6_jjT7_P12ihipStream_tbENKUlT_T0_SH_SM_E_clISB_SB_SC_SC_EEDaS10_S11_SH_SM_EUlS10_E_NS1_11comp_targetILNS1_3genE10ELNS1_11target_archE1201ELNS1_3gpuE5ELNS1_3repE0EEENS1_47radix_sort_onesweep_sort_config_static_selectorELNS0_4arch9wavefront6targetE0EEEvSH_
	.globl	_ZN7rocprim17ROCPRIM_400000_NS6detail17trampoline_kernelINS0_14default_configENS1_35radix_sort_onesweep_config_selectorI6__halfNS0_10empty_typeEEEZZNS1_29radix_sort_onesweep_iterationIS3_Lb1EPKS5_PS5_PS6_SC_mNS0_19identity_decomposerENS1_16block_id_wrapperIjLb0EEEEE10hipError_tT1_PNSt15iterator_traitsISH_E10value_typeET2_T3_PNSI_ISN_E10value_typeET4_T5_PSS_ST_PNS1_23onesweep_lookback_stateEbbT6_jjT7_P12ihipStream_tbENKUlT_T0_SH_SM_E_clISB_SB_SC_SC_EEDaS10_S11_SH_SM_EUlS10_E_NS1_11comp_targetILNS1_3genE10ELNS1_11target_archE1201ELNS1_3gpuE5ELNS1_3repE0EEENS1_47radix_sort_onesweep_sort_config_static_selectorELNS0_4arch9wavefront6targetE0EEEvSH_
	.p2align	8
	.type	_ZN7rocprim17ROCPRIM_400000_NS6detail17trampoline_kernelINS0_14default_configENS1_35radix_sort_onesweep_config_selectorI6__halfNS0_10empty_typeEEEZZNS1_29radix_sort_onesweep_iterationIS3_Lb1EPKS5_PS5_PS6_SC_mNS0_19identity_decomposerENS1_16block_id_wrapperIjLb0EEEEE10hipError_tT1_PNSt15iterator_traitsISH_E10value_typeET2_T3_PNSI_ISN_E10value_typeET4_T5_PSS_ST_PNS1_23onesweep_lookback_stateEbbT6_jjT7_P12ihipStream_tbENKUlT_T0_SH_SM_E_clISB_SB_SC_SC_EEDaS10_S11_SH_SM_EUlS10_E_NS1_11comp_targetILNS1_3genE10ELNS1_11target_archE1201ELNS1_3gpuE5ELNS1_3repE0EEENS1_47radix_sort_onesweep_sort_config_static_selectorELNS0_4arch9wavefront6targetE0EEEvSH_,@function
_ZN7rocprim17ROCPRIM_400000_NS6detail17trampoline_kernelINS0_14default_configENS1_35radix_sort_onesweep_config_selectorI6__halfNS0_10empty_typeEEEZZNS1_29radix_sort_onesweep_iterationIS3_Lb1EPKS5_PS5_PS6_SC_mNS0_19identity_decomposerENS1_16block_id_wrapperIjLb0EEEEE10hipError_tT1_PNSt15iterator_traitsISH_E10value_typeET2_T3_PNSI_ISN_E10value_typeET4_T5_PSS_ST_PNS1_23onesweep_lookback_stateEbbT6_jjT7_P12ihipStream_tbENKUlT_T0_SH_SM_E_clISB_SB_SC_SC_EEDaS10_S11_SH_SM_EUlS10_E_NS1_11comp_targetILNS1_3genE10ELNS1_11target_archE1201ELNS1_3gpuE5ELNS1_3repE0EEENS1_47radix_sort_onesweep_sort_config_static_selectorELNS0_4arch9wavefront6targetE0EEEvSH_: ; @_ZN7rocprim17ROCPRIM_400000_NS6detail17trampoline_kernelINS0_14default_configENS1_35radix_sort_onesweep_config_selectorI6__halfNS0_10empty_typeEEEZZNS1_29radix_sort_onesweep_iterationIS3_Lb1EPKS5_PS5_PS6_SC_mNS0_19identity_decomposerENS1_16block_id_wrapperIjLb0EEEEE10hipError_tT1_PNSt15iterator_traitsISH_E10value_typeET2_T3_PNSI_ISN_E10value_typeET4_T5_PSS_ST_PNS1_23onesweep_lookback_stateEbbT6_jjT7_P12ihipStream_tbENKUlT_T0_SH_SM_E_clISB_SB_SC_SC_EEDaS10_S11_SH_SM_EUlS10_E_NS1_11comp_targetILNS1_3genE10ELNS1_11target_archE1201ELNS1_3gpuE5ELNS1_3repE0EEENS1_47radix_sort_onesweep_sort_config_static_selectorELNS0_4arch9wavefront6targetE0EEEvSH_
; %bb.0:
	.section	.rodata,"a",@progbits
	.p2align	6, 0x0
	.amdhsa_kernel _ZN7rocprim17ROCPRIM_400000_NS6detail17trampoline_kernelINS0_14default_configENS1_35radix_sort_onesweep_config_selectorI6__halfNS0_10empty_typeEEEZZNS1_29radix_sort_onesweep_iterationIS3_Lb1EPKS5_PS5_PS6_SC_mNS0_19identity_decomposerENS1_16block_id_wrapperIjLb0EEEEE10hipError_tT1_PNSt15iterator_traitsISH_E10value_typeET2_T3_PNSI_ISN_E10value_typeET4_T5_PSS_ST_PNS1_23onesweep_lookback_stateEbbT6_jjT7_P12ihipStream_tbENKUlT_T0_SH_SM_E_clISB_SB_SC_SC_EEDaS10_S11_SH_SM_EUlS10_E_NS1_11comp_targetILNS1_3genE10ELNS1_11target_archE1201ELNS1_3gpuE5ELNS1_3repE0EEENS1_47radix_sort_onesweep_sort_config_static_selectorELNS0_4arch9wavefront6targetE0EEEvSH_
		.amdhsa_group_segment_fixed_size 0
		.amdhsa_private_segment_fixed_size 0
		.amdhsa_kernarg_size 88
		.amdhsa_user_sgpr_count 2
		.amdhsa_user_sgpr_dispatch_ptr 0
		.amdhsa_user_sgpr_queue_ptr 0
		.amdhsa_user_sgpr_kernarg_segment_ptr 1
		.amdhsa_user_sgpr_dispatch_id 0
		.amdhsa_user_sgpr_kernarg_preload_length 0
		.amdhsa_user_sgpr_kernarg_preload_offset 0
		.amdhsa_user_sgpr_private_segment_size 0
		.amdhsa_wavefront_size32 1
		.amdhsa_uses_dynamic_stack 0
		.amdhsa_enable_private_segment 0
		.amdhsa_system_sgpr_workgroup_id_x 1
		.amdhsa_system_sgpr_workgroup_id_y 0
		.amdhsa_system_sgpr_workgroup_id_z 0
		.amdhsa_system_sgpr_workgroup_info 0
		.amdhsa_system_vgpr_workitem_id 0
		.amdhsa_next_free_vgpr 1
		.amdhsa_next_free_sgpr 1
		.amdhsa_named_barrier_count 0
		.amdhsa_reserve_vcc 0
		.amdhsa_float_round_mode_32 0
		.amdhsa_float_round_mode_16_64 0
		.amdhsa_float_denorm_mode_32 3
		.amdhsa_float_denorm_mode_16_64 3
		.amdhsa_fp16_overflow 0
		.amdhsa_memory_ordered 1
		.amdhsa_forward_progress 1
		.amdhsa_inst_pref_size 0
		.amdhsa_round_robin_scheduling 0
		.amdhsa_exception_fp_ieee_invalid_op 0
		.amdhsa_exception_fp_denorm_src 0
		.amdhsa_exception_fp_ieee_div_zero 0
		.amdhsa_exception_fp_ieee_overflow 0
		.amdhsa_exception_fp_ieee_underflow 0
		.amdhsa_exception_fp_ieee_inexact 0
		.amdhsa_exception_int_div_zero 0
	.end_amdhsa_kernel
	.section	.text._ZN7rocprim17ROCPRIM_400000_NS6detail17trampoline_kernelINS0_14default_configENS1_35radix_sort_onesweep_config_selectorI6__halfNS0_10empty_typeEEEZZNS1_29radix_sort_onesweep_iterationIS3_Lb1EPKS5_PS5_PS6_SC_mNS0_19identity_decomposerENS1_16block_id_wrapperIjLb0EEEEE10hipError_tT1_PNSt15iterator_traitsISH_E10value_typeET2_T3_PNSI_ISN_E10value_typeET4_T5_PSS_ST_PNS1_23onesweep_lookback_stateEbbT6_jjT7_P12ihipStream_tbENKUlT_T0_SH_SM_E_clISB_SB_SC_SC_EEDaS10_S11_SH_SM_EUlS10_E_NS1_11comp_targetILNS1_3genE10ELNS1_11target_archE1201ELNS1_3gpuE5ELNS1_3repE0EEENS1_47radix_sort_onesweep_sort_config_static_selectorELNS0_4arch9wavefront6targetE0EEEvSH_,"axG",@progbits,_ZN7rocprim17ROCPRIM_400000_NS6detail17trampoline_kernelINS0_14default_configENS1_35radix_sort_onesweep_config_selectorI6__halfNS0_10empty_typeEEEZZNS1_29radix_sort_onesweep_iterationIS3_Lb1EPKS5_PS5_PS6_SC_mNS0_19identity_decomposerENS1_16block_id_wrapperIjLb0EEEEE10hipError_tT1_PNSt15iterator_traitsISH_E10value_typeET2_T3_PNSI_ISN_E10value_typeET4_T5_PSS_ST_PNS1_23onesweep_lookback_stateEbbT6_jjT7_P12ihipStream_tbENKUlT_T0_SH_SM_E_clISB_SB_SC_SC_EEDaS10_S11_SH_SM_EUlS10_E_NS1_11comp_targetILNS1_3genE10ELNS1_11target_archE1201ELNS1_3gpuE5ELNS1_3repE0EEENS1_47radix_sort_onesweep_sort_config_static_selectorELNS0_4arch9wavefront6targetE0EEEvSH_,comdat
.Lfunc_end2196:
	.size	_ZN7rocprim17ROCPRIM_400000_NS6detail17trampoline_kernelINS0_14default_configENS1_35radix_sort_onesweep_config_selectorI6__halfNS0_10empty_typeEEEZZNS1_29radix_sort_onesweep_iterationIS3_Lb1EPKS5_PS5_PS6_SC_mNS0_19identity_decomposerENS1_16block_id_wrapperIjLb0EEEEE10hipError_tT1_PNSt15iterator_traitsISH_E10value_typeET2_T3_PNSI_ISN_E10value_typeET4_T5_PSS_ST_PNS1_23onesweep_lookback_stateEbbT6_jjT7_P12ihipStream_tbENKUlT_T0_SH_SM_E_clISB_SB_SC_SC_EEDaS10_S11_SH_SM_EUlS10_E_NS1_11comp_targetILNS1_3genE10ELNS1_11target_archE1201ELNS1_3gpuE5ELNS1_3repE0EEENS1_47radix_sort_onesweep_sort_config_static_selectorELNS0_4arch9wavefront6targetE0EEEvSH_, .Lfunc_end2196-_ZN7rocprim17ROCPRIM_400000_NS6detail17trampoline_kernelINS0_14default_configENS1_35radix_sort_onesweep_config_selectorI6__halfNS0_10empty_typeEEEZZNS1_29radix_sort_onesweep_iterationIS3_Lb1EPKS5_PS5_PS6_SC_mNS0_19identity_decomposerENS1_16block_id_wrapperIjLb0EEEEE10hipError_tT1_PNSt15iterator_traitsISH_E10value_typeET2_T3_PNSI_ISN_E10value_typeET4_T5_PSS_ST_PNS1_23onesweep_lookback_stateEbbT6_jjT7_P12ihipStream_tbENKUlT_T0_SH_SM_E_clISB_SB_SC_SC_EEDaS10_S11_SH_SM_EUlS10_E_NS1_11comp_targetILNS1_3genE10ELNS1_11target_archE1201ELNS1_3gpuE5ELNS1_3repE0EEENS1_47radix_sort_onesweep_sort_config_static_selectorELNS0_4arch9wavefront6targetE0EEEvSH_
                                        ; -- End function
	.set _ZN7rocprim17ROCPRIM_400000_NS6detail17trampoline_kernelINS0_14default_configENS1_35radix_sort_onesweep_config_selectorI6__halfNS0_10empty_typeEEEZZNS1_29radix_sort_onesweep_iterationIS3_Lb1EPKS5_PS5_PS6_SC_mNS0_19identity_decomposerENS1_16block_id_wrapperIjLb0EEEEE10hipError_tT1_PNSt15iterator_traitsISH_E10value_typeET2_T3_PNSI_ISN_E10value_typeET4_T5_PSS_ST_PNS1_23onesweep_lookback_stateEbbT6_jjT7_P12ihipStream_tbENKUlT_T0_SH_SM_E_clISB_SB_SC_SC_EEDaS10_S11_SH_SM_EUlS10_E_NS1_11comp_targetILNS1_3genE10ELNS1_11target_archE1201ELNS1_3gpuE5ELNS1_3repE0EEENS1_47radix_sort_onesweep_sort_config_static_selectorELNS0_4arch9wavefront6targetE0EEEvSH_.num_vgpr, 0
	.set _ZN7rocprim17ROCPRIM_400000_NS6detail17trampoline_kernelINS0_14default_configENS1_35radix_sort_onesweep_config_selectorI6__halfNS0_10empty_typeEEEZZNS1_29radix_sort_onesweep_iterationIS3_Lb1EPKS5_PS5_PS6_SC_mNS0_19identity_decomposerENS1_16block_id_wrapperIjLb0EEEEE10hipError_tT1_PNSt15iterator_traitsISH_E10value_typeET2_T3_PNSI_ISN_E10value_typeET4_T5_PSS_ST_PNS1_23onesweep_lookback_stateEbbT6_jjT7_P12ihipStream_tbENKUlT_T0_SH_SM_E_clISB_SB_SC_SC_EEDaS10_S11_SH_SM_EUlS10_E_NS1_11comp_targetILNS1_3genE10ELNS1_11target_archE1201ELNS1_3gpuE5ELNS1_3repE0EEENS1_47radix_sort_onesweep_sort_config_static_selectorELNS0_4arch9wavefront6targetE0EEEvSH_.num_agpr, 0
	.set _ZN7rocprim17ROCPRIM_400000_NS6detail17trampoline_kernelINS0_14default_configENS1_35radix_sort_onesweep_config_selectorI6__halfNS0_10empty_typeEEEZZNS1_29radix_sort_onesweep_iterationIS3_Lb1EPKS5_PS5_PS6_SC_mNS0_19identity_decomposerENS1_16block_id_wrapperIjLb0EEEEE10hipError_tT1_PNSt15iterator_traitsISH_E10value_typeET2_T3_PNSI_ISN_E10value_typeET4_T5_PSS_ST_PNS1_23onesweep_lookback_stateEbbT6_jjT7_P12ihipStream_tbENKUlT_T0_SH_SM_E_clISB_SB_SC_SC_EEDaS10_S11_SH_SM_EUlS10_E_NS1_11comp_targetILNS1_3genE10ELNS1_11target_archE1201ELNS1_3gpuE5ELNS1_3repE0EEENS1_47radix_sort_onesweep_sort_config_static_selectorELNS0_4arch9wavefront6targetE0EEEvSH_.numbered_sgpr, 0
	.set _ZN7rocprim17ROCPRIM_400000_NS6detail17trampoline_kernelINS0_14default_configENS1_35radix_sort_onesweep_config_selectorI6__halfNS0_10empty_typeEEEZZNS1_29radix_sort_onesweep_iterationIS3_Lb1EPKS5_PS5_PS6_SC_mNS0_19identity_decomposerENS1_16block_id_wrapperIjLb0EEEEE10hipError_tT1_PNSt15iterator_traitsISH_E10value_typeET2_T3_PNSI_ISN_E10value_typeET4_T5_PSS_ST_PNS1_23onesweep_lookback_stateEbbT6_jjT7_P12ihipStream_tbENKUlT_T0_SH_SM_E_clISB_SB_SC_SC_EEDaS10_S11_SH_SM_EUlS10_E_NS1_11comp_targetILNS1_3genE10ELNS1_11target_archE1201ELNS1_3gpuE5ELNS1_3repE0EEENS1_47radix_sort_onesweep_sort_config_static_selectorELNS0_4arch9wavefront6targetE0EEEvSH_.num_named_barrier, 0
	.set _ZN7rocprim17ROCPRIM_400000_NS6detail17trampoline_kernelINS0_14default_configENS1_35radix_sort_onesweep_config_selectorI6__halfNS0_10empty_typeEEEZZNS1_29radix_sort_onesweep_iterationIS3_Lb1EPKS5_PS5_PS6_SC_mNS0_19identity_decomposerENS1_16block_id_wrapperIjLb0EEEEE10hipError_tT1_PNSt15iterator_traitsISH_E10value_typeET2_T3_PNSI_ISN_E10value_typeET4_T5_PSS_ST_PNS1_23onesweep_lookback_stateEbbT6_jjT7_P12ihipStream_tbENKUlT_T0_SH_SM_E_clISB_SB_SC_SC_EEDaS10_S11_SH_SM_EUlS10_E_NS1_11comp_targetILNS1_3genE10ELNS1_11target_archE1201ELNS1_3gpuE5ELNS1_3repE0EEENS1_47radix_sort_onesweep_sort_config_static_selectorELNS0_4arch9wavefront6targetE0EEEvSH_.private_seg_size, 0
	.set _ZN7rocprim17ROCPRIM_400000_NS6detail17trampoline_kernelINS0_14default_configENS1_35radix_sort_onesweep_config_selectorI6__halfNS0_10empty_typeEEEZZNS1_29radix_sort_onesweep_iterationIS3_Lb1EPKS5_PS5_PS6_SC_mNS0_19identity_decomposerENS1_16block_id_wrapperIjLb0EEEEE10hipError_tT1_PNSt15iterator_traitsISH_E10value_typeET2_T3_PNSI_ISN_E10value_typeET4_T5_PSS_ST_PNS1_23onesweep_lookback_stateEbbT6_jjT7_P12ihipStream_tbENKUlT_T0_SH_SM_E_clISB_SB_SC_SC_EEDaS10_S11_SH_SM_EUlS10_E_NS1_11comp_targetILNS1_3genE10ELNS1_11target_archE1201ELNS1_3gpuE5ELNS1_3repE0EEENS1_47radix_sort_onesweep_sort_config_static_selectorELNS0_4arch9wavefront6targetE0EEEvSH_.uses_vcc, 0
	.set _ZN7rocprim17ROCPRIM_400000_NS6detail17trampoline_kernelINS0_14default_configENS1_35radix_sort_onesweep_config_selectorI6__halfNS0_10empty_typeEEEZZNS1_29radix_sort_onesweep_iterationIS3_Lb1EPKS5_PS5_PS6_SC_mNS0_19identity_decomposerENS1_16block_id_wrapperIjLb0EEEEE10hipError_tT1_PNSt15iterator_traitsISH_E10value_typeET2_T3_PNSI_ISN_E10value_typeET4_T5_PSS_ST_PNS1_23onesweep_lookback_stateEbbT6_jjT7_P12ihipStream_tbENKUlT_T0_SH_SM_E_clISB_SB_SC_SC_EEDaS10_S11_SH_SM_EUlS10_E_NS1_11comp_targetILNS1_3genE10ELNS1_11target_archE1201ELNS1_3gpuE5ELNS1_3repE0EEENS1_47radix_sort_onesweep_sort_config_static_selectorELNS0_4arch9wavefront6targetE0EEEvSH_.uses_flat_scratch, 0
	.set _ZN7rocprim17ROCPRIM_400000_NS6detail17trampoline_kernelINS0_14default_configENS1_35radix_sort_onesweep_config_selectorI6__halfNS0_10empty_typeEEEZZNS1_29radix_sort_onesweep_iterationIS3_Lb1EPKS5_PS5_PS6_SC_mNS0_19identity_decomposerENS1_16block_id_wrapperIjLb0EEEEE10hipError_tT1_PNSt15iterator_traitsISH_E10value_typeET2_T3_PNSI_ISN_E10value_typeET4_T5_PSS_ST_PNS1_23onesweep_lookback_stateEbbT6_jjT7_P12ihipStream_tbENKUlT_T0_SH_SM_E_clISB_SB_SC_SC_EEDaS10_S11_SH_SM_EUlS10_E_NS1_11comp_targetILNS1_3genE10ELNS1_11target_archE1201ELNS1_3gpuE5ELNS1_3repE0EEENS1_47radix_sort_onesweep_sort_config_static_selectorELNS0_4arch9wavefront6targetE0EEEvSH_.has_dyn_sized_stack, 0
	.set _ZN7rocprim17ROCPRIM_400000_NS6detail17trampoline_kernelINS0_14default_configENS1_35radix_sort_onesweep_config_selectorI6__halfNS0_10empty_typeEEEZZNS1_29radix_sort_onesweep_iterationIS3_Lb1EPKS5_PS5_PS6_SC_mNS0_19identity_decomposerENS1_16block_id_wrapperIjLb0EEEEE10hipError_tT1_PNSt15iterator_traitsISH_E10value_typeET2_T3_PNSI_ISN_E10value_typeET4_T5_PSS_ST_PNS1_23onesweep_lookback_stateEbbT6_jjT7_P12ihipStream_tbENKUlT_T0_SH_SM_E_clISB_SB_SC_SC_EEDaS10_S11_SH_SM_EUlS10_E_NS1_11comp_targetILNS1_3genE10ELNS1_11target_archE1201ELNS1_3gpuE5ELNS1_3repE0EEENS1_47radix_sort_onesweep_sort_config_static_selectorELNS0_4arch9wavefront6targetE0EEEvSH_.has_recursion, 0
	.set _ZN7rocprim17ROCPRIM_400000_NS6detail17trampoline_kernelINS0_14default_configENS1_35radix_sort_onesweep_config_selectorI6__halfNS0_10empty_typeEEEZZNS1_29radix_sort_onesweep_iterationIS3_Lb1EPKS5_PS5_PS6_SC_mNS0_19identity_decomposerENS1_16block_id_wrapperIjLb0EEEEE10hipError_tT1_PNSt15iterator_traitsISH_E10value_typeET2_T3_PNSI_ISN_E10value_typeET4_T5_PSS_ST_PNS1_23onesweep_lookback_stateEbbT6_jjT7_P12ihipStream_tbENKUlT_T0_SH_SM_E_clISB_SB_SC_SC_EEDaS10_S11_SH_SM_EUlS10_E_NS1_11comp_targetILNS1_3genE10ELNS1_11target_archE1201ELNS1_3gpuE5ELNS1_3repE0EEENS1_47radix_sort_onesweep_sort_config_static_selectorELNS0_4arch9wavefront6targetE0EEEvSH_.has_indirect_call, 0
	.section	.AMDGPU.csdata,"",@progbits
; Kernel info:
; codeLenInByte = 0
; TotalNumSgprs: 0
; NumVgprs: 0
; ScratchSize: 0
; MemoryBound: 0
; FloatMode: 240
; IeeeMode: 1
; LDSByteSize: 0 bytes/workgroup (compile time only)
; SGPRBlocks: 0
; VGPRBlocks: 0
; NumSGPRsForWavesPerEU: 1
; NumVGPRsForWavesPerEU: 1
; NamedBarCnt: 0
; Occupancy: 16
; WaveLimiterHint : 0
; COMPUTE_PGM_RSRC2:SCRATCH_EN: 0
; COMPUTE_PGM_RSRC2:USER_SGPR: 2
; COMPUTE_PGM_RSRC2:TRAP_HANDLER: 0
; COMPUTE_PGM_RSRC2:TGID_X_EN: 1
; COMPUTE_PGM_RSRC2:TGID_Y_EN: 0
; COMPUTE_PGM_RSRC2:TGID_Z_EN: 0
; COMPUTE_PGM_RSRC2:TIDIG_COMP_CNT: 0
	.section	.text._ZN7rocprim17ROCPRIM_400000_NS6detail17trampoline_kernelINS0_14default_configENS1_35radix_sort_onesweep_config_selectorI6__halfNS0_10empty_typeEEEZZNS1_29radix_sort_onesweep_iterationIS3_Lb1EPKS5_PS5_PS6_SC_mNS0_19identity_decomposerENS1_16block_id_wrapperIjLb0EEEEE10hipError_tT1_PNSt15iterator_traitsISH_E10value_typeET2_T3_PNSI_ISN_E10value_typeET4_T5_PSS_ST_PNS1_23onesweep_lookback_stateEbbT6_jjT7_P12ihipStream_tbENKUlT_T0_SH_SM_E_clISB_SB_SC_SC_EEDaS10_S11_SH_SM_EUlS10_E_NS1_11comp_targetILNS1_3genE9ELNS1_11target_archE1100ELNS1_3gpuE3ELNS1_3repE0EEENS1_47radix_sort_onesweep_sort_config_static_selectorELNS0_4arch9wavefront6targetE0EEEvSH_,"axG",@progbits,_ZN7rocprim17ROCPRIM_400000_NS6detail17trampoline_kernelINS0_14default_configENS1_35radix_sort_onesweep_config_selectorI6__halfNS0_10empty_typeEEEZZNS1_29radix_sort_onesweep_iterationIS3_Lb1EPKS5_PS5_PS6_SC_mNS0_19identity_decomposerENS1_16block_id_wrapperIjLb0EEEEE10hipError_tT1_PNSt15iterator_traitsISH_E10value_typeET2_T3_PNSI_ISN_E10value_typeET4_T5_PSS_ST_PNS1_23onesweep_lookback_stateEbbT6_jjT7_P12ihipStream_tbENKUlT_T0_SH_SM_E_clISB_SB_SC_SC_EEDaS10_S11_SH_SM_EUlS10_E_NS1_11comp_targetILNS1_3genE9ELNS1_11target_archE1100ELNS1_3gpuE3ELNS1_3repE0EEENS1_47radix_sort_onesweep_sort_config_static_selectorELNS0_4arch9wavefront6targetE0EEEvSH_,comdat
	.protected	_ZN7rocprim17ROCPRIM_400000_NS6detail17trampoline_kernelINS0_14default_configENS1_35radix_sort_onesweep_config_selectorI6__halfNS0_10empty_typeEEEZZNS1_29radix_sort_onesweep_iterationIS3_Lb1EPKS5_PS5_PS6_SC_mNS0_19identity_decomposerENS1_16block_id_wrapperIjLb0EEEEE10hipError_tT1_PNSt15iterator_traitsISH_E10value_typeET2_T3_PNSI_ISN_E10value_typeET4_T5_PSS_ST_PNS1_23onesweep_lookback_stateEbbT6_jjT7_P12ihipStream_tbENKUlT_T0_SH_SM_E_clISB_SB_SC_SC_EEDaS10_S11_SH_SM_EUlS10_E_NS1_11comp_targetILNS1_3genE9ELNS1_11target_archE1100ELNS1_3gpuE3ELNS1_3repE0EEENS1_47radix_sort_onesweep_sort_config_static_selectorELNS0_4arch9wavefront6targetE0EEEvSH_ ; -- Begin function _ZN7rocprim17ROCPRIM_400000_NS6detail17trampoline_kernelINS0_14default_configENS1_35radix_sort_onesweep_config_selectorI6__halfNS0_10empty_typeEEEZZNS1_29radix_sort_onesweep_iterationIS3_Lb1EPKS5_PS5_PS6_SC_mNS0_19identity_decomposerENS1_16block_id_wrapperIjLb0EEEEE10hipError_tT1_PNSt15iterator_traitsISH_E10value_typeET2_T3_PNSI_ISN_E10value_typeET4_T5_PSS_ST_PNS1_23onesweep_lookback_stateEbbT6_jjT7_P12ihipStream_tbENKUlT_T0_SH_SM_E_clISB_SB_SC_SC_EEDaS10_S11_SH_SM_EUlS10_E_NS1_11comp_targetILNS1_3genE9ELNS1_11target_archE1100ELNS1_3gpuE3ELNS1_3repE0EEENS1_47radix_sort_onesweep_sort_config_static_selectorELNS0_4arch9wavefront6targetE0EEEvSH_
	.globl	_ZN7rocprim17ROCPRIM_400000_NS6detail17trampoline_kernelINS0_14default_configENS1_35radix_sort_onesweep_config_selectorI6__halfNS0_10empty_typeEEEZZNS1_29radix_sort_onesweep_iterationIS3_Lb1EPKS5_PS5_PS6_SC_mNS0_19identity_decomposerENS1_16block_id_wrapperIjLb0EEEEE10hipError_tT1_PNSt15iterator_traitsISH_E10value_typeET2_T3_PNSI_ISN_E10value_typeET4_T5_PSS_ST_PNS1_23onesweep_lookback_stateEbbT6_jjT7_P12ihipStream_tbENKUlT_T0_SH_SM_E_clISB_SB_SC_SC_EEDaS10_S11_SH_SM_EUlS10_E_NS1_11comp_targetILNS1_3genE9ELNS1_11target_archE1100ELNS1_3gpuE3ELNS1_3repE0EEENS1_47radix_sort_onesweep_sort_config_static_selectorELNS0_4arch9wavefront6targetE0EEEvSH_
	.p2align	8
	.type	_ZN7rocprim17ROCPRIM_400000_NS6detail17trampoline_kernelINS0_14default_configENS1_35radix_sort_onesweep_config_selectorI6__halfNS0_10empty_typeEEEZZNS1_29radix_sort_onesweep_iterationIS3_Lb1EPKS5_PS5_PS6_SC_mNS0_19identity_decomposerENS1_16block_id_wrapperIjLb0EEEEE10hipError_tT1_PNSt15iterator_traitsISH_E10value_typeET2_T3_PNSI_ISN_E10value_typeET4_T5_PSS_ST_PNS1_23onesweep_lookback_stateEbbT6_jjT7_P12ihipStream_tbENKUlT_T0_SH_SM_E_clISB_SB_SC_SC_EEDaS10_S11_SH_SM_EUlS10_E_NS1_11comp_targetILNS1_3genE9ELNS1_11target_archE1100ELNS1_3gpuE3ELNS1_3repE0EEENS1_47radix_sort_onesweep_sort_config_static_selectorELNS0_4arch9wavefront6targetE0EEEvSH_,@function
_ZN7rocprim17ROCPRIM_400000_NS6detail17trampoline_kernelINS0_14default_configENS1_35radix_sort_onesweep_config_selectorI6__halfNS0_10empty_typeEEEZZNS1_29radix_sort_onesweep_iterationIS3_Lb1EPKS5_PS5_PS6_SC_mNS0_19identity_decomposerENS1_16block_id_wrapperIjLb0EEEEE10hipError_tT1_PNSt15iterator_traitsISH_E10value_typeET2_T3_PNSI_ISN_E10value_typeET4_T5_PSS_ST_PNS1_23onesweep_lookback_stateEbbT6_jjT7_P12ihipStream_tbENKUlT_T0_SH_SM_E_clISB_SB_SC_SC_EEDaS10_S11_SH_SM_EUlS10_E_NS1_11comp_targetILNS1_3genE9ELNS1_11target_archE1100ELNS1_3gpuE3ELNS1_3repE0EEENS1_47radix_sort_onesweep_sort_config_static_selectorELNS0_4arch9wavefront6targetE0EEEvSH_: ; @_ZN7rocprim17ROCPRIM_400000_NS6detail17trampoline_kernelINS0_14default_configENS1_35radix_sort_onesweep_config_selectorI6__halfNS0_10empty_typeEEEZZNS1_29radix_sort_onesweep_iterationIS3_Lb1EPKS5_PS5_PS6_SC_mNS0_19identity_decomposerENS1_16block_id_wrapperIjLb0EEEEE10hipError_tT1_PNSt15iterator_traitsISH_E10value_typeET2_T3_PNSI_ISN_E10value_typeET4_T5_PSS_ST_PNS1_23onesweep_lookback_stateEbbT6_jjT7_P12ihipStream_tbENKUlT_T0_SH_SM_E_clISB_SB_SC_SC_EEDaS10_S11_SH_SM_EUlS10_E_NS1_11comp_targetILNS1_3genE9ELNS1_11target_archE1100ELNS1_3gpuE3ELNS1_3repE0EEENS1_47radix_sort_onesweep_sort_config_static_selectorELNS0_4arch9wavefront6targetE0EEEvSH_
; %bb.0:
	.section	.rodata,"a",@progbits
	.p2align	6, 0x0
	.amdhsa_kernel _ZN7rocprim17ROCPRIM_400000_NS6detail17trampoline_kernelINS0_14default_configENS1_35radix_sort_onesweep_config_selectorI6__halfNS0_10empty_typeEEEZZNS1_29radix_sort_onesweep_iterationIS3_Lb1EPKS5_PS5_PS6_SC_mNS0_19identity_decomposerENS1_16block_id_wrapperIjLb0EEEEE10hipError_tT1_PNSt15iterator_traitsISH_E10value_typeET2_T3_PNSI_ISN_E10value_typeET4_T5_PSS_ST_PNS1_23onesweep_lookback_stateEbbT6_jjT7_P12ihipStream_tbENKUlT_T0_SH_SM_E_clISB_SB_SC_SC_EEDaS10_S11_SH_SM_EUlS10_E_NS1_11comp_targetILNS1_3genE9ELNS1_11target_archE1100ELNS1_3gpuE3ELNS1_3repE0EEENS1_47radix_sort_onesweep_sort_config_static_selectorELNS0_4arch9wavefront6targetE0EEEvSH_
		.amdhsa_group_segment_fixed_size 0
		.amdhsa_private_segment_fixed_size 0
		.amdhsa_kernarg_size 88
		.amdhsa_user_sgpr_count 2
		.amdhsa_user_sgpr_dispatch_ptr 0
		.amdhsa_user_sgpr_queue_ptr 0
		.amdhsa_user_sgpr_kernarg_segment_ptr 1
		.amdhsa_user_sgpr_dispatch_id 0
		.amdhsa_user_sgpr_kernarg_preload_length 0
		.amdhsa_user_sgpr_kernarg_preload_offset 0
		.amdhsa_user_sgpr_private_segment_size 0
		.amdhsa_wavefront_size32 1
		.amdhsa_uses_dynamic_stack 0
		.amdhsa_enable_private_segment 0
		.amdhsa_system_sgpr_workgroup_id_x 1
		.amdhsa_system_sgpr_workgroup_id_y 0
		.amdhsa_system_sgpr_workgroup_id_z 0
		.amdhsa_system_sgpr_workgroup_info 0
		.amdhsa_system_vgpr_workitem_id 0
		.amdhsa_next_free_vgpr 1
		.amdhsa_next_free_sgpr 1
		.amdhsa_named_barrier_count 0
		.amdhsa_reserve_vcc 0
		.amdhsa_float_round_mode_32 0
		.amdhsa_float_round_mode_16_64 0
		.amdhsa_float_denorm_mode_32 3
		.amdhsa_float_denorm_mode_16_64 3
		.amdhsa_fp16_overflow 0
		.amdhsa_memory_ordered 1
		.amdhsa_forward_progress 1
		.amdhsa_inst_pref_size 0
		.amdhsa_round_robin_scheduling 0
		.amdhsa_exception_fp_ieee_invalid_op 0
		.amdhsa_exception_fp_denorm_src 0
		.amdhsa_exception_fp_ieee_div_zero 0
		.amdhsa_exception_fp_ieee_overflow 0
		.amdhsa_exception_fp_ieee_underflow 0
		.amdhsa_exception_fp_ieee_inexact 0
		.amdhsa_exception_int_div_zero 0
	.end_amdhsa_kernel
	.section	.text._ZN7rocprim17ROCPRIM_400000_NS6detail17trampoline_kernelINS0_14default_configENS1_35radix_sort_onesweep_config_selectorI6__halfNS0_10empty_typeEEEZZNS1_29radix_sort_onesweep_iterationIS3_Lb1EPKS5_PS5_PS6_SC_mNS0_19identity_decomposerENS1_16block_id_wrapperIjLb0EEEEE10hipError_tT1_PNSt15iterator_traitsISH_E10value_typeET2_T3_PNSI_ISN_E10value_typeET4_T5_PSS_ST_PNS1_23onesweep_lookback_stateEbbT6_jjT7_P12ihipStream_tbENKUlT_T0_SH_SM_E_clISB_SB_SC_SC_EEDaS10_S11_SH_SM_EUlS10_E_NS1_11comp_targetILNS1_3genE9ELNS1_11target_archE1100ELNS1_3gpuE3ELNS1_3repE0EEENS1_47radix_sort_onesweep_sort_config_static_selectorELNS0_4arch9wavefront6targetE0EEEvSH_,"axG",@progbits,_ZN7rocprim17ROCPRIM_400000_NS6detail17trampoline_kernelINS0_14default_configENS1_35radix_sort_onesweep_config_selectorI6__halfNS0_10empty_typeEEEZZNS1_29radix_sort_onesweep_iterationIS3_Lb1EPKS5_PS5_PS6_SC_mNS0_19identity_decomposerENS1_16block_id_wrapperIjLb0EEEEE10hipError_tT1_PNSt15iterator_traitsISH_E10value_typeET2_T3_PNSI_ISN_E10value_typeET4_T5_PSS_ST_PNS1_23onesweep_lookback_stateEbbT6_jjT7_P12ihipStream_tbENKUlT_T0_SH_SM_E_clISB_SB_SC_SC_EEDaS10_S11_SH_SM_EUlS10_E_NS1_11comp_targetILNS1_3genE9ELNS1_11target_archE1100ELNS1_3gpuE3ELNS1_3repE0EEENS1_47radix_sort_onesweep_sort_config_static_selectorELNS0_4arch9wavefront6targetE0EEEvSH_,comdat
.Lfunc_end2197:
	.size	_ZN7rocprim17ROCPRIM_400000_NS6detail17trampoline_kernelINS0_14default_configENS1_35radix_sort_onesweep_config_selectorI6__halfNS0_10empty_typeEEEZZNS1_29radix_sort_onesweep_iterationIS3_Lb1EPKS5_PS5_PS6_SC_mNS0_19identity_decomposerENS1_16block_id_wrapperIjLb0EEEEE10hipError_tT1_PNSt15iterator_traitsISH_E10value_typeET2_T3_PNSI_ISN_E10value_typeET4_T5_PSS_ST_PNS1_23onesweep_lookback_stateEbbT6_jjT7_P12ihipStream_tbENKUlT_T0_SH_SM_E_clISB_SB_SC_SC_EEDaS10_S11_SH_SM_EUlS10_E_NS1_11comp_targetILNS1_3genE9ELNS1_11target_archE1100ELNS1_3gpuE3ELNS1_3repE0EEENS1_47radix_sort_onesweep_sort_config_static_selectorELNS0_4arch9wavefront6targetE0EEEvSH_, .Lfunc_end2197-_ZN7rocprim17ROCPRIM_400000_NS6detail17trampoline_kernelINS0_14default_configENS1_35radix_sort_onesweep_config_selectorI6__halfNS0_10empty_typeEEEZZNS1_29radix_sort_onesweep_iterationIS3_Lb1EPKS5_PS5_PS6_SC_mNS0_19identity_decomposerENS1_16block_id_wrapperIjLb0EEEEE10hipError_tT1_PNSt15iterator_traitsISH_E10value_typeET2_T3_PNSI_ISN_E10value_typeET4_T5_PSS_ST_PNS1_23onesweep_lookback_stateEbbT6_jjT7_P12ihipStream_tbENKUlT_T0_SH_SM_E_clISB_SB_SC_SC_EEDaS10_S11_SH_SM_EUlS10_E_NS1_11comp_targetILNS1_3genE9ELNS1_11target_archE1100ELNS1_3gpuE3ELNS1_3repE0EEENS1_47radix_sort_onesweep_sort_config_static_selectorELNS0_4arch9wavefront6targetE0EEEvSH_
                                        ; -- End function
	.set _ZN7rocprim17ROCPRIM_400000_NS6detail17trampoline_kernelINS0_14default_configENS1_35radix_sort_onesweep_config_selectorI6__halfNS0_10empty_typeEEEZZNS1_29radix_sort_onesweep_iterationIS3_Lb1EPKS5_PS5_PS6_SC_mNS0_19identity_decomposerENS1_16block_id_wrapperIjLb0EEEEE10hipError_tT1_PNSt15iterator_traitsISH_E10value_typeET2_T3_PNSI_ISN_E10value_typeET4_T5_PSS_ST_PNS1_23onesweep_lookback_stateEbbT6_jjT7_P12ihipStream_tbENKUlT_T0_SH_SM_E_clISB_SB_SC_SC_EEDaS10_S11_SH_SM_EUlS10_E_NS1_11comp_targetILNS1_3genE9ELNS1_11target_archE1100ELNS1_3gpuE3ELNS1_3repE0EEENS1_47radix_sort_onesweep_sort_config_static_selectorELNS0_4arch9wavefront6targetE0EEEvSH_.num_vgpr, 0
	.set _ZN7rocprim17ROCPRIM_400000_NS6detail17trampoline_kernelINS0_14default_configENS1_35radix_sort_onesweep_config_selectorI6__halfNS0_10empty_typeEEEZZNS1_29radix_sort_onesweep_iterationIS3_Lb1EPKS5_PS5_PS6_SC_mNS0_19identity_decomposerENS1_16block_id_wrapperIjLb0EEEEE10hipError_tT1_PNSt15iterator_traitsISH_E10value_typeET2_T3_PNSI_ISN_E10value_typeET4_T5_PSS_ST_PNS1_23onesweep_lookback_stateEbbT6_jjT7_P12ihipStream_tbENKUlT_T0_SH_SM_E_clISB_SB_SC_SC_EEDaS10_S11_SH_SM_EUlS10_E_NS1_11comp_targetILNS1_3genE9ELNS1_11target_archE1100ELNS1_3gpuE3ELNS1_3repE0EEENS1_47radix_sort_onesweep_sort_config_static_selectorELNS0_4arch9wavefront6targetE0EEEvSH_.num_agpr, 0
	.set _ZN7rocprim17ROCPRIM_400000_NS6detail17trampoline_kernelINS0_14default_configENS1_35radix_sort_onesweep_config_selectorI6__halfNS0_10empty_typeEEEZZNS1_29radix_sort_onesweep_iterationIS3_Lb1EPKS5_PS5_PS6_SC_mNS0_19identity_decomposerENS1_16block_id_wrapperIjLb0EEEEE10hipError_tT1_PNSt15iterator_traitsISH_E10value_typeET2_T3_PNSI_ISN_E10value_typeET4_T5_PSS_ST_PNS1_23onesweep_lookback_stateEbbT6_jjT7_P12ihipStream_tbENKUlT_T0_SH_SM_E_clISB_SB_SC_SC_EEDaS10_S11_SH_SM_EUlS10_E_NS1_11comp_targetILNS1_3genE9ELNS1_11target_archE1100ELNS1_3gpuE3ELNS1_3repE0EEENS1_47radix_sort_onesweep_sort_config_static_selectorELNS0_4arch9wavefront6targetE0EEEvSH_.numbered_sgpr, 0
	.set _ZN7rocprim17ROCPRIM_400000_NS6detail17trampoline_kernelINS0_14default_configENS1_35radix_sort_onesweep_config_selectorI6__halfNS0_10empty_typeEEEZZNS1_29radix_sort_onesweep_iterationIS3_Lb1EPKS5_PS5_PS6_SC_mNS0_19identity_decomposerENS1_16block_id_wrapperIjLb0EEEEE10hipError_tT1_PNSt15iterator_traitsISH_E10value_typeET2_T3_PNSI_ISN_E10value_typeET4_T5_PSS_ST_PNS1_23onesweep_lookback_stateEbbT6_jjT7_P12ihipStream_tbENKUlT_T0_SH_SM_E_clISB_SB_SC_SC_EEDaS10_S11_SH_SM_EUlS10_E_NS1_11comp_targetILNS1_3genE9ELNS1_11target_archE1100ELNS1_3gpuE3ELNS1_3repE0EEENS1_47radix_sort_onesweep_sort_config_static_selectorELNS0_4arch9wavefront6targetE0EEEvSH_.num_named_barrier, 0
	.set _ZN7rocprim17ROCPRIM_400000_NS6detail17trampoline_kernelINS0_14default_configENS1_35radix_sort_onesweep_config_selectorI6__halfNS0_10empty_typeEEEZZNS1_29radix_sort_onesweep_iterationIS3_Lb1EPKS5_PS5_PS6_SC_mNS0_19identity_decomposerENS1_16block_id_wrapperIjLb0EEEEE10hipError_tT1_PNSt15iterator_traitsISH_E10value_typeET2_T3_PNSI_ISN_E10value_typeET4_T5_PSS_ST_PNS1_23onesweep_lookback_stateEbbT6_jjT7_P12ihipStream_tbENKUlT_T0_SH_SM_E_clISB_SB_SC_SC_EEDaS10_S11_SH_SM_EUlS10_E_NS1_11comp_targetILNS1_3genE9ELNS1_11target_archE1100ELNS1_3gpuE3ELNS1_3repE0EEENS1_47radix_sort_onesweep_sort_config_static_selectorELNS0_4arch9wavefront6targetE0EEEvSH_.private_seg_size, 0
	.set _ZN7rocprim17ROCPRIM_400000_NS6detail17trampoline_kernelINS0_14default_configENS1_35radix_sort_onesweep_config_selectorI6__halfNS0_10empty_typeEEEZZNS1_29radix_sort_onesweep_iterationIS3_Lb1EPKS5_PS5_PS6_SC_mNS0_19identity_decomposerENS1_16block_id_wrapperIjLb0EEEEE10hipError_tT1_PNSt15iterator_traitsISH_E10value_typeET2_T3_PNSI_ISN_E10value_typeET4_T5_PSS_ST_PNS1_23onesweep_lookback_stateEbbT6_jjT7_P12ihipStream_tbENKUlT_T0_SH_SM_E_clISB_SB_SC_SC_EEDaS10_S11_SH_SM_EUlS10_E_NS1_11comp_targetILNS1_3genE9ELNS1_11target_archE1100ELNS1_3gpuE3ELNS1_3repE0EEENS1_47radix_sort_onesweep_sort_config_static_selectorELNS0_4arch9wavefront6targetE0EEEvSH_.uses_vcc, 0
	.set _ZN7rocprim17ROCPRIM_400000_NS6detail17trampoline_kernelINS0_14default_configENS1_35radix_sort_onesweep_config_selectorI6__halfNS0_10empty_typeEEEZZNS1_29radix_sort_onesweep_iterationIS3_Lb1EPKS5_PS5_PS6_SC_mNS0_19identity_decomposerENS1_16block_id_wrapperIjLb0EEEEE10hipError_tT1_PNSt15iterator_traitsISH_E10value_typeET2_T3_PNSI_ISN_E10value_typeET4_T5_PSS_ST_PNS1_23onesweep_lookback_stateEbbT6_jjT7_P12ihipStream_tbENKUlT_T0_SH_SM_E_clISB_SB_SC_SC_EEDaS10_S11_SH_SM_EUlS10_E_NS1_11comp_targetILNS1_3genE9ELNS1_11target_archE1100ELNS1_3gpuE3ELNS1_3repE0EEENS1_47radix_sort_onesweep_sort_config_static_selectorELNS0_4arch9wavefront6targetE0EEEvSH_.uses_flat_scratch, 0
	.set _ZN7rocprim17ROCPRIM_400000_NS6detail17trampoline_kernelINS0_14default_configENS1_35radix_sort_onesweep_config_selectorI6__halfNS0_10empty_typeEEEZZNS1_29radix_sort_onesweep_iterationIS3_Lb1EPKS5_PS5_PS6_SC_mNS0_19identity_decomposerENS1_16block_id_wrapperIjLb0EEEEE10hipError_tT1_PNSt15iterator_traitsISH_E10value_typeET2_T3_PNSI_ISN_E10value_typeET4_T5_PSS_ST_PNS1_23onesweep_lookback_stateEbbT6_jjT7_P12ihipStream_tbENKUlT_T0_SH_SM_E_clISB_SB_SC_SC_EEDaS10_S11_SH_SM_EUlS10_E_NS1_11comp_targetILNS1_3genE9ELNS1_11target_archE1100ELNS1_3gpuE3ELNS1_3repE0EEENS1_47radix_sort_onesweep_sort_config_static_selectorELNS0_4arch9wavefront6targetE0EEEvSH_.has_dyn_sized_stack, 0
	.set _ZN7rocprim17ROCPRIM_400000_NS6detail17trampoline_kernelINS0_14default_configENS1_35radix_sort_onesweep_config_selectorI6__halfNS0_10empty_typeEEEZZNS1_29radix_sort_onesweep_iterationIS3_Lb1EPKS5_PS5_PS6_SC_mNS0_19identity_decomposerENS1_16block_id_wrapperIjLb0EEEEE10hipError_tT1_PNSt15iterator_traitsISH_E10value_typeET2_T3_PNSI_ISN_E10value_typeET4_T5_PSS_ST_PNS1_23onesweep_lookback_stateEbbT6_jjT7_P12ihipStream_tbENKUlT_T0_SH_SM_E_clISB_SB_SC_SC_EEDaS10_S11_SH_SM_EUlS10_E_NS1_11comp_targetILNS1_3genE9ELNS1_11target_archE1100ELNS1_3gpuE3ELNS1_3repE0EEENS1_47radix_sort_onesweep_sort_config_static_selectorELNS0_4arch9wavefront6targetE0EEEvSH_.has_recursion, 0
	.set _ZN7rocprim17ROCPRIM_400000_NS6detail17trampoline_kernelINS0_14default_configENS1_35radix_sort_onesweep_config_selectorI6__halfNS0_10empty_typeEEEZZNS1_29radix_sort_onesweep_iterationIS3_Lb1EPKS5_PS5_PS6_SC_mNS0_19identity_decomposerENS1_16block_id_wrapperIjLb0EEEEE10hipError_tT1_PNSt15iterator_traitsISH_E10value_typeET2_T3_PNSI_ISN_E10value_typeET4_T5_PSS_ST_PNS1_23onesweep_lookback_stateEbbT6_jjT7_P12ihipStream_tbENKUlT_T0_SH_SM_E_clISB_SB_SC_SC_EEDaS10_S11_SH_SM_EUlS10_E_NS1_11comp_targetILNS1_3genE9ELNS1_11target_archE1100ELNS1_3gpuE3ELNS1_3repE0EEENS1_47radix_sort_onesweep_sort_config_static_selectorELNS0_4arch9wavefront6targetE0EEEvSH_.has_indirect_call, 0
	.section	.AMDGPU.csdata,"",@progbits
; Kernel info:
; codeLenInByte = 0
; TotalNumSgprs: 0
; NumVgprs: 0
; ScratchSize: 0
; MemoryBound: 0
; FloatMode: 240
; IeeeMode: 1
; LDSByteSize: 0 bytes/workgroup (compile time only)
; SGPRBlocks: 0
; VGPRBlocks: 0
; NumSGPRsForWavesPerEU: 1
; NumVGPRsForWavesPerEU: 1
; NamedBarCnt: 0
; Occupancy: 16
; WaveLimiterHint : 0
; COMPUTE_PGM_RSRC2:SCRATCH_EN: 0
; COMPUTE_PGM_RSRC2:USER_SGPR: 2
; COMPUTE_PGM_RSRC2:TRAP_HANDLER: 0
; COMPUTE_PGM_RSRC2:TGID_X_EN: 1
; COMPUTE_PGM_RSRC2:TGID_Y_EN: 0
; COMPUTE_PGM_RSRC2:TGID_Z_EN: 0
; COMPUTE_PGM_RSRC2:TIDIG_COMP_CNT: 0
	.section	.text._ZN7rocprim17ROCPRIM_400000_NS6detail17trampoline_kernelINS0_14default_configENS1_35radix_sort_onesweep_config_selectorI6__halfNS0_10empty_typeEEEZZNS1_29radix_sort_onesweep_iterationIS3_Lb1EPKS5_PS5_PS6_SC_mNS0_19identity_decomposerENS1_16block_id_wrapperIjLb0EEEEE10hipError_tT1_PNSt15iterator_traitsISH_E10value_typeET2_T3_PNSI_ISN_E10value_typeET4_T5_PSS_ST_PNS1_23onesweep_lookback_stateEbbT6_jjT7_P12ihipStream_tbENKUlT_T0_SH_SM_E_clISB_SB_SC_SC_EEDaS10_S11_SH_SM_EUlS10_E_NS1_11comp_targetILNS1_3genE8ELNS1_11target_archE1030ELNS1_3gpuE2ELNS1_3repE0EEENS1_47radix_sort_onesweep_sort_config_static_selectorELNS0_4arch9wavefront6targetE0EEEvSH_,"axG",@progbits,_ZN7rocprim17ROCPRIM_400000_NS6detail17trampoline_kernelINS0_14default_configENS1_35radix_sort_onesweep_config_selectorI6__halfNS0_10empty_typeEEEZZNS1_29radix_sort_onesweep_iterationIS3_Lb1EPKS5_PS5_PS6_SC_mNS0_19identity_decomposerENS1_16block_id_wrapperIjLb0EEEEE10hipError_tT1_PNSt15iterator_traitsISH_E10value_typeET2_T3_PNSI_ISN_E10value_typeET4_T5_PSS_ST_PNS1_23onesweep_lookback_stateEbbT6_jjT7_P12ihipStream_tbENKUlT_T0_SH_SM_E_clISB_SB_SC_SC_EEDaS10_S11_SH_SM_EUlS10_E_NS1_11comp_targetILNS1_3genE8ELNS1_11target_archE1030ELNS1_3gpuE2ELNS1_3repE0EEENS1_47radix_sort_onesweep_sort_config_static_selectorELNS0_4arch9wavefront6targetE0EEEvSH_,comdat
	.protected	_ZN7rocprim17ROCPRIM_400000_NS6detail17trampoline_kernelINS0_14default_configENS1_35radix_sort_onesweep_config_selectorI6__halfNS0_10empty_typeEEEZZNS1_29radix_sort_onesweep_iterationIS3_Lb1EPKS5_PS5_PS6_SC_mNS0_19identity_decomposerENS1_16block_id_wrapperIjLb0EEEEE10hipError_tT1_PNSt15iterator_traitsISH_E10value_typeET2_T3_PNSI_ISN_E10value_typeET4_T5_PSS_ST_PNS1_23onesweep_lookback_stateEbbT6_jjT7_P12ihipStream_tbENKUlT_T0_SH_SM_E_clISB_SB_SC_SC_EEDaS10_S11_SH_SM_EUlS10_E_NS1_11comp_targetILNS1_3genE8ELNS1_11target_archE1030ELNS1_3gpuE2ELNS1_3repE0EEENS1_47radix_sort_onesweep_sort_config_static_selectorELNS0_4arch9wavefront6targetE0EEEvSH_ ; -- Begin function _ZN7rocprim17ROCPRIM_400000_NS6detail17trampoline_kernelINS0_14default_configENS1_35radix_sort_onesweep_config_selectorI6__halfNS0_10empty_typeEEEZZNS1_29radix_sort_onesweep_iterationIS3_Lb1EPKS5_PS5_PS6_SC_mNS0_19identity_decomposerENS1_16block_id_wrapperIjLb0EEEEE10hipError_tT1_PNSt15iterator_traitsISH_E10value_typeET2_T3_PNSI_ISN_E10value_typeET4_T5_PSS_ST_PNS1_23onesweep_lookback_stateEbbT6_jjT7_P12ihipStream_tbENKUlT_T0_SH_SM_E_clISB_SB_SC_SC_EEDaS10_S11_SH_SM_EUlS10_E_NS1_11comp_targetILNS1_3genE8ELNS1_11target_archE1030ELNS1_3gpuE2ELNS1_3repE0EEENS1_47radix_sort_onesweep_sort_config_static_selectorELNS0_4arch9wavefront6targetE0EEEvSH_
	.globl	_ZN7rocprim17ROCPRIM_400000_NS6detail17trampoline_kernelINS0_14default_configENS1_35radix_sort_onesweep_config_selectorI6__halfNS0_10empty_typeEEEZZNS1_29radix_sort_onesweep_iterationIS3_Lb1EPKS5_PS5_PS6_SC_mNS0_19identity_decomposerENS1_16block_id_wrapperIjLb0EEEEE10hipError_tT1_PNSt15iterator_traitsISH_E10value_typeET2_T3_PNSI_ISN_E10value_typeET4_T5_PSS_ST_PNS1_23onesweep_lookback_stateEbbT6_jjT7_P12ihipStream_tbENKUlT_T0_SH_SM_E_clISB_SB_SC_SC_EEDaS10_S11_SH_SM_EUlS10_E_NS1_11comp_targetILNS1_3genE8ELNS1_11target_archE1030ELNS1_3gpuE2ELNS1_3repE0EEENS1_47radix_sort_onesweep_sort_config_static_selectorELNS0_4arch9wavefront6targetE0EEEvSH_
	.p2align	8
	.type	_ZN7rocprim17ROCPRIM_400000_NS6detail17trampoline_kernelINS0_14default_configENS1_35radix_sort_onesweep_config_selectorI6__halfNS0_10empty_typeEEEZZNS1_29radix_sort_onesweep_iterationIS3_Lb1EPKS5_PS5_PS6_SC_mNS0_19identity_decomposerENS1_16block_id_wrapperIjLb0EEEEE10hipError_tT1_PNSt15iterator_traitsISH_E10value_typeET2_T3_PNSI_ISN_E10value_typeET4_T5_PSS_ST_PNS1_23onesweep_lookback_stateEbbT6_jjT7_P12ihipStream_tbENKUlT_T0_SH_SM_E_clISB_SB_SC_SC_EEDaS10_S11_SH_SM_EUlS10_E_NS1_11comp_targetILNS1_3genE8ELNS1_11target_archE1030ELNS1_3gpuE2ELNS1_3repE0EEENS1_47radix_sort_onesweep_sort_config_static_selectorELNS0_4arch9wavefront6targetE0EEEvSH_,@function
_ZN7rocprim17ROCPRIM_400000_NS6detail17trampoline_kernelINS0_14default_configENS1_35radix_sort_onesweep_config_selectorI6__halfNS0_10empty_typeEEEZZNS1_29radix_sort_onesweep_iterationIS3_Lb1EPKS5_PS5_PS6_SC_mNS0_19identity_decomposerENS1_16block_id_wrapperIjLb0EEEEE10hipError_tT1_PNSt15iterator_traitsISH_E10value_typeET2_T3_PNSI_ISN_E10value_typeET4_T5_PSS_ST_PNS1_23onesweep_lookback_stateEbbT6_jjT7_P12ihipStream_tbENKUlT_T0_SH_SM_E_clISB_SB_SC_SC_EEDaS10_S11_SH_SM_EUlS10_E_NS1_11comp_targetILNS1_3genE8ELNS1_11target_archE1030ELNS1_3gpuE2ELNS1_3repE0EEENS1_47radix_sort_onesweep_sort_config_static_selectorELNS0_4arch9wavefront6targetE0EEEvSH_: ; @_ZN7rocprim17ROCPRIM_400000_NS6detail17trampoline_kernelINS0_14default_configENS1_35radix_sort_onesweep_config_selectorI6__halfNS0_10empty_typeEEEZZNS1_29radix_sort_onesweep_iterationIS3_Lb1EPKS5_PS5_PS6_SC_mNS0_19identity_decomposerENS1_16block_id_wrapperIjLb0EEEEE10hipError_tT1_PNSt15iterator_traitsISH_E10value_typeET2_T3_PNSI_ISN_E10value_typeET4_T5_PSS_ST_PNS1_23onesweep_lookback_stateEbbT6_jjT7_P12ihipStream_tbENKUlT_T0_SH_SM_E_clISB_SB_SC_SC_EEDaS10_S11_SH_SM_EUlS10_E_NS1_11comp_targetILNS1_3genE8ELNS1_11target_archE1030ELNS1_3gpuE2ELNS1_3repE0EEENS1_47radix_sort_onesweep_sort_config_static_selectorELNS0_4arch9wavefront6targetE0EEEvSH_
; %bb.0:
	.section	.rodata,"a",@progbits
	.p2align	6, 0x0
	.amdhsa_kernel _ZN7rocprim17ROCPRIM_400000_NS6detail17trampoline_kernelINS0_14default_configENS1_35radix_sort_onesweep_config_selectorI6__halfNS0_10empty_typeEEEZZNS1_29radix_sort_onesweep_iterationIS3_Lb1EPKS5_PS5_PS6_SC_mNS0_19identity_decomposerENS1_16block_id_wrapperIjLb0EEEEE10hipError_tT1_PNSt15iterator_traitsISH_E10value_typeET2_T3_PNSI_ISN_E10value_typeET4_T5_PSS_ST_PNS1_23onesweep_lookback_stateEbbT6_jjT7_P12ihipStream_tbENKUlT_T0_SH_SM_E_clISB_SB_SC_SC_EEDaS10_S11_SH_SM_EUlS10_E_NS1_11comp_targetILNS1_3genE8ELNS1_11target_archE1030ELNS1_3gpuE2ELNS1_3repE0EEENS1_47radix_sort_onesweep_sort_config_static_selectorELNS0_4arch9wavefront6targetE0EEEvSH_
		.amdhsa_group_segment_fixed_size 0
		.amdhsa_private_segment_fixed_size 0
		.amdhsa_kernarg_size 88
		.amdhsa_user_sgpr_count 2
		.amdhsa_user_sgpr_dispatch_ptr 0
		.amdhsa_user_sgpr_queue_ptr 0
		.amdhsa_user_sgpr_kernarg_segment_ptr 1
		.amdhsa_user_sgpr_dispatch_id 0
		.amdhsa_user_sgpr_kernarg_preload_length 0
		.amdhsa_user_sgpr_kernarg_preload_offset 0
		.amdhsa_user_sgpr_private_segment_size 0
		.amdhsa_wavefront_size32 1
		.amdhsa_uses_dynamic_stack 0
		.amdhsa_enable_private_segment 0
		.amdhsa_system_sgpr_workgroup_id_x 1
		.amdhsa_system_sgpr_workgroup_id_y 0
		.amdhsa_system_sgpr_workgroup_id_z 0
		.amdhsa_system_sgpr_workgroup_info 0
		.amdhsa_system_vgpr_workitem_id 0
		.amdhsa_next_free_vgpr 1
		.amdhsa_next_free_sgpr 1
		.amdhsa_named_barrier_count 0
		.amdhsa_reserve_vcc 0
		.amdhsa_float_round_mode_32 0
		.amdhsa_float_round_mode_16_64 0
		.amdhsa_float_denorm_mode_32 3
		.amdhsa_float_denorm_mode_16_64 3
		.amdhsa_fp16_overflow 0
		.amdhsa_memory_ordered 1
		.amdhsa_forward_progress 1
		.amdhsa_inst_pref_size 0
		.amdhsa_round_robin_scheduling 0
		.amdhsa_exception_fp_ieee_invalid_op 0
		.amdhsa_exception_fp_denorm_src 0
		.amdhsa_exception_fp_ieee_div_zero 0
		.amdhsa_exception_fp_ieee_overflow 0
		.amdhsa_exception_fp_ieee_underflow 0
		.amdhsa_exception_fp_ieee_inexact 0
		.amdhsa_exception_int_div_zero 0
	.end_amdhsa_kernel
	.section	.text._ZN7rocprim17ROCPRIM_400000_NS6detail17trampoline_kernelINS0_14default_configENS1_35radix_sort_onesweep_config_selectorI6__halfNS0_10empty_typeEEEZZNS1_29radix_sort_onesweep_iterationIS3_Lb1EPKS5_PS5_PS6_SC_mNS0_19identity_decomposerENS1_16block_id_wrapperIjLb0EEEEE10hipError_tT1_PNSt15iterator_traitsISH_E10value_typeET2_T3_PNSI_ISN_E10value_typeET4_T5_PSS_ST_PNS1_23onesweep_lookback_stateEbbT6_jjT7_P12ihipStream_tbENKUlT_T0_SH_SM_E_clISB_SB_SC_SC_EEDaS10_S11_SH_SM_EUlS10_E_NS1_11comp_targetILNS1_3genE8ELNS1_11target_archE1030ELNS1_3gpuE2ELNS1_3repE0EEENS1_47radix_sort_onesweep_sort_config_static_selectorELNS0_4arch9wavefront6targetE0EEEvSH_,"axG",@progbits,_ZN7rocprim17ROCPRIM_400000_NS6detail17trampoline_kernelINS0_14default_configENS1_35radix_sort_onesweep_config_selectorI6__halfNS0_10empty_typeEEEZZNS1_29radix_sort_onesweep_iterationIS3_Lb1EPKS5_PS5_PS6_SC_mNS0_19identity_decomposerENS1_16block_id_wrapperIjLb0EEEEE10hipError_tT1_PNSt15iterator_traitsISH_E10value_typeET2_T3_PNSI_ISN_E10value_typeET4_T5_PSS_ST_PNS1_23onesweep_lookback_stateEbbT6_jjT7_P12ihipStream_tbENKUlT_T0_SH_SM_E_clISB_SB_SC_SC_EEDaS10_S11_SH_SM_EUlS10_E_NS1_11comp_targetILNS1_3genE8ELNS1_11target_archE1030ELNS1_3gpuE2ELNS1_3repE0EEENS1_47radix_sort_onesweep_sort_config_static_selectorELNS0_4arch9wavefront6targetE0EEEvSH_,comdat
.Lfunc_end2198:
	.size	_ZN7rocprim17ROCPRIM_400000_NS6detail17trampoline_kernelINS0_14default_configENS1_35radix_sort_onesweep_config_selectorI6__halfNS0_10empty_typeEEEZZNS1_29radix_sort_onesweep_iterationIS3_Lb1EPKS5_PS5_PS6_SC_mNS0_19identity_decomposerENS1_16block_id_wrapperIjLb0EEEEE10hipError_tT1_PNSt15iterator_traitsISH_E10value_typeET2_T3_PNSI_ISN_E10value_typeET4_T5_PSS_ST_PNS1_23onesweep_lookback_stateEbbT6_jjT7_P12ihipStream_tbENKUlT_T0_SH_SM_E_clISB_SB_SC_SC_EEDaS10_S11_SH_SM_EUlS10_E_NS1_11comp_targetILNS1_3genE8ELNS1_11target_archE1030ELNS1_3gpuE2ELNS1_3repE0EEENS1_47radix_sort_onesweep_sort_config_static_selectorELNS0_4arch9wavefront6targetE0EEEvSH_, .Lfunc_end2198-_ZN7rocprim17ROCPRIM_400000_NS6detail17trampoline_kernelINS0_14default_configENS1_35radix_sort_onesweep_config_selectorI6__halfNS0_10empty_typeEEEZZNS1_29radix_sort_onesweep_iterationIS3_Lb1EPKS5_PS5_PS6_SC_mNS0_19identity_decomposerENS1_16block_id_wrapperIjLb0EEEEE10hipError_tT1_PNSt15iterator_traitsISH_E10value_typeET2_T3_PNSI_ISN_E10value_typeET4_T5_PSS_ST_PNS1_23onesweep_lookback_stateEbbT6_jjT7_P12ihipStream_tbENKUlT_T0_SH_SM_E_clISB_SB_SC_SC_EEDaS10_S11_SH_SM_EUlS10_E_NS1_11comp_targetILNS1_3genE8ELNS1_11target_archE1030ELNS1_3gpuE2ELNS1_3repE0EEENS1_47radix_sort_onesweep_sort_config_static_selectorELNS0_4arch9wavefront6targetE0EEEvSH_
                                        ; -- End function
	.set _ZN7rocprim17ROCPRIM_400000_NS6detail17trampoline_kernelINS0_14default_configENS1_35radix_sort_onesweep_config_selectorI6__halfNS0_10empty_typeEEEZZNS1_29radix_sort_onesweep_iterationIS3_Lb1EPKS5_PS5_PS6_SC_mNS0_19identity_decomposerENS1_16block_id_wrapperIjLb0EEEEE10hipError_tT1_PNSt15iterator_traitsISH_E10value_typeET2_T3_PNSI_ISN_E10value_typeET4_T5_PSS_ST_PNS1_23onesweep_lookback_stateEbbT6_jjT7_P12ihipStream_tbENKUlT_T0_SH_SM_E_clISB_SB_SC_SC_EEDaS10_S11_SH_SM_EUlS10_E_NS1_11comp_targetILNS1_3genE8ELNS1_11target_archE1030ELNS1_3gpuE2ELNS1_3repE0EEENS1_47radix_sort_onesweep_sort_config_static_selectorELNS0_4arch9wavefront6targetE0EEEvSH_.num_vgpr, 0
	.set _ZN7rocprim17ROCPRIM_400000_NS6detail17trampoline_kernelINS0_14default_configENS1_35radix_sort_onesweep_config_selectorI6__halfNS0_10empty_typeEEEZZNS1_29radix_sort_onesweep_iterationIS3_Lb1EPKS5_PS5_PS6_SC_mNS0_19identity_decomposerENS1_16block_id_wrapperIjLb0EEEEE10hipError_tT1_PNSt15iterator_traitsISH_E10value_typeET2_T3_PNSI_ISN_E10value_typeET4_T5_PSS_ST_PNS1_23onesweep_lookback_stateEbbT6_jjT7_P12ihipStream_tbENKUlT_T0_SH_SM_E_clISB_SB_SC_SC_EEDaS10_S11_SH_SM_EUlS10_E_NS1_11comp_targetILNS1_3genE8ELNS1_11target_archE1030ELNS1_3gpuE2ELNS1_3repE0EEENS1_47radix_sort_onesweep_sort_config_static_selectorELNS0_4arch9wavefront6targetE0EEEvSH_.num_agpr, 0
	.set _ZN7rocprim17ROCPRIM_400000_NS6detail17trampoline_kernelINS0_14default_configENS1_35radix_sort_onesweep_config_selectorI6__halfNS0_10empty_typeEEEZZNS1_29radix_sort_onesweep_iterationIS3_Lb1EPKS5_PS5_PS6_SC_mNS0_19identity_decomposerENS1_16block_id_wrapperIjLb0EEEEE10hipError_tT1_PNSt15iterator_traitsISH_E10value_typeET2_T3_PNSI_ISN_E10value_typeET4_T5_PSS_ST_PNS1_23onesweep_lookback_stateEbbT6_jjT7_P12ihipStream_tbENKUlT_T0_SH_SM_E_clISB_SB_SC_SC_EEDaS10_S11_SH_SM_EUlS10_E_NS1_11comp_targetILNS1_3genE8ELNS1_11target_archE1030ELNS1_3gpuE2ELNS1_3repE0EEENS1_47radix_sort_onesweep_sort_config_static_selectorELNS0_4arch9wavefront6targetE0EEEvSH_.numbered_sgpr, 0
	.set _ZN7rocprim17ROCPRIM_400000_NS6detail17trampoline_kernelINS0_14default_configENS1_35radix_sort_onesweep_config_selectorI6__halfNS0_10empty_typeEEEZZNS1_29radix_sort_onesweep_iterationIS3_Lb1EPKS5_PS5_PS6_SC_mNS0_19identity_decomposerENS1_16block_id_wrapperIjLb0EEEEE10hipError_tT1_PNSt15iterator_traitsISH_E10value_typeET2_T3_PNSI_ISN_E10value_typeET4_T5_PSS_ST_PNS1_23onesweep_lookback_stateEbbT6_jjT7_P12ihipStream_tbENKUlT_T0_SH_SM_E_clISB_SB_SC_SC_EEDaS10_S11_SH_SM_EUlS10_E_NS1_11comp_targetILNS1_3genE8ELNS1_11target_archE1030ELNS1_3gpuE2ELNS1_3repE0EEENS1_47radix_sort_onesweep_sort_config_static_selectorELNS0_4arch9wavefront6targetE0EEEvSH_.num_named_barrier, 0
	.set _ZN7rocprim17ROCPRIM_400000_NS6detail17trampoline_kernelINS0_14default_configENS1_35radix_sort_onesweep_config_selectorI6__halfNS0_10empty_typeEEEZZNS1_29radix_sort_onesweep_iterationIS3_Lb1EPKS5_PS5_PS6_SC_mNS0_19identity_decomposerENS1_16block_id_wrapperIjLb0EEEEE10hipError_tT1_PNSt15iterator_traitsISH_E10value_typeET2_T3_PNSI_ISN_E10value_typeET4_T5_PSS_ST_PNS1_23onesweep_lookback_stateEbbT6_jjT7_P12ihipStream_tbENKUlT_T0_SH_SM_E_clISB_SB_SC_SC_EEDaS10_S11_SH_SM_EUlS10_E_NS1_11comp_targetILNS1_3genE8ELNS1_11target_archE1030ELNS1_3gpuE2ELNS1_3repE0EEENS1_47radix_sort_onesweep_sort_config_static_selectorELNS0_4arch9wavefront6targetE0EEEvSH_.private_seg_size, 0
	.set _ZN7rocprim17ROCPRIM_400000_NS6detail17trampoline_kernelINS0_14default_configENS1_35radix_sort_onesweep_config_selectorI6__halfNS0_10empty_typeEEEZZNS1_29radix_sort_onesweep_iterationIS3_Lb1EPKS5_PS5_PS6_SC_mNS0_19identity_decomposerENS1_16block_id_wrapperIjLb0EEEEE10hipError_tT1_PNSt15iterator_traitsISH_E10value_typeET2_T3_PNSI_ISN_E10value_typeET4_T5_PSS_ST_PNS1_23onesweep_lookback_stateEbbT6_jjT7_P12ihipStream_tbENKUlT_T0_SH_SM_E_clISB_SB_SC_SC_EEDaS10_S11_SH_SM_EUlS10_E_NS1_11comp_targetILNS1_3genE8ELNS1_11target_archE1030ELNS1_3gpuE2ELNS1_3repE0EEENS1_47radix_sort_onesweep_sort_config_static_selectorELNS0_4arch9wavefront6targetE0EEEvSH_.uses_vcc, 0
	.set _ZN7rocprim17ROCPRIM_400000_NS6detail17trampoline_kernelINS0_14default_configENS1_35radix_sort_onesweep_config_selectorI6__halfNS0_10empty_typeEEEZZNS1_29radix_sort_onesweep_iterationIS3_Lb1EPKS5_PS5_PS6_SC_mNS0_19identity_decomposerENS1_16block_id_wrapperIjLb0EEEEE10hipError_tT1_PNSt15iterator_traitsISH_E10value_typeET2_T3_PNSI_ISN_E10value_typeET4_T5_PSS_ST_PNS1_23onesweep_lookback_stateEbbT6_jjT7_P12ihipStream_tbENKUlT_T0_SH_SM_E_clISB_SB_SC_SC_EEDaS10_S11_SH_SM_EUlS10_E_NS1_11comp_targetILNS1_3genE8ELNS1_11target_archE1030ELNS1_3gpuE2ELNS1_3repE0EEENS1_47radix_sort_onesweep_sort_config_static_selectorELNS0_4arch9wavefront6targetE0EEEvSH_.uses_flat_scratch, 0
	.set _ZN7rocprim17ROCPRIM_400000_NS6detail17trampoline_kernelINS0_14default_configENS1_35radix_sort_onesweep_config_selectorI6__halfNS0_10empty_typeEEEZZNS1_29radix_sort_onesweep_iterationIS3_Lb1EPKS5_PS5_PS6_SC_mNS0_19identity_decomposerENS1_16block_id_wrapperIjLb0EEEEE10hipError_tT1_PNSt15iterator_traitsISH_E10value_typeET2_T3_PNSI_ISN_E10value_typeET4_T5_PSS_ST_PNS1_23onesweep_lookback_stateEbbT6_jjT7_P12ihipStream_tbENKUlT_T0_SH_SM_E_clISB_SB_SC_SC_EEDaS10_S11_SH_SM_EUlS10_E_NS1_11comp_targetILNS1_3genE8ELNS1_11target_archE1030ELNS1_3gpuE2ELNS1_3repE0EEENS1_47radix_sort_onesweep_sort_config_static_selectorELNS0_4arch9wavefront6targetE0EEEvSH_.has_dyn_sized_stack, 0
	.set _ZN7rocprim17ROCPRIM_400000_NS6detail17trampoline_kernelINS0_14default_configENS1_35radix_sort_onesweep_config_selectorI6__halfNS0_10empty_typeEEEZZNS1_29radix_sort_onesweep_iterationIS3_Lb1EPKS5_PS5_PS6_SC_mNS0_19identity_decomposerENS1_16block_id_wrapperIjLb0EEEEE10hipError_tT1_PNSt15iterator_traitsISH_E10value_typeET2_T3_PNSI_ISN_E10value_typeET4_T5_PSS_ST_PNS1_23onesweep_lookback_stateEbbT6_jjT7_P12ihipStream_tbENKUlT_T0_SH_SM_E_clISB_SB_SC_SC_EEDaS10_S11_SH_SM_EUlS10_E_NS1_11comp_targetILNS1_3genE8ELNS1_11target_archE1030ELNS1_3gpuE2ELNS1_3repE0EEENS1_47radix_sort_onesweep_sort_config_static_selectorELNS0_4arch9wavefront6targetE0EEEvSH_.has_recursion, 0
	.set _ZN7rocprim17ROCPRIM_400000_NS6detail17trampoline_kernelINS0_14default_configENS1_35radix_sort_onesweep_config_selectorI6__halfNS0_10empty_typeEEEZZNS1_29radix_sort_onesweep_iterationIS3_Lb1EPKS5_PS5_PS6_SC_mNS0_19identity_decomposerENS1_16block_id_wrapperIjLb0EEEEE10hipError_tT1_PNSt15iterator_traitsISH_E10value_typeET2_T3_PNSI_ISN_E10value_typeET4_T5_PSS_ST_PNS1_23onesweep_lookback_stateEbbT6_jjT7_P12ihipStream_tbENKUlT_T0_SH_SM_E_clISB_SB_SC_SC_EEDaS10_S11_SH_SM_EUlS10_E_NS1_11comp_targetILNS1_3genE8ELNS1_11target_archE1030ELNS1_3gpuE2ELNS1_3repE0EEENS1_47radix_sort_onesweep_sort_config_static_selectorELNS0_4arch9wavefront6targetE0EEEvSH_.has_indirect_call, 0
	.section	.AMDGPU.csdata,"",@progbits
; Kernel info:
; codeLenInByte = 0
; TotalNumSgprs: 0
; NumVgprs: 0
; ScratchSize: 0
; MemoryBound: 0
; FloatMode: 240
; IeeeMode: 1
; LDSByteSize: 0 bytes/workgroup (compile time only)
; SGPRBlocks: 0
; VGPRBlocks: 0
; NumSGPRsForWavesPerEU: 1
; NumVGPRsForWavesPerEU: 1
; NamedBarCnt: 0
; Occupancy: 16
; WaveLimiterHint : 0
; COMPUTE_PGM_RSRC2:SCRATCH_EN: 0
; COMPUTE_PGM_RSRC2:USER_SGPR: 2
; COMPUTE_PGM_RSRC2:TRAP_HANDLER: 0
; COMPUTE_PGM_RSRC2:TGID_X_EN: 1
; COMPUTE_PGM_RSRC2:TGID_Y_EN: 0
; COMPUTE_PGM_RSRC2:TGID_Z_EN: 0
; COMPUTE_PGM_RSRC2:TIDIG_COMP_CNT: 0
	.section	.text._ZN7rocprim17ROCPRIM_400000_NS6detail17trampoline_kernelINS0_13kernel_configILj256ELj4ELj4294967295EEENS1_37radix_sort_block_sort_config_selectorI6__halfNS0_10empty_typeEEEZNS1_21radix_sort_block_sortIS4_Lb0EPKS6_PS6_PS7_SD_NS0_19identity_decomposerEEE10hipError_tT1_T2_T3_T4_jRjT5_jjP12ihipStream_tbEUlT_E_NS1_11comp_targetILNS1_3genE0ELNS1_11target_archE4294967295ELNS1_3gpuE0ELNS1_3repE0EEENS1_44radix_sort_block_sort_config_static_selectorELNS0_4arch9wavefront6targetE0EEEvSG_,"axG",@progbits,_ZN7rocprim17ROCPRIM_400000_NS6detail17trampoline_kernelINS0_13kernel_configILj256ELj4ELj4294967295EEENS1_37radix_sort_block_sort_config_selectorI6__halfNS0_10empty_typeEEEZNS1_21radix_sort_block_sortIS4_Lb0EPKS6_PS6_PS7_SD_NS0_19identity_decomposerEEE10hipError_tT1_T2_T3_T4_jRjT5_jjP12ihipStream_tbEUlT_E_NS1_11comp_targetILNS1_3genE0ELNS1_11target_archE4294967295ELNS1_3gpuE0ELNS1_3repE0EEENS1_44radix_sort_block_sort_config_static_selectorELNS0_4arch9wavefront6targetE0EEEvSG_,comdat
	.protected	_ZN7rocprim17ROCPRIM_400000_NS6detail17trampoline_kernelINS0_13kernel_configILj256ELj4ELj4294967295EEENS1_37radix_sort_block_sort_config_selectorI6__halfNS0_10empty_typeEEEZNS1_21radix_sort_block_sortIS4_Lb0EPKS6_PS6_PS7_SD_NS0_19identity_decomposerEEE10hipError_tT1_T2_T3_T4_jRjT5_jjP12ihipStream_tbEUlT_E_NS1_11comp_targetILNS1_3genE0ELNS1_11target_archE4294967295ELNS1_3gpuE0ELNS1_3repE0EEENS1_44radix_sort_block_sort_config_static_selectorELNS0_4arch9wavefront6targetE0EEEvSG_ ; -- Begin function _ZN7rocprim17ROCPRIM_400000_NS6detail17trampoline_kernelINS0_13kernel_configILj256ELj4ELj4294967295EEENS1_37radix_sort_block_sort_config_selectorI6__halfNS0_10empty_typeEEEZNS1_21radix_sort_block_sortIS4_Lb0EPKS6_PS6_PS7_SD_NS0_19identity_decomposerEEE10hipError_tT1_T2_T3_T4_jRjT5_jjP12ihipStream_tbEUlT_E_NS1_11comp_targetILNS1_3genE0ELNS1_11target_archE4294967295ELNS1_3gpuE0ELNS1_3repE0EEENS1_44radix_sort_block_sort_config_static_selectorELNS0_4arch9wavefront6targetE0EEEvSG_
	.globl	_ZN7rocprim17ROCPRIM_400000_NS6detail17trampoline_kernelINS0_13kernel_configILj256ELj4ELj4294967295EEENS1_37radix_sort_block_sort_config_selectorI6__halfNS0_10empty_typeEEEZNS1_21radix_sort_block_sortIS4_Lb0EPKS6_PS6_PS7_SD_NS0_19identity_decomposerEEE10hipError_tT1_T2_T3_T4_jRjT5_jjP12ihipStream_tbEUlT_E_NS1_11comp_targetILNS1_3genE0ELNS1_11target_archE4294967295ELNS1_3gpuE0ELNS1_3repE0EEENS1_44radix_sort_block_sort_config_static_selectorELNS0_4arch9wavefront6targetE0EEEvSG_
	.p2align	8
	.type	_ZN7rocprim17ROCPRIM_400000_NS6detail17trampoline_kernelINS0_13kernel_configILj256ELj4ELj4294967295EEENS1_37radix_sort_block_sort_config_selectorI6__halfNS0_10empty_typeEEEZNS1_21radix_sort_block_sortIS4_Lb0EPKS6_PS6_PS7_SD_NS0_19identity_decomposerEEE10hipError_tT1_T2_T3_T4_jRjT5_jjP12ihipStream_tbEUlT_E_NS1_11comp_targetILNS1_3genE0ELNS1_11target_archE4294967295ELNS1_3gpuE0ELNS1_3repE0EEENS1_44radix_sort_block_sort_config_static_selectorELNS0_4arch9wavefront6targetE0EEEvSG_,@function
_ZN7rocprim17ROCPRIM_400000_NS6detail17trampoline_kernelINS0_13kernel_configILj256ELj4ELj4294967295EEENS1_37radix_sort_block_sort_config_selectorI6__halfNS0_10empty_typeEEEZNS1_21radix_sort_block_sortIS4_Lb0EPKS6_PS6_PS7_SD_NS0_19identity_decomposerEEE10hipError_tT1_T2_T3_T4_jRjT5_jjP12ihipStream_tbEUlT_E_NS1_11comp_targetILNS1_3genE0ELNS1_11target_archE4294967295ELNS1_3gpuE0ELNS1_3repE0EEENS1_44radix_sort_block_sort_config_static_selectorELNS0_4arch9wavefront6targetE0EEEvSG_: ; @_ZN7rocprim17ROCPRIM_400000_NS6detail17trampoline_kernelINS0_13kernel_configILj256ELj4ELj4294967295EEENS1_37radix_sort_block_sort_config_selectorI6__halfNS0_10empty_typeEEEZNS1_21radix_sort_block_sortIS4_Lb0EPKS6_PS6_PS7_SD_NS0_19identity_decomposerEEE10hipError_tT1_T2_T3_T4_jRjT5_jjP12ihipStream_tbEUlT_E_NS1_11comp_targetILNS1_3genE0ELNS1_11target_archE4294967295ELNS1_3gpuE0ELNS1_3repE0EEENS1_44radix_sort_block_sort_config_static_selectorELNS0_4arch9wavefront6targetE0EEEvSG_
; %bb.0:
	s_clause 0x1
	s_load_b32 s4, s[0:1], 0x20
	s_load_b128 s[20:23], s[0:1], 0x0
	s_bfe_u32 s5, ttmp6, 0x4000c
	s_and_b32 s2, ttmp6, 15
	s_add_co_i32 s5, s5, 1
	s_getreg_b32 s6, hwreg(HW_REG_IB_STS2, 6, 4)
	s_mul_i32 s5, ttmp9, s5
	v_and_b32_e32 v12, 0x3ff, v0
	s_add_co_i32 s2, s2, s5
	s_cmp_eq_u32 s6, 0
	v_mbcnt_lo_u32_b32 v1, -1, 0
	s_cselect_b32 s5, ttmp9, s2
	v_dual_mov_b32 v3, 0 :: v_dual_lshlrev_b32 v4, 2, v12
	s_lshl_b32 s2, s5, 10
	s_mov_b32 s3, 0
	v_lshlrev_b32_e32 v2, 1, v1
                                        ; implicit-def: $vgpr6
                                        ; implicit-def: $vgpr7
	s_delay_alu instid0(VALU_DEP_2) | instskip(SKIP_2) | instid1(SALU_CYCLE_1)
	v_and_b32_e32 v8, 0x380, v4
	s_wait_kmcnt 0x0
	s_lshr_b32 s8, s4, 10
	s_cmp_lg_u32 s5, s8
	s_cselect_b32 s27, -1, 0
	s_lshl_b64 s[24:25], s[2:3], 1
	s_cmp_eq_u32 s5, s8
	s_add_nc_u64 s[6:7], s[20:21], s[24:25]
	s_mov_b32 s5, -1
	v_add_nc_u64_e32 v[4:5], s[6:7], v[2:3]
	v_lshlrev_b32_e32 v2, 1, v8
	s_delay_alu instid0(VALU_DEP_1)
	v_add_nc_u64_e32 v[4:5], v[4:5], v[2:3]
                                        ; implicit-def: $vgpr3
	s_cbranch_scc0 .LBB2199_26
; %bb.1:
	s_load_b64 s[20:21], s[0:1], 0x28
	s_and_not1_b32 vcc_lo, exec_lo, s5
	s_sub_co_i32 s26, s4, s2
	s_cbranch_vccz .LBB2199_27
.LBB2199_2:
	v_mov_b32_e32 v8, 0x7fff
	s_and_saveexec_b32 s2, s3
	s_cbranch_execz .LBB2199_4
.LBB2199_3:
	global_load_u16 v8, v[4:5], off offset:192
.LBB2199_4:
	s_wait_xcnt 0x0
	s_or_b32 exec_lo, exec_lo, s2
	s_load_b32 s3, s[0:1], 0x3c
	s_wait_loadcnt 0x2
	v_cmp_lt_i16_e32 vcc_lo, -1, v6
	v_bfe_u32 v5, v0, 10, 10
	v_bfe_u32 v0, v0, 20, 10
	v_and_b32_e32 v16, 0x3e0, v12
	s_get_pc_i64 s[4:5]
	s_add_nc_u64 s[4:5], s[4:5], _ZN7rocprim17ROCPRIM_400000_NS16block_radix_sortI6__halfLj256ELj4ENS0_10empty_typeELj1ELj1ELj0ELNS0_26block_radix_rank_algorithmE1ELNS0_18block_padding_hintE2ELNS0_4arch9wavefront6targetE0EE19radix_bits_per_passE@rel64+4
	v_cndmask_b32_e64 v4, -1, 0xffff8000, vcc_lo
	s_wait_loadcnt 0x0
	v_cmp_lt_i16_e32 vcc_lo, -1, v3
	s_load_b32 s28, s[4:5], 0x0
	v_dual_lshrrev_b32 v18, 3, v12 :: v_dual_bitop2_b32 v15, 16, v1 bitop3:0x40
	v_dual_lshlrev_b32 v13, 5, v12 :: v_dual_bitop2_b32 v14, 15, v1 bitop3:0x40
	v_cndmask_b32_e64 v9, -1, 0xffff8000, vcc_lo
	v_cmp_lt_i16_e32 vcc_lo, -1, v7
	s_mov_b32 s14, 0
	v_cmp_eq_u32_e64 s7, 0, v15
	s_mov_b32 s15, s14
	s_mov_b32 s16, s14
	v_cndmask_b32_e64 v10, -1, 0xffff8000, vcc_lo
	s_wait_kmcnt 0x0
	s_lshr_b32 s2, s3, 16
	v_cmp_lt_i16_e32 vcc_lo, -1, v8
	v_mad_u32_u24 v0, v0, s2, v5
	v_sub_co_u32 v17, s2, v1, 1
	s_and_b32 s3, s3, 0xffff
	v_cndmask_b32_e64 v11, -1, 0xffff8000, vcc_lo
	v_mad_u32 v20, v0, s3, v12
	v_cmp_gt_i32_e32 vcc_lo, 0, v17
	v_xor_b32_e32 v5, v4, v6
	v_min_u32_e32 v6, 0xe0, v16
	v_and_b32_e32 v19, 7, v1
	v_and_b32_e32 v16, 0x7c, v18
	s_mov_b32 s17, s14
	v_cmp_gt_u32_e64 s0, 8, v12
	v_or_b32_e32 v6, 31, v6
	v_cmp_lt_u32_e64 s1, 31, v12
	v_cmp_eq_u32_e64 s3, 0, v14
	v_cmp_lt_u32_e64 s4, 1, v14
	v_cmp_lt_u32_e64 s5, 3, v14
	v_cmp_eq_u32_e64 s8, v12, v6
	v_mul_i32_i24_e32 v6, 0xffffffe4, v12
	v_dual_cndmask_b32 v8, v17, v1, vcc_lo :: v_dual_bitop2_b32 v4, v11, v8 bitop3:0x14
	v_xor_b32_e32 v0, v9, v3
	v_dual_add_nc_u32 v17, -4, v16 :: v_dual_bitop2_b32 v3, v10, v7 bitop3:0x14
	v_lshrrev_b32_e32 v7, 3, v20
	s_delay_alu instid0(VALU_DEP_4)
	v_lshlrev_b32_e32 v15, 2, v8
	v_mov_b64_e32 v[8:9], s[14:15]
	v_mov_b64_e32 v[10:11], s[16:17]
	v_cmp_lt_u32_e64 s6, 7, v14
	v_and_b32_e32 v14, 0x1ffffffc, v7
	v_cmp_eq_u32_e64 s9, 0, v12
	v_cmp_eq_u32_e64 s10, 0, v19
	v_cmp_lt_u32_e64 s11, 1, v19
	v_cmp_lt_u32_e64 s12, 3, v19
	v_lshl_add_u32 v18, v1, 1, v2
	v_add_nc_u32_e32 v19, v13, v6
	s_add_co_i32 s29, s21, s20
	s_branch .LBB2199_6
.LBB2199_5:                             ;   in Loop: Header=BB2199_6 Depth=1
	s_and_not1_b32 vcc_lo, exec_lo, s13
	s_cbranch_vccz .LBB2199_22
.LBB2199_6:                             ; =>This Inner Loop Header: Depth=1
	v_mov_b32_e32 v20, v5
	s_min_u32 s13, s28, s21
	ds_store_2addr_b64 v13, v[8:9], v[10:11] offset0:4 offset1:5
	ds_store_2addr_b64 v13, v[8:9], v[10:11] offset0:6 offset1:7
	s_lshl_b32 s30, -1, s13
	s_wait_dscnt 0x0
	v_cmp_ne_u16_e32 vcc_lo, 0x7fff, v20
	s_barrier_signal -1
	s_barrier_wait -1
	v_cndmask_b32_e32 v1, 0xffff8000, v20, vcc_lo
	; wave barrier
	s_delay_alu instid0(VALU_DEP_1) | instskip(NEXT) | instid1(VALU_DEP_1)
	v_and_b32_e32 v1, 0xffff, v1
	v_lshrrev_b32_e32 v1, s20, v1
	s_delay_alu instid0(VALU_DEP_1) | instskip(SKIP_1) | instid1(VALU_DEP_2)
	v_bitop3_b32 v2, v1, 1, s30 bitop3:0x40
	v_bitop3_b32 v5, v1, s30, v1 bitop3:0x30
	v_add_co_u32 v1, s13, v2, -1
	s_delay_alu instid0(VALU_DEP_1) | instskip(NEXT) | instid1(VALU_DEP_3)
	v_cndmask_b32_e64 v2, 0, 1, s13
	v_dual_lshlrev_b32 v6, 30, v5 :: v_dual_lshlrev_b32 v7, 29, v5
	v_dual_lshlrev_b32 v21, 28, v5 :: v_dual_lshlrev_b32 v22, 27, v5
	v_lshlrev_b32_e32 v23, 26, v5
	s_delay_alu instid0(VALU_DEP_4) | instskip(NEXT) | instid1(VALU_DEP_4)
	v_cmp_ne_u32_e32 vcc_lo, 0, v2
	v_not_b32_e32 v2, v6
	v_cmp_gt_i32_e64 s13, 0, v6
	v_cmp_gt_i32_e64 s14, 0, v7
	v_not_b32_e32 v6, v7
	v_not_b32_e32 v7, v21
	v_dual_ashrrev_i32 v2, 31, v2 :: v_dual_bitop2_b32 v1, vcc_lo, v1 bitop3:0x14
	v_dual_lshlrev_b32 v24, 25, v5 :: v_dual_lshlrev_b32 v25, 24, v5
	v_cmp_gt_i32_e64 s15, 0, v21
	v_cmp_gt_i32_e64 s16, 0, v22
	v_not_b32_e32 v21, v22
	v_not_b32_e32 v22, v23
	v_dual_ashrrev_i32 v6, 31, v6 :: v_dual_ashrrev_i32 v7, 31, v7
	s_delay_alu instid0(VALU_DEP_3)
	v_dual_ashrrev_i32 v21, 31, v21 :: v_dual_bitop2_b32 v2, s13, v2 bitop3:0x14
	v_cmp_gt_i32_e64 s17, 0, v23
	v_cmp_gt_i32_e64 s18, 0, v24
	v_not_b32_e32 v23, v24
	v_not_b32_e32 v24, v25
	v_dual_ashrrev_i32 v22, 31, v22 :: v_dual_bitop2_b32 v7, s15, v7 bitop3:0x14
	v_xor_b32_e32 v6, s14, v6
	v_bitop3_b32 v1, v1, v2, exec_lo bitop3:0x80
	v_cmp_gt_i32_e64 s19, 0, v25
	v_dual_ashrrev_i32 v2, 31, v23 :: v_dual_ashrrev_i32 v23, 31, v24
	v_xor_b32_e32 v21, s16, v21
	v_xor_b32_e32 v22, s17, v22
	v_bitop3_b32 v1, v1, v7, v6 bitop3:0x80
	s_delay_alu instid0(VALU_DEP_4) | instskip(SKIP_2) | instid1(VALU_DEP_4)
	v_xor_b32_e32 v2, s18, v2
	v_dual_mov_b32 v23, v0 :: v_dual_bitop2_b32 v6, s19, v23 bitop3:0x14
	v_lshlrev_b32_e32 v0, 5, v5
	v_bitop3_b32 v1, v1, v22, v21 bitop3:0x80
	v_dual_mov_b32 v22, v3 :: v_dual_mov_b32 v21, v4
	s_delay_alu instid0(VALU_DEP_3) | instskip(NEXT) | instid1(VALU_DEP_3)
	v_add_nc_u32_e32 v25, v14, v0
	v_bitop3_b32 v1, v1, v6, v2 bitop3:0x80
	s_delay_alu instid0(VALU_DEP_1) | instskip(SKIP_1) | instid1(VALU_DEP_2)
	v_mbcnt_lo_u32_b32 v24, v1, 0
	v_cmp_ne_u32_e64 s13, 0, v1
	v_cmp_eq_u32_e32 vcc_lo, 0, v24
	s_and_b32 s14, s13, vcc_lo
	s_delay_alu instid0(SALU_CYCLE_1)
	s_and_saveexec_b32 s13, s14
; %bb.7:                                ;   in Loop: Header=BB2199_6 Depth=1
	v_bcnt_u32_b32 v0, v1, 0
	ds_store_b32 v25, v0 offset:32
; %bb.8:                                ;   in Loop: Header=BB2199_6 Depth=1
	s_or_b32 exec_lo, exec_lo, s13
	v_cmp_ne_u16_e32 vcc_lo, 0x7fff, v23
	s_not_b32 s19, s30
	; wave barrier
	v_cndmask_b32_e32 v0, 0xffff8000, v23, vcc_lo
	s_delay_alu instid0(VALU_DEP_1) | instskip(NEXT) | instid1(VALU_DEP_1)
	v_and_b32_e32 v0, 0xffff, v0
	v_lshrrev_b32_e32 v0, s20, v0
	s_delay_alu instid0(VALU_DEP_1) | instskip(NEXT) | instid1(VALU_DEP_1)
	v_and_b32_e32 v1, s19, v0
	v_lshlrev_b32_e32 v2, 5, v1
	v_bitop3_b32 v0, v0, 1, s19 bitop3:0x80
	v_lshlrev_b32_e32 v4, 30, v1
	s_delay_alu instid0(VALU_DEP_2) | instskip(NEXT) | instid1(VALU_DEP_1)
	v_add_co_u32 v0, s13, v0, -1
	v_cndmask_b32_e64 v3, 0, 1, s13
	s_delay_alu instid0(VALU_DEP_1) | instskip(NEXT) | instid1(VALU_DEP_4)
	v_cmp_ne_u32_e32 vcc_lo, 0, v3
	v_not_b32_e32 v3, v4
	s_delay_alu instid0(VALU_DEP_1) | instskip(SKIP_3) | instid1(VALU_DEP_4)
	v_dual_ashrrev_i32 v3, 31, v3 :: v_dual_lshlrev_b32 v5, 29, v1
	v_dual_lshlrev_b32 v6, 28, v1 :: v_dual_lshlrev_b32 v7, 27, v1
	v_lshlrev_b32_e32 v26, 26, v1
	v_cmp_gt_i32_e64 s13, 0, v4
	v_cmp_gt_i32_e64 s14, 0, v5
	v_not_b32_e32 v4, v5
	v_not_b32_e32 v5, v6
	v_dual_lshlrev_b32 v27, 25, v1 :: v_dual_lshlrev_b32 v1, 24, v1
	v_cmp_gt_i32_e64 s15, 0, v6
	v_cmp_gt_i32_e64 s16, 0, v7
	v_not_b32_e32 v6, v7
	v_not_b32_e32 v7, v26
	v_dual_ashrrev_i32 v5, 31, v5 :: v_dual_bitop2_b32 v0, vcc_lo, v0 bitop3:0x14
	v_dual_ashrrev_i32 v4, 31, v4 :: v_dual_bitop2_b32 v3, s13, v3 bitop3:0x14
	v_cmp_gt_i32_e64 s17, 0, v26
	v_not_b32_e32 v26, v27
	v_dual_ashrrev_i32 v6, 31, v6 :: v_dual_ashrrev_i32 v7, 31, v7
	s_delay_alu instid0(VALU_DEP_4)
	v_xor_b32_e32 v4, s14, v4
	v_bitop3_b32 v0, v0, v3, exec_lo bitop3:0x80
	v_not_b32_e32 v3, v1
	v_xor_b32_e32 v5, s15, v5
	v_cmp_gt_i32_e64 s18, 0, v27
	v_ashrrev_i32_e32 v26, 31, v26
	v_xor_b32_e32 v6, s16, v6
	v_dual_add_nc_u32 v27, v14, v2 :: v_dual_bitop2_b32 v7, s17, v7 bitop3:0x14
	v_cmp_gt_i32_e32 vcc_lo, 0, v1
	v_ashrrev_i32_e32 v1, 31, v3
	v_bitop3_b32 v0, v0, v5, v4 bitop3:0x80
	v_xor_b32_e32 v2, s18, v26
	ds_load_b32 v26, v27 offset:32
	v_xor_b32_e32 v1, vcc_lo, v1
	v_bitop3_b32 v0, v0, v7, v6 bitop3:0x80
	; wave barrier
	s_delay_alu instid0(VALU_DEP_1) | instskip(NEXT) | instid1(VALU_DEP_1)
	v_bitop3_b32 v0, v0, v1, v2 bitop3:0x80
	v_mbcnt_lo_u32_b32 v28, v0, 0
	v_cmp_ne_u32_e64 s13, 0, v0
	s_delay_alu instid0(VALU_DEP_2) | instskip(SKIP_1) | instid1(SALU_CYCLE_1)
	v_cmp_eq_u32_e32 vcc_lo, 0, v28
	s_and_b32 s14, s13, vcc_lo
	s_and_saveexec_b32 s13, s14
	s_cbranch_execz .LBB2199_10
; %bb.9:                                ;   in Loop: Header=BB2199_6 Depth=1
	s_wait_dscnt 0x0
	v_bcnt_u32_b32 v0, v0, v26
	ds_store_b32 v27, v0 offset:32
.LBB2199_10:                            ;   in Loop: Header=BB2199_6 Depth=1
	s_or_b32 exec_lo, exec_lo, s13
	v_cmp_ne_u16_e32 vcc_lo, 0x7fff, v22
	; wave barrier
	v_cndmask_b32_e32 v0, 0xffff8000, v22, vcc_lo
	s_delay_alu instid0(VALU_DEP_1) | instskip(NEXT) | instid1(VALU_DEP_1)
	v_and_b32_e32 v0, 0xffff, v0
	v_lshrrev_b32_e32 v0, s20, v0
	s_delay_alu instid0(VALU_DEP_1) | instskip(NEXT) | instid1(VALU_DEP_1)
	v_and_b32_e32 v1, s19, v0
	v_lshlrev_b32_e32 v2, 5, v1
	v_bitop3_b32 v0, v0, 1, s19 bitop3:0x80
	v_lshlrev_b32_e32 v4, 30, v1
	s_delay_alu instid0(VALU_DEP_2) | instskip(NEXT) | instid1(VALU_DEP_1)
	v_add_co_u32 v0, s13, v0, -1
	v_cndmask_b32_e64 v3, 0, 1, s13
	s_delay_alu instid0(VALU_DEP_1) | instskip(NEXT) | instid1(VALU_DEP_4)
	v_cmp_ne_u32_e32 vcc_lo, 0, v3
	v_not_b32_e32 v3, v4
	s_delay_alu instid0(VALU_DEP_1)
	v_dual_ashrrev_i32 v3, 31, v3 :: v_dual_lshlrev_b32 v5, 29, v1
	v_dual_lshlrev_b32 v6, 28, v1 :: v_dual_lshlrev_b32 v7, 27, v1
	v_dual_lshlrev_b32 v29, 26, v1 :: v_dual_lshlrev_b32 v30, 25, v1
	v_lshlrev_b32_e32 v1, 24, v1
	v_cmp_gt_i32_e64 s13, 0, v4
	v_cmp_gt_i32_e64 s14, 0, v5
	v_not_b32_e32 v4, v5
	v_not_b32_e32 v5, v6
	v_cmp_gt_i32_e64 s15, 0, v6
	v_cmp_gt_i32_e64 s16, 0, v7
	v_not_b32_e32 v6, v7
	v_cmp_gt_i32_e64 s17, 0, v29
	v_not_b32_e32 v7, v29
	v_not_b32_e32 v29, v30
	v_dual_ashrrev_i32 v5, 31, v5 :: v_dual_bitop2_b32 v0, vcc_lo, v0 bitop3:0x14
	v_dual_ashrrev_i32 v4, 31, v4 :: v_dual_ashrrev_i32 v6, 31, v6
	v_xor_b32_e32 v3, s13, v3
	v_not_b32_e32 v31, v1
	s_delay_alu instid0(VALU_DEP_3) | instskip(SKIP_1) | instid1(VALU_DEP_4)
	v_dual_ashrrev_i32 v7, 31, v7 :: v_dual_bitop2_b32 v4, s14, v4 bitop3:0x14
	v_xor_b32_e32 v5, s15, v5
	v_bitop3_b32 v0, v0, v3, exec_lo bitop3:0x80
	v_xor_b32_e32 v6, s16, v6
	s_delay_alu instid0(VALU_DEP_4)
	v_xor_b32_e32 v3, s17, v7
	v_cmp_gt_i32_e32 vcc_lo, 0, v30
	v_ashrrev_i32_e32 v7, 31, v29
	v_cmp_gt_i32_e64 s13, 0, v1
	v_ashrrev_i32_e32 v1, 31, v31
	v_bitop3_b32 v0, v0, v5, v4 bitop3:0x80
	s_delay_alu instid0(VALU_DEP_4) | instskip(NEXT) | instid1(VALU_DEP_3)
	v_dual_add_nc_u32 v31, v14, v2 :: v_dual_bitop2_b32 v2, vcc_lo, v7 bitop3:0x14
	v_xor_b32_e32 v1, s13, v1
	s_delay_alu instid0(VALU_DEP_3) | instskip(SKIP_2) | instid1(VALU_DEP_1)
	v_bitop3_b32 v0, v0, v3, v6 bitop3:0x80
	ds_load_b32 v29, v31 offset:32
	; wave barrier
	v_bitop3_b32 v0, v0, v1, v2 bitop3:0x80
	v_mbcnt_lo_u32_b32 v30, v0, 0
	v_cmp_ne_u32_e64 s13, 0, v0
	s_delay_alu instid0(VALU_DEP_2) | instskip(SKIP_1) | instid1(SALU_CYCLE_1)
	v_cmp_eq_u32_e32 vcc_lo, 0, v30
	s_and_b32 s14, s13, vcc_lo
	s_and_saveexec_b32 s13, s14
	s_cbranch_execz .LBB2199_12
; %bb.11:                               ;   in Loop: Header=BB2199_6 Depth=1
	s_wait_dscnt 0x0
	v_bcnt_u32_b32 v0, v0, v29
	ds_store_b32 v31, v0 offset:32
.LBB2199_12:                            ;   in Loop: Header=BB2199_6 Depth=1
	s_or_b32 exec_lo, exec_lo, s13
	v_cmp_ne_u16_e32 vcc_lo, 0x7fff, v21
	; wave barrier
	v_cndmask_b32_e32 v0, 0xffff8000, v21, vcc_lo
	s_delay_alu instid0(VALU_DEP_1) | instskip(NEXT) | instid1(VALU_DEP_1)
	v_and_b32_e32 v0, 0xffff, v0
	v_lshrrev_b32_e32 v0, s20, v0
	s_delay_alu instid0(VALU_DEP_1) | instskip(NEXT) | instid1(VALU_DEP_1)
	v_and_b32_e32 v1, s19, v0
	v_lshlrev_b32_e32 v2, 5, v1
	v_bitop3_b32 v0, v0, 1, s19 bitop3:0x80
	v_dual_lshlrev_b32 v4, 30, v1 :: v_dual_lshlrev_b32 v5, 29, v1
	v_lshlrev_b32_e32 v6, 28, v1
	s_delay_alu instid0(VALU_DEP_3) | instskip(NEXT) | instid1(VALU_DEP_1)
	v_add_co_u32 v0, s13, v0, -1
	v_cndmask_b32_e64 v3, 0, 1, s13
	s_delay_alu instid0(VALU_DEP_4) | instskip(SKIP_1) | instid1(VALU_DEP_3)
	v_cmp_gt_i32_e64 s13, 0, v4
	v_cmp_gt_i32_e64 s14, 0, v5
	v_cmp_ne_u32_e32 vcc_lo, 0, v3
	v_not_b32_e32 v3, v4
	v_not_b32_e32 v4, v5
	;; [unrolled: 1-line block ×3, first 2 shown]
	s_delay_alu instid0(VALU_DEP_3) | instskip(NEXT) | instid1(VALU_DEP_2)
	v_dual_ashrrev_i32 v3, 31, v3 :: v_dual_bitop2_b32 v0, vcc_lo, v0 bitop3:0x14
	v_ashrrev_i32_e32 v5, 31, v5
	v_dual_lshlrev_b32 v7, 27, v1 :: v_dual_lshlrev_b32 v32, 26, v1
	v_dual_lshlrev_b32 v33, 25, v1 :: v_dual_lshlrev_b32 v1, 24, v1
	v_cmp_gt_i32_e64 s15, 0, v6
	s_delay_alu instid0(VALU_DEP_3) | instskip(SKIP_4) | instid1(VALU_DEP_4)
	v_cmp_gt_i32_e64 s16, 0, v7
	v_not_b32_e32 v6, v7
	v_cmp_gt_i32_e64 s17, 0, v32
	v_not_b32_e32 v7, v32
	v_not_b32_e32 v32, v33
	v_dual_ashrrev_i32 v4, 31, v4 :: v_dual_ashrrev_i32 v6, 31, v6
	v_xor_b32_e32 v3, s13, v3
	v_not_b32_e32 v34, v1
	s_delay_alu instid0(VALU_DEP_3) | instskip(SKIP_1) | instid1(VALU_DEP_4)
	v_dual_ashrrev_i32 v7, 31, v7 :: v_dual_bitop2_b32 v4, s14, v4 bitop3:0x14
	v_xor_b32_e32 v5, s15, v5
	v_bitop3_b32 v0, v0, v3, exec_lo bitop3:0x80
	v_xor_b32_e32 v6, s16, v6
	s_delay_alu instid0(VALU_DEP_4)
	v_xor_b32_e32 v3, s17, v7
	v_cmp_gt_i32_e32 vcc_lo, 0, v33
	v_ashrrev_i32_e32 v7, 31, v32
	v_cmp_gt_i32_e64 s13, 0, v1
	v_ashrrev_i32_e32 v1, 31, v34
	v_bitop3_b32 v0, v0, v5, v4 bitop3:0x80
	s_delay_alu instid0(VALU_DEP_4) | instskip(NEXT) | instid1(VALU_DEP_3)
	v_dual_add_nc_u32 v34, v14, v2 :: v_dual_bitop2_b32 v2, vcc_lo, v7 bitop3:0x14
	v_xor_b32_e32 v1, s13, v1
	s_delay_alu instid0(VALU_DEP_3) | instskip(SKIP_2) | instid1(VALU_DEP_1)
	v_bitop3_b32 v0, v0, v3, v6 bitop3:0x80
	ds_load_b32 v32, v34 offset:32
	; wave barrier
	v_bitop3_b32 v0, v0, v1, v2 bitop3:0x80
	v_mbcnt_lo_u32_b32 v33, v0, 0
	v_cmp_ne_u32_e64 s13, 0, v0
	s_delay_alu instid0(VALU_DEP_2) | instskip(SKIP_1) | instid1(SALU_CYCLE_1)
	v_cmp_eq_u32_e32 vcc_lo, 0, v33
	s_and_b32 s14, s13, vcc_lo
	s_and_saveexec_b32 s13, s14
	s_cbranch_execz .LBB2199_14
; %bb.13:                               ;   in Loop: Header=BB2199_6 Depth=1
	s_wait_dscnt 0x0
	v_bcnt_u32_b32 v0, v0, v32
	ds_store_b32 v34, v0 offset:32
.LBB2199_14:                            ;   in Loop: Header=BB2199_6 Depth=1
	s_or_b32 exec_lo, exec_lo, s13
	; wave barrier
	s_wait_dscnt 0x0
	s_barrier_signal -1
	s_barrier_wait -1
	ds_load_2addr_b64 v[4:7], v13 offset0:4 offset1:5
	ds_load_2addr_b64 v[0:3], v13 offset0:6 offset1:7
	s_wait_dscnt 0x1
	v_add_nc_u32_e32 v35, v5, v4
	s_delay_alu instid0(VALU_DEP_1) | instskip(SKIP_1) | instid1(VALU_DEP_1)
	v_add3_u32 v35, v35, v6, v7
	s_wait_dscnt 0x0
	v_add3_u32 v35, v35, v0, v1
	s_delay_alu instid0(VALU_DEP_1) | instskip(NEXT) | instid1(VALU_DEP_1)
	v_add3_u32 v3, v35, v2, v3
	v_mov_b32_dpp v35, v3 row_shr:1 row_mask:0xf bank_mask:0xf
	s_delay_alu instid0(VALU_DEP_1) | instskip(NEXT) | instid1(VALU_DEP_1)
	v_cndmask_b32_e64 v35, v35, 0, s3
	v_add_nc_u32_e32 v3, v35, v3
	s_delay_alu instid0(VALU_DEP_1) | instskip(NEXT) | instid1(VALU_DEP_1)
	v_mov_b32_dpp v35, v3 row_shr:2 row_mask:0xf bank_mask:0xf
	v_cndmask_b32_e64 v35, 0, v35, s4
	s_delay_alu instid0(VALU_DEP_1) | instskip(NEXT) | instid1(VALU_DEP_1)
	v_add_nc_u32_e32 v3, v3, v35
	v_mov_b32_dpp v35, v3 row_shr:4 row_mask:0xf bank_mask:0xf
	s_delay_alu instid0(VALU_DEP_1) | instskip(NEXT) | instid1(VALU_DEP_1)
	v_cndmask_b32_e64 v35, 0, v35, s5
	v_add_nc_u32_e32 v3, v3, v35
	s_delay_alu instid0(VALU_DEP_1) | instskip(NEXT) | instid1(VALU_DEP_1)
	v_mov_b32_dpp v35, v3 row_shr:8 row_mask:0xf bank_mask:0xf
	v_cndmask_b32_e64 v35, 0, v35, s6
	s_delay_alu instid0(VALU_DEP_1) | instskip(SKIP_3) | instid1(VALU_DEP_1)
	v_add_nc_u32_e32 v3, v3, v35
	ds_swizzle_b32 v35, v3 offset:swizzle(BROADCAST,32,15)
	s_wait_dscnt 0x0
	v_cndmask_b32_e64 v35, v35, 0, s7
	v_add_nc_u32_e32 v3, v3, v35
	s_and_saveexec_b32 s13, s8
; %bb.15:                               ;   in Loop: Header=BB2199_6 Depth=1
	ds_store_b32 v16, v3
; %bb.16:                               ;   in Loop: Header=BB2199_6 Depth=1
	s_or_b32 exec_lo, exec_lo, s13
	s_wait_dscnt 0x0
	s_barrier_signal -1
	s_barrier_wait -1
	s_and_saveexec_b32 s13, s0
	s_cbranch_execz .LBB2199_18
; %bb.17:                               ;   in Loop: Header=BB2199_6 Depth=1
	ds_load_b32 v35, v19
	s_wait_dscnt 0x0
	v_mov_b32_dpp v36, v35 row_shr:1 row_mask:0xf bank_mask:0xf
	s_delay_alu instid0(VALU_DEP_1) | instskip(NEXT) | instid1(VALU_DEP_1)
	v_cndmask_b32_e64 v36, v36, 0, s10
	v_add_nc_u32_e32 v35, v36, v35
	s_delay_alu instid0(VALU_DEP_1) | instskip(NEXT) | instid1(VALU_DEP_1)
	v_mov_b32_dpp v36, v35 row_shr:2 row_mask:0xf bank_mask:0xf
	v_cndmask_b32_e64 v36, 0, v36, s11
	s_delay_alu instid0(VALU_DEP_1) | instskip(NEXT) | instid1(VALU_DEP_1)
	v_add_nc_u32_e32 v35, v35, v36
	v_mov_b32_dpp v36, v35 row_shr:4 row_mask:0xf bank_mask:0xf
	s_delay_alu instid0(VALU_DEP_1) | instskip(NEXT) | instid1(VALU_DEP_1)
	v_cndmask_b32_e64 v36, 0, v36, s12
	v_add_nc_u32_e32 v35, v35, v36
	ds_store_b32 v19, v35
.LBB2199_18:                            ;   in Loop: Header=BB2199_6 Depth=1
	s_or_b32 exec_lo, exec_lo, s13
	v_mov_b32_e32 v35, 0
	s_wait_dscnt 0x0
	s_barrier_signal -1
	s_barrier_wait -1
	s_and_saveexec_b32 s13, s1
; %bb.19:                               ;   in Loop: Header=BB2199_6 Depth=1
	ds_load_b32 v35, v17
; %bb.20:                               ;   in Loop: Header=BB2199_6 Depth=1
	s_or_b32 exec_lo, exec_lo, s13
	s_wait_dscnt 0x0
	v_add_nc_u32_e32 v3, v35, v3
	s_add_co_i32 s20, s20, 8
	s_mov_b32 s13, -1
	s_cmp_ge_u32 s20, s29
	ds_bpermute_b32 v3, v15, v3
	s_wait_dscnt 0x0
	v_cndmask_b32_e64 v3, v3, v35, s2
	s_delay_alu instid0(VALU_DEP_1) | instskip(NEXT) | instid1(VALU_DEP_1)
	v_cndmask_b32_e64 v36, v3, 0, s9
	v_add_nc_u32_e32 v37, v36, v4
	s_delay_alu instid0(VALU_DEP_1) | instskip(NEXT) | instid1(VALU_DEP_1)
	v_add_nc_u32_e32 v4, v37, v5
	v_add_nc_u32_e32 v5, v4, v6
	s_delay_alu instid0(VALU_DEP_1) | instskip(NEXT) | instid1(VALU_DEP_1)
	v_add_nc_u32_e32 v6, v5, v7
	;; [unrolled: 3-line block ×3, first 2 shown]
	v_add_nc_u32_e32 v1, v0, v2
	ds_store_2addr_b64 v13, v[36:37], v[4:5] offset0:4 offset1:5
	ds_store_2addr_b64 v13, v[6:7], v[0:1] offset0:6 offset1:7
	s_wait_dscnt 0x0
	s_barrier_signal -1
	s_barrier_wait -1
	ds_load_b32 v0, v27 offset:32
	ds_load_b32 v1, v31 offset:32
	;; [unrolled: 1-line block ×4, first 2 shown]
	v_lshlrev_b32_e32 v4, 1, v24
	v_dual_lshlrev_b32 v5, 1, v28 :: v_dual_lshlrev_b32 v6, 1, v26
	v_dual_lshlrev_b32 v7, 1, v30 :: v_dual_lshlrev_b32 v24, 1, v29
	;; [unrolled: 1-line block ×3, first 2 shown]
	s_wait_dscnt 0x0
	v_dual_lshlrev_b32 v0, 1, v0 :: v_dual_lshlrev_b32 v27, 1, v1
	v_lshlrev_b32_e32 v28, 1, v2
	v_lshl_add_u32 v1, v3, 1, v4
                                        ; implicit-def: $vgpr4
                                        ; implicit-def: $vgpr3
	s_delay_alu instid0(VALU_DEP_3) | instskip(NEXT) | instid1(VALU_DEP_4)
	v_add3_u32 v2, v5, v6, v0
	v_add3_u32 v6, v7, v24, v27
	s_delay_alu instid0(VALU_DEP_4)
	v_add3_u32 v7, v25, v26, v28
                                        ; implicit-def: $vgpr5
                                        ; implicit-def: $vgpr0
	s_cbranch_scc1 .LBB2199_5
; %bb.21:                               ;   in Loop: Header=BB2199_6 Depth=1
	s_barrier_signal -1
	s_barrier_wait -1
	ds_store_b16 v1, v20
	ds_store_b16 v2, v23
	;; [unrolled: 1-line block ×4, first 2 shown]
	s_wait_dscnt 0x0
	s_barrier_signal -1
	s_barrier_wait -1
	ds_load_u16 v5, v18
	ds_load_u16 v0, v18 offset:64
	ds_load_u16 v3, v18 offset:128
	;; [unrolled: 1-line block ×3, first 2 shown]
	s_add_co_i32 s21, s21, -8
	s_mov_b32 s13, 0
	s_wait_dscnt 0x0
	s_barrier_signal -1
	s_barrier_wait -1
	s_branch .LBB2199_5
.LBB2199_22:
	v_lshlrev_b32_e32 v0, 1, v12
	s_barrier_signal -1
	s_barrier_wait -1
	ds_store_b16 v1, v20
	ds_store_b16 v2, v23
	;; [unrolled: 1-line block ×4, first 2 shown]
	s_wait_dscnt 0x0
	s_barrier_signal -1
	s_barrier_wait -1
	v_mov_b32_e32 v1, 0
	ds_load_u16 v3, v0
	ds_load_u16 v4, v0 offset:512
	ds_load_u16 v6, v0 offset:1024
	;; [unrolled: 1-line block ×3, first 2 shown]
	s_add_nc_u64 s[0:1], s[22:23], s[24:25]
	s_delay_alu instid0(SALU_CYCLE_1)
	v_add_nc_u64_e32 v[0:1], s[0:1], v[0:1]
	s_mov_b32 s1, -1
	s_mov_b32 s0, 0
	s_wait_dscnt 0x3
	v_cmp_lt_i16_e32 vcc_lo, -1, v3
	v_cndmask_b32_e64 v5, 0xffff8000, -1, vcc_lo
	s_wait_dscnt 0x2
	v_cmp_lt_i16_e32 vcc_lo, -1, v4
	s_delay_alu instid0(VALU_DEP_2) | instskip(SKIP_3) | instid1(VALU_DEP_2)
	v_xor_b32_e32 v5, v5, v3
	v_cndmask_b32_e64 v7, 0xffff8000, -1, vcc_lo
	s_wait_dscnt 0x1
	v_cmp_lt_i16_e32 vcc_lo, -1, v6
	v_xor_b32_e32 v4, v7, v4
	v_cndmask_b32_e64 v8, 0xffff8000, -1, vcc_lo
	s_and_not1_b32 vcc_lo, exec_lo, s27
	s_delay_alu instid0(VALU_DEP_1)
	v_xor_b32_e32 v3, v8, v6
	s_cbranch_vccz .LBB2199_34
; %bb.23:
	s_and_not1_b32 vcc_lo, exec_lo, s1
	s_cbranch_vccz .LBB2199_35
.LBB2199_24:
	s_wait_xcnt 0x0
	s_and_saveexec_b32 s1, s0
	s_cbranch_execnz .LBB2199_42
.LBB2199_25:
	s_endpgm
.LBB2199_26:
	s_clause 0x2
	global_load_u16 v6, v[4:5], off
	global_load_u16 v3, v[4:5], off offset:64
	global_load_u16 v7, v[4:5], off offset:128
	s_mov_b32 s3, -1
	s_load_b64 s[20:21], s[0:1], 0x28
	s_sub_co_i32 s26, s4, s2
	s_cbranch_execnz .LBB2199_2
.LBB2199_27:
	v_or_b32_e32 v8, v1, v8
	s_wait_loadcnt 0x1
	v_dual_mov_b32 v3, 0x7fff :: v_dual_mov_b32 v6, 0x7fff
	s_mov_b32 s2, exec_lo
	s_delay_alu instid0(VALU_DEP_2)
	v_cmpx_gt_u32_e64 s26, v8
	s_cbranch_execz .LBB2199_29
; %bb.28:
	global_load_u16 v6, v[4:5], off
.LBB2199_29:
	s_wait_xcnt 0x0
	s_or_b32 exec_lo, exec_lo, s2
	s_wait_loadcnt 0x0
	v_or_b32_e32 v7, 32, v8
	s_mov_b32 s2, exec_lo
	s_delay_alu instid0(VALU_DEP_1)
	v_cmpx_gt_u32_e64 s26, v7
	s_cbranch_execz .LBB2199_31
; %bb.30:
	global_load_u16 v3, v[4:5], off offset:64
.LBB2199_31:
	s_wait_xcnt 0x0
	s_or_b32 exec_lo, exec_lo, s2
	v_or_b32_e32 v7, 64, v8
	s_delay_alu instid0(VALU_DEP_1)
	v_cmp_gt_u32_e32 vcc_lo, s26, v7
	v_mov_b32_e32 v7, 0x7fff
	s_and_saveexec_b32 s2, vcc_lo
	s_cbranch_execz .LBB2199_33
; %bb.32:
	global_load_u16 v7, v[4:5], off offset:128
.LBB2199_33:
	s_wait_xcnt 0x0
	s_or_b32 exec_lo, exec_lo, s2
	v_or_b32_e32 v8, 0x60, v8
	s_delay_alu instid0(VALU_DEP_1)
	v_cmp_gt_u32_e64 s3, s26, v8
	v_mov_b32_e32 v8, 0x7fff
	s_and_saveexec_b32 s2, s3
	s_cbranch_execnz .LBB2199_3
	s_branch .LBB2199_4
.LBB2199_34:
	s_mov_b32 s0, -1
	s_clause 0x2
	global_store_b16 v[0:1], v5, off
	global_store_b16 v[0:1], v4, off offset:512
	global_store_b16 v[0:1], v3, off offset:1024
	s_cbranch_execnz .LBB2199_24
.LBB2199_35:
	s_mov_b32 s0, exec_lo
	s_wait_xcnt 0x0
	v_cmpx_gt_u32_e64 s26, v12
	s_cbranch_execz .LBB2199_37
; %bb.36:
	global_store_b16 v[0:1], v5, off
.LBB2199_37:
	s_wait_xcnt 0x0
	s_or_b32 exec_lo, exec_lo, s0
	v_add_nc_u32_e32 v5, 0x100, v12
	s_mov_b32 s0, exec_lo
	s_delay_alu instid0(VALU_DEP_1)
	v_cmpx_gt_u32_e64 s26, v5
	s_cbranch_execz .LBB2199_39
; %bb.38:
	global_store_b16 v[0:1], v4, off offset:512
.LBB2199_39:
	s_wait_xcnt 0x0
	s_or_b32 exec_lo, exec_lo, s0
	v_add_nc_u32_e32 v4, 0x200, v12
	s_mov_b32 s0, exec_lo
	s_delay_alu instid0(VALU_DEP_1)
	v_cmpx_gt_u32_e64 s26, v4
	s_cbranch_execz .LBB2199_41
; %bb.40:
	global_store_b16 v[0:1], v3, off offset:1024
.LBB2199_41:
	s_wait_xcnt 0x0
	s_or_b32 exec_lo, exec_lo, s0
	v_add_nc_u32_e32 v3, 0x300, v12
	s_delay_alu instid0(VALU_DEP_1)
	v_cmp_gt_u32_e64 s0, s26, v3
	s_and_saveexec_b32 s1, s0
	s_cbranch_execz .LBB2199_25
.LBB2199_42:
	s_wait_dscnt 0x0
	v_cmp_lt_i16_e32 vcc_lo, -1, v2
	v_cndmask_b32_e64 v3, 0xffff8000, -1, vcc_lo
	s_delay_alu instid0(VALU_DEP_1)
	v_xor_b32_e32 v2, v3, v2
	global_store_b16 v[0:1], v2, off offset:1536
	s_endpgm
	.section	.rodata,"a",@progbits
	.p2align	6, 0x0
	.amdhsa_kernel _ZN7rocprim17ROCPRIM_400000_NS6detail17trampoline_kernelINS0_13kernel_configILj256ELj4ELj4294967295EEENS1_37radix_sort_block_sort_config_selectorI6__halfNS0_10empty_typeEEEZNS1_21radix_sort_block_sortIS4_Lb0EPKS6_PS6_PS7_SD_NS0_19identity_decomposerEEE10hipError_tT1_T2_T3_T4_jRjT5_jjP12ihipStream_tbEUlT_E_NS1_11comp_targetILNS1_3genE0ELNS1_11target_archE4294967295ELNS1_3gpuE0ELNS1_3repE0EEENS1_44radix_sort_block_sort_config_static_selectorELNS0_4arch9wavefront6targetE0EEEvSG_
		.amdhsa_group_segment_fixed_size 8224
		.amdhsa_private_segment_fixed_size 0
		.amdhsa_kernarg_size 304
		.amdhsa_user_sgpr_count 2
		.amdhsa_user_sgpr_dispatch_ptr 0
		.amdhsa_user_sgpr_queue_ptr 0
		.amdhsa_user_sgpr_kernarg_segment_ptr 1
		.amdhsa_user_sgpr_dispatch_id 0
		.amdhsa_user_sgpr_kernarg_preload_length 0
		.amdhsa_user_sgpr_kernarg_preload_offset 0
		.amdhsa_user_sgpr_private_segment_size 0
		.amdhsa_wavefront_size32 1
		.amdhsa_uses_dynamic_stack 0
		.amdhsa_enable_private_segment 0
		.amdhsa_system_sgpr_workgroup_id_x 1
		.amdhsa_system_sgpr_workgroup_id_y 0
		.amdhsa_system_sgpr_workgroup_id_z 0
		.amdhsa_system_sgpr_workgroup_info 0
		.amdhsa_system_vgpr_workitem_id 2
		.amdhsa_next_free_vgpr 38
		.amdhsa_next_free_sgpr 31
		.amdhsa_named_barrier_count 0
		.amdhsa_reserve_vcc 1
		.amdhsa_float_round_mode_32 0
		.amdhsa_float_round_mode_16_64 0
		.amdhsa_float_denorm_mode_32 3
		.amdhsa_float_denorm_mode_16_64 3
		.amdhsa_fp16_overflow 0
		.amdhsa_memory_ordered 1
		.amdhsa_forward_progress 1
		.amdhsa_inst_pref_size 30
		.amdhsa_round_robin_scheduling 0
		.amdhsa_exception_fp_ieee_invalid_op 0
		.amdhsa_exception_fp_denorm_src 0
		.amdhsa_exception_fp_ieee_div_zero 0
		.amdhsa_exception_fp_ieee_overflow 0
		.amdhsa_exception_fp_ieee_underflow 0
		.amdhsa_exception_fp_ieee_inexact 0
		.amdhsa_exception_int_div_zero 0
	.end_amdhsa_kernel
	.section	.text._ZN7rocprim17ROCPRIM_400000_NS6detail17trampoline_kernelINS0_13kernel_configILj256ELj4ELj4294967295EEENS1_37radix_sort_block_sort_config_selectorI6__halfNS0_10empty_typeEEEZNS1_21radix_sort_block_sortIS4_Lb0EPKS6_PS6_PS7_SD_NS0_19identity_decomposerEEE10hipError_tT1_T2_T3_T4_jRjT5_jjP12ihipStream_tbEUlT_E_NS1_11comp_targetILNS1_3genE0ELNS1_11target_archE4294967295ELNS1_3gpuE0ELNS1_3repE0EEENS1_44radix_sort_block_sort_config_static_selectorELNS0_4arch9wavefront6targetE0EEEvSG_,"axG",@progbits,_ZN7rocprim17ROCPRIM_400000_NS6detail17trampoline_kernelINS0_13kernel_configILj256ELj4ELj4294967295EEENS1_37radix_sort_block_sort_config_selectorI6__halfNS0_10empty_typeEEEZNS1_21radix_sort_block_sortIS4_Lb0EPKS6_PS6_PS7_SD_NS0_19identity_decomposerEEE10hipError_tT1_T2_T3_T4_jRjT5_jjP12ihipStream_tbEUlT_E_NS1_11comp_targetILNS1_3genE0ELNS1_11target_archE4294967295ELNS1_3gpuE0ELNS1_3repE0EEENS1_44radix_sort_block_sort_config_static_selectorELNS0_4arch9wavefront6targetE0EEEvSG_,comdat
.Lfunc_end2199:
	.size	_ZN7rocprim17ROCPRIM_400000_NS6detail17trampoline_kernelINS0_13kernel_configILj256ELj4ELj4294967295EEENS1_37radix_sort_block_sort_config_selectorI6__halfNS0_10empty_typeEEEZNS1_21radix_sort_block_sortIS4_Lb0EPKS6_PS6_PS7_SD_NS0_19identity_decomposerEEE10hipError_tT1_T2_T3_T4_jRjT5_jjP12ihipStream_tbEUlT_E_NS1_11comp_targetILNS1_3genE0ELNS1_11target_archE4294967295ELNS1_3gpuE0ELNS1_3repE0EEENS1_44radix_sort_block_sort_config_static_selectorELNS0_4arch9wavefront6targetE0EEEvSG_, .Lfunc_end2199-_ZN7rocprim17ROCPRIM_400000_NS6detail17trampoline_kernelINS0_13kernel_configILj256ELj4ELj4294967295EEENS1_37radix_sort_block_sort_config_selectorI6__halfNS0_10empty_typeEEEZNS1_21radix_sort_block_sortIS4_Lb0EPKS6_PS6_PS7_SD_NS0_19identity_decomposerEEE10hipError_tT1_T2_T3_T4_jRjT5_jjP12ihipStream_tbEUlT_E_NS1_11comp_targetILNS1_3genE0ELNS1_11target_archE4294967295ELNS1_3gpuE0ELNS1_3repE0EEENS1_44radix_sort_block_sort_config_static_selectorELNS0_4arch9wavefront6targetE0EEEvSG_
                                        ; -- End function
	.set _ZN7rocprim17ROCPRIM_400000_NS6detail17trampoline_kernelINS0_13kernel_configILj256ELj4ELj4294967295EEENS1_37radix_sort_block_sort_config_selectorI6__halfNS0_10empty_typeEEEZNS1_21radix_sort_block_sortIS4_Lb0EPKS6_PS6_PS7_SD_NS0_19identity_decomposerEEE10hipError_tT1_T2_T3_T4_jRjT5_jjP12ihipStream_tbEUlT_E_NS1_11comp_targetILNS1_3genE0ELNS1_11target_archE4294967295ELNS1_3gpuE0ELNS1_3repE0EEENS1_44radix_sort_block_sort_config_static_selectorELNS0_4arch9wavefront6targetE0EEEvSG_.num_vgpr, 38
	.set _ZN7rocprim17ROCPRIM_400000_NS6detail17trampoline_kernelINS0_13kernel_configILj256ELj4ELj4294967295EEENS1_37radix_sort_block_sort_config_selectorI6__halfNS0_10empty_typeEEEZNS1_21radix_sort_block_sortIS4_Lb0EPKS6_PS6_PS7_SD_NS0_19identity_decomposerEEE10hipError_tT1_T2_T3_T4_jRjT5_jjP12ihipStream_tbEUlT_E_NS1_11comp_targetILNS1_3genE0ELNS1_11target_archE4294967295ELNS1_3gpuE0ELNS1_3repE0EEENS1_44radix_sort_block_sort_config_static_selectorELNS0_4arch9wavefront6targetE0EEEvSG_.num_agpr, 0
	.set _ZN7rocprim17ROCPRIM_400000_NS6detail17trampoline_kernelINS0_13kernel_configILj256ELj4ELj4294967295EEENS1_37radix_sort_block_sort_config_selectorI6__halfNS0_10empty_typeEEEZNS1_21radix_sort_block_sortIS4_Lb0EPKS6_PS6_PS7_SD_NS0_19identity_decomposerEEE10hipError_tT1_T2_T3_T4_jRjT5_jjP12ihipStream_tbEUlT_E_NS1_11comp_targetILNS1_3genE0ELNS1_11target_archE4294967295ELNS1_3gpuE0ELNS1_3repE0EEENS1_44radix_sort_block_sort_config_static_selectorELNS0_4arch9wavefront6targetE0EEEvSG_.numbered_sgpr, 31
	.set _ZN7rocprim17ROCPRIM_400000_NS6detail17trampoline_kernelINS0_13kernel_configILj256ELj4ELj4294967295EEENS1_37radix_sort_block_sort_config_selectorI6__halfNS0_10empty_typeEEEZNS1_21radix_sort_block_sortIS4_Lb0EPKS6_PS6_PS7_SD_NS0_19identity_decomposerEEE10hipError_tT1_T2_T3_T4_jRjT5_jjP12ihipStream_tbEUlT_E_NS1_11comp_targetILNS1_3genE0ELNS1_11target_archE4294967295ELNS1_3gpuE0ELNS1_3repE0EEENS1_44radix_sort_block_sort_config_static_selectorELNS0_4arch9wavefront6targetE0EEEvSG_.num_named_barrier, 0
	.set _ZN7rocprim17ROCPRIM_400000_NS6detail17trampoline_kernelINS0_13kernel_configILj256ELj4ELj4294967295EEENS1_37radix_sort_block_sort_config_selectorI6__halfNS0_10empty_typeEEEZNS1_21radix_sort_block_sortIS4_Lb0EPKS6_PS6_PS7_SD_NS0_19identity_decomposerEEE10hipError_tT1_T2_T3_T4_jRjT5_jjP12ihipStream_tbEUlT_E_NS1_11comp_targetILNS1_3genE0ELNS1_11target_archE4294967295ELNS1_3gpuE0ELNS1_3repE0EEENS1_44radix_sort_block_sort_config_static_selectorELNS0_4arch9wavefront6targetE0EEEvSG_.private_seg_size, 0
	.set _ZN7rocprim17ROCPRIM_400000_NS6detail17trampoline_kernelINS0_13kernel_configILj256ELj4ELj4294967295EEENS1_37radix_sort_block_sort_config_selectorI6__halfNS0_10empty_typeEEEZNS1_21radix_sort_block_sortIS4_Lb0EPKS6_PS6_PS7_SD_NS0_19identity_decomposerEEE10hipError_tT1_T2_T3_T4_jRjT5_jjP12ihipStream_tbEUlT_E_NS1_11comp_targetILNS1_3genE0ELNS1_11target_archE4294967295ELNS1_3gpuE0ELNS1_3repE0EEENS1_44radix_sort_block_sort_config_static_selectorELNS0_4arch9wavefront6targetE0EEEvSG_.uses_vcc, 1
	.set _ZN7rocprim17ROCPRIM_400000_NS6detail17trampoline_kernelINS0_13kernel_configILj256ELj4ELj4294967295EEENS1_37radix_sort_block_sort_config_selectorI6__halfNS0_10empty_typeEEEZNS1_21radix_sort_block_sortIS4_Lb0EPKS6_PS6_PS7_SD_NS0_19identity_decomposerEEE10hipError_tT1_T2_T3_T4_jRjT5_jjP12ihipStream_tbEUlT_E_NS1_11comp_targetILNS1_3genE0ELNS1_11target_archE4294967295ELNS1_3gpuE0ELNS1_3repE0EEENS1_44radix_sort_block_sort_config_static_selectorELNS0_4arch9wavefront6targetE0EEEvSG_.uses_flat_scratch, 0
	.set _ZN7rocprim17ROCPRIM_400000_NS6detail17trampoline_kernelINS0_13kernel_configILj256ELj4ELj4294967295EEENS1_37radix_sort_block_sort_config_selectorI6__halfNS0_10empty_typeEEEZNS1_21radix_sort_block_sortIS4_Lb0EPKS6_PS6_PS7_SD_NS0_19identity_decomposerEEE10hipError_tT1_T2_T3_T4_jRjT5_jjP12ihipStream_tbEUlT_E_NS1_11comp_targetILNS1_3genE0ELNS1_11target_archE4294967295ELNS1_3gpuE0ELNS1_3repE0EEENS1_44radix_sort_block_sort_config_static_selectorELNS0_4arch9wavefront6targetE0EEEvSG_.has_dyn_sized_stack, 0
	.set _ZN7rocprim17ROCPRIM_400000_NS6detail17trampoline_kernelINS0_13kernel_configILj256ELj4ELj4294967295EEENS1_37radix_sort_block_sort_config_selectorI6__halfNS0_10empty_typeEEEZNS1_21radix_sort_block_sortIS4_Lb0EPKS6_PS6_PS7_SD_NS0_19identity_decomposerEEE10hipError_tT1_T2_T3_T4_jRjT5_jjP12ihipStream_tbEUlT_E_NS1_11comp_targetILNS1_3genE0ELNS1_11target_archE4294967295ELNS1_3gpuE0ELNS1_3repE0EEENS1_44radix_sort_block_sort_config_static_selectorELNS0_4arch9wavefront6targetE0EEEvSG_.has_recursion, 0
	.set _ZN7rocprim17ROCPRIM_400000_NS6detail17trampoline_kernelINS0_13kernel_configILj256ELj4ELj4294967295EEENS1_37radix_sort_block_sort_config_selectorI6__halfNS0_10empty_typeEEEZNS1_21radix_sort_block_sortIS4_Lb0EPKS6_PS6_PS7_SD_NS0_19identity_decomposerEEE10hipError_tT1_T2_T3_T4_jRjT5_jjP12ihipStream_tbEUlT_E_NS1_11comp_targetILNS1_3genE0ELNS1_11target_archE4294967295ELNS1_3gpuE0ELNS1_3repE0EEENS1_44radix_sort_block_sort_config_static_selectorELNS0_4arch9wavefront6targetE0EEEvSG_.has_indirect_call, 0
	.section	.AMDGPU.csdata,"",@progbits
; Kernel info:
; codeLenInByte = 3756
; TotalNumSgprs: 33
; NumVgprs: 38
; ScratchSize: 0
; MemoryBound: 0
; FloatMode: 240
; IeeeMode: 1
; LDSByteSize: 8224 bytes/workgroup (compile time only)
; SGPRBlocks: 0
; VGPRBlocks: 2
; NumSGPRsForWavesPerEU: 33
; NumVGPRsForWavesPerEU: 38
; NamedBarCnt: 0
; Occupancy: 16
; WaveLimiterHint : 1
; COMPUTE_PGM_RSRC2:SCRATCH_EN: 0
; COMPUTE_PGM_RSRC2:USER_SGPR: 2
; COMPUTE_PGM_RSRC2:TRAP_HANDLER: 0
; COMPUTE_PGM_RSRC2:TGID_X_EN: 1
; COMPUTE_PGM_RSRC2:TGID_Y_EN: 0
; COMPUTE_PGM_RSRC2:TGID_Z_EN: 0
; COMPUTE_PGM_RSRC2:TIDIG_COMP_CNT: 2
	.section	.text._ZN7rocprim17ROCPRIM_400000_NS6detail17trampoline_kernelINS0_13kernel_configILj256ELj4ELj4294967295EEENS1_37radix_sort_block_sort_config_selectorI6__halfNS0_10empty_typeEEEZNS1_21radix_sort_block_sortIS4_Lb0EPKS6_PS6_PS7_SD_NS0_19identity_decomposerEEE10hipError_tT1_T2_T3_T4_jRjT5_jjP12ihipStream_tbEUlT_E_NS1_11comp_targetILNS1_3genE5ELNS1_11target_archE942ELNS1_3gpuE9ELNS1_3repE0EEENS1_44radix_sort_block_sort_config_static_selectorELNS0_4arch9wavefront6targetE0EEEvSG_,"axG",@progbits,_ZN7rocprim17ROCPRIM_400000_NS6detail17trampoline_kernelINS0_13kernel_configILj256ELj4ELj4294967295EEENS1_37radix_sort_block_sort_config_selectorI6__halfNS0_10empty_typeEEEZNS1_21radix_sort_block_sortIS4_Lb0EPKS6_PS6_PS7_SD_NS0_19identity_decomposerEEE10hipError_tT1_T2_T3_T4_jRjT5_jjP12ihipStream_tbEUlT_E_NS1_11comp_targetILNS1_3genE5ELNS1_11target_archE942ELNS1_3gpuE9ELNS1_3repE0EEENS1_44radix_sort_block_sort_config_static_selectorELNS0_4arch9wavefront6targetE0EEEvSG_,comdat
	.protected	_ZN7rocprim17ROCPRIM_400000_NS6detail17trampoline_kernelINS0_13kernel_configILj256ELj4ELj4294967295EEENS1_37radix_sort_block_sort_config_selectorI6__halfNS0_10empty_typeEEEZNS1_21radix_sort_block_sortIS4_Lb0EPKS6_PS6_PS7_SD_NS0_19identity_decomposerEEE10hipError_tT1_T2_T3_T4_jRjT5_jjP12ihipStream_tbEUlT_E_NS1_11comp_targetILNS1_3genE5ELNS1_11target_archE942ELNS1_3gpuE9ELNS1_3repE0EEENS1_44radix_sort_block_sort_config_static_selectorELNS0_4arch9wavefront6targetE0EEEvSG_ ; -- Begin function _ZN7rocprim17ROCPRIM_400000_NS6detail17trampoline_kernelINS0_13kernel_configILj256ELj4ELj4294967295EEENS1_37radix_sort_block_sort_config_selectorI6__halfNS0_10empty_typeEEEZNS1_21radix_sort_block_sortIS4_Lb0EPKS6_PS6_PS7_SD_NS0_19identity_decomposerEEE10hipError_tT1_T2_T3_T4_jRjT5_jjP12ihipStream_tbEUlT_E_NS1_11comp_targetILNS1_3genE5ELNS1_11target_archE942ELNS1_3gpuE9ELNS1_3repE0EEENS1_44radix_sort_block_sort_config_static_selectorELNS0_4arch9wavefront6targetE0EEEvSG_
	.globl	_ZN7rocprim17ROCPRIM_400000_NS6detail17trampoline_kernelINS0_13kernel_configILj256ELj4ELj4294967295EEENS1_37radix_sort_block_sort_config_selectorI6__halfNS0_10empty_typeEEEZNS1_21radix_sort_block_sortIS4_Lb0EPKS6_PS6_PS7_SD_NS0_19identity_decomposerEEE10hipError_tT1_T2_T3_T4_jRjT5_jjP12ihipStream_tbEUlT_E_NS1_11comp_targetILNS1_3genE5ELNS1_11target_archE942ELNS1_3gpuE9ELNS1_3repE0EEENS1_44radix_sort_block_sort_config_static_selectorELNS0_4arch9wavefront6targetE0EEEvSG_
	.p2align	8
	.type	_ZN7rocprim17ROCPRIM_400000_NS6detail17trampoline_kernelINS0_13kernel_configILj256ELj4ELj4294967295EEENS1_37radix_sort_block_sort_config_selectorI6__halfNS0_10empty_typeEEEZNS1_21radix_sort_block_sortIS4_Lb0EPKS6_PS6_PS7_SD_NS0_19identity_decomposerEEE10hipError_tT1_T2_T3_T4_jRjT5_jjP12ihipStream_tbEUlT_E_NS1_11comp_targetILNS1_3genE5ELNS1_11target_archE942ELNS1_3gpuE9ELNS1_3repE0EEENS1_44radix_sort_block_sort_config_static_selectorELNS0_4arch9wavefront6targetE0EEEvSG_,@function
_ZN7rocprim17ROCPRIM_400000_NS6detail17trampoline_kernelINS0_13kernel_configILj256ELj4ELj4294967295EEENS1_37radix_sort_block_sort_config_selectorI6__halfNS0_10empty_typeEEEZNS1_21radix_sort_block_sortIS4_Lb0EPKS6_PS6_PS7_SD_NS0_19identity_decomposerEEE10hipError_tT1_T2_T3_T4_jRjT5_jjP12ihipStream_tbEUlT_E_NS1_11comp_targetILNS1_3genE5ELNS1_11target_archE942ELNS1_3gpuE9ELNS1_3repE0EEENS1_44radix_sort_block_sort_config_static_selectorELNS0_4arch9wavefront6targetE0EEEvSG_: ; @_ZN7rocprim17ROCPRIM_400000_NS6detail17trampoline_kernelINS0_13kernel_configILj256ELj4ELj4294967295EEENS1_37radix_sort_block_sort_config_selectorI6__halfNS0_10empty_typeEEEZNS1_21radix_sort_block_sortIS4_Lb0EPKS6_PS6_PS7_SD_NS0_19identity_decomposerEEE10hipError_tT1_T2_T3_T4_jRjT5_jjP12ihipStream_tbEUlT_E_NS1_11comp_targetILNS1_3genE5ELNS1_11target_archE942ELNS1_3gpuE9ELNS1_3repE0EEENS1_44radix_sort_block_sort_config_static_selectorELNS0_4arch9wavefront6targetE0EEEvSG_
; %bb.0:
	.section	.rodata,"a",@progbits
	.p2align	6, 0x0
	.amdhsa_kernel _ZN7rocprim17ROCPRIM_400000_NS6detail17trampoline_kernelINS0_13kernel_configILj256ELj4ELj4294967295EEENS1_37radix_sort_block_sort_config_selectorI6__halfNS0_10empty_typeEEEZNS1_21radix_sort_block_sortIS4_Lb0EPKS6_PS6_PS7_SD_NS0_19identity_decomposerEEE10hipError_tT1_T2_T3_T4_jRjT5_jjP12ihipStream_tbEUlT_E_NS1_11comp_targetILNS1_3genE5ELNS1_11target_archE942ELNS1_3gpuE9ELNS1_3repE0EEENS1_44radix_sort_block_sort_config_static_selectorELNS0_4arch9wavefront6targetE0EEEvSG_
		.amdhsa_group_segment_fixed_size 0
		.amdhsa_private_segment_fixed_size 0
		.amdhsa_kernarg_size 48
		.amdhsa_user_sgpr_count 2
		.amdhsa_user_sgpr_dispatch_ptr 0
		.amdhsa_user_sgpr_queue_ptr 0
		.amdhsa_user_sgpr_kernarg_segment_ptr 1
		.amdhsa_user_sgpr_dispatch_id 0
		.amdhsa_user_sgpr_kernarg_preload_length 0
		.amdhsa_user_sgpr_kernarg_preload_offset 0
		.amdhsa_user_sgpr_private_segment_size 0
		.amdhsa_wavefront_size32 1
		.amdhsa_uses_dynamic_stack 0
		.amdhsa_enable_private_segment 0
		.amdhsa_system_sgpr_workgroup_id_x 1
		.amdhsa_system_sgpr_workgroup_id_y 0
		.amdhsa_system_sgpr_workgroup_id_z 0
		.amdhsa_system_sgpr_workgroup_info 0
		.amdhsa_system_vgpr_workitem_id 0
		.amdhsa_next_free_vgpr 1
		.amdhsa_next_free_sgpr 1
		.amdhsa_named_barrier_count 0
		.amdhsa_reserve_vcc 0
		.amdhsa_float_round_mode_32 0
		.amdhsa_float_round_mode_16_64 0
		.amdhsa_float_denorm_mode_32 3
		.amdhsa_float_denorm_mode_16_64 3
		.amdhsa_fp16_overflow 0
		.amdhsa_memory_ordered 1
		.amdhsa_forward_progress 1
		.amdhsa_inst_pref_size 0
		.amdhsa_round_robin_scheduling 0
		.amdhsa_exception_fp_ieee_invalid_op 0
		.amdhsa_exception_fp_denorm_src 0
		.amdhsa_exception_fp_ieee_div_zero 0
		.amdhsa_exception_fp_ieee_overflow 0
		.amdhsa_exception_fp_ieee_underflow 0
		.amdhsa_exception_fp_ieee_inexact 0
		.amdhsa_exception_int_div_zero 0
	.end_amdhsa_kernel
	.section	.text._ZN7rocprim17ROCPRIM_400000_NS6detail17trampoline_kernelINS0_13kernel_configILj256ELj4ELj4294967295EEENS1_37radix_sort_block_sort_config_selectorI6__halfNS0_10empty_typeEEEZNS1_21radix_sort_block_sortIS4_Lb0EPKS6_PS6_PS7_SD_NS0_19identity_decomposerEEE10hipError_tT1_T2_T3_T4_jRjT5_jjP12ihipStream_tbEUlT_E_NS1_11comp_targetILNS1_3genE5ELNS1_11target_archE942ELNS1_3gpuE9ELNS1_3repE0EEENS1_44radix_sort_block_sort_config_static_selectorELNS0_4arch9wavefront6targetE0EEEvSG_,"axG",@progbits,_ZN7rocprim17ROCPRIM_400000_NS6detail17trampoline_kernelINS0_13kernel_configILj256ELj4ELj4294967295EEENS1_37radix_sort_block_sort_config_selectorI6__halfNS0_10empty_typeEEEZNS1_21radix_sort_block_sortIS4_Lb0EPKS6_PS6_PS7_SD_NS0_19identity_decomposerEEE10hipError_tT1_T2_T3_T4_jRjT5_jjP12ihipStream_tbEUlT_E_NS1_11comp_targetILNS1_3genE5ELNS1_11target_archE942ELNS1_3gpuE9ELNS1_3repE0EEENS1_44radix_sort_block_sort_config_static_selectorELNS0_4arch9wavefront6targetE0EEEvSG_,comdat
.Lfunc_end2200:
	.size	_ZN7rocprim17ROCPRIM_400000_NS6detail17trampoline_kernelINS0_13kernel_configILj256ELj4ELj4294967295EEENS1_37radix_sort_block_sort_config_selectorI6__halfNS0_10empty_typeEEEZNS1_21radix_sort_block_sortIS4_Lb0EPKS6_PS6_PS7_SD_NS0_19identity_decomposerEEE10hipError_tT1_T2_T3_T4_jRjT5_jjP12ihipStream_tbEUlT_E_NS1_11comp_targetILNS1_3genE5ELNS1_11target_archE942ELNS1_3gpuE9ELNS1_3repE0EEENS1_44radix_sort_block_sort_config_static_selectorELNS0_4arch9wavefront6targetE0EEEvSG_, .Lfunc_end2200-_ZN7rocprim17ROCPRIM_400000_NS6detail17trampoline_kernelINS0_13kernel_configILj256ELj4ELj4294967295EEENS1_37radix_sort_block_sort_config_selectorI6__halfNS0_10empty_typeEEEZNS1_21radix_sort_block_sortIS4_Lb0EPKS6_PS6_PS7_SD_NS0_19identity_decomposerEEE10hipError_tT1_T2_T3_T4_jRjT5_jjP12ihipStream_tbEUlT_E_NS1_11comp_targetILNS1_3genE5ELNS1_11target_archE942ELNS1_3gpuE9ELNS1_3repE0EEENS1_44radix_sort_block_sort_config_static_selectorELNS0_4arch9wavefront6targetE0EEEvSG_
                                        ; -- End function
	.set _ZN7rocprim17ROCPRIM_400000_NS6detail17trampoline_kernelINS0_13kernel_configILj256ELj4ELj4294967295EEENS1_37radix_sort_block_sort_config_selectorI6__halfNS0_10empty_typeEEEZNS1_21radix_sort_block_sortIS4_Lb0EPKS6_PS6_PS7_SD_NS0_19identity_decomposerEEE10hipError_tT1_T2_T3_T4_jRjT5_jjP12ihipStream_tbEUlT_E_NS1_11comp_targetILNS1_3genE5ELNS1_11target_archE942ELNS1_3gpuE9ELNS1_3repE0EEENS1_44radix_sort_block_sort_config_static_selectorELNS0_4arch9wavefront6targetE0EEEvSG_.num_vgpr, 0
	.set _ZN7rocprim17ROCPRIM_400000_NS6detail17trampoline_kernelINS0_13kernel_configILj256ELj4ELj4294967295EEENS1_37radix_sort_block_sort_config_selectorI6__halfNS0_10empty_typeEEEZNS1_21radix_sort_block_sortIS4_Lb0EPKS6_PS6_PS7_SD_NS0_19identity_decomposerEEE10hipError_tT1_T2_T3_T4_jRjT5_jjP12ihipStream_tbEUlT_E_NS1_11comp_targetILNS1_3genE5ELNS1_11target_archE942ELNS1_3gpuE9ELNS1_3repE0EEENS1_44radix_sort_block_sort_config_static_selectorELNS0_4arch9wavefront6targetE0EEEvSG_.num_agpr, 0
	.set _ZN7rocprim17ROCPRIM_400000_NS6detail17trampoline_kernelINS0_13kernel_configILj256ELj4ELj4294967295EEENS1_37radix_sort_block_sort_config_selectorI6__halfNS0_10empty_typeEEEZNS1_21radix_sort_block_sortIS4_Lb0EPKS6_PS6_PS7_SD_NS0_19identity_decomposerEEE10hipError_tT1_T2_T3_T4_jRjT5_jjP12ihipStream_tbEUlT_E_NS1_11comp_targetILNS1_3genE5ELNS1_11target_archE942ELNS1_3gpuE9ELNS1_3repE0EEENS1_44radix_sort_block_sort_config_static_selectorELNS0_4arch9wavefront6targetE0EEEvSG_.numbered_sgpr, 0
	.set _ZN7rocprim17ROCPRIM_400000_NS6detail17trampoline_kernelINS0_13kernel_configILj256ELj4ELj4294967295EEENS1_37radix_sort_block_sort_config_selectorI6__halfNS0_10empty_typeEEEZNS1_21radix_sort_block_sortIS4_Lb0EPKS6_PS6_PS7_SD_NS0_19identity_decomposerEEE10hipError_tT1_T2_T3_T4_jRjT5_jjP12ihipStream_tbEUlT_E_NS1_11comp_targetILNS1_3genE5ELNS1_11target_archE942ELNS1_3gpuE9ELNS1_3repE0EEENS1_44radix_sort_block_sort_config_static_selectorELNS0_4arch9wavefront6targetE0EEEvSG_.num_named_barrier, 0
	.set _ZN7rocprim17ROCPRIM_400000_NS6detail17trampoline_kernelINS0_13kernel_configILj256ELj4ELj4294967295EEENS1_37radix_sort_block_sort_config_selectorI6__halfNS0_10empty_typeEEEZNS1_21radix_sort_block_sortIS4_Lb0EPKS6_PS6_PS7_SD_NS0_19identity_decomposerEEE10hipError_tT1_T2_T3_T4_jRjT5_jjP12ihipStream_tbEUlT_E_NS1_11comp_targetILNS1_3genE5ELNS1_11target_archE942ELNS1_3gpuE9ELNS1_3repE0EEENS1_44radix_sort_block_sort_config_static_selectorELNS0_4arch9wavefront6targetE0EEEvSG_.private_seg_size, 0
	.set _ZN7rocprim17ROCPRIM_400000_NS6detail17trampoline_kernelINS0_13kernel_configILj256ELj4ELj4294967295EEENS1_37radix_sort_block_sort_config_selectorI6__halfNS0_10empty_typeEEEZNS1_21radix_sort_block_sortIS4_Lb0EPKS6_PS6_PS7_SD_NS0_19identity_decomposerEEE10hipError_tT1_T2_T3_T4_jRjT5_jjP12ihipStream_tbEUlT_E_NS1_11comp_targetILNS1_3genE5ELNS1_11target_archE942ELNS1_3gpuE9ELNS1_3repE0EEENS1_44radix_sort_block_sort_config_static_selectorELNS0_4arch9wavefront6targetE0EEEvSG_.uses_vcc, 0
	.set _ZN7rocprim17ROCPRIM_400000_NS6detail17trampoline_kernelINS0_13kernel_configILj256ELj4ELj4294967295EEENS1_37radix_sort_block_sort_config_selectorI6__halfNS0_10empty_typeEEEZNS1_21radix_sort_block_sortIS4_Lb0EPKS6_PS6_PS7_SD_NS0_19identity_decomposerEEE10hipError_tT1_T2_T3_T4_jRjT5_jjP12ihipStream_tbEUlT_E_NS1_11comp_targetILNS1_3genE5ELNS1_11target_archE942ELNS1_3gpuE9ELNS1_3repE0EEENS1_44radix_sort_block_sort_config_static_selectorELNS0_4arch9wavefront6targetE0EEEvSG_.uses_flat_scratch, 0
	.set _ZN7rocprim17ROCPRIM_400000_NS6detail17trampoline_kernelINS0_13kernel_configILj256ELj4ELj4294967295EEENS1_37radix_sort_block_sort_config_selectorI6__halfNS0_10empty_typeEEEZNS1_21radix_sort_block_sortIS4_Lb0EPKS6_PS6_PS7_SD_NS0_19identity_decomposerEEE10hipError_tT1_T2_T3_T4_jRjT5_jjP12ihipStream_tbEUlT_E_NS1_11comp_targetILNS1_3genE5ELNS1_11target_archE942ELNS1_3gpuE9ELNS1_3repE0EEENS1_44radix_sort_block_sort_config_static_selectorELNS0_4arch9wavefront6targetE0EEEvSG_.has_dyn_sized_stack, 0
	.set _ZN7rocprim17ROCPRIM_400000_NS6detail17trampoline_kernelINS0_13kernel_configILj256ELj4ELj4294967295EEENS1_37radix_sort_block_sort_config_selectorI6__halfNS0_10empty_typeEEEZNS1_21radix_sort_block_sortIS4_Lb0EPKS6_PS6_PS7_SD_NS0_19identity_decomposerEEE10hipError_tT1_T2_T3_T4_jRjT5_jjP12ihipStream_tbEUlT_E_NS1_11comp_targetILNS1_3genE5ELNS1_11target_archE942ELNS1_3gpuE9ELNS1_3repE0EEENS1_44radix_sort_block_sort_config_static_selectorELNS0_4arch9wavefront6targetE0EEEvSG_.has_recursion, 0
	.set _ZN7rocprim17ROCPRIM_400000_NS6detail17trampoline_kernelINS0_13kernel_configILj256ELj4ELj4294967295EEENS1_37radix_sort_block_sort_config_selectorI6__halfNS0_10empty_typeEEEZNS1_21radix_sort_block_sortIS4_Lb0EPKS6_PS6_PS7_SD_NS0_19identity_decomposerEEE10hipError_tT1_T2_T3_T4_jRjT5_jjP12ihipStream_tbEUlT_E_NS1_11comp_targetILNS1_3genE5ELNS1_11target_archE942ELNS1_3gpuE9ELNS1_3repE0EEENS1_44radix_sort_block_sort_config_static_selectorELNS0_4arch9wavefront6targetE0EEEvSG_.has_indirect_call, 0
	.section	.AMDGPU.csdata,"",@progbits
; Kernel info:
; codeLenInByte = 0
; TotalNumSgprs: 0
; NumVgprs: 0
; ScratchSize: 0
; MemoryBound: 0
; FloatMode: 240
; IeeeMode: 1
; LDSByteSize: 0 bytes/workgroup (compile time only)
; SGPRBlocks: 0
; VGPRBlocks: 0
; NumSGPRsForWavesPerEU: 1
; NumVGPRsForWavesPerEU: 1
; NamedBarCnt: 0
; Occupancy: 16
; WaveLimiterHint : 0
; COMPUTE_PGM_RSRC2:SCRATCH_EN: 0
; COMPUTE_PGM_RSRC2:USER_SGPR: 2
; COMPUTE_PGM_RSRC2:TRAP_HANDLER: 0
; COMPUTE_PGM_RSRC2:TGID_X_EN: 1
; COMPUTE_PGM_RSRC2:TGID_Y_EN: 0
; COMPUTE_PGM_RSRC2:TGID_Z_EN: 0
; COMPUTE_PGM_RSRC2:TIDIG_COMP_CNT: 0
	.section	.text._ZN7rocprim17ROCPRIM_400000_NS6detail17trampoline_kernelINS0_13kernel_configILj256ELj4ELj4294967295EEENS1_37radix_sort_block_sort_config_selectorI6__halfNS0_10empty_typeEEEZNS1_21radix_sort_block_sortIS4_Lb0EPKS6_PS6_PS7_SD_NS0_19identity_decomposerEEE10hipError_tT1_T2_T3_T4_jRjT5_jjP12ihipStream_tbEUlT_E_NS1_11comp_targetILNS1_3genE4ELNS1_11target_archE910ELNS1_3gpuE8ELNS1_3repE0EEENS1_44radix_sort_block_sort_config_static_selectorELNS0_4arch9wavefront6targetE0EEEvSG_,"axG",@progbits,_ZN7rocprim17ROCPRIM_400000_NS6detail17trampoline_kernelINS0_13kernel_configILj256ELj4ELj4294967295EEENS1_37radix_sort_block_sort_config_selectorI6__halfNS0_10empty_typeEEEZNS1_21radix_sort_block_sortIS4_Lb0EPKS6_PS6_PS7_SD_NS0_19identity_decomposerEEE10hipError_tT1_T2_T3_T4_jRjT5_jjP12ihipStream_tbEUlT_E_NS1_11comp_targetILNS1_3genE4ELNS1_11target_archE910ELNS1_3gpuE8ELNS1_3repE0EEENS1_44radix_sort_block_sort_config_static_selectorELNS0_4arch9wavefront6targetE0EEEvSG_,comdat
	.protected	_ZN7rocprim17ROCPRIM_400000_NS6detail17trampoline_kernelINS0_13kernel_configILj256ELj4ELj4294967295EEENS1_37radix_sort_block_sort_config_selectorI6__halfNS0_10empty_typeEEEZNS1_21radix_sort_block_sortIS4_Lb0EPKS6_PS6_PS7_SD_NS0_19identity_decomposerEEE10hipError_tT1_T2_T3_T4_jRjT5_jjP12ihipStream_tbEUlT_E_NS1_11comp_targetILNS1_3genE4ELNS1_11target_archE910ELNS1_3gpuE8ELNS1_3repE0EEENS1_44radix_sort_block_sort_config_static_selectorELNS0_4arch9wavefront6targetE0EEEvSG_ ; -- Begin function _ZN7rocprim17ROCPRIM_400000_NS6detail17trampoline_kernelINS0_13kernel_configILj256ELj4ELj4294967295EEENS1_37radix_sort_block_sort_config_selectorI6__halfNS0_10empty_typeEEEZNS1_21radix_sort_block_sortIS4_Lb0EPKS6_PS6_PS7_SD_NS0_19identity_decomposerEEE10hipError_tT1_T2_T3_T4_jRjT5_jjP12ihipStream_tbEUlT_E_NS1_11comp_targetILNS1_3genE4ELNS1_11target_archE910ELNS1_3gpuE8ELNS1_3repE0EEENS1_44radix_sort_block_sort_config_static_selectorELNS0_4arch9wavefront6targetE0EEEvSG_
	.globl	_ZN7rocprim17ROCPRIM_400000_NS6detail17trampoline_kernelINS0_13kernel_configILj256ELj4ELj4294967295EEENS1_37radix_sort_block_sort_config_selectorI6__halfNS0_10empty_typeEEEZNS1_21radix_sort_block_sortIS4_Lb0EPKS6_PS6_PS7_SD_NS0_19identity_decomposerEEE10hipError_tT1_T2_T3_T4_jRjT5_jjP12ihipStream_tbEUlT_E_NS1_11comp_targetILNS1_3genE4ELNS1_11target_archE910ELNS1_3gpuE8ELNS1_3repE0EEENS1_44radix_sort_block_sort_config_static_selectorELNS0_4arch9wavefront6targetE0EEEvSG_
	.p2align	8
	.type	_ZN7rocprim17ROCPRIM_400000_NS6detail17trampoline_kernelINS0_13kernel_configILj256ELj4ELj4294967295EEENS1_37radix_sort_block_sort_config_selectorI6__halfNS0_10empty_typeEEEZNS1_21radix_sort_block_sortIS4_Lb0EPKS6_PS6_PS7_SD_NS0_19identity_decomposerEEE10hipError_tT1_T2_T3_T4_jRjT5_jjP12ihipStream_tbEUlT_E_NS1_11comp_targetILNS1_3genE4ELNS1_11target_archE910ELNS1_3gpuE8ELNS1_3repE0EEENS1_44radix_sort_block_sort_config_static_selectorELNS0_4arch9wavefront6targetE0EEEvSG_,@function
_ZN7rocprim17ROCPRIM_400000_NS6detail17trampoline_kernelINS0_13kernel_configILj256ELj4ELj4294967295EEENS1_37radix_sort_block_sort_config_selectorI6__halfNS0_10empty_typeEEEZNS1_21radix_sort_block_sortIS4_Lb0EPKS6_PS6_PS7_SD_NS0_19identity_decomposerEEE10hipError_tT1_T2_T3_T4_jRjT5_jjP12ihipStream_tbEUlT_E_NS1_11comp_targetILNS1_3genE4ELNS1_11target_archE910ELNS1_3gpuE8ELNS1_3repE0EEENS1_44radix_sort_block_sort_config_static_selectorELNS0_4arch9wavefront6targetE0EEEvSG_: ; @_ZN7rocprim17ROCPRIM_400000_NS6detail17trampoline_kernelINS0_13kernel_configILj256ELj4ELj4294967295EEENS1_37radix_sort_block_sort_config_selectorI6__halfNS0_10empty_typeEEEZNS1_21radix_sort_block_sortIS4_Lb0EPKS6_PS6_PS7_SD_NS0_19identity_decomposerEEE10hipError_tT1_T2_T3_T4_jRjT5_jjP12ihipStream_tbEUlT_E_NS1_11comp_targetILNS1_3genE4ELNS1_11target_archE910ELNS1_3gpuE8ELNS1_3repE0EEENS1_44radix_sort_block_sort_config_static_selectorELNS0_4arch9wavefront6targetE0EEEvSG_
; %bb.0:
	.section	.rodata,"a",@progbits
	.p2align	6, 0x0
	.amdhsa_kernel _ZN7rocprim17ROCPRIM_400000_NS6detail17trampoline_kernelINS0_13kernel_configILj256ELj4ELj4294967295EEENS1_37radix_sort_block_sort_config_selectorI6__halfNS0_10empty_typeEEEZNS1_21radix_sort_block_sortIS4_Lb0EPKS6_PS6_PS7_SD_NS0_19identity_decomposerEEE10hipError_tT1_T2_T3_T4_jRjT5_jjP12ihipStream_tbEUlT_E_NS1_11comp_targetILNS1_3genE4ELNS1_11target_archE910ELNS1_3gpuE8ELNS1_3repE0EEENS1_44radix_sort_block_sort_config_static_selectorELNS0_4arch9wavefront6targetE0EEEvSG_
		.amdhsa_group_segment_fixed_size 0
		.amdhsa_private_segment_fixed_size 0
		.amdhsa_kernarg_size 48
		.amdhsa_user_sgpr_count 2
		.amdhsa_user_sgpr_dispatch_ptr 0
		.amdhsa_user_sgpr_queue_ptr 0
		.amdhsa_user_sgpr_kernarg_segment_ptr 1
		.amdhsa_user_sgpr_dispatch_id 0
		.amdhsa_user_sgpr_kernarg_preload_length 0
		.amdhsa_user_sgpr_kernarg_preload_offset 0
		.amdhsa_user_sgpr_private_segment_size 0
		.amdhsa_wavefront_size32 1
		.amdhsa_uses_dynamic_stack 0
		.amdhsa_enable_private_segment 0
		.amdhsa_system_sgpr_workgroup_id_x 1
		.amdhsa_system_sgpr_workgroup_id_y 0
		.amdhsa_system_sgpr_workgroup_id_z 0
		.amdhsa_system_sgpr_workgroup_info 0
		.amdhsa_system_vgpr_workitem_id 0
		.amdhsa_next_free_vgpr 1
		.amdhsa_next_free_sgpr 1
		.amdhsa_named_barrier_count 0
		.amdhsa_reserve_vcc 0
		.amdhsa_float_round_mode_32 0
		.amdhsa_float_round_mode_16_64 0
		.amdhsa_float_denorm_mode_32 3
		.amdhsa_float_denorm_mode_16_64 3
		.amdhsa_fp16_overflow 0
		.amdhsa_memory_ordered 1
		.amdhsa_forward_progress 1
		.amdhsa_inst_pref_size 0
		.amdhsa_round_robin_scheduling 0
		.amdhsa_exception_fp_ieee_invalid_op 0
		.amdhsa_exception_fp_denorm_src 0
		.amdhsa_exception_fp_ieee_div_zero 0
		.amdhsa_exception_fp_ieee_overflow 0
		.amdhsa_exception_fp_ieee_underflow 0
		.amdhsa_exception_fp_ieee_inexact 0
		.amdhsa_exception_int_div_zero 0
	.end_amdhsa_kernel
	.section	.text._ZN7rocprim17ROCPRIM_400000_NS6detail17trampoline_kernelINS0_13kernel_configILj256ELj4ELj4294967295EEENS1_37radix_sort_block_sort_config_selectorI6__halfNS0_10empty_typeEEEZNS1_21radix_sort_block_sortIS4_Lb0EPKS6_PS6_PS7_SD_NS0_19identity_decomposerEEE10hipError_tT1_T2_T3_T4_jRjT5_jjP12ihipStream_tbEUlT_E_NS1_11comp_targetILNS1_3genE4ELNS1_11target_archE910ELNS1_3gpuE8ELNS1_3repE0EEENS1_44radix_sort_block_sort_config_static_selectorELNS0_4arch9wavefront6targetE0EEEvSG_,"axG",@progbits,_ZN7rocprim17ROCPRIM_400000_NS6detail17trampoline_kernelINS0_13kernel_configILj256ELj4ELj4294967295EEENS1_37radix_sort_block_sort_config_selectorI6__halfNS0_10empty_typeEEEZNS1_21radix_sort_block_sortIS4_Lb0EPKS6_PS6_PS7_SD_NS0_19identity_decomposerEEE10hipError_tT1_T2_T3_T4_jRjT5_jjP12ihipStream_tbEUlT_E_NS1_11comp_targetILNS1_3genE4ELNS1_11target_archE910ELNS1_3gpuE8ELNS1_3repE0EEENS1_44radix_sort_block_sort_config_static_selectorELNS0_4arch9wavefront6targetE0EEEvSG_,comdat
.Lfunc_end2201:
	.size	_ZN7rocprim17ROCPRIM_400000_NS6detail17trampoline_kernelINS0_13kernel_configILj256ELj4ELj4294967295EEENS1_37radix_sort_block_sort_config_selectorI6__halfNS0_10empty_typeEEEZNS1_21radix_sort_block_sortIS4_Lb0EPKS6_PS6_PS7_SD_NS0_19identity_decomposerEEE10hipError_tT1_T2_T3_T4_jRjT5_jjP12ihipStream_tbEUlT_E_NS1_11comp_targetILNS1_3genE4ELNS1_11target_archE910ELNS1_3gpuE8ELNS1_3repE0EEENS1_44radix_sort_block_sort_config_static_selectorELNS0_4arch9wavefront6targetE0EEEvSG_, .Lfunc_end2201-_ZN7rocprim17ROCPRIM_400000_NS6detail17trampoline_kernelINS0_13kernel_configILj256ELj4ELj4294967295EEENS1_37radix_sort_block_sort_config_selectorI6__halfNS0_10empty_typeEEEZNS1_21radix_sort_block_sortIS4_Lb0EPKS6_PS6_PS7_SD_NS0_19identity_decomposerEEE10hipError_tT1_T2_T3_T4_jRjT5_jjP12ihipStream_tbEUlT_E_NS1_11comp_targetILNS1_3genE4ELNS1_11target_archE910ELNS1_3gpuE8ELNS1_3repE0EEENS1_44radix_sort_block_sort_config_static_selectorELNS0_4arch9wavefront6targetE0EEEvSG_
                                        ; -- End function
	.set _ZN7rocprim17ROCPRIM_400000_NS6detail17trampoline_kernelINS0_13kernel_configILj256ELj4ELj4294967295EEENS1_37radix_sort_block_sort_config_selectorI6__halfNS0_10empty_typeEEEZNS1_21radix_sort_block_sortIS4_Lb0EPKS6_PS6_PS7_SD_NS0_19identity_decomposerEEE10hipError_tT1_T2_T3_T4_jRjT5_jjP12ihipStream_tbEUlT_E_NS1_11comp_targetILNS1_3genE4ELNS1_11target_archE910ELNS1_3gpuE8ELNS1_3repE0EEENS1_44radix_sort_block_sort_config_static_selectorELNS0_4arch9wavefront6targetE0EEEvSG_.num_vgpr, 0
	.set _ZN7rocprim17ROCPRIM_400000_NS6detail17trampoline_kernelINS0_13kernel_configILj256ELj4ELj4294967295EEENS1_37radix_sort_block_sort_config_selectorI6__halfNS0_10empty_typeEEEZNS1_21radix_sort_block_sortIS4_Lb0EPKS6_PS6_PS7_SD_NS0_19identity_decomposerEEE10hipError_tT1_T2_T3_T4_jRjT5_jjP12ihipStream_tbEUlT_E_NS1_11comp_targetILNS1_3genE4ELNS1_11target_archE910ELNS1_3gpuE8ELNS1_3repE0EEENS1_44radix_sort_block_sort_config_static_selectorELNS0_4arch9wavefront6targetE0EEEvSG_.num_agpr, 0
	.set _ZN7rocprim17ROCPRIM_400000_NS6detail17trampoline_kernelINS0_13kernel_configILj256ELj4ELj4294967295EEENS1_37radix_sort_block_sort_config_selectorI6__halfNS0_10empty_typeEEEZNS1_21radix_sort_block_sortIS4_Lb0EPKS6_PS6_PS7_SD_NS0_19identity_decomposerEEE10hipError_tT1_T2_T3_T4_jRjT5_jjP12ihipStream_tbEUlT_E_NS1_11comp_targetILNS1_3genE4ELNS1_11target_archE910ELNS1_3gpuE8ELNS1_3repE0EEENS1_44radix_sort_block_sort_config_static_selectorELNS0_4arch9wavefront6targetE0EEEvSG_.numbered_sgpr, 0
	.set _ZN7rocprim17ROCPRIM_400000_NS6detail17trampoline_kernelINS0_13kernel_configILj256ELj4ELj4294967295EEENS1_37radix_sort_block_sort_config_selectorI6__halfNS0_10empty_typeEEEZNS1_21radix_sort_block_sortIS4_Lb0EPKS6_PS6_PS7_SD_NS0_19identity_decomposerEEE10hipError_tT1_T2_T3_T4_jRjT5_jjP12ihipStream_tbEUlT_E_NS1_11comp_targetILNS1_3genE4ELNS1_11target_archE910ELNS1_3gpuE8ELNS1_3repE0EEENS1_44radix_sort_block_sort_config_static_selectorELNS0_4arch9wavefront6targetE0EEEvSG_.num_named_barrier, 0
	.set _ZN7rocprim17ROCPRIM_400000_NS6detail17trampoline_kernelINS0_13kernel_configILj256ELj4ELj4294967295EEENS1_37radix_sort_block_sort_config_selectorI6__halfNS0_10empty_typeEEEZNS1_21radix_sort_block_sortIS4_Lb0EPKS6_PS6_PS7_SD_NS0_19identity_decomposerEEE10hipError_tT1_T2_T3_T4_jRjT5_jjP12ihipStream_tbEUlT_E_NS1_11comp_targetILNS1_3genE4ELNS1_11target_archE910ELNS1_3gpuE8ELNS1_3repE0EEENS1_44radix_sort_block_sort_config_static_selectorELNS0_4arch9wavefront6targetE0EEEvSG_.private_seg_size, 0
	.set _ZN7rocprim17ROCPRIM_400000_NS6detail17trampoline_kernelINS0_13kernel_configILj256ELj4ELj4294967295EEENS1_37radix_sort_block_sort_config_selectorI6__halfNS0_10empty_typeEEEZNS1_21radix_sort_block_sortIS4_Lb0EPKS6_PS6_PS7_SD_NS0_19identity_decomposerEEE10hipError_tT1_T2_T3_T4_jRjT5_jjP12ihipStream_tbEUlT_E_NS1_11comp_targetILNS1_3genE4ELNS1_11target_archE910ELNS1_3gpuE8ELNS1_3repE0EEENS1_44radix_sort_block_sort_config_static_selectorELNS0_4arch9wavefront6targetE0EEEvSG_.uses_vcc, 0
	.set _ZN7rocprim17ROCPRIM_400000_NS6detail17trampoline_kernelINS0_13kernel_configILj256ELj4ELj4294967295EEENS1_37radix_sort_block_sort_config_selectorI6__halfNS0_10empty_typeEEEZNS1_21radix_sort_block_sortIS4_Lb0EPKS6_PS6_PS7_SD_NS0_19identity_decomposerEEE10hipError_tT1_T2_T3_T4_jRjT5_jjP12ihipStream_tbEUlT_E_NS1_11comp_targetILNS1_3genE4ELNS1_11target_archE910ELNS1_3gpuE8ELNS1_3repE0EEENS1_44radix_sort_block_sort_config_static_selectorELNS0_4arch9wavefront6targetE0EEEvSG_.uses_flat_scratch, 0
	.set _ZN7rocprim17ROCPRIM_400000_NS6detail17trampoline_kernelINS0_13kernel_configILj256ELj4ELj4294967295EEENS1_37radix_sort_block_sort_config_selectorI6__halfNS0_10empty_typeEEEZNS1_21radix_sort_block_sortIS4_Lb0EPKS6_PS6_PS7_SD_NS0_19identity_decomposerEEE10hipError_tT1_T2_T3_T4_jRjT5_jjP12ihipStream_tbEUlT_E_NS1_11comp_targetILNS1_3genE4ELNS1_11target_archE910ELNS1_3gpuE8ELNS1_3repE0EEENS1_44radix_sort_block_sort_config_static_selectorELNS0_4arch9wavefront6targetE0EEEvSG_.has_dyn_sized_stack, 0
	.set _ZN7rocprim17ROCPRIM_400000_NS6detail17trampoline_kernelINS0_13kernel_configILj256ELj4ELj4294967295EEENS1_37radix_sort_block_sort_config_selectorI6__halfNS0_10empty_typeEEEZNS1_21radix_sort_block_sortIS4_Lb0EPKS6_PS6_PS7_SD_NS0_19identity_decomposerEEE10hipError_tT1_T2_T3_T4_jRjT5_jjP12ihipStream_tbEUlT_E_NS1_11comp_targetILNS1_3genE4ELNS1_11target_archE910ELNS1_3gpuE8ELNS1_3repE0EEENS1_44radix_sort_block_sort_config_static_selectorELNS0_4arch9wavefront6targetE0EEEvSG_.has_recursion, 0
	.set _ZN7rocprim17ROCPRIM_400000_NS6detail17trampoline_kernelINS0_13kernel_configILj256ELj4ELj4294967295EEENS1_37radix_sort_block_sort_config_selectorI6__halfNS0_10empty_typeEEEZNS1_21radix_sort_block_sortIS4_Lb0EPKS6_PS6_PS7_SD_NS0_19identity_decomposerEEE10hipError_tT1_T2_T3_T4_jRjT5_jjP12ihipStream_tbEUlT_E_NS1_11comp_targetILNS1_3genE4ELNS1_11target_archE910ELNS1_3gpuE8ELNS1_3repE0EEENS1_44radix_sort_block_sort_config_static_selectorELNS0_4arch9wavefront6targetE0EEEvSG_.has_indirect_call, 0
	.section	.AMDGPU.csdata,"",@progbits
; Kernel info:
; codeLenInByte = 0
; TotalNumSgprs: 0
; NumVgprs: 0
; ScratchSize: 0
; MemoryBound: 0
; FloatMode: 240
; IeeeMode: 1
; LDSByteSize: 0 bytes/workgroup (compile time only)
; SGPRBlocks: 0
; VGPRBlocks: 0
; NumSGPRsForWavesPerEU: 1
; NumVGPRsForWavesPerEU: 1
; NamedBarCnt: 0
; Occupancy: 16
; WaveLimiterHint : 0
; COMPUTE_PGM_RSRC2:SCRATCH_EN: 0
; COMPUTE_PGM_RSRC2:USER_SGPR: 2
; COMPUTE_PGM_RSRC2:TRAP_HANDLER: 0
; COMPUTE_PGM_RSRC2:TGID_X_EN: 1
; COMPUTE_PGM_RSRC2:TGID_Y_EN: 0
; COMPUTE_PGM_RSRC2:TGID_Z_EN: 0
; COMPUTE_PGM_RSRC2:TIDIG_COMP_CNT: 0
	.section	.text._ZN7rocprim17ROCPRIM_400000_NS6detail17trampoline_kernelINS0_13kernel_configILj256ELj4ELj4294967295EEENS1_37radix_sort_block_sort_config_selectorI6__halfNS0_10empty_typeEEEZNS1_21radix_sort_block_sortIS4_Lb0EPKS6_PS6_PS7_SD_NS0_19identity_decomposerEEE10hipError_tT1_T2_T3_T4_jRjT5_jjP12ihipStream_tbEUlT_E_NS1_11comp_targetILNS1_3genE3ELNS1_11target_archE908ELNS1_3gpuE7ELNS1_3repE0EEENS1_44radix_sort_block_sort_config_static_selectorELNS0_4arch9wavefront6targetE0EEEvSG_,"axG",@progbits,_ZN7rocprim17ROCPRIM_400000_NS6detail17trampoline_kernelINS0_13kernel_configILj256ELj4ELj4294967295EEENS1_37radix_sort_block_sort_config_selectorI6__halfNS0_10empty_typeEEEZNS1_21radix_sort_block_sortIS4_Lb0EPKS6_PS6_PS7_SD_NS0_19identity_decomposerEEE10hipError_tT1_T2_T3_T4_jRjT5_jjP12ihipStream_tbEUlT_E_NS1_11comp_targetILNS1_3genE3ELNS1_11target_archE908ELNS1_3gpuE7ELNS1_3repE0EEENS1_44radix_sort_block_sort_config_static_selectorELNS0_4arch9wavefront6targetE0EEEvSG_,comdat
	.protected	_ZN7rocprim17ROCPRIM_400000_NS6detail17trampoline_kernelINS0_13kernel_configILj256ELj4ELj4294967295EEENS1_37radix_sort_block_sort_config_selectorI6__halfNS0_10empty_typeEEEZNS1_21radix_sort_block_sortIS4_Lb0EPKS6_PS6_PS7_SD_NS0_19identity_decomposerEEE10hipError_tT1_T2_T3_T4_jRjT5_jjP12ihipStream_tbEUlT_E_NS1_11comp_targetILNS1_3genE3ELNS1_11target_archE908ELNS1_3gpuE7ELNS1_3repE0EEENS1_44radix_sort_block_sort_config_static_selectorELNS0_4arch9wavefront6targetE0EEEvSG_ ; -- Begin function _ZN7rocprim17ROCPRIM_400000_NS6detail17trampoline_kernelINS0_13kernel_configILj256ELj4ELj4294967295EEENS1_37radix_sort_block_sort_config_selectorI6__halfNS0_10empty_typeEEEZNS1_21radix_sort_block_sortIS4_Lb0EPKS6_PS6_PS7_SD_NS0_19identity_decomposerEEE10hipError_tT1_T2_T3_T4_jRjT5_jjP12ihipStream_tbEUlT_E_NS1_11comp_targetILNS1_3genE3ELNS1_11target_archE908ELNS1_3gpuE7ELNS1_3repE0EEENS1_44radix_sort_block_sort_config_static_selectorELNS0_4arch9wavefront6targetE0EEEvSG_
	.globl	_ZN7rocprim17ROCPRIM_400000_NS6detail17trampoline_kernelINS0_13kernel_configILj256ELj4ELj4294967295EEENS1_37radix_sort_block_sort_config_selectorI6__halfNS0_10empty_typeEEEZNS1_21radix_sort_block_sortIS4_Lb0EPKS6_PS6_PS7_SD_NS0_19identity_decomposerEEE10hipError_tT1_T2_T3_T4_jRjT5_jjP12ihipStream_tbEUlT_E_NS1_11comp_targetILNS1_3genE3ELNS1_11target_archE908ELNS1_3gpuE7ELNS1_3repE0EEENS1_44radix_sort_block_sort_config_static_selectorELNS0_4arch9wavefront6targetE0EEEvSG_
	.p2align	8
	.type	_ZN7rocprim17ROCPRIM_400000_NS6detail17trampoline_kernelINS0_13kernel_configILj256ELj4ELj4294967295EEENS1_37radix_sort_block_sort_config_selectorI6__halfNS0_10empty_typeEEEZNS1_21radix_sort_block_sortIS4_Lb0EPKS6_PS6_PS7_SD_NS0_19identity_decomposerEEE10hipError_tT1_T2_T3_T4_jRjT5_jjP12ihipStream_tbEUlT_E_NS1_11comp_targetILNS1_3genE3ELNS1_11target_archE908ELNS1_3gpuE7ELNS1_3repE0EEENS1_44radix_sort_block_sort_config_static_selectorELNS0_4arch9wavefront6targetE0EEEvSG_,@function
_ZN7rocprim17ROCPRIM_400000_NS6detail17trampoline_kernelINS0_13kernel_configILj256ELj4ELj4294967295EEENS1_37radix_sort_block_sort_config_selectorI6__halfNS0_10empty_typeEEEZNS1_21radix_sort_block_sortIS4_Lb0EPKS6_PS6_PS7_SD_NS0_19identity_decomposerEEE10hipError_tT1_T2_T3_T4_jRjT5_jjP12ihipStream_tbEUlT_E_NS1_11comp_targetILNS1_3genE3ELNS1_11target_archE908ELNS1_3gpuE7ELNS1_3repE0EEENS1_44radix_sort_block_sort_config_static_selectorELNS0_4arch9wavefront6targetE0EEEvSG_: ; @_ZN7rocprim17ROCPRIM_400000_NS6detail17trampoline_kernelINS0_13kernel_configILj256ELj4ELj4294967295EEENS1_37radix_sort_block_sort_config_selectorI6__halfNS0_10empty_typeEEEZNS1_21radix_sort_block_sortIS4_Lb0EPKS6_PS6_PS7_SD_NS0_19identity_decomposerEEE10hipError_tT1_T2_T3_T4_jRjT5_jjP12ihipStream_tbEUlT_E_NS1_11comp_targetILNS1_3genE3ELNS1_11target_archE908ELNS1_3gpuE7ELNS1_3repE0EEENS1_44radix_sort_block_sort_config_static_selectorELNS0_4arch9wavefront6targetE0EEEvSG_
; %bb.0:
	.section	.rodata,"a",@progbits
	.p2align	6, 0x0
	.amdhsa_kernel _ZN7rocprim17ROCPRIM_400000_NS6detail17trampoline_kernelINS0_13kernel_configILj256ELj4ELj4294967295EEENS1_37radix_sort_block_sort_config_selectorI6__halfNS0_10empty_typeEEEZNS1_21radix_sort_block_sortIS4_Lb0EPKS6_PS6_PS7_SD_NS0_19identity_decomposerEEE10hipError_tT1_T2_T3_T4_jRjT5_jjP12ihipStream_tbEUlT_E_NS1_11comp_targetILNS1_3genE3ELNS1_11target_archE908ELNS1_3gpuE7ELNS1_3repE0EEENS1_44radix_sort_block_sort_config_static_selectorELNS0_4arch9wavefront6targetE0EEEvSG_
		.amdhsa_group_segment_fixed_size 0
		.amdhsa_private_segment_fixed_size 0
		.amdhsa_kernarg_size 48
		.amdhsa_user_sgpr_count 2
		.amdhsa_user_sgpr_dispatch_ptr 0
		.amdhsa_user_sgpr_queue_ptr 0
		.amdhsa_user_sgpr_kernarg_segment_ptr 1
		.amdhsa_user_sgpr_dispatch_id 0
		.amdhsa_user_sgpr_kernarg_preload_length 0
		.amdhsa_user_sgpr_kernarg_preload_offset 0
		.amdhsa_user_sgpr_private_segment_size 0
		.amdhsa_wavefront_size32 1
		.amdhsa_uses_dynamic_stack 0
		.amdhsa_enable_private_segment 0
		.amdhsa_system_sgpr_workgroup_id_x 1
		.amdhsa_system_sgpr_workgroup_id_y 0
		.amdhsa_system_sgpr_workgroup_id_z 0
		.amdhsa_system_sgpr_workgroup_info 0
		.amdhsa_system_vgpr_workitem_id 0
		.amdhsa_next_free_vgpr 1
		.amdhsa_next_free_sgpr 1
		.amdhsa_named_barrier_count 0
		.amdhsa_reserve_vcc 0
		.amdhsa_float_round_mode_32 0
		.amdhsa_float_round_mode_16_64 0
		.amdhsa_float_denorm_mode_32 3
		.amdhsa_float_denorm_mode_16_64 3
		.amdhsa_fp16_overflow 0
		.amdhsa_memory_ordered 1
		.amdhsa_forward_progress 1
		.amdhsa_inst_pref_size 0
		.amdhsa_round_robin_scheduling 0
		.amdhsa_exception_fp_ieee_invalid_op 0
		.amdhsa_exception_fp_denorm_src 0
		.amdhsa_exception_fp_ieee_div_zero 0
		.amdhsa_exception_fp_ieee_overflow 0
		.amdhsa_exception_fp_ieee_underflow 0
		.amdhsa_exception_fp_ieee_inexact 0
		.amdhsa_exception_int_div_zero 0
	.end_amdhsa_kernel
	.section	.text._ZN7rocprim17ROCPRIM_400000_NS6detail17trampoline_kernelINS0_13kernel_configILj256ELj4ELj4294967295EEENS1_37radix_sort_block_sort_config_selectorI6__halfNS0_10empty_typeEEEZNS1_21radix_sort_block_sortIS4_Lb0EPKS6_PS6_PS7_SD_NS0_19identity_decomposerEEE10hipError_tT1_T2_T3_T4_jRjT5_jjP12ihipStream_tbEUlT_E_NS1_11comp_targetILNS1_3genE3ELNS1_11target_archE908ELNS1_3gpuE7ELNS1_3repE0EEENS1_44radix_sort_block_sort_config_static_selectorELNS0_4arch9wavefront6targetE0EEEvSG_,"axG",@progbits,_ZN7rocprim17ROCPRIM_400000_NS6detail17trampoline_kernelINS0_13kernel_configILj256ELj4ELj4294967295EEENS1_37radix_sort_block_sort_config_selectorI6__halfNS0_10empty_typeEEEZNS1_21radix_sort_block_sortIS4_Lb0EPKS6_PS6_PS7_SD_NS0_19identity_decomposerEEE10hipError_tT1_T2_T3_T4_jRjT5_jjP12ihipStream_tbEUlT_E_NS1_11comp_targetILNS1_3genE3ELNS1_11target_archE908ELNS1_3gpuE7ELNS1_3repE0EEENS1_44radix_sort_block_sort_config_static_selectorELNS0_4arch9wavefront6targetE0EEEvSG_,comdat
.Lfunc_end2202:
	.size	_ZN7rocprim17ROCPRIM_400000_NS6detail17trampoline_kernelINS0_13kernel_configILj256ELj4ELj4294967295EEENS1_37radix_sort_block_sort_config_selectorI6__halfNS0_10empty_typeEEEZNS1_21radix_sort_block_sortIS4_Lb0EPKS6_PS6_PS7_SD_NS0_19identity_decomposerEEE10hipError_tT1_T2_T3_T4_jRjT5_jjP12ihipStream_tbEUlT_E_NS1_11comp_targetILNS1_3genE3ELNS1_11target_archE908ELNS1_3gpuE7ELNS1_3repE0EEENS1_44radix_sort_block_sort_config_static_selectorELNS0_4arch9wavefront6targetE0EEEvSG_, .Lfunc_end2202-_ZN7rocprim17ROCPRIM_400000_NS6detail17trampoline_kernelINS0_13kernel_configILj256ELj4ELj4294967295EEENS1_37radix_sort_block_sort_config_selectorI6__halfNS0_10empty_typeEEEZNS1_21radix_sort_block_sortIS4_Lb0EPKS6_PS6_PS7_SD_NS0_19identity_decomposerEEE10hipError_tT1_T2_T3_T4_jRjT5_jjP12ihipStream_tbEUlT_E_NS1_11comp_targetILNS1_3genE3ELNS1_11target_archE908ELNS1_3gpuE7ELNS1_3repE0EEENS1_44radix_sort_block_sort_config_static_selectorELNS0_4arch9wavefront6targetE0EEEvSG_
                                        ; -- End function
	.set _ZN7rocprim17ROCPRIM_400000_NS6detail17trampoline_kernelINS0_13kernel_configILj256ELj4ELj4294967295EEENS1_37radix_sort_block_sort_config_selectorI6__halfNS0_10empty_typeEEEZNS1_21radix_sort_block_sortIS4_Lb0EPKS6_PS6_PS7_SD_NS0_19identity_decomposerEEE10hipError_tT1_T2_T3_T4_jRjT5_jjP12ihipStream_tbEUlT_E_NS1_11comp_targetILNS1_3genE3ELNS1_11target_archE908ELNS1_3gpuE7ELNS1_3repE0EEENS1_44radix_sort_block_sort_config_static_selectorELNS0_4arch9wavefront6targetE0EEEvSG_.num_vgpr, 0
	.set _ZN7rocprim17ROCPRIM_400000_NS6detail17trampoline_kernelINS0_13kernel_configILj256ELj4ELj4294967295EEENS1_37radix_sort_block_sort_config_selectorI6__halfNS0_10empty_typeEEEZNS1_21radix_sort_block_sortIS4_Lb0EPKS6_PS6_PS7_SD_NS0_19identity_decomposerEEE10hipError_tT1_T2_T3_T4_jRjT5_jjP12ihipStream_tbEUlT_E_NS1_11comp_targetILNS1_3genE3ELNS1_11target_archE908ELNS1_3gpuE7ELNS1_3repE0EEENS1_44radix_sort_block_sort_config_static_selectorELNS0_4arch9wavefront6targetE0EEEvSG_.num_agpr, 0
	.set _ZN7rocprim17ROCPRIM_400000_NS6detail17trampoline_kernelINS0_13kernel_configILj256ELj4ELj4294967295EEENS1_37radix_sort_block_sort_config_selectorI6__halfNS0_10empty_typeEEEZNS1_21radix_sort_block_sortIS4_Lb0EPKS6_PS6_PS7_SD_NS0_19identity_decomposerEEE10hipError_tT1_T2_T3_T4_jRjT5_jjP12ihipStream_tbEUlT_E_NS1_11comp_targetILNS1_3genE3ELNS1_11target_archE908ELNS1_3gpuE7ELNS1_3repE0EEENS1_44radix_sort_block_sort_config_static_selectorELNS0_4arch9wavefront6targetE0EEEvSG_.numbered_sgpr, 0
	.set _ZN7rocprim17ROCPRIM_400000_NS6detail17trampoline_kernelINS0_13kernel_configILj256ELj4ELj4294967295EEENS1_37radix_sort_block_sort_config_selectorI6__halfNS0_10empty_typeEEEZNS1_21radix_sort_block_sortIS4_Lb0EPKS6_PS6_PS7_SD_NS0_19identity_decomposerEEE10hipError_tT1_T2_T3_T4_jRjT5_jjP12ihipStream_tbEUlT_E_NS1_11comp_targetILNS1_3genE3ELNS1_11target_archE908ELNS1_3gpuE7ELNS1_3repE0EEENS1_44radix_sort_block_sort_config_static_selectorELNS0_4arch9wavefront6targetE0EEEvSG_.num_named_barrier, 0
	.set _ZN7rocprim17ROCPRIM_400000_NS6detail17trampoline_kernelINS0_13kernel_configILj256ELj4ELj4294967295EEENS1_37radix_sort_block_sort_config_selectorI6__halfNS0_10empty_typeEEEZNS1_21radix_sort_block_sortIS4_Lb0EPKS6_PS6_PS7_SD_NS0_19identity_decomposerEEE10hipError_tT1_T2_T3_T4_jRjT5_jjP12ihipStream_tbEUlT_E_NS1_11comp_targetILNS1_3genE3ELNS1_11target_archE908ELNS1_3gpuE7ELNS1_3repE0EEENS1_44radix_sort_block_sort_config_static_selectorELNS0_4arch9wavefront6targetE0EEEvSG_.private_seg_size, 0
	.set _ZN7rocprim17ROCPRIM_400000_NS6detail17trampoline_kernelINS0_13kernel_configILj256ELj4ELj4294967295EEENS1_37radix_sort_block_sort_config_selectorI6__halfNS0_10empty_typeEEEZNS1_21radix_sort_block_sortIS4_Lb0EPKS6_PS6_PS7_SD_NS0_19identity_decomposerEEE10hipError_tT1_T2_T3_T4_jRjT5_jjP12ihipStream_tbEUlT_E_NS1_11comp_targetILNS1_3genE3ELNS1_11target_archE908ELNS1_3gpuE7ELNS1_3repE0EEENS1_44radix_sort_block_sort_config_static_selectorELNS0_4arch9wavefront6targetE0EEEvSG_.uses_vcc, 0
	.set _ZN7rocprim17ROCPRIM_400000_NS6detail17trampoline_kernelINS0_13kernel_configILj256ELj4ELj4294967295EEENS1_37radix_sort_block_sort_config_selectorI6__halfNS0_10empty_typeEEEZNS1_21radix_sort_block_sortIS4_Lb0EPKS6_PS6_PS7_SD_NS0_19identity_decomposerEEE10hipError_tT1_T2_T3_T4_jRjT5_jjP12ihipStream_tbEUlT_E_NS1_11comp_targetILNS1_3genE3ELNS1_11target_archE908ELNS1_3gpuE7ELNS1_3repE0EEENS1_44radix_sort_block_sort_config_static_selectorELNS0_4arch9wavefront6targetE0EEEvSG_.uses_flat_scratch, 0
	.set _ZN7rocprim17ROCPRIM_400000_NS6detail17trampoline_kernelINS0_13kernel_configILj256ELj4ELj4294967295EEENS1_37radix_sort_block_sort_config_selectorI6__halfNS0_10empty_typeEEEZNS1_21radix_sort_block_sortIS4_Lb0EPKS6_PS6_PS7_SD_NS0_19identity_decomposerEEE10hipError_tT1_T2_T3_T4_jRjT5_jjP12ihipStream_tbEUlT_E_NS1_11comp_targetILNS1_3genE3ELNS1_11target_archE908ELNS1_3gpuE7ELNS1_3repE0EEENS1_44radix_sort_block_sort_config_static_selectorELNS0_4arch9wavefront6targetE0EEEvSG_.has_dyn_sized_stack, 0
	.set _ZN7rocprim17ROCPRIM_400000_NS6detail17trampoline_kernelINS0_13kernel_configILj256ELj4ELj4294967295EEENS1_37radix_sort_block_sort_config_selectorI6__halfNS0_10empty_typeEEEZNS1_21radix_sort_block_sortIS4_Lb0EPKS6_PS6_PS7_SD_NS0_19identity_decomposerEEE10hipError_tT1_T2_T3_T4_jRjT5_jjP12ihipStream_tbEUlT_E_NS1_11comp_targetILNS1_3genE3ELNS1_11target_archE908ELNS1_3gpuE7ELNS1_3repE0EEENS1_44radix_sort_block_sort_config_static_selectorELNS0_4arch9wavefront6targetE0EEEvSG_.has_recursion, 0
	.set _ZN7rocprim17ROCPRIM_400000_NS6detail17trampoline_kernelINS0_13kernel_configILj256ELj4ELj4294967295EEENS1_37radix_sort_block_sort_config_selectorI6__halfNS0_10empty_typeEEEZNS1_21radix_sort_block_sortIS4_Lb0EPKS6_PS6_PS7_SD_NS0_19identity_decomposerEEE10hipError_tT1_T2_T3_T4_jRjT5_jjP12ihipStream_tbEUlT_E_NS1_11comp_targetILNS1_3genE3ELNS1_11target_archE908ELNS1_3gpuE7ELNS1_3repE0EEENS1_44radix_sort_block_sort_config_static_selectorELNS0_4arch9wavefront6targetE0EEEvSG_.has_indirect_call, 0
	.section	.AMDGPU.csdata,"",@progbits
; Kernel info:
; codeLenInByte = 0
; TotalNumSgprs: 0
; NumVgprs: 0
; ScratchSize: 0
; MemoryBound: 0
; FloatMode: 240
; IeeeMode: 1
; LDSByteSize: 0 bytes/workgroup (compile time only)
; SGPRBlocks: 0
; VGPRBlocks: 0
; NumSGPRsForWavesPerEU: 1
; NumVGPRsForWavesPerEU: 1
; NamedBarCnt: 0
; Occupancy: 16
; WaveLimiterHint : 0
; COMPUTE_PGM_RSRC2:SCRATCH_EN: 0
; COMPUTE_PGM_RSRC2:USER_SGPR: 2
; COMPUTE_PGM_RSRC2:TRAP_HANDLER: 0
; COMPUTE_PGM_RSRC2:TGID_X_EN: 1
; COMPUTE_PGM_RSRC2:TGID_Y_EN: 0
; COMPUTE_PGM_RSRC2:TGID_Z_EN: 0
; COMPUTE_PGM_RSRC2:TIDIG_COMP_CNT: 0
	.section	.text._ZN7rocprim17ROCPRIM_400000_NS6detail17trampoline_kernelINS0_13kernel_configILj256ELj4ELj4294967295EEENS1_37radix_sort_block_sort_config_selectorI6__halfNS0_10empty_typeEEEZNS1_21radix_sort_block_sortIS4_Lb0EPKS6_PS6_PS7_SD_NS0_19identity_decomposerEEE10hipError_tT1_T2_T3_T4_jRjT5_jjP12ihipStream_tbEUlT_E_NS1_11comp_targetILNS1_3genE2ELNS1_11target_archE906ELNS1_3gpuE6ELNS1_3repE0EEENS1_44radix_sort_block_sort_config_static_selectorELNS0_4arch9wavefront6targetE0EEEvSG_,"axG",@progbits,_ZN7rocprim17ROCPRIM_400000_NS6detail17trampoline_kernelINS0_13kernel_configILj256ELj4ELj4294967295EEENS1_37radix_sort_block_sort_config_selectorI6__halfNS0_10empty_typeEEEZNS1_21radix_sort_block_sortIS4_Lb0EPKS6_PS6_PS7_SD_NS0_19identity_decomposerEEE10hipError_tT1_T2_T3_T4_jRjT5_jjP12ihipStream_tbEUlT_E_NS1_11comp_targetILNS1_3genE2ELNS1_11target_archE906ELNS1_3gpuE6ELNS1_3repE0EEENS1_44radix_sort_block_sort_config_static_selectorELNS0_4arch9wavefront6targetE0EEEvSG_,comdat
	.protected	_ZN7rocprim17ROCPRIM_400000_NS6detail17trampoline_kernelINS0_13kernel_configILj256ELj4ELj4294967295EEENS1_37radix_sort_block_sort_config_selectorI6__halfNS0_10empty_typeEEEZNS1_21radix_sort_block_sortIS4_Lb0EPKS6_PS6_PS7_SD_NS0_19identity_decomposerEEE10hipError_tT1_T2_T3_T4_jRjT5_jjP12ihipStream_tbEUlT_E_NS1_11comp_targetILNS1_3genE2ELNS1_11target_archE906ELNS1_3gpuE6ELNS1_3repE0EEENS1_44radix_sort_block_sort_config_static_selectorELNS0_4arch9wavefront6targetE0EEEvSG_ ; -- Begin function _ZN7rocprim17ROCPRIM_400000_NS6detail17trampoline_kernelINS0_13kernel_configILj256ELj4ELj4294967295EEENS1_37radix_sort_block_sort_config_selectorI6__halfNS0_10empty_typeEEEZNS1_21radix_sort_block_sortIS4_Lb0EPKS6_PS6_PS7_SD_NS0_19identity_decomposerEEE10hipError_tT1_T2_T3_T4_jRjT5_jjP12ihipStream_tbEUlT_E_NS1_11comp_targetILNS1_3genE2ELNS1_11target_archE906ELNS1_3gpuE6ELNS1_3repE0EEENS1_44radix_sort_block_sort_config_static_selectorELNS0_4arch9wavefront6targetE0EEEvSG_
	.globl	_ZN7rocprim17ROCPRIM_400000_NS6detail17trampoline_kernelINS0_13kernel_configILj256ELj4ELj4294967295EEENS1_37radix_sort_block_sort_config_selectorI6__halfNS0_10empty_typeEEEZNS1_21radix_sort_block_sortIS4_Lb0EPKS6_PS6_PS7_SD_NS0_19identity_decomposerEEE10hipError_tT1_T2_T3_T4_jRjT5_jjP12ihipStream_tbEUlT_E_NS1_11comp_targetILNS1_3genE2ELNS1_11target_archE906ELNS1_3gpuE6ELNS1_3repE0EEENS1_44radix_sort_block_sort_config_static_selectorELNS0_4arch9wavefront6targetE0EEEvSG_
	.p2align	8
	.type	_ZN7rocprim17ROCPRIM_400000_NS6detail17trampoline_kernelINS0_13kernel_configILj256ELj4ELj4294967295EEENS1_37radix_sort_block_sort_config_selectorI6__halfNS0_10empty_typeEEEZNS1_21radix_sort_block_sortIS4_Lb0EPKS6_PS6_PS7_SD_NS0_19identity_decomposerEEE10hipError_tT1_T2_T3_T4_jRjT5_jjP12ihipStream_tbEUlT_E_NS1_11comp_targetILNS1_3genE2ELNS1_11target_archE906ELNS1_3gpuE6ELNS1_3repE0EEENS1_44radix_sort_block_sort_config_static_selectorELNS0_4arch9wavefront6targetE0EEEvSG_,@function
_ZN7rocprim17ROCPRIM_400000_NS6detail17trampoline_kernelINS0_13kernel_configILj256ELj4ELj4294967295EEENS1_37radix_sort_block_sort_config_selectorI6__halfNS0_10empty_typeEEEZNS1_21radix_sort_block_sortIS4_Lb0EPKS6_PS6_PS7_SD_NS0_19identity_decomposerEEE10hipError_tT1_T2_T3_T4_jRjT5_jjP12ihipStream_tbEUlT_E_NS1_11comp_targetILNS1_3genE2ELNS1_11target_archE906ELNS1_3gpuE6ELNS1_3repE0EEENS1_44radix_sort_block_sort_config_static_selectorELNS0_4arch9wavefront6targetE0EEEvSG_: ; @_ZN7rocprim17ROCPRIM_400000_NS6detail17trampoline_kernelINS0_13kernel_configILj256ELj4ELj4294967295EEENS1_37radix_sort_block_sort_config_selectorI6__halfNS0_10empty_typeEEEZNS1_21radix_sort_block_sortIS4_Lb0EPKS6_PS6_PS7_SD_NS0_19identity_decomposerEEE10hipError_tT1_T2_T3_T4_jRjT5_jjP12ihipStream_tbEUlT_E_NS1_11comp_targetILNS1_3genE2ELNS1_11target_archE906ELNS1_3gpuE6ELNS1_3repE0EEENS1_44radix_sort_block_sort_config_static_selectorELNS0_4arch9wavefront6targetE0EEEvSG_
; %bb.0:
	.section	.rodata,"a",@progbits
	.p2align	6, 0x0
	.amdhsa_kernel _ZN7rocprim17ROCPRIM_400000_NS6detail17trampoline_kernelINS0_13kernel_configILj256ELj4ELj4294967295EEENS1_37radix_sort_block_sort_config_selectorI6__halfNS0_10empty_typeEEEZNS1_21radix_sort_block_sortIS4_Lb0EPKS6_PS6_PS7_SD_NS0_19identity_decomposerEEE10hipError_tT1_T2_T3_T4_jRjT5_jjP12ihipStream_tbEUlT_E_NS1_11comp_targetILNS1_3genE2ELNS1_11target_archE906ELNS1_3gpuE6ELNS1_3repE0EEENS1_44radix_sort_block_sort_config_static_selectorELNS0_4arch9wavefront6targetE0EEEvSG_
		.amdhsa_group_segment_fixed_size 0
		.amdhsa_private_segment_fixed_size 0
		.amdhsa_kernarg_size 48
		.amdhsa_user_sgpr_count 2
		.amdhsa_user_sgpr_dispatch_ptr 0
		.amdhsa_user_sgpr_queue_ptr 0
		.amdhsa_user_sgpr_kernarg_segment_ptr 1
		.amdhsa_user_sgpr_dispatch_id 0
		.amdhsa_user_sgpr_kernarg_preload_length 0
		.amdhsa_user_sgpr_kernarg_preload_offset 0
		.amdhsa_user_sgpr_private_segment_size 0
		.amdhsa_wavefront_size32 1
		.amdhsa_uses_dynamic_stack 0
		.amdhsa_enable_private_segment 0
		.amdhsa_system_sgpr_workgroup_id_x 1
		.amdhsa_system_sgpr_workgroup_id_y 0
		.amdhsa_system_sgpr_workgroup_id_z 0
		.amdhsa_system_sgpr_workgroup_info 0
		.amdhsa_system_vgpr_workitem_id 0
		.amdhsa_next_free_vgpr 1
		.amdhsa_next_free_sgpr 1
		.amdhsa_named_barrier_count 0
		.amdhsa_reserve_vcc 0
		.amdhsa_float_round_mode_32 0
		.amdhsa_float_round_mode_16_64 0
		.amdhsa_float_denorm_mode_32 3
		.amdhsa_float_denorm_mode_16_64 3
		.amdhsa_fp16_overflow 0
		.amdhsa_memory_ordered 1
		.amdhsa_forward_progress 1
		.amdhsa_inst_pref_size 0
		.amdhsa_round_robin_scheduling 0
		.amdhsa_exception_fp_ieee_invalid_op 0
		.amdhsa_exception_fp_denorm_src 0
		.amdhsa_exception_fp_ieee_div_zero 0
		.amdhsa_exception_fp_ieee_overflow 0
		.amdhsa_exception_fp_ieee_underflow 0
		.amdhsa_exception_fp_ieee_inexact 0
		.amdhsa_exception_int_div_zero 0
	.end_amdhsa_kernel
	.section	.text._ZN7rocprim17ROCPRIM_400000_NS6detail17trampoline_kernelINS0_13kernel_configILj256ELj4ELj4294967295EEENS1_37radix_sort_block_sort_config_selectorI6__halfNS0_10empty_typeEEEZNS1_21radix_sort_block_sortIS4_Lb0EPKS6_PS6_PS7_SD_NS0_19identity_decomposerEEE10hipError_tT1_T2_T3_T4_jRjT5_jjP12ihipStream_tbEUlT_E_NS1_11comp_targetILNS1_3genE2ELNS1_11target_archE906ELNS1_3gpuE6ELNS1_3repE0EEENS1_44radix_sort_block_sort_config_static_selectorELNS0_4arch9wavefront6targetE0EEEvSG_,"axG",@progbits,_ZN7rocprim17ROCPRIM_400000_NS6detail17trampoline_kernelINS0_13kernel_configILj256ELj4ELj4294967295EEENS1_37radix_sort_block_sort_config_selectorI6__halfNS0_10empty_typeEEEZNS1_21radix_sort_block_sortIS4_Lb0EPKS6_PS6_PS7_SD_NS0_19identity_decomposerEEE10hipError_tT1_T2_T3_T4_jRjT5_jjP12ihipStream_tbEUlT_E_NS1_11comp_targetILNS1_3genE2ELNS1_11target_archE906ELNS1_3gpuE6ELNS1_3repE0EEENS1_44radix_sort_block_sort_config_static_selectorELNS0_4arch9wavefront6targetE0EEEvSG_,comdat
.Lfunc_end2203:
	.size	_ZN7rocprim17ROCPRIM_400000_NS6detail17trampoline_kernelINS0_13kernel_configILj256ELj4ELj4294967295EEENS1_37radix_sort_block_sort_config_selectorI6__halfNS0_10empty_typeEEEZNS1_21radix_sort_block_sortIS4_Lb0EPKS6_PS6_PS7_SD_NS0_19identity_decomposerEEE10hipError_tT1_T2_T3_T4_jRjT5_jjP12ihipStream_tbEUlT_E_NS1_11comp_targetILNS1_3genE2ELNS1_11target_archE906ELNS1_3gpuE6ELNS1_3repE0EEENS1_44radix_sort_block_sort_config_static_selectorELNS0_4arch9wavefront6targetE0EEEvSG_, .Lfunc_end2203-_ZN7rocprim17ROCPRIM_400000_NS6detail17trampoline_kernelINS0_13kernel_configILj256ELj4ELj4294967295EEENS1_37radix_sort_block_sort_config_selectorI6__halfNS0_10empty_typeEEEZNS1_21radix_sort_block_sortIS4_Lb0EPKS6_PS6_PS7_SD_NS0_19identity_decomposerEEE10hipError_tT1_T2_T3_T4_jRjT5_jjP12ihipStream_tbEUlT_E_NS1_11comp_targetILNS1_3genE2ELNS1_11target_archE906ELNS1_3gpuE6ELNS1_3repE0EEENS1_44radix_sort_block_sort_config_static_selectorELNS0_4arch9wavefront6targetE0EEEvSG_
                                        ; -- End function
	.set _ZN7rocprim17ROCPRIM_400000_NS6detail17trampoline_kernelINS0_13kernel_configILj256ELj4ELj4294967295EEENS1_37radix_sort_block_sort_config_selectorI6__halfNS0_10empty_typeEEEZNS1_21radix_sort_block_sortIS4_Lb0EPKS6_PS6_PS7_SD_NS0_19identity_decomposerEEE10hipError_tT1_T2_T3_T4_jRjT5_jjP12ihipStream_tbEUlT_E_NS1_11comp_targetILNS1_3genE2ELNS1_11target_archE906ELNS1_3gpuE6ELNS1_3repE0EEENS1_44radix_sort_block_sort_config_static_selectorELNS0_4arch9wavefront6targetE0EEEvSG_.num_vgpr, 0
	.set _ZN7rocprim17ROCPRIM_400000_NS6detail17trampoline_kernelINS0_13kernel_configILj256ELj4ELj4294967295EEENS1_37radix_sort_block_sort_config_selectorI6__halfNS0_10empty_typeEEEZNS1_21radix_sort_block_sortIS4_Lb0EPKS6_PS6_PS7_SD_NS0_19identity_decomposerEEE10hipError_tT1_T2_T3_T4_jRjT5_jjP12ihipStream_tbEUlT_E_NS1_11comp_targetILNS1_3genE2ELNS1_11target_archE906ELNS1_3gpuE6ELNS1_3repE0EEENS1_44radix_sort_block_sort_config_static_selectorELNS0_4arch9wavefront6targetE0EEEvSG_.num_agpr, 0
	.set _ZN7rocprim17ROCPRIM_400000_NS6detail17trampoline_kernelINS0_13kernel_configILj256ELj4ELj4294967295EEENS1_37radix_sort_block_sort_config_selectorI6__halfNS0_10empty_typeEEEZNS1_21radix_sort_block_sortIS4_Lb0EPKS6_PS6_PS7_SD_NS0_19identity_decomposerEEE10hipError_tT1_T2_T3_T4_jRjT5_jjP12ihipStream_tbEUlT_E_NS1_11comp_targetILNS1_3genE2ELNS1_11target_archE906ELNS1_3gpuE6ELNS1_3repE0EEENS1_44radix_sort_block_sort_config_static_selectorELNS0_4arch9wavefront6targetE0EEEvSG_.numbered_sgpr, 0
	.set _ZN7rocprim17ROCPRIM_400000_NS6detail17trampoline_kernelINS0_13kernel_configILj256ELj4ELj4294967295EEENS1_37radix_sort_block_sort_config_selectorI6__halfNS0_10empty_typeEEEZNS1_21radix_sort_block_sortIS4_Lb0EPKS6_PS6_PS7_SD_NS0_19identity_decomposerEEE10hipError_tT1_T2_T3_T4_jRjT5_jjP12ihipStream_tbEUlT_E_NS1_11comp_targetILNS1_3genE2ELNS1_11target_archE906ELNS1_3gpuE6ELNS1_3repE0EEENS1_44radix_sort_block_sort_config_static_selectorELNS0_4arch9wavefront6targetE0EEEvSG_.num_named_barrier, 0
	.set _ZN7rocprim17ROCPRIM_400000_NS6detail17trampoline_kernelINS0_13kernel_configILj256ELj4ELj4294967295EEENS1_37radix_sort_block_sort_config_selectorI6__halfNS0_10empty_typeEEEZNS1_21radix_sort_block_sortIS4_Lb0EPKS6_PS6_PS7_SD_NS0_19identity_decomposerEEE10hipError_tT1_T2_T3_T4_jRjT5_jjP12ihipStream_tbEUlT_E_NS1_11comp_targetILNS1_3genE2ELNS1_11target_archE906ELNS1_3gpuE6ELNS1_3repE0EEENS1_44radix_sort_block_sort_config_static_selectorELNS0_4arch9wavefront6targetE0EEEvSG_.private_seg_size, 0
	.set _ZN7rocprim17ROCPRIM_400000_NS6detail17trampoline_kernelINS0_13kernel_configILj256ELj4ELj4294967295EEENS1_37radix_sort_block_sort_config_selectorI6__halfNS0_10empty_typeEEEZNS1_21radix_sort_block_sortIS4_Lb0EPKS6_PS6_PS7_SD_NS0_19identity_decomposerEEE10hipError_tT1_T2_T3_T4_jRjT5_jjP12ihipStream_tbEUlT_E_NS1_11comp_targetILNS1_3genE2ELNS1_11target_archE906ELNS1_3gpuE6ELNS1_3repE0EEENS1_44radix_sort_block_sort_config_static_selectorELNS0_4arch9wavefront6targetE0EEEvSG_.uses_vcc, 0
	.set _ZN7rocprim17ROCPRIM_400000_NS6detail17trampoline_kernelINS0_13kernel_configILj256ELj4ELj4294967295EEENS1_37radix_sort_block_sort_config_selectorI6__halfNS0_10empty_typeEEEZNS1_21radix_sort_block_sortIS4_Lb0EPKS6_PS6_PS7_SD_NS0_19identity_decomposerEEE10hipError_tT1_T2_T3_T4_jRjT5_jjP12ihipStream_tbEUlT_E_NS1_11comp_targetILNS1_3genE2ELNS1_11target_archE906ELNS1_3gpuE6ELNS1_3repE0EEENS1_44radix_sort_block_sort_config_static_selectorELNS0_4arch9wavefront6targetE0EEEvSG_.uses_flat_scratch, 0
	.set _ZN7rocprim17ROCPRIM_400000_NS6detail17trampoline_kernelINS0_13kernel_configILj256ELj4ELj4294967295EEENS1_37radix_sort_block_sort_config_selectorI6__halfNS0_10empty_typeEEEZNS1_21radix_sort_block_sortIS4_Lb0EPKS6_PS6_PS7_SD_NS0_19identity_decomposerEEE10hipError_tT1_T2_T3_T4_jRjT5_jjP12ihipStream_tbEUlT_E_NS1_11comp_targetILNS1_3genE2ELNS1_11target_archE906ELNS1_3gpuE6ELNS1_3repE0EEENS1_44radix_sort_block_sort_config_static_selectorELNS0_4arch9wavefront6targetE0EEEvSG_.has_dyn_sized_stack, 0
	.set _ZN7rocprim17ROCPRIM_400000_NS6detail17trampoline_kernelINS0_13kernel_configILj256ELj4ELj4294967295EEENS1_37radix_sort_block_sort_config_selectorI6__halfNS0_10empty_typeEEEZNS1_21radix_sort_block_sortIS4_Lb0EPKS6_PS6_PS7_SD_NS0_19identity_decomposerEEE10hipError_tT1_T2_T3_T4_jRjT5_jjP12ihipStream_tbEUlT_E_NS1_11comp_targetILNS1_3genE2ELNS1_11target_archE906ELNS1_3gpuE6ELNS1_3repE0EEENS1_44radix_sort_block_sort_config_static_selectorELNS0_4arch9wavefront6targetE0EEEvSG_.has_recursion, 0
	.set _ZN7rocprim17ROCPRIM_400000_NS6detail17trampoline_kernelINS0_13kernel_configILj256ELj4ELj4294967295EEENS1_37radix_sort_block_sort_config_selectorI6__halfNS0_10empty_typeEEEZNS1_21radix_sort_block_sortIS4_Lb0EPKS6_PS6_PS7_SD_NS0_19identity_decomposerEEE10hipError_tT1_T2_T3_T4_jRjT5_jjP12ihipStream_tbEUlT_E_NS1_11comp_targetILNS1_3genE2ELNS1_11target_archE906ELNS1_3gpuE6ELNS1_3repE0EEENS1_44radix_sort_block_sort_config_static_selectorELNS0_4arch9wavefront6targetE0EEEvSG_.has_indirect_call, 0
	.section	.AMDGPU.csdata,"",@progbits
; Kernel info:
; codeLenInByte = 0
; TotalNumSgprs: 0
; NumVgprs: 0
; ScratchSize: 0
; MemoryBound: 0
; FloatMode: 240
; IeeeMode: 1
; LDSByteSize: 0 bytes/workgroup (compile time only)
; SGPRBlocks: 0
; VGPRBlocks: 0
; NumSGPRsForWavesPerEU: 1
; NumVGPRsForWavesPerEU: 1
; NamedBarCnt: 0
; Occupancy: 16
; WaveLimiterHint : 0
; COMPUTE_PGM_RSRC2:SCRATCH_EN: 0
; COMPUTE_PGM_RSRC2:USER_SGPR: 2
; COMPUTE_PGM_RSRC2:TRAP_HANDLER: 0
; COMPUTE_PGM_RSRC2:TGID_X_EN: 1
; COMPUTE_PGM_RSRC2:TGID_Y_EN: 0
; COMPUTE_PGM_RSRC2:TGID_Z_EN: 0
; COMPUTE_PGM_RSRC2:TIDIG_COMP_CNT: 0
	.section	.text._ZN7rocprim17ROCPRIM_400000_NS6detail17trampoline_kernelINS0_13kernel_configILj256ELj4ELj4294967295EEENS1_37radix_sort_block_sort_config_selectorI6__halfNS0_10empty_typeEEEZNS1_21radix_sort_block_sortIS4_Lb0EPKS6_PS6_PS7_SD_NS0_19identity_decomposerEEE10hipError_tT1_T2_T3_T4_jRjT5_jjP12ihipStream_tbEUlT_E_NS1_11comp_targetILNS1_3genE10ELNS1_11target_archE1201ELNS1_3gpuE5ELNS1_3repE0EEENS1_44radix_sort_block_sort_config_static_selectorELNS0_4arch9wavefront6targetE0EEEvSG_,"axG",@progbits,_ZN7rocprim17ROCPRIM_400000_NS6detail17trampoline_kernelINS0_13kernel_configILj256ELj4ELj4294967295EEENS1_37radix_sort_block_sort_config_selectorI6__halfNS0_10empty_typeEEEZNS1_21radix_sort_block_sortIS4_Lb0EPKS6_PS6_PS7_SD_NS0_19identity_decomposerEEE10hipError_tT1_T2_T3_T4_jRjT5_jjP12ihipStream_tbEUlT_E_NS1_11comp_targetILNS1_3genE10ELNS1_11target_archE1201ELNS1_3gpuE5ELNS1_3repE0EEENS1_44radix_sort_block_sort_config_static_selectorELNS0_4arch9wavefront6targetE0EEEvSG_,comdat
	.protected	_ZN7rocprim17ROCPRIM_400000_NS6detail17trampoline_kernelINS0_13kernel_configILj256ELj4ELj4294967295EEENS1_37radix_sort_block_sort_config_selectorI6__halfNS0_10empty_typeEEEZNS1_21radix_sort_block_sortIS4_Lb0EPKS6_PS6_PS7_SD_NS0_19identity_decomposerEEE10hipError_tT1_T2_T3_T4_jRjT5_jjP12ihipStream_tbEUlT_E_NS1_11comp_targetILNS1_3genE10ELNS1_11target_archE1201ELNS1_3gpuE5ELNS1_3repE0EEENS1_44radix_sort_block_sort_config_static_selectorELNS0_4arch9wavefront6targetE0EEEvSG_ ; -- Begin function _ZN7rocprim17ROCPRIM_400000_NS6detail17trampoline_kernelINS0_13kernel_configILj256ELj4ELj4294967295EEENS1_37radix_sort_block_sort_config_selectorI6__halfNS0_10empty_typeEEEZNS1_21radix_sort_block_sortIS4_Lb0EPKS6_PS6_PS7_SD_NS0_19identity_decomposerEEE10hipError_tT1_T2_T3_T4_jRjT5_jjP12ihipStream_tbEUlT_E_NS1_11comp_targetILNS1_3genE10ELNS1_11target_archE1201ELNS1_3gpuE5ELNS1_3repE0EEENS1_44radix_sort_block_sort_config_static_selectorELNS0_4arch9wavefront6targetE0EEEvSG_
	.globl	_ZN7rocprim17ROCPRIM_400000_NS6detail17trampoline_kernelINS0_13kernel_configILj256ELj4ELj4294967295EEENS1_37radix_sort_block_sort_config_selectorI6__halfNS0_10empty_typeEEEZNS1_21radix_sort_block_sortIS4_Lb0EPKS6_PS6_PS7_SD_NS0_19identity_decomposerEEE10hipError_tT1_T2_T3_T4_jRjT5_jjP12ihipStream_tbEUlT_E_NS1_11comp_targetILNS1_3genE10ELNS1_11target_archE1201ELNS1_3gpuE5ELNS1_3repE0EEENS1_44radix_sort_block_sort_config_static_selectorELNS0_4arch9wavefront6targetE0EEEvSG_
	.p2align	8
	.type	_ZN7rocprim17ROCPRIM_400000_NS6detail17trampoline_kernelINS0_13kernel_configILj256ELj4ELj4294967295EEENS1_37radix_sort_block_sort_config_selectorI6__halfNS0_10empty_typeEEEZNS1_21radix_sort_block_sortIS4_Lb0EPKS6_PS6_PS7_SD_NS0_19identity_decomposerEEE10hipError_tT1_T2_T3_T4_jRjT5_jjP12ihipStream_tbEUlT_E_NS1_11comp_targetILNS1_3genE10ELNS1_11target_archE1201ELNS1_3gpuE5ELNS1_3repE0EEENS1_44radix_sort_block_sort_config_static_selectorELNS0_4arch9wavefront6targetE0EEEvSG_,@function
_ZN7rocprim17ROCPRIM_400000_NS6detail17trampoline_kernelINS0_13kernel_configILj256ELj4ELj4294967295EEENS1_37radix_sort_block_sort_config_selectorI6__halfNS0_10empty_typeEEEZNS1_21radix_sort_block_sortIS4_Lb0EPKS6_PS6_PS7_SD_NS0_19identity_decomposerEEE10hipError_tT1_T2_T3_T4_jRjT5_jjP12ihipStream_tbEUlT_E_NS1_11comp_targetILNS1_3genE10ELNS1_11target_archE1201ELNS1_3gpuE5ELNS1_3repE0EEENS1_44radix_sort_block_sort_config_static_selectorELNS0_4arch9wavefront6targetE0EEEvSG_: ; @_ZN7rocprim17ROCPRIM_400000_NS6detail17trampoline_kernelINS0_13kernel_configILj256ELj4ELj4294967295EEENS1_37radix_sort_block_sort_config_selectorI6__halfNS0_10empty_typeEEEZNS1_21radix_sort_block_sortIS4_Lb0EPKS6_PS6_PS7_SD_NS0_19identity_decomposerEEE10hipError_tT1_T2_T3_T4_jRjT5_jjP12ihipStream_tbEUlT_E_NS1_11comp_targetILNS1_3genE10ELNS1_11target_archE1201ELNS1_3gpuE5ELNS1_3repE0EEENS1_44radix_sort_block_sort_config_static_selectorELNS0_4arch9wavefront6targetE0EEEvSG_
; %bb.0:
	.section	.rodata,"a",@progbits
	.p2align	6, 0x0
	.amdhsa_kernel _ZN7rocprim17ROCPRIM_400000_NS6detail17trampoline_kernelINS0_13kernel_configILj256ELj4ELj4294967295EEENS1_37radix_sort_block_sort_config_selectorI6__halfNS0_10empty_typeEEEZNS1_21radix_sort_block_sortIS4_Lb0EPKS6_PS6_PS7_SD_NS0_19identity_decomposerEEE10hipError_tT1_T2_T3_T4_jRjT5_jjP12ihipStream_tbEUlT_E_NS1_11comp_targetILNS1_3genE10ELNS1_11target_archE1201ELNS1_3gpuE5ELNS1_3repE0EEENS1_44radix_sort_block_sort_config_static_selectorELNS0_4arch9wavefront6targetE0EEEvSG_
		.amdhsa_group_segment_fixed_size 0
		.amdhsa_private_segment_fixed_size 0
		.amdhsa_kernarg_size 48
		.amdhsa_user_sgpr_count 2
		.amdhsa_user_sgpr_dispatch_ptr 0
		.amdhsa_user_sgpr_queue_ptr 0
		.amdhsa_user_sgpr_kernarg_segment_ptr 1
		.amdhsa_user_sgpr_dispatch_id 0
		.amdhsa_user_sgpr_kernarg_preload_length 0
		.amdhsa_user_sgpr_kernarg_preload_offset 0
		.amdhsa_user_sgpr_private_segment_size 0
		.amdhsa_wavefront_size32 1
		.amdhsa_uses_dynamic_stack 0
		.amdhsa_enable_private_segment 0
		.amdhsa_system_sgpr_workgroup_id_x 1
		.amdhsa_system_sgpr_workgroup_id_y 0
		.amdhsa_system_sgpr_workgroup_id_z 0
		.amdhsa_system_sgpr_workgroup_info 0
		.amdhsa_system_vgpr_workitem_id 0
		.amdhsa_next_free_vgpr 1
		.amdhsa_next_free_sgpr 1
		.amdhsa_named_barrier_count 0
		.amdhsa_reserve_vcc 0
		.amdhsa_float_round_mode_32 0
		.amdhsa_float_round_mode_16_64 0
		.amdhsa_float_denorm_mode_32 3
		.amdhsa_float_denorm_mode_16_64 3
		.amdhsa_fp16_overflow 0
		.amdhsa_memory_ordered 1
		.amdhsa_forward_progress 1
		.amdhsa_inst_pref_size 0
		.amdhsa_round_robin_scheduling 0
		.amdhsa_exception_fp_ieee_invalid_op 0
		.amdhsa_exception_fp_denorm_src 0
		.amdhsa_exception_fp_ieee_div_zero 0
		.amdhsa_exception_fp_ieee_overflow 0
		.amdhsa_exception_fp_ieee_underflow 0
		.amdhsa_exception_fp_ieee_inexact 0
		.amdhsa_exception_int_div_zero 0
	.end_amdhsa_kernel
	.section	.text._ZN7rocprim17ROCPRIM_400000_NS6detail17trampoline_kernelINS0_13kernel_configILj256ELj4ELj4294967295EEENS1_37radix_sort_block_sort_config_selectorI6__halfNS0_10empty_typeEEEZNS1_21radix_sort_block_sortIS4_Lb0EPKS6_PS6_PS7_SD_NS0_19identity_decomposerEEE10hipError_tT1_T2_T3_T4_jRjT5_jjP12ihipStream_tbEUlT_E_NS1_11comp_targetILNS1_3genE10ELNS1_11target_archE1201ELNS1_3gpuE5ELNS1_3repE0EEENS1_44radix_sort_block_sort_config_static_selectorELNS0_4arch9wavefront6targetE0EEEvSG_,"axG",@progbits,_ZN7rocprim17ROCPRIM_400000_NS6detail17trampoline_kernelINS0_13kernel_configILj256ELj4ELj4294967295EEENS1_37radix_sort_block_sort_config_selectorI6__halfNS0_10empty_typeEEEZNS1_21radix_sort_block_sortIS4_Lb0EPKS6_PS6_PS7_SD_NS0_19identity_decomposerEEE10hipError_tT1_T2_T3_T4_jRjT5_jjP12ihipStream_tbEUlT_E_NS1_11comp_targetILNS1_3genE10ELNS1_11target_archE1201ELNS1_3gpuE5ELNS1_3repE0EEENS1_44radix_sort_block_sort_config_static_selectorELNS0_4arch9wavefront6targetE0EEEvSG_,comdat
.Lfunc_end2204:
	.size	_ZN7rocprim17ROCPRIM_400000_NS6detail17trampoline_kernelINS0_13kernel_configILj256ELj4ELj4294967295EEENS1_37radix_sort_block_sort_config_selectorI6__halfNS0_10empty_typeEEEZNS1_21radix_sort_block_sortIS4_Lb0EPKS6_PS6_PS7_SD_NS0_19identity_decomposerEEE10hipError_tT1_T2_T3_T4_jRjT5_jjP12ihipStream_tbEUlT_E_NS1_11comp_targetILNS1_3genE10ELNS1_11target_archE1201ELNS1_3gpuE5ELNS1_3repE0EEENS1_44radix_sort_block_sort_config_static_selectorELNS0_4arch9wavefront6targetE0EEEvSG_, .Lfunc_end2204-_ZN7rocprim17ROCPRIM_400000_NS6detail17trampoline_kernelINS0_13kernel_configILj256ELj4ELj4294967295EEENS1_37radix_sort_block_sort_config_selectorI6__halfNS0_10empty_typeEEEZNS1_21radix_sort_block_sortIS4_Lb0EPKS6_PS6_PS7_SD_NS0_19identity_decomposerEEE10hipError_tT1_T2_T3_T4_jRjT5_jjP12ihipStream_tbEUlT_E_NS1_11comp_targetILNS1_3genE10ELNS1_11target_archE1201ELNS1_3gpuE5ELNS1_3repE0EEENS1_44radix_sort_block_sort_config_static_selectorELNS0_4arch9wavefront6targetE0EEEvSG_
                                        ; -- End function
	.set _ZN7rocprim17ROCPRIM_400000_NS6detail17trampoline_kernelINS0_13kernel_configILj256ELj4ELj4294967295EEENS1_37radix_sort_block_sort_config_selectorI6__halfNS0_10empty_typeEEEZNS1_21radix_sort_block_sortIS4_Lb0EPKS6_PS6_PS7_SD_NS0_19identity_decomposerEEE10hipError_tT1_T2_T3_T4_jRjT5_jjP12ihipStream_tbEUlT_E_NS1_11comp_targetILNS1_3genE10ELNS1_11target_archE1201ELNS1_3gpuE5ELNS1_3repE0EEENS1_44radix_sort_block_sort_config_static_selectorELNS0_4arch9wavefront6targetE0EEEvSG_.num_vgpr, 0
	.set _ZN7rocprim17ROCPRIM_400000_NS6detail17trampoline_kernelINS0_13kernel_configILj256ELj4ELj4294967295EEENS1_37radix_sort_block_sort_config_selectorI6__halfNS0_10empty_typeEEEZNS1_21radix_sort_block_sortIS4_Lb0EPKS6_PS6_PS7_SD_NS0_19identity_decomposerEEE10hipError_tT1_T2_T3_T4_jRjT5_jjP12ihipStream_tbEUlT_E_NS1_11comp_targetILNS1_3genE10ELNS1_11target_archE1201ELNS1_3gpuE5ELNS1_3repE0EEENS1_44radix_sort_block_sort_config_static_selectorELNS0_4arch9wavefront6targetE0EEEvSG_.num_agpr, 0
	.set _ZN7rocprim17ROCPRIM_400000_NS6detail17trampoline_kernelINS0_13kernel_configILj256ELj4ELj4294967295EEENS1_37radix_sort_block_sort_config_selectorI6__halfNS0_10empty_typeEEEZNS1_21radix_sort_block_sortIS4_Lb0EPKS6_PS6_PS7_SD_NS0_19identity_decomposerEEE10hipError_tT1_T2_T3_T4_jRjT5_jjP12ihipStream_tbEUlT_E_NS1_11comp_targetILNS1_3genE10ELNS1_11target_archE1201ELNS1_3gpuE5ELNS1_3repE0EEENS1_44radix_sort_block_sort_config_static_selectorELNS0_4arch9wavefront6targetE0EEEvSG_.numbered_sgpr, 0
	.set _ZN7rocprim17ROCPRIM_400000_NS6detail17trampoline_kernelINS0_13kernel_configILj256ELj4ELj4294967295EEENS1_37radix_sort_block_sort_config_selectorI6__halfNS0_10empty_typeEEEZNS1_21radix_sort_block_sortIS4_Lb0EPKS6_PS6_PS7_SD_NS0_19identity_decomposerEEE10hipError_tT1_T2_T3_T4_jRjT5_jjP12ihipStream_tbEUlT_E_NS1_11comp_targetILNS1_3genE10ELNS1_11target_archE1201ELNS1_3gpuE5ELNS1_3repE0EEENS1_44radix_sort_block_sort_config_static_selectorELNS0_4arch9wavefront6targetE0EEEvSG_.num_named_barrier, 0
	.set _ZN7rocprim17ROCPRIM_400000_NS6detail17trampoline_kernelINS0_13kernel_configILj256ELj4ELj4294967295EEENS1_37radix_sort_block_sort_config_selectorI6__halfNS0_10empty_typeEEEZNS1_21radix_sort_block_sortIS4_Lb0EPKS6_PS6_PS7_SD_NS0_19identity_decomposerEEE10hipError_tT1_T2_T3_T4_jRjT5_jjP12ihipStream_tbEUlT_E_NS1_11comp_targetILNS1_3genE10ELNS1_11target_archE1201ELNS1_3gpuE5ELNS1_3repE0EEENS1_44radix_sort_block_sort_config_static_selectorELNS0_4arch9wavefront6targetE0EEEvSG_.private_seg_size, 0
	.set _ZN7rocprim17ROCPRIM_400000_NS6detail17trampoline_kernelINS0_13kernel_configILj256ELj4ELj4294967295EEENS1_37radix_sort_block_sort_config_selectorI6__halfNS0_10empty_typeEEEZNS1_21radix_sort_block_sortIS4_Lb0EPKS6_PS6_PS7_SD_NS0_19identity_decomposerEEE10hipError_tT1_T2_T3_T4_jRjT5_jjP12ihipStream_tbEUlT_E_NS1_11comp_targetILNS1_3genE10ELNS1_11target_archE1201ELNS1_3gpuE5ELNS1_3repE0EEENS1_44radix_sort_block_sort_config_static_selectorELNS0_4arch9wavefront6targetE0EEEvSG_.uses_vcc, 0
	.set _ZN7rocprim17ROCPRIM_400000_NS6detail17trampoline_kernelINS0_13kernel_configILj256ELj4ELj4294967295EEENS1_37radix_sort_block_sort_config_selectorI6__halfNS0_10empty_typeEEEZNS1_21radix_sort_block_sortIS4_Lb0EPKS6_PS6_PS7_SD_NS0_19identity_decomposerEEE10hipError_tT1_T2_T3_T4_jRjT5_jjP12ihipStream_tbEUlT_E_NS1_11comp_targetILNS1_3genE10ELNS1_11target_archE1201ELNS1_3gpuE5ELNS1_3repE0EEENS1_44radix_sort_block_sort_config_static_selectorELNS0_4arch9wavefront6targetE0EEEvSG_.uses_flat_scratch, 0
	.set _ZN7rocprim17ROCPRIM_400000_NS6detail17trampoline_kernelINS0_13kernel_configILj256ELj4ELj4294967295EEENS1_37radix_sort_block_sort_config_selectorI6__halfNS0_10empty_typeEEEZNS1_21radix_sort_block_sortIS4_Lb0EPKS6_PS6_PS7_SD_NS0_19identity_decomposerEEE10hipError_tT1_T2_T3_T4_jRjT5_jjP12ihipStream_tbEUlT_E_NS1_11comp_targetILNS1_3genE10ELNS1_11target_archE1201ELNS1_3gpuE5ELNS1_3repE0EEENS1_44radix_sort_block_sort_config_static_selectorELNS0_4arch9wavefront6targetE0EEEvSG_.has_dyn_sized_stack, 0
	.set _ZN7rocprim17ROCPRIM_400000_NS6detail17trampoline_kernelINS0_13kernel_configILj256ELj4ELj4294967295EEENS1_37radix_sort_block_sort_config_selectorI6__halfNS0_10empty_typeEEEZNS1_21radix_sort_block_sortIS4_Lb0EPKS6_PS6_PS7_SD_NS0_19identity_decomposerEEE10hipError_tT1_T2_T3_T4_jRjT5_jjP12ihipStream_tbEUlT_E_NS1_11comp_targetILNS1_3genE10ELNS1_11target_archE1201ELNS1_3gpuE5ELNS1_3repE0EEENS1_44radix_sort_block_sort_config_static_selectorELNS0_4arch9wavefront6targetE0EEEvSG_.has_recursion, 0
	.set _ZN7rocprim17ROCPRIM_400000_NS6detail17trampoline_kernelINS0_13kernel_configILj256ELj4ELj4294967295EEENS1_37radix_sort_block_sort_config_selectorI6__halfNS0_10empty_typeEEEZNS1_21radix_sort_block_sortIS4_Lb0EPKS6_PS6_PS7_SD_NS0_19identity_decomposerEEE10hipError_tT1_T2_T3_T4_jRjT5_jjP12ihipStream_tbEUlT_E_NS1_11comp_targetILNS1_3genE10ELNS1_11target_archE1201ELNS1_3gpuE5ELNS1_3repE0EEENS1_44radix_sort_block_sort_config_static_selectorELNS0_4arch9wavefront6targetE0EEEvSG_.has_indirect_call, 0
	.section	.AMDGPU.csdata,"",@progbits
; Kernel info:
; codeLenInByte = 0
; TotalNumSgprs: 0
; NumVgprs: 0
; ScratchSize: 0
; MemoryBound: 0
; FloatMode: 240
; IeeeMode: 1
; LDSByteSize: 0 bytes/workgroup (compile time only)
; SGPRBlocks: 0
; VGPRBlocks: 0
; NumSGPRsForWavesPerEU: 1
; NumVGPRsForWavesPerEU: 1
; NamedBarCnt: 0
; Occupancy: 16
; WaveLimiterHint : 0
; COMPUTE_PGM_RSRC2:SCRATCH_EN: 0
; COMPUTE_PGM_RSRC2:USER_SGPR: 2
; COMPUTE_PGM_RSRC2:TRAP_HANDLER: 0
; COMPUTE_PGM_RSRC2:TGID_X_EN: 1
; COMPUTE_PGM_RSRC2:TGID_Y_EN: 0
; COMPUTE_PGM_RSRC2:TGID_Z_EN: 0
; COMPUTE_PGM_RSRC2:TIDIG_COMP_CNT: 0
	.section	.text._ZN7rocprim17ROCPRIM_400000_NS6detail17trampoline_kernelINS0_13kernel_configILj256ELj4ELj4294967295EEENS1_37radix_sort_block_sort_config_selectorI6__halfNS0_10empty_typeEEEZNS1_21radix_sort_block_sortIS4_Lb0EPKS6_PS6_PS7_SD_NS0_19identity_decomposerEEE10hipError_tT1_T2_T3_T4_jRjT5_jjP12ihipStream_tbEUlT_E_NS1_11comp_targetILNS1_3genE10ELNS1_11target_archE1200ELNS1_3gpuE4ELNS1_3repE0EEENS1_44radix_sort_block_sort_config_static_selectorELNS0_4arch9wavefront6targetE0EEEvSG_,"axG",@progbits,_ZN7rocprim17ROCPRIM_400000_NS6detail17trampoline_kernelINS0_13kernel_configILj256ELj4ELj4294967295EEENS1_37radix_sort_block_sort_config_selectorI6__halfNS0_10empty_typeEEEZNS1_21radix_sort_block_sortIS4_Lb0EPKS6_PS6_PS7_SD_NS0_19identity_decomposerEEE10hipError_tT1_T2_T3_T4_jRjT5_jjP12ihipStream_tbEUlT_E_NS1_11comp_targetILNS1_3genE10ELNS1_11target_archE1200ELNS1_3gpuE4ELNS1_3repE0EEENS1_44radix_sort_block_sort_config_static_selectorELNS0_4arch9wavefront6targetE0EEEvSG_,comdat
	.protected	_ZN7rocprim17ROCPRIM_400000_NS6detail17trampoline_kernelINS0_13kernel_configILj256ELj4ELj4294967295EEENS1_37radix_sort_block_sort_config_selectorI6__halfNS0_10empty_typeEEEZNS1_21radix_sort_block_sortIS4_Lb0EPKS6_PS6_PS7_SD_NS0_19identity_decomposerEEE10hipError_tT1_T2_T3_T4_jRjT5_jjP12ihipStream_tbEUlT_E_NS1_11comp_targetILNS1_3genE10ELNS1_11target_archE1200ELNS1_3gpuE4ELNS1_3repE0EEENS1_44radix_sort_block_sort_config_static_selectorELNS0_4arch9wavefront6targetE0EEEvSG_ ; -- Begin function _ZN7rocprim17ROCPRIM_400000_NS6detail17trampoline_kernelINS0_13kernel_configILj256ELj4ELj4294967295EEENS1_37radix_sort_block_sort_config_selectorI6__halfNS0_10empty_typeEEEZNS1_21radix_sort_block_sortIS4_Lb0EPKS6_PS6_PS7_SD_NS0_19identity_decomposerEEE10hipError_tT1_T2_T3_T4_jRjT5_jjP12ihipStream_tbEUlT_E_NS1_11comp_targetILNS1_3genE10ELNS1_11target_archE1200ELNS1_3gpuE4ELNS1_3repE0EEENS1_44radix_sort_block_sort_config_static_selectorELNS0_4arch9wavefront6targetE0EEEvSG_
	.globl	_ZN7rocprim17ROCPRIM_400000_NS6detail17trampoline_kernelINS0_13kernel_configILj256ELj4ELj4294967295EEENS1_37radix_sort_block_sort_config_selectorI6__halfNS0_10empty_typeEEEZNS1_21radix_sort_block_sortIS4_Lb0EPKS6_PS6_PS7_SD_NS0_19identity_decomposerEEE10hipError_tT1_T2_T3_T4_jRjT5_jjP12ihipStream_tbEUlT_E_NS1_11comp_targetILNS1_3genE10ELNS1_11target_archE1200ELNS1_3gpuE4ELNS1_3repE0EEENS1_44radix_sort_block_sort_config_static_selectorELNS0_4arch9wavefront6targetE0EEEvSG_
	.p2align	8
	.type	_ZN7rocprim17ROCPRIM_400000_NS6detail17trampoline_kernelINS0_13kernel_configILj256ELj4ELj4294967295EEENS1_37radix_sort_block_sort_config_selectorI6__halfNS0_10empty_typeEEEZNS1_21radix_sort_block_sortIS4_Lb0EPKS6_PS6_PS7_SD_NS0_19identity_decomposerEEE10hipError_tT1_T2_T3_T4_jRjT5_jjP12ihipStream_tbEUlT_E_NS1_11comp_targetILNS1_3genE10ELNS1_11target_archE1200ELNS1_3gpuE4ELNS1_3repE0EEENS1_44radix_sort_block_sort_config_static_selectorELNS0_4arch9wavefront6targetE0EEEvSG_,@function
_ZN7rocprim17ROCPRIM_400000_NS6detail17trampoline_kernelINS0_13kernel_configILj256ELj4ELj4294967295EEENS1_37radix_sort_block_sort_config_selectorI6__halfNS0_10empty_typeEEEZNS1_21radix_sort_block_sortIS4_Lb0EPKS6_PS6_PS7_SD_NS0_19identity_decomposerEEE10hipError_tT1_T2_T3_T4_jRjT5_jjP12ihipStream_tbEUlT_E_NS1_11comp_targetILNS1_3genE10ELNS1_11target_archE1200ELNS1_3gpuE4ELNS1_3repE0EEENS1_44radix_sort_block_sort_config_static_selectorELNS0_4arch9wavefront6targetE0EEEvSG_: ; @_ZN7rocprim17ROCPRIM_400000_NS6detail17trampoline_kernelINS0_13kernel_configILj256ELj4ELj4294967295EEENS1_37radix_sort_block_sort_config_selectorI6__halfNS0_10empty_typeEEEZNS1_21radix_sort_block_sortIS4_Lb0EPKS6_PS6_PS7_SD_NS0_19identity_decomposerEEE10hipError_tT1_T2_T3_T4_jRjT5_jjP12ihipStream_tbEUlT_E_NS1_11comp_targetILNS1_3genE10ELNS1_11target_archE1200ELNS1_3gpuE4ELNS1_3repE0EEENS1_44radix_sort_block_sort_config_static_selectorELNS0_4arch9wavefront6targetE0EEEvSG_
; %bb.0:
	.section	.rodata,"a",@progbits
	.p2align	6, 0x0
	.amdhsa_kernel _ZN7rocprim17ROCPRIM_400000_NS6detail17trampoline_kernelINS0_13kernel_configILj256ELj4ELj4294967295EEENS1_37radix_sort_block_sort_config_selectorI6__halfNS0_10empty_typeEEEZNS1_21radix_sort_block_sortIS4_Lb0EPKS6_PS6_PS7_SD_NS0_19identity_decomposerEEE10hipError_tT1_T2_T3_T4_jRjT5_jjP12ihipStream_tbEUlT_E_NS1_11comp_targetILNS1_3genE10ELNS1_11target_archE1200ELNS1_3gpuE4ELNS1_3repE0EEENS1_44radix_sort_block_sort_config_static_selectorELNS0_4arch9wavefront6targetE0EEEvSG_
		.amdhsa_group_segment_fixed_size 0
		.amdhsa_private_segment_fixed_size 0
		.amdhsa_kernarg_size 48
		.amdhsa_user_sgpr_count 2
		.amdhsa_user_sgpr_dispatch_ptr 0
		.amdhsa_user_sgpr_queue_ptr 0
		.amdhsa_user_sgpr_kernarg_segment_ptr 1
		.amdhsa_user_sgpr_dispatch_id 0
		.amdhsa_user_sgpr_kernarg_preload_length 0
		.amdhsa_user_sgpr_kernarg_preload_offset 0
		.amdhsa_user_sgpr_private_segment_size 0
		.amdhsa_wavefront_size32 1
		.amdhsa_uses_dynamic_stack 0
		.amdhsa_enable_private_segment 0
		.amdhsa_system_sgpr_workgroup_id_x 1
		.amdhsa_system_sgpr_workgroup_id_y 0
		.amdhsa_system_sgpr_workgroup_id_z 0
		.amdhsa_system_sgpr_workgroup_info 0
		.amdhsa_system_vgpr_workitem_id 0
		.amdhsa_next_free_vgpr 1
		.amdhsa_next_free_sgpr 1
		.amdhsa_named_barrier_count 0
		.amdhsa_reserve_vcc 0
		.amdhsa_float_round_mode_32 0
		.amdhsa_float_round_mode_16_64 0
		.amdhsa_float_denorm_mode_32 3
		.amdhsa_float_denorm_mode_16_64 3
		.amdhsa_fp16_overflow 0
		.amdhsa_memory_ordered 1
		.amdhsa_forward_progress 1
		.amdhsa_inst_pref_size 0
		.amdhsa_round_robin_scheduling 0
		.amdhsa_exception_fp_ieee_invalid_op 0
		.amdhsa_exception_fp_denorm_src 0
		.amdhsa_exception_fp_ieee_div_zero 0
		.amdhsa_exception_fp_ieee_overflow 0
		.amdhsa_exception_fp_ieee_underflow 0
		.amdhsa_exception_fp_ieee_inexact 0
		.amdhsa_exception_int_div_zero 0
	.end_amdhsa_kernel
	.section	.text._ZN7rocprim17ROCPRIM_400000_NS6detail17trampoline_kernelINS0_13kernel_configILj256ELj4ELj4294967295EEENS1_37radix_sort_block_sort_config_selectorI6__halfNS0_10empty_typeEEEZNS1_21radix_sort_block_sortIS4_Lb0EPKS6_PS6_PS7_SD_NS0_19identity_decomposerEEE10hipError_tT1_T2_T3_T4_jRjT5_jjP12ihipStream_tbEUlT_E_NS1_11comp_targetILNS1_3genE10ELNS1_11target_archE1200ELNS1_3gpuE4ELNS1_3repE0EEENS1_44radix_sort_block_sort_config_static_selectorELNS0_4arch9wavefront6targetE0EEEvSG_,"axG",@progbits,_ZN7rocprim17ROCPRIM_400000_NS6detail17trampoline_kernelINS0_13kernel_configILj256ELj4ELj4294967295EEENS1_37radix_sort_block_sort_config_selectorI6__halfNS0_10empty_typeEEEZNS1_21radix_sort_block_sortIS4_Lb0EPKS6_PS6_PS7_SD_NS0_19identity_decomposerEEE10hipError_tT1_T2_T3_T4_jRjT5_jjP12ihipStream_tbEUlT_E_NS1_11comp_targetILNS1_3genE10ELNS1_11target_archE1200ELNS1_3gpuE4ELNS1_3repE0EEENS1_44radix_sort_block_sort_config_static_selectorELNS0_4arch9wavefront6targetE0EEEvSG_,comdat
.Lfunc_end2205:
	.size	_ZN7rocprim17ROCPRIM_400000_NS6detail17trampoline_kernelINS0_13kernel_configILj256ELj4ELj4294967295EEENS1_37radix_sort_block_sort_config_selectorI6__halfNS0_10empty_typeEEEZNS1_21radix_sort_block_sortIS4_Lb0EPKS6_PS6_PS7_SD_NS0_19identity_decomposerEEE10hipError_tT1_T2_T3_T4_jRjT5_jjP12ihipStream_tbEUlT_E_NS1_11comp_targetILNS1_3genE10ELNS1_11target_archE1200ELNS1_3gpuE4ELNS1_3repE0EEENS1_44radix_sort_block_sort_config_static_selectorELNS0_4arch9wavefront6targetE0EEEvSG_, .Lfunc_end2205-_ZN7rocprim17ROCPRIM_400000_NS6detail17trampoline_kernelINS0_13kernel_configILj256ELj4ELj4294967295EEENS1_37radix_sort_block_sort_config_selectorI6__halfNS0_10empty_typeEEEZNS1_21radix_sort_block_sortIS4_Lb0EPKS6_PS6_PS7_SD_NS0_19identity_decomposerEEE10hipError_tT1_T2_T3_T4_jRjT5_jjP12ihipStream_tbEUlT_E_NS1_11comp_targetILNS1_3genE10ELNS1_11target_archE1200ELNS1_3gpuE4ELNS1_3repE0EEENS1_44radix_sort_block_sort_config_static_selectorELNS0_4arch9wavefront6targetE0EEEvSG_
                                        ; -- End function
	.set _ZN7rocprim17ROCPRIM_400000_NS6detail17trampoline_kernelINS0_13kernel_configILj256ELj4ELj4294967295EEENS1_37radix_sort_block_sort_config_selectorI6__halfNS0_10empty_typeEEEZNS1_21radix_sort_block_sortIS4_Lb0EPKS6_PS6_PS7_SD_NS0_19identity_decomposerEEE10hipError_tT1_T2_T3_T4_jRjT5_jjP12ihipStream_tbEUlT_E_NS1_11comp_targetILNS1_3genE10ELNS1_11target_archE1200ELNS1_3gpuE4ELNS1_3repE0EEENS1_44radix_sort_block_sort_config_static_selectorELNS0_4arch9wavefront6targetE0EEEvSG_.num_vgpr, 0
	.set _ZN7rocprim17ROCPRIM_400000_NS6detail17trampoline_kernelINS0_13kernel_configILj256ELj4ELj4294967295EEENS1_37radix_sort_block_sort_config_selectorI6__halfNS0_10empty_typeEEEZNS1_21radix_sort_block_sortIS4_Lb0EPKS6_PS6_PS7_SD_NS0_19identity_decomposerEEE10hipError_tT1_T2_T3_T4_jRjT5_jjP12ihipStream_tbEUlT_E_NS1_11comp_targetILNS1_3genE10ELNS1_11target_archE1200ELNS1_3gpuE4ELNS1_3repE0EEENS1_44radix_sort_block_sort_config_static_selectorELNS0_4arch9wavefront6targetE0EEEvSG_.num_agpr, 0
	.set _ZN7rocprim17ROCPRIM_400000_NS6detail17trampoline_kernelINS0_13kernel_configILj256ELj4ELj4294967295EEENS1_37radix_sort_block_sort_config_selectorI6__halfNS0_10empty_typeEEEZNS1_21radix_sort_block_sortIS4_Lb0EPKS6_PS6_PS7_SD_NS0_19identity_decomposerEEE10hipError_tT1_T2_T3_T4_jRjT5_jjP12ihipStream_tbEUlT_E_NS1_11comp_targetILNS1_3genE10ELNS1_11target_archE1200ELNS1_3gpuE4ELNS1_3repE0EEENS1_44radix_sort_block_sort_config_static_selectorELNS0_4arch9wavefront6targetE0EEEvSG_.numbered_sgpr, 0
	.set _ZN7rocprim17ROCPRIM_400000_NS6detail17trampoline_kernelINS0_13kernel_configILj256ELj4ELj4294967295EEENS1_37radix_sort_block_sort_config_selectorI6__halfNS0_10empty_typeEEEZNS1_21radix_sort_block_sortIS4_Lb0EPKS6_PS6_PS7_SD_NS0_19identity_decomposerEEE10hipError_tT1_T2_T3_T4_jRjT5_jjP12ihipStream_tbEUlT_E_NS1_11comp_targetILNS1_3genE10ELNS1_11target_archE1200ELNS1_3gpuE4ELNS1_3repE0EEENS1_44radix_sort_block_sort_config_static_selectorELNS0_4arch9wavefront6targetE0EEEvSG_.num_named_barrier, 0
	.set _ZN7rocprim17ROCPRIM_400000_NS6detail17trampoline_kernelINS0_13kernel_configILj256ELj4ELj4294967295EEENS1_37radix_sort_block_sort_config_selectorI6__halfNS0_10empty_typeEEEZNS1_21radix_sort_block_sortIS4_Lb0EPKS6_PS6_PS7_SD_NS0_19identity_decomposerEEE10hipError_tT1_T2_T3_T4_jRjT5_jjP12ihipStream_tbEUlT_E_NS1_11comp_targetILNS1_3genE10ELNS1_11target_archE1200ELNS1_3gpuE4ELNS1_3repE0EEENS1_44radix_sort_block_sort_config_static_selectorELNS0_4arch9wavefront6targetE0EEEvSG_.private_seg_size, 0
	.set _ZN7rocprim17ROCPRIM_400000_NS6detail17trampoline_kernelINS0_13kernel_configILj256ELj4ELj4294967295EEENS1_37radix_sort_block_sort_config_selectorI6__halfNS0_10empty_typeEEEZNS1_21radix_sort_block_sortIS4_Lb0EPKS6_PS6_PS7_SD_NS0_19identity_decomposerEEE10hipError_tT1_T2_T3_T4_jRjT5_jjP12ihipStream_tbEUlT_E_NS1_11comp_targetILNS1_3genE10ELNS1_11target_archE1200ELNS1_3gpuE4ELNS1_3repE0EEENS1_44radix_sort_block_sort_config_static_selectorELNS0_4arch9wavefront6targetE0EEEvSG_.uses_vcc, 0
	.set _ZN7rocprim17ROCPRIM_400000_NS6detail17trampoline_kernelINS0_13kernel_configILj256ELj4ELj4294967295EEENS1_37radix_sort_block_sort_config_selectorI6__halfNS0_10empty_typeEEEZNS1_21radix_sort_block_sortIS4_Lb0EPKS6_PS6_PS7_SD_NS0_19identity_decomposerEEE10hipError_tT1_T2_T3_T4_jRjT5_jjP12ihipStream_tbEUlT_E_NS1_11comp_targetILNS1_3genE10ELNS1_11target_archE1200ELNS1_3gpuE4ELNS1_3repE0EEENS1_44radix_sort_block_sort_config_static_selectorELNS0_4arch9wavefront6targetE0EEEvSG_.uses_flat_scratch, 0
	.set _ZN7rocprim17ROCPRIM_400000_NS6detail17trampoline_kernelINS0_13kernel_configILj256ELj4ELj4294967295EEENS1_37radix_sort_block_sort_config_selectorI6__halfNS0_10empty_typeEEEZNS1_21radix_sort_block_sortIS4_Lb0EPKS6_PS6_PS7_SD_NS0_19identity_decomposerEEE10hipError_tT1_T2_T3_T4_jRjT5_jjP12ihipStream_tbEUlT_E_NS1_11comp_targetILNS1_3genE10ELNS1_11target_archE1200ELNS1_3gpuE4ELNS1_3repE0EEENS1_44radix_sort_block_sort_config_static_selectorELNS0_4arch9wavefront6targetE0EEEvSG_.has_dyn_sized_stack, 0
	.set _ZN7rocprim17ROCPRIM_400000_NS6detail17trampoline_kernelINS0_13kernel_configILj256ELj4ELj4294967295EEENS1_37radix_sort_block_sort_config_selectorI6__halfNS0_10empty_typeEEEZNS1_21radix_sort_block_sortIS4_Lb0EPKS6_PS6_PS7_SD_NS0_19identity_decomposerEEE10hipError_tT1_T2_T3_T4_jRjT5_jjP12ihipStream_tbEUlT_E_NS1_11comp_targetILNS1_3genE10ELNS1_11target_archE1200ELNS1_3gpuE4ELNS1_3repE0EEENS1_44radix_sort_block_sort_config_static_selectorELNS0_4arch9wavefront6targetE0EEEvSG_.has_recursion, 0
	.set _ZN7rocprim17ROCPRIM_400000_NS6detail17trampoline_kernelINS0_13kernel_configILj256ELj4ELj4294967295EEENS1_37radix_sort_block_sort_config_selectorI6__halfNS0_10empty_typeEEEZNS1_21radix_sort_block_sortIS4_Lb0EPKS6_PS6_PS7_SD_NS0_19identity_decomposerEEE10hipError_tT1_T2_T3_T4_jRjT5_jjP12ihipStream_tbEUlT_E_NS1_11comp_targetILNS1_3genE10ELNS1_11target_archE1200ELNS1_3gpuE4ELNS1_3repE0EEENS1_44radix_sort_block_sort_config_static_selectorELNS0_4arch9wavefront6targetE0EEEvSG_.has_indirect_call, 0
	.section	.AMDGPU.csdata,"",@progbits
; Kernel info:
; codeLenInByte = 0
; TotalNumSgprs: 0
; NumVgprs: 0
; ScratchSize: 0
; MemoryBound: 0
; FloatMode: 240
; IeeeMode: 1
; LDSByteSize: 0 bytes/workgroup (compile time only)
; SGPRBlocks: 0
; VGPRBlocks: 0
; NumSGPRsForWavesPerEU: 1
; NumVGPRsForWavesPerEU: 1
; NamedBarCnt: 0
; Occupancy: 16
; WaveLimiterHint : 0
; COMPUTE_PGM_RSRC2:SCRATCH_EN: 0
; COMPUTE_PGM_RSRC2:USER_SGPR: 2
; COMPUTE_PGM_RSRC2:TRAP_HANDLER: 0
; COMPUTE_PGM_RSRC2:TGID_X_EN: 1
; COMPUTE_PGM_RSRC2:TGID_Y_EN: 0
; COMPUTE_PGM_RSRC2:TGID_Z_EN: 0
; COMPUTE_PGM_RSRC2:TIDIG_COMP_CNT: 0
	.section	.text._ZN7rocprim17ROCPRIM_400000_NS6detail17trampoline_kernelINS0_13kernel_configILj256ELj4ELj4294967295EEENS1_37radix_sort_block_sort_config_selectorI6__halfNS0_10empty_typeEEEZNS1_21radix_sort_block_sortIS4_Lb0EPKS6_PS6_PS7_SD_NS0_19identity_decomposerEEE10hipError_tT1_T2_T3_T4_jRjT5_jjP12ihipStream_tbEUlT_E_NS1_11comp_targetILNS1_3genE9ELNS1_11target_archE1100ELNS1_3gpuE3ELNS1_3repE0EEENS1_44radix_sort_block_sort_config_static_selectorELNS0_4arch9wavefront6targetE0EEEvSG_,"axG",@progbits,_ZN7rocprim17ROCPRIM_400000_NS6detail17trampoline_kernelINS0_13kernel_configILj256ELj4ELj4294967295EEENS1_37radix_sort_block_sort_config_selectorI6__halfNS0_10empty_typeEEEZNS1_21radix_sort_block_sortIS4_Lb0EPKS6_PS6_PS7_SD_NS0_19identity_decomposerEEE10hipError_tT1_T2_T3_T4_jRjT5_jjP12ihipStream_tbEUlT_E_NS1_11comp_targetILNS1_3genE9ELNS1_11target_archE1100ELNS1_3gpuE3ELNS1_3repE0EEENS1_44radix_sort_block_sort_config_static_selectorELNS0_4arch9wavefront6targetE0EEEvSG_,comdat
	.protected	_ZN7rocprim17ROCPRIM_400000_NS6detail17trampoline_kernelINS0_13kernel_configILj256ELj4ELj4294967295EEENS1_37radix_sort_block_sort_config_selectorI6__halfNS0_10empty_typeEEEZNS1_21radix_sort_block_sortIS4_Lb0EPKS6_PS6_PS7_SD_NS0_19identity_decomposerEEE10hipError_tT1_T2_T3_T4_jRjT5_jjP12ihipStream_tbEUlT_E_NS1_11comp_targetILNS1_3genE9ELNS1_11target_archE1100ELNS1_3gpuE3ELNS1_3repE0EEENS1_44radix_sort_block_sort_config_static_selectorELNS0_4arch9wavefront6targetE0EEEvSG_ ; -- Begin function _ZN7rocprim17ROCPRIM_400000_NS6detail17trampoline_kernelINS0_13kernel_configILj256ELj4ELj4294967295EEENS1_37radix_sort_block_sort_config_selectorI6__halfNS0_10empty_typeEEEZNS1_21radix_sort_block_sortIS4_Lb0EPKS6_PS6_PS7_SD_NS0_19identity_decomposerEEE10hipError_tT1_T2_T3_T4_jRjT5_jjP12ihipStream_tbEUlT_E_NS1_11comp_targetILNS1_3genE9ELNS1_11target_archE1100ELNS1_3gpuE3ELNS1_3repE0EEENS1_44radix_sort_block_sort_config_static_selectorELNS0_4arch9wavefront6targetE0EEEvSG_
	.globl	_ZN7rocprim17ROCPRIM_400000_NS6detail17trampoline_kernelINS0_13kernel_configILj256ELj4ELj4294967295EEENS1_37radix_sort_block_sort_config_selectorI6__halfNS0_10empty_typeEEEZNS1_21radix_sort_block_sortIS4_Lb0EPKS6_PS6_PS7_SD_NS0_19identity_decomposerEEE10hipError_tT1_T2_T3_T4_jRjT5_jjP12ihipStream_tbEUlT_E_NS1_11comp_targetILNS1_3genE9ELNS1_11target_archE1100ELNS1_3gpuE3ELNS1_3repE0EEENS1_44radix_sort_block_sort_config_static_selectorELNS0_4arch9wavefront6targetE0EEEvSG_
	.p2align	8
	.type	_ZN7rocprim17ROCPRIM_400000_NS6detail17trampoline_kernelINS0_13kernel_configILj256ELj4ELj4294967295EEENS1_37radix_sort_block_sort_config_selectorI6__halfNS0_10empty_typeEEEZNS1_21radix_sort_block_sortIS4_Lb0EPKS6_PS6_PS7_SD_NS0_19identity_decomposerEEE10hipError_tT1_T2_T3_T4_jRjT5_jjP12ihipStream_tbEUlT_E_NS1_11comp_targetILNS1_3genE9ELNS1_11target_archE1100ELNS1_3gpuE3ELNS1_3repE0EEENS1_44radix_sort_block_sort_config_static_selectorELNS0_4arch9wavefront6targetE0EEEvSG_,@function
_ZN7rocprim17ROCPRIM_400000_NS6detail17trampoline_kernelINS0_13kernel_configILj256ELj4ELj4294967295EEENS1_37radix_sort_block_sort_config_selectorI6__halfNS0_10empty_typeEEEZNS1_21radix_sort_block_sortIS4_Lb0EPKS6_PS6_PS7_SD_NS0_19identity_decomposerEEE10hipError_tT1_T2_T3_T4_jRjT5_jjP12ihipStream_tbEUlT_E_NS1_11comp_targetILNS1_3genE9ELNS1_11target_archE1100ELNS1_3gpuE3ELNS1_3repE0EEENS1_44radix_sort_block_sort_config_static_selectorELNS0_4arch9wavefront6targetE0EEEvSG_: ; @_ZN7rocprim17ROCPRIM_400000_NS6detail17trampoline_kernelINS0_13kernel_configILj256ELj4ELj4294967295EEENS1_37radix_sort_block_sort_config_selectorI6__halfNS0_10empty_typeEEEZNS1_21radix_sort_block_sortIS4_Lb0EPKS6_PS6_PS7_SD_NS0_19identity_decomposerEEE10hipError_tT1_T2_T3_T4_jRjT5_jjP12ihipStream_tbEUlT_E_NS1_11comp_targetILNS1_3genE9ELNS1_11target_archE1100ELNS1_3gpuE3ELNS1_3repE0EEENS1_44radix_sort_block_sort_config_static_selectorELNS0_4arch9wavefront6targetE0EEEvSG_
; %bb.0:
	.section	.rodata,"a",@progbits
	.p2align	6, 0x0
	.amdhsa_kernel _ZN7rocprim17ROCPRIM_400000_NS6detail17trampoline_kernelINS0_13kernel_configILj256ELj4ELj4294967295EEENS1_37radix_sort_block_sort_config_selectorI6__halfNS0_10empty_typeEEEZNS1_21radix_sort_block_sortIS4_Lb0EPKS6_PS6_PS7_SD_NS0_19identity_decomposerEEE10hipError_tT1_T2_T3_T4_jRjT5_jjP12ihipStream_tbEUlT_E_NS1_11comp_targetILNS1_3genE9ELNS1_11target_archE1100ELNS1_3gpuE3ELNS1_3repE0EEENS1_44radix_sort_block_sort_config_static_selectorELNS0_4arch9wavefront6targetE0EEEvSG_
		.amdhsa_group_segment_fixed_size 0
		.amdhsa_private_segment_fixed_size 0
		.amdhsa_kernarg_size 48
		.amdhsa_user_sgpr_count 2
		.amdhsa_user_sgpr_dispatch_ptr 0
		.amdhsa_user_sgpr_queue_ptr 0
		.amdhsa_user_sgpr_kernarg_segment_ptr 1
		.amdhsa_user_sgpr_dispatch_id 0
		.amdhsa_user_sgpr_kernarg_preload_length 0
		.amdhsa_user_sgpr_kernarg_preload_offset 0
		.amdhsa_user_sgpr_private_segment_size 0
		.amdhsa_wavefront_size32 1
		.amdhsa_uses_dynamic_stack 0
		.amdhsa_enable_private_segment 0
		.amdhsa_system_sgpr_workgroup_id_x 1
		.amdhsa_system_sgpr_workgroup_id_y 0
		.amdhsa_system_sgpr_workgroup_id_z 0
		.amdhsa_system_sgpr_workgroup_info 0
		.amdhsa_system_vgpr_workitem_id 0
		.amdhsa_next_free_vgpr 1
		.amdhsa_next_free_sgpr 1
		.amdhsa_named_barrier_count 0
		.amdhsa_reserve_vcc 0
		.amdhsa_float_round_mode_32 0
		.amdhsa_float_round_mode_16_64 0
		.amdhsa_float_denorm_mode_32 3
		.amdhsa_float_denorm_mode_16_64 3
		.amdhsa_fp16_overflow 0
		.amdhsa_memory_ordered 1
		.amdhsa_forward_progress 1
		.amdhsa_inst_pref_size 0
		.amdhsa_round_robin_scheduling 0
		.amdhsa_exception_fp_ieee_invalid_op 0
		.amdhsa_exception_fp_denorm_src 0
		.amdhsa_exception_fp_ieee_div_zero 0
		.amdhsa_exception_fp_ieee_overflow 0
		.amdhsa_exception_fp_ieee_underflow 0
		.amdhsa_exception_fp_ieee_inexact 0
		.amdhsa_exception_int_div_zero 0
	.end_amdhsa_kernel
	.section	.text._ZN7rocprim17ROCPRIM_400000_NS6detail17trampoline_kernelINS0_13kernel_configILj256ELj4ELj4294967295EEENS1_37radix_sort_block_sort_config_selectorI6__halfNS0_10empty_typeEEEZNS1_21radix_sort_block_sortIS4_Lb0EPKS6_PS6_PS7_SD_NS0_19identity_decomposerEEE10hipError_tT1_T2_T3_T4_jRjT5_jjP12ihipStream_tbEUlT_E_NS1_11comp_targetILNS1_3genE9ELNS1_11target_archE1100ELNS1_3gpuE3ELNS1_3repE0EEENS1_44radix_sort_block_sort_config_static_selectorELNS0_4arch9wavefront6targetE0EEEvSG_,"axG",@progbits,_ZN7rocprim17ROCPRIM_400000_NS6detail17trampoline_kernelINS0_13kernel_configILj256ELj4ELj4294967295EEENS1_37radix_sort_block_sort_config_selectorI6__halfNS0_10empty_typeEEEZNS1_21radix_sort_block_sortIS4_Lb0EPKS6_PS6_PS7_SD_NS0_19identity_decomposerEEE10hipError_tT1_T2_T3_T4_jRjT5_jjP12ihipStream_tbEUlT_E_NS1_11comp_targetILNS1_3genE9ELNS1_11target_archE1100ELNS1_3gpuE3ELNS1_3repE0EEENS1_44radix_sort_block_sort_config_static_selectorELNS0_4arch9wavefront6targetE0EEEvSG_,comdat
.Lfunc_end2206:
	.size	_ZN7rocprim17ROCPRIM_400000_NS6detail17trampoline_kernelINS0_13kernel_configILj256ELj4ELj4294967295EEENS1_37radix_sort_block_sort_config_selectorI6__halfNS0_10empty_typeEEEZNS1_21radix_sort_block_sortIS4_Lb0EPKS6_PS6_PS7_SD_NS0_19identity_decomposerEEE10hipError_tT1_T2_T3_T4_jRjT5_jjP12ihipStream_tbEUlT_E_NS1_11comp_targetILNS1_3genE9ELNS1_11target_archE1100ELNS1_3gpuE3ELNS1_3repE0EEENS1_44radix_sort_block_sort_config_static_selectorELNS0_4arch9wavefront6targetE0EEEvSG_, .Lfunc_end2206-_ZN7rocprim17ROCPRIM_400000_NS6detail17trampoline_kernelINS0_13kernel_configILj256ELj4ELj4294967295EEENS1_37radix_sort_block_sort_config_selectorI6__halfNS0_10empty_typeEEEZNS1_21radix_sort_block_sortIS4_Lb0EPKS6_PS6_PS7_SD_NS0_19identity_decomposerEEE10hipError_tT1_T2_T3_T4_jRjT5_jjP12ihipStream_tbEUlT_E_NS1_11comp_targetILNS1_3genE9ELNS1_11target_archE1100ELNS1_3gpuE3ELNS1_3repE0EEENS1_44radix_sort_block_sort_config_static_selectorELNS0_4arch9wavefront6targetE0EEEvSG_
                                        ; -- End function
	.set _ZN7rocprim17ROCPRIM_400000_NS6detail17trampoline_kernelINS0_13kernel_configILj256ELj4ELj4294967295EEENS1_37radix_sort_block_sort_config_selectorI6__halfNS0_10empty_typeEEEZNS1_21radix_sort_block_sortIS4_Lb0EPKS6_PS6_PS7_SD_NS0_19identity_decomposerEEE10hipError_tT1_T2_T3_T4_jRjT5_jjP12ihipStream_tbEUlT_E_NS1_11comp_targetILNS1_3genE9ELNS1_11target_archE1100ELNS1_3gpuE3ELNS1_3repE0EEENS1_44radix_sort_block_sort_config_static_selectorELNS0_4arch9wavefront6targetE0EEEvSG_.num_vgpr, 0
	.set _ZN7rocprim17ROCPRIM_400000_NS6detail17trampoline_kernelINS0_13kernel_configILj256ELj4ELj4294967295EEENS1_37radix_sort_block_sort_config_selectorI6__halfNS0_10empty_typeEEEZNS1_21radix_sort_block_sortIS4_Lb0EPKS6_PS6_PS7_SD_NS0_19identity_decomposerEEE10hipError_tT1_T2_T3_T4_jRjT5_jjP12ihipStream_tbEUlT_E_NS1_11comp_targetILNS1_3genE9ELNS1_11target_archE1100ELNS1_3gpuE3ELNS1_3repE0EEENS1_44radix_sort_block_sort_config_static_selectorELNS0_4arch9wavefront6targetE0EEEvSG_.num_agpr, 0
	.set _ZN7rocprim17ROCPRIM_400000_NS6detail17trampoline_kernelINS0_13kernel_configILj256ELj4ELj4294967295EEENS1_37radix_sort_block_sort_config_selectorI6__halfNS0_10empty_typeEEEZNS1_21radix_sort_block_sortIS4_Lb0EPKS6_PS6_PS7_SD_NS0_19identity_decomposerEEE10hipError_tT1_T2_T3_T4_jRjT5_jjP12ihipStream_tbEUlT_E_NS1_11comp_targetILNS1_3genE9ELNS1_11target_archE1100ELNS1_3gpuE3ELNS1_3repE0EEENS1_44radix_sort_block_sort_config_static_selectorELNS0_4arch9wavefront6targetE0EEEvSG_.numbered_sgpr, 0
	.set _ZN7rocprim17ROCPRIM_400000_NS6detail17trampoline_kernelINS0_13kernel_configILj256ELj4ELj4294967295EEENS1_37radix_sort_block_sort_config_selectorI6__halfNS0_10empty_typeEEEZNS1_21radix_sort_block_sortIS4_Lb0EPKS6_PS6_PS7_SD_NS0_19identity_decomposerEEE10hipError_tT1_T2_T3_T4_jRjT5_jjP12ihipStream_tbEUlT_E_NS1_11comp_targetILNS1_3genE9ELNS1_11target_archE1100ELNS1_3gpuE3ELNS1_3repE0EEENS1_44radix_sort_block_sort_config_static_selectorELNS0_4arch9wavefront6targetE0EEEvSG_.num_named_barrier, 0
	.set _ZN7rocprim17ROCPRIM_400000_NS6detail17trampoline_kernelINS0_13kernel_configILj256ELj4ELj4294967295EEENS1_37radix_sort_block_sort_config_selectorI6__halfNS0_10empty_typeEEEZNS1_21radix_sort_block_sortIS4_Lb0EPKS6_PS6_PS7_SD_NS0_19identity_decomposerEEE10hipError_tT1_T2_T3_T4_jRjT5_jjP12ihipStream_tbEUlT_E_NS1_11comp_targetILNS1_3genE9ELNS1_11target_archE1100ELNS1_3gpuE3ELNS1_3repE0EEENS1_44radix_sort_block_sort_config_static_selectorELNS0_4arch9wavefront6targetE0EEEvSG_.private_seg_size, 0
	.set _ZN7rocprim17ROCPRIM_400000_NS6detail17trampoline_kernelINS0_13kernel_configILj256ELj4ELj4294967295EEENS1_37radix_sort_block_sort_config_selectorI6__halfNS0_10empty_typeEEEZNS1_21radix_sort_block_sortIS4_Lb0EPKS6_PS6_PS7_SD_NS0_19identity_decomposerEEE10hipError_tT1_T2_T3_T4_jRjT5_jjP12ihipStream_tbEUlT_E_NS1_11comp_targetILNS1_3genE9ELNS1_11target_archE1100ELNS1_3gpuE3ELNS1_3repE0EEENS1_44radix_sort_block_sort_config_static_selectorELNS0_4arch9wavefront6targetE0EEEvSG_.uses_vcc, 0
	.set _ZN7rocprim17ROCPRIM_400000_NS6detail17trampoline_kernelINS0_13kernel_configILj256ELj4ELj4294967295EEENS1_37radix_sort_block_sort_config_selectorI6__halfNS0_10empty_typeEEEZNS1_21radix_sort_block_sortIS4_Lb0EPKS6_PS6_PS7_SD_NS0_19identity_decomposerEEE10hipError_tT1_T2_T3_T4_jRjT5_jjP12ihipStream_tbEUlT_E_NS1_11comp_targetILNS1_3genE9ELNS1_11target_archE1100ELNS1_3gpuE3ELNS1_3repE0EEENS1_44radix_sort_block_sort_config_static_selectorELNS0_4arch9wavefront6targetE0EEEvSG_.uses_flat_scratch, 0
	.set _ZN7rocprim17ROCPRIM_400000_NS6detail17trampoline_kernelINS0_13kernel_configILj256ELj4ELj4294967295EEENS1_37radix_sort_block_sort_config_selectorI6__halfNS0_10empty_typeEEEZNS1_21radix_sort_block_sortIS4_Lb0EPKS6_PS6_PS7_SD_NS0_19identity_decomposerEEE10hipError_tT1_T2_T3_T4_jRjT5_jjP12ihipStream_tbEUlT_E_NS1_11comp_targetILNS1_3genE9ELNS1_11target_archE1100ELNS1_3gpuE3ELNS1_3repE0EEENS1_44radix_sort_block_sort_config_static_selectorELNS0_4arch9wavefront6targetE0EEEvSG_.has_dyn_sized_stack, 0
	.set _ZN7rocprim17ROCPRIM_400000_NS6detail17trampoline_kernelINS0_13kernel_configILj256ELj4ELj4294967295EEENS1_37radix_sort_block_sort_config_selectorI6__halfNS0_10empty_typeEEEZNS1_21radix_sort_block_sortIS4_Lb0EPKS6_PS6_PS7_SD_NS0_19identity_decomposerEEE10hipError_tT1_T2_T3_T4_jRjT5_jjP12ihipStream_tbEUlT_E_NS1_11comp_targetILNS1_3genE9ELNS1_11target_archE1100ELNS1_3gpuE3ELNS1_3repE0EEENS1_44radix_sort_block_sort_config_static_selectorELNS0_4arch9wavefront6targetE0EEEvSG_.has_recursion, 0
	.set _ZN7rocprim17ROCPRIM_400000_NS6detail17trampoline_kernelINS0_13kernel_configILj256ELj4ELj4294967295EEENS1_37radix_sort_block_sort_config_selectorI6__halfNS0_10empty_typeEEEZNS1_21radix_sort_block_sortIS4_Lb0EPKS6_PS6_PS7_SD_NS0_19identity_decomposerEEE10hipError_tT1_T2_T3_T4_jRjT5_jjP12ihipStream_tbEUlT_E_NS1_11comp_targetILNS1_3genE9ELNS1_11target_archE1100ELNS1_3gpuE3ELNS1_3repE0EEENS1_44radix_sort_block_sort_config_static_selectorELNS0_4arch9wavefront6targetE0EEEvSG_.has_indirect_call, 0
	.section	.AMDGPU.csdata,"",@progbits
; Kernel info:
; codeLenInByte = 0
; TotalNumSgprs: 0
; NumVgprs: 0
; ScratchSize: 0
; MemoryBound: 0
; FloatMode: 240
; IeeeMode: 1
; LDSByteSize: 0 bytes/workgroup (compile time only)
; SGPRBlocks: 0
; VGPRBlocks: 0
; NumSGPRsForWavesPerEU: 1
; NumVGPRsForWavesPerEU: 1
; NamedBarCnt: 0
; Occupancy: 16
; WaveLimiterHint : 0
; COMPUTE_PGM_RSRC2:SCRATCH_EN: 0
; COMPUTE_PGM_RSRC2:USER_SGPR: 2
; COMPUTE_PGM_RSRC2:TRAP_HANDLER: 0
; COMPUTE_PGM_RSRC2:TGID_X_EN: 1
; COMPUTE_PGM_RSRC2:TGID_Y_EN: 0
; COMPUTE_PGM_RSRC2:TGID_Z_EN: 0
; COMPUTE_PGM_RSRC2:TIDIG_COMP_CNT: 0
	.section	.text._ZN7rocprim17ROCPRIM_400000_NS6detail17trampoline_kernelINS0_13kernel_configILj256ELj4ELj4294967295EEENS1_37radix_sort_block_sort_config_selectorI6__halfNS0_10empty_typeEEEZNS1_21radix_sort_block_sortIS4_Lb0EPKS6_PS6_PS7_SD_NS0_19identity_decomposerEEE10hipError_tT1_T2_T3_T4_jRjT5_jjP12ihipStream_tbEUlT_E_NS1_11comp_targetILNS1_3genE8ELNS1_11target_archE1030ELNS1_3gpuE2ELNS1_3repE0EEENS1_44radix_sort_block_sort_config_static_selectorELNS0_4arch9wavefront6targetE0EEEvSG_,"axG",@progbits,_ZN7rocprim17ROCPRIM_400000_NS6detail17trampoline_kernelINS0_13kernel_configILj256ELj4ELj4294967295EEENS1_37radix_sort_block_sort_config_selectorI6__halfNS0_10empty_typeEEEZNS1_21radix_sort_block_sortIS4_Lb0EPKS6_PS6_PS7_SD_NS0_19identity_decomposerEEE10hipError_tT1_T2_T3_T4_jRjT5_jjP12ihipStream_tbEUlT_E_NS1_11comp_targetILNS1_3genE8ELNS1_11target_archE1030ELNS1_3gpuE2ELNS1_3repE0EEENS1_44radix_sort_block_sort_config_static_selectorELNS0_4arch9wavefront6targetE0EEEvSG_,comdat
	.protected	_ZN7rocprim17ROCPRIM_400000_NS6detail17trampoline_kernelINS0_13kernel_configILj256ELj4ELj4294967295EEENS1_37radix_sort_block_sort_config_selectorI6__halfNS0_10empty_typeEEEZNS1_21radix_sort_block_sortIS4_Lb0EPKS6_PS6_PS7_SD_NS0_19identity_decomposerEEE10hipError_tT1_T2_T3_T4_jRjT5_jjP12ihipStream_tbEUlT_E_NS1_11comp_targetILNS1_3genE8ELNS1_11target_archE1030ELNS1_3gpuE2ELNS1_3repE0EEENS1_44radix_sort_block_sort_config_static_selectorELNS0_4arch9wavefront6targetE0EEEvSG_ ; -- Begin function _ZN7rocprim17ROCPRIM_400000_NS6detail17trampoline_kernelINS0_13kernel_configILj256ELj4ELj4294967295EEENS1_37radix_sort_block_sort_config_selectorI6__halfNS0_10empty_typeEEEZNS1_21radix_sort_block_sortIS4_Lb0EPKS6_PS6_PS7_SD_NS0_19identity_decomposerEEE10hipError_tT1_T2_T3_T4_jRjT5_jjP12ihipStream_tbEUlT_E_NS1_11comp_targetILNS1_3genE8ELNS1_11target_archE1030ELNS1_3gpuE2ELNS1_3repE0EEENS1_44radix_sort_block_sort_config_static_selectorELNS0_4arch9wavefront6targetE0EEEvSG_
	.globl	_ZN7rocprim17ROCPRIM_400000_NS6detail17trampoline_kernelINS0_13kernel_configILj256ELj4ELj4294967295EEENS1_37radix_sort_block_sort_config_selectorI6__halfNS0_10empty_typeEEEZNS1_21radix_sort_block_sortIS4_Lb0EPKS6_PS6_PS7_SD_NS0_19identity_decomposerEEE10hipError_tT1_T2_T3_T4_jRjT5_jjP12ihipStream_tbEUlT_E_NS1_11comp_targetILNS1_3genE8ELNS1_11target_archE1030ELNS1_3gpuE2ELNS1_3repE0EEENS1_44radix_sort_block_sort_config_static_selectorELNS0_4arch9wavefront6targetE0EEEvSG_
	.p2align	8
	.type	_ZN7rocprim17ROCPRIM_400000_NS6detail17trampoline_kernelINS0_13kernel_configILj256ELj4ELj4294967295EEENS1_37radix_sort_block_sort_config_selectorI6__halfNS0_10empty_typeEEEZNS1_21radix_sort_block_sortIS4_Lb0EPKS6_PS6_PS7_SD_NS0_19identity_decomposerEEE10hipError_tT1_T2_T3_T4_jRjT5_jjP12ihipStream_tbEUlT_E_NS1_11comp_targetILNS1_3genE8ELNS1_11target_archE1030ELNS1_3gpuE2ELNS1_3repE0EEENS1_44radix_sort_block_sort_config_static_selectorELNS0_4arch9wavefront6targetE0EEEvSG_,@function
_ZN7rocprim17ROCPRIM_400000_NS6detail17trampoline_kernelINS0_13kernel_configILj256ELj4ELj4294967295EEENS1_37radix_sort_block_sort_config_selectorI6__halfNS0_10empty_typeEEEZNS1_21radix_sort_block_sortIS4_Lb0EPKS6_PS6_PS7_SD_NS0_19identity_decomposerEEE10hipError_tT1_T2_T3_T4_jRjT5_jjP12ihipStream_tbEUlT_E_NS1_11comp_targetILNS1_3genE8ELNS1_11target_archE1030ELNS1_3gpuE2ELNS1_3repE0EEENS1_44radix_sort_block_sort_config_static_selectorELNS0_4arch9wavefront6targetE0EEEvSG_: ; @_ZN7rocprim17ROCPRIM_400000_NS6detail17trampoline_kernelINS0_13kernel_configILj256ELj4ELj4294967295EEENS1_37radix_sort_block_sort_config_selectorI6__halfNS0_10empty_typeEEEZNS1_21radix_sort_block_sortIS4_Lb0EPKS6_PS6_PS7_SD_NS0_19identity_decomposerEEE10hipError_tT1_T2_T3_T4_jRjT5_jjP12ihipStream_tbEUlT_E_NS1_11comp_targetILNS1_3genE8ELNS1_11target_archE1030ELNS1_3gpuE2ELNS1_3repE0EEENS1_44radix_sort_block_sort_config_static_selectorELNS0_4arch9wavefront6targetE0EEEvSG_
; %bb.0:
	.section	.rodata,"a",@progbits
	.p2align	6, 0x0
	.amdhsa_kernel _ZN7rocprim17ROCPRIM_400000_NS6detail17trampoline_kernelINS0_13kernel_configILj256ELj4ELj4294967295EEENS1_37radix_sort_block_sort_config_selectorI6__halfNS0_10empty_typeEEEZNS1_21radix_sort_block_sortIS4_Lb0EPKS6_PS6_PS7_SD_NS0_19identity_decomposerEEE10hipError_tT1_T2_T3_T4_jRjT5_jjP12ihipStream_tbEUlT_E_NS1_11comp_targetILNS1_3genE8ELNS1_11target_archE1030ELNS1_3gpuE2ELNS1_3repE0EEENS1_44radix_sort_block_sort_config_static_selectorELNS0_4arch9wavefront6targetE0EEEvSG_
		.amdhsa_group_segment_fixed_size 0
		.amdhsa_private_segment_fixed_size 0
		.amdhsa_kernarg_size 48
		.amdhsa_user_sgpr_count 2
		.amdhsa_user_sgpr_dispatch_ptr 0
		.amdhsa_user_sgpr_queue_ptr 0
		.amdhsa_user_sgpr_kernarg_segment_ptr 1
		.amdhsa_user_sgpr_dispatch_id 0
		.amdhsa_user_sgpr_kernarg_preload_length 0
		.amdhsa_user_sgpr_kernarg_preload_offset 0
		.amdhsa_user_sgpr_private_segment_size 0
		.amdhsa_wavefront_size32 1
		.amdhsa_uses_dynamic_stack 0
		.amdhsa_enable_private_segment 0
		.amdhsa_system_sgpr_workgroup_id_x 1
		.amdhsa_system_sgpr_workgroup_id_y 0
		.amdhsa_system_sgpr_workgroup_id_z 0
		.amdhsa_system_sgpr_workgroup_info 0
		.amdhsa_system_vgpr_workitem_id 0
		.amdhsa_next_free_vgpr 1
		.amdhsa_next_free_sgpr 1
		.amdhsa_named_barrier_count 0
		.amdhsa_reserve_vcc 0
		.amdhsa_float_round_mode_32 0
		.amdhsa_float_round_mode_16_64 0
		.amdhsa_float_denorm_mode_32 3
		.amdhsa_float_denorm_mode_16_64 3
		.amdhsa_fp16_overflow 0
		.amdhsa_memory_ordered 1
		.amdhsa_forward_progress 1
		.amdhsa_inst_pref_size 0
		.amdhsa_round_robin_scheduling 0
		.amdhsa_exception_fp_ieee_invalid_op 0
		.amdhsa_exception_fp_denorm_src 0
		.amdhsa_exception_fp_ieee_div_zero 0
		.amdhsa_exception_fp_ieee_overflow 0
		.amdhsa_exception_fp_ieee_underflow 0
		.amdhsa_exception_fp_ieee_inexact 0
		.amdhsa_exception_int_div_zero 0
	.end_amdhsa_kernel
	.section	.text._ZN7rocprim17ROCPRIM_400000_NS6detail17trampoline_kernelINS0_13kernel_configILj256ELj4ELj4294967295EEENS1_37radix_sort_block_sort_config_selectorI6__halfNS0_10empty_typeEEEZNS1_21radix_sort_block_sortIS4_Lb0EPKS6_PS6_PS7_SD_NS0_19identity_decomposerEEE10hipError_tT1_T2_T3_T4_jRjT5_jjP12ihipStream_tbEUlT_E_NS1_11comp_targetILNS1_3genE8ELNS1_11target_archE1030ELNS1_3gpuE2ELNS1_3repE0EEENS1_44radix_sort_block_sort_config_static_selectorELNS0_4arch9wavefront6targetE0EEEvSG_,"axG",@progbits,_ZN7rocprim17ROCPRIM_400000_NS6detail17trampoline_kernelINS0_13kernel_configILj256ELj4ELj4294967295EEENS1_37radix_sort_block_sort_config_selectorI6__halfNS0_10empty_typeEEEZNS1_21radix_sort_block_sortIS4_Lb0EPKS6_PS6_PS7_SD_NS0_19identity_decomposerEEE10hipError_tT1_T2_T3_T4_jRjT5_jjP12ihipStream_tbEUlT_E_NS1_11comp_targetILNS1_3genE8ELNS1_11target_archE1030ELNS1_3gpuE2ELNS1_3repE0EEENS1_44radix_sort_block_sort_config_static_selectorELNS0_4arch9wavefront6targetE0EEEvSG_,comdat
.Lfunc_end2207:
	.size	_ZN7rocprim17ROCPRIM_400000_NS6detail17trampoline_kernelINS0_13kernel_configILj256ELj4ELj4294967295EEENS1_37radix_sort_block_sort_config_selectorI6__halfNS0_10empty_typeEEEZNS1_21radix_sort_block_sortIS4_Lb0EPKS6_PS6_PS7_SD_NS0_19identity_decomposerEEE10hipError_tT1_T2_T3_T4_jRjT5_jjP12ihipStream_tbEUlT_E_NS1_11comp_targetILNS1_3genE8ELNS1_11target_archE1030ELNS1_3gpuE2ELNS1_3repE0EEENS1_44radix_sort_block_sort_config_static_selectorELNS0_4arch9wavefront6targetE0EEEvSG_, .Lfunc_end2207-_ZN7rocprim17ROCPRIM_400000_NS6detail17trampoline_kernelINS0_13kernel_configILj256ELj4ELj4294967295EEENS1_37radix_sort_block_sort_config_selectorI6__halfNS0_10empty_typeEEEZNS1_21radix_sort_block_sortIS4_Lb0EPKS6_PS6_PS7_SD_NS0_19identity_decomposerEEE10hipError_tT1_T2_T3_T4_jRjT5_jjP12ihipStream_tbEUlT_E_NS1_11comp_targetILNS1_3genE8ELNS1_11target_archE1030ELNS1_3gpuE2ELNS1_3repE0EEENS1_44radix_sort_block_sort_config_static_selectorELNS0_4arch9wavefront6targetE0EEEvSG_
                                        ; -- End function
	.set _ZN7rocprim17ROCPRIM_400000_NS6detail17trampoline_kernelINS0_13kernel_configILj256ELj4ELj4294967295EEENS1_37radix_sort_block_sort_config_selectorI6__halfNS0_10empty_typeEEEZNS1_21radix_sort_block_sortIS4_Lb0EPKS6_PS6_PS7_SD_NS0_19identity_decomposerEEE10hipError_tT1_T2_T3_T4_jRjT5_jjP12ihipStream_tbEUlT_E_NS1_11comp_targetILNS1_3genE8ELNS1_11target_archE1030ELNS1_3gpuE2ELNS1_3repE0EEENS1_44radix_sort_block_sort_config_static_selectorELNS0_4arch9wavefront6targetE0EEEvSG_.num_vgpr, 0
	.set _ZN7rocprim17ROCPRIM_400000_NS6detail17trampoline_kernelINS0_13kernel_configILj256ELj4ELj4294967295EEENS1_37radix_sort_block_sort_config_selectorI6__halfNS0_10empty_typeEEEZNS1_21radix_sort_block_sortIS4_Lb0EPKS6_PS6_PS7_SD_NS0_19identity_decomposerEEE10hipError_tT1_T2_T3_T4_jRjT5_jjP12ihipStream_tbEUlT_E_NS1_11comp_targetILNS1_3genE8ELNS1_11target_archE1030ELNS1_3gpuE2ELNS1_3repE0EEENS1_44radix_sort_block_sort_config_static_selectorELNS0_4arch9wavefront6targetE0EEEvSG_.num_agpr, 0
	.set _ZN7rocprim17ROCPRIM_400000_NS6detail17trampoline_kernelINS0_13kernel_configILj256ELj4ELj4294967295EEENS1_37radix_sort_block_sort_config_selectorI6__halfNS0_10empty_typeEEEZNS1_21radix_sort_block_sortIS4_Lb0EPKS6_PS6_PS7_SD_NS0_19identity_decomposerEEE10hipError_tT1_T2_T3_T4_jRjT5_jjP12ihipStream_tbEUlT_E_NS1_11comp_targetILNS1_3genE8ELNS1_11target_archE1030ELNS1_3gpuE2ELNS1_3repE0EEENS1_44radix_sort_block_sort_config_static_selectorELNS0_4arch9wavefront6targetE0EEEvSG_.numbered_sgpr, 0
	.set _ZN7rocprim17ROCPRIM_400000_NS6detail17trampoline_kernelINS0_13kernel_configILj256ELj4ELj4294967295EEENS1_37radix_sort_block_sort_config_selectorI6__halfNS0_10empty_typeEEEZNS1_21radix_sort_block_sortIS4_Lb0EPKS6_PS6_PS7_SD_NS0_19identity_decomposerEEE10hipError_tT1_T2_T3_T4_jRjT5_jjP12ihipStream_tbEUlT_E_NS1_11comp_targetILNS1_3genE8ELNS1_11target_archE1030ELNS1_3gpuE2ELNS1_3repE0EEENS1_44radix_sort_block_sort_config_static_selectorELNS0_4arch9wavefront6targetE0EEEvSG_.num_named_barrier, 0
	.set _ZN7rocprim17ROCPRIM_400000_NS6detail17trampoline_kernelINS0_13kernel_configILj256ELj4ELj4294967295EEENS1_37radix_sort_block_sort_config_selectorI6__halfNS0_10empty_typeEEEZNS1_21radix_sort_block_sortIS4_Lb0EPKS6_PS6_PS7_SD_NS0_19identity_decomposerEEE10hipError_tT1_T2_T3_T4_jRjT5_jjP12ihipStream_tbEUlT_E_NS1_11comp_targetILNS1_3genE8ELNS1_11target_archE1030ELNS1_3gpuE2ELNS1_3repE0EEENS1_44radix_sort_block_sort_config_static_selectorELNS0_4arch9wavefront6targetE0EEEvSG_.private_seg_size, 0
	.set _ZN7rocprim17ROCPRIM_400000_NS6detail17trampoline_kernelINS0_13kernel_configILj256ELj4ELj4294967295EEENS1_37radix_sort_block_sort_config_selectorI6__halfNS0_10empty_typeEEEZNS1_21radix_sort_block_sortIS4_Lb0EPKS6_PS6_PS7_SD_NS0_19identity_decomposerEEE10hipError_tT1_T2_T3_T4_jRjT5_jjP12ihipStream_tbEUlT_E_NS1_11comp_targetILNS1_3genE8ELNS1_11target_archE1030ELNS1_3gpuE2ELNS1_3repE0EEENS1_44radix_sort_block_sort_config_static_selectorELNS0_4arch9wavefront6targetE0EEEvSG_.uses_vcc, 0
	.set _ZN7rocprim17ROCPRIM_400000_NS6detail17trampoline_kernelINS0_13kernel_configILj256ELj4ELj4294967295EEENS1_37radix_sort_block_sort_config_selectorI6__halfNS0_10empty_typeEEEZNS1_21radix_sort_block_sortIS4_Lb0EPKS6_PS6_PS7_SD_NS0_19identity_decomposerEEE10hipError_tT1_T2_T3_T4_jRjT5_jjP12ihipStream_tbEUlT_E_NS1_11comp_targetILNS1_3genE8ELNS1_11target_archE1030ELNS1_3gpuE2ELNS1_3repE0EEENS1_44radix_sort_block_sort_config_static_selectorELNS0_4arch9wavefront6targetE0EEEvSG_.uses_flat_scratch, 0
	.set _ZN7rocprim17ROCPRIM_400000_NS6detail17trampoline_kernelINS0_13kernel_configILj256ELj4ELj4294967295EEENS1_37radix_sort_block_sort_config_selectorI6__halfNS0_10empty_typeEEEZNS1_21radix_sort_block_sortIS4_Lb0EPKS6_PS6_PS7_SD_NS0_19identity_decomposerEEE10hipError_tT1_T2_T3_T4_jRjT5_jjP12ihipStream_tbEUlT_E_NS1_11comp_targetILNS1_3genE8ELNS1_11target_archE1030ELNS1_3gpuE2ELNS1_3repE0EEENS1_44radix_sort_block_sort_config_static_selectorELNS0_4arch9wavefront6targetE0EEEvSG_.has_dyn_sized_stack, 0
	.set _ZN7rocprim17ROCPRIM_400000_NS6detail17trampoline_kernelINS0_13kernel_configILj256ELj4ELj4294967295EEENS1_37radix_sort_block_sort_config_selectorI6__halfNS0_10empty_typeEEEZNS1_21radix_sort_block_sortIS4_Lb0EPKS6_PS6_PS7_SD_NS0_19identity_decomposerEEE10hipError_tT1_T2_T3_T4_jRjT5_jjP12ihipStream_tbEUlT_E_NS1_11comp_targetILNS1_3genE8ELNS1_11target_archE1030ELNS1_3gpuE2ELNS1_3repE0EEENS1_44radix_sort_block_sort_config_static_selectorELNS0_4arch9wavefront6targetE0EEEvSG_.has_recursion, 0
	.set _ZN7rocprim17ROCPRIM_400000_NS6detail17trampoline_kernelINS0_13kernel_configILj256ELj4ELj4294967295EEENS1_37radix_sort_block_sort_config_selectorI6__halfNS0_10empty_typeEEEZNS1_21radix_sort_block_sortIS4_Lb0EPKS6_PS6_PS7_SD_NS0_19identity_decomposerEEE10hipError_tT1_T2_T3_T4_jRjT5_jjP12ihipStream_tbEUlT_E_NS1_11comp_targetILNS1_3genE8ELNS1_11target_archE1030ELNS1_3gpuE2ELNS1_3repE0EEENS1_44radix_sort_block_sort_config_static_selectorELNS0_4arch9wavefront6targetE0EEEvSG_.has_indirect_call, 0
	.section	.AMDGPU.csdata,"",@progbits
; Kernel info:
; codeLenInByte = 0
; TotalNumSgprs: 0
; NumVgprs: 0
; ScratchSize: 0
; MemoryBound: 0
; FloatMode: 240
; IeeeMode: 1
; LDSByteSize: 0 bytes/workgroup (compile time only)
; SGPRBlocks: 0
; VGPRBlocks: 0
; NumSGPRsForWavesPerEU: 1
; NumVGPRsForWavesPerEU: 1
; NamedBarCnt: 0
; Occupancy: 16
; WaveLimiterHint : 0
; COMPUTE_PGM_RSRC2:SCRATCH_EN: 0
; COMPUTE_PGM_RSRC2:USER_SGPR: 2
; COMPUTE_PGM_RSRC2:TRAP_HANDLER: 0
; COMPUTE_PGM_RSRC2:TGID_X_EN: 1
; COMPUTE_PGM_RSRC2:TGID_Y_EN: 0
; COMPUTE_PGM_RSRC2:TGID_Z_EN: 0
; COMPUTE_PGM_RSRC2:TIDIG_COMP_CNT: 0
	.section	.text._ZN7rocprim17ROCPRIM_400000_NS6detail17trampoline_kernelINS0_14default_configENS1_38merge_sort_block_merge_config_selectorI6__halfNS0_10empty_typeEEEZZNS1_27merge_sort_block_merge_implIS3_PS5_PS6_jNS1_19radix_merge_compareILb0ELb0ES5_NS0_19identity_decomposerEEEEE10hipError_tT0_T1_T2_jT3_P12ihipStream_tbPNSt15iterator_traitsISF_E10value_typeEPNSL_ISG_E10value_typeEPSH_NS1_7vsmem_tEENKUlT_SF_SG_SH_E_clIS9_S9_SA_SA_EESE_SU_SF_SG_SH_EUlSU_E_NS1_11comp_targetILNS1_3genE0ELNS1_11target_archE4294967295ELNS1_3gpuE0ELNS1_3repE0EEENS1_48merge_mergepath_partition_config_static_selectorELNS0_4arch9wavefront6targetE0EEEvSG_,"axG",@progbits,_ZN7rocprim17ROCPRIM_400000_NS6detail17trampoline_kernelINS0_14default_configENS1_38merge_sort_block_merge_config_selectorI6__halfNS0_10empty_typeEEEZZNS1_27merge_sort_block_merge_implIS3_PS5_PS6_jNS1_19radix_merge_compareILb0ELb0ES5_NS0_19identity_decomposerEEEEE10hipError_tT0_T1_T2_jT3_P12ihipStream_tbPNSt15iterator_traitsISF_E10value_typeEPNSL_ISG_E10value_typeEPSH_NS1_7vsmem_tEENKUlT_SF_SG_SH_E_clIS9_S9_SA_SA_EESE_SU_SF_SG_SH_EUlSU_E_NS1_11comp_targetILNS1_3genE0ELNS1_11target_archE4294967295ELNS1_3gpuE0ELNS1_3repE0EEENS1_48merge_mergepath_partition_config_static_selectorELNS0_4arch9wavefront6targetE0EEEvSG_,comdat
	.protected	_ZN7rocprim17ROCPRIM_400000_NS6detail17trampoline_kernelINS0_14default_configENS1_38merge_sort_block_merge_config_selectorI6__halfNS0_10empty_typeEEEZZNS1_27merge_sort_block_merge_implIS3_PS5_PS6_jNS1_19radix_merge_compareILb0ELb0ES5_NS0_19identity_decomposerEEEEE10hipError_tT0_T1_T2_jT3_P12ihipStream_tbPNSt15iterator_traitsISF_E10value_typeEPNSL_ISG_E10value_typeEPSH_NS1_7vsmem_tEENKUlT_SF_SG_SH_E_clIS9_S9_SA_SA_EESE_SU_SF_SG_SH_EUlSU_E_NS1_11comp_targetILNS1_3genE0ELNS1_11target_archE4294967295ELNS1_3gpuE0ELNS1_3repE0EEENS1_48merge_mergepath_partition_config_static_selectorELNS0_4arch9wavefront6targetE0EEEvSG_ ; -- Begin function _ZN7rocprim17ROCPRIM_400000_NS6detail17trampoline_kernelINS0_14default_configENS1_38merge_sort_block_merge_config_selectorI6__halfNS0_10empty_typeEEEZZNS1_27merge_sort_block_merge_implIS3_PS5_PS6_jNS1_19radix_merge_compareILb0ELb0ES5_NS0_19identity_decomposerEEEEE10hipError_tT0_T1_T2_jT3_P12ihipStream_tbPNSt15iterator_traitsISF_E10value_typeEPNSL_ISG_E10value_typeEPSH_NS1_7vsmem_tEENKUlT_SF_SG_SH_E_clIS9_S9_SA_SA_EESE_SU_SF_SG_SH_EUlSU_E_NS1_11comp_targetILNS1_3genE0ELNS1_11target_archE4294967295ELNS1_3gpuE0ELNS1_3repE0EEENS1_48merge_mergepath_partition_config_static_selectorELNS0_4arch9wavefront6targetE0EEEvSG_
	.globl	_ZN7rocprim17ROCPRIM_400000_NS6detail17trampoline_kernelINS0_14default_configENS1_38merge_sort_block_merge_config_selectorI6__halfNS0_10empty_typeEEEZZNS1_27merge_sort_block_merge_implIS3_PS5_PS6_jNS1_19radix_merge_compareILb0ELb0ES5_NS0_19identity_decomposerEEEEE10hipError_tT0_T1_T2_jT3_P12ihipStream_tbPNSt15iterator_traitsISF_E10value_typeEPNSL_ISG_E10value_typeEPSH_NS1_7vsmem_tEENKUlT_SF_SG_SH_E_clIS9_S9_SA_SA_EESE_SU_SF_SG_SH_EUlSU_E_NS1_11comp_targetILNS1_3genE0ELNS1_11target_archE4294967295ELNS1_3gpuE0ELNS1_3repE0EEENS1_48merge_mergepath_partition_config_static_selectorELNS0_4arch9wavefront6targetE0EEEvSG_
	.p2align	8
	.type	_ZN7rocprim17ROCPRIM_400000_NS6detail17trampoline_kernelINS0_14default_configENS1_38merge_sort_block_merge_config_selectorI6__halfNS0_10empty_typeEEEZZNS1_27merge_sort_block_merge_implIS3_PS5_PS6_jNS1_19radix_merge_compareILb0ELb0ES5_NS0_19identity_decomposerEEEEE10hipError_tT0_T1_T2_jT3_P12ihipStream_tbPNSt15iterator_traitsISF_E10value_typeEPNSL_ISG_E10value_typeEPSH_NS1_7vsmem_tEENKUlT_SF_SG_SH_E_clIS9_S9_SA_SA_EESE_SU_SF_SG_SH_EUlSU_E_NS1_11comp_targetILNS1_3genE0ELNS1_11target_archE4294967295ELNS1_3gpuE0ELNS1_3repE0EEENS1_48merge_mergepath_partition_config_static_selectorELNS0_4arch9wavefront6targetE0EEEvSG_,@function
_ZN7rocprim17ROCPRIM_400000_NS6detail17trampoline_kernelINS0_14default_configENS1_38merge_sort_block_merge_config_selectorI6__halfNS0_10empty_typeEEEZZNS1_27merge_sort_block_merge_implIS3_PS5_PS6_jNS1_19radix_merge_compareILb0ELb0ES5_NS0_19identity_decomposerEEEEE10hipError_tT0_T1_T2_jT3_P12ihipStream_tbPNSt15iterator_traitsISF_E10value_typeEPNSL_ISG_E10value_typeEPSH_NS1_7vsmem_tEENKUlT_SF_SG_SH_E_clIS9_S9_SA_SA_EESE_SU_SF_SG_SH_EUlSU_E_NS1_11comp_targetILNS1_3genE0ELNS1_11target_archE4294967295ELNS1_3gpuE0ELNS1_3repE0EEENS1_48merge_mergepath_partition_config_static_selectorELNS0_4arch9wavefront6targetE0EEEvSG_: ; @_ZN7rocprim17ROCPRIM_400000_NS6detail17trampoline_kernelINS0_14default_configENS1_38merge_sort_block_merge_config_selectorI6__halfNS0_10empty_typeEEEZZNS1_27merge_sort_block_merge_implIS3_PS5_PS6_jNS1_19radix_merge_compareILb0ELb0ES5_NS0_19identity_decomposerEEEEE10hipError_tT0_T1_T2_jT3_P12ihipStream_tbPNSt15iterator_traitsISF_E10value_typeEPNSL_ISG_E10value_typeEPSH_NS1_7vsmem_tEENKUlT_SF_SG_SH_E_clIS9_S9_SA_SA_EESE_SU_SF_SG_SH_EUlSU_E_NS1_11comp_targetILNS1_3genE0ELNS1_11target_archE4294967295ELNS1_3gpuE0ELNS1_3repE0EEENS1_48merge_mergepath_partition_config_static_selectorELNS0_4arch9wavefront6targetE0EEEvSG_
; %bb.0:
	s_load_b32 s2, s[0:1], 0x0
	s_bfe_u32 s3, ttmp6, 0x4000c
	s_and_b32 s4, ttmp6, 15
	s_add_co_i32 s3, s3, 1
	s_getreg_b32 s5, hwreg(HW_REG_IB_STS2, 6, 4)
	s_mul_i32 s3, ttmp9, s3
	s_delay_alu instid0(SALU_CYCLE_1) | instskip(SKIP_2) | instid1(SALU_CYCLE_1)
	s_add_co_i32 s4, s4, s3
	s_cmp_eq_u32 s5, 0
	s_cselect_b32 s3, ttmp9, s4
	v_lshl_or_b32 v8, s3, 7, v0
	s_wait_kmcnt 0x0
	s_delay_alu instid0(VALU_DEP_1)
	v_cmp_gt_u32_e32 vcc_lo, s2, v8
	s_and_saveexec_b32 s2, vcc_lo
	s_cbranch_execz .LBB2208_6
; %bb.1:
	s_load_b64 s[2:3], s[0:1], 0x4
	s_wait_kmcnt 0x0
	s_lshr_b32 s4, s2, 9
	s_delay_alu instid0(SALU_CYCLE_1) | instskip(NEXT) | instid1(SALU_CYCLE_1)
	s_and_b32 s4, s4, 0x7ffffe
	s_sub_co_i32 s5, 0, s4
	s_add_co_i32 s4, s4, -1
	s_delay_alu instid0(SALU_CYCLE_1) | instskip(SKIP_2) | instid1(VALU_DEP_1)
	v_and_b32_e32 v1, s4, v8
	v_and_b32_e32 v0, s5, v8
	s_mov_b32 s4, exec_lo
	v_dual_lshlrev_b32 v1, 10, v1 :: v_dual_lshlrev_b32 v0, 10, v0
	s_delay_alu instid0(VALU_DEP_1) | instskip(SKIP_1) | instid1(VALU_DEP_2)
	v_add_min_u32_e64 v2, v0, s2, s3
	v_min_u32_e32 v0, s3, v0
	v_add_min_u32_e64 v3, v2, s2, s3
	s_load_b64 s[2:3], s[0:1], 0x20
	s_delay_alu instid0(VALU_DEP_1) | instskip(NEXT) | instid1(VALU_DEP_1)
	v_dual_sub_nc_u32 v4, v3, v0 :: v_dual_sub_nc_u32 v3, v3, v2
	v_min_u32_e32 v10, v4, v1
	v_sub_nc_u32_e32 v1, v2, v0
	s_delay_alu instid0(VALU_DEP_2) | instskip(NEXT) | instid1(VALU_DEP_2)
	v_sub_nc_u32_e64 v9, v10, v3 clamp
	v_min_u32_e32 v11, v10, v1
	s_delay_alu instid0(VALU_DEP_1)
	v_cmpx_lt_u32_e64 v9, v11
	s_cbranch_execz .LBB2208_5
; %bb.2:
	s_wait_xcnt 0x0
	s_load_b64 s[0:1], s[0:1], 0x10
	v_mov_b32_e32 v3, 0
	s_delay_alu instid0(VALU_DEP_1) | instskip(SKIP_1) | instid1(VALU_DEP_1)
	v_mov_b32_e32 v1, v3
	s_wait_kmcnt 0x0
	v_lshl_add_u64 v[4:5], v[0:1], 1, s[0:1]
	v_lshl_add_u64 v[6:7], v[2:3], 1, s[0:1]
	s_mov_b32 s0, 0
.LBB2208_3:                             ; =>This Inner Loop Header: Depth=1
	v_add_nc_u32_e32 v1, v11, v9
	s_delay_alu instid0(VALU_DEP_1) | instskip(SKIP_1) | instid1(VALU_DEP_2)
	v_dual_mov_b32 v13, v3 :: v_dual_lshrrev_b32 v16, 1, v1
	v_and_b32_e32 v2, -2, v1
	v_xad_u32 v12, v16, -1, v10
	s_delay_alu instid0(VALU_DEP_2) | instskip(NEXT) | instid1(VALU_DEP_2)
	v_add_nc_u64_e32 v[14:15], v[4:5], v[2:3]
	v_lshl_add_u64 v[12:13], v[12:13], 1, v[6:7]
	s_clause 0x1
	global_load_u16 v1, v[14:15], off
	global_load_u16 v2, v[12:13], off
	s_wait_loadcnt 0x1
	v_add_f16_e32 v1, 0, v1
	s_wait_loadcnt 0x0
	v_add_f16_e32 v2, 0, v2
	s_delay_alu instid0(VALU_DEP_2) | instskip(SKIP_1) | instid1(VALU_DEP_3)
	v_cmp_lt_i16_e32 vcc_lo, -1, v1
	v_cndmask_b32_e64 v12, -1, 0xffff8000, vcc_lo
	v_cmp_lt_i16_e32 vcc_lo, -1, v2
	s_delay_alu instid0(VALU_DEP_2) | instskip(SKIP_1) | instid1(VALU_DEP_1)
	v_xor_b32_e32 v1, v12, v1
	v_cndmask_b32_e64 v13, -1, 0xffff8000, vcc_lo
	v_dual_add_nc_u32 v12, 1, v16 :: v_dual_bitop2_b32 v2, v13, v2 bitop3:0x14
	s_delay_alu instid0(VALU_DEP_1) | instskip(NEXT) | instid1(VALU_DEP_2)
	v_cmp_gt_u16_e32 vcc_lo, v1, v2
	v_dual_cndmask_b32 v11, v11, v16, vcc_lo :: v_dual_cndmask_b32 v9, v12, v9, vcc_lo
	s_delay_alu instid0(VALU_DEP_1) | instskip(SKIP_1) | instid1(SALU_CYCLE_1)
	v_cmp_ge_u32_e32 vcc_lo, v9, v11
	s_or_b32 s0, vcc_lo, s0
	s_and_not1_b32 exec_lo, exec_lo, s0
	s_cbranch_execnz .LBB2208_3
; %bb.4:
	s_or_b32 exec_lo, exec_lo, s0
.LBB2208_5:
	s_delay_alu instid0(SALU_CYCLE_1)
	s_or_b32 exec_lo, exec_lo, s4
	v_add_nc_u32_e32 v0, v9, v0
	s_wait_kmcnt 0x0
	global_store_b32 v8, v0, s[2:3] scale_offset
.LBB2208_6:
	s_endpgm
	.section	.rodata,"a",@progbits
	.p2align	6, 0x0
	.amdhsa_kernel _ZN7rocprim17ROCPRIM_400000_NS6detail17trampoline_kernelINS0_14default_configENS1_38merge_sort_block_merge_config_selectorI6__halfNS0_10empty_typeEEEZZNS1_27merge_sort_block_merge_implIS3_PS5_PS6_jNS1_19radix_merge_compareILb0ELb0ES5_NS0_19identity_decomposerEEEEE10hipError_tT0_T1_T2_jT3_P12ihipStream_tbPNSt15iterator_traitsISF_E10value_typeEPNSL_ISG_E10value_typeEPSH_NS1_7vsmem_tEENKUlT_SF_SG_SH_E_clIS9_S9_SA_SA_EESE_SU_SF_SG_SH_EUlSU_E_NS1_11comp_targetILNS1_3genE0ELNS1_11target_archE4294967295ELNS1_3gpuE0ELNS1_3repE0EEENS1_48merge_mergepath_partition_config_static_selectorELNS0_4arch9wavefront6targetE0EEEvSG_
		.amdhsa_group_segment_fixed_size 0
		.amdhsa_private_segment_fixed_size 0
		.amdhsa_kernarg_size 40
		.amdhsa_user_sgpr_count 2
		.amdhsa_user_sgpr_dispatch_ptr 0
		.amdhsa_user_sgpr_queue_ptr 0
		.amdhsa_user_sgpr_kernarg_segment_ptr 1
		.amdhsa_user_sgpr_dispatch_id 0
		.amdhsa_user_sgpr_kernarg_preload_length 0
		.amdhsa_user_sgpr_kernarg_preload_offset 0
		.amdhsa_user_sgpr_private_segment_size 0
		.amdhsa_wavefront_size32 1
		.amdhsa_uses_dynamic_stack 0
		.amdhsa_enable_private_segment 0
		.amdhsa_system_sgpr_workgroup_id_x 1
		.amdhsa_system_sgpr_workgroup_id_y 0
		.amdhsa_system_sgpr_workgroup_id_z 0
		.amdhsa_system_sgpr_workgroup_info 0
		.amdhsa_system_vgpr_workitem_id 0
		.amdhsa_next_free_vgpr 17
		.amdhsa_next_free_sgpr 6
		.amdhsa_named_barrier_count 0
		.amdhsa_reserve_vcc 1
		.amdhsa_float_round_mode_32 0
		.amdhsa_float_round_mode_16_64 0
		.amdhsa_float_denorm_mode_32 3
		.amdhsa_float_denorm_mode_16_64 3
		.amdhsa_fp16_overflow 0
		.amdhsa_memory_ordered 1
		.amdhsa_forward_progress 1
		.amdhsa_inst_pref_size 4
		.amdhsa_round_robin_scheduling 0
		.amdhsa_exception_fp_ieee_invalid_op 0
		.amdhsa_exception_fp_denorm_src 0
		.amdhsa_exception_fp_ieee_div_zero 0
		.amdhsa_exception_fp_ieee_overflow 0
		.amdhsa_exception_fp_ieee_underflow 0
		.amdhsa_exception_fp_ieee_inexact 0
		.amdhsa_exception_int_div_zero 0
	.end_amdhsa_kernel
	.section	.text._ZN7rocprim17ROCPRIM_400000_NS6detail17trampoline_kernelINS0_14default_configENS1_38merge_sort_block_merge_config_selectorI6__halfNS0_10empty_typeEEEZZNS1_27merge_sort_block_merge_implIS3_PS5_PS6_jNS1_19radix_merge_compareILb0ELb0ES5_NS0_19identity_decomposerEEEEE10hipError_tT0_T1_T2_jT3_P12ihipStream_tbPNSt15iterator_traitsISF_E10value_typeEPNSL_ISG_E10value_typeEPSH_NS1_7vsmem_tEENKUlT_SF_SG_SH_E_clIS9_S9_SA_SA_EESE_SU_SF_SG_SH_EUlSU_E_NS1_11comp_targetILNS1_3genE0ELNS1_11target_archE4294967295ELNS1_3gpuE0ELNS1_3repE0EEENS1_48merge_mergepath_partition_config_static_selectorELNS0_4arch9wavefront6targetE0EEEvSG_,"axG",@progbits,_ZN7rocprim17ROCPRIM_400000_NS6detail17trampoline_kernelINS0_14default_configENS1_38merge_sort_block_merge_config_selectorI6__halfNS0_10empty_typeEEEZZNS1_27merge_sort_block_merge_implIS3_PS5_PS6_jNS1_19radix_merge_compareILb0ELb0ES5_NS0_19identity_decomposerEEEEE10hipError_tT0_T1_T2_jT3_P12ihipStream_tbPNSt15iterator_traitsISF_E10value_typeEPNSL_ISG_E10value_typeEPSH_NS1_7vsmem_tEENKUlT_SF_SG_SH_E_clIS9_S9_SA_SA_EESE_SU_SF_SG_SH_EUlSU_E_NS1_11comp_targetILNS1_3genE0ELNS1_11target_archE4294967295ELNS1_3gpuE0ELNS1_3repE0EEENS1_48merge_mergepath_partition_config_static_selectorELNS0_4arch9wavefront6targetE0EEEvSG_,comdat
.Lfunc_end2208:
	.size	_ZN7rocprim17ROCPRIM_400000_NS6detail17trampoline_kernelINS0_14default_configENS1_38merge_sort_block_merge_config_selectorI6__halfNS0_10empty_typeEEEZZNS1_27merge_sort_block_merge_implIS3_PS5_PS6_jNS1_19radix_merge_compareILb0ELb0ES5_NS0_19identity_decomposerEEEEE10hipError_tT0_T1_T2_jT3_P12ihipStream_tbPNSt15iterator_traitsISF_E10value_typeEPNSL_ISG_E10value_typeEPSH_NS1_7vsmem_tEENKUlT_SF_SG_SH_E_clIS9_S9_SA_SA_EESE_SU_SF_SG_SH_EUlSU_E_NS1_11comp_targetILNS1_3genE0ELNS1_11target_archE4294967295ELNS1_3gpuE0ELNS1_3repE0EEENS1_48merge_mergepath_partition_config_static_selectorELNS0_4arch9wavefront6targetE0EEEvSG_, .Lfunc_end2208-_ZN7rocprim17ROCPRIM_400000_NS6detail17trampoline_kernelINS0_14default_configENS1_38merge_sort_block_merge_config_selectorI6__halfNS0_10empty_typeEEEZZNS1_27merge_sort_block_merge_implIS3_PS5_PS6_jNS1_19radix_merge_compareILb0ELb0ES5_NS0_19identity_decomposerEEEEE10hipError_tT0_T1_T2_jT3_P12ihipStream_tbPNSt15iterator_traitsISF_E10value_typeEPNSL_ISG_E10value_typeEPSH_NS1_7vsmem_tEENKUlT_SF_SG_SH_E_clIS9_S9_SA_SA_EESE_SU_SF_SG_SH_EUlSU_E_NS1_11comp_targetILNS1_3genE0ELNS1_11target_archE4294967295ELNS1_3gpuE0ELNS1_3repE0EEENS1_48merge_mergepath_partition_config_static_selectorELNS0_4arch9wavefront6targetE0EEEvSG_
                                        ; -- End function
	.set _ZN7rocprim17ROCPRIM_400000_NS6detail17trampoline_kernelINS0_14default_configENS1_38merge_sort_block_merge_config_selectorI6__halfNS0_10empty_typeEEEZZNS1_27merge_sort_block_merge_implIS3_PS5_PS6_jNS1_19radix_merge_compareILb0ELb0ES5_NS0_19identity_decomposerEEEEE10hipError_tT0_T1_T2_jT3_P12ihipStream_tbPNSt15iterator_traitsISF_E10value_typeEPNSL_ISG_E10value_typeEPSH_NS1_7vsmem_tEENKUlT_SF_SG_SH_E_clIS9_S9_SA_SA_EESE_SU_SF_SG_SH_EUlSU_E_NS1_11comp_targetILNS1_3genE0ELNS1_11target_archE4294967295ELNS1_3gpuE0ELNS1_3repE0EEENS1_48merge_mergepath_partition_config_static_selectorELNS0_4arch9wavefront6targetE0EEEvSG_.num_vgpr, 17
	.set _ZN7rocprim17ROCPRIM_400000_NS6detail17trampoline_kernelINS0_14default_configENS1_38merge_sort_block_merge_config_selectorI6__halfNS0_10empty_typeEEEZZNS1_27merge_sort_block_merge_implIS3_PS5_PS6_jNS1_19radix_merge_compareILb0ELb0ES5_NS0_19identity_decomposerEEEEE10hipError_tT0_T1_T2_jT3_P12ihipStream_tbPNSt15iterator_traitsISF_E10value_typeEPNSL_ISG_E10value_typeEPSH_NS1_7vsmem_tEENKUlT_SF_SG_SH_E_clIS9_S9_SA_SA_EESE_SU_SF_SG_SH_EUlSU_E_NS1_11comp_targetILNS1_3genE0ELNS1_11target_archE4294967295ELNS1_3gpuE0ELNS1_3repE0EEENS1_48merge_mergepath_partition_config_static_selectorELNS0_4arch9wavefront6targetE0EEEvSG_.num_agpr, 0
	.set _ZN7rocprim17ROCPRIM_400000_NS6detail17trampoline_kernelINS0_14default_configENS1_38merge_sort_block_merge_config_selectorI6__halfNS0_10empty_typeEEEZZNS1_27merge_sort_block_merge_implIS3_PS5_PS6_jNS1_19radix_merge_compareILb0ELb0ES5_NS0_19identity_decomposerEEEEE10hipError_tT0_T1_T2_jT3_P12ihipStream_tbPNSt15iterator_traitsISF_E10value_typeEPNSL_ISG_E10value_typeEPSH_NS1_7vsmem_tEENKUlT_SF_SG_SH_E_clIS9_S9_SA_SA_EESE_SU_SF_SG_SH_EUlSU_E_NS1_11comp_targetILNS1_3genE0ELNS1_11target_archE4294967295ELNS1_3gpuE0ELNS1_3repE0EEENS1_48merge_mergepath_partition_config_static_selectorELNS0_4arch9wavefront6targetE0EEEvSG_.numbered_sgpr, 6
	.set _ZN7rocprim17ROCPRIM_400000_NS6detail17trampoline_kernelINS0_14default_configENS1_38merge_sort_block_merge_config_selectorI6__halfNS0_10empty_typeEEEZZNS1_27merge_sort_block_merge_implIS3_PS5_PS6_jNS1_19radix_merge_compareILb0ELb0ES5_NS0_19identity_decomposerEEEEE10hipError_tT0_T1_T2_jT3_P12ihipStream_tbPNSt15iterator_traitsISF_E10value_typeEPNSL_ISG_E10value_typeEPSH_NS1_7vsmem_tEENKUlT_SF_SG_SH_E_clIS9_S9_SA_SA_EESE_SU_SF_SG_SH_EUlSU_E_NS1_11comp_targetILNS1_3genE0ELNS1_11target_archE4294967295ELNS1_3gpuE0ELNS1_3repE0EEENS1_48merge_mergepath_partition_config_static_selectorELNS0_4arch9wavefront6targetE0EEEvSG_.num_named_barrier, 0
	.set _ZN7rocprim17ROCPRIM_400000_NS6detail17trampoline_kernelINS0_14default_configENS1_38merge_sort_block_merge_config_selectorI6__halfNS0_10empty_typeEEEZZNS1_27merge_sort_block_merge_implIS3_PS5_PS6_jNS1_19radix_merge_compareILb0ELb0ES5_NS0_19identity_decomposerEEEEE10hipError_tT0_T1_T2_jT3_P12ihipStream_tbPNSt15iterator_traitsISF_E10value_typeEPNSL_ISG_E10value_typeEPSH_NS1_7vsmem_tEENKUlT_SF_SG_SH_E_clIS9_S9_SA_SA_EESE_SU_SF_SG_SH_EUlSU_E_NS1_11comp_targetILNS1_3genE0ELNS1_11target_archE4294967295ELNS1_3gpuE0ELNS1_3repE0EEENS1_48merge_mergepath_partition_config_static_selectorELNS0_4arch9wavefront6targetE0EEEvSG_.private_seg_size, 0
	.set _ZN7rocprim17ROCPRIM_400000_NS6detail17trampoline_kernelINS0_14default_configENS1_38merge_sort_block_merge_config_selectorI6__halfNS0_10empty_typeEEEZZNS1_27merge_sort_block_merge_implIS3_PS5_PS6_jNS1_19radix_merge_compareILb0ELb0ES5_NS0_19identity_decomposerEEEEE10hipError_tT0_T1_T2_jT3_P12ihipStream_tbPNSt15iterator_traitsISF_E10value_typeEPNSL_ISG_E10value_typeEPSH_NS1_7vsmem_tEENKUlT_SF_SG_SH_E_clIS9_S9_SA_SA_EESE_SU_SF_SG_SH_EUlSU_E_NS1_11comp_targetILNS1_3genE0ELNS1_11target_archE4294967295ELNS1_3gpuE0ELNS1_3repE0EEENS1_48merge_mergepath_partition_config_static_selectorELNS0_4arch9wavefront6targetE0EEEvSG_.uses_vcc, 1
	.set _ZN7rocprim17ROCPRIM_400000_NS6detail17trampoline_kernelINS0_14default_configENS1_38merge_sort_block_merge_config_selectorI6__halfNS0_10empty_typeEEEZZNS1_27merge_sort_block_merge_implIS3_PS5_PS6_jNS1_19radix_merge_compareILb0ELb0ES5_NS0_19identity_decomposerEEEEE10hipError_tT0_T1_T2_jT3_P12ihipStream_tbPNSt15iterator_traitsISF_E10value_typeEPNSL_ISG_E10value_typeEPSH_NS1_7vsmem_tEENKUlT_SF_SG_SH_E_clIS9_S9_SA_SA_EESE_SU_SF_SG_SH_EUlSU_E_NS1_11comp_targetILNS1_3genE0ELNS1_11target_archE4294967295ELNS1_3gpuE0ELNS1_3repE0EEENS1_48merge_mergepath_partition_config_static_selectorELNS0_4arch9wavefront6targetE0EEEvSG_.uses_flat_scratch, 0
	.set _ZN7rocprim17ROCPRIM_400000_NS6detail17trampoline_kernelINS0_14default_configENS1_38merge_sort_block_merge_config_selectorI6__halfNS0_10empty_typeEEEZZNS1_27merge_sort_block_merge_implIS3_PS5_PS6_jNS1_19radix_merge_compareILb0ELb0ES5_NS0_19identity_decomposerEEEEE10hipError_tT0_T1_T2_jT3_P12ihipStream_tbPNSt15iterator_traitsISF_E10value_typeEPNSL_ISG_E10value_typeEPSH_NS1_7vsmem_tEENKUlT_SF_SG_SH_E_clIS9_S9_SA_SA_EESE_SU_SF_SG_SH_EUlSU_E_NS1_11comp_targetILNS1_3genE0ELNS1_11target_archE4294967295ELNS1_3gpuE0ELNS1_3repE0EEENS1_48merge_mergepath_partition_config_static_selectorELNS0_4arch9wavefront6targetE0EEEvSG_.has_dyn_sized_stack, 0
	.set _ZN7rocprim17ROCPRIM_400000_NS6detail17trampoline_kernelINS0_14default_configENS1_38merge_sort_block_merge_config_selectorI6__halfNS0_10empty_typeEEEZZNS1_27merge_sort_block_merge_implIS3_PS5_PS6_jNS1_19radix_merge_compareILb0ELb0ES5_NS0_19identity_decomposerEEEEE10hipError_tT0_T1_T2_jT3_P12ihipStream_tbPNSt15iterator_traitsISF_E10value_typeEPNSL_ISG_E10value_typeEPSH_NS1_7vsmem_tEENKUlT_SF_SG_SH_E_clIS9_S9_SA_SA_EESE_SU_SF_SG_SH_EUlSU_E_NS1_11comp_targetILNS1_3genE0ELNS1_11target_archE4294967295ELNS1_3gpuE0ELNS1_3repE0EEENS1_48merge_mergepath_partition_config_static_selectorELNS0_4arch9wavefront6targetE0EEEvSG_.has_recursion, 0
	.set _ZN7rocprim17ROCPRIM_400000_NS6detail17trampoline_kernelINS0_14default_configENS1_38merge_sort_block_merge_config_selectorI6__halfNS0_10empty_typeEEEZZNS1_27merge_sort_block_merge_implIS3_PS5_PS6_jNS1_19radix_merge_compareILb0ELb0ES5_NS0_19identity_decomposerEEEEE10hipError_tT0_T1_T2_jT3_P12ihipStream_tbPNSt15iterator_traitsISF_E10value_typeEPNSL_ISG_E10value_typeEPSH_NS1_7vsmem_tEENKUlT_SF_SG_SH_E_clIS9_S9_SA_SA_EESE_SU_SF_SG_SH_EUlSU_E_NS1_11comp_targetILNS1_3genE0ELNS1_11target_archE4294967295ELNS1_3gpuE0ELNS1_3repE0EEENS1_48merge_mergepath_partition_config_static_selectorELNS0_4arch9wavefront6targetE0EEEvSG_.has_indirect_call, 0
	.section	.AMDGPU.csdata,"",@progbits
; Kernel info:
; codeLenInByte = 496
; TotalNumSgprs: 8
; NumVgprs: 17
; ScratchSize: 0
; MemoryBound: 0
; FloatMode: 240
; IeeeMode: 1
; LDSByteSize: 0 bytes/workgroup (compile time only)
; SGPRBlocks: 0
; VGPRBlocks: 1
; NumSGPRsForWavesPerEU: 8
; NumVGPRsForWavesPerEU: 17
; NamedBarCnt: 0
; Occupancy: 16
; WaveLimiterHint : 0
; COMPUTE_PGM_RSRC2:SCRATCH_EN: 0
; COMPUTE_PGM_RSRC2:USER_SGPR: 2
; COMPUTE_PGM_RSRC2:TRAP_HANDLER: 0
; COMPUTE_PGM_RSRC2:TGID_X_EN: 1
; COMPUTE_PGM_RSRC2:TGID_Y_EN: 0
; COMPUTE_PGM_RSRC2:TGID_Z_EN: 0
; COMPUTE_PGM_RSRC2:TIDIG_COMP_CNT: 0
	.section	.text._ZN7rocprim17ROCPRIM_400000_NS6detail17trampoline_kernelINS0_14default_configENS1_38merge_sort_block_merge_config_selectorI6__halfNS0_10empty_typeEEEZZNS1_27merge_sort_block_merge_implIS3_PS5_PS6_jNS1_19radix_merge_compareILb0ELb0ES5_NS0_19identity_decomposerEEEEE10hipError_tT0_T1_T2_jT3_P12ihipStream_tbPNSt15iterator_traitsISF_E10value_typeEPNSL_ISG_E10value_typeEPSH_NS1_7vsmem_tEENKUlT_SF_SG_SH_E_clIS9_S9_SA_SA_EESE_SU_SF_SG_SH_EUlSU_E_NS1_11comp_targetILNS1_3genE10ELNS1_11target_archE1201ELNS1_3gpuE5ELNS1_3repE0EEENS1_48merge_mergepath_partition_config_static_selectorELNS0_4arch9wavefront6targetE0EEEvSG_,"axG",@progbits,_ZN7rocprim17ROCPRIM_400000_NS6detail17trampoline_kernelINS0_14default_configENS1_38merge_sort_block_merge_config_selectorI6__halfNS0_10empty_typeEEEZZNS1_27merge_sort_block_merge_implIS3_PS5_PS6_jNS1_19radix_merge_compareILb0ELb0ES5_NS0_19identity_decomposerEEEEE10hipError_tT0_T1_T2_jT3_P12ihipStream_tbPNSt15iterator_traitsISF_E10value_typeEPNSL_ISG_E10value_typeEPSH_NS1_7vsmem_tEENKUlT_SF_SG_SH_E_clIS9_S9_SA_SA_EESE_SU_SF_SG_SH_EUlSU_E_NS1_11comp_targetILNS1_3genE10ELNS1_11target_archE1201ELNS1_3gpuE5ELNS1_3repE0EEENS1_48merge_mergepath_partition_config_static_selectorELNS0_4arch9wavefront6targetE0EEEvSG_,comdat
	.protected	_ZN7rocprim17ROCPRIM_400000_NS6detail17trampoline_kernelINS0_14default_configENS1_38merge_sort_block_merge_config_selectorI6__halfNS0_10empty_typeEEEZZNS1_27merge_sort_block_merge_implIS3_PS5_PS6_jNS1_19radix_merge_compareILb0ELb0ES5_NS0_19identity_decomposerEEEEE10hipError_tT0_T1_T2_jT3_P12ihipStream_tbPNSt15iterator_traitsISF_E10value_typeEPNSL_ISG_E10value_typeEPSH_NS1_7vsmem_tEENKUlT_SF_SG_SH_E_clIS9_S9_SA_SA_EESE_SU_SF_SG_SH_EUlSU_E_NS1_11comp_targetILNS1_3genE10ELNS1_11target_archE1201ELNS1_3gpuE5ELNS1_3repE0EEENS1_48merge_mergepath_partition_config_static_selectorELNS0_4arch9wavefront6targetE0EEEvSG_ ; -- Begin function _ZN7rocprim17ROCPRIM_400000_NS6detail17trampoline_kernelINS0_14default_configENS1_38merge_sort_block_merge_config_selectorI6__halfNS0_10empty_typeEEEZZNS1_27merge_sort_block_merge_implIS3_PS5_PS6_jNS1_19radix_merge_compareILb0ELb0ES5_NS0_19identity_decomposerEEEEE10hipError_tT0_T1_T2_jT3_P12ihipStream_tbPNSt15iterator_traitsISF_E10value_typeEPNSL_ISG_E10value_typeEPSH_NS1_7vsmem_tEENKUlT_SF_SG_SH_E_clIS9_S9_SA_SA_EESE_SU_SF_SG_SH_EUlSU_E_NS1_11comp_targetILNS1_3genE10ELNS1_11target_archE1201ELNS1_3gpuE5ELNS1_3repE0EEENS1_48merge_mergepath_partition_config_static_selectorELNS0_4arch9wavefront6targetE0EEEvSG_
	.globl	_ZN7rocprim17ROCPRIM_400000_NS6detail17trampoline_kernelINS0_14default_configENS1_38merge_sort_block_merge_config_selectorI6__halfNS0_10empty_typeEEEZZNS1_27merge_sort_block_merge_implIS3_PS5_PS6_jNS1_19radix_merge_compareILb0ELb0ES5_NS0_19identity_decomposerEEEEE10hipError_tT0_T1_T2_jT3_P12ihipStream_tbPNSt15iterator_traitsISF_E10value_typeEPNSL_ISG_E10value_typeEPSH_NS1_7vsmem_tEENKUlT_SF_SG_SH_E_clIS9_S9_SA_SA_EESE_SU_SF_SG_SH_EUlSU_E_NS1_11comp_targetILNS1_3genE10ELNS1_11target_archE1201ELNS1_3gpuE5ELNS1_3repE0EEENS1_48merge_mergepath_partition_config_static_selectorELNS0_4arch9wavefront6targetE0EEEvSG_
	.p2align	8
	.type	_ZN7rocprim17ROCPRIM_400000_NS6detail17trampoline_kernelINS0_14default_configENS1_38merge_sort_block_merge_config_selectorI6__halfNS0_10empty_typeEEEZZNS1_27merge_sort_block_merge_implIS3_PS5_PS6_jNS1_19radix_merge_compareILb0ELb0ES5_NS0_19identity_decomposerEEEEE10hipError_tT0_T1_T2_jT3_P12ihipStream_tbPNSt15iterator_traitsISF_E10value_typeEPNSL_ISG_E10value_typeEPSH_NS1_7vsmem_tEENKUlT_SF_SG_SH_E_clIS9_S9_SA_SA_EESE_SU_SF_SG_SH_EUlSU_E_NS1_11comp_targetILNS1_3genE10ELNS1_11target_archE1201ELNS1_3gpuE5ELNS1_3repE0EEENS1_48merge_mergepath_partition_config_static_selectorELNS0_4arch9wavefront6targetE0EEEvSG_,@function
_ZN7rocprim17ROCPRIM_400000_NS6detail17trampoline_kernelINS0_14default_configENS1_38merge_sort_block_merge_config_selectorI6__halfNS0_10empty_typeEEEZZNS1_27merge_sort_block_merge_implIS3_PS5_PS6_jNS1_19radix_merge_compareILb0ELb0ES5_NS0_19identity_decomposerEEEEE10hipError_tT0_T1_T2_jT3_P12ihipStream_tbPNSt15iterator_traitsISF_E10value_typeEPNSL_ISG_E10value_typeEPSH_NS1_7vsmem_tEENKUlT_SF_SG_SH_E_clIS9_S9_SA_SA_EESE_SU_SF_SG_SH_EUlSU_E_NS1_11comp_targetILNS1_3genE10ELNS1_11target_archE1201ELNS1_3gpuE5ELNS1_3repE0EEENS1_48merge_mergepath_partition_config_static_selectorELNS0_4arch9wavefront6targetE0EEEvSG_: ; @_ZN7rocprim17ROCPRIM_400000_NS6detail17trampoline_kernelINS0_14default_configENS1_38merge_sort_block_merge_config_selectorI6__halfNS0_10empty_typeEEEZZNS1_27merge_sort_block_merge_implIS3_PS5_PS6_jNS1_19radix_merge_compareILb0ELb0ES5_NS0_19identity_decomposerEEEEE10hipError_tT0_T1_T2_jT3_P12ihipStream_tbPNSt15iterator_traitsISF_E10value_typeEPNSL_ISG_E10value_typeEPSH_NS1_7vsmem_tEENKUlT_SF_SG_SH_E_clIS9_S9_SA_SA_EESE_SU_SF_SG_SH_EUlSU_E_NS1_11comp_targetILNS1_3genE10ELNS1_11target_archE1201ELNS1_3gpuE5ELNS1_3repE0EEENS1_48merge_mergepath_partition_config_static_selectorELNS0_4arch9wavefront6targetE0EEEvSG_
; %bb.0:
	.section	.rodata,"a",@progbits
	.p2align	6, 0x0
	.amdhsa_kernel _ZN7rocprim17ROCPRIM_400000_NS6detail17trampoline_kernelINS0_14default_configENS1_38merge_sort_block_merge_config_selectorI6__halfNS0_10empty_typeEEEZZNS1_27merge_sort_block_merge_implIS3_PS5_PS6_jNS1_19radix_merge_compareILb0ELb0ES5_NS0_19identity_decomposerEEEEE10hipError_tT0_T1_T2_jT3_P12ihipStream_tbPNSt15iterator_traitsISF_E10value_typeEPNSL_ISG_E10value_typeEPSH_NS1_7vsmem_tEENKUlT_SF_SG_SH_E_clIS9_S9_SA_SA_EESE_SU_SF_SG_SH_EUlSU_E_NS1_11comp_targetILNS1_3genE10ELNS1_11target_archE1201ELNS1_3gpuE5ELNS1_3repE0EEENS1_48merge_mergepath_partition_config_static_selectorELNS0_4arch9wavefront6targetE0EEEvSG_
		.amdhsa_group_segment_fixed_size 0
		.amdhsa_private_segment_fixed_size 0
		.amdhsa_kernarg_size 40
		.amdhsa_user_sgpr_count 2
		.amdhsa_user_sgpr_dispatch_ptr 0
		.amdhsa_user_sgpr_queue_ptr 0
		.amdhsa_user_sgpr_kernarg_segment_ptr 1
		.amdhsa_user_sgpr_dispatch_id 0
		.amdhsa_user_sgpr_kernarg_preload_length 0
		.amdhsa_user_sgpr_kernarg_preload_offset 0
		.amdhsa_user_sgpr_private_segment_size 0
		.amdhsa_wavefront_size32 1
		.amdhsa_uses_dynamic_stack 0
		.amdhsa_enable_private_segment 0
		.amdhsa_system_sgpr_workgroup_id_x 1
		.amdhsa_system_sgpr_workgroup_id_y 0
		.amdhsa_system_sgpr_workgroup_id_z 0
		.amdhsa_system_sgpr_workgroup_info 0
		.amdhsa_system_vgpr_workitem_id 0
		.amdhsa_next_free_vgpr 1
		.amdhsa_next_free_sgpr 1
		.amdhsa_named_barrier_count 0
		.amdhsa_reserve_vcc 0
		.amdhsa_float_round_mode_32 0
		.amdhsa_float_round_mode_16_64 0
		.amdhsa_float_denorm_mode_32 3
		.amdhsa_float_denorm_mode_16_64 3
		.amdhsa_fp16_overflow 0
		.amdhsa_memory_ordered 1
		.amdhsa_forward_progress 1
		.amdhsa_inst_pref_size 0
		.amdhsa_round_robin_scheduling 0
		.amdhsa_exception_fp_ieee_invalid_op 0
		.amdhsa_exception_fp_denorm_src 0
		.amdhsa_exception_fp_ieee_div_zero 0
		.amdhsa_exception_fp_ieee_overflow 0
		.amdhsa_exception_fp_ieee_underflow 0
		.amdhsa_exception_fp_ieee_inexact 0
		.amdhsa_exception_int_div_zero 0
	.end_amdhsa_kernel
	.section	.text._ZN7rocprim17ROCPRIM_400000_NS6detail17trampoline_kernelINS0_14default_configENS1_38merge_sort_block_merge_config_selectorI6__halfNS0_10empty_typeEEEZZNS1_27merge_sort_block_merge_implIS3_PS5_PS6_jNS1_19radix_merge_compareILb0ELb0ES5_NS0_19identity_decomposerEEEEE10hipError_tT0_T1_T2_jT3_P12ihipStream_tbPNSt15iterator_traitsISF_E10value_typeEPNSL_ISG_E10value_typeEPSH_NS1_7vsmem_tEENKUlT_SF_SG_SH_E_clIS9_S9_SA_SA_EESE_SU_SF_SG_SH_EUlSU_E_NS1_11comp_targetILNS1_3genE10ELNS1_11target_archE1201ELNS1_3gpuE5ELNS1_3repE0EEENS1_48merge_mergepath_partition_config_static_selectorELNS0_4arch9wavefront6targetE0EEEvSG_,"axG",@progbits,_ZN7rocprim17ROCPRIM_400000_NS6detail17trampoline_kernelINS0_14default_configENS1_38merge_sort_block_merge_config_selectorI6__halfNS0_10empty_typeEEEZZNS1_27merge_sort_block_merge_implIS3_PS5_PS6_jNS1_19radix_merge_compareILb0ELb0ES5_NS0_19identity_decomposerEEEEE10hipError_tT0_T1_T2_jT3_P12ihipStream_tbPNSt15iterator_traitsISF_E10value_typeEPNSL_ISG_E10value_typeEPSH_NS1_7vsmem_tEENKUlT_SF_SG_SH_E_clIS9_S9_SA_SA_EESE_SU_SF_SG_SH_EUlSU_E_NS1_11comp_targetILNS1_3genE10ELNS1_11target_archE1201ELNS1_3gpuE5ELNS1_3repE0EEENS1_48merge_mergepath_partition_config_static_selectorELNS0_4arch9wavefront6targetE0EEEvSG_,comdat
.Lfunc_end2209:
	.size	_ZN7rocprim17ROCPRIM_400000_NS6detail17trampoline_kernelINS0_14default_configENS1_38merge_sort_block_merge_config_selectorI6__halfNS0_10empty_typeEEEZZNS1_27merge_sort_block_merge_implIS3_PS5_PS6_jNS1_19radix_merge_compareILb0ELb0ES5_NS0_19identity_decomposerEEEEE10hipError_tT0_T1_T2_jT3_P12ihipStream_tbPNSt15iterator_traitsISF_E10value_typeEPNSL_ISG_E10value_typeEPSH_NS1_7vsmem_tEENKUlT_SF_SG_SH_E_clIS9_S9_SA_SA_EESE_SU_SF_SG_SH_EUlSU_E_NS1_11comp_targetILNS1_3genE10ELNS1_11target_archE1201ELNS1_3gpuE5ELNS1_3repE0EEENS1_48merge_mergepath_partition_config_static_selectorELNS0_4arch9wavefront6targetE0EEEvSG_, .Lfunc_end2209-_ZN7rocprim17ROCPRIM_400000_NS6detail17trampoline_kernelINS0_14default_configENS1_38merge_sort_block_merge_config_selectorI6__halfNS0_10empty_typeEEEZZNS1_27merge_sort_block_merge_implIS3_PS5_PS6_jNS1_19radix_merge_compareILb0ELb0ES5_NS0_19identity_decomposerEEEEE10hipError_tT0_T1_T2_jT3_P12ihipStream_tbPNSt15iterator_traitsISF_E10value_typeEPNSL_ISG_E10value_typeEPSH_NS1_7vsmem_tEENKUlT_SF_SG_SH_E_clIS9_S9_SA_SA_EESE_SU_SF_SG_SH_EUlSU_E_NS1_11comp_targetILNS1_3genE10ELNS1_11target_archE1201ELNS1_3gpuE5ELNS1_3repE0EEENS1_48merge_mergepath_partition_config_static_selectorELNS0_4arch9wavefront6targetE0EEEvSG_
                                        ; -- End function
	.set _ZN7rocprim17ROCPRIM_400000_NS6detail17trampoline_kernelINS0_14default_configENS1_38merge_sort_block_merge_config_selectorI6__halfNS0_10empty_typeEEEZZNS1_27merge_sort_block_merge_implIS3_PS5_PS6_jNS1_19radix_merge_compareILb0ELb0ES5_NS0_19identity_decomposerEEEEE10hipError_tT0_T1_T2_jT3_P12ihipStream_tbPNSt15iterator_traitsISF_E10value_typeEPNSL_ISG_E10value_typeEPSH_NS1_7vsmem_tEENKUlT_SF_SG_SH_E_clIS9_S9_SA_SA_EESE_SU_SF_SG_SH_EUlSU_E_NS1_11comp_targetILNS1_3genE10ELNS1_11target_archE1201ELNS1_3gpuE5ELNS1_3repE0EEENS1_48merge_mergepath_partition_config_static_selectorELNS0_4arch9wavefront6targetE0EEEvSG_.num_vgpr, 0
	.set _ZN7rocprim17ROCPRIM_400000_NS6detail17trampoline_kernelINS0_14default_configENS1_38merge_sort_block_merge_config_selectorI6__halfNS0_10empty_typeEEEZZNS1_27merge_sort_block_merge_implIS3_PS5_PS6_jNS1_19radix_merge_compareILb0ELb0ES5_NS0_19identity_decomposerEEEEE10hipError_tT0_T1_T2_jT3_P12ihipStream_tbPNSt15iterator_traitsISF_E10value_typeEPNSL_ISG_E10value_typeEPSH_NS1_7vsmem_tEENKUlT_SF_SG_SH_E_clIS9_S9_SA_SA_EESE_SU_SF_SG_SH_EUlSU_E_NS1_11comp_targetILNS1_3genE10ELNS1_11target_archE1201ELNS1_3gpuE5ELNS1_3repE0EEENS1_48merge_mergepath_partition_config_static_selectorELNS0_4arch9wavefront6targetE0EEEvSG_.num_agpr, 0
	.set _ZN7rocprim17ROCPRIM_400000_NS6detail17trampoline_kernelINS0_14default_configENS1_38merge_sort_block_merge_config_selectorI6__halfNS0_10empty_typeEEEZZNS1_27merge_sort_block_merge_implIS3_PS5_PS6_jNS1_19radix_merge_compareILb0ELb0ES5_NS0_19identity_decomposerEEEEE10hipError_tT0_T1_T2_jT3_P12ihipStream_tbPNSt15iterator_traitsISF_E10value_typeEPNSL_ISG_E10value_typeEPSH_NS1_7vsmem_tEENKUlT_SF_SG_SH_E_clIS9_S9_SA_SA_EESE_SU_SF_SG_SH_EUlSU_E_NS1_11comp_targetILNS1_3genE10ELNS1_11target_archE1201ELNS1_3gpuE5ELNS1_3repE0EEENS1_48merge_mergepath_partition_config_static_selectorELNS0_4arch9wavefront6targetE0EEEvSG_.numbered_sgpr, 0
	.set _ZN7rocprim17ROCPRIM_400000_NS6detail17trampoline_kernelINS0_14default_configENS1_38merge_sort_block_merge_config_selectorI6__halfNS0_10empty_typeEEEZZNS1_27merge_sort_block_merge_implIS3_PS5_PS6_jNS1_19radix_merge_compareILb0ELb0ES5_NS0_19identity_decomposerEEEEE10hipError_tT0_T1_T2_jT3_P12ihipStream_tbPNSt15iterator_traitsISF_E10value_typeEPNSL_ISG_E10value_typeEPSH_NS1_7vsmem_tEENKUlT_SF_SG_SH_E_clIS9_S9_SA_SA_EESE_SU_SF_SG_SH_EUlSU_E_NS1_11comp_targetILNS1_3genE10ELNS1_11target_archE1201ELNS1_3gpuE5ELNS1_3repE0EEENS1_48merge_mergepath_partition_config_static_selectorELNS0_4arch9wavefront6targetE0EEEvSG_.num_named_barrier, 0
	.set _ZN7rocprim17ROCPRIM_400000_NS6detail17trampoline_kernelINS0_14default_configENS1_38merge_sort_block_merge_config_selectorI6__halfNS0_10empty_typeEEEZZNS1_27merge_sort_block_merge_implIS3_PS5_PS6_jNS1_19radix_merge_compareILb0ELb0ES5_NS0_19identity_decomposerEEEEE10hipError_tT0_T1_T2_jT3_P12ihipStream_tbPNSt15iterator_traitsISF_E10value_typeEPNSL_ISG_E10value_typeEPSH_NS1_7vsmem_tEENKUlT_SF_SG_SH_E_clIS9_S9_SA_SA_EESE_SU_SF_SG_SH_EUlSU_E_NS1_11comp_targetILNS1_3genE10ELNS1_11target_archE1201ELNS1_3gpuE5ELNS1_3repE0EEENS1_48merge_mergepath_partition_config_static_selectorELNS0_4arch9wavefront6targetE0EEEvSG_.private_seg_size, 0
	.set _ZN7rocprim17ROCPRIM_400000_NS6detail17trampoline_kernelINS0_14default_configENS1_38merge_sort_block_merge_config_selectorI6__halfNS0_10empty_typeEEEZZNS1_27merge_sort_block_merge_implIS3_PS5_PS6_jNS1_19radix_merge_compareILb0ELb0ES5_NS0_19identity_decomposerEEEEE10hipError_tT0_T1_T2_jT3_P12ihipStream_tbPNSt15iterator_traitsISF_E10value_typeEPNSL_ISG_E10value_typeEPSH_NS1_7vsmem_tEENKUlT_SF_SG_SH_E_clIS9_S9_SA_SA_EESE_SU_SF_SG_SH_EUlSU_E_NS1_11comp_targetILNS1_3genE10ELNS1_11target_archE1201ELNS1_3gpuE5ELNS1_3repE0EEENS1_48merge_mergepath_partition_config_static_selectorELNS0_4arch9wavefront6targetE0EEEvSG_.uses_vcc, 0
	.set _ZN7rocprim17ROCPRIM_400000_NS6detail17trampoline_kernelINS0_14default_configENS1_38merge_sort_block_merge_config_selectorI6__halfNS0_10empty_typeEEEZZNS1_27merge_sort_block_merge_implIS3_PS5_PS6_jNS1_19radix_merge_compareILb0ELb0ES5_NS0_19identity_decomposerEEEEE10hipError_tT0_T1_T2_jT3_P12ihipStream_tbPNSt15iterator_traitsISF_E10value_typeEPNSL_ISG_E10value_typeEPSH_NS1_7vsmem_tEENKUlT_SF_SG_SH_E_clIS9_S9_SA_SA_EESE_SU_SF_SG_SH_EUlSU_E_NS1_11comp_targetILNS1_3genE10ELNS1_11target_archE1201ELNS1_3gpuE5ELNS1_3repE0EEENS1_48merge_mergepath_partition_config_static_selectorELNS0_4arch9wavefront6targetE0EEEvSG_.uses_flat_scratch, 0
	.set _ZN7rocprim17ROCPRIM_400000_NS6detail17trampoline_kernelINS0_14default_configENS1_38merge_sort_block_merge_config_selectorI6__halfNS0_10empty_typeEEEZZNS1_27merge_sort_block_merge_implIS3_PS5_PS6_jNS1_19radix_merge_compareILb0ELb0ES5_NS0_19identity_decomposerEEEEE10hipError_tT0_T1_T2_jT3_P12ihipStream_tbPNSt15iterator_traitsISF_E10value_typeEPNSL_ISG_E10value_typeEPSH_NS1_7vsmem_tEENKUlT_SF_SG_SH_E_clIS9_S9_SA_SA_EESE_SU_SF_SG_SH_EUlSU_E_NS1_11comp_targetILNS1_3genE10ELNS1_11target_archE1201ELNS1_3gpuE5ELNS1_3repE0EEENS1_48merge_mergepath_partition_config_static_selectorELNS0_4arch9wavefront6targetE0EEEvSG_.has_dyn_sized_stack, 0
	.set _ZN7rocprim17ROCPRIM_400000_NS6detail17trampoline_kernelINS0_14default_configENS1_38merge_sort_block_merge_config_selectorI6__halfNS0_10empty_typeEEEZZNS1_27merge_sort_block_merge_implIS3_PS5_PS6_jNS1_19radix_merge_compareILb0ELb0ES5_NS0_19identity_decomposerEEEEE10hipError_tT0_T1_T2_jT3_P12ihipStream_tbPNSt15iterator_traitsISF_E10value_typeEPNSL_ISG_E10value_typeEPSH_NS1_7vsmem_tEENKUlT_SF_SG_SH_E_clIS9_S9_SA_SA_EESE_SU_SF_SG_SH_EUlSU_E_NS1_11comp_targetILNS1_3genE10ELNS1_11target_archE1201ELNS1_3gpuE5ELNS1_3repE0EEENS1_48merge_mergepath_partition_config_static_selectorELNS0_4arch9wavefront6targetE0EEEvSG_.has_recursion, 0
	.set _ZN7rocprim17ROCPRIM_400000_NS6detail17trampoline_kernelINS0_14default_configENS1_38merge_sort_block_merge_config_selectorI6__halfNS0_10empty_typeEEEZZNS1_27merge_sort_block_merge_implIS3_PS5_PS6_jNS1_19radix_merge_compareILb0ELb0ES5_NS0_19identity_decomposerEEEEE10hipError_tT0_T1_T2_jT3_P12ihipStream_tbPNSt15iterator_traitsISF_E10value_typeEPNSL_ISG_E10value_typeEPSH_NS1_7vsmem_tEENKUlT_SF_SG_SH_E_clIS9_S9_SA_SA_EESE_SU_SF_SG_SH_EUlSU_E_NS1_11comp_targetILNS1_3genE10ELNS1_11target_archE1201ELNS1_3gpuE5ELNS1_3repE0EEENS1_48merge_mergepath_partition_config_static_selectorELNS0_4arch9wavefront6targetE0EEEvSG_.has_indirect_call, 0
	.section	.AMDGPU.csdata,"",@progbits
; Kernel info:
; codeLenInByte = 0
; TotalNumSgprs: 0
; NumVgprs: 0
; ScratchSize: 0
; MemoryBound: 0
; FloatMode: 240
; IeeeMode: 1
; LDSByteSize: 0 bytes/workgroup (compile time only)
; SGPRBlocks: 0
; VGPRBlocks: 0
; NumSGPRsForWavesPerEU: 1
; NumVGPRsForWavesPerEU: 1
; NamedBarCnt: 0
; Occupancy: 16
; WaveLimiterHint : 0
; COMPUTE_PGM_RSRC2:SCRATCH_EN: 0
; COMPUTE_PGM_RSRC2:USER_SGPR: 2
; COMPUTE_PGM_RSRC2:TRAP_HANDLER: 0
; COMPUTE_PGM_RSRC2:TGID_X_EN: 1
; COMPUTE_PGM_RSRC2:TGID_Y_EN: 0
; COMPUTE_PGM_RSRC2:TGID_Z_EN: 0
; COMPUTE_PGM_RSRC2:TIDIG_COMP_CNT: 0
	.section	.text._ZN7rocprim17ROCPRIM_400000_NS6detail17trampoline_kernelINS0_14default_configENS1_38merge_sort_block_merge_config_selectorI6__halfNS0_10empty_typeEEEZZNS1_27merge_sort_block_merge_implIS3_PS5_PS6_jNS1_19radix_merge_compareILb0ELb0ES5_NS0_19identity_decomposerEEEEE10hipError_tT0_T1_T2_jT3_P12ihipStream_tbPNSt15iterator_traitsISF_E10value_typeEPNSL_ISG_E10value_typeEPSH_NS1_7vsmem_tEENKUlT_SF_SG_SH_E_clIS9_S9_SA_SA_EESE_SU_SF_SG_SH_EUlSU_E_NS1_11comp_targetILNS1_3genE5ELNS1_11target_archE942ELNS1_3gpuE9ELNS1_3repE0EEENS1_48merge_mergepath_partition_config_static_selectorELNS0_4arch9wavefront6targetE0EEEvSG_,"axG",@progbits,_ZN7rocprim17ROCPRIM_400000_NS6detail17trampoline_kernelINS0_14default_configENS1_38merge_sort_block_merge_config_selectorI6__halfNS0_10empty_typeEEEZZNS1_27merge_sort_block_merge_implIS3_PS5_PS6_jNS1_19radix_merge_compareILb0ELb0ES5_NS0_19identity_decomposerEEEEE10hipError_tT0_T1_T2_jT3_P12ihipStream_tbPNSt15iterator_traitsISF_E10value_typeEPNSL_ISG_E10value_typeEPSH_NS1_7vsmem_tEENKUlT_SF_SG_SH_E_clIS9_S9_SA_SA_EESE_SU_SF_SG_SH_EUlSU_E_NS1_11comp_targetILNS1_3genE5ELNS1_11target_archE942ELNS1_3gpuE9ELNS1_3repE0EEENS1_48merge_mergepath_partition_config_static_selectorELNS0_4arch9wavefront6targetE0EEEvSG_,comdat
	.protected	_ZN7rocprim17ROCPRIM_400000_NS6detail17trampoline_kernelINS0_14default_configENS1_38merge_sort_block_merge_config_selectorI6__halfNS0_10empty_typeEEEZZNS1_27merge_sort_block_merge_implIS3_PS5_PS6_jNS1_19radix_merge_compareILb0ELb0ES5_NS0_19identity_decomposerEEEEE10hipError_tT0_T1_T2_jT3_P12ihipStream_tbPNSt15iterator_traitsISF_E10value_typeEPNSL_ISG_E10value_typeEPSH_NS1_7vsmem_tEENKUlT_SF_SG_SH_E_clIS9_S9_SA_SA_EESE_SU_SF_SG_SH_EUlSU_E_NS1_11comp_targetILNS1_3genE5ELNS1_11target_archE942ELNS1_3gpuE9ELNS1_3repE0EEENS1_48merge_mergepath_partition_config_static_selectorELNS0_4arch9wavefront6targetE0EEEvSG_ ; -- Begin function _ZN7rocprim17ROCPRIM_400000_NS6detail17trampoline_kernelINS0_14default_configENS1_38merge_sort_block_merge_config_selectorI6__halfNS0_10empty_typeEEEZZNS1_27merge_sort_block_merge_implIS3_PS5_PS6_jNS1_19radix_merge_compareILb0ELb0ES5_NS0_19identity_decomposerEEEEE10hipError_tT0_T1_T2_jT3_P12ihipStream_tbPNSt15iterator_traitsISF_E10value_typeEPNSL_ISG_E10value_typeEPSH_NS1_7vsmem_tEENKUlT_SF_SG_SH_E_clIS9_S9_SA_SA_EESE_SU_SF_SG_SH_EUlSU_E_NS1_11comp_targetILNS1_3genE5ELNS1_11target_archE942ELNS1_3gpuE9ELNS1_3repE0EEENS1_48merge_mergepath_partition_config_static_selectorELNS0_4arch9wavefront6targetE0EEEvSG_
	.globl	_ZN7rocprim17ROCPRIM_400000_NS6detail17trampoline_kernelINS0_14default_configENS1_38merge_sort_block_merge_config_selectorI6__halfNS0_10empty_typeEEEZZNS1_27merge_sort_block_merge_implIS3_PS5_PS6_jNS1_19radix_merge_compareILb0ELb0ES5_NS0_19identity_decomposerEEEEE10hipError_tT0_T1_T2_jT3_P12ihipStream_tbPNSt15iterator_traitsISF_E10value_typeEPNSL_ISG_E10value_typeEPSH_NS1_7vsmem_tEENKUlT_SF_SG_SH_E_clIS9_S9_SA_SA_EESE_SU_SF_SG_SH_EUlSU_E_NS1_11comp_targetILNS1_3genE5ELNS1_11target_archE942ELNS1_3gpuE9ELNS1_3repE0EEENS1_48merge_mergepath_partition_config_static_selectorELNS0_4arch9wavefront6targetE0EEEvSG_
	.p2align	8
	.type	_ZN7rocprim17ROCPRIM_400000_NS6detail17trampoline_kernelINS0_14default_configENS1_38merge_sort_block_merge_config_selectorI6__halfNS0_10empty_typeEEEZZNS1_27merge_sort_block_merge_implIS3_PS5_PS6_jNS1_19radix_merge_compareILb0ELb0ES5_NS0_19identity_decomposerEEEEE10hipError_tT0_T1_T2_jT3_P12ihipStream_tbPNSt15iterator_traitsISF_E10value_typeEPNSL_ISG_E10value_typeEPSH_NS1_7vsmem_tEENKUlT_SF_SG_SH_E_clIS9_S9_SA_SA_EESE_SU_SF_SG_SH_EUlSU_E_NS1_11comp_targetILNS1_3genE5ELNS1_11target_archE942ELNS1_3gpuE9ELNS1_3repE0EEENS1_48merge_mergepath_partition_config_static_selectorELNS0_4arch9wavefront6targetE0EEEvSG_,@function
_ZN7rocprim17ROCPRIM_400000_NS6detail17trampoline_kernelINS0_14default_configENS1_38merge_sort_block_merge_config_selectorI6__halfNS0_10empty_typeEEEZZNS1_27merge_sort_block_merge_implIS3_PS5_PS6_jNS1_19radix_merge_compareILb0ELb0ES5_NS0_19identity_decomposerEEEEE10hipError_tT0_T1_T2_jT3_P12ihipStream_tbPNSt15iterator_traitsISF_E10value_typeEPNSL_ISG_E10value_typeEPSH_NS1_7vsmem_tEENKUlT_SF_SG_SH_E_clIS9_S9_SA_SA_EESE_SU_SF_SG_SH_EUlSU_E_NS1_11comp_targetILNS1_3genE5ELNS1_11target_archE942ELNS1_3gpuE9ELNS1_3repE0EEENS1_48merge_mergepath_partition_config_static_selectorELNS0_4arch9wavefront6targetE0EEEvSG_: ; @_ZN7rocprim17ROCPRIM_400000_NS6detail17trampoline_kernelINS0_14default_configENS1_38merge_sort_block_merge_config_selectorI6__halfNS0_10empty_typeEEEZZNS1_27merge_sort_block_merge_implIS3_PS5_PS6_jNS1_19radix_merge_compareILb0ELb0ES5_NS0_19identity_decomposerEEEEE10hipError_tT0_T1_T2_jT3_P12ihipStream_tbPNSt15iterator_traitsISF_E10value_typeEPNSL_ISG_E10value_typeEPSH_NS1_7vsmem_tEENKUlT_SF_SG_SH_E_clIS9_S9_SA_SA_EESE_SU_SF_SG_SH_EUlSU_E_NS1_11comp_targetILNS1_3genE5ELNS1_11target_archE942ELNS1_3gpuE9ELNS1_3repE0EEENS1_48merge_mergepath_partition_config_static_selectorELNS0_4arch9wavefront6targetE0EEEvSG_
; %bb.0:
	.section	.rodata,"a",@progbits
	.p2align	6, 0x0
	.amdhsa_kernel _ZN7rocprim17ROCPRIM_400000_NS6detail17trampoline_kernelINS0_14default_configENS1_38merge_sort_block_merge_config_selectorI6__halfNS0_10empty_typeEEEZZNS1_27merge_sort_block_merge_implIS3_PS5_PS6_jNS1_19radix_merge_compareILb0ELb0ES5_NS0_19identity_decomposerEEEEE10hipError_tT0_T1_T2_jT3_P12ihipStream_tbPNSt15iterator_traitsISF_E10value_typeEPNSL_ISG_E10value_typeEPSH_NS1_7vsmem_tEENKUlT_SF_SG_SH_E_clIS9_S9_SA_SA_EESE_SU_SF_SG_SH_EUlSU_E_NS1_11comp_targetILNS1_3genE5ELNS1_11target_archE942ELNS1_3gpuE9ELNS1_3repE0EEENS1_48merge_mergepath_partition_config_static_selectorELNS0_4arch9wavefront6targetE0EEEvSG_
		.amdhsa_group_segment_fixed_size 0
		.amdhsa_private_segment_fixed_size 0
		.amdhsa_kernarg_size 40
		.amdhsa_user_sgpr_count 2
		.amdhsa_user_sgpr_dispatch_ptr 0
		.amdhsa_user_sgpr_queue_ptr 0
		.amdhsa_user_sgpr_kernarg_segment_ptr 1
		.amdhsa_user_sgpr_dispatch_id 0
		.amdhsa_user_sgpr_kernarg_preload_length 0
		.amdhsa_user_sgpr_kernarg_preload_offset 0
		.amdhsa_user_sgpr_private_segment_size 0
		.amdhsa_wavefront_size32 1
		.amdhsa_uses_dynamic_stack 0
		.amdhsa_enable_private_segment 0
		.amdhsa_system_sgpr_workgroup_id_x 1
		.amdhsa_system_sgpr_workgroup_id_y 0
		.amdhsa_system_sgpr_workgroup_id_z 0
		.amdhsa_system_sgpr_workgroup_info 0
		.amdhsa_system_vgpr_workitem_id 0
		.amdhsa_next_free_vgpr 1
		.amdhsa_next_free_sgpr 1
		.amdhsa_named_barrier_count 0
		.amdhsa_reserve_vcc 0
		.amdhsa_float_round_mode_32 0
		.amdhsa_float_round_mode_16_64 0
		.amdhsa_float_denorm_mode_32 3
		.amdhsa_float_denorm_mode_16_64 3
		.amdhsa_fp16_overflow 0
		.amdhsa_memory_ordered 1
		.amdhsa_forward_progress 1
		.amdhsa_inst_pref_size 0
		.amdhsa_round_robin_scheduling 0
		.amdhsa_exception_fp_ieee_invalid_op 0
		.amdhsa_exception_fp_denorm_src 0
		.amdhsa_exception_fp_ieee_div_zero 0
		.amdhsa_exception_fp_ieee_overflow 0
		.amdhsa_exception_fp_ieee_underflow 0
		.amdhsa_exception_fp_ieee_inexact 0
		.amdhsa_exception_int_div_zero 0
	.end_amdhsa_kernel
	.section	.text._ZN7rocprim17ROCPRIM_400000_NS6detail17trampoline_kernelINS0_14default_configENS1_38merge_sort_block_merge_config_selectorI6__halfNS0_10empty_typeEEEZZNS1_27merge_sort_block_merge_implIS3_PS5_PS6_jNS1_19radix_merge_compareILb0ELb0ES5_NS0_19identity_decomposerEEEEE10hipError_tT0_T1_T2_jT3_P12ihipStream_tbPNSt15iterator_traitsISF_E10value_typeEPNSL_ISG_E10value_typeEPSH_NS1_7vsmem_tEENKUlT_SF_SG_SH_E_clIS9_S9_SA_SA_EESE_SU_SF_SG_SH_EUlSU_E_NS1_11comp_targetILNS1_3genE5ELNS1_11target_archE942ELNS1_3gpuE9ELNS1_3repE0EEENS1_48merge_mergepath_partition_config_static_selectorELNS0_4arch9wavefront6targetE0EEEvSG_,"axG",@progbits,_ZN7rocprim17ROCPRIM_400000_NS6detail17trampoline_kernelINS0_14default_configENS1_38merge_sort_block_merge_config_selectorI6__halfNS0_10empty_typeEEEZZNS1_27merge_sort_block_merge_implIS3_PS5_PS6_jNS1_19radix_merge_compareILb0ELb0ES5_NS0_19identity_decomposerEEEEE10hipError_tT0_T1_T2_jT3_P12ihipStream_tbPNSt15iterator_traitsISF_E10value_typeEPNSL_ISG_E10value_typeEPSH_NS1_7vsmem_tEENKUlT_SF_SG_SH_E_clIS9_S9_SA_SA_EESE_SU_SF_SG_SH_EUlSU_E_NS1_11comp_targetILNS1_3genE5ELNS1_11target_archE942ELNS1_3gpuE9ELNS1_3repE0EEENS1_48merge_mergepath_partition_config_static_selectorELNS0_4arch9wavefront6targetE0EEEvSG_,comdat
.Lfunc_end2210:
	.size	_ZN7rocprim17ROCPRIM_400000_NS6detail17trampoline_kernelINS0_14default_configENS1_38merge_sort_block_merge_config_selectorI6__halfNS0_10empty_typeEEEZZNS1_27merge_sort_block_merge_implIS3_PS5_PS6_jNS1_19radix_merge_compareILb0ELb0ES5_NS0_19identity_decomposerEEEEE10hipError_tT0_T1_T2_jT3_P12ihipStream_tbPNSt15iterator_traitsISF_E10value_typeEPNSL_ISG_E10value_typeEPSH_NS1_7vsmem_tEENKUlT_SF_SG_SH_E_clIS9_S9_SA_SA_EESE_SU_SF_SG_SH_EUlSU_E_NS1_11comp_targetILNS1_3genE5ELNS1_11target_archE942ELNS1_3gpuE9ELNS1_3repE0EEENS1_48merge_mergepath_partition_config_static_selectorELNS0_4arch9wavefront6targetE0EEEvSG_, .Lfunc_end2210-_ZN7rocprim17ROCPRIM_400000_NS6detail17trampoline_kernelINS0_14default_configENS1_38merge_sort_block_merge_config_selectorI6__halfNS0_10empty_typeEEEZZNS1_27merge_sort_block_merge_implIS3_PS5_PS6_jNS1_19radix_merge_compareILb0ELb0ES5_NS0_19identity_decomposerEEEEE10hipError_tT0_T1_T2_jT3_P12ihipStream_tbPNSt15iterator_traitsISF_E10value_typeEPNSL_ISG_E10value_typeEPSH_NS1_7vsmem_tEENKUlT_SF_SG_SH_E_clIS9_S9_SA_SA_EESE_SU_SF_SG_SH_EUlSU_E_NS1_11comp_targetILNS1_3genE5ELNS1_11target_archE942ELNS1_3gpuE9ELNS1_3repE0EEENS1_48merge_mergepath_partition_config_static_selectorELNS0_4arch9wavefront6targetE0EEEvSG_
                                        ; -- End function
	.set _ZN7rocprim17ROCPRIM_400000_NS6detail17trampoline_kernelINS0_14default_configENS1_38merge_sort_block_merge_config_selectorI6__halfNS0_10empty_typeEEEZZNS1_27merge_sort_block_merge_implIS3_PS5_PS6_jNS1_19radix_merge_compareILb0ELb0ES5_NS0_19identity_decomposerEEEEE10hipError_tT0_T1_T2_jT3_P12ihipStream_tbPNSt15iterator_traitsISF_E10value_typeEPNSL_ISG_E10value_typeEPSH_NS1_7vsmem_tEENKUlT_SF_SG_SH_E_clIS9_S9_SA_SA_EESE_SU_SF_SG_SH_EUlSU_E_NS1_11comp_targetILNS1_3genE5ELNS1_11target_archE942ELNS1_3gpuE9ELNS1_3repE0EEENS1_48merge_mergepath_partition_config_static_selectorELNS0_4arch9wavefront6targetE0EEEvSG_.num_vgpr, 0
	.set _ZN7rocprim17ROCPRIM_400000_NS6detail17trampoline_kernelINS0_14default_configENS1_38merge_sort_block_merge_config_selectorI6__halfNS0_10empty_typeEEEZZNS1_27merge_sort_block_merge_implIS3_PS5_PS6_jNS1_19radix_merge_compareILb0ELb0ES5_NS0_19identity_decomposerEEEEE10hipError_tT0_T1_T2_jT3_P12ihipStream_tbPNSt15iterator_traitsISF_E10value_typeEPNSL_ISG_E10value_typeEPSH_NS1_7vsmem_tEENKUlT_SF_SG_SH_E_clIS9_S9_SA_SA_EESE_SU_SF_SG_SH_EUlSU_E_NS1_11comp_targetILNS1_3genE5ELNS1_11target_archE942ELNS1_3gpuE9ELNS1_3repE0EEENS1_48merge_mergepath_partition_config_static_selectorELNS0_4arch9wavefront6targetE0EEEvSG_.num_agpr, 0
	.set _ZN7rocprim17ROCPRIM_400000_NS6detail17trampoline_kernelINS0_14default_configENS1_38merge_sort_block_merge_config_selectorI6__halfNS0_10empty_typeEEEZZNS1_27merge_sort_block_merge_implIS3_PS5_PS6_jNS1_19radix_merge_compareILb0ELb0ES5_NS0_19identity_decomposerEEEEE10hipError_tT0_T1_T2_jT3_P12ihipStream_tbPNSt15iterator_traitsISF_E10value_typeEPNSL_ISG_E10value_typeEPSH_NS1_7vsmem_tEENKUlT_SF_SG_SH_E_clIS9_S9_SA_SA_EESE_SU_SF_SG_SH_EUlSU_E_NS1_11comp_targetILNS1_3genE5ELNS1_11target_archE942ELNS1_3gpuE9ELNS1_3repE0EEENS1_48merge_mergepath_partition_config_static_selectorELNS0_4arch9wavefront6targetE0EEEvSG_.numbered_sgpr, 0
	.set _ZN7rocprim17ROCPRIM_400000_NS6detail17trampoline_kernelINS0_14default_configENS1_38merge_sort_block_merge_config_selectorI6__halfNS0_10empty_typeEEEZZNS1_27merge_sort_block_merge_implIS3_PS5_PS6_jNS1_19radix_merge_compareILb0ELb0ES5_NS0_19identity_decomposerEEEEE10hipError_tT0_T1_T2_jT3_P12ihipStream_tbPNSt15iterator_traitsISF_E10value_typeEPNSL_ISG_E10value_typeEPSH_NS1_7vsmem_tEENKUlT_SF_SG_SH_E_clIS9_S9_SA_SA_EESE_SU_SF_SG_SH_EUlSU_E_NS1_11comp_targetILNS1_3genE5ELNS1_11target_archE942ELNS1_3gpuE9ELNS1_3repE0EEENS1_48merge_mergepath_partition_config_static_selectorELNS0_4arch9wavefront6targetE0EEEvSG_.num_named_barrier, 0
	.set _ZN7rocprim17ROCPRIM_400000_NS6detail17trampoline_kernelINS0_14default_configENS1_38merge_sort_block_merge_config_selectorI6__halfNS0_10empty_typeEEEZZNS1_27merge_sort_block_merge_implIS3_PS5_PS6_jNS1_19radix_merge_compareILb0ELb0ES5_NS0_19identity_decomposerEEEEE10hipError_tT0_T1_T2_jT3_P12ihipStream_tbPNSt15iterator_traitsISF_E10value_typeEPNSL_ISG_E10value_typeEPSH_NS1_7vsmem_tEENKUlT_SF_SG_SH_E_clIS9_S9_SA_SA_EESE_SU_SF_SG_SH_EUlSU_E_NS1_11comp_targetILNS1_3genE5ELNS1_11target_archE942ELNS1_3gpuE9ELNS1_3repE0EEENS1_48merge_mergepath_partition_config_static_selectorELNS0_4arch9wavefront6targetE0EEEvSG_.private_seg_size, 0
	.set _ZN7rocprim17ROCPRIM_400000_NS6detail17trampoline_kernelINS0_14default_configENS1_38merge_sort_block_merge_config_selectorI6__halfNS0_10empty_typeEEEZZNS1_27merge_sort_block_merge_implIS3_PS5_PS6_jNS1_19radix_merge_compareILb0ELb0ES5_NS0_19identity_decomposerEEEEE10hipError_tT0_T1_T2_jT3_P12ihipStream_tbPNSt15iterator_traitsISF_E10value_typeEPNSL_ISG_E10value_typeEPSH_NS1_7vsmem_tEENKUlT_SF_SG_SH_E_clIS9_S9_SA_SA_EESE_SU_SF_SG_SH_EUlSU_E_NS1_11comp_targetILNS1_3genE5ELNS1_11target_archE942ELNS1_3gpuE9ELNS1_3repE0EEENS1_48merge_mergepath_partition_config_static_selectorELNS0_4arch9wavefront6targetE0EEEvSG_.uses_vcc, 0
	.set _ZN7rocprim17ROCPRIM_400000_NS6detail17trampoline_kernelINS0_14default_configENS1_38merge_sort_block_merge_config_selectorI6__halfNS0_10empty_typeEEEZZNS1_27merge_sort_block_merge_implIS3_PS5_PS6_jNS1_19radix_merge_compareILb0ELb0ES5_NS0_19identity_decomposerEEEEE10hipError_tT0_T1_T2_jT3_P12ihipStream_tbPNSt15iterator_traitsISF_E10value_typeEPNSL_ISG_E10value_typeEPSH_NS1_7vsmem_tEENKUlT_SF_SG_SH_E_clIS9_S9_SA_SA_EESE_SU_SF_SG_SH_EUlSU_E_NS1_11comp_targetILNS1_3genE5ELNS1_11target_archE942ELNS1_3gpuE9ELNS1_3repE0EEENS1_48merge_mergepath_partition_config_static_selectorELNS0_4arch9wavefront6targetE0EEEvSG_.uses_flat_scratch, 0
	.set _ZN7rocprim17ROCPRIM_400000_NS6detail17trampoline_kernelINS0_14default_configENS1_38merge_sort_block_merge_config_selectorI6__halfNS0_10empty_typeEEEZZNS1_27merge_sort_block_merge_implIS3_PS5_PS6_jNS1_19radix_merge_compareILb0ELb0ES5_NS0_19identity_decomposerEEEEE10hipError_tT0_T1_T2_jT3_P12ihipStream_tbPNSt15iterator_traitsISF_E10value_typeEPNSL_ISG_E10value_typeEPSH_NS1_7vsmem_tEENKUlT_SF_SG_SH_E_clIS9_S9_SA_SA_EESE_SU_SF_SG_SH_EUlSU_E_NS1_11comp_targetILNS1_3genE5ELNS1_11target_archE942ELNS1_3gpuE9ELNS1_3repE0EEENS1_48merge_mergepath_partition_config_static_selectorELNS0_4arch9wavefront6targetE0EEEvSG_.has_dyn_sized_stack, 0
	.set _ZN7rocprim17ROCPRIM_400000_NS6detail17trampoline_kernelINS0_14default_configENS1_38merge_sort_block_merge_config_selectorI6__halfNS0_10empty_typeEEEZZNS1_27merge_sort_block_merge_implIS3_PS5_PS6_jNS1_19radix_merge_compareILb0ELb0ES5_NS0_19identity_decomposerEEEEE10hipError_tT0_T1_T2_jT3_P12ihipStream_tbPNSt15iterator_traitsISF_E10value_typeEPNSL_ISG_E10value_typeEPSH_NS1_7vsmem_tEENKUlT_SF_SG_SH_E_clIS9_S9_SA_SA_EESE_SU_SF_SG_SH_EUlSU_E_NS1_11comp_targetILNS1_3genE5ELNS1_11target_archE942ELNS1_3gpuE9ELNS1_3repE0EEENS1_48merge_mergepath_partition_config_static_selectorELNS0_4arch9wavefront6targetE0EEEvSG_.has_recursion, 0
	.set _ZN7rocprim17ROCPRIM_400000_NS6detail17trampoline_kernelINS0_14default_configENS1_38merge_sort_block_merge_config_selectorI6__halfNS0_10empty_typeEEEZZNS1_27merge_sort_block_merge_implIS3_PS5_PS6_jNS1_19radix_merge_compareILb0ELb0ES5_NS0_19identity_decomposerEEEEE10hipError_tT0_T1_T2_jT3_P12ihipStream_tbPNSt15iterator_traitsISF_E10value_typeEPNSL_ISG_E10value_typeEPSH_NS1_7vsmem_tEENKUlT_SF_SG_SH_E_clIS9_S9_SA_SA_EESE_SU_SF_SG_SH_EUlSU_E_NS1_11comp_targetILNS1_3genE5ELNS1_11target_archE942ELNS1_3gpuE9ELNS1_3repE0EEENS1_48merge_mergepath_partition_config_static_selectorELNS0_4arch9wavefront6targetE0EEEvSG_.has_indirect_call, 0
	.section	.AMDGPU.csdata,"",@progbits
; Kernel info:
; codeLenInByte = 0
; TotalNumSgprs: 0
; NumVgprs: 0
; ScratchSize: 0
; MemoryBound: 0
; FloatMode: 240
; IeeeMode: 1
; LDSByteSize: 0 bytes/workgroup (compile time only)
; SGPRBlocks: 0
; VGPRBlocks: 0
; NumSGPRsForWavesPerEU: 1
; NumVGPRsForWavesPerEU: 1
; NamedBarCnt: 0
; Occupancy: 16
; WaveLimiterHint : 0
; COMPUTE_PGM_RSRC2:SCRATCH_EN: 0
; COMPUTE_PGM_RSRC2:USER_SGPR: 2
; COMPUTE_PGM_RSRC2:TRAP_HANDLER: 0
; COMPUTE_PGM_RSRC2:TGID_X_EN: 1
; COMPUTE_PGM_RSRC2:TGID_Y_EN: 0
; COMPUTE_PGM_RSRC2:TGID_Z_EN: 0
; COMPUTE_PGM_RSRC2:TIDIG_COMP_CNT: 0
	.section	.text._ZN7rocprim17ROCPRIM_400000_NS6detail17trampoline_kernelINS0_14default_configENS1_38merge_sort_block_merge_config_selectorI6__halfNS0_10empty_typeEEEZZNS1_27merge_sort_block_merge_implIS3_PS5_PS6_jNS1_19radix_merge_compareILb0ELb0ES5_NS0_19identity_decomposerEEEEE10hipError_tT0_T1_T2_jT3_P12ihipStream_tbPNSt15iterator_traitsISF_E10value_typeEPNSL_ISG_E10value_typeEPSH_NS1_7vsmem_tEENKUlT_SF_SG_SH_E_clIS9_S9_SA_SA_EESE_SU_SF_SG_SH_EUlSU_E_NS1_11comp_targetILNS1_3genE4ELNS1_11target_archE910ELNS1_3gpuE8ELNS1_3repE0EEENS1_48merge_mergepath_partition_config_static_selectorELNS0_4arch9wavefront6targetE0EEEvSG_,"axG",@progbits,_ZN7rocprim17ROCPRIM_400000_NS6detail17trampoline_kernelINS0_14default_configENS1_38merge_sort_block_merge_config_selectorI6__halfNS0_10empty_typeEEEZZNS1_27merge_sort_block_merge_implIS3_PS5_PS6_jNS1_19radix_merge_compareILb0ELb0ES5_NS0_19identity_decomposerEEEEE10hipError_tT0_T1_T2_jT3_P12ihipStream_tbPNSt15iterator_traitsISF_E10value_typeEPNSL_ISG_E10value_typeEPSH_NS1_7vsmem_tEENKUlT_SF_SG_SH_E_clIS9_S9_SA_SA_EESE_SU_SF_SG_SH_EUlSU_E_NS1_11comp_targetILNS1_3genE4ELNS1_11target_archE910ELNS1_3gpuE8ELNS1_3repE0EEENS1_48merge_mergepath_partition_config_static_selectorELNS0_4arch9wavefront6targetE0EEEvSG_,comdat
	.protected	_ZN7rocprim17ROCPRIM_400000_NS6detail17trampoline_kernelINS0_14default_configENS1_38merge_sort_block_merge_config_selectorI6__halfNS0_10empty_typeEEEZZNS1_27merge_sort_block_merge_implIS3_PS5_PS6_jNS1_19radix_merge_compareILb0ELb0ES5_NS0_19identity_decomposerEEEEE10hipError_tT0_T1_T2_jT3_P12ihipStream_tbPNSt15iterator_traitsISF_E10value_typeEPNSL_ISG_E10value_typeEPSH_NS1_7vsmem_tEENKUlT_SF_SG_SH_E_clIS9_S9_SA_SA_EESE_SU_SF_SG_SH_EUlSU_E_NS1_11comp_targetILNS1_3genE4ELNS1_11target_archE910ELNS1_3gpuE8ELNS1_3repE0EEENS1_48merge_mergepath_partition_config_static_selectorELNS0_4arch9wavefront6targetE0EEEvSG_ ; -- Begin function _ZN7rocprim17ROCPRIM_400000_NS6detail17trampoline_kernelINS0_14default_configENS1_38merge_sort_block_merge_config_selectorI6__halfNS0_10empty_typeEEEZZNS1_27merge_sort_block_merge_implIS3_PS5_PS6_jNS1_19radix_merge_compareILb0ELb0ES5_NS0_19identity_decomposerEEEEE10hipError_tT0_T1_T2_jT3_P12ihipStream_tbPNSt15iterator_traitsISF_E10value_typeEPNSL_ISG_E10value_typeEPSH_NS1_7vsmem_tEENKUlT_SF_SG_SH_E_clIS9_S9_SA_SA_EESE_SU_SF_SG_SH_EUlSU_E_NS1_11comp_targetILNS1_3genE4ELNS1_11target_archE910ELNS1_3gpuE8ELNS1_3repE0EEENS1_48merge_mergepath_partition_config_static_selectorELNS0_4arch9wavefront6targetE0EEEvSG_
	.globl	_ZN7rocprim17ROCPRIM_400000_NS6detail17trampoline_kernelINS0_14default_configENS1_38merge_sort_block_merge_config_selectorI6__halfNS0_10empty_typeEEEZZNS1_27merge_sort_block_merge_implIS3_PS5_PS6_jNS1_19radix_merge_compareILb0ELb0ES5_NS0_19identity_decomposerEEEEE10hipError_tT0_T1_T2_jT3_P12ihipStream_tbPNSt15iterator_traitsISF_E10value_typeEPNSL_ISG_E10value_typeEPSH_NS1_7vsmem_tEENKUlT_SF_SG_SH_E_clIS9_S9_SA_SA_EESE_SU_SF_SG_SH_EUlSU_E_NS1_11comp_targetILNS1_3genE4ELNS1_11target_archE910ELNS1_3gpuE8ELNS1_3repE0EEENS1_48merge_mergepath_partition_config_static_selectorELNS0_4arch9wavefront6targetE0EEEvSG_
	.p2align	8
	.type	_ZN7rocprim17ROCPRIM_400000_NS6detail17trampoline_kernelINS0_14default_configENS1_38merge_sort_block_merge_config_selectorI6__halfNS0_10empty_typeEEEZZNS1_27merge_sort_block_merge_implIS3_PS5_PS6_jNS1_19radix_merge_compareILb0ELb0ES5_NS0_19identity_decomposerEEEEE10hipError_tT0_T1_T2_jT3_P12ihipStream_tbPNSt15iterator_traitsISF_E10value_typeEPNSL_ISG_E10value_typeEPSH_NS1_7vsmem_tEENKUlT_SF_SG_SH_E_clIS9_S9_SA_SA_EESE_SU_SF_SG_SH_EUlSU_E_NS1_11comp_targetILNS1_3genE4ELNS1_11target_archE910ELNS1_3gpuE8ELNS1_3repE0EEENS1_48merge_mergepath_partition_config_static_selectorELNS0_4arch9wavefront6targetE0EEEvSG_,@function
_ZN7rocprim17ROCPRIM_400000_NS6detail17trampoline_kernelINS0_14default_configENS1_38merge_sort_block_merge_config_selectorI6__halfNS0_10empty_typeEEEZZNS1_27merge_sort_block_merge_implIS3_PS5_PS6_jNS1_19radix_merge_compareILb0ELb0ES5_NS0_19identity_decomposerEEEEE10hipError_tT0_T1_T2_jT3_P12ihipStream_tbPNSt15iterator_traitsISF_E10value_typeEPNSL_ISG_E10value_typeEPSH_NS1_7vsmem_tEENKUlT_SF_SG_SH_E_clIS9_S9_SA_SA_EESE_SU_SF_SG_SH_EUlSU_E_NS1_11comp_targetILNS1_3genE4ELNS1_11target_archE910ELNS1_3gpuE8ELNS1_3repE0EEENS1_48merge_mergepath_partition_config_static_selectorELNS0_4arch9wavefront6targetE0EEEvSG_: ; @_ZN7rocprim17ROCPRIM_400000_NS6detail17trampoline_kernelINS0_14default_configENS1_38merge_sort_block_merge_config_selectorI6__halfNS0_10empty_typeEEEZZNS1_27merge_sort_block_merge_implIS3_PS5_PS6_jNS1_19radix_merge_compareILb0ELb0ES5_NS0_19identity_decomposerEEEEE10hipError_tT0_T1_T2_jT3_P12ihipStream_tbPNSt15iterator_traitsISF_E10value_typeEPNSL_ISG_E10value_typeEPSH_NS1_7vsmem_tEENKUlT_SF_SG_SH_E_clIS9_S9_SA_SA_EESE_SU_SF_SG_SH_EUlSU_E_NS1_11comp_targetILNS1_3genE4ELNS1_11target_archE910ELNS1_3gpuE8ELNS1_3repE0EEENS1_48merge_mergepath_partition_config_static_selectorELNS0_4arch9wavefront6targetE0EEEvSG_
; %bb.0:
	.section	.rodata,"a",@progbits
	.p2align	6, 0x0
	.amdhsa_kernel _ZN7rocprim17ROCPRIM_400000_NS6detail17trampoline_kernelINS0_14default_configENS1_38merge_sort_block_merge_config_selectorI6__halfNS0_10empty_typeEEEZZNS1_27merge_sort_block_merge_implIS3_PS5_PS6_jNS1_19radix_merge_compareILb0ELb0ES5_NS0_19identity_decomposerEEEEE10hipError_tT0_T1_T2_jT3_P12ihipStream_tbPNSt15iterator_traitsISF_E10value_typeEPNSL_ISG_E10value_typeEPSH_NS1_7vsmem_tEENKUlT_SF_SG_SH_E_clIS9_S9_SA_SA_EESE_SU_SF_SG_SH_EUlSU_E_NS1_11comp_targetILNS1_3genE4ELNS1_11target_archE910ELNS1_3gpuE8ELNS1_3repE0EEENS1_48merge_mergepath_partition_config_static_selectorELNS0_4arch9wavefront6targetE0EEEvSG_
		.amdhsa_group_segment_fixed_size 0
		.amdhsa_private_segment_fixed_size 0
		.amdhsa_kernarg_size 40
		.amdhsa_user_sgpr_count 2
		.amdhsa_user_sgpr_dispatch_ptr 0
		.amdhsa_user_sgpr_queue_ptr 0
		.amdhsa_user_sgpr_kernarg_segment_ptr 1
		.amdhsa_user_sgpr_dispatch_id 0
		.amdhsa_user_sgpr_kernarg_preload_length 0
		.amdhsa_user_sgpr_kernarg_preload_offset 0
		.amdhsa_user_sgpr_private_segment_size 0
		.amdhsa_wavefront_size32 1
		.amdhsa_uses_dynamic_stack 0
		.amdhsa_enable_private_segment 0
		.amdhsa_system_sgpr_workgroup_id_x 1
		.amdhsa_system_sgpr_workgroup_id_y 0
		.amdhsa_system_sgpr_workgroup_id_z 0
		.amdhsa_system_sgpr_workgroup_info 0
		.amdhsa_system_vgpr_workitem_id 0
		.amdhsa_next_free_vgpr 1
		.amdhsa_next_free_sgpr 1
		.amdhsa_named_barrier_count 0
		.amdhsa_reserve_vcc 0
		.amdhsa_float_round_mode_32 0
		.amdhsa_float_round_mode_16_64 0
		.amdhsa_float_denorm_mode_32 3
		.amdhsa_float_denorm_mode_16_64 3
		.amdhsa_fp16_overflow 0
		.amdhsa_memory_ordered 1
		.amdhsa_forward_progress 1
		.amdhsa_inst_pref_size 0
		.amdhsa_round_robin_scheduling 0
		.amdhsa_exception_fp_ieee_invalid_op 0
		.amdhsa_exception_fp_denorm_src 0
		.amdhsa_exception_fp_ieee_div_zero 0
		.amdhsa_exception_fp_ieee_overflow 0
		.amdhsa_exception_fp_ieee_underflow 0
		.amdhsa_exception_fp_ieee_inexact 0
		.amdhsa_exception_int_div_zero 0
	.end_amdhsa_kernel
	.section	.text._ZN7rocprim17ROCPRIM_400000_NS6detail17trampoline_kernelINS0_14default_configENS1_38merge_sort_block_merge_config_selectorI6__halfNS0_10empty_typeEEEZZNS1_27merge_sort_block_merge_implIS3_PS5_PS6_jNS1_19radix_merge_compareILb0ELb0ES5_NS0_19identity_decomposerEEEEE10hipError_tT0_T1_T2_jT3_P12ihipStream_tbPNSt15iterator_traitsISF_E10value_typeEPNSL_ISG_E10value_typeEPSH_NS1_7vsmem_tEENKUlT_SF_SG_SH_E_clIS9_S9_SA_SA_EESE_SU_SF_SG_SH_EUlSU_E_NS1_11comp_targetILNS1_3genE4ELNS1_11target_archE910ELNS1_3gpuE8ELNS1_3repE0EEENS1_48merge_mergepath_partition_config_static_selectorELNS0_4arch9wavefront6targetE0EEEvSG_,"axG",@progbits,_ZN7rocprim17ROCPRIM_400000_NS6detail17trampoline_kernelINS0_14default_configENS1_38merge_sort_block_merge_config_selectorI6__halfNS0_10empty_typeEEEZZNS1_27merge_sort_block_merge_implIS3_PS5_PS6_jNS1_19radix_merge_compareILb0ELb0ES5_NS0_19identity_decomposerEEEEE10hipError_tT0_T1_T2_jT3_P12ihipStream_tbPNSt15iterator_traitsISF_E10value_typeEPNSL_ISG_E10value_typeEPSH_NS1_7vsmem_tEENKUlT_SF_SG_SH_E_clIS9_S9_SA_SA_EESE_SU_SF_SG_SH_EUlSU_E_NS1_11comp_targetILNS1_3genE4ELNS1_11target_archE910ELNS1_3gpuE8ELNS1_3repE0EEENS1_48merge_mergepath_partition_config_static_selectorELNS0_4arch9wavefront6targetE0EEEvSG_,comdat
.Lfunc_end2211:
	.size	_ZN7rocprim17ROCPRIM_400000_NS6detail17trampoline_kernelINS0_14default_configENS1_38merge_sort_block_merge_config_selectorI6__halfNS0_10empty_typeEEEZZNS1_27merge_sort_block_merge_implIS3_PS5_PS6_jNS1_19radix_merge_compareILb0ELb0ES5_NS0_19identity_decomposerEEEEE10hipError_tT0_T1_T2_jT3_P12ihipStream_tbPNSt15iterator_traitsISF_E10value_typeEPNSL_ISG_E10value_typeEPSH_NS1_7vsmem_tEENKUlT_SF_SG_SH_E_clIS9_S9_SA_SA_EESE_SU_SF_SG_SH_EUlSU_E_NS1_11comp_targetILNS1_3genE4ELNS1_11target_archE910ELNS1_3gpuE8ELNS1_3repE0EEENS1_48merge_mergepath_partition_config_static_selectorELNS0_4arch9wavefront6targetE0EEEvSG_, .Lfunc_end2211-_ZN7rocprim17ROCPRIM_400000_NS6detail17trampoline_kernelINS0_14default_configENS1_38merge_sort_block_merge_config_selectorI6__halfNS0_10empty_typeEEEZZNS1_27merge_sort_block_merge_implIS3_PS5_PS6_jNS1_19radix_merge_compareILb0ELb0ES5_NS0_19identity_decomposerEEEEE10hipError_tT0_T1_T2_jT3_P12ihipStream_tbPNSt15iterator_traitsISF_E10value_typeEPNSL_ISG_E10value_typeEPSH_NS1_7vsmem_tEENKUlT_SF_SG_SH_E_clIS9_S9_SA_SA_EESE_SU_SF_SG_SH_EUlSU_E_NS1_11comp_targetILNS1_3genE4ELNS1_11target_archE910ELNS1_3gpuE8ELNS1_3repE0EEENS1_48merge_mergepath_partition_config_static_selectorELNS0_4arch9wavefront6targetE0EEEvSG_
                                        ; -- End function
	.set _ZN7rocprim17ROCPRIM_400000_NS6detail17trampoline_kernelINS0_14default_configENS1_38merge_sort_block_merge_config_selectorI6__halfNS0_10empty_typeEEEZZNS1_27merge_sort_block_merge_implIS3_PS5_PS6_jNS1_19radix_merge_compareILb0ELb0ES5_NS0_19identity_decomposerEEEEE10hipError_tT0_T1_T2_jT3_P12ihipStream_tbPNSt15iterator_traitsISF_E10value_typeEPNSL_ISG_E10value_typeEPSH_NS1_7vsmem_tEENKUlT_SF_SG_SH_E_clIS9_S9_SA_SA_EESE_SU_SF_SG_SH_EUlSU_E_NS1_11comp_targetILNS1_3genE4ELNS1_11target_archE910ELNS1_3gpuE8ELNS1_3repE0EEENS1_48merge_mergepath_partition_config_static_selectorELNS0_4arch9wavefront6targetE0EEEvSG_.num_vgpr, 0
	.set _ZN7rocprim17ROCPRIM_400000_NS6detail17trampoline_kernelINS0_14default_configENS1_38merge_sort_block_merge_config_selectorI6__halfNS0_10empty_typeEEEZZNS1_27merge_sort_block_merge_implIS3_PS5_PS6_jNS1_19radix_merge_compareILb0ELb0ES5_NS0_19identity_decomposerEEEEE10hipError_tT0_T1_T2_jT3_P12ihipStream_tbPNSt15iterator_traitsISF_E10value_typeEPNSL_ISG_E10value_typeEPSH_NS1_7vsmem_tEENKUlT_SF_SG_SH_E_clIS9_S9_SA_SA_EESE_SU_SF_SG_SH_EUlSU_E_NS1_11comp_targetILNS1_3genE4ELNS1_11target_archE910ELNS1_3gpuE8ELNS1_3repE0EEENS1_48merge_mergepath_partition_config_static_selectorELNS0_4arch9wavefront6targetE0EEEvSG_.num_agpr, 0
	.set _ZN7rocprim17ROCPRIM_400000_NS6detail17trampoline_kernelINS0_14default_configENS1_38merge_sort_block_merge_config_selectorI6__halfNS0_10empty_typeEEEZZNS1_27merge_sort_block_merge_implIS3_PS5_PS6_jNS1_19radix_merge_compareILb0ELb0ES5_NS0_19identity_decomposerEEEEE10hipError_tT0_T1_T2_jT3_P12ihipStream_tbPNSt15iterator_traitsISF_E10value_typeEPNSL_ISG_E10value_typeEPSH_NS1_7vsmem_tEENKUlT_SF_SG_SH_E_clIS9_S9_SA_SA_EESE_SU_SF_SG_SH_EUlSU_E_NS1_11comp_targetILNS1_3genE4ELNS1_11target_archE910ELNS1_3gpuE8ELNS1_3repE0EEENS1_48merge_mergepath_partition_config_static_selectorELNS0_4arch9wavefront6targetE0EEEvSG_.numbered_sgpr, 0
	.set _ZN7rocprim17ROCPRIM_400000_NS6detail17trampoline_kernelINS0_14default_configENS1_38merge_sort_block_merge_config_selectorI6__halfNS0_10empty_typeEEEZZNS1_27merge_sort_block_merge_implIS3_PS5_PS6_jNS1_19radix_merge_compareILb0ELb0ES5_NS0_19identity_decomposerEEEEE10hipError_tT0_T1_T2_jT3_P12ihipStream_tbPNSt15iterator_traitsISF_E10value_typeEPNSL_ISG_E10value_typeEPSH_NS1_7vsmem_tEENKUlT_SF_SG_SH_E_clIS9_S9_SA_SA_EESE_SU_SF_SG_SH_EUlSU_E_NS1_11comp_targetILNS1_3genE4ELNS1_11target_archE910ELNS1_3gpuE8ELNS1_3repE0EEENS1_48merge_mergepath_partition_config_static_selectorELNS0_4arch9wavefront6targetE0EEEvSG_.num_named_barrier, 0
	.set _ZN7rocprim17ROCPRIM_400000_NS6detail17trampoline_kernelINS0_14default_configENS1_38merge_sort_block_merge_config_selectorI6__halfNS0_10empty_typeEEEZZNS1_27merge_sort_block_merge_implIS3_PS5_PS6_jNS1_19radix_merge_compareILb0ELb0ES5_NS0_19identity_decomposerEEEEE10hipError_tT0_T1_T2_jT3_P12ihipStream_tbPNSt15iterator_traitsISF_E10value_typeEPNSL_ISG_E10value_typeEPSH_NS1_7vsmem_tEENKUlT_SF_SG_SH_E_clIS9_S9_SA_SA_EESE_SU_SF_SG_SH_EUlSU_E_NS1_11comp_targetILNS1_3genE4ELNS1_11target_archE910ELNS1_3gpuE8ELNS1_3repE0EEENS1_48merge_mergepath_partition_config_static_selectorELNS0_4arch9wavefront6targetE0EEEvSG_.private_seg_size, 0
	.set _ZN7rocprim17ROCPRIM_400000_NS6detail17trampoline_kernelINS0_14default_configENS1_38merge_sort_block_merge_config_selectorI6__halfNS0_10empty_typeEEEZZNS1_27merge_sort_block_merge_implIS3_PS5_PS6_jNS1_19radix_merge_compareILb0ELb0ES5_NS0_19identity_decomposerEEEEE10hipError_tT0_T1_T2_jT3_P12ihipStream_tbPNSt15iterator_traitsISF_E10value_typeEPNSL_ISG_E10value_typeEPSH_NS1_7vsmem_tEENKUlT_SF_SG_SH_E_clIS9_S9_SA_SA_EESE_SU_SF_SG_SH_EUlSU_E_NS1_11comp_targetILNS1_3genE4ELNS1_11target_archE910ELNS1_3gpuE8ELNS1_3repE0EEENS1_48merge_mergepath_partition_config_static_selectorELNS0_4arch9wavefront6targetE0EEEvSG_.uses_vcc, 0
	.set _ZN7rocprim17ROCPRIM_400000_NS6detail17trampoline_kernelINS0_14default_configENS1_38merge_sort_block_merge_config_selectorI6__halfNS0_10empty_typeEEEZZNS1_27merge_sort_block_merge_implIS3_PS5_PS6_jNS1_19radix_merge_compareILb0ELb0ES5_NS0_19identity_decomposerEEEEE10hipError_tT0_T1_T2_jT3_P12ihipStream_tbPNSt15iterator_traitsISF_E10value_typeEPNSL_ISG_E10value_typeEPSH_NS1_7vsmem_tEENKUlT_SF_SG_SH_E_clIS9_S9_SA_SA_EESE_SU_SF_SG_SH_EUlSU_E_NS1_11comp_targetILNS1_3genE4ELNS1_11target_archE910ELNS1_3gpuE8ELNS1_3repE0EEENS1_48merge_mergepath_partition_config_static_selectorELNS0_4arch9wavefront6targetE0EEEvSG_.uses_flat_scratch, 0
	.set _ZN7rocprim17ROCPRIM_400000_NS6detail17trampoline_kernelINS0_14default_configENS1_38merge_sort_block_merge_config_selectorI6__halfNS0_10empty_typeEEEZZNS1_27merge_sort_block_merge_implIS3_PS5_PS6_jNS1_19radix_merge_compareILb0ELb0ES5_NS0_19identity_decomposerEEEEE10hipError_tT0_T1_T2_jT3_P12ihipStream_tbPNSt15iterator_traitsISF_E10value_typeEPNSL_ISG_E10value_typeEPSH_NS1_7vsmem_tEENKUlT_SF_SG_SH_E_clIS9_S9_SA_SA_EESE_SU_SF_SG_SH_EUlSU_E_NS1_11comp_targetILNS1_3genE4ELNS1_11target_archE910ELNS1_3gpuE8ELNS1_3repE0EEENS1_48merge_mergepath_partition_config_static_selectorELNS0_4arch9wavefront6targetE0EEEvSG_.has_dyn_sized_stack, 0
	.set _ZN7rocprim17ROCPRIM_400000_NS6detail17trampoline_kernelINS0_14default_configENS1_38merge_sort_block_merge_config_selectorI6__halfNS0_10empty_typeEEEZZNS1_27merge_sort_block_merge_implIS3_PS5_PS6_jNS1_19radix_merge_compareILb0ELb0ES5_NS0_19identity_decomposerEEEEE10hipError_tT0_T1_T2_jT3_P12ihipStream_tbPNSt15iterator_traitsISF_E10value_typeEPNSL_ISG_E10value_typeEPSH_NS1_7vsmem_tEENKUlT_SF_SG_SH_E_clIS9_S9_SA_SA_EESE_SU_SF_SG_SH_EUlSU_E_NS1_11comp_targetILNS1_3genE4ELNS1_11target_archE910ELNS1_3gpuE8ELNS1_3repE0EEENS1_48merge_mergepath_partition_config_static_selectorELNS0_4arch9wavefront6targetE0EEEvSG_.has_recursion, 0
	.set _ZN7rocprim17ROCPRIM_400000_NS6detail17trampoline_kernelINS0_14default_configENS1_38merge_sort_block_merge_config_selectorI6__halfNS0_10empty_typeEEEZZNS1_27merge_sort_block_merge_implIS3_PS5_PS6_jNS1_19radix_merge_compareILb0ELb0ES5_NS0_19identity_decomposerEEEEE10hipError_tT0_T1_T2_jT3_P12ihipStream_tbPNSt15iterator_traitsISF_E10value_typeEPNSL_ISG_E10value_typeEPSH_NS1_7vsmem_tEENKUlT_SF_SG_SH_E_clIS9_S9_SA_SA_EESE_SU_SF_SG_SH_EUlSU_E_NS1_11comp_targetILNS1_3genE4ELNS1_11target_archE910ELNS1_3gpuE8ELNS1_3repE0EEENS1_48merge_mergepath_partition_config_static_selectorELNS0_4arch9wavefront6targetE0EEEvSG_.has_indirect_call, 0
	.section	.AMDGPU.csdata,"",@progbits
; Kernel info:
; codeLenInByte = 0
; TotalNumSgprs: 0
; NumVgprs: 0
; ScratchSize: 0
; MemoryBound: 0
; FloatMode: 240
; IeeeMode: 1
; LDSByteSize: 0 bytes/workgroup (compile time only)
; SGPRBlocks: 0
; VGPRBlocks: 0
; NumSGPRsForWavesPerEU: 1
; NumVGPRsForWavesPerEU: 1
; NamedBarCnt: 0
; Occupancy: 16
; WaveLimiterHint : 0
; COMPUTE_PGM_RSRC2:SCRATCH_EN: 0
; COMPUTE_PGM_RSRC2:USER_SGPR: 2
; COMPUTE_PGM_RSRC2:TRAP_HANDLER: 0
; COMPUTE_PGM_RSRC2:TGID_X_EN: 1
; COMPUTE_PGM_RSRC2:TGID_Y_EN: 0
; COMPUTE_PGM_RSRC2:TGID_Z_EN: 0
; COMPUTE_PGM_RSRC2:TIDIG_COMP_CNT: 0
	.section	.text._ZN7rocprim17ROCPRIM_400000_NS6detail17trampoline_kernelINS0_14default_configENS1_38merge_sort_block_merge_config_selectorI6__halfNS0_10empty_typeEEEZZNS1_27merge_sort_block_merge_implIS3_PS5_PS6_jNS1_19radix_merge_compareILb0ELb0ES5_NS0_19identity_decomposerEEEEE10hipError_tT0_T1_T2_jT3_P12ihipStream_tbPNSt15iterator_traitsISF_E10value_typeEPNSL_ISG_E10value_typeEPSH_NS1_7vsmem_tEENKUlT_SF_SG_SH_E_clIS9_S9_SA_SA_EESE_SU_SF_SG_SH_EUlSU_E_NS1_11comp_targetILNS1_3genE3ELNS1_11target_archE908ELNS1_3gpuE7ELNS1_3repE0EEENS1_48merge_mergepath_partition_config_static_selectorELNS0_4arch9wavefront6targetE0EEEvSG_,"axG",@progbits,_ZN7rocprim17ROCPRIM_400000_NS6detail17trampoline_kernelINS0_14default_configENS1_38merge_sort_block_merge_config_selectorI6__halfNS0_10empty_typeEEEZZNS1_27merge_sort_block_merge_implIS3_PS5_PS6_jNS1_19radix_merge_compareILb0ELb0ES5_NS0_19identity_decomposerEEEEE10hipError_tT0_T1_T2_jT3_P12ihipStream_tbPNSt15iterator_traitsISF_E10value_typeEPNSL_ISG_E10value_typeEPSH_NS1_7vsmem_tEENKUlT_SF_SG_SH_E_clIS9_S9_SA_SA_EESE_SU_SF_SG_SH_EUlSU_E_NS1_11comp_targetILNS1_3genE3ELNS1_11target_archE908ELNS1_3gpuE7ELNS1_3repE0EEENS1_48merge_mergepath_partition_config_static_selectorELNS0_4arch9wavefront6targetE0EEEvSG_,comdat
	.protected	_ZN7rocprim17ROCPRIM_400000_NS6detail17trampoline_kernelINS0_14default_configENS1_38merge_sort_block_merge_config_selectorI6__halfNS0_10empty_typeEEEZZNS1_27merge_sort_block_merge_implIS3_PS5_PS6_jNS1_19radix_merge_compareILb0ELb0ES5_NS0_19identity_decomposerEEEEE10hipError_tT0_T1_T2_jT3_P12ihipStream_tbPNSt15iterator_traitsISF_E10value_typeEPNSL_ISG_E10value_typeEPSH_NS1_7vsmem_tEENKUlT_SF_SG_SH_E_clIS9_S9_SA_SA_EESE_SU_SF_SG_SH_EUlSU_E_NS1_11comp_targetILNS1_3genE3ELNS1_11target_archE908ELNS1_3gpuE7ELNS1_3repE0EEENS1_48merge_mergepath_partition_config_static_selectorELNS0_4arch9wavefront6targetE0EEEvSG_ ; -- Begin function _ZN7rocprim17ROCPRIM_400000_NS6detail17trampoline_kernelINS0_14default_configENS1_38merge_sort_block_merge_config_selectorI6__halfNS0_10empty_typeEEEZZNS1_27merge_sort_block_merge_implIS3_PS5_PS6_jNS1_19radix_merge_compareILb0ELb0ES5_NS0_19identity_decomposerEEEEE10hipError_tT0_T1_T2_jT3_P12ihipStream_tbPNSt15iterator_traitsISF_E10value_typeEPNSL_ISG_E10value_typeEPSH_NS1_7vsmem_tEENKUlT_SF_SG_SH_E_clIS9_S9_SA_SA_EESE_SU_SF_SG_SH_EUlSU_E_NS1_11comp_targetILNS1_3genE3ELNS1_11target_archE908ELNS1_3gpuE7ELNS1_3repE0EEENS1_48merge_mergepath_partition_config_static_selectorELNS0_4arch9wavefront6targetE0EEEvSG_
	.globl	_ZN7rocprim17ROCPRIM_400000_NS6detail17trampoline_kernelINS0_14default_configENS1_38merge_sort_block_merge_config_selectorI6__halfNS0_10empty_typeEEEZZNS1_27merge_sort_block_merge_implIS3_PS5_PS6_jNS1_19radix_merge_compareILb0ELb0ES5_NS0_19identity_decomposerEEEEE10hipError_tT0_T1_T2_jT3_P12ihipStream_tbPNSt15iterator_traitsISF_E10value_typeEPNSL_ISG_E10value_typeEPSH_NS1_7vsmem_tEENKUlT_SF_SG_SH_E_clIS9_S9_SA_SA_EESE_SU_SF_SG_SH_EUlSU_E_NS1_11comp_targetILNS1_3genE3ELNS1_11target_archE908ELNS1_3gpuE7ELNS1_3repE0EEENS1_48merge_mergepath_partition_config_static_selectorELNS0_4arch9wavefront6targetE0EEEvSG_
	.p2align	8
	.type	_ZN7rocprim17ROCPRIM_400000_NS6detail17trampoline_kernelINS0_14default_configENS1_38merge_sort_block_merge_config_selectorI6__halfNS0_10empty_typeEEEZZNS1_27merge_sort_block_merge_implIS3_PS5_PS6_jNS1_19radix_merge_compareILb0ELb0ES5_NS0_19identity_decomposerEEEEE10hipError_tT0_T1_T2_jT3_P12ihipStream_tbPNSt15iterator_traitsISF_E10value_typeEPNSL_ISG_E10value_typeEPSH_NS1_7vsmem_tEENKUlT_SF_SG_SH_E_clIS9_S9_SA_SA_EESE_SU_SF_SG_SH_EUlSU_E_NS1_11comp_targetILNS1_3genE3ELNS1_11target_archE908ELNS1_3gpuE7ELNS1_3repE0EEENS1_48merge_mergepath_partition_config_static_selectorELNS0_4arch9wavefront6targetE0EEEvSG_,@function
_ZN7rocprim17ROCPRIM_400000_NS6detail17trampoline_kernelINS0_14default_configENS1_38merge_sort_block_merge_config_selectorI6__halfNS0_10empty_typeEEEZZNS1_27merge_sort_block_merge_implIS3_PS5_PS6_jNS1_19radix_merge_compareILb0ELb0ES5_NS0_19identity_decomposerEEEEE10hipError_tT0_T1_T2_jT3_P12ihipStream_tbPNSt15iterator_traitsISF_E10value_typeEPNSL_ISG_E10value_typeEPSH_NS1_7vsmem_tEENKUlT_SF_SG_SH_E_clIS9_S9_SA_SA_EESE_SU_SF_SG_SH_EUlSU_E_NS1_11comp_targetILNS1_3genE3ELNS1_11target_archE908ELNS1_3gpuE7ELNS1_3repE0EEENS1_48merge_mergepath_partition_config_static_selectorELNS0_4arch9wavefront6targetE0EEEvSG_: ; @_ZN7rocprim17ROCPRIM_400000_NS6detail17trampoline_kernelINS0_14default_configENS1_38merge_sort_block_merge_config_selectorI6__halfNS0_10empty_typeEEEZZNS1_27merge_sort_block_merge_implIS3_PS5_PS6_jNS1_19radix_merge_compareILb0ELb0ES5_NS0_19identity_decomposerEEEEE10hipError_tT0_T1_T2_jT3_P12ihipStream_tbPNSt15iterator_traitsISF_E10value_typeEPNSL_ISG_E10value_typeEPSH_NS1_7vsmem_tEENKUlT_SF_SG_SH_E_clIS9_S9_SA_SA_EESE_SU_SF_SG_SH_EUlSU_E_NS1_11comp_targetILNS1_3genE3ELNS1_11target_archE908ELNS1_3gpuE7ELNS1_3repE0EEENS1_48merge_mergepath_partition_config_static_selectorELNS0_4arch9wavefront6targetE0EEEvSG_
; %bb.0:
	.section	.rodata,"a",@progbits
	.p2align	6, 0x0
	.amdhsa_kernel _ZN7rocprim17ROCPRIM_400000_NS6detail17trampoline_kernelINS0_14default_configENS1_38merge_sort_block_merge_config_selectorI6__halfNS0_10empty_typeEEEZZNS1_27merge_sort_block_merge_implIS3_PS5_PS6_jNS1_19radix_merge_compareILb0ELb0ES5_NS0_19identity_decomposerEEEEE10hipError_tT0_T1_T2_jT3_P12ihipStream_tbPNSt15iterator_traitsISF_E10value_typeEPNSL_ISG_E10value_typeEPSH_NS1_7vsmem_tEENKUlT_SF_SG_SH_E_clIS9_S9_SA_SA_EESE_SU_SF_SG_SH_EUlSU_E_NS1_11comp_targetILNS1_3genE3ELNS1_11target_archE908ELNS1_3gpuE7ELNS1_3repE0EEENS1_48merge_mergepath_partition_config_static_selectorELNS0_4arch9wavefront6targetE0EEEvSG_
		.amdhsa_group_segment_fixed_size 0
		.amdhsa_private_segment_fixed_size 0
		.amdhsa_kernarg_size 40
		.amdhsa_user_sgpr_count 2
		.amdhsa_user_sgpr_dispatch_ptr 0
		.amdhsa_user_sgpr_queue_ptr 0
		.amdhsa_user_sgpr_kernarg_segment_ptr 1
		.amdhsa_user_sgpr_dispatch_id 0
		.amdhsa_user_sgpr_kernarg_preload_length 0
		.amdhsa_user_sgpr_kernarg_preload_offset 0
		.amdhsa_user_sgpr_private_segment_size 0
		.amdhsa_wavefront_size32 1
		.amdhsa_uses_dynamic_stack 0
		.amdhsa_enable_private_segment 0
		.amdhsa_system_sgpr_workgroup_id_x 1
		.amdhsa_system_sgpr_workgroup_id_y 0
		.amdhsa_system_sgpr_workgroup_id_z 0
		.amdhsa_system_sgpr_workgroup_info 0
		.amdhsa_system_vgpr_workitem_id 0
		.amdhsa_next_free_vgpr 1
		.amdhsa_next_free_sgpr 1
		.amdhsa_named_barrier_count 0
		.amdhsa_reserve_vcc 0
		.amdhsa_float_round_mode_32 0
		.amdhsa_float_round_mode_16_64 0
		.amdhsa_float_denorm_mode_32 3
		.amdhsa_float_denorm_mode_16_64 3
		.amdhsa_fp16_overflow 0
		.amdhsa_memory_ordered 1
		.amdhsa_forward_progress 1
		.amdhsa_inst_pref_size 0
		.amdhsa_round_robin_scheduling 0
		.amdhsa_exception_fp_ieee_invalid_op 0
		.amdhsa_exception_fp_denorm_src 0
		.amdhsa_exception_fp_ieee_div_zero 0
		.amdhsa_exception_fp_ieee_overflow 0
		.amdhsa_exception_fp_ieee_underflow 0
		.amdhsa_exception_fp_ieee_inexact 0
		.amdhsa_exception_int_div_zero 0
	.end_amdhsa_kernel
	.section	.text._ZN7rocprim17ROCPRIM_400000_NS6detail17trampoline_kernelINS0_14default_configENS1_38merge_sort_block_merge_config_selectorI6__halfNS0_10empty_typeEEEZZNS1_27merge_sort_block_merge_implIS3_PS5_PS6_jNS1_19radix_merge_compareILb0ELb0ES5_NS0_19identity_decomposerEEEEE10hipError_tT0_T1_T2_jT3_P12ihipStream_tbPNSt15iterator_traitsISF_E10value_typeEPNSL_ISG_E10value_typeEPSH_NS1_7vsmem_tEENKUlT_SF_SG_SH_E_clIS9_S9_SA_SA_EESE_SU_SF_SG_SH_EUlSU_E_NS1_11comp_targetILNS1_3genE3ELNS1_11target_archE908ELNS1_3gpuE7ELNS1_3repE0EEENS1_48merge_mergepath_partition_config_static_selectorELNS0_4arch9wavefront6targetE0EEEvSG_,"axG",@progbits,_ZN7rocprim17ROCPRIM_400000_NS6detail17trampoline_kernelINS0_14default_configENS1_38merge_sort_block_merge_config_selectorI6__halfNS0_10empty_typeEEEZZNS1_27merge_sort_block_merge_implIS3_PS5_PS6_jNS1_19radix_merge_compareILb0ELb0ES5_NS0_19identity_decomposerEEEEE10hipError_tT0_T1_T2_jT3_P12ihipStream_tbPNSt15iterator_traitsISF_E10value_typeEPNSL_ISG_E10value_typeEPSH_NS1_7vsmem_tEENKUlT_SF_SG_SH_E_clIS9_S9_SA_SA_EESE_SU_SF_SG_SH_EUlSU_E_NS1_11comp_targetILNS1_3genE3ELNS1_11target_archE908ELNS1_3gpuE7ELNS1_3repE0EEENS1_48merge_mergepath_partition_config_static_selectorELNS0_4arch9wavefront6targetE0EEEvSG_,comdat
.Lfunc_end2212:
	.size	_ZN7rocprim17ROCPRIM_400000_NS6detail17trampoline_kernelINS0_14default_configENS1_38merge_sort_block_merge_config_selectorI6__halfNS0_10empty_typeEEEZZNS1_27merge_sort_block_merge_implIS3_PS5_PS6_jNS1_19radix_merge_compareILb0ELb0ES5_NS0_19identity_decomposerEEEEE10hipError_tT0_T1_T2_jT3_P12ihipStream_tbPNSt15iterator_traitsISF_E10value_typeEPNSL_ISG_E10value_typeEPSH_NS1_7vsmem_tEENKUlT_SF_SG_SH_E_clIS9_S9_SA_SA_EESE_SU_SF_SG_SH_EUlSU_E_NS1_11comp_targetILNS1_3genE3ELNS1_11target_archE908ELNS1_3gpuE7ELNS1_3repE0EEENS1_48merge_mergepath_partition_config_static_selectorELNS0_4arch9wavefront6targetE0EEEvSG_, .Lfunc_end2212-_ZN7rocprim17ROCPRIM_400000_NS6detail17trampoline_kernelINS0_14default_configENS1_38merge_sort_block_merge_config_selectorI6__halfNS0_10empty_typeEEEZZNS1_27merge_sort_block_merge_implIS3_PS5_PS6_jNS1_19radix_merge_compareILb0ELb0ES5_NS0_19identity_decomposerEEEEE10hipError_tT0_T1_T2_jT3_P12ihipStream_tbPNSt15iterator_traitsISF_E10value_typeEPNSL_ISG_E10value_typeEPSH_NS1_7vsmem_tEENKUlT_SF_SG_SH_E_clIS9_S9_SA_SA_EESE_SU_SF_SG_SH_EUlSU_E_NS1_11comp_targetILNS1_3genE3ELNS1_11target_archE908ELNS1_3gpuE7ELNS1_3repE0EEENS1_48merge_mergepath_partition_config_static_selectorELNS0_4arch9wavefront6targetE0EEEvSG_
                                        ; -- End function
	.set _ZN7rocprim17ROCPRIM_400000_NS6detail17trampoline_kernelINS0_14default_configENS1_38merge_sort_block_merge_config_selectorI6__halfNS0_10empty_typeEEEZZNS1_27merge_sort_block_merge_implIS3_PS5_PS6_jNS1_19radix_merge_compareILb0ELb0ES5_NS0_19identity_decomposerEEEEE10hipError_tT0_T1_T2_jT3_P12ihipStream_tbPNSt15iterator_traitsISF_E10value_typeEPNSL_ISG_E10value_typeEPSH_NS1_7vsmem_tEENKUlT_SF_SG_SH_E_clIS9_S9_SA_SA_EESE_SU_SF_SG_SH_EUlSU_E_NS1_11comp_targetILNS1_3genE3ELNS1_11target_archE908ELNS1_3gpuE7ELNS1_3repE0EEENS1_48merge_mergepath_partition_config_static_selectorELNS0_4arch9wavefront6targetE0EEEvSG_.num_vgpr, 0
	.set _ZN7rocprim17ROCPRIM_400000_NS6detail17trampoline_kernelINS0_14default_configENS1_38merge_sort_block_merge_config_selectorI6__halfNS0_10empty_typeEEEZZNS1_27merge_sort_block_merge_implIS3_PS5_PS6_jNS1_19radix_merge_compareILb0ELb0ES5_NS0_19identity_decomposerEEEEE10hipError_tT0_T1_T2_jT3_P12ihipStream_tbPNSt15iterator_traitsISF_E10value_typeEPNSL_ISG_E10value_typeEPSH_NS1_7vsmem_tEENKUlT_SF_SG_SH_E_clIS9_S9_SA_SA_EESE_SU_SF_SG_SH_EUlSU_E_NS1_11comp_targetILNS1_3genE3ELNS1_11target_archE908ELNS1_3gpuE7ELNS1_3repE0EEENS1_48merge_mergepath_partition_config_static_selectorELNS0_4arch9wavefront6targetE0EEEvSG_.num_agpr, 0
	.set _ZN7rocprim17ROCPRIM_400000_NS6detail17trampoline_kernelINS0_14default_configENS1_38merge_sort_block_merge_config_selectorI6__halfNS0_10empty_typeEEEZZNS1_27merge_sort_block_merge_implIS3_PS5_PS6_jNS1_19radix_merge_compareILb0ELb0ES5_NS0_19identity_decomposerEEEEE10hipError_tT0_T1_T2_jT3_P12ihipStream_tbPNSt15iterator_traitsISF_E10value_typeEPNSL_ISG_E10value_typeEPSH_NS1_7vsmem_tEENKUlT_SF_SG_SH_E_clIS9_S9_SA_SA_EESE_SU_SF_SG_SH_EUlSU_E_NS1_11comp_targetILNS1_3genE3ELNS1_11target_archE908ELNS1_3gpuE7ELNS1_3repE0EEENS1_48merge_mergepath_partition_config_static_selectorELNS0_4arch9wavefront6targetE0EEEvSG_.numbered_sgpr, 0
	.set _ZN7rocprim17ROCPRIM_400000_NS6detail17trampoline_kernelINS0_14default_configENS1_38merge_sort_block_merge_config_selectorI6__halfNS0_10empty_typeEEEZZNS1_27merge_sort_block_merge_implIS3_PS5_PS6_jNS1_19radix_merge_compareILb0ELb0ES5_NS0_19identity_decomposerEEEEE10hipError_tT0_T1_T2_jT3_P12ihipStream_tbPNSt15iterator_traitsISF_E10value_typeEPNSL_ISG_E10value_typeEPSH_NS1_7vsmem_tEENKUlT_SF_SG_SH_E_clIS9_S9_SA_SA_EESE_SU_SF_SG_SH_EUlSU_E_NS1_11comp_targetILNS1_3genE3ELNS1_11target_archE908ELNS1_3gpuE7ELNS1_3repE0EEENS1_48merge_mergepath_partition_config_static_selectorELNS0_4arch9wavefront6targetE0EEEvSG_.num_named_barrier, 0
	.set _ZN7rocprim17ROCPRIM_400000_NS6detail17trampoline_kernelINS0_14default_configENS1_38merge_sort_block_merge_config_selectorI6__halfNS0_10empty_typeEEEZZNS1_27merge_sort_block_merge_implIS3_PS5_PS6_jNS1_19radix_merge_compareILb0ELb0ES5_NS0_19identity_decomposerEEEEE10hipError_tT0_T1_T2_jT3_P12ihipStream_tbPNSt15iterator_traitsISF_E10value_typeEPNSL_ISG_E10value_typeEPSH_NS1_7vsmem_tEENKUlT_SF_SG_SH_E_clIS9_S9_SA_SA_EESE_SU_SF_SG_SH_EUlSU_E_NS1_11comp_targetILNS1_3genE3ELNS1_11target_archE908ELNS1_3gpuE7ELNS1_3repE0EEENS1_48merge_mergepath_partition_config_static_selectorELNS0_4arch9wavefront6targetE0EEEvSG_.private_seg_size, 0
	.set _ZN7rocprim17ROCPRIM_400000_NS6detail17trampoline_kernelINS0_14default_configENS1_38merge_sort_block_merge_config_selectorI6__halfNS0_10empty_typeEEEZZNS1_27merge_sort_block_merge_implIS3_PS5_PS6_jNS1_19radix_merge_compareILb0ELb0ES5_NS0_19identity_decomposerEEEEE10hipError_tT0_T1_T2_jT3_P12ihipStream_tbPNSt15iterator_traitsISF_E10value_typeEPNSL_ISG_E10value_typeEPSH_NS1_7vsmem_tEENKUlT_SF_SG_SH_E_clIS9_S9_SA_SA_EESE_SU_SF_SG_SH_EUlSU_E_NS1_11comp_targetILNS1_3genE3ELNS1_11target_archE908ELNS1_3gpuE7ELNS1_3repE0EEENS1_48merge_mergepath_partition_config_static_selectorELNS0_4arch9wavefront6targetE0EEEvSG_.uses_vcc, 0
	.set _ZN7rocprim17ROCPRIM_400000_NS6detail17trampoline_kernelINS0_14default_configENS1_38merge_sort_block_merge_config_selectorI6__halfNS0_10empty_typeEEEZZNS1_27merge_sort_block_merge_implIS3_PS5_PS6_jNS1_19radix_merge_compareILb0ELb0ES5_NS0_19identity_decomposerEEEEE10hipError_tT0_T1_T2_jT3_P12ihipStream_tbPNSt15iterator_traitsISF_E10value_typeEPNSL_ISG_E10value_typeEPSH_NS1_7vsmem_tEENKUlT_SF_SG_SH_E_clIS9_S9_SA_SA_EESE_SU_SF_SG_SH_EUlSU_E_NS1_11comp_targetILNS1_3genE3ELNS1_11target_archE908ELNS1_3gpuE7ELNS1_3repE0EEENS1_48merge_mergepath_partition_config_static_selectorELNS0_4arch9wavefront6targetE0EEEvSG_.uses_flat_scratch, 0
	.set _ZN7rocprim17ROCPRIM_400000_NS6detail17trampoline_kernelINS0_14default_configENS1_38merge_sort_block_merge_config_selectorI6__halfNS0_10empty_typeEEEZZNS1_27merge_sort_block_merge_implIS3_PS5_PS6_jNS1_19radix_merge_compareILb0ELb0ES5_NS0_19identity_decomposerEEEEE10hipError_tT0_T1_T2_jT3_P12ihipStream_tbPNSt15iterator_traitsISF_E10value_typeEPNSL_ISG_E10value_typeEPSH_NS1_7vsmem_tEENKUlT_SF_SG_SH_E_clIS9_S9_SA_SA_EESE_SU_SF_SG_SH_EUlSU_E_NS1_11comp_targetILNS1_3genE3ELNS1_11target_archE908ELNS1_3gpuE7ELNS1_3repE0EEENS1_48merge_mergepath_partition_config_static_selectorELNS0_4arch9wavefront6targetE0EEEvSG_.has_dyn_sized_stack, 0
	.set _ZN7rocprim17ROCPRIM_400000_NS6detail17trampoline_kernelINS0_14default_configENS1_38merge_sort_block_merge_config_selectorI6__halfNS0_10empty_typeEEEZZNS1_27merge_sort_block_merge_implIS3_PS5_PS6_jNS1_19radix_merge_compareILb0ELb0ES5_NS0_19identity_decomposerEEEEE10hipError_tT0_T1_T2_jT3_P12ihipStream_tbPNSt15iterator_traitsISF_E10value_typeEPNSL_ISG_E10value_typeEPSH_NS1_7vsmem_tEENKUlT_SF_SG_SH_E_clIS9_S9_SA_SA_EESE_SU_SF_SG_SH_EUlSU_E_NS1_11comp_targetILNS1_3genE3ELNS1_11target_archE908ELNS1_3gpuE7ELNS1_3repE0EEENS1_48merge_mergepath_partition_config_static_selectorELNS0_4arch9wavefront6targetE0EEEvSG_.has_recursion, 0
	.set _ZN7rocprim17ROCPRIM_400000_NS6detail17trampoline_kernelINS0_14default_configENS1_38merge_sort_block_merge_config_selectorI6__halfNS0_10empty_typeEEEZZNS1_27merge_sort_block_merge_implIS3_PS5_PS6_jNS1_19radix_merge_compareILb0ELb0ES5_NS0_19identity_decomposerEEEEE10hipError_tT0_T1_T2_jT3_P12ihipStream_tbPNSt15iterator_traitsISF_E10value_typeEPNSL_ISG_E10value_typeEPSH_NS1_7vsmem_tEENKUlT_SF_SG_SH_E_clIS9_S9_SA_SA_EESE_SU_SF_SG_SH_EUlSU_E_NS1_11comp_targetILNS1_3genE3ELNS1_11target_archE908ELNS1_3gpuE7ELNS1_3repE0EEENS1_48merge_mergepath_partition_config_static_selectorELNS0_4arch9wavefront6targetE0EEEvSG_.has_indirect_call, 0
	.section	.AMDGPU.csdata,"",@progbits
; Kernel info:
; codeLenInByte = 0
; TotalNumSgprs: 0
; NumVgprs: 0
; ScratchSize: 0
; MemoryBound: 0
; FloatMode: 240
; IeeeMode: 1
; LDSByteSize: 0 bytes/workgroup (compile time only)
; SGPRBlocks: 0
; VGPRBlocks: 0
; NumSGPRsForWavesPerEU: 1
; NumVGPRsForWavesPerEU: 1
; NamedBarCnt: 0
; Occupancy: 16
; WaveLimiterHint : 0
; COMPUTE_PGM_RSRC2:SCRATCH_EN: 0
; COMPUTE_PGM_RSRC2:USER_SGPR: 2
; COMPUTE_PGM_RSRC2:TRAP_HANDLER: 0
; COMPUTE_PGM_RSRC2:TGID_X_EN: 1
; COMPUTE_PGM_RSRC2:TGID_Y_EN: 0
; COMPUTE_PGM_RSRC2:TGID_Z_EN: 0
; COMPUTE_PGM_RSRC2:TIDIG_COMP_CNT: 0
	.section	.text._ZN7rocprim17ROCPRIM_400000_NS6detail17trampoline_kernelINS0_14default_configENS1_38merge_sort_block_merge_config_selectorI6__halfNS0_10empty_typeEEEZZNS1_27merge_sort_block_merge_implIS3_PS5_PS6_jNS1_19radix_merge_compareILb0ELb0ES5_NS0_19identity_decomposerEEEEE10hipError_tT0_T1_T2_jT3_P12ihipStream_tbPNSt15iterator_traitsISF_E10value_typeEPNSL_ISG_E10value_typeEPSH_NS1_7vsmem_tEENKUlT_SF_SG_SH_E_clIS9_S9_SA_SA_EESE_SU_SF_SG_SH_EUlSU_E_NS1_11comp_targetILNS1_3genE2ELNS1_11target_archE906ELNS1_3gpuE6ELNS1_3repE0EEENS1_48merge_mergepath_partition_config_static_selectorELNS0_4arch9wavefront6targetE0EEEvSG_,"axG",@progbits,_ZN7rocprim17ROCPRIM_400000_NS6detail17trampoline_kernelINS0_14default_configENS1_38merge_sort_block_merge_config_selectorI6__halfNS0_10empty_typeEEEZZNS1_27merge_sort_block_merge_implIS3_PS5_PS6_jNS1_19radix_merge_compareILb0ELb0ES5_NS0_19identity_decomposerEEEEE10hipError_tT0_T1_T2_jT3_P12ihipStream_tbPNSt15iterator_traitsISF_E10value_typeEPNSL_ISG_E10value_typeEPSH_NS1_7vsmem_tEENKUlT_SF_SG_SH_E_clIS9_S9_SA_SA_EESE_SU_SF_SG_SH_EUlSU_E_NS1_11comp_targetILNS1_3genE2ELNS1_11target_archE906ELNS1_3gpuE6ELNS1_3repE0EEENS1_48merge_mergepath_partition_config_static_selectorELNS0_4arch9wavefront6targetE0EEEvSG_,comdat
	.protected	_ZN7rocprim17ROCPRIM_400000_NS6detail17trampoline_kernelINS0_14default_configENS1_38merge_sort_block_merge_config_selectorI6__halfNS0_10empty_typeEEEZZNS1_27merge_sort_block_merge_implIS3_PS5_PS6_jNS1_19radix_merge_compareILb0ELb0ES5_NS0_19identity_decomposerEEEEE10hipError_tT0_T1_T2_jT3_P12ihipStream_tbPNSt15iterator_traitsISF_E10value_typeEPNSL_ISG_E10value_typeEPSH_NS1_7vsmem_tEENKUlT_SF_SG_SH_E_clIS9_S9_SA_SA_EESE_SU_SF_SG_SH_EUlSU_E_NS1_11comp_targetILNS1_3genE2ELNS1_11target_archE906ELNS1_3gpuE6ELNS1_3repE0EEENS1_48merge_mergepath_partition_config_static_selectorELNS0_4arch9wavefront6targetE0EEEvSG_ ; -- Begin function _ZN7rocprim17ROCPRIM_400000_NS6detail17trampoline_kernelINS0_14default_configENS1_38merge_sort_block_merge_config_selectorI6__halfNS0_10empty_typeEEEZZNS1_27merge_sort_block_merge_implIS3_PS5_PS6_jNS1_19radix_merge_compareILb0ELb0ES5_NS0_19identity_decomposerEEEEE10hipError_tT0_T1_T2_jT3_P12ihipStream_tbPNSt15iterator_traitsISF_E10value_typeEPNSL_ISG_E10value_typeEPSH_NS1_7vsmem_tEENKUlT_SF_SG_SH_E_clIS9_S9_SA_SA_EESE_SU_SF_SG_SH_EUlSU_E_NS1_11comp_targetILNS1_3genE2ELNS1_11target_archE906ELNS1_3gpuE6ELNS1_3repE0EEENS1_48merge_mergepath_partition_config_static_selectorELNS0_4arch9wavefront6targetE0EEEvSG_
	.globl	_ZN7rocprim17ROCPRIM_400000_NS6detail17trampoline_kernelINS0_14default_configENS1_38merge_sort_block_merge_config_selectorI6__halfNS0_10empty_typeEEEZZNS1_27merge_sort_block_merge_implIS3_PS5_PS6_jNS1_19radix_merge_compareILb0ELb0ES5_NS0_19identity_decomposerEEEEE10hipError_tT0_T1_T2_jT3_P12ihipStream_tbPNSt15iterator_traitsISF_E10value_typeEPNSL_ISG_E10value_typeEPSH_NS1_7vsmem_tEENKUlT_SF_SG_SH_E_clIS9_S9_SA_SA_EESE_SU_SF_SG_SH_EUlSU_E_NS1_11comp_targetILNS1_3genE2ELNS1_11target_archE906ELNS1_3gpuE6ELNS1_3repE0EEENS1_48merge_mergepath_partition_config_static_selectorELNS0_4arch9wavefront6targetE0EEEvSG_
	.p2align	8
	.type	_ZN7rocprim17ROCPRIM_400000_NS6detail17trampoline_kernelINS0_14default_configENS1_38merge_sort_block_merge_config_selectorI6__halfNS0_10empty_typeEEEZZNS1_27merge_sort_block_merge_implIS3_PS5_PS6_jNS1_19radix_merge_compareILb0ELb0ES5_NS0_19identity_decomposerEEEEE10hipError_tT0_T1_T2_jT3_P12ihipStream_tbPNSt15iterator_traitsISF_E10value_typeEPNSL_ISG_E10value_typeEPSH_NS1_7vsmem_tEENKUlT_SF_SG_SH_E_clIS9_S9_SA_SA_EESE_SU_SF_SG_SH_EUlSU_E_NS1_11comp_targetILNS1_3genE2ELNS1_11target_archE906ELNS1_3gpuE6ELNS1_3repE0EEENS1_48merge_mergepath_partition_config_static_selectorELNS0_4arch9wavefront6targetE0EEEvSG_,@function
_ZN7rocprim17ROCPRIM_400000_NS6detail17trampoline_kernelINS0_14default_configENS1_38merge_sort_block_merge_config_selectorI6__halfNS0_10empty_typeEEEZZNS1_27merge_sort_block_merge_implIS3_PS5_PS6_jNS1_19radix_merge_compareILb0ELb0ES5_NS0_19identity_decomposerEEEEE10hipError_tT0_T1_T2_jT3_P12ihipStream_tbPNSt15iterator_traitsISF_E10value_typeEPNSL_ISG_E10value_typeEPSH_NS1_7vsmem_tEENKUlT_SF_SG_SH_E_clIS9_S9_SA_SA_EESE_SU_SF_SG_SH_EUlSU_E_NS1_11comp_targetILNS1_3genE2ELNS1_11target_archE906ELNS1_3gpuE6ELNS1_3repE0EEENS1_48merge_mergepath_partition_config_static_selectorELNS0_4arch9wavefront6targetE0EEEvSG_: ; @_ZN7rocprim17ROCPRIM_400000_NS6detail17trampoline_kernelINS0_14default_configENS1_38merge_sort_block_merge_config_selectorI6__halfNS0_10empty_typeEEEZZNS1_27merge_sort_block_merge_implIS3_PS5_PS6_jNS1_19radix_merge_compareILb0ELb0ES5_NS0_19identity_decomposerEEEEE10hipError_tT0_T1_T2_jT3_P12ihipStream_tbPNSt15iterator_traitsISF_E10value_typeEPNSL_ISG_E10value_typeEPSH_NS1_7vsmem_tEENKUlT_SF_SG_SH_E_clIS9_S9_SA_SA_EESE_SU_SF_SG_SH_EUlSU_E_NS1_11comp_targetILNS1_3genE2ELNS1_11target_archE906ELNS1_3gpuE6ELNS1_3repE0EEENS1_48merge_mergepath_partition_config_static_selectorELNS0_4arch9wavefront6targetE0EEEvSG_
; %bb.0:
	.section	.rodata,"a",@progbits
	.p2align	6, 0x0
	.amdhsa_kernel _ZN7rocprim17ROCPRIM_400000_NS6detail17trampoline_kernelINS0_14default_configENS1_38merge_sort_block_merge_config_selectorI6__halfNS0_10empty_typeEEEZZNS1_27merge_sort_block_merge_implIS3_PS5_PS6_jNS1_19radix_merge_compareILb0ELb0ES5_NS0_19identity_decomposerEEEEE10hipError_tT0_T1_T2_jT3_P12ihipStream_tbPNSt15iterator_traitsISF_E10value_typeEPNSL_ISG_E10value_typeEPSH_NS1_7vsmem_tEENKUlT_SF_SG_SH_E_clIS9_S9_SA_SA_EESE_SU_SF_SG_SH_EUlSU_E_NS1_11comp_targetILNS1_3genE2ELNS1_11target_archE906ELNS1_3gpuE6ELNS1_3repE0EEENS1_48merge_mergepath_partition_config_static_selectorELNS0_4arch9wavefront6targetE0EEEvSG_
		.amdhsa_group_segment_fixed_size 0
		.amdhsa_private_segment_fixed_size 0
		.amdhsa_kernarg_size 40
		.amdhsa_user_sgpr_count 2
		.amdhsa_user_sgpr_dispatch_ptr 0
		.amdhsa_user_sgpr_queue_ptr 0
		.amdhsa_user_sgpr_kernarg_segment_ptr 1
		.amdhsa_user_sgpr_dispatch_id 0
		.amdhsa_user_sgpr_kernarg_preload_length 0
		.amdhsa_user_sgpr_kernarg_preload_offset 0
		.amdhsa_user_sgpr_private_segment_size 0
		.amdhsa_wavefront_size32 1
		.amdhsa_uses_dynamic_stack 0
		.amdhsa_enable_private_segment 0
		.amdhsa_system_sgpr_workgroup_id_x 1
		.amdhsa_system_sgpr_workgroup_id_y 0
		.amdhsa_system_sgpr_workgroup_id_z 0
		.amdhsa_system_sgpr_workgroup_info 0
		.amdhsa_system_vgpr_workitem_id 0
		.amdhsa_next_free_vgpr 1
		.amdhsa_next_free_sgpr 1
		.amdhsa_named_barrier_count 0
		.amdhsa_reserve_vcc 0
		.amdhsa_float_round_mode_32 0
		.amdhsa_float_round_mode_16_64 0
		.amdhsa_float_denorm_mode_32 3
		.amdhsa_float_denorm_mode_16_64 3
		.amdhsa_fp16_overflow 0
		.amdhsa_memory_ordered 1
		.amdhsa_forward_progress 1
		.amdhsa_inst_pref_size 0
		.amdhsa_round_robin_scheduling 0
		.amdhsa_exception_fp_ieee_invalid_op 0
		.amdhsa_exception_fp_denorm_src 0
		.amdhsa_exception_fp_ieee_div_zero 0
		.amdhsa_exception_fp_ieee_overflow 0
		.amdhsa_exception_fp_ieee_underflow 0
		.amdhsa_exception_fp_ieee_inexact 0
		.amdhsa_exception_int_div_zero 0
	.end_amdhsa_kernel
	.section	.text._ZN7rocprim17ROCPRIM_400000_NS6detail17trampoline_kernelINS0_14default_configENS1_38merge_sort_block_merge_config_selectorI6__halfNS0_10empty_typeEEEZZNS1_27merge_sort_block_merge_implIS3_PS5_PS6_jNS1_19radix_merge_compareILb0ELb0ES5_NS0_19identity_decomposerEEEEE10hipError_tT0_T1_T2_jT3_P12ihipStream_tbPNSt15iterator_traitsISF_E10value_typeEPNSL_ISG_E10value_typeEPSH_NS1_7vsmem_tEENKUlT_SF_SG_SH_E_clIS9_S9_SA_SA_EESE_SU_SF_SG_SH_EUlSU_E_NS1_11comp_targetILNS1_3genE2ELNS1_11target_archE906ELNS1_3gpuE6ELNS1_3repE0EEENS1_48merge_mergepath_partition_config_static_selectorELNS0_4arch9wavefront6targetE0EEEvSG_,"axG",@progbits,_ZN7rocprim17ROCPRIM_400000_NS6detail17trampoline_kernelINS0_14default_configENS1_38merge_sort_block_merge_config_selectorI6__halfNS0_10empty_typeEEEZZNS1_27merge_sort_block_merge_implIS3_PS5_PS6_jNS1_19radix_merge_compareILb0ELb0ES5_NS0_19identity_decomposerEEEEE10hipError_tT0_T1_T2_jT3_P12ihipStream_tbPNSt15iterator_traitsISF_E10value_typeEPNSL_ISG_E10value_typeEPSH_NS1_7vsmem_tEENKUlT_SF_SG_SH_E_clIS9_S9_SA_SA_EESE_SU_SF_SG_SH_EUlSU_E_NS1_11comp_targetILNS1_3genE2ELNS1_11target_archE906ELNS1_3gpuE6ELNS1_3repE0EEENS1_48merge_mergepath_partition_config_static_selectorELNS0_4arch9wavefront6targetE0EEEvSG_,comdat
.Lfunc_end2213:
	.size	_ZN7rocprim17ROCPRIM_400000_NS6detail17trampoline_kernelINS0_14default_configENS1_38merge_sort_block_merge_config_selectorI6__halfNS0_10empty_typeEEEZZNS1_27merge_sort_block_merge_implIS3_PS5_PS6_jNS1_19radix_merge_compareILb0ELb0ES5_NS0_19identity_decomposerEEEEE10hipError_tT0_T1_T2_jT3_P12ihipStream_tbPNSt15iterator_traitsISF_E10value_typeEPNSL_ISG_E10value_typeEPSH_NS1_7vsmem_tEENKUlT_SF_SG_SH_E_clIS9_S9_SA_SA_EESE_SU_SF_SG_SH_EUlSU_E_NS1_11comp_targetILNS1_3genE2ELNS1_11target_archE906ELNS1_3gpuE6ELNS1_3repE0EEENS1_48merge_mergepath_partition_config_static_selectorELNS0_4arch9wavefront6targetE0EEEvSG_, .Lfunc_end2213-_ZN7rocprim17ROCPRIM_400000_NS6detail17trampoline_kernelINS0_14default_configENS1_38merge_sort_block_merge_config_selectorI6__halfNS0_10empty_typeEEEZZNS1_27merge_sort_block_merge_implIS3_PS5_PS6_jNS1_19radix_merge_compareILb0ELb0ES5_NS0_19identity_decomposerEEEEE10hipError_tT0_T1_T2_jT3_P12ihipStream_tbPNSt15iterator_traitsISF_E10value_typeEPNSL_ISG_E10value_typeEPSH_NS1_7vsmem_tEENKUlT_SF_SG_SH_E_clIS9_S9_SA_SA_EESE_SU_SF_SG_SH_EUlSU_E_NS1_11comp_targetILNS1_3genE2ELNS1_11target_archE906ELNS1_3gpuE6ELNS1_3repE0EEENS1_48merge_mergepath_partition_config_static_selectorELNS0_4arch9wavefront6targetE0EEEvSG_
                                        ; -- End function
	.set _ZN7rocprim17ROCPRIM_400000_NS6detail17trampoline_kernelINS0_14default_configENS1_38merge_sort_block_merge_config_selectorI6__halfNS0_10empty_typeEEEZZNS1_27merge_sort_block_merge_implIS3_PS5_PS6_jNS1_19radix_merge_compareILb0ELb0ES5_NS0_19identity_decomposerEEEEE10hipError_tT0_T1_T2_jT3_P12ihipStream_tbPNSt15iterator_traitsISF_E10value_typeEPNSL_ISG_E10value_typeEPSH_NS1_7vsmem_tEENKUlT_SF_SG_SH_E_clIS9_S9_SA_SA_EESE_SU_SF_SG_SH_EUlSU_E_NS1_11comp_targetILNS1_3genE2ELNS1_11target_archE906ELNS1_3gpuE6ELNS1_3repE0EEENS1_48merge_mergepath_partition_config_static_selectorELNS0_4arch9wavefront6targetE0EEEvSG_.num_vgpr, 0
	.set _ZN7rocprim17ROCPRIM_400000_NS6detail17trampoline_kernelINS0_14default_configENS1_38merge_sort_block_merge_config_selectorI6__halfNS0_10empty_typeEEEZZNS1_27merge_sort_block_merge_implIS3_PS5_PS6_jNS1_19radix_merge_compareILb0ELb0ES5_NS0_19identity_decomposerEEEEE10hipError_tT0_T1_T2_jT3_P12ihipStream_tbPNSt15iterator_traitsISF_E10value_typeEPNSL_ISG_E10value_typeEPSH_NS1_7vsmem_tEENKUlT_SF_SG_SH_E_clIS9_S9_SA_SA_EESE_SU_SF_SG_SH_EUlSU_E_NS1_11comp_targetILNS1_3genE2ELNS1_11target_archE906ELNS1_3gpuE6ELNS1_3repE0EEENS1_48merge_mergepath_partition_config_static_selectorELNS0_4arch9wavefront6targetE0EEEvSG_.num_agpr, 0
	.set _ZN7rocprim17ROCPRIM_400000_NS6detail17trampoline_kernelINS0_14default_configENS1_38merge_sort_block_merge_config_selectorI6__halfNS0_10empty_typeEEEZZNS1_27merge_sort_block_merge_implIS3_PS5_PS6_jNS1_19radix_merge_compareILb0ELb0ES5_NS0_19identity_decomposerEEEEE10hipError_tT0_T1_T2_jT3_P12ihipStream_tbPNSt15iterator_traitsISF_E10value_typeEPNSL_ISG_E10value_typeEPSH_NS1_7vsmem_tEENKUlT_SF_SG_SH_E_clIS9_S9_SA_SA_EESE_SU_SF_SG_SH_EUlSU_E_NS1_11comp_targetILNS1_3genE2ELNS1_11target_archE906ELNS1_3gpuE6ELNS1_3repE0EEENS1_48merge_mergepath_partition_config_static_selectorELNS0_4arch9wavefront6targetE0EEEvSG_.numbered_sgpr, 0
	.set _ZN7rocprim17ROCPRIM_400000_NS6detail17trampoline_kernelINS0_14default_configENS1_38merge_sort_block_merge_config_selectorI6__halfNS0_10empty_typeEEEZZNS1_27merge_sort_block_merge_implIS3_PS5_PS6_jNS1_19radix_merge_compareILb0ELb0ES5_NS0_19identity_decomposerEEEEE10hipError_tT0_T1_T2_jT3_P12ihipStream_tbPNSt15iterator_traitsISF_E10value_typeEPNSL_ISG_E10value_typeEPSH_NS1_7vsmem_tEENKUlT_SF_SG_SH_E_clIS9_S9_SA_SA_EESE_SU_SF_SG_SH_EUlSU_E_NS1_11comp_targetILNS1_3genE2ELNS1_11target_archE906ELNS1_3gpuE6ELNS1_3repE0EEENS1_48merge_mergepath_partition_config_static_selectorELNS0_4arch9wavefront6targetE0EEEvSG_.num_named_barrier, 0
	.set _ZN7rocprim17ROCPRIM_400000_NS6detail17trampoline_kernelINS0_14default_configENS1_38merge_sort_block_merge_config_selectorI6__halfNS0_10empty_typeEEEZZNS1_27merge_sort_block_merge_implIS3_PS5_PS6_jNS1_19radix_merge_compareILb0ELb0ES5_NS0_19identity_decomposerEEEEE10hipError_tT0_T1_T2_jT3_P12ihipStream_tbPNSt15iterator_traitsISF_E10value_typeEPNSL_ISG_E10value_typeEPSH_NS1_7vsmem_tEENKUlT_SF_SG_SH_E_clIS9_S9_SA_SA_EESE_SU_SF_SG_SH_EUlSU_E_NS1_11comp_targetILNS1_3genE2ELNS1_11target_archE906ELNS1_3gpuE6ELNS1_3repE0EEENS1_48merge_mergepath_partition_config_static_selectorELNS0_4arch9wavefront6targetE0EEEvSG_.private_seg_size, 0
	.set _ZN7rocprim17ROCPRIM_400000_NS6detail17trampoline_kernelINS0_14default_configENS1_38merge_sort_block_merge_config_selectorI6__halfNS0_10empty_typeEEEZZNS1_27merge_sort_block_merge_implIS3_PS5_PS6_jNS1_19radix_merge_compareILb0ELb0ES5_NS0_19identity_decomposerEEEEE10hipError_tT0_T1_T2_jT3_P12ihipStream_tbPNSt15iterator_traitsISF_E10value_typeEPNSL_ISG_E10value_typeEPSH_NS1_7vsmem_tEENKUlT_SF_SG_SH_E_clIS9_S9_SA_SA_EESE_SU_SF_SG_SH_EUlSU_E_NS1_11comp_targetILNS1_3genE2ELNS1_11target_archE906ELNS1_3gpuE6ELNS1_3repE0EEENS1_48merge_mergepath_partition_config_static_selectorELNS0_4arch9wavefront6targetE0EEEvSG_.uses_vcc, 0
	.set _ZN7rocprim17ROCPRIM_400000_NS6detail17trampoline_kernelINS0_14default_configENS1_38merge_sort_block_merge_config_selectorI6__halfNS0_10empty_typeEEEZZNS1_27merge_sort_block_merge_implIS3_PS5_PS6_jNS1_19radix_merge_compareILb0ELb0ES5_NS0_19identity_decomposerEEEEE10hipError_tT0_T1_T2_jT3_P12ihipStream_tbPNSt15iterator_traitsISF_E10value_typeEPNSL_ISG_E10value_typeEPSH_NS1_7vsmem_tEENKUlT_SF_SG_SH_E_clIS9_S9_SA_SA_EESE_SU_SF_SG_SH_EUlSU_E_NS1_11comp_targetILNS1_3genE2ELNS1_11target_archE906ELNS1_3gpuE6ELNS1_3repE0EEENS1_48merge_mergepath_partition_config_static_selectorELNS0_4arch9wavefront6targetE0EEEvSG_.uses_flat_scratch, 0
	.set _ZN7rocprim17ROCPRIM_400000_NS6detail17trampoline_kernelINS0_14default_configENS1_38merge_sort_block_merge_config_selectorI6__halfNS0_10empty_typeEEEZZNS1_27merge_sort_block_merge_implIS3_PS5_PS6_jNS1_19radix_merge_compareILb0ELb0ES5_NS0_19identity_decomposerEEEEE10hipError_tT0_T1_T2_jT3_P12ihipStream_tbPNSt15iterator_traitsISF_E10value_typeEPNSL_ISG_E10value_typeEPSH_NS1_7vsmem_tEENKUlT_SF_SG_SH_E_clIS9_S9_SA_SA_EESE_SU_SF_SG_SH_EUlSU_E_NS1_11comp_targetILNS1_3genE2ELNS1_11target_archE906ELNS1_3gpuE6ELNS1_3repE0EEENS1_48merge_mergepath_partition_config_static_selectorELNS0_4arch9wavefront6targetE0EEEvSG_.has_dyn_sized_stack, 0
	.set _ZN7rocprim17ROCPRIM_400000_NS6detail17trampoline_kernelINS0_14default_configENS1_38merge_sort_block_merge_config_selectorI6__halfNS0_10empty_typeEEEZZNS1_27merge_sort_block_merge_implIS3_PS5_PS6_jNS1_19radix_merge_compareILb0ELb0ES5_NS0_19identity_decomposerEEEEE10hipError_tT0_T1_T2_jT3_P12ihipStream_tbPNSt15iterator_traitsISF_E10value_typeEPNSL_ISG_E10value_typeEPSH_NS1_7vsmem_tEENKUlT_SF_SG_SH_E_clIS9_S9_SA_SA_EESE_SU_SF_SG_SH_EUlSU_E_NS1_11comp_targetILNS1_3genE2ELNS1_11target_archE906ELNS1_3gpuE6ELNS1_3repE0EEENS1_48merge_mergepath_partition_config_static_selectorELNS0_4arch9wavefront6targetE0EEEvSG_.has_recursion, 0
	.set _ZN7rocprim17ROCPRIM_400000_NS6detail17trampoline_kernelINS0_14default_configENS1_38merge_sort_block_merge_config_selectorI6__halfNS0_10empty_typeEEEZZNS1_27merge_sort_block_merge_implIS3_PS5_PS6_jNS1_19radix_merge_compareILb0ELb0ES5_NS0_19identity_decomposerEEEEE10hipError_tT0_T1_T2_jT3_P12ihipStream_tbPNSt15iterator_traitsISF_E10value_typeEPNSL_ISG_E10value_typeEPSH_NS1_7vsmem_tEENKUlT_SF_SG_SH_E_clIS9_S9_SA_SA_EESE_SU_SF_SG_SH_EUlSU_E_NS1_11comp_targetILNS1_3genE2ELNS1_11target_archE906ELNS1_3gpuE6ELNS1_3repE0EEENS1_48merge_mergepath_partition_config_static_selectorELNS0_4arch9wavefront6targetE0EEEvSG_.has_indirect_call, 0
	.section	.AMDGPU.csdata,"",@progbits
; Kernel info:
; codeLenInByte = 0
; TotalNumSgprs: 0
; NumVgprs: 0
; ScratchSize: 0
; MemoryBound: 0
; FloatMode: 240
; IeeeMode: 1
; LDSByteSize: 0 bytes/workgroup (compile time only)
; SGPRBlocks: 0
; VGPRBlocks: 0
; NumSGPRsForWavesPerEU: 1
; NumVGPRsForWavesPerEU: 1
; NamedBarCnt: 0
; Occupancy: 16
; WaveLimiterHint : 0
; COMPUTE_PGM_RSRC2:SCRATCH_EN: 0
; COMPUTE_PGM_RSRC2:USER_SGPR: 2
; COMPUTE_PGM_RSRC2:TRAP_HANDLER: 0
; COMPUTE_PGM_RSRC2:TGID_X_EN: 1
; COMPUTE_PGM_RSRC2:TGID_Y_EN: 0
; COMPUTE_PGM_RSRC2:TGID_Z_EN: 0
; COMPUTE_PGM_RSRC2:TIDIG_COMP_CNT: 0
	.section	.text._ZN7rocprim17ROCPRIM_400000_NS6detail17trampoline_kernelINS0_14default_configENS1_38merge_sort_block_merge_config_selectorI6__halfNS0_10empty_typeEEEZZNS1_27merge_sort_block_merge_implIS3_PS5_PS6_jNS1_19radix_merge_compareILb0ELb0ES5_NS0_19identity_decomposerEEEEE10hipError_tT0_T1_T2_jT3_P12ihipStream_tbPNSt15iterator_traitsISF_E10value_typeEPNSL_ISG_E10value_typeEPSH_NS1_7vsmem_tEENKUlT_SF_SG_SH_E_clIS9_S9_SA_SA_EESE_SU_SF_SG_SH_EUlSU_E_NS1_11comp_targetILNS1_3genE9ELNS1_11target_archE1100ELNS1_3gpuE3ELNS1_3repE0EEENS1_48merge_mergepath_partition_config_static_selectorELNS0_4arch9wavefront6targetE0EEEvSG_,"axG",@progbits,_ZN7rocprim17ROCPRIM_400000_NS6detail17trampoline_kernelINS0_14default_configENS1_38merge_sort_block_merge_config_selectorI6__halfNS0_10empty_typeEEEZZNS1_27merge_sort_block_merge_implIS3_PS5_PS6_jNS1_19radix_merge_compareILb0ELb0ES5_NS0_19identity_decomposerEEEEE10hipError_tT0_T1_T2_jT3_P12ihipStream_tbPNSt15iterator_traitsISF_E10value_typeEPNSL_ISG_E10value_typeEPSH_NS1_7vsmem_tEENKUlT_SF_SG_SH_E_clIS9_S9_SA_SA_EESE_SU_SF_SG_SH_EUlSU_E_NS1_11comp_targetILNS1_3genE9ELNS1_11target_archE1100ELNS1_3gpuE3ELNS1_3repE0EEENS1_48merge_mergepath_partition_config_static_selectorELNS0_4arch9wavefront6targetE0EEEvSG_,comdat
	.protected	_ZN7rocprim17ROCPRIM_400000_NS6detail17trampoline_kernelINS0_14default_configENS1_38merge_sort_block_merge_config_selectorI6__halfNS0_10empty_typeEEEZZNS1_27merge_sort_block_merge_implIS3_PS5_PS6_jNS1_19radix_merge_compareILb0ELb0ES5_NS0_19identity_decomposerEEEEE10hipError_tT0_T1_T2_jT3_P12ihipStream_tbPNSt15iterator_traitsISF_E10value_typeEPNSL_ISG_E10value_typeEPSH_NS1_7vsmem_tEENKUlT_SF_SG_SH_E_clIS9_S9_SA_SA_EESE_SU_SF_SG_SH_EUlSU_E_NS1_11comp_targetILNS1_3genE9ELNS1_11target_archE1100ELNS1_3gpuE3ELNS1_3repE0EEENS1_48merge_mergepath_partition_config_static_selectorELNS0_4arch9wavefront6targetE0EEEvSG_ ; -- Begin function _ZN7rocprim17ROCPRIM_400000_NS6detail17trampoline_kernelINS0_14default_configENS1_38merge_sort_block_merge_config_selectorI6__halfNS0_10empty_typeEEEZZNS1_27merge_sort_block_merge_implIS3_PS5_PS6_jNS1_19radix_merge_compareILb0ELb0ES5_NS0_19identity_decomposerEEEEE10hipError_tT0_T1_T2_jT3_P12ihipStream_tbPNSt15iterator_traitsISF_E10value_typeEPNSL_ISG_E10value_typeEPSH_NS1_7vsmem_tEENKUlT_SF_SG_SH_E_clIS9_S9_SA_SA_EESE_SU_SF_SG_SH_EUlSU_E_NS1_11comp_targetILNS1_3genE9ELNS1_11target_archE1100ELNS1_3gpuE3ELNS1_3repE0EEENS1_48merge_mergepath_partition_config_static_selectorELNS0_4arch9wavefront6targetE0EEEvSG_
	.globl	_ZN7rocprim17ROCPRIM_400000_NS6detail17trampoline_kernelINS0_14default_configENS1_38merge_sort_block_merge_config_selectorI6__halfNS0_10empty_typeEEEZZNS1_27merge_sort_block_merge_implIS3_PS5_PS6_jNS1_19radix_merge_compareILb0ELb0ES5_NS0_19identity_decomposerEEEEE10hipError_tT0_T1_T2_jT3_P12ihipStream_tbPNSt15iterator_traitsISF_E10value_typeEPNSL_ISG_E10value_typeEPSH_NS1_7vsmem_tEENKUlT_SF_SG_SH_E_clIS9_S9_SA_SA_EESE_SU_SF_SG_SH_EUlSU_E_NS1_11comp_targetILNS1_3genE9ELNS1_11target_archE1100ELNS1_3gpuE3ELNS1_3repE0EEENS1_48merge_mergepath_partition_config_static_selectorELNS0_4arch9wavefront6targetE0EEEvSG_
	.p2align	8
	.type	_ZN7rocprim17ROCPRIM_400000_NS6detail17trampoline_kernelINS0_14default_configENS1_38merge_sort_block_merge_config_selectorI6__halfNS0_10empty_typeEEEZZNS1_27merge_sort_block_merge_implIS3_PS5_PS6_jNS1_19radix_merge_compareILb0ELb0ES5_NS0_19identity_decomposerEEEEE10hipError_tT0_T1_T2_jT3_P12ihipStream_tbPNSt15iterator_traitsISF_E10value_typeEPNSL_ISG_E10value_typeEPSH_NS1_7vsmem_tEENKUlT_SF_SG_SH_E_clIS9_S9_SA_SA_EESE_SU_SF_SG_SH_EUlSU_E_NS1_11comp_targetILNS1_3genE9ELNS1_11target_archE1100ELNS1_3gpuE3ELNS1_3repE0EEENS1_48merge_mergepath_partition_config_static_selectorELNS0_4arch9wavefront6targetE0EEEvSG_,@function
_ZN7rocprim17ROCPRIM_400000_NS6detail17trampoline_kernelINS0_14default_configENS1_38merge_sort_block_merge_config_selectorI6__halfNS0_10empty_typeEEEZZNS1_27merge_sort_block_merge_implIS3_PS5_PS6_jNS1_19radix_merge_compareILb0ELb0ES5_NS0_19identity_decomposerEEEEE10hipError_tT0_T1_T2_jT3_P12ihipStream_tbPNSt15iterator_traitsISF_E10value_typeEPNSL_ISG_E10value_typeEPSH_NS1_7vsmem_tEENKUlT_SF_SG_SH_E_clIS9_S9_SA_SA_EESE_SU_SF_SG_SH_EUlSU_E_NS1_11comp_targetILNS1_3genE9ELNS1_11target_archE1100ELNS1_3gpuE3ELNS1_3repE0EEENS1_48merge_mergepath_partition_config_static_selectorELNS0_4arch9wavefront6targetE0EEEvSG_: ; @_ZN7rocprim17ROCPRIM_400000_NS6detail17trampoline_kernelINS0_14default_configENS1_38merge_sort_block_merge_config_selectorI6__halfNS0_10empty_typeEEEZZNS1_27merge_sort_block_merge_implIS3_PS5_PS6_jNS1_19radix_merge_compareILb0ELb0ES5_NS0_19identity_decomposerEEEEE10hipError_tT0_T1_T2_jT3_P12ihipStream_tbPNSt15iterator_traitsISF_E10value_typeEPNSL_ISG_E10value_typeEPSH_NS1_7vsmem_tEENKUlT_SF_SG_SH_E_clIS9_S9_SA_SA_EESE_SU_SF_SG_SH_EUlSU_E_NS1_11comp_targetILNS1_3genE9ELNS1_11target_archE1100ELNS1_3gpuE3ELNS1_3repE0EEENS1_48merge_mergepath_partition_config_static_selectorELNS0_4arch9wavefront6targetE0EEEvSG_
; %bb.0:
	.section	.rodata,"a",@progbits
	.p2align	6, 0x0
	.amdhsa_kernel _ZN7rocprim17ROCPRIM_400000_NS6detail17trampoline_kernelINS0_14default_configENS1_38merge_sort_block_merge_config_selectorI6__halfNS0_10empty_typeEEEZZNS1_27merge_sort_block_merge_implIS3_PS5_PS6_jNS1_19radix_merge_compareILb0ELb0ES5_NS0_19identity_decomposerEEEEE10hipError_tT0_T1_T2_jT3_P12ihipStream_tbPNSt15iterator_traitsISF_E10value_typeEPNSL_ISG_E10value_typeEPSH_NS1_7vsmem_tEENKUlT_SF_SG_SH_E_clIS9_S9_SA_SA_EESE_SU_SF_SG_SH_EUlSU_E_NS1_11comp_targetILNS1_3genE9ELNS1_11target_archE1100ELNS1_3gpuE3ELNS1_3repE0EEENS1_48merge_mergepath_partition_config_static_selectorELNS0_4arch9wavefront6targetE0EEEvSG_
		.amdhsa_group_segment_fixed_size 0
		.amdhsa_private_segment_fixed_size 0
		.amdhsa_kernarg_size 40
		.amdhsa_user_sgpr_count 2
		.amdhsa_user_sgpr_dispatch_ptr 0
		.amdhsa_user_sgpr_queue_ptr 0
		.amdhsa_user_sgpr_kernarg_segment_ptr 1
		.amdhsa_user_sgpr_dispatch_id 0
		.amdhsa_user_sgpr_kernarg_preload_length 0
		.amdhsa_user_sgpr_kernarg_preload_offset 0
		.amdhsa_user_sgpr_private_segment_size 0
		.amdhsa_wavefront_size32 1
		.amdhsa_uses_dynamic_stack 0
		.amdhsa_enable_private_segment 0
		.amdhsa_system_sgpr_workgroup_id_x 1
		.amdhsa_system_sgpr_workgroup_id_y 0
		.amdhsa_system_sgpr_workgroup_id_z 0
		.amdhsa_system_sgpr_workgroup_info 0
		.amdhsa_system_vgpr_workitem_id 0
		.amdhsa_next_free_vgpr 1
		.amdhsa_next_free_sgpr 1
		.amdhsa_named_barrier_count 0
		.amdhsa_reserve_vcc 0
		.amdhsa_float_round_mode_32 0
		.amdhsa_float_round_mode_16_64 0
		.amdhsa_float_denorm_mode_32 3
		.amdhsa_float_denorm_mode_16_64 3
		.amdhsa_fp16_overflow 0
		.amdhsa_memory_ordered 1
		.amdhsa_forward_progress 1
		.amdhsa_inst_pref_size 0
		.amdhsa_round_robin_scheduling 0
		.amdhsa_exception_fp_ieee_invalid_op 0
		.amdhsa_exception_fp_denorm_src 0
		.amdhsa_exception_fp_ieee_div_zero 0
		.amdhsa_exception_fp_ieee_overflow 0
		.amdhsa_exception_fp_ieee_underflow 0
		.amdhsa_exception_fp_ieee_inexact 0
		.amdhsa_exception_int_div_zero 0
	.end_amdhsa_kernel
	.section	.text._ZN7rocprim17ROCPRIM_400000_NS6detail17trampoline_kernelINS0_14default_configENS1_38merge_sort_block_merge_config_selectorI6__halfNS0_10empty_typeEEEZZNS1_27merge_sort_block_merge_implIS3_PS5_PS6_jNS1_19radix_merge_compareILb0ELb0ES5_NS0_19identity_decomposerEEEEE10hipError_tT0_T1_T2_jT3_P12ihipStream_tbPNSt15iterator_traitsISF_E10value_typeEPNSL_ISG_E10value_typeEPSH_NS1_7vsmem_tEENKUlT_SF_SG_SH_E_clIS9_S9_SA_SA_EESE_SU_SF_SG_SH_EUlSU_E_NS1_11comp_targetILNS1_3genE9ELNS1_11target_archE1100ELNS1_3gpuE3ELNS1_3repE0EEENS1_48merge_mergepath_partition_config_static_selectorELNS0_4arch9wavefront6targetE0EEEvSG_,"axG",@progbits,_ZN7rocprim17ROCPRIM_400000_NS6detail17trampoline_kernelINS0_14default_configENS1_38merge_sort_block_merge_config_selectorI6__halfNS0_10empty_typeEEEZZNS1_27merge_sort_block_merge_implIS3_PS5_PS6_jNS1_19radix_merge_compareILb0ELb0ES5_NS0_19identity_decomposerEEEEE10hipError_tT0_T1_T2_jT3_P12ihipStream_tbPNSt15iterator_traitsISF_E10value_typeEPNSL_ISG_E10value_typeEPSH_NS1_7vsmem_tEENKUlT_SF_SG_SH_E_clIS9_S9_SA_SA_EESE_SU_SF_SG_SH_EUlSU_E_NS1_11comp_targetILNS1_3genE9ELNS1_11target_archE1100ELNS1_3gpuE3ELNS1_3repE0EEENS1_48merge_mergepath_partition_config_static_selectorELNS0_4arch9wavefront6targetE0EEEvSG_,comdat
.Lfunc_end2214:
	.size	_ZN7rocprim17ROCPRIM_400000_NS6detail17trampoline_kernelINS0_14default_configENS1_38merge_sort_block_merge_config_selectorI6__halfNS0_10empty_typeEEEZZNS1_27merge_sort_block_merge_implIS3_PS5_PS6_jNS1_19radix_merge_compareILb0ELb0ES5_NS0_19identity_decomposerEEEEE10hipError_tT0_T1_T2_jT3_P12ihipStream_tbPNSt15iterator_traitsISF_E10value_typeEPNSL_ISG_E10value_typeEPSH_NS1_7vsmem_tEENKUlT_SF_SG_SH_E_clIS9_S9_SA_SA_EESE_SU_SF_SG_SH_EUlSU_E_NS1_11comp_targetILNS1_3genE9ELNS1_11target_archE1100ELNS1_3gpuE3ELNS1_3repE0EEENS1_48merge_mergepath_partition_config_static_selectorELNS0_4arch9wavefront6targetE0EEEvSG_, .Lfunc_end2214-_ZN7rocprim17ROCPRIM_400000_NS6detail17trampoline_kernelINS0_14default_configENS1_38merge_sort_block_merge_config_selectorI6__halfNS0_10empty_typeEEEZZNS1_27merge_sort_block_merge_implIS3_PS5_PS6_jNS1_19radix_merge_compareILb0ELb0ES5_NS0_19identity_decomposerEEEEE10hipError_tT0_T1_T2_jT3_P12ihipStream_tbPNSt15iterator_traitsISF_E10value_typeEPNSL_ISG_E10value_typeEPSH_NS1_7vsmem_tEENKUlT_SF_SG_SH_E_clIS9_S9_SA_SA_EESE_SU_SF_SG_SH_EUlSU_E_NS1_11comp_targetILNS1_3genE9ELNS1_11target_archE1100ELNS1_3gpuE3ELNS1_3repE0EEENS1_48merge_mergepath_partition_config_static_selectorELNS0_4arch9wavefront6targetE0EEEvSG_
                                        ; -- End function
	.set _ZN7rocprim17ROCPRIM_400000_NS6detail17trampoline_kernelINS0_14default_configENS1_38merge_sort_block_merge_config_selectorI6__halfNS0_10empty_typeEEEZZNS1_27merge_sort_block_merge_implIS3_PS5_PS6_jNS1_19radix_merge_compareILb0ELb0ES5_NS0_19identity_decomposerEEEEE10hipError_tT0_T1_T2_jT3_P12ihipStream_tbPNSt15iterator_traitsISF_E10value_typeEPNSL_ISG_E10value_typeEPSH_NS1_7vsmem_tEENKUlT_SF_SG_SH_E_clIS9_S9_SA_SA_EESE_SU_SF_SG_SH_EUlSU_E_NS1_11comp_targetILNS1_3genE9ELNS1_11target_archE1100ELNS1_3gpuE3ELNS1_3repE0EEENS1_48merge_mergepath_partition_config_static_selectorELNS0_4arch9wavefront6targetE0EEEvSG_.num_vgpr, 0
	.set _ZN7rocprim17ROCPRIM_400000_NS6detail17trampoline_kernelINS0_14default_configENS1_38merge_sort_block_merge_config_selectorI6__halfNS0_10empty_typeEEEZZNS1_27merge_sort_block_merge_implIS3_PS5_PS6_jNS1_19radix_merge_compareILb0ELb0ES5_NS0_19identity_decomposerEEEEE10hipError_tT0_T1_T2_jT3_P12ihipStream_tbPNSt15iterator_traitsISF_E10value_typeEPNSL_ISG_E10value_typeEPSH_NS1_7vsmem_tEENKUlT_SF_SG_SH_E_clIS9_S9_SA_SA_EESE_SU_SF_SG_SH_EUlSU_E_NS1_11comp_targetILNS1_3genE9ELNS1_11target_archE1100ELNS1_3gpuE3ELNS1_3repE0EEENS1_48merge_mergepath_partition_config_static_selectorELNS0_4arch9wavefront6targetE0EEEvSG_.num_agpr, 0
	.set _ZN7rocprim17ROCPRIM_400000_NS6detail17trampoline_kernelINS0_14default_configENS1_38merge_sort_block_merge_config_selectorI6__halfNS0_10empty_typeEEEZZNS1_27merge_sort_block_merge_implIS3_PS5_PS6_jNS1_19radix_merge_compareILb0ELb0ES5_NS0_19identity_decomposerEEEEE10hipError_tT0_T1_T2_jT3_P12ihipStream_tbPNSt15iterator_traitsISF_E10value_typeEPNSL_ISG_E10value_typeEPSH_NS1_7vsmem_tEENKUlT_SF_SG_SH_E_clIS9_S9_SA_SA_EESE_SU_SF_SG_SH_EUlSU_E_NS1_11comp_targetILNS1_3genE9ELNS1_11target_archE1100ELNS1_3gpuE3ELNS1_3repE0EEENS1_48merge_mergepath_partition_config_static_selectorELNS0_4arch9wavefront6targetE0EEEvSG_.numbered_sgpr, 0
	.set _ZN7rocprim17ROCPRIM_400000_NS6detail17trampoline_kernelINS0_14default_configENS1_38merge_sort_block_merge_config_selectorI6__halfNS0_10empty_typeEEEZZNS1_27merge_sort_block_merge_implIS3_PS5_PS6_jNS1_19radix_merge_compareILb0ELb0ES5_NS0_19identity_decomposerEEEEE10hipError_tT0_T1_T2_jT3_P12ihipStream_tbPNSt15iterator_traitsISF_E10value_typeEPNSL_ISG_E10value_typeEPSH_NS1_7vsmem_tEENKUlT_SF_SG_SH_E_clIS9_S9_SA_SA_EESE_SU_SF_SG_SH_EUlSU_E_NS1_11comp_targetILNS1_3genE9ELNS1_11target_archE1100ELNS1_3gpuE3ELNS1_3repE0EEENS1_48merge_mergepath_partition_config_static_selectorELNS0_4arch9wavefront6targetE0EEEvSG_.num_named_barrier, 0
	.set _ZN7rocprim17ROCPRIM_400000_NS6detail17trampoline_kernelINS0_14default_configENS1_38merge_sort_block_merge_config_selectorI6__halfNS0_10empty_typeEEEZZNS1_27merge_sort_block_merge_implIS3_PS5_PS6_jNS1_19radix_merge_compareILb0ELb0ES5_NS0_19identity_decomposerEEEEE10hipError_tT0_T1_T2_jT3_P12ihipStream_tbPNSt15iterator_traitsISF_E10value_typeEPNSL_ISG_E10value_typeEPSH_NS1_7vsmem_tEENKUlT_SF_SG_SH_E_clIS9_S9_SA_SA_EESE_SU_SF_SG_SH_EUlSU_E_NS1_11comp_targetILNS1_3genE9ELNS1_11target_archE1100ELNS1_3gpuE3ELNS1_3repE0EEENS1_48merge_mergepath_partition_config_static_selectorELNS0_4arch9wavefront6targetE0EEEvSG_.private_seg_size, 0
	.set _ZN7rocprim17ROCPRIM_400000_NS6detail17trampoline_kernelINS0_14default_configENS1_38merge_sort_block_merge_config_selectorI6__halfNS0_10empty_typeEEEZZNS1_27merge_sort_block_merge_implIS3_PS5_PS6_jNS1_19radix_merge_compareILb0ELb0ES5_NS0_19identity_decomposerEEEEE10hipError_tT0_T1_T2_jT3_P12ihipStream_tbPNSt15iterator_traitsISF_E10value_typeEPNSL_ISG_E10value_typeEPSH_NS1_7vsmem_tEENKUlT_SF_SG_SH_E_clIS9_S9_SA_SA_EESE_SU_SF_SG_SH_EUlSU_E_NS1_11comp_targetILNS1_3genE9ELNS1_11target_archE1100ELNS1_3gpuE3ELNS1_3repE0EEENS1_48merge_mergepath_partition_config_static_selectorELNS0_4arch9wavefront6targetE0EEEvSG_.uses_vcc, 0
	.set _ZN7rocprim17ROCPRIM_400000_NS6detail17trampoline_kernelINS0_14default_configENS1_38merge_sort_block_merge_config_selectorI6__halfNS0_10empty_typeEEEZZNS1_27merge_sort_block_merge_implIS3_PS5_PS6_jNS1_19radix_merge_compareILb0ELb0ES5_NS0_19identity_decomposerEEEEE10hipError_tT0_T1_T2_jT3_P12ihipStream_tbPNSt15iterator_traitsISF_E10value_typeEPNSL_ISG_E10value_typeEPSH_NS1_7vsmem_tEENKUlT_SF_SG_SH_E_clIS9_S9_SA_SA_EESE_SU_SF_SG_SH_EUlSU_E_NS1_11comp_targetILNS1_3genE9ELNS1_11target_archE1100ELNS1_3gpuE3ELNS1_3repE0EEENS1_48merge_mergepath_partition_config_static_selectorELNS0_4arch9wavefront6targetE0EEEvSG_.uses_flat_scratch, 0
	.set _ZN7rocprim17ROCPRIM_400000_NS6detail17trampoline_kernelINS0_14default_configENS1_38merge_sort_block_merge_config_selectorI6__halfNS0_10empty_typeEEEZZNS1_27merge_sort_block_merge_implIS3_PS5_PS6_jNS1_19radix_merge_compareILb0ELb0ES5_NS0_19identity_decomposerEEEEE10hipError_tT0_T1_T2_jT3_P12ihipStream_tbPNSt15iterator_traitsISF_E10value_typeEPNSL_ISG_E10value_typeEPSH_NS1_7vsmem_tEENKUlT_SF_SG_SH_E_clIS9_S9_SA_SA_EESE_SU_SF_SG_SH_EUlSU_E_NS1_11comp_targetILNS1_3genE9ELNS1_11target_archE1100ELNS1_3gpuE3ELNS1_3repE0EEENS1_48merge_mergepath_partition_config_static_selectorELNS0_4arch9wavefront6targetE0EEEvSG_.has_dyn_sized_stack, 0
	.set _ZN7rocprim17ROCPRIM_400000_NS6detail17trampoline_kernelINS0_14default_configENS1_38merge_sort_block_merge_config_selectorI6__halfNS0_10empty_typeEEEZZNS1_27merge_sort_block_merge_implIS3_PS5_PS6_jNS1_19radix_merge_compareILb0ELb0ES5_NS0_19identity_decomposerEEEEE10hipError_tT0_T1_T2_jT3_P12ihipStream_tbPNSt15iterator_traitsISF_E10value_typeEPNSL_ISG_E10value_typeEPSH_NS1_7vsmem_tEENKUlT_SF_SG_SH_E_clIS9_S9_SA_SA_EESE_SU_SF_SG_SH_EUlSU_E_NS1_11comp_targetILNS1_3genE9ELNS1_11target_archE1100ELNS1_3gpuE3ELNS1_3repE0EEENS1_48merge_mergepath_partition_config_static_selectorELNS0_4arch9wavefront6targetE0EEEvSG_.has_recursion, 0
	.set _ZN7rocprim17ROCPRIM_400000_NS6detail17trampoline_kernelINS0_14default_configENS1_38merge_sort_block_merge_config_selectorI6__halfNS0_10empty_typeEEEZZNS1_27merge_sort_block_merge_implIS3_PS5_PS6_jNS1_19radix_merge_compareILb0ELb0ES5_NS0_19identity_decomposerEEEEE10hipError_tT0_T1_T2_jT3_P12ihipStream_tbPNSt15iterator_traitsISF_E10value_typeEPNSL_ISG_E10value_typeEPSH_NS1_7vsmem_tEENKUlT_SF_SG_SH_E_clIS9_S9_SA_SA_EESE_SU_SF_SG_SH_EUlSU_E_NS1_11comp_targetILNS1_3genE9ELNS1_11target_archE1100ELNS1_3gpuE3ELNS1_3repE0EEENS1_48merge_mergepath_partition_config_static_selectorELNS0_4arch9wavefront6targetE0EEEvSG_.has_indirect_call, 0
	.section	.AMDGPU.csdata,"",@progbits
; Kernel info:
; codeLenInByte = 0
; TotalNumSgprs: 0
; NumVgprs: 0
; ScratchSize: 0
; MemoryBound: 0
; FloatMode: 240
; IeeeMode: 1
; LDSByteSize: 0 bytes/workgroup (compile time only)
; SGPRBlocks: 0
; VGPRBlocks: 0
; NumSGPRsForWavesPerEU: 1
; NumVGPRsForWavesPerEU: 1
; NamedBarCnt: 0
; Occupancy: 16
; WaveLimiterHint : 0
; COMPUTE_PGM_RSRC2:SCRATCH_EN: 0
; COMPUTE_PGM_RSRC2:USER_SGPR: 2
; COMPUTE_PGM_RSRC2:TRAP_HANDLER: 0
; COMPUTE_PGM_RSRC2:TGID_X_EN: 1
; COMPUTE_PGM_RSRC2:TGID_Y_EN: 0
; COMPUTE_PGM_RSRC2:TGID_Z_EN: 0
; COMPUTE_PGM_RSRC2:TIDIG_COMP_CNT: 0
	.section	.text._ZN7rocprim17ROCPRIM_400000_NS6detail17trampoline_kernelINS0_14default_configENS1_38merge_sort_block_merge_config_selectorI6__halfNS0_10empty_typeEEEZZNS1_27merge_sort_block_merge_implIS3_PS5_PS6_jNS1_19radix_merge_compareILb0ELb0ES5_NS0_19identity_decomposerEEEEE10hipError_tT0_T1_T2_jT3_P12ihipStream_tbPNSt15iterator_traitsISF_E10value_typeEPNSL_ISG_E10value_typeEPSH_NS1_7vsmem_tEENKUlT_SF_SG_SH_E_clIS9_S9_SA_SA_EESE_SU_SF_SG_SH_EUlSU_E_NS1_11comp_targetILNS1_3genE8ELNS1_11target_archE1030ELNS1_3gpuE2ELNS1_3repE0EEENS1_48merge_mergepath_partition_config_static_selectorELNS0_4arch9wavefront6targetE0EEEvSG_,"axG",@progbits,_ZN7rocprim17ROCPRIM_400000_NS6detail17trampoline_kernelINS0_14default_configENS1_38merge_sort_block_merge_config_selectorI6__halfNS0_10empty_typeEEEZZNS1_27merge_sort_block_merge_implIS3_PS5_PS6_jNS1_19radix_merge_compareILb0ELb0ES5_NS0_19identity_decomposerEEEEE10hipError_tT0_T1_T2_jT3_P12ihipStream_tbPNSt15iterator_traitsISF_E10value_typeEPNSL_ISG_E10value_typeEPSH_NS1_7vsmem_tEENKUlT_SF_SG_SH_E_clIS9_S9_SA_SA_EESE_SU_SF_SG_SH_EUlSU_E_NS1_11comp_targetILNS1_3genE8ELNS1_11target_archE1030ELNS1_3gpuE2ELNS1_3repE0EEENS1_48merge_mergepath_partition_config_static_selectorELNS0_4arch9wavefront6targetE0EEEvSG_,comdat
	.protected	_ZN7rocprim17ROCPRIM_400000_NS6detail17trampoline_kernelINS0_14default_configENS1_38merge_sort_block_merge_config_selectorI6__halfNS0_10empty_typeEEEZZNS1_27merge_sort_block_merge_implIS3_PS5_PS6_jNS1_19radix_merge_compareILb0ELb0ES5_NS0_19identity_decomposerEEEEE10hipError_tT0_T1_T2_jT3_P12ihipStream_tbPNSt15iterator_traitsISF_E10value_typeEPNSL_ISG_E10value_typeEPSH_NS1_7vsmem_tEENKUlT_SF_SG_SH_E_clIS9_S9_SA_SA_EESE_SU_SF_SG_SH_EUlSU_E_NS1_11comp_targetILNS1_3genE8ELNS1_11target_archE1030ELNS1_3gpuE2ELNS1_3repE0EEENS1_48merge_mergepath_partition_config_static_selectorELNS0_4arch9wavefront6targetE0EEEvSG_ ; -- Begin function _ZN7rocprim17ROCPRIM_400000_NS6detail17trampoline_kernelINS0_14default_configENS1_38merge_sort_block_merge_config_selectorI6__halfNS0_10empty_typeEEEZZNS1_27merge_sort_block_merge_implIS3_PS5_PS6_jNS1_19radix_merge_compareILb0ELb0ES5_NS0_19identity_decomposerEEEEE10hipError_tT0_T1_T2_jT3_P12ihipStream_tbPNSt15iterator_traitsISF_E10value_typeEPNSL_ISG_E10value_typeEPSH_NS1_7vsmem_tEENKUlT_SF_SG_SH_E_clIS9_S9_SA_SA_EESE_SU_SF_SG_SH_EUlSU_E_NS1_11comp_targetILNS1_3genE8ELNS1_11target_archE1030ELNS1_3gpuE2ELNS1_3repE0EEENS1_48merge_mergepath_partition_config_static_selectorELNS0_4arch9wavefront6targetE0EEEvSG_
	.globl	_ZN7rocprim17ROCPRIM_400000_NS6detail17trampoline_kernelINS0_14default_configENS1_38merge_sort_block_merge_config_selectorI6__halfNS0_10empty_typeEEEZZNS1_27merge_sort_block_merge_implIS3_PS5_PS6_jNS1_19radix_merge_compareILb0ELb0ES5_NS0_19identity_decomposerEEEEE10hipError_tT0_T1_T2_jT3_P12ihipStream_tbPNSt15iterator_traitsISF_E10value_typeEPNSL_ISG_E10value_typeEPSH_NS1_7vsmem_tEENKUlT_SF_SG_SH_E_clIS9_S9_SA_SA_EESE_SU_SF_SG_SH_EUlSU_E_NS1_11comp_targetILNS1_3genE8ELNS1_11target_archE1030ELNS1_3gpuE2ELNS1_3repE0EEENS1_48merge_mergepath_partition_config_static_selectorELNS0_4arch9wavefront6targetE0EEEvSG_
	.p2align	8
	.type	_ZN7rocprim17ROCPRIM_400000_NS6detail17trampoline_kernelINS0_14default_configENS1_38merge_sort_block_merge_config_selectorI6__halfNS0_10empty_typeEEEZZNS1_27merge_sort_block_merge_implIS3_PS5_PS6_jNS1_19radix_merge_compareILb0ELb0ES5_NS0_19identity_decomposerEEEEE10hipError_tT0_T1_T2_jT3_P12ihipStream_tbPNSt15iterator_traitsISF_E10value_typeEPNSL_ISG_E10value_typeEPSH_NS1_7vsmem_tEENKUlT_SF_SG_SH_E_clIS9_S9_SA_SA_EESE_SU_SF_SG_SH_EUlSU_E_NS1_11comp_targetILNS1_3genE8ELNS1_11target_archE1030ELNS1_3gpuE2ELNS1_3repE0EEENS1_48merge_mergepath_partition_config_static_selectorELNS0_4arch9wavefront6targetE0EEEvSG_,@function
_ZN7rocprim17ROCPRIM_400000_NS6detail17trampoline_kernelINS0_14default_configENS1_38merge_sort_block_merge_config_selectorI6__halfNS0_10empty_typeEEEZZNS1_27merge_sort_block_merge_implIS3_PS5_PS6_jNS1_19radix_merge_compareILb0ELb0ES5_NS0_19identity_decomposerEEEEE10hipError_tT0_T1_T2_jT3_P12ihipStream_tbPNSt15iterator_traitsISF_E10value_typeEPNSL_ISG_E10value_typeEPSH_NS1_7vsmem_tEENKUlT_SF_SG_SH_E_clIS9_S9_SA_SA_EESE_SU_SF_SG_SH_EUlSU_E_NS1_11comp_targetILNS1_3genE8ELNS1_11target_archE1030ELNS1_3gpuE2ELNS1_3repE0EEENS1_48merge_mergepath_partition_config_static_selectorELNS0_4arch9wavefront6targetE0EEEvSG_: ; @_ZN7rocprim17ROCPRIM_400000_NS6detail17trampoline_kernelINS0_14default_configENS1_38merge_sort_block_merge_config_selectorI6__halfNS0_10empty_typeEEEZZNS1_27merge_sort_block_merge_implIS3_PS5_PS6_jNS1_19radix_merge_compareILb0ELb0ES5_NS0_19identity_decomposerEEEEE10hipError_tT0_T1_T2_jT3_P12ihipStream_tbPNSt15iterator_traitsISF_E10value_typeEPNSL_ISG_E10value_typeEPSH_NS1_7vsmem_tEENKUlT_SF_SG_SH_E_clIS9_S9_SA_SA_EESE_SU_SF_SG_SH_EUlSU_E_NS1_11comp_targetILNS1_3genE8ELNS1_11target_archE1030ELNS1_3gpuE2ELNS1_3repE0EEENS1_48merge_mergepath_partition_config_static_selectorELNS0_4arch9wavefront6targetE0EEEvSG_
; %bb.0:
	.section	.rodata,"a",@progbits
	.p2align	6, 0x0
	.amdhsa_kernel _ZN7rocprim17ROCPRIM_400000_NS6detail17trampoline_kernelINS0_14default_configENS1_38merge_sort_block_merge_config_selectorI6__halfNS0_10empty_typeEEEZZNS1_27merge_sort_block_merge_implIS3_PS5_PS6_jNS1_19radix_merge_compareILb0ELb0ES5_NS0_19identity_decomposerEEEEE10hipError_tT0_T1_T2_jT3_P12ihipStream_tbPNSt15iterator_traitsISF_E10value_typeEPNSL_ISG_E10value_typeEPSH_NS1_7vsmem_tEENKUlT_SF_SG_SH_E_clIS9_S9_SA_SA_EESE_SU_SF_SG_SH_EUlSU_E_NS1_11comp_targetILNS1_3genE8ELNS1_11target_archE1030ELNS1_3gpuE2ELNS1_3repE0EEENS1_48merge_mergepath_partition_config_static_selectorELNS0_4arch9wavefront6targetE0EEEvSG_
		.amdhsa_group_segment_fixed_size 0
		.amdhsa_private_segment_fixed_size 0
		.amdhsa_kernarg_size 40
		.amdhsa_user_sgpr_count 2
		.amdhsa_user_sgpr_dispatch_ptr 0
		.amdhsa_user_sgpr_queue_ptr 0
		.amdhsa_user_sgpr_kernarg_segment_ptr 1
		.amdhsa_user_sgpr_dispatch_id 0
		.amdhsa_user_sgpr_kernarg_preload_length 0
		.amdhsa_user_sgpr_kernarg_preload_offset 0
		.amdhsa_user_sgpr_private_segment_size 0
		.amdhsa_wavefront_size32 1
		.amdhsa_uses_dynamic_stack 0
		.amdhsa_enable_private_segment 0
		.amdhsa_system_sgpr_workgroup_id_x 1
		.amdhsa_system_sgpr_workgroup_id_y 0
		.amdhsa_system_sgpr_workgroup_id_z 0
		.amdhsa_system_sgpr_workgroup_info 0
		.amdhsa_system_vgpr_workitem_id 0
		.amdhsa_next_free_vgpr 1
		.amdhsa_next_free_sgpr 1
		.amdhsa_named_barrier_count 0
		.amdhsa_reserve_vcc 0
		.amdhsa_float_round_mode_32 0
		.amdhsa_float_round_mode_16_64 0
		.amdhsa_float_denorm_mode_32 3
		.amdhsa_float_denorm_mode_16_64 3
		.amdhsa_fp16_overflow 0
		.amdhsa_memory_ordered 1
		.amdhsa_forward_progress 1
		.amdhsa_inst_pref_size 0
		.amdhsa_round_robin_scheduling 0
		.amdhsa_exception_fp_ieee_invalid_op 0
		.amdhsa_exception_fp_denorm_src 0
		.amdhsa_exception_fp_ieee_div_zero 0
		.amdhsa_exception_fp_ieee_overflow 0
		.amdhsa_exception_fp_ieee_underflow 0
		.amdhsa_exception_fp_ieee_inexact 0
		.amdhsa_exception_int_div_zero 0
	.end_amdhsa_kernel
	.section	.text._ZN7rocprim17ROCPRIM_400000_NS6detail17trampoline_kernelINS0_14default_configENS1_38merge_sort_block_merge_config_selectorI6__halfNS0_10empty_typeEEEZZNS1_27merge_sort_block_merge_implIS3_PS5_PS6_jNS1_19radix_merge_compareILb0ELb0ES5_NS0_19identity_decomposerEEEEE10hipError_tT0_T1_T2_jT3_P12ihipStream_tbPNSt15iterator_traitsISF_E10value_typeEPNSL_ISG_E10value_typeEPSH_NS1_7vsmem_tEENKUlT_SF_SG_SH_E_clIS9_S9_SA_SA_EESE_SU_SF_SG_SH_EUlSU_E_NS1_11comp_targetILNS1_3genE8ELNS1_11target_archE1030ELNS1_3gpuE2ELNS1_3repE0EEENS1_48merge_mergepath_partition_config_static_selectorELNS0_4arch9wavefront6targetE0EEEvSG_,"axG",@progbits,_ZN7rocprim17ROCPRIM_400000_NS6detail17trampoline_kernelINS0_14default_configENS1_38merge_sort_block_merge_config_selectorI6__halfNS0_10empty_typeEEEZZNS1_27merge_sort_block_merge_implIS3_PS5_PS6_jNS1_19radix_merge_compareILb0ELb0ES5_NS0_19identity_decomposerEEEEE10hipError_tT0_T1_T2_jT3_P12ihipStream_tbPNSt15iterator_traitsISF_E10value_typeEPNSL_ISG_E10value_typeEPSH_NS1_7vsmem_tEENKUlT_SF_SG_SH_E_clIS9_S9_SA_SA_EESE_SU_SF_SG_SH_EUlSU_E_NS1_11comp_targetILNS1_3genE8ELNS1_11target_archE1030ELNS1_3gpuE2ELNS1_3repE0EEENS1_48merge_mergepath_partition_config_static_selectorELNS0_4arch9wavefront6targetE0EEEvSG_,comdat
.Lfunc_end2215:
	.size	_ZN7rocprim17ROCPRIM_400000_NS6detail17trampoline_kernelINS0_14default_configENS1_38merge_sort_block_merge_config_selectorI6__halfNS0_10empty_typeEEEZZNS1_27merge_sort_block_merge_implIS3_PS5_PS6_jNS1_19radix_merge_compareILb0ELb0ES5_NS0_19identity_decomposerEEEEE10hipError_tT0_T1_T2_jT3_P12ihipStream_tbPNSt15iterator_traitsISF_E10value_typeEPNSL_ISG_E10value_typeEPSH_NS1_7vsmem_tEENKUlT_SF_SG_SH_E_clIS9_S9_SA_SA_EESE_SU_SF_SG_SH_EUlSU_E_NS1_11comp_targetILNS1_3genE8ELNS1_11target_archE1030ELNS1_3gpuE2ELNS1_3repE0EEENS1_48merge_mergepath_partition_config_static_selectorELNS0_4arch9wavefront6targetE0EEEvSG_, .Lfunc_end2215-_ZN7rocprim17ROCPRIM_400000_NS6detail17trampoline_kernelINS0_14default_configENS1_38merge_sort_block_merge_config_selectorI6__halfNS0_10empty_typeEEEZZNS1_27merge_sort_block_merge_implIS3_PS5_PS6_jNS1_19radix_merge_compareILb0ELb0ES5_NS0_19identity_decomposerEEEEE10hipError_tT0_T1_T2_jT3_P12ihipStream_tbPNSt15iterator_traitsISF_E10value_typeEPNSL_ISG_E10value_typeEPSH_NS1_7vsmem_tEENKUlT_SF_SG_SH_E_clIS9_S9_SA_SA_EESE_SU_SF_SG_SH_EUlSU_E_NS1_11comp_targetILNS1_3genE8ELNS1_11target_archE1030ELNS1_3gpuE2ELNS1_3repE0EEENS1_48merge_mergepath_partition_config_static_selectorELNS0_4arch9wavefront6targetE0EEEvSG_
                                        ; -- End function
	.set _ZN7rocprim17ROCPRIM_400000_NS6detail17trampoline_kernelINS0_14default_configENS1_38merge_sort_block_merge_config_selectorI6__halfNS0_10empty_typeEEEZZNS1_27merge_sort_block_merge_implIS3_PS5_PS6_jNS1_19radix_merge_compareILb0ELb0ES5_NS0_19identity_decomposerEEEEE10hipError_tT0_T1_T2_jT3_P12ihipStream_tbPNSt15iterator_traitsISF_E10value_typeEPNSL_ISG_E10value_typeEPSH_NS1_7vsmem_tEENKUlT_SF_SG_SH_E_clIS9_S9_SA_SA_EESE_SU_SF_SG_SH_EUlSU_E_NS1_11comp_targetILNS1_3genE8ELNS1_11target_archE1030ELNS1_3gpuE2ELNS1_3repE0EEENS1_48merge_mergepath_partition_config_static_selectorELNS0_4arch9wavefront6targetE0EEEvSG_.num_vgpr, 0
	.set _ZN7rocprim17ROCPRIM_400000_NS6detail17trampoline_kernelINS0_14default_configENS1_38merge_sort_block_merge_config_selectorI6__halfNS0_10empty_typeEEEZZNS1_27merge_sort_block_merge_implIS3_PS5_PS6_jNS1_19radix_merge_compareILb0ELb0ES5_NS0_19identity_decomposerEEEEE10hipError_tT0_T1_T2_jT3_P12ihipStream_tbPNSt15iterator_traitsISF_E10value_typeEPNSL_ISG_E10value_typeEPSH_NS1_7vsmem_tEENKUlT_SF_SG_SH_E_clIS9_S9_SA_SA_EESE_SU_SF_SG_SH_EUlSU_E_NS1_11comp_targetILNS1_3genE8ELNS1_11target_archE1030ELNS1_3gpuE2ELNS1_3repE0EEENS1_48merge_mergepath_partition_config_static_selectorELNS0_4arch9wavefront6targetE0EEEvSG_.num_agpr, 0
	.set _ZN7rocprim17ROCPRIM_400000_NS6detail17trampoline_kernelINS0_14default_configENS1_38merge_sort_block_merge_config_selectorI6__halfNS0_10empty_typeEEEZZNS1_27merge_sort_block_merge_implIS3_PS5_PS6_jNS1_19radix_merge_compareILb0ELb0ES5_NS0_19identity_decomposerEEEEE10hipError_tT0_T1_T2_jT3_P12ihipStream_tbPNSt15iterator_traitsISF_E10value_typeEPNSL_ISG_E10value_typeEPSH_NS1_7vsmem_tEENKUlT_SF_SG_SH_E_clIS9_S9_SA_SA_EESE_SU_SF_SG_SH_EUlSU_E_NS1_11comp_targetILNS1_3genE8ELNS1_11target_archE1030ELNS1_3gpuE2ELNS1_3repE0EEENS1_48merge_mergepath_partition_config_static_selectorELNS0_4arch9wavefront6targetE0EEEvSG_.numbered_sgpr, 0
	.set _ZN7rocprim17ROCPRIM_400000_NS6detail17trampoline_kernelINS0_14default_configENS1_38merge_sort_block_merge_config_selectorI6__halfNS0_10empty_typeEEEZZNS1_27merge_sort_block_merge_implIS3_PS5_PS6_jNS1_19radix_merge_compareILb0ELb0ES5_NS0_19identity_decomposerEEEEE10hipError_tT0_T1_T2_jT3_P12ihipStream_tbPNSt15iterator_traitsISF_E10value_typeEPNSL_ISG_E10value_typeEPSH_NS1_7vsmem_tEENKUlT_SF_SG_SH_E_clIS9_S9_SA_SA_EESE_SU_SF_SG_SH_EUlSU_E_NS1_11comp_targetILNS1_3genE8ELNS1_11target_archE1030ELNS1_3gpuE2ELNS1_3repE0EEENS1_48merge_mergepath_partition_config_static_selectorELNS0_4arch9wavefront6targetE0EEEvSG_.num_named_barrier, 0
	.set _ZN7rocprim17ROCPRIM_400000_NS6detail17trampoline_kernelINS0_14default_configENS1_38merge_sort_block_merge_config_selectorI6__halfNS0_10empty_typeEEEZZNS1_27merge_sort_block_merge_implIS3_PS5_PS6_jNS1_19radix_merge_compareILb0ELb0ES5_NS0_19identity_decomposerEEEEE10hipError_tT0_T1_T2_jT3_P12ihipStream_tbPNSt15iterator_traitsISF_E10value_typeEPNSL_ISG_E10value_typeEPSH_NS1_7vsmem_tEENKUlT_SF_SG_SH_E_clIS9_S9_SA_SA_EESE_SU_SF_SG_SH_EUlSU_E_NS1_11comp_targetILNS1_3genE8ELNS1_11target_archE1030ELNS1_3gpuE2ELNS1_3repE0EEENS1_48merge_mergepath_partition_config_static_selectorELNS0_4arch9wavefront6targetE0EEEvSG_.private_seg_size, 0
	.set _ZN7rocprim17ROCPRIM_400000_NS6detail17trampoline_kernelINS0_14default_configENS1_38merge_sort_block_merge_config_selectorI6__halfNS0_10empty_typeEEEZZNS1_27merge_sort_block_merge_implIS3_PS5_PS6_jNS1_19radix_merge_compareILb0ELb0ES5_NS0_19identity_decomposerEEEEE10hipError_tT0_T1_T2_jT3_P12ihipStream_tbPNSt15iterator_traitsISF_E10value_typeEPNSL_ISG_E10value_typeEPSH_NS1_7vsmem_tEENKUlT_SF_SG_SH_E_clIS9_S9_SA_SA_EESE_SU_SF_SG_SH_EUlSU_E_NS1_11comp_targetILNS1_3genE8ELNS1_11target_archE1030ELNS1_3gpuE2ELNS1_3repE0EEENS1_48merge_mergepath_partition_config_static_selectorELNS0_4arch9wavefront6targetE0EEEvSG_.uses_vcc, 0
	.set _ZN7rocprim17ROCPRIM_400000_NS6detail17trampoline_kernelINS0_14default_configENS1_38merge_sort_block_merge_config_selectorI6__halfNS0_10empty_typeEEEZZNS1_27merge_sort_block_merge_implIS3_PS5_PS6_jNS1_19radix_merge_compareILb0ELb0ES5_NS0_19identity_decomposerEEEEE10hipError_tT0_T1_T2_jT3_P12ihipStream_tbPNSt15iterator_traitsISF_E10value_typeEPNSL_ISG_E10value_typeEPSH_NS1_7vsmem_tEENKUlT_SF_SG_SH_E_clIS9_S9_SA_SA_EESE_SU_SF_SG_SH_EUlSU_E_NS1_11comp_targetILNS1_3genE8ELNS1_11target_archE1030ELNS1_3gpuE2ELNS1_3repE0EEENS1_48merge_mergepath_partition_config_static_selectorELNS0_4arch9wavefront6targetE0EEEvSG_.uses_flat_scratch, 0
	.set _ZN7rocprim17ROCPRIM_400000_NS6detail17trampoline_kernelINS0_14default_configENS1_38merge_sort_block_merge_config_selectorI6__halfNS0_10empty_typeEEEZZNS1_27merge_sort_block_merge_implIS3_PS5_PS6_jNS1_19radix_merge_compareILb0ELb0ES5_NS0_19identity_decomposerEEEEE10hipError_tT0_T1_T2_jT3_P12ihipStream_tbPNSt15iterator_traitsISF_E10value_typeEPNSL_ISG_E10value_typeEPSH_NS1_7vsmem_tEENKUlT_SF_SG_SH_E_clIS9_S9_SA_SA_EESE_SU_SF_SG_SH_EUlSU_E_NS1_11comp_targetILNS1_3genE8ELNS1_11target_archE1030ELNS1_3gpuE2ELNS1_3repE0EEENS1_48merge_mergepath_partition_config_static_selectorELNS0_4arch9wavefront6targetE0EEEvSG_.has_dyn_sized_stack, 0
	.set _ZN7rocprim17ROCPRIM_400000_NS6detail17trampoline_kernelINS0_14default_configENS1_38merge_sort_block_merge_config_selectorI6__halfNS0_10empty_typeEEEZZNS1_27merge_sort_block_merge_implIS3_PS5_PS6_jNS1_19radix_merge_compareILb0ELb0ES5_NS0_19identity_decomposerEEEEE10hipError_tT0_T1_T2_jT3_P12ihipStream_tbPNSt15iterator_traitsISF_E10value_typeEPNSL_ISG_E10value_typeEPSH_NS1_7vsmem_tEENKUlT_SF_SG_SH_E_clIS9_S9_SA_SA_EESE_SU_SF_SG_SH_EUlSU_E_NS1_11comp_targetILNS1_3genE8ELNS1_11target_archE1030ELNS1_3gpuE2ELNS1_3repE0EEENS1_48merge_mergepath_partition_config_static_selectorELNS0_4arch9wavefront6targetE0EEEvSG_.has_recursion, 0
	.set _ZN7rocprim17ROCPRIM_400000_NS6detail17trampoline_kernelINS0_14default_configENS1_38merge_sort_block_merge_config_selectorI6__halfNS0_10empty_typeEEEZZNS1_27merge_sort_block_merge_implIS3_PS5_PS6_jNS1_19radix_merge_compareILb0ELb0ES5_NS0_19identity_decomposerEEEEE10hipError_tT0_T1_T2_jT3_P12ihipStream_tbPNSt15iterator_traitsISF_E10value_typeEPNSL_ISG_E10value_typeEPSH_NS1_7vsmem_tEENKUlT_SF_SG_SH_E_clIS9_S9_SA_SA_EESE_SU_SF_SG_SH_EUlSU_E_NS1_11comp_targetILNS1_3genE8ELNS1_11target_archE1030ELNS1_3gpuE2ELNS1_3repE0EEENS1_48merge_mergepath_partition_config_static_selectorELNS0_4arch9wavefront6targetE0EEEvSG_.has_indirect_call, 0
	.section	.AMDGPU.csdata,"",@progbits
; Kernel info:
; codeLenInByte = 0
; TotalNumSgprs: 0
; NumVgprs: 0
; ScratchSize: 0
; MemoryBound: 0
; FloatMode: 240
; IeeeMode: 1
; LDSByteSize: 0 bytes/workgroup (compile time only)
; SGPRBlocks: 0
; VGPRBlocks: 0
; NumSGPRsForWavesPerEU: 1
; NumVGPRsForWavesPerEU: 1
; NamedBarCnt: 0
; Occupancy: 16
; WaveLimiterHint : 0
; COMPUTE_PGM_RSRC2:SCRATCH_EN: 0
; COMPUTE_PGM_RSRC2:USER_SGPR: 2
; COMPUTE_PGM_RSRC2:TRAP_HANDLER: 0
; COMPUTE_PGM_RSRC2:TGID_X_EN: 1
; COMPUTE_PGM_RSRC2:TGID_Y_EN: 0
; COMPUTE_PGM_RSRC2:TGID_Z_EN: 0
; COMPUTE_PGM_RSRC2:TIDIG_COMP_CNT: 0
	.section	.text._ZN7rocprim17ROCPRIM_400000_NS6detail17trampoline_kernelINS0_14default_configENS1_38merge_sort_block_merge_config_selectorI6__halfNS0_10empty_typeEEEZZNS1_27merge_sort_block_merge_implIS3_PS5_PS6_jNS1_19radix_merge_compareILb0ELb0ES5_NS0_19identity_decomposerEEEEE10hipError_tT0_T1_T2_jT3_P12ihipStream_tbPNSt15iterator_traitsISF_E10value_typeEPNSL_ISG_E10value_typeEPSH_NS1_7vsmem_tEENKUlT_SF_SG_SH_E_clIS9_S9_SA_SA_EESE_SU_SF_SG_SH_EUlSU_E0_NS1_11comp_targetILNS1_3genE0ELNS1_11target_archE4294967295ELNS1_3gpuE0ELNS1_3repE0EEENS1_38merge_mergepath_config_static_selectorELNS0_4arch9wavefront6targetE0EEEvSG_,"axG",@progbits,_ZN7rocprim17ROCPRIM_400000_NS6detail17trampoline_kernelINS0_14default_configENS1_38merge_sort_block_merge_config_selectorI6__halfNS0_10empty_typeEEEZZNS1_27merge_sort_block_merge_implIS3_PS5_PS6_jNS1_19radix_merge_compareILb0ELb0ES5_NS0_19identity_decomposerEEEEE10hipError_tT0_T1_T2_jT3_P12ihipStream_tbPNSt15iterator_traitsISF_E10value_typeEPNSL_ISG_E10value_typeEPSH_NS1_7vsmem_tEENKUlT_SF_SG_SH_E_clIS9_S9_SA_SA_EESE_SU_SF_SG_SH_EUlSU_E0_NS1_11comp_targetILNS1_3genE0ELNS1_11target_archE4294967295ELNS1_3gpuE0ELNS1_3repE0EEENS1_38merge_mergepath_config_static_selectorELNS0_4arch9wavefront6targetE0EEEvSG_,comdat
	.protected	_ZN7rocprim17ROCPRIM_400000_NS6detail17trampoline_kernelINS0_14default_configENS1_38merge_sort_block_merge_config_selectorI6__halfNS0_10empty_typeEEEZZNS1_27merge_sort_block_merge_implIS3_PS5_PS6_jNS1_19radix_merge_compareILb0ELb0ES5_NS0_19identity_decomposerEEEEE10hipError_tT0_T1_T2_jT3_P12ihipStream_tbPNSt15iterator_traitsISF_E10value_typeEPNSL_ISG_E10value_typeEPSH_NS1_7vsmem_tEENKUlT_SF_SG_SH_E_clIS9_S9_SA_SA_EESE_SU_SF_SG_SH_EUlSU_E0_NS1_11comp_targetILNS1_3genE0ELNS1_11target_archE4294967295ELNS1_3gpuE0ELNS1_3repE0EEENS1_38merge_mergepath_config_static_selectorELNS0_4arch9wavefront6targetE0EEEvSG_ ; -- Begin function _ZN7rocprim17ROCPRIM_400000_NS6detail17trampoline_kernelINS0_14default_configENS1_38merge_sort_block_merge_config_selectorI6__halfNS0_10empty_typeEEEZZNS1_27merge_sort_block_merge_implIS3_PS5_PS6_jNS1_19radix_merge_compareILb0ELb0ES5_NS0_19identity_decomposerEEEEE10hipError_tT0_T1_T2_jT3_P12ihipStream_tbPNSt15iterator_traitsISF_E10value_typeEPNSL_ISG_E10value_typeEPSH_NS1_7vsmem_tEENKUlT_SF_SG_SH_E_clIS9_S9_SA_SA_EESE_SU_SF_SG_SH_EUlSU_E0_NS1_11comp_targetILNS1_3genE0ELNS1_11target_archE4294967295ELNS1_3gpuE0ELNS1_3repE0EEENS1_38merge_mergepath_config_static_selectorELNS0_4arch9wavefront6targetE0EEEvSG_
	.globl	_ZN7rocprim17ROCPRIM_400000_NS6detail17trampoline_kernelINS0_14default_configENS1_38merge_sort_block_merge_config_selectorI6__halfNS0_10empty_typeEEEZZNS1_27merge_sort_block_merge_implIS3_PS5_PS6_jNS1_19radix_merge_compareILb0ELb0ES5_NS0_19identity_decomposerEEEEE10hipError_tT0_T1_T2_jT3_P12ihipStream_tbPNSt15iterator_traitsISF_E10value_typeEPNSL_ISG_E10value_typeEPSH_NS1_7vsmem_tEENKUlT_SF_SG_SH_E_clIS9_S9_SA_SA_EESE_SU_SF_SG_SH_EUlSU_E0_NS1_11comp_targetILNS1_3genE0ELNS1_11target_archE4294967295ELNS1_3gpuE0ELNS1_3repE0EEENS1_38merge_mergepath_config_static_selectorELNS0_4arch9wavefront6targetE0EEEvSG_
	.p2align	8
	.type	_ZN7rocprim17ROCPRIM_400000_NS6detail17trampoline_kernelINS0_14default_configENS1_38merge_sort_block_merge_config_selectorI6__halfNS0_10empty_typeEEEZZNS1_27merge_sort_block_merge_implIS3_PS5_PS6_jNS1_19radix_merge_compareILb0ELb0ES5_NS0_19identity_decomposerEEEEE10hipError_tT0_T1_T2_jT3_P12ihipStream_tbPNSt15iterator_traitsISF_E10value_typeEPNSL_ISG_E10value_typeEPSH_NS1_7vsmem_tEENKUlT_SF_SG_SH_E_clIS9_S9_SA_SA_EESE_SU_SF_SG_SH_EUlSU_E0_NS1_11comp_targetILNS1_3genE0ELNS1_11target_archE4294967295ELNS1_3gpuE0ELNS1_3repE0EEENS1_38merge_mergepath_config_static_selectorELNS0_4arch9wavefront6targetE0EEEvSG_,@function
_ZN7rocprim17ROCPRIM_400000_NS6detail17trampoline_kernelINS0_14default_configENS1_38merge_sort_block_merge_config_selectorI6__halfNS0_10empty_typeEEEZZNS1_27merge_sort_block_merge_implIS3_PS5_PS6_jNS1_19radix_merge_compareILb0ELb0ES5_NS0_19identity_decomposerEEEEE10hipError_tT0_T1_T2_jT3_P12ihipStream_tbPNSt15iterator_traitsISF_E10value_typeEPNSL_ISG_E10value_typeEPSH_NS1_7vsmem_tEENKUlT_SF_SG_SH_E_clIS9_S9_SA_SA_EESE_SU_SF_SG_SH_EUlSU_E0_NS1_11comp_targetILNS1_3genE0ELNS1_11target_archE4294967295ELNS1_3gpuE0ELNS1_3repE0EEENS1_38merge_mergepath_config_static_selectorELNS0_4arch9wavefront6targetE0EEEvSG_: ; @_ZN7rocprim17ROCPRIM_400000_NS6detail17trampoline_kernelINS0_14default_configENS1_38merge_sort_block_merge_config_selectorI6__halfNS0_10empty_typeEEEZZNS1_27merge_sort_block_merge_implIS3_PS5_PS6_jNS1_19radix_merge_compareILb0ELb0ES5_NS0_19identity_decomposerEEEEE10hipError_tT0_T1_T2_jT3_P12ihipStream_tbPNSt15iterator_traitsISF_E10value_typeEPNSL_ISG_E10value_typeEPSH_NS1_7vsmem_tEENKUlT_SF_SG_SH_E_clIS9_S9_SA_SA_EESE_SU_SF_SG_SH_EUlSU_E0_NS1_11comp_targetILNS1_3genE0ELNS1_11target_archE4294967295ELNS1_3gpuE0ELNS1_3repE0EEENS1_38merge_mergepath_config_static_selectorELNS0_4arch9wavefront6targetE0EEEvSG_
; %bb.0:
	s_bfe_u32 s2, ttmp6, 0x40010
	s_and_b32 s4, ttmp7, 0xffff
	s_add_co_i32 s5, s2, 1
	s_clause 0x1
	s_load_b32 s6, s[0:1], 0x30
	s_load_b64 s[2:3], s[0:1], 0x40
	s_bfe_u32 s8, ttmp6, 0x4000c
	s_mul_i32 s5, s4, s5
	s_bfe_u32 s7, ttmp6, 0x40004
	s_add_co_i32 s8, s8, 1
	s_bfe_u32 s9, ttmp6, 0x40014
	s_add_co_i32 s7, s7, s5
	s_and_b32 s5, ttmp6, 15
	s_mul_i32 s8, ttmp9, s8
	s_lshr_b32 s10, ttmp7, 16
	s_add_co_i32 s9, s9, 1
	s_add_co_i32 s5, s5, s8
	s_mul_i32 s8, s10, s9
	s_bfe_u32 s9, ttmp6, 0x40008
	s_getreg_b32 s11, hwreg(HW_REG_IB_STS2, 6, 4)
	s_add_co_i32 s9, s9, s8
	s_cmp_eq_u32 s11, 0
	s_cselect_b32 s8, s10, s9
	s_cselect_b32 s4, s4, s7
	s_wait_kmcnt 0x0
	s_mul_i32 s8, s3, s8
	s_cselect_b32 s3, ttmp9, s5
	s_add_co_i32 s4, s8, s4
	s_mov_b32 s5, 0
	s_mul_i32 s4, s4, s2
	s_delay_alu instid0(SALU_CYCLE_1) | instskip(NEXT) | instid1(SALU_CYCLE_1)
	s_add_co_i32 s4, s4, s3
	s_cmp_ge_u32 s4, s6
	s_cbranch_scc1 .LBB2216_75
; %bb.1:
	v_mov_b32_e32 v3, 0
	s_add_nc_u64 s[10:11], s[0:1], 64
	global_load_b32 v1, v3, s[10:11] offset:14
	s_clause 0x2
	s_load_b64 s[6:7], s[0:1], 0x28
	s_load_b64 s[8:9], s[0:1], 0x38
	s_load_b64 s[16:17], s[0:1], 0x8
	s_wait_kmcnt 0x0
	s_lshr_b32 s15, s6, 10
	s_delay_alu instid0(SALU_CYCLE_1) | instskip(SKIP_2) | instid1(SALU_CYCLE_1)
	s_cmp_lg_u32 s4, s15
	s_cselect_b32 s14, -1, 0
	s_lshl_b64 s[12:13], s[4:5], 2
	s_add_nc_u64 s[8:9], s[8:9], s[12:13]
	s_load_b64 s[12:13], s[8:9], 0x0
	s_wait_xcnt 0x0
	s_lshr_b32 s8, s7, 9
	s_delay_alu instid0(SALU_CYCLE_1) | instskip(NEXT) | instid1(SALU_CYCLE_1)
	s_and_b32 s8, s8, 0x7ffffe
	s_sub_co_i32 s9, 0, s8
	s_lshl_b32 s8, s4, 10
	s_and_b32 s18, s4, s9
	s_or_b32 s9, s4, s9
	s_lshl_b32 s19, s18, 11
	s_lshl_b32 s18, s18, 10
	s_add_co_i32 s19, s19, s7
	s_sub_co_i32 s20, s8, s18
	s_sub_co_i32 s18, s19, s18
	s_add_co_i32 s19, s19, s20
	s_min_u32 s20, s6, s18
	s_add_co_i32 s7, s18, s7
	s_wait_kmcnt 0x0
	s_sub_co_i32 s18, s19, s12
	s_sub_co_i32 s19, s19, s13
	s_min_u32 s18, s6, s18
	s_add_co_i32 s21, s19, 0x400
	s_cmp_eq_u32 s9, -1
	s_mov_b32 s19, s5
	s_cselect_b32 s7, s7, s21
	s_cselect_b32 s9, s20, s13
	s_mov_b32 s13, s5
	s_lshl_b64 s[20:21], s[18:19], 1
	s_min_u32 s19, s7, s6
	s_sub_co_i32 s7, s9, s12
	s_lshl_b64 s[12:13], s[12:13], 1
	s_sub_co_i32 s9, s19, s18
	s_cmp_lt_u32 s3, s2
	s_mov_b32 s3, s5
	s_cselect_b32 s2, 12, 18
	s_add_nc_u64 s[12:13], s[16:17], s[12:13]
	s_add_nc_u64 s[2:3], s[10:11], s[2:3]
	s_cmp_eq_u32 s4, s15
	s_load_u16 s2, s[2:3], 0x0
	s_add_nc_u64 s[10:11], s[16:17], s[20:21]
	s_wait_loadcnt 0x0
	v_lshrrev_b32_e32 v2, 16, v1
	v_and_b32_e32 v1, 0xffff, v1
	s_delay_alu instid0(VALU_DEP_1) | instskip(SKIP_2) | instid1(VALU_DEP_2)
	v_mul_lo_u32 v1, v1, v2
	v_lshlrev_b32_e32 v2, 1, v0
	s_wait_kmcnt 0x0
	v_mul_lo_u32 v1, v1, s2
	s_mov_b32 s2, -1
	s_delay_alu instid0(VALU_DEP_1) | instskip(NEXT) | instid1(VALU_DEP_1)
	v_add_nc_u32_e32 v6, v1, v0
	v_add_nc_u32_e32 v4, v6, v1
	s_cbranch_scc1 .LBB2216_3
; %bb.2:
	v_sub_co_u32 v10, vcc_lo, v0, s7
	v_dual_mov_b32 v11, v3 :: v_dual_mov_b32 v7, v3
	v_add_nc_u64_e32 v[8:9], s[12:13], v[2:3]
	v_sub_co_u32 v14, s2, v6, s7
	s_delay_alu instid0(VALU_DEP_3) | instskip(SKIP_3) | instid1(VALU_DEP_4)
	v_lshl_add_u64 v[10:11], v[10:11], 1, s[10:11]
	v_dual_mov_b32 v15, v3 :: v_dual_mov_b32 v5, v3
	v_lshl_add_u64 v[12:13], v[6:7], 1, s[12:13]
	v_dual_mov_b32 v17, v3 :: v_dual_add_nc_u32 v18, v4, v1
	v_dual_cndmask_b32 v9, v11, v9 :: v_dual_cndmask_b32 v8, v10, v8
	s_delay_alu instid0(VALU_DEP_4) | instskip(SKIP_3) | instid1(VALU_DEP_4)
	v_lshl_add_u64 v[10:11], v[14:15], 1, s[10:11]
	v_sub_co_u32 v16, vcc_lo, v4, s7
	v_mov_b32_e32 v19, v3
	v_lshl_add_u64 v[14:15], v[4:5], 1, s[12:13]
	v_dual_cndmask_b32 v11, v11, v13, s2 :: v_dual_cndmask_b32 v10, v10, v12, s2
	s_delay_alu instid0(VALU_DEP_4) | instskip(NEXT) | instid1(VALU_DEP_4)
	v_lshl_add_u64 v[12:13], v[16:17], 1, s[10:11]
	v_lshl_add_u64 v[16:17], v[18:19], 1, s[12:13]
	v_sub_co_u32 v20, s2, v18, s7
	v_dual_mov_b32 v21, v3 :: v_dual_add_nc_u32 v18, v18, v1
	global_load_u16 v7, v[10:11], off
	s_wait_xcnt 0x0
	v_dual_cndmask_b32 v11, v13, v15 :: v_dual_cndmask_b32 v10, v12, v14
	v_lshl_add_u64 v[12:13], v[20:21], 1, s[10:11]
	v_lshl_add_u64 v[14:15], v[18:19], 1, s[12:13]
	v_sub_co_u32 v20, vcc_lo, v18, s7
	v_add_nc_u32_e32 v18, v18, v1
	global_load_u16 v8, v[8:9], off
	global_load_u16 v9, v[10:11], off
	s_wait_xcnt 0x0
	v_lshl_add_u64 v[10:11], v[20:21], 1, s[10:11]
	v_dual_mov_b32 v23, v3 :: v_dual_add_nc_u32 v20, v18, v1
	v_dual_cndmask_b32 v17, v13, v17, s2 :: v_dual_cndmask_b32 v16, v12, v16, s2
	v_lshl_add_u64 v[12:13], v[18:19], 1, s[12:13]
	v_sub_co_u32 v18, s2, v18, s7
	s_delay_alu instid0(VALU_DEP_4) | instskip(SKIP_2) | instid1(VALU_DEP_3)
	v_dual_cndmask_b32 v15, v11, v15 :: v_dual_add_nc_u32 v22, v20, v1
	v_lshl_add_u64 v[24:25], v[20:21], 1, s[12:13]
	v_sub_co_u32 v20, s3, v20, s7
	v_lshl_add_u64 v[26:27], v[22:23], 1, s[12:13]
	v_sub_co_u32 v22, s4, v22, s7
	v_lshl_add_u64 v[18:19], v[18:19], 1, s[10:11]
	s_delay_alu instid0(VALU_DEP_4) | instskip(SKIP_1) | instid1(VALU_DEP_4)
	v_lshl_add_u64 v[20:21], v[20:21], 1, s[10:11]
	v_cndmask_b32_e32 v14, v10, v14, vcc_lo
	v_lshl_add_u64 v[10:11], v[22:23], 1, s[10:11]
	s_delay_alu instid0(VALU_DEP_4) | instskip(NEXT) | instid1(VALU_DEP_4)
	v_dual_cndmask_b32 v19, v19, v13, s2 :: v_dual_cndmask_b32 v18, v18, v12, s2
	v_dual_cndmask_b32 v21, v21, v25, s3 :: v_dual_cndmask_b32 v20, v20, v24, s3
	s_delay_alu instid0(VALU_DEP_3)
	v_dual_cndmask_b32 v23, v11, v27, s4 :: v_dual_cndmask_b32 v22, v10, v26, s4
	global_load_u16 v10, v[16:17], off
	global_load_u16 v11, v[14:15], off
	;; [unrolled: 1-line block ×5, first 2 shown]
	s_add_co_i32 s4, s9, s7
	s_cbranch_execz .LBB2216_4
	s_branch .LBB2216_21
.LBB2216_3:
                                        ; implicit-def: $vgpr13
                                        ; implicit-def: $vgpr3
                                        ; implicit-def: $vgpr12
                                        ; implicit-def: $vgpr11
                                        ; implicit-def: $vgpr10
                                        ; implicit-def: $vgpr9
                                        ; implicit-def: $vgpr7
                                        ; implicit-def: $vgpr8
                                        ; implicit-def: $sgpr4
	s_and_not1_b32 vcc_lo, exec_lo, s2
	s_cbranch_vccnz .LBB2216_21
.LBB2216_4:
	s_add_co_i32 s4, s9, s7
	s_mov_b32 s2, exec_lo
                                        ; implicit-def: $vgpr8
	s_wait_xcnt 0x0
	v_cmpx_gt_u32_e64 s4, v0
	s_cbranch_execz .LBB2216_6
; %bb.5:
	s_wait_loadcnt 0x4
	v_sub_co_u32 v10, vcc_lo, v0, s7
	s_wait_loadcnt 0x1
	v_mov_b32_e32 v3, 0
	s_delay_alu instid0(VALU_DEP_1) | instskip(SKIP_1) | instid1(VALU_DEP_1)
	v_add_nc_u64_e32 v[8:9], s[12:13], v[2:3]
	v_mov_b32_e32 v11, v3
	v_lshl_add_u64 v[10:11], v[10:11], 1, s[10:11]
	s_delay_alu instid0(VALU_DEP_1)
	v_dual_cndmask_b32 v9, v11, v9 :: v_dual_cndmask_b32 v8, v10, v8
	global_load_u16 v8, v[8:9], off
.LBB2216_6:
	s_wait_xcnt 0x0
	s_or_b32 exec_lo, exec_lo, s2
	s_delay_alu instid0(SALU_CYCLE_1)
	s_mov_b32 s2, exec_lo
                                        ; implicit-def: $vgpr7
	v_cmpx_gt_u32_e64 s4, v6
	s_cbranch_execz .LBB2216_8
; %bb.7:
	s_wait_loadcnt 0x7
	v_mov_b32_e32 v7, 0
	s_wait_loadcnt 0x3
	s_delay_alu instid0(VALU_DEP_1) | instskip(SKIP_1) | instid1(VALU_DEP_1)
	v_lshl_add_u64 v[10:11], v[6:7], 1, s[12:13]
	v_sub_co_u32 v6, vcc_lo, v6, s7
	v_lshl_add_u64 v[6:7], v[6:7], 1, s[10:11]
	s_delay_alu instid0(VALU_DEP_1)
	v_dual_cndmask_b32 v7, v7, v11 :: v_dual_cndmask_b32 v6, v6, v10
	global_load_u16 v7, v[6:7], off
.LBB2216_8:
	s_wait_xcnt 0x0
	s_or_b32 exec_lo, exec_lo, s2
	s_delay_alu instid0(SALU_CYCLE_1)
	s_mov_b32 s2, exec_lo
                                        ; implicit-def: $vgpr9
	v_cmpx_gt_u32_e64 s4, v4
	s_cbranch_execz .LBB2216_10
; %bb.9:
	s_wait_loadcnt 0x2
	v_sub_co_u32 v12, vcc_lo, v4, s7
	v_mov_b32_e32 v5, 0
	s_delay_alu instid0(VALU_DEP_1) | instskip(SKIP_2) | instid1(VALU_DEP_1)
	v_lshl_add_u64 v[10:11], v[4:5], 1, s[12:13]
	s_wait_loadcnt 0x0
	v_mov_b32_e32 v13, v5
	v_lshl_add_u64 v[12:13], v[12:13], 1, s[10:11]
	s_delay_alu instid0(VALU_DEP_1)
	v_dual_cndmask_b32 v11, v13, v11 :: v_dual_cndmask_b32 v10, v12, v10
	global_load_u16 v9, v[10:11], off
.LBB2216_10:
	s_wait_xcnt 0x0
	s_or_b32 exec_lo, exec_lo, s2
	v_add_nc_u32_e32 v4, v4, v1
	s_mov_b32 s2, exec_lo
                                        ; implicit-def: $vgpr10
	s_delay_alu instid0(VALU_DEP_1)
	v_cmpx_gt_u32_e64 s4, v4
	s_cbranch_execz .LBB2216_12
; %bb.11:
	s_wait_loadcnt 0x2
	v_sub_co_u32 v12, vcc_lo, v4, s7
	v_mov_b32_e32 v5, 0
	s_delay_alu instid0(VALU_DEP_1) | instskip(SKIP_2) | instid1(VALU_DEP_1)
	v_lshl_add_u64 v[10:11], v[4:5], 1, s[12:13]
	s_wait_loadcnt 0x0
	v_mov_b32_e32 v13, v5
	v_lshl_add_u64 v[12:13], v[12:13], 1, s[10:11]
	s_delay_alu instid0(VALU_DEP_1)
	v_dual_cndmask_b32 v11, v13, v11 :: v_dual_cndmask_b32 v10, v12, v10
	global_load_u16 v10, v[10:11], off
.LBB2216_12:
	s_wait_xcnt 0x0
	s_or_b32 exec_lo, exec_lo, s2
	v_add_nc_u32_e32 v4, v4, v1
	s_mov_b32 s2, exec_lo
                                        ; implicit-def: $vgpr11
	s_delay_alu instid0(VALU_DEP_1)
	v_cmpx_gt_u32_e64 s4, v4
	s_cbranch_execz .LBB2216_14
; %bb.13:
	v_sub_co_u32 v14, vcc_lo, v4, s7
	v_mov_b32_e32 v5, 0
	s_wait_loadcnt 0x0
	s_delay_alu instid0(VALU_DEP_1) | instskip(SKIP_1) | instid1(VALU_DEP_1)
	v_lshl_add_u64 v[12:13], v[4:5], 1, s[12:13]
	v_mov_b32_e32 v15, v5
	v_lshl_add_u64 v[14:15], v[14:15], 1, s[10:11]
	s_delay_alu instid0(VALU_DEP_1)
	v_dual_cndmask_b32 v13, v15, v13 :: v_dual_cndmask_b32 v12, v14, v12
	global_load_u16 v11, v[12:13], off
.LBB2216_14:
	s_wait_xcnt 0x0
	s_or_b32 exec_lo, exec_lo, s2
	v_add_nc_u32_e32 v4, v4, v1
	s_mov_b32 s2, exec_lo
                                        ; implicit-def: $vgpr12
	s_delay_alu instid0(VALU_DEP_1)
	v_cmpx_gt_u32_e64 s4, v4
	s_cbranch_execz .LBB2216_16
; %bb.15:
	v_sub_co_u32 v14, vcc_lo, v4, s7
	v_mov_b32_e32 v5, 0
	s_wait_loadcnt 0x0
	s_delay_alu instid0(VALU_DEP_1) | instskip(SKIP_1) | instid1(VALU_DEP_1)
	v_lshl_add_u64 v[12:13], v[4:5], 1, s[12:13]
	v_mov_b32_e32 v15, v5
	v_lshl_add_u64 v[14:15], v[14:15], 1, s[10:11]
	s_delay_alu instid0(VALU_DEP_1)
	v_dual_cndmask_b32 v13, v15, v13 :: v_dual_cndmask_b32 v12, v14, v12
	global_load_u16 v12, v[12:13], off
.LBB2216_16:
	s_wait_xcnt 0x0
	s_or_b32 exec_lo, exec_lo, s2
	v_add_nc_u32_e32 v4, v4, v1
	s_mov_b32 s2, exec_lo
                                        ; implicit-def: $vgpr3
	s_delay_alu instid0(VALU_DEP_1)
	v_cmpx_gt_u32_e64 s4, v4
	s_cbranch_execz .LBB2216_18
; %bb.17:
	v_sub_co_u32 v16, vcc_lo, v4, s7
	v_mov_b32_e32 v5, 0
	s_delay_alu instid0(VALU_DEP_1) | instskip(SKIP_1) | instid1(VALU_DEP_1)
	v_lshl_add_u64 v[14:15], v[4:5], 1, s[12:13]
	v_mov_b32_e32 v17, v5
	v_lshl_add_u64 v[16:17], v[16:17], 1, s[10:11]
	s_delay_alu instid0(VALU_DEP_1)
	v_dual_cndmask_b32 v15, v17, v15 :: v_dual_cndmask_b32 v14, v16, v14
	s_wait_loadcnt 0x1
	global_load_u16 v3, v[14:15], off
.LBB2216_18:
	s_wait_xcnt 0x0
	s_or_b32 exec_lo, exec_lo, s2
	v_add_nc_u32_e32 v4, v4, v1
	s_mov_b32 s2, exec_lo
                                        ; implicit-def: $vgpr13
	s_delay_alu instid0(VALU_DEP_1)
	v_cmpx_gt_u32_e64 s4, v4
	s_cbranch_execz .LBB2216_20
; %bb.19:
	v_mov_b32_e32 v5, 0
	s_delay_alu instid0(VALU_DEP_1) | instskip(SKIP_1) | instid1(VALU_DEP_1)
	v_lshl_add_u64 v[14:15], v[4:5], 1, s[12:13]
	v_sub_co_u32 v4, vcc_lo, v4, s7
	v_lshl_add_u64 v[4:5], v[4:5], 1, s[10:11]
	s_delay_alu instid0(VALU_DEP_1)
	v_dual_cndmask_b32 v5, v5, v15 :: v_dual_cndmask_b32 v4, v4, v14
	s_wait_loadcnt 0x0
	global_load_u16 v13, v[4:5], off
.LBB2216_20:
	s_wait_xcnt 0x0
	s_or_b32 exec_lo, exec_lo, s2
.LBB2216_21:
	s_load_b64 s[2:3], s[0:1], 0x10
	v_lshlrev_b32_e32 v1, 3, v0
	s_wait_xcnt 0x0
	s_mov_b32 s0, exec_lo
	s_wait_loadcnt 0x0
	ds_store_b16 v2, v8
	ds_store_b16 v2, v7 offset:256
	ds_store_b16 v2, v9 offset:512
	;; [unrolled: 1-line block ×7, first 2 shown]
	s_wait_dscnt 0x0
	s_barrier_signal -1
	v_min_u32_e32 v4, s4, v1
	s_barrier_wait -1
	s_delay_alu instid0(VALU_DEP_1) | instskip(SKIP_1) | instid1(VALU_DEP_1)
	v_sub_nc_u32_e64 v5, v4, s9 clamp
	v_min_u32_e32 v6, s7, v4
	v_cmpx_lt_u32_e64 v5, v6
	s_cbranch_execz .LBB2216_25
; %bb.22:
	v_lshlrev_b32_e32 v14, 1, v4
	s_mov_b32 s1, 0
	s_delay_alu instid0(VALU_DEP_1)
	v_lshl_add_u32 v14, s7, 1, v14
.LBB2216_23:                            ; =>This Inner Loop Header: Depth=1
	v_add_nc_u32_e32 v15, v6, v5
	s_delay_alu instid0(VALU_DEP_1) | instskip(NEXT) | instid1(VALU_DEP_1)
	v_dual_lshrrev_b32 v16, 1, v15 :: v_dual_bitop2_b32 v15, -2, v15 bitop3:0x40
	v_not_b32_e32 v17, v16
	s_delay_alu instid0(VALU_DEP_1)
	v_lshl_add_u32 v17, v17, 1, v14
	ds_load_u16 v15, v15
	ds_load_u16 v17, v17
	s_wait_dscnt 0x1
	v_add_f16_e32 v15, 0, v15
	s_wait_dscnt 0x0
	v_add_f16_e32 v17, 0, v17
	s_delay_alu instid0(VALU_DEP_2) | instskip(SKIP_1) | instid1(VALU_DEP_3)
	v_cmp_lt_i16_e32 vcc_lo, -1, v15
	v_cndmask_b32_e64 v18, -1, 0xffff8000, vcc_lo
	v_cmp_lt_i16_e32 vcc_lo, -1, v17
	s_delay_alu instid0(VALU_DEP_2) | instskip(SKIP_1) | instid1(VALU_DEP_1)
	v_xor_b32_e32 v15, v18, v15
	v_cndmask_b32_e64 v19, -1, 0xffff8000, vcc_lo
	v_dual_add_nc_u32 v18, 1, v16 :: v_dual_bitop2_b32 v17, v19, v17 bitop3:0x14
	s_delay_alu instid0(VALU_DEP_1) | instskip(SKIP_1) | instid1(VALU_DEP_3)
	v_cmp_gt_u16_e32 vcc_lo, v15, v17
	v_cndmask_b32_e32 v6, v6, v16, vcc_lo
	v_cndmask_b32_e32 v5, v18, v5, vcc_lo
	s_delay_alu instid0(VALU_DEP_1) | instskip(SKIP_1) | instid1(SALU_CYCLE_1)
	v_cmp_ge_u32_e32 vcc_lo, v5, v6
	s_or_b32 s1, vcc_lo, s1
	s_and_not1_b32 exec_lo, exec_lo, s1
	s_cbranch_execnz .LBB2216_23
; %bb.24:
	s_or_b32 exec_lo, exec_lo, s1
.LBB2216_25:
	s_delay_alu instid0(SALU_CYCLE_1) | instskip(SKIP_2) | instid1(VALU_DEP_2)
	s_or_b32 exec_lo, exec_lo, s0
	v_sub_nc_u32_e32 v4, v4, v5
	v_cmp_ge_u32_e32 vcc_lo, s7, v5
	v_add_nc_u32_e32 v6, s7, v4
	s_delay_alu instid0(VALU_DEP_1) | instskip(SKIP_1) | instid1(SALU_CYCLE_1)
	v_cmp_ge_u32_e64 s0, s4, v6
	s_or_b32 s0, vcc_lo, s0
	s_and_saveexec_b32 s1, s0
	s_cbranch_execz .LBB2216_61
; %bb.26:
	s_mov_b32 s5, exec_lo
	v_cmp_le_u32_e32 vcc_lo, s7, v5
                                        ; implicit-def: $vgpr3
	v_cmpx_gt_u32_e64 s7, v5
; %bb.27:
	v_lshlrev_b32_e32 v3, 1, v5
	ds_load_u16 v3, v3
; %bb.28:
	s_or_b32 exec_lo, exec_lo, s5
	v_cmp_le_u32_e64 s5, s4, v6
	s_mov_b32 s9, exec_lo
                                        ; implicit-def: $vgpr4
	v_cmpx_gt_u32_e64 s4, v6
; %bb.29:
	v_lshlrev_b32_e32 v4, 1, v6
	ds_load_u16 v4, v4
; %bb.30:
	s_or_b32 exec_lo, exec_lo, s9
	s_nor_b32 s9, vcc_lo, s5
	s_delay_alu instid0(SALU_CYCLE_1)
	s_and_saveexec_b32 s0, s9
	s_cbranch_execz .LBB2216_32
; %bb.31:
	s_wait_dscnt 0x0
	v_add_f16_e32 v7, 0, v3
	v_add_f16_e32 v8, 0, v4
	s_and_not1_b32 s5, s5, exec_lo
	s_delay_alu instid0(VALU_DEP_2) | instskip(SKIP_1) | instid1(VALU_DEP_3)
	v_cmp_lt_i16_e32 vcc_lo, -1, v7
	v_cndmask_b32_e64 v9, -1, 0xffff8000, vcc_lo
	v_cmp_lt_i16_e32 vcc_lo, -1, v8
	s_delay_alu instid0(VALU_DEP_2) | instskip(SKIP_1) | instid1(VALU_DEP_1)
	v_xor_b32_e32 v7, v9, v7
	v_cndmask_b32_e64 v10, -1, 0xffff8000, vcc_lo
	v_xor_b32_e32 v8, v10, v8
	s_delay_alu instid0(VALU_DEP_1) | instskip(SKIP_1) | instid1(SALU_CYCLE_1)
	v_cmp_le_u16_e32 vcc_lo, v7, v8
	s_and_b32 s9, vcc_lo, exec_lo
	s_or_b32 s5, s5, s9
.LBB2216_32:
	s_or_b32 exec_lo, exec_lo, s0
	v_dual_mov_b32 v7, s7 :: v_dual_cndmask_b32 v8, v6, v5, s5
	s_mov_b32 s9, -1
	s_mov_b32 s0, -1
	s_mov_b32 s10, exec_lo
	s_delay_alu instid0(VALU_DEP_1) | instskip(NEXT) | instid1(VALU_DEP_1)
	v_dual_cndmask_b32 v7, s4, v7, s5 :: v_dual_add_nc_u32 v8, 1, v8
	v_add_min_u32_e64 v7, v7, -1, v8
	s_delay_alu instid0(VALU_DEP_1) | instskip(SKIP_4) | instid1(VALU_DEP_2)
	v_lshlrev_b32_e32 v7, 1, v7
	ds_load_u16 v9, v7
	v_dual_cndmask_b32 v7, v8, v6, s5 :: v_dual_cndmask_b32 v8, v5, v8, s5
	s_wait_dscnt 0x0
	v_dual_cndmask_b32 v5, v9, v4, s5 :: v_dual_cndmask_b32 v6, v3, v9, s5
	v_cmpx_gt_u32_e64 s4, v7
	s_cbranch_execz .LBB2216_36
; %bb.33:
	s_mov_b32 s11, 0
	s_mov_b32 s0, exec_lo
	v_cmpx_gt_u32_e64 s7, v8
	s_cbranch_execz .LBB2216_35
; %bb.34:
	v_add_f16_e32 v9, 0, v6
	v_add_f16_e32 v10, 0, v5
	s_delay_alu instid0(VALU_DEP_2) | instskip(SKIP_1) | instid1(VALU_DEP_3)
	v_cmp_lt_i16_e32 vcc_lo, -1, v9
	v_cndmask_b32_e64 v11, -1, 0xffff8000, vcc_lo
	v_cmp_lt_i16_e32 vcc_lo, -1, v10
	s_delay_alu instid0(VALU_DEP_2) | instskip(SKIP_1) | instid1(VALU_DEP_1)
	v_xor_b32_e32 v9, v11, v9
	v_cndmask_b32_e64 v12, -1, 0xffff8000, vcc_lo
	v_xor_b32_e32 v10, v12, v10
	s_delay_alu instid0(VALU_DEP_1)
	v_cmp_le_u16_e32 vcc_lo, v9, v10
	s_and_b32 s11, vcc_lo, exec_lo
.LBB2216_35:
	s_or_b32 exec_lo, exec_lo, s0
	s_delay_alu instid0(SALU_CYCLE_1)
	s_or_not1_b32 s0, s11, exec_lo
.LBB2216_36:
	s_or_b32 exec_lo, exec_lo, s10
	v_dual_mov_b32 v9, s7 :: v_dual_cndmask_b32 v10, v7, v8, s0
	s_mov_b32 s10, exec_lo
	s_delay_alu instid0(VALU_DEP_1) | instskip(NEXT) | instid1(VALU_DEP_1)
	v_dual_cndmask_b32 v9, s4, v9, s0 :: v_dual_add_nc_u32 v10, 1, v10
	v_add_min_u32_e64 v9, v9, -1, v10
	s_delay_alu instid0(VALU_DEP_1) | instskip(SKIP_4) | instid1(VALU_DEP_2)
	v_lshlrev_b32_e32 v9, 1, v9
	ds_load_u16 v11, v9
	v_dual_cndmask_b32 v9, v10, v7, s0 :: v_dual_cndmask_b32 v10, v8, v10, s0
	s_wait_dscnt 0x0
	v_dual_cndmask_b32 v7, v11, v5, s0 :: v_dual_cndmask_b32 v8, v6, v11, s0
	v_cmpx_gt_u32_e64 s4, v9
	s_cbranch_execz .LBB2216_40
; %bb.37:
	s_mov_b32 s11, 0
	s_mov_b32 s9, exec_lo
	v_cmpx_gt_u32_e64 s7, v10
	s_cbranch_execz .LBB2216_39
; %bb.38:
	v_add_f16_e32 v11, 0, v8
	v_add_f16_e32 v12, 0, v7
	s_delay_alu instid0(VALU_DEP_2) | instskip(SKIP_1) | instid1(VALU_DEP_3)
	v_cmp_lt_i16_e32 vcc_lo, -1, v11
	v_cndmask_b32_e64 v13, -1, 0xffff8000, vcc_lo
	v_cmp_lt_i16_e32 vcc_lo, -1, v12
	s_delay_alu instid0(VALU_DEP_2) | instskip(SKIP_1) | instid1(VALU_DEP_1)
	v_xor_b32_e32 v11, v13, v11
	v_cndmask_b32_e64 v14, -1, 0xffff8000, vcc_lo
	v_xor_b32_e32 v12, v14, v12
	s_delay_alu instid0(VALU_DEP_1)
	v_cmp_le_u16_e32 vcc_lo, v11, v12
	s_and_b32 s11, vcc_lo, exec_lo
.LBB2216_39:
	s_or_b32 exec_lo, exec_lo, s9
	s_delay_alu instid0(SALU_CYCLE_1)
	s_or_not1_b32 s9, s11, exec_lo
.LBB2216_40:
	s_or_b32 exec_lo, exec_lo, s10
	v_dual_mov_b32 v11, s7 :: v_dual_cndmask_b32 v12, v9, v10, s9
	s_mov_b32 s11, -1
	s_mov_b32 s10, -1
	s_mov_b32 s12, exec_lo
	s_delay_alu instid0(VALU_DEP_1) | instskip(NEXT) | instid1(VALU_DEP_1)
	v_dual_cndmask_b32 v11, s4, v11, s9 :: v_dual_add_nc_u32 v12, 1, v12
	v_add_min_u32_e64 v11, v11, -1, v12
	s_delay_alu instid0(VALU_DEP_1) | instskip(SKIP_4) | instid1(VALU_DEP_2)
	v_lshlrev_b32_e32 v11, 1, v11
	ds_load_u16 v13, v11
	v_dual_cndmask_b32 v11, v12, v9, s9 :: v_dual_cndmask_b32 v12, v10, v12, s9
	s_wait_dscnt 0x0
	v_dual_cndmask_b32 v9, v13, v7, s9 :: v_dual_cndmask_b32 v10, v8, v13, s9
	v_cmpx_gt_u32_e64 s4, v11
	s_cbranch_execz .LBB2216_44
; %bb.41:
	s_mov_b32 s13, 0
	s_mov_b32 s10, exec_lo
	v_cmpx_gt_u32_e64 s7, v12
	s_cbranch_execz .LBB2216_43
; %bb.42:
	v_add_f16_e32 v13, 0, v10
	v_add_f16_e32 v14, 0, v9
	s_delay_alu instid0(VALU_DEP_2) | instskip(SKIP_1) | instid1(VALU_DEP_3)
	v_cmp_lt_i16_e32 vcc_lo, -1, v13
	v_cndmask_b32_e64 v15, -1, 0xffff8000, vcc_lo
	v_cmp_lt_i16_e32 vcc_lo, -1, v14
	s_delay_alu instid0(VALU_DEP_2) | instskip(SKIP_1) | instid1(VALU_DEP_1)
	v_xor_b32_e32 v13, v15, v13
	v_cndmask_b32_e64 v16, -1, 0xffff8000, vcc_lo
	v_xor_b32_e32 v14, v16, v14
	s_delay_alu instid0(VALU_DEP_1)
	v_cmp_le_u16_e32 vcc_lo, v13, v14
	s_and_b32 s13, vcc_lo, exec_lo
.LBB2216_43:
	s_or_b32 exec_lo, exec_lo, s10
	s_delay_alu instid0(SALU_CYCLE_1)
	s_or_not1_b32 s10, s13, exec_lo
.LBB2216_44:
	s_or_b32 exec_lo, exec_lo, s12
	v_dual_mov_b32 v13, s7 :: v_dual_cndmask_b32 v14, v11, v12, s10
	s_mov_b32 s12, exec_lo
	s_delay_alu instid0(VALU_DEP_1) | instskip(NEXT) | instid1(VALU_DEP_1)
	v_dual_cndmask_b32 v13, s4, v13, s10 :: v_dual_add_nc_u32 v14, 1, v14
	v_add_min_u32_e64 v13, v13, -1, v14
	s_delay_alu instid0(VALU_DEP_1) | instskip(SKIP_4) | instid1(VALU_DEP_2)
	v_dual_cndmask_b32 v12, v12, v14, s10 :: v_dual_lshlrev_b32 v13, 1, v13
	ds_load_u16 v15, v13
	s_wait_dscnt 0x0
	v_dual_cndmask_b32 v13, v14, v11, s10 :: v_dual_cndmask_b32 v11, v15, v9, s10
	v_cndmask_b32_e64 v14, v10, v15, s10
	v_cmpx_gt_u32_e64 s4, v13
	s_cbranch_execz .LBB2216_48
; %bb.45:
	s_mov_b32 s13, 0
	s_mov_b32 s11, exec_lo
	v_cmpx_gt_u32_e64 s7, v12
	s_cbranch_execz .LBB2216_47
; %bb.46:
	v_add_f16_e32 v15, 0, v14
	v_add_f16_e32 v16, 0, v11
	s_delay_alu instid0(VALU_DEP_2) | instskip(SKIP_1) | instid1(VALU_DEP_3)
	v_cmp_lt_i16_e32 vcc_lo, -1, v15
	v_cndmask_b32_e64 v17, -1, 0xffff8000, vcc_lo
	v_cmp_lt_i16_e32 vcc_lo, -1, v16
	s_delay_alu instid0(VALU_DEP_2) | instskip(SKIP_1) | instid1(VALU_DEP_1)
	v_xor_b32_e32 v15, v17, v15
	v_cndmask_b32_e64 v18, -1, 0xffff8000, vcc_lo
	v_xor_b32_e32 v16, v18, v16
	s_delay_alu instid0(VALU_DEP_1)
	v_cmp_le_u16_e32 vcc_lo, v15, v16
	s_and_b32 s13, vcc_lo, exec_lo
.LBB2216_47:
	s_or_b32 exec_lo, exec_lo, s11
	s_delay_alu instid0(SALU_CYCLE_1)
	s_or_not1_b32 s11, s13, exec_lo
.LBB2216_48:
	s_or_b32 exec_lo, exec_lo, s12
	v_dual_mov_b32 v15, s7 :: v_dual_cndmask_b32 v16, v13, v12, s11
	s_mov_b32 s12, -1
	s_mov_b32 s13, -1
	s_mov_b32 s15, exec_lo
	s_delay_alu instid0(VALU_DEP_1) | instskip(NEXT) | instid1(VALU_DEP_1)
	v_dual_cndmask_b32 v15, s4, v15, s11 :: v_dual_add_nc_u32 v16, 1, v16
	v_add_min_u32_e64 v15, v15, -1, v16
	s_delay_alu instid0(VALU_DEP_1)
	v_dual_cndmask_b32 v13, v16, v13, s11 :: v_dual_lshlrev_b32 v15, 1, v15
	ds_load_u16 v15, v15
	s_wait_dscnt 0x0
	v_dual_cndmask_b32 v16, v12, v16, s11 :: v_dual_cndmask_b32 v12, v15, v11, s11
	v_cndmask_b32_e64 v15, v14, v15, s11
	v_cmpx_gt_u32_e64 s4, v13
	s_cbranch_execz .LBB2216_52
; %bb.49:
	s_mov_b32 s16, 0
	s_mov_b32 s13, exec_lo
	v_cmpx_gt_u32_e64 s7, v16
	s_cbranch_execz .LBB2216_51
; %bb.50:
	v_add_f16_e32 v17, 0, v15
	v_add_f16_e32 v18, 0, v12
	s_delay_alu instid0(VALU_DEP_2) | instskip(SKIP_1) | instid1(VALU_DEP_3)
	v_cmp_lt_i16_e32 vcc_lo, -1, v17
	v_cndmask_b32_e64 v19, -1, 0xffff8000, vcc_lo
	v_cmp_lt_i16_e32 vcc_lo, -1, v18
	s_delay_alu instid0(VALU_DEP_2) | instskip(SKIP_1) | instid1(VALU_DEP_1)
	v_xor_b32_e32 v17, v19, v17
	v_cndmask_b32_e64 v20, -1, 0xffff8000, vcc_lo
	v_xor_b32_e32 v18, v20, v18
	s_delay_alu instid0(VALU_DEP_1)
	v_cmp_le_u16_e32 vcc_lo, v17, v18
	s_and_b32 s16, vcc_lo, exec_lo
.LBB2216_51:
	s_or_b32 exec_lo, exec_lo, s13
	s_delay_alu instid0(SALU_CYCLE_1)
	s_or_not1_b32 s13, s16, exec_lo
.LBB2216_52:
	s_or_b32 exec_lo, exec_lo, s15
	v_dual_mov_b32 v17, s7 :: v_dual_cndmask_b32 v18, v13, v16, s13
	s_mov_b32 s15, exec_lo
	s_delay_alu instid0(VALU_DEP_1) | instskip(NEXT) | instid1(VALU_DEP_1)
	v_dual_cndmask_b32 v17, s4, v17, s13 :: v_dual_add_nc_u32 v18, 1, v18
	v_add_min_u32_e64 v17, v17, -1, v18
	v_dual_cndmask_b32 v13, v18, v13, s13 :: v_dual_cndmask_b32 v18, v16, v18, s13
	s_delay_alu instid0(VALU_DEP_2)
	v_lshlrev_b32_e32 v17, 1, v17
	ds_load_u16 v17, v17
	s_wait_dscnt 0x0
	v_dual_cndmask_b32 v16, v17, v12, s13 :: v_dual_cndmask_b32 v17, v15, v17, s13
	v_cmpx_gt_u32_e64 s4, v13
	s_cbranch_execz .LBB2216_56
; %bb.53:
	s_mov_b32 s16, 0
	s_mov_b32 s12, exec_lo
	v_cmpx_gt_u32_e64 s7, v18
	s_cbranch_execz .LBB2216_55
; %bb.54:
	v_add_f16_e32 v19, 0, v17
	v_add_f16_e32 v20, 0, v16
	s_delay_alu instid0(VALU_DEP_2) | instskip(SKIP_1) | instid1(VALU_DEP_3)
	v_cmp_lt_i16_e32 vcc_lo, -1, v19
	v_cndmask_b32_e64 v21, -1, 0xffff8000, vcc_lo
	v_cmp_lt_i16_e32 vcc_lo, -1, v20
	s_delay_alu instid0(VALU_DEP_2) | instskip(SKIP_1) | instid1(VALU_DEP_1)
	v_xor_b32_e32 v19, v21, v19
	v_cndmask_b32_e64 v22, -1, 0xffff8000, vcc_lo
	v_xor_b32_e32 v20, v22, v20
	s_delay_alu instid0(VALU_DEP_1)
	v_cmp_le_u16_e32 vcc_lo, v19, v20
	s_and_b32 s16, vcc_lo, exec_lo
.LBB2216_55:
	s_or_b32 exec_lo, exec_lo, s12
	s_delay_alu instid0(SALU_CYCLE_1)
	s_or_not1_b32 s12, s16, exec_lo
.LBB2216_56:
	s_or_b32 exec_lo, exec_lo, s15
	v_dual_mov_b32 v19, s7 :: v_dual_cndmask_b32 v20, v13, v18, s12
	s_delay_alu instid0(VALU_DEP_1) | instskip(NEXT) | instid1(VALU_DEP_1)
	v_dual_cndmask_b32 v21, s4, v19, s12 :: v_dual_add_nc_u32 v19, 1, v20
	v_add_min_u32_e64 v20, v21, -1, v19
	s_delay_alu instid0(VALU_DEP_1) | instskip(NEXT) | instid1(VALU_DEP_1)
	v_dual_cndmask_b32 v21, v19, v13, s12 :: v_dual_lshlrev_b32 v20, 1, v20
	v_cmp_gt_u32_e32 vcc_lo, s4, v21
	ds_load_u16 v20, v20
	s_wait_dscnt 0x0
	v_cndmask_b32_e64 v13, v17, v20, s12
	s_and_saveexec_b32 s4, vcc_lo
	s_cbranch_execz .LBB2216_60
; %bb.57:
	v_dual_cndmask_b32 v19, v18, v19, s12 :: v_dual_cndmask_b32 v18, v20, v16, s12
	s_delay_alu instid0(VALU_DEP_1)
	v_cmp_gt_u32_e32 vcc_lo, s7, v19
	s_and_saveexec_b32 s7, vcc_lo
	s_cbranch_execz .LBB2216_59
; %bb.58:
	v_add_f16_e32 v19, 0, v13
	v_add_f16_e32 v20, 0, v18
	s_delay_alu instid0(VALU_DEP_2) | instskip(SKIP_1) | instid1(VALU_DEP_3)
	v_cmp_lt_i16_e32 vcc_lo, -1, v19
	v_cndmask_b32_e64 v21, -1, 0xffff8000, vcc_lo
	v_cmp_lt_i16_e32 vcc_lo, -1, v20
	s_delay_alu instid0(VALU_DEP_2) | instskip(SKIP_1) | instid1(VALU_DEP_1)
	v_xor_b32_e32 v19, v21, v19
	v_cndmask_b32_e64 v22, -1, 0xffff8000, vcc_lo
	v_xor_b32_e32 v20, v22, v20
	s_delay_alu instid0(VALU_DEP_1)
	v_cmp_gt_u16_e32 vcc_lo, v19, v20
	v_cndmask_b32_e32 v18, v13, v18, vcc_lo
.LBB2216_59:
	s_or_b32 exec_lo, exec_lo, s7
	s_delay_alu instid0(VALU_DEP_1)
	v_mov_b32_e32 v13, v18
.LBB2216_60:
	s_or_b32 exec_lo, exec_lo, s4
	v_dual_cndmask_b32 v12, v12, v15, s13 :: v_dual_cndmask_b32 v11, v11, v14, s11
	v_dual_cndmask_b32 v10, v9, v10, s10 :: v_dual_cndmask_b32 v9, v7, v8, s9
	;; [unrolled: 1-line block ×3, first 2 shown]
	v_cndmask_b32_e64 v3, v16, v17, s12
.LBB2216_61:
	s_or_b32 exec_lo, exec_lo, s1
	v_dual_lshrrev_b32 v4, 1, v0 :: v_dual_lshrrev_b32 v6, 4, v0
	v_or_b32_e32 v15, 0x80, v0
	v_or_b32_e32 v14, 0x100, v0
	v_perm_b32 v5, v7, v8, 0x5040100
	s_delay_alu instid0(VALU_DEP_4) | instskip(SKIP_1) | instid1(VALU_DEP_4)
	v_and_b32_e32 v4, 60, v4
	v_perm_b32 v3, v13, v3, 0x5040100
	v_dual_lshrrev_b32 v7, 4, v15 :: v_dual_lshrrev_b32 v8, 4, v14
	s_delay_alu instid0(VALU_DEP_3)
	v_lshl_add_u32 v1, v1, 1, v4
	v_perm_b32 v4, v10, v9, 0x5040100
	v_or_b32_e32 v9, 0x180, v0
	v_perm_b32 v10, v12, v11, 0x5040100
	s_barrier_signal -1
	s_barrier_wait -1
	s_barrier_signal -1
	s_barrier_wait -1
	v_and_b32_e32 v6, 4, v6
	v_and_b32_e32 v7, 12, v7
	ds_store_2addr_b32 v1, v5, v4 offset1:1
	ds_store_2addr_b32 v1, v10, v3 offset0:2 offset1:3
	v_dual_lshrrev_b32 v1, 4, v9 :: v_dual_bitop2_b32 v8, 20, v8 bitop3:0x40
	v_dual_add_nc_u32 v10, v6, v2 :: v_dual_add_nc_u32 v11, v7, v2
	v_or_b32_e32 v7, 0x280, v0
	v_or_b32_e32 v6, 0x300, v0
	s_delay_alu instid0(VALU_DEP_4) | instskip(SKIP_4) | instid1(VALU_DEP_3)
	v_add_nc_u32_e32 v12, v8, v2
	v_or_b32_e32 v8, 0x200, v0
	v_and_b32_e32 v3, 28, v1
	v_or_b32_e32 v1, 0x380, v0
	v_dual_lshrrev_b32 v5, 4, v7 :: v_dual_lshrrev_b32 v16, 4, v6
	v_dual_lshrrev_b32 v4, 4, v8 :: v_dual_add_nc_u32 v13, v3, v2
	s_delay_alu instid0(VALU_DEP_3) | instskip(SKIP_1) | instid1(VALU_DEP_2)
	v_lshrrev_b32_e32 v17, 4, v1
	s_mov_b32 s9, 0
	v_dual_mov_b32 v3, 0 :: v_dual_bitop2_b32 v4, 36, v4 bitop3:0x40
	v_and_b32_e32 v5, 44, v5
	s_lshl_b64 s[0:1], s[8:9], 1
	v_and_b32_e32 v18, 52, v16
	v_and_b32_e32 v19, 60, v17
	s_wait_kmcnt 0x0
	s_add_nc_u64 s[0:1], s[2:3], s[0:1]
	v_dual_add_nc_u32 v16, v4, v2 :: v_dual_add_nc_u32 v17, v5, v2
	v_add_nc_u64_e32 v[4:5], s[0:1], v[2:3]
	v_dual_add_nc_u32 v18, v18, v2 :: v_dual_add_nc_u32 v19, v19, v2
	s_and_b32 vcc_lo, exec_lo, s14
	s_wait_dscnt 0x0
	s_cbranch_vccz .LBB2216_63
; %bb.62:
	s_barrier_signal -1
	s_barrier_wait -1
	ds_load_u16 v3, v10
	ds_load_u16 v20, v11 offset:256
	ds_load_u16 v21, v12 offset:512
	;; [unrolled: 1-line block ×7, first 2 shown]
	s_mov_b32 s9, -1
	s_wait_dscnt 0x7
	global_store_b16 v[4:5], v3, off
	s_wait_dscnt 0x6
	global_store_b16 v[4:5], v20, off offset:256
	s_wait_dscnt 0x5
	global_store_b16 v[4:5], v21, off offset:512
	;; [unrolled: 2-line block ×6, first 2 shown]
	s_cbranch_execz .LBB2216_64
	s_branch .LBB2216_73
.LBB2216_63:
                                        ; implicit-def: $vgpr2
.LBB2216_64:
	s_barrier_signal -1
	s_barrier_wait -1
	s_wait_storecnt_dscnt 0x0
	s_wait_xcnt 0x4
	ds_load_u16 v21, v11 offset:256
	ds_load_u16 v20, v12 offset:512
	;; [unrolled: 1-line block ×7, first 2 shown]
	s_sub_co_i32 s0, s6, s8
	s_mov_b32 s1, exec_lo
	s_wait_xcnt 0x0
	v_cmpx_gt_u32_e64 s0, v0
	s_cbranch_execz .LBB2216_76
; %bb.65:
	ds_load_u16 v0, v10
	s_wait_dscnt 0x0
	global_store_b16 v[4:5], v0, off
	s_wait_xcnt 0x0
	s_or_b32 exec_lo, exec_lo, s1
	s_delay_alu instid0(SALU_CYCLE_1)
	s_mov_b32 s1, exec_lo
	v_cmpx_gt_u32_e64 s0, v15
	s_cbranch_execnz .LBB2216_77
.LBB2216_66:
	s_or_b32 exec_lo, exec_lo, s1
	s_delay_alu instid0(SALU_CYCLE_1)
	s_mov_b32 s1, exec_lo
	v_cmpx_gt_u32_e64 s0, v14
	s_cbranch_execz .LBB2216_78
.LBB2216_67:
	s_wait_dscnt 0x5
	global_store_b16 v[4:5], v20, off offset:512
	s_wait_xcnt 0x0
	s_or_b32 exec_lo, exec_lo, s1
	s_delay_alu instid0(SALU_CYCLE_1)
	s_mov_b32 s1, exec_lo
	v_cmpx_gt_u32_e64 s0, v9
	s_cbranch_execnz .LBB2216_79
.LBB2216_68:
	s_or_b32 exec_lo, exec_lo, s1
	s_delay_alu instid0(SALU_CYCLE_1)
	s_mov_b32 s1, exec_lo
	v_cmpx_gt_u32_e64 s0, v8
	s_cbranch_execz .LBB2216_80
.LBB2216_69:
	s_wait_dscnt 0x3
	global_store_b16 v[4:5], v12, off offset:1024
	s_wait_xcnt 0x0
	s_or_b32 exec_lo, exec_lo, s1
	s_delay_alu instid0(SALU_CYCLE_1)
	s_mov_b32 s1, exec_lo
	v_cmpx_gt_u32_e64 s0, v7
	s_cbranch_execnz .LBB2216_81
.LBB2216_70:
	s_or_b32 exec_lo, exec_lo, s1
	s_delay_alu instid0(SALU_CYCLE_1)
	s_mov_b32 s1, exec_lo
	v_cmpx_gt_u32_e64 s0, v6
	s_cbranch_execz .LBB2216_72
.LBB2216_71:
	s_wait_dscnt 0x1
	global_store_b16 v[4:5], v3, off offset:1536
.LBB2216_72:
	s_wait_xcnt 0x0
	s_or_b32 exec_lo, exec_lo, s1
	v_cmp_gt_u32_e64 s9, s0, v1
.LBB2216_73:
	s_wait_xcnt 0x0
	s_delay_alu instid0(VALU_DEP_1)
	s_and_saveexec_b32 s0, s9
	s_cbranch_execz .LBB2216_75
; %bb.74:
	s_wait_dscnt 0x0
	global_store_b16 v[4:5], v2, off offset:1792
.LBB2216_75:
	s_endpgm
.LBB2216_76:
	s_or_b32 exec_lo, exec_lo, s1
	s_delay_alu instid0(SALU_CYCLE_1)
	s_mov_b32 s1, exec_lo
	v_cmpx_gt_u32_e64 s0, v15
	s_cbranch_execz .LBB2216_66
.LBB2216_77:
	s_wait_dscnt 0x6
	global_store_b16 v[4:5], v21, off offset:256
	s_wait_xcnt 0x0
	s_or_b32 exec_lo, exec_lo, s1
	s_delay_alu instid0(SALU_CYCLE_1)
	s_mov_b32 s1, exec_lo
	v_cmpx_gt_u32_e64 s0, v14
	s_cbranch_execnz .LBB2216_67
.LBB2216_78:
	s_or_b32 exec_lo, exec_lo, s1
	s_delay_alu instid0(SALU_CYCLE_1)
	s_mov_b32 s1, exec_lo
	v_cmpx_gt_u32_e64 s0, v9
	s_cbranch_execz .LBB2216_68
.LBB2216_79:
	s_wait_dscnt 0x4
	global_store_b16 v[4:5], v13, off offset:768
	s_wait_xcnt 0x0
	s_or_b32 exec_lo, exec_lo, s1
	s_delay_alu instid0(SALU_CYCLE_1)
	s_mov_b32 s1, exec_lo
	v_cmpx_gt_u32_e64 s0, v8
	s_cbranch_execnz .LBB2216_69
.LBB2216_80:
	s_or_b32 exec_lo, exec_lo, s1
	s_delay_alu instid0(SALU_CYCLE_1)
	s_mov_b32 s1, exec_lo
	v_cmpx_gt_u32_e64 s0, v7
	s_cbranch_execz .LBB2216_70
.LBB2216_81:
	s_wait_dscnt 0x2
	global_store_b16 v[4:5], v11, off offset:1280
	s_wait_xcnt 0x0
	s_or_b32 exec_lo, exec_lo, s1
	s_delay_alu instid0(SALU_CYCLE_1)
	s_mov_b32 s1, exec_lo
	v_cmpx_gt_u32_e64 s0, v6
	s_cbranch_execnz .LBB2216_71
	s_branch .LBB2216_72
	.section	.rodata,"a",@progbits
	.p2align	6, 0x0
	.amdhsa_kernel _ZN7rocprim17ROCPRIM_400000_NS6detail17trampoline_kernelINS0_14default_configENS1_38merge_sort_block_merge_config_selectorI6__halfNS0_10empty_typeEEEZZNS1_27merge_sort_block_merge_implIS3_PS5_PS6_jNS1_19radix_merge_compareILb0ELb0ES5_NS0_19identity_decomposerEEEEE10hipError_tT0_T1_T2_jT3_P12ihipStream_tbPNSt15iterator_traitsISF_E10value_typeEPNSL_ISG_E10value_typeEPSH_NS1_7vsmem_tEENKUlT_SF_SG_SH_E_clIS9_S9_SA_SA_EESE_SU_SF_SG_SH_EUlSU_E0_NS1_11comp_targetILNS1_3genE0ELNS1_11target_archE4294967295ELNS1_3gpuE0ELNS1_3repE0EEENS1_38merge_mergepath_config_static_selectorELNS0_4arch9wavefront6targetE0EEEvSG_
		.amdhsa_group_segment_fixed_size 2112
		.amdhsa_private_segment_fixed_size 0
		.amdhsa_kernarg_size 320
		.amdhsa_user_sgpr_count 2
		.amdhsa_user_sgpr_dispatch_ptr 0
		.amdhsa_user_sgpr_queue_ptr 0
		.amdhsa_user_sgpr_kernarg_segment_ptr 1
		.amdhsa_user_sgpr_dispatch_id 0
		.amdhsa_user_sgpr_kernarg_preload_length 0
		.amdhsa_user_sgpr_kernarg_preload_offset 0
		.amdhsa_user_sgpr_private_segment_size 0
		.amdhsa_wavefront_size32 1
		.amdhsa_uses_dynamic_stack 0
		.amdhsa_enable_private_segment 0
		.amdhsa_system_sgpr_workgroup_id_x 1
		.amdhsa_system_sgpr_workgroup_id_y 1
		.amdhsa_system_sgpr_workgroup_id_z 1
		.amdhsa_system_sgpr_workgroup_info 0
		.amdhsa_system_vgpr_workitem_id 0
		.amdhsa_next_free_vgpr 28
		.amdhsa_next_free_sgpr 22
		.amdhsa_named_barrier_count 0
		.amdhsa_reserve_vcc 1
		.amdhsa_float_round_mode_32 0
		.amdhsa_float_round_mode_16_64 0
		.amdhsa_float_denorm_mode_32 3
		.amdhsa_float_denorm_mode_16_64 3
		.amdhsa_fp16_overflow 0
		.amdhsa_memory_ordered 1
		.amdhsa_forward_progress 1
		.amdhsa_inst_pref_size 38
		.amdhsa_round_robin_scheduling 0
		.amdhsa_exception_fp_ieee_invalid_op 0
		.amdhsa_exception_fp_denorm_src 0
		.amdhsa_exception_fp_ieee_div_zero 0
		.amdhsa_exception_fp_ieee_overflow 0
		.amdhsa_exception_fp_ieee_underflow 0
		.amdhsa_exception_fp_ieee_inexact 0
		.amdhsa_exception_int_div_zero 0
	.end_amdhsa_kernel
	.section	.text._ZN7rocprim17ROCPRIM_400000_NS6detail17trampoline_kernelINS0_14default_configENS1_38merge_sort_block_merge_config_selectorI6__halfNS0_10empty_typeEEEZZNS1_27merge_sort_block_merge_implIS3_PS5_PS6_jNS1_19radix_merge_compareILb0ELb0ES5_NS0_19identity_decomposerEEEEE10hipError_tT0_T1_T2_jT3_P12ihipStream_tbPNSt15iterator_traitsISF_E10value_typeEPNSL_ISG_E10value_typeEPSH_NS1_7vsmem_tEENKUlT_SF_SG_SH_E_clIS9_S9_SA_SA_EESE_SU_SF_SG_SH_EUlSU_E0_NS1_11comp_targetILNS1_3genE0ELNS1_11target_archE4294967295ELNS1_3gpuE0ELNS1_3repE0EEENS1_38merge_mergepath_config_static_selectorELNS0_4arch9wavefront6targetE0EEEvSG_,"axG",@progbits,_ZN7rocprim17ROCPRIM_400000_NS6detail17trampoline_kernelINS0_14default_configENS1_38merge_sort_block_merge_config_selectorI6__halfNS0_10empty_typeEEEZZNS1_27merge_sort_block_merge_implIS3_PS5_PS6_jNS1_19radix_merge_compareILb0ELb0ES5_NS0_19identity_decomposerEEEEE10hipError_tT0_T1_T2_jT3_P12ihipStream_tbPNSt15iterator_traitsISF_E10value_typeEPNSL_ISG_E10value_typeEPSH_NS1_7vsmem_tEENKUlT_SF_SG_SH_E_clIS9_S9_SA_SA_EESE_SU_SF_SG_SH_EUlSU_E0_NS1_11comp_targetILNS1_3genE0ELNS1_11target_archE4294967295ELNS1_3gpuE0ELNS1_3repE0EEENS1_38merge_mergepath_config_static_selectorELNS0_4arch9wavefront6targetE0EEEvSG_,comdat
.Lfunc_end2216:
	.size	_ZN7rocprim17ROCPRIM_400000_NS6detail17trampoline_kernelINS0_14default_configENS1_38merge_sort_block_merge_config_selectorI6__halfNS0_10empty_typeEEEZZNS1_27merge_sort_block_merge_implIS3_PS5_PS6_jNS1_19radix_merge_compareILb0ELb0ES5_NS0_19identity_decomposerEEEEE10hipError_tT0_T1_T2_jT3_P12ihipStream_tbPNSt15iterator_traitsISF_E10value_typeEPNSL_ISG_E10value_typeEPSH_NS1_7vsmem_tEENKUlT_SF_SG_SH_E_clIS9_S9_SA_SA_EESE_SU_SF_SG_SH_EUlSU_E0_NS1_11comp_targetILNS1_3genE0ELNS1_11target_archE4294967295ELNS1_3gpuE0ELNS1_3repE0EEENS1_38merge_mergepath_config_static_selectorELNS0_4arch9wavefront6targetE0EEEvSG_, .Lfunc_end2216-_ZN7rocprim17ROCPRIM_400000_NS6detail17trampoline_kernelINS0_14default_configENS1_38merge_sort_block_merge_config_selectorI6__halfNS0_10empty_typeEEEZZNS1_27merge_sort_block_merge_implIS3_PS5_PS6_jNS1_19radix_merge_compareILb0ELb0ES5_NS0_19identity_decomposerEEEEE10hipError_tT0_T1_T2_jT3_P12ihipStream_tbPNSt15iterator_traitsISF_E10value_typeEPNSL_ISG_E10value_typeEPSH_NS1_7vsmem_tEENKUlT_SF_SG_SH_E_clIS9_S9_SA_SA_EESE_SU_SF_SG_SH_EUlSU_E0_NS1_11comp_targetILNS1_3genE0ELNS1_11target_archE4294967295ELNS1_3gpuE0ELNS1_3repE0EEENS1_38merge_mergepath_config_static_selectorELNS0_4arch9wavefront6targetE0EEEvSG_
                                        ; -- End function
	.set _ZN7rocprim17ROCPRIM_400000_NS6detail17trampoline_kernelINS0_14default_configENS1_38merge_sort_block_merge_config_selectorI6__halfNS0_10empty_typeEEEZZNS1_27merge_sort_block_merge_implIS3_PS5_PS6_jNS1_19radix_merge_compareILb0ELb0ES5_NS0_19identity_decomposerEEEEE10hipError_tT0_T1_T2_jT3_P12ihipStream_tbPNSt15iterator_traitsISF_E10value_typeEPNSL_ISG_E10value_typeEPSH_NS1_7vsmem_tEENKUlT_SF_SG_SH_E_clIS9_S9_SA_SA_EESE_SU_SF_SG_SH_EUlSU_E0_NS1_11comp_targetILNS1_3genE0ELNS1_11target_archE4294967295ELNS1_3gpuE0ELNS1_3repE0EEENS1_38merge_mergepath_config_static_selectorELNS0_4arch9wavefront6targetE0EEEvSG_.num_vgpr, 28
	.set _ZN7rocprim17ROCPRIM_400000_NS6detail17trampoline_kernelINS0_14default_configENS1_38merge_sort_block_merge_config_selectorI6__halfNS0_10empty_typeEEEZZNS1_27merge_sort_block_merge_implIS3_PS5_PS6_jNS1_19radix_merge_compareILb0ELb0ES5_NS0_19identity_decomposerEEEEE10hipError_tT0_T1_T2_jT3_P12ihipStream_tbPNSt15iterator_traitsISF_E10value_typeEPNSL_ISG_E10value_typeEPSH_NS1_7vsmem_tEENKUlT_SF_SG_SH_E_clIS9_S9_SA_SA_EESE_SU_SF_SG_SH_EUlSU_E0_NS1_11comp_targetILNS1_3genE0ELNS1_11target_archE4294967295ELNS1_3gpuE0ELNS1_3repE0EEENS1_38merge_mergepath_config_static_selectorELNS0_4arch9wavefront6targetE0EEEvSG_.num_agpr, 0
	.set _ZN7rocprim17ROCPRIM_400000_NS6detail17trampoline_kernelINS0_14default_configENS1_38merge_sort_block_merge_config_selectorI6__halfNS0_10empty_typeEEEZZNS1_27merge_sort_block_merge_implIS3_PS5_PS6_jNS1_19radix_merge_compareILb0ELb0ES5_NS0_19identity_decomposerEEEEE10hipError_tT0_T1_T2_jT3_P12ihipStream_tbPNSt15iterator_traitsISF_E10value_typeEPNSL_ISG_E10value_typeEPSH_NS1_7vsmem_tEENKUlT_SF_SG_SH_E_clIS9_S9_SA_SA_EESE_SU_SF_SG_SH_EUlSU_E0_NS1_11comp_targetILNS1_3genE0ELNS1_11target_archE4294967295ELNS1_3gpuE0ELNS1_3repE0EEENS1_38merge_mergepath_config_static_selectorELNS0_4arch9wavefront6targetE0EEEvSG_.numbered_sgpr, 22
	.set _ZN7rocprim17ROCPRIM_400000_NS6detail17trampoline_kernelINS0_14default_configENS1_38merge_sort_block_merge_config_selectorI6__halfNS0_10empty_typeEEEZZNS1_27merge_sort_block_merge_implIS3_PS5_PS6_jNS1_19radix_merge_compareILb0ELb0ES5_NS0_19identity_decomposerEEEEE10hipError_tT0_T1_T2_jT3_P12ihipStream_tbPNSt15iterator_traitsISF_E10value_typeEPNSL_ISG_E10value_typeEPSH_NS1_7vsmem_tEENKUlT_SF_SG_SH_E_clIS9_S9_SA_SA_EESE_SU_SF_SG_SH_EUlSU_E0_NS1_11comp_targetILNS1_3genE0ELNS1_11target_archE4294967295ELNS1_3gpuE0ELNS1_3repE0EEENS1_38merge_mergepath_config_static_selectorELNS0_4arch9wavefront6targetE0EEEvSG_.num_named_barrier, 0
	.set _ZN7rocprim17ROCPRIM_400000_NS6detail17trampoline_kernelINS0_14default_configENS1_38merge_sort_block_merge_config_selectorI6__halfNS0_10empty_typeEEEZZNS1_27merge_sort_block_merge_implIS3_PS5_PS6_jNS1_19radix_merge_compareILb0ELb0ES5_NS0_19identity_decomposerEEEEE10hipError_tT0_T1_T2_jT3_P12ihipStream_tbPNSt15iterator_traitsISF_E10value_typeEPNSL_ISG_E10value_typeEPSH_NS1_7vsmem_tEENKUlT_SF_SG_SH_E_clIS9_S9_SA_SA_EESE_SU_SF_SG_SH_EUlSU_E0_NS1_11comp_targetILNS1_3genE0ELNS1_11target_archE4294967295ELNS1_3gpuE0ELNS1_3repE0EEENS1_38merge_mergepath_config_static_selectorELNS0_4arch9wavefront6targetE0EEEvSG_.private_seg_size, 0
	.set _ZN7rocprim17ROCPRIM_400000_NS6detail17trampoline_kernelINS0_14default_configENS1_38merge_sort_block_merge_config_selectorI6__halfNS0_10empty_typeEEEZZNS1_27merge_sort_block_merge_implIS3_PS5_PS6_jNS1_19radix_merge_compareILb0ELb0ES5_NS0_19identity_decomposerEEEEE10hipError_tT0_T1_T2_jT3_P12ihipStream_tbPNSt15iterator_traitsISF_E10value_typeEPNSL_ISG_E10value_typeEPSH_NS1_7vsmem_tEENKUlT_SF_SG_SH_E_clIS9_S9_SA_SA_EESE_SU_SF_SG_SH_EUlSU_E0_NS1_11comp_targetILNS1_3genE0ELNS1_11target_archE4294967295ELNS1_3gpuE0ELNS1_3repE0EEENS1_38merge_mergepath_config_static_selectorELNS0_4arch9wavefront6targetE0EEEvSG_.uses_vcc, 1
	.set _ZN7rocprim17ROCPRIM_400000_NS6detail17trampoline_kernelINS0_14default_configENS1_38merge_sort_block_merge_config_selectorI6__halfNS0_10empty_typeEEEZZNS1_27merge_sort_block_merge_implIS3_PS5_PS6_jNS1_19radix_merge_compareILb0ELb0ES5_NS0_19identity_decomposerEEEEE10hipError_tT0_T1_T2_jT3_P12ihipStream_tbPNSt15iterator_traitsISF_E10value_typeEPNSL_ISG_E10value_typeEPSH_NS1_7vsmem_tEENKUlT_SF_SG_SH_E_clIS9_S9_SA_SA_EESE_SU_SF_SG_SH_EUlSU_E0_NS1_11comp_targetILNS1_3genE0ELNS1_11target_archE4294967295ELNS1_3gpuE0ELNS1_3repE0EEENS1_38merge_mergepath_config_static_selectorELNS0_4arch9wavefront6targetE0EEEvSG_.uses_flat_scratch, 0
	.set _ZN7rocprim17ROCPRIM_400000_NS6detail17trampoline_kernelINS0_14default_configENS1_38merge_sort_block_merge_config_selectorI6__halfNS0_10empty_typeEEEZZNS1_27merge_sort_block_merge_implIS3_PS5_PS6_jNS1_19radix_merge_compareILb0ELb0ES5_NS0_19identity_decomposerEEEEE10hipError_tT0_T1_T2_jT3_P12ihipStream_tbPNSt15iterator_traitsISF_E10value_typeEPNSL_ISG_E10value_typeEPSH_NS1_7vsmem_tEENKUlT_SF_SG_SH_E_clIS9_S9_SA_SA_EESE_SU_SF_SG_SH_EUlSU_E0_NS1_11comp_targetILNS1_3genE0ELNS1_11target_archE4294967295ELNS1_3gpuE0ELNS1_3repE0EEENS1_38merge_mergepath_config_static_selectorELNS0_4arch9wavefront6targetE0EEEvSG_.has_dyn_sized_stack, 0
	.set _ZN7rocprim17ROCPRIM_400000_NS6detail17trampoline_kernelINS0_14default_configENS1_38merge_sort_block_merge_config_selectorI6__halfNS0_10empty_typeEEEZZNS1_27merge_sort_block_merge_implIS3_PS5_PS6_jNS1_19radix_merge_compareILb0ELb0ES5_NS0_19identity_decomposerEEEEE10hipError_tT0_T1_T2_jT3_P12ihipStream_tbPNSt15iterator_traitsISF_E10value_typeEPNSL_ISG_E10value_typeEPSH_NS1_7vsmem_tEENKUlT_SF_SG_SH_E_clIS9_S9_SA_SA_EESE_SU_SF_SG_SH_EUlSU_E0_NS1_11comp_targetILNS1_3genE0ELNS1_11target_archE4294967295ELNS1_3gpuE0ELNS1_3repE0EEENS1_38merge_mergepath_config_static_selectorELNS0_4arch9wavefront6targetE0EEEvSG_.has_recursion, 0
	.set _ZN7rocprim17ROCPRIM_400000_NS6detail17trampoline_kernelINS0_14default_configENS1_38merge_sort_block_merge_config_selectorI6__halfNS0_10empty_typeEEEZZNS1_27merge_sort_block_merge_implIS3_PS5_PS6_jNS1_19radix_merge_compareILb0ELb0ES5_NS0_19identity_decomposerEEEEE10hipError_tT0_T1_T2_jT3_P12ihipStream_tbPNSt15iterator_traitsISF_E10value_typeEPNSL_ISG_E10value_typeEPSH_NS1_7vsmem_tEENKUlT_SF_SG_SH_E_clIS9_S9_SA_SA_EESE_SU_SF_SG_SH_EUlSU_E0_NS1_11comp_targetILNS1_3genE0ELNS1_11target_archE4294967295ELNS1_3gpuE0ELNS1_3repE0EEENS1_38merge_mergepath_config_static_selectorELNS0_4arch9wavefront6targetE0EEEvSG_.has_indirect_call, 0
	.section	.AMDGPU.csdata,"",@progbits
; Kernel info:
; codeLenInByte = 4852
; TotalNumSgprs: 24
; NumVgprs: 28
; ScratchSize: 0
; MemoryBound: 0
; FloatMode: 240
; IeeeMode: 1
; LDSByteSize: 2112 bytes/workgroup (compile time only)
; SGPRBlocks: 0
; VGPRBlocks: 1
; NumSGPRsForWavesPerEU: 24
; NumVGPRsForWavesPerEU: 28
; NamedBarCnt: 0
; Occupancy: 16
; WaveLimiterHint : 1
; COMPUTE_PGM_RSRC2:SCRATCH_EN: 0
; COMPUTE_PGM_RSRC2:USER_SGPR: 2
; COMPUTE_PGM_RSRC2:TRAP_HANDLER: 0
; COMPUTE_PGM_RSRC2:TGID_X_EN: 1
; COMPUTE_PGM_RSRC2:TGID_Y_EN: 1
; COMPUTE_PGM_RSRC2:TGID_Z_EN: 1
; COMPUTE_PGM_RSRC2:TIDIG_COMP_CNT: 0
	.section	.text._ZN7rocprim17ROCPRIM_400000_NS6detail17trampoline_kernelINS0_14default_configENS1_38merge_sort_block_merge_config_selectorI6__halfNS0_10empty_typeEEEZZNS1_27merge_sort_block_merge_implIS3_PS5_PS6_jNS1_19radix_merge_compareILb0ELb0ES5_NS0_19identity_decomposerEEEEE10hipError_tT0_T1_T2_jT3_P12ihipStream_tbPNSt15iterator_traitsISF_E10value_typeEPNSL_ISG_E10value_typeEPSH_NS1_7vsmem_tEENKUlT_SF_SG_SH_E_clIS9_S9_SA_SA_EESE_SU_SF_SG_SH_EUlSU_E0_NS1_11comp_targetILNS1_3genE10ELNS1_11target_archE1201ELNS1_3gpuE5ELNS1_3repE0EEENS1_38merge_mergepath_config_static_selectorELNS0_4arch9wavefront6targetE0EEEvSG_,"axG",@progbits,_ZN7rocprim17ROCPRIM_400000_NS6detail17trampoline_kernelINS0_14default_configENS1_38merge_sort_block_merge_config_selectorI6__halfNS0_10empty_typeEEEZZNS1_27merge_sort_block_merge_implIS3_PS5_PS6_jNS1_19radix_merge_compareILb0ELb0ES5_NS0_19identity_decomposerEEEEE10hipError_tT0_T1_T2_jT3_P12ihipStream_tbPNSt15iterator_traitsISF_E10value_typeEPNSL_ISG_E10value_typeEPSH_NS1_7vsmem_tEENKUlT_SF_SG_SH_E_clIS9_S9_SA_SA_EESE_SU_SF_SG_SH_EUlSU_E0_NS1_11comp_targetILNS1_3genE10ELNS1_11target_archE1201ELNS1_3gpuE5ELNS1_3repE0EEENS1_38merge_mergepath_config_static_selectorELNS0_4arch9wavefront6targetE0EEEvSG_,comdat
	.protected	_ZN7rocprim17ROCPRIM_400000_NS6detail17trampoline_kernelINS0_14default_configENS1_38merge_sort_block_merge_config_selectorI6__halfNS0_10empty_typeEEEZZNS1_27merge_sort_block_merge_implIS3_PS5_PS6_jNS1_19radix_merge_compareILb0ELb0ES5_NS0_19identity_decomposerEEEEE10hipError_tT0_T1_T2_jT3_P12ihipStream_tbPNSt15iterator_traitsISF_E10value_typeEPNSL_ISG_E10value_typeEPSH_NS1_7vsmem_tEENKUlT_SF_SG_SH_E_clIS9_S9_SA_SA_EESE_SU_SF_SG_SH_EUlSU_E0_NS1_11comp_targetILNS1_3genE10ELNS1_11target_archE1201ELNS1_3gpuE5ELNS1_3repE0EEENS1_38merge_mergepath_config_static_selectorELNS0_4arch9wavefront6targetE0EEEvSG_ ; -- Begin function _ZN7rocprim17ROCPRIM_400000_NS6detail17trampoline_kernelINS0_14default_configENS1_38merge_sort_block_merge_config_selectorI6__halfNS0_10empty_typeEEEZZNS1_27merge_sort_block_merge_implIS3_PS5_PS6_jNS1_19radix_merge_compareILb0ELb0ES5_NS0_19identity_decomposerEEEEE10hipError_tT0_T1_T2_jT3_P12ihipStream_tbPNSt15iterator_traitsISF_E10value_typeEPNSL_ISG_E10value_typeEPSH_NS1_7vsmem_tEENKUlT_SF_SG_SH_E_clIS9_S9_SA_SA_EESE_SU_SF_SG_SH_EUlSU_E0_NS1_11comp_targetILNS1_3genE10ELNS1_11target_archE1201ELNS1_3gpuE5ELNS1_3repE0EEENS1_38merge_mergepath_config_static_selectorELNS0_4arch9wavefront6targetE0EEEvSG_
	.globl	_ZN7rocprim17ROCPRIM_400000_NS6detail17trampoline_kernelINS0_14default_configENS1_38merge_sort_block_merge_config_selectorI6__halfNS0_10empty_typeEEEZZNS1_27merge_sort_block_merge_implIS3_PS5_PS6_jNS1_19radix_merge_compareILb0ELb0ES5_NS0_19identity_decomposerEEEEE10hipError_tT0_T1_T2_jT3_P12ihipStream_tbPNSt15iterator_traitsISF_E10value_typeEPNSL_ISG_E10value_typeEPSH_NS1_7vsmem_tEENKUlT_SF_SG_SH_E_clIS9_S9_SA_SA_EESE_SU_SF_SG_SH_EUlSU_E0_NS1_11comp_targetILNS1_3genE10ELNS1_11target_archE1201ELNS1_3gpuE5ELNS1_3repE0EEENS1_38merge_mergepath_config_static_selectorELNS0_4arch9wavefront6targetE0EEEvSG_
	.p2align	8
	.type	_ZN7rocprim17ROCPRIM_400000_NS6detail17trampoline_kernelINS0_14default_configENS1_38merge_sort_block_merge_config_selectorI6__halfNS0_10empty_typeEEEZZNS1_27merge_sort_block_merge_implIS3_PS5_PS6_jNS1_19radix_merge_compareILb0ELb0ES5_NS0_19identity_decomposerEEEEE10hipError_tT0_T1_T2_jT3_P12ihipStream_tbPNSt15iterator_traitsISF_E10value_typeEPNSL_ISG_E10value_typeEPSH_NS1_7vsmem_tEENKUlT_SF_SG_SH_E_clIS9_S9_SA_SA_EESE_SU_SF_SG_SH_EUlSU_E0_NS1_11comp_targetILNS1_3genE10ELNS1_11target_archE1201ELNS1_3gpuE5ELNS1_3repE0EEENS1_38merge_mergepath_config_static_selectorELNS0_4arch9wavefront6targetE0EEEvSG_,@function
_ZN7rocprim17ROCPRIM_400000_NS6detail17trampoline_kernelINS0_14default_configENS1_38merge_sort_block_merge_config_selectorI6__halfNS0_10empty_typeEEEZZNS1_27merge_sort_block_merge_implIS3_PS5_PS6_jNS1_19radix_merge_compareILb0ELb0ES5_NS0_19identity_decomposerEEEEE10hipError_tT0_T1_T2_jT3_P12ihipStream_tbPNSt15iterator_traitsISF_E10value_typeEPNSL_ISG_E10value_typeEPSH_NS1_7vsmem_tEENKUlT_SF_SG_SH_E_clIS9_S9_SA_SA_EESE_SU_SF_SG_SH_EUlSU_E0_NS1_11comp_targetILNS1_3genE10ELNS1_11target_archE1201ELNS1_3gpuE5ELNS1_3repE0EEENS1_38merge_mergepath_config_static_selectorELNS0_4arch9wavefront6targetE0EEEvSG_: ; @_ZN7rocprim17ROCPRIM_400000_NS6detail17trampoline_kernelINS0_14default_configENS1_38merge_sort_block_merge_config_selectorI6__halfNS0_10empty_typeEEEZZNS1_27merge_sort_block_merge_implIS3_PS5_PS6_jNS1_19radix_merge_compareILb0ELb0ES5_NS0_19identity_decomposerEEEEE10hipError_tT0_T1_T2_jT3_P12ihipStream_tbPNSt15iterator_traitsISF_E10value_typeEPNSL_ISG_E10value_typeEPSH_NS1_7vsmem_tEENKUlT_SF_SG_SH_E_clIS9_S9_SA_SA_EESE_SU_SF_SG_SH_EUlSU_E0_NS1_11comp_targetILNS1_3genE10ELNS1_11target_archE1201ELNS1_3gpuE5ELNS1_3repE0EEENS1_38merge_mergepath_config_static_selectorELNS0_4arch9wavefront6targetE0EEEvSG_
; %bb.0:
	.section	.rodata,"a",@progbits
	.p2align	6, 0x0
	.amdhsa_kernel _ZN7rocprim17ROCPRIM_400000_NS6detail17trampoline_kernelINS0_14default_configENS1_38merge_sort_block_merge_config_selectorI6__halfNS0_10empty_typeEEEZZNS1_27merge_sort_block_merge_implIS3_PS5_PS6_jNS1_19radix_merge_compareILb0ELb0ES5_NS0_19identity_decomposerEEEEE10hipError_tT0_T1_T2_jT3_P12ihipStream_tbPNSt15iterator_traitsISF_E10value_typeEPNSL_ISG_E10value_typeEPSH_NS1_7vsmem_tEENKUlT_SF_SG_SH_E_clIS9_S9_SA_SA_EESE_SU_SF_SG_SH_EUlSU_E0_NS1_11comp_targetILNS1_3genE10ELNS1_11target_archE1201ELNS1_3gpuE5ELNS1_3repE0EEENS1_38merge_mergepath_config_static_selectorELNS0_4arch9wavefront6targetE0EEEvSG_
		.amdhsa_group_segment_fixed_size 0
		.amdhsa_private_segment_fixed_size 0
		.amdhsa_kernarg_size 64
		.amdhsa_user_sgpr_count 2
		.amdhsa_user_sgpr_dispatch_ptr 0
		.amdhsa_user_sgpr_queue_ptr 0
		.amdhsa_user_sgpr_kernarg_segment_ptr 1
		.amdhsa_user_sgpr_dispatch_id 0
		.amdhsa_user_sgpr_kernarg_preload_length 0
		.amdhsa_user_sgpr_kernarg_preload_offset 0
		.amdhsa_user_sgpr_private_segment_size 0
		.amdhsa_wavefront_size32 1
		.amdhsa_uses_dynamic_stack 0
		.amdhsa_enable_private_segment 0
		.amdhsa_system_sgpr_workgroup_id_x 1
		.amdhsa_system_sgpr_workgroup_id_y 0
		.amdhsa_system_sgpr_workgroup_id_z 0
		.amdhsa_system_sgpr_workgroup_info 0
		.amdhsa_system_vgpr_workitem_id 0
		.amdhsa_next_free_vgpr 1
		.amdhsa_next_free_sgpr 1
		.amdhsa_named_barrier_count 0
		.amdhsa_reserve_vcc 0
		.amdhsa_float_round_mode_32 0
		.amdhsa_float_round_mode_16_64 0
		.amdhsa_float_denorm_mode_32 3
		.amdhsa_float_denorm_mode_16_64 3
		.amdhsa_fp16_overflow 0
		.amdhsa_memory_ordered 1
		.amdhsa_forward_progress 1
		.amdhsa_inst_pref_size 0
		.amdhsa_round_robin_scheduling 0
		.amdhsa_exception_fp_ieee_invalid_op 0
		.amdhsa_exception_fp_denorm_src 0
		.amdhsa_exception_fp_ieee_div_zero 0
		.amdhsa_exception_fp_ieee_overflow 0
		.amdhsa_exception_fp_ieee_underflow 0
		.amdhsa_exception_fp_ieee_inexact 0
		.amdhsa_exception_int_div_zero 0
	.end_amdhsa_kernel
	.section	.text._ZN7rocprim17ROCPRIM_400000_NS6detail17trampoline_kernelINS0_14default_configENS1_38merge_sort_block_merge_config_selectorI6__halfNS0_10empty_typeEEEZZNS1_27merge_sort_block_merge_implIS3_PS5_PS6_jNS1_19radix_merge_compareILb0ELb0ES5_NS0_19identity_decomposerEEEEE10hipError_tT0_T1_T2_jT3_P12ihipStream_tbPNSt15iterator_traitsISF_E10value_typeEPNSL_ISG_E10value_typeEPSH_NS1_7vsmem_tEENKUlT_SF_SG_SH_E_clIS9_S9_SA_SA_EESE_SU_SF_SG_SH_EUlSU_E0_NS1_11comp_targetILNS1_3genE10ELNS1_11target_archE1201ELNS1_3gpuE5ELNS1_3repE0EEENS1_38merge_mergepath_config_static_selectorELNS0_4arch9wavefront6targetE0EEEvSG_,"axG",@progbits,_ZN7rocprim17ROCPRIM_400000_NS6detail17trampoline_kernelINS0_14default_configENS1_38merge_sort_block_merge_config_selectorI6__halfNS0_10empty_typeEEEZZNS1_27merge_sort_block_merge_implIS3_PS5_PS6_jNS1_19radix_merge_compareILb0ELb0ES5_NS0_19identity_decomposerEEEEE10hipError_tT0_T1_T2_jT3_P12ihipStream_tbPNSt15iterator_traitsISF_E10value_typeEPNSL_ISG_E10value_typeEPSH_NS1_7vsmem_tEENKUlT_SF_SG_SH_E_clIS9_S9_SA_SA_EESE_SU_SF_SG_SH_EUlSU_E0_NS1_11comp_targetILNS1_3genE10ELNS1_11target_archE1201ELNS1_3gpuE5ELNS1_3repE0EEENS1_38merge_mergepath_config_static_selectorELNS0_4arch9wavefront6targetE0EEEvSG_,comdat
.Lfunc_end2217:
	.size	_ZN7rocprim17ROCPRIM_400000_NS6detail17trampoline_kernelINS0_14default_configENS1_38merge_sort_block_merge_config_selectorI6__halfNS0_10empty_typeEEEZZNS1_27merge_sort_block_merge_implIS3_PS5_PS6_jNS1_19radix_merge_compareILb0ELb0ES5_NS0_19identity_decomposerEEEEE10hipError_tT0_T1_T2_jT3_P12ihipStream_tbPNSt15iterator_traitsISF_E10value_typeEPNSL_ISG_E10value_typeEPSH_NS1_7vsmem_tEENKUlT_SF_SG_SH_E_clIS9_S9_SA_SA_EESE_SU_SF_SG_SH_EUlSU_E0_NS1_11comp_targetILNS1_3genE10ELNS1_11target_archE1201ELNS1_3gpuE5ELNS1_3repE0EEENS1_38merge_mergepath_config_static_selectorELNS0_4arch9wavefront6targetE0EEEvSG_, .Lfunc_end2217-_ZN7rocprim17ROCPRIM_400000_NS6detail17trampoline_kernelINS0_14default_configENS1_38merge_sort_block_merge_config_selectorI6__halfNS0_10empty_typeEEEZZNS1_27merge_sort_block_merge_implIS3_PS5_PS6_jNS1_19radix_merge_compareILb0ELb0ES5_NS0_19identity_decomposerEEEEE10hipError_tT0_T1_T2_jT3_P12ihipStream_tbPNSt15iterator_traitsISF_E10value_typeEPNSL_ISG_E10value_typeEPSH_NS1_7vsmem_tEENKUlT_SF_SG_SH_E_clIS9_S9_SA_SA_EESE_SU_SF_SG_SH_EUlSU_E0_NS1_11comp_targetILNS1_3genE10ELNS1_11target_archE1201ELNS1_3gpuE5ELNS1_3repE0EEENS1_38merge_mergepath_config_static_selectorELNS0_4arch9wavefront6targetE0EEEvSG_
                                        ; -- End function
	.set _ZN7rocprim17ROCPRIM_400000_NS6detail17trampoline_kernelINS0_14default_configENS1_38merge_sort_block_merge_config_selectorI6__halfNS0_10empty_typeEEEZZNS1_27merge_sort_block_merge_implIS3_PS5_PS6_jNS1_19radix_merge_compareILb0ELb0ES5_NS0_19identity_decomposerEEEEE10hipError_tT0_T1_T2_jT3_P12ihipStream_tbPNSt15iterator_traitsISF_E10value_typeEPNSL_ISG_E10value_typeEPSH_NS1_7vsmem_tEENKUlT_SF_SG_SH_E_clIS9_S9_SA_SA_EESE_SU_SF_SG_SH_EUlSU_E0_NS1_11comp_targetILNS1_3genE10ELNS1_11target_archE1201ELNS1_3gpuE5ELNS1_3repE0EEENS1_38merge_mergepath_config_static_selectorELNS0_4arch9wavefront6targetE0EEEvSG_.num_vgpr, 0
	.set _ZN7rocprim17ROCPRIM_400000_NS6detail17trampoline_kernelINS0_14default_configENS1_38merge_sort_block_merge_config_selectorI6__halfNS0_10empty_typeEEEZZNS1_27merge_sort_block_merge_implIS3_PS5_PS6_jNS1_19radix_merge_compareILb0ELb0ES5_NS0_19identity_decomposerEEEEE10hipError_tT0_T1_T2_jT3_P12ihipStream_tbPNSt15iterator_traitsISF_E10value_typeEPNSL_ISG_E10value_typeEPSH_NS1_7vsmem_tEENKUlT_SF_SG_SH_E_clIS9_S9_SA_SA_EESE_SU_SF_SG_SH_EUlSU_E0_NS1_11comp_targetILNS1_3genE10ELNS1_11target_archE1201ELNS1_3gpuE5ELNS1_3repE0EEENS1_38merge_mergepath_config_static_selectorELNS0_4arch9wavefront6targetE0EEEvSG_.num_agpr, 0
	.set _ZN7rocprim17ROCPRIM_400000_NS6detail17trampoline_kernelINS0_14default_configENS1_38merge_sort_block_merge_config_selectorI6__halfNS0_10empty_typeEEEZZNS1_27merge_sort_block_merge_implIS3_PS5_PS6_jNS1_19radix_merge_compareILb0ELb0ES5_NS0_19identity_decomposerEEEEE10hipError_tT0_T1_T2_jT3_P12ihipStream_tbPNSt15iterator_traitsISF_E10value_typeEPNSL_ISG_E10value_typeEPSH_NS1_7vsmem_tEENKUlT_SF_SG_SH_E_clIS9_S9_SA_SA_EESE_SU_SF_SG_SH_EUlSU_E0_NS1_11comp_targetILNS1_3genE10ELNS1_11target_archE1201ELNS1_3gpuE5ELNS1_3repE0EEENS1_38merge_mergepath_config_static_selectorELNS0_4arch9wavefront6targetE0EEEvSG_.numbered_sgpr, 0
	.set _ZN7rocprim17ROCPRIM_400000_NS6detail17trampoline_kernelINS0_14default_configENS1_38merge_sort_block_merge_config_selectorI6__halfNS0_10empty_typeEEEZZNS1_27merge_sort_block_merge_implIS3_PS5_PS6_jNS1_19radix_merge_compareILb0ELb0ES5_NS0_19identity_decomposerEEEEE10hipError_tT0_T1_T2_jT3_P12ihipStream_tbPNSt15iterator_traitsISF_E10value_typeEPNSL_ISG_E10value_typeEPSH_NS1_7vsmem_tEENKUlT_SF_SG_SH_E_clIS9_S9_SA_SA_EESE_SU_SF_SG_SH_EUlSU_E0_NS1_11comp_targetILNS1_3genE10ELNS1_11target_archE1201ELNS1_3gpuE5ELNS1_3repE0EEENS1_38merge_mergepath_config_static_selectorELNS0_4arch9wavefront6targetE0EEEvSG_.num_named_barrier, 0
	.set _ZN7rocprim17ROCPRIM_400000_NS6detail17trampoline_kernelINS0_14default_configENS1_38merge_sort_block_merge_config_selectorI6__halfNS0_10empty_typeEEEZZNS1_27merge_sort_block_merge_implIS3_PS5_PS6_jNS1_19radix_merge_compareILb0ELb0ES5_NS0_19identity_decomposerEEEEE10hipError_tT0_T1_T2_jT3_P12ihipStream_tbPNSt15iterator_traitsISF_E10value_typeEPNSL_ISG_E10value_typeEPSH_NS1_7vsmem_tEENKUlT_SF_SG_SH_E_clIS9_S9_SA_SA_EESE_SU_SF_SG_SH_EUlSU_E0_NS1_11comp_targetILNS1_3genE10ELNS1_11target_archE1201ELNS1_3gpuE5ELNS1_3repE0EEENS1_38merge_mergepath_config_static_selectorELNS0_4arch9wavefront6targetE0EEEvSG_.private_seg_size, 0
	.set _ZN7rocprim17ROCPRIM_400000_NS6detail17trampoline_kernelINS0_14default_configENS1_38merge_sort_block_merge_config_selectorI6__halfNS0_10empty_typeEEEZZNS1_27merge_sort_block_merge_implIS3_PS5_PS6_jNS1_19radix_merge_compareILb0ELb0ES5_NS0_19identity_decomposerEEEEE10hipError_tT0_T1_T2_jT3_P12ihipStream_tbPNSt15iterator_traitsISF_E10value_typeEPNSL_ISG_E10value_typeEPSH_NS1_7vsmem_tEENKUlT_SF_SG_SH_E_clIS9_S9_SA_SA_EESE_SU_SF_SG_SH_EUlSU_E0_NS1_11comp_targetILNS1_3genE10ELNS1_11target_archE1201ELNS1_3gpuE5ELNS1_3repE0EEENS1_38merge_mergepath_config_static_selectorELNS0_4arch9wavefront6targetE0EEEvSG_.uses_vcc, 0
	.set _ZN7rocprim17ROCPRIM_400000_NS6detail17trampoline_kernelINS0_14default_configENS1_38merge_sort_block_merge_config_selectorI6__halfNS0_10empty_typeEEEZZNS1_27merge_sort_block_merge_implIS3_PS5_PS6_jNS1_19radix_merge_compareILb0ELb0ES5_NS0_19identity_decomposerEEEEE10hipError_tT0_T1_T2_jT3_P12ihipStream_tbPNSt15iterator_traitsISF_E10value_typeEPNSL_ISG_E10value_typeEPSH_NS1_7vsmem_tEENKUlT_SF_SG_SH_E_clIS9_S9_SA_SA_EESE_SU_SF_SG_SH_EUlSU_E0_NS1_11comp_targetILNS1_3genE10ELNS1_11target_archE1201ELNS1_3gpuE5ELNS1_3repE0EEENS1_38merge_mergepath_config_static_selectorELNS0_4arch9wavefront6targetE0EEEvSG_.uses_flat_scratch, 0
	.set _ZN7rocprim17ROCPRIM_400000_NS6detail17trampoline_kernelINS0_14default_configENS1_38merge_sort_block_merge_config_selectorI6__halfNS0_10empty_typeEEEZZNS1_27merge_sort_block_merge_implIS3_PS5_PS6_jNS1_19radix_merge_compareILb0ELb0ES5_NS0_19identity_decomposerEEEEE10hipError_tT0_T1_T2_jT3_P12ihipStream_tbPNSt15iterator_traitsISF_E10value_typeEPNSL_ISG_E10value_typeEPSH_NS1_7vsmem_tEENKUlT_SF_SG_SH_E_clIS9_S9_SA_SA_EESE_SU_SF_SG_SH_EUlSU_E0_NS1_11comp_targetILNS1_3genE10ELNS1_11target_archE1201ELNS1_3gpuE5ELNS1_3repE0EEENS1_38merge_mergepath_config_static_selectorELNS0_4arch9wavefront6targetE0EEEvSG_.has_dyn_sized_stack, 0
	.set _ZN7rocprim17ROCPRIM_400000_NS6detail17trampoline_kernelINS0_14default_configENS1_38merge_sort_block_merge_config_selectorI6__halfNS0_10empty_typeEEEZZNS1_27merge_sort_block_merge_implIS3_PS5_PS6_jNS1_19radix_merge_compareILb0ELb0ES5_NS0_19identity_decomposerEEEEE10hipError_tT0_T1_T2_jT3_P12ihipStream_tbPNSt15iterator_traitsISF_E10value_typeEPNSL_ISG_E10value_typeEPSH_NS1_7vsmem_tEENKUlT_SF_SG_SH_E_clIS9_S9_SA_SA_EESE_SU_SF_SG_SH_EUlSU_E0_NS1_11comp_targetILNS1_3genE10ELNS1_11target_archE1201ELNS1_3gpuE5ELNS1_3repE0EEENS1_38merge_mergepath_config_static_selectorELNS0_4arch9wavefront6targetE0EEEvSG_.has_recursion, 0
	.set _ZN7rocprim17ROCPRIM_400000_NS6detail17trampoline_kernelINS0_14default_configENS1_38merge_sort_block_merge_config_selectorI6__halfNS0_10empty_typeEEEZZNS1_27merge_sort_block_merge_implIS3_PS5_PS6_jNS1_19radix_merge_compareILb0ELb0ES5_NS0_19identity_decomposerEEEEE10hipError_tT0_T1_T2_jT3_P12ihipStream_tbPNSt15iterator_traitsISF_E10value_typeEPNSL_ISG_E10value_typeEPSH_NS1_7vsmem_tEENKUlT_SF_SG_SH_E_clIS9_S9_SA_SA_EESE_SU_SF_SG_SH_EUlSU_E0_NS1_11comp_targetILNS1_3genE10ELNS1_11target_archE1201ELNS1_3gpuE5ELNS1_3repE0EEENS1_38merge_mergepath_config_static_selectorELNS0_4arch9wavefront6targetE0EEEvSG_.has_indirect_call, 0
	.section	.AMDGPU.csdata,"",@progbits
; Kernel info:
; codeLenInByte = 0
; TotalNumSgprs: 0
; NumVgprs: 0
; ScratchSize: 0
; MemoryBound: 0
; FloatMode: 240
; IeeeMode: 1
; LDSByteSize: 0 bytes/workgroup (compile time only)
; SGPRBlocks: 0
; VGPRBlocks: 0
; NumSGPRsForWavesPerEU: 1
; NumVGPRsForWavesPerEU: 1
; NamedBarCnt: 0
; Occupancy: 16
; WaveLimiterHint : 0
; COMPUTE_PGM_RSRC2:SCRATCH_EN: 0
; COMPUTE_PGM_RSRC2:USER_SGPR: 2
; COMPUTE_PGM_RSRC2:TRAP_HANDLER: 0
; COMPUTE_PGM_RSRC2:TGID_X_EN: 1
; COMPUTE_PGM_RSRC2:TGID_Y_EN: 0
; COMPUTE_PGM_RSRC2:TGID_Z_EN: 0
; COMPUTE_PGM_RSRC2:TIDIG_COMP_CNT: 0
	.section	.text._ZN7rocprim17ROCPRIM_400000_NS6detail17trampoline_kernelINS0_14default_configENS1_38merge_sort_block_merge_config_selectorI6__halfNS0_10empty_typeEEEZZNS1_27merge_sort_block_merge_implIS3_PS5_PS6_jNS1_19radix_merge_compareILb0ELb0ES5_NS0_19identity_decomposerEEEEE10hipError_tT0_T1_T2_jT3_P12ihipStream_tbPNSt15iterator_traitsISF_E10value_typeEPNSL_ISG_E10value_typeEPSH_NS1_7vsmem_tEENKUlT_SF_SG_SH_E_clIS9_S9_SA_SA_EESE_SU_SF_SG_SH_EUlSU_E0_NS1_11comp_targetILNS1_3genE5ELNS1_11target_archE942ELNS1_3gpuE9ELNS1_3repE0EEENS1_38merge_mergepath_config_static_selectorELNS0_4arch9wavefront6targetE0EEEvSG_,"axG",@progbits,_ZN7rocprim17ROCPRIM_400000_NS6detail17trampoline_kernelINS0_14default_configENS1_38merge_sort_block_merge_config_selectorI6__halfNS0_10empty_typeEEEZZNS1_27merge_sort_block_merge_implIS3_PS5_PS6_jNS1_19radix_merge_compareILb0ELb0ES5_NS0_19identity_decomposerEEEEE10hipError_tT0_T1_T2_jT3_P12ihipStream_tbPNSt15iterator_traitsISF_E10value_typeEPNSL_ISG_E10value_typeEPSH_NS1_7vsmem_tEENKUlT_SF_SG_SH_E_clIS9_S9_SA_SA_EESE_SU_SF_SG_SH_EUlSU_E0_NS1_11comp_targetILNS1_3genE5ELNS1_11target_archE942ELNS1_3gpuE9ELNS1_3repE0EEENS1_38merge_mergepath_config_static_selectorELNS0_4arch9wavefront6targetE0EEEvSG_,comdat
	.protected	_ZN7rocprim17ROCPRIM_400000_NS6detail17trampoline_kernelINS0_14default_configENS1_38merge_sort_block_merge_config_selectorI6__halfNS0_10empty_typeEEEZZNS1_27merge_sort_block_merge_implIS3_PS5_PS6_jNS1_19radix_merge_compareILb0ELb0ES5_NS0_19identity_decomposerEEEEE10hipError_tT0_T1_T2_jT3_P12ihipStream_tbPNSt15iterator_traitsISF_E10value_typeEPNSL_ISG_E10value_typeEPSH_NS1_7vsmem_tEENKUlT_SF_SG_SH_E_clIS9_S9_SA_SA_EESE_SU_SF_SG_SH_EUlSU_E0_NS1_11comp_targetILNS1_3genE5ELNS1_11target_archE942ELNS1_3gpuE9ELNS1_3repE0EEENS1_38merge_mergepath_config_static_selectorELNS0_4arch9wavefront6targetE0EEEvSG_ ; -- Begin function _ZN7rocprim17ROCPRIM_400000_NS6detail17trampoline_kernelINS0_14default_configENS1_38merge_sort_block_merge_config_selectorI6__halfNS0_10empty_typeEEEZZNS1_27merge_sort_block_merge_implIS3_PS5_PS6_jNS1_19radix_merge_compareILb0ELb0ES5_NS0_19identity_decomposerEEEEE10hipError_tT0_T1_T2_jT3_P12ihipStream_tbPNSt15iterator_traitsISF_E10value_typeEPNSL_ISG_E10value_typeEPSH_NS1_7vsmem_tEENKUlT_SF_SG_SH_E_clIS9_S9_SA_SA_EESE_SU_SF_SG_SH_EUlSU_E0_NS1_11comp_targetILNS1_3genE5ELNS1_11target_archE942ELNS1_3gpuE9ELNS1_3repE0EEENS1_38merge_mergepath_config_static_selectorELNS0_4arch9wavefront6targetE0EEEvSG_
	.globl	_ZN7rocprim17ROCPRIM_400000_NS6detail17trampoline_kernelINS0_14default_configENS1_38merge_sort_block_merge_config_selectorI6__halfNS0_10empty_typeEEEZZNS1_27merge_sort_block_merge_implIS3_PS5_PS6_jNS1_19radix_merge_compareILb0ELb0ES5_NS0_19identity_decomposerEEEEE10hipError_tT0_T1_T2_jT3_P12ihipStream_tbPNSt15iterator_traitsISF_E10value_typeEPNSL_ISG_E10value_typeEPSH_NS1_7vsmem_tEENKUlT_SF_SG_SH_E_clIS9_S9_SA_SA_EESE_SU_SF_SG_SH_EUlSU_E0_NS1_11comp_targetILNS1_3genE5ELNS1_11target_archE942ELNS1_3gpuE9ELNS1_3repE0EEENS1_38merge_mergepath_config_static_selectorELNS0_4arch9wavefront6targetE0EEEvSG_
	.p2align	8
	.type	_ZN7rocprim17ROCPRIM_400000_NS6detail17trampoline_kernelINS0_14default_configENS1_38merge_sort_block_merge_config_selectorI6__halfNS0_10empty_typeEEEZZNS1_27merge_sort_block_merge_implIS3_PS5_PS6_jNS1_19radix_merge_compareILb0ELb0ES5_NS0_19identity_decomposerEEEEE10hipError_tT0_T1_T2_jT3_P12ihipStream_tbPNSt15iterator_traitsISF_E10value_typeEPNSL_ISG_E10value_typeEPSH_NS1_7vsmem_tEENKUlT_SF_SG_SH_E_clIS9_S9_SA_SA_EESE_SU_SF_SG_SH_EUlSU_E0_NS1_11comp_targetILNS1_3genE5ELNS1_11target_archE942ELNS1_3gpuE9ELNS1_3repE0EEENS1_38merge_mergepath_config_static_selectorELNS0_4arch9wavefront6targetE0EEEvSG_,@function
_ZN7rocprim17ROCPRIM_400000_NS6detail17trampoline_kernelINS0_14default_configENS1_38merge_sort_block_merge_config_selectorI6__halfNS0_10empty_typeEEEZZNS1_27merge_sort_block_merge_implIS3_PS5_PS6_jNS1_19radix_merge_compareILb0ELb0ES5_NS0_19identity_decomposerEEEEE10hipError_tT0_T1_T2_jT3_P12ihipStream_tbPNSt15iterator_traitsISF_E10value_typeEPNSL_ISG_E10value_typeEPSH_NS1_7vsmem_tEENKUlT_SF_SG_SH_E_clIS9_S9_SA_SA_EESE_SU_SF_SG_SH_EUlSU_E0_NS1_11comp_targetILNS1_3genE5ELNS1_11target_archE942ELNS1_3gpuE9ELNS1_3repE0EEENS1_38merge_mergepath_config_static_selectorELNS0_4arch9wavefront6targetE0EEEvSG_: ; @_ZN7rocprim17ROCPRIM_400000_NS6detail17trampoline_kernelINS0_14default_configENS1_38merge_sort_block_merge_config_selectorI6__halfNS0_10empty_typeEEEZZNS1_27merge_sort_block_merge_implIS3_PS5_PS6_jNS1_19radix_merge_compareILb0ELb0ES5_NS0_19identity_decomposerEEEEE10hipError_tT0_T1_T2_jT3_P12ihipStream_tbPNSt15iterator_traitsISF_E10value_typeEPNSL_ISG_E10value_typeEPSH_NS1_7vsmem_tEENKUlT_SF_SG_SH_E_clIS9_S9_SA_SA_EESE_SU_SF_SG_SH_EUlSU_E0_NS1_11comp_targetILNS1_3genE5ELNS1_11target_archE942ELNS1_3gpuE9ELNS1_3repE0EEENS1_38merge_mergepath_config_static_selectorELNS0_4arch9wavefront6targetE0EEEvSG_
; %bb.0:
	.section	.rodata,"a",@progbits
	.p2align	6, 0x0
	.amdhsa_kernel _ZN7rocprim17ROCPRIM_400000_NS6detail17trampoline_kernelINS0_14default_configENS1_38merge_sort_block_merge_config_selectorI6__halfNS0_10empty_typeEEEZZNS1_27merge_sort_block_merge_implIS3_PS5_PS6_jNS1_19radix_merge_compareILb0ELb0ES5_NS0_19identity_decomposerEEEEE10hipError_tT0_T1_T2_jT3_P12ihipStream_tbPNSt15iterator_traitsISF_E10value_typeEPNSL_ISG_E10value_typeEPSH_NS1_7vsmem_tEENKUlT_SF_SG_SH_E_clIS9_S9_SA_SA_EESE_SU_SF_SG_SH_EUlSU_E0_NS1_11comp_targetILNS1_3genE5ELNS1_11target_archE942ELNS1_3gpuE9ELNS1_3repE0EEENS1_38merge_mergepath_config_static_selectorELNS0_4arch9wavefront6targetE0EEEvSG_
		.amdhsa_group_segment_fixed_size 0
		.amdhsa_private_segment_fixed_size 0
		.amdhsa_kernarg_size 64
		.amdhsa_user_sgpr_count 2
		.amdhsa_user_sgpr_dispatch_ptr 0
		.amdhsa_user_sgpr_queue_ptr 0
		.amdhsa_user_sgpr_kernarg_segment_ptr 1
		.amdhsa_user_sgpr_dispatch_id 0
		.amdhsa_user_sgpr_kernarg_preload_length 0
		.amdhsa_user_sgpr_kernarg_preload_offset 0
		.amdhsa_user_sgpr_private_segment_size 0
		.amdhsa_wavefront_size32 1
		.amdhsa_uses_dynamic_stack 0
		.amdhsa_enable_private_segment 0
		.amdhsa_system_sgpr_workgroup_id_x 1
		.amdhsa_system_sgpr_workgroup_id_y 0
		.amdhsa_system_sgpr_workgroup_id_z 0
		.amdhsa_system_sgpr_workgroup_info 0
		.amdhsa_system_vgpr_workitem_id 0
		.amdhsa_next_free_vgpr 1
		.amdhsa_next_free_sgpr 1
		.amdhsa_named_barrier_count 0
		.amdhsa_reserve_vcc 0
		.amdhsa_float_round_mode_32 0
		.amdhsa_float_round_mode_16_64 0
		.amdhsa_float_denorm_mode_32 3
		.amdhsa_float_denorm_mode_16_64 3
		.amdhsa_fp16_overflow 0
		.amdhsa_memory_ordered 1
		.amdhsa_forward_progress 1
		.amdhsa_inst_pref_size 0
		.amdhsa_round_robin_scheduling 0
		.amdhsa_exception_fp_ieee_invalid_op 0
		.amdhsa_exception_fp_denorm_src 0
		.amdhsa_exception_fp_ieee_div_zero 0
		.amdhsa_exception_fp_ieee_overflow 0
		.amdhsa_exception_fp_ieee_underflow 0
		.amdhsa_exception_fp_ieee_inexact 0
		.amdhsa_exception_int_div_zero 0
	.end_amdhsa_kernel
	.section	.text._ZN7rocprim17ROCPRIM_400000_NS6detail17trampoline_kernelINS0_14default_configENS1_38merge_sort_block_merge_config_selectorI6__halfNS0_10empty_typeEEEZZNS1_27merge_sort_block_merge_implIS3_PS5_PS6_jNS1_19radix_merge_compareILb0ELb0ES5_NS0_19identity_decomposerEEEEE10hipError_tT0_T1_T2_jT3_P12ihipStream_tbPNSt15iterator_traitsISF_E10value_typeEPNSL_ISG_E10value_typeEPSH_NS1_7vsmem_tEENKUlT_SF_SG_SH_E_clIS9_S9_SA_SA_EESE_SU_SF_SG_SH_EUlSU_E0_NS1_11comp_targetILNS1_3genE5ELNS1_11target_archE942ELNS1_3gpuE9ELNS1_3repE0EEENS1_38merge_mergepath_config_static_selectorELNS0_4arch9wavefront6targetE0EEEvSG_,"axG",@progbits,_ZN7rocprim17ROCPRIM_400000_NS6detail17trampoline_kernelINS0_14default_configENS1_38merge_sort_block_merge_config_selectorI6__halfNS0_10empty_typeEEEZZNS1_27merge_sort_block_merge_implIS3_PS5_PS6_jNS1_19radix_merge_compareILb0ELb0ES5_NS0_19identity_decomposerEEEEE10hipError_tT0_T1_T2_jT3_P12ihipStream_tbPNSt15iterator_traitsISF_E10value_typeEPNSL_ISG_E10value_typeEPSH_NS1_7vsmem_tEENKUlT_SF_SG_SH_E_clIS9_S9_SA_SA_EESE_SU_SF_SG_SH_EUlSU_E0_NS1_11comp_targetILNS1_3genE5ELNS1_11target_archE942ELNS1_3gpuE9ELNS1_3repE0EEENS1_38merge_mergepath_config_static_selectorELNS0_4arch9wavefront6targetE0EEEvSG_,comdat
.Lfunc_end2218:
	.size	_ZN7rocprim17ROCPRIM_400000_NS6detail17trampoline_kernelINS0_14default_configENS1_38merge_sort_block_merge_config_selectorI6__halfNS0_10empty_typeEEEZZNS1_27merge_sort_block_merge_implIS3_PS5_PS6_jNS1_19radix_merge_compareILb0ELb0ES5_NS0_19identity_decomposerEEEEE10hipError_tT0_T1_T2_jT3_P12ihipStream_tbPNSt15iterator_traitsISF_E10value_typeEPNSL_ISG_E10value_typeEPSH_NS1_7vsmem_tEENKUlT_SF_SG_SH_E_clIS9_S9_SA_SA_EESE_SU_SF_SG_SH_EUlSU_E0_NS1_11comp_targetILNS1_3genE5ELNS1_11target_archE942ELNS1_3gpuE9ELNS1_3repE0EEENS1_38merge_mergepath_config_static_selectorELNS0_4arch9wavefront6targetE0EEEvSG_, .Lfunc_end2218-_ZN7rocprim17ROCPRIM_400000_NS6detail17trampoline_kernelINS0_14default_configENS1_38merge_sort_block_merge_config_selectorI6__halfNS0_10empty_typeEEEZZNS1_27merge_sort_block_merge_implIS3_PS5_PS6_jNS1_19radix_merge_compareILb0ELb0ES5_NS0_19identity_decomposerEEEEE10hipError_tT0_T1_T2_jT3_P12ihipStream_tbPNSt15iterator_traitsISF_E10value_typeEPNSL_ISG_E10value_typeEPSH_NS1_7vsmem_tEENKUlT_SF_SG_SH_E_clIS9_S9_SA_SA_EESE_SU_SF_SG_SH_EUlSU_E0_NS1_11comp_targetILNS1_3genE5ELNS1_11target_archE942ELNS1_3gpuE9ELNS1_3repE0EEENS1_38merge_mergepath_config_static_selectorELNS0_4arch9wavefront6targetE0EEEvSG_
                                        ; -- End function
	.set _ZN7rocprim17ROCPRIM_400000_NS6detail17trampoline_kernelINS0_14default_configENS1_38merge_sort_block_merge_config_selectorI6__halfNS0_10empty_typeEEEZZNS1_27merge_sort_block_merge_implIS3_PS5_PS6_jNS1_19radix_merge_compareILb0ELb0ES5_NS0_19identity_decomposerEEEEE10hipError_tT0_T1_T2_jT3_P12ihipStream_tbPNSt15iterator_traitsISF_E10value_typeEPNSL_ISG_E10value_typeEPSH_NS1_7vsmem_tEENKUlT_SF_SG_SH_E_clIS9_S9_SA_SA_EESE_SU_SF_SG_SH_EUlSU_E0_NS1_11comp_targetILNS1_3genE5ELNS1_11target_archE942ELNS1_3gpuE9ELNS1_3repE0EEENS1_38merge_mergepath_config_static_selectorELNS0_4arch9wavefront6targetE0EEEvSG_.num_vgpr, 0
	.set _ZN7rocprim17ROCPRIM_400000_NS6detail17trampoline_kernelINS0_14default_configENS1_38merge_sort_block_merge_config_selectorI6__halfNS0_10empty_typeEEEZZNS1_27merge_sort_block_merge_implIS3_PS5_PS6_jNS1_19radix_merge_compareILb0ELb0ES5_NS0_19identity_decomposerEEEEE10hipError_tT0_T1_T2_jT3_P12ihipStream_tbPNSt15iterator_traitsISF_E10value_typeEPNSL_ISG_E10value_typeEPSH_NS1_7vsmem_tEENKUlT_SF_SG_SH_E_clIS9_S9_SA_SA_EESE_SU_SF_SG_SH_EUlSU_E0_NS1_11comp_targetILNS1_3genE5ELNS1_11target_archE942ELNS1_3gpuE9ELNS1_3repE0EEENS1_38merge_mergepath_config_static_selectorELNS0_4arch9wavefront6targetE0EEEvSG_.num_agpr, 0
	.set _ZN7rocprim17ROCPRIM_400000_NS6detail17trampoline_kernelINS0_14default_configENS1_38merge_sort_block_merge_config_selectorI6__halfNS0_10empty_typeEEEZZNS1_27merge_sort_block_merge_implIS3_PS5_PS6_jNS1_19radix_merge_compareILb0ELb0ES5_NS0_19identity_decomposerEEEEE10hipError_tT0_T1_T2_jT3_P12ihipStream_tbPNSt15iterator_traitsISF_E10value_typeEPNSL_ISG_E10value_typeEPSH_NS1_7vsmem_tEENKUlT_SF_SG_SH_E_clIS9_S9_SA_SA_EESE_SU_SF_SG_SH_EUlSU_E0_NS1_11comp_targetILNS1_3genE5ELNS1_11target_archE942ELNS1_3gpuE9ELNS1_3repE0EEENS1_38merge_mergepath_config_static_selectorELNS0_4arch9wavefront6targetE0EEEvSG_.numbered_sgpr, 0
	.set _ZN7rocprim17ROCPRIM_400000_NS6detail17trampoline_kernelINS0_14default_configENS1_38merge_sort_block_merge_config_selectorI6__halfNS0_10empty_typeEEEZZNS1_27merge_sort_block_merge_implIS3_PS5_PS6_jNS1_19radix_merge_compareILb0ELb0ES5_NS0_19identity_decomposerEEEEE10hipError_tT0_T1_T2_jT3_P12ihipStream_tbPNSt15iterator_traitsISF_E10value_typeEPNSL_ISG_E10value_typeEPSH_NS1_7vsmem_tEENKUlT_SF_SG_SH_E_clIS9_S9_SA_SA_EESE_SU_SF_SG_SH_EUlSU_E0_NS1_11comp_targetILNS1_3genE5ELNS1_11target_archE942ELNS1_3gpuE9ELNS1_3repE0EEENS1_38merge_mergepath_config_static_selectorELNS0_4arch9wavefront6targetE0EEEvSG_.num_named_barrier, 0
	.set _ZN7rocprim17ROCPRIM_400000_NS6detail17trampoline_kernelINS0_14default_configENS1_38merge_sort_block_merge_config_selectorI6__halfNS0_10empty_typeEEEZZNS1_27merge_sort_block_merge_implIS3_PS5_PS6_jNS1_19radix_merge_compareILb0ELb0ES5_NS0_19identity_decomposerEEEEE10hipError_tT0_T1_T2_jT3_P12ihipStream_tbPNSt15iterator_traitsISF_E10value_typeEPNSL_ISG_E10value_typeEPSH_NS1_7vsmem_tEENKUlT_SF_SG_SH_E_clIS9_S9_SA_SA_EESE_SU_SF_SG_SH_EUlSU_E0_NS1_11comp_targetILNS1_3genE5ELNS1_11target_archE942ELNS1_3gpuE9ELNS1_3repE0EEENS1_38merge_mergepath_config_static_selectorELNS0_4arch9wavefront6targetE0EEEvSG_.private_seg_size, 0
	.set _ZN7rocprim17ROCPRIM_400000_NS6detail17trampoline_kernelINS0_14default_configENS1_38merge_sort_block_merge_config_selectorI6__halfNS0_10empty_typeEEEZZNS1_27merge_sort_block_merge_implIS3_PS5_PS6_jNS1_19radix_merge_compareILb0ELb0ES5_NS0_19identity_decomposerEEEEE10hipError_tT0_T1_T2_jT3_P12ihipStream_tbPNSt15iterator_traitsISF_E10value_typeEPNSL_ISG_E10value_typeEPSH_NS1_7vsmem_tEENKUlT_SF_SG_SH_E_clIS9_S9_SA_SA_EESE_SU_SF_SG_SH_EUlSU_E0_NS1_11comp_targetILNS1_3genE5ELNS1_11target_archE942ELNS1_3gpuE9ELNS1_3repE0EEENS1_38merge_mergepath_config_static_selectorELNS0_4arch9wavefront6targetE0EEEvSG_.uses_vcc, 0
	.set _ZN7rocprim17ROCPRIM_400000_NS6detail17trampoline_kernelINS0_14default_configENS1_38merge_sort_block_merge_config_selectorI6__halfNS0_10empty_typeEEEZZNS1_27merge_sort_block_merge_implIS3_PS5_PS6_jNS1_19radix_merge_compareILb0ELb0ES5_NS0_19identity_decomposerEEEEE10hipError_tT0_T1_T2_jT3_P12ihipStream_tbPNSt15iterator_traitsISF_E10value_typeEPNSL_ISG_E10value_typeEPSH_NS1_7vsmem_tEENKUlT_SF_SG_SH_E_clIS9_S9_SA_SA_EESE_SU_SF_SG_SH_EUlSU_E0_NS1_11comp_targetILNS1_3genE5ELNS1_11target_archE942ELNS1_3gpuE9ELNS1_3repE0EEENS1_38merge_mergepath_config_static_selectorELNS0_4arch9wavefront6targetE0EEEvSG_.uses_flat_scratch, 0
	.set _ZN7rocprim17ROCPRIM_400000_NS6detail17trampoline_kernelINS0_14default_configENS1_38merge_sort_block_merge_config_selectorI6__halfNS0_10empty_typeEEEZZNS1_27merge_sort_block_merge_implIS3_PS5_PS6_jNS1_19radix_merge_compareILb0ELb0ES5_NS0_19identity_decomposerEEEEE10hipError_tT0_T1_T2_jT3_P12ihipStream_tbPNSt15iterator_traitsISF_E10value_typeEPNSL_ISG_E10value_typeEPSH_NS1_7vsmem_tEENKUlT_SF_SG_SH_E_clIS9_S9_SA_SA_EESE_SU_SF_SG_SH_EUlSU_E0_NS1_11comp_targetILNS1_3genE5ELNS1_11target_archE942ELNS1_3gpuE9ELNS1_3repE0EEENS1_38merge_mergepath_config_static_selectorELNS0_4arch9wavefront6targetE0EEEvSG_.has_dyn_sized_stack, 0
	.set _ZN7rocprim17ROCPRIM_400000_NS6detail17trampoline_kernelINS0_14default_configENS1_38merge_sort_block_merge_config_selectorI6__halfNS0_10empty_typeEEEZZNS1_27merge_sort_block_merge_implIS3_PS5_PS6_jNS1_19radix_merge_compareILb0ELb0ES5_NS0_19identity_decomposerEEEEE10hipError_tT0_T1_T2_jT3_P12ihipStream_tbPNSt15iterator_traitsISF_E10value_typeEPNSL_ISG_E10value_typeEPSH_NS1_7vsmem_tEENKUlT_SF_SG_SH_E_clIS9_S9_SA_SA_EESE_SU_SF_SG_SH_EUlSU_E0_NS1_11comp_targetILNS1_3genE5ELNS1_11target_archE942ELNS1_3gpuE9ELNS1_3repE0EEENS1_38merge_mergepath_config_static_selectorELNS0_4arch9wavefront6targetE0EEEvSG_.has_recursion, 0
	.set _ZN7rocprim17ROCPRIM_400000_NS6detail17trampoline_kernelINS0_14default_configENS1_38merge_sort_block_merge_config_selectorI6__halfNS0_10empty_typeEEEZZNS1_27merge_sort_block_merge_implIS3_PS5_PS6_jNS1_19radix_merge_compareILb0ELb0ES5_NS0_19identity_decomposerEEEEE10hipError_tT0_T1_T2_jT3_P12ihipStream_tbPNSt15iterator_traitsISF_E10value_typeEPNSL_ISG_E10value_typeEPSH_NS1_7vsmem_tEENKUlT_SF_SG_SH_E_clIS9_S9_SA_SA_EESE_SU_SF_SG_SH_EUlSU_E0_NS1_11comp_targetILNS1_3genE5ELNS1_11target_archE942ELNS1_3gpuE9ELNS1_3repE0EEENS1_38merge_mergepath_config_static_selectorELNS0_4arch9wavefront6targetE0EEEvSG_.has_indirect_call, 0
	.section	.AMDGPU.csdata,"",@progbits
; Kernel info:
; codeLenInByte = 0
; TotalNumSgprs: 0
; NumVgprs: 0
; ScratchSize: 0
; MemoryBound: 0
; FloatMode: 240
; IeeeMode: 1
; LDSByteSize: 0 bytes/workgroup (compile time only)
; SGPRBlocks: 0
; VGPRBlocks: 0
; NumSGPRsForWavesPerEU: 1
; NumVGPRsForWavesPerEU: 1
; NamedBarCnt: 0
; Occupancy: 16
; WaveLimiterHint : 0
; COMPUTE_PGM_RSRC2:SCRATCH_EN: 0
; COMPUTE_PGM_RSRC2:USER_SGPR: 2
; COMPUTE_PGM_RSRC2:TRAP_HANDLER: 0
; COMPUTE_PGM_RSRC2:TGID_X_EN: 1
; COMPUTE_PGM_RSRC2:TGID_Y_EN: 0
; COMPUTE_PGM_RSRC2:TGID_Z_EN: 0
; COMPUTE_PGM_RSRC2:TIDIG_COMP_CNT: 0
	.section	.text._ZN7rocprim17ROCPRIM_400000_NS6detail17trampoline_kernelINS0_14default_configENS1_38merge_sort_block_merge_config_selectorI6__halfNS0_10empty_typeEEEZZNS1_27merge_sort_block_merge_implIS3_PS5_PS6_jNS1_19radix_merge_compareILb0ELb0ES5_NS0_19identity_decomposerEEEEE10hipError_tT0_T1_T2_jT3_P12ihipStream_tbPNSt15iterator_traitsISF_E10value_typeEPNSL_ISG_E10value_typeEPSH_NS1_7vsmem_tEENKUlT_SF_SG_SH_E_clIS9_S9_SA_SA_EESE_SU_SF_SG_SH_EUlSU_E0_NS1_11comp_targetILNS1_3genE4ELNS1_11target_archE910ELNS1_3gpuE8ELNS1_3repE0EEENS1_38merge_mergepath_config_static_selectorELNS0_4arch9wavefront6targetE0EEEvSG_,"axG",@progbits,_ZN7rocprim17ROCPRIM_400000_NS6detail17trampoline_kernelINS0_14default_configENS1_38merge_sort_block_merge_config_selectorI6__halfNS0_10empty_typeEEEZZNS1_27merge_sort_block_merge_implIS3_PS5_PS6_jNS1_19radix_merge_compareILb0ELb0ES5_NS0_19identity_decomposerEEEEE10hipError_tT0_T1_T2_jT3_P12ihipStream_tbPNSt15iterator_traitsISF_E10value_typeEPNSL_ISG_E10value_typeEPSH_NS1_7vsmem_tEENKUlT_SF_SG_SH_E_clIS9_S9_SA_SA_EESE_SU_SF_SG_SH_EUlSU_E0_NS1_11comp_targetILNS1_3genE4ELNS1_11target_archE910ELNS1_3gpuE8ELNS1_3repE0EEENS1_38merge_mergepath_config_static_selectorELNS0_4arch9wavefront6targetE0EEEvSG_,comdat
	.protected	_ZN7rocprim17ROCPRIM_400000_NS6detail17trampoline_kernelINS0_14default_configENS1_38merge_sort_block_merge_config_selectorI6__halfNS0_10empty_typeEEEZZNS1_27merge_sort_block_merge_implIS3_PS5_PS6_jNS1_19radix_merge_compareILb0ELb0ES5_NS0_19identity_decomposerEEEEE10hipError_tT0_T1_T2_jT3_P12ihipStream_tbPNSt15iterator_traitsISF_E10value_typeEPNSL_ISG_E10value_typeEPSH_NS1_7vsmem_tEENKUlT_SF_SG_SH_E_clIS9_S9_SA_SA_EESE_SU_SF_SG_SH_EUlSU_E0_NS1_11comp_targetILNS1_3genE4ELNS1_11target_archE910ELNS1_3gpuE8ELNS1_3repE0EEENS1_38merge_mergepath_config_static_selectorELNS0_4arch9wavefront6targetE0EEEvSG_ ; -- Begin function _ZN7rocprim17ROCPRIM_400000_NS6detail17trampoline_kernelINS0_14default_configENS1_38merge_sort_block_merge_config_selectorI6__halfNS0_10empty_typeEEEZZNS1_27merge_sort_block_merge_implIS3_PS5_PS6_jNS1_19radix_merge_compareILb0ELb0ES5_NS0_19identity_decomposerEEEEE10hipError_tT0_T1_T2_jT3_P12ihipStream_tbPNSt15iterator_traitsISF_E10value_typeEPNSL_ISG_E10value_typeEPSH_NS1_7vsmem_tEENKUlT_SF_SG_SH_E_clIS9_S9_SA_SA_EESE_SU_SF_SG_SH_EUlSU_E0_NS1_11comp_targetILNS1_3genE4ELNS1_11target_archE910ELNS1_3gpuE8ELNS1_3repE0EEENS1_38merge_mergepath_config_static_selectorELNS0_4arch9wavefront6targetE0EEEvSG_
	.globl	_ZN7rocprim17ROCPRIM_400000_NS6detail17trampoline_kernelINS0_14default_configENS1_38merge_sort_block_merge_config_selectorI6__halfNS0_10empty_typeEEEZZNS1_27merge_sort_block_merge_implIS3_PS5_PS6_jNS1_19radix_merge_compareILb0ELb0ES5_NS0_19identity_decomposerEEEEE10hipError_tT0_T1_T2_jT3_P12ihipStream_tbPNSt15iterator_traitsISF_E10value_typeEPNSL_ISG_E10value_typeEPSH_NS1_7vsmem_tEENKUlT_SF_SG_SH_E_clIS9_S9_SA_SA_EESE_SU_SF_SG_SH_EUlSU_E0_NS1_11comp_targetILNS1_3genE4ELNS1_11target_archE910ELNS1_3gpuE8ELNS1_3repE0EEENS1_38merge_mergepath_config_static_selectorELNS0_4arch9wavefront6targetE0EEEvSG_
	.p2align	8
	.type	_ZN7rocprim17ROCPRIM_400000_NS6detail17trampoline_kernelINS0_14default_configENS1_38merge_sort_block_merge_config_selectorI6__halfNS0_10empty_typeEEEZZNS1_27merge_sort_block_merge_implIS3_PS5_PS6_jNS1_19radix_merge_compareILb0ELb0ES5_NS0_19identity_decomposerEEEEE10hipError_tT0_T1_T2_jT3_P12ihipStream_tbPNSt15iterator_traitsISF_E10value_typeEPNSL_ISG_E10value_typeEPSH_NS1_7vsmem_tEENKUlT_SF_SG_SH_E_clIS9_S9_SA_SA_EESE_SU_SF_SG_SH_EUlSU_E0_NS1_11comp_targetILNS1_3genE4ELNS1_11target_archE910ELNS1_3gpuE8ELNS1_3repE0EEENS1_38merge_mergepath_config_static_selectorELNS0_4arch9wavefront6targetE0EEEvSG_,@function
_ZN7rocprim17ROCPRIM_400000_NS6detail17trampoline_kernelINS0_14default_configENS1_38merge_sort_block_merge_config_selectorI6__halfNS0_10empty_typeEEEZZNS1_27merge_sort_block_merge_implIS3_PS5_PS6_jNS1_19radix_merge_compareILb0ELb0ES5_NS0_19identity_decomposerEEEEE10hipError_tT0_T1_T2_jT3_P12ihipStream_tbPNSt15iterator_traitsISF_E10value_typeEPNSL_ISG_E10value_typeEPSH_NS1_7vsmem_tEENKUlT_SF_SG_SH_E_clIS9_S9_SA_SA_EESE_SU_SF_SG_SH_EUlSU_E0_NS1_11comp_targetILNS1_3genE4ELNS1_11target_archE910ELNS1_3gpuE8ELNS1_3repE0EEENS1_38merge_mergepath_config_static_selectorELNS0_4arch9wavefront6targetE0EEEvSG_: ; @_ZN7rocprim17ROCPRIM_400000_NS6detail17trampoline_kernelINS0_14default_configENS1_38merge_sort_block_merge_config_selectorI6__halfNS0_10empty_typeEEEZZNS1_27merge_sort_block_merge_implIS3_PS5_PS6_jNS1_19radix_merge_compareILb0ELb0ES5_NS0_19identity_decomposerEEEEE10hipError_tT0_T1_T2_jT3_P12ihipStream_tbPNSt15iterator_traitsISF_E10value_typeEPNSL_ISG_E10value_typeEPSH_NS1_7vsmem_tEENKUlT_SF_SG_SH_E_clIS9_S9_SA_SA_EESE_SU_SF_SG_SH_EUlSU_E0_NS1_11comp_targetILNS1_3genE4ELNS1_11target_archE910ELNS1_3gpuE8ELNS1_3repE0EEENS1_38merge_mergepath_config_static_selectorELNS0_4arch9wavefront6targetE0EEEvSG_
; %bb.0:
	.section	.rodata,"a",@progbits
	.p2align	6, 0x0
	.amdhsa_kernel _ZN7rocprim17ROCPRIM_400000_NS6detail17trampoline_kernelINS0_14default_configENS1_38merge_sort_block_merge_config_selectorI6__halfNS0_10empty_typeEEEZZNS1_27merge_sort_block_merge_implIS3_PS5_PS6_jNS1_19radix_merge_compareILb0ELb0ES5_NS0_19identity_decomposerEEEEE10hipError_tT0_T1_T2_jT3_P12ihipStream_tbPNSt15iterator_traitsISF_E10value_typeEPNSL_ISG_E10value_typeEPSH_NS1_7vsmem_tEENKUlT_SF_SG_SH_E_clIS9_S9_SA_SA_EESE_SU_SF_SG_SH_EUlSU_E0_NS1_11comp_targetILNS1_3genE4ELNS1_11target_archE910ELNS1_3gpuE8ELNS1_3repE0EEENS1_38merge_mergepath_config_static_selectorELNS0_4arch9wavefront6targetE0EEEvSG_
		.amdhsa_group_segment_fixed_size 0
		.amdhsa_private_segment_fixed_size 0
		.amdhsa_kernarg_size 64
		.amdhsa_user_sgpr_count 2
		.amdhsa_user_sgpr_dispatch_ptr 0
		.amdhsa_user_sgpr_queue_ptr 0
		.amdhsa_user_sgpr_kernarg_segment_ptr 1
		.amdhsa_user_sgpr_dispatch_id 0
		.amdhsa_user_sgpr_kernarg_preload_length 0
		.amdhsa_user_sgpr_kernarg_preload_offset 0
		.amdhsa_user_sgpr_private_segment_size 0
		.amdhsa_wavefront_size32 1
		.amdhsa_uses_dynamic_stack 0
		.amdhsa_enable_private_segment 0
		.amdhsa_system_sgpr_workgroup_id_x 1
		.amdhsa_system_sgpr_workgroup_id_y 0
		.amdhsa_system_sgpr_workgroup_id_z 0
		.amdhsa_system_sgpr_workgroup_info 0
		.amdhsa_system_vgpr_workitem_id 0
		.amdhsa_next_free_vgpr 1
		.amdhsa_next_free_sgpr 1
		.amdhsa_named_barrier_count 0
		.amdhsa_reserve_vcc 0
		.amdhsa_float_round_mode_32 0
		.amdhsa_float_round_mode_16_64 0
		.amdhsa_float_denorm_mode_32 3
		.amdhsa_float_denorm_mode_16_64 3
		.amdhsa_fp16_overflow 0
		.amdhsa_memory_ordered 1
		.amdhsa_forward_progress 1
		.amdhsa_inst_pref_size 0
		.amdhsa_round_robin_scheduling 0
		.amdhsa_exception_fp_ieee_invalid_op 0
		.amdhsa_exception_fp_denorm_src 0
		.amdhsa_exception_fp_ieee_div_zero 0
		.amdhsa_exception_fp_ieee_overflow 0
		.amdhsa_exception_fp_ieee_underflow 0
		.amdhsa_exception_fp_ieee_inexact 0
		.amdhsa_exception_int_div_zero 0
	.end_amdhsa_kernel
	.section	.text._ZN7rocprim17ROCPRIM_400000_NS6detail17trampoline_kernelINS0_14default_configENS1_38merge_sort_block_merge_config_selectorI6__halfNS0_10empty_typeEEEZZNS1_27merge_sort_block_merge_implIS3_PS5_PS6_jNS1_19radix_merge_compareILb0ELb0ES5_NS0_19identity_decomposerEEEEE10hipError_tT0_T1_T2_jT3_P12ihipStream_tbPNSt15iterator_traitsISF_E10value_typeEPNSL_ISG_E10value_typeEPSH_NS1_7vsmem_tEENKUlT_SF_SG_SH_E_clIS9_S9_SA_SA_EESE_SU_SF_SG_SH_EUlSU_E0_NS1_11comp_targetILNS1_3genE4ELNS1_11target_archE910ELNS1_3gpuE8ELNS1_3repE0EEENS1_38merge_mergepath_config_static_selectorELNS0_4arch9wavefront6targetE0EEEvSG_,"axG",@progbits,_ZN7rocprim17ROCPRIM_400000_NS6detail17trampoline_kernelINS0_14default_configENS1_38merge_sort_block_merge_config_selectorI6__halfNS0_10empty_typeEEEZZNS1_27merge_sort_block_merge_implIS3_PS5_PS6_jNS1_19radix_merge_compareILb0ELb0ES5_NS0_19identity_decomposerEEEEE10hipError_tT0_T1_T2_jT3_P12ihipStream_tbPNSt15iterator_traitsISF_E10value_typeEPNSL_ISG_E10value_typeEPSH_NS1_7vsmem_tEENKUlT_SF_SG_SH_E_clIS9_S9_SA_SA_EESE_SU_SF_SG_SH_EUlSU_E0_NS1_11comp_targetILNS1_3genE4ELNS1_11target_archE910ELNS1_3gpuE8ELNS1_3repE0EEENS1_38merge_mergepath_config_static_selectorELNS0_4arch9wavefront6targetE0EEEvSG_,comdat
.Lfunc_end2219:
	.size	_ZN7rocprim17ROCPRIM_400000_NS6detail17trampoline_kernelINS0_14default_configENS1_38merge_sort_block_merge_config_selectorI6__halfNS0_10empty_typeEEEZZNS1_27merge_sort_block_merge_implIS3_PS5_PS6_jNS1_19radix_merge_compareILb0ELb0ES5_NS0_19identity_decomposerEEEEE10hipError_tT0_T1_T2_jT3_P12ihipStream_tbPNSt15iterator_traitsISF_E10value_typeEPNSL_ISG_E10value_typeEPSH_NS1_7vsmem_tEENKUlT_SF_SG_SH_E_clIS9_S9_SA_SA_EESE_SU_SF_SG_SH_EUlSU_E0_NS1_11comp_targetILNS1_3genE4ELNS1_11target_archE910ELNS1_3gpuE8ELNS1_3repE0EEENS1_38merge_mergepath_config_static_selectorELNS0_4arch9wavefront6targetE0EEEvSG_, .Lfunc_end2219-_ZN7rocprim17ROCPRIM_400000_NS6detail17trampoline_kernelINS0_14default_configENS1_38merge_sort_block_merge_config_selectorI6__halfNS0_10empty_typeEEEZZNS1_27merge_sort_block_merge_implIS3_PS5_PS6_jNS1_19radix_merge_compareILb0ELb0ES5_NS0_19identity_decomposerEEEEE10hipError_tT0_T1_T2_jT3_P12ihipStream_tbPNSt15iterator_traitsISF_E10value_typeEPNSL_ISG_E10value_typeEPSH_NS1_7vsmem_tEENKUlT_SF_SG_SH_E_clIS9_S9_SA_SA_EESE_SU_SF_SG_SH_EUlSU_E0_NS1_11comp_targetILNS1_3genE4ELNS1_11target_archE910ELNS1_3gpuE8ELNS1_3repE0EEENS1_38merge_mergepath_config_static_selectorELNS0_4arch9wavefront6targetE0EEEvSG_
                                        ; -- End function
	.set _ZN7rocprim17ROCPRIM_400000_NS6detail17trampoline_kernelINS0_14default_configENS1_38merge_sort_block_merge_config_selectorI6__halfNS0_10empty_typeEEEZZNS1_27merge_sort_block_merge_implIS3_PS5_PS6_jNS1_19radix_merge_compareILb0ELb0ES5_NS0_19identity_decomposerEEEEE10hipError_tT0_T1_T2_jT3_P12ihipStream_tbPNSt15iterator_traitsISF_E10value_typeEPNSL_ISG_E10value_typeEPSH_NS1_7vsmem_tEENKUlT_SF_SG_SH_E_clIS9_S9_SA_SA_EESE_SU_SF_SG_SH_EUlSU_E0_NS1_11comp_targetILNS1_3genE4ELNS1_11target_archE910ELNS1_3gpuE8ELNS1_3repE0EEENS1_38merge_mergepath_config_static_selectorELNS0_4arch9wavefront6targetE0EEEvSG_.num_vgpr, 0
	.set _ZN7rocprim17ROCPRIM_400000_NS6detail17trampoline_kernelINS0_14default_configENS1_38merge_sort_block_merge_config_selectorI6__halfNS0_10empty_typeEEEZZNS1_27merge_sort_block_merge_implIS3_PS5_PS6_jNS1_19radix_merge_compareILb0ELb0ES5_NS0_19identity_decomposerEEEEE10hipError_tT0_T1_T2_jT3_P12ihipStream_tbPNSt15iterator_traitsISF_E10value_typeEPNSL_ISG_E10value_typeEPSH_NS1_7vsmem_tEENKUlT_SF_SG_SH_E_clIS9_S9_SA_SA_EESE_SU_SF_SG_SH_EUlSU_E0_NS1_11comp_targetILNS1_3genE4ELNS1_11target_archE910ELNS1_3gpuE8ELNS1_3repE0EEENS1_38merge_mergepath_config_static_selectorELNS0_4arch9wavefront6targetE0EEEvSG_.num_agpr, 0
	.set _ZN7rocprim17ROCPRIM_400000_NS6detail17trampoline_kernelINS0_14default_configENS1_38merge_sort_block_merge_config_selectorI6__halfNS0_10empty_typeEEEZZNS1_27merge_sort_block_merge_implIS3_PS5_PS6_jNS1_19radix_merge_compareILb0ELb0ES5_NS0_19identity_decomposerEEEEE10hipError_tT0_T1_T2_jT3_P12ihipStream_tbPNSt15iterator_traitsISF_E10value_typeEPNSL_ISG_E10value_typeEPSH_NS1_7vsmem_tEENKUlT_SF_SG_SH_E_clIS9_S9_SA_SA_EESE_SU_SF_SG_SH_EUlSU_E0_NS1_11comp_targetILNS1_3genE4ELNS1_11target_archE910ELNS1_3gpuE8ELNS1_3repE0EEENS1_38merge_mergepath_config_static_selectorELNS0_4arch9wavefront6targetE0EEEvSG_.numbered_sgpr, 0
	.set _ZN7rocprim17ROCPRIM_400000_NS6detail17trampoline_kernelINS0_14default_configENS1_38merge_sort_block_merge_config_selectorI6__halfNS0_10empty_typeEEEZZNS1_27merge_sort_block_merge_implIS3_PS5_PS6_jNS1_19radix_merge_compareILb0ELb0ES5_NS0_19identity_decomposerEEEEE10hipError_tT0_T1_T2_jT3_P12ihipStream_tbPNSt15iterator_traitsISF_E10value_typeEPNSL_ISG_E10value_typeEPSH_NS1_7vsmem_tEENKUlT_SF_SG_SH_E_clIS9_S9_SA_SA_EESE_SU_SF_SG_SH_EUlSU_E0_NS1_11comp_targetILNS1_3genE4ELNS1_11target_archE910ELNS1_3gpuE8ELNS1_3repE0EEENS1_38merge_mergepath_config_static_selectorELNS0_4arch9wavefront6targetE0EEEvSG_.num_named_barrier, 0
	.set _ZN7rocprim17ROCPRIM_400000_NS6detail17trampoline_kernelINS0_14default_configENS1_38merge_sort_block_merge_config_selectorI6__halfNS0_10empty_typeEEEZZNS1_27merge_sort_block_merge_implIS3_PS5_PS6_jNS1_19radix_merge_compareILb0ELb0ES5_NS0_19identity_decomposerEEEEE10hipError_tT0_T1_T2_jT3_P12ihipStream_tbPNSt15iterator_traitsISF_E10value_typeEPNSL_ISG_E10value_typeEPSH_NS1_7vsmem_tEENKUlT_SF_SG_SH_E_clIS9_S9_SA_SA_EESE_SU_SF_SG_SH_EUlSU_E0_NS1_11comp_targetILNS1_3genE4ELNS1_11target_archE910ELNS1_3gpuE8ELNS1_3repE0EEENS1_38merge_mergepath_config_static_selectorELNS0_4arch9wavefront6targetE0EEEvSG_.private_seg_size, 0
	.set _ZN7rocprim17ROCPRIM_400000_NS6detail17trampoline_kernelINS0_14default_configENS1_38merge_sort_block_merge_config_selectorI6__halfNS0_10empty_typeEEEZZNS1_27merge_sort_block_merge_implIS3_PS5_PS6_jNS1_19radix_merge_compareILb0ELb0ES5_NS0_19identity_decomposerEEEEE10hipError_tT0_T1_T2_jT3_P12ihipStream_tbPNSt15iterator_traitsISF_E10value_typeEPNSL_ISG_E10value_typeEPSH_NS1_7vsmem_tEENKUlT_SF_SG_SH_E_clIS9_S9_SA_SA_EESE_SU_SF_SG_SH_EUlSU_E0_NS1_11comp_targetILNS1_3genE4ELNS1_11target_archE910ELNS1_3gpuE8ELNS1_3repE0EEENS1_38merge_mergepath_config_static_selectorELNS0_4arch9wavefront6targetE0EEEvSG_.uses_vcc, 0
	.set _ZN7rocprim17ROCPRIM_400000_NS6detail17trampoline_kernelINS0_14default_configENS1_38merge_sort_block_merge_config_selectorI6__halfNS0_10empty_typeEEEZZNS1_27merge_sort_block_merge_implIS3_PS5_PS6_jNS1_19radix_merge_compareILb0ELb0ES5_NS0_19identity_decomposerEEEEE10hipError_tT0_T1_T2_jT3_P12ihipStream_tbPNSt15iterator_traitsISF_E10value_typeEPNSL_ISG_E10value_typeEPSH_NS1_7vsmem_tEENKUlT_SF_SG_SH_E_clIS9_S9_SA_SA_EESE_SU_SF_SG_SH_EUlSU_E0_NS1_11comp_targetILNS1_3genE4ELNS1_11target_archE910ELNS1_3gpuE8ELNS1_3repE0EEENS1_38merge_mergepath_config_static_selectorELNS0_4arch9wavefront6targetE0EEEvSG_.uses_flat_scratch, 0
	.set _ZN7rocprim17ROCPRIM_400000_NS6detail17trampoline_kernelINS0_14default_configENS1_38merge_sort_block_merge_config_selectorI6__halfNS0_10empty_typeEEEZZNS1_27merge_sort_block_merge_implIS3_PS5_PS6_jNS1_19radix_merge_compareILb0ELb0ES5_NS0_19identity_decomposerEEEEE10hipError_tT0_T1_T2_jT3_P12ihipStream_tbPNSt15iterator_traitsISF_E10value_typeEPNSL_ISG_E10value_typeEPSH_NS1_7vsmem_tEENKUlT_SF_SG_SH_E_clIS9_S9_SA_SA_EESE_SU_SF_SG_SH_EUlSU_E0_NS1_11comp_targetILNS1_3genE4ELNS1_11target_archE910ELNS1_3gpuE8ELNS1_3repE0EEENS1_38merge_mergepath_config_static_selectorELNS0_4arch9wavefront6targetE0EEEvSG_.has_dyn_sized_stack, 0
	.set _ZN7rocprim17ROCPRIM_400000_NS6detail17trampoline_kernelINS0_14default_configENS1_38merge_sort_block_merge_config_selectorI6__halfNS0_10empty_typeEEEZZNS1_27merge_sort_block_merge_implIS3_PS5_PS6_jNS1_19radix_merge_compareILb0ELb0ES5_NS0_19identity_decomposerEEEEE10hipError_tT0_T1_T2_jT3_P12ihipStream_tbPNSt15iterator_traitsISF_E10value_typeEPNSL_ISG_E10value_typeEPSH_NS1_7vsmem_tEENKUlT_SF_SG_SH_E_clIS9_S9_SA_SA_EESE_SU_SF_SG_SH_EUlSU_E0_NS1_11comp_targetILNS1_3genE4ELNS1_11target_archE910ELNS1_3gpuE8ELNS1_3repE0EEENS1_38merge_mergepath_config_static_selectorELNS0_4arch9wavefront6targetE0EEEvSG_.has_recursion, 0
	.set _ZN7rocprim17ROCPRIM_400000_NS6detail17trampoline_kernelINS0_14default_configENS1_38merge_sort_block_merge_config_selectorI6__halfNS0_10empty_typeEEEZZNS1_27merge_sort_block_merge_implIS3_PS5_PS6_jNS1_19radix_merge_compareILb0ELb0ES5_NS0_19identity_decomposerEEEEE10hipError_tT0_T1_T2_jT3_P12ihipStream_tbPNSt15iterator_traitsISF_E10value_typeEPNSL_ISG_E10value_typeEPSH_NS1_7vsmem_tEENKUlT_SF_SG_SH_E_clIS9_S9_SA_SA_EESE_SU_SF_SG_SH_EUlSU_E0_NS1_11comp_targetILNS1_3genE4ELNS1_11target_archE910ELNS1_3gpuE8ELNS1_3repE0EEENS1_38merge_mergepath_config_static_selectorELNS0_4arch9wavefront6targetE0EEEvSG_.has_indirect_call, 0
	.section	.AMDGPU.csdata,"",@progbits
; Kernel info:
; codeLenInByte = 0
; TotalNumSgprs: 0
; NumVgprs: 0
; ScratchSize: 0
; MemoryBound: 0
; FloatMode: 240
; IeeeMode: 1
; LDSByteSize: 0 bytes/workgroup (compile time only)
; SGPRBlocks: 0
; VGPRBlocks: 0
; NumSGPRsForWavesPerEU: 1
; NumVGPRsForWavesPerEU: 1
; NamedBarCnt: 0
; Occupancy: 16
; WaveLimiterHint : 0
; COMPUTE_PGM_RSRC2:SCRATCH_EN: 0
; COMPUTE_PGM_RSRC2:USER_SGPR: 2
; COMPUTE_PGM_RSRC2:TRAP_HANDLER: 0
; COMPUTE_PGM_RSRC2:TGID_X_EN: 1
; COMPUTE_PGM_RSRC2:TGID_Y_EN: 0
; COMPUTE_PGM_RSRC2:TGID_Z_EN: 0
; COMPUTE_PGM_RSRC2:TIDIG_COMP_CNT: 0
	.section	.text._ZN7rocprim17ROCPRIM_400000_NS6detail17trampoline_kernelINS0_14default_configENS1_38merge_sort_block_merge_config_selectorI6__halfNS0_10empty_typeEEEZZNS1_27merge_sort_block_merge_implIS3_PS5_PS6_jNS1_19radix_merge_compareILb0ELb0ES5_NS0_19identity_decomposerEEEEE10hipError_tT0_T1_T2_jT3_P12ihipStream_tbPNSt15iterator_traitsISF_E10value_typeEPNSL_ISG_E10value_typeEPSH_NS1_7vsmem_tEENKUlT_SF_SG_SH_E_clIS9_S9_SA_SA_EESE_SU_SF_SG_SH_EUlSU_E0_NS1_11comp_targetILNS1_3genE3ELNS1_11target_archE908ELNS1_3gpuE7ELNS1_3repE0EEENS1_38merge_mergepath_config_static_selectorELNS0_4arch9wavefront6targetE0EEEvSG_,"axG",@progbits,_ZN7rocprim17ROCPRIM_400000_NS6detail17trampoline_kernelINS0_14default_configENS1_38merge_sort_block_merge_config_selectorI6__halfNS0_10empty_typeEEEZZNS1_27merge_sort_block_merge_implIS3_PS5_PS6_jNS1_19radix_merge_compareILb0ELb0ES5_NS0_19identity_decomposerEEEEE10hipError_tT0_T1_T2_jT3_P12ihipStream_tbPNSt15iterator_traitsISF_E10value_typeEPNSL_ISG_E10value_typeEPSH_NS1_7vsmem_tEENKUlT_SF_SG_SH_E_clIS9_S9_SA_SA_EESE_SU_SF_SG_SH_EUlSU_E0_NS1_11comp_targetILNS1_3genE3ELNS1_11target_archE908ELNS1_3gpuE7ELNS1_3repE0EEENS1_38merge_mergepath_config_static_selectorELNS0_4arch9wavefront6targetE0EEEvSG_,comdat
	.protected	_ZN7rocprim17ROCPRIM_400000_NS6detail17trampoline_kernelINS0_14default_configENS1_38merge_sort_block_merge_config_selectorI6__halfNS0_10empty_typeEEEZZNS1_27merge_sort_block_merge_implIS3_PS5_PS6_jNS1_19radix_merge_compareILb0ELb0ES5_NS0_19identity_decomposerEEEEE10hipError_tT0_T1_T2_jT3_P12ihipStream_tbPNSt15iterator_traitsISF_E10value_typeEPNSL_ISG_E10value_typeEPSH_NS1_7vsmem_tEENKUlT_SF_SG_SH_E_clIS9_S9_SA_SA_EESE_SU_SF_SG_SH_EUlSU_E0_NS1_11comp_targetILNS1_3genE3ELNS1_11target_archE908ELNS1_3gpuE7ELNS1_3repE0EEENS1_38merge_mergepath_config_static_selectorELNS0_4arch9wavefront6targetE0EEEvSG_ ; -- Begin function _ZN7rocprim17ROCPRIM_400000_NS6detail17trampoline_kernelINS0_14default_configENS1_38merge_sort_block_merge_config_selectorI6__halfNS0_10empty_typeEEEZZNS1_27merge_sort_block_merge_implIS3_PS5_PS6_jNS1_19radix_merge_compareILb0ELb0ES5_NS0_19identity_decomposerEEEEE10hipError_tT0_T1_T2_jT3_P12ihipStream_tbPNSt15iterator_traitsISF_E10value_typeEPNSL_ISG_E10value_typeEPSH_NS1_7vsmem_tEENKUlT_SF_SG_SH_E_clIS9_S9_SA_SA_EESE_SU_SF_SG_SH_EUlSU_E0_NS1_11comp_targetILNS1_3genE3ELNS1_11target_archE908ELNS1_3gpuE7ELNS1_3repE0EEENS1_38merge_mergepath_config_static_selectorELNS0_4arch9wavefront6targetE0EEEvSG_
	.globl	_ZN7rocprim17ROCPRIM_400000_NS6detail17trampoline_kernelINS0_14default_configENS1_38merge_sort_block_merge_config_selectorI6__halfNS0_10empty_typeEEEZZNS1_27merge_sort_block_merge_implIS3_PS5_PS6_jNS1_19radix_merge_compareILb0ELb0ES5_NS0_19identity_decomposerEEEEE10hipError_tT0_T1_T2_jT3_P12ihipStream_tbPNSt15iterator_traitsISF_E10value_typeEPNSL_ISG_E10value_typeEPSH_NS1_7vsmem_tEENKUlT_SF_SG_SH_E_clIS9_S9_SA_SA_EESE_SU_SF_SG_SH_EUlSU_E0_NS1_11comp_targetILNS1_3genE3ELNS1_11target_archE908ELNS1_3gpuE7ELNS1_3repE0EEENS1_38merge_mergepath_config_static_selectorELNS0_4arch9wavefront6targetE0EEEvSG_
	.p2align	8
	.type	_ZN7rocprim17ROCPRIM_400000_NS6detail17trampoline_kernelINS0_14default_configENS1_38merge_sort_block_merge_config_selectorI6__halfNS0_10empty_typeEEEZZNS1_27merge_sort_block_merge_implIS3_PS5_PS6_jNS1_19radix_merge_compareILb0ELb0ES5_NS0_19identity_decomposerEEEEE10hipError_tT0_T1_T2_jT3_P12ihipStream_tbPNSt15iterator_traitsISF_E10value_typeEPNSL_ISG_E10value_typeEPSH_NS1_7vsmem_tEENKUlT_SF_SG_SH_E_clIS9_S9_SA_SA_EESE_SU_SF_SG_SH_EUlSU_E0_NS1_11comp_targetILNS1_3genE3ELNS1_11target_archE908ELNS1_3gpuE7ELNS1_3repE0EEENS1_38merge_mergepath_config_static_selectorELNS0_4arch9wavefront6targetE0EEEvSG_,@function
_ZN7rocprim17ROCPRIM_400000_NS6detail17trampoline_kernelINS0_14default_configENS1_38merge_sort_block_merge_config_selectorI6__halfNS0_10empty_typeEEEZZNS1_27merge_sort_block_merge_implIS3_PS5_PS6_jNS1_19radix_merge_compareILb0ELb0ES5_NS0_19identity_decomposerEEEEE10hipError_tT0_T1_T2_jT3_P12ihipStream_tbPNSt15iterator_traitsISF_E10value_typeEPNSL_ISG_E10value_typeEPSH_NS1_7vsmem_tEENKUlT_SF_SG_SH_E_clIS9_S9_SA_SA_EESE_SU_SF_SG_SH_EUlSU_E0_NS1_11comp_targetILNS1_3genE3ELNS1_11target_archE908ELNS1_3gpuE7ELNS1_3repE0EEENS1_38merge_mergepath_config_static_selectorELNS0_4arch9wavefront6targetE0EEEvSG_: ; @_ZN7rocprim17ROCPRIM_400000_NS6detail17trampoline_kernelINS0_14default_configENS1_38merge_sort_block_merge_config_selectorI6__halfNS0_10empty_typeEEEZZNS1_27merge_sort_block_merge_implIS3_PS5_PS6_jNS1_19radix_merge_compareILb0ELb0ES5_NS0_19identity_decomposerEEEEE10hipError_tT0_T1_T2_jT3_P12ihipStream_tbPNSt15iterator_traitsISF_E10value_typeEPNSL_ISG_E10value_typeEPSH_NS1_7vsmem_tEENKUlT_SF_SG_SH_E_clIS9_S9_SA_SA_EESE_SU_SF_SG_SH_EUlSU_E0_NS1_11comp_targetILNS1_3genE3ELNS1_11target_archE908ELNS1_3gpuE7ELNS1_3repE0EEENS1_38merge_mergepath_config_static_selectorELNS0_4arch9wavefront6targetE0EEEvSG_
; %bb.0:
	.section	.rodata,"a",@progbits
	.p2align	6, 0x0
	.amdhsa_kernel _ZN7rocprim17ROCPRIM_400000_NS6detail17trampoline_kernelINS0_14default_configENS1_38merge_sort_block_merge_config_selectorI6__halfNS0_10empty_typeEEEZZNS1_27merge_sort_block_merge_implIS3_PS5_PS6_jNS1_19radix_merge_compareILb0ELb0ES5_NS0_19identity_decomposerEEEEE10hipError_tT0_T1_T2_jT3_P12ihipStream_tbPNSt15iterator_traitsISF_E10value_typeEPNSL_ISG_E10value_typeEPSH_NS1_7vsmem_tEENKUlT_SF_SG_SH_E_clIS9_S9_SA_SA_EESE_SU_SF_SG_SH_EUlSU_E0_NS1_11comp_targetILNS1_3genE3ELNS1_11target_archE908ELNS1_3gpuE7ELNS1_3repE0EEENS1_38merge_mergepath_config_static_selectorELNS0_4arch9wavefront6targetE0EEEvSG_
		.amdhsa_group_segment_fixed_size 0
		.amdhsa_private_segment_fixed_size 0
		.amdhsa_kernarg_size 64
		.amdhsa_user_sgpr_count 2
		.amdhsa_user_sgpr_dispatch_ptr 0
		.amdhsa_user_sgpr_queue_ptr 0
		.amdhsa_user_sgpr_kernarg_segment_ptr 1
		.amdhsa_user_sgpr_dispatch_id 0
		.amdhsa_user_sgpr_kernarg_preload_length 0
		.amdhsa_user_sgpr_kernarg_preload_offset 0
		.amdhsa_user_sgpr_private_segment_size 0
		.amdhsa_wavefront_size32 1
		.amdhsa_uses_dynamic_stack 0
		.amdhsa_enable_private_segment 0
		.amdhsa_system_sgpr_workgroup_id_x 1
		.amdhsa_system_sgpr_workgroup_id_y 0
		.amdhsa_system_sgpr_workgroup_id_z 0
		.amdhsa_system_sgpr_workgroup_info 0
		.amdhsa_system_vgpr_workitem_id 0
		.amdhsa_next_free_vgpr 1
		.amdhsa_next_free_sgpr 1
		.amdhsa_named_barrier_count 0
		.amdhsa_reserve_vcc 0
		.amdhsa_float_round_mode_32 0
		.amdhsa_float_round_mode_16_64 0
		.amdhsa_float_denorm_mode_32 3
		.amdhsa_float_denorm_mode_16_64 3
		.amdhsa_fp16_overflow 0
		.amdhsa_memory_ordered 1
		.amdhsa_forward_progress 1
		.amdhsa_inst_pref_size 0
		.amdhsa_round_robin_scheduling 0
		.amdhsa_exception_fp_ieee_invalid_op 0
		.amdhsa_exception_fp_denorm_src 0
		.amdhsa_exception_fp_ieee_div_zero 0
		.amdhsa_exception_fp_ieee_overflow 0
		.amdhsa_exception_fp_ieee_underflow 0
		.amdhsa_exception_fp_ieee_inexact 0
		.amdhsa_exception_int_div_zero 0
	.end_amdhsa_kernel
	.section	.text._ZN7rocprim17ROCPRIM_400000_NS6detail17trampoline_kernelINS0_14default_configENS1_38merge_sort_block_merge_config_selectorI6__halfNS0_10empty_typeEEEZZNS1_27merge_sort_block_merge_implIS3_PS5_PS6_jNS1_19radix_merge_compareILb0ELb0ES5_NS0_19identity_decomposerEEEEE10hipError_tT0_T1_T2_jT3_P12ihipStream_tbPNSt15iterator_traitsISF_E10value_typeEPNSL_ISG_E10value_typeEPSH_NS1_7vsmem_tEENKUlT_SF_SG_SH_E_clIS9_S9_SA_SA_EESE_SU_SF_SG_SH_EUlSU_E0_NS1_11comp_targetILNS1_3genE3ELNS1_11target_archE908ELNS1_3gpuE7ELNS1_3repE0EEENS1_38merge_mergepath_config_static_selectorELNS0_4arch9wavefront6targetE0EEEvSG_,"axG",@progbits,_ZN7rocprim17ROCPRIM_400000_NS6detail17trampoline_kernelINS0_14default_configENS1_38merge_sort_block_merge_config_selectorI6__halfNS0_10empty_typeEEEZZNS1_27merge_sort_block_merge_implIS3_PS5_PS6_jNS1_19radix_merge_compareILb0ELb0ES5_NS0_19identity_decomposerEEEEE10hipError_tT0_T1_T2_jT3_P12ihipStream_tbPNSt15iterator_traitsISF_E10value_typeEPNSL_ISG_E10value_typeEPSH_NS1_7vsmem_tEENKUlT_SF_SG_SH_E_clIS9_S9_SA_SA_EESE_SU_SF_SG_SH_EUlSU_E0_NS1_11comp_targetILNS1_3genE3ELNS1_11target_archE908ELNS1_3gpuE7ELNS1_3repE0EEENS1_38merge_mergepath_config_static_selectorELNS0_4arch9wavefront6targetE0EEEvSG_,comdat
.Lfunc_end2220:
	.size	_ZN7rocprim17ROCPRIM_400000_NS6detail17trampoline_kernelINS0_14default_configENS1_38merge_sort_block_merge_config_selectorI6__halfNS0_10empty_typeEEEZZNS1_27merge_sort_block_merge_implIS3_PS5_PS6_jNS1_19radix_merge_compareILb0ELb0ES5_NS0_19identity_decomposerEEEEE10hipError_tT0_T1_T2_jT3_P12ihipStream_tbPNSt15iterator_traitsISF_E10value_typeEPNSL_ISG_E10value_typeEPSH_NS1_7vsmem_tEENKUlT_SF_SG_SH_E_clIS9_S9_SA_SA_EESE_SU_SF_SG_SH_EUlSU_E0_NS1_11comp_targetILNS1_3genE3ELNS1_11target_archE908ELNS1_3gpuE7ELNS1_3repE0EEENS1_38merge_mergepath_config_static_selectorELNS0_4arch9wavefront6targetE0EEEvSG_, .Lfunc_end2220-_ZN7rocprim17ROCPRIM_400000_NS6detail17trampoline_kernelINS0_14default_configENS1_38merge_sort_block_merge_config_selectorI6__halfNS0_10empty_typeEEEZZNS1_27merge_sort_block_merge_implIS3_PS5_PS6_jNS1_19radix_merge_compareILb0ELb0ES5_NS0_19identity_decomposerEEEEE10hipError_tT0_T1_T2_jT3_P12ihipStream_tbPNSt15iterator_traitsISF_E10value_typeEPNSL_ISG_E10value_typeEPSH_NS1_7vsmem_tEENKUlT_SF_SG_SH_E_clIS9_S9_SA_SA_EESE_SU_SF_SG_SH_EUlSU_E0_NS1_11comp_targetILNS1_3genE3ELNS1_11target_archE908ELNS1_3gpuE7ELNS1_3repE0EEENS1_38merge_mergepath_config_static_selectorELNS0_4arch9wavefront6targetE0EEEvSG_
                                        ; -- End function
	.set _ZN7rocprim17ROCPRIM_400000_NS6detail17trampoline_kernelINS0_14default_configENS1_38merge_sort_block_merge_config_selectorI6__halfNS0_10empty_typeEEEZZNS1_27merge_sort_block_merge_implIS3_PS5_PS6_jNS1_19radix_merge_compareILb0ELb0ES5_NS0_19identity_decomposerEEEEE10hipError_tT0_T1_T2_jT3_P12ihipStream_tbPNSt15iterator_traitsISF_E10value_typeEPNSL_ISG_E10value_typeEPSH_NS1_7vsmem_tEENKUlT_SF_SG_SH_E_clIS9_S9_SA_SA_EESE_SU_SF_SG_SH_EUlSU_E0_NS1_11comp_targetILNS1_3genE3ELNS1_11target_archE908ELNS1_3gpuE7ELNS1_3repE0EEENS1_38merge_mergepath_config_static_selectorELNS0_4arch9wavefront6targetE0EEEvSG_.num_vgpr, 0
	.set _ZN7rocprim17ROCPRIM_400000_NS6detail17trampoline_kernelINS0_14default_configENS1_38merge_sort_block_merge_config_selectorI6__halfNS0_10empty_typeEEEZZNS1_27merge_sort_block_merge_implIS3_PS5_PS6_jNS1_19radix_merge_compareILb0ELb0ES5_NS0_19identity_decomposerEEEEE10hipError_tT0_T1_T2_jT3_P12ihipStream_tbPNSt15iterator_traitsISF_E10value_typeEPNSL_ISG_E10value_typeEPSH_NS1_7vsmem_tEENKUlT_SF_SG_SH_E_clIS9_S9_SA_SA_EESE_SU_SF_SG_SH_EUlSU_E0_NS1_11comp_targetILNS1_3genE3ELNS1_11target_archE908ELNS1_3gpuE7ELNS1_3repE0EEENS1_38merge_mergepath_config_static_selectorELNS0_4arch9wavefront6targetE0EEEvSG_.num_agpr, 0
	.set _ZN7rocprim17ROCPRIM_400000_NS6detail17trampoline_kernelINS0_14default_configENS1_38merge_sort_block_merge_config_selectorI6__halfNS0_10empty_typeEEEZZNS1_27merge_sort_block_merge_implIS3_PS5_PS6_jNS1_19radix_merge_compareILb0ELb0ES5_NS0_19identity_decomposerEEEEE10hipError_tT0_T1_T2_jT3_P12ihipStream_tbPNSt15iterator_traitsISF_E10value_typeEPNSL_ISG_E10value_typeEPSH_NS1_7vsmem_tEENKUlT_SF_SG_SH_E_clIS9_S9_SA_SA_EESE_SU_SF_SG_SH_EUlSU_E0_NS1_11comp_targetILNS1_3genE3ELNS1_11target_archE908ELNS1_3gpuE7ELNS1_3repE0EEENS1_38merge_mergepath_config_static_selectorELNS0_4arch9wavefront6targetE0EEEvSG_.numbered_sgpr, 0
	.set _ZN7rocprim17ROCPRIM_400000_NS6detail17trampoline_kernelINS0_14default_configENS1_38merge_sort_block_merge_config_selectorI6__halfNS0_10empty_typeEEEZZNS1_27merge_sort_block_merge_implIS3_PS5_PS6_jNS1_19radix_merge_compareILb0ELb0ES5_NS0_19identity_decomposerEEEEE10hipError_tT0_T1_T2_jT3_P12ihipStream_tbPNSt15iterator_traitsISF_E10value_typeEPNSL_ISG_E10value_typeEPSH_NS1_7vsmem_tEENKUlT_SF_SG_SH_E_clIS9_S9_SA_SA_EESE_SU_SF_SG_SH_EUlSU_E0_NS1_11comp_targetILNS1_3genE3ELNS1_11target_archE908ELNS1_3gpuE7ELNS1_3repE0EEENS1_38merge_mergepath_config_static_selectorELNS0_4arch9wavefront6targetE0EEEvSG_.num_named_barrier, 0
	.set _ZN7rocprim17ROCPRIM_400000_NS6detail17trampoline_kernelINS0_14default_configENS1_38merge_sort_block_merge_config_selectorI6__halfNS0_10empty_typeEEEZZNS1_27merge_sort_block_merge_implIS3_PS5_PS6_jNS1_19radix_merge_compareILb0ELb0ES5_NS0_19identity_decomposerEEEEE10hipError_tT0_T1_T2_jT3_P12ihipStream_tbPNSt15iterator_traitsISF_E10value_typeEPNSL_ISG_E10value_typeEPSH_NS1_7vsmem_tEENKUlT_SF_SG_SH_E_clIS9_S9_SA_SA_EESE_SU_SF_SG_SH_EUlSU_E0_NS1_11comp_targetILNS1_3genE3ELNS1_11target_archE908ELNS1_3gpuE7ELNS1_3repE0EEENS1_38merge_mergepath_config_static_selectorELNS0_4arch9wavefront6targetE0EEEvSG_.private_seg_size, 0
	.set _ZN7rocprim17ROCPRIM_400000_NS6detail17trampoline_kernelINS0_14default_configENS1_38merge_sort_block_merge_config_selectorI6__halfNS0_10empty_typeEEEZZNS1_27merge_sort_block_merge_implIS3_PS5_PS6_jNS1_19radix_merge_compareILb0ELb0ES5_NS0_19identity_decomposerEEEEE10hipError_tT0_T1_T2_jT3_P12ihipStream_tbPNSt15iterator_traitsISF_E10value_typeEPNSL_ISG_E10value_typeEPSH_NS1_7vsmem_tEENKUlT_SF_SG_SH_E_clIS9_S9_SA_SA_EESE_SU_SF_SG_SH_EUlSU_E0_NS1_11comp_targetILNS1_3genE3ELNS1_11target_archE908ELNS1_3gpuE7ELNS1_3repE0EEENS1_38merge_mergepath_config_static_selectorELNS0_4arch9wavefront6targetE0EEEvSG_.uses_vcc, 0
	.set _ZN7rocprim17ROCPRIM_400000_NS6detail17trampoline_kernelINS0_14default_configENS1_38merge_sort_block_merge_config_selectorI6__halfNS0_10empty_typeEEEZZNS1_27merge_sort_block_merge_implIS3_PS5_PS6_jNS1_19radix_merge_compareILb0ELb0ES5_NS0_19identity_decomposerEEEEE10hipError_tT0_T1_T2_jT3_P12ihipStream_tbPNSt15iterator_traitsISF_E10value_typeEPNSL_ISG_E10value_typeEPSH_NS1_7vsmem_tEENKUlT_SF_SG_SH_E_clIS9_S9_SA_SA_EESE_SU_SF_SG_SH_EUlSU_E0_NS1_11comp_targetILNS1_3genE3ELNS1_11target_archE908ELNS1_3gpuE7ELNS1_3repE0EEENS1_38merge_mergepath_config_static_selectorELNS0_4arch9wavefront6targetE0EEEvSG_.uses_flat_scratch, 0
	.set _ZN7rocprim17ROCPRIM_400000_NS6detail17trampoline_kernelINS0_14default_configENS1_38merge_sort_block_merge_config_selectorI6__halfNS0_10empty_typeEEEZZNS1_27merge_sort_block_merge_implIS3_PS5_PS6_jNS1_19radix_merge_compareILb0ELb0ES5_NS0_19identity_decomposerEEEEE10hipError_tT0_T1_T2_jT3_P12ihipStream_tbPNSt15iterator_traitsISF_E10value_typeEPNSL_ISG_E10value_typeEPSH_NS1_7vsmem_tEENKUlT_SF_SG_SH_E_clIS9_S9_SA_SA_EESE_SU_SF_SG_SH_EUlSU_E0_NS1_11comp_targetILNS1_3genE3ELNS1_11target_archE908ELNS1_3gpuE7ELNS1_3repE0EEENS1_38merge_mergepath_config_static_selectorELNS0_4arch9wavefront6targetE0EEEvSG_.has_dyn_sized_stack, 0
	.set _ZN7rocprim17ROCPRIM_400000_NS6detail17trampoline_kernelINS0_14default_configENS1_38merge_sort_block_merge_config_selectorI6__halfNS0_10empty_typeEEEZZNS1_27merge_sort_block_merge_implIS3_PS5_PS6_jNS1_19radix_merge_compareILb0ELb0ES5_NS0_19identity_decomposerEEEEE10hipError_tT0_T1_T2_jT3_P12ihipStream_tbPNSt15iterator_traitsISF_E10value_typeEPNSL_ISG_E10value_typeEPSH_NS1_7vsmem_tEENKUlT_SF_SG_SH_E_clIS9_S9_SA_SA_EESE_SU_SF_SG_SH_EUlSU_E0_NS1_11comp_targetILNS1_3genE3ELNS1_11target_archE908ELNS1_3gpuE7ELNS1_3repE0EEENS1_38merge_mergepath_config_static_selectorELNS0_4arch9wavefront6targetE0EEEvSG_.has_recursion, 0
	.set _ZN7rocprim17ROCPRIM_400000_NS6detail17trampoline_kernelINS0_14default_configENS1_38merge_sort_block_merge_config_selectorI6__halfNS0_10empty_typeEEEZZNS1_27merge_sort_block_merge_implIS3_PS5_PS6_jNS1_19radix_merge_compareILb0ELb0ES5_NS0_19identity_decomposerEEEEE10hipError_tT0_T1_T2_jT3_P12ihipStream_tbPNSt15iterator_traitsISF_E10value_typeEPNSL_ISG_E10value_typeEPSH_NS1_7vsmem_tEENKUlT_SF_SG_SH_E_clIS9_S9_SA_SA_EESE_SU_SF_SG_SH_EUlSU_E0_NS1_11comp_targetILNS1_3genE3ELNS1_11target_archE908ELNS1_3gpuE7ELNS1_3repE0EEENS1_38merge_mergepath_config_static_selectorELNS0_4arch9wavefront6targetE0EEEvSG_.has_indirect_call, 0
	.section	.AMDGPU.csdata,"",@progbits
; Kernel info:
; codeLenInByte = 0
; TotalNumSgprs: 0
; NumVgprs: 0
; ScratchSize: 0
; MemoryBound: 0
; FloatMode: 240
; IeeeMode: 1
; LDSByteSize: 0 bytes/workgroup (compile time only)
; SGPRBlocks: 0
; VGPRBlocks: 0
; NumSGPRsForWavesPerEU: 1
; NumVGPRsForWavesPerEU: 1
; NamedBarCnt: 0
; Occupancy: 16
; WaveLimiterHint : 0
; COMPUTE_PGM_RSRC2:SCRATCH_EN: 0
; COMPUTE_PGM_RSRC2:USER_SGPR: 2
; COMPUTE_PGM_RSRC2:TRAP_HANDLER: 0
; COMPUTE_PGM_RSRC2:TGID_X_EN: 1
; COMPUTE_PGM_RSRC2:TGID_Y_EN: 0
; COMPUTE_PGM_RSRC2:TGID_Z_EN: 0
; COMPUTE_PGM_RSRC2:TIDIG_COMP_CNT: 0
	.section	.text._ZN7rocprim17ROCPRIM_400000_NS6detail17trampoline_kernelINS0_14default_configENS1_38merge_sort_block_merge_config_selectorI6__halfNS0_10empty_typeEEEZZNS1_27merge_sort_block_merge_implIS3_PS5_PS6_jNS1_19radix_merge_compareILb0ELb0ES5_NS0_19identity_decomposerEEEEE10hipError_tT0_T1_T2_jT3_P12ihipStream_tbPNSt15iterator_traitsISF_E10value_typeEPNSL_ISG_E10value_typeEPSH_NS1_7vsmem_tEENKUlT_SF_SG_SH_E_clIS9_S9_SA_SA_EESE_SU_SF_SG_SH_EUlSU_E0_NS1_11comp_targetILNS1_3genE2ELNS1_11target_archE906ELNS1_3gpuE6ELNS1_3repE0EEENS1_38merge_mergepath_config_static_selectorELNS0_4arch9wavefront6targetE0EEEvSG_,"axG",@progbits,_ZN7rocprim17ROCPRIM_400000_NS6detail17trampoline_kernelINS0_14default_configENS1_38merge_sort_block_merge_config_selectorI6__halfNS0_10empty_typeEEEZZNS1_27merge_sort_block_merge_implIS3_PS5_PS6_jNS1_19radix_merge_compareILb0ELb0ES5_NS0_19identity_decomposerEEEEE10hipError_tT0_T1_T2_jT3_P12ihipStream_tbPNSt15iterator_traitsISF_E10value_typeEPNSL_ISG_E10value_typeEPSH_NS1_7vsmem_tEENKUlT_SF_SG_SH_E_clIS9_S9_SA_SA_EESE_SU_SF_SG_SH_EUlSU_E0_NS1_11comp_targetILNS1_3genE2ELNS1_11target_archE906ELNS1_3gpuE6ELNS1_3repE0EEENS1_38merge_mergepath_config_static_selectorELNS0_4arch9wavefront6targetE0EEEvSG_,comdat
	.protected	_ZN7rocprim17ROCPRIM_400000_NS6detail17trampoline_kernelINS0_14default_configENS1_38merge_sort_block_merge_config_selectorI6__halfNS0_10empty_typeEEEZZNS1_27merge_sort_block_merge_implIS3_PS5_PS6_jNS1_19radix_merge_compareILb0ELb0ES5_NS0_19identity_decomposerEEEEE10hipError_tT0_T1_T2_jT3_P12ihipStream_tbPNSt15iterator_traitsISF_E10value_typeEPNSL_ISG_E10value_typeEPSH_NS1_7vsmem_tEENKUlT_SF_SG_SH_E_clIS9_S9_SA_SA_EESE_SU_SF_SG_SH_EUlSU_E0_NS1_11comp_targetILNS1_3genE2ELNS1_11target_archE906ELNS1_3gpuE6ELNS1_3repE0EEENS1_38merge_mergepath_config_static_selectorELNS0_4arch9wavefront6targetE0EEEvSG_ ; -- Begin function _ZN7rocprim17ROCPRIM_400000_NS6detail17trampoline_kernelINS0_14default_configENS1_38merge_sort_block_merge_config_selectorI6__halfNS0_10empty_typeEEEZZNS1_27merge_sort_block_merge_implIS3_PS5_PS6_jNS1_19radix_merge_compareILb0ELb0ES5_NS0_19identity_decomposerEEEEE10hipError_tT0_T1_T2_jT3_P12ihipStream_tbPNSt15iterator_traitsISF_E10value_typeEPNSL_ISG_E10value_typeEPSH_NS1_7vsmem_tEENKUlT_SF_SG_SH_E_clIS9_S9_SA_SA_EESE_SU_SF_SG_SH_EUlSU_E0_NS1_11comp_targetILNS1_3genE2ELNS1_11target_archE906ELNS1_3gpuE6ELNS1_3repE0EEENS1_38merge_mergepath_config_static_selectorELNS0_4arch9wavefront6targetE0EEEvSG_
	.globl	_ZN7rocprim17ROCPRIM_400000_NS6detail17trampoline_kernelINS0_14default_configENS1_38merge_sort_block_merge_config_selectorI6__halfNS0_10empty_typeEEEZZNS1_27merge_sort_block_merge_implIS3_PS5_PS6_jNS1_19radix_merge_compareILb0ELb0ES5_NS0_19identity_decomposerEEEEE10hipError_tT0_T1_T2_jT3_P12ihipStream_tbPNSt15iterator_traitsISF_E10value_typeEPNSL_ISG_E10value_typeEPSH_NS1_7vsmem_tEENKUlT_SF_SG_SH_E_clIS9_S9_SA_SA_EESE_SU_SF_SG_SH_EUlSU_E0_NS1_11comp_targetILNS1_3genE2ELNS1_11target_archE906ELNS1_3gpuE6ELNS1_3repE0EEENS1_38merge_mergepath_config_static_selectorELNS0_4arch9wavefront6targetE0EEEvSG_
	.p2align	8
	.type	_ZN7rocprim17ROCPRIM_400000_NS6detail17trampoline_kernelINS0_14default_configENS1_38merge_sort_block_merge_config_selectorI6__halfNS0_10empty_typeEEEZZNS1_27merge_sort_block_merge_implIS3_PS5_PS6_jNS1_19radix_merge_compareILb0ELb0ES5_NS0_19identity_decomposerEEEEE10hipError_tT0_T1_T2_jT3_P12ihipStream_tbPNSt15iterator_traitsISF_E10value_typeEPNSL_ISG_E10value_typeEPSH_NS1_7vsmem_tEENKUlT_SF_SG_SH_E_clIS9_S9_SA_SA_EESE_SU_SF_SG_SH_EUlSU_E0_NS1_11comp_targetILNS1_3genE2ELNS1_11target_archE906ELNS1_3gpuE6ELNS1_3repE0EEENS1_38merge_mergepath_config_static_selectorELNS0_4arch9wavefront6targetE0EEEvSG_,@function
_ZN7rocprim17ROCPRIM_400000_NS6detail17trampoline_kernelINS0_14default_configENS1_38merge_sort_block_merge_config_selectorI6__halfNS0_10empty_typeEEEZZNS1_27merge_sort_block_merge_implIS3_PS5_PS6_jNS1_19radix_merge_compareILb0ELb0ES5_NS0_19identity_decomposerEEEEE10hipError_tT0_T1_T2_jT3_P12ihipStream_tbPNSt15iterator_traitsISF_E10value_typeEPNSL_ISG_E10value_typeEPSH_NS1_7vsmem_tEENKUlT_SF_SG_SH_E_clIS9_S9_SA_SA_EESE_SU_SF_SG_SH_EUlSU_E0_NS1_11comp_targetILNS1_3genE2ELNS1_11target_archE906ELNS1_3gpuE6ELNS1_3repE0EEENS1_38merge_mergepath_config_static_selectorELNS0_4arch9wavefront6targetE0EEEvSG_: ; @_ZN7rocprim17ROCPRIM_400000_NS6detail17trampoline_kernelINS0_14default_configENS1_38merge_sort_block_merge_config_selectorI6__halfNS0_10empty_typeEEEZZNS1_27merge_sort_block_merge_implIS3_PS5_PS6_jNS1_19radix_merge_compareILb0ELb0ES5_NS0_19identity_decomposerEEEEE10hipError_tT0_T1_T2_jT3_P12ihipStream_tbPNSt15iterator_traitsISF_E10value_typeEPNSL_ISG_E10value_typeEPSH_NS1_7vsmem_tEENKUlT_SF_SG_SH_E_clIS9_S9_SA_SA_EESE_SU_SF_SG_SH_EUlSU_E0_NS1_11comp_targetILNS1_3genE2ELNS1_11target_archE906ELNS1_3gpuE6ELNS1_3repE0EEENS1_38merge_mergepath_config_static_selectorELNS0_4arch9wavefront6targetE0EEEvSG_
; %bb.0:
	.section	.rodata,"a",@progbits
	.p2align	6, 0x0
	.amdhsa_kernel _ZN7rocprim17ROCPRIM_400000_NS6detail17trampoline_kernelINS0_14default_configENS1_38merge_sort_block_merge_config_selectorI6__halfNS0_10empty_typeEEEZZNS1_27merge_sort_block_merge_implIS3_PS5_PS6_jNS1_19radix_merge_compareILb0ELb0ES5_NS0_19identity_decomposerEEEEE10hipError_tT0_T1_T2_jT3_P12ihipStream_tbPNSt15iterator_traitsISF_E10value_typeEPNSL_ISG_E10value_typeEPSH_NS1_7vsmem_tEENKUlT_SF_SG_SH_E_clIS9_S9_SA_SA_EESE_SU_SF_SG_SH_EUlSU_E0_NS1_11comp_targetILNS1_3genE2ELNS1_11target_archE906ELNS1_3gpuE6ELNS1_3repE0EEENS1_38merge_mergepath_config_static_selectorELNS0_4arch9wavefront6targetE0EEEvSG_
		.amdhsa_group_segment_fixed_size 0
		.amdhsa_private_segment_fixed_size 0
		.amdhsa_kernarg_size 64
		.amdhsa_user_sgpr_count 2
		.amdhsa_user_sgpr_dispatch_ptr 0
		.amdhsa_user_sgpr_queue_ptr 0
		.amdhsa_user_sgpr_kernarg_segment_ptr 1
		.amdhsa_user_sgpr_dispatch_id 0
		.amdhsa_user_sgpr_kernarg_preload_length 0
		.amdhsa_user_sgpr_kernarg_preload_offset 0
		.amdhsa_user_sgpr_private_segment_size 0
		.amdhsa_wavefront_size32 1
		.amdhsa_uses_dynamic_stack 0
		.amdhsa_enable_private_segment 0
		.amdhsa_system_sgpr_workgroup_id_x 1
		.amdhsa_system_sgpr_workgroup_id_y 0
		.amdhsa_system_sgpr_workgroup_id_z 0
		.amdhsa_system_sgpr_workgroup_info 0
		.amdhsa_system_vgpr_workitem_id 0
		.amdhsa_next_free_vgpr 1
		.amdhsa_next_free_sgpr 1
		.amdhsa_named_barrier_count 0
		.amdhsa_reserve_vcc 0
		.amdhsa_float_round_mode_32 0
		.amdhsa_float_round_mode_16_64 0
		.amdhsa_float_denorm_mode_32 3
		.amdhsa_float_denorm_mode_16_64 3
		.amdhsa_fp16_overflow 0
		.amdhsa_memory_ordered 1
		.amdhsa_forward_progress 1
		.amdhsa_inst_pref_size 0
		.amdhsa_round_robin_scheduling 0
		.amdhsa_exception_fp_ieee_invalid_op 0
		.amdhsa_exception_fp_denorm_src 0
		.amdhsa_exception_fp_ieee_div_zero 0
		.amdhsa_exception_fp_ieee_overflow 0
		.amdhsa_exception_fp_ieee_underflow 0
		.amdhsa_exception_fp_ieee_inexact 0
		.amdhsa_exception_int_div_zero 0
	.end_amdhsa_kernel
	.section	.text._ZN7rocprim17ROCPRIM_400000_NS6detail17trampoline_kernelINS0_14default_configENS1_38merge_sort_block_merge_config_selectorI6__halfNS0_10empty_typeEEEZZNS1_27merge_sort_block_merge_implIS3_PS5_PS6_jNS1_19radix_merge_compareILb0ELb0ES5_NS0_19identity_decomposerEEEEE10hipError_tT0_T1_T2_jT3_P12ihipStream_tbPNSt15iterator_traitsISF_E10value_typeEPNSL_ISG_E10value_typeEPSH_NS1_7vsmem_tEENKUlT_SF_SG_SH_E_clIS9_S9_SA_SA_EESE_SU_SF_SG_SH_EUlSU_E0_NS1_11comp_targetILNS1_3genE2ELNS1_11target_archE906ELNS1_3gpuE6ELNS1_3repE0EEENS1_38merge_mergepath_config_static_selectorELNS0_4arch9wavefront6targetE0EEEvSG_,"axG",@progbits,_ZN7rocprim17ROCPRIM_400000_NS6detail17trampoline_kernelINS0_14default_configENS1_38merge_sort_block_merge_config_selectorI6__halfNS0_10empty_typeEEEZZNS1_27merge_sort_block_merge_implIS3_PS5_PS6_jNS1_19radix_merge_compareILb0ELb0ES5_NS0_19identity_decomposerEEEEE10hipError_tT0_T1_T2_jT3_P12ihipStream_tbPNSt15iterator_traitsISF_E10value_typeEPNSL_ISG_E10value_typeEPSH_NS1_7vsmem_tEENKUlT_SF_SG_SH_E_clIS9_S9_SA_SA_EESE_SU_SF_SG_SH_EUlSU_E0_NS1_11comp_targetILNS1_3genE2ELNS1_11target_archE906ELNS1_3gpuE6ELNS1_3repE0EEENS1_38merge_mergepath_config_static_selectorELNS0_4arch9wavefront6targetE0EEEvSG_,comdat
.Lfunc_end2221:
	.size	_ZN7rocprim17ROCPRIM_400000_NS6detail17trampoline_kernelINS0_14default_configENS1_38merge_sort_block_merge_config_selectorI6__halfNS0_10empty_typeEEEZZNS1_27merge_sort_block_merge_implIS3_PS5_PS6_jNS1_19radix_merge_compareILb0ELb0ES5_NS0_19identity_decomposerEEEEE10hipError_tT0_T1_T2_jT3_P12ihipStream_tbPNSt15iterator_traitsISF_E10value_typeEPNSL_ISG_E10value_typeEPSH_NS1_7vsmem_tEENKUlT_SF_SG_SH_E_clIS9_S9_SA_SA_EESE_SU_SF_SG_SH_EUlSU_E0_NS1_11comp_targetILNS1_3genE2ELNS1_11target_archE906ELNS1_3gpuE6ELNS1_3repE0EEENS1_38merge_mergepath_config_static_selectorELNS0_4arch9wavefront6targetE0EEEvSG_, .Lfunc_end2221-_ZN7rocprim17ROCPRIM_400000_NS6detail17trampoline_kernelINS0_14default_configENS1_38merge_sort_block_merge_config_selectorI6__halfNS0_10empty_typeEEEZZNS1_27merge_sort_block_merge_implIS3_PS5_PS6_jNS1_19radix_merge_compareILb0ELb0ES5_NS0_19identity_decomposerEEEEE10hipError_tT0_T1_T2_jT3_P12ihipStream_tbPNSt15iterator_traitsISF_E10value_typeEPNSL_ISG_E10value_typeEPSH_NS1_7vsmem_tEENKUlT_SF_SG_SH_E_clIS9_S9_SA_SA_EESE_SU_SF_SG_SH_EUlSU_E0_NS1_11comp_targetILNS1_3genE2ELNS1_11target_archE906ELNS1_3gpuE6ELNS1_3repE0EEENS1_38merge_mergepath_config_static_selectorELNS0_4arch9wavefront6targetE0EEEvSG_
                                        ; -- End function
	.set _ZN7rocprim17ROCPRIM_400000_NS6detail17trampoline_kernelINS0_14default_configENS1_38merge_sort_block_merge_config_selectorI6__halfNS0_10empty_typeEEEZZNS1_27merge_sort_block_merge_implIS3_PS5_PS6_jNS1_19radix_merge_compareILb0ELb0ES5_NS0_19identity_decomposerEEEEE10hipError_tT0_T1_T2_jT3_P12ihipStream_tbPNSt15iterator_traitsISF_E10value_typeEPNSL_ISG_E10value_typeEPSH_NS1_7vsmem_tEENKUlT_SF_SG_SH_E_clIS9_S9_SA_SA_EESE_SU_SF_SG_SH_EUlSU_E0_NS1_11comp_targetILNS1_3genE2ELNS1_11target_archE906ELNS1_3gpuE6ELNS1_3repE0EEENS1_38merge_mergepath_config_static_selectorELNS0_4arch9wavefront6targetE0EEEvSG_.num_vgpr, 0
	.set _ZN7rocprim17ROCPRIM_400000_NS6detail17trampoline_kernelINS0_14default_configENS1_38merge_sort_block_merge_config_selectorI6__halfNS0_10empty_typeEEEZZNS1_27merge_sort_block_merge_implIS3_PS5_PS6_jNS1_19radix_merge_compareILb0ELb0ES5_NS0_19identity_decomposerEEEEE10hipError_tT0_T1_T2_jT3_P12ihipStream_tbPNSt15iterator_traitsISF_E10value_typeEPNSL_ISG_E10value_typeEPSH_NS1_7vsmem_tEENKUlT_SF_SG_SH_E_clIS9_S9_SA_SA_EESE_SU_SF_SG_SH_EUlSU_E0_NS1_11comp_targetILNS1_3genE2ELNS1_11target_archE906ELNS1_3gpuE6ELNS1_3repE0EEENS1_38merge_mergepath_config_static_selectorELNS0_4arch9wavefront6targetE0EEEvSG_.num_agpr, 0
	.set _ZN7rocprim17ROCPRIM_400000_NS6detail17trampoline_kernelINS0_14default_configENS1_38merge_sort_block_merge_config_selectorI6__halfNS0_10empty_typeEEEZZNS1_27merge_sort_block_merge_implIS3_PS5_PS6_jNS1_19radix_merge_compareILb0ELb0ES5_NS0_19identity_decomposerEEEEE10hipError_tT0_T1_T2_jT3_P12ihipStream_tbPNSt15iterator_traitsISF_E10value_typeEPNSL_ISG_E10value_typeEPSH_NS1_7vsmem_tEENKUlT_SF_SG_SH_E_clIS9_S9_SA_SA_EESE_SU_SF_SG_SH_EUlSU_E0_NS1_11comp_targetILNS1_3genE2ELNS1_11target_archE906ELNS1_3gpuE6ELNS1_3repE0EEENS1_38merge_mergepath_config_static_selectorELNS0_4arch9wavefront6targetE0EEEvSG_.numbered_sgpr, 0
	.set _ZN7rocprim17ROCPRIM_400000_NS6detail17trampoline_kernelINS0_14default_configENS1_38merge_sort_block_merge_config_selectorI6__halfNS0_10empty_typeEEEZZNS1_27merge_sort_block_merge_implIS3_PS5_PS6_jNS1_19radix_merge_compareILb0ELb0ES5_NS0_19identity_decomposerEEEEE10hipError_tT0_T1_T2_jT3_P12ihipStream_tbPNSt15iterator_traitsISF_E10value_typeEPNSL_ISG_E10value_typeEPSH_NS1_7vsmem_tEENKUlT_SF_SG_SH_E_clIS9_S9_SA_SA_EESE_SU_SF_SG_SH_EUlSU_E0_NS1_11comp_targetILNS1_3genE2ELNS1_11target_archE906ELNS1_3gpuE6ELNS1_3repE0EEENS1_38merge_mergepath_config_static_selectorELNS0_4arch9wavefront6targetE0EEEvSG_.num_named_barrier, 0
	.set _ZN7rocprim17ROCPRIM_400000_NS6detail17trampoline_kernelINS0_14default_configENS1_38merge_sort_block_merge_config_selectorI6__halfNS0_10empty_typeEEEZZNS1_27merge_sort_block_merge_implIS3_PS5_PS6_jNS1_19radix_merge_compareILb0ELb0ES5_NS0_19identity_decomposerEEEEE10hipError_tT0_T1_T2_jT3_P12ihipStream_tbPNSt15iterator_traitsISF_E10value_typeEPNSL_ISG_E10value_typeEPSH_NS1_7vsmem_tEENKUlT_SF_SG_SH_E_clIS9_S9_SA_SA_EESE_SU_SF_SG_SH_EUlSU_E0_NS1_11comp_targetILNS1_3genE2ELNS1_11target_archE906ELNS1_3gpuE6ELNS1_3repE0EEENS1_38merge_mergepath_config_static_selectorELNS0_4arch9wavefront6targetE0EEEvSG_.private_seg_size, 0
	.set _ZN7rocprim17ROCPRIM_400000_NS6detail17trampoline_kernelINS0_14default_configENS1_38merge_sort_block_merge_config_selectorI6__halfNS0_10empty_typeEEEZZNS1_27merge_sort_block_merge_implIS3_PS5_PS6_jNS1_19radix_merge_compareILb0ELb0ES5_NS0_19identity_decomposerEEEEE10hipError_tT0_T1_T2_jT3_P12ihipStream_tbPNSt15iterator_traitsISF_E10value_typeEPNSL_ISG_E10value_typeEPSH_NS1_7vsmem_tEENKUlT_SF_SG_SH_E_clIS9_S9_SA_SA_EESE_SU_SF_SG_SH_EUlSU_E0_NS1_11comp_targetILNS1_3genE2ELNS1_11target_archE906ELNS1_3gpuE6ELNS1_3repE0EEENS1_38merge_mergepath_config_static_selectorELNS0_4arch9wavefront6targetE0EEEvSG_.uses_vcc, 0
	.set _ZN7rocprim17ROCPRIM_400000_NS6detail17trampoline_kernelINS0_14default_configENS1_38merge_sort_block_merge_config_selectorI6__halfNS0_10empty_typeEEEZZNS1_27merge_sort_block_merge_implIS3_PS5_PS6_jNS1_19radix_merge_compareILb0ELb0ES5_NS0_19identity_decomposerEEEEE10hipError_tT0_T1_T2_jT3_P12ihipStream_tbPNSt15iterator_traitsISF_E10value_typeEPNSL_ISG_E10value_typeEPSH_NS1_7vsmem_tEENKUlT_SF_SG_SH_E_clIS9_S9_SA_SA_EESE_SU_SF_SG_SH_EUlSU_E0_NS1_11comp_targetILNS1_3genE2ELNS1_11target_archE906ELNS1_3gpuE6ELNS1_3repE0EEENS1_38merge_mergepath_config_static_selectorELNS0_4arch9wavefront6targetE0EEEvSG_.uses_flat_scratch, 0
	.set _ZN7rocprim17ROCPRIM_400000_NS6detail17trampoline_kernelINS0_14default_configENS1_38merge_sort_block_merge_config_selectorI6__halfNS0_10empty_typeEEEZZNS1_27merge_sort_block_merge_implIS3_PS5_PS6_jNS1_19radix_merge_compareILb0ELb0ES5_NS0_19identity_decomposerEEEEE10hipError_tT0_T1_T2_jT3_P12ihipStream_tbPNSt15iterator_traitsISF_E10value_typeEPNSL_ISG_E10value_typeEPSH_NS1_7vsmem_tEENKUlT_SF_SG_SH_E_clIS9_S9_SA_SA_EESE_SU_SF_SG_SH_EUlSU_E0_NS1_11comp_targetILNS1_3genE2ELNS1_11target_archE906ELNS1_3gpuE6ELNS1_3repE0EEENS1_38merge_mergepath_config_static_selectorELNS0_4arch9wavefront6targetE0EEEvSG_.has_dyn_sized_stack, 0
	.set _ZN7rocprim17ROCPRIM_400000_NS6detail17trampoline_kernelINS0_14default_configENS1_38merge_sort_block_merge_config_selectorI6__halfNS0_10empty_typeEEEZZNS1_27merge_sort_block_merge_implIS3_PS5_PS6_jNS1_19radix_merge_compareILb0ELb0ES5_NS0_19identity_decomposerEEEEE10hipError_tT0_T1_T2_jT3_P12ihipStream_tbPNSt15iterator_traitsISF_E10value_typeEPNSL_ISG_E10value_typeEPSH_NS1_7vsmem_tEENKUlT_SF_SG_SH_E_clIS9_S9_SA_SA_EESE_SU_SF_SG_SH_EUlSU_E0_NS1_11comp_targetILNS1_3genE2ELNS1_11target_archE906ELNS1_3gpuE6ELNS1_3repE0EEENS1_38merge_mergepath_config_static_selectorELNS0_4arch9wavefront6targetE0EEEvSG_.has_recursion, 0
	.set _ZN7rocprim17ROCPRIM_400000_NS6detail17trampoline_kernelINS0_14default_configENS1_38merge_sort_block_merge_config_selectorI6__halfNS0_10empty_typeEEEZZNS1_27merge_sort_block_merge_implIS3_PS5_PS6_jNS1_19radix_merge_compareILb0ELb0ES5_NS0_19identity_decomposerEEEEE10hipError_tT0_T1_T2_jT3_P12ihipStream_tbPNSt15iterator_traitsISF_E10value_typeEPNSL_ISG_E10value_typeEPSH_NS1_7vsmem_tEENKUlT_SF_SG_SH_E_clIS9_S9_SA_SA_EESE_SU_SF_SG_SH_EUlSU_E0_NS1_11comp_targetILNS1_3genE2ELNS1_11target_archE906ELNS1_3gpuE6ELNS1_3repE0EEENS1_38merge_mergepath_config_static_selectorELNS0_4arch9wavefront6targetE0EEEvSG_.has_indirect_call, 0
	.section	.AMDGPU.csdata,"",@progbits
; Kernel info:
; codeLenInByte = 0
; TotalNumSgprs: 0
; NumVgprs: 0
; ScratchSize: 0
; MemoryBound: 0
; FloatMode: 240
; IeeeMode: 1
; LDSByteSize: 0 bytes/workgroup (compile time only)
; SGPRBlocks: 0
; VGPRBlocks: 0
; NumSGPRsForWavesPerEU: 1
; NumVGPRsForWavesPerEU: 1
; NamedBarCnt: 0
; Occupancy: 16
; WaveLimiterHint : 0
; COMPUTE_PGM_RSRC2:SCRATCH_EN: 0
; COMPUTE_PGM_RSRC2:USER_SGPR: 2
; COMPUTE_PGM_RSRC2:TRAP_HANDLER: 0
; COMPUTE_PGM_RSRC2:TGID_X_EN: 1
; COMPUTE_PGM_RSRC2:TGID_Y_EN: 0
; COMPUTE_PGM_RSRC2:TGID_Z_EN: 0
; COMPUTE_PGM_RSRC2:TIDIG_COMP_CNT: 0
	.section	.text._ZN7rocprim17ROCPRIM_400000_NS6detail17trampoline_kernelINS0_14default_configENS1_38merge_sort_block_merge_config_selectorI6__halfNS0_10empty_typeEEEZZNS1_27merge_sort_block_merge_implIS3_PS5_PS6_jNS1_19radix_merge_compareILb0ELb0ES5_NS0_19identity_decomposerEEEEE10hipError_tT0_T1_T2_jT3_P12ihipStream_tbPNSt15iterator_traitsISF_E10value_typeEPNSL_ISG_E10value_typeEPSH_NS1_7vsmem_tEENKUlT_SF_SG_SH_E_clIS9_S9_SA_SA_EESE_SU_SF_SG_SH_EUlSU_E0_NS1_11comp_targetILNS1_3genE9ELNS1_11target_archE1100ELNS1_3gpuE3ELNS1_3repE0EEENS1_38merge_mergepath_config_static_selectorELNS0_4arch9wavefront6targetE0EEEvSG_,"axG",@progbits,_ZN7rocprim17ROCPRIM_400000_NS6detail17trampoline_kernelINS0_14default_configENS1_38merge_sort_block_merge_config_selectorI6__halfNS0_10empty_typeEEEZZNS1_27merge_sort_block_merge_implIS3_PS5_PS6_jNS1_19radix_merge_compareILb0ELb0ES5_NS0_19identity_decomposerEEEEE10hipError_tT0_T1_T2_jT3_P12ihipStream_tbPNSt15iterator_traitsISF_E10value_typeEPNSL_ISG_E10value_typeEPSH_NS1_7vsmem_tEENKUlT_SF_SG_SH_E_clIS9_S9_SA_SA_EESE_SU_SF_SG_SH_EUlSU_E0_NS1_11comp_targetILNS1_3genE9ELNS1_11target_archE1100ELNS1_3gpuE3ELNS1_3repE0EEENS1_38merge_mergepath_config_static_selectorELNS0_4arch9wavefront6targetE0EEEvSG_,comdat
	.protected	_ZN7rocprim17ROCPRIM_400000_NS6detail17trampoline_kernelINS0_14default_configENS1_38merge_sort_block_merge_config_selectorI6__halfNS0_10empty_typeEEEZZNS1_27merge_sort_block_merge_implIS3_PS5_PS6_jNS1_19radix_merge_compareILb0ELb0ES5_NS0_19identity_decomposerEEEEE10hipError_tT0_T1_T2_jT3_P12ihipStream_tbPNSt15iterator_traitsISF_E10value_typeEPNSL_ISG_E10value_typeEPSH_NS1_7vsmem_tEENKUlT_SF_SG_SH_E_clIS9_S9_SA_SA_EESE_SU_SF_SG_SH_EUlSU_E0_NS1_11comp_targetILNS1_3genE9ELNS1_11target_archE1100ELNS1_3gpuE3ELNS1_3repE0EEENS1_38merge_mergepath_config_static_selectorELNS0_4arch9wavefront6targetE0EEEvSG_ ; -- Begin function _ZN7rocprim17ROCPRIM_400000_NS6detail17trampoline_kernelINS0_14default_configENS1_38merge_sort_block_merge_config_selectorI6__halfNS0_10empty_typeEEEZZNS1_27merge_sort_block_merge_implIS3_PS5_PS6_jNS1_19radix_merge_compareILb0ELb0ES5_NS0_19identity_decomposerEEEEE10hipError_tT0_T1_T2_jT3_P12ihipStream_tbPNSt15iterator_traitsISF_E10value_typeEPNSL_ISG_E10value_typeEPSH_NS1_7vsmem_tEENKUlT_SF_SG_SH_E_clIS9_S9_SA_SA_EESE_SU_SF_SG_SH_EUlSU_E0_NS1_11comp_targetILNS1_3genE9ELNS1_11target_archE1100ELNS1_3gpuE3ELNS1_3repE0EEENS1_38merge_mergepath_config_static_selectorELNS0_4arch9wavefront6targetE0EEEvSG_
	.globl	_ZN7rocprim17ROCPRIM_400000_NS6detail17trampoline_kernelINS0_14default_configENS1_38merge_sort_block_merge_config_selectorI6__halfNS0_10empty_typeEEEZZNS1_27merge_sort_block_merge_implIS3_PS5_PS6_jNS1_19radix_merge_compareILb0ELb0ES5_NS0_19identity_decomposerEEEEE10hipError_tT0_T1_T2_jT3_P12ihipStream_tbPNSt15iterator_traitsISF_E10value_typeEPNSL_ISG_E10value_typeEPSH_NS1_7vsmem_tEENKUlT_SF_SG_SH_E_clIS9_S9_SA_SA_EESE_SU_SF_SG_SH_EUlSU_E0_NS1_11comp_targetILNS1_3genE9ELNS1_11target_archE1100ELNS1_3gpuE3ELNS1_3repE0EEENS1_38merge_mergepath_config_static_selectorELNS0_4arch9wavefront6targetE0EEEvSG_
	.p2align	8
	.type	_ZN7rocprim17ROCPRIM_400000_NS6detail17trampoline_kernelINS0_14default_configENS1_38merge_sort_block_merge_config_selectorI6__halfNS0_10empty_typeEEEZZNS1_27merge_sort_block_merge_implIS3_PS5_PS6_jNS1_19radix_merge_compareILb0ELb0ES5_NS0_19identity_decomposerEEEEE10hipError_tT0_T1_T2_jT3_P12ihipStream_tbPNSt15iterator_traitsISF_E10value_typeEPNSL_ISG_E10value_typeEPSH_NS1_7vsmem_tEENKUlT_SF_SG_SH_E_clIS9_S9_SA_SA_EESE_SU_SF_SG_SH_EUlSU_E0_NS1_11comp_targetILNS1_3genE9ELNS1_11target_archE1100ELNS1_3gpuE3ELNS1_3repE0EEENS1_38merge_mergepath_config_static_selectorELNS0_4arch9wavefront6targetE0EEEvSG_,@function
_ZN7rocprim17ROCPRIM_400000_NS6detail17trampoline_kernelINS0_14default_configENS1_38merge_sort_block_merge_config_selectorI6__halfNS0_10empty_typeEEEZZNS1_27merge_sort_block_merge_implIS3_PS5_PS6_jNS1_19radix_merge_compareILb0ELb0ES5_NS0_19identity_decomposerEEEEE10hipError_tT0_T1_T2_jT3_P12ihipStream_tbPNSt15iterator_traitsISF_E10value_typeEPNSL_ISG_E10value_typeEPSH_NS1_7vsmem_tEENKUlT_SF_SG_SH_E_clIS9_S9_SA_SA_EESE_SU_SF_SG_SH_EUlSU_E0_NS1_11comp_targetILNS1_3genE9ELNS1_11target_archE1100ELNS1_3gpuE3ELNS1_3repE0EEENS1_38merge_mergepath_config_static_selectorELNS0_4arch9wavefront6targetE0EEEvSG_: ; @_ZN7rocprim17ROCPRIM_400000_NS6detail17trampoline_kernelINS0_14default_configENS1_38merge_sort_block_merge_config_selectorI6__halfNS0_10empty_typeEEEZZNS1_27merge_sort_block_merge_implIS3_PS5_PS6_jNS1_19radix_merge_compareILb0ELb0ES5_NS0_19identity_decomposerEEEEE10hipError_tT0_T1_T2_jT3_P12ihipStream_tbPNSt15iterator_traitsISF_E10value_typeEPNSL_ISG_E10value_typeEPSH_NS1_7vsmem_tEENKUlT_SF_SG_SH_E_clIS9_S9_SA_SA_EESE_SU_SF_SG_SH_EUlSU_E0_NS1_11comp_targetILNS1_3genE9ELNS1_11target_archE1100ELNS1_3gpuE3ELNS1_3repE0EEENS1_38merge_mergepath_config_static_selectorELNS0_4arch9wavefront6targetE0EEEvSG_
; %bb.0:
	.section	.rodata,"a",@progbits
	.p2align	6, 0x0
	.amdhsa_kernel _ZN7rocprim17ROCPRIM_400000_NS6detail17trampoline_kernelINS0_14default_configENS1_38merge_sort_block_merge_config_selectorI6__halfNS0_10empty_typeEEEZZNS1_27merge_sort_block_merge_implIS3_PS5_PS6_jNS1_19radix_merge_compareILb0ELb0ES5_NS0_19identity_decomposerEEEEE10hipError_tT0_T1_T2_jT3_P12ihipStream_tbPNSt15iterator_traitsISF_E10value_typeEPNSL_ISG_E10value_typeEPSH_NS1_7vsmem_tEENKUlT_SF_SG_SH_E_clIS9_S9_SA_SA_EESE_SU_SF_SG_SH_EUlSU_E0_NS1_11comp_targetILNS1_3genE9ELNS1_11target_archE1100ELNS1_3gpuE3ELNS1_3repE0EEENS1_38merge_mergepath_config_static_selectorELNS0_4arch9wavefront6targetE0EEEvSG_
		.amdhsa_group_segment_fixed_size 0
		.amdhsa_private_segment_fixed_size 0
		.amdhsa_kernarg_size 64
		.amdhsa_user_sgpr_count 2
		.amdhsa_user_sgpr_dispatch_ptr 0
		.amdhsa_user_sgpr_queue_ptr 0
		.amdhsa_user_sgpr_kernarg_segment_ptr 1
		.amdhsa_user_sgpr_dispatch_id 0
		.amdhsa_user_sgpr_kernarg_preload_length 0
		.amdhsa_user_sgpr_kernarg_preload_offset 0
		.amdhsa_user_sgpr_private_segment_size 0
		.amdhsa_wavefront_size32 1
		.amdhsa_uses_dynamic_stack 0
		.amdhsa_enable_private_segment 0
		.amdhsa_system_sgpr_workgroup_id_x 1
		.amdhsa_system_sgpr_workgroup_id_y 0
		.amdhsa_system_sgpr_workgroup_id_z 0
		.amdhsa_system_sgpr_workgroup_info 0
		.amdhsa_system_vgpr_workitem_id 0
		.amdhsa_next_free_vgpr 1
		.amdhsa_next_free_sgpr 1
		.amdhsa_named_barrier_count 0
		.amdhsa_reserve_vcc 0
		.amdhsa_float_round_mode_32 0
		.amdhsa_float_round_mode_16_64 0
		.amdhsa_float_denorm_mode_32 3
		.amdhsa_float_denorm_mode_16_64 3
		.amdhsa_fp16_overflow 0
		.amdhsa_memory_ordered 1
		.amdhsa_forward_progress 1
		.amdhsa_inst_pref_size 0
		.amdhsa_round_robin_scheduling 0
		.amdhsa_exception_fp_ieee_invalid_op 0
		.amdhsa_exception_fp_denorm_src 0
		.amdhsa_exception_fp_ieee_div_zero 0
		.amdhsa_exception_fp_ieee_overflow 0
		.amdhsa_exception_fp_ieee_underflow 0
		.amdhsa_exception_fp_ieee_inexact 0
		.amdhsa_exception_int_div_zero 0
	.end_amdhsa_kernel
	.section	.text._ZN7rocprim17ROCPRIM_400000_NS6detail17trampoline_kernelINS0_14default_configENS1_38merge_sort_block_merge_config_selectorI6__halfNS0_10empty_typeEEEZZNS1_27merge_sort_block_merge_implIS3_PS5_PS6_jNS1_19radix_merge_compareILb0ELb0ES5_NS0_19identity_decomposerEEEEE10hipError_tT0_T1_T2_jT3_P12ihipStream_tbPNSt15iterator_traitsISF_E10value_typeEPNSL_ISG_E10value_typeEPSH_NS1_7vsmem_tEENKUlT_SF_SG_SH_E_clIS9_S9_SA_SA_EESE_SU_SF_SG_SH_EUlSU_E0_NS1_11comp_targetILNS1_3genE9ELNS1_11target_archE1100ELNS1_3gpuE3ELNS1_3repE0EEENS1_38merge_mergepath_config_static_selectorELNS0_4arch9wavefront6targetE0EEEvSG_,"axG",@progbits,_ZN7rocprim17ROCPRIM_400000_NS6detail17trampoline_kernelINS0_14default_configENS1_38merge_sort_block_merge_config_selectorI6__halfNS0_10empty_typeEEEZZNS1_27merge_sort_block_merge_implIS3_PS5_PS6_jNS1_19radix_merge_compareILb0ELb0ES5_NS0_19identity_decomposerEEEEE10hipError_tT0_T1_T2_jT3_P12ihipStream_tbPNSt15iterator_traitsISF_E10value_typeEPNSL_ISG_E10value_typeEPSH_NS1_7vsmem_tEENKUlT_SF_SG_SH_E_clIS9_S9_SA_SA_EESE_SU_SF_SG_SH_EUlSU_E0_NS1_11comp_targetILNS1_3genE9ELNS1_11target_archE1100ELNS1_3gpuE3ELNS1_3repE0EEENS1_38merge_mergepath_config_static_selectorELNS0_4arch9wavefront6targetE0EEEvSG_,comdat
.Lfunc_end2222:
	.size	_ZN7rocprim17ROCPRIM_400000_NS6detail17trampoline_kernelINS0_14default_configENS1_38merge_sort_block_merge_config_selectorI6__halfNS0_10empty_typeEEEZZNS1_27merge_sort_block_merge_implIS3_PS5_PS6_jNS1_19radix_merge_compareILb0ELb0ES5_NS0_19identity_decomposerEEEEE10hipError_tT0_T1_T2_jT3_P12ihipStream_tbPNSt15iterator_traitsISF_E10value_typeEPNSL_ISG_E10value_typeEPSH_NS1_7vsmem_tEENKUlT_SF_SG_SH_E_clIS9_S9_SA_SA_EESE_SU_SF_SG_SH_EUlSU_E0_NS1_11comp_targetILNS1_3genE9ELNS1_11target_archE1100ELNS1_3gpuE3ELNS1_3repE0EEENS1_38merge_mergepath_config_static_selectorELNS0_4arch9wavefront6targetE0EEEvSG_, .Lfunc_end2222-_ZN7rocprim17ROCPRIM_400000_NS6detail17trampoline_kernelINS0_14default_configENS1_38merge_sort_block_merge_config_selectorI6__halfNS0_10empty_typeEEEZZNS1_27merge_sort_block_merge_implIS3_PS5_PS6_jNS1_19radix_merge_compareILb0ELb0ES5_NS0_19identity_decomposerEEEEE10hipError_tT0_T1_T2_jT3_P12ihipStream_tbPNSt15iterator_traitsISF_E10value_typeEPNSL_ISG_E10value_typeEPSH_NS1_7vsmem_tEENKUlT_SF_SG_SH_E_clIS9_S9_SA_SA_EESE_SU_SF_SG_SH_EUlSU_E0_NS1_11comp_targetILNS1_3genE9ELNS1_11target_archE1100ELNS1_3gpuE3ELNS1_3repE0EEENS1_38merge_mergepath_config_static_selectorELNS0_4arch9wavefront6targetE0EEEvSG_
                                        ; -- End function
	.set _ZN7rocprim17ROCPRIM_400000_NS6detail17trampoline_kernelINS0_14default_configENS1_38merge_sort_block_merge_config_selectorI6__halfNS0_10empty_typeEEEZZNS1_27merge_sort_block_merge_implIS3_PS5_PS6_jNS1_19radix_merge_compareILb0ELb0ES5_NS0_19identity_decomposerEEEEE10hipError_tT0_T1_T2_jT3_P12ihipStream_tbPNSt15iterator_traitsISF_E10value_typeEPNSL_ISG_E10value_typeEPSH_NS1_7vsmem_tEENKUlT_SF_SG_SH_E_clIS9_S9_SA_SA_EESE_SU_SF_SG_SH_EUlSU_E0_NS1_11comp_targetILNS1_3genE9ELNS1_11target_archE1100ELNS1_3gpuE3ELNS1_3repE0EEENS1_38merge_mergepath_config_static_selectorELNS0_4arch9wavefront6targetE0EEEvSG_.num_vgpr, 0
	.set _ZN7rocprim17ROCPRIM_400000_NS6detail17trampoline_kernelINS0_14default_configENS1_38merge_sort_block_merge_config_selectorI6__halfNS0_10empty_typeEEEZZNS1_27merge_sort_block_merge_implIS3_PS5_PS6_jNS1_19radix_merge_compareILb0ELb0ES5_NS0_19identity_decomposerEEEEE10hipError_tT0_T1_T2_jT3_P12ihipStream_tbPNSt15iterator_traitsISF_E10value_typeEPNSL_ISG_E10value_typeEPSH_NS1_7vsmem_tEENKUlT_SF_SG_SH_E_clIS9_S9_SA_SA_EESE_SU_SF_SG_SH_EUlSU_E0_NS1_11comp_targetILNS1_3genE9ELNS1_11target_archE1100ELNS1_3gpuE3ELNS1_3repE0EEENS1_38merge_mergepath_config_static_selectorELNS0_4arch9wavefront6targetE0EEEvSG_.num_agpr, 0
	.set _ZN7rocprim17ROCPRIM_400000_NS6detail17trampoline_kernelINS0_14default_configENS1_38merge_sort_block_merge_config_selectorI6__halfNS0_10empty_typeEEEZZNS1_27merge_sort_block_merge_implIS3_PS5_PS6_jNS1_19radix_merge_compareILb0ELb0ES5_NS0_19identity_decomposerEEEEE10hipError_tT0_T1_T2_jT3_P12ihipStream_tbPNSt15iterator_traitsISF_E10value_typeEPNSL_ISG_E10value_typeEPSH_NS1_7vsmem_tEENKUlT_SF_SG_SH_E_clIS9_S9_SA_SA_EESE_SU_SF_SG_SH_EUlSU_E0_NS1_11comp_targetILNS1_3genE9ELNS1_11target_archE1100ELNS1_3gpuE3ELNS1_3repE0EEENS1_38merge_mergepath_config_static_selectorELNS0_4arch9wavefront6targetE0EEEvSG_.numbered_sgpr, 0
	.set _ZN7rocprim17ROCPRIM_400000_NS6detail17trampoline_kernelINS0_14default_configENS1_38merge_sort_block_merge_config_selectorI6__halfNS0_10empty_typeEEEZZNS1_27merge_sort_block_merge_implIS3_PS5_PS6_jNS1_19radix_merge_compareILb0ELb0ES5_NS0_19identity_decomposerEEEEE10hipError_tT0_T1_T2_jT3_P12ihipStream_tbPNSt15iterator_traitsISF_E10value_typeEPNSL_ISG_E10value_typeEPSH_NS1_7vsmem_tEENKUlT_SF_SG_SH_E_clIS9_S9_SA_SA_EESE_SU_SF_SG_SH_EUlSU_E0_NS1_11comp_targetILNS1_3genE9ELNS1_11target_archE1100ELNS1_3gpuE3ELNS1_3repE0EEENS1_38merge_mergepath_config_static_selectorELNS0_4arch9wavefront6targetE0EEEvSG_.num_named_barrier, 0
	.set _ZN7rocprim17ROCPRIM_400000_NS6detail17trampoline_kernelINS0_14default_configENS1_38merge_sort_block_merge_config_selectorI6__halfNS0_10empty_typeEEEZZNS1_27merge_sort_block_merge_implIS3_PS5_PS6_jNS1_19radix_merge_compareILb0ELb0ES5_NS0_19identity_decomposerEEEEE10hipError_tT0_T1_T2_jT3_P12ihipStream_tbPNSt15iterator_traitsISF_E10value_typeEPNSL_ISG_E10value_typeEPSH_NS1_7vsmem_tEENKUlT_SF_SG_SH_E_clIS9_S9_SA_SA_EESE_SU_SF_SG_SH_EUlSU_E0_NS1_11comp_targetILNS1_3genE9ELNS1_11target_archE1100ELNS1_3gpuE3ELNS1_3repE0EEENS1_38merge_mergepath_config_static_selectorELNS0_4arch9wavefront6targetE0EEEvSG_.private_seg_size, 0
	.set _ZN7rocprim17ROCPRIM_400000_NS6detail17trampoline_kernelINS0_14default_configENS1_38merge_sort_block_merge_config_selectorI6__halfNS0_10empty_typeEEEZZNS1_27merge_sort_block_merge_implIS3_PS5_PS6_jNS1_19radix_merge_compareILb0ELb0ES5_NS0_19identity_decomposerEEEEE10hipError_tT0_T1_T2_jT3_P12ihipStream_tbPNSt15iterator_traitsISF_E10value_typeEPNSL_ISG_E10value_typeEPSH_NS1_7vsmem_tEENKUlT_SF_SG_SH_E_clIS9_S9_SA_SA_EESE_SU_SF_SG_SH_EUlSU_E0_NS1_11comp_targetILNS1_3genE9ELNS1_11target_archE1100ELNS1_3gpuE3ELNS1_3repE0EEENS1_38merge_mergepath_config_static_selectorELNS0_4arch9wavefront6targetE0EEEvSG_.uses_vcc, 0
	.set _ZN7rocprim17ROCPRIM_400000_NS6detail17trampoline_kernelINS0_14default_configENS1_38merge_sort_block_merge_config_selectorI6__halfNS0_10empty_typeEEEZZNS1_27merge_sort_block_merge_implIS3_PS5_PS6_jNS1_19radix_merge_compareILb0ELb0ES5_NS0_19identity_decomposerEEEEE10hipError_tT0_T1_T2_jT3_P12ihipStream_tbPNSt15iterator_traitsISF_E10value_typeEPNSL_ISG_E10value_typeEPSH_NS1_7vsmem_tEENKUlT_SF_SG_SH_E_clIS9_S9_SA_SA_EESE_SU_SF_SG_SH_EUlSU_E0_NS1_11comp_targetILNS1_3genE9ELNS1_11target_archE1100ELNS1_3gpuE3ELNS1_3repE0EEENS1_38merge_mergepath_config_static_selectorELNS0_4arch9wavefront6targetE0EEEvSG_.uses_flat_scratch, 0
	.set _ZN7rocprim17ROCPRIM_400000_NS6detail17trampoline_kernelINS0_14default_configENS1_38merge_sort_block_merge_config_selectorI6__halfNS0_10empty_typeEEEZZNS1_27merge_sort_block_merge_implIS3_PS5_PS6_jNS1_19radix_merge_compareILb0ELb0ES5_NS0_19identity_decomposerEEEEE10hipError_tT0_T1_T2_jT3_P12ihipStream_tbPNSt15iterator_traitsISF_E10value_typeEPNSL_ISG_E10value_typeEPSH_NS1_7vsmem_tEENKUlT_SF_SG_SH_E_clIS9_S9_SA_SA_EESE_SU_SF_SG_SH_EUlSU_E0_NS1_11comp_targetILNS1_3genE9ELNS1_11target_archE1100ELNS1_3gpuE3ELNS1_3repE0EEENS1_38merge_mergepath_config_static_selectorELNS0_4arch9wavefront6targetE0EEEvSG_.has_dyn_sized_stack, 0
	.set _ZN7rocprim17ROCPRIM_400000_NS6detail17trampoline_kernelINS0_14default_configENS1_38merge_sort_block_merge_config_selectorI6__halfNS0_10empty_typeEEEZZNS1_27merge_sort_block_merge_implIS3_PS5_PS6_jNS1_19radix_merge_compareILb0ELb0ES5_NS0_19identity_decomposerEEEEE10hipError_tT0_T1_T2_jT3_P12ihipStream_tbPNSt15iterator_traitsISF_E10value_typeEPNSL_ISG_E10value_typeEPSH_NS1_7vsmem_tEENKUlT_SF_SG_SH_E_clIS9_S9_SA_SA_EESE_SU_SF_SG_SH_EUlSU_E0_NS1_11comp_targetILNS1_3genE9ELNS1_11target_archE1100ELNS1_3gpuE3ELNS1_3repE0EEENS1_38merge_mergepath_config_static_selectorELNS0_4arch9wavefront6targetE0EEEvSG_.has_recursion, 0
	.set _ZN7rocprim17ROCPRIM_400000_NS6detail17trampoline_kernelINS0_14default_configENS1_38merge_sort_block_merge_config_selectorI6__halfNS0_10empty_typeEEEZZNS1_27merge_sort_block_merge_implIS3_PS5_PS6_jNS1_19radix_merge_compareILb0ELb0ES5_NS0_19identity_decomposerEEEEE10hipError_tT0_T1_T2_jT3_P12ihipStream_tbPNSt15iterator_traitsISF_E10value_typeEPNSL_ISG_E10value_typeEPSH_NS1_7vsmem_tEENKUlT_SF_SG_SH_E_clIS9_S9_SA_SA_EESE_SU_SF_SG_SH_EUlSU_E0_NS1_11comp_targetILNS1_3genE9ELNS1_11target_archE1100ELNS1_3gpuE3ELNS1_3repE0EEENS1_38merge_mergepath_config_static_selectorELNS0_4arch9wavefront6targetE0EEEvSG_.has_indirect_call, 0
	.section	.AMDGPU.csdata,"",@progbits
; Kernel info:
; codeLenInByte = 0
; TotalNumSgprs: 0
; NumVgprs: 0
; ScratchSize: 0
; MemoryBound: 0
; FloatMode: 240
; IeeeMode: 1
; LDSByteSize: 0 bytes/workgroup (compile time only)
; SGPRBlocks: 0
; VGPRBlocks: 0
; NumSGPRsForWavesPerEU: 1
; NumVGPRsForWavesPerEU: 1
; NamedBarCnt: 0
; Occupancy: 16
; WaveLimiterHint : 0
; COMPUTE_PGM_RSRC2:SCRATCH_EN: 0
; COMPUTE_PGM_RSRC2:USER_SGPR: 2
; COMPUTE_PGM_RSRC2:TRAP_HANDLER: 0
; COMPUTE_PGM_RSRC2:TGID_X_EN: 1
; COMPUTE_PGM_RSRC2:TGID_Y_EN: 0
; COMPUTE_PGM_RSRC2:TGID_Z_EN: 0
; COMPUTE_PGM_RSRC2:TIDIG_COMP_CNT: 0
	.section	.text._ZN7rocprim17ROCPRIM_400000_NS6detail17trampoline_kernelINS0_14default_configENS1_38merge_sort_block_merge_config_selectorI6__halfNS0_10empty_typeEEEZZNS1_27merge_sort_block_merge_implIS3_PS5_PS6_jNS1_19radix_merge_compareILb0ELb0ES5_NS0_19identity_decomposerEEEEE10hipError_tT0_T1_T2_jT3_P12ihipStream_tbPNSt15iterator_traitsISF_E10value_typeEPNSL_ISG_E10value_typeEPSH_NS1_7vsmem_tEENKUlT_SF_SG_SH_E_clIS9_S9_SA_SA_EESE_SU_SF_SG_SH_EUlSU_E0_NS1_11comp_targetILNS1_3genE8ELNS1_11target_archE1030ELNS1_3gpuE2ELNS1_3repE0EEENS1_38merge_mergepath_config_static_selectorELNS0_4arch9wavefront6targetE0EEEvSG_,"axG",@progbits,_ZN7rocprim17ROCPRIM_400000_NS6detail17trampoline_kernelINS0_14default_configENS1_38merge_sort_block_merge_config_selectorI6__halfNS0_10empty_typeEEEZZNS1_27merge_sort_block_merge_implIS3_PS5_PS6_jNS1_19radix_merge_compareILb0ELb0ES5_NS0_19identity_decomposerEEEEE10hipError_tT0_T1_T2_jT3_P12ihipStream_tbPNSt15iterator_traitsISF_E10value_typeEPNSL_ISG_E10value_typeEPSH_NS1_7vsmem_tEENKUlT_SF_SG_SH_E_clIS9_S9_SA_SA_EESE_SU_SF_SG_SH_EUlSU_E0_NS1_11comp_targetILNS1_3genE8ELNS1_11target_archE1030ELNS1_3gpuE2ELNS1_3repE0EEENS1_38merge_mergepath_config_static_selectorELNS0_4arch9wavefront6targetE0EEEvSG_,comdat
	.protected	_ZN7rocprim17ROCPRIM_400000_NS6detail17trampoline_kernelINS0_14default_configENS1_38merge_sort_block_merge_config_selectorI6__halfNS0_10empty_typeEEEZZNS1_27merge_sort_block_merge_implIS3_PS5_PS6_jNS1_19radix_merge_compareILb0ELb0ES5_NS0_19identity_decomposerEEEEE10hipError_tT0_T1_T2_jT3_P12ihipStream_tbPNSt15iterator_traitsISF_E10value_typeEPNSL_ISG_E10value_typeEPSH_NS1_7vsmem_tEENKUlT_SF_SG_SH_E_clIS9_S9_SA_SA_EESE_SU_SF_SG_SH_EUlSU_E0_NS1_11comp_targetILNS1_3genE8ELNS1_11target_archE1030ELNS1_3gpuE2ELNS1_3repE0EEENS1_38merge_mergepath_config_static_selectorELNS0_4arch9wavefront6targetE0EEEvSG_ ; -- Begin function _ZN7rocprim17ROCPRIM_400000_NS6detail17trampoline_kernelINS0_14default_configENS1_38merge_sort_block_merge_config_selectorI6__halfNS0_10empty_typeEEEZZNS1_27merge_sort_block_merge_implIS3_PS5_PS6_jNS1_19radix_merge_compareILb0ELb0ES5_NS0_19identity_decomposerEEEEE10hipError_tT0_T1_T2_jT3_P12ihipStream_tbPNSt15iterator_traitsISF_E10value_typeEPNSL_ISG_E10value_typeEPSH_NS1_7vsmem_tEENKUlT_SF_SG_SH_E_clIS9_S9_SA_SA_EESE_SU_SF_SG_SH_EUlSU_E0_NS1_11comp_targetILNS1_3genE8ELNS1_11target_archE1030ELNS1_3gpuE2ELNS1_3repE0EEENS1_38merge_mergepath_config_static_selectorELNS0_4arch9wavefront6targetE0EEEvSG_
	.globl	_ZN7rocprim17ROCPRIM_400000_NS6detail17trampoline_kernelINS0_14default_configENS1_38merge_sort_block_merge_config_selectorI6__halfNS0_10empty_typeEEEZZNS1_27merge_sort_block_merge_implIS3_PS5_PS6_jNS1_19radix_merge_compareILb0ELb0ES5_NS0_19identity_decomposerEEEEE10hipError_tT0_T1_T2_jT3_P12ihipStream_tbPNSt15iterator_traitsISF_E10value_typeEPNSL_ISG_E10value_typeEPSH_NS1_7vsmem_tEENKUlT_SF_SG_SH_E_clIS9_S9_SA_SA_EESE_SU_SF_SG_SH_EUlSU_E0_NS1_11comp_targetILNS1_3genE8ELNS1_11target_archE1030ELNS1_3gpuE2ELNS1_3repE0EEENS1_38merge_mergepath_config_static_selectorELNS0_4arch9wavefront6targetE0EEEvSG_
	.p2align	8
	.type	_ZN7rocprim17ROCPRIM_400000_NS6detail17trampoline_kernelINS0_14default_configENS1_38merge_sort_block_merge_config_selectorI6__halfNS0_10empty_typeEEEZZNS1_27merge_sort_block_merge_implIS3_PS5_PS6_jNS1_19radix_merge_compareILb0ELb0ES5_NS0_19identity_decomposerEEEEE10hipError_tT0_T1_T2_jT3_P12ihipStream_tbPNSt15iterator_traitsISF_E10value_typeEPNSL_ISG_E10value_typeEPSH_NS1_7vsmem_tEENKUlT_SF_SG_SH_E_clIS9_S9_SA_SA_EESE_SU_SF_SG_SH_EUlSU_E0_NS1_11comp_targetILNS1_3genE8ELNS1_11target_archE1030ELNS1_3gpuE2ELNS1_3repE0EEENS1_38merge_mergepath_config_static_selectorELNS0_4arch9wavefront6targetE0EEEvSG_,@function
_ZN7rocprim17ROCPRIM_400000_NS6detail17trampoline_kernelINS0_14default_configENS1_38merge_sort_block_merge_config_selectorI6__halfNS0_10empty_typeEEEZZNS1_27merge_sort_block_merge_implIS3_PS5_PS6_jNS1_19radix_merge_compareILb0ELb0ES5_NS0_19identity_decomposerEEEEE10hipError_tT0_T1_T2_jT3_P12ihipStream_tbPNSt15iterator_traitsISF_E10value_typeEPNSL_ISG_E10value_typeEPSH_NS1_7vsmem_tEENKUlT_SF_SG_SH_E_clIS9_S9_SA_SA_EESE_SU_SF_SG_SH_EUlSU_E0_NS1_11comp_targetILNS1_3genE8ELNS1_11target_archE1030ELNS1_3gpuE2ELNS1_3repE0EEENS1_38merge_mergepath_config_static_selectorELNS0_4arch9wavefront6targetE0EEEvSG_: ; @_ZN7rocprim17ROCPRIM_400000_NS6detail17trampoline_kernelINS0_14default_configENS1_38merge_sort_block_merge_config_selectorI6__halfNS0_10empty_typeEEEZZNS1_27merge_sort_block_merge_implIS3_PS5_PS6_jNS1_19radix_merge_compareILb0ELb0ES5_NS0_19identity_decomposerEEEEE10hipError_tT0_T1_T2_jT3_P12ihipStream_tbPNSt15iterator_traitsISF_E10value_typeEPNSL_ISG_E10value_typeEPSH_NS1_7vsmem_tEENKUlT_SF_SG_SH_E_clIS9_S9_SA_SA_EESE_SU_SF_SG_SH_EUlSU_E0_NS1_11comp_targetILNS1_3genE8ELNS1_11target_archE1030ELNS1_3gpuE2ELNS1_3repE0EEENS1_38merge_mergepath_config_static_selectorELNS0_4arch9wavefront6targetE0EEEvSG_
; %bb.0:
	.section	.rodata,"a",@progbits
	.p2align	6, 0x0
	.amdhsa_kernel _ZN7rocprim17ROCPRIM_400000_NS6detail17trampoline_kernelINS0_14default_configENS1_38merge_sort_block_merge_config_selectorI6__halfNS0_10empty_typeEEEZZNS1_27merge_sort_block_merge_implIS3_PS5_PS6_jNS1_19radix_merge_compareILb0ELb0ES5_NS0_19identity_decomposerEEEEE10hipError_tT0_T1_T2_jT3_P12ihipStream_tbPNSt15iterator_traitsISF_E10value_typeEPNSL_ISG_E10value_typeEPSH_NS1_7vsmem_tEENKUlT_SF_SG_SH_E_clIS9_S9_SA_SA_EESE_SU_SF_SG_SH_EUlSU_E0_NS1_11comp_targetILNS1_3genE8ELNS1_11target_archE1030ELNS1_3gpuE2ELNS1_3repE0EEENS1_38merge_mergepath_config_static_selectorELNS0_4arch9wavefront6targetE0EEEvSG_
		.amdhsa_group_segment_fixed_size 0
		.amdhsa_private_segment_fixed_size 0
		.amdhsa_kernarg_size 64
		.amdhsa_user_sgpr_count 2
		.amdhsa_user_sgpr_dispatch_ptr 0
		.amdhsa_user_sgpr_queue_ptr 0
		.amdhsa_user_sgpr_kernarg_segment_ptr 1
		.amdhsa_user_sgpr_dispatch_id 0
		.amdhsa_user_sgpr_kernarg_preload_length 0
		.amdhsa_user_sgpr_kernarg_preload_offset 0
		.amdhsa_user_sgpr_private_segment_size 0
		.amdhsa_wavefront_size32 1
		.amdhsa_uses_dynamic_stack 0
		.amdhsa_enable_private_segment 0
		.amdhsa_system_sgpr_workgroup_id_x 1
		.amdhsa_system_sgpr_workgroup_id_y 0
		.amdhsa_system_sgpr_workgroup_id_z 0
		.amdhsa_system_sgpr_workgroup_info 0
		.amdhsa_system_vgpr_workitem_id 0
		.amdhsa_next_free_vgpr 1
		.amdhsa_next_free_sgpr 1
		.amdhsa_named_barrier_count 0
		.amdhsa_reserve_vcc 0
		.amdhsa_float_round_mode_32 0
		.amdhsa_float_round_mode_16_64 0
		.amdhsa_float_denorm_mode_32 3
		.amdhsa_float_denorm_mode_16_64 3
		.amdhsa_fp16_overflow 0
		.amdhsa_memory_ordered 1
		.amdhsa_forward_progress 1
		.amdhsa_inst_pref_size 0
		.amdhsa_round_robin_scheduling 0
		.amdhsa_exception_fp_ieee_invalid_op 0
		.amdhsa_exception_fp_denorm_src 0
		.amdhsa_exception_fp_ieee_div_zero 0
		.amdhsa_exception_fp_ieee_overflow 0
		.amdhsa_exception_fp_ieee_underflow 0
		.amdhsa_exception_fp_ieee_inexact 0
		.amdhsa_exception_int_div_zero 0
	.end_amdhsa_kernel
	.section	.text._ZN7rocprim17ROCPRIM_400000_NS6detail17trampoline_kernelINS0_14default_configENS1_38merge_sort_block_merge_config_selectorI6__halfNS0_10empty_typeEEEZZNS1_27merge_sort_block_merge_implIS3_PS5_PS6_jNS1_19radix_merge_compareILb0ELb0ES5_NS0_19identity_decomposerEEEEE10hipError_tT0_T1_T2_jT3_P12ihipStream_tbPNSt15iterator_traitsISF_E10value_typeEPNSL_ISG_E10value_typeEPSH_NS1_7vsmem_tEENKUlT_SF_SG_SH_E_clIS9_S9_SA_SA_EESE_SU_SF_SG_SH_EUlSU_E0_NS1_11comp_targetILNS1_3genE8ELNS1_11target_archE1030ELNS1_3gpuE2ELNS1_3repE0EEENS1_38merge_mergepath_config_static_selectorELNS0_4arch9wavefront6targetE0EEEvSG_,"axG",@progbits,_ZN7rocprim17ROCPRIM_400000_NS6detail17trampoline_kernelINS0_14default_configENS1_38merge_sort_block_merge_config_selectorI6__halfNS0_10empty_typeEEEZZNS1_27merge_sort_block_merge_implIS3_PS5_PS6_jNS1_19radix_merge_compareILb0ELb0ES5_NS0_19identity_decomposerEEEEE10hipError_tT0_T1_T2_jT3_P12ihipStream_tbPNSt15iterator_traitsISF_E10value_typeEPNSL_ISG_E10value_typeEPSH_NS1_7vsmem_tEENKUlT_SF_SG_SH_E_clIS9_S9_SA_SA_EESE_SU_SF_SG_SH_EUlSU_E0_NS1_11comp_targetILNS1_3genE8ELNS1_11target_archE1030ELNS1_3gpuE2ELNS1_3repE0EEENS1_38merge_mergepath_config_static_selectorELNS0_4arch9wavefront6targetE0EEEvSG_,comdat
.Lfunc_end2223:
	.size	_ZN7rocprim17ROCPRIM_400000_NS6detail17trampoline_kernelINS0_14default_configENS1_38merge_sort_block_merge_config_selectorI6__halfNS0_10empty_typeEEEZZNS1_27merge_sort_block_merge_implIS3_PS5_PS6_jNS1_19radix_merge_compareILb0ELb0ES5_NS0_19identity_decomposerEEEEE10hipError_tT0_T1_T2_jT3_P12ihipStream_tbPNSt15iterator_traitsISF_E10value_typeEPNSL_ISG_E10value_typeEPSH_NS1_7vsmem_tEENKUlT_SF_SG_SH_E_clIS9_S9_SA_SA_EESE_SU_SF_SG_SH_EUlSU_E0_NS1_11comp_targetILNS1_3genE8ELNS1_11target_archE1030ELNS1_3gpuE2ELNS1_3repE0EEENS1_38merge_mergepath_config_static_selectorELNS0_4arch9wavefront6targetE0EEEvSG_, .Lfunc_end2223-_ZN7rocprim17ROCPRIM_400000_NS6detail17trampoline_kernelINS0_14default_configENS1_38merge_sort_block_merge_config_selectorI6__halfNS0_10empty_typeEEEZZNS1_27merge_sort_block_merge_implIS3_PS5_PS6_jNS1_19radix_merge_compareILb0ELb0ES5_NS0_19identity_decomposerEEEEE10hipError_tT0_T1_T2_jT3_P12ihipStream_tbPNSt15iterator_traitsISF_E10value_typeEPNSL_ISG_E10value_typeEPSH_NS1_7vsmem_tEENKUlT_SF_SG_SH_E_clIS9_S9_SA_SA_EESE_SU_SF_SG_SH_EUlSU_E0_NS1_11comp_targetILNS1_3genE8ELNS1_11target_archE1030ELNS1_3gpuE2ELNS1_3repE0EEENS1_38merge_mergepath_config_static_selectorELNS0_4arch9wavefront6targetE0EEEvSG_
                                        ; -- End function
	.set _ZN7rocprim17ROCPRIM_400000_NS6detail17trampoline_kernelINS0_14default_configENS1_38merge_sort_block_merge_config_selectorI6__halfNS0_10empty_typeEEEZZNS1_27merge_sort_block_merge_implIS3_PS5_PS6_jNS1_19radix_merge_compareILb0ELb0ES5_NS0_19identity_decomposerEEEEE10hipError_tT0_T1_T2_jT3_P12ihipStream_tbPNSt15iterator_traitsISF_E10value_typeEPNSL_ISG_E10value_typeEPSH_NS1_7vsmem_tEENKUlT_SF_SG_SH_E_clIS9_S9_SA_SA_EESE_SU_SF_SG_SH_EUlSU_E0_NS1_11comp_targetILNS1_3genE8ELNS1_11target_archE1030ELNS1_3gpuE2ELNS1_3repE0EEENS1_38merge_mergepath_config_static_selectorELNS0_4arch9wavefront6targetE0EEEvSG_.num_vgpr, 0
	.set _ZN7rocprim17ROCPRIM_400000_NS6detail17trampoline_kernelINS0_14default_configENS1_38merge_sort_block_merge_config_selectorI6__halfNS0_10empty_typeEEEZZNS1_27merge_sort_block_merge_implIS3_PS5_PS6_jNS1_19radix_merge_compareILb0ELb0ES5_NS0_19identity_decomposerEEEEE10hipError_tT0_T1_T2_jT3_P12ihipStream_tbPNSt15iterator_traitsISF_E10value_typeEPNSL_ISG_E10value_typeEPSH_NS1_7vsmem_tEENKUlT_SF_SG_SH_E_clIS9_S9_SA_SA_EESE_SU_SF_SG_SH_EUlSU_E0_NS1_11comp_targetILNS1_3genE8ELNS1_11target_archE1030ELNS1_3gpuE2ELNS1_3repE0EEENS1_38merge_mergepath_config_static_selectorELNS0_4arch9wavefront6targetE0EEEvSG_.num_agpr, 0
	.set _ZN7rocprim17ROCPRIM_400000_NS6detail17trampoline_kernelINS0_14default_configENS1_38merge_sort_block_merge_config_selectorI6__halfNS0_10empty_typeEEEZZNS1_27merge_sort_block_merge_implIS3_PS5_PS6_jNS1_19radix_merge_compareILb0ELb0ES5_NS0_19identity_decomposerEEEEE10hipError_tT0_T1_T2_jT3_P12ihipStream_tbPNSt15iterator_traitsISF_E10value_typeEPNSL_ISG_E10value_typeEPSH_NS1_7vsmem_tEENKUlT_SF_SG_SH_E_clIS9_S9_SA_SA_EESE_SU_SF_SG_SH_EUlSU_E0_NS1_11comp_targetILNS1_3genE8ELNS1_11target_archE1030ELNS1_3gpuE2ELNS1_3repE0EEENS1_38merge_mergepath_config_static_selectorELNS0_4arch9wavefront6targetE0EEEvSG_.numbered_sgpr, 0
	.set _ZN7rocprim17ROCPRIM_400000_NS6detail17trampoline_kernelINS0_14default_configENS1_38merge_sort_block_merge_config_selectorI6__halfNS0_10empty_typeEEEZZNS1_27merge_sort_block_merge_implIS3_PS5_PS6_jNS1_19radix_merge_compareILb0ELb0ES5_NS0_19identity_decomposerEEEEE10hipError_tT0_T1_T2_jT3_P12ihipStream_tbPNSt15iterator_traitsISF_E10value_typeEPNSL_ISG_E10value_typeEPSH_NS1_7vsmem_tEENKUlT_SF_SG_SH_E_clIS9_S9_SA_SA_EESE_SU_SF_SG_SH_EUlSU_E0_NS1_11comp_targetILNS1_3genE8ELNS1_11target_archE1030ELNS1_3gpuE2ELNS1_3repE0EEENS1_38merge_mergepath_config_static_selectorELNS0_4arch9wavefront6targetE0EEEvSG_.num_named_barrier, 0
	.set _ZN7rocprim17ROCPRIM_400000_NS6detail17trampoline_kernelINS0_14default_configENS1_38merge_sort_block_merge_config_selectorI6__halfNS0_10empty_typeEEEZZNS1_27merge_sort_block_merge_implIS3_PS5_PS6_jNS1_19radix_merge_compareILb0ELb0ES5_NS0_19identity_decomposerEEEEE10hipError_tT0_T1_T2_jT3_P12ihipStream_tbPNSt15iterator_traitsISF_E10value_typeEPNSL_ISG_E10value_typeEPSH_NS1_7vsmem_tEENKUlT_SF_SG_SH_E_clIS9_S9_SA_SA_EESE_SU_SF_SG_SH_EUlSU_E0_NS1_11comp_targetILNS1_3genE8ELNS1_11target_archE1030ELNS1_3gpuE2ELNS1_3repE0EEENS1_38merge_mergepath_config_static_selectorELNS0_4arch9wavefront6targetE0EEEvSG_.private_seg_size, 0
	.set _ZN7rocprim17ROCPRIM_400000_NS6detail17trampoline_kernelINS0_14default_configENS1_38merge_sort_block_merge_config_selectorI6__halfNS0_10empty_typeEEEZZNS1_27merge_sort_block_merge_implIS3_PS5_PS6_jNS1_19radix_merge_compareILb0ELb0ES5_NS0_19identity_decomposerEEEEE10hipError_tT0_T1_T2_jT3_P12ihipStream_tbPNSt15iterator_traitsISF_E10value_typeEPNSL_ISG_E10value_typeEPSH_NS1_7vsmem_tEENKUlT_SF_SG_SH_E_clIS9_S9_SA_SA_EESE_SU_SF_SG_SH_EUlSU_E0_NS1_11comp_targetILNS1_3genE8ELNS1_11target_archE1030ELNS1_3gpuE2ELNS1_3repE0EEENS1_38merge_mergepath_config_static_selectorELNS0_4arch9wavefront6targetE0EEEvSG_.uses_vcc, 0
	.set _ZN7rocprim17ROCPRIM_400000_NS6detail17trampoline_kernelINS0_14default_configENS1_38merge_sort_block_merge_config_selectorI6__halfNS0_10empty_typeEEEZZNS1_27merge_sort_block_merge_implIS3_PS5_PS6_jNS1_19radix_merge_compareILb0ELb0ES5_NS0_19identity_decomposerEEEEE10hipError_tT0_T1_T2_jT3_P12ihipStream_tbPNSt15iterator_traitsISF_E10value_typeEPNSL_ISG_E10value_typeEPSH_NS1_7vsmem_tEENKUlT_SF_SG_SH_E_clIS9_S9_SA_SA_EESE_SU_SF_SG_SH_EUlSU_E0_NS1_11comp_targetILNS1_3genE8ELNS1_11target_archE1030ELNS1_3gpuE2ELNS1_3repE0EEENS1_38merge_mergepath_config_static_selectorELNS0_4arch9wavefront6targetE0EEEvSG_.uses_flat_scratch, 0
	.set _ZN7rocprim17ROCPRIM_400000_NS6detail17trampoline_kernelINS0_14default_configENS1_38merge_sort_block_merge_config_selectorI6__halfNS0_10empty_typeEEEZZNS1_27merge_sort_block_merge_implIS3_PS5_PS6_jNS1_19radix_merge_compareILb0ELb0ES5_NS0_19identity_decomposerEEEEE10hipError_tT0_T1_T2_jT3_P12ihipStream_tbPNSt15iterator_traitsISF_E10value_typeEPNSL_ISG_E10value_typeEPSH_NS1_7vsmem_tEENKUlT_SF_SG_SH_E_clIS9_S9_SA_SA_EESE_SU_SF_SG_SH_EUlSU_E0_NS1_11comp_targetILNS1_3genE8ELNS1_11target_archE1030ELNS1_3gpuE2ELNS1_3repE0EEENS1_38merge_mergepath_config_static_selectorELNS0_4arch9wavefront6targetE0EEEvSG_.has_dyn_sized_stack, 0
	.set _ZN7rocprim17ROCPRIM_400000_NS6detail17trampoline_kernelINS0_14default_configENS1_38merge_sort_block_merge_config_selectorI6__halfNS0_10empty_typeEEEZZNS1_27merge_sort_block_merge_implIS3_PS5_PS6_jNS1_19radix_merge_compareILb0ELb0ES5_NS0_19identity_decomposerEEEEE10hipError_tT0_T1_T2_jT3_P12ihipStream_tbPNSt15iterator_traitsISF_E10value_typeEPNSL_ISG_E10value_typeEPSH_NS1_7vsmem_tEENKUlT_SF_SG_SH_E_clIS9_S9_SA_SA_EESE_SU_SF_SG_SH_EUlSU_E0_NS1_11comp_targetILNS1_3genE8ELNS1_11target_archE1030ELNS1_3gpuE2ELNS1_3repE0EEENS1_38merge_mergepath_config_static_selectorELNS0_4arch9wavefront6targetE0EEEvSG_.has_recursion, 0
	.set _ZN7rocprim17ROCPRIM_400000_NS6detail17trampoline_kernelINS0_14default_configENS1_38merge_sort_block_merge_config_selectorI6__halfNS0_10empty_typeEEEZZNS1_27merge_sort_block_merge_implIS3_PS5_PS6_jNS1_19radix_merge_compareILb0ELb0ES5_NS0_19identity_decomposerEEEEE10hipError_tT0_T1_T2_jT3_P12ihipStream_tbPNSt15iterator_traitsISF_E10value_typeEPNSL_ISG_E10value_typeEPSH_NS1_7vsmem_tEENKUlT_SF_SG_SH_E_clIS9_S9_SA_SA_EESE_SU_SF_SG_SH_EUlSU_E0_NS1_11comp_targetILNS1_3genE8ELNS1_11target_archE1030ELNS1_3gpuE2ELNS1_3repE0EEENS1_38merge_mergepath_config_static_selectorELNS0_4arch9wavefront6targetE0EEEvSG_.has_indirect_call, 0
	.section	.AMDGPU.csdata,"",@progbits
; Kernel info:
; codeLenInByte = 0
; TotalNumSgprs: 0
; NumVgprs: 0
; ScratchSize: 0
; MemoryBound: 0
; FloatMode: 240
; IeeeMode: 1
; LDSByteSize: 0 bytes/workgroup (compile time only)
; SGPRBlocks: 0
; VGPRBlocks: 0
; NumSGPRsForWavesPerEU: 1
; NumVGPRsForWavesPerEU: 1
; NamedBarCnt: 0
; Occupancy: 16
; WaveLimiterHint : 0
; COMPUTE_PGM_RSRC2:SCRATCH_EN: 0
; COMPUTE_PGM_RSRC2:USER_SGPR: 2
; COMPUTE_PGM_RSRC2:TRAP_HANDLER: 0
; COMPUTE_PGM_RSRC2:TGID_X_EN: 1
; COMPUTE_PGM_RSRC2:TGID_Y_EN: 0
; COMPUTE_PGM_RSRC2:TGID_Z_EN: 0
; COMPUTE_PGM_RSRC2:TIDIG_COMP_CNT: 0
	.section	.text._ZN7rocprim17ROCPRIM_400000_NS6detail17trampoline_kernelINS0_14default_configENS1_38merge_sort_block_merge_config_selectorI6__halfNS0_10empty_typeEEEZZNS1_27merge_sort_block_merge_implIS3_PS5_PS6_jNS1_19radix_merge_compareILb0ELb0ES5_NS0_19identity_decomposerEEEEE10hipError_tT0_T1_T2_jT3_P12ihipStream_tbPNSt15iterator_traitsISF_E10value_typeEPNSL_ISG_E10value_typeEPSH_NS1_7vsmem_tEENKUlT_SF_SG_SH_E_clIS9_S9_SA_SA_EESE_SU_SF_SG_SH_EUlSU_E1_NS1_11comp_targetILNS1_3genE0ELNS1_11target_archE4294967295ELNS1_3gpuE0ELNS1_3repE0EEENS1_36merge_oddeven_config_static_selectorELNS0_4arch9wavefront6targetE0EEEvSG_,"axG",@progbits,_ZN7rocprim17ROCPRIM_400000_NS6detail17trampoline_kernelINS0_14default_configENS1_38merge_sort_block_merge_config_selectorI6__halfNS0_10empty_typeEEEZZNS1_27merge_sort_block_merge_implIS3_PS5_PS6_jNS1_19radix_merge_compareILb0ELb0ES5_NS0_19identity_decomposerEEEEE10hipError_tT0_T1_T2_jT3_P12ihipStream_tbPNSt15iterator_traitsISF_E10value_typeEPNSL_ISG_E10value_typeEPSH_NS1_7vsmem_tEENKUlT_SF_SG_SH_E_clIS9_S9_SA_SA_EESE_SU_SF_SG_SH_EUlSU_E1_NS1_11comp_targetILNS1_3genE0ELNS1_11target_archE4294967295ELNS1_3gpuE0ELNS1_3repE0EEENS1_36merge_oddeven_config_static_selectorELNS0_4arch9wavefront6targetE0EEEvSG_,comdat
	.protected	_ZN7rocprim17ROCPRIM_400000_NS6detail17trampoline_kernelINS0_14default_configENS1_38merge_sort_block_merge_config_selectorI6__halfNS0_10empty_typeEEEZZNS1_27merge_sort_block_merge_implIS3_PS5_PS6_jNS1_19radix_merge_compareILb0ELb0ES5_NS0_19identity_decomposerEEEEE10hipError_tT0_T1_T2_jT3_P12ihipStream_tbPNSt15iterator_traitsISF_E10value_typeEPNSL_ISG_E10value_typeEPSH_NS1_7vsmem_tEENKUlT_SF_SG_SH_E_clIS9_S9_SA_SA_EESE_SU_SF_SG_SH_EUlSU_E1_NS1_11comp_targetILNS1_3genE0ELNS1_11target_archE4294967295ELNS1_3gpuE0ELNS1_3repE0EEENS1_36merge_oddeven_config_static_selectorELNS0_4arch9wavefront6targetE0EEEvSG_ ; -- Begin function _ZN7rocprim17ROCPRIM_400000_NS6detail17trampoline_kernelINS0_14default_configENS1_38merge_sort_block_merge_config_selectorI6__halfNS0_10empty_typeEEEZZNS1_27merge_sort_block_merge_implIS3_PS5_PS6_jNS1_19radix_merge_compareILb0ELb0ES5_NS0_19identity_decomposerEEEEE10hipError_tT0_T1_T2_jT3_P12ihipStream_tbPNSt15iterator_traitsISF_E10value_typeEPNSL_ISG_E10value_typeEPSH_NS1_7vsmem_tEENKUlT_SF_SG_SH_E_clIS9_S9_SA_SA_EESE_SU_SF_SG_SH_EUlSU_E1_NS1_11comp_targetILNS1_3genE0ELNS1_11target_archE4294967295ELNS1_3gpuE0ELNS1_3repE0EEENS1_36merge_oddeven_config_static_selectorELNS0_4arch9wavefront6targetE0EEEvSG_
	.globl	_ZN7rocprim17ROCPRIM_400000_NS6detail17trampoline_kernelINS0_14default_configENS1_38merge_sort_block_merge_config_selectorI6__halfNS0_10empty_typeEEEZZNS1_27merge_sort_block_merge_implIS3_PS5_PS6_jNS1_19radix_merge_compareILb0ELb0ES5_NS0_19identity_decomposerEEEEE10hipError_tT0_T1_T2_jT3_P12ihipStream_tbPNSt15iterator_traitsISF_E10value_typeEPNSL_ISG_E10value_typeEPSH_NS1_7vsmem_tEENKUlT_SF_SG_SH_E_clIS9_S9_SA_SA_EESE_SU_SF_SG_SH_EUlSU_E1_NS1_11comp_targetILNS1_3genE0ELNS1_11target_archE4294967295ELNS1_3gpuE0ELNS1_3repE0EEENS1_36merge_oddeven_config_static_selectorELNS0_4arch9wavefront6targetE0EEEvSG_
	.p2align	8
	.type	_ZN7rocprim17ROCPRIM_400000_NS6detail17trampoline_kernelINS0_14default_configENS1_38merge_sort_block_merge_config_selectorI6__halfNS0_10empty_typeEEEZZNS1_27merge_sort_block_merge_implIS3_PS5_PS6_jNS1_19radix_merge_compareILb0ELb0ES5_NS0_19identity_decomposerEEEEE10hipError_tT0_T1_T2_jT3_P12ihipStream_tbPNSt15iterator_traitsISF_E10value_typeEPNSL_ISG_E10value_typeEPSH_NS1_7vsmem_tEENKUlT_SF_SG_SH_E_clIS9_S9_SA_SA_EESE_SU_SF_SG_SH_EUlSU_E1_NS1_11comp_targetILNS1_3genE0ELNS1_11target_archE4294967295ELNS1_3gpuE0ELNS1_3repE0EEENS1_36merge_oddeven_config_static_selectorELNS0_4arch9wavefront6targetE0EEEvSG_,@function
_ZN7rocprim17ROCPRIM_400000_NS6detail17trampoline_kernelINS0_14default_configENS1_38merge_sort_block_merge_config_selectorI6__halfNS0_10empty_typeEEEZZNS1_27merge_sort_block_merge_implIS3_PS5_PS6_jNS1_19radix_merge_compareILb0ELb0ES5_NS0_19identity_decomposerEEEEE10hipError_tT0_T1_T2_jT3_P12ihipStream_tbPNSt15iterator_traitsISF_E10value_typeEPNSL_ISG_E10value_typeEPSH_NS1_7vsmem_tEENKUlT_SF_SG_SH_E_clIS9_S9_SA_SA_EESE_SU_SF_SG_SH_EUlSU_E1_NS1_11comp_targetILNS1_3genE0ELNS1_11target_archE4294967295ELNS1_3gpuE0ELNS1_3repE0EEENS1_36merge_oddeven_config_static_selectorELNS0_4arch9wavefront6targetE0EEEvSG_: ; @_ZN7rocprim17ROCPRIM_400000_NS6detail17trampoline_kernelINS0_14default_configENS1_38merge_sort_block_merge_config_selectorI6__halfNS0_10empty_typeEEEZZNS1_27merge_sort_block_merge_implIS3_PS5_PS6_jNS1_19radix_merge_compareILb0ELb0ES5_NS0_19identity_decomposerEEEEE10hipError_tT0_T1_T2_jT3_P12ihipStream_tbPNSt15iterator_traitsISF_E10value_typeEPNSL_ISG_E10value_typeEPSH_NS1_7vsmem_tEENKUlT_SF_SG_SH_E_clIS9_S9_SA_SA_EESE_SU_SF_SG_SH_EUlSU_E1_NS1_11comp_targetILNS1_3genE0ELNS1_11target_archE4294967295ELNS1_3gpuE0ELNS1_3repE0EEENS1_36merge_oddeven_config_static_selectorELNS0_4arch9wavefront6targetE0EEEvSG_
; %bb.0:
	s_load_b32 s10, s[0:1], 0x20
	s_bfe_u32 s2, ttmp6, 0x4000c
	s_and_b32 s3, ttmp6, 15
	s_add_co_i32 s2, s2, 1
	s_getreg_b32 s4, hwreg(HW_REG_IB_STS2, 6, 4)
	s_mul_i32 s2, ttmp9, s2
	s_mov_b32 s9, 0
	s_add_co_i32 s3, s3, s2
	s_cmp_eq_u32 s4, 0
	s_cselect_b32 s13, ttmp9, s3
	s_wait_kmcnt 0x0
	s_lshr_b32 s2, s10, 8
	s_delay_alu instid0(SALU_CYCLE_1) | instskip(SKIP_4) | instid1(SALU_CYCLE_1)
	s_cmp_lg_u32 s13, s2
	s_cselect_b32 s3, -1, 0
	s_cmp_eq_u32 s13, s2
	s_cselect_b32 s11, -1, 0
	s_lshl_b32 s8, s13, 8
	s_sub_co_i32 s2, s10, s8
	s_delay_alu instid0(SALU_CYCLE_1) | instskip(SKIP_1) | instid1(SALU_CYCLE_1)
	v_cmp_gt_u32_e64 s2, s2, v0
	s_or_b32 s4, s3, s2
	s_and_saveexec_b32 s5, s4
	s_cbranch_execz .LBB2224_20
; %bb.1:
	s_clause 0x1
	s_load_b128 s[4:7], s[0:1], 0x0
	s_load_b32 s12, s[0:1], 0x24
	s_lshl_b64 s[14:15], s[8:9], 1
	v_add_nc_u32_e32 v3, s8, v0
	s_wait_kmcnt 0x0
	s_add_nc_u64 s[0:1], s[4:5], s[14:15]
	global_load_u16 v1, v0, s[0:1] scale_offset
	s_wait_xcnt 0x0
	s_lshr_b32 s0, s12, 8
	s_delay_alu instid0(SALU_CYCLE_1) | instskip(NEXT) | instid1(SALU_CYCLE_1)
	s_sub_co_i32 s1, 0, s0
	s_and_b32 s1, s13, s1
	s_delay_alu instid0(SALU_CYCLE_1) | instskip(SKIP_4) | instid1(SALU_CYCLE_1)
	s_and_b32 s0, s1, s0
	s_lshl_b32 s13, s1, 8
	s_sub_co_i32 s1, 0, s12
	s_cmp_eq_u32 s0, 0
	s_cselect_b32 s0, -1, 0
	s_and_b32 s14, s0, exec_lo
	s_cselect_b32 s1, s12, s1
	s_delay_alu instid0(SALU_CYCLE_1) | instskip(NEXT) | instid1(SALU_CYCLE_1)
	s_add_co_i32 s1, s1, s13
	s_cmp_gt_u32 s10, s1
	s_cbranch_scc1 .LBB2224_3
; %bb.2:
	v_cmp_gt_u32_e32 vcc_lo, s10, v3
	s_or_b32 s8, vcc_lo, s3
	s_delay_alu instid0(SALU_CYCLE_1)
	s_and_b32 s9, s8, exec_lo
	s_cbranch_execz .LBB2224_4
	s_branch .LBB2224_18
.LBB2224_3:
.LBB2224_4:
	s_wait_loadcnt 0x0
	v_add_f16_e32 v2, 0, v1
	s_min_u32 s3, s1, s10
	s_delay_alu instid0(SALU_CYCLE_1) | instskip(NEXT) | instid1(SALU_CYCLE_1)
	s_add_co_i32 s8, s13, s3
	v_subrev_nc_u32_e32 v0, s8, v3
	s_delay_alu instid0(VALU_DEP_2)
	v_cmp_lt_i16_e32 vcc_lo, -1, v2
	s_add_co_i32 s8, s3, s12
	s_min_u32 s12, s13, s3
	s_min_u32 s8, s8, s10
	s_mov_b32 s10, -1
	v_cndmask_b32_e64 v3, -1, 0xffff8000, vcc_lo
	v_add_nc_u32_e32 v0, s12, v0
	s_and_b32 vcc_lo, exec_lo, s11
	s_delay_alu instid0(VALU_DEP_2)
	v_xor_b32_e32 v2, v3, v2
                                        ; implicit-def: $vgpr3
	s_cbranch_vccz .LBB2224_12
; %bb.5:
	s_and_saveexec_b32 s10, s2
	s_cbranch_execz .LBB2224_11
; %bb.6:
	v_mov_b32_e32 v3, s3
	s_cmp_ge_u32 s1, s8
	s_cbranch_scc1 .LBB2224_10
; %bb.7:
	v_dual_mov_b32 v4, s8 :: v_dual_mov_b32 v3, s3
	s_mov_b32 s2, 0
.LBB2224_8:                             ; =>This Inner Loop Header: Depth=1
	s_delay_alu instid0(VALU_DEP_1) | instskip(NEXT) | instid1(VALU_DEP_1)
	v_add_nc_u32_e32 v5, v3, v4
	v_and_b32_e32 v6, -2, v5
	global_load_u16 v6, v6, s[4:5]
	s_wait_loadcnt 0x0
	v_add_f16_e32 v6, 0, v6
	s_delay_alu instid0(VALU_DEP_1) | instskip(SKIP_1) | instid1(VALU_DEP_1)
	v_cmp_lt_i16_e32 vcc_lo, -1, v6
	v_cndmask_b32_e64 v7, -1, 0xffff8000, vcc_lo
	v_xor_b32_e32 v6, v7, v6
	s_delay_alu instid0(VALU_DEP_1) | instskip(SKIP_3) | instid1(VALU_DEP_1)
	v_cmp_gt_u16_e32 vcc_lo, v2, v6
	v_cndmask_b32_e64 v7, 0, 1, vcc_lo
	v_cmp_le_u16_e32 vcc_lo, v6, v2
	v_cndmask_b32_e64 v6, 0, 1, vcc_lo
	v_dual_cndmask_b32 v6, v6, v7, s0 :: v_dual_lshrrev_b32 v5, 1, v5
	s_delay_alu instid0(VALU_DEP_1) | instskip(NEXT) | instid1(VALU_DEP_1)
	v_dual_add_nc_u32 v7, 1, v5 :: v_dual_bitop2_b32 v6, 1, v6 bitop3:0x40
	v_cmp_eq_u32_e32 vcc_lo, 1, v6
	s_delay_alu instid0(VALU_DEP_2) | instskip(NEXT) | instid1(VALU_DEP_1)
	v_dual_cndmask_b32 v4, v5, v4 :: v_dual_cndmask_b32 v3, v3, v7
	v_cmp_ge_u32_e32 vcc_lo, v3, v4
	s_or_b32 s2, vcc_lo, s2
	s_delay_alu instid0(SALU_CYCLE_1)
	s_and_not1_b32 exec_lo, exec_lo, s2
	s_cbranch_execnz .LBB2224_8
; %bb.9:
	s_or_b32 exec_lo, exec_lo, s2
.LBB2224_10:
	s_delay_alu instid0(VALU_DEP_1)
	v_add_nc_u32_e32 v3, v3, v0
	s_or_b32 s9, s9, exec_lo
.LBB2224_11:
	s_or_b32 exec_lo, exec_lo, s10
	s_mov_b32 s10, 0
.LBB2224_12:
	s_delay_alu instid0(SALU_CYCLE_1)
	s_and_b32 vcc_lo, exec_lo, s10
	s_cbranch_vccz .LBB2224_18
; %bb.13:
	v_mov_b32_e32 v3, s3
	s_cmp_ge_u32 s1, s8
	s_cbranch_scc1 .LBB2224_17
; %bb.14:
	v_dual_mov_b32 v4, s8 :: v_dual_mov_b32 v3, s3
	s_mov_b32 s1, 0
.LBB2224_15:                            ; =>This Inner Loop Header: Depth=1
	s_delay_alu instid0(VALU_DEP_1) | instskip(NEXT) | instid1(VALU_DEP_1)
	v_add_nc_u32_e32 v5, v3, v4
	v_and_b32_e32 v6, -2, v5
	global_load_u16 v6, v6, s[4:5]
	s_wait_loadcnt 0x0
	v_add_f16_e32 v6, 0, v6
	s_delay_alu instid0(VALU_DEP_1) | instskip(SKIP_1) | instid1(VALU_DEP_1)
	v_cmp_lt_i16_e32 vcc_lo, -1, v6
	v_cndmask_b32_e64 v7, -1, 0xffff8000, vcc_lo
	v_xor_b32_e32 v6, v7, v6
	s_delay_alu instid0(VALU_DEP_1) | instskip(SKIP_3) | instid1(VALU_DEP_1)
	v_cmp_gt_u16_e32 vcc_lo, v2, v6
	v_cndmask_b32_e64 v7, 0, 1, vcc_lo
	v_cmp_le_u16_e32 vcc_lo, v6, v2
	v_cndmask_b32_e64 v6, 0, 1, vcc_lo
	v_dual_cndmask_b32 v6, v6, v7, s0 :: v_dual_lshrrev_b32 v5, 1, v5
	s_delay_alu instid0(VALU_DEP_1) | instskip(NEXT) | instid1(VALU_DEP_1)
	v_dual_add_nc_u32 v7, 1, v5 :: v_dual_bitop2_b32 v6, 1, v6 bitop3:0x40
	v_cmp_eq_u32_e32 vcc_lo, 1, v6
	s_delay_alu instid0(VALU_DEP_2) | instskip(NEXT) | instid1(VALU_DEP_1)
	v_dual_cndmask_b32 v4, v5, v4 :: v_dual_cndmask_b32 v3, v3, v7
	v_cmp_ge_u32_e32 vcc_lo, v3, v4
	s_or_b32 s1, vcc_lo, s1
	s_delay_alu instid0(SALU_CYCLE_1)
	s_and_not1_b32 exec_lo, exec_lo, s1
	s_cbranch_execnz .LBB2224_15
; %bb.16:
	s_or_b32 exec_lo, exec_lo, s1
.LBB2224_17:
	s_delay_alu instid0(VALU_DEP_1)
	v_add_nc_u32_e32 v3, v3, v0
	s_mov_b32 s9, -1
.LBB2224_18:
	s_delay_alu instid0(SALU_CYCLE_1)
	s_and_b32 exec_lo, exec_lo, s9
	s_cbranch_execz .LBB2224_20
; %bb.19:
	s_wait_loadcnt 0x0
	global_store_b16 v3, v1, s[6:7] scale_offset
.LBB2224_20:
	s_endpgm
	.section	.rodata,"a",@progbits
	.p2align	6, 0x0
	.amdhsa_kernel _ZN7rocprim17ROCPRIM_400000_NS6detail17trampoline_kernelINS0_14default_configENS1_38merge_sort_block_merge_config_selectorI6__halfNS0_10empty_typeEEEZZNS1_27merge_sort_block_merge_implIS3_PS5_PS6_jNS1_19radix_merge_compareILb0ELb0ES5_NS0_19identity_decomposerEEEEE10hipError_tT0_T1_T2_jT3_P12ihipStream_tbPNSt15iterator_traitsISF_E10value_typeEPNSL_ISG_E10value_typeEPSH_NS1_7vsmem_tEENKUlT_SF_SG_SH_E_clIS9_S9_SA_SA_EESE_SU_SF_SG_SH_EUlSU_E1_NS1_11comp_targetILNS1_3genE0ELNS1_11target_archE4294967295ELNS1_3gpuE0ELNS1_3repE0EEENS1_36merge_oddeven_config_static_selectorELNS0_4arch9wavefront6targetE0EEEvSG_
		.amdhsa_group_segment_fixed_size 0
		.amdhsa_private_segment_fixed_size 0
		.amdhsa_kernarg_size 48
		.amdhsa_user_sgpr_count 2
		.amdhsa_user_sgpr_dispatch_ptr 0
		.amdhsa_user_sgpr_queue_ptr 0
		.amdhsa_user_sgpr_kernarg_segment_ptr 1
		.amdhsa_user_sgpr_dispatch_id 0
		.amdhsa_user_sgpr_kernarg_preload_length 0
		.amdhsa_user_sgpr_kernarg_preload_offset 0
		.amdhsa_user_sgpr_private_segment_size 0
		.amdhsa_wavefront_size32 1
		.amdhsa_uses_dynamic_stack 0
		.amdhsa_enable_private_segment 0
		.amdhsa_system_sgpr_workgroup_id_x 1
		.amdhsa_system_sgpr_workgroup_id_y 0
		.amdhsa_system_sgpr_workgroup_id_z 0
		.amdhsa_system_sgpr_workgroup_info 0
		.amdhsa_system_vgpr_workitem_id 0
		.amdhsa_next_free_vgpr 8
		.amdhsa_next_free_sgpr 16
		.amdhsa_named_barrier_count 0
		.amdhsa_reserve_vcc 1
		.amdhsa_float_round_mode_32 0
		.amdhsa_float_round_mode_16_64 0
		.amdhsa_float_denorm_mode_32 3
		.amdhsa_float_denorm_mode_16_64 3
		.amdhsa_fp16_overflow 0
		.amdhsa_memory_ordered 1
		.amdhsa_forward_progress 1
		.amdhsa_inst_pref_size 6
		.amdhsa_round_robin_scheduling 0
		.amdhsa_exception_fp_ieee_invalid_op 0
		.amdhsa_exception_fp_denorm_src 0
		.amdhsa_exception_fp_ieee_div_zero 0
		.amdhsa_exception_fp_ieee_overflow 0
		.amdhsa_exception_fp_ieee_underflow 0
		.amdhsa_exception_fp_ieee_inexact 0
		.amdhsa_exception_int_div_zero 0
	.end_amdhsa_kernel
	.section	.text._ZN7rocprim17ROCPRIM_400000_NS6detail17trampoline_kernelINS0_14default_configENS1_38merge_sort_block_merge_config_selectorI6__halfNS0_10empty_typeEEEZZNS1_27merge_sort_block_merge_implIS3_PS5_PS6_jNS1_19radix_merge_compareILb0ELb0ES5_NS0_19identity_decomposerEEEEE10hipError_tT0_T1_T2_jT3_P12ihipStream_tbPNSt15iterator_traitsISF_E10value_typeEPNSL_ISG_E10value_typeEPSH_NS1_7vsmem_tEENKUlT_SF_SG_SH_E_clIS9_S9_SA_SA_EESE_SU_SF_SG_SH_EUlSU_E1_NS1_11comp_targetILNS1_3genE0ELNS1_11target_archE4294967295ELNS1_3gpuE0ELNS1_3repE0EEENS1_36merge_oddeven_config_static_selectorELNS0_4arch9wavefront6targetE0EEEvSG_,"axG",@progbits,_ZN7rocprim17ROCPRIM_400000_NS6detail17trampoline_kernelINS0_14default_configENS1_38merge_sort_block_merge_config_selectorI6__halfNS0_10empty_typeEEEZZNS1_27merge_sort_block_merge_implIS3_PS5_PS6_jNS1_19radix_merge_compareILb0ELb0ES5_NS0_19identity_decomposerEEEEE10hipError_tT0_T1_T2_jT3_P12ihipStream_tbPNSt15iterator_traitsISF_E10value_typeEPNSL_ISG_E10value_typeEPSH_NS1_7vsmem_tEENKUlT_SF_SG_SH_E_clIS9_S9_SA_SA_EESE_SU_SF_SG_SH_EUlSU_E1_NS1_11comp_targetILNS1_3genE0ELNS1_11target_archE4294967295ELNS1_3gpuE0ELNS1_3repE0EEENS1_36merge_oddeven_config_static_selectorELNS0_4arch9wavefront6targetE0EEEvSG_,comdat
.Lfunc_end2224:
	.size	_ZN7rocprim17ROCPRIM_400000_NS6detail17trampoline_kernelINS0_14default_configENS1_38merge_sort_block_merge_config_selectorI6__halfNS0_10empty_typeEEEZZNS1_27merge_sort_block_merge_implIS3_PS5_PS6_jNS1_19radix_merge_compareILb0ELb0ES5_NS0_19identity_decomposerEEEEE10hipError_tT0_T1_T2_jT3_P12ihipStream_tbPNSt15iterator_traitsISF_E10value_typeEPNSL_ISG_E10value_typeEPSH_NS1_7vsmem_tEENKUlT_SF_SG_SH_E_clIS9_S9_SA_SA_EESE_SU_SF_SG_SH_EUlSU_E1_NS1_11comp_targetILNS1_3genE0ELNS1_11target_archE4294967295ELNS1_3gpuE0ELNS1_3repE0EEENS1_36merge_oddeven_config_static_selectorELNS0_4arch9wavefront6targetE0EEEvSG_, .Lfunc_end2224-_ZN7rocprim17ROCPRIM_400000_NS6detail17trampoline_kernelINS0_14default_configENS1_38merge_sort_block_merge_config_selectorI6__halfNS0_10empty_typeEEEZZNS1_27merge_sort_block_merge_implIS3_PS5_PS6_jNS1_19radix_merge_compareILb0ELb0ES5_NS0_19identity_decomposerEEEEE10hipError_tT0_T1_T2_jT3_P12ihipStream_tbPNSt15iterator_traitsISF_E10value_typeEPNSL_ISG_E10value_typeEPSH_NS1_7vsmem_tEENKUlT_SF_SG_SH_E_clIS9_S9_SA_SA_EESE_SU_SF_SG_SH_EUlSU_E1_NS1_11comp_targetILNS1_3genE0ELNS1_11target_archE4294967295ELNS1_3gpuE0ELNS1_3repE0EEENS1_36merge_oddeven_config_static_selectorELNS0_4arch9wavefront6targetE0EEEvSG_
                                        ; -- End function
	.set _ZN7rocprim17ROCPRIM_400000_NS6detail17trampoline_kernelINS0_14default_configENS1_38merge_sort_block_merge_config_selectorI6__halfNS0_10empty_typeEEEZZNS1_27merge_sort_block_merge_implIS3_PS5_PS6_jNS1_19radix_merge_compareILb0ELb0ES5_NS0_19identity_decomposerEEEEE10hipError_tT0_T1_T2_jT3_P12ihipStream_tbPNSt15iterator_traitsISF_E10value_typeEPNSL_ISG_E10value_typeEPSH_NS1_7vsmem_tEENKUlT_SF_SG_SH_E_clIS9_S9_SA_SA_EESE_SU_SF_SG_SH_EUlSU_E1_NS1_11comp_targetILNS1_3genE0ELNS1_11target_archE4294967295ELNS1_3gpuE0ELNS1_3repE0EEENS1_36merge_oddeven_config_static_selectorELNS0_4arch9wavefront6targetE0EEEvSG_.num_vgpr, 8
	.set _ZN7rocprim17ROCPRIM_400000_NS6detail17trampoline_kernelINS0_14default_configENS1_38merge_sort_block_merge_config_selectorI6__halfNS0_10empty_typeEEEZZNS1_27merge_sort_block_merge_implIS3_PS5_PS6_jNS1_19radix_merge_compareILb0ELb0ES5_NS0_19identity_decomposerEEEEE10hipError_tT0_T1_T2_jT3_P12ihipStream_tbPNSt15iterator_traitsISF_E10value_typeEPNSL_ISG_E10value_typeEPSH_NS1_7vsmem_tEENKUlT_SF_SG_SH_E_clIS9_S9_SA_SA_EESE_SU_SF_SG_SH_EUlSU_E1_NS1_11comp_targetILNS1_3genE0ELNS1_11target_archE4294967295ELNS1_3gpuE0ELNS1_3repE0EEENS1_36merge_oddeven_config_static_selectorELNS0_4arch9wavefront6targetE0EEEvSG_.num_agpr, 0
	.set _ZN7rocprim17ROCPRIM_400000_NS6detail17trampoline_kernelINS0_14default_configENS1_38merge_sort_block_merge_config_selectorI6__halfNS0_10empty_typeEEEZZNS1_27merge_sort_block_merge_implIS3_PS5_PS6_jNS1_19radix_merge_compareILb0ELb0ES5_NS0_19identity_decomposerEEEEE10hipError_tT0_T1_T2_jT3_P12ihipStream_tbPNSt15iterator_traitsISF_E10value_typeEPNSL_ISG_E10value_typeEPSH_NS1_7vsmem_tEENKUlT_SF_SG_SH_E_clIS9_S9_SA_SA_EESE_SU_SF_SG_SH_EUlSU_E1_NS1_11comp_targetILNS1_3genE0ELNS1_11target_archE4294967295ELNS1_3gpuE0ELNS1_3repE0EEENS1_36merge_oddeven_config_static_selectorELNS0_4arch9wavefront6targetE0EEEvSG_.numbered_sgpr, 16
	.set _ZN7rocprim17ROCPRIM_400000_NS6detail17trampoline_kernelINS0_14default_configENS1_38merge_sort_block_merge_config_selectorI6__halfNS0_10empty_typeEEEZZNS1_27merge_sort_block_merge_implIS3_PS5_PS6_jNS1_19radix_merge_compareILb0ELb0ES5_NS0_19identity_decomposerEEEEE10hipError_tT0_T1_T2_jT3_P12ihipStream_tbPNSt15iterator_traitsISF_E10value_typeEPNSL_ISG_E10value_typeEPSH_NS1_7vsmem_tEENKUlT_SF_SG_SH_E_clIS9_S9_SA_SA_EESE_SU_SF_SG_SH_EUlSU_E1_NS1_11comp_targetILNS1_3genE0ELNS1_11target_archE4294967295ELNS1_3gpuE0ELNS1_3repE0EEENS1_36merge_oddeven_config_static_selectorELNS0_4arch9wavefront6targetE0EEEvSG_.num_named_barrier, 0
	.set _ZN7rocprim17ROCPRIM_400000_NS6detail17trampoline_kernelINS0_14default_configENS1_38merge_sort_block_merge_config_selectorI6__halfNS0_10empty_typeEEEZZNS1_27merge_sort_block_merge_implIS3_PS5_PS6_jNS1_19radix_merge_compareILb0ELb0ES5_NS0_19identity_decomposerEEEEE10hipError_tT0_T1_T2_jT3_P12ihipStream_tbPNSt15iterator_traitsISF_E10value_typeEPNSL_ISG_E10value_typeEPSH_NS1_7vsmem_tEENKUlT_SF_SG_SH_E_clIS9_S9_SA_SA_EESE_SU_SF_SG_SH_EUlSU_E1_NS1_11comp_targetILNS1_3genE0ELNS1_11target_archE4294967295ELNS1_3gpuE0ELNS1_3repE0EEENS1_36merge_oddeven_config_static_selectorELNS0_4arch9wavefront6targetE0EEEvSG_.private_seg_size, 0
	.set _ZN7rocprim17ROCPRIM_400000_NS6detail17trampoline_kernelINS0_14default_configENS1_38merge_sort_block_merge_config_selectorI6__halfNS0_10empty_typeEEEZZNS1_27merge_sort_block_merge_implIS3_PS5_PS6_jNS1_19radix_merge_compareILb0ELb0ES5_NS0_19identity_decomposerEEEEE10hipError_tT0_T1_T2_jT3_P12ihipStream_tbPNSt15iterator_traitsISF_E10value_typeEPNSL_ISG_E10value_typeEPSH_NS1_7vsmem_tEENKUlT_SF_SG_SH_E_clIS9_S9_SA_SA_EESE_SU_SF_SG_SH_EUlSU_E1_NS1_11comp_targetILNS1_3genE0ELNS1_11target_archE4294967295ELNS1_3gpuE0ELNS1_3repE0EEENS1_36merge_oddeven_config_static_selectorELNS0_4arch9wavefront6targetE0EEEvSG_.uses_vcc, 1
	.set _ZN7rocprim17ROCPRIM_400000_NS6detail17trampoline_kernelINS0_14default_configENS1_38merge_sort_block_merge_config_selectorI6__halfNS0_10empty_typeEEEZZNS1_27merge_sort_block_merge_implIS3_PS5_PS6_jNS1_19radix_merge_compareILb0ELb0ES5_NS0_19identity_decomposerEEEEE10hipError_tT0_T1_T2_jT3_P12ihipStream_tbPNSt15iterator_traitsISF_E10value_typeEPNSL_ISG_E10value_typeEPSH_NS1_7vsmem_tEENKUlT_SF_SG_SH_E_clIS9_S9_SA_SA_EESE_SU_SF_SG_SH_EUlSU_E1_NS1_11comp_targetILNS1_3genE0ELNS1_11target_archE4294967295ELNS1_3gpuE0ELNS1_3repE0EEENS1_36merge_oddeven_config_static_selectorELNS0_4arch9wavefront6targetE0EEEvSG_.uses_flat_scratch, 0
	.set _ZN7rocprim17ROCPRIM_400000_NS6detail17trampoline_kernelINS0_14default_configENS1_38merge_sort_block_merge_config_selectorI6__halfNS0_10empty_typeEEEZZNS1_27merge_sort_block_merge_implIS3_PS5_PS6_jNS1_19radix_merge_compareILb0ELb0ES5_NS0_19identity_decomposerEEEEE10hipError_tT0_T1_T2_jT3_P12ihipStream_tbPNSt15iterator_traitsISF_E10value_typeEPNSL_ISG_E10value_typeEPSH_NS1_7vsmem_tEENKUlT_SF_SG_SH_E_clIS9_S9_SA_SA_EESE_SU_SF_SG_SH_EUlSU_E1_NS1_11comp_targetILNS1_3genE0ELNS1_11target_archE4294967295ELNS1_3gpuE0ELNS1_3repE0EEENS1_36merge_oddeven_config_static_selectorELNS0_4arch9wavefront6targetE0EEEvSG_.has_dyn_sized_stack, 0
	.set _ZN7rocprim17ROCPRIM_400000_NS6detail17trampoline_kernelINS0_14default_configENS1_38merge_sort_block_merge_config_selectorI6__halfNS0_10empty_typeEEEZZNS1_27merge_sort_block_merge_implIS3_PS5_PS6_jNS1_19radix_merge_compareILb0ELb0ES5_NS0_19identity_decomposerEEEEE10hipError_tT0_T1_T2_jT3_P12ihipStream_tbPNSt15iterator_traitsISF_E10value_typeEPNSL_ISG_E10value_typeEPSH_NS1_7vsmem_tEENKUlT_SF_SG_SH_E_clIS9_S9_SA_SA_EESE_SU_SF_SG_SH_EUlSU_E1_NS1_11comp_targetILNS1_3genE0ELNS1_11target_archE4294967295ELNS1_3gpuE0ELNS1_3repE0EEENS1_36merge_oddeven_config_static_selectorELNS0_4arch9wavefront6targetE0EEEvSG_.has_recursion, 0
	.set _ZN7rocprim17ROCPRIM_400000_NS6detail17trampoline_kernelINS0_14default_configENS1_38merge_sort_block_merge_config_selectorI6__halfNS0_10empty_typeEEEZZNS1_27merge_sort_block_merge_implIS3_PS5_PS6_jNS1_19radix_merge_compareILb0ELb0ES5_NS0_19identity_decomposerEEEEE10hipError_tT0_T1_T2_jT3_P12ihipStream_tbPNSt15iterator_traitsISF_E10value_typeEPNSL_ISG_E10value_typeEPSH_NS1_7vsmem_tEENKUlT_SF_SG_SH_E_clIS9_S9_SA_SA_EESE_SU_SF_SG_SH_EUlSU_E1_NS1_11comp_targetILNS1_3genE0ELNS1_11target_archE4294967295ELNS1_3gpuE0ELNS1_3repE0EEENS1_36merge_oddeven_config_static_selectorELNS0_4arch9wavefront6targetE0EEEvSG_.has_indirect_call, 0
	.section	.AMDGPU.csdata,"",@progbits
; Kernel info:
; codeLenInByte = 764
; TotalNumSgprs: 18
; NumVgprs: 8
; ScratchSize: 0
; MemoryBound: 0
; FloatMode: 240
; IeeeMode: 1
; LDSByteSize: 0 bytes/workgroup (compile time only)
; SGPRBlocks: 0
; VGPRBlocks: 0
; NumSGPRsForWavesPerEU: 18
; NumVGPRsForWavesPerEU: 8
; NamedBarCnt: 0
; Occupancy: 16
; WaveLimiterHint : 0
; COMPUTE_PGM_RSRC2:SCRATCH_EN: 0
; COMPUTE_PGM_RSRC2:USER_SGPR: 2
; COMPUTE_PGM_RSRC2:TRAP_HANDLER: 0
; COMPUTE_PGM_RSRC2:TGID_X_EN: 1
; COMPUTE_PGM_RSRC2:TGID_Y_EN: 0
; COMPUTE_PGM_RSRC2:TGID_Z_EN: 0
; COMPUTE_PGM_RSRC2:TIDIG_COMP_CNT: 0
	.section	.text._ZN7rocprim17ROCPRIM_400000_NS6detail17trampoline_kernelINS0_14default_configENS1_38merge_sort_block_merge_config_selectorI6__halfNS0_10empty_typeEEEZZNS1_27merge_sort_block_merge_implIS3_PS5_PS6_jNS1_19radix_merge_compareILb0ELb0ES5_NS0_19identity_decomposerEEEEE10hipError_tT0_T1_T2_jT3_P12ihipStream_tbPNSt15iterator_traitsISF_E10value_typeEPNSL_ISG_E10value_typeEPSH_NS1_7vsmem_tEENKUlT_SF_SG_SH_E_clIS9_S9_SA_SA_EESE_SU_SF_SG_SH_EUlSU_E1_NS1_11comp_targetILNS1_3genE10ELNS1_11target_archE1201ELNS1_3gpuE5ELNS1_3repE0EEENS1_36merge_oddeven_config_static_selectorELNS0_4arch9wavefront6targetE0EEEvSG_,"axG",@progbits,_ZN7rocprim17ROCPRIM_400000_NS6detail17trampoline_kernelINS0_14default_configENS1_38merge_sort_block_merge_config_selectorI6__halfNS0_10empty_typeEEEZZNS1_27merge_sort_block_merge_implIS3_PS5_PS6_jNS1_19radix_merge_compareILb0ELb0ES5_NS0_19identity_decomposerEEEEE10hipError_tT0_T1_T2_jT3_P12ihipStream_tbPNSt15iterator_traitsISF_E10value_typeEPNSL_ISG_E10value_typeEPSH_NS1_7vsmem_tEENKUlT_SF_SG_SH_E_clIS9_S9_SA_SA_EESE_SU_SF_SG_SH_EUlSU_E1_NS1_11comp_targetILNS1_3genE10ELNS1_11target_archE1201ELNS1_3gpuE5ELNS1_3repE0EEENS1_36merge_oddeven_config_static_selectorELNS0_4arch9wavefront6targetE0EEEvSG_,comdat
	.protected	_ZN7rocprim17ROCPRIM_400000_NS6detail17trampoline_kernelINS0_14default_configENS1_38merge_sort_block_merge_config_selectorI6__halfNS0_10empty_typeEEEZZNS1_27merge_sort_block_merge_implIS3_PS5_PS6_jNS1_19radix_merge_compareILb0ELb0ES5_NS0_19identity_decomposerEEEEE10hipError_tT0_T1_T2_jT3_P12ihipStream_tbPNSt15iterator_traitsISF_E10value_typeEPNSL_ISG_E10value_typeEPSH_NS1_7vsmem_tEENKUlT_SF_SG_SH_E_clIS9_S9_SA_SA_EESE_SU_SF_SG_SH_EUlSU_E1_NS1_11comp_targetILNS1_3genE10ELNS1_11target_archE1201ELNS1_3gpuE5ELNS1_3repE0EEENS1_36merge_oddeven_config_static_selectorELNS0_4arch9wavefront6targetE0EEEvSG_ ; -- Begin function _ZN7rocprim17ROCPRIM_400000_NS6detail17trampoline_kernelINS0_14default_configENS1_38merge_sort_block_merge_config_selectorI6__halfNS0_10empty_typeEEEZZNS1_27merge_sort_block_merge_implIS3_PS5_PS6_jNS1_19radix_merge_compareILb0ELb0ES5_NS0_19identity_decomposerEEEEE10hipError_tT0_T1_T2_jT3_P12ihipStream_tbPNSt15iterator_traitsISF_E10value_typeEPNSL_ISG_E10value_typeEPSH_NS1_7vsmem_tEENKUlT_SF_SG_SH_E_clIS9_S9_SA_SA_EESE_SU_SF_SG_SH_EUlSU_E1_NS1_11comp_targetILNS1_3genE10ELNS1_11target_archE1201ELNS1_3gpuE5ELNS1_3repE0EEENS1_36merge_oddeven_config_static_selectorELNS0_4arch9wavefront6targetE0EEEvSG_
	.globl	_ZN7rocprim17ROCPRIM_400000_NS6detail17trampoline_kernelINS0_14default_configENS1_38merge_sort_block_merge_config_selectorI6__halfNS0_10empty_typeEEEZZNS1_27merge_sort_block_merge_implIS3_PS5_PS6_jNS1_19radix_merge_compareILb0ELb0ES5_NS0_19identity_decomposerEEEEE10hipError_tT0_T1_T2_jT3_P12ihipStream_tbPNSt15iterator_traitsISF_E10value_typeEPNSL_ISG_E10value_typeEPSH_NS1_7vsmem_tEENKUlT_SF_SG_SH_E_clIS9_S9_SA_SA_EESE_SU_SF_SG_SH_EUlSU_E1_NS1_11comp_targetILNS1_3genE10ELNS1_11target_archE1201ELNS1_3gpuE5ELNS1_3repE0EEENS1_36merge_oddeven_config_static_selectorELNS0_4arch9wavefront6targetE0EEEvSG_
	.p2align	8
	.type	_ZN7rocprim17ROCPRIM_400000_NS6detail17trampoline_kernelINS0_14default_configENS1_38merge_sort_block_merge_config_selectorI6__halfNS0_10empty_typeEEEZZNS1_27merge_sort_block_merge_implIS3_PS5_PS6_jNS1_19radix_merge_compareILb0ELb0ES5_NS0_19identity_decomposerEEEEE10hipError_tT0_T1_T2_jT3_P12ihipStream_tbPNSt15iterator_traitsISF_E10value_typeEPNSL_ISG_E10value_typeEPSH_NS1_7vsmem_tEENKUlT_SF_SG_SH_E_clIS9_S9_SA_SA_EESE_SU_SF_SG_SH_EUlSU_E1_NS1_11comp_targetILNS1_3genE10ELNS1_11target_archE1201ELNS1_3gpuE5ELNS1_3repE0EEENS1_36merge_oddeven_config_static_selectorELNS0_4arch9wavefront6targetE0EEEvSG_,@function
_ZN7rocprim17ROCPRIM_400000_NS6detail17trampoline_kernelINS0_14default_configENS1_38merge_sort_block_merge_config_selectorI6__halfNS0_10empty_typeEEEZZNS1_27merge_sort_block_merge_implIS3_PS5_PS6_jNS1_19radix_merge_compareILb0ELb0ES5_NS0_19identity_decomposerEEEEE10hipError_tT0_T1_T2_jT3_P12ihipStream_tbPNSt15iterator_traitsISF_E10value_typeEPNSL_ISG_E10value_typeEPSH_NS1_7vsmem_tEENKUlT_SF_SG_SH_E_clIS9_S9_SA_SA_EESE_SU_SF_SG_SH_EUlSU_E1_NS1_11comp_targetILNS1_3genE10ELNS1_11target_archE1201ELNS1_3gpuE5ELNS1_3repE0EEENS1_36merge_oddeven_config_static_selectorELNS0_4arch9wavefront6targetE0EEEvSG_: ; @_ZN7rocprim17ROCPRIM_400000_NS6detail17trampoline_kernelINS0_14default_configENS1_38merge_sort_block_merge_config_selectorI6__halfNS0_10empty_typeEEEZZNS1_27merge_sort_block_merge_implIS3_PS5_PS6_jNS1_19radix_merge_compareILb0ELb0ES5_NS0_19identity_decomposerEEEEE10hipError_tT0_T1_T2_jT3_P12ihipStream_tbPNSt15iterator_traitsISF_E10value_typeEPNSL_ISG_E10value_typeEPSH_NS1_7vsmem_tEENKUlT_SF_SG_SH_E_clIS9_S9_SA_SA_EESE_SU_SF_SG_SH_EUlSU_E1_NS1_11comp_targetILNS1_3genE10ELNS1_11target_archE1201ELNS1_3gpuE5ELNS1_3repE0EEENS1_36merge_oddeven_config_static_selectorELNS0_4arch9wavefront6targetE0EEEvSG_
; %bb.0:
	.section	.rodata,"a",@progbits
	.p2align	6, 0x0
	.amdhsa_kernel _ZN7rocprim17ROCPRIM_400000_NS6detail17trampoline_kernelINS0_14default_configENS1_38merge_sort_block_merge_config_selectorI6__halfNS0_10empty_typeEEEZZNS1_27merge_sort_block_merge_implIS3_PS5_PS6_jNS1_19radix_merge_compareILb0ELb0ES5_NS0_19identity_decomposerEEEEE10hipError_tT0_T1_T2_jT3_P12ihipStream_tbPNSt15iterator_traitsISF_E10value_typeEPNSL_ISG_E10value_typeEPSH_NS1_7vsmem_tEENKUlT_SF_SG_SH_E_clIS9_S9_SA_SA_EESE_SU_SF_SG_SH_EUlSU_E1_NS1_11comp_targetILNS1_3genE10ELNS1_11target_archE1201ELNS1_3gpuE5ELNS1_3repE0EEENS1_36merge_oddeven_config_static_selectorELNS0_4arch9wavefront6targetE0EEEvSG_
		.amdhsa_group_segment_fixed_size 0
		.amdhsa_private_segment_fixed_size 0
		.amdhsa_kernarg_size 48
		.amdhsa_user_sgpr_count 2
		.amdhsa_user_sgpr_dispatch_ptr 0
		.amdhsa_user_sgpr_queue_ptr 0
		.amdhsa_user_sgpr_kernarg_segment_ptr 1
		.amdhsa_user_sgpr_dispatch_id 0
		.amdhsa_user_sgpr_kernarg_preload_length 0
		.amdhsa_user_sgpr_kernarg_preload_offset 0
		.amdhsa_user_sgpr_private_segment_size 0
		.amdhsa_wavefront_size32 1
		.amdhsa_uses_dynamic_stack 0
		.amdhsa_enable_private_segment 0
		.amdhsa_system_sgpr_workgroup_id_x 1
		.amdhsa_system_sgpr_workgroup_id_y 0
		.amdhsa_system_sgpr_workgroup_id_z 0
		.amdhsa_system_sgpr_workgroup_info 0
		.amdhsa_system_vgpr_workitem_id 0
		.amdhsa_next_free_vgpr 1
		.amdhsa_next_free_sgpr 1
		.amdhsa_named_barrier_count 0
		.amdhsa_reserve_vcc 0
		.amdhsa_float_round_mode_32 0
		.amdhsa_float_round_mode_16_64 0
		.amdhsa_float_denorm_mode_32 3
		.amdhsa_float_denorm_mode_16_64 3
		.amdhsa_fp16_overflow 0
		.amdhsa_memory_ordered 1
		.amdhsa_forward_progress 1
		.amdhsa_inst_pref_size 0
		.amdhsa_round_robin_scheduling 0
		.amdhsa_exception_fp_ieee_invalid_op 0
		.amdhsa_exception_fp_denorm_src 0
		.amdhsa_exception_fp_ieee_div_zero 0
		.amdhsa_exception_fp_ieee_overflow 0
		.amdhsa_exception_fp_ieee_underflow 0
		.amdhsa_exception_fp_ieee_inexact 0
		.amdhsa_exception_int_div_zero 0
	.end_amdhsa_kernel
	.section	.text._ZN7rocprim17ROCPRIM_400000_NS6detail17trampoline_kernelINS0_14default_configENS1_38merge_sort_block_merge_config_selectorI6__halfNS0_10empty_typeEEEZZNS1_27merge_sort_block_merge_implIS3_PS5_PS6_jNS1_19radix_merge_compareILb0ELb0ES5_NS0_19identity_decomposerEEEEE10hipError_tT0_T1_T2_jT3_P12ihipStream_tbPNSt15iterator_traitsISF_E10value_typeEPNSL_ISG_E10value_typeEPSH_NS1_7vsmem_tEENKUlT_SF_SG_SH_E_clIS9_S9_SA_SA_EESE_SU_SF_SG_SH_EUlSU_E1_NS1_11comp_targetILNS1_3genE10ELNS1_11target_archE1201ELNS1_3gpuE5ELNS1_3repE0EEENS1_36merge_oddeven_config_static_selectorELNS0_4arch9wavefront6targetE0EEEvSG_,"axG",@progbits,_ZN7rocprim17ROCPRIM_400000_NS6detail17trampoline_kernelINS0_14default_configENS1_38merge_sort_block_merge_config_selectorI6__halfNS0_10empty_typeEEEZZNS1_27merge_sort_block_merge_implIS3_PS5_PS6_jNS1_19radix_merge_compareILb0ELb0ES5_NS0_19identity_decomposerEEEEE10hipError_tT0_T1_T2_jT3_P12ihipStream_tbPNSt15iterator_traitsISF_E10value_typeEPNSL_ISG_E10value_typeEPSH_NS1_7vsmem_tEENKUlT_SF_SG_SH_E_clIS9_S9_SA_SA_EESE_SU_SF_SG_SH_EUlSU_E1_NS1_11comp_targetILNS1_3genE10ELNS1_11target_archE1201ELNS1_3gpuE5ELNS1_3repE0EEENS1_36merge_oddeven_config_static_selectorELNS0_4arch9wavefront6targetE0EEEvSG_,comdat
.Lfunc_end2225:
	.size	_ZN7rocprim17ROCPRIM_400000_NS6detail17trampoline_kernelINS0_14default_configENS1_38merge_sort_block_merge_config_selectorI6__halfNS0_10empty_typeEEEZZNS1_27merge_sort_block_merge_implIS3_PS5_PS6_jNS1_19radix_merge_compareILb0ELb0ES5_NS0_19identity_decomposerEEEEE10hipError_tT0_T1_T2_jT3_P12ihipStream_tbPNSt15iterator_traitsISF_E10value_typeEPNSL_ISG_E10value_typeEPSH_NS1_7vsmem_tEENKUlT_SF_SG_SH_E_clIS9_S9_SA_SA_EESE_SU_SF_SG_SH_EUlSU_E1_NS1_11comp_targetILNS1_3genE10ELNS1_11target_archE1201ELNS1_3gpuE5ELNS1_3repE0EEENS1_36merge_oddeven_config_static_selectorELNS0_4arch9wavefront6targetE0EEEvSG_, .Lfunc_end2225-_ZN7rocprim17ROCPRIM_400000_NS6detail17trampoline_kernelINS0_14default_configENS1_38merge_sort_block_merge_config_selectorI6__halfNS0_10empty_typeEEEZZNS1_27merge_sort_block_merge_implIS3_PS5_PS6_jNS1_19radix_merge_compareILb0ELb0ES5_NS0_19identity_decomposerEEEEE10hipError_tT0_T1_T2_jT3_P12ihipStream_tbPNSt15iterator_traitsISF_E10value_typeEPNSL_ISG_E10value_typeEPSH_NS1_7vsmem_tEENKUlT_SF_SG_SH_E_clIS9_S9_SA_SA_EESE_SU_SF_SG_SH_EUlSU_E1_NS1_11comp_targetILNS1_3genE10ELNS1_11target_archE1201ELNS1_3gpuE5ELNS1_3repE0EEENS1_36merge_oddeven_config_static_selectorELNS0_4arch9wavefront6targetE0EEEvSG_
                                        ; -- End function
	.set _ZN7rocprim17ROCPRIM_400000_NS6detail17trampoline_kernelINS0_14default_configENS1_38merge_sort_block_merge_config_selectorI6__halfNS0_10empty_typeEEEZZNS1_27merge_sort_block_merge_implIS3_PS5_PS6_jNS1_19radix_merge_compareILb0ELb0ES5_NS0_19identity_decomposerEEEEE10hipError_tT0_T1_T2_jT3_P12ihipStream_tbPNSt15iterator_traitsISF_E10value_typeEPNSL_ISG_E10value_typeEPSH_NS1_7vsmem_tEENKUlT_SF_SG_SH_E_clIS9_S9_SA_SA_EESE_SU_SF_SG_SH_EUlSU_E1_NS1_11comp_targetILNS1_3genE10ELNS1_11target_archE1201ELNS1_3gpuE5ELNS1_3repE0EEENS1_36merge_oddeven_config_static_selectorELNS0_4arch9wavefront6targetE0EEEvSG_.num_vgpr, 0
	.set _ZN7rocprim17ROCPRIM_400000_NS6detail17trampoline_kernelINS0_14default_configENS1_38merge_sort_block_merge_config_selectorI6__halfNS0_10empty_typeEEEZZNS1_27merge_sort_block_merge_implIS3_PS5_PS6_jNS1_19radix_merge_compareILb0ELb0ES5_NS0_19identity_decomposerEEEEE10hipError_tT0_T1_T2_jT3_P12ihipStream_tbPNSt15iterator_traitsISF_E10value_typeEPNSL_ISG_E10value_typeEPSH_NS1_7vsmem_tEENKUlT_SF_SG_SH_E_clIS9_S9_SA_SA_EESE_SU_SF_SG_SH_EUlSU_E1_NS1_11comp_targetILNS1_3genE10ELNS1_11target_archE1201ELNS1_3gpuE5ELNS1_3repE0EEENS1_36merge_oddeven_config_static_selectorELNS0_4arch9wavefront6targetE0EEEvSG_.num_agpr, 0
	.set _ZN7rocprim17ROCPRIM_400000_NS6detail17trampoline_kernelINS0_14default_configENS1_38merge_sort_block_merge_config_selectorI6__halfNS0_10empty_typeEEEZZNS1_27merge_sort_block_merge_implIS3_PS5_PS6_jNS1_19radix_merge_compareILb0ELb0ES5_NS0_19identity_decomposerEEEEE10hipError_tT0_T1_T2_jT3_P12ihipStream_tbPNSt15iterator_traitsISF_E10value_typeEPNSL_ISG_E10value_typeEPSH_NS1_7vsmem_tEENKUlT_SF_SG_SH_E_clIS9_S9_SA_SA_EESE_SU_SF_SG_SH_EUlSU_E1_NS1_11comp_targetILNS1_3genE10ELNS1_11target_archE1201ELNS1_3gpuE5ELNS1_3repE0EEENS1_36merge_oddeven_config_static_selectorELNS0_4arch9wavefront6targetE0EEEvSG_.numbered_sgpr, 0
	.set _ZN7rocprim17ROCPRIM_400000_NS6detail17trampoline_kernelINS0_14default_configENS1_38merge_sort_block_merge_config_selectorI6__halfNS0_10empty_typeEEEZZNS1_27merge_sort_block_merge_implIS3_PS5_PS6_jNS1_19radix_merge_compareILb0ELb0ES5_NS0_19identity_decomposerEEEEE10hipError_tT0_T1_T2_jT3_P12ihipStream_tbPNSt15iterator_traitsISF_E10value_typeEPNSL_ISG_E10value_typeEPSH_NS1_7vsmem_tEENKUlT_SF_SG_SH_E_clIS9_S9_SA_SA_EESE_SU_SF_SG_SH_EUlSU_E1_NS1_11comp_targetILNS1_3genE10ELNS1_11target_archE1201ELNS1_3gpuE5ELNS1_3repE0EEENS1_36merge_oddeven_config_static_selectorELNS0_4arch9wavefront6targetE0EEEvSG_.num_named_barrier, 0
	.set _ZN7rocprim17ROCPRIM_400000_NS6detail17trampoline_kernelINS0_14default_configENS1_38merge_sort_block_merge_config_selectorI6__halfNS0_10empty_typeEEEZZNS1_27merge_sort_block_merge_implIS3_PS5_PS6_jNS1_19radix_merge_compareILb0ELb0ES5_NS0_19identity_decomposerEEEEE10hipError_tT0_T1_T2_jT3_P12ihipStream_tbPNSt15iterator_traitsISF_E10value_typeEPNSL_ISG_E10value_typeEPSH_NS1_7vsmem_tEENKUlT_SF_SG_SH_E_clIS9_S9_SA_SA_EESE_SU_SF_SG_SH_EUlSU_E1_NS1_11comp_targetILNS1_3genE10ELNS1_11target_archE1201ELNS1_3gpuE5ELNS1_3repE0EEENS1_36merge_oddeven_config_static_selectorELNS0_4arch9wavefront6targetE0EEEvSG_.private_seg_size, 0
	.set _ZN7rocprim17ROCPRIM_400000_NS6detail17trampoline_kernelINS0_14default_configENS1_38merge_sort_block_merge_config_selectorI6__halfNS0_10empty_typeEEEZZNS1_27merge_sort_block_merge_implIS3_PS5_PS6_jNS1_19radix_merge_compareILb0ELb0ES5_NS0_19identity_decomposerEEEEE10hipError_tT0_T1_T2_jT3_P12ihipStream_tbPNSt15iterator_traitsISF_E10value_typeEPNSL_ISG_E10value_typeEPSH_NS1_7vsmem_tEENKUlT_SF_SG_SH_E_clIS9_S9_SA_SA_EESE_SU_SF_SG_SH_EUlSU_E1_NS1_11comp_targetILNS1_3genE10ELNS1_11target_archE1201ELNS1_3gpuE5ELNS1_3repE0EEENS1_36merge_oddeven_config_static_selectorELNS0_4arch9wavefront6targetE0EEEvSG_.uses_vcc, 0
	.set _ZN7rocprim17ROCPRIM_400000_NS6detail17trampoline_kernelINS0_14default_configENS1_38merge_sort_block_merge_config_selectorI6__halfNS0_10empty_typeEEEZZNS1_27merge_sort_block_merge_implIS3_PS5_PS6_jNS1_19radix_merge_compareILb0ELb0ES5_NS0_19identity_decomposerEEEEE10hipError_tT0_T1_T2_jT3_P12ihipStream_tbPNSt15iterator_traitsISF_E10value_typeEPNSL_ISG_E10value_typeEPSH_NS1_7vsmem_tEENKUlT_SF_SG_SH_E_clIS9_S9_SA_SA_EESE_SU_SF_SG_SH_EUlSU_E1_NS1_11comp_targetILNS1_3genE10ELNS1_11target_archE1201ELNS1_3gpuE5ELNS1_3repE0EEENS1_36merge_oddeven_config_static_selectorELNS0_4arch9wavefront6targetE0EEEvSG_.uses_flat_scratch, 0
	.set _ZN7rocprim17ROCPRIM_400000_NS6detail17trampoline_kernelINS0_14default_configENS1_38merge_sort_block_merge_config_selectorI6__halfNS0_10empty_typeEEEZZNS1_27merge_sort_block_merge_implIS3_PS5_PS6_jNS1_19radix_merge_compareILb0ELb0ES5_NS0_19identity_decomposerEEEEE10hipError_tT0_T1_T2_jT3_P12ihipStream_tbPNSt15iterator_traitsISF_E10value_typeEPNSL_ISG_E10value_typeEPSH_NS1_7vsmem_tEENKUlT_SF_SG_SH_E_clIS9_S9_SA_SA_EESE_SU_SF_SG_SH_EUlSU_E1_NS1_11comp_targetILNS1_3genE10ELNS1_11target_archE1201ELNS1_3gpuE5ELNS1_3repE0EEENS1_36merge_oddeven_config_static_selectorELNS0_4arch9wavefront6targetE0EEEvSG_.has_dyn_sized_stack, 0
	.set _ZN7rocprim17ROCPRIM_400000_NS6detail17trampoline_kernelINS0_14default_configENS1_38merge_sort_block_merge_config_selectorI6__halfNS0_10empty_typeEEEZZNS1_27merge_sort_block_merge_implIS3_PS5_PS6_jNS1_19radix_merge_compareILb0ELb0ES5_NS0_19identity_decomposerEEEEE10hipError_tT0_T1_T2_jT3_P12ihipStream_tbPNSt15iterator_traitsISF_E10value_typeEPNSL_ISG_E10value_typeEPSH_NS1_7vsmem_tEENKUlT_SF_SG_SH_E_clIS9_S9_SA_SA_EESE_SU_SF_SG_SH_EUlSU_E1_NS1_11comp_targetILNS1_3genE10ELNS1_11target_archE1201ELNS1_3gpuE5ELNS1_3repE0EEENS1_36merge_oddeven_config_static_selectorELNS0_4arch9wavefront6targetE0EEEvSG_.has_recursion, 0
	.set _ZN7rocprim17ROCPRIM_400000_NS6detail17trampoline_kernelINS0_14default_configENS1_38merge_sort_block_merge_config_selectorI6__halfNS0_10empty_typeEEEZZNS1_27merge_sort_block_merge_implIS3_PS5_PS6_jNS1_19radix_merge_compareILb0ELb0ES5_NS0_19identity_decomposerEEEEE10hipError_tT0_T1_T2_jT3_P12ihipStream_tbPNSt15iterator_traitsISF_E10value_typeEPNSL_ISG_E10value_typeEPSH_NS1_7vsmem_tEENKUlT_SF_SG_SH_E_clIS9_S9_SA_SA_EESE_SU_SF_SG_SH_EUlSU_E1_NS1_11comp_targetILNS1_3genE10ELNS1_11target_archE1201ELNS1_3gpuE5ELNS1_3repE0EEENS1_36merge_oddeven_config_static_selectorELNS0_4arch9wavefront6targetE0EEEvSG_.has_indirect_call, 0
	.section	.AMDGPU.csdata,"",@progbits
; Kernel info:
; codeLenInByte = 0
; TotalNumSgprs: 0
; NumVgprs: 0
; ScratchSize: 0
; MemoryBound: 0
; FloatMode: 240
; IeeeMode: 1
; LDSByteSize: 0 bytes/workgroup (compile time only)
; SGPRBlocks: 0
; VGPRBlocks: 0
; NumSGPRsForWavesPerEU: 1
; NumVGPRsForWavesPerEU: 1
; NamedBarCnt: 0
; Occupancy: 16
; WaveLimiterHint : 0
; COMPUTE_PGM_RSRC2:SCRATCH_EN: 0
; COMPUTE_PGM_RSRC2:USER_SGPR: 2
; COMPUTE_PGM_RSRC2:TRAP_HANDLER: 0
; COMPUTE_PGM_RSRC2:TGID_X_EN: 1
; COMPUTE_PGM_RSRC2:TGID_Y_EN: 0
; COMPUTE_PGM_RSRC2:TGID_Z_EN: 0
; COMPUTE_PGM_RSRC2:TIDIG_COMP_CNT: 0
	.section	.text._ZN7rocprim17ROCPRIM_400000_NS6detail17trampoline_kernelINS0_14default_configENS1_38merge_sort_block_merge_config_selectorI6__halfNS0_10empty_typeEEEZZNS1_27merge_sort_block_merge_implIS3_PS5_PS6_jNS1_19radix_merge_compareILb0ELb0ES5_NS0_19identity_decomposerEEEEE10hipError_tT0_T1_T2_jT3_P12ihipStream_tbPNSt15iterator_traitsISF_E10value_typeEPNSL_ISG_E10value_typeEPSH_NS1_7vsmem_tEENKUlT_SF_SG_SH_E_clIS9_S9_SA_SA_EESE_SU_SF_SG_SH_EUlSU_E1_NS1_11comp_targetILNS1_3genE5ELNS1_11target_archE942ELNS1_3gpuE9ELNS1_3repE0EEENS1_36merge_oddeven_config_static_selectorELNS0_4arch9wavefront6targetE0EEEvSG_,"axG",@progbits,_ZN7rocprim17ROCPRIM_400000_NS6detail17trampoline_kernelINS0_14default_configENS1_38merge_sort_block_merge_config_selectorI6__halfNS0_10empty_typeEEEZZNS1_27merge_sort_block_merge_implIS3_PS5_PS6_jNS1_19radix_merge_compareILb0ELb0ES5_NS0_19identity_decomposerEEEEE10hipError_tT0_T1_T2_jT3_P12ihipStream_tbPNSt15iterator_traitsISF_E10value_typeEPNSL_ISG_E10value_typeEPSH_NS1_7vsmem_tEENKUlT_SF_SG_SH_E_clIS9_S9_SA_SA_EESE_SU_SF_SG_SH_EUlSU_E1_NS1_11comp_targetILNS1_3genE5ELNS1_11target_archE942ELNS1_3gpuE9ELNS1_3repE0EEENS1_36merge_oddeven_config_static_selectorELNS0_4arch9wavefront6targetE0EEEvSG_,comdat
	.protected	_ZN7rocprim17ROCPRIM_400000_NS6detail17trampoline_kernelINS0_14default_configENS1_38merge_sort_block_merge_config_selectorI6__halfNS0_10empty_typeEEEZZNS1_27merge_sort_block_merge_implIS3_PS5_PS6_jNS1_19radix_merge_compareILb0ELb0ES5_NS0_19identity_decomposerEEEEE10hipError_tT0_T1_T2_jT3_P12ihipStream_tbPNSt15iterator_traitsISF_E10value_typeEPNSL_ISG_E10value_typeEPSH_NS1_7vsmem_tEENKUlT_SF_SG_SH_E_clIS9_S9_SA_SA_EESE_SU_SF_SG_SH_EUlSU_E1_NS1_11comp_targetILNS1_3genE5ELNS1_11target_archE942ELNS1_3gpuE9ELNS1_3repE0EEENS1_36merge_oddeven_config_static_selectorELNS0_4arch9wavefront6targetE0EEEvSG_ ; -- Begin function _ZN7rocprim17ROCPRIM_400000_NS6detail17trampoline_kernelINS0_14default_configENS1_38merge_sort_block_merge_config_selectorI6__halfNS0_10empty_typeEEEZZNS1_27merge_sort_block_merge_implIS3_PS5_PS6_jNS1_19radix_merge_compareILb0ELb0ES5_NS0_19identity_decomposerEEEEE10hipError_tT0_T1_T2_jT3_P12ihipStream_tbPNSt15iterator_traitsISF_E10value_typeEPNSL_ISG_E10value_typeEPSH_NS1_7vsmem_tEENKUlT_SF_SG_SH_E_clIS9_S9_SA_SA_EESE_SU_SF_SG_SH_EUlSU_E1_NS1_11comp_targetILNS1_3genE5ELNS1_11target_archE942ELNS1_3gpuE9ELNS1_3repE0EEENS1_36merge_oddeven_config_static_selectorELNS0_4arch9wavefront6targetE0EEEvSG_
	.globl	_ZN7rocprim17ROCPRIM_400000_NS6detail17trampoline_kernelINS0_14default_configENS1_38merge_sort_block_merge_config_selectorI6__halfNS0_10empty_typeEEEZZNS1_27merge_sort_block_merge_implIS3_PS5_PS6_jNS1_19radix_merge_compareILb0ELb0ES5_NS0_19identity_decomposerEEEEE10hipError_tT0_T1_T2_jT3_P12ihipStream_tbPNSt15iterator_traitsISF_E10value_typeEPNSL_ISG_E10value_typeEPSH_NS1_7vsmem_tEENKUlT_SF_SG_SH_E_clIS9_S9_SA_SA_EESE_SU_SF_SG_SH_EUlSU_E1_NS1_11comp_targetILNS1_3genE5ELNS1_11target_archE942ELNS1_3gpuE9ELNS1_3repE0EEENS1_36merge_oddeven_config_static_selectorELNS0_4arch9wavefront6targetE0EEEvSG_
	.p2align	8
	.type	_ZN7rocprim17ROCPRIM_400000_NS6detail17trampoline_kernelINS0_14default_configENS1_38merge_sort_block_merge_config_selectorI6__halfNS0_10empty_typeEEEZZNS1_27merge_sort_block_merge_implIS3_PS5_PS6_jNS1_19radix_merge_compareILb0ELb0ES5_NS0_19identity_decomposerEEEEE10hipError_tT0_T1_T2_jT3_P12ihipStream_tbPNSt15iterator_traitsISF_E10value_typeEPNSL_ISG_E10value_typeEPSH_NS1_7vsmem_tEENKUlT_SF_SG_SH_E_clIS9_S9_SA_SA_EESE_SU_SF_SG_SH_EUlSU_E1_NS1_11comp_targetILNS1_3genE5ELNS1_11target_archE942ELNS1_3gpuE9ELNS1_3repE0EEENS1_36merge_oddeven_config_static_selectorELNS0_4arch9wavefront6targetE0EEEvSG_,@function
_ZN7rocprim17ROCPRIM_400000_NS6detail17trampoline_kernelINS0_14default_configENS1_38merge_sort_block_merge_config_selectorI6__halfNS0_10empty_typeEEEZZNS1_27merge_sort_block_merge_implIS3_PS5_PS6_jNS1_19radix_merge_compareILb0ELb0ES5_NS0_19identity_decomposerEEEEE10hipError_tT0_T1_T2_jT3_P12ihipStream_tbPNSt15iterator_traitsISF_E10value_typeEPNSL_ISG_E10value_typeEPSH_NS1_7vsmem_tEENKUlT_SF_SG_SH_E_clIS9_S9_SA_SA_EESE_SU_SF_SG_SH_EUlSU_E1_NS1_11comp_targetILNS1_3genE5ELNS1_11target_archE942ELNS1_3gpuE9ELNS1_3repE0EEENS1_36merge_oddeven_config_static_selectorELNS0_4arch9wavefront6targetE0EEEvSG_: ; @_ZN7rocprim17ROCPRIM_400000_NS6detail17trampoline_kernelINS0_14default_configENS1_38merge_sort_block_merge_config_selectorI6__halfNS0_10empty_typeEEEZZNS1_27merge_sort_block_merge_implIS3_PS5_PS6_jNS1_19radix_merge_compareILb0ELb0ES5_NS0_19identity_decomposerEEEEE10hipError_tT0_T1_T2_jT3_P12ihipStream_tbPNSt15iterator_traitsISF_E10value_typeEPNSL_ISG_E10value_typeEPSH_NS1_7vsmem_tEENKUlT_SF_SG_SH_E_clIS9_S9_SA_SA_EESE_SU_SF_SG_SH_EUlSU_E1_NS1_11comp_targetILNS1_3genE5ELNS1_11target_archE942ELNS1_3gpuE9ELNS1_3repE0EEENS1_36merge_oddeven_config_static_selectorELNS0_4arch9wavefront6targetE0EEEvSG_
; %bb.0:
	.section	.rodata,"a",@progbits
	.p2align	6, 0x0
	.amdhsa_kernel _ZN7rocprim17ROCPRIM_400000_NS6detail17trampoline_kernelINS0_14default_configENS1_38merge_sort_block_merge_config_selectorI6__halfNS0_10empty_typeEEEZZNS1_27merge_sort_block_merge_implIS3_PS5_PS6_jNS1_19radix_merge_compareILb0ELb0ES5_NS0_19identity_decomposerEEEEE10hipError_tT0_T1_T2_jT3_P12ihipStream_tbPNSt15iterator_traitsISF_E10value_typeEPNSL_ISG_E10value_typeEPSH_NS1_7vsmem_tEENKUlT_SF_SG_SH_E_clIS9_S9_SA_SA_EESE_SU_SF_SG_SH_EUlSU_E1_NS1_11comp_targetILNS1_3genE5ELNS1_11target_archE942ELNS1_3gpuE9ELNS1_3repE0EEENS1_36merge_oddeven_config_static_selectorELNS0_4arch9wavefront6targetE0EEEvSG_
		.amdhsa_group_segment_fixed_size 0
		.amdhsa_private_segment_fixed_size 0
		.amdhsa_kernarg_size 48
		.amdhsa_user_sgpr_count 2
		.amdhsa_user_sgpr_dispatch_ptr 0
		.amdhsa_user_sgpr_queue_ptr 0
		.amdhsa_user_sgpr_kernarg_segment_ptr 1
		.amdhsa_user_sgpr_dispatch_id 0
		.amdhsa_user_sgpr_kernarg_preload_length 0
		.amdhsa_user_sgpr_kernarg_preload_offset 0
		.amdhsa_user_sgpr_private_segment_size 0
		.amdhsa_wavefront_size32 1
		.amdhsa_uses_dynamic_stack 0
		.amdhsa_enable_private_segment 0
		.amdhsa_system_sgpr_workgroup_id_x 1
		.amdhsa_system_sgpr_workgroup_id_y 0
		.amdhsa_system_sgpr_workgroup_id_z 0
		.amdhsa_system_sgpr_workgroup_info 0
		.amdhsa_system_vgpr_workitem_id 0
		.amdhsa_next_free_vgpr 1
		.amdhsa_next_free_sgpr 1
		.amdhsa_named_barrier_count 0
		.amdhsa_reserve_vcc 0
		.amdhsa_float_round_mode_32 0
		.amdhsa_float_round_mode_16_64 0
		.amdhsa_float_denorm_mode_32 3
		.amdhsa_float_denorm_mode_16_64 3
		.amdhsa_fp16_overflow 0
		.amdhsa_memory_ordered 1
		.amdhsa_forward_progress 1
		.amdhsa_inst_pref_size 0
		.amdhsa_round_robin_scheduling 0
		.amdhsa_exception_fp_ieee_invalid_op 0
		.amdhsa_exception_fp_denorm_src 0
		.amdhsa_exception_fp_ieee_div_zero 0
		.amdhsa_exception_fp_ieee_overflow 0
		.amdhsa_exception_fp_ieee_underflow 0
		.amdhsa_exception_fp_ieee_inexact 0
		.amdhsa_exception_int_div_zero 0
	.end_amdhsa_kernel
	.section	.text._ZN7rocprim17ROCPRIM_400000_NS6detail17trampoline_kernelINS0_14default_configENS1_38merge_sort_block_merge_config_selectorI6__halfNS0_10empty_typeEEEZZNS1_27merge_sort_block_merge_implIS3_PS5_PS6_jNS1_19radix_merge_compareILb0ELb0ES5_NS0_19identity_decomposerEEEEE10hipError_tT0_T1_T2_jT3_P12ihipStream_tbPNSt15iterator_traitsISF_E10value_typeEPNSL_ISG_E10value_typeEPSH_NS1_7vsmem_tEENKUlT_SF_SG_SH_E_clIS9_S9_SA_SA_EESE_SU_SF_SG_SH_EUlSU_E1_NS1_11comp_targetILNS1_3genE5ELNS1_11target_archE942ELNS1_3gpuE9ELNS1_3repE0EEENS1_36merge_oddeven_config_static_selectorELNS0_4arch9wavefront6targetE0EEEvSG_,"axG",@progbits,_ZN7rocprim17ROCPRIM_400000_NS6detail17trampoline_kernelINS0_14default_configENS1_38merge_sort_block_merge_config_selectorI6__halfNS0_10empty_typeEEEZZNS1_27merge_sort_block_merge_implIS3_PS5_PS6_jNS1_19radix_merge_compareILb0ELb0ES5_NS0_19identity_decomposerEEEEE10hipError_tT0_T1_T2_jT3_P12ihipStream_tbPNSt15iterator_traitsISF_E10value_typeEPNSL_ISG_E10value_typeEPSH_NS1_7vsmem_tEENKUlT_SF_SG_SH_E_clIS9_S9_SA_SA_EESE_SU_SF_SG_SH_EUlSU_E1_NS1_11comp_targetILNS1_3genE5ELNS1_11target_archE942ELNS1_3gpuE9ELNS1_3repE0EEENS1_36merge_oddeven_config_static_selectorELNS0_4arch9wavefront6targetE0EEEvSG_,comdat
.Lfunc_end2226:
	.size	_ZN7rocprim17ROCPRIM_400000_NS6detail17trampoline_kernelINS0_14default_configENS1_38merge_sort_block_merge_config_selectorI6__halfNS0_10empty_typeEEEZZNS1_27merge_sort_block_merge_implIS3_PS5_PS6_jNS1_19radix_merge_compareILb0ELb0ES5_NS0_19identity_decomposerEEEEE10hipError_tT0_T1_T2_jT3_P12ihipStream_tbPNSt15iterator_traitsISF_E10value_typeEPNSL_ISG_E10value_typeEPSH_NS1_7vsmem_tEENKUlT_SF_SG_SH_E_clIS9_S9_SA_SA_EESE_SU_SF_SG_SH_EUlSU_E1_NS1_11comp_targetILNS1_3genE5ELNS1_11target_archE942ELNS1_3gpuE9ELNS1_3repE0EEENS1_36merge_oddeven_config_static_selectorELNS0_4arch9wavefront6targetE0EEEvSG_, .Lfunc_end2226-_ZN7rocprim17ROCPRIM_400000_NS6detail17trampoline_kernelINS0_14default_configENS1_38merge_sort_block_merge_config_selectorI6__halfNS0_10empty_typeEEEZZNS1_27merge_sort_block_merge_implIS3_PS5_PS6_jNS1_19radix_merge_compareILb0ELb0ES5_NS0_19identity_decomposerEEEEE10hipError_tT0_T1_T2_jT3_P12ihipStream_tbPNSt15iterator_traitsISF_E10value_typeEPNSL_ISG_E10value_typeEPSH_NS1_7vsmem_tEENKUlT_SF_SG_SH_E_clIS9_S9_SA_SA_EESE_SU_SF_SG_SH_EUlSU_E1_NS1_11comp_targetILNS1_3genE5ELNS1_11target_archE942ELNS1_3gpuE9ELNS1_3repE0EEENS1_36merge_oddeven_config_static_selectorELNS0_4arch9wavefront6targetE0EEEvSG_
                                        ; -- End function
	.set _ZN7rocprim17ROCPRIM_400000_NS6detail17trampoline_kernelINS0_14default_configENS1_38merge_sort_block_merge_config_selectorI6__halfNS0_10empty_typeEEEZZNS1_27merge_sort_block_merge_implIS3_PS5_PS6_jNS1_19radix_merge_compareILb0ELb0ES5_NS0_19identity_decomposerEEEEE10hipError_tT0_T1_T2_jT3_P12ihipStream_tbPNSt15iterator_traitsISF_E10value_typeEPNSL_ISG_E10value_typeEPSH_NS1_7vsmem_tEENKUlT_SF_SG_SH_E_clIS9_S9_SA_SA_EESE_SU_SF_SG_SH_EUlSU_E1_NS1_11comp_targetILNS1_3genE5ELNS1_11target_archE942ELNS1_3gpuE9ELNS1_3repE0EEENS1_36merge_oddeven_config_static_selectorELNS0_4arch9wavefront6targetE0EEEvSG_.num_vgpr, 0
	.set _ZN7rocprim17ROCPRIM_400000_NS6detail17trampoline_kernelINS0_14default_configENS1_38merge_sort_block_merge_config_selectorI6__halfNS0_10empty_typeEEEZZNS1_27merge_sort_block_merge_implIS3_PS5_PS6_jNS1_19radix_merge_compareILb0ELb0ES5_NS0_19identity_decomposerEEEEE10hipError_tT0_T1_T2_jT3_P12ihipStream_tbPNSt15iterator_traitsISF_E10value_typeEPNSL_ISG_E10value_typeEPSH_NS1_7vsmem_tEENKUlT_SF_SG_SH_E_clIS9_S9_SA_SA_EESE_SU_SF_SG_SH_EUlSU_E1_NS1_11comp_targetILNS1_3genE5ELNS1_11target_archE942ELNS1_3gpuE9ELNS1_3repE0EEENS1_36merge_oddeven_config_static_selectorELNS0_4arch9wavefront6targetE0EEEvSG_.num_agpr, 0
	.set _ZN7rocprim17ROCPRIM_400000_NS6detail17trampoline_kernelINS0_14default_configENS1_38merge_sort_block_merge_config_selectorI6__halfNS0_10empty_typeEEEZZNS1_27merge_sort_block_merge_implIS3_PS5_PS6_jNS1_19radix_merge_compareILb0ELb0ES5_NS0_19identity_decomposerEEEEE10hipError_tT0_T1_T2_jT3_P12ihipStream_tbPNSt15iterator_traitsISF_E10value_typeEPNSL_ISG_E10value_typeEPSH_NS1_7vsmem_tEENKUlT_SF_SG_SH_E_clIS9_S9_SA_SA_EESE_SU_SF_SG_SH_EUlSU_E1_NS1_11comp_targetILNS1_3genE5ELNS1_11target_archE942ELNS1_3gpuE9ELNS1_3repE0EEENS1_36merge_oddeven_config_static_selectorELNS0_4arch9wavefront6targetE0EEEvSG_.numbered_sgpr, 0
	.set _ZN7rocprim17ROCPRIM_400000_NS6detail17trampoline_kernelINS0_14default_configENS1_38merge_sort_block_merge_config_selectorI6__halfNS0_10empty_typeEEEZZNS1_27merge_sort_block_merge_implIS3_PS5_PS6_jNS1_19radix_merge_compareILb0ELb0ES5_NS0_19identity_decomposerEEEEE10hipError_tT0_T1_T2_jT3_P12ihipStream_tbPNSt15iterator_traitsISF_E10value_typeEPNSL_ISG_E10value_typeEPSH_NS1_7vsmem_tEENKUlT_SF_SG_SH_E_clIS9_S9_SA_SA_EESE_SU_SF_SG_SH_EUlSU_E1_NS1_11comp_targetILNS1_3genE5ELNS1_11target_archE942ELNS1_3gpuE9ELNS1_3repE0EEENS1_36merge_oddeven_config_static_selectorELNS0_4arch9wavefront6targetE0EEEvSG_.num_named_barrier, 0
	.set _ZN7rocprim17ROCPRIM_400000_NS6detail17trampoline_kernelINS0_14default_configENS1_38merge_sort_block_merge_config_selectorI6__halfNS0_10empty_typeEEEZZNS1_27merge_sort_block_merge_implIS3_PS5_PS6_jNS1_19radix_merge_compareILb0ELb0ES5_NS0_19identity_decomposerEEEEE10hipError_tT0_T1_T2_jT3_P12ihipStream_tbPNSt15iterator_traitsISF_E10value_typeEPNSL_ISG_E10value_typeEPSH_NS1_7vsmem_tEENKUlT_SF_SG_SH_E_clIS9_S9_SA_SA_EESE_SU_SF_SG_SH_EUlSU_E1_NS1_11comp_targetILNS1_3genE5ELNS1_11target_archE942ELNS1_3gpuE9ELNS1_3repE0EEENS1_36merge_oddeven_config_static_selectorELNS0_4arch9wavefront6targetE0EEEvSG_.private_seg_size, 0
	.set _ZN7rocprim17ROCPRIM_400000_NS6detail17trampoline_kernelINS0_14default_configENS1_38merge_sort_block_merge_config_selectorI6__halfNS0_10empty_typeEEEZZNS1_27merge_sort_block_merge_implIS3_PS5_PS6_jNS1_19radix_merge_compareILb0ELb0ES5_NS0_19identity_decomposerEEEEE10hipError_tT0_T1_T2_jT3_P12ihipStream_tbPNSt15iterator_traitsISF_E10value_typeEPNSL_ISG_E10value_typeEPSH_NS1_7vsmem_tEENKUlT_SF_SG_SH_E_clIS9_S9_SA_SA_EESE_SU_SF_SG_SH_EUlSU_E1_NS1_11comp_targetILNS1_3genE5ELNS1_11target_archE942ELNS1_3gpuE9ELNS1_3repE0EEENS1_36merge_oddeven_config_static_selectorELNS0_4arch9wavefront6targetE0EEEvSG_.uses_vcc, 0
	.set _ZN7rocprim17ROCPRIM_400000_NS6detail17trampoline_kernelINS0_14default_configENS1_38merge_sort_block_merge_config_selectorI6__halfNS0_10empty_typeEEEZZNS1_27merge_sort_block_merge_implIS3_PS5_PS6_jNS1_19radix_merge_compareILb0ELb0ES5_NS0_19identity_decomposerEEEEE10hipError_tT0_T1_T2_jT3_P12ihipStream_tbPNSt15iterator_traitsISF_E10value_typeEPNSL_ISG_E10value_typeEPSH_NS1_7vsmem_tEENKUlT_SF_SG_SH_E_clIS9_S9_SA_SA_EESE_SU_SF_SG_SH_EUlSU_E1_NS1_11comp_targetILNS1_3genE5ELNS1_11target_archE942ELNS1_3gpuE9ELNS1_3repE0EEENS1_36merge_oddeven_config_static_selectorELNS0_4arch9wavefront6targetE0EEEvSG_.uses_flat_scratch, 0
	.set _ZN7rocprim17ROCPRIM_400000_NS6detail17trampoline_kernelINS0_14default_configENS1_38merge_sort_block_merge_config_selectorI6__halfNS0_10empty_typeEEEZZNS1_27merge_sort_block_merge_implIS3_PS5_PS6_jNS1_19radix_merge_compareILb0ELb0ES5_NS0_19identity_decomposerEEEEE10hipError_tT0_T1_T2_jT3_P12ihipStream_tbPNSt15iterator_traitsISF_E10value_typeEPNSL_ISG_E10value_typeEPSH_NS1_7vsmem_tEENKUlT_SF_SG_SH_E_clIS9_S9_SA_SA_EESE_SU_SF_SG_SH_EUlSU_E1_NS1_11comp_targetILNS1_3genE5ELNS1_11target_archE942ELNS1_3gpuE9ELNS1_3repE0EEENS1_36merge_oddeven_config_static_selectorELNS0_4arch9wavefront6targetE0EEEvSG_.has_dyn_sized_stack, 0
	.set _ZN7rocprim17ROCPRIM_400000_NS6detail17trampoline_kernelINS0_14default_configENS1_38merge_sort_block_merge_config_selectorI6__halfNS0_10empty_typeEEEZZNS1_27merge_sort_block_merge_implIS3_PS5_PS6_jNS1_19radix_merge_compareILb0ELb0ES5_NS0_19identity_decomposerEEEEE10hipError_tT0_T1_T2_jT3_P12ihipStream_tbPNSt15iterator_traitsISF_E10value_typeEPNSL_ISG_E10value_typeEPSH_NS1_7vsmem_tEENKUlT_SF_SG_SH_E_clIS9_S9_SA_SA_EESE_SU_SF_SG_SH_EUlSU_E1_NS1_11comp_targetILNS1_3genE5ELNS1_11target_archE942ELNS1_3gpuE9ELNS1_3repE0EEENS1_36merge_oddeven_config_static_selectorELNS0_4arch9wavefront6targetE0EEEvSG_.has_recursion, 0
	.set _ZN7rocprim17ROCPRIM_400000_NS6detail17trampoline_kernelINS0_14default_configENS1_38merge_sort_block_merge_config_selectorI6__halfNS0_10empty_typeEEEZZNS1_27merge_sort_block_merge_implIS3_PS5_PS6_jNS1_19radix_merge_compareILb0ELb0ES5_NS0_19identity_decomposerEEEEE10hipError_tT0_T1_T2_jT3_P12ihipStream_tbPNSt15iterator_traitsISF_E10value_typeEPNSL_ISG_E10value_typeEPSH_NS1_7vsmem_tEENKUlT_SF_SG_SH_E_clIS9_S9_SA_SA_EESE_SU_SF_SG_SH_EUlSU_E1_NS1_11comp_targetILNS1_3genE5ELNS1_11target_archE942ELNS1_3gpuE9ELNS1_3repE0EEENS1_36merge_oddeven_config_static_selectorELNS0_4arch9wavefront6targetE0EEEvSG_.has_indirect_call, 0
	.section	.AMDGPU.csdata,"",@progbits
; Kernel info:
; codeLenInByte = 0
; TotalNumSgprs: 0
; NumVgprs: 0
; ScratchSize: 0
; MemoryBound: 0
; FloatMode: 240
; IeeeMode: 1
; LDSByteSize: 0 bytes/workgroup (compile time only)
; SGPRBlocks: 0
; VGPRBlocks: 0
; NumSGPRsForWavesPerEU: 1
; NumVGPRsForWavesPerEU: 1
; NamedBarCnt: 0
; Occupancy: 16
; WaveLimiterHint : 0
; COMPUTE_PGM_RSRC2:SCRATCH_EN: 0
; COMPUTE_PGM_RSRC2:USER_SGPR: 2
; COMPUTE_PGM_RSRC2:TRAP_HANDLER: 0
; COMPUTE_PGM_RSRC2:TGID_X_EN: 1
; COMPUTE_PGM_RSRC2:TGID_Y_EN: 0
; COMPUTE_PGM_RSRC2:TGID_Z_EN: 0
; COMPUTE_PGM_RSRC2:TIDIG_COMP_CNT: 0
	.section	.text._ZN7rocprim17ROCPRIM_400000_NS6detail17trampoline_kernelINS0_14default_configENS1_38merge_sort_block_merge_config_selectorI6__halfNS0_10empty_typeEEEZZNS1_27merge_sort_block_merge_implIS3_PS5_PS6_jNS1_19radix_merge_compareILb0ELb0ES5_NS0_19identity_decomposerEEEEE10hipError_tT0_T1_T2_jT3_P12ihipStream_tbPNSt15iterator_traitsISF_E10value_typeEPNSL_ISG_E10value_typeEPSH_NS1_7vsmem_tEENKUlT_SF_SG_SH_E_clIS9_S9_SA_SA_EESE_SU_SF_SG_SH_EUlSU_E1_NS1_11comp_targetILNS1_3genE4ELNS1_11target_archE910ELNS1_3gpuE8ELNS1_3repE0EEENS1_36merge_oddeven_config_static_selectorELNS0_4arch9wavefront6targetE0EEEvSG_,"axG",@progbits,_ZN7rocprim17ROCPRIM_400000_NS6detail17trampoline_kernelINS0_14default_configENS1_38merge_sort_block_merge_config_selectorI6__halfNS0_10empty_typeEEEZZNS1_27merge_sort_block_merge_implIS3_PS5_PS6_jNS1_19radix_merge_compareILb0ELb0ES5_NS0_19identity_decomposerEEEEE10hipError_tT0_T1_T2_jT3_P12ihipStream_tbPNSt15iterator_traitsISF_E10value_typeEPNSL_ISG_E10value_typeEPSH_NS1_7vsmem_tEENKUlT_SF_SG_SH_E_clIS9_S9_SA_SA_EESE_SU_SF_SG_SH_EUlSU_E1_NS1_11comp_targetILNS1_3genE4ELNS1_11target_archE910ELNS1_3gpuE8ELNS1_3repE0EEENS1_36merge_oddeven_config_static_selectorELNS0_4arch9wavefront6targetE0EEEvSG_,comdat
	.protected	_ZN7rocprim17ROCPRIM_400000_NS6detail17trampoline_kernelINS0_14default_configENS1_38merge_sort_block_merge_config_selectorI6__halfNS0_10empty_typeEEEZZNS1_27merge_sort_block_merge_implIS3_PS5_PS6_jNS1_19radix_merge_compareILb0ELb0ES5_NS0_19identity_decomposerEEEEE10hipError_tT0_T1_T2_jT3_P12ihipStream_tbPNSt15iterator_traitsISF_E10value_typeEPNSL_ISG_E10value_typeEPSH_NS1_7vsmem_tEENKUlT_SF_SG_SH_E_clIS9_S9_SA_SA_EESE_SU_SF_SG_SH_EUlSU_E1_NS1_11comp_targetILNS1_3genE4ELNS1_11target_archE910ELNS1_3gpuE8ELNS1_3repE0EEENS1_36merge_oddeven_config_static_selectorELNS0_4arch9wavefront6targetE0EEEvSG_ ; -- Begin function _ZN7rocprim17ROCPRIM_400000_NS6detail17trampoline_kernelINS0_14default_configENS1_38merge_sort_block_merge_config_selectorI6__halfNS0_10empty_typeEEEZZNS1_27merge_sort_block_merge_implIS3_PS5_PS6_jNS1_19radix_merge_compareILb0ELb0ES5_NS0_19identity_decomposerEEEEE10hipError_tT0_T1_T2_jT3_P12ihipStream_tbPNSt15iterator_traitsISF_E10value_typeEPNSL_ISG_E10value_typeEPSH_NS1_7vsmem_tEENKUlT_SF_SG_SH_E_clIS9_S9_SA_SA_EESE_SU_SF_SG_SH_EUlSU_E1_NS1_11comp_targetILNS1_3genE4ELNS1_11target_archE910ELNS1_3gpuE8ELNS1_3repE0EEENS1_36merge_oddeven_config_static_selectorELNS0_4arch9wavefront6targetE0EEEvSG_
	.globl	_ZN7rocprim17ROCPRIM_400000_NS6detail17trampoline_kernelINS0_14default_configENS1_38merge_sort_block_merge_config_selectorI6__halfNS0_10empty_typeEEEZZNS1_27merge_sort_block_merge_implIS3_PS5_PS6_jNS1_19radix_merge_compareILb0ELb0ES5_NS0_19identity_decomposerEEEEE10hipError_tT0_T1_T2_jT3_P12ihipStream_tbPNSt15iterator_traitsISF_E10value_typeEPNSL_ISG_E10value_typeEPSH_NS1_7vsmem_tEENKUlT_SF_SG_SH_E_clIS9_S9_SA_SA_EESE_SU_SF_SG_SH_EUlSU_E1_NS1_11comp_targetILNS1_3genE4ELNS1_11target_archE910ELNS1_3gpuE8ELNS1_3repE0EEENS1_36merge_oddeven_config_static_selectorELNS0_4arch9wavefront6targetE0EEEvSG_
	.p2align	8
	.type	_ZN7rocprim17ROCPRIM_400000_NS6detail17trampoline_kernelINS0_14default_configENS1_38merge_sort_block_merge_config_selectorI6__halfNS0_10empty_typeEEEZZNS1_27merge_sort_block_merge_implIS3_PS5_PS6_jNS1_19radix_merge_compareILb0ELb0ES5_NS0_19identity_decomposerEEEEE10hipError_tT0_T1_T2_jT3_P12ihipStream_tbPNSt15iterator_traitsISF_E10value_typeEPNSL_ISG_E10value_typeEPSH_NS1_7vsmem_tEENKUlT_SF_SG_SH_E_clIS9_S9_SA_SA_EESE_SU_SF_SG_SH_EUlSU_E1_NS1_11comp_targetILNS1_3genE4ELNS1_11target_archE910ELNS1_3gpuE8ELNS1_3repE0EEENS1_36merge_oddeven_config_static_selectorELNS0_4arch9wavefront6targetE0EEEvSG_,@function
_ZN7rocprim17ROCPRIM_400000_NS6detail17trampoline_kernelINS0_14default_configENS1_38merge_sort_block_merge_config_selectorI6__halfNS0_10empty_typeEEEZZNS1_27merge_sort_block_merge_implIS3_PS5_PS6_jNS1_19radix_merge_compareILb0ELb0ES5_NS0_19identity_decomposerEEEEE10hipError_tT0_T1_T2_jT3_P12ihipStream_tbPNSt15iterator_traitsISF_E10value_typeEPNSL_ISG_E10value_typeEPSH_NS1_7vsmem_tEENKUlT_SF_SG_SH_E_clIS9_S9_SA_SA_EESE_SU_SF_SG_SH_EUlSU_E1_NS1_11comp_targetILNS1_3genE4ELNS1_11target_archE910ELNS1_3gpuE8ELNS1_3repE0EEENS1_36merge_oddeven_config_static_selectorELNS0_4arch9wavefront6targetE0EEEvSG_: ; @_ZN7rocprim17ROCPRIM_400000_NS6detail17trampoline_kernelINS0_14default_configENS1_38merge_sort_block_merge_config_selectorI6__halfNS0_10empty_typeEEEZZNS1_27merge_sort_block_merge_implIS3_PS5_PS6_jNS1_19radix_merge_compareILb0ELb0ES5_NS0_19identity_decomposerEEEEE10hipError_tT0_T1_T2_jT3_P12ihipStream_tbPNSt15iterator_traitsISF_E10value_typeEPNSL_ISG_E10value_typeEPSH_NS1_7vsmem_tEENKUlT_SF_SG_SH_E_clIS9_S9_SA_SA_EESE_SU_SF_SG_SH_EUlSU_E1_NS1_11comp_targetILNS1_3genE4ELNS1_11target_archE910ELNS1_3gpuE8ELNS1_3repE0EEENS1_36merge_oddeven_config_static_selectorELNS0_4arch9wavefront6targetE0EEEvSG_
; %bb.0:
	.section	.rodata,"a",@progbits
	.p2align	6, 0x0
	.amdhsa_kernel _ZN7rocprim17ROCPRIM_400000_NS6detail17trampoline_kernelINS0_14default_configENS1_38merge_sort_block_merge_config_selectorI6__halfNS0_10empty_typeEEEZZNS1_27merge_sort_block_merge_implIS3_PS5_PS6_jNS1_19radix_merge_compareILb0ELb0ES5_NS0_19identity_decomposerEEEEE10hipError_tT0_T1_T2_jT3_P12ihipStream_tbPNSt15iterator_traitsISF_E10value_typeEPNSL_ISG_E10value_typeEPSH_NS1_7vsmem_tEENKUlT_SF_SG_SH_E_clIS9_S9_SA_SA_EESE_SU_SF_SG_SH_EUlSU_E1_NS1_11comp_targetILNS1_3genE4ELNS1_11target_archE910ELNS1_3gpuE8ELNS1_3repE0EEENS1_36merge_oddeven_config_static_selectorELNS0_4arch9wavefront6targetE0EEEvSG_
		.amdhsa_group_segment_fixed_size 0
		.amdhsa_private_segment_fixed_size 0
		.amdhsa_kernarg_size 48
		.amdhsa_user_sgpr_count 2
		.amdhsa_user_sgpr_dispatch_ptr 0
		.amdhsa_user_sgpr_queue_ptr 0
		.amdhsa_user_sgpr_kernarg_segment_ptr 1
		.amdhsa_user_sgpr_dispatch_id 0
		.amdhsa_user_sgpr_kernarg_preload_length 0
		.amdhsa_user_sgpr_kernarg_preload_offset 0
		.amdhsa_user_sgpr_private_segment_size 0
		.amdhsa_wavefront_size32 1
		.amdhsa_uses_dynamic_stack 0
		.amdhsa_enable_private_segment 0
		.amdhsa_system_sgpr_workgroup_id_x 1
		.amdhsa_system_sgpr_workgroup_id_y 0
		.amdhsa_system_sgpr_workgroup_id_z 0
		.amdhsa_system_sgpr_workgroup_info 0
		.amdhsa_system_vgpr_workitem_id 0
		.amdhsa_next_free_vgpr 1
		.amdhsa_next_free_sgpr 1
		.amdhsa_named_barrier_count 0
		.amdhsa_reserve_vcc 0
		.amdhsa_float_round_mode_32 0
		.amdhsa_float_round_mode_16_64 0
		.amdhsa_float_denorm_mode_32 3
		.amdhsa_float_denorm_mode_16_64 3
		.amdhsa_fp16_overflow 0
		.amdhsa_memory_ordered 1
		.amdhsa_forward_progress 1
		.amdhsa_inst_pref_size 0
		.amdhsa_round_robin_scheduling 0
		.amdhsa_exception_fp_ieee_invalid_op 0
		.amdhsa_exception_fp_denorm_src 0
		.amdhsa_exception_fp_ieee_div_zero 0
		.amdhsa_exception_fp_ieee_overflow 0
		.amdhsa_exception_fp_ieee_underflow 0
		.amdhsa_exception_fp_ieee_inexact 0
		.amdhsa_exception_int_div_zero 0
	.end_amdhsa_kernel
	.section	.text._ZN7rocprim17ROCPRIM_400000_NS6detail17trampoline_kernelINS0_14default_configENS1_38merge_sort_block_merge_config_selectorI6__halfNS0_10empty_typeEEEZZNS1_27merge_sort_block_merge_implIS3_PS5_PS6_jNS1_19radix_merge_compareILb0ELb0ES5_NS0_19identity_decomposerEEEEE10hipError_tT0_T1_T2_jT3_P12ihipStream_tbPNSt15iterator_traitsISF_E10value_typeEPNSL_ISG_E10value_typeEPSH_NS1_7vsmem_tEENKUlT_SF_SG_SH_E_clIS9_S9_SA_SA_EESE_SU_SF_SG_SH_EUlSU_E1_NS1_11comp_targetILNS1_3genE4ELNS1_11target_archE910ELNS1_3gpuE8ELNS1_3repE0EEENS1_36merge_oddeven_config_static_selectorELNS0_4arch9wavefront6targetE0EEEvSG_,"axG",@progbits,_ZN7rocprim17ROCPRIM_400000_NS6detail17trampoline_kernelINS0_14default_configENS1_38merge_sort_block_merge_config_selectorI6__halfNS0_10empty_typeEEEZZNS1_27merge_sort_block_merge_implIS3_PS5_PS6_jNS1_19radix_merge_compareILb0ELb0ES5_NS0_19identity_decomposerEEEEE10hipError_tT0_T1_T2_jT3_P12ihipStream_tbPNSt15iterator_traitsISF_E10value_typeEPNSL_ISG_E10value_typeEPSH_NS1_7vsmem_tEENKUlT_SF_SG_SH_E_clIS9_S9_SA_SA_EESE_SU_SF_SG_SH_EUlSU_E1_NS1_11comp_targetILNS1_3genE4ELNS1_11target_archE910ELNS1_3gpuE8ELNS1_3repE0EEENS1_36merge_oddeven_config_static_selectorELNS0_4arch9wavefront6targetE0EEEvSG_,comdat
.Lfunc_end2227:
	.size	_ZN7rocprim17ROCPRIM_400000_NS6detail17trampoline_kernelINS0_14default_configENS1_38merge_sort_block_merge_config_selectorI6__halfNS0_10empty_typeEEEZZNS1_27merge_sort_block_merge_implIS3_PS5_PS6_jNS1_19radix_merge_compareILb0ELb0ES5_NS0_19identity_decomposerEEEEE10hipError_tT0_T1_T2_jT3_P12ihipStream_tbPNSt15iterator_traitsISF_E10value_typeEPNSL_ISG_E10value_typeEPSH_NS1_7vsmem_tEENKUlT_SF_SG_SH_E_clIS9_S9_SA_SA_EESE_SU_SF_SG_SH_EUlSU_E1_NS1_11comp_targetILNS1_3genE4ELNS1_11target_archE910ELNS1_3gpuE8ELNS1_3repE0EEENS1_36merge_oddeven_config_static_selectorELNS0_4arch9wavefront6targetE0EEEvSG_, .Lfunc_end2227-_ZN7rocprim17ROCPRIM_400000_NS6detail17trampoline_kernelINS0_14default_configENS1_38merge_sort_block_merge_config_selectorI6__halfNS0_10empty_typeEEEZZNS1_27merge_sort_block_merge_implIS3_PS5_PS6_jNS1_19radix_merge_compareILb0ELb0ES5_NS0_19identity_decomposerEEEEE10hipError_tT0_T1_T2_jT3_P12ihipStream_tbPNSt15iterator_traitsISF_E10value_typeEPNSL_ISG_E10value_typeEPSH_NS1_7vsmem_tEENKUlT_SF_SG_SH_E_clIS9_S9_SA_SA_EESE_SU_SF_SG_SH_EUlSU_E1_NS1_11comp_targetILNS1_3genE4ELNS1_11target_archE910ELNS1_3gpuE8ELNS1_3repE0EEENS1_36merge_oddeven_config_static_selectorELNS0_4arch9wavefront6targetE0EEEvSG_
                                        ; -- End function
	.set _ZN7rocprim17ROCPRIM_400000_NS6detail17trampoline_kernelINS0_14default_configENS1_38merge_sort_block_merge_config_selectorI6__halfNS0_10empty_typeEEEZZNS1_27merge_sort_block_merge_implIS3_PS5_PS6_jNS1_19radix_merge_compareILb0ELb0ES5_NS0_19identity_decomposerEEEEE10hipError_tT0_T1_T2_jT3_P12ihipStream_tbPNSt15iterator_traitsISF_E10value_typeEPNSL_ISG_E10value_typeEPSH_NS1_7vsmem_tEENKUlT_SF_SG_SH_E_clIS9_S9_SA_SA_EESE_SU_SF_SG_SH_EUlSU_E1_NS1_11comp_targetILNS1_3genE4ELNS1_11target_archE910ELNS1_3gpuE8ELNS1_3repE0EEENS1_36merge_oddeven_config_static_selectorELNS0_4arch9wavefront6targetE0EEEvSG_.num_vgpr, 0
	.set _ZN7rocprim17ROCPRIM_400000_NS6detail17trampoline_kernelINS0_14default_configENS1_38merge_sort_block_merge_config_selectorI6__halfNS0_10empty_typeEEEZZNS1_27merge_sort_block_merge_implIS3_PS5_PS6_jNS1_19radix_merge_compareILb0ELb0ES5_NS0_19identity_decomposerEEEEE10hipError_tT0_T1_T2_jT3_P12ihipStream_tbPNSt15iterator_traitsISF_E10value_typeEPNSL_ISG_E10value_typeEPSH_NS1_7vsmem_tEENKUlT_SF_SG_SH_E_clIS9_S9_SA_SA_EESE_SU_SF_SG_SH_EUlSU_E1_NS1_11comp_targetILNS1_3genE4ELNS1_11target_archE910ELNS1_3gpuE8ELNS1_3repE0EEENS1_36merge_oddeven_config_static_selectorELNS0_4arch9wavefront6targetE0EEEvSG_.num_agpr, 0
	.set _ZN7rocprim17ROCPRIM_400000_NS6detail17trampoline_kernelINS0_14default_configENS1_38merge_sort_block_merge_config_selectorI6__halfNS0_10empty_typeEEEZZNS1_27merge_sort_block_merge_implIS3_PS5_PS6_jNS1_19radix_merge_compareILb0ELb0ES5_NS0_19identity_decomposerEEEEE10hipError_tT0_T1_T2_jT3_P12ihipStream_tbPNSt15iterator_traitsISF_E10value_typeEPNSL_ISG_E10value_typeEPSH_NS1_7vsmem_tEENKUlT_SF_SG_SH_E_clIS9_S9_SA_SA_EESE_SU_SF_SG_SH_EUlSU_E1_NS1_11comp_targetILNS1_3genE4ELNS1_11target_archE910ELNS1_3gpuE8ELNS1_3repE0EEENS1_36merge_oddeven_config_static_selectorELNS0_4arch9wavefront6targetE0EEEvSG_.numbered_sgpr, 0
	.set _ZN7rocprim17ROCPRIM_400000_NS6detail17trampoline_kernelINS0_14default_configENS1_38merge_sort_block_merge_config_selectorI6__halfNS0_10empty_typeEEEZZNS1_27merge_sort_block_merge_implIS3_PS5_PS6_jNS1_19radix_merge_compareILb0ELb0ES5_NS0_19identity_decomposerEEEEE10hipError_tT0_T1_T2_jT3_P12ihipStream_tbPNSt15iterator_traitsISF_E10value_typeEPNSL_ISG_E10value_typeEPSH_NS1_7vsmem_tEENKUlT_SF_SG_SH_E_clIS9_S9_SA_SA_EESE_SU_SF_SG_SH_EUlSU_E1_NS1_11comp_targetILNS1_3genE4ELNS1_11target_archE910ELNS1_3gpuE8ELNS1_3repE0EEENS1_36merge_oddeven_config_static_selectorELNS0_4arch9wavefront6targetE0EEEvSG_.num_named_barrier, 0
	.set _ZN7rocprim17ROCPRIM_400000_NS6detail17trampoline_kernelINS0_14default_configENS1_38merge_sort_block_merge_config_selectorI6__halfNS0_10empty_typeEEEZZNS1_27merge_sort_block_merge_implIS3_PS5_PS6_jNS1_19radix_merge_compareILb0ELb0ES5_NS0_19identity_decomposerEEEEE10hipError_tT0_T1_T2_jT3_P12ihipStream_tbPNSt15iterator_traitsISF_E10value_typeEPNSL_ISG_E10value_typeEPSH_NS1_7vsmem_tEENKUlT_SF_SG_SH_E_clIS9_S9_SA_SA_EESE_SU_SF_SG_SH_EUlSU_E1_NS1_11comp_targetILNS1_3genE4ELNS1_11target_archE910ELNS1_3gpuE8ELNS1_3repE0EEENS1_36merge_oddeven_config_static_selectorELNS0_4arch9wavefront6targetE0EEEvSG_.private_seg_size, 0
	.set _ZN7rocprim17ROCPRIM_400000_NS6detail17trampoline_kernelINS0_14default_configENS1_38merge_sort_block_merge_config_selectorI6__halfNS0_10empty_typeEEEZZNS1_27merge_sort_block_merge_implIS3_PS5_PS6_jNS1_19radix_merge_compareILb0ELb0ES5_NS0_19identity_decomposerEEEEE10hipError_tT0_T1_T2_jT3_P12ihipStream_tbPNSt15iterator_traitsISF_E10value_typeEPNSL_ISG_E10value_typeEPSH_NS1_7vsmem_tEENKUlT_SF_SG_SH_E_clIS9_S9_SA_SA_EESE_SU_SF_SG_SH_EUlSU_E1_NS1_11comp_targetILNS1_3genE4ELNS1_11target_archE910ELNS1_3gpuE8ELNS1_3repE0EEENS1_36merge_oddeven_config_static_selectorELNS0_4arch9wavefront6targetE0EEEvSG_.uses_vcc, 0
	.set _ZN7rocprim17ROCPRIM_400000_NS6detail17trampoline_kernelINS0_14default_configENS1_38merge_sort_block_merge_config_selectorI6__halfNS0_10empty_typeEEEZZNS1_27merge_sort_block_merge_implIS3_PS5_PS6_jNS1_19radix_merge_compareILb0ELb0ES5_NS0_19identity_decomposerEEEEE10hipError_tT0_T1_T2_jT3_P12ihipStream_tbPNSt15iterator_traitsISF_E10value_typeEPNSL_ISG_E10value_typeEPSH_NS1_7vsmem_tEENKUlT_SF_SG_SH_E_clIS9_S9_SA_SA_EESE_SU_SF_SG_SH_EUlSU_E1_NS1_11comp_targetILNS1_3genE4ELNS1_11target_archE910ELNS1_3gpuE8ELNS1_3repE0EEENS1_36merge_oddeven_config_static_selectorELNS0_4arch9wavefront6targetE0EEEvSG_.uses_flat_scratch, 0
	.set _ZN7rocprim17ROCPRIM_400000_NS6detail17trampoline_kernelINS0_14default_configENS1_38merge_sort_block_merge_config_selectorI6__halfNS0_10empty_typeEEEZZNS1_27merge_sort_block_merge_implIS3_PS5_PS6_jNS1_19radix_merge_compareILb0ELb0ES5_NS0_19identity_decomposerEEEEE10hipError_tT0_T1_T2_jT3_P12ihipStream_tbPNSt15iterator_traitsISF_E10value_typeEPNSL_ISG_E10value_typeEPSH_NS1_7vsmem_tEENKUlT_SF_SG_SH_E_clIS9_S9_SA_SA_EESE_SU_SF_SG_SH_EUlSU_E1_NS1_11comp_targetILNS1_3genE4ELNS1_11target_archE910ELNS1_3gpuE8ELNS1_3repE0EEENS1_36merge_oddeven_config_static_selectorELNS0_4arch9wavefront6targetE0EEEvSG_.has_dyn_sized_stack, 0
	.set _ZN7rocprim17ROCPRIM_400000_NS6detail17trampoline_kernelINS0_14default_configENS1_38merge_sort_block_merge_config_selectorI6__halfNS0_10empty_typeEEEZZNS1_27merge_sort_block_merge_implIS3_PS5_PS6_jNS1_19radix_merge_compareILb0ELb0ES5_NS0_19identity_decomposerEEEEE10hipError_tT0_T1_T2_jT3_P12ihipStream_tbPNSt15iterator_traitsISF_E10value_typeEPNSL_ISG_E10value_typeEPSH_NS1_7vsmem_tEENKUlT_SF_SG_SH_E_clIS9_S9_SA_SA_EESE_SU_SF_SG_SH_EUlSU_E1_NS1_11comp_targetILNS1_3genE4ELNS1_11target_archE910ELNS1_3gpuE8ELNS1_3repE0EEENS1_36merge_oddeven_config_static_selectorELNS0_4arch9wavefront6targetE0EEEvSG_.has_recursion, 0
	.set _ZN7rocprim17ROCPRIM_400000_NS6detail17trampoline_kernelINS0_14default_configENS1_38merge_sort_block_merge_config_selectorI6__halfNS0_10empty_typeEEEZZNS1_27merge_sort_block_merge_implIS3_PS5_PS6_jNS1_19radix_merge_compareILb0ELb0ES5_NS0_19identity_decomposerEEEEE10hipError_tT0_T1_T2_jT3_P12ihipStream_tbPNSt15iterator_traitsISF_E10value_typeEPNSL_ISG_E10value_typeEPSH_NS1_7vsmem_tEENKUlT_SF_SG_SH_E_clIS9_S9_SA_SA_EESE_SU_SF_SG_SH_EUlSU_E1_NS1_11comp_targetILNS1_3genE4ELNS1_11target_archE910ELNS1_3gpuE8ELNS1_3repE0EEENS1_36merge_oddeven_config_static_selectorELNS0_4arch9wavefront6targetE0EEEvSG_.has_indirect_call, 0
	.section	.AMDGPU.csdata,"",@progbits
; Kernel info:
; codeLenInByte = 0
; TotalNumSgprs: 0
; NumVgprs: 0
; ScratchSize: 0
; MemoryBound: 0
; FloatMode: 240
; IeeeMode: 1
; LDSByteSize: 0 bytes/workgroup (compile time only)
; SGPRBlocks: 0
; VGPRBlocks: 0
; NumSGPRsForWavesPerEU: 1
; NumVGPRsForWavesPerEU: 1
; NamedBarCnt: 0
; Occupancy: 16
; WaveLimiterHint : 0
; COMPUTE_PGM_RSRC2:SCRATCH_EN: 0
; COMPUTE_PGM_RSRC2:USER_SGPR: 2
; COMPUTE_PGM_RSRC2:TRAP_HANDLER: 0
; COMPUTE_PGM_RSRC2:TGID_X_EN: 1
; COMPUTE_PGM_RSRC2:TGID_Y_EN: 0
; COMPUTE_PGM_RSRC2:TGID_Z_EN: 0
; COMPUTE_PGM_RSRC2:TIDIG_COMP_CNT: 0
	.section	.text._ZN7rocprim17ROCPRIM_400000_NS6detail17trampoline_kernelINS0_14default_configENS1_38merge_sort_block_merge_config_selectorI6__halfNS0_10empty_typeEEEZZNS1_27merge_sort_block_merge_implIS3_PS5_PS6_jNS1_19radix_merge_compareILb0ELb0ES5_NS0_19identity_decomposerEEEEE10hipError_tT0_T1_T2_jT3_P12ihipStream_tbPNSt15iterator_traitsISF_E10value_typeEPNSL_ISG_E10value_typeEPSH_NS1_7vsmem_tEENKUlT_SF_SG_SH_E_clIS9_S9_SA_SA_EESE_SU_SF_SG_SH_EUlSU_E1_NS1_11comp_targetILNS1_3genE3ELNS1_11target_archE908ELNS1_3gpuE7ELNS1_3repE0EEENS1_36merge_oddeven_config_static_selectorELNS0_4arch9wavefront6targetE0EEEvSG_,"axG",@progbits,_ZN7rocprim17ROCPRIM_400000_NS6detail17trampoline_kernelINS0_14default_configENS1_38merge_sort_block_merge_config_selectorI6__halfNS0_10empty_typeEEEZZNS1_27merge_sort_block_merge_implIS3_PS5_PS6_jNS1_19radix_merge_compareILb0ELb0ES5_NS0_19identity_decomposerEEEEE10hipError_tT0_T1_T2_jT3_P12ihipStream_tbPNSt15iterator_traitsISF_E10value_typeEPNSL_ISG_E10value_typeEPSH_NS1_7vsmem_tEENKUlT_SF_SG_SH_E_clIS9_S9_SA_SA_EESE_SU_SF_SG_SH_EUlSU_E1_NS1_11comp_targetILNS1_3genE3ELNS1_11target_archE908ELNS1_3gpuE7ELNS1_3repE0EEENS1_36merge_oddeven_config_static_selectorELNS0_4arch9wavefront6targetE0EEEvSG_,comdat
	.protected	_ZN7rocprim17ROCPRIM_400000_NS6detail17trampoline_kernelINS0_14default_configENS1_38merge_sort_block_merge_config_selectorI6__halfNS0_10empty_typeEEEZZNS1_27merge_sort_block_merge_implIS3_PS5_PS6_jNS1_19radix_merge_compareILb0ELb0ES5_NS0_19identity_decomposerEEEEE10hipError_tT0_T1_T2_jT3_P12ihipStream_tbPNSt15iterator_traitsISF_E10value_typeEPNSL_ISG_E10value_typeEPSH_NS1_7vsmem_tEENKUlT_SF_SG_SH_E_clIS9_S9_SA_SA_EESE_SU_SF_SG_SH_EUlSU_E1_NS1_11comp_targetILNS1_3genE3ELNS1_11target_archE908ELNS1_3gpuE7ELNS1_3repE0EEENS1_36merge_oddeven_config_static_selectorELNS0_4arch9wavefront6targetE0EEEvSG_ ; -- Begin function _ZN7rocprim17ROCPRIM_400000_NS6detail17trampoline_kernelINS0_14default_configENS1_38merge_sort_block_merge_config_selectorI6__halfNS0_10empty_typeEEEZZNS1_27merge_sort_block_merge_implIS3_PS5_PS6_jNS1_19radix_merge_compareILb0ELb0ES5_NS0_19identity_decomposerEEEEE10hipError_tT0_T1_T2_jT3_P12ihipStream_tbPNSt15iterator_traitsISF_E10value_typeEPNSL_ISG_E10value_typeEPSH_NS1_7vsmem_tEENKUlT_SF_SG_SH_E_clIS9_S9_SA_SA_EESE_SU_SF_SG_SH_EUlSU_E1_NS1_11comp_targetILNS1_3genE3ELNS1_11target_archE908ELNS1_3gpuE7ELNS1_3repE0EEENS1_36merge_oddeven_config_static_selectorELNS0_4arch9wavefront6targetE0EEEvSG_
	.globl	_ZN7rocprim17ROCPRIM_400000_NS6detail17trampoline_kernelINS0_14default_configENS1_38merge_sort_block_merge_config_selectorI6__halfNS0_10empty_typeEEEZZNS1_27merge_sort_block_merge_implIS3_PS5_PS6_jNS1_19radix_merge_compareILb0ELb0ES5_NS0_19identity_decomposerEEEEE10hipError_tT0_T1_T2_jT3_P12ihipStream_tbPNSt15iterator_traitsISF_E10value_typeEPNSL_ISG_E10value_typeEPSH_NS1_7vsmem_tEENKUlT_SF_SG_SH_E_clIS9_S9_SA_SA_EESE_SU_SF_SG_SH_EUlSU_E1_NS1_11comp_targetILNS1_3genE3ELNS1_11target_archE908ELNS1_3gpuE7ELNS1_3repE0EEENS1_36merge_oddeven_config_static_selectorELNS0_4arch9wavefront6targetE0EEEvSG_
	.p2align	8
	.type	_ZN7rocprim17ROCPRIM_400000_NS6detail17trampoline_kernelINS0_14default_configENS1_38merge_sort_block_merge_config_selectorI6__halfNS0_10empty_typeEEEZZNS1_27merge_sort_block_merge_implIS3_PS5_PS6_jNS1_19radix_merge_compareILb0ELb0ES5_NS0_19identity_decomposerEEEEE10hipError_tT0_T1_T2_jT3_P12ihipStream_tbPNSt15iterator_traitsISF_E10value_typeEPNSL_ISG_E10value_typeEPSH_NS1_7vsmem_tEENKUlT_SF_SG_SH_E_clIS9_S9_SA_SA_EESE_SU_SF_SG_SH_EUlSU_E1_NS1_11comp_targetILNS1_3genE3ELNS1_11target_archE908ELNS1_3gpuE7ELNS1_3repE0EEENS1_36merge_oddeven_config_static_selectorELNS0_4arch9wavefront6targetE0EEEvSG_,@function
_ZN7rocprim17ROCPRIM_400000_NS6detail17trampoline_kernelINS0_14default_configENS1_38merge_sort_block_merge_config_selectorI6__halfNS0_10empty_typeEEEZZNS1_27merge_sort_block_merge_implIS3_PS5_PS6_jNS1_19radix_merge_compareILb0ELb0ES5_NS0_19identity_decomposerEEEEE10hipError_tT0_T1_T2_jT3_P12ihipStream_tbPNSt15iterator_traitsISF_E10value_typeEPNSL_ISG_E10value_typeEPSH_NS1_7vsmem_tEENKUlT_SF_SG_SH_E_clIS9_S9_SA_SA_EESE_SU_SF_SG_SH_EUlSU_E1_NS1_11comp_targetILNS1_3genE3ELNS1_11target_archE908ELNS1_3gpuE7ELNS1_3repE0EEENS1_36merge_oddeven_config_static_selectorELNS0_4arch9wavefront6targetE0EEEvSG_: ; @_ZN7rocprim17ROCPRIM_400000_NS6detail17trampoline_kernelINS0_14default_configENS1_38merge_sort_block_merge_config_selectorI6__halfNS0_10empty_typeEEEZZNS1_27merge_sort_block_merge_implIS3_PS5_PS6_jNS1_19radix_merge_compareILb0ELb0ES5_NS0_19identity_decomposerEEEEE10hipError_tT0_T1_T2_jT3_P12ihipStream_tbPNSt15iterator_traitsISF_E10value_typeEPNSL_ISG_E10value_typeEPSH_NS1_7vsmem_tEENKUlT_SF_SG_SH_E_clIS9_S9_SA_SA_EESE_SU_SF_SG_SH_EUlSU_E1_NS1_11comp_targetILNS1_3genE3ELNS1_11target_archE908ELNS1_3gpuE7ELNS1_3repE0EEENS1_36merge_oddeven_config_static_selectorELNS0_4arch9wavefront6targetE0EEEvSG_
; %bb.0:
	.section	.rodata,"a",@progbits
	.p2align	6, 0x0
	.amdhsa_kernel _ZN7rocprim17ROCPRIM_400000_NS6detail17trampoline_kernelINS0_14default_configENS1_38merge_sort_block_merge_config_selectorI6__halfNS0_10empty_typeEEEZZNS1_27merge_sort_block_merge_implIS3_PS5_PS6_jNS1_19radix_merge_compareILb0ELb0ES5_NS0_19identity_decomposerEEEEE10hipError_tT0_T1_T2_jT3_P12ihipStream_tbPNSt15iterator_traitsISF_E10value_typeEPNSL_ISG_E10value_typeEPSH_NS1_7vsmem_tEENKUlT_SF_SG_SH_E_clIS9_S9_SA_SA_EESE_SU_SF_SG_SH_EUlSU_E1_NS1_11comp_targetILNS1_3genE3ELNS1_11target_archE908ELNS1_3gpuE7ELNS1_3repE0EEENS1_36merge_oddeven_config_static_selectorELNS0_4arch9wavefront6targetE0EEEvSG_
		.amdhsa_group_segment_fixed_size 0
		.amdhsa_private_segment_fixed_size 0
		.amdhsa_kernarg_size 48
		.amdhsa_user_sgpr_count 2
		.amdhsa_user_sgpr_dispatch_ptr 0
		.amdhsa_user_sgpr_queue_ptr 0
		.amdhsa_user_sgpr_kernarg_segment_ptr 1
		.amdhsa_user_sgpr_dispatch_id 0
		.amdhsa_user_sgpr_kernarg_preload_length 0
		.amdhsa_user_sgpr_kernarg_preload_offset 0
		.amdhsa_user_sgpr_private_segment_size 0
		.amdhsa_wavefront_size32 1
		.amdhsa_uses_dynamic_stack 0
		.amdhsa_enable_private_segment 0
		.amdhsa_system_sgpr_workgroup_id_x 1
		.amdhsa_system_sgpr_workgroup_id_y 0
		.amdhsa_system_sgpr_workgroup_id_z 0
		.amdhsa_system_sgpr_workgroup_info 0
		.amdhsa_system_vgpr_workitem_id 0
		.amdhsa_next_free_vgpr 1
		.amdhsa_next_free_sgpr 1
		.amdhsa_named_barrier_count 0
		.amdhsa_reserve_vcc 0
		.amdhsa_float_round_mode_32 0
		.amdhsa_float_round_mode_16_64 0
		.amdhsa_float_denorm_mode_32 3
		.amdhsa_float_denorm_mode_16_64 3
		.amdhsa_fp16_overflow 0
		.amdhsa_memory_ordered 1
		.amdhsa_forward_progress 1
		.amdhsa_inst_pref_size 0
		.amdhsa_round_robin_scheduling 0
		.amdhsa_exception_fp_ieee_invalid_op 0
		.amdhsa_exception_fp_denorm_src 0
		.amdhsa_exception_fp_ieee_div_zero 0
		.amdhsa_exception_fp_ieee_overflow 0
		.amdhsa_exception_fp_ieee_underflow 0
		.amdhsa_exception_fp_ieee_inexact 0
		.amdhsa_exception_int_div_zero 0
	.end_amdhsa_kernel
	.section	.text._ZN7rocprim17ROCPRIM_400000_NS6detail17trampoline_kernelINS0_14default_configENS1_38merge_sort_block_merge_config_selectorI6__halfNS0_10empty_typeEEEZZNS1_27merge_sort_block_merge_implIS3_PS5_PS6_jNS1_19radix_merge_compareILb0ELb0ES5_NS0_19identity_decomposerEEEEE10hipError_tT0_T1_T2_jT3_P12ihipStream_tbPNSt15iterator_traitsISF_E10value_typeEPNSL_ISG_E10value_typeEPSH_NS1_7vsmem_tEENKUlT_SF_SG_SH_E_clIS9_S9_SA_SA_EESE_SU_SF_SG_SH_EUlSU_E1_NS1_11comp_targetILNS1_3genE3ELNS1_11target_archE908ELNS1_3gpuE7ELNS1_3repE0EEENS1_36merge_oddeven_config_static_selectorELNS0_4arch9wavefront6targetE0EEEvSG_,"axG",@progbits,_ZN7rocprim17ROCPRIM_400000_NS6detail17trampoline_kernelINS0_14default_configENS1_38merge_sort_block_merge_config_selectorI6__halfNS0_10empty_typeEEEZZNS1_27merge_sort_block_merge_implIS3_PS5_PS6_jNS1_19radix_merge_compareILb0ELb0ES5_NS0_19identity_decomposerEEEEE10hipError_tT0_T1_T2_jT3_P12ihipStream_tbPNSt15iterator_traitsISF_E10value_typeEPNSL_ISG_E10value_typeEPSH_NS1_7vsmem_tEENKUlT_SF_SG_SH_E_clIS9_S9_SA_SA_EESE_SU_SF_SG_SH_EUlSU_E1_NS1_11comp_targetILNS1_3genE3ELNS1_11target_archE908ELNS1_3gpuE7ELNS1_3repE0EEENS1_36merge_oddeven_config_static_selectorELNS0_4arch9wavefront6targetE0EEEvSG_,comdat
.Lfunc_end2228:
	.size	_ZN7rocprim17ROCPRIM_400000_NS6detail17trampoline_kernelINS0_14default_configENS1_38merge_sort_block_merge_config_selectorI6__halfNS0_10empty_typeEEEZZNS1_27merge_sort_block_merge_implIS3_PS5_PS6_jNS1_19radix_merge_compareILb0ELb0ES5_NS0_19identity_decomposerEEEEE10hipError_tT0_T1_T2_jT3_P12ihipStream_tbPNSt15iterator_traitsISF_E10value_typeEPNSL_ISG_E10value_typeEPSH_NS1_7vsmem_tEENKUlT_SF_SG_SH_E_clIS9_S9_SA_SA_EESE_SU_SF_SG_SH_EUlSU_E1_NS1_11comp_targetILNS1_3genE3ELNS1_11target_archE908ELNS1_3gpuE7ELNS1_3repE0EEENS1_36merge_oddeven_config_static_selectorELNS0_4arch9wavefront6targetE0EEEvSG_, .Lfunc_end2228-_ZN7rocprim17ROCPRIM_400000_NS6detail17trampoline_kernelINS0_14default_configENS1_38merge_sort_block_merge_config_selectorI6__halfNS0_10empty_typeEEEZZNS1_27merge_sort_block_merge_implIS3_PS5_PS6_jNS1_19radix_merge_compareILb0ELb0ES5_NS0_19identity_decomposerEEEEE10hipError_tT0_T1_T2_jT3_P12ihipStream_tbPNSt15iterator_traitsISF_E10value_typeEPNSL_ISG_E10value_typeEPSH_NS1_7vsmem_tEENKUlT_SF_SG_SH_E_clIS9_S9_SA_SA_EESE_SU_SF_SG_SH_EUlSU_E1_NS1_11comp_targetILNS1_3genE3ELNS1_11target_archE908ELNS1_3gpuE7ELNS1_3repE0EEENS1_36merge_oddeven_config_static_selectorELNS0_4arch9wavefront6targetE0EEEvSG_
                                        ; -- End function
	.set _ZN7rocprim17ROCPRIM_400000_NS6detail17trampoline_kernelINS0_14default_configENS1_38merge_sort_block_merge_config_selectorI6__halfNS0_10empty_typeEEEZZNS1_27merge_sort_block_merge_implIS3_PS5_PS6_jNS1_19radix_merge_compareILb0ELb0ES5_NS0_19identity_decomposerEEEEE10hipError_tT0_T1_T2_jT3_P12ihipStream_tbPNSt15iterator_traitsISF_E10value_typeEPNSL_ISG_E10value_typeEPSH_NS1_7vsmem_tEENKUlT_SF_SG_SH_E_clIS9_S9_SA_SA_EESE_SU_SF_SG_SH_EUlSU_E1_NS1_11comp_targetILNS1_3genE3ELNS1_11target_archE908ELNS1_3gpuE7ELNS1_3repE0EEENS1_36merge_oddeven_config_static_selectorELNS0_4arch9wavefront6targetE0EEEvSG_.num_vgpr, 0
	.set _ZN7rocprim17ROCPRIM_400000_NS6detail17trampoline_kernelINS0_14default_configENS1_38merge_sort_block_merge_config_selectorI6__halfNS0_10empty_typeEEEZZNS1_27merge_sort_block_merge_implIS3_PS5_PS6_jNS1_19radix_merge_compareILb0ELb0ES5_NS0_19identity_decomposerEEEEE10hipError_tT0_T1_T2_jT3_P12ihipStream_tbPNSt15iterator_traitsISF_E10value_typeEPNSL_ISG_E10value_typeEPSH_NS1_7vsmem_tEENKUlT_SF_SG_SH_E_clIS9_S9_SA_SA_EESE_SU_SF_SG_SH_EUlSU_E1_NS1_11comp_targetILNS1_3genE3ELNS1_11target_archE908ELNS1_3gpuE7ELNS1_3repE0EEENS1_36merge_oddeven_config_static_selectorELNS0_4arch9wavefront6targetE0EEEvSG_.num_agpr, 0
	.set _ZN7rocprim17ROCPRIM_400000_NS6detail17trampoline_kernelINS0_14default_configENS1_38merge_sort_block_merge_config_selectorI6__halfNS0_10empty_typeEEEZZNS1_27merge_sort_block_merge_implIS3_PS5_PS6_jNS1_19radix_merge_compareILb0ELb0ES5_NS0_19identity_decomposerEEEEE10hipError_tT0_T1_T2_jT3_P12ihipStream_tbPNSt15iterator_traitsISF_E10value_typeEPNSL_ISG_E10value_typeEPSH_NS1_7vsmem_tEENKUlT_SF_SG_SH_E_clIS9_S9_SA_SA_EESE_SU_SF_SG_SH_EUlSU_E1_NS1_11comp_targetILNS1_3genE3ELNS1_11target_archE908ELNS1_3gpuE7ELNS1_3repE0EEENS1_36merge_oddeven_config_static_selectorELNS0_4arch9wavefront6targetE0EEEvSG_.numbered_sgpr, 0
	.set _ZN7rocprim17ROCPRIM_400000_NS6detail17trampoline_kernelINS0_14default_configENS1_38merge_sort_block_merge_config_selectorI6__halfNS0_10empty_typeEEEZZNS1_27merge_sort_block_merge_implIS3_PS5_PS6_jNS1_19radix_merge_compareILb0ELb0ES5_NS0_19identity_decomposerEEEEE10hipError_tT0_T1_T2_jT3_P12ihipStream_tbPNSt15iterator_traitsISF_E10value_typeEPNSL_ISG_E10value_typeEPSH_NS1_7vsmem_tEENKUlT_SF_SG_SH_E_clIS9_S9_SA_SA_EESE_SU_SF_SG_SH_EUlSU_E1_NS1_11comp_targetILNS1_3genE3ELNS1_11target_archE908ELNS1_3gpuE7ELNS1_3repE0EEENS1_36merge_oddeven_config_static_selectorELNS0_4arch9wavefront6targetE0EEEvSG_.num_named_barrier, 0
	.set _ZN7rocprim17ROCPRIM_400000_NS6detail17trampoline_kernelINS0_14default_configENS1_38merge_sort_block_merge_config_selectorI6__halfNS0_10empty_typeEEEZZNS1_27merge_sort_block_merge_implIS3_PS5_PS6_jNS1_19radix_merge_compareILb0ELb0ES5_NS0_19identity_decomposerEEEEE10hipError_tT0_T1_T2_jT3_P12ihipStream_tbPNSt15iterator_traitsISF_E10value_typeEPNSL_ISG_E10value_typeEPSH_NS1_7vsmem_tEENKUlT_SF_SG_SH_E_clIS9_S9_SA_SA_EESE_SU_SF_SG_SH_EUlSU_E1_NS1_11comp_targetILNS1_3genE3ELNS1_11target_archE908ELNS1_3gpuE7ELNS1_3repE0EEENS1_36merge_oddeven_config_static_selectorELNS0_4arch9wavefront6targetE0EEEvSG_.private_seg_size, 0
	.set _ZN7rocprim17ROCPRIM_400000_NS6detail17trampoline_kernelINS0_14default_configENS1_38merge_sort_block_merge_config_selectorI6__halfNS0_10empty_typeEEEZZNS1_27merge_sort_block_merge_implIS3_PS5_PS6_jNS1_19radix_merge_compareILb0ELb0ES5_NS0_19identity_decomposerEEEEE10hipError_tT0_T1_T2_jT3_P12ihipStream_tbPNSt15iterator_traitsISF_E10value_typeEPNSL_ISG_E10value_typeEPSH_NS1_7vsmem_tEENKUlT_SF_SG_SH_E_clIS9_S9_SA_SA_EESE_SU_SF_SG_SH_EUlSU_E1_NS1_11comp_targetILNS1_3genE3ELNS1_11target_archE908ELNS1_3gpuE7ELNS1_3repE0EEENS1_36merge_oddeven_config_static_selectorELNS0_4arch9wavefront6targetE0EEEvSG_.uses_vcc, 0
	.set _ZN7rocprim17ROCPRIM_400000_NS6detail17trampoline_kernelINS0_14default_configENS1_38merge_sort_block_merge_config_selectorI6__halfNS0_10empty_typeEEEZZNS1_27merge_sort_block_merge_implIS3_PS5_PS6_jNS1_19radix_merge_compareILb0ELb0ES5_NS0_19identity_decomposerEEEEE10hipError_tT0_T1_T2_jT3_P12ihipStream_tbPNSt15iterator_traitsISF_E10value_typeEPNSL_ISG_E10value_typeEPSH_NS1_7vsmem_tEENKUlT_SF_SG_SH_E_clIS9_S9_SA_SA_EESE_SU_SF_SG_SH_EUlSU_E1_NS1_11comp_targetILNS1_3genE3ELNS1_11target_archE908ELNS1_3gpuE7ELNS1_3repE0EEENS1_36merge_oddeven_config_static_selectorELNS0_4arch9wavefront6targetE0EEEvSG_.uses_flat_scratch, 0
	.set _ZN7rocprim17ROCPRIM_400000_NS6detail17trampoline_kernelINS0_14default_configENS1_38merge_sort_block_merge_config_selectorI6__halfNS0_10empty_typeEEEZZNS1_27merge_sort_block_merge_implIS3_PS5_PS6_jNS1_19radix_merge_compareILb0ELb0ES5_NS0_19identity_decomposerEEEEE10hipError_tT0_T1_T2_jT3_P12ihipStream_tbPNSt15iterator_traitsISF_E10value_typeEPNSL_ISG_E10value_typeEPSH_NS1_7vsmem_tEENKUlT_SF_SG_SH_E_clIS9_S9_SA_SA_EESE_SU_SF_SG_SH_EUlSU_E1_NS1_11comp_targetILNS1_3genE3ELNS1_11target_archE908ELNS1_3gpuE7ELNS1_3repE0EEENS1_36merge_oddeven_config_static_selectorELNS0_4arch9wavefront6targetE0EEEvSG_.has_dyn_sized_stack, 0
	.set _ZN7rocprim17ROCPRIM_400000_NS6detail17trampoline_kernelINS0_14default_configENS1_38merge_sort_block_merge_config_selectorI6__halfNS0_10empty_typeEEEZZNS1_27merge_sort_block_merge_implIS3_PS5_PS6_jNS1_19radix_merge_compareILb0ELb0ES5_NS0_19identity_decomposerEEEEE10hipError_tT0_T1_T2_jT3_P12ihipStream_tbPNSt15iterator_traitsISF_E10value_typeEPNSL_ISG_E10value_typeEPSH_NS1_7vsmem_tEENKUlT_SF_SG_SH_E_clIS9_S9_SA_SA_EESE_SU_SF_SG_SH_EUlSU_E1_NS1_11comp_targetILNS1_3genE3ELNS1_11target_archE908ELNS1_3gpuE7ELNS1_3repE0EEENS1_36merge_oddeven_config_static_selectorELNS0_4arch9wavefront6targetE0EEEvSG_.has_recursion, 0
	.set _ZN7rocprim17ROCPRIM_400000_NS6detail17trampoline_kernelINS0_14default_configENS1_38merge_sort_block_merge_config_selectorI6__halfNS0_10empty_typeEEEZZNS1_27merge_sort_block_merge_implIS3_PS5_PS6_jNS1_19radix_merge_compareILb0ELb0ES5_NS0_19identity_decomposerEEEEE10hipError_tT0_T1_T2_jT3_P12ihipStream_tbPNSt15iterator_traitsISF_E10value_typeEPNSL_ISG_E10value_typeEPSH_NS1_7vsmem_tEENKUlT_SF_SG_SH_E_clIS9_S9_SA_SA_EESE_SU_SF_SG_SH_EUlSU_E1_NS1_11comp_targetILNS1_3genE3ELNS1_11target_archE908ELNS1_3gpuE7ELNS1_3repE0EEENS1_36merge_oddeven_config_static_selectorELNS0_4arch9wavefront6targetE0EEEvSG_.has_indirect_call, 0
	.section	.AMDGPU.csdata,"",@progbits
; Kernel info:
; codeLenInByte = 0
; TotalNumSgprs: 0
; NumVgprs: 0
; ScratchSize: 0
; MemoryBound: 0
; FloatMode: 240
; IeeeMode: 1
; LDSByteSize: 0 bytes/workgroup (compile time only)
; SGPRBlocks: 0
; VGPRBlocks: 0
; NumSGPRsForWavesPerEU: 1
; NumVGPRsForWavesPerEU: 1
; NamedBarCnt: 0
; Occupancy: 16
; WaveLimiterHint : 0
; COMPUTE_PGM_RSRC2:SCRATCH_EN: 0
; COMPUTE_PGM_RSRC2:USER_SGPR: 2
; COMPUTE_PGM_RSRC2:TRAP_HANDLER: 0
; COMPUTE_PGM_RSRC2:TGID_X_EN: 1
; COMPUTE_PGM_RSRC2:TGID_Y_EN: 0
; COMPUTE_PGM_RSRC2:TGID_Z_EN: 0
; COMPUTE_PGM_RSRC2:TIDIG_COMP_CNT: 0
	.section	.text._ZN7rocprim17ROCPRIM_400000_NS6detail17trampoline_kernelINS0_14default_configENS1_38merge_sort_block_merge_config_selectorI6__halfNS0_10empty_typeEEEZZNS1_27merge_sort_block_merge_implIS3_PS5_PS6_jNS1_19radix_merge_compareILb0ELb0ES5_NS0_19identity_decomposerEEEEE10hipError_tT0_T1_T2_jT3_P12ihipStream_tbPNSt15iterator_traitsISF_E10value_typeEPNSL_ISG_E10value_typeEPSH_NS1_7vsmem_tEENKUlT_SF_SG_SH_E_clIS9_S9_SA_SA_EESE_SU_SF_SG_SH_EUlSU_E1_NS1_11comp_targetILNS1_3genE2ELNS1_11target_archE906ELNS1_3gpuE6ELNS1_3repE0EEENS1_36merge_oddeven_config_static_selectorELNS0_4arch9wavefront6targetE0EEEvSG_,"axG",@progbits,_ZN7rocprim17ROCPRIM_400000_NS6detail17trampoline_kernelINS0_14default_configENS1_38merge_sort_block_merge_config_selectorI6__halfNS0_10empty_typeEEEZZNS1_27merge_sort_block_merge_implIS3_PS5_PS6_jNS1_19radix_merge_compareILb0ELb0ES5_NS0_19identity_decomposerEEEEE10hipError_tT0_T1_T2_jT3_P12ihipStream_tbPNSt15iterator_traitsISF_E10value_typeEPNSL_ISG_E10value_typeEPSH_NS1_7vsmem_tEENKUlT_SF_SG_SH_E_clIS9_S9_SA_SA_EESE_SU_SF_SG_SH_EUlSU_E1_NS1_11comp_targetILNS1_3genE2ELNS1_11target_archE906ELNS1_3gpuE6ELNS1_3repE0EEENS1_36merge_oddeven_config_static_selectorELNS0_4arch9wavefront6targetE0EEEvSG_,comdat
	.protected	_ZN7rocprim17ROCPRIM_400000_NS6detail17trampoline_kernelINS0_14default_configENS1_38merge_sort_block_merge_config_selectorI6__halfNS0_10empty_typeEEEZZNS1_27merge_sort_block_merge_implIS3_PS5_PS6_jNS1_19radix_merge_compareILb0ELb0ES5_NS0_19identity_decomposerEEEEE10hipError_tT0_T1_T2_jT3_P12ihipStream_tbPNSt15iterator_traitsISF_E10value_typeEPNSL_ISG_E10value_typeEPSH_NS1_7vsmem_tEENKUlT_SF_SG_SH_E_clIS9_S9_SA_SA_EESE_SU_SF_SG_SH_EUlSU_E1_NS1_11comp_targetILNS1_3genE2ELNS1_11target_archE906ELNS1_3gpuE6ELNS1_3repE0EEENS1_36merge_oddeven_config_static_selectorELNS0_4arch9wavefront6targetE0EEEvSG_ ; -- Begin function _ZN7rocprim17ROCPRIM_400000_NS6detail17trampoline_kernelINS0_14default_configENS1_38merge_sort_block_merge_config_selectorI6__halfNS0_10empty_typeEEEZZNS1_27merge_sort_block_merge_implIS3_PS5_PS6_jNS1_19radix_merge_compareILb0ELb0ES5_NS0_19identity_decomposerEEEEE10hipError_tT0_T1_T2_jT3_P12ihipStream_tbPNSt15iterator_traitsISF_E10value_typeEPNSL_ISG_E10value_typeEPSH_NS1_7vsmem_tEENKUlT_SF_SG_SH_E_clIS9_S9_SA_SA_EESE_SU_SF_SG_SH_EUlSU_E1_NS1_11comp_targetILNS1_3genE2ELNS1_11target_archE906ELNS1_3gpuE6ELNS1_3repE0EEENS1_36merge_oddeven_config_static_selectorELNS0_4arch9wavefront6targetE0EEEvSG_
	.globl	_ZN7rocprim17ROCPRIM_400000_NS6detail17trampoline_kernelINS0_14default_configENS1_38merge_sort_block_merge_config_selectorI6__halfNS0_10empty_typeEEEZZNS1_27merge_sort_block_merge_implIS3_PS5_PS6_jNS1_19radix_merge_compareILb0ELb0ES5_NS0_19identity_decomposerEEEEE10hipError_tT0_T1_T2_jT3_P12ihipStream_tbPNSt15iterator_traitsISF_E10value_typeEPNSL_ISG_E10value_typeEPSH_NS1_7vsmem_tEENKUlT_SF_SG_SH_E_clIS9_S9_SA_SA_EESE_SU_SF_SG_SH_EUlSU_E1_NS1_11comp_targetILNS1_3genE2ELNS1_11target_archE906ELNS1_3gpuE6ELNS1_3repE0EEENS1_36merge_oddeven_config_static_selectorELNS0_4arch9wavefront6targetE0EEEvSG_
	.p2align	8
	.type	_ZN7rocprim17ROCPRIM_400000_NS6detail17trampoline_kernelINS0_14default_configENS1_38merge_sort_block_merge_config_selectorI6__halfNS0_10empty_typeEEEZZNS1_27merge_sort_block_merge_implIS3_PS5_PS6_jNS1_19radix_merge_compareILb0ELb0ES5_NS0_19identity_decomposerEEEEE10hipError_tT0_T1_T2_jT3_P12ihipStream_tbPNSt15iterator_traitsISF_E10value_typeEPNSL_ISG_E10value_typeEPSH_NS1_7vsmem_tEENKUlT_SF_SG_SH_E_clIS9_S9_SA_SA_EESE_SU_SF_SG_SH_EUlSU_E1_NS1_11comp_targetILNS1_3genE2ELNS1_11target_archE906ELNS1_3gpuE6ELNS1_3repE0EEENS1_36merge_oddeven_config_static_selectorELNS0_4arch9wavefront6targetE0EEEvSG_,@function
_ZN7rocprim17ROCPRIM_400000_NS6detail17trampoline_kernelINS0_14default_configENS1_38merge_sort_block_merge_config_selectorI6__halfNS0_10empty_typeEEEZZNS1_27merge_sort_block_merge_implIS3_PS5_PS6_jNS1_19radix_merge_compareILb0ELb0ES5_NS0_19identity_decomposerEEEEE10hipError_tT0_T1_T2_jT3_P12ihipStream_tbPNSt15iterator_traitsISF_E10value_typeEPNSL_ISG_E10value_typeEPSH_NS1_7vsmem_tEENKUlT_SF_SG_SH_E_clIS9_S9_SA_SA_EESE_SU_SF_SG_SH_EUlSU_E1_NS1_11comp_targetILNS1_3genE2ELNS1_11target_archE906ELNS1_3gpuE6ELNS1_3repE0EEENS1_36merge_oddeven_config_static_selectorELNS0_4arch9wavefront6targetE0EEEvSG_: ; @_ZN7rocprim17ROCPRIM_400000_NS6detail17trampoline_kernelINS0_14default_configENS1_38merge_sort_block_merge_config_selectorI6__halfNS0_10empty_typeEEEZZNS1_27merge_sort_block_merge_implIS3_PS5_PS6_jNS1_19radix_merge_compareILb0ELb0ES5_NS0_19identity_decomposerEEEEE10hipError_tT0_T1_T2_jT3_P12ihipStream_tbPNSt15iterator_traitsISF_E10value_typeEPNSL_ISG_E10value_typeEPSH_NS1_7vsmem_tEENKUlT_SF_SG_SH_E_clIS9_S9_SA_SA_EESE_SU_SF_SG_SH_EUlSU_E1_NS1_11comp_targetILNS1_3genE2ELNS1_11target_archE906ELNS1_3gpuE6ELNS1_3repE0EEENS1_36merge_oddeven_config_static_selectorELNS0_4arch9wavefront6targetE0EEEvSG_
; %bb.0:
	.section	.rodata,"a",@progbits
	.p2align	6, 0x0
	.amdhsa_kernel _ZN7rocprim17ROCPRIM_400000_NS6detail17trampoline_kernelINS0_14default_configENS1_38merge_sort_block_merge_config_selectorI6__halfNS0_10empty_typeEEEZZNS1_27merge_sort_block_merge_implIS3_PS5_PS6_jNS1_19radix_merge_compareILb0ELb0ES5_NS0_19identity_decomposerEEEEE10hipError_tT0_T1_T2_jT3_P12ihipStream_tbPNSt15iterator_traitsISF_E10value_typeEPNSL_ISG_E10value_typeEPSH_NS1_7vsmem_tEENKUlT_SF_SG_SH_E_clIS9_S9_SA_SA_EESE_SU_SF_SG_SH_EUlSU_E1_NS1_11comp_targetILNS1_3genE2ELNS1_11target_archE906ELNS1_3gpuE6ELNS1_3repE0EEENS1_36merge_oddeven_config_static_selectorELNS0_4arch9wavefront6targetE0EEEvSG_
		.amdhsa_group_segment_fixed_size 0
		.amdhsa_private_segment_fixed_size 0
		.amdhsa_kernarg_size 48
		.amdhsa_user_sgpr_count 2
		.amdhsa_user_sgpr_dispatch_ptr 0
		.amdhsa_user_sgpr_queue_ptr 0
		.amdhsa_user_sgpr_kernarg_segment_ptr 1
		.amdhsa_user_sgpr_dispatch_id 0
		.amdhsa_user_sgpr_kernarg_preload_length 0
		.amdhsa_user_sgpr_kernarg_preload_offset 0
		.amdhsa_user_sgpr_private_segment_size 0
		.amdhsa_wavefront_size32 1
		.amdhsa_uses_dynamic_stack 0
		.amdhsa_enable_private_segment 0
		.amdhsa_system_sgpr_workgroup_id_x 1
		.amdhsa_system_sgpr_workgroup_id_y 0
		.amdhsa_system_sgpr_workgroup_id_z 0
		.amdhsa_system_sgpr_workgroup_info 0
		.amdhsa_system_vgpr_workitem_id 0
		.amdhsa_next_free_vgpr 1
		.amdhsa_next_free_sgpr 1
		.amdhsa_named_barrier_count 0
		.amdhsa_reserve_vcc 0
		.amdhsa_float_round_mode_32 0
		.amdhsa_float_round_mode_16_64 0
		.amdhsa_float_denorm_mode_32 3
		.amdhsa_float_denorm_mode_16_64 3
		.amdhsa_fp16_overflow 0
		.amdhsa_memory_ordered 1
		.amdhsa_forward_progress 1
		.amdhsa_inst_pref_size 0
		.amdhsa_round_robin_scheduling 0
		.amdhsa_exception_fp_ieee_invalid_op 0
		.amdhsa_exception_fp_denorm_src 0
		.amdhsa_exception_fp_ieee_div_zero 0
		.amdhsa_exception_fp_ieee_overflow 0
		.amdhsa_exception_fp_ieee_underflow 0
		.amdhsa_exception_fp_ieee_inexact 0
		.amdhsa_exception_int_div_zero 0
	.end_amdhsa_kernel
	.section	.text._ZN7rocprim17ROCPRIM_400000_NS6detail17trampoline_kernelINS0_14default_configENS1_38merge_sort_block_merge_config_selectorI6__halfNS0_10empty_typeEEEZZNS1_27merge_sort_block_merge_implIS3_PS5_PS6_jNS1_19radix_merge_compareILb0ELb0ES5_NS0_19identity_decomposerEEEEE10hipError_tT0_T1_T2_jT3_P12ihipStream_tbPNSt15iterator_traitsISF_E10value_typeEPNSL_ISG_E10value_typeEPSH_NS1_7vsmem_tEENKUlT_SF_SG_SH_E_clIS9_S9_SA_SA_EESE_SU_SF_SG_SH_EUlSU_E1_NS1_11comp_targetILNS1_3genE2ELNS1_11target_archE906ELNS1_3gpuE6ELNS1_3repE0EEENS1_36merge_oddeven_config_static_selectorELNS0_4arch9wavefront6targetE0EEEvSG_,"axG",@progbits,_ZN7rocprim17ROCPRIM_400000_NS6detail17trampoline_kernelINS0_14default_configENS1_38merge_sort_block_merge_config_selectorI6__halfNS0_10empty_typeEEEZZNS1_27merge_sort_block_merge_implIS3_PS5_PS6_jNS1_19radix_merge_compareILb0ELb0ES5_NS0_19identity_decomposerEEEEE10hipError_tT0_T1_T2_jT3_P12ihipStream_tbPNSt15iterator_traitsISF_E10value_typeEPNSL_ISG_E10value_typeEPSH_NS1_7vsmem_tEENKUlT_SF_SG_SH_E_clIS9_S9_SA_SA_EESE_SU_SF_SG_SH_EUlSU_E1_NS1_11comp_targetILNS1_3genE2ELNS1_11target_archE906ELNS1_3gpuE6ELNS1_3repE0EEENS1_36merge_oddeven_config_static_selectorELNS0_4arch9wavefront6targetE0EEEvSG_,comdat
.Lfunc_end2229:
	.size	_ZN7rocprim17ROCPRIM_400000_NS6detail17trampoline_kernelINS0_14default_configENS1_38merge_sort_block_merge_config_selectorI6__halfNS0_10empty_typeEEEZZNS1_27merge_sort_block_merge_implIS3_PS5_PS6_jNS1_19radix_merge_compareILb0ELb0ES5_NS0_19identity_decomposerEEEEE10hipError_tT0_T1_T2_jT3_P12ihipStream_tbPNSt15iterator_traitsISF_E10value_typeEPNSL_ISG_E10value_typeEPSH_NS1_7vsmem_tEENKUlT_SF_SG_SH_E_clIS9_S9_SA_SA_EESE_SU_SF_SG_SH_EUlSU_E1_NS1_11comp_targetILNS1_3genE2ELNS1_11target_archE906ELNS1_3gpuE6ELNS1_3repE0EEENS1_36merge_oddeven_config_static_selectorELNS0_4arch9wavefront6targetE0EEEvSG_, .Lfunc_end2229-_ZN7rocprim17ROCPRIM_400000_NS6detail17trampoline_kernelINS0_14default_configENS1_38merge_sort_block_merge_config_selectorI6__halfNS0_10empty_typeEEEZZNS1_27merge_sort_block_merge_implIS3_PS5_PS6_jNS1_19radix_merge_compareILb0ELb0ES5_NS0_19identity_decomposerEEEEE10hipError_tT0_T1_T2_jT3_P12ihipStream_tbPNSt15iterator_traitsISF_E10value_typeEPNSL_ISG_E10value_typeEPSH_NS1_7vsmem_tEENKUlT_SF_SG_SH_E_clIS9_S9_SA_SA_EESE_SU_SF_SG_SH_EUlSU_E1_NS1_11comp_targetILNS1_3genE2ELNS1_11target_archE906ELNS1_3gpuE6ELNS1_3repE0EEENS1_36merge_oddeven_config_static_selectorELNS0_4arch9wavefront6targetE0EEEvSG_
                                        ; -- End function
	.set _ZN7rocprim17ROCPRIM_400000_NS6detail17trampoline_kernelINS0_14default_configENS1_38merge_sort_block_merge_config_selectorI6__halfNS0_10empty_typeEEEZZNS1_27merge_sort_block_merge_implIS3_PS5_PS6_jNS1_19radix_merge_compareILb0ELb0ES5_NS0_19identity_decomposerEEEEE10hipError_tT0_T1_T2_jT3_P12ihipStream_tbPNSt15iterator_traitsISF_E10value_typeEPNSL_ISG_E10value_typeEPSH_NS1_7vsmem_tEENKUlT_SF_SG_SH_E_clIS9_S9_SA_SA_EESE_SU_SF_SG_SH_EUlSU_E1_NS1_11comp_targetILNS1_3genE2ELNS1_11target_archE906ELNS1_3gpuE6ELNS1_3repE0EEENS1_36merge_oddeven_config_static_selectorELNS0_4arch9wavefront6targetE0EEEvSG_.num_vgpr, 0
	.set _ZN7rocprim17ROCPRIM_400000_NS6detail17trampoline_kernelINS0_14default_configENS1_38merge_sort_block_merge_config_selectorI6__halfNS0_10empty_typeEEEZZNS1_27merge_sort_block_merge_implIS3_PS5_PS6_jNS1_19radix_merge_compareILb0ELb0ES5_NS0_19identity_decomposerEEEEE10hipError_tT0_T1_T2_jT3_P12ihipStream_tbPNSt15iterator_traitsISF_E10value_typeEPNSL_ISG_E10value_typeEPSH_NS1_7vsmem_tEENKUlT_SF_SG_SH_E_clIS9_S9_SA_SA_EESE_SU_SF_SG_SH_EUlSU_E1_NS1_11comp_targetILNS1_3genE2ELNS1_11target_archE906ELNS1_3gpuE6ELNS1_3repE0EEENS1_36merge_oddeven_config_static_selectorELNS0_4arch9wavefront6targetE0EEEvSG_.num_agpr, 0
	.set _ZN7rocprim17ROCPRIM_400000_NS6detail17trampoline_kernelINS0_14default_configENS1_38merge_sort_block_merge_config_selectorI6__halfNS0_10empty_typeEEEZZNS1_27merge_sort_block_merge_implIS3_PS5_PS6_jNS1_19radix_merge_compareILb0ELb0ES5_NS0_19identity_decomposerEEEEE10hipError_tT0_T1_T2_jT3_P12ihipStream_tbPNSt15iterator_traitsISF_E10value_typeEPNSL_ISG_E10value_typeEPSH_NS1_7vsmem_tEENKUlT_SF_SG_SH_E_clIS9_S9_SA_SA_EESE_SU_SF_SG_SH_EUlSU_E1_NS1_11comp_targetILNS1_3genE2ELNS1_11target_archE906ELNS1_3gpuE6ELNS1_3repE0EEENS1_36merge_oddeven_config_static_selectorELNS0_4arch9wavefront6targetE0EEEvSG_.numbered_sgpr, 0
	.set _ZN7rocprim17ROCPRIM_400000_NS6detail17trampoline_kernelINS0_14default_configENS1_38merge_sort_block_merge_config_selectorI6__halfNS0_10empty_typeEEEZZNS1_27merge_sort_block_merge_implIS3_PS5_PS6_jNS1_19radix_merge_compareILb0ELb0ES5_NS0_19identity_decomposerEEEEE10hipError_tT0_T1_T2_jT3_P12ihipStream_tbPNSt15iterator_traitsISF_E10value_typeEPNSL_ISG_E10value_typeEPSH_NS1_7vsmem_tEENKUlT_SF_SG_SH_E_clIS9_S9_SA_SA_EESE_SU_SF_SG_SH_EUlSU_E1_NS1_11comp_targetILNS1_3genE2ELNS1_11target_archE906ELNS1_3gpuE6ELNS1_3repE0EEENS1_36merge_oddeven_config_static_selectorELNS0_4arch9wavefront6targetE0EEEvSG_.num_named_barrier, 0
	.set _ZN7rocprim17ROCPRIM_400000_NS6detail17trampoline_kernelINS0_14default_configENS1_38merge_sort_block_merge_config_selectorI6__halfNS0_10empty_typeEEEZZNS1_27merge_sort_block_merge_implIS3_PS5_PS6_jNS1_19radix_merge_compareILb0ELb0ES5_NS0_19identity_decomposerEEEEE10hipError_tT0_T1_T2_jT3_P12ihipStream_tbPNSt15iterator_traitsISF_E10value_typeEPNSL_ISG_E10value_typeEPSH_NS1_7vsmem_tEENKUlT_SF_SG_SH_E_clIS9_S9_SA_SA_EESE_SU_SF_SG_SH_EUlSU_E1_NS1_11comp_targetILNS1_3genE2ELNS1_11target_archE906ELNS1_3gpuE6ELNS1_3repE0EEENS1_36merge_oddeven_config_static_selectorELNS0_4arch9wavefront6targetE0EEEvSG_.private_seg_size, 0
	.set _ZN7rocprim17ROCPRIM_400000_NS6detail17trampoline_kernelINS0_14default_configENS1_38merge_sort_block_merge_config_selectorI6__halfNS0_10empty_typeEEEZZNS1_27merge_sort_block_merge_implIS3_PS5_PS6_jNS1_19radix_merge_compareILb0ELb0ES5_NS0_19identity_decomposerEEEEE10hipError_tT0_T1_T2_jT3_P12ihipStream_tbPNSt15iterator_traitsISF_E10value_typeEPNSL_ISG_E10value_typeEPSH_NS1_7vsmem_tEENKUlT_SF_SG_SH_E_clIS9_S9_SA_SA_EESE_SU_SF_SG_SH_EUlSU_E1_NS1_11comp_targetILNS1_3genE2ELNS1_11target_archE906ELNS1_3gpuE6ELNS1_3repE0EEENS1_36merge_oddeven_config_static_selectorELNS0_4arch9wavefront6targetE0EEEvSG_.uses_vcc, 0
	.set _ZN7rocprim17ROCPRIM_400000_NS6detail17trampoline_kernelINS0_14default_configENS1_38merge_sort_block_merge_config_selectorI6__halfNS0_10empty_typeEEEZZNS1_27merge_sort_block_merge_implIS3_PS5_PS6_jNS1_19radix_merge_compareILb0ELb0ES5_NS0_19identity_decomposerEEEEE10hipError_tT0_T1_T2_jT3_P12ihipStream_tbPNSt15iterator_traitsISF_E10value_typeEPNSL_ISG_E10value_typeEPSH_NS1_7vsmem_tEENKUlT_SF_SG_SH_E_clIS9_S9_SA_SA_EESE_SU_SF_SG_SH_EUlSU_E1_NS1_11comp_targetILNS1_3genE2ELNS1_11target_archE906ELNS1_3gpuE6ELNS1_3repE0EEENS1_36merge_oddeven_config_static_selectorELNS0_4arch9wavefront6targetE0EEEvSG_.uses_flat_scratch, 0
	.set _ZN7rocprim17ROCPRIM_400000_NS6detail17trampoline_kernelINS0_14default_configENS1_38merge_sort_block_merge_config_selectorI6__halfNS0_10empty_typeEEEZZNS1_27merge_sort_block_merge_implIS3_PS5_PS6_jNS1_19radix_merge_compareILb0ELb0ES5_NS0_19identity_decomposerEEEEE10hipError_tT0_T1_T2_jT3_P12ihipStream_tbPNSt15iterator_traitsISF_E10value_typeEPNSL_ISG_E10value_typeEPSH_NS1_7vsmem_tEENKUlT_SF_SG_SH_E_clIS9_S9_SA_SA_EESE_SU_SF_SG_SH_EUlSU_E1_NS1_11comp_targetILNS1_3genE2ELNS1_11target_archE906ELNS1_3gpuE6ELNS1_3repE0EEENS1_36merge_oddeven_config_static_selectorELNS0_4arch9wavefront6targetE0EEEvSG_.has_dyn_sized_stack, 0
	.set _ZN7rocprim17ROCPRIM_400000_NS6detail17trampoline_kernelINS0_14default_configENS1_38merge_sort_block_merge_config_selectorI6__halfNS0_10empty_typeEEEZZNS1_27merge_sort_block_merge_implIS3_PS5_PS6_jNS1_19radix_merge_compareILb0ELb0ES5_NS0_19identity_decomposerEEEEE10hipError_tT0_T1_T2_jT3_P12ihipStream_tbPNSt15iterator_traitsISF_E10value_typeEPNSL_ISG_E10value_typeEPSH_NS1_7vsmem_tEENKUlT_SF_SG_SH_E_clIS9_S9_SA_SA_EESE_SU_SF_SG_SH_EUlSU_E1_NS1_11comp_targetILNS1_3genE2ELNS1_11target_archE906ELNS1_3gpuE6ELNS1_3repE0EEENS1_36merge_oddeven_config_static_selectorELNS0_4arch9wavefront6targetE0EEEvSG_.has_recursion, 0
	.set _ZN7rocprim17ROCPRIM_400000_NS6detail17trampoline_kernelINS0_14default_configENS1_38merge_sort_block_merge_config_selectorI6__halfNS0_10empty_typeEEEZZNS1_27merge_sort_block_merge_implIS3_PS5_PS6_jNS1_19radix_merge_compareILb0ELb0ES5_NS0_19identity_decomposerEEEEE10hipError_tT0_T1_T2_jT3_P12ihipStream_tbPNSt15iterator_traitsISF_E10value_typeEPNSL_ISG_E10value_typeEPSH_NS1_7vsmem_tEENKUlT_SF_SG_SH_E_clIS9_S9_SA_SA_EESE_SU_SF_SG_SH_EUlSU_E1_NS1_11comp_targetILNS1_3genE2ELNS1_11target_archE906ELNS1_3gpuE6ELNS1_3repE0EEENS1_36merge_oddeven_config_static_selectorELNS0_4arch9wavefront6targetE0EEEvSG_.has_indirect_call, 0
	.section	.AMDGPU.csdata,"",@progbits
; Kernel info:
; codeLenInByte = 0
; TotalNumSgprs: 0
; NumVgprs: 0
; ScratchSize: 0
; MemoryBound: 0
; FloatMode: 240
; IeeeMode: 1
; LDSByteSize: 0 bytes/workgroup (compile time only)
; SGPRBlocks: 0
; VGPRBlocks: 0
; NumSGPRsForWavesPerEU: 1
; NumVGPRsForWavesPerEU: 1
; NamedBarCnt: 0
; Occupancy: 16
; WaveLimiterHint : 0
; COMPUTE_PGM_RSRC2:SCRATCH_EN: 0
; COMPUTE_PGM_RSRC2:USER_SGPR: 2
; COMPUTE_PGM_RSRC2:TRAP_HANDLER: 0
; COMPUTE_PGM_RSRC2:TGID_X_EN: 1
; COMPUTE_PGM_RSRC2:TGID_Y_EN: 0
; COMPUTE_PGM_RSRC2:TGID_Z_EN: 0
; COMPUTE_PGM_RSRC2:TIDIG_COMP_CNT: 0
	.section	.text._ZN7rocprim17ROCPRIM_400000_NS6detail17trampoline_kernelINS0_14default_configENS1_38merge_sort_block_merge_config_selectorI6__halfNS0_10empty_typeEEEZZNS1_27merge_sort_block_merge_implIS3_PS5_PS6_jNS1_19radix_merge_compareILb0ELb0ES5_NS0_19identity_decomposerEEEEE10hipError_tT0_T1_T2_jT3_P12ihipStream_tbPNSt15iterator_traitsISF_E10value_typeEPNSL_ISG_E10value_typeEPSH_NS1_7vsmem_tEENKUlT_SF_SG_SH_E_clIS9_S9_SA_SA_EESE_SU_SF_SG_SH_EUlSU_E1_NS1_11comp_targetILNS1_3genE9ELNS1_11target_archE1100ELNS1_3gpuE3ELNS1_3repE0EEENS1_36merge_oddeven_config_static_selectorELNS0_4arch9wavefront6targetE0EEEvSG_,"axG",@progbits,_ZN7rocprim17ROCPRIM_400000_NS6detail17trampoline_kernelINS0_14default_configENS1_38merge_sort_block_merge_config_selectorI6__halfNS0_10empty_typeEEEZZNS1_27merge_sort_block_merge_implIS3_PS5_PS6_jNS1_19radix_merge_compareILb0ELb0ES5_NS0_19identity_decomposerEEEEE10hipError_tT0_T1_T2_jT3_P12ihipStream_tbPNSt15iterator_traitsISF_E10value_typeEPNSL_ISG_E10value_typeEPSH_NS1_7vsmem_tEENKUlT_SF_SG_SH_E_clIS9_S9_SA_SA_EESE_SU_SF_SG_SH_EUlSU_E1_NS1_11comp_targetILNS1_3genE9ELNS1_11target_archE1100ELNS1_3gpuE3ELNS1_3repE0EEENS1_36merge_oddeven_config_static_selectorELNS0_4arch9wavefront6targetE0EEEvSG_,comdat
	.protected	_ZN7rocprim17ROCPRIM_400000_NS6detail17trampoline_kernelINS0_14default_configENS1_38merge_sort_block_merge_config_selectorI6__halfNS0_10empty_typeEEEZZNS1_27merge_sort_block_merge_implIS3_PS5_PS6_jNS1_19radix_merge_compareILb0ELb0ES5_NS0_19identity_decomposerEEEEE10hipError_tT0_T1_T2_jT3_P12ihipStream_tbPNSt15iterator_traitsISF_E10value_typeEPNSL_ISG_E10value_typeEPSH_NS1_7vsmem_tEENKUlT_SF_SG_SH_E_clIS9_S9_SA_SA_EESE_SU_SF_SG_SH_EUlSU_E1_NS1_11comp_targetILNS1_3genE9ELNS1_11target_archE1100ELNS1_3gpuE3ELNS1_3repE0EEENS1_36merge_oddeven_config_static_selectorELNS0_4arch9wavefront6targetE0EEEvSG_ ; -- Begin function _ZN7rocprim17ROCPRIM_400000_NS6detail17trampoline_kernelINS0_14default_configENS1_38merge_sort_block_merge_config_selectorI6__halfNS0_10empty_typeEEEZZNS1_27merge_sort_block_merge_implIS3_PS5_PS6_jNS1_19radix_merge_compareILb0ELb0ES5_NS0_19identity_decomposerEEEEE10hipError_tT0_T1_T2_jT3_P12ihipStream_tbPNSt15iterator_traitsISF_E10value_typeEPNSL_ISG_E10value_typeEPSH_NS1_7vsmem_tEENKUlT_SF_SG_SH_E_clIS9_S9_SA_SA_EESE_SU_SF_SG_SH_EUlSU_E1_NS1_11comp_targetILNS1_3genE9ELNS1_11target_archE1100ELNS1_3gpuE3ELNS1_3repE0EEENS1_36merge_oddeven_config_static_selectorELNS0_4arch9wavefront6targetE0EEEvSG_
	.globl	_ZN7rocprim17ROCPRIM_400000_NS6detail17trampoline_kernelINS0_14default_configENS1_38merge_sort_block_merge_config_selectorI6__halfNS0_10empty_typeEEEZZNS1_27merge_sort_block_merge_implIS3_PS5_PS6_jNS1_19radix_merge_compareILb0ELb0ES5_NS0_19identity_decomposerEEEEE10hipError_tT0_T1_T2_jT3_P12ihipStream_tbPNSt15iterator_traitsISF_E10value_typeEPNSL_ISG_E10value_typeEPSH_NS1_7vsmem_tEENKUlT_SF_SG_SH_E_clIS9_S9_SA_SA_EESE_SU_SF_SG_SH_EUlSU_E1_NS1_11comp_targetILNS1_3genE9ELNS1_11target_archE1100ELNS1_3gpuE3ELNS1_3repE0EEENS1_36merge_oddeven_config_static_selectorELNS0_4arch9wavefront6targetE0EEEvSG_
	.p2align	8
	.type	_ZN7rocprim17ROCPRIM_400000_NS6detail17trampoline_kernelINS0_14default_configENS1_38merge_sort_block_merge_config_selectorI6__halfNS0_10empty_typeEEEZZNS1_27merge_sort_block_merge_implIS3_PS5_PS6_jNS1_19radix_merge_compareILb0ELb0ES5_NS0_19identity_decomposerEEEEE10hipError_tT0_T1_T2_jT3_P12ihipStream_tbPNSt15iterator_traitsISF_E10value_typeEPNSL_ISG_E10value_typeEPSH_NS1_7vsmem_tEENKUlT_SF_SG_SH_E_clIS9_S9_SA_SA_EESE_SU_SF_SG_SH_EUlSU_E1_NS1_11comp_targetILNS1_3genE9ELNS1_11target_archE1100ELNS1_3gpuE3ELNS1_3repE0EEENS1_36merge_oddeven_config_static_selectorELNS0_4arch9wavefront6targetE0EEEvSG_,@function
_ZN7rocprim17ROCPRIM_400000_NS6detail17trampoline_kernelINS0_14default_configENS1_38merge_sort_block_merge_config_selectorI6__halfNS0_10empty_typeEEEZZNS1_27merge_sort_block_merge_implIS3_PS5_PS6_jNS1_19radix_merge_compareILb0ELb0ES5_NS0_19identity_decomposerEEEEE10hipError_tT0_T1_T2_jT3_P12ihipStream_tbPNSt15iterator_traitsISF_E10value_typeEPNSL_ISG_E10value_typeEPSH_NS1_7vsmem_tEENKUlT_SF_SG_SH_E_clIS9_S9_SA_SA_EESE_SU_SF_SG_SH_EUlSU_E1_NS1_11comp_targetILNS1_3genE9ELNS1_11target_archE1100ELNS1_3gpuE3ELNS1_3repE0EEENS1_36merge_oddeven_config_static_selectorELNS0_4arch9wavefront6targetE0EEEvSG_: ; @_ZN7rocprim17ROCPRIM_400000_NS6detail17trampoline_kernelINS0_14default_configENS1_38merge_sort_block_merge_config_selectorI6__halfNS0_10empty_typeEEEZZNS1_27merge_sort_block_merge_implIS3_PS5_PS6_jNS1_19radix_merge_compareILb0ELb0ES5_NS0_19identity_decomposerEEEEE10hipError_tT0_T1_T2_jT3_P12ihipStream_tbPNSt15iterator_traitsISF_E10value_typeEPNSL_ISG_E10value_typeEPSH_NS1_7vsmem_tEENKUlT_SF_SG_SH_E_clIS9_S9_SA_SA_EESE_SU_SF_SG_SH_EUlSU_E1_NS1_11comp_targetILNS1_3genE9ELNS1_11target_archE1100ELNS1_3gpuE3ELNS1_3repE0EEENS1_36merge_oddeven_config_static_selectorELNS0_4arch9wavefront6targetE0EEEvSG_
; %bb.0:
	.section	.rodata,"a",@progbits
	.p2align	6, 0x0
	.amdhsa_kernel _ZN7rocprim17ROCPRIM_400000_NS6detail17trampoline_kernelINS0_14default_configENS1_38merge_sort_block_merge_config_selectorI6__halfNS0_10empty_typeEEEZZNS1_27merge_sort_block_merge_implIS3_PS5_PS6_jNS1_19radix_merge_compareILb0ELb0ES5_NS0_19identity_decomposerEEEEE10hipError_tT0_T1_T2_jT3_P12ihipStream_tbPNSt15iterator_traitsISF_E10value_typeEPNSL_ISG_E10value_typeEPSH_NS1_7vsmem_tEENKUlT_SF_SG_SH_E_clIS9_S9_SA_SA_EESE_SU_SF_SG_SH_EUlSU_E1_NS1_11comp_targetILNS1_3genE9ELNS1_11target_archE1100ELNS1_3gpuE3ELNS1_3repE0EEENS1_36merge_oddeven_config_static_selectorELNS0_4arch9wavefront6targetE0EEEvSG_
		.amdhsa_group_segment_fixed_size 0
		.amdhsa_private_segment_fixed_size 0
		.amdhsa_kernarg_size 48
		.amdhsa_user_sgpr_count 2
		.amdhsa_user_sgpr_dispatch_ptr 0
		.amdhsa_user_sgpr_queue_ptr 0
		.amdhsa_user_sgpr_kernarg_segment_ptr 1
		.amdhsa_user_sgpr_dispatch_id 0
		.amdhsa_user_sgpr_kernarg_preload_length 0
		.amdhsa_user_sgpr_kernarg_preload_offset 0
		.amdhsa_user_sgpr_private_segment_size 0
		.amdhsa_wavefront_size32 1
		.amdhsa_uses_dynamic_stack 0
		.amdhsa_enable_private_segment 0
		.amdhsa_system_sgpr_workgroup_id_x 1
		.amdhsa_system_sgpr_workgroup_id_y 0
		.amdhsa_system_sgpr_workgroup_id_z 0
		.amdhsa_system_sgpr_workgroup_info 0
		.amdhsa_system_vgpr_workitem_id 0
		.amdhsa_next_free_vgpr 1
		.amdhsa_next_free_sgpr 1
		.amdhsa_named_barrier_count 0
		.amdhsa_reserve_vcc 0
		.amdhsa_float_round_mode_32 0
		.amdhsa_float_round_mode_16_64 0
		.amdhsa_float_denorm_mode_32 3
		.amdhsa_float_denorm_mode_16_64 3
		.amdhsa_fp16_overflow 0
		.amdhsa_memory_ordered 1
		.amdhsa_forward_progress 1
		.amdhsa_inst_pref_size 0
		.amdhsa_round_robin_scheduling 0
		.amdhsa_exception_fp_ieee_invalid_op 0
		.amdhsa_exception_fp_denorm_src 0
		.amdhsa_exception_fp_ieee_div_zero 0
		.amdhsa_exception_fp_ieee_overflow 0
		.amdhsa_exception_fp_ieee_underflow 0
		.amdhsa_exception_fp_ieee_inexact 0
		.amdhsa_exception_int_div_zero 0
	.end_amdhsa_kernel
	.section	.text._ZN7rocprim17ROCPRIM_400000_NS6detail17trampoline_kernelINS0_14default_configENS1_38merge_sort_block_merge_config_selectorI6__halfNS0_10empty_typeEEEZZNS1_27merge_sort_block_merge_implIS3_PS5_PS6_jNS1_19radix_merge_compareILb0ELb0ES5_NS0_19identity_decomposerEEEEE10hipError_tT0_T1_T2_jT3_P12ihipStream_tbPNSt15iterator_traitsISF_E10value_typeEPNSL_ISG_E10value_typeEPSH_NS1_7vsmem_tEENKUlT_SF_SG_SH_E_clIS9_S9_SA_SA_EESE_SU_SF_SG_SH_EUlSU_E1_NS1_11comp_targetILNS1_3genE9ELNS1_11target_archE1100ELNS1_3gpuE3ELNS1_3repE0EEENS1_36merge_oddeven_config_static_selectorELNS0_4arch9wavefront6targetE0EEEvSG_,"axG",@progbits,_ZN7rocprim17ROCPRIM_400000_NS6detail17trampoline_kernelINS0_14default_configENS1_38merge_sort_block_merge_config_selectorI6__halfNS0_10empty_typeEEEZZNS1_27merge_sort_block_merge_implIS3_PS5_PS6_jNS1_19radix_merge_compareILb0ELb0ES5_NS0_19identity_decomposerEEEEE10hipError_tT0_T1_T2_jT3_P12ihipStream_tbPNSt15iterator_traitsISF_E10value_typeEPNSL_ISG_E10value_typeEPSH_NS1_7vsmem_tEENKUlT_SF_SG_SH_E_clIS9_S9_SA_SA_EESE_SU_SF_SG_SH_EUlSU_E1_NS1_11comp_targetILNS1_3genE9ELNS1_11target_archE1100ELNS1_3gpuE3ELNS1_3repE0EEENS1_36merge_oddeven_config_static_selectorELNS0_4arch9wavefront6targetE0EEEvSG_,comdat
.Lfunc_end2230:
	.size	_ZN7rocprim17ROCPRIM_400000_NS6detail17trampoline_kernelINS0_14default_configENS1_38merge_sort_block_merge_config_selectorI6__halfNS0_10empty_typeEEEZZNS1_27merge_sort_block_merge_implIS3_PS5_PS6_jNS1_19radix_merge_compareILb0ELb0ES5_NS0_19identity_decomposerEEEEE10hipError_tT0_T1_T2_jT3_P12ihipStream_tbPNSt15iterator_traitsISF_E10value_typeEPNSL_ISG_E10value_typeEPSH_NS1_7vsmem_tEENKUlT_SF_SG_SH_E_clIS9_S9_SA_SA_EESE_SU_SF_SG_SH_EUlSU_E1_NS1_11comp_targetILNS1_3genE9ELNS1_11target_archE1100ELNS1_3gpuE3ELNS1_3repE0EEENS1_36merge_oddeven_config_static_selectorELNS0_4arch9wavefront6targetE0EEEvSG_, .Lfunc_end2230-_ZN7rocprim17ROCPRIM_400000_NS6detail17trampoline_kernelINS0_14default_configENS1_38merge_sort_block_merge_config_selectorI6__halfNS0_10empty_typeEEEZZNS1_27merge_sort_block_merge_implIS3_PS5_PS6_jNS1_19radix_merge_compareILb0ELb0ES5_NS0_19identity_decomposerEEEEE10hipError_tT0_T1_T2_jT3_P12ihipStream_tbPNSt15iterator_traitsISF_E10value_typeEPNSL_ISG_E10value_typeEPSH_NS1_7vsmem_tEENKUlT_SF_SG_SH_E_clIS9_S9_SA_SA_EESE_SU_SF_SG_SH_EUlSU_E1_NS1_11comp_targetILNS1_3genE9ELNS1_11target_archE1100ELNS1_3gpuE3ELNS1_3repE0EEENS1_36merge_oddeven_config_static_selectorELNS0_4arch9wavefront6targetE0EEEvSG_
                                        ; -- End function
	.set _ZN7rocprim17ROCPRIM_400000_NS6detail17trampoline_kernelINS0_14default_configENS1_38merge_sort_block_merge_config_selectorI6__halfNS0_10empty_typeEEEZZNS1_27merge_sort_block_merge_implIS3_PS5_PS6_jNS1_19radix_merge_compareILb0ELb0ES5_NS0_19identity_decomposerEEEEE10hipError_tT0_T1_T2_jT3_P12ihipStream_tbPNSt15iterator_traitsISF_E10value_typeEPNSL_ISG_E10value_typeEPSH_NS1_7vsmem_tEENKUlT_SF_SG_SH_E_clIS9_S9_SA_SA_EESE_SU_SF_SG_SH_EUlSU_E1_NS1_11comp_targetILNS1_3genE9ELNS1_11target_archE1100ELNS1_3gpuE3ELNS1_3repE0EEENS1_36merge_oddeven_config_static_selectorELNS0_4arch9wavefront6targetE0EEEvSG_.num_vgpr, 0
	.set _ZN7rocprim17ROCPRIM_400000_NS6detail17trampoline_kernelINS0_14default_configENS1_38merge_sort_block_merge_config_selectorI6__halfNS0_10empty_typeEEEZZNS1_27merge_sort_block_merge_implIS3_PS5_PS6_jNS1_19radix_merge_compareILb0ELb0ES5_NS0_19identity_decomposerEEEEE10hipError_tT0_T1_T2_jT3_P12ihipStream_tbPNSt15iterator_traitsISF_E10value_typeEPNSL_ISG_E10value_typeEPSH_NS1_7vsmem_tEENKUlT_SF_SG_SH_E_clIS9_S9_SA_SA_EESE_SU_SF_SG_SH_EUlSU_E1_NS1_11comp_targetILNS1_3genE9ELNS1_11target_archE1100ELNS1_3gpuE3ELNS1_3repE0EEENS1_36merge_oddeven_config_static_selectorELNS0_4arch9wavefront6targetE0EEEvSG_.num_agpr, 0
	.set _ZN7rocprim17ROCPRIM_400000_NS6detail17trampoline_kernelINS0_14default_configENS1_38merge_sort_block_merge_config_selectorI6__halfNS0_10empty_typeEEEZZNS1_27merge_sort_block_merge_implIS3_PS5_PS6_jNS1_19radix_merge_compareILb0ELb0ES5_NS0_19identity_decomposerEEEEE10hipError_tT0_T1_T2_jT3_P12ihipStream_tbPNSt15iterator_traitsISF_E10value_typeEPNSL_ISG_E10value_typeEPSH_NS1_7vsmem_tEENKUlT_SF_SG_SH_E_clIS9_S9_SA_SA_EESE_SU_SF_SG_SH_EUlSU_E1_NS1_11comp_targetILNS1_3genE9ELNS1_11target_archE1100ELNS1_3gpuE3ELNS1_3repE0EEENS1_36merge_oddeven_config_static_selectorELNS0_4arch9wavefront6targetE0EEEvSG_.numbered_sgpr, 0
	.set _ZN7rocprim17ROCPRIM_400000_NS6detail17trampoline_kernelINS0_14default_configENS1_38merge_sort_block_merge_config_selectorI6__halfNS0_10empty_typeEEEZZNS1_27merge_sort_block_merge_implIS3_PS5_PS6_jNS1_19radix_merge_compareILb0ELb0ES5_NS0_19identity_decomposerEEEEE10hipError_tT0_T1_T2_jT3_P12ihipStream_tbPNSt15iterator_traitsISF_E10value_typeEPNSL_ISG_E10value_typeEPSH_NS1_7vsmem_tEENKUlT_SF_SG_SH_E_clIS9_S9_SA_SA_EESE_SU_SF_SG_SH_EUlSU_E1_NS1_11comp_targetILNS1_3genE9ELNS1_11target_archE1100ELNS1_3gpuE3ELNS1_3repE0EEENS1_36merge_oddeven_config_static_selectorELNS0_4arch9wavefront6targetE0EEEvSG_.num_named_barrier, 0
	.set _ZN7rocprim17ROCPRIM_400000_NS6detail17trampoline_kernelINS0_14default_configENS1_38merge_sort_block_merge_config_selectorI6__halfNS0_10empty_typeEEEZZNS1_27merge_sort_block_merge_implIS3_PS5_PS6_jNS1_19radix_merge_compareILb0ELb0ES5_NS0_19identity_decomposerEEEEE10hipError_tT0_T1_T2_jT3_P12ihipStream_tbPNSt15iterator_traitsISF_E10value_typeEPNSL_ISG_E10value_typeEPSH_NS1_7vsmem_tEENKUlT_SF_SG_SH_E_clIS9_S9_SA_SA_EESE_SU_SF_SG_SH_EUlSU_E1_NS1_11comp_targetILNS1_3genE9ELNS1_11target_archE1100ELNS1_3gpuE3ELNS1_3repE0EEENS1_36merge_oddeven_config_static_selectorELNS0_4arch9wavefront6targetE0EEEvSG_.private_seg_size, 0
	.set _ZN7rocprim17ROCPRIM_400000_NS6detail17trampoline_kernelINS0_14default_configENS1_38merge_sort_block_merge_config_selectorI6__halfNS0_10empty_typeEEEZZNS1_27merge_sort_block_merge_implIS3_PS5_PS6_jNS1_19radix_merge_compareILb0ELb0ES5_NS0_19identity_decomposerEEEEE10hipError_tT0_T1_T2_jT3_P12ihipStream_tbPNSt15iterator_traitsISF_E10value_typeEPNSL_ISG_E10value_typeEPSH_NS1_7vsmem_tEENKUlT_SF_SG_SH_E_clIS9_S9_SA_SA_EESE_SU_SF_SG_SH_EUlSU_E1_NS1_11comp_targetILNS1_3genE9ELNS1_11target_archE1100ELNS1_3gpuE3ELNS1_3repE0EEENS1_36merge_oddeven_config_static_selectorELNS0_4arch9wavefront6targetE0EEEvSG_.uses_vcc, 0
	.set _ZN7rocprim17ROCPRIM_400000_NS6detail17trampoline_kernelINS0_14default_configENS1_38merge_sort_block_merge_config_selectorI6__halfNS0_10empty_typeEEEZZNS1_27merge_sort_block_merge_implIS3_PS5_PS6_jNS1_19radix_merge_compareILb0ELb0ES5_NS0_19identity_decomposerEEEEE10hipError_tT0_T1_T2_jT3_P12ihipStream_tbPNSt15iterator_traitsISF_E10value_typeEPNSL_ISG_E10value_typeEPSH_NS1_7vsmem_tEENKUlT_SF_SG_SH_E_clIS9_S9_SA_SA_EESE_SU_SF_SG_SH_EUlSU_E1_NS1_11comp_targetILNS1_3genE9ELNS1_11target_archE1100ELNS1_3gpuE3ELNS1_3repE0EEENS1_36merge_oddeven_config_static_selectorELNS0_4arch9wavefront6targetE0EEEvSG_.uses_flat_scratch, 0
	.set _ZN7rocprim17ROCPRIM_400000_NS6detail17trampoline_kernelINS0_14default_configENS1_38merge_sort_block_merge_config_selectorI6__halfNS0_10empty_typeEEEZZNS1_27merge_sort_block_merge_implIS3_PS5_PS6_jNS1_19radix_merge_compareILb0ELb0ES5_NS0_19identity_decomposerEEEEE10hipError_tT0_T1_T2_jT3_P12ihipStream_tbPNSt15iterator_traitsISF_E10value_typeEPNSL_ISG_E10value_typeEPSH_NS1_7vsmem_tEENKUlT_SF_SG_SH_E_clIS9_S9_SA_SA_EESE_SU_SF_SG_SH_EUlSU_E1_NS1_11comp_targetILNS1_3genE9ELNS1_11target_archE1100ELNS1_3gpuE3ELNS1_3repE0EEENS1_36merge_oddeven_config_static_selectorELNS0_4arch9wavefront6targetE0EEEvSG_.has_dyn_sized_stack, 0
	.set _ZN7rocprim17ROCPRIM_400000_NS6detail17trampoline_kernelINS0_14default_configENS1_38merge_sort_block_merge_config_selectorI6__halfNS0_10empty_typeEEEZZNS1_27merge_sort_block_merge_implIS3_PS5_PS6_jNS1_19radix_merge_compareILb0ELb0ES5_NS0_19identity_decomposerEEEEE10hipError_tT0_T1_T2_jT3_P12ihipStream_tbPNSt15iterator_traitsISF_E10value_typeEPNSL_ISG_E10value_typeEPSH_NS1_7vsmem_tEENKUlT_SF_SG_SH_E_clIS9_S9_SA_SA_EESE_SU_SF_SG_SH_EUlSU_E1_NS1_11comp_targetILNS1_3genE9ELNS1_11target_archE1100ELNS1_3gpuE3ELNS1_3repE0EEENS1_36merge_oddeven_config_static_selectorELNS0_4arch9wavefront6targetE0EEEvSG_.has_recursion, 0
	.set _ZN7rocprim17ROCPRIM_400000_NS6detail17trampoline_kernelINS0_14default_configENS1_38merge_sort_block_merge_config_selectorI6__halfNS0_10empty_typeEEEZZNS1_27merge_sort_block_merge_implIS3_PS5_PS6_jNS1_19radix_merge_compareILb0ELb0ES5_NS0_19identity_decomposerEEEEE10hipError_tT0_T1_T2_jT3_P12ihipStream_tbPNSt15iterator_traitsISF_E10value_typeEPNSL_ISG_E10value_typeEPSH_NS1_7vsmem_tEENKUlT_SF_SG_SH_E_clIS9_S9_SA_SA_EESE_SU_SF_SG_SH_EUlSU_E1_NS1_11comp_targetILNS1_3genE9ELNS1_11target_archE1100ELNS1_3gpuE3ELNS1_3repE0EEENS1_36merge_oddeven_config_static_selectorELNS0_4arch9wavefront6targetE0EEEvSG_.has_indirect_call, 0
	.section	.AMDGPU.csdata,"",@progbits
; Kernel info:
; codeLenInByte = 0
; TotalNumSgprs: 0
; NumVgprs: 0
; ScratchSize: 0
; MemoryBound: 0
; FloatMode: 240
; IeeeMode: 1
; LDSByteSize: 0 bytes/workgroup (compile time only)
; SGPRBlocks: 0
; VGPRBlocks: 0
; NumSGPRsForWavesPerEU: 1
; NumVGPRsForWavesPerEU: 1
; NamedBarCnt: 0
; Occupancy: 16
; WaveLimiterHint : 0
; COMPUTE_PGM_RSRC2:SCRATCH_EN: 0
; COMPUTE_PGM_RSRC2:USER_SGPR: 2
; COMPUTE_PGM_RSRC2:TRAP_HANDLER: 0
; COMPUTE_PGM_RSRC2:TGID_X_EN: 1
; COMPUTE_PGM_RSRC2:TGID_Y_EN: 0
; COMPUTE_PGM_RSRC2:TGID_Z_EN: 0
; COMPUTE_PGM_RSRC2:TIDIG_COMP_CNT: 0
	.section	.text._ZN7rocprim17ROCPRIM_400000_NS6detail17trampoline_kernelINS0_14default_configENS1_38merge_sort_block_merge_config_selectorI6__halfNS0_10empty_typeEEEZZNS1_27merge_sort_block_merge_implIS3_PS5_PS6_jNS1_19radix_merge_compareILb0ELb0ES5_NS0_19identity_decomposerEEEEE10hipError_tT0_T1_T2_jT3_P12ihipStream_tbPNSt15iterator_traitsISF_E10value_typeEPNSL_ISG_E10value_typeEPSH_NS1_7vsmem_tEENKUlT_SF_SG_SH_E_clIS9_S9_SA_SA_EESE_SU_SF_SG_SH_EUlSU_E1_NS1_11comp_targetILNS1_3genE8ELNS1_11target_archE1030ELNS1_3gpuE2ELNS1_3repE0EEENS1_36merge_oddeven_config_static_selectorELNS0_4arch9wavefront6targetE0EEEvSG_,"axG",@progbits,_ZN7rocprim17ROCPRIM_400000_NS6detail17trampoline_kernelINS0_14default_configENS1_38merge_sort_block_merge_config_selectorI6__halfNS0_10empty_typeEEEZZNS1_27merge_sort_block_merge_implIS3_PS5_PS6_jNS1_19radix_merge_compareILb0ELb0ES5_NS0_19identity_decomposerEEEEE10hipError_tT0_T1_T2_jT3_P12ihipStream_tbPNSt15iterator_traitsISF_E10value_typeEPNSL_ISG_E10value_typeEPSH_NS1_7vsmem_tEENKUlT_SF_SG_SH_E_clIS9_S9_SA_SA_EESE_SU_SF_SG_SH_EUlSU_E1_NS1_11comp_targetILNS1_3genE8ELNS1_11target_archE1030ELNS1_3gpuE2ELNS1_3repE0EEENS1_36merge_oddeven_config_static_selectorELNS0_4arch9wavefront6targetE0EEEvSG_,comdat
	.protected	_ZN7rocprim17ROCPRIM_400000_NS6detail17trampoline_kernelINS0_14default_configENS1_38merge_sort_block_merge_config_selectorI6__halfNS0_10empty_typeEEEZZNS1_27merge_sort_block_merge_implIS3_PS5_PS6_jNS1_19radix_merge_compareILb0ELb0ES5_NS0_19identity_decomposerEEEEE10hipError_tT0_T1_T2_jT3_P12ihipStream_tbPNSt15iterator_traitsISF_E10value_typeEPNSL_ISG_E10value_typeEPSH_NS1_7vsmem_tEENKUlT_SF_SG_SH_E_clIS9_S9_SA_SA_EESE_SU_SF_SG_SH_EUlSU_E1_NS1_11comp_targetILNS1_3genE8ELNS1_11target_archE1030ELNS1_3gpuE2ELNS1_3repE0EEENS1_36merge_oddeven_config_static_selectorELNS0_4arch9wavefront6targetE0EEEvSG_ ; -- Begin function _ZN7rocprim17ROCPRIM_400000_NS6detail17trampoline_kernelINS0_14default_configENS1_38merge_sort_block_merge_config_selectorI6__halfNS0_10empty_typeEEEZZNS1_27merge_sort_block_merge_implIS3_PS5_PS6_jNS1_19radix_merge_compareILb0ELb0ES5_NS0_19identity_decomposerEEEEE10hipError_tT0_T1_T2_jT3_P12ihipStream_tbPNSt15iterator_traitsISF_E10value_typeEPNSL_ISG_E10value_typeEPSH_NS1_7vsmem_tEENKUlT_SF_SG_SH_E_clIS9_S9_SA_SA_EESE_SU_SF_SG_SH_EUlSU_E1_NS1_11comp_targetILNS1_3genE8ELNS1_11target_archE1030ELNS1_3gpuE2ELNS1_3repE0EEENS1_36merge_oddeven_config_static_selectorELNS0_4arch9wavefront6targetE0EEEvSG_
	.globl	_ZN7rocprim17ROCPRIM_400000_NS6detail17trampoline_kernelINS0_14default_configENS1_38merge_sort_block_merge_config_selectorI6__halfNS0_10empty_typeEEEZZNS1_27merge_sort_block_merge_implIS3_PS5_PS6_jNS1_19radix_merge_compareILb0ELb0ES5_NS0_19identity_decomposerEEEEE10hipError_tT0_T1_T2_jT3_P12ihipStream_tbPNSt15iterator_traitsISF_E10value_typeEPNSL_ISG_E10value_typeEPSH_NS1_7vsmem_tEENKUlT_SF_SG_SH_E_clIS9_S9_SA_SA_EESE_SU_SF_SG_SH_EUlSU_E1_NS1_11comp_targetILNS1_3genE8ELNS1_11target_archE1030ELNS1_3gpuE2ELNS1_3repE0EEENS1_36merge_oddeven_config_static_selectorELNS0_4arch9wavefront6targetE0EEEvSG_
	.p2align	8
	.type	_ZN7rocprim17ROCPRIM_400000_NS6detail17trampoline_kernelINS0_14default_configENS1_38merge_sort_block_merge_config_selectorI6__halfNS0_10empty_typeEEEZZNS1_27merge_sort_block_merge_implIS3_PS5_PS6_jNS1_19radix_merge_compareILb0ELb0ES5_NS0_19identity_decomposerEEEEE10hipError_tT0_T1_T2_jT3_P12ihipStream_tbPNSt15iterator_traitsISF_E10value_typeEPNSL_ISG_E10value_typeEPSH_NS1_7vsmem_tEENKUlT_SF_SG_SH_E_clIS9_S9_SA_SA_EESE_SU_SF_SG_SH_EUlSU_E1_NS1_11comp_targetILNS1_3genE8ELNS1_11target_archE1030ELNS1_3gpuE2ELNS1_3repE0EEENS1_36merge_oddeven_config_static_selectorELNS0_4arch9wavefront6targetE0EEEvSG_,@function
_ZN7rocprim17ROCPRIM_400000_NS6detail17trampoline_kernelINS0_14default_configENS1_38merge_sort_block_merge_config_selectorI6__halfNS0_10empty_typeEEEZZNS1_27merge_sort_block_merge_implIS3_PS5_PS6_jNS1_19radix_merge_compareILb0ELb0ES5_NS0_19identity_decomposerEEEEE10hipError_tT0_T1_T2_jT3_P12ihipStream_tbPNSt15iterator_traitsISF_E10value_typeEPNSL_ISG_E10value_typeEPSH_NS1_7vsmem_tEENKUlT_SF_SG_SH_E_clIS9_S9_SA_SA_EESE_SU_SF_SG_SH_EUlSU_E1_NS1_11comp_targetILNS1_3genE8ELNS1_11target_archE1030ELNS1_3gpuE2ELNS1_3repE0EEENS1_36merge_oddeven_config_static_selectorELNS0_4arch9wavefront6targetE0EEEvSG_: ; @_ZN7rocprim17ROCPRIM_400000_NS6detail17trampoline_kernelINS0_14default_configENS1_38merge_sort_block_merge_config_selectorI6__halfNS0_10empty_typeEEEZZNS1_27merge_sort_block_merge_implIS3_PS5_PS6_jNS1_19radix_merge_compareILb0ELb0ES5_NS0_19identity_decomposerEEEEE10hipError_tT0_T1_T2_jT3_P12ihipStream_tbPNSt15iterator_traitsISF_E10value_typeEPNSL_ISG_E10value_typeEPSH_NS1_7vsmem_tEENKUlT_SF_SG_SH_E_clIS9_S9_SA_SA_EESE_SU_SF_SG_SH_EUlSU_E1_NS1_11comp_targetILNS1_3genE8ELNS1_11target_archE1030ELNS1_3gpuE2ELNS1_3repE0EEENS1_36merge_oddeven_config_static_selectorELNS0_4arch9wavefront6targetE0EEEvSG_
; %bb.0:
	.section	.rodata,"a",@progbits
	.p2align	6, 0x0
	.amdhsa_kernel _ZN7rocprim17ROCPRIM_400000_NS6detail17trampoline_kernelINS0_14default_configENS1_38merge_sort_block_merge_config_selectorI6__halfNS0_10empty_typeEEEZZNS1_27merge_sort_block_merge_implIS3_PS5_PS6_jNS1_19radix_merge_compareILb0ELb0ES5_NS0_19identity_decomposerEEEEE10hipError_tT0_T1_T2_jT3_P12ihipStream_tbPNSt15iterator_traitsISF_E10value_typeEPNSL_ISG_E10value_typeEPSH_NS1_7vsmem_tEENKUlT_SF_SG_SH_E_clIS9_S9_SA_SA_EESE_SU_SF_SG_SH_EUlSU_E1_NS1_11comp_targetILNS1_3genE8ELNS1_11target_archE1030ELNS1_3gpuE2ELNS1_3repE0EEENS1_36merge_oddeven_config_static_selectorELNS0_4arch9wavefront6targetE0EEEvSG_
		.amdhsa_group_segment_fixed_size 0
		.amdhsa_private_segment_fixed_size 0
		.amdhsa_kernarg_size 48
		.amdhsa_user_sgpr_count 2
		.amdhsa_user_sgpr_dispatch_ptr 0
		.amdhsa_user_sgpr_queue_ptr 0
		.amdhsa_user_sgpr_kernarg_segment_ptr 1
		.amdhsa_user_sgpr_dispatch_id 0
		.amdhsa_user_sgpr_kernarg_preload_length 0
		.amdhsa_user_sgpr_kernarg_preload_offset 0
		.amdhsa_user_sgpr_private_segment_size 0
		.amdhsa_wavefront_size32 1
		.amdhsa_uses_dynamic_stack 0
		.amdhsa_enable_private_segment 0
		.amdhsa_system_sgpr_workgroup_id_x 1
		.amdhsa_system_sgpr_workgroup_id_y 0
		.amdhsa_system_sgpr_workgroup_id_z 0
		.amdhsa_system_sgpr_workgroup_info 0
		.amdhsa_system_vgpr_workitem_id 0
		.amdhsa_next_free_vgpr 1
		.amdhsa_next_free_sgpr 1
		.amdhsa_named_barrier_count 0
		.amdhsa_reserve_vcc 0
		.amdhsa_float_round_mode_32 0
		.amdhsa_float_round_mode_16_64 0
		.amdhsa_float_denorm_mode_32 3
		.amdhsa_float_denorm_mode_16_64 3
		.amdhsa_fp16_overflow 0
		.amdhsa_memory_ordered 1
		.amdhsa_forward_progress 1
		.amdhsa_inst_pref_size 0
		.amdhsa_round_robin_scheduling 0
		.amdhsa_exception_fp_ieee_invalid_op 0
		.amdhsa_exception_fp_denorm_src 0
		.amdhsa_exception_fp_ieee_div_zero 0
		.amdhsa_exception_fp_ieee_overflow 0
		.amdhsa_exception_fp_ieee_underflow 0
		.amdhsa_exception_fp_ieee_inexact 0
		.amdhsa_exception_int_div_zero 0
	.end_amdhsa_kernel
	.section	.text._ZN7rocprim17ROCPRIM_400000_NS6detail17trampoline_kernelINS0_14default_configENS1_38merge_sort_block_merge_config_selectorI6__halfNS0_10empty_typeEEEZZNS1_27merge_sort_block_merge_implIS3_PS5_PS6_jNS1_19radix_merge_compareILb0ELb0ES5_NS0_19identity_decomposerEEEEE10hipError_tT0_T1_T2_jT3_P12ihipStream_tbPNSt15iterator_traitsISF_E10value_typeEPNSL_ISG_E10value_typeEPSH_NS1_7vsmem_tEENKUlT_SF_SG_SH_E_clIS9_S9_SA_SA_EESE_SU_SF_SG_SH_EUlSU_E1_NS1_11comp_targetILNS1_3genE8ELNS1_11target_archE1030ELNS1_3gpuE2ELNS1_3repE0EEENS1_36merge_oddeven_config_static_selectorELNS0_4arch9wavefront6targetE0EEEvSG_,"axG",@progbits,_ZN7rocprim17ROCPRIM_400000_NS6detail17trampoline_kernelINS0_14default_configENS1_38merge_sort_block_merge_config_selectorI6__halfNS0_10empty_typeEEEZZNS1_27merge_sort_block_merge_implIS3_PS5_PS6_jNS1_19radix_merge_compareILb0ELb0ES5_NS0_19identity_decomposerEEEEE10hipError_tT0_T1_T2_jT3_P12ihipStream_tbPNSt15iterator_traitsISF_E10value_typeEPNSL_ISG_E10value_typeEPSH_NS1_7vsmem_tEENKUlT_SF_SG_SH_E_clIS9_S9_SA_SA_EESE_SU_SF_SG_SH_EUlSU_E1_NS1_11comp_targetILNS1_3genE8ELNS1_11target_archE1030ELNS1_3gpuE2ELNS1_3repE0EEENS1_36merge_oddeven_config_static_selectorELNS0_4arch9wavefront6targetE0EEEvSG_,comdat
.Lfunc_end2231:
	.size	_ZN7rocprim17ROCPRIM_400000_NS6detail17trampoline_kernelINS0_14default_configENS1_38merge_sort_block_merge_config_selectorI6__halfNS0_10empty_typeEEEZZNS1_27merge_sort_block_merge_implIS3_PS5_PS6_jNS1_19radix_merge_compareILb0ELb0ES5_NS0_19identity_decomposerEEEEE10hipError_tT0_T1_T2_jT3_P12ihipStream_tbPNSt15iterator_traitsISF_E10value_typeEPNSL_ISG_E10value_typeEPSH_NS1_7vsmem_tEENKUlT_SF_SG_SH_E_clIS9_S9_SA_SA_EESE_SU_SF_SG_SH_EUlSU_E1_NS1_11comp_targetILNS1_3genE8ELNS1_11target_archE1030ELNS1_3gpuE2ELNS1_3repE0EEENS1_36merge_oddeven_config_static_selectorELNS0_4arch9wavefront6targetE0EEEvSG_, .Lfunc_end2231-_ZN7rocprim17ROCPRIM_400000_NS6detail17trampoline_kernelINS0_14default_configENS1_38merge_sort_block_merge_config_selectorI6__halfNS0_10empty_typeEEEZZNS1_27merge_sort_block_merge_implIS3_PS5_PS6_jNS1_19radix_merge_compareILb0ELb0ES5_NS0_19identity_decomposerEEEEE10hipError_tT0_T1_T2_jT3_P12ihipStream_tbPNSt15iterator_traitsISF_E10value_typeEPNSL_ISG_E10value_typeEPSH_NS1_7vsmem_tEENKUlT_SF_SG_SH_E_clIS9_S9_SA_SA_EESE_SU_SF_SG_SH_EUlSU_E1_NS1_11comp_targetILNS1_3genE8ELNS1_11target_archE1030ELNS1_3gpuE2ELNS1_3repE0EEENS1_36merge_oddeven_config_static_selectorELNS0_4arch9wavefront6targetE0EEEvSG_
                                        ; -- End function
	.set _ZN7rocprim17ROCPRIM_400000_NS6detail17trampoline_kernelINS0_14default_configENS1_38merge_sort_block_merge_config_selectorI6__halfNS0_10empty_typeEEEZZNS1_27merge_sort_block_merge_implIS3_PS5_PS6_jNS1_19radix_merge_compareILb0ELb0ES5_NS0_19identity_decomposerEEEEE10hipError_tT0_T1_T2_jT3_P12ihipStream_tbPNSt15iterator_traitsISF_E10value_typeEPNSL_ISG_E10value_typeEPSH_NS1_7vsmem_tEENKUlT_SF_SG_SH_E_clIS9_S9_SA_SA_EESE_SU_SF_SG_SH_EUlSU_E1_NS1_11comp_targetILNS1_3genE8ELNS1_11target_archE1030ELNS1_3gpuE2ELNS1_3repE0EEENS1_36merge_oddeven_config_static_selectorELNS0_4arch9wavefront6targetE0EEEvSG_.num_vgpr, 0
	.set _ZN7rocprim17ROCPRIM_400000_NS6detail17trampoline_kernelINS0_14default_configENS1_38merge_sort_block_merge_config_selectorI6__halfNS0_10empty_typeEEEZZNS1_27merge_sort_block_merge_implIS3_PS5_PS6_jNS1_19radix_merge_compareILb0ELb0ES5_NS0_19identity_decomposerEEEEE10hipError_tT0_T1_T2_jT3_P12ihipStream_tbPNSt15iterator_traitsISF_E10value_typeEPNSL_ISG_E10value_typeEPSH_NS1_7vsmem_tEENKUlT_SF_SG_SH_E_clIS9_S9_SA_SA_EESE_SU_SF_SG_SH_EUlSU_E1_NS1_11comp_targetILNS1_3genE8ELNS1_11target_archE1030ELNS1_3gpuE2ELNS1_3repE0EEENS1_36merge_oddeven_config_static_selectorELNS0_4arch9wavefront6targetE0EEEvSG_.num_agpr, 0
	.set _ZN7rocprim17ROCPRIM_400000_NS6detail17trampoline_kernelINS0_14default_configENS1_38merge_sort_block_merge_config_selectorI6__halfNS0_10empty_typeEEEZZNS1_27merge_sort_block_merge_implIS3_PS5_PS6_jNS1_19radix_merge_compareILb0ELb0ES5_NS0_19identity_decomposerEEEEE10hipError_tT0_T1_T2_jT3_P12ihipStream_tbPNSt15iterator_traitsISF_E10value_typeEPNSL_ISG_E10value_typeEPSH_NS1_7vsmem_tEENKUlT_SF_SG_SH_E_clIS9_S9_SA_SA_EESE_SU_SF_SG_SH_EUlSU_E1_NS1_11comp_targetILNS1_3genE8ELNS1_11target_archE1030ELNS1_3gpuE2ELNS1_3repE0EEENS1_36merge_oddeven_config_static_selectorELNS0_4arch9wavefront6targetE0EEEvSG_.numbered_sgpr, 0
	.set _ZN7rocprim17ROCPRIM_400000_NS6detail17trampoline_kernelINS0_14default_configENS1_38merge_sort_block_merge_config_selectorI6__halfNS0_10empty_typeEEEZZNS1_27merge_sort_block_merge_implIS3_PS5_PS6_jNS1_19radix_merge_compareILb0ELb0ES5_NS0_19identity_decomposerEEEEE10hipError_tT0_T1_T2_jT3_P12ihipStream_tbPNSt15iterator_traitsISF_E10value_typeEPNSL_ISG_E10value_typeEPSH_NS1_7vsmem_tEENKUlT_SF_SG_SH_E_clIS9_S9_SA_SA_EESE_SU_SF_SG_SH_EUlSU_E1_NS1_11comp_targetILNS1_3genE8ELNS1_11target_archE1030ELNS1_3gpuE2ELNS1_3repE0EEENS1_36merge_oddeven_config_static_selectorELNS0_4arch9wavefront6targetE0EEEvSG_.num_named_barrier, 0
	.set _ZN7rocprim17ROCPRIM_400000_NS6detail17trampoline_kernelINS0_14default_configENS1_38merge_sort_block_merge_config_selectorI6__halfNS0_10empty_typeEEEZZNS1_27merge_sort_block_merge_implIS3_PS5_PS6_jNS1_19radix_merge_compareILb0ELb0ES5_NS0_19identity_decomposerEEEEE10hipError_tT0_T1_T2_jT3_P12ihipStream_tbPNSt15iterator_traitsISF_E10value_typeEPNSL_ISG_E10value_typeEPSH_NS1_7vsmem_tEENKUlT_SF_SG_SH_E_clIS9_S9_SA_SA_EESE_SU_SF_SG_SH_EUlSU_E1_NS1_11comp_targetILNS1_3genE8ELNS1_11target_archE1030ELNS1_3gpuE2ELNS1_3repE0EEENS1_36merge_oddeven_config_static_selectorELNS0_4arch9wavefront6targetE0EEEvSG_.private_seg_size, 0
	.set _ZN7rocprim17ROCPRIM_400000_NS6detail17trampoline_kernelINS0_14default_configENS1_38merge_sort_block_merge_config_selectorI6__halfNS0_10empty_typeEEEZZNS1_27merge_sort_block_merge_implIS3_PS5_PS6_jNS1_19radix_merge_compareILb0ELb0ES5_NS0_19identity_decomposerEEEEE10hipError_tT0_T1_T2_jT3_P12ihipStream_tbPNSt15iterator_traitsISF_E10value_typeEPNSL_ISG_E10value_typeEPSH_NS1_7vsmem_tEENKUlT_SF_SG_SH_E_clIS9_S9_SA_SA_EESE_SU_SF_SG_SH_EUlSU_E1_NS1_11comp_targetILNS1_3genE8ELNS1_11target_archE1030ELNS1_3gpuE2ELNS1_3repE0EEENS1_36merge_oddeven_config_static_selectorELNS0_4arch9wavefront6targetE0EEEvSG_.uses_vcc, 0
	.set _ZN7rocprim17ROCPRIM_400000_NS6detail17trampoline_kernelINS0_14default_configENS1_38merge_sort_block_merge_config_selectorI6__halfNS0_10empty_typeEEEZZNS1_27merge_sort_block_merge_implIS3_PS5_PS6_jNS1_19radix_merge_compareILb0ELb0ES5_NS0_19identity_decomposerEEEEE10hipError_tT0_T1_T2_jT3_P12ihipStream_tbPNSt15iterator_traitsISF_E10value_typeEPNSL_ISG_E10value_typeEPSH_NS1_7vsmem_tEENKUlT_SF_SG_SH_E_clIS9_S9_SA_SA_EESE_SU_SF_SG_SH_EUlSU_E1_NS1_11comp_targetILNS1_3genE8ELNS1_11target_archE1030ELNS1_3gpuE2ELNS1_3repE0EEENS1_36merge_oddeven_config_static_selectorELNS0_4arch9wavefront6targetE0EEEvSG_.uses_flat_scratch, 0
	.set _ZN7rocprim17ROCPRIM_400000_NS6detail17trampoline_kernelINS0_14default_configENS1_38merge_sort_block_merge_config_selectorI6__halfNS0_10empty_typeEEEZZNS1_27merge_sort_block_merge_implIS3_PS5_PS6_jNS1_19radix_merge_compareILb0ELb0ES5_NS0_19identity_decomposerEEEEE10hipError_tT0_T1_T2_jT3_P12ihipStream_tbPNSt15iterator_traitsISF_E10value_typeEPNSL_ISG_E10value_typeEPSH_NS1_7vsmem_tEENKUlT_SF_SG_SH_E_clIS9_S9_SA_SA_EESE_SU_SF_SG_SH_EUlSU_E1_NS1_11comp_targetILNS1_3genE8ELNS1_11target_archE1030ELNS1_3gpuE2ELNS1_3repE0EEENS1_36merge_oddeven_config_static_selectorELNS0_4arch9wavefront6targetE0EEEvSG_.has_dyn_sized_stack, 0
	.set _ZN7rocprim17ROCPRIM_400000_NS6detail17trampoline_kernelINS0_14default_configENS1_38merge_sort_block_merge_config_selectorI6__halfNS0_10empty_typeEEEZZNS1_27merge_sort_block_merge_implIS3_PS5_PS6_jNS1_19radix_merge_compareILb0ELb0ES5_NS0_19identity_decomposerEEEEE10hipError_tT0_T1_T2_jT3_P12ihipStream_tbPNSt15iterator_traitsISF_E10value_typeEPNSL_ISG_E10value_typeEPSH_NS1_7vsmem_tEENKUlT_SF_SG_SH_E_clIS9_S9_SA_SA_EESE_SU_SF_SG_SH_EUlSU_E1_NS1_11comp_targetILNS1_3genE8ELNS1_11target_archE1030ELNS1_3gpuE2ELNS1_3repE0EEENS1_36merge_oddeven_config_static_selectorELNS0_4arch9wavefront6targetE0EEEvSG_.has_recursion, 0
	.set _ZN7rocprim17ROCPRIM_400000_NS6detail17trampoline_kernelINS0_14default_configENS1_38merge_sort_block_merge_config_selectorI6__halfNS0_10empty_typeEEEZZNS1_27merge_sort_block_merge_implIS3_PS5_PS6_jNS1_19radix_merge_compareILb0ELb0ES5_NS0_19identity_decomposerEEEEE10hipError_tT0_T1_T2_jT3_P12ihipStream_tbPNSt15iterator_traitsISF_E10value_typeEPNSL_ISG_E10value_typeEPSH_NS1_7vsmem_tEENKUlT_SF_SG_SH_E_clIS9_S9_SA_SA_EESE_SU_SF_SG_SH_EUlSU_E1_NS1_11comp_targetILNS1_3genE8ELNS1_11target_archE1030ELNS1_3gpuE2ELNS1_3repE0EEENS1_36merge_oddeven_config_static_selectorELNS0_4arch9wavefront6targetE0EEEvSG_.has_indirect_call, 0
	.section	.AMDGPU.csdata,"",@progbits
; Kernel info:
; codeLenInByte = 0
; TotalNumSgprs: 0
; NumVgprs: 0
; ScratchSize: 0
; MemoryBound: 0
; FloatMode: 240
; IeeeMode: 1
; LDSByteSize: 0 bytes/workgroup (compile time only)
; SGPRBlocks: 0
; VGPRBlocks: 0
; NumSGPRsForWavesPerEU: 1
; NumVGPRsForWavesPerEU: 1
; NamedBarCnt: 0
; Occupancy: 16
; WaveLimiterHint : 0
; COMPUTE_PGM_RSRC2:SCRATCH_EN: 0
; COMPUTE_PGM_RSRC2:USER_SGPR: 2
; COMPUTE_PGM_RSRC2:TRAP_HANDLER: 0
; COMPUTE_PGM_RSRC2:TGID_X_EN: 1
; COMPUTE_PGM_RSRC2:TGID_Y_EN: 0
; COMPUTE_PGM_RSRC2:TGID_Z_EN: 0
; COMPUTE_PGM_RSRC2:TIDIG_COMP_CNT: 0
	.section	.text._ZN7rocprim17ROCPRIM_400000_NS6detail17trampoline_kernelINS0_14default_configENS1_35radix_sort_onesweep_config_selectorI6__halfNS0_10empty_typeEEEZNS1_34radix_sort_onesweep_global_offsetsIS3_Lb0EPKS5_PS6_mNS0_19identity_decomposerEEE10hipError_tT1_T2_PT3_SG_jT4_jjP12ihipStream_tbEUlT_E_NS1_11comp_targetILNS1_3genE0ELNS1_11target_archE4294967295ELNS1_3gpuE0ELNS1_3repE0EEENS1_52radix_sort_onesweep_histogram_config_static_selectorELNS0_4arch9wavefront6targetE0EEEvSE_,"axG",@progbits,_ZN7rocprim17ROCPRIM_400000_NS6detail17trampoline_kernelINS0_14default_configENS1_35radix_sort_onesweep_config_selectorI6__halfNS0_10empty_typeEEEZNS1_34radix_sort_onesweep_global_offsetsIS3_Lb0EPKS5_PS6_mNS0_19identity_decomposerEEE10hipError_tT1_T2_PT3_SG_jT4_jjP12ihipStream_tbEUlT_E_NS1_11comp_targetILNS1_3genE0ELNS1_11target_archE4294967295ELNS1_3gpuE0ELNS1_3repE0EEENS1_52radix_sort_onesweep_histogram_config_static_selectorELNS0_4arch9wavefront6targetE0EEEvSE_,comdat
	.protected	_ZN7rocprim17ROCPRIM_400000_NS6detail17trampoline_kernelINS0_14default_configENS1_35radix_sort_onesweep_config_selectorI6__halfNS0_10empty_typeEEEZNS1_34radix_sort_onesweep_global_offsetsIS3_Lb0EPKS5_PS6_mNS0_19identity_decomposerEEE10hipError_tT1_T2_PT3_SG_jT4_jjP12ihipStream_tbEUlT_E_NS1_11comp_targetILNS1_3genE0ELNS1_11target_archE4294967295ELNS1_3gpuE0ELNS1_3repE0EEENS1_52radix_sort_onesweep_histogram_config_static_selectorELNS0_4arch9wavefront6targetE0EEEvSE_ ; -- Begin function _ZN7rocprim17ROCPRIM_400000_NS6detail17trampoline_kernelINS0_14default_configENS1_35radix_sort_onesweep_config_selectorI6__halfNS0_10empty_typeEEEZNS1_34radix_sort_onesweep_global_offsetsIS3_Lb0EPKS5_PS6_mNS0_19identity_decomposerEEE10hipError_tT1_T2_PT3_SG_jT4_jjP12ihipStream_tbEUlT_E_NS1_11comp_targetILNS1_3genE0ELNS1_11target_archE4294967295ELNS1_3gpuE0ELNS1_3repE0EEENS1_52radix_sort_onesweep_histogram_config_static_selectorELNS0_4arch9wavefront6targetE0EEEvSE_
	.globl	_ZN7rocprim17ROCPRIM_400000_NS6detail17trampoline_kernelINS0_14default_configENS1_35radix_sort_onesweep_config_selectorI6__halfNS0_10empty_typeEEEZNS1_34radix_sort_onesweep_global_offsetsIS3_Lb0EPKS5_PS6_mNS0_19identity_decomposerEEE10hipError_tT1_T2_PT3_SG_jT4_jjP12ihipStream_tbEUlT_E_NS1_11comp_targetILNS1_3genE0ELNS1_11target_archE4294967295ELNS1_3gpuE0ELNS1_3repE0EEENS1_52radix_sort_onesweep_histogram_config_static_selectorELNS0_4arch9wavefront6targetE0EEEvSE_
	.p2align	8
	.type	_ZN7rocprim17ROCPRIM_400000_NS6detail17trampoline_kernelINS0_14default_configENS1_35radix_sort_onesweep_config_selectorI6__halfNS0_10empty_typeEEEZNS1_34radix_sort_onesweep_global_offsetsIS3_Lb0EPKS5_PS6_mNS0_19identity_decomposerEEE10hipError_tT1_T2_PT3_SG_jT4_jjP12ihipStream_tbEUlT_E_NS1_11comp_targetILNS1_3genE0ELNS1_11target_archE4294967295ELNS1_3gpuE0ELNS1_3repE0EEENS1_52radix_sort_onesweep_histogram_config_static_selectorELNS0_4arch9wavefront6targetE0EEEvSE_,@function
_ZN7rocprim17ROCPRIM_400000_NS6detail17trampoline_kernelINS0_14default_configENS1_35radix_sort_onesweep_config_selectorI6__halfNS0_10empty_typeEEEZNS1_34radix_sort_onesweep_global_offsetsIS3_Lb0EPKS5_PS6_mNS0_19identity_decomposerEEE10hipError_tT1_T2_PT3_SG_jT4_jjP12ihipStream_tbEUlT_E_NS1_11comp_targetILNS1_3genE0ELNS1_11target_archE4294967295ELNS1_3gpuE0ELNS1_3repE0EEENS1_52radix_sort_onesweep_histogram_config_static_selectorELNS0_4arch9wavefront6targetE0EEEvSE_: ; @_ZN7rocprim17ROCPRIM_400000_NS6detail17trampoline_kernelINS0_14default_configENS1_35radix_sort_onesweep_config_selectorI6__halfNS0_10empty_typeEEEZNS1_34radix_sort_onesweep_global_offsetsIS3_Lb0EPKS5_PS6_mNS0_19identity_decomposerEEE10hipError_tT1_T2_PT3_SG_jT4_jjP12ihipStream_tbEUlT_E_NS1_11comp_targetILNS1_3genE0ELNS1_11target_archE4294967295ELNS1_3gpuE0ELNS1_3repE0EEENS1_52radix_sort_onesweep_histogram_config_static_selectorELNS0_4arch9wavefront6targetE0EEEvSE_
; %bb.0:
	s_clause 0x1
	s_load_b64 s[8:9], s[0:1], 0x18
	s_load_b128 s[4:7], s[0:1], 0x0
	s_bfe_u32 s10, ttmp6, 0x4000c
	s_load_b64 s[2:3], s[0:1], 0x24
	s_add_co_i32 s10, s10, 1
	s_and_b32 s11, ttmp6, 15
	s_mul_i32 s10, ttmp9, s10
	s_getreg_b32 s12, hwreg(HW_REG_IB_STS2, 6, 4)
	s_add_co_i32 s10, s11, s10
	s_cmp_eq_u32 s12, 0
	s_mov_b32 s11, 0
	s_cselect_b32 s10, ttmp9, s10
	s_wait_kmcnt 0x0
	v_cmp_le_u64_e64 s9, s[8:9], s[10:11]
	s_mul_u64 s[10:11], s[10:11], 0x3000
	s_delay_alu instid0(SALU_CYCLE_1)
	s_add_nc_u64 s[4:5], s[4:5], s[10:11]
	s_and_b32 vcc_lo, exec_lo, s9
	s_mov_b32 s9, -1
	s_cbranch_vccz .LBB2232_119
; %bb.1:
	s_load_b32 s1, s[0:1], 0x10
	s_wait_xcnt 0x0
	s_mul_i32 s0, s8, 0xffffe800
                                        ; implicit-def: $vgpr25
	s_wait_kmcnt 0x0
	s_add_co_i32 s1, s1, s0
	s_mov_b32 s0, exec_lo
	v_cmpx_gt_u32_e64 s1, v0
	s_cbranch_execz .LBB2232_3
; %bb.2:
	global_load_u16 v25, v0, s[4:5] scale_offset
.LBB2232_3:
	s_wait_xcnt 0x0
	s_or_b32 exec_lo, exec_lo, s0
	v_or_b32_e32 v23, 0x200, v0
	s_mov_b32 s0, exec_lo
                                        ; implicit-def: $vgpr24
	s_delay_alu instid0(VALU_DEP_1)
	v_cmpx_gt_u32_e64 s1, v23
	s_cbranch_execz .LBB2232_5
; %bb.4:
	global_load_u16 v24, v0, s[4:5] offset:1024 scale_offset
.LBB2232_5:
	s_wait_xcnt 0x0
	s_or_b32 exec_lo, exec_lo, s0
	v_or_b32_e32 v21, 0x400, v0
	s_mov_b32 s0, exec_lo
                                        ; implicit-def: $vgpr22
	s_delay_alu instid0(VALU_DEP_1)
	v_cmpx_gt_u32_e64 s1, v21
	s_cbranch_execz .LBB2232_7
; %bb.6:
	global_load_u16 v22, v0, s[4:5] offset:2048 scale_offset
.LBB2232_7:
	s_wait_xcnt 0x0
	s_or_b32 exec_lo, exec_lo, s0
	v_or_b32_e32 v19, 0x600, v0
	s_mov_b32 s0, exec_lo
                                        ; implicit-def: $vgpr20
	s_delay_alu instid0(VALU_DEP_1)
	v_cmpx_gt_u32_e64 s1, v19
	s_cbranch_execz .LBB2232_9
; %bb.8:
	global_load_u16 v20, v0, s[4:5] offset:3072 scale_offset
.LBB2232_9:
	s_wait_xcnt 0x0
	s_or_b32 exec_lo, exec_lo, s0
	v_or_b32_e32 v17, 0x800, v0
	s_mov_b32 s0, exec_lo
                                        ; implicit-def: $vgpr18
	s_delay_alu instid0(VALU_DEP_1)
	v_cmpx_gt_u32_e64 s1, v17
	s_cbranch_execz .LBB2232_11
; %bb.10:
	global_load_u16 v18, v0, s[4:5] offset:4096 scale_offset
.LBB2232_11:
	s_wait_xcnt 0x0
	s_or_b32 exec_lo, exec_lo, s0
	v_or_b32_e32 v15, 0xa00, v0
	s_mov_b32 s0, exec_lo
                                        ; implicit-def: $vgpr16
	s_delay_alu instid0(VALU_DEP_1)
	v_cmpx_gt_u32_e64 s1, v15
	s_cbranch_execz .LBB2232_13
; %bb.12:
	global_load_u16 v16, v0, s[4:5] offset:5120 scale_offset
.LBB2232_13:
	s_wait_xcnt 0x0
	s_or_b32 exec_lo, exec_lo, s0
	v_or_b32_e32 v13, 0xc00, v0
	s_mov_b32 s0, exec_lo
                                        ; implicit-def: $vgpr14
	s_delay_alu instid0(VALU_DEP_1)
	v_cmpx_gt_u32_e64 s1, v13
	s_cbranch_execz .LBB2232_15
; %bb.14:
	global_load_u16 v14, v0, s[4:5] offset:6144 scale_offset
.LBB2232_15:
	s_wait_xcnt 0x0
	s_or_b32 exec_lo, exec_lo, s0
	v_or_b32_e32 v11, 0xe00, v0
	s_mov_b32 s0, exec_lo
                                        ; implicit-def: $vgpr12
	s_delay_alu instid0(VALU_DEP_1)
	v_cmpx_gt_u32_e64 s1, v11
	s_cbranch_execz .LBB2232_17
; %bb.16:
	global_load_u16 v12, v0, s[4:5] offset:7168 scale_offset
.LBB2232_17:
	s_wait_xcnt 0x0
	s_or_b32 exec_lo, exec_lo, s0
	v_or_b32_e32 v9, 0x1000, v0
	s_mov_b32 s0, exec_lo
                                        ; implicit-def: $vgpr10
	s_delay_alu instid0(VALU_DEP_1)
	v_cmpx_gt_u32_e64 s1, v9
	s_cbranch_execz .LBB2232_19
; %bb.18:
	global_load_u16 v10, v0, s[4:5] offset:8192 scale_offset
.LBB2232_19:
	s_wait_xcnt 0x0
	s_or_b32 exec_lo, exec_lo, s0
	v_or_b32_e32 v7, 0x1200, v0
	s_mov_b32 s0, exec_lo
                                        ; implicit-def: $vgpr8
	s_delay_alu instid0(VALU_DEP_1)
	v_cmpx_gt_u32_e64 s1, v7
	s_cbranch_execz .LBB2232_21
; %bb.20:
	global_load_u16 v8, v0, s[4:5] offset:9216 scale_offset
.LBB2232_21:
	s_wait_xcnt 0x0
	s_or_b32 exec_lo, exec_lo, s0
	v_or_b32_e32 v5, 0x1400, v0
	s_mov_b32 s0, exec_lo
                                        ; implicit-def: $vgpr6
	s_delay_alu instid0(VALU_DEP_1)
	v_cmpx_gt_u32_e64 s1, v5
	s_cbranch_execz .LBB2232_23
; %bb.22:
	global_load_u16 v6, v0, s[4:5] offset:10240 scale_offset
.LBB2232_23:
	s_wait_xcnt 0x0
	s_or_b32 exec_lo, exec_lo, s0
	v_or_b32_e32 v3, 0x1600, v0
	s_mov_b32 s0, exec_lo
                                        ; implicit-def: $vgpr4
	s_delay_alu instid0(VALU_DEP_1)
	v_cmpx_gt_u32_e64 s1, v3
	s_cbranch_execz .LBB2232_25
; %bb.24:
	global_load_u16 v4, v0, s[4:5] offset:11264 scale_offset
.LBB2232_25:
	s_wait_xcnt 0x0
	s_or_b32 exec_lo, exec_lo, s0
	v_dual_mov_b32 v2, 0 :: v_dual_lshlrev_b32 v1, 2, v0
	s_mov_b32 s0, -1
	ds_store_2addr_stride64_b32 v1, v2, v2 offset1:8
	s_and_saveexec_b32 s8, s0
; %bb.26:
	ds_store_b32 v1, v2 offset:4096
; %bb.27:
	s_or_b32 exec_lo, exec_lo, s8
	s_and_saveexec_b32 s8, s0
; %bb.28:
	v_mov_b32_e32 v2, 0
	ds_store_b32 v1, v2 offset:6144
; %bb.29:
	s_or_b32 exec_lo, exec_lo, s8
	s_wait_loadcnt 0x0
	v_cmp_lt_i16_e32 vcc_lo, -1, v25
	s_cmp_le_u32 s3, s2
	s_wait_dscnt 0x0
	s_cselect_b32 s8, -1, 0
	s_barrier_signal -1
	v_cndmask_b32_e64 v26, -1, 0xffff8000, vcc_lo
	s_and_b32 s0, s8, exec_lo
	v_cmp_le_u32_e32 vcc_lo, s1, v0
	s_cselect_b32 s9, 8, 10
	v_and_b32_e32 v2, 3, v0
	v_dual_mov_b32 v26, s9 :: v_dual_bitop2_b32 v25, v26, v25 bitop3:0x14
	s_nor_b32 s0, s8, vcc_lo
	s_barrier_wait -1
	s_and_saveexec_b32 s10, s0
	s_cbranch_execz .LBB2232_31
; %bb.30:
	v_cmp_ne_u16_e64 s0, 0x7fff, v25
	v_lshlrev_b32_e32 v27, 2, v2
	s_delay_alu instid0(VALU_DEP_2) | instskip(SKIP_1) | instid1(SALU_CYCLE_1)
	v_cndmask_b32_e64 v26, 0xffff8000, v25, s0
	s_sub_co_i32 s0, s3, s2
	s_min_u32 s0, s0, 8
	s_delay_alu instid0(VALU_DEP_1) | instskip(NEXT) | instid1(VALU_DEP_1)
	v_and_b32_e32 v26, 0xffff, v26
	v_lshrrev_b32_e32 v26, s2, v26
	s_delay_alu instid0(VALU_DEP_1) | instskip(NEXT) | instid1(VALU_DEP_1)
	v_bfe_u32 v26, v26, 0, s0
	v_lshl_or_b32 v26, v26, 4, v27
	v_mov_b32_e32 v27, 1
	ds_add_u32 v26, v27
	v_mov_b32_e32 v26, 0
.LBB2232_31:
	s_or_b32 exec_lo, exec_lo, s10
	s_mov_b32 s10, -1
	s_mov_b32 s11, exec_lo
	s_delay_alu instid0(VALU_DEP_1)
	v_cmpx_gt_i32_e32 10, v26
; %bb.32:
	v_cmp_eq_u32_e64 s0, 0, v26
	s_or_not1_b32 s10, s0, exec_lo
; %bb.33:
	s_or_b32 exec_lo, exec_lo, s11
	s_and_saveexec_b32 s0, s10
	s_cbranch_execz .LBB2232_36
; %bb.34:
	s_add_co_i32 s10, s2, 8
	s_delay_alu instid0(SALU_CYCLE_1) | instskip(SKIP_2) | instid1(SALU_CYCLE_1)
	s_cmp_gt_u32 s3, s10
	s_cselect_b32 s11, -1, 0
	s_xor_b32 s12, vcc_lo, -1
	s_and_b32 s11, s11, s12
	s_delay_alu instid0(SALU_CYCLE_1)
	s_and_b32 exec_lo, exec_lo, s11
	s_cbranch_execz .LBB2232_36
; %bb.35:
	v_cmp_ne_u16_e32 vcc_lo, 0x7fff, v25
	v_dual_cndmask_b32 v25, 0xffff8000, v25 :: v_dual_lshlrev_b32 v26, 2, v2
	s_delay_alu instid0(VALU_DEP_1) | instskip(NEXT) | instid1(VALU_DEP_1)
	v_and_b32_e32 v25, 0xffff, v25
	v_lshrrev_b32_e32 v25, s10, v25
	s_sub_co_i32 s10, s3, s10
	s_delay_alu instid0(SALU_CYCLE_1)
	s_min_u32 s10, s10, 8
	s_delay_alu instid0(VALU_DEP_1) | instid1(SALU_CYCLE_1)
	v_bfe_u32 v25, v25, 0, s10
	s_delay_alu instid0(VALU_DEP_1)
	v_lshl_or_b32 v25, v25, 4, v26
	v_mov_b32_e32 v26, 1
	ds_add_u32 v25, v26 offset:4096
.LBB2232_36:
	s_or_b32 exec_lo, exec_lo, s0
	v_cmp_lt_i16_e32 vcc_lo, -1, v24
	v_cndmask_b32_e64 v25, -1, 0xffff8000, vcc_lo
	v_cmp_le_u32_e32 vcc_lo, s1, v23
	s_delay_alu instid0(VALU_DEP_2) | instskip(SKIP_1) | instid1(SALU_CYCLE_1)
	v_dual_mov_b32 v24, s9 :: v_dual_bitop2_b32 v23, v25, v24 bitop3:0x14
	s_nor_b32 s0, s8, vcc_lo
	s_and_saveexec_b32 s10, s0
	s_cbranch_execz .LBB2232_38
; %bb.37:
	s_delay_alu instid0(VALU_DEP_1) | instskip(SKIP_1) | instid1(VALU_DEP_2)
	v_cmp_ne_u16_e64 s0, 0x7fff, v23
	v_lshlrev_b32_e32 v25, 2, v2
	v_cndmask_b32_e64 v24, 0xffff8000, v23, s0
	s_sub_co_i32 s0, s3, s2
	s_delay_alu instid0(SALU_CYCLE_1) | instskip(NEXT) | instid1(VALU_DEP_1)
	s_min_u32 s0, s0, 8
	v_and_b32_e32 v24, 0xffff, v24
	s_delay_alu instid0(VALU_DEP_1) | instskip(NEXT) | instid1(VALU_DEP_1)
	v_lshrrev_b32_e32 v24, s2, v24
	v_bfe_u32 v24, v24, 0, s0
	s_delay_alu instid0(VALU_DEP_1)
	v_lshl_or_b32 v24, v24, 4, v25
	v_mov_b32_e32 v25, 1
	ds_add_u32 v24, v25
	v_mov_b32_e32 v24, 0
.LBB2232_38:
	s_or_b32 exec_lo, exec_lo, s10
	s_mov_b32 s10, -1
	s_mov_b32 s11, exec_lo
	s_delay_alu instid0(VALU_DEP_1)
	v_cmpx_gt_i32_e32 10, v24
; %bb.39:
	v_cmp_eq_u32_e64 s0, 0, v24
	s_or_not1_b32 s10, s0, exec_lo
; %bb.40:
	s_or_b32 exec_lo, exec_lo, s11
	s_and_saveexec_b32 s0, s10
	s_cbranch_execz .LBB2232_43
; %bb.41:
	s_add_co_i32 s10, s2, 8
	s_delay_alu instid0(SALU_CYCLE_1) | instskip(SKIP_2) | instid1(SALU_CYCLE_1)
	s_cmp_gt_u32 s3, s10
	s_cselect_b32 s11, -1, 0
	s_xor_b32 s12, vcc_lo, -1
	s_and_b32 s11, s11, s12
	s_delay_alu instid0(SALU_CYCLE_1)
	s_and_b32 exec_lo, exec_lo, s11
	s_cbranch_execz .LBB2232_43
; %bb.42:
	v_cmp_ne_u16_e32 vcc_lo, 0x7fff, v23
	v_dual_cndmask_b32 v23, 0xffff8000, v23 :: v_dual_lshlrev_b32 v24, 2, v2
	s_delay_alu instid0(VALU_DEP_1) | instskip(NEXT) | instid1(VALU_DEP_1)
	v_and_b32_e32 v23, 0xffff, v23
	v_lshrrev_b32_e32 v23, s10, v23
	s_sub_co_i32 s10, s3, s10
	s_delay_alu instid0(SALU_CYCLE_1)
	s_min_u32 s10, s10, 8
	s_delay_alu instid0(VALU_DEP_1) | instid1(SALU_CYCLE_1)
	v_bfe_u32 v23, v23, 0, s10
	s_delay_alu instid0(VALU_DEP_1)
	v_lshl_or_b32 v23, v23, 4, v24
	v_mov_b32_e32 v24, 1
	ds_add_u32 v23, v24 offset:4096
.LBB2232_43:
	s_or_b32 exec_lo, exec_lo, s0
	v_cmp_lt_i16_e32 vcc_lo, -1, v22
	v_cndmask_b32_e64 v23, -1, 0xffff8000, vcc_lo
	v_cmp_le_u32_e32 vcc_lo, s1, v21
	s_delay_alu instid0(VALU_DEP_2) | instskip(SKIP_1) | instid1(SALU_CYCLE_1)
	v_dual_mov_b32 v22, s9 :: v_dual_bitop2_b32 v21, v23, v22 bitop3:0x14
	s_nor_b32 s0, s8, vcc_lo
	s_and_saveexec_b32 s10, s0
	s_cbranch_execz .LBB2232_45
; %bb.44:
	s_delay_alu instid0(VALU_DEP_1) | instskip(SKIP_1) | instid1(VALU_DEP_2)
	v_cmp_ne_u16_e64 s0, 0x7fff, v21
	v_lshlrev_b32_e32 v23, 2, v2
	v_cndmask_b32_e64 v22, 0xffff8000, v21, s0
	s_sub_co_i32 s0, s3, s2
	s_delay_alu instid0(SALU_CYCLE_1) | instskip(NEXT) | instid1(VALU_DEP_1)
	s_min_u32 s0, s0, 8
	v_and_b32_e32 v22, 0xffff, v22
	s_delay_alu instid0(VALU_DEP_1) | instskip(NEXT) | instid1(VALU_DEP_1)
	v_lshrrev_b32_e32 v22, s2, v22
	v_bfe_u32 v22, v22, 0, s0
	s_delay_alu instid0(VALU_DEP_1)
	v_lshl_or_b32 v22, v22, 4, v23
	v_mov_b32_e32 v23, 1
	ds_add_u32 v22, v23
	v_mov_b32_e32 v22, 0
.LBB2232_45:
	s_or_b32 exec_lo, exec_lo, s10
	s_mov_b32 s10, -1
	s_mov_b32 s11, exec_lo
	s_delay_alu instid0(VALU_DEP_1)
	v_cmpx_gt_i32_e32 10, v22
; %bb.46:
	v_cmp_eq_u32_e64 s0, 0, v22
	s_or_not1_b32 s10, s0, exec_lo
; %bb.47:
	s_or_b32 exec_lo, exec_lo, s11
	s_and_saveexec_b32 s0, s10
	s_cbranch_execz .LBB2232_50
; %bb.48:
	s_add_co_i32 s10, s2, 8
	s_delay_alu instid0(SALU_CYCLE_1) | instskip(SKIP_2) | instid1(SALU_CYCLE_1)
	s_cmp_gt_u32 s3, s10
	s_cselect_b32 s11, -1, 0
	s_xor_b32 s12, vcc_lo, -1
	s_and_b32 s11, s11, s12
	s_delay_alu instid0(SALU_CYCLE_1)
	s_and_b32 exec_lo, exec_lo, s11
	s_cbranch_execz .LBB2232_50
; %bb.49:
	v_cmp_ne_u16_e32 vcc_lo, 0x7fff, v21
	v_dual_cndmask_b32 v21, 0xffff8000, v21 :: v_dual_lshlrev_b32 v22, 2, v2
	s_delay_alu instid0(VALU_DEP_1) | instskip(NEXT) | instid1(VALU_DEP_1)
	v_and_b32_e32 v21, 0xffff, v21
	v_lshrrev_b32_e32 v21, s10, v21
	s_sub_co_i32 s10, s3, s10
	s_delay_alu instid0(SALU_CYCLE_1)
	s_min_u32 s10, s10, 8
	s_delay_alu instid0(VALU_DEP_1) | instid1(SALU_CYCLE_1)
	v_bfe_u32 v21, v21, 0, s10
	s_delay_alu instid0(VALU_DEP_1)
	v_lshl_or_b32 v21, v21, 4, v22
	v_mov_b32_e32 v22, 1
	ds_add_u32 v21, v22 offset:4096
.LBB2232_50:
	s_or_b32 exec_lo, exec_lo, s0
	v_cmp_lt_i16_e32 vcc_lo, -1, v20
	v_cndmask_b32_e64 v21, -1, 0xffff8000, vcc_lo
	v_cmp_le_u32_e32 vcc_lo, s1, v19
	s_delay_alu instid0(VALU_DEP_2) | instskip(SKIP_1) | instid1(SALU_CYCLE_1)
	v_dual_mov_b32 v20, s9 :: v_dual_bitop2_b32 v19, v21, v20 bitop3:0x14
	s_nor_b32 s0, s8, vcc_lo
	s_and_saveexec_b32 s10, s0
	s_cbranch_execz .LBB2232_52
; %bb.51:
	s_delay_alu instid0(VALU_DEP_1) | instskip(SKIP_1) | instid1(VALU_DEP_2)
	v_cmp_ne_u16_e64 s0, 0x7fff, v19
	v_lshlrev_b32_e32 v21, 2, v2
	v_cndmask_b32_e64 v20, 0xffff8000, v19, s0
	s_sub_co_i32 s0, s3, s2
	s_delay_alu instid0(SALU_CYCLE_1) | instskip(NEXT) | instid1(VALU_DEP_1)
	s_min_u32 s0, s0, 8
	v_and_b32_e32 v20, 0xffff, v20
	s_delay_alu instid0(VALU_DEP_1) | instskip(NEXT) | instid1(VALU_DEP_1)
	v_lshrrev_b32_e32 v20, s2, v20
	v_bfe_u32 v20, v20, 0, s0
	s_delay_alu instid0(VALU_DEP_1)
	v_lshl_or_b32 v20, v20, 4, v21
	v_mov_b32_e32 v21, 1
	ds_add_u32 v20, v21
	v_mov_b32_e32 v20, 0
.LBB2232_52:
	s_or_b32 exec_lo, exec_lo, s10
	s_mov_b32 s10, -1
	s_mov_b32 s11, exec_lo
	s_delay_alu instid0(VALU_DEP_1)
	v_cmpx_gt_i32_e32 10, v20
; %bb.53:
	v_cmp_eq_u32_e64 s0, 0, v20
	s_or_not1_b32 s10, s0, exec_lo
; %bb.54:
	s_or_b32 exec_lo, exec_lo, s11
	s_and_saveexec_b32 s0, s10
	s_cbranch_execz .LBB2232_57
; %bb.55:
	s_add_co_i32 s10, s2, 8
	s_delay_alu instid0(SALU_CYCLE_1) | instskip(SKIP_2) | instid1(SALU_CYCLE_1)
	s_cmp_gt_u32 s3, s10
	s_cselect_b32 s11, -1, 0
	s_xor_b32 s12, vcc_lo, -1
	s_and_b32 s11, s11, s12
	s_delay_alu instid0(SALU_CYCLE_1)
	s_and_b32 exec_lo, exec_lo, s11
	s_cbranch_execz .LBB2232_57
; %bb.56:
	v_cmp_ne_u16_e32 vcc_lo, 0x7fff, v19
	v_dual_cndmask_b32 v19, 0xffff8000, v19 :: v_dual_lshlrev_b32 v20, 2, v2
	s_delay_alu instid0(VALU_DEP_1) | instskip(NEXT) | instid1(VALU_DEP_1)
	v_and_b32_e32 v19, 0xffff, v19
	v_lshrrev_b32_e32 v19, s10, v19
	s_sub_co_i32 s10, s3, s10
	s_delay_alu instid0(SALU_CYCLE_1)
	s_min_u32 s10, s10, 8
	s_delay_alu instid0(VALU_DEP_1) | instid1(SALU_CYCLE_1)
	v_bfe_u32 v19, v19, 0, s10
	s_delay_alu instid0(VALU_DEP_1)
	v_lshl_or_b32 v19, v19, 4, v20
	v_mov_b32_e32 v20, 1
	ds_add_u32 v19, v20 offset:4096
.LBB2232_57:
	s_or_b32 exec_lo, exec_lo, s0
	v_cmp_lt_i16_e32 vcc_lo, -1, v18
	v_cndmask_b32_e64 v19, -1, 0xffff8000, vcc_lo
	v_cmp_le_u32_e32 vcc_lo, s1, v17
	s_delay_alu instid0(VALU_DEP_2) | instskip(SKIP_1) | instid1(SALU_CYCLE_1)
	v_dual_mov_b32 v18, s9 :: v_dual_bitop2_b32 v17, v19, v18 bitop3:0x14
	s_nor_b32 s0, s8, vcc_lo
	s_and_saveexec_b32 s10, s0
	s_cbranch_execz .LBB2232_59
; %bb.58:
	s_delay_alu instid0(VALU_DEP_1) | instskip(SKIP_1) | instid1(VALU_DEP_2)
	v_cmp_ne_u16_e64 s0, 0x7fff, v17
	v_lshlrev_b32_e32 v19, 2, v2
	v_cndmask_b32_e64 v18, 0xffff8000, v17, s0
	s_sub_co_i32 s0, s3, s2
	s_delay_alu instid0(SALU_CYCLE_1) | instskip(NEXT) | instid1(VALU_DEP_1)
	s_min_u32 s0, s0, 8
	v_and_b32_e32 v18, 0xffff, v18
	s_delay_alu instid0(VALU_DEP_1) | instskip(NEXT) | instid1(VALU_DEP_1)
	v_lshrrev_b32_e32 v18, s2, v18
	v_bfe_u32 v18, v18, 0, s0
	s_delay_alu instid0(VALU_DEP_1)
	v_lshl_or_b32 v18, v18, 4, v19
	v_mov_b32_e32 v19, 1
	ds_add_u32 v18, v19
	v_mov_b32_e32 v18, 0
.LBB2232_59:
	s_or_b32 exec_lo, exec_lo, s10
	s_mov_b32 s10, -1
	s_mov_b32 s11, exec_lo
	s_delay_alu instid0(VALU_DEP_1)
	v_cmpx_gt_i32_e32 10, v18
; %bb.60:
	v_cmp_eq_u32_e64 s0, 0, v18
	s_or_not1_b32 s10, s0, exec_lo
; %bb.61:
	s_or_b32 exec_lo, exec_lo, s11
	s_and_saveexec_b32 s0, s10
	s_cbranch_execz .LBB2232_64
; %bb.62:
	s_add_co_i32 s10, s2, 8
	s_delay_alu instid0(SALU_CYCLE_1) | instskip(SKIP_2) | instid1(SALU_CYCLE_1)
	s_cmp_gt_u32 s3, s10
	s_cselect_b32 s11, -1, 0
	s_xor_b32 s12, vcc_lo, -1
	s_and_b32 s11, s11, s12
	s_delay_alu instid0(SALU_CYCLE_1)
	s_and_b32 exec_lo, exec_lo, s11
	s_cbranch_execz .LBB2232_64
; %bb.63:
	v_cmp_ne_u16_e32 vcc_lo, 0x7fff, v17
	v_dual_cndmask_b32 v17, 0xffff8000, v17 :: v_dual_lshlrev_b32 v18, 2, v2
	s_delay_alu instid0(VALU_DEP_1) | instskip(NEXT) | instid1(VALU_DEP_1)
	v_and_b32_e32 v17, 0xffff, v17
	v_lshrrev_b32_e32 v17, s10, v17
	s_sub_co_i32 s10, s3, s10
	s_delay_alu instid0(SALU_CYCLE_1)
	s_min_u32 s10, s10, 8
	s_delay_alu instid0(VALU_DEP_1) | instid1(SALU_CYCLE_1)
	v_bfe_u32 v17, v17, 0, s10
	s_delay_alu instid0(VALU_DEP_1)
	v_lshl_or_b32 v17, v17, 4, v18
	v_mov_b32_e32 v18, 1
	ds_add_u32 v17, v18 offset:4096
.LBB2232_64:
	s_or_b32 exec_lo, exec_lo, s0
	v_cmp_lt_i16_e32 vcc_lo, -1, v16
	v_cndmask_b32_e64 v17, -1, 0xffff8000, vcc_lo
	v_cmp_le_u32_e32 vcc_lo, s1, v15
	s_delay_alu instid0(VALU_DEP_2) | instskip(SKIP_1) | instid1(SALU_CYCLE_1)
	v_dual_mov_b32 v16, s9 :: v_dual_bitop2_b32 v15, v17, v16 bitop3:0x14
	s_nor_b32 s0, s8, vcc_lo
	s_and_saveexec_b32 s10, s0
	s_cbranch_execz .LBB2232_66
; %bb.65:
	s_delay_alu instid0(VALU_DEP_1) | instskip(SKIP_1) | instid1(VALU_DEP_2)
	v_cmp_ne_u16_e64 s0, 0x7fff, v15
	v_lshlrev_b32_e32 v17, 2, v2
	v_cndmask_b32_e64 v16, 0xffff8000, v15, s0
	s_sub_co_i32 s0, s3, s2
	s_delay_alu instid0(SALU_CYCLE_1) | instskip(NEXT) | instid1(VALU_DEP_1)
	s_min_u32 s0, s0, 8
	v_and_b32_e32 v16, 0xffff, v16
	s_delay_alu instid0(VALU_DEP_1) | instskip(NEXT) | instid1(VALU_DEP_1)
	v_lshrrev_b32_e32 v16, s2, v16
	v_bfe_u32 v16, v16, 0, s0
	s_delay_alu instid0(VALU_DEP_1)
	v_lshl_or_b32 v16, v16, 4, v17
	v_mov_b32_e32 v17, 1
	ds_add_u32 v16, v17
	v_mov_b32_e32 v16, 0
.LBB2232_66:
	s_or_b32 exec_lo, exec_lo, s10
	s_mov_b32 s10, -1
	s_mov_b32 s11, exec_lo
	s_delay_alu instid0(VALU_DEP_1)
	v_cmpx_gt_i32_e32 10, v16
; %bb.67:
	v_cmp_eq_u32_e64 s0, 0, v16
	s_or_not1_b32 s10, s0, exec_lo
; %bb.68:
	s_or_b32 exec_lo, exec_lo, s11
	s_and_saveexec_b32 s0, s10
	s_cbranch_execz .LBB2232_71
; %bb.69:
	s_add_co_i32 s10, s2, 8
	s_delay_alu instid0(SALU_CYCLE_1) | instskip(SKIP_2) | instid1(SALU_CYCLE_1)
	s_cmp_gt_u32 s3, s10
	s_cselect_b32 s11, -1, 0
	s_xor_b32 s12, vcc_lo, -1
	s_and_b32 s11, s11, s12
	s_delay_alu instid0(SALU_CYCLE_1)
	s_and_b32 exec_lo, exec_lo, s11
	s_cbranch_execz .LBB2232_71
; %bb.70:
	v_cmp_ne_u16_e32 vcc_lo, 0x7fff, v15
	v_dual_cndmask_b32 v15, 0xffff8000, v15 :: v_dual_lshlrev_b32 v16, 2, v2
	s_delay_alu instid0(VALU_DEP_1) | instskip(NEXT) | instid1(VALU_DEP_1)
	v_and_b32_e32 v15, 0xffff, v15
	v_lshrrev_b32_e32 v15, s10, v15
	s_sub_co_i32 s10, s3, s10
	s_delay_alu instid0(SALU_CYCLE_1)
	s_min_u32 s10, s10, 8
	s_delay_alu instid0(VALU_DEP_1) | instid1(SALU_CYCLE_1)
	v_bfe_u32 v15, v15, 0, s10
	s_delay_alu instid0(VALU_DEP_1)
	v_lshl_or_b32 v15, v15, 4, v16
	v_mov_b32_e32 v16, 1
	ds_add_u32 v15, v16 offset:4096
.LBB2232_71:
	s_or_b32 exec_lo, exec_lo, s0
	v_cmp_lt_i16_e32 vcc_lo, -1, v14
	v_cndmask_b32_e64 v15, -1, 0xffff8000, vcc_lo
	v_cmp_le_u32_e32 vcc_lo, s1, v13
	s_delay_alu instid0(VALU_DEP_2) | instskip(SKIP_1) | instid1(SALU_CYCLE_1)
	v_dual_mov_b32 v14, s9 :: v_dual_bitop2_b32 v13, v15, v14 bitop3:0x14
	s_nor_b32 s0, s8, vcc_lo
	s_and_saveexec_b32 s10, s0
	s_cbranch_execz .LBB2232_73
; %bb.72:
	s_delay_alu instid0(VALU_DEP_1) | instskip(SKIP_1) | instid1(VALU_DEP_2)
	v_cmp_ne_u16_e64 s0, 0x7fff, v13
	v_lshlrev_b32_e32 v15, 2, v2
	v_cndmask_b32_e64 v14, 0xffff8000, v13, s0
	s_sub_co_i32 s0, s3, s2
	s_delay_alu instid0(SALU_CYCLE_1) | instskip(NEXT) | instid1(VALU_DEP_1)
	s_min_u32 s0, s0, 8
	v_and_b32_e32 v14, 0xffff, v14
	s_delay_alu instid0(VALU_DEP_1) | instskip(NEXT) | instid1(VALU_DEP_1)
	v_lshrrev_b32_e32 v14, s2, v14
	v_bfe_u32 v14, v14, 0, s0
	s_delay_alu instid0(VALU_DEP_1)
	v_lshl_or_b32 v14, v14, 4, v15
	v_mov_b32_e32 v15, 1
	ds_add_u32 v14, v15
	v_mov_b32_e32 v14, 0
.LBB2232_73:
	s_or_b32 exec_lo, exec_lo, s10
	s_mov_b32 s10, -1
	s_mov_b32 s11, exec_lo
	s_delay_alu instid0(VALU_DEP_1)
	v_cmpx_gt_i32_e32 10, v14
; %bb.74:
	v_cmp_eq_u32_e64 s0, 0, v14
	s_or_not1_b32 s10, s0, exec_lo
; %bb.75:
	s_or_b32 exec_lo, exec_lo, s11
	s_and_saveexec_b32 s0, s10
	s_cbranch_execz .LBB2232_78
; %bb.76:
	s_add_co_i32 s10, s2, 8
	s_delay_alu instid0(SALU_CYCLE_1) | instskip(SKIP_2) | instid1(SALU_CYCLE_1)
	s_cmp_gt_u32 s3, s10
	s_cselect_b32 s11, -1, 0
	s_xor_b32 s12, vcc_lo, -1
	s_and_b32 s11, s11, s12
	s_delay_alu instid0(SALU_CYCLE_1)
	s_and_b32 exec_lo, exec_lo, s11
	s_cbranch_execz .LBB2232_78
; %bb.77:
	v_cmp_ne_u16_e32 vcc_lo, 0x7fff, v13
	v_dual_cndmask_b32 v13, 0xffff8000, v13 :: v_dual_lshlrev_b32 v14, 2, v2
	s_delay_alu instid0(VALU_DEP_1) | instskip(NEXT) | instid1(VALU_DEP_1)
	v_and_b32_e32 v13, 0xffff, v13
	v_lshrrev_b32_e32 v13, s10, v13
	s_sub_co_i32 s10, s3, s10
	s_delay_alu instid0(SALU_CYCLE_1)
	s_min_u32 s10, s10, 8
	s_delay_alu instid0(VALU_DEP_1) | instid1(SALU_CYCLE_1)
	v_bfe_u32 v13, v13, 0, s10
	s_delay_alu instid0(VALU_DEP_1)
	v_lshl_or_b32 v13, v13, 4, v14
	v_mov_b32_e32 v14, 1
	ds_add_u32 v13, v14 offset:4096
.LBB2232_78:
	s_or_b32 exec_lo, exec_lo, s0
	v_cmp_lt_i16_e32 vcc_lo, -1, v12
	v_cndmask_b32_e64 v13, -1, 0xffff8000, vcc_lo
	v_cmp_le_u32_e32 vcc_lo, s1, v11
	s_delay_alu instid0(VALU_DEP_2) | instskip(SKIP_1) | instid1(SALU_CYCLE_1)
	v_dual_mov_b32 v12, s9 :: v_dual_bitop2_b32 v11, v13, v12 bitop3:0x14
	s_nor_b32 s0, s8, vcc_lo
	s_and_saveexec_b32 s10, s0
	s_cbranch_execz .LBB2232_80
; %bb.79:
	s_delay_alu instid0(VALU_DEP_1) | instskip(SKIP_1) | instid1(VALU_DEP_2)
	v_cmp_ne_u16_e64 s0, 0x7fff, v11
	v_lshlrev_b32_e32 v13, 2, v2
	v_cndmask_b32_e64 v12, 0xffff8000, v11, s0
	s_sub_co_i32 s0, s3, s2
	s_delay_alu instid0(SALU_CYCLE_1) | instskip(NEXT) | instid1(VALU_DEP_1)
	s_min_u32 s0, s0, 8
	v_and_b32_e32 v12, 0xffff, v12
	s_delay_alu instid0(VALU_DEP_1) | instskip(NEXT) | instid1(VALU_DEP_1)
	v_lshrrev_b32_e32 v12, s2, v12
	v_bfe_u32 v12, v12, 0, s0
	s_delay_alu instid0(VALU_DEP_1)
	v_lshl_or_b32 v12, v12, 4, v13
	v_mov_b32_e32 v13, 1
	ds_add_u32 v12, v13
	v_mov_b32_e32 v12, 0
.LBB2232_80:
	s_or_b32 exec_lo, exec_lo, s10
	s_mov_b32 s10, -1
	s_mov_b32 s11, exec_lo
	s_delay_alu instid0(VALU_DEP_1)
	v_cmpx_gt_i32_e32 10, v12
; %bb.81:
	v_cmp_eq_u32_e64 s0, 0, v12
	s_or_not1_b32 s10, s0, exec_lo
; %bb.82:
	s_or_b32 exec_lo, exec_lo, s11
	s_and_saveexec_b32 s0, s10
	s_cbranch_execz .LBB2232_85
; %bb.83:
	s_add_co_i32 s10, s2, 8
	s_delay_alu instid0(SALU_CYCLE_1) | instskip(SKIP_2) | instid1(SALU_CYCLE_1)
	s_cmp_gt_u32 s3, s10
	s_cselect_b32 s11, -1, 0
	s_xor_b32 s12, vcc_lo, -1
	s_and_b32 s11, s11, s12
	s_delay_alu instid0(SALU_CYCLE_1)
	s_and_b32 exec_lo, exec_lo, s11
	s_cbranch_execz .LBB2232_85
; %bb.84:
	v_cmp_ne_u16_e32 vcc_lo, 0x7fff, v11
	v_dual_cndmask_b32 v11, 0xffff8000, v11 :: v_dual_lshlrev_b32 v12, 2, v2
	s_delay_alu instid0(VALU_DEP_1) | instskip(NEXT) | instid1(VALU_DEP_1)
	v_and_b32_e32 v11, 0xffff, v11
	v_lshrrev_b32_e32 v11, s10, v11
	s_sub_co_i32 s10, s3, s10
	s_delay_alu instid0(SALU_CYCLE_1)
	s_min_u32 s10, s10, 8
	s_delay_alu instid0(VALU_DEP_1) | instid1(SALU_CYCLE_1)
	v_bfe_u32 v11, v11, 0, s10
	s_delay_alu instid0(VALU_DEP_1)
	v_lshl_or_b32 v11, v11, 4, v12
	v_mov_b32_e32 v12, 1
	ds_add_u32 v11, v12 offset:4096
.LBB2232_85:
	s_or_b32 exec_lo, exec_lo, s0
	v_cmp_lt_i16_e32 vcc_lo, -1, v10
	v_cndmask_b32_e64 v11, -1, 0xffff8000, vcc_lo
	v_cmp_le_u32_e32 vcc_lo, s1, v9
	s_delay_alu instid0(VALU_DEP_2) | instskip(SKIP_1) | instid1(SALU_CYCLE_1)
	v_dual_mov_b32 v10, s9 :: v_dual_bitop2_b32 v9, v11, v10 bitop3:0x14
	s_nor_b32 s0, s8, vcc_lo
	s_and_saveexec_b32 s10, s0
	s_cbranch_execz .LBB2232_87
; %bb.86:
	s_delay_alu instid0(VALU_DEP_1) | instskip(SKIP_1) | instid1(VALU_DEP_2)
	v_cmp_ne_u16_e64 s0, 0x7fff, v9
	v_lshlrev_b32_e32 v11, 2, v2
	v_cndmask_b32_e64 v10, 0xffff8000, v9, s0
	s_sub_co_i32 s0, s3, s2
	s_delay_alu instid0(SALU_CYCLE_1) | instskip(NEXT) | instid1(VALU_DEP_1)
	s_min_u32 s0, s0, 8
	v_and_b32_e32 v10, 0xffff, v10
	s_delay_alu instid0(VALU_DEP_1) | instskip(NEXT) | instid1(VALU_DEP_1)
	v_lshrrev_b32_e32 v10, s2, v10
	v_bfe_u32 v10, v10, 0, s0
	s_delay_alu instid0(VALU_DEP_1)
	v_lshl_or_b32 v10, v10, 4, v11
	v_mov_b32_e32 v11, 1
	ds_add_u32 v10, v11
	v_mov_b32_e32 v10, 0
.LBB2232_87:
	s_or_b32 exec_lo, exec_lo, s10
	s_mov_b32 s10, -1
	s_mov_b32 s11, exec_lo
	s_delay_alu instid0(VALU_DEP_1)
	v_cmpx_gt_i32_e32 10, v10
; %bb.88:
	v_cmp_eq_u32_e64 s0, 0, v10
	s_or_not1_b32 s10, s0, exec_lo
; %bb.89:
	s_or_b32 exec_lo, exec_lo, s11
	s_and_saveexec_b32 s0, s10
	s_cbranch_execz .LBB2232_92
; %bb.90:
	s_add_co_i32 s10, s2, 8
	s_delay_alu instid0(SALU_CYCLE_1) | instskip(SKIP_2) | instid1(SALU_CYCLE_1)
	s_cmp_gt_u32 s3, s10
	s_cselect_b32 s11, -1, 0
	s_xor_b32 s12, vcc_lo, -1
	s_and_b32 s11, s11, s12
	s_delay_alu instid0(SALU_CYCLE_1)
	s_and_b32 exec_lo, exec_lo, s11
	s_cbranch_execz .LBB2232_92
; %bb.91:
	v_cmp_ne_u16_e32 vcc_lo, 0x7fff, v9
	v_dual_cndmask_b32 v9, 0xffff8000, v9 :: v_dual_lshlrev_b32 v10, 2, v2
	s_delay_alu instid0(VALU_DEP_1) | instskip(NEXT) | instid1(VALU_DEP_1)
	v_and_b32_e32 v9, 0xffff, v9
	v_lshrrev_b32_e32 v9, s10, v9
	s_sub_co_i32 s10, s3, s10
	s_delay_alu instid0(SALU_CYCLE_1)
	s_min_u32 s10, s10, 8
	s_delay_alu instid0(VALU_DEP_1) | instid1(SALU_CYCLE_1)
	v_bfe_u32 v9, v9, 0, s10
	s_delay_alu instid0(VALU_DEP_1)
	v_lshl_or_b32 v9, v9, 4, v10
	v_mov_b32_e32 v10, 1
	ds_add_u32 v9, v10 offset:4096
.LBB2232_92:
	s_or_b32 exec_lo, exec_lo, s0
	v_cmp_lt_i16_e32 vcc_lo, -1, v8
	v_cndmask_b32_e64 v9, -1, 0xffff8000, vcc_lo
	v_cmp_le_u32_e32 vcc_lo, s1, v7
	s_delay_alu instid0(VALU_DEP_2) | instskip(SKIP_1) | instid1(SALU_CYCLE_1)
	v_dual_mov_b32 v8, s9 :: v_dual_bitop2_b32 v7, v9, v8 bitop3:0x14
	s_nor_b32 s0, s8, vcc_lo
	s_and_saveexec_b32 s10, s0
	s_cbranch_execz .LBB2232_94
; %bb.93:
	s_delay_alu instid0(VALU_DEP_1) | instskip(SKIP_1) | instid1(VALU_DEP_2)
	v_cmp_ne_u16_e64 s0, 0x7fff, v7
	v_lshlrev_b32_e32 v9, 2, v2
	v_cndmask_b32_e64 v8, 0xffff8000, v7, s0
	s_sub_co_i32 s0, s3, s2
	s_delay_alu instid0(SALU_CYCLE_1) | instskip(NEXT) | instid1(VALU_DEP_1)
	s_min_u32 s0, s0, 8
	v_and_b32_e32 v8, 0xffff, v8
	s_delay_alu instid0(VALU_DEP_1) | instskip(NEXT) | instid1(VALU_DEP_1)
	v_lshrrev_b32_e32 v8, s2, v8
	v_bfe_u32 v8, v8, 0, s0
	s_delay_alu instid0(VALU_DEP_1)
	v_lshl_or_b32 v8, v8, 4, v9
	v_mov_b32_e32 v9, 1
	ds_add_u32 v8, v9
	v_mov_b32_e32 v8, 0
.LBB2232_94:
	s_or_b32 exec_lo, exec_lo, s10
	s_mov_b32 s10, -1
	s_mov_b32 s11, exec_lo
	s_delay_alu instid0(VALU_DEP_1)
	v_cmpx_gt_i32_e32 10, v8
; %bb.95:
	v_cmp_eq_u32_e64 s0, 0, v8
	s_or_not1_b32 s10, s0, exec_lo
; %bb.96:
	s_or_b32 exec_lo, exec_lo, s11
	s_and_saveexec_b32 s0, s10
	s_cbranch_execz .LBB2232_99
; %bb.97:
	s_add_co_i32 s10, s2, 8
	s_delay_alu instid0(SALU_CYCLE_1) | instskip(SKIP_2) | instid1(SALU_CYCLE_1)
	s_cmp_gt_u32 s3, s10
	s_cselect_b32 s11, -1, 0
	s_xor_b32 s12, vcc_lo, -1
	s_and_b32 s11, s11, s12
	s_delay_alu instid0(SALU_CYCLE_1)
	s_and_b32 exec_lo, exec_lo, s11
	s_cbranch_execz .LBB2232_99
; %bb.98:
	v_cmp_ne_u16_e32 vcc_lo, 0x7fff, v7
	v_dual_cndmask_b32 v7, 0xffff8000, v7 :: v_dual_lshlrev_b32 v8, 2, v2
	s_delay_alu instid0(VALU_DEP_1) | instskip(NEXT) | instid1(VALU_DEP_1)
	v_and_b32_e32 v7, 0xffff, v7
	v_lshrrev_b32_e32 v7, s10, v7
	s_sub_co_i32 s10, s3, s10
	s_delay_alu instid0(SALU_CYCLE_1)
	s_min_u32 s10, s10, 8
	s_delay_alu instid0(VALU_DEP_1) | instid1(SALU_CYCLE_1)
	v_bfe_u32 v7, v7, 0, s10
	s_delay_alu instid0(VALU_DEP_1)
	v_lshl_or_b32 v7, v7, 4, v8
	v_mov_b32_e32 v8, 1
	ds_add_u32 v7, v8 offset:4096
.LBB2232_99:
	s_or_b32 exec_lo, exec_lo, s0
	v_cmp_lt_i16_e32 vcc_lo, -1, v6
	v_cndmask_b32_e64 v7, -1, 0xffff8000, vcc_lo
	v_cmp_le_u32_e32 vcc_lo, s1, v5
	s_delay_alu instid0(VALU_DEP_2) | instskip(SKIP_1) | instid1(SALU_CYCLE_1)
	v_dual_mov_b32 v6, s9 :: v_dual_bitop2_b32 v5, v7, v6 bitop3:0x14
	s_nor_b32 s0, s8, vcc_lo
	s_and_saveexec_b32 s10, s0
	s_cbranch_execz .LBB2232_101
; %bb.100:
	s_delay_alu instid0(VALU_DEP_1) | instskip(SKIP_1) | instid1(VALU_DEP_2)
	v_cmp_ne_u16_e64 s0, 0x7fff, v5
	v_lshlrev_b32_e32 v7, 2, v2
	v_cndmask_b32_e64 v6, 0xffff8000, v5, s0
	s_sub_co_i32 s0, s3, s2
	s_delay_alu instid0(SALU_CYCLE_1) | instskip(NEXT) | instid1(VALU_DEP_1)
	s_min_u32 s0, s0, 8
	v_and_b32_e32 v6, 0xffff, v6
	s_delay_alu instid0(VALU_DEP_1) | instskip(NEXT) | instid1(VALU_DEP_1)
	v_lshrrev_b32_e32 v6, s2, v6
	v_bfe_u32 v6, v6, 0, s0
	s_delay_alu instid0(VALU_DEP_1)
	v_lshl_or_b32 v6, v6, 4, v7
	v_mov_b32_e32 v7, 1
	ds_add_u32 v6, v7
	v_mov_b32_e32 v6, 0
.LBB2232_101:
	s_or_b32 exec_lo, exec_lo, s10
	s_mov_b32 s10, -1
	s_mov_b32 s11, exec_lo
	s_delay_alu instid0(VALU_DEP_1)
	v_cmpx_gt_i32_e32 10, v6
; %bb.102:
	v_cmp_eq_u32_e64 s0, 0, v6
	s_or_not1_b32 s10, s0, exec_lo
; %bb.103:
	s_or_b32 exec_lo, exec_lo, s11
	s_and_saveexec_b32 s0, s10
	s_cbranch_execz .LBB2232_106
; %bb.104:
	s_add_co_i32 s10, s2, 8
	s_delay_alu instid0(SALU_CYCLE_1) | instskip(SKIP_2) | instid1(SALU_CYCLE_1)
	s_cmp_gt_u32 s3, s10
	s_cselect_b32 s11, -1, 0
	s_xor_b32 s12, vcc_lo, -1
	s_and_b32 s11, s11, s12
	s_delay_alu instid0(SALU_CYCLE_1)
	s_and_b32 exec_lo, exec_lo, s11
	s_cbranch_execz .LBB2232_106
; %bb.105:
	v_cmp_ne_u16_e32 vcc_lo, 0x7fff, v5
	v_dual_cndmask_b32 v5, 0xffff8000, v5 :: v_dual_lshlrev_b32 v6, 2, v2
	s_delay_alu instid0(VALU_DEP_1) | instskip(NEXT) | instid1(VALU_DEP_1)
	v_and_b32_e32 v5, 0xffff, v5
	v_lshrrev_b32_e32 v5, s10, v5
	s_sub_co_i32 s10, s3, s10
	s_delay_alu instid0(SALU_CYCLE_1)
	s_min_u32 s10, s10, 8
	s_delay_alu instid0(VALU_DEP_1) | instid1(SALU_CYCLE_1)
	v_bfe_u32 v5, v5, 0, s10
	s_delay_alu instid0(VALU_DEP_1)
	v_lshl_or_b32 v5, v5, 4, v6
	v_mov_b32_e32 v6, 1
	ds_add_u32 v5, v6 offset:4096
.LBB2232_106:
	s_or_b32 exec_lo, exec_lo, s0
	v_cmp_lt_i16_e32 vcc_lo, -1, v4
	v_cndmask_b32_e64 v5, -1, 0xffff8000, vcc_lo
	v_cmp_le_u32_e32 vcc_lo, s1, v3
	s_delay_alu instid0(VALU_DEP_2) | instskip(SKIP_1) | instid1(SALU_CYCLE_1)
	v_dual_mov_b32 v4, s9 :: v_dual_bitop2_b32 v3, v5, v4 bitop3:0x14
	s_nor_b32 s0, s8, vcc_lo
	s_and_saveexec_b32 s1, s0
	s_cbranch_execz .LBB2232_108
; %bb.107:
	s_delay_alu instid0(VALU_DEP_1) | instskip(SKIP_1) | instid1(VALU_DEP_2)
	v_cmp_ne_u16_e64 s0, 0x7fff, v3
	v_lshlrev_b32_e32 v5, 2, v2
	v_cndmask_b32_e64 v4, 0xffff8000, v3, s0
	s_sub_co_i32 s0, s3, s2
	s_delay_alu instid0(SALU_CYCLE_1) | instskip(NEXT) | instid1(VALU_DEP_1)
	s_min_u32 s0, s0, 8
	v_and_b32_e32 v4, 0xffff, v4
	s_delay_alu instid0(VALU_DEP_1) | instskip(NEXT) | instid1(VALU_DEP_1)
	v_lshrrev_b32_e32 v4, s2, v4
	v_bfe_u32 v4, v4, 0, s0
	s_delay_alu instid0(VALU_DEP_1)
	v_lshl_or_b32 v4, v4, 4, v5
	v_mov_b32_e32 v5, 1
	ds_add_u32 v4, v5
	v_mov_b32_e32 v4, 0
.LBB2232_108:
	s_or_b32 exec_lo, exec_lo, s1
	s_mov_b32 s1, -1
	s_mov_b32 s8, exec_lo
	s_delay_alu instid0(VALU_DEP_1)
	v_cmpx_gt_i32_e32 10, v4
; %bb.109:
	v_cmp_eq_u32_e64 s0, 0, v4
	s_or_not1_b32 s1, s0, exec_lo
; %bb.110:
	s_or_b32 exec_lo, exec_lo, s8
	s_and_saveexec_b32 s0, s1
	s_cbranch_execz .LBB2232_113
; %bb.111:
	s_add_co_i32 s1, s2, 8
	s_delay_alu instid0(SALU_CYCLE_1) | instskip(SKIP_2) | instid1(SALU_CYCLE_1)
	s_cmp_gt_u32 s3, s1
	s_cselect_b32 s8, -1, 0
	s_xor_b32 s9, vcc_lo, -1
	s_and_b32 s8, s8, s9
	s_delay_alu instid0(SALU_CYCLE_1)
	s_and_b32 exec_lo, exec_lo, s8
	s_cbranch_execz .LBB2232_113
; %bb.112:
	v_cmp_ne_u16_e32 vcc_lo, 0x7fff, v3
	v_dual_cndmask_b32 v3, 0xffff8000, v3 :: v_dual_lshlrev_b32 v2, 2, v2
	s_delay_alu instid0(VALU_DEP_1) | instskip(NEXT) | instid1(VALU_DEP_1)
	v_and_b32_e32 v3, 0xffff, v3
	v_lshrrev_b32_e32 v3, s1, v3
	s_sub_co_i32 s1, s3, s1
	s_delay_alu instid0(SALU_CYCLE_1)
	s_min_u32 s1, s1, 8
	s_delay_alu instid0(VALU_DEP_1) | instid1(SALU_CYCLE_1)
	v_bfe_u32 v3, v3, 0, s1
	s_delay_alu instid0(VALU_DEP_1)
	v_lshl_or_b32 v2, v3, 4, v2
	v_mov_b32_e32 v3, 1
	ds_add_u32 v2, v3 offset:4096
.LBB2232_113:
	s_or_b32 exec_lo, exec_lo, s0
	s_cmp_gt_u32 s3, s2
	s_wait_dscnt 0x0
	s_barrier_signal -1
	s_barrier_wait -1
	s_cbranch_scc0 .LBB2232_118
; %bb.114:
	v_mad_u32_u24 v1, v0, 12, v1
	v_dual_mov_b32 v3, 0 :: v_dual_mov_b32 v4, v0
	s_mov_b32 s0, s2
	v_cmp_gt_u32_e32 vcc_lo, 0x100, v0
	s_branch .LBB2232_116
.LBB2232_115:                           ;   in Loop: Header=BB2232_116 Depth=1
	s_wait_xcnt 0x0
	s_or_b32 exec_lo, exec_lo, s1
	v_add_nc_u32_e32 v4, 0x100, v4
	v_add_nc_u32_e32 v1, 0x1000, v1
	s_add_co_i32 s0, s0, 8
	s_delay_alu instid0(SALU_CYCLE_1)
	s_cmp_lt_u32 s0, s3
	s_cbranch_scc0 .LBB2232_118
.LBB2232_116:                           ; =>This Inner Loop Header: Depth=1
	s_and_saveexec_b32 s1, vcc_lo
	s_cbranch_execz .LBB2232_115
; %bb.117:                              ;   in Loop: Header=BB2232_116 Depth=1
	ds_load_2addr_b32 v[6:7], v1 offset1:1
	ds_load_2addr_b32 v[8:9], v1 offset0:2 offset1:3
	s_wait_dscnt 0x1
	v_add_nc_u32_e32 v2, v7, v6
	s_wait_dscnt 0x0
	s_delay_alu instid0(VALU_DEP_1)
	v_add3_u32 v2, v2, v8, v9
	global_atomic_add_u64 v4, v[2:3], s[6:7] scale_offset scope:SCOPE_DEV
	s_branch .LBB2232_115
.LBB2232_118:
	s_mov_b32 s9, 0
.LBB2232_119:
	s_delay_alu instid0(SALU_CYCLE_1)
	s_and_b32 vcc_lo, exec_lo, s9
	s_cbranch_vccz .LBB2232_164
; %bb.120:
	s_clause 0xb
	global_load_u16 v12, v0, s[4:5] scale_offset
	global_load_u16 v13, v0, s[4:5] offset:1024 scale_offset
	global_load_u16 v14, v0, s[4:5] offset:2048 scale_offset
	;; [unrolled: 1-line block ×11, first 2 shown]
	s_cmp_eq_u32 s2, 0
	v_dual_mov_b32 v2, 0 :: v_dual_lshlrev_b32 v15, 2, v0
	s_cselect_b32 s0, -1, 0
	s_cmp_eq_u32 s3, 16
	s_wait_xcnt 0x0
	v_cmp_gt_u32_e64 s4, 3, 1
	s_cselect_b32 s1, -1, 0
	s_delay_alu instid0(SALU_CYCLE_1)
	s_and_b32 s0, s0, s1
	s_mov_b32 s1, -1
	s_and_b32 vcc_lo, exec_lo, s0
	v_cmp_gt_u32_e64 s0, 3, 2
	s_cbranch_vccnz .LBB2232_157
; %bb.121:
	ds_store_2addr_stride64_b32 v15, v2, v2 offset1:8
	s_and_saveexec_b32 s1, s4
; %bb.122:
	v_mov_b32_e32 v2, 0
	ds_store_b32 v15, v2 offset:4096
; %bb.123:
	s_or_b32 exec_lo, exec_lo, s1
	s_and_saveexec_b32 s1, s0
; %bb.124:
	v_mov_b32_e32 v2, 0
	ds_store_b32 v15, v2 offset:6144
; %bb.125:
	s_or_b32 exec_lo, exec_lo, s1
	s_cmp_gt_u32 s3, s2
	s_wait_storecnt 0x0
	s_wait_loadcnt_dscnt 0x0
	s_cselect_b32 s1, -1, 0
	s_barrier_signal -1
	s_and_b32 vcc_lo, exec_lo, s1
	s_barrier_wait -1
	s_cbranch_vccz .LBB2232_151
; %bb.126:
	v_cmp_lt_i16_e32 vcc_lo, -1, v12
	s_sub_co_i32 s0, s3, s2
	s_add_co_i32 s4, s2, 8
	s_min_u32 s0, s0, 8
	s_mov_b32 s9, -1
	v_cndmask_b32_e64 v2, -1, 0xffff8000, vcc_lo
	s_lshl_b32 s0, -1, s0
	v_mov_b32_e32 v18, 1
	s_not_b32 s5, s0
	s_cmp_le_u32 s3, s4
	v_xor_b32_e32 v2, v2, v12
	s_cselect_b32 s8, -1, 0
	s_delay_alu instid0(VALU_DEP_1) | instskip(SKIP_2) | instid1(VALU_DEP_2)
	v_cmp_ne_u16_e32 vcc_lo, 0x7fff, v2
	v_cndmask_b32_e32 v2, 0xffff8000, v2, vcc_lo
	v_cmp_lt_i16_e32 vcc_lo, -1, v13
	v_and_b32_e32 v16, 0xffff, v2
	v_and_b32_e32 v2, 3, v0
	s_delay_alu instid0(VALU_DEP_1) | instskip(NEXT) | instid1(VALU_DEP_1)
	v_dual_lshrrev_b32 v17, s2, v16 :: v_dual_lshlrev_b32 v3, 2, v2
	v_bitop3_b32 v17, v17, s0, v17 bitop3:0x30
	s_delay_alu instid0(VALU_DEP_1) | instskip(SKIP_3) | instid1(VALU_DEP_1)
	v_lshl_or_b32 v17, v17, 4, v3
	ds_add_u32 v17, v18
	v_cndmask_b32_e64 v17, -1, 0xffff8000, vcc_lo
	s_and_b32 vcc_lo, exec_lo, s8
                                        ; implicit-def: $vgpr18
	v_xor_b32_e32 v17, v17, v13
	s_delay_alu instid0(VALU_DEP_1)
	v_cmp_ne_u16_e64 s0, 0x7fff, v17
	s_cbranch_vccz .LBB2232_128
; %bb.127:
	v_cndmask_b32_e64 v18, 0xffff8000, v17, s0
	s_mov_b32 s9, 0
	s_delay_alu instid0(VALU_DEP_1) | instskip(NEXT) | instid1(VALU_DEP_1)
	v_and_b32_e32 v18, 0xffff, v18
	v_lshrrev_b32_e32 v18, s2, v18
	s_delay_alu instid0(VALU_DEP_1) | instskip(NEXT) | instid1(VALU_DEP_1)
	v_and_b32_e32 v18, s5, v18
	v_lshlrev_b32_e32 v18, 4, v18
.LBB2232_128:
	s_and_not1_b32 vcc_lo, exec_lo, s9
	s_cbranch_vccnz .LBB2232_130
; %bb.129:
	v_cmp_ne_u16_e32 vcc_lo, 0x7fff, v17
	s_sub_co_i32 s0, s3, s4
	v_mov_b32_e32 v19, 1
	s_min_u32 s0, s0, 8
	v_cndmask_b32_e32 v17, 0xffff8000, v17, vcc_lo
	s_lshl_b32 s0, -1, s0
	s_delay_alu instid0(VALU_DEP_1) | instskip(NEXT) | instid1(VALU_DEP_1)
	v_and_b32_e32 v17, 0xffff, v17
	v_dual_lshrrev_b32 v16, s4, v16 :: v_dual_lshrrev_b32 v18, s2, v17
	s_delay_alu instid0(VALU_DEP_1) | instskip(NEXT) | instid1(VALU_DEP_2)
	v_bitop3_b32 v16, v16, s0, v16 bitop3:0x30
	v_and_b32_e32 v18, s5, v18
	s_delay_alu instid0(VALU_DEP_2) | instskip(NEXT) | instid1(VALU_DEP_2)
	v_lshl_or_b32 v16, v16, 4, v3
	v_lshl_or_b32 v18, v18, 4, v3
	ds_add_u32 v16, v19 offset:4096
	ds_add_u32 v18, v19
	v_lshrrev_b32_e32 v16, s4, v17
	s_delay_alu instid0(VALU_DEP_1) | instskip(NEXT) | instid1(VALU_DEP_1)
	v_bitop3_b32 v16, v16, s0, v16 bitop3:0x30
	v_lshl_add_u32 v18, v16, 4, 0x1000
.LBB2232_130:
	v_cmp_lt_i16_e32 vcc_lo, -1, v14
	s_mov_b32 s9, -1
	s_delay_alu instid0(VALU_DEP_2) | instskip(SKIP_1) | instid1(VALU_DEP_1)
	v_dual_mov_b32 v19, 1 :: v_dual_add_nc_u32 v18, v18, v3
	v_cndmask_b32_e64 v16, -1, 0xffff8000, vcc_lo
	v_xor_b32_e32 v16, v16, v14
	s_delay_alu instid0(VALU_DEP_1) | instskip(SKIP_2) | instid1(VALU_DEP_2)
	v_cmp_ne_u16_e32 vcc_lo, 0x7fff, v16
	v_cndmask_b32_e32 v16, 0xffff8000, v16, vcc_lo
	v_cmp_lt_i16_e32 vcc_lo, -1, v7
	v_and_b32_e32 v16, 0xffff, v16
	s_delay_alu instid0(VALU_DEP_1) | instskip(NEXT) | instid1(VALU_DEP_1)
	v_lshrrev_b32_e32 v17, s2, v16
	v_and_b32_e32 v17, s5, v17
	s_delay_alu instid0(VALU_DEP_1) | instskip(SKIP_4) | instid1(VALU_DEP_1)
	v_lshl_or_b32 v17, v17, 4, v3
	ds_add_u32 v18, v19
	ds_add_u32 v17, v19
	v_cndmask_b32_e64 v17, -1, 0xffff8000, vcc_lo
	s_and_b32 vcc_lo, exec_lo, s8
                                        ; implicit-def: $vgpr18
	v_xor_b32_e32 v17, v17, v7
	s_delay_alu instid0(VALU_DEP_1)
	v_cmp_ne_u16_e64 s0, 0x7fff, v17
	s_cbranch_vccz .LBB2232_132
; %bb.131:
	v_cndmask_b32_e64 v18, 0xffff8000, v17, s0
	s_mov_b32 s9, 0
	s_delay_alu instid0(VALU_DEP_1) | instskip(NEXT) | instid1(VALU_DEP_1)
	v_and_b32_e32 v18, 0xffff, v18
	v_lshrrev_b32_e32 v18, s2, v18
	s_delay_alu instid0(VALU_DEP_1) | instskip(NEXT) | instid1(VALU_DEP_1)
	v_and_b32_e32 v18, s5, v18
	v_lshlrev_b32_e32 v18, 4, v18
.LBB2232_132:
	s_and_not1_b32 vcc_lo, exec_lo, s9
	s_cbranch_vccnz .LBB2232_134
; %bb.133:
	v_cmp_ne_u16_e32 vcc_lo, 0x7fff, v17
	s_sub_co_i32 s0, s3, s4
	v_mov_b32_e32 v19, 1
	s_min_u32 s0, s0, 8
	v_cndmask_b32_e32 v17, 0xffff8000, v17, vcc_lo
	s_lshl_b32 s0, -1, s0
	s_delay_alu instid0(VALU_DEP_1) | instskip(NEXT) | instid1(VALU_DEP_1)
	v_and_b32_e32 v17, 0xffff, v17
	v_dual_lshrrev_b32 v16, s4, v16 :: v_dual_lshrrev_b32 v18, s2, v17
	s_delay_alu instid0(VALU_DEP_1) | instskip(NEXT) | instid1(VALU_DEP_2)
	v_bitop3_b32 v16, v16, s0, v16 bitop3:0x30
	v_and_b32_e32 v18, s5, v18
	s_delay_alu instid0(VALU_DEP_2) | instskip(NEXT) | instid1(VALU_DEP_2)
	v_lshl_or_b32 v16, v16, 4, v3
	v_lshl_or_b32 v18, v18, 4, v3
	ds_add_u32 v16, v19 offset:4096
	ds_add_u32 v18, v19
	v_lshrrev_b32_e32 v16, s4, v17
	s_delay_alu instid0(VALU_DEP_1) | instskip(NEXT) | instid1(VALU_DEP_1)
	v_bitop3_b32 v16, v16, s0, v16 bitop3:0x30
	v_lshl_add_u32 v18, v16, 4, 0x1000
.LBB2232_134:
	v_cmp_lt_i16_e32 vcc_lo, -1, v8
	s_mov_b32 s9, -1
	s_delay_alu instid0(VALU_DEP_2) | instskip(SKIP_1) | instid1(VALU_DEP_1)
	v_dual_mov_b32 v19, 1 :: v_dual_add_nc_u32 v18, v18, v3
	v_cndmask_b32_e64 v16, -1, 0xffff8000, vcc_lo
	v_xor_b32_e32 v16, v16, v8
	s_delay_alu instid0(VALU_DEP_1) | instskip(SKIP_2) | instid1(VALU_DEP_2)
	v_cmp_ne_u16_e32 vcc_lo, 0x7fff, v16
	v_cndmask_b32_e32 v16, 0xffff8000, v16, vcc_lo
	v_cmp_lt_i16_e32 vcc_lo, -1, v9
	v_and_b32_e32 v16, 0xffff, v16
	s_delay_alu instid0(VALU_DEP_1) | instskip(NEXT) | instid1(VALU_DEP_1)
	v_lshrrev_b32_e32 v17, s2, v16
	v_and_b32_e32 v17, s5, v17
	s_delay_alu instid0(VALU_DEP_1) | instskip(SKIP_4) | instid1(VALU_DEP_1)
	v_lshl_or_b32 v17, v17, 4, v3
	ds_add_u32 v18, v19
	ds_add_u32 v17, v19
	v_cndmask_b32_e64 v17, -1, 0xffff8000, vcc_lo
	s_and_b32 vcc_lo, exec_lo, s8
                                        ; implicit-def: $vgpr18
	v_xor_b32_e32 v17, v17, v9
	s_delay_alu instid0(VALU_DEP_1)
	v_cmp_ne_u16_e64 s0, 0x7fff, v17
	s_cbranch_vccz .LBB2232_136
; %bb.135:
	v_cndmask_b32_e64 v18, 0xffff8000, v17, s0
	s_mov_b32 s9, 0
	s_delay_alu instid0(VALU_DEP_1) | instskip(NEXT) | instid1(VALU_DEP_1)
	v_and_b32_e32 v18, 0xffff, v18
	v_lshrrev_b32_e32 v18, s2, v18
	s_delay_alu instid0(VALU_DEP_1) | instskip(NEXT) | instid1(VALU_DEP_1)
	v_and_b32_e32 v18, s5, v18
	v_lshlrev_b32_e32 v18, 4, v18
.LBB2232_136:
	s_and_not1_b32 vcc_lo, exec_lo, s9
	s_cbranch_vccnz .LBB2232_138
; %bb.137:
	v_cmp_ne_u16_e32 vcc_lo, 0x7fff, v17
	s_sub_co_i32 s0, s3, s4
	v_mov_b32_e32 v19, 1
	s_min_u32 s0, s0, 8
	v_cndmask_b32_e32 v17, 0xffff8000, v17, vcc_lo
	s_lshl_b32 s0, -1, s0
	s_delay_alu instid0(VALU_DEP_1) | instskip(NEXT) | instid1(VALU_DEP_1)
	v_and_b32_e32 v17, 0xffff, v17
	v_dual_lshrrev_b32 v16, s4, v16 :: v_dual_lshrrev_b32 v18, s2, v17
	s_delay_alu instid0(VALU_DEP_1) | instskip(NEXT) | instid1(VALU_DEP_2)
	v_bitop3_b32 v16, v16, s0, v16 bitop3:0x30
	v_and_b32_e32 v18, s5, v18
	s_delay_alu instid0(VALU_DEP_2) | instskip(NEXT) | instid1(VALU_DEP_2)
	v_lshl_or_b32 v16, v16, 4, v3
	v_lshl_or_b32 v18, v18, 4, v3
	ds_add_u32 v16, v19 offset:4096
	ds_add_u32 v18, v19
	v_lshrrev_b32_e32 v16, s4, v17
	s_delay_alu instid0(VALU_DEP_1) | instskip(NEXT) | instid1(VALU_DEP_1)
	v_bitop3_b32 v16, v16, s0, v16 bitop3:0x30
	v_lshl_add_u32 v18, v16, 4, 0x1000
.LBB2232_138:
	v_cmp_lt_i16_e32 vcc_lo, -1, v10
	s_mov_b32 s9, -1
	s_delay_alu instid0(VALU_DEP_2) | instskip(SKIP_1) | instid1(VALU_DEP_1)
	v_dual_mov_b32 v19, 1 :: v_dual_add_nc_u32 v18, v18, v3
	v_cndmask_b32_e64 v16, -1, 0xffff8000, vcc_lo
	v_xor_b32_e32 v16, v16, v10
	s_delay_alu instid0(VALU_DEP_1) | instskip(SKIP_2) | instid1(VALU_DEP_2)
	v_cmp_ne_u16_e32 vcc_lo, 0x7fff, v16
	v_cndmask_b32_e32 v16, 0xffff8000, v16, vcc_lo
	v_cmp_lt_i16_e32 vcc_lo, -1, v11
	v_and_b32_e32 v16, 0xffff, v16
	s_delay_alu instid0(VALU_DEP_1) | instskip(NEXT) | instid1(VALU_DEP_1)
	v_lshrrev_b32_e32 v17, s2, v16
	v_and_b32_e32 v17, s5, v17
	s_delay_alu instid0(VALU_DEP_1) | instskip(SKIP_4) | instid1(VALU_DEP_1)
	v_lshl_or_b32 v17, v17, 4, v3
	ds_add_u32 v18, v19
	ds_add_u32 v17, v19
	v_cndmask_b32_e64 v17, -1, 0xffff8000, vcc_lo
	s_and_b32 vcc_lo, exec_lo, s8
                                        ; implicit-def: $vgpr18
	v_xor_b32_e32 v17, v17, v11
	s_delay_alu instid0(VALU_DEP_1)
	v_cmp_ne_u16_e64 s0, 0x7fff, v17
	s_cbranch_vccz .LBB2232_140
; %bb.139:
	v_cndmask_b32_e64 v18, 0xffff8000, v17, s0
	s_mov_b32 s9, 0
	s_delay_alu instid0(VALU_DEP_1) | instskip(NEXT) | instid1(VALU_DEP_1)
	v_and_b32_e32 v18, 0xffff, v18
	v_lshrrev_b32_e32 v18, s2, v18
	s_delay_alu instid0(VALU_DEP_1) | instskip(NEXT) | instid1(VALU_DEP_1)
	v_and_b32_e32 v18, s5, v18
	v_lshlrev_b32_e32 v18, 4, v18
.LBB2232_140:
	s_and_not1_b32 vcc_lo, exec_lo, s9
	s_cbranch_vccnz .LBB2232_142
; %bb.141:
	v_cmp_ne_u16_e32 vcc_lo, 0x7fff, v17
	s_sub_co_i32 s0, s3, s4
	v_mov_b32_e32 v19, 1
	s_min_u32 s0, s0, 8
	v_cndmask_b32_e32 v17, 0xffff8000, v17, vcc_lo
	s_lshl_b32 s0, -1, s0
	s_delay_alu instid0(VALU_DEP_1) | instskip(NEXT) | instid1(VALU_DEP_1)
	v_and_b32_e32 v17, 0xffff, v17
	v_dual_lshrrev_b32 v16, s4, v16 :: v_dual_lshrrev_b32 v18, s2, v17
	s_delay_alu instid0(VALU_DEP_1) | instskip(NEXT) | instid1(VALU_DEP_2)
	v_bitop3_b32 v16, v16, s0, v16 bitop3:0x30
	v_and_b32_e32 v18, s5, v18
	s_delay_alu instid0(VALU_DEP_2) | instskip(NEXT) | instid1(VALU_DEP_2)
	v_lshl_or_b32 v16, v16, 4, v3
	v_lshl_or_b32 v18, v18, 4, v3
	ds_add_u32 v16, v19 offset:4096
	ds_add_u32 v18, v19
	v_lshrrev_b32_e32 v16, s4, v17
	s_delay_alu instid0(VALU_DEP_1) | instskip(NEXT) | instid1(VALU_DEP_1)
	v_bitop3_b32 v16, v16, s0, v16 bitop3:0x30
	v_lshl_add_u32 v18, v16, 4, 0x1000
.LBB2232_142:
	v_cmp_lt_i16_e32 vcc_lo, -1, v5
	s_mov_b32 s9, -1
	s_delay_alu instid0(VALU_DEP_2) | instskip(SKIP_1) | instid1(VALU_DEP_1)
	v_dual_mov_b32 v19, 1 :: v_dual_add_nc_u32 v18, v18, v3
	v_cndmask_b32_e64 v16, -1, 0xffff8000, vcc_lo
	v_xor_b32_e32 v16, v16, v5
	s_delay_alu instid0(VALU_DEP_1) | instskip(SKIP_2) | instid1(VALU_DEP_2)
	v_cmp_ne_u16_e32 vcc_lo, 0x7fff, v16
	v_cndmask_b32_e32 v16, 0xffff8000, v16, vcc_lo
	v_cmp_lt_i16_e32 vcc_lo, -1, v6
	v_and_b32_e32 v16, 0xffff, v16
	s_delay_alu instid0(VALU_DEP_1) | instskip(NEXT) | instid1(VALU_DEP_1)
	v_lshrrev_b32_e32 v17, s2, v16
	v_and_b32_e32 v17, s5, v17
	s_delay_alu instid0(VALU_DEP_1) | instskip(SKIP_4) | instid1(VALU_DEP_1)
	v_lshl_or_b32 v17, v17, 4, v3
	ds_add_u32 v18, v19
	ds_add_u32 v17, v19
	v_cndmask_b32_e64 v17, -1, 0xffff8000, vcc_lo
	s_and_b32 vcc_lo, exec_lo, s8
                                        ; implicit-def: $vgpr18
	v_xor_b32_e32 v17, v17, v6
	s_delay_alu instid0(VALU_DEP_1)
	v_cmp_ne_u16_e64 s0, 0x7fff, v17
	s_cbranch_vccz .LBB2232_144
; %bb.143:
	v_cndmask_b32_e64 v18, 0xffff8000, v17, s0
	s_mov_b32 s9, 0
	s_delay_alu instid0(VALU_DEP_1) | instskip(NEXT) | instid1(VALU_DEP_1)
	v_and_b32_e32 v18, 0xffff, v18
	v_lshrrev_b32_e32 v18, s2, v18
	s_delay_alu instid0(VALU_DEP_1) | instskip(NEXT) | instid1(VALU_DEP_1)
	v_and_b32_e32 v18, s5, v18
	v_lshlrev_b32_e32 v18, 4, v18
.LBB2232_144:
	s_and_not1_b32 vcc_lo, exec_lo, s9
	s_cbranch_vccnz .LBB2232_146
; %bb.145:
	v_cmp_ne_u16_e32 vcc_lo, 0x7fff, v17
	s_sub_co_i32 s0, s3, s4
	v_mov_b32_e32 v19, 1
	s_min_u32 s0, s0, 8
	v_cndmask_b32_e32 v17, 0xffff8000, v17, vcc_lo
	s_lshl_b32 s0, -1, s0
	s_delay_alu instid0(VALU_DEP_1) | instskip(NEXT) | instid1(VALU_DEP_1)
	v_and_b32_e32 v17, 0xffff, v17
	v_dual_lshrrev_b32 v16, s4, v16 :: v_dual_lshrrev_b32 v18, s2, v17
	s_delay_alu instid0(VALU_DEP_1) | instskip(NEXT) | instid1(VALU_DEP_2)
	v_bitop3_b32 v16, v16, s0, v16 bitop3:0x30
	v_and_b32_e32 v18, s5, v18
	s_delay_alu instid0(VALU_DEP_2) | instskip(NEXT) | instid1(VALU_DEP_2)
	v_lshl_or_b32 v16, v16, 4, v3
	v_lshl_or_b32 v18, v18, 4, v3
	ds_add_u32 v16, v19 offset:4096
	ds_add_u32 v18, v19
	v_lshrrev_b32_e32 v16, s4, v17
	s_delay_alu instid0(VALU_DEP_1) | instskip(NEXT) | instid1(VALU_DEP_1)
	v_bitop3_b32 v16, v16, s0, v16 bitop3:0x30
	v_lshl_add_u32 v18, v16, 4, 0x1000
.LBB2232_146:
	v_cmp_lt_i16_e32 vcc_lo, -1, v4
	s_delay_alu instid0(VALU_DEP_2) | instskip(SKIP_1) | instid1(VALU_DEP_1)
	v_dual_mov_b32 v19, 1 :: v_dual_add_nc_u32 v18, v18, v3
	v_cndmask_b32_e64 v16, -1, 0xffff8000, vcc_lo
	v_xor_b32_e32 v16, v16, v4
	s_delay_alu instid0(VALU_DEP_1) | instskip(SKIP_2) | instid1(VALU_DEP_2)
	v_cmp_ne_u16_e32 vcc_lo, 0x7fff, v16
	v_cndmask_b32_e32 v16, 0xffff8000, v16, vcc_lo
	v_cmp_lt_i16_e32 vcc_lo, -1, v1
	v_and_b32_e32 v16, 0xffff, v16
	s_delay_alu instid0(VALU_DEP_1) | instskip(NEXT) | instid1(VALU_DEP_1)
	v_lshrrev_b32_e32 v17, s2, v16
	v_and_b32_e32 v17, s5, v17
	s_delay_alu instid0(VALU_DEP_1)
	v_lshl_or_b32 v17, v17, 4, v3
	ds_add_u32 v18, v19
	ds_add_u32 v17, v19
	v_cndmask_b32_e64 v17, -1, 0xffff8000, vcc_lo
	s_and_b32 vcc_lo, exec_lo, s8
	s_mov_b32 s8, -1
                                        ; implicit-def: $vgpr18
	s_delay_alu instid0(VALU_DEP_1) | instskip(NEXT) | instid1(VALU_DEP_1)
	v_xor_b32_e32 v17, v17, v1
	v_cmp_ne_u16_e64 s0, 0x7fff, v17
	s_cbranch_vccz .LBB2232_148
; %bb.147:
	v_cndmask_b32_e64 v18, 0xffff8000, v17, s0
	s_mov_b32 s8, 0
	s_delay_alu instid0(VALU_DEP_1) | instskip(NEXT) | instid1(VALU_DEP_1)
	v_and_b32_e32 v18, 0xffff, v18
	v_lshrrev_b32_e32 v18, s2, v18
	s_delay_alu instid0(VALU_DEP_1) | instskip(NEXT) | instid1(VALU_DEP_1)
	v_and_b32_e32 v18, s5, v18
	v_lshlrev_b32_e32 v18, 4, v18
.LBB2232_148:
	s_and_not1_b32 vcc_lo, exec_lo, s8
	s_cbranch_vccnz .LBB2232_150
; %bb.149:
	v_cmp_ne_u16_e32 vcc_lo, 0x7fff, v17
	s_sub_co_i32 s0, s3, s4
	v_mov_b32_e32 v19, 1
	s_min_u32 s0, s0, 8
	v_cndmask_b32_e32 v17, 0xffff8000, v17, vcc_lo
	s_lshl_b32 s0, -1, s0
	s_delay_alu instid0(VALU_DEP_1) | instskip(NEXT) | instid1(VALU_DEP_1)
	v_and_b32_e32 v17, 0xffff, v17
	v_dual_lshrrev_b32 v16, s4, v16 :: v_dual_lshrrev_b32 v18, s2, v17
	s_delay_alu instid0(VALU_DEP_1) | instskip(NEXT) | instid1(VALU_DEP_2)
	v_bitop3_b32 v16, v16, s0, v16 bitop3:0x30
	v_and_b32_e32 v18, s5, v18
	s_delay_alu instid0(VALU_DEP_2) | instskip(NEXT) | instid1(VALU_DEP_2)
	v_lshl_or_b32 v16, v16, 4, v3
	v_lshl_or_b32 v3, v18, 4, v3
	ds_add_u32 v16, v19 offset:4096
	ds_add_u32 v3, v19
	v_lshrrev_b32_e32 v3, s4, v17
	s_delay_alu instid0(VALU_DEP_1) | instskip(NEXT) | instid1(VALU_DEP_1)
	v_bitop3_b32 v3, v3, s0, v3 bitop3:0x30
	v_lshl_add_u32 v18, v3, 4, 0x1000
.LBB2232_150:
	s_delay_alu instid0(VALU_DEP_1)
	v_lshl_add_u32 v2, v2, 2, v18
	v_mov_b32_e32 v3, 1
	ds_add_u32 v2, v3
.LBB2232_151:
	s_and_b32 vcc_lo, exec_lo, s1
	s_wait_dscnt 0x0
	s_barrier_signal -1
	s_barrier_wait -1
	s_cbranch_vccz .LBB2232_156
; %bb.152:
	v_dual_mov_b32 v3, 0 :: v_dual_lshlrev_b32 v16, 4, v0
	v_mov_b32_e32 v17, v0
	v_cmp_gt_u32_e32 vcc_lo, 0x100, v0
	s_branch .LBB2232_154
.LBB2232_153:                           ;   in Loop: Header=BB2232_154 Depth=1
	s_wait_xcnt 0x0
	s_or_b32 exec_lo, exec_lo, s0
	v_add_nc_u32_e32 v17, 0x100, v17
	v_add_nc_u32_e32 v16, 0x1000, v16
	s_add_co_i32 s2, s2, 8
	s_delay_alu instid0(SALU_CYCLE_1)
	s_cmp_ge_u32 s2, s3
	s_cbranch_scc1 .LBB2232_156
.LBB2232_154:                           ; =>This Inner Loop Header: Depth=1
	s_and_saveexec_b32 s0, vcc_lo
	s_cbranch_execz .LBB2232_153
; %bb.155:                              ;   in Loop: Header=BB2232_154 Depth=1
	ds_load_2addr_b32 v[18:19], v16 offset1:1
	ds_load_2addr_b32 v[20:21], v16 offset0:2 offset1:3
	s_wait_dscnt 0x1
	v_add_nc_u32_e32 v2, v19, v18
	s_wait_dscnt 0x0
	s_delay_alu instid0(VALU_DEP_1)
	v_add3_u32 v2, v2, v20, v21
	global_atomic_add_u64 v17, v[2:3], s[6:7] scale_offset scope:SCOPE_DEV
	s_branch .LBB2232_153
.LBB2232_156:
	s_mov_b32 s1, 0
.LBB2232_157:
	s_delay_alu instid0(SALU_CYCLE_1)
	s_and_b32 vcc_lo, exec_lo, s1
	s_cbranch_vccz .LBB2232_164
; %bb.158:
	v_mov_b32_e32 v2, 0
	v_cmp_gt_u32_e64 s0, 3, 2
	s_mov_b32 s1, exec_lo
	ds_store_2addr_stride64_b32 v15, v2, v2 offset1:8
	v_cmpx_gt_u32_e64 3, 1
; %bb.159:
	ds_store_b32 v15, v2 offset:4096
; %bb.160:
	s_or_b32 exec_lo, exec_lo, s1
	s_and_saveexec_b32 s1, s0
; %bb.161:
	v_mov_b32_e32 v2, 0
	ds_store_b32 v15, v2 offset:6144
; %bb.162:
	s_or_b32 exec_lo, exec_lo, s1
	s_wait_loadcnt 0xb
	v_cmp_lt_i16_e32 vcc_lo, -1, v12
	s_wait_storecnt 0x0
	s_wait_loadcnt_dscnt 0x0
	s_barrier_signal -1
	s_barrier_wait -1
	v_cndmask_b32_e64 v2, -1, 0xffff8000, vcc_lo
	v_cmp_lt_i16_e32 vcc_lo, -1, v13
	s_mov_b32 s0, exec_lo
	s_delay_alu instid0(VALU_DEP_2) | instskip(SKIP_2) | instid1(VALU_DEP_2)
	v_xor_b32_e32 v2, v2, v12
	v_cndmask_b32_e64 v3, -1, 0xffff8000, vcc_lo
	v_cmp_lt_i16_e32 vcc_lo, -1, v14
	v_xor_b32_e32 v3, v3, v13
	v_cndmask_b32_e64 v15, -1, 0xffff8000, vcc_lo
	v_cmp_lt_i16_e32 vcc_lo, -1, v7
	s_delay_alu instid0(VALU_DEP_2) | instskip(SKIP_2) | instid1(VALU_DEP_2)
	v_xor_b32_e32 v12, v15, v14
	v_cndmask_b32_e64 v13, -1, 0xffff8000, vcc_lo
	v_cmp_lt_i16_e32 vcc_lo, -1, v8
	v_xor_b32_e32 v7, v13, v7
	v_cndmask_b32_e64 v14, -1, 0xffff8000, vcc_lo
	v_cmp_lt_i16_e32 vcc_lo, -1, v9
	;; [unrolled: 7-line block ×3, first 2 shown]
	v_cndmask_b32_e64 v17, -1, 0xffff8000, vcc_lo
	v_cmp_lt_i16_e32 vcc_lo, -1, v5
	v_cndmask_b32_e64 v13, -1, 0xffff8000, vcc_lo
	v_cmp_lt_i16_e32 vcc_lo, -1, v6
	s_delay_alu instid0(VALU_DEP_2) | instskip(SKIP_2) | instid1(VALU_DEP_2)
	v_xor_b32_e32 v5, v13, v5
	v_and_b32_e32 v13, 3, v0
	v_cndmask_b32_e64 v14, -1, 0xffff8000, vcc_lo
	v_lshlrev_b32_e32 v13, 2, v13
	v_cmp_ne_u16_e32 vcc_lo, 0x7fff, v2
	s_delay_alu instid0(VALU_DEP_3) | instskip(SKIP_2) | instid1(VALU_DEP_2)
	v_xor_b32_e32 v6, v14, v6
	v_cndmask_b32_e32 v2, 0xffff8000, v2, vcc_lo
	v_cmp_lt_i16_e32 vcc_lo, -1, v4
	v_and_b32_e32 v2, 0xffff, v2
	v_cndmask_b32_e64 v15, -1, 0xffff8000, vcc_lo
	v_cmp_lt_i16_e32 vcc_lo, -1, v1
	s_delay_alu instid0(VALU_DEP_2) | instskip(SKIP_3) | instid1(VALU_DEP_3)
	v_xor_b32_e32 v4, v15, v4
	v_cndmask_b32_e64 v14, -1, 0xffff8000, vcc_lo
	v_lshlrev_b32_e32 v15, 4, v2
	v_cmp_ne_u16_e32 vcc_lo, 0x7fff, v3
	v_dual_lshrrev_b32 v2, 4, v2 :: v_dual_bitop2_b32 v1, v14, v1 bitop3:0x14
	s_delay_alu instid0(VALU_DEP_3)
	v_and_or_b32 v14, 0xff0, v15, v13
	v_cndmask_b32_e32 v3, 0xffff8000, v3, vcc_lo
	v_mov_b32_e32 v15, 1
	v_cmp_ne_u16_e32 vcc_lo, 0x7fff, v12
	v_and_or_b32 v2, 0xff0, v2, v13
	ds_add_u32 v14, v15
	ds_add_u32 v2, v15 offset:4096
	v_and_b32_e32 v3, 0xffff, v3
	v_cndmask_b32_e32 v12, 0xffff8000, v12, vcc_lo
	v_cmp_ne_u16_e32 vcc_lo, 0x7fff, v7
	s_delay_alu instid0(VALU_DEP_3) | instskip(NEXT) | instid1(VALU_DEP_3)
	v_lshlrev_b32_e32 v2, 4, v3
	v_and_b32_e32 v12, 0xffff, v12
	v_cndmask_b32_e32 v7, 0xffff8000, v7, vcc_lo
	v_dual_lshrrev_b32 v3, 4, v3 :: v_dual_bitop2_b32 v10, v16, v10 bitop3:0x14
	v_xor_b32_e32 v11, v17, v11
	v_and_or_b32 v2, 0xff0, v2, v13
	v_dual_lshlrev_b32 v14, 4, v12 :: v_dual_lshrrev_b32 v12, 4, v12
	v_and_b32_e32 v7, 0xffff, v7
	v_cmp_ne_u16_e32 vcc_lo, 0x7fff, v8
	v_and_or_b32 v3, 0xff0, v3, v13
	ds_add_u32 v2, v15
	ds_add_u32 v3, v15 offset:4096
	v_and_or_b32 v2, 0xff0, v14, v13
	v_and_or_b32 v3, 0xff0, v12, v13
	v_dual_lshlrev_b32 v12, 4, v7 :: v_dual_lshrrev_b32 v7, 4, v7
	v_cndmask_b32_e32 v8, 0xffff8000, v8, vcc_lo
	v_cmp_ne_u16_e32 vcc_lo, 0x7fff, v9
	ds_add_u32 v2, v15
	ds_add_u32 v3, v15 offset:4096
	v_and_or_b32 v2, 0xff0, v12, v13
	v_and_or_b32 v3, 0xff0, v7, v13
	v_and_b32_e32 v7, 0xffff, v8
	v_cndmask_b32_e32 v8, 0xffff8000, v9, vcc_lo
	ds_add_u32 v2, v15
	ds_add_u32 v3, v15 offset:4096
	v_cmp_ne_u16_e32 vcc_lo, 0x7fff, v10
	v_dual_lshlrev_b32 v2, 4, v7 :: v_dual_lshrrev_b32 v3, 4, v7
	v_and_b32_e32 v7, 0xffff, v8
	v_cndmask_b32_e32 v8, 0xffff8000, v10, vcc_lo
	s_delay_alu instid0(VALU_DEP_3) | instskip(SKIP_1) | instid1(VALU_DEP_4)
	v_and_or_b32 v2, 0xff0, v2, v13
	v_cmp_ne_u16_e32 vcc_lo, 0x7fff, v11
	v_lshlrev_b32_e32 v9, 4, v7
	v_and_or_b32 v3, 0xff0, v3, v13
	v_lshrrev_b32_e32 v7, 4, v7
	v_and_b32_e32 v8, 0xffff, v8
	ds_add_u32 v2, v15
	ds_add_u32 v3, v15 offset:4096
	v_and_or_b32 v2, 0xff0, v9, v13
	v_cndmask_b32_e32 v9, 0xffff8000, v11, vcc_lo
	v_cmp_ne_u16_e32 vcc_lo, 0x7fff, v5
	v_and_or_b32 v3, 0xff0, v7, v13
	ds_add_u32 v2, v15
	ds_add_u32 v3, v15 offset:4096
	v_cndmask_b32_e32 v5, 0xffff8000, v5, vcc_lo
	v_cmp_ne_u16_e32 vcc_lo, 0x7fff, v6
	v_dual_lshlrev_b32 v7, 4, v8 :: v_dual_lshrrev_b32 v8, 4, v8
	v_cndmask_b32_e32 v6, 0xffff8000, v6, vcc_lo
	s_delay_alu instid0(VALU_DEP_2) | instskip(SKIP_1) | instid1(VALU_DEP_4)
	v_and_or_b32 v2, 0xff0, v7, v13
	v_and_b32_e32 v7, 0xffff, v9
	v_and_or_b32 v3, 0xff0, v8, v13
	ds_add_u32 v2, v15
	ds_add_u32 v3, v15 offset:4096
	v_lshlrev_b32_e32 v2, 4, v7
	v_and_b32_e32 v5, 0xffff, v5
	v_lshrrev_b32_e32 v3, 4, v7
	v_cmp_ne_u16_e32 vcc_lo, 0x7fff, v4
	v_and_b32_e32 v6, 0xffff, v6
	v_and_or_b32 v2, 0xff0, v2, v13
	v_lshlrev_b32_e32 v7, 4, v5
	v_and_or_b32 v3, 0xff0, v3, v13
	v_dual_cndmask_b32 v4, 0xffff8000, v4 :: v_dual_lshrrev_b32 v5, 4, v5
	v_cmp_ne_u16_e32 vcc_lo, 0x7fff, v1
	ds_add_u32 v2, v15
	ds_add_u32 v3, v15 offset:4096
	v_and_or_b32 v2, 0xff0, v7, v13
	v_and_or_b32 v3, 0xff0, v5, v13
	v_lshlrev_b32_e32 v5, 4, v6
	v_cndmask_b32_e32 v1, 0xffff8000, v1, vcc_lo
	ds_add_u32 v2, v15
	ds_add_u32 v3, v15 offset:4096
	v_lshrrev_b32_e32 v3, 4, v6
	v_and_b32_e32 v2, 0xffff, v4
	v_and_or_b32 v5, 0xff0, v5, v13
	v_and_b32_e32 v1, 0xffff, v1
	s_delay_alu instid0(VALU_DEP_4) | instskip(NEXT) | instid1(VALU_DEP_4)
	v_and_or_b32 v3, 0xff0, v3, v13
	v_dual_lshlrev_b32 v4, 4, v2 :: v_dual_lshrrev_b32 v2, 4, v2
	ds_add_u32 v5, v15
	v_dual_lshlrev_b32 v5, 4, v1 :: v_dual_lshrrev_b32 v1, 4, v1
	v_and_or_b32 v4, 0xff0, v4, v13
	v_and_or_b32 v2, 0xff0, v2, v13
	s_delay_alu instid0(VALU_DEP_3) | instskip(NEXT) | instid1(VALU_DEP_4)
	v_and_or_b32 v5, 0xff0, v5, v13
	v_and_or_b32 v1, 0xff0, v1, v13
	ds_add_u32 v3, v15 offset:4096
	ds_add_u32 v4, v15
	ds_add_u32 v2, v15 offset:4096
	ds_add_u32 v5, v15
	ds_add_u32 v1, v15 offset:4096
	s_wait_dscnt 0x0
	s_barrier_signal -1
	s_barrier_wait -1
	v_cmpx_gt_u32_e32 0x100, v0
	s_cbranch_execz .LBB2232_164
; %bb.163:
	v_lshlrev_b32_e32 v1, 4, v0
	ds_load_2addr_b32 v[2:3], v1 offset1:1
	ds_load_2addr_b32 v[4:5], v1 offset0:2 offset1:3
	s_wait_dscnt 0x1
	v_dual_mov_b32 v3, 0 :: v_dual_add_nc_u32 v2, v3, v2
	s_wait_dscnt 0x0
	s_delay_alu instid0(VALU_DEP_1)
	v_add3_u32 v2, v2, v4, v5
	v_add_nc_u32_e32 v4, 0x1000, v1
	v_add_nc_u32_e32 v1, 0x1008, v1
	global_atomic_add_u64 v0, v[2:3], s[6:7] scale_offset scope:SCOPE_DEV
	ds_load_2addr_b32 v[4:5], v4 offset1:1
	ds_load_2addr_b32 v[6:7], v1 offset1:1
	s_wait_dscnt 0x1
	v_add_nc_u32_e32 v1, v5, v4
	s_wait_dscnt 0x0
	s_wait_xcnt 0x0
	s_delay_alu instid0(VALU_DEP_1)
	v_add3_u32 v2, v1, v6, v7
	global_atomic_add_u64 v0, v[2:3], s[6:7] offset:2048 scale_offset scope:SCOPE_DEV
.LBB2232_164:
	s_endpgm
	.section	.rodata,"a",@progbits
	.p2align	6, 0x0
	.amdhsa_kernel _ZN7rocprim17ROCPRIM_400000_NS6detail17trampoline_kernelINS0_14default_configENS1_35radix_sort_onesweep_config_selectorI6__halfNS0_10empty_typeEEEZNS1_34radix_sort_onesweep_global_offsetsIS3_Lb0EPKS5_PS6_mNS0_19identity_decomposerEEE10hipError_tT1_T2_PT3_SG_jT4_jjP12ihipStream_tbEUlT_E_NS1_11comp_targetILNS1_3genE0ELNS1_11target_archE4294967295ELNS1_3gpuE0ELNS1_3repE0EEENS1_52radix_sort_onesweep_histogram_config_static_selectorELNS0_4arch9wavefront6targetE0EEEvSE_
		.amdhsa_group_segment_fixed_size 8192
		.amdhsa_private_segment_fixed_size 0
		.amdhsa_kernarg_size 48
		.amdhsa_user_sgpr_count 2
		.amdhsa_user_sgpr_dispatch_ptr 0
		.amdhsa_user_sgpr_queue_ptr 0
		.amdhsa_user_sgpr_kernarg_segment_ptr 1
		.amdhsa_user_sgpr_dispatch_id 0
		.amdhsa_user_sgpr_kernarg_preload_length 0
		.amdhsa_user_sgpr_kernarg_preload_offset 0
		.amdhsa_user_sgpr_private_segment_size 0
		.amdhsa_wavefront_size32 1
		.amdhsa_uses_dynamic_stack 0
		.amdhsa_enable_private_segment 0
		.amdhsa_system_sgpr_workgroup_id_x 1
		.amdhsa_system_sgpr_workgroup_id_y 0
		.amdhsa_system_sgpr_workgroup_id_z 0
		.amdhsa_system_sgpr_workgroup_info 0
		.amdhsa_system_vgpr_workitem_id 0
		.amdhsa_next_free_vgpr 28
		.amdhsa_next_free_sgpr 13
		.amdhsa_named_barrier_count 0
		.amdhsa_reserve_vcc 1
		.amdhsa_float_round_mode_32 0
		.amdhsa_float_round_mode_16_64 0
		.amdhsa_float_denorm_mode_32 3
		.amdhsa_float_denorm_mode_16_64 3
		.amdhsa_fp16_overflow 0
		.amdhsa_memory_ordered 1
		.amdhsa_forward_progress 1
		.amdhsa_inst_pref_size 68
		.amdhsa_round_robin_scheduling 0
		.amdhsa_exception_fp_ieee_invalid_op 0
		.amdhsa_exception_fp_denorm_src 0
		.amdhsa_exception_fp_ieee_div_zero 0
		.amdhsa_exception_fp_ieee_overflow 0
		.amdhsa_exception_fp_ieee_underflow 0
		.amdhsa_exception_fp_ieee_inexact 0
		.amdhsa_exception_int_div_zero 0
	.end_amdhsa_kernel
	.section	.text._ZN7rocprim17ROCPRIM_400000_NS6detail17trampoline_kernelINS0_14default_configENS1_35radix_sort_onesweep_config_selectorI6__halfNS0_10empty_typeEEEZNS1_34radix_sort_onesweep_global_offsetsIS3_Lb0EPKS5_PS6_mNS0_19identity_decomposerEEE10hipError_tT1_T2_PT3_SG_jT4_jjP12ihipStream_tbEUlT_E_NS1_11comp_targetILNS1_3genE0ELNS1_11target_archE4294967295ELNS1_3gpuE0ELNS1_3repE0EEENS1_52radix_sort_onesweep_histogram_config_static_selectorELNS0_4arch9wavefront6targetE0EEEvSE_,"axG",@progbits,_ZN7rocprim17ROCPRIM_400000_NS6detail17trampoline_kernelINS0_14default_configENS1_35radix_sort_onesweep_config_selectorI6__halfNS0_10empty_typeEEEZNS1_34radix_sort_onesweep_global_offsetsIS3_Lb0EPKS5_PS6_mNS0_19identity_decomposerEEE10hipError_tT1_T2_PT3_SG_jT4_jjP12ihipStream_tbEUlT_E_NS1_11comp_targetILNS1_3genE0ELNS1_11target_archE4294967295ELNS1_3gpuE0ELNS1_3repE0EEENS1_52radix_sort_onesweep_histogram_config_static_selectorELNS0_4arch9wavefront6targetE0EEEvSE_,comdat
.Lfunc_end2232:
	.size	_ZN7rocprim17ROCPRIM_400000_NS6detail17trampoline_kernelINS0_14default_configENS1_35radix_sort_onesweep_config_selectorI6__halfNS0_10empty_typeEEEZNS1_34radix_sort_onesweep_global_offsetsIS3_Lb0EPKS5_PS6_mNS0_19identity_decomposerEEE10hipError_tT1_T2_PT3_SG_jT4_jjP12ihipStream_tbEUlT_E_NS1_11comp_targetILNS1_3genE0ELNS1_11target_archE4294967295ELNS1_3gpuE0ELNS1_3repE0EEENS1_52radix_sort_onesweep_histogram_config_static_selectorELNS0_4arch9wavefront6targetE0EEEvSE_, .Lfunc_end2232-_ZN7rocprim17ROCPRIM_400000_NS6detail17trampoline_kernelINS0_14default_configENS1_35radix_sort_onesweep_config_selectorI6__halfNS0_10empty_typeEEEZNS1_34radix_sort_onesweep_global_offsetsIS3_Lb0EPKS5_PS6_mNS0_19identity_decomposerEEE10hipError_tT1_T2_PT3_SG_jT4_jjP12ihipStream_tbEUlT_E_NS1_11comp_targetILNS1_3genE0ELNS1_11target_archE4294967295ELNS1_3gpuE0ELNS1_3repE0EEENS1_52radix_sort_onesweep_histogram_config_static_selectorELNS0_4arch9wavefront6targetE0EEEvSE_
                                        ; -- End function
	.set _ZN7rocprim17ROCPRIM_400000_NS6detail17trampoline_kernelINS0_14default_configENS1_35radix_sort_onesweep_config_selectorI6__halfNS0_10empty_typeEEEZNS1_34radix_sort_onesweep_global_offsetsIS3_Lb0EPKS5_PS6_mNS0_19identity_decomposerEEE10hipError_tT1_T2_PT3_SG_jT4_jjP12ihipStream_tbEUlT_E_NS1_11comp_targetILNS1_3genE0ELNS1_11target_archE4294967295ELNS1_3gpuE0ELNS1_3repE0EEENS1_52radix_sort_onesweep_histogram_config_static_selectorELNS0_4arch9wavefront6targetE0EEEvSE_.num_vgpr, 28
	.set _ZN7rocprim17ROCPRIM_400000_NS6detail17trampoline_kernelINS0_14default_configENS1_35radix_sort_onesweep_config_selectorI6__halfNS0_10empty_typeEEEZNS1_34radix_sort_onesweep_global_offsetsIS3_Lb0EPKS5_PS6_mNS0_19identity_decomposerEEE10hipError_tT1_T2_PT3_SG_jT4_jjP12ihipStream_tbEUlT_E_NS1_11comp_targetILNS1_3genE0ELNS1_11target_archE4294967295ELNS1_3gpuE0ELNS1_3repE0EEENS1_52radix_sort_onesweep_histogram_config_static_selectorELNS0_4arch9wavefront6targetE0EEEvSE_.num_agpr, 0
	.set _ZN7rocprim17ROCPRIM_400000_NS6detail17trampoline_kernelINS0_14default_configENS1_35radix_sort_onesweep_config_selectorI6__halfNS0_10empty_typeEEEZNS1_34radix_sort_onesweep_global_offsetsIS3_Lb0EPKS5_PS6_mNS0_19identity_decomposerEEE10hipError_tT1_T2_PT3_SG_jT4_jjP12ihipStream_tbEUlT_E_NS1_11comp_targetILNS1_3genE0ELNS1_11target_archE4294967295ELNS1_3gpuE0ELNS1_3repE0EEENS1_52radix_sort_onesweep_histogram_config_static_selectorELNS0_4arch9wavefront6targetE0EEEvSE_.numbered_sgpr, 13
	.set _ZN7rocprim17ROCPRIM_400000_NS6detail17trampoline_kernelINS0_14default_configENS1_35radix_sort_onesweep_config_selectorI6__halfNS0_10empty_typeEEEZNS1_34radix_sort_onesweep_global_offsetsIS3_Lb0EPKS5_PS6_mNS0_19identity_decomposerEEE10hipError_tT1_T2_PT3_SG_jT4_jjP12ihipStream_tbEUlT_E_NS1_11comp_targetILNS1_3genE0ELNS1_11target_archE4294967295ELNS1_3gpuE0ELNS1_3repE0EEENS1_52radix_sort_onesweep_histogram_config_static_selectorELNS0_4arch9wavefront6targetE0EEEvSE_.num_named_barrier, 0
	.set _ZN7rocprim17ROCPRIM_400000_NS6detail17trampoline_kernelINS0_14default_configENS1_35radix_sort_onesweep_config_selectorI6__halfNS0_10empty_typeEEEZNS1_34radix_sort_onesweep_global_offsetsIS3_Lb0EPKS5_PS6_mNS0_19identity_decomposerEEE10hipError_tT1_T2_PT3_SG_jT4_jjP12ihipStream_tbEUlT_E_NS1_11comp_targetILNS1_3genE0ELNS1_11target_archE4294967295ELNS1_3gpuE0ELNS1_3repE0EEENS1_52radix_sort_onesweep_histogram_config_static_selectorELNS0_4arch9wavefront6targetE0EEEvSE_.private_seg_size, 0
	.set _ZN7rocprim17ROCPRIM_400000_NS6detail17trampoline_kernelINS0_14default_configENS1_35radix_sort_onesweep_config_selectorI6__halfNS0_10empty_typeEEEZNS1_34radix_sort_onesweep_global_offsetsIS3_Lb0EPKS5_PS6_mNS0_19identity_decomposerEEE10hipError_tT1_T2_PT3_SG_jT4_jjP12ihipStream_tbEUlT_E_NS1_11comp_targetILNS1_3genE0ELNS1_11target_archE4294967295ELNS1_3gpuE0ELNS1_3repE0EEENS1_52radix_sort_onesweep_histogram_config_static_selectorELNS0_4arch9wavefront6targetE0EEEvSE_.uses_vcc, 1
	.set _ZN7rocprim17ROCPRIM_400000_NS6detail17trampoline_kernelINS0_14default_configENS1_35radix_sort_onesweep_config_selectorI6__halfNS0_10empty_typeEEEZNS1_34radix_sort_onesweep_global_offsetsIS3_Lb0EPKS5_PS6_mNS0_19identity_decomposerEEE10hipError_tT1_T2_PT3_SG_jT4_jjP12ihipStream_tbEUlT_E_NS1_11comp_targetILNS1_3genE0ELNS1_11target_archE4294967295ELNS1_3gpuE0ELNS1_3repE0EEENS1_52radix_sort_onesweep_histogram_config_static_selectorELNS0_4arch9wavefront6targetE0EEEvSE_.uses_flat_scratch, 0
	.set _ZN7rocprim17ROCPRIM_400000_NS6detail17trampoline_kernelINS0_14default_configENS1_35radix_sort_onesweep_config_selectorI6__halfNS0_10empty_typeEEEZNS1_34radix_sort_onesweep_global_offsetsIS3_Lb0EPKS5_PS6_mNS0_19identity_decomposerEEE10hipError_tT1_T2_PT3_SG_jT4_jjP12ihipStream_tbEUlT_E_NS1_11comp_targetILNS1_3genE0ELNS1_11target_archE4294967295ELNS1_3gpuE0ELNS1_3repE0EEENS1_52radix_sort_onesweep_histogram_config_static_selectorELNS0_4arch9wavefront6targetE0EEEvSE_.has_dyn_sized_stack, 0
	.set _ZN7rocprim17ROCPRIM_400000_NS6detail17trampoline_kernelINS0_14default_configENS1_35radix_sort_onesweep_config_selectorI6__halfNS0_10empty_typeEEEZNS1_34radix_sort_onesweep_global_offsetsIS3_Lb0EPKS5_PS6_mNS0_19identity_decomposerEEE10hipError_tT1_T2_PT3_SG_jT4_jjP12ihipStream_tbEUlT_E_NS1_11comp_targetILNS1_3genE0ELNS1_11target_archE4294967295ELNS1_3gpuE0ELNS1_3repE0EEENS1_52radix_sort_onesweep_histogram_config_static_selectorELNS0_4arch9wavefront6targetE0EEEvSE_.has_recursion, 0
	.set _ZN7rocprim17ROCPRIM_400000_NS6detail17trampoline_kernelINS0_14default_configENS1_35radix_sort_onesweep_config_selectorI6__halfNS0_10empty_typeEEEZNS1_34radix_sort_onesweep_global_offsetsIS3_Lb0EPKS5_PS6_mNS0_19identity_decomposerEEE10hipError_tT1_T2_PT3_SG_jT4_jjP12ihipStream_tbEUlT_E_NS1_11comp_targetILNS1_3genE0ELNS1_11target_archE4294967295ELNS1_3gpuE0ELNS1_3repE0EEENS1_52radix_sort_onesweep_histogram_config_static_selectorELNS0_4arch9wavefront6targetE0EEEvSE_.has_indirect_call, 0
	.section	.AMDGPU.csdata,"",@progbits
; Kernel info:
; codeLenInByte = 8668
; TotalNumSgprs: 15
; NumVgprs: 28
; ScratchSize: 0
; MemoryBound: 0
; FloatMode: 240
; IeeeMode: 1
; LDSByteSize: 8192 bytes/workgroup (compile time only)
; SGPRBlocks: 0
; VGPRBlocks: 1
; NumSGPRsForWavesPerEU: 15
; NumVGPRsForWavesPerEU: 28
; NamedBarCnt: 0
; Occupancy: 16
; WaveLimiterHint : 1
; COMPUTE_PGM_RSRC2:SCRATCH_EN: 0
; COMPUTE_PGM_RSRC2:USER_SGPR: 2
; COMPUTE_PGM_RSRC2:TRAP_HANDLER: 0
; COMPUTE_PGM_RSRC2:TGID_X_EN: 1
; COMPUTE_PGM_RSRC2:TGID_Y_EN: 0
; COMPUTE_PGM_RSRC2:TGID_Z_EN: 0
; COMPUTE_PGM_RSRC2:TIDIG_COMP_CNT: 0
	.section	.text._ZN7rocprim17ROCPRIM_400000_NS6detail17trampoline_kernelINS0_14default_configENS1_35radix_sort_onesweep_config_selectorI6__halfNS0_10empty_typeEEEZNS1_34radix_sort_onesweep_global_offsetsIS3_Lb0EPKS5_PS6_mNS0_19identity_decomposerEEE10hipError_tT1_T2_PT3_SG_jT4_jjP12ihipStream_tbEUlT_E_NS1_11comp_targetILNS1_3genE6ELNS1_11target_archE950ELNS1_3gpuE13ELNS1_3repE0EEENS1_52radix_sort_onesweep_histogram_config_static_selectorELNS0_4arch9wavefront6targetE0EEEvSE_,"axG",@progbits,_ZN7rocprim17ROCPRIM_400000_NS6detail17trampoline_kernelINS0_14default_configENS1_35radix_sort_onesweep_config_selectorI6__halfNS0_10empty_typeEEEZNS1_34radix_sort_onesweep_global_offsetsIS3_Lb0EPKS5_PS6_mNS0_19identity_decomposerEEE10hipError_tT1_T2_PT3_SG_jT4_jjP12ihipStream_tbEUlT_E_NS1_11comp_targetILNS1_3genE6ELNS1_11target_archE950ELNS1_3gpuE13ELNS1_3repE0EEENS1_52radix_sort_onesweep_histogram_config_static_selectorELNS0_4arch9wavefront6targetE0EEEvSE_,comdat
	.protected	_ZN7rocprim17ROCPRIM_400000_NS6detail17trampoline_kernelINS0_14default_configENS1_35radix_sort_onesweep_config_selectorI6__halfNS0_10empty_typeEEEZNS1_34radix_sort_onesweep_global_offsetsIS3_Lb0EPKS5_PS6_mNS0_19identity_decomposerEEE10hipError_tT1_T2_PT3_SG_jT4_jjP12ihipStream_tbEUlT_E_NS1_11comp_targetILNS1_3genE6ELNS1_11target_archE950ELNS1_3gpuE13ELNS1_3repE0EEENS1_52radix_sort_onesweep_histogram_config_static_selectorELNS0_4arch9wavefront6targetE0EEEvSE_ ; -- Begin function _ZN7rocprim17ROCPRIM_400000_NS6detail17trampoline_kernelINS0_14default_configENS1_35radix_sort_onesweep_config_selectorI6__halfNS0_10empty_typeEEEZNS1_34radix_sort_onesweep_global_offsetsIS3_Lb0EPKS5_PS6_mNS0_19identity_decomposerEEE10hipError_tT1_T2_PT3_SG_jT4_jjP12ihipStream_tbEUlT_E_NS1_11comp_targetILNS1_3genE6ELNS1_11target_archE950ELNS1_3gpuE13ELNS1_3repE0EEENS1_52radix_sort_onesweep_histogram_config_static_selectorELNS0_4arch9wavefront6targetE0EEEvSE_
	.globl	_ZN7rocprim17ROCPRIM_400000_NS6detail17trampoline_kernelINS0_14default_configENS1_35radix_sort_onesweep_config_selectorI6__halfNS0_10empty_typeEEEZNS1_34radix_sort_onesweep_global_offsetsIS3_Lb0EPKS5_PS6_mNS0_19identity_decomposerEEE10hipError_tT1_T2_PT3_SG_jT4_jjP12ihipStream_tbEUlT_E_NS1_11comp_targetILNS1_3genE6ELNS1_11target_archE950ELNS1_3gpuE13ELNS1_3repE0EEENS1_52radix_sort_onesweep_histogram_config_static_selectorELNS0_4arch9wavefront6targetE0EEEvSE_
	.p2align	8
	.type	_ZN7rocprim17ROCPRIM_400000_NS6detail17trampoline_kernelINS0_14default_configENS1_35radix_sort_onesweep_config_selectorI6__halfNS0_10empty_typeEEEZNS1_34radix_sort_onesweep_global_offsetsIS3_Lb0EPKS5_PS6_mNS0_19identity_decomposerEEE10hipError_tT1_T2_PT3_SG_jT4_jjP12ihipStream_tbEUlT_E_NS1_11comp_targetILNS1_3genE6ELNS1_11target_archE950ELNS1_3gpuE13ELNS1_3repE0EEENS1_52radix_sort_onesweep_histogram_config_static_selectorELNS0_4arch9wavefront6targetE0EEEvSE_,@function
_ZN7rocprim17ROCPRIM_400000_NS6detail17trampoline_kernelINS0_14default_configENS1_35radix_sort_onesweep_config_selectorI6__halfNS0_10empty_typeEEEZNS1_34radix_sort_onesweep_global_offsetsIS3_Lb0EPKS5_PS6_mNS0_19identity_decomposerEEE10hipError_tT1_T2_PT3_SG_jT4_jjP12ihipStream_tbEUlT_E_NS1_11comp_targetILNS1_3genE6ELNS1_11target_archE950ELNS1_3gpuE13ELNS1_3repE0EEENS1_52radix_sort_onesweep_histogram_config_static_selectorELNS0_4arch9wavefront6targetE0EEEvSE_: ; @_ZN7rocprim17ROCPRIM_400000_NS6detail17trampoline_kernelINS0_14default_configENS1_35radix_sort_onesweep_config_selectorI6__halfNS0_10empty_typeEEEZNS1_34radix_sort_onesweep_global_offsetsIS3_Lb0EPKS5_PS6_mNS0_19identity_decomposerEEE10hipError_tT1_T2_PT3_SG_jT4_jjP12ihipStream_tbEUlT_E_NS1_11comp_targetILNS1_3genE6ELNS1_11target_archE950ELNS1_3gpuE13ELNS1_3repE0EEENS1_52radix_sort_onesweep_histogram_config_static_selectorELNS0_4arch9wavefront6targetE0EEEvSE_
; %bb.0:
	.section	.rodata,"a",@progbits
	.p2align	6, 0x0
	.amdhsa_kernel _ZN7rocprim17ROCPRIM_400000_NS6detail17trampoline_kernelINS0_14default_configENS1_35radix_sort_onesweep_config_selectorI6__halfNS0_10empty_typeEEEZNS1_34radix_sort_onesweep_global_offsetsIS3_Lb0EPKS5_PS6_mNS0_19identity_decomposerEEE10hipError_tT1_T2_PT3_SG_jT4_jjP12ihipStream_tbEUlT_E_NS1_11comp_targetILNS1_3genE6ELNS1_11target_archE950ELNS1_3gpuE13ELNS1_3repE0EEENS1_52radix_sort_onesweep_histogram_config_static_selectorELNS0_4arch9wavefront6targetE0EEEvSE_
		.amdhsa_group_segment_fixed_size 0
		.amdhsa_private_segment_fixed_size 0
		.amdhsa_kernarg_size 48
		.amdhsa_user_sgpr_count 2
		.amdhsa_user_sgpr_dispatch_ptr 0
		.amdhsa_user_sgpr_queue_ptr 0
		.amdhsa_user_sgpr_kernarg_segment_ptr 1
		.amdhsa_user_sgpr_dispatch_id 0
		.amdhsa_user_sgpr_kernarg_preload_length 0
		.amdhsa_user_sgpr_kernarg_preload_offset 0
		.amdhsa_user_sgpr_private_segment_size 0
		.amdhsa_wavefront_size32 1
		.amdhsa_uses_dynamic_stack 0
		.amdhsa_enable_private_segment 0
		.amdhsa_system_sgpr_workgroup_id_x 1
		.amdhsa_system_sgpr_workgroup_id_y 0
		.amdhsa_system_sgpr_workgroup_id_z 0
		.amdhsa_system_sgpr_workgroup_info 0
		.amdhsa_system_vgpr_workitem_id 0
		.amdhsa_next_free_vgpr 1
		.amdhsa_next_free_sgpr 1
		.amdhsa_named_barrier_count 0
		.amdhsa_reserve_vcc 0
		.amdhsa_float_round_mode_32 0
		.amdhsa_float_round_mode_16_64 0
		.amdhsa_float_denorm_mode_32 3
		.amdhsa_float_denorm_mode_16_64 3
		.amdhsa_fp16_overflow 0
		.amdhsa_memory_ordered 1
		.amdhsa_forward_progress 1
		.amdhsa_inst_pref_size 0
		.amdhsa_round_robin_scheduling 0
		.amdhsa_exception_fp_ieee_invalid_op 0
		.amdhsa_exception_fp_denorm_src 0
		.amdhsa_exception_fp_ieee_div_zero 0
		.amdhsa_exception_fp_ieee_overflow 0
		.amdhsa_exception_fp_ieee_underflow 0
		.amdhsa_exception_fp_ieee_inexact 0
		.amdhsa_exception_int_div_zero 0
	.end_amdhsa_kernel
	.section	.text._ZN7rocprim17ROCPRIM_400000_NS6detail17trampoline_kernelINS0_14default_configENS1_35radix_sort_onesweep_config_selectorI6__halfNS0_10empty_typeEEEZNS1_34radix_sort_onesweep_global_offsetsIS3_Lb0EPKS5_PS6_mNS0_19identity_decomposerEEE10hipError_tT1_T2_PT3_SG_jT4_jjP12ihipStream_tbEUlT_E_NS1_11comp_targetILNS1_3genE6ELNS1_11target_archE950ELNS1_3gpuE13ELNS1_3repE0EEENS1_52radix_sort_onesweep_histogram_config_static_selectorELNS0_4arch9wavefront6targetE0EEEvSE_,"axG",@progbits,_ZN7rocprim17ROCPRIM_400000_NS6detail17trampoline_kernelINS0_14default_configENS1_35radix_sort_onesweep_config_selectorI6__halfNS0_10empty_typeEEEZNS1_34radix_sort_onesweep_global_offsetsIS3_Lb0EPKS5_PS6_mNS0_19identity_decomposerEEE10hipError_tT1_T2_PT3_SG_jT4_jjP12ihipStream_tbEUlT_E_NS1_11comp_targetILNS1_3genE6ELNS1_11target_archE950ELNS1_3gpuE13ELNS1_3repE0EEENS1_52radix_sort_onesweep_histogram_config_static_selectorELNS0_4arch9wavefront6targetE0EEEvSE_,comdat
.Lfunc_end2233:
	.size	_ZN7rocprim17ROCPRIM_400000_NS6detail17trampoline_kernelINS0_14default_configENS1_35radix_sort_onesweep_config_selectorI6__halfNS0_10empty_typeEEEZNS1_34radix_sort_onesweep_global_offsetsIS3_Lb0EPKS5_PS6_mNS0_19identity_decomposerEEE10hipError_tT1_T2_PT3_SG_jT4_jjP12ihipStream_tbEUlT_E_NS1_11comp_targetILNS1_3genE6ELNS1_11target_archE950ELNS1_3gpuE13ELNS1_3repE0EEENS1_52radix_sort_onesweep_histogram_config_static_selectorELNS0_4arch9wavefront6targetE0EEEvSE_, .Lfunc_end2233-_ZN7rocprim17ROCPRIM_400000_NS6detail17trampoline_kernelINS0_14default_configENS1_35radix_sort_onesweep_config_selectorI6__halfNS0_10empty_typeEEEZNS1_34radix_sort_onesweep_global_offsetsIS3_Lb0EPKS5_PS6_mNS0_19identity_decomposerEEE10hipError_tT1_T2_PT3_SG_jT4_jjP12ihipStream_tbEUlT_E_NS1_11comp_targetILNS1_3genE6ELNS1_11target_archE950ELNS1_3gpuE13ELNS1_3repE0EEENS1_52radix_sort_onesweep_histogram_config_static_selectorELNS0_4arch9wavefront6targetE0EEEvSE_
                                        ; -- End function
	.set _ZN7rocprim17ROCPRIM_400000_NS6detail17trampoline_kernelINS0_14default_configENS1_35radix_sort_onesweep_config_selectorI6__halfNS0_10empty_typeEEEZNS1_34radix_sort_onesweep_global_offsetsIS3_Lb0EPKS5_PS6_mNS0_19identity_decomposerEEE10hipError_tT1_T2_PT3_SG_jT4_jjP12ihipStream_tbEUlT_E_NS1_11comp_targetILNS1_3genE6ELNS1_11target_archE950ELNS1_3gpuE13ELNS1_3repE0EEENS1_52radix_sort_onesweep_histogram_config_static_selectorELNS0_4arch9wavefront6targetE0EEEvSE_.num_vgpr, 0
	.set _ZN7rocprim17ROCPRIM_400000_NS6detail17trampoline_kernelINS0_14default_configENS1_35radix_sort_onesweep_config_selectorI6__halfNS0_10empty_typeEEEZNS1_34radix_sort_onesweep_global_offsetsIS3_Lb0EPKS5_PS6_mNS0_19identity_decomposerEEE10hipError_tT1_T2_PT3_SG_jT4_jjP12ihipStream_tbEUlT_E_NS1_11comp_targetILNS1_3genE6ELNS1_11target_archE950ELNS1_3gpuE13ELNS1_3repE0EEENS1_52radix_sort_onesweep_histogram_config_static_selectorELNS0_4arch9wavefront6targetE0EEEvSE_.num_agpr, 0
	.set _ZN7rocprim17ROCPRIM_400000_NS6detail17trampoline_kernelINS0_14default_configENS1_35radix_sort_onesweep_config_selectorI6__halfNS0_10empty_typeEEEZNS1_34radix_sort_onesweep_global_offsetsIS3_Lb0EPKS5_PS6_mNS0_19identity_decomposerEEE10hipError_tT1_T2_PT3_SG_jT4_jjP12ihipStream_tbEUlT_E_NS1_11comp_targetILNS1_3genE6ELNS1_11target_archE950ELNS1_3gpuE13ELNS1_3repE0EEENS1_52radix_sort_onesweep_histogram_config_static_selectorELNS0_4arch9wavefront6targetE0EEEvSE_.numbered_sgpr, 0
	.set _ZN7rocprim17ROCPRIM_400000_NS6detail17trampoline_kernelINS0_14default_configENS1_35radix_sort_onesweep_config_selectorI6__halfNS0_10empty_typeEEEZNS1_34radix_sort_onesweep_global_offsetsIS3_Lb0EPKS5_PS6_mNS0_19identity_decomposerEEE10hipError_tT1_T2_PT3_SG_jT4_jjP12ihipStream_tbEUlT_E_NS1_11comp_targetILNS1_3genE6ELNS1_11target_archE950ELNS1_3gpuE13ELNS1_3repE0EEENS1_52radix_sort_onesweep_histogram_config_static_selectorELNS0_4arch9wavefront6targetE0EEEvSE_.num_named_barrier, 0
	.set _ZN7rocprim17ROCPRIM_400000_NS6detail17trampoline_kernelINS0_14default_configENS1_35radix_sort_onesweep_config_selectorI6__halfNS0_10empty_typeEEEZNS1_34radix_sort_onesweep_global_offsetsIS3_Lb0EPKS5_PS6_mNS0_19identity_decomposerEEE10hipError_tT1_T2_PT3_SG_jT4_jjP12ihipStream_tbEUlT_E_NS1_11comp_targetILNS1_3genE6ELNS1_11target_archE950ELNS1_3gpuE13ELNS1_3repE0EEENS1_52radix_sort_onesweep_histogram_config_static_selectorELNS0_4arch9wavefront6targetE0EEEvSE_.private_seg_size, 0
	.set _ZN7rocprim17ROCPRIM_400000_NS6detail17trampoline_kernelINS0_14default_configENS1_35radix_sort_onesweep_config_selectorI6__halfNS0_10empty_typeEEEZNS1_34radix_sort_onesweep_global_offsetsIS3_Lb0EPKS5_PS6_mNS0_19identity_decomposerEEE10hipError_tT1_T2_PT3_SG_jT4_jjP12ihipStream_tbEUlT_E_NS1_11comp_targetILNS1_3genE6ELNS1_11target_archE950ELNS1_3gpuE13ELNS1_3repE0EEENS1_52radix_sort_onesweep_histogram_config_static_selectorELNS0_4arch9wavefront6targetE0EEEvSE_.uses_vcc, 0
	.set _ZN7rocprim17ROCPRIM_400000_NS6detail17trampoline_kernelINS0_14default_configENS1_35radix_sort_onesweep_config_selectorI6__halfNS0_10empty_typeEEEZNS1_34radix_sort_onesweep_global_offsetsIS3_Lb0EPKS5_PS6_mNS0_19identity_decomposerEEE10hipError_tT1_T2_PT3_SG_jT4_jjP12ihipStream_tbEUlT_E_NS1_11comp_targetILNS1_3genE6ELNS1_11target_archE950ELNS1_3gpuE13ELNS1_3repE0EEENS1_52radix_sort_onesweep_histogram_config_static_selectorELNS0_4arch9wavefront6targetE0EEEvSE_.uses_flat_scratch, 0
	.set _ZN7rocprim17ROCPRIM_400000_NS6detail17trampoline_kernelINS0_14default_configENS1_35radix_sort_onesweep_config_selectorI6__halfNS0_10empty_typeEEEZNS1_34radix_sort_onesweep_global_offsetsIS3_Lb0EPKS5_PS6_mNS0_19identity_decomposerEEE10hipError_tT1_T2_PT3_SG_jT4_jjP12ihipStream_tbEUlT_E_NS1_11comp_targetILNS1_3genE6ELNS1_11target_archE950ELNS1_3gpuE13ELNS1_3repE0EEENS1_52radix_sort_onesweep_histogram_config_static_selectorELNS0_4arch9wavefront6targetE0EEEvSE_.has_dyn_sized_stack, 0
	.set _ZN7rocprim17ROCPRIM_400000_NS6detail17trampoline_kernelINS0_14default_configENS1_35radix_sort_onesweep_config_selectorI6__halfNS0_10empty_typeEEEZNS1_34radix_sort_onesweep_global_offsetsIS3_Lb0EPKS5_PS6_mNS0_19identity_decomposerEEE10hipError_tT1_T2_PT3_SG_jT4_jjP12ihipStream_tbEUlT_E_NS1_11comp_targetILNS1_3genE6ELNS1_11target_archE950ELNS1_3gpuE13ELNS1_3repE0EEENS1_52radix_sort_onesweep_histogram_config_static_selectorELNS0_4arch9wavefront6targetE0EEEvSE_.has_recursion, 0
	.set _ZN7rocprim17ROCPRIM_400000_NS6detail17trampoline_kernelINS0_14default_configENS1_35radix_sort_onesweep_config_selectorI6__halfNS0_10empty_typeEEEZNS1_34radix_sort_onesweep_global_offsetsIS3_Lb0EPKS5_PS6_mNS0_19identity_decomposerEEE10hipError_tT1_T2_PT3_SG_jT4_jjP12ihipStream_tbEUlT_E_NS1_11comp_targetILNS1_3genE6ELNS1_11target_archE950ELNS1_3gpuE13ELNS1_3repE0EEENS1_52radix_sort_onesweep_histogram_config_static_selectorELNS0_4arch9wavefront6targetE0EEEvSE_.has_indirect_call, 0
	.section	.AMDGPU.csdata,"",@progbits
; Kernel info:
; codeLenInByte = 0
; TotalNumSgprs: 0
; NumVgprs: 0
; ScratchSize: 0
; MemoryBound: 0
; FloatMode: 240
; IeeeMode: 1
; LDSByteSize: 0 bytes/workgroup (compile time only)
; SGPRBlocks: 0
; VGPRBlocks: 0
; NumSGPRsForWavesPerEU: 1
; NumVGPRsForWavesPerEU: 1
; NamedBarCnt: 0
; Occupancy: 16
; WaveLimiterHint : 0
; COMPUTE_PGM_RSRC2:SCRATCH_EN: 0
; COMPUTE_PGM_RSRC2:USER_SGPR: 2
; COMPUTE_PGM_RSRC2:TRAP_HANDLER: 0
; COMPUTE_PGM_RSRC2:TGID_X_EN: 1
; COMPUTE_PGM_RSRC2:TGID_Y_EN: 0
; COMPUTE_PGM_RSRC2:TGID_Z_EN: 0
; COMPUTE_PGM_RSRC2:TIDIG_COMP_CNT: 0
	.section	.text._ZN7rocprim17ROCPRIM_400000_NS6detail17trampoline_kernelINS0_14default_configENS1_35radix_sort_onesweep_config_selectorI6__halfNS0_10empty_typeEEEZNS1_34radix_sort_onesweep_global_offsetsIS3_Lb0EPKS5_PS6_mNS0_19identity_decomposerEEE10hipError_tT1_T2_PT3_SG_jT4_jjP12ihipStream_tbEUlT_E_NS1_11comp_targetILNS1_3genE5ELNS1_11target_archE942ELNS1_3gpuE9ELNS1_3repE0EEENS1_52radix_sort_onesweep_histogram_config_static_selectorELNS0_4arch9wavefront6targetE0EEEvSE_,"axG",@progbits,_ZN7rocprim17ROCPRIM_400000_NS6detail17trampoline_kernelINS0_14default_configENS1_35radix_sort_onesweep_config_selectorI6__halfNS0_10empty_typeEEEZNS1_34radix_sort_onesweep_global_offsetsIS3_Lb0EPKS5_PS6_mNS0_19identity_decomposerEEE10hipError_tT1_T2_PT3_SG_jT4_jjP12ihipStream_tbEUlT_E_NS1_11comp_targetILNS1_3genE5ELNS1_11target_archE942ELNS1_3gpuE9ELNS1_3repE0EEENS1_52radix_sort_onesweep_histogram_config_static_selectorELNS0_4arch9wavefront6targetE0EEEvSE_,comdat
	.protected	_ZN7rocprim17ROCPRIM_400000_NS6detail17trampoline_kernelINS0_14default_configENS1_35radix_sort_onesweep_config_selectorI6__halfNS0_10empty_typeEEEZNS1_34radix_sort_onesweep_global_offsetsIS3_Lb0EPKS5_PS6_mNS0_19identity_decomposerEEE10hipError_tT1_T2_PT3_SG_jT4_jjP12ihipStream_tbEUlT_E_NS1_11comp_targetILNS1_3genE5ELNS1_11target_archE942ELNS1_3gpuE9ELNS1_3repE0EEENS1_52radix_sort_onesweep_histogram_config_static_selectorELNS0_4arch9wavefront6targetE0EEEvSE_ ; -- Begin function _ZN7rocprim17ROCPRIM_400000_NS6detail17trampoline_kernelINS0_14default_configENS1_35radix_sort_onesweep_config_selectorI6__halfNS0_10empty_typeEEEZNS1_34radix_sort_onesweep_global_offsetsIS3_Lb0EPKS5_PS6_mNS0_19identity_decomposerEEE10hipError_tT1_T2_PT3_SG_jT4_jjP12ihipStream_tbEUlT_E_NS1_11comp_targetILNS1_3genE5ELNS1_11target_archE942ELNS1_3gpuE9ELNS1_3repE0EEENS1_52radix_sort_onesweep_histogram_config_static_selectorELNS0_4arch9wavefront6targetE0EEEvSE_
	.globl	_ZN7rocprim17ROCPRIM_400000_NS6detail17trampoline_kernelINS0_14default_configENS1_35radix_sort_onesweep_config_selectorI6__halfNS0_10empty_typeEEEZNS1_34radix_sort_onesweep_global_offsetsIS3_Lb0EPKS5_PS6_mNS0_19identity_decomposerEEE10hipError_tT1_T2_PT3_SG_jT4_jjP12ihipStream_tbEUlT_E_NS1_11comp_targetILNS1_3genE5ELNS1_11target_archE942ELNS1_3gpuE9ELNS1_3repE0EEENS1_52radix_sort_onesweep_histogram_config_static_selectorELNS0_4arch9wavefront6targetE0EEEvSE_
	.p2align	8
	.type	_ZN7rocprim17ROCPRIM_400000_NS6detail17trampoline_kernelINS0_14default_configENS1_35radix_sort_onesweep_config_selectorI6__halfNS0_10empty_typeEEEZNS1_34radix_sort_onesweep_global_offsetsIS3_Lb0EPKS5_PS6_mNS0_19identity_decomposerEEE10hipError_tT1_T2_PT3_SG_jT4_jjP12ihipStream_tbEUlT_E_NS1_11comp_targetILNS1_3genE5ELNS1_11target_archE942ELNS1_3gpuE9ELNS1_3repE0EEENS1_52radix_sort_onesweep_histogram_config_static_selectorELNS0_4arch9wavefront6targetE0EEEvSE_,@function
_ZN7rocprim17ROCPRIM_400000_NS6detail17trampoline_kernelINS0_14default_configENS1_35radix_sort_onesweep_config_selectorI6__halfNS0_10empty_typeEEEZNS1_34radix_sort_onesweep_global_offsetsIS3_Lb0EPKS5_PS6_mNS0_19identity_decomposerEEE10hipError_tT1_T2_PT3_SG_jT4_jjP12ihipStream_tbEUlT_E_NS1_11comp_targetILNS1_3genE5ELNS1_11target_archE942ELNS1_3gpuE9ELNS1_3repE0EEENS1_52radix_sort_onesweep_histogram_config_static_selectorELNS0_4arch9wavefront6targetE0EEEvSE_: ; @_ZN7rocprim17ROCPRIM_400000_NS6detail17trampoline_kernelINS0_14default_configENS1_35radix_sort_onesweep_config_selectorI6__halfNS0_10empty_typeEEEZNS1_34radix_sort_onesweep_global_offsetsIS3_Lb0EPKS5_PS6_mNS0_19identity_decomposerEEE10hipError_tT1_T2_PT3_SG_jT4_jjP12ihipStream_tbEUlT_E_NS1_11comp_targetILNS1_3genE5ELNS1_11target_archE942ELNS1_3gpuE9ELNS1_3repE0EEENS1_52radix_sort_onesweep_histogram_config_static_selectorELNS0_4arch9wavefront6targetE0EEEvSE_
; %bb.0:
	.section	.rodata,"a",@progbits
	.p2align	6, 0x0
	.amdhsa_kernel _ZN7rocprim17ROCPRIM_400000_NS6detail17trampoline_kernelINS0_14default_configENS1_35radix_sort_onesweep_config_selectorI6__halfNS0_10empty_typeEEEZNS1_34radix_sort_onesweep_global_offsetsIS3_Lb0EPKS5_PS6_mNS0_19identity_decomposerEEE10hipError_tT1_T2_PT3_SG_jT4_jjP12ihipStream_tbEUlT_E_NS1_11comp_targetILNS1_3genE5ELNS1_11target_archE942ELNS1_3gpuE9ELNS1_3repE0EEENS1_52radix_sort_onesweep_histogram_config_static_selectorELNS0_4arch9wavefront6targetE0EEEvSE_
		.amdhsa_group_segment_fixed_size 0
		.amdhsa_private_segment_fixed_size 0
		.amdhsa_kernarg_size 48
		.amdhsa_user_sgpr_count 2
		.amdhsa_user_sgpr_dispatch_ptr 0
		.amdhsa_user_sgpr_queue_ptr 0
		.amdhsa_user_sgpr_kernarg_segment_ptr 1
		.amdhsa_user_sgpr_dispatch_id 0
		.amdhsa_user_sgpr_kernarg_preload_length 0
		.amdhsa_user_sgpr_kernarg_preload_offset 0
		.amdhsa_user_sgpr_private_segment_size 0
		.amdhsa_wavefront_size32 1
		.amdhsa_uses_dynamic_stack 0
		.amdhsa_enable_private_segment 0
		.amdhsa_system_sgpr_workgroup_id_x 1
		.amdhsa_system_sgpr_workgroup_id_y 0
		.amdhsa_system_sgpr_workgroup_id_z 0
		.amdhsa_system_sgpr_workgroup_info 0
		.amdhsa_system_vgpr_workitem_id 0
		.amdhsa_next_free_vgpr 1
		.amdhsa_next_free_sgpr 1
		.amdhsa_named_barrier_count 0
		.amdhsa_reserve_vcc 0
		.amdhsa_float_round_mode_32 0
		.amdhsa_float_round_mode_16_64 0
		.amdhsa_float_denorm_mode_32 3
		.amdhsa_float_denorm_mode_16_64 3
		.amdhsa_fp16_overflow 0
		.amdhsa_memory_ordered 1
		.amdhsa_forward_progress 1
		.amdhsa_inst_pref_size 0
		.amdhsa_round_robin_scheduling 0
		.amdhsa_exception_fp_ieee_invalid_op 0
		.amdhsa_exception_fp_denorm_src 0
		.amdhsa_exception_fp_ieee_div_zero 0
		.amdhsa_exception_fp_ieee_overflow 0
		.amdhsa_exception_fp_ieee_underflow 0
		.amdhsa_exception_fp_ieee_inexact 0
		.amdhsa_exception_int_div_zero 0
	.end_amdhsa_kernel
	.section	.text._ZN7rocprim17ROCPRIM_400000_NS6detail17trampoline_kernelINS0_14default_configENS1_35radix_sort_onesweep_config_selectorI6__halfNS0_10empty_typeEEEZNS1_34radix_sort_onesweep_global_offsetsIS3_Lb0EPKS5_PS6_mNS0_19identity_decomposerEEE10hipError_tT1_T2_PT3_SG_jT4_jjP12ihipStream_tbEUlT_E_NS1_11comp_targetILNS1_3genE5ELNS1_11target_archE942ELNS1_3gpuE9ELNS1_3repE0EEENS1_52radix_sort_onesweep_histogram_config_static_selectorELNS0_4arch9wavefront6targetE0EEEvSE_,"axG",@progbits,_ZN7rocprim17ROCPRIM_400000_NS6detail17trampoline_kernelINS0_14default_configENS1_35radix_sort_onesweep_config_selectorI6__halfNS0_10empty_typeEEEZNS1_34radix_sort_onesweep_global_offsetsIS3_Lb0EPKS5_PS6_mNS0_19identity_decomposerEEE10hipError_tT1_T2_PT3_SG_jT4_jjP12ihipStream_tbEUlT_E_NS1_11comp_targetILNS1_3genE5ELNS1_11target_archE942ELNS1_3gpuE9ELNS1_3repE0EEENS1_52radix_sort_onesweep_histogram_config_static_selectorELNS0_4arch9wavefront6targetE0EEEvSE_,comdat
.Lfunc_end2234:
	.size	_ZN7rocprim17ROCPRIM_400000_NS6detail17trampoline_kernelINS0_14default_configENS1_35radix_sort_onesweep_config_selectorI6__halfNS0_10empty_typeEEEZNS1_34radix_sort_onesweep_global_offsetsIS3_Lb0EPKS5_PS6_mNS0_19identity_decomposerEEE10hipError_tT1_T2_PT3_SG_jT4_jjP12ihipStream_tbEUlT_E_NS1_11comp_targetILNS1_3genE5ELNS1_11target_archE942ELNS1_3gpuE9ELNS1_3repE0EEENS1_52radix_sort_onesweep_histogram_config_static_selectorELNS0_4arch9wavefront6targetE0EEEvSE_, .Lfunc_end2234-_ZN7rocprim17ROCPRIM_400000_NS6detail17trampoline_kernelINS0_14default_configENS1_35radix_sort_onesweep_config_selectorI6__halfNS0_10empty_typeEEEZNS1_34radix_sort_onesweep_global_offsetsIS3_Lb0EPKS5_PS6_mNS0_19identity_decomposerEEE10hipError_tT1_T2_PT3_SG_jT4_jjP12ihipStream_tbEUlT_E_NS1_11comp_targetILNS1_3genE5ELNS1_11target_archE942ELNS1_3gpuE9ELNS1_3repE0EEENS1_52radix_sort_onesweep_histogram_config_static_selectorELNS0_4arch9wavefront6targetE0EEEvSE_
                                        ; -- End function
	.set _ZN7rocprim17ROCPRIM_400000_NS6detail17trampoline_kernelINS0_14default_configENS1_35radix_sort_onesweep_config_selectorI6__halfNS0_10empty_typeEEEZNS1_34radix_sort_onesweep_global_offsetsIS3_Lb0EPKS5_PS6_mNS0_19identity_decomposerEEE10hipError_tT1_T2_PT3_SG_jT4_jjP12ihipStream_tbEUlT_E_NS1_11comp_targetILNS1_3genE5ELNS1_11target_archE942ELNS1_3gpuE9ELNS1_3repE0EEENS1_52radix_sort_onesweep_histogram_config_static_selectorELNS0_4arch9wavefront6targetE0EEEvSE_.num_vgpr, 0
	.set _ZN7rocprim17ROCPRIM_400000_NS6detail17trampoline_kernelINS0_14default_configENS1_35radix_sort_onesweep_config_selectorI6__halfNS0_10empty_typeEEEZNS1_34radix_sort_onesweep_global_offsetsIS3_Lb0EPKS5_PS6_mNS0_19identity_decomposerEEE10hipError_tT1_T2_PT3_SG_jT4_jjP12ihipStream_tbEUlT_E_NS1_11comp_targetILNS1_3genE5ELNS1_11target_archE942ELNS1_3gpuE9ELNS1_3repE0EEENS1_52radix_sort_onesweep_histogram_config_static_selectorELNS0_4arch9wavefront6targetE0EEEvSE_.num_agpr, 0
	.set _ZN7rocprim17ROCPRIM_400000_NS6detail17trampoline_kernelINS0_14default_configENS1_35radix_sort_onesweep_config_selectorI6__halfNS0_10empty_typeEEEZNS1_34radix_sort_onesweep_global_offsetsIS3_Lb0EPKS5_PS6_mNS0_19identity_decomposerEEE10hipError_tT1_T2_PT3_SG_jT4_jjP12ihipStream_tbEUlT_E_NS1_11comp_targetILNS1_3genE5ELNS1_11target_archE942ELNS1_3gpuE9ELNS1_3repE0EEENS1_52radix_sort_onesweep_histogram_config_static_selectorELNS0_4arch9wavefront6targetE0EEEvSE_.numbered_sgpr, 0
	.set _ZN7rocprim17ROCPRIM_400000_NS6detail17trampoline_kernelINS0_14default_configENS1_35radix_sort_onesweep_config_selectorI6__halfNS0_10empty_typeEEEZNS1_34radix_sort_onesweep_global_offsetsIS3_Lb0EPKS5_PS6_mNS0_19identity_decomposerEEE10hipError_tT1_T2_PT3_SG_jT4_jjP12ihipStream_tbEUlT_E_NS1_11comp_targetILNS1_3genE5ELNS1_11target_archE942ELNS1_3gpuE9ELNS1_3repE0EEENS1_52radix_sort_onesweep_histogram_config_static_selectorELNS0_4arch9wavefront6targetE0EEEvSE_.num_named_barrier, 0
	.set _ZN7rocprim17ROCPRIM_400000_NS6detail17trampoline_kernelINS0_14default_configENS1_35radix_sort_onesweep_config_selectorI6__halfNS0_10empty_typeEEEZNS1_34radix_sort_onesweep_global_offsetsIS3_Lb0EPKS5_PS6_mNS0_19identity_decomposerEEE10hipError_tT1_T2_PT3_SG_jT4_jjP12ihipStream_tbEUlT_E_NS1_11comp_targetILNS1_3genE5ELNS1_11target_archE942ELNS1_3gpuE9ELNS1_3repE0EEENS1_52radix_sort_onesweep_histogram_config_static_selectorELNS0_4arch9wavefront6targetE0EEEvSE_.private_seg_size, 0
	.set _ZN7rocprim17ROCPRIM_400000_NS6detail17trampoline_kernelINS0_14default_configENS1_35radix_sort_onesweep_config_selectorI6__halfNS0_10empty_typeEEEZNS1_34radix_sort_onesweep_global_offsetsIS3_Lb0EPKS5_PS6_mNS0_19identity_decomposerEEE10hipError_tT1_T2_PT3_SG_jT4_jjP12ihipStream_tbEUlT_E_NS1_11comp_targetILNS1_3genE5ELNS1_11target_archE942ELNS1_3gpuE9ELNS1_3repE0EEENS1_52radix_sort_onesweep_histogram_config_static_selectorELNS0_4arch9wavefront6targetE0EEEvSE_.uses_vcc, 0
	.set _ZN7rocprim17ROCPRIM_400000_NS6detail17trampoline_kernelINS0_14default_configENS1_35radix_sort_onesweep_config_selectorI6__halfNS0_10empty_typeEEEZNS1_34radix_sort_onesweep_global_offsetsIS3_Lb0EPKS5_PS6_mNS0_19identity_decomposerEEE10hipError_tT1_T2_PT3_SG_jT4_jjP12ihipStream_tbEUlT_E_NS1_11comp_targetILNS1_3genE5ELNS1_11target_archE942ELNS1_3gpuE9ELNS1_3repE0EEENS1_52radix_sort_onesweep_histogram_config_static_selectorELNS0_4arch9wavefront6targetE0EEEvSE_.uses_flat_scratch, 0
	.set _ZN7rocprim17ROCPRIM_400000_NS6detail17trampoline_kernelINS0_14default_configENS1_35radix_sort_onesweep_config_selectorI6__halfNS0_10empty_typeEEEZNS1_34radix_sort_onesweep_global_offsetsIS3_Lb0EPKS5_PS6_mNS0_19identity_decomposerEEE10hipError_tT1_T2_PT3_SG_jT4_jjP12ihipStream_tbEUlT_E_NS1_11comp_targetILNS1_3genE5ELNS1_11target_archE942ELNS1_3gpuE9ELNS1_3repE0EEENS1_52radix_sort_onesweep_histogram_config_static_selectorELNS0_4arch9wavefront6targetE0EEEvSE_.has_dyn_sized_stack, 0
	.set _ZN7rocprim17ROCPRIM_400000_NS6detail17trampoline_kernelINS0_14default_configENS1_35radix_sort_onesweep_config_selectorI6__halfNS0_10empty_typeEEEZNS1_34radix_sort_onesweep_global_offsetsIS3_Lb0EPKS5_PS6_mNS0_19identity_decomposerEEE10hipError_tT1_T2_PT3_SG_jT4_jjP12ihipStream_tbEUlT_E_NS1_11comp_targetILNS1_3genE5ELNS1_11target_archE942ELNS1_3gpuE9ELNS1_3repE0EEENS1_52radix_sort_onesweep_histogram_config_static_selectorELNS0_4arch9wavefront6targetE0EEEvSE_.has_recursion, 0
	.set _ZN7rocprim17ROCPRIM_400000_NS6detail17trampoline_kernelINS0_14default_configENS1_35radix_sort_onesweep_config_selectorI6__halfNS0_10empty_typeEEEZNS1_34radix_sort_onesweep_global_offsetsIS3_Lb0EPKS5_PS6_mNS0_19identity_decomposerEEE10hipError_tT1_T2_PT3_SG_jT4_jjP12ihipStream_tbEUlT_E_NS1_11comp_targetILNS1_3genE5ELNS1_11target_archE942ELNS1_3gpuE9ELNS1_3repE0EEENS1_52radix_sort_onesweep_histogram_config_static_selectorELNS0_4arch9wavefront6targetE0EEEvSE_.has_indirect_call, 0
	.section	.AMDGPU.csdata,"",@progbits
; Kernel info:
; codeLenInByte = 0
; TotalNumSgprs: 0
; NumVgprs: 0
; ScratchSize: 0
; MemoryBound: 0
; FloatMode: 240
; IeeeMode: 1
; LDSByteSize: 0 bytes/workgroup (compile time only)
; SGPRBlocks: 0
; VGPRBlocks: 0
; NumSGPRsForWavesPerEU: 1
; NumVGPRsForWavesPerEU: 1
; NamedBarCnt: 0
; Occupancy: 16
; WaveLimiterHint : 0
; COMPUTE_PGM_RSRC2:SCRATCH_EN: 0
; COMPUTE_PGM_RSRC2:USER_SGPR: 2
; COMPUTE_PGM_RSRC2:TRAP_HANDLER: 0
; COMPUTE_PGM_RSRC2:TGID_X_EN: 1
; COMPUTE_PGM_RSRC2:TGID_Y_EN: 0
; COMPUTE_PGM_RSRC2:TGID_Z_EN: 0
; COMPUTE_PGM_RSRC2:TIDIG_COMP_CNT: 0
	.section	.text._ZN7rocprim17ROCPRIM_400000_NS6detail17trampoline_kernelINS0_14default_configENS1_35radix_sort_onesweep_config_selectorI6__halfNS0_10empty_typeEEEZNS1_34radix_sort_onesweep_global_offsetsIS3_Lb0EPKS5_PS6_mNS0_19identity_decomposerEEE10hipError_tT1_T2_PT3_SG_jT4_jjP12ihipStream_tbEUlT_E_NS1_11comp_targetILNS1_3genE2ELNS1_11target_archE906ELNS1_3gpuE6ELNS1_3repE0EEENS1_52radix_sort_onesweep_histogram_config_static_selectorELNS0_4arch9wavefront6targetE0EEEvSE_,"axG",@progbits,_ZN7rocprim17ROCPRIM_400000_NS6detail17trampoline_kernelINS0_14default_configENS1_35radix_sort_onesweep_config_selectorI6__halfNS0_10empty_typeEEEZNS1_34radix_sort_onesweep_global_offsetsIS3_Lb0EPKS5_PS6_mNS0_19identity_decomposerEEE10hipError_tT1_T2_PT3_SG_jT4_jjP12ihipStream_tbEUlT_E_NS1_11comp_targetILNS1_3genE2ELNS1_11target_archE906ELNS1_3gpuE6ELNS1_3repE0EEENS1_52radix_sort_onesweep_histogram_config_static_selectorELNS0_4arch9wavefront6targetE0EEEvSE_,comdat
	.protected	_ZN7rocprim17ROCPRIM_400000_NS6detail17trampoline_kernelINS0_14default_configENS1_35radix_sort_onesweep_config_selectorI6__halfNS0_10empty_typeEEEZNS1_34radix_sort_onesweep_global_offsetsIS3_Lb0EPKS5_PS6_mNS0_19identity_decomposerEEE10hipError_tT1_T2_PT3_SG_jT4_jjP12ihipStream_tbEUlT_E_NS1_11comp_targetILNS1_3genE2ELNS1_11target_archE906ELNS1_3gpuE6ELNS1_3repE0EEENS1_52radix_sort_onesweep_histogram_config_static_selectorELNS0_4arch9wavefront6targetE0EEEvSE_ ; -- Begin function _ZN7rocprim17ROCPRIM_400000_NS6detail17trampoline_kernelINS0_14default_configENS1_35radix_sort_onesweep_config_selectorI6__halfNS0_10empty_typeEEEZNS1_34radix_sort_onesweep_global_offsetsIS3_Lb0EPKS5_PS6_mNS0_19identity_decomposerEEE10hipError_tT1_T2_PT3_SG_jT4_jjP12ihipStream_tbEUlT_E_NS1_11comp_targetILNS1_3genE2ELNS1_11target_archE906ELNS1_3gpuE6ELNS1_3repE0EEENS1_52radix_sort_onesweep_histogram_config_static_selectorELNS0_4arch9wavefront6targetE0EEEvSE_
	.globl	_ZN7rocprim17ROCPRIM_400000_NS6detail17trampoline_kernelINS0_14default_configENS1_35radix_sort_onesweep_config_selectorI6__halfNS0_10empty_typeEEEZNS1_34radix_sort_onesweep_global_offsetsIS3_Lb0EPKS5_PS6_mNS0_19identity_decomposerEEE10hipError_tT1_T2_PT3_SG_jT4_jjP12ihipStream_tbEUlT_E_NS1_11comp_targetILNS1_3genE2ELNS1_11target_archE906ELNS1_3gpuE6ELNS1_3repE0EEENS1_52radix_sort_onesweep_histogram_config_static_selectorELNS0_4arch9wavefront6targetE0EEEvSE_
	.p2align	8
	.type	_ZN7rocprim17ROCPRIM_400000_NS6detail17trampoline_kernelINS0_14default_configENS1_35radix_sort_onesweep_config_selectorI6__halfNS0_10empty_typeEEEZNS1_34radix_sort_onesweep_global_offsetsIS3_Lb0EPKS5_PS6_mNS0_19identity_decomposerEEE10hipError_tT1_T2_PT3_SG_jT4_jjP12ihipStream_tbEUlT_E_NS1_11comp_targetILNS1_3genE2ELNS1_11target_archE906ELNS1_3gpuE6ELNS1_3repE0EEENS1_52radix_sort_onesweep_histogram_config_static_selectorELNS0_4arch9wavefront6targetE0EEEvSE_,@function
_ZN7rocprim17ROCPRIM_400000_NS6detail17trampoline_kernelINS0_14default_configENS1_35radix_sort_onesweep_config_selectorI6__halfNS0_10empty_typeEEEZNS1_34radix_sort_onesweep_global_offsetsIS3_Lb0EPKS5_PS6_mNS0_19identity_decomposerEEE10hipError_tT1_T2_PT3_SG_jT4_jjP12ihipStream_tbEUlT_E_NS1_11comp_targetILNS1_3genE2ELNS1_11target_archE906ELNS1_3gpuE6ELNS1_3repE0EEENS1_52radix_sort_onesweep_histogram_config_static_selectorELNS0_4arch9wavefront6targetE0EEEvSE_: ; @_ZN7rocprim17ROCPRIM_400000_NS6detail17trampoline_kernelINS0_14default_configENS1_35radix_sort_onesweep_config_selectorI6__halfNS0_10empty_typeEEEZNS1_34radix_sort_onesweep_global_offsetsIS3_Lb0EPKS5_PS6_mNS0_19identity_decomposerEEE10hipError_tT1_T2_PT3_SG_jT4_jjP12ihipStream_tbEUlT_E_NS1_11comp_targetILNS1_3genE2ELNS1_11target_archE906ELNS1_3gpuE6ELNS1_3repE0EEENS1_52radix_sort_onesweep_histogram_config_static_selectorELNS0_4arch9wavefront6targetE0EEEvSE_
; %bb.0:
	.section	.rodata,"a",@progbits
	.p2align	6, 0x0
	.amdhsa_kernel _ZN7rocprim17ROCPRIM_400000_NS6detail17trampoline_kernelINS0_14default_configENS1_35radix_sort_onesweep_config_selectorI6__halfNS0_10empty_typeEEEZNS1_34radix_sort_onesweep_global_offsetsIS3_Lb0EPKS5_PS6_mNS0_19identity_decomposerEEE10hipError_tT1_T2_PT3_SG_jT4_jjP12ihipStream_tbEUlT_E_NS1_11comp_targetILNS1_3genE2ELNS1_11target_archE906ELNS1_3gpuE6ELNS1_3repE0EEENS1_52radix_sort_onesweep_histogram_config_static_selectorELNS0_4arch9wavefront6targetE0EEEvSE_
		.amdhsa_group_segment_fixed_size 0
		.amdhsa_private_segment_fixed_size 0
		.amdhsa_kernarg_size 48
		.amdhsa_user_sgpr_count 2
		.amdhsa_user_sgpr_dispatch_ptr 0
		.amdhsa_user_sgpr_queue_ptr 0
		.amdhsa_user_sgpr_kernarg_segment_ptr 1
		.amdhsa_user_sgpr_dispatch_id 0
		.amdhsa_user_sgpr_kernarg_preload_length 0
		.amdhsa_user_sgpr_kernarg_preload_offset 0
		.amdhsa_user_sgpr_private_segment_size 0
		.amdhsa_wavefront_size32 1
		.amdhsa_uses_dynamic_stack 0
		.amdhsa_enable_private_segment 0
		.amdhsa_system_sgpr_workgroup_id_x 1
		.amdhsa_system_sgpr_workgroup_id_y 0
		.amdhsa_system_sgpr_workgroup_id_z 0
		.amdhsa_system_sgpr_workgroup_info 0
		.amdhsa_system_vgpr_workitem_id 0
		.amdhsa_next_free_vgpr 1
		.amdhsa_next_free_sgpr 1
		.amdhsa_named_barrier_count 0
		.amdhsa_reserve_vcc 0
		.amdhsa_float_round_mode_32 0
		.amdhsa_float_round_mode_16_64 0
		.amdhsa_float_denorm_mode_32 3
		.amdhsa_float_denorm_mode_16_64 3
		.amdhsa_fp16_overflow 0
		.amdhsa_memory_ordered 1
		.amdhsa_forward_progress 1
		.amdhsa_inst_pref_size 0
		.amdhsa_round_robin_scheduling 0
		.amdhsa_exception_fp_ieee_invalid_op 0
		.amdhsa_exception_fp_denorm_src 0
		.amdhsa_exception_fp_ieee_div_zero 0
		.amdhsa_exception_fp_ieee_overflow 0
		.amdhsa_exception_fp_ieee_underflow 0
		.amdhsa_exception_fp_ieee_inexact 0
		.amdhsa_exception_int_div_zero 0
	.end_amdhsa_kernel
	.section	.text._ZN7rocprim17ROCPRIM_400000_NS6detail17trampoline_kernelINS0_14default_configENS1_35radix_sort_onesweep_config_selectorI6__halfNS0_10empty_typeEEEZNS1_34radix_sort_onesweep_global_offsetsIS3_Lb0EPKS5_PS6_mNS0_19identity_decomposerEEE10hipError_tT1_T2_PT3_SG_jT4_jjP12ihipStream_tbEUlT_E_NS1_11comp_targetILNS1_3genE2ELNS1_11target_archE906ELNS1_3gpuE6ELNS1_3repE0EEENS1_52radix_sort_onesweep_histogram_config_static_selectorELNS0_4arch9wavefront6targetE0EEEvSE_,"axG",@progbits,_ZN7rocprim17ROCPRIM_400000_NS6detail17trampoline_kernelINS0_14default_configENS1_35radix_sort_onesweep_config_selectorI6__halfNS0_10empty_typeEEEZNS1_34radix_sort_onesweep_global_offsetsIS3_Lb0EPKS5_PS6_mNS0_19identity_decomposerEEE10hipError_tT1_T2_PT3_SG_jT4_jjP12ihipStream_tbEUlT_E_NS1_11comp_targetILNS1_3genE2ELNS1_11target_archE906ELNS1_3gpuE6ELNS1_3repE0EEENS1_52radix_sort_onesweep_histogram_config_static_selectorELNS0_4arch9wavefront6targetE0EEEvSE_,comdat
.Lfunc_end2235:
	.size	_ZN7rocprim17ROCPRIM_400000_NS6detail17trampoline_kernelINS0_14default_configENS1_35radix_sort_onesweep_config_selectorI6__halfNS0_10empty_typeEEEZNS1_34radix_sort_onesweep_global_offsetsIS3_Lb0EPKS5_PS6_mNS0_19identity_decomposerEEE10hipError_tT1_T2_PT3_SG_jT4_jjP12ihipStream_tbEUlT_E_NS1_11comp_targetILNS1_3genE2ELNS1_11target_archE906ELNS1_3gpuE6ELNS1_3repE0EEENS1_52radix_sort_onesweep_histogram_config_static_selectorELNS0_4arch9wavefront6targetE0EEEvSE_, .Lfunc_end2235-_ZN7rocprim17ROCPRIM_400000_NS6detail17trampoline_kernelINS0_14default_configENS1_35radix_sort_onesweep_config_selectorI6__halfNS0_10empty_typeEEEZNS1_34radix_sort_onesweep_global_offsetsIS3_Lb0EPKS5_PS6_mNS0_19identity_decomposerEEE10hipError_tT1_T2_PT3_SG_jT4_jjP12ihipStream_tbEUlT_E_NS1_11comp_targetILNS1_3genE2ELNS1_11target_archE906ELNS1_3gpuE6ELNS1_3repE0EEENS1_52radix_sort_onesweep_histogram_config_static_selectorELNS0_4arch9wavefront6targetE0EEEvSE_
                                        ; -- End function
	.set _ZN7rocprim17ROCPRIM_400000_NS6detail17trampoline_kernelINS0_14default_configENS1_35radix_sort_onesweep_config_selectorI6__halfNS0_10empty_typeEEEZNS1_34radix_sort_onesweep_global_offsetsIS3_Lb0EPKS5_PS6_mNS0_19identity_decomposerEEE10hipError_tT1_T2_PT3_SG_jT4_jjP12ihipStream_tbEUlT_E_NS1_11comp_targetILNS1_3genE2ELNS1_11target_archE906ELNS1_3gpuE6ELNS1_3repE0EEENS1_52radix_sort_onesweep_histogram_config_static_selectorELNS0_4arch9wavefront6targetE0EEEvSE_.num_vgpr, 0
	.set _ZN7rocprim17ROCPRIM_400000_NS6detail17trampoline_kernelINS0_14default_configENS1_35radix_sort_onesweep_config_selectorI6__halfNS0_10empty_typeEEEZNS1_34radix_sort_onesweep_global_offsetsIS3_Lb0EPKS5_PS6_mNS0_19identity_decomposerEEE10hipError_tT1_T2_PT3_SG_jT4_jjP12ihipStream_tbEUlT_E_NS1_11comp_targetILNS1_3genE2ELNS1_11target_archE906ELNS1_3gpuE6ELNS1_3repE0EEENS1_52radix_sort_onesweep_histogram_config_static_selectorELNS0_4arch9wavefront6targetE0EEEvSE_.num_agpr, 0
	.set _ZN7rocprim17ROCPRIM_400000_NS6detail17trampoline_kernelINS0_14default_configENS1_35radix_sort_onesweep_config_selectorI6__halfNS0_10empty_typeEEEZNS1_34radix_sort_onesweep_global_offsetsIS3_Lb0EPKS5_PS6_mNS0_19identity_decomposerEEE10hipError_tT1_T2_PT3_SG_jT4_jjP12ihipStream_tbEUlT_E_NS1_11comp_targetILNS1_3genE2ELNS1_11target_archE906ELNS1_3gpuE6ELNS1_3repE0EEENS1_52radix_sort_onesweep_histogram_config_static_selectorELNS0_4arch9wavefront6targetE0EEEvSE_.numbered_sgpr, 0
	.set _ZN7rocprim17ROCPRIM_400000_NS6detail17trampoline_kernelINS0_14default_configENS1_35radix_sort_onesweep_config_selectorI6__halfNS0_10empty_typeEEEZNS1_34radix_sort_onesweep_global_offsetsIS3_Lb0EPKS5_PS6_mNS0_19identity_decomposerEEE10hipError_tT1_T2_PT3_SG_jT4_jjP12ihipStream_tbEUlT_E_NS1_11comp_targetILNS1_3genE2ELNS1_11target_archE906ELNS1_3gpuE6ELNS1_3repE0EEENS1_52radix_sort_onesweep_histogram_config_static_selectorELNS0_4arch9wavefront6targetE0EEEvSE_.num_named_barrier, 0
	.set _ZN7rocprim17ROCPRIM_400000_NS6detail17trampoline_kernelINS0_14default_configENS1_35radix_sort_onesweep_config_selectorI6__halfNS0_10empty_typeEEEZNS1_34radix_sort_onesweep_global_offsetsIS3_Lb0EPKS5_PS6_mNS0_19identity_decomposerEEE10hipError_tT1_T2_PT3_SG_jT4_jjP12ihipStream_tbEUlT_E_NS1_11comp_targetILNS1_3genE2ELNS1_11target_archE906ELNS1_3gpuE6ELNS1_3repE0EEENS1_52radix_sort_onesweep_histogram_config_static_selectorELNS0_4arch9wavefront6targetE0EEEvSE_.private_seg_size, 0
	.set _ZN7rocprim17ROCPRIM_400000_NS6detail17trampoline_kernelINS0_14default_configENS1_35radix_sort_onesweep_config_selectorI6__halfNS0_10empty_typeEEEZNS1_34radix_sort_onesweep_global_offsetsIS3_Lb0EPKS5_PS6_mNS0_19identity_decomposerEEE10hipError_tT1_T2_PT3_SG_jT4_jjP12ihipStream_tbEUlT_E_NS1_11comp_targetILNS1_3genE2ELNS1_11target_archE906ELNS1_3gpuE6ELNS1_3repE0EEENS1_52radix_sort_onesweep_histogram_config_static_selectorELNS0_4arch9wavefront6targetE0EEEvSE_.uses_vcc, 0
	.set _ZN7rocprim17ROCPRIM_400000_NS6detail17trampoline_kernelINS0_14default_configENS1_35radix_sort_onesweep_config_selectorI6__halfNS0_10empty_typeEEEZNS1_34radix_sort_onesweep_global_offsetsIS3_Lb0EPKS5_PS6_mNS0_19identity_decomposerEEE10hipError_tT1_T2_PT3_SG_jT4_jjP12ihipStream_tbEUlT_E_NS1_11comp_targetILNS1_3genE2ELNS1_11target_archE906ELNS1_3gpuE6ELNS1_3repE0EEENS1_52radix_sort_onesweep_histogram_config_static_selectorELNS0_4arch9wavefront6targetE0EEEvSE_.uses_flat_scratch, 0
	.set _ZN7rocprim17ROCPRIM_400000_NS6detail17trampoline_kernelINS0_14default_configENS1_35radix_sort_onesweep_config_selectorI6__halfNS0_10empty_typeEEEZNS1_34radix_sort_onesweep_global_offsetsIS3_Lb0EPKS5_PS6_mNS0_19identity_decomposerEEE10hipError_tT1_T2_PT3_SG_jT4_jjP12ihipStream_tbEUlT_E_NS1_11comp_targetILNS1_3genE2ELNS1_11target_archE906ELNS1_3gpuE6ELNS1_3repE0EEENS1_52radix_sort_onesweep_histogram_config_static_selectorELNS0_4arch9wavefront6targetE0EEEvSE_.has_dyn_sized_stack, 0
	.set _ZN7rocprim17ROCPRIM_400000_NS6detail17trampoline_kernelINS0_14default_configENS1_35radix_sort_onesweep_config_selectorI6__halfNS0_10empty_typeEEEZNS1_34radix_sort_onesweep_global_offsetsIS3_Lb0EPKS5_PS6_mNS0_19identity_decomposerEEE10hipError_tT1_T2_PT3_SG_jT4_jjP12ihipStream_tbEUlT_E_NS1_11comp_targetILNS1_3genE2ELNS1_11target_archE906ELNS1_3gpuE6ELNS1_3repE0EEENS1_52radix_sort_onesweep_histogram_config_static_selectorELNS0_4arch9wavefront6targetE0EEEvSE_.has_recursion, 0
	.set _ZN7rocprim17ROCPRIM_400000_NS6detail17trampoline_kernelINS0_14default_configENS1_35radix_sort_onesweep_config_selectorI6__halfNS0_10empty_typeEEEZNS1_34radix_sort_onesweep_global_offsetsIS3_Lb0EPKS5_PS6_mNS0_19identity_decomposerEEE10hipError_tT1_T2_PT3_SG_jT4_jjP12ihipStream_tbEUlT_E_NS1_11comp_targetILNS1_3genE2ELNS1_11target_archE906ELNS1_3gpuE6ELNS1_3repE0EEENS1_52radix_sort_onesweep_histogram_config_static_selectorELNS0_4arch9wavefront6targetE0EEEvSE_.has_indirect_call, 0
	.section	.AMDGPU.csdata,"",@progbits
; Kernel info:
; codeLenInByte = 0
; TotalNumSgprs: 0
; NumVgprs: 0
; ScratchSize: 0
; MemoryBound: 0
; FloatMode: 240
; IeeeMode: 1
; LDSByteSize: 0 bytes/workgroup (compile time only)
; SGPRBlocks: 0
; VGPRBlocks: 0
; NumSGPRsForWavesPerEU: 1
; NumVGPRsForWavesPerEU: 1
; NamedBarCnt: 0
; Occupancy: 16
; WaveLimiterHint : 0
; COMPUTE_PGM_RSRC2:SCRATCH_EN: 0
; COMPUTE_PGM_RSRC2:USER_SGPR: 2
; COMPUTE_PGM_RSRC2:TRAP_HANDLER: 0
; COMPUTE_PGM_RSRC2:TGID_X_EN: 1
; COMPUTE_PGM_RSRC2:TGID_Y_EN: 0
; COMPUTE_PGM_RSRC2:TGID_Z_EN: 0
; COMPUTE_PGM_RSRC2:TIDIG_COMP_CNT: 0
	.section	.text._ZN7rocprim17ROCPRIM_400000_NS6detail17trampoline_kernelINS0_14default_configENS1_35radix_sort_onesweep_config_selectorI6__halfNS0_10empty_typeEEEZNS1_34radix_sort_onesweep_global_offsetsIS3_Lb0EPKS5_PS6_mNS0_19identity_decomposerEEE10hipError_tT1_T2_PT3_SG_jT4_jjP12ihipStream_tbEUlT_E_NS1_11comp_targetILNS1_3genE4ELNS1_11target_archE910ELNS1_3gpuE8ELNS1_3repE0EEENS1_52radix_sort_onesweep_histogram_config_static_selectorELNS0_4arch9wavefront6targetE0EEEvSE_,"axG",@progbits,_ZN7rocprim17ROCPRIM_400000_NS6detail17trampoline_kernelINS0_14default_configENS1_35radix_sort_onesweep_config_selectorI6__halfNS0_10empty_typeEEEZNS1_34radix_sort_onesweep_global_offsetsIS3_Lb0EPKS5_PS6_mNS0_19identity_decomposerEEE10hipError_tT1_T2_PT3_SG_jT4_jjP12ihipStream_tbEUlT_E_NS1_11comp_targetILNS1_3genE4ELNS1_11target_archE910ELNS1_3gpuE8ELNS1_3repE0EEENS1_52radix_sort_onesweep_histogram_config_static_selectorELNS0_4arch9wavefront6targetE0EEEvSE_,comdat
	.protected	_ZN7rocprim17ROCPRIM_400000_NS6detail17trampoline_kernelINS0_14default_configENS1_35radix_sort_onesweep_config_selectorI6__halfNS0_10empty_typeEEEZNS1_34radix_sort_onesweep_global_offsetsIS3_Lb0EPKS5_PS6_mNS0_19identity_decomposerEEE10hipError_tT1_T2_PT3_SG_jT4_jjP12ihipStream_tbEUlT_E_NS1_11comp_targetILNS1_3genE4ELNS1_11target_archE910ELNS1_3gpuE8ELNS1_3repE0EEENS1_52radix_sort_onesweep_histogram_config_static_selectorELNS0_4arch9wavefront6targetE0EEEvSE_ ; -- Begin function _ZN7rocprim17ROCPRIM_400000_NS6detail17trampoline_kernelINS0_14default_configENS1_35radix_sort_onesweep_config_selectorI6__halfNS0_10empty_typeEEEZNS1_34radix_sort_onesweep_global_offsetsIS3_Lb0EPKS5_PS6_mNS0_19identity_decomposerEEE10hipError_tT1_T2_PT3_SG_jT4_jjP12ihipStream_tbEUlT_E_NS1_11comp_targetILNS1_3genE4ELNS1_11target_archE910ELNS1_3gpuE8ELNS1_3repE0EEENS1_52radix_sort_onesweep_histogram_config_static_selectorELNS0_4arch9wavefront6targetE0EEEvSE_
	.globl	_ZN7rocprim17ROCPRIM_400000_NS6detail17trampoline_kernelINS0_14default_configENS1_35radix_sort_onesweep_config_selectorI6__halfNS0_10empty_typeEEEZNS1_34radix_sort_onesweep_global_offsetsIS3_Lb0EPKS5_PS6_mNS0_19identity_decomposerEEE10hipError_tT1_T2_PT3_SG_jT4_jjP12ihipStream_tbEUlT_E_NS1_11comp_targetILNS1_3genE4ELNS1_11target_archE910ELNS1_3gpuE8ELNS1_3repE0EEENS1_52radix_sort_onesweep_histogram_config_static_selectorELNS0_4arch9wavefront6targetE0EEEvSE_
	.p2align	8
	.type	_ZN7rocprim17ROCPRIM_400000_NS6detail17trampoline_kernelINS0_14default_configENS1_35radix_sort_onesweep_config_selectorI6__halfNS0_10empty_typeEEEZNS1_34radix_sort_onesweep_global_offsetsIS3_Lb0EPKS5_PS6_mNS0_19identity_decomposerEEE10hipError_tT1_T2_PT3_SG_jT4_jjP12ihipStream_tbEUlT_E_NS1_11comp_targetILNS1_3genE4ELNS1_11target_archE910ELNS1_3gpuE8ELNS1_3repE0EEENS1_52radix_sort_onesweep_histogram_config_static_selectorELNS0_4arch9wavefront6targetE0EEEvSE_,@function
_ZN7rocprim17ROCPRIM_400000_NS6detail17trampoline_kernelINS0_14default_configENS1_35radix_sort_onesweep_config_selectorI6__halfNS0_10empty_typeEEEZNS1_34radix_sort_onesweep_global_offsetsIS3_Lb0EPKS5_PS6_mNS0_19identity_decomposerEEE10hipError_tT1_T2_PT3_SG_jT4_jjP12ihipStream_tbEUlT_E_NS1_11comp_targetILNS1_3genE4ELNS1_11target_archE910ELNS1_3gpuE8ELNS1_3repE0EEENS1_52radix_sort_onesweep_histogram_config_static_selectorELNS0_4arch9wavefront6targetE0EEEvSE_: ; @_ZN7rocprim17ROCPRIM_400000_NS6detail17trampoline_kernelINS0_14default_configENS1_35radix_sort_onesweep_config_selectorI6__halfNS0_10empty_typeEEEZNS1_34radix_sort_onesweep_global_offsetsIS3_Lb0EPKS5_PS6_mNS0_19identity_decomposerEEE10hipError_tT1_T2_PT3_SG_jT4_jjP12ihipStream_tbEUlT_E_NS1_11comp_targetILNS1_3genE4ELNS1_11target_archE910ELNS1_3gpuE8ELNS1_3repE0EEENS1_52radix_sort_onesweep_histogram_config_static_selectorELNS0_4arch9wavefront6targetE0EEEvSE_
; %bb.0:
	.section	.rodata,"a",@progbits
	.p2align	6, 0x0
	.amdhsa_kernel _ZN7rocprim17ROCPRIM_400000_NS6detail17trampoline_kernelINS0_14default_configENS1_35radix_sort_onesweep_config_selectorI6__halfNS0_10empty_typeEEEZNS1_34radix_sort_onesweep_global_offsetsIS3_Lb0EPKS5_PS6_mNS0_19identity_decomposerEEE10hipError_tT1_T2_PT3_SG_jT4_jjP12ihipStream_tbEUlT_E_NS1_11comp_targetILNS1_3genE4ELNS1_11target_archE910ELNS1_3gpuE8ELNS1_3repE0EEENS1_52radix_sort_onesweep_histogram_config_static_selectorELNS0_4arch9wavefront6targetE0EEEvSE_
		.amdhsa_group_segment_fixed_size 0
		.amdhsa_private_segment_fixed_size 0
		.amdhsa_kernarg_size 48
		.amdhsa_user_sgpr_count 2
		.amdhsa_user_sgpr_dispatch_ptr 0
		.amdhsa_user_sgpr_queue_ptr 0
		.amdhsa_user_sgpr_kernarg_segment_ptr 1
		.amdhsa_user_sgpr_dispatch_id 0
		.amdhsa_user_sgpr_kernarg_preload_length 0
		.amdhsa_user_sgpr_kernarg_preload_offset 0
		.amdhsa_user_sgpr_private_segment_size 0
		.amdhsa_wavefront_size32 1
		.amdhsa_uses_dynamic_stack 0
		.amdhsa_enable_private_segment 0
		.amdhsa_system_sgpr_workgroup_id_x 1
		.amdhsa_system_sgpr_workgroup_id_y 0
		.amdhsa_system_sgpr_workgroup_id_z 0
		.amdhsa_system_sgpr_workgroup_info 0
		.amdhsa_system_vgpr_workitem_id 0
		.amdhsa_next_free_vgpr 1
		.amdhsa_next_free_sgpr 1
		.amdhsa_named_barrier_count 0
		.amdhsa_reserve_vcc 0
		.amdhsa_float_round_mode_32 0
		.amdhsa_float_round_mode_16_64 0
		.amdhsa_float_denorm_mode_32 3
		.amdhsa_float_denorm_mode_16_64 3
		.amdhsa_fp16_overflow 0
		.amdhsa_memory_ordered 1
		.amdhsa_forward_progress 1
		.amdhsa_inst_pref_size 0
		.amdhsa_round_robin_scheduling 0
		.amdhsa_exception_fp_ieee_invalid_op 0
		.amdhsa_exception_fp_denorm_src 0
		.amdhsa_exception_fp_ieee_div_zero 0
		.amdhsa_exception_fp_ieee_overflow 0
		.amdhsa_exception_fp_ieee_underflow 0
		.amdhsa_exception_fp_ieee_inexact 0
		.amdhsa_exception_int_div_zero 0
	.end_amdhsa_kernel
	.section	.text._ZN7rocprim17ROCPRIM_400000_NS6detail17trampoline_kernelINS0_14default_configENS1_35radix_sort_onesweep_config_selectorI6__halfNS0_10empty_typeEEEZNS1_34radix_sort_onesweep_global_offsetsIS3_Lb0EPKS5_PS6_mNS0_19identity_decomposerEEE10hipError_tT1_T2_PT3_SG_jT4_jjP12ihipStream_tbEUlT_E_NS1_11comp_targetILNS1_3genE4ELNS1_11target_archE910ELNS1_3gpuE8ELNS1_3repE0EEENS1_52radix_sort_onesweep_histogram_config_static_selectorELNS0_4arch9wavefront6targetE0EEEvSE_,"axG",@progbits,_ZN7rocprim17ROCPRIM_400000_NS6detail17trampoline_kernelINS0_14default_configENS1_35radix_sort_onesweep_config_selectorI6__halfNS0_10empty_typeEEEZNS1_34radix_sort_onesweep_global_offsetsIS3_Lb0EPKS5_PS6_mNS0_19identity_decomposerEEE10hipError_tT1_T2_PT3_SG_jT4_jjP12ihipStream_tbEUlT_E_NS1_11comp_targetILNS1_3genE4ELNS1_11target_archE910ELNS1_3gpuE8ELNS1_3repE0EEENS1_52radix_sort_onesweep_histogram_config_static_selectorELNS0_4arch9wavefront6targetE0EEEvSE_,comdat
.Lfunc_end2236:
	.size	_ZN7rocprim17ROCPRIM_400000_NS6detail17trampoline_kernelINS0_14default_configENS1_35radix_sort_onesweep_config_selectorI6__halfNS0_10empty_typeEEEZNS1_34radix_sort_onesweep_global_offsetsIS3_Lb0EPKS5_PS6_mNS0_19identity_decomposerEEE10hipError_tT1_T2_PT3_SG_jT4_jjP12ihipStream_tbEUlT_E_NS1_11comp_targetILNS1_3genE4ELNS1_11target_archE910ELNS1_3gpuE8ELNS1_3repE0EEENS1_52radix_sort_onesweep_histogram_config_static_selectorELNS0_4arch9wavefront6targetE0EEEvSE_, .Lfunc_end2236-_ZN7rocprim17ROCPRIM_400000_NS6detail17trampoline_kernelINS0_14default_configENS1_35radix_sort_onesweep_config_selectorI6__halfNS0_10empty_typeEEEZNS1_34radix_sort_onesweep_global_offsetsIS3_Lb0EPKS5_PS6_mNS0_19identity_decomposerEEE10hipError_tT1_T2_PT3_SG_jT4_jjP12ihipStream_tbEUlT_E_NS1_11comp_targetILNS1_3genE4ELNS1_11target_archE910ELNS1_3gpuE8ELNS1_3repE0EEENS1_52radix_sort_onesweep_histogram_config_static_selectorELNS0_4arch9wavefront6targetE0EEEvSE_
                                        ; -- End function
	.set _ZN7rocprim17ROCPRIM_400000_NS6detail17trampoline_kernelINS0_14default_configENS1_35radix_sort_onesweep_config_selectorI6__halfNS0_10empty_typeEEEZNS1_34radix_sort_onesweep_global_offsetsIS3_Lb0EPKS5_PS6_mNS0_19identity_decomposerEEE10hipError_tT1_T2_PT3_SG_jT4_jjP12ihipStream_tbEUlT_E_NS1_11comp_targetILNS1_3genE4ELNS1_11target_archE910ELNS1_3gpuE8ELNS1_3repE0EEENS1_52radix_sort_onesweep_histogram_config_static_selectorELNS0_4arch9wavefront6targetE0EEEvSE_.num_vgpr, 0
	.set _ZN7rocprim17ROCPRIM_400000_NS6detail17trampoline_kernelINS0_14default_configENS1_35radix_sort_onesweep_config_selectorI6__halfNS0_10empty_typeEEEZNS1_34radix_sort_onesweep_global_offsetsIS3_Lb0EPKS5_PS6_mNS0_19identity_decomposerEEE10hipError_tT1_T2_PT3_SG_jT4_jjP12ihipStream_tbEUlT_E_NS1_11comp_targetILNS1_3genE4ELNS1_11target_archE910ELNS1_3gpuE8ELNS1_3repE0EEENS1_52radix_sort_onesweep_histogram_config_static_selectorELNS0_4arch9wavefront6targetE0EEEvSE_.num_agpr, 0
	.set _ZN7rocprim17ROCPRIM_400000_NS6detail17trampoline_kernelINS0_14default_configENS1_35radix_sort_onesweep_config_selectorI6__halfNS0_10empty_typeEEEZNS1_34radix_sort_onesweep_global_offsetsIS3_Lb0EPKS5_PS6_mNS0_19identity_decomposerEEE10hipError_tT1_T2_PT3_SG_jT4_jjP12ihipStream_tbEUlT_E_NS1_11comp_targetILNS1_3genE4ELNS1_11target_archE910ELNS1_3gpuE8ELNS1_3repE0EEENS1_52radix_sort_onesweep_histogram_config_static_selectorELNS0_4arch9wavefront6targetE0EEEvSE_.numbered_sgpr, 0
	.set _ZN7rocprim17ROCPRIM_400000_NS6detail17trampoline_kernelINS0_14default_configENS1_35radix_sort_onesweep_config_selectorI6__halfNS0_10empty_typeEEEZNS1_34radix_sort_onesweep_global_offsetsIS3_Lb0EPKS5_PS6_mNS0_19identity_decomposerEEE10hipError_tT1_T2_PT3_SG_jT4_jjP12ihipStream_tbEUlT_E_NS1_11comp_targetILNS1_3genE4ELNS1_11target_archE910ELNS1_3gpuE8ELNS1_3repE0EEENS1_52radix_sort_onesweep_histogram_config_static_selectorELNS0_4arch9wavefront6targetE0EEEvSE_.num_named_barrier, 0
	.set _ZN7rocprim17ROCPRIM_400000_NS6detail17trampoline_kernelINS0_14default_configENS1_35radix_sort_onesweep_config_selectorI6__halfNS0_10empty_typeEEEZNS1_34radix_sort_onesweep_global_offsetsIS3_Lb0EPKS5_PS6_mNS0_19identity_decomposerEEE10hipError_tT1_T2_PT3_SG_jT4_jjP12ihipStream_tbEUlT_E_NS1_11comp_targetILNS1_3genE4ELNS1_11target_archE910ELNS1_3gpuE8ELNS1_3repE0EEENS1_52radix_sort_onesweep_histogram_config_static_selectorELNS0_4arch9wavefront6targetE0EEEvSE_.private_seg_size, 0
	.set _ZN7rocprim17ROCPRIM_400000_NS6detail17trampoline_kernelINS0_14default_configENS1_35radix_sort_onesweep_config_selectorI6__halfNS0_10empty_typeEEEZNS1_34radix_sort_onesweep_global_offsetsIS3_Lb0EPKS5_PS6_mNS0_19identity_decomposerEEE10hipError_tT1_T2_PT3_SG_jT4_jjP12ihipStream_tbEUlT_E_NS1_11comp_targetILNS1_3genE4ELNS1_11target_archE910ELNS1_3gpuE8ELNS1_3repE0EEENS1_52radix_sort_onesweep_histogram_config_static_selectorELNS0_4arch9wavefront6targetE0EEEvSE_.uses_vcc, 0
	.set _ZN7rocprim17ROCPRIM_400000_NS6detail17trampoline_kernelINS0_14default_configENS1_35radix_sort_onesweep_config_selectorI6__halfNS0_10empty_typeEEEZNS1_34radix_sort_onesweep_global_offsetsIS3_Lb0EPKS5_PS6_mNS0_19identity_decomposerEEE10hipError_tT1_T2_PT3_SG_jT4_jjP12ihipStream_tbEUlT_E_NS1_11comp_targetILNS1_3genE4ELNS1_11target_archE910ELNS1_3gpuE8ELNS1_3repE0EEENS1_52radix_sort_onesweep_histogram_config_static_selectorELNS0_4arch9wavefront6targetE0EEEvSE_.uses_flat_scratch, 0
	.set _ZN7rocprim17ROCPRIM_400000_NS6detail17trampoline_kernelINS0_14default_configENS1_35radix_sort_onesweep_config_selectorI6__halfNS0_10empty_typeEEEZNS1_34radix_sort_onesweep_global_offsetsIS3_Lb0EPKS5_PS6_mNS0_19identity_decomposerEEE10hipError_tT1_T2_PT3_SG_jT4_jjP12ihipStream_tbEUlT_E_NS1_11comp_targetILNS1_3genE4ELNS1_11target_archE910ELNS1_3gpuE8ELNS1_3repE0EEENS1_52radix_sort_onesweep_histogram_config_static_selectorELNS0_4arch9wavefront6targetE0EEEvSE_.has_dyn_sized_stack, 0
	.set _ZN7rocprim17ROCPRIM_400000_NS6detail17trampoline_kernelINS0_14default_configENS1_35radix_sort_onesweep_config_selectorI6__halfNS0_10empty_typeEEEZNS1_34radix_sort_onesweep_global_offsetsIS3_Lb0EPKS5_PS6_mNS0_19identity_decomposerEEE10hipError_tT1_T2_PT3_SG_jT4_jjP12ihipStream_tbEUlT_E_NS1_11comp_targetILNS1_3genE4ELNS1_11target_archE910ELNS1_3gpuE8ELNS1_3repE0EEENS1_52radix_sort_onesweep_histogram_config_static_selectorELNS0_4arch9wavefront6targetE0EEEvSE_.has_recursion, 0
	.set _ZN7rocprim17ROCPRIM_400000_NS6detail17trampoline_kernelINS0_14default_configENS1_35radix_sort_onesweep_config_selectorI6__halfNS0_10empty_typeEEEZNS1_34radix_sort_onesweep_global_offsetsIS3_Lb0EPKS5_PS6_mNS0_19identity_decomposerEEE10hipError_tT1_T2_PT3_SG_jT4_jjP12ihipStream_tbEUlT_E_NS1_11comp_targetILNS1_3genE4ELNS1_11target_archE910ELNS1_3gpuE8ELNS1_3repE0EEENS1_52radix_sort_onesweep_histogram_config_static_selectorELNS0_4arch9wavefront6targetE0EEEvSE_.has_indirect_call, 0
	.section	.AMDGPU.csdata,"",@progbits
; Kernel info:
; codeLenInByte = 0
; TotalNumSgprs: 0
; NumVgprs: 0
; ScratchSize: 0
; MemoryBound: 0
; FloatMode: 240
; IeeeMode: 1
; LDSByteSize: 0 bytes/workgroup (compile time only)
; SGPRBlocks: 0
; VGPRBlocks: 0
; NumSGPRsForWavesPerEU: 1
; NumVGPRsForWavesPerEU: 1
; NamedBarCnt: 0
; Occupancy: 16
; WaveLimiterHint : 0
; COMPUTE_PGM_RSRC2:SCRATCH_EN: 0
; COMPUTE_PGM_RSRC2:USER_SGPR: 2
; COMPUTE_PGM_RSRC2:TRAP_HANDLER: 0
; COMPUTE_PGM_RSRC2:TGID_X_EN: 1
; COMPUTE_PGM_RSRC2:TGID_Y_EN: 0
; COMPUTE_PGM_RSRC2:TGID_Z_EN: 0
; COMPUTE_PGM_RSRC2:TIDIG_COMP_CNT: 0
	.section	.text._ZN7rocprim17ROCPRIM_400000_NS6detail17trampoline_kernelINS0_14default_configENS1_35radix_sort_onesweep_config_selectorI6__halfNS0_10empty_typeEEEZNS1_34radix_sort_onesweep_global_offsetsIS3_Lb0EPKS5_PS6_mNS0_19identity_decomposerEEE10hipError_tT1_T2_PT3_SG_jT4_jjP12ihipStream_tbEUlT_E_NS1_11comp_targetILNS1_3genE3ELNS1_11target_archE908ELNS1_3gpuE7ELNS1_3repE0EEENS1_52radix_sort_onesweep_histogram_config_static_selectorELNS0_4arch9wavefront6targetE0EEEvSE_,"axG",@progbits,_ZN7rocprim17ROCPRIM_400000_NS6detail17trampoline_kernelINS0_14default_configENS1_35radix_sort_onesweep_config_selectorI6__halfNS0_10empty_typeEEEZNS1_34radix_sort_onesweep_global_offsetsIS3_Lb0EPKS5_PS6_mNS0_19identity_decomposerEEE10hipError_tT1_T2_PT3_SG_jT4_jjP12ihipStream_tbEUlT_E_NS1_11comp_targetILNS1_3genE3ELNS1_11target_archE908ELNS1_3gpuE7ELNS1_3repE0EEENS1_52radix_sort_onesweep_histogram_config_static_selectorELNS0_4arch9wavefront6targetE0EEEvSE_,comdat
	.protected	_ZN7rocprim17ROCPRIM_400000_NS6detail17trampoline_kernelINS0_14default_configENS1_35radix_sort_onesweep_config_selectorI6__halfNS0_10empty_typeEEEZNS1_34radix_sort_onesweep_global_offsetsIS3_Lb0EPKS5_PS6_mNS0_19identity_decomposerEEE10hipError_tT1_T2_PT3_SG_jT4_jjP12ihipStream_tbEUlT_E_NS1_11comp_targetILNS1_3genE3ELNS1_11target_archE908ELNS1_3gpuE7ELNS1_3repE0EEENS1_52radix_sort_onesweep_histogram_config_static_selectorELNS0_4arch9wavefront6targetE0EEEvSE_ ; -- Begin function _ZN7rocprim17ROCPRIM_400000_NS6detail17trampoline_kernelINS0_14default_configENS1_35radix_sort_onesweep_config_selectorI6__halfNS0_10empty_typeEEEZNS1_34radix_sort_onesweep_global_offsetsIS3_Lb0EPKS5_PS6_mNS0_19identity_decomposerEEE10hipError_tT1_T2_PT3_SG_jT4_jjP12ihipStream_tbEUlT_E_NS1_11comp_targetILNS1_3genE3ELNS1_11target_archE908ELNS1_3gpuE7ELNS1_3repE0EEENS1_52radix_sort_onesweep_histogram_config_static_selectorELNS0_4arch9wavefront6targetE0EEEvSE_
	.globl	_ZN7rocprim17ROCPRIM_400000_NS6detail17trampoline_kernelINS0_14default_configENS1_35radix_sort_onesweep_config_selectorI6__halfNS0_10empty_typeEEEZNS1_34radix_sort_onesweep_global_offsetsIS3_Lb0EPKS5_PS6_mNS0_19identity_decomposerEEE10hipError_tT1_T2_PT3_SG_jT4_jjP12ihipStream_tbEUlT_E_NS1_11comp_targetILNS1_3genE3ELNS1_11target_archE908ELNS1_3gpuE7ELNS1_3repE0EEENS1_52radix_sort_onesweep_histogram_config_static_selectorELNS0_4arch9wavefront6targetE0EEEvSE_
	.p2align	8
	.type	_ZN7rocprim17ROCPRIM_400000_NS6detail17trampoline_kernelINS0_14default_configENS1_35radix_sort_onesweep_config_selectorI6__halfNS0_10empty_typeEEEZNS1_34radix_sort_onesweep_global_offsetsIS3_Lb0EPKS5_PS6_mNS0_19identity_decomposerEEE10hipError_tT1_T2_PT3_SG_jT4_jjP12ihipStream_tbEUlT_E_NS1_11comp_targetILNS1_3genE3ELNS1_11target_archE908ELNS1_3gpuE7ELNS1_3repE0EEENS1_52radix_sort_onesweep_histogram_config_static_selectorELNS0_4arch9wavefront6targetE0EEEvSE_,@function
_ZN7rocprim17ROCPRIM_400000_NS6detail17trampoline_kernelINS0_14default_configENS1_35radix_sort_onesweep_config_selectorI6__halfNS0_10empty_typeEEEZNS1_34radix_sort_onesweep_global_offsetsIS3_Lb0EPKS5_PS6_mNS0_19identity_decomposerEEE10hipError_tT1_T2_PT3_SG_jT4_jjP12ihipStream_tbEUlT_E_NS1_11comp_targetILNS1_3genE3ELNS1_11target_archE908ELNS1_3gpuE7ELNS1_3repE0EEENS1_52radix_sort_onesweep_histogram_config_static_selectorELNS0_4arch9wavefront6targetE0EEEvSE_: ; @_ZN7rocprim17ROCPRIM_400000_NS6detail17trampoline_kernelINS0_14default_configENS1_35radix_sort_onesweep_config_selectorI6__halfNS0_10empty_typeEEEZNS1_34radix_sort_onesweep_global_offsetsIS3_Lb0EPKS5_PS6_mNS0_19identity_decomposerEEE10hipError_tT1_T2_PT3_SG_jT4_jjP12ihipStream_tbEUlT_E_NS1_11comp_targetILNS1_3genE3ELNS1_11target_archE908ELNS1_3gpuE7ELNS1_3repE0EEENS1_52radix_sort_onesweep_histogram_config_static_selectorELNS0_4arch9wavefront6targetE0EEEvSE_
; %bb.0:
	.section	.rodata,"a",@progbits
	.p2align	6, 0x0
	.amdhsa_kernel _ZN7rocprim17ROCPRIM_400000_NS6detail17trampoline_kernelINS0_14default_configENS1_35radix_sort_onesweep_config_selectorI6__halfNS0_10empty_typeEEEZNS1_34radix_sort_onesweep_global_offsetsIS3_Lb0EPKS5_PS6_mNS0_19identity_decomposerEEE10hipError_tT1_T2_PT3_SG_jT4_jjP12ihipStream_tbEUlT_E_NS1_11comp_targetILNS1_3genE3ELNS1_11target_archE908ELNS1_3gpuE7ELNS1_3repE0EEENS1_52radix_sort_onesweep_histogram_config_static_selectorELNS0_4arch9wavefront6targetE0EEEvSE_
		.amdhsa_group_segment_fixed_size 0
		.amdhsa_private_segment_fixed_size 0
		.amdhsa_kernarg_size 48
		.amdhsa_user_sgpr_count 2
		.amdhsa_user_sgpr_dispatch_ptr 0
		.amdhsa_user_sgpr_queue_ptr 0
		.amdhsa_user_sgpr_kernarg_segment_ptr 1
		.amdhsa_user_sgpr_dispatch_id 0
		.amdhsa_user_sgpr_kernarg_preload_length 0
		.amdhsa_user_sgpr_kernarg_preload_offset 0
		.amdhsa_user_sgpr_private_segment_size 0
		.amdhsa_wavefront_size32 1
		.amdhsa_uses_dynamic_stack 0
		.amdhsa_enable_private_segment 0
		.amdhsa_system_sgpr_workgroup_id_x 1
		.amdhsa_system_sgpr_workgroup_id_y 0
		.amdhsa_system_sgpr_workgroup_id_z 0
		.amdhsa_system_sgpr_workgroup_info 0
		.amdhsa_system_vgpr_workitem_id 0
		.amdhsa_next_free_vgpr 1
		.amdhsa_next_free_sgpr 1
		.amdhsa_named_barrier_count 0
		.amdhsa_reserve_vcc 0
		.amdhsa_float_round_mode_32 0
		.amdhsa_float_round_mode_16_64 0
		.amdhsa_float_denorm_mode_32 3
		.amdhsa_float_denorm_mode_16_64 3
		.amdhsa_fp16_overflow 0
		.amdhsa_memory_ordered 1
		.amdhsa_forward_progress 1
		.amdhsa_inst_pref_size 0
		.amdhsa_round_robin_scheduling 0
		.amdhsa_exception_fp_ieee_invalid_op 0
		.amdhsa_exception_fp_denorm_src 0
		.amdhsa_exception_fp_ieee_div_zero 0
		.amdhsa_exception_fp_ieee_overflow 0
		.amdhsa_exception_fp_ieee_underflow 0
		.amdhsa_exception_fp_ieee_inexact 0
		.amdhsa_exception_int_div_zero 0
	.end_amdhsa_kernel
	.section	.text._ZN7rocprim17ROCPRIM_400000_NS6detail17trampoline_kernelINS0_14default_configENS1_35radix_sort_onesweep_config_selectorI6__halfNS0_10empty_typeEEEZNS1_34radix_sort_onesweep_global_offsetsIS3_Lb0EPKS5_PS6_mNS0_19identity_decomposerEEE10hipError_tT1_T2_PT3_SG_jT4_jjP12ihipStream_tbEUlT_E_NS1_11comp_targetILNS1_3genE3ELNS1_11target_archE908ELNS1_3gpuE7ELNS1_3repE0EEENS1_52radix_sort_onesweep_histogram_config_static_selectorELNS0_4arch9wavefront6targetE0EEEvSE_,"axG",@progbits,_ZN7rocprim17ROCPRIM_400000_NS6detail17trampoline_kernelINS0_14default_configENS1_35radix_sort_onesweep_config_selectorI6__halfNS0_10empty_typeEEEZNS1_34radix_sort_onesweep_global_offsetsIS3_Lb0EPKS5_PS6_mNS0_19identity_decomposerEEE10hipError_tT1_T2_PT3_SG_jT4_jjP12ihipStream_tbEUlT_E_NS1_11comp_targetILNS1_3genE3ELNS1_11target_archE908ELNS1_3gpuE7ELNS1_3repE0EEENS1_52radix_sort_onesweep_histogram_config_static_selectorELNS0_4arch9wavefront6targetE0EEEvSE_,comdat
.Lfunc_end2237:
	.size	_ZN7rocprim17ROCPRIM_400000_NS6detail17trampoline_kernelINS0_14default_configENS1_35radix_sort_onesweep_config_selectorI6__halfNS0_10empty_typeEEEZNS1_34radix_sort_onesweep_global_offsetsIS3_Lb0EPKS5_PS6_mNS0_19identity_decomposerEEE10hipError_tT1_T2_PT3_SG_jT4_jjP12ihipStream_tbEUlT_E_NS1_11comp_targetILNS1_3genE3ELNS1_11target_archE908ELNS1_3gpuE7ELNS1_3repE0EEENS1_52radix_sort_onesweep_histogram_config_static_selectorELNS0_4arch9wavefront6targetE0EEEvSE_, .Lfunc_end2237-_ZN7rocprim17ROCPRIM_400000_NS6detail17trampoline_kernelINS0_14default_configENS1_35radix_sort_onesweep_config_selectorI6__halfNS0_10empty_typeEEEZNS1_34radix_sort_onesweep_global_offsetsIS3_Lb0EPKS5_PS6_mNS0_19identity_decomposerEEE10hipError_tT1_T2_PT3_SG_jT4_jjP12ihipStream_tbEUlT_E_NS1_11comp_targetILNS1_3genE3ELNS1_11target_archE908ELNS1_3gpuE7ELNS1_3repE0EEENS1_52radix_sort_onesweep_histogram_config_static_selectorELNS0_4arch9wavefront6targetE0EEEvSE_
                                        ; -- End function
	.set _ZN7rocprim17ROCPRIM_400000_NS6detail17trampoline_kernelINS0_14default_configENS1_35radix_sort_onesweep_config_selectorI6__halfNS0_10empty_typeEEEZNS1_34radix_sort_onesweep_global_offsetsIS3_Lb0EPKS5_PS6_mNS0_19identity_decomposerEEE10hipError_tT1_T2_PT3_SG_jT4_jjP12ihipStream_tbEUlT_E_NS1_11comp_targetILNS1_3genE3ELNS1_11target_archE908ELNS1_3gpuE7ELNS1_3repE0EEENS1_52radix_sort_onesweep_histogram_config_static_selectorELNS0_4arch9wavefront6targetE0EEEvSE_.num_vgpr, 0
	.set _ZN7rocprim17ROCPRIM_400000_NS6detail17trampoline_kernelINS0_14default_configENS1_35radix_sort_onesweep_config_selectorI6__halfNS0_10empty_typeEEEZNS1_34radix_sort_onesweep_global_offsetsIS3_Lb0EPKS5_PS6_mNS0_19identity_decomposerEEE10hipError_tT1_T2_PT3_SG_jT4_jjP12ihipStream_tbEUlT_E_NS1_11comp_targetILNS1_3genE3ELNS1_11target_archE908ELNS1_3gpuE7ELNS1_3repE0EEENS1_52radix_sort_onesweep_histogram_config_static_selectorELNS0_4arch9wavefront6targetE0EEEvSE_.num_agpr, 0
	.set _ZN7rocprim17ROCPRIM_400000_NS6detail17trampoline_kernelINS0_14default_configENS1_35radix_sort_onesweep_config_selectorI6__halfNS0_10empty_typeEEEZNS1_34radix_sort_onesweep_global_offsetsIS3_Lb0EPKS5_PS6_mNS0_19identity_decomposerEEE10hipError_tT1_T2_PT3_SG_jT4_jjP12ihipStream_tbEUlT_E_NS1_11comp_targetILNS1_3genE3ELNS1_11target_archE908ELNS1_3gpuE7ELNS1_3repE0EEENS1_52radix_sort_onesweep_histogram_config_static_selectorELNS0_4arch9wavefront6targetE0EEEvSE_.numbered_sgpr, 0
	.set _ZN7rocprim17ROCPRIM_400000_NS6detail17trampoline_kernelINS0_14default_configENS1_35radix_sort_onesweep_config_selectorI6__halfNS0_10empty_typeEEEZNS1_34radix_sort_onesweep_global_offsetsIS3_Lb0EPKS5_PS6_mNS0_19identity_decomposerEEE10hipError_tT1_T2_PT3_SG_jT4_jjP12ihipStream_tbEUlT_E_NS1_11comp_targetILNS1_3genE3ELNS1_11target_archE908ELNS1_3gpuE7ELNS1_3repE0EEENS1_52radix_sort_onesweep_histogram_config_static_selectorELNS0_4arch9wavefront6targetE0EEEvSE_.num_named_barrier, 0
	.set _ZN7rocprim17ROCPRIM_400000_NS6detail17trampoline_kernelINS0_14default_configENS1_35radix_sort_onesweep_config_selectorI6__halfNS0_10empty_typeEEEZNS1_34radix_sort_onesweep_global_offsetsIS3_Lb0EPKS5_PS6_mNS0_19identity_decomposerEEE10hipError_tT1_T2_PT3_SG_jT4_jjP12ihipStream_tbEUlT_E_NS1_11comp_targetILNS1_3genE3ELNS1_11target_archE908ELNS1_3gpuE7ELNS1_3repE0EEENS1_52radix_sort_onesweep_histogram_config_static_selectorELNS0_4arch9wavefront6targetE0EEEvSE_.private_seg_size, 0
	.set _ZN7rocprim17ROCPRIM_400000_NS6detail17trampoline_kernelINS0_14default_configENS1_35radix_sort_onesweep_config_selectorI6__halfNS0_10empty_typeEEEZNS1_34radix_sort_onesweep_global_offsetsIS3_Lb0EPKS5_PS6_mNS0_19identity_decomposerEEE10hipError_tT1_T2_PT3_SG_jT4_jjP12ihipStream_tbEUlT_E_NS1_11comp_targetILNS1_3genE3ELNS1_11target_archE908ELNS1_3gpuE7ELNS1_3repE0EEENS1_52radix_sort_onesweep_histogram_config_static_selectorELNS0_4arch9wavefront6targetE0EEEvSE_.uses_vcc, 0
	.set _ZN7rocprim17ROCPRIM_400000_NS6detail17trampoline_kernelINS0_14default_configENS1_35radix_sort_onesweep_config_selectorI6__halfNS0_10empty_typeEEEZNS1_34radix_sort_onesweep_global_offsetsIS3_Lb0EPKS5_PS6_mNS0_19identity_decomposerEEE10hipError_tT1_T2_PT3_SG_jT4_jjP12ihipStream_tbEUlT_E_NS1_11comp_targetILNS1_3genE3ELNS1_11target_archE908ELNS1_3gpuE7ELNS1_3repE0EEENS1_52radix_sort_onesweep_histogram_config_static_selectorELNS0_4arch9wavefront6targetE0EEEvSE_.uses_flat_scratch, 0
	.set _ZN7rocprim17ROCPRIM_400000_NS6detail17trampoline_kernelINS0_14default_configENS1_35radix_sort_onesweep_config_selectorI6__halfNS0_10empty_typeEEEZNS1_34radix_sort_onesweep_global_offsetsIS3_Lb0EPKS5_PS6_mNS0_19identity_decomposerEEE10hipError_tT1_T2_PT3_SG_jT4_jjP12ihipStream_tbEUlT_E_NS1_11comp_targetILNS1_3genE3ELNS1_11target_archE908ELNS1_3gpuE7ELNS1_3repE0EEENS1_52radix_sort_onesweep_histogram_config_static_selectorELNS0_4arch9wavefront6targetE0EEEvSE_.has_dyn_sized_stack, 0
	.set _ZN7rocprim17ROCPRIM_400000_NS6detail17trampoline_kernelINS0_14default_configENS1_35radix_sort_onesweep_config_selectorI6__halfNS0_10empty_typeEEEZNS1_34radix_sort_onesweep_global_offsetsIS3_Lb0EPKS5_PS6_mNS0_19identity_decomposerEEE10hipError_tT1_T2_PT3_SG_jT4_jjP12ihipStream_tbEUlT_E_NS1_11comp_targetILNS1_3genE3ELNS1_11target_archE908ELNS1_3gpuE7ELNS1_3repE0EEENS1_52radix_sort_onesweep_histogram_config_static_selectorELNS0_4arch9wavefront6targetE0EEEvSE_.has_recursion, 0
	.set _ZN7rocprim17ROCPRIM_400000_NS6detail17trampoline_kernelINS0_14default_configENS1_35radix_sort_onesweep_config_selectorI6__halfNS0_10empty_typeEEEZNS1_34radix_sort_onesweep_global_offsetsIS3_Lb0EPKS5_PS6_mNS0_19identity_decomposerEEE10hipError_tT1_T2_PT3_SG_jT4_jjP12ihipStream_tbEUlT_E_NS1_11comp_targetILNS1_3genE3ELNS1_11target_archE908ELNS1_3gpuE7ELNS1_3repE0EEENS1_52radix_sort_onesweep_histogram_config_static_selectorELNS0_4arch9wavefront6targetE0EEEvSE_.has_indirect_call, 0
	.section	.AMDGPU.csdata,"",@progbits
; Kernel info:
; codeLenInByte = 0
; TotalNumSgprs: 0
; NumVgprs: 0
; ScratchSize: 0
; MemoryBound: 0
; FloatMode: 240
; IeeeMode: 1
; LDSByteSize: 0 bytes/workgroup (compile time only)
; SGPRBlocks: 0
; VGPRBlocks: 0
; NumSGPRsForWavesPerEU: 1
; NumVGPRsForWavesPerEU: 1
; NamedBarCnt: 0
; Occupancy: 16
; WaveLimiterHint : 0
; COMPUTE_PGM_RSRC2:SCRATCH_EN: 0
; COMPUTE_PGM_RSRC2:USER_SGPR: 2
; COMPUTE_PGM_RSRC2:TRAP_HANDLER: 0
; COMPUTE_PGM_RSRC2:TGID_X_EN: 1
; COMPUTE_PGM_RSRC2:TGID_Y_EN: 0
; COMPUTE_PGM_RSRC2:TGID_Z_EN: 0
; COMPUTE_PGM_RSRC2:TIDIG_COMP_CNT: 0
	.section	.text._ZN7rocprim17ROCPRIM_400000_NS6detail17trampoline_kernelINS0_14default_configENS1_35radix_sort_onesweep_config_selectorI6__halfNS0_10empty_typeEEEZNS1_34radix_sort_onesweep_global_offsetsIS3_Lb0EPKS5_PS6_mNS0_19identity_decomposerEEE10hipError_tT1_T2_PT3_SG_jT4_jjP12ihipStream_tbEUlT_E_NS1_11comp_targetILNS1_3genE10ELNS1_11target_archE1201ELNS1_3gpuE5ELNS1_3repE0EEENS1_52radix_sort_onesweep_histogram_config_static_selectorELNS0_4arch9wavefront6targetE0EEEvSE_,"axG",@progbits,_ZN7rocprim17ROCPRIM_400000_NS6detail17trampoline_kernelINS0_14default_configENS1_35radix_sort_onesweep_config_selectorI6__halfNS0_10empty_typeEEEZNS1_34radix_sort_onesweep_global_offsetsIS3_Lb0EPKS5_PS6_mNS0_19identity_decomposerEEE10hipError_tT1_T2_PT3_SG_jT4_jjP12ihipStream_tbEUlT_E_NS1_11comp_targetILNS1_3genE10ELNS1_11target_archE1201ELNS1_3gpuE5ELNS1_3repE0EEENS1_52radix_sort_onesweep_histogram_config_static_selectorELNS0_4arch9wavefront6targetE0EEEvSE_,comdat
	.protected	_ZN7rocprim17ROCPRIM_400000_NS6detail17trampoline_kernelINS0_14default_configENS1_35radix_sort_onesweep_config_selectorI6__halfNS0_10empty_typeEEEZNS1_34radix_sort_onesweep_global_offsetsIS3_Lb0EPKS5_PS6_mNS0_19identity_decomposerEEE10hipError_tT1_T2_PT3_SG_jT4_jjP12ihipStream_tbEUlT_E_NS1_11comp_targetILNS1_3genE10ELNS1_11target_archE1201ELNS1_3gpuE5ELNS1_3repE0EEENS1_52radix_sort_onesweep_histogram_config_static_selectorELNS0_4arch9wavefront6targetE0EEEvSE_ ; -- Begin function _ZN7rocprim17ROCPRIM_400000_NS6detail17trampoline_kernelINS0_14default_configENS1_35radix_sort_onesweep_config_selectorI6__halfNS0_10empty_typeEEEZNS1_34radix_sort_onesweep_global_offsetsIS3_Lb0EPKS5_PS6_mNS0_19identity_decomposerEEE10hipError_tT1_T2_PT3_SG_jT4_jjP12ihipStream_tbEUlT_E_NS1_11comp_targetILNS1_3genE10ELNS1_11target_archE1201ELNS1_3gpuE5ELNS1_3repE0EEENS1_52radix_sort_onesweep_histogram_config_static_selectorELNS0_4arch9wavefront6targetE0EEEvSE_
	.globl	_ZN7rocprim17ROCPRIM_400000_NS6detail17trampoline_kernelINS0_14default_configENS1_35radix_sort_onesweep_config_selectorI6__halfNS0_10empty_typeEEEZNS1_34radix_sort_onesweep_global_offsetsIS3_Lb0EPKS5_PS6_mNS0_19identity_decomposerEEE10hipError_tT1_T2_PT3_SG_jT4_jjP12ihipStream_tbEUlT_E_NS1_11comp_targetILNS1_3genE10ELNS1_11target_archE1201ELNS1_3gpuE5ELNS1_3repE0EEENS1_52radix_sort_onesweep_histogram_config_static_selectorELNS0_4arch9wavefront6targetE0EEEvSE_
	.p2align	8
	.type	_ZN7rocprim17ROCPRIM_400000_NS6detail17trampoline_kernelINS0_14default_configENS1_35radix_sort_onesweep_config_selectorI6__halfNS0_10empty_typeEEEZNS1_34radix_sort_onesweep_global_offsetsIS3_Lb0EPKS5_PS6_mNS0_19identity_decomposerEEE10hipError_tT1_T2_PT3_SG_jT4_jjP12ihipStream_tbEUlT_E_NS1_11comp_targetILNS1_3genE10ELNS1_11target_archE1201ELNS1_3gpuE5ELNS1_3repE0EEENS1_52radix_sort_onesweep_histogram_config_static_selectorELNS0_4arch9wavefront6targetE0EEEvSE_,@function
_ZN7rocprim17ROCPRIM_400000_NS6detail17trampoline_kernelINS0_14default_configENS1_35radix_sort_onesweep_config_selectorI6__halfNS0_10empty_typeEEEZNS1_34radix_sort_onesweep_global_offsetsIS3_Lb0EPKS5_PS6_mNS0_19identity_decomposerEEE10hipError_tT1_T2_PT3_SG_jT4_jjP12ihipStream_tbEUlT_E_NS1_11comp_targetILNS1_3genE10ELNS1_11target_archE1201ELNS1_3gpuE5ELNS1_3repE0EEENS1_52radix_sort_onesweep_histogram_config_static_selectorELNS0_4arch9wavefront6targetE0EEEvSE_: ; @_ZN7rocprim17ROCPRIM_400000_NS6detail17trampoline_kernelINS0_14default_configENS1_35radix_sort_onesweep_config_selectorI6__halfNS0_10empty_typeEEEZNS1_34radix_sort_onesweep_global_offsetsIS3_Lb0EPKS5_PS6_mNS0_19identity_decomposerEEE10hipError_tT1_T2_PT3_SG_jT4_jjP12ihipStream_tbEUlT_E_NS1_11comp_targetILNS1_3genE10ELNS1_11target_archE1201ELNS1_3gpuE5ELNS1_3repE0EEENS1_52radix_sort_onesweep_histogram_config_static_selectorELNS0_4arch9wavefront6targetE0EEEvSE_
; %bb.0:
	.section	.rodata,"a",@progbits
	.p2align	6, 0x0
	.amdhsa_kernel _ZN7rocprim17ROCPRIM_400000_NS6detail17trampoline_kernelINS0_14default_configENS1_35radix_sort_onesweep_config_selectorI6__halfNS0_10empty_typeEEEZNS1_34radix_sort_onesweep_global_offsetsIS3_Lb0EPKS5_PS6_mNS0_19identity_decomposerEEE10hipError_tT1_T2_PT3_SG_jT4_jjP12ihipStream_tbEUlT_E_NS1_11comp_targetILNS1_3genE10ELNS1_11target_archE1201ELNS1_3gpuE5ELNS1_3repE0EEENS1_52radix_sort_onesweep_histogram_config_static_selectorELNS0_4arch9wavefront6targetE0EEEvSE_
		.amdhsa_group_segment_fixed_size 0
		.amdhsa_private_segment_fixed_size 0
		.amdhsa_kernarg_size 48
		.amdhsa_user_sgpr_count 2
		.amdhsa_user_sgpr_dispatch_ptr 0
		.amdhsa_user_sgpr_queue_ptr 0
		.amdhsa_user_sgpr_kernarg_segment_ptr 1
		.amdhsa_user_sgpr_dispatch_id 0
		.amdhsa_user_sgpr_kernarg_preload_length 0
		.amdhsa_user_sgpr_kernarg_preload_offset 0
		.amdhsa_user_sgpr_private_segment_size 0
		.amdhsa_wavefront_size32 1
		.amdhsa_uses_dynamic_stack 0
		.amdhsa_enable_private_segment 0
		.amdhsa_system_sgpr_workgroup_id_x 1
		.amdhsa_system_sgpr_workgroup_id_y 0
		.amdhsa_system_sgpr_workgroup_id_z 0
		.amdhsa_system_sgpr_workgroup_info 0
		.amdhsa_system_vgpr_workitem_id 0
		.amdhsa_next_free_vgpr 1
		.amdhsa_next_free_sgpr 1
		.amdhsa_named_barrier_count 0
		.amdhsa_reserve_vcc 0
		.amdhsa_float_round_mode_32 0
		.amdhsa_float_round_mode_16_64 0
		.amdhsa_float_denorm_mode_32 3
		.amdhsa_float_denorm_mode_16_64 3
		.amdhsa_fp16_overflow 0
		.amdhsa_memory_ordered 1
		.amdhsa_forward_progress 1
		.amdhsa_inst_pref_size 0
		.amdhsa_round_robin_scheduling 0
		.amdhsa_exception_fp_ieee_invalid_op 0
		.amdhsa_exception_fp_denorm_src 0
		.amdhsa_exception_fp_ieee_div_zero 0
		.amdhsa_exception_fp_ieee_overflow 0
		.amdhsa_exception_fp_ieee_underflow 0
		.amdhsa_exception_fp_ieee_inexact 0
		.amdhsa_exception_int_div_zero 0
	.end_amdhsa_kernel
	.section	.text._ZN7rocprim17ROCPRIM_400000_NS6detail17trampoline_kernelINS0_14default_configENS1_35radix_sort_onesweep_config_selectorI6__halfNS0_10empty_typeEEEZNS1_34radix_sort_onesweep_global_offsetsIS3_Lb0EPKS5_PS6_mNS0_19identity_decomposerEEE10hipError_tT1_T2_PT3_SG_jT4_jjP12ihipStream_tbEUlT_E_NS1_11comp_targetILNS1_3genE10ELNS1_11target_archE1201ELNS1_3gpuE5ELNS1_3repE0EEENS1_52radix_sort_onesweep_histogram_config_static_selectorELNS0_4arch9wavefront6targetE0EEEvSE_,"axG",@progbits,_ZN7rocprim17ROCPRIM_400000_NS6detail17trampoline_kernelINS0_14default_configENS1_35radix_sort_onesweep_config_selectorI6__halfNS0_10empty_typeEEEZNS1_34radix_sort_onesweep_global_offsetsIS3_Lb0EPKS5_PS6_mNS0_19identity_decomposerEEE10hipError_tT1_T2_PT3_SG_jT4_jjP12ihipStream_tbEUlT_E_NS1_11comp_targetILNS1_3genE10ELNS1_11target_archE1201ELNS1_3gpuE5ELNS1_3repE0EEENS1_52radix_sort_onesweep_histogram_config_static_selectorELNS0_4arch9wavefront6targetE0EEEvSE_,comdat
.Lfunc_end2238:
	.size	_ZN7rocprim17ROCPRIM_400000_NS6detail17trampoline_kernelINS0_14default_configENS1_35radix_sort_onesweep_config_selectorI6__halfNS0_10empty_typeEEEZNS1_34radix_sort_onesweep_global_offsetsIS3_Lb0EPKS5_PS6_mNS0_19identity_decomposerEEE10hipError_tT1_T2_PT3_SG_jT4_jjP12ihipStream_tbEUlT_E_NS1_11comp_targetILNS1_3genE10ELNS1_11target_archE1201ELNS1_3gpuE5ELNS1_3repE0EEENS1_52radix_sort_onesweep_histogram_config_static_selectorELNS0_4arch9wavefront6targetE0EEEvSE_, .Lfunc_end2238-_ZN7rocprim17ROCPRIM_400000_NS6detail17trampoline_kernelINS0_14default_configENS1_35radix_sort_onesweep_config_selectorI6__halfNS0_10empty_typeEEEZNS1_34radix_sort_onesweep_global_offsetsIS3_Lb0EPKS5_PS6_mNS0_19identity_decomposerEEE10hipError_tT1_T2_PT3_SG_jT4_jjP12ihipStream_tbEUlT_E_NS1_11comp_targetILNS1_3genE10ELNS1_11target_archE1201ELNS1_3gpuE5ELNS1_3repE0EEENS1_52radix_sort_onesweep_histogram_config_static_selectorELNS0_4arch9wavefront6targetE0EEEvSE_
                                        ; -- End function
	.set _ZN7rocprim17ROCPRIM_400000_NS6detail17trampoline_kernelINS0_14default_configENS1_35radix_sort_onesweep_config_selectorI6__halfNS0_10empty_typeEEEZNS1_34radix_sort_onesweep_global_offsetsIS3_Lb0EPKS5_PS6_mNS0_19identity_decomposerEEE10hipError_tT1_T2_PT3_SG_jT4_jjP12ihipStream_tbEUlT_E_NS1_11comp_targetILNS1_3genE10ELNS1_11target_archE1201ELNS1_3gpuE5ELNS1_3repE0EEENS1_52radix_sort_onesweep_histogram_config_static_selectorELNS0_4arch9wavefront6targetE0EEEvSE_.num_vgpr, 0
	.set _ZN7rocprim17ROCPRIM_400000_NS6detail17trampoline_kernelINS0_14default_configENS1_35radix_sort_onesweep_config_selectorI6__halfNS0_10empty_typeEEEZNS1_34radix_sort_onesweep_global_offsetsIS3_Lb0EPKS5_PS6_mNS0_19identity_decomposerEEE10hipError_tT1_T2_PT3_SG_jT4_jjP12ihipStream_tbEUlT_E_NS1_11comp_targetILNS1_3genE10ELNS1_11target_archE1201ELNS1_3gpuE5ELNS1_3repE0EEENS1_52radix_sort_onesweep_histogram_config_static_selectorELNS0_4arch9wavefront6targetE0EEEvSE_.num_agpr, 0
	.set _ZN7rocprim17ROCPRIM_400000_NS6detail17trampoline_kernelINS0_14default_configENS1_35radix_sort_onesweep_config_selectorI6__halfNS0_10empty_typeEEEZNS1_34radix_sort_onesweep_global_offsetsIS3_Lb0EPKS5_PS6_mNS0_19identity_decomposerEEE10hipError_tT1_T2_PT3_SG_jT4_jjP12ihipStream_tbEUlT_E_NS1_11comp_targetILNS1_3genE10ELNS1_11target_archE1201ELNS1_3gpuE5ELNS1_3repE0EEENS1_52radix_sort_onesweep_histogram_config_static_selectorELNS0_4arch9wavefront6targetE0EEEvSE_.numbered_sgpr, 0
	.set _ZN7rocprim17ROCPRIM_400000_NS6detail17trampoline_kernelINS0_14default_configENS1_35radix_sort_onesweep_config_selectorI6__halfNS0_10empty_typeEEEZNS1_34radix_sort_onesweep_global_offsetsIS3_Lb0EPKS5_PS6_mNS0_19identity_decomposerEEE10hipError_tT1_T2_PT3_SG_jT4_jjP12ihipStream_tbEUlT_E_NS1_11comp_targetILNS1_3genE10ELNS1_11target_archE1201ELNS1_3gpuE5ELNS1_3repE0EEENS1_52radix_sort_onesweep_histogram_config_static_selectorELNS0_4arch9wavefront6targetE0EEEvSE_.num_named_barrier, 0
	.set _ZN7rocprim17ROCPRIM_400000_NS6detail17trampoline_kernelINS0_14default_configENS1_35radix_sort_onesweep_config_selectorI6__halfNS0_10empty_typeEEEZNS1_34radix_sort_onesweep_global_offsetsIS3_Lb0EPKS5_PS6_mNS0_19identity_decomposerEEE10hipError_tT1_T2_PT3_SG_jT4_jjP12ihipStream_tbEUlT_E_NS1_11comp_targetILNS1_3genE10ELNS1_11target_archE1201ELNS1_3gpuE5ELNS1_3repE0EEENS1_52radix_sort_onesweep_histogram_config_static_selectorELNS0_4arch9wavefront6targetE0EEEvSE_.private_seg_size, 0
	.set _ZN7rocprim17ROCPRIM_400000_NS6detail17trampoline_kernelINS0_14default_configENS1_35radix_sort_onesweep_config_selectorI6__halfNS0_10empty_typeEEEZNS1_34radix_sort_onesweep_global_offsetsIS3_Lb0EPKS5_PS6_mNS0_19identity_decomposerEEE10hipError_tT1_T2_PT3_SG_jT4_jjP12ihipStream_tbEUlT_E_NS1_11comp_targetILNS1_3genE10ELNS1_11target_archE1201ELNS1_3gpuE5ELNS1_3repE0EEENS1_52radix_sort_onesweep_histogram_config_static_selectorELNS0_4arch9wavefront6targetE0EEEvSE_.uses_vcc, 0
	.set _ZN7rocprim17ROCPRIM_400000_NS6detail17trampoline_kernelINS0_14default_configENS1_35radix_sort_onesweep_config_selectorI6__halfNS0_10empty_typeEEEZNS1_34radix_sort_onesweep_global_offsetsIS3_Lb0EPKS5_PS6_mNS0_19identity_decomposerEEE10hipError_tT1_T2_PT3_SG_jT4_jjP12ihipStream_tbEUlT_E_NS1_11comp_targetILNS1_3genE10ELNS1_11target_archE1201ELNS1_3gpuE5ELNS1_3repE0EEENS1_52radix_sort_onesweep_histogram_config_static_selectorELNS0_4arch9wavefront6targetE0EEEvSE_.uses_flat_scratch, 0
	.set _ZN7rocprim17ROCPRIM_400000_NS6detail17trampoline_kernelINS0_14default_configENS1_35radix_sort_onesweep_config_selectorI6__halfNS0_10empty_typeEEEZNS1_34radix_sort_onesweep_global_offsetsIS3_Lb0EPKS5_PS6_mNS0_19identity_decomposerEEE10hipError_tT1_T2_PT3_SG_jT4_jjP12ihipStream_tbEUlT_E_NS1_11comp_targetILNS1_3genE10ELNS1_11target_archE1201ELNS1_3gpuE5ELNS1_3repE0EEENS1_52radix_sort_onesweep_histogram_config_static_selectorELNS0_4arch9wavefront6targetE0EEEvSE_.has_dyn_sized_stack, 0
	.set _ZN7rocprim17ROCPRIM_400000_NS6detail17trampoline_kernelINS0_14default_configENS1_35radix_sort_onesweep_config_selectorI6__halfNS0_10empty_typeEEEZNS1_34radix_sort_onesweep_global_offsetsIS3_Lb0EPKS5_PS6_mNS0_19identity_decomposerEEE10hipError_tT1_T2_PT3_SG_jT4_jjP12ihipStream_tbEUlT_E_NS1_11comp_targetILNS1_3genE10ELNS1_11target_archE1201ELNS1_3gpuE5ELNS1_3repE0EEENS1_52radix_sort_onesweep_histogram_config_static_selectorELNS0_4arch9wavefront6targetE0EEEvSE_.has_recursion, 0
	.set _ZN7rocprim17ROCPRIM_400000_NS6detail17trampoline_kernelINS0_14default_configENS1_35radix_sort_onesweep_config_selectorI6__halfNS0_10empty_typeEEEZNS1_34radix_sort_onesweep_global_offsetsIS3_Lb0EPKS5_PS6_mNS0_19identity_decomposerEEE10hipError_tT1_T2_PT3_SG_jT4_jjP12ihipStream_tbEUlT_E_NS1_11comp_targetILNS1_3genE10ELNS1_11target_archE1201ELNS1_3gpuE5ELNS1_3repE0EEENS1_52radix_sort_onesweep_histogram_config_static_selectorELNS0_4arch9wavefront6targetE0EEEvSE_.has_indirect_call, 0
	.section	.AMDGPU.csdata,"",@progbits
; Kernel info:
; codeLenInByte = 0
; TotalNumSgprs: 0
; NumVgprs: 0
; ScratchSize: 0
; MemoryBound: 0
; FloatMode: 240
; IeeeMode: 1
; LDSByteSize: 0 bytes/workgroup (compile time only)
; SGPRBlocks: 0
; VGPRBlocks: 0
; NumSGPRsForWavesPerEU: 1
; NumVGPRsForWavesPerEU: 1
; NamedBarCnt: 0
; Occupancy: 16
; WaveLimiterHint : 0
; COMPUTE_PGM_RSRC2:SCRATCH_EN: 0
; COMPUTE_PGM_RSRC2:USER_SGPR: 2
; COMPUTE_PGM_RSRC2:TRAP_HANDLER: 0
; COMPUTE_PGM_RSRC2:TGID_X_EN: 1
; COMPUTE_PGM_RSRC2:TGID_Y_EN: 0
; COMPUTE_PGM_RSRC2:TGID_Z_EN: 0
; COMPUTE_PGM_RSRC2:TIDIG_COMP_CNT: 0
	.section	.text._ZN7rocprim17ROCPRIM_400000_NS6detail17trampoline_kernelINS0_14default_configENS1_35radix_sort_onesweep_config_selectorI6__halfNS0_10empty_typeEEEZNS1_34radix_sort_onesweep_global_offsetsIS3_Lb0EPKS5_PS6_mNS0_19identity_decomposerEEE10hipError_tT1_T2_PT3_SG_jT4_jjP12ihipStream_tbEUlT_E_NS1_11comp_targetILNS1_3genE9ELNS1_11target_archE1100ELNS1_3gpuE3ELNS1_3repE0EEENS1_52radix_sort_onesweep_histogram_config_static_selectorELNS0_4arch9wavefront6targetE0EEEvSE_,"axG",@progbits,_ZN7rocprim17ROCPRIM_400000_NS6detail17trampoline_kernelINS0_14default_configENS1_35radix_sort_onesweep_config_selectorI6__halfNS0_10empty_typeEEEZNS1_34radix_sort_onesweep_global_offsetsIS3_Lb0EPKS5_PS6_mNS0_19identity_decomposerEEE10hipError_tT1_T2_PT3_SG_jT4_jjP12ihipStream_tbEUlT_E_NS1_11comp_targetILNS1_3genE9ELNS1_11target_archE1100ELNS1_3gpuE3ELNS1_3repE0EEENS1_52radix_sort_onesweep_histogram_config_static_selectorELNS0_4arch9wavefront6targetE0EEEvSE_,comdat
	.protected	_ZN7rocprim17ROCPRIM_400000_NS6detail17trampoline_kernelINS0_14default_configENS1_35radix_sort_onesweep_config_selectorI6__halfNS0_10empty_typeEEEZNS1_34radix_sort_onesweep_global_offsetsIS3_Lb0EPKS5_PS6_mNS0_19identity_decomposerEEE10hipError_tT1_T2_PT3_SG_jT4_jjP12ihipStream_tbEUlT_E_NS1_11comp_targetILNS1_3genE9ELNS1_11target_archE1100ELNS1_3gpuE3ELNS1_3repE0EEENS1_52radix_sort_onesweep_histogram_config_static_selectorELNS0_4arch9wavefront6targetE0EEEvSE_ ; -- Begin function _ZN7rocprim17ROCPRIM_400000_NS6detail17trampoline_kernelINS0_14default_configENS1_35radix_sort_onesweep_config_selectorI6__halfNS0_10empty_typeEEEZNS1_34radix_sort_onesweep_global_offsetsIS3_Lb0EPKS5_PS6_mNS0_19identity_decomposerEEE10hipError_tT1_T2_PT3_SG_jT4_jjP12ihipStream_tbEUlT_E_NS1_11comp_targetILNS1_3genE9ELNS1_11target_archE1100ELNS1_3gpuE3ELNS1_3repE0EEENS1_52radix_sort_onesweep_histogram_config_static_selectorELNS0_4arch9wavefront6targetE0EEEvSE_
	.globl	_ZN7rocprim17ROCPRIM_400000_NS6detail17trampoline_kernelINS0_14default_configENS1_35radix_sort_onesweep_config_selectorI6__halfNS0_10empty_typeEEEZNS1_34radix_sort_onesweep_global_offsetsIS3_Lb0EPKS5_PS6_mNS0_19identity_decomposerEEE10hipError_tT1_T2_PT3_SG_jT4_jjP12ihipStream_tbEUlT_E_NS1_11comp_targetILNS1_3genE9ELNS1_11target_archE1100ELNS1_3gpuE3ELNS1_3repE0EEENS1_52radix_sort_onesweep_histogram_config_static_selectorELNS0_4arch9wavefront6targetE0EEEvSE_
	.p2align	8
	.type	_ZN7rocprim17ROCPRIM_400000_NS6detail17trampoline_kernelINS0_14default_configENS1_35radix_sort_onesweep_config_selectorI6__halfNS0_10empty_typeEEEZNS1_34radix_sort_onesweep_global_offsetsIS3_Lb0EPKS5_PS6_mNS0_19identity_decomposerEEE10hipError_tT1_T2_PT3_SG_jT4_jjP12ihipStream_tbEUlT_E_NS1_11comp_targetILNS1_3genE9ELNS1_11target_archE1100ELNS1_3gpuE3ELNS1_3repE0EEENS1_52radix_sort_onesweep_histogram_config_static_selectorELNS0_4arch9wavefront6targetE0EEEvSE_,@function
_ZN7rocprim17ROCPRIM_400000_NS6detail17trampoline_kernelINS0_14default_configENS1_35radix_sort_onesweep_config_selectorI6__halfNS0_10empty_typeEEEZNS1_34radix_sort_onesweep_global_offsetsIS3_Lb0EPKS5_PS6_mNS0_19identity_decomposerEEE10hipError_tT1_T2_PT3_SG_jT4_jjP12ihipStream_tbEUlT_E_NS1_11comp_targetILNS1_3genE9ELNS1_11target_archE1100ELNS1_3gpuE3ELNS1_3repE0EEENS1_52radix_sort_onesweep_histogram_config_static_selectorELNS0_4arch9wavefront6targetE0EEEvSE_: ; @_ZN7rocprim17ROCPRIM_400000_NS6detail17trampoline_kernelINS0_14default_configENS1_35radix_sort_onesweep_config_selectorI6__halfNS0_10empty_typeEEEZNS1_34radix_sort_onesweep_global_offsetsIS3_Lb0EPKS5_PS6_mNS0_19identity_decomposerEEE10hipError_tT1_T2_PT3_SG_jT4_jjP12ihipStream_tbEUlT_E_NS1_11comp_targetILNS1_3genE9ELNS1_11target_archE1100ELNS1_3gpuE3ELNS1_3repE0EEENS1_52radix_sort_onesweep_histogram_config_static_selectorELNS0_4arch9wavefront6targetE0EEEvSE_
; %bb.0:
	.section	.rodata,"a",@progbits
	.p2align	6, 0x0
	.amdhsa_kernel _ZN7rocprim17ROCPRIM_400000_NS6detail17trampoline_kernelINS0_14default_configENS1_35radix_sort_onesweep_config_selectorI6__halfNS0_10empty_typeEEEZNS1_34radix_sort_onesweep_global_offsetsIS3_Lb0EPKS5_PS6_mNS0_19identity_decomposerEEE10hipError_tT1_T2_PT3_SG_jT4_jjP12ihipStream_tbEUlT_E_NS1_11comp_targetILNS1_3genE9ELNS1_11target_archE1100ELNS1_3gpuE3ELNS1_3repE0EEENS1_52radix_sort_onesweep_histogram_config_static_selectorELNS0_4arch9wavefront6targetE0EEEvSE_
		.amdhsa_group_segment_fixed_size 0
		.amdhsa_private_segment_fixed_size 0
		.amdhsa_kernarg_size 48
		.amdhsa_user_sgpr_count 2
		.amdhsa_user_sgpr_dispatch_ptr 0
		.amdhsa_user_sgpr_queue_ptr 0
		.amdhsa_user_sgpr_kernarg_segment_ptr 1
		.amdhsa_user_sgpr_dispatch_id 0
		.amdhsa_user_sgpr_kernarg_preload_length 0
		.amdhsa_user_sgpr_kernarg_preload_offset 0
		.amdhsa_user_sgpr_private_segment_size 0
		.amdhsa_wavefront_size32 1
		.amdhsa_uses_dynamic_stack 0
		.amdhsa_enable_private_segment 0
		.amdhsa_system_sgpr_workgroup_id_x 1
		.amdhsa_system_sgpr_workgroup_id_y 0
		.amdhsa_system_sgpr_workgroup_id_z 0
		.amdhsa_system_sgpr_workgroup_info 0
		.amdhsa_system_vgpr_workitem_id 0
		.amdhsa_next_free_vgpr 1
		.amdhsa_next_free_sgpr 1
		.amdhsa_named_barrier_count 0
		.amdhsa_reserve_vcc 0
		.amdhsa_float_round_mode_32 0
		.amdhsa_float_round_mode_16_64 0
		.amdhsa_float_denorm_mode_32 3
		.amdhsa_float_denorm_mode_16_64 3
		.amdhsa_fp16_overflow 0
		.amdhsa_memory_ordered 1
		.amdhsa_forward_progress 1
		.amdhsa_inst_pref_size 0
		.amdhsa_round_robin_scheduling 0
		.amdhsa_exception_fp_ieee_invalid_op 0
		.amdhsa_exception_fp_denorm_src 0
		.amdhsa_exception_fp_ieee_div_zero 0
		.amdhsa_exception_fp_ieee_overflow 0
		.amdhsa_exception_fp_ieee_underflow 0
		.amdhsa_exception_fp_ieee_inexact 0
		.amdhsa_exception_int_div_zero 0
	.end_amdhsa_kernel
	.section	.text._ZN7rocprim17ROCPRIM_400000_NS6detail17trampoline_kernelINS0_14default_configENS1_35radix_sort_onesweep_config_selectorI6__halfNS0_10empty_typeEEEZNS1_34radix_sort_onesweep_global_offsetsIS3_Lb0EPKS5_PS6_mNS0_19identity_decomposerEEE10hipError_tT1_T2_PT3_SG_jT4_jjP12ihipStream_tbEUlT_E_NS1_11comp_targetILNS1_3genE9ELNS1_11target_archE1100ELNS1_3gpuE3ELNS1_3repE0EEENS1_52radix_sort_onesweep_histogram_config_static_selectorELNS0_4arch9wavefront6targetE0EEEvSE_,"axG",@progbits,_ZN7rocprim17ROCPRIM_400000_NS6detail17trampoline_kernelINS0_14default_configENS1_35radix_sort_onesweep_config_selectorI6__halfNS0_10empty_typeEEEZNS1_34radix_sort_onesweep_global_offsetsIS3_Lb0EPKS5_PS6_mNS0_19identity_decomposerEEE10hipError_tT1_T2_PT3_SG_jT4_jjP12ihipStream_tbEUlT_E_NS1_11comp_targetILNS1_3genE9ELNS1_11target_archE1100ELNS1_3gpuE3ELNS1_3repE0EEENS1_52radix_sort_onesweep_histogram_config_static_selectorELNS0_4arch9wavefront6targetE0EEEvSE_,comdat
.Lfunc_end2239:
	.size	_ZN7rocprim17ROCPRIM_400000_NS6detail17trampoline_kernelINS0_14default_configENS1_35radix_sort_onesweep_config_selectorI6__halfNS0_10empty_typeEEEZNS1_34radix_sort_onesweep_global_offsetsIS3_Lb0EPKS5_PS6_mNS0_19identity_decomposerEEE10hipError_tT1_T2_PT3_SG_jT4_jjP12ihipStream_tbEUlT_E_NS1_11comp_targetILNS1_3genE9ELNS1_11target_archE1100ELNS1_3gpuE3ELNS1_3repE0EEENS1_52radix_sort_onesweep_histogram_config_static_selectorELNS0_4arch9wavefront6targetE0EEEvSE_, .Lfunc_end2239-_ZN7rocprim17ROCPRIM_400000_NS6detail17trampoline_kernelINS0_14default_configENS1_35radix_sort_onesweep_config_selectorI6__halfNS0_10empty_typeEEEZNS1_34radix_sort_onesweep_global_offsetsIS3_Lb0EPKS5_PS6_mNS0_19identity_decomposerEEE10hipError_tT1_T2_PT3_SG_jT4_jjP12ihipStream_tbEUlT_E_NS1_11comp_targetILNS1_3genE9ELNS1_11target_archE1100ELNS1_3gpuE3ELNS1_3repE0EEENS1_52radix_sort_onesweep_histogram_config_static_selectorELNS0_4arch9wavefront6targetE0EEEvSE_
                                        ; -- End function
	.set _ZN7rocprim17ROCPRIM_400000_NS6detail17trampoline_kernelINS0_14default_configENS1_35radix_sort_onesweep_config_selectorI6__halfNS0_10empty_typeEEEZNS1_34radix_sort_onesweep_global_offsetsIS3_Lb0EPKS5_PS6_mNS0_19identity_decomposerEEE10hipError_tT1_T2_PT3_SG_jT4_jjP12ihipStream_tbEUlT_E_NS1_11comp_targetILNS1_3genE9ELNS1_11target_archE1100ELNS1_3gpuE3ELNS1_3repE0EEENS1_52radix_sort_onesweep_histogram_config_static_selectorELNS0_4arch9wavefront6targetE0EEEvSE_.num_vgpr, 0
	.set _ZN7rocprim17ROCPRIM_400000_NS6detail17trampoline_kernelINS0_14default_configENS1_35radix_sort_onesweep_config_selectorI6__halfNS0_10empty_typeEEEZNS1_34radix_sort_onesweep_global_offsetsIS3_Lb0EPKS5_PS6_mNS0_19identity_decomposerEEE10hipError_tT1_T2_PT3_SG_jT4_jjP12ihipStream_tbEUlT_E_NS1_11comp_targetILNS1_3genE9ELNS1_11target_archE1100ELNS1_3gpuE3ELNS1_3repE0EEENS1_52radix_sort_onesweep_histogram_config_static_selectorELNS0_4arch9wavefront6targetE0EEEvSE_.num_agpr, 0
	.set _ZN7rocprim17ROCPRIM_400000_NS6detail17trampoline_kernelINS0_14default_configENS1_35radix_sort_onesweep_config_selectorI6__halfNS0_10empty_typeEEEZNS1_34radix_sort_onesweep_global_offsetsIS3_Lb0EPKS5_PS6_mNS0_19identity_decomposerEEE10hipError_tT1_T2_PT3_SG_jT4_jjP12ihipStream_tbEUlT_E_NS1_11comp_targetILNS1_3genE9ELNS1_11target_archE1100ELNS1_3gpuE3ELNS1_3repE0EEENS1_52radix_sort_onesweep_histogram_config_static_selectorELNS0_4arch9wavefront6targetE0EEEvSE_.numbered_sgpr, 0
	.set _ZN7rocprim17ROCPRIM_400000_NS6detail17trampoline_kernelINS0_14default_configENS1_35radix_sort_onesweep_config_selectorI6__halfNS0_10empty_typeEEEZNS1_34radix_sort_onesweep_global_offsetsIS3_Lb0EPKS5_PS6_mNS0_19identity_decomposerEEE10hipError_tT1_T2_PT3_SG_jT4_jjP12ihipStream_tbEUlT_E_NS1_11comp_targetILNS1_3genE9ELNS1_11target_archE1100ELNS1_3gpuE3ELNS1_3repE0EEENS1_52radix_sort_onesweep_histogram_config_static_selectorELNS0_4arch9wavefront6targetE0EEEvSE_.num_named_barrier, 0
	.set _ZN7rocprim17ROCPRIM_400000_NS6detail17trampoline_kernelINS0_14default_configENS1_35radix_sort_onesweep_config_selectorI6__halfNS0_10empty_typeEEEZNS1_34radix_sort_onesweep_global_offsetsIS3_Lb0EPKS5_PS6_mNS0_19identity_decomposerEEE10hipError_tT1_T2_PT3_SG_jT4_jjP12ihipStream_tbEUlT_E_NS1_11comp_targetILNS1_3genE9ELNS1_11target_archE1100ELNS1_3gpuE3ELNS1_3repE0EEENS1_52radix_sort_onesweep_histogram_config_static_selectorELNS0_4arch9wavefront6targetE0EEEvSE_.private_seg_size, 0
	.set _ZN7rocprim17ROCPRIM_400000_NS6detail17trampoline_kernelINS0_14default_configENS1_35radix_sort_onesweep_config_selectorI6__halfNS0_10empty_typeEEEZNS1_34radix_sort_onesweep_global_offsetsIS3_Lb0EPKS5_PS6_mNS0_19identity_decomposerEEE10hipError_tT1_T2_PT3_SG_jT4_jjP12ihipStream_tbEUlT_E_NS1_11comp_targetILNS1_3genE9ELNS1_11target_archE1100ELNS1_3gpuE3ELNS1_3repE0EEENS1_52radix_sort_onesweep_histogram_config_static_selectorELNS0_4arch9wavefront6targetE0EEEvSE_.uses_vcc, 0
	.set _ZN7rocprim17ROCPRIM_400000_NS6detail17trampoline_kernelINS0_14default_configENS1_35radix_sort_onesweep_config_selectorI6__halfNS0_10empty_typeEEEZNS1_34radix_sort_onesweep_global_offsetsIS3_Lb0EPKS5_PS6_mNS0_19identity_decomposerEEE10hipError_tT1_T2_PT3_SG_jT4_jjP12ihipStream_tbEUlT_E_NS1_11comp_targetILNS1_3genE9ELNS1_11target_archE1100ELNS1_3gpuE3ELNS1_3repE0EEENS1_52radix_sort_onesweep_histogram_config_static_selectorELNS0_4arch9wavefront6targetE0EEEvSE_.uses_flat_scratch, 0
	.set _ZN7rocprim17ROCPRIM_400000_NS6detail17trampoline_kernelINS0_14default_configENS1_35radix_sort_onesweep_config_selectorI6__halfNS0_10empty_typeEEEZNS1_34radix_sort_onesweep_global_offsetsIS3_Lb0EPKS5_PS6_mNS0_19identity_decomposerEEE10hipError_tT1_T2_PT3_SG_jT4_jjP12ihipStream_tbEUlT_E_NS1_11comp_targetILNS1_3genE9ELNS1_11target_archE1100ELNS1_3gpuE3ELNS1_3repE0EEENS1_52radix_sort_onesweep_histogram_config_static_selectorELNS0_4arch9wavefront6targetE0EEEvSE_.has_dyn_sized_stack, 0
	.set _ZN7rocprim17ROCPRIM_400000_NS6detail17trampoline_kernelINS0_14default_configENS1_35radix_sort_onesweep_config_selectorI6__halfNS0_10empty_typeEEEZNS1_34radix_sort_onesweep_global_offsetsIS3_Lb0EPKS5_PS6_mNS0_19identity_decomposerEEE10hipError_tT1_T2_PT3_SG_jT4_jjP12ihipStream_tbEUlT_E_NS1_11comp_targetILNS1_3genE9ELNS1_11target_archE1100ELNS1_3gpuE3ELNS1_3repE0EEENS1_52radix_sort_onesweep_histogram_config_static_selectorELNS0_4arch9wavefront6targetE0EEEvSE_.has_recursion, 0
	.set _ZN7rocprim17ROCPRIM_400000_NS6detail17trampoline_kernelINS0_14default_configENS1_35radix_sort_onesweep_config_selectorI6__halfNS0_10empty_typeEEEZNS1_34radix_sort_onesweep_global_offsetsIS3_Lb0EPKS5_PS6_mNS0_19identity_decomposerEEE10hipError_tT1_T2_PT3_SG_jT4_jjP12ihipStream_tbEUlT_E_NS1_11comp_targetILNS1_3genE9ELNS1_11target_archE1100ELNS1_3gpuE3ELNS1_3repE0EEENS1_52radix_sort_onesweep_histogram_config_static_selectorELNS0_4arch9wavefront6targetE0EEEvSE_.has_indirect_call, 0
	.section	.AMDGPU.csdata,"",@progbits
; Kernel info:
; codeLenInByte = 0
; TotalNumSgprs: 0
; NumVgprs: 0
; ScratchSize: 0
; MemoryBound: 0
; FloatMode: 240
; IeeeMode: 1
; LDSByteSize: 0 bytes/workgroup (compile time only)
; SGPRBlocks: 0
; VGPRBlocks: 0
; NumSGPRsForWavesPerEU: 1
; NumVGPRsForWavesPerEU: 1
; NamedBarCnt: 0
; Occupancy: 16
; WaveLimiterHint : 0
; COMPUTE_PGM_RSRC2:SCRATCH_EN: 0
; COMPUTE_PGM_RSRC2:USER_SGPR: 2
; COMPUTE_PGM_RSRC2:TRAP_HANDLER: 0
; COMPUTE_PGM_RSRC2:TGID_X_EN: 1
; COMPUTE_PGM_RSRC2:TGID_Y_EN: 0
; COMPUTE_PGM_RSRC2:TGID_Z_EN: 0
; COMPUTE_PGM_RSRC2:TIDIG_COMP_CNT: 0
	.section	.text._ZN7rocprim17ROCPRIM_400000_NS6detail17trampoline_kernelINS0_14default_configENS1_35radix_sort_onesweep_config_selectorI6__halfNS0_10empty_typeEEEZNS1_34radix_sort_onesweep_global_offsetsIS3_Lb0EPKS5_PS6_mNS0_19identity_decomposerEEE10hipError_tT1_T2_PT3_SG_jT4_jjP12ihipStream_tbEUlT_E_NS1_11comp_targetILNS1_3genE8ELNS1_11target_archE1030ELNS1_3gpuE2ELNS1_3repE0EEENS1_52radix_sort_onesweep_histogram_config_static_selectorELNS0_4arch9wavefront6targetE0EEEvSE_,"axG",@progbits,_ZN7rocprim17ROCPRIM_400000_NS6detail17trampoline_kernelINS0_14default_configENS1_35radix_sort_onesweep_config_selectorI6__halfNS0_10empty_typeEEEZNS1_34radix_sort_onesweep_global_offsetsIS3_Lb0EPKS5_PS6_mNS0_19identity_decomposerEEE10hipError_tT1_T2_PT3_SG_jT4_jjP12ihipStream_tbEUlT_E_NS1_11comp_targetILNS1_3genE8ELNS1_11target_archE1030ELNS1_3gpuE2ELNS1_3repE0EEENS1_52radix_sort_onesweep_histogram_config_static_selectorELNS0_4arch9wavefront6targetE0EEEvSE_,comdat
	.protected	_ZN7rocprim17ROCPRIM_400000_NS6detail17trampoline_kernelINS0_14default_configENS1_35radix_sort_onesweep_config_selectorI6__halfNS0_10empty_typeEEEZNS1_34radix_sort_onesweep_global_offsetsIS3_Lb0EPKS5_PS6_mNS0_19identity_decomposerEEE10hipError_tT1_T2_PT3_SG_jT4_jjP12ihipStream_tbEUlT_E_NS1_11comp_targetILNS1_3genE8ELNS1_11target_archE1030ELNS1_3gpuE2ELNS1_3repE0EEENS1_52radix_sort_onesweep_histogram_config_static_selectorELNS0_4arch9wavefront6targetE0EEEvSE_ ; -- Begin function _ZN7rocprim17ROCPRIM_400000_NS6detail17trampoline_kernelINS0_14default_configENS1_35radix_sort_onesweep_config_selectorI6__halfNS0_10empty_typeEEEZNS1_34radix_sort_onesweep_global_offsetsIS3_Lb0EPKS5_PS6_mNS0_19identity_decomposerEEE10hipError_tT1_T2_PT3_SG_jT4_jjP12ihipStream_tbEUlT_E_NS1_11comp_targetILNS1_3genE8ELNS1_11target_archE1030ELNS1_3gpuE2ELNS1_3repE0EEENS1_52radix_sort_onesweep_histogram_config_static_selectorELNS0_4arch9wavefront6targetE0EEEvSE_
	.globl	_ZN7rocprim17ROCPRIM_400000_NS6detail17trampoline_kernelINS0_14default_configENS1_35radix_sort_onesweep_config_selectorI6__halfNS0_10empty_typeEEEZNS1_34radix_sort_onesweep_global_offsetsIS3_Lb0EPKS5_PS6_mNS0_19identity_decomposerEEE10hipError_tT1_T2_PT3_SG_jT4_jjP12ihipStream_tbEUlT_E_NS1_11comp_targetILNS1_3genE8ELNS1_11target_archE1030ELNS1_3gpuE2ELNS1_3repE0EEENS1_52radix_sort_onesweep_histogram_config_static_selectorELNS0_4arch9wavefront6targetE0EEEvSE_
	.p2align	8
	.type	_ZN7rocprim17ROCPRIM_400000_NS6detail17trampoline_kernelINS0_14default_configENS1_35radix_sort_onesweep_config_selectorI6__halfNS0_10empty_typeEEEZNS1_34radix_sort_onesweep_global_offsetsIS3_Lb0EPKS5_PS6_mNS0_19identity_decomposerEEE10hipError_tT1_T2_PT3_SG_jT4_jjP12ihipStream_tbEUlT_E_NS1_11comp_targetILNS1_3genE8ELNS1_11target_archE1030ELNS1_3gpuE2ELNS1_3repE0EEENS1_52radix_sort_onesweep_histogram_config_static_selectorELNS0_4arch9wavefront6targetE0EEEvSE_,@function
_ZN7rocprim17ROCPRIM_400000_NS6detail17trampoline_kernelINS0_14default_configENS1_35radix_sort_onesweep_config_selectorI6__halfNS0_10empty_typeEEEZNS1_34radix_sort_onesweep_global_offsetsIS3_Lb0EPKS5_PS6_mNS0_19identity_decomposerEEE10hipError_tT1_T2_PT3_SG_jT4_jjP12ihipStream_tbEUlT_E_NS1_11comp_targetILNS1_3genE8ELNS1_11target_archE1030ELNS1_3gpuE2ELNS1_3repE0EEENS1_52radix_sort_onesweep_histogram_config_static_selectorELNS0_4arch9wavefront6targetE0EEEvSE_: ; @_ZN7rocprim17ROCPRIM_400000_NS6detail17trampoline_kernelINS0_14default_configENS1_35radix_sort_onesweep_config_selectorI6__halfNS0_10empty_typeEEEZNS1_34radix_sort_onesweep_global_offsetsIS3_Lb0EPKS5_PS6_mNS0_19identity_decomposerEEE10hipError_tT1_T2_PT3_SG_jT4_jjP12ihipStream_tbEUlT_E_NS1_11comp_targetILNS1_3genE8ELNS1_11target_archE1030ELNS1_3gpuE2ELNS1_3repE0EEENS1_52radix_sort_onesweep_histogram_config_static_selectorELNS0_4arch9wavefront6targetE0EEEvSE_
; %bb.0:
	.section	.rodata,"a",@progbits
	.p2align	6, 0x0
	.amdhsa_kernel _ZN7rocprim17ROCPRIM_400000_NS6detail17trampoline_kernelINS0_14default_configENS1_35radix_sort_onesweep_config_selectorI6__halfNS0_10empty_typeEEEZNS1_34radix_sort_onesweep_global_offsetsIS3_Lb0EPKS5_PS6_mNS0_19identity_decomposerEEE10hipError_tT1_T2_PT3_SG_jT4_jjP12ihipStream_tbEUlT_E_NS1_11comp_targetILNS1_3genE8ELNS1_11target_archE1030ELNS1_3gpuE2ELNS1_3repE0EEENS1_52radix_sort_onesweep_histogram_config_static_selectorELNS0_4arch9wavefront6targetE0EEEvSE_
		.amdhsa_group_segment_fixed_size 0
		.amdhsa_private_segment_fixed_size 0
		.amdhsa_kernarg_size 48
		.amdhsa_user_sgpr_count 2
		.amdhsa_user_sgpr_dispatch_ptr 0
		.amdhsa_user_sgpr_queue_ptr 0
		.amdhsa_user_sgpr_kernarg_segment_ptr 1
		.amdhsa_user_sgpr_dispatch_id 0
		.amdhsa_user_sgpr_kernarg_preload_length 0
		.amdhsa_user_sgpr_kernarg_preload_offset 0
		.amdhsa_user_sgpr_private_segment_size 0
		.amdhsa_wavefront_size32 1
		.amdhsa_uses_dynamic_stack 0
		.amdhsa_enable_private_segment 0
		.amdhsa_system_sgpr_workgroup_id_x 1
		.amdhsa_system_sgpr_workgroup_id_y 0
		.amdhsa_system_sgpr_workgroup_id_z 0
		.amdhsa_system_sgpr_workgroup_info 0
		.amdhsa_system_vgpr_workitem_id 0
		.amdhsa_next_free_vgpr 1
		.amdhsa_next_free_sgpr 1
		.amdhsa_named_barrier_count 0
		.amdhsa_reserve_vcc 0
		.amdhsa_float_round_mode_32 0
		.amdhsa_float_round_mode_16_64 0
		.amdhsa_float_denorm_mode_32 3
		.amdhsa_float_denorm_mode_16_64 3
		.amdhsa_fp16_overflow 0
		.amdhsa_memory_ordered 1
		.amdhsa_forward_progress 1
		.amdhsa_inst_pref_size 0
		.amdhsa_round_robin_scheduling 0
		.amdhsa_exception_fp_ieee_invalid_op 0
		.amdhsa_exception_fp_denorm_src 0
		.amdhsa_exception_fp_ieee_div_zero 0
		.amdhsa_exception_fp_ieee_overflow 0
		.amdhsa_exception_fp_ieee_underflow 0
		.amdhsa_exception_fp_ieee_inexact 0
		.amdhsa_exception_int_div_zero 0
	.end_amdhsa_kernel
	.section	.text._ZN7rocprim17ROCPRIM_400000_NS6detail17trampoline_kernelINS0_14default_configENS1_35radix_sort_onesweep_config_selectorI6__halfNS0_10empty_typeEEEZNS1_34radix_sort_onesweep_global_offsetsIS3_Lb0EPKS5_PS6_mNS0_19identity_decomposerEEE10hipError_tT1_T2_PT3_SG_jT4_jjP12ihipStream_tbEUlT_E_NS1_11comp_targetILNS1_3genE8ELNS1_11target_archE1030ELNS1_3gpuE2ELNS1_3repE0EEENS1_52radix_sort_onesweep_histogram_config_static_selectorELNS0_4arch9wavefront6targetE0EEEvSE_,"axG",@progbits,_ZN7rocprim17ROCPRIM_400000_NS6detail17trampoline_kernelINS0_14default_configENS1_35radix_sort_onesweep_config_selectorI6__halfNS0_10empty_typeEEEZNS1_34radix_sort_onesweep_global_offsetsIS3_Lb0EPKS5_PS6_mNS0_19identity_decomposerEEE10hipError_tT1_T2_PT3_SG_jT4_jjP12ihipStream_tbEUlT_E_NS1_11comp_targetILNS1_3genE8ELNS1_11target_archE1030ELNS1_3gpuE2ELNS1_3repE0EEENS1_52radix_sort_onesweep_histogram_config_static_selectorELNS0_4arch9wavefront6targetE0EEEvSE_,comdat
.Lfunc_end2240:
	.size	_ZN7rocprim17ROCPRIM_400000_NS6detail17trampoline_kernelINS0_14default_configENS1_35radix_sort_onesweep_config_selectorI6__halfNS0_10empty_typeEEEZNS1_34radix_sort_onesweep_global_offsetsIS3_Lb0EPKS5_PS6_mNS0_19identity_decomposerEEE10hipError_tT1_T2_PT3_SG_jT4_jjP12ihipStream_tbEUlT_E_NS1_11comp_targetILNS1_3genE8ELNS1_11target_archE1030ELNS1_3gpuE2ELNS1_3repE0EEENS1_52radix_sort_onesweep_histogram_config_static_selectorELNS0_4arch9wavefront6targetE0EEEvSE_, .Lfunc_end2240-_ZN7rocprim17ROCPRIM_400000_NS6detail17trampoline_kernelINS0_14default_configENS1_35radix_sort_onesweep_config_selectorI6__halfNS0_10empty_typeEEEZNS1_34radix_sort_onesweep_global_offsetsIS3_Lb0EPKS5_PS6_mNS0_19identity_decomposerEEE10hipError_tT1_T2_PT3_SG_jT4_jjP12ihipStream_tbEUlT_E_NS1_11comp_targetILNS1_3genE8ELNS1_11target_archE1030ELNS1_3gpuE2ELNS1_3repE0EEENS1_52radix_sort_onesweep_histogram_config_static_selectorELNS0_4arch9wavefront6targetE0EEEvSE_
                                        ; -- End function
	.set _ZN7rocprim17ROCPRIM_400000_NS6detail17trampoline_kernelINS0_14default_configENS1_35radix_sort_onesweep_config_selectorI6__halfNS0_10empty_typeEEEZNS1_34radix_sort_onesweep_global_offsetsIS3_Lb0EPKS5_PS6_mNS0_19identity_decomposerEEE10hipError_tT1_T2_PT3_SG_jT4_jjP12ihipStream_tbEUlT_E_NS1_11comp_targetILNS1_3genE8ELNS1_11target_archE1030ELNS1_3gpuE2ELNS1_3repE0EEENS1_52radix_sort_onesweep_histogram_config_static_selectorELNS0_4arch9wavefront6targetE0EEEvSE_.num_vgpr, 0
	.set _ZN7rocprim17ROCPRIM_400000_NS6detail17trampoline_kernelINS0_14default_configENS1_35radix_sort_onesweep_config_selectorI6__halfNS0_10empty_typeEEEZNS1_34radix_sort_onesweep_global_offsetsIS3_Lb0EPKS5_PS6_mNS0_19identity_decomposerEEE10hipError_tT1_T2_PT3_SG_jT4_jjP12ihipStream_tbEUlT_E_NS1_11comp_targetILNS1_3genE8ELNS1_11target_archE1030ELNS1_3gpuE2ELNS1_3repE0EEENS1_52radix_sort_onesweep_histogram_config_static_selectorELNS0_4arch9wavefront6targetE0EEEvSE_.num_agpr, 0
	.set _ZN7rocprim17ROCPRIM_400000_NS6detail17trampoline_kernelINS0_14default_configENS1_35radix_sort_onesweep_config_selectorI6__halfNS0_10empty_typeEEEZNS1_34radix_sort_onesweep_global_offsetsIS3_Lb0EPKS5_PS6_mNS0_19identity_decomposerEEE10hipError_tT1_T2_PT3_SG_jT4_jjP12ihipStream_tbEUlT_E_NS1_11comp_targetILNS1_3genE8ELNS1_11target_archE1030ELNS1_3gpuE2ELNS1_3repE0EEENS1_52radix_sort_onesweep_histogram_config_static_selectorELNS0_4arch9wavefront6targetE0EEEvSE_.numbered_sgpr, 0
	.set _ZN7rocprim17ROCPRIM_400000_NS6detail17trampoline_kernelINS0_14default_configENS1_35radix_sort_onesweep_config_selectorI6__halfNS0_10empty_typeEEEZNS1_34radix_sort_onesweep_global_offsetsIS3_Lb0EPKS5_PS6_mNS0_19identity_decomposerEEE10hipError_tT1_T2_PT3_SG_jT4_jjP12ihipStream_tbEUlT_E_NS1_11comp_targetILNS1_3genE8ELNS1_11target_archE1030ELNS1_3gpuE2ELNS1_3repE0EEENS1_52radix_sort_onesweep_histogram_config_static_selectorELNS0_4arch9wavefront6targetE0EEEvSE_.num_named_barrier, 0
	.set _ZN7rocprim17ROCPRIM_400000_NS6detail17trampoline_kernelINS0_14default_configENS1_35radix_sort_onesweep_config_selectorI6__halfNS0_10empty_typeEEEZNS1_34radix_sort_onesweep_global_offsetsIS3_Lb0EPKS5_PS6_mNS0_19identity_decomposerEEE10hipError_tT1_T2_PT3_SG_jT4_jjP12ihipStream_tbEUlT_E_NS1_11comp_targetILNS1_3genE8ELNS1_11target_archE1030ELNS1_3gpuE2ELNS1_3repE0EEENS1_52radix_sort_onesweep_histogram_config_static_selectorELNS0_4arch9wavefront6targetE0EEEvSE_.private_seg_size, 0
	.set _ZN7rocprim17ROCPRIM_400000_NS6detail17trampoline_kernelINS0_14default_configENS1_35radix_sort_onesweep_config_selectorI6__halfNS0_10empty_typeEEEZNS1_34radix_sort_onesweep_global_offsetsIS3_Lb0EPKS5_PS6_mNS0_19identity_decomposerEEE10hipError_tT1_T2_PT3_SG_jT4_jjP12ihipStream_tbEUlT_E_NS1_11comp_targetILNS1_3genE8ELNS1_11target_archE1030ELNS1_3gpuE2ELNS1_3repE0EEENS1_52radix_sort_onesweep_histogram_config_static_selectorELNS0_4arch9wavefront6targetE0EEEvSE_.uses_vcc, 0
	.set _ZN7rocprim17ROCPRIM_400000_NS6detail17trampoline_kernelINS0_14default_configENS1_35radix_sort_onesweep_config_selectorI6__halfNS0_10empty_typeEEEZNS1_34radix_sort_onesweep_global_offsetsIS3_Lb0EPKS5_PS6_mNS0_19identity_decomposerEEE10hipError_tT1_T2_PT3_SG_jT4_jjP12ihipStream_tbEUlT_E_NS1_11comp_targetILNS1_3genE8ELNS1_11target_archE1030ELNS1_3gpuE2ELNS1_3repE0EEENS1_52radix_sort_onesweep_histogram_config_static_selectorELNS0_4arch9wavefront6targetE0EEEvSE_.uses_flat_scratch, 0
	.set _ZN7rocprim17ROCPRIM_400000_NS6detail17trampoline_kernelINS0_14default_configENS1_35radix_sort_onesweep_config_selectorI6__halfNS0_10empty_typeEEEZNS1_34radix_sort_onesweep_global_offsetsIS3_Lb0EPKS5_PS6_mNS0_19identity_decomposerEEE10hipError_tT1_T2_PT3_SG_jT4_jjP12ihipStream_tbEUlT_E_NS1_11comp_targetILNS1_3genE8ELNS1_11target_archE1030ELNS1_3gpuE2ELNS1_3repE0EEENS1_52radix_sort_onesweep_histogram_config_static_selectorELNS0_4arch9wavefront6targetE0EEEvSE_.has_dyn_sized_stack, 0
	.set _ZN7rocprim17ROCPRIM_400000_NS6detail17trampoline_kernelINS0_14default_configENS1_35radix_sort_onesweep_config_selectorI6__halfNS0_10empty_typeEEEZNS1_34radix_sort_onesweep_global_offsetsIS3_Lb0EPKS5_PS6_mNS0_19identity_decomposerEEE10hipError_tT1_T2_PT3_SG_jT4_jjP12ihipStream_tbEUlT_E_NS1_11comp_targetILNS1_3genE8ELNS1_11target_archE1030ELNS1_3gpuE2ELNS1_3repE0EEENS1_52radix_sort_onesweep_histogram_config_static_selectorELNS0_4arch9wavefront6targetE0EEEvSE_.has_recursion, 0
	.set _ZN7rocprim17ROCPRIM_400000_NS6detail17trampoline_kernelINS0_14default_configENS1_35radix_sort_onesweep_config_selectorI6__halfNS0_10empty_typeEEEZNS1_34radix_sort_onesweep_global_offsetsIS3_Lb0EPKS5_PS6_mNS0_19identity_decomposerEEE10hipError_tT1_T2_PT3_SG_jT4_jjP12ihipStream_tbEUlT_E_NS1_11comp_targetILNS1_3genE8ELNS1_11target_archE1030ELNS1_3gpuE2ELNS1_3repE0EEENS1_52radix_sort_onesweep_histogram_config_static_selectorELNS0_4arch9wavefront6targetE0EEEvSE_.has_indirect_call, 0
	.section	.AMDGPU.csdata,"",@progbits
; Kernel info:
; codeLenInByte = 0
; TotalNumSgprs: 0
; NumVgprs: 0
; ScratchSize: 0
; MemoryBound: 0
; FloatMode: 240
; IeeeMode: 1
; LDSByteSize: 0 bytes/workgroup (compile time only)
; SGPRBlocks: 0
; VGPRBlocks: 0
; NumSGPRsForWavesPerEU: 1
; NumVGPRsForWavesPerEU: 1
; NamedBarCnt: 0
; Occupancy: 16
; WaveLimiterHint : 0
; COMPUTE_PGM_RSRC2:SCRATCH_EN: 0
; COMPUTE_PGM_RSRC2:USER_SGPR: 2
; COMPUTE_PGM_RSRC2:TRAP_HANDLER: 0
; COMPUTE_PGM_RSRC2:TGID_X_EN: 1
; COMPUTE_PGM_RSRC2:TGID_Y_EN: 0
; COMPUTE_PGM_RSRC2:TGID_Z_EN: 0
; COMPUTE_PGM_RSRC2:TIDIG_COMP_CNT: 0
	.section	.text._ZN7rocprim17ROCPRIM_400000_NS6detail17trampoline_kernelINS0_14default_configENS1_35radix_sort_onesweep_config_selectorI6__halfNS0_10empty_typeEEEZNS1_34radix_sort_onesweep_global_offsetsIS3_Lb0EPKS5_PS6_mNS0_19identity_decomposerEEE10hipError_tT1_T2_PT3_SG_jT4_jjP12ihipStream_tbEUlT_E0_NS1_11comp_targetILNS1_3genE0ELNS1_11target_archE4294967295ELNS1_3gpuE0ELNS1_3repE0EEENS1_52radix_sort_onesweep_histogram_config_static_selectorELNS0_4arch9wavefront6targetE0EEEvSE_,"axG",@progbits,_ZN7rocprim17ROCPRIM_400000_NS6detail17trampoline_kernelINS0_14default_configENS1_35radix_sort_onesweep_config_selectorI6__halfNS0_10empty_typeEEEZNS1_34radix_sort_onesweep_global_offsetsIS3_Lb0EPKS5_PS6_mNS0_19identity_decomposerEEE10hipError_tT1_T2_PT3_SG_jT4_jjP12ihipStream_tbEUlT_E0_NS1_11comp_targetILNS1_3genE0ELNS1_11target_archE4294967295ELNS1_3gpuE0ELNS1_3repE0EEENS1_52radix_sort_onesweep_histogram_config_static_selectorELNS0_4arch9wavefront6targetE0EEEvSE_,comdat
	.protected	_ZN7rocprim17ROCPRIM_400000_NS6detail17trampoline_kernelINS0_14default_configENS1_35radix_sort_onesweep_config_selectorI6__halfNS0_10empty_typeEEEZNS1_34radix_sort_onesweep_global_offsetsIS3_Lb0EPKS5_PS6_mNS0_19identity_decomposerEEE10hipError_tT1_T2_PT3_SG_jT4_jjP12ihipStream_tbEUlT_E0_NS1_11comp_targetILNS1_3genE0ELNS1_11target_archE4294967295ELNS1_3gpuE0ELNS1_3repE0EEENS1_52radix_sort_onesweep_histogram_config_static_selectorELNS0_4arch9wavefront6targetE0EEEvSE_ ; -- Begin function _ZN7rocprim17ROCPRIM_400000_NS6detail17trampoline_kernelINS0_14default_configENS1_35radix_sort_onesweep_config_selectorI6__halfNS0_10empty_typeEEEZNS1_34radix_sort_onesweep_global_offsetsIS3_Lb0EPKS5_PS6_mNS0_19identity_decomposerEEE10hipError_tT1_T2_PT3_SG_jT4_jjP12ihipStream_tbEUlT_E0_NS1_11comp_targetILNS1_3genE0ELNS1_11target_archE4294967295ELNS1_3gpuE0ELNS1_3repE0EEENS1_52radix_sort_onesweep_histogram_config_static_selectorELNS0_4arch9wavefront6targetE0EEEvSE_
	.globl	_ZN7rocprim17ROCPRIM_400000_NS6detail17trampoline_kernelINS0_14default_configENS1_35radix_sort_onesweep_config_selectorI6__halfNS0_10empty_typeEEEZNS1_34radix_sort_onesweep_global_offsetsIS3_Lb0EPKS5_PS6_mNS0_19identity_decomposerEEE10hipError_tT1_T2_PT3_SG_jT4_jjP12ihipStream_tbEUlT_E0_NS1_11comp_targetILNS1_3genE0ELNS1_11target_archE4294967295ELNS1_3gpuE0ELNS1_3repE0EEENS1_52radix_sort_onesweep_histogram_config_static_selectorELNS0_4arch9wavefront6targetE0EEEvSE_
	.p2align	8
	.type	_ZN7rocprim17ROCPRIM_400000_NS6detail17trampoline_kernelINS0_14default_configENS1_35radix_sort_onesweep_config_selectorI6__halfNS0_10empty_typeEEEZNS1_34radix_sort_onesweep_global_offsetsIS3_Lb0EPKS5_PS6_mNS0_19identity_decomposerEEE10hipError_tT1_T2_PT3_SG_jT4_jjP12ihipStream_tbEUlT_E0_NS1_11comp_targetILNS1_3genE0ELNS1_11target_archE4294967295ELNS1_3gpuE0ELNS1_3repE0EEENS1_52radix_sort_onesweep_histogram_config_static_selectorELNS0_4arch9wavefront6targetE0EEEvSE_,@function
_ZN7rocprim17ROCPRIM_400000_NS6detail17trampoline_kernelINS0_14default_configENS1_35radix_sort_onesweep_config_selectorI6__halfNS0_10empty_typeEEEZNS1_34radix_sort_onesweep_global_offsetsIS3_Lb0EPKS5_PS6_mNS0_19identity_decomposerEEE10hipError_tT1_T2_PT3_SG_jT4_jjP12ihipStream_tbEUlT_E0_NS1_11comp_targetILNS1_3genE0ELNS1_11target_archE4294967295ELNS1_3gpuE0ELNS1_3repE0EEENS1_52radix_sort_onesweep_histogram_config_static_selectorELNS0_4arch9wavefront6targetE0EEEvSE_: ; @_ZN7rocprim17ROCPRIM_400000_NS6detail17trampoline_kernelINS0_14default_configENS1_35radix_sort_onesweep_config_selectorI6__halfNS0_10empty_typeEEEZNS1_34radix_sort_onesweep_global_offsetsIS3_Lb0EPKS5_PS6_mNS0_19identity_decomposerEEE10hipError_tT1_T2_PT3_SG_jT4_jjP12ihipStream_tbEUlT_E0_NS1_11comp_targetILNS1_3genE0ELNS1_11target_archE4294967295ELNS1_3gpuE0ELNS1_3repE0EEENS1_52radix_sort_onesweep_histogram_config_static_selectorELNS0_4arch9wavefront6targetE0EEEvSE_
; %bb.0:
	s_load_b64 s[0:1], s[0:1], 0x0
	s_bfe_u32 s2, ttmp6, 0x4000c
	s_and_b32 s3, ttmp6, 15
	s_add_co_i32 s2, s2, 1
	s_getreg_b32 s4, hwreg(HW_REG_IB_STS2, 6, 4)
	s_mul_i32 s2, ttmp9, s2
	v_cmp_gt_u32_e32 vcc_lo, 0x100, v0
	s_add_co_i32 s3, s3, s2
	s_cmp_eq_u32 s4, 0
                                        ; implicit-def: $vgpr2_vgpr3
	s_cselect_b32 s2, ttmp9, s3
	s_mov_b32 s3, 0
	s_lshl_b32 s2, s2, 8
	s_delay_alu instid0(SALU_CYCLE_1)
	s_lshl_b64 s[2:3], s[2:3], 3
	s_wait_kmcnt 0x0
	s_add_nc_u64 s[6:7], s[0:1], s[2:3]
	s_and_saveexec_b32 s0, vcc_lo
	s_cbranch_execz .LBB2241_2
; %bb.1:
	global_load_b64 v[2:3], v0, s[6:7] scale_offset
.LBB2241_2:
	s_wait_xcnt 0x0
	s_or_b32 exec_lo, exec_lo, s0
	v_mbcnt_lo_u32_b32 v1, -1, 0
	s_wait_loadcnt 0x0
	v_mov_b32_dpp v6, v2 row_shr:1 row_mask:0xf bank_mask:0xf
	v_mov_b32_dpp v9, v3 row_shr:1 row_mask:0xf bank_mask:0xf
	s_delay_alu instid0(VALU_DEP_3) | instskip(NEXT) | instid1(VALU_DEP_1)
	v_dual_mov_b32 v4, v2 :: v_dual_bitop2_b32 v10, 15, v1 bitop3:0x40
	v_cmp_ne_u32_e64 s0, 0, v10
	s_and_saveexec_b32 s1, s0
; %bb.3:
	v_mov_b32_e32 v8, 0
	s_delay_alu instid0(VALU_DEP_1) | instskip(NEXT) | instid1(VALU_DEP_1)
	v_mov_b32_e32 v7, v8
	v_add_nc_u64_e32 v[4:5], v[2:3], v[6:7]
	s_delay_alu instid0(VALU_DEP_1)
	v_add_nc_u64_e32 v[2:3], v[8:9], v[4:5]
; %bb.4:
	s_or_b32 exec_lo, exec_lo, s1
	v_mov_b32_dpp v6, v4 row_shr:2 row_mask:0xf bank_mask:0xf
	s_delay_alu instid0(VALU_DEP_2)
	v_mov_b32_dpp v9, v3 row_shr:2 row_mask:0xf bank_mask:0xf
	v_cmp_lt_u32_e64 s1, 1, v10
	s_and_saveexec_b32 s2, s1
; %bb.5:
	v_mov_b32_e32 v8, 0
	s_delay_alu instid0(VALU_DEP_1) | instskip(NEXT) | instid1(VALU_DEP_1)
	v_mov_b32_e32 v7, v8
	v_add_nc_u64_e32 v[4:5], v[2:3], v[6:7]
	s_delay_alu instid0(VALU_DEP_1)
	v_add_nc_u64_e32 v[2:3], v[8:9], v[4:5]
; %bb.6:
	s_or_b32 exec_lo, exec_lo, s2
	v_mov_b32_dpp v6, v4 row_shr:4 row_mask:0xf bank_mask:0xf
	s_delay_alu instid0(VALU_DEP_2)
	v_mov_b32_dpp v9, v3 row_shr:4 row_mask:0xf bank_mask:0xf
	v_cmp_lt_u32_e64 s2, 3, v10
	;; [unrolled: 14-line block ×3, first 2 shown]
	s_and_saveexec_b32 s4, s3
; %bb.9:
	v_mov_b32_e32 v8, 0
	s_delay_alu instid0(VALU_DEP_1) | instskip(NEXT) | instid1(VALU_DEP_1)
	v_mov_b32_e32 v7, v8
	v_add_nc_u64_e32 v[4:5], v[2:3], v[6:7]
	s_delay_alu instid0(VALU_DEP_1)
	v_add_nc_u64_e32 v[2:3], v[8:9], v[4:5]
; %bb.10:
	s_or_b32 exec_lo, exec_lo, s4
	ds_swizzle_b32 v4, v4 offset:swizzle(BROADCAST,32,15)
	ds_swizzle_b32 v7, v3 offset:swizzle(BROADCAST,32,15)
	v_and_b32_e32 v5, 16, v1
	s_mov_b32 s5, exec_lo
	s_delay_alu instid0(VALU_DEP_1)
	v_cmpx_ne_u32_e32 0, v5
	s_cbranch_execz .LBB2241_12
; %bb.11:
	v_mov_b32_e32 v6, 0
	s_delay_alu instid0(VALU_DEP_1) | instskip(SKIP_1) | instid1(VALU_DEP_1)
	v_mov_b32_e32 v5, v6
	s_wait_dscnt 0x1
	v_add_nc_u64_e32 v[2:3], v[2:3], v[4:5]
	s_wait_dscnt 0x0
	s_delay_alu instid0(VALU_DEP_1)
	v_add_nc_u64_e32 v[2:3], v[2:3], v[6:7]
.LBB2241_12:
	s_or_b32 exec_lo, exec_lo, s5
	s_wait_dscnt 0x1
	v_dual_lshrrev_b32 v12, 5, v0 :: v_dual_bitop2_b32 v4, 31, v0 bitop3:0x54
	s_mov_b32 s5, exec_lo
	s_delay_alu instid0(VALU_DEP_1)
	v_cmpx_eq_u32_e64 v0, v4
; %bb.13:
	s_delay_alu instid0(VALU_DEP_2)
	v_lshlrev_b32_e32 v4, 3, v12
	ds_store_b64 v4, v[2:3]
; %bb.14:
	s_or_b32 exec_lo, exec_lo, s5
	s_delay_alu instid0(SALU_CYCLE_1)
	s_mov_b32 s5, exec_lo
	s_wait_dscnt 0x0
	s_barrier_signal -1
	s_barrier_wait -1
	v_cmpx_gt_u32_e32 16, v0
	s_cbranch_execz .LBB2241_24
; %bb.15:
	v_lshlrev_b32_e32 v13, 3, v0
	ds_load_b64 v[4:5], v13
	s_wait_dscnt 0x0
	v_mov_b32_dpp v8, v4 row_shr:1 row_mask:0xf bank_mask:0xf
	v_mov_b32_dpp v11, v5 row_shr:1 row_mask:0xf bank_mask:0xf
	v_mov_b32_e32 v6, v4
	s_and_saveexec_b32 s4, s0
; %bb.16:
	v_mov_b32_e32 v10, 0
	s_delay_alu instid0(VALU_DEP_1) | instskip(NEXT) | instid1(VALU_DEP_1)
	v_mov_b32_e32 v9, v10
	v_add_nc_u64_e32 v[6:7], v[4:5], v[8:9]
	s_delay_alu instid0(VALU_DEP_1)
	v_add_nc_u64_e32 v[4:5], v[10:11], v[6:7]
; %bb.17:
	s_or_b32 exec_lo, exec_lo, s4
	v_mov_b32_dpp v8, v6 row_shr:2 row_mask:0xf bank_mask:0xf
	s_delay_alu instid0(VALU_DEP_2)
	v_mov_b32_dpp v11, v5 row_shr:2 row_mask:0xf bank_mask:0xf
	s_and_saveexec_b32 s0, s1
; %bb.18:
	v_mov_b32_e32 v10, 0
	s_delay_alu instid0(VALU_DEP_1) | instskip(NEXT) | instid1(VALU_DEP_1)
	v_mov_b32_e32 v9, v10
	v_add_nc_u64_e32 v[6:7], v[4:5], v[8:9]
	s_delay_alu instid0(VALU_DEP_1)
	v_add_nc_u64_e32 v[4:5], v[10:11], v[6:7]
; %bb.19:
	s_or_b32 exec_lo, exec_lo, s0
	v_mov_b32_dpp v8, v6 row_shr:4 row_mask:0xf bank_mask:0xf
	s_delay_alu instid0(VALU_DEP_2)
	v_mov_b32_dpp v11, v5 row_shr:4 row_mask:0xf bank_mask:0xf
	s_and_saveexec_b32 s0, s2
; %bb.20:
	v_mov_b32_e32 v10, 0
	s_delay_alu instid0(VALU_DEP_1) | instskip(NEXT) | instid1(VALU_DEP_1)
	v_mov_b32_e32 v9, v10
	v_add_nc_u64_e32 v[6:7], v[4:5], v[8:9]
	s_delay_alu instid0(VALU_DEP_1)
	v_add_nc_u64_e32 v[4:5], v[10:11], v[6:7]
; %bb.21:
	s_or_b32 exec_lo, exec_lo, s0
	v_mov_b32_dpp v6, v6 row_shr:8 row_mask:0xf bank_mask:0xf
	s_delay_alu instid0(VALU_DEP_2)
	v_mov_b32_dpp v9, v5 row_shr:8 row_mask:0xf bank_mask:0xf
	s_and_saveexec_b32 s0, s3
; %bb.22:
	v_mov_b32_e32 v8, 0
	s_delay_alu instid0(VALU_DEP_1) | instskip(NEXT) | instid1(VALU_DEP_1)
	v_mov_b32_e32 v7, v8
	v_add_nc_u64_e32 v[4:5], v[4:5], v[6:7]
	s_delay_alu instid0(VALU_DEP_1)
	v_add_nc_u64_e32 v[4:5], v[4:5], v[8:9]
; %bb.23:
	s_or_b32 exec_lo, exec_lo, s0
	ds_store_b64 v13, v[4:5]
.LBB2241_24:
	s_or_b32 exec_lo, exec_lo, s5
	v_mov_b64_e32 v[4:5], 0
	s_mov_b32 s1, exec_lo
	s_wait_dscnt 0x0
	s_barrier_signal -1
	s_barrier_wait -1
	v_cmpx_lt_u32_e32 31, v0
; %bb.25:
	v_lshl_add_u32 v4, v12, 3, -8
	ds_load_b64 v[4:5], v4
; %bb.26:
	s_or_b32 exec_lo, exec_lo, s1
	v_add_nc_u32_e32 v6, -1, v1
	s_wait_dscnt 0x0
	v_add_nc_u64_e32 v[2:3], v[4:5], v[2:3]
	s_delay_alu instid0(VALU_DEP_2) | instskip(NEXT) | instid1(VALU_DEP_1)
	v_cmp_gt_i32_e64 s0, 0, v6
	v_cndmask_b32_e64 v6, v6, v1, s0
	s_delay_alu instid0(VALU_DEP_1)
	v_lshlrev_b32_e32 v6, 2, v6
	ds_bpermute_b32 v2, v6, v2
	ds_bpermute_b32 v3, v6, v3
	s_and_saveexec_b32 s0, vcc_lo
	s_cbranch_execz .LBB2241_28
; %bb.27:
	v_cmp_eq_u32_e32 vcc_lo, 0, v1
	s_wait_dscnt 0x0
	v_dual_cndmask_b32 v3, v3, v5 :: v_dual_cndmask_b32 v2, v2, v4
	global_store_b64 v0, v[2:3], s[6:7] scale_offset
.LBB2241_28:
	s_endpgm
	.section	.rodata,"a",@progbits
	.p2align	6, 0x0
	.amdhsa_kernel _ZN7rocprim17ROCPRIM_400000_NS6detail17trampoline_kernelINS0_14default_configENS1_35radix_sort_onesweep_config_selectorI6__halfNS0_10empty_typeEEEZNS1_34radix_sort_onesweep_global_offsetsIS3_Lb0EPKS5_PS6_mNS0_19identity_decomposerEEE10hipError_tT1_T2_PT3_SG_jT4_jjP12ihipStream_tbEUlT_E0_NS1_11comp_targetILNS1_3genE0ELNS1_11target_archE4294967295ELNS1_3gpuE0ELNS1_3repE0EEENS1_52radix_sort_onesweep_histogram_config_static_selectorELNS0_4arch9wavefront6targetE0EEEvSE_
		.amdhsa_group_segment_fixed_size 128
		.amdhsa_private_segment_fixed_size 0
		.amdhsa_kernarg_size 8
		.amdhsa_user_sgpr_count 2
		.amdhsa_user_sgpr_dispatch_ptr 0
		.amdhsa_user_sgpr_queue_ptr 0
		.amdhsa_user_sgpr_kernarg_segment_ptr 1
		.amdhsa_user_sgpr_dispatch_id 0
		.amdhsa_user_sgpr_kernarg_preload_length 0
		.amdhsa_user_sgpr_kernarg_preload_offset 0
		.amdhsa_user_sgpr_private_segment_size 0
		.amdhsa_wavefront_size32 1
		.amdhsa_uses_dynamic_stack 0
		.amdhsa_enable_private_segment 0
		.amdhsa_system_sgpr_workgroup_id_x 1
		.amdhsa_system_sgpr_workgroup_id_y 0
		.amdhsa_system_sgpr_workgroup_id_z 0
		.amdhsa_system_sgpr_workgroup_info 0
		.amdhsa_system_vgpr_workitem_id 0
		.amdhsa_next_free_vgpr 14
		.amdhsa_next_free_sgpr 8
		.amdhsa_named_barrier_count 0
		.amdhsa_reserve_vcc 1
		.amdhsa_float_round_mode_32 0
		.amdhsa_float_round_mode_16_64 0
		.amdhsa_float_denorm_mode_32 3
		.amdhsa_float_denorm_mode_16_64 3
		.amdhsa_fp16_overflow 0
		.amdhsa_memory_ordered 1
		.amdhsa_forward_progress 1
		.amdhsa_inst_pref_size 7
		.amdhsa_round_robin_scheduling 0
		.amdhsa_exception_fp_ieee_invalid_op 0
		.amdhsa_exception_fp_denorm_src 0
		.amdhsa_exception_fp_ieee_div_zero 0
		.amdhsa_exception_fp_ieee_overflow 0
		.amdhsa_exception_fp_ieee_underflow 0
		.amdhsa_exception_fp_ieee_inexact 0
		.amdhsa_exception_int_div_zero 0
	.end_amdhsa_kernel
	.section	.text._ZN7rocprim17ROCPRIM_400000_NS6detail17trampoline_kernelINS0_14default_configENS1_35radix_sort_onesweep_config_selectorI6__halfNS0_10empty_typeEEEZNS1_34radix_sort_onesweep_global_offsetsIS3_Lb0EPKS5_PS6_mNS0_19identity_decomposerEEE10hipError_tT1_T2_PT3_SG_jT4_jjP12ihipStream_tbEUlT_E0_NS1_11comp_targetILNS1_3genE0ELNS1_11target_archE4294967295ELNS1_3gpuE0ELNS1_3repE0EEENS1_52radix_sort_onesweep_histogram_config_static_selectorELNS0_4arch9wavefront6targetE0EEEvSE_,"axG",@progbits,_ZN7rocprim17ROCPRIM_400000_NS6detail17trampoline_kernelINS0_14default_configENS1_35radix_sort_onesweep_config_selectorI6__halfNS0_10empty_typeEEEZNS1_34radix_sort_onesweep_global_offsetsIS3_Lb0EPKS5_PS6_mNS0_19identity_decomposerEEE10hipError_tT1_T2_PT3_SG_jT4_jjP12ihipStream_tbEUlT_E0_NS1_11comp_targetILNS1_3genE0ELNS1_11target_archE4294967295ELNS1_3gpuE0ELNS1_3repE0EEENS1_52radix_sort_onesweep_histogram_config_static_selectorELNS0_4arch9wavefront6targetE0EEEvSE_,comdat
.Lfunc_end2241:
	.size	_ZN7rocprim17ROCPRIM_400000_NS6detail17trampoline_kernelINS0_14default_configENS1_35radix_sort_onesweep_config_selectorI6__halfNS0_10empty_typeEEEZNS1_34radix_sort_onesweep_global_offsetsIS3_Lb0EPKS5_PS6_mNS0_19identity_decomposerEEE10hipError_tT1_T2_PT3_SG_jT4_jjP12ihipStream_tbEUlT_E0_NS1_11comp_targetILNS1_3genE0ELNS1_11target_archE4294967295ELNS1_3gpuE0ELNS1_3repE0EEENS1_52radix_sort_onesweep_histogram_config_static_selectorELNS0_4arch9wavefront6targetE0EEEvSE_, .Lfunc_end2241-_ZN7rocprim17ROCPRIM_400000_NS6detail17trampoline_kernelINS0_14default_configENS1_35radix_sort_onesweep_config_selectorI6__halfNS0_10empty_typeEEEZNS1_34radix_sort_onesweep_global_offsetsIS3_Lb0EPKS5_PS6_mNS0_19identity_decomposerEEE10hipError_tT1_T2_PT3_SG_jT4_jjP12ihipStream_tbEUlT_E0_NS1_11comp_targetILNS1_3genE0ELNS1_11target_archE4294967295ELNS1_3gpuE0ELNS1_3repE0EEENS1_52radix_sort_onesweep_histogram_config_static_selectorELNS0_4arch9wavefront6targetE0EEEvSE_
                                        ; -- End function
	.set _ZN7rocprim17ROCPRIM_400000_NS6detail17trampoline_kernelINS0_14default_configENS1_35radix_sort_onesweep_config_selectorI6__halfNS0_10empty_typeEEEZNS1_34radix_sort_onesweep_global_offsetsIS3_Lb0EPKS5_PS6_mNS0_19identity_decomposerEEE10hipError_tT1_T2_PT3_SG_jT4_jjP12ihipStream_tbEUlT_E0_NS1_11comp_targetILNS1_3genE0ELNS1_11target_archE4294967295ELNS1_3gpuE0ELNS1_3repE0EEENS1_52radix_sort_onesweep_histogram_config_static_selectorELNS0_4arch9wavefront6targetE0EEEvSE_.num_vgpr, 14
	.set _ZN7rocprim17ROCPRIM_400000_NS6detail17trampoline_kernelINS0_14default_configENS1_35radix_sort_onesweep_config_selectorI6__halfNS0_10empty_typeEEEZNS1_34radix_sort_onesweep_global_offsetsIS3_Lb0EPKS5_PS6_mNS0_19identity_decomposerEEE10hipError_tT1_T2_PT3_SG_jT4_jjP12ihipStream_tbEUlT_E0_NS1_11comp_targetILNS1_3genE0ELNS1_11target_archE4294967295ELNS1_3gpuE0ELNS1_3repE0EEENS1_52radix_sort_onesweep_histogram_config_static_selectorELNS0_4arch9wavefront6targetE0EEEvSE_.num_agpr, 0
	.set _ZN7rocprim17ROCPRIM_400000_NS6detail17trampoline_kernelINS0_14default_configENS1_35radix_sort_onesweep_config_selectorI6__halfNS0_10empty_typeEEEZNS1_34radix_sort_onesweep_global_offsetsIS3_Lb0EPKS5_PS6_mNS0_19identity_decomposerEEE10hipError_tT1_T2_PT3_SG_jT4_jjP12ihipStream_tbEUlT_E0_NS1_11comp_targetILNS1_3genE0ELNS1_11target_archE4294967295ELNS1_3gpuE0ELNS1_3repE0EEENS1_52radix_sort_onesweep_histogram_config_static_selectorELNS0_4arch9wavefront6targetE0EEEvSE_.numbered_sgpr, 8
	.set _ZN7rocprim17ROCPRIM_400000_NS6detail17trampoline_kernelINS0_14default_configENS1_35radix_sort_onesweep_config_selectorI6__halfNS0_10empty_typeEEEZNS1_34radix_sort_onesweep_global_offsetsIS3_Lb0EPKS5_PS6_mNS0_19identity_decomposerEEE10hipError_tT1_T2_PT3_SG_jT4_jjP12ihipStream_tbEUlT_E0_NS1_11comp_targetILNS1_3genE0ELNS1_11target_archE4294967295ELNS1_3gpuE0ELNS1_3repE0EEENS1_52radix_sort_onesweep_histogram_config_static_selectorELNS0_4arch9wavefront6targetE0EEEvSE_.num_named_barrier, 0
	.set _ZN7rocprim17ROCPRIM_400000_NS6detail17trampoline_kernelINS0_14default_configENS1_35radix_sort_onesweep_config_selectorI6__halfNS0_10empty_typeEEEZNS1_34radix_sort_onesweep_global_offsetsIS3_Lb0EPKS5_PS6_mNS0_19identity_decomposerEEE10hipError_tT1_T2_PT3_SG_jT4_jjP12ihipStream_tbEUlT_E0_NS1_11comp_targetILNS1_3genE0ELNS1_11target_archE4294967295ELNS1_3gpuE0ELNS1_3repE0EEENS1_52radix_sort_onesweep_histogram_config_static_selectorELNS0_4arch9wavefront6targetE0EEEvSE_.private_seg_size, 0
	.set _ZN7rocprim17ROCPRIM_400000_NS6detail17trampoline_kernelINS0_14default_configENS1_35radix_sort_onesweep_config_selectorI6__halfNS0_10empty_typeEEEZNS1_34radix_sort_onesweep_global_offsetsIS3_Lb0EPKS5_PS6_mNS0_19identity_decomposerEEE10hipError_tT1_T2_PT3_SG_jT4_jjP12ihipStream_tbEUlT_E0_NS1_11comp_targetILNS1_3genE0ELNS1_11target_archE4294967295ELNS1_3gpuE0ELNS1_3repE0EEENS1_52radix_sort_onesweep_histogram_config_static_selectorELNS0_4arch9wavefront6targetE0EEEvSE_.uses_vcc, 1
	.set _ZN7rocprim17ROCPRIM_400000_NS6detail17trampoline_kernelINS0_14default_configENS1_35radix_sort_onesweep_config_selectorI6__halfNS0_10empty_typeEEEZNS1_34radix_sort_onesweep_global_offsetsIS3_Lb0EPKS5_PS6_mNS0_19identity_decomposerEEE10hipError_tT1_T2_PT3_SG_jT4_jjP12ihipStream_tbEUlT_E0_NS1_11comp_targetILNS1_3genE0ELNS1_11target_archE4294967295ELNS1_3gpuE0ELNS1_3repE0EEENS1_52radix_sort_onesweep_histogram_config_static_selectorELNS0_4arch9wavefront6targetE0EEEvSE_.uses_flat_scratch, 0
	.set _ZN7rocprim17ROCPRIM_400000_NS6detail17trampoline_kernelINS0_14default_configENS1_35radix_sort_onesweep_config_selectorI6__halfNS0_10empty_typeEEEZNS1_34radix_sort_onesweep_global_offsetsIS3_Lb0EPKS5_PS6_mNS0_19identity_decomposerEEE10hipError_tT1_T2_PT3_SG_jT4_jjP12ihipStream_tbEUlT_E0_NS1_11comp_targetILNS1_3genE0ELNS1_11target_archE4294967295ELNS1_3gpuE0ELNS1_3repE0EEENS1_52radix_sort_onesweep_histogram_config_static_selectorELNS0_4arch9wavefront6targetE0EEEvSE_.has_dyn_sized_stack, 0
	.set _ZN7rocprim17ROCPRIM_400000_NS6detail17trampoline_kernelINS0_14default_configENS1_35radix_sort_onesweep_config_selectorI6__halfNS0_10empty_typeEEEZNS1_34radix_sort_onesweep_global_offsetsIS3_Lb0EPKS5_PS6_mNS0_19identity_decomposerEEE10hipError_tT1_T2_PT3_SG_jT4_jjP12ihipStream_tbEUlT_E0_NS1_11comp_targetILNS1_3genE0ELNS1_11target_archE4294967295ELNS1_3gpuE0ELNS1_3repE0EEENS1_52radix_sort_onesweep_histogram_config_static_selectorELNS0_4arch9wavefront6targetE0EEEvSE_.has_recursion, 0
	.set _ZN7rocprim17ROCPRIM_400000_NS6detail17trampoline_kernelINS0_14default_configENS1_35radix_sort_onesweep_config_selectorI6__halfNS0_10empty_typeEEEZNS1_34radix_sort_onesweep_global_offsetsIS3_Lb0EPKS5_PS6_mNS0_19identity_decomposerEEE10hipError_tT1_T2_PT3_SG_jT4_jjP12ihipStream_tbEUlT_E0_NS1_11comp_targetILNS1_3genE0ELNS1_11target_archE4294967295ELNS1_3gpuE0ELNS1_3repE0EEENS1_52radix_sort_onesweep_histogram_config_static_selectorELNS0_4arch9wavefront6targetE0EEEvSE_.has_indirect_call, 0
	.section	.AMDGPU.csdata,"",@progbits
; Kernel info:
; codeLenInByte = 896
; TotalNumSgprs: 10
; NumVgprs: 14
; ScratchSize: 0
; MemoryBound: 0
; FloatMode: 240
; IeeeMode: 1
; LDSByteSize: 128 bytes/workgroup (compile time only)
; SGPRBlocks: 0
; VGPRBlocks: 0
; NumSGPRsForWavesPerEU: 10
; NumVGPRsForWavesPerEU: 14
; NamedBarCnt: 0
; Occupancy: 16
; WaveLimiterHint : 0
; COMPUTE_PGM_RSRC2:SCRATCH_EN: 0
; COMPUTE_PGM_RSRC2:USER_SGPR: 2
; COMPUTE_PGM_RSRC2:TRAP_HANDLER: 0
; COMPUTE_PGM_RSRC2:TGID_X_EN: 1
; COMPUTE_PGM_RSRC2:TGID_Y_EN: 0
; COMPUTE_PGM_RSRC2:TGID_Z_EN: 0
; COMPUTE_PGM_RSRC2:TIDIG_COMP_CNT: 0
	.section	.text._ZN7rocprim17ROCPRIM_400000_NS6detail17trampoline_kernelINS0_14default_configENS1_35radix_sort_onesweep_config_selectorI6__halfNS0_10empty_typeEEEZNS1_34radix_sort_onesweep_global_offsetsIS3_Lb0EPKS5_PS6_mNS0_19identity_decomposerEEE10hipError_tT1_T2_PT3_SG_jT4_jjP12ihipStream_tbEUlT_E0_NS1_11comp_targetILNS1_3genE6ELNS1_11target_archE950ELNS1_3gpuE13ELNS1_3repE0EEENS1_52radix_sort_onesweep_histogram_config_static_selectorELNS0_4arch9wavefront6targetE0EEEvSE_,"axG",@progbits,_ZN7rocprim17ROCPRIM_400000_NS6detail17trampoline_kernelINS0_14default_configENS1_35radix_sort_onesweep_config_selectorI6__halfNS0_10empty_typeEEEZNS1_34radix_sort_onesweep_global_offsetsIS3_Lb0EPKS5_PS6_mNS0_19identity_decomposerEEE10hipError_tT1_T2_PT3_SG_jT4_jjP12ihipStream_tbEUlT_E0_NS1_11comp_targetILNS1_3genE6ELNS1_11target_archE950ELNS1_3gpuE13ELNS1_3repE0EEENS1_52radix_sort_onesweep_histogram_config_static_selectorELNS0_4arch9wavefront6targetE0EEEvSE_,comdat
	.protected	_ZN7rocprim17ROCPRIM_400000_NS6detail17trampoline_kernelINS0_14default_configENS1_35radix_sort_onesweep_config_selectorI6__halfNS0_10empty_typeEEEZNS1_34radix_sort_onesweep_global_offsetsIS3_Lb0EPKS5_PS6_mNS0_19identity_decomposerEEE10hipError_tT1_T2_PT3_SG_jT4_jjP12ihipStream_tbEUlT_E0_NS1_11comp_targetILNS1_3genE6ELNS1_11target_archE950ELNS1_3gpuE13ELNS1_3repE0EEENS1_52radix_sort_onesweep_histogram_config_static_selectorELNS0_4arch9wavefront6targetE0EEEvSE_ ; -- Begin function _ZN7rocprim17ROCPRIM_400000_NS6detail17trampoline_kernelINS0_14default_configENS1_35radix_sort_onesweep_config_selectorI6__halfNS0_10empty_typeEEEZNS1_34radix_sort_onesweep_global_offsetsIS3_Lb0EPKS5_PS6_mNS0_19identity_decomposerEEE10hipError_tT1_T2_PT3_SG_jT4_jjP12ihipStream_tbEUlT_E0_NS1_11comp_targetILNS1_3genE6ELNS1_11target_archE950ELNS1_3gpuE13ELNS1_3repE0EEENS1_52radix_sort_onesweep_histogram_config_static_selectorELNS0_4arch9wavefront6targetE0EEEvSE_
	.globl	_ZN7rocprim17ROCPRIM_400000_NS6detail17trampoline_kernelINS0_14default_configENS1_35radix_sort_onesweep_config_selectorI6__halfNS0_10empty_typeEEEZNS1_34radix_sort_onesweep_global_offsetsIS3_Lb0EPKS5_PS6_mNS0_19identity_decomposerEEE10hipError_tT1_T2_PT3_SG_jT4_jjP12ihipStream_tbEUlT_E0_NS1_11comp_targetILNS1_3genE6ELNS1_11target_archE950ELNS1_3gpuE13ELNS1_3repE0EEENS1_52radix_sort_onesweep_histogram_config_static_selectorELNS0_4arch9wavefront6targetE0EEEvSE_
	.p2align	8
	.type	_ZN7rocprim17ROCPRIM_400000_NS6detail17trampoline_kernelINS0_14default_configENS1_35radix_sort_onesweep_config_selectorI6__halfNS0_10empty_typeEEEZNS1_34radix_sort_onesweep_global_offsetsIS3_Lb0EPKS5_PS6_mNS0_19identity_decomposerEEE10hipError_tT1_T2_PT3_SG_jT4_jjP12ihipStream_tbEUlT_E0_NS1_11comp_targetILNS1_3genE6ELNS1_11target_archE950ELNS1_3gpuE13ELNS1_3repE0EEENS1_52radix_sort_onesweep_histogram_config_static_selectorELNS0_4arch9wavefront6targetE0EEEvSE_,@function
_ZN7rocprim17ROCPRIM_400000_NS6detail17trampoline_kernelINS0_14default_configENS1_35radix_sort_onesweep_config_selectorI6__halfNS0_10empty_typeEEEZNS1_34radix_sort_onesweep_global_offsetsIS3_Lb0EPKS5_PS6_mNS0_19identity_decomposerEEE10hipError_tT1_T2_PT3_SG_jT4_jjP12ihipStream_tbEUlT_E0_NS1_11comp_targetILNS1_3genE6ELNS1_11target_archE950ELNS1_3gpuE13ELNS1_3repE0EEENS1_52radix_sort_onesweep_histogram_config_static_selectorELNS0_4arch9wavefront6targetE0EEEvSE_: ; @_ZN7rocprim17ROCPRIM_400000_NS6detail17trampoline_kernelINS0_14default_configENS1_35radix_sort_onesweep_config_selectorI6__halfNS0_10empty_typeEEEZNS1_34radix_sort_onesweep_global_offsetsIS3_Lb0EPKS5_PS6_mNS0_19identity_decomposerEEE10hipError_tT1_T2_PT3_SG_jT4_jjP12ihipStream_tbEUlT_E0_NS1_11comp_targetILNS1_3genE6ELNS1_11target_archE950ELNS1_3gpuE13ELNS1_3repE0EEENS1_52radix_sort_onesweep_histogram_config_static_selectorELNS0_4arch9wavefront6targetE0EEEvSE_
; %bb.0:
	.section	.rodata,"a",@progbits
	.p2align	6, 0x0
	.amdhsa_kernel _ZN7rocprim17ROCPRIM_400000_NS6detail17trampoline_kernelINS0_14default_configENS1_35radix_sort_onesweep_config_selectorI6__halfNS0_10empty_typeEEEZNS1_34radix_sort_onesweep_global_offsetsIS3_Lb0EPKS5_PS6_mNS0_19identity_decomposerEEE10hipError_tT1_T2_PT3_SG_jT4_jjP12ihipStream_tbEUlT_E0_NS1_11comp_targetILNS1_3genE6ELNS1_11target_archE950ELNS1_3gpuE13ELNS1_3repE0EEENS1_52radix_sort_onesweep_histogram_config_static_selectorELNS0_4arch9wavefront6targetE0EEEvSE_
		.amdhsa_group_segment_fixed_size 0
		.amdhsa_private_segment_fixed_size 0
		.amdhsa_kernarg_size 8
		.amdhsa_user_sgpr_count 2
		.amdhsa_user_sgpr_dispatch_ptr 0
		.amdhsa_user_sgpr_queue_ptr 0
		.amdhsa_user_sgpr_kernarg_segment_ptr 1
		.amdhsa_user_sgpr_dispatch_id 0
		.amdhsa_user_sgpr_kernarg_preload_length 0
		.amdhsa_user_sgpr_kernarg_preload_offset 0
		.amdhsa_user_sgpr_private_segment_size 0
		.amdhsa_wavefront_size32 1
		.amdhsa_uses_dynamic_stack 0
		.amdhsa_enable_private_segment 0
		.amdhsa_system_sgpr_workgroup_id_x 1
		.amdhsa_system_sgpr_workgroup_id_y 0
		.amdhsa_system_sgpr_workgroup_id_z 0
		.amdhsa_system_sgpr_workgroup_info 0
		.amdhsa_system_vgpr_workitem_id 0
		.amdhsa_next_free_vgpr 1
		.amdhsa_next_free_sgpr 1
		.amdhsa_named_barrier_count 0
		.amdhsa_reserve_vcc 0
		.amdhsa_float_round_mode_32 0
		.amdhsa_float_round_mode_16_64 0
		.amdhsa_float_denorm_mode_32 3
		.amdhsa_float_denorm_mode_16_64 3
		.amdhsa_fp16_overflow 0
		.amdhsa_memory_ordered 1
		.amdhsa_forward_progress 1
		.amdhsa_inst_pref_size 0
		.amdhsa_round_robin_scheduling 0
		.amdhsa_exception_fp_ieee_invalid_op 0
		.amdhsa_exception_fp_denorm_src 0
		.amdhsa_exception_fp_ieee_div_zero 0
		.amdhsa_exception_fp_ieee_overflow 0
		.amdhsa_exception_fp_ieee_underflow 0
		.amdhsa_exception_fp_ieee_inexact 0
		.amdhsa_exception_int_div_zero 0
	.end_amdhsa_kernel
	.section	.text._ZN7rocprim17ROCPRIM_400000_NS6detail17trampoline_kernelINS0_14default_configENS1_35radix_sort_onesweep_config_selectorI6__halfNS0_10empty_typeEEEZNS1_34radix_sort_onesweep_global_offsetsIS3_Lb0EPKS5_PS6_mNS0_19identity_decomposerEEE10hipError_tT1_T2_PT3_SG_jT4_jjP12ihipStream_tbEUlT_E0_NS1_11comp_targetILNS1_3genE6ELNS1_11target_archE950ELNS1_3gpuE13ELNS1_3repE0EEENS1_52radix_sort_onesweep_histogram_config_static_selectorELNS0_4arch9wavefront6targetE0EEEvSE_,"axG",@progbits,_ZN7rocprim17ROCPRIM_400000_NS6detail17trampoline_kernelINS0_14default_configENS1_35radix_sort_onesweep_config_selectorI6__halfNS0_10empty_typeEEEZNS1_34radix_sort_onesweep_global_offsetsIS3_Lb0EPKS5_PS6_mNS0_19identity_decomposerEEE10hipError_tT1_T2_PT3_SG_jT4_jjP12ihipStream_tbEUlT_E0_NS1_11comp_targetILNS1_3genE6ELNS1_11target_archE950ELNS1_3gpuE13ELNS1_3repE0EEENS1_52radix_sort_onesweep_histogram_config_static_selectorELNS0_4arch9wavefront6targetE0EEEvSE_,comdat
.Lfunc_end2242:
	.size	_ZN7rocprim17ROCPRIM_400000_NS6detail17trampoline_kernelINS0_14default_configENS1_35radix_sort_onesweep_config_selectorI6__halfNS0_10empty_typeEEEZNS1_34radix_sort_onesweep_global_offsetsIS3_Lb0EPKS5_PS6_mNS0_19identity_decomposerEEE10hipError_tT1_T2_PT3_SG_jT4_jjP12ihipStream_tbEUlT_E0_NS1_11comp_targetILNS1_3genE6ELNS1_11target_archE950ELNS1_3gpuE13ELNS1_3repE0EEENS1_52radix_sort_onesweep_histogram_config_static_selectorELNS0_4arch9wavefront6targetE0EEEvSE_, .Lfunc_end2242-_ZN7rocprim17ROCPRIM_400000_NS6detail17trampoline_kernelINS0_14default_configENS1_35radix_sort_onesweep_config_selectorI6__halfNS0_10empty_typeEEEZNS1_34radix_sort_onesweep_global_offsetsIS3_Lb0EPKS5_PS6_mNS0_19identity_decomposerEEE10hipError_tT1_T2_PT3_SG_jT4_jjP12ihipStream_tbEUlT_E0_NS1_11comp_targetILNS1_3genE6ELNS1_11target_archE950ELNS1_3gpuE13ELNS1_3repE0EEENS1_52radix_sort_onesweep_histogram_config_static_selectorELNS0_4arch9wavefront6targetE0EEEvSE_
                                        ; -- End function
	.set _ZN7rocprim17ROCPRIM_400000_NS6detail17trampoline_kernelINS0_14default_configENS1_35radix_sort_onesweep_config_selectorI6__halfNS0_10empty_typeEEEZNS1_34radix_sort_onesweep_global_offsetsIS3_Lb0EPKS5_PS6_mNS0_19identity_decomposerEEE10hipError_tT1_T2_PT3_SG_jT4_jjP12ihipStream_tbEUlT_E0_NS1_11comp_targetILNS1_3genE6ELNS1_11target_archE950ELNS1_3gpuE13ELNS1_3repE0EEENS1_52radix_sort_onesweep_histogram_config_static_selectorELNS0_4arch9wavefront6targetE0EEEvSE_.num_vgpr, 0
	.set _ZN7rocprim17ROCPRIM_400000_NS6detail17trampoline_kernelINS0_14default_configENS1_35radix_sort_onesweep_config_selectorI6__halfNS0_10empty_typeEEEZNS1_34radix_sort_onesweep_global_offsetsIS3_Lb0EPKS5_PS6_mNS0_19identity_decomposerEEE10hipError_tT1_T2_PT3_SG_jT4_jjP12ihipStream_tbEUlT_E0_NS1_11comp_targetILNS1_3genE6ELNS1_11target_archE950ELNS1_3gpuE13ELNS1_3repE0EEENS1_52radix_sort_onesweep_histogram_config_static_selectorELNS0_4arch9wavefront6targetE0EEEvSE_.num_agpr, 0
	.set _ZN7rocprim17ROCPRIM_400000_NS6detail17trampoline_kernelINS0_14default_configENS1_35radix_sort_onesweep_config_selectorI6__halfNS0_10empty_typeEEEZNS1_34radix_sort_onesweep_global_offsetsIS3_Lb0EPKS5_PS6_mNS0_19identity_decomposerEEE10hipError_tT1_T2_PT3_SG_jT4_jjP12ihipStream_tbEUlT_E0_NS1_11comp_targetILNS1_3genE6ELNS1_11target_archE950ELNS1_3gpuE13ELNS1_3repE0EEENS1_52radix_sort_onesweep_histogram_config_static_selectorELNS0_4arch9wavefront6targetE0EEEvSE_.numbered_sgpr, 0
	.set _ZN7rocprim17ROCPRIM_400000_NS6detail17trampoline_kernelINS0_14default_configENS1_35radix_sort_onesweep_config_selectorI6__halfNS0_10empty_typeEEEZNS1_34radix_sort_onesweep_global_offsetsIS3_Lb0EPKS5_PS6_mNS0_19identity_decomposerEEE10hipError_tT1_T2_PT3_SG_jT4_jjP12ihipStream_tbEUlT_E0_NS1_11comp_targetILNS1_3genE6ELNS1_11target_archE950ELNS1_3gpuE13ELNS1_3repE0EEENS1_52radix_sort_onesweep_histogram_config_static_selectorELNS0_4arch9wavefront6targetE0EEEvSE_.num_named_barrier, 0
	.set _ZN7rocprim17ROCPRIM_400000_NS6detail17trampoline_kernelINS0_14default_configENS1_35radix_sort_onesweep_config_selectorI6__halfNS0_10empty_typeEEEZNS1_34radix_sort_onesweep_global_offsetsIS3_Lb0EPKS5_PS6_mNS0_19identity_decomposerEEE10hipError_tT1_T2_PT3_SG_jT4_jjP12ihipStream_tbEUlT_E0_NS1_11comp_targetILNS1_3genE6ELNS1_11target_archE950ELNS1_3gpuE13ELNS1_3repE0EEENS1_52radix_sort_onesweep_histogram_config_static_selectorELNS0_4arch9wavefront6targetE0EEEvSE_.private_seg_size, 0
	.set _ZN7rocprim17ROCPRIM_400000_NS6detail17trampoline_kernelINS0_14default_configENS1_35radix_sort_onesweep_config_selectorI6__halfNS0_10empty_typeEEEZNS1_34radix_sort_onesweep_global_offsetsIS3_Lb0EPKS5_PS6_mNS0_19identity_decomposerEEE10hipError_tT1_T2_PT3_SG_jT4_jjP12ihipStream_tbEUlT_E0_NS1_11comp_targetILNS1_3genE6ELNS1_11target_archE950ELNS1_3gpuE13ELNS1_3repE0EEENS1_52radix_sort_onesweep_histogram_config_static_selectorELNS0_4arch9wavefront6targetE0EEEvSE_.uses_vcc, 0
	.set _ZN7rocprim17ROCPRIM_400000_NS6detail17trampoline_kernelINS0_14default_configENS1_35radix_sort_onesweep_config_selectorI6__halfNS0_10empty_typeEEEZNS1_34radix_sort_onesweep_global_offsetsIS3_Lb0EPKS5_PS6_mNS0_19identity_decomposerEEE10hipError_tT1_T2_PT3_SG_jT4_jjP12ihipStream_tbEUlT_E0_NS1_11comp_targetILNS1_3genE6ELNS1_11target_archE950ELNS1_3gpuE13ELNS1_3repE0EEENS1_52radix_sort_onesweep_histogram_config_static_selectorELNS0_4arch9wavefront6targetE0EEEvSE_.uses_flat_scratch, 0
	.set _ZN7rocprim17ROCPRIM_400000_NS6detail17trampoline_kernelINS0_14default_configENS1_35radix_sort_onesweep_config_selectorI6__halfNS0_10empty_typeEEEZNS1_34radix_sort_onesweep_global_offsetsIS3_Lb0EPKS5_PS6_mNS0_19identity_decomposerEEE10hipError_tT1_T2_PT3_SG_jT4_jjP12ihipStream_tbEUlT_E0_NS1_11comp_targetILNS1_3genE6ELNS1_11target_archE950ELNS1_3gpuE13ELNS1_3repE0EEENS1_52radix_sort_onesweep_histogram_config_static_selectorELNS0_4arch9wavefront6targetE0EEEvSE_.has_dyn_sized_stack, 0
	.set _ZN7rocprim17ROCPRIM_400000_NS6detail17trampoline_kernelINS0_14default_configENS1_35radix_sort_onesweep_config_selectorI6__halfNS0_10empty_typeEEEZNS1_34radix_sort_onesweep_global_offsetsIS3_Lb0EPKS5_PS6_mNS0_19identity_decomposerEEE10hipError_tT1_T2_PT3_SG_jT4_jjP12ihipStream_tbEUlT_E0_NS1_11comp_targetILNS1_3genE6ELNS1_11target_archE950ELNS1_3gpuE13ELNS1_3repE0EEENS1_52radix_sort_onesweep_histogram_config_static_selectorELNS0_4arch9wavefront6targetE0EEEvSE_.has_recursion, 0
	.set _ZN7rocprim17ROCPRIM_400000_NS6detail17trampoline_kernelINS0_14default_configENS1_35radix_sort_onesweep_config_selectorI6__halfNS0_10empty_typeEEEZNS1_34radix_sort_onesweep_global_offsetsIS3_Lb0EPKS5_PS6_mNS0_19identity_decomposerEEE10hipError_tT1_T2_PT3_SG_jT4_jjP12ihipStream_tbEUlT_E0_NS1_11comp_targetILNS1_3genE6ELNS1_11target_archE950ELNS1_3gpuE13ELNS1_3repE0EEENS1_52radix_sort_onesweep_histogram_config_static_selectorELNS0_4arch9wavefront6targetE0EEEvSE_.has_indirect_call, 0
	.section	.AMDGPU.csdata,"",@progbits
; Kernel info:
; codeLenInByte = 0
; TotalNumSgprs: 0
; NumVgprs: 0
; ScratchSize: 0
; MemoryBound: 0
; FloatMode: 240
; IeeeMode: 1
; LDSByteSize: 0 bytes/workgroup (compile time only)
; SGPRBlocks: 0
; VGPRBlocks: 0
; NumSGPRsForWavesPerEU: 1
; NumVGPRsForWavesPerEU: 1
; NamedBarCnt: 0
; Occupancy: 16
; WaveLimiterHint : 0
; COMPUTE_PGM_RSRC2:SCRATCH_EN: 0
; COMPUTE_PGM_RSRC2:USER_SGPR: 2
; COMPUTE_PGM_RSRC2:TRAP_HANDLER: 0
; COMPUTE_PGM_RSRC2:TGID_X_EN: 1
; COMPUTE_PGM_RSRC2:TGID_Y_EN: 0
; COMPUTE_PGM_RSRC2:TGID_Z_EN: 0
; COMPUTE_PGM_RSRC2:TIDIG_COMP_CNT: 0
	.section	.text._ZN7rocprim17ROCPRIM_400000_NS6detail17trampoline_kernelINS0_14default_configENS1_35radix_sort_onesweep_config_selectorI6__halfNS0_10empty_typeEEEZNS1_34radix_sort_onesweep_global_offsetsIS3_Lb0EPKS5_PS6_mNS0_19identity_decomposerEEE10hipError_tT1_T2_PT3_SG_jT4_jjP12ihipStream_tbEUlT_E0_NS1_11comp_targetILNS1_3genE5ELNS1_11target_archE942ELNS1_3gpuE9ELNS1_3repE0EEENS1_52radix_sort_onesweep_histogram_config_static_selectorELNS0_4arch9wavefront6targetE0EEEvSE_,"axG",@progbits,_ZN7rocprim17ROCPRIM_400000_NS6detail17trampoline_kernelINS0_14default_configENS1_35radix_sort_onesweep_config_selectorI6__halfNS0_10empty_typeEEEZNS1_34radix_sort_onesweep_global_offsetsIS3_Lb0EPKS5_PS6_mNS0_19identity_decomposerEEE10hipError_tT1_T2_PT3_SG_jT4_jjP12ihipStream_tbEUlT_E0_NS1_11comp_targetILNS1_3genE5ELNS1_11target_archE942ELNS1_3gpuE9ELNS1_3repE0EEENS1_52radix_sort_onesweep_histogram_config_static_selectorELNS0_4arch9wavefront6targetE0EEEvSE_,comdat
	.protected	_ZN7rocprim17ROCPRIM_400000_NS6detail17trampoline_kernelINS0_14default_configENS1_35radix_sort_onesweep_config_selectorI6__halfNS0_10empty_typeEEEZNS1_34radix_sort_onesweep_global_offsetsIS3_Lb0EPKS5_PS6_mNS0_19identity_decomposerEEE10hipError_tT1_T2_PT3_SG_jT4_jjP12ihipStream_tbEUlT_E0_NS1_11comp_targetILNS1_3genE5ELNS1_11target_archE942ELNS1_3gpuE9ELNS1_3repE0EEENS1_52radix_sort_onesweep_histogram_config_static_selectorELNS0_4arch9wavefront6targetE0EEEvSE_ ; -- Begin function _ZN7rocprim17ROCPRIM_400000_NS6detail17trampoline_kernelINS0_14default_configENS1_35radix_sort_onesweep_config_selectorI6__halfNS0_10empty_typeEEEZNS1_34radix_sort_onesweep_global_offsetsIS3_Lb0EPKS5_PS6_mNS0_19identity_decomposerEEE10hipError_tT1_T2_PT3_SG_jT4_jjP12ihipStream_tbEUlT_E0_NS1_11comp_targetILNS1_3genE5ELNS1_11target_archE942ELNS1_3gpuE9ELNS1_3repE0EEENS1_52radix_sort_onesweep_histogram_config_static_selectorELNS0_4arch9wavefront6targetE0EEEvSE_
	.globl	_ZN7rocprim17ROCPRIM_400000_NS6detail17trampoline_kernelINS0_14default_configENS1_35radix_sort_onesweep_config_selectorI6__halfNS0_10empty_typeEEEZNS1_34radix_sort_onesweep_global_offsetsIS3_Lb0EPKS5_PS6_mNS0_19identity_decomposerEEE10hipError_tT1_T2_PT3_SG_jT4_jjP12ihipStream_tbEUlT_E0_NS1_11comp_targetILNS1_3genE5ELNS1_11target_archE942ELNS1_3gpuE9ELNS1_3repE0EEENS1_52radix_sort_onesweep_histogram_config_static_selectorELNS0_4arch9wavefront6targetE0EEEvSE_
	.p2align	8
	.type	_ZN7rocprim17ROCPRIM_400000_NS6detail17trampoline_kernelINS0_14default_configENS1_35radix_sort_onesweep_config_selectorI6__halfNS0_10empty_typeEEEZNS1_34radix_sort_onesweep_global_offsetsIS3_Lb0EPKS5_PS6_mNS0_19identity_decomposerEEE10hipError_tT1_T2_PT3_SG_jT4_jjP12ihipStream_tbEUlT_E0_NS1_11comp_targetILNS1_3genE5ELNS1_11target_archE942ELNS1_3gpuE9ELNS1_3repE0EEENS1_52radix_sort_onesweep_histogram_config_static_selectorELNS0_4arch9wavefront6targetE0EEEvSE_,@function
_ZN7rocprim17ROCPRIM_400000_NS6detail17trampoline_kernelINS0_14default_configENS1_35radix_sort_onesweep_config_selectorI6__halfNS0_10empty_typeEEEZNS1_34radix_sort_onesweep_global_offsetsIS3_Lb0EPKS5_PS6_mNS0_19identity_decomposerEEE10hipError_tT1_T2_PT3_SG_jT4_jjP12ihipStream_tbEUlT_E0_NS1_11comp_targetILNS1_3genE5ELNS1_11target_archE942ELNS1_3gpuE9ELNS1_3repE0EEENS1_52radix_sort_onesweep_histogram_config_static_selectorELNS0_4arch9wavefront6targetE0EEEvSE_: ; @_ZN7rocprim17ROCPRIM_400000_NS6detail17trampoline_kernelINS0_14default_configENS1_35radix_sort_onesweep_config_selectorI6__halfNS0_10empty_typeEEEZNS1_34radix_sort_onesweep_global_offsetsIS3_Lb0EPKS5_PS6_mNS0_19identity_decomposerEEE10hipError_tT1_T2_PT3_SG_jT4_jjP12ihipStream_tbEUlT_E0_NS1_11comp_targetILNS1_3genE5ELNS1_11target_archE942ELNS1_3gpuE9ELNS1_3repE0EEENS1_52radix_sort_onesweep_histogram_config_static_selectorELNS0_4arch9wavefront6targetE0EEEvSE_
; %bb.0:
	.section	.rodata,"a",@progbits
	.p2align	6, 0x0
	.amdhsa_kernel _ZN7rocprim17ROCPRIM_400000_NS6detail17trampoline_kernelINS0_14default_configENS1_35radix_sort_onesweep_config_selectorI6__halfNS0_10empty_typeEEEZNS1_34radix_sort_onesweep_global_offsetsIS3_Lb0EPKS5_PS6_mNS0_19identity_decomposerEEE10hipError_tT1_T2_PT3_SG_jT4_jjP12ihipStream_tbEUlT_E0_NS1_11comp_targetILNS1_3genE5ELNS1_11target_archE942ELNS1_3gpuE9ELNS1_3repE0EEENS1_52radix_sort_onesweep_histogram_config_static_selectorELNS0_4arch9wavefront6targetE0EEEvSE_
		.amdhsa_group_segment_fixed_size 0
		.amdhsa_private_segment_fixed_size 0
		.amdhsa_kernarg_size 8
		.amdhsa_user_sgpr_count 2
		.amdhsa_user_sgpr_dispatch_ptr 0
		.amdhsa_user_sgpr_queue_ptr 0
		.amdhsa_user_sgpr_kernarg_segment_ptr 1
		.amdhsa_user_sgpr_dispatch_id 0
		.amdhsa_user_sgpr_kernarg_preload_length 0
		.amdhsa_user_sgpr_kernarg_preload_offset 0
		.amdhsa_user_sgpr_private_segment_size 0
		.amdhsa_wavefront_size32 1
		.amdhsa_uses_dynamic_stack 0
		.amdhsa_enable_private_segment 0
		.amdhsa_system_sgpr_workgroup_id_x 1
		.amdhsa_system_sgpr_workgroup_id_y 0
		.amdhsa_system_sgpr_workgroup_id_z 0
		.amdhsa_system_sgpr_workgroup_info 0
		.amdhsa_system_vgpr_workitem_id 0
		.amdhsa_next_free_vgpr 1
		.amdhsa_next_free_sgpr 1
		.amdhsa_named_barrier_count 0
		.amdhsa_reserve_vcc 0
		.amdhsa_float_round_mode_32 0
		.amdhsa_float_round_mode_16_64 0
		.amdhsa_float_denorm_mode_32 3
		.amdhsa_float_denorm_mode_16_64 3
		.amdhsa_fp16_overflow 0
		.amdhsa_memory_ordered 1
		.amdhsa_forward_progress 1
		.amdhsa_inst_pref_size 0
		.amdhsa_round_robin_scheduling 0
		.amdhsa_exception_fp_ieee_invalid_op 0
		.amdhsa_exception_fp_denorm_src 0
		.amdhsa_exception_fp_ieee_div_zero 0
		.amdhsa_exception_fp_ieee_overflow 0
		.amdhsa_exception_fp_ieee_underflow 0
		.amdhsa_exception_fp_ieee_inexact 0
		.amdhsa_exception_int_div_zero 0
	.end_amdhsa_kernel
	.section	.text._ZN7rocprim17ROCPRIM_400000_NS6detail17trampoline_kernelINS0_14default_configENS1_35radix_sort_onesweep_config_selectorI6__halfNS0_10empty_typeEEEZNS1_34radix_sort_onesweep_global_offsetsIS3_Lb0EPKS5_PS6_mNS0_19identity_decomposerEEE10hipError_tT1_T2_PT3_SG_jT4_jjP12ihipStream_tbEUlT_E0_NS1_11comp_targetILNS1_3genE5ELNS1_11target_archE942ELNS1_3gpuE9ELNS1_3repE0EEENS1_52radix_sort_onesweep_histogram_config_static_selectorELNS0_4arch9wavefront6targetE0EEEvSE_,"axG",@progbits,_ZN7rocprim17ROCPRIM_400000_NS6detail17trampoline_kernelINS0_14default_configENS1_35radix_sort_onesweep_config_selectorI6__halfNS0_10empty_typeEEEZNS1_34radix_sort_onesweep_global_offsetsIS3_Lb0EPKS5_PS6_mNS0_19identity_decomposerEEE10hipError_tT1_T2_PT3_SG_jT4_jjP12ihipStream_tbEUlT_E0_NS1_11comp_targetILNS1_3genE5ELNS1_11target_archE942ELNS1_3gpuE9ELNS1_3repE0EEENS1_52radix_sort_onesweep_histogram_config_static_selectorELNS0_4arch9wavefront6targetE0EEEvSE_,comdat
.Lfunc_end2243:
	.size	_ZN7rocprim17ROCPRIM_400000_NS6detail17trampoline_kernelINS0_14default_configENS1_35radix_sort_onesweep_config_selectorI6__halfNS0_10empty_typeEEEZNS1_34radix_sort_onesweep_global_offsetsIS3_Lb0EPKS5_PS6_mNS0_19identity_decomposerEEE10hipError_tT1_T2_PT3_SG_jT4_jjP12ihipStream_tbEUlT_E0_NS1_11comp_targetILNS1_3genE5ELNS1_11target_archE942ELNS1_3gpuE9ELNS1_3repE0EEENS1_52radix_sort_onesweep_histogram_config_static_selectorELNS0_4arch9wavefront6targetE0EEEvSE_, .Lfunc_end2243-_ZN7rocprim17ROCPRIM_400000_NS6detail17trampoline_kernelINS0_14default_configENS1_35radix_sort_onesweep_config_selectorI6__halfNS0_10empty_typeEEEZNS1_34radix_sort_onesweep_global_offsetsIS3_Lb0EPKS5_PS6_mNS0_19identity_decomposerEEE10hipError_tT1_T2_PT3_SG_jT4_jjP12ihipStream_tbEUlT_E0_NS1_11comp_targetILNS1_3genE5ELNS1_11target_archE942ELNS1_3gpuE9ELNS1_3repE0EEENS1_52radix_sort_onesweep_histogram_config_static_selectorELNS0_4arch9wavefront6targetE0EEEvSE_
                                        ; -- End function
	.set _ZN7rocprim17ROCPRIM_400000_NS6detail17trampoline_kernelINS0_14default_configENS1_35radix_sort_onesweep_config_selectorI6__halfNS0_10empty_typeEEEZNS1_34radix_sort_onesweep_global_offsetsIS3_Lb0EPKS5_PS6_mNS0_19identity_decomposerEEE10hipError_tT1_T2_PT3_SG_jT4_jjP12ihipStream_tbEUlT_E0_NS1_11comp_targetILNS1_3genE5ELNS1_11target_archE942ELNS1_3gpuE9ELNS1_3repE0EEENS1_52radix_sort_onesweep_histogram_config_static_selectorELNS0_4arch9wavefront6targetE0EEEvSE_.num_vgpr, 0
	.set _ZN7rocprim17ROCPRIM_400000_NS6detail17trampoline_kernelINS0_14default_configENS1_35radix_sort_onesweep_config_selectorI6__halfNS0_10empty_typeEEEZNS1_34radix_sort_onesweep_global_offsetsIS3_Lb0EPKS5_PS6_mNS0_19identity_decomposerEEE10hipError_tT1_T2_PT3_SG_jT4_jjP12ihipStream_tbEUlT_E0_NS1_11comp_targetILNS1_3genE5ELNS1_11target_archE942ELNS1_3gpuE9ELNS1_3repE0EEENS1_52radix_sort_onesweep_histogram_config_static_selectorELNS0_4arch9wavefront6targetE0EEEvSE_.num_agpr, 0
	.set _ZN7rocprim17ROCPRIM_400000_NS6detail17trampoline_kernelINS0_14default_configENS1_35radix_sort_onesweep_config_selectorI6__halfNS0_10empty_typeEEEZNS1_34radix_sort_onesweep_global_offsetsIS3_Lb0EPKS5_PS6_mNS0_19identity_decomposerEEE10hipError_tT1_T2_PT3_SG_jT4_jjP12ihipStream_tbEUlT_E0_NS1_11comp_targetILNS1_3genE5ELNS1_11target_archE942ELNS1_3gpuE9ELNS1_3repE0EEENS1_52radix_sort_onesweep_histogram_config_static_selectorELNS0_4arch9wavefront6targetE0EEEvSE_.numbered_sgpr, 0
	.set _ZN7rocprim17ROCPRIM_400000_NS6detail17trampoline_kernelINS0_14default_configENS1_35radix_sort_onesweep_config_selectorI6__halfNS0_10empty_typeEEEZNS1_34radix_sort_onesweep_global_offsetsIS3_Lb0EPKS5_PS6_mNS0_19identity_decomposerEEE10hipError_tT1_T2_PT3_SG_jT4_jjP12ihipStream_tbEUlT_E0_NS1_11comp_targetILNS1_3genE5ELNS1_11target_archE942ELNS1_3gpuE9ELNS1_3repE0EEENS1_52radix_sort_onesweep_histogram_config_static_selectorELNS0_4arch9wavefront6targetE0EEEvSE_.num_named_barrier, 0
	.set _ZN7rocprim17ROCPRIM_400000_NS6detail17trampoline_kernelINS0_14default_configENS1_35radix_sort_onesweep_config_selectorI6__halfNS0_10empty_typeEEEZNS1_34radix_sort_onesweep_global_offsetsIS3_Lb0EPKS5_PS6_mNS0_19identity_decomposerEEE10hipError_tT1_T2_PT3_SG_jT4_jjP12ihipStream_tbEUlT_E0_NS1_11comp_targetILNS1_3genE5ELNS1_11target_archE942ELNS1_3gpuE9ELNS1_3repE0EEENS1_52radix_sort_onesweep_histogram_config_static_selectorELNS0_4arch9wavefront6targetE0EEEvSE_.private_seg_size, 0
	.set _ZN7rocprim17ROCPRIM_400000_NS6detail17trampoline_kernelINS0_14default_configENS1_35radix_sort_onesweep_config_selectorI6__halfNS0_10empty_typeEEEZNS1_34radix_sort_onesweep_global_offsetsIS3_Lb0EPKS5_PS6_mNS0_19identity_decomposerEEE10hipError_tT1_T2_PT3_SG_jT4_jjP12ihipStream_tbEUlT_E0_NS1_11comp_targetILNS1_3genE5ELNS1_11target_archE942ELNS1_3gpuE9ELNS1_3repE0EEENS1_52radix_sort_onesweep_histogram_config_static_selectorELNS0_4arch9wavefront6targetE0EEEvSE_.uses_vcc, 0
	.set _ZN7rocprim17ROCPRIM_400000_NS6detail17trampoline_kernelINS0_14default_configENS1_35radix_sort_onesweep_config_selectorI6__halfNS0_10empty_typeEEEZNS1_34radix_sort_onesweep_global_offsetsIS3_Lb0EPKS5_PS6_mNS0_19identity_decomposerEEE10hipError_tT1_T2_PT3_SG_jT4_jjP12ihipStream_tbEUlT_E0_NS1_11comp_targetILNS1_3genE5ELNS1_11target_archE942ELNS1_3gpuE9ELNS1_3repE0EEENS1_52radix_sort_onesweep_histogram_config_static_selectorELNS0_4arch9wavefront6targetE0EEEvSE_.uses_flat_scratch, 0
	.set _ZN7rocprim17ROCPRIM_400000_NS6detail17trampoline_kernelINS0_14default_configENS1_35radix_sort_onesweep_config_selectorI6__halfNS0_10empty_typeEEEZNS1_34radix_sort_onesweep_global_offsetsIS3_Lb0EPKS5_PS6_mNS0_19identity_decomposerEEE10hipError_tT1_T2_PT3_SG_jT4_jjP12ihipStream_tbEUlT_E0_NS1_11comp_targetILNS1_3genE5ELNS1_11target_archE942ELNS1_3gpuE9ELNS1_3repE0EEENS1_52radix_sort_onesweep_histogram_config_static_selectorELNS0_4arch9wavefront6targetE0EEEvSE_.has_dyn_sized_stack, 0
	.set _ZN7rocprim17ROCPRIM_400000_NS6detail17trampoline_kernelINS0_14default_configENS1_35radix_sort_onesweep_config_selectorI6__halfNS0_10empty_typeEEEZNS1_34radix_sort_onesweep_global_offsetsIS3_Lb0EPKS5_PS6_mNS0_19identity_decomposerEEE10hipError_tT1_T2_PT3_SG_jT4_jjP12ihipStream_tbEUlT_E0_NS1_11comp_targetILNS1_3genE5ELNS1_11target_archE942ELNS1_3gpuE9ELNS1_3repE0EEENS1_52radix_sort_onesweep_histogram_config_static_selectorELNS0_4arch9wavefront6targetE0EEEvSE_.has_recursion, 0
	.set _ZN7rocprim17ROCPRIM_400000_NS6detail17trampoline_kernelINS0_14default_configENS1_35radix_sort_onesweep_config_selectorI6__halfNS0_10empty_typeEEEZNS1_34radix_sort_onesweep_global_offsetsIS3_Lb0EPKS5_PS6_mNS0_19identity_decomposerEEE10hipError_tT1_T2_PT3_SG_jT4_jjP12ihipStream_tbEUlT_E0_NS1_11comp_targetILNS1_3genE5ELNS1_11target_archE942ELNS1_3gpuE9ELNS1_3repE0EEENS1_52radix_sort_onesweep_histogram_config_static_selectorELNS0_4arch9wavefront6targetE0EEEvSE_.has_indirect_call, 0
	.section	.AMDGPU.csdata,"",@progbits
; Kernel info:
; codeLenInByte = 0
; TotalNumSgprs: 0
; NumVgprs: 0
; ScratchSize: 0
; MemoryBound: 0
; FloatMode: 240
; IeeeMode: 1
; LDSByteSize: 0 bytes/workgroup (compile time only)
; SGPRBlocks: 0
; VGPRBlocks: 0
; NumSGPRsForWavesPerEU: 1
; NumVGPRsForWavesPerEU: 1
; NamedBarCnt: 0
; Occupancy: 16
; WaveLimiterHint : 0
; COMPUTE_PGM_RSRC2:SCRATCH_EN: 0
; COMPUTE_PGM_RSRC2:USER_SGPR: 2
; COMPUTE_PGM_RSRC2:TRAP_HANDLER: 0
; COMPUTE_PGM_RSRC2:TGID_X_EN: 1
; COMPUTE_PGM_RSRC2:TGID_Y_EN: 0
; COMPUTE_PGM_RSRC2:TGID_Z_EN: 0
; COMPUTE_PGM_RSRC2:TIDIG_COMP_CNT: 0
	.section	.text._ZN7rocprim17ROCPRIM_400000_NS6detail17trampoline_kernelINS0_14default_configENS1_35radix_sort_onesweep_config_selectorI6__halfNS0_10empty_typeEEEZNS1_34radix_sort_onesweep_global_offsetsIS3_Lb0EPKS5_PS6_mNS0_19identity_decomposerEEE10hipError_tT1_T2_PT3_SG_jT4_jjP12ihipStream_tbEUlT_E0_NS1_11comp_targetILNS1_3genE2ELNS1_11target_archE906ELNS1_3gpuE6ELNS1_3repE0EEENS1_52radix_sort_onesweep_histogram_config_static_selectorELNS0_4arch9wavefront6targetE0EEEvSE_,"axG",@progbits,_ZN7rocprim17ROCPRIM_400000_NS6detail17trampoline_kernelINS0_14default_configENS1_35radix_sort_onesweep_config_selectorI6__halfNS0_10empty_typeEEEZNS1_34radix_sort_onesweep_global_offsetsIS3_Lb0EPKS5_PS6_mNS0_19identity_decomposerEEE10hipError_tT1_T2_PT3_SG_jT4_jjP12ihipStream_tbEUlT_E0_NS1_11comp_targetILNS1_3genE2ELNS1_11target_archE906ELNS1_3gpuE6ELNS1_3repE0EEENS1_52radix_sort_onesweep_histogram_config_static_selectorELNS0_4arch9wavefront6targetE0EEEvSE_,comdat
	.protected	_ZN7rocprim17ROCPRIM_400000_NS6detail17trampoline_kernelINS0_14default_configENS1_35radix_sort_onesweep_config_selectorI6__halfNS0_10empty_typeEEEZNS1_34radix_sort_onesweep_global_offsetsIS3_Lb0EPKS5_PS6_mNS0_19identity_decomposerEEE10hipError_tT1_T2_PT3_SG_jT4_jjP12ihipStream_tbEUlT_E0_NS1_11comp_targetILNS1_3genE2ELNS1_11target_archE906ELNS1_3gpuE6ELNS1_3repE0EEENS1_52radix_sort_onesweep_histogram_config_static_selectorELNS0_4arch9wavefront6targetE0EEEvSE_ ; -- Begin function _ZN7rocprim17ROCPRIM_400000_NS6detail17trampoline_kernelINS0_14default_configENS1_35radix_sort_onesweep_config_selectorI6__halfNS0_10empty_typeEEEZNS1_34radix_sort_onesweep_global_offsetsIS3_Lb0EPKS5_PS6_mNS0_19identity_decomposerEEE10hipError_tT1_T2_PT3_SG_jT4_jjP12ihipStream_tbEUlT_E0_NS1_11comp_targetILNS1_3genE2ELNS1_11target_archE906ELNS1_3gpuE6ELNS1_3repE0EEENS1_52radix_sort_onesweep_histogram_config_static_selectorELNS0_4arch9wavefront6targetE0EEEvSE_
	.globl	_ZN7rocprim17ROCPRIM_400000_NS6detail17trampoline_kernelINS0_14default_configENS1_35radix_sort_onesweep_config_selectorI6__halfNS0_10empty_typeEEEZNS1_34radix_sort_onesweep_global_offsetsIS3_Lb0EPKS5_PS6_mNS0_19identity_decomposerEEE10hipError_tT1_T2_PT3_SG_jT4_jjP12ihipStream_tbEUlT_E0_NS1_11comp_targetILNS1_3genE2ELNS1_11target_archE906ELNS1_3gpuE6ELNS1_3repE0EEENS1_52radix_sort_onesweep_histogram_config_static_selectorELNS0_4arch9wavefront6targetE0EEEvSE_
	.p2align	8
	.type	_ZN7rocprim17ROCPRIM_400000_NS6detail17trampoline_kernelINS0_14default_configENS1_35radix_sort_onesweep_config_selectorI6__halfNS0_10empty_typeEEEZNS1_34radix_sort_onesweep_global_offsetsIS3_Lb0EPKS5_PS6_mNS0_19identity_decomposerEEE10hipError_tT1_T2_PT3_SG_jT4_jjP12ihipStream_tbEUlT_E0_NS1_11comp_targetILNS1_3genE2ELNS1_11target_archE906ELNS1_3gpuE6ELNS1_3repE0EEENS1_52radix_sort_onesweep_histogram_config_static_selectorELNS0_4arch9wavefront6targetE0EEEvSE_,@function
_ZN7rocprim17ROCPRIM_400000_NS6detail17trampoline_kernelINS0_14default_configENS1_35radix_sort_onesweep_config_selectorI6__halfNS0_10empty_typeEEEZNS1_34radix_sort_onesweep_global_offsetsIS3_Lb0EPKS5_PS6_mNS0_19identity_decomposerEEE10hipError_tT1_T2_PT3_SG_jT4_jjP12ihipStream_tbEUlT_E0_NS1_11comp_targetILNS1_3genE2ELNS1_11target_archE906ELNS1_3gpuE6ELNS1_3repE0EEENS1_52radix_sort_onesweep_histogram_config_static_selectorELNS0_4arch9wavefront6targetE0EEEvSE_: ; @_ZN7rocprim17ROCPRIM_400000_NS6detail17trampoline_kernelINS0_14default_configENS1_35radix_sort_onesweep_config_selectorI6__halfNS0_10empty_typeEEEZNS1_34radix_sort_onesweep_global_offsetsIS3_Lb0EPKS5_PS6_mNS0_19identity_decomposerEEE10hipError_tT1_T2_PT3_SG_jT4_jjP12ihipStream_tbEUlT_E0_NS1_11comp_targetILNS1_3genE2ELNS1_11target_archE906ELNS1_3gpuE6ELNS1_3repE0EEENS1_52radix_sort_onesweep_histogram_config_static_selectorELNS0_4arch9wavefront6targetE0EEEvSE_
; %bb.0:
	.section	.rodata,"a",@progbits
	.p2align	6, 0x0
	.amdhsa_kernel _ZN7rocprim17ROCPRIM_400000_NS6detail17trampoline_kernelINS0_14default_configENS1_35radix_sort_onesweep_config_selectorI6__halfNS0_10empty_typeEEEZNS1_34radix_sort_onesweep_global_offsetsIS3_Lb0EPKS5_PS6_mNS0_19identity_decomposerEEE10hipError_tT1_T2_PT3_SG_jT4_jjP12ihipStream_tbEUlT_E0_NS1_11comp_targetILNS1_3genE2ELNS1_11target_archE906ELNS1_3gpuE6ELNS1_3repE0EEENS1_52radix_sort_onesweep_histogram_config_static_selectorELNS0_4arch9wavefront6targetE0EEEvSE_
		.amdhsa_group_segment_fixed_size 0
		.amdhsa_private_segment_fixed_size 0
		.amdhsa_kernarg_size 8
		.amdhsa_user_sgpr_count 2
		.amdhsa_user_sgpr_dispatch_ptr 0
		.amdhsa_user_sgpr_queue_ptr 0
		.amdhsa_user_sgpr_kernarg_segment_ptr 1
		.amdhsa_user_sgpr_dispatch_id 0
		.amdhsa_user_sgpr_kernarg_preload_length 0
		.amdhsa_user_sgpr_kernarg_preload_offset 0
		.amdhsa_user_sgpr_private_segment_size 0
		.amdhsa_wavefront_size32 1
		.amdhsa_uses_dynamic_stack 0
		.amdhsa_enable_private_segment 0
		.amdhsa_system_sgpr_workgroup_id_x 1
		.amdhsa_system_sgpr_workgroup_id_y 0
		.amdhsa_system_sgpr_workgroup_id_z 0
		.amdhsa_system_sgpr_workgroup_info 0
		.amdhsa_system_vgpr_workitem_id 0
		.amdhsa_next_free_vgpr 1
		.amdhsa_next_free_sgpr 1
		.amdhsa_named_barrier_count 0
		.amdhsa_reserve_vcc 0
		.amdhsa_float_round_mode_32 0
		.amdhsa_float_round_mode_16_64 0
		.amdhsa_float_denorm_mode_32 3
		.amdhsa_float_denorm_mode_16_64 3
		.amdhsa_fp16_overflow 0
		.amdhsa_memory_ordered 1
		.amdhsa_forward_progress 1
		.amdhsa_inst_pref_size 0
		.amdhsa_round_robin_scheduling 0
		.amdhsa_exception_fp_ieee_invalid_op 0
		.amdhsa_exception_fp_denorm_src 0
		.amdhsa_exception_fp_ieee_div_zero 0
		.amdhsa_exception_fp_ieee_overflow 0
		.amdhsa_exception_fp_ieee_underflow 0
		.amdhsa_exception_fp_ieee_inexact 0
		.amdhsa_exception_int_div_zero 0
	.end_amdhsa_kernel
	.section	.text._ZN7rocprim17ROCPRIM_400000_NS6detail17trampoline_kernelINS0_14default_configENS1_35radix_sort_onesweep_config_selectorI6__halfNS0_10empty_typeEEEZNS1_34radix_sort_onesweep_global_offsetsIS3_Lb0EPKS5_PS6_mNS0_19identity_decomposerEEE10hipError_tT1_T2_PT3_SG_jT4_jjP12ihipStream_tbEUlT_E0_NS1_11comp_targetILNS1_3genE2ELNS1_11target_archE906ELNS1_3gpuE6ELNS1_3repE0EEENS1_52radix_sort_onesweep_histogram_config_static_selectorELNS0_4arch9wavefront6targetE0EEEvSE_,"axG",@progbits,_ZN7rocprim17ROCPRIM_400000_NS6detail17trampoline_kernelINS0_14default_configENS1_35radix_sort_onesweep_config_selectorI6__halfNS0_10empty_typeEEEZNS1_34radix_sort_onesweep_global_offsetsIS3_Lb0EPKS5_PS6_mNS0_19identity_decomposerEEE10hipError_tT1_T2_PT3_SG_jT4_jjP12ihipStream_tbEUlT_E0_NS1_11comp_targetILNS1_3genE2ELNS1_11target_archE906ELNS1_3gpuE6ELNS1_3repE0EEENS1_52radix_sort_onesweep_histogram_config_static_selectorELNS0_4arch9wavefront6targetE0EEEvSE_,comdat
.Lfunc_end2244:
	.size	_ZN7rocprim17ROCPRIM_400000_NS6detail17trampoline_kernelINS0_14default_configENS1_35radix_sort_onesweep_config_selectorI6__halfNS0_10empty_typeEEEZNS1_34radix_sort_onesweep_global_offsetsIS3_Lb0EPKS5_PS6_mNS0_19identity_decomposerEEE10hipError_tT1_T2_PT3_SG_jT4_jjP12ihipStream_tbEUlT_E0_NS1_11comp_targetILNS1_3genE2ELNS1_11target_archE906ELNS1_3gpuE6ELNS1_3repE0EEENS1_52radix_sort_onesweep_histogram_config_static_selectorELNS0_4arch9wavefront6targetE0EEEvSE_, .Lfunc_end2244-_ZN7rocprim17ROCPRIM_400000_NS6detail17trampoline_kernelINS0_14default_configENS1_35radix_sort_onesweep_config_selectorI6__halfNS0_10empty_typeEEEZNS1_34radix_sort_onesweep_global_offsetsIS3_Lb0EPKS5_PS6_mNS0_19identity_decomposerEEE10hipError_tT1_T2_PT3_SG_jT4_jjP12ihipStream_tbEUlT_E0_NS1_11comp_targetILNS1_3genE2ELNS1_11target_archE906ELNS1_3gpuE6ELNS1_3repE0EEENS1_52radix_sort_onesweep_histogram_config_static_selectorELNS0_4arch9wavefront6targetE0EEEvSE_
                                        ; -- End function
	.set _ZN7rocprim17ROCPRIM_400000_NS6detail17trampoline_kernelINS0_14default_configENS1_35radix_sort_onesweep_config_selectorI6__halfNS0_10empty_typeEEEZNS1_34radix_sort_onesweep_global_offsetsIS3_Lb0EPKS5_PS6_mNS0_19identity_decomposerEEE10hipError_tT1_T2_PT3_SG_jT4_jjP12ihipStream_tbEUlT_E0_NS1_11comp_targetILNS1_3genE2ELNS1_11target_archE906ELNS1_3gpuE6ELNS1_3repE0EEENS1_52radix_sort_onesweep_histogram_config_static_selectorELNS0_4arch9wavefront6targetE0EEEvSE_.num_vgpr, 0
	.set _ZN7rocprim17ROCPRIM_400000_NS6detail17trampoline_kernelINS0_14default_configENS1_35radix_sort_onesweep_config_selectorI6__halfNS0_10empty_typeEEEZNS1_34radix_sort_onesweep_global_offsetsIS3_Lb0EPKS5_PS6_mNS0_19identity_decomposerEEE10hipError_tT1_T2_PT3_SG_jT4_jjP12ihipStream_tbEUlT_E0_NS1_11comp_targetILNS1_3genE2ELNS1_11target_archE906ELNS1_3gpuE6ELNS1_3repE0EEENS1_52radix_sort_onesweep_histogram_config_static_selectorELNS0_4arch9wavefront6targetE0EEEvSE_.num_agpr, 0
	.set _ZN7rocprim17ROCPRIM_400000_NS6detail17trampoline_kernelINS0_14default_configENS1_35radix_sort_onesweep_config_selectorI6__halfNS0_10empty_typeEEEZNS1_34radix_sort_onesweep_global_offsetsIS3_Lb0EPKS5_PS6_mNS0_19identity_decomposerEEE10hipError_tT1_T2_PT3_SG_jT4_jjP12ihipStream_tbEUlT_E0_NS1_11comp_targetILNS1_3genE2ELNS1_11target_archE906ELNS1_3gpuE6ELNS1_3repE0EEENS1_52radix_sort_onesweep_histogram_config_static_selectorELNS0_4arch9wavefront6targetE0EEEvSE_.numbered_sgpr, 0
	.set _ZN7rocprim17ROCPRIM_400000_NS6detail17trampoline_kernelINS0_14default_configENS1_35radix_sort_onesweep_config_selectorI6__halfNS0_10empty_typeEEEZNS1_34radix_sort_onesweep_global_offsetsIS3_Lb0EPKS5_PS6_mNS0_19identity_decomposerEEE10hipError_tT1_T2_PT3_SG_jT4_jjP12ihipStream_tbEUlT_E0_NS1_11comp_targetILNS1_3genE2ELNS1_11target_archE906ELNS1_3gpuE6ELNS1_3repE0EEENS1_52radix_sort_onesweep_histogram_config_static_selectorELNS0_4arch9wavefront6targetE0EEEvSE_.num_named_barrier, 0
	.set _ZN7rocprim17ROCPRIM_400000_NS6detail17trampoline_kernelINS0_14default_configENS1_35radix_sort_onesweep_config_selectorI6__halfNS0_10empty_typeEEEZNS1_34radix_sort_onesweep_global_offsetsIS3_Lb0EPKS5_PS6_mNS0_19identity_decomposerEEE10hipError_tT1_T2_PT3_SG_jT4_jjP12ihipStream_tbEUlT_E0_NS1_11comp_targetILNS1_3genE2ELNS1_11target_archE906ELNS1_3gpuE6ELNS1_3repE0EEENS1_52radix_sort_onesweep_histogram_config_static_selectorELNS0_4arch9wavefront6targetE0EEEvSE_.private_seg_size, 0
	.set _ZN7rocprim17ROCPRIM_400000_NS6detail17trampoline_kernelINS0_14default_configENS1_35radix_sort_onesweep_config_selectorI6__halfNS0_10empty_typeEEEZNS1_34radix_sort_onesweep_global_offsetsIS3_Lb0EPKS5_PS6_mNS0_19identity_decomposerEEE10hipError_tT1_T2_PT3_SG_jT4_jjP12ihipStream_tbEUlT_E0_NS1_11comp_targetILNS1_3genE2ELNS1_11target_archE906ELNS1_3gpuE6ELNS1_3repE0EEENS1_52radix_sort_onesweep_histogram_config_static_selectorELNS0_4arch9wavefront6targetE0EEEvSE_.uses_vcc, 0
	.set _ZN7rocprim17ROCPRIM_400000_NS6detail17trampoline_kernelINS0_14default_configENS1_35radix_sort_onesweep_config_selectorI6__halfNS0_10empty_typeEEEZNS1_34radix_sort_onesweep_global_offsetsIS3_Lb0EPKS5_PS6_mNS0_19identity_decomposerEEE10hipError_tT1_T2_PT3_SG_jT4_jjP12ihipStream_tbEUlT_E0_NS1_11comp_targetILNS1_3genE2ELNS1_11target_archE906ELNS1_3gpuE6ELNS1_3repE0EEENS1_52radix_sort_onesweep_histogram_config_static_selectorELNS0_4arch9wavefront6targetE0EEEvSE_.uses_flat_scratch, 0
	.set _ZN7rocprim17ROCPRIM_400000_NS6detail17trampoline_kernelINS0_14default_configENS1_35radix_sort_onesweep_config_selectorI6__halfNS0_10empty_typeEEEZNS1_34radix_sort_onesweep_global_offsetsIS3_Lb0EPKS5_PS6_mNS0_19identity_decomposerEEE10hipError_tT1_T2_PT3_SG_jT4_jjP12ihipStream_tbEUlT_E0_NS1_11comp_targetILNS1_3genE2ELNS1_11target_archE906ELNS1_3gpuE6ELNS1_3repE0EEENS1_52radix_sort_onesweep_histogram_config_static_selectorELNS0_4arch9wavefront6targetE0EEEvSE_.has_dyn_sized_stack, 0
	.set _ZN7rocprim17ROCPRIM_400000_NS6detail17trampoline_kernelINS0_14default_configENS1_35radix_sort_onesweep_config_selectorI6__halfNS0_10empty_typeEEEZNS1_34radix_sort_onesweep_global_offsetsIS3_Lb0EPKS5_PS6_mNS0_19identity_decomposerEEE10hipError_tT1_T2_PT3_SG_jT4_jjP12ihipStream_tbEUlT_E0_NS1_11comp_targetILNS1_3genE2ELNS1_11target_archE906ELNS1_3gpuE6ELNS1_3repE0EEENS1_52radix_sort_onesweep_histogram_config_static_selectorELNS0_4arch9wavefront6targetE0EEEvSE_.has_recursion, 0
	.set _ZN7rocprim17ROCPRIM_400000_NS6detail17trampoline_kernelINS0_14default_configENS1_35radix_sort_onesweep_config_selectorI6__halfNS0_10empty_typeEEEZNS1_34radix_sort_onesweep_global_offsetsIS3_Lb0EPKS5_PS6_mNS0_19identity_decomposerEEE10hipError_tT1_T2_PT3_SG_jT4_jjP12ihipStream_tbEUlT_E0_NS1_11comp_targetILNS1_3genE2ELNS1_11target_archE906ELNS1_3gpuE6ELNS1_3repE0EEENS1_52radix_sort_onesweep_histogram_config_static_selectorELNS0_4arch9wavefront6targetE0EEEvSE_.has_indirect_call, 0
	.section	.AMDGPU.csdata,"",@progbits
; Kernel info:
; codeLenInByte = 0
; TotalNumSgprs: 0
; NumVgprs: 0
; ScratchSize: 0
; MemoryBound: 0
; FloatMode: 240
; IeeeMode: 1
; LDSByteSize: 0 bytes/workgroup (compile time only)
; SGPRBlocks: 0
; VGPRBlocks: 0
; NumSGPRsForWavesPerEU: 1
; NumVGPRsForWavesPerEU: 1
; NamedBarCnt: 0
; Occupancy: 16
; WaveLimiterHint : 0
; COMPUTE_PGM_RSRC2:SCRATCH_EN: 0
; COMPUTE_PGM_RSRC2:USER_SGPR: 2
; COMPUTE_PGM_RSRC2:TRAP_HANDLER: 0
; COMPUTE_PGM_RSRC2:TGID_X_EN: 1
; COMPUTE_PGM_RSRC2:TGID_Y_EN: 0
; COMPUTE_PGM_RSRC2:TGID_Z_EN: 0
; COMPUTE_PGM_RSRC2:TIDIG_COMP_CNT: 0
	.section	.text._ZN7rocprim17ROCPRIM_400000_NS6detail17trampoline_kernelINS0_14default_configENS1_35radix_sort_onesweep_config_selectorI6__halfNS0_10empty_typeEEEZNS1_34radix_sort_onesweep_global_offsetsIS3_Lb0EPKS5_PS6_mNS0_19identity_decomposerEEE10hipError_tT1_T2_PT3_SG_jT4_jjP12ihipStream_tbEUlT_E0_NS1_11comp_targetILNS1_3genE4ELNS1_11target_archE910ELNS1_3gpuE8ELNS1_3repE0EEENS1_52radix_sort_onesweep_histogram_config_static_selectorELNS0_4arch9wavefront6targetE0EEEvSE_,"axG",@progbits,_ZN7rocprim17ROCPRIM_400000_NS6detail17trampoline_kernelINS0_14default_configENS1_35radix_sort_onesweep_config_selectorI6__halfNS0_10empty_typeEEEZNS1_34radix_sort_onesweep_global_offsetsIS3_Lb0EPKS5_PS6_mNS0_19identity_decomposerEEE10hipError_tT1_T2_PT3_SG_jT4_jjP12ihipStream_tbEUlT_E0_NS1_11comp_targetILNS1_3genE4ELNS1_11target_archE910ELNS1_3gpuE8ELNS1_3repE0EEENS1_52radix_sort_onesweep_histogram_config_static_selectorELNS0_4arch9wavefront6targetE0EEEvSE_,comdat
	.protected	_ZN7rocprim17ROCPRIM_400000_NS6detail17trampoline_kernelINS0_14default_configENS1_35radix_sort_onesweep_config_selectorI6__halfNS0_10empty_typeEEEZNS1_34radix_sort_onesweep_global_offsetsIS3_Lb0EPKS5_PS6_mNS0_19identity_decomposerEEE10hipError_tT1_T2_PT3_SG_jT4_jjP12ihipStream_tbEUlT_E0_NS1_11comp_targetILNS1_3genE4ELNS1_11target_archE910ELNS1_3gpuE8ELNS1_3repE0EEENS1_52radix_sort_onesweep_histogram_config_static_selectorELNS0_4arch9wavefront6targetE0EEEvSE_ ; -- Begin function _ZN7rocprim17ROCPRIM_400000_NS6detail17trampoline_kernelINS0_14default_configENS1_35radix_sort_onesweep_config_selectorI6__halfNS0_10empty_typeEEEZNS1_34radix_sort_onesweep_global_offsetsIS3_Lb0EPKS5_PS6_mNS0_19identity_decomposerEEE10hipError_tT1_T2_PT3_SG_jT4_jjP12ihipStream_tbEUlT_E0_NS1_11comp_targetILNS1_3genE4ELNS1_11target_archE910ELNS1_3gpuE8ELNS1_3repE0EEENS1_52radix_sort_onesweep_histogram_config_static_selectorELNS0_4arch9wavefront6targetE0EEEvSE_
	.globl	_ZN7rocprim17ROCPRIM_400000_NS6detail17trampoline_kernelINS0_14default_configENS1_35radix_sort_onesweep_config_selectorI6__halfNS0_10empty_typeEEEZNS1_34radix_sort_onesweep_global_offsetsIS3_Lb0EPKS5_PS6_mNS0_19identity_decomposerEEE10hipError_tT1_T2_PT3_SG_jT4_jjP12ihipStream_tbEUlT_E0_NS1_11comp_targetILNS1_3genE4ELNS1_11target_archE910ELNS1_3gpuE8ELNS1_3repE0EEENS1_52radix_sort_onesweep_histogram_config_static_selectorELNS0_4arch9wavefront6targetE0EEEvSE_
	.p2align	8
	.type	_ZN7rocprim17ROCPRIM_400000_NS6detail17trampoline_kernelINS0_14default_configENS1_35radix_sort_onesweep_config_selectorI6__halfNS0_10empty_typeEEEZNS1_34radix_sort_onesweep_global_offsetsIS3_Lb0EPKS5_PS6_mNS0_19identity_decomposerEEE10hipError_tT1_T2_PT3_SG_jT4_jjP12ihipStream_tbEUlT_E0_NS1_11comp_targetILNS1_3genE4ELNS1_11target_archE910ELNS1_3gpuE8ELNS1_3repE0EEENS1_52radix_sort_onesweep_histogram_config_static_selectorELNS0_4arch9wavefront6targetE0EEEvSE_,@function
_ZN7rocprim17ROCPRIM_400000_NS6detail17trampoline_kernelINS0_14default_configENS1_35radix_sort_onesweep_config_selectorI6__halfNS0_10empty_typeEEEZNS1_34radix_sort_onesweep_global_offsetsIS3_Lb0EPKS5_PS6_mNS0_19identity_decomposerEEE10hipError_tT1_T2_PT3_SG_jT4_jjP12ihipStream_tbEUlT_E0_NS1_11comp_targetILNS1_3genE4ELNS1_11target_archE910ELNS1_3gpuE8ELNS1_3repE0EEENS1_52radix_sort_onesweep_histogram_config_static_selectorELNS0_4arch9wavefront6targetE0EEEvSE_: ; @_ZN7rocprim17ROCPRIM_400000_NS6detail17trampoline_kernelINS0_14default_configENS1_35radix_sort_onesweep_config_selectorI6__halfNS0_10empty_typeEEEZNS1_34radix_sort_onesweep_global_offsetsIS3_Lb0EPKS5_PS6_mNS0_19identity_decomposerEEE10hipError_tT1_T2_PT3_SG_jT4_jjP12ihipStream_tbEUlT_E0_NS1_11comp_targetILNS1_3genE4ELNS1_11target_archE910ELNS1_3gpuE8ELNS1_3repE0EEENS1_52radix_sort_onesweep_histogram_config_static_selectorELNS0_4arch9wavefront6targetE0EEEvSE_
; %bb.0:
	.section	.rodata,"a",@progbits
	.p2align	6, 0x0
	.amdhsa_kernel _ZN7rocprim17ROCPRIM_400000_NS6detail17trampoline_kernelINS0_14default_configENS1_35radix_sort_onesweep_config_selectorI6__halfNS0_10empty_typeEEEZNS1_34radix_sort_onesweep_global_offsetsIS3_Lb0EPKS5_PS6_mNS0_19identity_decomposerEEE10hipError_tT1_T2_PT3_SG_jT4_jjP12ihipStream_tbEUlT_E0_NS1_11comp_targetILNS1_3genE4ELNS1_11target_archE910ELNS1_3gpuE8ELNS1_3repE0EEENS1_52radix_sort_onesweep_histogram_config_static_selectorELNS0_4arch9wavefront6targetE0EEEvSE_
		.amdhsa_group_segment_fixed_size 0
		.amdhsa_private_segment_fixed_size 0
		.amdhsa_kernarg_size 8
		.amdhsa_user_sgpr_count 2
		.amdhsa_user_sgpr_dispatch_ptr 0
		.amdhsa_user_sgpr_queue_ptr 0
		.amdhsa_user_sgpr_kernarg_segment_ptr 1
		.amdhsa_user_sgpr_dispatch_id 0
		.amdhsa_user_sgpr_kernarg_preload_length 0
		.amdhsa_user_sgpr_kernarg_preload_offset 0
		.amdhsa_user_sgpr_private_segment_size 0
		.amdhsa_wavefront_size32 1
		.amdhsa_uses_dynamic_stack 0
		.amdhsa_enable_private_segment 0
		.amdhsa_system_sgpr_workgroup_id_x 1
		.amdhsa_system_sgpr_workgroup_id_y 0
		.amdhsa_system_sgpr_workgroup_id_z 0
		.amdhsa_system_sgpr_workgroup_info 0
		.amdhsa_system_vgpr_workitem_id 0
		.amdhsa_next_free_vgpr 1
		.amdhsa_next_free_sgpr 1
		.amdhsa_named_barrier_count 0
		.amdhsa_reserve_vcc 0
		.amdhsa_float_round_mode_32 0
		.amdhsa_float_round_mode_16_64 0
		.amdhsa_float_denorm_mode_32 3
		.amdhsa_float_denorm_mode_16_64 3
		.amdhsa_fp16_overflow 0
		.amdhsa_memory_ordered 1
		.amdhsa_forward_progress 1
		.amdhsa_inst_pref_size 0
		.amdhsa_round_robin_scheduling 0
		.amdhsa_exception_fp_ieee_invalid_op 0
		.amdhsa_exception_fp_denorm_src 0
		.amdhsa_exception_fp_ieee_div_zero 0
		.amdhsa_exception_fp_ieee_overflow 0
		.amdhsa_exception_fp_ieee_underflow 0
		.amdhsa_exception_fp_ieee_inexact 0
		.amdhsa_exception_int_div_zero 0
	.end_amdhsa_kernel
	.section	.text._ZN7rocprim17ROCPRIM_400000_NS6detail17trampoline_kernelINS0_14default_configENS1_35radix_sort_onesweep_config_selectorI6__halfNS0_10empty_typeEEEZNS1_34radix_sort_onesweep_global_offsetsIS3_Lb0EPKS5_PS6_mNS0_19identity_decomposerEEE10hipError_tT1_T2_PT3_SG_jT4_jjP12ihipStream_tbEUlT_E0_NS1_11comp_targetILNS1_3genE4ELNS1_11target_archE910ELNS1_3gpuE8ELNS1_3repE0EEENS1_52radix_sort_onesweep_histogram_config_static_selectorELNS0_4arch9wavefront6targetE0EEEvSE_,"axG",@progbits,_ZN7rocprim17ROCPRIM_400000_NS6detail17trampoline_kernelINS0_14default_configENS1_35radix_sort_onesweep_config_selectorI6__halfNS0_10empty_typeEEEZNS1_34radix_sort_onesweep_global_offsetsIS3_Lb0EPKS5_PS6_mNS0_19identity_decomposerEEE10hipError_tT1_T2_PT3_SG_jT4_jjP12ihipStream_tbEUlT_E0_NS1_11comp_targetILNS1_3genE4ELNS1_11target_archE910ELNS1_3gpuE8ELNS1_3repE0EEENS1_52radix_sort_onesweep_histogram_config_static_selectorELNS0_4arch9wavefront6targetE0EEEvSE_,comdat
.Lfunc_end2245:
	.size	_ZN7rocprim17ROCPRIM_400000_NS6detail17trampoline_kernelINS0_14default_configENS1_35radix_sort_onesweep_config_selectorI6__halfNS0_10empty_typeEEEZNS1_34radix_sort_onesweep_global_offsetsIS3_Lb0EPKS5_PS6_mNS0_19identity_decomposerEEE10hipError_tT1_T2_PT3_SG_jT4_jjP12ihipStream_tbEUlT_E0_NS1_11comp_targetILNS1_3genE4ELNS1_11target_archE910ELNS1_3gpuE8ELNS1_3repE0EEENS1_52radix_sort_onesweep_histogram_config_static_selectorELNS0_4arch9wavefront6targetE0EEEvSE_, .Lfunc_end2245-_ZN7rocprim17ROCPRIM_400000_NS6detail17trampoline_kernelINS0_14default_configENS1_35radix_sort_onesweep_config_selectorI6__halfNS0_10empty_typeEEEZNS1_34radix_sort_onesweep_global_offsetsIS3_Lb0EPKS5_PS6_mNS0_19identity_decomposerEEE10hipError_tT1_T2_PT3_SG_jT4_jjP12ihipStream_tbEUlT_E0_NS1_11comp_targetILNS1_3genE4ELNS1_11target_archE910ELNS1_3gpuE8ELNS1_3repE0EEENS1_52radix_sort_onesweep_histogram_config_static_selectorELNS0_4arch9wavefront6targetE0EEEvSE_
                                        ; -- End function
	.set _ZN7rocprim17ROCPRIM_400000_NS6detail17trampoline_kernelINS0_14default_configENS1_35radix_sort_onesweep_config_selectorI6__halfNS0_10empty_typeEEEZNS1_34radix_sort_onesweep_global_offsetsIS3_Lb0EPKS5_PS6_mNS0_19identity_decomposerEEE10hipError_tT1_T2_PT3_SG_jT4_jjP12ihipStream_tbEUlT_E0_NS1_11comp_targetILNS1_3genE4ELNS1_11target_archE910ELNS1_3gpuE8ELNS1_3repE0EEENS1_52radix_sort_onesweep_histogram_config_static_selectorELNS0_4arch9wavefront6targetE0EEEvSE_.num_vgpr, 0
	.set _ZN7rocprim17ROCPRIM_400000_NS6detail17trampoline_kernelINS0_14default_configENS1_35radix_sort_onesweep_config_selectorI6__halfNS0_10empty_typeEEEZNS1_34radix_sort_onesweep_global_offsetsIS3_Lb0EPKS5_PS6_mNS0_19identity_decomposerEEE10hipError_tT1_T2_PT3_SG_jT4_jjP12ihipStream_tbEUlT_E0_NS1_11comp_targetILNS1_3genE4ELNS1_11target_archE910ELNS1_3gpuE8ELNS1_3repE0EEENS1_52radix_sort_onesweep_histogram_config_static_selectorELNS0_4arch9wavefront6targetE0EEEvSE_.num_agpr, 0
	.set _ZN7rocprim17ROCPRIM_400000_NS6detail17trampoline_kernelINS0_14default_configENS1_35radix_sort_onesweep_config_selectorI6__halfNS0_10empty_typeEEEZNS1_34radix_sort_onesweep_global_offsetsIS3_Lb0EPKS5_PS6_mNS0_19identity_decomposerEEE10hipError_tT1_T2_PT3_SG_jT4_jjP12ihipStream_tbEUlT_E0_NS1_11comp_targetILNS1_3genE4ELNS1_11target_archE910ELNS1_3gpuE8ELNS1_3repE0EEENS1_52radix_sort_onesweep_histogram_config_static_selectorELNS0_4arch9wavefront6targetE0EEEvSE_.numbered_sgpr, 0
	.set _ZN7rocprim17ROCPRIM_400000_NS6detail17trampoline_kernelINS0_14default_configENS1_35radix_sort_onesweep_config_selectorI6__halfNS0_10empty_typeEEEZNS1_34radix_sort_onesweep_global_offsetsIS3_Lb0EPKS5_PS6_mNS0_19identity_decomposerEEE10hipError_tT1_T2_PT3_SG_jT4_jjP12ihipStream_tbEUlT_E0_NS1_11comp_targetILNS1_3genE4ELNS1_11target_archE910ELNS1_3gpuE8ELNS1_3repE0EEENS1_52radix_sort_onesweep_histogram_config_static_selectorELNS0_4arch9wavefront6targetE0EEEvSE_.num_named_barrier, 0
	.set _ZN7rocprim17ROCPRIM_400000_NS6detail17trampoline_kernelINS0_14default_configENS1_35radix_sort_onesweep_config_selectorI6__halfNS0_10empty_typeEEEZNS1_34radix_sort_onesweep_global_offsetsIS3_Lb0EPKS5_PS6_mNS0_19identity_decomposerEEE10hipError_tT1_T2_PT3_SG_jT4_jjP12ihipStream_tbEUlT_E0_NS1_11comp_targetILNS1_3genE4ELNS1_11target_archE910ELNS1_3gpuE8ELNS1_3repE0EEENS1_52radix_sort_onesweep_histogram_config_static_selectorELNS0_4arch9wavefront6targetE0EEEvSE_.private_seg_size, 0
	.set _ZN7rocprim17ROCPRIM_400000_NS6detail17trampoline_kernelINS0_14default_configENS1_35radix_sort_onesweep_config_selectorI6__halfNS0_10empty_typeEEEZNS1_34radix_sort_onesweep_global_offsetsIS3_Lb0EPKS5_PS6_mNS0_19identity_decomposerEEE10hipError_tT1_T2_PT3_SG_jT4_jjP12ihipStream_tbEUlT_E0_NS1_11comp_targetILNS1_3genE4ELNS1_11target_archE910ELNS1_3gpuE8ELNS1_3repE0EEENS1_52radix_sort_onesweep_histogram_config_static_selectorELNS0_4arch9wavefront6targetE0EEEvSE_.uses_vcc, 0
	.set _ZN7rocprim17ROCPRIM_400000_NS6detail17trampoline_kernelINS0_14default_configENS1_35radix_sort_onesweep_config_selectorI6__halfNS0_10empty_typeEEEZNS1_34radix_sort_onesweep_global_offsetsIS3_Lb0EPKS5_PS6_mNS0_19identity_decomposerEEE10hipError_tT1_T2_PT3_SG_jT4_jjP12ihipStream_tbEUlT_E0_NS1_11comp_targetILNS1_3genE4ELNS1_11target_archE910ELNS1_3gpuE8ELNS1_3repE0EEENS1_52radix_sort_onesweep_histogram_config_static_selectorELNS0_4arch9wavefront6targetE0EEEvSE_.uses_flat_scratch, 0
	.set _ZN7rocprim17ROCPRIM_400000_NS6detail17trampoline_kernelINS0_14default_configENS1_35radix_sort_onesweep_config_selectorI6__halfNS0_10empty_typeEEEZNS1_34radix_sort_onesweep_global_offsetsIS3_Lb0EPKS5_PS6_mNS0_19identity_decomposerEEE10hipError_tT1_T2_PT3_SG_jT4_jjP12ihipStream_tbEUlT_E0_NS1_11comp_targetILNS1_3genE4ELNS1_11target_archE910ELNS1_3gpuE8ELNS1_3repE0EEENS1_52radix_sort_onesweep_histogram_config_static_selectorELNS0_4arch9wavefront6targetE0EEEvSE_.has_dyn_sized_stack, 0
	.set _ZN7rocprim17ROCPRIM_400000_NS6detail17trampoline_kernelINS0_14default_configENS1_35radix_sort_onesweep_config_selectorI6__halfNS0_10empty_typeEEEZNS1_34radix_sort_onesweep_global_offsetsIS3_Lb0EPKS5_PS6_mNS0_19identity_decomposerEEE10hipError_tT1_T2_PT3_SG_jT4_jjP12ihipStream_tbEUlT_E0_NS1_11comp_targetILNS1_3genE4ELNS1_11target_archE910ELNS1_3gpuE8ELNS1_3repE0EEENS1_52radix_sort_onesweep_histogram_config_static_selectorELNS0_4arch9wavefront6targetE0EEEvSE_.has_recursion, 0
	.set _ZN7rocprim17ROCPRIM_400000_NS6detail17trampoline_kernelINS0_14default_configENS1_35radix_sort_onesweep_config_selectorI6__halfNS0_10empty_typeEEEZNS1_34radix_sort_onesweep_global_offsetsIS3_Lb0EPKS5_PS6_mNS0_19identity_decomposerEEE10hipError_tT1_T2_PT3_SG_jT4_jjP12ihipStream_tbEUlT_E0_NS1_11comp_targetILNS1_3genE4ELNS1_11target_archE910ELNS1_3gpuE8ELNS1_3repE0EEENS1_52radix_sort_onesweep_histogram_config_static_selectorELNS0_4arch9wavefront6targetE0EEEvSE_.has_indirect_call, 0
	.section	.AMDGPU.csdata,"",@progbits
; Kernel info:
; codeLenInByte = 0
; TotalNumSgprs: 0
; NumVgprs: 0
; ScratchSize: 0
; MemoryBound: 0
; FloatMode: 240
; IeeeMode: 1
; LDSByteSize: 0 bytes/workgroup (compile time only)
; SGPRBlocks: 0
; VGPRBlocks: 0
; NumSGPRsForWavesPerEU: 1
; NumVGPRsForWavesPerEU: 1
; NamedBarCnt: 0
; Occupancy: 16
; WaveLimiterHint : 0
; COMPUTE_PGM_RSRC2:SCRATCH_EN: 0
; COMPUTE_PGM_RSRC2:USER_SGPR: 2
; COMPUTE_PGM_RSRC2:TRAP_HANDLER: 0
; COMPUTE_PGM_RSRC2:TGID_X_EN: 1
; COMPUTE_PGM_RSRC2:TGID_Y_EN: 0
; COMPUTE_PGM_RSRC2:TGID_Z_EN: 0
; COMPUTE_PGM_RSRC2:TIDIG_COMP_CNT: 0
	.section	.text._ZN7rocprim17ROCPRIM_400000_NS6detail17trampoline_kernelINS0_14default_configENS1_35radix_sort_onesweep_config_selectorI6__halfNS0_10empty_typeEEEZNS1_34radix_sort_onesweep_global_offsetsIS3_Lb0EPKS5_PS6_mNS0_19identity_decomposerEEE10hipError_tT1_T2_PT3_SG_jT4_jjP12ihipStream_tbEUlT_E0_NS1_11comp_targetILNS1_3genE3ELNS1_11target_archE908ELNS1_3gpuE7ELNS1_3repE0EEENS1_52radix_sort_onesweep_histogram_config_static_selectorELNS0_4arch9wavefront6targetE0EEEvSE_,"axG",@progbits,_ZN7rocprim17ROCPRIM_400000_NS6detail17trampoline_kernelINS0_14default_configENS1_35radix_sort_onesweep_config_selectorI6__halfNS0_10empty_typeEEEZNS1_34radix_sort_onesweep_global_offsetsIS3_Lb0EPKS5_PS6_mNS0_19identity_decomposerEEE10hipError_tT1_T2_PT3_SG_jT4_jjP12ihipStream_tbEUlT_E0_NS1_11comp_targetILNS1_3genE3ELNS1_11target_archE908ELNS1_3gpuE7ELNS1_3repE0EEENS1_52radix_sort_onesweep_histogram_config_static_selectorELNS0_4arch9wavefront6targetE0EEEvSE_,comdat
	.protected	_ZN7rocprim17ROCPRIM_400000_NS6detail17trampoline_kernelINS0_14default_configENS1_35radix_sort_onesweep_config_selectorI6__halfNS0_10empty_typeEEEZNS1_34radix_sort_onesweep_global_offsetsIS3_Lb0EPKS5_PS6_mNS0_19identity_decomposerEEE10hipError_tT1_T2_PT3_SG_jT4_jjP12ihipStream_tbEUlT_E0_NS1_11comp_targetILNS1_3genE3ELNS1_11target_archE908ELNS1_3gpuE7ELNS1_3repE0EEENS1_52radix_sort_onesweep_histogram_config_static_selectorELNS0_4arch9wavefront6targetE0EEEvSE_ ; -- Begin function _ZN7rocprim17ROCPRIM_400000_NS6detail17trampoline_kernelINS0_14default_configENS1_35radix_sort_onesweep_config_selectorI6__halfNS0_10empty_typeEEEZNS1_34radix_sort_onesweep_global_offsetsIS3_Lb0EPKS5_PS6_mNS0_19identity_decomposerEEE10hipError_tT1_T2_PT3_SG_jT4_jjP12ihipStream_tbEUlT_E0_NS1_11comp_targetILNS1_3genE3ELNS1_11target_archE908ELNS1_3gpuE7ELNS1_3repE0EEENS1_52radix_sort_onesweep_histogram_config_static_selectorELNS0_4arch9wavefront6targetE0EEEvSE_
	.globl	_ZN7rocprim17ROCPRIM_400000_NS6detail17trampoline_kernelINS0_14default_configENS1_35radix_sort_onesweep_config_selectorI6__halfNS0_10empty_typeEEEZNS1_34radix_sort_onesweep_global_offsetsIS3_Lb0EPKS5_PS6_mNS0_19identity_decomposerEEE10hipError_tT1_T2_PT3_SG_jT4_jjP12ihipStream_tbEUlT_E0_NS1_11comp_targetILNS1_3genE3ELNS1_11target_archE908ELNS1_3gpuE7ELNS1_3repE0EEENS1_52radix_sort_onesweep_histogram_config_static_selectorELNS0_4arch9wavefront6targetE0EEEvSE_
	.p2align	8
	.type	_ZN7rocprim17ROCPRIM_400000_NS6detail17trampoline_kernelINS0_14default_configENS1_35radix_sort_onesweep_config_selectorI6__halfNS0_10empty_typeEEEZNS1_34radix_sort_onesweep_global_offsetsIS3_Lb0EPKS5_PS6_mNS0_19identity_decomposerEEE10hipError_tT1_T2_PT3_SG_jT4_jjP12ihipStream_tbEUlT_E0_NS1_11comp_targetILNS1_3genE3ELNS1_11target_archE908ELNS1_3gpuE7ELNS1_3repE0EEENS1_52radix_sort_onesweep_histogram_config_static_selectorELNS0_4arch9wavefront6targetE0EEEvSE_,@function
_ZN7rocprim17ROCPRIM_400000_NS6detail17trampoline_kernelINS0_14default_configENS1_35radix_sort_onesweep_config_selectorI6__halfNS0_10empty_typeEEEZNS1_34radix_sort_onesweep_global_offsetsIS3_Lb0EPKS5_PS6_mNS0_19identity_decomposerEEE10hipError_tT1_T2_PT3_SG_jT4_jjP12ihipStream_tbEUlT_E0_NS1_11comp_targetILNS1_3genE3ELNS1_11target_archE908ELNS1_3gpuE7ELNS1_3repE0EEENS1_52radix_sort_onesweep_histogram_config_static_selectorELNS0_4arch9wavefront6targetE0EEEvSE_: ; @_ZN7rocprim17ROCPRIM_400000_NS6detail17trampoline_kernelINS0_14default_configENS1_35radix_sort_onesweep_config_selectorI6__halfNS0_10empty_typeEEEZNS1_34radix_sort_onesweep_global_offsetsIS3_Lb0EPKS5_PS6_mNS0_19identity_decomposerEEE10hipError_tT1_T2_PT3_SG_jT4_jjP12ihipStream_tbEUlT_E0_NS1_11comp_targetILNS1_3genE3ELNS1_11target_archE908ELNS1_3gpuE7ELNS1_3repE0EEENS1_52radix_sort_onesweep_histogram_config_static_selectorELNS0_4arch9wavefront6targetE0EEEvSE_
; %bb.0:
	.section	.rodata,"a",@progbits
	.p2align	6, 0x0
	.amdhsa_kernel _ZN7rocprim17ROCPRIM_400000_NS6detail17trampoline_kernelINS0_14default_configENS1_35radix_sort_onesweep_config_selectorI6__halfNS0_10empty_typeEEEZNS1_34radix_sort_onesweep_global_offsetsIS3_Lb0EPKS5_PS6_mNS0_19identity_decomposerEEE10hipError_tT1_T2_PT3_SG_jT4_jjP12ihipStream_tbEUlT_E0_NS1_11comp_targetILNS1_3genE3ELNS1_11target_archE908ELNS1_3gpuE7ELNS1_3repE0EEENS1_52radix_sort_onesweep_histogram_config_static_selectorELNS0_4arch9wavefront6targetE0EEEvSE_
		.amdhsa_group_segment_fixed_size 0
		.amdhsa_private_segment_fixed_size 0
		.amdhsa_kernarg_size 8
		.amdhsa_user_sgpr_count 2
		.amdhsa_user_sgpr_dispatch_ptr 0
		.amdhsa_user_sgpr_queue_ptr 0
		.amdhsa_user_sgpr_kernarg_segment_ptr 1
		.amdhsa_user_sgpr_dispatch_id 0
		.amdhsa_user_sgpr_kernarg_preload_length 0
		.amdhsa_user_sgpr_kernarg_preload_offset 0
		.amdhsa_user_sgpr_private_segment_size 0
		.amdhsa_wavefront_size32 1
		.amdhsa_uses_dynamic_stack 0
		.amdhsa_enable_private_segment 0
		.amdhsa_system_sgpr_workgroup_id_x 1
		.amdhsa_system_sgpr_workgroup_id_y 0
		.amdhsa_system_sgpr_workgroup_id_z 0
		.amdhsa_system_sgpr_workgroup_info 0
		.amdhsa_system_vgpr_workitem_id 0
		.amdhsa_next_free_vgpr 1
		.amdhsa_next_free_sgpr 1
		.amdhsa_named_barrier_count 0
		.amdhsa_reserve_vcc 0
		.amdhsa_float_round_mode_32 0
		.amdhsa_float_round_mode_16_64 0
		.amdhsa_float_denorm_mode_32 3
		.amdhsa_float_denorm_mode_16_64 3
		.amdhsa_fp16_overflow 0
		.amdhsa_memory_ordered 1
		.amdhsa_forward_progress 1
		.amdhsa_inst_pref_size 0
		.amdhsa_round_robin_scheduling 0
		.amdhsa_exception_fp_ieee_invalid_op 0
		.amdhsa_exception_fp_denorm_src 0
		.amdhsa_exception_fp_ieee_div_zero 0
		.amdhsa_exception_fp_ieee_overflow 0
		.amdhsa_exception_fp_ieee_underflow 0
		.amdhsa_exception_fp_ieee_inexact 0
		.amdhsa_exception_int_div_zero 0
	.end_amdhsa_kernel
	.section	.text._ZN7rocprim17ROCPRIM_400000_NS6detail17trampoline_kernelINS0_14default_configENS1_35radix_sort_onesweep_config_selectorI6__halfNS0_10empty_typeEEEZNS1_34radix_sort_onesweep_global_offsetsIS3_Lb0EPKS5_PS6_mNS0_19identity_decomposerEEE10hipError_tT1_T2_PT3_SG_jT4_jjP12ihipStream_tbEUlT_E0_NS1_11comp_targetILNS1_3genE3ELNS1_11target_archE908ELNS1_3gpuE7ELNS1_3repE0EEENS1_52radix_sort_onesweep_histogram_config_static_selectorELNS0_4arch9wavefront6targetE0EEEvSE_,"axG",@progbits,_ZN7rocprim17ROCPRIM_400000_NS6detail17trampoline_kernelINS0_14default_configENS1_35radix_sort_onesweep_config_selectorI6__halfNS0_10empty_typeEEEZNS1_34radix_sort_onesweep_global_offsetsIS3_Lb0EPKS5_PS6_mNS0_19identity_decomposerEEE10hipError_tT1_T2_PT3_SG_jT4_jjP12ihipStream_tbEUlT_E0_NS1_11comp_targetILNS1_3genE3ELNS1_11target_archE908ELNS1_3gpuE7ELNS1_3repE0EEENS1_52radix_sort_onesweep_histogram_config_static_selectorELNS0_4arch9wavefront6targetE0EEEvSE_,comdat
.Lfunc_end2246:
	.size	_ZN7rocprim17ROCPRIM_400000_NS6detail17trampoline_kernelINS0_14default_configENS1_35radix_sort_onesweep_config_selectorI6__halfNS0_10empty_typeEEEZNS1_34radix_sort_onesweep_global_offsetsIS3_Lb0EPKS5_PS6_mNS0_19identity_decomposerEEE10hipError_tT1_T2_PT3_SG_jT4_jjP12ihipStream_tbEUlT_E0_NS1_11comp_targetILNS1_3genE3ELNS1_11target_archE908ELNS1_3gpuE7ELNS1_3repE0EEENS1_52radix_sort_onesweep_histogram_config_static_selectorELNS0_4arch9wavefront6targetE0EEEvSE_, .Lfunc_end2246-_ZN7rocprim17ROCPRIM_400000_NS6detail17trampoline_kernelINS0_14default_configENS1_35radix_sort_onesweep_config_selectorI6__halfNS0_10empty_typeEEEZNS1_34radix_sort_onesweep_global_offsetsIS3_Lb0EPKS5_PS6_mNS0_19identity_decomposerEEE10hipError_tT1_T2_PT3_SG_jT4_jjP12ihipStream_tbEUlT_E0_NS1_11comp_targetILNS1_3genE3ELNS1_11target_archE908ELNS1_3gpuE7ELNS1_3repE0EEENS1_52radix_sort_onesweep_histogram_config_static_selectorELNS0_4arch9wavefront6targetE0EEEvSE_
                                        ; -- End function
	.set _ZN7rocprim17ROCPRIM_400000_NS6detail17trampoline_kernelINS0_14default_configENS1_35radix_sort_onesweep_config_selectorI6__halfNS0_10empty_typeEEEZNS1_34radix_sort_onesweep_global_offsetsIS3_Lb0EPKS5_PS6_mNS0_19identity_decomposerEEE10hipError_tT1_T2_PT3_SG_jT4_jjP12ihipStream_tbEUlT_E0_NS1_11comp_targetILNS1_3genE3ELNS1_11target_archE908ELNS1_3gpuE7ELNS1_3repE0EEENS1_52radix_sort_onesweep_histogram_config_static_selectorELNS0_4arch9wavefront6targetE0EEEvSE_.num_vgpr, 0
	.set _ZN7rocprim17ROCPRIM_400000_NS6detail17trampoline_kernelINS0_14default_configENS1_35radix_sort_onesweep_config_selectorI6__halfNS0_10empty_typeEEEZNS1_34radix_sort_onesweep_global_offsetsIS3_Lb0EPKS5_PS6_mNS0_19identity_decomposerEEE10hipError_tT1_T2_PT3_SG_jT4_jjP12ihipStream_tbEUlT_E0_NS1_11comp_targetILNS1_3genE3ELNS1_11target_archE908ELNS1_3gpuE7ELNS1_3repE0EEENS1_52radix_sort_onesweep_histogram_config_static_selectorELNS0_4arch9wavefront6targetE0EEEvSE_.num_agpr, 0
	.set _ZN7rocprim17ROCPRIM_400000_NS6detail17trampoline_kernelINS0_14default_configENS1_35radix_sort_onesweep_config_selectorI6__halfNS0_10empty_typeEEEZNS1_34radix_sort_onesweep_global_offsetsIS3_Lb0EPKS5_PS6_mNS0_19identity_decomposerEEE10hipError_tT1_T2_PT3_SG_jT4_jjP12ihipStream_tbEUlT_E0_NS1_11comp_targetILNS1_3genE3ELNS1_11target_archE908ELNS1_3gpuE7ELNS1_3repE0EEENS1_52radix_sort_onesweep_histogram_config_static_selectorELNS0_4arch9wavefront6targetE0EEEvSE_.numbered_sgpr, 0
	.set _ZN7rocprim17ROCPRIM_400000_NS6detail17trampoline_kernelINS0_14default_configENS1_35radix_sort_onesweep_config_selectorI6__halfNS0_10empty_typeEEEZNS1_34radix_sort_onesweep_global_offsetsIS3_Lb0EPKS5_PS6_mNS0_19identity_decomposerEEE10hipError_tT1_T2_PT3_SG_jT4_jjP12ihipStream_tbEUlT_E0_NS1_11comp_targetILNS1_3genE3ELNS1_11target_archE908ELNS1_3gpuE7ELNS1_3repE0EEENS1_52radix_sort_onesweep_histogram_config_static_selectorELNS0_4arch9wavefront6targetE0EEEvSE_.num_named_barrier, 0
	.set _ZN7rocprim17ROCPRIM_400000_NS6detail17trampoline_kernelINS0_14default_configENS1_35radix_sort_onesweep_config_selectorI6__halfNS0_10empty_typeEEEZNS1_34radix_sort_onesweep_global_offsetsIS3_Lb0EPKS5_PS6_mNS0_19identity_decomposerEEE10hipError_tT1_T2_PT3_SG_jT4_jjP12ihipStream_tbEUlT_E0_NS1_11comp_targetILNS1_3genE3ELNS1_11target_archE908ELNS1_3gpuE7ELNS1_3repE0EEENS1_52radix_sort_onesweep_histogram_config_static_selectorELNS0_4arch9wavefront6targetE0EEEvSE_.private_seg_size, 0
	.set _ZN7rocprim17ROCPRIM_400000_NS6detail17trampoline_kernelINS0_14default_configENS1_35radix_sort_onesweep_config_selectorI6__halfNS0_10empty_typeEEEZNS1_34radix_sort_onesweep_global_offsetsIS3_Lb0EPKS5_PS6_mNS0_19identity_decomposerEEE10hipError_tT1_T2_PT3_SG_jT4_jjP12ihipStream_tbEUlT_E0_NS1_11comp_targetILNS1_3genE3ELNS1_11target_archE908ELNS1_3gpuE7ELNS1_3repE0EEENS1_52radix_sort_onesweep_histogram_config_static_selectorELNS0_4arch9wavefront6targetE0EEEvSE_.uses_vcc, 0
	.set _ZN7rocprim17ROCPRIM_400000_NS6detail17trampoline_kernelINS0_14default_configENS1_35radix_sort_onesweep_config_selectorI6__halfNS0_10empty_typeEEEZNS1_34radix_sort_onesweep_global_offsetsIS3_Lb0EPKS5_PS6_mNS0_19identity_decomposerEEE10hipError_tT1_T2_PT3_SG_jT4_jjP12ihipStream_tbEUlT_E0_NS1_11comp_targetILNS1_3genE3ELNS1_11target_archE908ELNS1_3gpuE7ELNS1_3repE0EEENS1_52radix_sort_onesweep_histogram_config_static_selectorELNS0_4arch9wavefront6targetE0EEEvSE_.uses_flat_scratch, 0
	.set _ZN7rocprim17ROCPRIM_400000_NS6detail17trampoline_kernelINS0_14default_configENS1_35radix_sort_onesweep_config_selectorI6__halfNS0_10empty_typeEEEZNS1_34radix_sort_onesweep_global_offsetsIS3_Lb0EPKS5_PS6_mNS0_19identity_decomposerEEE10hipError_tT1_T2_PT3_SG_jT4_jjP12ihipStream_tbEUlT_E0_NS1_11comp_targetILNS1_3genE3ELNS1_11target_archE908ELNS1_3gpuE7ELNS1_3repE0EEENS1_52radix_sort_onesweep_histogram_config_static_selectorELNS0_4arch9wavefront6targetE0EEEvSE_.has_dyn_sized_stack, 0
	.set _ZN7rocprim17ROCPRIM_400000_NS6detail17trampoline_kernelINS0_14default_configENS1_35radix_sort_onesweep_config_selectorI6__halfNS0_10empty_typeEEEZNS1_34radix_sort_onesweep_global_offsetsIS3_Lb0EPKS5_PS6_mNS0_19identity_decomposerEEE10hipError_tT1_T2_PT3_SG_jT4_jjP12ihipStream_tbEUlT_E0_NS1_11comp_targetILNS1_3genE3ELNS1_11target_archE908ELNS1_3gpuE7ELNS1_3repE0EEENS1_52radix_sort_onesweep_histogram_config_static_selectorELNS0_4arch9wavefront6targetE0EEEvSE_.has_recursion, 0
	.set _ZN7rocprim17ROCPRIM_400000_NS6detail17trampoline_kernelINS0_14default_configENS1_35radix_sort_onesweep_config_selectorI6__halfNS0_10empty_typeEEEZNS1_34radix_sort_onesweep_global_offsetsIS3_Lb0EPKS5_PS6_mNS0_19identity_decomposerEEE10hipError_tT1_T2_PT3_SG_jT4_jjP12ihipStream_tbEUlT_E0_NS1_11comp_targetILNS1_3genE3ELNS1_11target_archE908ELNS1_3gpuE7ELNS1_3repE0EEENS1_52radix_sort_onesweep_histogram_config_static_selectorELNS0_4arch9wavefront6targetE0EEEvSE_.has_indirect_call, 0
	.section	.AMDGPU.csdata,"",@progbits
; Kernel info:
; codeLenInByte = 0
; TotalNumSgprs: 0
; NumVgprs: 0
; ScratchSize: 0
; MemoryBound: 0
; FloatMode: 240
; IeeeMode: 1
; LDSByteSize: 0 bytes/workgroup (compile time only)
; SGPRBlocks: 0
; VGPRBlocks: 0
; NumSGPRsForWavesPerEU: 1
; NumVGPRsForWavesPerEU: 1
; NamedBarCnt: 0
; Occupancy: 16
; WaveLimiterHint : 0
; COMPUTE_PGM_RSRC2:SCRATCH_EN: 0
; COMPUTE_PGM_RSRC2:USER_SGPR: 2
; COMPUTE_PGM_RSRC2:TRAP_HANDLER: 0
; COMPUTE_PGM_RSRC2:TGID_X_EN: 1
; COMPUTE_PGM_RSRC2:TGID_Y_EN: 0
; COMPUTE_PGM_RSRC2:TGID_Z_EN: 0
; COMPUTE_PGM_RSRC2:TIDIG_COMP_CNT: 0
	.section	.text._ZN7rocprim17ROCPRIM_400000_NS6detail17trampoline_kernelINS0_14default_configENS1_35radix_sort_onesweep_config_selectorI6__halfNS0_10empty_typeEEEZNS1_34radix_sort_onesweep_global_offsetsIS3_Lb0EPKS5_PS6_mNS0_19identity_decomposerEEE10hipError_tT1_T2_PT3_SG_jT4_jjP12ihipStream_tbEUlT_E0_NS1_11comp_targetILNS1_3genE10ELNS1_11target_archE1201ELNS1_3gpuE5ELNS1_3repE0EEENS1_52radix_sort_onesweep_histogram_config_static_selectorELNS0_4arch9wavefront6targetE0EEEvSE_,"axG",@progbits,_ZN7rocprim17ROCPRIM_400000_NS6detail17trampoline_kernelINS0_14default_configENS1_35radix_sort_onesweep_config_selectorI6__halfNS0_10empty_typeEEEZNS1_34radix_sort_onesweep_global_offsetsIS3_Lb0EPKS5_PS6_mNS0_19identity_decomposerEEE10hipError_tT1_T2_PT3_SG_jT4_jjP12ihipStream_tbEUlT_E0_NS1_11comp_targetILNS1_3genE10ELNS1_11target_archE1201ELNS1_3gpuE5ELNS1_3repE0EEENS1_52radix_sort_onesweep_histogram_config_static_selectorELNS0_4arch9wavefront6targetE0EEEvSE_,comdat
	.protected	_ZN7rocprim17ROCPRIM_400000_NS6detail17trampoline_kernelINS0_14default_configENS1_35radix_sort_onesweep_config_selectorI6__halfNS0_10empty_typeEEEZNS1_34radix_sort_onesweep_global_offsetsIS3_Lb0EPKS5_PS6_mNS0_19identity_decomposerEEE10hipError_tT1_T2_PT3_SG_jT4_jjP12ihipStream_tbEUlT_E0_NS1_11comp_targetILNS1_3genE10ELNS1_11target_archE1201ELNS1_3gpuE5ELNS1_3repE0EEENS1_52radix_sort_onesweep_histogram_config_static_selectorELNS0_4arch9wavefront6targetE0EEEvSE_ ; -- Begin function _ZN7rocprim17ROCPRIM_400000_NS6detail17trampoline_kernelINS0_14default_configENS1_35radix_sort_onesweep_config_selectorI6__halfNS0_10empty_typeEEEZNS1_34radix_sort_onesweep_global_offsetsIS3_Lb0EPKS5_PS6_mNS0_19identity_decomposerEEE10hipError_tT1_T2_PT3_SG_jT4_jjP12ihipStream_tbEUlT_E0_NS1_11comp_targetILNS1_3genE10ELNS1_11target_archE1201ELNS1_3gpuE5ELNS1_3repE0EEENS1_52radix_sort_onesweep_histogram_config_static_selectorELNS0_4arch9wavefront6targetE0EEEvSE_
	.globl	_ZN7rocprim17ROCPRIM_400000_NS6detail17trampoline_kernelINS0_14default_configENS1_35radix_sort_onesweep_config_selectorI6__halfNS0_10empty_typeEEEZNS1_34radix_sort_onesweep_global_offsetsIS3_Lb0EPKS5_PS6_mNS0_19identity_decomposerEEE10hipError_tT1_T2_PT3_SG_jT4_jjP12ihipStream_tbEUlT_E0_NS1_11comp_targetILNS1_3genE10ELNS1_11target_archE1201ELNS1_3gpuE5ELNS1_3repE0EEENS1_52radix_sort_onesweep_histogram_config_static_selectorELNS0_4arch9wavefront6targetE0EEEvSE_
	.p2align	8
	.type	_ZN7rocprim17ROCPRIM_400000_NS6detail17trampoline_kernelINS0_14default_configENS1_35radix_sort_onesweep_config_selectorI6__halfNS0_10empty_typeEEEZNS1_34radix_sort_onesweep_global_offsetsIS3_Lb0EPKS5_PS6_mNS0_19identity_decomposerEEE10hipError_tT1_T2_PT3_SG_jT4_jjP12ihipStream_tbEUlT_E0_NS1_11comp_targetILNS1_3genE10ELNS1_11target_archE1201ELNS1_3gpuE5ELNS1_3repE0EEENS1_52radix_sort_onesweep_histogram_config_static_selectorELNS0_4arch9wavefront6targetE0EEEvSE_,@function
_ZN7rocprim17ROCPRIM_400000_NS6detail17trampoline_kernelINS0_14default_configENS1_35radix_sort_onesweep_config_selectorI6__halfNS0_10empty_typeEEEZNS1_34radix_sort_onesweep_global_offsetsIS3_Lb0EPKS5_PS6_mNS0_19identity_decomposerEEE10hipError_tT1_T2_PT3_SG_jT4_jjP12ihipStream_tbEUlT_E0_NS1_11comp_targetILNS1_3genE10ELNS1_11target_archE1201ELNS1_3gpuE5ELNS1_3repE0EEENS1_52radix_sort_onesweep_histogram_config_static_selectorELNS0_4arch9wavefront6targetE0EEEvSE_: ; @_ZN7rocprim17ROCPRIM_400000_NS6detail17trampoline_kernelINS0_14default_configENS1_35radix_sort_onesweep_config_selectorI6__halfNS0_10empty_typeEEEZNS1_34radix_sort_onesweep_global_offsetsIS3_Lb0EPKS5_PS6_mNS0_19identity_decomposerEEE10hipError_tT1_T2_PT3_SG_jT4_jjP12ihipStream_tbEUlT_E0_NS1_11comp_targetILNS1_3genE10ELNS1_11target_archE1201ELNS1_3gpuE5ELNS1_3repE0EEENS1_52radix_sort_onesweep_histogram_config_static_selectorELNS0_4arch9wavefront6targetE0EEEvSE_
; %bb.0:
	.section	.rodata,"a",@progbits
	.p2align	6, 0x0
	.amdhsa_kernel _ZN7rocprim17ROCPRIM_400000_NS6detail17trampoline_kernelINS0_14default_configENS1_35radix_sort_onesweep_config_selectorI6__halfNS0_10empty_typeEEEZNS1_34radix_sort_onesweep_global_offsetsIS3_Lb0EPKS5_PS6_mNS0_19identity_decomposerEEE10hipError_tT1_T2_PT3_SG_jT4_jjP12ihipStream_tbEUlT_E0_NS1_11comp_targetILNS1_3genE10ELNS1_11target_archE1201ELNS1_3gpuE5ELNS1_3repE0EEENS1_52radix_sort_onesweep_histogram_config_static_selectorELNS0_4arch9wavefront6targetE0EEEvSE_
		.amdhsa_group_segment_fixed_size 0
		.amdhsa_private_segment_fixed_size 0
		.amdhsa_kernarg_size 8
		.amdhsa_user_sgpr_count 2
		.amdhsa_user_sgpr_dispatch_ptr 0
		.amdhsa_user_sgpr_queue_ptr 0
		.amdhsa_user_sgpr_kernarg_segment_ptr 1
		.amdhsa_user_sgpr_dispatch_id 0
		.amdhsa_user_sgpr_kernarg_preload_length 0
		.amdhsa_user_sgpr_kernarg_preload_offset 0
		.amdhsa_user_sgpr_private_segment_size 0
		.amdhsa_wavefront_size32 1
		.amdhsa_uses_dynamic_stack 0
		.amdhsa_enable_private_segment 0
		.amdhsa_system_sgpr_workgroup_id_x 1
		.amdhsa_system_sgpr_workgroup_id_y 0
		.amdhsa_system_sgpr_workgroup_id_z 0
		.amdhsa_system_sgpr_workgroup_info 0
		.amdhsa_system_vgpr_workitem_id 0
		.amdhsa_next_free_vgpr 1
		.amdhsa_next_free_sgpr 1
		.amdhsa_named_barrier_count 0
		.amdhsa_reserve_vcc 0
		.amdhsa_float_round_mode_32 0
		.amdhsa_float_round_mode_16_64 0
		.amdhsa_float_denorm_mode_32 3
		.amdhsa_float_denorm_mode_16_64 3
		.amdhsa_fp16_overflow 0
		.amdhsa_memory_ordered 1
		.amdhsa_forward_progress 1
		.amdhsa_inst_pref_size 0
		.amdhsa_round_robin_scheduling 0
		.amdhsa_exception_fp_ieee_invalid_op 0
		.amdhsa_exception_fp_denorm_src 0
		.amdhsa_exception_fp_ieee_div_zero 0
		.amdhsa_exception_fp_ieee_overflow 0
		.amdhsa_exception_fp_ieee_underflow 0
		.amdhsa_exception_fp_ieee_inexact 0
		.amdhsa_exception_int_div_zero 0
	.end_amdhsa_kernel
	.section	.text._ZN7rocprim17ROCPRIM_400000_NS6detail17trampoline_kernelINS0_14default_configENS1_35radix_sort_onesweep_config_selectorI6__halfNS0_10empty_typeEEEZNS1_34radix_sort_onesweep_global_offsetsIS3_Lb0EPKS5_PS6_mNS0_19identity_decomposerEEE10hipError_tT1_T2_PT3_SG_jT4_jjP12ihipStream_tbEUlT_E0_NS1_11comp_targetILNS1_3genE10ELNS1_11target_archE1201ELNS1_3gpuE5ELNS1_3repE0EEENS1_52radix_sort_onesweep_histogram_config_static_selectorELNS0_4arch9wavefront6targetE0EEEvSE_,"axG",@progbits,_ZN7rocprim17ROCPRIM_400000_NS6detail17trampoline_kernelINS0_14default_configENS1_35radix_sort_onesweep_config_selectorI6__halfNS0_10empty_typeEEEZNS1_34radix_sort_onesweep_global_offsetsIS3_Lb0EPKS5_PS6_mNS0_19identity_decomposerEEE10hipError_tT1_T2_PT3_SG_jT4_jjP12ihipStream_tbEUlT_E0_NS1_11comp_targetILNS1_3genE10ELNS1_11target_archE1201ELNS1_3gpuE5ELNS1_3repE0EEENS1_52radix_sort_onesweep_histogram_config_static_selectorELNS0_4arch9wavefront6targetE0EEEvSE_,comdat
.Lfunc_end2247:
	.size	_ZN7rocprim17ROCPRIM_400000_NS6detail17trampoline_kernelINS0_14default_configENS1_35radix_sort_onesweep_config_selectorI6__halfNS0_10empty_typeEEEZNS1_34radix_sort_onesweep_global_offsetsIS3_Lb0EPKS5_PS6_mNS0_19identity_decomposerEEE10hipError_tT1_T2_PT3_SG_jT4_jjP12ihipStream_tbEUlT_E0_NS1_11comp_targetILNS1_3genE10ELNS1_11target_archE1201ELNS1_3gpuE5ELNS1_3repE0EEENS1_52radix_sort_onesweep_histogram_config_static_selectorELNS0_4arch9wavefront6targetE0EEEvSE_, .Lfunc_end2247-_ZN7rocprim17ROCPRIM_400000_NS6detail17trampoline_kernelINS0_14default_configENS1_35radix_sort_onesweep_config_selectorI6__halfNS0_10empty_typeEEEZNS1_34radix_sort_onesweep_global_offsetsIS3_Lb0EPKS5_PS6_mNS0_19identity_decomposerEEE10hipError_tT1_T2_PT3_SG_jT4_jjP12ihipStream_tbEUlT_E0_NS1_11comp_targetILNS1_3genE10ELNS1_11target_archE1201ELNS1_3gpuE5ELNS1_3repE0EEENS1_52radix_sort_onesweep_histogram_config_static_selectorELNS0_4arch9wavefront6targetE0EEEvSE_
                                        ; -- End function
	.set _ZN7rocprim17ROCPRIM_400000_NS6detail17trampoline_kernelINS0_14default_configENS1_35radix_sort_onesweep_config_selectorI6__halfNS0_10empty_typeEEEZNS1_34radix_sort_onesweep_global_offsetsIS3_Lb0EPKS5_PS6_mNS0_19identity_decomposerEEE10hipError_tT1_T2_PT3_SG_jT4_jjP12ihipStream_tbEUlT_E0_NS1_11comp_targetILNS1_3genE10ELNS1_11target_archE1201ELNS1_3gpuE5ELNS1_3repE0EEENS1_52radix_sort_onesweep_histogram_config_static_selectorELNS0_4arch9wavefront6targetE0EEEvSE_.num_vgpr, 0
	.set _ZN7rocprim17ROCPRIM_400000_NS6detail17trampoline_kernelINS0_14default_configENS1_35radix_sort_onesweep_config_selectorI6__halfNS0_10empty_typeEEEZNS1_34radix_sort_onesweep_global_offsetsIS3_Lb0EPKS5_PS6_mNS0_19identity_decomposerEEE10hipError_tT1_T2_PT3_SG_jT4_jjP12ihipStream_tbEUlT_E0_NS1_11comp_targetILNS1_3genE10ELNS1_11target_archE1201ELNS1_3gpuE5ELNS1_3repE0EEENS1_52radix_sort_onesweep_histogram_config_static_selectorELNS0_4arch9wavefront6targetE0EEEvSE_.num_agpr, 0
	.set _ZN7rocprim17ROCPRIM_400000_NS6detail17trampoline_kernelINS0_14default_configENS1_35radix_sort_onesweep_config_selectorI6__halfNS0_10empty_typeEEEZNS1_34radix_sort_onesweep_global_offsetsIS3_Lb0EPKS5_PS6_mNS0_19identity_decomposerEEE10hipError_tT1_T2_PT3_SG_jT4_jjP12ihipStream_tbEUlT_E0_NS1_11comp_targetILNS1_3genE10ELNS1_11target_archE1201ELNS1_3gpuE5ELNS1_3repE0EEENS1_52radix_sort_onesweep_histogram_config_static_selectorELNS0_4arch9wavefront6targetE0EEEvSE_.numbered_sgpr, 0
	.set _ZN7rocprim17ROCPRIM_400000_NS6detail17trampoline_kernelINS0_14default_configENS1_35radix_sort_onesweep_config_selectorI6__halfNS0_10empty_typeEEEZNS1_34radix_sort_onesweep_global_offsetsIS3_Lb0EPKS5_PS6_mNS0_19identity_decomposerEEE10hipError_tT1_T2_PT3_SG_jT4_jjP12ihipStream_tbEUlT_E0_NS1_11comp_targetILNS1_3genE10ELNS1_11target_archE1201ELNS1_3gpuE5ELNS1_3repE0EEENS1_52radix_sort_onesweep_histogram_config_static_selectorELNS0_4arch9wavefront6targetE0EEEvSE_.num_named_barrier, 0
	.set _ZN7rocprim17ROCPRIM_400000_NS6detail17trampoline_kernelINS0_14default_configENS1_35radix_sort_onesweep_config_selectorI6__halfNS0_10empty_typeEEEZNS1_34radix_sort_onesweep_global_offsetsIS3_Lb0EPKS5_PS6_mNS0_19identity_decomposerEEE10hipError_tT1_T2_PT3_SG_jT4_jjP12ihipStream_tbEUlT_E0_NS1_11comp_targetILNS1_3genE10ELNS1_11target_archE1201ELNS1_3gpuE5ELNS1_3repE0EEENS1_52radix_sort_onesweep_histogram_config_static_selectorELNS0_4arch9wavefront6targetE0EEEvSE_.private_seg_size, 0
	.set _ZN7rocprim17ROCPRIM_400000_NS6detail17trampoline_kernelINS0_14default_configENS1_35radix_sort_onesweep_config_selectorI6__halfNS0_10empty_typeEEEZNS1_34radix_sort_onesweep_global_offsetsIS3_Lb0EPKS5_PS6_mNS0_19identity_decomposerEEE10hipError_tT1_T2_PT3_SG_jT4_jjP12ihipStream_tbEUlT_E0_NS1_11comp_targetILNS1_3genE10ELNS1_11target_archE1201ELNS1_3gpuE5ELNS1_3repE0EEENS1_52radix_sort_onesweep_histogram_config_static_selectorELNS0_4arch9wavefront6targetE0EEEvSE_.uses_vcc, 0
	.set _ZN7rocprim17ROCPRIM_400000_NS6detail17trampoline_kernelINS0_14default_configENS1_35radix_sort_onesweep_config_selectorI6__halfNS0_10empty_typeEEEZNS1_34radix_sort_onesweep_global_offsetsIS3_Lb0EPKS5_PS6_mNS0_19identity_decomposerEEE10hipError_tT1_T2_PT3_SG_jT4_jjP12ihipStream_tbEUlT_E0_NS1_11comp_targetILNS1_3genE10ELNS1_11target_archE1201ELNS1_3gpuE5ELNS1_3repE0EEENS1_52radix_sort_onesweep_histogram_config_static_selectorELNS0_4arch9wavefront6targetE0EEEvSE_.uses_flat_scratch, 0
	.set _ZN7rocprim17ROCPRIM_400000_NS6detail17trampoline_kernelINS0_14default_configENS1_35radix_sort_onesweep_config_selectorI6__halfNS0_10empty_typeEEEZNS1_34radix_sort_onesweep_global_offsetsIS3_Lb0EPKS5_PS6_mNS0_19identity_decomposerEEE10hipError_tT1_T2_PT3_SG_jT4_jjP12ihipStream_tbEUlT_E0_NS1_11comp_targetILNS1_3genE10ELNS1_11target_archE1201ELNS1_3gpuE5ELNS1_3repE0EEENS1_52radix_sort_onesweep_histogram_config_static_selectorELNS0_4arch9wavefront6targetE0EEEvSE_.has_dyn_sized_stack, 0
	.set _ZN7rocprim17ROCPRIM_400000_NS6detail17trampoline_kernelINS0_14default_configENS1_35radix_sort_onesweep_config_selectorI6__halfNS0_10empty_typeEEEZNS1_34radix_sort_onesweep_global_offsetsIS3_Lb0EPKS5_PS6_mNS0_19identity_decomposerEEE10hipError_tT1_T2_PT3_SG_jT4_jjP12ihipStream_tbEUlT_E0_NS1_11comp_targetILNS1_3genE10ELNS1_11target_archE1201ELNS1_3gpuE5ELNS1_3repE0EEENS1_52radix_sort_onesweep_histogram_config_static_selectorELNS0_4arch9wavefront6targetE0EEEvSE_.has_recursion, 0
	.set _ZN7rocprim17ROCPRIM_400000_NS6detail17trampoline_kernelINS0_14default_configENS1_35radix_sort_onesweep_config_selectorI6__halfNS0_10empty_typeEEEZNS1_34radix_sort_onesweep_global_offsetsIS3_Lb0EPKS5_PS6_mNS0_19identity_decomposerEEE10hipError_tT1_T2_PT3_SG_jT4_jjP12ihipStream_tbEUlT_E0_NS1_11comp_targetILNS1_3genE10ELNS1_11target_archE1201ELNS1_3gpuE5ELNS1_3repE0EEENS1_52radix_sort_onesweep_histogram_config_static_selectorELNS0_4arch9wavefront6targetE0EEEvSE_.has_indirect_call, 0
	.section	.AMDGPU.csdata,"",@progbits
; Kernel info:
; codeLenInByte = 0
; TotalNumSgprs: 0
; NumVgprs: 0
; ScratchSize: 0
; MemoryBound: 0
; FloatMode: 240
; IeeeMode: 1
; LDSByteSize: 0 bytes/workgroup (compile time only)
; SGPRBlocks: 0
; VGPRBlocks: 0
; NumSGPRsForWavesPerEU: 1
; NumVGPRsForWavesPerEU: 1
; NamedBarCnt: 0
; Occupancy: 16
; WaveLimiterHint : 0
; COMPUTE_PGM_RSRC2:SCRATCH_EN: 0
; COMPUTE_PGM_RSRC2:USER_SGPR: 2
; COMPUTE_PGM_RSRC2:TRAP_HANDLER: 0
; COMPUTE_PGM_RSRC2:TGID_X_EN: 1
; COMPUTE_PGM_RSRC2:TGID_Y_EN: 0
; COMPUTE_PGM_RSRC2:TGID_Z_EN: 0
; COMPUTE_PGM_RSRC2:TIDIG_COMP_CNT: 0
	.section	.text._ZN7rocprim17ROCPRIM_400000_NS6detail17trampoline_kernelINS0_14default_configENS1_35radix_sort_onesweep_config_selectorI6__halfNS0_10empty_typeEEEZNS1_34radix_sort_onesweep_global_offsetsIS3_Lb0EPKS5_PS6_mNS0_19identity_decomposerEEE10hipError_tT1_T2_PT3_SG_jT4_jjP12ihipStream_tbEUlT_E0_NS1_11comp_targetILNS1_3genE9ELNS1_11target_archE1100ELNS1_3gpuE3ELNS1_3repE0EEENS1_52radix_sort_onesweep_histogram_config_static_selectorELNS0_4arch9wavefront6targetE0EEEvSE_,"axG",@progbits,_ZN7rocprim17ROCPRIM_400000_NS6detail17trampoline_kernelINS0_14default_configENS1_35radix_sort_onesweep_config_selectorI6__halfNS0_10empty_typeEEEZNS1_34radix_sort_onesweep_global_offsetsIS3_Lb0EPKS5_PS6_mNS0_19identity_decomposerEEE10hipError_tT1_T2_PT3_SG_jT4_jjP12ihipStream_tbEUlT_E0_NS1_11comp_targetILNS1_3genE9ELNS1_11target_archE1100ELNS1_3gpuE3ELNS1_3repE0EEENS1_52radix_sort_onesweep_histogram_config_static_selectorELNS0_4arch9wavefront6targetE0EEEvSE_,comdat
	.protected	_ZN7rocprim17ROCPRIM_400000_NS6detail17trampoline_kernelINS0_14default_configENS1_35radix_sort_onesweep_config_selectorI6__halfNS0_10empty_typeEEEZNS1_34radix_sort_onesweep_global_offsetsIS3_Lb0EPKS5_PS6_mNS0_19identity_decomposerEEE10hipError_tT1_T2_PT3_SG_jT4_jjP12ihipStream_tbEUlT_E0_NS1_11comp_targetILNS1_3genE9ELNS1_11target_archE1100ELNS1_3gpuE3ELNS1_3repE0EEENS1_52radix_sort_onesweep_histogram_config_static_selectorELNS0_4arch9wavefront6targetE0EEEvSE_ ; -- Begin function _ZN7rocprim17ROCPRIM_400000_NS6detail17trampoline_kernelINS0_14default_configENS1_35radix_sort_onesweep_config_selectorI6__halfNS0_10empty_typeEEEZNS1_34radix_sort_onesweep_global_offsetsIS3_Lb0EPKS5_PS6_mNS0_19identity_decomposerEEE10hipError_tT1_T2_PT3_SG_jT4_jjP12ihipStream_tbEUlT_E0_NS1_11comp_targetILNS1_3genE9ELNS1_11target_archE1100ELNS1_3gpuE3ELNS1_3repE0EEENS1_52radix_sort_onesweep_histogram_config_static_selectorELNS0_4arch9wavefront6targetE0EEEvSE_
	.globl	_ZN7rocprim17ROCPRIM_400000_NS6detail17trampoline_kernelINS0_14default_configENS1_35radix_sort_onesweep_config_selectorI6__halfNS0_10empty_typeEEEZNS1_34radix_sort_onesweep_global_offsetsIS3_Lb0EPKS5_PS6_mNS0_19identity_decomposerEEE10hipError_tT1_T2_PT3_SG_jT4_jjP12ihipStream_tbEUlT_E0_NS1_11comp_targetILNS1_3genE9ELNS1_11target_archE1100ELNS1_3gpuE3ELNS1_3repE0EEENS1_52radix_sort_onesweep_histogram_config_static_selectorELNS0_4arch9wavefront6targetE0EEEvSE_
	.p2align	8
	.type	_ZN7rocprim17ROCPRIM_400000_NS6detail17trampoline_kernelINS0_14default_configENS1_35radix_sort_onesweep_config_selectorI6__halfNS0_10empty_typeEEEZNS1_34radix_sort_onesweep_global_offsetsIS3_Lb0EPKS5_PS6_mNS0_19identity_decomposerEEE10hipError_tT1_T2_PT3_SG_jT4_jjP12ihipStream_tbEUlT_E0_NS1_11comp_targetILNS1_3genE9ELNS1_11target_archE1100ELNS1_3gpuE3ELNS1_3repE0EEENS1_52radix_sort_onesweep_histogram_config_static_selectorELNS0_4arch9wavefront6targetE0EEEvSE_,@function
_ZN7rocprim17ROCPRIM_400000_NS6detail17trampoline_kernelINS0_14default_configENS1_35radix_sort_onesweep_config_selectorI6__halfNS0_10empty_typeEEEZNS1_34radix_sort_onesweep_global_offsetsIS3_Lb0EPKS5_PS6_mNS0_19identity_decomposerEEE10hipError_tT1_T2_PT3_SG_jT4_jjP12ihipStream_tbEUlT_E0_NS1_11comp_targetILNS1_3genE9ELNS1_11target_archE1100ELNS1_3gpuE3ELNS1_3repE0EEENS1_52radix_sort_onesweep_histogram_config_static_selectorELNS0_4arch9wavefront6targetE0EEEvSE_: ; @_ZN7rocprim17ROCPRIM_400000_NS6detail17trampoline_kernelINS0_14default_configENS1_35radix_sort_onesweep_config_selectorI6__halfNS0_10empty_typeEEEZNS1_34radix_sort_onesweep_global_offsetsIS3_Lb0EPKS5_PS6_mNS0_19identity_decomposerEEE10hipError_tT1_T2_PT3_SG_jT4_jjP12ihipStream_tbEUlT_E0_NS1_11comp_targetILNS1_3genE9ELNS1_11target_archE1100ELNS1_3gpuE3ELNS1_3repE0EEENS1_52radix_sort_onesweep_histogram_config_static_selectorELNS0_4arch9wavefront6targetE0EEEvSE_
; %bb.0:
	.section	.rodata,"a",@progbits
	.p2align	6, 0x0
	.amdhsa_kernel _ZN7rocprim17ROCPRIM_400000_NS6detail17trampoline_kernelINS0_14default_configENS1_35radix_sort_onesweep_config_selectorI6__halfNS0_10empty_typeEEEZNS1_34radix_sort_onesweep_global_offsetsIS3_Lb0EPKS5_PS6_mNS0_19identity_decomposerEEE10hipError_tT1_T2_PT3_SG_jT4_jjP12ihipStream_tbEUlT_E0_NS1_11comp_targetILNS1_3genE9ELNS1_11target_archE1100ELNS1_3gpuE3ELNS1_3repE0EEENS1_52radix_sort_onesweep_histogram_config_static_selectorELNS0_4arch9wavefront6targetE0EEEvSE_
		.amdhsa_group_segment_fixed_size 0
		.amdhsa_private_segment_fixed_size 0
		.amdhsa_kernarg_size 8
		.amdhsa_user_sgpr_count 2
		.amdhsa_user_sgpr_dispatch_ptr 0
		.amdhsa_user_sgpr_queue_ptr 0
		.amdhsa_user_sgpr_kernarg_segment_ptr 1
		.amdhsa_user_sgpr_dispatch_id 0
		.amdhsa_user_sgpr_kernarg_preload_length 0
		.amdhsa_user_sgpr_kernarg_preload_offset 0
		.amdhsa_user_sgpr_private_segment_size 0
		.amdhsa_wavefront_size32 1
		.amdhsa_uses_dynamic_stack 0
		.amdhsa_enable_private_segment 0
		.amdhsa_system_sgpr_workgroup_id_x 1
		.amdhsa_system_sgpr_workgroup_id_y 0
		.amdhsa_system_sgpr_workgroup_id_z 0
		.amdhsa_system_sgpr_workgroup_info 0
		.amdhsa_system_vgpr_workitem_id 0
		.amdhsa_next_free_vgpr 1
		.amdhsa_next_free_sgpr 1
		.amdhsa_named_barrier_count 0
		.amdhsa_reserve_vcc 0
		.amdhsa_float_round_mode_32 0
		.amdhsa_float_round_mode_16_64 0
		.amdhsa_float_denorm_mode_32 3
		.amdhsa_float_denorm_mode_16_64 3
		.amdhsa_fp16_overflow 0
		.amdhsa_memory_ordered 1
		.amdhsa_forward_progress 1
		.amdhsa_inst_pref_size 0
		.amdhsa_round_robin_scheduling 0
		.amdhsa_exception_fp_ieee_invalid_op 0
		.amdhsa_exception_fp_denorm_src 0
		.amdhsa_exception_fp_ieee_div_zero 0
		.amdhsa_exception_fp_ieee_overflow 0
		.amdhsa_exception_fp_ieee_underflow 0
		.amdhsa_exception_fp_ieee_inexact 0
		.amdhsa_exception_int_div_zero 0
	.end_amdhsa_kernel
	.section	.text._ZN7rocprim17ROCPRIM_400000_NS6detail17trampoline_kernelINS0_14default_configENS1_35radix_sort_onesweep_config_selectorI6__halfNS0_10empty_typeEEEZNS1_34radix_sort_onesweep_global_offsetsIS3_Lb0EPKS5_PS6_mNS0_19identity_decomposerEEE10hipError_tT1_T2_PT3_SG_jT4_jjP12ihipStream_tbEUlT_E0_NS1_11comp_targetILNS1_3genE9ELNS1_11target_archE1100ELNS1_3gpuE3ELNS1_3repE0EEENS1_52radix_sort_onesweep_histogram_config_static_selectorELNS0_4arch9wavefront6targetE0EEEvSE_,"axG",@progbits,_ZN7rocprim17ROCPRIM_400000_NS6detail17trampoline_kernelINS0_14default_configENS1_35radix_sort_onesweep_config_selectorI6__halfNS0_10empty_typeEEEZNS1_34radix_sort_onesweep_global_offsetsIS3_Lb0EPKS5_PS6_mNS0_19identity_decomposerEEE10hipError_tT1_T2_PT3_SG_jT4_jjP12ihipStream_tbEUlT_E0_NS1_11comp_targetILNS1_3genE9ELNS1_11target_archE1100ELNS1_3gpuE3ELNS1_3repE0EEENS1_52radix_sort_onesweep_histogram_config_static_selectorELNS0_4arch9wavefront6targetE0EEEvSE_,comdat
.Lfunc_end2248:
	.size	_ZN7rocprim17ROCPRIM_400000_NS6detail17trampoline_kernelINS0_14default_configENS1_35radix_sort_onesweep_config_selectorI6__halfNS0_10empty_typeEEEZNS1_34radix_sort_onesweep_global_offsetsIS3_Lb0EPKS5_PS6_mNS0_19identity_decomposerEEE10hipError_tT1_T2_PT3_SG_jT4_jjP12ihipStream_tbEUlT_E0_NS1_11comp_targetILNS1_3genE9ELNS1_11target_archE1100ELNS1_3gpuE3ELNS1_3repE0EEENS1_52radix_sort_onesweep_histogram_config_static_selectorELNS0_4arch9wavefront6targetE0EEEvSE_, .Lfunc_end2248-_ZN7rocprim17ROCPRIM_400000_NS6detail17trampoline_kernelINS0_14default_configENS1_35radix_sort_onesweep_config_selectorI6__halfNS0_10empty_typeEEEZNS1_34radix_sort_onesweep_global_offsetsIS3_Lb0EPKS5_PS6_mNS0_19identity_decomposerEEE10hipError_tT1_T2_PT3_SG_jT4_jjP12ihipStream_tbEUlT_E0_NS1_11comp_targetILNS1_3genE9ELNS1_11target_archE1100ELNS1_3gpuE3ELNS1_3repE0EEENS1_52radix_sort_onesweep_histogram_config_static_selectorELNS0_4arch9wavefront6targetE0EEEvSE_
                                        ; -- End function
	.set _ZN7rocprim17ROCPRIM_400000_NS6detail17trampoline_kernelINS0_14default_configENS1_35radix_sort_onesweep_config_selectorI6__halfNS0_10empty_typeEEEZNS1_34radix_sort_onesweep_global_offsetsIS3_Lb0EPKS5_PS6_mNS0_19identity_decomposerEEE10hipError_tT1_T2_PT3_SG_jT4_jjP12ihipStream_tbEUlT_E0_NS1_11comp_targetILNS1_3genE9ELNS1_11target_archE1100ELNS1_3gpuE3ELNS1_3repE0EEENS1_52radix_sort_onesweep_histogram_config_static_selectorELNS0_4arch9wavefront6targetE0EEEvSE_.num_vgpr, 0
	.set _ZN7rocprim17ROCPRIM_400000_NS6detail17trampoline_kernelINS0_14default_configENS1_35radix_sort_onesweep_config_selectorI6__halfNS0_10empty_typeEEEZNS1_34radix_sort_onesweep_global_offsetsIS3_Lb0EPKS5_PS6_mNS0_19identity_decomposerEEE10hipError_tT1_T2_PT3_SG_jT4_jjP12ihipStream_tbEUlT_E0_NS1_11comp_targetILNS1_3genE9ELNS1_11target_archE1100ELNS1_3gpuE3ELNS1_3repE0EEENS1_52radix_sort_onesweep_histogram_config_static_selectorELNS0_4arch9wavefront6targetE0EEEvSE_.num_agpr, 0
	.set _ZN7rocprim17ROCPRIM_400000_NS6detail17trampoline_kernelINS0_14default_configENS1_35radix_sort_onesweep_config_selectorI6__halfNS0_10empty_typeEEEZNS1_34radix_sort_onesweep_global_offsetsIS3_Lb0EPKS5_PS6_mNS0_19identity_decomposerEEE10hipError_tT1_T2_PT3_SG_jT4_jjP12ihipStream_tbEUlT_E0_NS1_11comp_targetILNS1_3genE9ELNS1_11target_archE1100ELNS1_3gpuE3ELNS1_3repE0EEENS1_52radix_sort_onesweep_histogram_config_static_selectorELNS0_4arch9wavefront6targetE0EEEvSE_.numbered_sgpr, 0
	.set _ZN7rocprim17ROCPRIM_400000_NS6detail17trampoline_kernelINS0_14default_configENS1_35radix_sort_onesweep_config_selectorI6__halfNS0_10empty_typeEEEZNS1_34radix_sort_onesweep_global_offsetsIS3_Lb0EPKS5_PS6_mNS0_19identity_decomposerEEE10hipError_tT1_T2_PT3_SG_jT4_jjP12ihipStream_tbEUlT_E0_NS1_11comp_targetILNS1_3genE9ELNS1_11target_archE1100ELNS1_3gpuE3ELNS1_3repE0EEENS1_52radix_sort_onesweep_histogram_config_static_selectorELNS0_4arch9wavefront6targetE0EEEvSE_.num_named_barrier, 0
	.set _ZN7rocprim17ROCPRIM_400000_NS6detail17trampoline_kernelINS0_14default_configENS1_35radix_sort_onesweep_config_selectorI6__halfNS0_10empty_typeEEEZNS1_34radix_sort_onesweep_global_offsetsIS3_Lb0EPKS5_PS6_mNS0_19identity_decomposerEEE10hipError_tT1_T2_PT3_SG_jT4_jjP12ihipStream_tbEUlT_E0_NS1_11comp_targetILNS1_3genE9ELNS1_11target_archE1100ELNS1_3gpuE3ELNS1_3repE0EEENS1_52radix_sort_onesweep_histogram_config_static_selectorELNS0_4arch9wavefront6targetE0EEEvSE_.private_seg_size, 0
	.set _ZN7rocprim17ROCPRIM_400000_NS6detail17trampoline_kernelINS0_14default_configENS1_35radix_sort_onesweep_config_selectorI6__halfNS0_10empty_typeEEEZNS1_34radix_sort_onesweep_global_offsetsIS3_Lb0EPKS5_PS6_mNS0_19identity_decomposerEEE10hipError_tT1_T2_PT3_SG_jT4_jjP12ihipStream_tbEUlT_E0_NS1_11comp_targetILNS1_3genE9ELNS1_11target_archE1100ELNS1_3gpuE3ELNS1_3repE0EEENS1_52radix_sort_onesweep_histogram_config_static_selectorELNS0_4arch9wavefront6targetE0EEEvSE_.uses_vcc, 0
	.set _ZN7rocprim17ROCPRIM_400000_NS6detail17trampoline_kernelINS0_14default_configENS1_35radix_sort_onesweep_config_selectorI6__halfNS0_10empty_typeEEEZNS1_34radix_sort_onesweep_global_offsetsIS3_Lb0EPKS5_PS6_mNS0_19identity_decomposerEEE10hipError_tT1_T2_PT3_SG_jT4_jjP12ihipStream_tbEUlT_E0_NS1_11comp_targetILNS1_3genE9ELNS1_11target_archE1100ELNS1_3gpuE3ELNS1_3repE0EEENS1_52radix_sort_onesweep_histogram_config_static_selectorELNS0_4arch9wavefront6targetE0EEEvSE_.uses_flat_scratch, 0
	.set _ZN7rocprim17ROCPRIM_400000_NS6detail17trampoline_kernelINS0_14default_configENS1_35radix_sort_onesweep_config_selectorI6__halfNS0_10empty_typeEEEZNS1_34radix_sort_onesweep_global_offsetsIS3_Lb0EPKS5_PS6_mNS0_19identity_decomposerEEE10hipError_tT1_T2_PT3_SG_jT4_jjP12ihipStream_tbEUlT_E0_NS1_11comp_targetILNS1_3genE9ELNS1_11target_archE1100ELNS1_3gpuE3ELNS1_3repE0EEENS1_52radix_sort_onesweep_histogram_config_static_selectorELNS0_4arch9wavefront6targetE0EEEvSE_.has_dyn_sized_stack, 0
	.set _ZN7rocprim17ROCPRIM_400000_NS6detail17trampoline_kernelINS0_14default_configENS1_35radix_sort_onesweep_config_selectorI6__halfNS0_10empty_typeEEEZNS1_34radix_sort_onesweep_global_offsetsIS3_Lb0EPKS5_PS6_mNS0_19identity_decomposerEEE10hipError_tT1_T2_PT3_SG_jT4_jjP12ihipStream_tbEUlT_E0_NS1_11comp_targetILNS1_3genE9ELNS1_11target_archE1100ELNS1_3gpuE3ELNS1_3repE0EEENS1_52radix_sort_onesweep_histogram_config_static_selectorELNS0_4arch9wavefront6targetE0EEEvSE_.has_recursion, 0
	.set _ZN7rocprim17ROCPRIM_400000_NS6detail17trampoline_kernelINS0_14default_configENS1_35radix_sort_onesweep_config_selectorI6__halfNS0_10empty_typeEEEZNS1_34radix_sort_onesweep_global_offsetsIS3_Lb0EPKS5_PS6_mNS0_19identity_decomposerEEE10hipError_tT1_T2_PT3_SG_jT4_jjP12ihipStream_tbEUlT_E0_NS1_11comp_targetILNS1_3genE9ELNS1_11target_archE1100ELNS1_3gpuE3ELNS1_3repE0EEENS1_52radix_sort_onesweep_histogram_config_static_selectorELNS0_4arch9wavefront6targetE0EEEvSE_.has_indirect_call, 0
	.section	.AMDGPU.csdata,"",@progbits
; Kernel info:
; codeLenInByte = 0
; TotalNumSgprs: 0
; NumVgprs: 0
; ScratchSize: 0
; MemoryBound: 0
; FloatMode: 240
; IeeeMode: 1
; LDSByteSize: 0 bytes/workgroup (compile time only)
; SGPRBlocks: 0
; VGPRBlocks: 0
; NumSGPRsForWavesPerEU: 1
; NumVGPRsForWavesPerEU: 1
; NamedBarCnt: 0
; Occupancy: 16
; WaveLimiterHint : 0
; COMPUTE_PGM_RSRC2:SCRATCH_EN: 0
; COMPUTE_PGM_RSRC2:USER_SGPR: 2
; COMPUTE_PGM_RSRC2:TRAP_HANDLER: 0
; COMPUTE_PGM_RSRC2:TGID_X_EN: 1
; COMPUTE_PGM_RSRC2:TGID_Y_EN: 0
; COMPUTE_PGM_RSRC2:TGID_Z_EN: 0
; COMPUTE_PGM_RSRC2:TIDIG_COMP_CNT: 0
	.section	.text._ZN7rocprim17ROCPRIM_400000_NS6detail17trampoline_kernelINS0_14default_configENS1_35radix_sort_onesweep_config_selectorI6__halfNS0_10empty_typeEEEZNS1_34radix_sort_onesweep_global_offsetsIS3_Lb0EPKS5_PS6_mNS0_19identity_decomposerEEE10hipError_tT1_T2_PT3_SG_jT4_jjP12ihipStream_tbEUlT_E0_NS1_11comp_targetILNS1_3genE8ELNS1_11target_archE1030ELNS1_3gpuE2ELNS1_3repE0EEENS1_52radix_sort_onesweep_histogram_config_static_selectorELNS0_4arch9wavefront6targetE0EEEvSE_,"axG",@progbits,_ZN7rocprim17ROCPRIM_400000_NS6detail17trampoline_kernelINS0_14default_configENS1_35radix_sort_onesweep_config_selectorI6__halfNS0_10empty_typeEEEZNS1_34radix_sort_onesweep_global_offsetsIS3_Lb0EPKS5_PS6_mNS0_19identity_decomposerEEE10hipError_tT1_T2_PT3_SG_jT4_jjP12ihipStream_tbEUlT_E0_NS1_11comp_targetILNS1_3genE8ELNS1_11target_archE1030ELNS1_3gpuE2ELNS1_3repE0EEENS1_52radix_sort_onesweep_histogram_config_static_selectorELNS0_4arch9wavefront6targetE0EEEvSE_,comdat
	.protected	_ZN7rocprim17ROCPRIM_400000_NS6detail17trampoline_kernelINS0_14default_configENS1_35radix_sort_onesweep_config_selectorI6__halfNS0_10empty_typeEEEZNS1_34radix_sort_onesweep_global_offsetsIS3_Lb0EPKS5_PS6_mNS0_19identity_decomposerEEE10hipError_tT1_T2_PT3_SG_jT4_jjP12ihipStream_tbEUlT_E0_NS1_11comp_targetILNS1_3genE8ELNS1_11target_archE1030ELNS1_3gpuE2ELNS1_3repE0EEENS1_52radix_sort_onesweep_histogram_config_static_selectorELNS0_4arch9wavefront6targetE0EEEvSE_ ; -- Begin function _ZN7rocprim17ROCPRIM_400000_NS6detail17trampoline_kernelINS0_14default_configENS1_35radix_sort_onesweep_config_selectorI6__halfNS0_10empty_typeEEEZNS1_34radix_sort_onesweep_global_offsetsIS3_Lb0EPKS5_PS6_mNS0_19identity_decomposerEEE10hipError_tT1_T2_PT3_SG_jT4_jjP12ihipStream_tbEUlT_E0_NS1_11comp_targetILNS1_3genE8ELNS1_11target_archE1030ELNS1_3gpuE2ELNS1_3repE0EEENS1_52radix_sort_onesweep_histogram_config_static_selectorELNS0_4arch9wavefront6targetE0EEEvSE_
	.globl	_ZN7rocprim17ROCPRIM_400000_NS6detail17trampoline_kernelINS0_14default_configENS1_35radix_sort_onesweep_config_selectorI6__halfNS0_10empty_typeEEEZNS1_34radix_sort_onesweep_global_offsetsIS3_Lb0EPKS5_PS6_mNS0_19identity_decomposerEEE10hipError_tT1_T2_PT3_SG_jT4_jjP12ihipStream_tbEUlT_E0_NS1_11comp_targetILNS1_3genE8ELNS1_11target_archE1030ELNS1_3gpuE2ELNS1_3repE0EEENS1_52radix_sort_onesweep_histogram_config_static_selectorELNS0_4arch9wavefront6targetE0EEEvSE_
	.p2align	8
	.type	_ZN7rocprim17ROCPRIM_400000_NS6detail17trampoline_kernelINS0_14default_configENS1_35radix_sort_onesweep_config_selectorI6__halfNS0_10empty_typeEEEZNS1_34radix_sort_onesweep_global_offsetsIS3_Lb0EPKS5_PS6_mNS0_19identity_decomposerEEE10hipError_tT1_T2_PT3_SG_jT4_jjP12ihipStream_tbEUlT_E0_NS1_11comp_targetILNS1_3genE8ELNS1_11target_archE1030ELNS1_3gpuE2ELNS1_3repE0EEENS1_52radix_sort_onesweep_histogram_config_static_selectorELNS0_4arch9wavefront6targetE0EEEvSE_,@function
_ZN7rocprim17ROCPRIM_400000_NS6detail17trampoline_kernelINS0_14default_configENS1_35radix_sort_onesweep_config_selectorI6__halfNS0_10empty_typeEEEZNS1_34radix_sort_onesweep_global_offsetsIS3_Lb0EPKS5_PS6_mNS0_19identity_decomposerEEE10hipError_tT1_T2_PT3_SG_jT4_jjP12ihipStream_tbEUlT_E0_NS1_11comp_targetILNS1_3genE8ELNS1_11target_archE1030ELNS1_3gpuE2ELNS1_3repE0EEENS1_52radix_sort_onesweep_histogram_config_static_selectorELNS0_4arch9wavefront6targetE0EEEvSE_: ; @_ZN7rocprim17ROCPRIM_400000_NS6detail17trampoline_kernelINS0_14default_configENS1_35radix_sort_onesweep_config_selectorI6__halfNS0_10empty_typeEEEZNS1_34radix_sort_onesweep_global_offsetsIS3_Lb0EPKS5_PS6_mNS0_19identity_decomposerEEE10hipError_tT1_T2_PT3_SG_jT4_jjP12ihipStream_tbEUlT_E0_NS1_11comp_targetILNS1_3genE8ELNS1_11target_archE1030ELNS1_3gpuE2ELNS1_3repE0EEENS1_52radix_sort_onesweep_histogram_config_static_selectorELNS0_4arch9wavefront6targetE0EEEvSE_
; %bb.0:
	.section	.rodata,"a",@progbits
	.p2align	6, 0x0
	.amdhsa_kernel _ZN7rocprim17ROCPRIM_400000_NS6detail17trampoline_kernelINS0_14default_configENS1_35radix_sort_onesweep_config_selectorI6__halfNS0_10empty_typeEEEZNS1_34radix_sort_onesweep_global_offsetsIS3_Lb0EPKS5_PS6_mNS0_19identity_decomposerEEE10hipError_tT1_T2_PT3_SG_jT4_jjP12ihipStream_tbEUlT_E0_NS1_11comp_targetILNS1_3genE8ELNS1_11target_archE1030ELNS1_3gpuE2ELNS1_3repE0EEENS1_52radix_sort_onesweep_histogram_config_static_selectorELNS0_4arch9wavefront6targetE0EEEvSE_
		.amdhsa_group_segment_fixed_size 0
		.amdhsa_private_segment_fixed_size 0
		.amdhsa_kernarg_size 8
		.amdhsa_user_sgpr_count 2
		.amdhsa_user_sgpr_dispatch_ptr 0
		.amdhsa_user_sgpr_queue_ptr 0
		.amdhsa_user_sgpr_kernarg_segment_ptr 1
		.amdhsa_user_sgpr_dispatch_id 0
		.amdhsa_user_sgpr_kernarg_preload_length 0
		.amdhsa_user_sgpr_kernarg_preload_offset 0
		.amdhsa_user_sgpr_private_segment_size 0
		.amdhsa_wavefront_size32 1
		.amdhsa_uses_dynamic_stack 0
		.amdhsa_enable_private_segment 0
		.amdhsa_system_sgpr_workgroup_id_x 1
		.amdhsa_system_sgpr_workgroup_id_y 0
		.amdhsa_system_sgpr_workgroup_id_z 0
		.amdhsa_system_sgpr_workgroup_info 0
		.amdhsa_system_vgpr_workitem_id 0
		.amdhsa_next_free_vgpr 1
		.amdhsa_next_free_sgpr 1
		.amdhsa_named_barrier_count 0
		.amdhsa_reserve_vcc 0
		.amdhsa_float_round_mode_32 0
		.amdhsa_float_round_mode_16_64 0
		.amdhsa_float_denorm_mode_32 3
		.amdhsa_float_denorm_mode_16_64 3
		.amdhsa_fp16_overflow 0
		.amdhsa_memory_ordered 1
		.amdhsa_forward_progress 1
		.amdhsa_inst_pref_size 0
		.amdhsa_round_robin_scheduling 0
		.amdhsa_exception_fp_ieee_invalid_op 0
		.amdhsa_exception_fp_denorm_src 0
		.amdhsa_exception_fp_ieee_div_zero 0
		.amdhsa_exception_fp_ieee_overflow 0
		.amdhsa_exception_fp_ieee_underflow 0
		.amdhsa_exception_fp_ieee_inexact 0
		.amdhsa_exception_int_div_zero 0
	.end_amdhsa_kernel
	.section	.text._ZN7rocprim17ROCPRIM_400000_NS6detail17trampoline_kernelINS0_14default_configENS1_35radix_sort_onesweep_config_selectorI6__halfNS0_10empty_typeEEEZNS1_34radix_sort_onesweep_global_offsetsIS3_Lb0EPKS5_PS6_mNS0_19identity_decomposerEEE10hipError_tT1_T2_PT3_SG_jT4_jjP12ihipStream_tbEUlT_E0_NS1_11comp_targetILNS1_3genE8ELNS1_11target_archE1030ELNS1_3gpuE2ELNS1_3repE0EEENS1_52radix_sort_onesweep_histogram_config_static_selectorELNS0_4arch9wavefront6targetE0EEEvSE_,"axG",@progbits,_ZN7rocprim17ROCPRIM_400000_NS6detail17trampoline_kernelINS0_14default_configENS1_35radix_sort_onesweep_config_selectorI6__halfNS0_10empty_typeEEEZNS1_34radix_sort_onesweep_global_offsetsIS3_Lb0EPKS5_PS6_mNS0_19identity_decomposerEEE10hipError_tT1_T2_PT3_SG_jT4_jjP12ihipStream_tbEUlT_E0_NS1_11comp_targetILNS1_3genE8ELNS1_11target_archE1030ELNS1_3gpuE2ELNS1_3repE0EEENS1_52radix_sort_onesweep_histogram_config_static_selectorELNS0_4arch9wavefront6targetE0EEEvSE_,comdat
.Lfunc_end2249:
	.size	_ZN7rocprim17ROCPRIM_400000_NS6detail17trampoline_kernelINS0_14default_configENS1_35radix_sort_onesweep_config_selectorI6__halfNS0_10empty_typeEEEZNS1_34radix_sort_onesweep_global_offsetsIS3_Lb0EPKS5_PS6_mNS0_19identity_decomposerEEE10hipError_tT1_T2_PT3_SG_jT4_jjP12ihipStream_tbEUlT_E0_NS1_11comp_targetILNS1_3genE8ELNS1_11target_archE1030ELNS1_3gpuE2ELNS1_3repE0EEENS1_52radix_sort_onesweep_histogram_config_static_selectorELNS0_4arch9wavefront6targetE0EEEvSE_, .Lfunc_end2249-_ZN7rocprim17ROCPRIM_400000_NS6detail17trampoline_kernelINS0_14default_configENS1_35radix_sort_onesweep_config_selectorI6__halfNS0_10empty_typeEEEZNS1_34radix_sort_onesweep_global_offsetsIS3_Lb0EPKS5_PS6_mNS0_19identity_decomposerEEE10hipError_tT1_T2_PT3_SG_jT4_jjP12ihipStream_tbEUlT_E0_NS1_11comp_targetILNS1_3genE8ELNS1_11target_archE1030ELNS1_3gpuE2ELNS1_3repE0EEENS1_52radix_sort_onesweep_histogram_config_static_selectorELNS0_4arch9wavefront6targetE0EEEvSE_
                                        ; -- End function
	.set _ZN7rocprim17ROCPRIM_400000_NS6detail17trampoline_kernelINS0_14default_configENS1_35radix_sort_onesweep_config_selectorI6__halfNS0_10empty_typeEEEZNS1_34radix_sort_onesweep_global_offsetsIS3_Lb0EPKS5_PS6_mNS0_19identity_decomposerEEE10hipError_tT1_T2_PT3_SG_jT4_jjP12ihipStream_tbEUlT_E0_NS1_11comp_targetILNS1_3genE8ELNS1_11target_archE1030ELNS1_3gpuE2ELNS1_3repE0EEENS1_52radix_sort_onesweep_histogram_config_static_selectorELNS0_4arch9wavefront6targetE0EEEvSE_.num_vgpr, 0
	.set _ZN7rocprim17ROCPRIM_400000_NS6detail17trampoline_kernelINS0_14default_configENS1_35radix_sort_onesweep_config_selectorI6__halfNS0_10empty_typeEEEZNS1_34radix_sort_onesweep_global_offsetsIS3_Lb0EPKS5_PS6_mNS0_19identity_decomposerEEE10hipError_tT1_T2_PT3_SG_jT4_jjP12ihipStream_tbEUlT_E0_NS1_11comp_targetILNS1_3genE8ELNS1_11target_archE1030ELNS1_3gpuE2ELNS1_3repE0EEENS1_52radix_sort_onesweep_histogram_config_static_selectorELNS0_4arch9wavefront6targetE0EEEvSE_.num_agpr, 0
	.set _ZN7rocprim17ROCPRIM_400000_NS6detail17trampoline_kernelINS0_14default_configENS1_35radix_sort_onesweep_config_selectorI6__halfNS0_10empty_typeEEEZNS1_34radix_sort_onesweep_global_offsetsIS3_Lb0EPKS5_PS6_mNS0_19identity_decomposerEEE10hipError_tT1_T2_PT3_SG_jT4_jjP12ihipStream_tbEUlT_E0_NS1_11comp_targetILNS1_3genE8ELNS1_11target_archE1030ELNS1_3gpuE2ELNS1_3repE0EEENS1_52radix_sort_onesweep_histogram_config_static_selectorELNS0_4arch9wavefront6targetE0EEEvSE_.numbered_sgpr, 0
	.set _ZN7rocprim17ROCPRIM_400000_NS6detail17trampoline_kernelINS0_14default_configENS1_35radix_sort_onesweep_config_selectorI6__halfNS0_10empty_typeEEEZNS1_34radix_sort_onesweep_global_offsetsIS3_Lb0EPKS5_PS6_mNS0_19identity_decomposerEEE10hipError_tT1_T2_PT3_SG_jT4_jjP12ihipStream_tbEUlT_E0_NS1_11comp_targetILNS1_3genE8ELNS1_11target_archE1030ELNS1_3gpuE2ELNS1_3repE0EEENS1_52radix_sort_onesweep_histogram_config_static_selectorELNS0_4arch9wavefront6targetE0EEEvSE_.num_named_barrier, 0
	.set _ZN7rocprim17ROCPRIM_400000_NS6detail17trampoline_kernelINS0_14default_configENS1_35radix_sort_onesweep_config_selectorI6__halfNS0_10empty_typeEEEZNS1_34radix_sort_onesweep_global_offsetsIS3_Lb0EPKS5_PS6_mNS0_19identity_decomposerEEE10hipError_tT1_T2_PT3_SG_jT4_jjP12ihipStream_tbEUlT_E0_NS1_11comp_targetILNS1_3genE8ELNS1_11target_archE1030ELNS1_3gpuE2ELNS1_3repE0EEENS1_52radix_sort_onesweep_histogram_config_static_selectorELNS0_4arch9wavefront6targetE0EEEvSE_.private_seg_size, 0
	.set _ZN7rocprim17ROCPRIM_400000_NS6detail17trampoline_kernelINS0_14default_configENS1_35radix_sort_onesweep_config_selectorI6__halfNS0_10empty_typeEEEZNS1_34radix_sort_onesweep_global_offsetsIS3_Lb0EPKS5_PS6_mNS0_19identity_decomposerEEE10hipError_tT1_T2_PT3_SG_jT4_jjP12ihipStream_tbEUlT_E0_NS1_11comp_targetILNS1_3genE8ELNS1_11target_archE1030ELNS1_3gpuE2ELNS1_3repE0EEENS1_52radix_sort_onesweep_histogram_config_static_selectorELNS0_4arch9wavefront6targetE0EEEvSE_.uses_vcc, 0
	.set _ZN7rocprim17ROCPRIM_400000_NS6detail17trampoline_kernelINS0_14default_configENS1_35radix_sort_onesweep_config_selectorI6__halfNS0_10empty_typeEEEZNS1_34radix_sort_onesweep_global_offsetsIS3_Lb0EPKS5_PS6_mNS0_19identity_decomposerEEE10hipError_tT1_T2_PT3_SG_jT4_jjP12ihipStream_tbEUlT_E0_NS1_11comp_targetILNS1_3genE8ELNS1_11target_archE1030ELNS1_3gpuE2ELNS1_3repE0EEENS1_52radix_sort_onesweep_histogram_config_static_selectorELNS0_4arch9wavefront6targetE0EEEvSE_.uses_flat_scratch, 0
	.set _ZN7rocprim17ROCPRIM_400000_NS6detail17trampoline_kernelINS0_14default_configENS1_35radix_sort_onesweep_config_selectorI6__halfNS0_10empty_typeEEEZNS1_34radix_sort_onesweep_global_offsetsIS3_Lb0EPKS5_PS6_mNS0_19identity_decomposerEEE10hipError_tT1_T2_PT3_SG_jT4_jjP12ihipStream_tbEUlT_E0_NS1_11comp_targetILNS1_3genE8ELNS1_11target_archE1030ELNS1_3gpuE2ELNS1_3repE0EEENS1_52radix_sort_onesweep_histogram_config_static_selectorELNS0_4arch9wavefront6targetE0EEEvSE_.has_dyn_sized_stack, 0
	.set _ZN7rocprim17ROCPRIM_400000_NS6detail17trampoline_kernelINS0_14default_configENS1_35radix_sort_onesweep_config_selectorI6__halfNS0_10empty_typeEEEZNS1_34radix_sort_onesweep_global_offsetsIS3_Lb0EPKS5_PS6_mNS0_19identity_decomposerEEE10hipError_tT1_T2_PT3_SG_jT4_jjP12ihipStream_tbEUlT_E0_NS1_11comp_targetILNS1_3genE8ELNS1_11target_archE1030ELNS1_3gpuE2ELNS1_3repE0EEENS1_52radix_sort_onesweep_histogram_config_static_selectorELNS0_4arch9wavefront6targetE0EEEvSE_.has_recursion, 0
	.set _ZN7rocprim17ROCPRIM_400000_NS6detail17trampoline_kernelINS0_14default_configENS1_35radix_sort_onesweep_config_selectorI6__halfNS0_10empty_typeEEEZNS1_34radix_sort_onesweep_global_offsetsIS3_Lb0EPKS5_PS6_mNS0_19identity_decomposerEEE10hipError_tT1_T2_PT3_SG_jT4_jjP12ihipStream_tbEUlT_E0_NS1_11comp_targetILNS1_3genE8ELNS1_11target_archE1030ELNS1_3gpuE2ELNS1_3repE0EEENS1_52radix_sort_onesweep_histogram_config_static_selectorELNS0_4arch9wavefront6targetE0EEEvSE_.has_indirect_call, 0
	.section	.AMDGPU.csdata,"",@progbits
; Kernel info:
; codeLenInByte = 0
; TotalNumSgprs: 0
; NumVgprs: 0
; ScratchSize: 0
; MemoryBound: 0
; FloatMode: 240
; IeeeMode: 1
; LDSByteSize: 0 bytes/workgroup (compile time only)
; SGPRBlocks: 0
; VGPRBlocks: 0
; NumSGPRsForWavesPerEU: 1
; NumVGPRsForWavesPerEU: 1
; NamedBarCnt: 0
; Occupancy: 16
; WaveLimiterHint : 0
; COMPUTE_PGM_RSRC2:SCRATCH_EN: 0
; COMPUTE_PGM_RSRC2:USER_SGPR: 2
; COMPUTE_PGM_RSRC2:TRAP_HANDLER: 0
; COMPUTE_PGM_RSRC2:TGID_X_EN: 1
; COMPUTE_PGM_RSRC2:TGID_Y_EN: 0
; COMPUTE_PGM_RSRC2:TGID_Z_EN: 0
; COMPUTE_PGM_RSRC2:TIDIG_COMP_CNT: 0
	.section	.text._ZN7rocprim17ROCPRIM_400000_NS6detail17trampoline_kernelINS0_14default_configENS1_35radix_sort_onesweep_config_selectorI6__halfNS0_10empty_typeEEEZZNS1_29radix_sort_onesweep_iterationIS3_Lb0EPKS5_PS5_PS6_SC_mNS0_19identity_decomposerENS1_16block_id_wrapperIjLb1EEEEE10hipError_tT1_PNSt15iterator_traitsISH_E10value_typeET2_T3_PNSI_ISN_E10value_typeET4_T5_PSS_ST_PNS1_23onesweep_lookback_stateEbbT6_jjT7_P12ihipStream_tbENKUlT_T0_SH_SM_E_clISA_SB_SC_SC_EEDaS10_S11_SH_SM_EUlS10_E_NS1_11comp_targetILNS1_3genE0ELNS1_11target_archE4294967295ELNS1_3gpuE0ELNS1_3repE0EEENS1_47radix_sort_onesweep_sort_config_static_selectorELNS0_4arch9wavefront6targetE0EEEvSH_,"axG",@progbits,_ZN7rocprim17ROCPRIM_400000_NS6detail17trampoline_kernelINS0_14default_configENS1_35radix_sort_onesweep_config_selectorI6__halfNS0_10empty_typeEEEZZNS1_29radix_sort_onesweep_iterationIS3_Lb0EPKS5_PS5_PS6_SC_mNS0_19identity_decomposerENS1_16block_id_wrapperIjLb1EEEEE10hipError_tT1_PNSt15iterator_traitsISH_E10value_typeET2_T3_PNSI_ISN_E10value_typeET4_T5_PSS_ST_PNS1_23onesweep_lookback_stateEbbT6_jjT7_P12ihipStream_tbENKUlT_T0_SH_SM_E_clISA_SB_SC_SC_EEDaS10_S11_SH_SM_EUlS10_E_NS1_11comp_targetILNS1_3genE0ELNS1_11target_archE4294967295ELNS1_3gpuE0ELNS1_3repE0EEENS1_47radix_sort_onesweep_sort_config_static_selectorELNS0_4arch9wavefront6targetE0EEEvSH_,comdat
	.protected	_ZN7rocprim17ROCPRIM_400000_NS6detail17trampoline_kernelINS0_14default_configENS1_35radix_sort_onesweep_config_selectorI6__halfNS0_10empty_typeEEEZZNS1_29radix_sort_onesweep_iterationIS3_Lb0EPKS5_PS5_PS6_SC_mNS0_19identity_decomposerENS1_16block_id_wrapperIjLb1EEEEE10hipError_tT1_PNSt15iterator_traitsISH_E10value_typeET2_T3_PNSI_ISN_E10value_typeET4_T5_PSS_ST_PNS1_23onesweep_lookback_stateEbbT6_jjT7_P12ihipStream_tbENKUlT_T0_SH_SM_E_clISA_SB_SC_SC_EEDaS10_S11_SH_SM_EUlS10_E_NS1_11comp_targetILNS1_3genE0ELNS1_11target_archE4294967295ELNS1_3gpuE0ELNS1_3repE0EEENS1_47radix_sort_onesweep_sort_config_static_selectorELNS0_4arch9wavefront6targetE0EEEvSH_ ; -- Begin function _ZN7rocprim17ROCPRIM_400000_NS6detail17trampoline_kernelINS0_14default_configENS1_35radix_sort_onesweep_config_selectorI6__halfNS0_10empty_typeEEEZZNS1_29radix_sort_onesweep_iterationIS3_Lb0EPKS5_PS5_PS6_SC_mNS0_19identity_decomposerENS1_16block_id_wrapperIjLb1EEEEE10hipError_tT1_PNSt15iterator_traitsISH_E10value_typeET2_T3_PNSI_ISN_E10value_typeET4_T5_PSS_ST_PNS1_23onesweep_lookback_stateEbbT6_jjT7_P12ihipStream_tbENKUlT_T0_SH_SM_E_clISA_SB_SC_SC_EEDaS10_S11_SH_SM_EUlS10_E_NS1_11comp_targetILNS1_3genE0ELNS1_11target_archE4294967295ELNS1_3gpuE0ELNS1_3repE0EEENS1_47radix_sort_onesweep_sort_config_static_selectorELNS0_4arch9wavefront6targetE0EEEvSH_
	.globl	_ZN7rocprim17ROCPRIM_400000_NS6detail17trampoline_kernelINS0_14default_configENS1_35radix_sort_onesweep_config_selectorI6__halfNS0_10empty_typeEEEZZNS1_29radix_sort_onesweep_iterationIS3_Lb0EPKS5_PS5_PS6_SC_mNS0_19identity_decomposerENS1_16block_id_wrapperIjLb1EEEEE10hipError_tT1_PNSt15iterator_traitsISH_E10value_typeET2_T3_PNSI_ISN_E10value_typeET4_T5_PSS_ST_PNS1_23onesweep_lookback_stateEbbT6_jjT7_P12ihipStream_tbENKUlT_T0_SH_SM_E_clISA_SB_SC_SC_EEDaS10_S11_SH_SM_EUlS10_E_NS1_11comp_targetILNS1_3genE0ELNS1_11target_archE4294967295ELNS1_3gpuE0ELNS1_3repE0EEENS1_47radix_sort_onesweep_sort_config_static_selectorELNS0_4arch9wavefront6targetE0EEEvSH_
	.p2align	8
	.type	_ZN7rocprim17ROCPRIM_400000_NS6detail17trampoline_kernelINS0_14default_configENS1_35radix_sort_onesweep_config_selectorI6__halfNS0_10empty_typeEEEZZNS1_29radix_sort_onesweep_iterationIS3_Lb0EPKS5_PS5_PS6_SC_mNS0_19identity_decomposerENS1_16block_id_wrapperIjLb1EEEEE10hipError_tT1_PNSt15iterator_traitsISH_E10value_typeET2_T3_PNSI_ISN_E10value_typeET4_T5_PSS_ST_PNS1_23onesweep_lookback_stateEbbT6_jjT7_P12ihipStream_tbENKUlT_T0_SH_SM_E_clISA_SB_SC_SC_EEDaS10_S11_SH_SM_EUlS10_E_NS1_11comp_targetILNS1_3genE0ELNS1_11target_archE4294967295ELNS1_3gpuE0ELNS1_3repE0EEENS1_47radix_sort_onesweep_sort_config_static_selectorELNS0_4arch9wavefront6targetE0EEEvSH_,@function
_ZN7rocprim17ROCPRIM_400000_NS6detail17trampoline_kernelINS0_14default_configENS1_35radix_sort_onesweep_config_selectorI6__halfNS0_10empty_typeEEEZZNS1_29radix_sort_onesweep_iterationIS3_Lb0EPKS5_PS5_PS6_SC_mNS0_19identity_decomposerENS1_16block_id_wrapperIjLb1EEEEE10hipError_tT1_PNSt15iterator_traitsISH_E10value_typeET2_T3_PNSI_ISN_E10value_typeET4_T5_PSS_ST_PNS1_23onesweep_lookback_stateEbbT6_jjT7_P12ihipStream_tbENKUlT_T0_SH_SM_E_clISA_SB_SC_SC_EEDaS10_S11_SH_SM_EUlS10_E_NS1_11comp_targetILNS1_3genE0ELNS1_11target_archE4294967295ELNS1_3gpuE0ELNS1_3repE0EEENS1_47radix_sort_onesweep_sort_config_static_selectorELNS0_4arch9wavefront6targetE0EEEvSH_: ; @_ZN7rocprim17ROCPRIM_400000_NS6detail17trampoline_kernelINS0_14default_configENS1_35radix_sort_onesweep_config_selectorI6__halfNS0_10empty_typeEEEZZNS1_29radix_sort_onesweep_iterationIS3_Lb0EPKS5_PS5_PS6_SC_mNS0_19identity_decomposerENS1_16block_id_wrapperIjLb1EEEEE10hipError_tT1_PNSt15iterator_traitsISH_E10value_typeET2_T3_PNSI_ISN_E10value_typeET4_T5_PSS_ST_PNS1_23onesweep_lookback_stateEbbT6_jjT7_P12ihipStream_tbENKUlT_T0_SH_SM_E_clISA_SB_SC_SC_EEDaS10_S11_SH_SM_EUlS10_E_NS1_11comp_targetILNS1_3genE0ELNS1_11target_archE4294967295ELNS1_3gpuE0ELNS1_3repE0EEENS1_47radix_sort_onesweep_sort_config_static_selectorELNS0_4arch9wavefront6targetE0EEEvSH_
; %bb.0:
	s_clause 0x1
	s_load_b128 s[12:15], s[0:1], 0x28
	s_load_b64 s[10:11], s[0:1], 0x38
	v_and_b32_e32 v14, 0x3ff, v0
	s_delay_alu instid0(VALU_DEP_1)
	v_cmp_eq_u32_e64 s2, 0, v14
	s_and_saveexec_b32 s3, s2
	s_cbranch_execz .LBB2250_4
; %bb.1:
	s_mov_b32 s5, exec_lo
	s_mov_b32 s4, exec_lo
	v_mbcnt_lo_u32_b32 v1, s5, 0
                                        ; implicit-def: $vgpr2
	s_delay_alu instid0(VALU_DEP_1)
	v_cmpx_eq_u32_e32 0, v1
	s_cbranch_execz .LBB2250_3
; %bb.2:
	s_load_b64 s[6:7], s[0:1], 0x50
	s_bcnt1_i32_b32 s5, s5
	s_delay_alu instid0(SALU_CYCLE_1)
	v_dual_mov_b32 v2, 0 :: v_dual_mov_b32 v3, s5
	s_wait_xcnt 0x0
	s_wait_kmcnt 0x0
	global_atomic_add_u32 v2, v2, v3, s[6:7] th:TH_ATOMIC_RETURN scope:SCOPE_DEV
.LBB2250_3:
	s_wait_xcnt 0x0
	s_or_b32 exec_lo, exec_lo, s4
	s_wait_loadcnt 0x0
	v_readfirstlane_b32 s4, v2
	s_delay_alu instid0(VALU_DEP_1)
	v_dual_mov_b32 v2, 0 :: v_dual_add_nc_u32 v1, s4, v1
	ds_store_b32 v2, v1 offset:18496
.LBB2250_4:
	s_or_b32 exec_lo, exec_lo, s3
	v_mov_b32_e32 v3, 0
	s_clause 0x2
	s_load_b128 s[16:19], s[0:1], 0x0
	s_load_b32 s3, s[0:1], 0x20
	s_load_b96 s[20:22], s[0:1], 0x44
	s_wait_dscnt 0x0
	s_barrier_signal -1
	s_barrier_wait -1
	ds_load_b32 v1, v3 offset:18496
	v_mbcnt_lo_u32_b32 v15, -1, 0
	v_and_b32_e32 v16, 0x3e0, v14
	s_mov_b32 s4, -1
	s_add_nc_u64 s[26:27], s[0:1], 0x58
	s_getreg_b32 s28, hwreg(HW_REG_IB_STS2, 6, 4)
	s_wait_dscnt 0x0
	s_barrier_signal -1
	s_barrier_wait -1
	s_wait_kmcnt 0x0
	v_cmp_le_u32_e32 vcc_lo, s22, v1
	v_readfirstlane_b32 s23, v1
	s_mul_i32 s24, s23, 0x1800
	s_cbranch_vccz .LBB2250_100
; %bb.5:
	s_mov_b32 s25, 0
	v_mul_u32_u24_e32 v1, 12, v16
	v_lshlrev_b32_e32 v2, 1, v15
	s_lshl_b64 s[4:5], s[24:25], 1
	s_mulk_i32 s22, 0xe800
	s_add_nc_u64 s[4:5], s[16:17], s[4:5]
	v_or_b32_e32 v10, v15, v1
	v_add_nc_u64_e32 v[4:5], s[4:5], v[2:3]
	v_dual_mov_b32 v11, 0x7fff :: v_dual_lshlrev_b32 v2, 1, v1
	v_mov_b32_e32 v1, 0x7fff
	s_add_co_i32 s22, s22, s3
	s_mov_b32 s3, exec_lo
	s_delay_alu instid0(VALU_DEP_2)
	v_add_nc_u64_e32 v[2:3], v[4:5], v[2:3]
	v_cmpx_gt_u32_e64 s22, v10
	s_cbranch_execz .LBB2250_7
; %bb.6:
	global_load_u16 v1, v[2:3], off
.LBB2250_7:
	s_wait_xcnt 0x0
	s_or_b32 exec_lo, exec_lo, s3
	v_or_b32_e32 v4, 32, v10
	s_mov_b32 s3, exec_lo
	s_delay_alu instid0(VALU_DEP_1)
	v_cmpx_gt_u32_e64 s22, v4
	s_cbranch_execz .LBB2250_9
; %bb.8:
	global_load_u16 v11, v[2:3], off offset:64
.LBB2250_9:
	s_wait_xcnt 0x0
	s_or_b32 exec_lo, exec_lo, s3
	v_or_b32_e32 v4, 64, v10
	v_mov_b32_e32 v21, 0x7fff
	v_mov_b32_e32 v17, 0x7fff
	s_mov_b32 s3, exec_lo
	s_delay_alu instid0(VALU_DEP_3)
	v_cmpx_gt_u32_e64 s22, v4
	s_cbranch_execz .LBB2250_11
; %bb.10:
	global_load_u16 v17, v[2:3], off offset:128
.LBB2250_11:
	s_wait_xcnt 0x0
	s_or_b32 exec_lo, exec_lo, s3
	v_or_b32_e32 v4, 0x60, v10
	s_mov_b32 s3, exec_lo
	s_delay_alu instid0(VALU_DEP_1)
	v_cmpx_gt_u32_e64 s22, v4
	s_cbranch_execz .LBB2250_13
; %bb.12:
	global_load_u16 v21, v[2:3], off offset:192
.LBB2250_13:
	s_wait_xcnt 0x0
	s_or_b32 exec_lo, exec_lo, s3
	v_add_nc_u32_e32 v4, 0x80, v10
	v_dual_mov_b32 v30, 0x7fff :: v_dual_mov_b32 v25, 0x7fff
	s_mov_b32 s3, exec_lo
	s_delay_alu instid0(VALU_DEP_2)
	v_cmpx_gt_u32_e64 s22, v4
	s_cbranch_execz .LBB2250_15
; %bb.14:
	global_load_u16 v25, v[2:3], off offset:256
.LBB2250_15:
	s_wait_xcnt 0x0
	s_or_b32 exec_lo, exec_lo, s3
	v_add_nc_u32_e32 v4, 0xa0, v10
	s_mov_b32 s3, exec_lo
	s_delay_alu instid0(VALU_DEP_1)
	v_cmpx_gt_u32_e64 s22, v4
	s_cbranch_execz .LBB2250_17
; %bb.16:
	global_load_u16 v30, v[2:3], off offset:320
.LBB2250_17:
	s_wait_xcnt 0x0
	s_or_b32 exec_lo, exec_lo, s3
	v_add_nc_u32_e32 v4, 0xc0, v10
	v_dual_mov_b32 v8, 0x7fff :: v_dual_mov_b32 v9, 0x7fff
	s_mov_b32 s3, exec_lo
	s_delay_alu instid0(VALU_DEP_2)
	v_cmpx_gt_u32_e64 s22, v4
	s_cbranch_execz .LBB2250_19
; %bb.18:
	global_load_u16 v9, v[2:3], off offset:384
.LBB2250_19:
	s_wait_xcnt 0x0
	s_or_b32 exec_lo, exec_lo, s3
	v_add_nc_u32_e32 v4, 0xe0, v10
	;; [unrolled: 21-line block ×3, first 2 shown]
	s_mov_b32 s3, exec_lo
	s_delay_alu instid0(VALU_DEP_1)
	v_cmpx_gt_u32_e64 s22, v4
	s_cbranch_execz .LBB2250_25
; %bb.24:
	global_load_u16 v6, v[2:3], off offset:576
.LBB2250_25:
	s_wait_xcnt 0x0
	s_or_b32 exec_lo, exec_lo, s3
	v_add_nc_u32_e32 v5, 0x140, v10
	v_mov_b32_e32 v4, 0x7fff
	s_delay_alu instid0(VALU_DEP_2)
	v_cmp_gt_u32_e32 vcc_lo, s22, v5
	v_mov_b32_e32 v5, 0x7fff
	s_and_saveexec_b32 s3, vcc_lo
	s_cbranch_execz .LBB2250_27
; %bb.26:
	global_load_u16 v5, v[2:3], off offset:640
.LBB2250_27:
	s_wait_xcnt 0x0
	s_or_b32 exec_lo, exec_lo, s3
	v_add_nc_u32_e32 v10, 0x160, v10
	s_mov_b32 s3, exec_lo
	s_delay_alu instid0(VALU_DEP_1)
	v_cmpx_gt_u32_e64 s22, v10
	s_cbranch_execz .LBB2250_29
; %bb.28:
	global_load_u16 v4, v[2:3], off offset:704
.LBB2250_29:
	s_wait_xcnt 0x0
	s_or_b32 exec_lo, exec_lo, s3
	s_wait_loadcnt 0x0
	v_cmp_lt_i16_e32 vcc_lo, -1, v1
	s_clause 0x1
	s_load_b32 s25, s[0:1], 0x58
	s_load_u16 s3, s[0:1], 0x66
	s_bfe_u32 s4, ttmp6, 0x4000c
	s_and_b32 s5, ttmp6, 15
	s_add_co_i32 s4, s4, 1
	v_cndmask_b32_e64 v2, -1, 0xffff8000, vcc_lo
	s_mul_i32 s4, ttmp9, s4
	v_bfe_u32 v3, v0, 10, 10
	s_add_co_i32 s5, s5, s4
	s_cmp_eq_u32 s28, 0
	v_xor_b32_e32 v1, v2, v1
	s_cselect_b32 s4, ttmp9, s5
	v_bfe_u32 v10, v0, 20, 10
	s_mov_b32 s5, 0
	s_delay_alu instid0(VALU_DEP_2)
	v_cmp_ne_u16_e32 vcc_lo, 0x7fff, v1
	s_wait_kmcnt 0x0
	s_cmp_lt_u32 s4, s25
	v_cndmask_b32_e32 v2, 0xffff8000, v1, vcc_lo
	s_cselect_b32 s4, 12, 18
	s_lshl_b32 s6, -1, s21
	v_mad_u32_u24 v3, v10, s3, v3
	s_add_nc_u64 s[4:5], s[26:27], s[4:5]
	v_and_b32_e32 v2, 0xffff, v2
	s_load_u16 s7, s[4:5], 0x0
	s_not_b32 s29, s6
	s_delay_alu instid0(VALU_DEP_1) | instskip(NEXT) | instid1(VALU_DEP_1)
	v_lshrrev_b32_e32 v2, s20, v2
	v_bitop3_b32 v10, v2, 1, s6 bitop3:0x40
	v_bitop3_b32 v13, v2, s6, v2 bitop3:0x30
	s_delay_alu instid0(VALU_DEP_2) | instskip(NEXT) | instid1(VALU_DEP_1)
	v_add_co_u32 v2, s3, v10, -1
	v_cndmask_b32_e64 v10, 0, 1, s3
	s_delay_alu instid0(VALU_DEP_3) | instskip(SKIP_1) | instid1(VALU_DEP_3)
	v_dual_lshlrev_b32 v12, 30, v13 :: v_dual_lshlrev_b32 v18, 29, v13
	v_dual_lshlrev_b32 v19, 28, v13 :: v_dual_lshlrev_b32 v20, 27, v13
	v_cmp_ne_u32_e32 vcc_lo, 0, v10
	s_delay_alu instid0(VALU_DEP_3)
	v_not_b32_e32 v10, v12
	v_cmp_gt_i32_e64 s3, 0, v12
	s_wait_xcnt 0x0
	v_cmp_gt_i32_e64 s4, 0, v18
	v_not_b32_e32 v12, v18
	v_not_b32_e32 v18, v19
	v_ashrrev_i32_e32 v10, 31, v10
	v_cmp_gt_i32_e64 s5, 0, v19
	v_dual_lshlrev_b32 v19, 26, v13 :: v_dual_bitop2_b32 v2, vcc_lo, v2 bitop3:0x14
	s_delay_alu instid0(VALU_DEP_4) | instskip(NEXT) | instid1(VALU_DEP_4)
	v_dual_ashrrev_i32 v12, 31, v12 :: v_dual_ashrrev_i32 v18, 31, v18
	v_xor_b32_e32 v10, s3, v10
	v_not_b32_e32 v22, v20
	v_cmp_gt_i32_e32 vcc_lo, 0, v20
	s_delay_alu instid0(VALU_DEP_4)
	v_xor_b32_e32 v12, s4, v12
	v_xor_b32_e32 v18, s5, v18
	v_cmp_gt_i32_e64 s3, 0, v19
	v_dual_ashrrev_i32 v20, 31, v22 :: v_dual_lshlrev_b32 v22, 25, v13
	v_bitop3_b32 v2, v2, v10, exec_lo bitop3:0x80
	v_not_b32_e32 v10, v19
	v_lshlrev_b32_e32 v19, 24, v13
	s_delay_alu instid0(VALU_DEP_3) | instskip(NEXT) | instid1(VALU_DEP_3)
	v_bitop3_b32 v2, v2, v18, v12 bitop3:0x80
	v_dual_ashrrev_i32 v10, 31, v10 :: v_dual_bitop2_b32 v18, vcc_lo, v20 bitop3:0x14
	v_not_b32_e32 v12, v22
	s_delay_alu instid0(VALU_DEP_4) | instskip(SKIP_1) | instid1(VALU_DEP_4)
	v_not_b32_e32 v20, v19
	v_cmp_gt_i32_e32 vcc_lo, 0, v22
	v_xor_b32_e32 v10, s3, v10
	v_cmp_gt_i32_e64 s3, 0, v19
	v_ashrrev_i32_e32 v22, 31, v12
	v_ashrrev_i32_e32 v19, 31, v20
	s_wait_kmcnt 0x0
	v_mad_u32 v20, v3, s7, v14
	v_bitop3_b32 v2, v2, v10, v18 bitop3:0x80
	v_mul_u32_u24_e32 v12, 36, v14
	v_xor_b32_e32 v3, vcc_lo, v22
	v_dual_mov_b32 v18, 0 :: v_dual_bitop2_b32 v10, s3, v19 bitop3:0x14
	ds_store_2addr_b32 v12, v18, v18 offset0:16 offset1:17
	ds_store_2addr_b32 v12, v18, v18 offset0:18 offset1:19
	;; [unrolled: 1-line block ×4, first 2 shown]
	v_bitop3_b32 v3, v2, v10, v3 bitop3:0x80
	v_lshrrev_b32_e32 v2, 5, v20
	ds_store_b32 v12, v18 offset:96
	s_wait_dscnt 0x0
	s_barrier_signal -1
	v_mbcnt_lo_u32_b32 v10, v3, 0
	v_lshlrev_b32_e32 v2, 2, v2
	v_cmp_ne_u32_e64 s3, 0, v3
	s_barrier_wait -1
	s_delay_alu instid0(VALU_DEP_3) | instskip(NEXT) | instid1(VALU_DEP_3)
	v_cmp_eq_u32_e32 vcc_lo, 0, v10
	v_mad_u32_u24 v13, 0x44, v13, v2
	; wave barrier
	s_and_b32 s4, s3, vcc_lo
	s_delay_alu instid0(SALU_CYCLE_1)
	s_and_saveexec_b32 s3, s4
; %bb.30:
	v_bcnt_u32_b32 v3, v3, 0
	ds_store_b32 v13, v3 offset:64
; %bb.31:
	s_or_b32 exec_lo, exec_lo, s3
	v_cmp_lt_i16_e32 vcc_lo, -1, v11
	; wave barrier
	v_cndmask_b32_e64 v3, -1, 0xffff8000, vcc_lo
	s_delay_alu instid0(VALU_DEP_1) | instskip(NEXT) | instid1(VALU_DEP_1)
	v_xor_b32_e32 v11, v3, v11
	v_cmp_ne_u16_e32 vcc_lo, 0x7fff, v11
	v_cndmask_b32_e32 v3, 0xffff8000, v11, vcc_lo
	s_delay_alu instid0(VALU_DEP_1) | instskip(NEXT) | instid1(VALU_DEP_1)
	v_and_b32_e32 v3, 0xffff, v3
	v_lshrrev_b32_e32 v3, s20, v3
	s_delay_alu instid0(VALU_DEP_1) | instskip(NEXT) | instid1(VALU_DEP_1)
	v_bitop3_b32 v18, v3, 1, s29 bitop3:0x80
	v_add_co_u32 v18, s3, v18, -1
	s_delay_alu instid0(VALU_DEP_1) | instskip(NEXT) | instid1(VALU_DEP_1)
	v_cndmask_b32_e64 v19, 0, 1, s3
	v_cmp_ne_u32_e32 vcc_lo, 0, v19
	s_delay_alu instid0(VALU_DEP_3) | instskip(SKIP_1) | instid1(VALU_DEP_1)
	v_xor_b32_e32 v18, vcc_lo, v18
	v_and_b32_e32 v3, s29, v3
	v_dual_lshlrev_b32 v20, 30, v3 :: v_dual_lshlrev_b32 v22, 29, v3
	v_dual_lshlrev_b32 v23, 28, v3 :: v_dual_lshlrev_b32 v24, 27, v3
	v_lshlrev_b32_e32 v26, 26, v3
	s_delay_alu instid0(VALU_DEP_3)
	v_cmp_gt_i32_e64 s3, 0, v20
	v_not_b32_e32 v19, v20
	v_cmp_gt_i32_e64 s4, 0, v22
	v_not_b32_e32 v20, v22
	v_not_b32_e32 v22, v23
	v_cmp_gt_i32_e64 s5, 0, v23
	v_cmp_gt_i32_e64 s6, 0, v24
	v_not_b32_e32 v23, v24
	v_not_b32_e32 v24, v26
	v_dual_ashrrev_i32 v22, 31, v22 :: v_dual_ashrrev_i32 v19, 31, v19
	v_ashrrev_i32_e32 v20, 31, v20
	s_delay_alu instid0(VALU_DEP_3) | instskip(NEXT) | instid1(VALU_DEP_2)
	v_dual_ashrrev_i32 v24, 31, v24 :: v_dual_lshlrev_b32 v27, 25, v3
	v_dual_lshlrev_b32 v28, 24, v3 :: v_dual_bitop2_b32 v20, s4, v20 bitop3:0x14
	s_delay_alu instid0(VALU_DEP_4)
	v_xor_b32_e32 v22, s5, v22
	v_xor_b32_e32 v19, s3, v19
	v_cmp_gt_i32_e64 s7, 0, v26
	v_cmp_gt_i32_e64 s8, 0, v27
	v_not_b32_e32 v26, v27
	v_not_b32_e32 v27, v28
	v_ashrrev_i32_e32 v23, 31, v23
	v_bitop3_b32 v18, v18, v19, exec_lo bitop3:0x80
	v_cmp_gt_i32_e64 s9, 0, v28
	s_delay_alu instid0(VALU_DEP_4)
	v_dual_ashrrev_i32 v19, 31, v26 :: v_dual_ashrrev_i32 v26, 31, v27
	v_xor_b32_e32 v24, s7, v24
	v_xor_b32_e32 v23, s6, v23
	v_bitop3_b32 v18, v18, v22, v20 bitop3:0x80
	v_mad_u32_u24 v20, 0x44, v3, v2
	v_xor_b32_e32 v3, s8, v19
	v_xor_b32_e32 v19, s9, v26
	s_delay_alu instid0(VALU_DEP_4) | instskip(SKIP_2) | instid1(VALU_DEP_1)
	v_bitop3_b32 v22, v18, v24, v23 bitop3:0x80
	ds_load_b32 v18, v20 offset:64
	; wave barrier
	v_bitop3_b32 v3, v22, v19, v3 bitop3:0x80
	v_mbcnt_lo_u32_b32 v19, v3, 0
	v_cmp_ne_u32_e64 s3, 0, v3
	s_delay_alu instid0(VALU_DEP_2) | instskip(SKIP_1) | instid1(SALU_CYCLE_1)
	v_cmp_eq_u32_e32 vcc_lo, 0, v19
	s_and_b32 s4, s3, vcc_lo
	s_and_saveexec_b32 s3, s4
	s_cbranch_execz .LBB2250_33
; %bb.32:
	s_wait_dscnt 0x0
	v_bcnt_u32_b32 v3, v3, v18
	ds_store_b32 v20, v3 offset:64
.LBB2250_33:
	s_or_b32 exec_lo, exec_lo, s3
	v_cmp_lt_i16_e32 vcc_lo, -1, v17
	; wave barrier
	v_cndmask_b32_e64 v3, -1, 0xffff8000, vcc_lo
	s_delay_alu instid0(VALU_DEP_1) | instskip(NEXT) | instid1(VALU_DEP_1)
	v_xor_b32_e32 v17, v3, v17
	v_cmp_ne_u16_e32 vcc_lo, 0x7fff, v17
	v_cndmask_b32_e32 v3, 0xffff8000, v17, vcc_lo
	s_delay_alu instid0(VALU_DEP_1) | instskip(NEXT) | instid1(VALU_DEP_1)
	v_and_b32_e32 v3, 0xffff, v3
	v_lshrrev_b32_e32 v3, s20, v3
	s_delay_alu instid0(VALU_DEP_1) | instskip(SKIP_1) | instid1(VALU_DEP_2)
	v_bitop3_b32 v22, v3, 1, s29 bitop3:0x80
	v_and_b32_e32 v3, s29, v3
	v_add_co_u32 v22, s3, v22, -1
	s_delay_alu instid0(VALU_DEP_1) | instskip(NEXT) | instid1(VALU_DEP_3)
	v_cndmask_b32_e64 v23, 0, 1, s3
	v_dual_lshlrev_b32 v24, 30, v3 :: v_dual_lshlrev_b32 v26, 29, v3
	v_lshlrev_b32_e32 v27, 28, v3
	s_delay_alu instid0(VALU_DEP_3) | instskip(NEXT) | instid1(VALU_DEP_3)
	v_cmp_ne_u32_e32 vcc_lo, 0, v23
	v_cmp_gt_i32_e64 s3, 0, v24
	v_not_b32_e32 v23, v24
	v_cmp_gt_i32_e64 s4, 0, v26
	v_not_b32_e32 v24, v26
	v_not_b32_e32 v26, v27
	s_delay_alu instid0(VALU_DEP_2) | instskip(NEXT) | instid1(VALU_DEP_2)
	v_dual_ashrrev_i32 v24, 31, v24 :: v_dual_bitop2_b32 v22, vcc_lo, v22 bitop3:0x14
	v_dual_ashrrev_i32 v26, 31, v26 :: v_dual_lshlrev_b32 v28, 27, v3
	v_dual_lshlrev_b32 v29, 26, v3 :: v_dual_lshlrev_b32 v31, 25, v3
	v_cmp_gt_i32_e64 s5, 0, v27
	v_lshlrev_b32_e32 v32, 24, v3
	s_delay_alu instid0(VALU_DEP_4)
	v_cmp_gt_i32_e64 s6, 0, v28
	v_not_b32_e32 v27, v28
	v_not_b32_e32 v28, v29
	v_ashrrev_i32_e32 v23, 31, v23
	v_cmp_gt_i32_e64 s7, 0, v29
	v_cmp_gt_i32_e64 s8, 0, v31
	v_not_b32_e32 v29, v31
	s_delay_alu instid0(VALU_DEP_4) | instskip(SKIP_3) | instid1(VALU_DEP_4)
	v_dual_ashrrev_i32 v28, 31, v28 :: v_dual_bitop2_b32 v23, s3, v23 bitop3:0x14
	v_not_b32_e32 v31, v32
	v_dual_ashrrev_i32 v27, 31, v27 :: v_dual_bitop2_b32 v24, s4, v24 bitop3:0x14
	v_xor_b32_e32 v26, s5, v26
	v_bitop3_b32 v22, v22, v23, exec_lo bitop3:0x80
	v_cmp_gt_i32_e64 s9, 0, v32
	v_dual_ashrrev_i32 v23, 31, v29 :: v_dual_ashrrev_i32 v29, 31, v31
	v_xor_b32_e32 v28, s7, v28
	v_xor_b32_e32 v27, s6, v27
	v_bitop3_b32 v22, v22, v26, v24 bitop3:0x80
	v_mad_u32_u24 v24, 0x44, v3, v2
	v_xor_b32_e32 v3, s8, v23
	v_xor_b32_e32 v23, s9, v29
	s_delay_alu instid0(VALU_DEP_4) | instskip(SKIP_2) | instid1(VALU_DEP_1)
	v_bitop3_b32 v26, v22, v28, v27 bitop3:0x80
	ds_load_b32 v22, v24 offset:64
	; wave barrier
	v_bitop3_b32 v3, v26, v23, v3 bitop3:0x80
	v_mbcnt_lo_u32_b32 v23, v3, 0
	v_cmp_ne_u32_e64 s3, 0, v3
	s_delay_alu instid0(VALU_DEP_2) | instskip(SKIP_1) | instid1(SALU_CYCLE_1)
	v_cmp_eq_u32_e32 vcc_lo, 0, v23
	s_and_b32 s4, s3, vcc_lo
	s_and_saveexec_b32 s3, s4
	s_cbranch_execz .LBB2250_35
; %bb.34:
	s_wait_dscnt 0x0
	v_bcnt_u32_b32 v3, v3, v22
	ds_store_b32 v24, v3 offset:64
.LBB2250_35:
	s_or_b32 exec_lo, exec_lo, s3
	v_cmp_lt_i16_e32 vcc_lo, -1, v21
	; wave barrier
	v_cndmask_b32_e64 v3, -1, 0xffff8000, vcc_lo
	s_delay_alu instid0(VALU_DEP_1) | instskip(NEXT) | instid1(VALU_DEP_1)
	v_xor_b32_e32 v21, v3, v21
	v_cmp_ne_u16_e32 vcc_lo, 0x7fff, v21
	v_cndmask_b32_e32 v3, 0xffff8000, v21, vcc_lo
	s_delay_alu instid0(VALU_DEP_1) | instskip(NEXT) | instid1(VALU_DEP_1)
	v_and_b32_e32 v3, 0xffff, v3
	v_lshrrev_b32_e32 v3, s20, v3
	s_delay_alu instid0(VALU_DEP_1) | instskip(SKIP_1) | instid1(VALU_DEP_2)
	v_bitop3_b32 v26, v3, 1, s29 bitop3:0x80
	v_and_b32_e32 v3, s29, v3
	v_add_co_u32 v26, s3, v26, -1
	s_delay_alu instid0(VALU_DEP_1) | instskip(NEXT) | instid1(VALU_DEP_3)
	v_cndmask_b32_e64 v27, 0, 1, s3
	v_dual_lshlrev_b32 v28, 30, v3 :: v_dual_lshlrev_b32 v29, 29, v3
	v_lshlrev_b32_e32 v31, 28, v3
	s_delay_alu instid0(VALU_DEP_3) | instskip(NEXT) | instid1(VALU_DEP_3)
	v_cmp_ne_u32_e32 vcc_lo, 0, v27
	v_cmp_gt_i32_e64 s3, 0, v28
	v_not_b32_e32 v27, v28
	v_cmp_gt_i32_e64 s4, 0, v29
	v_not_b32_e32 v28, v29
	v_not_b32_e32 v29, v31
	s_delay_alu instid0(VALU_DEP_2) | instskip(NEXT) | instid1(VALU_DEP_2)
	v_dual_ashrrev_i32 v28, 31, v28 :: v_dual_bitop2_b32 v26, vcc_lo, v26 bitop3:0x14
	v_dual_ashrrev_i32 v29, 31, v29 :: v_dual_lshlrev_b32 v32, 27, v3
	v_dual_lshlrev_b32 v33, 26, v3 :: v_dual_lshlrev_b32 v34, 25, v3
	v_lshlrev_b32_e32 v35, 24, v3
	v_cmp_gt_i32_e64 s5, 0, v31
	s_delay_alu instid0(VALU_DEP_4)
	v_cmp_gt_i32_e64 s6, 0, v32
	v_not_b32_e32 v31, v32
	v_not_b32_e32 v32, v33
	v_ashrrev_i32_e32 v27, 31, v27
	v_cmp_gt_i32_e64 s7, 0, v33
	v_cmp_gt_i32_e64 s8, 0, v34
	v_not_b32_e32 v33, v34
	v_not_b32_e32 v34, v35
	v_dual_ashrrev_i32 v32, 31, v32 :: v_dual_bitop2_b32 v27, s3, v27 bitop3:0x14
	v_dual_ashrrev_i32 v31, 31, v31 :: v_dual_bitop2_b32 v28, s4, v28 bitop3:0x14
	v_xor_b32_e32 v29, s5, v29
	v_cmp_gt_i32_e64 s9, 0, v35
	s_delay_alu instid0(VALU_DEP_4) | instskip(NEXT) | instid1(VALU_DEP_4)
	v_bitop3_b32 v26, v26, v27, exec_lo bitop3:0x80
	v_dual_ashrrev_i32 v27, 31, v33 :: v_dual_bitop2_b32 v31, s6, v31 bitop3:0x14
	v_dual_ashrrev_i32 v33, 31, v34 :: v_dual_bitop2_b32 v32, s7, v32 bitop3:0x14
	s_delay_alu instid0(VALU_DEP_3) | instskip(SKIP_1) | instid1(VALU_DEP_4)
	v_bitop3_b32 v26, v26, v29, v28 bitop3:0x80
	v_mad_u32_u24 v28, 0x44, v3, v2
	v_xor_b32_e32 v3, s8, v27
	s_delay_alu instid0(VALU_DEP_4) | instskip(NEXT) | instid1(VALU_DEP_4)
	v_xor_b32_e32 v27, s9, v33
	v_bitop3_b32 v29, v26, v32, v31 bitop3:0x80
	ds_load_b32 v26, v28 offset:64
	; wave barrier
	v_bitop3_b32 v3, v29, v27, v3 bitop3:0x80
	s_delay_alu instid0(VALU_DEP_1) | instskip(SKIP_1) | instid1(VALU_DEP_2)
	v_mbcnt_lo_u32_b32 v27, v3, 0
	v_cmp_ne_u32_e64 s3, 0, v3
	v_cmp_eq_u32_e32 vcc_lo, 0, v27
	s_and_b32 s4, s3, vcc_lo
	s_delay_alu instid0(SALU_CYCLE_1)
	s_and_saveexec_b32 s3, s4
	s_cbranch_execz .LBB2250_37
; %bb.36:
	s_wait_dscnt 0x0
	v_bcnt_u32_b32 v3, v3, v26
	ds_store_b32 v28, v3 offset:64
.LBB2250_37:
	s_or_b32 exec_lo, exec_lo, s3
	v_cmp_lt_i16_e32 vcc_lo, -1, v25
	; wave barrier
	v_cndmask_b32_e64 v3, -1, 0xffff8000, vcc_lo
	s_delay_alu instid0(VALU_DEP_1) | instskip(NEXT) | instid1(VALU_DEP_1)
	v_xor_b32_e32 v25, v3, v25
	v_cmp_ne_u16_e32 vcc_lo, 0x7fff, v25
	v_cndmask_b32_e32 v3, 0xffff8000, v25, vcc_lo
	s_delay_alu instid0(VALU_DEP_1) | instskip(NEXT) | instid1(VALU_DEP_1)
	v_and_b32_e32 v3, 0xffff, v3
	v_lshrrev_b32_e32 v3, s20, v3
	s_delay_alu instid0(VALU_DEP_1) | instskip(SKIP_1) | instid1(VALU_DEP_2)
	v_bitop3_b32 v29, v3, 1, s29 bitop3:0x80
	v_and_b32_e32 v3, s29, v3
	v_add_co_u32 v29, s3, v29, -1
	s_delay_alu instid0(VALU_DEP_1) | instskip(NEXT) | instid1(VALU_DEP_3)
	v_cndmask_b32_e64 v31, 0, 1, s3
	v_dual_lshlrev_b32 v32, 30, v3 :: v_dual_lshlrev_b32 v33, 29, v3
	v_lshlrev_b32_e32 v34, 28, v3
	s_delay_alu instid0(VALU_DEP_3) | instskip(NEXT) | instid1(VALU_DEP_3)
	v_cmp_ne_u32_e32 vcc_lo, 0, v31
	v_cmp_gt_i32_e64 s3, 0, v32
	v_not_b32_e32 v31, v32
	v_cmp_gt_i32_e64 s4, 0, v33
	v_not_b32_e32 v32, v33
	v_not_b32_e32 v33, v34
	s_delay_alu instid0(VALU_DEP_2) | instskip(NEXT) | instid1(VALU_DEP_2)
	v_dual_ashrrev_i32 v32, 31, v32 :: v_dual_bitop2_b32 v29, vcc_lo, v29 bitop3:0x14
	v_dual_ashrrev_i32 v33, 31, v33 :: v_dual_lshlrev_b32 v35, 27, v3
	v_dual_lshlrev_b32 v36, 26, v3 :: v_dual_lshlrev_b32 v37, 25, v3
	v_lshlrev_b32_e32 v38, 24, v3
	v_cmp_gt_i32_e64 s5, 0, v34
	s_delay_alu instid0(VALU_DEP_4)
	v_not_b32_e32 v34, v35
	v_ashrrev_i32_e32 v31, 31, v31
	v_cmp_gt_i32_e64 s6, 0, v35
	v_cmp_gt_i32_e64 s7, 0, v36
	v_not_b32_e32 v35, v36
	v_cmp_gt_i32_e64 s8, 0, v37
	v_not_b32_e32 v36, v37
	v_not_b32_e32 v37, v38
	v_dual_ashrrev_i32 v34, 31, v34 :: v_dual_bitop2_b32 v31, s3, v31 bitop3:0x14
	v_dual_ashrrev_i32 v35, 31, v35 :: v_dual_bitop2_b32 v32, s4, v32 bitop3:0x14
	v_xor_b32_e32 v33, s5, v33
	v_cmp_gt_i32_e64 s9, 0, v38
	s_delay_alu instid0(VALU_DEP_4) | instskip(SKIP_3) | instid1(VALU_DEP_4)
	v_bitop3_b32 v29, v29, v31, exec_lo bitop3:0x80
	v_dual_ashrrev_i32 v31, 31, v36 :: v_dual_ashrrev_i32 v36, 31, v37
	v_xor_b32_e32 v34, s6, v34
	v_xor_b32_e32 v35, s7, v35
	v_bitop3_b32 v29, v29, v33, v32 bitop3:0x80
	v_mad_u32_u24 v32, 0x44, v3, v2
	v_xor_b32_e32 v3, s8, v31
	v_xor_b32_e32 v31, s9, v36
	s_delay_alu instid0(VALU_DEP_4) | instskip(SKIP_2) | instid1(VALU_DEP_1)
	v_bitop3_b32 v33, v29, v35, v34 bitop3:0x80
	ds_load_b32 v29, v32 offset:64
	; wave barrier
	v_bitop3_b32 v3, v33, v31, v3 bitop3:0x80
	v_mbcnt_lo_u32_b32 v31, v3, 0
	v_cmp_ne_u32_e64 s3, 0, v3
	s_delay_alu instid0(VALU_DEP_2) | instskip(SKIP_1) | instid1(SALU_CYCLE_1)
	v_cmp_eq_u32_e32 vcc_lo, 0, v31
	s_and_b32 s4, s3, vcc_lo
	s_and_saveexec_b32 s3, s4
	s_cbranch_execz .LBB2250_39
; %bb.38:
	s_wait_dscnt 0x0
	v_bcnt_u32_b32 v3, v3, v29
	ds_store_b32 v32, v3 offset:64
.LBB2250_39:
	s_or_b32 exec_lo, exec_lo, s3
	v_cmp_lt_i16_e32 vcc_lo, -1, v30
	; wave barrier
	v_cndmask_b32_e64 v3, -1, 0xffff8000, vcc_lo
	s_delay_alu instid0(VALU_DEP_1) | instskip(NEXT) | instid1(VALU_DEP_1)
	v_xor_b32_e32 v30, v3, v30
	v_cmp_ne_u16_e32 vcc_lo, 0x7fff, v30
	v_cndmask_b32_e32 v3, 0xffff8000, v30, vcc_lo
	s_delay_alu instid0(VALU_DEP_1) | instskip(NEXT) | instid1(VALU_DEP_1)
	v_and_b32_e32 v3, 0xffff, v3
	v_lshrrev_b32_e32 v3, s20, v3
	s_delay_alu instid0(VALU_DEP_1) | instskip(SKIP_1) | instid1(VALU_DEP_2)
	v_bitop3_b32 v33, v3, 1, s29 bitop3:0x80
	v_and_b32_e32 v3, s29, v3
	v_add_co_u32 v33, s3, v33, -1
	s_delay_alu instid0(VALU_DEP_1) | instskip(NEXT) | instid1(VALU_DEP_3)
	v_cndmask_b32_e64 v34, 0, 1, s3
	v_lshlrev_b32_e32 v35, 30, v3
	s_delay_alu instid0(VALU_DEP_2) | instskip(NEXT) | instid1(VALU_DEP_2)
	v_cmp_ne_u32_e32 vcc_lo, 0, v34
	v_not_b32_e32 v34, v35
	s_delay_alu instid0(VALU_DEP_1) | instskip(SKIP_4) | instid1(VALU_DEP_4)
	v_dual_ashrrev_i32 v34, 31, v34 :: v_dual_bitop2_b32 v33, vcc_lo, v33 bitop3:0x14
	v_dual_lshlrev_b32 v36, 29, v3 :: v_dual_lshlrev_b32 v37, 28, v3
	v_dual_lshlrev_b32 v38, 27, v3 :: v_dual_lshlrev_b32 v39, 26, v3
	v_lshlrev_b32_e32 v40, 25, v3
	v_cmp_gt_i32_e64 s3, 0, v35
	v_cmp_gt_i32_e64 s4, 0, v36
	v_not_b32_e32 v35, v36
	v_not_b32_e32 v36, v37
	v_lshlrev_b32_e32 v41, 24, v3
	v_cmp_gt_i32_e64 s5, 0, v37
	v_cmp_gt_i32_e64 s6, 0, v38
	v_not_b32_e32 v37, v38
	v_not_b32_e32 v38, v39
	v_dual_ashrrev_i32 v35, 31, v35 :: v_dual_bitop2_b32 v34, s3, v34 bitop3:0x14
	v_ashrrev_i32_e32 v36, 31, v36
	v_cmp_gt_i32_e64 s7, 0, v39
	v_cmp_gt_i32_e64 s8, 0, v40
	v_not_b32_e32 v39, v40
	v_not_b32_e32 v40, v41
	v_dual_ashrrev_i32 v37, 31, v37 :: v_dual_ashrrev_i32 v38, 31, v38
	v_xor_b32_e32 v35, s4, v35
	v_xor_b32_e32 v36, s5, v36
	v_bitop3_b32 v33, v33, v34, exec_lo bitop3:0x80
	v_cmp_gt_i32_e64 s9, 0, v41
	v_dual_ashrrev_i32 v34, 31, v39 :: v_dual_ashrrev_i32 v39, 31, v40
	v_xor_b32_e32 v37, s6, v37
	v_xor_b32_e32 v38, s7, v38
	v_bitop3_b32 v33, v33, v36, v35 bitop3:0x80
	v_mad_u32_u24 v36, 0x44, v3, v2
	v_xor_b32_e32 v3, s8, v34
	v_xor_b32_e32 v34, s9, v39
	s_delay_alu instid0(VALU_DEP_4) | instskip(SKIP_2) | instid1(VALU_DEP_1)
	v_bitop3_b32 v35, v33, v38, v37 bitop3:0x80
	ds_load_b32 v33, v36 offset:64
	; wave barrier
	v_bitop3_b32 v3, v35, v34, v3 bitop3:0x80
	v_mbcnt_lo_u32_b32 v34, v3, 0
	v_cmp_ne_u32_e64 s3, 0, v3
	s_delay_alu instid0(VALU_DEP_2) | instskip(SKIP_1) | instid1(SALU_CYCLE_1)
	v_cmp_eq_u32_e32 vcc_lo, 0, v34
	s_and_b32 s4, s3, vcc_lo
	s_and_saveexec_b32 s3, s4
	s_cbranch_execz .LBB2250_41
; %bb.40:
	s_wait_dscnt 0x0
	v_bcnt_u32_b32 v3, v3, v33
	ds_store_b32 v36, v3 offset:64
.LBB2250_41:
	s_or_b32 exec_lo, exec_lo, s3
	v_cmp_lt_i16_e32 vcc_lo, -1, v9
	; wave barrier
	v_cndmask_b32_e64 v3, -1, 0xffff8000, vcc_lo
	s_delay_alu instid0(VALU_DEP_1) | instskip(NEXT) | instid1(VALU_DEP_1)
	v_xor_b32_e32 v35, v3, v9
	v_cmp_ne_u16_e32 vcc_lo, 0x7fff, v35
	v_cndmask_b32_e32 v3, 0xffff8000, v35, vcc_lo
	s_delay_alu instid0(VALU_DEP_1) | instskip(NEXT) | instid1(VALU_DEP_1)
	v_and_b32_e32 v3, 0xffff, v3
	v_lshrrev_b32_e32 v3, s20, v3
	s_delay_alu instid0(VALU_DEP_1) | instskip(SKIP_1) | instid1(VALU_DEP_2)
	v_bitop3_b32 v9, v3, 1, s29 bitop3:0x80
	v_and_b32_e32 v3, s29, v3
	v_add_co_u32 v9, s3, v9, -1
	s_delay_alu instid0(VALU_DEP_1) | instskip(NEXT) | instid1(VALU_DEP_3)
	v_cndmask_b32_e64 v37, 0, 1, s3
	v_lshlrev_b32_e32 v38, 30, v3
	s_delay_alu instid0(VALU_DEP_2) | instskip(NEXT) | instid1(VALU_DEP_2)
	v_cmp_ne_u32_e32 vcc_lo, 0, v37
	v_not_b32_e32 v37, v38
	v_xor_b32_e32 v9, vcc_lo, v9
	s_delay_alu instid0(VALU_DEP_2) | instskip(SKIP_3) | instid1(VALU_DEP_4)
	v_dual_ashrrev_i32 v37, 31, v37 :: v_dual_lshlrev_b32 v39, 29, v3
	v_dual_lshlrev_b32 v40, 28, v3 :: v_dual_lshlrev_b32 v41, 27, v3
	v_dual_lshlrev_b32 v42, 26, v3 :: v_dual_lshlrev_b32 v43, 25, v3
	v_cmp_gt_i32_e64 s3, 0, v38
	v_cmp_gt_i32_e64 s4, 0, v39
	v_not_b32_e32 v38, v39
	v_not_b32_e32 v39, v40
	v_lshlrev_b32_e32 v44, 24, v3
	v_cmp_gt_i32_e64 s5, 0, v40
	v_cmp_gt_i32_e64 s6, 0, v41
	v_not_b32_e32 v40, v41
	v_not_b32_e32 v41, v42
	v_dual_ashrrev_i32 v38, 31, v38 :: v_dual_ashrrev_i32 v39, 31, v39
	v_xor_b32_e32 v37, s3, v37
	v_cmp_gt_i32_e64 s7, 0, v42
	v_cmp_gt_i32_e64 s8, 0, v43
	v_not_b32_e32 v42, v43
	v_not_b32_e32 v43, v44
	v_dual_ashrrev_i32 v40, 31, v40 :: v_dual_ashrrev_i32 v41, 31, v41
	v_xor_b32_e32 v38, s4, v38
	v_xor_b32_e32 v39, s5, v39
	v_bitop3_b32 v9, v9, v37, exec_lo bitop3:0x80
	v_cmp_gt_i32_e64 s9, 0, v44
	v_dual_ashrrev_i32 v37, 31, v42 :: v_dual_ashrrev_i32 v42, 31, v43
	v_xor_b32_e32 v43, s6, v40
	v_xor_b32_e32 v41, s7, v41
	v_bitop3_b32 v9, v9, v39, v38 bitop3:0x80
	v_mad_u32_u24 v40, 0x44, v3, v2
	v_xor_b32_e32 v3, s8, v37
	v_xor_b32_e32 v37, s9, v42
	s_delay_alu instid0(VALU_DEP_4) | instskip(SKIP_2) | instid1(VALU_DEP_1)
	v_bitop3_b32 v9, v9, v41, v43 bitop3:0x80
	ds_load_b32 v38, v40 offset:64
	; wave barrier
	v_bitop3_b32 v3, v9, v37, v3 bitop3:0x80
	v_mbcnt_lo_u32_b32 v39, v3, 0
	v_cmp_ne_u32_e64 s3, 0, v3
	s_delay_alu instid0(VALU_DEP_2) | instskip(SKIP_1) | instid1(SALU_CYCLE_1)
	v_cmp_eq_u32_e32 vcc_lo, 0, v39
	s_and_b32 s4, s3, vcc_lo
	s_and_saveexec_b32 s3, s4
	s_cbranch_execz .LBB2250_43
; %bb.42:
	s_wait_dscnt 0x0
	v_bcnt_u32_b32 v3, v3, v38
	ds_store_b32 v40, v3 offset:64
.LBB2250_43:
	s_or_b32 exec_lo, exec_lo, s3
	v_cmp_lt_i16_e32 vcc_lo, -1, v8
	; wave barrier
	v_cndmask_b32_e64 v3, -1, 0xffff8000, vcc_lo
	s_delay_alu instid0(VALU_DEP_1) | instskip(NEXT) | instid1(VALU_DEP_1)
	v_xor_b32_e32 v37, v3, v8
	v_cmp_ne_u16_e32 vcc_lo, 0x7fff, v37
	v_cndmask_b32_e32 v3, 0xffff8000, v37, vcc_lo
	s_delay_alu instid0(VALU_DEP_1) | instskip(NEXT) | instid1(VALU_DEP_1)
	v_and_b32_e32 v3, 0xffff, v3
	v_lshrrev_b32_e32 v3, s20, v3
	s_delay_alu instid0(VALU_DEP_1) | instskip(SKIP_1) | instid1(VALU_DEP_2)
	v_bitop3_b32 v8, v3, 1, s29 bitop3:0x80
	v_and_b32_e32 v3, s29, v3
	v_add_co_u32 v8, s3, v8, -1
	s_delay_alu instid0(VALU_DEP_1) | instskip(NEXT) | instid1(VALU_DEP_3)
	v_cndmask_b32_e64 v9, 0, 1, s3
	v_lshlrev_b32_e32 v41, 30, v3
	s_delay_alu instid0(VALU_DEP_2) | instskip(NEXT) | instid1(VALU_DEP_2)
	v_cmp_ne_u32_e32 vcc_lo, 0, v9
	v_not_b32_e32 v9, v41
	s_delay_alu instid0(VALU_DEP_1) | instskip(SKIP_4) | instid1(VALU_DEP_4)
	v_dual_ashrrev_i32 v9, 31, v9 :: v_dual_bitop2_b32 v8, vcc_lo, v8 bitop3:0x14
	v_dual_lshlrev_b32 v42, 29, v3 :: v_dual_lshlrev_b32 v43, 28, v3
	v_dual_lshlrev_b32 v44, 27, v3 :: v_dual_lshlrev_b32 v45, 26, v3
	v_lshlrev_b32_e32 v46, 25, v3
	v_cmp_gt_i32_e64 s3, 0, v41
	v_cmp_gt_i32_e64 s4, 0, v42
	v_not_b32_e32 v41, v42
	v_not_b32_e32 v42, v43
	v_lshlrev_b32_e32 v47, 24, v3
	v_cmp_gt_i32_e64 s5, 0, v43
	v_cmp_gt_i32_e64 s6, 0, v44
	v_not_b32_e32 v43, v44
	v_not_b32_e32 v44, v45
	v_dual_ashrrev_i32 v41, 31, v41 :: v_dual_ashrrev_i32 v42, 31, v42
	v_xor_b32_e32 v9, s3, v9
	v_cmp_gt_i32_e64 s7, 0, v45
	v_cmp_gt_i32_e64 s8, 0, v46
	v_not_b32_e32 v45, v46
	v_not_b32_e32 v46, v47
	v_dual_ashrrev_i32 v43, 31, v43 :: v_dual_ashrrev_i32 v44, 31, v44
	v_xor_b32_e32 v41, s4, v41
	v_xor_b32_e32 v42, s5, v42
	v_bitop3_b32 v8, v8, v9, exec_lo bitop3:0x80
	v_cmp_gt_i32_e64 s9, 0, v47
	v_dual_ashrrev_i32 v9, 31, v45 :: v_dual_ashrrev_i32 v45, 31, v46
	v_xor_b32_e32 v43, s6, v43
	v_xor_b32_e32 v46, s7, v44
	v_bitop3_b32 v8, v8, v42, v41 bitop3:0x80
	v_mad_u32_u24 v44, 0x44, v3, v2
	v_xor_b32_e32 v3, s8, v9
	v_xor_b32_e32 v9, s9, v45
	s_delay_alu instid0(VALU_DEP_4) | instskip(SKIP_2) | instid1(VALU_DEP_1)
	v_bitop3_b32 v8, v8, v46, v43 bitop3:0x80
	ds_load_b32 v42, v44 offset:64
	; wave barrier
	v_bitop3_b32 v3, v8, v9, v3 bitop3:0x80
	v_mbcnt_lo_u32_b32 v43, v3, 0
	v_cmp_ne_u32_e64 s3, 0, v3
	s_delay_alu instid0(VALU_DEP_2) | instskip(SKIP_1) | instid1(SALU_CYCLE_1)
	v_cmp_eq_u32_e32 vcc_lo, 0, v43
	s_and_b32 s4, s3, vcc_lo
	s_and_saveexec_b32 s3, s4
	s_cbranch_execz .LBB2250_45
; %bb.44:
	s_wait_dscnt 0x0
	v_bcnt_u32_b32 v3, v3, v42
	ds_store_b32 v44, v3 offset:64
.LBB2250_45:
	s_or_b32 exec_lo, exec_lo, s3
	v_cmp_lt_i16_e32 vcc_lo, -1, v7
	; wave barrier
	v_cndmask_b32_e64 v3, -1, 0xffff8000, vcc_lo
	s_delay_alu instid0(VALU_DEP_1) | instskip(NEXT) | instid1(VALU_DEP_1)
	v_xor_b32_e32 v41, v3, v7
	v_cmp_ne_u16_e32 vcc_lo, 0x7fff, v41
	v_cndmask_b32_e32 v3, 0xffff8000, v41, vcc_lo
	s_delay_alu instid0(VALU_DEP_1) | instskip(NEXT) | instid1(VALU_DEP_1)
	v_and_b32_e32 v3, 0xffff, v3
	v_lshrrev_b32_e32 v3, s20, v3
	s_delay_alu instid0(VALU_DEP_1) | instskip(SKIP_1) | instid1(VALU_DEP_2)
	v_bitop3_b32 v7, v3, 1, s29 bitop3:0x80
	v_and_b32_e32 v3, s29, v3
	v_add_co_u32 v7, s3, v7, -1
	s_delay_alu instid0(VALU_DEP_1) | instskip(NEXT) | instid1(VALU_DEP_3)
	v_cndmask_b32_e64 v8, 0, 1, s3
	v_dual_lshlrev_b32 v9, 30, v3 :: v_dual_lshlrev_b32 v45, 29, v3
	v_lshlrev_b32_e32 v46, 28, v3
	s_delay_alu instid0(VALU_DEP_3) | instskip(NEXT) | instid1(VALU_DEP_3)
	v_cmp_ne_u32_e32 vcc_lo, 0, v8
	v_cmp_gt_i32_e64 s3, 0, v9
	v_not_b32_e32 v8, v9
	v_cmp_gt_i32_e64 s4, 0, v45
	v_not_b32_e32 v9, v45
	v_not_b32_e32 v45, v46
	s_delay_alu instid0(VALU_DEP_2) | instskip(NEXT) | instid1(VALU_DEP_2)
	v_dual_ashrrev_i32 v8, 31, v8 :: v_dual_ashrrev_i32 v9, 31, v9
	v_dual_ashrrev_i32 v45, 31, v45 :: v_dual_lshlrev_b32 v47, 27, v3
	v_dual_lshlrev_b32 v48, 26, v3 :: v_dual_lshlrev_b32 v49, 25, v3
	s_delay_alu instid0(VALU_DEP_3) | instskip(SKIP_1) | instid1(VALU_DEP_4)
	v_dual_lshlrev_b32 v50, 24, v3 :: v_dual_bitop2_b32 v8, s3, v8 bitop3:0x14
	v_cmp_gt_i32_e64 s5, 0, v46
	v_cmp_gt_i32_e64 s6, 0, v47
	v_not_b32_e32 v46, v47
	v_cmp_gt_i32_e64 s7, 0, v48
	v_not_b32_e32 v47, v48
	v_not_b32_e32 v48, v49
	v_xor_b32_e32 v7, vcc_lo, v7
	v_cmp_gt_i32_e64 s8, 0, v49
	v_not_b32_e32 v49, v50
	v_dual_ashrrev_i32 v46, 31, v46 :: v_dual_ashrrev_i32 v47, 31, v47
	v_xor_b32_e32 v9, s4, v9
	v_xor_b32_e32 v45, s5, v45
	v_bitop3_b32 v7, v7, v8, exec_lo bitop3:0x80
	v_cmp_gt_i32_e64 s9, 0, v50
	v_dual_ashrrev_i32 v8, 31, v48 :: v_dual_ashrrev_i32 v49, 31, v49
	v_xor_b32_e32 v46, s6, v46
	v_xor_b32_e32 v47, s7, v47
	v_bitop3_b32 v7, v7, v45, v9 bitop3:0x80
	v_mad_u32_u24 v48, 0x44, v3, v2
	v_xor_b32_e32 v3, s8, v8
	v_xor_b32_e32 v8, s9, v49
	s_delay_alu instid0(VALU_DEP_4) | instskip(SKIP_2) | instid1(VALU_DEP_1)
	v_bitop3_b32 v7, v7, v47, v46 bitop3:0x80
	ds_load_b32 v46, v48 offset:64
	; wave barrier
	v_bitop3_b32 v3, v7, v8, v3 bitop3:0x80
	v_mbcnt_lo_u32_b32 v47, v3, 0
	v_cmp_ne_u32_e64 s3, 0, v3
	s_delay_alu instid0(VALU_DEP_2) | instskip(SKIP_1) | instid1(SALU_CYCLE_1)
	v_cmp_eq_u32_e32 vcc_lo, 0, v47
	s_and_b32 s4, s3, vcc_lo
	s_and_saveexec_b32 s3, s4
	s_cbranch_execz .LBB2250_47
; %bb.46:
	s_wait_dscnt 0x0
	v_bcnt_u32_b32 v3, v3, v46
	ds_store_b32 v48, v3 offset:64
.LBB2250_47:
	s_or_b32 exec_lo, exec_lo, s3
	v_cmp_lt_i16_e32 vcc_lo, -1, v6
	; wave barrier
	v_cndmask_b32_e64 v3, -1, 0xffff8000, vcc_lo
	s_delay_alu instid0(VALU_DEP_1) | instskip(NEXT) | instid1(VALU_DEP_1)
	v_xor_b32_e32 v45, v3, v6
	v_cmp_ne_u16_e32 vcc_lo, 0x7fff, v45
	v_cndmask_b32_e32 v3, 0xffff8000, v45, vcc_lo
	s_delay_alu instid0(VALU_DEP_1) | instskip(NEXT) | instid1(VALU_DEP_1)
	v_and_b32_e32 v3, 0xffff, v3
	v_lshrrev_b32_e32 v3, s20, v3
	s_delay_alu instid0(VALU_DEP_1) | instskip(SKIP_1) | instid1(VALU_DEP_2)
	v_bitop3_b32 v6, v3, 1, s29 bitop3:0x80
	v_and_b32_e32 v3, s29, v3
	v_add_co_u32 v6, s3, v6, -1
	s_delay_alu instid0(VALU_DEP_1) | instskip(NEXT) | instid1(VALU_DEP_3)
	v_cndmask_b32_e64 v7, 0, 1, s3
	v_dual_lshlrev_b32 v8, 30, v3 :: v_dual_lshlrev_b32 v9, 29, v3
	v_lshlrev_b32_e32 v49, 28, v3
	s_delay_alu instid0(VALU_DEP_3) | instskip(NEXT) | instid1(VALU_DEP_3)
	v_cmp_ne_u32_e32 vcc_lo, 0, v7
	v_cmp_gt_i32_e64 s3, 0, v8
	v_not_b32_e32 v7, v8
	v_cmp_gt_i32_e64 s4, 0, v9
	v_not_b32_e32 v8, v9
	v_not_b32_e32 v9, v49
	s_delay_alu instid0(VALU_DEP_2) | instskip(NEXT) | instid1(VALU_DEP_2)
	v_dual_ashrrev_i32 v8, 31, v8 :: v_dual_bitop2_b32 v6, vcc_lo, v6 bitop3:0x14
	v_dual_ashrrev_i32 v9, 31, v9 :: v_dual_lshlrev_b32 v50, 27, v3
	v_dual_lshlrev_b32 v51, 26, v3 :: v_dual_lshlrev_b32 v52, 25, v3
	v_cmp_gt_i32_e64 s5, 0, v49
	v_lshlrev_b32_e32 v53, 24, v3
	s_delay_alu instid0(VALU_DEP_4) | instskip(SKIP_4) | instid1(VALU_DEP_4)
	v_not_b32_e32 v49, v50
	v_ashrrev_i32_e32 v7, 31, v7
	v_cmp_gt_i32_e64 s6, 0, v50
	v_not_b32_e32 v50, v51
	v_cmp_gt_i32_e64 s7, 0, v51
	v_dual_ashrrev_i32 v49, 31, v49 :: v_dual_bitop2_b32 v7, s3, v7 bitop3:0x14
	v_cmp_gt_i32_e64 s8, 0, v52
	v_not_b32_e32 v51, v52
	v_not_b32_e32 v52, v53
	v_dual_ashrrev_i32 v50, 31, v50 :: v_dual_bitop2_b32 v8, s4, v8 bitop3:0x14
	v_xor_b32_e32 v9, s5, v9
	v_bitop3_b32 v6, v6, v7, exec_lo bitop3:0x80
	v_cmp_gt_i32_e64 s9, 0, v53
	v_dual_ashrrev_i32 v7, 31, v51 :: v_dual_ashrrev_i32 v51, 31, v52
	v_xor_b32_e32 v49, s6, v49
	v_xor_b32_e32 v50, s7, v50
	v_bitop3_b32 v6, v6, v9, v8 bitop3:0x80
	v_mad_u32_u24 v52, 0x44, v3, v2
	v_xor_b32_e32 v3, s8, v7
	v_xor_b32_e32 v7, s9, v51
	s_delay_alu instid0(VALU_DEP_4) | instskip(SKIP_2) | instid1(VALU_DEP_1)
	v_bitop3_b32 v6, v6, v50, v49 bitop3:0x80
	ds_load_b32 v49, v52 offset:64
	; wave barrier
	v_bitop3_b32 v3, v6, v7, v3 bitop3:0x80
	v_mbcnt_lo_u32_b32 v51, v3, 0
	v_cmp_ne_u32_e64 s3, 0, v3
	s_delay_alu instid0(VALU_DEP_2) | instskip(SKIP_1) | instid1(SALU_CYCLE_1)
	v_cmp_eq_u32_e32 vcc_lo, 0, v51
	s_and_b32 s4, s3, vcc_lo
	s_and_saveexec_b32 s3, s4
	s_cbranch_execz .LBB2250_49
; %bb.48:
	s_wait_dscnt 0x0
	v_bcnt_u32_b32 v3, v3, v49
	ds_store_b32 v52, v3 offset:64
.LBB2250_49:
	s_or_b32 exec_lo, exec_lo, s3
	v_cmp_lt_i16_e32 vcc_lo, -1, v5
	; wave barrier
	v_cndmask_b32_e64 v3, -1, 0xffff8000, vcc_lo
	s_delay_alu instid0(VALU_DEP_1) | instskip(NEXT) | instid1(VALU_DEP_1)
	v_xor_b32_e32 v50, v3, v5
	v_cmp_ne_u16_e32 vcc_lo, 0x7fff, v50
	v_cndmask_b32_e32 v3, 0xffff8000, v50, vcc_lo
	s_delay_alu instid0(VALU_DEP_1) | instskip(NEXT) | instid1(VALU_DEP_1)
	v_and_b32_e32 v3, 0xffff, v3
	v_lshrrev_b32_e32 v3, s20, v3
	s_delay_alu instid0(VALU_DEP_1) | instskip(SKIP_1) | instid1(VALU_DEP_2)
	v_bitop3_b32 v5, v3, 1, s29 bitop3:0x80
	v_and_b32_e32 v3, s29, v3
	v_add_co_u32 v5, s3, v5, -1
	s_delay_alu instid0(VALU_DEP_1) | instskip(NEXT) | instid1(VALU_DEP_3)
	v_cndmask_b32_e64 v6, 0, 1, s3
	v_lshlrev_b32_e32 v7, 30, v3
	s_delay_alu instid0(VALU_DEP_2) | instskip(NEXT) | instid1(VALU_DEP_2)
	v_cmp_ne_u32_e32 vcc_lo, 0, v6
	v_not_b32_e32 v6, v7
	s_delay_alu instid0(VALU_DEP_1) | instskip(SKIP_4) | instid1(VALU_DEP_4)
	v_dual_ashrrev_i32 v6, 31, v6 :: v_dual_bitop2_b32 v5, vcc_lo, v5 bitop3:0x14
	v_dual_lshlrev_b32 v8, 29, v3 :: v_dual_lshlrev_b32 v9, 28, v3
	v_dual_lshlrev_b32 v53, 27, v3 :: v_dual_lshlrev_b32 v54, 26, v3
	v_lshlrev_b32_e32 v55, 25, v3
	v_cmp_gt_i32_e64 s3, 0, v7
	v_cmp_gt_i32_e64 s4, 0, v8
	v_not_b32_e32 v7, v8
	v_not_b32_e32 v8, v9
	v_lshlrev_b32_e32 v56, 24, v3
	v_cmp_gt_i32_e64 s5, 0, v9
	v_cmp_gt_i32_e64 s6, 0, v53
	v_not_b32_e32 v9, v53
	v_not_b32_e32 v53, v54
	v_dual_ashrrev_i32 v7, 31, v7 :: v_dual_bitop2_b32 v6, s3, v6 bitop3:0x14
	v_ashrrev_i32_e32 v8, 31, v8
	v_cmp_gt_i32_e64 s7, 0, v54
	v_cmp_gt_i32_e64 s8, 0, v55
	v_not_b32_e32 v54, v55
	v_not_b32_e32 v55, v56
	v_dual_ashrrev_i32 v9, 31, v9 :: v_dual_bitop2_b32 v7, s4, v7 bitop3:0x14
	v_dual_ashrrev_i32 v53, 31, v53 :: v_dual_bitop2_b32 v8, s5, v8 bitop3:0x14
	v_bitop3_b32 v5, v5, v6, exec_lo bitop3:0x80
	v_cmp_gt_i32_e64 s9, 0, v56
	v_dual_ashrrev_i32 v6, 31, v54 :: v_dual_ashrrev_i32 v54, 31, v55
	v_xor_b32_e32 v9, s6, v9
	v_xor_b32_e32 v53, s7, v53
	v_bitop3_b32 v5, v5, v8, v7 bitop3:0x80
	v_mad_u32_u24 v57, 0x44, v3, v2
	v_xor_b32_e32 v3, s8, v6
	v_xor_b32_e32 v6, s9, v54
	s_delay_alu instid0(VALU_DEP_4) | instskip(SKIP_2) | instid1(VALU_DEP_1)
	v_bitop3_b32 v5, v5, v53, v9 bitop3:0x80
	ds_load_b32 v53, v57 offset:64
	; wave barrier
	v_bitop3_b32 v3, v5, v6, v3 bitop3:0x80
	v_mbcnt_lo_u32_b32 v54, v3, 0
	v_cmp_ne_u32_e64 s3, 0, v3
	s_delay_alu instid0(VALU_DEP_2) | instskip(SKIP_1) | instid1(SALU_CYCLE_1)
	v_cmp_eq_u32_e32 vcc_lo, 0, v54
	s_and_b32 s4, s3, vcc_lo
	s_and_saveexec_b32 s3, s4
	s_cbranch_execz .LBB2250_51
; %bb.50:
	s_wait_dscnt 0x0
	v_bcnt_u32_b32 v3, v3, v53
	ds_store_b32 v57, v3 offset:64
.LBB2250_51:
	s_or_b32 exec_lo, exec_lo, s3
	v_cmp_lt_i16_e32 vcc_lo, -1, v4
	; wave barrier
	v_cndmask_b32_e64 v3, -1, 0xffff8000, vcc_lo
	s_delay_alu instid0(VALU_DEP_1) | instskip(NEXT) | instid1(VALU_DEP_1)
	v_xor_b32_e32 v55, v3, v4
	v_cmp_ne_u16_e32 vcc_lo, 0x7fff, v55
	v_cndmask_b32_e32 v3, 0xffff8000, v55, vcc_lo
	s_delay_alu instid0(VALU_DEP_1) | instskip(NEXT) | instid1(VALU_DEP_1)
	v_and_b32_e32 v3, 0xffff, v3
	v_lshrrev_b32_e32 v3, s20, v3
	s_delay_alu instid0(VALU_DEP_1) | instskip(SKIP_1) | instid1(VALU_DEP_2)
	v_bitop3_b32 v4, v3, 1, s29 bitop3:0x80
	v_and_b32_e32 v3, s29, v3
	v_add_co_u32 v4, s3, v4, -1
	s_delay_alu instid0(VALU_DEP_1) | instskip(NEXT) | instid1(VALU_DEP_3)
	v_cndmask_b32_e64 v5, 0, 1, s3
	v_lshlrev_b32_e32 v6, 30, v3
	s_delay_alu instid0(VALU_DEP_2) | instskip(NEXT) | instid1(VALU_DEP_2)
	v_cmp_ne_u32_e32 vcc_lo, 0, v5
	v_not_b32_e32 v5, v6
	s_delay_alu instid0(VALU_DEP_1) | instskip(SKIP_4) | instid1(VALU_DEP_4)
	v_dual_ashrrev_i32 v5, 31, v5 :: v_dual_bitop2_b32 v4, vcc_lo, v4 bitop3:0x14
	v_dual_lshlrev_b32 v7, 29, v3 :: v_dual_lshlrev_b32 v8, 28, v3
	v_dual_lshlrev_b32 v9, 27, v3 :: v_dual_lshlrev_b32 v56, 26, v3
	v_lshlrev_b32_e32 v58, 25, v3
	v_cmp_gt_i32_e64 s3, 0, v6
	v_cmp_gt_i32_e64 s4, 0, v7
	v_not_b32_e32 v6, v7
	v_not_b32_e32 v7, v8
	v_lshlrev_b32_e32 v59, 24, v3
	v_cmp_gt_i32_e64 s5, 0, v8
	v_cmp_gt_i32_e64 s6, 0, v9
	v_not_b32_e32 v8, v9
	v_not_b32_e32 v9, v56
	v_dual_ashrrev_i32 v6, 31, v6 :: v_dual_ashrrev_i32 v7, 31, v7
	v_xor_b32_e32 v5, s3, v5
	v_cmp_gt_i32_e64 s7, 0, v56
	v_cmp_gt_i32_e64 s8, 0, v58
	v_not_b32_e32 v56, v58
	v_not_b32_e32 v58, v59
	v_dual_ashrrev_i32 v8, 31, v8 :: v_dual_ashrrev_i32 v9, 31, v9
	v_xor_b32_e32 v6, s4, v6
	v_xor_b32_e32 v7, s5, v7
	v_bitop3_b32 v4, v4, v5, exec_lo bitop3:0x80
	v_cmp_gt_i32_e64 s9, 0, v59
	v_dual_ashrrev_i32 v5, 31, v56 :: v_dual_ashrrev_i32 v56, 31, v58
	v_xor_b32_e32 v8, s6, v8
	v_xor_b32_e32 v9, s7, v9
	v_bitop3_b32 v4, v4, v7, v6 bitop3:0x80
	v_mad_u32_u24 v59, 0x44, v3, v2
	v_xor_b32_e32 v2, s8, v5
	v_xor_b32_e32 v3, s9, v56
	s_delay_alu instid0(VALU_DEP_4) | instskip(SKIP_2) | instid1(VALU_DEP_1)
	v_bitop3_b32 v4, v4, v9, v8 bitop3:0x80
	ds_load_b32 v56, v59 offset:64
	; wave barrier
	v_bitop3_b32 v2, v4, v3, v2 bitop3:0x80
	v_mbcnt_lo_u32_b32 v58, v2, 0
	v_cmp_ne_u32_e64 s3, 0, v2
	s_delay_alu instid0(VALU_DEP_2) | instskip(SKIP_1) | instid1(SALU_CYCLE_1)
	v_cmp_eq_u32_e32 vcc_lo, 0, v58
	s_and_b32 s4, s3, vcc_lo
	s_and_saveexec_b32 s3, s4
	s_cbranch_execz .LBB2250_53
; %bb.52:
	s_wait_dscnt 0x0
	v_bcnt_u32_b32 v2, v2, v56
	ds_store_b32 v59, v2 offset:64
.LBB2250_53:
	s_or_b32 exec_lo, exec_lo, s3
	; wave barrier
	s_wait_dscnt 0x0
	s_barrier_signal -1
	s_barrier_wait -1
	ds_load_2addr_b32 v[8:9], v12 offset0:16 offset1:17
	ds_load_2addr_b32 v[6:7], v12 offset0:18 offset1:19
	;; [unrolled: 1-line block ×4, first 2 shown]
	ds_load_b32 v60, v12 offset:96
	s_mov_b32 s7, exec_lo
	s_wait_dscnt 0x3
	v_add3_u32 v61, v9, v8, v6
	s_wait_dscnt 0x2
	s_delay_alu instid0(VALU_DEP_1) | instskip(SKIP_1) | instid1(VALU_DEP_1)
	v_add3_u32 v61, v61, v7, v4
	s_wait_dscnt 0x1
	v_add3_u32 v61, v61, v5, v2
	s_wait_dscnt 0x0
	s_delay_alu instid0(VALU_DEP_1) | instskip(SKIP_1) | instid1(VALU_DEP_2)
	v_add3_u32 v60, v61, v3, v60
	v_and_b32_e32 v61, 15, v15
	v_mov_b32_dpp v62, v60 row_shr:1 row_mask:0xf bank_mask:0xf
	s_delay_alu instid0(VALU_DEP_2) | instskip(NEXT) | instid1(VALU_DEP_2)
	v_cmp_eq_u32_e32 vcc_lo, 0, v61
	v_cndmask_b32_e64 v62, v62, 0, vcc_lo
	s_delay_alu instid0(VALU_DEP_1) | instskip(SKIP_3) | instid1(VALU_DEP_4)
	v_add_nc_u32_e32 v60, v62, v60
	v_cmp_lt_u32_e64 s3, 1, v61
	v_cmp_lt_u32_e64 s4, 3, v61
	;; [unrolled: 1-line block ×3, first 2 shown]
	v_mov_b32_dpp v62, v60 row_shr:2 row_mask:0xf bank_mask:0xf
	s_delay_alu instid0(VALU_DEP_1) | instskip(NEXT) | instid1(VALU_DEP_1)
	v_cndmask_b32_e64 v62, 0, v62, s3
	v_add_nc_u32_e32 v60, v60, v62
	s_delay_alu instid0(VALU_DEP_1) | instskip(NEXT) | instid1(VALU_DEP_1)
	v_mov_b32_dpp v62, v60 row_shr:4 row_mask:0xf bank_mask:0xf
	v_cndmask_b32_e64 v62, 0, v62, s4
	s_delay_alu instid0(VALU_DEP_1) | instskip(NEXT) | instid1(VALU_DEP_1)
	v_add_nc_u32_e32 v60, v60, v62
	v_mov_b32_dpp v62, v60 row_shr:8 row_mask:0xf bank_mask:0xf
	s_delay_alu instid0(VALU_DEP_1) | instskip(SKIP_1) | instid1(VALU_DEP_2)
	v_cndmask_b32_e64 v61, 0, v62, s5
	v_bfe_i32 v62, v15, 4, 1
	v_add_nc_u32_e32 v60, v60, v61
	ds_swizzle_b32 v61, v60 offset:swizzle(BROADCAST,32,15)
	s_wait_dscnt 0x0
	v_and_b32_e32 v61, v62, v61
	v_min_u32_e32 v62, 0x1e0, v16
	s_delay_alu instid0(VALU_DEP_2) | instskip(NEXT) | instid1(VALU_DEP_2)
	v_dual_add_nc_u32 v60, v60, v61 :: v_dual_lshrrev_b32 v61, 5, v14
	v_or_b32_e32 v62, 31, v62
	s_delay_alu instid0(VALU_DEP_1)
	v_cmpx_eq_u32_e64 v14, v62
; %bb.54:
	s_delay_alu instid0(VALU_DEP_3)
	v_lshlrev_b32_e32 v62, 2, v61
	ds_store_b32 v62, v60
; %bb.55:
	s_or_b32 exec_lo, exec_lo, s7
	s_delay_alu instid0(SALU_CYCLE_1)
	s_mov_b32 s7, exec_lo
	s_wait_dscnt 0x0
	s_barrier_signal -1
	s_barrier_wait -1
	v_cmpx_gt_u32_e32 16, v14
	s_cbranch_execz .LBB2250_57
; %bb.56:
	v_lshlrev_b32_e32 v62, 2, v14
	ds_load_b32 v63, v62
	s_wait_dscnt 0x0
	v_mov_b32_dpp v64, v63 row_shr:1 row_mask:0xf bank_mask:0xf
	s_delay_alu instid0(VALU_DEP_1) | instskip(NEXT) | instid1(VALU_DEP_1)
	v_cndmask_b32_e64 v64, v64, 0, vcc_lo
	v_add_nc_u32_e32 v63, v64, v63
	s_delay_alu instid0(VALU_DEP_1) | instskip(NEXT) | instid1(VALU_DEP_1)
	v_mov_b32_dpp v64, v63 row_shr:2 row_mask:0xf bank_mask:0xf
	v_cndmask_b32_e64 v64, 0, v64, s3
	s_delay_alu instid0(VALU_DEP_1) | instskip(NEXT) | instid1(VALU_DEP_1)
	v_add_nc_u32_e32 v63, v63, v64
	v_mov_b32_dpp v64, v63 row_shr:4 row_mask:0xf bank_mask:0xf
	s_delay_alu instid0(VALU_DEP_1) | instskip(NEXT) | instid1(VALU_DEP_1)
	v_cndmask_b32_e64 v64, 0, v64, s4
	v_add_nc_u32_e32 v63, v63, v64
	s_delay_alu instid0(VALU_DEP_1) | instskip(NEXT) | instid1(VALU_DEP_1)
	v_mov_b32_dpp v64, v63 row_shr:8 row_mask:0xf bank_mask:0xf
	v_cndmask_b32_e64 v64, 0, v64, s5
	s_delay_alu instid0(VALU_DEP_1)
	v_add_nc_u32_e32 v63, v63, v64
	ds_store_b32 v62, v63
.LBB2250_57:
	s_or_b32 exec_lo, exec_lo, s7
	v_mov_b32_e32 v62, 0
	s_mov_b32 s3, exec_lo
	s_wait_dscnt 0x0
	s_barrier_signal -1
	s_barrier_wait -1
	v_cmpx_lt_u32_e32 31, v14
; %bb.58:
	v_lshl_add_u32 v61, v61, 2, -4
	ds_load_b32 v62, v61
; %bb.59:
	s_or_b32 exec_lo, exec_lo, s3
	v_sub_co_u32 v61, vcc_lo, v15, 1
	s_wait_dscnt 0x0
	v_add_nc_u32_e32 v60, v62, v60
	s_delay_alu instid0(VALU_DEP_2) | instskip(NEXT) | instid1(VALU_DEP_1)
	v_cmp_gt_i32_e64 s3, 0, v61
	v_cndmask_b32_e64 v61, v61, v15, s3
	v_cmp_gt_u32_e64 s3, 0x100, v14
	s_delay_alu instid0(VALU_DEP_2) | instskip(SKIP_4) | instid1(VALU_DEP_2)
	v_lshlrev_b32_e32 v61, 2, v61
	ds_bpermute_b32 v60, v61, v60
	s_wait_dscnt 0x0
	v_cndmask_b32_e32 v60, v60, v62, vcc_lo
	v_cmp_lt_u32_e32 vcc_lo, 0xff, v14
	v_cndmask_b32_e64 v60, v60, 0, s2
	s_delay_alu instid0(VALU_DEP_1) | instskip(NEXT) | instid1(VALU_DEP_1)
	v_add_nc_u32_e32 v8, v60, v8
	v_add_nc_u32_e32 v9, v8, v9
	s_delay_alu instid0(VALU_DEP_1) | instskip(NEXT) | instid1(VALU_DEP_1)
	v_add_nc_u32_e32 v6, v9, v6
	v_add_nc_u32_e32 v7, v6, v7
	s_delay_alu instid0(VALU_DEP_1) | instskip(NEXT) | instid1(VALU_DEP_1)
	v_add_nc_u32_e32 v4, v7, v4
	v_add_nc_u32_e32 v5, v4, v5
	s_delay_alu instid0(VALU_DEP_1) | instskip(NEXT) | instid1(VALU_DEP_1)
	v_add_nc_u32_e32 v2, v5, v2
	v_add_nc_u32_e32 v3, v2, v3
	ds_store_2addr_b32 v12, v60, v8 offset0:16 offset1:17
	ds_store_2addr_b32 v12, v9, v6 offset0:18 offset1:19
	;; [unrolled: 1-line block ×4, first 2 shown]
	ds_store_b32 v12, v3 offset:96
	s_wait_dscnt 0x0
	s_barrier_signal -1
	s_barrier_wait -1
	ds_load_b32 v61, v13 offset:64
	ds_load_b32 v62, v20 offset:64
	;; [unrolled: 1-line block ×12, first 2 shown]
	v_mov_b64_e32 v[2:3], 0
                                        ; implicit-def: $vgpr4
	s_and_saveexec_b32 s5, s3
	s_cbranch_execz .LBB2250_63
; %bb.60:
	v_mul_u32_u24_e32 v2, 0x44, v14
	v_dual_mov_b32 v3, 0x1800 :: v_dual_add_nc_u32 v4, 1, v14
	s_mov_b32 s6, exec_lo
	ds_load_b32 v2, v2 offset:64
	v_cmpx_ne_u32_e32 0x100, v4
; %bb.61:
	v_mul_u32_u24_e32 v3, 0x44, v4
	ds_load_b32 v3, v3 offset:64
; %bb.62:
	s_or_b32 exec_lo, exec_lo, s6
	s_wait_dscnt 0x0
	v_dual_mov_b32 v3, 0 :: v_dual_sub_nc_u32 v4, v3, v2
.LBB2250_63:
	s_or_b32 exec_lo, exec_lo, s5
	v_dual_lshlrev_b32 v10, 1, v10 :: v_dual_lshlrev_b32 v19, 1, v19
	s_wait_dscnt 0xa
	v_lshlrev_b32_e32 v28, 1, v62
	v_dual_lshlrev_b32 v18, 1, v18 :: v_dual_lshlrev_b32 v23, 1, v23
	s_delay_alu instid0(VALU_DEP_3) | instskip(SKIP_2) | instid1(VALU_DEP_3)
	v_lshl_add_u32 v10, v61, 1, v10
	v_lshlrev_b32_e32 v22, 1, v22
	s_wait_dscnt 0x0
	v_add3_u32 v18, v28, v19, v18
	v_lshlrev_b32_e32 v19, 1, v60
	s_barrier_signal -1
	s_barrier_wait -1
	ds_store_b16 v10, v1 offset:2048
	ds_store_b16 v18, v11 offset:2048
	v_lshlrev_b32_e32 v10, 1, v24
	v_add3_u32 v1, v19, v23, v22
	v_dual_lshlrev_b32 v11, 1, v27 :: v_dual_lshlrev_b32 v18, 1, v26
	v_dual_lshlrev_b32 v22, 1, v29 :: v_dual_lshlrev_b32 v23, 1, v34
	;; [unrolled: 1-line block ×6, first 2 shown]
	ds_store_b16 v1, v17 offset:2048
	v_add3_u32 v1, v10, v11, v18
	v_add3_u32 v11, v13, v23, v24
	v_dual_lshlrev_b32 v13, 1, v43 :: v_dual_lshlrev_b32 v17, 1, v42
	v_add3_u32 v10, v19, v20, v22
	v_add3_u32 v12, v12, v26, v27
	ds_store_b16 v1, v21 offset:2048
	ds_store_b16 v10, v25 offset:2048
	;; [unrolled: 1-line block ×4, first 2 shown]
	v_add3_u32 v1, v9, v13, v17
	v_dual_lshlrev_b32 v8, 1, v8 :: v_dual_lshlrev_b32 v9, 1, v47
	v_dual_lshlrev_b32 v10, 1, v46 :: v_dual_lshlrev_b32 v7, 1, v7
	;; [unrolled: 1-line block ×6, first 2 shown]
	ds_store_b16 v1, v37 offset:2048
	v_add3_u32 v8, v8, v9, v10
	v_add3_u32 v9, v7, v11, v12
	v_dual_mov_b32 v7, 0 :: v_dual_lshlrev_b32 v1, 3, v14
	v_add3_u32 v6, v6, v13, v17
	v_add3_u32 v5, v5, v18, v19
	ds_store_b16 v8, v41 offset:2048
	ds_store_b16 v9, v45 offset:2048
	;; [unrolled: 1-line block ×4, first 2 shown]
	s_and_saveexec_b32 s4, s3
	s_cbranch_execz .LBB2250_73
; %bb.64:
	v_lshl_add_u32 v6, s23, 8, v14
	v_dual_mov_b32 v10, 0 :: v_dual_bitop2_b32 v5, 2.0, v4 bitop3:0x54
	s_mov_b32 s5, 0
	s_mov_b32 s6, s23
	s_delay_alu instid0(VALU_DEP_2)
	v_lshl_add_u64 v[8:9], v[6:7], 2, s[10:11]
	global_store_b32 v6, v5, s[10:11] scale_offset scope:SCOPE_DEV
                                        ; implicit-def: $sgpr3
	s_branch .LBB2250_67
.LBB2250_65:                            ;   in Loop: Header=BB2250_67 Depth=1
	s_or_b32 exec_lo, exec_lo, s8
.LBB2250_66:                            ;   in Loop: Header=BB2250_67 Depth=1
	s_delay_alu instid0(SALU_CYCLE_1) | instskip(SKIP_2) | instid1(VALU_DEP_2)
	s_or_b32 exec_lo, exec_lo, s7
	v_and_b32_e32 v6, 0x3fffffff, v5
	v_cmp_gt_i32_e64 s3, -2.0, v5
	v_add_nc_u32_e32 v10, v6, v10
	s_and_b32 s7, exec_lo, s3
	s_delay_alu instid0(SALU_CYCLE_1) | instskip(NEXT) | instid1(SALU_CYCLE_1)
	s_or_b32 s5, s7, s5
	s_and_not1_b32 exec_lo, exec_lo, s5
	s_cbranch_execz .LBB2250_72
.LBB2250_67:                            ; =>This Loop Header: Depth=1
                                        ;     Child Loop BB2250_70 Depth 2
	s_or_b32 s3, s3, exec_lo
	s_cmp_eq_u32 s6, 0
	s_cbranch_scc1 .LBB2250_71
; %bb.68:                               ;   in Loop: Header=BB2250_67 Depth=1
	s_add_co_i32 s6, s6, -1
	s_mov_b32 s7, exec_lo
	s_wait_xcnt 0x0
	v_lshl_or_b32 v6, s6, 8, v14
	global_load_b32 v5, v6, s[10:11] scale_offset scope:SCOPE_DEV
	s_wait_loadcnt 0x0
	v_cmpx_gt_u32_e32 2.0, v5
	s_cbranch_execz .LBB2250_66
; %bb.69:                               ;   in Loop: Header=BB2250_67 Depth=1
	v_lshl_add_u64 v[12:13], v[6:7], 2, s[10:11]
	s_mov_b32 s8, 0
.LBB2250_70:                            ;   Parent Loop BB2250_67 Depth=1
                                        ; =>  This Inner Loop Header: Depth=2
	global_load_b32 v5, v[12:13], off scope:SCOPE_DEV
	s_wait_loadcnt 0x0
	v_cmp_lt_u32_e64 s3, 0x3fffffff, v5
	s_or_b32 s8, s3, s8
	s_wait_xcnt 0x0
	s_and_not1_b32 exec_lo, exec_lo, s8
	s_cbranch_execnz .LBB2250_70
	s_branch .LBB2250_65
.LBB2250_71:                            ;   in Loop: Header=BB2250_67 Depth=1
                                        ; implicit-def: $sgpr6
	s_and_b32 s7, exec_lo, s3
	s_delay_alu instid0(SALU_CYCLE_1)
	s_or_b32 s5, s7, s5
	s_wait_xcnt 0x0
	s_and_not1_b32 exec_lo, exec_lo, s5
	s_cbranch_execnz .LBB2250_67
.LBB2250_72:
	s_or_b32 exec_lo, exec_lo, s5
	v_dual_add_nc_u32 v5, v10, v4 :: v_dual_mov_b32 v11, 0
	s_delay_alu instid0(VALU_DEP_1)
	v_or_b32_e32 v5, 0x80000000, v5
	global_store_b32 v[8:9], v5, off scope:SCOPE_DEV
	global_load_b64 v[6:7], v14, s[12:13] scale_offset
	s_wait_xcnt 0x1
	v_sub_nc_u64_e32 v[8:9], v[10:11], v[2:3]
	s_wait_loadcnt 0x0
	s_delay_alu instid0(VALU_DEP_1)
	v_add_nc_u64_e32 v[6:7], v[8:9], v[6:7]
	ds_store_b64 v1, v[6:7]
.LBB2250_73:
	s_wait_xcnt 0x0
	s_or_b32 exec_lo, exec_lo, s4
	v_mad_i32_i24 v5, v14, -6, v1
	s_mov_b32 s4, exec_lo
	s_wait_storecnt_dscnt 0x0
	s_barrier_signal -1
	s_barrier_wait -1
	v_cmpx_gt_u32_e64 s22, v14
	s_cbranch_execz .LBB2250_75
; %bb.74:
	ds_load_u16 v10, v5 offset:2048
	v_dual_mov_b32 v9, 0 :: v_dual_lshlrev_b32 v8, 1, v14
	s_wait_dscnt 0x0
	v_cmp_ne_u16_e64 s3, 0x7fff, v10
	s_delay_alu instid0(VALU_DEP_1) | instskip(SKIP_1) | instid1(VALU_DEP_2)
	v_cndmask_b32_e64 v6, 0xffff8000, v10, s3
	v_cmp_lt_i16_e64 s3, -1, v10
	v_and_b32_e32 v6, 0xffff, v6
	s_delay_alu instid0(VALU_DEP_2) | instskip(NEXT) | instid1(VALU_DEP_2)
	v_cndmask_b32_e64 v11, 0xffff8000, -1, s3
	v_lshrrev_b32_e32 v6, s20, v6
	s_delay_alu instid0(VALU_DEP_1) | instskip(NEXT) | instid1(VALU_DEP_1)
	v_and_b32_e32 v6, s29, v6
	v_lshlrev_b32_e32 v6, 3, v6
	ds_load_b64 v[6:7], v6
	s_wait_dscnt 0x0
	v_lshl_add_u64 v[6:7], v[6:7], 1, s[18:19]
	s_delay_alu instid0(VALU_DEP_1)
	v_add_nc_u64_e32 v[6:7], v[6:7], v[8:9]
	v_xor_b32_e32 v8, v11, v10
	global_store_b16 v[6:7], v8, off
.LBB2250_75:
	s_wait_xcnt 0x0
	s_or_b32 exec_lo, exec_lo, s4
	v_add_nc_u32_e32 v6, 0x200, v14
	s_mov_b32 s4, exec_lo
	s_delay_alu instid0(VALU_DEP_1)
	v_cmpx_gt_u32_e64 s22, v6
	s_cbranch_execz .LBB2250_77
; %bb.76:
	ds_load_u16 v10, v5 offset:3072
	v_dual_mov_b32 v9, 0 :: v_dual_lshlrev_b32 v8, 1, v14
	s_wait_dscnt 0x0
	v_cmp_ne_u16_e64 s3, 0x7fff, v10
	s_delay_alu instid0(VALU_DEP_1) | instskip(SKIP_1) | instid1(VALU_DEP_2)
	v_cndmask_b32_e64 v6, 0xffff8000, v10, s3
	v_cmp_lt_i16_e64 s3, -1, v10
	v_and_b32_e32 v6, 0xffff, v6
	s_delay_alu instid0(VALU_DEP_2) | instskip(NEXT) | instid1(VALU_DEP_2)
	v_cndmask_b32_e64 v11, 0xffff8000, -1, s3
	v_lshrrev_b32_e32 v6, s20, v6
	s_delay_alu instid0(VALU_DEP_1) | instskip(NEXT) | instid1(VALU_DEP_1)
	v_and_b32_e32 v6, s29, v6
	v_lshlrev_b32_e32 v6, 3, v6
	ds_load_b64 v[6:7], v6
	s_wait_dscnt 0x0
	v_lshl_add_u64 v[6:7], v[6:7], 1, s[18:19]
	s_delay_alu instid0(VALU_DEP_1)
	v_add_nc_u64_e32 v[6:7], v[6:7], v[8:9]
	v_xor_b32_e32 v8, v11, v10
	global_store_b16 v[6:7], v8, off offset:1024
.LBB2250_77:
	s_wait_xcnt 0x0
	s_or_b32 exec_lo, exec_lo, s4
	v_or_b32_e32 v6, 0x400, v14
	s_mov_b32 s4, exec_lo
	s_delay_alu instid0(VALU_DEP_1)
	v_cmpx_gt_u32_e64 s22, v6
	s_cbranch_execz .LBB2250_79
; %bb.78:
	ds_load_u16 v10, v5 offset:4096
	v_dual_mov_b32 v9, 0 :: v_dual_lshlrev_b32 v8, 1, v14
	s_wait_dscnt 0x0
	v_cmp_ne_u16_e64 s3, 0x7fff, v10
	s_delay_alu instid0(VALU_DEP_1) | instskip(SKIP_1) | instid1(VALU_DEP_2)
	v_cndmask_b32_e64 v6, 0xffff8000, v10, s3
	v_cmp_lt_i16_e64 s3, -1, v10
	v_and_b32_e32 v6, 0xffff, v6
	s_delay_alu instid0(VALU_DEP_2) | instskip(NEXT) | instid1(VALU_DEP_2)
	v_cndmask_b32_e64 v11, 0xffff8000, -1, s3
	v_lshrrev_b32_e32 v6, s20, v6
	s_delay_alu instid0(VALU_DEP_1) | instskip(NEXT) | instid1(VALU_DEP_1)
	v_and_b32_e32 v6, s29, v6
	v_lshlrev_b32_e32 v6, 3, v6
	ds_load_b64 v[6:7], v6
	s_wait_dscnt 0x0
	v_lshl_add_u64 v[6:7], v[6:7], 1, s[18:19]
	s_delay_alu instid0(VALU_DEP_1)
	v_add_nc_u64_e32 v[6:7], v[6:7], v[8:9]
	v_xor_b32_e32 v8, v11, v10
	global_store_b16 v[6:7], v8, off offset:2048
.LBB2250_79:
	s_wait_xcnt 0x0
	s_or_b32 exec_lo, exec_lo, s4
	v_add_nc_u32_e32 v6, 0x600, v14
	s_mov_b32 s4, exec_lo
	s_delay_alu instid0(VALU_DEP_1)
	v_cmpx_gt_u32_e64 s22, v6
	s_cbranch_execz .LBB2250_81
; %bb.80:
	ds_load_u16 v10, v5 offset:5120
	v_dual_mov_b32 v9, 0 :: v_dual_lshlrev_b32 v8, 1, v14
	s_wait_dscnt 0x0
	v_cmp_ne_u16_e64 s3, 0x7fff, v10
	s_delay_alu instid0(VALU_DEP_1) | instskip(SKIP_1) | instid1(VALU_DEP_2)
	v_cndmask_b32_e64 v6, 0xffff8000, v10, s3
	v_cmp_lt_i16_e64 s3, -1, v10
	v_and_b32_e32 v6, 0xffff, v6
	s_delay_alu instid0(VALU_DEP_2) | instskip(NEXT) | instid1(VALU_DEP_2)
	v_cndmask_b32_e64 v11, 0xffff8000, -1, s3
	v_lshrrev_b32_e32 v6, s20, v6
	s_delay_alu instid0(VALU_DEP_1) | instskip(NEXT) | instid1(VALU_DEP_1)
	v_and_b32_e32 v6, s29, v6
	v_lshlrev_b32_e32 v6, 3, v6
	ds_load_b64 v[6:7], v6
	s_wait_dscnt 0x0
	v_lshl_add_u64 v[6:7], v[6:7], 1, s[18:19]
	s_delay_alu instid0(VALU_DEP_1)
	v_add_nc_u64_e32 v[6:7], v[6:7], v[8:9]
	v_xor_b32_e32 v8, v11, v10
	global_store_b16 v[6:7], v8, off offset:3072
.LBB2250_81:
	s_wait_xcnt 0x0
	s_or_b32 exec_lo, exec_lo, s4
	v_or_b32_e32 v6, 0x800, v14
	s_mov_b32 s4, exec_lo
	s_delay_alu instid0(VALU_DEP_1)
	v_cmpx_gt_u32_e64 s22, v6
	s_cbranch_execz .LBB2250_83
; %bb.82:
	ds_load_u16 v10, v5 offset:6144
	v_dual_mov_b32 v9, 0 :: v_dual_lshlrev_b32 v8, 1, v14
	s_wait_dscnt 0x0
	v_cmp_ne_u16_e64 s3, 0x7fff, v10
	s_delay_alu instid0(VALU_DEP_1) | instskip(SKIP_1) | instid1(VALU_DEP_2)
	v_cndmask_b32_e64 v6, 0xffff8000, v10, s3
	v_cmp_lt_i16_e64 s3, -1, v10
	v_and_b32_e32 v6, 0xffff, v6
	s_delay_alu instid0(VALU_DEP_2) | instskip(NEXT) | instid1(VALU_DEP_2)
	v_cndmask_b32_e64 v11, 0xffff8000, -1, s3
	v_lshrrev_b32_e32 v6, s20, v6
	s_delay_alu instid0(VALU_DEP_1) | instskip(NEXT) | instid1(VALU_DEP_1)
	v_and_b32_e32 v6, s29, v6
	v_lshlrev_b32_e32 v6, 3, v6
	ds_load_b64 v[6:7], v6
	s_wait_dscnt 0x0
	v_lshl_add_u64 v[6:7], v[6:7], 1, s[18:19]
	s_delay_alu instid0(VALU_DEP_1)
	v_add_nc_u64_e32 v[6:7], v[6:7], v[8:9]
	v_xor_b32_e32 v8, v11, v10
	global_store_b16 v[6:7], v8, off offset:4096
.LBB2250_83:
	;; [unrolled: 60-line block ×3, first 2 shown]
	s_wait_xcnt 0x0
	s_or_b32 exec_lo, exec_lo, s4
	v_add_nc_u32_e32 v6, 0xe00, v14
	s_mov_b32 s4, exec_lo
	s_delay_alu instid0(VALU_DEP_1)
	v_cmpx_gt_u32_e64 s22, v6
	s_cbranch_execz .LBB2250_89
; %bb.88:
	ds_load_u16 v5, v5 offset:9216
	v_dual_mov_b32 v9, 0 :: v_dual_lshlrev_b32 v8, 1, v14
	s_wait_dscnt 0x0
	v_cmp_ne_u16_e64 s3, 0x7fff, v5
	s_delay_alu instid0(VALU_DEP_1) | instskip(SKIP_1) | instid1(VALU_DEP_2)
	v_cndmask_b32_e64 v6, 0xffff8000, v5, s3
	v_cmp_lt_i16_e64 s3, -1, v5
	v_and_b32_e32 v6, 0xffff, v6
	s_delay_alu instid0(VALU_DEP_2) | instskip(NEXT) | instid1(VALU_DEP_1)
	v_cndmask_b32_e64 v10, 0xffff8000, -1, s3
	v_dual_lshrrev_b32 v6, s20, v6 :: v_dual_bitop2_b32 v5, v10, v5 bitop3:0x14
	s_delay_alu instid0(VALU_DEP_1) | instskip(NEXT) | instid1(VALU_DEP_1)
	v_and_b32_e32 v6, s29, v6
	v_lshlrev_b32_e32 v6, 3, v6
	ds_load_b64 v[6:7], v6
	s_wait_dscnt 0x0
	v_lshl_add_u64 v[6:7], v[6:7], 1, s[18:19]
	s_delay_alu instid0(VALU_DEP_1)
	v_add_nc_u64_e32 v[6:7], v[6:7], v[8:9]
	global_store_b16 v[6:7], v5, off offset:7168
.LBB2250_89:
	s_wait_xcnt 0x0
	s_or_b32 exec_lo, exec_lo, s4
	v_or_b32_e32 v5, 0x1000, v14
	s_mov_b32 s4, exec_lo
	s_delay_alu instid0(VALU_DEP_1)
	v_cmpx_gt_u32_e64 s22, v5
	s_cbranch_execz .LBB2250_91
; %bb.90:
	v_lshlrev_b32_e32 v6, 1, v14
	ds_load_u16 v5, v6 offset:10240
	s_wait_dscnt 0x0
	v_cmp_ne_u16_e64 s3, 0x7fff, v5
	s_delay_alu instid0(VALU_DEP_1) | instskip(SKIP_1) | instid1(VALU_DEP_2)
	v_cndmask_b32_e64 v7, 0xffff8000, v5, s3
	v_cmp_lt_i16_e64 s3, -1, v5
	v_and_b32_e32 v7, 0xffff, v7
	s_delay_alu instid0(VALU_DEP_2) | instskip(NEXT) | instid1(VALU_DEP_1)
	v_cndmask_b32_e64 v10, 0xffff8000, -1, s3
	v_dual_lshrrev_b32 v7, s20, v7 :: v_dual_bitop2_b32 v5, v10, v5 bitop3:0x14
	s_delay_alu instid0(VALU_DEP_1) | instskip(NEXT) | instid1(VALU_DEP_1)
	v_and_b32_e32 v7, s29, v7
	v_lshlrev_b32_e32 v7, 3, v7
	ds_load_b64 v[8:9], v7
	v_mov_b32_e32 v7, 0
	s_wait_dscnt 0x0
	v_lshl_add_u64 v[8:9], v[8:9], 1, s[18:19]
	s_delay_alu instid0(VALU_DEP_1)
	v_add_nc_u64_e32 v[6:7], v[8:9], v[6:7]
	global_store_b16 v[6:7], v5, off offset:8192
.LBB2250_91:
	s_wait_xcnt 0x0
	s_or_b32 exec_lo, exec_lo, s4
	v_add_nc_u32_e32 v5, 0x1200, v14
	s_mov_b32 s4, exec_lo
	s_delay_alu instid0(VALU_DEP_1)
	v_cmpx_gt_u32_e64 s22, v5
	s_cbranch_execz .LBB2250_93
; %bb.92:
	v_lshlrev_b32_e32 v6, 1, v14
	ds_load_u16 v5, v6 offset:11264
	s_wait_dscnt 0x0
	v_cmp_ne_u16_e64 s3, 0x7fff, v5
	s_delay_alu instid0(VALU_DEP_1) | instskip(SKIP_1) | instid1(VALU_DEP_2)
	v_cndmask_b32_e64 v7, 0xffff8000, v5, s3
	v_cmp_lt_i16_e64 s3, -1, v5
	v_and_b32_e32 v7, 0xffff, v7
	s_delay_alu instid0(VALU_DEP_2) | instskip(NEXT) | instid1(VALU_DEP_1)
	v_cndmask_b32_e64 v10, 0xffff8000, -1, s3
	v_dual_lshrrev_b32 v7, s20, v7 :: v_dual_bitop2_b32 v5, v10, v5 bitop3:0x14
	s_delay_alu instid0(VALU_DEP_1) | instskip(NEXT) | instid1(VALU_DEP_1)
	v_and_b32_e32 v7, s29, v7
	v_lshlrev_b32_e32 v7, 3, v7
	ds_load_b64 v[8:9], v7
	v_mov_b32_e32 v7, 0
	s_wait_dscnt 0x0
	v_lshl_add_u64 v[8:9], v[8:9], 1, s[18:19]
	s_delay_alu instid0(VALU_DEP_1)
	v_add_nc_u64_e32 v[6:7], v[8:9], v[6:7]
	global_store_b16 v[6:7], v5, off offset:9216
.LBB2250_93:
	s_wait_xcnt 0x0
	s_or_b32 exec_lo, exec_lo, s4
	v_or_b32_e32 v5, 0x1400, v14
	s_mov_b32 s4, exec_lo
	s_delay_alu instid0(VALU_DEP_1)
	v_cmpx_gt_u32_e64 s22, v5
	s_cbranch_execz .LBB2250_95
; %bb.94:
	v_lshlrev_b32_e32 v6, 1, v14
	ds_load_u16 v5, v6 offset:12288
	s_wait_dscnt 0x0
	v_cmp_ne_u16_e64 s3, 0x7fff, v5
	s_delay_alu instid0(VALU_DEP_1) | instskip(SKIP_1) | instid1(VALU_DEP_2)
	v_cndmask_b32_e64 v7, 0xffff8000, v5, s3
	v_cmp_lt_i16_e64 s3, -1, v5
	v_and_b32_e32 v7, 0xffff, v7
	s_delay_alu instid0(VALU_DEP_2) | instskip(NEXT) | instid1(VALU_DEP_1)
	v_cndmask_b32_e64 v10, 0xffff8000, -1, s3
	v_dual_lshrrev_b32 v7, s20, v7 :: v_dual_bitop2_b32 v5, v10, v5 bitop3:0x14
	s_delay_alu instid0(VALU_DEP_1) | instskip(NEXT) | instid1(VALU_DEP_1)
	v_and_b32_e32 v7, s29, v7
	v_lshlrev_b32_e32 v7, 3, v7
	ds_load_b64 v[8:9], v7
	v_mov_b32_e32 v7, 0
	s_wait_dscnt 0x0
	v_lshl_add_u64 v[8:9], v[8:9], 1, s[18:19]
	s_delay_alu instid0(VALU_DEP_1)
	v_add_nc_u64_e32 v[6:7], v[8:9], v[6:7]
	global_store_b16 v[6:7], v5, off offset:10240
.LBB2250_95:
	s_wait_xcnt 0x0
	s_or_b32 exec_lo, exec_lo, s4
	v_add_nc_u32_e32 v5, 0x1600, v14
	s_mov_b32 s4, exec_lo
	s_delay_alu instid0(VALU_DEP_1)
	v_cmpx_gt_u32_e64 s22, v5
	s_cbranch_execz .LBB2250_97
; %bb.96:
	v_lshlrev_b32_e32 v6, 1, v14
	ds_load_u16 v5, v6 offset:13312
	s_wait_dscnt 0x0
	v_cmp_ne_u16_e64 s3, 0x7fff, v5
	s_delay_alu instid0(VALU_DEP_1) | instskip(SKIP_1) | instid1(VALU_DEP_2)
	v_cndmask_b32_e64 v7, 0xffff8000, v5, s3
	v_cmp_lt_i16_e64 s3, -1, v5
	v_and_b32_e32 v7, 0xffff, v7
	s_delay_alu instid0(VALU_DEP_2) | instskip(NEXT) | instid1(VALU_DEP_1)
	v_cndmask_b32_e64 v10, 0xffff8000, -1, s3
	v_dual_lshrrev_b32 v7, s20, v7 :: v_dual_bitop2_b32 v5, v10, v5 bitop3:0x14
	s_delay_alu instid0(VALU_DEP_1) | instskip(NEXT) | instid1(VALU_DEP_1)
	v_and_b32_e32 v7, s29, v7
	v_lshlrev_b32_e32 v7, 3, v7
	ds_load_b64 v[8:9], v7
	v_mov_b32_e32 v7, 0
	s_wait_dscnt 0x0
	v_lshl_add_u64 v[8:9], v[8:9], 1, s[18:19]
	s_delay_alu instid0(VALU_DEP_1)
	v_add_nc_u64_e32 v[6:7], v[8:9], v[6:7]
	global_store_b16 v[6:7], v5, off offset:11264
.LBB2250_97:
	s_wait_xcnt 0x0
	s_or_b32 exec_lo, exec_lo, s4
	s_add_co_i32 s25, s25, -1
	s_delay_alu instid0(SALU_CYCLE_1) | instskip(SKIP_2) | instid1(SALU_CYCLE_1)
	s_cmp_eq_u32 s23, s25
	s_cselect_b32 s3, -1, 0
	s_xor_b32 s4, vcc_lo, -1
	s_and_b32 s4, s4, s3
	s_delay_alu instid0(SALU_CYCLE_1)
	s_and_saveexec_b32 s3, s4
	s_cbranch_execz .LBB2250_99
; %bb.98:
	ds_load_b64 v[6:7], v1
	v_mov_b32_e32 v5, 0
	s_delay_alu instid0(VALU_DEP_1) | instskip(SKIP_1) | instid1(VALU_DEP_1)
	v_add_nc_u64_e32 v[2:3], v[2:3], v[4:5]
	s_wait_dscnt 0x0
	v_add_nc_u64_e32 v[2:3], v[2:3], v[6:7]
	global_store_b64 v14, v[2:3], s[14:15] scale_offset
.LBB2250_99:
	s_wait_xcnt 0x0
	s_or_b32 exec_lo, exec_lo, s3
	s_mov_b32 s4, 0
.LBB2250_100:
	s_delay_alu instid0(SALU_CYCLE_1)
	s_and_b32 vcc_lo, exec_lo, s4
	s_cbranch_vccz .LBB2250_147
; %bb.101:
	s_mov_b32 s25, 0
	v_dual_mov_b32 v9, 0 :: v_dual_lshlrev_b32 v8, 1, v15
	s_lshl_b64 s[4:5], s[24:25], 1
	v_mul_u32_u24_e32 v1, 12, v16
	s_add_nc_u64 s[4:5], s[16:17], s[4:5]
	v_bfe_u32 v12, v0, 10, 10
	v_add_nc_u64_e32 v[2:3], s[4:5], v[8:9]
	v_bfe_u32 v0, v0, 20, 10
	v_lshlrev_b32_e32 v8, 1, v1
	s_delay_alu instid0(VALU_DEP_1)
	v_add_nc_u64_e32 v[18:19], v[2:3], v[8:9]
	s_clause 0xb
	global_load_u16 v8, v[18:19], off
	global_load_u16 v10, v[18:19], off offset:64
	global_load_u16 v13, v[18:19], off offset:128
	;; [unrolled: 1-line block ×11, first 2 shown]
	s_clause 0x1
	s_load_b32 s8, s[0:1], 0x58
	s_load_u16 s3, s[0:1], 0x66
	s_wait_xcnt 0x0
	s_bfe_u32 s0, ttmp6, 0x4000c
	s_and_b32 s1, ttmp6, 15
	s_add_co_i32 s0, s0, 1
	s_delay_alu instid0(SALU_CYCLE_1) | instskip(NEXT) | instid1(SALU_CYCLE_1)
	s_mul_i32 s0, ttmp9, s0
	s_add_co_i32 s1, s1, s0
	s_cmp_eq_u32 s28, 0
	s_cselect_b32 s0, ttmp9, s1
	s_wait_kmcnt 0x0
	s_cmp_lt_u32 s0, s8
	v_mad_u32_u24 v0, v0, s3, v12
	s_cselect_b32 s24, 12, 18
	s_lshl_b32 s9, -1, s21
	s_add_nc_u64 s[0:1], s[26:27], s[24:25]
	s_load_u16 s16, s[0:1], 0x0
	s_wait_kmcnt 0x0
	v_mad_u32 v0, v0, s16, v14
	s_delay_alu instid0(VALU_DEP_1) | instskip(NEXT) | instid1(VALU_DEP_1)
	v_lshrrev_b32_e32 v0, 5, v0
	v_lshlrev_b32_e32 v0, 2, v0
	s_wait_loadcnt 0xb
	v_cmp_lt_i16_e32 vcc_lo, -1, v8
	v_cndmask_b32_e64 v11, -1, 0xffff8000, vcc_lo
	s_delay_alu instid0(VALU_DEP_1) | instskip(NEXT) | instid1(VALU_DEP_1)
	v_xor_b32_e32 v8, v11, v8
	v_cmp_ne_u16_e32 vcc_lo, 0x7fff, v8
	v_cndmask_b32_e32 v11, 0xffff8000, v8, vcc_lo
	s_delay_alu instid0(VALU_DEP_1) | instskip(NEXT) | instid1(VALU_DEP_1)
	v_and_b32_e32 v11, 0xffff, v11
	v_lshrrev_b32_e32 v11, s20, v11
	s_delay_alu instid0(VALU_DEP_1) | instskip(SKIP_2) | instid1(VALU_DEP_2)
	v_bitop3_b32 v12, v11, 1, s9 bitop3:0x40
	v_bitop3_b32 v18, v11, s9, v11 bitop3:0x30
	s_not_b32 s9, s9
	v_add_co_u32 v11, s0, v12, -1
	s_delay_alu instid0(VALU_DEP_1) | instskip(NEXT) | instid1(VALU_DEP_3)
	v_cndmask_b32_e64 v12, 0, 1, s0
	v_dual_lshlrev_b32 v17, 30, v18 :: v_dual_lshlrev_b32 v19, 29, v18
	v_dual_lshlrev_b32 v21, 28, v18 :: v_dual_lshlrev_b32 v22, 27, v18
	s_delay_alu instid0(VALU_DEP_3) | instskip(NEXT) | instid1(VALU_DEP_3)
	v_cmp_ne_u32_e32 vcc_lo, 0, v12
	v_not_b32_e32 v12, v17
	v_dual_lshlrev_b32 v23, 26, v18 :: v_dual_lshlrev_b32 v25, 25, v18
	v_lshlrev_b32_e32 v26, 24, v18
	v_cmp_gt_i32_e64 s0, 0, v17
	v_cmp_gt_i32_e64 s1, 0, v19
	v_not_b32_e32 v17, v19
	v_not_b32_e32 v19, v21
	v_ashrrev_i32_e32 v12, 31, v12
	v_cmp_gt_i32_e64 s3, 0, v21
	v_cmp_gt_i32_e64 s4, 0, v22
	v_not_b32_e32 v21, v22
	v_not_b32_e32 v22, v23
	v_dual_ashrrev_i32 v17, 31, v17 :: v_dual_bitop2_b32 v11, vcc_lo, v11 bitop3:0x14
	v_dual_ashrrev_i32 v19, 31, v19 :: v_dual_bitop2_b32 v12, s0, v12 bitop3:0x14
	v_cmp_gt_i32_e64 s5, 0, v23
	v_cmp_gt_i32_e64 s6, 0, v25
	v_not_b32_e32 v23, v25
	v_not_b32_e32 v25, v26
	v_dual_ashrrev_i32 v21, 31, v21 :: v_dual_ashrrev_i32 v22, 31, v22
	v_xor_b32_e32 v17, s1, v17
	v_xor_b32_e32 v19, s3, v19
	v_bitop3_b32 v11, v11, v12, exec_lo bitop3:0x80
	v_cmp_gt_i32_e64 s7, 0, v26
	v_dual_ashrrev_i32 v12, 31, v23 :: v_dual_ashrrev_i32 v23, 31, v25
	v_xor_b32_e32 v21, s4, v21
	v_xor_b32_e32 v22, s5, v22
	v_bitop3_b32 v11, v11, v19, v17 bitop3:0x80
	s_delay_alu instid0(VALU_DEP_4) | instskip(SKIP_1) | instid1(VALU_DEP_3)
	v_xor_b32_e32 v12, s6, v12
	v_xor_b32_e32 v17, s7, v23
	v_bitop3_b32 v19, v11, v22, v21 bitop3:0x80
	v_mul_u32_u24_e32 v11, 36, v14
	ds_store_2addr_b32 v11, v9, v9 offset0:16 offset1:17
	ds_store_2addr_b32 v11, v9, v9 offset0:18 offset1:19
	;; [unrolled: 1-line block ×4, first 2 shown]
	v_bitop3_b32 v17, v19, v17, v12 bitop3:0x80
	ds_store_b32 v11, v9 offset:96
	v_mad_u32_u24 v12, 0x44, v18, v0
	s_wait_storecnt 0x0
	s_wait_loadcnt_dscnt 0x0
	s_barrier_signal -1
	v_mbcnt_lo_u32_b32 v9, v17, 0
	v_cmp_ne_u32_e64 s0, 0, v17
	s_barrier_wait -1
	s_delay_alu instid0(VALU_DEP_2) | instskip(SKIP_1) | instid1(SALU_CYCLE_1)
	v_cmp_eq_u32_e32 vcc_lo, 0, v9
	; wave barrier
	s_and_b32 s1, s0, vcc_lo
	s_and_saveexec_b32 s0, s1
; %bb.102:
	v_bcnt_u32_b32 v17, v17, 0
	ds_store_b32 v12, v17 offset:64
; %bb.103:
	s_or_b32 exec_lo, exec_lo, s0
	v_cmp_lt_i16_e32 vcc_lo, -1, v10
	; wave barrier
	v_cndmask_b32_e64 v17, -1, 0xffff8000, vcc_lo
	s_delay_alu instid0(VALU_DEP_1) | instskip(NEXT) | instid1(VALU_DEP_1)
	v_xor_b32_e32 v10, v17, v10
	v_cmp_ne_u16_e32 vcc_lo, 0x7fff, v10
	v_cndmask_b32_e32 v17, 0xffff8000, v10, vcc_lo
	s_delay_alu instid0(VALU_DEP_1) | instskip(NEXT) | instid1(VALU_DEP_1)
	v_and_b32_e32 v17, 0xffff, v17
	v_lshrrev_b32_e32 v17, s20, v17
	s_delay_alu instid0(VALU_DEP_1) | instskip(SKIP_1) | instid1(VALU_DEP_2)
	v_bitop3_b32 v18, v17, 1, s9 bitop3:0x80
	v_and_b32_e32 v17, s9, v17
	v_add_co_u32 v18, s0, v18, -1
	s_delay_alu instid0(VALU_DEP_1) | instskip(NEXT) | instid1(VALU_DEP_3)
	v_cndmask_b32_e64 v19, 0, 1, s0
	v_lshlrev_b32_e32 v21, 30, v17
	s_delay_alu instid0(VALU_DEP_2) | instskip(NEXT) | instid1(VALU_DEP_2)
	v_cmp_ne_u32_e32 vcc_lo, 0, v19
	v_not_b32_e32 v19, v21
	s_delay_alu instid0(VALU_DEP_1) | instskip(SKIP_4) | instid1(VALU_DEP_4)
	v_dual_ashrrev_i32 v19, 31, v19 :: v_dual_bitop2_b32 v18, vcc_lo, v18 bitop3:0x14
	v_dual_lshlrev_b32 v22, 29, v17 :: v_dual_lshlrev_b32 v23, 28, v17
	v_dual_lshlrev_b32 v25, 27, v17 :: v_dual_lshlrev_b32 v26, 26, v17
	v_lshlrev_b32_e32 v27, 25, v17
	v_cmp_gt_i32_e64 s0, 0, v21
	v_cmp_gt_i32_e64 s1, 0, v22
	v_not_b32_e32 v21, v22
	v_not_b32_e32 v22, v23
	v_lshlrev_b32_e32 v28, 24, v17
	v_cmp_gt_i32_e64 s3, 0, v23
	v_cmp_gt_i32_e64 s4, 0, v25
	v_not_b32_e32 v23, v25
	v_not_b32_e32 v25, v26
	v_dual_ashrrev_i32 v21, 31, v21 :: v_dual_ashrrev_i32 v22, 31, v22
	v_xor_b32_e32 v19, s0, v19
	v_cmp_gt_i32_e64 s5, 0, v26
	v_cmp_gt_i32_e64 s6, 0, v27
	v_not_b32_e32 v26, v27
	v_not_b32_e32 v27, v28
	v_dual_ashrrev_i32 v23, 31, v23 :: v_dual_bitop2_b32 v21, s1, v21 bitop3:0x14
	v_dual_ashrrev_i32 v25, 31, v25 :: v_dual_bitop2_b32 v22, s3, v22 bitop3:0x14
	s_delay_alu instid0(VALU_DEP_3) | instskip(SKIP_4) | instid1(VALU_DEP_4)
	v_ashrrev_i32_e32 v27, 31, v27
	v_bitop3_b32 v18, v18, v19, exec_lo bitop3:0x80
	v_cmp_gt_i32_e64 s7, 0, v28
	v_dual_ashrrev_i32 v26, 31, v26 :: v_dual_bitop2_b32 v23, s4, v23 bitop3:0x14
	v_xor_b32_e32 v25, s5, v25
	v_bitop3_b32 v18, v18, v22, v21 bitop3:0x80
	v_mad_u32_u24 v19, 0x44, v17, v0
	s_delay_alu instid0(VALU_DEP_4) | instskip(SKIP_1) | instid1(VALU_DEP_4)
	v_xor_b32_e32 v21, s6, v26
	v_xor_b32_e32 v22, s7, v27
	v_bitop3_b32 v18, v18, v25, v23 bitop3:0x80
	ds_load_b32 v17, v19 offset:64
	; wave barrier
	v_bitop3_b32 v21, v18, v22, v21 bitop3:0x80
	s_delay_alu instid0(VALU_DEP_1) | instskip(SKIP_1) | instid1(VALU_DEP_2)
	v_mbcnt_lo_u32_b32 v18, v21, 0
	v_cmp_ne_u32_e64 s0, 0, v21
	v_cmp_eq_u32_e32 vcc_lo, 0, v18
	s_and_b32 s1, s0, vcc_lo
	s_delay_alu instid0(SALU_CYCLE_1)
	s_and_saveexec_b32 s0, s1
	s_cbranch_execz .LBB2250_105
; %bb.104:
	s_wait_dscnt 0x0
	v_bcnt_u32_b32 v21, v21, v17
	ds_store_b32 v19, v21 offset:64
.LBB2250_105:
	s_or_b32 exec_lo, exec_lo, s0
	v_cmp_lt_i16_e32 vcc_lo, -1, v13
	; wave barrier
	v_cndmask_b32_e64 v21, -1, 0xffff8000, vcc_lo
	s_delay_alu instid0(VALU_DEP_1) | instskip(NEXT) | instid1(VALU_DEP_1)
	v_xor_b32_e32 v13, v21, v13
	v_cmp_ne_u16_e32 vcc_lo, 0x7fff, v13
	v_cndmask_b32_e32 v21, 0xffff8000, v13, vcc_lo
	s_delay_alu instid0(VALU_DEP_1) | instskip(NEXT) | instid1(VALU_DEP_1)
	v_and_b32_e32 v21, 0xffff, v21
	v_lshrrev_b32_e32 v21, s20, v21
	s_delay_alu instid0(VALU_DEP_1) | instskip(NEXT) | instid1(VALU_DEP_1)
	v_bitop3_b32 v22, v21, 1, s9 bitop3:0x80
	v_add_co_u32 v22, s0, v22, -1
	s_delay_alu instid0(VALU_DEP_1) | instskip(NEXT) | instid1(VALU_DEP_1)
	v_cndmask_b32_e64 v23, 0, 1, s0
	v_cmp_ne_u32_e32 vcc_lo, 0, v23
	s_delay_alu instid0(VALU_DEP_3) | instskip(SKIP_1) | instid1(VALU_DEP_1)
	v_xor_b32_e32 v22, vcc_lo, v22
	v_and_b32_e32 v21, s9, v21
	v_dual_lshlrev_b32 v25, 30, v21 :: v_dual_lshlrev_b32 v26, 29, v21
	v_dual_lshlrev_b32 v27, 28, v21 :: v_dual_lshlrev_b32 v28, 27, v21
	s_delay_alu instid0(VALU_DEP_2) | instskip(SKIP_1) | instid1(VALU_DEP_4)
	v_cmp_gt_i32_e64 s0, 0, v25
	v_not_b32_e32 v23, v25
	v_cmp_gt_i32_e64 s1, 0, v26
	v_not_b32_e32 v25, v26
	;; [unrolled: 2-line block ×3, first 2 shown]
	v_not_b32_e32 v27, v28
	v_ashrrev_i32_e32 v23, 31, v23
	v_cmp_gt_i32_e64 s4, 0, v28
	s_delay_alu instid0(VALU_DEP_3) | instskip(SKIP_1) | instid1(VALU_DEP_4)
	v_dual_ashrrev_i32 v26, 31, v26 :: v_dual_ashrrev_i32 v27, 31, v27
	v_dual_lshlrev_b32 v29, 26, v21 :: v_dual_lshlrev_b32 v30, 25, v21
	v_dual_lshlrev_b32 v31, 24, v21 :: v_dual_bitop2_b32 v23, s0, v23 bitop3:0x14
	s_delay_alu instid0(VALU_DEP_3) | instskip(NEXT) | instid1(VALU_DEP_3)
	v_xor_b32_e32 v27, s4, v27
	v_not_b32_e32 v28, v29
	v_ashrrev_i32_e32 v25, 31, v25
	v_cmp_gt_i32_e64 s5, 0, v29
	v_cmp_gt_i32_e64 s6, 0, v30
	v_not_b32_e32 v29, v30
	v_not_b32_e32 v30, v31
	v_dual_ashrrev_i32 v28, 31, v28 :: v_dual_bitop2_b32 v25, s1, v25 bitop3:0x14
	s_delay_alu instid0(VALU_DEP_3) | instskip(SKIP_2) | instid1(VALU_DEP_4)
	v_dual_ashrrev_i32 v29, 31, v29 :: v_dual_bitop2_b32 v26, s3, v26 bitop3:0x14
	v_bitop3_b32 v22, v22, v23, exec_lo bitop3:0x80
	v_cmp_gt_i32_e64 s7, 0, v31
	v_dual_ashrrev_i32 v30, 31, v30 :: v_dual_bitop2_b32 v28, s5, v28 bitop3:0x14
	v_mad_u32_u24 v23, 0x44, v21, v0
	s_delay_alu instid0(VALU_DEP_4) | instskip(SKIP_1) | instid1(VALU_DEP_4)
	v_bitop3_b32 v22, v22, v26, v25 bitop3:0x80
	v_xor_b32_e32 v25, s6, v29
	v_xor_b32_e32 v26, s7, v30
	ds_load_b32 v21, v23 offset:64
	v_bitop3_b32 v22, v22, v28, v27 bitop3:0x80
	; wave barrier
	s_delay_alu instid0(VALU_DEP_1) | instskip(NEXT) | instid1(VALU_DEP_1)
	v_bitop3_b32 v25, v22, v26, v25 bitop3:0x80
	v_mbcnt_lo_u32_b32 v22, v25, 0
	v_cmp_ne_u32_e64 s0, 0, v25
	s_delay_alu instid0(VALU_DEP_2) | instskip(SKIP_1) | instid1(SALU_CYCLE_1)
	v_cmp_eq_u32_e32 vcc_lo, 0, v22
	s_and_b32 s1, s0, vcc_lo
	s_and_saveexec_b32 s0, s1
	s_cbranch_execz .LBB2250_107
; %bb.106:
	s_wait_dscnt 0x0
	v_bcnt_u32_b32 v25, v25, v21
	ds_store_b32 v23, v25 offset:64
.LBB2250_107:
	s_or_b32 exec_lo, exec_lo, s0
	v_cmp_lt_i16_e32 vcc_lo, -1, v20
	; wave barrier
	v_cndmask_b32_e64 v25, -1, 0xffff8000, vcc_lo
	s_delay_alu instid0(VALU_DEP_1) | instskip(NEXT) | instid1(VALU_DEP_1)
	v_xor_b32_e32 v20, v25, v20
	v_cmp_ne_u16_e32 vcc_lo, 0x7fff, v20
	v_cndmask_b32_e32 v25, 0xffff8000, v20, vcc_lo
	s_delay_alu instid0(VALU_DEP_1) | instskip(NEXT) | instid1(VALU_DEP_1)
	v_and_b32_e32 v25, 0xffff, v25
	v_lshrrev_b32_e32 v25, s20, v25
	s_delay_alu instid0(VALU_DEP_1) | instskip(SKIP_1) | instid1(VALU_DEP_2)
	v_bitop3_b32 v26, v25, 1, s9 bitop3:0x80
	v_and_b32_e32 v25, s9, v25
	v_add_co_u32 v26, s0, v26, -1
	s_delay_alu instid0(VALU_DEP_1) | instskip(NEXT) | instid1(VALU_DEP_3)
	v_cndmask_b32_e64 v27, 0, 1, s0
	v_lshlrev_b32_e32 v28, 30, v25
	s_delay_alu instid0(VALU_DEP_2) | instskip(NEXT) | instid1(VALU_DEP_2)
	v_cmp_ne_u32_e32 vcc_lo, 0, v27
	v_not_b32_e32 v27, v28
	s_delay_alu instid0(VALU_DEP_1) | instskip(SKIP_4) | instid1(VALU_DEP_4)
	v_dual_ashrrev_i32 v27, 31, v27 :: v_dual_bitop2_b32 v26, vcc_lo, v26 bitop3:0x14
	v_dual_lshlrev_b32 v29, 29, v25 :: v_dual_lshlrev_b32 v30, 28, v25
	v_dual_lshlrev_b32 v31, 27, v25 :: v_dual_lshlrev_b32 v32, 26, v25
	v_lshlrev_b32_e32 v33, 25, v25
	v_cmp_gt_i32_e64 s0, 0, v28
	v_cmp_gt_i32_e64 s1, 0, v29
	v_not_b32_e32 v28, v29
	v_not_b32_e32 v29, v30
	v_lshlrev_b32_e32 v34, 24, v25
	v_cmp_gt_i32_e64 s3, 0, v30
	v_cmp_gt_i32_e64 s4, 0, v31
	v_not_b32_e32 v30, v31
	v_cmp_gt_i32_e64 s5, 0, v32
	v_not_b32_e32 v31, v32
	v_not_b32_e32 v32, v33
	v_dual_ashrrev_i32 v28, 31, v28 :: v_dual_ashrrev_i32 v29, 31, v29
	v_xor_b32_e32 v27, s0, v27
	v_cmp_gt_i32_e64 s6, 0, v33
	v_not_b32_e32 v33, v34
	v_dual_ashrrev_i32 v30, 31, v30 :: v_dual_ashrrev_i32 v31, 31, v31
	v_xor_b32_e32 v28, s1, v28
	v_dual_ashrrev_i32 v32, 31, v32 :: v_dual_bitop2_b32 v29, s3, v29 bitop3:0x14
	v_bitop3_b32 v26, v26, v27, exec_lo bitop3:0x80
	v_cmp_gt_i32_e64 s7, 0, v34
	v_dual_ashrrev_i32 v33, 31, v33 :: v_dual_bitop2_b32 v30, s4, v30 bitop3:0x14
	v_xor_b32_e32 v31, s5, v31
	s_delay_alu instid0(VALU_DEP_4) | instskip(SKIP_3) | instid1(VALU_DEP_4)
	v_bitop3_b32 v26, v26, v29, v28 bitop3:0x80
	v_mad_u32_u24 v27, 0x44, v25, v0
	v_xor_b32_e32 v28, s6, v32
	v_xor_b32_e32 v29, s7, v33
	v_bitop3_b32 v26, v26, v31, v30 bitop3:0x80
	ds_load_b32 v25, v27 offset:64
	; wave barrier
	v_bitop3_b32 v28, v26, v29, v28 bitop3:0x80
	s_delay_alu instid0(VALU_DEP_1) | instskip(SKIP_1) | instid1(VALU_DEP_2)
	v_mbcnt_lo_u32_b32 v26, v28, 0
	v_cmp_ne_u32_e64 s0, 0, v28
	v_cmp_eq_u32_e32 vcc_lo, 0, v26
	s_and_b32 s1, s0, vcc_lo
	s_delay_alu instid0(SALU_CYCLE_1)
	s_and_saveexec_b32 s0, s1
	s_cbranch_execz .LBB2250_109
; %bb.108:
	s_wait_dscnt 0x0
	v_bcnt_u32_b32 v28, v28, v25
	ds_store_b32 v27, v28 offset:64
.LBB2250_109:
	s_or_b32 exec_lo, exec_lo, s0
	v_cmp_lt_i16_e32 vcc_lo, -1, v24
	; wave barrier
	v_cndmask_b32_e64 v28, -1, 0xffff8000, vcc_lo
	s_delay_alu instid0(VALU_DEP_1) | instskip(NEXT) | instid1(VALU_DEP_1)
	v_xor_b32_e32 v24, v28, v24
	v_cmp_ne_u16_e32 vcc_lo, 0x7fff, v24
	v_cndmask_b32_e32 v28, 0xffff8000, v24, vcc_lo
	s_delay_alu instid0(VALU_DEP_1) | instskip(NEXT) | instid1(VALU_DEP_1)
	v_and_b32_e32 v28, 0xffff, v28
	v_lshrrev_b32_e32 v28, s20, v28
	s_delay_alu instid0(VALU_DEP_1) | instskip(NEXT) | instid1(VALU_DEP_1)
	v_bitop3_b32 v29, v28, 1, s9 bitop3:0x80
	v_add_co_u32 v29, s0, v29, -1
	s_delay_alu instid0(VALU_DEP_1) | instskip(NEXT) | instid1(VALU_DEP_1)
	v_cndmask_b32_e64 v30, 0, 1, s0
	v_cmp_ne_u32_e32 vcc_lo, 0, v30
	s_delay_alu instid0(VALU_DEP_3) | instskip(SKIP_1) | instid1(VALU_DEP_1)
	v_xor_b32_e32 v29, vcc_lo, v29
	v_and_b32_e32 v28, s9, v28
	v_dual_lshlrev_b32 v31, 30, v28 :: v_dual_lshlrev_b32 v32, 29, v28
	v_dual_lshlrev_b32 v33, 28, v28 :: v_dual_lshlrev_b32 v34, 27, v28
	s_delay_alu instid0(VALU_DEP_2) | instskip(SKIP_1) | instid1(VALU_DEP_4)
	v_cmp_gt_i32_e64 s0, 0, v31
	v_not_b32_e32 v30, v31
	v_cmp_gt_i32_e64 s1, 0, v32
	v_not_b32_e32 v31, v32
	;; [unrolled: 2-line block ×3, first 2 shown]
	v_not_b32_e32 v33, v34
	v_ashrrev_i32_e32 v30, 31, v30
	v_cmp_gt_i32_e64 s4, 0, v34
	s_delay_alu instid0(VALU_DEP_3) | instskip(SKIP_1) | instid1(VALU_DEP_4)
	v_dual_ashrrev_i32 v31, 31, v31 :: v_dual_ashrrev_i32 v33, 31, v33
	v_dual_lshlrev_b32 v35, 26, v28 :: v_dual_lshlrev_b32 v36, 25, v28
	v_dual_lshlrev_b32 v37, 24, v28 :: v_dual_bitop2_b32 v30, s0, v30 bitop3:0x14
	s_delay_alu instid0(VALU_DEP_3) | instskip(NEXT) | instid1(VALU_DEP_3)
	v_xor_b32_e32 v33, s4, v33
	v_not_b32_e32 v34, v35
	v_ashrrev_i32_e32 v32, 31, v32
	v_cmp_gt_i32_e64 s5, 0, v35
	v_cmp_gt_i32_e64 s6, 0, v36
	v_not_b32_e32 v35, v36
	v_not_b32_e32 v36, v37
	v_dual_ashrrev_i32 v34, 31, v34 :: v_dual_bitop2_b32 v31, s1, v31 bitop3:0x14
	v_xor_b32_e32 v32, s3, v32
	v_bitop3_b32 v29, v29, v30, exec_lo bitop3:0x80
	v_cmp_gt_i32_e64 s7, 0, v37
	v_dual_ashrrev_i32 v30, 31, v35 :: v_dual_ashrrev_i32 v35, 31, v36
	v_xor_b32_e32 v34, s5, v34
	s_delay_alu instid0(VALU_DEP_4) | instskip(SKIP_1) | instid1(VALU_DEP_4)
	v_bitop3_b32 v29, v29, v32, v31 bitop3:0x80
	v_mad_u32_u24 v31, 0x44, v28, v0
	v_xor_b32_e32 v30, s6, v30
	v_xor_b32_e32 v32, s7, v35
	s_delay_alu instid0(VALU_DEP_4) | instskip(SKIP_2) | instid1(VALU_DEP_1)
	v_bitop3_b32 v29, v29, v34, v33 bitop3:0x80
	ds_load_b32 v28, v31 offset:64
	; wave barrier
	v_bitop3_b32 v29, v29, v32, v30 bitop3:0x80
	v_mbcnt_lo_u32_b32 v30, v29, 0
	v_cmp_ne_u32_e64 s0, 0, v29
	s_delay_alu instid0(VALU_DEP_2) | instskip(SKIP_1) | instid1(SALU_CYCLE_1)
	v_cmp_eq_u32_e32 vcc_lo, 0, v30
	s_and_b32 s1, s0, vcc_lo
	s_and_saveexec_b32 s0, s1
	s_cbranch_execz .LBB2250_111
; %bb.110:
	s_wait_dscnt 0x0
	v_bcnt_u32_b32 v29, v29, v28
	ds_store_b32 v31, v29 offset:64
.LBB2250_111:
	s_or_b32 exec_lo, exec_lo, s0
	v_cmp_lt_i16_e32 vcc_lo, -1, v7
	; wave barrier
	v_cndmask_b32_e64 v29, -1, 0xffff8000, vcc_lo
	s_delay_alu instid0(VALU_DEP_1) | instskip(NEXT) | instid1(VALU_DEP_1)
	v_xor_b32_e32 v29, v29, v7
	v_cmp_ne_u16_e32 vcc_lo, 0x7fff, v29
	v_cndmask_b32_e32 v7, 0xffff8000, v29, vcc_lo
	s_delay_alu instid0(VALU_DEP_1) | instskip(NEXT) | instid1(VALU_DEP_1)
	v_and_b32_e32 v7, 0xffff, v7
	v_lshrrev_b32_e32 v7, s20, v7
	s_delay_alu instid0(VALU_DEP_1) | instskip(SKIP_1) | instid1(VALU_DEP_2)
	v_bitop3_b32 v32, v7, 1, s9 bitop3:0x80
	v_and_b32_e32 v7, s9, v7
	v_add_co_u32 v32, s0, v32, -1
	s_delay_alu instid0(VALU_DEP_1) | instskip(NEXT) | instid1(VALU_DEP_3)
	v_cndmask_b32_e64 v33, 0, 1, s0
	v_lshlrev_b32_e32 v34, 30, v7
	s_delay_alu instid0(VALU_DEP_2) | instskip(NEXT) | instid1(VALU_DEP_2)
	v_cmp_ne_u32_e32 vcc_lo, 0, v33
	v_not_b32_e32 v33, v34
	s_delay_alu instid0(VALU_DEP_1) | instskip(SKIP_4) | instid1(VALU_DEP_4)
	v_dual_ashrrev_i32 v33, 31, v33 :: v_dual_bitop2_b32 v32, vcc_lo, v32 bitop3:0x14
	v_dual_lshlrev_b32 v35, 29, v7 :: v_dual_lshlrev_b32 v36, 28, v7
	v_dual_lshlrev_b32 v37, 27, v7 :: v_dual_lshlrev_b32 v38, 26, v7
	v_lshlrev_b32_e32 v39, 25, v7
	v_cmp_gt_i32_e64 s0, 0, v34
	v_cmp_gt_i32_e64 s1, 0, v35
	v_not_b32_e32 v34, v35
	v_not_b32_e32 v35, v36
	v_lshlrev_b32_e32 v40, 24, v7
	v_cmp_gt_i32_e64 s3, 0, v36
	v_cmp_gt_i32_e64 s4, 0, v37
	v_not_b32_e32 v36, v37
	v_not_b32_e32 v37, v38
	v_dual_ashrrev_i32 v34, 31, v34 :: v_dual_ashrrev_i32 v35, 31, v35
	v_xor_b32_e32 v33, s0, v33
	v_cmp_gt_i32_e64 s5, 0, v38
	v_cmp_gt_i32_e64 s6, 0, v39
	v_not_b32_e32 v38, v39
	v_not_b32_e32 v39, v40
	v_dual_ashrrev_i32 v36, 31, v36 :: v_dual_ashrrev_i32 v37, 31, v37
	v_xor_b32_e32 v34, s1, v34
	v_xor_b32_e32 v35, s3, v35
	v_bitop3_b32 v32, v32, v33, exec_lo bitop3:0x80
	v_cmp_gt_i32_e64 s7, 0, v40
	v_dual_ashrrev_i32 v33, 31, v38 :: v_dual_ashrrev_i32 v38, 31, v39
	v_xor_b32_e32 v36, s4, v36
	v_xor_b32_e32 v37, s5, v37
	v_bitop3_b32 v32, v32, v35, v34 bitop3:0x80
	v_mad_u32_u24 v35, 0x44, v7, v0
	v_xor_b32_e32 v7, s6, v33
	v_xor_b32_e32 v33, s7, v38
	s_delay_alu instid0(VALU_DEP_4) | instskip(SKIP_2) | instid1(VALU_DEP_1)
	v_bitop3_b32 v34, v32, v37, v36 bitop3:0x80
	ds_load_b32 v32, v35 offset:64
	; wave barrier
	v_bitop3_b32 v7, v34, v33, v7 bitop3:0x80
	v_mbcnt_lo_u32_b32 v33, v7, 0
	v_cmp_ne_u32_e64 s0, 0, v7
	s_delay_alu instid0(VALU_DEP_2) | instskip(SKIP_1) | instid1(SALU_CYCLE_1)
	v_cmp_eq_u32_e32 vcc_lo, 0, v33
	s_and_b32 s1, s0, vcc_lo
	s_and_saveexec_b32 s0, s1
	s_cbranch_execz .LBB2250_113
; %bb.112:
	s_wait_dscnt 0x0
	v_bcnt_u32_b32 v7, v7, v32
	ds_store_b32 v35, v7 offset:64
.LBB2250_113:
	s_or_b32 exec_lo, exec_lo, s0
	v_cmp_lt_i16_e32 vcc_lo, -1, v6
	; wave barrier
	v_cndmask_b32_e64 v7, -1, 0xffff8000, vcc_lo
	s_delay_alu instid0(VALU_DEP_1) | instskip(NEXT) | instid1(VALU_DEP_1)
	v_xor_b32_e32 v34, v7, v6
	v_cmp_ne_u16_e32 vcc_lo, 0x7fff, v34
	v_cndmask_b32_e32 v6, 0xffff8000, v34, vcc_lo
	s_delay_alu instid0(VALU_DEP_1) | instskip(NEXT) | instid1(VALU_DEP_1)
	v_and_b32_e32 v6, 0xffff, v6
	v_lshrrev_b32_e32 v6, s20, v6
	s_delay_alu instid0(VALU_DEP_1) | instskip(SKIP_1) | instid1(VALU_DEP_2)
	v_bitop3_b32 v7, v6, 1, s9 bitop3:0x80
	v_and_b32_e32 v6, s9, v6
	v_add_co_u32 v7, s0, v7, -1
	s_delay_alu instid0(VALU_DEP_1) | instskip(NEXT) | instid1(VALU_DEP_3)
	v_cndmask_b32_e64 v36, 0, 1, s0
	v_lshlrev_b32_e32 v37, 30, v6
	s_delay_alu instid0(VALU_DEP_2) | instskip(NEXT) | instid1(VALU_DEP_2)
	v_cmp_ne_u32_e32 vcc_lo, 0, v36
	v_not_b32_e32 v36, v37
	s_delay_alu instid0(VALU_DEP_1) | instskip(SKIP_4) | instid1(VALU_DEP_4)
	v_dual_ashrrev_i32 v36, 31, v36 :: v_dual_bitop2_b32 v7, vcc_lo, v7 bitop3:0x14
	v_dual_lshlrev_b32 v38, 29, v6 :: v_dual_lshlrev_b32 v39, 28, v6
	v_dual_lshlrev_b32 v40, 27, v6 :: v_dual_lshlrev_b32 v41, 26, v6
	v_lshlrev_b32_e32 v42, 25, v6
	v_cmp_gt_i32_e64 s0, 0, v37
	v_cmp_gt_i32_e64 s1, 0, v38
	v_not_b32_e32 v37, v38
	v_not_b32_e32 v38, v39
	v_lshlrev_b32_e32 v43, 24, v6
	v_cmp_gt_i32_e64 s3, 0, v39
	v_cmp_gt_i32_e64 s4, 0, v40
	v_not_b32_e32 v39, v40
	v_not_b32_e32 v40, v41
	v_dual_ashrrev_i32 v37, 31, v37 :: v_dual_ashrrev_i32 v38, 31, v38
	v_xor_b32_e32 v36, s0, v36
	v_cmp_gt_i32_e64 s5, 0, v41
	v_cmp_gt_i32_e64 s6, 0, v42
	v_not_b32_e32 v41, v42
	v_not_b32_e32 v42, v43
	v_dual_ashrrev_i32 v39, 31, v39 :: v_dual_ashrrev_i32 v40, 31, v40
	v_xor_b32_e32 v37, s1, v37
	v_xor_b32_e32 v38, s3, v38
	v_bitop3_b32 v7, v7, v36, exec_lo bitop3:0x80
	v_cmp_gt_i32_e64 s7, 0, v43
	v_dual_ashrrev_i32 v36, 31, v41 :: v_dual_ashrrev_i32 v41, 31, v42
	v_xor_b32_e32 v42, s4, v39
	v_xor_b32_e32 v40, s5, v40
	v_bitop3_b32 v7, v7, v38, v37 bitop3:0x80
	v_mad_u32_u24 v39, 0x44, v6, v0
	v_xor_b32_e32 v6, s6, v36
	v_xor_b32_e32 v36, s7, v41
	s_delay_alu instid0(VALU_DEP_4) | instskip(SKIP_2) | instid1(VALU_DEP_1)
	v_bitop3_b32 v7, v7, v40, v42 bitop3:0x80
	ds_load_b32 v37, v39 offset:64
	; wave barrier
	v_bitop3_b32 v6, v7, v36, v6 bitop3:0x80
	v_mbcnt_lo_u32_b32 v38, v6, 0
	v_cmp_ne_u32_e64 s0, 0, v6
	s_delay_alu instid0(VALU_DEP_2) | instskip(SKIP_1) | instid1(SALU_CYCLE_1)
	v_cmp_eq_u32_e32 vcc_lo, 0, v38
	s_and_b32 s1, s0, vcc_lo
	s_and_saveexec_b32 s0, s1
	s_cbranch_execz .LBB2250_115
; %bb.114:
	s_wait_dscnt 0x0
	v_bcnt_u32_b32 v6, v6, v37
	ds_store_b32 v39, v6 offset:64
.LBB2250_115:
	s_or_b32 exec_lo, exec_lo, s0
	v_cmp_lt_i16_e32 vcc_lo, -1, v5
	; wave barrier
	v_cndmask_b32_e64 v6, -1, 0xffff8000, vcc_lo
	s_delay_alu instid0(VALU_DEP_1) | instskip(NEXT) | instid1(VALU_DEP_1)
	v_xor_b32_e32 v36, v6, v5
	v_cmp_ne_u16_e32 vcc_lo, 0x7fff, v36
	v_cndmask_b32_e32 v5, 0xffff8000, v36, vcc_lo
	s_delay_alu instid0(VALU_DEP_1) | instskip(NEXT) | instid1(VALU_DEP_1)
	v_and_b32_e32 v5, 0xffff, v5
	v_lshrrev_b32_e32 v5, s20, v5
	s_delay_alu instid0(VALU_DEP_1) | instskip(SKIP_1) | instid1(VALU_DEP_2)
	v_bitop3_b32 v6, v5, 1, s9 bitop3:0x80
	v_and_b32_e32 v5, s9, v5
	v_add_co_u32 v6, s0, v6, -1
	s_delay_alu instid0(VALU_DEP_1) | instskip(NEXT) | instid1(VALU_DEP_3)
	v_cndmask_b32_e64 v7, 0, 1, s0
	v_lshlrev_b32_e32 v40, 30, v5
	s_delay_alu instid0(VALU_DEP_2) | instskip(NEXT) | instid1(VALU_DEP_2)
	v_cmp_ne_u32_e32 vcc_lo, 0, v7
	v_not_b32_e32 v7, v40
	s_delay_alu instid0(VALU_DEP_1) | instskip(SKIP_4) | instid1(VALU_DEP_4)
	v_dual_ashrrev_i32 v7, 31, v7 :: v_dual_bitop2_b32 v6, vcc_lo, v6 bitop3:0x14
	v_dual_lshlrev_b32 v41, 29, v5 :: v_dual_lshlrev_b32 v42, 28, v5
	v_dual_lshlrev_b32 v43, 27, v5 :: v_dual_lshlrev_b32 v44, 26, v5
	;; [unrolled: 1-line block ×3, first 2 shown]
	v_cmp_gt_i32_e64 s0, 0, v40
	v_cmp_gt_i32_e64 s1, 0, v41
	v_not_b32_e32 v40, v41
	v_not_b32_e32 v41, v42
	v_cmp_gt_i32_e64 s3, 0, v42
	v_cmp_gt_i32_e64 s4, 0, v43
	v_not_b32_e32 v42, v43
	v_cmp_gt_i32_e64 s5, 0, v44
	v_not_b32_e32 v43, v44
	;; [unrolled: 2-line block ×3, first 2 shown]
	v_not_b32_e32 v45, v46
	v_dual_ashrrev_i32 v40, 31, v40 :: v_dual_ashrrev_i32 v41, 31, v41
	v_dual_ashrrev_i32 v42, 31, v42 :: v_dual_bitop2_b32 v7, s0, v7 bitop3:0x14
	s_delay_alu instid0(VALU_DEP_2) | instskip(NEXT) | instid1(VALU_DEP_3)
	v_dual_ashrrev_i32 v43, 31, v43 :: v_dual_bitop2_b32 v40, s1, v40 bitop3:0x14
	v_xor_b32_e32 v41, s3, v41
	s_delay_alu instid0(VALU_DEP_3)
	v_bitop3_b32 v6, v6, v7, exec_lo bitop3:0x80
	v_cmp_gt_i32_e64 s7, 0, v46
	v_dual_ashrrev_i32 v7, 31, v44 :: v_dual_ashrrev_i32 v44, 31, v45
	v_xor_b32_e32 v42, s4, v42
	v_xor_b32_e32 v45, s5, v43
	v_bitop3_b32 v6, v6, v41, v40 bitop3:0x80
	v_mad_u32_u24 v43, 0x44, v5, v0
	v_xor_b32_e32 v5, s6, v7
	v_xor_b32_e32 v7, s7, v44
	s_delay_alu instid0(VALU_DEP_4) | instskip(SKIP_2) | instid1(VALU_DEP_1)
	v_bitop3_b32 v6, v6, v45, v42 bitop3:0x80
	ds_load_b32 v41, v43 offset:64
	; wave barrier
	v_bitop3_b32 v5, v6, v7, v5 bitop3:0x80
	v_mbcnt_lo_u32_b32 v42, v5, 0
	v_cmp_ne_u32_e64 s0, 0, v5
	s_delay_alu instid0(VALU_DEP_2) | instskip(SKIP_1) | instid1(SALU_CYCLE_1)
	v_cmp_eq_u32_e32 vcc_lo, 0, v42
	s_and_b32 s1, s0, vcc_lo
	s_and_saveexec_b32 s0, s1
	s_cbranch_execz .LBB2250_117
; %bb.116:
	s_wait_dscnt 0x0
	v_bcnt_u32_b32 v5, v5, v41
	ds_store_b32 v43, v5 offset:64
.LBB2250_117:
	s_or_b32 exec_lo, exec_lo, s0
	v_cmp_lt_i16_e32 vcc_lo, -1, v4
	; wave barrier
	v_cndmask_b32_e64 v5, -1, 0xffff8000, vcc_lo
	s_delay_alu instid0(VALU_DEP_1) | instskip(NEXT) | instid1(VALU_DEP_1)
	v_xor_b32_e32 v40, v5, v4
	v_cmp_ne_u16_e32 vcc_lo, 0x7fff, v40
	v_cndmask_b32_e32 v4, 0xffff8000, v40, vcc_lo
	s_delay_alu instid0(VALU_DEP_1) | instskip(NEXT) | instid1(VALU_DEP_1)
	v_and_b32_e32 v4, 0xffff, v4
	v_lshrrev_b32_e32 v4, s20, v4
	s_delay_alu instid0(VALU_DEP_1) | instskip(SKIP_1) | instid1(VALU_DEP_2)
	v_bitop3_b32 v5, v4, 1, s9 bitop3:0x80
	v_and_b32_e32 v4, s9, v4
	v_add_co_u32 v5, s0, v5, -1
	s_delay_alu instid0(VALU_DEP_1) | instskip(NEXT) | instid1(VALU_DEP_3)
	v_cndmask_b32_e64 v6, 0, 1, s0
	v_lshlrev_b32_e32 v7, 30, v4
	s_delay_alu instid0(VALU_DEP_2) | instskip(NEXT) | instid1(VALU_DEP_2)
	v_cmp_ne_u32_e32 vcc_lo, 0, v6
	v_not_b32_e32 v6, v7
	s_delay_alu instid0(VALU_DEP_1) | instskip(SKIP_4) | instid1(VALU_DEP_4)
	v_dual_ashrrev_i32 v6, 31, v6 :: v_dual_bitop2_b32 v5, vcc_lo, v5 bitop3:0x14
	v_dual_lshlrev_b32 v44, 29, v4 :: v_dual_lshlrev_b32 v45, 28, v4
	v_dual_lshlrev_b32 v46, 27, v4 :: v_dual_lshlrev_b32 v47, 26, v4
	v_lshlrev_b32_e32 v48, 25, v4
	v_cmp_gt_i32_e64 s0, 0, v7
	v_cmp_gt_i32_e64 s1, 0, v44
	v_not_b32_e32 v7, v44
	v_not_b32_e32 v44, v45
	v_lshlrev_b32_e32 v49, 24, v4
	v_cmp_gt_i32_e64 s3, 0, v45
	v_cmp_gt_i32_e64 s4, 0, v46
	v_not_b32_e32 v45, v46
	v_not_b32_e32 v46, v47
	v_dual_ashrrev_i32 v7, 31, v7 :: v_dual_ashrrev_i32 v44, 31, v44
	v_xor_b32_e32 v6, s0, v6
	v_cmp_gt_i32_e64 s5, 0, v47
	v_cmp_gt_i32_e64 s6, 0, v48
	v_not_b32_e32 v47, v48
	v_not_b32_e32 v48, v49
	v_dual_ashrrev_i32 v45, 31, v45 :: v_dual_ashrrev_i32 v46, 31, v46
	v_xor_b32_e32 v7, s1, v7
	v_xor_b32_e32 v44, s3, v44
	v_bitop3_b32 v5, v5, v6, exec_lo bitop3:0x80
	v_cmp_gt_i32_e64 s7, 0, v49
	v_dual_ashrrev_i32 v6, 31, v47 :: v_dual_ashrrev_i32 v48, 31, v48
	v_xor_b32_e32 v45, s4, v45
	v_xor_b32_e32 v46, s5, v46
	v_bitop3_b32 v5, v5, v44, v7 bitop3:0x80
	v_mad_u32_u24 v47, 0x44, v4, v0
	v_xor_b32_e32 v4, s6, v6
	v_xor_b32_e32 v6, s7, v48
	s_delay_alu instid0(VALU_DEP_4) | instskip(SKIP_2) | instid1(VALU_DEP_1)
	v_bitop3_b32 v5, v5, v46, v45 bitop3:0x80
	ds_load_b32 v45, v47 offset:64
	; wave barrier
	v_bitop3_b32 v4, v5, v6, v4 bitop3:0x80
	v_mbcnt_lo_u32_b32 v46, v4, 0
	v_cmp_ne_u32_e64 s0, 0, v4
	s_delay_alu instid0(VALU_DEP_2) | instskip(SKIP_1) | instid1(SALU_CYCLE_1)
	v_cmp_eq_u32_e32 vcc_lo, 0, v46
	s_and_b32 s1, s0, vcc_lo
	s_and_saveexec_b32 s0, s1
	s_cbranch_execz .LBB2250_119
; %bb.118:
	s_wait_dscnt 0x0
	v_bcnt_u32_b32 v4, v4, v45
	ds_store_b32 v47, v4 offset:64
.LBB2250_119:
	s_or_b32 exec_lo, exec_lo, s0
	v_cmp_lt_i16_e32 vcc_lo, -1, v3
	; wave barrier
	v_cndmask_b32_e64 v4, -1, 0xffff8000, vcc_lo
	s_delay_alu instid0(VALU_DEP_1) | instskip(NEXT) | instid1(VALU_DEP_1)
	v_xor_b32_e32 v44, v4, v3
	v_cmp_ne_u16_e32 vcc_lo, 0x7fff, v44
	v_cndmask_b32_e32 v3, 0xffff8000, v44, vcc_lo
	s_delay_alu instid0(VALU_DEP_1) | instskip(NEXT) | instid1(VALU_DEP_1)
	v_and_b32_e32 v3, 0xffff, v3
	v_lshrrev_b32_e32 v3, s20, v3
	s_delay_alu instid0(VALU_DEP_1) | instskip(SKIP_1) | instid1(VALU_DEP_2)
	v_bitop3_b32 v4, v3, 1, s9 bitop3:0x80
	v_and_b32_e32 v3, s9, v3
	v_add_co_u32 v4, s0, v4, -1
	s_delay_alu instid0(VALU_DEP_1) | instskip(NEXT) | instid1(VALU_DEP_3)
	v_cndmask_b32_e64 v5, 0, 1, s0
	v_lshlrev_b32_e32 v6, 30, v3
	s_delay_alu instid0(VALU_DEP_2) | instskip(NEXT) | instid1(VALU_DEP_2)
	v_cmp_ne_u32_e32 vcc_lo, 0, v5
	v_not_b32_e32 v5, v6
	s_delay_alu instid0(VALU_DEP_1) | instskip(SKIP_4) | instid1(VALU_DEP_4)
	v_dual_ashrrev_i32 v5, 31, v5 :: v_dual_bitop2_b32 v4, vcc_lo, v4 bitop3:0x14
	v_dual_lshlrev_b32 v7, 29, v3 :: v_dual_lshlrev_b32 v48, 28, v3
	v_dual_lshlrev_b32 v49, 27, v3 :: v_dual_lshlrev_b32 v50, 26, v3
	v_lshlrev_b32_e32 v51, 25, v3
	v_cmp_gt_i32_e64 s0, 0, v6
	v_cmp_gt_i32_e64 s1, 0, v7
	v_not_b32_e32 v6, v7
	v_not_b32_e32 v7, v48
	v_lshlrev_b32_e32 v52, 24, v3
	v_cmp_gt_i32_e64 s3, 0, v48
	v_cmp_gt_i32_e64 s4, 0, v49
	v_not_b32_e32 v48, v49
	v_not_b32_e32 v49, v50
	v_dual_ashrrev_i32 v6, 31, v6 :: v_dual_ashrrev_i32 v7, 31, v7
	v_xor_b32_e32 v5, s0, v5
	v_cmp_gt_i32_e64 s5, 0, v50
	v_cmp_gt_i32_e64 s6, 0, v51
	v_not_b32_e32 v50, v51
	v_not_b32_e32 v51, v52
	v_dual_ashrrev_i32 v48, 31, v48 :: v_dual_ashrrev_i32 v49, 31, v49
	v_xor_b32_e32 v6, s1, v6
	v_xor_b32_e32 v7, s3, v7
	v_bitop3_b32 v4, v4, v5, exec_lo bitop3:0x80
	v_cmp_gt_i32_e64 s7, 0, v52
	v_dual_ashrrev_i32 v5, 31, v50 :: v_dual_ashrrev_i32 v50, 31, v51
	v_xor_b32_e32 v48, s4, v48
	v_xor_b32_e32 v49, s5, v49
	v_bitop3_b32 v4, v4, v7, v6 bitop3:0x80
	v_mad_u32_u24 v51, 0x44, v3, v0
	v_xor_b32_e32 v3, s6, v5
	v_xor_b32_e32 v5, s7, v50
	s_delay_alu instid0(VALU_DEP_4) | instskip(SKIP_2) | instid1(VALU_DEP_1)
	v_bitop3_b32 v4, v4, v49, v48 bitop3:0x80
	ds_load_b32 v48, v51 offset:64
	; wave barrier
	v_bitop3_b32 v3, v4, v5, v3 bitop3:0x80
	v_mbcnt_lo_u32_b32 v50, v3, 0
	v_cmp_ne_u32_e64 s0, 0, v3
	s_delay_alu instid0(VALU_DEP_2) | instskip(SKIP_1) | instid1(SALU_CYCLE_1)
	v_cmp_eq_u32_e32 vcc_lo, 0, v50
	s_and_b32 s1, s0, vcc_lo
	s_and_saveexec_b32 s0, s1
	s_cbranch_execz .LBB2250_121
; %bb.120:
	s_wait_dscnt 0x0
	v_bcnt_u32_b32 v3, v3, v48
	ds_store_b32 v51, v3 offset:64
.LBB2250_121:
	s_or_b32 exec_lo, exec_lo, s0
	v_cmp_lt_i16_e32 vcc_lo, -1, v2
	; wave barrier
	v_cndmask_b32_e64 v3, -1, 0xffff8000, vcc_lo
	s_delay_alu instid0(VALU_DEP_1) | instskip(NEXT) | instid1(VALU_DEP_1)
	v_xor_b32_e32 v49, v3, v2
	v_cmp_ne_u16_e32 vcc_lo, 0x7fff, v49
	v_cndmask_b32_e32 v2, 0xffff8000, v49, vcc_lo
	s_delay_alu instid0(VALU_DEP_1) | instskip(NEXT) | instid1(VALU_DEP_1)
	v_and_b32_e32 v2, 0xffff, v2
	v_lshrrev_b32_e32 v2, s20, v2
	s_delay_alu instid0(VALU_DEP_1) | instskip(SKIP_1) | instid1(VALU_DEP_2)
	v_bitop3_b32 v3, v2, 1, s9 bitop3:0x80
	v_and_b32_e32 v2, s9, v2
	v_add_co_u32 v3, s0, v3, -1
	s_delay_alu instid0(VALU_DEP_1) | instskip(NEXT) | instid1(VALU_DEP_3)
	v_cndmask_b32_e64 v4, 0, 1, s0
	v_lshlrev_b32_e32 v5, 30, v2
	s_delay_alu instid0(VALU_DEP_2) | instskip(NEXT) | instid1(VALU_DEP_2)
	v_cmp_ne_u32_e32 vcc_lo, 0, v4
	v_not_b32_e32 v4, v5
	s_delay_alu instid0(VALU_DEP_1) | instskip(SKIP_4) | instid1(VALU_DEP_4)
	v_dual_ashrrev_i32 v4, 31, v4 :: v_dual_bitop2_b32 v3, vcc_lo, v3 bitop3:0x14
	v_dual_lshlrev_b32 v6, 29, v2 :: v_dual_lshlrev_b32 v7, 28, v2
	v_dual_lshlrev_b32 v52, 27, v2 :: v_dual_lshlrev_b32 v53, 26, v2
	;; [unrolled: 1-line block ×3, first 2 shown]
	v_cmp_gt_i32_e64 s0, 0, v5
	v_cmp_gt_i32_e64 s1, 0, v6
	v_not_b32_e32 v5, v6
	v_not_b32_e32 v6, v7
	v_cmp_gt_i32_e64 s3, 0, v7
	v_cmp_gt_i32_e64 s4, 0, v52
	v_not_b32_e32 v7, v52
	v_cmp_gt_i32_e64 s5, 0, v53
	v_not_b32_e32 v52, v53
	;; [unrolled: 2-line block ×3, first 2 shown]
	v_not_b32_e32 v54, v55
	v_dual_ashrrev_i32 v5, 31, v5 :: v_dual_ashrrev_i32 v6, 31, v6
	v_dual_ashrrev_i32 v7, 31, v7 :: v_dual_bitop2_b32 v4, s0, v4 bitop3:0x14
	s_delay_alu instid0(VALU_DEP_2) | instskip(NEXT) | instid1(VALU_DEP_3)
	v_dual_ashrrev_i32 v52, 31, v52 :: v_dual_bitop2_b32 v5, s1, v5 bitop3:0x14
	v_xor_b32_e32 v6, s3, v6
	s_delay_alu instid0(VALU_DEP_3)
	v_bitop3_b32 v3, v3, v4, exec_lo bitop3:0x80
	v_cmp_gt_i32_e64 s7, 0, v55
	v_dual_ashrrev_i32 v4, 31, v53 :: v_dual_ashrrev_i32 v53, 31, v54
	v_xor_b32_e32 v7, s4, v7
	v_xor_b32_e32 v52, s5, v52
	v_bitop3_b32 v3, v3, v6, v5 bitop3:0x80
	v_mad_u32_u24 v56, 0x44, v2, v0
	v_xor_b32_e32 v2, s6, v4
	v_xor_b32_e32 v4, s7, v53
	s_delay_alu instid0(VALU_DEP_4) | instskip(SKIP_2) | instid1(VALU_DEP_1)
	v_bitop3_b32 v3, v3, v52, v7 bitop3:0x80
	ds_load_b32 v52, v56 offset:64
	; wave barrier
	v_bitop3_b32 v2, v3, v4, v2 bitop3:0x80
	v_mbcnt_lo_u32_b32 v53, v2, 0
	v_cmp_ne_u32_e64 s0, 0, v2
	s_delay_alu instid0(VALU_DEP_2) | instskip(SKIP_1) | instid1(SALU_CYCLE_1)
	v_cmp_eq_u32_e32 vcc_lo, 0, v53
	s_and_b32 s1, s0, vcc_lo
	s_and_saveexec_b32 s0, s1
	s_cbranch_execz .LBB2250_123
; %bb.122:
	s_wait_dscnt 0x0
	v_bcnt_u32_b32 v2, v2, v52
	ds_store_b32 v56, v2 offset:64
.LBB2250_123:
	s_or_b32 exec_lo, exec_lo, s0
	v_cmp_lt_i16_e32 vcc_lo, -1, v1
	; wave barrier
	v_cndmask_b32_e64 v2, -1, 0xffff8000, vcc_lo
	s_delay_alu instid0(VALU_DEP_1) | instskip(NEXT) | instid1(VALU_DEP_1)
	v_xor_b32_e32 v54, v2, v1
	v_cmp_ne_u16_e32 vcc_lo, 0x7fff, v54
	v_cndmask_b32_e32 v1, 0xffff8000, v54, vcc_lo
	s_delay_alu instid0(VALU_DEP_1) | instskip(NEXT) | instid1(VALU_DEP_1)
	v_and_b32_e32 v1, 0xffff, v1
	v_lshrrev_b32_e32 v1, s20, v1
	s_delay_alu instid0(VALU_DEP_1) | instskip(SKIP_1) | instid1(VALU_DEP_2)
	v_bitop3_b32 v2, v1, 1, s9 bitop3:0x80
	v_and_b32_e32 v1, s9, v1
	v_add_co_u32 v2, s0, v2, -1
	s_delay_alu instid0(VALU_DEP_1) | instskip(NEXT) | instid1(VALU_DEP_3)
	v_cndmask_b32_e64 v3, 0, 1, s0
	v_lshlrev_b32_e32 v4, 30, v1
	s_delay_alu instid0(VALU_DEP_2) | instskip(NEXT) | instid1(VALU_DEP_2)
	v_cmp_ne_u32_e32 vcc_lo, 0, v3
	v_not_b32_e32 v3, v4
	s_delay_alu instid0(VALU_DEP_1) | instskip(SKIP_4) | instid1(VALU_DEP_4)
	v_dual_ashrrev_i32 v3, 31, v3 :: v_dual_bitop2_b32 v2, vcc_lo, v2 bitop3:0x14
	v_dual_lshlrev_b32 v5, 29, v1 :: v_dual_lshlrev_b32 v6, 28, v1
	v_dual_lshlrev_b32 v7, 27, v1 :: v_dual_lshlrev_b32 v55, 26, v1
	v_lshlrev_b32_e32 v57, 25, v1
	v_cmp_gt_i32_e64 s0, 0, v4
	v_cmp_gt_i32_e64 s1, 0, v5
	v_not_b32_e32 v4, v5
	v_not_b32_e32 v5, v6
	v_lshlrev_b32_e32 v58, 24, v1
	v_cmp_gt_i32_e64 s3, 0, v6
	v_cmp_gt_i32_e64 s4, 0, v7
	v_not_b32_e32 v6, v7
	v_not_b32_e32 v7, v55
	v_dual_ashrrev_i32 v4, 31, v4 :: v_dual_ashrrev_i32 v5, 31, v5
	v_xor_b32_e32 v3, s0, v3
	v_cmp_gt_i32_e64 s5, 0, v55
	v_cmp_gt_i32_e64 s6, 0, v57
	v_not_b32_e32 v55, v57
	v_not_b32_e32 v57, v58
	v_dual_ashrrev_i32 v6, 31, v6 :: v_dual_ashrrev_i32 v7, 31, v7
	v_xor_b32_e32 v4, s1, v4
	v_xor_b32_e32 v5, s3, v5
	v_bitop3_b32 v2, v2, v3, exec_lo bitop3:0x80
	v_cmp_gt_i32_e64 s7, 0, v58
	v_dual_ashrrev_i32 v3, 31, v55 :: v_dual_ashrrev_i32 v55, 31, v57
	v_xor_b32_e32 v6, s4, v6
	v_xor_b32_e32 v7, s5, v7
	v_bitop3_b32 v2, v2, v5, v4 bitop3:0x80
	v_mad_u32_u24 v58, 0x44, v1, v0
	v_xor_b32_e32 v0, s6, v3
	v_xor_b32_e32 v1, s7, v55
	s_delay_alu instid0(VALU_DEP_4) | instskip(SKIP_2) | instid1(VALU_DEP_1)
	v_bitop3_b32 v2, v2, v7, v6 bitop3:0x80
	ds_load_b32 v55, v58 offset:64
	; wave barrier
	v_bitop3_b32 v0, v2, v1, v0 bitop3:0x80
	v_mbcnt_lo_u32_b32 v57, v0, 0
	v_cmp_ne_u32_e64 s0, 0, v0
	s_delay_alu instid0(VALU_DEP_2) | instskip(SKIP_1) | instid1(SALU_CYCLE_1)
	v_cmp_eq_u32_e32 vcc_lo, 0, v57
	s_and_b32 s1, s0, vcc_lo
	s_and_saveexec_b32 s0, s1
	s_cbranch_execz .LBB2250_125
; %bb.124:
	s_wait_dscnt 0x0
	v_bcnt_u32_b32 v0, v0, v55
	ds_store_b32 v58, v0 offset:64
.LBB2250_125:
	s_or_b32 exec_lo, exec_lo, s0
	; wave barrier
	s_wait_dscnt 0x0
	s_barrier_signal -1
	s_barrier_wait -1
	ds_load_2addr_b32 v[6:7], v11 offset0:16 offset1:17
	ds_load_2addr_b32 v[4:5], v11 offset0:18 offset1:19
	;; [unrolled: 1-line block ×4, first 2 shown]
	ds_load_b32 v59, v11 offset:96
	v_min_u32_e32 v16, 0x1e0, v16
	s_mov_b32 s5, exec_lo
	s_delay_alu instid0(VALU_DEP_1) | instskip(SKIP_3) | instid1(VALU_DEP_1)
	v_or_b32_e32 v62, 31, v16
	s_wait_dscnt 0x3
	v_add3_u32 v60, v7, v6, v4
	s_wait_dscnt 0x2
	v_add3_u32 v60, v60, v5, v2
	s_wait_dscnt 0x1
	s_delay_alu instid0(VALU_DEP_1) | instskip(SKIP_1) | instid1(VALU_DEP_1)
	v_add3_u32 v60, v60, v3, v0
	s_wait_dscnt 0x0
	v_add3_u32 v59, v60, v1, v59
	v_and_b32_e32 v60, 15, v15
	s_delay_alu instid0(VALU_DEP_2) | instskip(NEXT) | instid1(VALU_DEP_2)
	v_mov_b32_dpp v61, v59 row_shr:1 row_mask:0xf bank_mask:0xf
	v_cmp_eq_u32_e32 vcc_lo, 0, v60
	v_cmp_lt_u32_e64 s0, 1, v60
	s_delay_alu instid0(VALU_DEP_3) | instskip(NEXT) | instid1(VALU_DEP_1)
	v_cndmask_b32_e64 v61, v61, 0, vcc_lo
	v_add_nc_u32_e32 v59, v61, v59
	s_delay_alu instid0(VALU_DEP_1) | instskip(NEXT) | instid1(VALU_DEP_1)
	v_mov_b32_dpp v61, v59 row_shr:2 row_mask:0xf bank_mask:0xf
	v_cndmask_b32_e64 v61, 0, v61, s0
	v_cmp_lt_u32_e64 s3, 7, v60
	v_cmp_lt_u32_e64 s1, 3, v60
	s_delay_alu instid0(VALU_DEP_3) | instskip(NEXT) | instid1(VALU_DEP_1)
	v_add_nc_u32_e32 v59, v59, v61
	v_mov_b32_dpp v61, v59 row_shr:4 row_mask:0xf bank_mask:0xf
	s_delay_alu instid0(VALU_DEP_1) | instskip(NEXT) | instid1(VALU_DEP_1)
	v_cndmask_b32_e64 v61, 0, v61, s1
	v_add_nc_u32_e32 v59, v59, v61
	s_delay_alu instid0(VALU_DEP_1) | instskip(NEXT) | instid1(VALU_DEP_1)
	v_mov_b32_dpp v61, v59 row_shr:8 row_mask:0xf bank_mask:0xf
	v_cndmask_b32_e64 v60, 0, v61, s3
	v_bfe_i32 v61, v15, 4, 1
	s_delay_alu instid0(VALU_DEP_2) | instskip(SKIP_3) | instid1(VALU_DEP_1)
	v_add_nc_u32_e32 v60, v59, v60
	ds_swizzle_b32 v59, v60 offset:swizzle(BROADCAST,32,15)
	s_wait_dscnt 0x0
	v_dual_lshrrev_b32 v59, 5, v14 :: v_dual_bitop2_b32 v61, v61, v59 bitop3:0x40
	v_add_nc_u32_e32 v16, v60, v61
	v_cmpx_eq_u32_e64 v14, v62
; %bb.126:
	s_delay_alu instid0(VALU_DEP_3)
	v_lshlrev_b32_e32 v60, 2, v59
	ds_store_b32 v60, v16
; %bb.127:
	s_or_b32 exec_lo, exec_lo, s5
	s_delay_alu instid0(SALU_CYCLE_1)
	s_mov_b32 s5, exec_lo
	s_wait_dscnt 0x0
	s_barrier_signal -1
	s_barrier_wait -1
	v_cmpx_gt_u32_e32 16, v14
	s_cbranch_execz .LBB2250_129
; %bb.128:
	v_lshlrev_b32_e32 v60, 2, v14
	ds_load_b32 v61, v60
	s_wait_dscnt 0x0
	v_mov_b32_dpp v62, v61 row_shr:1 row_mask:0xf bank_mask:0xf
	s_delay_alu instid0(VALU_DEP_1) | instskip(NEXT) | instid1(VALU_DEP_1)
	v_cndmask_b32_e64 v62, v62, 0, vcc_lo
	v_add_nc_u32_e32 v61, v62, v61
	s_delay_alu instid0(VALU_DEP_1) | instskip(NEXT) | instid1(VALU_DEP_1)
	v_mov_b32_dpp v62, v61 row_shr:2 row_mask:0xf bank_mask:0xf
	v_cndmask_b32_e64 v62, 0, v62, s0
	s_delay_alu instid0(VALU_DEP_1) | instskip(NEXT) | instid1(VALU_DEP_1)
	v_add_nc_u32_e32 v61, v61, v62
	v_mov_b32_dpp v62, v61 row_shr:4 row_mask:0xf bank_mask:0xf
	s_delay_alu instid0(VALU_DEP_1) | instskip(NEXT) | instid1(VALU_DEP_1)
	v_cndmask_b32_e64 v62, 0, v62, s1
	v_add_nc_u32_e32 v61, v61, v62
	s_delay_alu instid0(VALU_DEP_1) | instskip(NEXT) | instid1(VALU_DEP_1)
	v_mov_b32_dpp v62, v61 row_shr:8 row_mask:0xf bank_mask:0xf
	v_cndmask_b32_e64 v62, 0, v62, s3
	s_delay_alu instid0(VALU_DEP_1)
	v_add_nc_u32_e32 v61, v61, v62
	ds_store_b32 v60, v61
.LBB2250_129:
	s_or_b32 exec_lo, exec_lo, s5
	v_mov_b32_e32 v60, 0
	s_mov_b32 s0, exec_lo
	s_wait_dscnt 0x0
	s_barrier_signal -1
	s_barrier_wait -1
	v_cmpx_lt_u32_e32 31, v14
; %bb.130:
	v_lshl_add_u32 v59, v59, 2, -4
	ds_load_b32 v60, v59
; %bb.131:
	s_or_b32 exec_lo, exec_lo, s0
	v_sub_co_u32 v59, vcc_lo, v15, 1
	s_wait_dscnt 0x0
	v_add_nc_u32_e32 v16, v60, v16
	s_delay_alu instid0(VALU_DEP_2) | instskip(NEXT) | instid1(VALU_DEP_1)
	v_cmp_gt_i32_e64 s0, 0, v59
	v_cndmask_b32_e64 v15, v59, v15, s0
	v_cmp_gt_u32_e64 s0, 0x100, v14
	s_delay_alu instid0(VALU_DEP_2) | instskip(SKIP_4) | instid1(VALU_DEP_2)
	v_lshlrev_b32_e32 v15, 2, v15
	ds_bpermute_b32 v15, v15, v16
	s_wait_dscnt 0x0
	v_cndmask_b32_e32 v15, v15, v60, vcc_lo
	v_cmp_lt_u32_e32 vcc_lo, 0xff, v14
	v_cndmask_b32_e64 v15, v15, 0, s2
	s_delay_alu instid0(VALU_DEP_1) | instskip(NEXT) | instid1(VALU_DEP_1)
	v_add_nc_u32_e32 v6, v15, v6
	v_add_nc_u32_e32 v7, v6, v7
	s_delay_alu instid0(VALU_DEP_1) | instskip(NEXT) | instid1(VALU_DEP_1)
	v_add_nc_u32_e32 v4, v7, v4
	v_add_nc_u32_e32 v5, v4, v5
	s_delay_alu instid0(VALU_DEP_1) | instskip(NEXT) | instid1(VALU_DEP_1)
	v_add_nc_u32_e32 v2, v5, v2
	v_add_nc_u32_e32 v3, v2, v3
	s_delay_alu instid0(VALU_DEP_1) | instskip(NEXT) | instid1(VALU_DEP_1)
	v_add_nc_u32_e32 v0, v3, v0
	v_add_nc_u32_e32 v1, v0, v1
	ds_store_2addr_b32 v11, v15, v6 offset0:16 offset1:17
	ds_store_2addr_b32 v11, v7, v4 offset0:18 offset1:19
	;; [unrolled: 1-line block ×4, first 2 shown]
	ds_store_b32 v11, v1 offset:96
	s_wait_dscnt 0x0
	s_barrier_signal -1
	s_barrier_wait -1
	ds_load_b32 v59, v12 offset:64
	ds_load_b32 v60, v19 offset:64
	;; [unrolled: 1-line block ×12, first 2 shown]
	v_mov_b64_e32 v[0:1], 0
                                        ; implicit-def: $vgpr2
	s_and_saveexec_b32 s2, s0
	s_cbranch_execz .LBB2250_135
; %bb.132:
	v_mul_u32_u24_e32 v0, 0x44, v14
	v_dual_mov_b32 v1, 0x1800 :: v_dual_add_nc_u32 v2, 1, v14
	s_mov_b32 s3, exec_lo
	ds_load_b32 v0, v0 offset:64
	v_cmpx_ne_u32_e32 0x100, v2
; %bb.133:
	v_mul_u32_u24_e32 v1, 0x44, v2
	ds_load_b32 v1, v1 offset:64
; %bb.134:
	s_or_b32 exec_lo, exec_lo, s3
	s_wait_dscnt 0x0
	v_dual_mov_b32 v1, 0 :: v_dual_sub_nc_u32 v2, v1, v0
.LBB2250_135:
	s_or_b32 exec_lo, exec_lo, s2
	s_wait_dscnt 0xa
	v_dual_lshlrev_b32 v9, 1, v9 :: v_dual_lshlrev_b32 v23, 1, v60
	v_dual_lshlrev_b32 v18, 1, v18 :: v_dual_lshlrev_b32 v17, 1, v17
	v_lshlrev_b32_e32 v21, 1, v21
	s_delay_alu instid0(VALU_DEP_3)
	v_lshl_add_u32 v9, v59, 1, v9
	s_wait_dscnt 0x0
	s_barrier_signal -1
	v_add3_u32 v17, v23, v18, v17
	v_dual_lshlrev_b32 v18, 1, v19 :: v_dual_lshlrev_b32 v19, 1, v22
	s_barrier_wait -1
	ds_store_b16 v9, v8 offset:2048
	ds_store_b16 v17, v10 offset:2048
	v_lshlrev_b32_e32 v9, 1, v16
	v_add3_u32 v8, v18, v19, v21
	v_dual_lshlrev_b32 v10, 1, v26 :: v_dual_lshlrev_b32 v16, 1, v25
	v_dual_lshlrev_b32 v18, 1, v28 :: v_dual_lshlrev_b32 v19, 1, v33
	;; [unrolled: 1-line block ×6, first 2 shown]
	ds_store_b16 v8, v13 offset:2048
	v_add3_u32 v8, v9, v10, v16
	v_add3_u32 v10, v12, v19, v21
	v_dual_lshlrev_b32 v12, 1, v42 :: v_dual_lshlrev_b32 v13, 1, v41
	v_add3_u32 v9, v15, v17, v18
	v_add3_u32 v11, v11, v22, v23
	ds_store_b16 v8, v20 offset:2048
	ds_store_b16 v9, v24 offset:2048
	;; [unrolled: 1-line block ×4, first 2 shown]
	v_add3_u32 v7, v7, v12, v13
	v_dual_lshlrev_b32 v6, 1, v6 :: v_dual_lshlrev_b32 v9, 1, v45
	v_dual_lshlrev_b32 v8, 1, v46 :: v_dual_lshlrev_b32 v5, 1, v5
	;; [unrolled: 1-line block ×6, first 2 shown]
	ds_store_b16 v7, v36 offset:2048
	v_add3_u32 v6, v6, v8, v9
	v_add3_u32 v7, v5, v10, v11
	;; [unrolled: 1-line block ×3, first 2 shown]
	v_dual_mov_b32 v5, 0 :: v_dual_lshlrev_b32 v3, 3, v14
	v_add3_u32 v4, v4, v12, v13
	ds_store_b16 v6, v40 offset:2048
	ds_store_b16 v7, v44 offset:2048
	;; [unrolled: 1-line block ×4, first 2 shown]
	s_and_saveexec_b32 s1, s0
	s_cbranch_execz .LBB2250_145
; %bb.136:
	v_lshl_add_u32 v4, s23, 8, v14
	v_dual_mov_b32 v8, 0 :: v_dual_bitop2_b32 v9, 2.0, v2 bitop3:0x54
	s_mov_b32 s2, 0
	s_mov_b32 s3, s23
	s_delay_alu instid0(VALU_DEP_2)
	v_lshl_add_u64 v[6:7], v[4:5], 2, s[10:11]
	global_store_b32 v4, v9, s[10:11] scale_offset scope:SCOPE_DEV
                                        ; implicit-def: $sgpr0
	s_branch .LBB2250_139
.LBB2250_137:                           ;   in Loop: Header=BB2250_139 Depth=1
	s_or_b32 exec_lo, exec_lo, s5
.LBB2250_138:                           ;   in Loop: Header=BB2250_139 Depth=1
	s_delay_alu instid0(SALU_CYCLE_1) | instskip(SKIP_2) | instid1(VALU_DEP_2)
	s_or_b32 exec_lo, exec_lo, s4
	v_and_b32_e32 v4, 0x3fffffff, v9
	v_cmp_gt_i32_e64 s0, -2.0, v9
	v_add_nc_u32_e32 v8, v4, v8
	s_and_b32 s4, exec_lo, s0
	s_delay_alu instid0(SALU_CYCLE_1) | instskip(NEXT) | instid1(SALU_CYCLE_1)
	s_or_b32 s2, s4, s2
	s_and_not1_b32 exec_lo, exec_lo, s2
	s_cbranch_execz .LBB2250_144
.LBB2250_139:                           ; =>This Loop Header: Depth=1
                                        ;     Child Loop BB2250_142 Depth 2
	s_or_b32 s0, s0, exec_lo
	s_cmp_eq_u32 s3, 0
	s_cbranch_scc1 .LBB2250_143
; %bb.140:                              ;   in Loop: Header=BB2250_139 Depth=1
	s_add_co_i32 s3, s3, -1
	s_mov_b32 s4, exec_lo
	s_wait_xcnt 0x0
	v_lshl_or_b32 v4, s3, 8, v14
	global_load_b32 v9, v4, s[10:11] scale_offset scope:SCOPE_DEV
	s_wait_loadcnt 0x0
	v_cmpx_gt_u32_e32 2.0, v9
	s_cbranch_execz .LBB2250_138
; %bb.141:                              ;   in Loop: Header=BB2250_139 Depth=1
	v_lshl_add_u64 v[10:11], v[4:5], 2, s[10:11]
	s_mov_b32 s5, 0
.LBB2250_142:                           ;   Parent Loop BB2250_139 Depth=1
                                        ; =>  This Inner Loop Header: Depth=2
	global_load_b32 v9, v[10:11], off scope:SCOPE_DEV
	s_wait_loadcnt 0x0
	v_cmp_lt_u32_e64 s0, 0x3fffffff, v9
	s_or_b32 s5, s0, s5
	s_wait_xcnt 0x0
	s_and_not1_b32 exec_lo, exec_lo, s5
	s_cbranch_execnz .LBB2250_142
	s_branch .LBB2250_137
.LBB2250_143:                           ;   in Loop: Header=BB2250_139 Depth=1
                                        ; implicit-def: $sgpr3
	s_and_b32 s4, exec_lo, s0
	s_delay_alu instid0(SALU_CYCLE_1)
	s_or_b32 s2, s4, s2
	s_wait_xcnt 0x0
	s_and_not1_b32 exec_lo, exec_lo, s2
	s_cbranch_execnz .LBB2250_139
.LBB2250_144:
	s_or_b32 exec_lo, exec_lo, s2
	v_dual_mov_b32 v9, 0 :: v_dual_add_nc_u32 v4, v8, v2
	s_delay_alu instid0(VALU_DEP_1) | instskip(SKIP_4) | instid1(VALU_DEP_1)
	v_or_b32_e32 v4, 0x80000000, v4
	global_store_b32 v[6:7], v4, off scope:SCOPE_DEV
	global_load_b64 v[4:5], v14, s[12:13] scale_offset
	v_sub_nc_u64_e32 v[6:7], v[8:9], v[0:1]
	s_wait_loadcnt 0x0
	v_add_nc_u64_e32 v[4:5], v[6:7], v[4:5]
	ds_store_b64 v3, v[4:5]
.LBB2250_145:
	s_wait_xcnt 0x0
	s_or_b32 exec_lo, exec_lo, s1
	v_mad_i32_i24 v15, v14, -6, v3
	s_wait_storecnt_dscnt 0x0
	s_barrier_signal -1
	s_barrier_wait -1
	ds_load_u16 v16, v15 offset:2048
	ds_load_u16 v17, v15 offset:3072
	;; [unrolled: 1-line block ×8, first 2 shown]
	v_dual_mov_b32 v5, 0 :: v_dual_lshlrev_b32 v4, 1, v14
	s_add_co_i32 s8, s8, -1
	s_delay_alu instid0(SALU_CYCLE_1) | instskip(SKIP_2) | instid1(VALU_DEP_1)
	s_cmp_eq_u32 s23, s8
	s_wait_dscnt 0x7
	v_cmp_ne_u16_e64 s0, 0x7fff, v16
	v_cndmask_b32_e64 v6, 0xffff8000, v16, s0
	v_cmp_lt_i16_e64 s0, -1, v16
	s_delay_alu instid0(VALU_DEP_2) | instskip(NEXT) | instid1(VALU_DEP_2)
	v_and_b32_e32 v6, 0xffff, v6
	v_cndmask_b32_e64 v24, 0xffff8000, -1, s0
	s_wait_dscnt 0x6
	v_cmp_ne_u16_e64 s0, 0x7fff, v17
	s_delay_alu instid0(VALU_DEP_2) | instskip(NEXT) | instid1(VALU_DEP_2)
	v_xor_b32_e32 v24, v24, v16
	v_cndmask_b32_e64 v7, 0xffff8000, v17, s0
	s_wait_dscnt 0x5
	v_cmp_ne_u16_e64 s0, 0x7fff, v18
	s_delay_alu instid0(VALU_DEP_2) | instskip(NEXT) | instid1(VALU_DEP_2)
	v_and_b32_e32 v7, 0xffff, v7
	v_cndmask_b32_e64 v8, 0xffff8000, v18, s0
	s_wait_dscnt 0x4
	v_cmp_ne_u16_e64 s0, 0x7fff, v19
	s_delay_alu instid0(VALU_DEP_3) | instskip(NEXT) | instid1(VALU_DEP_3)
	v_dual_lshrrev_b32 v6, s20, v6 :: v_dual_lshrrev_b32 v7, s20, v7
	v_and_b32_e32 v8, 0xffff, v8
	s_delay_alu instid0(VALU_DEP_3) | instskip(SKIP_1) | instid1(VALU_DEP_4)
	v_cndmask_b32_e64 v9, 0xffff8000, v19, s0
	v_cmp_lt_i16_e64 s0, -1, v17
	v_and_b32_e32 v7, s9, v7
	v_and_b32_e32 v6, s9, v6
	s_delay_alu instid0(VALU_DEP_4) | instskip(NEXT) | instid1(VALU_DEP_4)
	v_and_b32_e32 v9, 0xffff, v9
	v_cndmask_b32_e64 v25, 0xffff8000, -1, s0
	s_wait_dscnt 0x3
	v_cmp_ne_u16_e64 s0, 0x7fff, v20
	v_dual_lshrrev_b32 v8, s20, v8 :: v_dual_lshlrev_b32 v11, 3, v7
	v_dual_lshrrev_b32 v9, s20, v9 :: v_dual_lshlrev_b32 v6, 3, v6
	s_delay_alu instid0(VALU_DEP_3) | instskip(SKIP_1) | instid1(VALU_DEP_2)
	v_cndmask_b32_e64 v10, 0xffff8000, v20, s0
	v_cmp_lt_i16_e64 s0, -1, v18
	v_and_b32_e32 v10, 0xffff, v10
	v_and_b32_e32 v8, s9, v8
	;; [unrolled: 1-line block ×3, first 2 shown]
	s_delay_alu instid0(VALU_DEP_4) | instskip(SKIP_1) | instid1(VALU_DEP_4)
	v_cndmask_b32_e64 v27, 0xffff8000, -1, s0
	v_cmp_lt_i16_e64 s0, -1, v19
	v_dual_lshrrev_b32 v26, s20, v10 :: v_dual_lshlrev_b32 v10, 3, v8
	s_delay_alu instid0(VALU_DEP_4)
	v_lshlrev_b32_e32 v12, 3, v9
	ds_load_b64 v[6:7], v6
	ds_load_b64 v[8:9], v11
	v_cndmask_b32_e64 v28, 0xffff8000, -1, s0
	s_wait_dscnt 0x4
	v_cmp_ne_u16_e64 s0, 0x7fff, v21
	v_and_b32_e32 v26, s9, v26
	ds_load_b64 v[10:11], v10
	ds_load_b64 v[12:13], v12
	v_xor_b32_e32 v19, v28, v19
	v_cndmask_b32_e64 v29, 0xffff8000, v21, s0
	s_wait_dscnt 0x5
	v_cmp_ne_u16_e64 s0, 0x7fff, v22
	v_lshlrev_b32_e32 v26, 3, v26
	s_delay_alu instid0(VALU_DEP_2) | instskip(SKIP_1) | instid1(VALU_DEP_2)
	v_cndmask_b32_e64 v30, 0xffff8000, v22, s0
	v_cmp_lt_i16_e64 s0, -1, v20
	v_and_b32_e32 v28, 0xffff, v30
	s_wait_dscnt 0x3
	v_lshl_add_u64 v[6:7], v[6:7], 1, s[18:19]
	v_xor_b32_e32 v18, v27, v18
	v_and_b32_e32 v27, 0xffff, v29
	v_xor_b32_e32 v25, v25, v17
	ds_load_b64 v[16:17], v26
	ds_load_u16 v26, v15 offset:10240
	ds_load_u16 v31, v15 offset:11264
	ds_load_u16 v32, v15 offset:12288
	ds_load_u16 v15, v15 offset:13312
	s_wait_dscnt 0x7
	v_lshl_add_u64 v[8:9], v[8:9], 1, s[18:19]
	s_wait_dscnt 0x6
	v_lshl_add_u64 v[10:11], v[10:11], 1, s[18:19]
	v_add_nc_u64_e32 v[6:7], v[6:7], v[4:5]
	s_wait_dscnt 0x5
	v_lshl_add_u64 v[12:13], v[12:13], 1, s[18:19]
	v_add_nc_u64_e32 v[8:9], v[8:9], v[4:5]
	v_add_nc_u64_e32 v[10:11], v[10:11], v[4:5]
	s_clause 0x1
	global_store_b16 v[6:7], v24, off
	global_store_b16 v[8:9], v25, off offset:1024
	s_wait_xcnt 0x1
	v_cndmask_b32_e64 v6, 0xffff8000, -1, s0
	v_cmp_ne_u16_e64 s0, 0x7fff, v23
	s_wait_xcnt 0x0
	v_dual_lshrrev_b32 v8, s20, v27 :: v_dual_lshrrev_b32 v9, s20, v28
	global_store_b16 v[10:11], v18, off offset:2048
	v_add_nc_u64_e32 v[12:13], v[12:13], v[4:5]
	s_wait_xcnt 0x0
	v_cndmask_b32_e64 v10, 0xffff8000, v23, s0
	s_wait_dscnt 0x3
	v_cmp_ne_u16_e64 s0, 0x7fff, v26
	v_and_b32_e32 v8, s9, v8
	v_and_b32_e32 v9, s9, v9
	s_delay_alu instid0(VALU_DEP_3)
	v_cndmask_b32_e64 v11, 0xffff8000, v26, s0
	s_wait_dscnt 0x2
	v_cmp_ne_u16_e64 s0, 0x7fff, v31
	v_lshlrev_b32_e32 v8, 3, v8
	global_store_b16 v[12:13], v19, off offset:3072
	s_wait_xcnt 0x0
	v_dual_lshlrev_b32 v13, 3, v9 :: v_dual_bitop2_b32 v12, v6, v20 bitop3:0x14
	v_lshl_add_u64 v[6:7], v[16:17], 1, s[18:19]
	v_and_b32_e32 v16, 0xffff, v10
	v_and_b32_e32 v17, 0xffff, v11
	v_cndmask_b32_e64 v18, 0xffff8000, v31, s0
	ds_load_b64 v[8:9], v8
	ds_load_b64 v[10:11], v13
	v_cmp_lt_i16_e64 s0, -1, v21
	v_dual_lshrrev_b32 v13, s20, v16 :: v_dual_lshrrev_b32 v16, s20, v17
	v_and_b32_e32 v17, 0xffff, v18
	v_add_nc_u64_e32 v[6:7], v[6:7], v[4:5]
	s_delay_alu instid0(VALU_DEP_4)
	v_cndmask_b32_e64 v18, 0xffff8000, -1, s0
	s_wait_dscnt 0x3
	v_cmp_ne_u16_e64 s0, 0x7fff, v32
	v_dual_lshrrev_b32 v17, s20, v17 :: v_dual_bitop2_b32 v16, s9, v16 bitop3:0x40
	v_and_b32_e32 v13, s9, v13
	global_store_b16 v[6:7], v12, off offset:4096
	s_wait_xcnt 0x0
	v_dual_lshlrev_b32 v12, 3, v16 :: v_dual_bitop2_b32 v16, s9, v17 bitop3:0x40
	v_cndmask_b32_e64 v17, 0xffff8000, v32, s0
	s_wait_dscnt 0x2
	v_cmp_ne_u16_e64 s0, 0x7fff, v15
	s_wait_dscnt 0x1
	v_lshl_add_u64 v[8:9], v[8:9], 1, s[18:19]
	v_and_b32_e32 v17, 0xffff, v17
	s_delay_alu instid0(VALU_DEP_3)
	v_cndmask_b32_e64 v19, 0xffff8000, v15, s0
	v_cmp_lt_i16_e64 s0, -1, v22
	s_wait_dscnt 0x0
	v_lshl_add_u64 v[10:11], v[10:11], 1, s[18:19]
	v_add_nc_u64_e32 v[8:9], v[8:9], v[4:5]
	v_lshrrev_b32_e32 v20, s20, v17
	v_and_b32_e32 v19, 0xffff, v19
	v_lshlrev_b32_e32 v6, 3, v13
	v_dual_lshlrev_b32 v16, 3, v16 :: v_dual_bitop2_b32 v18, v18, v21 bitop3:0x14
	v_cndmask_b32_e64 v21, 0xffff8000, -1, s0
	s_delay_alu instid0(VALU_DEP_4)
	v_lshrrev_b32_e32 v19, s20, v19
	ds_load_b64 v[6:7], v6
	ds_load_b64 v[12:13], v12
	v_add_nc_u64_e32 v[10:11], v[10:11], v[4:5]
	ds_load_b64 v[16:17], v16
	v_xor_b32_e32 v21, v21, v22
	v_and_b32_e32 v19, s9, v19
	v_and_b32_e32 v20, s9, v20
	v_cmp_lt_i16_e64 s0, -1, v23
	s_clause 0x1
	global_store_b16 v[8:9], v18, off offset:5120
	global_store_b16 v[10:11], v21, off offset:6144
	v_dual_lshlrev_b32 v19, 3, v19 :: v_dual_lshlrev_b32 v20, 3, v20
	v_cndmask_b32_e64 v22, 0xffff8000, -1, s0
	v_cmp_lt_i16_e64 s0, -1, v26
	s_wait_xcnt 0x0
	ds_load_b64 v[10:11], v19
	ds_load_b64 v[8:9], v20
	v_xor_b32_e32 v18, v22, v23
	v_cndmask_b32_e64 v19, 0xffff8000, -1, s0
	v_cmp_lt_i16_e64 s0, -1, v31
	s_wait_dscnt 0x4
	v_lshl_add_u64 v[6:7], v[6:7], 1, s[18:19]
	s_wait_dscnt 0x3
	v_lshl_add_u64 v[12:13], v[12:13], 1, s[18:19]
	;; [unrolled: 2-line block ×3, first 2 shown]
	v_cndmask_b32_e64 v20, 0xffff8000, -1, s0
	v_cmp_lt_i16_e64 s0, -1, v32
	v_add_nc_u64_e32 v[6:7], v[6:7], v[4:5]
	v_add_nc_u64_e32 v[12:13], v[12:13], v[4:5]
	;; [unrolled: 1-line block ×3, first 2 shown]
	v_xor_b32_e32 v19, v19, v26
	v_xor_b32_e32 v20, v20, v31
	v_cndmask_b32_e64 v21, 0xffff8000, -1, s0
	v_cmp_lt_i16_e64 s0, -1, v15
	s_clause 0x2
	global_store_b16 v[6:7], v18, off offset:7168
	global_store_b16 v[12:13], v19, off offset:8192
	;; [unrolled: 1-line block ×3, first 2 shown]
	s_wait_dscnt 0x0
	s_wait_xcnt 0x2
	v_lshl_add_u64 v[6:7], v[8:9], 1, s[18:19]
	v_lshl_add_u64 v[8:9], v[10:11], 1, s[18:19]
	v_cndmask_b32_e64 v10, 0xffff8000, -1, s0
	s_wait_xcnt 0x1
	v_xor_b32_e32 v12, v21, v32
	s_cselect_b32 s0, -1, 0
	v_add_nc_u64_e32 v[6:7], v[6:7], v[4:5]
	v_add_nc_u64_e32 v[8:9], v[8:9], v[4:5]
	v_xor_b32_e32 v4, v10, v15
	s_xor_b32 s1, vcc_lo, -1
	s_delay_alu instid0(SALU_CYCLE_1)
	s_and_b32 s0, s1, s0
	s_clause 0x1
	global_store_b16 v[6:7], v12, off offset:10240
	global_store_b16 v[8:9], v4, off offset:11264
	s_wait_xcnt 0x0
	s_and_saveexec_b32 s1, s0
	s_cbranch_execz .LBB2250_147
; %bb.146:
	ds_load_b64 v[6:7], v3
	v_mov_b32_e32 v3, v5
	s_delay_alu instid0(VALU_DEP_1) | instskip(SKIP_1) | instid1(VALU_DEP_1)
	v_add_nc_u64_e32 v[0:1], v[0:1], v[2:3]
	s_wait_dscnt 0x0
	v_add_nc_u64_e32 v[0:1], v[0:1], v[6:7]
	global_store_b64 v14, v[0:1], s[14:15] scale_offset
.LBB2250_147:
	s_sendmsg sendmsg(MSG_DEALLOC_VGPRS)
	s_endpgm
	.section	.rodata,"a",@progbits
	.p2align	6, 0x0
	.amdhsa_kernel _ZN7rocprim17ROCPRIM_400000_NS6detail17trampoline_kernelINS0_14default_configENS1_35radix_sort_onesweep_config_selectorI6__halfNS0_10empty_typeEEEZZNS1_29radix_sort_onesweep_iterationIS3_Lb0EPKS5_PS5_PS6_SC_mNS0_19identity_decomposerENS1_16block_id_wrapperIjLb1EEEEE10hipError_tT1_PNSt15iterator_traitsISH_E10value_typeET2_T3_PNSI_ISN_E10value_typeET4_T5_PSS_ST_PNS1_23onesweep_lookback_stateEbbT6_jjT7_P12ihipStream_tbENKUlT_T0_SH_SM_E_clISA_SB_SC_SC_EEDaS10_S11_SH_SM_EUlS10_E_NS1_11comp_targetILNS1_3genE0ELNS1_11target_archE4294967295ELNS1_3gpuE0ELNS1_3repE0EEENS1_47radix_sort_onesweep_sort_config_static_selectorELNS0_4arch9wavefront6targetE0EEEvSH_
		.amdhsa_group_segment_fixed_size 18504
		.amdhsa_private_segment_fixed_size 0
		.amdhsa_kernarg_size 344
		.amdhsa_user_sgpr_count 2
		.amdhsa_user_sgpr_dispatch_ptr 0
		.amdhsa_user_sgpr_queue_ptr 0
		.amdhsa_user_sgpr_kernarg_segment_ptr 1
		.amdhsa_user_sgpr_dispatch_id 0
		.amdhsa_user_sgpr_kernarg_preload_length 0
		.amdhsa_user_sgpr_kernarg_preload_offset 0
		.amdhsa_user_sgpr_private_segment_size 0
		.amdhsa_wavefront_size32 1
		.amdhsa_uses_dynamic_stack 0
		.amdhsa_enable_private_segment 0
		.amdhsa_system_sgpr_workgroup_id_x 1
		.amdhsa_system_sgpr_workgroup_id_y 0
		.amdhsa_system_sgpr_workgroup_id_z 0
		.amdhsa_system_sgpr_workgroup_info 0
		.amdhsa_system_vgpr_workitem_id 2
		.amdhsa_next_free_vgpr 65
		.amdhsa_next_free_sgpr 30
		.amdhsa_named_barrier_count 0
		.amdhsa_reserve_vcc 1
		.amdhsa_float_round_mode_32 0
		.amdhsa_float_round_mode_16_64 0
		.amdhsa_float_denorm_mode_32 3
		.amdhsa_float_denorm_mode_16_64 3
		.amdhsa_fp16_overflow 0
		.amdhsa_memory_ordered 1
		.amdhsa_forward_progress 1
		.amdhsa_inst_pref_size 148
		.amdhsa_round_robin_scheduling 0
		.amdhsa_exception_fp_ieee_invalid_op 0
		.amdhsa_exception_fp_denorm_src 0
		.amdhsa_exception_fp_ieee_div_zero 0
		.amdhsa_exception_fp_ieee_overflow 0
		.amdhsa_exception_fp_ieee_underflow 0
		.amdhsa_exception_fp_ieee_inexact 0
		.amdhsa_exception_int_div_zero 0
	.end_amdhsa_kernel
	.section	.text._ZN7rocprim17ROCPRIM_400000_NS6detail17trampoline_kernelINS0_14default_configENS1_35radix_sort_onesweep_config_selectorI6__halfNS0_10empty_typeEEEZZNS1_29radix_sort_onesweep_iterationIS3_Lb0EPKS5_PS5_PS6_SC_mNS0_19identity_decomposerENS1_16block_id_wrapperIjLb1EEEEE10hipError_tT1_PNSt15iterator_traitsISH_E10value_typeET2_T3_PNSI_ISN_E10value_typeET4_T5_PSS_ST_PNS1_23onesweep_lookback_stateEbbT6_jjT7_P12ihipStream_tbENKUlT_T0_SH_SM_E_clISA_SB_SC_SC_EEDaS10_S11_SH_SM_EUlS10_E_NS1_11comp_targetILNS1_3genE0ELNS1_11target_archE4294967295ELNS1_3gpuE0ELNS1_3repE0EEENS1_47radix_sort_onesweep_sort_config_static_selectorELNS0_4arch9wavefront6targetE0EEEvSH_,"axG",@progbits,_ZN7rocprim17ROCPRIM_400000_NS6detail17trampoline_kernelINS0_14default_configENS1_35radix_sort_onesweep_config_selectorI6__halfNS0_10empty_typeEEEZZNS1_29radix_sort_onesweep_iterationIS3_Lb0EPKS5_PS5_PS6_SC_mNS0_19identity_decomposerENS1_16block_id_wrapperIjLb1EEEEE10hipError_tT1_PNSt15iterator_traitsISH_E10value_typeET2_T3_PNSI_ISN_E10value_typeET4_T5_PSS_ST_PNS1_23onesweep_lookback_stateEbbT6_jjT7_P12ihipStream_tbENKUlT_T0_SH_SM_E_clISA_SB_SC_SC_EEDaS10_S11_SH_SM_EUlS10_E_NS1_11comp_targetILNS1_3genE0ELNS1_11target_archE4294967295ELNS1_3gpuE0ELNS1_3repE0EEENS1_47radix_sort_onesweep_sort_config_static_selectorELNS0_4arch9wavefront6targetE0EEEvSH_,comdat
.Lfunc_end2250:
	.size	_ZN7rocprim17ROCPRIM_400000_NS6detail17trampoline_kernelINS0_14default_configENS1_35radix_sort_onesweep_config_selectorI6__halfNS0_10empty_typeEEEZZNS1_29radix_sort_onesweep_iterationIS3_Lb0EPKS5_PS5_PS6_SC_mNS0_19identity_decomposerENS1_16block_id_wrapperIjLb1EEEEE10hipError_tT1_PNSt15iterator_traitsISH_E10value_typeET2_T3_PNSI_ISN_E10value_typeET4_T5_PSS_ST_PNS1_23onesweep_lookback_stateEbbT6_jjT7_P12ihipStream_tbENKUlT_T0_SH_SM_E_clISA_SB_SC_SC_EEDaS10_S11_SH_SM_EUlS10_E_NS1_11comp_targetILNS1_3genE0ELNS1_11target_archE4294967295ELNS1_3gpuE0ELNS1_3repE0EEENS1_47radix_sort_onesweep_sort_config_static_selectorELNS0_4arch9wavefront6targetE0EEEvSH_, .Lfunc_end2250-_ZN7rocprim17ROCPRIM_400000_NS6detail17trampoline_kernelINS0_14default_configENS1_35radix_sort_onesweep_config_selectorI6__halfNS0_10empty_typeEEEZZNS1_29radix_sort_onesweep_iterationIS3_Lb0EPKS5_PS5_PS6_SC_mNS0_19identity_decomposerENS1_16block_id_wrapperIjLb1EEEEE10hipError_tT1_PNSt15iterator_traitsISH_E10value_typeET2_T3_PNSI_ISN_E10value_typeET4_T5_PSS_ST_PNS1_23onesweep_lookback_stateEbbT6_jjT7_P12ihipStream_tbENKUlT_T0_SH_SM_E_clISA_SB_SC_SC_EEDaS10_S11_SH_SM_EUlS10_E_NS1_11comp_targetILNS1_3genE0ELNS1_11target_archE4294967295ELNS1_3gpuE0ELNS1_3repE0EEENS1_47radix_sort_onesweep_sort_config_static_selectorELNS0_4arch9wavefront6targetE0EEEvSH_
                                        ; -- End function
	.set _ZN7rocprim17ROCPRIM_400000_NS6detail17trampoline_kernelINS0_14default_configENS1_35radix_sort_onesweep_config_selectorI6__halfNS0_10empty_typeEEEZZNS1_29radix_sort_onesweep_iterationIS3_Lb0EPKS5_PS5_PS6_SC_mNS0_19identity_decomposerENS1_16block_id_wrapperIjLb1EEEEE10hipError_tT1_PNSt15iterator_traitsISH_E10value_typeET2_T3_PNSI_ISN_E10value_typeET4_T5_PSS_ST_PNS1_23onesweep_lookback_stateEbbT6_jjT7_P12ihipStream_tbENKUlT_T0_SH_SM_E_clISA_SB_SC_SC_EEDaS10_S11_SH_SM_EUlS10_E_NS1_11comp_targetILNS1_3genE0ELNS1_11target_archE4294967295ELNS1_3gpuE0ELNS1_3repE0EEENS1_47radix_sort_onesweep_sort_config_static_selectorELNS0_4arch9wavefront6targetE0EEEvSH_.num_vgpr, 65
	.set _ZN7rocprim17ROCPRIM_400000_NS6detail17trampoline_kernelINS0_14default_configENS1_35radix_sort_onesweep_config_selectorI6__halfNS0_10empty_typeEEEZZNS1_29radix_sort_onesweep_iterationIS3_Lb0EPKS5_PS5_PS6_SC_mNS0_19identity_decomposerENS1_16block_id_wrapperIjLb1EEEEE10hipError_tT1_PNSt15iterator_traitsISH_E10value_typeET2_T3_PNSI_ISN_E10value_typeET4_T5_PSS_ST_PNS1_23onesweep_lookback_stateEbbT6_jjT7_P12ihipStream_tbENKUlT_T0_SH_SM_E_clISA_SB_SC_SC_EEDaS10_S11_SH_SM_EUlS10_E_NS1_11comp_targetILNS1_3genE0ELNS1_11target_archE4294967295ELNS1_3gpuE0ELNS1_3repE0EEENS1_47radix_sort_onesweep_sort_config_static_selectorELNS0_4arch9wavefront6targetE0EEEvSH_.num_agpr, 0
	.set _ZN7rocprim17ROCPRIM_400000_NS6detail17trampoline_kernelINS0_14default_configENS1_35radix_sort_onesweep_config_selectorI6__halfNS0_10empty_typeEEEZZNS1_29radix_sort_onesweep_iterationIS3_Lb0EPKS5_PS5_PS6_SC_mNS0_19identity_decomposerENS1_16block_id_wrapperIjLb1EEEEE10hipError_tT1_PNSt15iterator_traitsISH_E10value_typeET2_T3_PNSI_ISN_E10value_typeET4_T5_PSS_ST_PNS1_23onesweep_lookback_stateEbbT6_jjT7_P12ihipStream_tbENKUlT_T0_SH_SM_E_clISA_SB_SC_SC_EEDaS10_S11_SH_SM_EUlS10_E_NS1_11comp_targetILNS1_3genE0ELNS1_11target_archE4294967295ELNS1_3gpuE0ELNS1_3repE0EEENS1_47radix_sort_onesweep_sort_config_static_selectorELNS0_4arch9wavefront6targetE0EEEvSH_.numbered_sgpr, 30
	.set _ZN7rocprim17ROCPRIM_400000_NS6detail17trampoline_kernelINS0_14default_configENS1_35radix_sort_onesweep_config_selectorI6__halfNS0_10empty_typeEEEZZNS1_29radix_sort_onesweep_iterationIS3_Lb0EPKS5_PS5_PS6_SC_mNS0_19identity_decomposerENS1_16block_id_wrapperIjLb1EEEEE10hipError_tT1_PNSt15iterator_traitsISH_E10value_typeET2_T3_PNSI_ISN_E10value_typeET4_T5_PSS_ST_PNS1_23onesweep_lookback_stateEbbT6_jjT7_P12ihipStream_tbENKUlT_T0_SH_SM_E_clISA_SB_SC_SC_EEDaS10_S11_SH_SM_EUlS10_E_NS1_11comp_targetILNS1_3genE0ELNS1_11target_archE4294967295ELNS1_3gpuE0ELNS1_3repE0EEENS1_47radix_sort_onesweep_sort_config_static_selectorELNS0_4arch9wavefront6targetE0EEEvSH_.num_named_barrier, 0
	.set _ZN7rocprim17ROCPRIM_400000_NS6detail17trampoline_kernelINS0_14default_configENS1_35radix_sort_onesweep_config_selectorI6__halfNS0_10empty_typeEEEZZNS1_29radix_sort_onesweep_iterationIS3_Lb0EPKS5_PS5_PS6_SC_mNS0_19identity_decomposerENS1_16block_id_wrapperIjLb1EEEEE10hipError_tT1_PNSt15iterator_traitsISH_E10value_typeET2_T3_PNSI_ISN_E10value_typeET4_T5_PSS_ST_PNS1_23onesweep_lookback_stateEbbT6_jjT7_P12ihipStream_tbENKUlT_T0_SH_SM_E_clISA_SB_SC_SC_EEDaS10_S11_SH_SM_EUlS10_E_NS1_11comp_targetILNS1_3genE0ELNS1_11target_archE4294967295ELNS1_3gpuE0ELNS1_3repE0EEENS1_47radix_sort_onesweep_sort_config_static_selectorELNS0_4arch9wavefront6targetE0EEEvSH_.private_seg_size, 0
	.set _ZN7rocprim17ROCPRIM_400000_NS6detail17trampoline_kernelINS0_14default_configENS1_35radix_sort_onesweep_config_selectorI6__halfNS0_10empty_typeEEEZZNS1_29radix_sort_onesweep_iterationIS3_Lb0EPKS5_PS5_PS6_SC_mNS0_19identity_decomposerENS1_16block_id_wrapperIjLb1EEEEE10hipError_tT1_PNSt15iterator_traitsISH_E10value_typeET2_T3_PNSI_ISN_E10value_typeET4_T5_PSS_ST_PNS1_23onesweep_lookback_stateEbbT6_jjT7_P12ihipStream_tbENKUlT_T0_SH_SM_E_clISA_SB_SC_SC_EEDaS10_S11_SH_SM_EUlS10_E_NS1_11comp_targetILNS1_3genE0ELNS1_11target_archE4294967295ELNS1_3gpuE0ELNS1_3repE0EEENS1_47radix_sort_onesweep_sort_config_static_selectorELNS0_4arch9wavefront6targetE0EEEvSH_.uses_vcc, 1
	.set _ZN7rocprim17ROCPRIM_400000_NS6detail17trampoline_kernelINS0_14default_configENS1_35radix_sort_onesweep_config_selectorI6__halfNS0_10empty_typeEEEZZNS1_29radix_sort_onesweep_iterationIS3_Lb0EPKS5_PS5_PS6_SC_mNS0_19identity_decomposerENS1_16block_id_wrapperIjLb1EEEEE10hipError_tT1_PNSt15iterator_traitsISH_E10value_typeET2_T3_PNSI_ISN_E10value_typeET4_T5_PSS_ST_PNS1_23onesweep_lookback_stateEbbT6_jjT7_P12ihipStream_tbENKUlT_T0_SH_SM_E_clISA_SB_SC_SC_EEDaS10_S11_SH_SM_EUlS10_E_NS1_11comp_targetILNS1_3genE0ELNS1_11target_archE4294967295ELNS1_3gpuE0ELNS1_3repE0EEENS1_47radix_sort_onesweep_sort_config_static_selectorELNS0_4arch9wavefront6targetE0EEEvSH_.uses_flat_scratch, 0
	.set _ZN7rocprim17ROCPRIM_400000_NS6detail17trampoline_kernelINS0_14default_configENS1_35radix_sort_onesweep_config_selectorI6__halfNS0_10empty_typeEEEZZNS1_29radix_sort_onesweep_iterationIS3_Lb0EPKS5_PS5_PS6_SC_mNS0_19identity_decomposerENS1_16block_id_wrapperIjLb1EEEEE10hipError_tT1_PNSt15iterator_traitsISH_E10value_typeET2_T3_PNSI_ISN_E10value_typeET4_T5_PSS_ST_PNS1_23onesweep_lookback_stateEbbT6_jjT7_P12ihipStream_tbENKUlT_T0_SH_SM_E_clISA_SB_SC_SC_EEDaS10_S11_SH_SM_EUlS10_E_NS1_11comp_targetILNS1_3genE0ELNS1_11target_archE4294967295ELNS1_3gpuE0ELNS1_3repE0EEENS1_47radix_sort_onesweep_sort_config_static_selectorELNS0_4arch9wavefront6targetE0EEEvSH_.has_dyn_sized_stack, 0
	.set _ZN7rocprim17ROCPRIM_400000_NS6detail17trampoline_kernelINS0_14default_configENS1_35radix_sort_onesweep_config_selectorI6__halfNS0_10empty_typeEEEZZNS1_29radix_sort_onesweep_iterationIS3_Lb0EPKS5_PS5_PS6_SC_mNS0_19identity_decomposerENS1_16block_id_wrapperIjLb1EEEEE10hipError_tT1_PNSt15iterator_traitsISH_E10value_typeET2_T3_PNSI_ISN_E10value_typeET4_T5_PSS_ST_PNS1_23onesweep_lookback_stateEbbT6_jjT7_P12ihipStream_tbENKUlT_T0_SH_SM_E_clISA_SB_SC_SC_EEDaS10_S11_SH_SM_EUlS10_E_NS1_11comp_targetILNS1_3genE0ELNS1_11target_archE4294967295ELNS1_3gpuE0ELNS1_3repE0EEENS1_47radix_sort_onesweep_sort_config_static_selectorELNS0_4arch9wavefront6targetE0EEEvSH_.has_recursion, 0
	.set _ZN7rocprim17ROCPRIM_400000_NS6detail17trampoline_kernelINS0_14default_configENS1_35radix_sort_onesweep_config_selectorI6__halfNS0_10empty_typeEEEZZNS1_29radix_sort_onesweep_iterationIS3_Lb0EPKS5_PS5_PS6_SC_mNS0_19identity_decomposerENS1_16block_id_wrapperIjLb1EEEEE10hipError_tT1_PNSt15iterator_traitsISH_E10value_typeET2_T3_PNSI_ISN_E10value_typeET4_T5_PSS_ST_PNS1_23onesweep_lookback_stateEbbT6_jjT7_P12ihipStream_tbENKUlT_T0_SH_SM_E_clISA_SB_SC_SC_EEDaS10_S11_SH_SM_EUlS10_E_NS1_11comp_targetILNS1_3genE0ELNS1_11target_archE4294967295ELNS1_3gpuE0ELNS1_3repE0EEENS1_47radix_sort_onesweep_sort_config_static_selectorELNS0_4arch9wavefront6targetE0EEEvSH_.has_indirect_call, 0
	.section	.AMDGPU.csdata,"",@progbits
; Kernel info:
; codeLenInByte = 18912
; TotalNumSgprs: 32
; NumVgprs: 65
; ScratchSize: 0
; MemoryBound: 0
; FloatMode: 240
; IeeeMode: 1
; LDSByteSize: 18504 bytes/workgroup (compile time only)
; SGPRBlocks: 0
; VGPRBlocks: 4
; NumSGPRsForWavesPerEU: 32
; NumVGPRsForWavesPerEU: 65
; NamedBarCnt: 0
; Occupancy: 12
; WaveLimiterHint : 0
; COMPUTE_PGM_RSRC2:SCRATCH_EN: 0
; COMPUTE_PGM_RSRC2:USER_SGPR: 2
; COMPUTE_PGM_RSRC2:TRAP_HANDLER: 0
; COMPUTE_PGM_RSRC2:TGID_X_EN: 1
; COMPUTE_PGM_RSRC2:TGID_Y_EN: 0
; COMPUTE_PGM_RSRC2:TGID_Z_EN: 0
; COMPUTE_PGM_RSRC2:TIDIG_COMP_CNT: 2
	.section	.text._ZN7rocprim17ROCPRIM_400000_NS6detail17trampoline_kernelINS0_14default_configENS1_35radix_sort_onesweep_config_selectorI6__halfNS0_10empty_typeEEEZZNS1_29radix_sort_onesweep_iterationIS3_Lb0EPKS5_PS5_PS6_SC_mNS0_19identity_decomposerENS1_16block_id_wrapperIjLb1EEEEE10hipError_tT1_PNSt15iterator_traitsISH_E10value_typeET2_T3_PNSI_ISN_E10value_typeET4_T5_PSS_ST_PNS1_23onesweep_lookback_stateEbbT6_jjT7_P12ihipStream_tbENKUlT_T0_SH_SM_E_clISA_SB_SC_SC_EEDaS10_S11_SH_SM_EUlS10_E_NS1_11comp_targetILNS1_3genE6ELNS1_11target_archE950ELNS1_3gpuE13ELNS1_3repE0EEENS1_47radix_sort_onesweep_sort_config_static_selectorELNS0_4arch9wavefront6targetE0EEEvSH_,"axG",@progbits,_ZN7rocprim17ROCPRIM_400000_NS6detail17trampoline_kernelINS0_14default_configENS1_35radix_sort_onesweep_config_selectorI6__halfNS0_10empty_typeEEEZZNS1_29radix_sort_onesweep_iterationIS3_Lb0EPKS5_PS5_PS6_SC_mNS0_19identity_decomposerENS1_16block_id_wrapperIjLb1EEEEE10hipError_tT1_PNSt15iterator_traitsISH_E10value_typeET2_T3_PNSI_ISN_E10value_typeET4_T5_PSS_ST_PNS1_23onesweep_lookback_stateEbbT6_jjT7_P12ihipStream_tbENKUlT_T0_SH_SM_E_clISA_SB_SC_SC_EEDaS10_S11_SH_SM_EUlS10_E_NS1_11comp_targetILNS1_3genE6ELNS1_11target_archE950ELNS1_3gpuE13ELNS1_3repE0EEENS1_47radix_sort_onesweep_sort_config_static_selectorELNS0_4arch9wavefront6targetE0EEEvSH_,comdat
	.protected	_ZN7rocprim17ROCPRIM_400000_NS6detail17trampoline_kernelINS0_14default_configENS1_35radix_sort_onesweep_config_selectorI6__halfNS0_10empty_typeEEEZZNS1_29radix_sort_onesweep_iterationIS3_Lb0EPKS5_PS5_PS6_SC_mNS0_19identity_decomposerENS1_16block_id_wrapperIjLb1EEEEE10hipError_tT1_PNSt15iterator_traitsISH_E10value_typeET2_T3_PNSI_ISN_E10value_typeET4_T5_PSS_ST_PNS1_23onesweep_lookback_stateEbbT6_jjT7_P12ihipStream_tbENKUlT_T0_SH_SM_E_clISA_SB_SC_SC_EEDaS10_S11_SH_SM_EUlS10_E_NS1_11comp_targetILNS1_3genE6ELNS1_11target_archE950ELNS1_3gpuE13ELNS1_3repE0EEENS1_47radix_sort_onesweep_sort_config_static_selectorELNS0_4arch9wavefront6targetE0EEEvSH_ ; -- Begin function _ZN7rocprim17ROCPRIM_400000_NS6detail17trampoline_kernelINS0_14default_configENS1_35radix_sort_onesweep_config_selectorI6__halfNS0_10empty_typeEEEZZNS1_29radix_sort_onesweep_iterationIS3_Lb0EPKS5_PS5_PS6_SC_mNS0_19identity_decomposerENS1_16block_id_wrapperIjLb1EEEEE10hipError_tT1_PNSt15iterator_traitsISH_E10value_typeET2_T3_PNSI_ISN_E10value_typeET4_T5_PSS_ST_PNS1_23onesweep_lookback_stateEbbT6_jjT7_P12ihipStream_tbENKUlT_T0_SH_SM_E_clISA_SB_SC_SC_EEDaS10_S11_SH_SM_EUlS10_E_NS1_11comp_targetILNS1_3genE6ELNS1_11target_archE950ELNS1_3gpuE13ELNS1_3repE0EEENS1_47radix_sort_onesweep_sort_config_static_selectorELNS0_4arch9wavefront6targetE0EEEvSH_
	.globl	_ZN7rocprim17ROCPRIM_400000_NS6detail17trampoline_kernelINS0_14default_configENS1_35radix_sort_onesweep_config_selectorI6__halfNS0_10empty_typeEEEZZNS1_29radix_sort_onesweep_iterationIS3_Lb0EPKS5_PS5_PS6_SC_mNS0_19identity_decomposerENS1_16block_id_wrapperIjLb1EEEEE10hipError_tT1_PNSt15iterator_traitsISH_E10value_typeET2_T3_PNSI_ISN_E10value_typeET4_T5_PSS_ST_PNS1_23onesweep_lookback_stateEbbT6_jjT7_P12ihipStream_tbENKUlT_T0_SH_SM_E_clISA_SB_SC_SC_EEDaS10_S11_SH_SM_EUlS10_E_NS1_11comp_targetILNS1_3genE6ELNS1_11target_archE950ELNS1_3gpuE13ELNS1_3repE0EEENS1_47radix_sort_onesweep_sort_config_static_selectorELNS0_4arch9wavefront6targetE0EEEvSH_
	.p2align	8
	.type	_ZN7rocprim17ROCPRIM_400000_NS6detail17trampoline_kernelINS0_14default_configENS1_35radix_sort_onesweep_config_selectorI6__halfNS0_10empty_typeEEEZZNS1_29radix_sort_onesweep_iterationIS3_Lb0EPKS5_PS5_PS6_SC_mNS0_19identity_decomposerENS1_16block_id_wrapperIjLb1EEEEE10hipError_tT1_PNSt15iterator_traitsISH_E10value_typeET2_T3_PNSI_ISN_E10value_typeET4_T5_PSS_ST_PNS1_23onesweep_lookback_stateEbbT6_jjT7_P12ihipStream_tbENKUlT_T0_SH_SM_E_clISA_SB_SC_SC_EEDaS10_S11_SH_SM_EUlS10_E_NS1_11comp_targetILNS1_3genE6ELNS1_11target_archE950ELNS1_3gpuE13ELNS1_3repE0EEENS1_47radix_sort_onesweep_sort_config_static_selectorELNS0_4arch9wavefront6targetE0EEEvSH_,@function
_ZN7rocprim17ROCPRIM_400000_NS6detail17trampoline_kernelINS0_14default_configENS1_35radix_sort_onesweep_config_selectorI6__halfNS0_10empty_typeEEEZZNS1_29radix_sort_onesweep_iterationIS3_Lb0EPKS5_PS5_PS6_SC_mNS0_19identity_decomposerENS1_16block_id_wrapperIjLb1EEEEE10hipError_tT1_PNSt15iterator_traitsISH_E10value_typeET2_T3_PNSI_ISN_E10value_typeET4_T5_PSS_ST_PNS1_23onesweep_lookback_stateEbbT6_jjT7_P12ihipStream_tbENKUlT_T0_SH_SM_E_clISA_SB_SC_SC_EEDaS10_S11_SH_SM_EUlS10_E_NS1_11comp_targetILNS1_3genE6ELNS1_11target_archE950ELNS1_3gpuE13ELNS1_3repE0EEENS1_47radix_sort_onesweep_sort_config_static_selectorELNS0_4arch9wavefront6targetE0EEEvSH_: ; @_ZN7rocprim17ROCPRIM_400000_NS6detail17trampoline_kernelINS0_14default_configENS1_35radix_sort_onesweep_config_selectorI6__halfNS0_10empty_typeEEEZZNS1_29radix_sort_onesweep_iterationIS3_Lb0EPKS5_PS5_PS6_SC_mNS0_19identity_decomposerENS1_16block_id_wrapperIjLb1EEEEE10hipError_tT1_PNSt15iterator_traitsISH_E10value_typeET2_T3_PNSI_ISN_E10value_typeET4_T5_PSS_ST_PNS1_23onesweep_lookback_stateEbbT6_jjT7_P12ihipStream_tbENKUlT_T0_SH_SM_E_clISA_SB_SC_SC_EEDaS10_S11_SH_SM_EUlS10_E_NS1_11comp_targetILNS1_3genE6ELNS1_11target_archE950ELNS1_3gpuE13ELNS1_3repE0EEENS1_47radix_sort_onesweep_sort_config_static_selectorELNS0_4arch9wavefront6targetE0EEEvSH_
; %bb.0:
	.section	.rodata,"a",@progbits
	.p2align	6, 0x0
	.amdhsa_kernel _ZN7rocprim17ROCPRIM_400000_NS6detail17trampoline_kernelINS0_14default_configENS1_35radix_sort_onesweep_config_selectorI6__halfNS0_10empty_typeEEEZZNS1_29radix_sort_onesweep_iterationIS3_Lb0EPKS5_PS5_PS6_SC_mNS0_19identity_decomposerENS1_16block_id_wrapperIjLb1EEEEE10hipError_tT1_PNSt15iterator_traitsISH_E10value_typeET2_T3_PNSI_ISN_E10value_typeET4_T5_PSS_ST_PNS1_23onesweep_lookback_stateEbbT6_jjT7_P12ihipStream_tbENKUlT_T0_SH_SM_E_clISA_SB_SC_SC_EEDaS10_S11_SH_SM_EUlS10_E_NS1_11comp_targetILNS1_3genE6ELNS1_11target_archE950ELNS1_3gpuE13ELNS1_3repE0EEENS1_47radix_sort_onesweep_sort_config_static_selectorELNS0_4arch9wavefront6targetE0EEEvSH_
		.amdhsa_group_segment_fixed_size 0
		.amdhsa_private_segment_fixed_size 0
		.amdhsa_kernarg_size 88
		.amdhsa_user_sgpr_count 2
		.amdhsa_user_sgpr_dispatch_ptr 0
		.amdhsa_user_sgpr_queue_ptr 0
		.amdhsa_user_sgpr_kernarg_segment_ptr 1
		.amdhsa_user_sgpr_dispatch_id 0
		.amdhsa_user_sgpr_kernarg_preload_length 0
		.amdhsa_user_sgpr_kernarg_preload_offset 0
		.amdhsa_user_sgpr_private_segment_size 0
		.amdhsa_wavefront_size32 1
		.amdhsa_uses_dynamic_stack 0
		.amdhsa_enable_private_segment 0
		.amdhsa_system_sgpr_workgroup_id_x 1
		.amdhsa_system_sgpr_workgroup_id_y 0
		.amdhsa_system_sgpr_workgroup_id_z 0
		.amdhsa_system_sgpr_workgroup_info 0
		.amdhsa_system_vgpr_workitem_id 0
		.amdhsa_next_free_vgpr 1
		.amdhsa_next_free_sgpr 1
		.amdhsa_named_barrier_count 0
		.amdhsa_reserve_vcc 0
		.amdhsa_float_round_mode_32 0
		.amdhsa_float_round_mode_16_64 0
		.amdhsa_float_denorm_mode_32 3
		.amdhsa_float_denorm_mode_16_64 3
		.amdhsa_fp16_overflow 0
		.amdhsa_memory_ordered 1
		.amdhsa_forward_progress 1
		.amdhsa_inst_pref_size 0
		.amdhsa_round_robin_scheduling 0
		.amdhsa_exception_fp_ieee_invalid_op 0
		.amdhsa_exception_fp_denorm_src 0
		.amdhsa_exception_fp_ieee_div_zero 0
		.amdhsa_exception_fp_ieee_overflow 0
		.amdhsa_exception_fp_ieee_underflow 0
		.amdhsa_exception_fp_ieee_inexact 0
		.amdhsa_exception_int_div_zero 0
	.end_amdhsa_kernel
	.section	.text._ZN7rocprim17ROCPRIM_400000_NS6detail17trampoline_kernelINS0_14default_configENS1_35radix_sort_onesweep_config_selectorI6__halfNS0_10empty_typeEEEZZNS1_29radix_sort_onesweep_iterationIS3_Lb0EPKS5_PS5_PS6_SC_mNS0_19identity_decomposerENS1_16block_id_wrapperIjLb1EEEEE10hipError_tT1_PNSt15iterator_traitsISH_E10value_typeET2_T3_PNSI_ISN_E10value_typeET4_T5_PSS_ST_PNS1_23onesweep_lookback_stateEbbT6_jjT7_P12ihipStream_tbENKUlT_T0_SH_SM_E_clISA_SB_SC_SC_EEDaS10_S11_SH_SM_EUlS10_E_NS1_11comp_targetILNS1_3genE6ELNS1_11target_archE950ELNS1_3gpuE13ELNS1_3repE0EEENS1_47radix_sort_onesweep_sort_config_static_selectorELNS0_4arch9wavefront6targetE0EEEvSH_,"axG",@progbits,_ZN7rocprim17ROCPRIM_400000_NS6detail17trampoline_kernelINS0_14default_configENS1_35radix_sort_onesweep_config_selectorI6__halfNS0_10empty_typeEEEZZNS1_29radix_sort_onesweep_iterationIS3_Lb0EPKS5_PS5_PS6_SC_mNS0_19identity_decomposerENS1_16block_id_wrapperIjLb1EEEEE10hipError_tT1_PNSt15iterator_traitsISH_E10value_typeET2_T3_PNSI_ISN_E10value_typeET4_T5_PSS_ST_PNS1_23onesweep_lookback_stateEbbT6_jjT7_P12ihipStream_tbENKUlT_T0_SH_SM_E_clISA_SB_SC_SC_EEDaS10_S11_SH_SM_EUlS10_E_NS1_11comp_targetILNS1_3genE6ELNS1_11target_archE950ELNS1_3gpuE13ELNS1_3repE0EEENS1_47radix_sort_onesweep_sort_config_static_selectorELNS0_4arch9wavefront6targetE0EEEvSH_,comdat
.Lfunc_end2251:
	.size	_ZN7rocprim17ROCPRIM_400000_NS6detail17trampoline_kernelINS0_14default_configENS1_35radix_sort_onesweep_config_selectorI6__halfNS0_10empty_typeEEEZZNS1_29radix_sort_onesweep_iterationIS3_Lb0EPKS5_PS5_PS6_SC_mNS0_19identity_decomposerENS1_16block_id_wrapperIjLb1EEEEE10hipError_tT1_PNSt15iterator_traitsISH_E10value_typeET2_T3_PNSI_ISN_E10value_typeET4_T5_PSS_ST_PNS1_23onesweep_lookback_stateEbbT6_jjT7_P12ihipStream_tbENKUlT_T0_SH_SM_E_clISA_SB_SC_SC_EEDaS10_S11_SH_SM_EUlS10_E_NS1_11comp_targetILNS1_3genE6ELNS1_11target_archE950ELNS1_3gpuE13ELNS1_3repE0EEENS1_47radix_sort_onesweep_sort_config_static_selectorELNS0_4arch9wavefront6targetE0EEEvSH_, .Lfunc_end2251-_ZN7rocprim17ROCPRIM_400000_NS6detail17trampoline_kernelINS0_14default_configENS1_35radix_sort_onesweep_config_selectorI6__halfNS0_10empty_typeEEEZZNS1_29radix_sort_onesweep_iterationIS3_Lb0EPKS5_PS5_PS6_SC_mNS0_19identity_decomposerENS1_16block_id_wrapperIjLb1EEEEE10hipError_tT1_PNSt15iterator_traitsISH_E10value_typeET2_T3_PNSI_ISN_E10value_typeET4_T5_PSS_ST_PNS1_23onesweep_lookback_stateEbbT6_jjT7_P12ihipStream_tbENKUlT_T0_SH_SM_E_clISA_SB_SC_SC_EEDaS10_S11_SH_SM_EUlS10_E_NS1_11comp_targetILNS1_3genE6ELNS1_11target_archE950ELNS1_3gpuE13ELNS1_3repE0EEENS1_47radix_sort_onesweep_sort_config_static_selectorELNS0_4arch9wavefront6targetE0EEEvSH_
                                        ; -- End function
	.set _ZN7rocprim17ROCPRIM_400000_NS6detail17trampoline_kernelINS0_14default_configENS1_35radix_sort_onesweep_config_selectorI6__halfNS0_10empty_typeEEEZZNS1_29radix_sort_onesweep_iterationIS3_Lb0EPKS5_PS5_PS6_SC_mNS0_19identity_decomposerENS1_16block_id_wrapperIjLb1EEEEE10hipError_tT1_PNSt15iterator_traitsISH_E10value_typeET2_T3_PNSI_ISN_E10value_typeET4_T5_PSS_ST_PNS1_23onesweep_lookback_stateEbbT6_jjT7_P12ihipStream_tbENKUlT_T0_SH_SM_E_clISA_SB_SC_SC_EEDaS10_S11_SH_SM_EUlS10_E_NS1_11comp_targetILNS1_3genE6ELNS1_11target_archE950ELNS1_3gpuE13ELNS1_3repE0EEENS1_47radix_sort_onesweep_sort_config_static_selectorELNS0_4arch9wavefront6targetE0EEEvSH_.num_vgpr, 0
	.set _ZN7rocprim17ROCPRIM_400000_NS6detail17trampoline_kernelINS0_14default_configENS1_35radix_sort_onesweep_config_selectorI6__halfNS0_10empty_typeEEEZZNS1_29radix_sort_onesweep_iterationIS3_Lb0EPKS5_PS5_PS6_SC_mNS0_19identity_decomposerENS1_16block_id_wrapperIjLb1EEEEE10hipError_tT1_PNSt15iterator_traitsISH_E10value_typeET2_T3_PNSI_ISN_E10value_typeET4_T5_PSS_ST_PNS1_23onesweep_lookback_stateEbbT6_jjT7_P12ihipStream_tbENKUlT_T0_SH_SM_E_clISA_SB_SC_SC_EEDaS10_S11_SH_SM_EUlS10_E_NS1_11comp_targetILNS1_3genE6ELNS1_11target_archE950ELNS1_3gpuE13ELNS1_3repE0EEENS1_47radix_sort_onesweep_sort_config_static_selectorELNS0_4arch9wavefront6targetE0EEEvSH_.num_agpr, 0
	.set _ZN7rocprim17ROCPRIM_400000_NS6detail17trampoline_kernelINS0_14default_configENS1_35radix_sort_onesweep_config_selectorI6__halfNS0_10empty_typeEEEZZNS1_29radix_sort_onesweep_iterationIS3_Lb0EPKS5_PS5_PS6_SC_mNS0_19identity_decomposerENS1_16block_id_wrapperIjLb1EEEEE10hipError_tT1_PNSt15iterator_traitsISH_E10value_typeET2_T3_PNSI_ISN_E10value_typeET4_T5_PSS_ST_PNS1_23onesweep_lookback_stateEbbT6_jjT7_P12ihipStream_tbENKUlT_T0_SH_SM_E_clISA_SB_SC_SC_EEDaS10_S11_SH_SM_EUlS10_E_NS1_11comp_targetILNS1_3genE6ELNS1_11target_archE950ELNS1_3gpuE13ELNS1_3repE0EEENS1_47radix_sort_onesweep_sort_config_static_selectorELNS0_4arch9wavefront6targetE0EEEvSH_.numbered_sgpr, 0
	.set _ZN7rocprim17ROCPRIM_400000_NS6detail17trampoline_kernelINS0_14default_configENS1_35radix_sort_onesweep_config_selectorI6__halfNS0_10empty_typeEEEZZNS1_29radix_sort_onesweep_iterationIS3_Lb0EPKS5_PS5_PS6_SC_mNS0_19identity_decomposerENS1_16block_id_wrapperIjLb1EEEEE10hipError_tT1_PNSt15iterator_traitsISH_E10value_typeET2_T3_PNSI_ISN_E10value_typeET4_T5_PSS_ST_PNS1_23onesweep_lookback_stateEbbT6_jjT7_P12ihipStream_tbENKUlT_T0_SH_SM_E_clISA_SB_SC_SC_EEDaS10_S11_SH_SM_EUlS10_E_NS1_11comp_targetILNS1_3genE6ELNS1_11target_archE950ELNS1_3gpuE13ELNS1_3repE0EEENS1_47radix_sort_onesweep_sort_config_static_selectorELNS0_4arch9wavefront6targetE0EEEvSH_.num_named_barrier, 0
	.set _ZN7rocprim17ROCPRIM_400000_NS6detail17trampoline_kernelINS0_14default_configENS1_35radix_sort_onesweep_config_selectorI6__halfNS0_10empty_typeEEEZZNS1_29radix_sort_onesweep_iterationIS3_Lb0EPKS5_PS5_PS6_SC_mNS0_19identity_decomposerENS1_16block_id_wrapperIjLb1EEEEE10hipError_tT1_PNSt15iterator_traitsISH_E10value_typeET2_T3_PNSI_ISN_E10value_typeET4_T5_PSS_ST_PNS1_23onesweep_lookback_stateEbbT6_jjT7_P12ihipStream_tbENKUlT_T0_SH_SM_E_clISA_SB_SC_SC_EEDaS10_S11_SH_SM_EUlS10_E_NS1_11comp_targetILNS1_3genE6ELNS1_11target_archE950ELNS1_3gpuE13ELNS1_3repE0EEENS1_47radix_sort_onesweep_sort_config_static_selectorELNS0_4arch9wavefront6targetE0EEEvSH_.private_seg_size, 0
	.set _ZN7rocprim17ROCPRIM_400000_NS6detail17trampoline_kernelINS0_14default_configENS1_35radix_sort_onesweep_config_selectorI6__halfNS0_10empty_typeEEEZZNS1_29radix_sort_onesweep_iterationIS3_Lb0EPKS5_PS5_PS6_SC_mNS0_19identity_decomposerENS1_16block_id_wrapperIjLb1EEEEE10hipError_tT1_PNSt15iterator_traitsISH_E10value_typeET2_T3_PNSI_ISN_E10value_typeET4_T5_PSS_ST_PNS1_23onesweep_lookback_stateEbbT6_jjT7_P12ihipStream_tbENKUlT_T0_SH_SM_E_clISA_SB_SC_SC_EEDaS10_S11_SH_SM_EUlS10_E_NS1_11comp_targetILNS1_3genE6ELNS1_11target_archE950ELNS1_3gpuE13ELNS1_3repE0EEENS1_47radix_sort_onesweep_sort_config_static_selectorELNS0_4arch9wavefront6targetE0EEEvSH_.uses_vcc, 0
	.set _ZN7rocprim17ROCPRIM_400000_NS6detail17trampoline_kernelINS0_14default_configENS1_35radix_sort_onesweep_config_selectorI6__halfNS0_10empty_typeEEEZZNS1_29radix_sort_onesweep_iterationIS3_Lb0EPKS5_PS5_PS6_SC_mNS0_19identity_decomposerENS1_16block_id_wrapperIjLb1EEEEE10hipError_tT1_PNSt15iterator_traitsISH_E10value_typeET2_T3_PNSI_ISN_E10value_typeET4_T5_PSS_ST_PNS1_23onesweep_lookback_stateEbbT6_jjT7_P12ihipStream_tbENKUlT_T0_SH_SM_E_clISA_SB_SC_SC_EEDaS10_S11_SH_SM_EUlS10_E_NS1_11comp_targetILNS1_3genE6ELNS1_11target_archE950ELNS1_3gpuE13ELNS1_3repE0EEENS1_47radix_sort_onesweep_sort_config_static_selectorELNS0_4arch9wavefront6targetE0EEEvSH_.uses_flat_scratch, 0
	.set _ZN7rocprim17ROCPRIM_400000_NS6detail17trampoline_kernelINS0_14default_configENS1_35radix_sort_onesweep_config_selectorI6__halfNS0_10empty_typeEEEZZNS1_29radix_sort_onesweep_iterationIS3_Lb0EPKS5_PS5_PS6_SC_mNS0_19identity_decomposerENS1_16block_id_wrapperIjLb1EEEEE10hipError_tT1_PNSt15iterator_traitsISH_E10value_typeET2_T3_PNSI_ISN_E10value_typeET4_T5_PSS_ST_PNS1_23onesweep_lookback_stateEbbT6_jjT7_P12ihipStream_tbENKUlT_T0_SH_SM_E_clISA_SB_SC_SC_EEDaS10_S11_SH_SM_EUlS10_E_NS1_11comp_targetILNS1_3genE6ELNS1_11target_archE950ELNS1_3gpuE13ELNS1_3repE0EEENS1_47radix_sort_onesweep_sort_config_static_selectorELNS0_4arch9wavefront6targetE0EEEvSH_.has_dyn_sized_stack, 0
	.set _ZN7rocprim17ROCPRIM_400000_NS6detail17trampoline_kernelINS0_14default_configENS1_35radix_sort_onesweep_config_selectorI6__halfNS0_10empty_typeEEEZZNS1_29radix_sort_onesweep_iterationIS3_Lb0EPKS5_PS5_PS6_SC_mNS0_19identity_decomposerENS1_16block_id_wrapperIjLb1EEEEE10hipError_tT1_PNSt15iterator_traitsISH_E10value_typeET2_T3_PNSI_ISN_E10value_typeET4_T5_PSS_ST_PNS1_23onesweep_lookback_stateEbbT6_jjT7_P12ihipStream_tbENKUlT_T0_SH_SM_E_clISA_SB_SC_SC_EEDaS10_S11_SH_SM_EUlS10_E_NS1_11comp_targetILNS1_3genE6ELNS1_11target_archE950ELNS1_3gpuE13ELNS1_3repE0EEENS1_47radix_sort_onesweep_sort_config_static_selectorELNS0_4arch9wavefront6targetE0EEEvSH_.has_recursion, 0
	.set _ZN7rocprim17ROCPRIM_400000_NS6detail17trampoline_kernelINS0_14default_configENS1_35radix_sort_onesweep_config_selectorI6__halfNS0_10empty_typeEEEZZNS1_29radix_sort_onesweep_iterationIS3_Lb0EPKS5_PS5_PS6_SC_mNS0_19identity_decomposerENS1_16block_id_wrapperIjLb1EEEEE10hipError_tT1_PNSt15iterator_traitsISH_E10value_typeET2_T3_PNSI_ISN_E10value_typeET4_T5_PSS_ST_PNS1_23onesweep_lookback_stateEbbT6_jjT7_P12ihipStream_tbENKUlT_T0_SH_SM_E_clISA_SB_SC_SC_EEDaS10_S11_SH_SM_EUlS10_E_NS1_11comp_targetILNS1_3genE6ELNS1_11target_archE950ELNS1_3gpuE13ELNS1_3repE0EEENS1_47radix_sort_onesweep_sort_config_static_selectorELNS0_4arch9wavefront6targetE0EEEvSH_.has_indirect_call, 0
	.section	.AMDGPU.csdata,"",@progbits
; Kernel info:
; codeLenInByte = 0
; TotalNumSgprs: 0
; NumVgprs: 0
; ScratchSize: 0
; MemoryBound: 0
; FloatMode: 240
; IeeeMode: 1
; LDSByteSize: 0 bytes/workgroup (compile time only)
; SGPRBlocks: 0
; VGPRBlocks: 0
; NumSGPRsForWavesPerEU: 1
; NumVGPRsForWavesPerEU: 1
; NamedBarCnt: 0
; Occupancy: 16
; WaveLimiterHint : 0
; COMPUTE_PGM_RSRC2:SCRATCH_EN: 0
; COMPUTE_PGM_RSRC2:USER_SGPR: 2
; COMPUTE_PGM_RSRC2:TRAP_HANDLER: 0
; COMPUTE_PGM_RSRC2:TGID_X_EN: 1
; COMPUTE_PGM_RSRC2:TGID_Y_EN: 0
; COMPUTE_PGM_RSRC2:TGID_Z_EN: 0
; COMPUTE_PGM_RSRC2:TIDIG_COMP_CNT: 0
	.section	.text._ZN7rocprim17ROCPRIM_400000_NS6detail17trampoline_kernelINS0_14default_configENS1_35radix_sort_onesweep_config_selectorI6__halfNS0_10empty_typeEEEZZNS1_29radix_sort_onesweep_iterationIS3_Lb0EPKS5_PS5_PS6_SC_mNS0_19identity_decomposerENS1_16block_id_wrapperIjLb1EEEEE10hipError_tT1_PNSt15iterator_traitsISH_E10value_typeET2_T3_PNSI_ISN_E10value_typeET4_T5_PSS_ST_PNS1_23onesweep_lookback_stateEbbT6_jjT7_P12ihipStream_tbENKUlT_T0_SH_SM_E_clISA_SB_SC_SC_EEDaS10_S11_SH_SM_EUlS10_E_NS1_11comp_targetILNS1_3genE5ELNS1_11target_archE942ELNS1_3gpuE9ELNS1_3repE0EEENS1_47radix_sort_onesweep_sort_config_static_selectorELNS0_4arch9wavefront6targetE0EEEvSH_,"axG",@progbits,_ZN7rocprim17ROCPRIM_400000_NS6detail17trampoline_kernelINS0_14default_configENS1_35radix_sort_onesweep_config_selectorI6__halfNS0_10empty_typeEEEZZNS1_29radix_sort_onesweep_iterationIS3_Lb0EPKS5_PS5_PS6_SC_mNS0_19identity_decomposerENS1_16block_id_wrapperIjLb1EEEEE10hipError_tT1_PNSt15iterator_traitsISH_E10value_typeET2_T3_PNSI_ISN_E10value_typeET4_T5_PSS_ST_PNS1_23onesweep_lookback_stateEbbT6_jjT7_P12ihipStream_tbENKUlT_T0_SH_SM_E_clISA_SB_SC_SC_EEDaS10_S11_SH_SM_EUlS10_E_NS1_11comp_targetILNS1_3genE5ELNS1_11target_archE942ELNS1_3gpuE9ELNS1_3repE0EEENS1_47radix_sort_onesweep_sort_config_static_selectorELNS0_4arch9wavefront6targetE0EEEvSH_,comdat
	.protected	_ZN7rocprim17ROCPRIM_400000_NS6detail17trampoline_kernelINS0_14default_configENS1_35radix_sort_onesweep_config_selectorI6__halfNS0_10empty_typeEEEZZNS1_29radix_sort_onesweep_iterationIS3_Lb0EPKS5_PS5_PS6_SC_mNS0_19identity_decomposerENS1_16block_id_wrapperIjLb1EEEEE10hipError_tT1_PNSt15iterator_traitsISH_E10value_typeET2_T3_PNSI_ISN_E10value_typeET4_T5_PSS_ST_PNS1_23onesweep_lookback_stateEbbT6_jjT7_P12ihipStream_tbENKUlT_T0_SH_SM_E_clISA_SB_SC_SC_EEDaS10_S11_SH_SM_EUlS10_E_NS1_11comp_targetILNS1_3genE5ELNS1_11target_archE942ELNS1_3gpuE9ELNS1_3repE0EEENS1_47radix_sort_onesweep_sort_config_static_selectorELNS0_4arch9wavefront6targetE0EEEvSH_ ; -- Begin function _ZN7rocprim17ROCPRIM_400000_NS6detail17trampoline_kernelINS0_14default_configENS1_35radix_sort_onesweep_config_selectorI6__halfNS0_10empty_typeEEEZZNS1_29radix_sort_onesweep_iterationIS3_Lb0EPKS5_PS5_PS6_SC_mNS0_19identity_decomposerENS1_16block_id_wrapperIjLb1EEEEE10hipError_tT1_PNSt15iterator_traitsISH_E10value_typeET2_T3_PNSI_ISN_E10value_typeET4_T5_PSS_ST_PNS1_23onesweep_lookback_stateEbbT6_jjT7_P12ihipStream_tbENKUlT_T0_SH_SM_E_clISA_SB_SC_SC_EEDaS10_S11_SH_SM_EUlS10_E_NS1_11comp_targetILNS1_3genE5ELNS1_11target_archE942ELNS1_3gpuE9ELNS1_3repE0EEENS1_47radix_sort_onesweep_sort_config_static_selectorELNS0_4arch9wavefront6targetE0EEEvSH_
	.globl	_ZN7rocprim17ROCPRIM_400000_NS6detail17trampoline_kernelINS0_14default_configENS1_35radix_sort_onesweep_config_selectorI6__halfNS0_10empty_typeEEEZZNS1_29radix_sort_onesweep_iterationIS3_Lb0EPKS5_PS5_PS6_SC_mNS0_19identity_decomposerENS1_16block_id_wrapperIjLb1EEEEE10hipError_tT1_PNSt15iterator_traitsISH_E10value_typeET2_T3_PNSI_ISN_E10value_typeET4_T5_PSS_ST_PNS1_23onesweep_lookback_stateEbbT6_jjT7_P12ihipStream_tbENKUlT_T0_SH_SM_E_clISA_SB_SC_SC_EEDaS10_S11_SH_SM_EUlS10_E_NS1_11comp_targetILNS1_3genE5ELNS1_11target_archE942ELNS1_3gpuE9ELNS1_3repE0EEENS1_47radix_sort_onesweep_sort_config_static_selectorELNS0_4arch9wavefront6targetE0EEEvSH_
	.p2align	8
	.type	_ZN7rocprim17ROCPRIM_400000_NS6detail17trampoline_kernelINS0_14default_configENS1_35radix_sort_onesweep_config_selectorI6__halfNS0_10empty_typeEEEZZNS1_29radix_sort_onesweep_iterationIS3_Lb0EPKS5_PS5_PS6_SC_mNS0_19identity_decomposerENS1_16block_id_wrapperIjLb1EEEEE10hipError_tT1_PNSt15iterator_traitsISH_E10value_typeET2_T3_PNSI_ISN_E10value_typeET4_T5_PSS_ST_PNS1_23onesweep_lookback_stateEbbT6_jjT7_P12ihipStream_tbENKUlT_T0_SH_SM_E_clISA_SB_SC_SC_EEDaS10_S11_SH_SM_EUlS10_E_NS1_11comp_targetILNS1_3genE5ELNS1_11target_archE942ELNS1_3gpuE9ELNS1_3repE0EEENS1_47radix_sort_onesweep_sort_config_static_selectorELNS0_4arch9wavefront6targetE0EEEvSH_,@function
_ZN7rocprim17ROCPRIM_400000_NS6detail17trampoline_kernelINS0_14default_configENS1_35radix_sort_onesweep_config_selectorI6__halfNS0_10empty_typeEEEZZNS1_29radix_sort_onesweep_iterationIS3_Lb0EPKS5_PS5_PS6_SC_mNS0_19identity_decomposerENS1_16block_id_wrapperIjLb1EEEEE10hipError_tT1_PNSt15iterator_traitsISH_E10value_typeET2_T3_PNSI_ISN_E10value_typeET4_T5_PSS_ST_PNS1_23onesweep_lookback_stateEbbT6_jjT7_P12ihipStream_tbENKUlT_T0_SH_SM_E_clISA_SB_SC_SC_EEDaS10_S11_SH_SM_EUlS10_E_NS1_11comp_targetILNS1_3genE5ELNS1_11target_archE942ELNS1_3gpuE9ELNS1_3repE0EEENS1_47radix_sort_onesweep_sort_config_static_selectorELNS0_4arch9wavefront6targetE0EEEvSH_: ; @_ZN7rocprim17ROCPRIM_400000_NS6detail17trampoline_kernelINS0_14default_configENS1_35radix_sort_onesweep_config_selectorI6__halfNS0_10empty_typeEEEZZNS1_29radix_sort_onesweep_iterationIS3_Lb0EPKS5_PS5_PS6_SC_mNS0_19identity_decomposerENS1_16block_id_wrapperIjLb1EEEEE10hipError_tT1_PNSt15iterator_traitsISH_E10value_typeET2_T3_PNSI_ISN_E10value_typeET4_T5_PSS_ST_PNS1_23onesweep_lookback_stateEbbT6_jjT7_P12ihipStream_tbENKUlT_T0_SH_SM_E_clISA_SB_SC_SC_EEDaS10_S11_SH_SM_EUlS10_E_NS1_11comp_targetILNS1_3genE5ELNS1_11target_archE942ELNS1_3gpuE9ELNS1_3repE0EEENS1_47radix_sort_onesweep_sort_config_static_selectorELNS0_4arch9wavefront6targetE0EEEvSH_
; %bb.0:
	.section	.rodata,"a",@progbits
	.p2align	6, 0x0
	.amdhsa_kernel _ZN7rocprim17ROCPRIM_400000_NS6detail17trampoline_kernelINS0_14default_configENS1_35radix_sort_onesweep_config_selectorI6__halfNS0_10empty_typeEEEZZNS1_29radix_sort_onesweep_iterationIS3_Lb0EPKS5_PS5_PS6_SC_mNS0_19identity_decomposerENS1_16block_id_wrapperIjLb1EEEEE10hipError_tT1_PNSt15iterator_traitsISH_E10value_typeET2_T3_PNSI_ISN_E10value_typeET4_T5_PSS_ST_PNS1_23onesweep_lookback_stateEbbT6_jjT7_P12ihipStream_tbENKUlT_T0_SH_SM_E_clISA_SB_SC_SC_EEDaS10_S11_SH_SM_EUlS10_E_NS1_11comp_targetILNS1_3genE5ELNS1_11target_archE942ELNS1_3gpuE9ELNS1_3repE0EEENS1_47radix_sort_onesweep_sort_config_static_selectorELNS0_4arch9wavefront6targetE0EEEvSH_
		.amdhsa_group_segment_fixed_size 0
		.amdhsa_private_segment_fixed_size 0
		.amdhsa_kernarg_size 88
		.amdhsa_user_sgpr_count 2
		.amdhsa_user_sgpr_dispatch_ptr 0
		.amdhsa_user_sgpr_queue_ptr 0
		.amdhsa_user_sgpr_kernarg_segment_ptr 1
		.amdhsa_user_sgpr_dispatch_id 0
		.amdhsa_user_sgpr_kernarg_preload_length 0
		.amdhsa_user_sgpr_kernarg_preload_offset 0
		.amdhsa_user_sgpr_private_segment_size 0
		.amdhsa_wavefront_size32 1
		.amdhsa_uses_dynamic_stack 0
		.amdhsa_enable_private_segment 0
		.amdhsa_system_sgpr_workgroup_id_x 1
		.amdhsa_system_sgpr_workgroup_id_y 0
		.amdhsa_system_sgpr_workgroup_id_z 0
		.amdhsa_system_sgpr_workgroup_info 0
		.amdhsa_system_vgpr_workitem_id 0
		.amdhsa_next_free_vgpr 1
		.amdhsa_next_free_sgpr 1
		.amdhsa_named_barrier_count 0
		.amdhsa_reserve_vcc 0
		.amdhsa_float_round_mode_32 0
		.amdhsa_float_round_mode_16_64 0
		.amdhsa_float_denorm_mode_32 3
		.amdhsa_float_denorm_mode_16_64 3
		.amdhsa_fp16_overflow 0
		.amdhsa_memory_ordered 1
		.amdhsa_forward_progress 1
		.amdhsa_inst_pref_size 0
		.amdhsa_round_robin_scheduling 0
		.amdhsa_exception_fp_ieee_invalid_op 0
		.amdhsa_exception_fp_denorm_src 0
		.amdhsa_exception_fp_ieee_div_zero 0
		.amdhsa_exception_fp_ieee_overflow 0
		.amdhsa_exception_fp_ieee_underflow 0
		.amdhsa_exception_fp_ieee_inexact 0
		.amdhsa_exception_int_div_zero 0
	.end_amdhsa_kernel
	.section	.text._ZN7rocprim17ROCPRIM_400000_NS6detail17trampoline_kernelINS0_14default_configENS1_35radix_sort_onesweep_config_selectorI6__halfNS0_10empty_typeEEEZZNS1_29radix_sort_onesweep_iterationIS3_Lb0EPKS5_PS5_PS6_SC_mNS0_19identity_decomposerENS1_16block_id_wrapperIjLb1EEEEE10hipError_tT1_PNSt15iterator_traitsISH_E10value_typeET2_T3_PNSI_ISN_E10value_typeET4_T5_PSS_ST_PNS1_23onesweep_lookback_stateEbbT6_jjT7_P12ihipStream_tbENKUlT_T0_SH_SM_E_clISA_SB_SC_SC_EEDaS10_S11_SH_SM_EUlS10_E_NS1_11comp_targetILNS1_3genE5ELNS1_11target_archE942ELNS1_3gpuE9ELNS1_3repE0EEENS1_47radix_sort_onesweep_sort_config_static_selectorELNS0_4arch9wavefront6targetE0EEEvSH_,"axG",@progbits,_ZN7rocprim17ROCPRIM_400000_NS6detail17trampoline_kernelINS0_14default_configENS1_35radix_sort_onesweep_config_selectorI6__halfNS0_10empty_typeEEEZZNS1_29radix_sort_onesweep_iterationIS3_Lb0EPKS5_PS5_PS6_SC_mNS0_19identity_decomposerENS1_16block_id_wrapperIjLb1EEEEE10hipError_tT1_PNSt15iterator_traitsISH_E10value_typeET2_T3_PNSI_ISN_E10value_typeET4_T5_PSS_ST_PNS1_23onesweep_lookback_stateEbbT6_jjT7_P12ihipStream_tbENKUlT_T0_SH_SM_E_clISA_SB_SC_SC_EEDaS10_S11_SH_SM_EUlS10_E_NS1_11comp_targetILNS1_3genE5ELNS1_11target_archE942ELNS1_3gpuE9ELNS1_3repE0EEENS1_47radix_sort_onesweep_sort_config_static_selectorELNS0_4arch9wavefront6targetE0EEEvSH_,comdat
.Lfunc_end2252:
	.size	_ZN7rocprim17ROCPRIM_400000_NS6detail17trampoline_kernelINS0_14default_configENS1_35radix_sort_onesweep_config_selectorI6__halfNS0_10empty_typeEEEZZNS1_29radix_sort_onesweep_iterationIS3_Lb0EPKS5_PS5_PS6_SC_mNS0_19identity_decomposerENS1_16block_id_wrapperIjLb1EEEEE10hipError_tT1_PNSt15iterator_traitsISH_E10value_typeET2_T3_PNSI_ISN_E10value_typeET4_T5_PSS_ST_PNS1_23onesweep_lookback_stateEbbT6_jjT7_P12ihipStream_tbENKUlT_T0_SH_SM_E_clISA_SB_SC_SC_EEDaS10_S11_SH_SM_EUlS10_E_NS1_11comp_targetILNS1_3genE5ELNS1_11target_archE942ELNS1_3gpuE9ELNS1_3repE0EEENS1_47radix_sort_onesweep_sort_config_static_selectorELNS0_4arch9wavefront6targetE0EEEvSH_, .Lfunc_end2252-_ZN7rocprim17ROCPRIM_400000_NS6detail17trampoline_kernelINS0_14default_configENS1_35radix_sort_onesweep_config_selectorI6__halfNS0_10empty_typeEEEZZNS1_29radix_sort_onesweep_iterationIS3_Lb0EPKS5_PS5_PS6_SC_mNS0_19identity_decomposerENS1_16block_id_wrapperIjLb1EEEEE10hipError_tT1_PNSt15iterator_traitsISH_E10value_typeET2_T3_PNSI_ISN_E10value_typeET4_T5_PSS_ST_PNS1_23onesweep_lookback_stateEbbT6_jjT7_P12ihipStream_tbENKUlT_T0_SH_SM_E_clISA_SB_SC_SC_EEDaS10_S11_SH_SM_EUlS10_E_NS1_11comp_targetILNS1_3genE5ELNS1_11target_archE942ELNS1_3gpuE9ELNS1_3repE0EEENS1_47radix_sort_onesweep_sort_config_static_selectorELNS0_4arch9wavefront6targetE0EEEvSH_
                                        ; -- End function
	.set _ZN7rocprim17ROCPRIM_400000_NS6detail17trampoline_kernelINS0_14default_configENS1_35radix_sort_onesweep_config_selectorI6__halfNS0_10empty_typeEEEZZNS1_29radix_sort_onesweep_iterationIS3_Lb0EPKS5_PS5_PS6_SC_mNS0_19identity_decomposerENS1_16block_id_wrapperIjLb1EEEEE10hipError_tT1_PNSt15iterator_traitsISH_E10value_typeET2_T3_PNSI_ISN_E10value_typeET4_T5_PSS_ST_PNS1_23onesweep_lookback_stateEbbT6_jjT7_P12ihipStream_tbENKUlT_T0_SH_SM_E_clISA_SB_SC_SC_EEDaS10_S11_SH_SM_EUlS10_E_NS1_11comp_targetILNS1_3genE5ELNS1_11target_archE942ELNS1_3gpuE9ELNS1_3repE0EEENS1_47radix_sort_onesweep_sort_config_static_selectorELNS0_4arch9wavefront6targetE0EEEvSH_.num_vgpr, 0
	.set _ZN7rocprim17ROCPRIM_400000_NS6detail17trampoline_kernelINS0_14default_configENS1_35radix_sort_onesweep_config_selectorI6__halfNS0_10empty_typeEEEZZNS1_29radix_sort_onesweep_iterationIS3_Lb0EPKS5_PS5_PS6_SC_mNS0_19identity_decomposerENS1_16block_id_wrapperIjLb1EEEEE10hipError_tT1_PNSt15iterator_traitsISH_E10value_typeET2_T3_PNSI_ISN_E10value_typeET4_T5_PSS_ST_PNS1_23onesweep_lookback_stateEbbT6_jjT7_P12ihipStream_tbENKUlT_T0_SH_SM_E_clISA_SB_SC_SC_EEDaS10_S11_SH_SM_EUlS10_E_NS1_11comp_targetILNS1_3genE5ELNS1_11target_archE942ELNS1_3gpuE9ELNS1_3repE0EEENS1_47radix_sort_onesweep_sort_config_static_selectorELNS0_4arch9wavefront6targetE0EEEvSH_.num_agpr, 0
	.set _ZN7rocprim17ROCPRIM_400000_NS6detail17trampoline_kernelINS0_14default_configENS1_35radix_sort_onesweep_config_selectorI6__halfNS0_10empty_typeEEEZZNS1_29radix_sort_onesweep_iterationIS3_Lb0EPKS5_PS5_PS6_SC_mNS0_19identity_decomposerENS1_16block_id_wrapperIjLb1EEEEE10hipError_tT1_PNSt15iterator_traitsISH_E10value_typeET2_T3_PNSI_ISN_E10value_typeET4_T5_PSS_ST_PNS1_23onesweep_lookback_stateEbbT6_jjT7_P12ihipStream_tbENKUlT_T0_SH_SM_E_clISA_SB_SC_SC_EEDaS10_S11_SH_SM_EUlS10_E_NS1_11comp_targetILNS1_3genE5ELNS1_11target_archE942ELNS1_3gpuE9ELNS1_3repE0EEENS1_47radix_sort_onesweep_sort_config_static_selectorELNS0_4arch9wavefront6targetE0EEEvSH_.numbered_sgpr, 0
	.set _ZN7rocprim17ROCPRIM_400000_NS6detail17trampoline_kernelINS0_14default_configENS1_35radix_sort_onesweep_config_selectorI6__halfNS0_10empty_typeEEEZZNS1_29radix_sort_onesweep_iterationIS3_Lb0EPKS5_PS5_PS6_SC_mNS0_19identity_decomposerENS1_16block_id_wrapperIjLb1EEEEE10hipError_tT1_PNSt15iterator_traitsISH_E10value_typeET2_T3_PNSI_ISN_E10value_typeET4_T5_PSS_ST_PNS1_23onesweep_lookback_stateEbbT6_jjT7_P12ihipStream_tbENKUlT_T0_SH_SM_E_clISA_SB_SC_SC_EEDaS10_S11_SH_SM_EUlS10_E_NS1_11comp_targetILNS1_3genE5ELNS1_11target_archE942ELNS1_3gpuE9ELNS1_3repE0EEENS1_47radix_sort_onesweep_sort_config_static_selectorELNS0_4arch9wavefront6targetE0EEEvSH_.num_named_barrier, 0
	.set _ZN7rocprim17ROCPRIM_400000_NS6detail17trampoline_kernelINS0_14default_configENS1_35radix_sort_onesweep_config_selectorI6__halfNS0_10empty_typeEEEZZNS1_29radix_sort_onesweep_iterationIS3_Lb0EPKS5_PS5_PS6_SC_mNS0_19identity_decomposerENS1_16block_id_wrapperIjLb1EEEEE10hipError_tT1_PNSt15iterator_traitsISH_E10value_typeET2_T3_PNSI_ISN_E10value_typeET4_T5_PSS_ST_PNS1_23onesweep_lookback_stateEbbT6_jjT7_P12ihipStream_tbENKUlT_T0_SH_SM_E_clISA_SB_SC_SC_EEDaS10_S11_SH_SM_EUlS10_E_NS1_11comp_targetILNS1_3genE5ELNS1_11target_archE942ELNS1_3gpuE9ELNS1_3repE0EEENS1_47radix_sort_onesweep_sort_config_static_selectorELNS0_4arch9wavefront6targetE0EEEvSH_.private_seg_size, 0
	.set _ZN7rocprim17ROCPRIM_400000_NS6detail17trampoline_kernelINS0_14default_configENS1_35radix_sort_onesweep_config_selectorI6__halfNS0_10empty_typeEEEZZNS1_29radix_sort_onesweep_iterationIS3_Lb0EPKS5_PS5_PS6_SC_mNS0_19identity_decomposerENS1_16block_id_wrapperIjLb1EEEEE10hipError_tT1_PNSt15iterator_traitsISH_E10value_typeET2_T3_PNSI_ISN_E10value_typeET4_T5_PSS_ST_PNS1_23onesweep_lookback_stateEbbT6_jjT7_P12ihipStream_tbENKUlT_T0_SH_SM_E_clISA_SB_SC_SC_EEDaS10_S11_SH_SM_EUlS10_E_NS1_11comp_targetILNS1_3genE5ELNS1_11target_archE942ELNS1_3gpuE9ELNS1_3repE0EEENS1_47radix_sort_onesweep_sort_config_static_selectorELNS0_4arch9wavefront6targetE0EEEvSH_.uses_vcc, 0
	.set _ZN7rocprim17ROCPRIM_400000_NS6detail17trampoline_kernelINS0_14default_configENS1_35radix_sort_onesweep_config_selectorI6__halfNS0_10empty_typeEEEZZNS1_29radix_sort_onesweep_iterationIS3_Lb0EPKS5_PS5_PS6_SC_mNS0_19identity_decomposerENS1_16block_id_wrapperIjLb1EEEEE10hipError_tT1_PNSt15iterator_traitsISH_E10value_typeET2_T3_PNSI_ISN_E10value_typeET4_T5_PSS_ST_PNS1_23onesweep_lookback_stateEbbT6_jjT7_P12ihipStream_tbENKUlT_T0_SH_SM_E_clISA_SB_SC_SC_EEDaS10_S11_SH_SM_EUlS10_E_NS1_11comp_targetILNS1_3genE5ELNS1_11target_archE942ELNS1_3gpuE9ELNS1_3repE0EEENS1_47radix_sort_onesweep_sort_config_static_selectorELNS0_4arch9wavefront6targetE0EEEvSH_.uses_flat_scratch, 0
	.set _ZN7rocprim17ROCPRIM_400000_NS6detail17trampoline_kernelINS0_14default_configENS1_35radix_sort_onesweep_config_selectorI6__halfNS0_10empty_typeEEEZZNS1_29radix_sort_onesweep_iterationIS3_Lb0EPKS5_PS5_PS6_SC_mNS0_19identity_decomposerENS1_16block_id_wrapperIjLb1EEEEE10hipError_tT1_PNSt15iterator_traitsISH_E10value_typeET2_T3_PNSI_ISN_E10value_typeET4_T5_PSS_ST_PNS1_23onesweep_lookback_stateEbbT6_jjT7_P12ihipStream_tbENKUlT_T0_SH_SM_E_clISA_SB_SC_SC_EEDaS10_S11_SH_SM_EUlS10_E_NS1_11comp_targetILNS1_3genE5ELNS1_11target_archE942ELNS1_3gpuE9ELNS1_3repE0EEENS1_47radix_sort_onesweep_sort_config_static_selectorELNS0_4arch9wavefront6targetE0EEEvSH_.has_dyn_sized_stack, 0
	.set _ZN7rocprim17ROCPRIM_400000_NS6detail17trampoline_kernelINS0_14default_configENS1_35radix_sort_onesweep_config_selectorI6__halfNS0_10empty_typeEEEZZNS1_29radix_sort_onesweep_iterationIS3_Lb0EPKS5_PS5_PS6_SC_mNS0_19identity_decomposerENS1_16block_id_wrapperIjLb1EEEEE10hipError_tT1_PNSt15iterator_traitsISH_E10value_typeET2_T3_PNSI_ISN_E10value_typeET4_T5_PSS_ST_PNS1_23onesweep_lookback_stateEbbT6_jjT7_P12ihipStream_tbENKUlT_T0_SH_SM_E_clISA_SB_SC_SC_EEDaS10_S11_SH_SM_EUlS10_E_NS1_11comp_targetILNS1_3genE5ELNS1_11target_archE942ELNS1_3gpuE9ELNS1_3repE0EEENS1_47radix_sort_onesweep_sort_config_static_selectorELNS0_4arch9wavefront6targetE0EEEvSH_.has_recursion, 0
	.set _ZN7rocprim17ROCPRIM_400000_NS6detail17trampoline_kernelINS0_14default_configENS1_35radix_sort_onesweep_config_selectorI6__halfNS0_10empty_typeEEEZZNS1_29radix_sort_onesweep_iterationIS3_Lb0EPKS5_PS5_PS6_SC_mNS0_19identity_decomposerENS1_16block_id_wrapperIjLb1EEEEE10hipError_tT1_PNSt15iterator_traitsISH_E10value_typeET2_T3_PNSI_ISN_E10value_typeET4_T5_PSS_ST_PNS1_23onesweep_lookback_stateEbbT6_jjT7_P12ihipStream_tbENKUlT_T0_SH_SM_E_clISA_SB_SC_SC_EEDaS10_S11_SH_SM_EUlS10_E_NS1_11comp_targetILNS1_3genE5ELNS1_11target_archE942ELNS1_3gpuE9ELNS1_3repE0EEENS1_47radix_sort_onesweep_sort_config_static_selectorELNS0_4arch9wavefront6targetE0EEEvSH_.has_indirect_call, 0
	.section	.AMDGPU.csdata,"",@progbits
; Kernel info:
; codeLenInByte = 0
; TotalNumSgprs: 0
; NumVgprs: 0
; ScratchSize: 0
; MemoryBound: 0
; FloatMode: 240
; IeeeMode: 1
; LDSByteSize: 0 bytes/workgroup (compile time only)
; SGPRBlocks: 0
; VGPRBlocks: 0
; NumSGPRsForWavesPerEU: 1
; NumVGPRsForWavesPerEU: 1
; NamedBarCnt: 0
; Occupancy: 16
; WaveLimiterHint : 0
; COMPUTE_PGM_RSRC2:SCRATCH_EN: 0
; COMPUTE_PGM_RSRC2:USER_SGPR: 2
; COMPUTE_PGM_RSRC2:TRAP_HANDLER: 0
; COMPUTE_PGM_RSRC2:TGID_X_EN: 1
; COMPUTE_PGM_RSRC2:TGID_Y_EN: 0
; COMPUTE_PGM_RSRC2:TGID_Z_EN: 0
; COMPUTE_PGM_RSRC2:TIDIG_COMP_CNT: 0
	.section	.text._ZN7rocprim17ROCPRIM_400000_NS6detail17trampoline_kernelINS0_14default_configENS1_35radix_sort_onesweep_config_selectorI6__halfNS0_10empty_typeEEEZZNS1_29radix_sort_onesweep_iterationIS3_Lb0EPKS5_PS5_PS6_SC_mNS0_19identity_decomposerENS1_16block_id_wrapperIjLb1EEEEE10hipError_tT1_PNSt15iterator_traitsISH_E10value_typeET2_T3_PNSI_ISN_E10value_typeET4_T5_PSS_ST_PNS1_23onesweep_lookback_stateEbbT6_jjT7_P12ihipStream_tbENKUlT_T0_SH_SM_E_clISA_SB_SC_SC_EEDaS10_S11_SH_SM_EUlS10_E_NS1_11comp_targetILNS1_3genE2ELNS1_11target_archE906ELNS1_3gpuE6ELNS1_3repE0EEENS1_47radix_sort_onesweep_sort_config_static_selectorELNS0_4arch9wavefront6targetE0EEEvSH_,"axG",@progbits,_ZN7rocprim17ROCPRIM_400000_NS6detail17trampoline_kernelINS0_14default_configENS1_35radix_sort_onesweep_config_selectorI6__halfNS0_10empty_typeEEEZZNS1_29radix_sort_onesweep_iterationIS3_Lb0EPKS5_PS5_PS6_SC_mNS0_19identity_decomposerENS1_16block_id_wrapperIjLb1EEEEE10hipError_tT1_PNSt15iterator_traitsISH_E10value_typeET2_T3_PNSI_ISN_E10value_typeET4_T5_PSS_ST_PNS1_23onesweep_lookback_stateEbbT6_jjT7_P12ihipStream_tbENKUlT_T0_SH_SM_E_clISA_SB_SC_SC_EEDaS10_S11_SH_SM_EUlS10_E_NS1_11comp_targetILNS1_3genE2ELNS1_11target_archE906ELNS1_3gpuE6ELNS1_3repE0EEENS1_47radix_sort_onesweep_sort_config_static_selectorELNS0_4arch9wavefront6targetE0EEEvSH_,comdat
	.protected	_ZN7rocprim17ROCPRIM_400000_NS6detail17trampoline_kernelINS0_14default_configENS1_35radix_sort_onesweep_config_selectorI6__halfNS0_10empty_typeEEEZZNS1_29radix_sort_onesweep_iterationIS3_Lb0EPKS5_PS5_PS6_SC_mNS0_19identity_decomposerENS1_16block_id_wrapperIjLb1EEEEE10hipError_tT1_PNSt15iterator_traitsISH_E10value_typeET2_T3_PNSI_ISN_E10value_typeET4_T5_PSS_ST_PNS1_23onesweep_lookback_stateEbbT6_jjT7_P12ihipStream_tbENKUlT_T0_SH_SM_E_clISA_SB_SC_SC_EEDaS10_S11_SH_SM_EUlS10_E_NS1_11comp_targetILNS1_3genE2ELNS1_11target_archE906ELNS1_3gpuE6ELNS1_3repE0EEENS1_47radix_sort_onesweep_sort_config_static_selectorELNS0_4arch9wavefront6targetE0EEEvSH_ ; -- Begin function _ZN7rocprim17ROCPRIM_400000_NS6detail17trampoline_kernelINS0_14default_configENS1_35radix_sort_onesweep_config_selectorI6__halfNS0_10empty_typeEEEZZNS1_29radix_sort_onesweep_iterationIS3_Lb0EPKS5_PS5_PS6_SC_mNS0_19identity_decomposerENS1_16block_id_wrapperIjLb1EEEEE10hipError_tT1_PNSt15iterator_traitsISH_E10value_typeET2_T3_PNSI_ISN_E10value_typeET4_T5_PSS_ST_PNS1_23onesweep_lookback_stateEbbT6_jjT7_P12ihipStream_tbENKUlT_T0_SH_SM_E_clISA_SB_SC_SC_EEDaS10_S11_SH_SM_EUlS10_E_NS1_11comp_targetILNS1_3genE2ELNS1_11target_archE906ELNS1_3gpuE6ELNS1_3repE0EEENS1_47radix_sort_onesweep_sort_config_static_selectorELNS0_4arch9wavefront6targetE0EEEvSH_
	.globl	_ZN7rocprim17ROCPRIM_400000_NS6detail17trampoline_kernelINS0_14default_configENS1_35radix_sort_onesweep_config_selectorI6__halfNS0_10empty_typeEEEZZNS1_29radix_sort_onesweep_iterationIS3_Lb0EPKS5_PS5_PS6_SC_mNS0_19identity_decomposerENS1_16block_id_wrapperIjLb1EEEEE10hipError_tT1_PNSt15iterator_traitsISH_E10value_typeET2_T3_PNSI_ISN_E10value_typeET4_T5_PSS_ST_PNS1_23onesweep_lookback_stateEbbT6_jjT7_P12ihipStream_tbENKUlT_T0_SH_SM_E_clISA_SB_SC_SC_EEDaS10_S11_SH_SM_EUlS10_E_NS1_11comp_targetILNS1_3genE2ELNS1_11target_archE906ELNS1_3gpuE6ELNS1_3repE0EEENS1_47radix_sort_onesweep_sort_config_static_selectorELNS0_4arch9wavefront6targetE0EEEvSH_
	.p2align	8
	.type	_ZN7rocprim17ROCPRIM_400000_NS6detail17trampoline_kernelINS0_14default_configENS1_35radix_sort_onesweep_config_selectorI6__halfNS0_10empty_typeEEEZZNS1_29radix_sort_onesweep_iterationIS3_Lb0EPKS5_PS5_PS6_SC_mNS0_19identity_decomposerENS1_16block_id_wrapperIjLb1EEEEE10hipError_tT1_PNSt15iterator_traitsISH_E10value_typeET2_T3_PNSI_ISN_E10value_typeET4_T5_PSS_ST_PNS1_23onesweep_lookback_stateEbbT6_jjT7_P12ihipStream_tbENKUlT_T0_SH_SM_E_clISA_SB_SC_SC_EEDaS10_S11_SH_SM_EUlS10_E_NS1_11comp_targetILNS1_3genE2ELNS1_11target_archE906ELNS1_3gpuE6ELNS1_3repE0EEENS1_47radix_sort_onesweep_sort_config_static_selectorELNS0_4arch9wavefront6targetE0EEEvSH_,@function
_ZN7rocprim17ROCPRIM_400000_NS6detail17trampoline_kernelINS0_14default_configENS1_35radix_sort_onesweep_config_selectorI6__halfNS0_10empty_typeEEEZZNS1_29radix_sort_onesweep_iterationIS3_Lb0EPKS5_PS5_PS6_SC_mNS0_19identity_decomposerENS1_16block_id_wrapperIjLb1EEEEE10hipError_tT1_PNSt15iterator_traitsISH_E10value_typeET2_T3_PNSI_ISN_E10value_typeET4_T5_PSS_ST_PNS1_23onesweep_lookback_stateEbbT6_jjT7_P12ihipStream_tbENKUlT_T0_SH_SM_E_clISA_SB_SC_SC_EEDaS10_S11_SH_SM_EUlS10_E_NS1_11comp_targetILNS1_3genE2ELNS1_11target_archE906ELNS1_3gpuE6ELNS1_3repE0EEENS1_47radix_sort_onesweep_sort_config_static_selectorELNS0_4arch9wavefront6targetE0EEEvSH_: ; @_ZN7rocprim17ROCPRIM_400000_NS6detail17trampoline_kernelINS0_14default_configENS1_35radix_sort_onesweep_config_selectorI6__halfNS0_10empty_typeEEEZZNS1_29radix_sort_onesweep_iterationIS3_Lb0EPKS5_PS5_PS6_SC_mNS0_19identity_decomposerENS1_16block_id_wrapperIjLb1EEEEE10hipError_tT1_PNSt15iterator_traitsISH_E10value_typeET2_T3_PNSI_ISN_E10value_typeET4_T5_PSS_ST_PNS1_23onesweep_lookback_stateEbbT6_jjT7_P12ihipStream_tbENKUlT_T0_SH_SM_E_clISA_SB_SC_SC_EEDaS10_S11_SH_SM_EUlS10_E_NS1_11comp_targetILNS1_3genE2ELNS1_11target_archE906ELNS1_3gpuE6ELNS1_3repE0EEENS1_47radix_sort_onesweep_sort_config_static_selectorELNS0_4arch9wavefront6targetE0EEEvSH_
; %bb.0:
	.section	.rodata,"a",@progbits
	.p2align	6, 0x0
	.amdhsa_kernel _ZN7rocprim17ROCPRIM_400000_NS6detail17trampoline_kernelINS0_14default_configENS1_35radix_sort_onesweep_config_selectorI6__halfNS0_10empty_typeEEEZZNS1_29radix_sort_onesweep_iterationIS3_Lb0EPKS5_PS5_PS6_SC_mNS0_19identity_decomposerENS1_16block_id_wrapperIjLb1EEEEE10hipError_tT1_PNSt15iterator_traitsISH_E10value_typeET2_T3_PNSI_ISN_E10value_typeET4_T5_PSS_ST_PNS1_23onesweep_lookback_stateEbbT6_jjT7_P12ihipStream_tbENKUlT_T0_SH_SM_E_clISA_SB_SC_SC_EEDaS10_S11_SH_SM_EUlS10_E_NS1_11comp_targetILNS1_3genE2ELNS1_11target_archE906ELNS1_3gpuE6ELNS1_3repE0EEENS1_47radix_sort_onesweep_sort_config_static_selectorELNS0_4arch9wavefront6targetE0EEEvSH_
		.amdhsa_group_segment_fixed_size 0
		.amdhsa_private_segment_fixed_size 0
		.amdhsa_kernarg_size 88
		.amdhsa_user_sgpr_count 2
		.amdhsa_user_sgpr_dispatch_ptr 0
		.amdhsa_user_sgpr_queue_ptr 0
		.amdhsa_user_sgpr_kernarg_segment_ptr 1
		.amdhsa_user_sgpr_dispatch_id 0
		.amdhsa_user_sgpr_kernarg_preload_length 0
		.amdhsa_user_sgpr_kernarg_preload_offset 0
		.amdhsa_user_sgpr_private_segment_size 0
		.amdhsa_wavefront_size32 1
		.amdhsa_uses_dynamic_stack 0
		.amdhsa_enable_private_segment 0
		.amdhsa_system_sgpr_workgroup_id_x 1
		.amdhsa_system_sgpr_workgroup_id_y 0
		.amdhsa_system_sgpr_workgroup_id_z 0
		.amdhsa_system_sgpr_workgroup_info 0
		.amdhsa_system_vgpr_workitem_id 0
		.amdhsa_next_free_vgpr 1
		.amdhsa_next_free_sgpr 1
		.amdhsa_named_barrier_count 0
		.amdhsa_reserve_vcc 0
		.amdhsa_float_round_mode_32 0
		.amdhsa_float_round_mode_16_64 0
		.amdhsa_float_denorm_mode_32 3
		.amdhsa_float_denorm_mode_16_64 3
		.amdhsa_fp16_overflow 0
		.amdhsa_memory_ordered 1
		.amdhsa_forward_progress 1
		.amdhsa_inst_pref_size 0
		.amdhsa_round_robin_scheduling 0
		.amdhsa_exception_fp_ieee_invalid_op 0
		.amdhsa_exception_fp_denorm_src 0
		.amdhsa_exception_fp_ieee_div_zero 0
		.amdhsa_exception_fp_ieee_overflow 0
		.amdhsa_exception_fp_ieee_underflow 0
		.amdhsa_exception_fp_ieee_inexact 0
		.amdhsa_exception_int_div_zero 0
	.end_amdhsa_kernel
	.section	.text._ZN7rocprim17ROCPRIM_400000_NS6detail17trampoline_kernelINS0_14default_configENS1_35radix_sort_onesweep_config_selectorI6__halfNS0_10empty_typeEEEZZNS1_29radix_sort_onesweep_iterationIS3_Lb0EPKS5_PS5_PS6_SC_mNS0_19identity_decomposerENS1_16block_id_wrapperIjLb1EEEEE10hipError_tT1_PNSt15iterator_traitsISH_E10value_typeET2_T3_PNSI_ISN_E10value_typeET4_T5_PSS_ST_PNS1_23onesweep_lookback_stateEbbT6_jjT7_P12ihipStream_tbENKUlT_T0_SH_SM_E_clISA_SB_SC_SC_EEDaS10_S11_SH_SM_EUlS10_E_NS1_11comp_targetILNS1_3genE2ELNS1_11target_archE906ELNS1_3gpuE6ELNS1_3repE0EEENS1_47radix_sort_onesweep_sort_config_static_selectorELNS0_4arch9wavefront6targetE0EEEvSH_,"axG",@progbits,_ZN7rocprim17ROCPRIM_400000_NS6detail17trampoline_kernelINS0_14default_configENS1_35radix_sort_onesweep_config_selectorI6__halfNS0_10empty_typeEEEZZNS1_29radix_sort_onesweep_iterationIS3_Lb0EPKS5_PS5_PS6_SC_mNS0_19identity_decomposerENS1_16block_id_wrapperIjLb1EEEEE10hipError_tT1_PNSt15iterator_traitsISH_E10value_typeET2_T3_PNSI_ISN_E10value_typeET4_T5_PSS_ST_PNS1_23onesweep_lookback_stateEbbT6_jjT7_P12ihipStream_tbENKUlT_T0_SH_SM_E_clISA_SB_SC_SC_EEDaS10_S11_SH_SM_EUlS10_E_NS1_11comp_targetILNS1_3genE2ELNS1_11target_archE906ELNS1_3gpuE6ELNS1_3repE0EEENS1_47radix_sort_onesweep_sort_config_static_selectorELNS0_4arch9wavefront6targetE0EEEvSH_,comdat
.Lfunc_end2253:
	.size	_ZN7rocprim17ROCPRIM_400000_NS6detail17trampoline_kernelINS0_14default_configENS1_35radix_sort_onesweep_config_selectorI6__halfNS0_10empty_typeEEEZZNS1_29radix_sort_onesweep_iterationIS3_Lb0EPKS5_PS5_PS6_SC_mNS0_19identity_decomposerENS1_16block_id_wrapperIjLb1EEEEE10hipError_tT1_PNSt15iterator_traitsISH_E10value_typeET2_T3_PNSI_ISN_E10value_typeET4_T5_PSS_ST_PNS1_23onesweep_lookback_stateEbbT6_jjT7_P12ihipStream_tbENKUlT_T0_SH_SM_E_clISA_SB_SC_SC_EEDaS10_S11_SH_SM_EUlS10_E_NS1_11comp_targetILNS1_3genE2ELNS1_11target_archE906ELNS1_3gpuE6ELNS1_3repE0EEENS1_47radix_sort_onesweep_sort_config_static_selectorELNS0_4arch9wavefront6targetE0EEEvSH_, .Lfunc_end2253-_ZN7rocprim17ROCPRIM_400000_NS6detail17trampoline_kernelINS0_14default_configENS1_35radix_sort_onesweep_config_selectorI6__halfNS0_10empty_typeEEEZZNS1_29radix_sort_onesweep_iterationIS3_Lb0EPKS5_PS5_PS6_SC_mNS0_19identity_decomposerENS1_16block_id_wrapperIjLb1EEEEE10hipError_tT1_PNSt15iterator_traitsISH_E10value_typeET2_T3_PNSI_ISN_E10value_typeET4_T5_PSS_ST_PNS1_23onesweep_lookback_stateEbbT6_jjT7_P12ihipStream_tbENKUlT_T0_SH_SM_E_clISA_SB_SC_SC_EEDaS10_S11_SH_SM_EUlS10_E_NS1_11comp_targetILNS1_3genE2ELNS1_11target_archE906ELNS1_3gpuE6ELNS1_3repE0EEENS1_47radix_sort_onesweep_sort_config_static_selectorELNS0_4arch9wavefront6targetE0EEEvSH_
                                        ; -- End function
	.set _ZN7rocprim17ROCPRIM_400000_NS6detail17trampoline_kernelINS0_14default_configENS1_35radix_sort_onesweep_config_selectorI6__halfNS0_10empty_typeEEEZZNS1_29radix_sort_onesweep_iterationIS3_Lb0EPKS5_PS5_PS6_SC_mNS0_19identity_decomposerENS1_16block_id_wrapperIjLb1EEEEE10hipError_tT1_PNSt15iterator_traitsISH_E10value_typeET2_T3_PNSI_ISN_E10value_typeET4_T5_PSS_ST_PNS1_23onesweep_lookback_stateEbbT6_jjT7_P12ihipStream_tbENKUlT_T0_SH_SM_E_clISA_SB_SC_SC_EEDaS10_S11_SH_SM_EUlS10_E_NS1_11comp_targetILNS1_3genE2ELNS1_11target_archE906ELNS1_3gpuE6ELNS1_3repE0EEENS1_47radix_sort_onesweep_sort_config_static_selectorELNS0_4arch9wavefront6targetE0EEEvSH_.num_vgpr, 0
	.set _ZN7rocprim17ROCPRIM_400000_NS6detail17trampoline_kernelINS0_14default_configENS1_35radix_sort_onesweep_config_selectorI6__halfNS0_10empty_typeEEEZZNS1_29radix_sort_onesweep_iterationIS3_Lb0EPKS5_PS5_PS6_SC_mNS0_19identity_decomposerENS1_16block_id_wrapperIjLb1EEEEE10hipError_tT1_PNSt15iterator_traitsISH_E10value_typeET2_T3_PNSI_ISN_E10value_typeET4_T5_PSS_ST_PNS1_23onesweep_lookback_stateEbbT6_jjT7_P12ihipStream_tbENKUlT_T0_SH_SM_E_clISA_SB_SC_SC_EEDaS10_S11_SH_SM_EUlS10_E_NS1_11comp_targetILNS1_3genE2ELNS1_11target_archE906ELNS1_3gpuE6ELNS1_3repE0EEENS1_47radix_sort_onesweep_sort_config_static_selectorELNS0_4arch9wavefront6targetE0EEEvSH_.num_agpr, 0
	.set _ZN7rocprim17ROCPRIM_400000_NS6detail17trampoline_kernelINS0_14default_configENS1_35radix_sort_onesweep_config_selectorI6__halfNS0_10empty_typeEEEZZNS1_29radix_sort_onesweep_iterationIS3_Lb0EPKS5_PS5_PS6_SC_mNS0_19identity_decomposerENS1_16block_id_wrapperIjLb1EEEEE10hipError_tT1_PNSt15iterator_traitsISH_E10value_typeET2_T3_PNSI_ISN_E10value_typeET4_T5_PSS_ST_PNS1_23onesweep_lookback_stateEbbT6_jjT7_P12ihipStream_tbENKUlT_T0_SH_SM_E_clISA_SB_SC_SC_EEDaS10_S11_SH_SM_EUlS10_E_NS1_11comp_targetILNS1_3genE2ELNS1_11target_archE906ELNS1_3gpuE6ELNS1_3repE0EEENS1_47radix_sort_onesweep_sort_config_static_selectorELNS0_4arch9wavefront6targetE0EEEvSH_.numbered_sgpr, 0
	.set _ZN7rocprim17ROCPRIM_400000_NS6detail17trampoline_kernelINS0_14default_configENS1_35radix_sort_onesweep_config_selectorI6__halfNS0_10empty_typeEEEZZNS1_29radix_sort_onesweep_iterationIS3_Lb0EPKS5_PS5_PS6_SC_mNS0_19identity_decomposerENS1_16block_id_wrapperIjLb1EEEEE10hipError_tT1_PNSt15iterator_traitsISH_E10value_typeET2_T3_PNSI_ISN_E10value_typeET4_T5_PSS_ST_PNS1_23onesweep_lookback_stateEbbT6_jjT7_P12ihipStream_tbENKUlT_T0_SH_SM_E_clISA_SB_SC_SC_EEDaS10_S11_SH_SM_EUlS10_E_NS1_11comp_targetILNS1_3genE2ELNS1_11target_archE906ELNS1_3gpuE6ELNS1_3repE0EEENS1_47radix_sort_onesweep_sort_config_static_selectorELNS0_4arch9wavefront6targetE0EEEvSH_.num_named_barrier, 0
	.set _ZN7rocprim17ROCPRIM_400000_NS6detail17trampoline_kernelINS0_14default_configENS1_35radix_sort_onesweep_config_selectorI6__halfNS0_10empty_typeEEEZZNS1_29radix_sort_onesweep_iterationIS3_Lb0EPKS5_PS5_PS6_SC_mNS0_19identity_decomposerENS1_16block_id_wrapperIjLb1EEEEE10hipError_tT1_PNSt15iterator_traitsISH_E10value_typeET2_T3_PNSI_ISN_E10value_typeET4_T5_PSS_ST_PNS1_23onesweep_lookback_stateEbbT6_jjT7_P12ihipStream_tbENKUlT_T0_SH_SM_E_clISA_SB_SC_SC_EEDaS10_S11_SH_SM_EUlS10_E_NS1_11comp_targetILNS1_3genE2ELNS1_11target_archE906ELNS1_3gpuE6ELNS1_3repE0EEENS1_47radix_sort_onesweep_sort_config_static_selectorELNS0_4arch9wavefront6targetE0EEEvSH_.private_seg_size, 0
	.set _ZN7rocprim17ROCPRIM_400000_NS6detail17trampoline_kernelINS0_14default_configENS1_35radix_sort_onesweep_config_selectorI6__halfNS0_10empty_typeEEEZZNS1_29radix_sort_onesweep_iterationIS3_Lb0EPKS5_PS5_PS6_SC_mNS0_19identity_decomposerENS1_16block_id_wrapperIjLb1EEEEE10hipError_tT1_PNSt15iterator_traitsISH_E10value_typeET2_T3_PNSI_ISN_E10value_typeET4_T5_PSS_ST_PNS1_23onesweep_lookback_stateEbbT6_jjT7_P12ihipStream_tbENKUlT_T0_SH_SM_E_clISA_SB_SC_SC_EEDaS10_S11_SH_SM_EUlS10_E_NS1_11comp_targetILNS1_3genE2ELNS1_11target_archE906ELNS1_3gpuE6ELNS1_3repE0EEENS1_47radix_sort_onesweep_sort_config_static_selectorELNS0_4arch9wavefront6targetE0EEEvSH_.uses_vcc, 0
	.set _ZN7rocprim17ROCPRIM_400000_NS6detail17trampoline_kernelINS0_14default_configENS1_35radix_sort_onesweep_config_selectorI6__halfNS0_10empty_typeEEEZZNS1_29radix_sort_onesweep_iterationIS3_Lb0EPKS5_PS5_PS6_SC_mNS0_19identity_decomposerENS1_16block_id_wrapperIjLb1EEEEE10hipError_tT1_PNSt15iterator_traitsISH_E10value_typeET2_T3_PNSI_ISN_E10value_typeET4_T5_PSS_ST_PNS1_23onesweep_lookback_stateEbbT6_jjT7_P12ihipStream_tbENKUlT_T0_SH_SM_E_clISA_SB_SC_SC_EEDaS10_S11_SH_SM_EUlS10_E_NS1_11comp_targetILNS1_3genE2ELNS1_11target_archE906ELNS1_3gpuE6ELNS1_3repE0EEENS1_47radix_sort_onesweep_sort_config_static_selectorELNS0_4arch9wavefront6targetE0EEEvSH_.uses_flat_scratch, 0
	.set _ZN7rocprim17ROCPRIM_400000_NS6detail17trampoline_kernelINS0_14default_configENS1_35radix_sort_onesweep_config_selectorI6__halfNS0_10empty_typeEEEZZNS1_29radix_sort_onesweep_iterationIS3_Lb0EPKS5_PS5_PS6_SC_mNS0_19identity_decomposerENS1_16block_id_wrapperIjLb1EEEEE10hipError_tT1_PNSt15iterator_traitsISH_E10value_typeET2_T3_PNSI_ISN_E10value_typeET4_T5_PSS_ST_PNS1_23onesweep_lookback_stateEbbT6_jjT7_P12ihipStream_tbENKUlT_T0_SH_SM_E_clISA_SB_SC_SC_EEDaS10_S11_SH_SM_EUlS10_E_NS1_11comp_targetILNS1_3genE2ELNS1_11target_archE906ELNS1_3gpuE6ELNS1_3repE0EEENS1_47radix_sort_onesweep_sort_config_static_selectorELNS0_4arch9wavefront6targetE0EEEvSH_.has_dyn_sized_stack, 0
	.set _ZN7rocprim17ROCPRIM_400000_NS6detail17trampoline_kernelINS0_14default_configENS1_35radix_sort_onesweep_config_selectorI6__halfNS0_10empty_typeEEEZZNS1_29radix_sort_onesweep_iterationIS3_Lb0EPKS5_PS5_PS6_SC_mNS0_19identity_decomposerENS1_16block_id_wrapperIjLb1EEEEE10hipError_tT1_PNSt15iterator_traitsISH_E10value_typeET2_T3_PNSI_ISN_E10value_typeET4_T5_PSS_ST_PNS1_23onesweep_lookback_stateEbbT6_jjT7_P12ihipStream_tbENKUlT_T0_SH_SM_E_clISA_SB_SC_SC_EEDaS10_S11_SH_SM_EUlS10_E_NS1_11comp_targetILNS1_3genE2ELNS1_11target_archE906ELNS1_3gpuE6ELNS1_3repE0EEENS1_47radix_sort_onesweep_sort_config_static_selectorELNS0_4arch9wavefront6targetE0EEEvSH_.has_recursion, 0
	.set _ZN7rocprim17ROCPRIM_400000_NS6detail17trampoline_kernelINS0_14default_configENS1_35radix_sort_onesweep_config_selectorI6__halfNS0_10empty_typeEEEZZNS1_29radix_sort_onesweep_iterationIS3_Lb0EPKS5_PS5_PS6_SC_mNS0_19identity_decomposerENS1_16block_id_wrapperIjLb1EEEEE10hipError_tT1_PNSt15iterator_traitsISH_E10value_typeET2_T3_PNSI_ISN_E10value_typeET4_T5_PSS_ST_PNS1_23onesweep_lookback_stateEbbT6_jjT7_P12ihipStream_tbENKUlT_T0_SH_SM_E_clISA_SB_SC_SC_EEDaS10_S11_SH_SM_EUlS10_E_NS1_11comp_targetILNS1_3genE2ELNS1_11target_archE906ELNS1_3gpuE6ELNS1_3repE0EEENS1_47radix_sort_onesweep_sort_config_static_selectorELNS0_4arch9wavefront6targetE0EEEvSH_.has_indirect_call, 0
	.section	.AMDGPU.csdata,"",@progbits
; Kernel info:
; codeLenInByte = 0
; TotalNumSgprs: 0
; NumVgprs: 0
; ScratchSize: 0
; MemoryBound: 0
; FloatMode: 240
; IeeeMode: 1
; LDSByteSize: 0 bytes/workgroup (compile time only)
; SGPRBlocks: 0
; VGPRBlocks: 0
; NumSGPRsForWavesPerEU: 1
; NumVGPRsForWavesPerEU: 1
; NamedBarCnt: 0
; Occupancy: 16
; WaveLimiterHint : 0
; COMPUTE_PGM_RSRC2:SCRATCH_EN: 0
; COMPUTE_PGM_RSRC2:USER_SGPR: 2
; COMPUTE_PGM_RSRC2:TRAP_HANDLER: 0
; COMPUTE_PGM_RSRC2:TGID_X_EN: 1
; COMPUTE_PGM_RSRC2:TGID_Y_EN: 0
; COMPUTE_PGM_RSRC2:TGID_Z_EN: 0
; COMPUTE_PGM_RSRC2:TIDIG_COMP_CNT: 0
	.section	.text._ZN7rocprim17ROCPRIM_400000_NS6detail17trampoline_kernelINS0_14default_configENS1_35radix_sort_onesweep_config_selectorI6__halfNS0_10empty_typeEEEZZNS1_29radix_sort_onesweep_iterationIS3_Lb0EPKS5_PS5_PS6_SC_mNS0_19identity_decomposerENS1_16block_id_wrapperIjLb1EEEEE10hipError_tT1_PNSt15iterator_traitsISH_E10value_typeET2_T3_PNSI_ISN_E10value_typeET4_T5_PSS_ST_PNS1_23onesweep_lookback_stateEbbT6_jjT7_P12ihipStream_tbENKUlT_T0_SH_SM_E_clISA_SB_SC_SC_EEDaS10_S11_SH_SM_EUlS10_E_NS1_11comp_targetILNS1_3genE4ELNS1_11target_archE910ELNS1_3gpuE8ELNS1_3repE0EEENS1_47radix_sort_onesweep_sort_config_static_selectorELNS0_4arch9wavefront6targetE0EEEvSH_,"axG",@progbits,_ZN7rocprim17ROCPRIM_400000_NS6detail17trampoline_kernelINS0_14default_configENS1_35radix_sort_onesweep_config_selectorI6__halfNS0_10empty_typeEEEZZNS1_29radix_sort_onesweep_iterationIS3_Lb0EPKS5_PS5_PS6_SC_mNS0_19identity_decomposerENS1_16block_id_wrapperIjLb1EEEEE10hipError_tT1_PNSt15iterator_traitsISH_E10value_typeET2_T3_PNSI_ISN_E10value_typeET4_T5_PSS_ST_PNS1_23onesweep_lookback_stateEbbT6_jjT7_P12ihipStream_tbENKUlT_T0_SH_SM_E_clISA_SB_SC_SC_EEDaS10_S11_SH_SM_EUlS10_E_NS1_11comp_targetILNS1_3genE4ELNS1_11target_archE910ELNS1_3gpuE8ELNS1_3repE0EEENS1_47radix_sort_onesweep_sort_config_static_selectorELNS0_4arch9wavefront6targetE0EEEvSH_,comdat
	.protected	_ZN7rocprim17ROCPRIM_400000_NS6detail17trampoline_kernelINS0_14default_configENS1_35radix_sort_onesweep_config_selectorI6__halfNS0_10empty_typeEEEZZNS1_29radix_sort_onesweep_iterationIS3_Lb0EPKS5_PS5_PS6_SC_mNS0_19identity_decomposerENS1_16block_id_wrapperIjLb1EEEEE10hipError_tT1_PNSt15iterator_traitsISH_E10value_typeET2_T3_PNSI_ISN_E10value_typeET4_T5_PSS_ST_PNS1_23onesweep_lookback_stateEbbT6_jjT7_P12ihipStream_tbENKUlT_T0_SH_SM_E_clISA_SB_SC_SC_EEDaS10_S11_SH_SM_EUlS10_E_NS1_11comp_targetILNS1_3genE4ELNS1_11target_archE910ELNS1_3gpuE8ELNS1_3repE0EEENS1_47radix_sort_onesweep_sort_config_static_selectorELNS0_4arch9wavefront6targetE0EEEvSH_ ; -- Begin function _ZN7rocprim17ROCPRIM_400000_NS6detail17trampoline_kernelINS0_14default_configENS1_35radix_sort_onesweep_config_selectorI6__halfNS0_10empty_typeEEEZZNS1_29radix_sort_onesweep_iterationIS3_Lb0EPKS5_PS5_PS6_SC_mNS0_19identity_decomposerENS1_16block_id_wrapperIjLb1EEEEE10hipError_tT1_PNSt15iterator_traitsISH_E10value_typeET2_T3_PNSI_ISN_E10value_typeET4_T5_PSS_ST_PNS1_23onesweep_lookback_stateEbbT6_jjT7_P12ihipStream_tbENKUlT_T0_SH_SM_E_clISA_SB_SC_SC_EEDaS10_S11_SH_SM_EUlS10_E_NS1_11comp_targetILNS1_3genE4ELNS1_11target_archE910ELNS1_3gpuE8ELNS1_3repE0EEENS1_47radix_sort_onesweep_sort_config_static_selectorELNS0_4arch9wavefront6targetE0EEEvSH_
	.globl	_ZN7rocprim17ROCPRIM_400000_NS6detail17trampoline_kernelINS0_14default_configENS1_35radix_sort_onesweep_config_selectorI6__halfNS0_10empty_typeEEEZZNS1_29radix_sort_onesweep_iterationIS3_Lb0EPKS5_PS5_PS6_SC_mNS0_19identity_decomposerENS1_16block_id_wrapperIjLb1EEEEE10hipError_tT1_PNSt15iterator_traitsISH_E10value_typeET2_T3_PNSI_ISN_E10value_typeET4_T5_PSS_ST_PNS1_23onesweep_lookback_stateEbbT6_jjT7_P12ihipStream_tbENKUlT_T0_SH_SM_E_clISA_SB_SC_SC_EEDaS10_S11_SH_SM_EUlS10_E_NS1_11comp_targetILNS1_3genE4ELNS1_11target_archE910ELNS1_3gpuE8ELNS1_3repE0EEENS1_47radix_sort_onesweep_sort_config_static_selectorELNS0_4arch9wavefront6targetE0EEEvSH_
	.p2align	8
	.type	_ZN7rocprim17ROCPRIM_400000_NS6detail17trampoline_kernelINS0_14default_configENS1_35radix_sort_onesweep_config_selectorI6__halfNS0_10empty_typeEEEZZNS1_29radix_sort_onesweep_iterationIS3_Lb0EPKS5_PS5_PS6_SC_mNS0_19identity_decomposerENS1_16block_id_wrapperIjLb1EEEEE10hipError_tT1_PNSt15iterator_traitsISH_E10value_typeET2_T3_PNSI_ISN_E10value_typeET4_T5_PSS_ST_PNS1_23onesweep_lookback_stateEbbT6_jjT7_P12ihipStream_tbENKUlT_T0_SH_SM_E_clISA_SB_SC_SC_EEDaS10_S11_SH_SM_EUlS10_E_NS1_11comp_targetILNS1_3genE4ELNS1_11target_archE910ELNS1_3gpuE8ELNS1_3repE0EEENS1_47radix_sort_onesweep_sort_config_static_selectorELNS0_4arch9wavefront6targetE0EEEvSH_,@function
_ZN7rocprim17ROCPRIM_400000_NS6detail17trampoline_kernelINS0_14default_configENS1_35radix_sort_onesweep_config_selectorI6__halfNS0_10empty_typeEEEZZNS1_29radix_sort_onesweep_iterationIS3_Lb0EPKS5_PS5_PS6_SC_mNS0_19identity_decomposerENS1_16block_id_wrapperIjLb1EEEEE10hipError_tT1_PNSt15iterator_traitsISH_E10value_typeET2_T3_PNSI_ISN_E10value_typeET4_T5_PSS_ST_PNS1_23onesweep_lookback_stateEbbT6_jjT7_P12ihipStream_tbENKUlT_T0_SH_SM_E_clISA_SB_SC_SC_EEDaS10_S11_SH_SM_EUlS10_E_NS1_11comp_targetILNS1_3genE4ELNS1_11target_archE910ELNS1_3gpuE8ELNS1_3repE0EEENS1_47radix_sort_onesweep_sort_config_static_selectorELNS0_4arch9wavefront6targetE0EEEvSH_: ; @_ZN7rocprim17ROCPRIM_400000_NS6detail17trampoline_kernelINS0_14default_configENS1_35radix_sort_onesweep_config_selectorI6__halfNS0_10empty_typeEEEZZNS1_29radix_sort_onesweep_iterationIS3_Lb0EPKS5_PS5_PS6_SC_mNS0_19identity_decomposerENS1_16block_id_wrapperIjLb1EEEEE10hipError_tT1_PNSt15iterator_traitsISH_E10value_typeET2_T3_PNSI_ISN_E10value_typeET4_T5_PSS_ST_PNS1_23onesweep_lookback_stateEbbT6_jjT7_P12ihipStream_tbENKUlT_T0_SH_SM_E_clISA_SB_SC_SC_EEDaS10_S11_SH_SM_EUlS10_E_NS1_11comp_targetILNS1_3genE4ELNS1_11target_archE910ELNS1_3gpuE8ELNS1_3repE0EEENS1_47radix_sort_onesweep_sort_config_static_selectorELNS0_4arch9wavefront6targetE0EEEvSH_
; %bb.0:
	.section	.rodata,"a",@progbits
	.p2align	6, 0x0
	.amdhsa_kernel _ZN7rocprim17ROCPRIM_400000_NS6detail17trampoline_kernelINS0_14default_configENS1_35radix_sort_onesweep_config_selectorI6__halfNS0_10empty_typeEEEZZNS1_29radix_sort_onesweep_iterationIS3_Lb0EPKS5_PS5_PS6_SC_mNS0_19identity_decomposerENS1_16block_id_wrapperIjLb1EEEEE10hipError_tT1_PNSt15iterator_traitsISH_E10value_typeET2_T3_PNSI_ISN_E10value_typeET4_T5_PSS_ST_PNS1_23onesweep_lookback_stateEbbT6_jjT7_P12ihipStream_tbENKUlT_T0_SH_SM_E_clISA_SB_SC_SC_EEDaS10_S11_SH_SM_EUlS10_E_NS1_11comp_targetILNS1_3genE4ELNS1_11target_archE910ELNS1_3gpuE8ELNS1_3repE0EEENS1_47radix_sort_onesweep_sort_config_static_selectorELNS0_4arch9wavefront6targetE0EEEvSH_
		.amdhsa_group_segment_fixed_size 0
		.amdhsa_private_segment_fixed_size 0
		.amdhsa_kernarg_size 88
		.amdhsa_user_sgpr_count 2
		.amdhsa_user_sgpr_dispatch_ptr 0
		.amdhsa_user_sgpr_queue_ptr 0
		.amdhsa_user_sgpr_kernarg_segment_ptr 1
		.amdhsa_user_sgpr_dispatch_id 0
		.amdhsa_user_sgpr_kernarg_preload_length 0
		.amdhsa_user_sgpr_kernarg_preload_offset 0
		.amdhsa_user_sgpr_private_segment_size 0
		.amdhsa_wavefront_size32 1
		.amdhsa_uses_dynamic_stack 0
		.amdhsa_enable_private_segment 0
		.amdhsa_system_sgpr_workgroup_id_x 1
		.amdhsa_system_sgpr_workgroup_id_y 0
		.amdhsa_system_sgpr_workgroup_id_z 0
		.amdhsa_system_sgpr_workgroup_info 0
		.amdhsa_system_vgpr_workitem_id 0
		.amdhsa_next_free_vgpr 1
		.amdhsa_next_free_sgpr 1
		.amdhsa_named_barrier_count 0
		.amdhsa_reserve_vcc 0
		.amdhsa_float_round_mode_32 0
		.amdhsa_float_round_mode_16_64 0
		.amdhsa_float_denorm_mode_32 3
		.amdhsa_float_denorm_mode_16_64 3
		.amdhsa_fp16_overflow 0
		.amdhsa_memory_ordered 1
		.amdhsa_forward_progress 1
		.amdhsa_inst_pref_size 0
		.amdhsa_round_robin_scheduling 0
		.amdhsa_exception_fp_ieee_invalid_op 0
		.amdhsa_exception_fp_denorm_src 0
		.amdhsa_exception_fp_ieee_div_zero 0
		.amdhsa_exception_fp_ieee_overflow 0
		.amdhsa_exception_fp_ieee_underflow 0
		.amdhsa_exception_fp_ieee_inexact 0
		.amdhsa_exception_int_div_zero 0
	.end_amdhsa_kernel
	.section	.text._ZN7rocprim17ROCPRIM_400000_NS6detail17trampoline_kernelINS0_14default_configENS1_35radix_sort_onesweep_config_selectorI6__halfNS0_10empty_typeEEEZZNS1_29radix_sort_onesweep_iterationIS3_Lb0EPKS5_PS5_PS6_SC_mNS0_19identity_decomposerENS1_16block_id_wrapperIjLb1EEEEE10hipError_tT1_PNSt15iterator_traitsISH_E10value_typeET2_T3_PNSI_ISN_E10value_typeET4_T5_PSS_ST_PNS1_23onesweep_lookback_stateEbbT6_jjT7_P12ihipStream_tbENKUlT_T0_SH_SM_E_clISA_SB_SC_SC_EEDaS10_S11_SH_SM_EUlS10_E_NS1_11comp_targetILNS1_3genE4ELNS1_11target_archE910ELNS1_3gpuE8ELNS1_3repE0EEENS1_47radix_sort_onesweep_sort_config_static_selectorELNS0_4arch9wavefront6targetE0EEEvSH_,"axG",@progbits,_ZN7rocprim17ROCPRIM_400000_NS6detail17trampoline_kernelINS0_14default_configENS1_35radix_sort_onesweep_config_selectorI6__halfNS0_10empty_typeEEEZZNS1_29radix_sort_onesweep_iterationIS3_Lb0EPKS5_PS5_PS6_SC_mNS0_19identity_decomposerENS1_16block_id_wrapperIjLb1EEEEE10hipError_tT1_PNSt15iterator_traitsISH_E10value_typeET2_T3_PNSI_ISN_E10value_typeET4_T5_PSS_ST_PNS1_23onesweep_lookback_stateEbbT6_jjT7_P12ihipStream_tbENKUlT_T0_SH_SM_E_clISA_SB_SC_SC_EEDaS10_S11_SH_SM_EUlS10_E_NS1_11comp_targetILNS1_3genE4ELNS1_11target_archE910ELNS1_3gpuE8ELNS1_3repE0EEENS1_47radix_sort_onesweep_sort_config_static_selectorELNS0_4arch9wavefront6targetE0EEEvSH_,comdat
.Lfunc_end2254:
	.size	_ZN7rocprim17ROCPRIM_400000_NS6detail17trampoline_kernelINS0_14default_configENS1_35radix_sort_onesweep_config_selectorI6__halfNS0_10empty_typeEEEZZNS1_29radix_sort_onesweep_iterationIS3_Lb0EPKS5_PS5_PS6_SC_mNS0_19identity_decomposerENS1_16block_id_wrapperIjLb1EEEEE10hipError_tT1_PNSt15iterator_traitsISH_E10value_typeET2_T3_PNSI_ISN_E10value_typeET4_T5_PSS_ST_PNS1_23onesweep_lookback_stateEbbT6_jjT7_P12ihipStream_tbENKUlT_T0_SH_SM_E_clISA_SB_SC_SC_EEDaS10_S11_SH_SM_EUlS10_E_NS1_11comp_targetILNS1_3genE4ELNS1_11target_archE910ELNS1_3gpuE8ELNS1_3repE0EEENS1_47radix_sort_onesweep_sort_config_static_selectorELNS0_4arch9wavefront6targetE0EEEvSH_, .Lfunc_end2254-_ZN7rocprim17ROCPRIM_400000_NS6detail17trampoline_kernelINS0_14default_configENS1_35radix_sort_onesweep_config_selectorI6__halfNS0_10empty_typeEEEZZNS1_29radix_sort_onesweep_iterationIS3_Lb0EPKS5_PS5_PS6_SC_mNS0_19identity_decomposerENS1_16block_id_wrapperIjLb1EEEEE10hipError_tT1_PNSt15iterator_traitsISH_E10value_typeET2_T3_PNSI_ISN_E10value_typeET4_T5_PSS_ST_PNS1_23onesweep_lookback_stateEbbT6_jjT7_P12ihipStream_tbENKUlT_T0_SH_SM_E_clISA_SB_SC_SC_EEDaS10_S11_SH_SM_EUlS10_E_NS1_11comp_targetILNS1_3genE4ELNS1_11target_archE910ELNS1_3gpuE8ELNS1_3repE0EEENS1_47radix_sort_onesweep_sort_config_static_selectorELNS0_4arch9wavefront6targetE0EEEvSH_
                                        ; -- End function
	.set _ZN7rocprim17ROCPRIM_400000_NS6detail17trampoline_kernelINS0_14default_configENS1_35radix_sort_onesweep_config_selectorI6__halfNS0_10empty_typeEEEZZNS1_29radix_sort_onesweep_iterationIS3_Lb0EPKS5_PS5_PS6_SC_mNS0_19identity_decomposerENS1_16block_id_wrapperIjLb1EEEEE10hipError_tT1_PNSt15iterator_traitsISH_E10value_typeET2_T3_PNSI_ISN_E10value_typeET4_T5_PSS_ST_PNS1_23onesweep_lookback_stateEbbT6_jjT7_P12ihipStream_tbENKUlT_T0_SH_SM_E_clISA_SB_SC_SC_EEDaS10_S11_SH_SM_EUlS10_E_NS1_11comp_targetILNS1_3genE4ELNS1_11target_archE910ELNS1_3gpuE8ELNS1_3repE0EEENS1_47radix_sort_onesweep_sort_config_static_selectorELNS0_4arch9wavefront6targetE0EEEvSH_.num_vgpr, 0
	.set _ZN7rocprim17ROCPRIM_400000_NS6detail17trampoline_kernelINS0_14default_configENS1_35radix_sort_onesweep_config_selectorI6__halfNS0_10empty_typeEEEZZNS1_29radix_sort_onesweep_iterationIS3_Lb0EPKS5_PS5_PS6_SC_mNS0_19identity_decomposerENS1_16block_id_wrapperIjLb1EEEEE10hipError_tT1_PNSt15iterator_traitsISH_E10value_typeET2_T3_PNSI_ISN_E10value_typeET4_T5_PSS_ST_PNS1_23onesweep_lookback_stateEbbT6_jjT7_P12ihipStream_tbENKUlT_T0_SH_SM_E_clISA_SB_SC_SC_EEDaS10_S11_SH_SM_EUlS10_E_NS1_11comp_targetILNS1_3genE4ELNS1_11target_archE910ELNS1_3gpuE8ELNS1_3repE0EEENS1_47radix_sort_onesweep_sort_config_static_selectorELNS0_4arch9wavefront6targetE0EEEvSH_.num_agpr, 0
	.set _ZN7rocprim17ROCPRIM_400000_NS6detail17trampoline_kernelINS0_14default_configENS1_35radix_sort_onesweep_config_selectorI6__halfNS0_10empty_typeEEEZZNS1_29radix_sort_onesweep_iterationIS3_Lb0EPKS5_PS5_PS6_SC_mNS0_19identity_decomposerENS1_16block_id_wrapperIjLb1EEEEE10hipError_tT1_PNSt15iterator_traitsISH_E10value_typeET2_T3_PNSI_ISN_E10value_typeET4_T5_PSS_ST_PNS1_23onesweep_lookback_stateEbbT6_jjT7_P12ihipStream_tbENKUlT_T0_SH_SM_E_clISA_SB_SC_SC_EEDaS10_S11_SH_SM_EUlS10_E_NS1_11comp_targetILNS1_3genE4ELNS1_11target_archE910ELNS1_3gpuE8ELNS1_3repE0EEENS1_47radix_sort_onesweep_sort_config_static_selectorELNS0_4arch9wavefront6targetE0EEEvSH_.numbered_sgpr, 0
	.set _ZN7rocprim17ROCPRIM_400000_NS6detail17trampoline_kernelINS0_14default_configENS1_35radix_sort_onesweep_config_selectorI6__halfNS0_10empty_typeEEEZZNS1_29radix_sort_onesweep_iterationIS3_Lb0EPKS5_PS5_PS6_SC_mNS0_19identity_decomposerENS1_16block_id_wrapperIjLb1EEEEE10hipError_tT1_PNSt15iterator_traitsISH_E10value_typeET2_T3_PNSI_ISN_E10value_typeET4_T5_PSS_ST_PNS1_23onesweep_lookback_stateEbbT6_jjT7_P12ihipStream_tbENKUlT_T0_SH_SM_E_clISA_SB_SC_SC_EEDaS10_S11_SH_SM_EUlS10_E_NS1_11comp_targetILNS1_3genE4ELNS1_11target_archE910ELNS1_3gpuE8ELNS1_3repE0EEENS1_47radix_sort_onesweep_sort_config_static_selectorELNS0_4arch9wavefront6targetE0EEEvSH_.num_named_barrier, 0
	.set _ZN7rocprim17ROCPRIM_400000_NS6detail17trampoline_kernelINS0_14default_configENS1_35radix_sort_onesweep_config_selectorI6__halfNS0_10empty_typeEEEZZNS1_29radix_sort_onesweep_iterationIS3_Lb0EPKS5_PS5_PS6_SC_mNS0_19identity_decomposerENS1_16block_id_wrapperIjLb1EEEEE10hipError_tT1_PNSt15iterator_traitsISH_E10value_typeET2_T3_PNSI_ISN_E10value_typeET4_T5_PSS_ST_PNS1_23onesweep_lookback_stateEbbT6_jjT7_P12ihipStream_tbENKUlT_T0_SH_SM_E_clISA_SB_SC_SC_EEDaS10_S11_SH_SM_EUlS10_E_NS1_11comp_targetILNS1_3genE4ELNS1_11target_archE910ELNS1_3gpuE8ELNS1_3repE0EEENS1_47radix_sort_onesweep_sort_config_static_selectorELNS0_4arch9wavefront6targetE0EEEvSH_.private_seg_size, 0
	.set _ZN7rocprim17ROCPRIM_400000_NS6detail17trampoline_kernelINS0_14default_configENS1_35radix_sort_onesweep_config_selectorI6__halfNS0_10empty_typeEEEZZNS1_29radix_sort_onesweep_iterationIS3_Lb0EPKS5_PS5_PS6_SC_mNS0_19identity_decomposerENS1_16block_id_wrapperIjLb1EEEEE10hipError_tT1_PNSt15iterator_traitsISH_E10value_typeET2_T3_PNSI_ISN_E10value_typeET4_T5_PSS_ST_PNS1_23onesweep_lookback_stateEbbT6_jjT7_P12ihipStream_tbENKUlT_T0_SH_SM_E_clISA_SB_SC_SC_EEDaS10_S11_SH_SM_EUlS10_E_NS1_11comp_targetILNS1_3genE4ELNS1_11target_archE910ELNS1_3gpuE8ELNS1_3repE0EEENS1_47radix_sort_onesweep_sort_config_static_selectorELNS0_4arch9wavefront6targetE0EEEvSH_.uses_vcc, 0
	.set _ZN7rocprim17ROCPRIM_400000_NS6detail17trampoline_kernelINS0_14default_configENS1_35radix_sort_onesweep_config_selectorI6__halfNS0_10empty_typeEEEZZNS1_29radix_sort_onesweep_iterationIS3_Lb0EPKS5_PS5_PS6_SC_mNS0_19identity_decomposerENS1_16block_id_wrapperIjLb1EEEEE10hipError_tT1_PNSt15iterator_traitsISH_E10value_typeET2_T3_PNSI_ISN_E10value_typeET4_T5_PSS_ST_PNS1_23onesweep_lookback_stateEbbT6_jjT7_P12ihipStream_tbENKUlT_T0_SH_SM_E_clISA_SB_SC_SC_EEDaS10_S11_SH_SM_EUlS10_E_NS1_11comp_targetILNS1_3genE4ELNS1_11target_archE910ELNS1_3gpuE8ELNS1_3repE0EEENS1_47radix_sort_onesweep_sort_config_static_selectorELNS0_4arch9wavefront6targetE0EEEvSH_.uses_flat_scratch, 0
	.set _ZN7rocprim17ROCPRIM_400000_NS6detail17trampoline_kernelINS0_14default_configENS1_35radix_sort_onesweep_config_selectorI6__halfNS0_10empty_typeEEEZZNS1_29radix_sort_onesweep_iterationIS3_Lb0EPKS5_PS5_PS6_SC_mNS0_19identity_decomposerENS1_16block_id_wrapperIjLb1EEEEE10hipError_tT1_PNSt15iterator_traitsISH_E10value_typeET2_T3_PNSI_ISN_E10value_typeET4_T5_PSS_ST_PNS1_23onesweep_lookback_stateEbbT6_jjT7_P12ihipStream_tbENKUlT_T0_SH_SM_E_clISA_SB_SC_SC_EEDaS10_S11_SH_SM_EUlS10_E_NS1_11comp_targetILNS1_3genE4ELNS1_11target_archE910ELNS1_3gpuE8ELNS1_3repE0EEENS1_47radix_sort_onesweep_sort_config_static_selectorELNS0_4arch9wavefront6targetE0EEEvSH_.has_dyn_sized_stack, 0
	.set _ZN7rocprim17ROCPRIM_400000_NS6detail17trampoline_kernelINS0_14default_configENS1_35radix_sort_onesweep_config_selectorI6__halfNS0_10empty_typeEEEZZNS1_29radix_sort_onesweep_iterationIS3_Lb0EPKS5_PS5_PS6_SC_mNS0_19identity_decomposerENS1_16block_id_wrapperIjLb1EEEEE10hipError_tT1_PNSt15iterator_traitsISH_E10value_typeET2_T3_PNSI_ISN_E10value_typeET4_T5_PSS_ST_PNS1_23onesweep_lookback_stateEbbT6_jjT7_P12ihipStream_tbENKUlT_T0_SH_SM_E_clISA_SB_SC_SC_EEDaS10_S11_SH_SM_EUlS10_E_NS1_11comp_targetILNS1_3genE4ELNS1_11target_archE910ELNS1_3gpuE8ELNS1_3repE0EEENS1_47radix_sort_onesweep_sort_config_static_selectorELNS0_4arch9wavefront6targetE0EEEvSH_.has_recursion, 0
	.set _ZN7rocprim17ROCPRIM_400000_NS6detail17trampoline_kernelINS0_14default_configENS1_35radix_sort_onesweep_config_selectorI6__halfNS0_10empty_typeEEEZZNS1_29radix_sort_onesweep_iterationIS3_Lb0EPKS5_PS5_PS6_SC_mNS0_19identity_decomposerENS1_16block_id_wrapperIjLb1EEEEE10hipError_tT1_PNSt15iterator_traitsISH_E10value_typeET2_T3_PNSI_ISN_E10value_typeET4_T5_PSS_ST_PNS1_23onesweep_lookback_stateEbbT6_jjT7_P12ihipStream_tbENKUlT_T0_SH_SM_E_clISA_SB_SC_SC_EEDaS10_S11_SH_SM_EUlS10_E_NS1_11comp_targetILNS1_3genE4ELNS1_11target_archE910ELNS1_3gpuE8ELNS1_3repE0EEENS1_47radix_sort_onesweep_sort_config_static_selectorELNS0_4arch9wavefront6targetE0EEEvSH_.has_indirect_call, 0
	.section	.AMDGPU.csdata,"",@progbits
; Kernel info:
; codeLenInByte = 0
; TotalNumSgprs: 0
; NumVgprs: 0
; ScratchSize: 0
; MemoryBound: 0
; FloatMode: 240
; IeeeMode: 1
; LDSByteSize: 0 bytes/workgroup (compile time only)
; SGPRBlocks: 0
; VGPRBlocks: 0
; NumSGPRsForWavesPerEU: 1
; NumVGPRsForWavesPerEU: 1
; NamedBarCnt: 0
; Occupancy: 16
; WaveLimiterHint : 0
; COMPUTE_PGM_RSRC2:SCRATCH_EN: 0
; COMPUTE_PGM_RSRC2:USER_SGPR: 2
; COMPUTE_PGM_RSRC2:TRAP_HANDLER: 0
; COMPUTE_PGM_RSRC2:TGID_X_EN: 1
; COMPUTE_PGM_RSRC2:TGID_Y_EN: 0
; COMPUTE_PGM_RSRC2:TGID_Z_EN: 0
; COMPUTE_PGM_RSRC2:TIDIG_COMP_CNT: 0
	.section	.text._ZN7rocprim17ROCPRIM_400000_NS6detail17trampoline_kernelINS0_14default_configENS1_35radix_sort_onesweep_config_selectorI6__halfNS0_10empty_typeEEEZZNS1_29radix_sort_onesweep_iterationIS3_Lb0EPKS5_PS5_PS6_SC_mNS0_19identity_decomposerENS1_16block_id_wrapperIjLb1EEEEE10hipError_tT1_PNSt15iterator_traitsISH_E10value_typeET2_T3_PNSI_ISN_E10value_typeET4_T5_PSS_ST_PNS1_23onesweep_lookback_stateEbbT6_jjT7_P12ihipStream_tbENKUlT_T0_SH_SM_E_clISA_SB_SC_SC_EEDaS10_S11_SH_SM_EUlS10_E_NS1_11comp_targetILNS1_3genE3ELNS1_11target_archE908ELNS1_3gpuE7ELNS1_3repE0EEENS1_47radix_sort_onesweep_sort_config_static_selectorELNS0_4arch9wavefront6targetE0EEEvSH_,"axG",@progbits,_ZN7rocprim17ROCPRIM_400000_NS6detail17trampoline_kernelINS0_14default_configENS1_35radix_sort_onesweep_config_selectorI6__halfNS0_10empty_typeEEEZZNS1_29radix_sort_onesweep_iterationIS3_Lb0EPKS5_PS5_PS6_SC_mNS0_19identity_decomposerENS1_16block_id_wrapperIjLb1EEEEE10hipError_tT1_PNSt15iterator_traitsISH_E10value_typeET2_T3_PNSI_ISN_E10value_typeET4_T5_PSS_ST_PNS1_23onesweep_lookback_stateEbbT6_jjT7_P12ihipStream_tbENKUlT_T0_SH_SM_E_clISA_SB_SC_SC_EEDaS10_S11_SH_SM_EUlS10_E_NS1_11comp_targetILNS1_3genE3ELNS1_11target_archE908ELNS1_3gpuE7ELNS1_3repE0EEENS1_47radix_sort_onesweep_sort_config_static_selectorELNS0_4arch9wavefront6targetE0EEEvSH_,comdat
	.protected	_ZN7rocprim17ROCPRIM_400000_NS6detail17trampoline_kernelINS0_14default_configENS1_35radix_sort_onesweep_config_selectorI6__halfNS0_10empty_typeEEEZZNS1_29radix_sort_onesweep_iterationIS3_Lb0EPKS5_PS5_PS6_SC_mNS0_19identity_decomposerENS1_16block_id_wrapperIjLb1EEEEE10hipError_tT1_PNSt15iterator_traitsISH_E10value_typeET2_T3_PNSI_ISN_E10value_typeET4_T5_PSS_ST_PNS1_23onesweep_lookback_stateEbbT6_jjT7_P12ihipStream_tbENKUlT_T0_SH_SM_E_clISA_SB_SC_SC_EEDaS10_S11_SH_SM_EUlS10_E_NS1_11comp_targetILNS1_3genE3ELNS1_11target_archE908ELNS1_3gpuE7ELNS1_3repE0EEENS1_47radix_sort_onesweep_sort_config_static_selectorELNS0_4arch9wavefront6targetE0EEEvSH_ ; -- Begin function _ZN7rocprim17ROCPRIM_400000_NS6detail17trampoline_kernelINS0_14default_configENS1_35radix_sort_onesweep_config_selectorI6__halfNS0_10empty_typeEEEZZNS1_29radix_sort_onesweep_iterationIS3_Lb0EPKS5_PS5_PS6_SC_mNS0_19identity_decomposerENS1_16block_id_wrapperIjLb1EEEEE10hipError_tT1_PNSt15iterator_traitsISH_E10value_typeET2_T3_PNSI_ISN_E10value_typeET4_T5_PSS_ST_PNS1_23onesweep_lookback_stateEbbT6_jjT7_P12ihipStream_tbENKUlT_T0_SH_SM_E_clISA_SB_SC_SC_EEDaS10_S11_SH_SM_EUlS10_E_NS1_11comp_targetILNS1_3genE3ELNS1_11target_archE908ELNS1_3gpuE7ELNS1_3repE0EEENS1_47radix_sort_onesweep_sort_config_static_selectorELNS0_4arch9wavefront6targetE0EEEvSH_
	.globl	_ZN7rocprim17ROCPRIM_400000_NS6detail17trampoline_kernelINS0_14default_configENS1_35radix_sort_onesweep_config_selectorI6__halfNS0_10empty_typeEEEZZNS1_29radix_sort_onesweep_iterationIS3_Lb0EPKS5_PS5_PS6_SC_mNS0_19identity_decomposerENS1_16block_id_wrapperIjLb1EEEEE10hipError_tT1_PNSt15iterator_traitsISH_E10value_typeET2_T3_PNSI_ISN_E10value_typeET4_T5_PSS_ST_PNS1_23onesweep_lookback_stateEbbT6_jjT7_P12ihipStream_tbENKUlT_T0_SH_SM_E_clISA_SB_SC_SC_EEDaS10_S11_SH_SM_EUlS10_E_NS1_11comp_targetILNS1_3genE3ELNS1_11target_archE908ELNS1_3gpuE7ELNS1_3repE0EEENS1_47radix_sort_onesweep_sort_config_static_selectorELNS0_4arch9wavefront6targetE0EEEvSH_
	.p2align	8
	.type	_ZN7rocprim17ROCPRIM_400000_NS6detail17trampoline_kernelINS0_14default_configENS1_35radix_sort_onesweep_config_selectorI6__halfNS0_10empty_typeEEEZZNS1_29radix_sort_onesweep_iterationIS3_Lb0EPKS5_PS5_PS6_SC_mNS0_19identity_decomposerENS1_16block_id_wrapperIjLb1EEEEE10hipError_tT1_PNSt15iterator_traitsISH_E10value_typeET2_T3_PNSI_ISN_E10value_typeET4_T5_PSS_ST_PNS1_23onesweep_lookback_stateEbbT6_jjT7_P12ihipStream_tbENKUlT_T0_SH_SM_E_clISA_SB_SC_SC_EEDaS10_S11_SH_SM_EUlS10_E_NS1_11comp_targetILNS1_3genE3ELNS1_11target_archE908ELNS1_3gpuE7ELNS1_3repE0EEENS1_47radix_sort_onesweep_sort_config_static_selectorELNS0_4arch9wavefront6targetE0EEEvSH_,@function
_ZN7rocprim17ROCPRIM_400000_NS6detail17trampoline_kernelINS0_14default_configENS1_35radix_sort_onesweep_config_selectorI6__halfNS0_10empty_typeEEEZZNS1_29radix_sort_onesweep_iterationIS3_Lb0EPKS5_PS5_PS6_SC_mNS0_19identity_decomposerENS1_16block_id_wrapperIjLb1EEEEE10hipError_tT1_PNSt15iterator_traitsISH_E10value_typeET2_T3_PNSI_ISN_E10value_typeET4_T5_PSS_ST_PNS1_23onesweep_lookback_stateEbbT6_jjT7_P12ihipStream_tbENKUlT_T0_SH_SM_E_clISA_SB_SC_SC_EEDaS10_S11_SH_SM_EUlS10_E_NS1_11comp_targetILNS1_3genE3ELNS1_11target_archE908ELNS1_3gpuE7ELNS1_3repE0EEENS1_47radix_sort_onesweep_sort_config_static_selectorELNS0_4arch9wavefront6targetE0EEEvSH_: ; @_ZN7rocprim17ROCPRIM_400000_NS6detail17trampoline_kernelINS0_14default_configENS1_35radix_sort_onesweep_config_selectorI6__halfNS0_10empty_typeEEEZZNS1_29radix_sort_onesweep_iterationIS3_Lb0EPKS5_PS5_PS6_SC_mNS0_19identity_decomposerENS1_16block_id_wrapperIjLb1EEEEE10hipError_tT1_PNSt15iterator_traitsISH_E10value_typeET2_T3_PNSI_ISN_E10value_typeET4_T5_PSS_ST_PNS1_23onesweep_lookback_stateEbbT6_jjT7_P12ihipStream_tbENKUlT_T0_SH_SM_E_clISA_SB_SC_SC_EEDaS10_S11_SH_SM_EUlS10_E_NS1_11comp_targetILNS1_3genE3ELNS1_11target_archE908ELNS1_3gpuE7ELNS1_3repE0EEENS1_47radix_sort_onesweep_sort_config_static_selectorELNS0_4arch9wavefront6targetE0EEEvSH_
; %bb.0:
	.section	.rodata,"a",@progbits
	.p2align	6, 0x0
	.amdhsa_kernel _ZN7rocprim17ROCPRIM_400000_NS6detail17trampoline_kernelINS0_14default_configENS1_35radix_sort_onesweep_config_selectorI6__halfNS0_10empty_typeEEEZZNS1_29radix_sort_onesweep_iterationIS3_Lb0EPKS5_PS5_PS6_SC_mNS0_19identity_decomposerENS1_16block_id_wrapperIjLb1EEEEE10hipError_tT1_PNSt15iterator_traitsISH_E10value_typeET2_T3_PNSI_ISN_E10value_typeET4_T5_PSS_ST_PNS1_23onesweep_lookback_stateEbbT6_jjT7_P12ihipStream_tbENKUlT_T0_SH_SM_E_clISA_SB_SC_SC_EEDaS10_S11_SH_SM_EUlS10_E_NS1_11comp_targetILNS1_3genE3ELNS1_11target_archE908ELNS1_3gpuE7ELNS1_3repE0EEENS1_47radix_sort_onesweep_sort_config_static_selectorELNS0_4arch9wavefront6targetE0EEEvSH_
		.amdhsa_group_segment_fixed_size 0
		.amdhsa_private_segment_fixed_size 0
		.amdhsa_kernarg_size 88
		.amdhsa_user_sgpr_count 2
		.amdhsa_user_sgpr_dispatch_ptr 0
		.amdhsa_user_sgpr_queue_ptr 0
		.amdhsa_user_sgpr_kernarg_segment_ptr 1
		.amdhsa_user_sgpr_dispatch_id 0
		.amdhsa_user_sgpr_kernarg_preload_length 0
		.amdhsa_user_sgpr_kernarg_preload_offset 0
		.amdhsa_user_sgpr_private_segment_size 0
		.amdhsa_wavefront_size32 1
		.amdhsa_uses_dynamic_stack 0
		.amdhsa_enable_private_segment 0
		.amdhsa_system_sgpr_workgroup_id_x 1
		.amdhsa_system_sgpr_workgroup_id_y 0
		.amdhsa_system_sgpr_workgroup_id_z 0
		.amdhsa_system_sgpr_workgroup_info 0
		.amdhsa_system_vgpr_workitem_id 0
		.amdhsa_next_free_vgpr 1
		.amdhsa_next_free_sgpr 1
		.amdhsa_named_barrier_count 0
		.amdhsa_reserve_vcc 0
		.amdhsa_float_round_mode_32 0
		.amdhsa_float_round_mode_16_64 0
		.amdhsa_float_denorm_mode_32 3
		.amdhsa_float_denorm_mode_16_64 3
		.amdhsa_fp16_overflow 0
		.amdhsa_memory_ordered 1
		.amdhsa_forward_progress 1
		.amdhsa_inst_pref_size 0
		.amdhsa_round_robin_scheduling 0
		.amdhsa_exception_fp_ieee_invalid_op 0
		.amdhsa_exception_fp_denorm_src 0
		.amdhsa_exception_fp_ieee_div_zero 0
		.amdhsa_exception_fp_ieee_overflow 0
		.amdhsa_exception_fp_ieee_underflow 0
		.amdhsa_exception_fp_ieee_inexact 0
		.amdhsa_exception_int_div_zero 0
	.end_amdhsa_kernel
	.section	.text._ZN7rocprim17ROCPRIM_400000_NS6detail17trampoline_kernelINS0_14default_configENS1_35radix_sort_onesweep_config_selectorI6__halfNS0_10empty_typeEEEZZNS1_29radix_sort_onesweep_iterationIS3_Lb0EPKS5_PS5_PS6_SC_mNS0_19identity_decomposerENS1_16block_id_wrapperIjLb1EEEEE10hipError_tT1_PNSt15iterator_traitsISH_E10value_typeET2_T3_PNSI_ISN_E10value_typeET4_T5_PSS_ST_PNS1_23onesweep_lookback_stateEbbT6_jjT7_P12ihipStream_tbENKUlT_T0_SH_SM_E_clISA_SB_SC_SC_EEDaS10_S11_SH_SM_EUlS10_E_NS1_11comp_targetILNS1_3genE3ELNS1_11target_archE908ELNS1_3gpuE7ELNS1_3repE0EEENS1_47radix_sort_onesweep_sort_config_static_selectorELNS0_4arch9wavefront6targetE0EEEvSH_,"axG",@progbits,_ZN7rocprim17ROCPRIM_400000_NS6detail17trampoline_kernelINS0_14default_configENS1_35radix_sort_onesweep_config_selectorI6__halfNS0_10empty_typeEEEZZNS1_29radix_sort_onesweep_iterationIS3_Lb0EPKS5_PS5_PS6_SC_mNS0_19identity_decomposerENS1_16block_id_wrapperIjLb1EEEEE10hipError_tT1_PNSt15iterator_traitsISH_E10value_typeET2_T3_PNSI_ISN_E10value_typeET4_T5_PSS_ST_PNS1_23onesweep_lookback_stateEbbT6_jjT7_P12ihipStream_tbENKUlT_T0_SH_SM_E_clISA_SB_SC_SC_EEDaS10_S11_SH_SM_EUlS10_E_NS1_11comp_targetILNS1_3genE3ELNS1_11target_archE908ELNS1_3gpuE7ELNS1_3repE0EEENS1_47radix_sort_onesweep_sort_config_static_selectorELNS0_4arch9wavefront6targetE0EEEvSH_,comdat
.Lfunc_end2255:
	.size	_ZN7rocprim17ROCPRIM_400000_NS6detail17trampoline_kernelINS0_14default_configENS1_35radix_sort_onesweep_config_selectorI6__halfNS0_10empty_typeEEEZZNS1_29radix_sort_onesweep_iterationIS3_Lb0EPKS5_PS5_PS6_SC_mNS0_19identity_decomposerENS1_16block_id_wrapperIjLb1EEEEE10hipError_tT1_PNSt15iterator_traitsISH_E10value_typeET2_T3_PNSI_ISN_E10value_typeET4_T5_PSS_ST_PNS1_23onesweep_lookback_stateEbbT6_jjT7_P12ihipStream_tbENKUlT_T0_SH_SM_E_clISA_SB_SC_SC_EEDaS10_S11_SH_SM_EUlS10_E_NS1_11comp_targetILNS1_3genE3ELNS1_11target_archE908ELNS1_3gpuE7ELNS1_3repE0EEENS1_47radix_sort_onesweep_sort_config_static_selectorELNS0_4arch9wavefront6targetE0EEEvSH_, .Lfunc_end2255-_ZN7rocprim17ROCPRIM_400000_NS6detail17trampoline_kernelINS0_14default_configENS1_35radix_sort_onesweep_config_selectorI6__halfNS0_10empty_typeEEEZZNS1_29radix_sort_onesweep_iterationIS3_Lb0EPKS5_PS5_PS6_SC_mNS0_19identity_decomposerENS1_16block_id_wrapperIjLb1EEEEE10hipError_tT1_PNSt15iterator_traitsISH_E10value_typeET2_T3_PNSI_ISN_E10value_typeET4_T5_PSS_ST_PNS1_23onesweep_lookback_stateEbbT6_jjT7_P12ihipStream_tbENKUlT_T0_SH_SM_E_clISA_SB_SC_SC_EEDaS10_S11_SH_SM_EUlS10_E_NS1_11comp_targetILNS1_3genE3ELNS1_11target_archE908ELNS1_3gpuE7ELNS1_3repE0EEENS1_47radix_sort_onesweep_sort_config_static_selectorELNS0_4arch9wavefront6targetE0EEEvSH_
                                        ; -- End function
	.set _ZN7rocprim17ROCPRIM_400000_NS6detail17trampoline_kernelINS0_14default_configENS1_35radix_sort_onesweep_config_selectorI6__halfNS0_10empty_typeEEEZZNS1_29radix_sort_onesweep_iterationIS3_Lb0EPKS5_PS5_PS6_SC_mNS0_19identity_decomposerENS1_16block_id_wrapperIjLb1EEEEE10hipError_tT1_PNSt15iterator_traitsISH_E10value_typeET2_T3_PNSI_ISN_E10value_typeET4_T5_PSS_ST_PNS1_23onesweep_lookback_stateEbbT6_jjT7_P12ihipStream_tbENKUlT_T0_SH_SM_E_clISA_SB_SC_SC_EEDaS10_S11_SH_SM_EUlS10_E_NS1_11comp_targetILNS1_3genE3ELNS1_11target_archE908ELNS1_3gpuE7ELNS1_3repE0EEENS1_47radix_sort_onesweep_sort_config_static_selectorELNS0_4arch9wavefront6targetE0EEEvSH_.num_vgpr, 0
	.set _ZN7rocprim17ROCPRIM_400000_NS6detail17trampoline_kernelINS0_14default_configENS1_35radix_sort_onesweep_config_selectorI6__halfNS0_10empty_typeEEEZZNS1_29radix_sort_onesweep_iterationIS3_Lb0EPKS5_PS5_PS6_SC_mNS0_19identity_decomposerENS1_16block_id_wrapperIjLb1EEEEE10hipError_tT1_PNSt15iterator_traitsISH_E10value_typeET2_T3_PNSI_ISN_E10value_typeET4_T5_PSS_ST_PNS1_23onesweep_lookback_stateEbbT6_jjT7_P12ihipStream_tbENKUlT_T0_SH_SM_E_clISA_SB_SC_SC_EEDaS10_S11_SH_SM_EUlS10_E_NS1_11comp_targetILNS1_3genE3ELNS1_11target_archE908ELNS1_3gpuE7ELNS1_3repE0EEENS1_47radix_sort_onesweep_sort_config_static_selectorELNS0_4arch9wavefront6targetE0EEEvSH_.num_agpr, 0
	.set _ZN7rocprim17ROCPRIM_400000_NS6detail17trampoline_kernelINS0_14default_configENS1_35radix_sort_onesweep_config_selectorI6__halfNS0_10empty_typeEEEZZNS1_29radix_sort_onesweep_iterationIS3_Lb0EPKS5_PS5_PS6_SC_mNS0_19identity_decomposerENS1_16block_id_wrapperIjLb1EEEEE10hipError_tT1_PNSt15iterator_traitsISH_E10value_typeET2_T3_PNSI_ISN_E10value_typeET4_T5_PSS_ST_PNS1_23onesweep_lookback_stateEbbT6_jjT7_P12ihipStream_tbENKUlT_T0_SH_SM_E_clISA_SB_SC_SC_EEDaS10_S11_SH_SM_EUlS10_E_NS1_11comp_targetILNS1_3genE3ELNS1_11target_archE908ELNS1_3gpuE7ELNS1_3repE0EEENS1_47radix_sort_onesweep_sort_config_static_selectorELNS0_4arch9wavefront6targetE0EEEvSH_.numbered_sgpr, 0
	.set _ZN7rocprim17ROCPRIM_400000_NS6detail17trampoline_kernelINS0_14default_configENS1_35radix_sort_onesweep_config_selectorI6__halfNS0_10empty_typeEEEZZNS1_29radix_sort_onesweep_iterationIS3_Lb0EPKS5_PS5_PS6_SC_mNS0_19identity_decomposerENS1_16block_id_wrapperIjLb1EEEEE10hipError_tT1_PNSt15iterator_traitsISH_E10value_typeET2_T3_PNSI_ISN_E10value_typeET4_T5_PSS_ST_PNS1_23onesweep_lookback_stateEbbT6_jjT7_P12ihipStream_tbENKUlT_T0_SH_SM_E_clISA_SB_SC_SC_EEDaS10_S11_SH_SM_EUlS10_E_NS1_11comp_targetILNS1_3genE3ELNS1_11target_archE908ELNS1_3gpuE7ELNS1_3repE0EEENS1_47radix_sort_onesweep_sort_config_static_selectorELNS0_4arch9wavefront6targetE0EEEvSH_.num_named_barrier, 0
	.set _ZN7rocprim17ROCPRIM_400000_NS6detail17trampoline_kernelINS0_14default_configENS1_35radix_sort_onesweep_config_selectorI6__halfNS0_10empty_typeEEEZZNS1_29radix_sort_onesweep_iterationIS3_Lb0EPKS5_PS5_PS6_SC_mNS0_19identity_decomposerENS1_16block_id_wrapperIjLb1EEEEE10hipError_tT1_PNSt15iterator_traitsISH_E10value_typeET2_T3_PNSI_ISN_E10value_typeET4_T5_PSS_ST_PNS1_23onesweep_lookback_stateEbbT6_jjT7_P12ihipStream_tbENKUlT_T0_SH_SM_E_clISA_SB_SC_SC_EEDaS10_S11_SH_SM_EUlS10_E_NS1_11comp_targetILNS1_3genE3ELNS1_11target_archE908ELNS1_3gpuE7ELNS1_3repE0EEENS1_47radix_sort_onesweep_sort_config_static_selectorELNS0_4arch9wavefront6targetE0EEEvSH_.private_seg_size, 0
	.set _ZN7rocprim17ROCPRIM_400000_NS6detail17trampoline_kernelINS0_14default_configENS1_35radix_sort_onesweep_config_selectorI6__halfNS0_10empty_typeEEEZZNS1_29radix_sort_onesweep_iterationIS3_Lb0EPKS5_PS5_PS6_SC_mNS0_19identity_decomposerENS1_16block_id_wrapperIjLb1EEEEE10hipError_tT1_PNSt15iterator_traitsISH_E10value_typeET2_T3_PNSI_ISN_E10value_typeET4_T5_PSS_ST_PNS1_23onesweep_lookback_stateEbbT6_jjT7_P12ihipStream_tbENKUlT_T0_SH_SM_E_clISA_SB_SC_SC_EEDaS10_S11_SH_SM_EUlS10_E_NS1_11comp_targetILNS1_3genE3ELNS1_11target_archE908ELNS1_3gpuE7ELNS1_3repE0EEENS1_47radix_sort_onesweep_sort_config_static_selectorELNS0_4arch9wavefront6targetE0EEEvSH_.uses_vcc, 0
	.set _ZN7rocprim17ROCPRIM_400000_NS6detail17trampoline_kernelINS0_14default_configENS1_35radix_sort_onesweep_config_selectorI6__halfNS0_10empty_typeEEEZZNS1_29radix_sort_onesweep_iterationIS3_Lb0EPKS5_PS5_PS6_SC_mNS0_19identity_decomposerENS1_16block_id_wrapperIjLb1EEEEE10hipError_tT1_PNSt15iterator_traitsISH_E10value_typeET2_T3_PNSI_ISN_E10value_typeET4_T5_PSS_ST_PNS1_23onesweep_lookback_stateEbbT6_jjT7_P12ihipStream_tbENKUlT_T0_SH_SM_E_clISA_SB_SC_SC_EEDaS10_S11_SH_SM_EUlS10_E_NS1_11comp_targetILNS1_3genE3ELNS1_11target_archE908ELNS1_3gpuE7ELNS1_3repE0EEENS1_47radix_sort_onesweep_sort_config_static_selectorELNS0_4arch9wavefront6targetE0EEEvSH_.uses_flat_scratch, 0
	.set _ZN7rocprim17ROCPRIM_400000_NS6detail17trampoline_kernelINS0_14default_configENS1_35radix_sort_onesweep_config_selectorI6__halfNS0_10empty_typeEEEZZNS1_29radix_sort_onesweep_iterationIS3_Lb0EPKS5_PS5_PS6_SC_mNS0_19identity_decomposerENS1_16block_id_wrapperIjLb1EEEEE10hipError_tT1_PNSt15iterator_traitsISH_E10value_typeET2_T3_PNSI_ISN_E10value_typeET4_T5_PSS_ST_PNS1_23onesweep_lookback_stateEbbT6_jjT7_P12ihipStream_tbENKUlT_T0_SH_SM_E_clISA_SB_SC_SC_EEDaS10_S11_SH_SM_EUlS10_E_NS1_11comp_targetILNS1_3genE3ELNS1_11target_archE908ELNS1_3gpuE7ELNS1_3repE0EEENS1_47radix_sort_onesweep_sort_config_static_selectorELNS0_4arch9wavefront6targetE0EEEvSH_.has_dyn_sized_stack, 0
	.set _ZN7rocprim17ROCPRIM_400000_NS6detail17trampoline_kernelINS0_14default_configENS1_35radix_sort_onesweep_config_selectorI6__halfNS0_10empty_typeEEEZZNS1_29radix_sort_onesweep_iterationIS3_Lb0EPKS5_PS5_PS6_SC_mNS0_19identity_decomposerENS1_16block_id_wrapperIjLb1EEEEE10hipError_tT1_PNSt15iterator_traitsISH_E10value_typeET2_T3_PNSI_ISN_E10value_typeET4_T5_PSS_ST_PNS1_23onesweep_lookback_stateEbbT6_jjT7_P12ihipStream_tbENKUlT_T0_SH_SM_E_clISA_SB_SC_SC_EEDaS10_S11_SH_SM_EUlS10_E_NS1_11comp_targetILNS1_3genE3ELNS1_11target_archE908ELNS1_3gpuE7ELNS1_3repE0EEENS1_47radix_sort_onesweep_sort_config_static_selectorELNS0_4arch9wavefront6targetE0EEEvSH_.has_recursion, 0
	.set _ZN7rocprim17ROCPRIM_400000_NS6detail17trampoline_kernelINS0_14default_configENS1_35radix_sort_onesweep_config_selectorI6__halfNS0_10empty_typeEEEZZNS1_29radix_sort_onesweep_iterationIS3_Lb0EPKS5_PS5_PS6_SC_mNS0_19identity_decomposerENS1_16block_id_wrapperIjLb1EEEEE10hipError_tT1_PNSt15iterator_traitsISH_E10value_typeET2_T3_PNSI_ISN_E10value_typeET4_T5_PSS_ST_PNS1_23onesweep_lookback_stateEbbT6_jjT7_P12ihipStream_tbENKUlT_T0_SH_SM_E_clISA_SB_SC_SC_EEDaS10_S11_SH_SM_EUlS10_E_NS1_11comp_targetILNS1_3genE3ELNS1_11target_archE908ELNS1_3gpuE7ELNS1_3repE0EEENS1_47radix_sort_onesweep_sort_config_static_selectorELNS0_4arch9wavefront6targetE0EEEvSH_.has_indirect_call, 0
	.section	.AMDGPU.csdata,"",@progbits
; Kernel info:
; codeLenInByte = 0
; TotalNumSgprs: 0
; NumVgprs: 0
; ScratchSize: 0
; MemoryBound: 0
; FloatMode: 240
; IeeeMode: 1
; LDSByteSize: 0 bytes/workgroup (compile time only)
; SGPRBlocks: 0
; VGPRBlocks: 0
; NumSGPRsForWavesPerEU: 1
; NumVGPRsForWavesPerEU: 1
; NamedBarCnt: 0
; Occupancy: 16
; WaveLimiterHint : 0
; COMPUTE_PGM_RSRC2:SCRATCH_EN: 0
; COMPUTE_PGM_RSRC2:USER_SGPR: 2
; COMPUTE_PGM_RSRC2:TRAP_HANDLER: 0
; COMPUTE_PGM_RSRC2:TGID_X_EN: 1
; COMPUTE_PGM_RSRC2:TGID_Y_EN: 0
; COMPUTE_PGM_RSRC2:TGID_Z_EN: 0
; COMPUTE_PGM_RSRC2:TIDIG_COMP_CNT: 0
	.section	.text._ZN7rocprim17ROCPRIM_400000_NS6detail17trampoline_kernelINS0_14default_configENS1_35radix_sort_onesweep_config_selectorI6__halfNS0_10empty_typeEEEZZNS1_29radix_sort_onesweep_iterationIS3_Lb0EPKS5_PS5_PS6_SC_mNS0_19identity_decomposerENS1_16block_id_wrapperIjLb1EEEEE10hipError_tT1_PNSt15iterator_traitsISH_E10value_typeET2_T3_PNSI_ISN_E10value_typeET4_T5_PSS_ST_PNS1_23onesweep_lookback_stateEbbT6_jjT7_P12ihipStream_tbENKUlT_T0_SH_SM_E_clISA_SB_SC_SC_EEDaS10_S11_SH_SM_EUlS10_E_NS1_11comp_targetILNS1_3genE10ELNS1_11target_archE1201ELNS1_3gpuE5ELNS1_3repE0EEENS1_47radix_sort_onesweep_sort_config_static_selectorELNS0_4arch9wavefront6targetE0EEEvSH_,"axG",@progbits,_ZN7rocprim17ROCPRIM_400000_NS6detail17trampoline_kernelINS0_14default_configENS1_35radix_sort_onesweep_config_selectorI6__halfNS0_10empty_typeEEEZZNS1_29radix_sort_onesweep_iterationIS3_Lb0EPKS5_PS5_PS6_SC_mNS0_19identity_decomposerENS1_16block_id_wrapperIjLb1EEEEE10hipError_tT1_PNSt15iterator_traitsISH_E10value_typeET2_T3_PNSI_ISN_E10value_typeET4_T5_PSS_ST_PNS1_23onesweep_lookback_stateEbbT6_jjT7_P12ihipStream_tbENKUlT_T0_SH_SM_E_clISA_SB_SC_SC_EEDaS10_S11_SH_SM_EUlS10_E_NS1_11comp_targetILNS1_3genE10ELNS1_11target_archE1201ELNS1_3gpuE5ELNS1_3repE0EEENS1_47radix_sort_onesweep_sort_config_static_selectorELNS0_4arch9wavefront6targetE0EEEvSH_,comdat
	.protected	_ZN7rocprim17ROCPRIM_400000_NS6detail17trampoline_kernelINS0_14default_configENS1_35radix_sort_onesweep_config_selectorI6__halfNS0_10empty_typeEEEZZNS1_29radix_sort_onesweep_iterationIS3_Lb0EPKS5_PS5_PS6_SC_mNS0_19identity_decomposerENS1_16block_id_wrapperIjLb1EEEEE10hipError_tT1_PNSt15iterator_traitsISH_E10value_typeET2_T3_PNSI_ISN_E10value_typeET4_T5_PSS_ST_PNS1_23onesweep_lookback_stateEbbT6_jjT7_P12ihipStream_tbENKUlT_T0_SH_SM_E_clISA_SB_SC_SC_EEDaS10_S11_SH_SM_EUlS10_E_NS1_11comp_targetILNS1_3genE10ELNS1_11target_archE1201ELNS1_3gpuE5ELNS1_3repE0EEENS1_47radix_sort_onesweep_sort_config_static_selectorELNS0_4arch9wavefront6targetE0EEEvSH_ ; -- Begin function _ZN7rocprim17ROCPRIM_400000_NS6detail17trampoline_kernelINS0_14default_configENS1_35radix_sort_onesweep_config_selectorI6__halfNS0_10empty_typeEEEZZNS1_29radix_sort_onesweep_iterationIS3_Lb0EPKS5_PS5_PS6_SC_mNS0_19identity_decomposerENS1_16block_id_wrapperIjLb1EEEEE10hipError_tT1_PNSt15iterator_traitsISH_E10value_typeET2_T3_PNSI_ISN_E10value_typeET4_T5_PSS_ST_PNS1_23onesweep_lookback_stateEbbT6_jjT7_P12ihipStream_tbENKUlT_T0_SH_SM_E_clISA_SB_SC_SC_EEDaS10_S11_SH_SM_EUlS10_E_NS1_11comp_targetILNS1_3genE10ELNS1_11target_archE1201ELNS1_3gpuE5ELNS1_3repE0EEENS1_47radix_sort_onesweep_sort_config_static_selectorELNS0_4arch9wavefront6targetE0EEEvSH_
	.globl	_ZN7rocprim17ROCPRIM_400000_NS6detail17trampoline_kernelINS0_14default_configENS1_35radix_sort_onesweep_config_selectorI6__halfNS0_10empty_typeEEEZZNS1_29radix_sort_onesweep_iterationIS3_Lb0EPKS5_PS5_PS6_SC_mNS0_19identity_decomposerENS1_16block_id_wrapperIjLb1EEEEE10hipError_tT1_PNSt15iterator_traitsISH_E10value_typeET2_T3_PNSI_ISN_E10value_typeET4_T5_PSS_ST_PNS1_23onesweep_lookback_stateEbbT6_jjT7_P12ihipStream_tbENKUlT_T0_SH_SM_E_clISA_SB_SC_SC_EEDaS10_S11_SH_SM_EUlS10_E_NS1_11comp_targetILNS1_3genE10ELNS1_11target_archE1201ELNS1_3gpuE5ELNS1_3repE0EEENS1_47radix_sort_onesweep_sort_config_static_selectorELNS0_4arch9wavefront6targetE0EEEvSH_
	.p2align	8
	.type	_ZN7rocprim17ROCPRIM_400000_NS6detail17trampoline_kernelINS0_14default_configENS1_35radix_sort_onesweep_config_selectorI6__halfNS0_10empty_typeEEEZZNS1_29radix_sort_onesweep_iterationIS3_Lb0EPKS5_PS5_PS6_SC_mNS0_19identity_decomposerENS1_16block_id_wrapperIjLb1EEEEE10hipError_tT1_PNSt15iterator_traitsISH_E10value_typeET2_T3_PNSI_ISN_E10value_typeET4_T5_PSS_ST_PNS1_23onesweep_lookback_stateEbbT6_jjT7_P12ihipStream_tbENKUlT_T0_SH_SM_E_clISA_SB_SC_SC_EEDaS10_S11_SH_SM_EUlS10_E_NS1_11comp_targetILNS1_3genE10ELNS1_11target_archE1201ELNS1_3gpuE5ELNS1_3repE0EEENS1_47radix_sort_onesweep_sort_config_static_selectorELNS0_4arch9wavefront6targetE0EEEvSH_,@function
_ZN7rocprim17ROCPRIM_400000_NS6detail17trampoline_kernelINS0_14default_configENS1_35radix_sort_onesweep_config_selectorI6__halfNS0_10empty_typeEEEZZNS1_29radix_sort_onesweep_iterationIS3_Lb0EPKS5_PS5_PS6_SC_mNS0_19identity_decomposerENS1_16block_id_wrapperIjLb1EEEEE10hipError_tT1_PNSt15iterator_traitsISH_E10value_typeET2_T3_PNSI_ISN_E10value_typeET4_T5_PSS_ST_PNS1_23onesweep_lookback_stateEbbT6_jjT7_P12ihipStream_tbENKUlT_T0_SH_SM_E_clISA_SB_SC_SC_EEDaS10_S11_SH_SM_EUlS10_E_NS1_11comp_targetILNS1_3genE10ELNS1_11target_archE1201ELNS1_3gpuE5ELNS1_3repE0EEENS1_47radix_sort_onesweep_sort_config_static_selectorELNS0_4arch9wavefront6targetE0EEEvSH_: ; @_ZN7rocprim17ROCPRIM_400000_NS6detail17trampoline_kernelINS0_14default_configENS1_35radix_sort_onesweep_config_selectorI6__halfNS0_10empty_typeEEEZZNS1_29radix_sort_onesweep_iterationIS3_Lb0EPKS5_PS5_PS6_SC_mNS0_19identity_decomposerENS1_16block_id_wrapperIjLb1EEEEE10hipError_tT1_PNSt15iterator_traitsISH_E10value_typeET2_T3_PNSI_ISN_E10value_typeET4_T5_PSS_ST_PNS1_23onesweep_lookback_stateEbbT6_jjT7_P12ihipStream_tbENKUlT_T0_SH_SM_E_clISA_SB_SC_SC_EEDaS10_S11_SH_SM_EUlS10_E_NS1_11comp_targetILNS1_3genE10ELNS1_11target_archE1201ELNS1_3gpuE5ELNS1_3repE0EEENS1_47radix_sort_onesweep_sort_config_static_selectorELNS0_4arch9wavefront6targetE0EEEvSH_
; %bb.0:
	.section	.rodata,"a",@progbits
	.p2align	6, 0x0
	.amdhsa_kernel _ZN7rocprim17ROCPRIM_400000_NS6detail17trampoline_kernelINS0_14default_configENS1_35radix_sort_onesweep_config_selectorI6__halfNS0_10empty_typeEEEZZNS1_29radix_sort_onesweep_iterationIS3_Lb0EPKS5_PS5_PS6_SC_mNS0_19identity_decomposerENS1_16block_id_wrapperIjLb1EEEEE10hipError_tT1_PNSt15iterator_traitsISH_E10value_typeET2_T3_PNSI_ISN_E10value_typeET4_T5_PSS_ST_PNS1_23onesweep_lookback_stateEbbT6_jjT7_P12ihipStream_tbENKUlT_T0_SH_SM_E_clISA_SB_SC_SC_EEDaS10_S11_SH_SM_EUlS10_E_NS1_11comp_targetILNS1_3genE10ELNS1_11target_archE1201ELNS1_3gpuE5ELNS1_3repE0EEENS1_47radix_sort_onesweep_sort_config_static_selectorELNS0_4arch9wavefront6targetE0EEEvSH_
		.amdhsa_group_segment_fixed_size 0
		.amdhsa_private_segment_fixed_size 0
		.amdhsa_kernarg_size 88
		.amdhsa_user_sgpr_count 2
		.amdhsa_user_sgpr_dispatch_ptr 0
		.amdhsa_user_sgpr_queue_ptr 0
		.amdhsa_user_sgpr_kernarg_segment_ptr 1
		.amdhsa_user_sgpr_dispatch_id 0
		.amdhsa_user_sgpr_kernarg_preload_length 0
		.amdhsa_user_sgpr_kernarg_preload_offset 0
		.amdhsa_user_sgpr_private_segment_size 0
		.amdhsa_wavefront_size32 1
		.amdhsa_uses_dynamic_stack 0
		.amdhsa_enable_private_segment 0
		.amdhsa_system_sgpr_workgroup_id_x 1
		.amdhsa_system_sgpr_workgroup_id_y 0
		.amdhsa_system_sgpr_workgroup_id_z 0
		.amdhsa_system_sgpr_workgroup_info 0
		.amdhsa_system_vgpr_workitem_id 0
		.amdhsa_next_free_vgpr 1
		.amdhsa_next_free_sgpr 1
		.amdhsa_named_barrier_count 0
		.amdhsa_reserve_vcc 0
		.amdhsa_float_round_mode_32 0
		.amdhsa_float_round_mode_16_64 0
		.amdhsa_float_denorm_mode_32 3
		.amdhsa_float_denorm_mode_16_64 3
		.amdhsa_fp16_overflow 0
		.amdhsa_memory_ordered 1
		.amdhsa_forward_progress 1
		.amdhsa_inst_pref_size 0
		.amdhsa_round_robin_scheduling 0
		.amdhsa_exception_fp_ieee_invalid_op 0
		.amdhsa_exception_fp_denorm_src 0
		.amdhsa_exception_fp_ieee_div_zero 0
		.amdhsa_exception_fp_ieee_overflow 0
		.amdhsa_exception_fp_ieee_underflow 0
		.amdhsa_exception_fp_ieee_inexact 0
		.amdhsa_exception_int_div_zero 0
	.end_amdhsa_kernel
	.section	.text._ZN7rocprim17ROCPRIM_400000_NS6detail17trampoline_kernelINS0_14default_configENS1_35radix_sort_onesweep_config_selectorI6__halfNS0_10empty_typeEEEZZNS1_29radix_sort_onesweep_iterationIS3_Lb0EPKS5_PS5_PS6_SC_mNS0_19identity_decomposerENS1_16block_id_wrapperIjLb1EEEEE10hipError_tT1_PNSt15iterator_traitsISH_E10value_typeET2_T3_PNSI_ISN_E10value_typeET4_T5_PSS_ST_PNS1_23onesweep_lookback_stateEbbT6_jjT7_P12ihipStream_tbENKUlT_T0_SH_SM_E_clISA_SB_SC_SC_EEDaS10_S11_SH_SM_EUlS10_E_NS1_11comp_targetILNS1_3genE10ELNS1_11target_archE1201ELNS1_3gpuE5ELNS1_3repE0EEENS1_47radix_sort_onesweep_sort_config_static_selectorELNS0_4arch9wavefront6targetE0EEEvSH_,"axG",@progbits,_ZN7rocprim17ROCPRIM_400000_NS6detail17trampoline_kernelINS0_14default_configENS1_35radix_sort_onesweep_config_selectorI6__halfNS0_10empty_typeEEEZZNS1_29radix_sort_onesweep_iterationIS3_Lb0EPKS5_PS5_PS6_SC_mNS0_19identity_decomposerENS1_16block_id_wrapperIjLb1EEEEE10hipError_tT1_PNSt15iterator_traitsISH_E10value_typeET2_T3_PNSI_ISN_E10value_typeET4_T5_PSS_ST_PNS1_23onesweep_lookback_stateEbbT6_jjT7_P12ihipStream_tbENKUlT_T0_SH_SM_E_clISA_SB_SC_SC_EEDaS10_S11_SH_SM_EUlS10_E_NS1_11comp_targetILNS1_3genE10ELNS1_11target_archE1201ELNS1_3gpuE5ELNS1_3repE0EEENS1_47radix_sort_onesweep_sort_config_static_selectorELNS0_4arch9wavefront6targetE0EEEvSH_,comdat
.Lfunc_end2256:
	.size	_ZN7rocprim17ROCPRIM_400000_NS6detail17trampoline_kernelINS0_14default_configENS1_35radix_sort_onesweep_config_selectorI6__halfNS0_10empty_typeEEEZZNS1_29radix_sort_onesweep_iterationIS3_Lb0EPKS5_PS5_PS6_SC_mNS0_19identity_decomposerENS1_16block_id_wrapperIjLb1EEEEE10hipError_tT1_PNSt15iterator_traitsISH_E10value_typeET2_T3_PNSI_ISN_E10value_typeET4_T5_PSS_ST_PNS1_23onesweep_lookback_stateEbbT6_jjT7_P12ihipStream_tbENKUlT_T0_SH_SM_E_clISA_SB_SC_SC_EEDaS10_S11_SH_SM_EUlS10_E_NS1_11comp_targetILNS1_3genE10ELNS1_11target_archE1201ELNS1_3gpuE5ELNS1_3repE0EEENS1_47radix_sort_onesweep_sort_config_static_selectorELNS0_4arch9wavefront6targetE0EEEvSH_, .Lfunc_end2256-_ZN7rocprim17ROCPRIM_400000_NS6detail17trampoline_kernelINS0_14default_configENS1_35radix_sort_onesweep_config_selectorI6__halfNS0_10empty_typeEEEZZNS1_29radix_sort_onesweep_iterationIS3_Lb0EPKS5_PS5_PS6_SC_mNS0_19identity_decomposerENS1_16block_id_wrapperIjLb1EEEEE10hipError_tT1_PNSt15iterator_traitsISH_E10value_typeET2_T3_PNSI_ISN_E10value_typeET4_T5_PSS_ST_PNS1_23onesweep_lookback_stateEbbT6_jjT7_P12ihipStream_tbENKUlT_T0_SH_SM_E_clISA_SB_SC_SC_EEDaS10_S11_SH_SM_EUlS10_E_NS1_11comp_targetILNS1_3genE10ELNS1_11target_archE1201ELNS1_3gpuE5ELNS1_3repE0EEENS1_47radix_sort_onesweep_sort_config_static_selectorELNS0_4arch9wavefront6targetE0EEEvSH_
                                        ; -- End function
	.set _ZN7rocprim17ROCPRIM_400000_NS6detail17trampoline_kernelINS0_14default_configENS1_35radix_sort_onesweep_config_selectorI6__halfNS0_10empty_typeEEEZZNS1_29radix_sort_onesweep_iterationIS3_Lb0EPKS5_PS5_PS6_SC_mNS0_19identity_decomposerENS1_16block_id_wrapperIjLb1EEEEE10hipError_tT1_PNSt15iterator_traitsISH_E10value_typeET2_T3_PNSI_ISN_E10value_typeET4_T5_PSS_ST_PNS1_23onesweep_lookback_stateEbbT6_jjT7_P12ihipStream_tbENKUlT_T0_SH_SM_E_clISA_SB_SC_SC_EEDaS10_S11_SH_SM_EUlS10_E_NS1_11comp_targetILNS1_3genE10ELNS1_11target_archE1201ELNS1_3gpuE5ELNS1_3repE0EEENS1_47radix_sort_onesweep_sort_config_static_selectorELNS0_4arch9wavefront6targetE0EEEvSH_.num_vgpr, 0
	.set _ZN7rocprim17ROCPRIM_400000_NS6detail17trampoline_kernelINS0_14default_configENS1_35radix_sort_onesweep_config_selectorI6__halfNS0_10empty_typeEEEZZNS1_29radix_sort_onesweep_iterationIS3_Lb0EPKS5_PS5_PS6_SC_mNS0_19identity_decomposerENS1_16block_id_wrapperIjLb1EEEEE10hipError_tT1_PNSt15iterator_traitsISH_E10value_typeET2_T3_PNSI_ISN_E10value_typeET4_T5_PSS_ST_PNS1_23onesweep_lookback_stateEbbT6_jjT7_P12ihipStream_tbENKUlT_T0_SH_SM_E_clISA_SB_SC_SC_EEDaS10_S11_SH_SM_EUlS10_E_NS1_11comp_targetILNS1_3genE10ELNS1_11target_archE1201ELNS1_3gpuE5ELNS1_3repE0EEENS1_47radix_sort_onesweep_sort_config_static_selectorELNS0_4arch9wavefront6targetE0EEEvSH_.num_agpr, 0
	.set _ZN7rocprim17ROCPRIM_400000_NS6detail17trampoline_kernelINS0_14default_configENS1_35radix_sort_onesweep_config_selectorI6__halfNS0_10empty_typeEEEZZNS1_29radix_sort_onesweep_iterationIS3_Lb0EPKS5_PS5_PS6_SC_mNS0_19identity_decomposerENS1_16block_id_wrapperIjLb1EEEEE10hipError_tT1_PNSt15iterator_traitsISH_E10value_typeET2_T3_PNSI_ISN_E10value_typeET4_T5_PSS_ST_PNS1_23onesweep_lookback_stateEbbT6_jjT7_P12ihipStream_tbENKUlT_T0_SH_SM_E_clISA_SB_SC_SC_EEDaS10_S11_SH_SM_EUlS10_E_NS1_11comp_targetILNS1_3genE10ELNS1_11target_archE1201ELNS1_3gpuE5ELNS1_3repE0EEENS1_47radix_sort_onesweep_sort_config_static_selectorELNS0_4arch9wavefront6targetE0EEEvSH_.numbered_sgpr, 0
	.set _ZN7rocprim17ROCPRIM_400000_NS6detail17trampoline_kernelINS0_14default_configENS1_35radix_sort_onesweep_config_selectorI6__halfNS0_10empty_typeEEEZZNS1_29radix_sort_onesweep_iterationIS3_Lb0EPKS5_PS5_PS6_SC_mNS0_19identity_decomposerENS1_16block_id_wrapperIjLb1EEEEE10hipError_tT1_PNSt15iterator_traitsISH_E10value_typeET2_T3_PNSI_ISN_E10value_typeET4_T5_PSS_ST_PNS1_23onesweep_lookback_stateEbbT6_jjT7_P12ihipStream_tbENKUlT_T0_SH_SM_E_clISA_SB_SC_SC_EEDaS10_S11_SH_SM_EUlS10_E_NS1_11comp_targetILNS1_3genE10ELNS1_11target_archE1201ELNS1_3gpuE5ELNS1_3repE0EEENS1_47radix_sort_onesweep_sort_config_static_selectorELNS0_4arch9wavefront6targetE0EEEvSH_.num_named_barrier, 0
	.set _ZN7rocprim17ROCPRIM_400000_NS6detail17trampoline_kernelINS0_14default_configENS1_35radix_sort_onesweep_config_selectorI6__halfNS0_10empty_typeEEEZZNS1_29radix_sort_onesweep_iterationIS3_Lb0EPKS5_PS5_PS6_SC_mNS0_19identity_decomposerENS1_16block_id_wrapperIjLb1EEEEE10hipError_tT1_PNSt15iterator_traitsISH_E10value_typeET2_T3_PNSI_ISN_E10value_typeET4_T5_PSS_ST_PNS1_23onesweep_lookback_stateEbbT6_jjT7_P12ihipStream_tbENKUlT_T0_SH_SM_E_clISA_SB_SC_SC_EEDaS10_S11_SH_SM_EUlS10_E_NS1_11comp_targetILNS1_3genE10ELNS1_11target_archE1201ELNS1_3gpuE5ELNS1_3repE0EEENS1_47radix_sort_onesweep_sort_config_static_selectorELNS0_4arch9wavefront6targetE0EEEvSH_.private_seg_size, 0
	.set _ZN7rocprim17ROCPRIM_400000_NS6detail17trampoline_kernelINS0_14default_configENS1_35radix_sort_onesweep_config_selectorI6__halfNS0_10empty_typeEEEZZNS1_29radix_sort_onesweep_iterationIS3_Lb0EPKS5_PS5_PS6_SC_mNS0_19identity_decomposerENS1_16block_id_wrapperIjLb1EEEEE10hipError_tT1_PNSt15iterator_traitsISH_E10value_typeET2_T3_PNSI_ISN_E10value_typeET4_T5_PSS_ST_PNS1_23onesweep_lookback_stateEbbT6_jjT7_P12ihipStream_tbENKUlT_T0_SH_SM_E_clISA_SB_SC_SC_EEDaS10_S11_SH_SM_EUlS10_E_NS1_11comp_targetILNS1_3genE10ELNS1_11target_archE1201ELNS1_3gpuE5ELNS1_3repE0EEENS1_47radix_sort_onesweep_sort_config_static_selectorELNS0_4arch9wavefront6targetE0EEEvSH_.uses_vcc, 0
	.set _ZN7rocprim17ROCPRIM_400000_NS6detail17trampoline_kernelINS0_14default_configENS1_35radix_sort_onesweep_config_selectorI6__halfNS0_10empty_typeEEEZZNS1_29radix_sort_onesweep_iterationIS3_Lb0EPKS5_PS5_PS6_SC_mNS0_19identity_decomposerENS1_16block_id_wrapperIjLb1EEEEE10hipError_tT1_PNSt15iterator_traitsISH_E10value_typeET2_T3_PNSI_ISN_E10value_typeET4_T5_PSS_ST_PNS1_23onesweep_lookback_stateEbbT6_jjT7_P12ihipStream_tbENKUlT_T0_SH_SM_E_clISA_SB_SC_SC_EEDaS10_S11_SH_SM_EUlS10_E_NS1_11comp_targetILNS1_3genE10ELNS1_11target_archE1201ELNS1_3gpuE5ELNS1_3repE0EEENS1_47radix_sort_onesweep_sort_config_static_selectorELNS0_4arch9wavefront6targetE0EEEvSH_.uses_flat_scratch, 0
	.set _ZN7rocprim17ROCPRIM_400000_NS6detail17trampoline_kernelINS0_14default_configENS1_35radix_sort_onesweep_config_selectorI6__halfNS0_10empty_typeEEEZZNS1_29radix_sort_onesweep_iterationIS3_Lb0EPKS5_PS5_PS6_SC_mNS0_19identity_decomposerENS1_16block_id_wrapperIjLb1EEEEE10hipError_tT1_PNSt15iterator_traitsISH_E10value_typeET2_T3_PNSI_ISN_E10value_typeET4_T5_PSS_ST_PNS1_23onesweep_lookback_stateEbbT6_jjT7_P12ihipStream_tbENKUlT_T0_SH_SM_E_clISA_SB_SC_SC_EEDaS10_S11_SH_SM_EUlS10_E_NS1_11comp_targetILNS1_3genE10ELNS1_11target_archE1201ELNS1_3gpuE5ELNS1_3repE0EEENS1_47radix_sort_onesweep_sort_config_static_selectorELNS0_4arch9wavefront6targetE0EEEvSH_.has_dyn_sized_stack, 0
	.set _ZN7rocprim17ROCPRIM_400000_NS6detail17trampoline_kernelINS0_14default_configENS1_35radix_sort_onesweep_config_selectorI6__halfNS0_10empty_typeEEEZZNS1_29radix_sort_onesweep_iterationIS3_Lb0EPKS5_PS5_PS6_SC_mNS0_19identity_decomposerENS1_16block_id_wrapperIjLb1EEEEE10hipError_tT1_PNSt15iterator_traitsISH_E10value_typeET2_T3_PNSI_ISN_E10value_typeET4_T5_PSS_ST_PNS1_23onesweep_lookback_stateEbbT6_jjT7_P12ihipStream_tbENKUlT_T0_SH_SM_E_clISA_SB_SC_SC_EEDaS10_S11_SH_SM_EUlS10_E_NS1_11comp_targetILNS1_3genE10ELNS1_11target_archE1201ELNS1_3gpuE5ELNS1_3repE0EEENS1_47radix_sort_onesweep_sort_config_static_selectorELNS0_4arch9wavefront6targetE0EEEvSH_.has_recursion, 0
	.set _ZN7rocprim17ROCPRIM_400000_NS6detail17trampoline_kernelINS0_14default_configENS1_35radix_sort_onesweep_config_selectorI6__halfNS0_10empty_typeEEEZZNS1_29radix_sort_onesweep_iterationIS3_Lb0EPKS5_PS5_PS6_SC_mNS0_19identity_decomposerENS1_16block_id_wrapperIjLb1EEEEE10hipError_tT1_PNSt15iterator_traitsISH_E10value_typeET2_T3_PNSI_ISN_E10value_typeET4_T5_PSS_ST_PNS1_23onesweep_lookback_stateEbbT6_jjT7_P12ihipStream_tbENKUlT_T0_SH_SM_E_clISA_SB_SC_SC_EEDaS10_S11_SH_SM_EUlS10_E_NS1_11comp_targetILNS1_3genE10ELNS1_11target_archE1201ELNS1_3gpuE5ELNS1_3repE0EEENS1_47radix_sort_onesweep_sort_config_static_selectorELNS0_4arch9wavefront6targetE0EEEvSH_.has_indirect_call, 0
	.section	.AMDGPU.csdata,"",@progbits
; Kernel info:
; codeLenInByte = 0
; TotalNumSgprs: 0
; NumVgprs: 0
; ScratchSize: 0
; MemoryBound: 0
; FloatMode: 240
; IeeeMode: 1
; LDSByteSize: 0 bytes/workgroup (compile time only)
; SGPRBlocks: 0
; VGPRBlocks: 0
; NumSGPRsForWavesPerEU: 1
; NumVGPRsForWavesPerEU: 1
; NamedBarCnt: 0
; Occupancy: 16
; WaveLimiterHint : 0
; COMPUTE_PGM_RSRC2:SCRATCH_EN: 0
; COMPUTE_PGM_RSRC2:USER_SGPR: 2
; COMPUTE_PGM_RSRC2:TRAP_HANDLER: 0
; COMPUTE_PGM_RSRC2:TGID_X_EN: 1
; COMPUTE_PGM_RSRC2:TGID_Y_EN: 0
; COMPUTE_PGM_RSRC2:TGID_Z_EN: 0
; COMPUTE_PGM_RSRC2:TIDIG_COMP_CNT: 0
	.section	.text._ZN7rocprim17ROCPRIM_400000_NS6detail17trampoline_kernelINS0_14default_configENS1_35radix_sort_onesweep_config_selectorI6__halfNS0_10empty_typeEEEZZNS1_29radix_sort_onesweep_iterationIS3_Lb0EPKS5_PS5_PS6_SC_mNS0_19identity_decomposerENS1_16block_id_wrapperIjLb1EEEEE10hipError_tT1_PNSt15iterator_traitsISH_E10value_typeET2_T3_PNSI_ISN_E10value_typeET4_T5_PSS_ST_PNS1_23onesweep_lookback_stateEbbT6_jjT7_P12ihipStream_tbENKUlT_T0_SH_SM_E_clISA_SB_SC_SC_EEDaS10_S11_SH_SM_EUlS10_E_NS1_11comp_targetILNS1_3genE9ELNS1_11target_archE1100ELNS1_3gpuE3ELNS1_3repE0EEENS1_47radix_sort_onesweep_sort_config_static_selectorELNS0_4arch9wavefront6targetE0EEEvSH_,"axG",@progbits,_ZN7rocprim17ROCPRIM_400000_NS6detail17trampoline_kernelINS0_14default_configENS1_35radix_sort_onesweep_config_selectorI6__halfNS0_10empty_typeEEEZZNS1_29radix_sort_onesweep_iterationIS3_Lb0EPKS5_PS5_PS6_SC_mNS0_19identity_decomposerENS1_16block_id_wrapperIjLb1EEEEE10hipError_tT1_PNSt15iterator_traitsISH_E10value_typeET2_T3_PNSI_ISN_E10value_typeET4_T5_PSS_ST_PNS1_23onesweep_lookback_stateEbbT6_jjT7_P12ihipStream_tbENKUlT_T0_SH_SM_E_clISA_SB_SC_SC_EEDaS10_S11_SH_SM_EUlS10_E_NS1_11comp_targetILNS1_3genE9ELNS1_11target_archE1100ELNS1_3gpuE3ELNS1_3repE0EEENS1_47radix_sort_onesweep_sort_config_static_selectorELNS0_4arch9wavefront6targetE0EEEvSH_,comdat
	.protected	_ZN7rocprim17ROCPRIM_400000_NS6detail17trampoline_kernelINS0_14default_configENS1_35radix_sort_onesweep_config_selectorI6__halfNS0_10empty_typeEEEZZNS1_29radix_sort_onesweep_iterationIS3_Lb0EPKS5_PS5_PS6_SC_mNS0_19identity_decomposerENS1_16block_id_wrapperIjLb1EEEEE10hipError_tT1_PNSt15iterator_traitsISH_E10value_typeET2_T3_PNSI_ISN_E10value_typeET4_T5_PSS_ST_PNS1_23onesweep_lookback_stateEbbT6_jjT7_P12ihipStream_tbENKUlT_T0_SH_SM_E_clISA_SB_SC_SC_EEDaS10_S11_SH_SM_EUlS10_E_NS1_11comp_targetILNS1_3genE9ELNS1_11target_archE1100ELNS1_3gpuE3ELNS1_3repE0EEENS1_47radix_sort_onesweep_sort_config_static_selectorELNS0_4arch9wavefront6targetE0EEEvSH_ ; -- Begin function _ZN7rocprim17ROCPRIM_400000_NS6detail17trampoline_kernelINS0_14default_configENS1_35radix_sort_onesweep_config_selectorI6__halfNS0_10empty_typeEEEZZNS1_29radix_sort_onesweep_iterationIS3_Lb0EPKS5_PS5_PS6_SC_mNS0_19identity_decomposerENS1_16block_id_wrapperIjLb1EEEEE10hipError_tT1_PNSt15iterator_traitsISH_E10value_typeET2_T3_PNSI_ISN_E10value_typeET4_T5_PSS_ST_PNS1_23onesweep_lookback_stateEbbT6_jjT7_P12ihipStream_tbENKUlT_T0_SH_SM_E_clISA_SB_SC_SC_EEDaS10_S11_SH_SM_EUlS10_E_NS1_11comp_targetILNS1_3genE9ELNS1_11target_archE1100ELNS1_3gpuE3ELNS1_3repE0EEENS1_47radix_sort_onesweep_sort_config_static_selectorELNS0_4arch9wavefront6targetE0EEEvSH_
	.globl	_ZN7rocprim17ROCPRIM_400000_NS6detail17trampoline_kernelINS0_14default_configENS1_35radix_sort_onesweep_config_selectorI6__halfNS0_10empty_typeEEEZZNS1_29radix_sort_onesweep_iterationIS3_Lb0EPKS5_PS5_PS6_SC_mNS0_19identity_decomposerENS1_16block_id_wrapperIjLb1EEEEE10hipError_tT1_PNSt15iterator_traitsISH_E10value_typeET2_T3_PNSI_ISN_E10value_typeET4_T5_PSS_ST_PNS1_23onesweep_lookback_stateEbbT6_jjT7_P12ihipStream_tbENKUlT_T0_SH_SM_E_clISA_SB_SC_SC_EEDaS10_S11_SH_SM_EUlS10_E_NS1_11comp_targetILNS1_3genE9ELNS1_11target_archE1100ELNS1_3gpuE3ELNS1_3repE0EEENS1_47radix_sort_onesweep_sort_config_static_selectorELNS0_4arch9wavefront6targetE0EEEvSH_
	.p2align	8
	.type	_ZN7rocprim17ROCPRIM_400000_NS6detail17trampoline_kernelINS0_14default_configENS1_35radix_sort_onesweep_config_selectorI6__halfNS0_10empty_typeEEEZZNS1_29radix_sort_onesweep_iterationIS3_Lb0EPKS5_PS5_PS6_SC_mNS0_19identity_decomposerENS1_16block_id_wrapperIjLb1EEEEE10hipError_tT1_PNSt15iterator_traitsISH_E10value_typeET2_T3_PNSI_ISN_E10value_typeET4_T5_PSS_ST_PNS1_23onesweep_lookback_stateEbbT6_jjT7_P12ihipStream_tbENKUlT_T0_SH_SM_E_clISA_SB_SC_SC_EEDaS10_S11_SH_SM_EUlS10_E_NS1_11comp_targetILNS1_3genE9ELNS1_11target_archE1100ELNS1_3gpuE3ELNS1_3repE0EEENS1_47radix_sort_onesweep_sort_config_static_selectorELNS0_4arch9wavefront6targetE0EEEvSH_,@function
_ZN7rocprim17ROCPRIM_400000_NS6detail17trampoline_kernelINS0_14default_configENS1_35radix_sort_onesweep_config_selectorI6__halfNS0_10empty_typeEEEZZNS1_29radix_sort_onesweep_iterationIS3_Lb0EPKS5_PS5_PS6_SC_mNS0_19identity_decomposerENS1_16block_id_wrapperIjLb1EEEEE10hipError_tT1_PNSt15iterator_traitsISH_E10value_typeET2_T3_PNSI_ISN_E10value_typeET4_T5_PSS_ST_PNS1_23onesweep_lookback_stateEbbT6_jjT7_P12ihipStream_tbENKUlT_T0_SH_SM_E_clISA_SB_SC_SC_EEDaS10_S11_SH_SM_EUlS10_E_NS1_11comp_targetILNS1_3genE9ELNS1_11target_archE1100ELNS1_3gpuE3ELNS1_3repE0EEENS1_47radix_sort_onesweep_sort_config_static_selectorELNS0_4arch9wavefront6targetE0EEEvSH_: ; @_ZN7rocprim17ROCPRIM_400000_NS6detail17trampoline_kernelINS0_14default_configENS1_35radix_sort_onesweep_config_selectorI6__halfNS0_10empty_typeEEEZZNS1_29radix_sort_onesweep_iterationIS3_Lb0EPKS5_PS5_PS6_SC_mNS0_19identity_decomposerENS1_16block_id_wrapperIjLb1EEEEE10hipError_tT1_PNSt15iterator_traitsISH_E10value_typeET2_T3_PNSI_ISN_E10value_typeET4_T5_PSS_ST_PNS1_23onesweep_lookback_stateEbbT6_jjT7_P12ihipStream_tbENKUlT_T0_SH_SM_E_clISA_SB_SC_SC_EEDaS10_S11_SH_SM_EUlS10_E_NS1_11comp_targetILNS1_3genE9ELNS1_11target_archE1100ELNS1_3gpuE3ELNS1_3repE0EEENS1_47radix_sort_onesweep_sort_config_static_selectorELNS0_4arch9wavefront6targetE0EEEvSH_
; %bb.0:
	.section	.rodata,"a",@progbits
	.p2align	6, 0x0
	.amdhsa_kernel _ZN7rocprim17ROCPRIM_400000_NS6detail17trampoline_kernelINS0_14default_configENS1_35radix_sort_onesweep_config_selectorI6__halfNS0_10empty_typeEEEZZNS1_29radix_sort_onesweep_iterationIS3_Lb0EPKS5_PS5_PS6_SC_mNS0_19identity_decomposerENS1_16block_id_wrapperIjLb1EEEEE10hipError_tT1_PNSt15iterator_traitsISH_E10value_typeET2_T3_PNSI_ISN_E10value_typeET4_T5_PSS_ST_PNS1_23onesweep_lookback_stateEbbT6_jjT7_P12ihipStream_tbENKUlT_T0_SH_SM_E_clISA_SB_SC_SC_EEDaS10_S11_SH_SM_EUlS10_E_NS1_11comp_targetILNS1_3genE9ELNS1_11target_archE1100ELNS1_3gpuE3ELNS1_3repE0EEENS1_47radix_sort_onesweep_sort_config_static_selectorELNS0_4arch9wavefront6targetE0EEEvSH_
		.amdhsa_group_segment_fixed_size 0
		.amdhsa_private_segment_fixed_size 0
		.amdhsa_kernarg_size 88
		.amdhsa_user_sgpr_count 2
		.amdhsa_user_sgpr_dispatch_ptr 0
		.amdhsa_user_sgpr_queue_ptr 0
		.amdhsa_user_sgpr_kernarg_segment_ptr 1
		.amdhsa_user_sgpr_dispatch_id 0
		.amdhsa_user_sgpr_kernarg_preload_length 0
		.amdhsa_user_sgpr_kernarg_preload_offset 0
		.amdhsa_user_sgpr_private_segment_size 0
		.amdhsa_wavefront_size32 1
		.amdhsa_uses_dynamic_stack 0
		.amdhsa_enable_private_segment 0
		.amdhsa_system_sgpr_workgroup_id_x 1
		.amdhsa_system_sgpr_workgroup_id_y 0
		.amdhsa_system_sgpr_workgroup_id_z 0
		.amdhsa_system_sgpr_workgroup_info 0
		.amdhsa_system_vgpr_workitem_id 0
		.amdhsa_next_free_vgpr 1
		.amdhsa_next_free_sgpr 1
		.amdhsa_named_barrier_count 0
		.amdhsa_reserve_vcc 0
		.amdhsa_float_round_mode_32 0
		.amdhsa_float_round_mode_16_64 0
		.amdhsa_float_denorm_mode_32 3
		.amdhsa_float_denorm_mode_16_64 3
		.amdhsa_fp16_overflow 0
		.amdhsa_memory_ordered 1
		.amdhsa_forward_progress 1
		.amdhsa_inst_pref_size 0
		.amdhsa_round_robin_scheduling 0
		.amdhsa_exception_fp_ieee_invalid_op 0
		.amdhsa_exception_fp_denorm_src 0
		.amdhsa_exception_fp_ieee_div_zero 0
		.amdhsa_exception_fp_ieee_overflow 0
		.amdhsa_exception_fp_ieee_underflow 0
		.amdhsa_exception_fp_ieee_inexact 0
		.amdhsa_exception_int_div_zero 0
	.end_amdhsa_kernel
	.section	.text._ZN7rocprim17ROCPRIM_400000_NS6detail17trampoline_kernelINS0_14default_configENS1_35radix_sort_onesweep_config_selectorI6__halfNS0_10empty_typeEEEZZNS1_29radix_sort_onesweep_iterationIS3_Lb0EPKS5_PS5_PS6_SC_mNS0_19identity_decomposerENS1_16block_id_wrapperIjLb1EEEEE10hipError_tT1_PNSt15iterator_traitsISH_E10value_typeET2_T3_PNSI_ISN_E10value_typeET4_T5_PSS_ST_PNS1_23onesweep_lookback_stateEbbT6_jjT7_P12ihipStream_tbENKUlT_T0_SH_SM_E_clISA_SB_SC_SC_EEDaS10_S11_SH_SM_EUlS10_E_NS1_11comp_targetILNS1_3genE9ELNS1_11target_archE1100ELNS1_3gpuE3ELNS1_3repE0EEENS1_47radix_sort_onesweep_sort_config_static_selectorELNS0_4arch9wavefront6targetE0EEEvSH_,"axG",@progbits,_ZN7rocprim17ROCPRIM_400000_NS6detail17trampoline_kernelINS0_14default_configENS1_35radix_sort_onesweep_config_selectorI6__halfNS0_10empty_typeEEEZZNS1_29radix_sort_onesweep_iterationIS3_Lb0EPKS5_PS5_PS6_SC_mNS0_19identity_decomposerENS1_16block_id_wrapperIjLb1EEEEE10hipError_tT1_PNSt15iterator_traitsISH_E10value_typeET2_T3_PNSI_ISN_E10value_typeET4_T5_PSS_ST_PNS1_23onesweep_lookback_stateEbbT6_jjT7_P12ihipStream_tbENKUlT_T0_SH_SM_E_clISA_SB_SC_SC_EEDaS10_S11_SH_SM_EUlS10_E_NS1_11comp_targetILNS1_3genE9ELNS1_11target_archE1100ELNS1_3gpuE3ELNS1_3repE0EEENS1_47radix_sort_onesweep_sort_config_static_selectorELNS0_4arch9wavefront6targetE0EEEvSH_,comdat
.Lfunc_end2257:
	.size	_ZN7rocprim17ROCPRIM_400000_NS6detail17trampoline_kernelINS0_14default_configENS1_35radix_sort_onesweep_config_selectorI6__halfNS0_10empty_typeEEEZZNS1_29radix_sort_onesweep_iterationIS3_Lb0EPKS5_PS5_PS6_SC_mNS0_19identity_decomposerENS1_16block_id_wrapperIjLb1EEEEE10hipError_tT1_PNSt15iterator_traitsISH_E10value_typeET2_T3_PNSI_ISN_E10value_typeET4_T5_PSS_ST_PNS1_23onesweep_lookback_stateEbbT6_jjT7_P12ihipStream_tbENKUlT_T0_SH_SM_E_clISA_SB_SC_SC_EEDaS10_S11_SH_SM_EUlS10_E_NS1_11comp_targetILNS1_3genE9ELNS1_11target_archE1100ELNS1_3gpuE3ELNS1_3repE0EEENS1_47radix_sort_onesweep_sort_config_static_selectorELNS0_4arch9wavefront6targetE0EEEvSH_, .Lfunc_end2257-_ZN7rocprim17ROCPRIM_400000_NS6detail17trampoline_kernelINS0_14default_configENS1_35radix_sort_onesweep_config_selectorI6__halfNS0_10empty_typeEEEZZNS1_29radix_sort_onesweep_iterationIS3_Lb0EPKS5_PS5_PS6_SC_mNS0_19identity_decomposerENS1_16block_id_wrapperIjLb1EEEEE10hipError_tT1_PNSt15iterator_traitsISH_E10value_typeET2_T3_PNSI_ISN_E10value_typeET4_T5_PSS_ST_PNS1_23onesweep_lookback_stateEbbT6_jjT7_P12ihipStream_tbENKUlT_T0_SH_SM_E_clISA_SB_SC_SC_EEDaS10_S11_SH_SM_EUlS10_E_NS1_11comp_targetILNS1_3genE9ELNS1_11target_archE1100ELNS1_3gpuE3ELNS1_3repE0EEENS1_47radix_sort_onesweep_sort_config_static_selectorELNS0_4arch9wavefront6targetE0EEEvSH_
                                        ; -- End function
	.set _ZN7rocprim17ROCPRIM_400000_NS6detail17trampoline_kernelINS0_14default_configENS1_35radix_sort_onesweep_config_selectorI6__halfNS0_10empty_typeEEEZZNS1_29radix_sort_onesweep_iterationIS3_Lb0EPKS5_PS5_PS6_SC_mNS0_19identity_decomposerENS1_16block_id_wrapperIjLb1EEEEE10hipError_tT1_PNSt15iterator_traitsISH_E10value_typeET2_T3_PNSI_ISN_E10value_typeET4_T5_PSS_ST_PNS1_23onesweep_lookback_stateEbbT6_jjT7_P12ihipStream_tbENKUlT_T0_SH_SM_E_clISA_SB_SC_SC_EEDaS10_S11_SH_SM_EUlS10_E_NS1_11comp_targetILNS1_3genE9ELNS1_11target_archE1100ELNS1_3gpuE3ELNS1_3repE0EEENS1_47radix_sort_onesweep_sort_config_static_selectorELNS0_4arch9wavefront6targetE0EEEvSH_.num_vgpr, 0
	.set _ZN7rocprim17ROCPRIM_400000_NS6detail17trampoline_kernelINS0_14default_configENS1_35radix_sort_onesweep_config_selectorI6__halfNS0_10empty_typeEEEZZNS1_29radix_sort_onesweep_iterationIS3_Lb0EPKS5_PS5_PS6_SC_mNS0_19identity_decomposerENS1_16block_id_wrapperIjLb1EEEEE10hipError_tT1_PNSt15iterator_traitsISH_E10value_typeET2_T3_PNSI_ISN_E10value_typeET4_T5_PSS_ST_PNS1_23onesweep_lookback_stateEbbT6_jjT7_P12ihipStream_tbENKUlT_T0_SH_SM_E_clISA_SB_SC_SC_EEDaS10_S11_SH_SM_EUlS10_E_NS1_11comp_targetILNS1_3genE9ELNS1_11target_archE1100ELNS1_3gpuE3ELNS1_3repE0EEENS1_47radix_sort_onesweep_sort_config_static_selectorELNS0_4arch9wavefront6targetE0EEEvSH_.num_agpr, 0
	.set _ZN7rocprim17ROCPRIM_400000_NS6detail17trampoline_kernelINS0_14default_configENS1_35radix_sort_onesweep_config_selectorI6__halfNS0_10empty_typeEEEZZNS1_29radix_sort_onesweep_iterationIS3_Lb0EPKS5_PS5_PS6_SC_mNS0_19identity_decomposerENS1_16block_id_wrapperIjLb1EEEEE10hipError_tT1_PNSt15iterator_traitsISH_E10value_typeET2_T3_PNSI_ISN_E10value_typeET4_T5_PSS_ST_PNS1_23onesweep_lookback_stateEbbT6_jjT7_P12ihipStream_tbENKUlT_T0_SH_SM_E_clISA_SB_SC_SC_EEDaS10_S11_SH_SM_EUlS10_E_NS1_11comp_targetILNS1_3genE9ELNS1_11target_archE1100ELNS1_3gpuE3ELNS1_3repE0EEENS1_47radix_sort_onesweep_sort_config_static_selectorELNS0_4arch9wavefront6targetE0EEEvSH_.numbered_sgpr, 0
	.set _ZN7rocprim17ROCPRIM_400000_NS6detail17trampoline_kernelINS0_14default_configENS1_35radix_sort_onesweep_config_selectorI6__halfNS0_10empty_typeEEEZZNS1_29radix_sort_onesweep_iterationIS3_Lb0EPKS5_PS5_PS6_SC_mNS0_19identity_decomposerENS1_16block_id_wrapperIjLb1EEEEE10hipError_tT1_PNSt15iterator_traitsISH_E10value_typeET2_T3_PNSI_ISN_E10value_typeET4_T5_PSS_ST_PNS1_23onesweep_lookback_stateEbbT6_jjT7_P12ihipStream_tbENKUlT_T0_SH_SM_E_clISA_SB_SC_SC_EEDaS10_S11_SH_SM_EUlS10_E_NS1_11comp_targetILNS1_3genE9ELNS1_11target_archE1100ELNS1_3gpuE3ELNS1_3repE0EEENS1_47radix_sort_onesweep_sort_config_static_selectorELNS0_4arch9wavefront6targetE0EEEvSH_.num_named_barrier, 0
	.set _ZN7rocprim17ROCPRIM_400000_NS6detail17trampoline_kernelINS0_14default_configENS1_35radix_sort_onesweep_config_selectorI6__halfNS0_10empty_typeEEEZZNS1_29radix_sort_onesweep_iterationIS3_Lb0EPKS5_PS5_PS6_SC_mNS0_19identity_decomposerENS1_16block_id_wrapperIjLb1EEEEE10hipError_tT1_PNSt15iterator_traitsISH_E10value_typeET2_T3_PNSI_ISN_E10value_typeET4_T5_PSS_ST_PNS1_23onesweep_lookback_stateEbbT6_jjT7_P12ihipStream_tbENKUlT_T0_SH_SM_E_clISA_SB_SC_SC_EEDaS10_S11_SH_SM_EUlS10_E_NS1_11comp_targetILNS1_3genE9ELNS1_11target_archE1100ELNS1_3gpuE3ELNS1_3repE0EEENS1_47radix_sort_onesweep_sort_config_static_selectorELNS0_4arch9wavefront6targetE0EEEvSH_.private_seg_size, 0
	.set _ZN7rocprim17ROCPRIM_400000_NS6detail17trampoline_kernelINS0_14default_configENS1_35radix_sort_onesweep_config_selectorI6__halfNS0_10empty_typeEEEZZNS1_29radix_sort_onesweep_iterationIS3_Lb0EPKS5_PS5_PS6_SC_mNS0_19identity_decomposerENS1_16block_id_wrapperIjLb1EEEEE10hipError_tT1_PNSt15iterator_traitsISH_E10value_typeET2_T3_PNSI_ISN_E10value_typeET4_T5_PSS_ST_PNS1_23onesweep_lookback_stateEbbT6_jjT7_P12ihipStream_tbENKUlT_T0_SH_SM_E_clISA_SB_SC_SC_EEDaS10_S11_SH_SM_EUlS10_E_NS1_11comp_targetILNS1_3genE9ELNS1_11target_archE1100ELNS1_3gpuE3ELNS1_3repE0EEENS1_47radix_sort_onesweep_sort_config_static_selectorELNS0_4arch9wavefront6targetE0EEEvSH_.uses_vcc, 0
	.set _ZN7rocprim17ROCPRIM_400000_NS6detail17trampoline_kernelINS0_14default_configENS1_35radix_sort_onesweep_config_selectorI6__halfNS0_10empty_typeEEEZZNS1_29radix_sort_onesweep_iterationIS3_Lb0EPKS5_PS5_PS6_SC_mNS0_19identity_decomposerENS1_16block_id_wrapperIjLb1EEEEE10hipError_tT1_PNSt15iterator_traitsISH_E10value_typeET2_T3_PNSI_ISN_E10value_typeET4_T5_PSS_ST_PNS1_23onesweep_lookback_stateEbbT6_jjT7_P12ihipStream_tbENKUlT_T0_SH_SM_E_clISA_SB_SC_SC_EEDaS10_S11_SH_SM_EUlS10_E_NS1_11comp_targetILNS1_3genE9ELNS1_11target_archE1100ELNS1_3gpuE3ELNS1_3repE0EEENS1_47radix_sort_onesweep_sort_config_static_selectorELNS0_4arch9wavefront6targetE0EEEvSH_.uses_flat_scratch, 0
	.set _ZN7rocprim17ROCPRIM_400000_NS6detail17trampoline_kernelINS0_14default_configENS1_35radix_sort_onesweep_config_selectorI6__halfNS0_10empty_typeEEEZZNS1_29radix_sort_onesweep_iterationIS3_Lb0EPKS5_PS5_PS6_SC_mNS0_19identity_decomposerENS1_16block_id_wrapperIjLb1EEEEE10hipError_tT1_PNSt15iterator_traitsISH_E10value_typeET2_T3_PNSI_ISN_E10value_typeET4_T5_PSS_ST_PNS1_23onesweep_lookback_stateEbbT6_jjT7_P12ihipStream_tbENKUlT_T0_SH_SM_E_clISA_SB_SC_SC_EEDaS10_S11_SH_SM_EUlS10_E_NS1_11comp_targetILNS1_3genE9ELNS1_11target_archE1100ELNS1_3gpuE3ELNS1_3repE0EEENS1_47radix_sort_onesweep_sort_config_static_selectorELNS0_4arch9wavefront6targetE0EEEvSH_.has_dyn_sized_stack, 0
	.set _ZN7rocprim17ROCPRIM_400000_NS6detail17trampoline_kernelINS0_14default_configENS1_35radix_sort_onesweep_config_selectorI6__halfNS0_10empty_typeEEEZZNS1_29radix_sort_onesweep_iterationIS3_Lb0EPKS5_PS5_PS6_SC_mNS0_19identity_decomposerENS1_16block_id_wrapperIjLb1EEEEE10hipError_tT1_PNSt15iterator_traitsISH_E10value_typeET2_T3_PNSI_ISN_E10value_typeET4_T5_PSS_ST_PNS1_23onesweep_lookback_stateEbbT6_jjT7_P12ihipStream_tbENKUlT_T0_SH_SM_E_clISA_SB_SC_SC_EEDaS10_S11_SH_SM_EUlS10_E_NS1_11comp_targetILNS1_3genE9ELNS1_11target_archE1100ELNS1_3gpuE3ELNS1_3repE0EEENS1_47radix_sort_onesweep_sort_config_static_selectorELNS0_4arch9wavefront6targetE0EEEvSH_.has_recursion, 0
	.set _ZN7rocprim17ROCPRIM_400000_NS6detail17trampoline_kernelINS0_14default_configENS1_35radix_sort_onesweep_config_selectorI6__halfNS0_10empty_typeEEEZZNS1_29radix_sort_onesweep_iterationIS3_Lb0EPKS5_PS5_PS6_SC_mNS0_19identity_decomposerENS1_16block_id_wrapperIjLb1EEEEE10hipError_tT1_PNSt15iterator_traitsISH_E10value_typeET2_T3_PNSI_ISN_E10value_typeET4_T5_PSS_ST_PNS1_23onesweep_lookback_stateEbbT6_jjT7_P12ihipStream_tbENKUlT_T0_SH_SM_E_clISA_SB_SC_SC_EEDaS10_S11_SH_SM_EUlS10_E_NS1_11comp_targetILNS1_3genE9ELNS1_11target_archE1100ELNS1_3gpuE3ELNS1_3repE0EEENS1_47radix_sort_onesweep_sort_config_static_selectorELNS0_4arch9wavefront6targetE0EEEvSH_.has_indirect_call, 0
	.section	.AMDGPU.csdata,"",@progbits
; Kernel info:
; codeLenInByte = 0
; TotalNumSgprs: 0
; NumVgprs: 0
; ScratchSize: 0
; MemoryBound: 0
; FloatMode: 240
; IeeeMode: 1
; LDSByteSize: 0 bytes/workgroup (compile time only)
; SGPRBlocks: 0
; VGPRBlocks: 0
; NumSGPRsForWavesPerEU: 1
; NumVGPRsForWavesPerEU: 1
; NamedBarCnt: 0
; Occupancy: 16
; WaveLimiterHint : 0
; COMPUTE_PGM_RSRC2:SCRATCH_EN: 0
; COMPUTE_PGM_RSRC2:USER_SGPR: 2
; COMPUTE_PGM_RSRC2:TRAP_HANDLER: 0
; COMPUTE_PGM_RSRC2:TGID_X_EN: 1
; COMPUTE_PGM_RSRC2:TGID_Y_EN: 0
; COMPUTE_PGM_RSRC2:TGID_Z_EN: 0
; COMPUTE_PGM_RSRC2:TIDIG_COMP_CNT: 0
	.section	.text._ZN7rocprim17ROCPRIM_400000_NS6detail17trampoline_kernelINS0_14default_configENS1_35radix_sort_onesweep_config_selectorI6__halfNS0_10empty_typeEEEZZNS1_29radix_sort_onesweep_iterationIS3_Lb0EPKS5_PS5_PS6_SC_mNS0_19identity_decomposerENS1_16block_id_wrapperIjLb1EEEEE10hipError_tT1_PNSt15iterator_traitsISH_E10value_typeET2_T3_PNSI_ISN_E10value_typeET4_T5_PSS_ST_PNS1_23onesweep_lookback_stateEbbT6_jjT7_P12ihipStream_tbENKUlT_T0_SH_SM_E_clISA_SB_SC_SC_EEDaS10_S11_SH_SM_EUlS10_E_NS1_11comp_targetILNS1_3genE8ELNS1_11target_archE1030ELNS1_3gpuE2ELNS1_3repE0EEENS1_47radix_sort_onesweep_sort_config_static_selectorELNS0_4arch9wavefront6targetE0EEEvSH_,"axG",@progbits,_ZN7rocprim17ROCPRIM_400000_NS6detail17trampoline_kernelINS0_14default_configENS1_35radix_sort_onesweep_config_selectorI6__halfNS0_10empty_typeEEEZZNS1_29radix_sort_onesweep_iterationIS3_Lb0EPKS5_PS5_PS6_SC_mNS0_19identity_decomposerENS1_16block_id_wrapperIjLb1EEEEE10hipError_tT1_PNSt15iterator_traitsISH_E10value_typeET2_T3_PNSI_ISN_E10value_typeET4_T5_PSS_ST_PNS1_23onesweep_lookback_stateEbbT6_jjT7_P12ihipStream_tbENKUlT_T0_SH_SM_E_clISA_SB_SC_SC_EEDaS10_S11_SH_SM_EUlS10_E_NS1_11comp_targetILNS1_3genE8ELNS1_11target_archE1030ELNS1_3gpuE2ELNS1_3repE0EEENS1_47radix_sort_onesweep_sort_config_static_selectorELNS0_4arch9wavefront6targetE0EEEvSH_,comdat
	.protected	_ZN7rocprim17ROCPRIM_400000_NS6detail17trampoline_kernelINS0_14default_configENS1_35radix_sort_onesweep_config_selectorI6__halfNS0_10empty_typeEEEZZNS1_29radix_sort_onesweep_iterationIS3_Lb0EPKS5_PS5_PS6_SC_mNS0_19identity_decomposerENS1_16block_id_wrapperIjLb1EEEEE10hipError_tT1_PNSt15iterator_traitsISH_E10value_typeET2_T3_PNSI_ISN_E10value_typeET4_T5_PSS_ST_PNS1_23onesweep_lookback_stateEbbT6_jjT7_P12ihipStream_tbENKUlT_T0_SH_SM_E_clISA_SB_SC_SC_EEDaS10_S11_SH_SM_EUlS10_E_NS1_11comp_targetILNS1_3genE8ELNS1_11target_archE1030ELNS1_3gpuE2ELNS1_3repE0EEENS1_47radix_sort_onesweep_sort_config_static_selectorELNS0_4arch9wavefront6targetE0EEEvSH_ ; -- Begin function _ZN7rocprim17ROCPRIM_400000_NS6detail17trampoline_kernelINS0_14default_configENS1_35radix_sort_onesweep_config_selectorI6__halfNS0_10empty_typeEEEZZNS1_29radix_sort_onesweep_iterationIS3_Lb0EPKS5_PS5_PS6_SC_mNS0_19identity_decomposerENS1_16block_id_wrapperIjLb1EEEEE10hipError_tT1_PNSt15iterator_traitsISH_E10value_typeET2_T3_PNSI_ISN_E10value_typeET4_T5_PSS_ST_PNS1_23onesweep_lookback_stateEbbT6_jjT7_P12ihipStream_tbENKUlT_T0_SH_SM_E_clISA_SB_SC_SC_EEDaS10_S11_SH_SM_EUlS10_E_NS1_11comp_targetILNS1_3genE8ELNS1_11target_archE1030ELNS1_3gpuE2ELNS1_3repE0EEENS1_47radix_sort_onesweep_sort_config_static_selectorELNS0_4arch9wavefront6targetE0EEEvSH_
	.globl	_ZN7rocprim17ROCPRIM_400000_NS6detail17trampoline_kernelINS0_14default_configENS1_35radix_sort_onesweep_config_selectorI6__halfNS0_10empty_typeEEEZZNS1_29radix_sort_onesweep_iterationIS3_Lb0EPKS5_PS5_PS6_SC_mNS0_19identity_decomposerENS1_16block_id_wrapperIjLb1EEEEE10hipError_tT1_PNSt15iterator_traitsISH_E10value_typeET2_T3_PNSI_ISN_E10value_typeET4_T5_PSS_ST_PNS1_23onesweep_lookback_stateEbbT6_jjT7_P12ihipStream_tbENKUlT_T0_SH_SM_E_clISA_SB_SC_SC_EEDaS10_S11_SH_SM_EUlS10_E_NS1_11comp_targetILNS1_3genE8ELNS1_11target_archE1030ELNS1_3gpuE2ELNS1_3repE0EEENS1_47radix_sort_onesweep_sort_config_static_selectorELNS0_4arch9wavefront6targetE0EEEvSH_
	.p2align	8
	.type	_ZN7rocprim17ROCPRIM_400000_NS6detail17trampoline_kernelINS0_14default_configENS1_35radix_sort_onesweep_config_selectorI6__halfNS0_10empty_typeEEEZZNS1_29radix_sort_onesweep_iterationIS3_Lb0EPKS5_PS5_PS6_SC_mNS0_19identity_decomposerENS1_16block_id_wrapperIjLb1EEEEE10hipError_tT1_PNSt15iterator_traitsISH_E10value_typeET2_T3_PNSI_ISN_E10value_typeET4_T5_PSS_ST_PNS1_23onesweep_lookback_stateEbbT6_jjT7_P12ihipStream_tbENKUlT_T0_SH_SM_E_clISA_SB_SC_SC_EEDaS10_S11_SH_SM_EUlS10_E_NS1_11comp_targetILNS1_3genE8ELNS1_11target_archE1030ELNS1_3gpuE2ELNS1_3repE0EEENS1_47radix_sort_onesweep_sort_config_static_selectorELNS0_4arch9wavefront6targetE0EEEvSH_,@function
_ZN7rocprim17ROCPRIM_400000_NS6detail17trampoline_kernelINS0_14default_configENS1_35radix_sort_onesweep_config_selectorI6__halfNS0_10empty_typeEEEZZNS1_29radix_sort_onesweep_iterationIS3_Lb0EPKS5_PS5_PS6_SC_mNS0_19identity_decomposerENS1_16block_id_wrapperIjLb1EEEEE10hipError_tT1_PNSt15iterator_traitsISH_E10value_typeET2_T3_PNSI_ISN_E10value_typeET4_T5_PSS_ST_PNS1_23onesweep_lookback_stateEbbT6_jjT7_P12ihipStream_tbENKUlT_T0_SH_SM_E_clISA_SB_SC_SC_EEDaS10_S11_SH_SM_EUlS10_E_NS1_11comp_targetILNS1_3genE8ELNS1_11target_archE1030ELNS1_3gpuE2ELNS1_3repE0EEENS1_47radix_sort_onesweep_sort_config_static_selectorELNS0_4arch9wavefront6targetE0EEEvSH_: ; @_ZN7rocprim17ROCPRIM_400000_NS6detail17trampoline_kernelINS0_14default_configENS1_35radix_sort_onesweep_config_selectorI6__halfNS0_10empty_typeEEEZZNS1_29radix_sort_onesweep_iterationIS3_Lb0EPKS5_PS5_PS6_SC_mNS0_19identity_decomposerENS1_16block_id_wrapperIjLb1EEEEE10hipError_tT1_PNSt15iterator_traitsISH_E10value_typeET2_T3_PNSI_ISN_E10value_typeET4_T5_PSS_ST_PNS1_23onesweep_lookback_stateEbbT6_jjT7_P12ihipStream_tbENKUlT_T0_SH_SM_E_clISA_SB_SC_SC_EEDaS10_S11_SH_SM_EUlS10_E_NS1_11comp_targetILNS1_3genE8ELNS1_11target_archE1030ELNS1_3gpuE2ELNS1_3repE0EEENS1_47radix_sort_onesweep_sort_config_static_selectorELNS0_4arch9wavefront6targetE0EEEvSH_
; %bb.0:
	.section	.rodata,"a",@progbits
	.p2align	6, 0x0
	.amdhsa_kernel _ZN7rocprim17ROCPRIM_400000_NS6detail17trampoline_kernelINS0_14default_configENS1_35radix_sort_onesweep_config_selectorI6__halfNS0_10empty_typeEEEZZNS1_29radix_sort_onesweep_iterationIS3_Lb0EPKS5_PS5_PS6_SC_mNS0_19identity_decomposerENS1_16block_id_wrapperIjLb1EEEEE10hipError_tT1_PNSt15iterator_traitsISH_E10value_typeET2_T3_PNSI_ISN_E10value_typeET4_T5_PSS_ST_PNS1_23onesweep_lookback_stateEbbT6_jjT7_P12ihipStream_tbENKUlT_T0_SH_SM_E_clISA_SB_SC_SC_EEDaS10_S11_SH_SM_EUlS10_E_NS1_11comp_targetILNS1_3genE8ELNS1_11target_archE1030ELNS1_3gpuE2ELNS1_3repE0EEENS1_47radix_sort_onesweep_sort_config_static_selectorELNS0_4arch9wavefront6targetE0EEEvSH_
		.amdhsa_group_segment_fixed_size 0
		.amdhsa_private_segment_fixed_size 0
		.amdhsa_kernarg_size 88
		.amdhsa_user_sgpr_count 2
		.amdhsa_user_sgpr_dispatch_ptr 0
		.amdhsa_user_sgpr_queue_ptr 0
		.amdhsa_user_sgpr_kernarg_segment_ptr 1
		.amdhsa_user_sgpr_dispatch_id 0
		.amdhsa_user_sgpr_kernarg_preload_length 0
		.amdhsa_user_sgpr_kernarg_preload_offset 0
		.amdhsa_user_sgpr_private_segment_size 0
		.amdhsa_wavefront_size32 1
		.amdhsa_uses_dynamic_stack 0
		.amdhsa_enable_private_segment 0
		.amdhsa_system_sgpr_workgroup_id_x 1
		.amdhsa_system_sgpr_workgroup_id_y 0
		.amdhsa_system_sgpr_workgroup_id_z 0
		.amdhsa_system_sgpr_workgroup_info 0
		.amdhsa_system_vgpr_workitem_id 0
		.amdhsa_next_free_vgpr 1
		.amdhsa_next_free_sgpr 1
		.amdhsa_named_barrier_count 0
		.amdhsa_reserve_vcc 0
		.amdhsa_float_round_mode_32 0
		.amdhsa_float_round_mode_16_64 0
		.amdhsa_float_denorm_mode_32 3
		.amdhsa_float_denorm_mode_16_64 3
		.amdhsa_fp16_overflow 0
		.amdhsa_memory_ordered 1
		.amdhsa_forward_progress 1
		.amdhsa_inst_pref_size 0
		.amdhsa_round_robin_scheduling 0
		.amdhsa_exception_fp_ieee_invalid_op 0
		.amdhsa_exception_fp_denorm_src 0
		.amdhsa_exception_fp_ieee_div_zero 0
		.amdhsa_exception_fp_ieee_overflow 0
		.amdhsa_exception_fp_ieee_underflow 0
		.amdhsa_exception_fp_ieee_inexact 0
		.amdhsa_exception_int_div_zero 0
	.end_amdhsa_kernel
	.section	.text._ZN7rocprim17ROCPRIM_400000_NS6detail17trampoline_kernelINS0_14default_configENS1_35radix_sort_onesweep_config_selectorI6__halfNS0_10empty_typeEEEZZNS1_29radix_sort_onesweep_iterationIS3_Lb0EPKS5_PS5_PS6_SC_mNS0_19identity_decomposerENS1_16block_id_wrapperIjLb1EEEEE10hipError_tT1_PNSt15iterator_traitsISH_E10value_typeET2_T3_PNSI_ISN_E10value_typeET4_T5_PSS_ST_PNS1_23onesweep_lookback_stateEbbT6_jjT7_P12ihipStream_tbENKUlT_T0_SH_SM_E_clISA_SB_SC_SC_EEDaS10_S11_SH_SM_EUlS10_E_NS1_11comp_targetILNS1_3genE8ELNS1_11target_archE1030ELNS1_3gpuE2ELNS1_3repE0EEENS1_47radix_sort_onesweep_sort_config_static_selectorELNS0_4arch9wavefront6targetE0EEEvSH_,"axG",@progbits,_ZN7rocprim17ROCPRIM_400000_NS6detail17trampoline_kernelINS0_14default_configENS1_35radix_sort_onesweep_config_selectorI6__halfNS0_10empty_typeEEEZZNS1_29radix_sort_onesweep_iterationIS3_Lb0EPKS5_PS5_PS6_SC_mNS0_19identity_decomposerENS1_16block_id_wrapperIjLb1EEEEE10hipError_tT1_PNSt15iterator_traitsISH_E10value_typeET2_T3_PNSI_ISN_E10value_typeET4_T5_PSS_ST_PNS1_23onesweep_lookback_stateEbbT6_jjT7_P12ihipStream_tbENKUlT_T0_SH_SM_E_clISA_SB_SC_SC_EEDaS10_S11_SH_SM_EUlS10_E_NS1_11comp_targetILNS1_3genE8ELNS1_11target_archE1030ELNS1_3gpuE2ELNS1_3repE0EEENS1_47radix_sort_onesweep_sort_config_static_selectorELNS0_4arch9wavefront6targetE0EEEvSH_,comdat
.Lfunc_end2258:
	.size	_ZN7rocprim17ROCPRIM_400000_NS6detail17trampoline_kernelINS0_14default_configENS1_35radix_sort_onesweep_config_selectorI6__halfNS0_10empty_typeEEEZZNS1_29radix_sort_onesweep_iterationIS3_Lb0EPKS5_PS5_PS6_SC_mNS0_19identity_decomposerENS1_16block_id_wrapperIjLb1EEEEE10hipError_tT1_PNSt15iterator_traitsISH_E10value_typeET2_T3_PNSI_ISN_E10value_typeET4_T5_PSS_ST_PNS1_23onesweep_lookback_stateEbbT6_jjT7_P12ihipStream_tbENKUlT_T0_SH_SM_E_clISA_SB_SC_SC_EEDaS10_S11_SH_SM_EUlS10_E_NS1_11comp_targetILNS1_3genE8ELNS1_11target_archE1030ELNS1_3gpuE2ELNS1_3repE0EEENS1_47radix_sort_onesweep_sort_config_static_selectorELNS0_4arch9wavefront6targetE0EEEvSH_, .Lfunc_end2258-_ZN7rocprim17ROCPRIM_400000_NS6detail17trampoline_kernelINS0_14default_configENS1_35radix_sort_onesweep_config_selectorI6__halfNS0_10empty_typeEEEZZNS1_29radix_sort_onesweep_iterationIS3_Lb0EPKS5_PS5_PS6_SC_mNS0_19identity_decomposerENS1_16block_id_wrapperIjLb1EEEEE10hipError_tT1_PNSt15iterator_traitsISH_E10value_typeET2_T3_PNSI_ISN_E10value_typeET4_T5_PSS_ST_PNS1_23onesweep_lookback_stateEbbT6_jjT7_P12ihipStream_tbENKUlT_T0_SH_SM_E_clISA_SB_SC_SC_EEDaS10_S11_SH_SM_EUlS10_E_NS1_11comp_targetILNS1_3genE8ELNS1_11target_archE1030ELNS1_3gpuE2ELNS1_3repE0EEENS1_47radix_sort_onesweep_sort_config_static_selectorELNS0_4arch9wavefront6targetE0EEEvSH_
                                        ; -- End function
	.set _ZN7rocprim17ROCPRIM_400000_NS6detail17trampoline_kernelINS0_14default_configENS1_35radix_sort_onesweep_config_selectorI6__halfNS0_10empty_typeEEEZZNS1_29radix_sort_onesweep_iterationIS3_Lb0EPKS5_PS5_PS6_SC_mNS0_19identity_decomposerENS1_16block_id_wrapperIjLb1EEEEE10hipError_tT1_PNSt15iterator_traitsISH_E10value_typeET2_T3_PNSI_ISN_E10value_typeET4_T5_PSS_ST_PNS1_23onesweep_lookback_stateEbbT6_jjT7_P12ihipStream_tbENKUlT_T0_SH_SM_E_clISA_SB_SC_SC_EEDaS10_S11_SH_SM_EUlS10_E_NS1_11comp_targetILNS1_3genE8ELNS1_11target_archE1030ELNS1_3gpuE2ELNS1_3repE0EEENS1_47radix_sort_onesweep_sort_config_static_selectorELNS0_4arch9wavefront6targetE0EEEvSH_.num_vgpr, 0
	.set _ZN7rocprim17ROCPRIM_400000_NS6detail17trampoline_kernelINS0_14default_configENS1_35radix_sort_onesweep_config_selectorI6__halfNS0_10empty_typeEEEZZNS1_29radix_sort_onesweep_iterationIS3_Lb0EPKS5_PS5_PS6_SC_mNS0_19identity_decomposerENS1_16block_id_wrapperIjLb1EEEEE10hipError_tT1_PNSt15iterator_traitsISH_E10value_typeET2_T3_PNSI_ISN_E10value_typeET4_T5_PSS_ST_PNS1_23onesweep_lookback_stateEbbT6_jjT7_P12ihipStream_tbENKUlT_T0_SH_SM_E_clISA_SB_SC_SC_EEDaS10_S11_SH_SM_EUlS10_E_NS1_11comp_targetILNS1_3genE8ELNS1_11target_archE1030ELNS1_3gpuE2ELNS1_3repE0EEENS1_47radix_sort_onesweep_sort_config_static_selectorELNS0_4arch9wavefront6targetE0EEEvSH_.num_agpr, 0
	.set _ZN7rocprim17ROCPRIM_400000_NS6detail17trampoline_kernelINS0_14default_configENS1_35radix_sort_onesweep_config_selectorI6__halfNS0_10empty_typeEEEZZNS1_29radix_sort_onesweep_iterationIS3_Lb0EPKS5_PS5_PS6_SC_mNS0_19identity_decomposerENS1_16block_id_wrapperIjLb1EEEEE10hipError_tT1_PNSt15iterator_traitsISH_E10value_typeET2_T3_PNSI_ISN_E10value_typeET4_T5_PSS_ST_PNS1_23onesweep_lookback_stateEbbT6_jjT7_P12ihipStream_tbENKUlT_T0_SH_SM_E_clISA_SB_SC_SC_EEDaS10_S11_SH_SM_EUlS10_E_NS1_11comp_targetILNS1_3genE8ELNS1_11target_archE1030ELNS1_3gpuE2ELNS1_3repE0EEENS1_47radix_sort_onesweep_sort_config_static_selectorELNS0_4arch9wavefront6targetE0EEEvSH_.numbered_sgpr, 0
	.set _ZN7rocprim17ROCPRIM_400000_NS6detail17trampoline_kernelINS0_14default_configENS1_35radix_sort_onesweep_config_selectorI6__halfNS0_10empty_typeEEEZZNS1_29radix_sort_onesweep_iterationIS3_Lb0EPKS5_PS5_PS6_SC_mNS0_19identity_decomposerENS1_16block_id_wrapperIjLb1EEEEE10hipError_tT1_PNSt15iterator_traitsISH_E10value_typeET2_T3_PNSI_ISN_E10value_typeET4_T5_PSS_ST_PNS1_23onesweep_lookback_stateEbbT6_jjT7_P12ihipStream_tbENKUlT_T0_SH_SM_E_clISA_SB_SC_SC_EEDaS10_S11_SH_SM_EUlS10_E_NS1_11comp_targetILNS1_3genE8ELNS1_11target_archE1030ELNS1_3gpuE2ELNS1_3repE0EEENS1_47radix_sort_onesweep_sort_config_static_selectorELNS0_4arch9wavefront6targetE0EEEvSH_.num_named_barrier, 0
	.set _ZN7rocprim17ROCPRIM_400000_NS6detail17trampoline_kernelINS0_14default_configENS1_35radix_sort_onesweep_config_selectorI6__halfNS0_10empty_typeEEEZZNS1_29radix_sort_onesweep_iterationIS3_Lb0EPKS5_PS5_PS6_SC_mNS0_19identity_decomposerENS1_16block_id_wrapperIjLb1EEEEE10hipError_tT1_PNSt15iterator_traitsISH_E10value_typeET2_T3_PNSI_ISN_E10value_typeET4_T5_PSS_ST_PNS1_23onesweep_lookback_stateEbbT6_jjT7_P12ihipStream_tbENKUlT_T0_SH_SM_E_clISA_SB_SC_SC_EEDaS10_S11_SH_SM_EUlS10_E_NS1_11comp_targetILNS1_3genE8ELNS1_11target_archE1030ELNS1_3gpuE2ELNS1_3repE0EEENS1_47radix_sort_onesweep_sort_config_static_selectorELNS0_4arch9wavefront6targetE0EEEvSH_.private_seg_size, 0
	.set _ZN7rocprim17ROCPRIM_400000_NS6detail17trampoline_kernelINS0_14default_configENS1_35radix_sort_onesweep_config_selectorI6__halfNS0_10empty_typeEEEZZNS1_29radix_sort_onesweep_iterationIS3_Lb0EPKS5_PS5_PS6_SC_mNS0_19identity_decomposerENS1_16block_id_wrapperIjLb1EEEEE10hipError_tT1_PNSt15iterator_traitsISH_E10value_typeET2_T3_PNSI_ISN_E10value_typeET4_T5_PSS_ST_PNS1_23onesweep_lookback_stateEbbT6_jjT7_P12ihipStream_tbENKUlT_T0_SH_SM_E_clISA_SB_SC_SC_EEDaS10_S11_SH_SM_EUlS10_E_NS1_11comp_targetILNS1_3genE8ELNS1_11target_archE1030ELNS1_3gpuE2ELNS1_3repE0EEENS1_47radix_sort_onesweep_sort_config_static_selectorELNS0_4arch9wavefront6targetE0EEEvSH_.uses_vcc, 0
	.set _ZN7rocprim17ROCPRIM_400000_NS6detail17trampoline_kernelINS0_14default_configENS1_35radix_sort_onesweep_config_selectorI6__halfNS0_10empty_typeEEEZZNS1_29radix_sort_onesweep_iterationIS3_Lb0EPKS5_PS5_PS6_SC_mNS0_19identity_decomposerENS1_16block_id_wrapperIjLb1EEEEE10hipError_tT1_PNSt15iterator_traitsISH_E10value_typeET2_T3_PNSI_ISN_E10value_typeET4_T5_PSS_ST_PNS1_23onesweep_lookback_stateEbbT6_jjT7_P12ihipStream_tbENKUlT_T0_SH_SM_E_clISA_SB_SC_SC_EEDaS10_S11_SH_SM_EUlS10_E_NS1_11comp_targetILNS1_3genE8ELNS1_11target_archE1030ELNS1_3gpuE2ELNS1_3repE0EEENS1_47radix_sort_onesweep_sort_config_static_selectorELNS0_4arch9wavefront6targetE0EEEvSH_.uses_flat_scratch, 0
	.set _ZN7rocprim17ROCPRIM_400000_NS6detail17trampoline_kernelINS0_14default_configENS1_35radix_sort_onesweep_config_selectorI6__halfNS0_10empty_typeEEEZZNS1_29radix_sort_onesweep_iterationIS3_Lb0EPKS5_PS5_PS6_SC_mNS0_19identity_decomposerENS1_16block_id_wrapperIjLb1EEEEE10hipError_tT1_PNSt15iterator_traitsISH_E10value_typeET2_T3_PNSI_ISN_E10value_typeET4_T5_PSS_ST_PNS1_23onesweep_lookback_stateEbbT6_jjT7_P12ihipStream_tbENKUlT_T0_SH_SM_E_clISA_SB_SC_SC_EEDaS10_S11_SH_SM_EUlS10_E_NS1_11comp_targetILNS1_3genE8ELNS1_11target_archE1030ELNS1_3gpuE2ELNS1_3repE0EEENS1_47radix_sort_onesweep_sort_config_static_selectorELNS0_4arch9wavefront6targetE0EEEvSH_.has_dyn_sized_stack, 0
	.set _ZN7rocprim17ROCPRIM_400000_NS6detail17trampoline_kernelINS0_14default_configENS1_35radix_sort_onesweep_config_selectorI6__halfNS0_10empty_typeEEEZZNS1_29radix_sort_onesweep_iterationIS3_Lb0EPKS5_PS5_PS6_SC_mNS0_19identity_decomposerENS1_16block_id_wrapperIjLb1EEEEE10hipError_tT1_PNSt15iterator_traitsISH_E10value_typeET2_T3_PNSI_ISN_E10value_typeET4_T5_PSS_ST_PNS1_23onesweep_lookback_stateEbbT6_jjT7_P12ihipStream_tbENKUlT_T0_SH_SM_E_clISA_SB_SC_SC_EEDaS10_S11_SH_SM_EUlS10_E_NS1_11comp_targetILNS1_3genE8ELNS1_11target_archE1030ELNS1_3gpuE2ELNS1_3repE0EEENS1_47radix_sort_onesweep_sort_config_static_selectorELNS0_4arch9wavefront6targetE0EEEvSH_.has_recursion, 0
	.set _ZN7rocprim17ROCPRIM_400000_NS6detail17trampoline_kernelINS0_14default_configENS1_35radix_sort_onesweep_config_selectorI6__halfNS0_10empty_typeEEEZZNS1_29radix_sort_onesweep_iterationIS3_Lb0EPKS5_PS5_PS6_SC_mNS0_19identity_decomposerENS1_16block_id_wrapperIjLb1EEEEE10hipError_tT1_PNSt15iterator_traitsISH_E10value_typeET2_T3_PNSI_ISN_E10value_typeET4_T5_PSS_ST_PNS1_23onesweep_lookback_stateEbbT6_jjT7_P12ihipStream_tbENKUlT_T0_SH_SM_E_clISA_SB_SC_SC_EEDaS10_S11_SH_SM_EUlS10_E_NS1_11comp_targetILNS1_3genE8ELNS1_11target_archE1030ELNS1_3gpuE2ELNS1_3repE0EEENS1_47radix_sort_onesweep_sort_config_static_selectorELNS0_4arch9wavefront6targetE0EEEvSH_.has_indirect_call, 0
	.section	.AMDGPU.csdata,"",@progbits
; Kernel info:
; codeLenInByte = 0
; TotalNumSgprs: 0
; NumVgprs: 0
; ScratchSize: 0
; MemoryBound: 0
; FloatMode: 240
; IeeeMode: 1
; LDSByteSize: 0 bytes/workgroup (compile time only)
; SGPRBlocks: 0
; VGPRBlocks: 0
; NumSGPRsForWavesPerEU: 1
; NumVGPRsForWavesPerEU: 1
; NamedBarCnt: 0
; Occupancy: 16
; WaveLimiterHint : 0
; COMPUTE_PGM_RSRC2:SCRATCH_EN: 0
; COMPUTE_PGM_RSRC2:USER_SGPR: 2
; COMPUTE_PGM_RSRC2:TRAP_HANDLER: 0
; COMPUTE_PGM_RSRC2:TGID_X_EN: 1
; COMPUTE_PGM_RSRC2:TGID_Y_EN: 0
; COMPUTE_PGM_RSRC2:TGID_Z_EN: 0
; COMPUTE_PGM_RSRC2:TIDIG_COMP_CNT: 0
	.section	.text._ZN7rocprim17ROCPRIM_400000_NS6detail17trampoline_kernelINS0_14default_configENS1_35radix_sort_onesweep_config_selectorI6__halfNS0_10empty_typeEEEZZNS1_29radix_sort_onesweep_iterationIS3_Lb0EPKS5_PS5_PS6_SC_mNS0_19identity_decomposerENS1_16block_id_wrapperIjLb1EEEEE10hipError_tT1_PNSt15iterator_traitsISH_E10value_typeET2_T3_PNSI_ISN_E10value_typeET4_T5_PSS_ST_PNS1_23onesweep_lookback_stateEbbT6_jjT7_P12ihipStream_tbENKUlT_T0_SH_SM_E_clISB_SB_SC_SC_EEDaS10_S11_SH_SM_EUlS10_E_NS1_11comp_targetILNS1_3genE0ELNS1_11target_archE4294967295ELNS1_3gpuE0ELNS1_3repE0EEENS1_47radix_sort_onesweep_sort_config_static_selectorELNS0_4arch9wavefront6targetE0EEEvSH_,"axG",@progbits,_ZN7rocprim17ROCPRIM_400000_NS6detail17trampoline_kernelINS0_14default_configENS1_35radix_sort_onesweep_config_selectorI6__halfNS0_10empty_typeEEEZZNS1_29radix_sort_onesweep_iterationIS3_Lb0EPKS5_PS5_PS6_SC_mNS0_19identity_decomposerENS1_16block_id_wrapperIjLb1EEEEE10hipError_tT1_PNSt15iterator_traitsISH_E10value_typeET2_T3_PNSI_ISN_E10value_typeET4_T5_PSS_ST_PNS1_23onesweep_lookback_stateEbbT6_jjT7_P12ihipStream_tbENKUlT_T0_SH_SM_E_clISB_SB_SC_SC_EEDaS10_S11_SH_SM_EUlS10_E_NS1_11comp_targetILNS1_3genE0ELNS1_11target_archE4294967295ELNS1_3gpuE0ELNS1_3repE0EEENS1_47radix_sort_onesweep_sort_config_static_selectorELNS0_4arch9wavefront6targetE0EEEvSH_,comdat
	.protected	_ZN7rocprim17ROCPRIM_400000_NS6detail17trampoline_kernelINS0_14default_configENS1_35radix_sort_onesweep_config_selectorI6__halfNS0_10empty_typeEEEZZNS1_29radix_sort_onesweep_iterationIS3_Lb0EPKS5_PS5_PS6_SC_mNS0_19identity_decomposerENS1_16block_id_wrapperIjLb1EEEEE10hipError_tT1_PNSt15iterator_traitsISH_E10value_typeET2_T3_PNSI_ISN_E10value_typeET4_T5_PSS_ST_PNS1_23onesweep_lookback_stateEbbT6_jjT7_P12ihipStream_tbENKUlT_T0_SH_SM_E_clISB_SB_SC_SC_EEDaS10_S11_SH_SM_EUlS10_E_NS1_11comp_targetILNS1_3genE0ELNS1_11target_archE4294967295ELNS1_3gpuE0ELNS1_3repE0EEENS1_47radix_sort_onesweep_sort_config_static_selectorELNS0_4arch9wavefront6targetE0EEEvSH_ ; -- Begin function _ZN7rocprim17ROCPRIM_400000_NS6detail17trampoline_kernelINS0_14default_configENS1_35radix_sort_onesweep_config_selectorI6__halfNS0_10empty_typeEEEZZNS1_29radix_sort_onesweep_iterationIS3_Lb0EPKS5_PS5_PS6_SC_mNS0_19identity_decomposerENS1_16block_id_wrapperIjLb1EEEEE10hipError_tT1_PNSt15iterator_traitsISH_E10value_typeET2_T3_PNSI_ISN_E10value_typeET4_T5_PSS_ST_PNS1_23onesweep_lookback_stateEbbT6_jjT7_P12ihipStream_tbENKUlT_T0_SH_SM_E_clISB_SB_SC_SC_EEDaS10_S11_SH_SM_EUlS10_E_NS1_11comp_targetILNS1_3genE0ELNS1_11target_archE4294967295ELNS1_3gpuE0ELNS1_3repE0EEENS1_47radix_sort_onesweep_sort_config_static_selectorELNS0_4arch9wavefront6targetE0EEEvSH_
	.globl	_ZN7rocprim17ROCPRIM_400000_NS6detail17trampoline_kernelINS0_14default_configENS1_35radix_sort_onesweep_config_selectorI6__halfNS0_10empty_typeEEEZZNS1_29radix_sort_onesweep_iterationIS3_Lb0EPKS5_PS5_PS6_SC_mNS0_19identity_decomposerENS1_16block_id_wrapperIjLb1EEEEE10hipError_tT1_PNSt15iterator_traitsISH_E10value_typeET2_T3_PNSI_ISN_E10value_typeET4_T5_PSS_ST_PNS1_23onesweep_lookback_stateEbbT6_jjT7_P12ihipStream_tbENKUlT_T0_SH_SM_E_clISB_SB_SC_SC_EEDaS10_S11_SH_SM_EUlS10_E_NS1_11comp_targetILNS1_3genE0ELNS1_11target_archE4294967295ELNS1_3gpuE0ELNS1_3repE0EEENS1_47radix_sort_onesweep_sort_config_static_selectorELNS0_4arch9wavefront6targetE0EEEvSH_
	.p2align	8
	.type	_ZN7rocprim17ROCPRIM_400000_NS6detail17trampoline_kernelINS0_14default_configENS1_35radix_sort_onesweep_config_selectorI6__halfNS0_10empty_typeEEEZZNS1_29radix_sort_onesweep_iterationIS3_Lb0EPKS5_PS5_PS6_SC_mNS0_19identity_decomposerENS1_16block_id_wrapperIjLb1EEEEE10hipError_tT1_PNSt15iterator_traitsISH_E10value_typeET2_T3_PNSI_ISN_E10value_typeET4_T5_PSS_ST_PNS1_23onesweep_lookback_stateEbbT6_jjT7_P12ihipStream_tbENKUlT_T0_SH_SM_E_clISB_SB_SC_SC_EEDaS10_S11_SH_SM_EUlS10_E_NS1_11comp_targetILNS1_3genE0ELNS1_11target_archE4294967295ELNS1_3gpuE0ELNS1_3repE0EEENS1_47radix_sort_onesweep_sort_config_static_selectorELNS0_4arch9wavefront6targetE0EEEvSH_,@function
_ZN7rocprim17ROCPRIM_400000_NS6detail17trampoline_kernelINS0_14default_configENS1_35radix_sort_onesweep_config_selectorI6__halfNS0_10empty_typeEEEZZNS1_29radix_sort_onesweep_iterationIS3_Lb0EPKS5_PS5_PS6_SC_mNS0_19identity_decomposerENS1_16block_id_wrapperIjLb1EEEEE10hipError_tT1_PNSt15iterator_traitsISH_E10value_typeET2_T3_PNSI_ISN_E10value_typeET4_T5_PSS_ST_PNS1_23onesweep_lookback_stateEbbT6_jjT7_P12ihipStream_tbENKUlT_T0_SH_SM_E_clISB_SB_SC_SC_EEDaS10_S11_SH_SM_EUlS10_E_NS1_11comp_targetILNS1_3genE0ELNS1_11target_archE4294967295ELNS1_3gpuE0ELNS1_3repE0EEENS1_47radix_sort_onesweep_sort_config_static_selectorELNS0_4arch9wavefront6targetE0EEEvSH_: ; @_ZN7rocprim17ROCPRIM_400000_NS6detail17trampoline_kernelINS0_14default_configENS1_35radix_sort_onesweep_config_selectorI6__halfNS0_10empty_typeEEEZZNS1_29radix_sort_onesweep_iterationIS3_Lb0EPKS5_PS5_PS6_SC_mNS0_19identity_decomposerENS1_16block_id_wrapperIjLb1EEEEE10hipError_tT1_PNSt15iterator_traitsISH_E10value_typeET2_T3_PNSI_ISN_E10value_typeET4_T5_PSS_ST_PNS1_23onesweep_lookback_stateEbbT6_jjT7_P12ihipStream_tbENKUlT_T0_SH_SM_E_clISB_SB_SC_SC_EEDaS10_S11_SH_SM_EUlS10_E_NS1_11comp_targetILNS1_3genE0ELNS1_11target_archE4294967295ELNS1_3gpuE0ELNS1_3repE0EEENS1_47radix_sort_onesweep_sort_config_static_selectorELNS0_4arch9wavefront6targetE0EEEvSH_
; %bb.0:
	s_clause 0x1
	s_load_b128 s[12:15], s[0:1], 0x28
	s_load_b64 s[10:11], s[0:1], 0x38
	v_and_b32_e32 v14, 0x3ff, v0
	s_delay_alu instid0(VALU_DEP_1)
	v_cmp_eq_u32_e64 s2, 0, v14
	s_and_saveexec_b32 s3, s2
	s_cbranch_execz .LBB2259_4
; %bb.1:
	s_mov_b32 s5, exec_lo
	s_mov_b32 s4, exec_lo
	v_mbcnt_lo_u32_b32 v1, s5, 0
                                        ; implicit-def: $vgpr2
	s_delay_alu instid0(VALU_DEP_1)
	v_cmpx_eq_u32_e32 0, v1
	s_cbranch_execz .LBB2259_3
; %bb.2:
	s_load_b64 s[6:7], s[0:1], 0x50
	s_bcnt1_i32_b32 s5, s5
	s_delay_alu instid0(SALU_CYCLE_1)
	v_dual_mov_b32 v2, 0 :: v_dual_mov_b32 v3, s5
	s_wait_xcnt 0x0
	s_wait_kmcnt 0x0
	global_atomic_add_u32 v2, v2, v3, s[6:7] th:TH_ATOMIC_RETURN scope:SCOPE_DEV
.LBB2259_3:
	s_wait_xcnt 0x0
	s_or_b32 exec_lo, exec_lo, s4
	s_wait_loadcnt 0x0
	v_readfirstlane_b32 s4, v2
	s_delay_alu instid0(VALU_DEP_1)
	v_dual_mov_b32 v2, 0 :: v_dual_add_nc_u32 v1, s4, v1
	ds_store_b32 v2, v1 offset:18496
.LBB2259_4:
	s_or_b32 exec_lo, exec_lo, s3
	v_mov_b32_e32 v3, 0
	s_clause 0x2
	s_load_b128 s[16:19], s[0:1], 0x0
	s_load_b32 s3, s[0:1], 0x20
	s_load_b96 s[20:22], s[0:1], 0x44
	s_wait_dscnt 0x0
	s_barrier_signal -1
	s_barrier_wait -1
	ds_load_b32 v1, v3 offset:18496
	v_mbcnt_lo_u32_b32 v15, -1, 0
	v_and_b32_e32 v16, 0x3e0, v14
	s_mov_b32 s4, -1
	s_add_nc_u64 s[26:27], s[0:1], 0x58
	s_getreg_b32 s28, hwreg(HW_REG_IB_STS2, 6, 4)
	s_wait_dscnt 0x0
	s_barrier_signal -1
	s_barrier_wait -1
	s_wait_kmcnt 0x0
	v_cmp_le_u32_e32 vcc_lo, s22, v1
	v_readfirstlane_b32 s23, v1
	s_mul_i32 s24, s23, 0x1800
	s_cbranch_vccz .LBB2259_100
; %bb.5:
	s_mov_b32 s25, 0
	v_mul_u32_u24_e32 v1, 12, v16
	v_lshlrev_b32_e32 v2, 1, v15
	s_lshl_b64 s[4:5], s[24:25], 1
	s_mulk_i32 s22, 0xe800
	s_add_nc_u64 s[4:5], s[16:17], s[4:5]
	v_or_b32_e32 v10, v15, v1
	v_add_nc_u64_e32 v[4:5], s[4:5], v[2:3]
	v_dual_mov_b32 v11, 0x7fff :: v_dual_lshlrev_b32 v2, 1, v1
	v_mov_b32_e32 v1, 0x7fff
	s_add_co_i32 s22, s22, s3
	s_mov_b32 s3, exec_lo
	s_delay_alu instid0(VALU_DEP_2)
	v_add_nc_u64_e32 v[2:3], v[4:5], v[2:3]
	v_cmpx_gt_u32_e64 s22, v10
	s_cbranch_execz .LBB2259_7
; %bb.6:
	global_load_u16 v1, v[2:3], off
.LBB2259_7:
	s_wait_xcnt 0x0
	s_or_b32 exec_lo, exec_lo, s3
	v_or_b32_e32 v4, 32, v10
	s_mov_b32 s3, exec_lo
	s_delay_alu instid0(VALU_DEP_1)
	v_cmpx_gt_u32_e64 s22, v4
	s_cbranch_execz .LBB2259_9
; %bb.8:
	global_load_u16 v11, v[2:3], off offset:64
.LBB2259_9:
	s_wait_xcnt 0x0
	s_or_b32 exec_lo, exec_lo, s3
	v_or_b32_e32 v4, 64, v10
	v_mov_b32_e32 v21, 0x7fff
	v_mov_b32_e32 v17, 0x7fff
	s_mov_b32 s3, exec_lo
	s_delay_alu instid0(VALU_DEP_3)
	v_cmpx_gt_u32_e64 s22, v4
	s_cbranch_execz .LBB2259_11
; %bb.10:
	global_load_u16 v17, v[2:3], off offset:128
.LBB2259_11:
	s_wait_xcnt 0x0
	s_or_b32 exec_lo, exec_lo, s3
	v_or_b32_e32 v4, 0x60, v10
	s_mov_b32 s3, exec_lo
	s_delay_alu instid0(VALU_DEP_1)
	v_cmpx_gt_u32_e64 s22, v4
	s_cbranch_execz .LBB2259_13
; %bb.12:
	global_load_u16 v21, v[2:3], off offset:192
.LBB2259_13:
	s_wait_xcnt 0x0
	s_or_b32 exec_lo, exec_lo, s3
	v_add_nc_u32_e32 v4, 0x80, v10
	v_dual_mov_b32 v30, 0x7fff :: v_dual_mov_b32 v25, 0x7fff
	s_mov_b32 s3, exec_lo
	s_delay_alu instid0(VALU_DEP_2)
	v_cmpx_gt_u32_e64 s22, v4
	s_cbranch_execz .LBB2259_15
; %bb.14:
	global_load_u16 v25, v[2:3], off offset:256
.LBB2259_15:
	s_wait_xcnt 0x0
	s_or_b32 exec_lo, exec_lo, s3
	v_add_nc_u32_e32 v4, 0xa0, v10
	s_mov_b32 s3, exec_lo
	s_delay_alu instid0(VALU_DEP_1)
	v_cmpx_gt_u32_e64 s22, v4
	s_cbranch_execz .LBB2259_17
; %bb.16:
	global_load_u16 v30, v[2:3], off offset:320
.LBB2259_17:
	s_wait_xcnt 0x0
	s_or_b32 exec_lo, exec_lo, s3
	v_add_nc_u32_e32 v4, 0xc0, v10
	v_dual_mov_b32 v8, 0x7fff :: v_dual_mov_b32 v9, 0x7fff
	s_mov_b32 s3, exec_lo
	s_delay_alu instid0(VALU_DEP_2)
	v_cmpx_gt_u32_e64 s22, v4
	s_cbranch_execz .LBB2259_19
; %bb.18:
	global_load_u16 v9, v[2:3], off offset:384
.LBB2259_19:
	s_wait_xcnt 0x0
	s_or_b32 exec_lo, exec_lo, s3
	v_add_nc_u32_e32 v4, 0xe0, v10
	;; [unrolled: 21-line block ×3, first 2 shown]
	s_mov_b32 s3, exec_lo
	s_delay_alu instid0(VALU_DEP_1)
	v_cmpx_gt_u32_e64 s22, v4
	s_cbranch_execz .LBB2259_25
; %bb.24:
	global_load_u16 v6, v[2:3], off offset:576
.LBB2259_25:
	s_wait_xcnt 0x0
	s_or_b32 exec_lo, exec_lo, s3
	v_add_nc_u32_e32 v5, 0x140, v10
	v_mov_b32_e32 v4, 0x7fff
	s_delay_alu instid0(VALU_DEP_2)
	v_cmp_gt_u32_e32 vcc_lo, s22, v5
	v_mov_b32_e32 v5, 0x7fff
	s_and_saveexec_b32 s3, vcc_lo
	s_cbranch_execz .LBB2259_27
; %bb.26:
	global_load_u16 v5, v[2:3], off offset:640
.LBB2259_27:
	s_wait_xcnt 0x0
	s_or_b32 exec_lo, exec_lo, s3
	v_add_nc_u32_e32 v10, 0x160, v10
	s_mov_b32 s3, exec_lo
	s_delay_alu instid0(VALU_DEP_1)
	v_cmpx_gt_u32_e64 s22, v10
	s_cbranch_execz .LBB2259_29
; %bb.28:
	global_load_u16 v4, v[2:3], off offset:704
.LBB2259_29:
	s_wait_xcnt 0x0
	s_or_b32 exec_lo, exec_lo, s3
	s_wait_loadcnt 0x0
	v_cmp_lt_i16_e32 vcc_lo, -1, v1
	s_clause 0x1
	s_load_b32 s25, s[0:1], 0x58
	s_load_u16 s3, s[0:1], 0x66
	s_bfe_u32 s4, ttmp6, 0x4000c
	s_and_b32 s5, ttmp6, 15
	s_add_co_i32 s4, s4, 1
	v_cndmask_b32_e64 v2, -1, 0xffff8000, vcc_lo
	s_mul_i32 s4, ttmp9, s4
	v_bfe_u32 v3, v0, 10, 10
	s_add_co_i32 s5, s5, s4
	s_cmp_eq_u32 s28, 0
	v_xor_b32_e32 v1, v2, v1
	s_cselect_b32 s4, ttmp9, s5
	v_bfe_u32 v10, v0, 20, 10
	s_mov_b32 s5, 0
	s_delay_alu instid0(VALU_DEP_2)
	v_cmp_ne_u16_e32 vcc_lo, 0x7fff, v1
	s_wait_kmcnt 0x0
	s_cmp_lt_u32 s4, s25
	v_cndmask_b32_e32 v2, 0xffff8000, v1, vcc_lo
	s_cselect_b32 s4, 12, 18
	s_lshl_b32 s6, -1, s21
	v_mad_u32_u24 v3, v10, s3, v3
	s_add_nc_u64 s[4:5], s[26:27], s[4:5]
	v_and_b32_e32 v2, 0xffff, v2
	s_load_u16 s7, s[4:5], 0x0
	s_not_b32 s29, s6
	s_delay_alu instid0(VALU_DEP_1) | instskip(NEXT) | instid1(VALU_DEP_1)
	v_lshrrev_b32_e32 v2, s20, v2
	v_bitop3_b32 v10, v2, 1, s6 bitop3:0x40
	v_bitop3_b32 v13, v2, s6, v2 bitop3:0x30
	s_delay_alu instid0(VALU_DEP_2) | instskip(NEXT) | instid1(VALU_DEP_1)
	v_add_co_u32 v2, s3, v10, -1
	v_cndmask_b32_e64 v10, 0, 1, s3
	s_delay_alu instid0(VALU_DEP_3) | instskip(SKIP_1) | instid1(VALU_DEP_3)
	v_dual_lshlrev_b32 v12, 30, v13 :: v_dual_lshlrev_b32 v18, 29, v13
	v_dual_lshlrev_b32 v19, 28, v13 :: v_dual_lshlrev_b32 v20, 27, v13
	v_cmp_ne_u32_e32 vcc_lo, 0, v10
	s_delay_alu instid0(VALU_DEP_3)
	v_not_b32_e32 v10, v12
	v_cmp_gt_i32_e64 s3, 0, v12
	s_wait_xcnt 0x0
	v_cmp_gt_i32_e64 s4, 0, v18
	v_not_b32_e32 v12, v18
	v_not_b32_e32 v18, v19
	v_ashrrev_i32_e32 v10, 31, v10
	v_cmp_gt_i32_e64 s5, 0, v19
	v_dual_lshlrev_b32 v19, 26, v13 :: v_dual_bitop2_b32 v2, vcc_lo, v2 bitop3:0x14
	s_delay_alu instid0(VALU_DEP_4) | instskip(NEXT) | instid1(VALU_DEP_4)
	v_dual_ashrrev_i32 v12, 31, v12 :: v_dual_ashrrev_i32 v18, 31, v18
	v_xor_b32_e32 v10, s3, v10
	v_not_b32_e32 v22, v20
	v_cmp_gt_i32_e32 vcc_lo, 0, v20
	s_delay_alu instid0(VALU_DEP_4)
	v_xor_b32_e32 v12, s4, v12
	v_xor_b32_e32 v18, s5, v18
	v_cmp_gt_i32_e64 s3, 0, v19
	v_dual_ashrrev_i32 v20, 31, v22 :: v_dual_lshlrev_b32 v22, 25, v13
	v_bitop3_b32 v2, v2, v10, exec_lo bitop3:0x80
	v_not_b32_e32 v10, v19
	v_lshlrev_b32_e32 v19, 24, v13
	s_delay_alu instid0(VALU_DEP_3) | instskip(NEXT) | instid1(VALU_DEP_3)
	v_bitop3_b32 v2, v2, v18, v12 bitop3:0x80
	v_dual_ashrrev_i32 v10, 31, v10 :: v_dual_bitop2_b32 v18, vcc_lo, v20 bitop3:0x14
	v_not_b32_e32 v12, v22
	s_delay_alu instid0(VALU_DEP_4) | instskip(SKIP_1) | instid1(VALU_DEP_4)
	v_not_b32_e32 v20, v19
	v_cmp_gt_i32_e32 vcc_lo, 0, v22
	v_xor_b32_e32 v10, s3, v10
	v_cmp_gt_i32_e64 s3, 0, v19
	v_ashrrev_i32_e32 v22, 31, v12
	v_ashrrev_i32_e32 v19, 31, v20
	s_wait_kmcnt 0x0
	v_mad_u32 v20, v3, s7, v14
	v_bitop3_b32 v2, v2, v10, v18 bitop3:0x80
	v_mul_u32_u24_e32 v12, 36, v14
	v_xor_b32_e32 v3, vcc_lo, v22
	v_dual_mov_b32 v18, 0 :: v_dual_bitop2_b32 v10, s3, v19 bitop3:0x14
	ds_store_2addr_b32 v12, v18, v18 offset0:16 offset1:17
	ds_store_2addr_b32 v12, v18, v18 offset0:18 offset1:19
	;; [unrolled: 1-line block ×4, first 2 shown]
	v_bitop3_b32 v3, v2, v10, v3 bitop3:0x80
	v_lshrrev_b32_e32 v2, 5, v20
	ds_store_b32 v12, v18 offset:96
	s_wait_dscnt 0x0
	s_barrier_signal -1
	v_mbcnt_lo_u32_b32 v10, v3, 0
	v_lshlrev_b32_e32 v2, 2, v2
	v_cmp_ne_u32_e64 s3, 0, v3
	s_barrier_wait -1
	s_delay_alu instid0(VALU_DEP_3) | instskip(NEXT) | instid1(VALU_DEP_3)
	v_cmp_eq_u32_e32 vcc_lo, 0, v10
	v_mad_u32_u24 v13, 0x44, v13, v2
	; wave barrier
	s_and_b32 s4, s3, vcc_lo
	s_delay_alu instid0(SALU_CYCLE_1)
	s_and_saveexec_b32 s3, s4
; %bb.30:
	v_bcnt_u32_b32 v3, v3, 0
	ds_store_b32 v13, v3 offset:64
; %bb.31:
	s_or_b32 exec_lo, exec_lo, s3
	v_cmp_lt_i16_e32 vcc_lo, -1, v11
	; wave barrier
	v_cndmask_b32_e64 v3, -1, 0xffff8000, vcc_lo
	s_delay_alu instid0(VALU_DEP_1) | instskip(NEXT) | instid1(VALU_DEP_1)
	v_xor_b32_e32 v11, v3, v11
	v_cmp_ne_u16_e32 vcc_lo, 0x7fff, v11
	v_cndmask_b32_e32 v3, 0xffff8000, v11, vcc_lo
	s_delay_alu instid0(VALU_DEP_1) | instskip(NEXT) | instid1(VALU_DEP_1)
	v_and_b32_e32 v3, 0xffff, v3
	v_lshrrev_b32_e32 v3, s20, v3
	s_delay_alu instid0(VALU_DEP_1) | instskip(NEXT) | instid1(VALU_DEP_1)
	v_bitop3_b32 v18, v3, 1, s29 bitop3:0x80
	v_add_co_u32 v18, s3, v18, -1
	s_delay_alu instid0(VALU_DEP_1) | instskip(NEXT) | instid1(VALU_DEP_1)
	v_cndmask_b32_e64 v19, 0, 1, s3
	v_cmp_ne_u32_e32 vcc_lo, 0, v19
	s_delay_alu instid0(VALU_DEP_3) | instskip(SKIP_1) | instid1(VALU_DEP_1)
	v_xor_b32_e32 v18, vcc_lo, v18
	v_and_b32_e32 v3, s29, v3
	v_dual_lshlrev_b32 v20, 30, v3 :: v_dual_lshlrev_b32 v22, 29, v3
	v_dual_lshlrev_b32 v23, 28, v3 :: v_dual_lshlrev_b32 v24, 27, v3
	v_lshlrev_b32_e32 v26, 26, v3
	s_delay_alu instid0(VALU_DEP_3)
	v_cmp_gt_i32_e64 s3, 0, v20
	v_not_b32_e32 v19, v20
	v_cmp_gt_i32_e64 s4, 0, v22
	v_not_b32_e32 v20, v22
	v_not_b32_e32 v22, v23
	v_cmp_gt_i32_e64 s5, 0, v23
	v_cmp_gt_i32_e64 s6, 0, v24
	v_not_b32_e32 v23, v24
	v_not_b32_e32 v24, v26
	v_dual_ashrrev_i32 v22, 31, v22 :: v_dual_ashrrev_i32 v19, 31, v19
	v_ashrrev_i32_e32 v20, 31, v20
	s_delay_alu instid0(VALU_DEP_3) | instskip(NEXT) | instid1(VALU_DEP_2)
	v_dual_ashrrev_i32 v24, 31, v24 :: v_dual_lshlrev_b32 v27, 25, v3
	v_dual_lshlrev_b32 v28, 24, v3 :: v_dual_bitop2_b32 v20, s4, v20 bitop3:0x14
	s_delay_alu instid0(VALU_DEP_4)
	v_xor_b32_e32 v22, s5, v22
	v_xor_b32_e32 v19, s3, v19
	v_cmp_gt_i32_e64 s7, 0, v26
	v_cmp_gt_i32_e64 s8, 0, v27
	v_not_b32_e32 v26, v27
	v_not_b32_e32 v27, v28
	v_ashrrev_i32_e32 v23, 31, v23
	v_bitop3_b32 v18, v18, v19, exec_lo bitop3:0x80
	v_cmp_gt_i32_e64 s9, 0, v28
	s_delay_alu instid0(VALU_DEP_4)
	v_dual_ashrrev_i32 v19, 31, v26 :: v_dual_ashrrev_i32 v26, 31, v27
	v_xor_b32_e32 v24, s7, v24
	v_xor_b32_e32 v23, s6, v23
	v_bitop3_b32 v18, v18, v22, v20 bitop3:0x80
	v_mad_u32_u24 v20, 0x44, v3, v2
	v_xor_b32_e32 v3, s8, v19
	v_xor_b32_e32 v19, s9, v26
	s_delay_alu instid0(VALU_DEP_4) | instskip(SKIP_2) | instid1(VALU_DEP_1)
	v_bitop3_b32 v22, v18, v24, v23 bitop3:0x80
	ds_load_b32 v18, v20 offset:64
	; wave barrier
	v_bitop3_b32 v3, v22, v19, v3 bitop3:0x80
	v_mbcnt_lo_u32_b32 v19, v3, 0
	v_cmp_ne_u32_e64 s3, 0, v3
	s_delay_alu instid0(VALU_DEP_2) | instskip(SKIP_1) | instid1(SALU_CYCLE_1)
	v_cmp_eq_u32_e32 vcc_lo, 0, v19
	s_and_b32 s4, s3, vcc_lo
	s_and_saveexec_b32 s3, s4
	s_cbranch_execz .LBB2259_33
; %bb.32:
	s_wait_dscnt 0x0
	v_bcnt_u32_b32 v3, v3, v18
	ds_store_b32 v20, v3 offset:64
.LBB2259_33:
	s_or_b32 exec_lo, exec_lo, s3
	v_cmp_lt_i16_e32 vcc_lo, -1, v17
	; wave barrier
	v_cndmask_b32_e64 v3, -1, 0xffff8000, vcc_lo
	s_delay_alu instid0(VALU_DEP_1) | instskip(NEXT) | instid1(VALU_DEP_1)
	v_xor_b32_e32 v17, v3, v17
	v_cmp_ne_u16_e32 vcc_lo, 0x7fff, v17
	v_cndmask_b32_e32 v3, 0xffff8000, v17, vcc_lo
	s_delay_alu instid0(VALU_DEP_1) | instskip(NEXT) | instid1(VALU_DEP_1)
	v_and_b32_e32 v3, 0xffff, v3
	v_lshrrev_b32_e32 v3, s20, v3
	s_delay_alu instid0(VALU_DEP_1) | instskip(SKIP_1) | instid1(VALU_DEP_2)
	v_bitop3_b32 v22, v3, 1, s29 bitop3:0x80
	v_and_b32_e32 v3, s29, v3
	v_add_co_u32 v22, s3, v22, -1
	s_delay_alu instid0(VALU_DEP_1) | instskip(NEXT) | instid1(VALU_DEP_3)
	v_cndmask_b32_e64 v23, 0, 1, s3
	v_dual_lshlrev_b32 v24, 30, v3 :: v_dual_lshlrev_b32 v26, 29, v3
	v_lshlrev_b32_e32 v27, 28, v3
	s_delay_alu instid0(VALU_DEP_3) | instskip(NEXT) | instid1(VALU_DEP_3)
	v_cmp_ne_u32_e32 vcc_lo, 0, v23
	v_cmp_gt_i32_e64 s3, 0, v24
	v_not_b32_e32 v23, v24
	v_cmp_gt_i32_e64 s4, 0, v26
	v_not_b32_e32 v24, v26
	v_not_b32_e32 v26, v27
	s_delay_alu instid0(VALU_DEP_2) | instskip(NEXT) | instid1(VALU_DEP_2)
	v_dual_ashrrev_i32 v24, 31, v24 :: v_dual_bitop2_b32 v22, vcc_lo, v22 bitop3:0x14
	v_dual_ashrrev_i32 v26, 31, v26 :: v_dual_lshlrev_b32 v28, 27, v3
	v_dual_lshlrev_b32 v29, 26, v3 :: v_dual_lshlrev_b32 v31, 25, v3
	v_cmp_gt_i32_e64 s5, 0, v27
	v_lshlrev_b32_e32 v32, 24, v3
	s_delay_alu instid0(VALU_DEP_4)
	v_cmp_gt_i32_e64 s6, 0, v28
	v_not_b32_e32 v27, v28
	v_not_b32_e32 v28, v29
	v_ashrrev_i32_e32 v23, 31, v23
	v_cmp_gt_i32_e64 s7, 0, v29
	v_cmp_gt_i32_e64 s8, 0, v31
	v_not_b32_e32 v29, v31
	s_delay_alu instid0(VALU_DEP_4) | instskip(SKIP_3) | instid1(VALU_DEP_4)
	v_dual_ashrrev_i32 v28, 31, v28 :: v_dual_bitop2_b32 v23, s3, v23 bitop3:0x14
	v_not_b32_e32 v31, v32
	v_dual_ashrrev_i32 v27, 31, v27 :: v_dual_bitop2_b32 v24, s4, v24 bitop3:0x14
	v_xor_b32_e32 v26, s5, v26
	v_bitop3_b32 v22, v22, v23, exec_lo bitop3:0x80
	v_cmp_gt_i32_e64 s9, 0, v32
	v_dual_ashrrev_i32 v23, 31, v29 :: v_dual_ashrrev_i32 v29, 31, v31
	v_xor_b32_e32 v28, s7, v28
	v_xor_b32_e32 v27, s6, v27
	v_bitop3_b32 v22, v22, v26, v24 bitop3:0x80
	v_mad_u32_u24 v24, 0x44, v3, v2
	v_xor_b32_e32 v3, s8, v23
	v_xor_b32_e32 v23, s9, v29
	s_delay_alu instid0(VALU_DEP_4) | instskip(SKIP_2) | instid1(VALU_DEP_1)
	v_bitop3_b32 v26, v22, v28, v27 bitop3:0x80
	ds_load_b32 v22, v24 offset:64
	; wave barrier
	v_bitop3_b32 v3, v26, v23, v3 bitop3:0x80
	v_mbcnt_lo_u32_b32 v23, v3, 0
	v_cmp_ne_u32_e64 s3, 0, v3
	s_delay_alu instid0(VALU_DEP_2) | instskip(SKIP_1) | instid1(SALU_CYCLE_1)
	v_cmp_eq_u32_e32 vcc_lo, 0, v23
	s_and_b32 s4, s3, vcc_lo
	s_and_saveexec_b32 s3, s4
	s_cbranch_execz .LBB2259_35
; %bb.34:
	s_wait_dscnt 0x0
	v_bcnt_u32_b32 v3, v3, v22
	ds_store_b32 v24, v3 offset:64
.LBB2259_35:
	s_or_b32 exec_lo, exec_lo, s3
	v_cmp_lt_i16_e32 vcc_lo, -1, v21
	; wave barrier
	v_cndmask_b32_e64 v3, -1, 0xffff8000, vcc_lo
	s_delay_alu instid0(VALU_DEP_1) | instskip(NEXT) | instid1(VALU_DEP_1)
	v_xor_b32_e32 v21, v3, v21
	v_cmp_ne_u16_e32 vcc_lo, 0x7fff, v21
	v_cndmask_b32_e32 v3, 0xffff8000, v21, vcc_lo
	s_delay_alu instid0(VALU_DEP_1) | instskip(NEXT) | instid1(VALU_DEP_1)
	v_and_b32_e32 v3, 0xffff, v3
	v_lshrrev_b32_e32 v3, s20, v3
	s_delay_alu instid0(VALU_DEP_1) | instskip(SKIP_1) | instid1(VALU_DEP_2)
	v_bitop3_b32 v26, v3, 1, s29 bitop3:0x80
	v_and_b32_e32 v3, s29, v3
	v_add_co_u32 v26, s3, v26, -1
	s_delay_alu instid0(VALU_DEP_1) | instskip(NEXT) | instid1(VALU_DEP_3)
	v_cndmask_b32_e64 v27, 0, 1, s3
	v_dual_lshlrev_b32 v28, 30, v3 :: v_dual_lshlrev_b32 v29, 29, v3
	v_lshlrev_b32_e32 v31, 28, v3
	s_delay_alu instid0(VALU_DEP_3) | instskip(NEXT) | instid1(VALU_DEP_3)
	v_cmp_ne_u32_e32 vcc_lo, 0, v27
	v_cmp_gt_i32_e64 s3, 0, v28
	v_not_b32_e32 v27, v28
	v_cmp_gt_i32_e64 s4, 0, v29
	v_not_b32_e32 v28, v29
	v_not_b32_e32 v29, v31
	s_delay_alu instid0(VALU_DEP_2) | instskip(NEXT) | instid1(VALU_DEP_2)
	v_dual_ashrrev_i32 v28, 31, v28 :: v_dual_bitop2_b32 v26, vcc_lo, v26 bitop3:0x14
	v_dual_ashrrev_i32 v29, 31, v29 :: v_dual_lshlrev_b32 v32, 27, v3
	v_dual_lshlrev_b32 v33, 26, v3 :: v_dual_lshlrev_b32 v34, 25, v3
	v_lshlrev_b32_e32 v35, 24, v3
	v_cmp_gt_i32_e64 s5, 0, v31
	s_delay_alu instid0(VALU_DEP_4)
	v_cmp_gt_i32_e64 s6, 0, v32
	v_not_b32_e32 v31, v32
	v_not_b32_e32 v32, v33
	v_ashrrev_i32_e32 v27, 31, v27
	v_cmp_gt_i32_e64 s7, 0, v33
	v_cmp_gt_i32_e64 s8, 0, v34
	v_not_b32_e32 v33, v34
	v_not_b32_e32 v34, v35
	v_dual_ashrrev_i32 v32, 31, v32 :: v_dual_bitop2_b32 v27, s3, v27 bitop3:0x14
	v_dual_ashrrev_i32 v31, 31, v31 :: v_dual_bitop2_b32 v28, s4, v28 bitop3:0x14
	v_xor_b32_e32 v29, s5, v29
	v_cmp_gt_i32_e64 s9, 0, v35
	s_delay_alu instid0(VALU_DEP_4) | instskip(NEXT) | instid1(VALU_DEP_4)
	v_bitop3_b32 v26, v26, v27, exec_lo bitop3:0x80
	v_dual_ashrrev_i32 v27, 31, v33 :: v_dual_bitop2_b32 v31, s6, v31 bitop3:0x14
	v_dual_ashrrev_i32 v33, 31, v34 :: v_dual_bitop2_b32 v32, s7, v32 bitop3:0x14
	s_delay_alu instid0(VALU_DEP_3) | instskip(SKIP_1) | instid1(VALU_DEP_4)
	v_bitop3_b32 v26, v26, v29, v28 bitop3:0x80
	v_mad_u32_u24 v28, 0x44, v3, v2
	v_xor_b32_e32 v3, s8, v27
	s_delay_alu instid0(VALU_DEP_4) | instskip(NEXT) | instid1(VALU_DEP_4)
	v_xor_b32_e32 v27, s9, v33
	v_bitop3_b32 v29, v26, v32, v31 bitop3:0x80
	ds_load_b32 v26, v28 offset:64
	; wave barrier
	v_bitop3_b32 v3, v29, v27, v3 bitop3:0x80
	s_delay_alu instid0(VALU_DEP_1) | instskip(SKIP_1) | instid1(VALU_DEP_2)
	v_mbcnt_lo_u32_b32 v27, v3, 0
	v_cmp_ne_u32_e64 s3, 0, v3
	v_cmp_eq_u32_e32 vcc_lo, 0, v27
	s_and_b32 s4, s3, vcc_lo
	s_delay_alu instid0(SALU_CYCLE_1)
	s_and_saveexec_b32 s3, s4
	s_cbranch_execz .LBB2259_37
; %bb.36:
	s_wait_dscnt 0x0
	v_bcnt_u32_b32 v3, v3, v26
	ds_store_b32 v28, v3 offset:64
.LBB2259_37:
	s_or_b32 exec_lo, exec_lo, s3
	v_cmp_lt_i16_e32 vcc_lo, -1, v25
	; wave barrier
	v_cndmask_b32_e64 v3, -1, 0xffff8000, vcc_lo
	s_delay_alu instid0(VALU_DEP_1) | instskip(NEXT) | instid1(VALU_DEP_1)
	v_xor_b32_e32 v25, v3, v25
	v_cmp_ne_u16_e32 vcc_lo, 0x7fff, v25
	v_cndmask_b32_e32 v3, 0xffff8000, v25, vcc_lo
	s_delay_alu instid0(VALU_DEP_1) | instskip(NEXT) | instid1(VALU_DEP_1)
	v_and_b32_e32 v3, 0xffff, v3
	v_lshrrev_b32_e32 v3, s20, v3
	s_delay_alu instid0(VALU_DEP_1) | instskip(SKIP_1) | instid1(VALU_DEP_2)
	v_bitop3_b32 v29, v3, 1, s29 bitop3:0x80
	v_and_b32_e32 v3, s29, v3
	v_add_co_u32 v29, s3, v29, -1
	s_delay_alu instid0(VALU_DEP_1) | instskip(NEXT) | instid1(VALU_DEP_3)
	v_cndmask_b32_e64 v31, 0, 1, s3
	v_dual_lshlrev_b32 v32, 30, v3 :: v_dual_lshlrev_b32 v33, 29, v3
	v_lshlrev_b32_e32 v34, 28, v3
	s_delay_alu instid0(VALU_DEP_3) | instskip(NEXT) | instid1(VALU_DEP_3)
	v_cmp_ne_u32_e32 vcc_lo, 0, v31
	v_cmp_gt_i32_e64 s3, 0, v32
	v_not_b32_e32 v31, v32
	v_cmp_gt_i32_e64 s4, 0, v33
	v_not_b32_e32 v32, v33
	v_not_b32_e32 v33, v34
	s_delay_alu instid0(VALU_DEP_2) | instskip(NEXT) | instid1(VALU_DEP_2)
	v_dual_ashrrev_i32 v32, 31, v32 :: v_dual_bitop2_b32 v29, vcc_lo, v29 bitop3:0x14
	v_dual_ashrrev_i32 v33, 31, v33 :: v_dual_lshlrev_b32 v35, 27, v3
	v_dual_lshlrev_b32 v36, 26, v3 :: v_dual_lshlrev_b32 v37, 25, v3
	v_lshlrev_b32_e32 v38, 24, v3
	v_cmp_gt_i32_e64 s5, 0, v34
	s_delay_alu instid0(VALU_DEP_4)
	v_not_b32_e32 v34, v35
	v_ashrrev_i32_e32 v31, 31, v31
	v_cmp_gt_i32_e64 s6, 0, v35
	v_cmp_gt_i32_e64 s7, 0, v36
	v_not_b32_e32 v35, v36
	v_cmp_gt_i32_e64 s8, 0, v37
	v_not_b32_e32 v36, v37
	v_not_b32_e32 v37, v38
	v_dual_ashrrev_i32 v34, 31, v34 :: v_dual_bitop2_b32 v31, s3, v31 bitop3:0x14
	v_dual_ashrrev_i32 v35, 31, v35 :: v_dual_bitop2_b32 v32, s4, v32 bitop3:0x14
	v_xor_b32_e32 v33, s5, v33
	v_cmp_gt_i32_e64 s9, 0, v38
	s_delay_alu instid0(VALU_DEP_4) | instskip(SKIP_3) | instid1(VALU_DEP_4)
	v_bitop3_b32 v29, v29, v31, exec_lo bitop3:0x80
	v_dual_ashrrev_i32 v31, 31, v36 :: v_dual_ashrrev_i32 v36, 31, v37
	v_xor_b32_e32 v34, s6, v34
	v_xor_b32_e32 v35, s7, v35
	v_bitop3_b32 v29, v29, v33, v32 bitop3:0x80
	v_mad_u32_u24 v32, 0x44, v3, v2
	v_xor_b32_e32 v3, s8, v31
	v_xor_b32_e32 v31, s9, v36
	s_delay_alu instid0(VALU_DEP_4) | instskip(SKIP_2) | instid1(VALU_DEP_1)
	v_bitop3_b32 v33, v29, v35, v34 bitop3:0x80
	ds_load_b32 v29, v32 offset:64
	; wave barrier
	v_bitop3_b32 v3, v33, v31, v3 bitop3:0x80
	v_mbcnt_lo_u32_b32 v31, v3, 0
	v_cmp_ne_u32_e64 s3, 0, v3
	s_delay_alu instid0(VALU_DEP_2) | instskip(SKIP_1) | instid1(SALU_CYCLE_1)
	v_cmp_eq_u32_e32 vcc_lo, 0, v31
	s_and_b32 s4, s3, vcc_lo
	s_and_saveexec_b32 s3, s4
	s_cbranch_execz .LBB2259_39
; %bb.38:
	s_wait_dscnt 0x0
	v_bcnt_u32_b32 v3, v3, v29
	ds_store_b32 v32, v3 offset:64
.LBB2259_39:
	s_or_b32 exec_lo, exec_lo, s3
	v_cmp_lt_i16_e32 vcc_lo, -1, v30
	; wave barrier
	v_cndmask_b32_e64 v3, -1, 0xffff8000, vcc_lo
	s_delay_alu instid0(VALU_DEP_1) | instskip(NEXT) | instid1(VALU_DEP_1)
	v_xor_b32_e32 v30, v3, v30
	v_cmp_ne_u16_e32 vcc_lo, 0x7fff, v30
	v_cndmask_b32_e32 v3, 0xffff8000, v30, vcc_lo
	s_delay_alu instid0(VALU_DEP_1) | instskip(NEXT) | instid1(VALU_DEP_1)
	v_and_b32_e32 v3, 0xffff, v3
	v_lshrrev_b32_e32 v3, s20, v3
	s_delay_alu instid0(VALU_DEP_1) | instskip(SKIP_1) | instid1(VALU_DEP_2)
	v_bitop3_b32 v33, v3, 1, s29 bitop3:0x80
	v_and_b32_e32 v3, s29, v3
	v_add_co_u32 v33, s3, v33, -1
	s_delay_alu instid0(VALU_DEP_1) | instskip(NEXT) | instid1(VALU_DEP_3)
	v_cndmask_b32_e64 v34, 0, 1, s3
	v_lshlrev_b32_e32 v35, 30, v3
	s_delay_alu instid0(VALU_DEP_2) | instskip(NEXT) | instid1(VALU_DEP_2)
	v_cmp_ne_u32_e32 vcc_lo, 0, v34
	v_not_b32_e32 v34, v35
	s_delay_alu instid0(VALU_DEP_1) | instskip(SKIP_4) | instid1(VALU_DEP_4)
	v_dual_ashrrev_i32 v34, 31, v34 :: v_dual_bitop2_b32 v33, vcc_lo, v33 bitop3:0x14
	v_dual_lshlrev_b32 v36, 29, v3 :: v_dual_lshlrev_b32 v37, 28, v3
	v_dual_lshlrev_b32 v38, 27, v3 :: v_dual_lshlrev_b32 v39, 26, v3
	v_lshlrev_b32_e32 v40, 25, v3
	v_cmp_gt_i32_e64 s3, 0, v35
	v_cmp_gt_i32_e64 s4, 0, v36
	v_not_b32_e32 v35, v36
	v_not_b32_e32 v36, v37
	v_lshlrev_b32_e32 v41, 24, v3
	v_cmp_gt_i32_e64 s5, 0, v37
	v_cmp_gt_i32_e64 s6, 0, v38
	v_not_b32_e32 v37, v38
	v_not_b32_e32 v38, v39
	v_dual_ashrrev_i32 v35, 31, v35 :: v_dual_bitop2_b32 v34, s3, v34 bitop3:0x14
	v_ashrrev_i32_e32 v36, 31, v36
	v_cmp_gt_i32_e64 s7, 0, v39
	v_cmp_gt_i32_e64 s8, 0, v40
	v_not_b32_e32 v39, v40
	v_not_b32_e32 v40, v41
	v_dual_ashrrev_i32 v37, 31, v37 :: v_dual_ashrrev_i32 v38, 31, v38
	v_xor_b32_e32 v35, s4, v35
	v_xor_b32_e32 v36, s5, v36
	v_bitop3_b32 v33, v33, v34, exec_lo bitop3:0x80
	v_cmp_gt_i32_e64 s9, 0, v41
	v_dual_ashrrev_i32 v34, 31, v39 :: v_dual_ashrrev_i32 v39, 31, v40
	v_xor_b32_e32 v37, s6, v37
	v_xor_b32_e32 v38, s7, v38
	v_bitop3_b32 v33, v33, v36, v35 bitop3:0x80
	v_mad_u32_u24 v36, 0x44, v3, v2
	v_xor_b32_e32 v3, s8, v34
	v_xor_b32_e32 v34, s9, v39
	s_delay_alu instid0(VALU_DEP_4) | instskip(SKIP_2) | instid1(VALU_DEP_1)
	v_bitop3_b32 v35, v33, v38, v37 bitop3:0x80
	ds_load_b32 v33, v36 offset:64
	; wave barrier
	v_bitop3_b32 v3, v35, v34, v3 bitop3:0x80
	v_mbcnt_lo_u32_b32 v34, v3, 0
	v_cmp_ne_u32_e64 s3, 0, v3
	s_delay_alu instid0(VALU_DEP_2) | instskip(SKIP_1) | instid1(SALU_CYCLE_1)
	v_cmp_eq_u32_e32 vcc_lo, 0, v34
	s_and_b32 s4, s3, vcc_lo
	s_and_saveexec_b32 s3, s4
	s_cbranch_execz .LBB2259_41
; %bb.40:
	s_wait_dscnt 0x0
	v_bcnt_u32_b32 v3, v3, v33
	ds_store_b32 v36, v3 offset:64
.LBB2259_41:
	s_or_b32 exec_lo, exec_lo, s3
	v_cmp_lt_i16_e32 vcc_lo, -1, v9
	; wave barrier
	v_cndmask_b32_e64 v3, -1, 0xffff8000, vcc_lo
	s_delay_alu instid0(VALU_DEP_1) | instskip(NEXT) | instid1(VALU_DEP_1)
	v_xor_b32_e32 v35, v3, v9
	v_cmp_ne_u16_e32 vcc_lo, 0x7fff, v35
	v_cndmask_b32_e32 v3, 0xffff8000, v35, vcc_lo
	s_delay_alu instid0(VALU_DEP_1) | instskip(NEXT) | instid1(VALU_DEP_1)
	v_and_b32_e32 v3, 0xffff, v3
	v_lshrrev_b32_e32 v3, s20, v3
	s_delay_alu instid0(VALU_DEP_1) | instskip(SKIP_1) | instid1(VALU_DEP_2)
	v_bitop3_b32 v9, v3, 1, s29 bitop3:0x80
	v_and_b32_e32 v3, s29, v3
	v_add_co_u32 v9, s3, v9, -1
	s_delay_alu instid0(VALU_DEP_1) | instskip(NEXT) | instid1(VALU_DEP_3)
	v_cndmask_b32_e64 v37, 0, 1, s3
	v_lshlrev_b32_e32 v38, 30, v3
	s_delay_alu instid0(VALU_DEP_2) | instskip(NEXT) | instid1(VALU_DEP_2)
	v_cmp_ne_u32_e32 vcc_lo, 0, v37
	v_not_b32_e32 v37, v38
	v_xor_b32_e32 v9, vcc_lo, v9
	s_delay_alu instid0(VALU_DEP_2) | instskip(SKIP_3) | instid1(VALU_DEP_4)
	v_dual_ashrrev_i32 v37, 31, v37 :: v_dual_lshlrev_b32 v39, 29, v3
	v_dual_lshlrev_b32 v40, 28, v3 :: v_dual_lshlrev_b32 v41, 27, v3
	v_dual_lshlrev_b32 v42, 26, v3 :: v_dual_lshlrev_b32 v43, 25, v3
	v_cmp_gt_i32_e64 s3, 0, v38
	v_cmp_gt_i32_e64 s4, 0, v39
	v_not_b32_e32 v38, v39
	v_not_b32_e32 v39, v40
	v_lshlrev_b32_e32 v44, 24, v3
	v_cmp_gt_i32_e64 s5, 0, v40
	v_cmp_gt_i32_e64 s6, 0, v41
	v_not_b32_e32 v40, v41
	v_not_b32_e32 v41, v42
	v_dual_ashrrev_i32 v38, 31, v38 :: v_dual_ashrrev_i32 v39, 31, v39
	v_xor_b32_e32 v37, s3, v37
	v_cmp_gt_i32_e64 s7, 0, v42
	v_cmp_gt_i32_e64 s8, 0, v43
	v_not_b32_e32 v42, v43
	v_not_b32_e32 v43, v44
	v_dual_ashrrev_i32 v40, 31, v40 :: v_dual_ashrrev_i32 v41, 31, v41
	v_xor_b32_e32 v38, s4, v38
	v_xor_b32_e32 v39, s5, v39
	v_bitop3_b32 v9, v9, v37, exec_lo bitop3:0x80
	v_cmp_gt_i32_e64 s9, 0, v44
	v_dual_ashrrev_i32 v37, 31, v42 :: v_dual_ashrrev_i32 v42, 31, v43
	v_xor_b32_e32 v43, s6, v40
	v_xor_b32_e32 v41, s7, v41
	v_bitop3_b32 v9, v9, v39, v38 bitop3:0x80
	v_mad_u32_u24 v40, 0x44, v3, v2
	v_xor_b32_e32 v3, s8, v37
	v_xor_b32_e32 v37, s9, v42
	s_delay_alu instid0(VALU_DEP_4) | instskip(SKIP_2) | instid1(VALU_DEP_1)
	v_bitop3_b32 v9, v9, v41, v43 bitop3:0x80
	ds_load_b32 v38, v40 offset:64
	; wave barrier
	v_bitop3_b32 v3, v9, v37, v3 bitop3:0x80
	v_mbcnt_lo_u32_b32 v39, v3, 0
	v_cmp_ne_u32_e64 s3, 0, v3
	s_delay_alu instid0(VALU_DEP_2) | instskip(SKIP_1) | instid1(SALU_CYCLE_1)
	v_cmp_eq_u32_e32 vcc_lo, 0, v39
	s_and_b32 s4, s3, vcc_lo
	s_and_saveexec_b32 s3, s4
	s_cbranch_execz .LBB2259_43
; %bb.42:
	s_wait_dscnt 0x0
	v_bcnt_u32_b32 v3, v3, v38
	ds_store_b32 v40, v3 offset:64
.LBB2259_43:
	s_or_b32 exec_lo, exec_lo, s3
	v_cmp_lt_i16_e32 vcc_lo, -1, v8
	; wave barrier
	v_cndmask_b32_e64 v3, -1, 0xffff8000, vcc_lo
	s_delay_alu instid0(VALU_DEP_1) | instskip(NEXT) | instid1(VALU_DEP_1)
	v_xor_b32_e32 v37, v3, v8
	v_cmp_ne_u16_e32 vcc_lo, 0x7fff, v37
	v_cndmask_b32_e32 v3, 0xffff8000, v37, vcc_lo
	s_delay_alu instid0(VALU_DEP_1) | instskip(NEXT) | instid1(VALU_DEP_1)
	v_and_b32_e32 v3, 0xffff, v3
	v_lshrrev_b32_e32 v3, s20, v3
	s_delay_alu instid0(VALU_DEP_1) | instskip(SKIP_1) | instid1(VALU_DEP_2)
	v_bitop3_b32 v8, v3, 1, s29 bitop3:0x80
	v_and_b32_e32 v3, s29, v3
	v_add_co_u32 v8, s3, v8, -1
	s_delay_alu instid0(VALU_DEP_1) | instskip(NEXT) | instid1(VALU_DEP_3)
	v_cndmask_b32_e64 v9, 0, 1, s3
	v_lshlrev_b32_e32 v41, 30, v3
	s_delay_alu instid0(VALU_DEP_2) | instskip(NEXT) | instid1(VALU_DEP_2)
	v_cmp_ne_u32_e32 vcc_lo, 0, v9
	v_not_b32_e32 v9, v41
	s_delay_alu instid0(VALU_DEP_1) | instskip(SKIP_4) | instid1(VALU_DEP_4)
	v_dual_ashrrev_i32 v9, 31, v9 :: v_dual_bitop2_b32 v8, vcc_lo, v8 bitop3:0x14
	v_dual_lshlrev_b32 v42, 29, v3 :: v_dual_lshlrev_b32 v43, 28, v3
	v_dual_lshlrev_b32 v44, 27, v3 :: v_dual_lshlrev_b32 v45, 26, v3
	v_lshlrev_b32_e32 v46, 25, v3
	v_cmp_gt_i32_e64 s3, 0, v41
	v_cmp_gt_i32_e64 s4, 0, v42
	v_not_b32_e32 v41, v42
	v_not_b32_e32 v42, v43
	v_lshlrev_b32_e32 v47, 24, v3
	v_cmp_gt_i32_e64 s5, 0, v43
	v_cmp_gt_i32_e64 s6, 0, v44
	v_not_b32_e32 v43, v44
	v_not_b32_e32 v44, v45
	v_dual_ashrrev_i32 v41, 31, v41 :: v_dual_ashrrev_i32 v42, 31, v42
	v_xor_b32_e32 v9, s3, v9
	v_cmp_gt_i32_e64 s7, 0, v45
	v_cmp_gt_i32_e64 s8, 0, v46
	v_not_b32_e32 v45, v46
	v_not_b32_e32 v46, v47
	v_dual_ashrrev_i32 v43, 31, v43 :: v_dual_ashrrev_i32 v44, 31, v44
	v_xor_b32_e32 v41, s4, v41
	v_xor_b32_e32 v42, s5, v42
	v_bitop3_b32 v8, v8, v9, exec_lo bitop3:0x80
	v_cmp_gt_i32_e64 s9, 0, v47
	v_dual_ashrrev_i32 v9, 31, v45 :: v_dual_ashrrev_i32 v45, 31, v46
	v_xor_b32_e32 v43, s6, v43
	v_xor_b32_e32 v46, s7, v44
	v_bitop3_b32 v8, v8, v42, v41 bitop3:0x80
	v_mad_u32_u24 v44, 0x44, v3, v2
	v_xor_b32_e32 v3, s8, v9
	v_xor_b32_e32 v9, s9, v45
	s_delay_alu instid0(VALU_DEP_4) | instskip(SKIP_2) | instid1(VALU_DEP_1)
	v_bitop3_b32 v8, v8, v46, v43 bitop3:0x80
	ds_load_b32 v42, v44 offset:64
	; wave barrier
	v_bitop3_b32 v3, v8, v9, v3 bitop3:0x80
	v_mbcnt_lo_u32_b32 v43, v3, 0
	v_cmp_ne_u32_e64 s3, 0, v3
	s_delay_alu instid0(VALU_DEP_2) | instskip(SKIP_1) | instid1(SALU_CYCLE_1)
	v_cmp_eq_u32_e32 vcc_lo, 0, v43
	s_and_b32 s4, s3, vcc_lo
	s_and_saveexec_b32 s3, s4
	s_cbranch_execz .LBB2259_45
; %bb.44:
	s_wait_dscnt 0x0
	v_bcnt_u32_b32 v3, v3, v42
	ds_store_b32 v44, v3 offset:64
.LBB2259_45:
	s_or_b32 exec_lo, exec_lo, s3
	v_cmp_lt_i16_e32 vcc_lo, -1, v7
	; wave barrier
	v_cndmask_b32_e64 v3, -1, 0xffff8000, vcc_lo
	s_delay_alu instid0(VALU_DEP_1) | instskip(NEXT) | instid1(VALU_DEP_1)
	v_xor_b32_e32 v41, v3, v7
	v_cmp_ne_u16_e32 vcc_lo, 0x7fff, v41
	v_cndmask_b32_e32 v3, 0xffff8000, v41, vcc_lo
	s_delay_alu instid0(VALU_DEP_1) | instskip(NEXT) | instid1(VALU_DEP_1)
	v_and_b32_e32 v3, 0xffff, v3
	v_lshrrev_b32_e32 v3, s20, v3
	s_delay_alu instid0(VALU_DEP_1) | instskip(SKIP_1) | instid1(VALU_DEP_2)
	v_bitop3_b32 v7, v3, 1, s29 bitop3:0x80
	v_and_b32_e32 v3, s29, v3
	v_add_co_u32 v7, s3, v7, -1
	s_delay_alu instid0(VALU_DEP_1) | instskip(NEXT) | instid1(VALU_DEP_3)
	v_cndmask_b32_e64 v8, 0, 1, s3
	v_dual_lshlrev_b32 v9, 30, v3 :: v_dual_lshlrev_b32 v45, 29, v3
	v_lshlrev_b32_e32 v46, 28, v3
	s_delay_alu instid0(VALU_DEP_3) | instskip(NEXT) | instid1(VALU_DEP_3)
	v_cmp_ne_u32_e32 vcc_lo, 0, v8
	v_cmp_gt_i32_e64 s3, 0, v9
	v_not_b32_e32 v8, v9
	v_cmp_gt_i32_e64 s4, 0, v45
	v_not_b32_e32 v9, v45
	v_not_b32_e32 v45, v46
	s_delay_alu instid0(VALU_DEP_2) | instskip(NEXT) | instid1(VALU_DEP_2)
	v_dual_ashrrev_i32 v8, 31, v8 :: v_dual_ashrrev_i32 v9, 31, v9
	v_dual_ashrrev_i32 v45, 31, v45 :: v_dual_lshlrev_b32 v47, 27, v3
	v_dual_lshlrev_b32 v48, 26, v3 :: v_dual_lshlrev_b32 v49, 25, v3
	s_delay_alu instid0(VALU_DEP_3) | instskip(SKIP_1) | instid1(VALU_DEP_4)
	v_dual_lshlrev_b32 v50, 24, v3 :: v_dual_bitop2_b32 v8, s3, v8 bitop3:0x14
	v_cmp_gt_i32_e64 s5, 0, v46
	v_cmp_gt_i32_e64 s6, 0, v47
	v_not_b32_e32 v46, v47
	v_cmp_gt_i32_e64 s7, 0, v48
	v_not_b32_e32 v47, v48
	v_not_b32_e32 v48, v49
	v_xor_b32_e32 v7, vcc_lo, v7
	v_cmp_gt_i32_e64 s8, 0, v49
	v_not_b32_e32 v49, v50
	v_dual_ashrrev_i32 v46, 31, v46 :: v_dual_ashrrev_i32 v47, 31, v47
	v_xor_b32_e32 v9, s4, v9
	v_xor_b32_e32 v45, s5, v45
	v_bitop3_b32 v7, v7, v8, exec_lo bitop3:0x80
	v_cmp_gt_i32_e64 s9, 0, v50
	v_dual_ashrrev_i32 v8, 31, v48 :: v_dual_ashrrev_i32 v49, 31, v49
	v_xor_b32_e32 v46, s6, v46
	v_xor_b32_e32 v47, s7, v47
	v_bitop3_b32 v7, v7, v45, v9 bitop3:0x80
	v_mad_u32_u24 v48, 0x44, v3, v2
	v_xor_b32_e32 v3, s8, v8
	v_xor_b32_e32 v8, s9, v49
	s_delay_alu instid0(VALU_DEP_4) | instskip(SKIP_2) | instid1(VALU_DEP_1)
	v_bitop3_b32 v7, v7, v47, v46 bitop3:0x80
	ds_load_b32 v46, v48 offset:64
	; wave barrier
	v_bitop3_b32 v3, v7, v8, v3 bitop3:0x80
	v_mbcnt_lo_u32_b32 v47, v3, 0
	v_cmp_ne_u32_e64 s3, 0, v3
	s_delay_alu instid0(VALU_DEP_2) | instskip(SKIP_1) | instid1(SALU_CYCLE_1)
	v_cmp_eq_u32_e32 vcc_lo, 0, v47
	s_and_b32 s4, s3, vcc_lo
	s_and_saveexec_b32 s3, s4
	s_cbranch_execz .LBB2259_47
; %bb.46:
	s_wait_dscnt 0x0
	v_bcnt_u32_b32 v3, v3, v46
	ds_store_b32 v48, v3 offset:64
.LBB2259_47:
	s_or_b32 exec_lo, exec_lo, s3
	v_cmp_lt_i16_e32 vcc_lo, -1, v6
	; wave barrier
	v_cndmask_b32_e64 v3, -1, 0xffff8000, vcc_lo
	s_delay_alu instid0(VALU_DEP_1) | instskip(NEXT) | instid1(VALU_DEP_1)
	v_xor_b32_e32 v45, v3, v6
	v_cmp_ne_u16_e32 vcc_lo, 0x7fff, v45
	v_cndmask_b32_e32 v3, 0xffff8000, v45, vcc_lo
	s_delay_alu instid0(VALU_DEP_1) | instskip(NEXT) | instid1(VALU_DEP_1)
	v_and_b32_e32 v3, 0xffff, v3
	v_lshrrev_b32_e32 v3, s20, v3
	s_delay_alu instid0(VALU_DEP_1) | instskip(SKIP_1) | instid1(VALU_DEP_2)
	v_bitop3_b32 v6, v3, 1, s29 bitop3:0x80
	v_and_b32_e32 v3, s29, v3
	v_add_co_u32 v6, s3, v6, -1
	s_delay_alu instid0(VALU_DEP_1) | instskip(NEXT) | instid1(VALU_DEP_3)
	v_cndmask_b32_e64 v7, 0, 1, s3
	v_dual_lshlrev_b32 v8, 30, v3 :: v_dual_lshlrev_b32 v9, 29, v3
	v_lshlrev_b32_e32 v49, 28, v3
	s_delay_alu instid0(VALU_DEP_3) | instskip(NEXT) | instid1(VALU_DEP_3)
	v_cmp_ne_u32_e32 vcc_lo, 0, v7
	v_cmp_gt_i32_e64 s3, 0, v8
	v_not_b32_e32 v7, v8
	v_cmp_gt_i32_e64 s4, 0, v9
	v_not_b32_e32 v8, v9
	v_not_b32_e32 v9, v49
	s_delay_alu instid0(VALU_DEP_2) | instskip(NEXT) | instid1(VALU_DEP_2)
	v_dual_ashrrev_i32 v8, 31, v8 :: v_dual_bitop2_b32 v6, vcc_lo, v6 bitop3:0x14
	v_dual_ashrrev_i32 v9, 31, v9 :: v_dual_lshlrev_b32 v50, 27, v3
	v_dual_lshlrev_b32 v51, 26, v3 :: v_dual_lshlrev_b32 v52, 25, v3
	v_cmp_gt_i32_e64 s5, 0, v49
	v_lshlrev_b32_e32 v53, 24, v3
	s_delay_alu instid0(VALU_DEP_4) | instskip(SKIP_4) | instid1(VALU_DEP_4)
	v_not_b32_e32 v49, v50
	v_ashrrev_i32_e32 v7, 31, v7
	v_cmp_gt_i32_e64 s6, 0, v50
	v_not_b32_e32 v50, v51
	v_cmp_gt_i32_e64 s7, 0, v51
	v_dual_ashrrev_i32 v49, 31, v49 :: v_dual_bitop2_b32 v7, s3, v7 bitop3:0x14
	v_cmp_gt_i32_e64 s8, 0, v52
	v_not_b32_e32 v51, v52
	v_not_b32_e32 v52, v53
	v_dual_ashrrev_i32 v50, 31, v50 :: v_dual_bitop2_b32 v8, s4, v8 bitop3:0x14
	v_xor_b32_e32 v9, s5, v9
	v_bitop3_b32 v6, v6, v7, exec_lo bitop3:0x80
	v_cmp_gt_i32_e64 s9, 0, v53
	v_dual_ashrrev_i32 v7, 31, v51 :: v_dual_ashrrev_i32 v51, 31, v52
	v_xor_b32_e32 v49, s6, v49
	v_xor_b32_e32 v50, s7, v50
	v_bitop3_b32 v6, v6, v9, v8 bitop3:0x80
	v_mad_u32_u24 v52, 0x44, v3, v2
	v_xor_b32_e32 v3, s8, v7
	v_xor_b32_e32 v7, s9, v51
	s_delay_alu instid0(VALU_DEP_4) | instskip(SKIP_2) | instid1(VALU_DEP_1)
	v_bitop3_b32 v6, v6, v50, v49 bitop3:0x80
	ds_load_b32 v49, v52 offset:64
	; wave barrier
	v_bitop3_b32 v3, v6, v7, v3 bitop3:0x80
	v_mbcnt_lo_u32_b32 v51, v3, 0
	v_cmp_ne_u32_e64 s3, 0, v3
	s_delay_alu instid0(VALU_DEP_2) | instskip(SKIP_1) | instid1(SALU_CYCLE_1)
	v_cmp_eq_u32_e32 vcc_lo, 0, v51
	s_and_b32 s4, s3, vcc_lo
	s_and_saveexec_b32 s3, s4
	s_cbranch_execz .LBB2259_49
; %bb.48:
	s_wait_dscnt 0x0
	v_bcnt_u32_b32 v3, v3, v49
	ds_store_b32 v52, v3 offset:64
.LBB2259_49:
	s_or_b32 exec_lo, exec_lo, s3
	v_cmp_lt_i16_e32 vcc_lo, -1, v5
	; wave barrier
	v_cndmask_b32_e64 v3, -1, 0xffff8000, vcc_lo
	s_delay_alu instid0(VALU_DEP_1) | instskip(NEXT) | instid1(VALU_DEP_1)
	v_xor_b32_e32 v50, v3, v5
	v_cmp_ne_u16_e32 vcc_lo, 0x7fff, v50
	v_cndmask_b32_e32 v3, 0xffff8000, v50, vcc_lo
	s_delay_alu instid0(VALU_DEP_1) | instskip(NEXT) | instid1(VALU_DEP_1)
	v_and_b32_e32 v3, 0xffff, v3
	v_lshrrev_b32_e32 v3, s20, v3
	s_delay_alu instid0(VALU_DEP_1) | instskip(SKIP_1) | instid1(VALU_DEP_2)
	v_bitop3_b32 v5, v3, 1, s29 bitop3:0x80
	v_and_b32_e32 v3, s29, v3
	v_add_co_u32 v5, s3, v5, -1
	s_delay_alu instid0(VALU_DEP_1) | instskip(NEXT) | instid1(VALU_DEP_3)
	v_cndmask_b32_e64 v6, 0, 1, s3
	v_lshlrev_b32_e32 v7, 30, v3
	s_delay_alu instid0(VALU_DEP_2) | instskip(NEXT) | instid1(VALU_DEP_2)
	v_cmp_ne_u32_e32 vcc_lo, 0, v6
	v_not_b32_e32 v6, v7
	s_delay_alu instid0(VALU_DEP_1) | instskip(SKIP_4) | instid1(VALU_DEP_4)
	v_dual_ashrrev_i32 v6, 31, v6 :: v_dual_bitop2_b32 v5, vcc_lo, v5 bitop3:0x14
	v_dual_lshlrev_b32 v8, 29, v3 :: v_dual_lshlrev_b32 v9, 28, v3
	v_dual_lshlrev_b32 v53, 27, v3 :: v_dual_lshlrev_b32 v54, 26, v3
	v_lshlrev_b32_e32 v55, 25, v3
	v_cmp_gt_i32_e64 s3, 0, v7
	v_cmp_gt_i32_e64 s4, 0, v8
	v_not_b32_e32 v7, v8
	v_not_b32_e32 v8, v9
	v_lshlrev_b32_e32 v56, 24, v3
	v_cmp_gt_i32_e64 s5, 0, v9
	v_cmp_gt_i32_e64 s6, 0, v53
	v_not_b32_e32 v9, v53
	v_not_b32_e32 v53, v54
	v_dual_ashrrev_i32 v7, 31, v7 :: v_dual_bitop2_b32 v6, s3, v6 bitop3:0x14
	v_ashrrev_i32_e32 v8, 31, v8
	v_cmp_gt_i32_e64 s7, 0, v54
	v_cmp_gt_i32_e64 s8, 0, v55
	v_not_b32_e32 v54, v55
	v_not_b32_e32 v55, v56
	v_dual_ashrrev_i32 v9, 31, v9 :: v_dual_bitop2_b32 v7, s4, v7 bitop3:0x14
	v_dual_ashrrev_i32 v53, 31, v53 :: v_dual_bitop2_b32 v8, s5, v8 bitop3:0x14
	v_bitop3_b32 v5, v5, v6, exec_lo bitop3:0x80
	v_cmp_gt_i32_e64 s9, 0, v56
	v_dual_ashrrev_i32 v6, 31, v54 :: v_dual_ashrrev_i32 v54, 31, v55
	v_xor_b32_e32 v9, s6, v9
	v_xor_b32_e32 v53, s7, v53
	v_bitop3_b32 v5, v5, v8, v7 bitop3:0x80
	v_mad_u32_u24 v57, 0x44, v3, v2
	v_xor_b32_e32 v3, s8, v6
	v_xor_b32_e32 v6, s9, v54
	s_delay_alu instid0(VALU_DEP_4) | instskip(SKIP_2) | instid1(VALU_DEP_1)
	v_bitop3_b32 v5, v5, v53, v9 bitop3:0x80
	ds_load_b32 v53, v57 offset:64
	; wave barrier
	v_bitop3_b32 v3, v5, v6, v3 bitop3:0x80
	v_mbcnt_lo_u32_b32 v54, v3, 0
	v_cmp_ne_u32_e64 s3, 0, v3
	s_delay_alu instid0(VALU_DEP_2) | instskip(SKIP_1) | instid1(SALU_CYCLE_1)
	v_cmp_eq_u32_e32 vcc_lo, 0, v54
	s_and_b32 s4, s3, vcc_lo
	s_and_saveexec_b32 s3, s4
	s_cbranch_execz .LBB2259_51
; %bb.50:
	s_wait_dscnt 0x0
	v_bcnt_u32_b32 v3, v3, v53
	ds_store_b32 v57, v3 offset:64
.LBB2259_51:
	s_or_b32 exec_lo, exec_lo, s3
	v_cmp_lt_i16_e32 vcc_lo, -1, v4
	; wave barrier
	v_cndmask_b32_e64 v3, -1, 0xffff8000, vcc_lo
	s_delay_alu instid0(VALU_DEP_1) | instskip(NEXT) | instid1(VALU_DEP_1)
	v_xor_b32_e32 v55, v3, v4
	v_cmp_ne_u16_e32 vcc_lo, 0x7fff, v55
	v_cndmask_b32_e32 v3, 0xffff8000, v55, vcc_lo
	s_delay_alu instid0(VALU_DEP_1) | instskip(NEXT) | instid1(VALU_DEP_1)
	v_and_b32_e32 v3, 0xffff, v3
	v_lshrrev_b32_e32 v3, s20, v3
	s_delay_alu instid0(VALU_DEP_1) | instskip(SKIP_1) | instid1(VALU_DEP_2)
	v_bitop3_b32 v4, v3, 1, s29 bitop3:0x80
	v_and_b32_e32 v3, s29, v3
	v_add_co_u32 v4, s3, v4, -1
	s_delay_alu instid0(VALU_DEP_1) | instskip(NEXT) | instid1(VALU_DEP_3)
	v_cndmask_b32_e64 v5, 0, 1, s3
	v_lshlrev_b32_e32 v6, 30, v3
	s_delay_alu instid0(VALU_DEP_2) | instskip(NEXT) | instid1(VALU_DEP_2)
	v_cmp_ne_u32_e32 vcc_lo, 0, v5
	v_not_b32_e32 v5, v6
	s_delay_alu instid0(VALU_DEP_1) | instskip(SKIP_4) | instid1(VALU_DEP_4)
	v_dual_ashrrev_i32 v5, 31, v5 :: v_dual_bitop2_b32 v4, vcc_lo, v4 bitop3:0x14
	v_dual_lshlrev_b32 v7, 29, v3 :: v_dual_lshlrev_b32 v8, 28, v3
	v_dual_lshlrev_b32 v9, 27, v3 :: v_dual_lshlrev_b32 v56, 26, v3
	v_lshlrev_b32_e32 v58, 25, v3
	v_cmp_gt_i32_e64 s3, 0, v6
	v_cmp_gt_i32_e64 s4, 0, v7
	v_not_b32_e32 v6, v7
	v_not_b32_e32 v7, v8
	v_lshlrev_b32_e32 v59, 24, v3
	v_cmp_gt_i32_e64 s5, 0, v8
	v_cmp_gt_i32_e64 s6, 0, v9
	v_not_b32_e32 v8, v9
	v_not_b32_e32 v9, v56
	v_dual_ashrrev_i32 v6, 31, v6 :: v_dual_ashrrev_i32 v7, 31, v7
	v_xor_b32_e32 v5, s3, v5
	v_cmp_gt_i32_e64 s7, 0, v56
	v_cmp_gt_i32_e64 s8, 0, v58
	v_not_b32_e32 v56, v58
	v_not_b32_e32 v58, v59
	v_dual_ashrrev_i32 v8, 31, v8 :: v_dual_ashrrev_i32 v9, 31, v9
	v_xor_b32_e32 v6, s4, v6
	v_xor_b32_e32 v7, s5, v7
	v_bitop3_b32 v4, v4, v5, exec_lo bitop3:0x80
	v_cmp_gt_i32_e64 s9, 0, v59
	v_dual_ashrrev_i32 v5, 31, v56 :: v_dual_ashrrev_i32 v56, 31, v58
	v_xor_b32_e32 v8, s6, v8
	v_xor_b32_e32 v9, s7, v9
	v_bitop3_b32 v4, v4, v7, v6 bitop3:0x80
	v_mad_u32_u24 v59, 0x44, v3, v2
	v_xor_b32_e32 v2, s8, v5
	v_xor_b32_e32 v3, s9, v56
	s_delay_alu instid0(VALU_DEP_4) | instskip(SKIP_2) | instid1(VALU_DEP_1)
	v_bitop3_b32 v4, v4, v9, v8 bitop3:0x80
	ds_load_b32 v56, v59 offset:64
	; wave barrier
	v_bitop3_b32 v2, v4, v3, v2 bitop3:0x80
	v_mbcnt_lo_u32_b32 v58, v2, 0
	v_cmp_ne_u32_e64 s3, 0, v2
	s_delay_alu instid0(VALU_DEP_2) | instskip(SKIP_1) | instid1(SALU_CYCLE_1)
	v_cmp_eq_u32_e32 vcc_lo, 0, v58
	s_and_b32 s4, s3, vcc_lo
	s_and_saveexec_b32 s3, s4
	s_cbranch_execz .LBB2259_53
; %bb.52:
	s_wait_dscnt 0x0
	v_bcnt_u32_b32 v2, v2, v56
	ds_store_b32 v59, v2 offset:64
.LBB2259_53:
	s_or_b32 exec_lo, exec_lo, s3
	; wave barrier
	s_wait_dscnt 0x0
	s_barrier_signal -1
	s_barrier_wait -1
	ds_load_2addr_b32 v[8:9], v12 offset0:16 offset1:17
	ds_load_2addr_b32 v[6:7], v12 offset0:18 offset1:19
	;; [unrolled: 1-line block ×4, first 2 shown]
	ds_load_b32 v60, v12 offset:96
	s_mov_b32 s7, exec_lo
	s_wait_dscnt 0x3
	v_add3_u32 v61, v9, v8, v6
	s_wait_dscnt 0x2
	s_delay_alu instid0(VALU_DEP_1) | instskip(SKIP_1) | instid1(VALU_DEP_1)
	v_add3_u32 v61, v61, v7, v4
	s_wait_dscnt 0x1
	v_add3_u32 v61, v61, v5, v2
	s_wait_dscnt 0x0
	s_delay_alu instid0(VALU_DEP_1) | instskip(SKIP_1) | instid1(VALU_DEP_2)
	v_add3_u32 v60, v61, v3, v60
	v_and_b32_e32 v61, 15, v15
	v_mov_b32_dpp v62, v60 row_shr:1 row_mask:0xf bank_mask:0xf
	s_delay_alu instid0(VALU_DEP_2) | instskip(NEXT) | instid1(VALU_DEP_2)
	v_cmp_eq_u32_e32 vcc_lo, 0, v61
	v_cndmask_b32_e64 v62, v62, 0, vcc_lo
	s_delay_alu instid0(VALU_DEP_1) | instskip(SKIP_3) | instid1(VALU_DEP_4)
	v_add_nc_u32_e32 v60, v62, v60
	v_cmp_lt_u32_e64 s3, 1, v61
	v_cmp_lt_u32_e64 s4, 3, v61
	;; [unrolled: 1-line block ×3, first 2 shown]
	v_mov_b32_dpp v62, v60 row_shr:2 row_mask:0xf bank_mask:0xf
	s_delay_alu instid0(VALU_DEP_1) | instskip(NEXT) | instid1(VALU_DEP_1)
	v_cndmask_b32_e64 v62, 0, v62, s3
	v_add_nc_u32_e32 v60, v60, v62
	s_delay_alu instid0(VALU_DEP_1) | instskip(NEXT) | instid1(VALU_DEP_1)
	v_mov_b32_dpp v62, v60 row_shr:4 row_mask:0xf bank_mask:0xf
	v_cndmask_b32_e64 v62, 0, v62, s4
	s_delay_alu instid0(VALU_DEP_1) | instskip(NEXT) | instid1(VALU_DEP_1)
	v_add_nc_u32_e32 v60, v60, v62
	v_mov_b32_dpp v62, v60 row_shr:8 row_mask:0xf bank_mask:0xf
	s_delay_alu instid0(VALU_DEP_1) | instskip(SKIP_1) | instid1(VALU_DEP_2)
	v_cndmask_b32_e64 v61, 0, v62, s5
	v_bfe_i32 v62, v15, 4, 1
	v_add_nc_u32_e32 v60, v60, v61
	ds_swizzle_b32 v61, v60 offset:swizzle(BROADCAST,32,15)
	s_wait_dscnt 0x0
	v_and_b32_e32 v61, v62, v61
	v_min_u32_e32 v62, 0x1e0, v16
	s_delay_alu instid0(VALU_DEP_2) | instskip(NEXT) | instid1(VALU_DEP_2)
	v_dual_add_nc_u32 v60, v60, v61 :: v_dual_lshrrev_b32 v61, 5, v14
	v_or_b32_e32 v62, 31, v62
	s_delay_alu instid0(VALU_DEP_1)
	v_cmpx_eq_u32_e64 v14, v62
; %bb.54:
	s_delay_alu instid0(VALU_DEP_3)
	v_lshlrev_b32_e32 v62, 2, v61
	ds_store_b32 v62, v60
; %bb.55:
	s_or_b32 exec_lo, exec_lo, s7
	s_delay_alu instid0(SALU_CYCLE_1)
	s_mov_b32 s7, exec_lo
	s_wait_dscnt 0x0
	s_barrier_signal -1
	s_barrier_wait -1
	v_cmpx_gt_u32_e32 16, v14
	s_cbranch_execz .LBB2259_57
; %bb.56:
	v_lshlrev_b32_e32 v62, 2, v14
	ds_load_b32 v63, v62
	s_wait_dscnt 0x0
	v_mov_b32_dpp v64, v63 row_shr:1 row_mask:0xf bank_mask:0xf
	s_delay_alu instid0(VALU_DEP_1) | instskip(NEXT) | instid1(VALU_DEP_1)
	v_cndmask_b32_e64 v64, v64, 0, vcc_lo
	v_add_nc_u32_e32 v63, v64, v63
	s_delay_alu instid0(VALU_DEP_1) | instskip(NEXT) | instid1(VALU_DEP_1)
	v_mov_b32_dpp v64, v63 row_shr:2 row_mask:0xf bank_mask:0xf
	v_cndmask_b32_e64 v64, 0, v64, s3
	s_delay_alu instid0(VALU_DEP_1) | instskip(NEXT) | instid1(VALU_DEP_1)
	v_add_nc_u32_e32 v63, v63, v64
	v_mov_b32_dpp v64, v63 row_shr:4 row_mask:0xf bank_mask:0xf
	s_delay_alu instid0(VALU_DEP_1) | instskip(NEXT) | instid1(VALU_DEP_1)
	v_cndmask_b32_e64 v64, 0, v64, s4
	v_add_nc_u32_e32 v63, v63, v64
	s_delay_alu instid0(VALU_DEP_1) | instskip(NEXT) | instid1(VALU_DEP_1)
	v_mov_b32_dpp v64, v63 row_shr:8 row_mask:0xf bank_mask:0xf
	v_cndmask_b32_e64 v64, 0, v64, s5
	s_delay_alu instid0(VALU_DEP_1)
	v_add_nc_u32_e32 v63, v63, v64
	ds_store_b32 v62, v63
.LBB2259_57:
	s_or_b32 exec_lo, exec_lo, s7
	v_mov_b32_e32 v62, 0
	s_mov_b32 s3, exec_lo
	s_wait_dscnt 0x0
	s_barrier_signal -1
	s_barrier_wait -1
	v_cmpx_lt_u32_e32 31, v14
; %bb.58:
	v_lshl_add_u32 v61, v61, 2, -4
	ds_load_b32 v62, v61
; %bb.59:
	s_or_b32 exec_lo, exec_lo, s3
	v_sub_co_u32 v61, vcc_lo, v15, 1
	s_wait_dscnt 0x0
	v_add_nc_u32_e32 v60, v62, v60
	s_delay_alu instid0(VALU_DEP_2) | instskip(NEXT) | instid1(VALU_DEP_1)
	v_cmp_gt_i32_e64 s3, 0, v61
	v_cndmask_b32_e64 v61, v61, v15, s3
	v_cmp_gt_u32_e64 s3, 0x100, v14
	s_delay_alu instid0(VALU_DEP_2) | instskip(SKIP_4) | instid1(VALU_DEP_2)
	v_lshlrev_b32_e32 v61, 2, v61
	ds_bpermute_b32 v60, v61, v60
	s_wait_dscnt 0x0
	v_cndmask_b32_e32 v60, v60, v62, vcc_lo
	v_cmp_lt_u32_e32 vcc_lo, 0xff, v14
	v_cndmask_b32_e64 v60, v60, 0, s2
	s_delay_alu instid0(VALU_DEP_1) | instskip(NEXT) | instid1(VALU_DEP_1)
	v_add_nc_u32_e32 v8, v60, v8
	v_add_nc_u32_e32 v9, v8, v9
	s_delay_alu instid0(VALU_DEP_1) | instskip(NEXT) | instid1(VALU_DEP_1)
	v_add_nc_u32_e32 v6, v9, v6
	v_add_nc_u32_e32 v7, v6, v7
	;; [unrolled: 3-line block ×4, first 2 shown]
	ds_store_2addr_b32 v12, v60, v8 offset0:16 offset1:17
	ds_store_2addr_b32 v12, v9, v6 offset0:18 offset1:19
	;; [unrolled: 1-line block ×4, first 2 shown]
	ds_store_b32 v12, v3 offset:96
	s_wait_dscnt 0x0
	s_barrier_signal -1
	s_barrier_wait -1
	ds_load_b32 v61, v13 offset:64
	ds_load_b32 v62, v20 offset:64
	;; [unrolled: 1-line block ×12, first 2 shown]
	v_mov_b64_e32 v[2:3], 0
                                        ; implicit-def: $vgpr4
	s_and_saveexec_b32 s5, s3
	s_cbranch_execz .LBB2259_63
; %bb.60:
	v_mul_u32_u24_e32 v2, 0x44, v14
	v_dual_mov_b32 v3, 0x1800 :: v_dual_add_nc_u32 v4, 1, v14
	s_mov_b32 s6, exec_lo
	ds_load_b32 v2, v2 offset:64
	v_cmpx_ne_u32_e32 0x100, v4
; %bb.61:
	v_mul_u32_u24_e32 v3, 0x44, v4
	ds_load_b32 v3, v3 offset:64
; %bb.62:
	s_or_b32 exec_lo, exec_lo, s6
	s_wait_dscnt 0x0
	v_dual_mov_b32 v3, 0 :: v_dual_sub_nc_u32 v4, v3, v2
.LBB2259_63:
	s_or_b32 exec_lo, exec_lo, s5
	v_dual_lshlrev_b32 v10, 1, v10 :: v_dual_lshlrev_b32 v19, 1, v19
	s_wait_dscnt 0xa
	v_lshlrev_b32_e32 v28, 1, v62
	v_dual_lshlrev_b32 v18, 1, v18 :: v_dual_lshlrev_b32 v23, 1, v23
	s_delay_alu instid0(VALU_DEP_3) | instskip(SKIP_2) | instid1(VALU_DEP_3)
	v_lshl_add_u32 v10, v61, 1, v10
	v_lshlrev_b32_e32 v22, 1, v22
	s_wait_dscnt 0x0
	v_add3_u32 v18, v28, v19, v18
	v_lshlrev_b32_e32 v19, 1, v60
	s_barrier_signal -1
	s_barrier_wait -1
	ds_store_b16 v10, v1 offset:2048
	ds_store_b16 v18, v11 offset:2048
	v_lshlrev_b32_e32 v10, 1, v24
	v_add3_u32 v1, v19, v23, v22
	v_dual_lshlrev_b32 v11, 1, v27 :: v_dual_lshlrev_b32 v18, 1, v26
	v_dual_lshlrev_b32 v22, 1, v29 :: v_dual_lshlrev_b32 v23, 1, v34
	;; [unrolled: 1-line block ×6, first 2 shown]
	ds_store_b16 v1, v17 offset:2048
	v_add3_u32 v1, v10, v11, v18
	v_add3_u32 v11, v13, v23, v24
	v_dual_lshlrev_b32 v13, 1, v43 :: v_dual_lshlrev_b32 v17, 1, v42
	v_add3_u32 v10, v19, v20, v22
	v_add3_u32 v12, v12, v26, v27
	ds_store_b16 v1, v21 offset:2048
	ds_store_b16 v10, v25 offset:2048
	;; [unrolled: 1-line block ×4, first 2 shown]
	v_add3_u32 v1, v9, v13, v17
	v_dual_lshlrev_b32 v8, 1, v8 :: v_dual_lshlrev_b32 v9, 1, v47
	v_dual_lshlrev_b32 v10, 1, v46 :: v_dual_lshlrev_b32 v7, 1, v7
	;; [unrolled: 1-line block ×6, first 2 shown]
	ds_store_b16 v1, v37 offset:2048
	v_add3_u32 v8, v8, v9, v10
	v_add3_u32 v9, v7, v11, v12
	v_dual_mov_b32 v7, 0 :: v_dual_lshlrev_b32 v1, 3, v14
	v_add3_u32 v6, v6, v13, v17
	v_add3_u32 v5, v5, v18, v19
	ds_store_b16 v8, v41 offset:2048
	ds_store_b16 v9, v45 offset:2048
	ds_store_b16 v6, v50 offset:2048
	ds_store_b16 v5, v55 offset:2048
	s_and_saveexec_b32 s4, s3
	s_cbranch_execz .LBB2259_73
; %bb.64:
	v_lshl_add_u32 v6, s23, 8, v14
	v_dual_mov_b32 v10, 0 :: v_dual_bitop2_b32 v5, 2.0, v4 bitop3:0x54
	s_mov_b32 s5, 0
	s_mov_b32 s6, s23
	s_delay_alu instid0(VALU_DEP_2)
	v_lshl_add_u64 v[8:9], v[6:7], 2, s[10:11]
	global_store_b32 v6, v5, s[10:11] scale_offset scope:SCOPE_DEV
                                        ; implicit-def: $sgpr3
	s_branch .LBB2259_67
.LBB2259_65:                            ;   in Loop: Header=BB2259_67 Depth=1
	s_or_b32 exec_lo, exec_lo, s8
.LBB2259_66:                            ;   in Loop: Header=BB2259_67 Depth=1
	s_delay_alu instid0(SALU_CYCLE_1) | instskip(SKIP_2) | instid1(VALU_DEP_2)
	s_or_b32 exec_lo, exec_lo, s7
	v_and_b32_e32 v6, 0x3fffffff, v5
	v_cmp_gt_i32_e64 s3, -2.0, v5
	v_add_nc_u32_e32 v10, v6, v10
	s_and_b32 s7, exec_lo, s3
	s_delay_alu instid0(SALU_CYCLE_1) | instskip(NEXT) | instid1(SALU_CYCLE_1)
	s_or_b32 s5, s7, s5
	s_and_not1_b32 exec_lo, exec_lo, s5
	s_cbranch_execz .LBB2259_72
.LBB2259_67:                            ; =>This Loop Header: Depth=1
                                        ;     Child Loop BB2259_70 Depth 2
	s_or_b32 s3, s3, exec_lo
	s_cmp_eq_u32 s6, 0
	s_cbranch_scc1 .LBB2259_71
; %bb.68:                               ;   in Loop: Header=BB2259_67 Depth=1
	s_add_co_i32 s6, s6, -1
	s_mov_b32 s7, exec_lo
	s_wait_xcnt 0x0
	v_lshl_or_b32 v6, s6, 8, v14
	global_load_b32 v5, v6, s[10:11] scale_offset scope:SCOPE_DEV
	s_wait_loadcnt 0x0
	v_cmpx_gt_u32_e32 2.0, v5
	s_cbranch_execz .LBB2259_66
; %bb.69:                               ;   in Loop: Header=BB2259_67 Depth=1
	v_lshl_add_u64 v[12:13], v[6:7], 2, s[10:11]
	s_mov_b32 s8, 0
.LBB2259_70:                            ;   Parent Loop BB2259_67 Depth=1
                                        ; =>  This Inner Loop Header: Depth=2
	global_load_b32 v5, v[12:13], off scope:SCOPE_DEV
	s_wait_loadcnt 0x0
	v_cmp_lt_u32_e64 s3, 0x3fffffff, v5
	s_or_b32 s8, s3, s8
	s_wait_xcnt 0x0
	s_and_not1_b32 exec_lo, exec_lo, s8
	s_cbranch_execnz .LBB2259_70
	s_branch .LBB2259_65
.LBB2259_71:                            ;   in Loop: Header=BB2259_67 Depth=1
                                        ; implicit-def: $sgpr6
	s_and_b32 s7, exec_lo, s3
	s_delay_alu instid0(SALU_CYCLE_1)
	s_or_b32 s5, s7, s5
	s_wait_xcnt 0x0
	s_and_not1_b32 exec_lo, exec_lo, s5
	s_cbranch_execnz .LBB2259_67
.LBB2259_72:
	s_or_b32 exec_lo, exec_lo, s5
	v_dual_add_nc_u32 v5, v10, v4 :: v_dual_mov_b32 v11, 0
	s_delay_alu instid0(VALU_DEP_1)
	v_or_b32_e32 v5, 0x80000000, v5
	global_store_b32 v[8:9], v5, off scope:SCOPE_DEV
	global_load_b64 v[6:7], v14, s[12:13] scale_offset
	s_wait_xcnt 0x1
	v_sub_nc_u64_e32 v[8:9], v[10:11], v[2:3]
	s_wait_loadcnt 0x0
	s_delay_alu instid0(VALU_DEP_1)
	v_add_nc_u64_e32 v[6:7], v[8:9], v[6:7]
	ds_store_b64 v1, v[6:7]
.LBB2259_73:
	s_wait_xcnt 0x0
	s_or_b32 exec_lo, exec_lo, s4
	v_mad_i32_i24 v5, v14, -6, v1
	s_mov_b32 s4, exec_lo
	s_wait_storecnt_dscnt 0x0
	s_barrier_signal -1
	s_barrier_wait -1
	v_cmpx_gt_u32_e64 s22, v14
	s_cbranch_execz .LBB2259_75
; %bb.74:
	ds_load_u16 v10, v5 offset:2048
	v_dual_mov_b32 v9, 0 :: v_dual_lshlrev_b32 v8, 1, v14
	s_wait_dscnt 0x0
	v_cmp_ne_u16_e64 s3, 0x7fff, v10
	s_delay_alu instid0(VALU_DEP_1) | instskip(SKIP_1) | instid1(VALU_DEP_2)
	v_cndmask_b32_e64 v6, 0xffff8000, v10, s3
	v_cmp_lt_i16_e64 s3, -1, v10
	v_and_b32_e32 v6, 0xffff, v6
	s_delay_alu instid0(VALU_DEP_2) | instskip(NEXT) | instid1(VALU_DEP_2)
	v_cndmask_b32_e64 v11, 0xffff8000, -1, s3
	v_lshrrev_b32_e32 v6, s20, v6
	s_delay_alu instid0(VALU_DEP_1) | instskip(NEXT) | instid1(VALU_DEP_1)
	v_and_b32_e32 v6, s29, v6
	v_lshlrev_b32_e32 v6, 3, v6
	ds_load_b64 v[6:7], v6
	s_wait_dscnt 0x0
	v_lshl_add_u64 v[6:7], v[6:7], 1, s[18:19]
	s_delay_alu instid0(VALU_DEP_1)
	v_add_nc_u64_e32 v[6:7], v[6:7], v[8:9]
	v_xor_b32_e32 v8, v11, v10
	global_store_b16 v[6:7], v8, off
.LBB2259_75:
	s_wait_xcnt 0x0
	s_or_b32 exec_lo, exec_lo, s4
	v_add_nc_u32_e32 v6, 0x200, v14
	s_mov_b32 s4, exec_lo
	s_delay_alu instid0(VALU_DEP_1)
	v_cmpx_gt_u32_e64 s22, v6
	s_cbranch_execz .LBB2259_77
; %bb.76:
	ds_load_u16 v10, v5 offset:3072
	v_dual_mov_b32 v9, 0 :: v_dual_lshlrev_b32 v8, 1, v14
	s_wait_dscnt 0x0
	v_cmp_ne_u16_e64 s3, 0x7fff, v10
	s_delay_alu instid0(VALU_DEP_1) | instskip(SKIP_1) | instid1(VALU_DEP_2)
	v_cndmask_b32_e64 v6, 0xffff8000, v10, s3
	v_cmp_lt_i16_e64 s3, -1, v10
	v_and_b32_e32 v6, 0xffff, v6
	s_delay_alu instid0(VALU_DEP_2) | instskip(NEXT) | instid1(VALU_DEP_2)
	v_cndmask_b32_e64 v11, 0xffff8000, -1, s3
	v_lshrrev_b32_e32 v6, s20, v6
	s_delay_alu instid0(VALU_DEP_1) | instskip(NEXT) | instid1(VALU_DEP_1)
	v_and_b32_e32 v6, s29, v6
	v_lshlrev_b32_e32 v6, 3, v6
	ds_load_b64 v[6:7], v6
	s_wait_dscnt 0x0
	v_lshl_add_u64 v[6:7], v[6:7], 1, s[18:19]
	s_delay_alu instid0(VALU_DEP_1)
	v_add_nc_u64_e32 v[6:7], v[6:7], v[8:9]
	v_xor_b32_e32 v8, v11, v10
	global_store_b16 v[6:7], v8, off offset:1024
.LBB2259_77:
	s_wait_xcnt 0x0
	s_or_b32 exec_lo, exec_lo, s4
	v_or_b32_e32 v6, 0x400, v14
	s_mov_b32 s4, exec_lo
	s_delay_alu instid0(VALU_DEP_1)
	v_cmpx_gt_u32_e64 s22, v6
	s_cbranch_execz .LBB2259_79
; %bb.78:
	ds_load_u16 v10, v5 offset:4096
	v_dual_mov_b32 v9, 0 :: v_dual_lshlrev_b32 v8, 1, v14
	s_wait_dscnt 0x0
	v_cmp_ne_u16_e64 s3, 0x7fff, v10
	s_delay_alu instid0(VALU_DEP_1) | instskip(SKIP_1) | instid1(VALU_DEP_2)
	v_cndmask_b32_e64 v6, 0xffff8000, v10, s3
	v_cmp_lt_i16_e64 s3, -1, v10
	v_and_b32_e32 v6, 0xffff, v6
	s_delay_alu instid0(VALU_DEP_2) | instskip(NEXT) | instid1(VALU_DEP_2)
	v_cndmask_b32_e64 v11, 0xffff8000, -1, s3
	v_lshrrev_b32_e32 v6, s20, v6
	s_delay_alu instid0(VALU_DEP_1) | instskip(NEXT) | instid1(VALU_DEP_1)
	v_and_b32_e32 v6, s29, v6
	v_lshlrev_b32_e32 v6, 3, v6
	ds_load_b64 v[6:7], v6
	s_wait_dscnt 0x0
	v_lshl_add_u64 v[6:7], v[6:7], 1, s[18:19]
	s_delay_alu instid0(VALU_DEP_1)
	v_add_nc_u64_e32 v[6:7], v[6:7], v[8:9]
	v_xor_b32_e32 v8, v11, v10
	global_store_b16 v[6:7], v8, off offset:2048
.LBB2259_79:
	s_wait_xcnt 0x0
	s_or_b32 exec_lo, exec_lo, s4
	v_add_nc_u32_e32 v6, 0x600, v14
	s_mov_b32 s4, exec_lo
	s_delay_alu instid0(VALU_DEP_1)
	v_cmpx_gt_u32_e64 s22, v6
	s_cbranch_execz .LBB2259_81
; %bb.80:
	ds_load_u16 v10, v5 offset:5120
	v_dual_mov_b32 v9, 0 :: v_dual_lshlrev_b32 v8, 1, v14
	s_wait_dscnt 0x0
	v_cmp_ne_u16_e64 s3, 0x7fff, v10
	s_delay_alu instid0(VALU_DEP_1) | instskip(SKIP_1) | instid1(VALU_DEP_2)
	v_cndmask_b32_e64 v6, 0xffff8000, v10, s3
	v_cmp_lt_i16_e64 s3, -1, v10
	v_and_b32_e32 v6, 0xffff, v6
	s_delay_alu instid0(VALU_DEP_2) | instskip(NEXT) | instid1(VALU_DEP_2)
	v_cndmask_b32_e64 v11, 0xffff8000, -1, s3
	v_lshrrev_b32_e32 v6, s20, v6
	s_delay_alu instid0(VALU_DEP_1) | instskip(NEXT) | instid1(VALU_DEP_1)
	v_and_b32_e32 v6, s29, v6
	v_lshlrev_b32_e32 v6, 3, v6
	ds_load_b64 v[6:7], v6
	s_wait_dscnt 0x0
	v_lshl_add_u64 v[6:7], v[6:7], 1, s[18:19]
	s_delay_alu instid0(VALU_DEP_1)
	v_add_nc_u64_e32 v[6:7], v[6:7], v[8:9]
	v_xor_b32_e32 v8, v11, v10
	global_store_b16 v[6:7], v8, off offset:3072
.LBB2259_81:
	s_wait_xcnt 0x0
	s_or_b32 exec_lo, exec_lo, s4
	v_or_b32_e32 v6, 0x800, v14
	s_mov_b32 s4, exec_lo
	s_delay_alu instid0(VALU_DEP_1)
	v_cmpx_gt_u32_e64 s22, v6
	s_cbranch_execz .LBB2259_83
; %bb.82:
	ds_load_u16 v10, v5 offset:6144
	v_dual_mov_b32 v9, 0 :: v_dual_lshlrev_b32 v8, 1, v14
	s_wait_dscnt 0x0
	v_cmp_ne_u16_e64 s3, 0x7fff, v10
	s_delay_alu instid0(VALU_DEP_1) | instskip(SKIP_1) | instid1(VALU_DEP_2)
	v_cndmask_b32_e64 v6, 0xffff8000, v10, s3
	v_cmp_lt_i16_e64 s3, -1, v10
	v_and_b32_e32 v6, 0xffff, v6
	s_delay_alu instid0(VALU_DEP_2) | instskip(NEXT) | instid1(VALU_DEP_2)
	v_cndmask_b32_e64 v11, 0xffff8000, -1, s3
	v_lshrrev_b32_e32 v6, s20, v6
	s_delay_alu instid0(VALU_DEP_1) | instskip(NEXT) | instid1(VALU_DEP_1)
	v_and_b32_e32 v6, s29, v6
	v_lshlrev_b32_e32 v6, 3, v6
	ds_load_b64 v[6:7], v6
	s_wait_dscnt 0x0
	v_lshl_add_u64 v[6:7], v[6:7], 1, s[18:19]
	s_delay_alu instid0(VALU_DEP_1)
	v_add_nc_u64_e32 v[6:7], v[6:7], v[8:9]
	v_xor_b32_e32 v8, v11, v10
	global_store_b16 v[6:7], v8, off offset:4096
.LBB2259_83:
	;; [unrolled: 60-line block ×3, first 2 shown]
	s_wait_xcnt 0x0
	s_or_b32 exec_lo, exec_lo, s4
	v_add_nc_u32_e32 v6, 0xe00, v14
	s_mov_b32 s4, exec_lo
	s_delay_alu instid0(VALU_DEP_1)
	v_cmpx_gt_u32_e64 s22, v6
	s_cbranch_execz .LBB2259_89
; %bb.88:
	ds_load_u16 v5, v5 offset:9216
	v_dual_mov_b32 v9, 0 :: v_dual_lshlrev_b32 v8, 1, v14
	s_wait_dscnt 0x0
	v_cmp_ne_u16_e64 s3, 0x7fff, v5
	s_delay_alu instid0(VALU_DEP_1) | instskip(SKIP_1) | instid1(VALU_DEP_2)
	v_cndmask_b32_e64 v6, 0xffff8000, v5, s3
	v_cmp_lt_i16_e64 s3, -1, v5
	v_and_b32_e32 v6, 0xffff, v6
	s_delay_alu instid0(VALU_DEP_2) | instskip(NEXT) | instid1(VALU_DEP_1)
	v_cndmask_b32_e64 v10, 0xffff8000, -1, s3
	v_dual_lshrrev_b32 v6, s20, v6 :: v_dual_bitop2_b32 v5, v10, v5 bitop3:0x14
	s_delay_alu instid0(VALU_DEP_1) | instskip(NEXT) | instid1(VALU_DEP_1)
	v_and_b32_e32 v6, s29, v6
	v_lshlrev_b32_e32 v6, 3, v6
	ds_load_b64 v[6:7], v6
	s_wait_dscnt 0x0
	v_lshl_add_u64 v[6:7], v[6:7], 1, s[18:19]
	s_delay_alu instid0(VALU_DEP_1)
	v_add_nc_u64_e32 v[6:7], v[6:7], v[8:9]
	global_store_b16 v[6:7], v5, off offset:7168
.LBB2259_89:
	s_wait_xcnt 0x0
	s_or_b32 exec_lo, exec_lo, s4
	v_or_b32_e32 v5, 0x1000, v14
	s_mov_b32 s4, exec_lo
	s_delay_alu instid0(VALU_DEP_1)
	v_cmpx_gt_u32_e64 s22, v5
	s_cbranch_execz .LBB2259_91
; %bb.90:
	v_lshlrev_b32_e32 v6, 1, v14
	ds_load_u16 v5, v6 offset:10240
	s_wait_dscnt 0x0
	v_cmp_ne_u16_e64 s3, 0x7fff, v5
	s_delay_alu instid0(VALU_DEP_1) | instskip(SKIP_1) | instid1(VALU_DEP_2)
	v_cndmask_b32_e64 v7, 0xffff8000, v5, s3
	v_cmp_lt_i16_e64 s3, -1, v5
	v_and_b32_e32 v7, 0xffff, v7
	s_delay_alu instid0(VALU_DEP_2) | instskip(NEXT) | instid1(VALU_DEP_1)
	v_cndmask_b32_e64 v10, 0xffff8000, -1, s3
	v_dual_lshrrev_b32 v7, s20, v7 :: v_dual_bitop2_b32 v5, v10, v5 bitop3:0x14
	s_delay_alu instid0(VALU_DEP_1) | instskip(NEXT) | instid1(VALU_DEP_1)
	v_and_b32_e32 v7, s29, v7
	v_lshlrev_b32_e32 v7, 3, v7
	ds_load_b64 v[8:9], v7
	v_mov_b32_e32 v7, 0
	s_wait_dscnt 0x0
	v_lshl_add_u64 v[8:9], v[8:9], 1, s[18:19]
	s_delay_alu instid0(VALU_DEP_1)
	v_add_nc_u64_e32 v[6:7], v[8:9], v[6:7]
	global_store_b16 v[6:7], v5, off offset:8192
.LBB2259_91:
	s_wait_xcnt 0x0
	s_or_b32 exec_lo, exec_lo, s4
	v_add_nc_u32_e32 v5, 0x1200, v14
	s_mov_b32 s4, exec_lo
	s_delay_alu instid0(VALU_DEP_1)
	v_cmpx_gt_u32_e64 s22, v5
	s_cbranch_execz .LBB2259_93
; %bb.92:
	v_lshlrev_b32_e32 v6, 1, v14
	ds_load_u16 v5, v6 offset:11264
	s_wait_dscnt 0x0
	v_cmp_ne_u16_e64 s3, 0x7fff, v5
	s_delay_alu instid0(VALU_DEP_1) | instskip(SKIP_1) | instid1(VALU_DEP_2)
	v_cndmask_b32_e64 v7, 0xffff8000, v5, s3
	v_cmp_lt_i16_e64 s3, -1, v5
	v_and_b32_e32 v7, 0xffff, v7
	s_delay_alu instid0(VALU_DEP_2) | instskip(NEXT) | instid1(VALU_DEP_1)
	v_cndmask_b32_e64 v10, 0xffff8000, -1, s3
	v_dual_lshrrev_b32 v7, s20, v7 :: v_dual_bitop2_b32 v5, v10, v5 bitop3:0x14
	s_delay_alu instid0(VALU_DEP_1) | instskip(NEXT) | instid1(VALU_DEP_1)
	v_and_b32_e32 v7, s29, v7
	v_lshlrev_b32_e32 v7, 3, v7
	ds_load_b64 v[8:9], v7
	v_mov_b32_e32 v7, 0
	s_wait_dscnt 0x0
	v_lshl_add_u64 v[8:9], v[8:9], 1, s[18:19]
	s_delay_alu instid0(VALU_DEP_1)
	v_add_nc_u64_e32 v[6:7], v[8:9], v[6:7]
	global_store_b16 v[6:7], v5, off offset:9216
.LBB2259_93:
	s_wait_xcnt 0x0
	s_or_b32 exec_lo, exec_lo, s4
	v_or_b32_e32 v5, 0x1400, v14
	s_mov_b32 s4, exec_lo
	s_delay_alu instid0(VALU_DEP_1)
	v_cmpx_gt_u32_e64 s22, v5
	s_cbranch_execz .LBB2259_95
; %bb.94:
	v_lshlrev_b32_e32 v6, 1, v14
	ds_load_u16 v5, v6 offset:12288
	s_wait_dscnt 0x0
	v_cmp_ne_u16_e64 s3, 0x7fff, v5
	s_delay_alu instid0(VALU_DEP_1) | instskip(SKIP_1) | instid1(VALU_DEP_2)
	v_cndmask_b32_e64 v7, 0xffff8000, v5, s3
	v_cmp_lt_i16_e64 s3, -1, v5
	v_and_b32_e32 v7, 0xffff, v7
	s_delay_alu instid0(VALU_DEP_2) | instskip(NEXT) | instid1(VALU_DEP_1)
	v_cndmask_b32_e64 v10, 0xffff8000, -1, s3
	v_dual_lshrrev_b32 v7, s20, v7 :: v_dual_bitop2_b32 v5, v10, v5 bitop3:0x14
	s_delay_alu instid0(VALU_DEP_1) | instskip(NEXT) | instid1(VALU_DEP_1)
	v_and_b32_e32 v7, s29, v7
	v_lshlrev_b32_e32 v7, 3, v7
	ds_load_b64 v[8:9], v7
	v_mov_b32_e32 v7, 0
	s_wait_dscnt 0x0
	v_lshl_add_u64 v[8:9], v[8:9], 1, s[18:19]
	s_delay_alu instid0(VALU_DEP_1)
	v_add_nc_u64_e32 v[6:7], v[8:9], v[6:7]
	global_store_b16 v[6:7], v5, off offset:10240
.LBB2259_95:
	s_wait_xcnt 0x0
	s_or_b32 exec_lo, exec_lo, s4
	v_add_nc_u32_e32 v5, 0x1600, v14
	s_mov_b32 s4, exec_lo
	s_delay_alu instid0(VALU_DEP_1)
	v_cmpx_gt_u32_e64 s22, v5
	s_cbranch_execz .LBB2259_97
; %bb.96:
	v_lshlrev_b32_e32 v6, 1, v14
	ds_load_u16 v5, v6 offset:13312
	s_wait_dscnt 0x0
	v_cmp_ne_u16_e64 s3, 0x7fff, v5
	s_delay_alu instid0(VALU_DEP_1) | instskip(SKIP_1) | instid1(VALU_DEP_2)
	v_cndmask_b32_e64 v7, 0xffff8000, v5, s3
	v_cmp_lt_i16_e64 s3, -1, v5
	v_and_b32_e32 v7, 0xffff, v7
	s_delay_alu instid0(VALU_DEP_2) | instskip(NEXT) | instid1(VALU_DEP_1)
	v_cndmask_b32_e64 v10, 0xffff8000, -1, s3
	v_dual_lshrrev_b32 v7, s20, v7 :: v_dual_bitop2_b32 v5, v10, v5 bitop3:0x14
	s_delay_alu instid0(VALU_DEP_1) | instskip(NEXT) | instid1(VALU_DEP_1)
	v_and_b32_e32 v7, s29, v7
	v_lshlrev_b32_e32 v7, 3, v7
	ds_load_b64 v[8:9], v7
	v_mov_b32_e32 v7, 0
	s_wait_dscnt 0x0
	v_lshl_add_u64 v[8:9], v[8:9], 1, s[18:19]
	s_delay_alu instid0(VALU_DEP_1)
	v_add_nc_u64_e32 v[6:7], v[8:9], v[6:7]
	global_store_b16 v[6:7], v5, off offset:11264
.LBB2259_97:
	s_wait_xcnt 0x0
	s_or_b32 exec_lo, exec_lo, s4
	s_add_co_i32 s25, s25, -1
	s_delay_alu instid0(SALU_CYCLE_1) | instskip(SKIP_2) | instid1(SALU_CYCLE_1)
	s_cmp_eq_u32 s23, s25
	s_cselect_b32 s3, -1, 0
	s_xor_b32 s4, vcc_lo, -1
	s_and_b32 s4, s4, s3
	s_delay_alu instid0(SALU_CYCLE_1)
	s_and_saveexec_b32 s3, s4
	s_cbranch_execz .LBB2259_99
; %bb.98:
	ds_load_b64 v[6:7], v1
	v_mov_b32_e32 v5, 0
	s_delay_alu instid0(VALU_DEP_1) | instskip(SKIP_1) | instid1(VALU_DEP_1)
	v_add_nc_u64_e32 v[2:3], v[2:3], v[4:5]
	s_wait_dscnt 0x0
	v_add_nc_u64_e32 v[2:3], v[2:3], v[6:7]
	global_store_b64 v14, v[2:3], s[14:15] scale_offset
.LBB2259_99:
	s_wait_xcnt 0x0
	s_or_b32 exec_lo, exec_lo, s3
	s_mov_b32 s4, 0
.LBB2259_100:
	s_delay_alu instid0(SALU_CYCLE_1)
	s_and_b32 vcc_lo, exec_lo, s4
	s_cbranch_vccz .LBB2259_147
; %bb.101:
	s_mov_b32 s25, 0
	v_dual_mov_b32 v9, 0 :: v_dual_lshlrev_b32 v8, 1, v15
	s_lshl_b64 s[4:5], s[24:25], 1
	v_mul_u32_u24_e32 v1, 12, v16
	s_add_nc_u64 s[4:5], s[16:17], s[4:5]
	v_bfe_u32 v12, v0, 10, 10
	v_add_nc_u64_e32 v[2:3], s[4:5], v[8:9]
	v_bfe_u32 v0, v0, 20, 10
	v_lshlrev_b32_e32 v8, 1, v1
	s_delay_alu instid0(VALU_DEP_1)
	v_add_nc_u64_e32 v[18:19], v[2:3], v[8:9]
	s_clause 0xb
	global_load_u16 v8, v[18:19], off
	global_load_u16 v10, v[18:19], off offset:64
	global_load_u16 v13, v[18:19], off offset:128
	global_load_u16 v20, v[18:19], off offset:192
	global_load_u16 v24, v[18:19], off offset:256
	global_load_u16 v7, v[18:19], off offset:320
	global_load_u16 v6, v[18:19], off offset:384
	global_load_u16 v5, v[18:19], off offset:448
	global_load_u16 v4, v[18:19], off offset:512
	global_load_u16 v3, v[18:19], off offset:576
	global_load_u16 v2, v[18:19], off offset:640
	global_load_u16 v1, v[18:19], off offset:704
	s_clause 0x1
	s_load_b32 s8, s[0:1], 0x58
	s_load_u16 s3, s[0:1], 0x66
	s_wait_xcnt 0x0
	s_bfe_u32 s0, ttmp6, 0x4000c
	s_and_b32 s1, ttmp6, 15
	s_add_co_i32 s0, s0, 1
	s_delay_alu instid0(SALU_CYCLE_1) | instskip(NEXT) | instid1(SALU_CYCLE_1)
	s_mul_i32 s0, ttmp9, s0
	s_add_co_i32 s1, s1, s0
	s_cmp_eq_u32 s28, 0
	s_cselect_b32 s0, ttmp9, s1
	s_wait_kmcnt 0x0
	s_cmp_lt_u32 s0, s8
	v_mad_u32_u24 v0, v0, s3, v12
	s_cselect_b32 s24, 12, 18
	s_lshl_b32 s9, -1, s21
	s_add_nc_u64 s[0:1], s[26:27], s[24:25]
	s_load_u16 s16, s[0:1], 0x0
	s_wait_kmcnt 0x0
	v_mad_u32 v0, v0, s16, v14
	s_delay_alu instid0(VALU_DEP_1) | instskip(NEXT) | instid1(VALU_DEP_1)
	v_lshrrev_b32_e32 v0, 5, v0
	v_lshlrev_b32_e32 v0, 2, v0
	s_wait_loadcnt 0xb
	v_cmp_lt_i16_e32 vcc_lo, -1, v8
	v_cndmask_b32_e64 v11, -1, 0xffff8000, vcc_lo
	s_delay_alu instid0(VALU_DEP_1) | instskip(NEXT) | instid1(VALU_DEP_1)
	v_xor_b32_e32 v8, v11, v8
	v_cmp_ne_u16_e32 vcc_lo, 0x7fff, v8
	v_cndmask_b32_e32 v11, 0xffff8000, v8, vcc_lo
	s_delay_alu instid0(VALU_DEP_1) | instskip(NEXT) | instid1(VALU_DEP_1)
	v_and_b32_e32 v11, 0xffff, v11
	v_lshrrev_b32_e32 v11, s20, v11
	s_delay_alu instid0(VALU_DEP_1) | instskip(SKIP_2) | instid1(VALU_DEP_2)
	v_bitop3_b32 v12, v11, 1, s9 bitop3:0x40
	v_bitop3_b32 v18, v11, s9, v11 bitop3:0x30
	s_not_b32 s9, s9
	v_add_co_u32 v11, s0, v12, -1
	s_delay_alu instid0(VALU_DEP_1) | instskip(NEXT) | instid1(VALU_DEP_3)
	v_cndmask_b32_e64 v12, 0, 1, s0
	v_dual_lshlrev_b32 v17, 30, v18 :: v_dual_lshlrev_b32 v19, 29, v18
	v_dual_lshlrev_b32 v21, 28, v18 :: v_dual_lshlrev_b32 v22, 27, v18
	s_delay_alu instid0(VALU_DEP_3) | instskip(NEXT) | instid1(VALU_DEP_3)
	v_cmp_ne_u32_e32 vcc_lo, 0, v12
	v_not_b32_e32 v12, v17
	v_dual_lshlrev_b32 v23, 26, v18 :: v_dual_lshlrev_b32 v25, 25, v18
	v_lshlrev_b32_e32 v26, 24, v18
	v_cmp_gt_i32_e64 s0, 0, v17
	v_cmp_gt_i32_e64 s1, 0, v19
	v_not_b32_e32 v17, v19
	v_not_b32_e32 v19, v21
	v_ashrrev_i32_e32 v12, 31, v12
	v_cmp_gt_i32_e64 s3, 0, v21
	v_cmp_gt_i32_e64 s4, 0, v22
	v_not_b32_e32 v21, v22
	v_not_b32_e32 v22, v23
	v_dual_ashrrev_i32 v17, 31, v17 :: v_dual_bitop2_b32 v11, vcc_lo, v11 bitop3:0x14
	v_dual_ashrrev_i32 v19, 31, v19 :: v_dual_bitop2_b32 v12, s0, v12 bitop3:0x14
	v_cmp_gt_i32_e64 s5, 0, v23
	v_cmp_gt_i32_e64 s6, 0, v25
	v_not_b32_e32 v23, v25
	v_not_b32_e32 v25, v26
	v_dual_ashrrev_i32 v21, 31, v21 :: v_dual_ashrrev_i32 v22, 31, v22
	v_xor_b32_e32 v17, s1, v17
	v_xor_b32_e32 v19, s3, v19
	v_bitop3_b32 v11, v11, v12, exec_lo bitop3:0x80
	v_cmp_gt_i32_e64 s7, 0, v26
	v_dual_ashrrev_i32 v12, 31, v23 :: v_dual_ashrrev_i32 v23, 31, v25
	v_xor_b32_e32 v21, s4, v21
	v_xor_b32_e32 v22, s5, v22
	v_bitop3_b32 v11, v11, v19, v17 bitop3:0x80
	s_delay_alu instid0(VALU_DEP_4) | instskip(SKIP_1) | instid1(VALU_DEP_3)
	v_xor_b32_e32 v12, s6, v12
	v_xor_b32_e32 v17, s7, v23
	v_bitop3_b32 v19, v11, v22, v21 bitop3:0x80
	v_mul_u32_u24_e32 v11, 36, v14
	ds_store_2addr_b32 v11, v9, v9 offset0:16 offset1:17
	ds_store_2addr_b32 v11, v9, v9 offset0:18 offset1:19
	ds_store_2addr_b32 v11, v9, v9 offset0:20 offset1:21
	ds_store_2addr_b32 v11, v9, v9 offset0:22 offset1:23
	v_bitop3_b32 v17, v19, v17, v12 bitop3:0x80
	ds_store_b32 v11, v9 offset:96
	v_mad_u32_u24 v12, 0x44, v18, v0
	s_wait_storecnt 0x0
	s_wait_loadcnt_dscnt 0x0
	s_barrier_signal -1
	v_mbcnt_lo_u32_b32 v9, v17, 0
	v_cmp_ne_u32_e64 s0, 0, v17
	s_barrier_wait -1
	s_delay_alu instid0(VALU_DEP_2) | instskip(SKIP_1) | instid1(SALU_CYCLE_1)
	v_cmp_eq_u32_e32 vcc_lo, 0, v9
	; wave barrier
	s_and_b32 s1, s0, vcc_lo
	s_and_saveexec_b32 s0, s1
; %bb.102:
	v_bcnt_u32_b32 v17, v17, 0
	ds_store_b32 v12, v17 offset:64
; %bb.103:
	s_or_b32 exec_lo, exec_lo, s0
	v_cmp_lt_i16_e32 vcc_lo, -1, v10
	; wave barrier
	v_cndmask_b32_e64 v17, -1, 0xffff8000, vcc_lo
	s_delay_alu instid0(VALU_DEP_1) | instskip(NEXT) | instid1(VALU_DEP_1)
	v_xor_b32_e32 v10, v17, v10
	v_cmp_ne_u16_e32 vcc_lo, 0x7fff, v10
	v_cndmask_b32_e32 v17, 0xffff8000, v10, vcc_lo
	s_delay_alu instid0(VALU_DEP_1) | instskip(NEXT) | instid1(VALU_DEP_1)
	v_and_b32_e32 v17, 0xffff, v17
	v_lshrrev_b32_e32 v17, s20, v17
	s_delay_alu instid0(VALU_DEP_1) | instskip(SKIP_1) | instid1(VALU_DEP_2)
	v_bitop3_b32 v18, v17, 1, s9 bitop3:0x80
	v_and_b32_e32 v17, s9, v17
	v_add_co_u32 v18, s0, v18, -1
	s_delay_alu instid0(VALU_DEP_1) | instskip(NEXT) | instid1(VALU_DEP_3)
	v_cndmask_b32_e64 v19, 0, 1, s0
	v_lshlrev_b32_e32 v21, 30, v17
	s_delay_alu instid0(VALU_DEP_2) | instskip(NEXT) | instid1(VALU_DEP_2)
	v_cmp_ne_u32_e32 vcc_lo, 0, v19
	v_not_b32_e32 v19, v21
	s_delay_alu instid0(VALU_DEP_1) | instskip(SKIP_4) | instid1(VALU_DEP_4)
	v_dual_ashrrev_i32 v19, 31, v19 :: v_dual_bitop2_b32 v18, vcc_lo, v18 bitop3:0x14
	v_dual_lshlrev_b32 v22, 29, v17 :: v_dual_lshlrev_b32 v23, 28, v17
	v_dual_lshlrev_b32 v25, 27, v17 :: v_dual_lshlrev_b32 v26, 26, v17
	v_lshlrev_b32_e32 v27, 25, v17
	v_cmp_gt_i32_e64 s0, 0, v21
	v_cmp_gt_i32_e64 s1, 0, v22
	v_not_b32_e32 v21, v22
	v_not_b32_e32 v22, v23
	v_lshlrev_b32_e32 v28, 24, v17
	v_cmp_gt_i32_e64 s3, 0, v23
	v_cmp_gt_i32_e64 s4, 0, v25
	v_not_b32_e32 v23, v25
	v_not_b32_e32 v25, v26
	v_dual_ashrrev_i32 v21, 31, v21 :: v_dual_ashrrev_i32 v22, 31, v22
	v_xor_b32_e32 v19, s0, v19
	v_cmp_gt_i32_e64 s5, 0, v26
	v_cmp_gt_i32_e64 s6, 0, v27
	v_not_b32_e32 v26, v27
	v_not_b32_e32 v27, v28
	v_dual_ashrrev_i32 v23, 31, v23 :: v_dual_bitop2_b32 v21, s1, v21 bitop3:0x14
	v_dual_ashrrev_i32 v25, 31, v25 :: v_dual_bitop2_b32 v22, s3, v22 bitop3:0x14
	s_delay_alu instid0(VALU_DEP_3) | instskip(SKIP_4) | instid1(VALU_DEP_4)
	v_ashrrev_i32_e32 v27, 31, v27
	v_bitop3_b32 v18, v18, v19, exec_lo bitop3:0x80
	v_cmp_gt_i32_e64 s7, 0, v28
	v_dual_ashrrev_i32 v26, 31, v26 :: v_dual_bitop2_b32 v23, s4, v23 bitop3:0x14
	v_xor_b32_e32 v25, s5, v25
	v_bitop3_b32 v18, v18, v22, v21 bitop3:0x80
	v_mad_u32_u24 v19, 0x44, v17, v0
	s_delay_alu instid0(VALU_DEP_4) | instskip(SKIP_1) | instid1(VALU_DEP_4)
	v_xor_b32_e32 v21, s6, v26
	v_xor_b32_e32 v22, s7, v27
	v_bitop3_b32 v18, v18, v25, v23 bitop3:0x80
	ds_load_b32 v17, v19 offset:64
	; wave barrier
	v_bitop3_b32 v21, v18, v22, v21 bitop3:0x80
	s_delay_alu instid0(VALU_DEP_1) | instskip(SKIP_1) | instid1(VALU_DEP_2)
	v_mbcnt_lo_u32_b32 v18, v21, 0
	v_cmp_ne_u32_e64 s0, 0, v21
	v_cmp_eq_u32_e32 vcc_lo, 0, v18
	s_and_b32 s1, s0, vcc_lo
	s_delay_alu instid0(SALU_CYCLE_1)
	s_and_saveexec_b32 s0, s1
	s_cbranch_execz .LBB2259_105
; %bb.104:
	s_wait_dscnt 0x0
	v_bcnt_u32_b32 v21, v21, v17
	ds_store_b32 v19, v21 offset:64
.LBB2259_105:
	s_or_b32 exec_lo, exec_lo, s0
	v_cmp_lt_i16_e32 vcc_lo, -1, v13
	; wave barrier
	v_cndmask_b32_e64 v21, -1, 0xffff8000, vcc_lo
	s_delay_alu instid0(VALU_DEP_1) | instskip(NEXT) | instid1(VALU_DEP_1)
	v_xor_b32_e32 v13, v21, v13
	v_cmp_ne_u16_e32 vcc_lo, 0x7fff, v13
	v_cndmask_b32_e32 v21, 0xffff8000, v13, vcc_lo
	s_delay_alu instid0(VALU_DEP_1) | instskip(NEXT) | instid1(VALU_DEP_1)
	v_and_b32_e32 v21, 0xffff, v21
	v_lshrrev_b32_e32 v21, s20, v21
	s_delay_alu instid0(VALU_DEP_1) | instskip(NEXT) | instid1(VALU_DEP_1)
	v_bitop3_b32 v22, v21, 1, s9 bitop3:0x80
	v_add_co_u32 v22, s0, v22, -1
	s_delay_alu instid0(VALU_DEP_1) | instskip(NEXT) | instid1(VALU_DEP_1)
	v_cndmask_b32_e64 v23, 0, 1, s0
	v_cmp_ne_u32_e32 vcc_lo, 0, v23
	s_delay_alu instid0(VALU_DEP_3) | instskip(SKIP_1) | instid1(VALU_DEP_1)
	v_xor_b32_e32 v22, vcc_lo, v22
	v_and_b32_e32 v21, s9, v21
	v_dual_lshlrev_b32 v25, 30, v21 :: v_dual_lshlrev_b32 v26, 29, v21
	v_dual_lshlrev_b32 v27, 28, v21 :: v_dual_lshlrev_b32 v28, 27, v21
	s_delay_alu instid0(VALU_DEP_2) | instskip(SKIP_1) | instid1(VALU_DEP_4)
	v_cmp_gt_i32_e64 s0, 0, v25
	v_not_b32_e32 v23, v25
	v_cmp_gt_i32_e64 s1, 0, v26
	v_not_b32_e32 v25, v26
	;; [unrolled: 2-line block ×3, first 2 shown]
	v_not_b32_e32 v27, v28
	v_ashrrev_i32_e32 v23, 31, v23
	v_cmp_gt_i32_e64 s4, 0, v28
	s_delay_alu instid0(VALU_DEP_3) | instskip(SKIP_1) | instid1(VALU_DEP_4)
	v_dual_ashrrev_i32 v26, 31, v26 :: v_dual_ashrrev_i32 v27, 31, v27
	v_dual_lshlrev_b32 v29, 26, v21 :: v_dual_lshlrev_b32 v30, 25, v21
	v_dual_lshlrev_b32 v31, 24, v21 :: v_dual_bitop2_b32 v23, s0, v23 bitop3:0x14
	s_delay_alu instid0(VALU_DEP_3) | instskip(NEXT) | instid1(VALU_DEP_3)
	v_xor_b32_e32 v27, s4, v27
	v_not_b32_e32 v28, v29
	v_ashrrev_i32_e32 v25, 31, v25
	v_cmp_gt_i32_e64 s5, 0, v29
	v_cmp_gt_i32_e64 s6, 0, v30
	v_not_b32_e32 v29, v30
	v_not_b32_e32 v30, v31
	v_dual_ashrrev_i32 v28, 31, v28 :: v_dual_bitop2_b32 v25, s1, v25 bitop3:0x14
	s_delay_alu instid0(VALU_DEP_3) | instskip(SKIP_2) | instid1(VALU_DEP_4)
	v_dual_ashrrev_i32 v29, 31, v29 :: v_dual_bitop2_b32 v26, s3, v26 bitop3:0x14
	v_bitop3_b32 v22, v22, v23, exec_lo bitop3:0x80
	v_cmp_gt_i32_e64 s7, 0, v31
	v_dual_ashrrev_i32 v30, 31, v30 :: v_dual_bitop2_b32 v28, s5, v28 bitop3:0x14
	v_mad_u32_u24 v23, 0x44, v21, v0
	s_delay_alu instid0(VALU_DEP_4) | instskip(SKIP_1) | instid1(VALU_DEP_4)
	v_bitop3_b32 v22, v22, v26, v25 bitop3:0x80
	v_xor_b32_e32 v25, s6, v29
	v_xor_b32_e32 v26, s7, v30
	ds_load_b32 v21, v23 offset:64
	v_bitop3_b32 v22, v22, v28, v27 bitop3:0x80
	; wave barrier
	s_delay_alu instid0(VALU_DEP_1) | instskip(NEXT) | instid1(VALU_DEP_1)
	v_bitop3_b32 v25, v22, v26, v25 bitop3:0x80
	v_mbcnt_lo_u32_b32 v22, v25, 0
	v_cmp_ne_u32_e64 s0, 0, v25
	s_delay_alu instid0(VALU_DEP_2) | instskip(SKIP_1) | instid1(SALU_CYCLE_1)
	v_cmp_eq_u32_e32 vcc_lo, 0, v22
	s_and_b32 s1, s0, vcc_lo
	s_and_saveexec_b32 s0, s1
	s_cbranch_execz .LBB2259_107
; %bb.106:
	s_wait_dscnt 0x0
	v_bcnt_u32_b32 v25, v25, v21
	ds_store_b32 v23, v25 offset:64
.LBB2259_107:
	s_or_b32 exec_lo, exec_lo, s0
	v_cmp_lt_i16_e32 vcc_lo, -1, v20
	; wave barrier
	v_cndmask_b32_e64 v25, -1, 0xffff8000, vcc_lo
	s_delay_alu instid0(VALU_DEP_1) | instskip(NEXT) | instid1(VALU_DEP_1)
	v_xor_b32_e32 v20, v25, v20
	v_cmp_ne_u16_e32 vcc_lo, 0x7fff, v20
	v_cndmask_b32_e32 v25, 0xffff8000, v20, vcc_lo
	s_delay_alu instid0(VALU_DEP_1) | instskip(NEXT) | instid1(VALU_DEP_1)
	v_and_b32_e32 v25, 0xffff, v25
	v_lshrrev_b32_e32 v25, s20, v25
	s_delay_alu instid0(VALU_DEP_1) | instskip(SKIP_1) | instid1(VALU_DEP_2)
	v_bitop3_b32 v26, v25, 1, s9 bitop3:0x80
	v_and_b32_e32 v25, s9, v25
	v_add_co_u32 v26, s0, v26, -1
	s_delay_alu instid0(VALU_DEP_1) | instskip(NEXT) | instid1(VALU_DEP_3)
	v_cndmask_b32_e64 v27, 0, 1, s0
	v_lshlrev_b32_e32 v28, 30, v25
	s_delay_alu instid0(VALU_DEP_2) | instskip(NEXT) | instid1(VALU_DEP_2)
	v_cmp_ne_u32_e32 vcc_lo, 0, v27
	v_not_b32_e32 v27, v28
	s_delay_alu instid0(VALU_DEP_1) | instskip(SKIP_4) | instid1(VALU_DEP_4)
	v_dual_ashrrev_i32 v27, 31, v27 :: v_dual_bitop2_b32 v26, vcc_lo, v26 bitop3:0x14
	v_dual_lshlrev_b32 v29, 29, v25 :: v_dual_lshlrev_b32 v30, 28, v25
	v_dual_lshlrev_b32 v31, 27, v25 :: v_dual_lshlrev_b32 v32, 26, v25
	v_lshlrev_b32_e32 v33, 25, v25
	v_cmp_gt_i32_e64 s0, 0, v28
	v_cmp_gt_i32_e64 s1, 0, v29
	v_not_b32_e32 v28, v29
	v_not_b32_e32 v29, v30
	v_lshlrev_b32_e32 v34, 24, v25
	v_cmp_gt_i32_e64 s3, 0, v30
	v_cmp_gt_i32_e64 s4, 0, v31
	v_not_b32_e32 v30, v31
	v_cmp_gt_i32_e64 s5, 0, v32
	v_not_b32_e32 v31, v32
	v_not_b32_e32 v32, v33
	v_dual_ashrrev_i32 v28, 31, v28 :: v_dual_ashrrev_i32 v29, 31, v29
	v_xor_b32_e32 v27, s0, v27
	v_cmp_gt_i32_e64 s6, 0, v33
	v_not_b32_e32 v33, v34
	v_dual_ashrrev_i32 v30, 31, v30 :: v_dual_ashrrev_i32 v31, 31, v31
	v_xor_b32_e32 v28, s1, v28
	v_dual_ashrrev_i32 v32, 31, v32 :: v_dual_bitop2_b32 v29, s3, v29 bitop3:0x14
	v_bitop3_b32 v26, v26, v27, exec_lo bitop3:0x80
	v_cmp_gt_i32_e64 s7, 0, v34
	v_dual_ashrrev_i32 v33, 31, v33 :: v_dual_bitop2_b32 v30, s4, v30 bitop3:0x14
	v_xor_b32_e32 v31, s5, v31
	s_delay_alu instid0(VALU_DEP_4) | instskip(SKIP_3) | instid1(VALU_DEP_4)
	v_bitop3_b32 v26, v26, v29, v28 bitop3:0x80
	v_mad_u32_u24 v27, 0x44, v25, v0
	v_xor_b32_e32 v28, s6, v32
	v_xor_b32_e32 v29, s7, v33
	v_bitop3_b32 v26, v26, v31, v30 bitop3:0x80
	ds_load_b32 v25, v27 offset:64
	; wave barrier
	v_bitop3_b32 v28, v26, v29, v28 bitop3:0x80
	s_delay_alu instid0(VALU_DEP_1) | instskip(SKIP_1) | instid1(VALU_DEP_2)
	v_mbcnt_lo_u32_b32 v26, v28, 0
	v_cmp_ne_u32_e64 s0, 0, v28
	v_cmp_eq_u32_e32 vcc_lo, 0, v26
	s_and_b32 s1, s0, vcc_lo
	s_delay_alu instid0(SALU_CYCLE_1)
	s_and_saveexec_b32 s0, s1
	s_cbranch_execz .LBB2259_109
; %bb.108:
	s_wait_dscnt 0x0
	v_bcnt_u32_b32 v28, v28, v25
	ds_store_b32 v27, v28 offset:64
.LBB2259_109:
	s_or_b32 exec_lo, exec_lo, s0
	v_cmp_lt_i16_e32 vcc_lo, -1, v24
	; wave barrier
	v_cndmask_b32_e64 v28, -1, 0xffff8000, vcc_lo
	s_delay_alu instid0(VALU_DEP_1) | instskip(NEXT) | instid1(VALU_DEP_1)
	v_xor_b32_e32 v24, v28, v24
	v_cmp_ne_u16_e32 vcc_lo, 0x7fff, v24
	v_cndmask_b32_e32 v28, 0xffff8000, v24, vcc_lo
	s_delay_alu instid0(VALU_DEP_1) | instskip(NEXT) | instid1(VALU_DEP_1)
	v_and_b32_e32 v28, 0xffff, v28
	v_lshrrev_b32_e32 v28, s20, v28
	s_delay_alu instid0(VALU_DEP_1) | instskip(NEXT) | instid1(VALU_DEP_1)
	v_bitop3_b32 v29, v28, 1, s9 bitop3:0x80
	v_add_co_u32 v29, s0, v29, -1
	s_delay_alu instid0(VALU_DEP_1) | instskip(NEXT) | instid1(VALU_DEP_1)
	v_cndmask_b32_e64 v30, 0, 1, s0
	v_cmp_ne_u32_e32 vcc_lo, 0, v30
	s_delay_alu instid0(VALU_DEP_3) | instskip(SKIP_1) | instid1(VALU_DEP_1)
	v_xor_b32_e32 v29, vcc_lo, v29
	v_and_b32_e32 v28, s9, v28
	v_dual_lshlrev_b32 v31, 30, v28 :: v_dual_lshlrev_b32 v32, 29, v28
	v_dual_lshlrev_b32 v33, 28, v28 :: v_dual_lshlrev_b32 v34, 27, v28
	s_delay_alu instid0(VALU_DEP_2) | instskip(SKIP_1) | instid1(VALU_DEP_4)
	v_cmp_gt_i32_e64 s0, 0, v31
	v_not_b32_e32 v30, v31
	v_cmp_gt_i32_e64 s1, 0, v32
	v_not_b32_e32 v31, v32
	;; [unrolled: 2-line block ×3, first 2 shown]
	v_not_b32_e32 v33, v34
	v_ashrrev_i32_e32 v30, 31, v30
	v_cmp_gt_i32_e64 s4, 0, v34
	s_delay_alu instid0(VALU_DEP_3) | instskip(SKIP_1) | instid1(VALU_DEP_4)
	v_dual_ashrrev_i32 v31, 31, v31 :: v_dual_ashrrev_i32 v33, 31, v33
	v_dual_lshlrev_b32 v35, 26, v28 :: v_dual_lshlrev_b32 v36, 25, v28
	v_dual_lshlrev_b32 v37, 24, v28 :: v_dual_bitop2_b32 v30, s0, v30 bitop3:0x14
	s_delay_alu instid0(VALU_DEP_3) | instskip(NEXT) | instid1(VALU_DEP_3)
	v_xor_b32_e32 v33, s4, v33
	v_not_b32_e32 v34, v35
	v_ashrrev_i32_e32 v32, 31, v32
	v_cmp_gt_i32_e64 s5, 0, v35
	v_cmp_gt_i32_e64 s6, 0, v36
	v_not_b32_e32 v35, v36
	v_not_b32_e32 v36, v37
	v_dual_ashrrev_i32 v34, 31, v34 :: v_dual_bitop2_b32 v31, s1, v31 bitop3:0x14
	v_xor_b32_e32 v32, s3, v32
	v_bitop3_b32 v29, v29, v30, exec_lo bitop3:0x80
	v_cmp_gt_i32_e64 s7, 0, v37
	v_dual_ashrrev_i32 v30, 31, v35 :: v_dual_ashrrev_i32 v35, 31, v36
	v_xor_b32_e32 v34, s5, v34
	s_delay_alu instid0(VALU_DEP_4) | instskip(SKIP_1) | instid1(VALU_DEP_4)
	v_bitop3_b32 v29, v29, v32, v31 bitop3:0x80
	v_mad_u32_u24 v31, 0x44, v28, v0
	v_xor_b32_e32 v30, s6, v30
	v_xor_b32_e32 v32, s7, v35
	s_delay_alu instid0(VALU_DEP_4) | instskip(SKIP_2) | instid1(VALU_DEP_1)
	v_bitop3_b32 v29, v29, v34, v33 bitop3:0x80
	ds_load_b32 v28, v31 offset:64
	; wave barrier
	v_bitop3_b32 v29, v29, v32, v30 bitop3:0x80
	v_mbcnt_lo_u32_b32 v30, v29, 0
	v_cmp_ne_u32_e64 s0, 0, v29
	s_delay_alu instid0(VALU_DEP_2) | instskip(SKIP_1) | instid1(SALU_CYCLE_1)
	v_cmp_eq_u32_e32 vcc_lo, 0, v30
	s_and_b32 s1, s0, vcc_lo
	s_and_saveexec_b32 s0, s1
	s_cbranch_execz .LBB2259_111
; %bb.110:
	s_wait_dscnt 0x0
	v_bcnt_u32_b32 v29, v29, v28
	ds_store_b32 v31, v29 offset:64
.LBB2259_111:
	s_or_b32 exec_lo, exec_lo, s0
	v_cmp_lt_i16_e32 vcc_lo, -1, v7
	; wave barrier
	v_cndmask_b32_e64 v29, -1, 0xffff8000, vcc_lo
	s_delay_alu instid0(VALU_DEP_1) | instskip(NEXT) | instid1(VALU_DEP_1)
	v_xor_b32_e32 v29, v29, v7
	v_cmp_ne_u16_e32 vcc_lo, 0x7fff, v29
	v_cndmask_b32_e32 v7, 0xffff8000, v29, vcc_lo
	s_delay_alu instid0(VALU_DEP_1) | instskip(NEXT) | instid1(VALU_DEP_1)
	v_and_b32_e32 v7, 0xffff, v7
	v_lshrrev_b32_e32 v7, s20, v7
	s_delay_alu instid0(VALU_DEP_1) | instskip(SKIP_1) | instid1(VALU_DEP_2)
	v_bitop3_b32 v32, v7, 1, s9 bitop3:0x80
	v_and_b32_e32 v7, s9, v7
	v_add_co_u32 v32, s0, v32, -1
	s_delay_alu instid0(VALU_DEP_1) | instskip(NEXT) | instid1(VALU_DEP_3)
	v_cndmask_b32_e64 v33, 0, 1, s0
	v_lshlrev_b32_e32 v34, 30, v7
	s_delay_alu instid0(VALU_DEP_2) | instskip(NEXT) | instid1(VALU_DEP_2)
	v_cmp_ne_u32_e32 vcc_lo, 0, v33
	v_not_b32_e32 v33, v34
	s_delay_alu instid0(VALU_DEP_1) | instskip(SKIP_4) | instid1(VALU_DEP_4)
	v_dual_ashrrev_i32 v33, 31, v33 :: v_dual_bitop2_b32 v32, vcc_lo, v32 bitop3:0x14
	v_dual_lshlrev_b32 v35, 29, v7 :: v_dual_lshlrev_b32 v36, 28, v7
	v_dual_lshlrev_b32 v37, 27, v7 :: v_dual_lshlrev_b32 v38, 26, v7
	v_lshlrev_b32_e32 v39, 25, v7
	v_cmp_gt_i32_e64 s0, 0, v34
	v_cmp_gt_i32_e64 s1, 0, v35
	v_not_b32_e32 v34, v35
	v_not_b32_e32 v35, v36
	v_lshlrev_b32_e32 v40, 24, v7
	v_cmp_gt_i32_e64 s3, 0, v36
	v_cmp_gt_i32_e64 s4, 0, v37
	v_not_b32_e32 v36, v37
	v_not_b32_e32 v37, v38
	v_dual_ashrrev_i32 v34, 31, v34 :: v_dual_ashrrev_i32 v35, 31, v35
	v_xor_b32_e32 v33, s0, v33
	v_cmp_gt_i32_e64 s5, 0, v38
	v_cmp_gt_i32_e64 s6, 0, v39
	v_not_b32_e32 v38, v39
	v_not_b32_e32 v39, v40
	v_dual_ashrrev_i32 v36, 31, v36 :: v_dual_ashrrev_i32 v37, 31, v37
	v_xor_b32_e32 v34, s1, v34
	v_xor_b32_e32 v35, s3, v35
	v_bitop3_b32 v32, v32, v33, exec_lo bitop3:0x80
	v_cmp_gt_i32_e64 s7, 0, v40
	v_dual_ashrrev_i32 v33, 31, v38 :: v_dual_ashrrev_i32 v38, 31, v39
	v_xor_b32_e32 v36, s4, v36
	v_xor_b32_e32 v37, s5, v37
	v_bitop3_b32 v32, v32, v35, v34 bitop3:0x80
	v_mad_u32_u24 v35, 0x44, v7, v0
	v_xor_b32_e32 v7, s6, v33
	v_xor_b32_e32 v33, s7, v38
	s_delay_alu instid0(VALU_DEP_4) | instskip(SKIP_2) | instid1(VALU_DEP_1)
	v_bitop3_b32 v34, v32, v37, v36 bitop3:0x80
	ds_load_b32 v32, v35 offset:64
	; wave barrier
	v_bitop3_b32 v7, v34, v33, v7 bitop3:0x80
	v_mbcnt_lo_u32_b32 v33, v7, 0
	v_cmp_ne_u32_e64 s0, 0, v7
	s_delay_alu instid0(VALU_DEP_2) | instskip(SKIP_1) | instid1(SALU_CYCLE_1)
	v_cmp_eq_u32_e32 vcc_lo, 0, v33
	s_and_b32 s1, s0, vcc_lo
	s_and_saveexec_b32 s0, s1
	s_cbranch_execz .LBB2259_113
; %bb.112:
	s_wait_dscnt 0x0
	v_bcnt_u32_b32 v7, v7, v32
	ds_store_b32 v35, v7 offset:64
.LBB2259_113:
	s_or_b32 exec_lo, exec_lo, s0
	v_cmp_lt_i16_e32 vcc_lo, -1, v6
	; wave barrier
	v_cndmask_b32_e64 v7, -1, 0xffff8000, vcc_lo
	s_delay_alu instid0(VALU_DEP_1) | instskip(NEXT) | instid1(VALU_DEP_1)
	v_xor_b32_e32 v34, v7, v6
	v_cmp_ne_u16_e32 vcc_lo, 0x7fff, v34
	v_cndmask_b32_e32 v6, 0xffff8000, v34, vcc_lo
	s_delay_alu instid0(VALU_DEP_1) | instskip(NEXT) | instid1(VALU_DEP_1)
	v_and_b32_e32 v6, 0xffff, v6
	v_lshrrev_b32_e32 v6, s20, v6
	s_delay_alu instid0(VALU_DEP_1) | instskip(SKIP_1) | instid1(VALU_DEP_2)
	v_bitop3_b32 v7, v6, 1, s9 bitop3:0x80
	v_and_b32_e32 v6, s9, v6
	v_add_co_u32 v7, s0, v7, -1
	s_delay_alu instid0(VALU_DEP_1) | instskip(NEXT) | instid1(VALU_DEP_3)
	v_cndmask_b32_e64 v36, 0, 1, s0
	v_lshlrev_b32_e32 v37, 30, v6
	s_delay_alu instid0(VALU_DEP_2) | instskip(NEXT) | instid1(VALU_DEP_2)
	v_cmp_ne_u32_e32 vcc_lo, 0, v36
	v_not_b32_e32 v36, v37
	s_delay_alu instid0(VALU_DEP_1) | instskip(SKIP_4) | instid1(VALU_DEP_4)
	v_dual_ashrrev_i32 v36, 31, v36 :: v_dual_bitop2_b32 v7, vcc_lo, v7 bitop3:0x14
	v_dual_lshlrev_b32 v38, 29, v6 :: v_dual_lshlrev_b32 v39, 28, v6
	v_dual_lshlrev_b32 v40, 27, v6 :: v_dual_lshlrev_b32 v41, 26, v6
	v_lshlrev_b32_e32 v42, 25, v6
	v_cmp_gt_i32_e64 s0, 0, v37
	v_cmp_gt_i32_e64 s1, 0, v38
	v_not_b32_e32 v37, v38
	v_not_b32_e32 v38, v39
	v_lshlrev_b32_e32 v43, 24, v6
	v_cmp_gt_i32_e64 s3, 0, v39
	v_cmp_gt_i32_e64 s4, 0, v40
	v_not_b32_e32 v39, v40
	v_not_b32_e32 v40, v41
	v_dual_ashrrev_i32 v37, 31, v37 :: v_dual_ashrrev_i32 v38, 31, v38
	v_xor_b32_e32 v36, s0, v36
	v_cmp_gt_i32_e64 s5, 0, v41
	v_cmp_gt_i32_e64 s6, 0, v42
	v_not_b32_e32 v41, v42
	v_not_b32_e32 v42, v43
	v_dual_ashrrev_i32 v39, 31, v39 :: v_dual_ashrrev_i32 v40, 31, v40
	v_xor_b32_e32 v37, s1, v37
	v_xor_b32_e32 v38, s3, v38
	v_bitop3_b32 v7, v7, v36, exec_lo bitop3:0x80
	v_cmp_gt_i32_e64 s7, 0, v43
	v_dual_ashrrev_i32 v36, 31, v41 :: v_dual_ashrrev_i32 v41, 31, v42
	v_xor_b32_e32 v42, s4, v39
	v_xor_b32_e32 v40, s5, v40
	v_bitop3_b32 v7, v7, v38, v37 bitop3:0x80
	v_mad_u32_u24 v39, 0x44, v6, v0
	v_xor_b32_e32 v6, s6, v36
	v_xor_b32_e32 v36, s7, v41
	s_delay_alu instid0(VALU_DEP_4) | instskip(SKIP_2) | instid1(VALU_DEP_1)
	v_bitop3_b32 v7, v7, v40, v42 bitop3:0x80
	ds_load_b32 v37, v39 offset:64
	; wave barrier
	v_bitop3_b32 v6, v7, v36, v6 bitop3:0x80
	v_mbcnt_lo_u32_b32 v38, v6, 0
	v_cmp_ne_u32_e64 s0, 0, v6
	s_delay_alu instid0(VALU_DEP_2) | instskip(SKIP_1) | instid1(SALU_CYCLE_1)
	v_cmp_eq_u32_e32 vcc_lo, 0, v38
	s_and_b32 s1, s0, vcc_lo
	s_and_saveexec_b32 s0, s1
	s_cbranch_execz .LBB2259_115
; %bb.114:
	s_wait_dscnt 0x0
	v_bcnt_u32_b32 v6, v6, v37
	ds_store_b32 v39, v6 offset:64
.LBB2259_115:
	s_or_b32 exec_lo, exec_lo, s0
	v_cmp_lt_i16_e32 vcc_lo, -1, v5
	; wave barrier
	v_cndmask_b32_e64 v6, -1, 0xffff8000, vcc_lo
	s_delay_alu instid0(VALU_DEP_1) | instskip(NEXT) | instid1(VALU_DEP_1)
	v_xor_b32_e32 v36, v6, v5
	v_cmp_ne_u16_e32 vcc_lo, 0x7fff, v36
	v_cndmask_b32_e32 v5, 0xffff8000, v36, vcc_lo
	s_delay_alu instid0(VALU_DEP_1) | instskip(NEXT) | instid1(VALU_DEP_1)
	v_and_b32_e32 v5, 0xffff, v5
	v_lshrrev_b32_e32 v5, s20, v5
	s_delay_alu instid0(VALU_DEP_1) | instskip(SKIP_1) | instid1(VALU_DEP_2)
	v_bitop3_b32 v6, v5, 1, s9 bitop3:0x80
	v_and_b32_e32 v5, s9, v5
	v_add_co_u32 v6, s0, v6, -1
	s_delay_alu instid0(VALU_DEP_1) | instskip(NEXT) | instid1(VALU_DEP_3)
	v_cndmask_b32_e64 v7, 0, 1, s0
	v_lshlrev_b32_e32 v40, 30, v5
	s_delay_alu instid0(VALU_DEP_2) | instskip(NEXT) | instid1(VALU_DEP_2)
	v_cmp_ne_u32_e32 vcc_lo, 0, v7
	v_not_b32_e32 v7, v40
	s_delay_alu instid0(VALU_DEP_1) | instskip(SKIP_4) | instid1(VALU_DEP_4)
	v_dual_ashrrev_i32 v7, 31, v7 :: v_dual_bitop2_b32 v6, vcc_lo, v6 bitop3:0x14
	v_dual_lshlrev_b32 v41, 29, v5 :: v_dual_lshlrev_b32 v42, 28, v5
	v_dual_lshlrev_b32 v43, 27, v5 :: v_dual_lshlrev_b32 v44, 26, v5
	;; [unrolled: 1-line block ×3, first 2 shown]
	v_cmp_gt_i32_e64 s0, 0, v40
	v_cmp_gt_i32_e64 s1, 0, v41
	v_not_b32_e32 v40, v41
	v_not_b32_e32 v41, v42
	v_cmp_gt_i32_e64 s3, 0, v42
	v_cmp_gt_i32_e64 s4, 0, v43
	v_not_b32_e32 v42, v43
	v_cmp_gt_i32_e64 s5, 0, v44
	v_not_b32_e32 v43, v44
	;; [unrolled: 2-line block ×3, first 2 shown]
	v_not_b32_e32 v45, v46
	v_dual_ashrrev_i32 v40, 31, v40 :: v_dual_ashrrev_i32 v41, 31, v41
	v_dual_ashrrev_i32 v42, 31, v42 :: v_dual_bitop2_b32 v7, s0, v7 bitop3:0x14
	s_delay_alu instid0(VALU_DEP_2) | instskip(NEXT) | instid1(VALU_DEP_3)
	v_dual_ashrrev_i32 v43, 31, v43 :: v_dual_bitop2_b32 v40, s1, v40 bitop3:0x14
	v_xor_b32_e32 v41, s3, v41
	s_delay_alu instid0(VALU_DEP_3)
	v_bitop3_b32 v6, v6, v7, exec_lo bitop3:0x80
	v_cmp_gt_i32_e64 s7, 0, v46
	v_dual_ashrrev_i32 v7, 31, v44 :: v_dual_ashrrev_i32 v44, 31, v45
	v_xor_b32_e32 v42, s4, v42
	v_xor_b32_e32 v45, s5, v43
	v_bitop3_b32 v6, v6, v41, v40 bitop3:0x80
	v_mad_u32_u24 v43, 0x44, v5, v0
	v_xor_b32_e32 v5, s6, v7
	v_xor_b32_e32 v7, s7, v44
	s_delay_alu instid0(VALU_DEP_4) | instskip(SKIP_2) | instid1(VALU_DEP_1)
	v_bitop3_b32 v6, v6, v45, v42 bitop3:0x80
	ds_load_b32 v41, v43 offset:64
	; wave barrier
	v_bitop3_b32 v5, v6, v7, v5 bitop3:0x80
	v_mbcnt_lo_u32_b32 v42, v5, 0
	v_cmp_ne_u32_e64 s0, 0, v5
	s_delay_alu instid0(VALU_DEP_2) | instskip(SKIP_1) | instid1(SALU_CYCLE_1)
	v_cmp_eq_u32_e32 vcc_lo, 0, v42
	s_and_b32 s1, s0, vcc_lo
	s_and_saveexec_b32 s0, s1
	s_cbranch_execz .LBB2259_117
; %bb.116:
	s_wait_dscnt 0x0
	v_bcnt_u32_b32 v5, v5, v41
	ds_store_b32 v43, v5 offset:64
.LBB2259_117:
	s_or_b32 exec_lo, exec_lo, s0
	v_cmp_lt_i16_e32 vcc_lo, -1, v4
	; wave barrier
	v_cndmask_b32_e64 v5, -1, 0xffff8000, vcc_lo
	s_delay_alu instid0(VALU_DEP_1) | instskip(NEXT) | instid1(VALU_DEP_1)
	v_xor_b32_e32 v40, v5, v4
	v_cmp_ne_u16_e32 vcc_lo, 0x7fff, v40
	v_cndmask_b32_e32 v4, 0xffff8000, v40, vcc_lo
	s_delay_alu instid0(VALU_DEP_1) | instskip(NEXT) | instid1(VALU_DEP_1)
	v_and_b32_e32 v4, 0xffff, v4
	v_lshrrev_b32_e32 v4, s20, v4
	s_delay_alu instid0(VALU_DEP_1) | instskip(SKIP_1) | instid1(VALU_DEP_2)
	v_bitop3_b32 v5, v4, 1, s9 bitop3:0x80
	v_and_b32_e32 v4, s9, v4
	v_add_co_u32 v5, s0, v5, -1
	s_delay_alu instid0(VALU_DEP_1) | instskip(NEXT) | instid1(VALU_DEP_3)
	v_cndmask_b32_e64 v6, 0, 1, s0
	v_lshlrev_b32_e32 v7, 30, v4
	s_delay_alu instid0(VALU_DEP_2) | instskip(NEXT) | instid1(VALU_DEP_2)
	v_cmp_ne_u32_e32 vcc_lo, 0, v6
	v_not_b32_e32 v6, v7
	s_delay_alu instid0(VALU_DEP_1) | instskip(SKIP_4) | instid1(VALU_DEP_4)
	v_dual_ashrrev_i32 v6, 31, v6 :: v_dual_bitop2_b32 v5, vcc_lo, v5 bitop3:0x14
	v_dual_lshlrev_b32 v44, 29, v4 :: v_dual_lshlrev_b32 v45, 28, v4
	v_dual_lshlrev_b32 v46, 27, v4 :: v_dual_lshlrev_b32 v47, 26, v4
	v_lshlrev_b32_e32 v48, 25, v4
	v_cmp_gt_i32_e64 s0, 0, v7
	v_cmp_gt_i32_e64 s1, 0, v44
	v_not_b32_e32 v7, v44
	v_not_b32_e32 v44, v45
	v_lshlrev_b32_e32 v49, 24, v4
	v_cmp_gt_i32_e64 s3, 0, v45
	v_cmp_gt_i32_e64 s4, 0, v46
	v_not_b32_e32 v45, v46
	v_not_b32_e32 v46, v47
	v_dual_ashrrev_i32 v7, 31, v7 :: v_dual_ashrrev_i32 v44, 31, v44
	v_xor_b32_e32 v6, s0, v6
	v_cmp_gt_i32_e64 s5, 0, v47
	v_cmp_gt_i32_e64 s6, 0, v48
	v_not_b32_e32 v47, v48
	v_not_b32_e32 v48, v49
	v_dual_ashrrev_i32 v45, 31, v45 :: v_dual_ashrrev_i32 v46, 31, v46
	v_xor_b32_e32 v7, s1, v7
	v_xor_b32_e32 v44, s3, v44
	v_bitop3_b32 v5, v5, v6, exec_lo bitop3:0x80
	v_cmp_gt_i32_e64 s7, 0, v49
	v_dual_ashrrev_i32 v6, 31, v47 :: v_dual_ashrrev_i32 v48, 31, v48
	v_xor_b32_e32 v45, s4, v45
	v_xor_b32_e32 v46, s5, v46
	v_bitop3_b32 v5, v5, v44, v7 bitop3:0x80
	v_mad_u32_u24 v47, 0x44, v4, v0
	v_xor_b32_e32 v4, s6, v6
	v_xor_b32_e32 v6, s7, v48
	s_delay_alu instid0(VALU_DEP_4) | instskip(SKIP_2) | instid1(VALU_DEP_1)
	v_bitop3_b32 v5, v5, v46, v45 bitop3:0x80
	ds_load_b32 v45, v47 offset:64
	; wave barrier
	v_bitop3_b32 v4, v5, v6, v4 bitop3:0x80
	v_mbcnt_lo_u32_b32 v46, v4, 0
	v_cmp_ne_u32_e64 s0, 0, v4
	s_delay_alu instid0(VALU_DEP_2) | instskip(SKIP_1) | instid1(SALU_CYCLE_1)
	v_cmp_eq_u32_e32 vcc_lo, 0, v46
	s_and_b32 s1, s0, vcc_lo
	s_and_saveexec_b32 s0, s1
	s_cbranch_execz .LBB2259_119
; %bb.118:
	s_wait_dscnt 0x0
	v_bcnt_u32_b32 v4, v4, v45
	ds_store_b32 v47, v4 offset:64
.LBB2259_119:
	s_or_b32 exec_lo, exec_lo, s0
	v_cmp_lt_i16_e32 vcc_lo, -1, v3
	; wave barrier
	v_cndmask_b32_e64 v4, -1, 0xffff8000, vcc_lo
	s_delay_alu instid0(VALU_DEP_1) | instskip(NEXT) | instid1(VALU_DEP_1)
	v_xor_b32_e32 v44, v4, v3
	v_cmp_ne_u16_e32 vcc_lo, 0x7fff, v44
	v_cndmask_b32_e32 v3, 0xffff8000, v44, vcc_lo
	s_delay_alu instid0(VALU_DEP_1) | instskip(NEXT) | instid1(VALU_DEP_1)
	v_and_b32_e32 v3, 0xffff, v3
	v_lshrrev_b32_e32 v3, s20, v3
	s_delay_alu instid0(VALU_DEP_1) | instskip(SKIP_1) | instid1(VALU_DEP_2)
	v_bitop3_b32 v4, v3, 1, s9 bitop3:0x80
	v_and_b32_e32 v3, s9, v3
	v_add_co_u32 v4, s0, v4, -1
	s_delay_alu instid0(VALU_DEP_1) | instskip(NEXT) | instid1(VALU_DEP_3)
	v_cndmask_b32_e64 v5, 0, 1, s0
	v_lshlrev_b32_e32 v6, 30, v3
	s_delay_alu instid0(VALU_DEP_2) | instskip(NEXT) | instid1(VALU_DEP_2)
	v_cmp_ne_u32_e32 vcc_lo, 0, v5
	v_not_b32_e32 v5, v6
	s_delay_alu instid0(VALU_DEP_1) | instskip(SKIP_4) | instid1(VALU_DEP_4)
	v_dual_ashrrev_i32 v5, 31, v5 :: v_dual_bitop2_b32 v4, vcc_lo, v4 bitop3:0x14
	v_dual_lshlrev_b32 v7, 29, v3 :: v_dual_lshlrev_b32 v48, 28, v3
	v_dual_lshlrev_b32 v49, 27, v3 :: v_dual_lshlrev_b32 v50, 26, v3
	v_lshlrev_b32_e32 v51, 25, v3
	v_cmp_gt_i32_e64 s0, 0, v6
	v_cmp_gt_i32_e64 s1, 0, v7
	v_not_b32_e32 v6, v7
	v_not_b32_e32 v7, v48
	v_lshlrev_b32_e32 v52, 24, v3
	v_cmp_gt_i32_e64 s3, 0, v48
	v_cmp_gt_i32_e64 s4, 0, v49
	v_not_b32_e32 v48, v49
	v_not_b32_e32 v49, v50
	v_dual_ashrrev_i32 v6, 31, v6 :: v_dual_ashrrev_i32 v7, 31, v7
	v_xor_b32_e32 v5, s0, v5
	v_cmp_gt_i32_e64 s5, 0, v50
	v_cmp_gt_i32_e64 s6, 0, v51
	v_not_b32_e32 v50, v51
	v_not_b32_e32 v51, v52
	v_dual_ashrrev_i32 v48, 31, v48 :: v_dual_ashrrev_i32 v49, 31, v49
	v_xor_b32_e32 v6, s1, v6
	v_xor_b32_e32 v7, s3, v7
	v_bitop3_b32 v4, v4, v5, exec_lo bitop3:0x80
	v_cmp_gt_i32_e64 s7, 0, v52
	v_dual_ashrrev_i32 v5, 31, v50 :: v_dual_ashrrev_i32 v50, 31, v51
	v_xor_b32_e32 v48, s4, v48
	v_xor_b32_e32 v49, s5, v49
	v_bitop3_b32 v4, v4, v7, v6 bitop3:0x80
	v_mad_u32_u24 v51, 0x44, v3, v0
	v_xor_b32_e32 v3, s6, v5
	v_xor_b32_e32 v5, s7, v50
	s_delay_alu instid0(VALU_DEP_4) | instskip(SKIP_2) | instid1(VALU_DEP_1)
	v_bitop3_b32 v4, v4, v49, v48 bitop3:0x80
	ds_load_b32 v48, v51 offset:64
	; wave barrier
	v_bitop3_b32 v3, v4, v5, v3 bitop3:0x80
	v_mbcnt_lo_u32_b32 v50, v3, 0
	v_cmp_ne_u32_e64 s0, 0, v3
	s_delay_alu instid0(VALU_DEP_2) | instskip(SKIP_1) | instid1(SALU_CYCLE_1)
	v_cmp_eq_u32_e32 vcc_lo, 0, v50
	s_and_b32 s1, s0, vcc_lo
	s_and_saveexec_b32 s0, s1
	s_cbranch_execz .LBB2259_121
; %bb.120:
	s_wait_dscnt 0x0
	v_bcnt_u32_b32 v3, v3, v48
	ds_store_b32 v51, v3 offset:64
.LBB2259_121:
	s_or_b32 exec_lo, exec_lo, s0
	v_cmp_lt_i16_e32 vcc_lo, -1, v2
	; wave barrier
	v_cndmask_b32_e64 v3, -1, 0xffff8000, vcc_lo
	s_delay_alu instid0(VALU_DEP_1) | instskip(NEXT) | instid1(VALU_DEP_1)
	v_xor_b32_e32 v49, v3, v2
	v_cmp_ne_u16_e32 vcc_lo, 0x7fff, v49
	v_cndmask_b32_e32 v2, 0xffff8000, v49, vcc_lo
	s_delay_alu instid0(VALU_DEP_1) | instskip(NEXT) | instid1(VALU_DEP_1)
	v_and_b32_e32 v2, 0xffff, v2
	v_lshrrev_b32_e32 v2, s20, v2
	s_delay_alu instid0(VALU_DEP_1) | instskip(SKIP_1) | instid1(VALU_DEP_2)
	v_bitop3_b32 v3, v2, 1, s9 bitop3:0x80
	v_and_b32_e32 v2, s9, v2
	v_add_co_u32 v3, s0, v3, -1
	s_delay_alu instid0(VALU_DEP_1) | instskip(NEXT) | instid1(VALU_DEP_3)
	v_cndmask_b32_e64 v4, 0, 1, s0
	v_lshlrev_b32_e32 v5, 30, v2
	s_delay_alu instid0(VALU_DEP_2) | instskip(NEXT) | instid1(VALU_DEP_2)
	v_cmp_ne_u32_e32 vcc_lo, 0, v4
	v_not_b32_e32 v4, v5
	s_delay_alu instid0(VALU_DEP_1) | instskip(SKIP_4) | instid1(VALU_DEP_4)
	v_dual_ashrrev_i32 v4, 31, v4 :: v_dual_bitop2_b32 v3, vcc_lo, v3 bitop3:0x14
	v_dual_lshlrev_b32 v6, 29, v2 :: v_dual_lshlrev_b32 v7, 28, v2
	v_dual_lshlrev_b32 v52, 27, v2 :: v_dual_lshlrev_b32 v53, 26, v2
	;; [unrolled: 1-line block ×3, first 2 shown]
	v_cmp_gt_i32_e64 s0, 0, v5
	v_cmp_gt_i32_e64 s1, 0, v6
	v_not_b32_e32 v5, v6
	v_not_b32_e32 v6, v7
	v_cmp_gt_i32_e64 s3, 0, v7
	v_cmp_gt_i32_e64 s4, 0, v52
	v_not_b32_e32 v7, v52
	v_cmp_gt_i32_e64 s5, 0, v53
	v_not_b32_e32 v52, v53
	;; [unrolled: 2-line block ×3, first 2 shown]
	v_not_b32_e32 v54, v55
	v_dual_ashrrev_i32 v5, 31, v5 :: v_dual_ashrrev_i32 v6, 31, v6
	v_dual_ashrrev_i32 v7, 31, v7 :: v_dual_bitop2_b32 v4, s0, v4 bitop3:0x14
	s_delay_alu instid0(VALU_DEP_2) | instskip(NEXT) | instid1(VALU_DEP_3)
	v_dual_ashrrev_i32 v52, 31, v52 :: v_dual_bitop2_b32 v5, s1, v5 bitop3:0x14
	v_xor_b32_e32 v6, s3, v6
	s_delay_alu instid0(VALU_DEP_3)
	v_bitop3_b32 v3, v3, v4, exec_lo bitop3:0x80
	v_cmp_gt_i32_e64 s7, 0, v55
	v_dual_ashrrev_i32 v4, 31, v53 :: v_dual_ashrrev_i32 v53, 31, v54
	v_xor_b32_e32 v7, s4, v7
	v_xor_b32_e32 v52, s5, v52
	v_bitop3_b32 v3, v3, v6, v5 bitop3:0x80
	v_mad_u32_u24 v56, 0x44, v2, v0
	v_xor_b32_e32 v2, s6, v4
	v_xor_b32_e32 v4, s7, v53
	s_delay_alu instid0(VALU_DEP_4) | instskip(SKIP_2) | instid1(VALU_DEP_1)
	v_bitop3_b32 v3, v3, v52, v7 bitop3:0x80
	ds_load_b32 v52, v56 offset:64
	; wave barrier
	v_bitop3_b32 v2, v3, v4, v2 bitop3:0x80
	v_mbcnt_lo_u32_b32 v53, v2, 0
	v_cmp_ne_u32_e64 s0, 0, v2
	s_delay_alu instid0(VALU_DEP_2) | instskip(SKIP_1) | instid1(SALU_CYCLE_1)
	v_cmp_eq_u32_e32 vcc_lo, 0, v53
	s_and_b32 s1, s0, vcc_lo
	s_and_saveexec_b32 s0, s1
	s_cbranch_execz .LBB2259_123
; %bb.122:
	s_wait_dscnt 0x0
	v_bcnt_u32_b32 v2, v2, v52
	ds_store_b32 v56, v2 offset:64
.LBB2259_123:
	s_or_b32 exec_lo, exec_lo, s0
	v_cmp_lt_i16_e32 vcc_lo, -1, v1
	; wave barrier
	v_cndmask_b32_e64 v2, -1, 0xffff8000, vcc_lo
	s_delay_alu instid0(VALU_DEP_1) | instskip(NEXT) | instid1(VALU_DEP_1)
	v_xor_b32_e32 v54, v2, v1
	v_cmp_ne_u16_e32 vcc_lo, 0x7fff, v54
	v_cndmask_b32_e32 v1, 0xffff8000, v54, vcc_lo
	s_delay_alu instid0(VALU_DEP_1) | instskip(NEXT) | instid1(VALU_DEP_1)
	v_and_b32_e32 v1, 0xffff, v1
	v_lshrrev_b32_e32 v1, s20, v1
	s_delay_alu instid0(VALU_DEP_1) | instskip(SKIP_1) | instid1(VALU_DEP_2)
	v_bitop3_b32 v2, v1, 1, s9 bitop3:0x80
	v_and_b32_e32 v1, s9, v1
	v_add_co_u32 v2, s0, v2, -1
	s_delay_alu instid0(VALU_DEP_1) | instskip(NEXT) | instid1(VALU_DEP_3)
	v_cndmask_b32_e64 v3, 0, 1, s0
	v_lshlrev_b32_e32 v4, 30, v1
	s_delay_alu instid0(VALU_DEP_2) | instskip(NEXT) | instid1(VALU_DEP_2)
	v_cmp_ne_u32_e32 vcc_lo, 0, v3
	v_not_b32_e32 v3, v4
	s_delay_alu instid0(VALU_DEP_1) | instskip(SKIP_4) | instid1(VALU_DEP_4)
	v_dual_ashrrev_i32 v3, 31, v3 :: v_dual_bitop2_b32 v2, vcc_lo, v2 bitop3:0x14
	v_dual_lshlrev_b32 v5, 29, v1 :: v_dual_lshlrev_b32 v6, 28, v1
	v_dual_lshlrev_b32 v7, 27, v1 :: v_dual_lshlrev_b32 v55, 26, v1
	v_lshlrev_b32_e32 v57, 25, v1
	v_cmp_gt_i32_e64 s0, 0, v4
	v_cmp_gt_i32_e64 s1, 0, v5
	v_not_b32_e32 v4, v5
	v_not_b32_e32 v5, v6
	v_lshlrev_b32_e32 v58, 24, v1
	v_cmp_gt_i32_e64 s3, 0, v6
	v_cmp_gt_i32_e64 s4, 0, v7
	v_not_b32_e32 v6, v7
	v_not_b32_e32 v7, v55
	v_dual_ashrrev_i32 v4, 31, v4 :: v_dual_ashrrev_i32 v5, 31, v5
	v_xor_b32_e32 v3, s0, v3
	v_cmp_gt_i32_e64 s5, 0, v55
	v_cmp_gt_i32_e64 s6, 0, v57
	v_not_b32_e32 v55, v57
	v_not_b32_e32 v57, v58
	v_dual_ashrrev_i32 v6, 31, v6 :: v_dual_ashrrev_i32 v7, 31, v7
	v_xor_b32_e32 v4, s1, v4
	v_xor_b32_e32 v5, s3, v5
	v_bitop3_b32 v2, v2, v3, exec_lo bitop3:0x80
	v_cmp_gt_i32_e64 s7, 0, v58
	v_dual_ashrrev_i32 v3, 31, v55 :: v_dual_ashrrev_i32 v55, 31, v57
	v_xor_b32_e32 v6, s4, v6
	v_xor_b32_e32 v7, s5, v7
	v_bitop3_b32 v2, v2, v5, v4 bitop3:0x80
	v_mad_u32_u24 v58, 0x44, v1, v0
	v_xor_b32_e32 v0, s6, v3
	v_xor_b32_e32 v1, s7, v55
	s_delay_alu instid0(VALU_DEP_4) | instskip(SKIP_2) | instid1(VALU_DEP_1)
	v_bitop3_b32 v2, v2, v7, v6 bitop3:0x80
	ds_load_b32 v55, v58 offset:64
	; wave barrier
	v_bitop3_b32 v0, v2, v1, v0 bitop3:0x80
	v_mbcnt_lo_u32_b32 v57, v0, 0
	v_cmp_ne_u32_e64 s0, 0, v0
	s_delay_alu instid0(VALU_DEP_2) | instskip(SKIP_1) | instid1(SALU_CYCLE_1)
	v_cmp_eq_u32_e32 vcc_lo, 0, v57
	s_and_b32 s1, s0, vcc_lo
	s_and_saveexec_b32 s0, s1
	s_cbranch_execz .LBB2259_125
; %bb.124:
	s_wait_dscnt 0x0
	v_bcnt_u32_b32 v0, v0, v55
	ds_store_b32 v58, v0 offset:64
.LBB2259_125:
	s_or_b32 exec_lo, exec_lo, s0
	; wave barrier
	s_wait_dscnt 0x0
	s_barrier_signal -1
	s_barrier_wait -1
	ds_load_2addr_b32 v[6:7], v11 offset0:16 offset1:17
	ds_load_2addr_b32 v[4:5], v11 offset0:18 offset1:19
	;; [unrolled: 1-line block ×4, first 2 shown]
	ds_load_b32 v59, v11 offset:96
	v_min_u32_e32 v16, 0x1e0, v16
	s_mov_b32 s5, exec_lo
	s_delay_alu instid0(VALU_DEP_1) | instskip(SKIP_3) | instid1(VALU_DEP_1)
	v_or_b32_e32 v62, 31, v16
	s_wait_dscnt 0x3
	v_add3_u32 v60, v7, v6, v4
	s_wait_dscnt 0x2
	v_add3_u32 v60, v60, v5, v2
	s_wait_dscnt 0x1
	s_delay_alu instid0(VALU_DEP_1) | instskip(SKIP_1) | instid1(VALU_DEP_1)
	v_add3_u32 v60, v60, v3, v0
	s_wait_dscnt 0x0
	v_add3_u32 v59, v60, v1, v59
	v_and_b32_e32 v60, 15, v15
	s_delay_alu instid0(VALU_DEP_2) | instskip(NEXT) | instid1(VALU_DEP_2)
	v_mov_b32_dpp v61, v59 row_shr:1 row_mask:0xf bank_mask:0xf
	v_cmp_eq_u32_e32 vcc_lo, 0, v60
	v_cmp_lt_u32_e64 s0, 1, v60
	s_delay_alu instid0(VALU_DEP_3) | instskip(NEXT) | instid1(VALU_DEP_1)
	v_cndmask_b32_e64 v61, v61, 0, vcc_lo
	v_add_nc_u32_e32 v59, v61, v59
	s_delay_alu instid0(VALU_DEP_1) | instskip(NEXT) | instid1(VALU_DEP_1)
	v_mov_b32_dpp v61, v59 row_shr:2 row_mask:0xf bank_mask:0xf
	v_cndmask_b32_e64 v61, 0, v61, s0
	v_cmp_lt_u32_e64 s3, 7, v60
	v_cmp_lt_u32_e64 s1, 3, v60
	s_delay_alu instid0(VALU_DEP_3) | instskip(NEXT) | instid1(VALU_DEP_1)
	v_add_nc_u32_e32 v59, v59, v61
	v_mov_b32_dpp v61, v59 row_shr:4 row_mask:0xf bank_mask:0xf
	s_delay_alu instid0(VALU_DEP_1) | instskip(NEXT) | instid1(VALU_DEP_1)
	v_cndmask_b32_e64 v61, 0, v61, s1
	v_add_nc_u32_e32 v59, v59, v61
	s_delay_alu instid0(VALU_DEP_1) | instskip(NEXT) | instid1(VALU_DEP_1)
	v_mov_b32_dpp v61, v59 row_shr:8 row_mask:0xf bank_mask:0xf
	v_cndmask_b32_e64 v60, 0, v61, s3
	v_bfe_i32 v61, v15, 4, 1
	s_delay_alu instid0(VALU_DEP_2) | instskip(SKIP_3) | instid1(VALU_DEP_1)
	v_add_nc_u32_e32 v60, v59, v60
	ds_swizzle_b32 v59, v60 offset:swizzle(BROADCAST,32,15)
	s_wait_dscnt 0x0
	v_dual_lshrrev_b32 v59, 5, v14 :: v_dual_bitop2_b32 v61, v61, v59 bitop3:0x40
	v_add_nc_u32_e32 v16, v60, v61
	v_cmpx_eq_u32_e64 v14, v62
; %bb.126:
	s_delay_alu instid0(VALU_DEP_3)
	v_lshlrev_b32_e32 v60, 2, v59
	ds_store_b32 v60, v16
; %bb.127:
	s_or_b32 exec_lo, exec_lo, s5
	s_delay_alu instid0(SALU_CYCLE_1)
	s_mov_b32 s5, exec_lo
	s_wait_dscnt 0x0
	s_barrier_signal -1
	s_barrier_wait -1
	v_cmpx_gt_u32_e32 16, v14
	s_cbranch_execz .LBB2259_129
; %bb.128:
	v_lshlrev_b32_e32 v60, 2, v14
	ds_load_b32 v61, v60
	s_wait_dscnt 0x0
	v_mov_b32_dpp v62, v61 row_shr:1 row_mask:0xf bank_mask:0xf
	s_delay_alu instid0(VALU_DEP_1) | instskip(NEXT) | instid1(VALU_DEP_1)
	v_cndmask_b32_e64 v62, v62, 0, vcc_lo
	v_add_nc_u32_e32 v61, v62, v61
	s_delay_alu instid0(VALU_DEP_1) | instskip(NEXT) | instid1(VALU_DEP_1)
	v_mov_b32_dpp v62, v61 row_shr:2 row_mask:0xf bank_mask:0xf
	v_cndmask_b32_e64 v62, 0, v62, s0
	s_delay_alu instid0(VALU_DEP_1) | instskip(NEXT) | instid1(VALU_DEP_1)
	v_add_nc_u32_e32 v61, v61, v62
	v_mov_b32_dpp v62, v61 row_shr:4 row_mask:0xf bank_mask:0xf
	s_delay_alu instid0(VALU_DEP_1) | instskip(NEXT) | instid1(VALU_DEP_1)
	v_cndmask_b32_e64 v62, 0, v62, s1
	v_add_nc_u32_e32 v61, v61, v62
	s_delay_alu instid0(VALU_DEP_1) | instskip(NEXT) | instid1(VALU_DEP_1)
	v_mov_b32_dpp v62, v61 row_shr:8 row_mask:0xf bank_mask:0xf
	v_cndmask_b32_e64 v62, 0, v62, s3
	s_delay_alu instid0(VALU_DEP_1)
	v_add_nc_u32_e32 v61, v61, v62
	ds_store_b32 v60, v61
.LBB2259_129:
	s_or_b32 exec_lo, exec_lo, s5
	v_mov_b32_e32 v60, 0
	s_mov_b32 s0, exec_lo
	s_wait_dscnt 0x0
	s_barrier_signal -1
	s_barrier_wait -1
	v_cmpx_lt_u32_e32 31, v14
; %bb.130:
	v_lshl_add_u32 v59, v59, 2, -4
	ds_load_b32 v60, v59
; %bb.131:
	s_or_b32 exec_lo, exec_lo, s0
	v_sub_co_u32 v59, vcc_lo, v15, 1
	s_wait_dscnt 0x0
	v_add_nc_u32_e32 v16, v60, v16
	s_delay_alu instid0(VALU_DEP_2) | instskip(NEXT) | instid1(VALU_DEP_1)
	v_cmp_gt_i32_e64 s0, 0, v59
	v_cndmask_b32_e64 v15, v59, v15, s0
	v_cmp_gt_u32_e64 s0, 0x100, v14
	s_delay_alu instid0(VALU_DEP_2) | instskip(SKIP_4) | instid1(VALU_DEP_2)
	v_lshlrev_b32_e32 v15, 2, v15
	ds_bpermute_b32 v15, v15, v16
	s_wait_dscnt 0x0
	v_cndmask_b32_e32 v15, v15, v60, vcc_lo
	v_cmp_lt_u32_e32 vcc_lo, 0xff, v14
	v_cndmask_b32_e64 v15, v15, 0, s2
	s_delay_alu instid0(VALU_DEP_1) | instskip(NEXT) | instid1(VALU_DEP_1)
	v_add_nc_u32_e32 v6, v15, v6
	v_add_nc_u32_e32 v7, v6, v7
	s_delay_alu instid0(VALU_DEP_1) | instskip(NEXT) | instid1(VALU_DEP_1)
	v_add_nc_u32_e32 v4, v7, v4
	v_add_nc_u32_e32 v5, v4, v5
	;; [unrolled: 3-line block ×4, first 2 shown]
	ds_store_2addr_b32 v11, v15, v6 offset0:16 offset1:17
	ds_store_2addr_b32 v11, v7, v4 offset0:18 offset1:19
	;; [unrolled: 1-line block ×4, first 2 shown]
	ds_store_b32 v11, v1 offset:96
	s_wait_dscnt 0x0
	s_barrier_signal -1
	s_barrier_wait -1
	ds_load_b32 v59, v12 offset:64
	ds_load_b32 v60, v19 offset:64
	;; [unrolled: 1-line block ×12, first 2 shown]
	v_mov_b64_e32 v[0:1], 0
                                        ; implicit-def: $vgpr2
	s_and_saveexec_b32 s2, s0
	s_cbranch_execz .LBB2259_135
; %bb.132:
	v_mul_u32_u24_e32 v0, 0x44, v14
	v_dual_mov_b32 v1, 0x1800 :: v_dual_add_nc_u32 v2, 1, v14
	s_mov_b32 s3, exec_lo
	ds_load_b32 v0, v0 offset:64
	v_cmpx_ne_u32_e32 0x100, v2
; %bb.133:
	v_mul_u32_u24_e32 v1, 0x44, v2
	ds_load_b32 v1, v1 offset:64
; %bb.134:
	s_or_b32 exec_lo, exec_lo, s3
	s_wait_dscnt 0x0
	v_dual_mov_b32 v1, 0 :: v_dual_sub_nc_u32 v2, v1, v0
.LBB2259_135:
	s_or_b32 exec_lo, exec_lo, s2
	s_wait_dscnt 0xa
	v_dual_lshlrev_b32 v9, 1, v9 :: v_dual_lshlrev_b32 v23, 1, v60
	v_dual_lshlrev_b32 v18, 1, v18 :: v_dual_lshlrev_b32 v17, 1, v17
	v_lshlrev_b32_e32 v21, 1, v21
	s_delay_alu instid0(VALU_DEP_3)
	v_lshl_add_u32 v9, v59, 1, v9
	s_wait_dscnt 0x0
	s_barrier_signal -1
	v_add3_u32 v17, v23, v18, v17
	v_dual_lshlrev_b32 v18, 1, v19 :: v_dual_lshlrev_b32 v19, 1, v22
	s_barrier_wait -1
	ds_store_b16 v9, v8 offset:2048
	ds_store_b16 v17, v10 offset:2048
	v_lshlrev_b32_e32 v9, 1, v16
	v_add3_u32 v8, v18, v19, v21
	v_dual_lshlrev_b32 v10, 1, v26 :: v_dual_lshlrev_b32 v16, 1, v25
	v_dual_lshlrev_b32 v18, 1, v28 :: v_dual_lshlrev_b32 v19, 1, v33
	;; [unrolled: 1-line block ×6, first 2 shown]
	ds_store_b16 v8, v13 offset:2048
	v_add3_u32 v8, v9, v10, v16
	v_add3_u32 v10, v12, v19, v21
	v_dual_lshlrev_b32 v12, 1, v42 :: v_dual_lshlrev_b32 v13, 1, v41
	v_add3_u32 v9, v15, v17, v18
	v_add3_u32 v11, v11, v22, v23
	ds_store_b16 v8, v20 offset:2048
	ds_store_b16 v9, v24 offset:2048
	;; [unrolled: 1-line block ×4, first 2 shown]
	v_add3_u32 v7, v7, v12, v13
	v_dual_lshlrev_b32 v6, 1, v6 :: v_dual_lshlrev_b32 v9, 1, v45
	v_dual_lshlrev_b32 v8, 1, v46 :: v_dual_lshlrev_b32 v5, 1, v5
	;; [unrolled: 1-line block ×6, first 2 shown]
	ds_store_b16 v7, v36 offset:2048
	v_add3_u32 v6, v6, v8, v9
	v_add3_u32 v7, v5, v10, v11
	;; [unrolled: 1-line block ×3, first 2 shown]
	v_dual_mov_b32 v5, 0 :: v_dual_lshlrev_b32 v3, 3, v14
	v_add3_u32 v4, v4, v12, v13
	ds_store_b16 v6, v40 offset:2048
	ds_store_b16 v7, v44 offset:2048
	ds_store_b16 v4, v49 offset:2048
	ds_store_b16 v8, v54 offset:2048
	s_and_saveexec_b32 s1, s0
	s_cbranch_execz .LBB2259_145
; %bb.136:
	v_lshl_add_u32 v4, s23, 8, v14
	v_dual_mov_b32 v8, 0 :: v_dual_bitop2_b32 v9, 2.0, v2 bitop3:0x54
	s_mov_b32 s2, 0
	s_mov_b32 s3, s23
	s_delay_alu instid0(VALU_DEP_2)
	v_lshl_add_u64 v[6:7], v[4:5], 2, s[10:11]
	global_store_b32 v4, v9, s[10:11] scale_offset scope:SCOPE_DEV
                                        ; implicit-def: $sgpr0
	s_branch .LBB2259_139
.LBB2259_137:                           ;   in Loop: Header=BB2259_139 Depth=1
	s_or_b32 exec_lo, exec_lo, s5
.LBB2259_138:                           ;   in Loop: Header=BB2259_139 Depth=1
	s_delay_alu instid0(SALU_CYCLE_1) | instskip(SKIP_2) | instid1(VALU_DEP_2)
	s_or_b32 exec_lo, exec_lo, s4
	v_and_b32_e32 v4, 0x3fffffff, v9
	v_cmp_gt_i32_e64 s0, -2.0, v9
	v_add_nc_u32_e32 v8, v4, v8
	s_and_b32 s4, exec_lo, s0
	s_delay_alu instid0(SALU_CYCLE_1) | instskip(NEXT) | instid1(SALU_CYCLE_1)
	s_or_b32 s2, s4, s2
	s_and_not1_b32 exec_lo, exec_lo, s2
	s_cbranch_execz .LBB2259_144
.LBB2259_139:                           ; =>This Loop Header: Depth=1
                                        ;     Child Loop BB2259_142 Depth 2
	s_or_b32 s0, s0, exec_lo
	s_cmp_eq_u32 s3, 0
	s_cbranch_scc1 .LBB2259_143
; %bb.140:                              ;   in Loop: Header=BB2259_139 Depth=1
	s_add_co_i32 s3, s3, -1
	s_mov_b32 s4, exec_lo
	s_wait_xcnt 0x0
	v_lshl_or_b32 v4, s3, 8, v14
	global_load_b32 v9, v4, s[10:11] scale_offset scope:SCOPE_DEV
	s_wait_loadcnt 0x0
	v_cmpx_gt_u32_e32 2.0, v9
	s_cbranch_execz .LBB2259_138
; %bb.141:                              ;   in Loop: Header=BB2259_139 Depth=1
	v_lshl_add_u64 v[10:11], v[4:5], 2, s[10:11]
	s_mov_b32 s5, 0
.LBB2259_142:                           ;   Parent Loop BB2259_139 Depth=1
                                        ; =>  This Inner Loop Header: Depth=2
	global_load_b32 v9, v[10:11], off scope:SCOPE_DEV
	s_wait_loadcnt 0x0
	v_cmp_lt_u32_e64 s0, 0x3fffffff, v9
	s_or_b32 s5, s0, s5
	s_wait_xcnt 0x0
	s_and_not1_b32 exec_lo, exec_lo, s5
	s_cbranch_execnz .LBB2259_142
	s_branch .LBB2259_137
.LBB2259_143:                           ;   in Loop: Header=BB2259_139 Depth=1
                                        ; implicit-def: $sgpr3
	s_and_b32 s4, exec_lo, s0
	s_delay_alu instid0(SALU_CYCLE_1)
	s_or_b32 s2, s4, s2
	s_wait_xcnt 0x0
	s_and_not1_b32 exec_lo, exec_lo, s2
	s_cbranch_execnz .LBB2259_139
.LBB2259_144:
	s_or_b32 exec_lo, exec_lo, s2
	v_dual_mov_b32 v9, 0 :: v_dual_add_nc_u32 v4, v8, v2
	s_delay_alu instid0(VALU_DEP_1) | instskip(SKIP_4) | instid1(VALU_DEP_1)
	v_or_b32_e32 v4, 0x80000000, v4
	global_store_b32 v[6:7], v4, off scope:SCOPE_DEV
	global_load_b64 v[4:5], v14, s[12:13] scale_offset
	v_sub_nc_u64_e32 v[6:7], v[8:9], v[0:1]
	s_wait_loadcnt 0x0
	v_add_nc_u64_e32 v[4:5], v[6:7], v[4:5]
	ds_store_b64 v3, v[4:5]
.LBB2259_145:
	s_wait_xcnt 0x0
	s_or_b32 exec_lo, exec_lo, s1
	v_mad_i32_i24 v15, v14, -6, v3
	s_wait_storecnt_dscnt 0x0
	s_barrier_signal -1
	s_barrier_wait -1
	ds_load_u16 v16, v15 offset:2048
	ds_load_u16 v17, v15 offset:3072
	;; [unrolled: 1-line block ×8, first 2 shown]
	v_dual_mov_b32 v5, 0 :: v_dual_lshlrev_b32 v4, 1, v14
	s_add_co_i32 s8, s8, -1
	s_delay_alu instid0(SALU_CYCLE_1) | instskip(SKIP_2) | instid1(VALU_DEP_1)
	s_cmp_eq_u32 s23, s8
	s_wait_dscnt 0x7
	v_cmp_ne_u16_e64 s0, 0x7fff, v16
	v_cndmask_b32_e64 v6, 0xffff8000, v16, s0
	v_cmp_lt_i16_e64 s0, -1, v16
	s_delay_alu instid0(VALU_DEP_2) | instskip(NEXT) | instid1(VALU_DEP_2)
	v_and_b32_e32 v6, 0xffff, v6
	v_cndmask_b32_e64 v24, 0xffff8000, -1, s0
	s_wait_dscnt 0x6
	v_cmp_ne_u16_e64 s0, 0x7fff, v17
	s_delay_alu instid0(VALU_DEP_2) | instskip(NEXT) | instid1(VALU_DEP_2)
	v_xor_b32_e32 v24, v24, v16
	v_cndmask_b32_e64 v7, 0xffff8000, v17, s0
	s_wait_dscnt 0x5
	v_cmp_ne_u16_e64 s0, 0x7fff, v18
	s_delay_alu instid0(VALU_DEP_2) | instskip(NEXT) | instid1(VALU_DEP_2)
	v_and_b32_e32 v7, 0xffff, v7
	v_cndmask_b32_e64 v8, 0xffff8000, v18, s0
	s_wait_dscnt 0x4
	v_cmp_ne_u16_e64 s0, 0x7fff, v19
	s_delay_alu instid0(VALU_DEP_3) | instskip(NEXT) | instid1(VALU_DEP_3)
	v_dual_lshrrev_b32 v6, s20, v6 :: v_dual_lshrrev_b32 v7, s20, v7
	v_and_b32_e32 v8, 0xffff, v8
	s_delay_alu instid0(VALU_DEP_3) | instskip(SKIP_1) | instid1(VALU_DEP_4)
	v_cndmask_b32_e64 v9, 0xffff8000, v19, s0
	v_cmp_lt_i16_e64 s0, -1, v17
	v_and_b32_e32 v7, s9, v7
	v_and_b32_e32 v6, s9, v6
	s_delay_alu instid0(VALU_DEP_4) | instskip(NEXT) | instid1(VALU_DEP_4)
	v_and_b32_e32 v9, 0xffff, v9
	v_cndmask_b32_e64 v25, 0xffff8000, -1, s0
	s_wait_dscnt 0x3
	v_cmp_ne_u16_e64 s0, 0x7fff, v20
	v_dual_lshrrev_b32 v8, s20, v8 :: v_dual_lshlrev_b32 v11, 3, v7
	v_dual_lshrrev_b32 v9, s20, v9 :: v_dual_lshlrev_b32 v6, 3, v6
	s_delay_alu instid0(VALU_DEP_3) | instskip(SKIP_1) | instid1(VALU_DEP_2)
	v_cndmask_b32_e64 v10, 0xffff8000, v20, s0
	v_cmp_lt_i16_e64 s0, -1, v18
	v_and_b32_e32 v10, 0xffff, v10
	v_and_b32_e32 v8, s9, v8
	;; [unrolled: 1-line block ×3, first 2 shown]
	s_delay_alu instid0(VALU_DEP_4) | instskip(SKIP_1) | instid1(VALU_DEP_4)
	v_cndmask_b32_e64 v27, 0xffff8000, -1, s0
	v_cmp_lt_i16_e64 s0, -1, v19
	v_dual_lshrrev_b32 v26, s20, v10 :: v_dual_lshlrev_b32 v10, 3, v8
	s_delay_alu instid0(VALU_DEP_4)
	v_lshlrev_b32_e32 v12, 3, v9
	ds_load_b64 v[6:7], v6
	ds_load_b64 v[8:9], v11
	v_cndmask_b32_e64 v28, 0xffff8000, -1, s0
	s_wait_dscnt 0x4
	v_cmp_ne_u16_e64 s0, 0x7fff, v21
	v_and_b32_e32 v26, s9, v26
	ds_load_b64 v[10:11], v10
	ds_load_b64 v[12:13], v12
	v_xor_b32_e32 v19, v28, v19
	v_cndmask_b32_e64 v29, 0xffff8000, v21, s0
	s_wait_dscnt 0x5
	v_cmp_ne_u16_e64 s0, 0x7fff, v22
	v_lshlrev_b32_e32 v26, 3, v26
	s_delay_alu instid0(VALU_DEP_2) | instskip(SKIP_1) | instid1(VALU_DEP_2)
	v_cndmask_b32_e64 v30, 0xffff8000, v22, s0
	v_cmp_lt_i16_e64 s0, -1, v20
	v_and_b32_e32 v28, 0xffff, v30
	s_wait_dscnt 0x3
	v_lshl_add_u64 v[6:7], v[6:7], 1, s[18:19]
	v_xor_b32_e32 v18, v27, v18
	v_and_b32_e32 v27, 0xffff, v29
	v_xor_b32_e32 v25, v25, v17
	ds_load_b64 v[16:17], v26
	ds_load_u16 v26, v15 offset:10240
	ds_load_u16 v31, v15 offset:11264
	;; [unrolled: 1-line block ×4, first 2 shown]
	s_wait_dscnt 0x7
	v_lshl_add_u64 v[8:9], v[8:9], 1, s[18:19]
	s_wait_dscnt 0x6
	v_lshl_add_u64 v[10:11], v[10:11], 1, s[18:19]
	v_add_nc_u64_e32 v[6:7], v[6:7], v[4:5]
	s_wait_dscnt 0x5
	v_lshl_add_u64 v[12:13], v[12:13], 1, s[18:19]
	v_add_nc_u64_e32 v[8:9], v[8:9], v[4:5]
	v_add_nc_u64_e32 v[10:11], v[10:11], v[4:5]
	s_clause 0x1
	global_store_b16 v[6:7], v24, off
	global_store_b16 v[8:9], v25, off offset:1024
	s_wait_xcnt 0x1
	v_cndmask_b32_e64 v6, 0xffff8000, -1, s0
	v_cmp_ne_u16_e64 s0, 0x7fff, v23
	s_wait_xcnt 0x0
	v_dual_lshrrev_b32 v8, s20, v27 :: v_dual_lshrrev_b32 v9, s20, v28
	global_store_b16 v[10:11], v18, off offset:2048
	v_add_nc_u64_e32 v[12:13], v[12:13], v[4:5]
	s_wait_xcnt 0x0
	v_cndmask_b32_e64 v10, 0xffff8000, v23, s0
	s_wait_dscnt 0x3
	v_cmp_ne_u16_e64 s0, 0x7fff, v26
	v_and_b32_e32 v8, s9, v8
	v_and_b32_e32 v9, s9, v9
	s_delay_alu instid0(VALU_DEP_3)
	v_cndmask_b32_e64 v11, 0xffff8000, v26, s0
	s_wait_dscnt 0x2
	v_cmp_ne_u16_e64 s0, 0x7fff, v31
	v_lshlrev_b32_e32 v8, 3, v8
	global_store_b16 v[12:13], v19, off offset:3072
	s_wait_xcnt 0x0
	v_dual_lshlrev_b32 v13, 3, v9 :: v_dual_bitop2_b32 v12, v6, v20 bitop3:0x14
	v_lshl_add_u64 v[6:7], v[16:17], 1, s[18:19]
	v_and_b32_e32 v16, 0xffff, v10
	v_and_b32_e32 v17, 0xffff, v11
	v_cndmask_b32_e64 v18, 0xffff8000, v31, s0
	ds_load_b64 v[8:9], v8
	ds_load_b64 v[10:11], v13
	v_cmp_lt_i16_e64 s0, -1, v21
	v_dual_lshrrev_b32 v13, s20, v16 :: v_dual_lshrrev_b32 v16, s20, v17
	v_and_b32_e32 v17, 0xffff, v18
	v_add_nc_u64_e32 v[6:7], v[6:7], v[4:5]
	s_delay_alu instid0(VALU_DEP_4)
	v_cndmask_b32_e64 v18, 0xffff8000, -1, s0
	s_wait_dscnt 0x3
	v_cmp_ne_u16_e64 s0, 0x7fff, v32
	v_dual_lshrrev_b32 v17, s20, v17 :: v_dual_bitop2_b32 v16, s9, v16 bitop3:0x40
	v_and_b32_e32 v13, s9, v13
	global_store_b16 v[6:7], v12, off offset:4096
	s_wait_xcnt 0x0
	v_dual_lshlrev_b32 v12, 3, v16 :: v_dual_bitop2_b32 v16, s9, v17 bitop3:0x40
	v_cndmask_b32_e64 v17, 0xffff8000, v32, s0
	s_wait_dscnt 0x2
	v_cmp_ne_u16_e64 s0, 0x7fff, v15
	s_wait_dscnt 0x1
	v_lshl_add_u64 v[8:9], v[8:9], 1, s[18:19]
	v_and_b32_e32 v17, 0xffff, v17
	s_delay_alu instid0(VALU_DEP_3)
	v_cndmask_b32_e64 v19, 0xffff8000, v15, s0
	v_cmp_lt_i16_e64 s0, -1, v22
	s_wait_dscnt 0x0
	v_lshl_add_u64 v[10:11], v[10:11], 1, s[18:19]
	v_add_nc_u64_e32 v[8:9], v[8:9], v[4:5]
	v_lshrrev_b32_e32 v20, s20, v17
	v_and_b32_e32 v19, 0xffff, v19
	v_lshlrev_b32_e32 v6, 3, v13
	v_dual_lshlrev_b32 v16, 3, v16 :: v_dual_bitop2_b32 v18, v18, v21 bitop3:0x14
	v_cndmask_b32_e64 v21, 0xffff8000, -1, s0
	s_delay_alu instid0(VALU_DEP_4)
	v_lshrrev_b32_e32 v19, s20, v19
	ds_load_b64 v[6:7], v6
	ds_load_b64 v[12:13], v12
	v_add_nc_u64_e32 v[10:11], v[10:11], v[4:5]
	ds_load_b64 v[16:17], v16
	v_xor_b32_e32 v21, v21, v22
	v_and_b32_e32 v19, s9, v19
	v_and_b32_e32 v20, s9, v20
	v_cmp_lt_i16_e64 s0, -1, v23
	s_clause 0x1
	global_store_b16 v[8:9], v18, off offset:5120
	global_store_b16 v[10:11], v21, off offset:6144
	v_dual_lshlrev_b32 v19, 3, v19 :: v_dual_lshlrev_b32 v20, 3, v20
	v_cndmask_b32_e64 v22, 0xffff8000, -1, s0
	v_cmp_lt_i16_e64 s0, -1, v26
	s_wait_xcnt 0x0
	ds_load_b64 v[10:11], v19
	ds_load_b64 v[8:9], v20
	v_xor_b32_e32 v18, v22, v23
	v_cndmask_b32_e64 v19, 0xffff8000, -1, s0
	v_cmp_lt_i16_e64 s0, -1, v31
	s_wait_dscnt 0x4
	v_lshl_add_u64 v[6:7], v[6:7], 1, s[18:19]
	s_wait_dscnt 0x3
	v_lshl_add_u64 v[12:13], v[12:13], 1, s[18:19]
	;; [unrolled: 2-line block ×3, first 2 shown]
	v_cndmask_b32_e64 v20, 0xffff8000, -1, s0
	v_cmp_lt_i16_e64 s0, -1, v32
	v_add_nc_u64_e32 v[6:7], v[6:7], v[4:5]
	v_add_nc_u64_e32 v[12:13], v[12:13], v[4:5]
	;; [unrolled: 1-line block ×3, first 2 shown]
	v_xor_b32_e32 v19, v19, v26
	v_xor_b32_e32 v20, v20, v31
	v_cndmask_b32_e64 v21, 0xffff8000, -1, s0
	v_cmp_lt_i16_e64 s0, -1, v15
	s_clause 0x2
	global_store_b16 v[6:7], v18, off offset:7168
	global_store_b16 v[12:13], v19, off offset:8192
	;; [unrolled: 1-line block ×3, first 2 shown]
	s_wait_dscnt 0x0
	s_wait_xcnt 0x2
	v_lshl_add_u64 v[6:7], v[8:9], 1, s[18:19]
	v_lshl_add_u64 v[8:9], v[10:11], 1, s[18:19]
	v_cndmask_b32_e64 v10, 0xffff8000, -1, s0
	s_wait_xcnt 0x1
	v_xor_b32_e32 v12, v21, v32
	s_cselect_b32 s0, -1, 0
	v_add_nc_u64_e32 v[6:7], v[6:7], v[4:5]
	v_add_nc_u64_e32 v[8:9], v[8:9], v[4:5]
	v_xor_b32_e32 v4, v10, v15
	s_xor_b32 s1, vcc_lo, -1
	s_delay_alu instid0(SALU_CYCLE_1)
	s_and_b32 s0, s1, s0
	s_clause 0x1
	global_store_b16 v[6:7], v12, off offset:10240
	global_store_b16 v[8:9], v4, off offset:11264
	s_wait_xcnt 0x0
	s_and_saveexec_b32 s1, s0
	s_cbranch_execz .LBB2259_147
; %bb.146:
	ds_load_b64 v[6:7], v3
	v_mov_b32_e32 v3, v5
	s_delay_alu instid0(VALU_DEP_1) | instskip(SKIP_1) | instid1(VALU_DEP_1)
	v_add_nc_u64_e32 v[0:1], v[0:1], v[2:3]
	s_wait_dscnt 0x0
	v_add_nc_u64_e32 v[0:1], v[0:1], v[6:7]
	global_store_b64 v14, v[0:1], s[14:15] scale_offset
.LBB2259_147:
	s_sendmsg sendmsg(MSG_DEALLOC_VGPRS)
	s_endpgm
	.section	.rodata,"a",@progbits
	.p2align	6, 0x0
	.amdhsa_kernel _ZN7rocprim17ROCPRIM_400000_NS6detail17trampoline_kernelINS0_14default_configENS1_35radix_sort_onesweep_config_selectorI6__halfNS0_10empty_typeEEEZZNS1_29radix_sort_onesweep_iterationIS3_Lb0EPKS5_PS5_PS6_SC_mNS0_19identity_decomposerENS1_16block_id_wrapperIjLb1EEEEE10hipError_tT1_PNSt15iterator_traitsISH_E10value_typeET2_T3_PNSI_ISN_E10value_typeET4_T5_PSS_ST_PNS1_23onesweep_lookback_stateEbbT6_jjT7_P12ihipStream_tbENKUlT_T0_SH_SM_E_clISB_SB_SC_SC_EEDaS10_S11_SH_SM_EUlS10_E_NS1_11comp_targetILNS1_3genE0ELNS1_11target_archE4294967295ELNS1_3gpuE0ELNS1_3repE0EEENS1_47radix_sort_onesweep_sort_config_static_selectorELNS0_4arch9wavefront6targetE0EEEvSH_
		.amdhsa_group_segment_fixed_size 18504
		.amdhsa_private_segment_fixed_size 0
		.amdhsa_kernarg_size 344
		.amdhsa_user_sgpr_count 2
		.amdhsa_user_sgpr_dispatch_ptr 0
		.amdhsa_user_sgpr_queue_ptr 0
		.amdhsa_user_sgpr_kernarg_segment_ptr 1
		.amdhsa_user_sgpr_dispatch_id 0
		.amdhsa_user_sgpr_kernarg_preload_length 0
		.amdhsa_user_sgpr_kernarg_preload_offset 0
		.amdhsa_user_sgpr_private_segment_size 0
		.amdhsa_wavefront_size32 1
		.amdhsa_uses_dynamic_stack 0
		.amdhsa_enable_private_segment 0
		.amdhsa_system_sgpr_workgroup_id_x 1
		.amdhsa_system_sgpr_workgroup_id_y 0
		.amdhsa_system_sgpr_workgroup_id_z 0
		.amdhsa_system_sgpr_workgroup_info 0
		.amdhsa_system_vgpr_workitem_id 2
		.amdhsa_next_free_vgpr 65
		.amdhsa_next_free_sgpr 30
		.amdhsa_named_barrier_count 0
		.amdhsa_reserve_vcc 1
		.amdhsa_float_round_mode_32 0
		.amdhsa_float_round_mode_16_64 0
		.amdhsa_float_denorm_mode_32 3
		.amdhsa_float_denorm_mode_16_64 3
		.amdhsa_fp16_overflow 0
		.amdhsa_memory_ordered 1
		.amdhsa_forward_progress 1
		.amdhsa_inst_pref_size 148
		.amdhsa_round_robin_scheduling 0
		.amdhsa_exception_fp_ieee_invalid_op 0
		.amdhsa_exception_fp_denorm_src 0
		.amdhsa_exception_fp_ieee_div_zero 0
		.amdhsa_exception_fp_ieee_overflow 0
		.amdhsa_exception_fp_ieee_underflow 0
		.amdhsa_exception_fp_ieee_inexact 0
		.amdhsa_exception_int_div_zero 0
	.end_amdhsa_kernel
	.section	.text._ZN7rocprim17ROCPRIM_400000_NS6detail17trampoline_kernelINS0_14default_configENS1_35radix_sort_onesweep_config_selectorI6__halfNS0_10empty_typeEEEZZNS1_29radix_sort_onesweep_iterationIS3_Lb0EPKS5_PS5_PS6_SC_mNS0_19identity_decomposerENS1_16block_id_wrapperIjLb1EEEEE10hipError_tT1_PNSt15iterator_traitsISH_E10value_typeET2_T3_PNSI_ISN_E10value_typeET4_T5_PSS_ST_PNS1_23onesweep_lookback_stateEbbT6_jjT7_P12ihipStream_tbENKUlT_T0_SH_SM_E_clISB_SB_SC_SC_EEDaS10_S11_SH_SM_EUlS10_E_NS1_11comp_targetILNS1_3genE0ELNS1_11target_archE4294967295ELNS1_3gpuE0ELNS1_3repE0EEENS1_47radix_sort_onesweep_sort_config_static_selectorELNS0_4arch9wavefront6targetE0EEEvSH_,"axG",@progbits,_ZN7rocprim17ROCPRIM_400000_NS6detail17trampoline_kernelINS0_14default_configENS1_35radix_sort_onesweep_config_selectorI6__halfNS0_10empty_typeEEEZZNS1_29radix_sort_onesweep_iterationIS3_Lb0EPKS5_PS5_PS6_SC_mNS0_19identity_decomposerENS1_16block_id_wrapperIjLb1EEEEE10hipError_tT1_PNSt15iterator_traitsISH_E10value_typeET2_T3_PNSI_ISN_E10value_typeET4_T5_PSS_ST_PNS1_23onesweep_lookback_stateEbbT6_jjT7_P12ihipStream_tbENKUlT_T0_SH_SM_E_clISB_SB_SC_SC_EEDaS10_S11_SH_SM_EUlS10_E_NS1_11comp_targetILNS1_3genE0ELNS1_11target_archE4294967295ELNS1_3gpuE0ELNS1_3repE0EEENS1_47radix_sort_onesweep_sort_config_static_selectorELNS0_4arch9wavefront6targetE0EEEvSH_,comdat
.Lfunc_end2259:
	.size	_ZN7rocprim17ROCPRIM_400000_NS6detail17trampoline_kernelINS0_14default_configENS1_35radix_sort_onesweep_config_selectorI6__halfNS0_10empty_typeEEEZZNS1_29radix_sort_onesweep_iterationIS3_Lb0EPKS5_PS5_PS6_SC_mNS0_19identity_decomposerENS1_16block_id_wrapperIjLb1EEEEE10hipError_tT1_PNSt15iterator_traitsISH_E10value_typeET2_T3_PNSI_ISN_E10value_typeET4_T5_PSS_ST_PNS1_23onesweep_lookback_stateEbbT6_jjT7_P12ihipStream_tbENKUlT_T0_SH_SM_E_clISB_SB_SC_SC_EEDaS10_S11_SH_SM_EUlS10_E_NS1_11comp_targetILNS1_3genE0ELNS1_11target_archE4294967295ELNS1_3gpuE0ELNS1_3repE0EEENS1_47radix_sort_onesweep_sort_config_static_selectorELNS0_4arch9wavefront6targetE0EEEvSH_, .Lfunc_end2259-_ZN7rocprim17ROCPRIM_400000_NS6detail17trampoline_kernelINS0_14default_configENS1_35radix_sort_onesweep_config_selectorI6__halfNS0_10empty_typeEEEZZNS1_29radix_sort_onesweep_iterationIS3_Lb0EPKS5_PS5_PS6_SC_mNS0_19identity_decomposerENS1_16block_id_wrapperIjLb1EEEEE10hipError_tT1_PNSt15iterator_traitsISH_E10value_typeET2_T3_PNSI_ISN_E10value_typeET4_T5_PSS_ST_PNS1_23onesweep_lookback_stateEbbT6_jjT7_P12ihipStream_tbENKUlT_T0_SH_SM_E_clISB_SB_SC_SC_EEDaS10_S11_SH_SM_EUlS10_E_NS1_11comp_targetILNS1_3genE0ELNS1_11target_archE4294967295ELNS1_3gpuE0ELNS1_3repE0EEENS1_47radix_sort_onesweep_sort_config_static_selectorELNS0_4arch9wavefront6targetE0EEEvSH_
                                        ; -- End function
	.set _ZN7rocprim17ROCPRIM_400000_NS6detail17trampoline_kernelINS0_14default_configENS1_35radix_sort_onesweep_config_selectorI6__halfNS0_10empty_typeEEEZZNS1_29radix_sort_onesweep_iterationIS3_Lb0EPKS5_PS5_PS6_SC_mNS0_19identity_decomposerENS1_16block_id_wrapperIjLb1EEEEE10hipError_tT1_PNSt15iterator_traitsISH_E10value_typeET2_T3_PNSI_ISN_E10value_typeET4_T5_PSS_ST_PNS1_23onesweep_lookback_stateEbbT6_jjT7_P12ihipStream_tbENKUlT_T0_SH_SM_E_clISB_SB_SC_SC_EEDaS10_S11_SH_SM_EUlS10_E_NS1_11comp_targetILNS1_3genE0ELNS1_11target_archE4294967295ELNS1_3gpuE0ELNS1_3repE0EEENS1_47radix_sort_onesweep_sort_config_static_selectorELNS0_4arch9wavefront6targetE0EEEvSH_.num_vgpr, 65
	.set _ZN7rocprim17ROCPRIM_400000_NS6detail17trampoline_kernelINS0_14default_configENS1_35radix_sort_onesweep_config_selectorI6__halfNS0_10empty_typeEEEZZNS1_29radix_sort_onesweep_iterationIS3_Lb0EPKS5_PS5_PS6_SC_mNS0_19identity_decomposerENS1_16block_id_wrapperIjLb1EEEEE10hipError_tT1_PNSt15iterator_traitsISH_E10value_typeET2_T3_PNSI_ISN_E10value_typeET4_T5_PSS_ST_PNS1_23onesweep_lookback_stateEbbT6_jjT7_P12ihipStream_tbENKUlT_T0_SH_SM_E_clISB_SB_SC_SC_EEDaS10_S11_SH_SM_EUlS10_E_NS1_11comp_targetILNS1_3genE0ELNS1_11target_archE4294967295ELNS1_3gpuE0ELNS1_3repE0EEENS1_47radix_sort_onesweep_sort_config_static_selectorELNS0_4arch9wavefront6targetE0EEEvSH_.num_agpr, 0
	.set _ZN7rocprim17ROCPRIM_400000_NS6detail17trampoline_kernelINS0_14default_configENS1_35radix_sort_onesweep_config_selectorI6__halfNS0_10empty_typeEEEZZNS1_29radix_sort_onesweep_iterationIS3_Lb0EPKS5_PS5_PS6_SC_mNS0_19identity_decomposerENS1_16block_id_wrapperIjLb1EEEEE10hipError_tT1_PNSt15iterator_traitsISH_E10value_typeET2_T3_PNSI_ISN_E10value_typeET4_T5_PSS_ST_PNS1_23onesweep_lookback_stateEbbT6_jjT7_P12ihipStream_tbENKUlT_T0_SH_SM_E_clISB_SB_SC_SC_EEDaS10_S11_SH_SM_EUlS10_E_NS1_11comp_targetILNS1_3genE0ELNS1_11target_archE4294967295ELNS1_3gpuE0ELNS1_3repE0EEENS1_47radix_sort_onesweep_sort_config_static_selectorELNS0_4arch9wavefront6targetE0EEEvSH_.numbered_sgpr, 30
	.set _ZN7rocprim17ROCPRIM_400000_NS6detail17trampoline_kernelINS0_14default_configENS1_35radix_sort_onesweep_config_selectorI6__halfNS0_10empty_typeEEEZZNS1_29radix_sort_onesweep_iterationIS3_Lb0EPKS5_PS5_PS6_SC_mNS0_19identity_decomposerENS1_16block_id_wrapperIjLb1EEEEE10hipError_tT1_PNSt15iterator_traitsISH_E10value_typeET2_T3_PNSI_ISN_E10value_typeET4_T5_PSS_ST_PNS1_23onesweep_lookback_stateEbbT6_jjT7_P12ihipStream_tbENKUlT_T0_SH_SM_E_clISB_SB_SC_SC_EEDaS10_S11_SH_SM_EUlS10_E_NS1_11comp_targetILNS1_3genE0ELNS1_11target_archE4294967295ELNS1_3gpuE0ELNS1_3repE0EEENS1_47radix_sort_onesweep_sort_config_static_selectorELNS0_4arch9wavefront6targetE0EEEvSH_.num_named_barrier, 0
	.set _ZN7rocprim17ROCPRIM_400000_NS6detail17trampoline_kernelINS0_14default_configENS1_35radix_sort_onesweep_config_selectorI6__halfNS0_10empty_typeEEEZZNS1_29radix_sort_onesweep_iterationIS3_Lb0EPKS5_PS5_PS6_SC_mNS0_19identity_decomposerENS1_16block_id_wrapperIjLb1EEEEE10hipError_tT1_PNSt15iterator_traitsISH_E10value_typeET2_T3_PNSI_ISN_E10value_typeET4_T5_PSS_ST_PNS1_23onesweep_lookback_stateEbbT6_jjT7_P12ihipStream_tbENKUlT_T0_SH_SM_E_clISB_SB_SC_SC_EEDaS10_S11_SH_SM_EUlS10_E_NS1_11comp_targetILNS1_3genE0ELNS1_11target_archE4294967295ELNS1_3gpuE0ELNS1_3repE0EEENS1_47radix_sort_onesweep_sort_config_static_selectorELNS0_4arch9wavefront6targetE0EEEvSH_.private_seg_size, 0
	.set _ZN7rocprim17ROCPRIM_400000_NS6detail17trampoline_kernelINS0_14default_configENS1_35radix_sort_onesweep_config_selectorI6__halfNS0_10empty_typeEEEZZNS1_29radix_sort_onesweep_iterationIS3_Lb0EPKS5_PS5_PS6_SC_mNS0_19identity_decomposerENS1_16block_id_wrapperIjLb1EEEEE10hipError_tT1_PNSt15iterator_traitsISH_E10value_typeET2_T3_PNSI_ISN_E10value_typeET4_T5_PSS_ST_PNS1_23onesweep_lookback_stateEbbT6_jjT7_P12ihipStream_tbENKUlT_T0_SH_SM_E_clISB_SB_SC_SC_EEDaS10_S11_SH_SM_EUlS10_E_NS1_11comp_targetILNS1_3genE0ELNS1_11target_archE4294967295ELNS1_3gpuE0ELNS1_3repE0EEENS1_47radix_sort_onesweep_sort_config_static_selectorELNS0_4arch9wavefront6targetE0EEEvSH_.uses_vcc, 1
	.set _ZN7rocprim17ROCPRIM_400000_NS6detail17trampoline_kernelINS0_14default_configENS1_35radix_sort_onesweep_config_selectorI6__halfNS0_10empty_typeEEEZZNS1_29radix_sort_onesweep_iterationIS3_Lb0EPKS5_PS5_PS6_SC_mNS0_19identity_decomposerENS1_16block_id_wrapperIjLb1EEEEE10hipError_tT1_PNSt15iterator_traitsISH_E10value_typeET2_T3_PNSI_ISN_E10value_typeET4_T5_PSS_ST_PNS1_23onesweep_lookback_stateEbbT6_jjT7_P12ihipStream_tbENKUlT_T0_SH_SM_E_clISB_SB_SC_SC_EEDaS10_S11_SH_SM_EUlS10_E_NS1_11comp_targetILNS1_3genE0ELNS1_11target_archE4294967295ELNS1_3gpuE0ELNS1_3repE0EEENS1_47radix_sort_onesweep_sort_config_static_selectorELNS0_4arch9wavefront6targetE0EEEvSH_.uses_flat_scratch, 0
	.set _ZN7rocprim17ROCPRIM_400000_NS6detail17trampoline_kernelINS0_14default_configENS1_35radix_sort_onesweep_config_selectorI6__halfNS0_10empty_typeEEEZZNS1_29radix_sort_onesweep_iterationIS3_Lb0EPKS5_PS5_PS6_SC_mNS0_19identity_decomposerENS1_16block_id_wrapperIjLb1EEEEE10hipError_tT1_PNSt15iterator_traitsISH_E10value_typeET2_T3_PNSI_ISN_E10value_typeET4_T5_PSS_ST_PNS1_23onesweep_lookback_stateEbbT6_jjT7_P12ihipStream_tbENKUlT_T0_SH_SM_E_clISB_SB_SC_SC_EEDaS10_S11_SH_SM_EUlS10_E_NS1_11comp_targetILNS1_3genE0ELNS1_11target_archE4294967295ELNS1_3gpuE0ELNS1_3repE0EEENS1_47radix_sort_onesweep_sort_config_static_selectorELNS0_4arch9wavefront6targetE0EEEvSH_.has_dyn_sized_stack, 0
	.set _ZN7rocprim17ROCPRIM_400000_NS6detail17trampoline_kernelINS0_14default_configENS1_35radix_sort_onesweep_config_selectorI6__halfNS0_10empty_typeEEEZZNS1_29radix_sort_onesweep_iterationIS3_Lb0EPKS5_PS5_PS6_SC_mNS0_19identity_decomposerENS1_16block_id_wrapperIjLb1EEEEE10hipError_tT1_PNSt15iterator_traitsISH_E10value_typeET2_T3_PNSI_ISN_E10value_typeET4_T5_PSS_ST_PNS1_23onesweep_lookback_stateEbbT6_jjT7_P12ihipStream_tbENKUlT_T0_SH_SM_E_clISB_SB_SC_SC_EEDaS10_S11_SH_SM_EUlS10_E_NS1_11comp_targetILNS1_3genE0ELNS1_11target_archE4294967295ELNS1_3gpuE0ELNS1_3repE0EEENS1_47radix_sort_onesweep_sort_config_static_selectorELNS0_4arch9wavefront6targetE0EEEvSH_.has_recursion, 0
	.set _ZN7rocprim17ROCPRIM_400000_NS6detail17trampoline_kernelINS0_14default_configENS1_35radix_sort_onesweep_config_selectorI6__halfNS0_10empty_typeEEEZZNS1_29radix_sort_onesweep_iterationIS3_Lb0EPKS5_PS5_PS6_SC_mNS0_19identity_decomposerENS1_16block_id_wrapperIjLb1EEEEE10hipError_tT1_PNSt15iterator_traitsISH_E10value_typeET2_T3_PNSI_ISN_E10value_typeET4_T5_PSS_ST_PNS1_23onesweep_lookback_stateEbbT6_jjT7_P12ihipStream_tbENKUlT_T0_SH_SM_E_clISB_SB_SC_SC_EEDaS10_S11_SH_SM_EUlS10_E_NS1_11comp_targetILNS1_3genE0ELNS1_11target_archE4294967295ELNS1_3gpuE0ELNS1_3repE0EEENS1_47radix_sort_onesweep_sort_config_static_selectorELNS0_4arch9wavefront6targetE0EEEvSH_.has_indirect_call, 0
	.section	.AMDGPU.csdata,"",@progbits
; Kernel info:
; codeLenInByte = 18912
; TotalNumSgprs: 32
; NumVgprs: 65
; ScratchSize: 0
; MemoryBound: 0
; FloatMode: 240
; IeeeMode: 1
; LDSByteSize: 18504 bytes/workgroup (compile time only)
; SGPRBlocks: 0
; VGPRBlocks: 4
; NumSGPRsForWavesPerEU: 32
; NumVGPRsForWavesPerEU: 65
; NamedBarCnt: 0
; Occupancy: 12
; WaveLimiterHint : 0
; COMPUTE_PGM_RSRC2:SCRATCH_EN: 0
; COMPUTE_PGM_RSRC2:USER_SGPR: 2
; COMPUTE_PGM_RSRC2:TRAP_HANDLER: 0
; COMPUTE_PGM_RSRC2:TGID_X_EN: 1
; COMPUTE_PGM_RSRC2:TGID_Y_EN: 0
; COMPUTE_PGM_RSRC2:TGID_Z_EN: 0
; COMPUTE_PGM_RSRC2:TIDIG_COMP_CNT: 2
	.section	.text._ZN7rocprim17ROCPRIM_400000_NS6detail17trampoline_kernelINS0_14default_configENS1_35radix_sort_onesweep_config_selectorI6__halfNS0_10empty_typeEEEZZNS1_29radix_sort_onesweep_iterationIS3_Lb0EPKS5_PS5_PS6_SC_mNS0_19identity_decomposerENS1_16block_id_wrapperIjLb1EEEEE10hipError_tT1_PNSt15iterator_traitsISH_E10value_typeET2_T3_PNSI_ISN_E10value_typeET4_T5_PSS_ST_PNS1_23onesweep_lookback_stateEbbT6_jjT7_P12ihipStream_tbENKUlT_T0_SH_SM_E_clISB_SB_SC_SC_EEDaS10_S11_SH_SM_EUlS10_E_NS1_11comp_targetILNS1_3genE6ELNS1_11target_archE950ELNS1_3gpuE13ELNS1_3repE0EEENS1_47radix_sort_onesweep_sort_config_static_selectorELNS0_4arch9wavefront6targetE0EEEvSH_,"axG",@progbits,_ZN7rocprim17ROCPRIM_400000_NS6detail17trampoline_kernelINS0_14default_configENS1_35radix_sort_onesweep_config_selectorI6__halfNS0_10empty_typeEEEZZNS1_29radix_sort_onesweep_iterationIS3_Lb0EPKS5_PS5_PS6_SC_mNS0_19identity_decomposerENS1_16block_id_wrapperIjLb1EEEEE10hipError_tT1_PNSt15iterator_traitsISH_E10value_typeET2_T3_PNSI_ISN_E10value_typeET4_T5_PSS_ST_PNS1_23onesweep_lookback_stateEbbT6_jjT7_P12ihipStream_tbENKUlT_T0_SH_SM_E_clISB_SB_SC_SC_EEDaS10_S11_SH_SM_EUlS10_E_NS1_11comp_targetILNS1_3genE6ELNS1_11target_archE950ELNS1_3gpuE13ELNS1_3repE0EEENS1_47radix_sort_onesweep_sort_config_static_selectorELNS0_4arch9wavefront6targetE0EEEvSH_,comdat
	.protected	_ZN7rocprim17ROCPRIM_400000_NS6detail17trampoline_kernelINS0_14default_configENS1_35radix_sort_onesweep_config_selectorI6__halfNS0_10empty_typeEEEZZNS1_29radix_sort_onesweep_iterationIS3_Lb0EPKS5_PS5_PS6_SC_mNS0_19identity_decomposerENS1_16block_id_wrapperIjLb1EEEEE10hipError_tT1_PNSt15iterator_traitsISH_E10value_typeET2_T3_PNSI_ISN_E10value_typeET4_T5_PSS_ST_PNS1_23onesweep_lookback_stateEbbT6_jjT7_P12ihipStream_tbENKUlT_T0_SH_SM_E_clISB_SB_SC_SC_EEDaS10_S11_SH_SM_EUlS10_E_NS1_11comp_targetILNS1_3genE6ELNS1_11target_archE950ELNS1_3gpuE13ELNS1_3repE0EEENS1_47radix_sort_onesweep_sort_config_static_selectorELNS0_4arch9wavefront6targetE0EEEvSH_ ; -- Begin function _ZN7rocprim17ROCPRIM_400000_NS6detail17trampoline_kernelINS0_14default_configENS1_35radix_sort_onesweep_config_selectorI6__halfNS0_10empty_typeEEEZZNS1_29radix_sort_onesweep_iterationIS3_Lb0EPKS5_PS5_PS6_SC_mNS0_19identity_decomposerENS1_16block_id_wrapperIjLb1EEEEE10hipError_tT1_PNSt15iterator_traitsISH_E10value_typeET2_T3_PNSI_ISN_E10value_typeET4_T5_PSS_ST_PNS1_23onesweep_lookback_stateEbbT6_jjT7_P12ihipStream_tbENKUlT_T0_SH_SM_E_clISB_SB_SC_SC_EEDaS10_S11_SH_SM_EUlS10_E_NS1_11comp_targetILNS1_3genE6ELNS1_11target_archE950ELNS1_3gpuE13ELNS1_3repE0EEENS1_47radix_sort_onesweep_sort_config_static_selectorELNS0_4arch9wavefront6targetE0EEEvSH_
	.globl	_ZN7rocprim17ROCPRIM_400000_NS6detail17trampoline_kernelINS0_14default_configENS1_35radix_sort_onesweep_config_selectorI6__halfNS0_10empty_typeEEEZZNS1_29radix_sort_onesweep_iterationIS3_Lb0EPKS5_PS5_PS6_SC_mNS0_19identity_decomposerENS1_16block_id_wrapperIjLb1EEEEE10hipError_tT1_PNSt15iterator_traitsISH_E10value_typeET2_T3_PNSI_ISN_E10value_typeET4_T5_PSS_ST_PNS1_23onesweep_lookback_stateEbbT6_jjT7_P12ihipStream_tbENKUlT_T0_SH_SM_E_clISB_SB_SC_SC_EEDaS10_S11_SH_SM_EUlS10_E_NS1_11comp_targetILNS1_3genE6ELNS1_11target_archE950ELNS1_3gpuE13ELNS1_3repE0EEENS1_47radix_sort_onesweep_sort_config_static_selectorELNS0_4arch9wavefront6targetE0EEEvSH_
	.p2align	8
	.type	_ZN7rocprim17ROCPRIM_400000_NS6detail17trampoline_kernelINS0_14default_configENS1_35radix_sort_onesweep_config_selectorI6__halfNS0_10empty_typeEEEZZNS1_29radix_sort_onesweep_iterationIS3_Lb0EPKS5_PS5_PS6_SC_mNS0_19identity_decomposerENS1_16block_id_wrapperIjLb1EEEEE10hipError_tT1_PNSt15iterator_traitsISH_E10value_typeET2_T3_PNSI_ISN_E10value_typeET4_T5_PSS_ST_PNS1_23onesweep_lookback_stateEbbT6_jjT7_P12ihipStream_tbENKUlT_T0_SH_SM_E_clISB_SB_SC_SC_EEDaS10_S11_SH_SM_EUlS10_E_NS1_11comp_targetILNS1_3genE6ELNS1_11target_archE950ELNS1_3gpuE13ELNS1_3repE0EEENS1_47radix_sort_onesweep_sort_config_static_selectorELNS0_4arch9wavefront6targetE0EEEvSH_,@function
_ZN7rocprim17ROCPRIM_400000_NS6detail17trampoline_kernelINS0_14default_configENS1_35radix_sort_onesweep_config_selectorI6__halfNS0_10empty_typeEEEZZNS1_29radix_sort_onesweep_iterationIS3_Lb0EPKS5_PS5_PS6_SC_mNS0_19identity_decomposerENS1_16block_id_wrapperIjLb1EEEEE10hipError_tT1_PNSt15iterator_traitsISH_E10value_typeET2_T3_PNSI_ISN_E10value_typeET4_T5_PSS_ST_PNS1_23onesweep_lookback_stateEbbT6_jjT7_P12ihipStream_tbENKUlT_T0_SH_SM_E_clISB_SB_SC_SC_EEDaS10_S11_SH_SM_EUlS10_E_NS1_11comp_targetILNS1_3genE6ELNS1_11target_archE950ELNS1_3gpuE13ELNS1_3repE0EEENS1_47radix_sort_onesweep_sort_config_static_selectorELNS0_4arch9wavefront6targetE0EEEvSH_: ; @_ZN7rocprim17ROCPRIM_400000_NS6detail17trampoline_kernelINS0_14default_configENS1_35radix_sort_onesweep_config_selectorI6__halfNS0_10empty_typeEEEZZNS1_29radix_sort_onesweep_iterationIS3_Lb0EPKS5_PS5_PS6_SC_mNS0_19identity_decomposerENS1_16block_id_wrapperIjLb1EEEEE10hipError_tT1_PNSt15iterator_traitsISH_E10value_typeET2_T3_PNSI_ISN_E10value_typeET4_T5_PSS_ST_PNS1_23onesweep_lookback_stateEbbT6_jjT7_P12ihipStream_tbENKUlT_T0_SH_SM_E_clISB_SB_SC_SC_EEDaS10_S11_SH_SM_EUlS10_E_NS1_11comp_targetILNS1_3genE6ELNS1_11target_archE950ELNS1_3gpuE13ELNS1_3repE0EEENS1_47radix_sort_onesweep_sort_config_static_selectorELNS0_4arch9wavefront6targetE0EEEvSH_
; %bb.0:
	.section	.rodata,"a",@progbits
	.p2align	6, 0x0
	.amdhsa_kernel _ZN7rocprim17ROCPRIM_400000_NS6detail17trampoline_kernelINS0_14default_configENS1_35radix_sort_onesweep_config_selectorI6__halfNS0_10empty_typeEEEZZNS1_29radix_sort_onesweep_iterationIS3_Lb0EPKS5_PS5_PS6_SC_mNS0_19identity_decomposerENS1_16block_id_wrapperIjLb1EEEEE10hipError_tT1_PNSt15iterator_traitsISH_E10value_typeET2_T3_PNSI_ISN_E10value_typeET4_T5_PSS_ST_PNS1_23onesweep_lookback_stateEbbT6_jjT7_P12ihipStream_tbENKUlT_T0_SH_SM_E_clISB_SB_SC_SC_EEDaS10_S11_SH_SM_EUlS10_E_NS1_11comp_targetILNS1_3genE6ELNS1_11target_archE950ELNS1_3gpuE13ELNS1_3repE0EEENS1_47radix_sort_onesweep_sort_config_static_selectorELNS0_4arch9wavefront6targetE0EEEvSH_
		.amdhsa_group_segment_fixed_size 0
		.amdhsa_private_segment_fixed_size 0
		.amdhsa_kernarg_size 88
		.amdhsa_user_sgpr_count 2
		.amdhsa_user_sgpr_dispatch_ptr 0
		.amdhsa_user_sgpr_queue_ptr 0
		.amdhsa_user_sgpr_kernarg_segment_ptr 1
		.amdhsa_user_sgpr_dispatch_id 0
		.amdhsa_user_sgpr_kernarg_preload_length 0
		.amdhsa_user_sgpr_kernarg_preload_offset 0
		.amdhsa_user_sgpr_private_segment_size 0
		.amdhsa_wavefront_size32 1
		.amdhsa_uses_dynamic_stack 0
		.amdhsa_enable_private_segment 0
		.amdhsa_system_sgpr_workgroup_id_x 1
		.amdhsa_system_sgpr_workgroup_id_y 0
		.amdhsa_system_sgpr_workgroup_id_z 0
		.amdhsa_system_sgpr_workgroup_info 0
		.amdhsa_system_vgpr_workitem_id 0
		.amdhsa_next_free_vgpr 1
		.amdhsa_next_free_sgpr 1
		.amdhsa_named_barrier_count 0
		.amdhsa_reserve_vcc 0
		.amdhsa_float_round_mode_32 0
		.amdhsa_float_round_mode_16_64 0
		.amdhsa_float_denorm_mode_32 3
		.amdhsa_float_denorm_mode_16_64 3
		.amdhsa_fp16_overflow 0
		.amdhsa_memory_ordered 1
		.amdhsa_forward_progress 1
		.amdhsa_inst_pref_size 0
		.amdhsa_round_robin_scheduling 0
		.amdhsa_exception_fp_ieee_invalid_op 0
		.amdhsa_exception_fp_denorm_src 0
		.amdhsa_exception_fp_ieee_div_zero 0
		.amdhsa_exception_fp_ieee_overflow 0
		.amdhsa_exception_fp_ieee_underflow 0
		.amdhsa_exception_fp_ieee_inexact 0
		.amdhsa_exception_int_div_zero 0
	.end_amdhsa_kernel
	.section	.text._ZN7rocprim17ROCPRIM_400000_NS6detail17trampoline_kernelINS0_14default_configENS1_35radix_sort_onesweep_config_selectorI6__halfNS0_10empty_typeEEEZZNS1_29radix_sort_onesweep_iterationIS3_Lb0EPKS5_PS5_PS6_SC_mNS0_19identity_decomposerENS1_16block_id_wrapperIjLb1EEEEE10hipError_tT1_PNSt15iterator_traitsISH_E10value_typeET2_T3_PNSI_ISN_E10value_typeET4_T5_PSS_ST_PNS1_23onesweep_lookback_stateEbbT6_jjT7_P12ihipStream_tbENKUlT_T0_SH_SM_E_clISB_SB_SC_SC_EEDaS10_S11_SH_SM_EUlS10_E_NS1_11comp_targetILNS1_3genE6ELNS1_11target_archE950ELNS1_3gpuE13ELNS1_3repE0EEENS1_47radix_sort_onesweep_sort_config_static_selectorELNS0_4arch9wavefront6targetE0EEEvSH_,"axG",@progbits,_ZN7rocprim17ROCPRIM_400000_NS6detail17trampoline_kernelINS0_14default_configENS1_35radix_sort_onesweep_config_selectorI6__halfNS0_10empty_typeEEEZZNS1_29radix_sort_onesweep_iterationIS3_Lb0EPKS5_PS5_PS6_SC_mNS0_19identity_decomposerENS1_16block_id_wrapperIjLb1EEEEE10hipError_tT1_PNSt15iterator_traitsISH_E10value_typeET2_T3_PNSI_ISN_E10value_typeET4_T5_PSS_ST_PNS1_23onesweep_lookback_stateEbbT6_jjT7_P12ihipStream_tbENKUlT_T0_SH_SM_E_clISB_SB_SC_SC_EEDaS10_S11_SH_SM_EUlS10_E_NS1_11comp_targetILNS1_3genE6ELNS1_11target_archE950ELNS1_3gpuE13ELNS1_3repE0EEENS1_47radix_sort_onesweep_sort_config_static_selectorELNS0_4arch9wavefront6targetE0EEEvSH_,comdat
.Lfunc_end2260:
	.size	_ZN7rocprim17ROCPRIM_400000_NS6detail17trampoline_kernelINS0_14default_configENS1_35radix_sort_onesweep_config_selectorI6__halfNS0_10empty_typeEEEZZNS1_29radix_sort_onesweep_iterationIS3_Lb0EPKS5_PS5_PS6_SC_mNS0_19identity_decomposerENS1_16block_id_wrapperIjLb1EEEEE10hipError_tT1_PNSt15iterator_traitsISH_E10value_typeET2_T3_PNSI_ISN_E10value_typeET4_T5_PSS_ST_PNS1_23onesweep_lookback_stateEbbT6_jjT7_P12ihipStream_tbENKUlT_T0_SH_SM_E_clISB_SB_SC_SC_EEDaS10_S11_SH_SM_EUlS10_E_NS1_11comp_targetILNS1_3genE6ELNS1_11target_archE950ELNS1_3gpuE13ELNS1_3repE0EEENS1_47radix_sort_onesweep_sort_config_static_selectorELNS0_4arch9wavefront6targetE0EEEvSH_, .Lfunc_end2260-_ZN7rocprim17ROCPRIM_400000_NS6detail17trampoline_kernelINS0_14default_configENS1_35radix_sort_onesweep_config_selectorI6__halfNS0_10empty_typeEEEZZNS1_29radix_sort_onesweep_iterationIS3_Lb0EPKS5_PS5_PS6_SC_mNS0_19identity_decomposerENS1_16block_id_wrapperIjLb1EEEEE10hipError_tT1_PNSt15iterator_traitsISH_E10value_typeET2_T3_PNSI_ISN_E10value_typeET4_T5_PSS_ST_PNS1_23onesweep_lookback_stateEbbT6_jjT7_P12ihipStream_tbENKUlT_T0_SH_SM_E_clISB_SB_SC_SC_EEDaS10_S11_SH_SM_EUlS10_E_NS1_11comp_targetILNS1_3genE6ELNS1_11target_archE950ELNS1_3gpuE13ELNS1_3repE0EEENS1_47radix_sort_onesweep_sort_config_static_selectorELNS0_4arch9wavefront6targetE0EEEvSH_
                                        ; -- End function
	.set _ZN7rocprim17ROCPRIM_400000_NS6detail17trampoline_kernelINS0_14default_configENS1_35radix_sort_onesweep_config_selectorI6__halfNS0_10empty_typeEEEZZNS1_29radix_sort_onesweep_iterationIS3_Lb0EPKS5_PS5_PS6_SC_mNS0_19identity_decomposerENS1_16block_id_wrapperIjLb1EEEEE10hipError_tT1_PNSt15iterator_traitsISH_E10value_typeET2_T3_PNSI_ISN_E10value_typeET4_T5_PSS_ST_PNS1_23onesweep_lookback_stateEbbT6_jjT7_P12ihipStream_tbENKUlT_T0_SH_SM_E_clISB_SB_SC_SC_EEDaS10_S11_SH_SM_EUlS10_E_NS1_11comp_targetILNS1_3genE6ELNS1_11target_archE950ELNS1_3gpuE13ELNS1_3repE0EEENS1_47radix_sort_onesweep_sort_config_static_selectorELNS0_4arch9wavefront6targetE0EEEvSH_.num_vgpr, 0
	.set _ZN7rocprim17ROCPRIM_400000_NS6detail17trampoline_kernelINS0_14default_configENS1_35radix_sort_onesweep_config_selectorI6__halfNS0_10empty_typeEEEZZNS1_29radix_sort_onesweep_iterationIS3_Lb0EPKS5_PS5_PS6_SC_mNS0_19identity_decomposerENS1_16block_id_wrapperIjLb1EEEEE10hipError_tT1_PNSt15iterator_traitsISH_E10value_typeET2_T3_PNSI_ISN_E10value_typeET4_T5_PSS_ST_PNS1_23onesweep_lookback_stateEbbT6_jjT7_P12ihipStream_tbENKUlT_T0_SH_SM_E_clISB_SB_SC_SC_EEDaS10_S11_SH_SM_EUlS10_E_NS1_11comp_targetILNS1_3genE6ELNS1_11target_archE950ELNS1_3gpuE13ELNS1_3repE0EEENS1_47radix_sort_onesweep_sort_config_static_selectorELNS0_4arch9wavefront6targetE0EEEvSH_.num_agpr, 0
	.set _ZN7rocprim17ROCPRIM_400000_NS6detail17trampoline_kernelINS0_14default_configENS1_35radix_sort_onesweep_config_selectorI6__halfNS0_10empty_typeEEEZZNS1_29radix_sort_onesweep_iterationIS3_Lb0EPKS5_PS5_PS6_SC_mNS0_19identity_decomposerENS1_16block_id_wrapperIjLb1EEEEE10hipError_tT1_PNSt15iterator_traitsISH_E10value_typeET2_T3_PNSI_ISN_E10value_typeET4_T5_PSS_ST_PNS1_23onesweep_lookback_stateEbbT6_jjT7_P12ihipStream_tbENKUlT_T0_SH_SM_E_clISB_SB_SC_SC_EEDaS10_S11_SH_SM_EUlS10_E_NS1_11comp_targetILNS1_3genE6ELNS1_11target_archE950ELNS1_3gpuE13ELNS1_3repE0EEENS1_47radix_sort_onesweep_sort_config_static_selectorELNS0_4arch9wavefront6targetE0EEEvSH_.numbered_sgpr, 0
	.set _ZN7rocprim17ROCPRIM_400000_NS6detail17trampoline_kernelINS0_14default_configENS1_35radix_sort_onesweep_config_selectorI6__halfNS0_10empty_typeEEEZZNS1_29radix_sort_onesweep_iterationIS3_Lb0EPKS5_PS5_PS6_SC_mNS0_19identity_decomposerENS1_16block_id_wrapperIjLb1EEEEE10hipError_tT1_PNSt15iterator_traitsISH_E10value_typeET2_T3_PNSI_ISN_E10value_typeET4_T5_PSS_ST_PNS1_23onesweep_lookback_stateEbbT6_jjT7_P12ihipStream_tbENKUlT_T0_SH_SM_E_clISB_SB_SC_SC_EEDaS10_S11_SH_SM_EUlS10_E_NS1_11comp_targetILNS1_3genE6ELNS1_11target_archE950ELNS1_3gpuE13ELNS1_3repE0EEENS1_47radix_sort_onesweep_sort_config_static_selectorELNS0_4arch9wavefront6targetE0EEEvSH_.num_named_barrier, 0
	.set _ZN7rocprim17ROCPRIM_400000_NS6detail17trampoline_kernelINS0_14default_configENS1_35radix_sort_onesweep_config_selectorI6__halfNS0_10empty_typeEEEZZNS1_29radix_sort_onesweep_iterationIS3_Lb0EPKS5_PS5_PS6_SC_mNS0_19identity_decomposerENS1_16block_id_wrapperIjLb1EEEEE10hipError_tT1_PNSt15iterator_traitsISH_E10value_typeET2_T3_PNSI_ISN_E10value_typeET4_T5_PSS_ST_PNS1_23onesweep_lookback_stateEbbT6_jjT7_P12ihipStream_tbENKUlT_T0_SH_SM_E_clISB_SB_SC_SC_EEDaS10_S11_SH_SM_EUlS10_E_NS1_11comp_targetILNS1_3genE6ELNS1_11target_archE950ELNS1_3gpuE13ELNS1_3repE0EEENS1_47radix_sort_onesweep_sort_config_static_selectorELNS0_4arch9wavefront6targetE0EEEvSH_.private_seg_size, 0
	.set _ZN7rocprim17ROCPRIM_400000_NS6detail17trampoline_kernelINS0_14default_configENS1_35radix_sort_onesweep_config_selectorI6__halfNS0_10empty_typeEEEZZNS1_29radix_sort_onesweep_iterationIS3_Lb0EPKS5_PS5_PS6_SC_mNS0_19identity_decomposerENS1_16block_id_wrapperIjLb1EEEEE10hipError_tT1_PNSt15iterator_traitsISH_E10value_typeET2_T3_PNSI_ISN_E10value_typeET4_T5_PSS_ST_PNS1_23onesweep_lookback_stateEbbT6_jjT7_P12ihipStream_tbENKUlT_T0_SH_SM_E_clISB_SB_SC_SC_EEDaS10_S11_SH_SM_EUlS10_E_NS1_11comp_targetILNS1_3genE6ELNS1_11target_archE950ELNS1_3gpuE13ELNS1_3repE0EEENS1_47radix_sort_onesweep_sort_config_static_selectorELNS0_4arch9wavefront6targetE0EEEvSH_.uses_vcc, 0
	.set _ZN7rocprim17ROCPRIM_400000_NS6detail17trampoline_kernelINS0_14default_configENS1_35radix_sort_onesweep_config_selectorI6__halfNS0_10empty_typeEEEZZNS1_29radix_sort_onesweep_iterationIS3_Lb0EPKS5_PS5_PS6_SC_mNS0_19identity_decomposerENS1_16block_id_wrapperIjLb1EEEEE10hipError_tT1_PNSt15iterator_traitsISH_E10value_typeET2_T3_PNSI_ISN_E10value_typeET4_T5_PSS_ST_PNS1_23onesweep_lookback_stateEbbT6_jjT7_P12ihipStream_tbENKUlT_T0_SH_SM_E_clISB_SB_SC_SC_EEDaS10_S11_SH_SM_EUlS10_E_NS1_11comp_targetILNS1_3genE6ELNS1_11target_archE950ELNS1_3gpuE13ELNS1_3repE0EEENS1_47radix_sort_onesweep_sort_config_static_selectorELNS0_4arch9wavefront6targetE0EEEvSH_.uses_flat_scratch, 0
	.set _ZN7rocprim17ROCPRIM_400000_NS6detail17trampoline_kernelINS0_14default_configENS1_35radix_sort_onesweep_config_selectorI6__halfNS0_10empty_typeEEEZZNS1_29radix_sort_onesweep_iterationIS3_Lb0EPKS5_PS5_PS6_SC_mNS0_19identity_decomposerENS1_16block_id_wrapperIjLb1EEEEE10hipError_tT1_PNSt15iterator_traitsISH_E10value_typeET2_T3_PNSI_ISN_E10value_typeET4_T5_PSS_ST_PNS1_23onesweep_lookback_stateEbbT6_jjT7_P12ihipStream_tbENKUlT_T0_SH_SM_E_clISB_SB_SC_SC_EEDaS10_S11_SH_SM_EUlS10_E_NS1_11comp_targetILNS1_3genE6ELNS1_11target_archE950ELNS1_3gpuE13ELNS1_3repE0EEENS1_47radix_sort_onesweep_sort_config_static_selectorELNS0_4arch9wavefront6targetE0EEEvSH_.has_dyn_sized_stack, 0
	.set _ZN7rocprim17ROCPRIM_400000_NS6detail17trampoline_kernelINS0_14default_configENS1_35radix_sort_onesweep_config_selectorI6__halfNS0_10empty_typeEEEZZNS1_29radix_sort_onesweep_iterationIS3_Lb0EPKS5_PS5_PS6_SC_mNS0_19identity_decomposerENS1_16block_id_wrapperIjLb1EEEEE10hipError_tT1_PNSt15iterator_traitsISH_E10value_typeET2_T3_PNSI_ISN_E10value_typeET4_T5_PSS_ST_PNS1_23onesweep_lookback_stateEbbT6_jjT7_P12ihipStream_tbENKUlT_T0_SH_SM_E_clISB_SB_SC_SC_EEDaS10_S11_SH_SM_EUlS10_E_NS1_11comp_targetILNS1_3genE6ELNS1_11target_archE950ELNS1_3gpuE13ELNS1_3repE0EEENS1_47radix_sort_onesweep_sort_config_static_selectorELNS0_4arch9wavefront6targetE0EEEvSH_.has_recursion, 0
	.set _ZN7rocprim17ROCPRIM_400000_NS6detail17trampoline_kernelINS0_14default_configENS1_35radix_sort_onesweep_config_selectorI6__halfNS0_10empty_typeEEEZZNS1_29radix_sort_onesweep_iterationIS3_Lb0EPKS5_PS5_PS6_SC_mNS0_19identity_decomposerENS1_16block_id_wrapperIjLb1EEEEE10hipError_tT1_PNSt15iterator_traitsISH_E10value_typeET2_T3_PNSI_ISN_E10value_typeET4_T5_PSS_ST_PNS1_23onesweep_lookback_stateEbbT6_jjT7_P12ihipStream_tbENKUlT_T0_SH_SM_E_clISB_SB_SC_SC_EEDaS10_S11_SH_SM_EUlS10_E_NS1_11comp_targetILNS1_3genE6ELNS1_11target_archE950ELNS1_3gpuE13ELNS1_3repE0EEENS1_47radix_sort_onesweep_sort_config_static_selectorELNS0_4arch9wavefront6targetE0EEEvSH_.has_indirect_call, 0
	.section	.AMDGPU.csdata,"",@progbits
; Kernel info:
; codeLenInByte = 0
; TotalNumSgprs: 0
; NumVgprs: 0
; ScratchSize: 0
; MemoryBound: 0
; FloatMode: 240
; IeeeMode: 1
; LDSByteSize: 0 bytes/workgroup (compile time only)
; SGPRBlocks: 0
; VGPRBlocks: 0
; NumSGPRsForWavesPerEU: 1
; NumVGPRsForWavesPerEU: 1
; NamedBarCnt: 0
; Occupancy: 16
; WaveLimiterHint : 0
; COMPUTE_PGM_RSRC2:SCRATCH_EN: 0
; COMPUTE_PGM_RSRC2:USER_SGPR: 2
; COMPUTE_PGM_RSRC2:TRAP_HANDLER: 0
; COMPUTE_PGM_RSRC2:TGID_X_EN: 1
; COMPUTE_PGM_RSRC2:TGID_Y_EN: 0
; COMPUTE_PGM_RSRC2:TGID_Z_EN: 0
; COMPUTE_PGM_RSRC2:TIDIG_COMP_CNT: 0
	.section	.text._ZN7rocprim17ROCPRIM_400000_NS6detail17trampoline_kernelINS0_14default_configENS1_35radix_sort_onesweep_config_selectorI6__halfNS0_10empty_typeEEEZZNS1_29radix_sort_onesweep_iterationIS3_Lb0EPKS5_PS5_PS6_SC_mNS0_19identity_decomposerENS1_16block_id_wrapperIjLb1EEEEE10hipError_tT1_PNSt15iterator_traitsISH_E10value_typeET2_T3_PNSI_ISN_E10value_typeET4_T5_PSS_ST_PNS1_23onesweep_lookback_stateEbbT6_jjT7_P12ihipStream_tbENKUlT_T0_SH_SM_E_clISB_SB_SC_SC_EEDaS10_S11_SH_SM_EUlS10_E_NS1_11comp_targetILNS1_3genE5ELNS1_11target_archE942ELNS1_3gpuE9ELNS1_3repE0EEENS1_47radix_sort_onesweep_sort_config_static_selectorELNS0_4arch9wavefront6targetE0EEEvSH_,"axG",@progbits,_ZN7rocprim17ROCPRIM_400000_NS6detail17trampoline_kernelINS0_14default_configENS1_35radix_sort_onesweep_config_selectorI6__halfNS0_10empty_typeEEEZZNS1_29radix_sort_onesweep_iterationIS3_Lb0EPKS5_PS5_PS6_SC_mNS0_19identity_decomposerENS1_16block_id_wrapperIjLb1EEEEE10hipError_tT1_PNSt15iterator_traitsISH_E10value_typeET2_T3_PNSI_ISN_E10value_typeET4_T5_PSS_ST_PNS1_23onesweep_lookback_stateEbbT6_jjT7_P12ihipStream_tbENKUlT_T0_SH_SM_E_clISB_SB_SC_SC_EEDaS10_S11_SH_SM_EUlS10_E_NS1_11comp_targetILNS1_3genE5ELNS1_11target_archE942ELNS1_3gpuE9ELNS1_3repE0EEENS1_47radix_sort_onesweep_sort_config_static_selectorELNS0_4arch9wavefront6targetE0EEEvSH_,comdat
	.protected	_ZN7rocprim17ROCPRIM_400000_NS6detail17trampoline_kernelINS0_14default_configENS1_35radix_sort_onesweep_config_selectorI6__halfNS0_10empty_typeEEEZZNS1_29radix_sort_onesweep_iterationIS3_Lb0EPKS5_PS5_PS6_SC_mNS0_19identity_decomposerENS1_16block_id_wrapperIjLb1EEEEE10hipError_tT1_PNSt15iterator_traitsISH_E10value_typeET2_T3_PNSI_ISN_E10value_typeET4_T5_PSS_ST_PNS1_23onesweep_lookback_stateEbbT6_jjT7_P12ihipStream_tbENKUlT_T0_SH_SM_E_clISB_SB_SC_SC_EEDaS10_S11_SH_SM_EUlS10_E_NS1_11comp_targetILNS1_3genE5ELNS1_11target_archE942ELNS1_3gpuE9ELNS1_3repE0EEENS1_47radix_sort_onesweep_sort_config_static_selectorELNS0_4arch9wavefront6targetE0EEEvSH_ ; -- Begin function _ZN7rocprim17ROCPRIM_400000_NS6detail17trampoline_kernelINS0_14default_configENS1_35radix_sort_onesweep_config_selectorI6__halfNS0_10empty_typeEEEZZNS1_29radix_sort_onesweep_iterationIS3_Lb0EPKS5_PS5_PS6_SC_mNS0_19identity_decomposerENS1_16block_id_wrapperIjLb1EEEEE10hipError_tT1_PNSt15iterator_traitsISH_E10value_typeET2_T3_PNSI_ISN_E10value_typeET4_T5_PSS_ST_PNS1_23onesweep_lookback_stateEbbT6_jjT7_P12ihipStream_tbENKUlT_T0_SH_SM_E_clISB_SB_SC_SC_EEDaS10_S11_SH_SM_EUlS10_E_NS1_11comp_targetILNS1_3genE5ELNS1_11target_archE942ELNS1_3gpuE9ELNS1_3repE0EEENS1_47radix_sort_onesweep_sort_config_static_selectorELNS0_4arch9wavefront6targetE0EEEvSH_
	.globl	_ZN7rocprim17ROCPRIM_400000_NS6detail17trampoline_kernelINS0_14default_configENS1_35radix_sort_onesweep_config_selectorI6__halfNS0_10empty_typeEEEZZNS1_29radix_sort_onesweep_iterationIS3_Lb0EPKS5_PS5_PS6_SC_mNS0_19identity_decomposerENS1_16block_id_wrapperIjLb1EEEEE10hipError_tT1_PNSt15iterator_traitsISH_E10value_typeET2_T3_PNSI_ISN_E10value_typeET4_T5_PSS_ST_PNS1_23onesweep_lookback_stateEbbT6_jjT7_P12ihipStream_tbENKUlT_T0_SH_SM_E_clISB_SB_SC_SC_EEDaS10_S11_SH_SM_EUlS10_E_NS1_11comp_targetILNS1_3genE5ELNS1_11target_archE942ELNS1_3gpuE9ELNS1_3repE0EEENS1_47radix_sort_onesweep_sort_config_static_selectorELNS0_4arch9wavefront6targetE0EEEvSH_
	.p2align	8
	.type	_ZN7rocprim17ROCPRIM_400000_NS6detail17trampoline_kernelINS0_14default_configENS1_35radix_sort_onesweep_config_selectorI6__halfNS0_10empty_typeEEEZZNS1_29radix_sort_onesweep_iterationIS3_Lb0EPKS5_PS5_PS6_SC_mNS0_19identity_decomposerENS1_16block_id_wrapperIjLb1EEEEE10hipError_tT1_PNSt15iterator_traitsISH_E10value_typeET2_T3_PNSI_ISN_E10value_typeET4_T5_PSS_ST_PNS1_23onesweep_lookback_stateEbbT6_jjT7_P12ihipStream_tbENKUlT_T0_SH_SM_E_clISB_SB_SC_SC_EEDaS10_S11_SH_SM_EUlS10_E_NS1_11comp_targetILNS1_3genE5ELNS1_11target_archE942ELNS1_3gpuE9ELNS1_3repE0EEENS1_47radix_sort_onesweep_sort_config_static_selectorELNS0_4arch9wavefront6targetE0EEEvSH_,@function
_ZN7rocprim17ROCPRIM_400000_NS6detail17trampoline_kernelINS0_14default_configENS1_35radix_sort_onesweep_config_selectorI6__halfNS0_10empty_typeEEEZZNS1_29radix_sort_onesweep_iterationIS3_Lb0EPKS5_PS5_PS6_SC_mNS0_19identity_decomposerENS1_16block_id_wrapperIjLb1EEEEE10hipError_tT1_PNSt15iterator_traitsISH_E10value_typeET2_T3_PNSI_ISN_E10value_typeET4_T5_PSS_ST_PNS1_23onesweep_lookback_stateEbbT6_jjT7_P12ihipStream_tbENKUlT_T0_SH_SM_E_clISB_SB_SC_SC_EEDaS10_S11_SH_SM_EUlS10_E_NS1_11comp_targetILNS1_3genE5ELNS1_11target_archE942ELNS1_3gpuE9ELNS1_3repE0EEENS1_47radix_sort_onesweep_sort_config_static_selectorELNS0_4arch9wavefront6targetE0EEEvSH_: ; @_ZN7rocprim17ROCPRIM_400000_NS6detail17trampoline_kernelINS0_14default_configENS1_35radix_sort_onesweep_config_selectorI6__halfNS0_10empty_typeEEEZZNS1_29radix_sort_onesweep_iterationIS3_Lb0EPKS5_PS5_PS6_SC_mNS0_19identity_decomposerENS1_16block_id_wrapperIjLb1EEEEE10hipError_tT1_PNSt15iterator_traitsISH_E10value_typeET2_T3_PNSI_ISN_E10value_typeET4_T5_PSS_ST_PNS1_23onesweep_lookback_stateEbbT6_jjT7_P12ihipStream_tbENKUlT_T0_SH_SM_E_clISB_SB_SC_SC_EEDaS10_S11_SH_SM_EUlS10_E_NS1_11comp_targetILNS1_3genE5ELNS1_11target_archE942ELNS1_3gpuE9ELNS1_3repE0EEENS1_47radix_sort_onesweep_sort_config_static_selectorELNS0_4arch9wavefront6targetE0EEEvSH_
; %bb.0:
	.section	.rodata,"a",@progbits
	.p2align	6, 0x0
	.amdhsa_kernel _ZN7rocprim17ROCPRIM_400000_NS6detail17trampoline_kernelINS0_14default_configENS1_35radix_sort_onesweep_config_selectorI6__halfNS0_10empty_typeEEEZZNS1_29radix_sort_onesweep_iterationIS3_Lb0EPKS5_PS5_PS6_SC_mNS0_19identity_decomposerENS1_16block_id_wrapperIjLb1EEEEE10hipError_tT1_PNSt15iterator_traitsISH_E10value_typeET2_T3_PNSI_ISN_E10value_typeET4_T5_PSS_ST_PNS1_23onesweep_lookback_stateEbbT6_jjT7_P12ihipStream_tbENKUlT_T0_SH_SM_E_clISB_SB_SC_SC_EEDaS10_S11_SH_SM_EUlS10_E_NS1_11comp_targetILNS1_3genE5ELNS1_11target_archE942ELNS1_3gpuE9ELNS1_3repE0EEENS1_47radix_sort_onesweep_sort_config_static_selectorELNS0_4arch9wavefront6targetE0EEEvSH_
		.amdhsa_group_segment_fixed_size 0
		.amdhsa_private_segment_fixed_size 0
		.amdhsa_kernarg_size 88
		.amdhsa_user_sgpr_count 2
		.amdhsa_user_sgpr_dispatch_ptr 0
		.amdhsa_user_sgpr_queue_ptr 0
		.amdhsa_user_sgpr_kernarg_segment_ptr 1
		.amdhsa_user_sgpr_dispatch_id 0
		.amdhsa_user_sgpr_kernarg_preload_length 0
		.amdhsa_user_sgpr_kernarg_preload_offset 0
		.amdhsa_user_sgpr_private_segment_size 0
		.amdhsa_wavefront_size32 1
		.amdhsa_uses_dynamic_stack 0
		.amdhsa_enable_private_segment 0
		.amdhsa_system_sgpr_workgroup_id_x 1
		.amdhsa_system_sgpr_workgroup_id_y 0
		.amdhsa_system_sgpr_workgroup_id_z 0
		.amdhsa_system_sgpr_workgroup_info 0
		.amdhsa_system_vgpr_workitem_id 0
		.amdhsa_next_free_vgpr 1
		.amdhsa_next_free_sgpr 1
		.amdhsa_named_barrier_count 0
		.amdhsa_reserve_vcc 0
		.amdhsa_float_round_mode_32 0
		.amdhsa_float_round_mode_16_64 0
		.amdhsa_float_denorm_mode_32 3
		.amdhsa_float_denorm_mode_16_64 3
		.amdhsa_fp16_overflow 0
		.amdhsa_memory_ordered 1
		.amdhsa_forward_progress 1
		.amdhsa_inst_pref_size 0
		.amdhsa_round_robin_scheduling 0
		.amdhsa_exception_fp_ieee_invalid_op 0
		.amdhsa_exception_fp_denorm_src 0
		.amdhsa_exception_fp_ieee_div_zero 0
		.amdhsa_exception_fp_ieee_overflow 0
		.amdhsa_exception_fp_ieee_underflow 0
		.amdhsa_exception_fp_ieee_inexact 0
		.amdhsa_exception_int_div_zero 0
	.end_amdhsa_kernel
	.section	.text._ZN7rocprim17ROCPRIM_400000_NS6detail17trampoline_kernelINS0_14default_configENS1_35radix_sort_onesweep_config_selectorI6__halfNS0_10empty_typeEEEZZNS1_29radix_sort_onesweep_iterationIS3_Lb0EPKS5_PS5_PS6_SC_mNS0_19identity_decomposerENS1_16block_id_wrapperIjLb1EEEEE10hipError_tT1_PNSt15iterator_traitsISH_E10value_typeET2_T3_PNSI_ISN_E10value_typeET4_T5_PSS_ST_PNS1_23onesweep_lookback_stateEbbT6_jjT7_P12ihipStream_tbENKUlT_T0_SH_SM_E_clISB_SB_SC_SC_EEDaS10_S11_SH_SM_EUlS10_E_NS1_11comp_targetILNS1_3genE5ELNS1_11target_archE942ELNS1_3gpuE9ELNS1_3repE0EEENS1_47radix_sort_onesweep_sort_config_static_selectorELNS0_4arch9wavefront6targetE0EEEvSH_,"axG",@progbits,_ZN7rocprim17ROCPRIM_400000_NS6detail17trampoline_kernelINS0_14default_configENS1_35radix_sort_onesweep_config_selectorI6__halfNS0_10empty_typeEEEZZNS1_29radix_sort_onesweep_iterationIS3_Lb0EPKS5_PS5_PS6_SC_mNS0_19identity_decomposerENS1_16block_id_wrapperIjLb1EEEEE10hipError_tT1_PNSt15iterator_traitsISH_E10value_typeET2_T3_PNSI_ISN_E10value_typeET4_T5_PSS_ST_PNS1_23onesweep_lookback_stateEbbT6_jjT7_P12ihipStream_tbENKUlT_T0_SH_SM_E_clISB_SB_SC_SC_EEDaS10_S11_SH_SM_EUlS10_E_NS1_11comp_targetILNS1_3genE5ELNS1_11target_archE942ELNS1_3gpuE9ELNS1_3repE0EEENS1_47radix_sort_onesweep_sort_config_static_selectorELNS0_4arch9wavefront6targetE0EEEvSH_,comdat
.Lfunc_end2261:
	.size	_ZN7rocprim17ROCPRIM_400000_NS6detail17trampoline_kernelINS0_14default_configENS1_35radix_sort_onesweep_config_selectorI6__halfNS0_10empty_typeEEEZZNS1_29radix_sort_onesweep_iterationIS3_Lb0EPKS5_PS5_PS6_SC_mNS0_19identity_decomposerENS1_16block_id_wrapperIjLb1EEEEE10hipError_tT1_PNSt15iterator_traitsISH_E10value_typeET2_T3_PNSI_ISN_E10value_typeET4_T5_PSS_ST_PNS1_23onesweep_lookback_stateEbbT6_jjT7_P12ihipStream_tbENKUlT_T0_SH_SM_E_clISB_SB_SC_SC_EEDaS10_S11_SH_SM_EUlS10_E_NS1_11comp_targetILNS1_3genE5ELNS1_11target_archE942ELNS1_3gpuE9ELNS1_3repE0EEENS1_47radix_sort_onesweep_sort_config_static_selectorELNS0_4arch9wavefront6targetE0EEEvSH_, .Lfunc_end2261-_ZN7rocprim17ROCPRIM_400000_NS6detail17trampoline_kernelINS0_14default_configENS1_35radix_sort_onesweep_config_selectorI6__halfNS0_10empty_typeEEEZZNS1_29radix_sort_onesweep_iterationIS3_Lb0EPKS5_PS5_PS6_SC_mNS0_19identity_decomposerENS1_16block_id_wrapperIjLb1EEEEE10hipError_tT1_PNSt15iterator_traitsISH_E10value_typeET2_T3_PNSI_ISN_E10value_typeET4_T5_PSS_ST_PNS1_23onesweep_lookback_stateEbbT6_jjT7_P12ihipStream_tbENKUlT_T0_SH_SM_E_clISB_SB_SC_SC_EEDaS10_S11_SH_SM_EUlS10_E_NS1_11comp_targetILNS1_3genE5ELNS1_11target_archE942ELNS1_3gpuE9ELNS1_3repE0EEENS1_47radix_sort_onesweep_sort_config_static_selectorELNS0_4arch9wavefront6targetE0EEEvSH_
                                        ; -- End function
	.set _ZN7rocprim17ROCPRIM_400000_NS6detail17trampoline_kernelINS0_14default_configENS1_35radix_sort_onesweep_config_selectorI6__halfNS0_10empty_typeEEEZZNS1_29radix_sort_onesweep_iterationIS3_Lb0EPKS5_PS5_PS6_SC_mNS0_19identity_decomposerENS1_16block_id_wrapperIjLb1EEEEE10hipError_tT1_PNSt15iterator_traitsISH_E10value_typeET2_T3_PNSI_ISN_E10value_typeET4_T5_PSS_ST_PNS1_23onesweep_lookback_stateEbbT6_jjT7_P12ihipStream_tbENKUlT_T0_SH_SM_E_clISB_SB_SC_SC_EEDaS10_S11_SH_SM_EUlS10_E_NS1_11comp_targetILNS1_3genE5ELNS1_11target_archE942ELNS1_3gpuE9ELNS1_3repE0EEENS1_47radix_sort_onesweep_sort_config_static_selectorELNS0_4arch9wavefront6targetE0EEEvSH_.num_vgpr, 0
	.set _ZN7rocprim17ROCPRIM_400000_NS6detail17trampoline_kernelINS0_14default_configENS1_35radix_sort_onesweep_config_selectorI6__halfNS0_10empty_typeEEEZZNS1_29radix_sort_onesweep_iterationIS3_Lb0EPKS5_PS5_PS6_SC_mNS0_19identity_decomposerENS1_16block_id_wrapperIjLb1EEEEE10hipError_tT1_PNSt15iterator_traitsISH_E10value_typeET2_T3_PNSI_ISN_E10value_typeET4_T5_PSS_ST_PNS1_23onesweep_lookback_stateEbbT6_jjT7_P12ihipStream_tbENKUlT_T0_SH_SM_E_clISB_SB_SC_SC_EEDaS10_S11_SH_SM_EUlS10_E_NS1_11comp_targetILNS1_3genE5ELNS1_11target_archE942ELNS1_3gpuE9ELNS1_3repE0EEENS1_47radix_sort_onesweep_sort_config_static_selectorELNS0_4arch9wavefront6targetE0EEEvSH_.num_agpr, 0
	.set _ZN7rocprim17ROCPRIM_400000_NS6detail17trampoline_kernelINS0_14default_configENS1_35radix_sort_onesweep_config_selectorI6__halfNS0_10empty_typeEEEZZNS1_29radix_sort_onesweep_iterationIS3_Lb0EPKS5_PS5_PS6_SC_mNS0_19identity_decomposerENS1_16block_id_wrapperIjLb1EEEEE10hipError_tT1_PNSt15iterator_traitsISH_E10value_typeET2_T3_PNSI_ISN_E10value_typeET4_T5_PSS_ST_PNS1_23onesweep_lookback_stateEbbT6_jjT7_P12ihipStream_tbENKUlT_T0_SH_SM_E_clISB_SB_SC_SC_EEDaS10_S11_SH_SM_EUlS10_E_NS1_11comp_targetILNS1_3genE5ELNS1_11target_archE942ELNS1_3gpuE9ELNS1_3repE0EEENS1_47radix_sort_onesweep_sort_config_static_selectorELNS0_4arch9wavefront6targetE0EEEvSH_.numbered_sgpr, 0
	.set _ZN7rocprim17ROCPRIM_400000_NS6detail17trampoline_kernelINS0_14default_configENS1_35radix_sort_onesweep_config_selectorI6__halfNS0_10empty_typeEEEZZNS1_29radix_sort_onesweep_iterationIS3_Lb0EPKS5_PS5_PS6_SC_mNS0_19identity_decomposerENS1_16block_id_wrapperIjLb1EEEEE10hipError_tT1_PNSt15iterator_traitsISH_E10value_typeET2_T3_PNSI_ISN_E10value_typeET4_T5_PSS_ST_PNS1_23onesweep_lookback_stateEbbT6_jjT7_P12ihipStream_tbENKUlT_T0_SH_SM_E_clISB_SB_SC_SC_EEDaS10_S11_SH_SM_EUlS10_E_NS1_11comp_targetILNS1_3genE5ELNS1_11target_archE942ELNS1_3gpuE9ELNS1_3repE0EEENS1_47radix_sort_onesweep_sort_config_static_selectorELNS0_4arch9wavefront6targetE0EEEvSH_.num_named_barrier, 0
	.set _ZN7rocprim17ROCPRIM_400000_NS6detail17trampoline_kernelINS0_14default_configENS1_35radix_sort_onesweep_config_selectorI6__halfNS0_10empty_typeEEEZZNS1_29radix_sort_onesweep_iterationIS3_Lb0EPKS5_PS5_PS6_SC_mNS0_19identity_decomposerENS1_16block_id_wrapperIjLb1EEEEE10hipError_tT1_PNSt15iterator_traitsISH_E10value_typeET2_T3_PNSI_ISN_E10value_typeET4_T5_PSS_ST_PNS1_23onesweep_lookback_stateEbbT6_jjT7_P12ihipStream_tbENKUlT_T0_SH_SM_E_clISB_SB_SC_SC_EEDaS10_S11_SH_SM_EUlS10_E_NS1_11comp_targetILNS1_3genE5ELNS1_11target_archE942ELNS1_3gpuE9ELNS1_3repE0EEENS1_47radix_sort_onesweep_sort_config_static_selectorELNS0_4arch9wavefront6targetE0EEEvSH_.private_seg_size, 0
	.set _ZN7rocprim17ROCPRIM_400000_NS6detail17trampoline_kernelINS0_14default_configENS1_35radix_sort_onesweep_config_selectorI6__halfNS0_10empty_typeEEEZZNS1_29radix_sort_onesweep_iterationIS3_Lb0EPKS5_PS5_PS6_SC_mNS0_19identity_decomposerENS1_16block_id_wrapperIjLb1EEEEE10hipError_tT1_PNSt15iterator_traitsISH_E10value_typeET2_T3_PNSI_ISN_E10value_typeET4_T5_PSS_ST_PNS1_23onesweep_lookback_stateEbbT6_jjT7_P12ihipStream_tbENKUlT_T0_SH_SM_E_clISB_SB_SC_SC_EEDaS10_S11_SH_SM_EUlS10_E_NS1_11comp_targetILNS1_3genE5ELNS1_11target_archE942ELNS1_3gpuE9ELNS1_3repE0EEENS1_47radix_sort_onesweep_sort_config_static_selectorELNS0_4arch9wavefront6targetE0EEEvSH_.uses_vcc, 0
	.set _ZN7rocprim17ROCPRIM_400000_NS6detail17trampoline_kernelINS0_14default_configENS1_35radix_sort_onesweep_config_selectorI6__halfNS0_10empty_typeEEEZZNS1_29radix_sort_onesweep_iterationIS3_Lb0EPKS5_PS5_PS6_SC_mNS0_19identity_decomposerENS1_16block_id_wrapperIjLb1EEEEE10hipError_tT1_PNSt15iterator_traitsISH_E10value_typeET2_T3_PNSI_ISN_E10value_typeET4_T5_PSS_ST_PNS1_23onesweep_lookback_stateEbbT6_jjT7_P12ihipStream_tbENKUlT_T0_SH_SM_E_clISB_SB_SC_SC_EEDaS10_S11_SH_SM_EUlS10_E_NS1_11comp_targetILNS1_3genE5ELNS1_11target_archE942ELNS1_3gpuE9ELNS1_3repE0EEENS1_47radix_sort_onesweep_sort_config_static_selectorELNS0_4arch9wavefront6targetE0EEEvSH_.uses_flat_scratch, 0
	.set _ZN7rocprim17ROCPRIM_400000_NS6detail17trampoline_kernelINS0_14default_configENS1_35radix_sort_onesweep_config_selectorI6__halfNS0_10empty_typeEEEZZNS1_29radix_sort_onesweep_iterationIS3_Lb0EPKS5_PS5_PS6_SC_mNS0_19identity_decomposerENS1_16block_id_wrapperIjLb1EEEEE10hipError_tT1_PNSt15iterator_traitsISH_E10value_typeET2_T3_PNSI_ISN_E10value_typeET4_T5_PSS_ST_PNS1_23onesweep_lookback_stateEbbT6_jjT7_P12ihipStream_tbENKUlT_T0_SH_SM_E_clISB_SB_SC_SC_EEDaS10_S11_SH_SM_EUlS10_E_NS1_11comp_targetILNS1_3genE5ELNS1_11target_archE942ELNS1_3gpuE9ELNS1_3repE0EEENS1_47radix_sort_onesweep_sort_config_static_selectorELNS0_4arch9wavefront6targetE0EEEvSH_.has_dyn_sized_stack, 0
	.set _ZN7rocprim17ROCPRIM_400000_NS6detail17trampoline_kernelINS0_14default_configENS1_35radix_sort_onesweep_config_selectorI6__halfNS0_10empty_typeEEEZZNS1_29radix_sort_onesweep_iterationIS3_Lb0EPKS5_PS5_PS6_SC_mNS0_19identity_decomposerENS1_16block_id_wrapperIjLb1EEEEE10hipError_tT1_PNSt15iterator_traitsISH_E10value_typeET2_T3_PNSI_ISN_E10value_typeET4_T5_PSS_ST_PNS1_23onesweep_lookback_stateEbbT6_jjT7_P12ihipStream_tbENKUlT_T0_SH_SM_E_clISB_SB_SC_SC_EEDaS10_S11_SH_SM_EUlS10_E_NS1_11comp_targetILNS1_3genE5ELNS1_11target_archE942ELNS1_3gpuE9ELNS1_3repE0EEENS1_47radix_sort_onesweep_sort_config_static_selectorELNS0_4arch9wavefront6targetE0EEEvSH_.has_recursion, 0
	.set _ZN7rocprim17ROCPRIM_400000_NS6detail17trampoline_kernelINS0_14default_configENS1_35radix_sort_onesweep_config_selectorI6__halfNS0_10empty_typeEEEZZNS1_29radix_sort_onesweep_iterationIS3_Lb0EPKS5_PS5_PS6_SC_mNS0_19identity_decomposerENS1_16block_id_wrapperIjLb1EEEEE10hipError_tT1_PNSt15iterator_traitsISH_E10value_typeET2_T3_PNSI_ISN_E10value_typeET4_T5_PSS_ST_PNS1_23onesweep_lookback_stateEbbT6_jjT7_P12ihipStream_tbENKUlT_T0_SH_SM_E_clISB_SB_SC_SC_EEDaS10_S11_SH_SM_EUlS10_E_NS1_11comp_targetILNS1_3genE5ELNS1_11target_archE942ELNS1_3gpuE9ELNS1_3repE0EEENS1_47radix_sort_onesweep_sort_config_static_selectorELNS0_4arch9wavefront6targetE0EEEvSH_.has_indirect_call, 0
	.section	.AMDGPU.csdata,"",@progbits
; Kernel info:
; codeLenInByte = 0
; TotalNumSgprs: 0
; NumVgprs: 0
; ScratchSize: 0
; MemoryBound: 0
; FloatMode: 240
; IeeeMode: 1
; LDSByteSize: 0 bytes/workgroup (compile time only)
; SGPRBlocks: 0
; VGPRBlocks: 0
; NumSGPRsForWavesPerEU: 1
; NumVGPRsForWavesPerEU: 1
; NamedBarCnt: 0
; Occupancy: 16
; WaveLimiterHint : 0
; COMPUTE_PGM_RSRC2:SCRATCH_EN: 0
; COMPUTE_PGM_RSRC2:USER_SGPR: 2
; COMPUTE_PGM_RSRC2:TRAP_HANDLER: 0
; COMPUTE_PGM_RSRC2:TGID_X_EN: 1
; COMPUTE_PGM_RSRC2:TGID_Y_EN: 0
; COMPUTE_PGM_RSRC2:TGID_Z_EN: 0
; COMPUTE_PGM_RSRC2:TIDIG_COMP_CNT: 0
	.section	.text._ZN7rocprim17ROCPRIM_400000_NS6detail17trampoline_kernelINS0_14default_configENS1_35radix_sort_onesweep_config_selectorI6__halfNS0_10empty_typeEEEZZNS1_29radix_sort_onesweep_iterationIS3_Lb0EPKS5_PS5_PS6_SC_mNS0_19identity_decomposerENS1_16block_id_wrapperIjLb1EEEEE10hipError_tT1_PNSt15iterator_traitsISH_E10value_typeET2_T3_PNSI_ISN_E10value_typeET4_T5_PSS_ST_PNS1_23onesweep_lookback_stateEbbT6_jjT7_P12ihipStream_tbENKUlT_T0_SH_SM_E_clISB_SB_SC_SC_EEDaS10_S11_SH_SM_EUlS10_E_NS1_11comp_targetILNS1_3genE2ELNS1_11target_archE906ELNS1_3gpuE6ELNS1_3repE0EEENS1_47radix_sort_onesweep_sort_config_static_selectorELNS0_4arch9wavefront6targetE0EEEvSH_,"axG",@progbits,_ZN7rocprim17ROCPRIM_400000_NS6detail17trampoline_kernelINS0_14default_configENS1_35radix_sort_onesweep_config_selectorI6__halfNS0_10empty_typeEEEZZNS1_29radix_sort_onesweep_iterationIS3_Lb0EPKS5_PS5_PS6_SC_mNS0_19identity_decomposerENS1_16block_id_wrapperIjLb1EEEEE10hipError_tT1_PNSt15iterator_traitsISH_E10value_typeET2_T3_PNSI_ISN_E10value_typeET4_T5_PSS_ST_PNS1_23onesweep_lookback_stateEbbT6_jjT7_P12ihipStream_tbENKUlT_T0_SH_SM_E_clISB_SB_SC_SC_EEDaS10_S11_SH_SM_EUlS10_E_NS1_11comp_targetILNS1_3genE2ELNS1_11target_archE906ELNS1_3gpuE6ELNS1_3repE0EEENS1_47radix_sort_onesweep_sort_config_static_selectorELNS0_4arch9wavefront6targetE0EEEvSH_,comdat
	.protected	_ZN7rocprim17ROCPRIM_400000_NS6detail17trampoline_kernelINS0_14default_configENS1_35radix_sort_onesweep_config_selectorI6__halfNS0_10empty_typeEEEZZNS1_29radix_sort_onesweep_iterationIS3_Lb0EPKS5_PS5_PS6_SC_mNS0_19identity_decomposerENS1_16block_id_wrapperIjLb1EEEEE10hipError_tT1_PNSt15iterator_traitsISH_E10value_typeET2_T3_PNSI_ISN_E10value_typeET4_T5_PSS_ST_PNS1_23onesweep_lookback_stateEbbT6_jjT7_P12ihipStream_tbENKUlT_T0_SH_SM_E_clISB_SB_SC_SC_EEDaS10_S11_SH_SM_EUlS10_E_NS1_11comp_targetILNS1_3genE2ELNS1_11target_archE906ELNS1_3gpuE6ELNS1_3repE0EEENS1_47radix_sort_onesweep_sort_config_static_selectorELNS0_4arch9wavefront6targetE0EEEvSH_ ; -- Begin function _ZN7rocprim17ROCPRIM_400000_NS6detail17trampoline_kernelINS0_14default_configENS1_35radix_sort_onesweep_config_selectorI6__halfNS0_10empty_typeEEEZZNS1_29radix_sort_onesweep_iterationIS3_Lb0EPKS5_PS5_PS6_SC_mNS0_19identity_decomposerENS1_16block_id_wrapperIjLb1EEEEE10hipError_tT1_PNSt15iterator_traitsISH_E10value_typeET2_T3_PNSI_ISN_E10value_typeET4_T5_PSS_ST_PNS1_23onesweep_lookback_stateEbbT6_jjT7_P12ihipStream_tbENKUlT_T0_SH_SM_E_clISB_SB_SC_SC_EEDaS10_S11_SH_SM_EUlS10_E_NS1_11comp_targetILNS1_3genE2ELNS1_11target_archE906ELNS1_3gpuE6ELNS1_3repE0EEENS1_47radix_sort_onesweep_sort_config_static_selectorELNS0_4arch9wavefront6targetE0EEEvSH_
	.globl	_ZN7rocprim17ROCPRIM_400000_NS6detail17trampoline_kernelINS0_14default_configENS1_35radix_sort_onesweep_config_selectorI6__halfNS0_10empty_typeEEEZZNS1_29radix_sort_onesweep_iterationIS3_Lb0EPKS5_PS5_PS6_SC_mNS0_19identity_decomposerENS1_16block_id_wrapperIjLb1EEEEE10hipError_tT1_PNSt15iterator_traitsISH_E10value_typeET2_T3_PNSI_ISN_E10value_typeET4_T5_PSS_ST_PNS1_23onesweep_lookback_stateEbbT6_jjT7_P12ihipStream_tbENKUlT_T0_SH_SM_E_clISB_SB_SC_SC_EEDaS10_S11_SH_SM_EUlS10_E_NS1_11comp_targetILNS1_3genE2ELNS1_11target_archE906ELNS1_3gpuE6ELNS1_3repE0EEENS1_47radix_sort_onesweep_sort_config_static_selectorELNS0_4arch9wavefront6targetE0EEEvSH_
	.p2align	8
	.type	_ZN7rocprim17ROCPRIM_400000_NS6detail17trampoline_kernelINS0_14default_configENS1_35radix_sort_onesweep_config_selectorI6__halfNS0_10empty_typeEEEZZNS1_29radix_sort_onesweep_iterationIS3_Lb0EPKS5_PS5_PS6_SC_mNS0_19identity_decomposerENS1_16block_id_wrapperIjLb1EEEEE10hipError_tT1_PNSt15iterator_traitsISH_E10value_typeET2_T3_PNSI_ISN_E10value_typeET4_T5_PSS_ST_PNS1_23onesweep_lookback_stateEbbT6_jjT7_P12ihipStream_tbENKUlT_T0_SH_SM_E_clISB_SB_SC_SC_EEDaS10_S11_SH_SM_EUlS10_E_NS1_11comp_targetILNS1_3genE2ELNS1_11target_archE906ELNS1_3gpuE6ELNS1_3repE0EEENS1_47radix_sort_onesweep_sort_config_static_selectorELNS0_4arch9wavefront6targetE0EEEvSH_,@function
_ZN7rocprim17ROCPRIM_400000_NS6detail17trampoline_kernelINS0_14default_configENS1_35radix_sort_onesweep_config_selectorI6__halfNS0_10empty_typeEEEZZNS1_29radix_sort_onesweep_iterationIS3_Lb0EPKS5_PS5_PS6_SC_mNS0_19identity_decomposerENS1_16block_id_wrapperIjLb1EEEEE10hipError_tT1_PNSt15iterator_traitsISH_E10value_typeET2_T3_PNSI_ISN_E10value_typeET4_T5_PSS_ST_PNS1_23onesweep_lookback_stateEbbT6_jjT7_P12ihipStream_tbENKUlT_T0_SH_SM_E_clISB_SB_SC_SC_EEDaS10_S11_SH_SM_EUlS10_E_NS1_11comp_targetILNS1_3genE2ELNS1_11target_archE906ELNS1_3gpuE6ELNS1_3repE0EEENS1_47radix_sort_onesweep_sort_config_static_selectorELNS0_4arch9wavefront6targetE0EEEvSH_: ; @_ZN7rocprim17ROCPRIM_400000_NS6detail17trampoline_kernelINS0_14default_configENS1_35radix_sort_onesweep_config_selectorI6__halfNS0_10empty_typeEEEZZNS1_29radix_sort_onesweep_iterationIS3_Lb0EPKS5_PS5_PS6_SC_mNS0_19identity_decomposerENS1_16block_id_wrapperIjLb1EEEEE10hipError_tT1_PNSt15iterator_traitsISH_E10value_typeET2_T3_PNSI_ISN_E10value_typeET4_T5_PSS_ST_PNS1_23onesweep_lookback_stateEbbT6_jjT7_P12ihipStream_tbENKUlT_T0_SH_SM_E_clISB_SB_SC_SC_EEDaS10_S11_SH_SM_EUlS10_E_NS1_11comp_targetILNS1_3genE2ELNS1_11target_archE906ELNS1_3gpuE6ELNS1_3repE0EEENS1_47radix_sort_onesweep_sort_config_static_selectorELNS0_4arch9wavefront6targetE0EEEvSH_
; %bb.0:
	.section	.rodata,"a",@progbits
	.p2align	6, 0x0
	.amdhsa_kernel _ZN7rocprim17ROCPRIM_400000_NS6detail17trampoline_kernelINS0_14default_configENS1_35radix_sort_onesweep_config_selectorI6__halfNS0_10empty_typeEEEZZNS1_29radix_sort_onesweep_iterationIS3_Lb0EPKS5_PS5_PS6_SC_mNS0_19identity_decomposerENS1_16block_id_wrapperIjLb1EEEEE10hipError_tT1_PNSt15iterator_traitsISH_E10value_typeET2_T3_PNSI_ISN_E10value_typeET4_T5_PSS_ST_PNS1_23onesweep_lookback_stateEbbT6_jjT7_P12ihipStream_tbENKUlT_T0_SH_SM_E_clISB_SB_SC_SC_EEDaS10_S11_SH_SM_EUlS10_E_NS1_11comp_targetILNS1_3genE2ELNS1_11target_archE906ELNS1_3gpuE6ELNS1_3repE0EEENS1_47radix_sort_onesweep_sort_config_static_selectorELNS0_4arch9wavefront6targetE0EEEvSH_
		.amdhsa_group_segment_fixed_size 0
		.amdhsa_private_segment_fixed_size 0
		.amdhsa_kernarg_size 88
		.amdhsa_user_sgpr_count 2
		.amdhsa_user_sgpr_dispatch_ptr 0
		.amdhsa_user_sgpr_queue_ptr 0
		.amdhsa_user_sgpr_kernarg_segment_ptr 1
		.amdhsa_user_sgpr_dispatch_id 0
		.amdhsa_user_sgpr_kernarg_preload_length 0
		.amdhsa_user_sgpr_kernarg_preload_offset 0
		.amdhsa_user_sgpr_private_segment_size 0
		.amdhsa_wavefront_size32 1
		.amdhsa_uses_dynamic_stack 0
		.amdhsa_enable_private_segment 0
		.amdhsa_system_sgpr_workgroup_id_x 1
		.amdhsa_system_sgpr_workgroup_id_y 0
		.amdhsa_system_sgpr_workgroup_id_z 0
		.amdhsa_system_sgpr_workgroup_info 0
		.amdhsa_system_vgpr_workitem_id 0
		.amdhsa_next_free_vgpr 1
		.amdhsa_next_free_sgpr 1
		.amdhsa_named_barrier_count 0
		.amdhsa_reserve_vcc 0
		.amdhsa_float_round_mode_32 0
		.amdhsa_float_round_mode_16_64 0
		.amdhsa_float_denorm_mode_32 3
		.amdhsa_float_denorm_mode_16_64 3
		.amdhsa_fp16_overflow 0
		.amdhsa_memory_ordered 1
		.amdhsa_forward_progress 1
		.amdhsa_inst_pref_size 0
		.amdhsa_round_robin_scheduling 0
		.amdhsa_exception_fp_ieee_invalid_op 0
		.amdhsa_exception_fp_denorm_src 0
		.amdhsa_exception_fp_ieee_div_zero 0
		.amdhsa_exception_fp_ieee_overflow 0
		.amdhsa_exception_fp_ieee_underflow 0
		.amdhsa_exception_fp_ieee_inexact 0
		.amdhsa_exception_int_div_zero 0
	.end_amdhsa_kernel
	.section	.text._ZN7rocprim17ROCPRIM_400000_NS6detail17trampoline_kernelINS0_14default_configENS1_35radix_sort_onesweep_config_selectorI6__halfNS0_10empty_typeEEEZZNS1_29radix_sort_onesweep_iterationIS3_Lb0EPKS5_PS5_PS6_SC_mNS0_19identity_decomposerENS1_16block_id_wrapperIjLb1EEEEE10hipError_tT1_PNSt15iterator_traitsISH_E10value_typeET2_T3_PNSI_ISN_E10value_typeET4_T5_PSS_ST_PNS1_23onesweep_lookback_stateEbbT6_jjT7_P12ihipStream_tbENKUlT_T0_SH_SM_E_clISB_SB_SC_SC_EEDaS10_S11_SH_SM_EUlS10_E_NS1_11comp_targetILNS1_3genE2ELNS1_11target_archE906ELNS1_3gpuE6ELNS1_3repE0EEENS1_47radix_sort_onesweep_sort_config_static_selectorELNS0_4arch9wavefront6targetE0EEEvSH_,"axG",@progbits,_ZN7rocprim17ROCPRIM_400000_NS6detail17trampoline_kernelINS0_14default_configENS1_35radix_sort_onesweep_config_selectorI6__halfNS0_10empty_typeEEEZZNS1_29radix_sort_onesweep_iterationIS3_Lb0EPKS5_PS5_PS6_SC_mNS0_19identity_decomposerENS1_16block_id_wrapperIjLb1EEEEE10hipError_tT1_PNSt15iterator_traitsISH_E10value_typeET2_T3_PNSI_ISN_E10value_typeET4_T5_PSS_ST_PNS1_23onesweep_lookback_stateEbbT6_jjT7_P12ihipStream_tbENKUlT_T0_SH_SM_E_clISB_SB_SC_SC_EEDaS10_S11_SH_SM_EUlS10_E_NS1_11comp_targetILNS1_3genE2ELNS1_11target_archE906ELNS1_3gpuE6ELNS1_3repE0EEENS1_47radix_sort_onesweep_sort_config_static_selectorELNS0_4arch9wavefront6targetE0EEEvSH_,comdat
.Lfunc_end2262:
	.size	_ZN7rocprim17ROCPRIM_400000_NS6detail17trampoline_kernelINS0_14default_configENS1_35radix_sort_onesweep_config_selectorI6__halfNS0_10empty_typeEEEZZNS1_29radix_sort_onesweep_iterationIS3_Lb0EPKS5_PS5_PS6_SC_mNS0_19identity_decomposerENS1_16block_id_wrapperIjLb1EEEEE10hipError_tT1_PNSt15iterator_traitsISH_E10value_typeET2_T3_PNSI_ISN_E10value_typeET4_T5_PSS_ST_PNS1_23onesweep_lookback_stateEbbT6_jjT7_P12ihipStream_tbENKUlT_T0_SH_SM_E_clISB_SB_SC_SC_EEDaS10_S11_SH_SM_EUlS10_E_NS1_11comp_targetILNS1_3genE2ELNS1_11target_archE906ELNS1_3gpuE6ELNS1_3repE0EEENS1_47radix_sort_onesweep_sort_config_static_selectorELNS0_4arch9wavefront6targetE0EEEvSH_, .Lfunc_end2262-_ZN7rocprim17ROCPRIM_400000_NS6detail17trampoline_kernelINS0_14default_configENS1_35radix_sort_onesweep_config_selectorI6__halfNS0_10empty_typeEEEZZNS1_29radix_sort_onesweep_iterationIS3_Lb0EPKS5_PS5_PS6_SC_mNS0_19identity_decomposerENS1_16block_id_wrapperIjLb1EEEEE10hipError_tT1_PNSt15iterator_traitsISH_E10value_typeET2_T3_PNSI_ISN_E10value_typeET4_T5_PSS_ST_PNS1_23onesweep_lookback_stateEbbT6_jjT7_P12ihipStream_tbENKUlT_T0_SH_SM_E_clISB_SB_SC_SC_EEDaS10_S11_SH_SM_EUlS10_E_NS1_11comp_targetILNS1_3genE2ELNS1_11target_archE906ELNS1_3gpuE6ELNS1_3repE0EEENS1_47radix_sort_onesweep_sort_config_static_selectorELNS0_4arch9wavefront6targetE0EEEvSH_
                                        ; -- End function
	.set _ZN7rocprim17ROCPRIM_400000_NS6detail17trampoline_kernelINS0_14default_configENS1_35radix_sort_onesweep_config_selectorI6__halfNS0_10empty_typeEEEZZNS1_29radix_sort_onesweep_iterationIS3_Lb0EPKS5_PS5_PS6_SC_mNS0_19identity_decomposerENS1_16block_id_wrapperIjLb1EEEEE10hipError_tT1_PNSt15iterator_traitsISH_E10value_typeET2_T3_PNSI_ISN_E10value_typeET4_T5_PSS_ST_PNS1_23onesweep_lookback_stateEbbT6_jjT7_P12ihipStream_tbENKUlT_T0_SH_SM_E_clISB_SB_SC_SC_EEDaS10_S11_SH_SM_EUlS10_E_NS1_11comp_targetILNS1_3genE2ELNS1_11target_archE906ELNS1_3gpuE6ELNS1_3repE0EEENS1_47radix_sort_onesweep_sort_config_static_selectorELNS0_4arch9wavefront6targetE0EEEvSH_.num_vgpr, 0
	.set _ZN7rocprim17ROCPRIM_400000_NS6detail17trampoline_kernelINS0_14default_configENS1_35radix_sort_onesweep_config_selectorI6__halfNS0_10empty_typeEEEZZNS1_29radix_sort_onesweep_iterationIS3_Lb0EPKS5_PS5_PS6_SC_mNS0_19identity_decomposerENS1_16block_id_wrapperIjLb1EEEEE10hipError_tT1_PNSt15iterator_traitsISH_E10value_typeET2_T3_PNSI_ISN_E10value_typeET4_T5_PSS_ST_PNS1_23onesweep_lookback_stateEbbT6_jjT7_P12ihipStream_tbENKUlT_T0_SH_SM_E_clISB_SB_SC_SC_EEDaS10_S11_SH_SM_EUlS10_E_NS1_11comp_targetILNS1_3genE2ELNS1_11target_archE906ELNS1_3gpuE6ELNS1_3repE0EEENS1_47radix_sort_onesweep_sort_config_static_selectorELNS0_4arch9wavefront6targetE0EEEvSH_.num_agpr, 0
	.set _ZN7rocprim17ROCPRIM_400000_NS6detail17trampoline_kernelINS0_14default_configENS1_35radix_sort_onesweep_config_selectorI6__halfNS0_10empty_typeEEEZZNS1_29radix_sort_onesweep_iterationIS3_Lb0EPKS5_PS5_PS6_SC_mNS0_19identity_decomposerENS1_16block_id_wrapperIjLb1EEEEE10hipError_tT1_PNSt15iterator_traitsISH_E10value_typeET2_T3_PNSI_ISN_E10value_typeET4_T5_PSS_ST_PNS1_23onesweep_lookback_stateEbbT6_jjT7_P12ihipStream_tbENKUlT_T0_SH_SM_E_clISB_SB_SC_SC_EEDaS10_S11_SH_SM_EUlS10_E_NS1_11comp_targetILNS1_3genE2ELNS1_11target_archE906ELNS1_3gpuE6ELNS1_3repE0EEENS1_47radix_sort_onesweep_sort_config_static_selectorELNS0_4arch9wavefront6targetE0EEEvSH_.numbered_sgpr, 0
	.set _ZN7rocprim17ROCPRIM_400000_NS6detail17trampoline_kernelINS0_14default_configENS1_35radix_sort_onesweep_config_selectorI6__halfNS0_10empty_typeEEEZZNS1_29radix_sort_onesweep_iterationIS3_Lb0EPKS5_PS5_PS6_SC_mNS0_19identity_decomposerENS1_16block_id_wrapperIjLb1EEEEE10hipError_tT1_PNSt15iterator_traitsISH_E10value_typeET2_T3_PNSI_ISN_E10value_typeET4_T5_PSS_ST_PNS1_23onesweep_lookback_stateEbbT6_jjT7_P12ihipStream_tbENKUlT_T0_SH_SM_E_clISB_SB_SC_SC_EEDaS10_S11_SH_SM_EUlS10_E_NS1_11comp_targetILNS1_3genE2ELNS1_11target_archE906ELNS1_3gpuE6ELNS1_3repE0EEENS1_47radix_sort_onesweep_sort_config_static_selectorELNS0_4arch9wavefront6targetE0EEEvSH_.num_named_barrier, 0
	.set _ZN7rocprim17ROCPRIM_400000_NS6detail17trampoline_kernelINS0_14default_configENS1_35radix_sort_onesweep_config_selectorI6__halfNS0_10empty_typeEEEZZNS1_29radix_sort_onesweep_iterationIS3_Lb0EPKS5_PS5_PS6_SC_mNS0_19identity_decomposerENS1_16block_id_wrapperIjLb1EEEEE10hipError_tT1_PNSt15iterator_traitsISH_E10value_typeET2_T3_PNSI_ISN_E10value_typeET4_T5_PSS_ST_PNS1_23onesweep_lookback_stateEbbT6_jjT7_P12ihipStream_tbENKUlT_T0_SH_SM_E_clISB_SB_SC_SC_EEDaS10_S11_SH_SM_EUlS10_E_NS1_11comp_targetILNS1_3genE2ELNS1_11target_archE906ELNS1_3gpuE6ELNS1_3repE0EEENS1_47radix_sort_onesweep_sort_config_static_selectorELNS0_4arch9wavefront6targetE0EEEvSH_.private_seg_size, 0
	.set _ZN7rocprim17ROCPRIM_400000_NS6detail17trampoline_kernelINS0_14default_configENS1_35radix_sort_onesweep_config_selectorI6__halfNS0_10empty_typeEEEZZNS1_29radix_sort_onesweep_iterationIS3_Lb0EPKS5_PS5_PS6_SC_mNS0_19identity_decomposerENS1_16block_id_wrapperIjLb1EEEEE10hipError_tT1_PNSt15iterator_traitsISH_E10value_typeET2_T3_PNSI_ISN_E10value_typeET4_T5_PSS_ST_PNS1_23onesweep_lookback_stateEbbT6_jjT7_P12ihipStream_tbENKUlT_T0_SH_SM_E_clISB_SB_SC_SC_EEDaS10_S11_SH_SM_EUlS10_E_NS1_11comp_targetILNS1_3genE2ELNS1_11target_archE906ELNS1_3gpuE6ELNS1_3repE0EEENS1_47radix_sort_onesweep_sort_config_static_selectorELNS0_4arch9wavefront6targetE0EEEvSH_.uses_vcc, 0
	.set _ZN7rocprim17ROCPRIM_400000_NS6detail17trampoline_kernelINS0_14default_configENS1_35radix_sort_onesweep_config_selectorI6__halfNS0_10empty_typeEEEZZNS1_29radix_sort_onesweep_iterationIS3_Lb0EPKS5_PS5_PS6_SC_mNS0_19identity_decomposerENS1_16block_id_wrapperIjLb1EEEEE10hipError_tT1_PNSt15iterator_traitsISH_E10value_typeET2_T3_PNSI_ISN_E10value_typeET4_T5_PSS_ST_PNS1_23onesweep_lookback_stateEbbT6_jjT7_P12ihipStream_tbENKUlT_T0_SH_SM_E_clISB_SB_SC_SC_EEDaS10_S11_SH_SM_EUlS10_E_NS1_11comp_targetILNS1_3genE2ELNS1_11target_archE906ELNS1_3gpuE6ELNS1_3repE0EEENS1_47radix_sort_onesweep_sort_config_static_selectorELNS0_4arch9wavefront6targetE0EEEvSH_.uses_flat_scratch, 0
	.set _ZN7rocprim17ROCPRIM_400000_NS6detail17trampoline_kernelINS0_14default_configENS1_35radix_sort_onesweep_config_selectorI6__halfNS0_10empty_typeEEEZZNS1_29radix_sort_onesweep_iterationIS3_Lb0EPKS5_PS5_PS6_SC_mNS0_19identity_decomposerENS1_16block_id_wrapperIjLb1EEEEE10hipError_tT1_PNSt15iterator_traitsISH_E10value_typeET2_T3_PNSI_ISN_E10value_typeET4_T5_PSS_ST_PNS1_23onesweep_lookback_stateEbbT6_jjT7_P12ihipStream_tbENKUlT_T0_SH_SM_E_clISB_SB_SC_SC_EEDaS10_S11_SH_SM_EUlS10_E_NS1_11comp_targetILNS1_3genE2ELNS1_11target_archE906ELNS1_3gpuE6ELNS1_3repE0EEENS1_47radix_sort_onesweep_sort_config_static_selectorELNS0_4arch9wavefront6targetE0EEEvSH_.has_dyn_sized_stack, 0
	.set _ZN7rocprim17ROCPRIM_400000_NS6detail17trampoline_kernelINS0_14default_configENS1_35radix_sort_onesweep_config_selectorI6__halfNS0_10empty_typeEEEZZNS1_29radix_sort_onesweep_iterationIS3_Lb0EPKS5_PS5_PS6_SC_mNS0_19identity_decomposerENS1_16block_id_wrapperIjLb1EEEEE10hipError_tT1_PNSt15iterator_traitsISH_E10value_typeET2_T3_PNSI_ISN_E10value_typeET4_T5_PSS_ST_PNS1_23onesweep_lookback_stateEbbT6_jjT7_P12ihipStream_tbENKUlT_T0_SH_SM_E_clISB_SB_SC_SC_EEDaS10_S11_SH_SM_EUlS10_E_NS1_11comp_targetILNS1_3genE2ELNS1_11target_archE906ELNS1_3gpuE6ELNS1_3repE0EEENS1_47radix_sort_onesweep_sort_config_static_selectorELNS0_4arch9wavefront6targetE0EEEvSH_.has_recursion, 0
	.set _ZN7rocprim17ROCPRIM_400000_NS6detail17trampoline_kernelINS0_14default_configENS1_35radix_sort_onesweep_config_selectorI6__halfNS0_10empty_typeEEEZZNS1_29radix_sort_onesweep_iterationIS3_Lb0EPKS5_PS5_PS6_SC_mNS0_19identity_decomposerENS1_16block_id_wrapperIjLb1EEEEE10hipError_tT1_PNSt15iterator_traitsISH_E10value_typeET2_T3_PNSI_ISN_E10value_typeET4_T5_PSS_ST_PNS1_23onesweep_lookback_stateEbbT6_jjT7_P12ihipStream_tbENKUlT_T0_SH_SM_E_clISB_SB_SC_SC_EEDaS10_S11_SH_SM_EUlS10_E_NS1_11comp_targetILNS1_3genE2ELNS1_11target_archE906ELNS1_3gpuE6ELNS1_3repE0EEENS1_47radix_sort_onesweep_sort_config_static_selectorELNS0_4arch9wavefront6targetE0EEEvSH_.has_indirect_call, 0
	.section	.AMDGPU.csdata,"",@progbits
; Kernel info:
; codeLenInByte = 0
; TotalNumSgprs: 0
; NumVgprs: 0
; ScratchSize: 0
; MemoryBound: 0
; FloatMode: 240
; IeeeMode: 1
; LDSByteSize: 0 bytes/workgroup (compile time only)
; SGPRBlocks: 0
; VGPRBlocks: 0
; NumSGPRsForWavesPerEU: 1
; NumVGPRsForWavesPerEU: 1
; NamedBarCnt: 0
; Occupancy: 16
; WaveLimiterHint : 0
; COMPUTE_PGM_RSRC2:SCRATCH_EN: 0
; COMPUTE_PGM_RSRC2:USER_SGPR: 2
; COMPUTE_PGM_RSRC2:TRAP_HANDLER: 0
; COMPUTE_PGM_RSRC2:TGID_X_EN: 1
; COMPUTE_PGM_RSRC2:TGID_Y_EN: 0
; COMPUTE_PGM_RSRC2:TGID_Z_EN: 0
; COMPUTE_PGM_RSRC2:TIDIG_COMP_CNT: 0
	.section	.text._ZN7rocprim17ROCPRIM_400000_NS6detail17trampoline_kernelINS0_14default_configENS1_35radix_sort_onesweep_config_selectorI6__halfNS0_10empty_typeEEEZZNS1_29radix_sort_onesweep_iterationIS3_Lb0EPKS5_PS5_PS6_SC_mNS0_19identity_decomposerENS1_16block_id_wrapperIjLb1EEEEE10hipError_tT1_PNSt15iterator_traitsISH_E10value_typeET2_T3_PNSI_ISN_E10value_typeET4_T5_PSS_ST_PNS1_23onesweep_lookback_stateEbbT6_jjT7_P12ihipStream_tbENKUlT_T0_SH_SM_E_clISB_SB_SC_SC_EEDaS10_S11_SH_SM_EUlS10_E_NS1_11comp_targetILNS1_3genE4ELNS1_11target_archE910ELNS1_3gpuE8ELNS1_3repE0EEENS1_47radix_sort_onesweep_sort_config_static_selectorELNS0_4arch9wavefront6targetE0EEEvSH_,"axG",@progbits,_ZN7rocprim17ROCPRIM_400000_NS6detail17trampoline_kernelINS0_14default_configENS1_35radix_sort_onesweep_config_selectorI6__halfNS0_10empty_typeEEEZZNS1_29radix_sort_onesweep_iterationIS3_Lb0EPKS5_PS5_PS6_SC_mNS0_19identity_decomposerENS1_16block_id_wrapperIjLb1EEEEE10hipError_tT1_PNSt15iterator_traitsISH_E10value_typeET2_T3_PNSI_ISN_E10value_typeET4_T5_PSS_ST_PNS1_23onesweep_lookback_stateEbbT6_jjT7_P12ihipStream_tbENKUlT_T0_SH_SM_E_clISB_SB_SC_SC_EEDaS10_S11_SH_SM_EUlS10_E_NS1_11comp_targetILNS1_3genE4ELNS1_11target_archE910ELNS1_3gpuE8ELNS1_3repE0EEENS1_47radix_sort_onesweep_sort_config_static_selectorELNS0_4arch9wavefront6targetE0EEEvSH_,comdat
	.protected	_ZN7rocprim17ROCPRIM_400000_NS6detail17trampoline_kernelINS0_14default_configENS1_35radix_sort_onesweep_config_selectorI6__halfNS0_10empty_typeEEEZZNS1_29radix_sort_onesweep_iterationIS3_Lb0EPKS5_PS5_PS6_SC_mNS0_19identity_decomposerENS1_16block_id_wrapperIjLb1EEEEE10hipError_tT1_PNSt15iterator_traitsISH_E10value_typeET2_T3_PNSI_ISN_E10value_typeET4_T5_PSS_ST_PNS1_23onesweep_lookback_stateEbbT6_jjT7_P12ihipStream_tbENKUlT_T0_SH_SM_E_clISB_SB_SC_SC_EEDaS10_S11_SH_SM_EUlS10_E_NS1_11comp_targetILNS1_3genE4ELNS1_11target_archE910ELNS1_3gpuE8ELNS1_3repE0EEENS1_47radix_sort_onesweep_sort_config_static_selectorELNS0_4arch9wavefront6targetE0EEEvSH_ ; -- Begin function _ZN7rocprim17ROCPRIM_400000_NS6detail17trampoline_kernelINS0_14default_configENS1_35radix_sort_onesweep_config_selectorI6__halfNS0_10empty_typeEEEZZNS1_29radix_sort_onesweep_iterationIS3_Lb0EPKS5_PS5_PS6_SC_mNS0_19identity_decomposerENS1_16block_id_wrapperIjLb1EEEEE10hipError_tT1_PNSt15iterator_traitsISH_E10value_typeET2_T3_PNSI_ISN_E10value_typeET4_T5_PSS_ST_PNS1_23onesweep_lookback_stateEbbT6_jjT7_P12ihipStream_tbENKUlT_T0_SH_SM_E_clISB_SB_SC_SC_EEDaS10_S11_SH_SM_EUlS10_E_NS1_11comp_targetILNS1_3genE4ELNS1_11target_archE910ELNS1_3gpuE8ELNS1_3repE0EEENS1_47radix_sort_onesweep_sort_config_static_selectorELNS0_4arch9wavefront6targetE0EEEvSH_
	.globl	_ZN7rocprim17ROCPRIM_400000_NS6detail17trampoline_kernelINS0_14default_configENS1_35radix_sort_onesweep_config_selectorI6__halfNS0_10empty_typeEEEZZNS1_29radix_sort_onesweep_iterationIS3_Lb0EPKS5_PS5_PS6_SC_mNS0_19identity_decomposerENS1_16block_id_wrapperIjLb1EEEEE10hipError_tT1_PNSt15iterator_traitsISH_E10value_typeET2_T3_PNSI_ISN_E10value_typeET4_T5_PSS_ST_PNS1_23onesweep_lookback_stateEbbT6_jjT7_P12ihipStream_tbENKUlT_T0_SH_SM_E_clISB_SB_SC_SC_EEDaS10_S11_SH_SM_EUlS10_E_NS1_11comp_targetILNS1_3genE4ELNS1_11target_archE910ELNS1_3gpuE8ELNS1_3repE0EEENS1_47radix_sort_onesweep_sort_config_static_selectorELNS0_4arch9wavefront6targetE0EEEvSH_
	.p2align	8
	.type	_ZN7rocprim17ROCPRIM_400000_NS6detail17trampoline_kernelINS0_14default_configENS1_35radix_sort_onesweep_config_selectorI6__halfNS0_10empty_typeEEEZZNS1_29radix_sort_onesweep_iterationIS3_Lb0EPKS5_PS5_PS6_SC_mNS0_19identity_decomposerENS1_16block_id_wrapperIjLb1EEEEE10hipError_tT1_PNSt15iterator_traitsISH_E10value_typeET2_T3_PNSI_ISN_E10value_typeET4_T5_PSS_ST_PNS1_23onesweep_lookback_stateEbbT6_jjT7_P12ihipStream_tbENKUlT_T0_SH_SM_E_clISB_SB_SC_SC_EEDaS10_S11_SH_SM_EUlS10_E_NS1_11comp_targetILNS1_3genE4ELNS1_11target_archE910ELNS1_3gpuE8ELNS1_3repE0EEENS1_47radix_sort_onesweep_sort_config_static_selectorELNS0_4arch9wavefront6targetE0EEEvSH_,@function
_ZN7rocprim17ROCPRIM_400000_NS6detail17trampoline_kernelINS0_14default_configENS1_35radix_sort_onesweep_config_selectorI6__halfNS0_10empty_typeEEEZZNS1_29radix_sort_onesweep_iterationIS3_Lb0EPKS5_PS5_PS6_SC_mNS0_19identity_decomposerENS1_16block_id_wrapperIjLb1EEEEE10hipError_tT1_PNSt15iterator_traitsISH_E10value_typeET2_T3_PNSI_ISN_E10value_typeET4_T5_PSS_ST_PNS1_23onesweep_lookback_stateEbbT6_jjT7_P12ihipStream_tbENKUlT_T0_SH_SM_E_clISB_SB_SC_SC_EEDaS10_S11_SH_SM_EUlS10_E_NS1_11comp_targetILNS1_3genE4ELNS1_11target_archE910ELNS1_3gpuE8ELNS1_3repE0EEENS1_47radix_sort_onesweep_sort_config_static_selectorELNS0_4arch9wavefront6targetE0EEEvSH_: ; @_ZN7rocprim17ROCPRIM_400000_NS6detail17trampoline_kernelINS0_14default_configENS1_35radix_sort_onesweep_config_selectorI6__halfNS0_10empty_typeEEEZZNS1_29radix_sort_onesweep_iterationIS3_Lb0EPKS5_PS5_PS6_SC_mNS0_19identity_decomposerENS1_16block_id_wrapperIjLb1EEEEE10hipError_tT1_PNSt15iterator_traitsISH_E10value_typeET2_T3_PNSI_ISN_E10value_typeET4_T5_PSS_ST_PNS1_23onesweep_lookback_stateEbbT6_jjT7_P12ihipStream_tbENKUlT_T0_SH_SM_E_clISB_SB_SC_SC_EEDaS10_S11_SH_SM_EUlS10_E_NS1_11comp_targetILNS1_3genE4ELNS1_11target_archE910ELNS1_3gpuE8ELNS1_3repE0EEENS1_47radix_sort_onesweep_sort_config_static_selectorELNS0_4arch9wavefront6targetE0EEEvSH_
; %bb.0:
	.section	.rodata,"a",@progbits
	.p2align	6, 0x0
	.amdhsa_kernel _ZN7rocprim17ROCPRIM_400000_NS6detail17trampoline_kernelINS0_14default_configENS1_35radix_sort_onesweep_config_selectorI6__halfNS0_10empty_typeEEEZZNS1_29radix_sort_onesweep_iterationIS3_Lb0EPKS5_PS5_PS6_SC_mNS0_19identity_decomposerENS1_16block_id_wrapperIjLb1EEEEE10hipError_tT1_PNSt15iterator_traitsISH_E10value_typeET2_T3_PNSI_ISN_E10value_typeET4_T5_PSS_ST_PNS1_23onesweep_lookback_stateEbbT6_jjT7_P12ihipStream_tbENKUlT_T0_SH_SM_E_clISB_SB_SC_SC_EEDaS10_S11_SH_SM_EUlS10_E_NS1_11comp_targetILNS1_3genE4ELNS1_11target_archE910ELNS1_3gpuE8ELNS1_3repE0EEENS1_47radix_sort_onesweep_sort_config_static_selectorELNS0_4arch9wavefront6targetE0EEEvSH_
		.amdhsa_group_segment_fixed_size 0
		.amdhsa_private_segment_fixed_size 0
		.amdhsa_kernarg_size 88
		.amdhsa_user_sgpr_count 2
		.amdhsa_user_sgpr_dispatch_ptr 0
		.amdhsa_user_sgpr_queue_ptr 0
		.amdhsa_user_sgpr_kernarg_segment_ptr 1
		.amdhsa_user_sgpr_dispatch_id 0
		.amdhsa_user_sgpr_kernarg_preload_length 0
		.amdhsa_user_sgpr_kernarg_preload_offset 0
		.amdhsa_user_sgpr_private_segment_size 0
		.amdhsa_wavefront_size32 1
		.amdhsa_uses_dynamic_stack 0
		.amdhsa_enable_private_segment 0
		.amdhsa_system_sgpr_workgroup_id_x 1
		.amdhsa_system_sgpr_workgroup_id_y 0
		.amdhsa_system_sgpr_workgroup_id_z 0
		.amdhsa_system_sgpr_workgroup_info 0
		.amdhsa_system_vgpr_workitem_id 0
		.amdhsa_next_free_vgpr 1
		.amdhsa_next_free_sgpr 1
		.amdhsa_named_barrier_count 0
		.amdhsa_reserve_vcc 0
		.amdhsa_float_round_mode_32 0
		.amdhsa_float_round_mode_16_64 0
		.amdhsa_float_denorm_mode_32 3
		.amdhsa_float_denorm_mode_16_64 3
		.amdhsa_fp16_overflow 0
		.amdhsa_memory_ordered 1
		.amdhsa_forward_progress 1
		.amdhsa_inst_pref_size 0
		.amdhsa_round_robin_scheduling 0
		.amdhsa_exception_fp_ieee_invalid_op 0
		.amdhsa_exception_fp_denorm_src 0
		.amdhsa_exception_fp_ieee_div_zero 0
		.amdhsa_exception_fp_ieee_overflow 0
		.amdhsa_exception_fp_ieee_underflow 0
		.amdhsa_exception_fp_ieee_inexact 0
		.amdhsa_exception_int_div_zero 0
	.end_amdhsa_kernel
	.section	.text._ZN7rocprim17ROCPRIM_400000_NS6detail17trampoline_kernelINS0_14default_configENS1_35radix_sort_onesweep_config_selectorI6__halfNS0_10empty_typeEEEZZNS1_29radix_sort_onesweep_iterationIS3_Lb0EPKS5_PS5_PS6_SC_mNS0_19identity_decomposerENS1_16block_id_wrapperIjLb1EEEEE10hipError_tT1_PNSt15iterator_traitsISH_E10value_typeET2_T3_PNSI_ISN_E10value_typeET4_T5_PSS_ST_PNS1_23onesweep_lookback_stateEbbT6_jjT7_P12ihipStream_tbENKUlT_T0_SH_SM_E_clISB_SB_SC_SC_EEDaS10_S11_SH_SM_EUlS10_E_NS1_11comp_targetILNS1_3genE4ELNS1_11target_archE910ELNS1_3gpuE8ELNS1_3repE0EEENS1_47radix_sort_onesweep_sort_config_static_selectorELNS0_4arch9wavefront6targetE0EEEvSH_,"axG",@progbits,_ZN7rocprim17ROCPRIM_400000_NS6detail17trampoline_kernelINS0_14default_configENS1_35radix_sort_onesweep_config_selectorI6__halfNS0_10empty_typeEEEZZNS1_29radix_sort_onesweep_iterationIS3_Lb0EPKS5_PS5_PS6_SC_mNS0_19identity_decomposerENS1_16block_id_wrapperIjLb1EEEEE10hipError_tT1_PNSt15iterator_traitsISH_E10value_typeET2_T3_PNSI_ISN_E10value_typeET4_T5_PSS_ST_PNS1_23onesweep_lookback_stateEbbT6_jjT7_P12ihipStream_tbENKUlT_T0_SH_SM_E_clISB_SB_SC_SC_EEDaS10_S11_SH_SM_EUlS10_E_NS1_11comp_targetILNS1_3genE4ELNS1_11target_archE910ELNS1_3gpuE8ELNS1_3repE0EEENS1_47radix_sort_onesweep_sort_config_static_selectorELNS0_4arch9wavefront6targetE0EEEvSH_,comdat
.Lfunc_end2263:
	.size	_ZN7rocprim17ROCPRIM_400000_NS6detail17trampoline_kernelINS0_14default_configENS1_35radix_sort_onesweep_config_selectorI6__halfNS0_10empty_typeEEEZZNS1_29radix_sort_onesweep_iterationIS3_Lb0EPKS5_PS5_PS6_SC_mNS0_19identity_decomposerENS1_16block_id_wrapperIjLb1EEEEE10hipError_tT1_PNSt15iterator_traitsISH_E10value_typeET2_T3_PNSI_ISN_E10value_typeET4_T5_PSS_ST_PNS1_23onesweep_lookback_stateEbbT6_jjT7_P12ihipStream_tbENKUlT_T0_SH_SM_E_clISB_SB_SC_SC_EEDaS10_S11_SH_SM_EUlS10_E_NS1_11comp_targetILNS1_3genE4ELNS1_11target_archE910ELNS1_3gpuE8ELNS1_3repE0EEENS1_47radix_sort_onesweep_sort_config_static_selectorELNS0_4arch9wavefront6targetE0EEEvSH_, .Lfunc_end2263-_ZN7rocprim17ROCPRIM_400000_NS6detail17trampoline_kernelINS0_14default_configENS1_35radix_sort_onesweep_config_selectorI6__halfNS0_10empty_typeEEEZZNS1_29radix_sort_onesweep_iterationIS3_Lb0EPKS5_PS5_PS6_SC_mNS0_19identity_decomposerENS1_16block_id_wrapperIjLb1EEEEE10hipError_tT1_PNSt15iterator_traitsISH_E10value_typeET2_T3_PNSI_ISN_E10value_typeET4_T5_PSS_ST_PNS1_23onesweep_lookback_stateEbbT6_jjT7_P12ihipStream_tbENKUlT_T0_SH_SM_E_clISB_SB_SC_SC_EEDaS10_S11_SH_SM_EUlS10_E_NS1_11comp_targetILNS1_3genE4ELNS1_11target_archE910ELNS1_3gpuE8ELNS1_3repE0EEENS1_47radix_sort_onesweep_sort_config_static_selectorELNS0_4arch9wavefront6targetE0EEEvSH_
                                        ; -- End function
	.set _ZN7rocprim17ROCPRIM_400000_NS6detail17trampoline_kernelINS0_14default_configENS1_35radix_sort_onesweep_config_selectorI6__halfNS0_10empty_typeEEEZZNS1_29radix_sort_onesweep_iterationIS3_Lb0EPKS5_PS5_PS6_SC_mNS0_19identity_decomposerENS1_16block_id_wrapperIjLb1EEEEE10hipError_tT1_PNSt15iterator_traitsISH_E10value_typeET2_T3_PNSI_ISN_E10value_typeET4_T5_PSS_ST_PNS1_23onesweep_lookback_stateEbbT6_jjT7_P12ihipStream_tbENKUlT_T0_SH_SM_E_clISB_SB_SC_SC_EEDaS10_S11_SH_SM_EUlS10_E_NS1_11comp_targetILNS1_3genE4ELNS1_11target_archE910ELNS1_3gpuE8ELNS1_3repE0EEENS1_47radix_sort_onesweep_sort_config_static_selectorELNS0_4arch9wavefront6targetE0EEEvSH_.num_vgpr, 0
	.set _ZN7rocprim17ROCPRIM_400000_NS6detail17trampoline_kernelINS0_14default_configENS1_35radix_sort_onesweep_config_selectorI6__halfNS0_10empty_typeEEEZZNS1_29radix_sort_onesweep_iterationIS3_Lb0EPKS5_PS5_PS6_SC_mNS0_19identity_decomposerENS1_16block_id_wrapperIjLb1EEEEE10hipError_tT1_PNSt15iterator_traitsISH_E10value_typeET2_T3_PNSI_ISN_E10value_typeET4_T5_PSS_ST_PNS1_23onesweep_lookback_stateEbbT6_jjT7_P12ihipStream_tbENKUlT_T0_SH_SM_E_clISB_SB_SC_SC_EEDaS10_S11_SH_SM_EUlS10_E_NS1_11comp_targetILNS1_3genE4ELNS1_11target_archE910ELNS1_3gpuE8ELNS1_3repE0EEENS1_47radix_sort_onesweep_sort_config_static_selectorELNS0_4arch9wavefront6targetE0EEEvSH_.num_agpr, 0
	.set _ZN7rocprim17ROCPRIM_400000_NS6detail17trampoline_kernelINS0_14default_configENS1_35radix_sort_onesweep_config_selectorI6__halfNS0_10empty_typeEEEZZNS1_29radix_sort_onesweep_iterationIS3_Lb0EPKS5_PS5_PS6_SC_mNS0_19identity_decomposerENS1_16block_id_wrapperIjLb1EEEEE10hipError_tT1_PNSt15iterator_traitsISH_E10value_typeET2_T3_PNSI_ISN_E10value_typeET4_T5_PSS_ST_PNS1_23onesweep_lookback_stateEbbT6_jjT7_P12ihipStream_tbENKUlT_T0_SH_SM_E_clISB_SB_SC_SC_EEDaS10_S11_SH_SM_EUlS10_E_NS1_11comp_targetILNS1_3genE4ELNS1_11target_archE910ELNS1_3gpuE8ELNS1_3repE0EEENS1_47radix_sort_onesweep_sort_config_static_selectorELNS0_4arch9wavefront6targetE0EEEvSH_.numbered_sgpr, 0
	.set _ZN7rocprim17ROCPRIM_400000_NS6detail17trampoline_kernelINS0_14default_configENS1_35radix_sort_onesweep_config_selectorI6__halfNS0_10empty_typeEEEZZNS1_29radix_sort_onesweep_iterationIS3_Lb0EPKS5_PS5_PS6_SC_mNS0_19identity_decomposerENS1_16block_id_wrapperIjLb1EEEEE10hipError_tT1_PNSt15iterator_traitsISH_E10value_typeET2_T3_PNSI_ISN_E10value_typeET4_T5_PSS_ST_PNS1_23onesweep_lookback_stateEbbT6_jjT7_P12ihipStream_tbENKUlT_T0_SH_SM_E_clISB_SB_SC_SC_EEDaS10_S11_SH_SM_EUlS10_E_NS1_11comp_targetILNS1_3genE4ELNS1_11target_archE910ELNS1_3gpuE8ELNS1_3repE0EEENS1_47radix_sort_onesweep_sort_config_static_selectorELNS0_4arch9wavefront6targetE0EEEvSH_.num_named_barrier, 0
	.set _ZN7rocprim17ROCPRIM_400000_NS6detail17trampoline_kernelINS0_14default_configENS1_35radix_sort_onesweep_config_selectorI6__halfNS0_10empty_typeEEEZZNS1_29radix_sort_onesweep_iterationIS3_Lb0EPKS5_PS5_PS6_SC_mNS0_19identity_decomposerENS1_16block_id_wrapperIjLb1EEEEE10hipError_tT1_PNSt15iterator_traitsISH_E10value_typeET2_T3_PNSI_ISN_E10value_typeET4_T5_PSS_ST_PNS1_23onesweep_lookback_stateEbbT6_jjT7_P12ihipStream_tbENKUlT_T0_SH_SM_E_clISB_SB_SC_SC_EEDaS10_S11_SH_SM_EUlS10_E_NS1_11comp_targetILNS1_3genE4ELNS1_11target_archE910ELNS1_3gpuE8ELNS1_3repE0EEENS1_47radix_sort_onesweep_sort_config_static_selectorELNS0_4arch9wavefront6targetE0EEEvSH_.private_seg_size, 0
	.set _ZN7rocprim17ROCPRIM_400000_NS6detail17trampoline_kernelINS0_14default_configENS1_35radix_sort_onesweep_config_selectorI6__halfNS0_10empty_typeEEEZZNS1_29radix_sort_onesweep_iterationIS3_Lb0EPKS5_PS5_PS6_SC_mNS0_19identity_decomposerENS1_16block_id_wrapperIjLb1EEEEE10hipError_tT1_PNSt15iterator_traitsISH_E10value_typeET2_T3_PNSI_ISN_E10value_typeET4_T5_PSS_ST_PNS1_23onesweep_lookback_stateEbbT6_jjT7_P12ihipStream_tbENKUlT_T0_SH_SM_E_clISB_SB_SC_SC_EEDaS10_S11_SH_SM_EUlS10_E_NS1_11comp_targetILNS1_3genE4ELNS1_11target_archE910ELNS1_3gpuE8ELNS1_3repE0EEENS1_47radix_sort_onesweep_sort_config_static_selectorELNS0_4arch9wavefront6targetE0EEEvSH_.uses_vcc, 0
	.set _ZN7rocprim17ROCPRIM_400000_NS6detail17trampoline_kernelINS0_14default_configENS1_35radix_sort_onesweep_config_selectorI6__halfNS0_10empty_typeEEEZZNS1_29radix_sort_onesweep_iterationIS3_Lb0EPKS5_PS5_PS6_SC_mNS0_19identity_decomposerENS1_16block_id_wrapperIjLb1EEEEE10hipError_tT1_PNSt15iterator_traitsISH_E10value_typeET2_T3_PNSI_ISN_E10value_typeET4_T5_PSS_ST_PNS1_23onesweep_lookback_stateEbbT6_jjT7_P12ihipStream_tbENKUlT_T0_SH_SM_E_clISB_SB_SC_SC_EEDaS10_S11_SH_SM_EUlS10_E_NS1_11comp_targetILNS1_3genE4ELNS1_11target_archE910ELNS1_3gpuE8ELNS1_3repE0EEENS1_47radix_sort_onesweep_sort_config_static_selectorELNS0_4arch9wavefront6targetE0EEEvSH_.uses_flat_scratch, 0
	.set _ZN7rocprim17ROCPRIM_400000_NS6detail17trampoline_kernelINS0_14default_configENS1_35radix_sort_onesweep_config_selectorI6__halfNS0_10empty_typeEEEZZNS1_29radix_sort_onesweep_iterationIS3_Lb0EPKS5_PS5_PS6_SC_mNS0_19identity_decomposerENS1_16block_id_wrapperIjLb1EEEEE10hipError_tT1_PNSt15iterator_traitsISH_E10value_typeET2_T3_PNSI_ISN_E10value_typeET4_T5_PSS_ST_PNS1_23onesweep_lookback_stateEbbT6_jjT7_P12ihipStream_tbENKUlT_T0_SH_SM_E_clISB_SB_SC_SC_EEDaS10_S11_SH_SM_EUlS10_E_NS1_11comp_targetILNS1_3genE4ELNS1_11target_archE910ELNS1_3gpuE8ELNS1_3repE0EEENS1_47radix_sort_onesweep_sort_config_static_selectorELNS0_4arch9wavefront6targetE0EEEvSH_.has_dyn_sized_stack, 0
	.set _ZN7rocprim17ROCPRIM_400000_NS6detail17trampoline_kernelINS0_14default_configENS1_35radix_sort_onesweep_config_selectorI6__halfNS0_10empty_typeEEEZZNS1_29radix_sort_onesweep_iterationIS3_Lb0EPKS5_PS5_PS6_SC_mNS0_19identity_decomposerENS1_16block_id_wrapperIjLb1EEEEE10hipError_tT1_PNSt15iterator_traitsISH_E10value_typeET2_T3_PNSI_ISN_E10value_typeET4_T5_PSS_ST_PNS1_23onesweep_lookback_stateEbbT6_jjT7_P12ihipStream_tbENKUlT_T0_SH_SM_E_clISB_SB_SC_SC_EEDaS10_S11_SH_SM_EUlS10_E_NS1_11comp_targetILNS1_3genE4ELNS1_11target_archE910ELNS1_3gpuE8ELNS1_3repE0EEENS1_47radix_sort_onesweep_sort_config_static_selectorELNS0_4arch9wavefront6targetE0EEEvSH_.has_recursion, 0
	.set _ZN7rocprim17ROCPRIM_400000_NS6detail17trampoline_kernelINS0_14default_configENS1_35radix_sort_onesweep_config_selectorI6__halfNS0_10empty_typeEEEZZNS1_29radix_sort_onesweep_iterationIS3_Lb0EPKS5_PS5_PS6_SC_mNS0_19identity_decomposerENS1_16block_id_wrapperIjLb1EEEEE10hipError_tT1_PNSt15iterator_traitsISH_E10value_typeET2_T3_PNSI_ISN_E10value_typeET4_T5_PSS_ST_PNS1_23onesweep_lookback_stateEbbT6_jjT7_P12ihipStream_tbENKUlT_T0_SH_SM_E_clISB_SB_SC_SC_EEDaS10_S11_SH_SM_EUlS10_E_NS1_11comp_targetILNS1_3genE4ELNS1_11target_archE910ELNS1_3gpuE8ELNS1_3repE0EEENS1_47radix_sort_onesweep_sort_config_static_selectorELNS0_4arch9wavefront6targetE0EEEvSH_.has_indirect_call, 0
	.section	.AMDGPU.csdata,"",@progbits
; Kernel info:
; codeLenInByte = 0
; TotalNumSgprs: 0
; NumVgprs: 0
; ScratchSize: 0
; MemoryBound: 0
; FloatMode: 240
; IeeeMode: 1
; LDSByteSize: 0 bytes/workgroup (compile time only)
; SGPRBlocks: 0
; VGPRBlocks: 0
; NumSGPRsForWavesPerEU: 1
; NumVGPRsForWavesPerEU: 1
; NamedBarCnt: 0
; Occupancy: 16
; WaveLimiterHint : 0
; COMPUTE_PGM_RSRC2:SCRATCH_EN: 0
; COMPUTE_PGM_RSRC2:USER_SGPR: 2
; COMPUTE_PGM_RSRC2:TRAP_HANDLER: 0
; COMPUTE_PGM_RSRC2:TGID_X_EN: 1
; COMPUTE_PGM_RSRC2:TGID_Y_EN: 0
; COMPUTE_PGM_RSRC2:TGID_Z_EN: 0
; COMPUTE_PGM_RSRC2:TIDIG_COMP_CNT: 0
	.section	.text._ZN7rocprim17ROCPRIM_400000_NS6detail17trampoline_kernelINS0_14default_configENS1_35radix_sort_onesweep_config_selectorI6__halfNS0_10empty_typeEEEZZNS1_29radix_sort_onesweep_iterationIS3_Lb0EPKS5_PS5_PS6_SC_mNS0_19identity_decomposerENS1_16block_id_wrapperIjLb1EEEEE10hipError_tT1_PNSt15iterator_traitsISH_E10value_typeET2_T3_PNSI_ISN_E10value_typeET4_T5_PSS_ST_PNS1_23onesweep_lookback_stateEbbT6_jjT7_P12ihipStream_tbENKUlT_T0_SH_SM_E_clISB_SB_SC_SC_EEDaS10_S11_SH_SM_EUlS10_E_NS1_11comp_targetILNS1_3genE3ELNS1_11target_archE908ELNS1_3gpuE7ELNS1_3repE0EEENS1_47radix_sort_onesweep_sort_config_static_selectorELNS0_4arch9wavefront6targetE0EEEvSH_,"axG",@progbits,_ZN7rocprim17ROCPRIM_400000_NS6detail17trampoline_kernelINS0_14default_configENS1_35radix_sort_onesweep_config_selectorI6__halfNS0_10empty_typeEEEZZNS1_29radix_sort_onesweep_iterationIS3_Lb0EPKS5_PS5_PS6_SC_mNS0_19identity_decomposerENS1_16block_id_wrapperIjLb1EEEEE10hipError_tT1_PNSt15iterator_traitsISH_E10value_typeET2_T3_PNSI_ISN_E10value_typeET4_T5_PSS_ST_PNS1_23onesweep_lookback_stateEbbT6_jjT7_P12ihipStream_tbENKUlT_T0_SH_SM_E_clISB_SB_SC_SC_EEDaS10_S11_SH_SM_EUlS10_E_NS1_11comp_targetILNS1_3genE3ELNS1_11target_archE908ELNS1_3gpuE7ELNS1_3repE0EEENS1_47radix_sort_onesweep_sort_config_static_selectorELNS0_4arch9wavefront6targetE0EEEvSH_,comdat
	.protected	_ZN7rocprim17ROCPRIM_400000_NS6detail17trampoline_kernelINS0_14default_configENS1_35radix_sort_onesweep_config_selectorI6__halfNS0_10empty_typeEEEZZNS1_29radix_sort_onesweep_iterationIS3_Lb0EPKS5_PS5_PS6_SC_mNS0_19identity_decomposerENS1_16block_id_wrapperIjLb1EEEEE10hipError_tT1_PNSt15iterator_traitsISH_E10value_typeET2_T3_PNSI_ISN_E10value_typeET4_T5_PSS_ST_PNS1_23onesweep_lookback_stateEbbT6_jjT7_P12ihipStream_tbENKUlT_T0_SH_SM_E_clISB_SB_SC_SC_EEDaS10_S11_SH_SM_EUlS10_E_NS1_11comp_targetILNS1_3genE3ELNS1_11target_archE908ELNS1_3gpuE7ELNS1_3repE0EEENS1_47radix_sort_onesweep_sort_config_static_selectorELNS0_4arch9wavefront6targetE0EEEvSH_ ; -- Begin function _ZN7rocprim17ROCPRIM_400000_NS6detail17trampoline_kernelINS0_14default_configENS1_35radix_sort_onesweep_config_selectorI6__halfNS0_10empty_typeEEEZZNS1_29radix_sort_onesweep_iterationIS3_Lb0EPKS5_PS5_PS6_SC_mNS0_19identity_decomposerENS1_16block_id_wrapperIjLb1EEEEE10hipError_tT1_PNSt15iterator_traitsISH_E10value_typeET2_T3_PNSI_ISN_E10value_typeET4_T5_PSS_ST_PNS1_23onesweep_lookback_stateEbbT6_jjT7_P12ihipStream_tbENKUlT_T0_SH_SM_E_clISB_SB_SC_SC_EEDaS10_S11_SH_SM_EUlS10_E_NS1_11comp_targetILNS1_3genE3ELNS1_11target_archE908ELNS1_3gpuE7ELNS1_3repE0EEENS1_47radix_sort_onesweep_sort_config_static_selectorELNS0_4arch9wavefront6targetE0EEEvSH_
	.globl	_ZN7rocprim17ROCPRIM_400000_NS6detail17trampoline_kernelINS0_14default_configENS1_35radix_sort_onesweep_config_selectorI6__halfNS0_10empty_typeEEEZZNS1_29radix_sort_onesweep_iterationIS3_Lb0EPKS5_PS5_PS6_SC_mNS0_19identity_decomposerENS1_16block_id_wrapperIjLb1EEEEE10hipError_tT1_PNSt15iterator_traitsISH_E10value_typeET2_T3_PNSI_ISN_E10value_typeET4_T5_PSS_ST_PNS1_23onesweep_lookback_stateEbbT6_jjT7_P12ihipStream_tbENKUlT_T0_SH_SM_E_clISB_SB_SC_SC_EEDaS10_S11_SH_SM_EUlS10_E_NS1_11comp_targetILNS1_3genE3ELNS1_11target_archE908ELNS1_3gpuE7ELNS1_3repE0EEENS1_47radix_sort_onesweep_sort_config_static_selectorELNS0_4arch9wavefront6targetE0EEEvSH_
	.p2align	8
	.type	_ZN7rocprim17ROCPRIM_400000_NS6detail17trampoline_kernelINS0_14default_configENS1_35radix_sort_onesweep_config_selectorI6__halfNS0_10empty_typeEEEZZNS1_29radix_sort_onesweep_iterationIS3_Lb0EPKS5_PS5_PS6_SC_mNS0_19identity_decomposerENS1_16block_id_wrapperIjLb1EEEEE10hipError_tT1_PNSt15iterator_traitsISH_E10value_typeET2_T3_PNSI_ISN_E10value_typeET4_T5_PSS_ST_PNS1_23onesweep_lookback_stateEbbT6_jjT7_P12ihipStream_tbENKUlT_T0_SH_SM_E_clISB_SB_SC_SC_EEDaS10_S11_SH_SM_EUlS10_E_NS1_11comp_targetILNS1_3genE3ELNS1_11target_archE908ELNS1_3gpuE7ELNS1_3repE0EEENS1_47radix_sort_onesweep_sort_config_static_selectorELNS0_4arch9wavefront6targetE0EEEvSH_,@function
_ZN7rocprim17ROCPRIM_400000_NS6detail17trampoline_kernelINS0_14default_configENS1_35radix_sort_onesweep_config_selectorI6__halfNS0_10empty_typeEEEZZNS1_29radix_sort_onesweep_iterationIS3_Lb0EPKS5_PS5_PS6_SC_mNS0_19identity_decomposerENS1_16block_id_wrapperIjLb1EEEEE10hipError_tT1_PNSt15iterator_traitsISH_E10value_typeET2_T3_PNSI_ISN_E10value_typeET4_T5_PSS_ST_PNS1_23onesweep_lookback_stateEbbT6_jjT7_P12ihipStream_tbENKUlT_T0_SH_SM_E_clISB_SB_SC_SC_EEDaS10_S11_SH_SM_EUlS10_E_NS1_11comp_targetILNS1_3genE3ELNS1_11target_archE908ELNS1_3gpuE7ELNS1_3repE0EEENS1_47radix_sort_onesweep_sort_config_static_selectorELNS0_4arch9wavefront6targetE0EEEvSH_: ; @_ZN7rocprim17ROCPRIM_400000_NS6detail17trampoline_kernelINS0_14default_configENS1_35radix_sort_onesweep_config_selectorI6__halfNS0_10empty_typeEEEZZNS1_29radix_sort_onesweep_iterationIS3_Lb0EPKS5_PS5_PS6_SC_mNS0_19identity_decomposerENS1_16block_id_wrapperIjLb1EEEEE10hipError_tT1_PNSt15iterator_traitsISH_E10value_typeET2_T3_PNSI_ISN_E10value_typeET4_T5_PSS_ST_PNS1_23onesweep_lookback_stateEbbT6_jjT7_P12ihipStream_tbENKUlT_T0_SH_SM_E_clISB_SB_SC_SC_EEDaS10_S11_SH_SM_EUlS10_E_NS1_11comp_targetILNS1_3genE3ELNS1_11target_archE908ELNS1_3gpuE7ELNS1_3repE0EEENS1_47radix_sort_onesweep_sort_config_static_selectorELNS0_4arch9wavefront6targetE0EEEvSH_
; %bb.0:
	.section	.rodata,"a",@progbits
	.p2align	6, 0x0
	.amdhsa_kernel _ZN7rocprim17ROCPRIM_400000_NS6detail17trampoline_kernelINS0_14default_configENS1_35radix_sort_onesweep_config_selectorI6__halfNS0_10empty_typeEEEZZNS1_29radix_sort_onesweep_iterationIS3_Lb0EPKS5_PS5_PS6_SC_mNS0_19identity_decomposerENS1_16block_id_wrapperIjLb1EEEEE10hipError_tT1_PNSt15iterator_traitsISH_E10value_typeET2_T3_PNSI_ISN_E10value_typeET4_T5_PSS_ST_PNS1_23onesweep_lookback_stateEbbT6_jjT7_P12ihipStream_tbENKUlT_T0_SH_SM_E_clISB_SB_SC_SC_EEDaS10_S11_SH_SM_EUlS10_E_NS1_11comp_targetILNS1_3genE3ELNS1_11target_archE908ELNS1_3gpuE7ELNS1_3repE0EEENS1_47radix_sort_onesweep_sort_config_static_selectorELNS0_4arch9wavefront6targetE0EEEvSH_
		.amdhsa_group_segment_fixed_size 0
		.amdhsa_private_segment_fixed_size 0
		.amdhsa_kernarg_size 88
		.amdhsa_user_sgpr_count 2
		.amdhsa_user_sgpr_dispatch_ptr 0
		.amdhsa_user_sgpr_queue_ptr 0
		.amdhsa_user_sgpr_kernarg_segment_ptr 1
		.amdhsa_user_sgpr_dispatch_id 0
		.amdhsa_user_sgpr_kernarg_preload_length 0
		.amdhsa_user_sgpr_kernarg_preload_offset 0
		.amdhsa_user_sgpr_private_segment_size 0
		.amdhsa_wavefront_size32 1
		.amdhsa_uses_dynamic_stack 0
		.amdhsa_enable_private_segment 0
		.amdhsa_system_sgpr_workgroup_id_x 1
		.amdhsa_system_sgpr_workgroup_id_y 0
		.amdhsa_system_sgpr_workgroup_id_z 0
		.amdhsa_system_sgpr_workgroup_info 0
		.amdhsa_system_vgpr_workitem_id 0
		.amdhsa_next_free_vgpr 1
		.amdhsa_next_free_sgpr 1
		.amdhsa_named_barrier_count 0
		.amdhsa_reserve_vcc 0
		.amdhsa_float_round_mode_32 0
		.amdhsa_float_round_mode_16_64 0
		.amdhsa_float_denorm_mode_32 3
		.amdhsa_float_denorm_mode_16_64 3
		.amdhsa_fp16_overflow 0
		.amdhsa_memory_ordered 1
		.amdhsa_forward_progress 1
		.amdhsa_inst_pref_size 0
		.amdhsa_round_robin_scheduling 0
		.amdhsa_exception_fp_ieee_invalid_op 0
		.amdhsa_exception_fp_denorm_src 0
		.amdhsa_exception_fp_ieee_div_zero 0
		.amdhsa_exception_fp_ieee_overflow 0
		.amdhsa_exception_fp_ieee_underflow 0
		.amdhsa_exception_fp_ieee_inexact 0
		.amdhsa_exception_int_div_zero 0
	.end_amdhsa_kernel
	.section	.text._ZN7rocprim17ROCPRIM_400000_NS6detail17trampoline_kernelINS0_14default_configENS1_35radix_sort_onesweep_config_selectorI6__halfNS0_10empty_typeEEEZZNS1_29radix_sort_onesweep_iterationIS3_Lb0EPKS5_PS5_PS6_SC_mNS0_19identity_decomposerENS1_16block_id_wrapperIjLb1EEEEE10hipError_tT1_PNSt15iterator_traitsISH_E10value_typeET2_T3_PNSI_ISN_E10value_typeET4_T5_PSS_ST_PNS1_23onesweep_lookback_stateEbbT6_jjT7_P12ihipStream_tbENKUlT_T0_SH_SM_E_clISB_SB_SC_SC_EEDaS10_S11_SH_SM_EUlS10_E_NS1_11comp_targetILNS1_3genE3ELNS1_11target_archE908ELNS1_3gpuE7ELNS1_3repE0EEENS1_47radix_sort_onesweep_sort_config_static_selectorELNS0_4arch9wavefront6targetE0EEEvSH_,"axG",@progbits,_ZN7rocprim17ROCPRIM_400000_NS6detail17trampoline_kernelINS0_14default_configENS1_35radix_sort_onesweep_config_selectorI6__halfNS0_10empty_typeEEEZZNS1_29radix_sort_onesweep_iterationIS3_Lb0EPKS5_PS5_PS6_SC_mNS0_19identity_decomposerENS1_16block_id_wrapperIjLb1EEEEE10hipError_tT1_PNSt15iterator_traitsISH_E10value_typeET2_T3_PNSI_ISN_E10value_typeET4_T5_PSS_ST_PNS1_23onesweep_lookback_stateEbbT6_jjT7_P12ihipStream_tbENKUlT_T0_SH_SM_E_clISB_SB_SC_SC_EEDaS10_S11_SH_SM_EUlS10_E_NS1_11comp_targetILNS1_3genE3ELNS1_11target_archE908ELNS1_3gpuE7ELNS1_3repE0EEENS1_47radix_sort_onesweep_sort_config_static_selectorELNS0_4arch9wavefront6targetE0EEEvSH_,comdat
.Lfunc_end2264:
	.size	_ZN7rocprim17ROCPRIM_400000_NS6detail17trampoline_kernelINS0_14default_configENS1_35radix_sort_onesweep_config_selectorI6__halfNS0_10empty_typeEEEZZNS1_29radix_sort_onesweep_iterationIS3_Lb0EPKS5_PS5_PS6_SC_mNS0_19identity_decomposerENS1_16block_id_wrapperIjLb1EEEEE10hipError_tT1_PNSt15iterator_traitsISH_E10value_typeET2_T3_PNSI_ISN_E10value_typeET4_T5_PSS_ST_PNS1_23onesweep_lookback_stateEbbT6_jjT7_P12ihipStream_tbENKUlT_T0_SH_SM_E_clISB_SB_SC_SC_EEDaS10_S11_SH_SM_EUlS10_E_NS1_11comp_targetILNS1_3genE3ELNS1_11target_archE908ELNS1_3gpuE7ELNS1_3repE0EEENS1_47radix_sort_onesweep_sort_config_static_selectorELNS0_4arch9wavefront6targetE0EEEvSH_, .Lfunc_end2264-_ZN7rocprim17ROCPRIM_400000_NS6detail17trampoline_kernelINS0_14default_configENS1_35radix_sort_onesweep_config_selectorI6__halfNS0_10empty_typeEEEZZNS1_29radix_sort_onesweep_iterationIS3_Lb0EPKS5_PS5_PS6_SC_mNS0_19identity_decomposerENS1_16block_id_wrapperIjLb1EEEEE10hipError_tT1_PNSt15iterator_traitsISH_E10value_typeET2_T3_PNSI_ISN_E10value_typeET4_T5_PSS_ST_PNS1_23onesweep_lookback_stateEbbT6_jjT7_P12ihipStream_tbENKUlT_T0_SH_SM_E_clISB_SB_SC_SC_EEDaS10_S11_SH_SM_EUlS10_E_NS1_11comp_targetILNS1_3genE3ELNS1_11target_archE908ELNS1_3gpuE7ELNS1_3repE0EEENS1_47radix_sort_onesweep_sort_config_static_selectorELNS0_4arch9wavefront6targetE0EEEvSH_
                                        ; -- End function
	.set _ZN7rocprim17ROCPRIM_400000_NS6detail17trampoline_kernelINS0_14default_configENS1_35radix_sort_onesweep_config_selectorI6__halfNS0_10empty_typeEEEZZNS1_29radix_sort_onesweep_iterationIS3_Lb0EPKS5_PS5_PS6_SC_mNS0_19identity_decomposerENS1_16block_id_wrapperIjLb1EEEEE10hipError_tT1_PNSt15iterator_traitsISH_E10value_typeET2_T3_PNSI_ISN_E10value_typeET4_T5_PSS_ST_PNS1_23onesweep_lookback_stateEbbT6_jjT7_P12ihipStream_tbENKUlT_T0_SH_SM_E_clISB_SB_SC_SC_EEDaS10_S11_SH_SM_EUlS10_E_NS1_11comp_targetILNS1_3genE3ELNS1_11target_archE908ELNS1_3gpuE7ELNS1_3repE0EEENS1_47radix_sort_onesweep_sort_config_static_selectorELNS0_4arch9wavefront6targetE0EEEvSH_.num_vgpr, 0
	.set _ZN7rocprim17ROCPRIM_400000_NS6detail17trampoline_kernelINS0_14default_configENS1_35radix_sort_onesweep_config_selectorI6__halfNS0_10empty_typeEEEZZNS1_29radix_sort_onesweep_iterationIS3_Lb0EPKS5_PS5_PS6_SC_mNS0_19identity_decomposerENS1_16block_id_wrapperIjLb1EEEEE10hipError_tT1_PNSt15iterator_traitsISH_E10value_typeET2_T3_PNSI_ISN_E10value_typeET4_T5_PSS_ST_PNS1_23onesweep_lookback_stateEbbT6_jjT7_P12ihipStream_tbENKUlT_T0_SH_SM_E_clISB_SB_SC_SC_EEDaS10_S11_SH_SM_EUlS10_E_NS1_11comp_targetILNS1_3genE3ELNS1_11target_archE908ELNS1_3gpuE7ELNS1_3repE0EEENS1_47radix_sort_onesweep_sort_config_static_selectorELNS0_4arch9wavefront6targetE0EEEvSH_.num_agpr, 0
	.set _ZN7rocprim17ROCPRIM_400000_NS6detail17trampoline_kernelINS0_14default_configENS1_35radix_sort_onesweep_config_selectorI6__halfNS0_10empty_typeEEEZZNS1_29radix_sort_onesweep_iterationIS3_Lb0EPKS5_PS5_PS6_SC_mNS0_19identity_decomposerENS1_16block_id_wrapperIjLb1EEEEE10hipError_tT1_PNSt15iterator_traitsISH_E10value_typeET2_T3_PNSI_ISN_E10value_typeET4_T5_PSS_ST_PNS1_23onesweep_lookback_stateEbbT6_jjT7_P12ihipStream_tbENKUlT_T0_SH_SM_E_clISB_SB_SC_SC_EEDaS10_S11_SH_SM_EUlS10_E_NS1_11comp_targetILNS1_3genE3ELNS1_11target_archE908ELNS1_3gpuE7ELNS1_3repE0EEENS1_47radix_sort_onesweep_sort_config_static_selectorELNS0_4arch9wavefront6targetE0EEEvSH_.numbered_sgpr, 0
	.set _ZN7rocprim17ROCPRIM_400000_NS6detail17trampoline_kernelINS0_14default_configENS1_35radix_sort_onesweep_config_selectorI6__halfNS0_10empty_typeEEEZZNS1_29radix_sort_onesweep_iterationIS3_Lb0EPKS5_PS5_PS6_SC_mNS0_19identity_decomposerENS1_16block_id_wrapperIjLb1EEEEE10hipError_tT1_PNSt15iterator_traitsISH_E10value_typeET2_T3_PNSI_ISN_E10value_typeET4_T5_PSS_ST_PNS1_23onesweep_lookback_stateEbbT6_jjT7_P12ihipStream_tbENKUlT_T0_SH_SM_E_clISB_SB_SC_SC_EEDaS10_S11_SH_SM_EUlS10_E_NS1_11comp_targetILNS1_3genE3ELNS1_11target_archE908ELNS1_3gpuE7ELNS1_3repE0EEENS1_47radix_sort_onesweep_sort_config_static_selectorELNS0_4arch9wavefront6targetE0EEEvSH_.num_named_barrier, 0
	.set _ZN7rocprim17ROCPRIM_400000_NS6detail17trampoline_kernelINS0_14default_configENS1_35radix_sort_onesweep_config_selectorI6__halfNS0_10empty_typeEEEZZNS1_29radix_sort_onesweep_iterationIS3_Lb0EPKS5_PS5_PS6_SC_mNS0_19identity_decomposerENS1_16block_id_wrapperIjLb1EEEEE10hipError_tT1_PNSt15iterator_traitsISH_E10value_typeET2_T3_PNSI_ISN_E10value_typeET4_T5_PSS_ST_PNS1_23onesweep_lookback_stateEbbT6_jjT7_P12ihipStream_tbENKUlT_T0_SH_SM_E_clISB_SB_SC_SC_EEDaS10_S11_SH_SM_EUlS10_E_NS1_11comp_targetILNS1_3genE3ELNS1_11target_archE908ELNS1_3gpuE7ELNS1_3repE0EEENS1_47radix_sort_onesweep_sort_config_static_selectorELNS0_4arch9wavefront6targetE0EEEvSH_.private_seg_size, 0
	.set _ZN7rocprim17ROCPRIM_400000_NS6detail17trampoline_kernelINS0_14default_configENS1_35radix_sort_onesweep_config_selectorI6__halfNS0_10empty_typeEEEZZNS1_29radix_sort_onesweep_iterationIS3_Lb0EPKS5_PS5_PS6_SC_mNS0_19identity_decomposerENS1_16block_id_wrapperIjLb1EEEEE10hipError_tT1_PNSt15iterator_traitsISH_E10value_typeET2_T3_PNSI_ISN_E10value_typeET4_T5_PSS_ST_PNS1_23onesweep_lookback_stateEbbT6_jjT7_P12ihipStream_tbENKUlT_T0_SH_SM_E_clISB_SB_SC_SC_EEDaS10_S11_SH_SM_EUlS10_E_NS1_11comp_targetILNS1_3genE3ELNS1_11target_archE908ELNS1_3gpuE7ELNS1_3repE0EEENS1_47radix_sort_onesweep_sort_config_static_selectorELNS0_4arch9wavefront6targetE0EEEvSH_.uses_vcc, 0
	.set _ZN7rocprim17ROCPRIM_400000_NS6detail17trampoline_kernelINS0_14default_configENS1_35radix_sort_onesweep_config_selectorI6__halfNS0_10empty_typeEEEZZNS1_29radix_sort_onesweep_iterationIS3_Lb0EPKS5_PS5_PS6_SC_mNS0_19identity_decomposerENS1_16block_id_wrapperIjLb1EEEEE10hipError_tT1_PNSt15iterator_traitsISH_E10value_typeET2_T3_PNSI_ISN_E10value_typeET4_T5_PSS_ST_PNS1_23onesweep_lookback_stateEbbT6_jjT7_P12ihipStream_tbENKUlT_T0_SH_SM_E_clISB_SB_SC_SC_EEDaS10_S11_SH_SM_EUlS10_E_NS1_11comp_targetILNS1_3genE3ELNS1_11target_archE908ELNS1_3gpuE7ELNS1_3repE0EEENS1_47radix_sort_onesweep_sort_config_static_selectorELNS0_4arch9wavefront6targetE0EEEvSH_.uses_flat_scratch, 0
	.set _ZN7rocprim17ROCPRIM_400000_NS6detail17trampoline_kernelINS0_14default_configENS1_35radix_sort_onesweep_config_selectorI6__halfNS0_10empty_typeEEEZZNS1_29radix_sort_onesweep_iterationIS3_Lb0EPKS5_PS5_PS6_SC_mNS0_19identity_decomposerENS1_16block_id_wrapperIjLb1EEEEE10hipError_tT1_PNSt15iterator_traitsISH_E10value_typeET2_T3_PNSI_ISN_E10value_typeET4_T5_PSS_ST_PNS1_23onesweep_lookback_stateEbbT6_jjT7_P12ihipStream_tbENKUlT_T0_SH_SM_E_clISB_SB_SC_SC_EEDaS10_S11_SH_SM_EUlS10_E_NS1_11comp_targetILNS1_3genE3ELNS1_11target_archE908ELNS1_3gpuE7ELNS1_3repE0EEENS1_47radix_sort_onesweep_sort_config_static_selectorELNS0_4arch9wavefront6targetE0EEEvSH_.has_dyn_sized_stack, 0
	.set _ZN7rocprim17ROCPRIM_400000_NS6detail17trampoline_kernelINS0_14default_configENS1_35radix_sort_onesweep_config_selectorI6__halfNS0_10empty_typeEEEZZNS1_29radix_sort_onesweep_iterationIS3_Lb0EPKS5_PS5_PS6_SC_mNS0_19identity_decomposerENS1_16block_id_wrapperIjLb1EEEEE10hipError_tT1_PNSt15iterator_traitsISH_E10value_typeET2_T3_PNSI_ISN_E10value_typeET4_T5_PSS_ST_PNS1_23onesweep_lookback_stateEbbT6_jjT7_P12ihipStream_tbENKUlT_T0_SH_SM_E_clISB_SB_SC_SC_EEDaS10_S11_SH_SM_EUlS10_E_NS1_11comp_targetILNS1_3genE3ELNS1_11target_archE908ELNS1_3gpuE7ELNS1_3repE0EEENS1_47radix_sort_onesweep_sort_config_static_selectorELNS0_4arch9wavefront6targetE0EEEvSH_.has_recursion, 0
	.set _ZN7rocprim17ROCPRIM_400000_NS6detail17trampoline_kernelINS0_14default_configENS1_35radix_sort_onesweep_config_selectorI6__halfNS0_10empty_typeEEEZZNS1_29radix_sort_onesweep_iterationIS3_Lb0EPKS5_PS5_PS6_SC_mNS0_19identity_decomposerENS1_16block_id_wrapperIjLb1EEEEE10hipError_tT1_PNSt15iterator_traitsISH_E10value_typeET2_T3_PNSI_ISN_E10value_typeET4_T5_PSS_ST_PNS1_23onesweep_lookback_stateEbbT6_jjT7_P12ihipStream_tbENKUlT_T0_SH_SM_E_clISB_SB_SC_SC_EEDaS10_S11_SH_SM_EUlS10_E_NS1_11comp_targetILNS1_3genE3ELNS1_11target_archE908ELNS1_3gpuE7ELNS1_3repE0EEENS1_47radix_sort_onesweep_sort_config_static_selectorELNS0_4arch9wavefront6targetE0EEEvSH_.has_indirect_call, 0
	.section	.AMDGPU.csdata,"",@progbits
; Kernel info:
; codeLenInByte = 0
; TotalNumSgprs: 0
; NumVgprs: 0
; ScratchSize: 0
; MemoryBound: 0
; FloatMode: 240
; IeeeMode: 1
; LDSByteSize: 0 bytes/workgroup (compile time only)
; SGPRBlocks: 0
; VGPRBlocks: 0
; NumSGPRsForWavesPerEU: 1
; NumVGPRsForWavesPerEU: 1
; NamedBarCnt: 0
; Occupancy: 16
; WaveLimiterHint : 0
; COMPUTE_PGM_RSRC2:SCRATCH_EN: 0
; COMPUTE_PGM_RSRC2:USER_SGPR: 2
; COMPUTE_PGM_RSRC2:TRAP_HANDLER: 0
; COMPUTE_PGM_RSRC2:TGID_X_EN: 1
; COMPUTE_PGM_RSRC2:TGID_Y_EN: 0
; COMPUTE_PGM_RSRC2:TGID_Z_EN: 0
; COMPUTE_PGM_RSRC2:TIDIG_COMP_CNT: 0
	.section	.text._ZN7rocprim17ROCPRIM_400000_NS6detail17trampoline_kernelINS0_14default_configENS1_35radix_sort_onesweep_config_selectorI6__halfNS0_10empty_typeEEEZZNS1_29radix_sort_onesweep_iterationIS3_Lb0EPKS5_PS5_PS6_SC_mNS0_19identity_decomposerENS1_16block_id_wrapperIjLb1EEEEE10hipError_tT1_PNSt15iterator_traitsISH_E10value_typeET2_T3_PNSI_ISN_E10value_typeET4_T5_PSS_ST_PNS1_23onesweep_lookback_stateEbbT6_jjT7_P12ihipStream_tbENKUlT_T0_SH_SM_E_clISB_SB_SC_SC_EEDaS10_S11_SH_SM_EUlS10_E_NS1_11comp_targetILNS1_3genE10ELNS1_11target_archE1201ELNS1_3gpuE5ELNS1_3repE0EEENS1_47radix_sort_onesweep_sort_config_static_selectorELNS0_4arch9wavefront6targetE0EEEvSH_,"axG",@progbits,_ZN7rocprim17ROCPRIM_400000_NS6detail17trampoline_kernelINS0_14default_configENS1_35radix_sort_onesweep_config_selectorI6__halfNS0_10empty_typeEEEZZNS1_29radix_sort_onesweep_iterationIS3_Lb0EPKS5_PS5_PS6_SC_mNS0_19identity_decomposerENS1_16block_id_wrapperIjLb1EEEEE10hipError_tT1_PNSt15iterator_traitsISH_E10value_typeET2_T3_PNSI_ISN_E10value_typeET4_T5_PSS_ST_PNS1_23onesweep_lookback_stateEbbT6_jjT7_P12ihipStream_tbENKUlT_T0_SH_SM_E_clISB_SB_SC_SC_EEDaS10_S11_SH_SM_EUlS10_E_NS1_11comp_targetILNS1_3genE10ELNS1_11target_archE1201ELNS1_3gpuE5ELNS1_3repE0EEENS1_47radix_sort_onesweep_sort_config_static_selectorELNS0_4arch9wavefront6targetE0EEEvSH_,comdat
	.protected	_ZN7rocprim17ROCPRIM_400000_NS6detail17trampoline_kernelINS0_14default_configENS1_35radix_sort_onesweep_config_selectorI6__halfNS0_10empty_typeEEEZZNS1_29radix_sort_onesweep_iterationIS3_Lb0EPKS5_PS5_PS6_SC_mNS0_19identity_decomposerENS1_16block_id_wrapperIjLb1EEEEE10hipError_tT1_PNSt15iterator_traitsISH_E10value_typeET2_T3_PNSI_ISN_E10value_typeET4_T5_PSS_ST_PNS1_23onesweep_lookback_stateEbbT6_jjT7_P12ihipStream_tbENKUlT_T0_SH_SM_E_clISB_SB_SC_SC_EEDaS10_S11_SH_SM_EUlS10_E_NS1_11comp_targetILNS1_3genE10ELNS1_11target_archE1201ELNS1_3gpuE5ELNS1_3repE0EEENS1_47radix_sort_onesweep_sort_config_static_selectorELNS0_4arch9wavefront6targetE0EEEvSH_ ; -- Begin function _ZN7rocprim17ROCPRIM_400000_NS6detail17trampoline_kernelINS0_14default_configENS1_35radix_sort_onesweep_config_selectorI6__halfNS0_10empty_typeEEEZZNS1_29radix_sort_onesweep_iterationIS3_Lb0EPKS5_PS5_PS6_SC_mNS0_19identity_decomposerENS1_16block_id_wrapperIjLb1EEEEE10hipError_tT1_PNSt15iterator_traitsISH_E10value_typeET2_T3_PNSI_ISN_E10value_typeET4_T5_PSS_ST_PNS1_23onesweep_lookback_stateEbbT6_jjT7_P12ihipStream_tbENKUlT_T0_SH_SM_E_clISB_SB_SC_SC_EEDaS10_S11_SH_SM_EUlS10_E_NS1_11comp_targetILNS1_3genE10ELNS1_11target_archE1201ELNS1_3gpuE5ELNS1_3repE0EEENS1_47radix_sort_onesweep_sort_config_static_selectorELNS0_4arch9wavefront6targetE0EEEvSH_
	.globl	_ZN7rocprim17ROCPRIM_400000_NS6detail17trampoline_kernelINS0_14default_configENS1_35radix_sort_onesweep_config_selectorI6__halfNS0_10empty_typeEEEZZNS1_29radix_sort_onesweep_iterationIS3_Lb0EPKS5_PS5_PS6_SC_mNS0_19identity_decomposerENS1_16block_id_wrapperIjLb1EEEEE10hipError_tT1_PNSt15iterator_traitsISH_E10value_typeET2_T3_PNSI_ISN_E10value_typeET4_T5_PSS_ST_PNS1_23onesweep_lookback_stateEbbT6_jjT7_P12ihipStream_tbENKUlT_T0_SH_SM_E_clISB_SB_SC_SC_EEDaS10_S11_SH_SM_EUlS10_E_NS1_11comp_targetILNS1_3genE10ELNS1_11target_archE1201ELNS1_3gpuE5ELNS1_3repE0EEENS1_47radix_sort_onesweep_sort_config_static_selectorELNS0_4arch9wavefront6targetE0EEEvSH_
	.p2align	8
	.type	_ZN7rocprim17ROCPRIM_400000_NS6detail17trampoline_kernelINS0_14default_configENS1_35radix_sort_onesweep_config_selectorI6__halfNS0_10empty_typeEEEZZNS1_29radix_sort_onesweep_iterationIS3_Lb0EPKS5_PS5_PS6_SC_mNS0_19identity_decomposerENS1_16block_id_wrapperIjLb1EEEEE10hipError_tT1_PNSt15iterator_traitsISH_E10value_typeET2_T3_PNSI_ISN_E10value_typeET4_T5_PSS_ST_PNS1_23onesweep_lookback_stateEbbT6_jjT7_P12ihipStream_tbENKUlT_T0_SH_SM_E_clISB_SB_SC_SC_EEDaS10_S11_SH_SM_EUlS10_E_NS1_11comp_targetILNS1_3genE10ELNS1_11target_archE1201ELNS1_3gpuE5ELNS1_3repE0EEENS1_47radix_sort_onesweep_sort_config_static_selectorELNS0_4arch9wavefront6targetE0EEEvSH_,@function
_ZN7rocprim17ROCPRIM_400000_NS6detail17trampoline_kernelINS0_14default_configENS1_35radix_sort_onesweep_config_selectorI6__halfNS0_10empty_typeEEEZZNS1_29radix_sort_onesweep_iterationIS3_Lb0EPKS5_PS5_PS6_SC_mNS0_19identity_decomposerENS1_16block_id_wrapperIjLb1EEEEE10hipError_tT1_PNSt15iterator_traitsISH_E10value_typeET2_T3_PNSI_ISN_E10value_typeET4_T5_PSS_ST_PNS1_23onesweep_lookback_stateEbbT6_jjT7_P12ihipStream_tbENKUlT_T0_SH_SM_E_clISB_SB_SC_SC_EEDaS10_S11_SH_SM_EUlS10_E_NS1_11comp_targetILNS1_3genE10ELNS1_11target_archE1201ELNS1_3gpuE5ELNS1_3repE0EEENS1_47radix_sort_onesweep_sort_config_static_selectorELNS0_4arch9wavefront6targetE0EEEvSH_: ; @_ZN7rocprim17ROCPRIM_400000_NS6detail17trampoline_kernelINS0_14default_configENS1_35radix_sort_onesweep_config_selectorI6__halfNS0_10empty_typeEEEZZNS1_29radix_sort_onesweep_iterationIS3_Lb0EPKS5_PS5_PS6_SC_mNS0_19identity_decomposerENS1_16block_id_wrapperIjLb1EEEEE10hipError_tT1_PNSt15iterator_traitsISH_E10value_typeET2_T3_PNSI_ISN_E10value_typeET4_T5_PSS_ST_PNS1_23onesweep_lookback_stateEbbT6_jjT7_P12ihipStream_tbENKUlT_T0_SH_SM_E_clISB_SB_SC_SC_EEDaS10_S11_SH_SM_EUlS10_E_NS1_11comp_targetILNS1_3genE10ELNS1_11target_archE1201ELNS1_3gpuE5ELNS1_3repE0EEENS1_47radix_sort_onesweep_sort_config_static_selectorELNS0_4arch9wavefront6targetE0EEEvSH_
; %bb.0:
	.section	.rodata,"a",@progbits
	.p2align	6, 0x0
	.amdhsa_kernel _ZN7rocprim17ROCPRIM_400000_NS6detail17trampoline_kernelINS0_14default_configENS1_35radix_sort_onesweep_config_selectorI6__halfNS0_10empty_typeEEEZZNS1_29radix_sort_onesweep_iterationIS3_Lb0EPKS5_PS5_PS6_SC_mNS0_19identity_decomposerENS1_16block_id_wrapperIjLb1EEEEE10hipError_tT1_PNSt15iterator_traitsISH_E10value_typeET2_T3_PNSI_ISN_E10value_typeET4_T5_PSS_ST_PNS1_23onesweep_lookback_stateEbbT6_jjT7_P12ihipStream_tbENKUlT_T0_SH_SM_E_clISB_SB_SC_SC_EEDaS10_S11_SH_SM_EUlS10_E_NS1_11comp_targetILNS1_3genE10ELNS1_11target_archE1201ELNS1_3gpuE5ELNS1_3repE0EEENS1_47radix_sort_onesweep_sort_config_static_selectorELNS0_4arch9wavefront6targetE0EEEvSH_
		.amdhsa_group_segment_fixed_size 0
		.amdhsa_private_segment_fixed_size 0
		.amdhsa_kernarg_size 88
		.amdhsa_user_sgpr_count 2
		.amdhsa_user_sgpr_dispatch_ptr 0
		.amdhsa_user_sgpr_queue_ptr 0
		.amdhsa_user_sgpr_kernarg_segment_ptr 1
		.amdhsa_user_sgpr_dispatch_id 0
		.amdhsa_user_sgpr_kernarg_preload_length 0
		.amdhsa_user_sgpr_kernarg_preload_offset 0
		.amdhsa_user_sgpr_private_segment_size 0
		.amdhsa_wavefront_size32 1
		.amdhsa_uses_dynamic_stack 0
		.amdhsa_enable_private_segment 0
		.amdhsa_system_sgpr_workgroup_id_x 1
		.amdhsa_system_sgpr_workgroup_id_y 0
		.amdhsa_system_sgpr_workgroup_id_z 0
		.amdhsa_system_sgpr_workgroup_info 0
		.amdhsa_system_vgpr_workitem_id 0
		.amdhsa_next_free_vgpr 1
		.amdhsa_next_free_sgpr 1
		.amdhsa_named_barrier_count 0
		.amdhsa_reserve_vcc 0
		.amdhsa_float_round_mode_32 0
		.amdhsa_float_round_mode_16_64 0
		.amdhsa_float_denorm_mode_32 3
		.amdhsa_float_denorm_mode_16_64 3
		.amdhsa_fp16_overflow 0
		.amdhsa_memory_ordered 1
		.amdhsa_forward_progress 1
		.amdhsa_inst_pref_size 0
		.amdhsa_round_robin_scheduling 0
		.amdhsa_exception_fp_ieee_invalid_op 0
		.amdhsa_exception_fp_denorm_src 0
		.amdhsa_exception_fp_ieee_div_zero 0
		.amdhsa_exception_fp_ieee_overflow 0
		.amdhsa_exception_fp_ieee_underflow 0
		.amdhsa_exception_fp_ieee_inexact 0
		.amdhsa_exception_int_div_zero 0
	.end_amdhsa_kernel
	.section	.text._ZN7rocprim17ROCPRIM_400000_NS6detail17trampoline_kernelINS0_14default_configENS1_35radix_sort_onesweep_config_selectorI6__halfNS0_10empty_typeEEEZZNS1_29radix_sort_onesweep_iterationIS3_Lb0EPKS5_PS5_PS6_SC_mNS0_19identity_decomposerENS1_16block_id_wrapperIjLb1EEEEE10hipError_tT1_PNSt15iterator_traitsISH_E10value_typeET2_T3_PNSI_ISN_E10value_typeET4_T5_PSS_ST_PNS1_23onesweep_lookback_stateEbbT6_jjT7_P12ihipStream_tbENKUlT_T0_SH_SM_E_clISB_SB_SC_SC_EEDaS10_S11_SH_SM_EUlS10_E_NS1_11comp_targetILNS1_3genE10ELNS1_11target_archE1201ELNS1_3gpuE5ELNS1_3repE0EEENS1_47radix_sort_onesweep_sort_config_static_selectorELNS0_4arch9wavefront6targetE0EEEvSH_,"axG",@progbits,_ZN7rocprim17ROCPRIM_400000_NS6detail17trampoline_kernelINS0_14default_configENS1_35radix_sort_onesweep_config_selectorI6__halfNS0_10empty_typeEEEZZNS1_29radix_sort_onesweep_iterationIS3_Lb0EPKS5_PS5_PS6_SC_mNS0_19identity_decomposerENS1_16block_id_wrapperIjLb1EEEEE10hipError_tT1_PNSt15iterator_traitsISH_E10value_typeET2_T3_PNSI_ISN_E10value_typeET4_T5_PSS_ST_PNS1_23onesweep_lookback_stateEbbT6_jjT7_P12ihipStream_tbENKUlT_T0_SH_SM_E_clISB_SB_SC_SC_EEDaS10_S11_SH_SM_EUlS10_E_NS1_11comp_targetILNS1_3genE10ELNS1_11target_archE1201ELNS1_3gpuE5ELNS1_3repE0EEENS1_47radix_sort_onesweep_sort_config_static_selectorELNS0_4arch9wavefront6targetE0EEEvSH_,comdat
.Lfunc_end2265:
	.size	_ZN7rocprim17ROCPRIM_400000_NS6detail17trampoline_kernelINS0_14default_configENS1_35radix_sort_onesweep_config_selectorI6__halfNS0_10empty_typeEEEZZNS1_29radix_sort_onesweep_iterationIS3_Lb0EPKS5_PS5_PS6_SC_mNS0_19identity_decomposerENS1_16block_id_wrapperIjLb1EEEEE10hipError_tT1_PNSt15iterator_traitsISH_E10value_typeET2_T3_PNSI_ISN_E10value_typeET4_T5_PSS_ST_PNS1_23onesweep_lookback_stateEbbT6_jjT7_P12ihipStream_tbENKUlT_T0_SH_SM_E_clISB_SB_SC_SC_EEDaS10_S11_SH_SM_EUlS10_E_NS1_11comp_targetILNS1_3genE10ELNS1_11target_archE1201ELNS1_3gpuE5ELNS1_3repE0EEENS1_47radix_sort_onesweep_sort_config_static_selectorELNS0_4arch9wavefront6targetE0EEEvSH_, .Lfunc_end2265-_ZN7rocprim17ROCPRIM_400000_NS6detail17trampoline_kernelINS0_14default_configENS1_35radix_sort_onesweep_config_selectorI6__halfNS0_10empty_typeEEEZZNS1_29radix_sort_onesweep_iterationIS3_Lb0EPKS5_PS5_PS6_SC_mNS0_19identity_decomposerENS1_16block_id_wrapperIjLb1EEEEE10hipError_tT1_PNSt15iterator_traitsISH_E10value_typeET2_T3_PNSI_ISN_E10value_typeET4_T5_PSS_ST_PNS1_23onesweep_lookback_stateEbbT6_jjT7_P12ihipStream_tbENKUlT_T0_SH_SM_E_clISB_SB_SC_SC_EEDaS10_S11_SH_SM_EUlS10_E_NS1_11comp_targetILNS1_3genE10ELNS1_11target_archE1201ELNS1_3gpuE5ELNS1_3repE0EEENS1_47radix_sort_onesweep_sort_config_static_selectorELNS0_4arch9wavefront6targetE0EEEvSH_
                                        ; -- End function
	.set _ZN7rocprim17ROCPRIM_400000_NS6detail17trampoline_kernelINS0_14default_configENS1_35radix_sort_onesweep_config_selectorI6__halfNS0_10empty_typeEEEZZNS1_29radix_sort_onesweep_iterationIS3_Lb0EPKS5_PS5_PS6_SC_mNS0_19identity_decomposerENS1_16block_id_wrapperIjLb1EEEEE10hipError_tT1_PNSt15iterator_traitsISH_E10value_typeET2_T3_PNSI_ISN_E10value_typeET4_T5_PSS_ST_PNS1_23onesweep_lookback_stateEbbT6_jjT7_P12ihipStream_tbENKUlT_T0_SH_SM_E_clISB_SB_SC_SC_EEDaS10_S11_SH_SM_EUlS10_E_NS1_11comp_targetILNS1_3genE10ELNS1_11target_archE1201ELNS1_3gpuE5ELNS1_3repE0EEENS1_47radix_sort_onesweep_sort_config_static_selectorELNS0_4arch9wavefront6targetE0EEEvSH_.num_vgpr, 0
	.set _ZN7rocprim17ROCPRIM_400000_NS6detail17trampoline_kernelINS0_14default_configENS1_35radix_sort_onesweep_config_selectorI6__halfNS0_10empty_typeEEEZZNS1_29radix_sort_onesweep_iterationIS3_Lb0EPKS5_PS5_PS6_SC_mNS0_19identity_decomposerENS1_16block_id_wrapperIjLb1EEEEE10hipError_tT1_PNSt15iterator_traitsISH_E10value_typeET2_T3_PNSI_ISN_E10value_typeET4_T5_PSS_ST_PNS1_23onesweep_lookback_stateEbbT6_jjT7_P12ihipStream_tbENKUlT_T0_SH_SM_E_clISB_SB_SC_SC_EEDaS10_S11_SH_SM_EUlS10_E_NS1_11comp_targetILNS1_3genE10ELNS1_11target_archE1201ELNS1_3gpuE5ELNS1_3repE0EEENS1_47radix_sort_onesweep_sort_config_static_selectorELNS0_4arch9wavefront6targetE0EEEvSH_.num_agpr, 0
	.set _ZN7rocprim17ROCPRIM_400000_NS6detail17trampoline_kernelINS0_14default_configENS1_35radix_sort_onesweep_config_selectorI6__halfNS0_10empty_typeEEEZZNS1_29radix_sort_onesweep_iterationIS3_Lb0EPKS5_PS5_PS6_SC_mNS0_19identity_decomposerENS1_16block_id_wrapperIjLb1EEEEE10hipError_tT1_PNSt15iterator_traitsISH_E10value_typeET2_T3_PNSI_ISN_E10value_typeET4_T5_PSS_ST_PNS1_23onesweep_lookback_stateEbbT6_jjT7_P12ihipStream_tbENKUlT_T0_SH_SM_E_clISB_SB_SC_SC_EEDaS10_S11_SH_SM_EUlS10_E_NS1_11comp_targetILNS1_3genE10ELNS1_11target_archE1201ELNS1_3gpuE5ELNS1_3repE0EEENS1_47radix_sort_onesweep_sort_config_static_selectorELNS0_4arch9wavefront6targetE0EEEvSH_.numbered_sgpr, 0
	.set _ZN7rocprim17ROCPRIM_400000_NS6detail17trampoline_kernelINS0_14default_configENS1_35radix_sort_onesweep_config_selectorI6__halfNS0_10empty_typeEEEZZNS1_29radix_sort_onesweep_iterationIS3_Lb0EPKS5_PS5_PS6_SC_mNS0_19identity_decomposerENS1_16block_id_wrapperIjLb1EEEEE10hipError_tT1_PNSt15iterator_traitsISH_E10value_typeET2_T3_PNSI_ISN_E10value_typeET4_T5_PSS_ST_PNS1_23onesweep_lookback_stateEbbT6_jjT7_P12ihipStream_tbENKUlT_T0_SH_SM_E_clISB_SB_SC_SC_EEDaS10_S11_SH_SM_EUlS10_E_NS1_11comp_targetILNS1_3genE10ELNS1_11target_archE1201ELNS1_3gpuE5ELNS1_3repE0EEENS1_47radix_sort_onesweep_sort_config_static_selectorELNS0_4arch9wavefront6targetE0EEEvSH_.num_named_barrier, 0
	.set _ZN7rocprim17ROCPRIM_400000_NS6detail17trampoline_kernelINS0_14default_configENS1_35radix_sort_onesweep_config_selectorI6__halfNS0_10empty_typeEEEZZNS1_29radix_sort_onesweep_iterationIS3_Lb0EPKS5_PS5_PS6_SC_mNS0_19identity_decomposerENS1_16block_id_wrapperIjLb1EEEEE10hipError_tT1_PNSt15iterator_traitsISH_E10value_typeET2_T3_PNSI_ISN_E10value_typeET4_T5_PSS_ST_PNS1_23onesweep_lookback_stateEbbT6_jjT7_P12ihipStream_tbENKUlT_T0_SH_SM_E_clISB_SB_SC_SC_EEDaS10_S11_SH_SM_EUlS10_E_NS1_11comp_targetILNS1_3genE10ELNS1_11target_archE1201ELNS1_3gpuE5ELNS1_3repE0EEENS1_47radix_sort_onesweep_sort_config_static_selectorELNS0_4arch9wavefront6targetE0EEEvSH_.private_seg_size, 0
	.set _ZN7rocprim17ROCPRIM_400000_NS6detail17trampoline_kernelINS0_14default_configENS1_35radix_sort_onesweep_config_selectorI6__halfNS0_10empty_typeEEEZZNS1_29radix_sort_onesweep_iterationIS3_Lb0EPKS5_PS5_PS6_SC_mNS0_19identity_decomposerENS1_16block_id_wrapperIjLb1EEEEE10hipError_tT1_PNSt15iterator_traitsISH_E10value_typeET2_T3_PNSI_ISN_E10value_typeET4_T5_PSS_ST_PNS1_23onesweep_lookback_stateEbbT6_jjT7_P12ihipStream_tbENKUlT_T0_SH_SM_E_clISB_SB_SC_SC_EEDaS10_S11_SH_SM_EUlS10_E_NS1_11comp_targetILNS1_3genE10ELNS1_11target_archE1201ELNS1_3gpuE5ELNS1_3repE0EEENS1_47radix_sort_onesweep_sort_config_static_selectorELNS0_4arch9wavefront6targetE0EEEvSH_.uses_vcc, 0
	.set _ZN7rocprim17ROCPRIM_400000_NS6detail17trampoline_kernelINS0_14default_configENS1_35radix_sort_onesweep_config_selectorI6__halfNS0_10empty_typeEEEZZNS1_29radix_sort_onesweep_iterationIS3_Lb0EPKS5_PS5_PS6_SC_mNS0_19identity_decomposerENS1_16block_id_wrapperIjLb1EEEEE10hipError_tT1_PNSt15iterator_traitsISH_E10value_typeET2_T3_PNSI_ISN_E10value_typeET4_T5_PSS_ST_PNS1_23onesweep_lookback_stateEbbT6_jjT7_P12ihipStream_tbENKUlT_T0_SH_SM_E_clISB_SB_SC_SC_EEDaS10_S11_SH_SM_EUlS10_E_NS1_11comp_targetILNS1_3genE10ELNS1_11target_archE1201ELNS1_3gpuE5ELNS1_3repE0EEENS1_47radix_sort_onesweep_sort_config_static_selectorELNS0_4arch9wavefront6targetE0EEEvSH_.uses_flat_scratch, 0
	.set _ZN7rocprim17ROCPRIM_400000_NS6detail17trampoline_kernelINS0_14default_configENS1_35radix_sort_onesweep_config_selectorI6__halfNS0_10empty_typeEEEZZNS1_29radix_sort_onesweep_iterationIS3_Lb0EPKS5_PS5_PS6_SC_mNS0_19identity_decomposerENS1_16block_id_wrapperIjLb1EEEEE10hipError_tT1_PNSt15iterator_traitsISH_E10value_typeET2_T3_PNSI_ISN_E10value_typeET4_T5_PSS_ST_PNS1_23onesweep_lookback_stateEbbT6_jjT7_P12ihipStream_tbENKUlT_T0_SH_SM_E_clISB_SB_SC_SC_EEDaS10_S11_SH_SM_EUlS10_E_NS1_11comp_targetILNS1_3genE10ELNS1_11target_archE1201ELNS1_3gpuE5ELNS1_3repE0EEENS1_47radix_sort_onesweep_sort_config_static_selectorELNS0_4arch9wavefront6targetE0EEEvSH_.has_dyn_sized_stack, 0
	.set _ZN7rocprim17ROCPRIM_400000_NS6detail17trampoline_kernelINS0_14default_configENS1_35radix_sort_onesweep_config_selectorI6__halfNS0_10empty_typeEEEZZNS1_29radix_sort_onesweep_iterationIS3_Lb0EPKS5_PS5_PS6_SC_mNS0_19identity_decomposerENS1_16block_id_wrapperIjLb1EEEEE10hipError_tT1_PNSt15iterator_traitsISH_E10value_typeET2_T3_PNSI_ISN_E10value_typeET4_T5_PSS_ST_PNS1_23onesweep_lookback_stateEbbT6_jjT7_P12ihipStream_tbENKUlT_T0_SH_SM_E_clISB_SB_SC_SC_EEDaS10_S11_SH_SM_EUlS10_E_NS1_11comp_targetILNS1_3genE10ELNS1_11target_archE1201ELNS1_3gpuE5ELNS1_3repE0EEENS1_47radix_sort_onesweep_sort_config_static_selectorELNS0_4arch9wavefront6targetE0EEEvSH_.has_recursion, 0
	.set _ZN7rocprim17ROCPRIM_400000_NS6detail17trampoline_kernelINS0_14default_configENS1_35radix_sort_onesweep_config_selectorI6__halfNS0_10empty_typeEEEZZNS1_29radix_sort_onesweep_iterationIS3_Lb0EPKS5_PS5_PS6_SC_mNS0_19identity_decomposerENS1_16block_id_wrapperIjLb1EEEEE10hipError_tT1_PNSt15iterator_traitsISH_E10value_typeET2_T3_PNSI_ISN_E10value_typeET4_T5_PSS_ST_PNS1_23onesweep_lookback_stateEbbT6_jjT7_P12ihipStream_tbENKUlT_T0_SH_SM_E_clISB_SB_SC_SC_EEDaS10_S11_SH_SM_EUlS10_E_NS1_11comp_targetILNS1_3genE10ELNS1_11target_archE1201ELNS1_3gpuE5ELNS1_3repE0EEENS1_47radix_sort_onesweep_sort_config_static_selectorELNS0_4arch9wavefront6targetE0EEEvSH_.has_indirect_call, 0
	.section	.AMDGPU.csdata,"",@progbits
; Kernel info:
; codeLenInByte = 0
; TotalNumSgprs: 0
; NumVgprs: 0
; ScratchSize: 0
; MemoryBound: 0
; FloatMode: 240
; IeeeMode: 1
; LDSByteSize: 0 bytes/workgroup (compile time only)
; SGPRBlocks: 0
; VGPRBlocks: 0
; NumSGPRsForWavesPerEU: 1
; NumVGPRsForWavesPerEU: 1
; NamedBarCnt: 0
; Occupancy: 16
; WaveLimiterHint : 0
; COMPUTE_PGM_RSRC2:SCRATCH_EN: 0
; COMPUTE_PGM_RSRC2:USER_SGPR: 2
; COMPUTE_PGM_RSRC2:TRAP_HANDLER: 0
; COMPUTE_PGM_RSRC2:TGID_X_EN: 1
; COMPUTE_PGM_RSRC2:TGID_Y_EN: 0
; COMPUTE_PGM_RSRC2:TGID_Z_EN: 0
; COMPUTE_PGM_RSRC2:TIDIG_COMP_CNT: 0
	.section	.text._ZN7rocprim17ROCPRIM_400000_NS6detail17trampoline_kernelINS0_14default_configENS1_35radix_sort_onesweep_config_selectorI6__halfNS0_10empty_typeEEEZZNS1_29radix_sort_onesweep_iterationIS3_Lb0EPKS5_PS5_PS6_SC_mNS0_19identity_decomposerENS1_16block_id_wrapperIjLb1EEEEE10hipError_tT1_PNSt15iterator_traitsISH_E10value_typeET2_T3_PNSI_ISN_E10value_typeET4_T5_PSS_ST_PNS1_23onesweep_lookback_stateEbbT6_jjT7_P12ihipStream_tbENKUlT_T0_SH_SM_E_clISB_SB_SC_SC_EEDaS10_S11_SH_SM_EUlS10_E_NS1_11comp_targetILNS1_3genE9ELNS1_11target_archE1100ELNS1_3gpuE3ELNS1_3repE0EEENS1_47radix_sort_onesweep_sort_config_static_selectorELNS0_4arch9wavefront6targetE0EEEvSH_,"axG",@progbits,_ZN7rocprim17ROCPRIM_400000_NS6detail17trampoline_kernelINS0_14default_configENS1_35radix_sort_onesweep_config_selectorI6__halfNS0_10empty_typeEEEZZNS1_29radix_sort_onesweep_iterationIS3_Lb0EPKS5_PS5_PS6_SC_mNS0_19identity_decomposerENS1_16block_id_wrapperIjLb1EEEEE10hipError_tT1_PNSt15iterator_traitsISH_E10value_typeET2_T3_PNSI_ISN_E10value_typeET4_T5_PSS_ST_PNS1_23onesweep_lookback_stateEbbT6_jjT7_P12ihipStream_tbENKUlT_T0_SH_SM_E_clISB_SB_SC_SC_EEDaS10_S11_SH_SM_EUlS10_E_NS1_11comp_targetILNS1_3genE9ELNS1_11target_archE1100ELNS1_3gpuE3ELNS1_3repE0EEENS1_47radix_sort_onesweep_sort_config_static_selectorELNS0_4arch9wavefront6targetE0EEEvSH_,comdat
	.protected	_ZN7rocprim17ROCPRIM_400000_NS6detail17trampoline_kernelINS0_14default_configENS1_35radix_sort_onesweep_config_selectorI6__halfNS0_10empty_typeEEEZZNS1_29radix_sort_onesweep_iterationIS3_Lb0EPKS5_PS5_PS6_SC_mNS0_19identity_decomposerENS1_16block_id_wrapperIjLb1EEEEE10hipError_tT1_PNSt15iterator_traitsISH_E10value_typeET2_T3_PNSI_ISN_E10value_typeET4_T5_PSS_ST_PNS1_23onesweep_lookback_stateEbbT6_jjT7_P12ihipStream_tbENKUlT_T0_SH_SM_E_clISB_SB_SC_SC_EEDaS10_S11_SH_SM_EUlS10_E_NS1_11comp_targetILNS1_3genE9ELNS1_11target_archE1100ELNS1_3gpuE3ELNS1_3repE0EEENS1_47radix_sort_onesweep_sort_config_static_selectorELNS0_4arch9wavefront6targetE0EEEvSH_ ; -- Begin function _ZN7rocprim17ROCPRIM_400000_NS6detail17trampoline_kernelINS0_14default_configENS1_35radix_sort_onesweep_config_selectorI6__halfNS0_10empty_typeEEEZZNS1_29radix_sort_onesweep_iterationIS3_Lb0EPKS5_PS5_PS6_SC_mNS0_19identity_decomposerENS1_16block_id_wrapperIjLb1EEEEE10hipError_tT1_PNSt15iterator_traitsISH_E10value_typeET2_T3_PNSI_ISN_E10value_typeET4_T5_PSS_ST_PNS1_23onesweep_lookback_stateEbbT6_jjT7_P12ihipStream_tbENKUlT_T0_SH_SM_E_clISB_SB_SC_SC_EEDaS10_S11_SH_SM_EUlS10_E_NS1_11comp_targetILNS1_3genE9ELNS1_11target_archE1100ELNS1_3gpuE3ELNS1_3repE0EEENS1_47radix_sort_onesweep_sort_config_static_selectorELNS0_4arch9wavefront6targetE0EEEvSH_
	.globl	_ZN7rocprim17ROCPRIM_400000_NS6detail17trampoline_kernelINS0_14default_configENS1_35radix_sort_onesweep_config_selectorI6__halfNS0_10empty_typeEEEZZNS1_29radix_sort_onesweep_iterationIS3_Lb0EPKS5_PS5_PS6_SC_mNS0_19identity_decomposerENS1_16block_id_wrapperIjLb1EEEEE10hipError_tT1_PNSt15iterator_traitsISH_E10value_typeET2_T3_PNSI_ISN_E10value_typeET4_T5_PSS_ST_PNS1_23onesweep_lookback_stateEbbT6_jjT7_P12ihipStream_tbENKUlT_T0_SH_SM_E_clISB_SB_SC_SC_EEDaS10_S11_SH_SM_EUlS10_E_NS1_11comp_targetILNS1_3genE9ELNS1_11target_archE1100ELNS1_3gpuE3ELNS1_3repE0EEENS1_47radix_sort_onesweep_sort_config_static_selectorELNS0_4arch9wavefront6targetE0EEEvSH_
	.p2align	8
	.type	_ZN7rocprim17ROCPRIM_400000_NS6detail17trampoline_kernelINS0_14default_configENS1_35radix_sort_onesweep_config_selectorI6__halfNS0_10empty_typeEEEZZNS1_29radix_sort_onesweep_iterationIS3_Lb0EPKS5_PS5_PS6_SC_mNS0_19identity_decomposerENS1_16block_id_wrapperIjLb1EEEEE10hipError_tT1_PNSt15iterator_traitsISH_E10value_typeET2_T3_PNSI_ISN_E10value_typeET4_T5_PSS_ST_PNS1_23onesweep_lookback_stateEbbT6_jjT7_P12ihipStream_tbENKUlT_T0_SH_SM_E_clISB_SB_SC_SC_EEDaS10_S11_SH_SM_EUlS10_E_NS1_11comp_targetILNS1_3genE9ELNS1_11target_archE1100ELNS1_3gpuE3ELNS1_3repE0EEENS1_47radix_sort_onesweep_sort_config_static_selectorELNS0_4arch9wavefront6targetE0EEEvSH_,@function
_ZN7rocprim17ROCPRIM_400000_NS6detail17trampoline_kernelINS0_14default_configENS1_35radix_sort_onesweep_config_selectorI6__halfNS0_10empty_typeEEEZZNS1_29radix_sort_onesweep_iterationIS3_Lb0EPKS5_PS5_PS6_SC_mNS0_19identity_decomposerENS1_16block_id_wrapperIjLb1EEEEE10hipError_tT1_PNSt15iterator_traitsISH_E10value_typeET2_T3_PNSI_ISN_E10value_typeET4_T5_PSS_ST_PNS1_23onesweep_lookback_stateEbbT6_jjT7_P12ihipStream_tbENKUlT_T0_SH_SM_E_clISB_SB_SC_SC_EEDaS10_S11_SH_SM_EUlS10_E_NS1_11comp_targetILNS1_3genE9ELNS1_11target_archE1100ELNS1_3gpuE3ELNS1_3repE0EEENS1_47radix_sort_onesweep_sort_config_static_selectorELNS0_4arch9wavefront6targetE0EEEvSH_: ; @_ZN7rocprim17ROCPRIM_400000_NS6detail17trampoline_kernelINS0_14default_configENS1_35radix_sort_onesweep_config_selectorI6__halfNS0_10empty_typeEEEZZNS1_29radix_sort_onesweep_iterationIS3_Lb0EPKS5_PS5_PS6_SC_mNS0_19identity_decomposerENS1_16block_id_wrapperIjLb1EEEEE10hipError_tT1_PNSt15iterator_traitsISH_E10value_typeET2_T3_PNSI_ISN_E10value_typeET4_T5_PSS_ST_PNS1_23onesweep_lookback_stateEbbT6_jjT7_P12ihipStream_tbENKUlT_T0_SH_SM_E_clISB_SB_SC_SC_EEDaS10_S11_SH_SM_EUlS10_E_NS1_11comp_targetILNS1_3genE9ELNS1_11target_archE1100ELNS1_3gpuE3ELNS1_3repE0EEENS1_47radix_sort_onesweep_sort_config_static_selectorELNS0_4arch9wavefront6targetE0EEEvSH_
; %bb.0:
	.section	.rodata,"a",@progbits
	.p2align	6, 0x0
	.amdhsa_kernel _ZN7rocprim17ROCPRIM_400000_NS6detail17trampoline_kernelINS0_14default_configENS1_35radix_sort_onesweep_config_selectorI6__halfNS0_10empty_typeEEEZZNS1_29radix_sort_onesweep_iterationIS3_Lb0EPKS5_PS5_PS6_SC_mNS0_19identity_decomposerENS1_16block_id_wrapperIjLb1EEEEE10hipError_tT1_PNSt15iterator_traitsISH_E10value_typeET2_T3_PNSI_ISN_E10value_typeET4_T5_PSS_ST_PNS1_23onesweep_lookback_stateEbbT6_jjT7_P12ihipStream_tbENKUlT_T0_SH_SM_E_clISB_SB_SC_SC_EEDaS10_S11_SH_SM_EUlS10_E_NS1_11comp_targetILNS1_3genE9ELNS1_11target_archE1100ELNS1_3gpuE3ELNS1_3repE0EEENS1_47radix_sort_onesweep_sort_config_static_selectorELNS0_4arch9wavefront6targetE0EEEvSH_
		.amdhsa_group_segment_fixed_size 0
		.amdhsa_private_segment_fixed_size 0
		.amdhsa_kernarg_size 88
		.amdhsa_user_sgpr_count 2
		.amdhsa_user_sgpr_dispatch_ptr 0
		.amdhsa_user_sgpr_queue_ptr 0
		.amdhsa_user_sgpr_kernarg_segment_ptr 1
		.amdhsa_user_sgpr_dispatch_id 0
		.amdhsa_user_sgpr_kernarg_preload_length 0
		.amdhsa_user_sgpr_kernarg_preload_offset 0
		.amdhsa_user_sgpr_private_segment_size 0
		.amdhsa_wavefront_size32 1
		.amdhsa_uses_dynamic_stack 0
		.amdhsa_enable_private_segment 0
		.amdhsa_system_sgpr_workgroup_id_x 1
		.amdhsa_system_sgpr_workgroup_id_y 0
		.amdhsa_system_sgpr_workgroup_id_z 0
		.amdhsa_system_sgpr_workgroup_info 0
		.amdhsa_system_vgpr_workitem_id 0
		.amdhsa_next_free_vgpr 1
		.amdhsa_next_free_sgpr 1
		.amdhsa_named_barrier_count 0
		.amdhsa_reserve_vcc 0
		.amdhsa_float_round_mode_32 0
		.amdhsa_float_round_mode_16_64 0
		.amdhsa_float_denorm_mode_32 3
		.amdhsa_float_denorm_mode_16_64 3
		.amdhsa_fp16_overflow 0
		.amdhsa_memory_ordered 1
		.amdhsa_forward_progress 1
		.amdhsa_inst_pref_size 0
		.amdhsa_round_robin_scheduling 0
		.amdhsa_exception_fp_ieee_invalid_op 0
		.amdhsa_exception_fp_denorm_src 0
		.amdhsa_exception_fp_ieee_div_zero 0
		.amdhsa_exception_fp_ieee_overflow 0
		.amdhsa_exception_fp_ieee_underflow 0
		.amdhsa_exception_fp_ieee_inexact 0
		.amdhsa_exception_int_div_zero 0
	.end_amdhsa_kernel
	.section	.text._ZN7rocprim17ROCPRIM_400000_NS6detail17trampoline_kernelINS0_14default_configENS1_35radix_sort_onesweep_config_selectorI6__halfNS0_10empty_typeEEEZZNS1_29radix_sort_onesweep_iterationIS3_Lb0EPKS5_PS5_PS6_SC_mNS0_19identity_decomposerENS1_16block_id_wrapperIjLb1EEEEE10hipError_tT1_PNSt15iterator_traitsISH_E10value_typeET2_T3_PNSI_ISN_E10value_typeET4_T5_PSS_ST_PNS1_23onesweep_lookback_stateEbbT6_jjT7_P12ihipStream_tbENKUlT_T0_SH_SM_E_clISB_SB_SC_SC_EEDaS10_S11_SH_SM_EUlS10_E_NS1_11comp_targetILNS1_3genE9ELNS1_11target_archE1100ELNS1_3gpuE3ELNS1_3repE0EEENS1_47radix_sort_onesweep_sort_config_static_selectorELNS0_4arch9wavefront6targetE0EEEvSH_,"axG",@progbits,_ZN7rocprim17ROCPRIM_400000_NS6detail17trampoline_kernelINS0_14default_configENS1_35radix_sort_onesweep_config_selectorI6__halfNS0_10empty_typeEEEZZNS1_29radix_sort_onesweep_iterationIS3_Lb0EPKS5_PS5_PS6_SC_mNS0_19identity_decomposerENS1_16block_id_wrapperIjLb1EEEEE10hipError_tT1_PNSt15iterator_traitsISH_E10value_typeET2_T3_PNSI_ISN_E10value_typeET4_T5_PSS_ST_PNS1_23onesweep_lookback_stateEbbT6_jjT7_P12ihipStream_tbENKUlT_T0_SH_SM_E_clISB_SB_SC_SC_EEDaS10_S11_SH_SM_EUlS10_E_NS1_11comp_targetILNS1_3genE9ELNS1_11target_archE1100ELNS1_3gpuE3ELNS1_3repE0EEENS1_47radix_sort_onesweep_sort_config_static_selectorELNS0_4arch9wavefront6targetE0EEEvSH_,comdat
.Lfunc_end2266:
	.size	_ZN7rocprim17ROCPRIM_400000_NS6detail17trampoline_kernelINS0_14default_configENS1_35radix_sort_onesweep_config_selectorI6__halfNS0_10empty_typeEEEZZNS1_29radix_sort_onesweep_iterationIS3_Lb0EPKS5_PS5_PS6_SC_mNS0_19identity_decomposerENS1_16block_id_wrapperIjLb1EEEEE10hipError_tT1_PNSt15iterator_traitsISH_E10value_typeET2_T3_PNSI_ISN_E10value_typeET4_T5_PSS_ST_PNS1_23onesweep_lookback_stateEbbT6_jjT7_P12ihipStream_tbENKUlT_T0_SH_SM_E_clISB_SB_SC_SC_EEDaS10_S11_SH_SM_EUlS10_E_NS1_11comp_targetILNS1_3genE9ELNS1_11target_archE1100ELNS1_3gpuE3ELNS1_3repE0EEENS1_47radix_sort_onesweep_sort_config_static_selectorELNS0_4arch9wavefront6targetE0EEEvSH_, .Lfunc_end2266-_ZN7rocprim17ROCPRIM_400000_NS6detail17trampoline_kernelINS0_14default_configENS1_35radix_sort_onesweep_config_selectorI6__halfNS0_10empty_typeEEEZZNS1_29radix_sort_onesweep_iterationIS3_Lb0EPKS5_PS5_PS6_SC_mNS0_19identity_decomposerENS1_16block_id_wrapperIjLb1EEEEE10hipError_tT1_PNSt15iterator_traitsISH_E10value_typeET2_T3_PNSI_ISN_E10value_typeET4_T5_PSS_ST_PNS1_23onesweep_lookback_stateEbbT6_jjT7_P12ihipStream_tbENKUlT_T0_SH_SM_E_clISB_SB_SC_SC_EEDaS10_S11_SH_SM_EUlS10_E_NS1_11comp_targetILNS1_3genE9ELNS1_11target_archE1100ELNS1_3gpuE3ELNS1_3repE0EEENS1_47radix_sort_onesweep_sort_config_static_selectorELNS0_4arch9wavefront6targetE0EEEvSH_
                                        ; -- End function
	.set _ZN7rocprim17ROCPRIM_400000_NS6detail17trampoline_kernelINS0_14default_configENS1_35radix_sort_onesweep_config_selectorI6__halfNS0_10empty_typeEEEZZNS1_29radix_sort_onesweep_iterationIS3_Lb0EPKS5_PS5_PS6_SC_mNS0_19identity_decomposerENS1_16block_id_wrapperIjLb1EEEEE10hipError_tT1_PNSt15iterator_traitsISH_E10value_typeET2_T3_PNSI_ISN_E10value_typeET4_T5_PSS_ST_PNS1_23onesweep_lookback_stateEbbT6_jjT7_P12ihipStream_tbENKUlT_T0_SH_SM_E_clISB_SB_SC_SC_EEDaS10_S11_SH_SM_EUlS10_E_NS1_11comp_targetILNS1_3genE9ELNS1_11target_archE1100ELNS1_3gpuE3ELNS1_3repE0EEENS1_47radix_sort_onesweep_sort_config_static_selectorELNS0_4arch9wavefront6targetE0EEEvSH_.num_vgpr, 0
	.set _ZN7rocprim17ROCPRIM_400000_NS6detail17trampoline_kernelINS0_14default_configENS1_35radix_sort_onesweep_config_selectorI6__halfNS0_10empty_typeEEEZZNS1_29radix_sort_onesweep_iterationIS3_Lb0EPKS5_PS5_PS6_SC_mNS0_19identity_decomposerENS1_16block_id_wrapperIjLb1EEEEE10hipError_tT1_PNSt15iterator_traitsISH_E10value_typeET2_T3_PNSI_ISN_E10value_typeET4_T5_PSS_ST_PNS1_23onesweep_lookback_stateEbbT6_jjT7_P12ihipStream_tbENKUlT_T0_SH_SM_E_clISB_SB_SC_SC_EEDaS10_S11_SH_SM_EUlS10_E_NS1_11comp_targetILNS1_3genE9ELNS1_11target_archE1100ELNS1_3gpuE3ELNS1_3repE0EEENS1_47radix_sort_onesweep_sort_config_static_selectorELNS0_4arch9wavefront6targetE0EEEvSH_.num_agpr, 0
	.set _ZN7rocprim17ROCPRIM_400000_NS6detail17trampoline_kernelINS0_14default_configENS1_35radix_sort_onesweep_config_selectorI6__halfNS0_10empty_typeEEEZZNS1_29radix_sort_onesweep_iterationIS3_Lb0EPKS5_PS5_PS6_SC_mNS0_19identity_decomposerENS1_16block_id_wrapperIjLb1EEEEE10hipError_tT1_PNSt15iterator_traitsISH_E10value_typeET2_T3_PNSI_ISN_E10value_typeET4_T5_PSS_ST_PNS1_23onesweep_lookback_stateEbbT6_jjT7_P12ihipStream_tbENKUlT_T0_SH_SM_E_clISB_SB_SC_SC_EEDaS10_S11_SH_SM_EUlS10_E_NS1_11comp_targetILNS1_3genE9ELNS1_11target_archE1100ELNS1_3gpuE3ELNS1_3repE0EEENS1_47radix_sort_onesweep_sort_config_static_selectorELNS0_4arch9wavefront6targetE0EEEvSH_.numbered_sgpr, 0
	.set _ZN7rocprim17ROCPRIM_400000_NS6detail17trampoline_kernelINS0_14default_configENS1_35radix_sort_onesweep_config_selectorI6__halfNS0_10empty_typeEEEZZNS1_29radix_sort_onesweep_iterationIS3_Lb0EPKS5_PS5_PS6_SC_mNS0_19identity_decomposerENS1_16block_id_wrapperIjLb1EEEEE10hipError_tT1_PNSt15iterator_traitsISH_E10value_typeET2_T3_PNSI_ISN_E10value_typeET4_T5_PSS_ST_PNS1_23onesweep_lookback_stateEbbT6_jjT7_P12ihipStream_tbENKUlT_T0_SH_SM_E_clISB_SB_SC_SC_EEDaS10_S11_SH_SM_EUlS10_E_NS1_11comp_targetILNS1_3genE9ELNS1_11target_archE1100ELNS1_3gpuE3ELNS1_3repE0EEENS1_47radix_sort_onesweep_sort_config_static_selectorELNS0_4arch9wavefront6targetE0EEEvSH_.num_named_barrier, 0
	.set _ZN7rocprim17ROCPRIM_400000_NS6detail17trampoline_kernelINS0_14default_configENS1_35radix_sort_onesweep_config_selectorI6__halfNS0_10empty_typeEEEZZNS1_29radix_sort_onesweep_iterationIS3_Lb0EPKS5_PS5_PS6_SC_mNS0_19identity_decomposerENS1_16block_id_wrapperIjLb1EEEEE10hipError_tT1_PNSt15iterator_traitsISH_E10value_typeET2_T3_PNSI_ISN_E10value_typeET4_T5_PSS_ST_PNS1_23onesweep_lookback_stateEbbT6_jjT7_P12ihipStream_tbENKUlT_T0_SH_SM_E_clISB_SB_SC_SC_EEDaS10_S11_SH_SM_EUlS10_E_NS1_11comp_targetILNS1_3genE9ELNS1_11target_archE1100ELNS1_3gpuE3ELNS1_3repE0EEENS1_47radix_sort_onesweep_sort_config_static_selectorELNS0_4arch9wavefront6targetE0EEEvSH_.private_seg_size, 0
	.set _ZN7rocprim17ROCPRIM_400000_NS6detail17trampoline_kernelINS0_14default_configENS1_35radix_sort_onesweep_config_selectorI6__halfNS0_10empty_typeEEEZZNS1_29radix_sort_onesweep_iterationIS3_Lb0EPKS5_PS5_PS6_SC_mNS0_19identity_decomposerENS1_16block_id_wrapperIjLb1EEEEE10hipError_tT1_PNSt15iterator_traitsISH_E10value_typeET2_T3_PNSI_ISN_E10value_typeET4_T5_PSS_ST_PNS1_23onesweep_lookback_stateEbbT6_jjT7_P12ihipStream_tbENKUlT_T0_SH_SM_E_clISB_SB_SC_SC_EEDaS10_S11_SH_SM_EUlS10_E_NS1_11comp_targetILNS1_3genE9ELNS1_11target_archE1100ELNS1_3gpuE3ELNS1_3repE0EEENS1_47radix_sort_onesweep_sort_config_static_selectorELNS0_4arch9wavefront6targetE0EEEvSH_.uses_vcc, 0
	.set _ZN7rocprim17ROCPRIM_400000_NS6detail17trampoline_kernelINS0_14default_configENS1_35radix_sort_onesweep_config_selectorI6__halfNS0_10empty_typeEEEZZNS1_29radix_sort_onesweep_iterationIS3_Lb0EPKS5_PS5_PS6_SC_mNS0_19identity_decomposerENS1_16block_id_wrapperIjLb1EEEEE10hipError_tT1_PNSt15iterator_traitsISH_E10value_typeET2_T3_PNSI_ISN_E10value_typeET4_T5_PSS_ST_PNS1_23onesweep_lookback_stateEbbT6_jjT7_P12ihipStream_tbENKUlT_T0_SH_SM_E_clISB_SB_SC_SC_EEDaS10_S11_SH_SM_EUlS10_E_NS1_11comp_targetILNS1_3genE9ELNS1_11target_archE1100ELNS1_3gpuE3ELNS1_3repE0EEENS1_47radix_sort_onesweep_sort_config_static_selectorELNS0_4arch9wavefront6targetE0EEEvSH_.uses_flat_scratch, 0
	.set _ZN7rocprim17ROCPRIM_400000_NS6detail17trampoline_kernelINS0_14default_configENS1_35radix_sort_onesweep_config_selectorI6__halfNS0_10empty_typeEEEZZNS1_29radix_sort_onesweep_iterationIS3_Lb0EPKS5_PS5_PS6_SC_mNS0_19identity_decomposerENS1_16block_id_wrapperIjLb1EEEEE10hipError_tT1_PNSt15iterator_traitsISH_E10value_typeET2_T3_PNSI_ISN_E10value_typeET4_T5_PSS_ST_PNS1_23onesweep_lookback_stateEbbT6_jjT7_P12ihipStream_tbENKUlT_T0_SH_SM_E_clISB_SB_SC_SC_EEDaS10_S11_SH_SM_EUlS10_E_NS1_11comp_targetILNS1_3genE9ELNS1_11target_archE1100ELNS1_3gpuE3ELNS1_3repE0EEENS1_47radix_sort_onesweep_sort_config_static_selectorELNS0_4arch9wavefront6targetE0EEEvSH_.has_dyn_sized_stack, 0
	.set _ZN7rocprim17ROCPRIM_400000_NS6detail17trampoline_kernelINS0_14default_configENS1_35radix_sort_onesweep_config_selectorI6__halfNS0_10empty_typeEEEZZNS1_29radix_sort_onesweep_iterationIS3_Lb0EPKS5_PS5_PS6_SC_mNS0_19identity_decomposerENS1_16block_id_wrapperIjLb1EEEEE10hipError_tT1_PNSt15iterator_traitsISH_E10value_typeET2_T3_PNSI_ISN_E10value_typeET4_T5_PSS_ST_PNS1_23onesweep_lookback_stateEbbT6_jjT7_P12ihipStream_tbENKUlT_T0_SH_SM_E_clISB_SB_SC_SC_EEDaS10_S11_SH_SM_EUlS10_E_NS1_11comp_targetILNS1_3genE9ELNS1_11target_archE1100ELNS1_3gpuE3ELNS1_3repE0EEENS1_47radix_sort_onesweep_sort_config_static_selectorELNS0_4arch9wavefront6targetE0EEEvSH_.has_recursion, 0
	.set _ZN7rocprim17ROCPRIM_400000_NS6detail17trampoline_kernelINS0_14default_configENS1_35radix_sort_onesweep_config_selectorI6__halfNS0_10empty_typeEEEZZNS1_29radix_sort_onesweep_iterationIS3_Lb0EPKS5_PS5_PS6_SC_mNS0_19identity_decomposerENS1_16block_id_wrapperIjLb1EEEEE10hipError_tT1_PNSt15iterator_traitsISH_E10value_typeET2_T3_PNSI_ISN_E10value_typeET4_T5_PSS_ST_PNS1_23onesweep_lookback_stateEbbT6_jjT7_P12ihipStream_tbENKUlT_T0_SH_SM_E_clISB_SB_SC_SC_EEDaS10_S11_SH_SM_EUlS10_E_NS1_11comp_targetILNS1_3genE9ELNS1_11target_archE1100ELNS1_3gpuE3ELNS1_3repE0EEENS1_47radix_sort_onesweep_sort_config_static_selectorELNS0_4arch9wavefront6targetE0EEEvSH_.has_indirect_call, 0
	.section	.AMDGPU.csdata,"",@progbits
; Kernel info:
; codeLenInByte = 0
; TotalNumSgprs: 0
; NumVgprs: 0
; ScratchSize: 0
; MemoryBound: 0
; FloatMode: 240
; IeeeMode: 1
; LDSByteSize: 0 bytes/workgroup (compile time only)
; SGPRBlocks: 0
; VGPRBlocks: 0
; NumSGPRsForWavesPerEU: 1
; NumVGPRsForWavesPerEU: 1
; NamedBarCnt: 0
; Occupancy: 16
; WaveLimiterHint : 0
; COMPUTE_PGM_RSRC2:SCRATCH_EN: 0
; COMPUTE_PGM_RSRC2:USER_SGPR: 2
; COMPUTE_PGM_RSRC2:TRAP_HANDLER: 0
; COMPUTE_PGM_RSRC2:TGID_X_EN: 1
; COMPUTE_PGM_RSRC2:TGID_Y_EN: 0
; COMPUTE_PGM_RSRC2:TGID_Z_EN: 0
; COMPUTE_PGM_RSRC2:TIDIG_COMP_CNT: 0
	.section	.text._ZN7rocprim17ROCPRIM_400000_NS6detail17trampoline_kernelINS0_14default_configENS1_35radix_sort_onesweep_config_selectorI6__halfNS0_10empty_typeEEEZZNS1_29radix_sort_onesweep_iterationIS3_Lb0EPKS5_PS5_PS6_SC_mNS0_19identity_decomposerENS1_16block_id_wrapperIjLb1EEEEE10hipError_tT1_PNSt15iterator_traitsISH_E10value_typeET2_T3_PNSI_ISN_E10value_typeET4_T5_PSS_ST_PNS1_23onesweep_lookback_stateEbbT6_jjT7_P12ihipStream_tbENKUlT_T0_SH_SM_E_clISB_SB_SC_SC_EEDaS10_S11_SH_SM_EUlS10_E_NS1_11comp_targetILNS1_3genE8ELNS1_11target_archE1030ELNS1_3gpuE2ELNS1_3repE0EEENS1_47radix_sort_onesweep_sort_config_static_selectorELNS0_4arch9wavefront6targetE0EEEvSH_,"axG",@progbits,_ZN7rocprim17ROCPRIM_400000_NS6detail17trampoline_kernelINS0_14default_configENS1_35radix_sort_onesweep_config_selectorI6__halfNS0_10empty_typeEEEZZNS1_29radix_sort_onesweep_iterationIS3_Lb0EPKS5_PS5_PS6_SC_mNS0_19identity_decomposerENS1_16block_id_wrapperIjLb1EEEEE10hipError_tT1_PNSt15iterator_traitsISH_E10value_typeET2_T3_PNSI_ISN_E10value_typeET4_T5_PSS_ST_PNS1_23onesweep_lookback_stateEbbT6_jjT7_P12ihipStream_tbENKUlT_T0_SH_SM_E_clISB_SB_SC_SC_EEDaS10_S11_SH_SM_EUlS10_E_NS1_11comp_targetILNS1_3genE8ELNS1_11target_archE1030ELNS1_3gpuE2ELNS1_3repE0EEENS1_47radix_sort_onesweep_sort_config_static_selectorELNS0_4arch9wavefront6targetE0EEEvSH_,comdat
	.protected	_ZN7rocprim17ROCPRIM_400000_NS6detail17trampoline_kernelINS0_14default_configENS1_35radix_sort_onesweep_config_selectorI6__halfNS0_10empty_typeEEEZZNS1_29radix_sort_onesweep_iterationIS3_Lb0EPKS5_PS5_PS6_SC_mNS0_19identity_decomposerENS1_16block_id_wrapperIjLb1EEEEE10hipError_tT1_PNSt15iterator_traitsISH_E10value_typeET2_T3_PNSI_ISN_E10value_typeET4_T5_PSS_ST_PNS1_23onesweep_lookback_stateEbbT6_jjT7_P12ihipStream_tbENKUlT_T0_SH_SM_E_clISB_SB_SC_SC_EEDaS10_S11_SH_SM_EUlS10_E_NS1_11comp_targetILNS1_3genE8ELNS1_11target_archE1030ELNS1_3gpuE2ELNS1_3repE0EEENS1_47radix_sort_onesweep_sort_config_static_selectorELNS0_4arch9wavefront6targetE0EEEvSH_ ; -- Begin function _ZN7rocprim17ROCPRIM_400000_NS6detail17trampoline_kernelINS0_14default_configENS1_35radix_sort_onesweep_config_selectorI6__halfNS0_10empty_typeEEEZZNS1_29radix_sort_onesweep_iterationIS3_Lb0EPKS5_PS5_PS6_SC_mNS0_19identity_decomposerENS1_16block_id_wrapperIjLb1EEEEE10hipError_tT1_PNSt15iterator_traitsISH_E10value_typeET2_T3_PNSI_ISN_E10value_typeET4_T5_PSS_ST_PNS1_23onesweep_lookback_stateEbbT6_jjT7_P12ihipStream_tbENKUlT_T0_SH_SM_E_clISB_SB_SC_SC_EEDaS10_S11_SH_SM_EUlS10_E_NS1_11comp_targetILNS1_3genE8ELNS1_11target_archE1030ELNS1_3gpuE2ELNS1_3repE0EEENS1_47radix_sort_onesweep_sort_config_static_selectorELNS0_4arch9wavefront6targetE0EEEvSH_
	.globl	_ZN7rocprim17ROCPRIM_400000_NS6detail17trampoline_kernelINS0_14default_configENS1_35radix_sort_onesweep_config_selectorI6__halfNS0_10empty_typeEEEZZNS1_29radix_sort_onesweep_iterationIS3_Lb0EPKS5_PS5_PS6_SC_mNS0_19identity_decomposerENS1_16block_id_wrapperIjLb1EEEEE10hipError_tT1_PNSt15iterator_traitsISH_E10value_typeET2_T3_PNSI_ISN_E10value_typeET4_T5_PSS_ST_PNS1_23onesweep_lookback_stateEbbT6_jjT7_P12ihipStream_tbENKUlT_T0_SH_SM_E_clISB_SB_SC_SC_EEDaS10_S11_SH_SM_EUlS10_E_NS1_11comp_targetILNS1_3genE8ELNS1_11target_archE1030ELNS1_3gpuE2ELNS1_3repE0EEENS1_47radix_sort_onesweep_sort_config_static_selectorELNS0_4arch9wavefront6targetE0EEEvSH_
	.p2align	8
	.type	_ZN7rocprim17ROCPRIM_400000_NS6detail17trampoline_kernelINS0_14default_configENS1_35radix_sort_onesweep_config_selectorI6__halfNS0_10empty_typeEEEZZNS1_29radix_sort_onesweep_iterationIS3_Lb0EPKS5_PS5_PS6_SC_mNS0_19identity_decomposerENS1_16block_id_wrapperIjLb1EEEEE10hipError_tT1_PNSt15iterator_traitsISH_E10value_typeET2_T3_PNSI_ISN_E10value_typeET4_T5_PSS_ST_PNS1_23onesweep_lookback_stateEbbT6_jjT7_P12ihipStream_tbENKUlT_T0_SH_SM_E_clISB_SB_SC_SC_EEDaS10_S11_SH_SM_EUlS10_E_NS1_11comp_targetILNS1_3genE8ELNS1_11target_archE1030ELNS1_3gpuE2ELNS1_3repE0EEENS1_47radix_sort_onesweep_sort_config_static_selectorELNS0_4arch9wavefront6targetE0EEEvSH_,@function
_ZN7rocprim17ROCPRIM_400000_NS6detail17trampoline_kernelINS0_14default_configENS1_35radix_sort_onesweep_config_selectorI6__halfNS0_10empty_typeEEEZZNS1_29radix_sort_onesweep_iterationIS3_Lb0EPKS5_PS5_PS6_SC_mNS0_19identity_decomposerENS1_16block_id_wrapperIjLb1EEEEE10hipError_tT1_PNSt15iterator_traitsISH_E10value_typeET2_T3_PNSI_ISN_E10value_typeET4_T5_PSS_ST_PNS1_23onesweep_lookback_stateEbbT6_jjT7_P12ihipStream_tbENKUlT_T0_SH_SM_E_clISB_SB_SC_SC_EEDaS10_S11_SH_SM_EUlS10_E_NS1_11comp_targetILNS1_3genE8ELNS1_11target_archE1030ELNS1_3gpuE2ELNS1_3repE0EEENS1_47radix_sort_onesweep_sort_config_static_selectorELNS0_4arch9wavefront6targetE0EEEvSH_: ; @_ZN7rocprim17ROCPRIM_400000_NS6detail17trampoline_kernelINS0_14default_configENS1_35radix_sort_onesweep_config_selectorI6__halfNS0_10empty_typeEEEZZNS1_29radix_sort_onesweep_iterationIS3_Lb0EPKS5_PS5_PS6_SC_mNS0_19identity_decomposerENS1_16block_id_wrapperIjLb1EEEEE10hipError_tT1_PNSt15iterator_traitsISH_E10value_typeET2_T3_PNSI_ISN_E10value_typeET4_T5_PSS_ST_PNS1_23onesweep_lookback_stateEbbT6_jjT7_P12ihipStream_tbENKUlT_T0_SH_SM_E_clISB_SB_SC_SC_EEDaS10_S11_SH_SM_EUlS10_E_NS1_11comp_targetILNS1_3genE8ELNS1_11target_archE1030ELNS1_3gpuE2ELNS1_3repE0EEENS1_47radix_sort_onesweep_sort_config_static_selectorELNS0_4arch9wavefront6targetE0EEEvSH_
; %bb.0:
	.section	.rodata,"a",@progbits
	.p2align	6, 0x0
	.amdhsa_kernel _ZN7rocprim17ROCPRIM_400000_NS6detail17trampoline_kernelINS0_14default_configENS1_35radix_sort_onesweep_config_selectorI6__halfNS0_10empty_typeEEEZZNS1_29radix_sort_onesweep_iterationIS3_Lb0EPKS5_PS5_PS6_SC_mNS0_19identity_decomposerENS1_16block_id_wrapperIjLb1EEEEE10hipError_tT1_PNSt15iterator_traitsISH_E10value_typeET2_T3_PNSI_ISN_E10value_typeET4_T5_PSS_ST_PNS1_23onesweep_lookback_stateEbbT6_jjT7_P12ihipStream_tbENKUlT_T0_SH_SM_E_clISB_SB_SC_SC_EEDaS10_S11_SH_SM_EUlS10_E_NS1_11comp_targetILNS1_3genE8ELNS1_11target_archE1030ELNS1_3gpuE2ELNS1_3repE0EEENS1_47radix_sort_onesweep_sort_config_static_selectorELNS0_4arch9wavefront6targetE0EEEvSH_
		.amdhsa_group_segment_fixed_size 0
		.amdhsa_private_segment_fixed_size 0
		.amdhsa_kernarg_size 88
		.amdhsa_user_sgpr_count 2
		.amdhsa_user_sgpr_dispatch_ptr 0
		.amdhsa_user_sgpr_queue_ptr 0
		.amdhsa_user_sgpr_kernarg_segment_ptr 1
		.amdhsa_user_sgpr_dispatch_id 0
		.amdhsa_user_sgpr_kernarg_preload_length 0
		.amdhsa_user_sgpr_kernarg_preload_offset 0
		.amdhsa_user_sgpr_private_segment_size 0
		.amdhsa_wavefront_size32 1
		.amdhsa_uses_dynamic_stack 0
		.amdhsa_enable_private_segment 0
		.amdhsa_system_sgpr_workgroup_id_x 1
		.amdhsa_system_sgpr_workgroup_id_y 0
		.amdhsa_system_sgpr_workgroup_id_z 0
		.amdhsa_system_sgpr_workgroup_info 0
		.amdhsa_system_vgpr_workitem_id 0
		.amdhsa_next_free_vgpr 1
		.amdhsa_next_free_sgpr 1
		.amdhsa_named_barrier_count 0
		.amdhsa_reserve_vcc 0
		.amdhsa_float_round_mode_32 0
		.amdhsa_float_round_mode_16_64 0
		.amdhsa_float_denorm_mode_32 3
		.amdhsa_float_denorm_mode_16_64 3
		.amdhsa_fp16_overflow 0
		.amdhsa_memory_ordered 1
		.amdhsa_forward_progress 1
		.amdhsa_inst_pref_size 0
		.amdhsa_round_robin_scheduling 0
		.amdhsa_exception_fp_ieee_invalid_op 0
		.amdhsa_exception_fp_denorm_src 0
		.amdhsa_exception_fp_ieee_div_zero 0
		.amdhsa_exception_fp_ieee_overflow 0
		.amdhsa_exception_fp_ieee_underflow 0
		.amdhsa_exception_fp_ieee_inexact 0
		.amdhsa_exception_int_div_zero 0
	.end_amdhsa_kernel
	.section	.text._ZN7rocprim17ROCPRIM_400000_NS6detail17trampoline_kernelINS0_14default_configENS1_35radix_sort_onesweep_config_selectorI6__halfNS0_10empty_typeEEEZZNS1_29radix_sort_onesweep_iterationIS3_Lb0EPKS5_PS5_PS6_SC_mNS0_19identity_decomposerENS1_16block_id_wrapperIjLb1EEEEE10hipError_tT1_PNSt15iterator_traitsISH_E10value_typeET2_T3_PNSI_ISN_E10value_typeET4_T5_PSS_ST_PNS1_23onesweep_lookback_stateEbbT6_jjT7_P12ihipStream_tbENKUlT_T0_SH_SM_E_clISB_SB_SC_SC_EEDaS10_S11_SH_SM_EUlS10_E_NS1_11comp_targetILNS1_3genE8ELNS1_11target_archE1030ELNS1_3gpuE2ELNS1_3repE0EEENS1_47radix_sort_onesweep_sort_config_static_selectorELNS0_4arch9wavefront6targetE0EEEvSH_,"axG",@progbits,_ZN7rocprim17ROCPRIM_400000_NS6detail17trampoline_kernelINS0_14default_configENS1_35radix_sort_onesweep_config_selectorI6__halfNS0_10empty_typeEEEZZNS1_29radix_sort_onesweep_iterationIS3_Lb0EPKS5_PS5_PS6_SC_mNS0_19identity_decomposerENS1_16block_id_wrapperIjLb1EEEEE10hipError_tT1_PNSt15iterator_traitsISH_E10value_typeET2_T3_PNSI_ISN_E10value_typeET4_T5_PSS_ST_PNS1_23onesweep_lookback_stateEbbT6_jjT7_P12ihipStream_tbENKUlT_T0_SH_SM_E_clISB_SB_SC_SC_EEDaS10_S11_SH_SM_EUlS10_E_NS1_11comp_targetILNS1_3genE8ELNS1_11target_archE1030ELNS1_3gpuE2ELNS1_3repE0EEENS1_47radix_sort_onesweep_sort_config_static_selectorELNS0_4arch9wavefront6targetE0EEEvSH_,comdat
.Lfunc_end2267:
	.size	_ZN7rocprim17ROCPRIM_400000_NS6detail17trampoline_kernelINS0_14default_configENS1_35radix_sort_onesweep_config_selectorI6__halfNS0_10empty_typeEEEZZNS1_29radix_sort_onesweep_iterationIS3_Lb0EPKS5_PS5_PS6_SC_mNS0_19identity_decomposerENS1_16block_id_wrapperIjLb1EEEEE10hipError_tT1_PNSt15iterator_traitsISH_E10value_typeET2_T3_PNSI_ISN_E10value_typeET4_T5_PSS_ST_PNS1_23onesweep_lookback_stateEbbT6_jjT7_P12ihipStream_tbENKUlT_T0_SH_SM_E_clISB_SB_SC_SC_EEDaS10_S11_SH_SM_EUlS10_E_NS1_11comp_targetILNS1_3genE8ELNS1_11target_archE1030ELNS1_3gpuE2ELNS1_3repE0EEENS1_47radix_sort_onesweep_sort_config_static_selectorELNS0_4arch9wavefront6targetE0EEEvSH_, .Lfunc_end2267-_ZN7rocprim17ROCPRIM_400000_NS6detail17trampoline_kernelINS0_14default_configENS1_35radix_sort_onesweep_config_selectorI6__halfNS0_10empty_typeEEEZZNS1_29radix_sort_onesweep_iterationIS3_Lb0EPKS5_PS5_PS6_SC_mNS0_19identity_decomposerENS1_16block_id_wrapperIjLb1EEEEE10hipError_tT1_PNSt15iterator_traitsISH_E10value_typeET2_T3_PNSI_ISN_E10value_typeET4_T5_PSS_ST_PNS1_23onesweep_lookback_stateEbbT6_jjT7_P12ihipStream_tbENKUlT_T0_SH_SM_E_clISB_SB_SC_SC_EEDaS10_S11_SH_SM_EUlS10_E_NS1_11comp_targetILNS1_3genE8ELNS1_11target_archE1030ELNS1_3gpuE2ELNS1_3repE0EEENS1_47radix_sort_onesweep_sort_config_static_selectorELNS0_4arch9wavefront6targetE0EEEvSH_
                                        ; -- End function
	.set _ZN7rocprim17ROCPRIM_400000_NS6detail17trampoline_kernelINS0_14default_configENS1_35radix_sort_onesweep_config_selectorI6__halfNS0_10empty_typeEEEZZNS1_29radix_sort_onesweep_iterationIS3_Lb0EPKS5_PS5_PS6_SC_mNS0_19identity_decomposerENS1_16block_id_wrapperIjLb1EEEEE10hipError_tT1_PNSt15iterator_traitsISH_E10value_typeET2_T3_PNSI_ISN_E10value_typeET4_T5_PSS_ST_PNS1_23onesweep_lookback_stateEbbT6_jjT7_P12ihipStream_tbENKUlT_T0_SH_SM_E_clISB_SB_SC_SC_EEDaS10_S11_SH_SM_EUlS10_E_NS1_11comp_targetILNS1_3genE8ELNS1_11target_archE1030ELNS1_3gpuE2ELNS1_3repE0EEENS1_47radix_sort_onesweep_sort_config_static_selectorELNS0_4arch9wavefront6targetE0EEEvSH_.num_vgpr, 0
	.set _ZN7rocprim17ROCPRIM_400000_NS6detail17trampoline_kernelINS0_14default_configENS1_35radix_sort_onesweep_config_selectorI6__halfNS0_10empty_typeEEEZZNS1_29radix_sort_onesweep_iterationIS3_Lb0EPKS5_PS5_PS6_SC_mNS0_19identity_decomposerENS1_16block_id_wrapperIjLb1EEEEE10hipError_tT1_PNSt15iterator_traitsISH_E10value_typeET2_T3_PNSI_ISN_E10value_typeET4_T5_PSS_ST_PNS1_23onesweep_lookback_stateEbbT6_jjT7_P12ihipStream_tbENKUlT_T0_SH_SM_E_clISB_SB_SC_SC_EEDaS10_S11_SH_SM_EUlS10_E_NS1_11comp_targetILNS1_3genE8ELNS1_11target_archE1030ELNS1_3gpuE2ELNS1_3repE0EEENS1_47radix_sort_onesweep_sort_config_static_selectorELNS0_4arch9wavefront6targetE0EEEvSH_.num_agpr, 0
	.set _ZN7rocprim17ROCPRIM_400000_NS6detail17trampoline_kernelINS0_14default_configENS1_35radix_sort_onesweep_config_selectorI6__halfNS0_10empty_typeEEEZZNS1_29radix_sort_onesweep_iterationIS3_Lb0EPKS5_PS5_PS6_SC_mNS0_19identity_decomposerENS1_16block_id_wrapperIjLb1EEEEE10hipError_tT1_PNSt15iterator_traitsISH_E10value_typeET2_T3_PNSI_ISN_E10value_typeET4_T5_PSS_ST_PNS1_23onesweep_lookback_stateEbbT6_jjT7_P12ihipStream_tbENKUlT_T0_SH_SM_E_clISB_SB_SC_SC_EEDaS10_S11_SH_SM_EUlS10_E_NS1_11comp_targetILNS1_3genE8ELNS1_11target_archE1030ELNS1_3gpuE2ELNS1_3repE0EEENS1_47radix_sort_onesweep_sort_config_static_selectorELNS0_4arch9wavefront6targetE0EEEvSH_.numbered_sgpr, 0
	.set _ZN7rocprim17ROCPRIM_400000_NS6detail17trampoline_kernelINS0_14default_configENS1_35radix_sort_onesweep_config_selectorI6__halfNS0_10empty_typeEEEZZNS1_29radix_sort_onesweep_iterationIS3_Lb0EPKS5_PS5_PS6_SC_mNS0_19identity_decomposerENS1_16block_id_wrapperIjLb1EEEEE10hipError_tT1_PNSt15iterator_traitsISH_E10value_typeET2_T3_PNSI_ISN_E10value_typeET4_T5_PSS_ST_PNS1_23onesweep_lookback_stateEbbT6_jjT7_P12ihipStream_tbENKUlT_T0_SH_SM_E_clISB_SB_SC_SC_EEDaS10_S11_SH_SM_EUlS10_E_NS1_11comp_targetILNS1_3genE8ELNS1_11target_archE1030ELNS1_3gpuE2ELNS1_3repE0EEENS1_47radix_sort_onesweep_sort_config_static_selectorELNS0_4arch9wavefront6targetE0EEEvSH_.num_named_barrier, 0
	.set _ZN7rocprim17ROCPRIM_400000_NS6detail17trampoline_kernelINS0_14default_configENS1_35radix_sort_onesweep_config_selectorI6__halfNS0_10empty_typeEEEZZNS1_29radix_sort_onesweep_iterationIS3_Lb0EPKS5_PS5_PS6_SC_mNS0_19identity_decomposerENS1_16block_id_wrapperIjLb1EEEEE10hipError_tT1_PNSt15iterator_traitsISH_E10value_typeET2_T3_PNSI_ISN_E10value_typeET4_T5_PSS_ST_PNS1_23onesweep_lookback_stateEbbT6_jjT7_P12ihipStream_tbENKUlT_T0_SH_SM_E_clISB_SB_SC_SC_EEDaS10_S11_SH_SM_EUlS10_E_NS1_11comp_targetILNS1_3genE8ELNS1_11target_archE1030ELNS1_3gpuE2ELNS1_3repE0EEENS1_47radix_sort_onesweep_sort_config_static_selectorELNS0_4arch9wavefront6targetE0EEEvSH_.private_seg_size, 0
	.set _ZN7rocprim17ROCPRIM_400000_NS6detail17trampoline_kernelINS0_14default_configENS1_35radix_sort_onesweep_config_selectorI6__halfNS0_10empty_typeEEEZZNS1_29radix_sort_onesweep_iterationIS3_Lb0EPKS5_PS5_PS6_SC_mNS0_19identity_decomposerENS1_16block_id_wrapperIjLb1EEEEE10hipError_tT1_PNSt15iterator_traitsISH_E10value_typeET2_T3_PNSI_ISN_E10value_typeET4_T5_PSS_ST_PNS1_23onesweep_lookback_stateEbbT6_jjT7_P12ihipStream_tbENKUlT_T0_SH_SM_E_clISB_SB_SC_SC_EEDaS10_S11_SH_SM_EUlS10_E_NS1_11comp_targetILNS1_3genE8ELNS1_11target_archE1030ELNS1_3gpuE2ELNS1_3repE0EEENS1_47radix_sort_onesweep_sort_config_static_selectorELNS0_4arch9wavefront6targetE0EEEvSH_.uses_vcc, 0
	.set _ZN7rocprim17ROCPRIM_400000_NS6detail17trampoline_kernelINS0_14default_configENS1_35radix_sort_onesweep_config_selectorI6__halfNS0_10empty_typeEEEZZNS1_29radix_sort_onesweep_iterationIS3_Lb0EPKS5_PS5_PS6_SC_mNS0_19identity_decomposerENS1_16block_id_wrapperIjLb1EEEEE10hipError_tT1_PNSt15iterator_traitsISH_E10value_typeET2_T3_PNSI_ISN_E10value_typeET4_T5_PSS_ST_PNS1_23onesweep_lookback_stateEbbT6_jjT7_P12ihipStream_tbENKUlT_T0_SH_SM_E_clISB_SB_SC_SC_EEDaS10_S11_SH_SM_EUlS10_E_NS1_11comp_targetILNS1_3genE8ELNS1_11target_archE1030ELNS1_3gpuE2ELNS1_3repE0EEENS1_47radix_sort_onesweep_sort_config_static_selectorELNS0_4arch9wavefront6targetE0EEEvSH_.uses_flat_scratch, 0
	.set _ZN7rocprim17ROCPRIM_400000_NS6detail17trampoline_kernelINS0_14default_configENS1_35radix_sort_onesweep_config_selectorI6__halfNS0_10empty_typeEEEZZNS1_29radix_sort_onesweep_iterationIS3_Lb0EPKS5_PS5_PS6_SC_mNS0_19identity_decomposerENS1_16block_id_wrapperIjLb1EEEEE10hipError_tT1_PNSt15iterator_traitsISH_E10value_typeET2_T3_PNSI_ISN_E10value_typeET4_T5_PSS_ST_PNS1_23onesweep_lookback_stateEbbT6_jjT7_P12ihipStream_tbENKUlT_T0_SH_SM_E_clISB_SB_SC_SC_EEDaS10_S11_SH_SM_EUlS10_E_NS1_11comp_targetILNS1_3genE8ELNS1_11target_archE1030ELNS1_3gpuE2ELNS1_3repE0EEENS1_47radix_sort_onesweep_sort_config_static_selectorELNS0_4arch9wavefront6targetE0EEEvSH_.has_dyn_sized_stack, 0
	.set _ZN7rocprim17ROCPRIM_400000_NS6detail17trampoline_kernelINS0_14default_configENS1_35radix_sort_onesweep_config_selectorI6__halfNS0_10empty_typeEEEZZNS1_29radix_sort_onesweep_iterationIS3_Lb0EPKS5_PS5_PS6_SC_mNS0_19identity_decomposerENS1_16block_id_wrapperIjLb1EEEEE10hipError_tT1_PNSt15iterator_traitsISH_E10value_typeET2_T3_PNSI_ISN_E10value_typeET4_T5_PSS_ST_PNS1_23onesweep_lookback_stateEbbT6_jjT7_P12ihipStream_tbENKUlT_T0_SH_SM_E_clISB_SB_SC_SC_EEDaS10_S11_SH_SM_EUlS10_E_NS1_11comp_targetILNS1_3genE8ELNS1_11target_archE1030ELNS1_3gpuE2ELNS1_3repE0EEENS1_47radix_sort_onesweep_sort_config_static_selectorELNS0_4arch9wavefront6targetE0EEEvSH_.has_recursion, 0
	.set _ZN7rocprim17ROCPRIM_400000_NS6detail17trampoline_kernelINS0_14default_configENS1_35radix_sort_onesweep_config_selectorI6__halfNS0_10empty_typeEEEZZNS1_29radix_sort_onesweep_iterationIS3_Lb0EPKS5_PS5_PS6_SC_mNS0_19identity_decomposerENS1_16block_id_wrapperIjLb1EEEEE10hipError_tT1_PNSt15iterator_traitsISH_E10value_typeET2_T3_PNSI_ISN_E10value_typeET4_T5_PSS_ST_PNS1_23onesweep_lookback_stateEbbT6_jjT7_P12ihipStream_tbENKUlT_T0_SH_SM_E_clISB_SB_SC_SC_EEDaS10_S11_SH_SM_EUlS10_E_NS1_11comp_targetILNS1_3genE8ELNS1_11target_archE1030ELNS1_3gpuE2ELNS1_3repE0EEENS1_47radix_sort_onesweep_sort_config_static_selectorELNS0_4arch9wavefront6targetE0EEEvSH_.has_indirect_call, 0
	.section	.AMDGPU.csdata,"",@progbits
; Kernel info:
; codeLenInByte = 0
; TotalNumSgprs: 0
; NumVgprs: 0
; ScratchSize: 0
; MemoryBound: 0
; FloatMode: 240
; IeeeMode: 1
; LDSByteSize: 0 bytes/workgroup (compile time only)
; SGPRBlocks: 0
; VGPRBlocks: 0
; NumSGPRsForWavesPerEU: 1
; NumVGPRsForWavesPerEU: 1
; NamedBarCnt: 0
; Occupancy: 16
; WaveLimiterHint : 0
; COMPUTE_PGM_RSRC2:SCRATCH_EN: 0
; COMPUTE_PGM_RSRC2:USER_SGPR: 2
; COMPUTE_PGM_RSRC2:TRAP_HANDLER: 0
; COMPUTE_PGM_RSRC2:TGID_X_EN: 1
; COMPUTE_PGM_RSRC2:TGID_Y_EN: 0
; COMPUTE_PGM_RSRC2:TGID_Z_EN: 0
; COMPUTE_PGM_RSRC2:TIDIG_COMP_CNT: 0
	.section	.text._ZN7rocprim17ROCPRIM_400000_NS6detail17trampoline_kernelINS0_14default_configENS1_35radix_sort_onesweep_config_selectorI6__halfNS0_10empty_typeEEEZZNS1_29radix_sort_onesweep_iterationIS3_Lb0EPKS5_PS5_PS6_SC_mNS0_19identity_decomposerENS1_16block_id_wrapperIjLb0EEEEE10hipError_tT1_PNSt15iterator_traitsISH_E10value_typeET2_T3_PNSI_ISN_E10value_typeET4_T5_PSS_ST_PNS1_23onesweep_lookback_stateEbbT6_jjT7_P12ihipStream_tbENKUlT_T0_SH_SM_E_clISA_SB_SC_SC_EEDaS10_S11_SH_SM_EUlS10_E_NS1_11comp_targetILNS1_3genE0ELNS1_11target_archE4294967295ELNS1_3gpuE0ELNS1_3repE0EEENS1_47radix_sort_onesweep_sort_config_static_selectorELNS0_4arch9wavefront6targetE0EEEvSH_,"axG",@progbits,_ZN7rocprim17ROCPRIM_400000_NS6detail17trampoline_kernelINS0_14default_configENS1_35radix_sort_onesweep_config_selectorI6__halfNS0_10empty_typeEEEZZNS1_29radix_sort_onesweep_iterationIS3_Lb0EPKS5_PS5_PS6_SC_mNS0_19identity_decomposerENS1_16block_id_wrapperIjLb0EEEEE10hipError_tT1_PNSt15iterator_traitsISH_E10value_typeET2_T3_PNSI_ISN_E10value_typeET4_T5_PSS_ST_PNS1_23onesweep_lookback_stateEbbT6_jjT7_P12ihipStream_tbENKUlT_T0_SH_SM_E_clISA_SB_SC_SC_EEDaS10_S11_SH_SM_EUlS10_E_NS1_11comp_targetILNS1_3genE0ELNS1_11target_archE4294967295ELNS1_3gpuE0ELNS1_3repE0EEENS1_47radix_sort_onesweep_sort_config_static_selectorELNS0_4arch9wavefront6targetE0EEEvSH_,comdat
	.protected	_ZN7rocprim17ROCPRIM_400000_NS6detail17trampoline_kernelINS0_14default_configENS1_35radix_sort_onesweep_config_selectorI6__halfNS0_10empty_typeEEEZZNS1_29radix_sort_onesweep_iterationIS3_Lb0EPKS5_PS5_PS6_SC_mNS0_19identity_decomposerENS1_16block_id_wrapperIjLb0EEEEE10hipError_tT1_PNSt15iterator_traitsISH_E10value_typeET2_T3_PNSI_ISN_E10value_typeET4_T5_PSS_ST_PNS1_23onesweep_lookback_stateEbbT6_jjT7_P12ihipStream_tbENKUlT_T0_SH_SM_E_clISA_SB_SC_SC_EEDaS10_S11_SH_SM_EUlS10_E_NS1_11comp_targetILNS1_3genE0ELNS1_11target_archE4294967295ELNS1_3gpuE0ELNS1_3repE0EEENS1_47radix_sort_onesweep_sort_config_static_selectorELNS0_4arch9wavefront6targetE0EEEvSH_ ; -- Begin function _ZN7rocprim17ROCPRIM_400000_NS6detail17trampoline_kernelINS0_14default_configENS1_35radix_sort_onesweep_config_selectorI6__halfNS0_10empty_typeEEEZZNS1_29radix_sort_onesweep_iterationIS3_Lb0EPKS5_PS5_PS6_SC_mNS0_19identity_decomposerENS1_16block_id_wrapperIjLb0EEEEE10hipError_tT1_PNSt15iterator_traitsISH_E10value_typeET2_T3_PNSI_ISN_E10value_typeET4_T5_PSS_ST_PNS1_23onesweep_lookback_stateEbbT6_jjT7_P12ihipStream_tbENKUlT_T0_SH_SM_E_clISA_SB_SC_SC_EEDaS10_S11_SH_SM_EUlS10_E_NS1_11comp_targetILNS1_3genE0ELNS1_11target_archE4294967295ELNS1_3gpuE0ELNS1_3repE0EEENS1_47radix_sort_onesweep_sort_config_static_selectorELNS0_4arch9wavefront6targetE0EEEvSH_
	.globl	_ZN7rocprim17ROCPRIM_400000_NS6detail17trampoline_kernelINS0_14default_configENS1_35radix_sort_onesweep_config_selectorI6__halfNS0_10empty_typeEEEZZNS1_29radix_sort_onesweep_iterationIS3_Lb0EPKS5_PS5_PS6_SC_mNS0_19identity_decomposerENS1_16block_id_wrapperIjLb0EEEEE10hipError_tT1_PNSt15iterator_traitsISH_E10value_typeET2_T3_PNSI_ISN_E10value_typeET4_T5_PSS_ST_PNS1_23onesweep_lookback_stateEbbT6_jjT7_P12ihipStream_tbENKUlT_T0_SH_SM_E_clISA_SB_SC_SC_EEDaS10_S11_SH_SM_EUlS10_E_NS1_11comp_targetILNS1_3genE0ELNS1_11target_archE4294967295ELNS1_3gpuE0ELNS1_3repE0EEENS1_47radix_sort_onesweep_sort_config_static_selectorELNS0_4arch9wavefront6targetE0EEEvSH_
	.p2align	8
	.type	_ZN7rocprim17ROCPRIM_400000_NS6detail17trampoline_kernelINS0_14default_configENS1_35radix_sort_onesweep_config_selectorI6__halfNS0_10empty_typeEEEZZNS1_29radix_sort_onesweep_iterationIS3_Lb0EPKS5_PS5_PS6_SC_mNS0_19identity_decomposerENS1_16block_id_wrapperIjLb0EEEEE10hipError_tT1_PNSt15iterator_traitsISH_E10value_typeET2_T3_PNSI_ISN_E10value_typeET4_T5_PSS_ST_PNS1_23onesweep_lookback_stateEbbT6_jjT7_P12ihipStream_tbENKUlT_T0_SH_SM_E_clISA_SB_SC_SC_EEDaS10_S11_SH_SM_EUlS10_E_NS1_11comp_targetILNS1_3genE0ELNS1_11target_archE4294967295ELNS1_3gpuE0ELNS1_3repE0EEENS1_47radix_sort_onesweep_sort_config_static_selectorELNS0_4arch9wavefront6targetE0EEEvSH_,@function
_ZN7rocprim17ROCPRIM_400000_NS6detail17trampoline_kernelINS0_14default_configENS1_35radix_sort_onesweep_config_selectorI6__halfNS0_10empty_typeEEEZZNS1_29radix_sort_onesweep_iterationIS3_Lb0EPKS5_PS5_PS6_SC_mNS0_19identity_decomposerENS1_16block_id_wrapperIjLb0EEEEE10hipError_tT1_PNSt15iterator_traitsISH_E10value_typeET2_T3_PNSI_ISN_E10value_typeET4_T5_PSS_ST_PNS1_23onesweep_lookback_stateEbbT6_jjT7_P12ihipStream_tbENKUlT_T0_SH_SM_E_clISA_SB_SC_SC_EEDaS10_S11_SH_SM_EUlS10_E_NS1_11comp_targetILNS1_3genE0ELNS1_11target_archE4294967295ELNS1_3gpuE0ELNS1_3repE0EEENS1_47radix_sort_onesweep_sort_config_static_selectorELNS0_4arch9wavefront6targetE0EEEvSH_: ; @_ZN7rocprim17ROCPRIM_400000_NS6detail17trampoline_kernelINS0_14default_configENS1_35radix_sort_onesweep_config_selectorI6__halfNS0_10empty_typeEEEZZNS1_29radix_sort_onesweep_iterationIS3_Lb0EPKS5_PS5_PS6_SC_mNS0_19identity_decomposerENS1_16block_id_wrapperIjLb0EEEEE10hipError_tT1_PNSt15iterator_traitsISH_E10value_typeET2_T3_PNSI_ISN_E10value_typeET4_T5_PSS_ST_PNS1_23onesweep_lookback_stateEbbT6_jjT7_P12ihipStream_tbENKUlT_T0_SH_SM_E_clISA_SB_SC_SC_EEDaS10_S11_SH_SM_EUlS10_E_NS1_11comp_targetILNS1_3genE0ELNS1_11target_archE4294967295ELNS1_3gpuE0ELNS1_3repE0EEENS1_47radix_sort_onesweep_sort_config_static_selectorELNS0_4arch9wavefront6targetE0EEEvSH_
; %bb.0:
	s_clause 0x3
	s_load_b96 s[20:22], s[0:1], 0x44
	s_load_b64 s[10:11], s[0:1], 0x38
	s_load_b128 s[16:19], s[0:1], 0x0
	s_load_b128 s[12:15], s[0:1], 0x28
	s_bfe_u32 s2, ttmp6, 0x4000c
	s_and_b32 s3, ttmp6, 15
	s_add_co_i32 s2, s2, 1
	s_getreg_b32 s4, hwreg(HW_REG_IB_STS2, 6, 4)
	s_mul_i32 s5, ttmp9, s2
	v_mbcnt_lo_u32_b32 v14, -1, 0
	s_add_co_i32 s3, s3, s5
	s_cmp_eq_u32 s4, 0
	v_and_b32_e32 v15, 0x1e0, v0
	s_cselect_b32 s9, ttmp9, s3
	s_mov_b32 s25, 0
	s_mov_b32 s2, -1
	s_mul_i32 s24, s9, 0x1800
	s_add_nc_u64 s[26:27], s[0:1], 0x58
	s_wait_kmcnt 0x0
	s_cmp_ge_u32 s9, s22
	s_cbranch_scc0 .LBB2268_96
; %bb.1:
	s_load_b32 s4, s[0:1], 0x20
	v_dual_mov_b32 v3, 0 :: v_dual_lshlrev_b32 v2, 1, v14
	s_lshl_b64 s[2:3], s[24:25], 1
	v_mul_u32_u24_e32 v1, 12, v15
	s_add_nc_u64 s[2:3], s[16:17], s[2:3]
	v_mov_b32_e32 v12, 0x7fff
	v_add_nc_u64_e32 v[4:5], s[2:3], v[2:3]
	v_mov_b32_e32 v10, 0x7fff
	v_dual_lshlrev_b32 v2, 1, v1 :: v_dual_bitop2_b32 v1, v14, v1 bitop3:0x54
	s_mul_i32 s2, s22, 0xffffe800
	s_delay_alu instid0(VALU_DEP_1)
	v_add_nc_u64_e32 v[2:3], v[4:5], v[2:3]
	s_wait_kmcnt 0x0
	s_add_co_i32 s22, s4, s2
	s_mov_b32 s2, exec_lo
	v_cmpx_gt_u32_e64 s22, v1
	s_cbranch_execz .LBB2268_3
; %bb.2:
	global_load_u16 v10, v[2:3], off
.LBB2268_3:
	s_wait_xcnt 0x0
	s_or_b32 exec_lo, exec_lo, s2
	v_or_b32_e32 v4, 32, v1
	s_mov_b32 s2, exec_lo
	s_delay_alu instid0(VALU_DEP_1)
	v_cmpx_gt_u32_e64 s22, v4
	s_cbranch_execz .LBB2268_5
; %bb.4:
	global_load_u16 v12, v[2:3], off offset:64
.LBB2268_5:
	s_wait_xcnt 0x0
	s_or_b32 exec_lo, exec_lo, s2
	v_or_b32_e32 v4, 64, v1
	v_mov_b32_e32 v21, 0x7fff
	v_mov_b32_e32 v17, 0x7fff
	s_mov_b32 s2, exec_lo
	s_delay_alu instid0(VALU_DEP_3)
	v_cmpx_gt_u32_e64 s22, v4
	s_cbranch_execz .LBB2268_7
; %bb.6:
	global_load_u16 v17, v[2:3], off offset:128
.LBB2268_7:
	s_wait_xcnt 0x0
	s_or_b32 exec_lo, exec_lo, s2
	v_or_b32_e32 v4, 0x60, v1
	s_mov_b32 s2, exec_lo
	s_delay_alu instid0(VALU_DEP_1)
	v_cmpx_gt_u32_e64 s22, v4
	s_cbranch_execz .LBB2268_9
; %bb.8:
	global_load_u16 v21, v[2:3], off offset:192
.LBB2268_9:
	s_wait_xcnt 0x0
	s_or_b32 exec_lo, exec_lo, s2
	v_add_nc_u32_e32 v4, 0x80, v1
	v_dual_mov_b32 v30, 0x7fff :: v_dual_mov_b32 v25, 0x7fff
	s_mov_b32 s2, exec_lo
	s_delay_alu instid0(VALU_DEP_2)
	v_cmpx_gt_u32_e64 s22, v4
	s_cbranch_execz .LBB2268_11
; %bb.10:
	global_load_u16 v25, v[2:3], off offset:256
.LBB2268_11:
	s_wait_xcnt 0x0
	s_or_b32 exec_lo, exec_lo, s2
	v_add_nc_u32_e32 v4, 0xa0, v1
	s_mov_b32 s2, exec_lo
	s_delay_alu instid0(VALU_DEP_1)
	v_cmpx_gt_u32_e64 s22, v4
	s_cbranch_execz .LBB2268_13
; %bb.12:
	global_load_u16 v30, v[2:3], off offset:320
.LBB2268_13:
	s_wait_xcnt 0x0
	s_or_b32 exec_lo, exec_lo, s2
	v_add_nc_u32_e32 v4, 0xc0, v1
	v_dual_mov_b32 v8, 0x7fff :: v_dual_mov_b32 v9, 0x7fff
	s_mov_b32 s2, exec_lo
	s_delay_alu instid0(VALU_DEP_2)
	v_cmpx_gt_u32_e64 s22, v4
	s_cbranch_execz .LBB2268_15
; %bb.14:
	global_load_u16 v9, v[2:3], off offset:384
.LBB2268_15:
	s_wait_xcnt 0x0
	s_or_b32 exec_lo, exec_lo, s2
	v_add_nc_u32_e32 v4, 0xe0, v1
	;; [unrolled: 21-line block ×3, first 2 shown]
	s_mov_b32 s2, exec_lo
	s_delay_alu instid0(VALU_DEP_1)
	v_cmpx_gt_u32_e64 s22, v4
	s_cbranch_execz .LBB2268_21
; %bb.20:
	global_load_u16 v6, v[2:3], off offset:576
.LBB2268_21:
	s_wait_xcnt 0x0
	s_or_b32 exec_lo, exec_lo, s2
	v_add_nc_u32_e32 v5, 0x140, v1
	v_mov_b32_e32 v4, 0x7fff
	s_delay_alu instid0(VALU_DEP_2)
	v_cmp_gt_u32_e32 vcc_lo, s22, v5
	v_mov_b32_e32 v5, 0x7fff
	s_and_saveexec_b32 s2, vcc_lo
	s_cbranch_execz .LBB2268_23
; %bb.22:
	global_load_u16 v5, v[2:3], off offset:640
.LBB2268_23:
	s_wait_xcnt 0x0
	s_or_b32 exec_lo, exec_lo, s2
	v_add_nc_u32_e32 v11, 0x160, v1
	v_and_b32_e32 v1, 0x3ff, v0
	s_mov_b32 s2, exec_lo
	s_delay_alu instid0(VALU_DEP_2)
	v_cmpx_gt_u32_e64 s22, v11
	s_cbranch_execz .LBB2268_25
; %bb.24:
	global_load_u16 v4, v[2:3], off offset:704
.LBB2268_25:
	s_wait_xcnt 0x0
	s_or_b32 exec_lo, exec_lo, s2
	s_wait_loadcnt 0x0
	v_cmp_lt_i16_e32 vcc_lo, -1, v10
	s_clause 0x1
	s_load_b32 s23, s[0:1], 0x58
	s_load_u16 s4, s[0:1], 0x66
	v_bfe_u32 v3, v0, 10, 10
	v_bfe_u32 v11, v0, 20, 10
	s_mov_b32 s3, 0
	v_cndmask_b32_e64 v2, -1, 0xffff8000, vcc_lo
	s_delay_alu instid0(VALU_DEP_1) | instskip(NEXT) | instid1(VALU_DEP_1)
	v_xor_b32_e32 v10, v2, v10
	v_cmp_ne_u16_e32 vcc_lo, 0x7fff, v10
	s_wait_kmcnt 0x0
	s_cmp_lt_u32 s9, s23
	v_cndmask_b32_e32 v2, 0xffff8000, v10, vcc_lo
	s_cselect_b32 s2, 12, 18
	s_lshl_b32 s7, -1, s21
	v_mad_u32_u24 v3, v11, s4, v3
	s_add_nc_u64 s[2:3], s[26:27], s[2:3]
	v_and_b32_e32 v2, 0xffff, v2
	s_load_u16 s8, s[2:3], 0x0
	s_not_b32 s25, s7
	s_delay_alu instid0(VALU_DEP_1) | instskip(NEXT) | instid1(VALU_DEP_1)
	v_lshrrev_b32_e32 v2, s20, v2
	v_bitop3_b32 v16, v2, s7, v2 bitop3:0x30
	s_delay_alu instid0(VALU_DEP_1) | instskip(SKIP_4) | instid1(VALU_DEP_3)
	v_lshlrev_b32_e32 v18, 29, v16
	v_bitop3_b32 v11, v2, 1, s7 bitop3:0x40
	v_dual_lshlrev_b32 v13, 30, v16 :: v_dual_lshlrev_b32 v19, 28, v16
	v_dual_lshlrev_b32 v20, 27, v16 :: v_dual_lshlrev_b32 v22, 26, v16
	s_wait_xcnt 0x0
	v_add_co_u32 v2, s2, v11, -1
	s_delay_alu instid0(VALU_DEP_1) | instskip(SKIP_3) | instid1(VALU_DEP_4)
	v_cndmask_b32_e64 v11, 0, 1, s2
	v_cmp_gt_i32_e64 s2, 0, v13
	v_cmp_gt_i32_e64 s3, 0, v18
	v_dual_lshlrev_b32 v23, 25, v16 :: v_dual_lshlrev_b32 v24, 24, v16
	v_cmp_ne_u32_e32 vcc_lo, 0, v11
	v_not_b32_e32 v11, v13
	v_not_b32_e32 v13, v18
	;; [unrolled: 1-line block ×3, first 2 shown]
	v_cmp_gt_i32_e64 s4, 0, v19
	v_cmp_gt_i32_e64 s5, 0, v20
	v_dual_ashrrev_i32 v11, 31, v11 :: v_dual_bitop2_b32 v2, vcc_lo, v2 bitop3:0x14
	v_not_b32_e32 v19, v20
	v_not_b32_e32 v20, v22
	v_dual_ashrrev_i32 v13, 31, v13 :: v_dual_ashrrev_i32 v18, 31, v18
	s_delay_alu instid0(VALU_DEP_4) | instskip(SKIP_1) | instid1(VALU_DEP_3)
	v_xor_b32_e32 v11, s2, v11
	v_cmp_gt_i32_e64 s6, 0, v22
	v_dual_ashrrev_i32 v19, 31, v19 :: v_dual_bitop2_b32 v13, s3, v13 bitop3:0x14
	v_ashrrev_i32_e32 v20, 31, v20
	s_delay_alu instid0(VALU_DEP_4)
	v_bitop3_b32 v2, v2, v11, exec_lo bitop3:0x80
	v_not_b32_e32 v11, v23
	v_xor_b32_e32 v18, s4, v18
	v_not_b32_e32 v22, v24
	v_xor_b32_e32 v19, s5, v19
	v_xor_b32_e32 v20, s6, v20
	v_cmp_gt_i32_e32 vcc_lo, 0, v23
	v_ashrrev_i32_e32 v11, 31, v11
	v_bitop3_b32 v2, v2, v18, v13 bitop3:0x80
	v_cmp_gt_i32_e64 s2, 0, v24
	v_ashrrev_i32_e32 v13, 31, v22
	s_wait_kmcnt 0x0
	v_mad_u32 v22, v3, s8, v1
	v_mov_b32_e32 v18, 0
	v_bitop3_b32 v2, v2, v20, v19 bitop3:0x80
	v_xor_b32_e32 v3, vcc_lo, v11
	v_xor_b32_e32 v11, s2, v13
	v_mul_u32_u24_e32 v13, 36, v1
	ds_store_2addr_b32 v13, v18, v18 offset0:16 offset1:17
	ds_store_2addr_b32 v13, v18, v18 offset0:18 offset1:19
	;; [unrolled: 1-line block ×4, first 2 shown]
	v_bitop3_b32 v3, v2, v11, v3 bitop3:0x80
	v_lshrrev_b32_e32 v2, 5, v22
	ds_store_b32 v13, v18 offset:96
	s_wait_dscnt 0x0
	s_barrier_signal -1
	v_mbcnt_lo_u32_b32 v11, v3, 0
	v_lshlrev_b32_e32 v2, 2, v2
	v_cmp_ne_u32_e64 s2, 0, v3
	s_barrier_wait -1
	s_delay_alu instid0(VALU_DEP_3) | instskip(NEXT) | instid1(VALU_DEP_3)
	v_cmp_eq_u32_e32 vcc_lo, 0, v11
	v_mad_u32_u24 v16, 0x44, v16, v2
	; wave barrier
	s_and_b32 s3, s2, vcc_lo
	s_delay_alu instid0(SALU_CYCLE_1)
	s_and_saveexec_b32 s2, s3
; %bb.26:
	v_bcnt_u32_b32 v3, v3, 0
	ds_store_b32 v16, v3 offset:64
; %bb.27:
	s_or_b32 exec_lo, exec_lo, s2
	v_cmp_lt_i16_e32 vcc_lo, -1, v12
	; wave barrier
	v_cndmask_b32_e64 v3, -1, 0xffff8000, vcc_lo
	s_delay_alu instid0(VALU_DEP_1) | instskip(NEXT) | instid1(VALU_DEP_1)
	v_xor_b32_e32 v12, v3, v12
	v_cmp_ne_u16_e32 vcc_lo, 0x7fff, v12
	v_cndmask_b32_e32 v3, 0xffff8000, v12, vcc_lo
	s_delay_alu instid0(VALU_DEP_1) | instskip(NEXT) | instid1(VALU_DEP_1)
	v_and_b32_e32 v3, 0xffff, v3
	v_lshrrev_b32_e32 v3, s20, v3
	s_delay_alu instid0(VALU_DEP_1) | instskip(SKIP_1) | instid1(VALU_DEP_2)
	v_bitop3_b32 v18, v3, 1, s25 bitop3:0x80
	v_and_b32_e32 v3, s25, v3
	v_add_co_u32 v18, s2, v18, -1
	s_delay_alu instid0(VALU_DEP_1) | instskip(NEXT) | instid1(VALU_DEP_3)
	v_cndmask_b32_e64 v19, 0, 1, s2
	v_dual_lshlrev_b32 v20, 30, v3 :: v_dual_lshlrev_b32 v22, 29, v3
	s_delay_alu instid0(VALU_DEP_2) | instskip(NEXT) | instid1(VALU_DEP_2)
	v_cmp_ne_u32_e32 vcc_lo, 0, v19
	v_cmp_gt_i32_e64 s2, 0, v20
	v_not_b32_e32 v19, v20
	s_delay_alu instid0(VALU_DEP_4) | instskip(SKIP_1) | instid1(VALU_DEP_2)
	v_not_b32_e32 v20, v22
	v_cmp_gt_i32_e64 s3, 0, v22
	v_dual_ashrrev_i32 v20, 31, v20 :: v_dual_bitop2_b32 v18, vcc_lo, v18 bitop3:0x14
	v_dual_lshlrev_b32 v23, 28, v3 :: v_dual_lshlrev_b32 v24, 27, v3
	v_dual_lshlrev_b32 v26, 26, v3 :: v_dual_lshlrev_b32 v27, 25, v3
	v_lshlrev_b32_e32 v28, 24, v3
	s_delay_alu instid0(VALU_DEP_3) | instskip(SKIP_4) | instid1(VALU_DEP_4)
	v_cmp_gt_i32_e64 s4, 0, v23
	v_not_b32_e32 v22, v23
	v_cmp_gt_i32_e64 s5, 0, v24
	v_not_b32_e32 v23, v24
	v_not_b32_e32 v24, v26
	v_dual_ashrrev_i32 v19, 31, v19 :: v_dual_ashrrev_i32 v22, 31, v22
	v_cmp_gt_i32_e64 s6, 0, v26
	v_cmp_gt_i32_e64 s7, 0, v27
	s_delay_alu instid0(VALU_DEP_3)
	v_dual_ashrrev_i32 v24, 31, v24 :: v_dual_bitop2_b32 v19, s2, v19 bitop3:0x14
	v_not_b32_e32 v26, v27
	v_not_b32_e32 v27, v28
	v_dual_ashrrev_i32 v23, 31, v23 :: v_dual_bitop2_b32 v20, s3, v20 bitop3:0x14
	v_xor_b32_e32 v22, s4, v22
	v_bitop3_b32 v18, v18, v19, exec_lo bitop3:0x80
	v_cmp_gt_i32_e64 s8, 0, v28
	s_delay_alu instid0(VALU_DEP_4) | instskip(SKIP_1) | instid1(VALU_DEP_4)
	v_dual_ashrrev_i32 v19, 31, v26 :: v_dual_bitop2_b32 v23, s5, v23 bitop3:0x14
	v_dual_ashrrev_i32 v26, 31, v27 :: v_dual_bitop2_b32 v24, s6, v24 bitop3:0x14
	v_bitop3_b32 v18, v18, v22, v20 bitop3:0x80
	v_mad_u32_u24 v20, 0x44, v3, v2
	s_delay_alu instid0(VALU_DEP_4) | instskip(NEXT) | instid1(VALU_DEP_4)
	v_xor_b32_e32 v3, s7, v19
	v_xor_b32_e32 v19, s8, v26
	s_delay_alu instid0(VALU_DEP_4) | instskip(SKIP_2) | instid1(VALU_DEP_1)
	v_bitop3_b32 v22, v18, v24, v23 bitop3:0x80
	ds_load_b32 v18, v20 offset:64
	; wave barrier
	v_bitop3_b32 v3, v22, v19, v3 bitop3:0x80
	v_mbcnt_lo_u32_b32 v19, v3, 0
	v_cmp_ne_u32_e64 s2, 0, v3
	s_delay_alu instid0(VALU_DEP_2) | instskip(SKIP_1) | instid1(SALU_CYCLE_1)
	v_cmp_eq_u32_e32 vcc_lo, 0, v19
	s_and_b32 s3, s2, vcc_lo
	s_and_saveexec_b32 s2, s3
	s_cbranch_execz .LBB2268_29
; %bb.28:
	s_wait_dscnt 0x0
	v_bcnt_u32_b32 v3, v3, v18
	ds_store_b32 v20, v3 offset:64
.LBB2268_29:
	s_or_b32 exec_lo, exec_lo, s2
	v_cmp_lt_i16_e32 vcc_lo, -1, v17
	; wave barrier
	v_cndmask_b32_e64 v3, -1, 0xffff8000, vcc_lo
	s_delay_alu instid0(VALU_DEP_1) | instskip(NEXT) | instid1(VALU_DEP_1)
	v_xor_b32_e32 v17, v3, v17
	v_cmp_ne_u16_e32 vcc_lo, 0x7fff, v17
	v_cndmask_b32_e32 v3, 0xffff8000, v17, vcc_lo
	s_delay_alu instid0(VALU_DEP_1) | instskip(NEXT) | instid1(VALU_DEP_1)
	v_and_b32_e32 v3, 0xffff, v3
	v_lshrrev_b32_e32 v3, s20, v3
	s_delay_alu instid0(VALU_DEP_1) | instskip(SKIP_1) | instid1(VALU_DEP_2)
	v_bitop3_b32 v22, v3, 1, s25 bitop3:0x80
	v_and_b32_e32 v3, s25, v3
	v_add_co_u32 v22, s2, v22, -1
	s_delay_alu instid0(VALU_DEP_1) | instskip(NEXT) | instid1(VALU_DEP_3)
	v_cndmask_b32_e64 v23, 0, 1, s2
	v_dual_lshlrev_b32 v24, 30, v3 :: v_dual_lshlrev_b32 v26, 29, v3
	v_lshlrev_b32_e32 v27, 28, v3
	s_delay_alu instid0(VALU_DEP_3) | instskip(NEXT) | instid1(VALU_DEP_3)
	v_cmp_ne_u32_e32 vcc_lo, 0, v23
	v_cmp_gt_i32_e64 s2, 0, v24
	v_not_b32_e32 v23, v24
	v_cmp_gt_i32_e64 s3, 0, v26
	v_not_b32_e32 v24, v26
	v_not_b32_e32 v26, v27
	s_delay_alu instid0(VALU_DEP_2) | instskip(NEXT) | instid1(VALU_DEP_2)
	v_dual_ashrrev_i32 v24, 31, v24 :: v_dual_bitop2_b32 v22, vcc_lo, v22 bitop3:0x14
	v_dual_ashrrev_i32 v26, 31, v26 :: v_dual_lshlrev_b32 v28, 27, v3
	v_dual_lshlrev_b32 v29, 26, v3 :: v_dual_lshlrev_b32 v31, 25, v3
	v_cmp_gt_i32_e64 s4, 0, v27
	v_lshlrev_b32_e32 v32, 24, v3
	s_delay_alu instid0(VALU_DEP_4)
	v_cmp_gt_i32_e64 s5, 0, v28
	v_not_b32_e32 v27, v28
	v_not_b32_e32 v28, v29
	v_ashrrev_i32_e32 v23, 31, v23
	v_cmp_gt_i32_e64 s6, 0, v29
	v_cmp_gt_i32_e64 s7, 0, v31
	v_not_b32_e32 v29, v31
	s_delay_alu instid0(VALU_DEP_4) | instskip(SKIP_3) | instid1(VALU_DEP_4)
	v_dual_ashrrev_i32 v28, 31, v28 :: v_dual_bitop2_b32 v23, s2, v23 bitop3:0x14
	v_not_b32_e32 v31, v32
	v_dual_ashrrev_i32 v27, 31, v27 :: v_dual_bitop2_b32 v24, s3, v24 bitop3:0x14
	v_xor_b32_e32 v26, s4, v26
	v_bitop3_b32 v22, v22, v23, exec_lo bitop3:0x80
	v_cmp_gt_i32_e64 s8, 0, v32
	v_dual_ashrrev_i32 v23, 31, v29 :: v_dual_ashrrev_i32 v29, 31, v31
	v_xor_b32_e32 v28, s6, v28
	v_xor_b32_e32 v27, s5, v27
	v_bitop3_b32 v22, v22, v26, v24 bitop3:0x80
	v_mad_u32_u24 v24, 0x44, v3, v2
	v_xor_b32_e32 v3, s7, v23
	v_xor_b32_e32 v23, s8, v29
	s_delay_alu instid0(VALU_DEP_4) | instskip(SKIP_2) | instid1(VALU_DEP_1)
	v_bitop3_b32 v26, v22, v28, v27 bitop3:0x80
	ds_load_b32 v22, v24 offset:64
	; wave barrier
	v_bitop3_b32 v3, v26, v23, v3 bitop3:0x80
	v_mbcnt_lo_u32_b32 v23, v3, 0
	v_cmp_ne_u32_e64 s2, 0, v3
	s_delay_alu instid0(VALU_DEP_2) | instskip(SKIP_1) | instid1(SALU_CYCLE_1)
	v_cmp_eq_u32_e32 vcc_lo, 0, v23
	s_and_b32 s3, s2, vcc_lo
	s_and_saveexec_b32 s2, s3
	s_cbranch_execz .LBB2268_31
; %bb.30:
	s_wait_dscnt 0x0
	v_bcnt_u32_b32 v3, v3, v22
	ds_store_b32 v24, v3 offset:64
.LBB2268_31:
	s_or_b32 exec_lo, exec_lo, s2
	v_cmp_lt_i16_e32 vcc_lo, -1, v21
	; wave barrier
	v_cndmask_b32_e64 v3, -1, 0xffff8000, vcc_lo
	s_delay_alu instid0(VALU_DEP_1) | instskip(NEXT) | instid1(VALU_DEP_1)
	v_xor_b32_e32 v21, v3, v21
	v_cmp_ne_u16_e32 vcc_lo, 0x7fff, v21
	v_cndmask_b32_e32 v3, 0xffff8000, v21, vcc_lo
	s_delay_alu instid0(VALU_DEP_1) | instskip(NEXT) | instid1(VALU_DEP_1)
	v_and_b32_e32 v3, 0xffff, v3
	v_lshrrev_b32_e32 v3, s20, v3
	s_delay_alu instid0(VALU_DEP_1) | instskip(SKIP_1) | instid1(VALU_DEP_2)
	v_bitop3_b32 v26, v3, 1, s25 bitop3:0x80
	v_and_b32_e32 v3, s25, v3
	v_add_co_u32 v26, s2, v26, -1
	s_delay_alu instid0(VALU_DEP_1) | instskip(NEXT) | instid1(VALU_DEP_3)
	v_cndmask_b32_e64 v27, 0, 1, s2
	v_dual_lshlrev_b32 v28, 30, v3 :: v_dual_lshlrev_b32 v29, 29, v3
	v_lshlrev_b32_e32 v31, 28, v3
	s_delay_alu instid0(VALU_DEP_3) | instskip(NEXT) | instid1(VALU_DEP_3)
	v_cmp_ne_u32_e32 vcc_lo, 0, v27
	v_cmp_gt_i32_e64 s2, 0, v28
	v_not_b32_e32 v27, v28
	v_cmp_gt_i32_e64 s3, 0, v29
	v_not_b32_e32 v28, v29
	v_not_b32_e32 v29, v31
	s_delay_alu instid0(VALU_DEP_2) | instskip(NEXT) | instid1(VALU_DEP_2)
	v_dual_ashrrev_i32 v28, 31, v28 :: v_dual_bitop2_b32 v26, vcc_lo, v26 bitop3:0x14
	v_dual_ashrrev_i32 v29, 31, v29 :: v_dual_lshlrev_b32 v32, 27, v3
	v_dual_lshlrev_b32 v33, 26, v3 :: v_dual_lshlrev_b32 v34, 25, v3
	v_lshlrev_b32_e32 v35, 24, v3
	v_cmp_gt_i32_e64 s4, 0, v31
	s_delay_alu instid0(VALU_DEP_4)
	v_cmp_gt_i32_e64 s5, 0, v32
	v_not_b32_e32 v31, v32
	v_not_b32_e32 v32, v33
	v_ashrrev_i32_e32 v27, 31, v27
	v_cmp_gt_i32_e64 s6, 0, v33
	v_cmp_gt_i32_e64 s7, 0, v34
	v_not_b32_e32 v33, v34
	v_not_b32_e32 v34, v35
	v_dual_ashrrev_i32 v32, 31, v32 :: v_dual_bitop2_b32 v27, s2, v27 bitop3:0x14
	v_dual_ashrrev_i32 v31, 31, v31 :: v_dual_bitop2_b32 v28, s3, v28 bitop3:0x14
	v_xor_b32_e32 v29, s4, v29
	v_cmp_gt_i32_e64 s8, 0, v35
	s_delay_alu instid0(VALU_DEP_4) | instskip(NEXT) | instid1(VALU_DEP_4)
	v_bitop3_b32 v26, v26, v27, exec_lo bitop3:0x80
	v_dual_ashrrev_i32 v27, 31, v33 :: v_dual_bitop2_b32 v31, s5, v31 bitop3:0x14
	v_dual_ashrrev_i32 v33, 31, v34 :: v_dual_bitop2_b32 v32, s6, v32 bitop3:0x14
	s_delay_alu instid0(VALU_DEP_3) | instskip(SKIP_1) | instid1(VALU_DEP_4)
	v_bitop3_b32 v26, v26, v29, v28 bitop3:0x80
	v_mad_u32_u24 v28, 0x44, v3, v2
	v_xor_b32_e32 v3, s7, v27
	s_delay_alu instid0(VALU_DEP_4) | instskip(NEXT) | instid1(VALU_DEP_4)
	v_xor_b32_e32 v27, s8, v33
	v_bitop3_b32 v29, v26, v32, v31 bitop3:0x80
	ds_load_b32 v26, v28 offset:64
	; wave barrier
	v_bitop3_b32 v3, v29, v27, v3 bitop3:0x80
	s_delay_alu instid0(VALU_DEP_1) | instskip(SKIP_1) | instid1(VALU_DEP_2)
	v_mbcnt_lo_u32_b32 v27, v3, 0
	v_cmp_ne_u32_e64 s2, 0, v3
	v_cmp_eq_u32_e32 vcc_lo, 0, v27
	s_and_b32 s3, s2, vcc_lo
	s_delay_alu instid0(SALU_CYCLE_1)
	s_and_saveexec_b32 s2, s3
	s_cbranch_execz .LBB2268_33
; %bb.32:
	s_wait_dscnt 0x0
	v_bcnt_u32_b32 v3, v3, v26
	ds_store_b32 v28, v3 offset:64
.LBB2268_33:
	s_or_b32 exec_lo, exec_lo, s2
	v_cmp_lt_i16_e32 vcc_lo, -1, v25
	; wave barrier
	v_cndmask_b32_e64 v3, -1, 0xffff8000, vcc_lo
	s_delay_alu instid0(VALU_DEP_1) | instskip(NEXT) | instid1(VALU_DEP_1)
	v_xor_b32_e32 v25, v3, v25
	v_cmp_ne_u16_e32 vcc_lo, 0x7fff, v25
	v_cndmask_b32_e32 v3, 0xffff8000, v25, vcc_lo
	s_delay_alu instid0(VALU_DEP_1) | instskip(NEXT) | instid1(VALU_DEP_1)
	v_and_b32_e32 v3, 0xffff, v3
	v_lshrrev_b32_e32 v3, s20, v3
	s_delay_alu instid0(VALU_DEP_1) | instskip(SKIP_1) | instid1(VALU_DEP_2)
	v_bitop3_b32 v29, v3, 1, s25 bitop3:0x80
	v_and_b32_e32 v3, s25, v3
	v_add_co_u32 v29, s2, v29, -1
	s_delay_alu instid0(VALU_DEP_1) | instskip(NEXT) | instid1(VALU_DEP_3)
	v_cndmask_b32_e64 v31, 0, 1, s2
	v_dual_lshlrev_b32 v32, 30, v3 :: v_dual_lshlrev_b32 v33, 29, v3
	v_lshlrev_b32_e32 v34, 28, v3
	s_delay_alu instid0(VALU_DEP_3) | instskip(NEXT) | instid1(VALU_DEP_3)
	v_cmp_ne_u32_e32 vcc_lo, 0, v31
	v_cmp_gt_i32_e64 s2, 0, v32
	v_not_b32_e32 v31, v32
	v_cmp_gt_i32_e64 s3, 0, v33
	v_not_b32_e32 v32, v33
	v_not_b32_e32 v33, v34
	s_delay_alu instid0(VALU_DEP_2) | instskip(NEXT) | instid1(VALU_DEP_2)
	v_dual_ashrrev_i32 v32, 31, v32 :: v_dual_bitop2_b32 v29, vcc_lo, v29 bitop3:0x14
	v_dual_ashrrev_i32 v33, 31, v33 :: v_dual_lshlrev_b32 v35, 27, v3
	v_dual_lshlrev_b32 v36, 26, v3 :: v_dual_lshlrev_b32 v37, 25, v3
	v_lshlrev_b32_e32 v38, 24, v3
	v_cmp_gt_i32_e64 s4, 0, v34
	s_delay_alu instid0(VALU_DEP_4)
	v_not_b32_e32 v34, v35
	v_ashrrev_i32_e32 v31, 31, v31
	v_cmp_gt_i32_e64 s5, 0, v35
	v_cmp_gt_i32_e64 s6, 0, v36
	v_not_b32_e32 v35, v36
	v_cmp_gt_i32_e64 s7, 0, v37
	v_not_b32_e32 v36, v37
	v_not_b32_e32 v37, v38
	v_dual_ashrrev_i32 v34, 31, v34 :: v_dual_bitop2_b32 v31, s2, v31 bitop3:0x14
	v_dual_ashrrev_i32 v35, 31, v35 :: v_dual_bitop2_b32 v32, s3, v32 bitop3:0x14
	v_xor_b32_e32 v33, s4, v33
	v_cmp_gt_i32_e64 s8, 0, v38
	s_delay_alu instid0(VALU_DEP_4) | instskip(SKIP_3) | instid1(VALU_DEP_4)
	v_bitop3_b32 v29, v29, v31, exec_lo bitop3:0x80
	v_dual_ashrrev_i32 v31, 31, v36 :: v_dual_ashrrev_i32 v36, 31, v37
	v_xor_b32_e32 v34, s5, v34
	v_xor_b32_e32 v35, s6, v35
	v_bitop3_b32 v29, v29, v33, v32 bitop3:0x80
	v_mad_u32_u24 v32, 0x44, v3, v2
	v_xor_b32_e32 v3, s7, v31
	v_xor_b32_e32 v31, s8, v36
	s_delay_alu instid0(VALU_DEP_4) | instskip(SKIP_2) | instid1(VALU_DEP_1)
	v_bitop3_b32 v33, v29, v35, v34 bitop3:0x80
	ds_load_b32 v29, v32 offset:64
	; wave barrier
	v_bitop3_b32 v3, v33, v31, v3 bitop3:0x80
	v_mbcnt_lo_u32_b32 v31, v3, 0
	v_cmp_ne_u32_e64 s2, 0, v3
	s_delay_alu instid0(VALU_DEP_2) | instskip(SKIP_1) | instid1(SALU_CYCLE_1)
	v_cmp_eq_u32_e32 vcc_lo, 0, v31
	s_and_b32 s3, s2, vcc_lo
	s_and_saveexec_b32 s2, s3
	s_cbranch_execz .LBB2268_35
; %bb.34:
	s_wait_dscnt 0x0
	v_bcnt_u32_b32 v3, v3, v29
	ds_store_b32 v32, v3 offset:64
.LBB2268_35:
	s_or_b32 exec_lo, exec_lo, s2
	v_cmp_lt_i16_e32 vcc_lo, -1, v30
	; wave barrier
	v_cndmask_b32_e64 v3, -1, 0xffff8000, vcc_lo
	s_delay_alu instid0(VALU_DEP_1) | instskip(NEXT) | instid1(VALU_DEP_1)
	v_xor_b32_e32 v30, v3, v30
	v_cmp_ne_u16_e32 vcc_lo, 0x7fff, v30
	v_cndmask_b32_e32 v3, 0xffff8000, v30, vcc_lo
	s_delay_alu instid0(VALU_DEP_1) | instskip(NEXT) | instid1(VALU_DEP_1)
	v_and_b32_e32 v3, 0xffff, v3
	v_lshrrev_b32_e32 v3, s20, v3
	s_delay_alu instid0(VALU_DEP_1) | instskip(SKIP_1) | instid1(VALU_DEP_2)
	v_bitop3_b32 v33, v3, 1, s25 bitop3:0x80
	v_and_b32_e32 v3, s25, v3
	v_add_co_u32 v33, s2, v33, -1
	s_delay_alu instid0(VALU_DEP_1) | instskip(NEXT) | instid1(VALU_DEP_3)
	v_cndmask_b32_e64 v34, 0, 1, s2
	v_lshlrev_b32_e32 v35, 30, v3
	s_delay_alu instid0(VALU_DEP_2) | instskip(NEXT) | instid1(VALU_DEP_2)
	v_cmp_ne_u32_e32 vcc_lo, 0, v34
	v_not_b32_e32 v34, v35
	s_delay_alu instid0(VALU_DEP_1) | instskip(SKIP_4) | instid1(VALU_DEP_4)
	v_dual_ashrrev_i32 v34, 31, v34 :: v_dual_bitop2_b32 v33, vcc_lo, v33 bitop3:0x14
	v_dual_lshlrev_b32 v36, 29, v3 :: v_dual_lshlrev_b32 v37, 28, v3
	v_dual_lshlrev_b32 v38, 27, v3 :: v_dual_lshlrev_b32 v39, 26, v3
	v_lshlrev_b32_e32 v40, 25, v3
	v_cmp_gt_i32_e64 s2, 0, v35
	v_cmp_gt_i32_e64 s3, 0, v36
	v_not_b32_e32 v35, v36
	v_not_b32_e32 v36, v37
	v_lshlrev_b32_e32 v41, 24, v3
	v_cmp_gt_i32_e64 s4, 0, v37
	v_cmp_gt_i32_e64 s5, 0, v38
	v_not_b32_e32 v37, v38
	v_not_b32_e32 v38, v39
	v_dual_ashrrev_i32 v35, 31, v35 :: v_dual_bitop2_b32 v34, s2, v34 bitop3:0x14
	v_ashrrev_i32_e32 v36, 31, v36
	v_cmp_gt_i32_e64 s6, 0, v39
	v_cmp_gt_i32_e64 s7, 0, v40
	v_not_b32_e32 v39, v40
	v_not_b32_e32 v40, v41
	v_dual_ashrrev_i32 v37, 31, v37 :: v_dual_ashrrev_i32 v38, 31, v38
	v_xor_b32_e32 v35, s3, v35
	v_xor_b32_e32 v36, s4, v36
	v_bitop3_b32 v33, v33, v34, exec_lo bitop3:0x80
	v_cmp_gt_i32_e64 s8, 0, v41
	v_dual_ashrrev_i32 v34, 31, v39 :: v_dual_ashrrev_i32 v39, 31, v40
	v_xor_b32_e32 v37, s5, v37
	v_xor_b32_e32 v38, s6, v38
	v_bitop3_b32 v33, v33, v36, v35 bitop3:0x80
	v_mad_u32_u24 v36, 0x44, v3, v2
	v_xor_b32_e32 v3, s7, v34
	v_xor_b32_e32 v34, s8, v39
	s_delay_alu instid0(VALU_DEP_4) | instskip(SKIP_2) | instid1(VALU_DEP_1)
	v_bitop3_b32 v35, v33, v38, v37 bitop3:0x80
	ds_load_b32 v33, v36 offset:64
	; wave barrier
	v_bitop3_b32 v3, v35, v34, v3 bitop3:0x80
	v_mbcnt_lo_u32_b32 v34, v3, 0
	v_cmp_ne_u32_e64 s2, 0, v3
	s_delay_alu instid0(VALU_DEP_2) | instskip(SKIP_1) | instid1(SALU_CYCLE_1)
	v_cmp_eq_u32_e32 vcc_lo, 0, v34
	s_and_b32 s3, s2, vcc_lo
	s_and_saveexec_b32 s2, s3
	s_cbranch_execz .LBB2268_37
; %bb.36:
	s_wait_dscnt 0x0
	v_bcnt_u32_b32 v3, v3, v33
	ds_store_b32 v36, v3 offset:64
.LBB2268_37:
	s_or_b32 exec_lo, exec_lo, s2
	v_cmp_lt_i16_e32 vcc_lo, -1, v9
	; wave barrier
	v_cndmask_b32_e64 v3, -1, 0xffff8000, vcc_lo
	s_delay_alu instid0(VALU_DEP_1) | instskip(NEXT) | instid1(VALU_DEP_1)
	v_xor_b32_e32 v35, v3, v9
	v_cmp_ne_u16_e32 vcc_lo, 0x7fff, v35
	v_cndmask_b32_e32 v3, 0xffff8000, v35, vcc_lo
	s_delay_alu instid0(VALU_DEP_1) | instskip(NEXT) | instid1(VALU_DEP_1)
	v_and_b32_e32 v3, 0xffff, v3
	v_lshrrev_b32_e32 v3, s20, v3
	s_delay_alu instid0(VALU_DEP_1) | instskip(SKIP_1) | instid1(VALU_DEP_2)
	v_bitop3_b32 v9, v3, 1, s25 bitop3:0x80
	v_and_b32_e32 v3, s25, v3
	v_add_co_u32 v9, s2, v9, -1
	s_delay_alu instid0(VALU_DEP_1) | instskip(NEXT) | instid1(VALU_DEP_3)
	v_cndmask_b32_e64 v37, 0, 1, s2
	v_lshlrev_b32_e32 v38, 30, v3
	s_delay_alu instid0(VALU_DEP_2) | instskip(NEXT) | instid1(VALU_DEP_2)
	v_cmp_ne_u32_e32 vcc_lo, 0, v37
	v_not_b32_e32 v37, v38
	v_xor_b32_e32 v9, vcc_lo, v9
	s_delay_alu instid0(VALU_DEP_2) | instskip(SKIP_3) | instid1(VALU_DEP_4)
	v_dual_ashrrev_i32 v37, 31, v37 :: v_dual_lshlrev_b32 v39, 29, v3
	v_dual_lshlrev_b32 v40, 28, v3 :: v_dual_lshlrev_b32 v41, 27, v3
	v_dual_lshlrev_b32 v42, 26, v3 :: v_dual_lshlrev_b32 v43, 25, v3
	v_cmp_gt_i32_e64 s2, 0, v38
	v_cmp_gt_i32_e64 s3, 0, v39
	v_not_b32_e32 v38, v39
	v_not_b32_e32 v39, v40
	v_lshlrev_b32_e32 v44, 24, v3
	v_cmp_gt_i32_e64 s4, 0, v40
	v_cmp_gt_i32_e64 s5, 0, v41
	v_not_b32_e32 v40, v41
	v_not_b32_e32 v41, v42
	v_dual_ashrrev_i32 v38, 31, v38 :: v_dual_ashrrev_i32 v39, 31, v39
	v_xor_b32_e32 v37, s2, v37
	v_cmp_gt_i32_e64 s6, 0, v42
	v_cmp_gt_i32_e64 s7, 0, v43
	v_not_b32_e32 v42, v43
	v_not_b32_e32 v43, v44
	v_dual_ashrrev_i32 v40, 31, v40 :: v_dual_ashrrev_i32 v41, 31, v41
	v_xor_b32_e32 v38, s3, v38
	v_xor_b32_e32 v39, s4, v39
	v_bitop3_b32 v9, v9, v37, exec_lo bitop3:0x80
	v_cmp_gt_i32_e64 s8, 0, v44
	v_dual_ashrrev_i32 v37, 31, v42 :: v_dual_ashrrev_i32 v42, 31, v43
	v_xor_b32_e32 v43, s5, v40
	v_xor_b32_e32 v41, s6, v41
	v_bitop3_b32 v9, v9, v39, v38 bitop3:0x80
	v_mad_u32_u24 v40, 0x44, v3, v2
	v_xor_b32_e32 v3, s7, v37
	v_xor_b32_e32 v37, s8, v42
	s_delay_alu instid0(VALU_DEP_4) | instskip(SKIP_2) | instid1(VALU_DEP_1)
	v_bitop3_b32 v9, v9, v41, v43 bitop3:0x80
	ds_load_b32 v38, v40 offset:64
	; wave barrier
	v_bitop3_b32 v3, v9, v37, v3 bitop3:0x80
	v_mbcnt_lo_u32_b32 v39, v3, 0
	v_cmp_ne_u32_e64 s2, 0, v3
	s_delay_alu instid0(VALU_DEP_2) | instskip(SKIP_1) | instid1(SALU_CYCLE_1)
	v_cmp_eq_u32_e32 vcc_lo, 0, v39
	s_and_b32 s3, s2, vcc_lo
	s_and_saveexec_b32 s2, s3
	s_cbranch_execz .LBB2268_39
; %bb.38:
	s_wait_dscnt 0x0
	v_bcnt_u32_b32 v3, v3, v38
	ds_store_b32 v40, v3 offset:64
.LBB2268_39:
	s_or_b32 exec_lo, exec_lo, s2
	v_cmp_lt_i16_e32 vcc_lo, -1, v8
	; wave barrier
	v_cndmask_b32_e64 v3, -1, 0xffff8000, vcc_lo
	s_delay_alu instid0(VALU_DEP_1) | instskip(NEXT) | instid1(VALU_DEP_1)
	v_xor_b32_e32 v37, v3, v8
	v_cmp_ne_u16_e32 vcc_lo, 0x7fff, v37
	v_cndmask_b32_e32 v3, 0xffff8000, v37, vcc_lo
	s_delay_alu instid0(VALU_DEP_1) | instskip(NEXT) | instid1(VALU_DEP_1)
	v_and_b32_e32 v3, 0xffff, v3
	v_lshrrev_b32_e32 v3, s20, v3
	s_delay_alu instid0(VALU_DEP_1) | instskip(SKIP_1) | instid1(VALU_DEP_2)
	v_bitop3_b32 v8, v3, 1, s25 bitop3:0x80
	v_and_b32_e32 v3, s25, v3
	v_add_co_u32 v8, s2, v8, -1
	s_delay_alu instid0(VALU_DEP_1) | instskip(NEXT) | instid1(VALU_DEP_3)
	v_cndmask_b32_e64 v9, 0, 1, s2
	v_lshlrev_b32_e32 v41, 30, v3
	s_delay_alu instid0(VALU_DEP_2) | instskip(NEXT) | instid1(VALU_DEP_2)
	v_cmp_ne_u32_e32 vcc_lo, 0, v9
	v_not_b32_e32 v9, v41
	s_delay_alu instid0(VALU_DEP_1) | instskip(SKIP_4) | instid1(VALU_DEP_4)
	v_dual_ashrrev_i32 v9, 31, v9 :: v_dual_bitop2_b32 v8, vcc_lo, v8 bitop3:0x14
	v_dual_lshlrev_b32 v42, 29, v3 :: v_dual_lshlrev_b32 v43, 28, v3
	v_dual_lshlrev_b32 v44, 27, v3 :: v_dual_lshlrev_b32 v45, 26, v3
	v_lshlrev_b32_e32 v46, 25, v3
	v_cmp_gt_i32_e64 s2, 0, v41
	v_cmp_gt_i32_e64 s3, 0, v42
	v_not_b32_e32 v41, v42
	v_not_b32_e32 v42, v43
	v_lshlrev_b32_e32 v47, 24, v3
	v_cmp_gt_i32_e64 s4, 0, v43
	v_cmp_gt_i32_e64 s5, 0, v44
	v_not_b32_e32 v43, v44
	v_not_b32_e32 v44, v45
	v_dual_ashrrev_i32 v41, 31, v41 :: v_dual_ashrrev_i32 v42, 31, v42
	v_xor_b32_e32 v9, s2, v9
	v_cmp_gt_i32_e64 s6, 0, v45
	v_cmp_gt_i32_e64 s7, 0, v46
	v_not_b32_e32 v45, v46
	v_not_b32_e32 v46, v47
	v_dual_ashrrev_i32 v43, 31, v43 :: v_dual_ashrrev_i32 v44, 31, v44
	v_xor_b32_e32 v41, s3, v41
	v_xor_b32_e32 v42, s4, v42
	v_bitop3_b32 v8, v8, v9, exec_lo bitop3:0x80
	v_cmp_gt_i32_e64 s8, 0, v47
	v_dual_ashrrev_i32 v9, 31, v45 :: v_dual_ashrrev_i32 v45, 31, v46
	v_xor_b32_e32 v43, s5, v43
	v_xor_b32_e32 v46, s6, v44
	v_bitop3_b32 v8, v8, v42, v41 bitop3:0x80
	v_mad_u32_u24 v44, 0x44, v3, v2
	v_xor_b32_e32 v3, s7, v9
	v_xor_b32_e32 v9, s8, v45
	s_delay_alu instid0(VALU_DEP_4) | instskip(SKIP_2) | instid1(VALU_DEP_1)
	v_bitop3_b32 v8, v8, v46, v43 bitop3:0x80
	ds_load_b32 v42, v44 offset:64
	; wave barrier
	v_bitop3_b32 v3, v8, v9, v3 bitop3:0x80
	v_mbcnt_lo_u32_b32 v43, v3, 0
	v_cmp_ne_u32_e64 s2, 0, v3
	s_delay_alu instid0(VALU_DEP_2) | instskip(SKIP_1) | instid1(SALU_CYCLE_1)
	v_cmp_eq_u32_e32 vcc_lo, 0, v43
	s_and_b32 s3, s2, vcc_lo
	s_and_saveexec_b32 s2, s3
	s_cbranch_execz .LBB2268_41
; %bb.40:
	s_wait_dscnt 0x0
	v_bcnt_u32_b32 v3, v3, v42
	ds_store_b32 v44, v3 offset:64
.LBB2268_41:
	s_or_b32 exec_lo, exec_lo, s2
	v_cmp_lt_i16_e32 vcc_lo, -1, v7
	; wave barrier
	v_cndmask_b32_e64 v3, -1, 0xffff8000, vcc_lo
	s_delay_alu instid0(VALU_DEP_1) | instskip(NEXT) | instid1(VALU_DEP_1)
	v_xor_b32_e32 v41, v3, v7
	v_cmp_ne_u16_e32 vcc_lo, 0x7fff, v41
	v_cndmask_b32_e32 v3, 0xffff8000, v41, vcc_lo
	s_delay_alu instid0(VALU_DEP_1) | instskip(NEXT) | instid1(VALU_DEP_1)
	v_and_b32_e32 v3, 0xffff, v3
	v_lshrrev_b32_e32 v3, s20, v3
	s_delay_alu instid0(VALU_DEP_1) | instskip(SKIP_1) | instid1(VALU_DEP_2)
	v_bitop3_b32 v7, v3, 1, s25 bitop3:0x80
	v_and_b32_e32 v3, s25, v3
	v_add_co_u32 v7, s2, v7, -1
	s_delay_alu instid0(VALU_DEP_1) | instskip(NEXT) | instid1(VALU_DEP_3)
	v_cndmask_b32_e64 v8, 0, 1, s2
	v_dual_lshlrev_b32 v9, 30, v3 :: v_dual_lshlrev_b32 v45, 29, v3
	v_lshlrev_b32_e32 v46, 28, v3
	s_delay_alu instid0(VALU_DEP_3) | instskip(NEXT) | instid1(VALU_DEP_3)
	v_cmp_ne_u32_e32 vcc_lo, 0, v8
	v_cmp_gt_i32_e64 s2, 0, v9
	v_not_b32_e32 v8, v9
	v_cmp_gt_i32_e64 s3, 0, v45
	v_not_b32_e32 v9, v45
	v_not_b32_e32 v45, v46
	s_delay_alu instid0(VALU_DEP_2) | instskip(NEXT) | instid1(VALU_DEP_2)
	v_dual_ashrrev_i32 v8, 31, v8 :: v_dual_ashrrev_i32 v9, 31, v9
	v_dual_ashrrev_i32 v45, 31, v45 :: v_dual_lshlrev_b32 v47, 27, v3
	v_dual_lshlrev_b32 v48, 26, v3 :: v_dual_lshlrev_b32 v49, 25, v3
	s_delay_alu instid0(VALU_DEP_3) | instskip(SKIP_1) | instid1(VALU_DEP_4)
	v_dual_lshlrev_b32 v50, 24, v3 :: v_dual_bitop2_b32 v8, s2, v8 bitop3:0x14
	v_cmp_gt_i32_e64 s4, 0, v46
	v_cmp_gt_i32_e64 s5, 0, v47
	v_not_b32_e32 v46, v47
	v_cmp_gt_i32_e64 s6, 0, v48
	v_not_b32_e32 v47, v48
	v_not_b32_e32 v48, v49
	v_xor_b32_e32 v7, vcc_lo, v7
	v_cmp_gt_i32_e64 s7, 0, v49
	v_not_b32_e32 v49, v50
	v_dual_ashrrev_i32 v46, 31, v46 :: v_dual_ashrrev_i32 v47, 31, v47
	v_xor_b32_e32 v9, s3, v9
	v_xor_b32_e32 v45, s4, v45
	v_bitop3_b32 v7, v7, v8, exec_lo bitop3:0x80
	v_cmp_gt_i32_e64 s8, 0, v50
	v_dual_ashrrev_i32 v8, 31, v48 :: v_dual_ashrrev_i32 v49, 31, v49
	v_xor_b32_e32 v46, s5, v46
	v_xor_b32_e32 v47, s6, v47
	v_bitop3_b32 v7, v7, v45, v9 bitop3:0x80
	v_mad_u32_u24 v48, 0x44, v3, v2
	v_xor_b32_e32 v3, s7, v8
	v_xor_b32_e32 v8, s8, v49
	s_delay_alu instid0(VALU_DEP_4) | instskip(SKIP_2) | instid1(VALU_DEP_1)
	v_bitop3_b32 v7, v7, v47, v46 bitop3:0x80
	ds_load_b32 v46, v48 offset:64
	; wave barrier
	v_bitop3_b32 v3, v7, v8, v3 bitop3:0x80
	v_mbcnt_lo_u32_b32 v47, v3, 0
	v_cmp_ne_u32_e64 s2, 0, v3
	s_delay_alu instid0(VALU_DEP_2) | instskip(SKIP_1) | instid1(SALU_CYCLE_1)
	v_cmp_eq_u32_e32 vcc_lo, 0, v47
	s_and_b32 s3, s2, vcc_lo
	s_and_saveexec_b32 s2, s3
	s_cbranch_execz .LBB2268_43
; %bb.42:
	s_wait_dscnt 0x0
	v_bcnt_u32_b32 v3, v3, v46
	ds_store_b32 v48, v3 offset:64
.LBB2268_43:
	s_or_b32 exec_lo, exec_lo, s2
	v_cmp_lt_i16_e32 vcc_lo, -1, v6
	; wave barrier
	v_cndmask_b32_e64 v3, -1, 0xffff8000, vcc_lo
	s_delay_alu instid0(VALU_DEP_1) | instskip(NEXT) | instid1(VALU_DEP_1)
	v_xor_b32_e32 v45, v3, v6
	v_cmp_ne_u16_e32 vcc_lo, 0x7fff, v45
	v_cndmask_b32_e32 v3, 0xffff8000, v45, vcc_lo
	s_delay_alu instid0(VALU_DEP_1) | instskip(NEXT) | instid1(VALU_DEP_1)
	v_and_b32_e32 v3, 0xffff, v3
	v_lshrrev_b32_e32 v3, s20, v3
	s_delay_alu instid0(VALU_DEP_1) | instskip(SKIP_1) | instid1(VALU_DEP_2)
	v_bitop3_b32 v6, v3, 1, s25 bitop3:0x80
	v_and_b32_e32 v3, s25, v3
	v_add_co_u32 v6, s2, v6, -1
	s_delay_alu instid0(VALU_DEP_1) | instskip(NEXT) | instid1(VALU_DEP_3)
	v_cndmask_b32_e64 v7, 0, 1, s2
	v_dual_lshlrev_b32 v8, 30, v3 :: v_dual_lshlrev_b32 v9, 29, v3
	v_lshlrev_b32_e32 v49, 28, v3
	s_delay_alu instid0(VALU_DEP_3) | instskip(NEXT) | instid1(VALU_DEP_3)
	v_cmp_ne_u32_e32 vcc_lo, 0, v7
	v_cmp_gt_i32_e64 s2, 0, v8
	v_not_b32_e32 v7, v8
	v_cmp_gt_i32_e64 s3, 0, v9
	v_not_b32_e32 v8, v9
	v_not_b32_e32 v9, v49
	s_delay_alu instid0(VALU_DEP_2) | instskip(NEXT) | instid1(VALU_DEP_2)
	v_dual_ashrrev_i32 v8, 31, v8 :: v_dual_bitop2_b32 v6, vcc_lo, v6 bitop3:0x14
	v_dual_ashrrev_i32 v9, 31, v9 :: v_dual_lshlrev_b32 v50, 27, v3
	v_dual_lshlrev_b32 v51, 26, v3 :: v_dual_lshlrev_b32 v52, 25, v3
	v_cmp_gt_i32_e64 s4, 0, v49
	v_lshlrev_b32_e32 v53, 24, v3
	s_delay_alu instid0(VALU_DEP_4) | instskip(SKIP_4) | instid1(VALU_DEP_4)
	v_not_b32_e32 v49, v50
	v_ashrrev_i32_e32 v7, 31, v7
	v_cmp_gt_i32_e64 s5, 0, v50
	v_not_b32_e32 v50, v51
	v_cmp_gt_i32_e64 s6, 0, v51
	v_dual_ashrrev_i32 v49, 31, v49 :: v_dual_bitop2_b32 v7, s2, v7 bitop3:0x14
	v_cmp_gt_i32_e64 s7, 0, v52
	v_not_b32_e32 v51, v52
	v_not_b32_e32 v52, v53
	v_dual_ashrrev_i32 v50, 31, v50 :: v_dual_bitop2_b32 v8, s3, v8 bitop3:0x14
	v_xor_b32_e32 v9, s4, v9
	v_bitop3_b32 v6, v6, v7, exec_lo bitop3:0x80
	v_cmp_gt_i32_e64 s8, 0, v53
	v_dual_ashrrev_i32 v7, 31, v51 :: v_dual_ashrrev_i32 v51, 31, v52
	v_xor_b32_e32 v49, s5, v49
	v_xor_b32_e32 v50, s6, v50
	v_bitop3_b32 v6, v6, v9, v8 bitop3:0x80
	v_mad_u32_u24 v52, 0x44, v3, v2
	v_xor_b32_e32 v3, s7, v7
	v_xor_b32_e32 v7, s8, v51
	s_delay_alu instid0(VALU_DEP_4) | instskip(SKIP_2) | instid1(VALU_DEP_1)
	v_bitop3_b32 v6, v6, v50, v49 bitop3:0x80
	ds_load_b32 v49, v52 offset:64
	; wave barrier
	v_bitop3_b32 v3, v6, v7, v3 bitop3:0x80
	v_mbcnt_lo_u32_b32 v51, v3, 0
	v_cmp_ne_u32_e64 s2, 0, v3
	s_delay_alu instid0(VALU_DEP_2) | instskip(SKIP_1) | instid1(SALU_CYCLE_1)
	v_cmp_eq_u32_e32 vcc_lo, 0, v51
	s_and_b32 s3, s2, vcc_lo
	s_and_saveexec_b32 s2, s3
	s_cbranch_execz .LBB2268_45
; %bb.44:
	s_wait_dscnt 0x0
	v_bcnt_u32_b32 v3, v3, v49
	ds_store_b32 v52, v3 offset:64
.LBB2268_45:
	s_or_b32 exec_lo, exec_lo, s2
	v_cmp_lt_i16_e32 vcc_lo, -1, v5
	; wave barrier
	v_cndmask_b32_e64 v3, -1, 0xffff8000, vcc_lo
	s_delay_alu instid0(VALU_DEP_1) | instskip(NEXT) | instid1(VALU_DEP_1)
	v_xor_b32_e32 v50, v3, v5
	v_cmp_ne_u16_e32 vcc_lo, 0x7fff, v50
	v_cndmask_b32_e32 v3, 0xffff8000, v50, vcc_lo
	s_delay_alu instid0(VALU_DEP_1) | instskip(NEXT) | instid1(VALU_DEP_1)
	v_and_b32_e32 v3, 0xffff, v3
	v_lshrrev_b32_e32 v3, s20, v3
	s_delay_alu instid0(VALU_DEP_1) | instskip(SKIP_1) | instid1(VALU_DEP_2)
	v_bitop3_b32 v5, v3, 1, s25 bitop3:0x80
	v_and_b32_e32 v3, s25, v3
	v_add_co_u32 v5, s2, v5, -1
	s_delay_alu instid0(VALU_DEP_1) | instskip(NEXT) | instid1(VALU_DEP_3)
	v_cndmask_b32_e64 v6, 0, 1, s2
	v_lshlrev_b32_e32 v7, 30, v3
	s_delay_alu instid0(VALU_DEP_2) | instskip(NEXT) | instid1(VALU_DEP_2)
	v_cmp_ne_u32_e32 vcc_lo, 0, v6
	v_not_b32_e32 v6, v7
	s_delay_alu instid0(VALU_DEP_1) | instskip(SKIP_4) | instid1(VALU_DEP_4)
	v_dual_ashrrev_i32 v6, 31, v6 :: v_dual_bitop2_b32 v5, vcc_lo, v5 bitop3:0x14
	v_dual_lshlrev_b32 v8, 29, v3 :: v_dual_lshlrev_b32 v9, 28, v3
	v_dual_lshlrev_b32 v53, 27, v3 :: v_dual_lshlrev_b32 v54, 26, v3
	v_lshlrev_b32_e32 v55, 25, v3
	v_cmp_gt_i32_e64 s2, 0, v7
	v_cmp_gt_i32_e64 s3, 0, v8
	v_not_b32_e32 v7, v8
	v_not_b32_e32 v8, v9
	v_lshlrev_b32_e32 v56, 24, v3
	v_cmp_gt_i32_e64 s4, 0, v9
	v_cmp_gt_i32_e64 s5, 0, v53
	v_not_b32_e32 v9, v53
	v_not_b32_e32 v53, v54
	v_dual_ashrrev_i32 v7, 31, v7 :: v_dual_bitop2_b32 v6, s2, v6 bitop3:0x14
	v_ashrrev_i32_e32 v8, 31, v8
	v_cmp_gt_i32_e64 s6, 0, v54
	v_cmp_gt_i32_e64 s7, 0, v55
	v_not_b32_e32 v54, v55
	v_not_b32_e32 v55, v56
	v_dual_ashrrev_i32 v9, 31, v9 :: v_dual_bitop2_b32 v7, s3, v7 bitop3:0x14
	v_dual_ashrrev_i32 v53, 31, v53 :: v_dual_bitop2_b32 v8, s4, v8 bitop3:0x14
	v_bitop3_b32 v5, v5, v6, exec_lo bitop3:0x80
	v_cmp_gt_i32_e64 s8, 0, v56
	v_dual_ashrrev_i32 v6, 31, v54 :: v_dual_ashrrev_i32 v54, 31, v55
	v_xor_b32_e32 v9, s5, v9
	v_xor_b32_e32 v53, s6, v53
	v_bitop3_b32 v5, v5, v8, v7 bitop3:0x80
	v_mad_u32_u24 v57, 0x44, v3, v2
	v_xor_b32_e32 v3, s7, v6
	v_xor_b32_e32 v6, s8, v54
	s_delay_alu instid0(VALU_DEP_4) | instskip(SKIP_2) | instid1(VALU_DEP_1)
	v_bitop3_b32 v5, v5, v53, v9 bitop3:0x80
	ds_load_b32 v53, v57 offset:64
	; wave barrier
	v_bitop3_b32 v3, v5, v6, v3 bitop3:0x80
	v_mbcnt_lo_u32_b32 v54, v3, 0
	v_cmp_ne_u32_e64 s2, 0, v3
	s_delay_alu instid0(VALU_DEP_2) | instskip(SKIP_1) | instid1(SALU_CYCLE_1)
	v_cmp_eq_u32_e32 vcc_lo, 0, v54
	s_and_b32 s3, s2, vcc_lo
	s_and_saveexec_b32 s2, s3
	s_cbranch_execz .LBB2268_47
; %bb.46:
	s_wait_dscnt 0x0
	v_bcnt_u32_b32 v3, v3, v53
	ds_store_b32 v57, v3 offset:64
.LBB2268_47:
	s_or_b32 exec_lo, exec_lo, s2
	v_cmp_lt_i16_e32 vcc_lo, -1, v4
	; wave barrier
	v_cndmask_b32_e64 v3, -1, 0xffff8000, vcc_lo
	s_delay_alu instid0(VALU_DEP_1) | instskip(NEXT) | instid1(VALU_DEP_1)
	v_xor_b32_e32 v55, v3, v4
	v_cmp_ne_u16_e32 vcc_lo, 0x7fff, v55
	v_cndmask_b32_e32 v3, 0xffff8000, v55, vcc_lo
	s_delay_alu instid0(VALU_DEP_1) | instskip(NEXT) | instid1(VALU_DEP_1)
	v_and_b32_e32 v3, 0xffff, v3
	v_lshrrev_b32_e32 v3, s20, v3
	s_delay_alu instid0(VALU_DEP_1) | instskip(SKIP_1) | instid1(VALU_DEP_2)
	v_bitop3_b32 v4, v3, 1, s25 bitop3:0x80
	v_and_b32_e32 v3, s25, v3
	v_add_co_u32 v4, s2, v4, -1
	s_delay_alu instid0(VALU_DEP_1) | instskip(NEXT) | instid1(VALU_DEP_3)
	v_cndmask_b32_e64 v5, 0, 1, s2
	v_lshlrev_b32_e32 v6, 30, v3
	s_delay_alu instid0(VALU_DEP_2) | instskip(NEXT) | instid1(VALU_DEP_2)
	v_cmp_ne_u32_e32 vcc_lo, 0, v5
	v_not_b32_e32 v5, v6
	s_delay_alu instid0(VALU_DEP_1) | instskip(SKIP_4) | instid1(VALU_DEP_4)
	v_dual_ashrrev_i32 v5, 31, v5 :: v_dual_bitop2_b32 v4, vcc_lo, v4 bitop3:0x14
	v_dual_lshlrev_b32 v7, 29, v3 :: v_dual_lshlrev_b32 v8, 28, v3
	v_dual_lshlrev_b32 v9, 27, v3 :: v_dual_lshlrev_b32 v56, 26, v3
	v_lshlrev_b32_e32 v58, 25, v3
	v_cmp_gt_i32_e64 s2, 0, v6
	v_cmp_gt_i32_e64 s3, 0, v7
	v_not_b32_e32 v6, v7
	v_not_b32_e32 v7, v8
	v_lshlrev_b32_e32 v59, 24, v3
	v_cmp_gt_i32_e64 s4, 0, v8
	v_cmp_gt_i32_e64 s5, 0, v9
	v_not_b32_e32 v8, v9
	v_not_b32_e32 v9, v56
	v_dual_ashrrev_i32 v6, 31, v6 :: v_dual_ashrrev_i32 v7, 31, v7
	v_xor_b32_e32 v5, s2, v5
	v_cmp_gt_i32_e64 s6, 0, v56
	v_cmp_gt_i32_e64 s7, 0, v58
	v_not_b32_e32 v56, v58
	v_not_b32_e32 v58, v59
	v_dual_ashrrev_i32 v8, 31, v8 :: v_dual_ashrrev_i32 v9, 31, v9
	v_xor_b32_e32 v6, s3, v6
	v_xor_b32_e32 v7, s4, v7
	v_bitop3_b32 v4, v4, v5, exec_lo bitop3:0x80
	v_cmp_gt_i32_e64 s8, 0, v59
	v_dual_ashrrev_i32 v5, 31, v56 :: v_dual_ashrrev_i32 v56, 31, v58
	v_xor_b32_e32 v8, s5, v8
	v_xor_b32_e32 v9, s6, v9
	v_bitop3_b32 v4, v4, v7, v6 bitop3:0x80
	v_mad_u32_u24 v59, 0x44, v3, v2
	v_xor_b32_e32 v2, s7, v5
	v_xor_b32_e32 v3, s8, v56
	s_delay_alu instid0(VALU_DEP_4) | instskip(SKIP_2) | instid1(VALU_DEP_1)
	v_bitop3_b32 v4, v4, v9, v8 bitop3:0x80
	ds_load_b32 v56, v59 offset:64
	; wave barrier
	v_bitop3_b32 v2, v4, v3, v2 bitop3:0x80
	v_mbcnt_lo_u32_b32 v58, v2, 0
	v_cmp_ne_u32_e64 s2, 0, v2
	s_delay_alu instid0(VALU_DEP_2) | instskip(SKIP_1) | instid1(SALU_CYCLE_1)
	v_cmp_eq_u32_e32 vcc_lo, 0, v58
	s_and_b32 s3, s2, vcc_lo
	s_and_saveexec_b32 s2, s3
	s_cbranch_execz .LBB2268_49
; %bb.48:
	s_wait_dscnt 0x0
	v_bcnt_u32_b32 v2, v2, v56
	ds_store_b32 v59, v2 offset:64
.LBB2268_49:
	s_or_b32 exec_lo, exec_lo, s2
	; wave barrier
	s_wait_dscnt 0x0
	s_barrier_signal -1
	s_barrier_wait -1
	ds_load_2addr_b32 v[8:9], v13 offset0:16 offset1:17
	ds_load_2addr_b32 v[6:7], v13 offset0:18 offset1:19
	;; [unrolled: 1-line block ×4, first 2 shown]
	ds_load_b32 v60, v13 offset:96
	s_mov_b32 s6, exec_lo
	s_wait_dscnt 0x3
	v_add3_u32 v61, v9, v8, v6
	s_wait_dscnt 0x2
	s_delay_alu instid0(VALU_DEP_1) | instskip(SKIP_1) | instid1(VALU_DEP_1)
	v_add3_u32 v61, v61, v7, v4
	s_wait_dscnt 0x1
	v_add3_u32 v61, v61, v5, v2
	s_wait_dscnt 0x0
	s_delay_alu instid0(VALU_DEP_1) | instskip(SKIP_1) | instid1(VALU_DEP_2)
	v_add3_u32 v60, v61, v3, v60
	v_and_b32_e32 v61, 15, v14
	v_mov_b32_dpp v62, v60 row_shr:1 row_mask:0xf bank_mask:0xf
	s_delay_alu instid0(VALU_DEP_2) | instskip(NEXT) | instid1(VALU_DEP_2)
	v_cmp_eq_u32_e32 vcc_lo, 0, v61
	v_cndmask_b32_e64 v62, v62, 0, vcc_lo
	s_delay_alu instid0(VALU_DEP_1) | instskip(SKIP_3) | instid1(VALU_DEP_4)
	v_add_nc_u32_e32 v60, v62, v60
	v_cmp_lt_u32_e64 s2, 1, v61
	v_cmp_lt_u32_e64 s3, 3, v61
	v_cmp_lt_u32_e64 s4, 7, v61
	v_mov_b32_dpp v62, v60 row_shr:2 row_mask:0xf bank_mask:0xf
	s_delay_alu instid0(VALU_DEP_1) | instskip(NEXT) | instid1(VALU_DEP_1)
	v_cndmask_b32_e64 v62, 0, v62, s2
	v_add_nc_u32_e32 v60, v60, v62
	s_delay_alu instid0(VALU_DEP_1) | instskip(NEXT) | instid1(VALU_DEP_1)
	v_mov_b32_dpp v62, v60 row_shr:4 row_mask:0xf bank_mask:0xf
	v_cndmask_b32_e64 v62, 0, v62, s3
	s_delay_alu instid0(VALU_DEP_1) | instskip(NEXT) | instid1(VALU_DEP_1)
	v_add_nc_u32_e32 v60, v60, v62
	v_mov_b32_dpp v62, v60 row_shr:8 row_mask:0xf bank_mask:0xf
	s_delay_alu instid0(VALU_DEP_1) | instskip(SKIP_1) | instid1(VALU_DEP_2)
	v_cndmask_b32_e64 v61, 0, v62, s4
	v_bfe_i32 v62, v14, 4, 1
	v_add_nc_u32_e32 v60, v60, v61
	ds_swizzle_b32 v61, v60 offset:swizzle(BROADCAST,32,15)
	s_wait_dscnt 0x0
	v_and_b32_e32 v61, v62, v61
	v_min_u32_e32 v62, 0x1e0, v15
	s_delay_alu instid0(VALU_DEP_1) | instskip(SKIP_1) | instid1(VALU_DEP_2)
	v_dual_add_nc_u32 v60, v60, v61 :: v_dual_bitop2_b32 v62, 31, v62 bitop3:0x54
	v_lshrrev_b32_e32 v61, 5, v1
	v_cmpx_eq_u32_e64 v1, v62
; %bb.50:
	s_delay_alu instid0(VALU_DEP_2)
	v_lshlrev_b32_e32 v62, 2, v61
	ds_store_b32 v62, v60
; %bb.51:
	s_or_b32 exec_lo, exec_lo, s6
	s_delay_alu instid0(SALU_CYCLE_1)
	s_mov_b32 s6, exec_lo
	s_wait_dscnt 0x0
	s_barrier_signal -1
	s_barrier_wait -1
	v_cmpx_gt_u32_e32 16, v1
	s_cbranch_execz .LBB2268_53
; %bb.52:
	v_lshlrev_b32_e32 v62, 2, v1
	ds_load_b32 v63, v62
	s_wait_dscnt 0x0
	v_mov_b32_dpp v64, v63 row_shr:1 row_mask:0xf bank_mask:0xf
	s_delay_alu instid0(VALU_DEP_1) | instskip(NEXT) | instid1(VALU_DEP_1)
	v_cndmask_b32_e64 v64, v64, 0, vcc_lo
	v_add_nc_u32_e32 v63, v64, v63
	s_delay_alu instid0(VALU_DEP_1) | instskip(NEXT) | instid1(VALU_DEP_1)
	v_mov_b32_dpp v64, v63 row_shr:2 row_mask:0xf bank_mask:0xf
	v_cndmask_b32_e64 v64, 0, v64, s2
	s_delay_alu instid0(VALU_DEP_1) | instskip(NEXT) | instid1(VALU_DEP_1)
	v_add_nc_u32_e32 v63, v63, v64
	v_mov_b32_dpp v64, v63 row_shr:4 row_mask:0xf bank_mask:0xf
	s_delay_alu instid0(VALU_DEP_1) | instskip(NEXT) | instid1(VALU_DEP_1)
	v_cndmask_b32_e64 v64, 0, v64, s3
	v_add_nc_u32_e32 v63, v63, v64
	s_delay_alu instid0(VALU_DEP_1) | instskip(NEXT) | instid1(VALU_DEP_1)
	v_mov_b32_dpp v64, v63 row_shr:8 row_mask:0xf bank_mask:0xf
	v_cndmask_b32_e64 v64, 0, v64, s4
	s_delay_alu instid0(VALU_DEP_1)
	v_add_nc_u32_e32 v63, v63, v64
	ds_store_b32 v62, v63
.LBB2268_53:
	s_or_b32 exec_lo, exec_lo, s6
	v_mov_b32_e32 v62, 0
	s_mov_b32 s2, exec_lo
	s_wait_dscnt 0x0
	s_barrier_signal -1
	s_barrier_wait -1
	v_cmpx_lt_u32_e32 31, v1
; %bb.54:
	v_lshl_add_u32 v61, v61, 2, -4
	ds_load_b32 v62, v61
; %bb.55:
	s_or_b32 exec_lo, exec_lo, s2
	v_sub_co_u32 v61, vcc_lo, v14, 1
	s_wait_dscnt 0x0
	v_add_nc_u32_e32 v60, v62, v60
	s_delay_alu instid0(VALU_DEP_2) | instskip(NEXT) | instid1(VALU_DEP_1)
	v_cmp_gt_i32_e64 s2, 0, v61
	v_cndmask_b32_e64 v61, v61, v14, s2
	v_cmp_gt_u32_e64 s2, 0x100, v1
	s_delay_alu instid0(VALU_DEP_2) | instskip(SKIP_4) | instid1(VALU_DEP_2)
	v_lshlrev_b32_e32 v61, 2, v61
	ds_bpermute_b32 v60, v61, v60
	s_wait_dscnt 0x0
	v_cndmask_b32_e32 v60, v60, v62, vcc_lo
	v_cmp_ne_u32_e32 vcc_lo, 0, v1
	v_cndmask_b32_e32 v60, 0, v60, vcc_lo
	v_cmp_lt_u32_e32 vcc_lo, 0xff, v1
	s_delay_alu instid0(VALU_DEP_2) | instskip(NEXT) | instid1(VALU_DEP_1)
	v_add_nc_u32_e32 v8, v60, v8
	v_add_nc_u32_e32 v9, v8, v9
	s_delay_alu instid0(VALU_DEP_1) | instskip(NEXT) | instid1(VALU_DEP_1)
	v_add_nc_u32_e32 v6, v9, v6
	v_add_nc_u32_e32 v7, v6, v7
	s_delay_alu instid0(VALU_DEP_1) | instskip(NEXT) | instid1(VALU_DEP_1)
	;; [unrolled: 3-line block ×3, first 2 shown]
	v_add_nc_u32_e32 v2, v5, v2
	v_add_nc_u32_e32 v3, v2, v3
	ds_store_2addr_b32 v13, v60, v8 offset0:16 offset1:17
	ds_store_2addr_b32 v13, v9, v6 offset0:18 offset1:19
	;; [unrolled: 1-line block ×4, first 2 shown]
	ds_store_b32 v13, v3 offset:96
	s_wait_dscnt 0x0
	s_barrier_signal -1
	s_barrier_wait -1
	ds_load_b32 v61, v16 offset:64
	ds_load_b32 v62, v20 offset:64
	;; [unrolled: 1-line block ×12, first 2 shown]
	v_mov_b64_e32 v[2:3], 0
                                        ; implicit-def: $vgpr4
	s_and_saveexec_b32 s4, s2
	s_cbranch_execz .LBB2268_59
; %bb.56:
	v_mul_u32_u24_e32 v2, 0x44, v1
	v_dual_mov_b32 v3, 0x1800 :: v_dual_add_nc_u32 v4, 1, v1
	s_mov_b32 s5, exec_lo
	ds_load_b32 v2, v2 offset:64
	v_cmpx_ne_u32_e32 0x100, v4
; %bb.57:
	v_mul_u32_u24_e32 v3, 0x44, v4
	ds_load_b32 v3, v3 offset:64
; %bb.58:
	s_or_b32 exec_lo, exec_lo, s5
	s_wait_dscnt 0x0
	v_dual_mov_b32 v3, 0 :: v_dual_sub_nc_u32 v4, v3, v2
.LBB2268_59:
	s_or_b32 exec_lo, exec_lo, s4
	s_wait_dscnt 0xa
	v_dual_lshlrev_b32 v11, 1, v11 :: v_dual_lshlrev_b32 v28, 1, v62
	v_dual_lshlrev_b32 v19, 1, v19 :: v_dual_lshlrev_b32 v18, 1, v18
	v_lshlrev_b32_e32 v22, 1, v22
	s_delay_alu instid0(VALU_DEP_3)
	v_lshl_add_u32 v11, v61, 1, v11
	v_lshlrev_b32_e32 v23, 1, v23
	s_wait_dscnt 0x0
	v_add3_u32 v18, v28, v19, v18
	v_lshlrev_b32_e32 v19, 1, v60
	s_barrier_signal -1
	s_barrier_wait -1
	ds_store_b16 v11, v10 offset:2048
	ds_store_b16 v18, v12 offset:2048
	v_lshlrev_b32_e32 v11, 1, v24
	v_add3_u32 v10, v19, v23, v22
	v_dual_lshlrev_b32 v12, 1, v27 :: v_dual_lshlrev_b32 v18, 1, v26
	v_dual_lshlrev_b32 v22, 1, v29 :: v_dual_lshlrev_b32 v16, 1, v16
	;; [unrolled: 1-line block ×6, first 2 shown]
	ds_store_b16 v10, v17 offset:2048
	v_add3_u32 v10, v11, v12, v18
	v_add3_u32 v12, v16, v23, v24
	v_dual_lshlrev_b32 v16, 1, v43 :: v_dual_lshlrev_b32 v17, 1, v42
	v_add3_u32 v11, v19, v20, v22
	v_add3_u32 v13, v13, v26, v27
	ds_store_b16 v10, v21 offset:2048
	ds_store_b16 v11, v25 offset:2048
	;; [unrolled: 1-line block ×4, first 2 shown]
	v_add3_u32 v9, v9, v16, v17
	v_dual_lshlrev_b32 v8, 1, v8 :: v_dual_lshlrev_b32 v10, 1, v47
	v_dual_lshlrev_b32 v11, 1, v46 :: v_dual_lshlrev_b32 v7, 1, v7
	v_dual_lshlrev_b32 v12, 1, v51 :: v_dual_lshlrev_b32 v13, 1, v49
	v_dual_lshlrev_b32 v16, 1, v54 :: v_dual_lshlrev_b32 v5, 1, v5
	v_dual_lshlrev_b32 v18, 1, v58 :: v_dual_lshlrev_b32 v19, 1, v56
	v_dual_lshlrev_b32 v6, 1, v6 :: v_dual_lshlrev_b32 v17, 1, v53
	ds_store_b16 v9, v37 offset:2048
	v_add3_u32 v8, v8, v10, v11
	v_add3_u32 v9, v7, v12, v13
	;; [unrolled: 1-line block ×3, first 2 shown]
	v_dual_mov_b32 v7, 0 :: v_dual_lshlrev_b32 v5, 3, v1
	v_add3_u32 v6, v6, v16, v17
	ds_store_b16 v8, v41 offset:2048
	ds_store_b16 v9, v45 offset:2048
	;; [unrolled: 1-line block ×4, first 2 shown]
	s_and_saveexec_b32 s3, s2
	s_cbranch_execz .LBB2268_69
; %bb.60:
	v_lshl_add_u32 v6, s9, 8, v1
	v_dual_mov_b32 v10, 0 :: v_dual_bitop2_b32 v11, 2.0, v4 bitop3:0x54
	s_mov_b32 s4, 0
	s_mov_b32 s5, s9
	s_delay_alu instid0(VALU_DEP_2)
	v_lshl_add_u64 v[8:9], v[6:7], 2, s[10:11]
	global_store_b32 v6, v11, s[10:11] scale_offset scope:SCOPE_DEV
                                        ; implicit-def: $sgpr2
	s_branch .LBB2268_63
.LBB2268_61:                            ;   in Loop: Header=BB2268_63 Depth=1
	s_or_b32 exec_lo, exec_lo, s7
.LBB2268_62:                            ;   in Loop: Header=BB2268_63 Depth=1
	s_delay_alu instid0(SALU_CYCLE_1) | instskip(SKIP_2) | instid1(VALU_DEP_2)
	s_or_b32 exec_lo, exec_lo, s6
	v_and_b32_e32 v6, 0x3fffffff, v11
	v_cmp_gt_i32_e64 s2, -2.0, v11
	v_add_nc_u32_e32 v10, v6, v10
	s_and_b32 s6, exec_lo, s2
	s_delay_alu instid0(SALU_CYCLE_1) | instskip(NEXT) | instid1(SALU_CYCLE_1)
	s_or_b32 s4, s6, s4
	s_and_not1_b32 exec_lo, exec_lo, s4
	s_cbranch_execz .LBB2268_68
.LBB2268_63:                            ; =>This Loop Header: Depth=1
                                        ;     Child Loop BB2268_66 Depth 2
	s_or_b32 s2, s2, exec_lo
	s_cmp_eq_u32 s5, 0
	s_cbranch_scc1 .LBB2268_67
; %bb.64:                               ;   in Loop: Header=BB2268_63 Depth=1
	s_add_co_i32 s5, s5, -1
	s_mov_b32 s6, exec_lo
	s_wait_xcnt 0x0
	v_lshl_or_b32 v6, s5, 8, v1
	global_load_b32 v11, v6, s[10:11] scale_offset scope:SCOPE_DEV
	s_wait_loadcnt 0x0
	v_cmpx_gt_u32_e32 2.0, v11
	s_cbranch_execz .LBB2268_62
; %bb.65:                               ;   in Loop: Header=BB2268_63 Depth=1
	v_lshl_add_u64 v[12:13], v[6:7], 2, s[10:11]
	s_mov_b32 s7, 0
.LBB2268_66:                            ;   Parent Loop BB2268_63 Depth=1
                                        ; =>  This Inner Loop Header: Depth=2
	global_load_b32 v11, v[12:13], off scope:SCOPE_DEV
	s_wait_loadcnt 0x0
	v_cmp_lt_u32_e64 s2, 0x3fffffff, v11
	s_or_b32 s7, s2, s7
	s_wait_xcnt 0x0
	s_and_not1_b32 exec_lo, exec_lo, s7
	s_cbranch_execnz .LBB2268_66
	s_branch .LBB2268_61
.LBB2268_67:                            ;   in Loop: Header=BB2268_63 Depth=1
                                        ; implicit-def: $sgpr5
	s_and_b32 s6, exec_lo, s2
	s_delay_alu instid0(SALU_CYCLE_1)
	s_or_b32 s4, s6, s4
	s_wait_xcnt 0x0
	s_and_not1_b32 exec_lo, exec_lo, s4
	s_cbranch_execnz .LBB2268_63
.LBB2268_68:
	s_or_b32 exec_lo, exec_lo, s4
	v_dual_mov_b32 v11, 0 :: v_dual_add_nc_u32 v6, v10, v4
	s_delay_alu instid0(VALU_DEP_1) | instskip(SKIP_4) | instid1(VALU_DEP_1)
	v_or_b32_e32 v6, 0x80000000, v6
	global_store_b32 v[8:9], v6, off scope:SCOPE_DEV
	global_load_b64 v[6:7], v1, s[12:13] scale_offset
	v_sub_nc_u64_e32 v[8:9], v[10:11], v[2:3]
	s_wait_loadcnt 0x0
	v_add_nc_u64_e32 v[6:7], v[8:9], v[6:7]
	ds_store_b64 v5, v[6:7]
.LBB2268_69:
	s_wait_xcnt 0x0
	s_or_b32 exec_lo, exec_lo, s3
	v_mad_i32_i24 v8, v1, -6, v5
	v_lshlrev_b32_e32 v6, 1, v1
	s_mov_b32 s3, exec_lo
	s_wait_storecnt_dscnt 0x0
	s_barrier_signal -1
	s_barrier_wait -1
	v_cmpx_gt_u32_e64 s22, v1
	s_cbranch_execz .LBB2268_71
; %bb.70:
	ds_load_u16 v9, v8 offset:2048
	s_wait_dscnt 0x0
	v_cmp_ne_u16_e64 s2, 0x7fff, v9
	s_delay_alu instid0(VALU_DEP_1) | instskip(SKIP_1) | instid1(VALU_DEP_2)
	v_cndmask_b32_e64 v7, 0xffff8000, v9, s2
	v_cmp_lt_i16_e64 s2, -1, v9
	v_and_b32_e32 v7, 0xffff, v7
	s_delay_alu instid0(VALU_DEP_2) | instskip(NEXT) | instid1(VALU_DEP_2)
	v_cndmask_b32_e64 v12, 0xffff8000, -1, s2
	v_lshrrev_b32_e32 v7, s20, v7
	s_delay_alu instid0(VALU_DEP_1) | instskip(NEXT) | instid1(VALU_DEP_1)
	v_and_b32_e32 v7, s25, v7
	v_lshlrev_b32_e32 v7, 3, v7
	ds_load_b64 v[10:11], v7
	v_mov_b32_e32 v7, 0
	s_wait_dscnt 0x0
	v_lshl_add_u64 v[10:11], v[10:11], 1, s[18:19]
	s_delay_alu instid0(VALU_DEP_1)
	v_add_nc_u64_e32 v[10:11], v[10:11], v[6:7]
	v_xor_b32_e32 v7, v12, v9
	global_store_b16 v[10:11], v7, off
.LBB2268_71:
	s_wait_xcnt 0x0
	s_or_b32 exec_lo, exec_lo, s3
	v_add_nc_u32_e32 v7, 0x200, v1
	s_mov_b32 s3, exec_lo
	s_delay_alu instid0(VALU_DEP_1)
	v_cmpx_gt_u32_e64 s22, v7
	s_cbranch_execz .LBB2268_73
; %bb.72:
	ds_load_u16 v9, v8 offset:3072
	s_wait_dscnt 0x0
	v_cmp_ne_u16_e64 s2, 0x7fff, v9
	s_delay_alu instid0(VALU_DEP_1) | instskip(SKIP_1) | instid1(VALU_DEP_2)
	v_cndmask_b32_e64 v7, 0xffff8000, v9, s2
	v_cmp_lt_i16_e64 s2, -1, v9
	v_and_b32_e32 v7, 0xffff, v7
	s_delay_alu instid0(VALU_DEP_2) | instskip(NEXT) | instid1(VALU_DEP_2)
	v_cndmask_b32_e64 v12, 0xffff8000, -1, s2
	v_lshrrev_b32_e32 v7, s20, v7
	s_delay_alu instid0(VALU_DEP_1) | instskip(NEXT) | instid1(VALU_DEP_1)
	v_and_b32_e32 v7, s25, v7
	v_lshlrev_b32_e32 v7, 3, v7
	ds_load_b64 v[10:11], v7
	v_mov_b32_e32 v7, 0
	s_wait_dscnt 0x0
	v_lshl_add_u64 v[10:11], v[10:11], 1, s[18:19]
	s_delay_alu instid0(VALU_DEP_1)
	v_add_nc_u64_e32 v[10:11], v[10:11], v[6:7]
	v_xor_b32_e32 v7, v12, v9
	global_store_b16 v[10:11], v7, off offset:1024
.LBB2268_73:
	s_wait_xcnt 0x0
	s_or_b32 exec_lo, exec_lo, s3
	v_or_b32_e32 v7, 0x400, v1
	s_mov_b32 s3, exec_lo
	s_delay_alu instid0(VALU_DEP_1)
	v_cmpx_gt_u32_e64 s22, v7
	s_cbranch_execz .LBB2268_75
; %bb.74:
	ds_load_u16 v9, v8 offset:4096
	s_wait_dscnt 0x0
	v_cmp_ne_u16_e64 s2, 0x7fff, v9
	s_delay_alu instid0(VALU_DEP_1) | instskip(SKIP_1) | instid1(VALU_DEP_2)
	v_cndmask_b32_e64 v7, 0xffff8000, v9, s2
	v_cmp_lt_i16_e64 s2, -1, v9
	v_and_b32_e32 v7, 0xffff, v7
	s_delay_alu instid0(VALU_DEP_2) | instskip(NEXT) | instid1(VALU_DEP_2)
	v_cndmask_b32_e64 v12, 0xffff8000, -1, s2
	v_lshrrev_b32_e32 v7, s20, v7
	s_delay_alu instid0(VALU_DEP_1) | instskip(NEXT) | instid1(VALU_DEP_1)
	v_and_b32_e32 v7, s25, v7
	v_lshlrev_b32_e32 v7, 3, v7
	ds_load_b64 v[10:11], v7
	v_mov_b32_e32 v7, 0
	s_wait_dscnt 0x0
	v_lshl_add_u64 v[10:11], v[10:11], 1, s[18:19]
	s_delay_alu instid0(VALU_DEP_1)
	v_add_nc_u64_e32 v[10:11], v[10:11], v[6:7]
	v_xor_b32_e32 v7, v12, v9
	global_store_b16 v[10:11], v7, off offset:2048
.LBB2268_75:
	s_wait_xcnt 0x0
	s_or_b32 exec_lo, exec_lo, s3
	v_add_nc_u32_e32 v7, 0x600, v1
	s_mov_b32 s3, exec_lo
	s_delay_alu instid0(VALU_DEP_1)
	v_cmpx_gt_u32_e64 s22, v7
	s_cbranch_execz .LBB2268_77
; %bb.76:
	ds_load_u16 v9, v8 offset:5120
	s_wait_dscnt 0x0
	v_cmp_ne_u16_e64 s2, 0x7fff, v9
	s_delay_alu instid0(VALU_DEP_1) | instskip(SKIP_1) | instid1(VALU_DEP_2)
	v_cndmask_b32_e64 v7, 0xffff8000, v9, s2
	v_cmp_lt_i16_e64 s2, -1, v9
	v_and_b32_e32 v7, 0xffff, v7
	s_delay_alu instid0(VALU_DEP_2) | instskip(NEXT) | instid1(VALU_DEP_2)
	v_cndmask_b32_e64 v12, 0xffff8000, -1, s2
	v_lshrrev_b32_e32 v7, s20, v7
	s_delay_alu instid0(VALU_DEP_1) | instskip(NEXT) | instid1(VALU_DEP_1)
	v_and_b32_e32 v7, s25, v7
	v_lshlrev_b32_e32 v7, 3, v7
	ds_load_b64 v[10:11], v7
	v_mov_b32_e32 v7, 0
	s_wait_dscnt 0x0
	v_lshl_add_u64 v[10:11], v[10:11], 1, s[18:19]
	s_delay_alu instid0(VALU_DEP_1)
	v_add_nc_u64_e32 v[10:11], v[10:11], v[6:7]
	v_xor_b32_e32 v7, v12, v9
	global_store_b16 v[10:11], v7, off offset:3072
.LBB2268_77:
	s_wait_xcnt 0x0
	s_or_b32 exec_lo, exec_lo, s3
	v_or_b32_e32 v7, 0x800, v1
	s_mov_b32 s3, exec_lo
	s_delay_alu instid0(VALU_DEP_1)
	v_cmpx_gt_u32_e64 s22, v7
	s_cbranch_execz .LBB2268_79
; %bb.78:
	ds_load_u16 v9, v8 offset:6144
	s_wait_dscnt 0x0
	v_cmp_ne_u16_e64 s2, 0x7fff, v9
	s_delay_alu instid0(VALU_DEP_1) | instskip(SKIP_1) | instid1(VALU_DEP_2)
	v_cndmask_b32_e64 v7, 0xffff8000, v9, s2
	v_cmp_lt_i16_e64 s2, -1, v9
	v_and_b32_e32 v7, 0xffff, v7
	s_delay_alu instid0(VALU_DEP_2) | instskip(NEXT) | instid1(VALU_DEP_2)
	v_cndmask_b32_e64 v12, 0xffff8000, -1, s2
	v_lshrrev_b32_e32 v7, s20, v7
	s_delay_alu instid0(VALU_DEP_1) | instskip(NEXT) | instid1(VALU_DEP_1)
	v_and_b32_e32 v7, s25, v7
	v_lshlrev_b32_e32 v7, 3, v7
	ds_load_b64 v[10:11], v7
	v_mov_b32_e32 v7, 0
	s_wait_dscnt 0x0
	v_lshl_add_u64 v[10:11], v[10:11], 1, s[18:19]
	s_delay_alu instid0(VALU_DEP_1)
	v_add_nc_u64_e32 v[10:11], v[10:11], v[6:7]
	v_xor_b32_e32 v7, v12, v9
	global_store_b16 v[10:11], v7, off offset:4096
.LBB2268_79:
	;; [unrolled: 60-line block ×5, first 2 shown]
	s_wait_xcnt 0x0
	s_or_b32 exec_lo, exec_lo, s3
	v_add_nc_u32_e32 v7, 0x1600, v1
	s_mov_b32 s3, exec_lo
	s_delay_alu instid0(VALU_DEP_1)
	v_cmpx_gt_u32_e64 s22, v7
	s_cbranch_execz .LBB2268_93
; %bb.92:
	ds_load_u16 v10, v6 offset:13312
	s_wait_dscnt 0x0
	v_cmp_ne_u16_e64 s2, 0x7fff, v10
	s_delay_alu instid0(VALU_DEP_1) | instskip(SKIP_1) | instid1(VALU_DEP_2)
	v_cndmask_b32_e64 v7, 0xffff8000, v10, s2
	v_cmp_lt_i16_e64 s2, -1, v10
	v_and_b32_e32 v7, 0xffff, v7
	s_delay_alu instid0(VALU_DEP_2) | instskip(NEXT) | instid1(VALU_DEP_2)
	v_cndmask_b32_e64 v11, 0xffff8000, -1, s2
	v_lshrrev_b32_e32 v7, s20, v7
	s_delay_alu instid0(VALU_DEP_1) | instskip(NEXT) | instid1(VALU_DEP_1)
	v_and_b32_e32 v7, s25, v7
	v_lshlrev_b32_e32 v7, 3, v7
	ds_load_b64 v[8:9], v7
	v_mov_b32_e32 v7, 0
	s_wait_dscnt 0x0
	v_lshl_add_u64 v[8:9], v[8:9], 1, s[18:19]
	s_delay_alu instid0(VALU_DEP_1)
	v_add_nc_u64_e32 v[6:7], v[8:9], v[6:7]
	v_xor_b32_e32 v8, v11, v10
	global_store_b16 v[6:7], v8, off offset:11264
.LBB2268_93:
	s_wait_xcnt 0x0
	s_or_b32 exec_lo, exec_lo, s3
	s_add_co_i32 s23, s23, -1
	s_delay_alu instid0(SALU_CYCLE_1) | instskip(SKIP_2) | instid1(SALU_CYCLE_1)
	s_cmp_eq_u32 s9, s23
	s_cselect_b32 s2, -1, 0
	s_xor_b32 s3, vcc_lo, -1
	s_and_b32 s3, s3, s2
	s_delay_alu instid0(SALU_CYCLE_1)
	s_and_saveexec_b32 s2, s3
	s_cbranch_execz .LBB2268_95
; %bb.94:
	ds_load_b64 v[6:7], v5
	v_mov_b32_e32 v5, 0
	s_delay_alu instid0(VALU_DEP_1) | instskip(SKIP_1) | instid1(VALU_DEP_1)
	v_add_nc_u64_e32 v[2:3], v[2:3], v[4:5]
	s_wait_dscnt 0x0
	v_add_nc_u64_e32 v[2:3], v[2:3], v[6:7]
	global_store_b64 v1, v[2:3], s[14:15] scale_offset
.LBB2268_95:
	s_wait_xcnt 0x0
	s_or_b32 exec_lo, exec_lo, s2
	s_mov_b32 s2, 0
.LBB2268_96:
	s_delay_alu instid0(SALU_CYCLE_1)
	s_and_b32 vcc_lo, exec_lo, s2
	s_cbranch_vccz .LBB2268_143
; %bb.97:
	s_mov_b32 s25, 0
	v_dual_mov_b32 v9, 0 :: v_dual_lshlrev_b32 v8, 1, v14
	s_lshl_b64 s[2:3], s[24:25], 1
	v_mul_u32_u24_e32 v1, 12, v15
	s_add_nc_u64 s[2:3], s[16:17], s[2:3]
	v_bfe_u32 v17, v0, 20, 10
	v_add_nc_u64_e32 v[2:3], s[2:3], v[8:9]
	s_delay_alu instid0(VALU_DEP_3) | instskip(NEXT) | instid1(VALU_DEP_1)
	v_lshlrev_b32_e32 v8, 1, v1
	v_add_nc_u64_e32 v[12:13], v[2:3], v[8:9]
	s_clause 0xb
	global_load_u16 v8, v[12:13], off
	global_load_u16 v10, v[12:13], off offset:64
	global_load_u16 v16, v[12:13], off offset:128
	global_load_u16 v20, v[12:13], off offset:192
	global_load_u16 v24, v[12:13], off offset:256
	global_load_u16 v7, v[12:13], off offset:320
	global_load_u16 v6, v[12:13], off offset:384
	global_load_u16 v5, v[12:13], off offset:448
	global_load_u16 v4, v[12:13], off offset:512
	global_load_u16 v3, v[12:13], off offset:576
	global_load_u16 v2, v[12:13], off offset:640
	global_load_u16 v1, v[12:13], off offset:704
	s_clause 0x1
	s_load_b32 s7, s[0:1], 0x58
	s_load_u16 s2, s[0:1], 0x66
	v_bfe_u32 v13, v0, 10, 10
	v_and_b32_e32 v12, 0x3ff, v0
	s_wait_kmcnt 0x0
	s_cmp_lt_u32 s9, s7
	s_delay_alu instid0(VALU_DEP_2)
	v_mad_u32_u24 v0, v17, s2, v13
	s_cselect_b32 s24, 12, 18
	s_lshl_b32 s8, -1, s21
	s_add_nc_u64 s[0:1], s[26:27], s[24:25]
	s_load_u16 s16, s[0:1], 0x0
	s_wait_kmcnt 0x0
	v_mad_u32 v0, v0, s16, v12
	s_delay_alu instid0(VALU_DEP_1) | instskip(NEXT) | instid1(VALU_DEP_1)
	v_lshrrev_b32_e32 v0, 5, v0
	v_lshlrev_b32_e32 v0, 2, v0
	s_wait_loadcnt 0xb
	v_cmp_lt_i16_e32 vcc_lo, -1, v8
	v_cndmask_b32_e64 v11, -1, 0xffff8000, vcc_lo
	s_delay_alu instid0(VALU_DEP_1) | instskip(NEXT) | instid1(VALU_DEP_1)
	v_xor_b32_e32 v8, v11, v8
	v_cmp_ne_u16_e32 vcc_lo, 0x7fff, v8
	v_cndmask_b32_e32 v11, 0xffff8000, v8, vcc_lo
	s_delay_alu instid0(VALU_DEP_1) | instskip(NEXT) | instid1(VALU_DEP_1)
	v_and_b32_e32 v11, 0xffff, v11
	v_lshrrev_b32_e32 v11, s20, v11
	s_delay_alu instid0(VALU_DEP_1) | instskip(SKIP_2) | instid1(VALU_DEP_2)
	v_bitop3_b32 v13, v11, 1, s8 bitop3:0x40
	v_bitop3_b32 v18, v11, s8, v11 bitop3:0x30
	s_not_b32 s8, s8
	v_add_co_u32 v11, s0, v13, -1
	s_delay_alu instid0(VALU_DEP_1) | instskip(NEXT) | instid1(VALU_DEP_3)
	v_cndmask_b32_e64 v13, 0, 1, s0
	v_dual_lshlrev_b32 v17, 30, v18 :: v_dual_lshlrev_b32 v19, 29, v18
	v_dual_lshlrev_b32 v21, 28, v18 :: v_dual_lshlrev_b32 v22, 27, v18
	s_delay_alu instid0(VALU_DEP_3) | instskip(NEXT) | instid1(VALU_DEP_3)
	v_cmp_ne_u32_e32 vcc_lo, 0, v13
	v_not_b32_e32 v13, v17
	v_dual_lshlrev_b32 v23, 26, v18 :: v_dual_lshlrev_b32 v25, 25, v18
	v_lshlrev_b32_e32 v26, 24, v18
	v_cmp_gt_i32_e64 s0, 0, v17
	v_cmp_gt_i32_e64 s1, 0, v19
	v_not_b32_e32 v17, v19
	v_not_b32_e32 v19, v21
	v_ashrrev_i32_e32 v13, 31, v13
	v_cmp_gt_i32_e64 s2, 0, v21
	v_cmp_gt_i32_e64 s3, 0, v22
	v_not_b32_e32 v21, v22
	v_not_b32_e32 v22, v23
	v_dual_ashrrev_i32 v17, 31, v17 :: v_dual_bitop2_b32 v11, vcc_lo, v11 bitop3:0x14
	v_dual_ashrrev_i32 v19, 31, v19 :: v_dual_bitop2_b32 v13, s0, v13 bitop3:0x14
	v_cmp_gt_i32_e64 s4, 0, v23
	v_cmp_gt_i32_e64 s5, 0, v25
	v_not_b32_e32 v23, v25
	v_not_b32_e32 v25, v26
	v_dual_ashrrev_i32 v21, 31, v21 :: v_dual_ashrrev_i32 v22, 31, v22
	v_xor_b32_e32 v17, s1, v17
	v_xor_b32_e32 v19, s2, v19
	v_bitop3_b32 v11, v11, v13, exec_lo bitop3:0x80
	v_cmp_gt_i32_e64 s6, 0, v26
	v_dual_ashrrev_i32 v13, 31, v23 :: v_dual_ashrrev_i32 v23, 31, v25
	v_xor_b32_e32 v21, s3, v21
	v_xor_b32_e32 v22, s4, v22
	v_bitop3_b32 v11, v11, v19, v17 bitop3:0x80
	s_delay_alu instid0(VALU_DEP_4) | instskip(SKIP_1) | instid1(VALU_DEP_3)
	v_xor_b32_e32 v13, s5, v13
	v_xor_b32_e32 v17, s6, v23
	v_bitop3_b32 v19, v11, v22, v21 bitop3:0x80
	v_mul_u32_u24_e32 v11, 36, v12
	ds_store_2addr_b32 v11, v9, v9 offset0:16 offset1:17
	ds_store_2addr_b32 v11, v9, v9 offset0:18 offset1:19
	;; [unrolled: 1-line block ×4, first 2 shown]
	v_bitop3_b32 v17, v19, v17, v13 bitop3:0x80
	ds_store_b32 v11, v9 offset:96
	v_mad_u32_u24 v13, 0x44, v18, v0
	s_wait_storecnt 0x0
	s_wait_loadcnt_dscnt 0x0
	s_barrier_signal -1
	v_mbcnt_lo_u32_b32 v9, v17, 0
	v_cmp_ne_u32_e64 s0, 0, v17
	s_barrier_wait -1
	s_delay_alu instid0(VALU_DEP_2) | instskip(SKIP_1) | instid1(SALU_CYCLE_1)
	v_cmp_eq_u32_e32 vcc_lo, 0, v9
	; wave barrier
	s_and_b32 s1, s0, vcc_lo
	s_and_saveexec_b32 s0, s1
; %bb.98:
	v_bcnt_u32_b32 v17, v17, 0
	ds_store_b32 v13, v17 offset:64
; %bb.99:
	s_or_b32 exec_lo, exec_lo, s0
	v_cmp_lt_i16_e32 vcc_lo, -1, v10
	; wave barrier
	v_cndmask_b32_e64 v17, -1, 0xffff8000, vcc_lo
	s_delay_alu instid0(VALU_DEP_1) | instskip(NEXT) | instid1(VALU_DEP_1)
	v_xor_b32_e32 v10, v17, v10
	v_cmp_ne_u16_e32 vcc_lo, 0x7fff, v10
	v_cndmask_b32_e32 v17, 0xffff8000, v10, vcc_lo
	s_delay_alu instid0(VALU_DEP_1) | instskip(NEXT) | instid1(VALU_DEP_1)
	v_and_b32_e32 v17, 0xffff, v17
	v_lshrrev_b32_e32 v17, s20, v17
	s_delay_alu instid0(VALU_DEP_1) | instskip(SKIP_1) | instid1(VALU_DEP_2)
	v_bitop3_b32 v18, v17, 1, s8 bitop3:0x80
	v_and_b32_e32 v17, s8, v17
	v_add_co_u32 v18, s0, v18, -1
	s_delay_alu instid0(VALU_DEP_1) | instskip(NEXT) | instid1(VALU_DEP_3)
	v_cndmask_b32_e64 v19, 0, 1, s0
	v_lshlrev_b32_e32 v21, 30, v17
	s_delay_alu instid0(VALU_DEP_2) | instskip(NEXT) | instid1(VALU_DEP_2)
	v_cmp_ne_u32_e32 vcc_lo, 0, v19
	v_not_b32_e32 v19, v21
	s_delay_alu instid0(VALU_DEP_1) | instskip(SKIP_4) | instid1(VALU_DEP_4)
	v_dual_ashrrev_i32 v19, 31, v19 :: v_dual_bitop2_b32 v18, vcc_lo, v18 bitop3:0x14
	v_dual_lshlrev_b32 v22, 29, v17 :: v_dual_lshlrev_b32 v23, 28, v17
	v_dual_lshlrev_b32 v25, 27, v17 :: v_dual_lshlrev_b32 v26, 26, v17
	v_lshlrev_b32_e32 v27, 25, v17
	v_cmp_gt_i32_e64 s0, 0, v21
	v_cmp_gt_i32_e64 s1, 0, v22
	v_not_b32_e32 v21, v22
	v_not_b32_e32 v22, v23
	v_lshlrev_b32_e32 v28, 24, v17
	v_cmp_gt_i32_e64 s2, 0, v23
	v_cmp_gt_i32_e64 s3, 0, v25
	v_not_b32_e32 v23, v25
	v_not_b32_e32 v25, v26
	v_dual_ashrrev_i32 v21, 31, v21 :: v_dual_ashrrev_i32 v22, 31, v22
	v_xor_b32_e32 v19, s0, v19
	v_cmp_gt_i32_e64 s4, 0, v26
	v_cmp_gt_i32_e64 s5, 0, v27
	v_not_b32_e32 v26, v27
	v_not_b32_e32 v27, v28
	v_dual_ashrrev_i32 v23, 31, v23 :: v_dual_bitop2_b32 v21, s1, v21 bitop3:0x14
	v_dual_ashrrev_i32 v25, 31, v25 :: v_dual_bitop2_b32 v22, s2, v22 bitop3:0x14
	s_delay_alu instid0(VALU_DEP_3) | instskip(SKIP_4) | instid1(VALU_DEP_4)
	v_ashrrev_i32_e32 v27, 31, v27
	v_bitop3_b32 v18, v18, v19, exec_lo bitop3:0x80
	v_cmp_gt_i32_e64 s6, 0, v28
	v_dual_ashrrev_i32 v26, 31, v26 :: v_dual_bitop2_b32 v23, s3, v23 bitop3:0x14
	v_xor_b32_e32 v25, s4, v25
	v_bitop3_b32 v18, v18, v22, v21 bitop3:0x80
	v_mad_u32_u24 v19, 0x44, v17, v0
	s_delay_alu instid0(VALU_DEP_4) | instskip(SKIP_1) | instid1(VALU_DEP_4)
	v_xor_b32_e32 v21, s5, v26
	v_xor_b32_e32 v22, s6, v27
	v_bitop3_b32 v18, v18, v25, v23 bitop3:0x80
	ds_load_b32 v17, v19 offset:64
	; wave barrier
	v_bitop3_b32 v21, v18, v22, v21 bitop3:0x80
	s_delay_alu instid0(VALU_DEP_1) | instskip(SKIP_1) | instid1(VALU_DEP_2)
	v_mbcnt_lo_u32_b32 v18, v21, 0
	v_cmp_ne_u32_e64 s0, 0, v21
	v_cmp_eq_u32_e32 vcc_lo, 0, v18
	s_and_b32 s1, s0, vcc_lo
	s_delay_alu instid0(SALU_CYCLE_1)
	s_and_saveexec_b32 s0, s1
	s_cbranch_execz .LBB2268_101
; %bb.100:
	s_wait_dscnt 0x0
	v_bcnt_u32_b32 v21, v21, v17
	ds_store_b32 v19, v21 offset:64
.LBB2268_101:
	s_or_b32 exec_lo, exec_lo, s0
	v_cmp_lt_i16_e32 vcc_lo, -1, v16
	; wave barrier
	v_cndmask_b32_e64 v21, -1, 0xffff8000, vcc_lo
	s_delay_alu instid0(VALU_DEP_1) | instskip(NEXT) | instid1(VALU_DEP_1)
	v_xor_b32_e32 v16, v21, v16
	v_cmp_ne_u16_e32 vcc_lo, 0x7fff, v16
	v_cndmask_b32_e32 v21, 0xffff8000, v16, vcc_lo
	s_delay_alu instid0(VALU_DEP_1) | instskip(NEXT) | instid1(VALU_DEP_1)
	v_and_b32_e32 v21, 0xffff, v21
	v_lshrrev_b32_e32 v21, s20, v21
	s_delay_alu instid0(VALU_DEP_1) | instskip(SKIP_1) | instid1(VALU_DEP_2)
	v_bitop3_b32 v22, v21, 1, s8 bitop3:0x80
	v_and_b32_e32 v21, s8, v21
	v_add_co_u32 v22, s0, v22, -1
	s_delay_alu instid0(VALU_DEP_1) | instskip(NEXT) | instid1(VALU_DEP_3)
	v_cndmask_b32_e64 v23, 0, 1, s0
	v_lshlrev_b32_e32 v25, 30, v21
	s_delay_alu instid0(VALU_DEP_2) | instskip(NEXT) | instid1(VALU_DEP_2)
	v_cmp_ne_u32_e32 vcc_lo, 0, v23
	v_not_b32_e32 v23, v25
	s_delay_alu instid0(VALU_DEP_1) | instskip(SKIP_4) | instid1(VALU_DEP_4)
	v_dual_ashrrev_i32 v23, 31, v23 :: v_dual_bitop2_b32 v22, vcc_lo, v22 bitop3:0x14
	v_dual_lshlrev_b32 v26, 29, v21 :: v_dual_lshlrev_b32 v27, 28, v21
	v_dual_lshlrev_b32 v28, 27, v21 :: v_dual_lshlrev_b32 v29, 26, v21
	v_lshlrev_b32_e32 v30, 25, v21
	v_cmp_gt_i32_e64 s0, 0, v25
	v_cmp_gt_i32_e64 s1, 0, v26
	v_not_b32_e32 v25, v26
	v_not_b32_e32 v26, v27
	v_lshlrev_b32_e32 v31, 24, v21
	v_cmp_gt_i32_e64 s2, 0, v27
	v_cmp_gt_i32_e64 s3, 0, v28
	v_not_b32_e32 v27, v28
	v_not_b32_e32 v28, v29
	v_dual_ashrrev_i32 v25, 31, v25 :: v_dual_bitop2_b32 v23, s0, v23 bitop3:0x14
	v_ashrrev_i32_e32 v26, 31, v26
	v_cmp_gt_i32_e64 s4, 0, v29
	v_cmp_gt_i32_e64 s5, 0, v30
	v_not_b32_e32 v29, v30
	v_not_b32_e32 v30, v31
	v_dual_ashrrev_i32 v27, 31, v27 :: v_dual_ashrrev_i32 v28, 31, v28
	v_xor_b32_e32 v25, s1, v25
	s_delay_alu instid0(VALU_DEP_4) | instskip(SKIP_4) | instid1(VALU_DEP_4)
	v_dual_ashrrev_i32 v29, 31, v29 :: v_dual_bitop2_b32 v26, s2, v26 bitop3:0x14
	v_bitop3_b32 v22, v22, v23, exec_lo bitop3:0x80
	v_cmp_gt_i32_e64 s6, 0, v31
	v_dual_ashrrev_i32 v30, 31, v30 :: v_dual_bitop2_b32 v27, s3, v27 bitop3:0x14
	v_xor_b32_e32 v28, s4, v28
	v_bitop3_b32 v22, v22, v26, v25 bitop3:0x80
	v_mad_u32_u24 v23, 0x44, v21, v0
	v_xor_b32_e32 v25, s5, v29
	v_xor_b32_e32 v26, s6, v30
	s_delay_alu instid0(VALU_DEP_4) | instskip(SKIP_2) | instid1(VALU_DEP_1)
	v_bitop3_b32 v22, v22, v28, v27 bitop3:0x80
	ds_load_b32 v21, v23 offset:64
	; wave barrier
	v_bitop3_b32 v25, v22, v26, v25 bitop3:0x80
	v_mbcnt_lo_u32_b32 v22, v25, 0
	v_cmp_ne_u32_e64 s0, 0, v25
	s_delay_alu instid0(VALU_DEP_2) | instskip(SKIP_1) | instid1(SALU_CYCLE_1)
	v_cmp_eq_u32_e32 vcc_lo, 0, v22
	s_and_b32 s1, s0, vcc_lo
	s_and_saveexec_b32 s0, s1
	s_cbranch_execz .LBB2268_103
; %bb.102:
	s_wait_dscnt 0x0
	v_bcnt_u32_b32 v25, v25, v21
	ds_store_b32 v23, v25 offset:64
.LBB2268_103:
	s_or_b32 exec_lo, exec_lo, s0
	v_cmp_lt_i16_e32 vcc_lo, -1, v20
	; wave barrier
	v_cndmask_b32_e64 v25, -1, 0xffff8000, vcc_lo
	s_delay_alu instid0(VALU_DEP_1) | instskip(NEXT) | instid1(VALU_DEP_1)
	v_xor_b32_e32 v20, v25, v20
	v_cmp_ne_u16_e32 vcc_lo, 0x7fff, v20
	v_cndmask_b32_e32 v25, 0xffff8000, v20, vcc_lo
	s_delay_alu instid0(VALU_DEP_1) | instskip(NEXT) | instid1(VALU_DEP_1)
	v_and_b32_e32 v25, 0xffff, v25
	v_lshrrev_b32_e32 v25, s20, v25
	s_delay_alu instid0(VALU_DEP_1) | instskip(SKIP_1) | instid1(VALU_DEP_2)
	v_bitop3_b32 v26, v25, 1, s8 bitop3:0x80
	v_and_b32_e32 v25, s8, v25
	v_add_co_u32 v26, s0, v26, -1
	s_delay_alu instid0(VALU_DEP_1) | instskip(NEXT) | instid1(VALU_DEP_3)
	v_cndmask_b32_e64 v27, 0, 1, s0
	v_lshlrev_b32_e32 v28, 30, v25
	s_delay_alu instid0(VALU_DEP_2) | instskip(NEXT) | instid1(VALU_DEP_2)
	v_cmp_ne_u32_e32 vcc_lo, 0, v27
	v_not_b32_e32 v27, v28
	s_delay_alu instid0(VALU_DEP_1) | instskip(SKIP_4) | instid1(VALU_DEP_4)
	v_dual_ashrrev_i32 v27, 31, v27 :: v_dual_bitop2_b32 v26, vcc_lo, v26 bitop3:0x14
	v_dual_lshlrev_b32 v29, 29, v25 :: v_dual_lshlrev_b32 v30, 28, v25
	v_dual_lshlrev_b32 v31, 27, v25 :: v_dual_lshlrev_b32 v32, 26, v25
	v_lshlrev_b32_e32 v33, 25, v25
	v_cmp_gt_i32_e64 s0, 0, v28
	v_cmp_gt_i32_e64 s1, 0, v29
	v_not_b32_e32 v28, v29
	v_not_b32_e32 v29, v30
	v_lshlrev_b32_e32 v34, 24, v25
	v_cmp_gt_i32_e64 s2, 0, v30
	v_cmp_gt_i32_e64 s3, 0, v31
	v_not_b32_e32 v30, v31
	v_cmp_gt_i32_e64 s4, 0, v32
	v_not_b32_e32 v31, v32
	v_not_b32_e32 v32, v33
	v_dual_ashrrev_i32 v28, 31, v28 :: v_dual_ashrrev_i32 v29, 31, v29
	v_xor_b32_e32 v27, s0, v27
	v_cmp_gt_i32_e64 s5, 0, v33
	v_not_b32_e32 v33, v34
	v_dual_ashrrev_i32 v30, 31, v30 :: v_dual_ashrrev_i32 v31, 31, v31
	v_xor_b32_e32 v28, s1, v28
	v_dual_ashrrev_i32 v32, 31, v32 :: v_dual_bitop2_b32 v29, s2, v29 bitop3:0x14
	v_bitop3_b32 v26, v26, v27, exec_lo bitop3:0x80
	v_cmp_gt_i32_e64 s6, 0, v34
	v_dual_ashrrev_i32 v33, 31, v33 :: v_dual_bitop2_b32 v30, s3, v30 bitop3:0x14
	v_xor_b32_e32 v31, s4, v31
	s_delay_alu instid0(VALU_DEP_4) | instskip(SKIP_3) | instid1(VALU_DEP_4)
	v_bitop3_b32 v26, v26, v29, v28 bitop3:0x80
	v_mad_u32_u24 v27, 0x44, v25, v0
	v_xor_b32_e32 v28, s5, v32
	v_xor_b32_e32 v29, s6, v33
	v_bitop3_b32 v26, v26, v31, v30 bitop3:0x80
	ds_load_b32 v25, v27 offset:64
	; wave barrier
	v_bitop3_b32 v28, v26, v29, v28 bitop3:0x80
	s_delay_alu instid0(VALU_DEP_1) | instskip(SKIP_1) | instid1(VALU_DEP_2)
	v_mbcnt_lo_u32_b32 v26, v28, 0
	v_cmp_ne_u32_e64 s0, 0, v28
	v_cmp_eq_u32_e32 vcc_lo, 0, v26
	s_and_b32 s1, s0, vcc_lo
	s_delay_alu instid0(SALU_CYCLE_1)
	s_and_saveexec_b32 s0, s1
	s_cbranch_execz .LBB2268_105
; %bb.104:
	s_wait_dscnt 0x0
	v_bcnt_u32_b32 v28, v28, v25
	ds_store_b32 v27, v28 offset:64
.LBB2268_105:
	s_or_b32 exec_lo, exec_lo, s0
	v_cmp_lt_i16_e32 vcc_lo, -1, v24
	; wave barrier
	v_cndmask_b32_e64 v28, -1, 0xffff8000, vcc_lo
	s_delay_alu instid0(VALU_DEP_1) | instskip(NEXT) | instid1(VALU_DEP_1)
	v_xor_b32_e32 v24, v28, v24
	v_cmp_ne_u16_e32 vcc_lo, 0x7fff, v24
	v_cndmask_b32_e32 v28, 0xffff8000, v24, vcc_lo
	s_delay_alu instid0(VALU_DEP_1) | instskip(NEXT) | instid1(VALU_DEP_1)
	v_and_b32_e32 v28, 0xffff, v28
	v_lshrrev_b32_e32 v28, s20, v28
	s_delay_alu instid0(VALU_DEP_1) | instskip(NEXT) | instid1(VALU_DEP_1)
	v_bitop3_b32 v29, v28, 1, s8 bitop3:0x80
	v_add_co_u32 v29, s0, v29, -1
	s_delay_alu instid0(VALU_DEP_1) | instskip(NEXT) | instid1(VALU_DEP_1)
	v_cndmask_b32_e64 v30, 0, 1, s0
	v_cmp_ne_u32_e32 vcc_lo, 0, v30
	s_delay_alu instid0(VALU_DEP_3) | instskip(SKIP_1) | instid1(VALU_DEP_1)
	v_xor_b32_e32 v29, vcc_lo, v29
	v_and_b32_e32 v28, s8, v28
	v_dual_lshlrev_b32 v31, 30, v28 :: v_dual_lshlrev_b32 v32, 29, v28
	v_dual_lshlrev_b32 v33, 28, v28 :: v_dual_lshlrev_b32 v34, 27, v28
	s_delay_alu instid0(VALU_DEP_2) | instskip(SKIP_1) | instid1(VALU_DEP_4)
	v_cmp_gt_i32_e64 s0, 0, v31
	v_not_b32_e32 v30, v31
	v_cmp_gt_i32_e64 s1, 0, v32
	v_not_b32_e32 v31, v32
	;; [unrolled: 2-line block ×3, first 2 shown]
	v_not_b32_e32 v33, v34
	v_ashrrev_i32_e32 v30, 31, v30
	v_cmp_gt_i32_e64 s3, 0, v34
	s_delay_alu instid0(VALU_DEP_3) | instskip(SKIP_1) | instid1(VALU_DEP_4)
	v_dual_ashrrev_i32 v31, 31, v31 :: v_dual_ashrrev_i32 v33, 31, v33
	v_dual_lshlrev_b32 v35, 26, v28 :: v_dual_lshlrev_b32 v36, 25, v28
	v_dual_lshlrev_b32 v37, 24, v28 :: v_dual_bitop2_b32 v30, s0, v30 bitop3:0x14
	s_delay_alu instid0(VALU_DEP_3) | instskip(NEXT) | instid1(VALU_DEP_3)
	v_xor_b32_e32 v33, s3, v33
	v_not_b32_e32 v34, v35
	v_ashrrev_i32_e32 v32, 31, v32
	v_cmp_gt_i32_e64 s4, 0, v35
	v_cmp_gt_i32_e64 s5, 0, v36
	v_not_b32_e32 v35, v36
	v_not_b32_e32 v36, v37
	v_dual_ashrrev_i32 v34, 31, v34 :: v_dual_bitop2_b32 v31, s1, v31 bitop3:0x14
	v_xor_b32_e32 v32, s2, v32
	v_bitop3_b32 v29, v29, v30, exec_lo bitop3:0x80
	v_cmp_gt_i32_e64 s6, 0, v37
	v_dual_ashrrev_i32 v30, 31, v35 :: v_dual_ashrrev_i32 v35, 31, v36
	v_xor_b32_e32 v34, s4, v34
	s_delay_alu instid0(VALU_DEP_4) | instskip(SKIP_1) | instid1(VALU_DEP_4)
	v_bitop3_b32 v29, v29, v32, v31 bitop3:0x80
	v_mad_u32_u24 v31, 0x44, v28, v0
	v_xor_b32_e32 v30, s5, v30
	v_xor_b32_e32 v32, s6, v35
	s_delay_alu instid0(VALU_DEP_4) | instskip(SKIP_2) | instid1(VALU_DEP_1)
	v_bitop3_b32 v29, v29, v34, v33 bitop3:0x80
	ds_load_b32 v28, v31 offset:64
	; wave barrier
	v_bitop3_b32 v29, v29, v32, v30 bitop3:0x80
	v_mbcnt_lo_u32_b32 v30, v29, 0
	v_cmp_ne_u32_e64 s0, 0, v29
	s_delay_alu instid0(VALU_DEP_2) | instskip(SKIP_1) | instid1(SALU_CYCLE_1)
	v_cmp_eq_u32_e32 vcc_lo, 0, v30
	s_and_b32 s1, s0, vcc_lo
	s_and_saveexec_b32 s0, s1
	s_cbranch_execz .LBB2268_107
; %bb.106:
	s_wait_dscnt 0x0
	v_bcnt_u32_b32 v29, v29, v28
	ds_store_b32 v31, v29 offset:64
.LBB2268_107:
	s_or_b32 exec_lo, exec_lo, s0
	v_cmp_lt_i16_e32 vcc_lo, -1, v7
	; wave barrier
	v_cndmask_b32_e64 v29, -1, 0xffff8000, vcc_lo
	s_delay_alu instid0(VALU_DEP_1) | instskip(NEXT) | instid1(VALU_DEP_1)
	v_xor_b32_e32 v29, v29, v7
	v_cmp_ne_u16_e32 vcc_lo, 0x7fff, v29
	v_cndmask_b32_e32 v7, 0xffff8000, v29, vcc_lo
	s_delay_alu instid0(VALU_DEP_1) | instskip(NEXT) | instid1(VALU_DEP_1)
	v_and_b32_e32 v7, 0xffff, v7
	v_lshrrev_b32_e32 v7, s20, v7
	s_delay_alu instid0(VALU_DEP_1) | instskip(SKIP_1) | instid1(VALU_DEP_2)
	v_bitop3_b32 v32, v7, 1, s8 bitop3:0x80
	v_and_b32_e32 v7, s8, v7
	v_add_co_u32 v32, s0, v32, -1
	s_delay_alu instid0(VALU_DEP_1) | instskip(NEXT) | instid1(VALU_DEP_3)
	v_cndmask_b32_e64 v33, 0, 1, s0
	v_lshlrev_b32_e32 v34, 30, v7
	s_delay_alu instid0(VALU_DEP_2) | instskip(NEXT) | instid1(VALU_DEP_2)
	v_cmp_ne_u32_e32 vcc_lo, 0, v33
	v_not_b32_e32 v33, v34
	s_delay_alu instid0(VALU_DEP_1) | instskip(SKIP_4) | instid1(VALU_DEP_4)
	v_dual_ashrrev_i32 v33, 31, v33 :: v_dual_bitop2_b32 v32, vcc_lo, v32 bitop3:0x14
	v_dual_lshlrev_b32 v35, 29, v7 :: v_dual_lshlrev_b32 v36, 28, v7
	v_dual_lshlrev_b32 v37, 27, v7 :: v_dual_lshlrev_b32 v38, 26, v7
	v_lshlrev_b32_e32 v39, 25, v7
	v_cmp_gt_i32_e64 s0, 0, v34
	v_cmp_gt_i32_e64 s1, 0, v35
	v_not_b32_e32 v34, v35
	v_not_b32_e32 v35, v36
	v_lshlrev_b32_e32 v40, 24, v7
	v_cmp_gt_i32_e64 s2, 0, v36
	v_cmp_gt_i32_e64 s3, 0, v37
	v_not_b32_e32 v36, v37
	v_not_b32_e32 v37, v38
	v_dual_ashrrev_i32 v34, 31, v34 :: v_dual_ashrrev_i32 v35, 31, v35
	v_xor_b32_e32 v33, s0, v33
	v_cmp_gt_i32_e64 s4, 0, v38
	v_cmp_gt_i32_e64 s5, 0, v39
	v_not_b32_e32 v38, v39
	v_not_b32_e32 v39, v40
	v_dual_ashrrev_i32 v36, 31, v36 :: v_dual_ashrrev_i32 v37, 31, v37
	v_xor_b32_e32 v34, s1, v34
	v_xor_b32_e32 v35, s2, v35
	v_bitop3_b32 v32, v32, v33, exec_lo bitop3:0x80
	v_cmp_gt_i32_e64 s6, 0, v40
	v_dual_ashrrev_i32 v33, 31, v38 :: v_dual_ashrrev_i32 v38, 31, v39
	v_xor_b32_e32 v36, s3, v36
	v_xor_b32_e32 v37, s4, v37
	v_bitop3_b32 v32, v32, v35, v34 bitop3:0x80
	v_mad_u32_u24 v35, 0x44, v7, v0
	v_xor_b32_e32 v7, s5, v33
	v_xor_b32_e32 v33, s6, v38
	s_delay_alu instid0(VALU_DEP_4) | instskip(SKIP_2) | instid1(VALU_DEP_1)
	v_bitop3_b32 v34, v32, v37, v36 bitop3:0x80
	ds_load_b32 v32, v35 offset:64
	; wave barrier
	v_bitop3_b32 v7, v34, v33, v7 bitop3:0x80
	v_mbcnt_lo_u32_b32 v33, v7, 0
	v_cmp_ne_u32_e64 s0, 0, v7
	s_delay_alu instid0(VALU_DEP_2) | instskip(SKIP_1) | instid1(SALU_CYCLE_1)
	v_cmp_eq_u32_e32 vcc_lo, 0, v33
	s_and_b32 s1, s0, vcc_lo
	s_and_saveexec_b32 s0, s1
	s_cbranch_execz .LBB2268_109
; %bb.108:
	s_wait_dscnt 0x0
	v_bcnt_u32_b32 v7, v7, v32
	ds_store_b32 v35, v7 offset:64
.LBB2268_109:
	s_or_b32 exec_lo, exec_lo, s0
	v_cmp_lt_i16_e32 vcc_lo, -1, v6
	; wave barrier
	v_cndmask_b32_e64 v7, -1, 0xffff8000, vcc_lo
	s_delay_alu instid0(VALU_DEP_1) | instskip(NEXT) | instid1(VALU_DEP_1)
	v_xor_b32_e32 v34, v7, v6
	v_cmp_ne_u16_e32 vcc_lo, 0x7fff, v34
	v_cndmask_b32_e32 v6, 0xffff8000, v34, vcc_lo
	s_delay_alu instid0(VALU_DEP_1) | instskip(NEXT) | instid1(VALU_DEP_1)
	v_and_b32_e32 v6, 0xffff, v6
	v_lshrrev_b32_e32 v6, s20, v6
	s_delay_alu instid0(VALU_DEP_1) | instskip(SKIP_1) | instid1(VALU_DEP_2)
	v_bitop3_b32 v7, v6, 1, s8 bitop3:0x80
	v_and_b32_e32 v6, s8, v6
	v_add_co_u32 v7, s0, v7, -1
	s_delay_alu instid0(VALU_DEP_1) | instskip(NEXT) | instid1(VALU_DEP_3)
	v_cndmask_b32_e64 v36, 0, 1, s0
	v_lshlrev_b32_e32 v37, 30, v6
	s_delay_alu instid0(VALU_DEP_2) | instskip(NEXT) | instid1(VALU_DEP_2)
	v_cmp_ne_u32_e32 vcc_lo, 0, v36
	v_not_b32_e32 v36, v37
	s_delay_alu instid0(VALU_DEP_1) | instskip(SKIP_4) | instid1(VALU_DEP_4)
	v_dual_ashrrev_i32 v36, 31, v36 :: v_dual_bitop2_b32 v7, vcc_lo, v7 bitop3:0x14
	v_dual_lshlrev_b32 v38, 29, v6 :: v_dual_lshlrev_b32 v39, 28, v6
	v_dual_lshlrev_b32 v40, 27, v6 :: v_dual_lshlrev_b32 v41, 26, v6
	v_lshlrev_b32_e32 v42, 25, v6
	v_cmp_gt_i32_e64 s0, 0, v37
	v_cmp_gt_i32_e64 s1, 0, v38
	v_not_b32_e32 v37, v38
	v_not_b32_e32 v38, v39
	v_lshlrev_b32_e32 v43, 24, v6
	v_cmp_gt_i32_e64 s2, 0, v39
	v_cmp_gt_i32_e64 s3, 0, v40
	v_not_b32_e32 v39, v40
	v_not_b32_e32 v40, v41
	v_dual_ashrrev_i32 v37, 31, v37 :: v_dual_ashrrev_i32 v38, 31, v38
	v_xor_b32_e32 v36, s0, v36
	v_cmp_gt_i32_e64 s4, 0, v41
	v_cmp_gt_i32_e64 s5, 0, v42
	v_not_b32_e32 v41, v42
	v_not_b32_e32 v42, v43
	v_dual_ashrrev_i32 v39, 31, v39 :: v_dual_ashrrev_i32 v40, 31, v40
	v_xor_b32_e32 v37, s1, v37
	v_xor_b32_e32 v38, s2, v38
	v_bitop3_b32 v7, v7, v36, exec_lo bitop3:0x80
	v_cmp_gt_i32_e64 s6, 0, v43
	v_dual_ashrrev_i32 v36, 31, v41 :: v_dual_ashrrev_i32 v41, 31, v42
	v_xor_b32_e32 v42, s3, v39
	v_xor_b32_e32 v40, s4, v40
	v_bitop3_b32 v7, v7, v38, v37 bitop3:0x80
	v_mad_u32_u24 v39, 0x44, v6, v0
	v_xor_b32_e32 v6, s5, v36
	v_xor_b32_e32 v36, s6, v41
	s_delay_alu instid0(VALU_DEP_4) | instskip(SKIP_2) | instid1(VALU_DEP_1)
	v_bitop3_b32 v7, v7, v40, v42 bitop3:0x80
	ds_load_b32 v37, v39 offset:64
	; wave barrier
	v_bitop3_b32 v6, v7, v36, v6 bitop3:0x80
	v_mbcnt_lo_u32_b32 v38, v6, 0
	v_cmp_ne_u32_e64 s0, 0, v6
	s_delay_alu instid0(VALU_DEP_2) | instskip(SKIP_1) | instid1(SALU_CYCLE_1)
	v_cmp_eq_u32_e32 vcc_lo, 0, v38
	s_and_b32 s1, s0, vcc_lo
	s_and_saveexec_b32 s0, s1
	s_cbranch_execz .LBB2268_111
; %bb.110:
	s_wait_dscnt 0x0
	v_bcnt_u32_b32 v6, v6, v37
	ds_store_b32 v39, v6 offset:64
.LBB2268_111:
	s_or_b32 exec_lo, exec_lo, s0
	v_cmp_lt_i16_e32 vcc_lo, -1, v5
	; wave barrier
	v_cndmask_b32_e64 v6, -1, 0xffff8000, vcc_lo
	s_delay_alu instid0(VALU_DEP_1) | instskip(NEXT) | instid1(VALU_DEP_1)
	v_xor_b32_e32 v36, v6, v5
	v_cmp_ne_u16_e32 vcc_lo, 0x7fff, v36
	v_cndmask_b32_e32 v5, 0xffff8000, v36, vcc_lo
	s_delay_alu instid0(VALU_DEP_1) | instskip(NEXT) | instid1(VALU_DEP_1)
	v_and_b32_e32 v5, 0xffff, v5
	v_lshrrev_b32_e32 v5, s20, v5
	s_delay_alu instid0(VALU_DEP_1) | instskip(SKIP_1) | instid1(VALU_DEP_2)
	v_bitop3_b32 v6, v5, 1, s8 bitop3:0x80
	v_and_b32_e32 v5, s8, v5
	v_add_co_u32 v6, s0, v6, -1
	s_delay_alu instid0(VALU_DEP_1) | instskip(NEXT) | instid1(VALU_DEP_3)
	v_cndmask_b32_e64 v7, 0, 1, s0
	v_lshlrev_b32_e32 v40, 30, v5
	s_delay_alu instid0(VALU_DEP_2) | instskip(NEXT) | instid1(VALU_DEP_2)
	v_cmp_ne_u32_e32 vcc_lo, 0, v7
	v_not_b32_e32 v7, v40
	s_delay_alu instid0(VALU_DEP_1) | instskip(SKIP_4) | instid1(VALU_DEP_4)
	v_dual_ashrrev_i32 v7, 31, v7 :: v_dual_bitop2_b32 v6, vcc_lo, v6 bitop3:0x14
	v_dual_lshlrev_b32 v41, 29, v5 :: v_dual_lshlrev_b32 v42, 28, v5
	v_dual_lshlrev_b32 v43, 27, v5 :: v_dual_lshlrev_b32 v44, 26, v5
	;; [unrolled: 1-line block ×3, first 2 shown]
	v_cmp_gt_i32_e64 s0, 0, v40
	v_cmp_gt_i32_e64 s1, 0, v41
	v_not_b32_e32 v40, v41
	v_not_b32_e32 v41, v42
	v_cmp_gt_i32_e64 s2, 0, v42
	v_cmp_gt_i32_e64 s3, 0, v43
	v_not_b32_e32 v42, v43
	v_cmp_gt_i32_e64 s4, 0, v44
	v_not_b32_e32 v43, v44
	;; [unrolled: 2-line block ×3, first 2 shown]
	v_not_b32_e32 v45, v46
	v_dual_ashrrev_i32 v40, 31, v40 :: v_dual_ashrrev_i32 v41, 31, v41
	v_dual_ashrrev_i32 v42, 31, v42 :: v_dual_bitop2_b32 v7, s0, v7 bitop3:0x14
	s_delay_alu instid0(VALU_DEP_2) | instskip(NEXT) | instid1(VALU_DEP_3)
	v_dual_ashrrev_i32 v43, 31, v43 :: v_dual_bitop2_b32 v40, s1, v40 bitop3:0x14
	v_xor_b32_e32 v41, s2, v41
	s_delay_alu instid0(VALU_DEP_3)
	v_bitop3_b32 v6, v6, v7, exec_lo bitop3:0x80
	v_cmp_gt_i32_e64 s6, 0, v46
	v_dual_ashrrev_i32 v7, 31, v44 :: v_dual_ashrrev_i32 v44, 31, v45
	v_xor_b32_e32 v42, s3, v42
	v_xor_b32_e32 v45, s4, v43
	v_bitop3_b32 v6, v6, v41, v40 bitop3:0x80
	v_mad_u32_u24 v43, 0x44, v5, v0
	v_xor_b32_e32 v5, s5, v7
	v_xor_b32_e32 v7, s6, v44
	s_delay_alu instid0(VALU_DEP_4) | instskip(SKIP_2) | instid1(VALU_DEP_1)
	v_bitop3_b32 v6, v6, v45, v42 bitop3:0x80
	ds_load_b32 v41, v43 offset:64
	; wave barrier
	v_bitop3_b32 v5, v6, v7, v5 bitop3:0x80
	v_mbcnt_lo_u32_b32 v42, v5, 0
	v_cmp_ne_u32_e64 s0, 0, v5
	s_delay_alu instid0(VALU_DEP_2) | instskip(SKIP_1) | instid1(SALU_CYCLE_1)
	v_cmp_eq_u32_e32 vcc_lo, 0, v42
	s_and_b32 s1, s0, vcc_lo
	s_and_saveexec_b32 s0, s1
	s_cbranch_execz .LBB2268_113
; %bb.112:
	s_wait_dscnt 0x0
	v_bcnt_u32_b32 v5, v5, v41
	ds_store_b32 v43, v5 offset:64
.LBB2268_113:
	s_or_b32 exec_lo, exec_lo, s0
	v_cmp_lt_i16_e32 vcc_lo, -1, v4
	; wave barrier
	v_cndmask_b32_e64 v5, -1, 0xffff8000, vcc_lo
	s_delay_alu instid0(VALU_DEP_1) | instskip(NEXT) | instid1(VALU_DEP_1)
	v_xor_b32_e32 v40, v5, v4
	v_cmp_ne_u16_e32 vcc_lo, 0x7fff, v40
	v_cndmask_b32_e32 v4, 0xffff8000, v40, vcc_lo
	s_delay_alu instid0(VALU_DEP_1) | instskip(NEXT) | instid1(VALU_DEP_1)
	v_and_b32_e32 v4, 0xffff, v4
	v_lshrrev_b32_e32 v4, s20, v4
	s_delay_alu instid0(VALU_DEP_1) | instskip(SKIP_1) | instid1(VALU_DEP_2)
	v_bitop3_b32 v5, v4, 1, s8 bitop3:0x80
	v_and_b32_e32 v4, s8, v4
	v_add_co_u32 v5, s0, v5, -1
	s_delay_alu instid0(VALU_DEP_1) | instskip(NEXT) | instid1(VALU_DEP_3)
	v_cndmask_b32_e64 v6, 0, 1, s0
	v_lshlrev_b32_e32 v7, 30, v4
	s_delay_alu instid0(VALU_DEP_2) | instskip(NEXT) | instid1(VALU_DEP_2)
	v_cmp_ne_u32_e32 vcc_lo, 0, v6
	v_not_b32_e32 v6, v7
	s_delay_alu instid0(VALU_DEP_1) | instskip(SKIP_4) | instid1(VALU_DEP_4)
	v_dual_ashrrev_i32 v6, 31, v6 :: v_dual_bitop2_b32 v5, vcc_lo, v5 bitop3:0x14
	v_dual_lshlrev_b32 v44, 29, v4 :: v_dual_lshlrev_b32 v45, 28, v4
	v_dual_lshlrev_b32 v46, 27, v4 :: v_dual_lshlrev_b32 v47, 26, v4
	v_lshlrev_b32_e32 v48, 25, v4
	v_cmp_gt_i32_e64 s0, 0, v7
	v_cmp_gt_i32_e64 s1, 0, v44
	v_not_b32_e32 v7, v44
	v_not_b32_e32 v44, v45
	v_lshlrev_b32_e32 v49, 24, v4
	v_cmp_gt_i32_e64 s2, 0, v45
	v_cmp_gt_i32_e64 s3, 0, v46
	v_not_b32_e32 v45, v46
	v_not_b32_e32 v46, v47
	v_dual_ashrrev_i32 v7, 31, v7 :: v_dual_ashrrev_i32 v44, 31, v44
	v_xor_b32_e32 v6, s0, v6
	v_cmp_gt_i32_e64 s4, 0, v47
	v_cmp_gt_i32_e64 s5, 0, v48
	v_not_b32_e32 v47, v48
	v_not_b32_e32 v48, v49
	v_dual_ashrrev_i32 v45, 31, v45 :: v_dual_ashrrev_i32 v46, 31, v46
	v_xor_b32_e32 v7, s1, v7
	v_xor_b32_e32 v44, s2, v44
	v_bitop3_b32 v5, v5, v6, exec_lo bitop3:0x80
	v_cmp_gt_i32_e64 s6, 0, v49
	v_dual_ashrrev_i32 v6, 31, v47 :: v_dual_ashrrev_i32 v48, 31, v48
	v_xor_b32_e32 v45, s3, v45
	v_xor_b32_e32 v46, s4, v46
	v_bitop3_b32 v5, v5, v44, v7 bitop3:0x80
	v_mad_u32_u24 v47, 0x44, v4, v0
	v_xor_b32_e32 v4, s5, v6
	v_xor_b32_e32 v6, s6, v48
	s_delay_alu instid0(VALU_DEP_4) | instskip(SKIP_2) | instid1(VALU_DEP_1)
	v_bitop3_b32 v5, v5, v46, v45 bitop3:0x80
	ds_load_b32 v45, v47 offset:64
	; wave barrier
	v_bitop3_b32 v4, v5, v6, v4 bitop3:0x80
	v_mbcnt_lo_u32_b32 v46, v4, 0
	v_cmp_ne_u32_e64 s0, 0, v4
	s_delay_alu instid0(VALU_DEP_2) | instskip(SKIP_1) | instid1(SALU_CYCLE_1)
	v_cmp_eq_u32_e32 vcc_lo, 0, v46
	s_and_b32 s1, s0, vcc_lo
	s_and_saveexec_b32 s0, s1
	s_cbranch_execz .LBB2268_115
; %bb.114:
	s_wait_dscnt 0x0
	v_bcnt_u32_b32 v4, v4, v45
	ds_store_b32 v47, v4 offset:64
.LBB2268_115:
	s_or_b32 exec_lo, exec_lo, s0
	v_cmp_lt_i16_e32 vcc_lo, -1, v3
	; wave barrier
	v_cndmask_b32_e64 v4, -1, 0xffff8000, vcc_lo
	s_delay_alu instid0(VALU_DEP_1) | instskip(NEXT) | instid1(VALU_DEP_1)
	v_xor_b32_e32 v44, v4, v3
	v_cmp_ne_u16_e32 vcc_lo, 0x7fff, v44
	v_cndmask_b32_e32 v3, 0xffff8000, v44, vcc_lo
	s_delay_alu instid0(VALU_DEP_1) | instskip(NEXT) | instid1(VALU_DEP_1)
	v_and_b32_e32 v3, 0xffff, v3
	v_lshrrev_b32_e32 v3, s20, v3
	s_delay_alu instid0(VALU_DEP_1) | instskip(SKIP_1) | instid1(VALU_DEP_2)
	v_bitop3_b32 v4, v3, 1, s8 bitop3:0x80
	v_and_b32_e32 v3, s8, v3
	v_add_co_u32 v4, s0, v4, -1
	s_delay_alu instid0(VALU_DEP_1) | instskip(NEXT) | instid1(VALU_DEP_3)
	v_cndmask_b32_e64 v5, 0, 1, s0
	v_lshlrev_b32_e32 v6, 30, v3
	s_delay_alu instid0(VALU_DEP_2) | instskip(NEXT) | instid1(VALU_DEP_2)
	v_cmp_ne_u32_e32 vcc_lo, 0, v5
	v_not_b32_e32 v5, v6
	s_delay_alu instid0(VALU_DEP_1) | instskip(SKIP_4) | instid1(VALU_DEP_4)
	v_dual_ashrrev_i32 v5, 31, v5 :: v_dual_bitop2_b32 v4, vcc_lo, v4 bitop3:0x14
	v_dual_lshlrev_b32 v7, 29, v3 :: v_dual_lshlrev_b32 v48, 28, v3
	v_dual_lshlrev_b32 v49, 27, v3 :: v_dual_lshlrev_b32 v50, 26, v3
	v_lshlrev_b32_e32 v51, 25, v3
	v_cmp_gt_i32_e64 s0, 0, v6
	v_cmp_gt_i32_e64 s1, 0, v7
	v_not_b32_e32 v6, v7
	v_not_b32_e32 v7, v48
	v_lshlrev_b32_e32 v52, 24, v3
	v_cmp_gt_i32_e64 s2, 0, v48
	v_cmp_gt_i32_e64 s3, 0, v49
	v_not_b32_e32 v48, v49
	v_not_b32_e32 v49, v50
	v_dual_ashrrev_i32 v6, 31, v6 :: v_dual_ashrrev_i32 v7, 31, v7
	v_xor_b32_e32 v5, s0, v5
	v_cmp_gt_i32_e64 s4, 0, v50
	v_cmp_gt_i32_e64 s5, 0, v51
	v_not_b32_e32 v50, v51
	v_not_b32_e32 v51, v52
	v_dual_ashrrev_i32 v48, 31, v48 :: v_dual_ashrrev_i32 v49, 31, v49
	v_xor_b32_e32 v6, s1, v6
	v_xor_b32_e32 v7, s2, v7
	v_bitop3_b32 v4, v4, v5, exec_lo bitop3:0x80
	v_cmp_gt_i32_e64 s6, 0, v52
	v_dual_ashrrev_i32 v5, 31, v50 :: v_dual_ashrrev_i32 v50, 31, v51
	v_xor_b32_e32 v48, s3, v48
	v_xor_b32_e32 v49, s4, v49
	v_bitop3_b32 v4, v4, v7, v6 bitop3:0x80
	v_mad_u32_u24 v51, 0x44, v3, v0
	v_xor_b32_e32 v3, s5, v5
	v_xor_b32_e32 v5, s6, v50
	s_delay_alu instid0(VALU_DEP_4) | instskip(SKIP_2) | instid1(VALU_DEP_1)
	v_bitop3_b32 v4, v4, v49, v48 bitop3:0x80
	ds_load_b32 v48, v51 offset:64
	; wave barrier
	v_bitop3_b32 v3, v4, v5, v3 bitop3:0x80
	v_mbcnt_lo_u32_b32 v50, v3, 0
	v_cmp_ne_u32_e64 s0, 0, v3
	s_delay_alu instid0(VALU_DEP_2) | instskip(SKIP_1) | instid1(SALU_CYCLE_1)
	v_cmp_eq_u32_e32 vcc_lo, 0, v50
	s_and_b32 s1, s0, vcc_lo
	s_and_saveexec_b32 s0, s1
	s_cbranch_execz .LBB2268_117
; %bb.116:
	s_wait_dscnt 0x0
	v_bcnt_u32_b32 v3, v3, v48
	ds_store_b32 v51, v3 offset:64
.LBB2268_117:
	s_or_b32 exec_lo, exec_lo, s0
	v_cmp_lt_i16_e32 vcc_lo, -1, v2
	; wave barrier
	v_cndmask_b32_e64 v3, -1, 0xffff8000, vcc_lo
	s_delay_alu instid0(VALU_DEP_1) | instskip(NEXT) | instid1(VALU_DEP_1)
	v_xor_b32_e32 v49, v3, v2
	v_cmp_ne_u16_e32 vcc_lo, 0x7fff, v49
	v_cndmask_b32_e32 v2, 0xffff8000, v49, vcc_lo
	s_delay_alu instid0(VALU_DEP_1) | instskip(NEXT) | instid1(VALU_DEP_1)
	v_and_b32_e32 v2, 0xffff, v2
	v_lshrrev_b32_e32 v2, s20, v2
	s_delay_alu instid0(VALU_DEP_1) | instskip(SKIP_1) | instid1(VALU_DEP_2)
	v_bitop3_b32 v3, v2, 1, s8 bitop3:0x80
	v_and_b32_e32 v2, s8, v2
	v_add_co_u32 v3, s0, v3, -1
	s_delay_alu instid0(VALU_DEP_1) | instskip(NEXT) | instid1(VALU_DEP_3)
	v_cndmask_b32_e64 v4, 0, 1, s0
	v_lshlrev_b32_e32 v5, 30, v2
	s_delay_alu instid0(VALU_DEP_2) | instskip(NEXT) | instid1(VALU_DEP_2)
	v_cmp_ne_u32_e32 vcc_lo, 0, v4
	v_not_b32_e32 v4, v5
	s_delay_alu instid0(VALU_DEP_1) | instskip(SKIP_4) | instid1(VALU_DEP_4)
	v_dual_ashrrev_i32 v4, 31, v4 :: v_dual_bitop2_b32 v3, vcc_lo, v3 bitop3:0x14
	v_dual_lshlrev_b32 v6, 29, v2 :: v_dual_lshlrev_b32 v7, 28, v2
	v_dual_lshlrev_b32 v52, 27, v2 :: v_dual_lshlrev_b32 v53, 26, v2
	;; [unrolled: 1-line block ×3, first 2 shown]
	v_cmp_gt_i32_e64 s0, 0, v5
	v_cmp_gt_i32_e64 s1, 0, v6
	v_not_b32_e32 v5, v6
	v_not_b32_e32 v6, v7
	v_cmp_gt_i32_e64 s2, 0, v7
	v_cmp_gt_i32_e64 s3, 0, v52
	v_not_b32_e32 v7, v52
	v_cmp_gt_i32_e64 s4, 0, v53
	v_not_b32_e32 v52, v53
	;; [unrolled: 2-line block ×3, first 2 shown]
	v_not_b32_e32 v54, v55
	v_dual_ashrrev_i32 v5, 31, v5 :: v_dual_ashrrev_i32 v6, 31, v6
	v_dual_ashrrev_i32 v7, 31, v7 :: v_dual_bitop2_b32 v4, s0, v4 bitop3:0x14
	s_delay_alu instid0(VALU_DEP_2) | instskip(NEXT) | instid1(VALU_DEP_3)
	v_dual_ashrrev_i32 v52, 31, v52 :: v_dual_bitop2_b32 v5, s1, v5 bitop3:0x14
	v_xor_b32_e32 v6, s2, v6
	s_delay_alu instid0(VALU_DEP_3)
	v_bitop3_b32 v3, v3, v4, exec_lo bitop3:0x80
	v_cmp_gt_i32_e64 s6, 0, v55
	v_dual_ashrrev_i32 v4, 31, v53 :: v_dual_ashrrev_i32 v53, 31, v54
	v_xor_b32_e32 v7, s3, v7
	v_xor_b32_e32 v52, s4, v52
	v_bitop3_b32 v3, v3, v6, v5 bitop3:0x80
	v_mad_u32_u24 v56, 0x44, v2, v0
	v_xor_b32_e32 v2, s5, v4
	v_xor_b32_e32 v4, s6, v53
	s_delay_alu instid0(VALU_DEP_4) | instskip(SKIP_2) | instid1(VALU_DEP_1)
	v_bitop3_b32 v3, v3, v52, v7 bitop3:0x80
	ds_load_b32 v52, v56 offset:64
	; wave barrier
	v_bitop3_b32 v2, v3, v4, v2 bitop3:0x80
	v_mbcnt_lo_u32_b32 v53, v2, 0
	v_cmp_ne_u32_e64 s0, 0, v2
	s_delay_alu instid0(VALU_DEP_2) | instskip(SKIP_1) | instid1(SALU_CYCLE_1)
	v_cmp_eq_u32_e32 vcc_lo, 0, v53
	s_and_b32 s1, s0, vcc_lo
	s_and_saveexec_b32 s0, s1
	s_cbranch_execz .LBB2268_119
; %bb.118:
	s_wait_dscnt 0x0
	v_bcnt_u32_b32 v2, v2, v52
	ds_store_b32 v56, v2 offset:64
.LBB2268_119:
	s_or_b32 exec_lo, exec_lo, s0
	v_cmp_lt_i16_e32 vcc_lo, -1, v1
	; wave barrier
	v_cndmask_b32_e64 v2, -1, 0xffff8000, vcc_lo
	s_delay_alu instid0(VALU_DEP_1) | instskip(NEXT) | instid1(VALU_DEP_1)
	v_xor_b32_e32 v54, v2, v1
	v_cmp_ne_u16_e32 vcc_lo, 0x7fff, v54
	v_cndmask_b32_e32 v1, 0xffff8000, v54, vcc_lo
	s_delay_alu instid0(VALU_DEP_1) | instskip(NEXT) | instid1(VALU_DEP_1)
	v_and_b32_e32 v1, 0xffff, v1
	v_lshrrev_b32_e32 v1, s20, v1
	s_delay_alu instid0(VALU_DEP_1) | instskip(SKIP_1) | instid1(VALU_DEP_2)
	v_bitop3_b32 v2, v1, 1, s8 bitop3:0x80
	v_and_b32_e32 v1, s8, v1
	v_add_co_u32 v2, s0, v2, -1
	s_delay_alu instid0(VALU_DEP_1) | instskip(NEXT) | instid1(VALU_DEP_3)
	v_cndmask_b32_e64 v3, 0, 1, s0
	v_lshlrev_b32_e32 v4, 30, v1
	s_delay_alu instid0(VALU_DEP_2) | instskip(NEXT) | instid1(VALU_DEP_2)
	v_cmp_ne_u32_e32 vcc_lo, 0, v3
	v_not_b32_e32 v3, v4
	s_delay_alu instid0(VALU_DEP_1) | instskip(SKIP_4) | instid1(VALU_DEP_4)
	v_dual_ashrrev_i32 v3, 31, v3 :: v_dual_bitop2_b32 v2, vcc_lo, v2 bitop3:0x14
	v_dual_lshlrev_b32 v5, 29, v1 :: v_dual_lshlrev_b32 v6, 28, v1
	v_dual_lshlrev_b32 v7, 27, v1 :: v_dual_lshlrev_b32 v55, 26, v1
	v_lshlrev_b32_e32 v57, 25, v1
	v_cmp_gt_i32_e64 s0, 0, v4
	v_cmp_gt_i32_e64 s1, 0, v5
	v_not_b32_e32 v4, v5
	v_not_b32_e32 v5, v6
	v_lshlrev_b32_e32 v58, 24, v1
	v_cmp_gt_i32_e64 s2, 0, v6
	v_cmp_gt_i32_e64 s3, 0, v7
	v_not_b32_e32 v6, v7
	v_not_b32_e32 v7, v55
	v_dual_ashrrev_i32 v4, 31, v4 :: v_dual_ashrrev_i32 v5, 31, v5
	v_xor_b32_e32 v3, s0, v3
	v_cmp_gt_i32_e64 s4, 0, v55
	v_cmp_gt_i32_e64 s5, 0, v57
	v_not_b32_e32 v55, v57
	v_not_b32_e32 v57, v58
	v_dual_ashrrev_i32 v6, 31, v6 :: v_dual_ashrrev_i32 v7, 31, v7
	v_xor_b32_e32 v4, s1, v4
	v_xor_b32_e32 v5, s2, v5
	v_bitop3_b32 v2, v2, v3, exec_lo bitop3:0x80
	v_cmp_gt_i32_e64 s6, 0, v58
	v_dual_ashrrev_i32 v3, 31, v55 :: v_dual_ashrrev_i32 v55, 31, v57
	v_xor_b32_e32 v6, s3, v6
	v_xor_b32_e32 v7, s4, v7
	v_bitop3_b32 v2, v2, v5, v4 bitop3:0x80
	v_mad_u32_u24 v58, 0x44, v1, v0
	v_xor_b32_e32 v0, s5, v3
	v_xor_b32_e32 v1, s6, v55
	s_delay_alu instid0(VALU_DEP_4) | instskip(SKIP_2) | instid1(VALU_DEP_1)
	v_bitop3_b32 v2, v2, v7, v6 bitop3:0x80
	ds_load_b32 v55, v58 offset:64
	; wave barrier
	v_bitop3_b32 v0, v2, v1, v0 bitop3:0x80
	v_mbcnt_lo_u32_b32 v57, v0, 0
	v_cmp_ne_u32_e64 s0, 0, v0
	s_delay_alu instid0(VALU_DEP_2) | instskip(SKIP_1) | instid1(SALU_CYCLE_1)
	v_cmp_eq_u32_e32 vcc_lo, 0, v57
	s_and_b32 s1, s0, vcc_lo
	s_and_saveexec_b32 s0, s1
	s_cbranch_execz .LBB2268_121
; %bb.120:
	s_wait_dscnt 0x0
	v_bcnt_u32_b32 v0, v0, v55
	ds_store_b32 v58, v0 offset:64
.LBB2268_121:
	s_or_b32 exec_lo, exec_lo, s0
	; wave barrier
	s_wait_dscnt 0x0
	s_barrier_signal -1
	s_barrier_wait -1
	ds_load_2addr_b32 v[6:7], v11 offset0:16 offset1:17
	ds_load_2addr_b32 v[4:5], v11 offset0:18 offset1:19
	;; [unrolled: 1-line block ×4, first 2 shown]
	ds_load_b32 v59, v11 offset:96
	v_min_u32_e32 v15, 0x1e0, v15
	s_mov_b32 s4, exec_lo
	s_wait_dscnt 0x3
	v_add3_u32 v60, v7, v6, v4
	s_wait_dscnt 0x2
	s_delay_alu instid0(VALU_DEP_1) | instskip(SKIP_1) | instid1(VALU_DEP_1)
	v_add3_u32 v60, v60, v5, v2
	s_wait_dscnt 0x1
	v_add3_u32 v60, v60, v3, v0
	s_wait_dscnt 0x0
	s_delay_alu instid0(VALU_DEP_1) | instskip(SKIP_1) | instid1(VALU_DEP_2)
	v_add3_u32 v59, v60, v1, v59
	v_and_b32_e32 v60, 15, v14
	v_mov_b32_dpp v61, v59 row_shr:1 row_mask:0xf bank_mask:0xf
	s_delay_alu instid0(VALU_DEP_2) | instskip(NEXT) | instid1(VALU_DEP_2)
	v_cmp_eq_u32_e32 vcc_lo, 0, v60
	v_cndmask_b32_e64 v61, v61, 0, vcc_lo
	s_delay_alu instid0(VALU_DEP_1) | instskip(SKIP_3) | instid1(VALU_DEP_4)
	v_add_nc_u32_e32 v59, v61, v59
	v_cmp_lt_u32_e64 s0, 1, v60
	v_cmp_lt_u32_e64 s1, 3, v60
	;; [unrolled: 1-line block ×3, first 2 shown]
	v_mov_b32_dpp v61, v59 row_shr:2 row_mask:0xf bank_mask:0xf
	s_delay_alu instid0(VALU_DEP_1) | instskip(NEXT) | instid1(VALU_DEP_1)
	v_cndmask_b32_e64 v61, 0, v61, s0
	v_add_nc_u32_e32 v59, v59, v61
	s_delay_alu instid0(VALU_DEP_1) | instskip(NEXT) | instid1(VALU_DEP_1)
	v_mov_b32_dpp v61, v59 row_shr:4 row_mask:0xf bank_mask:0xf
	v_cndmask_b32_e64 v61, 0, v61, s1
	s_delay_alu instid0(VALU_DEP_1) | instskip(NEXT) | instid1(VALU_DEP_1)
	v_add_nc_u32_e32 v59, v59, v61
	v_mov_b32_dpp v61, v59 row_shr:8 row_mask:0xf bank_mask:0xf
	s_delay_alu instid0(VALU_DEP_1) | instskip(SKIP_1) | instid1(VALU_DEP_2)
	v_cndmask_b32_e64 v60, 0, v61, s2
	v_bfe_i32 v61, v14, 4, 1
	v_add_nc_u32_e32 v60, v59, v60
	ds_swizzle_b32 v59, v60 offset:swizzle(BROADCAST,32,15)
	s_wait_dscnt 0x0
	v_dual_lshrrev_b32 v59, 5, v12 :: v_dual_bitop2_b32 v61, v61, v59 bitop3:0x40
	s_delay_alu instid0(VALU_DEP_1) | instskip(NEXT) | instid1(VALU_DEP_1)
	v_dual_add_nc_u32 v15, v60, v61 :: v_dual_bitop2_b32 v62, 31, v15 bitop3:0x54
	v_cmpx_eq_u32_e64 v12, v62
; %bb.122:
	s_delay_alu instid0(VALU_DEP_3)
	v_lshlrev_b32_e32 v60, 2, v59
	ds_store_b32 v60, v15
; %bb.123:
	s_or_b32 exec_lo, exec_lo, s4
	s_delay_alu instid0(SALU_CYCLE_1)
	s_mov_b32 s4, exec_lo
	s_wait_dscnt 0x0
	s_barrier_signal -1
	s_barrier_wait -1
	v_cmpx_gt_u32_e32 16, v12
	s_cbranch_execz .LBB2268_125
; %bb.124:
	v_lshlrev_b32_e32 v60, 2, v12
	ds_load_b32 v61, v60
	s_wait_dscnt 0x0
	v_mov_b32_dpp v62, v61 row_shr:1 row_mask:0xf bank_mask:0xf
	s_delay_alu instid0(VALU_DEP_1) | instskip(NEXT) | instid1(VALU_DEP_1)
	v_cndmask_b32_e64 v62, v62, 0, vcc_lo
	v_add_nc_u32_e32 v61, v62, v61
	s_delay_alu instid0(VALU_DEP_1) | instskip(NEXT) | instid1(VALU_DEP_1)
	v_mov_b32_dpp v62, v61 row_shr:2 row_mask:0xf bank_mask:0xf
	v_cndmask_b32_e64 v62, 0, v62, s0
	s_delay_alu instid0(VALU_DEP_1) | instskip(NEXT) | instid1(VALU_DEP_1)
	v_add_nc_u32_e32 v61, v61, v62
	v_mov_b32_dpp v62, v61 row_shr:4 row_mask:0xf bank_mask:0xf
	s_delay_alu instid0(VALU_DEP_1) | instskip(NEXT) | instid1(VALU_DEP_1)
	v_cndmask_b32_e64 v62, 0, v62, s1
	v_add_nc_u32_e32 v61, v61, v62
	s_delay_alu instid0(VALU_DEP_1) | instskip(NEXT) | instid1(VALU_DEP_1)
	v_mov_b32_dpp v62, v61 row_shr:8 row_mask:0xf bank_mask:0xf
	v_cndmask_b32_e64 v62, 0, v62, s2
	s_delay_alu instid0(VALU_DEP_1)
	v_add_nc_u32_e32 v61, v61, v62
	ds_store_b32 v60, v61
.LBB2268_125:
	s_or_b32 exec_lo, exec_lo, s4
	v_mov_b32_e32 v60, 0
	s_mov_b32 s0, exec_lo
	s_wait_dscnt 0x0
	s_barrier_signal -1
	s_barrier_wait -1
	v_cmpx_lt_u32_e32 31, v12
; %bb.126:
	v_lshl_add_u32 v59, v59, 2, -4
	ds_load_b32 v60, v59
; %bb.127:
	s_or_b32 exec_lo, exec_lo, s0
	v_sub_co_u32 v59, vcc_lo, v14, 1
	s_wait_dscnt 0x0
	v_add_nc_u32_e32 v15, v60, v15
	s_delay_alu instid0(VALU_DEP_2) | instskip(NEXT) | instid1(VALU_DEP_1)
	v_cmp_gt_i32_e64 s0, 0, v59
	v_cndmask_b32_e64 v14, v59, v14, s0
	v_cmp_gt_u32_e64 s0, 0x100, v12
	s_delay_alu instid0(VALU_DEP_2) | instskip(SKIP_4) | instid1(VALU_DEP_2)
	v_lshlrev_b32_e32 v14, 2, v14
	ds_bpermute_b32 v14, v14, v15
	s_wait_dscnt 0x0
	v_cndmask_b32_e32 v14, v14, v60, vcc_lo
	v_cmp_ne_u32_e32 vcc_lo, 0, v12
	v_cndmask_b32_e32 v14, 0, v14, vcc_lo
	v_cmp_lt_u32_e32 vcc_lo, 0xff, v12
	s_delay_alu instid0(VALU_DEP_2) | instskip(NEXT) | instid1(VALU_DEP_1)
	v_add_nc_u32_e32 v6, v14, v6
	v_add_nc_u32_e32 v7, v6, v7
	s_delay_alu instid0(VALU_DEP_1) | instskip(NEXT) | instid1(VALU_DEP_1)
	v_add_nc_u32_e32 v4, v7, v4
	v_add_nc_u32_e32 v5, v4, v5
	s_delay_alu instid0(VALU_DEP_1) | instskip(NEXT) | instid1(VALU_DEP_1)
	v_add_nc_u32_e32 v2, v5, v2
	v_add_nc_u32_e32 v3, v2, v3
	s_delay_alu instid0(VALU_DEP_1) | instskip(NEXT) | instid1(VALU_DEP_1)
	v_add_nc_u32_e32 v0, v3, v0
	v_add_nc_u32_e32 v1, v0, v1
	ds_store_2addr_b32 v11, v14, v6 offset0:16 offset1:17
	ds_store_2addr_b32 v11, v7, v4 offset0:18 offset1:19
	ds_store_2addr_b32 v11, v5, v2 offset0:20 offset1:21
	ds_store_2addr_b32 v11, v3, v0 offset0:22 offset1:23
	ds_store_b32 v11, v1 offset:96
	s_wait_dscnt 0x0
	s_barrier_signal -1
	s_barrier_wait -1
	ds_load_b32 v59, v13 offset:64
	ds_load_b32 v60, v19 offset:64
	;; [unrolled: 1-line block ×12, first 2 shown]
	v_mov_b64_e32 v[0:1], 0
                                        ; implicit-def: $vgpr2
	s_and_saveexec_b32 s2, s0
	s_cbranch_execz .LBB2268_131
; %bb.128:
	v_mul_u32_u24_e32 v0, 0x44, v12
	v_dual_mov_b32 v1, 0x1800 :: v_dual_add_nc_u32 v2, 1, v12
	s_mov_b32 s3, exec_lo
	ds_load_b32 v0, v0 offset:64
	v_cmpx_ne_u32_e32 0x100, v2
; %bb.129:
	v_mul_u32_u24_e32 v1, 0x44, v2
	ds_load_b32 v1, v1 offset:64
; %bb.130:
	s_or_b32 exec_lo, exec_lo, s3
	s_wait_dscnt 0x0
	v_dual_mov_b32 v1, 0 :: v_dual_sub_nc_u32 v2, v1, v0
.LBB2268_131:
	s_or_b32 exec_lo, exec_lo, s2
	s_wait_dscnt 0xa
	v_dual_lshlrev_b32 v9, 1, v9 :: v_dual_lshlrev_b32 v23, 1, v60
	v_dual_lshlrev_b32 v18, 1, v18 :: v_dual_lshlrev_b32 v17, 1, v17
	v_lshlrev_b32_e32 v21, 1, v21
	s_delay_alu instid0(VALU_DEP_3)
	v_lshl_add_u32 v9, v59, 1, v9
	s_wait_dscnt 0x0
	s_barrier_signal -1
	v_add3_u32 v17, v23, v18, v17
	v_dual_lshlrev_b32 v18, 1, v19 :: v_dual_lshlrev_b32 v19, 1, v22
	s_barrier_wait -1
	ds_store_b16 v9, v8 offset:2048
	ds_store_b16 v17, v10 offset:2048
	v_lshlrev_b32_e32 v9, 1, v15
	v_add3_u32 v8, v18, v19, v21
	v_dual_lshlrev_b32 v10, 1, v26 :: v_dual_lshlrev_b32 v15, 1, v25
	v_dual_lshlrev_b32 v14, 1, v14 :: v_dual_lshlrev_b32 v18, 1, v28
	;; [unrolled: 1-line block ×6, first 2 shown]
	ds_store_b16 v8, v16 offset:2048
	v_add3_u32 v8, v9, v10, v15
	v_add3_u32 v9, v14, v17, v18
	;; [unrolled: 1-line block ×3, first 2 shown]
	v_dual_lshlrev_b32 v13, 1, v42 :: v_dual_lshlrev_b32 v14, 1, v41
	v_add3_u32 v11, v11, v22, v23
	ds_store_b16 v8, v20 offset:2048
	ds_store_b16 v9, v24 offset:2048
	;; [unrolled: 1-line block ×4, first 2 shown]
	v_dual_lshlrev_b32 v6, 1, v6 :: v_dual_lshlrev_b32 v9, 1, v45
	v_add3_u32 v7, v7, v13, v14
	v_dual_lshlrev_b32 v8, 1, v46 :: v_dual_lshlrev_b32 v5, 1, v5
	v_dual_lshlrev_b32 v10, 1, v50 :: v_dual_lshlrev_b32 v11, 1, v48
	;; [unrolled: 1-line block ×5, first 2 shown]
	ds_store_b16 v7, v36 offset:2048
	v_add3_u32 v6, v6, v8, v9
	v_add3_u32 v7, v5, v10, v11
	;; [unrolled: 1-line block ×3, first 2 shown]
	v_dual_mov_b32 v5, 0 :: v_dual_lshlrev_b32 v3, 3, v12
	v_add3_u32 v4, v4, v13, v14
	ds_store_b16 v6, v40 offset:2048
	ds_store_b16 v7, v44 offset:2048
	;; [unrolled: 1-line block ×4, first 2 shown]
	s_and_saveexec_b32 s1, s0
	s_cbranch_execz .LBB2268_141
; %bb.132:
	v_lshl_add_u32 v4, s9, 8, v12
	v_dual_mov_b32 v8, 0 :: v_dual_bitop2_b32 v9, 2.0, v2 bitop3:0x54
	s_mov_b32 s2, 0
	s_mov_b32 s3, s9
	s_delay_alu instid0(VALU_DEP_2)
	v_lshl_add_u64 v[6:7], v[4:5], 2, s[10:11]
	global_store_b32 v4, v9, s[10:11] scale_offset scope:SCOPE_DEV
                                        ; implicit-def: $sgpr0
	s_branch .LBB2268_135
.LBB2268_133:                           ;   in Loop: Header=BB2268_135 Depth=1
	s_or_b32 exec_lo, exec_lo, s5
.LBB2268_134:                           ;   in Loop: Header=BB2268_135 Depth=1
	s_delay_alu instid0(SALU_CYCLE_1) | instskip(SKIP_2) | instid1(VALU_DEP_2)
	s_or_b32 exec_lo, exec_lo, s4
	v_and_b32_e32 v4, 0x3fffffff, v9
	v_cmp_gt_i32_e64 s0, -2.0, v9
	v_add_nc_u32_e32 v8, v4, v8
	s_and_b32 s4, exec_lo, s0
	s_delay_alu instid0(SALU_CYCLE_1) | instskip(NEXT) | instid1(SALU_CYCLE_1)
	s_or_b32 s2, s4, s2
	s_and_not1_b32 exec_lo, exec_lo, s2
	s_cbranch_execz .LBB2268_140
.LBB2268_135:                           ; =>This Loop Header: Depth=1
                                        ;     Child Loop BB2268_138 Depth 2
	s_or_b32 s0, s0, exec_lo
	s_cmp_eq_u32 s3, 0
	s_cbranch_scc1 .LBB2268_139
; %bb.136:                              ;   in Loop: Header=BB2268_135 Depth=1
	s_add_co_i32 s3, s3, -1
	s_mov_b32 s4, exec_lo
	s_wait_xcnt 0x0
	v_lshl_or_b32 v4, s3, 8, v12
	global_load_b32 v9, v4, s[10:11] scale_offset scope:SCOPE_DEV
	s_wait_loadcnt 0x0
	v_cmpx_gt_u32_e32 2.0, v9
	s_cbranch_execz .LBB2268_134
; %bb.137:                              ;   in Loop: Header=BB2268_135 Depth=1
	v_lshl_add_u64 v[10:11], v[4:5], 2, s[10:11]
	s_mov_b32 s5, 0
.LBB2268_138:                           ;   Parent Loop BB2268_135 Depth=1
                                        ; =>  This Inner Loop Header: Depth=2
	global_load_b32 v9, v[10:11], off scope:SCOPE_DEV
	s_wait_loadcnt 0x0
	v_cmp_lt_u32_e64 s0, 0x3fffffff, v9
	s_or_b32 s5, s0, s5
	s_wait_xcnt 0x0
	s_and_not1_b32 exec_lo, exec_lo, s5
	s_cbranch_execnz .LBB2268_138
	s_branch .LBB2268_133
.LBB2268_139:                           ;   in Loop: Header=BB2268_135 Depth=1
                                        ; implicit-def: $sgpr3
	s_and_b32 s4, exec_lo, s0
	s_delay_alu instid0(SALU_CYCLE_1)
	s_or_b32 s2, s4, s2
	s_wait_xcnt 0x0
	s_and_not1_b32 exec_lo, exec_lo, s2
	s_cbranch_execnz .LBB2268_135
.LBB2268_140:
	s_or_b32 exec_lo, exec_lo, s2
	v_dual_mov_b32 v9, 0 :: v_dual_add_nc_u32 v4, v8, v2
	s_delay_alu instid0(VALU_DEP_1) | instskip(SKIP_4) | instid1(VALU_DEP_1)
	v_or_b32_e32 v4, 0x80000000, v4
	global_store_b32 v[6:7], v4, off scope:SCOPE_DEV
	global_load_b64 v[4:5], v12, s[12:13] scale_offset
	v_sub_nc_u64_e32 v[6:7], v[8:9], v[0:1]
	s_wait_loadcnt 0x0
	v_add_nc_u64_e32 v[4:5], v[6:7], v[4:5]
	ds_store_b64 v3, v[4:5]
.LBB2268_141:
	s_wait_xcnt 0x0
	s_or_b32 exec_lo, exec_lo, s1
	v_mad_i32_i24 v13, v12, -6, v3
	s_wait_storecnt_dscnt 0x0
	s_barrier_signal -1
	s_barrier_wait -1
	ds_load_u16 v16, v13 offset:2048
	ds_load_u16 v17, v13 offset:3072
	;; [unrolled: 1-line block ×8, first 2 shown]
	v_dual_mov_b32 v5, 0 :: v_dual_lshlrev_b32 v4, 1, v12
	s_add_co_i32 s7, s7, -1
	s_delay_alu instid0(SALU_CYCLE_1) | instskip(SKIP_2) | instid1(VALU_DEP_1)
	s_cmp_eq_u32 s9, s7
	s_wait_dscnt 0x7
	v_cmp_ne_u16_e64 s0, 0x7fff, v16
	v_cndmask_b32_e64 v6, 0xffff8000, v16, s0
	v_cmp_lt_i16_e64 s0, -1, v16
	s_delay_alu instid0(VALU_DEP_2) | instskip(NEXT) | instid1(VALU_DEP_2)
	v_and_b32_e32 v6, 0xffff, v6
	v_cndmask_b32_e64 v24, 0xffff8000, -1, s0
	s_wait_dscnt 0x6
	v_cmp_ne_u16_e64 s0, 0x7fff, v17
	s_delay_alu instid0(VALU_DEP_2) | instskip(NEXT) | instid1(VALU_DEP_2)
	v_xor_b32_e32 v24, v24, v16
	v_cndmask_b32_e64 v7, 0xffff8000, v17, s0
	s_wait_dscnt 0x5
	v_cmp_ne_u16_e64 s0, 0x7fff, v18
	s_delay_alu instid0(VALU_DEP_2) | instskip(NEXT) | instid1(VALU_DEP_2)
	v_and_b32_e32 v7, 0xffff, v7
	v_cndmask_b32_e64 v8, 0xffff8000, v18, s0
	s_wait_dscnt 0x4
	v_cmp_ne_u16_e64 s0, 0x7fff, v19
	s_delay_alu instid0(VALU_DEP_3) | instskip(NEXT) | instid1(VALU_DEP_3)
	v_dual_lshrrev_b32 v6, s20, v6 :: v_dual_lshrrev_b32 v7, s20, v7
	v_and_b32_e32 v8, 0xffff, v8
	s_delay_alu instid0(VALU_DEP_3) | instskip(SKIP_1) | instid1(VALU_DEP_4)
	v_cndmask_b32_e64 v9, 0xffff8000, v19, s0
	v_cmp_lt_i16_e64 s0, -1, v17
	v_and_b32_e32 v7, s8, v7
	v_and_b32_e32 v6, s8, v6
	s_delay_alu instid0(VALU_DEP_4) | instskip(NEXT) | instid1(VALU_DEP_4)
	v_and_b32_e32 v9, 0xffff, v9
	v_cndmask_b32_e64 v25, 0xffff8000, -1, s0
	s_wait_dscnt 0x3
	v_cmp_ne_u16_e64 s0, 0x7fff, v20
	v_dual_lshrrev_b32 v8, s20, v8 :: v_dual_lshlrev_b32 v11, 3, v7
	v_dual_lshrrev_b32 v9, s20, v9 :: v_dual_lshlrev_b32 v6, 3, v6
	s_delay_alu instid0(VALU_DEP_3) | instskip(SKIP_1) | instid1(VALU_DEP_2)
	v_cndmask_b32_e64 v10, 0xffff8000, v20, s0
	v_cmp_lt_i16_e64 s0, -1, v18
	v_and_b32_e32 v10, 0xffff, v10
	v_and_b32_e32 v8, s8, v8
	;; [unrolled: 1-line block ×3, first 2 shown]
	s_delay_alu instid0(VALU_DEP_4) | instskip(SKIP_1) | instid1(VALU_DEP_4)
	v_cndmask_b32_e64 v27, 0xffff8000, -1, s0
	v_cmp_lt_i16_e64 s0, -1, v19
	v_dual_lshrrev_b32 v26, s20, v10 :: v_dual_lshlrev_b32 v10, 3, v8
	s_delay_alu instid0(VALU_DEP_4)
	v_lshlrev_b32_e32 v14, 3, v9
	ds_load_b64 v[6:7], v6
	ds_load_b64 v[8:9], v11
	v_cndmask_b32_e64 v28, 0xffff8000, -1, s0
	s_wait_dscnt 0x4
	v_cmp_ne_u16_e64 s0, 0x7fff, v21
	v_and_b32_e32 v26, s8, v26
	ds_load_b64 v[10:11], v10
	ds_load_b64 v[14:15], v14
	v_xor_b32_e32 v19, v28, v19
	v_cndmask_b32_e64 v29, 0xffff8000, v21, s0
	s_wait_dscnt 0x5
	v_cmp_ne_u16_e64 s0, 0x7fff, v22
	v_lshlrev_b32_e32 v26, 3, v26
	s_delay_alu instid0(VALU_DEP_2) | instskip(SKIP_1) | instid1(VALU_DEP_2)
	v_cndmask_b32_e64 v30, 0xffff8000, v22, s0
	v_cmp_lt_i16_e64 s0, -1, v20
	v_and_b32_e32 v28, 0xffff, v30
	s_wait_dscnt 0x3
	v_lshl_add_u64 v[6:7], v[6:7], 1, s[18:19]
	v_xor_b32_e32 v18, v27, v18
	v_and_b32_e32 v27, 0xffff, v29
	v_xor_b32_e32 v25, v25, v17
	ds_load_b64 v[16:17], v26
	ds_load_u16 v26, v13 offset:10240
	ds_load_u16 v31, v13 offset:11264
	;; [unrolled: 1-line block ×4, first 2 shown]
	s_wait_dscnt 0x7
	v_lshl_add_u64 v[8:9], v[8:9], 1, s[18:19]
	s_wait_dscnt 0x6
	v_lshl_add_u64 v[10:11], v[10:11], 1, s[18:19]
	v_add_nc_u64_e32 v[6:7], v[6:7], v[4:5]
	s_wait_dscnt 0x5
	v_lshl_add_u64 v[14:15], v[14:15], 1, s[18:19]
	v_add_nc_u64_e32 v[8:9], v[8:9], v[4:5]
	v_add_nc_u64_e32 v[10:11], v[10:11], v[4:5]
	s_clause 0x1
	global_store_b16 v[6:7], v24, off
	global_store_b16 v[8:9], v25, off offset:1024
	s_wait_xcnt 0x1
	v_cndmask_b32_e64 v6, 0xffff8000, -1, s0
	v_cmp_ne_u16_e64 s0, 0x7fff, v23
	s_wait_xcnt 0x0
	v_dual_lshrrev_b32 v8, s20, v27 :: v_dual_lshrrev_b32 v9, s20, v28
	global_store_b16 v[10:11], v18, off offset:2048
	v_add_nc_u64_e32 v[14:15], v[14:15], v[4:5]
	s_wait_xcnt 0x0
	v_cndmask_b32_e64 v10, 0xffff8000, v23, s0
	s_wait_dscnt 0x3
	v_cmp_ne_u16_e64 s0, 0x7fff, v26
	v_and_b32_e32 v8, s8, v8
	v_and_b32_e32 v9, s8, v9
	s_delay_alu instid0(VALU_DEP_3)
	v_cndmask_b32_e64 v11, 0xffff8000, v26, s0
	s_wait_dscnt 0x2
	v_cmp_ne_u16_e64 s0, 0x7fff, v31
	v_lshlrev_b32_e32 v8, 3, v8
	global_store_b16 v[14:15], v19, off offset:3072
	s_wait_xcnt 0x0
	v_dual_lshlrev_b32 v15, 3, v9 :: v_dual_bitop2_b32 v14, v6, v20 bitop3:0x14
	v_lshl_add_u64 v[6:7], v[16:17], 1, s[18:19]
	v_and_b32_e32 v16, 0xffff, v10
	v_and_b32_e32 v17, 0xffff, v11
	v_cndmask_b32_e64 v18, 0xffff8000, v31, s0
	ds_load_b64 v[8:9], v8
	ds_load_b64 v[10:11], v15
	v_cmp_lt_i16_e64 s0, -1, v21
	v_dual_lshrrev_b32 v15, s20, v16 :: v_dual_lshrrev_b32 v16, s20, v17
	v_and_b32_e32 v17, 0xffff, v18
	v_add_nc_u64_e32 v[6:7], v[6:7], v[4:5]
	s_delay_alu instid0(VALU_DEP_4) | instskip(NEXT) | instid1(VALU_DEP_4)
	v_cndmask_b32_e64 v18, 0xffff8000, -1, s0
	v_and_b32_e32 v15, s8, v15
	s_wait_dscnt 0x3
	v_cmp_ne_u16_e64 s0, 0x7fff, v32
	v_dual_lshrrev_b32 v17, s20, v17 :: v_dual_bitop2_b32 v16, s8, v16 bitop3:0x40
	global_store_b16 v[6:7], v14, off offset:4096
	s_wait_xcnt 0x0
	v_dual_lshlrev_b32 v6, 3, v15 :: v_dual_bitop2_b32 v18, v18, v21 bitop3:0x14
	v_dual_lshlrev_b32 v14, 3, v16 :: v_dual_bitop2_b32 v16, s8, v17 bitop3:0x40
	v_cndmask_b32_e64 v17, 0xffff8000, v32, s0
	s_wait_dscnt 0x2
	v_cmp_ne_u16_e64 s0, 0x7fff, v13
	s_wait_dscnt 0x1
	v_lshl_add_u64 v[8:9], v[8:9], 1, s[18:19]
	s_wait_dscnt 0x0
	v_lshl_add_u64 v[10:11], v[10:11], 1, s[18:19]
	ds_load_b64 v[6:7], v6
	ds_load_b64 v[14:15], v14
	v_and_b32_e32 v17, 0xffff, v17
	v_cndmask_b32_e64 v19, 0xffff8000, v13, s0
	v_cmp_lt_i16_e64 s0, -1, v22
	v_add_nc_u64_e32 v[8:9], v[8:9], v[4:5]
	v_add_nc_u64_e32 v[10:11], v[10:11], v[4:5]
	v_lshrrev_b32_e32 v20, s20, v17
	v_and_b32_e32 v19, 0xffff, v19
	v_lshlrev_b32_e32 v16, 3, v16
	v_cndmask_b32_e64 v21, 0xffff8000, -1, s0
	v_cmp_lt_i16_e64 s0, -1, v23
	s_delay_alu instid0(VALU_DEP_4)
	v_lshrrev_b32_e32 v19, s20, v19
	ds_load_b64 v[16:17], v16
	v_xor_b32_e32 v21, v21, v22
	s_clause 0x1
	global_store_b16 v[8:9], v18, off offset:5120
	global_store_b16 v[10:11], v21, off offset:6144
	v_and_b32_e32 v19, s8, v19
	v_and_b32_e32 v20, s8, v20
	v_cndmask_b32_e64 v22, 0xffff8000, -1, s0
	v_cmp_lt_i16_e64 s0, -1, v26
	s_wait_dscnt 0x2
	v_lshl_add_u64 v[6:7], v[6:7], 1, s[18:19]
	v_dual_lshlrev_b32 v19, 3, v19 :: v_dual_lshlrev_b32 v20, 3, v20
	s_wait_dscnt 0x1
	v_lshl_add_u64 v[14:15], v[14:15], 1, s[18:19]
	s_wait_xcnt 0x1
	v_xor_b32_e32 v18, v22, v23
	v_add_nc_u64_e32 v[6:7], v[6:7], v[4:5]
	s_wait_xcnt 0x0
	ds_load_b64 v[10:11], v19
	ds_load_b64 v[8:9], v20
	v_cndmask_b32_e64 v19, 0xffff8000, -1, s0
	v_cmp_lt_i16_e64 s0, -1, v31
	s_wait_dscnt 0x2
	v_lshl_add_u64 v[16:17], v[16:17], 1, s[18:19]
	v_add_nc_u64_e32 v[14:15], v[14:15], v[4:5]
	v_xor_b32_e32 v19, v19, v26
	v_cndmask_b32_e64 v20, 0xffff8000, -1, s0
	v_cmp_lt_i16_e64 s0, -1, v32
	v_add_nc_u64_e32 v[16:17], v[16:17], v[4:5]
	s_delay_alu instid0(VALU_DEP_3) | instskip(NEXT) | instid1(VALU_DEP_3)
	v_xor_b32_e32 v20, v20, v31
	v_cndmask_b32_e64 v21, 0xffff8000, -1, s0
	v_cmp_lt_i16_e64 s0, -1, v13
	s_clause 0x2
	global_store_b16 v[6:7], v18, off offset:7168
	global_store_b16 v[14:15], v19, off offset:8192
	;; [unrolled: 1-line block ×3, first 2 shown]
	s_wait_xcnt 0x1
	v_xor_b32_e32 v14, v21, v32
	s_wait_dscnt 0x0
	v_lshl_add_u64 v[6:7], v[8:9], 1, s[18:19]
	v_lshl_add_u64 v[8:9], v[10:11], 1, s[18:19]
	v_cndmask_b32_e64 v10, 0xffff8000, -1, s0
	s_cselect_b32 s0, -1, 0
	s_xor_b32 s1, vcc_lo, -1
	v_add_nc_u64_e32 v[6:7], v[6:7], v[4:5]
	v_add_nc_u64_e32 v[8:9], v[8:9], v[4:5]
	v_xor_b32_e32 v4, v10, v13
	s_and_b32 s0, s1, s0
	s_clause 0x1
	global_store_b16 v[6:7], v14, off offset:10240
	global_store_b16 v[8:9], v4, off offset:11264
	s_wait_xcnt 0x0
	s_and_saveexec_b32 s1, s0
	s_cbranch_execz .LBB2268_143
; %bb.142:
	ds_load_b64 v[6:7], v3
	v_mov_b32_e32 v3, v5
	s_delay_alu instid0(VALU_DEP_1) | instskip(SKIP_1) | instid1(VALU_DEP_1)
	v_add_nc_u64_e32 v[0:1], v[0:1], v[2:3]
	s_wait_dscnt 0x0
	v_add_nc_u64_e32 v[0:1], v[0:1], v[6:7]
	global_store_b64 v12, v[0:1], s[14:15] scale_offset
.LBB2268_143:
	s_sendmsg sendmsg(MSG_DEALLOC_VGPRS)
	s_endpgm
	.section	.rodata,"a",@progbits
	.p2align	6, 0x0
	.amdhsa_kernel _ZN7rocprim17ROCPRIM_400000_NS6detail17trampoline_kernelINS0_14default_configENS1_35radix_sort_onesweep_config_selectorI6__halfNS0_10empty_typeEEEZZNS1_29radix_sort_onesweep_iterationIS3_Lb0EPKS5_PS5_PS6_SC_mNS0_19identity_decomposerENS1_16block_id_wrapperIjLb0EEEEE10hipError_tT1_PNSt15iterator_traitsISH_E10value_typeET2_T3_PNSI_ISN_E10value_typeET4_T5_PSS_ST_PNS1_23onesweep_lookback_stateEbbT6_jjT7_P12ihipStream_tbENKUlT_T0_SH_SM_E_clISA_SB_SC_SC_EEDaS10_S11_SH_SM_EUlS10_E_NS1_11comp_targetILNS1_3genE0ELNS1_11target_archE4294967295ELNS1_3gpuE0ELNS1_3repE0EEENS1_47radix_sort_onesweep_sort_config_static_selectorELNS0_4arch9wavefront6targetE0EEEvSH_
		.amdhsa_group_segment_fixed_size 18504
		.amdhsa_private_segment_fixed_size 0
		.amdhsa_kernarg_size 344
		.amdhsa_user_sgpr_count 2
		.amdhsa_user_sgpr_dispatch_ptr 0
		.amdhsa_user_sgpr_queue_ptr 0
		.amdhsa_user_sgpr_kernarg_segment_ptr 1
		.amdhsa_user_sgpr_dispatch_id 0
		.amdhsa_user_sgpr_kernarg_preload_length 0
		.amdhsa_user_sgpr_kernarg_preload_offset 0
		.amdhsa_user_sgpr_private_segment_size 0
		.amdhsa_wavefront_size32 1
		.amdhsa_uses_dynamic_stack 0
		.amdhsa_enable_private_segment 0
		.amdhsa_system_sgpr_workgroup_id_x 1
		.amdhsa_system_sgpr_workgroup_id_y 0
		.amdhsa_system_sgpr_workgroup_id_z 0
		.amdhsa_system_sgpr_workgroup_info 0
		.amdhsa_system_vgpr_workitem_id 2
		.amdhsa_next_free_vgpr 65
		.amdhsa_next_free_sgpr 28
		.amdhsa_named_barrier_count 0
		.amdhsa_reserve_vcc 1
		.amdhsa_float_round_mode_32 0
		.amdhsa_float_round_mode_16_64 0
		.amdhsa_float_denorm_mode_32 3
		.amdhsa_float_denorm_mode_16_64 3
		.amdhsa_fp16_overflow 0
		.amdhsa_memory_ordered 1
		.amdhsa_forward_progress 1
		.amdhsa_inst_pref_size 146
		.amdhsa_round_robin_scheduling 0
		.amdhsa_exception_fp_ieee_invalid_op 0
		.amdhsa_exception_fp_denorm_src 0
		.amdhsa_exception_fp_ieee_div_zero 0
		.amdhsa_exception_fp_ieee_overflow 0
		.amdhsa_exception_fp_ieee_underflow 0
		.amdhsa_exception_fp_ieee_inexact 0
		.amdhsa_exception_int_div_zero 0
	.end_amdhsa_kernel
	.section	.text._ZN7rocprim17ROCPRIM_400000_NS6detail17trampoline_kernelINS0_14default_configENS1_35radix_sort_onesweep_config_selectorI6__halfNS0_10empty_typeEEEZZNS1_29radix_sort_onesweep_iterationIS3_Lb0EPKS5_PS5_PS6_SC_mNS0_19identity_decomposerENS1_16block_id_wrapperIjLb0EEEEE10hipError_tT1_PNSt15iterator_traitsISH_E10value_typeET2_T3_PNSI_ISN_E10value_typeET4_T5_PSS_ST_PNS1_23onesweep_lookback_stateEbbT6_jjT7_P12ihipStream_tbENKUlT_T0_SH_SM_E_clISA_SB_SC_SC_EEDaS10_S11_SH_SM_EUlS10_E_NS1_11comp_targetILNS1_3genE0ELNS1_11target_archE4294967295ELNS1_3gpuE0ELNS1_3repE0EEENS1_47radix_sort_onesweep_sort_config_static_selectorELNS0_4arch9wavefront6targetE0EEEvSH_,"axG",@progbits,_ZN7rocprim17ROCPRIM_400000_NS6detail17trampoline_kernelINS0_14default_configENS1_35radix_sort_onesweep_config_selectorI6__halfNS0_10empty_typeEEEZZNS1_29radix_sort_onesweep_iterationIS3_Lb0EPKS5_PS5_PS6_SC_mNS0_19identity_decomposerENS1_16block_id_wrapperIjLb0EEEEE10hipError_tT1_PNSt15iterator_traitsISH_E10value_typeET2_T3_PNSI_ISN_E10value_typeET4_T5_PSS_ST_PNS1_23onesweep_lookback_stateEbbT6_jjT7_P12ihipStream_tbENKUlT_T0_SH_SM_E_clISA_SB_SC_SC_EEDaS10_S11_SH_SM_EUlS10_E_NS1_11comp_targetILNS1_3genE0ELNS1_11target_archE4294967295ELNS1_3gpuE0ELNS1_3repE0EEENS1_47radix_sort_onesweep_sort_config_static_selectorELNS0_4arch9wavefront6targetE0EEEvSH_,comdat
.Lfunc_end2268:
	.size	_ZN7rocprim17ROCPRIM_400000_NS6detail17trampoline_kernelINS0_14default_configENS1_35radix_sort_onesweep_config_selectorI6__halfNS0_10empty_typeEEEZZNS1_29radix_sort_onesweep_iterationIS3_Lb0EPKS5_PS5_PS6_SC_mNS0_19identity_decomposerENS1_16block_id_wrapperIjLb0EEEEE10hipError_tT1_PNSt15iterator_traitsISH_E10value_typeET2_T3_PNSI_ISN_E10value_typeET4_T5_PSS_ST_PNS1_23onesweep_lookback_stateEbbT6_jjT7_P12ihipStream_tbENKUlT_T0_SH_SM_E_clISA_SB_SC_SC_EEDaS10_S11_SH_SM_EUlS10_E_NS1_11comp_targetILNS1_3genE0ELNS1_11target_archE4294967295ELNS1_3gpuE0ELNS1_3repE0EEENS1_47radix_sort_onesweep_sort_config_static_selectorELNS0_4arch9wavefront6targetE0EEEvSH_, .Lfunc_end2268-_ZN7rocprim17ROCPRIM_400000_NS6detail17trampoline_kernelINS0_14default_configENS1_35radix_sort_onesweep_config_selectorI6__halfNS0_10empty_typeEEEZZNS1_29radix_sort_onesweep_iterationIS3_Lb0EPKS5_PS5_PS6_SC_mNS0_19identity_decomposerENS1_16block_id_wrapperIjLb0EEEEE10hipError_tT1_PNSt15iterator_traitsISH_E10value_typeET2_T3_PNSI_ISN_E10value_typeET4_T5_PSS_ST_PNS1_23onesweep_lookback_stateEbbT6_jjT7_P12ihipStream_tbENKUlT_T0_SH_SM_E_clISA_SB_SC_SC_EEDaS10_S11_SH_SM_EUlS10_E_NS1_11comp_targetILNS1_3genE0ELNS1_11target_archE4294967295ELNS1_3gpuE0ELNS1_3repE0EEENS1_47radix_sort_onesweep_sort_config_static_selectorELNS0_4arch9wavefront6targetE0EEEvSH_
                                        ; -- End function
	.set _ZN7rocprim17ROCPRIM_400000_NS6detail17trampoline_kernelINS0_14default_configENS1_35radix_sort_onesweep_config_selectorI6__halfNS0_10empty_typeEEEZZNS1_29radix_sort_onesweep_iterationIS3_Lb0EPKS5_PS5_PS6_SC_mNS0_19identity_decomposerENS1_16block_id_wrapperIjLb0EEEEE10hipError_tT1_PNSt15iterator_traitsISH_E10value_typeET2_T3_PNSI_ISN_E10value_typeET4_T5_PSS_ST_PNS1_23onesweep_lookback_stateEbbT6_jjT7_P12ihipStream_tbENKUlT_T0_SH_SM_E_clISA_SB_SC_SC_EEDaS10_S11_SH_SM_EUlS10_E_NS1_11comp_targetILNS1_3genE0ELNS1_11target_archE4294967295ELNS1_3gpuE0ELNS1_3repE0EEENS1_47radix_sort_onesweep_sort_config_static_selectorELNS0_4arch9wavefront6targetE0EEEvSH_.num_vgpr, 65
	.set _ZN7rocprim17ROCPRIM_400000_NS6detail17trampoline_kernelINS0_14default_configENS1_35radix_sort_onesweep_config_selectorI6__halfNS0_10empty_typeEEEZZNS1_29radix_sort_onesweep_iterationIS3_Lb0EPKS5_PS5_PS6_SC_mNS0_19identity_decomposerENS1_16block_id_wrapperIjLb0EEEEE10hipError_tT1_PNSt15iterator_traitsISH_E10value_typeET2_T3_PNSI_ISN_E10value_typeET4_T5_PSS_ST_PNS1_23onesweep_lookback_stateEbbT6_jjT7_P12ihipStream_tbENKUlT_T0_SH_SM_E_clISA_SB_SC_SC_EEDaS10_S11_SH_SM_EUlS10_E_NS1_11comp_targetILNS1_3genE0ELNS1_11target_archE4294967295ELNS1_3gpuE0ELNS1_3repE0EEENS1_47radix_sort_onesweep_sort_config_static_selectorELNS0_4arch9wavefront6targetE0EEEvSH_.num_agpr, 0
	.set _ZN7rocprim17ROCPRIM_400000_NS6detail17trampoline_kernelINS0_14default_configENS1_35radix_sort_onesweep_config_selectorI6__halfNS0_10empty_typeEEEZZNS1_29radix_sort_onesweep_iterationIS3_Lb0EPKS5_PS5_PS6_SC_mNS0_19identity_decomposerENS1_16block_id_wrapperIjLb0EEEEE10hipError_tT1_PNSt15iterator_traitsISH_E10value_typeET2_T3_PNSI_ISN_E10value_typeET4_T5_PSS_ST_PNS1_23onesweep_lookback_stateEbbT6_jjT7_P12ihipStream_tbENKUlT_T0_SH_SM_E_clISA_SB_SC_SC_EEDaS10_S11_SH_SM_EUlS10_E_NS1_11comp_targetILNS1_3genE0ELNS1_11target_archE4294967295ELNS1_3gpuE0ELNS1_3repE0EEENS1_47radix_sort_onesweep_sort_config_static_selectorELNS0_4arch9wavefront6targetE0EEEvSH_.numbered_sgpr, 28
	.set _ZN7rocprim17ROCPRIM_400000_NS6detail17trampoline_kernelINS0_14default_configENS1_35radix_sort_onesweep_config_selectorI6__halfNS0_10empty_typeEEEZZNS1_29radix_sort_onesweep_iterationIS3_Lb0EPKS5_PS5_PS6_SC_mNS0_19identity_decomposerENS1_16block_id_wrapperIjLb0EEEEE10hipError_tT1_PNSt15iterator_traitsISH_E10value_typeET2_T3_PNSI_ISN_E10value_typeET4_T5_PSS_ST_PNS1_23onesweep_lookback_stateEbbT6_jjT7_P12ihipStream_tbENKUlT_T0_SH_SM_E_clISA_SB_SC_SC_EEDaS10_S11_SH_SM_EUlS10_E_NS1_11comp_targetILNS1_3genE0ELNS1_11target_archE4294967295ELNS1_3gpuE0ELNS1_3repE0EEENS1_47radix_sort_onesweep_sort_config_static_selectorELNS0_4arch9wavefront6targetE0EEEvSH_.num_named_barrier, 0
	.set _ZN7rocprim17ROCPRIM_400000_NS6detail17trampoline_kernelINS0_14default_configENS1_35radix_sort_onesweep_config_selectorI6__halfNS0_10empty_typeEEEZZNS1_29radix_sort_onesweep_iterationIS3_Lb0EPKS5_PS5_PS6_SC_mNS0_19identity_decomposerENS1_16block_id_wrapperIjLb0EEEEE10hipError_tT1_PNSt15iterator_traitsISH_E10value_typeET2_T3_PNSI_ISN_E10value_typeET4_T5_PSS_ST_PNS1_23onesweep_lookback_stateEbbT6_jjT7_P12ihipStream_tbENKUlT_T0_SH_SM_E_clISA_SB_SC_SC_EEDaS10_S11_SH_SM_EUlS10_E_NS1_11comp_targetILNS1_3genE0ELNS1_11target_archE4294967295ELNS1_3gpuE0ELNS1_3repE0EEENS1_47radix_sort_onesweep_sort_config_static_selectorELNS0_4arch9wavefront6targetE0EEEvSH_.private_seg_size, 0
	.set _ZN7rocprim17ROCPRIM_400000_NS6detail17trampoline_kernelINS0_14default_configENS1_35radix_sort_onesweep_config_selectorI6__halfNS0_10empty_typeEEEZZNS1_29radix_sort_onesweep_iterationIS3_Lb0EPKS5_PS5_PS6_SC_mNS0_19identity_decomposerENS1_16block_id_wrapperIjLb0EEEEE10hipError_tT1_PNSt15iterator_traitsISH_E10value_typeET2_T3_PNSI_ISN_E10value_typeET4_T5_PSS_ST_PNS1_23onesweep_lookback_stateEbbT6_jjT7_P12ihipStream_tbENKUlT_T0_SH_SM_E_clISA_SB_SC_SC_EEDaS10_S11_SH_SM_EUlS10_E_NS1_11comp_targetILNS1_3genE0ELNS1_11target_archE4294967295ELNS1_3gpuE0ELNS1_3repE0EEENS1_47radix_sort_onesweep_sort_config_static_selectorELNS0_4arch9wavefront6targetE0EEEvSH_.uses_vcc, 1
	.set _ZN7rocprim17ROCPRIM_400000_NS6detail17trampoline_kernelINS0_14default_configENS1_35radix_sort_onesweep_config_selectorI6__halfNS0_10empty_typeEEEZZNS1_29radix_sort_onesweep_iterationIS3_Lb0EPKS5_PS5_PS6_SC_mNS0_19identity_decomposerENS1_16block_id_wrapperIjLb0EEEEE10hipError_tT1_PNSt15iterator_traitsISH_E10value_typeET2_T3_PNSI_ISN_E10value_typeET4_T5_PSS_ST_PNS1_23onesweep_lookback_stateEbbT6_jjT7_P12ihipStream_tbENKUlT_T0_SH_SM_E_clISA_SB_SC_SC_EEDaS10_S11_SH_SM_EUlS10_E_NS1_11comp_targetILNS1_3genE0ELNS1_11target_archE4294967295ELNS1_3gpuE0ELNS1_3repE0EEENS1_47radix_sort_onesweep_sort_config_static_selectorELNS0_4arch9wavefront6targetE0EEEvSH_.uses_flat_scratch, 0
	.set _ZN7rocprim17ROCPRIM_400000_NS6detail17trampoline_kernelINS0_14default_configENS1_35radix_sort_onesweep_config_selectorI6__halfNS0_10empty_typeEEEZZNS1_29radix_sort_onesweep_iterationIS3_Lb0EPKS5_PS5_PS6_SC_mNS0_19identity_decomposerENS1_16block_id_wrapperIjLb0EEEEE10hipError_tT1_PNSt15iterator_traitsISH_E10value_typeET2_T3_PNSI_ISN_E10value_typeET4_T5_PSS_ST_PNS1_23onesweep_lookback_stateEbbT6_jjT7_P12ihipStream_tbENKUlT_T0_SH_SM_E_clISA_SB_SC_SC_EEDaS10_S11_SH_SM_EUlS10_E_NS1_11comp_targetILNS1_3genE0ELNS1_11target_archE4294967295ELNS1_3gpuE0ELNS1_3repE0EEENS1_47radix_sort_onesweep_sort_config_static_selectorELNS0_4arch9wavefront6targetE0EEEvSH_.has_dyn_sized_stack, 0
	.set _ZN7rocprim17ROCPRIM_400000_NS6detail17trampoline_kernelINS0_14default_configENS1_35radix_sort_onesweep_config_selectorI6__halfNS0_10empty_typeEEEZZNS1_29radix_sort_onesweep_iterationIS3_Lb0EPKS5_PS5_PS6_SC_mNS0_19identity_decomposerENS1_16block_id_wrapperIjLb0EEEEE10hipError_tT1_PNSt15iterator_traitsISH_E10value_typeET2_T3_PNSI_ISN_E10value_typeET4_T5_PSS_ST_PNS1_23onesweep_lookback_stateEbbT6_jjT7_P12ihipStream_tbENKUlT_T0_SH_SM_E_clISA_SB_SC_SC_EEDaS10_S11_SH_SM_EUlS10_E_NS1_11comp_targetILNS1_3genE0ELNS1_11target_archE4294967295ELNS1_3gpuE0ELNS1_3repE0EEENS1_47radix_sort_onesweep_sort_config_static_selectorELNS0_4arch9wavefront6targetE0EEEvSH_.has_recursion, 0
	.set _ZN7rocprim17ROCPRIM_400000_NS6detail17trampoline_kernelINS0_14default_configENS1_35radix_sort_onesweep_config_selectorI6__halfNS0_10empty_typeEEEZZNS1_29radix_sort_onesweep_iterationIS3_Lb0EPKS5_PS5_PS6_SC_mNS0_19identity_decomposerENS1_16block_id_wrapperIjLb0EEEEE10hipError_tT1_PNSt15iterator_traitsISH_E10value_typeET2_T3_PNSI_ISN_E10value_typeET4_T5_PSS_ST_PNS1_23onesweep_lookback_stateEbbT6_jjT7_P12ihipStream_tbENKUlT_T0_SH_SM_E_clISA_SB_SC_SC_EEDaS10_S11_SH_SM_EUlS10_E_NS1_11comp_targetILNS1_3genE0ELNS1_11target_archE4294967295ELNS1_3gpuE0ELNS1_3repE0EEENS1_47radix_sort_onesweep_sort_config_static_selectorELNS0_4arch9wavefront6targetE0EEEvSH_.has_indirect_call, 0
	.section	.AMDGPU.csdata,"",@progbits
; Kernel info:
; codeLenInByte = 18632
; TotalNumSgprs: 30
; NumVgprs: 65
; ScratchSize: 0
; MemoryBound: 0
; FloatMode: 240
; IeeeMode: 1
; LDSByteSize: 18504 bytes/workgroup (compile time only)
; SGPRBlocks: 0
; VGPRBlocks: 4
; NumSGPRsForWavesPerEU: 30
; NumVGPRsForWavesPerEU: 65
; NamedBarCnt: 0
; Occupancy: 12
; WaveLimiterHint : 0
; COMPUTE_PGM_RSRC2:SCRATCH_EN: 0
; COMPUTE_PGM_RSRC2:USER_SGPR: 2
; COMPUTE_PGM_RSRC2:TRAP_HANDLER: 0
; COMPUTE_PGM_RSRC2:TGID_X_EN: 1
; COMPUTE_PGM_RSRC2:TGID_Y_EN: 0
; COMPUTE_PGM_RSRC2:TGID_Z_EN: 0
; COMPUTE_PGM_RSRC2:TIDIG_COMP_CNT: 2
	.section	.text._ZN7rocprim17ROCPRIM_400000_NS6detail17trampoline_kernelINS0_14default_configENS1_35radix_sort_onesweep_config_selectorI6__halfNS0_10empty_typeEEEZZNS1_29radix_sort_onesweep_iterationIS3_Lb0EPKS5_PS5_PS6_SC_mNS0_19identity_decomposerENS1_16block_id_wrapperIjLb0EEEEE10hipError_tT1_PNSt15iterator_traitsISH_E10value_typeET2_T3_PNSI_ISN_E10value_typeET4_T5_PSS_ST_PNS1_23onesweep_lookback_stateEbbT6_jjT7_P12ihipStream_tbENKUlT_T0_SH_SM_E_clISA_SB_SC_SC_EEDaS10_S11_SH_SM_EUlS10_E_NS1_11comp_targetILNS1_3genE6ELNS1_11target_archE950ELNS1_3gpuE13ELNS1_3repE0EEENS1_47radix_sort_onesweep_sort_config_static_selectorELNS0_4arch9wavefront6targetE0EEEvSH_,"axG",@progbits,_ZN7rocprim17ROCPRIM_400000_NS6detail17trampoline_kernelINS0_14default_configENS1_35radix_sort_onesweep_config_selectorI6__halfNS0_10empty_typeEEEZZNS1_29radix_sort_onesweep_iterationIS3_Lb0EPKS5_PS5_PS6_SC_mNS0_19identity_decomposerENS1_16block_id_wrapperIjLb0EEEEE10hipError_tT1_PNSt15iterator_traitsISH_E10value_typeET2_T3_PNSI_ISN_E10value_typeET4_T5_PSS_ST_PNS1_23onesweep_lookback_stateEbbT6_jjT7_P12ihipStream_tbENKUlT_T0_SH_SM_E_clISA_SB_SC_SC_EEDaS10_S11_SH_SM_EUlS10_E_NS1_11comp_targetILNS1_3genE6ELNS1_11target_archE950ELNS1_3gpuE13ELNS1_3repE0EEENS1_47radix_sort_onesweep_sort_config_static_selectorELNS0_4arch9wavefront6targetE0EEEvSH_,comdat
	.protected	_ZN7rocprim17ROCPRIM_400000_NS6detail17trampoline_kernelINS0_14default_configENS1_35radix_sort_onesweep_config_selectorI6__halfNS0_10empty_typeEEEZZNS1_29radix_sort_onesweep_iterationIS3_Lb0EPKS5_PS5_PS6_SC_mNS0_19identity_decomposerENS1_16block_id_wrapperIjLb0EEEEE10hipError_tT1_PNSt15iterator_traitsISH_E10value_typeET2_T3_PNSI_ISN_E10value_typeET4_T5_PSS_ST_PNS1_23onesweep_lookback_stateEbbT6_jjT7_P12ihipStream_tbENKUlT_T0_SH_SM_E_clISA_SB_SC_SC_EEDaS10_S11_SH_SM_EUlS10_E_NS1_11comp_targetILNS1_3genE6ELNS1_11target_archE950ELNS1_3gpuE13ELNS1_3repE0EEENS1_47radix_sort_onesweep_sort_config_static_selectorELNS0_4arch9wavefront6targetE0EEEvSH_ ; -- Begin function _ZN7rocprim17ROCPRIM_400000_NS6detail17trampoline_kernelINS0_14default_configENS1_35radix_sort_onesweep_config_selectorI6__halfNS0_10empty_typeEEEZZNS1_29radix_sort_onesweep_iterationIS3_Lb0EPKS5_PS5_PS6_SC_mNS0_19identity_decomposerENS1_16block_id_wrapperIjLb0EEEEE10hipError_tT1_PNSt15iterator_traitsISH_E10value_typeET2_T3_PNSI_ISN_E10value_typeET4_T5_PSS_ST_PNS1_23onesweep_lookback_stateEbbT6_jjT7_P12ihipStream_tbENKUlT_T0_SH_SM_E_clISA_SB_SC_SC_EEDaS10_S11_SH_SM_EUlS10_E_NS1_11comp_targetILNS1_3genE6ELNS1_11target_archE950ELNS1_3gpuE13ELNS1_3repE0EEENS1_47radix_sort_onesweep_sort_config_static_selectorELNS0_4arch9wavefront6targetE0EEEvSH_
	.globl	_ZN7rocprim17ROCPRIM_400000_NS6detail17trampoline_kernelINS0_14default_configENS1_35radix_sort_onesweep_config_selectorI6__halfNS0_10empty_typeEEEZZNS1_29radix_sort_onesweep_iterationIS3_Lb0EPKS5_PS5_PS6_SC_mNS0_19identity_decomposerENS1_16block_id_wrapperIjLb0EEEEE10hipError_tT1_PNSt15iterator_traitsISH_E10value_typeET2_T3_PNSI_ISN_E10value_typeET4_T5_PSS_ST_PNS1_23onesweep_lookback_stateEbbT6_jjT7_P12ihipStream_tbENKUlT_T0_SH_SM_E_clISA_SB_SC_SC_EEDaS10_S11_SH_SM_EUlS10_E_NS1_11comp_targetILNS1_3genE6ELNS1_11target_archE950ELNS1_3gpuE13ELNS1_3repE0EEENS1_47radix_sort_onesweep_sort_config_static_selectorELNS0_4arch9wavefront6targetE0EEEvSH_
	.p2align	8
	.type	_ZN7rocprim17ROCPRIM_400000_NS6detail17trampoline_kernelINS0_14default_configENS1_35radix_sort_onesweep_config_selectorI6__halfNS0_10empty_typeEEEZZNS1_29radix_sort_onesweep_iterationIS3_Lb0EPKS5_PS5_PS6_SC_mNS0_19identity_decomposerENS1_16block_id_wrapperIjLb0EEEEE10hipError_tT1_PNSt15iterator_traitsISH_E10value_typeET2_T3_PNSI_ISN_E10value_typeET4_T5_PSS_ST_PNS1_23onesweep_lookback_stateEbbT6_jjT7_P12ihipStream_tbENKUlT_T0_SH_SM_E_clISA_SB_SC_SC_EEDaS10_S11_SH_SM_EUlS10_E_NS1_11comp_targetILNS1_3genE6ELNS1_11target_archE950ELNS1_3gpuE13ELNS1_3repE0EEENS1_47radix_sort_onesweep_sort_config_static_selectorELNS0_4arch9wavefront6targetE0EEEvSH_,@function
_ZN7rocprim17ROCPRIM_400000_NS6detail17trampoline_kernelINS0_14default_configENS1_35radix_sort_onesweep_config_selectorI6__halfNS0_10empty_typeEEEZZNS1_29radix_sort_onesweep_iterationIS3_Lb0EPKS5_PS5_PS6_SC_mNS0_19identity_decomposerENS1_16block_id_wrapperIjLb0EEEEE10hipError_tT1_PNSt15iterator_traitsISH_E10value_typeET2_T3_PNSI_ISN_E10value_typeET4_T5_PSS_ST_PNS1_23onesweep_lookback_stateEbbT6_jjT7_P12ihipStream_tbENKUlT_T0_SH_SM_E_clISA_SB_SC_SC_EEDaS10_S11_SH_SM_EUlS10_E_NS1_11comp_targetILNS1_3genE6ELNS1_11target_archE950ELNS1_3gpuE13ELNS1_3repE0EEENS1_47radix_sort_onesweep_sort_config_static_selectorELNS0_4arch9wavefront6targetE0EEEvSH_: ; @_ZN7rocprim17ROCPRIM_400000_NS6detail17trampoline_kernelINS0_14default_configENS1_35radix_sort_onesweep_config_selectorI6__halfNS0_10empty_typeEEEZZNS1_29radix_sort_onesweep_iterationIS3_Lb0EPKS5_PS5_PS6_SC_mNS0_19identity_decomposerENS1_16block_id_wrapperIjLb0EEEEE10hipError_tT1_PNSt15iterator_traitsISH_E10value_typeET2_T3_PNSI_ISN_E10value_typeET4_T5_PSS_ST_PNS1_23onesweep_lookback_stateEbbT6_jjT7_P12ihipStream_tbENKUlT_T0_SH_SM_E_clISA_SB_SC_SC_EEDaS10_S11_SH_SM_EUlS10_E_NS1_11comp_targetILNS1_3genE6ELNS1_11target_archE950ELNS1_3gpuE13ELNS1_3repE0EEENS1_47radix_sort_onesweep_sort_config_static_selectorELNS0_4arch9wavefront6targetE0EEEvSH_
; %bb.0:
	.section	.rodata,"a",@progbits
	.p2align	6, 0x0
	.amdhsa_kernel _ZN7rocprim17ROCPRIM_400000_NS6detail17trampoline_kernelINS0_14default_configENS1_35radix_sort_onesweep_config_selectorI6__halfNS0_10empty_typeEEEZZNS1_29radix_sort_onesweep_iterationIS3_Lb0EPKS5_PS5_PS6_SC_mNS0_19identity_decomposerENS1_16block_id_wrapperIjLb0EEEEE10hipError_tT1_PNSt15iterator_traitsISH_E10value_typeET2_T3_PNSI_ISN_E10value_typeET4_T5_PSS_ST_PNS1_23onesweep_lookback_stateEbbT6_jjT7_P12ihipStream_tbENKUlT_T0_SH_SM_E_clISA_SB_SC_SC_EEDaS10_S11_SH_SM_EUlS10_E_NS1_11comp_targetILNS1_3genE6ELNS1_11target_archE950ELNS1_3gpuE13ELNS1_3repE0EEENS1_47radix_sort_onesweep_sort_config_static_selectorELNS0_4arch9wavefront6targetE0EEEvSH_
		.amdhsa_group_segment_fixed_size 0
		.amdhsa_private_segment_fixed_size 0
		.amdhsa_kernarg_size 88
		.amdhsa_user_sgpr_count 2
		.amdhsa_user_sgpr_dispatch_ptr 0
		.amdhsa_user_sgpr_queue_ptr 0
		.amdhsa_user_sgpr_kernarg_segment_ptr 1
		.amdhsa_user_sgpr_dispatch_id 0
		.amdhsa_user_sgpr_kernarg_preload_length 0
		.amdhsa_user_sgpr_kernarg_preload_offset 0
		.amdhsa_user_sgpr_private_segment_size 0
		.amdhsa_wavefront_size32 1
		.amdhsa_uses_dynamic_stack 0
		.amdhsa_enable_private_segment 0
		.amdhsa_system_sgpr_workgroup_id_x 1
		.amdhsa_system_sgpr_workgroup_id_y 0
		.amdhsa_system_sgpr_workgroup_id_z 0
		.amdhsa_system_sgpr_workgroup_info 0
		.amdhsa_system_vgpr_workitem_id 0
		.amdhsa_next_free_vgpr 1
		.amdhsa_next_free_sgpr 1
		.amdhsa_named_barrier_count 0
		.amdhsa_reserve_vcc 0
		.amdhsa_float_round_mode_32 0
		.amdhsa_float_round_mode_16_64 0
		.amdhsa_float_denorm_mode_32 3
		.amdhsa_float_denorm_mode_16_64 3
		.amdhsa_fp16_overflow 0
		.amdhsa_memory_ordered 1
		.amdhsa_forward_progress 1
		.amdhsa_inst_pref_size 0
		.amdhsa_round_robin_scheduling 0
		.amdhsa_exception_fp_ieee_invalid_op 0
		.amdhsa_exception_fp_denorm_src 0
		.amdhsa_exception_fp_ieee_div_zero 0
		.amdhsa_exception_fp_ieee_overflow 0
		.amdhsa_exception_fp_ieee_underflow 0
		.amdhsa_exception_fp_ieee_inexact 0
		.amdhsa_exception_int_div_zero 0
	.end_amdhsa_kernel
	.section	.text._ZN7rocprim17ROCPRIM_400000_NS6detail17trampoline_kernelINS0_14default_configENS1_35radix_sort_onesweep_config_selectorI6__halfNS0_10empty_typeEEEZZNS1_29radix_sort_onesweep_iterationIS3_Lb0EPKS5_PS5_PS6_SC_mNS0_19identity_decomposerENS1_16block_id_wrapperIjLb0EEEEE10hipError_tT1_PNSt15iterator_traitsISH_E10value_typeET2_T3_PNSI_ISN_E10value_typeET4_T5_PSS_ST_PNS1_23onesweep_lookback_stateEbbT6_jjT7_P12ihipStream_tbENKUlT_T0_SH_SM_E_clISA_SB_SC_SC_EEDaS10_S11_SH_SM_EUlS10_E_NS1_11comp_targetILNS1_3genE6ELNS1_11target_archE950ELNS1_3gpuE13ELNS1_3repE0EEENS1_47radix_sort_onesweep_sort_config_static_selectorELNS0_4arch9wavefront6targetE0EEEvSH_,"axG",@progbits,_ZN7rocprim17ROCPRIM_400000_NS6detail17trampoline_kernelINS0_14default_configENS1_35radix_sort_onesweep_config_selectorI6__halfNS0_10empty_typeEEEZZNS1_29radix_sort_onesweep_iterationIS3_Lb0EPKS5_PS5_PS6_SC_mNS0_19identity_decomposerENS1_16block_id_wrapperIjLb0EEEEE10hipError_tT1_PNSt15iterator_traitsISH_E10value_typeET2_T3_PNSI_ISN_E10value_typeET4_T5_PSS_ST_PNS1_23onesweep_lookback_stateEbbT6_jjT7_P12ihipStream_tbENKUlT_T0_SH_SM_E_clISA_SB_SC_SC_EEDaS10_S11_SH_SM_EUlS10_E_NS1_11comp_targetILNS1_3genE6ELNS1_11target_archE950ELNS1_3gpuE13ELNS1_3repE0EEENS1_47radix_sort_onesweep_sort_config_static_selectorELNS0_4arch9wavefront6targetE0EEEvSH_,comdat
.Lfunc_end2269:
	.size	_ZN7rocprim17ROCPRIM_400000_NS6detail17trampoline_kernelINS0_14default_configENS1_35radix_sort_onesweep_config_selectorI6__halfNS0_10empty_typeEEEZZNS1_29radix_sort_onesweep_iterationIS3_Lb0EPKS5_PS5_PS6_SC_mNS0_19identity_decomposerENS1_16block_id_wrapperIjLb0EEEEE10hipError_tT1_PNSt15iterator_traitsISH_E10value_typeET2_T3_PNSI_ISN_E10value_typeET4_T5_PSS_ST_PNS1_23onesweep_lookback_stateEbbT6_jjT7_P12ihipStream_tbENKUlT_T0_SH_SM_E_clISA_SB_SC_SC_EEDaS10_S11_SH_SM_EUlS10_E_NS1_11comp_targetILNS1_3genE6ELNS1_11target_archE950ELNS1_3gpuE13ELNS1_3repE0EEENS1_47radix_sort_onesweep_sort_config_static_selectorELNS0_4arch9wavefront6targetE0EEEvSH_, .Lfunc_end2269-_ZN7rocprim17ROCPRIM_400000_NS6detail17trampoline_kernelINS0_14default_configENS1_35radix_sort_onesweep_config_selectorI6__halfNS0_10empty_typeEEEZZNS1_29radix_sort_onesweep_iterationIS3_Lb0EPKS5_PS5_PS6_SC_mNS0_19identity_decomposerENS1_16block_id_wrapperIjLb0EEEEE10hipError_tT1_PNSt15iterator_traitsISH_E10value_typeET2_T3_PNSI_ISN_E10value_typeET4_T5_PSS_ST_PNS1_23onesweep_lookback_stateEbbT6_jjT7_P12ihipStream_tbENKUlT_T0_SH_SM_E_clISA_SB_SC_SC_EEDaS10_S11_SH_SM_EUlS10_E_NS1_11comp_targetILNS1_3genE6ELNS1_11target_archE950ELNS1_3gpuE13ELNS1_3repE0EEENS1_47radix_sort_onesweep_sort_config_static_selectorELNS0_4arch9wavefront6targetE0EEEvSH_
                                        ; -- End function
	.set _ZN7rocprim17ROCPRIM_400000_NS6detail17trampoline_kernelINS0_14default_configENS1_35radix_sort_onesweep_config_selectorI6__halfNS0_10empty_typeEEEZZNS1_29radix_sort_onesweep_iterationIS3_Lb0EPKS5_PS5_PS6_SC_mNS0_19identity_decomposerENS1_16block_id_wrapperIjLb0EEEEE10hipError_tT1_PNSt15iterator_traitsISH_E10value_typeET2_T3_PNSI_ISN_E10value_typeET4_T5_PSS_ST_PNS1_23onesweep_lookback_stateEbbT6_jjT7_P12ihipStream_tbENKUlT_T0_SH_SM_E_clISA_SB_SC_SC_EEDaS10_S11_SH_SM_EUlS10_E_NS1_11comp_targetILNS1_3genE6ELNS1_11target_archE950ELNS1_3gpuE13ELNS1_3repE0EEENS1_47radix_sort_onesweep_sort_config_static_selectorELNS0_4arch9wavefront6targetE0EEEvSH_.num_vgpr, 0
	.set _ZN7rocprim17ROCPRIM_400000_NS6detail17trampoline_kernelINS0_14default_configENS1_35radix_sort_onesweep_config_selectorI6__halfNS0_10empty_typeEEEZZNS1_29radix_sort_onesweep_iterationIS3_Lb0EPKS5_PS5_PS6_SC_mNS0_19identity_decomposerENS1_16block_id_wrapperIjLb0EEEEE10hipError_tT1_PNSt15iterator_traitsISH_E10value_typeET2_T3_PNSI_ISN_E10value_typeET4_T5_PSS_ST_PNS1_23onesweep_lookback_stateEbbT6_jjT7_P12ihipStream_tbENKUlT_T0_SH_SM_E_clISA_SB_SC_SC_EEDaS10_S11_SH_SM_EUlS10_E_NS1_11comp_targetILNS1_3genE6ELNS1_11target_archE950ELNS1_3gpuE13ELNS1_3repE0EEENS1_47radix_sort_onesweep_sort_config_static_selectorELNS0_4arch9wavefront6targetE0EEEvSH_.num_agpr, 0
	.set _ZN7rocprim17ROCPRIM_400000_NS6detail17trampoline_kernelINS0_14default_configENS1_35radix_sort_onesweep_config_selectorI6__halfNS0_10empty_typeEEEZZNS1_29radix_sort_onesweep_iterationIS3_Lb0EPKS5_PS5_PS6_SC_mNS0_19identity_decomposerENS1_16block_id_wrapperIjLb0EEEEE10hipError_tT1_PNSt15iterator_traitsISH_E10value_typeET2_T3_PNSI_ISN_E10value_typeET4_T5_PSS_ST_PNS1_23onesweep_lookback_stateEbbT6_jjT7_P12ihipStream_tbENKUlT_T0_SH_SM_E_clISA_SB_SC_SC_EEDaS10_S11_SH_SM_EUlS10_E_NS1_11comp_targetILNS1_3genE6ELNS1_11target_archE950ELNS1_3gpuE13ELNS1_3repE0EEENS1_47radix_sort_onesweep_sort_config_static_selectorELNS0_4arch9wavefront6targetE0EEEvSH_.numbered_sgpr, 0
	.set _ZN7rocprim17ROCPRIM_400000_NS6detail17trampoline_kernelINS0_14default_configENS1_35radix_sort_onesweep_config_selectorI6__halfNS0_10empty_typeEEEZZNS1_29radix_sort_onesweep_iterationIS3_Lb0EPKS5_PS5_PS6_SC_mNS0_19identity_decomposerENS1_16block_id_wrapperIjLb0EEEEE10hipError_tT1_PNSt15iterator_traitsISH_E10value_typeET2_T3_PNSI_ISN_E10value_typeET4_T5_PSS_ST_PNS1_23onesweep_lookback_stateEbbT6_jjT7_P12ihipStream_tbENKUlT_T0_SH_SM_E_clISA_SB_SC_SC_EEDaS10_S11_SH_SM_EUlS10_E_NS1_11comp_targetILNS1_3genE6ELNS1_11target_archE950ELNS1_3gpuE13ELNS1_3repE0EEENS1_47radix_sort_onesweep_sort_config_static_selectorELNS0_4arch9wavefront6targetE0EEEvSH_.num_named_barrier, 0
	.set _ZN7rocprim17ROCPRIM_400000_NS6detail17trampoline_kernelINS0_14default_configENS1_35radix_sort_onesweep_config_selectorI6__halfNS0_10empty_typeEEEZZNS1_29radix_sort_onesweep_iterationIS3_Lb0EPKS5_PS5_PS6_SC_mNS0_19identity_decomposerENS1_16block_id_wrapperIjLb0EEEEE10hipError_tT1_PNSt15iterator_traitsISH_E10value_typeET2_T3_PNSI_ISN_E10value_typeET4_T5_PSS_ST_PNS1_23onesweep_lookback_stateEbbT6_jjT7_P12ihipStream_tbENKUlT_T0_SH_SM_E_clISA_SB_SC_SC_EEDaS10_S11_SH_SM_EUlS10_E_NS1_11comp_targetILNS1_3genE6ELNS1_11target_archE950ELNS1_3gpuE13ELNS1_3repE0EEENS1_47radix_sort_onesweep_sort_config_static_selectorELNS0_4arch9wavefront6targetE0EEEvSH_.private_seg_size, 0
	.set _ZN7rocprim17ROCPRIM_400000_NS6detail17trampoline_kernelINS0_14default_configENS1_35radix_sort_onesweep_config_selectorI6__halfNS0_10empty_typeEEEZZNS1_29radix_sort_onesweep_iterationIS3_Lb0EPKS5_PS5_PS6_SC_mNS0_19identity_decomposerENS1_16block_id_wrapperIjLb0EEEEE10hipError_tT1_PNSt15iterator_traitsISH_E10value_typeET2_T3_PNSI_ISN_E10value_typeET4_T5_PSS_ST_PNS1_23onesweep_lookback_stateEbbT6_jjT7_P12ihipStream_tbENKUlT_T0_SH_SM_E_clISA_SB_SC_SC_EEDaS10_S11_SH_SM_EUlS10_E_NS1_11comp_targetILNS1_3genE6ELNS1_11target_archE950ELNS1_3gpuE13ELNS1_3repE0EEENS1_47radix_sort_onesweep_sort_config_static_selectorELNS0_4arch9wavefront6targetE0EEEvSH_.uses_vcc, 0
	.set _ZN7rocprim17ROCPRIM_400000_NS6detail17trampoline_kernelINS0_14default_configENS1_35radix_sort_onesweep_config_selectorI6__halfNS0_10empty_typeEEEZZNS1_29radix_sort_onesweep_iterationIS3_Lb0EPKS5_PS5_PS6_SC_mNS0_19identity_decomposerENS1_16block_id_wrapperIjLb0EEEEE10hipError_tT1_PNSt15iterator_traitsISH_E10value_typeET2_T3_PNSI_ISN_E10value_typeET4_T5_PSS_ST_PNS1_23onesweep_lookback_stateEbbT6_jjT7_P12ihipStream_tbENKUlT_T0_SH_SM_E_clISA_SB_SC_SC_EEDaS10_S11_SH_SM_EUlS10_E_NS1_11comp_targetILNS1_3genE6ELNS1_11target_archE950ELNS1_3gpuE13ELNS1_3repE0EEENS1_47radix_sort_onesweep_sort_config_static_selectorELNS0_4arch9wavefront6targetE0EEEvSH_.uses_flat_scratch, 0
	.set _ZN7rocprim17ROCPRIM_400000_NS6detail17trampoline_kernelINS0_14default_configENS1_35radix_sort_onesweep_config_selectorI6__halfNS0_10empty_typeEEEZZNS1_29radix_sort_onesweep_iterationIS3_Lb0EPKS5_PS5_PS6_SC_mNS0_19identity_decomposerENS1_16block_id_wrapperIjLb0EEEEE10hipError_tT1_PNSt15iterator_traitsISH_E10value_typeET2_T3_PNSI_ISN_E10value_typeET4_T5_PSS_ST_PNS1_23onesweep_lookback_stateEbbT6_jjT7_P12ihipStream_tbENKUlT_T0_SH_SM_E_clISA_SB_SC_SC_EEDaS10_S11_SH_SM_EUlS10_E_NS1_11comp_targetILNS1_3genE6ELNS1_11target_archE950ELNS1_3gpuE13ELNS1_3repE0EEENS1_47radix_sort_onesweep_sort_config_static_selectorELNS0_4arch9wavefront6targetE0EEEvSH_.has_dyn_sized_stack, 0
	.set _ZN7rocprim17ROCPRIM_400000_NS6detail17trampoline_kernelINS0_14default_configENS1_35radix_sort_onesweep_config_selectorI6__halfNS0_10empty_typeEEEZZNS1_29radix_sort_onesweep_iterationIS3_Lb0EPKS5_PS5_PS6_SC_mNS0_19identity_decomposerENS1_16block_id_wrapperIjLb0EEEEE10hipError_tT1_PNSt15iterator_traitsISH_E10value_typeET2_T3_PNSI_ISN_E10value_typeET4_T5_PSS_ST_PNS1_23onesweep_lookback_stateEbbT6_jjT7_P12ihipStream_tbENKUlT_T0_SH_SM_E_clISA_SB_SC_SC_EEDaS10_S11_SH_SM_EUlS10_E_NS1_11comp_targetILNS1_3genE6ELNS1_11target_archE950ELNS1_3gpuE13ELNS1_3repE0EEENS1_47radix_sort_onesweep_sort_config_static_selectorELNS0_4arch9wavefront6targetE0EEEvSH_.has_recursion, 0
	.set _ZN7rocprim17ROCPRIM_400000_NS6detail17trampoline_kernelINS0_14default_configENS1_35radix_sort_onesweep_config_selectorI6__halfNS0_10empty_typeEEEZZNS1_29radix_sort_onesweep_iterationIS3_Lb0EPKS5_PS5_PS6_SC_mNS0_19identity_decomposerENS1_16block_id_wrapperIjLb0EEEEE10hipError_tT1_PNSt15iterator_traitsISH_E10value_typeET2_T3_PNSI_ISN_E10value_typeET4_T5_PSS_ST_PNS1_23onesweep_lookback_stateEbbT6_jjT7_P12ihipStream_tbENKUlT_T0_SH_SM_E_clISA_SB_SC_SC_EEDaS10_S11_SH_SM_EUlS10_E_NS1_11comp_targetILNS1_3genE6ELNS1_11target_archE950ELNS1_3gpuE13ELNS1_3repE0EEENS1_47radix_sort_onesweep_sort_config_static_selectorELNS0_4arch9wavefront6targetE0EEEvSH_.has_indirect_call, 0
	.section	.AMDGPU.csdata,"",@progbits
; Kernel info:
; codeLenInByte = 0
; TotalNumSgprs: 0
; NumVgprs: 0
; ScratchSize: 0
; MemoryBound: 0
; FloatMode: 240
; IeeeMode: 1
; LDSByteSize: 0 bytes/workgroup (compile time only)
; SGPRBlocks: 0
; VGPRBlocks: 0
; NumSGPRsForWavesPerEU: 1
; NumVGPRsForWavesPerEU: 1
; NamedBarCnt: 0
; Occupancy: 16
; WaveLimiterHint : 0
; COMPUTE_PGM_RSRC2:SCRATCH_EN: 0
; COMPUTE_PGM_RSRC2:USER_SGPR: 2
; COMPUTE_PGM_RSRC2:TRAP_HANDLER: 0
; COMPUTE_PGM_RSRC2:TGID_X_EN: 1
; COMPUTE_PGM_RSRC2:TGID_Y_EN: 0
; COMPUTE_PGM_RSRC2:TGID_Z_EN: 0
; COMPUTE_PGM_RSRC2:TIDIG_COMP_CNT: 0
	.section	.text._ZN7rocprim17ROCPRIM_400000_NS6detail17trampoline_kernelINS0_14default_configENS1_35radix_sort_onesweep_config_selectorI6__halfNS0_10empty_typeEEEZZNS1_29radix_sort_onesweep_iterationIS3_Lb0EPKS5_PS5_PS6_SC_mNS0_19identity_decomposerENS1_16block_id_wrapperIjLb0EEEEE10hipError_tT1_PNSt15iterator_traitsISH_E10value_typeET2_T3_PNSI_ISN_E10value_typeET4_T5_PSS_ST_PNS1_23onesweep_lookback_stateEbbT6_jjT7_P12ihipStream_tbENKUlT_T0_SH_SM_E_clISA_SB_SC_SC_EEDaS10_S11_SH_SM_EUlS10_E_NS1_11comp_targetILNS1_3genE5ELNS1_11target_archE942ELNS1_3gpuE9ELNS1_3repE0EEENS1_47radix_sort_onesweep_sort_config_static_selectorELNS0_4arch9wavefront6targetE0EEEvSH_,"axG",@progbits,_ZN7rocprim17ROCPRIM_400000_NS6detail17trampoline_kernelINS0_14default_configENS1_35radix_sort_onesweep_config_selectorI6__halfNS0_10empty_typeEEEZZNS1_29radix_sort_onesweep_iterationIS3_Lb0EPKS5_PS5_PS6_SC_mNS0_19identity_decomposerENS1_16block_id_wrapperIjLb0EEEEE10hipError_tT1_PNSt15iterator_traitsISH_E10value_typeET2_T3_PNSI_ISN_E10value_typeET4_T5_PSS_ST_PNS1_23onesweep_lookback_stateEbbT6_jjT7_P12ihipStream_tbENKUlT_T0_SH_SM_E_clISA_SB_SC_SC_EEDaS10_S11_SH_SM_EUlS10_E_NS1_11comp_targetILNS1_3genE5ELNS1_11target_archE942ELNS1_3gpuE9ELNS1_3repE0EEENS1_47radix_sort_onesweep_sort_config_static_selectorELNS0_4arch9wavefront6targetE0EEEvSH_,comdat
	.protected	_ZN7rocprim17ROCPRIM_400000_NS6detail17trampoline_kernelINS0_14default_configENS1_35radix_sort_onesweep_config_selectorI6__halfNS0_10empty_typeEEEZZNS1_29radix_sort_onesweep_iterationIS3_Lb0EPKS5_PS5_PS6_SC_mNS0_19identity_decomposerENS1_16block_id_wrapperIjLb0EEEEE10hipError_tT1_PNSt15iterator_traitsISH_E10value_typeET2_T3_PNSI_ISN_E10value_typeET4_T5_PSS_ST_PNS1_23onesweep_lookback_stateEbbT6_jjT7_P12ihipStream_tbENKUlT_T0_SH_SM_E_clISA_SB_SC_SC_EEDaS10_S11_SH_SM_EUlS10_E_NS1_11comp_targetILNS1_3genE5ELNS1_11target_archE942ELNS1_3gpuE9ELNS1_3repE0EEENS1_47radix_sort_onesweep_sort_config_static_selectorELNS0_4arch9wavefront6targetE0EEEvSH_ ; -- Begin function _ZN7rocprim17ROCPRIM_400000_NS6detail17trampoline_kernelINS0_14default_configENS1_35radix_sort_onesweep_config_selectorI6__halfNS0_10empty_typeEEEZZNS1_29radix_sort_onesweep_iterationIS3_Lb0EPKS5_PS5_PS6_SC_mNS0_19identity_decomposerENS1_16block_id_wrapperIjLb0EEEEE10hipError_tT1_PNSt15iterator_traitsISH_E10value_typeET2_T3_PNSI_ISN_E10value_typeET4_T5_PSS_ST_PNS1_23onesweep_lookback_stateEbbT6_jjT7_P12ihipStream_tbENKUlT_T0_SH_SM_E_clISA_SB_SC_SC_EEDaS10_S11_SH_SM_EUlS10_E_NS1_11comp_targetILNS1_3genE5ELNS1_11target_archE942ELNS1_3gpuE9ELNS1_3repE0EEENS1_47radix_sort_onesweep_sort_config_static_selectorELNS0_4arch9wavefront6targetE0EEEvSH_
	.globl	_ZN7rocprim17ROCPRIM_400000_NS6detail17trampoline_kernelINS0_14default_configENS1_35radix_sort_onesweep_config_selectorI6__halfNS0_10empty_typeEEEZZNS1_29radix_sort_onesweep_iterationIS3_Lb0EPKS5_PS5_PS6_SC_mNS0_19identity_decomposerENS1_16block_id_wrapperIjLb0EEEEE10hipError_tT1_PNSt15iterator_traitsISH_E10value_typeET2_T3_PNSI_ISN_E10value_typeET4_T5_PSS_ST_PNS1_23onesweep_lookback_stateEbbT6_jjT7_P12ihipStream_tbENKUlT_T0_SH_SM_E_clISA_SB_SC_SC_EEDaS10_S11_SH_SM_EUlS10_E_NS1_11comp_targetILNS1_3genE5ELNS1_11target_archE942ELNS1_3gpuE9ELNS1_3repE0EEENS1_47radix_sort_onesweep_sort_config_static_selectorELNS0_4arch9wavefront6targetE0EEEvSH_
	.p2align	8
	.type	_ZN7rocprim17ROCPRIM_400000_NS6detail17trampoline_kernelINS0_14default_configENS1_35radix_sort_onesweep_config_selectorI6__halfNS0_10empty_typeEEEZZNS1_29radix_sort_onesweep_iterationIS3_Lb0EPKS5_PS5_PS6_SC_mNS0_19identity_decomposerENS1_16block_id_wrapperIjLb0EEEEE10hipError_tT1_PNSt15iterator_traitsISH_E10value_typeET2_T3_PNSI_ISN_E10value_typeET4_T5_PSS_ST_PNS1_23onesweep_lookback_stateEbbT6_jjT7_P12ihipStream_tbENKUlT_T0_SH_SM_E_clISA_SB_SC_SC_EEDaS10_S11_SH_SM_EUlS10_E_NS1_11comp_targetILNS1_3genE5ELNS1_11target_archE942ELNS1_3gpuE9ELNS1_3repE0EEENS1_47radix_sort_onesweep_sort_config_static_selectorELNS0_4arch9wavefront6targetE0EEEvSH_,@function
_ZN7rocprim17ROCPRIM_400000_NS6detail17trampoline_kernelINS0_14default_configENS1_35radix_sort_onesweep_config_selectorI6__halfNS0_10empty_typeEEEZZNS1_29radix_sort_onesweep_iterationIS3_Lb0EPKS5_PS5_PS6_SC_mNS0_19identity_decomposerENS1_16block_id_wrapperIjLb0EEEEE10hipError_tT1_PNSt15iterator_traitsISH_E10value_typeET2_T3_PNSI_ISN_E10value_typeET4_T5_PSS_ST_PNS1_23onesweep_lookback_stateEbbT6_jjT7_P12ihipStream_tbENKUlT_T0_SH_SM_E_clISA_SB_SC_SC_EEDaS10_S11_SH_SM_EUlS10_E_NS1_11comp_targetILNS1_3genE5ELNS1_11target_archE942ELNS1_3gpuE9ELNS1_3repE0EEENS1_47radix_sort_onesweep_sort_config_static_selectorELNS0_4arch9wavefront6targetE0EEEvSH_: ; @_ZN7rocprim17ROCPRIM_400000_NS6detail17trampoline_kernelINS0_14default_configENS1_35radix_sort_onesweep_config_selectorI6__halfNS0_10empty_typeEEEZZNS1_29radix_sort_onesweep_iterationIS3_Lb0EPKS5_PS5_PS6_SC_mNS0_19identity_decomposerENS1_16block_id_wrapperIjLb0EEEEE10hipError_tT1_PNSt15iterator_traitsISH_E10value_typeET2_T3_PNSI_ISN_E10value_typeET4_T5_PSS_ST_PNS1_23onesweep_lookback_stateEbbT6_jjT7_P12ihipStream_tbENKUlT_T0_SH_SM_E_clISA_SB_SC_SC_EEDaS10_S11_SH_SM_EUlS10_E_NS1_11comp_targetILNS1_3genE5ELNS1_11target_archE942ELNS1_3gpuE9ELNS1_3repE0EEENS1_47radix_sort_onesweep_sort_config_static_selectorELNS0_4arch9wavefront6targetE0EEEvSH_
; %bb.0:
	.section	.rodata,"a",@progbits
	.p2align	6, 0x0
	.amdhsa_kernel _ZN7rocprim17ROCPRIM_400000_NS6detail17trampoline_kernelINS0_14default_configENS1_35radix_sort_onesweep_config_selectorI6__halfNS0_10empty_typeEEEZZNS1_29radix_sort_onesweep_iterationIS3_Lb0EPKS5_PS5_PS6_SC_mNS0_19identity_decomposerENS1_16block_id_wrapperIjLb0EEEEE10hipError_tT1_PNSt15iterator_traitsISH_E10value_typeET2_T3_PNSI_ISN_E10value_typeET4_T5_PSS_ST_PNS1_23onesweep_lookback_stateEbbT6_jjT7_P12ihipStream_tbENKUlT_T0_SH_SM_E_clISA_SB_SC_SC_EEDaS10_S11_SH_SM_EUlS10_E_NS1_11comp_targetILNS1_3genE5ELNS1_11target_archE942ELNS1_3gpuE9ELNS1_3repE0EEENS1_47radix_sort_onesweep_sort_config_static_selectorELNS0_4arch9wavefront6targetE0EEEvSH_
		.amdhsa_group_segment_fixed_size 0
		.amdhsa_private_segment_fixed_size 0
		.amdhsa_kernarg_size 88
		.amdhsa_user_sgpr_count 2
		.amdhsa_user_sgpr_dispatch_ptr 0
		.amdhsa_user_sgpr_queue_ptr 0
		.amdhsa_user_sgpr_kernarg_segment_ptr 1
		.amdhsa_user_sgpr_dispatch_id 0
		.amdhsa_user_sgpr_kernarg_preload_length 0
		.amdhsa_user_sgpr_kernarg_preload_offset 0
		.amdhsa_user_sgpr_private_segment_size 0
		.amdhsa_wavefront_size32 1
		.amdhsa_uses_dynamic_stack 0
		.amdhsa_enable_private_segment 0
		.amdhsa_system_sgpr_workgroup_id_x 1
		.amdhsa_system_sgpr_workgroup_id_y 0
		.amdhsa_system_sgpr_workgroup_id_z 0
		.amdhsa_system_sgpr_workgroup_info 0
		.amdhsa_system_vgpr_workitem_id 0
		.amdhsa_next_free_vgpr 1
		.amdhsa_next_free_sgpr 1
		.amdhsa_named_barrier_count 0
		.amdhsa_reserve_vcc 0
		.amdhsa_float_round_mode_32 0
		.amdhsa_float_round_mode_16_64 0
		.amdhsa_float_denorm_mode_32 3
		.amdhsa_float_denorm_mode_16_64 3
		.amdhsa_fp16_overflow 0
		.amdhsa_memory_ordered 1
		.amdhsa_forward_progress 1
		.amdhsa_inst_pref_size 0
		.amdhsa_round_robin_scheduling 0
		.amdhsa_exception_fp_ieee_invalid_op 0
		.amdhsa_exception_fp_denorm_src 0
		.amdhsa_exception_fp_ieee_div_zero 0
		.amdhsa_exception_fp_ieee_overflow 0
		.amdhsa_exception_fp_ieee_underflow 0
		.amdhsa_exception_fp_ieee_inexact 0
		.amdhsa_exception_int_div_zero 0
	.end_amdhsa_kernel
	.section	.text._ZN7rocprim17ROCPRIM_400000_NS6detail17trampoline_kernelINS0_14default_configENS1_35radix_sort_onesweep_config_selectorI6__halfNS0_10empty_typeEEEZZNS1_29radix_sort_onesweep_iterationIS3_Lb0EPKS5_PS5_PS6_SC_mNS0_19identity_decomposerENS1_16block_id_wrapperIjLb0EEEEE10hipError_tT1_PNSt15iterator_traitsISH_E10value_typeET2_T3_PNSI_ISN_E10value_typeET4_T5_PSS_ST_PNS1_23onesweep_lookback_stateEbbT6_jjT7_P12ihipStream_tbENKUlT_T0_SH_SM_E_clISA_SB_SC_SC_EEDaS10_S11_SH_SM_EUlS10_E_NS1_11comp_targetILNS1_3genE5ELNS1_11target_archE942ELNS1_3gpuE9ELNS1_3repE0EEENS1_47radix_sort_onesweep_sort_config_static_selectorELNS0_4arch9wavefront6targetE0EEEvSH_,"axG",@progbits,_ZN7rocprim17ROCPRIM_400000_NS6detail17trampoline_kernelINS0_14default_configENS1_35radix_sort_onesweep_config_selectorI6__halfNS0_10empty_typeEEEZZNS1_29radix_sort_onesweep_iterationIS3_Lb0EPKS5_PS5_PS6_SC_mNS0_19identity_decomposerENS1_16block_id_wrapperIjLb0EEEEE10hipError_tT1_PNSt15iterator_traitsISH_E10value_typeET2_T3_PNSI_ISN_E10value_typeET4_T5_PSS_ST_PNS1_23onesweep_lookback_stateEbbT6_jjT7_P12ihipStream_tbENKUlT_T0_SH_SM_E_clISA_SB_SC_SC_EEDaS10_S11_SH_SM_EUlS10_E_NS1_11comp_targetILNS1_3genE5ELNS1_11target_archE942ELNS1_3gpuE9ELNS1_3repE0EEENS1_47radix_sort_onesweep_sort_config_static_selectorELNS0_4arch9wavefront6targetE0EEEvSH_,comdat
.Lfunc_end2270:
	.size	_ZN7rocprim17ROCPRIM_400000_NS6detail17trampoline_kernelINS0_14default_configENS1_35radix_sort_onesweep_config_selectorI6__halfNS0_10empty_typeEEEZZNS1_29radix_sort_onesweep_iterationIS3_Lb0EPKS5_PS5_PS6_SC_mNS0_19identity_decomposerENS1_16block_id_wrapperIjLb0EEEEE10hipError_tT1_PNSt15iterator_traitsISH_E10value_typeET2_T3_PNSI_ISN_E10value_typeET4_T5_PSS_ST_PNS1_23onesweep_lookback_stateEbbT6_jjT7_P12ihipStream_tbENKUlT_T0_SH_SM_E_clISA_SB_SC_SC_EEDaS10_S11_SH_SM_EUlS10_E_NS1_11comp_targetILNS1_3genE5ELNS1_11target_archE942ELNS1_3gpuE9ELNS1_3repE0EEENS1_47radix_sort_onesweep_sort_config_static_selectorELNS0_4arch9wavefront6targetE0EEEvSH_, .Lfunc_end2270-_ZN7rocprim17ROCPRIM_400000_NS6detail17trampoline_kernelINS0_14default_configENS1_35radix_sort_onesweep_config_selectorI6__halfNS0_10empty_typeEEEZZNS1_29radix_sort_onesweep_iterationIS3_Lb0EPKS5_PS5_PS6_SC_mNS0_19identity_decomposerENS1_16block_id_wrapperIjLb0EEEEE10hipError_tT1_PNSt15iterator_traitsISH_E10value_typeET2_T3_PNSI_ISN_E10value_typeET4_T5_PSS_ST_PNS1_23onesweep_lookback_stateEbbT6_jjT7_P12ihipStream_tbENKUlT_T0_SH_SM_E_clISA_SB_SC_SC_EEDaS10_S11_SH_SM_EUlS10_E_NS1_11comp_targetILNS1_3genE5ELNS1_11target_archE942ELNS1_3gpuE9ELNS1_3repE0EEENS1_47radix_sort_onesweep_sort_config_static_selectorELNS0_4arch9wavefront6targetE0EEEvSH_
                                        ; -- End function
	.set _ZN7rocprim17ROCPRIM_400000_NS6detail17trampoline_kernelINS0_14default_configENS1_35radix_sort_onesweep_config_selectorI6__halfNS0_10empty_typeEEEZZNS1_29radix_sort_onesweep_iterationIS3_Lb0EPKS5_PS5_PS6_SC_mNS0_19identity_decomposerENS1_16block_id_wrapperIjLb0EEEEE10hipError_tT1_PNSt15iterator_traitsISH_E10value_typeET2_T3_PNSI_ISN_E10value_typeET4_T5_PSS_ST_PNS1_23onesweep_lookback_stateEbbT6_jjT7_P12ihipStream_tbENKUlT_T0_SH_SM_E_clISA_SB_SC_SC_EEDaS10_S11_SH_SM_EUlS10_E_NS1_11comp_targetILNS1_3genE5ELNS1_11target_archE942ELNS1_3gpuE9ELNS1_3repE0EEENS1_47radix_sort_onesweep_sort_config_static_selectorELNS0_4arch9wavefront6targetE0EEEvSH_.num_vgpr, 0
	.set _ZN7rocprim17ROCPRIM_400000_NS6detail17trampoline_kernelINS0_14default_configENS1_35radix_sort_onesweep_config_selectorI6__halfNS0_10empty_typeEEEZZNS1_29radix_sort_onesweep_iterationIS3_Lb0EPKS5_PS5_PS6_SC_mNS0_19identity_decomposerENS1_16block_id_wrapperIjLb0EEEEE10hipError_tT1_PNSt15iterator_traitsISH_E10value_typeET2_T3_PNSI_ISN_E10value_typeET4_T5_PSS_ST_PNS1_23onesweep_lookback_stateEbbT6_jjT7_P12ihipStream_tbENKUlT_T0_SH_SM_E_clISA_SB_SC_SC_EEDaS10_S11_SH_SM_EUlS10_E_NS1_11comp_targetILNS1_3genE5ELNS1_11target_archE942ELNS1_3gpuE9ELNS1_3repE0EEENS1_47radix_sort_onesweep_sort_config_static_selectorELNS0_4arch9wavefront6targetE0EEEvSH_.num_agpr, 0
	.set _ZN7rocprim17ROCPRIM_400000_NS6detail17trampoline_kernelINS0_14default_configENS1_35radix_sort_onesweep_config_selectorI6__halfNS0_10empty_typeEEEZZNS1_29radix_sort_onesweep_iterationIS3_Lb0EPKS5_PS5_PS6_SC_mNS0_19identity_decomposerENS1_16block_id_wrapperIjLb0EEEEE10hipError_tT1_PNSt15iterator_traitsISH_E10value_typeET2_T3_PNSI_ISN_E10value_typeET4_T5_PSS_ST_PNS1_23onesweep_lookback_stateEbbT6_jjT7_P12ihipStream_tbENKUlT_T0_SH_SM_E_clISA_SB_SC_SC_EEDaS10_S11_SH_SM_EUlS10_E_NS1_11comp_targetILNS1_3genE5ELNS1_11target_archE942ELNS1_3gpuE9ELNS1_3repE0EEENS1_47radix_sort_onesweep_sort_config_static_selectorELNS0_4arch9wavefront6targetE0EEEvSH_.numbered_sgpr, 0
	.set _ZN7rocprim17ROCPRIM_400000_NS6detail17trampoline_kernelINS0_14default_configENS1_35radix_sort_onesweep_config_selectorI6__halfNS0_10empty_typeEEEZZNS1_29radix_sort_onesweep_iterationIS3_Lb0EPKS5_PS5_PS6_SC_mNS0_19identity_decomposerENS1_16block_id_wrapperIjLb0EEEEE10hipError_tT1_PNSt15iterator_traitsISH_E10value_typeET2_T3_PNSI_ISN_E10value_typeET4_T5_PSS_ST_PNS1_23onesweep_lookback_stateEbbT6_jjT7_P12ihipStream_tbENKUlT_T0_SH_SM_E_clISA_SB_SC_SC_EEDaS10_S11_SH_SM_EUlS10_E_NS1_11comp_targetILNS1_3genE5ELNS1_11target_archE942ELNS1_3gpuE9ELNS1_3repE0EEENS1_47radix_sort_onesweep_sort_config_static_selectorELNS0_4arch9wavefront6targetE0EEEvSH_.num_named_barrier, 0
	.set _ZN7rocprim17ROCPRIM_400000_NS6detail17trampoline_kernelINS0_14default_configENS1_35radix_sort_onesweep_config_selectorI6__halfNS0_10empty_typeEEEZZNS1_29radix_sort_onesweep_iterationIS3_Lb0EPKS5_PS5_PS6_SC_mNS0_19identity_decomposerENS1_16block_id_wrapperIjLb0EEEEE10hipError_tT1_PNSt15iterator_traitsISH_E10value_typeET2_T3_PNSI_ISN_E10value_typeET4_T5_PSS_ST_PNS1_23onesweep_lookback_stateEbbT6_jjT7_P12ihipStream_tbENKUlT_T0_SH_SM_E_clISA_SB_SC_SC_EEDaS10_S11_SH_SM_EUlS10_E_NS1_11comp_targetILNS1_3genE5ELNS1_11target_archE942ELNS1_3gpuE9ELNS1_3repE0EEENS1_47radix_sort_onesweep_sort_config_static_selectorELNS0_4arch9wavefront6targetE0EEEvSH_.private_seg_size, 0
	.set _ZN7rocprim17ROCPRIM_400000_NS6detail17trampoline_kernelINS0_14default_configENS1_35radix_sort_onesweep_config_selectorI6__halfNS0_10empty_typeEEEZZNS1_29radix_sort_onesweep_iterationIS3_Lb0EPKS5_PS5_PS6_SC_mNS0_19identity_decomposerENS1_16block_id_wrapperIjLb0EEEEE10hipError_tT1_PNSt15iterator_traitsISH_E10value_typeET2_T3_PNSI_ISN_E10value_typeET4_T5_PSS_ST_PNS1_23onesweep_lookback_stateEbbT6_jjT7_P12ihipStream_tbENKUlT_T0_SH_SM_E_clISA_SB_SC_SC_EEDaS10_S11_SH_SM_EUlS10_E_NS1_11comp_targetILNS1_3genE5ELNS1_11target_archE942ELNS1_3gpuE9ELNS1_3repE0EEENS1_47radix_sort_onesweep_sort_config_static_selectorELNS0_4arch9wavefront6targetE0EEEvSH_.uses_vcc, 0
	.set _ZN7rocprim17ROCPRIM_400000_NS6detail17trampoline_kernelINS0_14default_configENS1_35radix_sort_onesweep_config_selectorI6__halfNS0_10empty_typeEEEZZNS1_29radix_sort_onesweep_iterationIS3_Lb0EPKS5_PS5_PS6_SC_mNS0_19identity_decomposerENS1_16block_id_wrapperIjLb0EEEEE10hipError_tT1_PNSt15iterator_traitsISH_E10value_typeET2_T3_PNSI_ISN_E10value_typeET4_T5_PSS_ST_PNS1_23onesweep_lookback_stateEbbT6_jjT7_P12ihipStream_tbENKUlT_T0_SH_SM_E_clISA_SB_SC_SC_EEDaS10_S11_SH_SM_EUlS10_E_NS1_11comp_targetILNS1_3genE5ELNS1_11target_archE942ELNS1_3gpuE9ELNS1_3repE0EEENS1_47radix_sort_onesweep_sort_config_static_selectorELNS0_4arch9wavefront6targetE0EEEvSH_.uses_flat_scratch, 0
	.set _ZN7rocprim17ROCPRIM_400000_NS6detail17trampoline_kernelINS0_14default_configENS1_35radix_sort_onesweep_config_selectorI6__halfNS0_10empty_typeEEEZZNS1_29radix_sort_onesweep_iterationIS3_Lb0EPKS5_PS5_PS6_SC_mNS0_19identity_decomposerENS1_16block_id_wrapperIjLb0EEEEE10hipError_tT1_PNSt15iterator_traitsISH_E10value_typeET2_T3_PNSI_ISN_E10value_typeET4_T5_PSS_ST_PNS1_23onesweep_lookback_stateEbbT6_jjT7_P12ihipStream_tbENKUlT_T0_SH_SM_E_clISA_SB_SC_SC_EEDaS10_S11_SH_SM_EUlS10_E_NS1_11comp_targetILNS1_3genE5ELNS1_11target_archE942ELNS1_3gpuE9ELNS1_3repE0EEENS1_47radix_sort_onesweep_sort_config_static_selectorELNS0_4arch9wavefront6targetE0EEEvSH_.has_dyn_sized_stack, 0
	.set _ZN7rocprim17ROCPRIM_400000_NS6detail17trampoline_kernelINS0_14default_configENS1_35radix_sort_onesweep_config_selectorI6__halfNS0_10empty_typeEEEZZNS1_29radix_sort_onesweep_iterationIS3_Lb0EPKS5_PS5_PS6_SC_mNS0_19identity_decomposerENS1_16block_id_wrapperIjLb0EEEEE10hipError_tT1_PNSt15iterator_traitsISH_E10value_typeET2_T3_PNSI_ISN_E10value_typeET4_T5_PSS_ST_PNS1_23onesweep_lookback_stateEbbT6_jjT7_P12ihipStream_tbENKUlT_T0_SH_SM_E_clISA_SB_SC_SC_EEDaS10_S11_SH_SM_EUlS10_E_NS1_11comp_targetILNS1_3genE5ELNS1_11target_archE942ELNS1_3gpuE9ELNS1_3repE0EEENS1_47radix_sort_onesweep_sort_config_static_selectorELNS0_4arch9wavefront6targetE0EEEvSH_.has_recursion, 0
	.set _ZN7rocprim17ROCPRIM_400000_NS6detail17trampoline_kernelINS0_14default_configENS1_35radix_sort_onesweep_config_selectorI6__halfNS0_10empty_typeEEEZZNS1_29radix_sort_onesweep_iterationIS3_Lb0EPKS5_PS5_PS6_SC_mNS0_19identity_decomposerENS1_16block_id_wrapperIjLb0EEEEE10hipError_tT1_PNSt15iterator_traitsISH_E10value_typeET2_T3_PNSI_ISN_E10value_typeET4_T5_PSS_ST_PNS1_23onesweep_lookback_stateEbbT6_jjT7_P12ihipStream_tbENKUlT_T0_SH_SM_E_clISA_SB_SC_SC_EEDaS10_S11_SH_SM_EUlS10_E_NS1_11comp_targetILNS1_3genE5ELNS1_11target_archE942ELNS1_3gpuE9ELNS1_3repE0EEENS1_47radix_sort_onesweep_sort_config_static_selectorELNS0_4arch9wavefront6targetE0EEEvSH_.has_indirect_call, 0
	.section	.AMDGPU.csdata,"",@progbits
; Kernel info:
; codeLenInByte = 0
; TotalNumSgprs: 0
; NumVgprs: 0
; ScratchSize: 0
; MemoryBound: 0
; FloatMode: 240
; IeeeMode: 1
; LDSByteSize: 0 bytes/workgroup (compile time only)
; SGPRBlocks: 0
; VGPRBlocks: 0
; NumSGPRsForWavesPerEU: 1
; NumVGPRsForWavesPerEU: 1
; NamedBarCnt: 0
; Occupancy: 16
; WaveLimiterHint : 0
; COMPUTE_PGM_RSRC2:SCRATCH_EN: 0
; COMPUTE_PGM_RSRC2:USER_SGPR: 2
; COMPUTE_PGM_RSRC2:TRAP_HANDLER: 0
; COMPUTE_PGM_RSRC2:TGID_X_EN: 1
; COMPUTE_PGM_RSRC2:TGID_Y_EN: 0
; COMPUTE_PGM_RSRC2:TGID_Z_EN: 0
; COMPUTE_PGM_RSRC2:TIDIG_COMP_CNT: 0
	.section	.text._ZN7rocprim17ROCPRIM_400000_NS6detail17trampoline_kernelINS0_14default_configENS1_35radix_sort_onesweep_config_selectorI6__halfNS0_10empty_typeEEEZZNS1_29radix_sort_onesweep_iterationIS3_Lb0EPKS5_PS5_PS6_SC_mNS0_19identity_decomposerENS1_16block_id_wrapperIjLb0EEEEE10hipError_tT1_PNSt15iterator_traitsISH_E10value_typeET2_T3_PNSI_ISN_E10value_typeET4_T5_PSS_ST_PNS1_23onesweep_lookback_stateEbbT6_jjT7_P12ihipStream_tbENKUlT_T0_SH_SM_E_clISA_SB_SC_SC_EEDaS10_S11_SH_SM_EUlS10_E_NS1_11comp_targetILNS1_3genE2ELNS1_11target_archE906ELNS1_3gpuE6ELNS1_3repE0EEENS1_47radix_sort_onesweep_sort_config_static_selectorELNS0_4arch9wavefront6targetE0EEEvSH_,"axG",@progbits,_ZN7rocprim17ROCPRIM_400000_NS6detail17trampoline_kernelINS0_14default_configENS1_35radix_sort_onesweep_config_selectorI6__halfNS0_10empty_typeEEEZZNS1_29radix_sort_onesweep_iterationIS3_Lb0EPKS5_PS5_PS6_SC_mNS0_19identity_decomposerENS1_16block_id_wrapperIjLb0EEEEE10hipError_tT1_PNSt15iterator_traitsISH_E10value_typeET2_T3_PNSI_ISN_E10value_typeET4_T5_PSS_ST_PNS1_23onesweep_lookback_stateEbbT6_jjT7_P12ihipStream_tbENKUlT_T0_SH_SM_E_clISA_SB_SC_SC_EEDaS10_S11_SH_SM_EUlS10_E_NS1_11comp_targetILNS1_3genE2ELNS1_11target_archE906ELNS1_3gpuE6ELNS1_3repE0EEENS1_47radix_sort_onesweep_sort_config_static_selectorELNS0_4arch9wavefront6targetE0EEEvSH_,comdat
	.protected	_ZN7rocprim17ROCPRIM_400000_NS6detail17trampoline_kernelINS0_14default_configENS1_35radix_sort_onesweep_config_selectorI6__halfNS0_10empty_typeEEEZZNS1_29radix_sort_onesweep_iterationIS3_Lb0EPKS5_PS5_PS6_SC_mNS0_19identity_decomposerENS1_16block_id_wrapperIjLb0EEEEE10hipError_tT1_PNSt15iterator_traitsISH_E10value_typeET2_T3_PNSI_ISN_E10value_typeET4_T5_PSS_ST_PNS1_23onesweep_lookback_stateEbbT6_jjT7_P12ihipStream_tbENKUlT_T0_SH_SM_E_clISA_SB_SC_SC_EEDaS10_S11_SH_SM_EUlS10_E_NS1_11comp_targetILNS1_3genE2ELNS1_11target_archE906ELNS1_3gpuE6ELNS1_3repE0EEENS1_47radix_sort_onesweep_sort_config_static_selectorELNS0_4arch9wavefront6targetE0EEEvSH_ ; -- Begin function _ZN7rocprim17ROCPRIM_400000_NS6detail17trampoline_kernelINS0_14default_configENS1_35radix_sort_onesweep_config_selectorI6__halfNS0_10empty_typeEEEZZNS1_29radix_sort_onesweep_iterationIS3_Lb0EPKS5_PS5_PS6_SC_mNS0_19identity_decomposerENS1_16block_id_wrapperIjLb0EEEEE10hipError_tT1_PNSt15iterator_traitsISH_E10value_typeET2_T3_PNSI_ISN_E10value_typeET4_T5_PSS_ST_PNS1_23onesweep_lookback_stateEbbT6_jjT7_P12ihipStream_tbENKUlT_T0_SH_SM_E_clISA_SB_SC_SC_EEDaS10_S11_SH_SM_EUlS10_E_NS1_11comp_targetILNS1_3genE2ELNS1_11target_archE906ELNS1_3gpuE6ELNS1_3repE0EEENS1_47radix_sort_onesweep_sort_config_static_selectorELNS0_4arch9wavefront6targetE0EEEvSH_
	.globl	_ZN7rocprim17ROCPRIM_400000_NS6detail17trampoline_kernelINS0_14default_configENS1_35radix_sort_onesweep_config_selectorI6__halfNS0_10empty_typeEEEZZNS1_29radix_sort_onesweep_iterationIS3_Lb0EPKS5_PS5_PS6_SC_mNS0_19identity_decomposerENS1_16block_id_wrapperIjLb0EEEEE10hipError_tT1_PNSt15iterator_traitsISH_E10value_typeET2_T3_PNSI_ISN_E10value_typeET4_T5_PSS_ST_PNS1_23onesweep_lookback_stateEbbT6_jjT7_P12ihipStream_tbENKUlT_T0_SH_SM_E_clISA_SB_SC_SC_EEDaS10_S11_SH_SM_EUlS10_E_NS1_11comp_targetILNS1_3genE2ELNS1_11target_archE906ELNS1_3gpuE6ELNS1_3repE0EEENS1_47radix_sort_onesweep_sort_config_static_selectorELNS0_4arch9wavefront6targetE0EEEvSH_
	.p2align	8
	.type	_ZN7rocprim17ROCPRIM_400000_NS6detail17trampoline_kernelINS0_14default_configENS1_35radix_sort_onesweep_config_selectorI6__halfNS0_10empty_typeEEEZZNS1_29radix_sort_onesweep_iterationIS3_Lb0EPKS5_PS5_PS6_SC_mNS0_19identity_decomposerENS1_16block_id_wrapperIjLb0EEEEE10hipError_tT1_PNSt15iterator_traitsISH_E10value_typeET2_T3_PNSI_ISN_E10value_typeET4_T5_PSS_ST_PNS1_23onesweep_lookback_stateEbbT6_jjT7_P12ihipStream_tbENKUlT_T0_SH_SM_E_clISA_SB_SC_SC_EEDaS10_S11_SH_SM_EUlS10_E_NS1_11comp_targetILNS1_3genE2ELNS1_11target_archE906ELNS1_3gpuE6ELNS1_3repE0EEENS1_47radix_sort_onesweep_sort_config_static_selectorELNS0_4arch9wavefront6targetE0EEEvSH_,@function
_ZN7rocprim17ROCPRIM_400000_NS6detail17trampoline_kernelINS0_14default_configENS1_35radix_sort_onesweep_config_selectorI6__halfNS0_10empty_typeEEEZZNS1_29radix_sort_onesweep_iterationIS3_Lb0EPKS5_PS5_PS6_SC_mNS0_19identity_decomposerENS1_16block_id_wrapperIjLb0EEEEE10hipError_tT1_PNSt15iterator_traitsISH_E10value_typeET2_T3_PNSI_ISN_E10value_typeET4_T5_PSS_ST_PNS1_23onesweep_lookback_stateEbbT6_jjT7_P12ihipStream_tbENKUlT_T0_SH_SM_E_clISA_SB_SC_SC_EEDaS10_S11_SH_SM_EUlS10_E_NS1_11comp_targetILNS1_3genE2ELNS1_11target_archE906ELNS1_3gpuE6ELNS1_3repE0EEENS1_47radix_sort_onesweep_sort_config_static_selectorELNS0_4arch9wavefront6targetE0EEEvSH_: ; @_ZN7rocprim17ROCPRIM_400000_NS6detail17trampoline_kernelINS0_14default_configENS1_35radix_sort_onesweep_config_selectorI6__halfNS0_10empty_typeEEEZZNS1_29radix_sort_onesweep_iterationIS3_Lb0EPKS5_PS5_PS6_SC_mNS0_19identity_decomposerENS1_16block_id_wrapperIjLb0EEEEE10hipError_tT1_PNSt15iterator_traitsISH_E10value_typeET2_T3_PNSI_ISN_E10value_typeET4_T5_PSS_ST_PNS1_23onesweep_lookback_stateEbbT6_jjT7_P12ihipStream_tbENKUlT_T0_SH_SM_E_clISA_SB_SC_SC_EEDaS10_S11_SH_SM_EUlS10_E_NS1_11comp_targetILNS1_3genE2ELNS1_11target_archE906ELNS1_3gpuE6ELNS1_3repE0EEENS1_47radix_sort_onesweep_sort_config_static_selectorELNS0_4arch9wavefront6targetE0EEEvSH_
; %bb.0:
	.section	.rodata,"a",@progbits
	.p2align	6, 0x0
	.amdhsa_kernel _ZN7rocprim17ROCPRIM_400000_NS6detail17trampoline_kernelINS0_14default_configENS1_35radix_sort_onesweep_config_selectorI6__halfNS0_10empty_typeEEEZZNS1_29radix_sort_onesweep_iterationIS3_Lb0EPKS5_PS5_PS6_SC_mNS0_19identity_decomposerENS1_16block_id_wrapperIjLb0EEEEE10hipError_tT1_PNSt15iterator_traitsISH_E10value_typeET2_T3_PNSI_ISN_E10value_typeET4_T5_PSS_ST_PNS1_23onesweep_lookback_stateEbbT6_jjT7_P12ihipStream_tbENKUlT_T0_SH_SM_E_clISA_SB_SC_SC_EEDaS10_S11_SH_SM_EUlS10_E_NS1_11comp_targetILNS1_3genE2ELNS1_11target_archE906ELNS1_3gpuE6ELNS1_3repE0EEENS1_47radix_sort_onesweep_sort_config_static_selectorELNS0_4arch9wavefront6targetE0EEEvSH_
		.amdhsa_group_segment_fixed_size 0
		.amdhsa_private_segment_fixed_size 0
		.amdhsa_kernarg_size 88
		.amdhsa_user_sgpr_count 2
		.amdhsa_user_sgpr_dispatch_ptr 0
		.amdhsa_user_sgpr_queue_ptr 0
		.amdhsa_user_sgpr_kernarg_segment_ptr 1
		.amdhsa_user_sgpr_dispatch_id 0
		.amdhsa_user_sgpr_kernarg_preload_length 0
		.amdhsa_user_sgpr_kernarg_preload_offset 0
		.amdhsa_user_sgpr_private_segment_size 0
		.amdhsa_wavefront_size32 1
		.amdhsa_uses_dynamic_stack 0
		.amdhsa_enable_private_segment 0
		.amdhsa_system_sgpr_workgroup_id_x 1
		.amdhsa_system_sgpr_workgroup_id_y 0
		.amdhsa_system_sgpr_workgroup_id_z 0
		.amdhsa_system_sgpr_workgroup_info 0
		.amdhsa_system_vgpr_workitem_id 0
		.amdhsa_next_free_vgpr 1
		.amdhsa_next_free_sgpr 1
		.amdhsa_named_barrier_count 0
		.amdhsa_reserve_vcc 0
		.amdhsa_float_round_mode_32 0
		.amdhsa_float_round_mode_16_64 0
		.amdhsa_float_denorm_mode_32 3
		.amdhsa_float_denorm_mode_16_64 3
		.amdhsa_fp16_overflow 0
		.amdhsa_memory_ordered 1
		.amdhsa_forward_progress 1
		.amdhsa_inst_pref_size 0
		.amdhsa_round_robin_scheduling 0
		.amdhsa_exception_fp_ieee_invalid_op 0
		.amdhsa_exception_fp_denorm_src 0
		.amdhsa_exception_fp_ieee_div_zero 0
		.amdhsa_exception_fp_ieee_overflow 0
		.amdhsa_exception_fp_ieee_underflow 0
		.amdhsa_exception_fp_ieee_inexact 0
		.amdhsa_exception_int_div_zero 0
	.end_amdhsa_kernel
	.section	.text._ZN7rocprim17ROCPRIM_400000_NS6detail17trampoline_kernelINS0_14default_configENS1_35radix_sort_onesweep_config_selectorI6__halfNS0_10empty_typeEEEZZNS1_29radix_sort_onesweep_iterationIS3_Lb0EPKS5_PS5_PS6_SC_mNS0_19identity_decomposerENS1_16block_id_wrapperIjLb0EEEEE10hipError_tT1_PNSt15iterator_traitsISH_E10value_typeET2_T3_PNSI_ISN_E10value_typeET4_T5_PSS_ST_PNS1_23onesweep_lookback_stateEbbT6_jjT7_P12ihipStream_tbENKUlT_T0_SH_SM_E_clISA_SB_SC_SC_EEDaS10_S11_SH_SM_EUlS10_E_NS1_11comp_targetILNS1_3genE2ELNS1_11target_archE906ELNS1_3gpuE6ELNS1_3repE0EEENS1_47radix_sort_onesweep_sort_config_static_selectorELNS0_4arch9wavefront6targetE0EEEvSH_,"axG",@progbits,_ZN7rocprim17ROCPRIM_400000_NS6detail17trampoline_kernelINS0_14default_configENS1_35radix_sort_onesweep_config_selectorI6__halfNS0_10empty_typeEEEZZNS1_29radix_sort_onesweep_iterationIS3_Lb0EPKS5_PS5_PS6_SC_mNS0_19identity_decomposerENS1_16block_id_wrapperIjLb0EEEEE10hipError_tT1_PNSt15iterator_traitsISH_E10value_typeET2_T3_PNSI_ISN_E10value_typeET4_T5_PSS_ST_PNS1_23onesweep_lookback_stateEbbT6_jjT7_P12ihipStream_tbENKUlT_T0_SH_SM_E_clISA_SB_SC_SC_EEDaS10_S11_SH_SM_EUlS10_E_NS1_11comp_targetILNS1_3genE2ELNS1_11target_archE906ELNS1_3gpuE6ELNS1_3repE0EEENS1_47radix_sort_onesweep_sort_config_static_selectorELNS0_4arch9wavefront6targetE0EEEvSH_,comdat
.Lfunc_end2271:
	.size	_ZN7rocprim17ROCPRIM_400000_NS6detail17trampoline_kernelINS0_14default_configENS1_35radix_sort_onesweep_config_selectorI6__halfNS0_10empty_typeEEEZZNS1_29radix_sort_onesweep_iterationIS3_Lb0EPKS5_PS5_PS6_SC_mNS0_19identity_decomposerENS1_16block_id_wrapperIjLb0EEEEE10hipError_tT1_PNSt15iterator_traitsISH_E10value_typeET2_T3_PNSI_ISN_E10value_typeET4_T5_PSS_ST_PNS1_23onesweep_lookback_stateEbbT6_jjT7_P12ihipStream_tbENKUlT_T0_SH_SM_E_clISA_SB_SC_SC_EEDaS10_S11_SH_SM_EUlS10_E_NS1_11comp_targetILNS1_3genE2ELNS1_11target_archE906ELNS1_3gpuE6ELNS1_3repE0EEENS1_47radix_sort_onesweep_sort_config_static_selectorELNS0_4arch9wavefront6targetE0EEEvSH_, .Lfunc_end2271-_ZN7rocprim17ROCPRIM_400000_NS6detail17trampoline_kernelINS0_14default_configENS1_35radix_sort_onesweep_config_selectorI6__halfNS0_10empty_typeEEEZZNS1_29radix_sort_onesweep_iterationIS3_Lb0EPKS5_PS5_PS6_SC_mNS0_19identity_decomposerENS1_16block_id_wrapperIjLb0EEEEE10hipError_tT1_PNSt15iterator_traitsISH_E10value_typeET2_T3_PNSI_ISN_E10value_typeET4_T5_PSS_ST_PNS1_23onesweep_lookback_stateEbbT6_jjT7_P12ihipStream_tbENKUlT_T0_SH_SM_E_clISA_SB_SC_SC_EEDaS10_S11_SH_SM_EUlS10_E_NS1_11comp_targetILNS1_3genE2ELNS1_11target_archE906ELNS1_3gpuE6ELNS1_3repE0EEENS1_47radix_sort_onesweep_sort_config_static_selectorELNS0_4arch9wavefront6targetE0EEEvSH_
                                        ; -- End function
	.set _ZN7rocprim17ROCPRIM_400000_NS6detail17trampoline_kernelINS0_14default_configENS1_35radix_sort_onesweep_config_selectorI6__halfNS0_10empty_typeEEEZZNS1_29radix_sort_onesweep_iterationIS3_Lb0EPKS5_PS5_PS6_SC_mNS0_19identity_decomposerENS1_16block_id_wrapperIjLb0EEEEE10hipError_tT1_PNSt15iterator_traitsISH_E10value_typeET2_T3_PNSI_ISN_E10value_typeET4_T5_PSS_ST_PNS1_23onesweep_lookback_stateEbbT6_jjT7_P12ihipStream_tbENKUlT_T0_SH_SM_E_clISA_SB_SC_SC_EEDaS10_S11_SH_SM_EUlS10_E_NS1_11comp_targetILNS1_3genE2ELNS1_11target_archE906ELNS1_3gpuE6ELNS1_3repE0EEENS1_47radix_sort_onesweep_sort_config_static_selectorELNS0_4arch9wavefront6targetE0EEEvSH_.num_vgpr, 0
	.set _ZN7rocprim17ROCPRIM_400000_NS6detail17trampoline_kernelINS0_14default_configENS1_35radix_sort_onesweep_config_selectorI6__halfNS0_10empty_typeEEEZZNS1_29radix_sort_onesweep_iterationIS3_Lb0EPKS5_PS5_PS6_SC_mNS0_19identity_decomposerENS1_16block_id_wrapperIjLb0EEEEE10hipError_tT1_PNSt15iterator_traitsISH_E10value_typeET2_T3_PNSI_ISN_E10value_typeET4_T5_PSS_ST_PNS1_23onesweep_lookback_stateEbbT6_jjT7_P12ihipStream_tbENKUlT_T0_SH_SM_E_clISA_SB_SC_SC_EEDaS10_S11_SH_SM_EUlS10_E_NS1_11comp_targetILNS1_3genE2ELNS1_11target_archE906ELNS1_3gpuE6ELNS1_3repE0EEENS1_47radix_sort_onesweep_sort_config_static_selectorELNS0_4arch9wavefront6targetE0EEEvSH_.num_agpr, 0
	.set _ZN7rocprim17ROCPRIM_400000_NS6detail17trampoline_kernelINS0_14default_configENS1_35radix_sort_onesweep_config_selectorI6__halfNS0_10empty_typeEEEZZNS1_29radix_sort_onesweep_iterationIS3_Lb0EPKS5_PS5_PS6_SC_mNS0_19identity_decomposerENS1_16block_id_wrapperIjLb0EEEEE10hipError_tT1_PNSt15iterator_traitsISH_E10value_typeET2_T3_PNSI_ISN_E10value_typeET4_T5_PSS_ST_PNS1_23onesweep_lookback_stateEbbT6_jjT7_P12ihipStream_tbENKUlT_T0_SH_SM_E_clISA_SB_SC_SC_EEDaS10_S11_SH_SM_EUlS10_E_NS1_11comp_targetILNS1_3genE2ELNS1_11target_archE906ELNS1_3gpuE6ELNS1_3repE0EEENS1_47radix_sort_onesweep_sort_config_static_selectorELNS0_4arch9wavefront6targetE0EEEvSH_.numbered_sgpr, 0
	.set _ZN7rocprim17ROCPRIM_400000_NS6detail17trampoline_kernelINS0_14default_configENS1_35radix_sort_onesweep_config_selectorI6__halfNS0_10empty_typeEEEZZNS1_29radix_sort_onesweep_iterationIS3_Lb0EPKS5_PS5_PS6_SC_mNS0_19identity_decomposerENS1_16block_id_wrapperIjLb0EEEEE10hipError_tT1_PNSt15iterator_traitsISH_E10value_typeET2_T3_PNSI_ISN_E10value_typeET4_T5_PSS_ST_PNS1_23onesweep_lookback_stateEbbT6_jjT7_P12ihipStream_tbENKUlT_T0_SH_SM_E_clISA_SB_SC_SC_EEDaS10_S11_SH_SM_EUlS10_E_NS1_11comp_targetILNS1_3genE2ELNS1_11target_archE906ELNS1_3gpuE6ELNS1_3repE0EEENS1_47radix_sort_onesweep_sort_config_static_selectorELNS0_4arch9wavefront6targetE0EEEvSH_.num_named_barrier, 0
	.set _ZN7rocprim17ROCPRIM_400000_NS6detail17trampoline_kernelINS0_14default_configENS1_35radix_sort_onesweep_config_selectorI6__halfNS0_10empty_typeEEEZZNS1_29radix_sort_onesweep_iterationIS3_Lb0EPKS5_PS5_PS6_SC_mNS0_19identity_decomposerENS1_16block_id_wrapperIjLb0EEEEE10hipError_tT1_PNSt15iterator_traitsISH_E10value_typeET2_T3_PNSI_ISN_E10value_typeET4_T5_PSS_ST_PNS1_23onesweep_lookback_stateEbbT6_jjT7_P12ihipStream_tbENKUlT_T0_SH_SM_E_clISA_SB_SC_SC_EEDaS10_S11_SH_SM_EUlS10_E_NS1_11comp_targetILNS1_3genE2ELNS1_11target_archE906ELNS1_3gpuE6ELNS1_3repE0EEENS1_47radix_sort_onesweep_sort_config_static_selectorELNS0_4arch9wavefront6targetE0EEEvSH_.private_seg_size, 0
	.set _ZN7rocprim17ROCPRIM_400000_NS6detail17trampoline_kernelINS0_14default_configENS1_35radix_sort_onesweep_config_selectorI6__halfNS0_10empty_typeEEEZZNS1_29radix_sort_onesweep_iterationIS3_Lb0EPKS5_PS5_PS6_SC_mNS0_19identity_decomposerENS1_16block_id_wrapperIjLb0EEEEE10hipError_tT1_PNSt15iterator_traitsISH_E10value_typeET2_T3_PNSI_ISN_E10value_typeET4_T5_PSS_ST_PNS1_23onesweep_lookback_stateEbbT6_jjT7_P12ihipStream_tbENKUlT_T0_SH_SM_E_clISA_SB_SC_SC_EEDaS10_S11_SH_SM_EUlS10_E_NS1_11comp_targetILNS1_3genE2ELNS1_11target_archE906ELNS1_3gpuE6ELNS1_3repE0EEENS1_47radix_sort_onesweep_sort_config_static_selectorELNS0_4arch9wavefront6targetE0EEEvSH_.uses_vcc, 0
	.set _ZN7rocprim17ROCPRIM_400000_NS6detail17trampoline_kernelINS0_14default_configENS1_35radix_sort_onesweep_config_selectorI6__halfNS0_10empty_typeEEEZZNS1_29radix_sort_onesweep_iterationIS3_Lb0EPKS5_PS5_PS6_SC_mNS0_19identity_decomposerENS1_16block_id_wrapperIjLb0EEEEE10hipError_tT1_PNSt15iterator_traitsISH_E10value_typeET2_T3_PNSI_ISN_E10value_typeET4_T5_PSS_ST_PNS1_23onesweep_lookback_stateEbbT6_jjT7_P12ihipStream_tbENKUlT_T0_SH_SM_E_clISA_SB_SC_SC_EEDaS10_S11_SH_SM_EUlS10_E_NS1_11comp_targetILNS1_3genE2ELNS1_11target_archE906ELNS1_3gpuE6ELNS1_3repE0EEENS1_47radix_sort_onesweep_sort_config_static_selectorELNS0_4arch9wavefront6targetE0EEEvSH_.uses_flat_scratch, 0
	.set _ZN7rocprim17ROCPRIM_400000_NS6detail17trampoline_kernelINS0_14default_configENS1_35radix_sort_onesweep_config_selectorI6__halfNS0_10empty_typeEEEZZNS1_29radix_sort_onesweep_iterationIS3_Lb0EPKS5_PS5_PS6_SC_mNS0_19identity_decomposerENS1_16block_id_wrapperIjLb0EEEEE10hipError_tT1_PNSt15iterator_traitsISH_E10value_typeET2_T3_PNSI_ISN_E10value_typeET4_T5_PSS_ST_PNS1_23onesweep_lookback_stateEbbT6_jjT7_P12ihipStream_tbENKUlT_T0_SH_SM_E_clISA_SB_SC_SC_EEDaS10_S11_SH_SM_EUlS10_E_NS1_11comp_targetILNS1_3genE2ELNS1_11target_archE906ELNS1_3gpuE6ELNS1_3repE0EEENS1_47radix_sort_onesweep_sort_config_static_selectorELNS0_4arch9wavefront6targetE0EEEvSH_.has_dyn_sized_stack, 0
	.set _ZN7rocprim17ROCPRIM_400000_NS6detail17trampoline_kernelINS0_14default_configENS1_35radix_sort_onesweep_config_selectorI6__halfNS0_10empty_typeEEEZZNS1_29radix_sort_onesweep_iterationIS3_Lb0EPKS5_PS5_PS6_SC_mNS0_19identity_decomposerENS1_16block_id_wrapperIjLb0EEEEE10hipError_tT1_PNSt15iterator_traitsISH_E10value_typeET2_T3_PNSI_ISN_E10value_typeET4_T5_PSS_ST_PNS1_23onesweep_lookback_stateEbbT6_jjT7_P12ihipStream_tbENKUlT_T0_SH_SM_E_clISA_SB_SC_SC_EEDaS10_S11_SH_SM_EUlS10_E_NS1_11comp_targetILNS1_3genE2ELNS1_11target_archE906ELNS1_3gpuE6ELNS1_3repE0EEENS1_47radix_sort_onesweep_sort_config_static_selectorELNS0_4arch9wavefront6targetE0EEEvSH_.has_recursion, 0
	.set _ZN7rocprim17ROCPRIM_400000_NS6detail17trampoline_kernelINS0_14default_configENS1_35radix_sort_onesweep_config_selectorI6__halfNS0_10empty_typeEEEZZNS1_29radix_sort_onesweep_iterationIS3_Lb0EPKS5_PS5_PS6_SC_mNS0_19identity_decomposerENS1_16block_id_wrapperIjLb0EEEEE10hipError_tT1_PNSt15iterator_traitsISH_E10value_typeET2_T3_PNSI_ISN_E10value_typeET4_T5_PSS_ST_PNS1_23onesweep_lookback_stateEbbT6_jjT7_P12ihipStream_tbENKUlT_T0_SH_SM_E_clISA_SB_SC_SC_EEDaS10_S11_SH_SM_EUlS10_E_NS1_11comp_targetILNS1_3genE2ELNS1_11target_archE906ELNS1_3gpuE6ELNS1_3repE0EEENS1_47radix_sort_onesweep_sort_config_static_selectorELNS0_4arch9wavefront6targetE0EEEvSH_.has_indirect_call, 0
	.section	.AMDGPU.csdata,"",@progbits
; Kernel info:
; codeLenInByte = 0
; TotalNumSgprs: 0
; NumVgprs: 0
; ScratchSize: 0
; MemoryBound: 0
; FloatMode: 240
; IeeeMode: 1
; LDSByteSize: 0 bytes/workgroup (compile time only)
; SGPRBlocks: 0
; VGPRBlocks: 0
; NumSGPRsForWavesPerEU: 1
; NumVGPRsForWavesPerEU: 1
; NamedBarCnt: 0
; Occupancy: 16
; WaveLimiterHint : 0
; COMPUTE_PGM_RSRC2:SCRATCH_EN: 0
; COMPUTE_PGM_RSRC2:USER_SGPR: 2
; COMPUTE_PGM_RSRC2:TRAP_HANDLER: 0
; COMPUTE_PGM_RSRC2:TGID_X_EN: 1
; COMPUTE_PGM_RSRC2:TGID_Y_EN: 0
; COMPUTE_PGM_RSRC2:TGID_Z_EN: 0
; COMPUTE_PGM_RSRC2:TIDIG_COMP_CNT: 0
	.section	.text._ZN7rocprim17ROCPRIM_400000_NS6detail17trampoline_kernelINS0_14default_configENS1_35radix_sort_onesweep_config_selectorI6__halfNS0_10empty_typeEEEZZNS1_29radix_sort_onesweep_iterationIS3_Lb0EPKS5_PS5_PS6_SC_mNS0_19identity_decomposerENS1_16block_id_wrapperIjLb0EEEEE10hipError_tT1_PNSt15iterator_traitsISH_E10value_typeET2_T3_PNSI_ISN_E10value_typeET4_T5_PSS_ST_PNS1_23onesweep_lookback_stateEbbT6_jjT7_P12ihipStream_tbENKUlT_T0_SH_SM_E_clISA_SB_SC_SC_EEDaS10_S11_SH_SM_EUlS10_E_NS1_11comp_targetILNS1_3genE4ELNS1_11target_archE910ELNS1_3gpuE8ELNS1_3repE0EEENS1_47radix_sort_onesweep_sort_config_static_selectorELNS0_4arch9wavefront6targetE0EEEvSH_,"axG",@progbits,_ZN7rocprim17ROCPRIM_400000_NS6detail17trampoline_kernelINS0_14default_configENS1_35radix_sort_onesweep_config_selectorI6__halfNS0_10empty_typeEEEZZNS1_29radix_sort_onesweep_iterationIS3_Lb0EPKS5_PS5_PS6_SC_mNS0_19identity_decomposerENS1_16block_id_wrapperIjLb0EEEEE10hipError_tT1_PNSt15iterator_traitsISH_E10value_typeET2_T3_PNSI_ISN_E10value_typeET4_T5_PSS_ST_PNS1_23onesweep_lookback_stateEbbT6_jjT7_P12ihipStream_tbENKUlT_T0_SH_SM_E_clISA_SB_SC_SC_EEDaS10_S11_SH_SM_EUlS10_E_NS1_11comp_targetILNS1_3genE4ELNS1_11target_archE910ELNS1_3gpuE8ELNS1_3repE0EEENS1_47radix_sort_onesweep_sort_config_static_selectorELNS0_4arch9wavefront6targetE0EEEvSH_,comdat
	.protected	_ZN7rocprim17ROCPRIM_400000_NS6detail17trampoline_kernelINS0_14default_configENS1_35radix_sort_onesweep_config_selectorI6__halfNS0_10empty_typeEEEZZNS1_29radix_sort_onesweep_iterationIS3_Lb0EPKS5_PS5_PS6_SC_mNS0_19identity_decomposerENS1_16block_id_wrapperIjLb0EEEEE10hipError_tT1_PNSt15iterator_traitsISH_E10value_typeET2_T3_PNSI_ISN_E10value_typeET4_T5_PSS_ST_PNS1_23onesweep_lookback_stateEbbT6_jjT7_P12ihipStream_tbENKUlT_T0_SH_SM_E_clISA_SB_SC_SC_EEDaS10_S11_SH_SM_EUlS10_E_NS1_11comp_targetILNS1_3genE4ELNS1_11target_archE910ELNS1_3gpuE8ELNS1_3repE0EEENS1_47radix_sort_onesweep_sort_config_static_selectorELNS0_4arch9wavefront6targetE0EEEvSH_ ; -- Begin function _ZN7rocprim17ROCPRIM_400000_NS6detail17trampoline_kernelINS0_14default_configENS1_35radix_sort_onesweep_config_selectorI6__halfNS0_10empty_typeEEEZZNS1_29radix_sort_onesweep_iterationIS3_Lb0EPKS5_PS5_PS6_SC_mNS0_19identity_decomposerENS1_16block_id_wrapperIjLb0EEEEE10hipError_tT1_PNSt15iterator_traitsISH_E10value_typeET2_T3_PNSI_ISN_E10value_typeET4_T5_PSS_ST_PNS1_23onesweep_lookback_stateEbbT6_jjT7_P12ihipStream_tbENKUlT_T0_SH_SM_E_clISA_SB_SC_SC_EEDaS10_S11_SH_SM_EUlS10_E_NS1_11comp_targetILNS1_3genE4ELNS1_11target_archE910ELNS1_3gpuE8ELNS1_3repE0EEENS1_47radix_sort_onesweep_sort_config_static_selectorELNS0_4arch9wavefront6targetE0EEEvSH_
	.globl	_ZN7rocprim17ROCPRIM_400000_NS6detail17trampoline_kernelINS0_14default_configENS1_35radix_sort_onesweep_config_selectorI6__halfNS0_10empty_typeEEEZZNS1_29radix_sort_onesweep_iterationIS3_Lb0EPKS5_PS5_PS6_SC_mNS0_19identity_decomposerENS1_16block_id_wrapperIjLb0EEEEE10hipError_tT1_PNSt15iterator_traitsISH_E10value_typeET2_T3_PNSI_ISN_E10value_typeET4_T5_PSS_ST_PNS1_23onesweep_lookback_stateEbbT6_jjT7_P12ihipStream_tbENKUlT_T0_SH_SM_E_clISA_SB_SC_SC_EEDaS10_S11_SH_SM_EUlS10_E_NS1_11comp_targetILNS1_3genE4ELNS1_11target_archE910ELNS1_3gpuE8ELNS1_3repE0EEENS1_47radix_sort_onesweep_sort_config_static_selectorELNS0_4arch9wavefront6targetE0EEEvSH_
	.p2align	8
	.type	_ZN7rocprim17ROCPRIM_400000_NS6detail17trampoline_kernelINS0_14default_configENS1_35radix_sort_onesweep_config_selectorI6__halfNS0_10empty_typeEEEZZNS1_29radix_sort_onesweep_iterationIS3_Lb0EPKS5_PS5_PS6_SC_mNS0_19identity_decomposerENS1_16block_id_wrapperIjLb0EEEEE10hipError_tT1_PNSt15iterator_traitsISH_E10value_typeET2_T3_PNSI_ISN_E10value_typeET4_T5_PSS_ST_PNS1_23onesweep_lookback_stateEbbT6_jjT7_P12ihipStream_tbENKUlT_T0_SH_SM_E_clISA_SB_SC_SC_EEDaS10_S11_SH_SM_EUlS10_E_NS1_11comp_targetILNS1_3genE4ELNS1_11target_archE910ELNS1_3gpuE8ELNS1_3repE0EEENS1_47radix_sort_onesweep_sort_config_static_selectorELNS0_4arch9wavefront6targetE0EEEvSH_,@function
_ZN7rocprim17ROCPRIM_400000_NS6detail17trampoline_kernelINS0_14default_configENS1_35radix_sort_onesweep_config_selectorI6__halfNS0_10empty_typeEEEZZNS1_29radix_sort_onesweep_iterationIS3_Lb0EPKS5_PS5_PS6_SC_mNS0_19identity_decomposerENS1_16block_id_wrapperIjLb0EEEEE10hipError_tT1_PNSt15iterator_traitsISH_E10value_typeET2_T3_PNSI_ISN_E10value_typeET4_T5_PSS_ST_PNS1_23onesweep_lookback_stateEbbT6_jjT7_P12ihipStream_tbENKUlT_T0_SH_SM_E_clISA_SB_SC_SC_EEDaS10_S11_SH_SM_EUlS10_E_NS1_11comp_targetILNS1_3genE4ELNS1_11target_archE910ELNS1_3gpuE8ELNS1_3repE0EEENS1_47radix_sort_onesweep_sort_config_static_selectorELNS0_4arch9wavefront6targetE0EEEvSH_: ; @_ZN7rocprim17ROCPRIM_400000_NS6detail17trampoline_kernelINS0_14default_configENS1_35radix_sort_onesweep_config_selectorI6__halfNS0_10empty_typeEEEZZNS1_29radix_sort_onesweep_iterationIS3_Lb0EPKS5_PS5_PS6_SC_mNS0_19identity_decomposerENS1_16block_id_wrapperIjLb0EEEEE10hipError_tT1_PNSt15iterator_traitsISH_E10value_typeET2_T3_PNSI_ISN_E10value_typeET4_T5_PSS_ST_PNS1_23onesweep_lookback_stateEbbT6_jjT7_P12ihipStream_tbENKUlT_T0_SH_SM_E_clISA_SB_SC_SC_EEDaS10_S11_SH_SM_EUlS10_E_NS1_11comp_targetILNS1_3genE4ELNS1_11target_archE910ELNS1_3gpuE8ELNS1_3repE0EEENS1_47radix_sort_onesweep_sort_config_static_selectorELNS0_4arch9wavefront6targetE0EEEvSH_
; %bb.0:
	.section	.rodata,"a",@progbits
	.p2align	6, 0x0
	.amdhsa_kernel _ZN7rocprim17ROCPRIM_400000_NS6detail17trampoline_kernelINS0_14default_configENS1_35radix_sort_onesweep_config_selectorI6__halfNS0_10empty_typeEEEZZNS1_29radix_sort_onesweep_iterationIS3_Lb0EPKS5_PS5_PS6_SC_mNS0_19identity_decomposerENS1_16block_id_wrapperIjLb0EEEEE10hipError_tT1_PNSt15iterator_traitsISH_E10value_typeET2_T3_PNSI_ISN_E10value_typeET4_T5_PSS_ST_PNS1_23onesweep_lookback_stateEbbT6_jjT7_P12ihipStream_tbENKUlT_T0_SH_SM_E_clISA_SB_SC_SC_EEDaS10_S11_SH_SM_EUlS10_E_NS1_11comp_targetILNS1_3genE4ELNS1_11target_archE910ELNS1_3gpuE8ELNS1_3repE0EEENS1_47radix_sort_onesweep_sort_config_static_selectorELNS0_4arch9wavefront6targetE0EEEvSH_
		.amdhsa_group_segment_fixed_size 0
		.amdhsa_private_segment_fixed_size 0
		.amdhsa_kernarg_size 88
		.amdhsa_user_sgpr_count 2
		.amdhsa_user_sgpr_dispatch_ptr 0
		.amdhsa_user_sgpr_queue_ptr 0
		.amdhsa_user_sgpr_kernarg_segment_ptr 1
		.amdhsa_user_sgpr_dispatch_id 0
		.amdhsa_user_sgpr_kernarg_preload_length 0
		.amdhsa_user_sgpr_kernarg_preload_offset 0
		.amdhsa_user_sgpr_private_segment_size 0
		.amdhsa_wavefront_size32 1
		.amdhsa_uses_dynamic_stack 0
		.amdhsa_enable_private_segment 0
		.amdhsa_system_sgpr_workgroup_id_x 1
		.amdhsa_system_sgpr_workgroup_id_y 0
		.amdhsa_system_sgpr_workgroup_id_z 0
		.amdhsa_system_sgpr_workgroup_info 0
		.amdhsa_system_vgpr_workitem_id 0
		.amdhsa_next_free_vgpr 1
		.amdhsa_next_free_sgpr 1
		.amdhsa_named_barrier_count 0
		.amdhsa_reserve_vcc 0
		.amdhsa_float_round_mode_32 0
		.amdhsa_float_round_mode_16_64 0
		.amdhsa_float_denorm_mode_32 3
		.amdhsa_float_denorm_mode_16_64 3
		.amdhsa_fp16_overflow 0
		.amdhsa_memory_ordered 1
		.amdhsa_forward_progress 1
		.amdhsa_inst_pref_size 0
		.amdhsa_round_robin_scheduling 0
		.amdhsa_exception_fp_ieee_invalid_op 0
		.amdhsa_exception_fp_denorm_src 0
		.amdhsa_exception_fp_ieee_div_zero 0
		.amdhsa_exception_fp_ieee_overflow 0
		.amdhsa_exception_fp_ieee_underflow 0
		.amdhsa_exception_fp_ieee_inexact 0
		.amdhsa_exception_int_div_zero 0
	.end_amdhsa_kernel
	.section	.text._ZN7rocprim17ROCPRIM_400000_NS6detail17trampoline_kernelINS0_14default_configENS1_35radix_sort_onesweep_config_selectorI6__halfNS0_10empty_typeEEEZZNS1_29radix_sort_onesweep_iterationIS3_Lb0EPKS5_PS5_PS6_SC_mNS0_19identity_decomposerENS1_16block_id_wrapperIjLb0EEEEE10hipError_tT1_PNSt15iterator_traitsISH_E10value_typeET2_T3_PNSI_ISN_E10value_typeET4_T5_PSS_ST_PNS1_23onesweep_lookback_stateEbbT6_jjT7_P12ihipStream_tbENKUlT_T0_SH_SM_E_clISA_SB_SC_SC_EEDaS10_S11_SH_SM_EUlS10_E_NS1_11comp_targetILNS1_3genE4ELNS1_11target_archE910ELNS1_3gpuE8ELNS1_3repE0EEENS1_47radix_sort_onesweep_sort_config_static_selectorELNS0_4arch9wavefront6targetE0EEEvSH_,"axG",@progbits,_ZN7rocprim17ROCPRIM_400000_NS6detail17trampoline_kernelINS0_14default_configENS1_35radix_sort_onesweep_config_selectorI6__halfNS0_10empty_typeEEEZZNS1_29radix_sort_onesweep_iterationIS3_Lb0EPKS5_PS5_PS6_SC_mNS0_19identity_decomposerENS1_16block_id_wrapperIjLb0EEEEE10hipError_tT1_PNSt15iterator_traitsISH_E10value_typeET2_T3_PNSI_ISN_E10value_typeET4_T5_PSS_ST_PNS1_23onesweep_lookback_stateEbbT6_jjT7_P12ihipStream_tbENKUlT_T0_SH_SM_E_clISA_SB_SC_SC_EEDaS10_S11_SH_SM_EUlS10_E_NS1_11comp_targetILNS1_3genE4ELNS1_11target_archE910ELNS1_3gpuE8ELNS1_3repE0EEENS1_47radix_sort_onesweep_sort_config_static_selectorELNS0_4arch9wavefront6targetE0EEEvSH_,comdat
.Lfunc_end2272:
	.size	_ZN7rocprim17ROCPRIM_400000_NS6detail17trampoline_kernelINS0_14default_configENS1_35radix_sort_onesweep_config_selectorI6__halfNS0_10empty_typeEEEZZNS1_29radix_sort_onesweep_iterationIS3_Lb0EPKS5_PS5_PS6_SC_mNS0_19identity_decomposerENS1_16block_id_wrapperIjLb0EEEEE10hipError_tT1_PNSt15iterator_traitsISH_E10value_typeET2_T3_PNSI_ISN_E10value_typeET4_T5_PSS_ST_PNS1_23onesweep_lookback_stateEbbT6_jjT7_P12ihipStream_tbENKUlT_T0_SH_SM_E_clISA_SB_SC_SC_EEDaS10_S11_SH_SM_EUlS10_E_NS1_11comp_targetILNS1_3genE4ELNS1_11target_archE910ELNS1_3gpuE8ELNS1_3repE0EEENS1_47radix_sort_onesweep_sort_config_static_selectorELNS0_4arch9wavefront6targetE0EEEvSH_, .Lfunc_end2272-_ZN7rocprim17ROCPRIM_400000_NS6detail17trampoline_kernelINS0_14default_configENS1_35radix_sort_onesweep_config_selectorI6__halfNS0_10empty_typeEEEZZNS1_29radix_sort_onesweep_iterationIS3_Lb0EPKS5_PS5_PS6_SC_mNS0_19identity_decomposerENS1_16block_id_wrapperIjLb0EEEEE10hipError_tT1_PNSt15iterator_traitsISH_E10value_typeET2_T3_PNSI_ISN_E10value_typeET4_T5_PSS_ST_PNS1_23onesweep_lookback_stateEbbT6_jjT7_P12ihipStream_tbENKUlT_T0_SH_SM_E_clISA_SB_SC_SC_EEDaS10_S11_SH_SM_EUlS10_E_NS1_11comp_targetILNS1_3genE4ELNS1_11target_archE910ELNS1_3gpuE8ELNS1_3repE0EEENS1_47radix_sort_onesweep_sort_config_static_selectorELNS0_4arch9wavefront6targetE0EEEvSH_
                                        ; -- End function
	.set _ZN7rocprim17ROCPRIM_400000_NS6detail17trampoline_kernelINS0_14default_configENS1_35radix_sort_onesweep_config_selectorI6__halfNS0_10empty_typeEEEZZNS1_29radix_sort_onesweep_iterationIS3_Lb0EPKS5_PS5_PS6_SC_mNS0_19identity_decomposerENS1_16block_id_wrapperIjLb0EEEEE10hipError_tT1_PNSt15iterator_traitsISH_E10value_typeET2_T3_PNSI_ISN_E10value_typeET4_T5_PSS_ST_PNS1_23onesweep_lookback_stateEbbT6_jjT7_P12ihipStream_tbENKUlT_T0_SH_SM_E_clISA_SB_SC_SC_EEDaS10_S11_SH_SM_EUlS10_E_NS1_11comp_targetILNS1_3genE4ELNS1_11target_archE910ELNS1_3gpuE8ELNS1_3repE0EEENS1_47radix_sort_onesweep_sort_config_static_selectorELNS0_4arch9wavefront6targetE0EEEvSH_.num_vgpr, 0
	.set _ZN7rocprim17ROCPRIM_400000_NS6detail17trampoline_kernelINS0_14default_configENS1_35radix_sort_onesweep_config_selectorI6__halfNS0_10empty_typeEEEZZNS1_29radix_sort_onesweep_iterationIS3_Lb0EPKS5_PS5_PS6_SC_mNS0_19identity_decomposerENS1_16block_id_wrapperIjLb0EEEEE10hipError_tT1_PNSt15iterator_traitsISH_E10value_typeET2_T3_PNSI_ISN_E10value_typeET4_T5_PSS_ST_PNS1_23onesweep_lookback_stateEbbT6_jjT7_P12ihipStream_tbENKUlT_T0_SH_SM_E_clISA_SB_SC_SC_EEDaS10_S11_SH_SM_EUlS10_E_NS1_11comp_targetILNS1_3genE4ELNS1_11target_archE910ELNS1_3gpuE8ELNS1_3repE0EEENS1_47radix_sort_onesweep_sort_config_static_selectorELNS0_4arch9wavefront6targetE0EEEvSH_.num_agpr, 0
	.set _ZN7rocprim17ROCPRIM_400000_NS6detail17trampoline_kernelINS0_14default_configENS1_35radix_sort_onesweep_config_selectorI6__halfNS0_10empty_typeEEEZZNS1_29radix_sort_onesweep_iterationIS3_Lb0EPKS5_PS5_PS6_SC_mNS0_19identity_decomposerENS1_16block_id_wrapperIjLb0EEEEE10hipError_tT1_PNSt15iterator_traitsISH_E10value_typeET2_T3_PNSI_ISN_E10value_typeET4_T5_PSS_ST_PNS1_23onesweep_lookback_stateEbbT6_jjT7_P12ihipStream_tbENKUlT_T0_SH_SM_E_clISA_SB_SC_SC_EEDaS10_S11_SH_SM_EUlS10_E_NS1_11comp_targetILNS1_3genE4ELNS1_11target_archE910ELNS1_3gpuE8ELNS1_3repE0EEENS1_47radix_sort_onesweep_sort_config_static_selectorELNS0_4arch9wavefront6targetE0EEEvSH_.numbered_sgpr, 0
	.set _ZN7rocprim17ROCPRIM_400000_NS6detail17trampoline_kernelINS0_14default_configENS1_35radix_sort_onesweep_config_selectorI6__halfNS0_10empty_typeEEEZZNS1_29radix_sort_onesweep_iterationIS3_Lb0EPKS5_PS5_PS6_SC_mNS0_19identity_decomposerENS1_16block_id_wrapperIjLb0EEEEE10hipError_tT1_PNSt15iterator_traitsISH_E10value_typeET2_T3_PNSI_ISN_E10value_typeET4_T5_PSS_ST_PNS1_23onesweep_lookback_stateEbbT6_jjT7_P12ihipStream_tbENKUlT_T0_SH_SM_E_clISA_SB_SC_SC_EEDaS10_S11_SH_SM_EUlS10_E_NS1_11comp_targetILNS1_3genE4ELNS1_11target_archE910ELNS1_3gpuE8ELNS1_3repE0EEENS1_47radix_sort_onesweep_sort_config_static_selectorELNS0_4arch9wavefront6targetE0EEEvSH_.num_named_barrier, 0
	.set _ZN7rocprim17ROCPRIM_400000_NS6detail17trampoline_kernelINS0_14default_configENS1_35radix_sort_onesweep_config_selectorI6__halfNS0_10empty_typeEEEZZNS1_29radix_sort_onesweep_iterationIS3_Lb0EPKS5_PS5_PS6_SC_mNS0_19identity_decomposerENS1_16block_id_wrapperIjLb0EEEEE10hipError_tT1_PNSt15iterator_traitsISH_E10value_typeET2_T3_PNSI_ISN_E10value_typeET4_T5_PSS_ST_PNS1_23onesweep_lookback_stateEbbT6_jjT7_P12ihipStream_tbENKUlT_T0_SH_SM_E_clISA_SB_SC_SC_EEDaS10_S11_SH_SM_EUlS10_E_NS1_11comp_targetILNS1_3genE4ELNS1_11target_archE910ELNS1_3gpuE8ELNS1_3repE0EEENS1_47radix_sort_onesweep_sort_config_static_selectorELNS0_4arch9wavefront6targetE0EEEvSH_.private_seg_size, 0
	.set _ZN7rocprim17ROCPRIM_400000_NS6detail17trampoline_kernelINS0_14default_configENS1_35radix_sort_onesweep_config_selectorI6__halfNS0_10empty_typeEEEZZNS1_29radix_sort_onesweep_iterationIS3_Lb0EPKS5_PS5_PS6_SC_mNS0_19identity_decomposerENS1_16block_id_wrapperIjLb0EEEEE10hipError_tT1_PNSt15iterator_traitsISH_E10value_typeET2_T3_PNSI_ISN_E10value_typeET4_T5_PSS_ST_PNS1_23onesweep_lookback_stateEbbT6_jjT7_P12ihipStream_tbENKUlT_T0_SH_SM_E_clISA_SB_SC_SC_EEDaS10_S11_SH_SM_EUlS10_E_NS1_11comp_targetILNS1_3genE4ELNS1_11target_archE910ELNS1_3gpuE8ELNS1_3repE0EEENS1_47radix_sort_onesweep_sort_config_static_selectorELNS0_4arch9wavefront6targetE0EEEvSH_.uses_vcc, 0
	.set _ZN7rocprim17ROCPRIM_400000_NS6detail17trampoline_kernelINS0_14default_configENS1_35radix_sort_onesweep_config_selectorI6__halfNS0_10empty_typeEEEZZNS1_29radix_sort_onesweep_iterationIS3_Lb0EPKS5_PS5_PS6_SC_mNS0_19identity_decomposerENS1_16block_id_wrapperIjLb0EEEEE10hipError_tT1_PNSt15iterator_traitsISH_E10value_typeET2_T3_PNSI_ISN_E10value_typeET4_T5_PSS_ST_PNS1_23onesweep_lookback_stateEbbT6_jjT7_P12ihipStream_tbENKUlT_T0_SH_SM_E_clISA_SB_SC_SC_EEDaS10_S11_SH_SM_EUlS10_E_NS1_11comp_targetILNS1_3genE4ELNS1_11target_archE910ELNS1_3gpuE8ELNS1_3repE0EEENS1_47radix_sort_onesweep_sort_config_static_selectorELNS0_4arch9wavefront6targetE0EEEvSH_.uses_flat_scratch, 0
	.set _ZN7rocprim17ROCPRIM_400000_NS6detail17trampoline_kernelINS0_14default_configENS1_35radix_sort_onesweep_config_selectorI6__halfNS0_10empty_typeEEEZZNS1_29radix_sort_onesweep_iterationIS3_Lb0EPKS5_PS5_PS6_SC_mNS0_19identity_decomposerENS1_16block_id_wrapperIjLb0EEEEE10hipError_tT1_PNSt15iterator_traitsISH_E10value_typeET2_T3_PNSI_ISN_E10value_typeET4_T5_PSS_ST_PNS1_23onesweep_lookback_stateEbbT6_jjT7_P12ihipStream_tbENKUlT_T0_SH_SM_E_clISA_SB_SC_SC_EEDaS10_S11_SH_SM_EUlS10_E_NS1_11comp_targetILNS1_3genE4ELNS1_11target_archE910ELNS1_3gpuE8ELNS1_3repE0EEENS1_47radix_sort_onesweep_sort_config_static_selectorELNS0_4arch9wavefront6targetE0EEEvSH_.has_dyn_sized_stack, 0
	.set _ZN7rocprim17ROCPRIM_400000_NS6detail17trampoline_kernelINS0_14default_configENS1_35radix_sort_onesweep_config_selectorI6__halfNS0_10empty_typeEEEZZNS1_29radix_sort_onesweep_iterationIS3_Lb0EPKS5_PS5_PS6_SC_mNS0_19identity_decomposerENS1_16block_id_wrapperIjLb0EEEEE10hipError_tT1_PNSt15iterator_traitsISH_E10value_typeET2_T3_PNSI_ISN_E10value_typeET4_T5_PSS_ST_PNS1_23onesweep_lookback_stateEbbT6_jjT7_P12ihipStream_tbENKUlT_T0_SH_SM_E_clISA_SB_SC_SC_EEDaS10_S11_SH_SM_EUlS10_E_NS1_11comp_targetILNS1_3genE4ELNS1_11target_archE910ELNS1_3gpuE8ELNS1_3repE0EEENS1_47radix_sort_onesweep_sort_config_static_selectorELNS0_4arch9wavefront6targetE0EEEvSH_.has_recursion, 0
	.set _ZN7rocprim17ROCPRIM_400000_NS6detail17trampoline_kernelINS0_14default_configENS1_35radix_sort_onesweep_config_selectorI6__halfNS0_10empty_typeEEEZZNS1_29radix_sort_onesweep_iterationIS3_Lb0EPKS5_PS5_PS6_SC_mNS0_19identity_decomposerENS1_16block_id_wrapperIjLb0EEEEE10hipError_tT1_PNSt15iterator_traitsISH_E10value_typeET2_T3_PNSI_ISN_E10value_typeET4_T5_PSS_ST_PNS1_23onesweep_lookback_stateEbbT6_jjT7_P12ihipStream_tbENKUlT_T0_SH_SM_E_clISA_SB_SC_SC_EEDaS10_S11_SH_SM_EUlS10_E_NS1_11comp_targetILNS1_3genE4ELNS1_11target_archE910ELNS1_3gpuE8ELNS1_3repE0EEENS1_47radix_sort_onesweep_sort_config_static_selectorELNS0_4arch9wavefront6targetE0EEEvSH_.has_indirect_call, 0
	.section	.AMDGPU.csdata,"",@progbits
; Kernel info:
; codeLenInByte = 0
; TotalNumSgprs: 0
; NumVgprs: 0
; ScratchSize: 0
; MemoryBound: 0
; FloatMode: 240
; IeeeMode: 1
; LDSByteSize: 0 bytes/workgroup (compile time only)
; SGPRBlocks: 0
; VGPRBlocks: 0
; NumSGPRsForWavesPerEU: 1
; NumVGPRsForWavesPerEU: 1
; NamedBarCnt: 0
; Occupancy: 16
; WaveLimiterHint : 0
; COMPUTE_PGM_RSRC2:SCRATCH_EN: 0
; COMPUTE_PGM_RSRC2:USER_SGPR: 2
; COMPUTE_PGM_RSRC2:TRAP_HANDLER: 0
; COMPUTE_PGM_RSRC2:TGID_X_EN: 1
; COMPUTE_PGM_RSRC2:TGID_Y_EN: 0
; COMPUTE_PGM_RSRC2:TGID_Z_EN: 0
; COMPUTE_PGM_RSRC2:TIDIG_COMP_CNT: 0
	.section	.text._ZN7rocprim17ROCPRIM_400000_NS6detail17trampoline_kernelINS0_14default_configENS1_35radix_sort_onesweep_config_selectorI6__halfNS0_10empty_typeEEEZZNS1_29radix_sort_onesweep_iterationIS3_Lb0EPKS5_PS5_PS6_SC_mNS0_19identity_decomposerENS1_16block_id_wrapperIjLb0EEEEE10hipError_tT1_PNSt15iterator_traitsISH_E10value_typeET2_T3_PNSI_ISN_E10value_typeET4_T5_PSS_ST_PNS1_23onesweep_lookback_stateEbbT6_jjT7_P12ihipStream_tbENKUlT_T0_SH_SM_E_clISA_SB_SC_SC_EEDaS10_S11_SH_SM_EUlS10_E_NS1_11comp_targetILNS1_3genE3ELNS1_11target_archE908ELNS1_3gpuE7ELNS1_3repE0EEENS1_47radix_sort_onesweep_sort_config_static_selectorELNS0_4arch9wavefront6targetE0EEEvSH_,"axG",@progbits,_ZN7rocprim17ROCPRIM_400000_NS6detail17trampoline_kernelINS0_14default_configENS1_35radix_sort_onesweep_config_selectorI6__halfNS0_10empty_typeEEEZZNS1_29radix_sort_onesweep_iterationIS3_Lb0EPKS5_PS5_PS6_SC_mNS0_19identity_decomposerENS1_16block_id_wrapperIjLb0EEEEE10hipError_tT1_PNSt15iterator_traitsISH_E10value_typeET2_T3_PNSI_ISN_E10value_typeET4_T5_PSS_ST_PNS1_23onesweep_lookback_stateEbbT6_jjT7_P12ihipStream_tbENKUlT_T0_SH_SM_E_clISA_SB_SC_SC_EEDaS10_S11_SH_SM_EUlS10_E_NS1_11comp_targetILNS1_3genE3ELNS1_11target_archE908ELNS1_3gpuE7ELNS1_3repE0EEENS1_47radix_sort_onesweep_sort_config_static_selectorELNS0_4arch9wavefront6targetE0EEEvSH_,comdat
	.protected	_ZN7rocprim17ROCPRIM_400000_NS6detail17trampoline_kernelINS0_14default_configENS1_35radix_sort_onesweep_config_selectorI6__halfNS0_10empty_typeEEEZZNS1_29radix_sort_onesweep_iterationIS3_Lb0EPKS5_PS5_PS6_SC_mNS0_19identity_decomposerENS1_16block_id_wrapperIjLb0EEEEE10hipError_tT1_PNSt15iterator_traitsISH_E10value_typeET2_T3_PNSI_ISN_E10value_typeET4_T5_PSS_ST_PNS1_23onesweep_lookback_stateEbbT6_jjT7_P12ihipStream_tbENKUlT_T0_SH_SM_E_clISA_SB_SC_SC_EEDaS10_S11_SH_SM_EUlS10_E_NS1_11comp_targetILNS1_3genE3ELNS1_11target_archE908ELNS1_3gpuE7ELNS1_3repE0EEENS1_47radix_sort_onesweep_sort_config_static_selectorELNS0_4arch9wavefront6targetE0EEEvSH_ ; -- Begin function _ZN7rocprim17ROCPRIM_400000_NS6detail17trampoline_kernelINS0_14default_configENS1_35radix_sort_onesweep_config_selectorI6__halfNS0_10empty_typeEEEZZNS1_29radix_sort_onesweep_iterationIS3_Lb0EPKS5_PS5_PS6_SC_mNS0_19identity_decomposerENS1_16block_id_wrapperIjLb0EEEEE10hipError_tT1_PNSt15iterator_traitsISH_E10value_typeET2_T3_PNSI_ISN_E10value_typeET4_T5_PSS_ST_PNS1_23onesweep_lookback_stateEbbT6_jjT7_P12ihipStream_tbENKUlT_T0_SH_SM_E_clISA_SB_SC_SC_EEDaS10_S11_SH_SM_EUlS10_E_NS1_11comp_targetILNS1_3genE3ELNS1_11target_archE908ELNS1_3gpuE7ELNS1_3repE0EEENS1_47radix_sort_onesweep_sort_config_static_selectorELNS0_4arch9wavefront6targetE0EEEvSH_
	.globl	_ZN7rocprim17ROCPRIM_400000_NS6detail17trampoline_kernelINS0_14default_configENS1_35radix_sort_onesweep_config_selectorI6__halfNS0_10empty_typeEEEZZNS1_29radix_sort_onesweep_iterationIS3_Lb0EPKS5_PS5_PS6_SC_mNS0_19identity_decomposerENS1_16block_id_wrapperIjLb0EEEEE10hipError_tT1_PNSt15iterator_traitsISH_E10value_typeET2_T3_PNSI_ISN_E10value_typeET4_T5_PSS_ST_PNS1_23onesweep_lookback_stateEbbT6_jjT7_P12ihipStream_tbENKUlT_T0_SH_SM_E_clISA_SB_SC_SC_EEDaS10_S11_SH_SM_EUlS10_E_NS1_11comp_targetILNS1_3genE3ELNS1_11target_archE908ELNS1_3gpuE7ELNS1_3repE0EEENS1_47radix_sort_onesweep_sort_config_static_selectorELNS0_4arch9wavefront6targetE0EEEvSH_
	.p2align	8
	.type	_ZN7rocprim17ROCPRIM_400000_NS6detail17trampoline_kernelINS0_14default_configENS1_35radix_sort_onesweep_config_selectorI6__halfNS0_10empty_typeEEEZZNS1_29radix_sort_onesweep_iterationIS3_Lb0EPKS5_PS5_PS6_SC_mNS0_19identity_decomposerENS1_16block_id_wrapperIjLb0EEEEE10hipError_tT1_PNSt15iterator_traitsISH_E10value_typeET2_T3_PNSI_ISN_E10value_typeET4_T5_PSS_ST_PNS1_23onesweep_lookback_stateEbbT6_jjT7_P12ihipStream_tbENKUlT_T0_SH_SM_E_clISA_SB_SC_SC_EEDaS10_S11_SH_SM_EUlS10_E_NS1_11comp_targetILNS1_3genE3ELNS1_11target_archE908ELNS1_3gpuE7ELNS1_3repE0EEENS1_47radix_sort_onesweep_sort_config_static_selectorELNS0_4arch9wavefront6targetE0EEEvSH_,@function
_ZN7rocprim17ROCPRIM_400000_NS6detail17trampoline_kernelINS0_14default_configENS1_35radix_sort_onesweep_config_selectorI6__halfNS0_10empty_typeEEEZZNS1_29radix_sort_onesweep_iterationIS3_Lb0EPKS5_PS5_PS6_SC_mNS0_19identity_decomposerENS1_16block_id_wrapperIjLb0EEEEE10hipError_tT1_PNSt15iterator_traitsISH_E10value_typeET2_T3_PNSI_ISN_E10value_typeET4_T5_PSS_ST_PNS1_23onesweep_lookback_stateEbbT6_jjT7_P12ihipStream_tbENKUlT_T0_SH_SM_E_clISA_SB_SC_SC_EEDaS10_S11_SH_SM_EUlS10_E_NS1_11comp_targetILNS1_3genE3ELNS1_11target_archE908ELNS1_3gpuE7ELNS1_3repE0EEENS1_47radix_sort_onesweep_sort_config_static_selectorELNS0_4arch9wavefront6targetE0EEEvSH_: ; @_ZN7rocprim17ROCPRIM_400000_NS6detail17trampoline_kernelINS0_14default_configENS1_35radix_sort_onesweep_config_selectorI6__halfNS0_10empty_typeEEEZZNS1_29radix_sort_onesweep_iterationIS3_Lb0EPKS5_PS5_PS6_SC_mNS0_19identity_decomposerENS1_16block_id_wrapperIjLb0EEEEE10hipError_tT1_PNSt15iterator_traitsISH_E10value_typeET2_T3_PNSI_ISN_E10value_typeET4_T5_PSS_ST_PNS1_23onesweep_lookback_stateEbbT6_jjT7_P12ihipStream_tbENKUlT_T0_SH_SM_E_clISA_SB_SC_SC_EEDaS10_S11_SH_SM_EUlS10_E_NS1_11comp_targetILNS1_3genE3ELNS1_11target_archE908ELNS1_3gpuE7ELNS1_3repE0EEENS1_47radix_sort_onesweep_sort_config_static_selectorELNS0_4arch9wavefront6targetE0EEEvSH_
; %bb.0:
	.section	.rodata,"a",@progbits
	.p2align	6, 0x0
	.amdhsa_kernel _ZN7rocprim17ROCPRIM_400000_NS6detail17trampoline_kernelINS0_14default_configENS1_35radix_sort_onesweep_config_selectorI6__halfNS0_10empty_typeEEEZZNS1_29radix_sort_onesweep_iterationIS3_Lb0EPKS5_PS5_PS6_SC_mNS0_19identity_decomposerENS1_16block_id_wrapperIjLb0EEEEE10hipError_tT1_PNSt15iterator_traitsISH_E10value_typeET2_T3_PNSI_ISN_E10value_typeET4_T5_PSS_ST_PNS1_23onesweep_lookback_stateEbbT6_jjT7_P12ihipStream_tbENKUlT_T0_SH_SM_E_clISA_SB_SC_SC_EEDaS10_S11_SH_SM_EUlS10_E_NS1_11comp_targetILNS1_3genE3ELNS1_11target_archE908ELNS1_3gpuE7ELNS1_3repE0EEENS1_47radix_sort_onesweep_sort_config_static_selectorELNS0_4arch9wavefront6targetE0EEEvSH_
		.amdhsa_group_segment_fixed_size 0
		.amdhsa_private_segment_fixed_size 0
		.amdhsa_kernarg_size 88
		.amdhsa_user_sgpr_count 2
		.amdhsa_user_sgpr_dispatch_ptr 0
		.amdhsa_user_sgpr_queue_ptr 0
		.amdhsa_user_sgpr_kernarg_segment_ptr 1
		.amdhsa_user_sgpr_dispatch_id 0
		.amdhsa_user_sgpr_kernarg_preload_length 0
		.amdhsa_user_sgpr_kernarg_preload_offset 0
		.amdhsa_user_sgpr_private_segment_size 0
		.amdhsa_wavefront_size32 1
		.amdhsa_uses_dynamic_stack 0
		.amdhsa_enable_private_segment 0
		.amdhsa_system_sgpr_workgroup_id_x 1
		.amdhsa_system_sgpr_workgroup_id_y 0
		.amdhsa_system_sgpr_workgroup_id_z 0
		.amdhsa_system_sgpr_workgroup_info 0
		.amdhsa_system_vgpr_workitem_id 0
		.amdhsa_next_free_vgpr 1
		.amdhsa_next_free_sgpr 1
		.amdhsa_named_barrier_count 0
		.amdhsa_reserve_vcc 0
		.amdhsa_float_round_mode_32 0
		.amdhsa_float_round_mode_16_64 0
		.amdhsa_float_denorm_mode_32 3
		.amdhsa_float_denorm_mode_16_64 3
		.amdhsa_fp16_overflow 0
		.amdhsa_memory_ordered 1
		.amdhsa_forward_progress 1
		.amdhsa_inst_pref_size 0
		.amdhsa_round_robin_scheduling 0
		.amdhsa_exception_fp_ieee_invalid_op 0
		.amdhsa_exception_fp_denorm_src 0
		.amdhsa_exception_fp_ieee_div_zero 0
		.amdhsa_exception_fp_ieee_overflow 0
		.amdhsa_exception_fp_ieee_underflow 0
		.amdhsa_exception_fp_ieee_inexact 0
		.amdhsa_exception_int_div_zero 0
	.end_amdhsa_kernel
	.section	.text._ZN7rocprim17ROCPRIM_400000_NS6detail17trampoline_kernelINS0_14default_configENS1_35radix_sort_onesweep_config_selectorI6__halfNS0_10empty_typeEEEZZNS1_29radix_sort_onesweep_iterationIS3_Lb0EPKS5_PS5_PS6_SC_mNS0_19identity_decomposerENS1_16block_id_wrapperIjLb0EEEEE10hipError_tT1_PNSt15iterator_traitsISH_E10value_typeET2_T3_PNSI_ISN_E10value_typeET4_T5_PSS_ST_PNS1_23onesweep_lookback_stateEbbT6_jjT7_P12ihipStream_tbENKUlT_T0_SH_SM_E_clISA_SB_SC_SC_EEDaS10_S11_SH_SM_EUlS10_E_NS1_11comp_targetILNS1_3genE3ELNS1_11target_archE908ELNS1_3gpuE7ELNS1_3repE0EEENS1_47radix_sort_onesweep_sort_config_static_selectorELNS0_4arch9wavefront6targetE0EEEvSH_,"axG",@progbits,_ZN7rocprim17ROCPRIM_400000_NS6detail17trampoline_kernelINS0_14default_configENS1_35radix_sort_onesweep_config_selectorI6__halfNS0_10empty_typeEEEZZNS1_29radix_sort_onesweep_iterationIS3_Lb0EPKS5_PS5_PS6_SC_mNS0_19identity_decomposerENS1_16block_id_wrapperIjLb0EEEEE10hipError_tT1_PNSt15iterator_traitsISH_E10value_typeET2_T3_PNSI_ISN_E10value_typeET4_T5_PSS_ST_PNS1_23onesweep_lookback_stateEbbT6_jjT7_P12ihipStream_tbENKUlT_T0_SH_SM_E_clISA_SB_SC_SC_EEDaS10_S11_SH_SM_EUlS10_E_NS1_11comp_targetILNS1_3genE3ELNS1_11target_archE908ELNS1_3gpuE7ELNS1_3repE0EEENS1_47radix_sort_onesweep_sort_config_static_selectorELNS0_4arch9wavefront6targetE0EEEvSH_,comdat
.Lfunc_end2273:
	.size	_ZN7rocprim17ROCPRIM_400000_NS6detail17trampoline_kernelINS0_14default_configENS1_35radix_sort_onesweep_config_selectorI6__halfNS0_10empty_typeEEEZZNS1_29radix_sort_onesweep_iterationIS3_Lb0EPKS5_PS5_PS6_SC_mNS0_19identity_decomposerENS1_16block_id_wrapperIjLb0EEEEE10hipError_tT1_PNSt15iterator_traitsISH_E10value_typeET2_T3_PNSI_ISN_E10value_typeET4_T5_PSS_ST_PNS1_23onesweep_lookback_stateEbbT6_jjT7_P12ihipStream_tbENKUlT_T0_SH_SM_E_clISA_SB_SC_SC_EEDaS10_S11_SH_SM_EUlS10_E_NS1_11comp_targetILNS1_3genE3ELNS1_11target_archE908ELNS1_3gpuE7ELNS1_3repE0EEENS1_47radix_sort_onesweep_sort_config_static_selectorELNS0_4arch9wavefront6targetE0EEEvSH_, .Lfunc_end2273-_ZN7rocprim17ROCPRIM_400000_NS6detail17trampoline_kernelINS0_14default_configENS1_35radix_sort_onesweep_config_selectorI6__halfNS0_10empty_typeEEEZZNS1_29radix_sort_onesweep_iterationIS3_Lb0EPKS5_PS5_PS6_SC_mNS0_19identity_decomposerENS1_16block_id_wrapperIjLb0EEEEE10hipError_tT1_PNSt15iterator_traitsISH_E10value_typeET2_T3_PNSI_ISN_E10value_typeET4_T5_PSS_ST_PNS1_23onesweep_lookback_stateEbbT6_jjT7_P12ihipStream_tbENKUlT_T0_SH_SM_E_clISA_SB_SC_SC_EEDaS10_S11_SH_SM_EUlS10_E_NS1_11comp_targetILNS1_3genE3ELNS1_11target_archE908ELNS1_3gpuE7ELNS1_3repE0EEENS1_47radix_sort_onesweep_sort_config_static_selectorELNS0_4arch9wavefront6targetE0EEEvSH_
                                        ; -- End function
	.set _ZN7rocprim17ROCPRIM_400000_NS6detail17trampoline_kernelINS0_14default_configENS1_35radix_sort_onesweep_config_selectorI6__halfNS0_10empty_typeEEEZZNS1_29radix_sort_onesweep_iterationIS3_Lb0EPKS5_PS5_PS6_SC_mNS0_19identity_decomposerENS1_16block_id_wrapperIjLb0EEEEE10hipError_tT1_PNSt15iterator_traitsISH_E10value_typeET2_T3_PNSI_ISN_E10value_typeET4_T5_PSS_ST_PNS1_23onesweep_lookback_stateEbbT6_jjT7_P12ihipStream_tbENKUlT_T0_SH_SM_E_clISA_SB_SC_SC_EEDaS10_S11_SH_SM_EUlS10_E_NS1_11comp_targetILNS1_3genE3ELNS1_11target_archE908ELNS1_3gpuE7ELNS1_3repE0EEENS1_47radix_sort_onesweep_sort_config_static_selectorELNS0_4arch9wavefront6targetE0EEEvSH_.num_vgpr, 0
	.set _ZN7rocprim17ROCPRIM_400000_NS6detail17trampoline_kernelINS0_14default_configENS1_35radix_sort_onesweep_config_selectorI6__halfNS0_10empty_typeEEEZZNS1_29radix_sort_onesweep_iterationIS3_Lb0EPKS5_PS5_PS6_SC_mNS0_19identity_decomposerENS1_16block_id_wrapperIjLb0EEEEE10hipError_tT1_PNSt15iterator_traitsISH_E10value_typeET2_T3_PNSI_ISN_E10value_typeET4_T5_PSS_ST_PNS1_23onesweep_lookback_stateEbbT6_jjT7_P12ihipStream_tbENKUlT_T0_SH_SM_E_clISA_SB_SC_SC_EEDaS10_S11_SH_SM_EUlS10_E_NS1_11comp_targetILNS1_3genE3ELNS1_11target_archE908ELNS1_3gpuE7ELNS1_3repE0EEENS1_47radix_sort_onesweep_sort_config_static_selectorELNS0_4arch9wavefront6targetE0EEEvSH_.num_agpr, 0
	.set _ZN7rocprim17ROCPRIM_400000_NS6detail17trampoline_kernelINS0_14default_configENS1_35radix_sort_onesweep_config_selectorI6__halfNS0_10empty_typeEEEZZNS1_29radix_sort_onesweep_iterationIS3_Lb0EPKS5_PS5_PS6_SC_mNS0_19identity_decomposerENS1_16block_id_wrapperIjLb0EEEEE10hipError_tT1_PNSt15iterator_traitsISH_E10value_typeET2_T3_PNSI_ISN_E10value_typeET4_T5_PSS_ST_PNS1_23onesweep_lookback_stateEbbT6_jjT7_P12ihipStream_tbENKUlT_T0_SH_SM_E_clISA_SB_SC_SC_EEDaS10_S11_SH_SM_EUlS10_E_NS1_11comp_targetILNS1_3genE3ELNS1_11target_archE908ELNS1_3gpuE7ELNS1_3repE0EEENS1_47radix_sort_onesweep_sort_config_static_selectorELNS0_4arch9wavefront6targetE0EEEvSH_.numbered_sgpr, 0
	.set _ZN7rocprim17ROCPRIM_400000_NS6detail17trampoline_kernelINS0_14default_configENS1_35radix_sort_onesweep_config_selectorI6__halfNS0_10empty_typeEEEZZNS1_29radix_sort_onesweep_iterationIS3_Lb0EPKS5_PS5_PS6_SC_mNS0_19identity_decomposerENS1_16block_id_wrapperIjLb0EEEEE10hipError_tT1_PNSt15iterator_traitsISH_E10value_typeET2_T3_PNSI_ISN_E10value_typeET4_T5_PSS_ST_PNS1_23onesweep_lookback_stateEbbT6_jjT7_P12ihipStream_tbENKUlT_T0_SH_SM_E_clISA_SB_SC_SC_EEDaS10_S11_SH_SM_EUlS10_E_NS1_11comp_targetILNS1_3genE3ELNS1_11target_archE908ELNS1_3gpuE7ELNS1_3repE0EEENS1_47radix_sort_onesweep_sort_config_static_selectorELNS0_4arch9wavefront6targetE0EEEvSH_.num_named_barrier, 0
	.set _ZN7rocprim17ROCPRIM_400000_NS6detail17trampoline_kernelINS0_14default_configENS1_35radix_sort_onesweep_config_selectorI6__halfNS0_10empty_typeEEEZZNS1_29radix_sort_onesweep_iterationIS3_Lb0EPKS5_PS5_PS6_SC_mNS0_19identity_decomposerENS1_16block_id_wrapperIjLb0EEEEE10hipError_tT1_PNSt15iterator_traitsISH_E10value_typeET2_T3_PNSI_ISN_E10value_typeET4_T5_PSS_ST_PNS1_23onesweep_lookback_stateEbbT6_jjT7_P12ihipStream_tbENKUlT_T0_SH_SM_E_clISA_SB_SC_SC_EEDaS10_S11_SH_SM_EUlS10_E_NS1_11comp_targetILNS1_3genE3ELNS1_11target_archE908ELNS1_3gpuE7ELNS1_3repE0EEENS1_47radix_sort_onesweep_sort_config_static_selectorELNS0_4arch9wavefront6targetE0EEEvSH_.private_seg_size, 0
	.set _ZN7rocprim17ROCPRIM_400000_NS6detail17trampoline_kernelINS0_14default_configENS1_35radix_sort_onesweep_config_selectorI6__halfNS0_10empty_typeEEEZZNS1_29radix_sort_onesweep_iterationIS3_Lb0EPKS5_PS5_PS6_SC_mNS0_19identity_decomposerENS1_16block_id_wrapperIjLb0EEEEE10hipError_tT1_PNSt15iterator_traitsISH_E10value_typeET2_T3_PNSI_ISN_E10value_typeET4_T5_PSS_ST_PNS1_23onesweep_lookback_stateEbbT6_jjT7_P12ihipStream_tbENKUlT_T0_SH_SM_E_clISA_SB_SC_SC_EEDaS10_S11_SH_SM_EUlS10_E_NS1_11comp_targetILNS1_3genE3ELNS1_11target_archE908ELNS1_3gpuE7ELNS1_3repE0EEENS1_47radix_sort_onesweep_sort_config_static_selectorELNS0_4arch9wavefront6targetE0EEEvSH_.uses_vcc, 0
	.set _ZN7rocprim17ROCPRIM_400000_NS6detail17trampoline_kernelINS0_14default_configENS1_35radix_sort_onesweep_config_selectorI6__halfNS0_10empty_typeEEEZZNS1_29radix_sort_onesweep_iterationIS3_Lb0EPKS5_PS5_PS6_SC_mNS0_19identity_decomposerENS1_16block_id_wrapperIjLb0EEEEE10hipError_tT1_PNSt15iterator_traitsISH_E10value_typeET2_T3_PNSI_ISN_E10value_typeET4_T5_PSS_ST_PNS1_23onesweep_lookback_stateEbbT6_jjT7_P12ihipStream_tbENKUlT_T0_SH_SM_E_clISA_SB_SC_SC_EEDaS10_S11_SH_SM_EUlS10_E_NS1_11comp_targetILNS1_3genE3ELNS1_11target_archE908ELNS1_3gpuE7ELNS1_3repE0EEENS1_47radix_sort_onesweep_sort_config_static_selectorELNS0_4arch9wavefront6targetE0EEEvSH_.uses_flat_scratch, 0
	.set _ZN7rocprim17ROCPRIM_400000_NS6detail17trampoline_kernelINS0_14default_configENS1_35radix_sort_onesweep_config_selectorI6__halfNS0_10empty_typeEEEZZNS1_29radix_sort_onesweep_iterationIS3_Lb0EPKS5_PS5_PS6_SC_mNS0_19identity_decomposerENS1_16block_id_wrapperIjLb0EEEEE10hipError_tT1_PNSt15iterator_traitsISH_E10value_typeET2_T3_PNSI_ISN_E10value_typeET4_T5_PSS_ST_PNS1_23onesweep_lookback_stateEbbT6_jjT7_P12ihipStream_tbENKUlT_T0_SH_SM_E_clISA_SB_SC_SC_EEDaS10_S11_SH_SM_EUlS10_E_NS1_11comp_targetILNS1_3genE3ELNS1_11target_archE908ELNS1_3gpuE7ELNS1_3repE0EEENS1_47radix_sort_onesweep_sort_config_static_selectorELNS0_4arch9wavefront6targetE0EEEvSH_.has_dyn_sized_stack, 0
	.set _ZN7rocprim17ROCPRIM_400000_NS6detail17trampoline_kernelINS0_14default_configENS1_35radix_sort_onesweep_config_selectorI6__halfNS0_10empty_typeEEEZZNS1_29radix_sort_onesweep_iterationIS3_Lb0EPKS5_PS5_PS6_SC_mNS0_19identity_decomposerENS1_16block_id_wrapperIjLb0EEEEE10hipError_tT1_PNSt15iterator_traitsISH_E10value_typeET2_T3_PNSI_ISN_E10value_typeET4_T5_PSS_ST_PNS1_23onesweep_lookback_stateEbbT6_jjT7_P12ihipStream_tbENKUlT_T0_SH_SM_E_clISA_SB_SC_SC_EEDaS10_S11_SH_SM_EUlS10_E_NS1_11comp_targetILNS1_3genE3ELNS1_11target_archE908ELNS1_3gpuE7ELNS1_3repE0EEENS1_47radix_sort_onesweep_sort_config_static_selectorELNS0_4arch9wavefront6targetE0EEEvSH_.has_recursion, 0
	.set _ZN7rocprim17ROCPRIM_400000_NS6detail17trampoline_kernelINS0_14default_configENS1_35radix_sort_onesweep_config_selectorI6__halfNS0_10empty_typeEEEZZNS1_29radix_sort_onesweep_iterationIS3_Lb0EPKS5_PS5_PS6_SC_mNS0_19identity_decomposerENS1_16block_id_wrapperIjLb0EEEEE10hipError_tT1_PNSt15iterator_traitsISH_E10value_typeET2_T3_PNSI_ISN_E10value_typeET4_T5_PSS_ST_PNS1_23onesweep_lookback_stateEbbT6_jjT7_P12ihipStream_tbENKUlT_T0_SH_SM_E_clISA_SB_SC_SC_EEDaS10_S11_SH_SM_EUlS10_E_NS1_11comp_targetILNS1_3genE3ELNS1_11target_archE908ELNS1_3gpuE7ELNS1_3repE0EEENS1_47radix_sort_onesweep_sort_config_static_selectorELNS0_4arch9wavefront6targetE0EEEvSH_.has_indirect_call, 0
	.section	.AMDGPU.csdata,"",@progbits
; Kernel info:
; codeLenInByte = 0
; TotalNumSgprs: 0
; NumVgprs: 0
; ScratchSize: 0
; MemoryBound: 0
; FloatMode: 240
; IeeeMode: 1
; LDSByteSize: 0 bytes/workgroup (compile time only)
; SGPRBlocks: 0
; VGPRBlocks: 0
; NumSGPRsForWavesPerEU: 1
; NumVGPRsForWavesPerEU: 1
; NamedBarCnt: 0
; Occupancy: 16
; WaveLimiterHint : 0
; COMPUTE_PGM_RSRC2:SCRATCH_EN: 0
; COMPUTE_PGM_RSRC2:USER_SGPR: 2
; COMPUTE_PGM_RSRC2:TRAP_HANDLER: 0
; COMPUTE_PGM_RSRC2:TGID_X_EN: 1
; COMPUTE_PGM_RSRC2:TGID_Y_EN: 0
; COMPUTE_PGM_RSRC2:TGID_Z_EN: 0
; COMPUTE_PGM_RSRC2:TIDIG_COMP_CNT: 0
	.section	.text._ZN7rocprim17ROCPRIM_400000_NS6detail17trampoline_kernelINS0_14default_configENS1_35radix_sort_onesweep_config_selectorI6__halfNS0_10empty_typeEEEZZNS1_29radix_sort_onesweep_iterationIS3_Lb0EPKS5_PS5_PS6_SC_mNS0_19identity_decomposerENS1_16block_id_wrapperIjLb0EEEEE10hipError_tT1_PNSt15iterator_traitsISH_E10value_typeET2_T3_PNSI_ISN_E10value_typeET4_T5_PSS_ST_PNS1_23onesweep_lookback_stateEbbT6_jjT7_P12ihipStream_tbENKUlT_T0_SH_SM_E_clISA_SB_SC_SC_EEDaS10_S11_SH_SM_EUlS10_E_NS1_11comp_targetILNS1_3genE10ELNS1_11target_archE1201ELNS1_3gpuE5ELNS1_3repE0EEENS1_47radix_sort_onesweep_sort_config_static_selectorELNS0_4arch9wavefront6targetE0EEEvSH_,"axG",@progbits,_ZN7rocprim17ROCPRIM_400000_NS6detail17trampoline_kernelINS0_14default_configENS1_35radix_sort_onesweep_config_selectorI6__halfNS0_10empty_typeEEEZZNS1_29radix_sort_onesweep_iterationIS3_Lb0EPKS5_PS5_PS6_SC_mNS0_19identity_decomposerENS1_16block_id_wrapperIjLb0EEEEE10hipError_tT1_PNSt15iterator_traitsISH_E10value_typeET2_T3_PNSI_ISN_E10value_typeET4_T5_PSS_ST_PNS1_23onesweep_lookback_stateEbbT6_jjT7_P12ihipStream_tbENKUlT_T0_SH_SM_E_clISA_SB_SC_SC_EEDaS10_S11_SH_SM_EUlS10_E_NS1_11comp_targetILNS1_3genE10ELNS1_11target_archE1201ELNS1_3gpuE5ELNS1_3repE0EEENS1_47radix_sort_onesweep_sort_config_static_selectorELNS0_4arch9wavefront6targetE0EEEvSH_,comdat
	.protected	_ZN7rocprim17ROCPRIM_400000_NS6detail17trampoline_kernelINS0_14default_configENS1_35radix_sort_onesweep_config_selectorI6__halfNS0_10empty_typeEEEZZNS1_29radix_sort_onesweep_iterationIS3_Lb0EPKS5_PS5_PS6_SC_mNS0_19identity_decomposerENS1_16block_id_wrapperIjLb0EEEEE10hipError_tT1_PNSt15iterator_traitsISH_E10value_typeET2_T3_PNSI_ISN_E10value_typeET4_T5_PSS_ST_PNS1_23onesweep_lookback_stateEbbT6_jjT7_P12ihipStream_tbENKUlT_T0_SH_SM_E_clISA_SB_SC_SC_EEDaS10_S11_SH_SM_EUlS10_E_NS1_11comp_targetILNS1_3genE10ELNS1_11target_archE1201ELNS1_3gpuE5ELNS1_3repE0EEENS1_47radix_sort_onesweep_sort_config_static_selectorELNS0_4arch9wavefront6targetE0EEEvSH_ ; -- Begin function _ZN7rocprim17ROCPRIM_400000_NS6detail17trampoline_kernelINS0_14default_configENS1_35radix_sort_onesweep_config_selectorI6__halfNS0_10empty_typeEEEZZNS1_29radix_sort_onesweep_iterationIS3_Lb0EPKS5_PS5_PS6_SC_mNS0_19identity_decomposerENS1_16block_id_wrapperIjLb0EEEEE10hipError_tT1_PNSt15iterator_traitsISH_E10value_typeET2_T3_PNSI_ISN_E10value_typeET4_T5_PSS_ST_PNS1_23onesweep_lookback_stateEbbT6_jjT7_P12ihipStream_tbENKUlT_T0_SH_SM_E_clISA_SB_SC_SC_EEDaS10_S11_SH_SM_EUlS10_E_NS1_11comp_targetILNS1_3genE10ELNS1_11target_archE1201ELNS1_3gpuE5ELNS1_3repE0EEENS1_47radix_sort_onesweep_sort_config_static_selectorELNS0_4arch9wavefront6targetE0EEEvSH_
	.globl	_ZN7rocprim17ROCPRIM_400000_NS6detail17trampoline_kernelINS0_14default_configENS1_35radix_sort_onesweep_config_selectorI6__halfNS0_10empty_typeEEEZZNS1_29radix_sort_onesweep_iterationIS3_Lb0EPKS5_PS5_PS6_SC_mNS0_19identity_decomposerENS1_16block_id_wrapperIjLb0EEEEE10hipError_tT1_PNSt15iterator_traitsISH_E10value_typeET2_T3_PNSI_ISN_E10value_typeET4_T5_PSS_ST_PNS1_23onesweep_lookback_stateEbbT6_jjT7_P12ihipStream_tbENKUlT_T0_SH_SM_E_clISA_SB_SC_SC_EEDaS10_S11_SH_SM_EUlS10_E_NS1_11comp_targetILNS1_3genE10ELNS1_11target_archE1201ELNS1_3gpuE5ELNS1_3repE0EEENS1_47radix_sort_onesweep_sort_config_static_selectorELNS0_4arch9wavefront6targetE0EEEvSH_
	.p2align	8
	.type	_ZN7rocprim17ROCPRIM_400000_NS6detail17trampoline_kernelINS0_14default_configENS1_35radix_sort_onesweep_config_selectorI6__halfNS0_10empty_typeEEEZZNS1_29radix_sort_onesweep_iterationIS3_Lb0EPKS5_PS5_PS6_SC_mNS0_19identity_decomposerENS1_16block_id_wrapperIjLb0EEEEE10hipError_tT1_PNSt15iterator_traitsISH_E10value_typeET2_T3_PNSI_ISN_E10value_typeET4_T5_PSS_ST_PNS1_23onesweep_lookback_stateEbbT6_jjT7_P12ihipStream_tbENKUlT_T0_SH_SM_E_clISA_SB_SC_SC_EEDaS10_S11_SH_SM_EUlS10_E_NS1_11comp_targetILNS1_3genE10ELNS1_11target_archE1201ELNS1_3gpuE5ELNS1_3repE0EEENS1_47radix_sort_onesweep_sort_config_static_selectorELNS0_4arch9wavefront6targetE0EEEvSH_,@function
_ZN7rocprim17ROCPRIM_400000_NS6detail17trampoline_kernelINS0_14default_configENS1_35radix_sort_onesweep_config_selectorI6__halfNS0_10empty_typeEEEZZNS1_29radix_sort_onesweep_iterationIS3_Lb0EPKS5_PS5_PS6_SC_mNS0_19identity_decomposerENS1_16block_id_wrapperIjLb0EEEEE10hipError_tT1_PNSt15iterator_traitsISH_E10value_typeET2_T3_PNSI_ISN_E10value_typeET4_T5_PSS_ST_PNS1_23onesweep_lookback_stateEbbT6_jjT7_P12ihipStream_tbENKUlT_T0_SH_SM_E_clISA_SB_SC_SC_EEDaS10_S11_SH_SM_EUlS10_E_NS1_11comp_targetILNS1_3genE10ELNS1_11target_archE1201ELNS1_3gpuE5ELNS1_3repE0EEENS1_47radix_sort_onesweep_sort_config_static_selectorELNS0_4arch9wavefront6targetE0EEEvSH_: ; @_ZN7rocprim17ROCPRIM_400000_NS6detail17trampoline_kernelINS0_14default_configENS1_35radix_sort_onesweep_config_selectorI6__halfNS0_10empty_typeEEEZZNS1_29radix_sort_onesweep_iterationIS3_Lb0EPKS5_PS5_PS6_SC_mNS0_19identity_decomposerENS1_16block_id_wrapperIjLb0EEEEE10hipError_tT1_PNSt15iterator_traitsISH_E10value_typeET2_T3_PNSI_ISN_E10value_typeET4_T5_PSS_ST_PNS1_23onesweep_lookback_stateEbbT6_jjT7_P12ihipStream_tbENKUlT_T0_SH_SM_E_clISA_SB_SC_SC_EEDaS10_S11_SH_SM_EUlS10_E_NS1_11comp_targetILNS1_3genE10ELNS1_11target_archE1201ELNS1_3gpuE5ELNS1_3repE0EEENS1_47radix_sort_onesweep_sort_config_static_selectorELNS0_4arch9wavefront6targetE0EEEvSH_
; %bb.0:
	.section	.rodata,"a",@progbits
	.p2align	6, 0x0
	.amdhsa_kernel _ZN7rocprim17ROCPRIM_400000_NS6detail17trampoline_kernelINS0_14default_configENS1_35radix_sort_onesweep_config_selectorI6__halfNS0_10empty_typeEEEZZNS1_29radix_sort_onesweep_iterationIS3_Lb0EPKS5_PS5_PS6_SC_mNS0_19identity_decomposerENS1_16block_id_wrapperIjLb0EEEEE10hipError_tT1_PNSt15iterator_traitsISH_E10value_typeET2_T3_PNSI_ISN_E10value_typeET4_T5_PSS_ST_PNS1_23onesweep_lookback_stateEbbT6_jjT7_P12ihipStream_tbENKUlT_T0_SH_SM_E_clISA_SB_SC_SC_EEDaS10_S11_SH_SM_EUlS10_E_NS1_11comp_targetILNS1_3genE10ELNS1_11target_archE1201ELNS1_3gpuE5ELNS1_3repE0EEENS1_47radix_sort_onesweep_sort_config_static_selectorELNS0_4arch9wavefront6targetE0EEEvSH_
		.amdhsa_group_segment_fixed_size 0
		.amdhsa_private_segment_fixed_size 0
		.amdhsa_kernarg_size 88
		.amdhsa_user_sgpr_count 2
		.amdhsa_user_sgpr_dispatch_ptr 0
		.amdhsa_user_sgpr_queue_ptr 0
		.amdhsa_user_sgpr_kernarg_segment_ptr 1
		.amdhsa_user_sgpr_dispatch_id 0
		.amdhsa_user_sgpr_kernarg_preload_length 0
		.amdhsa_user_sgpr_kernarg_preload_offset 0
		.amdhsa_user_sgpr_private_segment_size 0
		.amdhsa_wavefront_size32 1
		.amdhsa_uses_dynamic_stack 0
		.amdhsa_enable_private_segment 0
		.amdhsa_system_sgpr_workgroup_id_x 1
		.amdhsa_system_sgpr_workgroup_id_y 0
		.amdhsa_system_sgpr_workgroup_id_z 0
		.amdhsa_system_sgpr_workgroup_info 0
		.amdhsa_system_vgpr_workitem_id 0
		.amdhsa_next_free_vgpr 1
		.amdhsa_next_free_sgpr 1
		.amdhsa_named_barrier_count 0
		.amdhsa_reserve_vcc 0
		.amdhsa_float_round_mode_32 0
		.amdhsa_float_round_mode_16_64 0
		.amdhsa_float_denorm_mode_32 3
		.amdhsa_float_denorm_mode_16_64 3
		.amdhsa_fp16_overflow 0
		.amdhsa_memory_ordered 1
		.amdhsa_forward_progress 1
		.amdhsa_inst_pref_size 0
		.amdhsa_round_robin_scheduling 0
		.amdhsa_exception_fp_ieee_invalid_op 0
		.amdhsa_exception_fp_denorm_src 0
		.amdhsa_exception_fp_ieee_div_zero 0
		.amdhsa_exception_fp_ieee_overflow 0
		.amdhsa_exception_fp_ieee_underflow 0
		.amdhsa_exception_fp_ieee_inexact 0
		.amdhsa_exception_int_div_zero 0
	.end_amdhsa_kernel
	.section	.text._ZN7rocprim17ROCPRIM_400000_NS6detail17trampoline_kernelINS0_14default_configENS1_35radix_sort_onesweep_config_selectorI6__halfNS0_10empty_typeEEEZZNS1_29radix_sort_onesweep_iterationIS3_Lb0EPKS5_PS5_PS6_SC_mNS0_19identity_decomposerENS1_16block_id_wrapperIjLb0EEEEE10hipError_tT1_PNSt15iterator_traitsISH_E10value_typeET2_T3_PNSI_ISN_E10value_typeET4_T5_PSS_ST_PNS1_23onesweep_lookback_stateEbbT6_jjT7_P12ihipStream_tbENKUlT_T0_SH_SM_E_clISA_SB_SC_SC_EEDaS10_S11_SH_SM_EUlS10_E_NS1_11comp_targetILNS1_3genE10ELNS1_11target_archE1201ELNS1_3gpuE5ELNS1_3repE0EEENS1_47radix_sort_onesweep_sort_config_static_selectorELNS0_4arch9wavefront6targetE0EEEvSH_,"axG",@progbits,_ZN7rocprim17ROCPRIM_400000_NS6detail17trampoline_kernelINS0_14default_configENS1_35radix_sort_onesweep_config_selectorI6__halfNS0_10empty_typeEEEZZNS1_29radix_sort_onesweep_iterationIS3_Lb0EPKS5_PS5_PS6_SC_mNS0_19identity_decomposerENS1_16block_id_wrapperIjLb0EEEEE10hipError_tT1_PNSt15iterator_traitsISH_E10value_typeET2_T3_PNSI_ISN_E10value_typeET4_T5_PSS_ST_PNS1_23onesweep_lookback_stateEbbT6_jjT7_P12ihipStream_tbENKUlT_T0_SH_SM_E_clISA_SB_SC_SC_EEDaS10_S11_SH_SM_EUlS10_E_NS1_11comp_targetILNS1_3genE10ELNS1_11target_archE1201ELNS1_3gpuE5ELNS1_3repE0EEENS1_47radix_sort_onesweep_sort_config_static_selectorELNS0_4arch9wavefront6targetE0EEEvSH_,comdat
.Lfunc_end2274:
	.size	_ZN7rocprim17ROCPRIM_400000_NS6detail17trampoline_kernelINS0_14default_configENS1_35radix_sort_onesweep_config_selectorI6__halfNS0_10empty_typeEEEZZNS1_29radix_sort_onesweep_iterationIS3_Lb0EPKS5_PS5_PS6_SC_mNS0_19identity_decomposerENS1_16block_id_wrapperIjLb0EEEEE10hipError_tT1_PNSt15iterator_traitsISH_E10value_typeET2_T3_PNSI_ISN_E10value_typeET4_T5_PSS_ST_PNS1_23onesweep_lookback_stateEbbT6_jjT7_P12ihipStream_tbENKUlT_T0_SH_SM_E_clISA_SB_SC_SC_EEDaS10_S11_SH_SM_EUlS10_E_NS1_11comp_targetILNS1_3genE10ELNS1_11target_archE1201ELNS1_3gpuE5ELNS1_3repE0EEENS1_47radix_sort_onesweep_sort_config_static_selectorELNS0_4arch9wavefront6targetE0EEEvSH_, .Lfunc_end2274-_ZN7rocprim17ROCPRIM_400000_NS6detail17trampoline_kernelINS0_14default_configENS1_35radix_sort_onesweep_config_selectorI6__halfNS0_10empty_typeEEEZZNS1_29radix_sort_onesweep_iterationIS3_Lb0EPKS5_PS5_PS6_SC_mNS0_19identity_decomposerENS1_16block_id_wrapperIjLb0EEEEE10hipError_tT1_PNSt15iterator_traitsISH_E10value_typeET2_T3_PNSI_ISN_E10value_typeET4_T5_PSS_ST_PNS1_23onesweep_lookback_stateEbbT6_jjT7_P12ihipStream_tbENKUlT_T0_SH_SM_E_clISA_SB_SC_SC_EEDaS10_S11_SH_SM_EUlS10_E_NS1_11comp_targetILNS1_3genE10ELNS1_11target_archE1201ELNS1_3gpuE5ELNS1_3repE0EEENS1_47radix_sort_onesweep_sort_config_static_selectorELNS0_4arch9wavefront6targetE0EEEvSH_
                                        ; -- End function
	.set _ZN7rocprim17ROCPRIM_400000_NS6detail17trampoline_kernelINS0_14default_configENS1_35radix_sort_onesweep_config_selectorI6__halfNS0_10empty_typeEEEZZNS1_29radix_sort_onesweep_iterationIS3_Lb0EPKS5_PS5_PS6_SC_mNS0_19identity_decomposerENS1_16block_id_wrapperIjLb0EEEEE10hipError_tT1_PNSt15iterator_traitsISH_E10value_typeET2_T3_PNSI_ISN_E10value_typeET4_T5_PSS_ST_PNS1_23onesweep_lookback_stateEbbT6_jjT7_P12ihipStream_tbENKUlT_T0_SH_SM_E_clISA_SB_SC_SC_EEDaS10_S11_SH_SM_EUlS10_E_NS1_11comp_targetILNS1_3genE10ELNS1_11target_archE1201ELNS1_3gpuE5ELNS1_3repE0EEENS1_47radix_sort_onesweep_sort_config_static_selectorELNS0_4arch9wavefront6targetE0EEEvSH_.num_vgpr, 0
	.set _ZN7rocprim17ROCPRIM_400000_NS6detail17trampoline_kernelINS0_14default_configENS1_35radix_sort_onesweep_config_selectorI6__halfNS0_10empty_typeEEEZZNS1_29radix_sort_onesweep_iterationIS3_Lb0EPKS5_PS5_PS6_SC_mNS0_19identity_decomposerENS1_16block_id_wrapperIjLb0EEEEE10hipError_tT1_PNSt15iterator_traitsISH_E10value_typeET2_T3_PNSI_ISN_E10value_typeET4_T5_PSS_ST_PNS1_23onesweep_lookback_stateEbbT6_jjT7_P12ihipStream_tbENKUlT_T0_SH_SM_E_clISA_SB_SC_SC_EEDaS10_S11_SH_SM_EUlS10_E_NS1_11comp_targetILNS1_3genE10ELNS1_11target_archE1201ELNS1_3gpuE5ELNS1_3repE0EEENS1_47radix_sort_onesweep_sort_config_static_selectorELNS0_4arch9wavefront6targetE0EEEvSH_.num_agpr, 0
	.set _ZN7rocprim17ROCPRIM_400000_NS6detail17trampoline_kernelINS0_14default_configENS1_35radix_sort_onesweep_config_selectorI6__halfNS0_10empty_typeEEEZZNS1_29radix_sort_onesweep_iterationIS3_Lb0EPKS5_PS5_PS6_SC_mNS0_19identity_decomposerENS1_16block_id_wrapperIjLb0EEEEE10hipError_tT1_PNSt15iterator_traitsISH_E10value_typeET2_T3_PNSI_ISN_E10value_typeET4_T5_PSS_ST_PNS1_23onesweep_lookback_stateEbbT6_jjT7_P12ihipStream_tbENKUlT_T0_SH_SM_E_clISA_SB_SC_SC_EEDaS10_S11_SH_SM_EUlS10_E_NS1_11comp_targetILNS1_3genE10ELNS1_11target_archE1201ELNS1_3gpuE5ELNS1_3repE0EEENS1_47radix_sort_onesweep_sort_config_static_selectorELNS0_4arch9wavefront6targetE0EEEvSH_.numbered_sgpr, 0
	.set _ZN7rocprim17ROCPRIM_400000_NS6detail17trampoline_kernelINS0_14default_configENS1_35radix_sort_onesweep_config_selectorI6__halfNS0_10empty_typeEEEZZNS1_29radix_sort_onesweep_iterationIS3_Lb0EPKS5_PS5_PS6_SC_mNS0_19identity_decomposerENS1_16block_id_wrapperIjLb0EEEEE10hipError_tT1_PNSt15iterator_traitsISH_E10value_typeET2_T3_PNSI_ISN_E10value_typeET4_T5_PSS_ST_PNS1_23onesweep_lookback_stateEbbT6_jjT7_P12ihipStream_tbENKUlT_T0_SH_SM_E_clISA_SB_SC_SC_EEDaS10_S11_SH_SM_EUlS10_E_NS1_11comp_targetILNS1_3genE10ELNS1_11target_archE1201ELNS1_3gpuE5ELNS1_3repE0EEENS1_47radix_sort_onesweep_sort_config_static_selectorELNS0_4arch9wavefront6targetE0EEEvSH_.num_named_barrier, 0
	.set _ZN7rocprim17ROCPRIM_400000_NS6detail17trampoline_kernelINS0_14default_configENS1_35radix_sort_onesweep_config_selectorI6__halfNS0_10empty_typeEEEZZNS1_29radix_sort_onesweep_iterationIS3_Lb0EPKS5_PS5_PS6_SC_mNS0_19identity_decomposerENS1_16block_id_wrapperIjLb0EEEEE10hipError_tT1_PNSt15iterator_traitsISH_E10value_typeET2_T3_PNSI_ISN_E10value_typeET4_T5_PSS_ST_PNS1_23onesweep_lookback_stateEbbT6_jjT7_P12ihipStream_tbENKUlT_T0_SH_SM_E_clISA_SB_SC_SC_EEDaS10_S11_SH_SM_EUlS10_E_NS1_11comp_targetILNS1_3genE10ELNS1_11target_archE1201ELNS1_3gpuE5ELNS1_3repE0EEENS1_47radix_sort_onesweep_sort_config_static_selectorELNS0_4arch9wavefront6targetE0EEEvSH_.private_seg_size, 0
	.set _ZN7rocprim17ROCPRIM_400000_NS6detail17trampoline_kernelINS0_14default_configENS1_35radix_sort_onesweep_config_selectorI6__halfNS0_10empty_typeEEEZZNS1_29radix_sort_onesweep_iterationIS3_Lb0EPKS5_PS5_PS6_SC_mNS0_19identity_decomposerENS1_16block_id_wrapperIjLb0EEEEE10hipError_tT1_PNSt15iterator_traitsISH_E10value_typeET2_T3_PNSI_ISN_E10value_typeET4_T5_PSS_ST_PNS1_23onesweep_lookback_stateEbbT6_jjT7_P12ihipStream_tbENKUlT_T0_SH_SM_E_clISA_SB_SC_SC_EEDaS10_S11_SH_SM_EUlS10_E_NS1_11comp_targetILNS1_3genE10ELNS1_11target_archE1201ELNS1_3gpuE5ELNS1_3repE0EEENS1_47radix_sort_onesweep_sort_config_static_selectorELNS0_4arch9wavefront6targetE0EEEvSH_.uses_vcc, 0
	.set _ZN7rocprim17ROCPRIM_400000_NS6detail17trampoline_kernelINS0_14default_configENS1_35radix_sort_onesweep_config_selectorI6__halfNS0_10empty_typeEEEZZNS1_29radix_sort_onesweep_iterationIS3_Lb0EPKS5_PS5_PS6_SC_mNS0_19identity_decomposerENS1_16block_id_wrapperIjLb0EEEEE10hipError_tT1_PNSt15iterator_traitsISH_E10value_typeET2_T3_PNSI_ISN_E10value_typeET4_T5_PSS_ST_PNS1_23onesweep_lookback_stateEbbT6_jjT7_P12ihipStream_tbENKUlT_T0_SH_SM_E_clISA_SB_SC_SC_EEDaS10_S11_SH_SM_EUlS10_E_NS1_11comp_targetILNS1_3genE10ELNS1_11target_archE1201ELNS1_3gpuE5ELNS1_3repE0EEENS1_47radix_sort_onesweep_sort_config_static_selectorELNS0_4arch9wavefront6targetE0EEEvSH_.uses_flat_scratch, 0
	.set _ZN7rocprim17ROCPRIM_400000_NS6detail17trampoline_kernelINS0_14default_configENS1_35radix_sort_onesweep_config_selectorI6__halfNS0_10empty_typeEEEZZNS1_29radix_sort_onesweep_iterationIS3_Lb0EPKS5_PS5_PS6_SC_mNS0_19identity_decomposerENS1_16block_id_wrapperIjLb0EEEEE10hipError_tT1_PNSt15iterator_traitsISH_E10value_typeET2_T3_PNSI_ISN_E10value_typeET4_T5_PSS_ST_PNS1_23onesweep_lookback_stateEbbT6_jjT7_P12ihipStream_tbENKUlT_T0_SH_SM_E_clISA_SB_SC_SC_EEDaS10_S11_SH_SM_EUlS10_E_NS1_11comp_targetILNS1_3genE10ELNS1_11target_archE1201ELNS1_3gpuE5ELNS1_3repE0EEENS1_47radix_sort_onesweep_sort_config_static_selectorELNS0_4arch9wavefront6targetE0EEEvSH_.has_dyn_sized_stack, 0
	.set _ZN7rocprim17ROCPRIM_400000_NS6detail17trampoline_kernelINS0_14default_configENS1_35radix_sort_onesweep_config_selectorI6__halfNS0_10empty_typeEEEZZNS1_29radix_sort_onesweep_iterationIS3_Lb0EPKS5_PS5_PS6_SC_mNS0_19identity_decomposerENS1_16block_id_wrapperIjLb0EEEEE10hipError_tT1_PNSt15iterator_traitsISH_E10value_typeET2_T3_PNSI_ISN_E10value_typeET4_T5_PSS_ST_PNS1_23onesweep_lookback_stateEbbT6_jjT7_P12ihipStream_tbENKUlT_T0_SH_SM_E_clISA_SB_SC_SC_EEDaS10_S11_SH_SM_EUlS10_E_NS1_11comp_targetILNS1_3genE10ELNS1_11target_archE1201ELNS1_3gpuE5ELNS1_3repE0EEENS1_47radix_sort_onesweep_sort_config_static_selectorELNS0_4arch9wavefront6targetE0EEEvSH_.has_recursion, 0
	.set _ZN7rocprim17ROCPRIM_400000_NS6detail17trampoline_kernelINS0_14default_configENS1_35radix_sort_onesweep_config_selectorI6__halfNS0_10empty_typeEEEZZNS1_29radix_sort_onesweep_iterationIS3_Lb0EPKS5_PS5_PS6_SC_mNS0_19identity_decomposerENS1_16block_id_wrapperIjLb0EEEEE10hipError_tT1_PNSt15iterator_traitsISH_E10value_typeET2_T3_PNSI_ISN_E10value_typeET4_T5_PSS_ST_PNS1_23onesweep_lookback_stateEbbT6_jjT7_P12ihipStream_tbENKUlT_T0_SH_SM_E_clISA_SB_SC_SC_EEDaS10_S11_SH_SM_EUlS10_E_NS1_11comp_targetILNS1_3genE10ELNS1_11target_archE1201ELNS1_3gpuE5ELNS1_3repE0EEENS1_47radix_sort_onesweep_sort_config_static_selectorELNS0_4arch9wavefront6targetE0EEEvSH_.has_indirect_call, 0
	.section	.AMDGPU.csdata,"",@progbits
; Kernel info:
; codeLenInByte = 0
; TotalNumSgprs: 0
; NumVgprs: 0
; ScratchSize: 0
; MemoryBound: 0
; FloatMode: 240
; IeeeMode: 1
; LDSByteSize: 0 bytes/workgroup (compile time only)
; SGPRBlocks: 0
; VGPRBlocks: 0
; NumSGPRsForWavesPerEU: 1
; NumVGPRsForWavesPerEU: 1
; NamedBarCnt: 0
; Occupancy: 16
; WaveLimiterHint : 0
; COMPUTE_PGM_RSRC2:SCRATCH_EN: 0
; COMPUTE_PGM_RSRC2:USER_SGPR: 2
; COMPUTE_PGM_RSRC2:TRAP_HANDLER: 0
; COMPUTE_PGM_RSRC2:TGID_X_EN: 1
; COMPUTE_PGM_RSRC2:TGID_Y_EN: 0
; COMPUTE_PGM_RSRC2:TGID_Z_EN: 0
; COMPUTE_PGM_RSRC2:TIDIG_COMP_CNT: 0
	.section	.text._ZN7rocprim17ROCPRIM_400000_NS6detail17trampoline_kernelINS0_14default_configENS1_35radix_sort_onesweep_config_selectorI6__halfNS0_10empty_typeEEEZZNS1_29radix_sort_onesweep_iterationIS3_Lb0EPKS5_PS5_PS6_SC_mNS0_19identity_decomposerENS1_16block_id_wrapperIjLb0EEEEE10hipError_tT1_PNSt15iterator_traitsISH_E10value_typeET2_T3_PNSI_ISN_E10value_typeET4_T5_PSS_ST_PNS1_23onesweep_lookback_stateEbbT6_jjT7_P12ihipStream_tbENKUlT_T0_SH_SM_E_clISA_SB_SC_SC_EEDaS10_S11_SH_SM_EUlS10_E_NS1_11comp_targetILNS1_3genE9ELNS1_11target_archE1100ELNS1_3gpuE3ELNS1_3repE0EEENS1_47radix_sort_onesweep_sort_config_static_selectorELNS0_4arch9wavefront6targetE0EEEvSH_,"axG",@progbits,_ZN7rocprim17ROCPRIM_400000_NS6detail17trampoline_kernelINS0_14default_configENS1_35radix_sort_onesweep_config_selectorI6__halfNS0_10empty_typeEEEZZNS1_29radix_sort_onesweep_iterationIS3_Lb0EPKS5_PS5_PS6_SC_mNS0_19identity_decomposerENS1_16block_id_wrapperIjLb0EEEEE10hipError_tT1_PNSt15iterator_traitsISH_E10value_typeET2_T3_PNSI_ISN_E10value_typeET4_T5_PSS_ST_PNS1_23onesweep_lookback_stateEbbT6_jjT7_P12ihipStream_tbENKUlT_T0_SH_SM_E_clISA_SB_SC_SC_EEDaS10_S11_SH_SM_EUlS10_E_NS1_11comp_targetILNS1_3genE9ELNS1_11target_archE1100ELNS1_3gpuE3ELNS1_3repE0EEENS1_47radix_sort_onesweep_sort_config_static_selectorELNS0_4arch9wavefront6targetE0EEEvSH_,comdat
	.protected	_ZN7rocprim17ROCPRIM_400000_NS6detail17trampoline_kernelINS0_14default_configENS1_35radix_sort_onesweep_config_selectorI6__halfNS0_10empty_typeEEEZZNS1_29radix_sort_onesweep_iterationIS3_Lb0EPKS5_PS5_PS6_SC_mNS0_19identity_decomposerENS1_16block_id_wrapperIjLb0EEEEE10hipError_tT1_PNSt15iterator_traitsISH_E10value_typeET2_T3_PNSI_ISN_E10value_typeET4_T5_PSS_ST_PNS1_23onesweep_lookback_stateEbbT6_jjT7_P12ihipStream_tbENKUlT_T0_SH_SM_E_clISA_SB_SC_SC_EEDaS10_S11_SH_SM_EUlS10_E_NS1_11comp_targetILNS1_3genE9ELNS1_11target_archE1100ELNS1_3gpuE3ELNS1_3repE0EEENS1_47radix_sort_onesweep_sort_config_static_selectorELNS0_4arch9wavefront6targetE0EEEvSH_ ; -- Begin function _ZN7rocprim17ROCPRIM_400000_NS6detail17trampoline_kernelINS0_14default_configENS1_35radix_sort_onesweep_config_selectorI6__halfNS0_10empty_typeEEEZZNS1_29radix_sort_onesweep_iterationIS3_Lb0EPKS5_PS5_PS6_SC_mNS0_19identity_decomposerENS1_16block_id_wrapperIjLb0EEEEE10hipError_tT1_PNSt15iterator_traitsISH_E10value_typeET2_T3_PNSI_ISN_E10value_typeET4_T5_PSS_ST_PNS1_23onesweep_lookback_stateEbbT6_jjT7_P12ihipStream_tbENKUlT_T0_SH_SM_E_clISA_SB_SC_SC_EEDaS10_S11_SH_SM_EUlS10_E_NS1_11comp_targetILNS1_3genE9ELNS1_11target_archE1100ELNS1_3gpuE3ELNS1_3repE0EEENS1_47radix_sort_onesweep_sort_config_static_selectorELNS0_4arch9wavefront6targetE0EEEvSH_
	.globl	_ZN7rocprim17ROCPRIM_400000_NS6detail17trampoline_kernelINS0_14default_configENS1_35radix_sort_onesweep_config_selectorI6__halfNS0_10empty_typeEEEZZNS1_29radix_sort_onesweep_iterationIS3_Lb0EPKS5_PS5_PS6_SC_mNS0_19identity_decomposerENS1_16block_id_wrapperIjLb0EEEEE10hipError_tT1_PNSt15iterator_traitsISH_E10value_typeET2_T3_PNSI_ISN_E10value_typeET4_T5_PSS_ST_PNS1_23onesweep_lookback_stateEbbT6_jjT7_P12ihipStream_tbENKUlT_T0_SH_SM_E_clISA_SB_SC_SC_EEDaS10_S11_SH_SM_EUlS10_E_NS1_11comp_targetILNS1_3genE9ELNS1_11target_archE1100ELNS1_3gpuE3ELNS1_3repE0EEENS1_47radix_sort_onesweep_sort_config_static_selectorELNS0_4arch9wavefront6targetE0EEEvSH_
	.p2align	8
	.type	_ZN7rocprim17ROCPRIM_400000_NS6detail17trampoline_kernelINS0_14default_configENS1_35radix_sort_onesweep_config_selectorI6__halfNS0_10empty_typeEEEZZNS1_29radix_sort_onesweep_iterationIS3_Lb0EPKS5_PS5_PS6_SC_mNS0_19identity_decomposerENS1_16block_id_wrapperIjLb0EEEEE10hipError_tT1_PNSt15iterator_traitsISH_E10value_typeET2_T3_PNSI_ISN_E10value_typeET4_T5_PSS_ST_PNS1_23onesweep_lookback_stateEbbT6_jjT7_P12ihipStream_tbENKUlT_T0_SH_SM_E_clISA_SB_SC_SC_EEDaS10_S11_SH_SM_EUlS10_E_NS1_11comp_targetILNS1_3genE9ELNS1_11target_archE1100ELNS1_3gpuE3ELNS1_3repE0EEENS1_47radix_sort_onesweep_sort_config_static_selectorELNS0_4arch9wavefront6targetE0EEEvSH_,@function
_ZN7rocprim17ROCPRIM_400000_NS6detail17trampoline_kernelINS0_14default_configENS1_35radix_sort_onesweep_config_selectorI6__halfNS0_10empty_typeEEEZZNS1_29radix_sort_onesweep_iterationIS3_Lb0EPKS5_PS5_PS6_SC_mNS0_19identity_decomposerENS1_16block_id_wrapperIjLb0EEEEE10hipError_tT1_PNSt15iterator_traitsISH_E10value_typeET2_T3_PNSI_ISN_E10value_typeET4_T5_PSS_ST_PNS1_23onesweep_lookback_stateEbbT6_jjT7_P12ihipStream_tbENKUlT_T0_SH_SM_E_clISA_SB_SC_SC_EEDaS10_S11_SH_SM_EUlS10_E_NS1_11comp_targetILNS1_3genE9ELNS1_11target_archE1100ELNS1_3gpuE3ELNS1_3repE0EEENS1_47radix_sort_onesweep_sort_config_static_selectorELNS0_4arch9wavefront6targetE0EEEvSH_: ; @_ZN7rocprim17ROCPRIM_400000_NS6detail17trampoline_kernelINS0_14default_configENS1_35radix_sort_onesweep_config_selectorI6__halfNS0_10empty_typeEEEZZNS1_29radix_sort_onesweep_iterationIS3_Lb0EPKS5_PS5_PS6_SC_mNS0_19identity_decomposerENS1_16block_id_wrapperIjLb0EEEEE10hipError_tT1_PNSt15iterator_traitsISH_E10value_typeET2_T3_PNSI_ISN_E10value_typeET4_T5_PSS_ST_PNS1_23onesweep_lookback_stateEbbT6_jjT7_P12ihipStream_tbENKUlT_T0_SH_SM_E_clISA_SB_SC_SC_EEDaS10_S11_SH_SM_EUlS10_E_NS1_11comp_targetILNS1_3genE9ELNS1_11target_archE1100ELNS1_3gpuE3ELNS1_3repE0EEENS1_47radix_sort_onesweep_sort_config_static_selectorELNS0_4arch9wavefront6targetE0EEEvSH_
; %bb.0:
	.section	.rodata,"a",@progbits
	.p2align	6, 0x0
	.amdhsa_kernel _ZN7rocprim17ROCPRIM_400000_NS6detail17trampoline_kernelINS0_14default_configENS1_35radix_sort_onesweep_config_selectorI6__halfNS0_10empty_typeEEEZZNS1_29radix_sort_onesweep_iterationIS3_Lb0EPKS5_PS5_PS6_SC_mNS0_19identity_decomposerENS1_16block_id_wrapperIjLb0EEEEE10hipError_tT1_PNSt15iterator_traitsISH_E10value_typeET2_T3_PNSI_ISN_E10value_typeET4_T5_PSS_ST_PNS1_23onesweep_lookback_stateEbbT6_jjT7_P12ihipStream_tbENKUlT_T0_SH_SM_E_clISA_SB_SC_SC_EEDaS10_S11_SH_SM_EUlS10_E_NS1_11comp_targetILNS1_3genE9ELNS1_11target_archE1100ELNS1_3gpuE3ELNS1_3repE0EEENS1_47radix_sort_onesweep_sort_config_static_selectorELNS0_4arch9wavefront6targetE0EEEvSH_
		.amdhsa_group_segment_fixed_size 0
		.amdhsa_private_segment_fixed_size 0
		.amdhsa_kernarg_size 88
		.amdhsa_user_sgpr_count 2
		.amdhsa_user_sgpr_dispatch_ptr 0
		.amdhsa_user_sgpr_queue_ptr 0
		.amdhsa_user_sgpr_kernarg_segment_ptr 1
		.amdhsa_user_sgpr_dispatch_id 0
		.amdhsa_user_sgpr_kernarg_preload_length 0
		.amdhsa_user_sgpr_kernarg_preload_offset 0
		.amdhsa_user_sgpr_private_segment_size 0
		.amdhsa_wavefront_size32 1
		.amdhsa_uses_dynamic_stack 0
		.amdhsa_enable_private_segment 0
		.amdhsa_system_sgpr_workgroup_id_x 1
		.amdhsa_system_sgpr_workgroup_id_y 0
		.amdhsa_system_sgpr_workgroup_id_z 0
		.amdhsa_system_sgpr_workgroup_info 0
		.amdhsa_system_vgpr_workitem_id 0
		.amdhsa_next_free_vgpr 1
		.amdhsa_next_free_sgpr 1
		.amdhsa_named_barrier_count 0
		.amdhsa_reserve_vcc 0
		.amdhsa_float_round_mode_32 0
		.amdhsa_float_round_mode_16_64 0
		.amdhsa_float_denorm_mode_32 3
		.amdhsa_float_denorm_mode_16_64 3
		.amdhsa_fp16_overflow 0
		.amdhsa_memory_ordered 1
		.amdhsa_forward_progress 1
		.amdhsa_inst_pref_size 0
		.amdhsa_round_robin_scheduling 0
		.amdhsa_exception_fp_ieee_invalid_op 0
		.amdhsa_exception_fp_denorm_src 0
		.amdhsa_exception_fp_ieee_div_zero 0
		.amdhsa_exception_fp_ieee_overflow 0
		.amdhsa_exception_fp_ieee_underflow 0
		.amdhsa_exception_fp_ieee_inexact 0
		.amdhsa_exception_int_div_zero 0
	.end_amdhsa_kernel
	.section	.text._ZN7rocprim17ROCPRIM_400000_NS6detail17trampoline_kernelINS0_14default_configENS1_35radix_sort_onesweep_config_selectorI6__halfNS0_10empty_typeEEEZZNS1_29radix_sort_onesweep_iterationIS3_Lb0EPKS5_PS5_PS6_SC_mNS0_19identity_decomposerENS1_16block_id_wrapperIjLb0EEEEE10hipError_tT1_PNSt15iterator_traitsISH_E10value_typeET2_T3_PNSI_ISN_E10value_typeET4_T5_PSS_ST_PNS1_23onesweep_lookback_stateEbbT6_jjT7_P12ihipStream_tbENKUlT_T0_SH_SM_E_clISA_SB_SC_SC_EEDaS10_S11_SH_SM_EUlS10_E_NS1_11comp_targetILNS1_3genE9ELNS1_11target_archE1100ELNS1_3gpuE3ELNS1_3repE0EEENS1_47radix_sort_onesweep_sort_config_static_selectorELNS0_4arch9wavefront6targetE0EEEvSH_,"axG",@progbits,_ZN7rocprim17ROCPRIM_400000_NS6detail17trampoline_kernelINS0_14default_configENS1_35radix_sort_onesweep_config_selectorI6__halfNS0_10empty_typeEEEZZNS1_29radix_sort_onesweep_iterationIS3_Lb0EPKS5_PS5_PS6_SC_mNS0_19identity_decomposerENS1_16block_id_wrapperIjLb0EEEEE10hipError_tT1_PNSt15iterator_traitsISH_E10value_typeET2_T3_PNSI_ISN_E10value_typeET4_T5_PSS_ST_PNS1_23onesweep_lookback_stateEbbT6_jjT7_P12ihipStream_tbENKUlT_T0_SH_SM_E_clISA_SB_SC_SC_EEDaS10_S11_SH_SM_EUlS10_E_NS1_11comp_targetILNS1_3genE9ELNS1_11target_archE1100ELNS1_3gpuE3ELNS1_3repE0EEENS1_47radix_sort_onesweep_sort_config_static_selectorELNS0_4arch9wavefront6targetE0EEEvSH_,comdat
.Lfunc_end2275:
	.size	_ZN7rocprim17ROCPRIM_400000_NS6detail17trampoline_kernelINS0_14default_configENS1_35radix_sort_onesweep_config_selectorI6__halfNS0_10empty_typeEEEZZNS1_29radix_sort_onesweep_iterationIS3_Lb0EPKS5_PS5_PS6_SC_mNS0_19identity_decomposerENS1_16block_id_wrapperIjLb0EEEEE10hipError_tT1_PNSt15iterator_traitsISH_E10value_typeET2_T3_PNSI_ISN_E10value_typeET4_T5_PSS_ST_PNS1_23onesweep_lookback_stateEbbT6_jjT7_P12ihipStream_tbENKUlT_T0_SH_SM_E_clISA_SB_SC_SC_EEDaS10_S11_SH_SM_EUlS10_E_NS1_11comp_targetILNS1_3genE9ELNS1_11target_archE1100ELNS1_3gpuE3ELNS1_3repE0EEENS1_47radix_sort_onesweep_sort_config_static_selectorELNS0_4arch9wavefront6targetE0EEEvSH_, .Lfunc_end2275-_ZN7rocprim17ROCPRIM_400000_NS6detail17trampoline_kernelINS0_14default_configENS1_35radix_sort_onesweep_config_selectorI6__halfNS0_10empty_typeEEEZZNS1_29radix_sort_onesweep_iterationIS3_Lb0EPKS5_PS5_PS6_SC_mNS0_19identity_decomposerENS1_16block_id_wrapperIjLb0EEEEE10hipError_tT1_PNSt15iterator_traitsISH_E10value_typeET2_T3_PNSI_ISN_E10value_typeET4_T5_PSS_ST_PNS1_23onesweep_lookback_stateEbbT6_jjT7_P12ihipStream_tbENKUlT_T0_SH_SM_E_clISA_SB_SC_SC_EEDaS10_S11_SH_SM_EUlS10_E_NS1_11comp_targetILNS1_3genE9ELNS1_11target_archE1100ELNS1_3gpuE3ELNS1_3repE0EEENS1_47radix_sort_onesweep_sort_config_static_selectorELNS0_4arch9wavefront6targetE0EEEvSH_
                                        ; -- End function
	.set _ZN7rocprim17ROCPRIM_400000_NS6detail17trampoline_kernelINS0_14default_configENS1_35radix_sort_onesweep_config_selectorI6__halfNS0_10empty_typeEEEZZNS1_29radix_sort_onesweep_iterationIS3_Lb0EPKS5_PS5_PS6_SC_mNS0_19identity_decomposerENS1_16block_id_wrapperIjLb0EEEEE10hipError_tT1_PNSt15iterator_traitsISH_E10value_typeET2_T3_PNSI_ISN_E10value_typeET4_T5_PSS_ST_PNS1_23onesweep_lookback_stateEbbT6_jjT7_P12ihipStream_tbENKUlT_T0_SH_SM_E_clISA_SB_SC_SC_EEDaS10_S11_SH_SM_EUlS10_E_NS1_11comp_targetILNS1_3genE9ELNS1_11target_archE1100ELNS1_3gpuE3ELNS1_3repE0EEENS1_47radix_sort_onesweep_sort_config_static_selectorELNS0_4arch9wavefront6targetE0EEEvSH_.num_vgpr, 0
	.set _ZN7rocprim17ROCPRIM_400000_NS6detail17trampoline_kernelINS0_14default_configENS1_35radix_sort_onesweep_config_selectorI6__halfNS0_10empty_typeEEEZZNS1_29radix_sort_onesweep_iterationIS3_Lb0EPKS5_PS5_PS6_SC_mNS0_19identity_decomposerENS1_16block_id_wrapperIjLb0EEEEE10hipError_tT1_PNSt15iterator_traitsISH_E10value_typeET2_T3_PNSI_ISN_E10value_typeET4_T5_PSS_ST_PNS1_23onesweep_lookback_stateEbbT6_jjT7_P12ihipStream_tbENKUlT_T0_SH_SM_E_clISA_SB_SC_SC_EEDaS10_S11_SH_SM_EUlS10_E_NS1_11comp_targetILNS1_3genE9ELNS1_11target_archE1100ELNS1_3gpuE3ELNS1_3repE0EEENS1_47radix_sort_onesweep_sort_config_static_selectorELNS0_4arch9wavefront6targetE0EEEvSH_.num_agpr, 0
	.set _ZN7rocprim17ROCPRIM_400000_NS6detail17trampoline_kernelINS0_14default_configENS1_35radix_sort_onesweep_config_selectorI6__halfNS0_10empty_typeEEEZZNS1_29radix_sort_onesweep_iterationIS3_Lb0EPKS5_PS5_PS6_SC_mNS0_19identity_decomposerENS1_16block_id_wrapperIjLb0EEEEE10hipError_tT1_PNSt15iterator_traitsISH_E10value_typeET2_T3_PNSI_ISN_E10value_typeET4_T5_PSS_ST_PNS1_23onesweep_lookback_stateEbbT6_jjT7_P12ihipStream_tbENKUlT_T0_SH_SM_E_clISA_SB_SC_SC_EEDaS10_S11_SH_SM_EUlS10_E_NS1_11comp_targetILNS1_3genE9ELNS1_11target_archE1100ELNS1_3gpuE3ELNS1_3repE0EEENS1_47radix_sort_onesweep_sort_config_static_selectorELNS0_4arch9wavefront6targetE0EEEvSH_.numbered_sgpr, 0
	.set _ZN7rocprim17ROCPRIM_400000_NS6detail17trampoline_kernelINS0_14default_configENS1_35radix_sort_onesweep_config_selectorI6__halfNS0_10empty_typeEEEZZNS1_29radix_sort_onesweep_iterationIS3_Lb0EPKS5_PS5_PS6_SC_mNS0_19identity_decomposerENS1_16block_id_wrapperIjLb0EEEEE10hipError_tT1_PNSt15iterator_traitsISH_E10value_typeET2_T3_PNSI_ISN_E10value_typeET4_T5_PSS_ST_PNS1_23onesweep_lookback_stateEbbT6_jjT7_P12ihipStream_tbENKUlT_T0_SH_SM_E_clISA_SB_SC_SC_EEDaS10_S11_SH_SM_EUlS10_E_NS1_11comp_targetILNS1_3genE9ELNS1_11target_archE1100ELNS1_3gpuE3ELNS1_3repE0EEENS1_47radix_sort_onesweep_sort_config_static_selectorELNS0_4arch9wavefront6targetE0EEEvSH_.num_named_barrier, 0
	.set _ZN7rocprim17ROCPRIM_400000_NS6detail17trampoline_kernelINS0_14default_configENS1_35radix_sort_onesweep_config_selectorI6__halfNS0_10empty_typeEEEZZNS1_29radix_sort_onesweep_iterationIS3_Lb0EPKS5_PS5_PS6_SC_mNS0_19identity_decomposerENS1_16block_id_wrapperIjLb0EEEEE10hipError_tT1_PNSt15iterator_traitsISH_E10value_typeET2_T3_PNSI_ISN_E10value_typeET4_T5_PSS_ST_PNS1_23onesweep_lookback_stateEbbT6_jjT7_P12ihipStream_tbENKUlT_T0_SH_SM_E_clISA_SB_SC_SC_EEDaS10_S11_SH_SM_EUlS10_E_NS1_11comp_targetILNS1_3genE9ELNS1_11target_archE1100ELNS1_3gpuE3ELNS1_3repE0EEENS1_47radix_sort_onesweep_sort_config_static_selectorELNS0_4arch9wavefront6targetE0EEEvSH_.private_seg_size, 0
	.set _ZN7rocprim17ROCPRIM_400000_NS6detail17trampoline_kernelINS0_14default_configENS1_35radix_sort_onesweep_config_selectorI6__halfNS0_10empty_typeEEEZZNS1_29radix_sort_onesweep_iterationIS3_Lb0EPKS5_PS5_PS6_SC_mNS0_19identity_decomposerENS1_16block_id_wrapperIjLb0EEEEE10hipError_tT1_PNSt15iterator_traitsISH_E10value_typeET2_T3_PNSI_ISN_E10value_typeET4_T5_PSS_ST_PNS1_23onesweep_lookback_stateEbbT6_jjT7_P12ihipStream_tbENKUlT_T0_SH_SM_E_clISA_SB_SC_SC_EEDaS10_S11_SH_SM_EUlS10_E_NS1_11comp_targetILNS1_3genE9ELNS1_11target_archE1100ELNS1_3gpuE3ELNS1_3repE0EEENS1_47radix_sort_onesweep_sort_config_static_selectorELNS0_4arch9wavefront6targetE0EEEvSH_.uses_vcc, 0
	.set _ZN7rocprim17ROCPRIM_400000_NS6detail17trampoline_kernelINS0_14default_configENS1_35radix_sort_onesweep_config_selectorI6__halfNS0_10empty_typeEEEZZNS1_29radix_sort_onesweep_iterationIS3_Lb0EPKS5_PS5_PS6_SC_mNS0_19identity_decomposerENS1_16block_id_wrapperIjLb0EEEEE10hipError_tT1_PNSt15iterator_traitsISH_E10value_typeET2_T3_PNSI_ISN_E10value_typeET4_T5_PSS_ST_PNS1_23onesweep_lookback_stateEbbT6_jjT7_P12ihipStream_tbENKUlT_T0_SH_SM_E_clISA_SB_SC_SC_EEDaS10_S11_SH_SM_EUlS10_E_NS1_11comp_targetILNS1_3genE9ELNS1_11target_archE1100ELNS1_3gpuE3ELNS1_3repE0EEENS1_47radix_sort_onesweep_sort_config_static_selectorELNS0_4arch9wavefront6targetE0EEEvSH_.uses_flat_scratch, 0
	.set _ZN7rocprim17ROCPRIM_400000_NS6detail17trampoline_kernelINS0_14default_configENS1_35radix_sort_onesweep_config_selectorI6__halfNS0_10empty_typeEEEZZNS1_29radix_sort_onesweep_iterationIS3_Lb0EPKS5_PS5_PS6_SC_mNS0_19identity_decomposerENS1_16block_id_wrapperIjLb0EEEEE10hipError_tT1_PNSt15iterator_traitsISH_E10value_typeET2_T3_PNSI_ISN_E10value_typeET4_T5_PSS_ST_PNS1_23onesweep_lookback_stateEbbT6_jjT7_P12ihipStream_tbENKUlT_T0_SH_SM_E_clISA_SB_SC_SC_EEDaS10_S11_SH_SM_EUlS10_E_NS1_11comp_targetILNS1_3genE9ELNS1_11target_archE1100ELNS1_3gpuE3ELNS1_3repE0EEENS1_47radix_sort_onesweep_sort_config_static_selectorELNS0_4arch9wavefront6targetE0EEEvSH_.has_dyn_sized_stack, 0
	.set _ZN7rocprim17ROCPRIM_400000_NS6detail17trampoline_kernelINS0_14default_configENS1_35radix_sort_onesweep_config_selectorI6__halfNS0_10empty_typeEEEZZNS1_29radix_sort_onesweep_iterationIS3_Lb0EPKS5_PS5_PS6_SC_mNS0_19identity_decomposerENS1_16block_id_wrapperIjLb0EEEEE10hipError_tT1_PNSt15iterator_traitsISH_E10value_typeET2_T3_PNSI_ISN_E10value_typeET4_T5_PSS_ST_PNS1_23onesweep_lookback_stateEbbT6_jjT7_P12ihipStream_tbENKUlT_T0_SH_SM_E_clISA_SB_SC_SC_EEDaS10_S11_SH_SM_EUlS10_E_NS1_11comp_targetILNS1_3genE9ELNS1_11target_archE1100ELNS1_3gpuE3ELNS1_3repE0EEENS1_47radix_sort_onesweep_sort_config_static_selectorELNS0_4arch9wavefront6targetE0EEEvSH_.has_recursion, 0
	.set _ZN7rocprim17ROCPRIM_400000_NS6detail17trampoline_kernelINS0_14default_configENS1_35radix_sort_onesweep_config_selectorI6__halfNS0_10empty_typeEEEZZNS1_29radix_sort_onesweep_iterationIS3_Lb0EPKS5_PS5_PS6_SC_mNS0_19identity_decomposerENS1_16block_id_wrapperIjLb0EEEEE10hipError_tT1_PNSt15iterator_traitsISH_E10value_typeET2_T3_PNSI_ISN_E10value_typeET4_T5_PSS_ST_PNS1_23onesweep_lookback_stateEbbT6_jjT7_P12ihipStream_tbENKUlT_T0_SH_SM_E_clISA_SB_SC_SC_EEDaS10_S11_SH_SM_EUlS10_E_NS1_11comp_targetILNS1_3genE9ELNS1_11target_archE1100ELNS1_3gpuE3ELNS1_3repE0EEENS1_47radix_sort_onesweep_sort_config_static_selectorELNS0_4arch9wavefront6targetE0EEEvSH_.has_indirect_call, 0
	.section	.AMDGPU.csdata,"",@progbits
; Kernel info:
; codeLenInByte = 0
; TotalNumSgprs: 0
; NumVgprs: 0
; ScratchSize: 0
; MemoryBound: 0
; FloatMode: 240
; IeeeMode: 1
; LDSByteSize: 0 bytes/workgroup (compile time only)
; SGPRBlocks: 0
; VGPRBlocks: 0
; NumSGPRsForWavesPerEU: 1
; NumVGPRsForWavesPerEU: 1
; NamedBarCnt: 0
; Occupancy: 16
; WaveLimiterHint : 0
; COMPUTE_PGM_RSRC2:SCRATCH_EN: 0
; COMPUTE_PGM_RSRC2:USER_SGPR: 2
; COMPUTE_PGM_RSRC2:TRAP_HANDLER: 0
; COMPUTE_PGM_RSRC2:TGID_X_EN: 1
; COMPUTE_PGM_RSRC2:TGID_Y_EN: 0
; COMPUTE_PGM_RSRC2:TGID_Z_EN: 0
; COMPUTE_PGM_RSRC2:TIDIG_COMP_CNT: 0
	.section	.text._ZN7rocprim17ROCPRIM_400000_NS6detail17trampoline_kernelINS0_14default_configENS1_35radix_sort_onesweep_config_selectorI6__halfNS0_10empty_typeEEEZZNS1_29radix_sort_onesweep_iterationIS3_Lb0EPKS5_PS5_PS6_SC_mNS0_19identity_decomposerENS1_16block_id_wrapperIjLb0EEEEE10hipError_tT1_PNSt15iterator_traitsISH_E10value_typeET2_T3_PNSI_ISN_E10value_typeET4_T5_PSS_ST_PNS1_23onesweep_lookback_stateEbbT6_jjT7_P12ihipStream_tbENKUlT_T0_SH_SM_E_clISA_SB_SC_SC_EEDaS10_S11_SH_SM_EUlS10_E_NS1_11comp_targetILNS1_3genE8ELNS1_11target_archE1030ELNS1_3gpuE2ELNS1_3repE0EEENS1_47radix_sort_onesweep_sort_config_static_selectorELNS0_4arch9wavefront6targetE0EEEvSH_,"axG",@progbits,_ZN7rocprim17ROCPRIM_400000_NS6detail17trampoline_kernelINS0_14default_configENS1_35radix_sort_onesweep_config_selectorI6__halfNS0_10empty_typeEEEZZNS1_29radix_sort_onesweep_iterationIS3_Lb0EPKS5_PS5_PS6_SC_mNS0_19identity_decomposerENS1_16block_id_wrapperIjLb0EEEEE10hipError_tT1_PNSt15iterator_traitsISH_E10value_typeET2_T3_PNSI_ISN_E10value_typeET4_T5_PSS_ST_PNS1_23onesweep_lookback_stateEbbT6_jjT7_P12ihipStream_tbENKUlT_T0_SH_SM_E_clISA_SB_SC_SC_EEDaS10_S11_SH_SM_EUlS10_E_NS1_11comp_targetILNS1_3genE8ELNS1_11target_archE1030ELNS1_3gpuE2ELNS1_3repE0EEENS1_47radix_sort_onesweep_sort_config_static_selectorELNS0_4arch9wavefront6targetE0EEEvSH_,comdat
	.protected	_ZN7rocprim17ROCPRIM_400000_NS6detail17trampoline_kernelINS0_14default_configENS1_35radix_sort_onesweep_config_selectorI6__halfNS0_10empty_typeEEEZZNS1_29radix_sort_onesweep_iterationIS3_Lb0EPKS5_PS5_PS6_SC_mNS0_19identity_decomposerENS1_16block_id_wrapperIjLb0EEEEE10hipError_tT1_PNSt15iterator_traitsISH_E10value_typeET2_T3_PNSI_ISN_E10value_typeET4_T5_PSS_ST_PNS1_23onesweep_lookback_stateEbbT6_jjT7_P12ihipStream_tbENKUlT_T0_SH_SM_E_clISA_SB_SC_SC_EEDaS10_S11_SH_SM_EUlS10_E_NS1_11comp_targetILNS1_3genE8ELNS1_11target_archE1030ELNS1_3gpuE2ELNS1_3repE0EEENS1_47radix_sort_onesweep_sort_config_static_selectorELNS0_4arch9wavefront6targetE0EEEvSH_ ; -- Begin function _ZN7rocprim17ROCPRIM_400000_NS6detail17trampoline_kernelINS0_14default_configENS1_35radix_sort_onesweep_config_selectorI6__halfNS0_10empty_typeEEEZZNS1_29radix_sort_onesweep_iterationIS3_Lb0EPKS5_PS5_PS6_SC_mNS0_19identity_decomposerENS1_16block_id_wrapperIjLb0EEEEE10hipError_tT1_PNSt15iterator_traitsISH_E10value_typeET2_T3_PNSI_ISN_E10value_typeET4_T5_PSS_ST_PNS1_23onesweep_lookback_stateEbbT6_jjT7_P12ihipStream_tbENKUlT_T0_SH_SM_E_clISA_SB_SC_SC_EEDaS10_S11_SH_SM_EUlS10_E_NS1_11comp_targetILNS1_3genE8ELNS1_11target_archE1030ELNS1_3gpuE2ELNS1_3repE0EEENS1_47radix_sort_onesweep_sort_config_static_selectorELNS0_4arch9wavefront6targetE0EEEvSH_
	.globl	_ZN7rocprim17ROCPRIM_400000_NS6detail17trampoline_kernelINS0_14default_configENS1_35radix_sort_onesweep_config_selectorI6__halfNS0_10empty_typeEEEZZNS1_29radix_sort_onesweep_iterationIS3_Lb0EPKS5_PS5_PS6_SC_mNS0_19identity_decomposerENS1_16block_id_wrapperIjLb0EEEEE10hipError_tT1_PNSt15iterator_traitsISH_E10value_typeET2_T3_PNSI_ISN_E10value_typeET4_T5_PSS_ST_PNS1_23onesweep_lookback_stateEbbT6_jjT7_P12ihipStream_tbENKUlT_T0_SH_SM_E_clISA_SB_SC_SC_EEDaS10_S11_SH_SM_EUlS10_E_NS1_11comp_targetILNS1_3genE8ELNS1_11target_archE1030ELNS1_3gpuE2ELNS1_3repE0EEENS1_47radix_sort_onesweep_sort_config_static_selectorELNS0_4arch9wavefront6targetE0EEEvSH_
	.p2align	8
	.type	_ZN7rocprim17ROCPRIM_400000_NS6detail17trampoline_kernelINS0_14default_configENS1_35radix_sort_onesweep_config_selectorI6__halfNS0_10empty_typeEEEZZNS1_29radix_sort_onesweep_iterationIS3_Lb0EPKS5_PS5_PS6_SC_mNS0_19identity_decomposerENS1_16block_id_wrapperIjLb0EEEEE10hipError_tT1_PNSt15iterator_traitsISH_E10value_typeET2_T3_PNSI_ISN_E10value_typeET4_T5_PSS_ST_PNS1_23onesweep_lookback_stateEbbT6_jjT7_P12ihipStream_tbENKUlT_T0_SH_SM_E_clISA_SB_SC_SC_EEDaS10_S11_SH_SM_EUlS10_E_NS1_11comp_targetILNS1_3genE8ELNS1_11target_archE1030ELNS1_3gpuE2ELNS1_3repE0EEENS1_47radix_sort_onesweep_sort_config_static_selectorELNS0_4arch9wavefront6targetE0EEEvSH_,@function
_ZN7rocprim17ROCPRIM_400000_NS6detail17trampoline_kernelINS0_14default_configENS1_35radix_sort_onesweep_config_selectorI6__halfNS0_10empty_typeEEEZZNS1_29radix_sort_onesweep_iterationIS3_Lb0EPKS5_PS5_PS6_SC_mNS0_19identity_decomposerENS1_16block_id_wrapperIjLb0EEEEE10hipError_tT1_PNSt15iterator_traitsISH_E10value_typeET2_T3_PNSI_ISN_E10value_typeET4_T5_PSS_ST_PNS1_23onesweep_lookback_stateEbbT6_jjT7_P12ihipStream_tbENKUlT_T0_SH_SM_E_clISA_SB_SC_SC_EEDaS10_S11_SH_SM_EUlS10_E_NS1_11comp_targetILNS1_3genE8ELNS1_11target_archE1030ELNS1_3gpuE2ELNS1_3repE0EEENS1_47radix_sort_onesweep_sort_config_static_selectorELNS0_4arch9wavefront6targetE0EEEvSH_: ; @_ZN7rocprim17ROCPRIM_400000_NS6detail17trampoline_kernelINS0_14default_configENS1_35radix_sort_onesweep_config_selectorI6__halfNS0_10empty_typeEEEZZNS1_29radix_sort_onesweep_iterationIS3_Lb0EPKS5_PS5_PS6_SC_mNS0_19identity_decomposerENS1_16block_id_wrapperIjLb0EEEEE10hipError_tT1_PNSt15iterator_traitsISH_E10value_typeET2_T3_PNSI_ISN_E10value_typeET4_T5_PSS_ST_PNS1_23onesweep_lookback_stateEbbT6_jjT7_P12ihipStream_tbENKUlT_T0_SH_SM_E_clISA_SB_SC_SC_EEDaS10_S11_SH_SM_EUlS10_E_NS1_11comp_targetILNS1_3genE8ELNS1_11target_archE1030ELNS1_3gpuE2ELNS1_3repE0EEENS1_47radix_sort_onesweep_sort_config_static_selectorELNS0_4arch9wavefront6targetE0EEEvSH_
; %bb.0:
	.section	.rodata,"a",@progbits
	.p2align	6, 0x0
	.amdhsa_kernel _ZN7rocprim17ROCPRIM_400000_NS6detail17trampoline_kernelINS0_14default_configENS1_35radix_sort_onesweep_config_selectorI6__halfNS0_10empty_typeEEEZZNS1_29radix_sort_onesweep_iterationIS3_Lb0EPKS5_PS5_PS6_SC_mNS0_19identity_decomposerENS1_16block_id_wrapperIjLb0EEEEE10hipError_tT1_PNSt15iterator_traitsISH_E10value_typeET2_T3_PNSI_ISN_E10value_typeET4_T5_PSS_ST_PNS1_23onesweep_lookback_stateEbbT6_jjT7_P12ihipStream_tbENKUlT_T0_SH_SM_E_clISA_SB_SC_SC_EEDaS10_S11_SH_SM_EUlS10_E_NS1_11comp_targetILNS1_3genE8ELNS1_11target_archE1030ELNS1_3gpuE2ELNS1_3repE0EEENS1_47radix_sort_onesweep_sort_config_static_selectorELNS0_4arch9wavefront6targetE0EEEvSH_
		.amdhsa_group_segment_fixed_size 0
		.amdhsa_private_segment_fixed_size 0
		.amdhsa_kernarg_size 88
		.amdhsa_user_sgpr_count 2
		.amdhsa_user_sgpr_dispatch_ptr 0
		.amdhsa_user_sgpr_queue_ptr 0
		.amdhsa_user_sgpr_kernarg_segment_ptr 1
		.amdhsa_user_sgpr_dispatch_id 0
		.amdhsa_user_sgpr_kernarg_preload_length 0
		.amdhsa_user_sgpr_kernarg_preload_offset 0
		.amdhsa_user_sgpr_private_segment_size 0
		.amdhsa_wavefront_size32 1
		.amdhsa_uses_dynamic_stack 0
		.amdhsa_enable_private_segment 0
		.amdhsa_system_sgpr_workgroup_id_x 1
		.amdhsa_system_sgpr_workgroup_id_y 0
		.amdhsa_system_sgpr_workgroup_id_z 0
		.amdhsa_system_sgpr_workgroup_info 0
		.amdhsa_system_vgpr_workitem_id 0
		.amdhsa_next_free_vgpr 1
		.amdhsa_next_free_sgpr 1
		.amdhsa_named_barrier_count 0
		.amdhsa_reserve_vcc 0
		.amdhsa_float_round_mode_32 0
		.amdhsa_float_round_mode_16_64 0
		.amdhsa_float_denorm_mode_32 3
		.amdhsa_float_denorm_mode_16_64 3
		.amdhsa_fp16_overflow 0
		.amdhsa_memory_ordered 1
		.amdhsa_forward_progress 1
		.amdhsa_inst_pref_size 0
		.amdhsa_round_robin_scheduling 0
		.amdhsa_exception_fp_ieee_invalid_op 0
		.amdhsa_exception_fp_denorm_src 0
		.amdhsa_exception_fp_ieee_div_zero 0
		.amdhsa_exception_fp_ieee_overflow 0
		.amdhsa_exception_fp_ieee_underflow 0
		.amdhsa_exception_fp_ieee_inexact 0
		.amdhsa_exception_int_div_zero 0
	.end_amdhsa_kernel
	.section	.text._ZN7rocprim17ROCPRIM_400000_NS6detail17trampoline_kernelINS0_14default_configENS1_35radix_sort_onesweep_config_selectorI6__halfNS0_10empty_typeEEEZZNS1_29radix_sort_onesweep_iterationIS3_Lb0EPKS5_PS5_PS6_SC_mNS0_19identity_decomposerENS1_16block_id_wrapperIjLb0EEEEE10hipError_tT1_PNSt15iterator_traitsISH_E10value_typeET2_T3_PNSI_ISN_E10value_typeET4_T5_PSS_ST_PNS1_23onesweep_lookback_stateEbbT6_jjT7_P12ihipStream_tbENKUlT_T0_SH_SM_E_clISA_SB_SC_SC_EEDaS10_S11_SH_SM_EUlS10_E_NS1_11comp_targetILNS1_3genE8ELNS1_11target_archE1030ELNS1_3gpuE2ELNS1_3repE0EEENS1_47radix_sort_onesweep_sort_config_static_selectorELNS0_4arch9wavefront6targetE0EEEvSH_,"axG",@progbits,_ZN7rocprim17ROCPRIM_400000_NS6detail17trampoline_kernelINS0_14default_configENS1_35radix_sort_onesweep_config_selectorI6__halfNS0_10empty_typeEEEZZNS1_29radix_sort_onesweep_iterationIS3_Lb0EPKS5_PS5_PS6_SC_mNS0_19identity_decomposerENS1_16block_id_wrapperIjLb0EEEEE10hipError_tT1_PNSt15iterator_traitsISH_E10value_typeET2_T3_PNSI_ISN_E10value_typeET4_T5_PSS_ST_PNS1_23onesweep_lookback_stateEbbT6_jjT7_P12ihipStream_tbENKUlT_T0_SH_SM_E_clISA_SB_SC_SC_EEDaS10_S11_SH_SM_EUlS10_E_NS1_11comp_targetILNS1_3genE8ELNS1_11target_archE1030ELNS1_3gpuE2ELNS1_3repE0EEENS1_47radix_sort_onesweep_sort_config_static_selectorELNS0_4arch9wavefront6targetE0EEEvSH_,comdat
.Lfunc_end2276:
	.size	_ZN7rocprim17ROCPRIM_400000_NS6detail17trampoline_kernelINS0_14default_configENS1_35radix_sort_onesweep_config_selectorI6__halfNS0_10empty_typeEEEZZNS1_29radix_sort_onesweep_iterationIS3_Lb0EPKS5_PS5_PS6_SC_mNS0_19identity_decomposerENS1_16block_id_wrapperIjLb0EEEEE10hipError_tT1_PNSt15iterator_traitsISH_E10value_typeET2_T3_PNSI_ISN_E10value_typeET4_T5_PSS_ST_PNS1_23onesweep_lookback_stateEbbT6_jjT7_P12ihipStream_tbENKUlT_T0_SH_SM_E_clISA_SB_SC_SC_EEDaS10_S11_SH_SM_EUlS10_E_NS1_11comp_targetILNS1_3genE8ELNS1_11target_archE1030ELNS1_3gpuE2ELNS1_3repE0EEENS1_47radix_sort_onesweep_sort_config_static_selectorELNS0_4arch9wavefront6targetE0EEEvSH_, .Lfunc_end2276-_ZN7rocprim17ROCPRIM_400000_NS6detail17trampoline_kernelINS0_14default_configENS1_35radix_sort_onesweep_config_selectorI6__halfNS0_10empty_typeEEEZZNS1_29radix_sort_onesweep_iterationIS3_Lb0EPKS5_PS5_PS6_SC_mNS0_19identity_decomposerENS1_16block_id_wrapperIjLb0EEEEE10hipError_tT1_PNSt15iterator_traitsISH_E10value_typeET2_T3_PNSI_ISN_E10value_typeET4_T5_PSS_ST_PNS1_23onesweep_lookback_stateEbbT6_jjT7_P12ihipStream_tbENKUlT_T0_SH_SM_E_clISA_SB_SC_SC_EEDaS10_S11_SH_SM_EUlS10_E_NS1_11comp_targetILNS1_3genE8ELNS1_11target_archE1030ELNS1_3gpuE2ELNS1_3repE0EEENS1_47radix_sort_onesweep_sort_config_static_selectorELNS0_4arch9wavefront6targetE0EEEvSH_
                                        ; -- End function
	.set _ZN7rocprim17ROCPRIM_400000_NS6detail17trampoline_kernelINS0_14default_configENS1_35radix_sort_onesweep_config_selectorI6__halfNS0_10empty_typeEEEZZNS1_29radix_sort_onesweep_iterationIS3_Lb0EPKS5_PS5_PS6_SC_mNS0_19identity_decomposerENS1_16block_id_wrapperIjLb0EEEEE10hipError_tT1_PNSt15iterator_traitsISH_E10value_typeET2_T3_PNSI_ISN_E10value_typeET4_T5_PSS_ST_PNS1_23onesweep_lookback_stateEbbT6_jjT7_P12ihipStream_tbENKUlT_T0_SH_SM_E_clISA_SB_SC_SC_EEDaS10_S11_SH_SM_EUlS10_E_NS1_11comp_targetILNS1_3genE8ELNS1_11target_archE1030ELNS1_3gpuE2ELNS1_3repE0EEENS1_47radix_sort_onesweep_sort_config_static_selectorELNS0_4arch9wavefront6targetE0EEEvSH_.num_vgpr, 0
	.set _ZN7rocprim17ROCPRIM_400000_NS6detail17trampoline_kernelINS0_14default_configENS1_35radix_sort_onesweep_config_selectorI6__halfNS0_10empty_typeEEEZZNS1_29radix_sort_onesweep_iterationIS3_Lb0EPKS5_PS5_PS6_SC_mNS0_19identity_decomposerENS1_16block_id_wrapperIjLb0EEEEE10hipError_tT1_PNSt15iterator_traitsISH_E10value_typeET2_T3_PNSI_ISN_E10value_typeET4_T5_PSS_ST_PNS1_23onesweep_lookback_stateEbbT6_jjT7_P12ihipStream_tbENKUlT_T0_SH_SM_E_clISA_SB_SC_SC_EEDaS10_S11_SH_SM_EUlS10_E_NS1_11comp_targetILNS1_3genE8ELNS1_11target_archE1030ELNS1_3gpuE2ELNS1_3repE0EEENS1_47radix_sort_onesweep_sort_config_static_selectorELNS0_4arch9wavefront6targetE0EEEvSH_.num_agpr, 0
	.set _ZN7rocprim17ROCPRIM_400000_NS6detail17trampoline_kernelINS0_14default_configENS1_35radix_sort_onesweep_config_selectorI6__halfNS0_10empty_typeEEEZZNS1_29radix_sort_onesweep_iterationIS3_Lb0EPKS5_PS5_PS6_SC_mNS0_19identity_decomposerENS1_16block_id_wrapperIjLb0EEEEE10hipError_tT1_PNSt15iterator_traitsISH_E10value_typeET2_T3_PNSI_ISN_E10value_typeET4_T5_PSS_ST_PNS1_23onesweep_lookback_stateEbbT6_jjT7_P12ihipStream_tbENKUlT_T0_SH_SM_E_clISA_SB_SC_SC_EEDaS10_S11_SH_SM_EUlS10_E_NS1_11comp_targetILNS1_3genE8ELNS1_11target_archE1030ELNS1_3gpuE2ELNS1_3repE0EEENS1_47radix_sort_onesweep_sort_config_static_selectorELNS0_4arch9wavefront6targetE0EEEvSH_.numbered_sgpr, 0
	.set _ZN7rocprim17ROCPRIM_400000_NS6detail17trampoline_kernelINS0_14default_configENS1_35radix_sort_onesweep_config_selectorI6__halfNS0_10empty_typeEEEZZNS1_29radix_sort_onesweep_iterationIS3_Lb0EPKS5_PS5_PS6_SC_mNS0_19identity_decomposerENS1_16block_id_wrapperIjLb0EEEEE10hipError_tT1_PNSt15iterator_traitsISH_E10value_typeET2_T3_PNSI_ISN_E10value_typeET4_T5_PSS_ST_PNS1_23onesweep_lookback_stateEbbT6_jjT7_P12ihipStream_tbENKUlT_T0_SH_SM_E_clISA_SB_SC_SC_EEDaS10_S11_SH_SM_EUlS10_E_NS1_11comp_targetILNS1_3genE8ELNS1_11target_archE1030ELNS1_3gpuE2ELNS1_3repE0EEENS1_47radix_sort_onesweep_sort_config_static_selectorELNS0_4arch9wavefront6targetE0EEEvSH_.num_named_barrier, 0
	.set _ZN7rocprim17ROCPRIM_400000_NS6detail17trampoline_kernelINS0_14default_configENS1_35radix_sort_onesweep_config_selectorI6__halfNS0_10empty_typeEEEZZNS1_29radix_sort_onesweep_iterationIS3_Lb0EPKS5_PS5_PS6_SC_mNS0_19identity_decomposerENS1_16block_id_wrapperIjLb0EEEEE10hipError_tT1_PNSt15iterator_traitsISH_E10value_typeET2_T3_PNSI_ISN_E10value_typeET4_T5_PSS_ST_PNS1_23onesweep_lookback_stateEbbT6_jjT7_P12ihipStream_tbENKUlT_T0_SH_SM_E_clISA_SB_SC_SC_EEDaS10_S11_SH_SM_EUlS10_E_NS1_11comp_targetILNS1_3genE8ELNS1_11target_archE1030ELNS1_3gpuE2ELNS1_3repE0EEENS1_47radix_sort_onesweep_sort_config_static_selectorELNS0_4arch9wavefront6targetE0EEEvSH_.private_seg_size, 0
	.set _ZN7rocprim17ROCPRIM_400000_NS6detail17trampoline_kernelINS0_14default_configENS1_35radix_sort_onesweep_config_selectorI6__halfNS0_10empty_typeEEEZZNS1_29radix_sort_onesweep_iterationIS3_Lb0EPKS5_PS5_PS6_SC_mNS0_19identity_decomposerENS1_16block_id_wrapperIjLb0EEEEE10hipError_tT1_PNSt15iterator_traitsISH_E10value_typeET2_T3_PNSI_ISN_E10value_typeET4_T5_PSS_ST_PNS1_23onesweep_lookback_stateEbbT6_jjT7_P12ihipStream_tbENKUlT_T0_SH_SM_E_clISA_SB_SC_SC_EEDaS10_S11_SH_SM_EUlS10_E_NS1_11comp_targetILNS1_3genE8ELNS1_11target_archE1030ELNS1_3gpuE2ELNS1_3repE0EEENS1_47radix_sort_onesweep_sort_config_static_selectorELNS0_4arch9wavefront6targetE0EEEvSH_.uses_vcc, 0
	.set _ZN7rocprim17ROCPRIM_400000_NS6detail17trampoline_kernelINS0_14default_configENS1_35radix_sort_onesweep_config_selectorI6__halfNS0_10empty_typeEEEZZNS1_29radix_sort_onesweep_iterationIS3_Lb0EPKS5_PS5_PS6_SC_mNS0_19identity_decomposerENS1_16block_id_wrapperIjLb0EEEEE10hipError_tT1_PNSt15iterator_traitsISH_E10value_typeET2_T3_PNSI_ISN_E10value_typeET4_T5_PSS_ST_PNS1_23onesweep_lookback_stateEbbT6_jjT7_P12ihipStream_tbENKUlT_T0_SH_SM_E_clISA_SB_SC_SC_EEDaS10_S11_SH_SM_EUlS10_E_NS1_11comp_targetILNS1_3genE8ELNS1_11target_archE1030ELNS1_3gpuE2ELNS1_3repE0EEENS1_47radix_sort_onesweep_sort_config_static_selectorELNS0_4arch9wavefront6targetE0EEEvSH_.uses_flat_scratch, 0
	.set _ZN7rocprim17ROCPRIM_400000_NS6detail17trampoline_kernelINS0_14default_configENS1_35radix_sort_onesweep_config_selectorI6__halfNS0_10empty_typeEEEZZNS1_29radix_sort_onesweep_iterationIS3_Lb0EPKS5_PS5_PS6_SC_mNS0_19identity_decomposerENS1_16block_id_wrapperIjLb0EEEEE10hipError_tT1_PNSt15iterator_traitsISH_E10value_typeET2_T3_PNSI_ISN_E10value_typeET4_T5_PSS_ST_PNS1_23onesweep_lookback_stateEbbT6_jjT7_P12ihipStream_tbENKUlT_T0_SH_SM_E_clISA_SB_SC_SC_EEDaS10_S11_SH_SM_EUlS10_E_NS1_11comp_targetILNS1_3genE8ELNS1_11target_archE1030ELNS1_3gpuE2ELNS1_3repE0EEENS1_47radix_sort_onesweep_sort_config_static_selectorELNS0_4arch9wavefront6targetE0EEEvSH_.has_dyn_sized_stack, 0
	.set _ZN7rocprim17ROCPRIM_400000_NS6detail17trampoline_kernelINS0_14default_configENS1_35radix_sort_onesweep_config_selectorI6__halfNS0_10empty_typeEEEZZNS1_29radix_sort_onesweep_iterationIS3_Lb0EPKS5_PS5_PS6_SC_mNS0_19identity_decomposerENS1_16block_id_wrapperIjLb0EEEEE10hipError_tT1_PNSt15iterator_traitsISH_E10value_typeET2_T3_PNSI_ISN_E10value_typeET4_T5_PSS_ST_PNS1_23onesweep_lookback_stateEbbT6_jjT7_P12ihipStream_tbENKUlT_T0_SH_SM_E_clISA_SB_SC_SC_EEDaS10_S11_SH_SM_EUlS10_E_NS1_11comp_targetILNS1_3genE8ELNS1_11target_archE1030ELNS1_3gpuE2ELNS1_3repE0EEENS1_47radix_sort_onesweep_sort_config_static_selectorELNS0_4arch9wavefront6targetE0EEEvSH_.has_recursion, 0
	.set _ZN7rocprim17ROCPRIM_400000_NS6detail17trampoline_kernelINS0_14default_configENS1_35radix_sort_onesweep_config_selectorI6__halfNS0_10empty_typeEEEZZNS1_29radix_sort_onesweep_iterationIS3_Lb0EPKS5_PS5_PS6_SC_mNS0_19identity_decomposerENS1_16block_id_wrapperIjLb0EEEEE10hipError_tT1_PNSt15iterator_traitsISH_E10value_typeET2_T3_PNSI_ISN_E10value_typeET4_T5_PSS_ST_PNS1_23onesweep_lookback_stateEbbT6_jjT7_P12ihipStream_tbENKUlT_T0_SH_SM_E_clISA_SB_SC_SC_EEDaS10_S11_SH_SM_EUlS10_E_NS1_11comp_targetILNS1_3genE8ELNS1_11target_archE1030ELNS1_3gpuE2ELNS1_3repE0EEENS1_47radix_sort_onesweep_sort_config_static_selectorELNS0_4arch9wavefront6targetE0EEEvSH_.has_indirect_call, 0
	.section	.AMDGPU.csdata,"",@progbits
; Kernel info:
; codeLenInByte = 0
; TotalNumSgprs: 0
; NumVgprs: 0
; ScratchSize: 0
; MemoryBound: 0
; FloatMode: 240
; IeeeMode: 1
; LDSByteSize: 0 bytes/workgroup (compile time only)
; SGPRBlocks: 0
; VGPRBlocks: 0
; NumSGPRsForWavesPerEU: 1
; NumVGPRsForWavesPerEU: 1
; NamedBarCnt: 0
; Occupancy: 16
; WaveLimiterHint : 0
; COMPUTE_PGM_RSRC2:SCRATCH_EN: 0
; COMPUTE_PGM_RSRC2:USER_SGPR: 2
; COMPUTE_PGM_RSRC2:TRAP_HANDLER: 0
; COMPUTE_PGM_RSRC2:TGID_X_EN: 1
; COMPUTE_PGM_RSRC2:TGID_Y_EN: 0
; COMPUTE_PGM_RSRC2:TGID_Z_EN: 0
; COMPUTE_PGM_RSRC2:TIDIG_COMP_CNT: 0
	.section	.text._ZN7rocprim17ROCPRIM_400000_NS6detail17trampoline_kernelINS0_14default_configENS1_35radix_sort_onesweep_config_selectorI6__halfNS0_10empty_typeEEEZZNS1_29radix_sort_onesweep_iterationIS3_Lb0EPKS5_PS5_PS6_SC_mNS0_19identity_decomposerENS1_16block_id_wrapperIjLb0EEEEE10hipError_tT1_PNSt15iterator_traitsISH_E10value_typeET2_T3_PNSI_ISN_E10value_typeET4_T5_PSS_ST_PNS1_23onesweep_lookback_stateEbbT6_jjT7_P12ihipStream_tbENKUlT_T0_SH_SM_E_clISB_SB_SC_SC_EEDaS10_S11_SH_SM_EUlS10_E_NS1_11comp_targetILNS1_3genE0ELNS1_11target_archE4294967295ELNS1_3gpuE0ELNS1_3repE0EEENS1_47radix_sort_onesweep_sort_config_static_selectorELNS0_4arch9wavefront6targetE0EEEvSH_,"axG",@progbits,_ZN7rocprim17ROCPRIM_400000_NS6detail17trampoline_kernelINS0_14default_configENS1_35radix_sort_onesweep_config_selectorI6__halfNS0_10empty_typeEEEZZNS1_29radix_sort_onesweep_iterationIS3_Lb0EPKS5_PS5_PS6_SC_mNS0_19identity_decomposerENS1_16block_id_wrapperIjLb0EEEEE10hipError_tT1_PNSt15iterator_traitsISH_E10value_typeET2_T3_PNSI_ISN_E10value_typeET4_T5_PSS_ST_PNS1_23onesweep_lookback_stateEbbT6_jjT7_P12ihipStream_tbENKUlT_T0_SH_SM_E_clISB_SB_SC_SC_EEDaS10_S11_SH_SM_EUlS10_E_NS1_11comp_targetILNS1_3genE0ELNS1_11target_archE4294967295ELNS1_3gpuE0ELNS1_3repE0EEENS1_47radix_sort_onesweep_sort_config_static_selectorELNS0_4arch9wavefront6targetE0EEEvSH_,comdat
	.protected	_ZN7rocprim17ROCPRIM_400000_NS6detail17trampoline_kernelINS0_14default_configENS1_35radix_sort_onesweep_config_selectorI6__halfNS0_10empty_typeEEEZZNS1_29radix_sort_onesweep_iterationIS3_Lb0EPKS5_PS5_PS6_SC_mNS0_19identity_decomposerENS1_16block_id_wrapperIjLb0EEEEE10hipError_tT1_PNSt15iterator_traitsISH_E10value_typeET2_T3_PNSI_ISN_E10value_typeET4_T5_PSS_ST_PNS1_23onesweep_lookback_stateEbbT6_jjT7_P12ihipStream_tbENKUlT_T0_SH_SM_E_clISB_SB_SC_SC_EEDaS10_S11_SH_SM_EUlS10_E_NS1_11comp_targetILNS1_3genE0ELNS1_11target_archE4294967295ELNS1_3gpuE0ELNS1_3repE0EEENS1_47radix_sort_onesweep_sort_config_static_selectorELNS0_4arch9wavefront6targetE0EEEvSH_ ; -- Begin function _ZN7rocprim17ROCPRIM_400000_NS6detail17trampoline_kernelINS0_14default_configENS1_35radix_sort_onesweep_config_selectorI6__halfNS0_10empty_typeEEEZZNS1_29radix_sort_onesweep_iterationIS3_Lb0EPKS5_PS5_PS6_SC_mNS0_19identity_decomposerENS1_16block_id_wrapperIjLb0EEEEE10hipError_tT1_PNSt15iterator_traitsISH_E10value_typeET2_T3_PNSI_ISN_E10value_typeET4_T5_PSS_ST_PNS1_23onesweep_lookback_stateEbbT6_jjT7_P12ihipStream_tbENKUlT_T0_SH_SM_E_clISB_SB_SC_SC_EEDaS10_S11_SH_SM_EUlS10_E_NS1_11comp_targetILNS1_3genE0ELNS1_11target_archE4294967295ELNS1_3gpuE0ELNS1_3repE0EEENS1_47radix_sort_onesweep_sort_config_static_selectorELNS0_4arch9wavefront6targetE0EEEvSH_
	.globl	_ZN7rocprim17ROCPRIM_400000_NS6detail17trampoline_kernelINS0_14default_configENS1_35radix_sort_onesweep_config_selectorI6__halfNS0_10empty_typeEEEZZNS1_29radix_sort_onesweep_iterationIS3_Lb0EPKS5_PS5_PS6_SC_mNS0_19identity_decomposerENS1_16block_id_wrapperIjLb0EEEEE10hipError_tT1_PNSt15iterator_traitsISH_E10value_typeET2_T3_PNSI_ISN_E10value_typeET4_T5_PSS_ST_PNS1_23onesweep_lookback_stateEbbT6_jjT7_P12ihipStream_tbENKUlT_T0_SH_SM_E_clISB_SB_SC_SC_EEDaS10_S11_SH_SM_EUlS10_E_NS1_11comp_targetILNS1_3genE0ELNS1_11target_archE4294967295ELNS1_3gpuE0ELNS1_3repE0EEENS1_47radix_sort_onesweep_sort_config_static_selectorELNS0_4arch9wavefront6targetE0EEEvSH_
	.p2align	8
	.type	_ZN7rocprim17ROCPRIM_400000_NS6detail17trampoline_kernelINS0_14default_configENS1_35radix_sort_onesweep_config_selectorI6__halfNS0_10empty_typeEEEZZNS1_29radix_sort_onesweep_iterationIS3_Lb0EPKS5_PS5_PS6_SC_mNS0_19identity_decomposerENS1_16block_id_wrapperIjLb0EEEEE10hipError_tT1_PNSt15iterator_traitsISH_E10value_typeET2_T3_PNSI_ISN_E10value_typeET4_T5_PSS_ST_PNS1_23onesweep_lookback_stateEbbT6_jjT7_P12ihipStream_tbENKUlT_T0_SH_SM_E_clISB_SB_SC_SC_EEDaS10_S11_SH_SM_EUlS10_E_NS1_11comp_targetILNS1_3genE0ELNS1_11target_archE4294967295ELNS1_3gpuE0ELNS1_3repE0EEENS1_47radix_sort_onesweep_sort_config_static_selectorELNS0_4arch9wavefront6targetE0EEEvSH_,@function
_ZN7rocprim17ROCPRIM_400000_NS6detail17trampoline_kernelINS0_14default_configENS1_35radix_sort_onesweep_config_selectorI6__halfNS0_10empty_typeEEEZZNS1_29radix_sort_onesweep_iterationIS3_Lb0EPKS5_PS5_PS6_SC_mNS0_19identity_decomposerENS1_16block_id_wrapperIjLb0EEEEE10hipError_tT1_PNSt15iterator_traitsISH_E10value_typeET2_T3_PNSI_ISN_E10value_typeET4_T5_PSS_ST_PNS1_23onesweep_lookback_stateEbbT6_jjT7_P12ihipStream_tbENKUlT_T0_SH_SM_E_clISB_SB_SC_SC_EEDaS10_S11_SH_SM_EUlS10_E_NS1_11comp_targetILNS1_3genE0ELNS1_11target_archE4294967295ELNS1_3gpuE0ELNS1_3repE0EEENS1_47radix_sort_onesweep_sort_config_static_selectorELNS0_4arch9wavefront6targetE0EEEvSH_: ; @_ZN7rocprim17ROCPRIM_400000_NS6detail17trampoline_kernelINS0_14default_configENS1_35radix_sort_onesweep_config_selectorI6__halfNS0_10empty_typeEEEZZNS1_29radix_sort_onesweep_iterationIS3_Lb0EPKS5_PS5_PS6_SC_mNS0_19identity_decomposerENS1_16block_id_wrapperIjLb0EEEEE10hipError_tT1_PNSt15iterator_traitsISH_E10value_typeET2_T3_PNSI_ISN_E10value_typeET4_T5_PSS_ST_PNS1_23onesweep_lookback_stateEbbT6_jjT7_P12ihipStream_tbENKUlT_T0_SH_SM_E_clISB_SB_SC_SC_EEDaS10_S11_SH_SM_EUlS10_E_NS1_11comp_targetILNS1_3genE0ELNS1_11target_archE4294967295ELNS1_3gpuE0ELNS1_3repE0EEENS1_47radix_sort_onesweep_sort_config_static_selectorELNS0_4arch9wavefront6targetE0EEEvSH_
; %bb.0:
	s_clause 0x3
	s_load_b96 s[20:22], s[0:1], 0x44
	s_load_b64 s[10:11], s[0:1], 0x38
	s_load_b128 s[16:19], s[0:1], 0x0
	s_load_b128 s[12:15], s[0:1], 0x28
	s_bfe_u32 s2, ttmp6, 0x4000c
	s_and_b32 s3, ttmp6, 15
	s_add_co_i32 s2, s2, 1
	s_getreg_b32 s4, hwreg(HW_REG_IB_STS2, 6, 4)
	s_mul_i32 s5, ttmp9, s2
	v_mbcnt_lo_u32_b32 v14, -1, 0
	s_add_co_i32 s3, s3, s5
	s_cmp_eq_u32 s4, 0
	v_and_b32_e32 v15, 0x1e0, v0
	s_cselect_b32 s9, ttmp9, s3
	s_mov_b32 s25, 0
	s_mov_b32 s2, -1
	s_mul_i32 s24, s9, 0x1800
	s_add_nc_u64 s[26:27], s[0:1], 0x58
	s_wait_kmcnt 0x0
	s_cmp_ge_u32 s9, s22
	s_cbranch_scc0 .LBB2277_96
; %bb.1:
	s_load_b32 s4, s[0:1], 0x20
	v_dual_mov_b32 v3, 0 :: v_dual_lshlrev_b32 v2, 1, v14
	s_lshl_b64 s[2:3], s[24:25], 1
	v_mul_u32_u24_e32 v1, 12, v15
	s_add_nc_u64 s[2:3], s[16:17], s[2:3]
	v_mov_b32_e32 v12, 0x7fff
	v_add_nc_u64_e32 v[4:5], s[2:3], v[2:3]
	v_mov_b32_e32 v10, 0x7fff
	v_dual_lshlrev_b32 v2, 1, v1 :: v_dual_bitop2_b32 v1, v14, v1 bitop3:0x54
	s_mul_i32 s2, s22, 0xffffe800
	s_delay_alu instid0(VALU_DEP_1)
	v_add_nc_u64_e32 v[2:3], v[4:5], v[2:3]
	s_wait_kmcnt 0x0
	s_add_co_i32 s22, s4, s2
	s_mov_b32 s2, exec_lo
	v_cmpx_gt_u32_e64 s22, v1
	s_cbranch_execz .LBB2277_3
; %bb.2:
	global_load_u16 v10, v[2:3], off
.LBB2277_3:
	s_wait_xcnt 0x0
	s_or_b32 exec_lo, exec_lo, s2
	v_or_b32_e32 v4, 32, v1
	s_mov_b32 s2, exec_lo
	s_delay_alu instid0(VALU_DEP_1)
	v_cmpx_gt_u32_e64 s22, v4
	s_cbranch_execz .LBB2277_5
; %bb.4:
	global_load_u16 v12, v[2:3], off offset:64
.LBB2277_5:
	s_wait_xcnt 0x0
	s_or_b32 exec_lo, exec_lo, s2
	v_or_b32_e32 v4, 64, v1
	v_mov_b32_e32 v21, 0x7fff
	v_mov_b32_e32 v17, 0x7fff
	s_mov_b32 s2, exec_lo
	s_delay_alu instid0(VALU_DEP_3)
	v_cmpx_gt_u32_e64 s22, v4
	s_cbranch_execz .LBB2277_7
; %bb.6:
	global_load_u16 v17, v[2:3], off offset:128
.LBB2277_7:
	s_wait_xcnt 0x0
	s_or_b32 exec_lo, exec_lo, s2
	v_or_b32_e32 v4, 0x60, v1
	s_mov_b32 s2, exec_lo
	s_delay_alu instid0(VALU_DEP_1)
	v_cmpx_gt_u32_e64 s22, v4
	s_cbranch_execz .LBB2277_9
; %bb.8:
	global_load_u16 v21, v[2:3], off offset:192
.LBB2277_9:
	s_wait_xcnt 0x0
	s_or_b32 exec_lo, exec_lo, s2
	v_add_nc_u32_e32 v4, 0x80, v1
	v_dual_mov_b32 v30, 0x7fff :: v_dual_mov_b32 v25, 0x7fff
	s_mov_b32 s2, exec_lo
	s_delay_alu instid0(VALU_DEP_2)
	v_cmpx_gt_u32_e64 s22, v4
	s_cbranch_execz .LBB2277_11
; %bb.10:
	global_load_u16 v25, v[2:3], off offset:256
.LBB2277_11:
	s_wait_xcnt 0x0
	s_or_b32 exec_lo, exec_lo, s2
	v_add_nc_u32_e32 v4, 0xa0, v1
	s_mov_b32 s2, exec_lo
	s_delay_alu instid0(VALU_DEP_1)
	v_cmpx_gt_u32_e64 s22, v4
	s_cbranch_execz .LBB2277_13
; %bb.12:
	global_load_u16 v30, v[2:3], off offset:320
.LBB2277_13:
	s_wait_xcnt 0x0
	s_or_b32 exec_lo, exec_lo, s2
	v_add_nc_u32_e32 v4, 0xc0, v1
	v_dual_mov_b32 v8, 0x7fff :: v_dual_mov_b32 v9, 0x7fff
	s_mov_b32 s2, exec_lo
	s_delay_alu instid0(VALU_DEP_2)
	v_cmpx_gt_u32_e64 s22, v4
	s_cbranch_execz .LBB2277_15
; %bb.14:
	global_load_u16 v9, v[2:3], off offset:384
.LBB2277_15:
	s_wait_xcnt 0x0
	s_or_b32 exec_lo, exec_lo, s2
	v_add_nc_u32_e32 v4, 0xe0, v1
	;; [unrolled: 21-line block ×3, first 2 shown]
	s_mov_b32 s2, exec_lo
	s_delay_alu instid0(VALU_DEP_1)
	v_cmpx_gt_u32_e64 s22, v4
	s_cbranch_execz .LBB2277_21
; %bb.20:
	global_load_u16 v6, v[2:3], off offset:576
.LBB2277_21:
	s_wait_xcnt 0x0
	s_or_b32 exec_lo, exec_lo, s2
	v_add_nc_u32_e32 v5, 0x140, v1
	v_mov_b32_e32 v4, 0x7fff
	s_delay_alu instid0(VALU_DEP_2)
	v_cmp_gt_u32_e32 vcc_lo, s22, v5
	v_mov_b32_e32 v5, 0x7fff
	s_and_saveexec_b32 s2, vcc_lo
	s_cbranch_execz .LBB2277_23
; %bb.22:
	global_load_u16 v5, v[2:3], off offset:640
.LBB2277_23:
	s_wait_xcnt 0x0
	s_or_b32 exec_lo, exec_lo, s2
	v_add_nc_u32_e32 v11, 0x160, v1
	v_and_b32_e32 v1, 0x3ff, v0
	s_mov_b32 s2, exec_lo
	s_delay_alu instid0(VALU_DEP_2)
	v_cmpx_gt_u32_e64 s22, v11
	s_cbranch_execz .LBB2277_25
; %bb.24:
	global_load_u16 v4, v[2:3], off offset:704
.LBB2277_25:
	s_wait_xcnt 0x0
	s_or_b32 exec_lo, exec_lo, s2
	s_wait_loadcnt 0x0
	v_cmp_lt_i16_e32 vcc_lo, -1, v10
	s_clause 0x1
	s_load_b32 s23, s[0:1], 0x58
	s_load_u16 s4, s[0:1], 0x66
	v_bfe_u32 v3, v0, 10, 10
	v_bfe_u32 v11, v0, 20, 10
	s_mov_b32 s3, 0
	v_cndmask_b32_e64 v2, -1, 0xffff8000, vcc_lo
	s_delay_alu instid0(VALU_DEP_1) | instskip(NEXT) | instid1(VALU_DEP_1)
	v_xor_b32_e32 v10, v2, v10
	v_cmp_ne_u16_e32 vcc_lo, 0x7fff, v10
	s_wait_kmcnt 0x0
	s_cmp_lt_u32 s9, s23
	v_cndmask_b32_e32 v2, 0xffff8000, v10, vcc_lo
	s_cselect_b32 s2, 12, 18
	s_lshl_b32 s7, -1, s21
	v_mad_u32_u24 v3, v11, s4, v3
	s_add_nc_u64 s[2:3], s[26:27], s[2:3]
	v_and_b32_e32 v2, 0xffff, v2
	s_load_u16 s8, s[2:3], 0x0
	s_not_b32 s25, s7
	s_delay_alu instid0(VALU_DEP_1) | instskip(NEXT) | instid1(VALU_DEP_1)
	v_lshrrev_b32_e32 v2, s20, v2
	v_bitop3_b32 v16, v2, s7, v2 bitop3:0x30
	s_delay_alu instid0(VALU_DEP_1) | instskip(SKIP_4) | instid1(VALU_DEP_3)
	v_lshlrev_b32_e32 v18, 29, v16
	v_bitop3_b32 v11, v2, 1, s7 bitop3:0x40
	v_dual_lshlrev_b32 v13, 30, v16 :: v_dual_lshlrev_b32 v19, 28, v16
	v_dual_lshlrev_b32 v20, 27, v16 :: v_dual_lshlrev_b32 v22, 26, v16
	s_wait_xcnt 0x0
	v_add_co_u32 v2, s2, v11, -1
	s_delay_alu instid0(VALU_DEP_1) | instskip(SKIP_3) | instid1(VALU_DEP_4)
	v_cndmask_b32_e64 v11, 0, 1, s2
	v_cmp_gt_i32_e64 s2, 0, v13
	v_cmp_gt_i32_e64 s3, 0, v18
	v_dual_lshlrev_b32 v23, 25, v16 :: v_dual_lshlrev_b32 v24, 24, v16
	v_cmp_ne_u32_e32 vcc_lo, 0, v11
	v_not_b32_e32 v11, v13
	v_not_b32_e32 v13, v18
	;; [unrolled: 1-line block ×3, first 2 shown]
	v_cmp_gt_i32_e64 s4, 0, v19
	v_cmp_gt_i32_e64 s5, 0, v20
	v_dual_ashrrev_i32 v11, 31, v11 :: v_dual_bitop2_b32 v2, vcc_lo, v2 bitop3:0x14
	v_not_b32_e32 v19, v20
	v_not_b32_e32 v20, v22
	v_dual_ashrrev_i32 v13, 31, v13 :: v_dual_ashrrev_i32 v18, 31, v18
	s_delay_alu instid0(VALU_DEP_4) | instskip(SKIP_1) | instid1(VALU_DEP_3)
	v_xor_b32_e32 v11, s2, v11
	v_cmp_gt_i32_e64 s6, 0, v22
	v_dual_ashrrev_i32 v19, 31, v19 :: v_dual_bitop2_b32 v13, s3, v13 bitop3:0x14
	v_ashrrev_i32_e32 v20, 31, v20
	s_delay_alu instid0(VALU_DEP_4)
	v_bitop3_b32 v2, v2, v11, exec_lo bitop3:0x80
	v_not_b32_e32 v11, v23
	v_xor_b32_e32 v18, s4, v18
	v_not_b32_e32 v22, v24
	v_xor_b32_e32 v19, s5, v19
	v_xor_b32_e32 v20, s6, v20
	v_cmp_gt_i32_e32 vcc_lo, 0, v23
	v_ashrrev_i32_e32 v11, 31, v11
	v_bitop3_b32 v2, v2, v18, v13 bitop3:0x80
	v_cmp_gt_i32_e64 s2, 0, v24
	v_ashrrev_i32_e32 v13, 31, v22
	s_wait_kmcnt 0x0
	v_mad_u32 v22, v3, s8, v1
	v_mov_b32_e32 v18, 0
	v_bitop3_b32 v2, v2, v20, v19 bitop3:0x80
	v_xor_b32_e32 v3, vcc_lo, v11
	v_xor_b32_e32 v11, s2, v13
	v_mul_u32_u24_e32 v13, 36, v1
	ds_store_2addr_b32 v13, v18, v18 offset0:16 offset1:17
	ds_store_2addr_b32 v13, v18, v18 offset0:18 offset1:19
	;; [unrolled: 1-line block ×4, first 2 shown]
	v_bitop3_b32 v3, v2, v11, v3 bitop3:0x80
	v_lshrrev_b32_e32 v2, 5, v22
	ds_store_b32 v13, v18 offset:96
	s_wait_dscnt 0x0
	s_barrier_signal -1
	v_mbcnt_lo_u32_b32 v11, v3, 0
	v_lshlrev_b32_e32 v2, 2, v2
	v_cmp_ne_u32_e64 s2, 0, v3
	s_barrier_wait -1
	s_delay_alu instid0(VALU_DEP_3) | instskip(NEXT) | instid1(VALU_DEP_3)
	v_cmp_eq_u32_e32 vcc_lo, 0, v11
	v_mad_u32_u24 v16, 0x44, v16, v2
	; wave barrier
	s_and_b32 s3, s2, vcc_lo
	s_delay_alu instid0(SALU_CYCLE_1)
	s_and_saveexec_b32 s2, s3
; %bb.26:
	v_bcnt_u32_b32 v3, v3, 0
	ds_store_b32 v16, v3 offset:64
; %bb.27:
	s_or_b32 exec_lo, exec_lo, s2
	v_cmp_lt_i16_e32 vcc_lo, -1, v12
	; wave barrier
	v_cndmask_b32_e64 v3, -1, 0xffff8000, vcc_lo
	s_delay_alu instid0(VALU_DEP_1) | instskip(NEXT) | instid1(VALU_DEP_1)
	v_xor_b32_e32 v12, v3, v12
	v_cmp_ne_u16_e32 vcc_lo, 0x7fff, v12
	v_cndmask_b32_e32 v3, 0xffff8000, v12, vcc_lo
	s_delay_alu instid0(VALU_DEP_1) | instskip(NEXT) | instid1(VALU_DEP_1)
	v_and_b32_e32 v3, 0xffff, v3
	v_lshrrev_b32_e32 v3, s20, v3
	s_delay_alu instid0(VALU_DEP_1) | instskip(SKIP_1) | instid1(VALU_DEP_2)
	v_bitop3_b32 v18, v3, 1, s25 bitop3:0x80
	v_and_b32_e32 v3, s25, v3
	v_add_co_u32 v18, s2, v18, -1
	s_delay_alu instid0(VALU_DEP_1) | instskip(NEXT) | instid1(VALU_DEP_3)
	v_cndmask_b32_e64 v19, 0, 1, s2
	v_dual_lshlrev_b32 v20, 30, v3 :: v_dual_lshlrev_b32 v22, 29, v3
	s_delay_alu instid0(VALU_DEP_2) | instskip(NEXT) | instid1(VALU_DEP_2)
	v_cmp_ne_u32_e32 vcc_lo, 0, v19
	v_cmp_gt_i32_e64 s2, 0, v20
	v_not_b32_e32 v19, v20
	s_delay_alu instid0(VALU_DEP_4) | instskip(SKIP_1) | instid1(VALU_DEP_2)
	v_not_b32_e32 v20, v22
	v_cmp_gt_i32_e64 s3, 0, v22
	v_dual_ashrrev_i32 v20, 31, v20 :: v_dual_bitop2_b32 v18, vcc_lo, v18 bitop3:0x14
	v_dual_lshlrev_b32 v23, 28, v3 :: v_dual_lshlrev_b32 v24, 27, v3
	v_dual_lshlrev_b32 v26, 26, v3 :: v_dual_lshlrev_b32 v27, 25, v3
	v_lshlrev_b32_e32 v28, 24, v3
	s_delay_alu instid0(VALU_DEP_3) | instskip(SKIP_4) | instid1(VALU_DEP_4)
	v_cmp_gt_i32_e64 s4, 0, v23
	v_not_b32_e32 v22, v23
	v_cmp_gt_i32_e64 s5, 0, v24
	v_not_b32_e32 v23, v24
	v_not_b32_e32 v24, v26
	v_dual_ashrrev_i32 v19, 31, v19 :: v_dual_ashrrev_i32 v22, 31, v22
	v_cmp_gt_i32_e64 s6, 0, v26
	v_cmp_gt_i32_e64 s7, 0, v27
	s_delay_alu instid0(VALU_DEP_3)
	v_dual_ashrrev_i32 v24, 31, v24 :: v_dual_bitop2_b32 v19, s2, v19 bitop3:0x14
	v_not_b32_e32 v26, v27
	v_not_b32_e32 v27, v28
	v_dual_ashrrev_i32 v23, 31, v23 :: v_dual_bitop2_b32 v20, s3, v20 bitop3:0x14
	v_xor_b32_e32 v22, s4, v22
	v_bitop3_b32 v18, v18, v19, exec_lo bitop3:0x80
	v_cmp_gt_i32_e64 s8, 0, v28
	s_delay_alu instid0(VALU_DEP_4) | instskip(SKIP_1) | instid1(VALU_DEP_4)
	v_dual_ashrrev_i32 v19, 31, v26 :: v_dual_bitop2_b32 v23, s5, v23 bitop3:0x14
	v_dual_ashrrev_i32 v26, 31, v27 :: v_dual_bitop2_b32 v24, s6, v24 bitop3:0x14
	v_bitop3_b32 v18, v18, v22, v20 bitop3:0x80
	v_mad_u32_u24 v20, 0x44, v3, v2
	s_delay_alu instid0(VALU_DEP_4) | instskip(NEXT) | instid1(VALU_DEP_4)
	v_xor_b32_e32 v3, s7, v19
	v_xor_b32_e32 v19, s8, v26
	s_delay_alu instid0(VALU_DEP_4) | instskip(SKIP_2) | instid1(VALU_DEP_1)
	v_bitop3_b32 v22, v18, v24, v23 bitop3:0x80
	ds_load_b32 v18, v20 offset:64
	; wave barrier
	v_bitop3_b32 v3, v22, v19, v3 bitop3:0x80
	v_mbcnt_lo_u32_b32 v19, v3, 0
	v_cmp_ne_u32_e64 s2, 0, v3
	s_delay_alu instid0(VALU_DEP_2) | instskip(SKIP_1) | instid1(SALU_CYCLE_1)
	v_cmp_eq_u32_e32 vcc_lo, 0, v19
	s_and_b32 s3, s2, vcc_lo
	s_and_saveexec_b32 s2, s3
	s_cbranch_execz .LBB2277_29
; %bb.28:
	s_wait_dscnt 0x0
	v_bcnt_u32_b32 v3, v3, v18
	ds_store_b32 v20, v3 offset:64
.LBB2277_29:
	s_or_b32 exec_lo, exec_lo, s2
	v_cmp_lt_i16_e32 vcc_lo, -1, v17
	; wave barrier
	v_cndmask_b32_e64 v3, -1, 0xffff8000, vcc_lo
	s_delay_alu instid0(VALU_DEP_1) | instskip(NEXT) | instid1(VALU_DEP_1)
	v_xor_b32_e32 v17, v3, v17
	v_cmp_ne_u16_e32 vcc_lo, 0x7fff, v17
	v_cndmask_b32_e32 v3, 0xffff8000, v17, vcc_lo
	s_delay_alu instid0(VALU_DEP_1) | instskip(NEXT) | instid1(VALU_DEP_1)
	v_and_b32_e32 v3, 0xffff, v3
	v_lshrrev_b32_e32 v3, s20, v3
	s_delay_alu instid0(VALU_DEP_1) | instskip(SKIP_1) | instid1(VALU_DEP_2)
	v_bitop3_b32 v22, v3, 1, s25 bitop3:0x80
	v_and_b32_e32 v3, s25, v3
	v_add_co_u32 v22, s2, v22, -1
	s_delay_alu instid0(VALU_DEP_1) | instskip(NEXT) | instid1(VALU_DEP_3)
	v_cndmask_b32_e64 v23, 0, 1, s2
	v_dual_lshlrev_b32 v24, 30, v3 :: v_dual_lshlrev_b32 v26, 29, v3
	v_lshlrev_b32_e32 v27, 28, v3
	s_delay_alu instid0(VALU_DEP_3) | instskip(NEXT) | instid1(VALU_DEP_3)
	v_cmp_ne_u32_e32 vcc_lo, 0, v23
	v_cmp_gt_i32_e64 s2, 0, v24
	v_not_b32_e32 v23, v24
	v_cmp_gt_i32_e64 s3, 0, v26
	v_not_b32_e32 v24, v26
	v_not_b32_e32 v26, v27
	s_delay_alu instid0(VALU_DEP_2) | instskip(NEXT) | instid1(VALU_DEP_2)
	v_dual_ashrrev_i32 v24, 31, v24 :: v_dual_bitop2_b32 v22, vcc_lo, v22 bitop3:0x14
	v_dual_ashrrev_i32 v26, 31, v26 :: v_dual_lshlrev_b32 v28, 27, v3
	v_dual_lshlrev_b32 v29, 26, v3 :: v_dual_lshlrev_b32 v31, 25, v3
	v_cmp_gt_i32_e64 s4, 0, v27
	v_lshlrev_b32_e32 v32, 24, v3
	s_delay_alu instid0(VALU_DEP_4)
	v_cmp_gt_i32_e64 s5, 0, v28
	v_not_b32_e32 v27, v28
	v_not_b32_e32 v28, v29
	v_ashrrev_i32_e32 v23, 31, v23
	v_cmp_gt_i32_e64 s6, 0, v29
	v_cmp_gt_i32_e64 s7, 0, v31
	v_not_b32_e32 v29, v31
	s_delay_alu instid0(VALU_DEP_4) | instskip(SKIP_3) | instid1(VALU_DEP_4)
	v_dual_ashrrev_i32 v28, 31, v28 :: v_dual_bitop2_b32 v23, s2, v23 bitop3:0x14
	v_not_b32_e32 v31, v32
	v_dual_ashrrev_i32 v27, 31, v27 :: v_dual_bitop2_b32 v24, s3, v24 bitop3:0x14
	v_xor_b32_e32 v26, s4, v26
	v_bitop3_b32 v22, v22, v23, exec_lo bitop3:0x80
	v_cmp_gt_i32_e64 s8, 0, v32
	v_dual_ashrrev_i32 v23, 31, v29 :: v_dual_ashrrev_i32 v29, 31, v31
	v_xor_b32_e32 v28, s6, v28
	v_xor_b32_e32 v27, s5, v27
	v_bitop3_b32 v22, v22, v26, v24 bitop3:0x80
	v_mad_u32_u24 v24, 0x44, v3, v2
	v_xor_b32_e32 v3, s7, v23
	v_xor_b32_e32 v23, s8, v29
	s_delay_alu instid0(VALU_DEP_4) | instskip(SKIP_2) | instid1(VALU_DEP_1)
	v_bitop3_b32 v26, v22, v28, v27 bitop3:0x80
	ds_load_b32 v22, v24 offset:64
	; wave barrier
	v_bitop3_b32 v3, v26, v23, v3 bitop3:0x80
	v_mbcnt_lo_u32_b32 v23, v3, 0
	v_cmp_ne_u32_e64 s2, 0, v3
	s_delay_alu instid0(VALU_DEP_2) | instskip(SKIP_1) | instid1(SALU_CYCLE_1)
	v_cmp_eq_u32_e32 vcc_lo, 0, v23
	s_and_b32 s3, s2, vcc_lo
	s_and_saveexec_b32 s2, s3
	s_cbranch_execz .LBB2277_31
; %bb.30:
	s_wait_dscnt 0x0
	v_bcnt_u32_b32 v3, v3, v22
	ds_store_b32 v24, v3 offset:64
.LBB2277_31:
	s_or_b32 exec_lo, exec_lo, s2
	v_cmp_lt_i16_e32 vcc_lo, -1, v21
	; wave barrier
	v_cndmask_b32_e64 v3, -1, 0xffff8000, vcc_lo
	s_delay_alu instid0(VALU_DEP_1) | instskip(NEXT) | instid1(VALU_DEP_1)
	v_xor_b32_e32 v21, v3, v21
	v_cmp_ne_u16_e32 vcc_lo, 0x7fff, v21
	v_cndmask_b32_e32 v3, 0xffff8000, v21, vcc_lo
	s_delay_alu instid0(VALU_DEP_1) | instskip(NEXT) | instid1(VALU_DEP_1)
	v_and_b32_e32 v3, 0xffff, v3
	v_lshrrev_b32_e32 v3, s20, v3
	s_delay_alu instid0(VALU_DEP_1) | instskip(SKIP_1) | instid1(VALU_DEP_2)
	v_bitop3_b32 v26, v3, 1, s25 bitop3:0x80
	v_and_b32_e32 v3, s25, v3
	v_add_co_u32 v26, s2, v26, -1
	s_delay_alu instid0(VALU_DEP_1) | instskip(NEXT) | instid1(VALU_DEP_3)
	v_cndmask_b32_e64 v27, 0, 1, s2
	v_dual_lshlrev_b32 v28, 30, v3 :: v_dual_lshlrev_b32 v29, 29, v3
	v_lshlrev_b32_e32 v31, 28, v3
	s_delay_alu instid0(VALU_DEP_3) | instskip(NEXT) | instid1(VALU_DEP_3)
	v_cmp_ne_u32_e32 vcc_lo, 0, v27
	v_cmp_gt_i32_e64 s2, 0, v28
	v_not_b32_e32 v27, v28
	v_cmp_gt_i32_e64 s3, 0, v29
	v_not_b32_e32 v28, v29
	v_not_b32_e32 v29, v31
	s_delay_alu instid0(VALU_DEP_2) | instskip(NEXT) | instid1(VALU_DEP_2)
	v_dual_ashrrev_i32 v28, 31, v28 :: v_dual_bitop2_b32 v26, vcc_lo, v26 bitop3:0x14
	v_dual_ashrrev_i32 v29, 31, v29 :: v_dual_lshlrev_b32 v32, 27, v3
	v_dual_lshlrev_b32 v33, 26, v3 :: v_dual_lshlrev_b32 v34, 25, v3
	v_lshlrev_b32_e32 v35, 24, v3
	v_cmp_gt_i32_e64 s4, 0, v31
	s_delay_alu instid0(VALU_DEP_4)
	v_cmp_gt_i32_e64 s5, 0, v32
	v_not_b32_e32 v31, v32
	v_not_b32_e32 v32, v33
	v_ashrrev_i32_e32 v27, 31, v27
	v_cmp_gt_i32_e64 s6, 0, v33
	v_cmp_gt_i32_e64 s7, 0, v34
	v_not_b32_e32 v33, v34
	v_not_b32_e32 v34, v35
	v_dual_ashrrev_i32 v32, 31, v32 :: v_dual_bitop2_b32 v27, s2, v27 bitop3:0x14
	v_dual_ashrrev_i32 v31, 31, v31 :: v_dual_bitop2_b32 v28, s3, v28 bitop3:0x14
	v_xor_b32_e32 v29, s4, v29
	v_cmp_gt_i32_e64 s8, 0, v35
	s_delay_alu instid0(VALU_DEP_4) | instskip(NEXT) | instid1(VALU_DEP_4)
	v_bitop3_b32 v26, v26, v27, exec_lo bitop3:0x80
	v_dual_ashrrev_i32 v27, 31, v33 :: v_dual_bitop2_b32 v31, s5, v31 bitop3:0x14
	v_dual_ashrrev_i32 v33, 31, v34 :: v_dual_bitop2_b32 v32, s6, v32 bitop3:0x14
	s_delay_alu instid0(VALU_DEP_3) | instskip(SKIP_1) | instid1(VALU_DEP_4)
	v_bitop3_b32 v26, v26, v29, v28 bitop3:0x80
	v_mad_u32_u24 v28, 0x44, v3, v2
	v_xor_b32_e32 v3, s7, v27
	s_delay_alu instid0(VALU_DEP_4) | instskip(NEXT) | instid1(VALU_DEP_4)
	v_xor_b32_e32 v27, s8, v33
	v_bitop3_b32 v29, v26, v32, v31 bitop3:0x80
	ds_load_b32 v26, v28 offset:64
	; wave barrier
	v_bitop3_b32 v3, v29, v27, v3 bitop3:0x80
	s_delay_alu instid0(VALU_DEP_1) | instskip(SKIP_1) | instid1(VALU_DEP_2)
	v_mbcnt_lo_u32_b32 v27, v3, 0
	v_cmp_ne_u32_e64 s2, 0, v3
	v_cmp_eq_u32_e32 vcc_lo, 0, v27
	s_and_b32 s3, s2, vcc_lo
	s_delay_alu instid0(SALU_CYCLE_1)
	s_and_saveexec_b32 s2, s3
	s_cbranch_execz .LBB2277_33
; %bb.32:
	s_wait_dscnt 0x0
	v_bcnt_u32_b32 v3, v3, v26
	ds_store_b32 v28, v3 offset:64
.LBB2277_33:
	s_or_b32 exec_lo, exec_lo, s2
	v_cmp_lt_i16_e32 vcc_lo, -1, v25
	; wave barrier
	v_cndmask_b32_e64 v3, -1, 0xffff8000, vcc_lo
	s_delay_alu instid0(VALU_DEP_1) | instskip(NEXT) | instid1(VALU_DEP_1)
	v_xor_b32_e32 v25, v3, v25
	v_cmp_ne_u16_e32 vcc_lo, 0x7fff, v25
	v_cndmask_b32_e32 v3, 0xffff8000, v25, vcc_lo
	s_delay_alu instid0(VALU_DEP_1) | instskip(NEXT) | instid1(VALU_DEP_1)
	v_and_b32_e32 v3, 0xffff, v3
	v_lshrrev_b32_e32 v3, s20, v3
	s_delay_alu instid0(VALU_DEP_1) | instskip(SKIP_1) | instid1(VALU_DEP_2)
	v_bitop3_b32 v29, v3, 1, s25 bitop3:0x80
	v_and_b32_e32 v3, s25, v3
	v_add_co_u32 v29, s2, v29, -1
	s_delay_alu instid0(VALU_DEP_1) | instskip(NEXT) | instid1(VALU_DEP_3)
	v_cndmask_b32_e64 v31, 0, 1, s2
	v_dual_lshlrev_b32 v32, 30, v3 :: v_dual_lshlrev_b32 v33, 29, v3
	v_lshlrev_b32_e32 v34, 28, v3
	s_delay_alu instid0(VALU_DEP_3) | instskip(NEXT) | instid1(VALU_DEP_3)
	v_cmp_ne_u32_e32 vcc_lo, 0, v31
	v_cmp_gt_i32_e64 s2, 0, v32
	v_not_b32_e32 v31, v32
	v_cmp_gt_i32_e64 s3, 0, v33
	v_not_b32_e32 v32, v33
	v_not_b32_e32 v33, v34
	s_delay_alu instid0(VALU_DEP_2) | instskip(NEXT) | instid1(VALU_DEP_2)
	v_dual_ashrrev_i32 v32, 31, v32 :: v_dual_bitop2_b32 v29, vcc_lo, v29 bitop3:0x14
	v_dual_ashrrev_i32 v33, 31, v33 :: v_dual_lshlrev_b32 v35, 27, v3
	v_dual_lshlrev_b32 v36, 26, v3 :: v_dual_lshlrev_b32 v37, 25, v3
	v_lshlrev_b32_e32 v38, 24, v3
	v_cmp_gt_i32_e64 s4, 0, v34
	s_delay_alu instid0(VALU_DEP_4)
	v_not_b32_e32 v34, v35
	v_ashrrev_i32_e32 v31, 31, v31
	v_cmp_gt_i32_e64 s5, 0, v35
	v_cmp_gt_i32_e64 s6, 0, v36
	v_not_b32_e32 v35, v36
	v_cmp_gt_i32_e64 s7, 0, v37
	v_not_b32_e32 v36, v37
	v_not_b32_e32 v37, v38
	v_dual_ashrrev_i32 v34, 31, v34 :: v_dual_bitop2_b32 v31, s2, v31 bitop3:0x14
	v_dual_ashrrev_i32 v35, 31, v35 :: v_dual_bitop2_b32 v32, s3, v32 bitop3:0x14
	v_xor_b32_e32 v33, s4, v33
	v_cmp_gt_i32_e64 s8, 0, v38
	s_delay_alu instid0(VALU_DEP_4) | instskip(SKIP_3) | instid1(VALU_DEP_4)
	v_bitop3_b32 v29, v29, v31, exec_lo bitop3:0x80
	v_dual_ashrrev_i32 v31, 31, v36 :: v_dual_ashrrev_i32 v36, 31, v37
	v_xor_b32_e32 v34, s5, v34
	v_xor_b32_e32 v35, s6, v35
	v_bitop3_b32 v29, v29, v33, v32 bitop3:0x80
	v_mad_u32_u24 v32, 0x44, v3, v2
	v_xor_b32_e32 v3, s7, v31
	v_xor_b32_e32 v31, s8, v36
	s_delay_alu instid0(VALU_DEP_4) | instskip(SKIP_2) | instid1(VALU_DEP_1)
	v_bitop3_b32 v33, v29, v35, v34 bitop3:0x80
	ds_load_b32 v29, v32 offset:64
	; wave barrier
	v_bitop3_b32 v3, v33, v31, v3 bitop3:0x80
	v_mbcnt_lo_u32_b32 v31, v3, 0
	v_cmp_ne_u32_e64 s2, 0, v3
	s_delay_alu instid0(VALU_DEP_2) | instskip(SKIP_1) | instid1(SALU_CYCLE_1)
	v_cmp_eq_u32_e32 vcc_lo, 0, v31
	s_and_b32 s3, s2, vcc_lo
	s_and_saveexec_b32 s2, s3
	s_cbranch_execz .LBB2277_35
; %bb.34:
	s_wait_dscnt 0x0
	v_bcnt_u32_b32 v3, v3, v29
	ds_store_b32 v32, v3 offset:64
.LBB2277_35:
	s_or_b32 exec_lo, exec_lo, s2
	v_cmp_lt_i16_e32 vcc_lo, -1, v30
	; wave barrier
	v_cndmask_b32_e64 v3, -1, 0xffff8000, vcc_lo
	s_delay_alu instid0(VALU_DEP_1) | instskip(NEXT) | instid1(VALU_DEP_1)
	v_xor_b32_e32 v30, v3, v30
	v_cmp_ne_u16_e32 vcc_lo, 0x7fff, v30
	v_cndmask_b32_e32 v3, 0xffff8000, v30, vcc_lo
	s_delay_alu instid0(VALU_DEP_1) | instskip(NEXT) | instid1(VALU_DEP_1)
	v_and_b32_e32 v3, 0xffff, v3
	v_lshrrev_b32_e32 v3, s20, v3
	s_delay_alu instid0(VALU_DEP_1) | instskip(SKIP_1) | instid1(VALU_DEP_2)
	v_bitop3_b32 v33, v3, 1, s25 bitop3:0x80
	v_and_b32_e32 v3, s25, v3
	v_add_co_u32 v33, s2, v33, -1
	s_delay_alu instid0(VALU_DEP_1) | instskip(NEXT) | instid1(VALU_DEP_3)
	v_cndmask_b32_e64 v34, 0, 1, s2
	v_lshlrev_b32_e32 v35, 30, v3
	s_delay_alu instid0(VALU_DEP_2) | instskip(NEXT) | instid1(VALU_DEP_2)
	v_cmp_ne_u32_e32 vcc_lo, 0, v34
	v_not_b32_e32 v34, v35
	s_delay_alu instid0(VALU_DEP_1) | instskip(SKIP_4) | instid1(VALU_DEP_4)
	v_dual_ashrrev_i32 v34, 31, v34 :: v_dual_bitop2_b32 v33, vcc_lo, v33 bitop3:0x14
	v_dual_lshlrev_b32 v36, 29, v3 :: v_dual_lshlrev_b32 v37, 28, v3
	v_dual_lshlrev_b32 v38, 27, v3 :: v_dual_lshlrev_b32 v39, 26, v3
	v_lshlrev_b32_e32 v40, 25, v3
	v_cmp_gt_i32_e64 s2, 0, v35
	v_cmp_gt_i32_e64 s3, 0, v36
	v_not_b32_e32 v35, v36
	v_not_b32_e32 v36, v37
	v_lshlrev_b32_e32 v41, 24, v3
	v_cmp_gt_i32_e64 s4, 0, v37
	v_cmp_gt_i32_e64 s5, 0, v38
	v_not_b32_e32 v37, v38
	v_not_b32_e32 v38, v39
	v_dual_ashrrev_i32 v35, 31, v35 :: v_dual_bitop2_b32 v34, s2, v34 bitop3:0x14
	v_ashrrev_i32_e32 v36, 31, v36
	v_cmp_gt_i32_e64 s6, 0, v39
	v_cmp_gt_i32_e64 s7, 0, v40
	v_not_b32_e32 v39, v40
	v_not_b32_e32 v40, v41
	v_dual_ashrrev_i32 v37, 31, v37 :: v_dual_ashrrev_i32 v38, 31, v38
	v_xor_b32_e32 v35, s3, v35
	v_xor_b32_e32 v36, s4, v36
	v_bitop3_b32 v33, v33, v34, exec_lo bitop3:0x80
	v_cmp_gt_i32_e64 s8, 0, v41
	v_dual_ashrrev_i32 v34, 31, v39 :: v_dual_ashrrev_i32 v39, 31, v40
	v_xor_b32_e32 v37, s5, v37
	v_xor_b32_e32 v38, s6, v38
	v_bitop3_b32 v33, v33, v36, v35 bitop3:0x80
	v_mad_u32_u24 v36, 0x44, v3, v2
	v_xor_b32_e32 v3, s7, v34
	v_xor_b32_e32 v34, s8, v39
	s_delay_alu instid0(VALU_DEP_4) | instskip(SKIP_2) | instid1(VALU_DEP_1)
	v_bitop3_b32 v35, v33, v38, v37 bitop3:0x80
	ds_load_b32 v33, v36 offset:64
	; wave barrier
	v_bitop3_b32 v3, v35, v34, v3 bitop3:0x80
	v_mbcnt_lo_u32_b32 v34, v3, 0
	v_cmp_ne_u32_e64 s2, 0, v3
	s_delay_alu instid0(VALU_DEP_2) | instskip(SKIP_1) | instid1(SALU_CYCLE_1)
	v_cmp_eq_u32_e32 vcc_lo, 0, v34
	s_and_b32 s3, s2, vcc_lo
	s_and_saveexec_b32 s2, s3
	s_cbranch_execz .LBB2277_37
; %bb.36:
	s_wait_dscnt 0x0
	v_bcnt_u32_b32 v3, v3, v33
	ds_store_b32 v36, v3 offset:64
.LBB2277_37:
	s_or_b32 exec_lo, exec_lo, s2
	v_cmp_lt_i16_e32 vcc_lo, -1, v9
	; wave barrier
	v_cndmask_b32_e64 v3, -1, 0xffff8000, vcc_lo
	s_delay_alu instid0(VALU_DEP_1) | instskip(NEXT) | instid1(VALU_DEP_1)
	v_xor_b32_e32 v35, v3, v9
	v_cmp_ne_u16_e32 vcc_lo, 0x7fff, v35
	v_cndmask_b32_e32 v3, 0xffff8000, v35, vcc_lo
	s_delay_alu instid0(VALU_DEP_1) | instskip(NEXT) | instid1(VALU_DEP_1)
	v_and_b32_e32 v3, 0xffff, v3
	v_lshrrev_b32_e32 v3, s20, v3
	s_delay_alu instid0(VALU_DEP_1) | instskip(SKIP_1) | instid1(VALU_DEP_2)
	v_bitop3_b32 v9, v3, 1, s25 bitop3:0x80
	v_and_b32_e32 v3, s25, v3
	v_add_co_u32 v9, s2, v9, -1
	s_delay_alu instid0(VALU_DEP_1) | instskip(NEXT) | instid1(VALU_DEP_3)
	v_cndmask_b32_e64 v37, 0, 1, s2
	v_lshlrev_b32_e32 v38, 30, v3
	s_delay_alu instid0(VALU_DEP_2) | instskip(NEXT) | instid1(VALU_DEP_2)
	v_cmp_ne_u32_e32 vcc_lo, 0, v37
	v_not_b32_e32 v37, v38
	v_xor_b32_e32 v9, vcc_lo, v9
	s_delay_alu instid0(VALU_DEP_2) | instskip(SKIP_3) | instid1(VALU_DEP_4)
	v_dual_ashrrev_i32 v37, 31, v37 :: v_dual_lshlrev_b32 v39, 29, v3
	v_dual_lshlrev_b32 v40, 28, v3 :: v_dual_lshlrev_b32 v41, 27, v3
	v_dual_lshlrev_b32 v42, 26, v3 :: v_dual_lshlrev_b32 v43, 25, v3
	v_cmp_gt_i32_e64 s2, 0, v38
	v_cmp_gt_i32_e64 s3, 0, v39
	v_not_b32_e32 v38, v39
	v_not_b32_e32 v39, v40
	v_lshlrev_b32_e32 v44, 24, v3
	v_cmp_gt_i32_e64 s4, 0, v40
	v_cmp_gt_i32_e64 s5, 0, v41
	v_not_b32_e32 v40, v41
	v_not_b32_e32 v41, v42
	v_dual_ashrrev_i32 v38, 31, v38 :: v_dual_ashrrev_i32 v39, 31, v39
	v_xor_b32_e32 v37, s2, v37
	v_cmp_gt_i32_e64 s6, 0, v42
	v_cmp_gt_i32_e64 s7, 0, v43
	v_not_b32_e32 v42, v43
	v_not_b32_e32 v43, v44
	v_dual_ashrrev_i32 v40, 31, v40 :: v_dual_ashrrev_i32 v41, 31, v41
	v_xor_b32_e32 v38, s3, v38
	v_xor_b32_e32 v39, s4, v39
	v_bitop3_b32 v9, v9, v37, exec_lo bitop3:0x80
	v_cmp_gt_i32_e64 s8, 0, v44
	v_dual_ashrrev_i32 v37, 31, v42 :: v_dual_ashrrev_i32 v42, 31, v43
	v_xor_b32_e32 v43, s5, v40
	v_xor_b32_e32 v41, s6, v41
	v_bitop3_b32 v9, v9, v39, v38 bitop3:0x80
	v_mad_u32_u24 v40, 0x44, v3, v2
	v_xor_b32_e32 v3, s7, v37
	v_xor_b32_e32 v37, s8, v42
	s_delay_alu instid0(VALU_DEP_4) | instskip(SKIP_2) | instid1(VALU_DEP_1)
	v_bitop3_b32 v9, v9, v41, v43 bitop3:0x80
	ds_load_b32 v38, v40 offset:64
	; wave barrier
	v_bitop3_b32 v3, v9, v37, v3 bitop3:0x80
	v_mbcnt_lo_u32_b32 v39, v3, 0
	v_cmp_ne_u32_e64 s2, 0, v3
	s_delay_alu instid0(VALU_DEP_2) | instskip(SKIP_1) | instid1(SALU_CYCLE_1)
	v_cmp_eq_u32_e32 vcc_lo, 0, v39
	s_and_b32 s3, s2, vcc_lo
	s_and_saveexec_b32 s2, s3
	s_cbranch_execz .LBB2277_39
; %bb.38:
	s_wait_dscnt 0x0
	v_bcnt_u32_b32 v3, v3, v38
	ds_store_b32 v40, v3 offset:64
.LBB2277_39:
	s_or_b32 exec_lo, exec_lo, s2
	v_cmp_lt_i16_e32 vcc_lo, -1, v8
	; wave barrier
	v_cndmask_b32_e64 v3, -1, 0xffff8000, vcc_lo
	s_delay_alu instid0(VALU_DEP_1) | instskip(NEXT) | instid1(VALU_DEP_1)
	v_xor_b32_e32 v37, v3, v8
	v_cmp_ne_u16_e32 vcc_lo, 0x7fff, v37
	v_cndmask_b32_e32 v3, 0xffff8000, v37, vcc_lo
	s_delay_alu instid0(VALU_DEP_1) | instskip(NEXT) | instid1(VALU_DEP_1)
	v_and_b32_e32 v3, 0xffff, v3
	v_lshrrev_b32_e32 v3, s20, v3
	s_delay_alu instid0(VALU_DEP_1) | instskip(SKIP_1) | instid1(VALU_DEP_2)
	v_bitop3_b32 v8, v3, 1, s25 bitop3:0x80
	v_and_b32_e32 v3, s25, v3
	v_add_co_u32 v8, s2, v8, -1
	s_delay_alu instid0(VALU_DEP_1) | instskip(NEXT) | instid1(VALU_DEP_3)
	v_cndmask_b32_e64 v9, 0, 1, s2
	v_lshlrev_b32_e32 v41, 30, v3
	s_delay_alu instid0(VALU_DEP_2) | instskip(NEXT) | instid1(VALU_DEP_2)
	v_cmp_ne_u32_e32 vcc_lo, 0, v9
	v_not_b32_e32 v9, v41
	s_delay_alu instid0(VALU_DEP_1) | instskip(SKIP_4) | instid1(VALU_DEP_4)
	v_dual_ashrrev_i32 v9, 31, v9 :: v_dual_bitop2_b32 v8, vcc_lo, v8 bitop3:0x14
	v_dual_lshlrev_b32 v42, 29, v3 :: v_dual_lshlrev_b32 v43, 28, v3
	v_dual_lshlrev_b32 v44, 27, v3 :: v_dual_lshlrev_b32 v45, 26, v3
	v_lshlrev_b32_e32 v46, 25, v3
	v_cmp_gt_i32_e64 s2, 0, v41
	v_cmp_gt_i32_e64 s3, 0, v42
	v_not_b32_e32 v41, v42
	v_not_b32_e32 v42, v43
	v_lshlrev_b32_e32 v47, 24, v3
	v_cmp_gt_i32_e64 s4, 0, v43
	v_cmp_gt_i32_e64 s5, 0, v44
	v_not_b32_e32 v43, v44
	v_not_b32_e32 v44, v45
	v_dual_ashrrev_i32 v41, 31, v41 :: v_dual_ashrrev_i32 v42, 31, v42
	v_xor_b32_e32 v9, s2, v9
	v_cmp_gt_i32_e64 s6, 0, v45
	v_cmp_gt_i32_e64 s7, 0, v46
	v_not_b32_e32 v45, v46
	v_not_b32_e32 v46, v47
	v_dual_ashrrev_i32 v43, 31, v43 :: v_dual_ashrrev_i32 v44, 31, v44
	v_xor_b32_e32 v41, s3, v41
	v_xor_b32_e32 v42, s4, v42
	v_bitop3_b32 v8, v8, v9, exec_lo bitop3:0x80
	v_cmp_gt_i32_e64 s8, 0, v47
	v_dual_ashrrev_i32 v9, 31, v45 :: v_dual_ashrrev_i32 v45, 31, v46
	v_xor_b32_e32 v43, s5, v43
	v_xor_b32_e32 v46, s6, v44
	v_bitop3_b32 v8, v8, v42, v41 bitop3:0x80
	v_mad_u32_u24 v44, 0x44, v3, v2
	v_xor_b32_e32 v3, s7, v9
	v_xor_b32_e32 v9, s8, v45
	s_delay_alu instid0(VALU_DEP_4) | instskip(SKIP_2) | instid1(VALU_DEP_1)
	v_bitop3_b32 v8, v8, v46, v43 bitop3:0x80
	ds_load_b32 v42, v44 offset:64
	; wave barrier
	v_bitop3_b32 v3, v8, v9, v3 bitop3:0x80
	v_mbcnt_lo_u32_b32 v43, v3, 0
	v_cmp_ne_u32_e64 s2, 0, v3
	s_delay_alu instid0(VALU_DEP_2) | instskip(SKIP_1) | instid1(SALU_CYCLE_1)
	v_cmp_eq_u32_e32 vcc_lo, 0, v43
	s_and_b32 s3, s2, vcc_lo
	s_and_saveexec_b32 s2, s3
	s_cbranch_execz .LBB2277_41
; %bb.40:
	s_wait_dscnt 0x0
	v_bcnt_u32_b32 v3, v3, v42
	ds_store_b32 v44, v3 offset:64
.LBB2277_41:
	s_or_b32 exec_lo, exec_lo, s2
	v_cmp_lt_i16_e32 vcc_lo, -1, v7
	; wave barrier
	v_cndmask_b32_e64 v3, -1, 0xffff8000, vcc_lo
	s_delay_alu instid0(VALU_DEP_1) | instskip(NEXT) | instid1(VALU_DEP_1)
	v_xor_b32_e32 v41, v3, v7
	v_cmp_ne_u16_e32 vcc_lo, 0x7fff, v41
	v_cndmask_b32_e32 v3, 0xffff8000, v41, vcc_lo
	s_delay_alu instid0(VALU_DEP_1) | instskip(NEXT) | instid1(VALU_DEP_1)
	v_and_b32_e32 v3, 0xffff, v3
	v_lshrrev_b32_e32 v3, s20, v3
	s_delay_alu instid0(VALU_DEP_1) | instskip(SKIP_1) | instid1(VALU_DEP_2)
	v_bitop3_b32 v7, v3, 1, s25 bitop3:0x80
	v_and_b32_e32 v3, s25, v3
	v_add_co_u32 v7, s2, v7, -1
	s_delay_alu instid0(VALU_DEP_1) | instskip(NEXT) | instid1(VALU_DEP_3)
	v_cndmask_b32_e64 v8, 0, 1, s2
	v_dual_lshlrev_b32 v9, 30, v3 :: v_dual_lshlrev_b32 v45, 29, v3
	v_lshlrev_b32_e32 v46, 28, v3
	s_delay_alu instid0(VALU_DEP_3) | instskip(NEXT) | instid1(VALU_DEP_3)
	v_cmp_ne_u32_e32 vcc_lo, 0, v8
	v_cmp_gt_i32_e64 s2, 0, v9
	v_not_b32_e32 v8, v9
	v_cmp_gt_i32_e64 s3, 0, v45
	v_not_b32_e32 v9, v45
	v_not_b32_e32 v45, v46
	s_delay_alu instid0(VALU_DEP_2) | instskip(NEXT) | instid1(VALU_DEP_2)
	v_dual_ashrrev_i32 v8, 31, v8 :: v_dual_ashrrev_i32 v9, 31, v9
	v_dual_ashrrev_i32 v45, 31, v45 :: v_dual_lshlrev_b32 v47, 27, v3
	v_dual_lshlrev_b32 v48, 26, v3 :: v_dual_lshlrev_b32 v49, 25, v3
	s_delay_alu instid0(VALU_DEP_3) | instskip(SKIP_1) | instid1(VALU_DEP_4)
	v_dual_lshlrev_b32 v50, 24, v3 :: v_dual_bitop2_b32 v8, s2, v8 bitop3:0x14
	v_cmp_gt_i32_e64 s4, 0, v46
	v_cmp_gt_i32_e64 s5, 0, v47
	v_not_b32_e32 v46, v47
	v_cmp_gt_i32_e64 s6, 0, v48
	v_not_b32_e32 v47, v48
	v_not_b32_e32 v48, v49
	v_xor_b32_e32 v7, vcc_lo, v7
	v_cmp_gt_i32_e64 s7, 0, v49
	v_not_b32_e32 v49, v50
	v_dual_ashrrev_i32 v46, 31, v46 :: v_dual_ashrrev_i32 v47, 31, v47
	v_xor_b32_e32 v9, s3, v9
	v_xor_b32_e32 v45, s4, v45
	v_bitop3_b32 v7, v7, v8, exec_lo bitop3:0x80
	v_cmp_gt_i32_e64 s8, 0, v50
	v_dual_ashrrev_i32 v8, 31, v48 :: v_dual_ashrrev_i32 v49, 31, v49
	v_xor_b32_e32 v46, s5, v46
	v_xor_b32_e32 v47, s6, v47
	v_bitop3_b32 v7, v7, v45, v9 bitop3:0x80
	v_mad_u32_u24 v48, 0x44, v3, v2
	v_xor_b32_e32 v3, s7, v8
	v_xor_b32_e32 v8, s8, v49
	s_delay_alu instid0(VALU_DEP_4) | instskip(SKIP_2) | instid1(VALU_DEP_1)
	v_bitop3_b32 v7, v7, v47, v46 bitop3:0x80
	ds_load_b32 v46, v48 offset:64
	; wave barrier
	v_bitop3_b32 v3, v7, v8, v3 bitop3:0x80
	v_mbcnt_lo_u32_b32 v47, v3, 0
	v_cmp_ne_u32_e64 s2, 0, v3
	s_delay_alu instid0(VALU_DEP_2) | instskip(SKIP_1) | instid1(SALU_CYCLE_1)
	v_cmp_eq_u32_e32 vcc_lo, 0, v47
	s_and_b32 s3, s2, vcc_lo
	s_and_saveexec_b32 s2, s3
	s_cbranch_execz .LBB2277_43
; %bb.42:
	s_wait_dscnt 0x0
	v_bcnt_u32_b32 v3, v3, v46
	ds_store_b32 v48, v3 offset:64
.LBB2277_43:
	s_or_b32 exec_lo, exec_lo, s2
	v_cmp_lt_i16_e32 vcc_lo, -1, v6
	; wave barrier
	v_cndmask_b32_e64 v3, -1, 0xffff8000, vcc_lo
	s_delay_alu instid0(VALU_DEP_1) | instskip(NEXT) | instid1(VALU_DEP_1)
	v_xor_b32_e32 v45, v3, v6
	v_cmp_ne_u16_e32 vcc_lo, 0x7fff, v45
	v_cndmask_b32_e32 v3, 0xffff8000, v45, vcc_lo
	s_delay_alu instid0(VALU_DEP_1) | instskip(NEXT) | instid1(VALU_DEP_1)
	v_and_b32_e32 v3, 0xffff, v3
	v_lshrrev_b32_e32 v3, s20, v3
	s_delay_alu instid0(VALU_DEP_1) | instskip(SKIP_1) | instid1(VALU_DEP_2)
	v_bitop3_b32 v6, v3, 1, s25 bitop3:0x80
	v_and_b32_e32 v3, s25, v3
	v_add_co_u32 v6, s2, v6, -1
	s_delay_alu instid0(VALU_DEP_1) | instskip(NEXT) | instid1(VALU_DEP_3)
	v_cndmask_b32_e64 v7, 0, 1, s2
	v_dual_lshlrev_b32 v8, 30, v3 :: v_dual_lshlrev_b32 v9, 29, v3
	v_lshlrev_b32_e32 v49, 28, v3
	s_delay_alu instid0(VALU_DEP_3) | instskip(NEXT) | instid1(VALU_DEP_3)
	v_cmp_ne_u32_e32 vcc_lo, 0, v7
	v_cmp_gt_i32_e64 s2, 0, v8
	v_not_b32_e32 v7, v8
	v_cmp_gt_i32_e64 s3, 0, v9
	v_not_b32_e32 v8, v9
	v_not_b32_e32 v9, v49
	s_delay_alu instid0(VALU_DEP_2) | instskip(NEXT) | instid1(VALU_DEP_2)
	v_dual_ashrrev_i32 v8, 31, v8 :: v_dual_bitop2_b32 v6, vcc_lo, v6 bitop3:0x14
	v_dual_ashrrev_i32 v9, 31, v9 :: v_dual_lshlrev_b32 v50, 27, v3
	v_dual_lshlrev_b32 v51, 26, v3 :: v_dual_lshlrev_b32 v52, 25, v3
	v_cmp_gt_i32_e64 s4, 0, v49
	v_lshlrev_b32_e32 v53, 24, v3
	s_delay_alu instid0(VALU_DEP_4) | instskip(SKIP_4) | instid1(VALU_DEP_4)
	v_not_b32_e32 v49, v50
	v_ashrrev_i32_e32 v7, 31, v7
	v_cmp_gt_i32_e64 s5, 0, v50
	v_not_b32_e32 v50, v51
	v_cmp_gt_i32_e64 s6, 0, v51
	v_dual_ashrrev_i32 v49, 31, v49 :: v_dual_bitop2_b32 v7, s2, v7 bitop3:0x14
	v_cmp_gt_i32_e64 s7, 0, v52
	v_not_b32_e32 v51, v52
	v_not_b32_e32 v52, v53
	v_dual_ashrrev_i32 v50, 31, v50 :: v_dual_bitop2_b32 v8, s3, v8 bitop3:0x14
	v_xor_b32_e32 v9, s4, v9
	v_bitop3_b32 v6, v6, v7, exec_lo bitop3:0x80
	v_cmp_gt_i32_e64 s8, 0, v53
	v_dual_ashrrev_i32 v7, 31, v51 :: v_dual_ashrrev_i32 v51, 31, v52
	v_xor_b32_e32 v49, s5, v49
	v_xor_b32_e32 v50, s6, v50
	v_bitop3_b32 v6, v6, v9, v8 bitop3:0x80
	v_mad_u32_u24 v52, 0x44, v3, v2
	v_xor_b32_e32 v3, s7, v7
	v_xor_b32_e32 v7, s8, v51
	s_delay_alu instid0(VALU_DEP_4) | instskip(SKIP_2) | instid1(VALU_DEP_1)
	v_bitop3_b32 v6, v6, v50, v49 bitop3:0x80
	ds_load_b32 v49, v52 offset:64
	; wave barrier
	v_bitop3_b32 v3, v6, v7, v3 bitop3:0x80
	v_mbcnt_lo_u32_b32 v51, v3, 0
	v_cmp_ne_u32_e64 s2, 0, v3
	s_delay_alu instid0(VALU_DEP_2) | instskip(SKIP_1) | instid1(SALU_CYCLE_1)
	v_cmp_eq_u32_e32 vcc_lo, 0, v51
	s_and_b32 s3, s2, vcc_lo
	s_and_saveexec_b32 s2, s3
	s_cbranch_execz .LBB2277_45
; %bb.44:
	s_wait_dscnt 0x0
	v_bcnt_u32_b32 v3, v3, v49
	ds_store_b32 v52, v3 offset:64
.LBB2277_45:
	s_or_b32 exec_lo, exec_lo, s2
	v_cmp_lt_i16_e32 vcc_lo, -1, v5
	; wave barrier
	v_cndmask_b32_e64 v3, -1, 0xffff8000, vcc_lo
	s_delay_alu instid0(VALU_DEP_1) | instskip(NEXT) | instid1(VALU_DEP_1)
	v_xor_b32_e32 v50, v3, v5
	v_cmp_ne_u16_e32 vcc_lo, 0x7fff, v50
	v_cndmask_b32_e32 v3, 0xffff8000, v50, vcc_lo
	s_delay_alu instid0(VALU_DEP_1) | instskip(NEXT) | instid1(VALU_DEP_1)
	v_and_b32_e32 v3, 0xffff, v3
	v_lshrrev_b32_e32 v3, s20, v3
	s_delay_alu instid0(VALU_DEP_1) | instskip(SKIP_1) | instid1(VALU_DEP_2)
	v_bitop3_b32 v5, v3, 1, s25 bitop3:0x80
	v_and_b32_e32 v3, s25, v3
	v_add_co_u32 v5, s2, v5, -1
	s_delay_alu instid0(VALU_DEP_1) | instskip(NEXT) | instid1(VALU_DEP_3)
	v_cndmask_b32_e64 v6, 0, 1, s2
	v_lshlrev_b32_e32 v7, 30, v3
	s_delay_alu instid0(VALU_DEP_2) | instskip(NEXT) | instid1(VALU_DEP_2)
	v_cmp_ne_u32_e32 vcc_lo, 0, v6
	v_not_b32_e32 v6, v7
	s_delay_alu instid0(VALU_DEP_1) | instskip(SKIP_4) | instid1(VALU_DEP_4)
	v_dual_ashrrev_i32 v6, 31, v6 :: v_dual_bitop2_b32 v5, vcc_lo, v5 bitop3:0x14
	v_dual_lshlrev_b32 v8, 29, v3 :: v_dual_lshlrev_b32 v9, 28, v3
	v_dual_lshlrev_b32 v53, 27, v3 :: v_dual_lshlrev_b32 v54, 26, v3
	v_lshlrev_b32_e32 v55, 25, v3
	v_cmp_gt_i32_e64 s2, 0, v7
	v_cmp_gt_i32_e64 s3, 0, v8
	v_not_b32_e32 v7, v8
	v_not_b32_e32 v8, v9
	v_lshlrev_b32_e32 v56, 24, v3
	v_cmp_gt_i32_e64 s4, 0, v9
	v_cmp_gt_i32_e64 s5, 0, v53
	v_not_b32_e32 v9, v53
	v_not_b32_e32 v53, v54
	v_dual_ashrrev_i32 v7, 31, v7 :: v_dual_bitop2_b32 v6, s2, v6 bitop3:0x14
	v_ashrrev_i32_e32 v8, 31, v8
	v_cmp_gt_i32_e64 s6, 0, v54
	v_cmp_gt_i32_e64 s7, 0, v55
	v_not_b32_e32 v54, v55
	v_not_b32_e32 v55, v56
	v_dual_ashrrev_i32 v9, 31, v9 :: v_dual_bitop2_b32 v7, s3, v7 bitop3:0x14
	v_dual_ashrrev_i32 v53, 31, v53 :: v_dual_bitop2_b32 v8, s4, v8 bitop3:0x14
	v_bitop3_b32 v5, v5, v6, exec_lo bitop3:0x80
	v_cmp_gt_i32_e64 s8, 0, v56
	v_dual_ashrrev_i32 v6, 31, v54 :: v_dual_ashrrev_i32 v54, 31, v55
	v_xor_b32_e32 v9, s5, v9
	v_xor_b32_e32 v53, s6, v53
	v_bitop3_b32 v5, v5, v8, v7 bitop3:0x80
	v_mad_u32_u24 v57, 0x44, v3, v2
	v_xor_b32_e32 v3, s7, v6
	v_xor_b32_e32 v6, s8, v54
	s_delay_alu instid0(VALU_DEP_4) | instskip(SKIP_2) | instid1(VALU_DEP_1)
	v_bitop3_b32 v5, v5, v53, v9 bitop3:0x80
	ds_load_b32 v53, v57 offset:64
	; wave barrier
	v_bitop3_b32 v3, v5, v6, v3 bitop3:0x80
	v_mbcnt_lo_u32_b32 v54, v3, 0
	v_cmp_ne_u32_e64 s2, 0, v3
	s_delay_alu instid0(VALU_DEP_2) | instskip(SKIP_1) | instid1(SALU_CYCLE_1)
	v_cmp_eq_u32_e32 vcc_lo, 0, v54
	s_and_b32 s3, s2, vcc_lo
	s_and_saveexec_b32 s2, s3
	s_cbranch_execz .LBB2277_47
; %bb.46:
	s_wait_dscnt 0x0
	v_bcnt_u32_b32 v3, v3, v53
	ds_store_b32 v57, v3 offset:64
.LBB2277_47:
	s_or_b32 exec_lo, exec_lo, s2
	v_cmp_lt_i16_e32 vcc_lo, -1, v4
	; wave barrier
	v_cndmask_b32_e64 v3, -1, 0xffff8000, vcc_lo
	s_delay_alu instid0(VALU_DEP_1) | instskip(NEXT) | instid1(VALU_DEP_1)
	v_xor_b32_e32 v55, v3, v4
	v_cmp_ne_u16_e32 vcc_lo, 0x7fff, v55
	v_cndmask_b32_e32 v3, 0xffff8000, v55, vcc_lo
	s_delay_alu instid0(VALU_DEP_1) | instskip(NEXT) | instid1(VALU_DEP_1)
	v_and_b32_e32 v3, 0xffff, v3
	v_lshrrev_b32_e32 v3, s20, v3
	s_delay_alu instid0(VALU_DEP_1) | instskip(SKIP_1) | instid1(VALU_DEP_2)
	v_bitop3_b32 v4, v3, 1, s25 bitop3:0x80
	v_and_b32_e32 v3, s25, v3
	v_add_co_u32 v4, s2, v4, -1
	s_delay_alu instid0(VALU_DEP_1) | instskip(NEXT) | instid1(VALU_DEP_3)
	v_cndmask_b32_e64 v5, 0, 1, s2
	v_lshlrev_b32_e32 v6, 30, v3
	s_delay_alu instid0(VALU_DEP_2) | instskip(NEXT) | instid1(VALU_DEP_2)
	v_cmp_ne_u32_e32 vcc_lo, 0, v5
	v_not_b32_e32 v5, v6
	s_delay_alu instid0(VALU_DEP_1) | instskip(SKIP_4) | instid1(VALU_DEP_4)
	v_dual_ashrrev_i32 v5, 31, v5 :: v_dual_bitop2_b32 v4, vcc_lo, v4 bitop3:0x14
	v_dual_lshlrev_b32 v7, 29, v3 :: v_dual_lshlrev_b32 v8, 28, v3
	v_dual_lshlrev_b32 v9, 27, v3 :: v_dual_lshlrev_b32 v56, 26, v3
	v_lshlrev_b32_e32 v58, 25, v3
	v_cmp_gt_i32_e64 s2, 0, v6
	v_cmp_gt_i32_e64 s3, 0, v7
	v_not_b32_e32 v6, v7
	v_not_b32_e32 v7, v8
	v_lshlrev_b32_e32 v59, 24, v3
	v_cmp_gt_i32_e64 s4, 0, v8
	v_cmp_gt_i32_e64 s5, 0, v9
	v_not_b32_e32 v8, v9
	v_not_b32_e32 v9, v56
	v_dual_ashrrev_i32 v6, 31, v6 :: v_dual_ashrrev_i32 v7, 31, v7
	v_xor_b32_e32 v5, s2, v5
	v_cmp_gt_i32_e64 s6, 0, v56
	v_cmp_gt_i32_e64 s7, 0, v58
	v_not_b32_e32 v56, v58
	v_not_b32_e32 v58, v59
	v_dual_ashrrev_i32 v8, 31, v8 :: v_dual_ashrrev_i32 v9, 31, v9
	v_xor_b32_e32 v6, s3, v6
	v_xor_b32_e32 v7, s4, v7
	v_bitop3_b32 v4, v4, v5, exec_lo bitop3:0x80
	v_cmp_gt_i32_e64 s8, 0, v59
	v_dual_ashrrev_i32 v5, 31, v56 :: v_dual_ashrrev_i32 v56, 31, v58
	v_xor_b32_e32 v8, s5, v8
	v_xor_b32_e32 v9, s6, v9
	v_bitop3_b32 v4, v4, v7, v6 bitop3:0x80
	v_mad_u32_u24 v59, 0x44, v3, v2
	v_xor_b32_e32 v2, s7, v5
	v_xor_b32_e32 v3, s8, v56
	s_delay_alu instid0(VALU_DEP_4) | instskip(SKIP_2) | instid1(VALU_DEP_1)
	v_bitop3_b32 v4, v4, v9, v8 bitop3:0x80
	ds_load_b32 v56, v59 offset:64
	; wave barrier
	v_bitop3_b32 v2, v4, v3, v2 bitop3:0x80
	v_mbcnt_lo_u32_b32 v58, v2, 0
	v_cmp_ne_u32_e64 s2, 0, v2
	s_delay_alu instid0(VALU_DEP_2) | instskip(SKIP_1) | instid1(SALU_CYCLE_1)
	v_cmp_eq_u32_e32 vcc_lo, 0, v58
	s_and_b32 s3, s2, vcc_lo
	s_and_saveexec_b32 s2, s3
	s_cbranch_execz .LBB2277_49
; %bb.48:
	s_wait_dscnt 0x0
	v_bcnt_u32_b32 v2, v2, v56
	ds_store_b32 v59, v2 offset:64
.LBB2277_49:
	s_or_b32 exec_lo, exec_lo, s2
	; wave barrier
	s_wait_dscnt 0x0
	s_barrier_signal -1
	s_barrier_wait -1
	ds_load_2addr_b32 v[8:9], v13 offset0:16 offset1:17
	ds_load_2addr_b32 v[6:7], v13 offset0:18 offset1:19
	;; [unrolled: 1-line block ×4, first 2 shown]
	ds_load_b32 v60, v13 offset:96
	s_mov_b32 s6, exec_lo
	s_wait_dscnt 0x3
	v_add3_u32 v61, v9, v8, v6
	s_wait_dscnt 0x2
	s_delay_alu instid0(VALU_DEP_1) | instskip(SKIP_1) | instid1(VALU_DEP_1)
	v_add3_u32 v61, v61, v7, v4
	s_wait_dscnt 0x1
	v_add3_u32 v61, v61, v5, v2
	s_wait_dscnt 0x0
	s_delay_alu instid0(VALU_DEP_1) | instskip(SKIP_1) | instid1(VALU_DEP_2)
	v_add3_u32 v60, v61, v3, v60
	v_and_b32_e32 v61, 15, v14
	v_mov_b32_dpp v62, v60 row_shr:1 row_mask:0xf bank_mask:0xf
	s_delay_alu instid0(VALU_DEP_2) | instskip(NEXT) | instid1(VALU_DEP_2)
	v_cmp_eq_u32_e32 vcc_lo, 0, v61
	v_cndmask_b32_e64 v62, v62, 0, vcc_lo
	s_delay_alu instid0(VALU_DEP_1) | instskip(SKIP_3) | instid1(VALU_DEP_4)
	v_add_nc_u32_e32 v60, v62, v60
	v_cmp_lt_u32_e64 s2, 1, v61
	v_cmp_lt_u32_e64 s3, 3, v61
	;; [unrolled: 1-line block ×3, first 2 shown]
	v_mov_b32_dpp v62, v60 row_shr:2 row_mask:0xf bank_mask:0xf
	s_delay_alu instid0(VALU_DEP_1) | instskip(NEXT) | instid1(VALU_DEP_1)
	v_cndmask_b32_e64 v62, 0, v62, s2
	v_add_nc_u32_e32 v60, v60, v62
	s_delay_alu instid0(VALU_DEP_1) | instskip(NEXT) | instid1(VALU_DEP_1)
	v_mov_b32_dpp v62, v60 row_shr:4 row_mask:0xf bank_mask:0xf
	v_cndmask_b32_e64 v62, 0, v62, s3
	s_delay_alu instid0(VALU_DEP_1) | instskip(NEXT) | instid1(VALU_DEP_1)
	v_add_nc_u32_e32 v60, v60, v62
	v_mov_b32_dpp v62, v60 row_shr:8 row_mask:0xf bank_mask:0xf
	s_delay_alu instid0(VALU_DEP_1) | instskip(SKIP_1) | instid1(VALU_DEP_2)
	v_cndmask_b32_e64 v61, 0, v62, s4
	v_bfe_i32 v62, v14, 4, 1
	v_add_nc_u32_e32 v60, v60, v61
	ds_swizzle_b32 v61, v60 offset:swizzle(BROADCAST,32,15)
	s_wait_dscnt 0x0
	v_and_b32_e32 v61, v62, v61
	v_min_u32_e32 v62, 0x1e0, v15
	s_delay_alu instid0(VALU_DEP_1) | instskip(SKIP_1) | instid1(VALU_DEP_2)
	v_dual_add_nc_u32 v60, v60, v61 :: v_dual_bitop2_b32 v62, 31, v62 bitop3:0x54
	v_lshrrev_b32_e32 v61, 5, v1
	v_cmpx_eq_u32_e64 v1, v62
; %bb.50:
	s_delay_alu instid0(VALU_DEP_2)
	v_lshlrev_b32_e32 v62, 2, v61
	ds_store_b32 v62, v60
; %bb.51:
	s_or_b32 exec_lo, exec_lo, s6
	s_delay_alu instid0(SALU_CYCLE_1)
	s_mov_b32 s6, exec_lo
	s_wait_dscnt 0x0
	s_barrier_signal -1
	s_barrier_wait -1
	v_cmpx_gt_u32_e32 16, v1
	s_cbranch_execz .LBB2277_53
; %bb.52:
	v_lshlrev_b32_e32 v62, 2, v1
	ds_load_b32 v63, v62
	s_wait_dscnt 0x0
	v_mov_b32_dpp v64, v63 row_shr:1 row_mask:0xf bank_mask:0xf
	s_delay_alu instid0(VALU_DEP_1) | instskip(NEXT) | instid1(VALU_DEP_1)
	v_cndmask_b32_e64 v64, v64, 0, vcc_lo
	v_add_nc_u32_e32 v63, v64, v63
	s_delay_alu instid0(VALU_DEP_1) | instskip(NEXT) | instid1(VALU_DEP_1)
	v_mov_b32_dpp v64, v63 row_shr:2 row_mask:0xf bank_mask:0xf
	v_cndmask_b32_e64 v64, 0, v64, s2
	s_delay_alu instid0(VALU_DEP_1) | instskip(NEXT) | instid1(VALU_DEP_1)
	v_add_nc_u32_e32 v63, v63, v64
	v_mov_b32_dpp v64, v63 row_shr:4 row_mask:0xf bank_mask:0xf
	s_delay_alu instid0(VALU_DEP_1) | instskip(NEXT) | instid1(VALU_DEP_1)
	v_cndmask_b32_e64 v64, 0, v64, s3
	v_add_nc_u32_e32 v63, v63, v64
	s_delay_alu instid0(VALU_DEP_1) | instskip(NEXT) | instid1(VALU_DEP_1)
	v_mov_b32_dpp v64, v63 row_shr:8 row_mask:0xf bank_mask:0xf
	v_cndmask_b32_e64 v64, 0, v64, s4
	s_delay_alu instid0(VALU_DEP_1)
	v_add_nc_u32_e32 v63, v63, v64
	ds_store_b32 v62, v63
.LBB2277_53:
	s_or_b32 exec_lo, exec_lo, s6
	v_mov_b32_e32 v62, 0
	s_mov_b32 s2, exec_lo
	s_wait_dscnt 0x0
	s_barrier_signal -1
	s_barrier_wait -1
	v_cmpx_lt_u32_e32 31, v1
; %bb.54:
	v_lshl_add_u32 v61, v61, 2, -4
	ds_load_b32 v62, v61
; %bb.55:
	s_or_b32 exec_lo, exec_lo, s2
	v_sub_co_u32 v61, vcc_lo, v14, 1
	s_wait_dscnt 0x0
	v_add_nc_u32_e32 v60, v62, v60
	s_delay_alu instid0(VALU_DEP_2) | instskip(NEXT) | instid1(VALU_DEP_1)
	v_cmp_gt_i32_e64 s2, 0, v61
	v_cndmask_b32_e64 v61, v61, v14, s2
	v_cmp_gt_u32_e64 s2, 0x100, v1
	s_delay_alu instid0(VALU_DEP_2) | instskip(SKIP_4) | instid1(VALU_DEP_2)
	v_lshlrev_b32_e32 v61, 2, v61
	ds_bpermute_b32 v60, v61, v60
	s_wait_dscnt 0x0
	v_cndmask_b32_e32 v60, v60, v62, vcc_lo
	v_cmp_ne_u32_e32 vcc_lo, 0, v1
	v_cndmask_b32_e32 v60, 0, v60, vcc_lo
	v_cmp_lt_u32_e32 vcc_lo, 0xff, v1
	s_delay_alu instid0(VALU_DEP_2) | instskip(NEXT) | instid1(VALU_DEP_1)
	v_add_nc_u32_e32 v8, v60, v8
	v_add_nc_u32_e32 v9, v8, v9
	s_delay_alu instid0(VALU_DEP_1) | instskip(NEXT) | instid1(VALU_DEP_1)
	v_add_nc_u32_e32 v6, v9, v6
	v_add_nc_u32_e32 v7, v6, v7
	s_delay_alu instid0(VALU_DEP_1) | instskip(NEXT) | instid1(VALU_DEP_1)
	;; [unrolled: 3-line block ×3, first 2 shown]
	v_add_nc_u32_e32 v2, v5, v2
	v_add_nc_u32_e32 v3, v2, v3
	ds_store_2addr_b32 v13, v60, v8 offset0:16 offset1:17
	ds_store_2addr_b32 v13, v9, v6 offset0:18 offset1:19
	;; [unrolled: 1-line block ×4, first 2 shown]
	ds_store_b32 v13, v3 offset:96
	s_wait_dscnt 0x0
	s_barrier_signal -1
	s_barrier_wait -1
	ds_load_b32 v61, v16 offset:64
	ds_load_b32 v62, v20 offset:64
	ds_load_b32 v60, v24 offset:64
	ds_load_b32 v24, v28 offset:64
	ds_load_b32 v20, v32 offset:64
	ds_load_b32 v16, v36 offset:64
	ds_load_b32 v13, v40 offset:64
	ds_load_b32 v9, v44 offset:64
	ds_load_b32 v8, v48 offset:64
	ds_load_b32 v7, v52 offset:64
	ds_load_b32 v6, v57 offset:64
	ds_load_b32 v5, v59 offset:64
	v_mov_b64_e32 v[2:3], 0
                                        ; implicit-def: $vgpr4
	s_and_saveexec_b32 s4, s2
	s_cbranch_execz .LBB2277_59
; %bb.56:
	v_mul_u32_u24_e32 v2, 0x44, v1
	v_dual_mov_b32 v3, 0x1800 :: v_dual_add_nc_u32 v4, 1, v1
	s_mov_b32 s5, exec_lo
	ds_load_b32 v2, v2 offset:64
	v_cmpx_ne_u32_e32 0x100, v4
; %bb.57:
	v_mul_u32_u24_e32 v3, 0x44, v4
	ds_load_b32 v3, v3 offset:64
; %bb.58:
	s_or_b32 exec_lo, exec_lo, s5
	s_wait_dscnt 0x0
	v_dual_mov_b32 v3, 0 :: v_dual_sub_nc_u32 v4, v3, v2
.LBB2277_59:
	s_or_b32 exec_lo, exec_lo, s4
	s_wait_dscnt 0xa
	v_dual_lshlrev_b32 v11, 1, v11 :: v_dual_lshlrev_b32 v28, 1, v62
	v_dual_lshlrev_b32 v19, 1, v19 :: v_dual_lshlrev_b32 v18, 1, v18
	v_lshlrev_b32_e32 v22, 1, v22
	s_delay_alu instid0(VALU_DEP_3)
	v_lshl_add_u32 v11, v61, 1, v11
	v_lshlrev_b32_e32 v23, 1, v23
	s_wait_dscnt 0x0
	v_add3_u32 v18, v28, v19, v18
	v_lshlrev_b32_e32 v19, 1, v60
	s_barrier_signal -1
	s_barrier_wait -1
	ds_store_b16 v11, v10 offset:2048
	ds_store_b16 v18, v12 offset:2048
	v_lshlrev_b32_e32 v11, 1, v24
	v_add3_u32 v10, v19, v23, v22
	v_dual_lshlrev_b32 v12, 1, v27 :: v_dual_lshlrev_b32 v18, 1, v26
	v_dual_lshlrev_b32 v22, 1, v29 :: v_dual_lshlrev_b32 v16, 1, v16
	;; [unrolled: 1-line block ×6, first 2 shown]
	ds_store_b16 v10, v17 offset:2048
	v_add3_u32 v10, v11, v12, v18
	v_add3_u32 v12, v16, v23, v24
	v_dual_lshlrev_b32 v16, 1, v43 :: v_dual_lshlrev_b32 v17, 1, v42
	v_add3_u32 v11, v19, v20, v22
	v_add3_u32 v13, v13, v26, v27
	ds_store_b16 v10, v21 offset:2048
	ds_store_b16 v11, v25 offset:2048
	;; [unrolled: 1-line block ×4, first 2 shown]
	v_add3_u32 v9, v9, v16, v17
	v_dual_lshlrev_b32 v8, 1, v8 :: v_dual_lshlrev_b32 v10, 1, v47
	v_dual_lshlrev_b32 v11, 1, v46 :: v_dual_lshlrev_b32 v7, 1, v7
	;; [unrolled: 1-line block ×6, first 2 shown]
	ds_store_b16 v9, v37 offset:2048
	v_add3_u32 v8, v8, v10, v11
	v_add3_u32 v9, v7, v12, v13
	;; [unrolled: 1-line block ×3, first 2 shown]
	v_dual_mov_b32 v7, 0 :: v_dual_lshlrev_b32 v5, 3, v1
	v_add3_u32 v6, v6, v16, v17
	ds_store_b16 v8, v41 offset:2048
	ds_store_b16 v9, v45 offset:2048
	;; [unrolled: 1-line block ×4, first 2 shown]
	s_and_saveexec_b32 s3, s2
	s_cbranch_execz .LBB2277_69
; %bb.60:
	v_lshl_add_u32 v6, s9, 8, v1
	v_dual_mov_b32 v10, 0 :: v_dual_bitop2_b32 v11, 2.0, v4 bitop3:0x54
	s_mov_b32 s4, 0
	s_mov_b32 s5, s9
	s_delay_alu instid0(VALU_DEP_2)
	v_lshl_add_u64 v[8:9], v[6:7], 2, s[10:11]
	global_store_b32 v6, v11, s[10:11] scale_offset scope:SCOPE_DEV
                                        ; implicit-def: $sgpr2
	s_branch .LBB2277_63
.LBB2277_61:                            ;   in Loop: Header=BB2277_63 Depth=1
	s_or_b32 exec_lo, exec_lo, s7
.LBB2277_62:                            ;   in Loop: Header=BB2277_63 Depth=1
	s_delay_alu instid0(SALU_CYCLE_1) | instskip(SKIP_2) | instid1(VALU_DEP_2)
	s_or_b32 exec_lo, exec_lo, s6
	v_and_b32_e32 v6, 0x3fffffff, v11
	v_cmp_gt_i32_e64 s2, -2.0, v11
	v_add_nc_u32_e32 v10, v6, v10
	s_and_b32 s6, exec_lo, s2
	s_delay_alu instid0(SALU_CYCLE_1) | instskip(NEXT) | instid1(SALU_CYCLE_1)
	s_or_b32 s4, s6, s4
	s_and_not1_b32 exec_lo, exec_lo, s4
	s_cbranch_execz .LBB2277_68
.LBB2277_63:                            ; =>This Loop Header: Depth=1
                                        ;     Child Loop BB2277_66 Depth 2
	s_or_b32 s2, s2, exec_lo
	s_cmp_eq_u32 s5, 0
	s_cbranch_scc1 .LBB2277_67
; %bb.64:                               ;   in Loop: Header=BB2277_63 Depth=1
	s_add_co_i32 s5, s5, -1
	s_mov_b32 s6, exec_lo
	s_wait_xcnt 0x0
	v_lshl_or_b32 v6, s5, 8, v1
	global_load_b32 v11, v6, s[10:11] scale_offset scope:SCOPE_DEV
	s_wait_loadcnt 0x0
	v_cmpx_gt_u32_e32 2.0, v11
	s_cbranch_execz .LBB2277_62
; %bb.65:                               ;   in Loop: Header=BB2277_63 Depth=1
	v_lshl_add_u64 v[12:13], v[6:7], 2, s[10:11]
	s_mov_b32 s7, 0
.LBB2277_66:                            ;   Parent Loop BB2277_63 Depth=1
                                        ; =>  This Inner Loop Header: Depth=2
	global_load_b32 v11, v[12:13], off scope:SCOPE_DEV
	s_wait_loadcnt 0x0
	v_cmp_lt_u32_e64 s2, 0x3fffffff, v11
	s_or_b32 s7, s2, s7
	s_wait_xcnt 0x0
	s_and_not1_b32 exec_lo, exec_lo, s7
	s_cbranch_execnz .LBB2277_66
	s_branch .LBB2277_61
.LBB2277_67:                            ;   in Loop: Header=BB2277_63 Depth=1
                                        ; implicit-def: $sgpr5
	s_and_b32 s6, exec_lo, s2
	s_delay_alu instid0(SALU_CYCLE_1)
	s_or_b32 s4, s6, s4
	s_wait_xcnt 0x0
	s_and_not1_b32 exec_lo, exec_lo, s4
	s_cbranch_execnz .LBB2277_63
.LBB2277_68:
	s_or_b32 exec_lo, exec_lo, s4
	v_dual_mov_b32 v11, 0 :: v_dual_add_nc_u32 v6, v10, v4
	s_delay_alu instid0(VALU_DEP_1) | instskip(SKIP_4) | instid1(VALU_DEP_1)
	v_or_b32_e32 v6, 0x80000000, v6
	global_store_b32 v[8:9], v6, off scope:SCOPE_DEV
	global_load_b64 v[6:7], v1, s[12:13] scale_offset
	v_sub_nc_u64_e32 v[8:9], v[10:11], v[2:3]
	s_wait_loadcnt 0x0
	v_add_nc_u64_e32 v[6:7], v[8:9], v[6:7]
	ds_store_b64 v5, v[6:7]
.LBB2277_69:
	s_wait_xcnt 0x0
	s_or_b32 exec_lo, exec_lo, s3
	v_mad_i32_i24 v8, v1, -6, v5
	v_lshlrev_b32_e32 v6, 1, v1
	s_mov_b32 s3, exec_lo
	s_wait_storecnt_dscnt 0x0
	s_barrier_signal -1
	s_barrier_wait -1
	v_cmpx_gt_u32_e64 s22, v1
	s_cbranch_execz .LBB2277_71
; %bb.70:
	ds_load_u16 v9, v8 offset:2048
	s_wait_dscnt 0x0
	v_cmp_ne_u16_e64 s2, 0x7fff, v9
	s_delay_alu instid0(VALU_DEP_1) | instskip(SKIP_1) | instid1(VALU_DEP_2)
	v_cndmask_b32_e64 v7, 0xffff8000, v9, s2
	v_cmp_lt_i16_e64 s2, -1, v9
	v_and_b32_e32 v7, 0xffff, v7
	s_delay_alu instid0(VALU_DEP_2) | instskip(NEXT) | instid1(VALU_DEP_2)
	v_cndmask_b32_e64 v12, 0xffff8000, -1, s2
	v_lshrrev_b32_e32 v7, s20, v7
	s_delay_alu instid0(VALU_DEP_1) | instskip(NEXT) | instid1(VALU_DEP_1)
	v_and_b32_e32 v7, s25, v7
	v_lshlrev_b32_e32 v7, 3, v7
	ds_load_b64 v[10:11], v7
	v_mov_b32_e32 v7, 0
	s_wait_dscnt 0x0
	v_lshl_add_u64 v[10:11], v[10:11], 1, s[18:19]
	s_delay_alu instid0(VALU_DEP_1)
	v_add_nc_u64_e32 v[10:11], v[10:11], v[6:7]
	v_xor_b32_e32 v7, v12, v9
	global_store_b16 v[10:11], v7, off
.LBB2277_71:
	s_wait_xcnt 0x0
	s_or_b32 exec_lo, exec_lo, s3
	v_add_nc_u32_e32 v7, 0x200, v1
	s_mov_b32 s3, exec_lo
	s_delay_alu instid0(VALU_DEP_1)
	v_cmpx_gt_u32_e64 s22, v7
	s_cbranch_execz .LBB2277_73
; %bb.72:
	ds_load_u16 v9, v8 offset:3072
	s_wait_dscnt 0x0
	v_cmp_ne_u16_e64 s2, 0x7fff, v9
	s_delay_alu instid0(VALU_DEP_1) | instskip(SKIP_1) | instid1(VALU_DEP_2)
	v_cndmask_b32_e64 v7, 0xffff8000, v9, s2
	v_cmp_lt_i16_e64 s2, -1, v9
	v_and_b32_e32 v7, 0xffff, v7
	s_delay_alu instid0(VALU_DEP_2) | instskip(NEXT) | instid1(VALU_DEP_2)
	v_cndmask_b32_e64 v12, 0xffff8000, -1, s2
	v_lshrrev_b32_e32 v7, s20, v7
	s_delay_alu instid0(VALU_DEP_1) | instskip(NEXT) | instid1(VALU_DEP_1)
	v_and_b32_e32 v7, s25, v7
	v_lshlrev_b32_e32 v7, 3, v7
	ds_load_b64 v[10:11], v7
	v_mov_b32_e32 v7, 0
	s_wait_dscnt 0x0
	v_lshl_add_u64 v[10:11], v[10:11], 1, s[18:19]
	s_delay_alu instid0(VALU_DEP_1)
	v_add_nc_u64_e32 v[10:11], v[10:11], v[6:7]
	v_xor_b32_e32 v7, v12, v9
	global_store_b16 v[10:11], v7, off offset:1024
.LBB2277_73:
	s_wait_xcnt 0x0
	s_or_b32 exec_lo, exec_lo, s3
	v_or_b32_e32 v7, 0x400, v1
	s_mov_b32 s3, exec_lo
	s_delay_alu instid0(VALU_DEP_1)
	v_cmpx_gt_u32_e64 s22, v7
	s_cbranch_execz .LBB2277_75
; %bb.74:
	ds_load_u16 v9, v8 offset:4096
	s_wait_dscnt 0x0
	v_cmp_ne_u16_e64 s2, 0x7fff, v9
	s_delay_alu instid0(VALU_DEP_1) | instskip(SKIP_1) | instid1(VALU_DEP_2)
	v_cndmask_b32_e64 v7, 0xffff8000, v9, s2
	v_cmp_lt_i16_e64 s2, -1, v9
	v_and_b32_e32 v7, 0xffff, v7
	s_delay_alu instid0(VALU_DEP_2) | instskip(NEXT) | instid1(VALU_DEP_2)
	v_cndmask_b32_e64 v12, 0xffff8000, -1, s2
	v_lshrrev_b32_e32 v7, s20, v7
	s_delay_alu instid0(VALU_DEP_1) | instskip(NEXT) | instid1(VALU_DEP_1)
	v_and_b32_e32 v7, s25, v7
	v_lshlrev_b32_e32 v7, 3, v7
	ds_load_b64 v[10:11], v7
	v_mov_b32_e32 v7, 0
	s_wait_dscnt 0x0
	v_lshl_add_u64 v[10:11], v[10:11], 1, s[18:19]
	s_delay_alu instid0(VALU_DEP_1)
	v_add_nc_u64_e32 v[10:11], v[10:11], v[6:7]
	v_xor_b32_e32 v7, v12, v9
	global_store_b16 v[10:11], v7, off offset:2048
.LBB2277_75:
	s_wait_xcnt 0x0
	s_or_b32 exec_lo, exec_lo, s3
	v_add_nc_u32_e32 v7, 0x600, v1
	s_mov_b32 s3, exec_lo
	s_delay_alu instid0(VALU_DEP_1)
	v_cmpx_gt_u32_e64 s22, v7
	s_cbranch_execz .LBB2277_77
; %bb.76:
	ds_load_u16 v9, v8 offset:5120
	s_wait_dscnt 0x0
	v_cmp_ne_u16_e64 s2, 0x7fff, v9
	s_delay_alu instid0(VALU_DEP_1) | instskip(SKIP_1) | instid1(VALU_DEP_2)
	v_cndmask_b32_e64 v7, 0xffff8000, v9, s2
	v_cmp_lt_i16_e64 s2, -1, v9
	v_and_b32_e32 v7, 0xffff, v7
	s_delay_alu instid0(VALU_DEP_2) | instskip(NEXT) | instid1(VALU_DEP_2)
	v_cndmask_b32_e64 v12, 0xffff8000, -1, s2
	v_lshrrev_b32_e32 v7, s20, v7
	s_delay_alu instid0(VALU_DEP_1) | instskip(NEXT) | instid1(VALU_DEP_1)
	v_and_b32_e32 v7, s25, v7
	v_lshlrev_b32_e32 v7, 3, v7
	ds_load_b64 v[10:11], v7
	v_mov_b32_e32 v7, 0
	s_wait_dscnt 0x0
	v_lshl_add_u64 v[10:11], v[10:11], 1, s[18:19]
	s_delay_alu instid0(VALU_DEP_1)
	v_add_nc_u64_e32 v[10:11], v[10:11], v[6:7]
	v_xor_b32_e32 v7, v12, v9
	global_store_b16 v[10:11], v7, off offset:3072
.LBB2277_77:
	s_wait_xcnt 0x0
	s_or_b32 exec_lo, exec_lo, s3
	v_or_b32_e32 v7, 0x800, v1
	s_mov_b32 s3, exec_lo
	s_delay_alu instid0(VALU_DEP_1)
	v_cmpx_gt_u32_e64 s22, v7
	s_cbranch_execz .LBB2277_79
; %bb.78:
	ds_load_u16 v9, v8 offset:6144
	s_wait_dscnt 0x0
	v_cmp_ne_u16_e64 s2, 0x7fff, v9
	s_delay_alu instid0(VALU_DEP_1) | instskip(SKIP_1) | instid1(VALU_DEP_2)
	v_cndmask_b32_e64 v7, 0xffff8000, v9, s2
	v_cmp_lt_i16_e64 s2, -1, v9
	v_and_b32_e32 v7, 0xffff, v7
	s_delay_alu instid0(VALU_DEP_2) | instskip(NEXT) | instid1(VALU_DEP_2)
	v_cndmask_b32_e64 v12, 0xffff8000, -1, s2
	v_lshrrev_b32_e32 v7, s20, v7
	s_delay_alu instid0(VALU_DEP_1) | instskip(NEXT) | instid1(VALU_DEP_1)
	v_and_b32_e32 v7, s25, v7
	v_lshlrev_b32_e32 v7, 3, v7
	ds_load_b64 v[10:11], v7
	v_mov_b32_e32 v7, 0
	s_wait_dscnt 0x0
	v_lshl_add_u64 v[10:11], v[10:11], 1, s[18:19]
	s_delay_alu instid0(VALU_DEP_1)
	v_add_nc_u64_e32 v[10:11], v[10:11], v[6:7]
	v_xor_b32_e32 v7, v12, v9
	global_store_b16 v[10:11], v7, off offset:4096
.LBB2277_79:
	;; [unrolled: 60-line block ×5, first 2 shown]
	s_wait_xcnt 0x0
	s_or_b32 exec_lo, exec_lo, s3
	v_add_nc_u32_e32 v7, 0x1600, v1
	s_mov_b32 s3, exec_lo
	s_delay_alu instid0(VALU_DEP_1)
	v_cmpx_gt_u32_e64 s22, v7
	s_cbranch_execz .LBB2277_93
; %bb.92:
	ds_load_u16 v10, v6 offset:13312
	s_wait_dscnt 0x0
	v_cmp_ne_u16_e64 s2, 0x7fff, v10
	s_delay_alu instid0(VALU_DEP_1) | instskip(SKIP_1) | instid1(VALU_DEP_2)
	v_cndmask_b32_e64 v7, 0xffff8000, v10, s2
	v_cmp_lt_i16_e64 s2, -1, v10
	v_and_b32_e32 v7, 0xffff, v7
	s_delay_alu instid0(VALU_DEP_2) | instskip(NEXT) | instid1(VALU_DEP_2)
	v_cndmask_b32_e64 v11, 0xffff8000, -1, s2
	v_lshrrev_b32_e32 v7, s20, v7
	s_delay_alu instid0(VALU_DEP_1) | instskip(NEXT) | instid1(VALU_DEP_1)
	v_and_b32_e32 v7, s25, v7
	v_lshlrev_b32_e32 v7, 3, v7
	ds_load_b64 v[8:9], v7
	v_mov_b32_e32 v7, 0
	s_wait_dscnt 0x0
	v_lshl_add_u64 v[8:9], v[8:9], 1, s[18:19]
	s_delay_alu instid0(VALU_DEP_1)
	v_add_nc_u64_e32 v[6:7], v[8:9], v[6:7]
	v_xor_b32_e32 v8, v11, v10
	global_store_b16 v[6:7], v8, off offset:11264
.LBB2277_93:
	s_wait_xcnt 0x0
	s_or_b32 exec_lo, exec_lo, s3
	s_add_co_i32 s23, s23, -1
	s_delay_alu instid0(SALU_CYCLE_1) | instskip(SKIP_2) | instid1(SALU_CYCLE_1)
	s_cmp_eq_u32 s9, s23
	s_cselect_b32 s2, -1, 0
	s_xor_b32 s3, vcc_lo, -1
	s_and_b32 s3, s3, s2
	s_delay_alu instid0(SALU_CYCLE_1)
	s_and_saveexec_b32 s2, s3
	s_cbranch_execz .LBB2277_95
; %bb.94:
	ds_load_b64 v[6:7], v5
	v_mov_b32_e32 v5, 0
	s_delay_alu instid0(VALU_DEP_1) | instskip(SKIP_1) | instid1(VALU_DEP_1)
	v_add_nc_u64_e32 v[2:3], v[2:3], v[4:5]
	s_wait_dscnt 0x0
	v_add_nc_u64_e32 v[2:3], v[2:3], v[6:7]
	global_store_b64 v1, v[2:3], s[14:15] scale_offset
.LBB2277_95:
	s_wait_xcnt 0x0
	s_or_b32 exec_lo, exec_lo, s2
	s_mov_b32 s2, 0
.LBB2277_96:
	s_delay_alu instid0(SALU_CYCLE_1)
	s_and_b32 vcc_lo, exec_lo, s2
	s_cbranch_vccz .LBB2277_143
; %bb.97:
	s_mov_b32 s25, 0
	v_dual_mov_b32 v9, 0 :: v_dual_lshlrev_b32 v8, 1, v14
	s_lshl_b64 s[2:3], s[24:25], 1
	v_mul_u32_u24_e32 v1, 12, v15
	s_add_nc_u64 s[2:3], s[16:17], s[2:3]
	v_bfe_u32 v17, v0, 20, 10
	v_add_nc_u64_e32 v[2:3], s[2:3], v[8:9]
	s_delay_alu instid0(VALU_DEP_3) | instskip(NEXT) | instid1(VALU_DEP_1)
	v_lshlrev_b32_e32 v8, 1, v1
	v_add_nc_u64_e32 v[12:13], v[2:3], v[8:9]
	s_clause 0xb
	global_load_u16 v8, v[12:13], off
	global_load_u16 v10, v[12:13], off offset:64
	global_load_u16 v16, v[12:13], off offset:128
	;; [unrolled: 1-line block ×11, first 2 shown]
	s_clause 0x1
	s_load_b32 s7, s[0:1], 0x58
	s_load_u16 s2, s[0:1], 0x66
	v_bfe_u32 v13, v0, 10, 10
	v_and_b32_e32 v12, 0x3ff, v0
	s_wait_kmcnt 0x0
	s_cmp_lt_u32 s9, s7
	s_delay_alu instid0(VALU_DEP_2)
	v_mad_u32_u24 v0, v17, s2, v13
	s_cselect_b32 s24, 12, 18
	s_lshl_b32 s8, -1, s21
	s_add_nc_u64 s[0:1], s[26:27], s[24:25]
	s_load_u16 s16, s[0:1], 0x0
	s_wait_kmcnt 0x0
	v_mad_u32 v0, v0, s16, v12
	s_delay_alu instid0(VALU_DEP_1) | instskip(NEXT) | instid1(VALU_DEP_1)
	v_lshrrev_b32_e32 v0, 5, v0
	v_lshlrev_b32_e32 v0, 2, v0
	s_wait_loadcnt 0xb
	v_cmp_lt_i16_e32 vcc_lo, -1, v8
	v_cndmask_b32_e64 v11, -1, 0xffff8000, vcc_lo
	s_delay_alu instid0(VALU_DEP_1) | instskip(NEXT) | instid1(VALU_DEP_1)
	v_xor_b32_e32 v8, v11, v8
	v_cmp_ne_u16_e32 vcc_lo, 0x7fff, v8
	v_cndmask_b32_e32 v11, 0xffff8000, v8, vcc_lo
	s_delay_alu instid0(VALU_DEP_1) | instskip(NEXT) | instid1(VALU_DEP_1)
	v_and_b32_e32 v11, 0xffff, v11
	v_lshrrev_b32_e32 v11, s20, v11
	s_delay_alu instid0(VALU_DEP_1) | instskip(SKIP_2) | instid1(VALU_DEP_2)
	v_bitop3_b32 v13, v11, 1, s8 bitop3:0x40
	v_bitop3_b32 v18, v11, s8, v11 bitop3:0x30
	s_not_b32 s8, s8
	v_add_co_u32 v11, s0, v13, -1
	s_delay_alu instid0(VALU_DEP_1) | instskip(NEXT) | instid1(VALU_DEP_3)
	v_cndmask_b32_e64 v13, 0, 1, s0
	v_dual_lshlrev_b32 v17, 30, v18 :: v_dual_lshlrev_b32 v19, 29, v18
	v_dual_lshlrev_b32 v21, 28, v18 :: v_dual_lshlrev_b32 v22, 27, v18
	s_delay_alu instid0(VALU_DEP_3) | instskip(NEXT) | instid1(VALU_DEP_3)
	v_cmp_ne_u32_e32 vcc_lo, 0, v13
	v_not_b32_e32 v13, v17
	v_dual_lshlrev_b32 v23, 26, v18 :: v_dual_lshlrev_b32 v25, 25, v18
	v_lshlrev_b32_e32 v26, 24, v18
	v_cmp_gt_i32_e64 s0, 0, v17
	v_cmp_gt_i32_e64 s1, 0, v19
	v_not_b32_e32 v17, v19
	v_not_b32_e32 v19, v21
	v_ashrrev_i32_e32 v13, 31, v13
	v_cmp_gt_i32_e64 s2, 0, v21
	v_cmp_gt_i32_e64 s3, 0, v22
	v_not_b32_e32 v21, v22
	v_not_b32_e32 v22, v23
	v_dual_ashrrev_i32 v17, 31, v17 :: v_dual_bitop2_b32 v11, vcc_lo, v11 bitop3:0x14
	v_dual_ashrrev_i32 v19, 31, v19 :: v_dual_bitop2_b32 v13, s0, v13 bitop3:0x14
	v_cmp_gt_i32_e64 s4, 0, v23
	v_cmp_gt_i32_e64 s5, 0, v25
	v_not_b32_e32 v23, v25
	v_not_b32_e32 v25, v26
	v_dual_ashrrev_i32 v21, 31, v21 :: v_dual_ashrrev_i32 v22, 31, v22
	v_xor_b32_e32 v17, s1, v17
	v_xor_b32_e32 v19, s2, v19
	v_bitop3_b32 v11, v11, v13, exec_lo bitop3:0x80
	v_cmp_gt_i32_e64 s6, 0, v26
	v_dual_ashrrev_i32 v13, 31, v23 :: v_dual_ashrrev_i32 v23, 31, v25
	v_xor_b32_e32 v21, s3, v21
	v_xor_b32_e32 v22, s4, v22
	v_bitop3_b32 v11, v11, v19, v17 bitop3:0x80
	s_delay_alu instid0(VALU_DEP_4) | instskip(SKIP_1) | instid1(VALU_DEP_3)
	v_xor_b32_e32 v13, s5, v13
	v_xor_b32_e32 v17, s6, v23
	v_bitop3_b32 v19, v11, v22, v21 bitop3:0x80
	v_mul_u32_u24_e32 v11, 36, v12
	ds_store_2addr_b32 v11, v9, v9 offset0:16 offset1:17
	ds_store_2addr_b32 v11, v9, v9 offset0:18 offset1:19
	;; [unrolled: 1-line block ×4, first 2 shown]
	v_bitop3_b32 v17, v19, v17, v13 bitop3:0x80
	ds_store_b32 v11, v9 offset:96
	v_mad_u32_u24 v13, 0x44, v18, v0
	s_wait_storecnt 0x0
	s_wait_loadcnt_dscnt 0x0
	s_barrier_signal -1
	v_mbcnt_lo_u32_b32 v9, v17, 0
	v_cmp_ne_u32_e64 s0, 0, v17
	s_barrier_wait -1
	s_delay_alu instid0(VALU_DEP_2) | instskip(SKIP_1) | instid1(SALU_CYCLE_1)
	v_cmp_eq_u32_e32 vcc_lo, 0, v9
	; wave barrier
	s_and_b32 s1, s0, vcc_lo
	s_and_saveexec_b32 s0, s1
; %bb.98:
	v_bcnt_u32_b32 v17, v17, 0
	ds_store_b32 v13, v17 offset:64
; %bb.99:
	s_or_b32 exec_lo, exec_lo, s0
	v_cmp_lt_i16_e32 vcc_lo, -1, v10
	; wave barrier
	v_cndmask_b32_e64 v17, -1, 0xffff8000, vcc_lo
	s_delay_alu instid0(VALU_DEP_1) | instskip(NEXT) | instid1(VALU_DEP_1)
	v_xor_b32_e32 v10, v17, v10
	v_cmp_ne_u16_e32 vcc_lo, 0x7fff, v10
	v_cndmask_b32_e32 v17, 0xffff8000, v10, vcc_lo
	s_delay_alu instid0(VALU_DEP_1) | instskip(NEXT) | instid1(VALU_DEP_1)
	v_and_b32_e32 v17, 0xffff, v17
	v_lshrrev_b32_e32 v17, s20, v17
	s_delay_alu instid0(VALU_DEP_1) | instskip(SKIP_1) | instid1(VALU_DEP_2)
	v_bitop3_b32 v18, v17, 1, s8 bitop3:0x80
	v_and_b32_e32 v17, s8, v17
	v_add_co_u32 v18, s0, v18, -1
	s_delay_alu instid0(VALU_DEP_1) | instskip(NEXT) | instid1(VALU_DEP_3)
	v_cndmask_b32_e64 v19, 0, 1, s0
	v_lshlrev_b32_e32 v21, 30, v17
	s_delay_alu instid0(VALU_DEP_2) | instskip(NEXT) | instid1(VALU_DEP_2)
	v_cmp_ne_u32_e32 vcc_lo, 0, v19
	v_not_b32_e32 v19, v21
	s_delay_alu instid0(VALU_DEP_1) | instskip(SKIP_4) | instid1(VALU_DEP_4)
	v_dual_ashrrev_i32 v19, 31, v19 :: v_dual_bitop2_b32 v18, vcc_lo, v18 bitop3:0x14
	v_dual_lshlrev_b32 v22, 29, v17 :: v_dual_lshlrev_b32 v23, 28, v17
	v_dual_lshlrev_b32 v25, 27, v17 :: v_dual_lshlrev_b32 v26, 26, v17
	v_lshlrev_b32_e32 v27, 25, v17
	v_cmp_gt_i32_e64 s0, 0, v21
	v_cmp_gt_i32_e64 s1, 0, v22
	v_not_b32_e32 v21, v22
	v_not_b32_e32 v22, v23
	v_lshlrev_b32_e32 v28, 24, v17
	v_cmp_gt_i32_e64 s2, 0, v23
	v_cmp_gt_i32_e64 s3, 0, v25
	v_not_b32_e32 v23, v25
	v_not_b32_e32 v25, v26
	v_dual_ashrrev_i32 v21, 31, v21 :: v_dual_ashrrev_i32 v22, 31, v22
	v_xor_b32_e32 v19, s0, v19
	v_cmp_gt_i32_e64 s4, 0, v26
	v_cmp_gt_i32_e64 s5, 0, v27
	v_not_b32_e32 v26, v27
	v_not_b32_e32 v27, v28
	v_dual_ashrrev_i32 v23, 31, v23 :: v_dual_bitop2_b32 v21, s1, v21 bitop3:0x14
	v_dual_ashrrev_i32 v25, 31, v25 :: v_dual_bitop2_b32 v22, s2, v22 bitop3:0x14
	s_delay_alu instid0(VALU_DEP_3) | instskip(SKIP_4) | instid1(VALU_DEP_4)
	v_ashrrev_i32_e32 v27, 31, v27
	v_bitop3_b32 v18, v18, v19, exec_lo bitop3:0x80
	v_cmp_gt_i32_e64 s6, 0, v28
	v_dual_ashrrev_i32 v26, 31, v26 :: v_dual_bitop2_b32 v23, s3, v23 bitop3:0x14
	v_xor_b32_e32 v25, s4, v25
	v_bitop3_b32 v18, v18, v22, v21 bitop3:0x80
	v_mad_u32_u24 v19, 0x44, v17, v0
	s_delay_alu instid0(VALU_DEP_4) | instskip(SKIP_1) | instid1(VALU_DEP_4)
	v_xor_b32_e32 v21, s5, v26
	v_xor_b32_e32 v22, s6, v27
	v_bitop3_b32 v18, v18, v25, v23 bitop3:0x80
	ds_load_b32 v17, v19 offset:64
	; wave barrier
	v_bitop3_b32 v21, v18, v22, v21 bitop3:0x80
	s_delay_alu instid0(VALU_DEP_1) | instskip(SKIP_1) | instid1(VALU_DEP_2)
	v_mbcnt_lo_u32_b32 v18, v21, 0
	v_cmp_ne_u32_e64 s0, 0, v21
	v_cmp_eq_u32_e32 vcc_lo, 0, v18
	s_and_b32 s1, s0, vcc_lo
	s_delay_alu instid0(SALU_CYCLE_1)
	s_and_saveexec_b32 s0, s1
	s_cbranch_execz .LBB2277_101
; %bb.100:
	s_wait_dscnt 0x0
	v_bcnt_u32_b32 v21, v21, v17
	ds_store_b32 v19, v21 offset:64
.LBB2277_101:
	s_or_b32 exec_lo, exec_lo, s0
	v_cmp_lt_i16_e32 vcc_lo, -1, v16
	; wave barrier
	v_cndmask_b32_e64 v21, -1, 0xffff8000, vcc_lo
	s_delay_alu instid0(VALU_DEP_1) | instskip(NEXT) | instid1(VALU_DEP_1)
	v_xor_b32_e32 v16, v21, v16
	v_cmp_ne_u16_e32 vcc_lo, 0x7fff, v16
	v_cndmask_b32_e32 v21, 0xffff8000, v16, vcc_lo
	s_delay_alu instid0(VALU_DEP_1) | instskip(NEXT) | instid1(VALU_DEP_1)
	v_and_b32_e32 v21, 0xffff, v21
	v_lshrrev_b32_e32 v21, s20, v21
	s_delay_alu instid0(VALU_DEP_1) | instskip(SKIP_1) | instid1(VALU_DEP_2)
	v_bitop3_b32 v22, v21, 1, s8 bitop3:0x80
	v_and_b32_e32 v21, s8, v21
	v_add_co_u32 v22, s0, v22, -1
	s_delay_alu instid0(VALU_DEP_1) | instskip(NEXT) | instid1(VALU_DEP_3)
	v_cndmask_b32_e64 v23, 0, 1, s0
	v_lshlrev_b32_e32 v25, 30, v21
	s_delay_alu instid0(VALU_DEP_2) | instskip(NEXT) | instid1(VALU_DEP_2)
	v_cmp_ne_u32_e32 vcc_lo, 0, v23
	v_not_b32_e32 v23, v25
	s_delay_alu instid0(VALU_DEP_1) | instskip(SKIP_4) | instid1(VALU_DEP_4)
	v_dual_ashrrev_i32 v23, 31, v23 :: v_dual_bitop2_b32 v22, vcc_lo, v22 bitop3:0x14
	v_dual_lshlrev_b32 v26, 29, v21 :: v_dual_lshlrev_b32 v27, 28, v21
	v_dual_lshlrev_b32 v28, 27, v21 :: v_dual_lshlrev_b32 v29, 26, v21
	v_lshlrev_b32_e32 v30, 25, v21
	v_cmp_gt_i32_e64 s0, 0, v25
	v_cmp_gt_i32_e64 s1, 0, v26
	v_not_b32_e32 v25, v26
	v_not_b32_e32 v26, v27
	v_lshlrev_b32_e32 v31, 24, v21
	v_cmp_gt_i32_e64 s2, 0, v27
	v_cmp_gt_i32_e64 s3, 0, v28
	v_not_b32_e32 v27, v28
	v_not_b32_e32 v28, v29
	v_dual_ashrrev_i32 v25, 31, v25 :: v_dual_bitop2_b32 v23, s0, v23 bitop3:0x14
	v_ashrrev_i32_e32 v26, 31, v26
	v_cmp_gt_i32_e64 s4, 0, v29
	v_cmp_gt_i32_e64 s5, 0, v30
	v_not_b32_e32 v29, v30
	v_not_b32_e32 v30, v31
	v_dual_ashrrev_i32 v27, 31, v27 :: v_dual_ashrrev_i32 v28, 31, v28
	v_xor_b32_e32 v25, s1, v25
	s_delay_alu instid0(VALU_DEP_4) | instskip(SKIP_4) | instid1(VALU_DEP_4)
	v_dual_ashrrev_i32 v29, 31, v29 :: v_dual_bitop2_b32 v26, s2, v26 bitop3:0x14
	v_bitop3_b32 v22, v22, v23, exec_lo bitop3:0x80
	v_cmp_gt_i32_e64 s6, 0, v31
	v_dual_ashrrev_i32 v30, 31, v30 :: v_dual_bitop2_b32 v27, s3, v27 bitop3:0x14
	v_xor_b32_e32 v28, s4, v28
	v_bitop3_b32 v22, v22, v26, v25 bitop3:0x80
	v_mad_u32_u24 v23, 0x44, v21, v0
	v_xor_b32_e32 v25, s5, v29
	v_xor_b32_e32 v26, s6, v30
	s_delay_alu instid0(VALU_DEP_4) | instskip(SKIP_2) | instid1(VALU_DEP_1)
	v_bitop3_b32 v22, v22, v28, v27 bitop3:0x80
	ds_load_b32 v21, v23 offset:64
	; wave barrier
	v_bitop3_b32 v25, v22, v26, v25 bitop3:0x80
	v_mbcnt_lo_u32_b32 v22, v25, 0
	v_cmp_ne_u32_e64 s0, 0, v25
	s_delay_alu instid0(VALU_DEP_2) | instskip(SKIP_1) | instid1(SALU_CYCLE_1)
	v_cmp_eq_u32_e32 vcc_lo, 0, v22
	s_and_b32 s1, s0, vcc_lo
	s_and_saveexec_b32 s0, s1
	s_cbranch_execz .LBB2277_103
; %bb.102:
	s_wait_dscnt 0x0
	v_bcnt_u32_b32 v25, v25, v21
	ds_store_b32 v23, v25 offset:64
.LBB2277_103:
	s_or_b32 exec_lo, exec_lo, s0
	v_cmp_lt_i16_e32 vcc_lo, -1, v20
	; wave barrier
	v_cndmask_b32_e64 v25, -1, 0xffff8000, vcc_lo
	s_delay_alu instid0(VALU_DEP_1) | instskip(NEXT) | instid1(VALU_DEP_1)
	v_xor_b32_e32 v20, v25, v20
	v_cmp_ne_u16_e32 vcc_lo, 0x7fff, v20
	v_cndmask_b32_e32 v25, 0xffff8000, v20, vcc_lo
	s_delay_alu instid0(VALU_DEP_1) | instskip(NEXT) | instid1(VALU_DEP_1)
	v_and_b32_e32 v25, 0xffff, v25
	v_lshrrev_b32_e32 v25, s20, v25
	s_delay_alu instid0(VALU_DEP_1) | instskip(SKIP_1) | instid1(VALU_DEP_2)
	v_bitop3_b32 v26, v25, 1, s8 bitop3:0x80
	v_and_b32_e32 v25, s8, v25
	v_add_co_u32 v26, s0, v26, -1
	s_delay_alu instid0(VALU_DEP_1) | instskip(NEXT) | instid1(VALU_DEP_3)
	v_cndmask_b32_e64 v27, 0, 1, s0
	v_lshlrev_b32_e32 v28, 30, v25
	s_delay_alu instid0(VALU_DEP_2) | instskip(NEXT) | instid1(VALU_DEP_2)
	v_cmp_ne_u32_e32 vcc_lo, 0, v27
	v_not_b32_e32 v27, v28
	s_delay_alu instid0(VALU_DEP_1) | instskip(SKIP_4) | instid1(VALU_DEP_4)
	v_dual_ashrrev_i32 v27, 31, v27 :: v_dual_bitop2_b32 v26, vcc_lo, v26 bitop3:0x14
	v_dual_lshlrev_b32 v29, 29, v25 :: v_dual_lshlrev_b32 v30, 28, v25
	v_dual_lshlrev_b32 v31, 27, v25 :: v_dual_lshlrev_b32 v32, 26, v25
	v_lshlrev_b32_e32 v33, 25, v25
	v_cmp_gt_i32_e64 s0, 0, v28
	v_cmp_gt_i32_e64 s1, 0, v29
	v_not_b32_e32 v28, v29
	v_not_b32_e32 v29, v30
	v_lshlrev_b32_e32 v34, 24, v25
	v_cmp_gt_i32_e64 s2, 0, v30
	v_cmp_gt_i32_e64 s3, 0, v31
	v_not_b32_e32 v30, v31
	v_cmp_gt_i32_e64 s4, 0, v32
	v_not_b32_e32 v31, v32
	v_not_b32_e32 v32, v33
	v_dual_ashrrev_i32 v28, 31, v28 :: v_dual_ashrrev_i32 v29, 31, v29
	v_xor_b32_e32 v27, s0, v27
	v_cmp_gt_i32_e64 s5, 0, v33
	v_not_b32_e32 v33, v34
	v_dual_ashrrev_i32 v30, 31, v30 :: v_dual_ashrrev_i32 v31, 31, v31
	v_xor_b32_e32 v28, s1, v28
	v_dual_ashrrev_i32 v32, 31, v32 :: v_dual_bitop2_b32 v29, s2, v29 bitop3:0x14
	v_bitop3_b32 v26, v26, v27, exec_lo bitop3:0x80
	v_cmp_gt_i32_e64 s6, 0, v34
	v_dual_ashrrev_i32 v33, 31, v33 :: v_dual_bitop2_b32 v30, s3, v30 bitop3:0x14
	v_xor_b32_e32 v31, s4, v31
	s_delay_alu instid0(VALU_DEP_4) | instskip(SKIP_3) | instid1(VALU_DEP_4)
	v_bitop3_b32 v26, v26, v29, v28 bitop3:0x80
	v_mad_u32_u24 v27, 0x44, v25, v0
	v_xor_b32_e32 v28, s5, v32
	v_xor_b32_e32 v29, s6, v33
	v_bitop3_b32 v26, v26, v31, v30 bitop3:0x80
	ds_load_b32 v25, v27 offset:64
	; wave barrier
	v_bitop3_b32 v28, v26, v29, v28 bitop3:0x80
	s_delay_alu instid0(VALU_DEP_1) | instskip(SKIP_1) | instid1(VALU_DEP_2)
	v_mbcnt_lo_u32_b32 v26, v28, 0
	v_cmp_ne_u32_e64 s0, 0, v28
	v_cmp_eq_u32_e32 vcc_lo, 0, v26
	s_and_b32 s1, s0, vcc_lo
	s_delay_alu instid0(SALU_CYCLE_1)
	s_and_saveexec_b32 s0, s1
	s_cbranch_execz .LBB2277_105
; %bb.104:
	s_wait_dscnt 0x0
	v_bcnt_u32_b32 v28, v28, v25
	ds_store_b32 v27, v28 offset:64
.LBB2277_105:
	s_or_b32 exec_lo, exec_lo, s0
	v_cmp_lt_i16_e32 vcc_lo, -1, v24
	; wave barrier
	v_cndmask_b32_e64 v28, -1, 0xffff8000, vcc_lo
	s_delay_alu instid0(VALU_DEP_1) | instskip(NEXT) | instid1(VALU_DEP_1)
	v_xor_b32_e32 v24, v28, v24
	v_cmp_ne_u16_e32 vcc_lo, 0x7fff, v24
	v_cndmask_b32_e32 v28, 0xffff8000, v24, vcc_lo
	s_delay_alu instid0(VALU_DEP_1) | instskip(NEXT) | instid1(VALU_DEP_1)
	v_and_b32_e32 v28, 0xffff, v28
	v_lshrrev_b32_e32 v28, s20, v28
	s_delay_alu instid0(VALU_DEP_1) | instskip(NEXT) | instid1(VALU_DEP_1)
	v_bitop3_b32 v29, v28, 1, s8 bitop3:0x80
	v_add_co_u32 v29, s0, v29, -1
	s_delay_alu instid0(VALU_DEP_1) | instskip(NEXT) | instid1(VALU_DEP_1)
	v_cndmask_b32_e64 v30, 0, 1, s0
	v_cmp_ne_u32_e32 vcc_lo, 0, v30
	s_delay_alu instid0(VALU_DEP_3) | instskip(SKIP_1) | instid1(VALU_DEP_1)
	v_xor_b32_e32 v29, vcc_lo, v29
	v_and_b32_e32 v28, s8, v28
	v_dual_lshlrev_b32 v31, 30, v28 :: v_dual_lshlrev_b32 v32, 29, v28
	v_dual_lshlrev_b32 v33, 28, v28 :: v_dual_lshlrev_b32 v34, 27, v28
	s_delay_alu instid0(VALU_DEP_2) | instskip(SKIP_1) | instid1(VALU_DEP_4)
	v_cmp_gt_i32_e64 s0, 0, v31
	v_not_b32_e32 v30, v31
	v_cmp_gt_i32_e64 s1, 0, v32
	v_not_b32_e32 v31, v32
	v_cmp_gt_i32_e64 s2, 0, v33
	v_not_b32_e32 v32, v33
	v_not_b32_e32 v33, v34
	v_ashrrev_i32_e32 v30, 31, v30
	v_cmp_gt_i32_e64 s3, 0, v34
	s_delay_alu instid0(VALU_DEP_3) | instskip(SKIP_1) | instid1(VALU_DEP_4)
	v_dual_ashrrev_i32 v31, 31, v31 :: v_dual_ashrrev_i32 v33, 31, v33
	v_dual_lshlrev_b32 v35, 26, v28 :: v_dual_lshlrev_b32 v36, 25, v28
	v_dual_lshlrev_b32 v37, 24, v28 :: v_dual_bitop2_b32 v30, s0, v30 bitop3:0x14
	s_delay_alu instid0(VALU_DEP_3) | instskip(NEXT) | instid1(VALU_DEP_3)
	v_xor_b32_e32 v33, s3, v33
	v_not_b32_e32 v34, v35
	v_ashrrev_i32_e32 v32, 31, v32
	v_cmp_gt_i32_e64 s4, 0, v35
	v_cmp_gt_i32_e64 s5, 0, v36
	v_not_b32_e32 v35, v36
	v_not_b32_e32 v36, v37
	v_dual_ashrrev_i32 v34, 31, v34 :: v_dual_bitop2_b32 v31, s1, v31 bitop3:0x14
	v_xor_b32_e32 v32, s2, v32
	v_bitop3_b32 v29, v29, v30, exec_lo bitop3:0x80
	v_cmp_gt_i32_e64 s6, 0, v37
	v_dual_ashrrev_i32 v30, 31, v35 :: v_dual_ashrrev_i32 v35, 31, v36
	v_xor_b32_e32 v34, s4, v34
	s_delay_alu instid0(VALU_DEP_4) | instskip(SKIP_1) | instid1(VALU_DEP_4)
	v_bitop3_b32 v29, v29, v32, v31 bitop3:0x80
	v_mad_u32_u24 v31, 0x44, v28, v0
	v_xor_b32_e32 v30, s5, v30
	v_xor_b32_e32 v32, s6, v35
	s_delay_alu instid0(VALU_DEP_4) | instskip(SKIP_2) | instid1(VALU_DEP_1)
	v_bitop3_b32 v29, v29, v34, v33 bitop3:0x80
	ds_load_b32 v28, v31 offset:64
	; wave barrier
	v_bitop3_b32 v29, v29, v32, v30 bitop3:0x80
	v_mbcnt_lo_u32_b32 v30, v29, 0
	v_cmp_ne_u32_e64 s0, 0, v29
	s_delay_alu instid0(VALU_DEP_2) | instskip(SKIP_1) | instid1(SALU_CYCLE_1)
	v_cmp_eq_u32_e32 vcc_lo, 0, v30
	s_and_b32 s1, s0, vcc_lo
	s_and_saveexec_b32 s0, s1
	s_cbranch_execz .LBB2277_107
; %bb.106:
	s_wait_dscnt 0x0
	v_bcnt_u32_b32 v29, v29, v28
	ds_store_b32 v31, v29 offset:64
.LBB2277_107:
	s_or_b32 exec_lo, exec_lo, s0
	v_cmp_lt_i16_e32 vcc_lo, -1, v7
	; wave barrier
	v_cndmask_b32_e64 v29, -1, 0xffff8000, vcc_lo
	s_delay_alu instid0(VALU_DEP_1) | instskip(NEXT) | instid1(VALU_DEP_1)
	v_xor_b32_e32 v29, v29, v7
	v_cmp_ne_u16_e32 vcc_lo, 0x7fff, v29
	v_cndmask_b32_e32 v7, 0xffff8000, v29, vcc_lo
	s_delay_alu instid0(VALU_DEP_1) | instskip(NEXT) | instid1(VALU_DEP_1)
	v_and_b32_e32 v7, 0xffff, v7
	v_lshrrev_b32_e32 v7, s20, v7
	s_delay_alu instid0(VALU_DEP_1) | instskip(SKIP_1) | instid1(VALU_DEP_2)
	v_bitop3_b32 v32, v7, 1, s8 bitop3:0x80
	v_and_b32_e32 v7, s8, v7
	v_add_co_u32 v32, s0, v32, -1
	s_delay_alu instid0(VALU_DEP_1) | instskip(NEXT) | instid1(VALU_DEP_3)
	v_cndmask_b32_e64 v33, 0, 1, s0
	v_lshlrev_b32_e32 v34, 30, v7
	s_delay_alu instid0(VALU_DEP_2) | instskip(NEXT) | instid1(VALU_DEP_2)
	v_cmp_ne_u32_e32 vcc_lo, 0, v33
	v_not_b32_e32 v33, v34
	s_delay_alu instid0(VALU_DEP_1) | instskip(SKIP_4) | instid1(VALU_DEP_4)
	v_dual_ashrrev_i32 v33, 31, v33 :: v_dual_bitop2_b32 v32, vcc_lo, v32 bitop3:0x14
	v_dual_lshlrev_b32 v35, 29, v7 :: v_dual_lshlrev_b32 v36, 28, v7
	v_dual_lshlrev_b32 v37, 27, v7 :: v_dual_lshlrev_b32 v38, 26, v7
	v_lshlrev_b32_e32 v39, 25, v7
	v_cmp_gt_i32_e64 s0, 0, v34
	v_cmp_gt_i32_e64 s1, 0, v35
	v_not_b32_e32 v34, v35
	v_not_b32_e32 v35, v36
	v_lshlrev_b32_e32 v40, 24, v7
	v_cmp_gt_i32_e64 s2, 0, v36
	v_cmp_gt_i32_e64 s3, 0, v37
	v_not_b32_e32 v36, v37
	v_not_b32_e32 v37, v38
	v_dual_ashrrev_i32 v34, 31, v34 :: v_dual_ashrrev_i32 v35, 31, v35
	v_xor_b32_e32 v33, s0, v33
	v_cmp_gt_i32_e64 s4, 0, v38
	v_cmp_gt_i32_e64 s5, 0, v39
	v_not_b32_e32 v38, v39
	v_not_b32_e32 v39, v40
	v_dual_ashrrev_i32 v36, 31, v36 :: v_dual_ashrrev_i32 v37, 31, v37
	v_xor_b32_e32 v34, s1, v34
	v_xor_b32_e32 v35, s2, v35
	v_bitop3_b32 v32, v32, v33, exec_lo bitop3:0x80
	v_cmp_gt_i32_e64 s6, 0, v40
	v_dual_ashrrev_i32 v33, 31, v38 :: v_dual_ashrrev_i32 v38, 31, v39
	v_xor_b32_e32 v36, s3, v36
	v_xor_b32_e32 v37, s4, v37
	v_bitop3_b32 v32, v32, v35, v34 bitop3:0x80
	v_mad_u32_u24 v35, 0x44, v7, v0
	v_xor_b32_e32 v7, s5, v33
	v_xor_b32_e32 v33, s6, v38
	s_delay_alu instid0(VALU_DEP_4) | instskip(SKIP_2) | instid1(VALU_DEP_1)
	v_bitop3_b32 v34, v32, v37, v36 bitop3:0x80
	ds_load_b32 v32, v35 offset:64
	; wave barrier
	v_bitop3_b32 v7, v34, v33, v7 bitop3:0x80
	v_mbcnt_lo_u32_b32 v33, v7, 0
	v_cmp_ne_u32_e64 s0, 0, v7
	s_delay_alu instid0(VALU_DEP_2) | instskip(SKIP_1) | instid1(SALU_CYCLE_1)
	v_cmp_eq_u32_e32 vcc_lo, 0, v33
	s_and_b32 s1, s0, vcc_lo
	s_and_saveexec_b32 s0, s1
	s_cbranch_execz .LBB2277_109
; %bb.108:
	s_wait_dscnt 0x0
	v_bcnt_u32_b32 v7, v7, v32
	ds_store_b32 v35, v7 offset:64
.LBB2277_109:
	s_or_b32 exec_lo, exec_lo, s0
	v_cmp_lt_i16_e32 vcc_lo, -1, v6
	; wave barrier
	v_cndmask_b32_e64 v7, -1, 0xffff8000, vcc_lo
	s_delay_alu instid0(VALU_DEP_1) | instskip(NEXT) | instid1(VALU_DEP_1)
	v_xor_b32_e32 v34, v7, v6
	v_cmp_ne_u16_e32 vcc_lo, 0x7fff, v34
	v_cndmask_b32_e32 v6, 0xffff8000, v34, vcc_lo
	s_delay_alu instid0(VALU_DEP_1) | instskip(NEXT) | instid1(VALU_DEP_1)
	v_and_b32_e32 v6, 0xffff, v6
	v_lshrrev_b32_e32 v6, s20, v6
	s_delay_alu instid0(VALU_DEP_1) | instskip(SKIP_1) | instid1(VALU_DEP_2)
	v_bitop3_b32 v7, v6, 1, s8 bitop3:0x80
	v_and_b32_e32 v6, s8, v6
	v_add_co_u32 v7, s0, v7, -1
	s_delay_alu instid0(VALU_DEP_1) | instskip(NEXT) | instid1(VALU_DEP_3)
	v_cndmask_b32_e64 v36, 0, 1, s0
	v_lshlrev_b32_e32 v37, 30, v6
	s_delay_alu instid0(VALU_DEP_2) | instskip(NEXT) | instid1(VALU_DEP_2)
	v_cmp_ne_u32_e32 vcc_lo, 0, v36
	v_not_b32_e32 v36, v37
	s_delay_alu instid0(VALU_DEP_1) | instskip(SKIP_4) | instid1(VALU_DEP_4)
	v_dual_ashrrev_i32 v36, 31, v36 :: v_dual_bitop2_b32 v7, vcc_lo, v7 bitop3:0x14
	v_dual_lshlrev_b32 v38, 29, v6 :: v_dual_lshlrev_b32 v39, 28, v6
	v_dual_lshlrev_b32 v40, 27, v6 :: v_dual_lshlrev_b32 v41, 26, v6
	v_lshlrev_b32_e32 v42, 25, v6
	v_cmp_gt_i32_e64 s0, 0, v37
	v_cmp_gt_i32_e64 s1, 0, v38
	v_not_b32_e32 v37, v38
	v_not_b32_e32 v38, v39
	v_lshlrev_b32_e32 v43, 24, v6
	v_cmp_gt_i32_e64 s2, 0, v39
	v_cmp_gt_i32_e64 s3, 0, v40
	v_not_b32_e32 v39, v40
	v_not_b32_e32 v40, v41
	v_dual_ashrrev_i32 v37, 31, v37 :: v_dual_ashrrev_i32 v38, 31, v38
	v_xor_b32_e32 v36, s0, v36
	v_cmp_gt_i32_e64 s4, 0, v41
	v_cmp_gt_i32_e64 s5, 0, v42
	v_not_b32_e32 v41, v42
	v_not_b32_e32 v42, v43
	v_dual_ashrrev_i32 v39, 31, v39 :: v_dual_ashrrev_i32 v40, 31, v40
	v_xor_b32_e32 v37, s1, v37
	v_xor_b32_e32 v38, s2, v38
	v_bitop3_b32 v7, v7, v36, exec_lo bitop3:0x80
	v_cmp_gt_i32_e64 s6, 0, v43
	v_dual_ashrrev_i32 v36, 31, v41 :: v_dual_ashrrev_i32 v41, 31, v42
	v_xor_b32_e32 v42, s3, v39
	v_xor_b32_e32 v40, s4, v40
	v_bitop3_b32 v7, v7, v38, v37 bitop3:0x80
	v_mad_u32_u24 v39, 0x44, v6, v0
	v_xor_b32_e32 v6, s5, v36
	v_xor_b32_e32 v36, s6, v41
	s_delay_alu instid0(VALU_DEP_4) | instskip(SKIP_2) | instid1(VALU_DEP_1)
	v_bitop3_b32 v7, v7, v40, v42 bitop3:0x80
	ds_load_b32 v37, v39 offset:64
	; wave barrier
	v_bitop3_b32 v6, v7, v36, v6 bitop3:0x80
	v_mbcnt_lo_u32_b32 v38, v6, 0
	v_cmp_ne_u32_e64 s0, 0, v6
	s_delay_alu instid0(VALU_DEP_2) | instskip(SKIP_1) | instid1(SALU_CYCLE_1)
	v_cmp_eq_u32_e32 vcc_lo, 0, v38
	s_and_b32 s1, s0, vcc_lo
	s_and_saveexec_b32 s0, s1
	s_cbranch_execz .LBB2277_111
; %bb.110:
	s_wait_dscnt 0x0
	v_bcnt_u32_b32 v6, v6, v37
	ds_store_b32 v39, v6 offset:64
.LBB2277_111:
	s_or_b32 exec_lo, exec_lo, s0
	v_cmp_lt_i16_e32 vcc_lo, -1, v5
	; wave barrier
	v_cndmask_b32_e64 v6, -1, 0xffff8000, vcc_lo
	s_delay_alu instid0(VALU_DEP_1) | instskip(NEXT) | instid1(VALU_DEP_1)
	v_xor_b32_e32 v36, v6, v5
	v_cmp_ne_u16_e32 vcc_lo, 0x7fff, v36
	v_cndmask_b32_e32 v5, 0xffff8000, v36, vcc_lo
	s_delay_alu instid0(VALU_DEP_1) | instskip(NEXT) | instid1(VALU_DEP_1)
	v_and_b32_e32 v5, 0xffff, v5
	v_lshrrev_b32_e32 v5, s20, v5
	s_delay_alu instid0(VALU_DEP_1) | instskip(SKIP_1) | instid1(VALU_DEP_2)
	v_bitop3_b32 v6, v5, 1, s8 bitop3:0x80
	v_and_b32_e32 v5, s8, v5
	v_add_co_u32 v6, s0, v6, -1
	s_delay_alu instid0(VALU_DEP_1) | instskip(NEXT) | instid1(VALU_DEP_3)
	v_cndmask_b32_e64 v7, 0, 1, s0
	v_lshlrev_b32_e32 v40, 30, v5
	s_delay_alu instid0(VALU_DEP_2) | instskip(NEXT) | instid1(VALU_DEP_2)
	v_cmp_ne_u32_e32 vcc_lo, 0, v7
	v_not_b32_e32 v7, v40
	s_delay_alu instid0(VALU_DEP_1) | instskip(SKIP_4) | instid1(VALU_DEP_4)
	v_dual_ashrrev_i32 v7, 31, v7 :: v_dual_bitop2_b32 v6, vcc_lo, v6 bitop3:0x14
	v_dual_lshlrev_b32 v41, 29, v5 :: v_dual_lshlrev_b32 v42, 28, v5
	v_dual_lshlrev_b32 v43, 27, v5 :: v_dual_lshlrev_b32 v44, 26, v5
	;; [unrolled: 1-line block ×3, first 2 shown]
	v_cmp_gt_i32_e64 s0, 0, v40
	v_cmp_gt_i32_e64 s1, 0, v41
	v_not_b32_e32 v40, v41
	v_not_b32_e32 v41, v42
	v_cmp_gt_i32_e64 s2, 0, v42
	v_cmp_gt_i32_e64 s3, 0, v43
	v_not_b32_e32 v42, v43
	v_cmp_gt_i32_e64 s4, 0, v44
	v_not_b32_e32 v43, v44
	;; [unrolled: 2-line block ×3, first 2 shown]
	v_not_b32_e32 v45, v46
	v_dual_ashrrev_i32 v40, 31, v40 :: v_dual_ashrrev_i32 v41, 31, v41
	v_dual_ashrrev_i32 v42, 31, v42 :: v_dual_bitop2_b32 v7, s0, v7 bitop3:0x14
	s_delay_alu instid0(VALU_DEP_2) | instskip(NEXT) | instid1(VALU_DEP_3)
	v_dual_ashrrev_i32 v43, 31, v43 :: v_dual_bitop2_b32 v40, s1, v40 bitop3:0x14
	v_xor_b32_e32 v41, s2, v41
	s_delay_alu instid0(VALU_DEP_3)
	v_bitop3_b32 v6, v6, v7, exec_lo bitop3:0x80
	v_cmp_gt_i32_e64 s6, 0, v46
	v_dual_ashrrev_i32 v7, 31, v44 :: v_dual_ashrrev_i32 v44, 31, v45
	v_xor_b32_e32 v42, s3, v42
	v_xor_b32_e32 v45, s4, v43
	v_bitop3_b32 v6, v6, v41, v40 bitop3:0x80
	v_mad_u32_u24 v43, 0x44, v5, v0
	v_xor_b32_e32 v5, s5, v7
	v_xor_b32_e32 v7, s6, v44
	s_delay_alu instid0(VALU_DEP_4) | instskip(SKIP_2) | instid1(VALU_DEP_1)
	v_bitop3_b32 v6, v6, v45, v42 bitop3:0x80
	ds_load_b32 v41, v43 offset:64
	; wave barrier
	v_bitop3_b32 v5, v6, v7, v5 bitop3:0x80
	v_mbcnt_lo_u32_b32 v42, v5, 0
	v_cmp_ne_u32_e64 s0, 0, v5
	s_delay_alu instid0(VALU_DEP_2) | instskip(SKIP_1) | instid1(SALU_CYCLE_1)
	v_cmp_eq_u32_e32 vcc_lo, 0, v42
	s_and_b32 s1, s0, vcc_lo
	s_and_saveexec_b32 s0, s1
	s_cbranch_execz .LBB2277_113
; %bb.112:
	s_wait_dscnt 0x0
	v_bcnt_u32_b32 v5, v5, v41
	ds_store_b32 v43, v5 offset:64
.LBB2277_113:
	s_or_b32 exec_lo, exec_lo, s0
	v_cmp_lt_i16_e32 vcc_lo, -1, v4
	; wave barrier
	v_cndmask_b32_e64 v5, -1, 0xffff8000, vcc_lo
	s_delay_alu instid0(VALU_DEP_1) | instskip(NEXT) | instid1(VALU_DEP_1)
	v_xor_b32_e32 v40, v5, v4
	v_cmp_ne_u16_e32 vcc_lo, 0x7fff, v40
	v_cndmask_b32_e32 v4, 0xffff8000, v40, vcc_lo
	s_delay_alu instid0(VALU_DEP_1) | instskip(NEXT) | instid1(VALU_DEP_1)
	v_and_b32_e32 v4, 0xffff, v4
	v_lshrrev_b32_e32 v4, s20, v4
	s_delay_alu instid0(VALU_DEP_1) | instskip(SKIP_1) | instid1(VALU_DEP_2)
	v_bitop3_b32 v5, v4, 1, s8 bitop3:0x80
	v_and_b32_e32 v4, s8, v4
	v_add_co_u32 v5, s0, v5, -1
	s_delay_alu instid0(VALU_DEP_1) | instskip(NEXT) | instid1(VALU_DEP_3)
	v_cndmask_b32_e64 v6, 0, 1, s0
	v_lshlrev_b32_e32 v7, 30, v4
	s_delay_alu instid0(VALU_DEP_2) | instskip(NEXT) | instid1(VALU_DEP_2)
	v_cmp_ne_u32_e32 vcc_lo, 0, v6
	v_not_b32_e32 v6, v7
	s_delay_alu instid0(VALU_DEP_1) | instskip(SKIP_4) | instid1(VALU_DEP_4)
	v_dual_ashrrev_i32 v6, 31, v6 :: v_dual_bitop2_b32 v5, vcc_lo, v5 bitop3:0x14
	v_dual_lshlrev_b32 v44, 29, v4 :: v_dual_lshlrev_b32 v45, 28, v4
	v_dual_lshlrev_b32 v46, 27, v4 :: v_dual_lshlrev_b32 v47, 26, v4
	v_lshlrev_b32_e32 v48, 25, v4
	v_cmp_gt_i32_e64 s0, 0, v7
	v_cmp_gt_i32_e64 s1, 0, v44
	v_not_b32_e32 v7, v44
	v_not_b32_e32 v44, v45
	v_lshlrev_b32_e32 v49, 24, v4
	v_cmp_gt_i32_e64 s2, 0, v45
	v_cmp_gt_i32_e64 s3, 0, v46
	v_not_b32_e32 v45, v46
	v_not_b32_e32 v46, v47
	v_dual_ashrrev_i32 v7, 31, v7 :: v_dual_ashrrev_i32 v44, 31, v44
	v_xor_b32_e32 v6, s0, v6
	v_cmp_gt_i32_e64 s4, 0, v47
	v_cmp_gt_i32_e64 s5, 0, v48
	v_not_b32_e32 v47, v48
	v_not_b32_e32 v48, v49
	v_dual_ashrrev_i32 v45, 31, v45 :: v_dual_ashrrev_i32 v46, 31, v46
	v_xor_b32_e32 v7, s1, v7
	v_xor_b32_e32 v44, s2, v44
	v_bitop3_b32 v5, v5, v6, exec_lo bitop3:0x80
	v_cmp_gt_i32_e64 s6, 0, v49
	v_dual_ashrrev_i32 v6, 31, v47 :: v_dual_ashrrev_i32 v48, 31, v48
	v_xor_b32_e32 v45, s3, v45
	v_xor_b32_e32 v46, s4, v46
	v_bitop3_b32 v5, v5, v44, v7 bitop3:0x80
	v_mad_u32_u24 v47, 0x44, v4, v0
	v_xor_b32_e32 v4, s5, v6
	v_xor_b32_e32 v6, s6, v48
	s_delay_alu instid0(VALU_DEP_4) | instskip(SKIP_2) | instid1(VALU_DEP_1)
	v_bitop3_b32 v5, v5, v46, v45 bitop3:0x80
	ds_load_b32 v45, v47 offset:64
	; wave barrier
	v_bitop3_b32 v4, v5, v6, v4 bitop3:0x80
	v_mbcnt_lo_u32_b32 v46, v4, 0
	v_cmp_ne_u32_e64 s0, 0, v4
	s_delay_alu instid0(VALU_DEP_2) | instskip(SKIP_1) | instid1(SALU_CYCLE_1)
	v_cmp_eq_u32_e32 vcc_lo, 0, v46
	s_and_b32 s1, s0, vcc_lo
	s_and_saveexec_b32 s0, s1
	s_cbranch_execz .LBB2277_115
; %bb.114:
	s_wait_dscnt 0x0
	v_bcnt_u32_b32 v4, v4, v45
	ds_store_b32 v47, v4 offset:64
.LBB2277_115:
	s_or_b32 exec_lo, exec_lo, s0
	v_cmp_lt_i16_e32 vcc_lo, -1, v3
	; wave barrier
	v_cndmask_b32_e64 v4, -1, 0xffff8000, vcc_lo
	s_delay_alu instid0(VALU_DEP_1) | instskip(NEXT) | instid1(VALU_DEP_1)
	v_xor_b32_e32 v44, v4, v3
	v_cmp_ne_u16_e32 vcc_lo, 0x7fff, v44
	v_cndmask_b32_e32 v3, 0xffff8000, v44, vcc_lo
	s_delay_alu instid0(VALU_DEP_1) | instskip(NEXT) | instid1(VALU_DEP_1)
	v_and_b32_e32 v3, 0xffff, v3
	v_lshrrev_b32_e32 v3, s20, v3
	s_delay_alu instid0(VALU_DEP_1) | instskip(SKIP_1) | instid1(VALU_DEP_2)
	v_bitop3_b32 v4, v3, 1, s8 bitop3:0x80
	v_and_b32_e32 v3, s8, v3
	v_add_co_u32 v4, s0, v4, -1
	s_delay_alu instid0(VALU_DEP_1) | instskip(NEXT) | instid1(VALU_DEP_3)
	v_cndmask_b32_e64 v5, 0, 1, s0
	v_lshlrev_b32_e32 v6, 30, v3
	s_delay_alu instid0(VALU_DEP_2) | instskip(NEXT) | instid1(VALU_DEP_2)
	v_cmp_ne_u32_e32 vcc_lo, 0, v5
	v_not_b32_e32 v5, v6
	s_delay_alu instid0(VALU_DEP_1) | instskip(SKIP_4) | instid1(VALU_DEP_4)
	v_dual_ashrrev_i32 v5, 31, v5 :: v_dual_bitop2_b32 v4, vcc_lo, v4 bitop3:0x14
	v_dual_lshlrev_b32 v7, 29, v3 :: v_dual_lshlrev_b32 v48, 28, v3
	v_dual_lshlrev_b32 v49, 27, v3 :: v_dual_lshlrev_b32 v50, 26, v3
	v_lshlrev_b32_e32 v51, 25, v3
	v_cmp_gt_i32_e64 s0, 0, v6
	v_cmp_gt_i32_e64 s1, 0, v7
	v_not_b32_e32 v6, v7
	v_not_b32_e32 v7, v48
	v_lshlrev_b32_e32 v52, 24, v3
	v_cmp_gt_i32_e64 s2, 0, v48
	v_cmp_gt_i32_e64 s3, 0, v49
	v_not_b32_e32 v48, v49
	v_not_b32_e32 v49, v50
	v_dual_ashrrev_i32 v6, 31, v6 :: v_dual_ashrrev_i32 v7, 31, v7
	v_xor_b32_e32 v5, s0, v5
	v_cmp_gt_i32_e64 s4, 0, v50
	v_cmp_gt_i32_e64 s5, 0, v51
	v_not_b32_e32 v50, v51
	v_not_b32_e32 v51, v52
	v_dual_ashrrev_i32 v48, 31, v48 :: v_dual_ashrrev_i32 v49, 31, v49
	v_xor_b32_e32 v6, s1, v6
	v_xor_b32_e32 v7, s2, v7
	v_bitop3_b32 v4, v4, v5, exec_lo bitop3:0x80
	v_cmp_gt_i32_e64 s6, 0, v52
	v_dual_ashrrev_i32 v5, 31, v50 :: v_dual_ashrrev_i32 v50, 31, v51
	v_xor_b32_e32 v48, s3, v48
	v_xor_b32_e32 v49, s4, v49
	v_bitop3_b32 v4, v4, v7, v6 bitop3:0x80
	v_mad_u32_u24 v51, 0x44, v3, v0
	v_xor_b32_e32 v3, s5, v5
	v_xor_b32_e32 v5, s6, v50
	s_delay_alu instid0(VALU_DEP_4) | instskip(SKIP_2) | instid1(VALU_DEP_1)
	v_bitop3_b32 v4, v4, v49, v48 bitop3:0x80
	ds_load_b32 v48, v51 offset:64
	; wave barrier
	v_bitop3_b32 v3, v4, v5, v3 bitop3:0x80
	v_mbcnt_lo_u32_b32 v50, v3, 0
	v_cmp_ne_u32_e64 s0, 0, v3
	s_delay_alu instid0(VALU_DEP_2) | instskip(SKIP_1) | instid1(SALU_CYCLE_1)
	v_cmp_eq_u32_e32 vcc_lo, 0, v50
	s_and_b32 s1, s0, vcc_lo
	s_and_saveexec_b32 s0, s1
	s_cbranch_execz .LBB2277_117
; %bb.116:
	s_wait_dscnt 0x0
	v_bcnt_u32_b32 v3, v3, v48
	ds_store_b32 v51, v3 offset:64
.LBB2277_117:
	s_or_b32 exec_lo, exec_lo, s0
	v_cmp_lt_i16_e32 vcc_lo, -1, v2
	; wave barrier
	v_cndmask_b32_e64 v3, -1, 0xffff8000, vcc_lo
	s_delay_alu instid0(VALU_DEP_1) | instskip(NEXT) | instid1(VALU_DEP_1)
	v_xor_b32_e32 v49, v3, v2
	v_cmp_ne_u16_e32 vcc_lo, 0x7fff, v49
	v_cndmask_b32_e32 v2, 0xffff8000, v49, vcc_lo
	s_delay_alu instid0(VALU_DEP_1) | instskip(NEXT) | instid1(VALU_DEP_1)
	v_and_b32_e32 v2, 0xffff, v2
	v_lshrrev_b32_e32 v2, s20, v2
	s_delay_alu instid0(VALU_DEP_1) | instskip(SKIP_1) | instid1(VALU_DEP_2)
	v_bitop3_b32 v3, v2, 1, s8 bitop3:0x80
	v_and_b32_e32 v2, s8, v2
	v_add_co_u32 v3, s0, v3, -1
	s_delay_alu instid0(VALU_DEP_1) | instskip(NEXT) | instid1(VALU_DEP_3)
	v_cndmask_b32_e64 v4, 0, 1, s0
	v_lshlrev_b32_e32 v5, 30, v2
	s_delay_alu instid0(VALU_DEP_2) | instskip(NEXT) | instid1(VALU_DEP_2)
	v_cmp_ne_u32_e32 vcc_lo, 0, v4
	v_not_b32_e32 v4, v5
	s_delay_alu instid0(VALU_DEP_1) | instskip(SKIP_4) | instid1(VALU_DEP_4)
	v_dual_ashrrev_i32 v4, 31, v4 :: v_dual_bitop2_b32 v3, vcc_lo, v3 bitop3:0x14
	v_dual_lshlrev_b32 v6, 29, v2 :: v_dual_lshlrev_b32 v7, 28, v2
	v_dual_lshlrev_b32 v52, 27, v2 :: v_dual_lshlrev_b32 v53, 26, v2
	;; [unrolled: 1-line block ×3, first 2 shown]
	v_cmp_gt_i32_e64 s0, 0, v5
	v_cmp_gt_i32_e64 s1, 0, v6
	v_not_b32_e32 v5, v6
	v_not_b32_e32 v6, v7
	v_cmp_gt_i32_e64 s2, 0, v7
	v_cmp_gt_i32_e64 s3, 0, v52
	v_not_b32_e32 v7, v52
	v_cmp_gt_i32_e64 s4, 0, v53
	v_not_b32_e32 v52, v53
	;; [unrolled: 2-line block ×3, first 2 shown]
	v_not_b32_e32 v54, v55
	v_dual_ashrrev_i32 v5, 31, v5 :: v_dual_ashrrev_i32 v6, 31, v6
	v_dual_ashrrev_i32 v7, 31, v7 :: v_dual_bitop2_b32 v4, s0, v4 bitop3:0x14
	s_delay_alu instid0(VALU_DEP_2) | instskip(NEXT) | instid1(VALU_DEP_3)
	v_dual_ashrrev_i32 v52, 31, v52 :: v_dual_bitop2_b32 v5, s1, v5 bitop3:0x14
	v_xor_b32_e32 v6, s2, v6
	s_delay_alu instid0(VALU_DEP_3)
	v_bitop3_b32 v3, v3, v4, exec_lo bitop3:0x80
	v_cmp_gt_i32_e64 s6, 0, v55
	v_dual_ashrrev_i32 v4, 31, v53 :: v_dual_ashrrev_i32 v53, 31, v54
	v_xor_b32_e32 v7, s3, v7
	v_xor_b32_e32 v52, s4, v52
	v_bitop3_b32 v3, v3, v6, v5 bitop3:0x80
	v_mad_u32_u24 v56, 0x44, v2, v0
	v_xor_b32_e32 v2, s5, v4
	v_xor_b32_e32 v4, s6, v53
	s_delay_alu instid0(VALU_DEP_4) | instskip(SKIP_2) | instid1(VALU_DEP_1)
	v_bitop3_b32 v3, v3, v52, v7 bitop3:0x80
	ds_load_b32 v52, v56 offset:64
	; wave barrier
	v_bitop3_b32 v2, v3, v4, v2 bitop3:0x80
	v_mbcnt_lo_u32_b32 v53, v2, 0
	v_cmp_ne_u32_e64 s0, 0, v2
	s_delay_alu instid0(VALU_DEP_2) | instskip(SKIP_1) | instid1(SALU_CYCLE_1)
	v_cmp_eq_u32_e32 vcc_lo, 0, v53
	s_and_b32 s1, s0, vcc_lo
	s_and_saveexec_b32 s0, s1
	s_cbranch_execz .LBB2277_119
; %bb.118:
	s_wait_dscnt 0x0
	v_bcnt_u32_b32 v2, v2, v52
	ds_store_b32 v56, v2 offset:64
.LBB2277_119:
	s_or_b32 exec_lo, exec_lo, s0
	v_cmp_lt_i16_e32 vcc_lo, -1, v1
	; wave barrier
	v_cndmask_b32_e64 v2, -1, 0xffff8000, vcc_lo
	s_delay_alu instid0(VALU_DEP_1) | instskip(NEXT) | instid1(VALU_DEP_1)
	v_xor_b32_e32 v54, v2, v1
	v_cmp_ne_u16_e32 vcc_lo, 0x7fff, v54
	v_cndmask_b32_e32 v1, 0xffff8000, v54, vcc_lo
	s_delay_alu instid0(VALU_DEP_1) | instskip(NEXT) | instid1(VALU_DEP_1)
	v_and_b32_e32 v1, 0xffff, v1
	v_lshrrev_b32_e32 v1, s20, v1
	s_delay_alu instid0(VALU_DEP_1) | instskip(SKIP_1) | instid1(VALU_DEP_2)
	v_bitop3_b32 v2, v1, 1, s8 bitop3:0x80
	v_and_b32_e32 v1, s8, v1
	v_add_co_u32 v2, s0, v2, -1
	s_delay_alu instid0(VALU_DEP_1) | instskip(NEXT) | instid1(VALU_DEP_3)
	v_cndmask_b32_e64 v3, 0, 1, s0
	v_lshlrev_b32_e32 v4, 30, v1
	s_delay_alu instid0(VALU_DEP_2) | instskip(NEXT) | instid1(VALU_DEP_2)
	v_cmp_ne_u32_e32 vcc_lo, 0, v3
	v_not_b32_e32 v3, v4
	s_delay_alu instid0(VALU_DEP_1) | instskip(SKIP_4) | instid1(VALU_DEP_4)
	v_dual_ashrrev_i32 v3, 31, v3 :: v_dual_bitop2_b32 v2, vcc_lo, v2 bitop3:0x14
	v_dual_lshlrev_b32 v5, 29, v1 :: v_dual_lshlrev_b32 v6, 28, v1
	v_dual_lshlrev_b32 v7, 27, v1 :: v_dual_lshlrev_b32 v55, 26, v1
	v_lshlrev_b32_e32 v57, 25, v1
	v_cmp_gt_i32_e64 s0, 0, v4
	v_cmp_gt_i32_e64 s1, 0, v5
	v_not_b32_e32 v4, v5
	v_not_b32_e32 v5, v6
	v_lshlrev_b32_e32 v58, 24, v1
	v_cmp_gt_i32_e64 s2, 0, v6
	v_cmp_gt_i32_e64 s3, 0, v7
	v_not_b32_e32 v6, v7
	v_not_b32_e32 v7, v55
	v_dual_ashrrev_i32 v4, 31, v4 :: v_dual_ashrrev_i32 v5, 31, v5
	v_xor_b32_e32 v3, s0, v3
	v_cmp_gt_i32_e64 s4, 0, v55
	v_cmp_gt_i32_e64 s5, 0, v57
	v_not_b32_e32 v55, v57
	v_not_b32_e32 v57, v58
	v_dual_ashrrev_i32 v6, 31, v6 :: v_dual_ashrrev_i32 v7, 31, v7
	v_xor_b32_e32 v4, s1, v4
	v_xor_b32_e32 v5, s2, v5
	v_bitop3_b32 v2, v2, v3, exec_lo bitop3:0x80
	v_cmp_gt_i32_e64 s6, 0, v58
	v_dual_ashrrev_i32 v3, 31, v55 :: v_dual_ashrrev_i32 v55, 31, v57
	v_xor_b32_e32 v6, s3, v6
	v_xor_b32_e32 v7, s4, v7
	v_bitop3_b32 v2, v2, v5, v4 bitop3:0x80
	v_mad_u32_u24 v58, 0x44, v1, v0
	v_xor_b32_e32 v0, s5, v3
	v_xor_b32_e32 v1, s6, v55
	s_delay_alu instid0(VALU_DEP_4) | instskip(SKIP_2) | instid1(VALU_DEP_1)
	v_bitop3_b32 v2, v2, v7, v6 bitop3:0x80
	ds_load_b32 v55, v58 offset:64
	; wave barrier
	v_bitop3_b32 v0, v2, v1, v0 bitop3:0x80
	v_mbcnt_lo_u32_b32 v57, v0, 0
	v_cmp_ne_u32_e64 s0, 0, v0
	s_delay_alu instid0(VALU_DEP_2) | instskip(SKIP_1) | instid1(SALU_CYCLE_1)
	v_cmp_eq_u32_e32 vcc_lo, 0, v57
	s_and_b32 s1, s0, vcc_lo
	s_and_saveexec_b32 s0, s1
	s_cbranch_execz .LBB2277_121
; %bb.120:
	s_wait_dscnt 0x0
	v_bcnt_u32_b32 v0, v0, v55
	ds_store_b32 v58, v0 offset:64
.LBB2277_121:
	s_or_b32 exec_lo, exec_lo, s0
	; wave barrier
	s_wait_dscnt 0x0
	s_barrier_signal -1
	s_barrier_wait -1
	ds_load_2addr_b32 v[6:7], v11 offset0:16 offset1:17
	ds_load_2addr_b32 v[4:5], v11 offset0:18 offset1:19
	;; [unrolled: 1-line block ×4, first 2 shown]
	ds_load_b32 v59, v11 offset:96
	v_min_u32_e32 v15, 0x1e0, v15
	s_mov_b32 s4, exec_lo
	s_wait_dscnt 0x3
	v_add3_u32 v60, v7, v6, v4
	s_wait_dscnt 0x2
	s_delay_alu instid0(VALU_DEP_1) | instskip(SKIP_1) | instid1(VALU_DEP_1)
	v_add3_u32 v60, v60, v5, v2
	s_wait_dscnt 0x1
	v_add3_u32 v60, v60, v3, v0
	s_wait_dscnt 0x0
	s_delay_alu instid0(VALU_DEP_1) | instskip(SKIP_1) | instid1(VALU_DEP_2)
	v_add3_u32 v59, v60, v1, v59
	v_and_b32_e32 v60, 15, v14
	v_mov_b32_dpp v61, v59 row_shr:1 row_mask:0xf bank_mask:0xf
	s_delay_alu instid0(VALU_DEP_2) | instskip(NEXT) | instid1(VALU_DEP_2)
	v_cmp_eq_u32_e32 vcc_lo, 0, v60
	v_cndmask_b32_e64 v61, v61, 0, vcc_lo
	s_delay_alu instid0(VALU_DEP_1) | instskip(SKIP_3) | instid1(VALU_DEP_4)
	v_add_nc_u32_e32 v59, v61, v59
	v_cmp_lt_u32_e64 s0, 1, v60
	v_cmp_lt_u32_e64 s1, 3, v60
	;; [unrolled: 1-line block ×3, first 2 shown]
	v_mov_b32_dpp v61, v59 row_shr:2 row_mask:0xf bank_mask:0xf
	s_delay_alu instid0(VALU_DEP_1) | instskip(NEXT) | instid1(VALU_DEP_1)
	v_cndmask_b32_e64 v61, 0, v61, s0
	v_add_nc_u32_e32 v59, v59, v61
	s_delay_alu instid0(VALU_DEP_1) | instskip(NEXT) | instid1(VALU_DEP_1)
	v_mov_b32_dpp v61, v59 row_shr:4 row_mask:0xf bank_mask:0xf
	v_cndmask_b32_e64 v61, 0, v61, s1
	s_delay_alu instid0(VALU_DEP_1) | instskip(NEXT) | instid1(VALU_DEP_1)
	v_add_nc_u32_e32 v59, v59, v61
	v_mov_b32_dpp v61, v59 row_shr:8 row_mask:0xf bank_mask:0xf
	s_delay_alu instid0(VALU_DEP_1) | instskip(SKIP_1) | instid1(VALU_DEP_2)
	v_cndmask_b32_e64 v60, 0, v61, s2
	v_bfe_i32 v61, v14, 4, 1
	v_add_nc_u32_e32 v60, v59, v60
	ds_swizzle_b32 v59, v60 offset:swizzle(BROADCAST,32,15)
	s_wait_dscnt 0x0
	v_dual_lshrrev_b32 v59, 5, v12 :: v_dual_bitop2_b32 v61, v61, v59 bitop3:0x40
	s_delay_alu instid0(VALU_DEP_1) | instskip(NEXT) | instid1(VALU_DEP_1)
	v_dual_add_nc_u32 v15, v60, v61 :: v_dual_bitop2_b32 v62, 31, v15 bitop3:0x54
	v_cmpx_eq_u32_e64 v12, v62
; %bb.122:
	s_delay_alu instid0(VALU_DEP_3)
	v_lshlrev_b32_e32 v60, 2, v59
	ds_store_b32 v60, v15
; %bb.123:
	s_or_b32 exec_lo, exec_lo, s4
	s_delay_alu instid0(SALU_CYCLE_1)
	s_mov_b32 s4, exec_lo
	s_wait_dscnt 0x0
	s_barrier_signal -1
	s_barrier_wait -1
	v_cmpx_gt_u32_e32 16, v12
	s_cbranch_execz .LBB2277_125
; %bb.124:
	v_lshlrev_b32_e32 v60, 2, v12
	ds_load_b32 v61, v60
	s_wait_dscnt 0x0
	v_mov_b32_dpp v62, v61 row_shr:1 row_mask:0xf bank_mask:0xf
	s_delay_alu instid0(VALU_DEP_1) | instskip(NEXT) | instid1(VALU_DEP_1)
	v_cndmask_b32_e64 v62, v62, 0, vcc_lo
	v_add_nc_u32_e32 v61, v62, v61
	s_delay_alu instid0(VALU_DEP_1) | instskip(NEXT) | instid1(VALU_DEP_1)
	v_mov_b32_dpp v62, v61 row_shr:2 row_mask:0xf bank_mask:0xf
	v_cndmask_b32_e64 v62, 0, v62, s0
	s_delay_alu instid0(VALU_DEP_1) | instskip(NEXT) | instid1(VALU_DEP_1)
	v_add_nc_u32_e32 v61, v61, v62
	v_mov_b32_dpp v62, v61 row_shr:4 row_mask:0xf bank_mask:0xf
	s_delay_alu instid0(VALU_DEP_1) | instskip(NEXT) | instid1(VALU_DEP_1)
	v_cndmask_b32_e64 v62, 0, v62, s1
	v_add_nc_u32_e32 v61, v61, v62
	s_delay_alu instid0(VALU_DEP_1) | instskip(NEXT) | instid1(VALU_DEP_1)
	v_mov_b32_dpp v62, v61 row_shr:8 row_mask:0xf bank_mask:0xf
	v_cndmask_b32_e64 v62, 0, v62, s2
	s_delay_alu instid0(VALU_DEP_1)
	v_add_nc_u32_e32 v61, v61, v62
	ds_store_b32 v60, v61
.LBB2277_125:
	s_or_b32 exec_lo, exec_lo, s4
	v_mov_b32_e32 v60, 0
	s_mov_b32 s0, exec_lo
	s_wait_dscnt 0x0
	s_barrier_signal -1
	s_barrier_wait -1
	v_cmpx_lt_u32_e32 31, v12
; %bb.126:
	v_lshl_add_u32 v59, v59, 2, -4
	ds_load_b32 v60, v59
; %bb.127:
	s_or_b32 exec_lo, exec_lo, s0
	v_sub_co_u32 v59, vcc_lo, v14, 1
	s_wait_dscnt 0x0
	v_add_nc_u32_e32 v15, v60, v15
	s_delay_alu instid0(VALU_DEP_2) | instskip(NEXT) | instid1(VALU_DEP_1)
	v_cmp_gt_i32_e64 s0, 0, v59
	v_cndmask_b32_e64 v14, v59, v14, s0
	v_cmp_gt_u32_e64 s0, 0x100, v12
	s_delay_alu instid0(VALU_DEP_2) | instskip(SKIP_4) | instid1(VALU_DEP_2)
	v_lshlrev_b32_e32 v14, 2, v14
	ds_bpermute_b32 v14, v14, v15
	s_wait_dscnt 0x0
	v_cndmask_b32_e32 v14, v14, v60, vcc_lo
	v_cmp_ne_u32_e32 vcc_lo, 0, v12
	v_cndmask_b32_e32 v14, 0, v14, vcc_lo
	v_cmp_lt_u32_e32 vcc_lo, 0xff, v12
	s_delay_alu instid0(VALU_DEP_2) | instskip(NEXT) | instid1(VALU_DEP_1)
	v_add_nc_u32_e32 v6, v14, v6
	v_add_nc_u32_e32 v7, v6, v7
	s_delay_alu instid0(VALU_DEP_1) | instskip(NEXT) | instid1(VALU_DEP_1)
	v_add_nc_u32_e32 v4, v7, v4
	v_add_nc_u32_e32 v5, v4, v5
	s_delay_alu instid0(VALU_DEP_1) | instskip(NEXT) | instid1(VALU_DEP_1)
	;; [unrolled: 3-line block ×3, first 2 shown]
	v_add_nc_u32_e32 v0, v3, v0
	v_add_nc_u32_e32 v1, v0, v1
	ds_store_2addr_b32 v11, v14, v6 offset0:16 offset1:17
	ds_store_2addr_b32 v11, v7, v4 offset0:18 offset1:19
	ds_store_2addr_b32 v11, v5, v2 offset0:20 offset1:21
	ds_store_2addr_b32 v11, v3, v0 offset0:22 offset1:23
	ds_store_b32 v11, v1 offset:96
	s_wait_dscnt 0x0
	s_barrier_signal -1
	s_barrier_wait -1
	ds_load_b32 v59, v13 offset:64
	ds_load_b32 v60, v19 offset:64
	;; [unrolled: 1-line block ×12, first 2 shown]
	v_mov_b64_e32 v[0:1], 0
                                        ; implicit-def: $vgpr2
	s_and_saveexec_b32 s2, s0
	s_cbranch_execz .LBB2277_131
; %bb.128:
	v_mul_u32_u24_e32 v0, 0x44, v12
	v_dual_mov_b32 v1, 0x1800 :: v_dual_add_nc_u32 v2, 1, v12
	s_mov_b32 s3, exec_lo
	ds_load_b32 v0, v0 offset:64
	v_cmpx_ne_u32_e32 0x100, v2
; %bb.129:
	v_mul_u32_u24_e32 v1, 0x44, v2
	ds_load_b32 v1, v1 offset:64
; %bb.130:
	s_or_b32 exec_lo, exec_lo, s3
	s_wait_dscnt 0x0
	v_dual_mov_b32 v1, 0 :: v_dual_sub_nc_u32 v2, v1, v0
.LBB2277_131:
	s_or_b32 exec_lo, exec_lo, s2
	s_wait_dscnt 0xa
	v_dual_lshlrev_b32 v9, 1, v9 :: v_dual_lshlrev_b32 v23, 1, v60
	v_dual_lshlrev_b32 v18, 1, v18 :: v_dual_lshlrev_b32 v17, 1, v17
	v_lshlrev_b32_e32 v21, 1, v21
	s_delay_alu instid0(VALU_DEP_3)
	v_lshl_add_u32 v9, v59, 1, v9
	s_wait_dscnt 0x0
	s_barrier_signal -1
	v_add3_u32 v17, v23, v18, v17
	v_dual_lshlrev_b32 v18, 1, v19 :: v_dual_lshlrev_b32 v19, 1, v22
	s_barrier_wait -1
	ds_store_b16 v9, v8 offset:2048
	ds_store_b16 v17, v10 offset:2048
	v_lshlrev_b32_e32 v9, 1, v15
	v_add3_u32 v8, v18, v19, v21
	v_dual_lshlrev_b32 v10, 1, v26 :: v_dual_lshlrev_b32 v15, 1, v25
	v_dual_lshlrev_b32 v14, 1, v14 :: v_dual_lshlrev_b32 v18, 1, v28
	;; [unrolled: 1-line block ×6, first 2 shown]
	ds_store_b16 v8, v16 offset:2048
	v_add3_u32 v8, v9, v10, v15
	v_add3_u32 v9, v14, v17, v18
	;; [unrolled: 1-line block ×3, first 2 shown]
	v_dual_lshlrev_b32 v13, 1, v42 :: v_dual_lshlrev_b32 v14, 1, v41
	v_add3_u32 v11, v11, v22, v23
	ds_store_b16 v8, v20 offset:2048
	ds_store_b16 v9, v24 offset:2048
	;; [unrolled: 1-line block ×4, first 2 shown]
	v_dual_lshlrev_b32 v6, 1, v6 :: v_dual_lshlrev_b32 v9, 1, v45
	v_add3_u32 v7, v7, v13, v14
	v_dual_lshlrev_b32 v8, 1, v46 :: v_dual_lshlrev_b32 v5, 1, v5
	v_dual_lshlrev_b32 v10, 1, v50 :: v_dual_lshlrev_b32 v11, 1, v48
	;; [unrolled: 1-line block ×5, first 2 shown]
	ds_store_b16 v7, v36 offset:2048
	v_add3_u32 v6, v6, v8, v9
	v_add3_u32 v7, v5, v10, v11
	;; [unrolled: 1-line block ×3, first 2 shown]
	v_dual_mov_b32 v5, 0 :: v_dual_lshlrev_b32 v3, 3, v12
	v_add3_u32 v4, v4, v13, v14
	ds_store_b16 v6, v40 offset:2048
	ds_store_b16 v7, v44 offset:2048
	;; [unrolled: 1-line block ×4, first 2 shown]
	s_and_saveexec_b32 s1, s0
	s_cbranch_execz .LBB2277_141
; %bb.132:
	v_lshl_add_u32 v4, s9, 8, v12
	v_dual_mov_b32 v8, 0 :: v_dual_bitop2_b32 v9, 2.0, v2 bitop3:0x54
	s_mov_b32 s2, 0
	s_mov_b32 s3, s9
	s_delay_alu instid0(VALU_DEP_2)
	v_lshl_add_u64 v[6:7], v[4:5], 2, s[10:11]
	global_store_b32 v4, v9, s[10:11] scale_offset scope:SCOPE_DEV
                                        ; implicit-def: $sgpr0
	s_branch .LBB2277_135
.LBB2277_133:                           ;   in Loop: Header=BB2277_135 Depth=1
	s_or_b32 exec_lo, exec_lo, s5
.LBB2277_134:                           ;   in Loop: Header=BB2277_135 Depth=1
	s_delay_alu instid0(SALU_CYCLE_1) | instskip(SKIP_2) | instid1(VALU_DEP_2)
	s_or_b32 exec_lo, exec_lo, s4
	v_and_b32_e32 v4, 0x3fffffff, v9
	v_cmp_gt_i32_e64 s0, -2.0, v9
	v_add_nc_u32_e32 v8, v4, v8
	s_and_b32 s4, exec_lo, s0
	s_delay_alu instid0(SALU_CYCLE_1) | instskip(NEXT) | instid1(SALU_CYCLE_1)
	s_or_b32 s2, s4, s2
	s_and_not1_b32 exec_lo, exec_lo, s2
	s_cbranch_execz .LBB2277_140
.LBB2277_135:                           ; =>This Loop Header: Depth=1
                                        ;     Child Loop BB2277_138 Depth 2
	s_or_b32 s0, s0, exec_lo
	s_cmp_eq_u32 s3, 0
	s_cbranch_scc1 .LBB2277_139
; %bb.136:                              ;   in Loop: Header=BB2277_135 Depth=1
	s_add_co_i32 s3, s3, -1
	s_mov_b32 s4, exec_lo
	s_wait_xcnt 0x0
	v_lshl_or_b32 v4, s3, 8, v12
	global_load_b32 v9, v4, s[10:11] scale_offset scope:SCOPE_DEV
	s_wait_loadcnt 0x0
	v_cmpx_gt_u32_e32 2.0, v9
	s_cbranch_execz .LBB2277_134
; %bb.137:                              ;   in Loop: Header=BB2277_135 Depth=1
	v_lshl_add_u64 v[10:11], v[4:5], 2, s[10:11]
	s_mov_b32 s5, 0
.LBB2277_138:                           ;   Parent Loop BB2277_135 Depth=1
                                        ; =>  This Inner Loop Header: Depth=2
	global_load_b32 v9, v[10:11], off scope:SCOPE_DEV
	s_wait_loadcnt 0x0
	v_cmp_lt_u32_e64 s0, 0x3fffffff, v9
	s_or_b32 s5, s0, s5
	s_wait_xcnt 0x0
	s_and_not1_b32 exec_lo, exec_lo, s5
	s_cbranch_execnz .LBB2277_138
	s_branch .LBB2277_133
.LBB2277_139:                           ;   in Loop: Header=BB2277_135 Depth=1
                                        ; implicit-def: $sgpr3
	s_and_b32 s4, exec_lo, s0
	s_delay_alu instid0(SALU_CYCLE_1)
	s_or_b32 s2, s4, s2
	s_wait_xcnt 0x0
	s_and_not1_b32 exec_lo, exec_lo, s2
	s_cbranch_execnz .LBB2277_135
.LBB2277_140:
	s_or_b32 exec_lo, exec_lo, s2
	v_dual_mov_b32 v9, 0 :: v_dual_add_nc_u32 v4, v8, v2
	s_delay_alu instid0(VALU_DEP_1) | instskip(SKIP_4) | instid1(VALU_DEP_1)
	v_or_b32_e32 v4, 0x80000000, v4
	global_store_b32 v[6:7], v4, off scope:SCOPE_DEV
	global_load_b64 v[4:5], v12, s[12:13] scale_offset
	v_sub_nc_u64_e32 v[6:7], v[8:9], v[0:1]
	s_wait_loadcnt 0x0
	v_add_nc_u64_e32 v[4:5], v[6:7], v[4:5]
	ds_store_b64 v3, v[4:5]
.LBB2277_141:
	s_wait_xcnt 0x0
	s_or_b32 exec_lo, exec_lo, s1
	v_mad_i32_i24 v13, v12, -6, v3
	s_wait_storecnt_dscnt 0x0
	s_barrier_signal -1
	s_barrier_wait -1
	ds_load_u16 v16, v13 offset:2048
	ds_load_u16 v17, v13 offset:3072
	;; [unrolled: 1-line block ×8, first 2 shown]
	v_dual_mov_b32 v5, 0 :: v_dual_lshlrev_b32 v4, 1, v12
	s_add_co_i32 s7, s7, -1
	s_delay_alu instid0(SALU_CYCLE_1) | instskip(SKIP_2) | instid1(VALU_DEP_1)
	s_cmp_eq_u32 s9, s7
	s_wait_dscnt 0x7
	v_cmp_ne_u16_e64 s0, 0x7fff, v16
	v_cndmask_b32_e64 v6, 0xffff8000, v16, s0
	v_cmp_lt_i16_e64 s0, -1, v16
	s_delay_alu instid0(VALU_DEP_2) | instskip(NEXT) | instid1(VALU_DEP_2)
	v_and_b32_e32 v6, 0xffff, v6
	v_cndmask_b32_e64 v24, 0xffff8000, -1, s0
	s_wait_dscnt 0x6
	v_cmp_ne_u16_e64 s0, 0x7fff, v17
	s_delay_alu instid0(VALU_DEP_2) | instskip(NEXT) | instid1(VALU_DEP_2)
	v_xor_b32_e32 v24, v24, v16
	v_cndmask_b32_e64 v7, 0xffff8000, v17, s0
	s_wait_dscnt 0x5
	v_cmp_ne_u16_e64 s0, 0x7fff, v18
	s_delay_alu instid0(VALU_DEP_2) | instskip(NEXT) | instid1(VALU_DEP_2)
	v_and_b32_e32 v7, 0xffff, v7
	v_cndmask_b32_e64 v8, 0xffff8000, v18, s0
	s_wait_dscnt 0x4
	v_cmp_ne_u16_e64 s0, 0x7fff, v19
	s_delay_alu instid0(VALU_DEP_3) | instskip(NEXT) | instid1(VALU_DEP_3)
	v_dual_lshrrev_b32 v6, s20, v6 :: v_dual_lshrrev_b32 v7, s20, v7
	v_and_b32_e32 v8, 0xffff, v8
	s_delay_alu instid0(VALU_DEP_3) | instskip(SKIP_1) | instid1(VALU_DEP_4)
	v_cndmask_b32_e64 v9, 0xffff8000, v19, s0
	v_cmp_lt_i16_e64 s0, -1, v17
	v_and_b32_e32 v7, s8, v7
	v_and_b32_e32 v6, s8, v6
	s_delay_alu instid0(VALU_DEP_4) | instskip(NEXT) | instid1(VALU_DEP_4)
	v_and_b32_e32 v9, 0xffff, v9
	v_cndmask_b32_e64 v25, 0xffff8000, -1, s0
	s_wait_dscnt 0x3
	v_cmp_ne_u16_e64 s0, 0x7fff, v20
	v_dual_lshrrev_b32 v8, s20, v8 :: v_dual_lshlrev_b32 v11, 3, v7
	v_dual_lshrrev_b32 v9, s20, v9 :: v_dual_lshlrev_b32 v6, 3, v6
	s_delay_alu instid0(VALU_DEP_3) | instskip(SKIP_1) | instid1(VALU_DEP_2)
	v_cndmask_b32_e64 v10, 0xffff8000, v20, s0
	v_cmp_lt_i16_e64 s0, -1, v18
	v_and_b32_e32 v10, 0xffff, v10
	v_and_b32_e32 v8, s8, v8
	;; [unrolled: 1-line block ×3, first 2 shown]
	s_delay_alu instid0(VALU_DEP_4) | instskip(SKIP_1) | instid1(VALU_DEP_4)
	v_cndmask_b32_e64 v27, 0xffff8000, -1, s0
	v_cmp_lt_i16_e64 s0, -1, v19
	v_dual_lshrrev_b32 v26, s20, v10 :: v_dual_lshlrev_b32 v10, 3, v8
	s_delay_alu instid0(VALU_DEP_4)
	v_lshlrev_b32_e32 v14, 3, v9
	ds_load_b64 v[6:7], v6
	ds_load_b64 v[8:9], v11
	v_cndmask_b32_e64 v28, 0xffff8000, -1, s0
	s_wait_dscnt 0x4
	v_cmp_ne_u16_e64 s0, 0x7fff, v21
	v_and_b32_e32 v26, s8, v26
	ds_load_b64 v[10:11], v10
	ds_load_b64 v[14:15], v14
	v_xor_b32_e32 v19, v28, v19
	v_cndmask_b32_e64 v29, 0xffff8000, v21, s0
	s_wait_dscnt 0x5
	v_cmp_ne_u16_e64 s0, 0x7fff, v22
	v_lshlrev_b32_e32 v26, 3, v26
	s_delay_alu instid0(VALU_DEP_2) | instskip(SKIP_1) | instid1(VALU_DEP_2)
	v_cndmask_b32_e64 v30, 0xffff8000, v22, s0
	v_cmp_lt_i16_e64 s0, -1, v20
	v_and_b32_e32 v28, 0xffff, v30
	s_wait_dscnt 0x3
	v_lshl_add_u64 v[6:7], v[6:7], 1, s[18:19]
	v_xor_b32_e32 v18, v27, v18
	v_and_b32_e32 v27, 0xffff, v29
	v_xor_b32_e32 v25, v25, v17
	ds_load_b64 v[16:17], v26
	ds_load_u16 v26, v13 offset:10240
	ds_load_u16 v31, v13 offset:11264
	;; [unrolled: 1-line block ×4, first 2 shown]
	s_wait_dscnt 0x7
	v_lshl_add_u64 v[8:9], v[8:9], 1, s[18:19]
	s_wait_dscnt 0x6
	v_lshl_add_u64 v[10:11], v[10:11], 1, s[18:19]
	v_add_nc_u64_e32 v[6:7], v[6:7], v[4:5]
	s_wait_dscnt 0x5
	v_lshl_add_u64 v[14:15], v[14:15], 1, s[18:19]
	v_add_nc_u64_e32 v[8:9], v[8:9], v[4:5]
	v_add_nc_u64_e32 v[10:11], v[10:11], v[4:5]
	s_clause 0x1
	global_store_b16 v[6:7], v24, off
	global_store_b16 v[8:9], v25, off offset:1024
	s_wait_xcnt 0x1
	v_cndmask_b32_e64 v6, 0xffff8000, -1, s0
	v_cmp_ne_u16_e64 s0, 0x7fff, v23
	s_wait_xcnt 0x0
	v_dual_lshrrev_b32 v8, s20, v27 :: v_dual_lshrrev_b32 v9, s20, v28
	global_store_b16 v[10:11], v18, off offset:2048
	v_add_nc_u64_e32 v[14:15], v[14:15], v[4:5]
	s_wait_xcnt 0x0
	v_cndmask_b32_e64 v10, 0xffff8000, v23, s0
	s_wait_dscnt 0x3
	v_cmp_ne_u16_e64 s0, 0x7fff, v26
	v_and_b32_e32 v8, s8, v8
	v_and_b32_e32 v9, s8, v9
	s_delay_alu instid0(VALU_DEP_3)
	v_cndmask_b32_e64 v11, 0xffff8000, v26, s0
	s_wait_dscnt 0x2
	v_cmp_ne_u16_e64 s0, 0x7fff, v31
	v_lshlrev_b32_e32 v8, 3, v8
	global_store_b16 v[14:15], v19, off offset:3072
	s_wait_xcnt 0x0
	v_dual_lshlrev_b32 v15, 3, v9 :: v_dual_bitop2_b32 v14, v6, v20 bitop3:0x14
	v_lshl_add_u64 v[6:7], v[16:17], 1, s[18:19]
	v_and_b32_e32 v16, 0xffff, v10
	v_and_b32_e32 v17, 0xffff, v11
	v_cndmask_b32_e64 v18, 0xffff8000, v31, s0
	ds_load_b64 v[8:9], v8
	ds_load_b64 v[10:11], v15
	v_cmp_lt_i16_e64 s0, -1, v21
	v_dual_lshrrev_b32 v15, s20, v16 :: v_dual_lshrrev_b32 v16, s20, v17
	v_and_b32_e32 v17, 0xffff, v18
	v_add_nc_u64_e32 v[6:7], v[6:7], v[4:5]
	s_delay_alu instid0(VALU_DEP_4) | instskip(NEXT) | instid1(VALU_DEP_4)
	v_cndmask_b32_e64 v18, 0xffff8000, -1, s0
	v_and_b32_e32 v15, s8, v15
	s_wait_dscnt 0x3
	v_cmp_ne_u16_e64 s0, 0x7fff, v32
	v_dual_lshrrev_b32 v17, s20, v17 :: v_dual_bitop2_b32 v16, s8, v16 bitop3:0x40
	global_store_b16 v[6:7], v14, off offset:4096
	s_wait_xcnt 0x0
	v_dual_lshlrev_b32 v6, 3, v15 :: v_dual_bitop2_b32 v18, v18, v21 bitop3:0x14
	v_dual_lshlrev_b32 v14, 3, v16 :: v_dual_bitop2_b32 v16, s8, v17 bitop3:0x40
	v_cndmask_b32_e64 v17, 0xffff8000, v32, s0
	s_wait_dscnt 0x2
	v_cmp_ne_u16_e64 s0, 0x7fff, v13
	s_wait_dscnt 0x1
	v_lshl_add_u64 v[8:9], v[8:9], 1, s[18:19]
	s_wait_dscnt 0x0
	v_lshl_add_u64 v[10:11], v[10:11], 1, s[18:19]
	ds_load_b64 v[6:7], v6
	ds_load_b64 v[14:15], v14
	v_and_b32_e32 v17, 0xffff, v17
	v_cndmask_b32_e64 v19, 0xffff8000, v13, s0
	v_cmp_lt_i16_e64 s0, -1, v22
	v_add_nc_u64_e32 v[8:9], v[8:9], v[4:5]
	v_add_nc_u64_e32 v[10:11], v[10:11], v[4:5]
	v_lshrrev_b32_e32 v20, s20, v17
	v_and_b32_e32 v19, 0xffff, v19
	v_lshlrev_b32_e32 v16, 3, v16
	v_cndmask_b32_e64 v21, 0xffff8000, -1, s0
	v_cmp_lt_i16_e64 s0, -1, v23
	s_delay_alu instid0(VALU_DEP_4)
	v_lshrrev_b32_e32 v19, s20, v19
	ds_load_b64 v[16:17], v16
	v_xor_b32_e32 v21, v21, v22
	s_clause 0x1
	global_store_b16 v[8:9], v18, off offset:5120
	global_store_b16 v[10:11], v21, off offset:6144
	v_and_b32_e32 v19, s8, v19
	v_and_b32_e32 v20, s8, v20
	v_cndmask_b32_e64 v22, 0xffff8000, -1, s0
	v_cmp_lt_i16_e64 s0, -1, v26
	s_wait_dscnt 0x2
	v_lshl_add_u64 v[6:7], v[6:7], 1, s[18:19]
	v_dual_lshlrev_b32 v19, 3, v19 :: v_dual_lshlrev_b32 v20, 3, v20
	s_wait_dscnt 0x1
	v_lshl_add_u64 v[14:15], v[14:15], 1, s[18:19]
	s_wait_xcnt 0x1
	v_xor_b32_e32 v18, v22, v23
	v_add_nc_u64_e32 v[6:7], v[6:7], v[4:5]
	s_wait_xcnt 0x0
	ds_load_b64 v[10:11], v19
	ds_load_b64 v[8:9], v20
	v_cndmask_b32_e64 v19, 0xffff8000, -1, s0
	v_cmp_lt_i16_e64 s0, -1, v31
	s_wait_dscnt 0x2
	v_lshl_add_u64 v[16:17], v[16:17], 1, s[18:19]
	v_add_nc_u64_e32 v[14:15], v[14:15], v[4:5]
	v_xor_b32_e32 v19, v19, v26
	v_cndmask_b32_e64 v20, 0xffff8000, -1, s0
	v_cmp_lt_i16_e64 s0, -1, v32
	v_add_nc_u64_e32 v[16:17], v[16:17], v[4:5]
	s_delay_alu instid0(VALU_DEP_3) | instskip(NEXT) | instid1(VALU_DEP_3)
	v_xor_b32_e32 v20, v20, v31
	v_cndmask_b32_e64 v21, 0xffff8000, -1, s0
	v_cmp_lt_i16_e64 s0, -1, v13
	s_clause 0x2
	global_store_b16 v[6:7], v18, off offset:7168
	global_store_b16 v[14:15], v19, off offset:8192
	;; [unrolled: 1-line block ×3, first 2 shown]
	s_wait_xcnt 0x1
	v_xor_b32_e32 v14, v21, v32
	s_wait_dscnt 0x0
	v_lshl_add_u64 v[6:7], v[8:9], 1, s[18:19]
	v_lshl_add_u64 v[8:9], v[10:11], 1, s[18:19]
	v_cndmask_b32_e64 v10, 0xffff8000, -1, s0
	s_cselect_b32 s0, -1, 0
	s_xor_b32 s1, vcc_lo, -1
	v_add_nc_u64_e32 v[6:7], v[6:7], v[4:5]
	v_add_nc_u64_e32 v[8:9], v[8:9], v[4:5]
	v_xor_b32_e32 v4, v10, v13
	s_and_b32 s0, s1, s0
	s_clause 0x1
	global_store_b16 v[6:7], v14, off offset:10240
	global_store_b16 v[8:9], v4, off offset:11264
	s_wait_xcnt 0x0
	s_and_saveexec_b32 s1, s0
	s_cbranch_execz .LBB2277_143
; %bb.142:
	ds_load_b64 v[6:7], v3
	v_mov_b32_e32 v3, v5
	s_delay_alu instid0(VALU_DEP_1) | instskip(SKIP_1) | instid1(VALU_DEP_1)
	v_add_nc_u64_e32 v[0:1], v[0:1], v[2:3]
	s_wait_dscnt 0x0
	v_add_nc_u64_e32 v[0:1], v[0:1], v[6:7]
	global_store_b64 v12, v[0:1], s[14:15] scale_offset
.LBB2277_143:
	s_sendmsg sendmsg(MSG_DEALLOC_VGPRS)
	s_endpgm
	.section	.rodata,"a",@progbits
	.p2align	6, 0x0
	.amdhsa_kernel _ZN7rocprim17ROCPRIM_400000_NS6detail17trampoline_kernelINS0_14default_configENS1_35radix_sort_onesweep_config_selectorI6__halfNS0_10empty_typeEEEZZNS1_29radix_sort_onesweep_iterationIS3_Lb0EPKS5_PS5_PS6_SC_mNS0_19identity_decomposerENS1_16block_id_wrapperIjLb0EEEEE10hipError_tT1_PNSt15iterator_traitsISH_E10value_typeET2_T3_PNSI_ISN_E10value_typeET4_T5_PSS_ST_PNS1_23onesweep_lookback_stateEbbT6_jjT7_P12ihipStream_tbENKUlT_T0_SH_SM_E_clISB_SB_SC_SC_EEDaS10_S11_SH_SM_EUlS10_E_NS1_11comp_targetILNS1_3genE0ELNS1_11target_archE4294967295ELNS1_3gpuE0ELNS1_3repE0EEENS1_47radix_sort_onesweep_sort_config_static_selectorELNS0_4arch9wavefront6targetE0EEEvSH_
		.amdhsa_group_segment_fixed_size 18504
		.amdhsa_private_segment_fixed_size 0
		.amdhsa_kernarg_size 344
		.amdhsa_user_sgpr_count 2
		.amdhsa_user_sgpr_dispatch_ptr 0
		.amdhsa_user_sgpr_queue_ptr 0
		.amdhsa_user_sgpr_kernarg_segment_ptr 1
		.amdhsa_user_sgpr_dispatch_id 0
		.amdhsa_user_sgpr_kernarg_preload_length 0
		.amdhsa_user_sgpr_kernarg_preload_offset 0
		.amdhsa_user_sgpr_private_segment_size 0
		.amdhsa_wavefront_size32 1
		.amdhsa_uses_dynamic_stack 0
		.amdhsa_enable_private_segment 0
		.amdhsa_system_sgpr_workgroup_id_x 1
		.amdhsa_system_sgpr_workgroup_id_y 0
		.amdhsa_system_sgpr_workgroup_id_z 0
		.amdhsa_system_sgpr_workgroup_info 0
		.amdhsa_system_vgpr_workitem_id 2
		.amdhsa_next_free_vgpr 65
		.amdhsa_next_free_sgpr 28
		.amdhsa_named_barrier_count 0
		.amdhsa_reserve_vcc 1
		.amdhsa_float_round_mode_32 0
		.amdhsa_float_round_mode_16_64 0
		.amdhsa_float_denorm_mode_32 3
		.amdhsa_float_denorm_mode_16_64 3
		.amdhsa_fp16_overflow 0
		.amdhsa_memory_ordered 1
		.amdhsa_forward_progress 1
		.amdhsa_inst_pref_size 146
		.amdhsa_round_robin_scheduling 0
		.amdhsa_exception_fp_ieee_invalid_op 0
		.amdhsa_exception_fp_denorm_src 0
		.amdhsa_exception_fp_ieee_div_zero 0
		.amdhsa_exception_fp_ieee_overflow 0
		.amdhsa_exception_fp_ieee_underflow 0
		.amdhsa_exception_fp_ieee_inexact 0
		.amdhsa_exception_int_div_zero 0
	.end_amdhsa_kernel
	.section	.text._ZN7rocprim17ROCPRIM_400000_NS6detail17trampoline_kernelINS0_14default_configENS1_35radix_sort_onesweep_config_selectorI6__halfNS0_10empty_typeEEEZZNS1_29radix_sort_onesweep_iterationIS3_Lb0EPKS5_PS5_PS6_SC_mNS0_19identity_decomposerENS1_16block_id_wrapperIjLb0EEEEE10hipError_tT1_PNSt15iterator_traitsISH_E10value_typeET2_T3_PNSI_ISN_E10value_typeET4_T5_PSS_ST_PNS1_23onesweep_lookback_stateEbbT6_jjT7_P12ihipStream_tbENKUlT_T0_SH_SM_E_clISB_SB_SC_SC_EEDaS10_S11_SH_SM_EUlS10_E_NS1_11comp_targetILNS1_3genE0ELNS1_11target_archE4294967295ELNS1_3gpuE0ELNS1_3repE0EEENS1_47radix_sort_onesweep_sort_config_static_selectorELNS0_4arch9wavefront6targetE0EEEvSH_,"axG",@progbits,_ZN7rocprim17ROCPRIM_400000_NS6detail17trampoline_kernelINS0_14default_configENS1_35radix_sort_onesweep_config_selectorI6__halfNS0_10empty_typeEEEZZNS1_29radix_sort_onesweep_iterationIS3_Lb0EPKS5_PS5_PS6_SC_mNS0_19identity_decomposerENS1_16block_id_wrapperIjLb0EEEEE10hipError_tT1_PNSt15iterator_traitsISH_E10value_typeET2_T3_PNSI_ISN_E10value_typeET4_T5_PSS_ST_PNS1_23onesweep_lookback_stateEbbT6_jjT7_P12ihipStream_tbENKUlT_T0_SH_SM_E_clISB_SB_SC_SC_EEDaS10_S11_SH_SM_EUlS10_E_NS1_11comp_targetILNS1_3genE0ELNS1_11target_archE4294967295ELNS1_3gpuE0ELNS1_3repE0EEENS1_47radix_sort_onesweep_sort_config_static_selectorELNS0_4arch9wavefront6targetE0EEEvSH_,comdat
.Lfunc_end2277:
	.size	_ZN7rocprim17ROCPRIM_400000_NS6detail17trampoline_kernelINS0_14default_configENS1_35radix_sort_onesweep_config_selectorI6__halfNS0_10empty_typeEEEZZNS1_29radix_sort_onesweep_iterationIS3_Lb0EPKS5_PS5_PS6_SC_mNS0_19identity_decomposerENS1_16block_id_wrapperIjLb0EEEEE10hipError_tT1_PNSt15iterator_traitsISH_E10value_typeET2_T3_PNSI_ISN_E10value_typeET4_T5_PSS_ST_PNS1_23onesweep_lookback_stateEbbT6_jjT7_P12ihipStream_tbENKUlT_T0_SH_SM_E_clISB_SB_SC_SC_EEDaS10_S11_SH_SM_EUlS10_E_NS1_11comp_targetILNS1_3genE0ELNS1_11target_archE4294967295ELNS1_3gpuE0ELNS1_3repE0EEENS1_47radix_sort_onesweep_sort_config_static_selectorELNS0_4arch9wavefront6targetE0EEEvSH_, .Lfunc_end2277-_ZN7rocprim17ROCPRIM_400000_NS6detail17trampoline_kernelINS0_14default_configENS1_35radix_sort_onesweep_config_selectorI6__halfNS0_10empty_typeEEEZZNS1_29radix_sort_onesweep_iterationIS3_Lb0EPKS5_PS5_PS6_SC_mNS0_19identity_decomposerENS1_16block_id_wrapperIjLb0EEEEE10hipError_tT1_PNSt15iterator_traitsISH_E10value_typeET2_T3_PNSI_ISN_E10value_typeET4_T5_PSS_ST_PNS1_23onesweep_lookback_stateEbbT6_jjT7_P12ihipStream_tbENKUlT_T0_SH_SM_E_clISB_SB_SC_SC_EEDaS10_S11_SH_SM_EUlS10_E_NS1_11comp_targetILNS1_3genE0ELNS1_11target_archE4294967295ELNS1_3gpuE0ELNS1_3repE0EEENS1_47radix_sort_onesweep_sort_config_static_selectorELNS0_4arch9wavefront6targetE0EEEvSH_
                                        ; -- End function
	.set _ZN7rocprim17ROCPRIM_400000_NS6detail17trampoline_kernelINS0_14default_configENS1_35radix_sort_onesweep_config_selectorI6__halfNS0_10empty_typeEEEZZNS1_29radix_sort_onesweep_iterationIS3_Lb0EPKS5_PS5_PS6_SC_mNS0_19identity_decomposerENS1_16block_id_wrapperIjLb0EEEEE10hipError_tT1_PNSt15iterator_traitsISH_E10value_typeET2_T3_PNSI_ISN_E10value_typeET4_T5_PSS_ST_PNS1_23onesweep_lookback_stateEbbT6_jjT7_P12ihipStream_tbENKUlT_T0_SH_SM_E_clISB_SB_SC_SC_EEDaS10_S11_SH_SM_EUlS10_E_NS1_11comp_targetILNS1_3genE0ELNS1_11target_archE4294967295ELNS1_3gpuE0ELNS1_3repE0EEENS1_47radix_sort_onesweep_sort_config_static_selectorELNS0_4arch9wavefront6targetE0EEEvSH_.num_vgpr, 65
	.set _ZN7rocprim17ROCPRIM_400000_NS6detail17trampoline_kernelINS0_14default_configENS1_35radix_sort_onesweep_config_selectorI6__halfNS0_10empty_typeEEEZZNS1_29radix_sort_onesweep_iterationIS3_Lb0EPKS5_PS5_PS6_SC_mNS0_19identity_decomposerENS1_16block_id_wrapperIjLb0EEEEE10hipError_tT1_PNSt15iterator_traitsISH_E10value_typeET2_T3_PNSI_ISN_E10value_typeET4_T5_PSS_ST_PNS1_23onesweep_lookback_stateEbbT6_jjT7_P12ihipStream_tbENKUlT_T0_SH_SM_E_clISB_SB_SC_SC_EEDaS10_S11_SH_SM_EUlS10_E_NS1_11comp_targetILNS1_3genE0ELNS1_11target_archE4294967295ELNS1_3gpuE0ELNS1_3repE0EEENS1_47radix_sort_onesweep_sort_config_static_selectorELNS0_4arch9wavefront6targetE0EEEvSH_.num_agpr, 0
	.set _ZN7rocprim17ROCPRIM_400000_NS6detail17trampoline_kernelINS0_14default_configENS1_35radix_sort_onesweep_config_selectorI6__halfNS0_10empty_typeEEEZZNS1_29radix_sort_onesweep_iterationIS3_Lb0EPKS5_PS5_PS6_SC_mNS0_19identity_decomposerENS1_16block_id_wrapperIjLb0EEEEE10hipError_tT1_PNSt15iterator_traitsISH_E10value_typeET2_T3_PNSI_ISN_E10value_typeET4_T5_PSS_ST_PNS1_23onesweep_lookback_stateEbbT6_jjT7_P12ihipStream_tbENKUlT_T0_SH_SM_E_clISB_SB_SC_SC_EEDaS10_S11_SH_SM_EUlS10_E_NS1_11comp_targetILNS1_3genE0ELNS1_11target_archE4294967295ELNS1_3gpuE0ELNS1_3repE0EEENS1_47radix_sort_onesweep_sort_config_static_selectorELNS0_4arch9wavefront6targetE0EEEvSH_.numbered_sgpr, 28
	.set _ZN7rocprim17ROCPRIM_400000_NS6detail17trampoline_kernelINS0_14default_configENS1_35radix_sort_onesweep_config_selectorI6__halfNS0_10empty_typeEEEZZNS1_29radix_sort_onesweep_iterationIS3_Lb0EPKS5_PS5_PS6_SC_mNS0_19identity_decomposerENS1_16block_id_wrapperIjLb0EEEEE10hipError_tT1_PNSt15iterator_traitsISH_E10value_typeET2_T3_PNSI_ISN_E10value_typeET4_T5_PSS_ST_PNS1_23onesweep_lookback_stateEbbT6_jjT7_P12ihipStream_tbENKUlT_T0_SH_SM_E_clISB_SB_SC_SC_EEDaS10_S11_SH_SM_EUlS10_E_NS1_11comp_targetILNS1_3genE0ELNS1_11target_archE4294967295ELNS1_3gpuE0ELNS1_3repE0EEENS1_47radix_sort_onesweep_sort_config_static_selectorELNS0_4arch9wavefront6targetE0EEEvSH_.num_named_barrier, 0
	.set _ZN7rocprim17ROCPRIM_400000_NS6detail17trampoline_kernelINS0_14default_configENS1_35radix_sort_onesweep_config_selectorI6__halfNS0_10empty_typeEEEZZNS1_29radix_sort_onesweep_iterationIS3_Lb0EPKS5_PS5_PS6_SC_mNS0_19identity_decomposerENS1_16block_id_wrapperIjLb0EEEEE10hipError_tT1_PNSt15iterator_traitsISH_E10value_typeET2_T3_PNSI_ISN_E10value_typeET4_T5_PSS_ST_PNS1_23onesweep_lookback_stateEbbT6_jjT7_P12ihipStream_tbENKUlT_T0_SH_SM_E_clISB_SB_SC_SC_EEDaS10_S11_SH_SM_EUlS10_E_NS1_11comp_targetILNS1_3genE0ELNS1_11target_archE4294967295ELNS1_3gpuE0ELNS1_3repE0EEENS1_47radix_sort_onesweep_sort_config_static_selectorELNS0_4arch9wavefront6targetE0EEEvSH_.private_seg_size, 0
	.set _ZN7rocprim17ROCPRIM_400000_NS6detail17trampoline_kernelINS0_14default_configENS1_35radix_sort_onesweep_config_selectorI6__halfNS0_10empty_typeEEEZZNS1_29radix_sort_onesweep_iterationIS3_Lb0EPKS5_PS5_PS6_SC_mNS0_19identity_decomposerENS1_16block_id_wrapperIjLb0EEEEE10hipError_tT1_PNSt15iterator_traitsISH_E10value_typeET2_T3_PNSI_ISN_E10value_typeET4_T5_PSS_ST_PNS1_23onesweep_lookback_stateEbbT6_jjT7_P12ihipStream_tbENKUlT_T0_SH_SM_E_clISB_SB_SC_SC_EEDaS10_S11_SH_SM_EUlS10_E_NS1_11comp_targetILNS1_3genE0ELNS1_11target_archE4294967295ELNS1_3gpuE0ELNS1_3repE0EEENS1_47radix_sort_onesweep_sort_config_static_selectorELNS0_4arch9wavefront6targetE0EEEvSH_.uses_vcc, 1
	.set _ZN7rocprim17ROCPRIM_400000_NS6detail17trampoline_kernelINS0_14default_configENS1_35radix_sort_onesweep_config_selectorI6__halfNS0_10empty_typeEEEZZNS1_29radix_sort_onesweep_iterationIS3_Lb0EPKS5_PS5_PS6_SC_mNS0_19identity_decomposerENS1_16block_id_wrapperIjLb0EEEEE10hipError_tT1_PNSt15iterator_traitsISH_E10value_typeET2_T3_PNSI_ISN_E10value_typeET4_T5_PSS_ST_PNS1_23onesweep_lookback_stateEbbT6_jjT7_P12ihipStream_tbENKUlT_T0_SH_SM_E_clISB_SB_SC_SC_EEDaS10_S11_SH_SM_EUlS10_E_NS1_11comp_targetILNS1_3genE0ELNS1_11target_archE4294967295ELNS1_3gpuE0ELNS1_3repE0EEENS1_47radix_sort_onesweep_sort_config_static_selectorELNS0_4arch9wavefront6targetE0EEEvSH_.uses_flat_scratch, 0
	.set _ZN7rocprim17ROCPRIM_400000_NS6detail17trampoline_kernelINS0_14default_configENS1_35radix_sort_onesweep_config_selectorI6__halfNS0_10empty_typeEEEZZNS1_29radix_sort_onesweep_iterationIS3_Lb0EPKS5_PS5_PS6_SC_mNS0_19identity_decomposerENS1_16block_id_wrapperIjLb0EEEEE10hipError_tT1_PNSt15iterator_traitsISH_E10value_typeET2_T3_PNSI_ISN_E10value_typeET4_T5_PSS_ST_PNS1_23onesweep_lookback_stateEbbT6_jjT7_P12ihipStream_tbENKUlT_T0_SH_SM_E_clISB_SB_SC_SC_EEDaS10_S11_SH_SM_EUlS10_E_NS1_11comp_targetILNS1_3genE0ELNS1_11target_archE4294967295ELNS1_3gpuE0ELNS1_3repE0EEENS1_47radix_sort_onesweep_sort_config_static_selectorELNS0_4arch9wavefront6targetE0EEEvSH_.has_dyn_sized_stack, 0
	.set _ZN7rocprim17ROCPRIM_400000_NS6detail17trampoline_kernelINS0_14default_configENS1_35radix_sort_onesweep_config_selectorI6__halfNS0_10empty_typeEEEZZNS1_29radix_sort_onesweep_iterationIS3_Lb0EPKS5_PS5_PS6_SC_mNS0_19identity_decomposerENS1_16block_id_wrapperIjLb0EEEEE10hipError_tT1_PNSt15iterator_traitsISH_E10value_typeET2_T3_PNSI_ISN_E10value_typeET4_T5_PSS_ST_PNS1_23onesweep_lookback_stateEbbT6_jjT7_P12ihipStream_tbENKUlT_T0_SH_SM_E_clISB_SB_SC_SC_EEDaS10_S11_SH_SM_EUlS10_E_NS1_11comp_targetILNS1_3genE0ELNS1_11target_archE4294967295ELNS1_3gpuE0ELNS1_3repE0EEENS1_47radix_sort_onesweep_sort_config_static_selectorELNS0_4arch9wavefront6targetE0EEEvSH_.has_recursion, 0
	.set _ZN7rocprim17ROCPRIM_400000_NS6detail17trampoline_kernelINS0_14default_configENS1_35radix_sort_onesweep_config_selectorI6__halfNS0_10empty_typeEEEZZNS1_29radix_sort_onesweep_iterationIS3_Lb0EPKS5_PS5_PS6_SC_mNS0_19identity_decomposerENS1_16block_id_wrapperIjLb0EEEEE10hipError_tT1_PNSt15iterator_traitsISH_E10value_typeET2_T3_PNSI_ISN_E10value_typeET4_T5_PSS_ST_PNS1_23onesweep_lookback_stateEbbT6_jjT7_P12ihipStream_tbENKUlT_T0_SH_SM_E_clISB_SB_SC_SC_EEDaS10_S11_SH_SM_EUlS10_E_NS1_11comp_targetILNS1_3genE0ELNS1_11target_archE4294967295ELNS1_3gpuE0ELNS1_3repE0EEENS1_47radix_sort_onesweep_sort_config_static_selectorELNS0_4arch9wavefront6targetE0EEEvSH_.has_indirect_call, 0
	.section	.AMDGPU.csdata,"",@progbits
; Kernel info:
; codeLenInByte = 18632
; TotalNumSgprs: 30
; NumVgprs: 65
; ScratchSize: 0
; MemoryBound: 0
; FloatMode: 240
; IeeeMode: 1
; LDSByteSize: 18504 bytes/workgroup (compile time only)
; SGPRBlocks: 0
; VGPRBlocks: 4
; NumSGPRsForWavesPerEU: 30
; NumVGPRsForWavesPerEU: 65
; NamedBarCnt: 0
; Occupancy: 12
; WaveLimiterHint : 0
; COMPUTE_PGM_RSRC2:SCRATCH_EN: 0
; COMPUTE_PGM_RSRC2:USER_SGPR: 2
; COMPUTE_PGM_RSRC2:TRAP_HANDLER: 0
; COMPUTE_PGM_RSRC2:TGID_X_EN: 1
; COMPUTE_PGM_RSRC2:TGID_Y_EN: 0
; COMPUTE_PGM_RSRC2:TGID_Z_EN: 0
; COMPUTE_PGM_RSRC2:TIDIG_COMP_CNT: 2
	.section	.text._ZN7rocprim17ROCPRIM_400000_NS6detail17trampoline_kernelINS0_14default_configENS1_35radix_sort_onesweep_config_selectorI6__halfNS0_10empty_typeEEEZZNS1_29radix_sort_onesweep_iterationIS3_Lb0EPKS5_PS5_PS6_SC_mNS0_19identity_decomposerENS1_16block_id_wrapperIjLb0EEEEE10hipError_tT1_PNSt15iterator_traitsISH_E10value_typeET2_T3_PNSI_ISN_E10value_typeET4_T5_PSS_ST_PNS1_23onesweep_lookback_stateEbbT6_jjT7_P12ihipStream_tbENKUlT_T0_SH_SM_E_clISB_SB_SC_SC_EEDaS10_S11_SH_SM_EUlS10_E_NS1_11comp_targetILNS1_3genE6ELNS1_11target_archE950ELNS1_3gpuE13ELNS1_3repE0EEENS1_47radix_sort_onesweep_sort_config_static_selectorELNS0_4arch9wavefront6targetE0EEEvSH_,"axG",@progbits,_ZN7rocprim17ROCPRIM_400000_NS6detail17trampoline_kernelINS0_14default_configENS1_35radix_sort_onesweep_config_selectorI6__halfNS0_10empty_typeEEEZZNS1_29radix_sort_onesweep_iterationIS3_Lb0EPKS5_PS5_PS6_SC_mNS0_19identity_decomposerENS1_16block_id_wrapperIjLb0EEEEE10hipError_tT1_PNSt15iterator_traitsISH_E10value_typeET2_T3_PNSI_ISN_E10value_typeET4_T5_PSS_ST_PNS1_23onesweep_lookback_stateEbbT6_jjT7_P12ihipStream_tbENKUlT_T0_SH_SM_E_clISB_SB_SC_SC_EEDaS10_S11_SH_SM_EUlS10_E_NS1_11comp_targetILNS1_3genE6ELNS1_11target_archE950ELNS1_3gpuE13ELNS1_3repE0EEENS1_47radix_sort_onesweep_sort_config_static_selectorELNS0_4arch9wavefront6targetE0EEEvSH_,comdat
	.protected	_ZN7rocprim17ROCPRIM_400000_NS6detail17trampoline_kernelINS0_14default_configENS1_35radix_sort_onesweep_config_selectorI6__halfNS0_10empty_typeEEEZZNS1_29radix_sort_onesweep_iterationIS3_Lb0EPKS5_PS5_PS6_SC_mNS0_19identity_decomposerENS1_16block_id_wrapperIjLb0EEEEE10hipError_tT1_PNSt15iterator_traitsISH_E10value_typeET2_T3_PNSI_ISN_E10value_typeET4_T5_PSS_ST_PNS1_23onesweep_lookback_stateEbbT6_jjT7_P12ihipStream_tbENKUlT_T0_SH_SM_E_clISB_SB_SC_SC_EEDaS10_S11_SH_SM_EUlS10_E_NS1_11comp_targetILNS1_3genE6ELNS1_11target_archE950ELNS1_3gpuE13ELNS1_3repE0EEENS1_47radix_sort_onesweep_sort_config_static_selectorELNS0_4arch9wavefront6targetE0EEEvSH_ ; -- Begin function _ZN7rocprim17ROCPRIM_400000_NS6detail17trampoline_kernelINS0_14default_configENS1_35radix_sort_onesweep_config_selectorI6__halfNS0_10empty_typeEEEZZNS1_29radix_sort_onesweep_iterationIS3_Lb0EPKS5_PS5_PS6_SC_mNS0_19identity_decomposerENS1_16block_id_wrapperIjLb0EEEEE10hipError_tT1_PNSt15iterator_traitsISH_E10value_typeET2_T3_PNSI_ISN_E10value_typeET4_T5_PSS_ST_PNS1_23onesweep_lookback_stateEbbT6_jjT7_P12ihipStream_tbENKUlT_T0_SH_SM_E_clISB_SB_SC_SC_EEDaS10_S11_SH_SM_EUlS10_E_NS1_11comp_targetILNS1_3genE6ELNS1_11target_archE950ELNS1_3gpuE13ELNS1_3repE0EEENS1_47radix_sort_onesweep_sort_config_static_selectorELNS0_4arch9wavefront6targetE0EEEvSH_
	.globl	_ZN7rocprim17ROCPRIM_400000_NS6detail17trampoline_kernelINS0_14default_configENS1_35radix_sort_onesweep_config_selectorI6__halfNS0_10empty_typeEEEZZNS1_29radix_sort_onesweep_iterationIS3_Lb0EPKS5_PS5_PS6_SC_mNS0_19identity_decomposerENS1_16block_id_wrapperIjLb0EEEEE10hipError_tT1_PNSt15iterator_traitsISH_E10value_typeET2_T3_PNSI_ISN_E10value_typeET4_T5_PSS_ST_PNS1_23onesweep_lookback_stateEbbT6_jjT7_P12ihipStream_tbENKUlT_T0_SH_SM_E_clISB_SB_SC_SC_EEDaS10_S11_SH_SM_EUlS10_E_NS1_11comp_targetILNS1_3genE6ELNS1_11target_archE950ELNS1_3gpuE13ELNS1_3repE0EEENS1_47radix_sort_onesweep_sort_config_static_selectorELNS0_4arch9wavefront6targetE0EEEvSH_
	.p2align	8
	.type	_ZN7rocprim17ROCPRIM_400000_NS6detail17trampoline_kernelINS0_14default_configENS1_35radix_sort_onesweep_config_selectorI6__halfNS0_10empty_typeEEEZZNS1_29radix_sort_onesweep_iterationIS3_Lb0EPKS5_PS5_PS6_SC_mNS0_19identity_decomposerENS1_16block_id_wrapperIjLb0EEEEE10hipError_tT1_PNSt15iterator_traitsISH_E10value_typeET2_T3_PNSI_ISN_E10value_typeET4_T5_PSS_ST_PNS1_23onesweep_lookback_stateEbbT6_jjT7_P12ihipStream_tbENKUlT_T0_SH_SM_E_clISB_SB_SC_SC_EEDaS10_S11_SH_SM_EUlS10_E_NS1_11comp_targetILNS1_3genE6ELNS1_11target_archE950ELNS1_3gpuE13ELNS1_3repE0EEENS1_47radix_sort_onesweep_sort_config_static_selectorELNS0_4arch9wavefront6targetE0EEEvSH_,@function
_ZN7rocprim17ROCPRIM_400000_NS6detail17trampoline_kernelINS0_14default_configENS1_35radix_sort_onesweep_config_selectorI6__halfNS0_10empty_typeEEEZZNS1_29radix_sort_onesweep_iterationIS3_Lb0EPKS5_PS5_PS6_SC_mNS0_19identity_decomposerENS1_16block_id_wrapperIjLb0EEEEE10hipError_tT1_PNSt15iterator_traitsISH_E10value_typeET2_T3_PNSI_ISN_E10value_typeET4_T5_PSS_ST_PNS1_23onesweep_lookback_stateEbbT6_jjT7_P12ihipStream_tbENKUlT_T0_SH_SM_E_clISB_SB_SC_SC_EEDaS10_S11_SH_SM_EUlS10_E_NS1_11comp_targetILNS1_3genE6ELNS1_11target_archE950ELNS1_3gpuE13ELNS1_3repE0EEENS1_47radix_sort_onesweep_sort_config_static_selectorELNS0_4arch9wavefront6targetE0EEEvSH_: ; @_ZN7rocprim17ROCPRIM_400000_NS6detail17trampoline_kernelINS0_14default_configENS1_35radix_sort_onesweep_config_selectorI6__halfNS0_10empty_typeEEEZZNS1_29radix_sort_onesweep_iterationIS3_Lb0EPKS5_PS5_PS6_SC_mNS0_19identity_decomposerENS1_16block_id_wrapperIjLb0EEEEE10hipError_tT1_PNSt15iterator_traitsISH_E10value_typeET2_T3_PNSI_ISN_E10value_typeET4_T5_PSS_ST_PNS1_23onesweep_lookback_stateEbbT6_jjT7_P12ihipStream_tbENKUlT_T0_SH_SM_E_clISB_SB_SC_SC_EEDaS10_S11_SH_SM_EUlS10_E_NS1_11comp_targetILNS1_3genE6ELNS1_11target_archE950ELNS1_3gpuE13ELNS1_3repE0EEENS1_47radix_sort_onesweep_sort_config_static_selectorELNS0_4arch9wavefront6targetE0EEEvSH_
; %bb.0:
	.section	.rodata,"a",@progbits
	.p2align	6, 0x0
	.amdhsa_kernel _ZN7rocprim17ROCPRIM_400000_NS6detail17trampoline_kernelINS0_14default_configENS1_35radix_sort_onesweep_config_selectorI6__halfNS0_10empty_typeEEEZZNS1_29radix_sort_onesweep_iterationIS3_Lb0EPKS5_PS5_PS6_SC_mNS0_19identity_decomposerENS1_16block_id_wrapperIjLb0EEEEE10hipError_tT1_PNSt15iterator_traitsISH_E10value_typeET2_T3_PNSI_ISN_E10value_typeET4_T5_PSS_ST_PNS1_23onesweep_lookback_stateEbbT6_jjT7_P12ihipStream_tbENKUlT_T0_SH_SM_E_clISB_SB_SC_SC_EEDaS10_S11_SH_SM_EUlS10_E_NS1_11comp_targetILNS1_3genE6ELNS1_11target_archE950ELNS1_3gpuE13ELNS1_3repE0EEENS1_47radix_sort_onesweep_sort_config_static_selectorELNS0_4arch9wavefront6targetE0EEEvSH_
		.amdhsa_group_segment_fixed_size 0
		.amdhsa_private_segment_fixed_size 0
		.amdhsa_kernarg_size 88
		.amdhsa_user_sgpr_count 2
		.amdhsa_user_sgpr_dispatch_ptr 0
		.amdhsa_user_sgpr_queue_ptr 0
		.amdhsa_user_sgpr_kernarg_segment_ptr 1
		.amdhsa_user_sgpr_dispatch_id 0
		.amdhsa_user_sgpr_kernarg_preload_length 0
		.amdhsa_user_sgpr_kernarg_preload_offset 0
		.amdhsa_user_sgpr_private_segment_size 0
		.amdhsa_wavefront_size32 1
		.amdhsa_uses_dynamic_stack 0
		.amdhsa_enable_private_segment 0
		.amdhsa_system_sgpr_workgroup_id_x 1
		.amdhsa_system_sgpr_workgroup_id_y 0
		.amdhsa_system_sgpr_workgroup_id_z 0
		.amdhsa_system_sgpr_workgroup_info 0
		.amdhsa_system_vgpr_workitem_id 0
		.amdhsa_next_free_vgpr 1
		.amdhsa_next_free_sgpr 1
		.amdhsa_named_barrier_count 0
		.amdhsa_reserve_vcc 0
		.amdhsa_float_round_mode_32 0
		.amdhsa_float_round_mode_16_64 0
		.amdhsa_float_denorm_mode_32 3
		.amdhsa_float_denorm_mode_16_64 3
		.amdhsa_fp16_overflow 0
		.amdhsa_memory_ordered 1
		.amdhsa_forward_progress 1
		.amdhsa_inst_pref_size 0
		.amdhsa_round_robin_scheduling 0
		.amdhsa_exception_fp_ieee_invalid_op 0
		.amdhsa_exception_fp_denorm_src 0
		.amdhsa_exception_fp_ieee_div_zero 0
		.amdhsa_exception_fp_ieee_overflow 0
		.amdhsa_exception_fp_ieee_underflow 0
		.amdhsa_exception_fp_ieee_inexact 0
		.amdhsa_exception_int_div_zero 0
	.end_amdhsa_kernel
	.section	.text._ZN7rocprim17ROCPRIM_400000_NS6detail17trampoline_kernelINS0_14default_configENS1_35radix_sort_onesweep_config_selectorI6__halfNS0_10empty_typeEEEZZNS1_29radix_sort_onesweep_iterationIS3_Lb0EPKS5_PS5_PS6_SC_mNS0_19identity_decomposerENS1_16block_id_wrapperIjLb0EEEEE10hipError_tT1_PNSt15iterator_traitsISH_E10value_typeET2_T3_PNSI_ISN_E10value_typeET4_T5_PSS_ST_PNS1_23onesweep_lookback_stateEbbT6_jjT7_P12ihipStream_tbENKUlT_T0_SH_SM_E_clISB_SB_SC_SC_EEDaS10_S11_SH_SM_EUlS10_E_NS1_11comp_targetILNS1_3genE6ELNS1_11target_archE950ELNS1_3gpuE13ELNS1_3repE0EEENS1_47radix_sort_onesweep_sort_config_static_selectorELNS0_4arch9wavefront6targetE0EEEvSH_,"axG",@progbits,_ZN7rocprim17ROCPRIM_400000_NS6detail17trampoline_kernelINS0_14default_configENS1_35radix_sort_onesweep_config_selectorI6__halfNS0_10empty_typeEEEZZNS1_29radix_sort_onesweep_iterationIS3_Lb0EPKS5_PS5_PS6_SC_mNS0_19identity_decomposerENS1_16block_id_wrapperIjLb0EEEEE10hipError_tT1_PNSt15iterator_traitsISH_E10value_typeET2_T3_PNSI_ISN_E10value_typeET4_T5_PSS_ST_PNS1_23onesweep_lookback_stateEbbT6_jjT7_P12ihipStream_tbENKUlT_T0_SH_SM_E_clISB_SB_SC_SC_EEDaS10_S11_SH_SM_EUlS10_E_NS1_11comp_targetILNS1_3genE6ELNS1_11target_archE950ELNS1_3gpuE13ELNS1_3repE0EEENS1_47radix_sort_onesweep_sort_config_static_selectorELNS0_4arch9wavefront6targetE0EEEvSH_,comdat
.Lfunc_end2278:
	.size	_ZN7rocprim17ROCPRIM_400000_NS6detail17trampoline_kernelINS0_14default_configENS1_35radix_sort_onesweep_config_selectorI6__halfNS0_10empty_typeEEEZZNS1_29radix_sort_onesweep_iterationIS3_Lb0EPKS5_PS5_PS6_SC_mNS0_19identity_decomposerENS1_16block_id_wrapperIjLb0EEEEE10hipError_tT1_PNSt15iterator_traitsISH_E10value_typeET2_T3_PNSI_ISN_E10value_typeET4_T5_PSS_ST_PNS1_23onesweep_lookback_stateEbbT6_jjT7_P12ihipStream_tbENKUlT_T0_SH_SM_E_clISB_SB_SC_SC_EEDaS10_S11_SH_SM_EUlS10_E_NS1_11comp_targetILNS1_3genE6ELNS1_11target_archE950ELNS1_3gpuE13ELNS1_3repE0EEENS1_47radix_sort_onesweep_sort_config_static_selectorELNS0_4arch9wavefront6targetE0EEEvSH_, .Lfunc_end2278-_ZN7rocprim17ROCPRIM_400000_NS6detail17trampoline_kernelINS0_14default_configENS1_35radix_sort_onesweep_config_selectorI6__halfNS0_10empty_typeEEEZZNS1_29radix_sort_onesweep_iterationIS3_Lb0EPKS5_PS5_PS6_SC_mNS0_19identity_decomposerENS1_16block_id_wrapperIjLb0EEEEE10hipError_tT1_PNSt15iterator_traitsISH_E10value_typeET2_T3_PNSI_ISN_E10value_typeET4_T5_PSS_ST_PNS1_23onesweep_lookback_stateEbbT6_jjT7_P12ihipStream_tbENKUlT_T0_SH_SM_E_clISB_SB_SC_SC_EEDaS10_S11_SH_SM_EUlS10_E_NS1_11comp_targetILNS1_3genE6ELNS1_11target_archE950ELNS1_3gpuE13ELNS1_3repE0EEENS1_47radix_sort_onesweep_sort_config_static_selectorELNS0_4arch9wavefront6targetE0EEEvSH_
                                        ; -- End function
	.set _ZN7rocprim17ROCPRIM_400000_NS6detail17trampoline_kernelINS0_14default_configENS1_35radix_sort_onesweep_config_selectorI6__halfNS0_10empty_typeEEEZZNS1_29radix_sort_onesweep_iterationIS3_Lb0EPKS5_PS5_PS6_SC_mNS0_19identity_decomposerENS1_16block_id_wrapperIjLb0EEEEE10hipError_tT1_PNSt15iterator_traitsISH_E10value_typeET2_T3_PNSI_ISN_E10value_typeET4_T5_PSS_ST_PNS1_23onesweep_lookback_stateEbbT6_jjT7_P12ihipStream_tbENKUlT_T0_SH_SM_E_clISB_SB_SC_SC_EEDaS10_S11_SH_SM_EUlS10_E_NS1_11comp_targetILNS1_3genE6ELNS1_11target_archE950ELNS1_3gpuE13ELNS1_3repE0EEENS1_47radix_sort_onesweep_sort_config_static_selectorELNS0_4arch9wavefront6targetE0EEEvSH_.num_vgpr, 0
	.set _ZN7rocprim17ROCPRIM_400000_NS6detail17trampoline_kernelINS0_14default_configENS1_35radix_sort_onesweep_config_selectorI6__halfNS0_10empty_typeEEEZZNS1_29radix_sort_onesweep_iterationIS3_Lb0EPKS5_PS5_PS6_SC_mNS0_19identity_decomposerENS1_16block_id_wrapperIjLb0EEEEE10hipError_tT1_PNSt15iterator_traitsISH_E10value_typeET2_T3_PNSI_ISN_E10value_typeET4_T5_PSS_ST_PNS1_23onesweep_lookback_stateEbbT6_jjT7_P12ihipStream_tbENKUlT_T0_SH_SM_E_clISB_SB_SC_SC_EEDaS10_S11_SH_SM_EUlS10_E_NS1_11comp_targetILNS1_3genE6ELNS1_11target_archE950ELNS1_3gpuE13ELNS1_3repE0EEENS1_47radix_sort_onesweep_sort_config_static_selectorELNS0_4arch9wavefront6targetE0EEEvSH_.num_agpr, 0
	.set _ZN7rocprim17ROCPRIM_400000_NS6detail17trampoline_kernelINS0_14default_configENS1_35radix_sort_onesweep_config_selectorI6__halfNS0_10empty_typeEEEZZNS1_29radix_sort_onesweep_iterationIS3_Lb0EPKS5_PS5_PS6_SC_mNS0_19identity_decomposerENS1_16block_id_wrapperIjLb0EEEEE10hipError_tT1_PNSt15iterator_traitsISH_E10value_typeET2_T3_PNSI_ISN_E10value_typeET4_T5_PSS_ST_PNS1_23onesweep_lookback_stateEbbT6_jjT7_P12ihipStream_tbENKUlT_T0_SH_SM_E_clISB_SB_SC_SC_EEDaS10_S11_SH_SM_EUlS10_E_NS1_11comp_targetILNS1_3genE6ELNS1_11target_archE950ELNS1_3gpuE13ELNS1_3repE0EEENS1_47radix_sort_onesweep_sort_config_static_selectorELNS0_4arch9wavefront6targetE0EEEvSH_.numbered_sgpr, 0
	.set _ZN7rocprim17ROCPRIM_400000_NS6detail17trampoline_kernelINS0_14default_configENS1_35radix_sort_onesweep_config_selectorI6__halfNS0_10empty_typeEEEZZNS1_29radix_sort_onesweep_iterationIS3_Lb0EPKS5_PS5_PS6_SC_mNS0_19identity_decomposerENS1_16block_id_wrapperIjLb0EEEEE10hipError_tT1_PNSt15iterator_traitsISH_E10value_typeET2_T3_PNSI_ISN_E10value_typeET4_T5_PSS_ST_PNS1_23onesweep_lookback_stateEbbT6_jjT7_P12ihipStream_tbENKUlT_T0_SH_SM_E_clISB_SB_SC_SC_EEDaS10_S11_SH_SM_EUlS10_E_NS1_11comp_targetILNS1_3genE6ELNS1_11target_archE950ELNS1_3gpuE13ELNS1_3repE0EEENS1_47radix_sort_onesweep_sort_config_static_selectorELNS0_4arch9wavefront6targetE0EEEvSH_.num_named_barrier, 0
	.set _ZN7rocprim17ROCPRIM_400000_NS6detail17trampoline_kernelINS0_14default_configENS1_35radix_sort_onesweep_config_selectorI6__halfNS0_10empty_typeEEEZZNS1_29radix_sort_onesweep_iterationIS3_Lb0EPKS5_PS5_PS6_SC_mNS0_19identity_decomposerENS1_16block_id_wrapperIjLb0EEEEE10hipError_tT1_PNSt15iterator_traitsISH_E10value_typeET2_T3_PNSI_ISN_E10value_typeET4_T5_PSS_ST_PNS1_23onesweep_lookback_stateEbbT6_jjT7_P12ihipStream_tbENKUlT_T0_SH_SM_E_clISB_SB_SC_SC_EEDaS10_S11_SH_SM_EUlS10_E_NS1_11comp_targetILNS1_3genE6ELNS1_11target_archE950ELNS1_3gpuE13ELNS1_3repE0EEENS1_47radix_sort_onesweep_sort_config_static_selectorELNS0_4arch9wavefront6targetE0EEEvSH_.private_seg_size, 0
	.set _ZN7rocprim17ROCPRIM_400000_NS6detail17trampoline_kernelINS0_14default_configENS1_35radix_sort_onesweep_config_selectorI6__halfNS0_10empty_typeEEEZZNS1_29radix_sort_onesweep_iterationIS3_Lb0EPKS5_PS5_PS6_SC_mNS0_19identity_decomposerENS1_16block_id_wrapperIjLb0EEEEE10hipError_tT1_PNSt15iterator_traitsISH_E10value_typeET2_T3_PNSI_ISN_E10value_typeET4_T5_PSS_ST_PNS1_23onesweep_lookback_stateEbbT6_jjT7_P12ihipStream_tbENKUlT_T0_SH_SM_E_clISB_SB_SC_SC_EEDaS10_S11_SH_SM_EUlS10_E_NS1_11comp_targetILNS1_3genE6ELNS1_11target_archE950ELNS1_3gpuE13ELNS1_3repE0EEENS1_47radix_sort_onesweep_sort_config_static_selectorELNS0_4arch9wavefront6targetE0EEEvSH_.uses_vcc, 0
	.set _ZN7rocprim17ROCPRIM_400000_NS6detail17trampoline_kernelINS0_14default_configENS1_35radix_sort_onesweep_config_selectorI6__halfNS0_10empty_typeEEEZZNS1_29radix_sort_onesweep_iterationIS3_Lb0EPKS5_PS5_PS6_SC_mNS0_19identity_decomposerENS1_16block_id_wrapperIjLb0EEEEE10hipError_tT1_PNSt15iterator_traitsISH_E10value_typeET2_T3_PNSI_ISN_E10value_typeET4_T5_PSS_ST_PNS1_23onesweep_lookback_stateEbbT6_jjT7_P12ihipStream_tbENKUlT_T0_SH_SM_E_clISB_SB_SC_SC_EEDaS10_S11_SH_SM_EUlS10_E_NS1_11comp_targetILNS1_3genE6ELNS1_11target_archE950ELNS1_3gpuE13ELNS1_3repE0EEENS1_47radix_sort_onesweep_sort_config_static_selectorELNS0_4arch9wavefront6targetE0EEEvSH_.uses_flat_scratch, 0
	.set _ZN7rocprim17ROCPRIM_400000_NS6detail17trampoline_kernelINS0_14default_configENS1_35radix_sort_onesweep_config_selectorI6__halfNS0_10empty_typeEEEZZNS1_29radix_sort_onesweep_iterationIS3_Lb0EPKS5_PS5_PS6_SC_mNS0_19identity_decomposerENS1_16block_id_wrapperIjLb0EEEEE10hipError_tT1_PNSt15iterator_traitsISH_E10value_typeET2_T3_PNSI_ISN_E10value_typeET4_T5_PSS_ST_PNS1_23onesweep_lookback_stateEbbT6_jjT7_P12ihipStream_tbENKUlT_T0_SH_SM_E_clISB_SB_SC_SC_EEDaS10_S11_SH_SM_EUlS10_E_NS1_11comp_targetILNS1_3genE6ELNS1_11target_archE950ELNS1_3gpuE13ELNS1_3repE0EEENS1_47radix_sort_onesweep_sort_config_static_selectorELNS0_4arch9wavefront6targetE0EEEvSH_.has_dyn_sized_stack, 0
	.set _ZN7rocprim17ROCPRIM_400000_NS6detail17trampoline_kernelINS0_14default_configENS1_35radix_sort_onesweep_config_selectorI6__halfNS0_10empty_typeEEEZZNS1_29radix_sort_onesweep_iterationIS3_Lb0EPKS5_PS5_PS6_SC_mNS0_19identity_decomposerENS1_16block_id_wrapperIjLb0EEEEE10hipError_tT1_PNSt15iterator_traitsISH_E10value_typeET2_T3_PNSI_ISN_E10value_typeET4_T5_PSS_ST_PNS1_23onesweep_lookback_stateEbbT6_jjT7_P12ihipStream_tbENKUlT_T0_SH_SM_E_clISB_SB_SC_SC_EEDaS10_S11_SH_SM_EUlS10_E_NS1_11comp_targetILNS1_3genE6ELNS1_11target_archE950ELNS1_3gpuE13ELNS1_3repE0EEENS1_47radix_sort_onesweep_sort_config_static_selectorELNS0_4arch9wavefront6targetE0EEEvSH_.has_recursion, 0
	.set _ZN7rocprim17ROCPRIM_400000_NS6detail17trampoline_kernelINS0_14default_configENS1_35radix_sort_onesweep_config_selectorI6__halfNS0_10empty_typeEEEZZNS1_29radix_sort_onesweep_iterationIS3_Lb0EPKS5_PS5_PS6_SC_mNS0_19identity_decomposerENS1_16block_id_wrapperIjLb0EEEEE10hipError_tT1_PNSt15iterator_traitsISH_E10value_typeET2_T3_PNSI_ISN_E10value_typeET4_T5_PSS_ST_PNS1_23onesweep_lookback_stateEbbT6_jjT7_P12ihipStream_tbENKUlT_T0_SH_SM_E_clISB_SB_SC_SC_EEDaS10_S11_SH_SM_EUlS10_E_NS1_11comp_targetILNS1_3genE6ELNS1_11target_archE950ELNS1_3gpuE13ELNS1_3repE0EEENS1_47radix_sort_onesweep_sort_config_static_selectorELNS0_4arch9wavefront6targetE0EEEvSH_.has_indirect_call, 0
	.section	.AMDGPU.csdata,"",@progbits
; Kernel info:
; codeLenInByte = 0
; TotalNumSgprs: 0
; NumVgprs: 0
; ScratchSize: 0
; MemoryBound: 0
; FloatMode: 240
; IeeeMode: 1
; LDSByteSize: 0 bytes/workgroup (compile time only)
; SGPRBlocks: 0
; VGPRBlocks: 0
; NumSGPRsForWavesPerEU: 1
; NumVGPRsForWavesPerEU: 1
; NamedBarCnt: 0
; Occupancy: 16
; WaveLimiterHint : 0
; COMPUTE_PGM_RSRC2:SCRATCH_EN: 0
; COMPUTE_PGM_RSRC2:USER_SGPR: 2
; COMPUTE_PGM_RSRC2:TRAP_HANDLER: 0
; COMPUTE_PGM_RSRC2:TGID_X_EN: 1
; COMPUTE_PGM_RSRC2:TGID_Y_EN: 0
; COMPUTE_PGM_RSRC2:TGID_Z_EN: 0
; COMPUTE_PGM_RSRC2:TIDIG_COMP_CNT: 0
	.section	.text._ZN7rocprim17ROCPRIM_400000_NS6detail17trampoline_kernelINS0_14default_configENS1_35radix_sort_onesweep_config_selectorI6__halfNS0_10empty_typeEEEZZNS1_29radix_sort_onesweep_iterationIS3_Lb0EPKS5_PS5_PS6_SC_mNS0_19identity_decomposerENS1_16block_id_wrapperIjLb0EEEEE10hipError_tT1_PNSt15iterator_traitsISH_E10value_typeET2_T3_PNSI_ISN_E10value_typeET4_T5_PSS_ST_PNS1_23onesweep_lookback_stateEbbT6_jjT7_P12ihipStream_tbENKUlT_T0_SH_SM_E_clISB_SB_SC_SC_EEDaS10_S11_SH_SM_EUlS10_E_NS1_11comp_targetILNS1_3genE5ELNS1_11target_archE942ELNS1_3gpuE9ELNS1_3repE0EEENS1_47radix_sort_onesweep_sort_config_static_selectorELNS0_4arch9wavefront6targetE0EEEvSH_,"axG",@progbits,_ZN7rocprim17ROCPRIM_400000_NS6detail17trampoline_kernelINS0_14default_configENS1_35radix_sort_onesweep_config_selectorI6__halfNS0_10empty_typeEEEZZNS1_29radix_sort_onesweep_iterationIS3_Lb0EPKS5_PS5_PS6_SC_mNS0_19identity_decomposerENS1_16block_id_wrapperIjLb0EEEEE10hipError_tT1_PNSt15iterator_traitsISH_E10value_typeET2_T3_PNSI_ISN_E10value_typeET4_T5_PSS_ST_PNS1_23onesweep_lookback_stateEbbT6_jjT7_P12ihipStream_tbENKUlT_T0_SH_SM_E_clISB_SB_SC_SC_EEDaS10_S11_SH_SM_EUlS10_E_NS1_11comp_targetILNS1_3genE5ELNS1_11target_archE942ELNS1_3gpuE9ELNS1_3repE0EEENS1_47radix_sort_onesweep_sort_config_static_selectorELNS0_4arch9wavefront6targetE0EEEvSH_,comdat
	.protected	_ZN7rocprim17ROCPRIM_400000_NS6detail17trampoline_kernelINS0_14default_configENS1_35radix_sort_onesweep_config_selectorI6__halfNS0_10empty_typeEEEZZNS1_29radix_sort_onesweep_iterationIS3_Lb0EPKS5_PS5_PS6_SC_mNS0_19identity_decomposerENS1_16block_id_wrapperIjLb0EEEEE10hipError_tT1_PNSt15iterator_traitsISH_E10value_typeET2_T3_PNSI_ISN_E10value_typeET4_T5_PSS_ST_PNS1_23onesweep_lookback_stateEbbT6_jjT7_P12ihipStream_tbENKUlT_T0_SH_SM_E_clISB_SB_SC_SC_EEDaS10_S11_SH_SM_EUlS10_E_NS1_11comp_targetILNS1_3genE5ELNS1_11target_archE942ELNS1_3gpuE9ELNS1_3repE0EEENS1_47radix_sort_onesweep_sort_config_static_selectorELNS0_4arch9wavefront6targetE0EEEvSH_ ; -- Begin function _ZN7rocprim17ROCPRIM_400000_NS6detail17trampoline_kernelINS0_14default_configENS1_35radix_sort_onesweep_config_selectorI6__halfNS0_10empty_typeEEEZZNS1_29radix_sort_onesweep_iterationIS3_Lb0EPKS5_PS5_PS6_SC_mNS0_19identity_decomposerENS1_16block_id_wrapperIjLb0EEEEE10hipError_tT1_PNSt15iterator_traitsISH_E10value_typeET2_T3_PNSI_ISN_E10value_typeET4_T5_PSS_ST_PNS1_23onesweep_lookback_stateEbbT6_jjT7_P12ihipStream_tbENKUlT_T0_SH_SM_E_clISB_SB_SC_SC_EEDaS10_S11_SH_SM_EUlS10_E_NS1_11comp_targetILNS1_3genE5ELNS1_11target_archE942ELNS1_3gpuE9ELNS1_3repE0EEENS1_47radix_sort_onesweep_sort_config_static_selectorELNS0_4arch9wavefront6targetE0EEEvSH_
	.globl	_ZN7rocprim17ROCPRIM_400000_NS6detail17trampoline_kernelINS0_14default_configENS1_35radix_sort_onesweep_config_selectorI6__halfNS0_10empty_typeEEEZZNS1_29radix_sort_onesweep_iterationIS3_Lb0EPKS5_PS5_PS6_SC_mNS0_19identity_decomposerENS1_16block_id_wrapperIjLb0EEEEE10hipError_tT1_PNSt15iterator_traitsISH_E10value_typeET2_T3_PNSI_ISN_E10value_typeET4_T5_PSS_ST_PNS1_23onesweep_lookback_stateEbbT6_jjT7_P12ihipStream_tbENKUlT_T0_SH_SM_E_clISB_SB_SC_SC_EEDaS10_S11_SH_SM_EUlS10_E_NS1_11comp_targetILNS1_3genE5ELNS1_11target_archE942ELNS1_3gpuE9ELNS1_3repE0EEENS1_47radix_sort_onesweep_sort_config_static_selectorELNS0_4arch9wavefront6targetE0EEEvSH_
	.p2align	8
	.type	_ZN7rocprim17ROCPRIM_400000_NS6detail17trampoline_kernelINS0_14default_configENS1_35radix_sort_onesweep_config_selectorI6__halfNS0_10empty_typeEEEZZNS1_29radix_sort_onesweep_iterationIS3_Lb0EPKS5_PS5_PS6_SC_mNS0_19identity_decomposerENS1_16block_id_wrapperIjLb0EEEEE10hipError_tT1_PNSt15iterator_traitsISH_E10value_typeET2_T3_PNSI_ISN_E10value_typeET4_T5_PSS_ST_PNS1_23onesweep_lookback_stateEbbT6_jjT7_P12ihipStream_tbENKUlT_T0_SH_SM_E_clISB_SB_SC_SC_EEDaS10_S11_SH_SM_EUlS10_E_NS1_11comp_targetILNS1_3genE5ELNS1_11target_archE942ELNS1_3gpuE9ELNS1_3repE0EEENS1_47radix_sort_onesweep_sort_config_static_selectorELNS0_4arch9wavefront6targetE0EEEvSH_,@function
_ZN7rocprim17ROCPRIM_400000_NS6detail17trampoline_kernelINS0_14default_configENS1_35radix_sort_onesweep_config_selectorI6__halfNS0_10empty_typeEEEZZNS1_29radix_sort_onesweep_iterationIS3_Lb0EPKS5_PS5_PS6_SC_mNS0_19identity_decomposerENS1_16block_id_wrapperIjLb0EEEEE10hipError_tT1_PNSt15iterator_traitsISH_E10value_typeET2_T3_PNSI_ISN_E10value_typeET4_T5_PSS_ST_PNS1_23onesweep_lookback_stateEbbT6_jjT7_P12ihipStream_tbENKUlT_T0_SH_SM_E_clISB_SB_SC_SC_EEDaS10_S11_SH_SM_EUlS10_E_NS1_11comp_targetILNS1_3genE5ELNS1_11target_archE942ELNS1_3gpuE9ELNS1_3repE0EEENS1_47radix_sort_onesweep_sort_config_static_selectorELNS0_4arch9wavefront6targetE0EEEvSH_: ; @_ZN7rocprim17ROCPRIM_400000_NS6detail17trampoline_kernelINS0_14default_configENS1_35radix_sort_onesweep_config_selectorI6__halfNS0_10empty_typeEEEZZNS1_29radix_sort_onesweep_iterationIS3_Lb0EPKS5_PS5_PS6_SC_mNS0_19identity_decomposerENS1_16block_id_wrapperIjLb0EEEEE10hipError_tT1_PNSt15iterator_traitsISH_E10value_typeET2_T3_PNSI_ISN_E10value_typeET4_T5_PSS_ST_PNS1_23onesweep_lookback_stateEbbT6_jjT7_P12ihipStream_tbENKUlT_T0_SH_SM_E_clISB_SB_SC_SC_EEDaS10_S11_SH_SM_EUlS10_E_NS1_11comp_targetILNS1_3genE5ELNS1_11target_archE942ELNS1_3gpuE9ELNS1_3repE0EEENS1_47radix_sort_onesweep_sort_config_static_selectorELNS0_4arch9wavefront6targetE0EEEvSH_
; %bb.0:
	.section	.rodata,"a",@progbits
	.p2align	6, 0x0
	.amdhsa_kernel _ZN7rocprim17ROCPRIM_400000_NS6detail17trampoline_kernelINS0_14default_configENS1_35radix_sort_onesweep_config_selectorI6__halfNS0_10empty_typeEEEZZNS1_29radix_sort_onesweep_iterationIS3_Lb0EPKS5_PS5_PS6_SC_mNS0_19identity_decomposerENS1_16block_id_wrapperIjLb0EEEEE10hipError_tT1_PNSt15iterator_traitsISH_E10value_typeET2_T3_PNSI_ISN_E10value_typeET4_T5_PSS_ST_PNS1_23onesweep_lookback_stateEbbT6_jjT7_P12ihipStream_tbENKUlT_T0_SH_SM_E_clISB_SB_SC_SC_EEDaS10_S11_SH_SM_EUlS10_E_NS1_11comp_targetILNS1_3genE5ELNS1_11target_archE942ELNS1_3gpuE9ELNS1_3repE0EEENS1_47radix_sort_onesweep_sort_config_static_selectorELNS0_4arch9wavefront6targetE0EEEvSH_
		.amdhsa_group_segment_fixed_size 0
		.amdhsa_private_segment_fixed_size 0
		.amdhsa_kernarg_size 88
		.amdhsa_user_sgpr_count 2
		.amdhsa_user_sgpr_dispatch_ptr 0
		.amdhsa_user_sgpr_queue_ptr 0
		.amdhsa_user_sgpr_kernarg_segment_ptr 1
		.amdhsa_user_sgpr_dispatch_id 0
		.amdhsa_user_sgpr_kernarg_preload_length 0
		.amdhsa_user_sgpr_kernarg_preload_offset 0
		.amdhsa_user_sgpr_private_segment_size 0
		.amdhsa_wavefront_size32 1
		.amdhsa_uses_dynamic_stack 0
		.amdhsa_enable_private_segment 0
		.amdhsa_system_sgpr_workgroup_id_x 1
		.amdhsa_system_sgpr_workgroup_id_y 0
		.amdhsa_system_sgpr_workgroup_id_z 0
		.amdhsa_system_sgpr_workgroup_info 0
		.amdhsa_system_vgpr_workitem_id 0
		.amdhsa_next_free_vgpr 1
		.amdhsa_next_free_sgpr 1
		.amdhsa_named_barrier_count 0
		.amdhsa_reserve_vcc 0
		.amdhsa_float_round_mode_32 0
		.amdhsa_float_round_mode_16_64 0
		.amdhsa_float_denorm_mode_32 3
		.amdhsa_float_denorm_mode_16_64 3
		.amdhsa_fp16_overflow 0
		.amdhsa_memory_ordered 1
		.amdhsa_forward_progress 1
		.amdhsa_inst_pref_size 0
		.amdhsa_round_robin_scheduling 0
		.amdhsa_exception_fp_ieee_invalid_op 0
		.amdhsa_exception_fp_denorm_src 0
		.amdhsa_exception_fp_ieee_div_zero 0
		.amdhsa_exception_fp_ieee_overflow 0
		.amdhsa_exception_fp_ieee_underflow 0
		.amdhsa_exception_fp_ieee_inexact 0
		.amdhsa_exception_int_div_zero 0
	.end_amdhsa_kernel
	.section	.text._ZN7rocprim17ROCPRIM_400000_NS6detail17trampoline_kernelINS0_14default_configENS1_35radix_sort_onesweep_config_selectorI6__halfNS0_10empty_typeEEEZZNS1_29radix_sort_onesweep_iterationIS3_Lb0EPKS5_PS5_PS6_SC_mNS0_19identity_decomposerENS1_16block_id_wrapperIjLb0EEEEE10hipError_tT1_PNSt15iterator_traitsISH_E10value_typeET2_T3_PNSI_ISN_E10value_typeET4_T5_PSS_ST_PNS1_23onesweep_lookback_stateEbbT6_jjT7_P12ihipStream_tbENKUlT_T0_SH_SM_E_clISB_SB_SC_SC_EEDaS10_S11_SH_SM_EUlS10_E_NS1_11comp_targetILNS1_3genE5ELNS1_11target_archE942ELNS1_3gpuE9ELNS1_3repE0EEENS1_47radix_sort_onesweep_sort_config_static_selectorELNS0_4arch9wavefront6targetE0EEEvSH_,"axG",@progbits,_ZN7rocprim17ROCPRIM_400000_NS6detail17trampoline_kernelINS0_14default_configENS1_35radix_sort_onesweep_config_selectorI6__halfNS0_10empty_typeEEEZZNS1_29radix_sort_onesweep_iterationIS3_Lb0EPKS5_PS5_PS6_SC_mNS0_19identity_decomposerENS1_16block_id_wrapperIjLb0EEEEE10hipError_tT1_PNSt15iterator_traitsISH_E10value_typeET2_T3_PNSI_ISN_E10value_typeET4_T5_PSS_ST_PNS1_23onesweep_lookback_stateEbbT6_jjT7_P12ihipStream_tbENKUlT_T0_SH_SM_E_clISB_SB_SC_SC_EEDaS10_S11_SH_SM_EUlS10_E_NS1_11comp_targetILNS1_3genE5ELNS1_11target_archE942ELNS1_3gpuE9ELNS1_3repE0EEENS1_47radix_sort_onesweep_sort_config_static_selectorELNS0_4arch9wavefront6targetE0EEEvSH_,comdat
.Lfunc_end2279:
	.size	_ZN7rocprim17ROCPRIM_400000_NS6detail17trampoline_kernelINS0_14default_configENS1_35radix_sort_onesweep_config_selectorI6__halfNS0_10empty_typeEEEZZNS1_29radix_sort_onesweep_iterationIS3_Lb0EPKS5_PS5_PS6_SC_mNS0_19identity_decomposerENS1_16block_id_wrapperIjLb0EEEEE10hipError_tT1_PNSt15iterator_traitsISH_E10value_typeET2_T3_PNSI_ISN_E10value_typeET4_T5_PSS_ST_PNS1_23onesweep_lookback_stateEbbT6_jjT7_P12ihipStream_tbENKUlT_T0_SH_SM_E_clISB_SB_SC_SC_EEDaS10_S11_SH_SM_EUlS10_E_NS1_11comp_targetILNS1_3genE5ELNS1_11target_archE942ELNS1_3gpuE9ELNS1_3repE0EEENS1_47radix_sort_onesweep_sort_config_static_selectorELNS0_4arch9wavefront6targetE0EEEvSH_, .Lfunc_end2279-_ZN7rocprim17ROCPRIM_400000_NS6detail17trampoline_kernelINS0_14default_configENS1_35radix_sort_onesweep_config_selectorI6__halfNS0_10empty_typeEEEZZNS1_29radix_sort_onesweep_iterationIS3_Lb0EPKS5_PS5_PS6_SC_mNS0_19identity_decomposerENS1_16block_id_wrapperIjLb0EEEEE10hipError_tT1_PNSt15iterator_traitsISH_E10value_typeET2_T3_PNSI_ISN_E10value_typeET4_T5_PSS_ST_PNS1_23onesweep_lookback_stateEbbT6_jjT7_P12ihipStream_tbENKUlT_T0_SH_SM_E_clISB_SB_SC_SC_EEDaS10_S11_SH_SM_EUlS10_E_NS1_11comp_targetILNS1_3genE5ELNS1_11target_archE942ELNS1_3gpuE9ELNS1_3repE0EEENS1_47radix_sort_onesweep_sort_config_static_selectorELNS0_4arch9wavefront6targetE0EEEvSH_
                                        ; -- End function
	.set _ZN7rocprim17ROCPRIM_400000_NS6detail17trampoline_kernelINS0_14default_configENS1_35radix_sort_onesweep_config_selectorI6__halfNS0_10empty_typeEEEZZNS1_29radix_sort_onesweep_iterationIS3_Lb0EPKS5_PS5_PS6_SC_mNS0_19identity_decomposerENS1_16block_id_wrapperIjLb0EEEEE10hipError_tT1_PNSt15iterator_traitsISH_E10value_typeET2_T3_PNSI_ISN_E10value_typeET4_T5_PSS_ST_PNS1_23onesweep_lookback_stateEbbT6_jjT7_P12ihipStream_tbENKUlT_T0_SH_SM_E_clISB_SB_SC_SC_EEDaS10_S11_SH_SM_EUlS10_E_NS1_11comp_targetILNS1_3genE5ELNS1_11target_archE942ELNS1_3gpuE9ELNS1_3repE0EEENS1_47radix_sort_onesweep_sort_config_static_selectorELNS0_4arch9wavefront6targetE0EEEvSH_.num_vgpr, 0
	.set _ZN7rocprim17ROCPRIM_400000_NS6detail17trampoline_kernelINS0_14default_configENS1_35radix_sort_onesweep_config_selectorI6__halfNS0_10empty_typeEEEZZNS1_29radix_sort_onesweep_iterationIS3_Lb0EPKS5_PS5_PS6_SC_mNS0_19identity_decomposerENS1_16block_id_wrapperIjLb0EEEEE10hipError_tT1_PNSt15iterator_traitsISH_E10value_typeET2_T3_PNSI_ISN_E10value_typeET4_T5_PSS_ST_PNS1_23onesweep_lookback_stateEbbT6_jjT7_P12ihipStream_tbENKUlT_T0_SH_SM_E_clISB_SB_SC_SC_EEDaS10_S11_SH_SM_EUlS10_E_NS1_11comp_targetILNS1_3genE5ELNS1_11target_archE942ELNS1_3gpuE9ELNS1_3repE0EEENS1_47radix_sort_onesweep_sort_config_static_selectorELNS0_4arch9wavefront6targetE0EEEvSH_.num_agpr, 0
	.set _ZN7rocprim17ROCPRIM_400000_NS6detail17trampoline_kernelINS0_14default_configENS1_35radix_sort_onesweep_config_selectorI6__halfNS0_10empty_typeEEEZZNS1_29radix_sort_onesweep_iterationIS3_Lb0EPKS5_PS5_PS6_SC_mNS0_19identity_decomposerENS1_16block_id_wrapperIjLb0EEEEE10hipError_tT1_PNSt15iterator_traitsISH_E10value_typeET2_T3_PNSI_ISN_E10value_typeET4_T5_PSS_ST_PNS1_23onesweep_lookback_stateEbbT6_jjT7_P12ihipStream_tbENKUlT_T0_SH_SM_E_clISB_SB_SC_SC_EEDaS10_S11_SH_SM_EUlS10_E_NS1_11comp_targetILNS1_3genE5ELNS1_11target_archE942ELNS1_3gpuE9ELNS1_3repE0EEENS1_47radix_sort_onesweep_sort_config_static_selectorELNS0_4arch9wavefront6targetE0EEEvSH_.numbered_sgpr, 0
	.set _ZN7rocprim17ROCPRIM_400000_NS6detail17trampoline_kernelINS0_14default_configENS1_35radix_sort_onesweep_config_selectorI6__halfNS0_10empty_typeEEEZZNS1_29radix_sort_onesweep_iterationIS3_Lb0EPKS5_PS5_PS6_SC_mNS0_19identity_decomposerENS1_16block_id_wrapperIjLb0EEEEE10hipError_tT1_PNSt15iterator_traitsISH_E10value_typeET2_T3_PNSI_ISN_E10value_typeET4_T5_PSS_ST_PNS1_23onesweep_lookback_stateEbbT6_jjT7_P12ihipStream_tbENKUlT_T0_SH_SM_E_clISB_SB_SC_SC_EEDaS10_S11_SH_SM_EUlS10_E_NS1_11comp_targetILNS1_3genE5ELNS1_11target_archE942ELNS1_3gpuE9ELNS1_3repE0EEENS1_47radix_sort_onesweep_sort_config_static_selectorELNS0_4arch9wavefront6targetE0EEEvSH_.num_named_barrier, 0
	.set _ZN7rocprim17ROCPRIM_400000_NS6detail17trampoline_kernelINS0_14default_configENS1_35radix_sort_onesweep_config_selectorI6__halfNS0_10empty_typeEEEZZNS1_29radix_sort_onesweep_iterationIS3_Lb0EPKS5_PS5_PS6_SC_mNS0_19identity_decomposerENS1_16block_id_wrapperIjLb0EEEEE10hipError_tT1_PNSt15iterator_traitsISH_E10value_typeET2_T3_PNSI_ISN_E10value_typeET4_T5_PSS_ST_PNS1_23onesweep_lookback_stateEbbT6_jjT7_P12ihipStream_tbENKUlT_T0_SH_SM_E_clISB_SB_SC_SC_EEDaS10_S11_SH_SM_EUlS10_E_NS1_11comp_targetILNS1_3genE5ELNS1_11target_archE942ELNS1_3gpuE9ELNS1_3repE0EEENS1_47radix_sort_onesweep_sort_config_static_selectorELNS0_4arch9wavefront6targetE0EEEvSH_.private_seg_size, 0
	.set _ZN7rocprim17ROCPRIM_400000_NS6detail17trampoline_kernelINS0_14default_configENS1_35radix_sort_onesweep_config_selectorI6__halfNS0_10empty_typeEEEZZNS1_29radix_sort_onesweep_iterationIS3_Lb0EPKS5_PS5_PS6_SC_mNS0_19identity_decomposerENS1_16block_id_wrapperIjLb0EEEEE10hipError_tT1_PNSt15iterator_traitsISH_E10value_typeET2_T3_PNSI_ISN_E10value_typeET4_T5_PSS_ST_PNS1_23onesweep_lookback_stateEbbT6_jjT7_P12ihipStream_tbENKUlT_T0_SH_SM_E_clISB_SB_SC_SC_EEDaS10_S11_SH_SM_EUlS10_E_NS1_11comp_targetILNS1_3genE5ELNS1_11target_archE942ELNS1_3gpuE9ELNS1_3repE0EEENS1_47radix_sort_onesweep_sort_config_static_selectorELNS0_4arch9wavefront6targetE0EEEvSH_.uses_vcc, 0
	.set _ZN7rocprim17ROCPRIM_400000_NS6detail17trampoline_kernelINS0_14default_configENS1_35radix_sort_onesweep_config_selectorI6__halfNS0_10empty_typeEEEZZNS1_29radix_sort_onesweep_iterationIS3_Lb0EPKS5_PS5_PS6_SC_mNS0_19identity_decomposerENS1_16block_id_wrapperIjLb0EEEEE10hipError_tT1_PNSt15iterator_traitsISH_E10value_typeET2_T3_PNSI_ISN_E10value_typeET4_T5_PSS_ST_PNS1_23onesweep_lookback_stateEbbT6_jjT7_P12ihipStream_tbENKUlT_T0_SH_SM_E_clISB_SB_SC_SC_EEDaS10_S11_SH_SM_EUlS10_E_NS1_11comp_targetILNS1_3genE5ELNS1_11target_archE942ELNS1_3gpuE9ELNS1_3repE0EEENS1_47radix_sort_onesweep_sort_config_static_selectorELNS0_4arch9wavefront6targetE0EEEvSH_.uses_flat_scratch, 0
	.set _ZN7rocprim17ROCPRIM_400000_NS6detail17trampoline_kernelINS0_14default_configENS1_35radix_sort_onesweep_config_selectorI6__halfNS0_10empty_typeEEEZZNS1_29radix_sort_onesweep_iterationIS3_Lb0EPKS5_PS5_PS6_SC_mNS0_19identity_decomposerENS1_16block_id_wrapperIjLb0EEEEE10hipError_tT1_PNSt15iterator_traitsISH_E10value_typeET2_T3_PNSI_ISN_E10value_typeET4_T5_PSS_ST_PNS1_23onesweep_lookback_stateEbbT6_jjT7_P12ihipStream_tbENKUlT_T0_SH_SM_E_clISB_SB_SC_SC_EEDaS10_S11_SH_SM_EUlS10_E_NS1_11comp_targetILNS1_3genE5ELNS1_11target_archE942ELNS1_3gpuE9ELNS1_3repE0EEENS1_47radix_sort_onesweep_sort_config_static_selectorELNS0_4arch9wavefront6targetE0EEEvSH_.has_dyn_sized_stack, 0
	.set _ZN7rocprim17ROCPRIM_400000_NS6detail17trampoline_kernelINS0_14default_configENS1_35radix_sort_onesweep_config_selectorI6__halfNS0_10empty_typeEEEZZNS1_29radix_sort_onesweep_iterationIS3_Lb0EPKS5_PS5_PS6_SC_mNS0_19identity_decomposerENS1_16block_id_wrapperIjLb0EEEEE10hipError_tT1_PNSt15iterator_traitsISH_E10value_typeET2_T3_PNSI_ISN_E10value_typeET4_T5_PSS_ST_PNS1_23onesweep_lookback_stateEbbT6_jjT7_P12ihipStream_tbENKUlT_T0_SH_SM_E_clISB_SB_SC_SC_EEDaS10_S11_SH_SM_EUlS10_E_NS1_11comp_targetILNS1_3genE5ELNS1_11target_archE942ELNS1_3gpuE9ELNS1_3repE0EEENS1_47radix_sort_onesweep_sort_config_static_selectorELNS0_4arch9wavefront6targetE0EEEvSH_.has_recursion, 0
	.set _ZN7rocprim17ROCPRIM_400000_NS6detail17trampoline_kernelINS0_14default_configENS1_35radix_sort_onesweep_config_selectorI6__halfNS0_10empty_typeEEEZZNS1_29radix_sort_onesweep_iterationIS3_Lb0EPKS5_PS5_PS6_SC_mNS0_19identity_decomposerENS1_16block_id_wrapperIjLb0EEEEE10hipError_tT1_PNSt15iterator_traitsISH_E10value_typeET2_T3_PNSI_ISN_E10value_typeET4_T5_PSS_ST_PNS1_23onesweep_lookback_stateEbbT6_jjT7_P12ihipStream_tbENKUlT_T0_SH_SM_E_clISB_SB_SC_SC_EEDaS10_S11_SH_SM_EUlS10_E_NS1_11comp_targetILNS1_3genE5ELNS1_11target_archE942ELNS1_3gpuE9ELNS1_3repE0EEENS1_47radix_sort_onesweep_sort_config_static_selectorELNS0_4arch9wavefront6targetE0EEEvSH_.has_indirect_call, 0
	.section	.AMDGPU.csdata,"",@progbits
; Kernel info:
; codeLenInByte = 0
; TotalNumSgprs: 0
; NumVgprs: 0
; ScratchSize: 0
; MemoryBound: 0
; FloatMode: 240
; IeeeMode: 1
; LDSByteSize: 0 bytes/workgroup (compile time only)
; SGPRBlocks: 0
; VGPRBlocks: 0
; NumSGPRsForWavesPerEU: 1
; NumVGPRsForWavesPerEU: 1
; NamedBarCnt: 0
; Occupancy: 16
; WaveLimiterHint : 0
; COMPUTE_PGM_RSRC2:SCRATCH_EN: 0
; COMPUTE_PGM_RSRC2:USER_SGPR: 2
; COMPUTE_PGM_RSRC2:TRAP_HANDLER: 0
; COMPUTE_PGM_RSRC2:TGID_X_EN: 1
; COMPUTE_PGM_RSRC2:TGID_Y_EN: 0
; COMPUTE_PGM_RSRC2:TGID_Z_EN: 0
; COMPUTE_PGM_RSRC2:TIDIG_COMP_CNT: 0
	.section	.text._ZN7rocprim17ROCPRIM_400000_NS6detail17trampoline_kernelINS0_14default_configENS1_35radix_sort_onesweep_config_selectorI6__halfNS0_10empty_typeEEEZZNS1_29radix_sort_onesweep_iterationIS3_Lb0EPKS5_PS5_PS6_SC_mNS0_19identity_decomposerENS1_16block_id_wrapperIjLb0EEEEE10hipError_tT1_PNSt15iterator_traitsISH_E10value_typeET2_T3_PNSI_ISN_E10value_typeET4_T5_PSS_ST_PNS1_23onesweep_lookback_stateEbbT6_jjT7_P12ihipStream_tbENKUlT_T0_SH_SM_E_clISB_SB_SC_SC_EEDaS10_S11_SH_SM_EUlS10_E_NS1_11comp_targetILNS1_3genE2ELNS1_11target_archE906ELNS1_3gpuE6ELNS1_3repE0EEENS1_47radix_sort_onesweep_sort_config_static_selectorELNS0_4arch9wavefront6targetE0EEEvSH_,"axG",@progbits,_ZN7rocprim17ROCPRIM_400000_NS6detail17trampoline_kernelINS0_14default_configENS1_35radix_sort_onesweep_config_selectorI6__halfNS0_10empty_typeEEEZZNS1_29radix_sort_onesweep_iterationIS3_Lb0EPKS5_PS5_PS6_SC_mNS0_19identity_decomposerENS1_16block_id_wrapperIjLb0EEEEE10hipError_tT1_PNSt15iterator_traitsISH_E10value_typeET2_T3_PNSI_ISN_E10value_typeET4_T5_PSS_ST_PNS1_23onesweep_lookback_stateEbbT6_jjT7_P12ihipStream_tbENKUlT_T0_SH_SM_E_clISB_SB_SC_SC_EEDaS10_S11_SH_SM_EUlS10_E_NS1_11comp_targetILNS1_3genE2ELNS1_11target_archE906ELNS1_3gpuE6ELNS1_3repE0EEENS1_47radix_sort_onesweep_sort_config_static_selectorELNS0_4arch9wavefront6targetE0EEEvSH_,comdat
	.protected	_ZN7rocprim17ROCPRIM_400000_NS6detail17trampoline_kernelINS0_14default_configENS1_35radix_sort_onesweep_config_selectorI6__halfNS0_10empty_typeEEEZZNS1_29radix_sort_onesweep_iterationIS3_Lb0EPKS5_PS5_PS6_SC_mNS0_19identity_decomposerENS1_16block_id_wrapperIjLb0EEEEE10hipError_tT1_PNSt15iterator_traitsISH_E10value_typeET2_T3_PNSI_ISN_E10value_typeET4_T5_PSS_ST_PNS1_23onesweep_lookback_stateEbbT6_jjT7_P12ihipStream_tbENKUlT_T0_SH_SM_E_clISB_SB_SC_SC_EEDaS10_S11_SH_SM_EUlS10_E_NS1_11comp_targetILNS1_3genE2ELNS1_11target_archE906ELNS1_3gpuE6ELNS1_3repE0EEENS1_47radix_sort_onesweep_sort_config_static_selectorELNS0_4arch9wavefront6targetE0EEEvSH_ ; -- Begin function _ZN7rocprim17ROCPRIM_400000_NS6detail17trampoline_kernelINS0_14default_configENS1_35radix_sort_onesweep_config_selectorI6__halfNS0_10empty_typeEEEZZNS1_29radix_sort_onesweep_iterationIS3_Lb0EPKS5_PS5_PS6_SC_mNS0_19identity_decomposerENS1_16block_id_wrapperIjLb0EEEEE10hipError_tT1_PNSt15iterator_traitsISH_E10value_typeET2_T3_PNSI_ISN_E10value_typeET4_T5_PSS_ST_PNS1_23onesweep_lookback_stateEbbT6_jjT7_P12ihipStream_tbENKUlT_T0_SH_SM_E_clISB_SB_SC_SC_EEDaS10_S11_SH_SM_EUlS10_E_NS1_11comp_targetILNS1_3genE2ELNS1_11target_archE906ELNS1_3gpuE6ELNS1_3repE0EEENS1_47radix_sort_onesweep_sort_config_static_selectorELNS0_4arch9wavefront6targetE0EEEvSH_
	.globl	_ZN7rocprim17ROCPRIM_400000_NS6detail17trampoline_kernelINS0_14default_configENS1_35radix_sort_onesweep_config_selectorI6__halfNS0_10empty_typeEEEZZNS1_29radix_sort_onesweep_iterationIS3_Lb0EPKS5_PS5_PS6_SC_mNS0_19identity_decomposerENS1_16block_id_wrapperIjLb0EEEEE10hipError_tT1_PNSt15iterator_traitsISH_E10value_typeET2_T3_PNSI_ISN_E10value_typeET4_T5_PSS_ST_PNS1_23onesweep_lookback_stateEbbT6_jjT7_P12ihipStream_tbENKUlT_T0_SH_SM_E_clISB_SB_SC_SC_EEDaS10_S11_SH_SM_EUlS10_E_NS1_11comp_targetILNS1_3genE2ELNS1_11target_archE906ELNS1_3gpuE6ELNS1_3repE0EEENS1_47radix_sort_onesweep_sort_config_static_selectorELNS0_4arch9wavefront6targetE0EEEvSH_
	.p2align	8
	.type	_ZN7rocprim17ROCPRIM_400000_NS6detail17trampoline_kernelINS0_14default_configENS1_35radix_sort_onesweep_config_selectorI6__halfNS0_10empty_typeEEEZZNS1_29radix_sort_onesweep_iterationIS3_Lb0EPKS5_PS5_PS6_SC_mNS0_19identity_decomposerENS1_16block_id_wrapperIjLb0EEEEE10hipError_tT1_PNSt15iterator_traitsISH_E10value_typeET2_T3_PNSI_ISN_E10value_typeET4_T5_PSS_ST_PNS1_23onesweep_lookback_stateEbbT6_jjT7_P12ihipStream_tbENKUlT_T0_SH_SM_E_clISB_SB_SC_SC_EEDaS10_S11_SH_SM_EUlS10_E_NS1_11comp_targetILNS1_3genE2ELNS1_11target_archE906ELNS1_3gpuE6ELNS1_3repE0EEENS1_47radix_sort_onesweep_sort_config_static_selectorELNS0_4arch9wavefront6targetE0EEEvSH_,@function
_ZN7rocprim17ROCPRIM_400000_NS6detail17trampoline_kernelINS0_14default_configENS1_35radix_sort_onesweep_config_selectorI6__halfNS0_10empty_typeEEEZZNS1_29radix_sort_onesweep_iterationIS3_Lb0EPKS5_PS5_PS6_SC_mNS0_19identity_decomposerENS1_16block_id_wrapperIjLb0EEEEE10hipError_tT1_PNSt15iterator_traitsISH_E10value_typeET2_T3_PNSI_ISN_E10value_typeET4_T5_PSS_ST_PNS1_23onesweep_lookback_stateEbbT6_jjT7_P12ihipStream_tbENKUlT_T0_SH_SM_E_clISB_SB_SC_SC_EEDaS10_S11_SH_SM_EUlS10_E_NS1_11comp_targetILNS1_3genE2ELNS1_11target_archE906ELNS1_3gpuE6ELNS1_3repE0EEENS1_47radix_sort_onesweep_sort_config_static_selectorELNS0_4arch9wavefront6targetE0EEEvSH_: ; @_ZN7rocprim17ROCPRIM_400000_NS6detail17trampoline_kernelINS0_14default_configENS1_35radix_sort_onesweep_config_selectorI6__halfNS0_10empty_typeEEEZZNS1_29radix_sort_onesweep_iterationIS3_Lb0EPKS5_PS5_PS6_SC_mNS0_19identity_decomposerENS1_16block_id_wrapperIjLb0EEEEE10hipError_tT1_PNSt15iterator_traitsISH_E10value_typeET2_T3_PNSI_ISN_E10value_typeET4_T5_PSS_ST_PNS1_23onesweep_lookback_stateEbbT6_jjT7_P12ihipStream_tbENKUlT_T0_SH_SM_E_clISB_SB_SC_SC_EEDaS10_S11_SH_SM_EUlS10_E_NS1_11comp_targetILNS1_3genE2ELNS1_11target_archE906ELNS1_3gpuE6ELNS1_3repE0EEENS1_47radix_sort_onesweep_sort_config_static_selectorELNS0_4arch9wavefront6targetE0EEEvSH_
; %bb.0:
	.section	.rodata,"a",@progbits
	.p2align	6, 0x0
	.amdhsa_kernel _ZN7rocprim17ROCPRIM_400000_NS6detail17trampoline_kernelINS0_14default_configENS1_35radix_sort_onesweep_config_selectorI6__halfNS0_10empty_typeEEEZZNS1_29radix_sort_onesweep_iterationIS3_Lb0EPKS5_PS5_PS6_SC_mNS0_19identity_decomposerENS1_16block_id_wrapperIjLb0EEEEE10hipError_tT1_PNSt15iterator_traitsISH_E10value_typeET2_T3_PNSI_ISN_E10value_typeET4_T5_PSS_ST_PNS1_23onesweep_lookback_stateEbbT6_jjT7_P12ihipStream_tbENKUlT_T0_SH_SM_E_clISB_SB_SC_SC_EEDaS10_S11_SH_SM_EUlS10_E_NS1_11comp_targetILNS1_3genE2ELNS1_11target_archE906ELNS1_3gpuE6ELNS1_3repE0EEENS1_47radix_sort_onesweep_sort_config_static_selectorELNS0_4arch9wavefront6targetE0EEEvSH_
		.amdhsa_group_segment_fixed_size 0
		.amdhsa_private_segment_fixed_size 0
		.amdhsa_kernarg_size 88
		.amdhsa_user_sgpr_count 2
		.amdhsa_user_sgpr_dispatch_ptr 0
		.amdhsa_user_sgpr_queue_ptr 0
		.amdhsa_user_sgpr_kernarg_segment_ptr 1
		.amdhsa_user_sgpr_dispatch_id 0
		.amdhsa_user_sgpr_kernarg_preload_length 0
		.amdhsa_user_sgpr_kernarg_preload_offset 0
		.amdhsa_user_sgpr_private_segment_size 0
		.amdhsa_wavefront_size32 1
		.amdhsa_uses_dynamic_stack 0
		.amdhsa_enable_private_segment 0
		.amdhsa_system_sgpr_workgroup_id_x 1
		.amdhsa_system_sgpr_workgroup_id_y 0
		.amdhsa_system_sgpr_workgroup_id_z 0
		.amdhsa_system_sgpr_workgroup_info 0
		.amdhsa_system_vgpr_workitem_id 0
		.amdhsa_next_free_vgpr 1
		.amdhsa_next_free_sgpr 1
		.amdhsa_named_barrier_count 0
		.amdhsa_reserve_vcc 0
		.amdhsa_float_round_mode_32 0
		.amdhsa_float_round_mode_16_64 0
		.amdhsa_float_denorm_mode_32 3
		.amdhsa_float_denorm_mode_16_64 3
		.amdhsa_fp16_overflow 0
		.amdhsa_memory_ordered 1
		.amdhsa_forward_progress 1
		.amdhsa_inst_pref_size 0
		.amdhsa_round_robin_scheduling 0
		.amdhsa_exception_fp_ieee_invalid_op 0
		.amdhsa_exception_fp_denorm_src 0
		.amdhsa_exception_fp_ieee_div_zero 0
		.amdhsa_exception_fp_ieee_overflow 0
		.amdhsa_exception_fp_ieee_underflow 0
		.amdhsa_exception_fp_ieee_inexact 0
		.amdhsa_exception_int_div_zero 0
	.end_amdhsa_kernel
	.section	.text._ZN7rocprim17ROCPRIM_400000_NS6detail17trampoline_kernelINS0_14default_configENS1_35radix_sort_onesweep_config_selectorI6__halfNS0_10empty_typeEEEZZNS1_29radix_sort_onesweep_iterationIS3_Lb0EPKS5_PS5_PS6_SC_mNS0_19identity_decomposerENS1_16block_id_wrapperIjLb0EEEEE10hipError_tT1_PNSt15iterator_traitsISH_E10value_typeET2_T3_PNSI_ISN_E10value_typeET4_T5_PSS_ST_PNS1_23onesweep_lookback_stateEbbT6_jjT7_P12ihipStream_tbENKUlT_T0_SH_SM_E_clISB_SB_SC_SC_EEDaS10_S11_SH_SM_EUlS10_E_NS1_11comp_targetILNS1_3genE2ELNS1_11target_archE906ELNS1_3gpuE6ELNS1_3repE0EEENS1_47radix_sort_onesweep_sort_config_static_selectorELNS0_4arch9wavefront6targetE0EEEvSH_,"axG",@progbits,_ZN7rocprim17ROCPRIM_400000_NS6detail17trampoline_kernelINS0_14default_configENS1_35radix_sort_onesweep_config_selectorI6__halfNS0_10empty_typeEEEZZNS1_29radix_sort_onesweep_iterationIS3_Lb0EPKS5_PS5_PS6_SC_mNS0_19identity_decomposerENS1_16block_id_wrapperIjLb0EEEEE10hipError_tT1_PNSt15iterator_traitsISH_E10value_typeET2_T3_PNSI_ISN_E10value_typeET4_T5_PSS_ST_PNS1_23onesweep_lookback_stateEbbT6_jjT7_P12ihipStream_tbENKUlT_T0_SH_SM_E_clISB_SB_SC_SC_EEDaS10_S11_SH_SM_EUlS10_E_NS1_11comp_targetILNS1_3genE2ELNS1_11target_archE906ELNS1_3gpuE6ELNS1_3repE0EEENS1_47radix_sort_onesweep_sort_config_static_selectorELNS0_4arch9wavefront6targetE0EEEvSH_,comdat
.Lfunc_end2280:
	.size	_ZN7rocprim17ROCPRIM_400000_NS6detail17trampoline_kernelINS0_14default_configENS1_35radix_sort_onesweep_config_selectorI6__halfNS0_10empty_typeEEEZZNS1_29radix_sort_onesweep_iterationIS3_Lb0EPKS5_PS5_PS6_SC_mNS0_19identity_decomposerENS1_16block_id_wrapperIjLb0EEEEE10hipError_tT1_PNSt15iterator_traitsISH_E10value_typeET2_T3_PNSI_ISN_E10value_typeET4_T5_PSS_ST_PNS1_23onesweep_lookback_stateEbbT6_jjT7_P12ihipStream_tbENKUlT_T0_SH_SM_E_clISB_SB_SC_SC_EEDaS10_S11_SH_SM_EUlS10_E_NS1_11comp_targetILNS1_3genE2ELNS1_11target_archE906ELNS1_3gpuE6ELNS1_3repE0EEENS1_47radix_sort_onesweep_sort_config_static_selectorELNS0_4arch9wavefront6targetE0EEEvSH_, .Lfunc_end2280-_ZN7rocprim17ROCPRIM_400000_NS6detail17trampoline_kernelINS0_14default_configENS1_35radix_sort_onesweep_config_selectorI6__halfNS0_10empty_typeEEEZZNS1_29radix_sort_onesweep_iterationIS3_Lb0EPKS5_PS5_PS6_SC_mNS0_19identity_decomposerENS1_16block_id_wrapperIjLb0EEEEE10hipError_tT1_PNSt15iterator_traitsISH_E10value_typeET2_T3_PNSI_ISN_E10value_typeET4_T5_PSS_ST_PNS1_23onesweep_lookback_stateEbbT6_jjT7_P12ihipStream_tbENKUlT_T0_SH_SM_E_clISB_SB_SC_SC_EEDaS10_S11_SH_SM_EUlS10_E_NS1_11comp_targetILNS1_3genE2ELNS1_11target_archE906ELNS1_3gpuE6ELNS1_3repE0EEENS1_47radix_sort_onesweep_sort_config_static_selectorELNS0_4arch9wavefront6targetE0EEEvSH_
                                        ; -- End function
	.set _ZN7rocprim17ROCPRIM_400000_NS6detail17trampoline_kernelINS0_14default_configENS1_35radix_sort_onesweep_config_selectorI6__halfNS0_10empty_typeEEEZZNS1_29radix_sort_onesweep_iterationIS3_Lb0EPKS5_PS5_PS6_SC_mNS0_19identity_decomposerENS1_16block_id_wrapperIjLb0EEEEE10hipError_tT1_PNSt15iterator_traitsISH_E10value_typeET2_T3_PNSI_ISN_E10value_typeET4_T5_PSS_ST_PNS1_23onesweep_lookback_stateEbbT6_jjT7_P12ihipStream_tbENKUlT_T0_SH_SM_E_clISB_SB_SC_SC_EEDaS10_S11_SH_SM_EUlS10_E_NS1_11comp_targetILNS1_3genE2ELNS1_11target_archE906ELNS1_3gpuE6ELNS1_3repE0EEENS1_47radix_sort_onesweep_sort_config_static_selectorELNS0_4arch9wavefront6targetE0EEEvSH_.num_vgpr, 0
	.set _ZN7rocprim17ROCPRIM_400000_NS6detail17trampoline_kernelINS0_14default_configENS1_35radix_sort_onesweep_config_selectorI6__halfNS0_10empty_typeEEEZZNS1_29radix_sort_onesweep_iterationIS3_Lb0EPKS5_PS5_PS6_SC_mNS0_19identity_decomposerENS1_16block_id_wrapperIjLb0EEEEE10hipError_tT1_PNSt15iterator_traitsISH_E10value_typeET2_T3_PNSI_ISN_E10value_typeET4_T5_PSS_ST_PNS1_23onesweep_lookback_stateEbbT6_jjT7_P12ihipStream_tbENKUlT_T0_SH_SM_E_clISB_SB_SC_SC_EEDaS10_S11_SH_SM_EUlS10_E_NS1_11comp_targetILNS1_3genE2ELNS1_11target_archE906ELNS1_3gpuE6ELNS1_3repE0EEENS1_47radix_sort_onesweep_sort_config_static_selectorELNS0_4arch9wavefront6targetE0EEEvSH_.num_agpr, 0
	.set _ZN7rocprim17ROCPRIM_400000_NS6detail17trampoline_kernelINS0_14default_configENS1_35radix_sort_onesweep_config_selectorI6__halfNS0_10empty_typeEEEZZNS1_29radix_sort_onesweep_iterationIS3_Lb0EPKS5_PS5_PS6_SC_mNS0_19identity_decomposerENS1_16block_id_wrapperIjLb0EEEEE10hipError_tT1_PNSt15iterator_traitsISH_E10value_typeET2_T3_PNSI_ISN_E10value_typeET4_T5_PSS_ST_PNS1_23onesweep_lookback_stateEbbT6_jjT7_P12ihipStream_tbENKUlT_T0_SH_SM_E_clISB_SB_SC_SC_EEDaS10_S11_SH_SM_EUlS10_E_NS1_11comp_targetILNS1_3genE2ELNS1_11target_archE906ELNS1_3gpuE6ELNS1_3repE0EEENS1_47radix_sort_onesweep_sort_config_static_selectorELNS0_4arch9wavefront6targetE0EEEvSH_.numbered_sgpr, 0
	.set _ZN7rocprim17ROCPRIM_400000_NS6detail17trampoline_kernelINS0_14default_configENS1_35radix_sort_onesweep_config_selectorI6__halfNS0_10empty_typeEEEZZNS1_29radix_sort_onesweep_iterationIS3_Lb0EPKS5_PS5_PS6_SC_mNS0_19identity_decomposerENS1_16block_id_wrapperIjLb0EEEEE10hipError_tT1_PNSt15iterator_traitsISH_E10value_typeET2_T3_PNSI_ISN_E10value_typeET4_T5_PSS_ST_PNS1_23onesweep_lookback_stateEbbT6_jjT7_P12ihipStream_tbENKUlT_T0_SH_SM_E_clISB_SB_SC_SC_EEDaS10_S11_SH_SM_EUlS10_E_NS1_11comp_targetILNS1_3genE2ELNS1_11target_archE906ELNS1_3gpuE6ELNS1_3repE0EEENS1_47radix_sort_onesweep_sort_config_static_selectorELNS0_4arch9wavefront6targetE0EEEvSH_.num_named_barrier, 0
	.set _ZN7rocprim17ROCPRIM_400000_NS6detail17trampoline_kernelINS0_14default_configENS1_35radix_sort_onesweep_config_selectorI6__halfNS0_10empty_typeEEEZZNS1_29radix_sort_onesweep_iterationIS3_Lb0EPKS5_PS5_PS6_SC_mNS0_19identity_decomposerENS1_16block_id_wrapperIjLb0EEEEE10hipError_tT1_PNSt15iterator_traitsISH_E10value_typeET2_T3_PNSI_ISN_E10value_typeET4_T5_PSS_ST_PNS1_23onesweep_lookback_stateEbbT6_jjT7_P12ihipStream_tbENKUlT_T0_SH_SM_E_clISB_SB_SC_SC_EEDaS10_S11_SH_SM_EUlS10_E_NS1_11comp_targetILNS1_3genE2ELNS1_11target_archE906ELNS1_3gpuE6ELNS1_3repE0EEENS1_47radix_sort_onesweep_sort_config_static_selectorELNS0_4arch9wavefront6targetE0EEEvSH_.private_seg_size, 0
	.set _ZN7rocprim17ROCPRIM_400000_NS6detail17trampoline_kernelINS0_14default_configENS1_35radix_sort_onesweep_config_selectorI6__halfNS0_10empty_typeEEEZZNS1_29radix_sort_onesweep_iterationIS3_Lb0EPKS5_PS5_PS6_SC_mNS0_19identity_decomposerENS1_16block_id_wrapperIjLb0EEEEE10hipError_tT1_PNSt15iterator_traitsISH_E10value_typeET2_T3_PNSI_ISN_E10value_typeET4_T5_PSS_ST_PNS1_23onesweep_lookback_stateEbbT6_jjT7_P12ihipStream_tbENKUlT_T0_SH_SM_E_clISB_SB_SC_SC_EEDaS10_S11_SH_SM_EUlS10_E_NS1_11comp_targetILNS1_3genE2ELNS1_11target_archE906ELNS1_3gpuE6ELNS1_3repE0EEENS1_47radix_sort_onesweep_sort_config_static_selectorELNS0_4arch9wavefront6targetE0EEEvSH_.uses_vcc, 0
	.set _ZN7rocprim17ROCPRIM_400000_NS6detail17trampoline_kernelINS0_14default_configENS1_35radix_sort_onesweep_config_selectorI6__halfNS0_10empty_typeEEEZZNS1_29radix_sort_onesweep_iterationIS3_Lb0EPKS5_PS5_PS6_SC_mNS0_19identity_decomposerENS1_16block_id_wrapperIjLb0EEEEE10hipError_tT1_PNSt15iterator_traitsISH_E10value_typeET2_T3_PNSI_ISN_E10value_typeET4_T5_PSS_ST_PNS1_23onesweep_lookback_stateEbbT6_jjT7_P12ihipStream_tbENKUlT_T0_SH_SM_E_clISB_SB_SC_SC_EEDaS10_S11_SH_SM_EUlS10_E_NS1_11comp_targetILNS1_3genE2ELNS1_11target_archE906ELNS1_3gpuE6ELNS1_3repE0EEENS1_47radix_sort_onesweep_sort_config_static_selectorELNS0_4arch9wavefront6targetE0EEEvSH_.uses_flat_scratch, 0
	.set _ZN7rocprim17ROCPRIM_400000_NS6detail17trampoline_kernelINS0_14default_configENS1_35radix_sort_onesweep_config_selectorI6__halfNS0_10empty_typeEEEZZNS1_29radix_sort_onesweep_iterationIS3_Lb0EPKS5_PS5_PS6_SC_mNS0_19identity_decomposerENS1_16block_id_wrapperIjLb0EEEEE10hipError_tT1_PNSt15iterator_traitsISH_E10value_typeET2_T3_PNSI_ISN_E10value_typeET4_T5_PSS_ST_PNS1_23onesweep_lookback_stateEbbT6_jjT7_P12ihipStream_tbENKUlT_T0_SH_SM_E_clISB_SB_SC_SC_EEDaS10_S11_SH_SM_EUlS10_E_NS1_11comp_targetILNS1_3genE2ELNS1_11target_archE906ELNS1_3gpuE6ELNS1_3repE0EEENS1_47radix_sort_onesweep_sort_config_static_selectorELNS0_4arch9wavefront6targetE0EEEvSH_.has_dyn_sized_stack, 0
	.set _ZN7rocprim17ROCPRIM_400000_NS6detail17trampoline_kernelINS0_14default_configENS1_35radix_sort_onesweep_config_selectorI6__halfNS0_10empty_typeEEEZZNS1_29radix_sort_onesweep_iterationIS3_Lb0EPKS5_PS5_PS6_SC_mNS0_19identity_decomposerENS1_16block_id_wrapperIjLb0EEEEE10hipError_tT1_PNSt15iterator_traitsISH_E10value_typeET2_T3_PNSI_ISN_E10value_typeET4_T5_PSS_ST_PNS1_23onesweep_lookback_stateEbbT6_jjT7_P12ihipStream_tbENKUlT_T0_SH_SM_E_clISB_SB_SC_SC_EEDaS10_S11_SH_SM_EUlS10_E_NS1_11comp_targetILNS1_3genE2ELNS1_11target_archE906ELNS1_3gpuE6ELNS1_3repE0EEENS1_47radix_sort_onesweep_sort_config_static_selectorELNS0_4arch9wavefront6targetE0EEEvSH_.has_recursion, 0
	.set _ZN7rocprim17ROCPRIM_400000_NS6detail17trampoline_kernelINS0_14default_configENS1_35radix_sort_onesweep_config_selectorI6__halfNS0_10empty_typeEEEZZNS1_29radix_sort_onesweep_iterationIS3_Lb0EPKS5_PS5_PS6_SC_mNS0_19identity_decomposerENS1_16block_id_wrapperIjLb0EEEEE10hipError_tT1_PNSt15iterator_traitsISH_E10value_typeET2_T3_PNSI_ISN_E10value_typeET4_T5_PSS_ST_PNS1_23onesweep_lookback_stateEbbT6_jjT7_P12ihipStream_tbENKUlT_T0_SH_SM_E_clISB_SB_SC_SC_EEDaS10_S11_SH_SM_EUlS10_E_NS1_11comp_targetILNS1_3genE2ELNS1_11target_archE906ELNS1_3gpuE6ELNS1_3repE0EEENS1_47radix_sort_onesweep_sort_config_static_selectorELNS0_4arch9wavefront6targetE0EEEvSH_.has_indirect_call, 0
	.section	.AMDGPU.csdata,"",@progbits
; Kernel info:
; codeLenInByte = 0
; TotalNumSgprs: 0
; NumVgprs: 0
; ScratchSize: 0
; MemoryBound: 0
; FloatMode: 240
; IeeeMode: 1
; LDSByteSize: 0 bytes/workgroup (compile time only)
; SGPRBlocks: 0
; VGPRBlocks: 0
; NumSGPRsForWavesPerEU: 1
; NumVGPRsForWavesPerEU: 1
; NamedBarCnt: 0
; Occupancy: 16
; WaveLimiterHint : 0
; COMPUTE_PGM_RSRC2:SCRATCH_EN: 0
; COMPUTE_PGM_RSRC2:USER_SGPR: 2
; COMPUTE_PGM_RSRC2:TRAP_HANDLER: 0
; COMPUTE_PGM_RSRC2:TGID_X_EN: 1
; COMPUTE_PGM_RSRC2:TGID_Y_EN: 0
; COMPUTE_PGM_RSRC2:TGID_Z_EN: 0
; COMPUTE_PGM_RSRC2:TIDIG_COMP_CNT: 0
	.section	.text._ZN7rocprim17ROCPRIM_400000_NS6detail17trampoline_kernelINS0_14default_configENS1_35radix_sort_onesweep_config_selectorI6__halfNS0_10empty_typeEEEZZNS1_29radix_sort_onesweep_iterationIS3_Lb0EPKS5_PS5_PS6_SC_mNS0_19identity_decomposerENS1_16block_id_wrapperIjLb0EEEEE10hipError_tT1_PNSt15iterator_traitsISH_E10value_typeET2_T3_PNSI_ISN_E10value_typeET4_T5_PSS_ST_PNS1_23onesweep_lookback_stateEbbT6_jjT7_P12ihipStream_tbENKUlT_T0_SH_SM_E_clISB_SB_SC_SC_EEDaS10_S11_SH_SM_EUlS10_E_NS1_11comp_targetILNS1_3genE4ELNS1_11target_archE910ELNS1_3gpuE8ELNS1_3repE0EEENS1_47radix_sort_onesweep_sort_config_static_selectorELNS0_4arch9wavefront6targetE0EEEvSH_,"axG",@progbits,_ZN7rocprim17ROCPRIM_400000_NS6detail17trampoline_kernelINS0_14default_configENS1_35radix_sort_onesweep_config_selectorI6__halfNS0_10empty_typeEEEZZNS1_29radix_sort_onesweep_iterationIS3_Lb0EPKS5_PS5_PS6_SC_mNS0_19identity_decomposerENS1_16block_id_wrapperIjLb0EEEEE10hipError_tT1_PNSt15iterator_traitsISH_E10value_typeET2_T3_PNSI_ISN_E10value_typeET4_T5_PSS_ST_PNS1_23onesweep_lookback_stateEbbT6_jjT7_P12ihipStream_tbENKUlT_T0_SH_SM_E_clISB_SB_SC_SC_EEDaS10_S11_SH_SM_EUlS10_E_NS1_11comp_targetILNS1_3genE4ELNS1_11target_archE910ELNS1_3gpuE8ELNS1_3repE0EEENS1_47radix_sort_onesweep_sort_config_static_selectorELNS0_4arch9wavefront6targetE0EEEvSH_,comdat
	.protected	_ZN7rocprim17ROCPRIM_400000_NS6detail17trampoline_kernelINS0_14default_configENS1_35radix_sort_onesweep_config_selectorI6__halfNS0_10empty_typeEEEZZNS1_29radix_sort_onesweep_iterationIS3_Lb0EPKS5_PS5_PS6_SC_mNS0_19identity_decomposerENS1_16block_id_wrapperIjLb0EEEEE10hipError_tT1_PNSt15iterator_traitsISH_E10value_typeET2_T3_PNSI_ISN_E10value_typeET4_T5_PSS_ST_PNS1_23onesweep_lookback_stateEbbT6_jjT7_P12ihipStream_tbENKUlT_T0_SH_SM_E_clISB_SB_SC_SC_EEDaS10_S11_SH_SM_EUlS10_E_NS1_11comp_targetILNS1_3genE4ELNS1_11target_archE910ELNS1_3gpuE8ELNS1_3repE0EEENS1_47radix_sort_onesweep_sort_config_static_selectorELNS0_4arch9wavefront6targetE0EEEvSH_ ; -- Begin function _ZN7rocprim17ROCPRIM_400000_NS6detail17trampoline_kernelINS0_14default_configENS1_35radix_sort_onesweep_config_selectorI6__halfNS0_10empty_typeEEEZZNS1_29radix_sort_onesweep_iterationIS3_Lb0EPKS5_PS5_PS6_SC_mNS0_19identity_decomposerENS1_16block_id_wrapperIjLb0EEEEE10hipError_tT1_PNSt15iterator_traitsISH_E10value_typeET2_T3_PNSI_ISN_E10value_typeET4_T5_PSS_ST_PNS1_23onesweep_lookback_stateEbbT6_jjT7_P12ihipStream_tbENKUlT_T0_SH_SM_E_clISB_SB_SC_SC_EEDaS10_S11_SH_SM_EUlS10_E_NS1_11comp_targetILNS1_3genE4ELNS1_11target_archE910ELNS1_3gpuE8ELNS1_3repE0EEENS1_47radix_sort_onesweep_sort_config_static_selectorELNS0_4arch9wavefront6targetE0EEEvSH_
	.globl	_ZN7rocprim17ROCPRIM_400000_NS6detail17trampoline_kernelINS0_14default_configENS1_35radix_sort_onesweep_config_selectorI6__halfNS0_10empty_typeEEEZZNS1_29radix_sort_onesweep_iterationIS3_Lb0EPKS5_PS5_PS6_SC_mNS0_19identity_decomposerENS1_16block_id_wrapperIjLb0EEEEE10hipError_tT1_PNSt15iterator_traitsISH_E10value_typeET2_T3_PNSI_ISN_E10value_typeET4_T5_PSS_ST_PNS1_23onesweep_lookback_stateEbbT6_jjT7_P12ihipStream_tbENKUlT_T0_SH_SM_E_clISB_SB_SC_SC_EEDaS10_S11_SH_SM_EUlS10_E_NS1_11comp_targetILNS1_3genE4ELNS1_11target_archE910ELNS1_3gpuE8ELNS1_3repE0EEENS1_47radix_sort_onesweep_sort_config_static_selectorELNS0_4arch9wavefront6targetE0EEEvSH_
	.p2align	8
	.type	_ZN7rocprim17ROCPRIM_400000_NS6detail17trampoline_kernelINS0_14default_configENS1_35radix_sort_onesweep_config_selectorI6__halfNS0_10empty_typeEEEZZNS1_29radix_sort_onesweep_iterationIS3_Lb0EPKS5_PS5_PS6_SC_mNS0_19identity_decomposerENS1_16block_id_wrapperIjLb0EEEEE10hipError_tT1_PNSt15iterator_traitsISH_E10value_typeET2_T3_PNSI_ISN_E10value_typeET4_T5_PSS_ST_PNS1_23onesweep_lookback_stateEbbT6_jjT7_P12ihipStream_tbENKUlT_T0_SH_SM_E_clISB_SB_SC_SC_EEDaS10_S11_SH_SM_EUlS10_E_NS1_11comp_targetILNS1_3genE4ELNS1_11target_archE910ELNS1_3gpuE8ELNS1_3repE0EEENS1_47radix_sort_onesweep_sort_config_static_selectorELNS0_4arch9wavefront6targetE0EEEvSH_,@function
_ZN7rocprim17ROCPRIM_400000_NS6detail17trampoline_kernelINS0_14default_configENS1_35radix_sort_onesweep_config_selectorI6__halfNS0_10empty_typeEEEZZNS1_29radix_sort_onesweep_iterationIS3_Lb0EPKS5_PS5_PS6_SC_mNS0_19identity_decomposerENS1_16block_id_wrapperIjLb0EEEEE10hipError_tT1_PNSt15iterator_traitsISH_E10value_typeET2_T3_PNSI_ISN_E10value_typeET4_T5_PSS_ST_PNS1_23onesweep_lookback_stateEbbT6_jjT7_P12ihipStream_tbENKUlT_T0_SH_SM_E_clISB_SB_SC_SC_EEDaS10_S11_SH_SM_EUlS10_E_NS1_11comp_targetILNS1_3genE4ELNS1_11target_archE910ELNS1_3gpuE8ELNS1_3repE0EEENS1_47radix_sort_onesweep_sort_config_static_selectorELNS0_4arch9wavefront6targetE0EEEvSH_: ; @_ZN7rocprim17ROCPRIM_400000_NS6detail17trampoline_kernelINS0_14default_configENS1_35radix_sort_onesweep_config_selectorI6__halfNS0_10empty_typeEEEZZNS1_29radix_sort_onesweep_iterationIS3_Lb0EPKS5_PS5_PS6_SC_mNS0_19identity_decomposerENS1_16block_id_wrapperIjLb0EEEEE10hipError_tT1_PNSt15iterator_traitsISH_E10value_typeET2_T3_PNSI_ISN_E10value_typeET4_T5_PSS_ST_PNS1_23onesweep_lookback_stateEbbT6_jjT7_P12ihipStream_tbENKUlT_T0_SH_SM_E_clISB_SB_SC_SC_EEDaS10_S11_SH_SM_EUlS10_E_NS1_11comp_targetILNS1_3genE4ELNS1_11target_archE910ELNS1_3gpuE8ELNS1_3repE0EEENS1_47radix_sort_onesweep_sort_config_static_selectorELNS0_4arch9wavefront6targetE0EEEvSH_
; %bb.0:
	.section	.rodata,"a",@progbits
	.p2align	6, 0x0
	.amdhsa_kernel _ZN7rocprim17ROCPRIM_400000_NS6detail17trampoline_kernelINS0_14default_configENS1_35radix_sort_onesweep_config_selectorI6__halfNS0_10empty_typeEEEZZNS1_29radix_sort_onesweep_iterationIS3_Lb0EPKS5_PS5_PS6_SC_mNS0_19identity_decomposerENS1_16block_id_wrapperIjLb0EEEEE10hipError_tT1_PNSt15iterator_traitsISH_E10value_typeET2_T3_PNSI_ISN_E10value_typeET4_T5_PSS_ST_PNS1_23onesweep_lookback_stateEbbT6_jjT7_P12ihipStream_tbENKUlT_T0_SH_SM_E_clISB_SB_SC_SC_EEDaS10_S11_SH_SM_EUlS10_E_NS1_11comp_targetILNS1_3genE4ELNS1_11target_archE910ELNS1_3gpuE8ELNS1_3repE0EEENS1_47radix_sort_onesweep_sort_config_static_selectorELNS0_4arch9wavefront6targetE0EEEvSH_
		.amdhsa_group_segment_fixed_size 0
		.amdhsa_private_segment_fixed_size 0
		.amdhsa_kernarg_size 88
		.amdhsa_user_sgpr_count 2
		.amdhsa_user_sgpr_dispatch_ptr 0
		.amdhsa_user_sgpr_queue_ptr 0
		.amdhsa_user_sgpr_kernarg_segment_ptr 1
		.amdhsa_user_sgpr_dispatch_id 0
		.amdhsa_user_sgpr_kernarg_preload_length 0
		.amdhsa_user_sgpr_kernarg_preload_offset 0
		.amdhsa_user_sgpr_private_segment_size 0
		.amdhsa_wavefront_size32 1
		.amdhsa_uses_dynamic_stack 0
		.amdhsa_enable_private_segment 0
		.amdhsa_system_sgpr_workgroup_id_x 1
		.amdhsa_system_sgpr_workgroup_id_y 0
		.amdhsa_system_sgpr_workgroup_id_z 0
		.amdhsa_system_sgpr_workgroup_info 0
		.amdhsa_system_vgpr_workitem_id 0
		.amdhsa_next_free_vgpr 1
		.amdhsa_next_free_sgpr 1
		.amdhsa_named_barrier_count 0
		.amdhsa_reserve_vcc 0
		.amdhsa_float_round_mode_32 0
		.amdhsa_float_round_mode_16_64 0
		.amdhsa_float_denorm_mode_32 3
		.amdhsa_float_denorm_mode_16_64 3
		.amdhsa_fp16_overflow 0
		.amdhsa_memory_ordered 1
		.amdhsa_forward_progress 1
		.amdhsa_inst_pref_size 0
		.amdhsa_round_robin_scheduling 0
		.amdhsa_exception_fp_ieee_invalid_op 0
		.amdhsa_exception_fp_denorm_src 0
		.amdhsa_exception_fp_ieee_div_zero 0
		.amdhsa_exception_fp_ieee_overflow 0
		.amdhsa_exception_fp_ieee_underflow 0
		.amdhsa_exception_fp_ieee_inexact 0
		.amdhsa_exception_int_div_zero 0
	.end_amdhsa_kernel
	.section	.text._ZN7rocprim17ROCPRIM_400000_NS6detail17trampoline_kernelINS0_14default_configENS1_35radix_sort_onesweep_config_selectorI6__halfNS0_10empty_typeEEEZZNS1_29radix_sort_onesweep_iterationIS3_Lb0EPKS5_PS5_PS6_SC_mNS0_19identity_decomposerENS1_16block_id_wrapperIjLb0EEEEE10hipError_tT1_PNSt15iterator_traitsISH_E10value_typeET2_T3_PNSI_ISN_E10value_typeET4_T5_PSS_ST_PNS1_23onesweep_lookback_stateEbbT6_jjT7_P12ihipStream_tbENKUlT_T0_SH_SM_E_clISB_SB_SC_SC_EEDaS10_S11_SH_SM_EUlS10_E_NS1_11comp_targetILNS1_3genE4ELNS1_11target_archE910ELNS1_3gpuE8ELNS1_3repE0EEENS1_47radix_sort_onesweep_sort_config_static_selectorELNS0_4arch9wavefront6targetE0EEEvSH_,"axG",@progbits,_ZN7rocprim17ROCPRIM_400000_NS6detail17trampoline_kernelINS0_14default_configENS1_35radix_sort_onesweep_config_selectorI6__halfNS0_10empty_typeEEEZZNS1_29radix_sort_onesweep_iterationIS3_Lb0EPKS5_PS5_PS6_SC_mNS0_19identity_decomposerENS1_16block_id_wrapperIjLb0EEEEE10hipError_tT1_PNSt15iterator_traitsISH_E10value_typeET2_T3_PNSI_ISN_E10value_typeET4_T5_PSS_ST_PNS1_23onesweep_lookback_stateEbbT6_jjT7_P12ihipStream_tbENKUlT_T0_SH_SM_E_clISB_SB_SC_SC_EEDaS10_S11_SH_SM_EUlS10_E_NS1_11comp_targetILNS1_3genE4ELNS1_11target_archE910ELNS1_3gpuE8ELNS1_3repE0EEENS1_47radix_sort_onesweep_sort_config_static_selectorELNS0_4arch9wavefront6targetE0EEEvSH_,comdat
.Lfunc_end2281:
	.size	_ZN7rocprim17ROCPRIM_400000_NS6detail17trampoline_kernelINS0_14default_configENS1_35radix_sort_onesweep_config_selectorI6__halfNS0_10empty_typeEEEZZNS1_29radix_sort_onesweep_iterationIS3_Lb0EPKS5_PS5_PS6_SC_mNS0_19identity_decomposerENS1_16block_id_wrapperIjLb0EEEEE10hipError_tT1_PNSt15iterator_traitsISH_E10value_typeET2_T3_PNSI_ISN_E10value_typeET4_T5_PSS_ST_PNS1_23onesweep_lookback_stateEbbT6_jjT7_P12ihipStream_tbENKUlT_T0_SH_SM_E_clISB_SB_SC_SC_EEDaS10_S11_SH_SM_EUlS10_E_NS1_11comp_targetILNS1_3genE4ELNS1_11target_archE910ELNS1_3gpuE8ELNS1_3repE0EEENS1_47radix_sort_onesweep_sort_config_static_selectorELNS0_4arch9wavefront6targetE0EEEvSH_, .Lfunc_end2281-_ZN7rocprim17ROCPRIM_400000_NS6detail17trampoline_kernelINS0_14default_configENS1_35radix_sort_onesweep_config_selectorI6__halfNS0_10empty_typeEEEZZNS1_29radix_sort_onesweep_iterationIS3_Lb0EPKS5_PS5_PS6_SC_mNS0_19identity_decomposerENS1_16block_id_wrapperIjLb0EEEEE10hipError_tT1_PNSt15iterator_traitsISH_E10value_typeET2_T3_PNSI_ISN_E10value_typeET4_T5_PSS_ST_PNS1_23onesweep_lookback_stateEbbT6_jjT7_P12ihipStream_tbENKUlT_T0_SH_SM_E_clISB_SB_SC_SC_EEDaS10_S11_SH_SM_EUlS10_E_NS1_11comp_targetILNS1_3genE4ELNS1_11target_archE910ELNS1_3gpuE8ELNS1_3repE0EEENS1_47radix_sort_onesweep_sort_config_static_selectorELNS0_4arch9wavefront6targetE0EEEvSH_
                                        ; -- End function
	.set _ZN7rocprim17ROCPRIM_400000_NS6detail17trampoline_kernelINS0_14default_configENS1_35radix_sort_onesweep_config_selectorI6__halfNS0_10empty_typeEEEZZNS1_29radix_sort_onesweep_iterationIS3_Lb0EPKS5_PS5_PS6_SC_mNS0_19identity_decomposerENS1_16block_id_wrapperIjLb0EEEEE10hipError_tT1_PNSt15iterator_traitsISH_E10value_typeET2_T3_PNSI_ISN_E10value_typeET4_T5_PSS_ST_PNS1_23onesweep_lookback_stateEbbT6_jjT7_P12ihipStream_tbENKUlT_T0_SH_SM_E_clISB_SB_SC_SC_EEDaS10_S11_SH_SM_EUlS10_E_NS1_11comp_targetILNS1_3genE4ELNS1_11target_archE910ELNS1_3gpuE8ELNS1_3repE0EEENS1_47radix_sort_onesweep_sort_config_static_selectorELNS0_4arch9wavefront6targetE0EEEvSH_.num_vgpr, 0
	.set _ZN7rocprim17ROCPRIM_400000_NS6detail17trampoline_kernelINS0_14default_configENS1_35radix_sort_onesweep_config_selectorI6__halfNS0_10empty_typeEEEZZNS1_29radix_sort_onesweep_iterationIS3_Lb0EPKS5_PS5_PS6_SC_mNS0_19identity_decomposerENS1_16block_id_wrapperIjLb0EEEEE10hipError_tT1_PNSt15iterator_traitsISH_E10value_typeET2_T3_PNSI_ISN_E10value_typeET4_T5_PSS_ST_PNS1_23onesweep_lookback_stateEbbT6_jjT7_P12ihipStream_tbENKUlT_T0_SH_SM_E_clISB_SB_SC_SC_EEDaS10_S11_SH_SM_EUlS10_E_NS1_11comp_targetILNS1_3genE4ELNS1_11target_archE910ELNS1_3gpuE8ELNS1_3repE0EEENS1_47radix_sort_onesweep_sort_config_static_selectorELNS0_4arch9wavefront6targetE0EEEvSH_.num_agpr, 0
	.set _ZN7rocprim17ROCPRIM_400000_NS6detail17trampoline_kernelINS0_14default_configENS1_35radix_sort_onesweep_config_selectorI6__halfNS0_10empty_typeEEEZZNS1_29radix_sort_onesweep_iterationIS3_Lb0EPKS5_PS5_PS6_SC_mNS0_19identity_decomposerENS1_16block_id_wrapperIjLb0EEEEE10hipError_tT1_PNSt15iterator_traitsISH_E10value_typeET2_T3_PNSI_ISN_E10value_typeET4_T5_PSS_ST_PNS1_23onesweep_lookback_stateEbbT6_jjT7_P12ihipStream_tbENKUlT_T0_SH_SM_E_clISB_SB_SC_SC_EEDaS10_S11_SH_SM_EUlS10_E_NS1_11comp_targetILNS1_3genE4ELNS1_11target_archE910ELNS1_3gpuE8ELNS1_3repE0EEENS1_47radix_sort_onesweep_sort_config_static_selectorELNS0_4arch9wavefront6targetE0EEEvSH_.numbered_sgpr, 0
	.set _ZN7rocprim17ROCPRIM_400000_NS6detail17trampoline_kernelINS0_14default_configENS1_35radix_sort_onesweep_config_selectorI6__halfNS0_10empty_typeEEEZZNS1_29radix_sort_onesweep_iterationIS3_Lb0EPKS5_PS5_PS6_SC_mNS0_19identity_decomposerENS1_16block_id_wrapperIjLb0EEEEE10hipError_tT1_PNSt15iterator_traitsISH_E10value_typeET2_T3_PNSI_ISN_E10value_typeET4_T5_PSS_ST_PNS1_23onesweep_lookback_stateEbbT6_jjT7_P12ihipStream_tbENKUlT_T0_SH_SM_E_clISB_SB_SC_SC_EEDaS10_S11_SH_SM_EUlS10_E_NS1_11comp_targetILNS1_3genE4ELNS1_11target_archE910ELNS1_3gpuE8ELNS1_3repE0EEENS1_47radix_sort_onesweep_sort_config_static_selectorELNS0_4arch9wavefront6targetE0EEEvSH_.num_named_barrier, 0
	.set _ZN7rocprim17ROCPRIM_400000_NS6detail17trampoline_kernelINS0_14default_configENS1_35radix_sort_onesweep_config_selectorI6__halfNS0_10empty_typeEEEZZNS1_29radix_sort_onesweep_iterationIS3_Lb0EPKS5_PS5_PS6_SC_mNS0_19identity_decomposerENS1_16block_id_wrapperIjLb0EEEEE10hipError_tT1_PNSt15iterator_traitsISH_E10value_typeET2_T3_PNSI_ISN_E10value_typeET4_T5_PSS_ST_PNS1_23onesweep_lookback_stateEbbT6_jjT7_P12ihipStream_tbENKUlT_T0_SH_SM_E_clISB_SB_SC_SC_EEDaS10_S11_SH_SM_EUlS10_E_NS1_11comp_targetILNS1_3genE4ELNS1_11target_archE910ELNS1_3gpuE8ELNS1_3repE0EEENS1_47radix_sort_onesweep_sort_config_static_selectorELNS0_4arch9wavefront6targetE0EEEvSH_.private_seg_size, 0
	.set _ZN7rocprim17ROCPRIM_400000_NS6detail17trampoline_kernelINS0_14default_configENS1_35radix_sort_onesweep_config_selectorI6__halfNS0_10empty_typeEEEZZNS1_29radix_sort_onesweep_iterationIS3_Lb0EPKS5_PS5_PS6_SC_mNS0_19identity_decomposerENS1_16block_id_wrapperIjLb0EEEEE10hipError_tT1_PNSt15iterator_traitsISH_E10value_typeET2_T3_PNSI_ISN_E10value_typeET4_T5_PSS_ST_PNS1_23onesweep_lookback_stateEbbT6_jjT7_P12ihipStream_tbENKUlT_T0_SH_SM_E_clISB_SB_SC_SC_EEDaS10_S11_SH_SM_EUlS10_E_NS1_11comp_targetILNS1_3genE4ELNS1_11target_archE910ELNS1_3gpuE8ELNS1_3repE0EEENS1_47radix_sort_onesweep_sort_config_static_selectorELNS0_4arch9wavefront6targetE0EEEvSH_.uses_vcc, 0
	.set _ZN7rocprim17ROCPRIM_400000_NS6detail17trampoline_kernelINS0_14default_configENS1_35radix_sort_onesweep_config_selectorI6__halfNS0_10empty_typeEEEZZNS1_29radix_sort_onesweep_iterationIS3_Lb0EPKS5_PS5_PS6_SC_mNS0_19identity_decomposerENS1_16block_id_wrapperIjLb0EEEEE10hipError_tT1_PNSt15iterator_traitsISH_E10value_typeET2_T3_PNSI_ISN_E10value_typeET4_T5_PSS_ST_PNS1_23onesweep_lookback_stateEbbT6_jjT7_P12ihipStream_tbENKUlT_T0_SH_SM_E_clISB_SB_SC_SC_EEDaS10_S11_SH_SM_EUlS10_E_NS1_11comp_targetILNS1_3genE4ELNS1_11target_archE910ELNS1_3gpuE8ELNS1_3repE0EEENS1_47radix_sort_onesweep_sort_config_static_selectorELNS0_4arch9wavefront6targetE0EEEvSH_.uses_flat_scratch, 0
	.set _ZN7rocprim17ROCPRIM_400000_NS6detail17trampoline_kernelINS0_14default_configENS1_35radix_sort_onesweep_config_selectorI6__halfNS0_10empty_typeEEEZZNS1_29radix_sort_onesweep_iterationIS3_Lb0EPKS5_PS5_PS6_SC_mNS0_19identity_decomposerENS1_16block_id_wrapperIjLb0EEEEE10hipError_tT1_PNSt15iterator_traitsISH_E10value_typeET2_T3_PNSI_ISN_E10value_typeET4_T5_PSS_ST_PNS1_23onesweep_lookback_stateEbbT6_jjT7_P12ihipStream_tbENKUlT_T0_SH_SM_E_clISB_SB_SC_SC_EEDaS10_S11_SH_SM_EUlS10_E_NS1_11comp_targetILNS1_3genE4ELNS1_11target_archE910ELNS1_3gpuE8ELNS1_3repE0EEENS1_47radix_sort_onesweep_sort_config_static_selectorELNS0_4arch9wavefront6targetE0EEEvSH_.has_dyn_sized_stack, 0
	.set _ZN7rocprim17ROCPRIM_400000_NS6detail17trampoline_kernelINS0_14default_configENS1_35radix_sort_onesweep_config_selectorI6__halfNS0_10empty_typeEEEZZNS1_29radix_sort_onesweep_iterationIS3_Lb0EPKS5_PS5_PS6_SC_mNS0_19identity_decomposerENS1_16block_id_wrapperIjLb0EEEEE10hipError_tT1_PNSt15iterator_traitsISH_E10value_typeET2_T3_PNSI_ISN_E10value_typeET4_T5_PSS_ST_PNS1_23onesweep_lookback_stateEbbT6_jjT7_P12ihipStream_tbENKUlT_T0_SH_SM_E_clISB_SB_SC_SC_EEDaS10_S11_SH_SM_EUlS10_E_NS1_11comp_targetILNS1_3genE4ELNS1_11target_archE910ELNS1_3gpuE8ELNS1_3repE0EEENS1_47radix_sort_onesweep_sort_config_static_selectorELNS0_4arch9wavefront6targetE0EEEvSH_.has_recursion, 0
	.set _ZN7rocprim17ROCPRIM_400000_NS6detail17trampoline_kernelINS0_14default_configENS1_35radix_sort_onesweep_config_selectorI6__halfNS0_10empty_typeEEEZZNS1_29radix_sort_onesweep_iterationIS3_Lb0EPKS5_PS5_PS6_SC_mNS0_19identity_decomposerENS1_16block_id_wrapperIjLb0EEEEE10hipError_tT1_PNSt15iterator_traitsISH_E10value_typeET2_T3_PNSI_ISN_E10value_typeET4_T5_PSS_ST_PNS1_23onesweep_lookback_stateEbbT6_jjT7_P12ihipStream_tbENKUlT_T0_SH_SM_E_clISB_SB_SC_SC_EEDaS10_S11_SH_SM_EUlS10_E_NS1_11comp_targetILNS1_3genE4ELNS1_11target_archE910ELNS1_3gpuE8ELNS1_3repE0EEENS1_47radix_sort_onesweep_sort_config_static_selectorELNS0_4arch9wavefront6targetE0EEEvSH_.has_indirect_call, 0
	.section	.AMDGPU.csdata,"",@progbits
; Kernel info:
; codeLenInByte = 0
; TotalNumSgprs: 0
; NumVgprs: 0
; ScratchSize: 0
; MemoryBound: 0
; FloatMode: 240
; IeeeMode: 1
; LDSByteSize: 0 bytes/workgroup (compile time only)
; SGPRBlocks: 0
; VGPRBlocks: 0
; NumSGPRsForWavesPerEU: 1
; NumVGPRsForWavesPerEU: 1
; NamedBarCnt: 0
; Occupancy: 16
; WaveLimiterHint : 0
; COMPUTE_PGM_RSRC2:SCRATCH_EN: 0
; COMPUTE_PGM_RSRC2:USER_SGPR: 2
; COMPUTE_PGM_RSRC2:TRAP_HANDLER: 0
; COMPUTE_PGM_RSRC2:TGID_X_EN: 1
; COMPUTE_PGM_RSRC2:TGID_Y_EN: 0
; COMPUTE_PGM_RSRC2:TGID_Z_EN: 0
; COMPUTE_PGM_RSRC2:TIDIG_COMP_CNT: 0
	.section	.text._ZN7rocprim17ROCPRIM_400000_NS6detail17trampoline_kernelINS0_14default_configENS1_35radix_sort_onesweep_config_selectorI6__halfNS0_10empty_typeEEEZZNS1_29radix_sort_onesweep_iterationIS3_Lb0EPKS5_PS5_PS6_SC_mNS0_19identity_decomposerENS1_16block_id_wrapperIjLb0EEEEE10hipError_tT1_PNSt15iterator_traitsISH_E10value_typeET2_T3_PNSI_ISN_E10value_typeET4_T5_PSS_ST_PNS1_23onesweep_lookback_stateEbbT6_jjT7_P12ihipStream_tbENKUlT_T0_SH_SM_E_clISB_SB_SC_SC_EEDaS10_S11_SH_SM_EUlS10_E_NS1_11comp_targetILNS1_3genE3ELNS1_11target_archE908ELNS1_3gpuE7ELNS1_3repE0EEENS1_47radix_sort_onesweep_sort_config_static_selectorELNS0_4arch9wavefront6targetE0EEEvSH_,"axG",@progbits,_ZN7rocprim17ROCPRIM_400000_NS6detail17trampoline_kernelINS0_14default_configENS1_35radix_sort_onesweep_config_selectorI6__halfNS0_10empty_typeEEEZZNS1_29radix_sort_onesweep_iterationIS3_Lb0EPKS5_PS5_PS6_SC_mNS0_19identity_decomposerENS1_16block_id_wrapperIjLb0EEEEE10hipError_tT1_PNSt15iterator_traitsISH_E10value_typeET2_T3_PNSI_ISN_E10value_typeET4_T5_PSS_ST_PNS1_23onesweep_lookback_stateEbbT6_jjT7_P12ihipStream_tbENKUlT_T0_SH_SM_E_clISB_SB_SC_SC_EEDaS10_S11_SH_SM_EUlS10_E_NS1_11comp_targetILNS1_3genE3ELNS1_11target_archE908ELNS1_3gpuE7ELNS1_3repE0EEENS1_47radix_sort_onesweep_sort_config_static_selectorELNS0_4arch9wavefront6targetE0EEEvSH_,comdat
	.protected	_ZN7rocprim17ROCPRIM_400000_NS6detail17trampoline_kernelINS0_14default_configENS1_35radix_sort_onesweep_config_selectorI6__halfNS0_10empty_typeEEEZZNS1_29radix_sort_onesweep_iterationIS3_Lb0EPKS5_PS5_PS6_SC_mNS0_19identity_decomposerENS1_16block_id_wrapperIjLb0EEEEE10hipError_tT1_PNSt15iterator_traitsISH_E10value_typeET2_T3_PNSI_ISN_E10value_typeET4_T5_PSS_ST_PNS1_23onesweep_lookback_stateEbbT6_jjT7_P12ihipStream_tbENKUlT_T0_SH_SM_E_clISB_SB_SC_SC_EEDaS10_S11_SH_SM_EUlS10_E_NS1_11comp_targetILNS1_3genE3ELNS1_11target_archE908ELNS1_3gpuE7ELNS1_3repE0EEENS1_47radix_sort_onesweep_sort_config_static_selectorELNS0_4arch9wavefront6targetE0EEEvSH_ ; -- Begin function _ZN7rocprim17ROCPRIM_400000_NS6detail17trampoline_kernelINS0_14default_configENS1_35radix_sort_onesweep_config_selectorI6__halfNS0_10empty_typeEEEZZNS1_29radix_sort_onesweep_iterationIS3_Lb0EPKS5_PS5_PS6_SC_mNS0_19identity_decomposerENS1_16block_id_wrapperIjLb0EEEEE10hipError_tT1_PNSt15iterator_traitsISH_E10value_typeET2_T3_PNSI_ISN_E10value_typeET4_T5_PSS_ST_PNS1_23onesweep_lookback_stateEbbT6_jjT7_P12ihipStream_tbENKUlT_T0_SH_SM_E_clISB_SB_SC_SC_EEDaS10_S11_SH_SM_EUlS10_E_NS1_11comp_targetILNS1_3genE3ELNS1_11target_archE908ELNS1_3gpuE7ELNS1_3repE0EEENS1_47radix_sort_onesweep_sort_config_static_selectorELNS0_4arch9wavefront6targetE0EEEvSH_
	.globl	_ZN7rocprim17ROCPRIM_400000_NS6detail17trampoline_kernelINS0_14default_configENS1_35radix_sort_onesweep_config_selectorI6__halfNS0_10empty_typeEEEZZNS1_29radix_sort_onesweep_iterationIS3_Lb0EPKS5_PS5_PS6_SC_mNS0_19identity_decomposerENS1_16block_id_wrapperIjLb0EEEEE10hipError_tT1_PNSt15iterator_traitsISH_E10value_typeET2_T3_PNSI_ISN_E10value_typeET4_T5_PSS_ST_PNS1_23onesweep_lookback_stateEbbT6_jjT7_P12ihipStream_tbENKUlT_T0_SH_SM_E_clISB_SB_SC_SC_EEDaS10_S11_SH_SM_EUlS10_E_NS1_11comp_targetILNS1_3genE3ELNS1_11target_archE908ELNS1_3gpuE7ELNS1_3repE0EEENS1_47radix_sort_onesweep_sort_config_static_selectorELNS0_4arch9wavefront6targetE0EEEvSH_
	.p2align	8
	.type	_ZN7rocprim17ROCPRIM_400000_NS6detail17trampoline_kernelINS0_14default_configENS1_35radix_sort_onesweep_config_selectorI6__halfNS0_10empty_typeEEEZZNS1_29radix_sort_onesweep_iterationIS3_Lb0EPKS5_PS5_PS6_SC_mNS0_19identity_decomposerENS1_16block_id_wrapperIjLb0EEEEE10hipError_tT1_PNSt15iterator_traitsISH_E10value_typeET2_T3_PNSI_ISN_E10value_typeET4_T5_PSS_ST_PNS1_23onesweep_lookback_stateEbbT6_jjT7_P12ihipStream_tbENKUlT_T0_SH_SM_E_clISB_SB_SC_SC_EEDaS10_S11_SH_SM_EUlS10_E_NS1_11comp_targetILNS1_3genE3ELNS1_11target_archE908ELNS1_3gpuE7ELNS1_3repE0EEENS1_47radix_sort_onesweep_sort_config_static_selectorELNS0_4arch9wavefront6targetE0EEEvSH_,@function
_ZN7rocprim17ROCPRIM_400000_NS6detail17trampoline_kernelINS0_14default_configENS1_35radix_sort_onesweep_config_selectorI6__halfNS0_10empty_typeEEEZZNS1_29radix_sort_onesweep_iterationIS3_Lb0EPKS5_PS5_PS6_SC_mNS0_19identity_decomposerENS1_16block_id_wrapperIjLb0EEEEE10hipError_tT1_PNSt15iterator_traitsISH_E10value_typeET2_T3_PNSI_ISN_E10value_typeET4_T5_PSS_ST_PNS1_23onesweep_lookback_stateEbbT6_jjT7_P12ihipStream_tbENKUlT_T0_SH_SM_E_clISB_SB_SC_SC_EEDaS10_S11_SH_SM_EUlS10_E_NS1_11comp_targetILNS1_3genE3ELNS1_11target_archE908ELNS1_3gpuE7ELNS1_3repE0EEENS1_47radix_sort_onesweep_sort_config_static_selectorELNS0_4arch9wavefront6targetE0EEEvSH_: ; @_ZN7rocprim17ROCPRIM_400000_NS6detail17trampoline_kernelINS0_14default_configENS1_35radix_sort_onesweep_config_selectorI6__halfNS0_10empty_typeEEEZZNS1_29radix_sort_onesweep_iterationIS3_Lb0EPKS5_PS5_PS6_SC_mNS0_19identity_decomposerENS1_16block_id_wrapperIjLb0EEEEE10hipError_tT1_PNSt15iterator_traitsISH_E10value_typeET2_T3_PNSI_ISN_E10value_typeET4_T5_PSS_ST_PNS1_23onesweep_lookback_stateEbbT6_jjT7_P12ihipStream_tbENKUlT_T0_SH_SM_E_clISB_SB_SC_SC_EEDaS10_S11_SH_SM_EUlS10_E_NS1_11comp_targetILNS1_3genE3ELNS1_11target_archE908ELNS1_3gpuE7ELNS1_3repE0EEENS1_47radix_sort_onesweep_sort_config_static_selectorELNS0_4arch9wavefront6targetE0EEEvSH_
; %bb.0:
	.section	.rodata,"a",@progbits
	.p2align	6, 0x0
	.amdhsa_kernel _ZN7rocprim17ROCPRIM_400000_NS6detail17trampoline_kernelINS0_14default_configENS1_35radix_sort_onesweep_config_selectorI6__halfNS0_10empty_typeEEEZZNS1_29radix_sort_onesweep_iterationIS3_Lb0EPKS5_PS5_PS6_SC_mNS0_19identity_decomposerENS1_16block_id_wrapperIjLb0EEEEE10hipError_tT1_PNSt15iterator_traitsISH_E10value_typeET2_T3_PNSI_ISN_E10value_typeET4_T5_PSS_ST_PNS1_23onesweep_lookback_stateEbbT6_jjT7_P12ihipStream_tbENKUlT_T0_SH_SM_E_clISB_SB_SC_SC_EEDaS10_S11_SH_SM_EUlS10_E_NS1_11comp_targetILNS1_3genE3ELNS1_11target_archE908ELNS1_3gpuE7ELNS1_3repE0EEENS1_47radix_sort_onesweep_sort_config_static_selectorELNS0_4arch9wavefront6targetE0EEEvSH_
		.amdhsa_group_segment_fixed_size 0
		.amdhsa_private_segment_fixed_size 0
		.amdhsa_kernarg_size 88
		.amdhsa_user_sgpr_count 2
		.amdhsa_user_sgpr_dispatch_ptr 0
		.amdhsa_user_sgpr_queue_ptr 0
		.amdhsa_user_sgpr_kernarg_segment_ptr 1
		.amdhsa_user_sgpr_dispatch_id 0
		.amdhsa_user_sgpr_kernarg_preload_length 0
		.amdhsa_user_sgpr_kernarg_preload_offset 0
		.amdhsa_user_sgpr_private_segment_size 0
		.amdhsa_wavefront_size32 1
		.amdhsa_uses_dynamic_stack 0
		.amdhsa_enable_private_segment 0
		.amdhsa_system_sgpr_workgroup_id_x 1
		.amdhsa_system_sgpr_workgroup_id_y 0
		.amdhsa_system_sgpr_workgroup_id_z 0
		.amdhsa_system_sgpr_workgroup_info 0
		.amdhsa_system_vgpr_workitem_id 0
		.amdhsa_next_free_vgpr 1
		.amdhsa_next_free_sgpr 1
		.amdhsa_named_barrier_count 0
		.amdhsa_reserve_vcc 0
		.amdhsa_float_round_mode_32 0
		.amdhsa_float_round_mode_16_64 0
		.amdhsa_float_denorm_mode_32 3
		.amdhsa_float_denorm_mode_16_64 3
		.amdhsa_fp16_overflow 0
		.amdhsa_memory_ordered 1
		.amdhsa_forward_progress 1
		.amdhsa_inst_pref_size 0
		.amdhsa_round_robin_scheduling 0
		.amdhsa_exception_fp_ieee_invalid_op 0
		.amdhsa_exception_fp_denorm_src 0
		.amdhsa_exception_fp_ieee_div_zero 0
		.amdhsa_exception_fp_ieee_overflow 0
		.amdhsa_exception_fp_ieee_underflow 0
		.amdhsa_exception_fp_ieee_inexact 0
		.amdhsa_exception_int_div_zero 0
	.end_amdhsa_kernel
	.section	.text._ZN7rocprim17ROCPRIM_400000_NS6detail17trampoline_kernelINS0_14default_configENS1_35radix_sort_onesweep_config_selectorI6__halfNS0_10empty_typeEEEZZNS1_29radix_sort_onesweep_iterationIS3_Lb0EPKS5_PS5_PS6_SC_mNS0_19identity_decomposerENS1_16block_id_wrapperIjLb0EEEEE10hipError_tT1_PNSt15iterator_traitsISH_E10value_typeET2_T3_PNSI_ISN_E10value_typeET4_T5_PSS_ST_PNS1_23onesweep_lookback_stateEbbT6_jjT7_P12ihipStream_tbENKUlT_T0_SH_SM_E_clISB_SB_SC_SC_EEDaS10_S11_SH_SM_EUlS10_E_NS1_11comp_targetILNS1_3genE3ELNS1_11target_archE908ELNS1_3gpuE7ELNS1_3repE0EEENS1_47radix_sort_onesweep_sort_config_static_selectorELNS0_4arch9wavefront6targetE0EEEvSH_,"axG",@progbits,_ZN7rocprim17ROCPRIM_400000_NS6detail17trampoline_kernelINS0_14default_configENS1_35radix_sort_onesweep_config_selectorI6__halfNS0_10empty_typeEEEZZNS1_29radix_sort_onesweep_iterationIS3_Lb0EPKS5_PS5_PS6_SC_mNS0_19identity_decomposerENS1_16block_id_wrapperIjLb0EEEEE10hipError_tT1_PNSt15iterator_traitsISH_E10value_typeET2_T3_PNSI_ISN_E10value_typeET4_T5_PSS_ST_PNS1_23onesweep_lookback_stateEbbT6_jjT7_P12ihipStream_tbENKUlT_T0_SH_SM_E_clISB_SB_SC_SC_EEDaS10_S11_SH_SM_EUlS10_E_NS1_11comp_targetILNS1_3genE3ELNS1_11target_archE908ELNS1_3gpuE7ELNS1_3repE0EEENS1_47radix_sort_onesweep_sort_config_static_selectorELNS0_4arch9wavefront6targetE0EEEvSH_,comdat
.Lfunc_end2282:
	.size	_ZN7rocprim17ROCPRIM_400000_NS6detail17trampoline_kernelINS0_14default_configENS1_35radix_sort_onesweep_config_selectorI6__halfNS0_10empty_typeEEEZZNS1_29radix_sort_onesweep_iterationIS3_Lb0EPKS5_PS5_PS6_SC_mNS0_19identity_decomposerENS1_16block_id_wrapperIjLb0EEEEE10hipError_tT1_PNSt15iterator_traitsISH_E10value_typeET2_T3_PNSI_ISN_E10value_typeET4_T5_PSS_ST_PNS1_23onesweep_lookback_stateEbbT6_jjT7_P12ihipStream_tbENKUlT_T0_SH_SM_E_clISB_SB_SC_SC_EEDaS10_S11_SH_SM_EUlS10_E_NS1_11comp_targetILNS1_3genE3ELNS1_11target_archE908ELNS1_3gpuE7ELNS1_3repE0EEENS1_47radix_sort_onesweep_sort_config_static_selectorELNS0_4arch9wavefront6targetE0EEEvSH_, .Lfunc_end2282-_ZN7rocprim17ROCPRIM_400000_NS6detail17trampoline_kernelINS0_14default_configENS1_35radix_sort_onesweep_config_selectorI6__halfNS0_10empty_typeEEEZZNS1_29radix_sort_onesweep_iterationIS3_Lb0EPKS5_PS5_PS6_SC_mNS0_19identity_decomposerENS1_16block_id_wrapperIjLb0EEEEE10hipError_tT1_PNSt15iterator_traitsISH_E10value_typeET2_T3_PNSI_ISN_E10value_typeET4_T5_PSS_ST_PNS1_23onesweep_lookback_stateEbbT6_jjT7_P12ihipStream_tbENKUlT_T0_SH_SM_E_clISB_SB_SC_SC_EEDaS10_S11_SH_SM_EUlS10_E_NS1_11comp_targetILNS1_3genE3ELNS1_11target_archE908ELNS1_3gpuE7ELNS1_3repE0EEENS1_47radix_sort_onesweep_sort_config_static_selectorELNS0_4arch9wavefront6targetE0EEEvSH_
                                        ; -- End function
	.set _ZN7rocprim17ROCPRIM_400000_NS6detail17trampoline_kernelINS0_14default_configENS1_35radix_sort_onesweep_config_selectorI6__halfNS0_10empty_typeEEEZZNS1_29radix_sort_onesweep_iterationIS3_Lb0EPKS5_PS5_PS6_SC_mNS0_19identity_decomposerENS1_16block_id_wrapperIjLb0EEEEE10hipError_tT1_PNSt15iterator_traitsISH_E10value_typeET2_T3_PNSI_ISN_E10value_typeET4_T5_PSS_ST_PNS1_23onesweep_lookback_stateEbbT6_jjT7_P12ihipStream_tbENKUlT_T0_SH_SM_E_clISB_SB_SC_SC_EEDaS10_S11_SH_SM_EUlS10_E_NS1_11comp_targetILNS1_3genE3ELNS1_11target_archE908ELNS1_3gpuE7ELNS1_3repE0EEENS1_47radix_sort_onesweep_sort_config_static_selectorELNS0_4arch9wavefront6targetE0EEEvSH_.num_vgpr, 0
	.set _ZN7rocprim17ROCPRIM_400000_NS6detail17trampoline_kernelINS0_14default_configENS1_35radix_sort_onesweep_config_selectorI6__halfNS0_10empty_typeEEEZZNS1_29radix_sort_onesweep_iterationIS3_Lb0EPKS5_PS5_PS6_SC_mNS0_19identity_decomposerENS1_16block_id_wrapperIjLb0EEEEE10hipError_tT1_PNSt15iterator_traitsISH_E10value_typeET2_T3_PNSI_ISN_E10value_typeET4_T5_PSS_ST_PNS1_23onesweep_lookback_stateEbbT6_jjT7_P12ihipStream_tbENKUlT_T0_SH_SM_E_clISB_SB_SC_SC_EEDaS10_S11_SH_SM_EUlS10_E_NS1_11comp_targetILNS1_3genE3ELNS1_11target_archE908ELNS1_3gpuE7ELNS1_3repE0EEENS1_47radix_sort_onesweep_sort_config_static_selectorELNS0_4arch9wavefront6targetE0EEEvSH_.num_agpr, 0
	.set _ZN7rocprim17ROCPRIM_400000_NS6detail17trampoline_kernelINS0_14default_configENS1_35radix_sort_onesweep_config_selectorI6__halfNS0_10empty_typeEEEZZNS1_29radix_sort_onesweep_iterationIS3_Lb0EPKS5_PS5_PS6_SC_mNS0_19identity_decomposerENS1_16block_id_wrapperIjLb0EEEEE10hipError_tT1_PNSt15iterator_traitsISH_E10value_typeET2_T3_PNSI_ISN_E10value_typeET4_T5_PSS_ST_PNS1_23onesweep_lookback_stateEbbT6_jjT7_P12ihipStream_tbENKUlT_T0_SH_SM_E_clISB_SB_SC_SC_EEDaS10_S11_SH_SM_EUlS10_E_NS1_11comp_targetILNS1_3genE3ELNS1_11target_archE908ELNS1_3gpuE7ELNS1_3repE0EEENS1_47radix_sort_onesweep_sort_config_static_selectorELNS0_4arch9wavefront6targetE0EEEvSH_.numbered_sgpr, 0
	.set _ZN7rocprim17ROCPRIM_400000_NS6detail17trampoline_kernelINS0_14default_configENS1_35radix_sort_onesweep_config_selectorI6__halfNS0_10empty_typeEEEZZNS1_29radix_sort_onesweep_iterationIS3_Lb0EPKS5_PS5_PS6_SC_mNS0_19identity_decomposerENS1_16block_id_wrapperIjLb0EEEEE10hipError_tT1_PNSt15iterator_traitsISH_E10value_typeET2_T3_PNSI_ISN_E10value_typeET4_T5_PSS_ST_PNS1_23onesweep_lookback_stateEbbT6_jjT7_P12ihipStream_tbENKUlT_T0_SH_SM_E_clISB_SB_SC_SC_EEDaS10_S11_SH_SM_EUlS10_E_NS1_11comp_targetILNS1_3genE3ELNS1_11target_archE908ELNS1_3gpuE7ELNS1_3repE0EEENS1_47radix_sort_onesweep_sort_config_static_selectorELNS0_4arch9wavefront6targetE0EEEvSH_.num_named_barrier, 0
	.set _ZN7rocprim17ROCPRIM_400000_NS6detail17trampoline_kernelINS0_14default_configENS1_35radix_sort_onesweep_config_selectorI6__halfNS0_10empty_typeEEEZZNS1_29radix_sort_onesweep_iterationIS3_Lb0EPKS5_PS5_PS6_SC_mNS0_19identity_decomposerENS1_16block_id_wrapperIjLb0EEEEE10hipError_tT1_PNSt15iterator_traitsISH_E10value_typeET2_T3_PNSI_ISN_E10value_typeET4_T5_PSS_ST_PNS1_23onesweep_lookback_stateEbbT6_jjT7_P12ihipStream_tbENKUlT_T0_SH_SM_E_clISB_SB_SC_SC_EEDaS10_S11_SH_SM_EUlS10_E_NS1_11comp_targetILNS1_3genE3ELNS1_11target_archE908ELNS1_3gpuE7ELNS1_3repE0EEENS1_47radix_sort_onesweep_sort_config_static_selectorELNS0_4arch9wavefront6targetE0EEEvSH_.private_seg_size, 0
	.set _ZN7rocprim17ROCPRIM_400000_NS6detail17trampoline_kernelINS0_14default_configENS1_35radix_sort_onesweep_config_selectorI6__halfNS0_10empty_typeEEEZZNS1_29radix_sort_onesweep_iterationIS3_Lb0EPKS5_PS5_PS6_SC_mNS0_19identity_decomposerENS1_16block_id_wrapperIjLb0EEEEE10hipError_tT1_PNSt15iterator_traitsISH_E10value_typeET2_T3_PNSI_ISN_E10value_typeET4_T5_PSS_ST_PNS1_23onesweep_lookback_stateEbbT6_jjT7_P12ihipStream_tbENKUlT_T0_SH_SM_E_clISB_SB_SC_SC_EEDaS10_S11_SH_SM_EUlS10_E_NS1_11comp_targetILNS1_3genE3ELNS1_11target_archE908ELNS1_3gpuE7ELNS1_3repE0EEENS1_47radix_sort_onesweep_sort_config_static_selectorELNS0_4arch9wavefront6targetE0EEEvSH_.uses_vcc, 0
	.set _ZN7rocprim17ROCPRIM_400000_NS6detail17trampoline_kernelINS0_14default_configENS1_35radix_sort_onesweep_config_selectorI6__halfNS0_10empty_typeEEEZZNS1_29radix_sort_onesweep_iterationIS3_Lb0EPKS5_PS5_PS6_SC_mNS0_19identity_decomposerENS1_16block_id_wrapperIjLb0EEEEE10hipError_tT1_PNSt15iterator_traitsISH_E10value_typeET2_T3_PNSI_ISN_E10value_typeET4_T5_PSS_ST_PNS1_23onesweep_lookback_stateEbbT6_jjT7_P12ihipStream_tbENKUlT_T0_SH_SM_E_clISB_SB_SC_SC_EEDaS10_S11_SH_SM_EUlS10_E_NS1_11comp_targetILNS1_3genE3ELNS1_11target_archE908ELNS1_3gpuE7ELNS1_3repE0EEENS1_47radix_sort_onesweep_sort_config_static_selectorELNS0_4arch9wavefront6targetE0EEEvSH_.uses_flat_scratch, 0
	.set _ZN7rocprim17ROCPRIM_400000_NS6detail17trampoline_kernelINS0_14default_configENS1_35radix_sort_onesweep_config_selectorI6__halfNS0_10empty_typeEEEZZNS1_29radix_sort_onesweep_iterationIS3_Lb0EPKS5_PS5_PS6_SC_mNS0_19identity_decomposerENS1_16block_id_wrapperIjLb0EEEEE10hipError_tT1_PNSt15iterator_traitsISH_E10value_typeET2_T3_PNSI_ISN_E10value_typeET4_T5_PSS_ST_PNS1_23onesweep_lookback_stateEbbT6_jjT7_P12ihipStream_tbENKUlT_T0_SH_SM_E_clISB_SB_SC_SC_EEDaS10_S11_SH_SM_EUlS10_E_NS1_11comp_targetILNS1_3genE3ELNS1_11target_archE908ELNS1_3gpuE7ELNS1_3repE0EEENS1_47radix_sort_onesweep_sort_config_static_selectorELNS0_4arch9wavefront6targetE0EEEvSH_.has_dyn_sized_stack, 0
	.set _ZN7rocprim17ROCPRIM_400000_NS6detail17trampoline_kernelINS0_14default_configENS1_35radix_sort_onesweep_config_selectorI6__halfNS0_10empty_typeEEEZZNS1_29radix_sort_onesweep_iterationIS3_Lb0EPKS5_PS5_PS6_SC_mNS0_19identity_decomposerENS1_16block_id_wrapperIjLb0EEEEE10hipError_tT1_PNSt15iterator_traitsISH_E10value_typeET2_T3_PNSI_ISN_E10value_typeET4_T5_PSS_ST_PNS1_23onesweep_lookback_stateEbbT6_jjT7_P12ihipStream_tbENKUlT_T0_SH_SM_E_clISB_SB_SC_SC_EEDaS10_S11_SH_SM_EUlS10_E_NS1_11comp_targetILNS1_3genE3ELNS1_11target_archE908ELNS1_3gpuE7ELNS1_3repE0EEENS1_47radix_sort_onesweep_sort_config_static_selectorELNS0_4arch9wavefront6targetE0EEEvSH_.has_recursion, 0
	.set _ZN7rocprim17ROCPRIM_400000_NS6detail17trampoline_kernelINS0_14default_configENS1_35radix_sort_onesweep_config_selectorI6__halfNS0_10empty_typeEEEZZNS1_29radix_sort_onesweep_iterationIS3_Lb0EPKS5_PS5_PS6_SC_mNS0_19identity_decomposerENS1_16block_id_wrapperIjLb0EEEEE10hipError_tT1_PNSt15iterator_traitsISH_E10value_typeET2_T3_PNSI_ISN_E10value_typeET4_T5_PSS_ST_PNS1_23onesweep_lookback_stateEbbT6_jjT7_P12ihipStream_tbENKUlT_T0_SH_SM_E_clISB_SB_SC_SC_EEDaS10_S11_SH_SM_EUlS10_E_NS1_11comp_targetILNS1_3genE3ELNS1_11target_archE908ELNS1_3gpuE7ELNS1_3repE0EEENS1_47radix_sort_onesweep_sort_config_static_selectorELNS0_4arch9wavefront6targetE0EEEvSH_.has_indirect_call, 0
	.section	.AMDGPU.csdata,"",@progbits
; Kernel info:
; codeLenInByte = 0
; TotalNumSgprs: 0
; NumVgprs: 0
; ScratchSize: 0
; MemoryBound: 0
; FloatMode: 240
; IeeeMode: 1
; LDSByteSize: 0 bytes/workgroup (compile time only)
; SGPRBlocks: 0
; VGPRBlocks: 0
; NumSGPRsForWavesPerEU: 1
; NumVGPRsForWavesPerEU: 1
; NamedBarCnt: 0
; Occupancy: 16
; WaveLimiterHint : 0
; COMPUTE_PGM_RSRC2:SCRATCH_EN: 0
; COMPUTE_PGM_RSRC2:USER_SGPR: 2
; COMPUTE_PGM_RSRC2:TRAP_HANDLER: 0
; COMPUTE_PGM_RSRC2:TGID_X_EN: 1
; COMPUTE_PGM_RSRC2:TGID_Y_EN: 0
; COMPUTE_PGM_RSRC2:TGID_Z_EN: 0
; COMPUTE_PGM_RSRC2:TIDIG_COMP_CNT: 0
	.section	.text._ZN7rocprim17ROCPRIM_400000_NS6detail17trampoline_kernelINS0_14default_configENS1_35radix_sort_onesweep_config_selectorI6__halfNS0_10empty_typeEEEZZNS1_29radix_sort_onesweep_iterationIS3_Lb0EPKS5_PS5_PS6_SC_mNS0_19identity_decomposerENS1_16block_id_wrapperIjLb0EEEEE10hipError_tT1_PNSt15iterator_traitsISH_E10value_typeET2_T3_PNSI_ISN_E10value_typeET4_T5_PSS_ST_PNS1_23onesweep_lookback_stateEbbT6_jjT7_P12ihipStream_tbENKUlT_T0_SH_SM_E_clISB_SB_SC_SC_EEDaS10_S11_SH_SM_EUlS10_E_NS1_11comp_targetILNS1_3genE10ELNS1_11target_archE1201ELNS1_3gpuE5ELNS1_3repE0EEENS1_47radix_sort_onesweep_sort_config_static_selectorELNS0_4arch9wavefront6targetE0EEEvSH_,"axG",@progbits,_ZN7rocprim17ROCPRIM_400000_NS6detail17trampoline_kernelINS0_14default_configENS1_35radix_sort_onesweep_config_selectorI6__halfNS0_10empty_typeEEEZZNS1_29radix_sort_onesweep_iterationIS3_Lb0EPKS5_PS5_PS6_SC_mNS0_19identity_decomposerENS1_16block_id_wrapperIjLb0EEEEE10hipError_tT1_PNSt15iterator_traitsISH_E10value_typeET2_T3_PNSI_ISN_E10value_typeET4_T5_PSS_ST_PNS1_23onesweep_lookback_stateEbbT6_jjT7_P12ihipStream_tbENKUlT_T0_SH_SM_E_clISB_SB_SC_SC_EEDaS10_S11_SH_SM_EUlS10_E_NS1_11comp_targetILNS1_3genE10ELNS1_11target_archE1201ELNS1_3gpuE5ELNS1_3repE0EEENS1_47radix_sort_onesweep_sort_config_static_selectorELNS0_4arch9wavefront6targetE0EEEvSH_,comdat
	.protected	_ZN7rocprim17ROCPRIM_400000_NS6detail17trampoline_kernelINS0_14default_configENS1_35radix_sort_onesweep_config_selectorI6__halfNS0_10empty_typeEEEZZNS1_29radix_sort_onesweep_iterationIS3_Lb0EPKS5_PS5_PS6_SC_mNS0_19identity_decomposerENS1_16block_id_wrapperIjLb0EEEEE10hipError_tT1_PNSt15iterator_traitsISH_E10value_typeET2_T3_PNSI_ISN_E10value_typeET4_T5_PSS_ST_PNS1_23onesweep_lookback_stateEbbT6_jjT7_P12ihipStream_tbENKUlT_T0_SH_SM_E_clISB_SB_SC_SC_EEDaS10_S11_SH_SM_EUlS10_E_NS1_11comp_targetILNS1_3genE10ELNS1_11target_archE1201ELNS1_3gpuE5ELNS1_3repE0EEENS1_47radix_sort_onesweep_sort_config_static_selectorELNS0_4arch9wavefront6targetE0EEEvSH_ ; -- Begin function _ZN7rocprim17ROCPRIM_400000_NS6detail17trampoline_kernelINS0_14default_configENS1_35radix_sort_onesweep_config_selectorI6__halfNS0_10empty_typeEEEZZNS1_29radix_sort_onesweep_iterationIS3_Lb0EPKS5_PS5_PS6_SC_mNS0_19identity_decomposerENS1_16block_id_wrapperIjLb0EEEEE10hipError_tT1_PNSt15iterator_traitsISH_E10value_typeET2_T3_PNSI_ISN_E10value_typeET4_T5_PSS_ST_PNS1_23onesweep_lookback_stateEbbT6_jjT7_P12ihipStream_tbENKUlT_T0_SH_SM_E_clISB_SB_SC_SC_EEDaS10_S11_SH_SM_EUlS10_E_NS1_11comp_targetILNS1_3genE10ELNS1_11target_archE1201ELNS1_3gpuE5ELNS1_3repE0EEENS1_47radix_sort_onesweep_sort_config_static_selectorELNS0_4arch9wavefront6targetE0EEEvSH_
	.globl	_ZN7rocprim17ROCPRIM_400000_NS6detail17trampoline_kernelINS0_14default_configENS1_35radix_sort_onesweep_config_selectorI6__halfNS0_10empty_typeEEEZZNS1_29radix_sort_onesweep_iterationIS3_Lb0EPKS5_PS5_PS6_SC_mNS0_19identity_decomposerENS1_16block_id_wrapperIjLb0EEEEE10hipError_tT1_PNSt15iterator_traitsISH_E10value_typeET2_T3_PNSI_ISN_E10value_typeET4_T5_PSS_ST_PNS1_23onesweep_lookback_stateEbbT6_jjT7_P12ihipStream_tbENKUlT_T0_SH_SM_E_clISB_SB_SC_SC_EEDaS10_S11_SH_SM_EUlS10_E_NS1_11comp_targetILNS1_3genE10ELNS1_11target_archE1201ELNS1_3gpuE5ELNS1_3repE0EEENS1_47radix_sort_onesweep_sort_config_static_selectorELNS0_4arch9wavefront6targetE0EEEvSH_
	.p2align	8
	.type	_ZN7rocprim17ROCPRIM_400000_NS6detail17trampoline_kernelINS0_14default_configENS1_35radix_sort_onesweep_config_selectorI6__halfNS0_10empty_typeEEEZZNS1_29radix_sort_onesweep_iterationIS3_Lb0EPKS5_PS5_PS6_SC_mNS0_19identity_decomposerENS1_16block_id_wrapperIjLb0EEEEE10hipError_tT1_PNSt15iterator_traitsISH_E10value_typeET2_T3_PNSI_ISN_E10value_typeET4_T5_PSS_ST_PNS1_23onesweep_lookback_stateEbbT6_jjT7_P12ihipStream_tbENKUlT_T0_SH_SM_E_clISB_SB_SC_SC_EEDaS10_S11_SH_SM_EUlS10_E_NS1_11comp_targetILNS1_3genE10ELNS1_11target_archE1201ELNS1_3gpuE5ELNS1_3repE0EEENS1_47radix_sort_onesweep_sort_config_static_selectorELNS0_4arch9wavefront6targetE0EEEvSH_,@function
_ZN7rocprim17ROCPRIM_400000_NS6detail17trampoline_kernelINS0_14default_configENS1_35radix_sort_onesweep_config_selectorI6__halfNS0_10empty_typeEEEZZNS1_29radix_sort_onesweep_iterationIS3_Lb0EPKS5_PS5_PS6_SC_mNS0_19identity_decomposerENS1_16block_id_wrapperIjLb0EEEEE10hipError_tT1_PNSt15iterator_traitsISH_E10value_typeET2_T3_PNSI_ISN_E10value_typeET4_T5_PSS_ST_PNS1_23onesweep_lookback_stateEbbT6_jjT7_P12ihipStream_tbENKUlT_T0_SH_SM_E_clISB_SB_SC_SC_EEDaS10_S11_SH_SM_EUlS10_E_NS1_11comp_targetILNS1_3genE10ELNS1_11target_archE1201ELNS1_3gpuE5ELNS1_3repE0EEENS1_47radix_sort_onesweep_sort_config_static_selectorELNS0_4arch9wavefront6targetE0EEEvSH_: ; @_ZN7rocprim17ROCPRIM_400000_NS6detail17trampoline_kernelINS0_14default_configENS1_35radix_sort_onesweep_config_selectorI6__halfNS0_10empty_typeEEEZZNS1_29radix_sort_onesweep_iterationIS3_Lb0EPKS5_PS5_PS6_SC_mNS0_19identity_decomposerENS1_16block_id_wrapperIjLb0EEEEE10hipError_tT1_PNSt15iterator_traitsISH_E10value_typeET2_T3_PNSI_ISN_E10value_typeET4_T5_PSS_ST_PNS1_23onesweep_lookback_stateEbbT6_jjT7_P12ihipStream_tbENKUlT_T0_SH_SM_E_clISB_SB_SC_SC_EEDaS10_S11_SH_SM_EUlS10_E_NS1_11comp_targetILNS1_3genE10ELNS1_11target_archE1201ELNS1_3gpuE5ELNS1_3repE0EEENS1_47radix_sort_onesweep_sort_config_static_selectorELNS0_4arch9wavefront6targetE0EEEvSH_
; %bb.0:
	.section	.rodata,"a",@progbits
	.p2align	6, 0x0
	.amdhsa_kernel _ZN7rocprim17ROCPRIM_400000_NS6detail17trampoline_kernelINS0_14default_configENS1_35radix_sort_onesweep_config_selectorI6__halfNS0_10empty_typeEEEZZNS1_29radix_sort_onesweep_iterationIS3_Lb0EPKS5_PS5_PS6_SC_mNS0_19identity_decomposerENS1_16block_id_wrapperIjLb0EEEEE10hipError_tT1_PNSt15iterator_traitsISH_E10value_typeET2_T3_PNSI_ISN_E10value_typeET4_T5_PSS_ST_PNS1_23onesweep_lookback_stateEbbT6_jjT7_P12ihipStream_tbENKUlT_T0_SH_SM_E_clISB_SB_SC_SC_EEDaS10_S11_SH_SM_EUlS10_E_NS1_11comp_targetILNS1_3genE10ELNS1_11target_archE1201ELNS1_3gpuE5ELNS1_3repE0EEENS1_47radix_sort_onesweep_sort_config_static_selectorELNS0_4arch9wavefront6targetE0EEEvSH_
		.amdhsa_group_segment_fixed_size 0
		.amdhsa_private_segment_fixed_size 0
		.amdhsa_kernarg_size 88
		.amdhsa_user_sgpr_count 2
		.amdhsa_user_sgpr_dispatch_ptr 0
		.amdhsa_user_sgpr_queue_ptr 0
		.amdhsa_user_sgpr_kernarg_segment_ptr 1
		.amdhsa_user_sgpr_dispatch_id 0
		.amdhsa_user_sgpr_kernarg_preload_length 0
		.amdhsa_user_sgpr_kernarg_preload_offset 0
		.amdhsa_user_sgpr_private_segment_size 0
		.amdhsa_wavefront_size32 1
		.amdhsa_uses_dynamic_stack 0
		.amdhsa_enable_private_segment 0
		.amdhsa_system_sgpr_workgroup_id_x 1
		.amdhsa_system_sgpr_workgroup_id_y 0
		.amdhsa_system_sgpr_workgroup_id_z 0
		.amdhsa_system_sgpr_workgroup_info 0
		.amdhsa_system_vgpr_workitem_id 0
		.amdhsa_next_free_vgpr 1
		.amdhsa_next_free_sgpr 1
		.amdhsa_named_barrier_count 0
		.amdhsa_reserve_vcc 0
		.amdhsa_float_round_mode_32 0
		.amdhsa_float_round_mode_16_64 0
		.amdhsa_float_denorm_mode_32 3
		.amdhsa_float_denorm_mode_16_64 3
		.amdhsa_fp16_overflow 0
		.amdhsa_memory_ordered 1
		.amdhsa_forward_progress 1
		.amdhsa_inst_pref_size 0
		.amdhsa_round_robin_scheduling 0
		.amdhsa_exception_fp_ieee_invalid_op 0
		.amdhsa_exception_fp_denorm_src 0
		.amdhsa_exception_fp_ieee_div_zero 0
		.amdhsa_exception_fp_ieee_overflow 0
		.amdhsa_exception_fp_ieee_underflow 0
		.amdhsa_exception_fp_ieee_inexact 0
		.amdhsa_exception_int_div_zero 0
	.end_amdhsa_kernel
	.section	.text._ZN7rocprim17ROCPRIM_400000_NS6detail17trampoline_kernelINS0_14default_configENS1_35radix_sort_onesweep_config_selectorI6__halfNS0_10empty_typeEEEZZNS1_29radix_sort_onesweep_iterationIS3_Lb0EPKS5_PS5_PS6_SC_mNS0_19identity_decomposerENS1_16block_id_wrapperIjLb0EEEEE10hipError_tT1_PNSt15iterator_traitsISH_E10value_typeET2_T3_PNSI_ISN_E10value_typeET4_T5_PSS_ST_PNS1_23onesweep_lookback_stateEbbT6_jjT7_P12ihipStream_tbENKUlT_T0_SH_SM_E_clISB_SB_SC_SC_EEDaS10_S11_SH_SM_EUlS10_E_NS1_11comp_targetILNS1_3genE10ELNS1_11target_archE1201ELNS1_3gpuE5ELNS1_3repE0EEENS1_47radix_sort_onesweep_sort_config_static_selectorELNS0_4arch9wavefront6targetE0EEEvSH_,"axG",@progbits,_ZN7rocprim17ROCPRIM_400000_NS6detail17trampoline_kernelINS0_14default_configENS1_35radix_sort_onesweep_config_selectorI6__halfNS0_10empty_typeEEEZZNS1_29radix_sort_onesweep_iterationIS3_Lb0EPKS5_PS5_PS6_SC_mNS0_19identity_decomposerENS1_16block_id_wrapperIjLb0EEEEE10hipError_tT1_PNSt15iterator_traitsISH_E10value_typeET2_T3_PNSI_ISN_E10value_typeET4_T5_PSS_ST_PNS1_23onesweep_lookback_stateEbbT6_jjT7_P12ihipStream_tbENKUlT_T0_SH_SM_E_clISB_SB_SC_SC_EEDaS10_S11_SH_SM_EUlS10_E_NS1_11comp_targetILNS1_3genE10ELNS1_11target_archE1201ELNS1_3gpuE5ELNS1_3repE0EEENS1_47radix_sort_onesweep_sort_config_static_selectorELNS0_4arch9wavefront6targetE0EEEvSH_,comdat
.Lfunc_end2283:
	.size	_ZN7rocprim17ROCPRIM_400000_NS6detail17trampoline_kernelINS0_14default_configENS1_35radix_sort_onesweep_config_selectorI6__halfNS0_10empty_typeEEEZZNS1_29radix_sort_onesweep_iterationIS3_Lb0EPKS5_PS5_PS6_SC_mNS0_19identity_decomposerENS1_16block_id_wrapperIjLb0EEEEE10hipError_tT1_PNSt15iterator_traitsISH_E10value_typeET2_T3_PNSI_ISN_E10value_typeET4_T5_PSS_ST_PNS1_23onesweep_lookback_stateEbbT6_jjT7_P12ihipStream_tbENKUlT_T0_SH_SM_E_clISB_SB_SC_SC_EEDaS10_S11_SH_SM_EUlS10_E_NS1_11comp_targetILNS1_3genE10ELNS1_11target_archE1201ELNS1_3gpuE5ELNS1_3repE0EEENS1_47radix_sort_onesweep_sort_config_static_selectorELNS0_4arch9wavefront6targetE0EEEvSH_, .Lfunc_end2283-_ZN7rocprim17ROCPRIM_400000_NS6detail17trampoline_kernelINS0_14default_configENS1_35radix_sort_onesweep_config_selectorI6__halfNS0_10empty_typeEEEZZNS1_29radix_sort_onesweep_iterationIS3_Lb0EPKS5_PS5_PS6_SC_mNS0_19identity_decomposerENS1_16block_id_wrapperIjLb0EEEEE10hipError_tT1_PNSt15iterator_traitsISH_E10value_typeET2_T3_PNSI_ISN_E10value_typeET4_T5_PSS_ST_PNS1_23onesweep_lookback_stateEbbT6_jjT7_P12ihipStream_tbENKUlT_T0_SH_SM_E_clISB_SB_SC_SC_EEDaS10_S11_SH_SM_EUlS10_E_NS1_11comp_targetILNS1_3genE10ELNS1_11target_archE1201ELNS1_3gpuE5ELNS1_3repE0EEENS1_47radix_sort_onesweep_sort_config_static_selectorELNS0_4arch9wavefront6targetE0EEEvSH_
                                        ; -- End function
	.set _ZN7rocprim17ROCPRIM_400000_NS6detail17trampoline_kernelINS0_14default_configENS1_35radix_sort_onesweep_config_selectorI6__halfNS0_10empty_typeEEEZZNS1_29radix_sort_onesweep_iterationIS3_Lb0EPKS5_PS5_PS6_SC_mNS0_19identity_decomposerENS1_16block_id_wrapperIjLb0EEEEE10hipError_tT1_PNSt15iterator_traitsISH_E10value_typeET2_T3_PNSI_ISN_E10value_typeET4_T5_PSS_ST_PNS1_23onesweep_lookback_stateEbbT6_jjT7_P12ihipStream_tbENKUlT_T0_SH_SM_E_clISB_SB_SC_SC_EEDaS10_S11_SH_SM_EUlS10_E_NS1_11comp_targetILNS1_3genE10ELNS1_11target_archE1201ELNS1_3gpuE5ELNS1_3repE0EEENS1_47radix_sort_onesweep_sort_config_static_selectorELNS0_4arch9wavefront6targetE0EEEvSH_.num_vgpr, 0
	.set _ZN7rocprim17ROCPRIM_400000_NS6detail17trampoline_kernelINS0_14default_configENS1_35radix_sort_onesweep_config_selectorI6__halfNS0_10empty_typeEEEZZNS1_29radix_sort_onesweep_iterationIS3_Lb0EPKS5_PS5_PS6_SC_mNS0_19identity_decomposerENS1_16block_id_wrapperIjLb0EEEEE10hipError_tT1_PNSt15iterator_traitsISH_E10value_typeET2_T3_PNSI_ISN_E10value_typeET4_T5_PSS_ST_PNS1_23onesweep_lookback_stateEbbT6_jjT7_P12ihipStream_tbENKUlT_T0_SH_SM_E_clISB_SB_SC_SC_EEDaS10_S11_SH_SM_EUlS10_E_NS1_11comp_targetILNS1_3genE10ELNS1_11target_archE1201ELNS1_3gpuE5ELNS1_3repE0EEENS1_47radix_sort_onesweep_sort_config_static_selectorELNS0_4arch9wavefront6targetE0EEEvSH_.num_agpr, 0
	.set _ZN7rocprim17ROCPRIM_400000_NS6detail17trampoline_kernelINS0_14default_configENS1_35radix_sort_onesweep_config_selectorI6__halfNS0_10empty_typeEEEZZNS1_29radix_sort_onesweep_iterationIS3_Lb0EPKS5_PS5_PS6_SC_mNS0_19identity_decomposerENS1_16block_id_wrapperIjLb0EEEEE10hipError_tT1_PNSt15iterator_traitsISH_E10value_typeET2_T3_PNSI_ISN_E10value_typeET4_T5_PSS_ST_PNS1_23onesweep_lookback_stateEbbT6_jjT7_P12ihipStream_tbENKUlT_T0_SH_SM_E_clISB_SB_SC_SC_EEDaS10_S11_SH_SM_EUlS10_E_NS1_11comp_targetILNS1_3genE10ELNS1_11target_archE1201ELNS1_3gpuE5ELNS1_3repE0EEENS1_47radix_sort_onesweep_sort_config_static_selectorELNS0_4arch9wavefront6targetE0EEEvSH_.numbered_sgpr, 0
	.set _ZN7rocprim17ROCPRIM_400000_NS6detail17trampoline_kernelINS0_14default_configENS1_35radix_sort_onesweep_config_selectorI6__halfNS0_10empty_typeEEEZZNS1_29radix_sort_onesweep_iterationIS3_Lb0EPKS5_PS5_PS6_SC_mNS0_19identity_decomposerENS1_16block_id_wrapperIjLb0EEEEE10hipError_tT1_PNSt15iterator_traitsISH_E10value_typeET2_T3_PNSI_ISN_E10value_typeET4_T5_PSS_ST_PNS1_23onesweep_lookback_stateEbbT6_jjT7_P12ihipStream_tbENKUlT_T0_SH_SM_E_clISB_SB_SC_SC_EEDaS10_S11_SH_SM_EUlS10_E_NS1_11comp_targetILNS1_3genE10ELNS1_11target_archE1201ELNS1_3gpuE5ELNS1_3repE0EEENS1_47radix_sort_onesweep_sort_config_static_selectorELNS0_4arch9wavefront6targetE0EEEvSH_.num_named_barrier, 0
	.set _ZN7rocprim17ROCPRIM_400000_NS6detail17trampoline_kernelINS0_14default_configENS1_35radix_sort_onesweep_config_selectorI6__halfNS0_10empty_typeEEEZZNS1_29radix_sort_onesweep_iterationIS3_Lb0EPKS5_PS5_PS6_SC_mNS0_19identity_decomposerENS1_16block_id_wrapperIjLb0EEEEE10hipError_tT1_PNSt15iterator_traitsISH_E10value_typeET2_T3_PNSI_ISN_E10value_typeET4_T5_PSS_ST_PNS1_23onesweep_lookback_stateEbbT6_jjT7_P12ihipStream_tbENKUlT_T0_SH_SM_E_clISB_SB_SC_SC_EEDaS10_S11_SH_SM_EUlS10_E_NS1_11comp_targetILNS1_3genE10ELNS1_11target_archE1201ELNS1_3gpuE5ELNS1_3repE0EEENS1_47radix_sort_onesweep_sort_config_static_selectorELNS0_4arch9wavefront6targetE0EEEvSH_.private_seg_size, 0
	.set _ZN7rocprim17ROCPRIM_400000_NS6detail17trampoline_kernelINS0_14default_configENS1_35radix_sort_onesweep_config_selectorI6__halfNS0_10empty_typeEEEZZNS1_29radix_sort_onesweep_iterationIS3_Lb0EPKS5_PS5_PS6_SC_mNS0_19identity_decomposerENS1_16block_id_wrapperIjLb0EEEEE10hipError_tT1_PNSt15iterator_traitsISH_E10value_typeET2_T3_PNSI_ISN_E10value_typeET4_T5_PSS_ST_PNS1_23onesweep_lookback_stateEbbT6_jjT7_P12ihipStream_tbENKUlT_T0_SH_SM_E_clISB_SB_SC_SC_EEDaS10_S11_SH_SM_EUlS10_E_NS1_11comp_targetILNS1_3genE10ELNS1_11target_archE1201ELNS1_3gpuE5ELNS1_3repE0EEENS1_47radix_sort_onesweep_sort_config_static_selectorELNS0_4arch9wavefront6targetE0EEEvSH_.uses_vcc, 0
	.set _ZN7rocprim17ROCPRIM_400000_NS6detail17trampoline_kernelINS0_14default_configENS1_35radix_sort_onesweep_config_selectorI6__halfNS0_10empty_typeEEEZZNS1_29radix_sort_onesweep_iterationIS3_Lb0EPKS5_PS5_PS6_SC_mNS0_19identity_decomposerENS1_16block_id_wrapperIjLb0EEEEE10hipError_tT1_PNSt15iterator_traitsISH_E10value_typeET2_T3_PNSI_ISN_E10value_typeET4_T5_PSS_ST_PNS1_23onesweep_lookback_stateEbbT6_jjT7_P12ihipStream_tbENKUlT_T0_SH_SM_E_clISB_SB_SC_SC_EEDaS10_S11_SH_SM_EUlS10_E_NS1_11comp_targetILNS1_3genE10ELNS1_11target_archE1201ELNS1_3gpuE5ELNS1_3repE0EEENS1_47radix_sort_onesweep_sort_config_static_selectorELNS0_4arch9wavefront6targetE0EEEvSH_.uses_flat_scratch, 0
	.set _ZN7rocprim17ROCPRIM_400000_NS6detail17trampoline_kernelINS0_14default_configENS1_35radix_sort_onesweep_config_selectorI6__halfNS0_10empty_typeEEEZZNS1_29radix_sort_onesweep_iterationIS3_Lb0EPKS5_PS5_PS6_SC_mNS0_19identity_decomposerENS1_16block_id_wrapperIjLb0EEEEE10hipError_tT1_PNSt15iterator_traitsISH_E10value_typeET2_T3_PNSI_ISN_E10value_typeET4_T5_PSS_ST_PNS1_23onesweep_lookback_stateEbbT6_jjT7_P12ihipStream_tbENKUlT_T0_SH_SM_E_clISB_SB_SC_SC_EEDaS10_S11_SH_SM_EUlS10_E_NS1_11comp_targetILNS1_3genE10ELNS1_11target_archE1201ELNS1_3gpuE5ELNS1_3repE0EEENS1_47radix_sort_onesweep_sort_config_static_selectorELNS0_4arch9wavefront6targetE0EEEvSH_.has_dyn_sized_stack, 0
	.set _ZN7rocprim17ROCPRIM_400000_NS6detail17trampoline_kernelINS0_14default_configENS1_35radix_sort_onesweep_config_selectorI6__halfNS0_10empty_typeEEEZZNS1_29radix_sort_onesweep_iterationIS3_Lb0EPKS5_PS5_PS6_SC_mNS0_19identity_decomposerENS1_16block_id_wrapperIjLb0EEEEE10hipError_tT1_PNSt15iterator_traitsISH_E10value_typeET2_T3_PNSI_ISN_E10value_typeET4_T5_PSS_ST_PNS1_23onesweep_lookback_stateEbbT6_jjT7_P12ihipStream_tbENKUlT_T0_SH_SM_E_clISB_SB_SC_SC_EEDaS10_S11_SH_SM_EUlS10_E_NS1_11comp_targetILNS1_3genE10ELNS1_11target_archE1201ELNS1_3gpuE5ELNS1_3repE0EEENS1_47radix_sort_onesweep_sort_config_static_selectorELNS0_4arch9wavefront6targetE0EEEvSH_.has_recursion, 0
	.set _ZN7rocprim17ROCPRIM_400000_NS6detail17trampoline_kernelINS0_14default_configENS1_35radix_sort_onesweep_config_selectorI6__halfNS0_10empty_typeEEEZZNS1_29radix_sort_onesweep_iterationIS3_Lb0EPKS5_PS5_PS6_SC_mNS0_19identity_decomposerENS1_16block_id_wrapperIjLb0EEEEE10hipError_tT1_PNSt15iterator_traitsISH_E10value_typeET2_T3_PNSI_ISN_E10value_typeET4_T5_PSS_ST_PNS1_23onesweep_lookback_stateEbbT6_jjT7_P12ihipStream_tbENKUlT_T0_SH_SM_E_clISB_SB_SC_SC_EEDaS10_S11_SH_SM_EUlS10_E_NS1_11comp_targetILNS1_3genE10ELNS1_11target_archE1201ELNS1_3gpuE5ELNS1_3repE0EEENS1_47radix_sort_onesweep_sort_config_static_selectorELNS0_4arch9wavefront6targetE0EEEvSH_.has_indirect_call, 0
	.section	.AMDGPU.csdata,"",@progbits
; Kernel info:
; codeLenInByte = 0
; TotalNumSgprs: 0
; NumVgprs: 0
; ScratchSize: 0
; MemoryBound: 0
; FloatMode: 240
; IeeeMode: 1
; LDSByteSize: 0 bytes/workgroup (compile time only)
; SGPRBlocks: 0
; VGPRBlocks: 0
; NumSGPRsForWavesPerEU: 1
; NumVGPRsForWavesPerEU: 1
; NamedBarCnt: 0
; Occupancy: 16
; WaveLimiterHint : 0
; COMPUTE_PGM_RSRC2:SCRATCH_EN: 0
; COMPUTE_PGM_RSRC2:USER_SGPR: 2
; COMPUTE_PGM_RSRC2:TRAP_HANDLER: 0
; COMPUTE_PGM_RSRC2:TGID_X_EN: 1
; COMPUTE_PGM_RSRC2:TGID_Y_EN: 0
; COMPUTE_PGM_RSRC2:TGID_Z_EN: 0
; COMPUTE_PGM_RSRC2:TIDIG_COMP_CNT: 0
	.section	.text._ZN7rocprim17ROCPRIM_400000_NS6detail17trampoline_kernelINS0_14default_configENS1_35radix_sort_onesweep_config_selectorI6__halfNS0_10empty_typeEEEZZNS1_29radix_sort_onesweep_iterationIS3_Lb0EPKS5_PS5_PS6_SC_mNS0_19identity_decomposerENS1_16block_id_wrapperIjLb0EEEEE10hipError_tT1_PNSt15iterator_traitsISH_E10value_typeET2_T3_PNSI_ISN_E10value_typeET4_T5_PSS_ST_PNS1_23onesweep_lookback_stateEbbT6_jjT7_P12ihipStream_tbENKUlT_T0_SH_SM_E_clISB_SB_SC_SC_EEDaS10_S11_SH_SM_EUlS10_E_NS1_11comp_targetILNS1_3genE9ELNS1_11target_archE1100ELNS1_3gpuE3ELNS1_3repE0EEENS1_47radix_sort_onesweep_sort_config_static_selectorELNS0_4arch9wavefront6targetE0EEEvSH_,"axG",@progbits,_ZN7rocprim17ROCPRIM_400000_NS6detail17trampoline_kernelINS0_14default_configENS1_35radix_sort_onesweep_config_selectorI6__halfNS0_10empty_typeEEEZZNS1_29radix_sort_onesweep_iterationIS3_Lb0EPKS5_PS5_PS6_SC_mNS0_19identity_decomposerENS1_16block_id_wrapperIjLb0EEEEE10hipError_tT1_PNSt15iterator_traitsISH_E10value_typeET2_T3_PNSI_ISN_E10value_typeET4_T5_PSS_ST_PNS1_23onesweep_lookback_stateEbbT6_jjT7_P12ihipStream_tbENKUlT_T0_SH_SM_E_clISB_SB_SC_SC_EEDaS10_S11_SH_SM_EUlS10_E_NS1_11comp_targetILNS1_3genE9ELNS1_11target_archE1100ELNS1_3gpuE3ELNS1_3repE0EEENS1_47radix_sort_onesweep_sort_config_static_selectorELNS0_4arch9wavefront6targetE0EEEvSH_,comdat
	.protected	_ZN7rocprim17ROCPRIM_400000_NS6detail17trampoline_kernelINS0_14default_configENS1_35radix_sort_onesweep_config_selectorI6__halfNS0_10empty_typeEEEZZNS1_29radix_sort_onesweep_iterationIS3_Lb0EPKS5_PS5_PS6_SC_mNS0_19identity_decomposerENS1_16block_id_wrapperIjLb0EEEEE10hipError_tT1_PNSt15iterator_traitsISH_E10value_typeET2_T3_PNSI_ISN_E10value_typeET4_T5_PSS_ST_PNS1_23onesweep_lookback_stateEbbT6_jjT7_P12ihipStream_tbENKUlT_T0_SH_SM_E_clISB_SB_SC_SC_EEDaS10_S11_SH_SM_EUlS10_E_NS1_11comp_targetILNS1_3genE9ELNS1_11target_archE1100ELNS1_3gpuE3ELNS1_3repE0EEENS1_47radix_sort_onesweep_sort_config_static_selectorELNS0_4arch9wavefront6targetE0EEEvSH_ ; -- Begin function _ZN7rocprim17ROCPRIM_400000_NS6detail17trampoline_kernelINS0_14default_configENS1_35radix_sort_onesweep_config_selectorI6__halfNS0_10empty_typeEEEZZNS1_29radix_sort_onesweep_iterationIS3_Lb0EPKS5_PS5_PS6_SC_mNS0_19identity_decomposerENS1_16block_id_wrapperIjLb0EEEEE10hipError_tT1_PNSt15iterator_traitsISH_E10value_typeET2_T3_PNSI_ISN_E10value_typeET4_T5_PSS_ST_PNS1_23onesweep_lookback_stateEbbT6_jjT7_P12ihipStream_tbENKUlT_T0_SH_SM_E_clISB_SB_SC_SC_EEDaS10_S11_SH_SM_EUlS10_E_NS1_11comp_targetILNS1_3genE9ELNS1_11target_archE1100ELNS1_3gpuE3ELNS1_3repE0EEENS1_47radix_sort_onesweep_sort_config_static_selectorELNS0_4arch9wavefront6targetE0EEEvSH_
	.globl	_ZN7rocprim17ROCPRIM_400000_NS6detail17trampoline_kernelINS0_14default_configENS1_35radix_sort_onesweep_config_selectorI6__halfNS0_10empty_typeEEEZZNS1_29radix_sort_onesweep_iterationIS3_Lb0EPKS5_PS5_PS6_SC_mNS0_19identity_decomposerENS1_16block_id_wrapperIjLb0EEEEE10hipError_tT1_PNSt15iterator_traitsISH_E10value_typeET2_T3_PNSI_ISN_E10value_typeET4_T5_PSS_ST_PNS1_23onesweep_lookback_stateEbbT6_jjT7_P12ihipStream_tbENKUlT_T0_SH_SM_E_clISB_SB_SC_SC_EEDaS10_S11_SH_SM_EUlS10_E_NS1_11comp_targetILNS1_3genE9ELNS1_11target_archE1100ELNS1_3gpuE3ELNS1_3repE0EEENS1_47radix_sort_onesweep_sort_config_static_selectorELNS0_4arch9wavefront6targetE0EEEvSH_
	.p2align	8
	.type	_ZN7rocprim17ROCPRIM_400000_NS6detail17trampoline_kernelINS0_14default_configENS1_35radix_sort_onesweep_config_selectorI6__halfNS0_10empty_typeEEEZZNS1_29radix_sort_onesweep_iterationIS3_Lb0EPKS5_PS5_PS6_SC_mNS0_19identity_decomposerENS1_16block_id_wrapperIjLb0EEEEE10hipError_tT1_PNSt15iterator_traitsISH_E10value_typeET2_T3_PNSI_ISN_E10value_typeET4_T5_PSS_ST_PNS1_23onesweep_lookback_stateEbbT6_jjT7_P12ihipStream_tbENKUlT_T0_SH_SM_E_clISB_SB_SC_SC_EEDaS10_S11_SH_SM_EUlS10_E_NS1_11comp_targetILNS1_3genE9ELNS1_11target_archE1100ELNS1_3gpuE3ELNS1_3repE0EEENS1_47radix_sort_onesweep_sort_config_static_selectorELNS0_4arch9wavefront6targetE0EEEvSH_,@function
_ZN7rocprim17ROCPRIM_400000_NS6detail17trampoline_kernelINS0_14default_configENS1_35radix_sort_onesweep_config_selectorI6__halfNS0_10empty_typeEEEZZNS1_29radix_sort_onesweep_iterationIS3_Lb0EPKS5_PS5_PS6_SC_mNS0_19identity_decomposerENS1_16block_id_wrapperIjLb0EEEEE10hipError_tT1_PNSt15iterator_traitsISH_E10value_typeET2_T3_PNSI_ISN_E10value_typeET4_T5_PSS_ST_PNS1_23onesweep_lookback_stateEbbT6_jjT7_P12ihipStream_tbENKUlT_T0_SH_SM_E_clISB_SB_SC_SC_EEDaS10_S11_SH_SM_EUlS10_E_NS1_11comp_targetILNS1_3genE9ELNS1_11target_archE1100ELNS1_3gpuE3ELNS1_3repE0EEENS1_47radix_sort_onesweep_sort_config_static_selectorELNS0_4arch9wavefront6targetE0EEEvSH_: ; @_ZN7rocprim17ROCPRIM_400000_NS6detail17trampoline_kernelINS0_14default_configENS1_35radix_sort_onesweep_config_selectorI6__halfNS0_10empty_typeEEEZZNS1_29radix_sort_onesweep_iterationIS3_Lb0EPKS5_PS5_PS6_SC_mNS0_19identity_decomposerENS1_16block_id_wrapperIjLb0EEEEE10hipError_tT1_PNSt15iterator_traitsISH_E10value_typeET2_T3_PNSI_ISN_E10value_typeET4_T5_PSS_ST_PNS1_23onesweep_lookback_stateEbbT6_jjT7_P12ihipStream_tbENKUlT_T0_SH_SM_E_clISB_SB_SC_SC_EEDaS10_S11_SH_SM_EUlS10_E_NS1_11comp_targetILNS1_3genE9ELNS1_11target_archE1100ELNS1_3gpuE3ELNS1_3repE0EEENS1_47radix_sort_onesweep_sort_config_static_selectorELNS0_4arch9wavefront6targetE0EEEvSH_
; %bb.0:
	.section	.rodata,"a",@progbits
	.p2align	6, 0x0
	.amdhsa_kernel _ZN7rocprim17ROCPRIM_400000_NS6detail17trampoline_kernelINS0_14default_configENS1_35radix_sort_onesweep_config_selectorI6__halfNS0_10empty_typeEEEZZNS1_29radix_sort_onesweep_iterationIS3_Lb0EPKS5_PS5_PS6_SC_mNS0_19identity_decomposerENS1_16block_id_wrapperIjLb0EEEEE10hipError_tT1_PNSt15iterator_traitsISH_E10value_typeET2_T3_PNSI_ISN_E10value_typeET4_T5_PSS_ST_PNS1_23onesweep_lookback_stateEbbT6_jjT7_P12ihipStream_tbENKUlT_T0_SH_SM_E_clISB_SB_SC_SC_EEDaS10_S11_SH_SM_EUlS10_E_NS1_11comp_targetILNS1_3genE9ELNS1_11target_archE1100ELNS1_3gpuE3ELNS1_3repE0EEENS1_47radix_sort_onesweep_sort_config_static_selectorELNS0_4arch9wavefront6targetE0EEEvSH_
		.amdhsa_group_segment_fixed_size 0
		.amdhsa_private_segment_fixed_size 0
		.amdhsa_kernarg_size 88
		.amdhsa_user_sgpr_count 2
		.amdhsa_user_sgpr_dispatch_ptr 0
		.amdhsa_user_sgpr_queue_ptr 0
		.amdhsa_user_sgpr_kernarg_segment_ptr 1
		.amdhsa_user_sgpr_dispatch_id 0
		.amdhsa_user_sgpr_kernarg_preload_length 0
		.amdhsa_user_sgpr_kernarg_preload_offset 0
		.amdhsa_user_sgpr_private_segment_size 0
		.amdhsa_wavefront_size32 1
		.amdhsa_uses_dynamic_stack 0
		.amdhsa_enable_private_segment 0
		.amdhsa_system_sgpr_workgroup_id_x 1
		.amdhsa_system_sgpr_workgroup_id_y 0
		.amdhsa_system_sgpr_workgroup_id_z 0
		.amdhsa_system_sgpr_workgroup_info 0
		.amdhsa_system_vgpr_workitem_id 0
		.amdhsa_next_free_vgpr 1
		.amdhsa_next_free_sgpr 1
		.amdhsa_named_barrier_count 0
		.amdhsa_reserve_vcc 0
		.amdhsa_float_round_mode_32 0
		.amdhsa_float_round_mode_16_64 0
		.amdhsa_float_denorm_mode_32 3
		.amdhsa_float_denorm_mode_16_64 3
		.amdhsa_fp16_overflow 0
		.amdhsa_memory_ordered 1
		.amdhsa_forward_progress 1
		.amdhsa_inst_pref_size 0
		.amdhsa_round_robin_scheduling 0
		.amdhsa_exception_fp_ieee_invalid_op 0
		.amdhsa_exception_fp_denorm_src 0
		.amdhsa_exception_fp_ieee_div_zero 0
		.amdhsa_exception_fp_ieee_overflow 0
		.amdhsa_exception_fp_ieee_underflow 0
		.amdhsa_exception_fp_ieee_inexact 0
		.amdhsa_exception_int_div_zero 0
	.end_amdhsa_kernel
	.section	.text._ZN7rocprim17ROCPRIM_400000_NS6detail17trampoline_kernelINS0_14default_configENS1_35radix_sort_onesweep_config_selectorI6__halfNS0_10empty_typeEEEZZNS1_29radix_sort_onesweep_iterationIS3_Lb0EPKS5_PS5_PS6_SC_mNS0_19identity_decomposerENS1_16block_id_wrapperIjLb0EEEEE10hipError_tT1_PNSt15iterator_traitsISH_E10value_typeET2_T3_PNSI_ISN_E10value_typeET4_T5_PSS_ST_PNS1_23onesweep_lookback_stateEbbT6_jjT7_P12ihipStream_tbENKUlT_T0_SH_SM_E_clISB_SB_SC_SC_EEDaS10_S11_SH_SM_EUlS10_E_NS1_11comp_targetILNS1_3genE9ELNS1_11target_archE1100ELNS1_3gpuE3ELNS1_3repE0EEENS1_47radix_sort_onesweep_sort_config_static_selectorELNS0_4arch9wavefront6targetE0EEEvSH_,"axG",@progbits,_ZN7rocprim17ROCPRIM_400000_NS6detail17trampoline_kernelINS0_14default_configENS1_35radix_sort_onesweep_config_selectorI6__halfNS0_10empty_typeEEEZZNS1_29radix_sort_onesweep_iterationIS3_Lb0EPKS5_PS5_PS6_SC_mNS0_19identity_decomposerENS1_16block_id_wrapperIjLb0EEEEE10hipError_tT1_PNSt15iterator_traitsISH_E10value_typeET2_T3_PNSI_ISN_E10value_typeET4_T5_PSS_ST_PNS1_23onesweep_lookback_stateEbbT6_jjT7_P12ihipStream_tbENKUlT_T0_SH_SM_E_clISB_SB_SC_SC_EEDaS10_S11_SH_SM_EUlS10_E_NS1_11comp_targetILNS1_3genE9ELNS1_11target_archE1100ELNS1_3gpuE3ELNS1_3repE0EEENS1_47radix_sort_onesweep_sort_config_static_selectorELNS0_4arch9wavefront6targetE0EEEvSH_,comdat
.Lfunc_end2284:
	.size	_ZN7rocprim17ROCPRIM_400000_NS6detail17trampoline_kernelINS0_14default_configENS1_35radix_sort_onesweep_config_selectorI6__halfNS0_10empty_typeEEEZZNS1_29radix_sort_onesweep_iterationIS3_Lb0EPKS5_PS5_PS6_SC_mNS0_19identity_decomposerENS1_16block_id_wrapperIjLb0EEEEE10hipError_tT1_PNSt15iterator_traitsISH_E10value_typeET2_T3_PNSI_ISN_E10value_typeET4_T5_PSS_ST_PNS1_23onesweep_lookback_stateEbbT6_jjT7_P12ihipStream_tbENKUlT_T0_SH_SM_E_clISB_SB_SC_SC_EEDaS10_S11_SH_SM_EUlS10_E_NS1_11comp_targetILNS1_3genE9ELNS1_11target_archE1100ELNS1_3gpuE3ELNS1_3repE0EEENS1_47radix_sort_onesweep_sort_config_static_selectorELNS0_4arch9wavefront6targetE0EEEvSH_, .Lfunc_end2284-_ZN7rocprim17ROCPRIM_400000_NS6detail17trampoline_kernelINS0_14default_configENS1_35radix_sort_onesweep_config_selectorI6__halfNS0_10empty_typeEEEZZNS1_29radix_sort_onesweep_iterationIS3_Lb0EPKS5_PS5_PS6_SC_mNS0_19identity_decomposerENS1_16block_id_wrapperIjLb0EEEEE10hipError_tT1_PNSt15iterator_traitsISH_E10value_typeET2_T3_PNSI_ISN_E10value_typeET4_T5_PSS_ST_PNS1_23onesweep_lookback_stateEbbT6_jjT7_P12ihipStream_tbENKUlT_T0_SH_SM_E_clISB_SB_SC_SC_EEDaS10_S11_SH_SM_EUlS10_E_NS1_11comp_targetILNS1_3genE9ELNS1_11target_archE1100ELNS1_3gpuE3ELNS1_3repE0EEENS1_47radix_sort_onesweep_sort_config_static_selectorELNS0_4arch9wavefront6targetE0EEEvSH_
                                        ; -- End function
	.set _ZN7rocprim17ROCPRIM_400000_NS6detail17trampoline_kernelINS0_14default_configENS1_35radix_sort_onesweep_config_selectorI6__halfNS0_10empty_typeEEEZZNS1_29radix_sort_onesweep_iterationIS3_Lb0EPKS5_PS5_PS6_SC_mNS0_19identity_decomposerENS1_16block_id_wrapperIjLb0EEEEE10hipError_tT1_PNSt15iterator_traitsISH_E10value_typeET2_T3_PNSI_ISN_E10value_typeET4_T5_PSS_ST_PNS1_23onesweep_lookback_stateEbbT6_jjT7_P12ihipStream_tbENKUlT_T0_SH_SM_E_clISB_SB_SC_SC_EEDaS10_S11_SH_SM_EUlS10_E_NS1_11comp_targetILNS1_3genE9ELNS1_11target_archE1100ELNS1_3gpuE3ELNS1_3repE0EEENS1_47radix_sort_onesweep_sort_config_static_selectorELNS0_4arch9wavefront6targetE0EEEvSH_.num_vgpr, 0
	.set _ZN7rocprim17ROCPRIM_400000_NS6detail17trampoline_kernelINS0_14default_configENS1_35radix_sort_onesweep_config_selectorI6__halfNS0_10empty_typeEEEZZNS1_29radix_sort_onesweep_iterationIS3_Lb0EPKS5_PS5_PS6_SC_mNS0_19identity_decomposerENS1_16block_id_wrapperIjLb0EEEEE10hipError_tT1_PNSt15iterator_traitsISH_E10value_typeET2_T3_PNSI_ISN_E10value_typeET4_T5_PSS_ST_PNS1_23onesweep_lookback_stateEbbT6_jjT7_P12ihipStream_tbENKUlT_T0_SH_SM_E_clISB_SB_SC_SC_EEDaS10_S11_SH_SM_EUlS10_E_NS1_11comp_targetILNS1_3genE9ELNS1_11target_archE1100ELNS1_3gpuE3ELNS1_3repE0EEENS1_47radix_sort_onesweep_sort_config_static_selectorELNS0_4arch9wavefront6targetE0EEEvSH_.num_agpr, 0
	.set _ZN7rocprim17ROCPRIM_400000_NS6detail17trampoline_kernelINS0_14default_configENS1_35radix_sort_onesweep_config_selectorI6__halfNS0_10empty_typeEEEZZNS1_29radix_sort_onesweep_iterationIS3_Lb0EPKS5_PS5_PS6_SC_mNS0_19identity_decomposerENS1_16block_id_wrapperIjLb0EEEEE10hipError_tT1_PNSt15iterator_traitsISH_E10value_typeET2_T3_PNSI_ISN_E10value_typeET4_T5_PSS_ST_PNS1_23onesweep_lookback_stateEbbT6_jjT7_P12ihipStream_tbENKUlT_T0_SH_SM_E_clISB_SB_SC_SC_EEDaS10_S11_SH_SM_EUlS10_E_NS1_11comp_targetILNS1_3genE9ELNS1_11target_archE1100ELNS1_3gpuE3ELNS1_3repE0EEENS1_47radix_sort_onesweep_sort_config_static_selectorELNS0_4arch9wavefront6targetE0EEEvSH_.numbered_sgpr, 0
	.set _ZN7rocprim17ROCPRIM_400000_NS6detail17trampoline_kernelINS0_14default_configENS1_35radix_sort_onesweep_config_selectorI6__halfNS0_10empty_typeEEEZZNS1_29radix_sort_onesweep_iterationIS3_Lb0EPKS5_PS5_PS6_SC_mNS0_19identity_decomposerENS1_16block_id_wrapperIjLb0EEEEE10hipError_tT1_PNSt15iterator_traitsISH_E10value_typeET2_T3_PNSI_ISN_E10value_typeET4_T5_PSS_ST_PNS1_23onesweep_lookback_stateEbbT6_jjT7_P12ihipStream_tbENKUlT_T0_SH_SM_E_clISB_SB_SC_SC_EEDaS10_S11_SH_SM_EUlS10_E_NS1_11comp_targetILNS1_3genE9ELNS1_11target_archE1100ELNS1_3gpuE3ELNS1_3repE0EEENS1_47radix_sort_onesweep_sort_config_static_selectorELNS0_4arch9wavefront6targetE0EEEvSH_.num_named_barrier, 0
	.set _ZN7rocprim17ROCPRIM_400000_NS6detail17trampoline_kernelINS0_14default_configENS1_35radix_sort_onesweep_config_selectorI6__halfNS0_10empty_typeEEEZZNS1_29radix_sort_onesweep_iterationIS3_Lb0EPKS5_PS5_PS6_SC_mNS0_19identity_decomposerENS1_16block_id_wrapperIjLb0EEEEE10hipError_tT1_PNSt15iterator_traitsISH_E10value_typeET2_T3_PNSI_ISN_E10value_typeET4_T5_PSS_ST_PNS1_23onesweep_lookback_stateEbbT6_jjT7_P12ihipStream_tbENKUlT_T0_SH_SM_E_clISB_SB_SC_SC_EEDaS10_S11_SH_SM_EUlS10_E_NS1_11comp_targetILNS1_3genE9ELNS1_11target_archE1100ELNS1_3gpuE3ELNS1_3repE0EEENS1_47radix_sort_onesweep_sort_config_static_selectorELNS0_4arch9wavefront6targetE0EEEvSH_.private_seg_size, 0
	.set _ZN7rocprim17ROCPRIM_400000_NS6detail17trampoline_kernelINS0_14default_configENS1_35radix_sort_onesweep_config_selectorI6__halfNS0_10empty_typeEEEZZNS1_29radix_sort_onesweep_iterationIS3_Lb0EPKS5_PS5_PS6_SC_mNS0_19identity_decomposerENS1_16block_id_wrapperIjLb0EEEEE10hipError_tT1_PNSt15iterator_traitsISH_E10value_typeET2_T3_PNSI_ISN_E10value_typeET4_T5_PSS_ST_PNS1_23onesweep_lookback_stateEbbT6_jjT7_P12ihipStream_tbENKUlT_T0_SH_SM_E_clISB_SB_SC_SC_EEDaS10_S11_SH_SM_EUlS10_E_NS1_11comp_targetILNS1_3genE9ELNS1_11target_archE1100ELNS1_3gpuE3ELNS1_3repE0EEENS1_47radix_sort_onesweep_sort_config_static_selectorELNS0_4arch9wavefront6targetE0EEEvSH_.uses_vcc, 0
	.set _ZN7rocprim17ROCPRIM_400000_NS6detail17trampoline_kernelINS0_14default_configENS1_35radix_sort_onesweep_config_selectorI6__halfNS0_10empty_typeEEEZZNS1_29radix_sort_onesweep_iterationIS3_Lb0EPKS5_PS5_PS6_SC_mNS0_19identity_decomposerENS1_16block_id_wrapperIjLb0EEEEE10hipError_tT1_PNSt15iterator_traitsISH_E10value_typeET2_T3_PNSI_ISN_E10value_typeET4_T5_PSS_ST_PNS1_23onesweep_lookback_stateEbbT6_jjT7_P12ihipStream_tbENKUlT_T0_SH_SM_E_clISB_SB_SC_SC_EEDaS10_S11_SH_SM_EUlS10_E_NS1_11comp_targetILNS1_3genE9ELNS1_11target_archE1100ELNS1_3gpuE3ELNS1_3repE0EEENS1_47radix_sort_onesweep_sort_config_static_selectorELNS0_4arch9wavefront6targetE0EEEvSH_.uses_flat_scratch, 0
	.set _ZN7rocprim17ROCPRIM_400000_NS6detail17trampoline_kernelINS0_14default_configENS1_35radix_sort_onesweep_config_selectorI6__halfNS0_10empty_typeEEEZZNS1_29radix_sort_onesweep_iterationIS3_Lb0EPKS5_PS5_PS6_SC_mNS0_19identity_decomposerENS1_16block_id_wrapperIjLb0EEEEE10hipError_tT1_PNSt15iterator_traitsISH_E10value_typeET2_T3_PNSI_ISN_E10value_typeET4_T5_PSS_ST_PNS1_23onesweep_lookback_stateEbbT6_jjT7_P12ihipStream_tbENKUlT_T0_SH_SM_E_clISB_SB_SC_SC_EEDaS10_S11_SH_SM_EUlS10_E_NS1_11comp_targetILNS1_3genE9ELNS1_11target_archE1100ELNS1_3gpuE3ELNS1_3repE0EEENS1_47radix_sort_onesweep_sort_config_static_selectorELNS0_4arch9wavefront6targetE0EEEvSH_.has_dyn_sized_stack, 0
	.set _ZN7rocprim17ROCPRIM_400000_NS6detail17trampoline_kernelINS0_14default_configENS1_35radix_sort_onesweep_config_selectorI6__halfNS0_10empty_typeEEEZZNS1_29radix_sort_onesweep_iterationIS3_Lb0EPKS5_PS5_PS6_SC_mNS0_19identity_decomposerENS1_16block_id_wrapperIjLb0EEEEE10hipError_tT1_PNSt15iterator_traitsISH_E10value_typeET2_T3_PNSI_ISN_E10value_typeET4_T5_PSS_ST_PNS1_23onesweep_lookback_stateEbbT6_jjT7_P12ihipStream_tbENKUlT_T0_SH_SM_E_clISB_SB_SC_SC_EEDaS10_S11_SH_SM_EUlS10_E_NS1_11comp_targetILNS1_3genE9ELNS1_11target_archE1100ELNS1_3gpuE3ELNS1_3repE0EEENS1_47radix_sort_onesweep_sort_config_static_selectorELNS0_4arch9wavefront6targetE0EEEvSH_.has_recursion, 0
	.set _ZN7rocprim17ROCPRIM_400000_NS6detail17trampoline_kernelINS0_14default_configENS1_35radix_sort_onesweep_config_selectorI6__halfNS0_10empty_typeEEEZZNS1_29radix_sort_onesweep_iterationIS3_Lb0EPKS5_PS5_PS6_SC_mNS0_19identity_decomposerENS1_16block_id_wrapperIjLb0EEEEE10hipError_tT1_PNSt15iterator_traitsISH_E10value_typeET2_T3_PNSI_ISN_E10value_typeET4_T5_PSS_ST_PNS1_23onesweep_lookback_stateEbbT6_jjT7_P12ihipStream_tbENKUlT_T0_SH_SM_E_clISB_SB_SC_SC_EEDaS10_S11_SH_SM_EUlS10_E_NS1_11comp_targetILNS1_3genE9ELNS1_11target_archE1100ELNS1_3gpuE3ELNS1_3repE0EEENS1_47radix_sort_onesweep_sort_config_static_selectorELNS0_4arch9wavefront6targetE0EEEvSH_.has_indirect_call, 0
	.section	.AMDGPU.csdata,"",@progbits
; Kernel info:
; codeLenInByte = 0
; TotalNumSgprs: 0
; NumVgprs: 0
; ScratchSize: 0
; MemoryBound: 0
; FloatMode: 240
; IeeeMode: 1
; LDSByteSize: 0 bytes/workgroup (compile time only)
; SGPRBlocks: 0
; VGPRBlocks: 0
; NumSGPRsForWavesPerEU: 1
; NumVGPRsForWavesPerEU: 1
; NamedBarCnt: 0
; Occupancy: 16
; WaveLimiterHint : 0
; COMPUTE_PGM_RSRC2:SCRATCH_EN: 0
; COMPUTE_PGM_RSRC2:USER_SGPR: 2
; COMPUTE_PGM_RSRC2:TRAP_HANDLER: 0
; COMPUTE_PGM_RSRC2:TGID_X_EN: 1
; COMPUTE_PGM_RSRC2:TGID_Y_EN: 0
; COMPUTE_PGM_RSRC2:TGID_Z_EN: 0
; COMPUTE_PGM_RSRC2:TIDIG_COMP_CNT: 0
	.section	.text._ZN7rocprim17ROCPRIM_400000_NS6detail17trampoline_kernelINS0_14default_configENS1_35radix_sort_onesweep_config_selectorI6__halfNS0_10empty_typeEEEZZNS1_29radix_sort_onesweep_iterationIS3_Lb0EPKS5_PS5_PS6_SC_mNS0_19identity_decomposerENS1_16block_id_wrapperIjLb0EEEEE10hipError_tT1_PNSt15iterator_traitsISH_E10value_typeET2_T3_PNSI_ISN_E10value_typeET4_T5_PSS_ST_PNS1_23onesweep_lookback_stateEbbT6_jjT7_P12ihipStream_tbENKUlT_T0_SH_SM_E_clISB_SB_SC_SC_EEDaS10_S11_SH_SM_EUlS10_E_NS1_11comp_targetILNS1_3genE8ELNS1_11target_archE1030ELNS1_3gpuE2ELNS1_3repE0EEENS1_47radix_sort_onesweep_sort_config_static_selectorELNS0_4arch9wavefront6targetE0EEEvSH_,"axG",@progbits,_ZN7rocprim17ROCPRIM_400000_NS6detail17trampoline_kernelINS0_14default_configENS1_35radix_sort_onesweep_config_selectorI6__halfNS0_10empty_typeEEEZZNS1_29radix_sort_onesweep_iterationIS3_Lb0EPKS5_PS5_PS6_SC_mNS0_19identity_decomposerENS1_16block_id_wrapperIjLb0EEEEE10hipError_tT1_PNSt15iterator_traitsISH_E10value_typeET2_T3_PNSI_ISN_E10value_typeET4_T5_PSS_ST_PNS1_23onesweep_lookback_stateEbbT6_jjT7_P12ihipStream_tbENKUlT_T0_SH_SM_E_clISB_SB_SC_SC_EEDaS10_S11_SH_SM_EUlS10_E_NS1_11comp_targetILNS1_3genE8ELNS1_11target_archE1030ELNS1_3gpuE2ELNS1_3repE0EEENS1_47radix_sort_onesweep_sort_config_static_selectorELNS0_4arch9wavefront6targetE0EEEvSH_,comdat
	.protected	_ZN7rocprim17ROCPRIM_400000_NS6detail17trampoline_kernelINS0_14default_configENS1_35radix_sort_onesweep_config_selectorI6__halfNS0_10empty_typeEEEZZNS1_29radix_sort_onesweep_iterationIS3_Lb0EPKS5_PS5_PS6_SC_mNS0_19identity_decomposerENS1_16block_id_wrapperIjLb0EEEEE10hipError_tT1_PNSt15iterator_traitsISH_E10value_typeET2_T3_PNSI_ISN_E10value_typeET4_T5_PSS_ST_PNS1_23onesweep_lookback_stateEbbT6_jjT7_P12ihipStream_tbENKUlT_T0_SH_SM_E_clISB_SB_SC_SC_EEDaS10_S11_SH_SM_EUlS10_E_NS1_11comp_targetILNS1_3genE8ELNS1_11target_archE1030ELNS1_3gpuE2ELNS1_3repE0EEENS1_47radix_sort_onesweep_sort_config_static_selectorELNS0_4arch9wavefront6targetE0EEEvSH_ ; -- Begin function _ZN7rocprim17ROCPRIM_400000_NS6detail17trampoline_kernelINS0_14default_configENS1_35radix_sort_onesweep_config_selectorI6__halfNS0_10empty_typeEEEZZNS1_29radix_sort_onesweep_iterationIS3_Lb0EPKS5_PS5_PS6_SC_mNS0_19identity_decomposerENS1_16block_id_wrapperIjLb0EEEEE10hipError_tT1_PNSt15iterator_traitsISH_E10value_typeET2_T3_PNSI_ISN_E10value_typeET4_T5_PSS_ST_PNS1_23onesweep_lookback_stateEbbT6_jjT7_P12ihipStream_tbENKUlT_T0_SH_SM_E_clISB_SB_SC_SC_EEDaS10_S11_SH_SM_EUlS10_E_NS1_11comp_targetILNS1_3genE8ELNS1_11target_archE1030ELNS1_3gpuE2ELNS1_3repE0EEENS1_47radix_sort_onesweep_sort_config_static_selectorELNS0_4arch9wavefront6targetE0EEEvSH_
	.globl	_ZN7rocprim17ROCPRIM_400000_NS6detail17trampoline_kernelINS0_14default_configENS1_35radix_sort_onesweep_config_selectorI6__halfNS0_10empty_typeEEEZZNS1_29radix_sort_onesweep_iterationIS3_Lb0EPKS5_PS5_PS6_SC_mNS0_19identity_decomposerENS1_16block_id_wrapperIjLb0EEEEE10hipError_tT1_PNSt15iterator_traitsISH_E10value_typeET2_T3_PNSI_ISN_E10value_typeET4_T5_PSS_ST_PNS1_23onesweep_lookback_stateEbbT6_jjT7_P12ihipStream_tbENKUlT_T0_SH_SM_E_clISB_SB_SC_SC_EEDaS10_S11_SH_SM_EUlS10_E_NS1_11comp_targetILNS1_3genE8ELNS1_11target_archE1030ELNS1_3gpuE2ELNS1_3repE0EEENS1_47radix_sort_onesweep_sort_config_static_selectorELNS0_4arch9wavefront6targetE0EEEvSH_
	.p2align	8
	.type	_ZN7rocprim17ROCPRIM_400000_NS6detail17trampoline_kernelINS0_14default_configENS1_35radix_sort_onesweep_config_selectorI6__halfNS0_10empty_typeEEEZZNS1_29radix_sort_onesweep_iterationIS3_Lb0EPKS5_PS5_PS6_SC_mNS0_19identity_decomposerENS1_16block_id_wrapperIjLb0EEEEE10hipError_tT1_PNSt15iterator_traitsISH_E10value_typeET2_T3_PNSI_ISN_E10value_typeET4_T5_PSS_ST_PNS1_23onesweep_lookback_stateEbbT6_jjT7_P12ihipStream_tbENKUlT_T0_SH_SM_E_clISB_SB_SC_SC_EEDaS10_S11_SH_SM_EUlS10_E_NS1_11comp_targetILNS1_3genE8ELNS1_11target_archE1030ELNS1_3gpuE2ELNS1_3repE0EEENS1_47radix_sort_onesweep_sort_config_static_selectorELNS0_4arch9wavefront6targetE0EEEvSH_,@function
_ZN7rocprim17ROCPRIM_400000_NS6detail17trampoline_kernelINS0_14default_configENS1_35radix_sort_onesweep_config_selectorI6__halfNS0_10empty_typeEEEZZNS1_29radix_sort_onesweep_iterationIS3_Lb0EPKS5_PS5_PS6_SC_mNS0_19identity_decomposerENS1_16block_id_wrapperIjLb0EEEEE10hipError_tT1_PNSt15iterator_traitsISH_E10value_typeET2_T3_PNSI_ISN_E10value_typeET4_T5_PSS_ST_PNS1_23onesweep_lookback_stateEbbT6_jjT7_P12ihipStream_tbENKUlT_T0_SH_SM_E_clISB_SB_SC_SC_EEDaS10_S11_SH_SM_EUlS10_E_NS1_11comp_targetILNS1_3genE8ELNS1_11target_archE1030ELNS1_3gpuE2ELNS1_3repE0EEENS1_47radix_sort_onesweep_sort_config_static_selectorELNS0_4arch9wavefront6targetE0EEEvSH_: ; @_ZN7rocprim17ROCPRIM_400000_NS6detail17trampoline_kernelINS0_14default_configENS1_35radix_sort_onesweep_config_selectorI6__halfNS0_10empty_typeEEEZZNS1_29radix_sort_onesweep_iterationIS3_Lb0EPKS5_PS5_PS6_SC_mNS0_19identity_decomposerENS1_16block_id_wrapperIjLb0EEEEE10hipError_tT1_PNSt15iterator_traitsISH_E10value_typeET2_T3_PNSI_ISN_E10value_typeET4_T5_PSS_ST_PNS1_23onesweep_lookback_stateEbbT6_jjT7_P12ihipStream_tbENKUlT_T0_SH_SM_E_clISB_SB_SC_SC_EEDaS10_S11_SH_SM_EUlS10_E_NS1_11comp_targetILNS1_3genE8ELNS1_11target_archE1030ELNS1_3gpuE2ELNS1_3repE0EEENS1_47radix_sort_onesweep_sort_config_static_selectorELNS0_4arch9wavefront6targetE0EEEvSH_
; %bb.0:
	.section	.rodata,"a",@progbits
	.p2align	6, 0x0
	.amdhsa_kernel _ZN7rocprim17ROCPRIM_400000_NS6detail17trampoline_kernelINS0_14default_configENS1_35radix_sort_onesweep_config_selectorI6__halfNS0_10empty_typeEEEZZNS1_29radix_sort_onesweep_iterationIS3_Lb0EPKS5_PS5_PS6_SC_mNS0_19identity_decomposerENS1_16block_id_wrapperIjLb0EEEEE10hipError_tT1_PNSt15iterator_traitsISH_E10value_typeET2_T3_PNSI_ISN_E10value_typeET4_T5_PSS_ST_PNS1_23onesweep_lookback_stateEbbT6_jjT7_P12ihipStream_tbENKUlT_T0_SH_SM_E_clISB_SB_SC_SC_EEDaS10_S11_SH_SM_EUlS10_E_NS1_11comp_targetILNS1_3genE8ELNS1_11target_archE1030ELNS1_3gpuE2ELNS1_3repE0EEENS1_47radix_sort_onesweep_sort_config_static_selectorELNS0_4arch9wavefront6targetE0EEEvSH_
		.amdhsa_group_segment_fixed_size 0
		.amdhsa_private_segment_fixed_size 0
		.amdhsa_kernarg_size 88
		.amdhsa_user_sgpr_count 2
		.amdhsa_user_sgpr_dispatch_ptr 0
		.amdhsa_user_sgpr_queue_ptr 0
		.amdhsa_user_sgpr_kernarg_segment_ptr 1
		.amdhsa_user_sgpr_dispatch_id 0
		.amdhsa_user_sgpr_kernarg_preload_length 0
		.amdhsa_user_sgpr_kernarg_preload_offset 0
		.amdhsa_user_sgpr_private_segment_size 0
		.amdhsa_wavefront_size32 1
		.amdhsa_uses_dynamic_stack 0
		.amdhsa_enable_private_segment 0
		.amdhsa_system_sgpr_workgroup_id_x 1
		.amdhsa_system_sgpr_workgroup_id_y 0
		.amdhsa_system_sgpr_workgroup_id_z 0
		.amdhsa_system_sgpr_workgroup_info 0
		.amdhsa_system_vgpr_workitem_id 0
		.amdhsa_next_free_vgpr 1
		.amdhsa_next_free_sgpr 1
		.amdhsa_named_barrier_count 0
		.amdhsa_reserve_vcc 0
		.amdhsa_float_round_mode_32 0
		.amdhsa_float_round_mode_16_64 0
		.amdhsa_float_denorm_mode_32 3
		.amdhsa_float_denorm_mode_16_64 3
		.amdhsa_fp16_overflow 0
		.amdhsa_memory_ordered 1
		.amdhsa_forward_progress 1
		.amdhsa_inst_pref_size 0
		.amdhsa_round_robin_scheduling 0
		.amdhsa_exception_fp_ieee_invalid_op 0
		.amdhsa_exception_fp_denorm_src 0
		.amdhsa_exception_fp_ieee_div_zero 0
		.amdhsa_exception_fp_ieee_overflow 0
		.amdhsa_exception_fp_ieee_underflow 0
		.amdhsa_exception_fp_ieee_inexact 0
		.amdhsa_exception_int_div_zero 0
	.end_amdhsa_kernel
	.section	.text._ZN7rocprim17ROCPRIM_400000_NS6detail17trampoline_kernelINS0_14default_configENS1_35radix_sort_onesweep_config_selectorI6__halfNS0_10empty_typeEEEZZNS1_29radix_sort_onesweep_iterationIS3_Lb0EPKS5_PS5_PS6_SC_mNS0_19identity_decomposerENS1_16block_id_wrapperIjLb0EEEEE10hipError_tT1_PNSt15iterator_traitsISH_E10value_typeET2_T3_PNSI_ISN_E10value_typeET4_T5_PSS_ST_PNS1_23onesweep_lookback_stateEbbT6_jjT7_P12ihipStream_tbENKUlT_T0_SH_SM_E_clISB_SB_SC_SC_EEDaS10_S11_SH_SM_EUlS10_E_NS1_11comp_targetILNS1_3genE8ELNS1_11target_archE1030ELNS1_3gpuE2ELNS1_3repE0EEENS1_47radix_sort_onesweep_sort_config_static_selectorELNS0_4arch9wavefront6targetE0EEEvSH_,"axG",@progbits,_ZN7rocprim17ROCPRIM_400000_NS6detail17trampoline_kernelINS0_14default_configENS1_35radix_sort_onesweep_config_selectorI6__halfNS0_10empty_typeEEEZZNS1_29radix_sort_onesweep_iterationIS3_Lb0EPKS5_PS5_PS6_SC_mNS0_19identity_decomposerENS1_16block_id_wrapperIjLb0EEEEE10hipError_tT1_PNSt15iterator_traitsISH_E10value_typeET2_T3_PNSI_ISN_E10value_typeET4_T5_PSS_ST_PNS1_23onesweep_lookback_stateEbbT6_jjT7_P12ihipStream_tbENKUlT_T0_SH_SM_E_clISB_SB_SC_SC_EEDaS10_S11_SH_SM_EUlS10_E_NS1_11comp_targetILNS1_3genE8ELNS1_11target_archE1030ELNS1_3gpuE2ELNS1_3repE0EEENS1_47radix_sort_onesweep_sort_config_static_selectorELNS0_4arch9wavefront6targetE0EEEvSH_,comdat
.Lfunc_end2285:
	.size	_ZN7rocprim17ROCPRIM_400000_NS6detail17trampoline_kernelINS0_14default_configENS1_35radix_sort_onesweep_config_selectorI6__halfNS0_10empty_typeEEEZZNS1_29radix_sort_onesweep_iterationIS3_Lb0EPKS5_PS5_PS6_SC_mNS0_19identity_decomposerENS1_16block_id_wrapperIjLb0EEEEE10hipError_tT1_PNSt15iterator_traitsISH_E10value_typeET2_T3_PNSI_ISN_E10value_typeET4_T5_PSS_ST_PNS1_23onesweep_lookback_stateEbbT6_jjT7_P12ihipStream_tbENKUlT_T0_SH_SM_E_clISB_SB_SC_SC_EEDaS10_S11_SH_SM_EUlS10_E_NS1_11comp_targetILNS1_3genE8ELNS1_11target_archE1030ELNS1_3gpuE2ELNS1_3repE0EEENS1_47radix_sort_onesweep_sort_config_static_selectorELNS0_4arch9wavefront6targetE0EEEvSH_, .Lfunc_end2285-_ZN7rocprim17ROCPRIM_400000_NS6detail17trampoline_kernelINS0_14default_configENS1_35radix_sort_onesweep_config_selectorI6__halfNS0_10empty_typeEEEZZNS1_29radix_sort_onesweep_iterationIS3_Lb0EPKS5_PS5_PS6_SC_mNS0_19identity_decomposerENS1_16block_id_wrapperIjLb0EEEEE10hipError_tT1_PNSt15iterator_traitsISH_E10value_typeET2_T3_PNSI_ISN_E10value_typeET4_T5_PSS_ST_PNS1_23onesweep_lookback_stateEbbT6_jjT7_P12ihipStream_tbENKUlT_T0_SH_SM_E_clISB_SB_SC_SC_EEDaS10_S11_SH_SM_EUlS10_E_NS1_11comp_targetILNS1_3genE8ELNS1_11target_archE1030ELNS1_3gpuE2ELNS1_3repE0EEENS1_47radix_sort_onesweep_sort_config_static_selectorELNS0_4arch9wavefront6targetE0EEEvSH_
                                        ; -- End function
	.set _ZN7rocprim17ROCPRIM_400000_NS6detail17trampoline_kernelINS0_14default_configENS1_35radix_sort_onesweep_config_selectorI6__halfNS0_10empty_typeEEEZZNS1_29radix_sort_onesweep_iterationIS3_Lb0EPKS5_PS5_PS6_SC_mNS0_19identity_decomposerENS1_16block_id_wrapperIjLb0EEEEE10hipError_tT1_PNSt15iterator_traitsISH_E10value_typeET2_T3_PNSI_ISN_E10value_typeET4_T5_PSS_ST_PNS1_23onesweep_lookback_stateEbbT6_jjT7_P12ihipStream_tbENKUlT_T0_SH_SM_E_clISB_SB_SC_SC_EEDaS10_S11_SH_SM_EUlS10_E_NS1_11comp_targetILNS1_3genE8ELNS1_11target_archE1030ELNS1_3gpuE2ELNS1_3repE0EEENS1_47radix_sort_onesweep_sort_config_static_selectorELNS0_4arch9wavefront6targetE0EEEvSH_.num_vgpr, 0
	.set _ZN7rocprim17ROCPRIM_400000_NS6detail17trampoline_kernelINS0_14default_configENS1_35radix_sort_onesweep_config_selectorI6__halfNS0_10empty_typeEEEZZNS1_29radix_sort_onesweep_iterationIS3_Lb0EPKS5_PS5_PS6_SC_mNS0_19identity_decomposerENS1_16block_id_wrapperIjLb0EEEEE10hipError_tT1_PNSt15iterator_traitsISH_E10value_typeET2_T3_PNSI_ISN_E10value_typeET4_T5_PSS_ST_PNS1_23onesweep_lookback_stateEbbT6_jjT7_P12ihipStream_tbENKUlT_T0_SH_SM_E_clISB_SB_SC_SC_EEDaS10_S11_SH_SM_EUlS10_E_NS1_11comp_targetILNS1_3genE8ELNS1_11target_archE1030ELNS1_3gpuE2ELNS1_3repE0EEENS1_47radix_sort_onesweep_sort_config_static_selectorELNS0_4arch9wavefront6targetE0EEEvSH_.num_agpr, 0
	.set _ZN7rocprim17ROCPRIM_400000_NS6detail17trampoline_kernelINS0_14default_configENS1_35radix_sort_onesweep_config_selectorI6__halfNS0_10empty_typeEEEZZNS1_29radix_sort_onesweep_iterationIS3_Lb0EPKS5_PS5_PS6_SC_mNS0_19identity_decomposerENS1_16block_id_wrapperIjLb0EEEEE10hipError_tT1_PNSt15iterator_traitsISH_E10value_typeET2_T3_PNSI_ISN_E10value_typeET4_T5_PSS_ST_PNS1_23onesweep_lookback_stateEbbT6_jjT7_P12ihipStream_tbENKUlT_T0_SH_SM_E_clISB_SB_SC_SC_EEDaS10_S11_SH_SM_EUlS10_E_NS1_11comp_targetILNS1_3genE8ELNS1_11target_archE1030ELNS1_3gpuE2ELNS1_3repE0EEENS1_47radix_sort_onesweep_sort_config_static_selectorELNS0_4arch9wavefront6targetE0EEEvSH_.numbered_sgpr, 0
	.set _ZN7rocprim17ROCPRIM_400000_NS6detail17trampoline_kernelINS0_14default_configENS1_35radix_sort_onesweep_config_selectorI6__halfNS0_10empty_typeEEEZZNS1_29radix_sort_onesweep_iterationIS3_Lb0EPKS5_PS5_PS6_SC_mNS0_19identity_decomposerENS1_16block_id_wrapperIjLb0EEEEE10hipError_tT1_PNSt15iterator_traitsISH_E10value_typeET2_T3_PNSI_ISN_E10value_typeET4_T5_PSS_ST_PNS1_23onesweep_lookback_stateEbbT6_jjT7_P12ihipStream_tbENKUlT_T0_SH_SM_E_clISB_SB_SC_SC_EEDaS10_S11_SH_SM_EUlS10_E_NS1_11comp_targetILNS1_3genE8ELNS1_11target_archE1030ELNS1_3gpuE2ELNS1_3repE0EEENS1_47radix_sort_onesweep_sort_config_static_selectorELNS0_4arch9wavefront6targetE0EEEvSH_.num_named_barrier, 0
	.set _ZN7rocprim17ROCPRIM_400000_NS6detail17trampoline_kernelINS0_14default_configENS1_35radix_sort_onesweep_config_selectorI6__halfNS0_10empty_typeEEEZZNS1_29radix_sort_onesweep_iterationIS3_Lb0EPKS5_PS5_PS6_SC_mNS0_19identity_decomposerENS1_16block_id_wrapperIjLb0EEEEE10hipError_tT1_PNSt15iterator_traitsISH_E10value_typeET2_T3_PNSI_ISN_E10value_typeET4_T5_PSS_ST_PNS1_23onesweep_lookback_stateEbbT6_jjT7_P12ihipStream_tbENKUlT_T0_SH_SM_E_clISB_SB_SC_SC_EEDaS10_S11_SH_SM_EUlS10_E_NS1_11comp_targetILNS1_3genE8ELNS1_11target_archE1030ELNS1_3gpuE2ELNS1_3repE0EEENS1_47radix_sort_onesweep_sort_config_static_selectorELNS0_4arch9wavefront6targetE0EEEvSH_.private_seg_size, 0
	.set _ZN7rocprim17ROCPRIM_400000_NS6detail17trampoline_kernelINS0_14default_configENS1_35radix_sort_onesweep_config_selectorI6__halfNS0_10empty_typeEEEZZNS1_29radix_sort_onesweep_iterationIS3_Lb0EPKS5_PS5_PS6_SC_mNS0_19identity_decomposerENS1_16block_id_wrapperIjLb0EEEEE10hipError_tT1_PNSt15iterator_traitsISH_E10value_typeET2_T3_PNSI_ISN_E10value_typeET4_T5_PSS_ST_PNS1_23onesweep_lookback_stateEbbT6_jjT7_P12ihipStream_tbENKUlT_T0_SH_SM_E_clISB_SB_SC_SC_EEDaS10_S11_SH_SM_EUlS10_E_NS1_11comp_targetILNS1_3genE8ELNS1_11target_archE1030ELNS1_3gpuE2ELNS1_3repE0EEENS1_47radix_sort_onesweep_sort_config_static_selectorELNS0_4arch9wavefront6targetE0EEEvSH_.uses_vcc, 0
	.set _ZN7rocprim17ROCPRIM_400000_NS6detail17trampoline_kernelINS0_14default_configENS1_35radix_sort_onesweep_config_selectorI6__halfNS0_10empty_typeEEEZZNS1_29radix_sort_onesweep_iterationIS3_Lb0EPKS5_PS5_PS6_SC_mNS0_19identity_decomposerENS1_16block_id_wrapperIjLb0EEEEE10hipError_tT1_PNSt15iterator_traitsISH_E10value_typeET2_T3_PNSI_ISN_E10value_typeET4_T5_PSS_ST_PNS1_23onesweep_lookback_stateEbbT6_jjT7_P12ihipStream_tbENKUlT_T0_SH_SM_E_clISB_SB_SC_SC_EEDaS10_S11_SH_SM_EUlS10_E_NS1_11comp_targetILNS1_3genE8ELNS1_11target_archE1030ELNS1_3gpuE2ELNS1_3repE0EEENS1_47radix_sort_onesweep_sort_config_static_selectorELNS0_4arch9wavefront6targetE0EEEvSH_.uses_flat_scratch, 0
	.set _ZN7rocprim17ROCPRIM_400000_NS6detail17trampoline_kernelINS0_14default_configENS1_35radix_sort_onesweep_config_selectorI6__halfNS0_10empty_typeEEEZZNS1_29radix_sort_onesweep_iterationIS3_Lb0EPKS5_PS5_PS6_SC_mNS0_19identity_decomposerENS1_16block_id_wrapperIjLb0EEEEE10hipError_tT1_PNSt15iterator_traitsISH_E10value_typeET2_T3_PNSI_ISN_E10value_typeET4_T5_PSS_ST_PNS1_23onesweep_lookback_stateEbbT6_jjT7_P12ihipStream_tbENKUlT_T0_SH_SM_E_clISB_SB_SC_SC_EEDaS10_S11_SH_SM_EUlS10_E_NS1_11comp_targetILNS1_3genE8ELNS1_11target_archE1030ELNS1_3gpuE2ELNS1_3repE0EEENS1_47radix_sort_onesweep_sort_config_static_selectorELNS0_4arch9wavefront6targetE0EEEvSH_.has_dyn_sized_stack, 0
	.set _ZN7rocprim17ROCPRIM_400000_NS6detail17trampoline_kernelINS0_14default_configENS1_35radix_sort_onesweep_config_selectorI6__halfNS0_10empty_typeEEEZZNS1_29radix_sort_onesweep_iterationIS3_Lb0EPKS5_PS5_PS6_SC_mNS0_19identity_decomposerENS1_16block_id_wrapperIjLb0EEEEE10hipError_tT1_PNSt15iterator_traitsISH_E10value_typeET2_T3_PNSI_ISN_E10value_typeET4_T5_PSS_ST_PNS1_23onesweep_lookback_stateEbbT6_jjT7_P12ihipStream_tbENKUlT_T0_SH_SM_E_clISB_SB_SC_SC_EEDaS10_S11_SH_SM_EUlS10_E_NS1_11comp_targetILNS1_3genE8ELNS1_11target_archE1030ELNS1_3gpuE2ELNS1_3repE0EEENS1_47radix_sort_onesweep_sort_config_static_selectorELNS0_4arch9wavefront6targetE0EEEvSH_.has_recursion, 0
	.set _ZN7rocprim17ROCPRIM_400000_NS6detail17trampoline_kernelINS0_14default_configENS1_35radix_sort_onesweep_config_selectorI6__halfNS0_10empty_typeEEEZZNS1_29radix_sort_onesweep_iterationIS3_Lb0EPKS5_PS5_PS6_SC_mNS0_19identity_decomposerENS1_16block_id_wrapperIjLb0EEEEE10hipError_tT1_PNSt15iterator_traitsISH_E10value_typeET2_T3_PNSI_ISN_E10value_typeET4_T5_PSS_ST_PNS1_23onesweep_lookback_stateEbbT6_jjT7_P12ihipStream_tbENKUlT_T0_SH_SM_E_clISB_SB_SC_SC_EEDaS10_S11_SH_SM_EUlS10_E_NS1_11comp_targetILNS1_3genE8ELNS1_11target_archE1030ELNS1_3gpuE2ELNS1_3repE0EEENS1_47radix_sort_onesweep_sort_config_static_selectorELNS0_4arch9wavefront6targetE0EEEvSH_.has_indirect_call, 0
	.section	.AMDGPU.csdata,"",@progbits
; Kernel info:
; codeLenInByte = 0
; TotalNumSgprs: 0
; NumVgprs: 0
; ScratchSize: 0
; MemoryBound: 0
; FloatMode: 240
; IeeeMode: 1
; LDSByteSize: 0 bytes/workgroup (compile time only)
; SGPRBlocks: 0
; VGPRBlocks: 0
; NumSGPRsForWavesPerEU: 1
; NumVGPRsForWavesPerEU: 1
; NamedBarCnt: 0
; Occupancy: 16
; WaveLimiterHint : 0
; COMPUTE_PGM_RSRC2:SCRATCH_EN: 0
; COMPUTE_PGM_RSRC2:USER_SGPR: 2
; COMPUTE_PGM_RSRC2:TRAP_HANDLER: 0
; COMPUTE_PGM_RSRC2:TGID_X_EN: 1
; COMPUTE_PGM_RSRC2:TGID_Y_EN: 0
; COMPUTE_PGM_RSRC2:TGID_Z_EN: 0
; COMPUTE_PGM_RSRC2:TIDIG_COMP_CNT: 0
	.section	.text._ZN7rocprim17ROCPRIM_400000_NS6detail17trampoline_kernelINS0_13kernel_configILj256ELj4ELj4294967295EEENS1_37radix_sort_block_sort_config_selectorItNS0_10empty_typeEEEZNS1_21radix_sort_block_sortIS4_Lb1EPKtPtPS6_SC_NS0_19identity_decomposerEEE10hipError_tT1_T2_T3_T4_jRjT5_jjP12ihipStream_tbEUlT_E_NS1_11comp_targetILNS1_3genE0ELNS1_11target_archE4294967295ELNS1_3gpuE0ELNS1_3repE0EEENS1_44radix_sort_block_sort_config_static_selectorELNS0_4arch9wavefront6targetE0EEEvSF_,"axG",@progbits,_ZN7rocprim17ROCPRIM_400000_NS6detail17trampoline_kernelINS0_13kernel_configILj256ELj4ELj4294967295EEENS1_37radix_sort_block_sort_config_selectorItNS0_10empty_typeEEEZNS1_21radix_sort_block_sortIS4_Lb1EPKtPtPS6_SC_NS0_19identity_decomposerEEE10hipError_tT1_T2_T3_T4_jRjT5_jjP12ihipStream_tbEUlT_E_NS1_11comp_targetILNS1_3genE0ELNS1_11target_archE4294967295ELNS1_3gpuE0ELNS1_3repE0EEENS1_44radix_sort_block_sort_config_static_selectorELNS0_4arch9wavefront6targetE0EEEvSF_,comdat
	.protected	_ZN7rocprim17ROCPRIM_400000_NS6detail17trampoline_kernelINS0_13kernel_configILj256ELj4ELj4294967295EEENS1_37radix_sort_block_sort_config_selectorItNS0_10empty_typeEEEZNS1_21radix_sort_block_sortIS4_Lb1EPKtPtPS6_SC_NS0_19identity_decomposerEEE10hipError_tT1_T2_T3_T4_jRjT5_jjP12ihipStream_tbEUlT_E_NS1_11comp_targetILNS1_3genE0ELNS1_11target_archE4294967295ELNS1_3gpuE0ELNS1_3repE0EEENS1_44radix_sort_block_sort_config_static_selectorELNS0_4arch9wavefront6targetE0EEEvSF_ ; -- Begin function _ZN7rocprim17ROCPRIM_400000_NS6detail17trampoline_kernelINS0_13kernel_configILj256ELj4ELj4294967295EEENS1_37radix_sort_block_sort_config_selectorItNS0_10empty_typeEEEZNS1_21radix_sort_block_sortIS4_Lb1EPKtPtPS6_SC_NS0_19identity_decomposerEEE10hipError_tT1_T2_T3_T4_jRjT5_jjP12ihipStream_tbEUlT_E_NS1_11comp_targetILNS1_3genE0ELNS1_11target_archE4294967295ELNS1_3gpuE0ELNS1_3repE0EEENS1_44radix_sort_block_sort_config_static_selectorELNS0_4arch9wavefront6targetE0EEEvSF_
	.globl	_ZN7rocprim17ROCPRIM_400000_NS6detail17trampoline_kernelINS0_13kernel_configILj256ELj4ELj4294967295EEENS1_37radix_sort_block_sort_config_selectorItNS0_10empty_typeEEEZNS1_21radix_sort_block_sortIS4_Lb1EPKtPtPS6_SC_NS0_19identity_decomposerEEE10hipError_tT1_T2_T3_T4_jRjT5_jjP12ihipStream_tbEUlT_E_NS1_11comp_targetILNS1_3genE0ELNS1_11target_archE4294967295ELNS1_3gpuE0ELNS1_3repE0EEENS1_44radix_sort_block_sort_config_static_selectorELNS0_4arch9wavefront6targetE0EEEvSF_
	.p2align	8
	.type	_ZN7rocprim17ROCPRIM_400000_NS6detail17trampoline_kernelINS0_13kernel_configILj256ELj4ELj4294967295EEENS1_37radix_sort_block_sort_config_selectorItNS0_10empty_typeEEEZNS1_21radix_sort_block_sortIS4_Lb1EPKtPtPS6_SC_NS0_19identity_decomposerEEE10hipError_tT1_T2_T3_T4_jRjT5_jjP12ihipStream_tbEUlT_E_NS1_11comp_targetILNS1_3genE0ELNS1_11target_archE4294967295ELNS1_3gpuE0ELNS1_3repE0EEENS1_44radix_sort_block_sort_config_static_selectorELNS0_4arch9wavefront6targetE0EEEvSF_,@function
_ZN7rocprim17ROCPRIM_400000_NS6detail17trampoline_kernelINS0_13kernel_configILj256ELj4ELj4294967295EEENS1_37radix_sort_block_sort_config_selectorItNS0_10empty_typeEEEZNS1_21radix_sort_block_sortIS4_Lb1EPKtPtPS6_SC_NS0_19identity_decomposerEEE10hipError_tT1_T2_T3_T4_jRjT5_jjP12ihipStream_tbEUlT_E_NS1_11comp_targetILNS1_3genE0ELNS1_11target_archE4294967295ELNS1_3gpuE0ELNS1_3repE0EEENS1_44radix_sort_block_sort_config_static_selectorELNS0_4arch9wavefront6targetE0EEEvSF_: ; @_ZN7rocprim17ROCPRIM_400000_NS6detail17trampoline_kernelINS0_13kernel_configILj256ELj4ELj4294967295EEENS1_37radix_sort_block_sort_config_selectorItNS0_10empty_typeEEEZNS1_21radix_sort_block_sortIS4_Lb1EPKtPtPS6_SC_NS0_19identity_decomposerEEE10hipError_tT1_T2_T3_T4_jRjT5_jjP12ihipStream_tbEUlT_E_NS1_11comp_targetILNS1_3genE0ELNS1_11target_archE4294967295ELNS1_3gpuE0ELNS1_3repE0EEENS1_44radix_sort_block_sort_config_static_selectorELNS0_4arch9wavefront6targetE0EEEvSF_
; %bb.0:
	s_clause 0x1
	s_load_b32 s4, s[0:1], 0x20
	s_load_b128 s[16:19], s[0:1], 0x0
	s_bfe_u32 s5, ttmp6, 0x4000c
	s_and_b32 s2, ttmp6, 15
	s_add_co_i32 s5, s5, 1
	s_getreg_b32 s6, hwreg(HW_REG_IB_STS2, 6, 4)
	s_mul_i32 s5, ttmp9, s5
	v_and_b32_e32 v12, 0x3ff, v0
	s_add_co_i32 s2, s2, s5
	s_cmp_eq_u32 s6, 0
	v_mbcnt_lo_u32_b32 v1, -1, 0
	s_cselect_b32 s5, ttmp9, s2
	v_dual_mov_b32 v3, 0 :: v_dual_lshlrev_b32 v4, 2, v12
	s_lshl_b32 s2, s5, 10
	s_mov_b32 s3, 0
	v_lshlrev_b32_e32 v2, 1, v1
	s_delay_alu instid0(VALU_DEP_2) | instskip(SKIP_2) | instid1(SALU_CYCLE_1)
	v_and_b32_e32 v8, 0x380, v4
	s_wait_kmcnt 0x0
	s_lshr_b32 s8, s4, 10
	s_cmp_lg_u32 s5, s8
	s_cselect_b32 s25, -1, 0
	s_lshl_b64 s[20:21], s[2:3], 1
	s_cmp_eq_u32 s5, s8
	s_add_nc_u64 s[6:7], s[16:17], s[20:21]
	s_mov_b32 s5, -1
	v_add_nc_u64_e32 v[4:5], s[6:7], v[2:3]
	v_lshlrev_b32_e32 v2, 1, v8
	s_delay_alu instid0(VALU_DEP_1)
	v_add_nc_u64_e32 v[6:7], v[4:5], v[2:3]
                                        ; implicit-def: $vgpr4_vgpr5
	s_cbranch_scc0 .LBB2286_26
; %bb.1:
	s_load_b64 s[22:23], s[0:1], 0x28
	s_and_not1_b32 vcc_lo, exec_lo, s5
	s_sub_co_i32 s24, s4, s2
	s_cbranch_vccz .LBB2286_27
.LBB2286_2:
	s_and_saveexec_b32 s2, s3
	s_cbranch_execz .LBB2286_4
.LBB2286_3:
	global_load_u16 v3, v[6:7], off offset:192
	s_wait_loadcnt 0x0
	v_perm_b32 v5, v3, v5, 0x5040100
.LBB2286_4:
	s_or_b32 exec_lo, exec_lo, s2
	s_load_b32 s6, s[0:1], 0x3c
	v_bfe_u32 v7, v0, 10, 10
	v_bfe_u32 v0, v0, 20, 10
	s_get_pc_i64 s[4:5]
	s_add_nc_u64 s[4:5], s[4:5], _ZN7rocprim17ROCPRIM_400000_NS16block_radix_sortItLj256ELj4ENS0_10empty_typeELj1ELj1ELj0ELNS0_26block_radix_rank_algorithmE1ELNS0_18block_padding_hintE2ELNS0_4arch9wavefront6targetE0EE19radix_bits_per_passE@rel64+4
	v_sub_co_u32 v11, s2, v1, 1
	v_and_b32_e32 v10, 0x3e0, v12
	s_load_b32 s26, s[4:5], 0x0
	v_dual_lshlrev_b32 v13, 5, v12 :: v_dual_bitop2_b32 v8, 15, v1 bitop3:0x40
	s_delay_alu instid0(VALU_DEP_3)
	v_cmp_gt_i32_e32 vcc_lo, 0, v11
	s_wait_loadcnt 0x0
	v_dual_lshrrev_b32 v5, 16, v5 :: v_dual_bitop2_b32 v3, -1, v5 bitop3:0x14
	v_dual_lshrrev_b32 v4, 16, v4 :: v_dual_bitop2_b32 v6, -1, v4 bitop3:0x14
	v_dual_lshrrev_b32 v14, 3, v12 :: v_dual_bitop2_b32 v9, 16, v1 bitop3:0x40
	v_and_b32_e32 v17, 7, v1
	s_wait_xcnt 0x0
	v_cmp_eq_u32_e64 s4, 0, v8
	v_cmp_lt_u32_e64 s5, 1, v8
	s_wait_kmcnt 0x0
	s_lshr_b32 s7, s6, 16
	s_and_b32 s6, s6, 0xffff
	v_mad_u32_u24 v0, v0, s7, v7
	v_min_u32_e32 v7, 0xe0, v10
	v_cmp_lt_u32_e64 s7, 7, v8
	s_mov_b32 s14, 0
	v_mul_i32_i24_e32 v19, 0xffffffe4, v12
	v_mad_u32 v0, v0, s6, v12
	v_cmp_lt_u32_e64 s6, 3, v8
	v_cndmask_b32_e32 v8, v11, v1, vcc_lo
	v_xor_b32_e32 v5, -1, v5
	v_and_b32_e32 v14, 0x7c, v14
	v_xor_b32_e32 v4, -1, v4
	s_delay_alu instid0(VALU_DEP_4)
	v_dual_lshlrev_b32 v15, 2, v8 :: v_dual_bitop2_b32 v7, 31, v7 bitop3:0x54
	s_mov_b32 s15, s14
	s_mov_b32 s16, s14
	;; [unrolled: 1-line block ×3, first 2 shown]
	v_lshrrev_b32_e32 v0, 3, v0
	v_cmp_eq_u32_e64 s8, 0, v9
	v_mov_b64_e32 v[8:9], s[14:15]
	v_mov_b64_e32 v[10:11], s[16:17]
	v_cmp_gt_u32_e64 s0, 8, v12
	v_cmp_lt_u32_e64 s1, 31, v12
	v_cmp_eq_u32_e64 s3, 0, v12
	v_cmp_eq_u32_e64 s9, 0, v17
	v_cmp_lt_u32_e64 s10, 1, v17
	v_cmp_eq_u32_e64 s11, v12, v7
	v_and_b32_e32 v16, 0x1ffffffc, v0
	v_cmp_lt_u32_e64 s12, 3, v17
	v_add_nc_u32_e32 v17, -4, v14
	v_lshl_add_u32 v18, v1, 1, v2
	v_perm_b32 v20, v4, v6, 0x5040100
	v_perm_b32 v0, v5, v3, 0x5040100
	v_add_nc_u32_e32 v19, v13, v19
	s_add_co_i32 s27, s23, s22
	s_branch .LBB2286_6
.LBB2286_5:                             ;   in Loop: Header=BB2286_6 Depth=1
	s_and_not1_b32 vcc_lo, exec_lo, s13
	s_cbranch_vccz .LBB2286_22
.LBB2286_6:                             ; =>This Inner Loop Header: Depth=1
	v_and_b32_e32 v1, 0xffff, v20
	s_min_u32 s13, s26, s23
	ds_store_2addr_b64 v13, v[8:9], v[10:11] offset0:4 offset1:5
	ds_store_2addr_b64 v13, v[8:9], v[10:11] offset0:6 offset1:7
	s_lshl_b32 s28, -1, s13
	s_wait_dscnt 0x0
	v_lshrrev_b32_e32 v1, s22, v1
	s_barrier_signal -1
	s_barrier_wait -1
	s_delay_alu instid0(VALU_DEP_1) | instskip(NEXT) | instid1(VALU_DEP_1)
	v_bitop3_b32 v3, v1, s28, v1 bitop3:0x30
	; wave barrier
	v_lshlrev_b32_e32 v4, 30, v3
	v_bitop3_b32 v2, v1, 1, s28 bitop3:0x40
	v_dual_lshlrev_b32 v5, 29, v3 :: v_dual_lshlrev_b32 v6, 28, v3
	v_dual_lshlrev_b32 v7, 27, v3 :: v_dual_lshlrev_b32 v21, 26, v3
	s_delay_alu instid0(VALU_DEP_3) | instskip(NEXT) | instid1(VALU_DEP_1)
	v_add_co_u32 v1, s13, v2, -1
	v_cndmask_b32_e64 v2, 0, 1, s13
	v_cmp_gt_i32_e64 s13, 0, v4
	v_cmp_gt_i32_e64 s14, 0, v5
	v_dual_lshlrev_b32 v22, 25, v3 :: v_dual_lshlrev_b32 v23, 24, v3
	s_delay_alu instid0(VALU_DEP_4)
	v_cmp_ne_u32_e32 vcc_lo, 0, v2
	v_not_b32_e32 v2, v4
	v_not_b32_e32 v4, v5
	;; [unrolled: 1-line block ×3, first 2 shown]
	v_cmp_gt_i32_e64 s15, 0, v6
	v_cmp_gt_i32_e64 s16, 0, v7
	v_dual_ashrrev_i32 v2, 31, v2 :: v_dual_bitop2_b32 v1, vcc_lo, v1 bitop3:0x14
	v_not_b32_e32 v6, v7
	v_dual_ashrrev_i32 v4, 31, v4 :: v_dual_ashrrev_i32 v5, 31, v5
	v_not_b32_e32 v7, v21
	s_delay_alu instid0(VALU_DEP_4) | instskip(SKIP_1) | instid1(VALU_DEP_4)
	v_xor_b32_e32 v2, s13, v2
	v_cmp_gt_i32_e64 s17, 0, v21
	v_dual_ashrrev_i32 v6, 31, v6 :: v_dual_bitop2_b32 v4, s14, v4 bitop3:0x14
	v_not_b32_e32 v21, v23
	v_ashrrev_i32_e32 v7, 31, v7
	v_bitop3_b32 v1, v1, v2, exec_lo bitop3:0x80
	v_not_b32_e32 v2, v22
	v_xor_b32_e32 v5, s15, v5
	v_xor_b32_e32 v6, s16, v6
	v_cmp_gt_i32_e32 vcc_lo, 0, v22
	v_cmp_gt_i32_e64 s13, 0, v23
	v_ashrrev_i32_e32 v2, 31, v2
	v_bitop3_b32 v1, v1, v5, v4 bitop3:0x80
	v_dual_ashrrev_i32 v4, 31, v21 :: v_dual_bitop2_b32 v5, s17, v7 bitop3:0x14
	s_delay_alu instid0(VALU_DEP_3) | instskip(NEXT) | instid1(VALU_DEP_2)
	v_dual_mov_b32 v21, v0 :: v_dual_bitop2_b32 v2, vcc_lo, v2 bitop3:0x14
	v_dual_lshlrev_b32 v0, 5, v3 :: v_dual_bitop2_b32 v4, s13, v4 bitop3:0x14
	s_delay_alu instid0(VALU_DEP_3) | instskip(NEXT) | instid1(VALU_DEP_2)
	v_bitop3_b32 v1, v1, v5, v6 bitop3:0x80
	v_add_nc_u32_e32 v24, v16, v0
	s_delay_alu instid0(VALU_DEP_2) | instskip(NEXT) | instid1(VALU_DEP_1)
	v_bitop3_b32 v1, v1, v4, v2 bitop3:0x80
	v_mbcnt_lo_u32_b32 v23, v1, 0
	v_cmp_ne_u32_e64 s13, 0, v1
	s_delay_alu instid0(VALU_DEP_2) | instskip(SKIP_1) | instid1(SALU_CYCLE_1)
	v_cmp_eq_u32_e32 vcc_lo, 0, v23
	s_and_b32 s14, s13, vcc_lo
	s_and_saveexec_b32 s13, s14
; %bb.7:                                ;   in Loop: Header=BB2286_6 Depth=1
	v_bcnt_u32_b32 v0, v1, 0
	ds_store_b32 v24, v0 offset:32
; %bb.8:                                ;   in Loop: Header=BB2286_6 Depth=1
	s_or_b32 exec_lo, exec_lo, s13
	v_lshrrev_b32_e32 v22, 16, v20
	s_not_b32 s28, s28
	; wave barrier
	s_delay_alu instid0(VALU_DEP_1) | instskip(NEXT) | instid1(VALU_DEP_1)
	v_lshrrev_b32_e32 v0, s22, v22
	v_and_b32_e32 v1, s28, v0
	s_delay_alu instid0(VALU_DEP_1) | instskip(SKIP_1) | instid1(VALU_DEP_1)
	v_lshlrev_b32_e32 v4, 30, v1
	v_bitop3_b32 v0, v0, 1, s28 bitop3:0x80
	v_add_co_u32 v0, s13, v0, -1
	s_delay_alu instid0(VALU_DEP_1) | instskip(NEXT) | instid1(VALU_DEP_4)
	v_cndmask_b32_e64 v3, 0, 1, s13
	v_cmp_gt_i32_e64 s13, 0, v4
	s_delay_alu instid0(VALU_DEP_2) | instskip(SKIP_1) | instid1(VALU_DEP_1)
	v_cmp_ne_u32_e32 vcc_lo, 0, v3
	v_not_b32_e32 v3, v4
	v_dual_ashrrev_i32 v3, 31, v3 :: v_dual_lshlrev_b32 v5, 29, v1
	v_dual_lshlrev_b32 v6, 28, v1 :: v_dual_lshlrev_b32 v7, 27, v1
	v_dual_lshlrev_b32 v25, 26, v1 :: v_dual_lshlrev_b32 v2, 5, v1
	s_delay_alu instid0(VALU_DEP_3) | instskip(SKIP_1) | instid1(VALU_DEP_4)
	v_cmp_gt_i32_e64 s14, 0, v5
	v_not_b32_e32 v4, v5
	v_not_b32_e32 v5, v6
	v_dual_lshlrev_b32 v26, 25, v1 :: v_dual_lshlrev_b32 v1, 24, v1
	v_cmp_gt_i32_e64 s15, 0, v6
	v_cmp_gt_i32_e64 s16, 0, v7
	v_not_b32_e32 v6, v7
	v_dual_ashrrev_i32 v5, 31, v5 :: v_dual_bitop2_b32 v0, vcc_lo, v0 bitop3:0x14
	v_dual_ashrrev_i32 v4, 31, v4 :: v_dual_bitop2_b32 v3, s13, v3 bitop3:0x14
	v_not_b32_e32 v7, v25
	v_cmp_gt_i32_e64 s17, 0, v25
	s_delay_alu instid0(VALU_DEP_3)
	v_dual_ashrrev_i32 v6, 31, v6 :: v_dual_bitop2_b32 v4, s14, v4 bitop3:0x14
	v_xor_b32_e32 v5, s15, v5
	v_bitop3_b32 v0, v0, v3, exec_lo bitop3:0x80
	v_ashrrev_i32_e32 v3, 31, v7
	v_not_b32_e32 v7, v26
	v_not_b32_e32 v25, v1
	v_xor_b32_e32 v6, s16, v6
	v_bitop3_b32 v0, v0, v5, v4 bitop3:0x80
	v_xor_b32_e32 v3, s17, v3
	v_cmp_gt_i32_e32 vcc_lo, 0, v26
	v_ashrrev_i32_e32 v4, 31, v7
	v_cmp_gt_i32_e64 s13, 0, v1
	v_dual_ashrrev_i32 v1, 31, v25 :: v_dual_add_nc_u32 v26, v16, v2
	v_bitop3_b32 v0, v0, v3, v6 bitop3:0x80
	s_delay_alu instid0(VALU_DEP_4) | instskip(NEXT) | instid1(VALU_DEP_3)
	v_xor_b32_e32 v2, vcc_lo, v4
	v_xor_b32_e32 v1, s13, v1
	ds_load_b32 v25, v26 offset:32
	; wave barrier
	v_bitop3_b32 v0, v0, v1, v2 bitop3:0x80
	s_delay_alu instid0(VALU_DEP_1) | instskip(SKIP_1) | instid1(VALU_DEP_2)
	v_mbcnt_lo_u32_b32 v27, v0, 0
	v_cmp_ne_u32_e64 s13, 0, v0
	v_cmp_eq_u32_e32 vcc_lo, 0, v27
	s_and_b32 s14, s13, vcc_lo
	s_delay_alu instid0(SALU_CYCLE_1)
	s_and_saveexec_b32 s13, s14
	s_cbranch_execz .LBB2286_10
; %bb.9:                                ;   in Loop: Header=BB2286_6 Depth=1
	s_wait_dscnt 0x0
	v_bcnt_u32_b32 v0, v0, v25
	ds_store_b32 v26, v0 offset:32
.LBB2286_10:                            ;   in Loop: Header=BB2286_6 Depth=1
	s_or_b32 exec_lo, exec_lo, s13
	v_and_b32_e32 v0, 0xffff, v21
	; wave barrier
	s_delay_alu instid0(VALU_DEP_1) | instskip(NEXT) | instid1(VALU_DEP_1)
	v_lshrrev_b32_e32 v0, s22, v0
	v_and_b32_e32 v1, s28, v0
	s_delay_alu instid0(VALU_DEP_1) | instskip(SKIP_1) | instid1(VALU_DEP_2)
	v_lshlrev_b32_e32 v2, 5, v1
	v_bitop3_b32 v0, v0, 1, s28 bitop3:0x80
	v_dual_lshlrev_b32 v4, 30, v1 :: v_dual_add_nc_u32 v31, v16, v2
	s_delay_alu instid0(VALU_DEP_2) | instskip(NEXT) | instid1(VALU_DEP_1)
	v_add_co_u32 v0, s13, v0, -1
	v_cndmask_b32_e64 v3, 0, 1, s13
	s_delay_alu instid0(VALU_DEP_1) | instskip(NEXT) | instid1(VALU_DEP_4)
	v_cmp_ne_u32_e32 vcc_lo, 0, v3
	v_not_b32_e32 v3, v4
	s_delay_alu instid0(VALU_DEP_1) | instskip(SKIP_4) | instid1(VALU_DEP_4)
	v_dual_ashrrev_i32 v3, 31, v3 :: v_dual_bitop2_b32 v0, vcc_lo, v0 bitop3:0x14
	v_dual_lshlrev_b32 v5, 29, v1 :: v_dual_lshlrev_b32 v6, 28, v1
	v_dual_lshlrev_b32 v7, 27, v1 :: v_dual_lshlrev_b32 v28, 26, v1
	v_lshlrev_b32_e32 v29, 25, v1
	v_cmp_gt_i32_e64 s13, 0, v4
	v_cmp_gt_i32_e64 s14, 0, v5
	v_not_b32_e32 v4, v5
	v_not_b32_e32 v5, v6
	v_lshlrev_b32_e32 v1, 24, v1
	v_cmp_gt_i32_e64 s15, 0, v6
	v_cmp_gt_i32_e64 s16, 0, v7
	v_not_b32_e32 v6, v7
	v_not_b32_e32 v7, v28
	v_dual_ashrrev_i32 v4, 31, v4 :: v_dual_ashrrev_i32 v5, 31, v5
	s_delay_alu instid0(VALU_DEP_3) | instskip(SKIP_1) | instid1(VALU_DEP_3)
	v_dual_ashrrev_i32 v6, 31, v6 :: v_dual_bitop2_b32 v3, s13, v3 bitop3:0x14
	v_cmp_gt_i32_e64 s17, 0, v28
	v_dual_ashrrev_i32 v7, 31, v7 :: v_dual_bitop2_b32 v4, s14, v4 bitop3:0x14
	s_delay_alu instid0(VALU_DEP_3)
	v_bitop3_b32 v0, v0, v3, exec_lo bitop3:0x80
	v_not_b32_e32 v3, v29
	v_xor_b32_e32 v5, s15, v5
	v_not_b32_e32 v28, v1
	v_xor_b32_e32 v6, s16, v6
	v_xor_b32_e32 v7, s17, v7
	v_cmp_gt_i32_e32 vcc_lo, 0, v29
	v_ashrrev_i32_e32 v3, 31, v3
	v_bitop3_b32 v0, v0, v5, v4 bitop3:0x80
	v_cmp_gt_i32_e64 s13, 0, v1
	v_ashrrev_i32_e32 v1, 31, v28
	ds_load_b32 v29, v31 offset:32
	v_xor_b32_e32 v2, vcc_lo, v3
	v_bitop3_b32 v0, v0, v7, v6 bitop3:0x80
	v_xor_b32_e32 v1, s13, v1
	; wave barrier
	s_delay_alu instid0(VALU_DEP_1) | instskip(NEXT) | instid1(VALU_DEP_1)
	v_bitop3_b32 v0, v0, v1, v2 bitop3:0x80
	v_mbcnt_lo_u32_b32 v30, v0, 0
	v_cmp_ne_u32_e64 s13, 0, v0
	s_delay_alu instid0(VALU_DEP_2) | instskip(SKIP_1) | instid1(SALU_CYCLE_1)
	v_cmp_eq_u32_e32 vcc_lo, 0, v30
	s_and_b32 s14, s13, vcc_lo
	s_and_saveexec_b32 s13, s14
	s_cbranch_execz .LBB2286_12
; %bb.11:                               ;   in Loop: Header=BB2286_6 Depth=1
	s_wait_dscnt 0x0
	v_bcnt_u32_b32 v0, v0, v29
	ds_store_b32 v31, v0 offset:32
.LBB2286_12:                            ;   in Loop: Header=BB2286_6 Depth=1
	s_or_b32 exec_lo, exec_lo, s13
	v_lshrrev_b32_e32 v28, 16, v21
	; wave barrier
	s_delay_alu instid0(VALU_DEP_1) | instskip(NEXT) | instid1(VALU_DEP_1)
	v_lshrrev_b32_e32 v0, s22, v28
	v_and_b32_e32 v1, s28, v0
	s_delay_alu instid0(VALU_DEP_1) | instskip(SKIP_3) | instid1(VALU_DEP_3)
	v_lshlrev_b32_e32 v2, 5, v1
	v_bitop3_b32 v0, v0, 1, s28 bitop3:0x80
	v_dual_lshlrev_b32 v4, 30, v1 :: v_dual_lshlrev_b32 v5, 29, v1
	v_dual_lshlrev_b32 v6, 28, v1 :: v_dual_lshlrev_b32 v7, 27, v1
	v_add_co_u32 v0, s13, v0, -1
	s_delay_alu instid0(VALU_DEP_1) | instskip(SKIP_3) | instid1(VALU_DEP_4)
	v_cndmask_b32_e64 v3, 0, 1, s13
	v_dual_lshlrev_b32 v32, 26, v1 :: v_dual_lshlrev_b32 v33, 25, v1
	v_cmp_gt_i32_e64 s13, 0, v4
	v_cmp_gt_i32_e64 s14, 0, v5
	v_cmp_ne_u32_e32 vcc_lo, 0, v3
	v_not_b32_e32 v3, v4
	v_lshlrev_b32_e32 v1, 24, v1
	v_not_b32_e32 v4, v5
	v_not_b32_e32 v5, v6
	v_cmp_gt_i32_e64 s15, 0, v6
	v_ashrrev_i32_e32 v3, 31, v3
	v_cmp_gt_i32_e64 s16, 0, v7
	v_not_b32_e32 v6, v7
	v_not_b32_e32 v7, v32
	v_dual_ashrrev_i32 v5, 31, v5 :: v_dual_bitop2_b32 v0, vcc_lo, v0 bitop3:0x14
	v_dual_ashrrev_i32 v4, 31, v4 :: v_dual_bitop2_b32 v3, s13, v3 bitop3:0x14
	v_cmp_gt_i32_e64 s17, 0, v32
	s_delay_alu instid0(VALU_DEP_4)
	v_dual_ashrrev_i32 v6, 31, v6 :: v_dual_ashrrev_i32 v7, 31, v7
	v_not_b32_e32 v32, v1
	v_xor_b32_e32 v5, s15, v5
	v_bitop3_b32 v0, v0, v3, exec_lo bitop3:0x80
	v_not_b32_e32 v3, v33
	v_xor_b32_e32 v4, s14, v4
	v_xor_b32_e32 v6, s16, v6
	v_dual_add_nc_u32 v34, v16, v2 :: v_dual_bitop2_b32 v7, s17, v7 bitop3:0x14
	v_cmp_gt_i32_e32 vcc_lo, 0, v33
	v_ashrrev_i32_e32 v3, 31, v3
	v_cmp_gt_i32_e64 s13, 0, v1
	v_ashrrev_i32_e32 v1, 31, v32
	v_bitop3_b32 v0, v0, v5, v4 bitop3:0x80
	ds_load_b32 v32, v34 offset:32
	v_xor_b32_e32 v2, vcc_lo, v3
	v_xor_b32_e32 v1, s13, v1
	v_bitop3_b32 v0, v0, v7, v6 bitop3:0x80
	; wave barrier
	s_delay_alu instid0(VALU_DEP_1) | instskip(NEXT) | instid1(VALU_DEP_1)
	v_bitop3_b32 v0, v0, v1, v2 bitop3:0x80
	v_mbcnt_lo_u32_b32 v33, v0, 0
	v_cmp_ne_u32_e64 s13, 0, v0
	s_delay_alu instid0(VALU_DEP_2) | instskip(SKIP_1) | instid1(SALU_CYCLE_1)
	v_cmp_eq_u32_e32 vcc_lo, 0, v33
	s_and_b32 s14, s13, vcc_lo
	s_and_saveexec_b32 s13, s14
	s_cbranch_execz .LBB2286_14
; %bb.13:                               ;   in Loop: Header=BB2286_6 Depth=1
	s_wait_dscnt 0x0
	v_bcnt_u32_b32 v0, v0, v32
	ds_store_b32 v34, v0 offset:32
.LBB2286_14:                            ;   in Loop: Header=BB2286_6 Depth=1
	s_or_b32 exec_lo, exec_lo, s13
	; wave barrier
	s_wait_dscnt 0x0
	s_barrier_signal -1
	s_barrier_wait -1
	ds_load_2addr_b64 v[4:7], v13 offset0:4 offset1:5
	ds_load_2addr_b64 v[0:3], v13 offset0:6 offset1:7
	s_wait_dscnt 0x1
	v_add_nc_u32_e32 v35, v5, v4
	s_delay_alu instid0(VALU_DEP_1) | instskip(SKIP_1) | instid1(VALU_DEP_1)
	v_add3_u32 v35, v35, v6, v7
	s_wait_dscnt 0x0
	v_add3_u32 v35, v35, v0, v1
	s_delay_alu instid0(VALU_DEP_1) | instskip(NEXT) | instid1(VALU_DEP_1)
	v_add3_u32 v3, v35, v2, v3
	v_mov_b32_dpp v35, v3 row_shr:1 row_mask:0xf bank_mask:0xf
	s_delay_alu instid0(VALU_DEP_1) | instskip(NEXT) | instid1(VALU_DEP_1)
	v_cndmask_b32_e64 v35, v35, 0, s4
	v_add_nc_u32_e32 v3, v35, v3
	s_delay_alu instid0(VALU_DEP_1) | instskip(NEXT) | instid1(VALU_DEP_1)
	v_mov_b32_dpp v35, v3 row_shr:2 row_mask:0xf bank_mask:0xf
	v_cndmask_b32_e64 v35, 0, v35, s5
	s_delay_alu instid0(VALU_DEP_1) | instskip(NEXT) | instid1(VALU_DEP_1)
	v_add_nc_u32_e32 v3, v3, v35
	v_mov_b32_dpp v35, v3 row_shr:4 row_mask:0xf bank_mask:0xf
	s_delay_alu instid0(VALU_DEP_1) | instskip(NEXT) | instid1(VALU_DEP_1)
	v_cndmask_b32_e64 v35, 0, v35, s6
	v_add_nc_u32_e32 v3, v3, v35
	s_delay_alu instid0(VALU_DEP_1) | instskip(NEXT) | instid1(VALU_DEP_1)
	v_mov_b32_dpp v35, v3 row_shr:8 row_mask:0xf bank_mask:0xf
	v_cndmask_b32_e64 v35, 0, v35, s7
	s_delay_alu instid0(VALU_DEP_1) | instskip(SKIP_3) | instid1(VALU_DEP_1)
	v_add_nc_u32_e32 v3, v3, v35
	ds_swizzle_b32 v35, v3 offset:swizzle(BROADCAST,32,15)
	s_wait_dscnt 0x0
	v_cndmask_b32_e64 v35, v35, 0, s8
	v_add_nc_u32_e32 v3, v3, v35
	s_and_saveexec_b32 s13, s11
; %bb.15:                               ;   in Loop: Header=BB2286_6 Depth=1
	ds_store_b32 v14, v3
; %bb.16:                               ;   in Loop: Header=BB2286_6 Depth=1
	s_or_b32 exec_lo, exec_lo, s13
	s_wait_dscnt 0x0
	s_barrier_signal -1
	s_barrier_wait -1
	s_and_saveexec_b32 s13, s0
	s_cbranch_execz .LBB2286_18
; %bb.17:                               ;   in Loop: Header=BB2286_6 Depth=1
	ds_load_b32 v35, v19
	s_wait_dscnt 0x0
	v_mov_b32_dpp v36, v35 row_shr:1 row_mask:0xf bank_mask:0xf
	s_delay_alu instid0(VALU_DEP_1) | instskip(NEXT) | instid1(VALU_DEP_1)
	v_cndmask_b32_e64 v36, v36, 0, s9
	v_add_nc_u32_e32 v35, v36, v35
	s_delay_alu instid0(VALU_DEP_1) | instskip(NEXT) | instid1(VALU_DEP_1)
	v_mov_b32_dpp v36, v35 row_shr:2 row_mask:0xf bank_mask:0xf
	v_cndmask_b32_e64 v36, 0, v36, s10
	s_delay_alu instid0(VALU_DEP_1) | instskip(NEXT) | instid1(VALU_DEP_1)
	v_add_nc_u32_e32 v35, v35, v36
	v_mov_b32_dpp v36, v35 row_shr:4 row_mask:0xf bank_mask:0xf
	s_delay_alu instid0(VALU_DEP_1) | instskip(NEXT) | instid1(VALU_DEP_1)
	v_cndmask_b32_e64 v36, 0, v36, s12
	v_add_nc_u32_e32 v35, v35, v36
	ds_store_b32 v19, v35
.LBB2286_18:                            ;   in Loop: Header=BB2286_6 Depth=1
	s_or_b32 exec_lo, exec_lo, s13
	v_mov_b32_e32 v35, 0
	s_wait_dscnt 0x0
	s_barrier_signal -1
	s_barrier_wait -1
	s_and_saveexec_b32 s13, s1
; %bb.19:                               ;   in Loop: Header=BB2286_6 Depth=1
	ds_load_b32 v35, v17
; %bb.20:                               ;   in Loop: Header=BB2286_6 Depth=1
	s_or_b32 exec_lo, exec_lo, s13
	s_wait_dscnt 0x0
	v_add_nc_u32_e32 v3, v35, v3
	s_add_co_i32 s22, s22, 8
	s_mov_b32 s13, -1
	s_cmp_ge_u32 s22, s27
	ds_bpermute_b32 v3, v15, v3
	s_wait_dscnt 0x0
	v_cndmask_b32_e64 v3, v3, v35, s2
	s_delay_alu instid0(VALU_DEP_1) | instskip(NEXT) | instid1(VALU_DEP_1)
	v_cndmask_b32_e64 v36, v3, 0, s3
	v_add_nc_u32_e32 v37, v36, v4
	s_delay_alu instid0(VALU_DEP_1) | instskip(NEXT) | instid1(VALU_DEP_1)
	v_add_nc_u32_e32 v4, v37, v5
	v_add_nc_u32_e32 v5, v4, v6
	s_delay_alu instid0(VALU_DEP_1) | instskip(NEXT) | instid1(VALU_DEP_1)
	v_add_nc_u32_e32 v6, v5, v7
	;; [unrolled: 3-line block ×3, first 2 shown]
	v_add_nc_u32_e32 v1, v0, v2
	ds_store_2addr_b64 v13, v[36:37], v[4:5] offset0:4 offset1:5
	ds_store_2addr_b64 v13, v[6:7], v[0:1] offset0:6 offset1:7
	s_wait_dscnt 0x0
	s_barrier_signal -1
	s_barrier_wait -1
	ds_load_b32 v0, v26 offset:32
	ds_load_b32 v2, v31 offset:32
	;; [unrolled: 1-line block ×4, first 2 shown]
	v_dual_mov_b32 v1, v20 :: v_dual_lshlrev_b32 v6, 1, v27
	v_dual_lshlrev_b32 v5, 1, v23 :: v_dual_lshlrev_b32 v7, 1, v25
	v_dual_lshlrev_b32 v23, 1, v30 :: v_dual_lshlrev_b32 v24, 1, v29
	;; [unrolled: 1-line block ×3, first 2 shown]
	s_wait_dscnt 0x0
	v_dual_lshlrev_b32 v0, 1, v0 :: v_dual_lshlrev_b32 v27, 1, v2
	v_lshlrev_b32_e32 v29, 1, v3
	v_lshl_add_u32 v2, v4, 1, v5
	s_delay_alu instid0(VALU_DEP_3) | instskip(NEXT) | instid1(VALU_DEP_4)
	v_add3_u32 v3, v6, v7, v0
	v_add3_u32 v4, v23, v24, v27
	s_delay_alu instid0(VALU_DEP_4)
	v_add3_u32 v5, v25, v26, v29
                                        ; implicit-def: $vgpr0
	s_cbranch_scc1 .LBB2286_5
; %bb.21:                               ;   in Loop: Header=BB2286_6 Depth=1
	s_barrier_signal -1
	s_barrier_wait -1
	ds_store_b16 v2, v20
	ds_store_b16 v3, v22
	;; [unrolled: 1-line block ×4, first 2 shown]
	s_wait_dscnt 0x0
	s_barrier_signal -1
	s_barrier_wait -1
	ds_load_u16 v0, v18
	ds_load_u16 v6, v18 offset:64
	ds_load_u16 v7, v18 offset:128
	;; [unrolled: 1-line block ×3, first 2 shown]
	s_add_co_i32 s23, s23, -8
	s_mov_b32 s13, 0
	s_wait_dscnt 0x0
	s_barrier_signal -1
	s_barrier_wait -1
	v_perm_b32 v20, v6, v0, 0x5040100
	v_perm_b32 v0, v23, v7, 0x5040100
	s_branch .LBB2286_5
.LBB2286_22:
	v_lshlrev_b32_e32 v0, 1, v12
	s_barrier_signal -1
	s_barrier_wait -1
	ds_store_b16 v2, v1
	ds_store_b16 v3, v22
	;; [unrolled: 1-line block ×4, first 2 shown]
	s_wait_dscnt 0x0
	s_barrier_signal -1
	s_barrier_wait -1
	v_mov_b32_e32 v1, 0
	ds_load_u16 v3, v0
	ds_load_u16 v4, v0 offset:512
	ds_load_u16 v6, v0 offset:1024
	;; [unrolled: 1-line block ×3, first 2 shown]
	s_add_nc_u64 s[0:1], s[18:19], s[20:21]
	s_and_not1_b32 vcc_lo, exec_lo, s25
	v_add_nc_u64_e32 v[0:1], s[0:1], v[0:1]
	s_mov_b32 s1, -1
	s_mov_b32 s0, 0
	s_wait_dscnt 0x3
	v_xor_b32_e32 v5, -1, v3
	s_wait_dscnt 0x2
	v_xor_b32_e32 v4, -1, v4
	;; [unrolled: 2-line block ×3, first 2 shown]
	s_cbranch_vccz .LBB2286_34
; %bb.23:
	s_and_not1_b32 vcc_lo, exec_lo, s1
	s_cbranch_vccz .LBB2286_35
.LBB2286_24:
	s_wait_xcnt 0x0
	s_and_saveexec_b32 s1, s0
	s_cbranch_execnz .LBB2286_42
.LBB2286_25:
	s_endpgm
.LBB2286_26:
	s_clause 0x2
	global_load_u16 v3, v[6:7], off
	global_load_u16 v4, v[6:7], off offset:64
	global_load_u16 v5, v[6:7], off offset:128
	s_mov_b32 s3, -1
	s_wait_loadcnt 0x1
	v_perm_b32 v4, v4, v3, 0x5040100
	s_load_b64 s[22:23], s[0:1], 0x28
	s_sub_co_i32 s24, s4, s2
	s_cbranch_execnz .LBB2286_2
.LBB2286_27:
	v_dual_mov_b32 v4, 0 :: v_dual_bitop2_b32 v3, v1, v8 bitop3:0x54
	s_mov_b32 s2, exec_lo
	s_wait_loadcnt 0x0
	s_delay_alu instid0(VALU_DEP_1) | instskip(NEXT) | instid1(VALU_DEP_2)
	v_mov_b32_e32 v5, v4
	v_cmpx_gt_u32_e64 s24, v3
	s_cbranch_execz .LBB2286_29
; %bb.28:
	global_load_u16 v5, v[6:7], off
	v_mov_b32_e32 v9, v4
	s_wait_loadcnt 0x0
	v_and_b32_e32 v8, 0xffff, v5
	s_delay_alu instid0(VALU_DEP_1)
	v_mov_b64_e32 v[4:5], v[8:9]
.LBB2286_29:
	s_or_b32 exec_lo, exec_lo, s2
	v_or_b32_e32 v8, 32, v3
	s_mov_b32 s2, exec_lo
	s_delay_alu instid0(VALU_DEP_1)
	v_cmpx_gt_u32_e64 s24, v8
	s_cbranch_execz .LBB2286_31
; %bb.30:
	global_load_u16 v8, v[6:7], off offset:64
	s_wait_loadcnt 0x0
	v_perm_b32 v4, v8, v4, 0x5040100
.LBB2286_31:
	s_or_b32 exec_lo, exec_lo, s2
	v_or_b32_e32 v8, 64, v3
	s_mov_b32 s2, exec_lo
	s_delay_alu instid0(VALU_DEP_1)
	v_cmpx_gt_u32_e64 s24, v8
	s_cbranch_execz .LBB2286_33
; %bb.32:
	global_load_u16 v8, v[6:7], off offset:128
	s_wait_loadcnt 0x0
	v_bfi_b32 v5, 0xffff, v8, v5
.LBB2286_33:
	s_or_b32 exec_lo, exec_lo, s2
	v_or_b32_e32 v3, 0x60, v3
	s_delay_alu instid0(VALU_DEP_1)
	v_cmp_gt_u32_e64 s3, s24, v3
	s_and_saveexec_b32 s2, s3
	s_cbranch_execnz .LBB2286_3
	s_branch .LBB2286_4
.LBB2286_34:
	s_mov_b32 s0, -1
	s_clause 0x2
	global_store_b16 v[0:1], v5, off
	global_store_b16 v[0:1], v4, off offset:512
	global_store_b16 v[0:1], v3, off offset:1024
	s_cbranch_execnz .LBB2286_24
.LBB2286_35:
	s_mov_b32 s0, exec_lo
	s_wait_xcnt 0x0
	v_cmpx_gt_u32_e64 s24, v12
	s_cbranch_execz .LBB2286_37
; %bb.36:
	global_store_b16 v[0:1], v5, off
.LBB2286_37:
	s_wait_xcnt 0x0
	s_or_b32 exec_lo, exec_lo, s0
	v_add_nc_u32_e32 v5, 0x100, v12
	s_mov_b32 s0, exec_lo
	s_delay_alu instid0(VALU_DEP_1)
	v_cmpx_gt_u32_e64 s24, v5
	s_cbranch_execz .LBB2286_39
; %bb.38:
	global_store_b16 v[0:1], v4, off offset:512
.LBB2286_39:
	s_wait_xcnt 0x0
	s_or_b32 exec_lo, exec_lo, s0
	v_add_nc_u32_e32 v4, 0x200, v12
	s_mov_b32 s0, exec_lo
	s_delay_alu instid0(VALU_DEP_1)
	v_cmpx_gt_u32_e64 s24, v4
	s_cbranch_execz .LBB2286_41
; %bb.40:
	global_store_b16 v[0:1], v3, off offset:1024
.LBB2286_41:
	s_wait_xcnt 0x0
	s_or_b32 exec_lo, exec_lo, s0
	v_add_nc_u32_e32 v3, 0x300, v12
	s_delay_alu instid0(VALU_DEP_1)
	v_cmp_gt_u32_e64 s0, s24, v3
	s_and_saveexec_b32 s1, s0
	s_cbranch_execz .LBB2286_25
.LBB2286_42:
	s_wait_dscnt 0x0
	v_xor_b32_e32 v2, -1, v2
	global_store_b16 v[0:1], v2, off offset:1536
	s_endpgm
	.section	.rodata,"a",@progbits
	.p2align	6, 0x0
	.amdhsa_kernel _ZN7rocprim17ROCPRIM_400000_NS6detail17trampoline_kernelINS0_13kernel_configILj256ELj4ELj4294967295EEENS1_37radix_sort_block_sort_config_selectorItNS0_10empty_typeEEEZNS1_21radix_sort_block_sortIS4_Lb1EPKtPtPS6_SC_NS0_19identity_decomposerEEE10hipError_tT1_T2_T3_T4_jRjT5_jjP12ihipStream_tbEUlT_E_NS1_11comp_targetILNS1_3genE0ELNS1_11target_archE4294967295ELNS1_3gpuE0ELNS1_3repE0EEENS1_44radix_sort_block_sort_config_static_selectorELNS0_4arch9wavefront6targetE0EEEvSF_
		.amdhsa_group_segment_fixed_size 8224
		.amdhsa_private_segment_fixed_size 0
		.amdhsa_kernarg_size 304
		.amdhsa_user_sgpr_count 2
		.amdhsa_user_sgpr_dispatch_ptr 0
		.amdhsa_user_sgpr_queue_ptr 0
		.amdhsa_user_sgpr_kernarg_segment_ptr 1
		.amdhsa_user_sgpr_dispatch_id 0
		.amdhsa_user_sgpr_kernarg_preload_length 0
		.amdhsa_user_sgpr_kernarg_preload_offset 0
		.amdhsa_user_sgpr_private_segment_size 0
		.amdhsa_wavefront_size32 1
		.amdhsa_uses_dynamic_stack 0
		.amdhsa_enable_private_segment 0
		.amdhsa_system_sgpr_workgroup_id_x 1
		.amdhsa_system_sgpr_workgroup_id_y 0
		.amdhsa_system_sgpr_workgroup_id_z 0
		.amdhsa_system_sgpr_workgroup_info 0
		.amdhsa_system_vgpr_workitem_id 2
		.amdhsa_next_free_vgpr 38
		.amdhsa_next_free_sgpr 29
		.amdhsa_named_barrier_count 0
		.amdhsa_reserve_vcc 1
		.amdhsa_float_round_mode_32 0
		.amdhsa_float_round_mode_16_64 0
		.amdhsa_float_denorm_mode_32 3
		.amdhsa_float_denorm_mode_16_64 3
		.amdhsa_fp16_overflow 0
		.amdhsa_memory_ordered 1
		.amdhsa_forward_progress 1
		.amdhsa_inst_pref_size 29
		.amdhsa_round_robin_scheduling 0
		.amdhsa_exception_fp_ieee_invalid_op 0
		.amdhsa_exception_fp_denorm_src 0
		.amdhsa_exception_fp_ieee_div_zero 0
		.amdhsa_exception_fp_ieee_overflow 0
		.amdhsa_exception_fp_ieee_underflow 0
		.amdhsa_exception_fp_ieee_inexact 0
		.amdhsa_exception_int_div_zero 0
	.end_amdhsa_kernel
	.section	.text._ZN7rocprim17ROCPRIM_400000_NS6detail17trampoline_kernelINS0_13kernel_configILj256ELj4ELj4294967295EEENS1_37radix_sort_block_sort_config_selectorItNS0_10empty_typeEEEZNS1_21radix_sort_block_sortIS4_Lb1EPKtPtPS6_SC_NS0_19identity_decomposerEEE10hipError_tT1_T2_T3_T4_jRjT5_jjP12ihipStream_tbEUlT_E_NS1_11comp_targetILNS1_3genE0ELNS1_11target_archE4294967295ELNS1_3gpuE0ELNS1_3repE0EEENS1_44radix_sort_block_sort_config_static_selectorELNS0_4arch9wavefront6targetE0EEEvSF_,"axG",@progbits,_ZN7rocprim17ROCPRIM_400000_NS6detail17trampoline_kernelINS0_13kernel_configILj256ELj4ELj4294967295EEENS1_37radix_sort_block_sort_config_selectorItNS0_10empty_typeEEEZNS1_21radix_sort_block_sortIS4_Lb1EPKtPtPS6_SC_NS0_19identity_decomposerEEE10hipError_tT1_T2_T3_T4_jRjT5_jjP12ihipStream_tbEUlT_E_NS1_11comp_targetILNS1_3genE0ELNS1_11target_archE4294967295ELNS1_3gpuE0ELNS1_3repE0EEENS1_44radix_sort_block_sort_config_static_selectorELNS0_4arch9wavefront6targetE0EEEvSF_,comdat
.Lfunc_end2286:
	.size	_ZN7rocprim17ROCPRIM_400000_NS6detail17trampoline_kernelINS0_13kernel_configILj256ELj4ELj4294967295EEENS1_37radix_sort_block_sort_config_selectorItNS0_10empty_typeEEEZNS1_21radix_sort_block_sortIS4_Lb1EPKtPtPS6_SC_NS0_19identity_decomposerEEE10hipError_tT1_T2_T3_T4_jRjT5_jjP12ihipStream_tbEUlT_E_NS1_11comp_targetILNS1_3genE0ELNS1_11target_archE4294967295ELNS1_3gpuE0ELNS1_3repE0EEENS1_44radix_sort_block_sort_config_static_selectorELNS0_4arch9wavefront6targetE0EEEvSF_, .Lfunc_end2286-_ZN7rocprim17ROCPRIM_400000_NS6detail17trampoline_kernelINS0_13kernel_configILj256ELj4ELj4294967295EEENS1_37radix_sort_block_sort_config_selectorItNS0_10empty_typeEEEZNS1_21radix_sort_block_sortIS4_Lb1EPKtPtPS6_SC_NS0_19identity_decomposerEEE10hipError_tT1_T2_T3_T4_jRjT5_jjP12ihipStream_tbEUlT_E_NS1_11comp_targetILNS1_3genE0ELNS1_11target_archE4294967295ELNS1_3gpuE0ELNS1_3repE0EEENS1_44radix_sort_block_sort_config_static_selectorELNS0_4arch9wavefront6targetE0EEEvSF_
                                        ; -- End function
	.set _ZN7rocprim17ROCPRIM_400000_NS6detail17trampoline_kernelINS0_13kernel_configILj256ELj4ELj4294967295EEENS1_37radix_sort_block_sort_config_selectorItNS0_10empty_typeEEEZNS1_21radix_sort_block_sortIS4_Lb1EPKtPtPS6_SC_NS0_19identity_decomposerEEE10hipError_tT1_T2_T3_T4_jRjT5_jjP12ihipStream_tbEUlT_E_NS1_11comp_targetILNS1_3genE0ELNS1_11target_archE4294967295ELNS1_3gpuE0ELNS1_3repE0EEENS1_44radix_sort_block_sort_config_static_selectorELNS0_4arch9wavefront6targetE0EEEvSF_.num_vgpr, 38
	.set _ZN7rocprim17ROCPRIM_400000_NS6detail17trampoline_kernelINS0_13kernel_configILj256ELj4ELj4294967295EEENS1_37radix_sort_block_sort_config_selectorItNS0_10empty_typeEEEZNS1_21radix_sort_block_sortIS4_Lb1EPKtPtPS6_SC_NS0_19identity_decomposerEEE10hipError_tT1_T2_T3_T4_jRjT5_jjP12ihipStream_tbEUlT_E_NS1_11comp_targetILNS1_3genE0ELNS1_11target_archE4294967295ELNS1_3gpuE0ELNS1_3repE0EEENS1_44radix_sort_block_sort_config_static_selectorELNS0_4arch9wavefront6targetE0EEEvSF_.num_agpr, 0
	.set _ZN7rocprim17ROCPRIM_400000_NS6detail17trampoline_kernelINS0_13kernel_configILj256ELj4ELj4294967295EEENS1_37radix_sort_block_sort_config_selectorItNS0_10empty_typeEEEZNS1_21radix_sort_block_sortIS4_Lb1EPKtPtPS6_SC_NS0_19identity_decomposerEEE10hipError_tT1_T2_T3_T4_jRjT5_jjP12ihipStream_tbEUlT_E_NS1_11comp_targetILNS1_3genE0ELNS1_11target_archE4294967295ELNS1_3gpuE0ELNS1_3repE0EEENS1_44radix_sort_block_sort_config_static_selectorELNS0_4arch9wavefront6targetE0EEEvSF_.numbered_sgpr, 29
	.set _ZN7rocprim17ROCPRIM_400000_NS6detail17trampoline_kernelINS0_13kernel_configILj256ELj4ELj4294967295EEENS1_37radix_sort_block_sort_config_selectorItNS0_10empty_typeEEEZNS1_21radix_sort_block_sortIS4_Lb1EPKtPtPS6_SC_NS0_19identity_decomposerEEE10hipError_tT1_T2_T3_T4_jRjT5_jjP12ihipStream_tbEUlT_E_NS1_11comp_targetILNS1_3genE0ELNS1_11target_archE4294967295ELNS1_3gpuE0ELNS1_3repE0EEENS1_44radix_sort_block_sort_config_static_selectorELNS0_4arch9wavefront6targetE0EEEvSF_.num_named_barrier, 0
	.set _ZN7rocprim17ROCPRIM_400000_NS6detail17trampoline_kernelINS0_13kernel_configILj256ELj4ELj4294967295EEENS1_37radix_sort_block_sort_config_selectorItNS0_10empty_typeEEEZNS1_21radix_sort_block_sortIS4_Lb1EPKtPtPS6_SC_NS0_19identity_decomposerEEE10hipError_tT1_T2_T3_T4_jRjT5_jjP12ihipStream_tbEUlT_E_NS1_11comp_targetILNS1_3genE0ELNS1_11target_archE4294967295ELNS1_3gpuE0ELNS1_3repE0EEENS1_44radix_sort_block_sort_config_static_selectorELNS0_4arch9wavefront6targetE0EEEvSF_.private_seg_size, 0
	.set _ZN7rocprim17ROCPRIM_400000_NS6detail17trampoline_kernelINS0_13kernel_configILj256ELj4ELj4294967295EEENS1_37radix_sort_block_sort_config_selectorItNS0_10empty_typeEEEZNS1_21radix_sort_block_sortIS4_Lb1EPKtPtPS6_SC_NS0_19identity_decomposerEEE10hipError_tT1_T2_T3_T4_jRjT5_jjP12ihipStream_tbEUlT_E_NS1_11comp_targetILNS1_3genE0ELNS1_11target_archE4294967295ELNS1_3gpuE0ELNS1_3repE0EEENS1_44radix_sort_block_sort_config_static_selectorELNS0_4arch9wavefront6targetE0EEEvSF_.uses_vcc, 1
	.set _ZN7rocprim17ROCPRIM_400000_NS6detail17trampoline_kernelINS0_13kernel_configILj256ELj4ELj4294967295EEENS1_37radix_sort_block_sort_config_selectorItNS0_10empty_typeEEEZNS1_21radix_sort_block_sortIS4_Lb1EPKtPtPS6_SC_NS0_19identity_decomposerEEE10hipError_tT1_T2_T3_T4_jRjT5_jjP12ihipStream_tbEUlT_E_NS1_11comp_targetILNS1_3genE0ELNS1_11target_archE4294967295ELNS1_3gpuE0ELNS1_3repE0EEENS1_44radix_sort_block_sort_config_static_selectorELNS0_4arch9wavefront6targetE0EEEvSF_.uses_flat_scratch, 0
	.set _ZN7rocprim17ROCPRIM_400000_NS6detail17trampoline_kernelINS0_13kernel_configILj256ELj4ELj4294967295EEENS1_37radix_sort_block_sort_config_selectorItNS0_10empty_typeEEEZNS1_21radix_sort_block_sortIS4_Lb1EPKtPtPS6_SC_NS0_19identity_decomposerEEE10hipError_tT1_T2_T3_T4_jRjT5_jjP12ihipStream_tbEUlT_E_NS1_11comp_targetILNS1_3genE0ELNS1_11target_archE4294967295ELNS1_3gpuE0ELNS1_3repE0EEENS1_44radix_sort_block_sort_config_static_selectorELNS0_4arch9wavefront6targetE0EEEvSF_.has_dyn_sized_stack, 0
	.set _ZN7rocprim17ROCPRIM_400000_NS6detail17trampoline_kernelINS0_13kernel_configILj256ELj4ELj4294967295EEENS1_37radix_sort_block_sort_config_selectorItNS0_10empty_typeEEEZNS1_21radix_sort_block_sortIS4_Lb1EPKtPtPS6_SC_NS0_19identity_decomposerEEE10hipError_tT1_T2_T3_T4_jRjT5_jjP12ihipStream_tbEUlT_E_NS1_11comp_targetILNS1_3genE0ELNS1_11target_archE4294967295ELNS1_3gpuE0ELNS1_3repE0EEENS1_44radix_sort_block_sort_config_static_selectorELNS0_4arch9wavefront6targetE0EEEvSF_.has_recursion, 0
	.set _ZN7rocprim17ROCPRIM_400000_NS6detail17trampoline_kernelINS0_13kernel_configILj256ELj4ELj4294967295EEENS1_37radix_sort_block_sort_config_selectorItNS0_10empty_typeEEEZNS1_21radix_sort_block_sortIS4_Lb1EPKtPtPS6_SC_NS0_19identity_decomposerEEE10hipError_tT1_T2_T3_T4_jRjT5_jjP12ihipStream_tbEUlT_E_NS1_11comp_targetILNS1_3genE0ELNS1_11target_archE4294967295ELNS1_3gpuE0ELNS1_3repE0EEENS1_44radix_sort_block_sort_config_static_selectorELNS0_4arch9wavefront6targetE0EEEvSF_.has_indirect_call, 0
	.section	.AMDGPU.csdata,"",@progbits
; Kernel info:
; codeLenInByte = 3620
; TotalNumSgprs: 31
; NumVgprs: 38
; ScratchSize: 0
; MemoryBound: 0
; FloatMode: 240
; IeeeMode: 1
; LDSByteSize: 8224 bytes/workgroup (compile time only)
; SGPRBlocks: 0
; VGPRBlocks: 2
; NumSGPRsForWavesPerEU: 31
; NumVGPRsForWavesPerEU: 38
; NamedBarCnt: 0
; Occupancy: 16
; WaveLimiterHint : 1
; COMPUTE_PGM_RSRC2:SCRATCH_EN: 0
; COMPUTE_PGM_RSRC2:USER_SGPR: 2
; COMPUTE_PGM_RSRC2:TRAP_HANDLER: 0
; COMPUTE_PGM_RSRC2:TGID_X_EN: 1
; COMPUTE_PGM_RSRC2:TGID_Y_EN: 0
; COMPUTE_PGM_RSRC2:TGID_Z_EN: 0
; COMPUTE_PGM_RSRC2:TIDIG_COMP_CNT: 2
	.section	.text._ZN7rocprim17ROCPRIM_400000_NS6detail17trampoline_kernelINS0_13kernel_configILj256ELj4ELj4294967295EEENS1_37radix_sort_block_sort_config_selectorItNS0_10empty_typeEEEZNS1_21radix_sort_block_sortIS4_Lb1EPKtPtPS6_SC_NS0_19identity_decomposerEEE10hipError_tT1_T2_T3_T4_jRjT5_jjP12ihipStream_tbEUlT_E_NS1_11comp_targetILNS1_3genE5ELNS1_11target_archE942ELNS1_3gpuE9ELNS1_3repE0EEENS1_44radix_sort_block_sort_config_static_selectorELNS0_4arch9wavefront6targetE0EEEvSF_,"axG",@progbits,_ZN7rocprim17ROCPRIM_400000_NS6detail17trampoline_kernelINS0_13kernel_configILj256ELj4ELj4294967295EEENS1_37radix_sort_block_sort_config_selectorItNS0_10empty_typeEEEZNS1_21radix_sort_block_sortIS4_Lb1EPKtPtPS6_SC_NS0_19identity_decomposerEEE10hipError_tT1_T2_T3_T4_jRjT5_jjP12ihipStream_tbEUlT_E_NS1_11comp_targetILNS1_3genE5ELNS1_11target_archE942ELNS1_3gpuE9ELNS1_3repE0EEENS1_44radix_sort_block_sort_config_static_selectorELNS0_4arch9wavefront6targetE0EEEvSF_,comdat
	.protected	_ZN7rocprim17ROCPRIM_400000_NS6detail17trampoline_kernelINS0_13kernel_configILj256ELj4ELj4294967295EEENS1_37radix_sort_block_sort_config_selectorItNS0_10empty_typeEEEZNS1_21radix_sort_block_sortIS4_Lb1EPKtPtPS6_SC_NS0_19identity_decomposerEEE10hipError_tT1_T2_T3_T4_jRjT5_jjP12ihipStream_tbEUlT_E_NS1_11comp_targetILNS1_3genE5ELNS1_11target_archE942ELNS1_3gpuE9ELNS1_3repE0EEENS1_44radix_sort_block_sort_config_static_selectorELNS0_4arch9wavefront6targetE0EEEvSF_ ; -- Begin function _ZN7rocprim17ROCPRIM_400000_NS6detail17trampoline_kernelINS0_13kernel_configILj256ELj4ELj4294967295EEENS1_37radix_sort_block_sort_config_selectorItNS0_10empty_typeEEEZNS1_21radix_sort_block_sortIS4_Lb1EPKtPtPS6_SC_NS0_19identity_decomposerEEE10hipError_tT1_T2_T3_T4_jRjT5_jjP12ihipStream_tbEUlT_E_NS1_11comp_targetILNS1_3genE5ELNS1_11target_archE942ELNS1_3gpuE9ELNS1_3repE0EEENS1_44radix_sort_block_sort_config_static_selectorELNS0_4arch9wavefront6targetE0EEEvSF_
	.globl	_ZN7rocprim17ROCPRIM_400000_NS6detail17trampoline_kernelINS0_13kernel_configILj256ELj4ELj4294967295EEENS1_37radix_sort_block_sort_config_selectorItNS0_10empty_typeEEEZNS1_21radix_sort_block_sortIS4_Lb1EPKtPtPS6_SC_NS0_19identity_decomposerEEE10hipError_tT1_T2_T3_T4_jRjT5_jjP12ihipStream_tbEUlT_E_NS1_11comp_targetILNS1_3genE5ELNS1_11target_archE942ELNS1_3gpuE9ELNS1_3repE0EEENS1_44radix_sort_block_sort_config_static_selectorELNS0_4arch9wavefront6targetE0EEEvSF_
	.p2align	8
	.type	_ZN7rocprim17ROCPRIM_400000_NS6detail17trampoline_kernelINS0_13kernel_configILj256ELj4ELj4294967295EEENS1_37radix_sort_block_sort_config_selectorItNS0_10empty_typeEEEZNS1_21radix_sort_block_sortIS4_Lb1EPKtPtPS6_SC_NS0_19identity_decomposerEEE10hipError_tT1_T2_T3_T4_jRjT5_jjP12ihipStream_tbEUlT_E_NS1_11comp_targetILNS1_3genE5ELNS1_11target_archE942ELNS1_3gpuE9ELNS1_3repE0EEENS1_44radix_sort_block_sort_config_static_selectorELNS0_4arch9wavefront6targetE0EEEvSF_,@function
_ZN7rocprim17ROCPRIM_400000_NS6detail17trampoline_kernelINS0_13kernel_configILj256ELj4ELj4294967295EEENS1_37radix_sort_block_sort_config_selectorItNS0_10empty_typeEEEZNS1_21radix_sort_block_sortIS4_Lb1EPKtPtPS6_SC_NS0_19identity_decomposerEEE10hipError_tT1_T2_T3_T4_jRjT5_jjP12ihipStream_tbEUlT_E_NS1_11comp_targetILNS1_3genE5ELNS1_11target_archE942ELNS1_3gpuE9ELNS1_3repE0EEENS1_44radix_sort_block_sort_config_static_selectorELNS0_4arch9wavefront6targetE0EEEvSF_: ; @_ZN7rocprim17ROCPRIM_400000_NS6detail17trampoline_kernelINS0_13kernel_configILj256ELj4ELj4294967295EEENS1_37radix_sort_block_sort_config_selectorItNS0_10empty_typeEEEZNS1_21radix_sort_block_sortIS4_Lb1EPKtPtPS6_SC_NS0_19identity_decomposerEEE10hipError_tT1_T2_T3_T4_jRjT5_jjP12ihipStream_tbEUlT_E_NS1_11comp_targetILNS1_3genE5ELNS1_11target_archE942ELNS1_3gpuE9ELNS1_3repE0EEENS1_44radix_sort_block_sort_config_static_selectorELNS0_4arch9wavefront6targetE0EEEvSF_
; %bb.0:
	.section	.rodata,"a",@progbits
	.p2align	6, 0x0
	.amdhsa_kernel _ZN7rocprim17ROCPRIM_400000_NS6detail17trampoline_kernelINS0_13kernel_configILj256ELj4ELj4294967295EEENS1_37radix_sort_block_sort_config_selectorItNS0_10empty_typeEEEZNS1_21radix_sort_block_sortIS4_Lb1EPKtPtPS6_SC_NS0_19identity_decomposerEEE10hipError_tT1_T2_T3_T4_jRjT5_jjP12ihipStream_tbEUlT_E_NS1_11comp_targetILNS1_3genE5ELNS1_11target_archE942ELNS1_3gpuE9ELNS1_3repE0EEENS1_44radix_sort_block_sort_config_static_selectorELNS0_4arch9wavefront6targetE0EEEvSF_
		.amdhsa_group_segment_fixed_size 0
		.amdhsa_private_segment_fixed_size 0
		.amdhsa_kernarg_size 48
		.amdhsa_user_sgpr_count 2
		.amdhsa_user_sgpr_dispatch_ptr 0
		.amdhsa_user_sgpr_queue_ptr 0
		.amdhsa_user_sgpr_kernarg_segment_ptr 1
		.amdhsa_user_sgpr_dispatch_id 0
		.amdhsa_user_sgpr_kernarg_preload_length 0
		.amdhsa_user_sgpr_kernarg_preload_offset 0
		.amdhsa_user_sgpr_private_segment_size 0
		.amdhsa_wavefront_size32 1
		.amdhsa_uses_dynamic_stack 0
		.amdhsa_enable_private_segment 0
		.amdhsa_system_sgpr_workgroup_id_x 1
		.amdhsa_system_sgpr_workgroup_id_y 0
		.amdhsa_system_sgpr_workgroup_id_z 0
		.amdhsa_system_sgpr_workgroup_info 0
		.amdhsa_system_vgpr_workitem_id 0
		.amdhsa_next_free_vgpr 1
		.amdhsa_next_free_sgpr 1
		.amdhsa_named_barrier_count 0
		.amdhsa_reserve_vcc 0
		.amdhsa_float_round_mode_32 0
		.amdhsa_float_round_mode_16_64 0
		.amdhsa_float_denorm_mode_32 3
		.amdhsa_float_denorm_mode_16_64 3
		.amdhsa_fp16_overflow 0
		.amdhsa_memory_ordered 1
		.amdhsa_forward_progress 1
		.amdhsa_inst_pref_size 0
		.amdhsa_round_robin_scheduling 0
		.amdhsa_exception_fp_ieee_invalid_op 0
		.amdhsa_exception_fp_denorm_src 0
		.amdhsa_exception_fp_ieee_div_zero 0
		.amdhsa_exception_fp_ieee_overflow 0
		.amdhsa_exception_fp_ieee_underflow 0
		.amdhsa_exception_fp_ieee_inexact 0
		.amdhsa_exception_int_div_zero 0
	.end_amdhsa_kernel
	.section	.text._ZN7rocprim17ROCPRIM_400000_NS6detail17trampoline_kernelINS0_13kernel_configILj256ELj4ELj4294967295EEENS1_37radix_sort_block_sort_config_selectorItNS0_10empty_typeEEEZNS1_21radix_sort_block_sortIS4_Lb1EPKtPtPS6_SC_NS0_19identity_decomposerEEE10hipError_tT1_T2_T3_T4_jRjT5_jjP12ihipStream_tbEUlT_E_NS1_11comp_targetILNS1_3genE5ELNS1_11target_archE942ELNS1_3gpuE9ELNS1_3repE0EEENS1_44radix_sort_block_sort_config_static_selectorELNS0_4arch9wavefront6targetE0EEEvSF_,"axG",@progbits,_ZN7rocprim17ROCPRIM_400000_NS6detail17trampoline_kernelINS0_13kernel_configILj256ELj4ELj4294967295EEENS1_37radix_sort_block_sort_config_selectorItNS0_10empty_typeEEEZNS1_21radix_sort_block_sortIS4_Lb1EPKtPtPS6_SC_NS0_19identity_decomposerEEE10hipError_tT1_T2_T3_T4_jRjT5_jjP12ihipStream_tbEUlT_E_NS1_11comp_targetILNS1_3genE5ELNS1_11target_archE942ELNS1_3gpuE9ELNS1_3repE0EEENS1_44radix_sort_block_sort_config_static_selectorELNS0_4arch9wavefront6targetE0EEEvSF_,comdat
.Lfunc_end2287:
	.size	_ZN7rocprim17ROCPRIM_400000_NS6detail17trampoline_kernelINS0_13kernel_configILj256ELj4ELj4294967295EEENS1_37radix_sort_block_sort_config_selectorItNS0_10empty_typeEEEZNS1_21radix_sort_block_sortIS4_Lb1EPKtPtPS6_SC_NS0_19identity_decomposerEEE10hipError_tT1_T2_T3_T4_jRjT5_jjP12ihipStream_tbEUlT_E_NS1_11comp_targetILNS1_3genE5ELNS1_11target_archE942ELNS1_3gpuE9ELNS1_3repE0EEENS1_44radix_sort_block_sort_config_static_selectorELNS0_4arch9wavefront6targetE0EEEvSF_, .Lfunc_end2287-_ZN7rocprim17ROCPRIM_400000_NS6detail17trampoline_kernelINS0_13kernel_configILj256ELj4ELj4294967295EEENS1_37radix_sort_block_sort_config_selectorItNS0_10empty_typeEEEZNS1_21radix_sort_block_sortIS4_Lb1EPKtPtPS6_SC_NS0_19identity_decomposerEEE10hipError_tT1_T2_T3_T4_jRjT5_jjP12ihipStream_tbEUlT_E_NS1_11comp_targetILNS1_3genE5ELNS1_11target_archE942ELNS1_3gpuE9ELNS1_3repE0EEENS1_44radix_sort_block_sort_config_static_selectorELNS0_4arch9wavefront6targetE0EEEvSF_
                                        ; -- End function
	.set _ZN7rocprim17ROCPRIM_400000_NS6detail17trampoline_kernelINS0_13kernel_configILj256ELj4ELj4294967295EEENS1_37radix_sort_block_sort_config_selectorItNS0_10empty_typeEEEZNS1_21radix_sort_block_sortIS4_Lb1EPKtPtPS6_SC_NS0_19identity_decomposerEEE10hipError_tT1_T2_T3_T4_jRjT5_jjP12ihipStream_tbEUlT_E_NS1_11comp_targetILNS1_3genE5ELNS1_11target_archE942ELNS1_3gpuE9ELNS1_3repE0EEENS1_44radix_sort_block_sort_config_static_selectorELNS0_4arch9wavefront6targetE0EEEvSF_.num_vgpr, 0
	.set _ZN7rocprim17ROCPRIM_400000_NS6detail17trampoline_kernelINS0_13kernel_configILj256ELj4ELj4294967295EEENS1_37radix_sort_block_sort_config_selectorItNS0_10empty_typeEEEZNS1_21radix_sort_block_sortIS4_Lb1EPKtPtPS6_SC_NS0_19identity_decomposerEEE10hipError_tT1_T2_T3_T4_jRjT5_jjP12ihipStream_tbEUlT_E_NS1_11comp_targetILNS1_3genE5ELNS1_11target_archE942ELNS1_3gpuE9ELNS1_3repE0EEENS1_44radix_sort_block_sort_config_static_selectorELNS0_4arch9wavefront6targetE0EEEvSF_.num_agpr, 0
	.set _ZN7rocprim17ROCPRIM_400000_NS6detail17trampoline_kernelINS0_13kernel_configILj256ELj4ELj4294967295EEENS1_37radix_sort_block_sort_config_selectorItNS0_10empty_typeEEEZNS1_21radix_sort_block_sortIS4_Lb1EPKtPtPS6_SC_NS0_19identity_decomposerEEE10hipError_tT1_T2_T3_T4_jRjT5_jjP12ihipStream_tbEUlT_E_NS1_11comp_targetILNS1_3genE5ELNS1_11target_archE942ELNS1_3gpuE9ELNS1_3repE0EEENS1_44radix_sort_block_sort_config_static_selectorELNS0_4arch9wavefront6targetE0EEEvSF_.numbered_sgpr, 0
	.set _ZN7rocprim17ROCPRIM_400000_NS6detail17trampoline_kernelINS0_13kernel_configILj256ELj4ELj4294967295EEENS1_37radix_sort_block_sort_config_selectorItNS0_10empty_typeEEEZNS1_21radix_sort_block_sortIS4_Lb1EPKtPtPS6_SC_NS0_19identity_decomposerEEE10hipError_tT1_T2_T3_T4_jRjT5_jjP12ihipStream_tbEUlT_E_NS1_11comp_targetILNS1_3genE5ELNS1_11target_archE942ELNS1_3gpuE9ELNS1_3repE0EEENS1_44radix_sort_block_sort_config_static_selectorELNS0_4arch9wavefront6targetE0EEEvSF_.num_named_barrier, 0
	.set _ZN7rocprim17ROCPRIM_400000_NS6detail17trampoline_kernelINS0_13kernel_configILj256ELj4ELj4294967295EEENS1_37radix_sort_block_sort_config_selectorItNS0_10empty_typeEEEZNS1_21radix_sort_block_sortIS4_Lb1EPKtPtPS6_SC_NS0_19identity_decomposerEEE10hipError_tT1_T2_T3_T4_jRjT5_jjP12ihipStream_tbEUlT_E_NS1_11comp_targetILNS1_3genE5ELNS1_11target_archE942ELNS1_3gpuE9ELNS1_3repE0EEENS1_44radix_sort_block_sort_config_static_selectorELNS0_4arch9wavefront6targetE0EEEvSF_.private_seg_size, 0
	.set _ZN7rocprim17ROCPRIM_400000_NS6detail17trampoline_kernelINS0_13kernel_configILj256ELj4ELj4294967295EEENS1_37radix_sort_block_sort_config_selectorItNS0_10empty_typeEEEZNS1_21radix_sort_block_sortIS4_Lb1EPKtPtPS6_SC_NS0_19identity_decomposerEEE10hipError_tT1_T2_T3_T4_jRjT5_jjP12ihipStream_tbEUlT_E_NS1_11comp_targetILNS1_3genE5ELNS1_11target_archE942ELNS1_3gpuE9ELNS1_3repE0EEENS1_44radix_sort_block_sort_config_static_selectorELNS0_4arch9wavefront6targetE0EEEvSF_.uses_vcc, 0
	.set _ZN7rocprim17ROCPRIM_400000_NS6detail17trampoline_kernelINS0_13kernel_configILj256ELj4ELj4294967295EEENS1_37radix_sort_block_sort_config_selectorItNS0_10empty_typeEEEZNS1_21radix_sort_block_sortIS4_Lb1EPKtPtPS6_SC_NS0_19identity_decomposerEEE10hipError_tT1_T2_T3_T4_jRjT5_jjP12ihipStream_tbEUlT_E_NS1_11comp_targetILNS1_3genE5ELNS1_11target_archE942ELNS1_3gpuE9ELNS1_3repE0EEENS1_44radix_sort_block_sort_config_static_selectorELNS0_4arch9wavefront6targetE0EEEvSF_.uses_flat_scratch, 0
	.set _ZN7rocprim17ROCPRIM_400000_NS6detail17trampoline_kernelINS0_13kernel_configILj256ELj4ELj4294967295EEENS1_37radix_sort_block_sort_config_selectorItNS0_10empty_typeEEEZNS1_21radix_sort_block_sortIS4_Lb1EPKtPtPS6_SC_NS0_19identity_decomposerEEE10hipError_tT1_T2_T3_T4_jRjT5_jjP12ihipStream_tbEUlT_E_NS1_11comp_targetILNS1_3genE5ELNS1_11target_archE942ELNS1_3gpuE9ELNS1_3repE0EEENS1_44radix_sort_block_sort_config_static_selectorELNS0_4arch9wavefront6targetE0EEEvSF_.has_dyn_sized_stack, 0
	.set _ZN7rocprim17ROCPRIM_400000_NS6detail17trampoline_kernelINS0_13kernel_configILj256ELj4ELj4294967295EEENS1_37radix_sort_block_sort_config_selectorItNS0_10empty_typeEEEZNS1_21radix_sort_block_sortIS4_Lb1EPKtPtPS6_SC_NS0_19identity_decomposerEEE10hipError_tT1_T2_T3_T4_jRjT5_jjP12ihipStream_tbEUlT_E_NS1_11comp_targetILNS1_3genE5ELNS1_11target_archE942ELNS1_3gpuE9ELNS1_3repE0EEENS1_44radix_sort_block_sort_config_static_selectorELNS0_4arch9wavefront6targetE0EEEvSF_.has_recursion, 0
	.set _ZN7rocprim17ROCPRIM_400000_NS6detail17trampoline_kernelINS0_13kernel_configILj256ELj4ELj4294967295EEENS1_37radix_sort_block_sort_config_selectorItNS0_10empty_typeEEEZNS1_21radix_sort_block_sortIS4_Lb1EPKtPtPS6_SC_NS0_19identity_decomposerEEE10hipError_tT1_T2_T3_T4_jRjT5_jjP12ihipStream_tbEUlT_E_NS1_11comp_targetILNS1_3genE5ELNS1_11target_archE942ELNS1_3gpuE9ELNS1_3repE0EEENS1_44radix_sort_block_sort_config_static_selectorELNS0_4arch9wavefront6targetE0EEEvSF_.has_indirect_call, 0
	.section	.AMDGPU.csdata,"",@progbits
; Kernel info:
; codeLenInByte = 0
; TotalNumSgprs: 0
; NumVgprs: 0
; ScratchSize: 0
; MemoryBound: 0
; FloatMode: 240
; IeeeMode: 1
; LDSByteSize: 0 bytes/workgroup (compile time only)
; SGPRBlocks: 0
; VGPRBlocks: 0
; NumSGPRsForWavesPerEU: 1
; NumVGPRsForWavesPerEU: 1
; NamedBarCnt: 0
; Occupancy: 16
; WaveLimiterHint : 0
; COMPUTE_PGM_RSRC2:SCRATCH_EN: 0
; COMPUTE_PGM_RSRC2:USER_SGPR: 2
; COMPUTE_PGM_RSRC2:TRAP_HANDLER: 0
; COMPUTE_PGM_RSRC2:TGID_X_EN: 1
; COMPUTE_PGM_RSRC2:TGID_Y_EN: 0
; COMPUTE_PGM_RSRC2:TGID_Z_EN: 0
; COMPUTE_PGM_RSRC2:TIDIG_COMP_CNT: 0
	.section	.text._ZN7rocprim17ROCPRIM_400000_NS6detail17trampoline_kernelINS0_13kernel_configILj256ELj4ELj4294967295EEENS1_37radix_sort_block_sort_config_selectorItNS0_10empty_typeEEEZNS1_21radix_sort_block_sortIS4_Lb1EPKtPtPS6_SC_NS0_19identity_decomposerEEE10hipError_tT1_T2_T3_T4_jRjT5_jjP12ihipStream_tbEUlT_E_NS1_11comp_targetILNS1_3genE4ELNS1_11target_archE910ELNS1_3gpuE8ELNS1_3repE0EEENS1_44radix_sort_block_sort_config_static_selectorELNS0_4arch9wavefront6targetE0EEEvSF_,"axG",@progbits,_ZN7rocprim17ROCPRIM_400000_NS6detail17trampoline_kernelINS0_13kernel_configILj256ELj4ELj4294967295EEENS1_37radix_sort_block_sort_config_selectorItNS0_10empty_typeEEEZNS1_21radix_sort_block_sortIS4_Lb1EPKtPtPS6_SC_NS0_19identity_decomposerEEE10hipError_tT1_T2_T3_T4_jRjT5_jjP12ihipStream_tbEUlT_E_NS1_11comp_targetILNS1_3genE4ELNS1_11target_archE910ELNS1_3gpuE8ELNS1_3repE0EEENS1_44radix_sort_block_sort_config_static_selectorELNS0_4arch9wavefront6targetE0EEEvSF_,comdat
	.protected	_ZN7rocprim17ROCPRIM_400000_NS6detail17trampoline_kernelINS0_13kernel_configILj256ELj4ELj4294967295EEENS1_37radix_sort_block_sort_config_selectorItNS0_10empty_typeEEEZNS1_21radix_sort_block_sortIS4_Lb1EPKtPtPS6_SC_NS0_19identity_decomposerEEE10hipError_tT1_T2_T3_T4_jRjT5_jjP12ihipStream_tbEUlT_E_NS1_11comp_targetILNS1_3genE4ELNS1_11target_archE910ELNS1_3gpuE8ELNS1_3repE0EEENS1_44radix_sort_block_sort_config_static_selectorELNS0_4arch9wavefront6targetE0EEEvSF_ ; -- Begin function _ZN7rocprim17ROCPRIM_400000_NS6detail17trampoline_kernelINS0_13kernel_configILj256ELj4ELj4294967295EEENS1_37radix_sort_block_sort_config_selectorItNS0_10empty_typeEEEZNS1_21radix_sort_block_sortIS4_Lb1EPKtPtPS6_SC_NS0_19identity_decomposerEEE10hipError_tT1_T2_T3_T4_jRjT5_jjP12ihipStream_tbEUlT_E_NS1_11comp_targetILNS1_3genE4ELNS1_11target_archE910ELNS1_3gpuE8ELNS1_3repE0EEENS1_44radix_sort_block_sort_config_static_selectorELNS0_4arch9wavefront6targetE0EEEvSF_
	.globl	_ZN7rocprim17ROCPRIM_400000_NS6detail17trampoline_kernelINS0_13kernel_configILj256ELj4ELj4294967295EEENS1_37radix_sort_block_sort_config_selectorItNS0_10empty_typeEEEZNS1_21radix_sort_block_sortIS4_Lb1EPKtPtPS6_SC_NS0_19identity_decomposerEEE10hipError_tT1_T2_T3_T4_jRjT5_jjP12ihipStream_tbEUlT_E_NS1_11comp_targetILNS1_3genE4ELNS1_11target_archE910ELNS1_3gpuE8ELNS1_3repE0EEENS1_44radix_sort_block_sort_config_static_selectorELNS0_4arch9wavefront6targetE0EEEvSF_
	.p2align	8
	.type	_ZN7rocprim17ROCPRIM_400000_NS6detail17trampoline_kernelINS0_13kernel_configILj256ELj4ELj4294967295EEENS1_37radix_sort_block_sort_config_selectorItNS0_10empty_typeEEEZNS1_21radix_sort_block_sortIS4_Lb1EPKtPtPS6_SC_NS0_19identity_decomposerEEE10hipError_tT1_T2_T3_T4_jRjT5_jjP12ihipStream_tbEUlT_E_NS1_11comp_targetILNS1_3genE4ELNS1_11target_archE910ELNS1_3gpuE8ELNS1_3repE0EEENS1_44radix_sort_block_sort_config_static_selectorELNS0_4arch9wavefront6targetE0EEEvSF_,@function
_ZN7rocprim17ROCPRIM_400000_NS6detail17trampoline_kernelINS0_13kernel_configILj256ELj4ELj4294967295EEENS1_37radix_sort_block_sort_config_selectorItNS0_10empty_typeEEEZNS1_21radix_sort_block_sortIS4_Lb1EPKtPtPS6_SC_NS0_19identity_decomposerEEE10hipError_tT1_T2_T3_T4_jRjT5_jjP12ihipStream_tbEUlT_E_NS1_11comp_targetILNS1_3genE4ELNS1_11target_archE910ELNS1_3gpuE8ELNS1_3repE0EEENS1_44radix_sort_block_sort_config_static_selectorELNS0_4arch9wavefront6targetE0EEEvSF_: ; @_ZN7rocprim17ROCPRIM_400000_NS6detail17trampoline_kernelINS0_13kernel_configILj256ELj4ELj4294967295EEENS1_37radix_sort_block_sort_config_selectorItNS0_10empty_typeEEEZNS1_21radix_sort_block_sortIS4_Lb1EPKtPtPS6_SC_NS0_19identity_decomposerEEE10hipError_tT1_T2_T3_T4_jRjT5_jjP12ihipStream_tbEUlT_E_NS1_11comp_targetILNS1_3genE4ELNS1_11target_archE910ELNS1_3gpuE8ELNS1_3repE0EEENS1_44radix_sort_block_sort_config_static_selectorELNS0_4arch9wavefront6targetE0EEEvSF_
; %bb.0:
	.section	.rodata,"a",@progbits
	.p2align	6, 0x0
	.amdhsa_kernel _ZN7rocprim17ROCPRIM_400000_NS6detail17trampoline_kernelINS0_13kernel_configILj256ELj4ELj4294967295EEENS1_37radix_sort_block_sort_config_selectorItNS0_10empty_typeEEEZNS1_21radix_sort_block_sortIS4_Lb1EPKtPtPS6_SC_NS0_19identity_decomposerEEE10hipError_tT1_T2_T3_T4_jRjT5_jjP12ihipStream_tbEUlT_E_NS1_11comp_targetILNS1_3genE4ELNS1_11target_archE910ELNS1_3gpuE8ELNS1_3repE0EEENS1_44radix_sort_block_sort_config_static_selectorELNS0_4arch9wavefront6targetE0EEEvSF_
		.amdhsa_group_segment_fixed_size 0
		.amdhsa_private_segment_fixed_size 0
		.amdhsa_kernarg_size 48
		.amdhsa_user_sgpr_count 2
		.amdhsa_user_sgpr_dispatch_ptr 0
		.amdhsa_user_sgpr_queue_ptr 0
		.amdhsa_user_sgpr_kernarg_segment_ptr 1
		.amdhsa_user_sgpr_dispatch_id 0
		.amdhsa_user_sgpr_kernarg_preload_length 0
		.amdhsa_user_sgpr_kernarg_preload_offset 0
		.amdhsa_user_sgpr_private_segment_size 0
		.amdhsa_wavefront_size32 1
		.amdhsa_uses_dynamic_stack 0
		.amdhsa_enable_private_segment 0
		.amdhsa_system_sgpr_workgroup_id_x 1
		.amdhsa_system_sgpr_workgroup_id_y 0
		.amdhsa_system_sgpr_workgroup_id_z 0
		.amdhsa_system_sgpr_workgroup_info 0
		.amdhsa_system_vgpr_workitem_id 0
		.amdhsa_next_free_vgpr 1
		.amdhsa_next_free_sgpr 1
		.amdhsa_named_barrier_count 0
		.amdhsa_reserve_vcc 0
		.amdhsa_float_round_mode_32 0
		.amdhsa_float_round_mode_16_64 0
		.amdhsa_float_denorm_mode_32 3
		.amdhsa_float_denorm_mode_16_64 3
		.amdhsa_fp16_overflow 0
		.amdhsa_memory_ordered 1
		.amdhsa_forward_progress 1
		.amdhsa_inst_pref_size 0
		.amdhsa_round_robin_scheduling 0
		.amdhsa_exception_fp_ieee_invalid_op 0
		.amdhsa_exception_fp_denorm_src 0
		.amdhsa_exception_fp_ieee_div_zero 0
		.amdhsa_exception_fp_ieee_overflow 0
		.amdhsa_exception_fp_ieee_underflow 0
		.amdhsa_exception_fp_ieee_inexact 0
		.amdhsa_exception_int_div_zero 0
	.end_amdhsa_kernel
	.section	.text._ZN7rocprim17ROCPRIM_400000_NS6detail17trampoline_kernelINS0_13kernel_configILj256ELj4ELj4294967295EEENS1_37radix_sort_block_sort_config_selectorItNS0_10empty_typeEEEZNS1_21radix_sort_block_sortIS4_Lb1EPKtPtPS6_SC_NS0_19identity_decomposerEEE10hipError_tT1_T2_T3_T4_jRjT5_jjP12ihipStream_tbEUlT_E_NS1_11comp_targetILNS1_3genE4ELNS1_11target_archE910ELNS1_3gpuE8ELNS1_3repE0EEENS1_44radix_sort_block_sort_config_static_selectorELNS0_4arch9wavefront6targetE0EEEvSF_,"axG",@progbits,_ZN7rocprim17ROCPRIM_400000_NS6detail17trampoline_kernelINS0_13kernel_configILj256ELj4ELj4294967295EEENS1_37radix_sort_block_sort_config_selectorItNS0_10empty_typeEEEZNS1_21radix_sort_block_sortIS4_Lb1EPKtPtPS6_SC_NS0_19identity_decomposerEEE10hipError_tT1_T2_T3_T4_jRjT5_jjP12ihipStream_tbEUlT_E_NS1_11comp_targetILNS1_3genE4ELNS1_11target_archE910ELNS1_3gpuE8ELNS1_3repE0EEENS1_44radix_sort_block_sort_config_static_selectorELNS0_4arch9wavefront6targetE0EEEvSF_,comdat
.Lfunc_end2288:
	.size	_ZN7rocprim17ROCPRIM_400000_NS6detail17trampoline_kernelINS0_13kernel_configILj256ELj4ELj4294967295EEENS1_37radix_sort_block_sort_config_selectorItNS0_10empty_typeEEEZNS1_21radix_sort_block_sortIS4_Lb1EPKtPtPS6_SC_NS0_19identity_decomposerEEE10hipError_tT1_T2_T3_T4_jRjT5_jjP12ihipStream_tbEUlT_E_NS1_11comp_targetILNS1_3genE4ELNS1_11target_archE910ELNS1_3gpuE8ELNS1_3repE0EEENS1_44radix_sort_block_sort_config_static_selectorELNS0_4arch9wavefront6targetE0EEEvSF_, .Lfunc_end2288-_ZN7rocprim17ROCPRIM_400000_NS6detail17trampoline_kernelINS0_13kernel_configILj256ELj4ELj4294967295EEENS1_37radix_sort_block_sort_config_selectorItNS0_10empty_typeEEEZNS1_21radix_sort_block_sortIS4_Lb1EPKtPtPS6_SC_NS0_19identity_decomposerEEE10hipError_tT1_T2_T3_T4_jRjT5_jjP12ihipStream_tbEUlT_E_NS1_11comp_targetILNS1_3genE4ELNS1_11target_archE910ELNS1_3gpuE8ELNS1_3repE0EEENS1_44radix_sort_block_sort_config_static_selectorELNS0_4arch9wavefront6targetE0EEEvSF_
                                        ; -- End function
	.set _ZN7rocprim17ROCPRIM_400000_NS6detail17trampoline_kernelINS0_13kernel_configILj256ELj4ELj4294967295EEENS1_37radix_sort_block_sort_config_selectorItNS0_10empty_typeEEEZNS1_21radix_sort_block_sortIS4_Lb1EPKtPtPS6_SC_NS0_19identity_decomposerEEE10hipError_tT1_T2_T3_T4_jRjT5_jjP12ihipStream_tbEUlT_E_NS1_11comp_targetILNS1_3genE4ELNS1_11target_archE910ELNS1_3gpuE8ELNS1_3repE0EEENS1_44radix_sort_block_sort_config_static_selectorELNS0_4arch9wavefront6targetE0EEEvSF_.num_vgpr, 0
	.set _ZN7rocprim17ROCPRIM_400000_NS6detail17trampoline_kernelINS0_13kernel_configILj256ELj4ELj4294967295EEENS1_37radix_sort_block_sort_config_selectorItNS0_10empty_typeEEEZNS1_21radix_sort_block_sortIS4_Lb1EPKtPtPS6_SC_NS0_19identity_decomposerEEE10hipError_tT1_T2_T3_T4_jRjT5_jjP12ihipStream_tbEUlT_E_NS1_11comp_targetILNS1_3genE4ELNS1_11target_archE910ELNS1_3gpuE8ELNS1_3repE0EEENS1_44radix_sort_block_sort_config_static_selectorELNS0_4arch9wavefront6targetE0EEEvSF_.num_agpr, 0
	.set _ZN7rocprim17ROCPRIM_400000_NS6detail17trampoline_kernelINS0_13kernel_configILj256ELj4ELj4294967295EEENS1_37radix_sort_block_sort_config_selectorItNS0_10empty_typeEEEZNS1_21radix_sort_block_sortIS4_Lb1EPKtPtPS6_SC_NS0_19identity_decomposerEEE10hipError_tT1_T2_T3_T4_jRjT5_jjP12ihipStream_tbEUlT_E_NS1_11comp_targetILNS1_3genE4ELNS1_11target_archE910ELNS1_3gpuE8ELNS1_3repE0EEENS1_44radix_sort_block_sort_config_static_selectorELNS0_4arch9wavefront6targetE0EEEvSF_.numbered_sgpr, 0
	.set _ZN7rocprim17ROCPRIM_400000_NS6detail17trampoline_kernelINS0_13kernel_configILj256ELj4ELj4294967295EEENS1_37radix_sort_block_sort_config_selectorItNS0_10empty_typeEEEZNS1_21radix_sort_block_sortIS4_Lb1EPKtPtPS6_SC_NS0_19identity_decomposerEEE10hipError_tT1_T2_T3_T4_jRjT5_jjP12ihipStream_tbEUlT_E_NS1_11comp_targetILNS1_3genE4ELNS1_11target_archE910ELNS1_3gpuE8ELNS1_3repE0EEENS1_44radix_sort_block_sort_config_static_selectorELNS0_4arch9wavefront6targetE0EEEvSF_.num_named_barrier, 0
	.set _ZN7rocprim17ROCPRIM_400000_NS6detail17trampoline_kernelINS0_13kernel_configILj256ELj4ELj4294967295EEENS1_37radix_sort_block_sort_config_selectorItNS0_10empty_typeEEEZNS1_21radix_sort_block_sortIS4_Lb1EPKtPtPS6_SC_NS0_19identity_decomposerEEE10hipError_tT1_T2_T3_T4_jRjT5_jjP12ihipStream_tbEUlT_E_NS1_11comp_targetILNS1_3genE4ELNS1_11target_archE910ELNS1_3gpuE8ELNS1_3repE0EEENS1_44radix_sort_block_sort_config_static_selectorELNS0_4arch9wavefront6targetE0EEEvSF_.private_seg_size, 0
	.set _ZN7rocprim17ROCPRIM_400000_NS6detail17trampoline_kernelINS0_13kernel_configILj256ELj4ELj4294967295EEENS1_37radix_sort_block_sort_config_selectorItNS0_10empty_typeEEEZNS1_21radix_sort_block_sortIS4_Lb1EPKtPtPS6_SC_NS0_19identity_decomposerEEE10hipError_tT1_T2_T3_T4_jRjT5_jjP12ihipStream_tbEUlT_E_NS1_11comp_targetILNS1_3genE4ELNS1_11target_archE910ELNS1_3gpuE8ELNS1_3repE0EEENS1_44radix_sort_block_sort_config_static_selectorELNS0_4arch9wavefront6targetE0EEEvSF_.uses_vcc, 0
	.set _ZN7rocprim17ROCPRIM_400000_NS6detail17trampoline_kernelINS0_13kernel_configILj256ELj4ELj4294967295EEENS1_37radix_sort_block_sort_config_selectorItNS0_10empty_typeEEEZNS1_21radix_sort_block_sortIS4_Lb1EPKtPtPS6_SC_NS0_19identity_decomposerEEE10hipError_tT1_T2_T3_T4_jRjT5_jjP12ihipStream_tbEUlT_E_NS1_11comp_targetILNS1_3genE4ELNS1_11target_archE910ELNS1_3gpuE8ELNS1_3repE0EEENS1_44radix_sort_block_sort_config_static_selectorELNS0_4arch9wavefront6targetE0EEEvSF_.uses_flat_scratch, 0
	.set _ZN7rocprim17ROCPRIM_400000_NS6detail17trampoline_kernelINS0_13kernel_configILj256ELj4ELj4294967295EEENS1_37radix_sort_block_sort_config_selectorItNS0_10empty_typeEEEZNS1_21radix_sort_block_sortIS4_Lb1EPKtPtPS6_SC_NS0_19identity_decomposerEEE10hipError_tT1_T2_T3_T4_jRjT5_jjP12ihipStream_tbEUlT_E_NS1_11comp_targetILNS1_3genE4ELNS1_11target_archE910ELNS1_3gpuE8ELNS1_3repE0EEENS1_44radix_sort_block_sort_config_static_selectorELNS0_4arch9wavefront6targetE0EEEvSF_.has_dyn_sized_stack, 0
	.set _ZN7rocprim17ROCPRIM_400000_NS6detail17trampoline_kernelINS0_13kernel_configILj256ELj4ELj4294967295EEENS1_37radix_sort_block_sort_config_selectorItNS0_10empty_typeEEEZNS1_21radix_sort_block_sortIS4_Lb1EPKtPtPS6_SC_NS0_19identity_decomposerEEE10hipError_tT1_T2_T3_T4_jRjT5_jjP12ihipStream_tbEUlT_E_NS1_11comp_targetILNS1_3genE4ELNS1_11target_archE910ELNS1_3gpuE8ELNS1_3repE0EEENS1_44radix_sort_block_sort_config_static_selectorELNS0_4arch9wavefront6targetE0EEEvSF_.has_recursion, 0
	.set _ZN7rocprim17ROCPRIM_400000_NS6detail17trampoline_kernelINS0_13kernel_configILj256ELj4ELj4294967295EEENS1_37radix_sort_block_sort_config_selectorItNS0_10empty_typeEEEZNS1_21radix_sort_block_sortIS4_Lb1EPKtPtPS6_SC_NS0_19identity_decomposerEEE10hipError_tT1_T2_T3_T4_jRjT5_jjP12ihipStream_tbEUlT_E_NS1_11comp_targetILNS1_3genE4ELNS1_11target_archE910ELNS1_3gpuE8ELNS1_3repE0EEENS1_44radix_sort_block_sort_config_static_selectorELNS0_4arch9wavefront6targetE0EEEvSF_.has_indirect_call, 0
	.section	.AMDGPU.csdata,"",@progbits
; Kernel info:
; codeLenInByte = 0
; TotalNumSgprs: 0
; NumVgprs: 0
; ScratchSize: 0
; MemoryBound: 0
; FloatMode: 240
; IeeeMode: 1
; LDSByteSize: 0 bytes/workgroup (compile time only)
; SGPRBlocks: 0
; VGPRBlocks: 0
; NumSGPRsForWavesPerEU: 1
; NumVGPRsForWavesPerEU: 1
; NamedBarCnt: 0
; Occupancy: 16
; WaveLimiterHint : 0
; COMPUTE_PGM_RSRC2:SCRATCH_EN: 0
; COMPUTE_PGM_RSRC2:USER_SGPR: 2
; COMPUTE_PGM_RSRC2:TRAP_HANDLER: 0
; COMPUTE_PGM_RSRC2:TGID_X_EN: 1
; COMPUTE_PGM_RSRC2:TGID_Y_EN: 0
; COMPUTE_PGM_RSRC2:TGID_Z_EN: 0
; COMPUTE_PGM_RSRC2:TIDIG_COMP_CNT: 0
	.section	.text._ZN7rocprim17ROCPRIM_400000_NS6detail17trampoline_kernelINS0_13kernel_configILj256ELj4ELj4294967295EEENS1_37radix_sort_block_sort_config_selectorItNS0_10empty_typeEEEZNS1_21radix_sort_block_sortIS4_Lb1EPKtPtPS6_SC_NS0_19identity_decomposerEEE10hipError_tT1_T2_T3_T4_jRjT5_jjP12ihipStream_tbEUlT_E_NS1_11comp_targetILNS1_3genE3ELNS1_11target_archE908ELNS1_3gpuE7ELNS1_3repE0EEENS1_44radix_sort_block_sort_config_static_selectorELNS0_4arch9wavefront6targetE0EEEvSF_,"axG",@progbits,_ZN7rocprim17ROCPRIM_400000_NS6detail17trampoline_kernelINS0_13kernel_configILj256ELj4ELj4294967295EEENS1_37radix_sort_block_sort_config_selectorItNS0_10empty_typeEEEZNS1_21radix_sort_block_sortIS4_Lb1EPKtPtPS6_SC_NS0_19identity_decomposerEEE10hipError_tT1_T2_T3_T4_jRjT5_jjP12ihipStream_tbEUlT_E_NS1_11comp_targetILNS1_3genE3ELNS1_11target_archE908ELNS1_3gpuE7ELNS1_3repE0EEENS1_44radix_sort_block_sort_config_static_selectorELNS0_4arch9wavefront6targetE0EEEvSF_,comdat
	.protected	_ZN7rocprim17ROCPRIM_400000_NS6detail17trampoline_kernelINS0_13kernel_configILj256ELj4ELj4294967295EEENS1_37radix_sort_block_sort_config_selectorItNS0_10empty_typeEEEZNS1_21radix_sort_block_sortIS4_Lb1EPKtPtPS6_SC_NS0_19identity_decomposerEEE10hipError_tT1_T2_T3_T4_jRjT5_jjP12ihipStream_tbEUlT_E_NS1_11comp_targetILNS1_3genE3ELNS1_11target_archE908ELNS1_3gpuE7ELNS1_3repE0EEENS1_44radix_sort_block_sort_config_static_selectorELNS0_4arch9wavefront6targetE0EEEvSF_ ; -- Begin function _ZN7rocprim17ROCPRIM_400000_NS6detail17trampoline_kernelINS0_13kernel_configILj256ELj4ELj4294967295EEENS1_37radix_sort_block_sort_config_selectorItNS0_10empty_typeEEEZNS1_21radix_sort_block_sortIS4_Lb1EPKtPtPS6_SC_NS0_19identity_decomposerEEE10hipError_tT1_T2_T3_T4_jRjT5_jjP12ihipStream_tbEUlT_E_NS1_11comp_targetILNS1_3genE3ELNS1_11target_archE908ELNS1_3gpuE7ELNS1_3repE0EEENS1_44radix_sort_block_sort_config_static_selectorELNS0_4arch9wavefront6targetE0EEEvSF_
	.globl	_ZN7rocprim17ROCPRIM_400000_NS6detail17trampoline_kernelINS0_13kernel_configILj256ELj4ELj4294967295EEENS1_37radix_sort_block_sort_config_selectorItNS0_10empty_typeEEEZNS1_21radix_sort_block_sortIS4_Lb1EPKtPtPS6_SC_NS0_19identity_decomposerEEE10hipError_tT1_T2_T3_T4_jRjT5_jjP12ihipStream_tbEUlT_E_NS1_11comp_targetILNS1_3genE3ELNS1_11target_archE908ELNS1_3gpuE7ELNS1_3repE0EEENS1_44radix_sort_block_sort_config_static_selectorELNS0_4arch9wavefront6targetE0EEEvSF_
	.p2align	8
	.type	_ZN7rocprim17ROCPRIM_400000_NS6detail17trampoline_kernelINS0_13kernel_configILj256ELj4ELj4294967295EEENS1_37radix_sort_block_sort_config_selectorItNS0_10empty_typeEEEZNS1_21radix_sort_block_sortIS4_Lb1EPKtPtPS6_SC_NS0_19identity_decomposerEEE10hipError_tT1_T2_T3_T4_jRjT5_jjP12ihipStream_tbEUlT_E_NS1_11comp_targetILNS1_3genE3ELNS1_11target_archE908ELNS1_3gpuE7ELNS1_3repE0EEENS1_44radix_sort_block_sort_config_static_selectorELNS0_4arch9wavefront6targetE0EEEvSF_,@function
_ZN7rocprim17ROCPRIM_400000_NS6detail17trampoline_kernelINS0_13kernel_configILj256ELj4ELj4294967295EEENS1_37radix_sort_block_sort_config_selectorItNS0_10empty_typeEEEZNS1_21radix_sort_block_sortIS4_Lb1EPKtPtPS6_SC_NS0_19identity_decomposerEEE10hipError_tT1_T2_T3_T4_jRjT5_jjP12ihipStream_tbEUlT_E_NS1_11comp_targetILNS1_3genE3ELNS1_11target_archE908ELNS1_3gpuE7ELNS1_3repE0EEENS1_44radix_sort_block_sort_config_static_selectorELNS0_4arch9wavefront6targetE0EEEvSF_: ; @_ZN7rocprim17ROCPRIM_400000_NS6detail17trampoline_kernelINS0_13kernel_configILj256ELj4ELj4294967295EEENS1_37radix_sort_block_sort_config_selectorItNS0_10empty_typeEEEZNS1_21radix_sort_block_sortIS4_Lb1EPKtPtPS6_SC_NS0_19identity_decomposerEEE10hipError_tT1_T2_T3_T4_jRjT5_jjP12ihipStream_tbEUlT_E_NS1_11comp_targetILNS1_3genE3ELNS1_11target_archE908ELNS1_3gpuE7ELNS1_3repE0EEENS1_44radix_sort_block_sort_config_static_selectorELNS0_4arch9wavefront6targetE0EEEvSF_
; %bb.0:
	.section	.rodata,"a",@progbits
	.p2align	6, 0x0
	.amdhsa_kernel _ZN7rocprim17ROCPRIM_400000_NS6detail17trampoline_kernelINS0_13kernel_configILj256ELj4ELj4294967295EEENS1_37radix_sort_block_sort_config_selectorItNS0_10empty_typeEEEZNS1_21radix_sort_block_sortIS4_Lb1EPKtPtPS6_SC_NS0_19identity_decomposerEEE10hipError_tT1_T2_T3_T4_jRjT5_jjP12ihipStream_tbEUlT_E_NS1_11comp_targetILNS1_3genE3ELNS1_11target_archE908ELNS1_3gpuE7ELNS1_3repE0EEENS1_44radix_sort_block_sort_config_static_selectorELNS0_4arch9wavefront6targetE0EEEvSF_
		.amdhsa_group_segment_fixed_size 0
		.amdhsa_private_segment_fixed_size 0
		.amdhsa_kernarg_size 48
		.amdhsa_user_sgpr_count 2
		.amdhsa_user_sgpr_dispatch_ptr 0
		.amdhsa_user_sgpr_queue_ptr 0
		.amdhsa_user_sgpr_kernarg_segment_ptr 1
		.amdhsa_user_sgpr_dispatch_id 0
		.amdhsa_user_sgpr_kernarg_preload_length 0
		.amdhsa_user_sgpr_kernarg_preload_offset 0
		.amdhsa_user_sgpr_private_segment_size 0
		.amdhsa_wavefront_size32 1
		.amdhsa_uses_dynamic_stack 0
		.amdhsa_enable_private_segment 0
		.amdhsa_system_sgpr_workgroup_id_x 1
		.amdhsa_system_sgpr_workgroup_id_y 0
		.amdhsa_system_sgpr_workgroup_id_z 0
		.amdhsa_system_sgpr_workgroup_info 0
		.amdhsa_system_vgpr_workitem_id 0
		.amdhsa_next_free_vgpr 1
		.amdhsa_next_free_sgpr 1
		.amdhsa_named_barrier_count 0
		.amdhsa_reserve_vcc 0
		.amdhsa_float_round_mode_32 0
		.amdhsa_float_round_mode_16_64 0
		.amdhsa_float_denorm_mode_32 3
		.amdhsa_float_denorm_mode_16_64 3
		.amdhsa_fp16_overflow 0
		.amdhsa_memory_ordered 1
		.amdhsa_forward_progress 1
		.amdhsa_inst_pref_size 0
		.amdhsa_round_robin_scheduling 0
		.amdhsa_exception_fp_ieee_invalid_op 0
		.amdhsa_exception_fp_denorm_src 0
		.amdhsa_exception_fp_ieee_div_zero 0
		.amdhsa_exception_fp_ieee_overflow 0
		.amdhsa_exception_fp_ieee_underflow 0
		.amdhsa_exception_fp_ieee_inexact 0
		.amdhsa_exception_int_div_zero 0
	.end_amdhsa_kernel
	.section	.text._ZN7rocprim17ROCPRIM_400000_NS6detail17trampoline_kernelINS0_13kernel_configILj256ELj4ELj4294967295EEENS1_37radix_sort_block_sort_config_selectorItNS0_10empty_typeEEEZNS1_21radix_sort_block_sortIS4_Lb1EPKtPtPS6_SC_NS0_19identity_decomposerEEE10hipError_tT1_T2_T3_T4_jRjT5_jjP12ihipStream_tbEUlT_E_NS1_11comp_targetILNS1_3genE3ELNS1_11target_archE908ELNS1_3gpuE7ELNS1_3repE0EEENS1_44radix_sort_block_sort_config_static_selectorELNS0_4arch9wavefront6targetE0EEEvSF_,"axG",@progbits,_ZN7rocprim17ROCPRIM_400000_NS6detail17trampoline_kernelINS0_13kernel_configILj256ELj4ELj4294967295EEENS1_37radix_sort_block_sort_config_selectorItNS0_10empty_typeEEEZNS1_21radix_sort_block_sortIS4_Lb1EPKtPtPS6_SC_NS0_19identity_decomposerEEE10hipError_tT1_T2_T3_T4_jRjT5_jjP12ihipStream_tbEUlT_E_NS1_11comp_targetILNS1_3genE3ELNS1_11target_archE908ELNS1_3gpuE7ELNS1_3repE0EEENS1_44radix_sort_block_sort_config_static_selectorELNS0_4arch9wavefront6targetE0EEEvSF_,comdat
.Lfunc_end2289:
	.size	_ZN7rocprim17ROCPRIM_400000_NS6detail17trampoline_kernelINS0_13kernel_configILj256ELj4ELj4294967295EEENS1_37radix_sort_block_sort_config_selectorItNS0_10empty_typeEEEZNS1_21radix_sort_block_sortIS4_Lb1EPKtPtPS6_SC_NS0_19identity_decomposerEEE10hipError_tT1_T2_T3_T4_jRjT5_jjP12ihipStream_tbEUlT_E_NS1_11comp_targetILNS1_3genE3ELNS1_11target_archE908ELNS1_3gpuE7ELNS1_3repE0EEENS1_44radix_sort_block_sort_config_static_selectorELNS0_4arch9wavefront6targetE0EEEvSF_, .Lfunc_end2289-_ZN7rocprim17ROCPRIM_400000_NS6detail17trampoline_kernelINS0_13kernel_configILj256ELj4ELj4294967295EEENS1_37radix_sort_block_sort_config_selectorItNS0_10empty_typeEEEZNS1_21radix_sort_block_sortIS4_Lb1EPKtPtPS6_SC_NS0_19identity_decomposerEEE10hipError_tT1_T2_T3_T4_jRjT5_jjP12ihipStream_tbEUlT_E_NS1_11comp_targetILNS1_3genE3ELNS1_11target_archE908ELNS1_3gpuE7ELNS1_3repE0EEENS1_44radix_sort_block_sort_config_static_selectorELNS0_4arch9wavefront6targetE0EEEvSF_
                                        ; -- End function
	.set _ZN7rocprim17ROCPRIM_400000_NS6detail17trampoline_kernelINS0_13kernel_configILj256ELj4ELj4294967295EEENS1_37radix_sort_block_sort_config_selectorItNS0_10empty_typeEEEZNS1_21radix_sort_block_sortIS4_Lb1EPKtPtPS6_SC_NS0_19identity_decomposerEEE10hipError_tT1_T2_T3_T4_jRjT5_jjP12ihipStream_tbEUlT_E_NS1_11comp_targetILNS1_3genE3ELNS1_11target_archE908ELNS1_3gpuE7ELNS1_3repE0EEENS1_44radix_sort_block_sort_config_static_selectorELNS0_4arch9wavefront6targetE0EEEvSF_.num_vgpr, 0
	.set _ZN7rocprim17ROCPRIM_400000_NS6detail17trampoline_kernelINS0_13kernel_configILj256ELj4ELj4294967295EEENS1_37radix_sort_block_sort_config_selectorItNS0_10empty_typeEEEZNS1_21radix_sort_block_sortIS4_Lb1EPKtPtPS6_SC_NS0_19identity_decomposerEEE10hipError_tT1_T2_T3_T4_jRjT5_jjP12ihipStream_tbEUlT_E_NS1_11comp_targetILNS1_3genE3ELNS1_11target_archE908ELNS1_3gpuE7ELNS1_3repE0EEENS1_44radix_sort_block_sort_config_static_selectorELNS0_4arch9wavefront6targetE0EEEvSF_.num_agpr, 0
	.set _ZN7rocprim17ROCPRIM_400000_NS6detail17trampoline_kernelINS0_13kernel_configILj256ELj4ELj4294967295EEENS1_37radix_sort_block_sort_config_selectorItNS0_10empty_typeEEEZNS1_21radix_sort_block_sortIS4_Lb1EPKtPtPS6_SC_NS0_19identity_decomposerEEE10hipError_tT1_T2_T3_T4_jRjT5_jjP12ihipStream_tbEUlT_E_NS1_11comp_targetILNS1_3genE3ELNS1_11target_archE908ELNS1_3gpuE7ELNS1_3repE0EEENS1_44radix_sort_block_sort_config_static_selectorELNS0_4arch9wavefront6targetE0EEEvSF_.numbered_sgpr, 0
	.set _ZN7rocprim17ROCPRIM_400000_NS6detail17trampoline_kernelINS0_13kernel_configILj256ELj4ELj4294967295EEENS1_37radix_sort_block_sort_config_selectorItNS0_10empty_typeEEEZNS1_21radix_sort_block_sortIS4_Lb1EPKtPtPS6_SC_NS0_19identity_decomposerEEE10hipError_tT1_T2_T3_T4_jRjT5_jjP12ihipStream_tbEUlT_E_NS1_11comp_targetILNS1_3genE3ELNS1_11target_archE908ELNS1_3gpuE7ELNS1_3repE0EEENS1_44radix_sort_block_sort_config_static_selectorELNS0_4arch9wavefront6targetE0EEEvSF_.num_named_barrier, 0
	.set _ZN7rocprim17ROCPRIM_400000_NS6detail17trampoline_kernelINS0_13kernel_configILj256ELj4ELj4294967295EEENS1_37radix_sort_block_sort_config_selectorItNS0_10empty_typeEEEZNS1_21radix_sort_block_sortIS4_Lb1EPKtPtPS6_SC_NS0_19identity_decomposerEEE10hipError_tT1_T2_T3_T4_jRjT5_jjP12ihipStream_tbEUlT_E_NS1_11comp_targetILNS1_3genE3ELNS1_11target_archE908ELNS1_3gpuE7ELNS1_3repE0EEENS1_44radix_sort_block_sort_config_static_selectorELNS0_4arch9wavefront6targetE0EEEvSF_.private_seg_size, 0
	.set _ZN7rocprim17ROCPRIM_400000_NS6detail17trampoline_kernelINS0_13kernel_configILj256ELj4ELj4294967295EEENS1_37radix_sort_block_sort_config_selectorItNS0_10empty_typeEEEZNS1_21radix_sort_block_sortIS4_Lb1EPKtPtPS6_SC_NS0_19identity_decomposerEEE10hipError_tT1_T2_T3_T4_jRjT5_jjP12ihipStream_tbEUlT_E_NS1_11comp_targetILNS1_3genE3ELNS1_11target_archE908ELNS1_3gpuE7ELNS1_3repE0EEENS1_44radix_sort_block_sort_config_static_selectorELNS0_4arch9wavefront6targetE0EEEvSF_.uses_vcc, 0
	.set _ZN7rocprim17ROCPRIM_400000_NS6detail17trampoline_kernelINS0_13kernel_configILj256ELj4ELj4294967295EEENS1_37radix_sort_block_sort_config_selectorItNS0_10empty_typeEEEZNS1_21radix_sort_block_sortIS4_Lb1EPKtPtPS6_SC_NS0_19identity_decomposerEEE10hipError_tT1_T2_T3_T4_jRjT5_jjP12ihipStream_tbEUlT_E_NS1_11comp_targetILNS1_3genE3ELNS1_11target_archE908ELNS1_3gpuE7ELNS1_3repE0EEENS1_44radix_sort_block_sort_config_static_selectorELNS0_4arch9wavefront6targetE0EEEvSF_.uses_flat_scratch, 0
	.set _ZN7rocprim17ROCPRIM_400000_NS6detail17trampoline_kernelINS0_13kernel_configILj256ELj4ELj4294967295EEENS1_37radix_sort_block_sort_config_selectorItNS0_10empty_typeEEEZNS1_21radix_sort_block_sortIS4_Lb1EPKtPtPS6_SC_NS0_19identity_decomposerEEE10hipError_tT1_T2_T3_T4_jRjT5_jjP12ihipStream_tbEUlT_E_NS1_11comp_targetILNS1_3genE3ELNS1_11target_archE908ELNS1_3gpuE7ELNS1_3repE0EEENS1_44radix_sort_block_sort_config_static_selectorELNS0_4arch9wavefront6targetE0EEEvSF_.has_dyn_sized_stack, 0
	.set _ZN7rocprim17ROCPRIM_400000_NS6detail17trampoline_kernelINS0_13kernel_configILj256ELj4ELj4294967295EEENS1_37radix_sort_block_sort_config_selectorItNS0_10empty_typeEEEZNS1_21radix_sort_block_sortIS4_Lb1EPKtPtPS6_SC_NS0_19identity_decomposerEEE10hipError_tT1_T2_T3_T4_jRjT5_jjP12ihipStream_tbEUlT_E_NS1_11comp_targetILNS1_3genE3ELNS1_11target_archE908ELNS1_3gpuE7ELNS1_3repE0EEENS1_44radix_sort_block_sort_config_static_selectorELNS0_4arch9wavefront6targetE0EEEvSF_.has_recursion, 0
	.set _ZN7rocprim17ROCPRIM_400000_NS6detail17trampoline_kernelINS0_13kernel_configILj256ELj4ELj4294967295EEENS1_37radix_sort_block_sort_config_selectorItNS0_10empty_typeEEEZNS1_21radix_sort_block_sortIS4_Lb1EPKtPtPS6_SC_NS0_19identity_decomposerEEE10hipError_tT1_T2_T3_T4_jRjT5_jjP12ihipStream_tbEUlT_E_NS1_11comp_targetILNS1_3genE3ELNS1_11target_archE908ELNS1_3gpuE7ELNS1_3repE0EEENS1_44radix_sort_block_sort_config_static_selectorELNS0_4arch9wavefront6targetE0EEEvSF_.has_indirect_call, 0
	.section	.AMDGPU.csdata,"",@progbits
; Kernel info:
; codeLenInByte = 0
; TotalNumSgprs: 0
; NumVgprs: 0
; ScratchSize: 0
; MemoryBound: 0
; FloatMode: 240
; IeeeMode: 1
; LDSByteSize: 0 bytes/workgroup (compile time only)
; SGPRBlocks: 0
; VGPRBlocks: 0
; NumSGPRsForWavesPerEU: 1
; NumVGPRsForWavesPerEU: 1
; NamedBarCnt: 0
; Occupancy: 16
; WaveLimiterHint : 0
; COMPUTE_PGM_RSRC2:SCRATCH_EN: 0
; COMPUTE_PGM_RSRC2:USER_SGPR: 2
; COMPUTE_PGM_RSRC2:TRAP_HANDLER: 0
; COMPUTE_PGM_RSRC2:TGID_X_EN: 1
; COMPUTE_PGM_RSRC2:TGID_Y_EN: 0
; COMPUTE_PGM_RSRC2:TGID_Z_EN: 0
; COMPUTE_PGM_RSRC2:TIDIG_COMP_CNT: 0
	.section	.text._ZN7rocprim17ROCPRIM_400000_NS6detail17trampoline_kernelINS0_13kernel_configILj256ELj4ELj4294967295EEENS1_37radix_sort_block_sort_config_selectorItNS0_10empty_typeEEEZNS1_21radix_sort_block_sortIS4_Lb1EPKtPtPS6_SC_NS0_19identity_decomposerEEE10hipError_tT1_T2_T3_T4_jRjT5_jjP12ihipStream_tbEUlT_E_NS1_11comp_targetILNS1_3genE2ELNS1_11target_archE906ELNS1_3gpuE6ELNS1_3repE0EEENS1_44radix_sort_block_sort_config_static_selectorELNS0_4arch9wavefront6targetE0EEEvSF_,"axG",@progbits,_ZN7rocprim17ROCPRIM_400000_NS6detail17trampoline_kernelINS0_13kernel_configILj256ELj4ELj4294967295EEENS1_37radix_sort_block_sort_config_selectorItNS0_10empty_typeEEEZNS1_21radix_sort_block_sortIS4_Lb1EPKtPtPS6_SC_NS0_19identity_decomposerEEE10hipError_tT1_T2_T3_T4_jRjT5_jjP12ihipStream_tbEUlT_E_NS1_11comp_targetILNS1_3genE2ELNS1_11target_archE906ELNS1_3gpuE6ELNS1_3repE0EEENS1_44radix_sort_block_sort_config_static_selectorELNS0_4arch9wavefront6targetE0EEEvSF_,comdat
	.protected	_ZN7rocprim17ROCPRIM_400000_NS6detail17trampoline_kernelINS0_13kernel_configILj256ELj4ELj4294967295EEENS1_37radix_sort_block_sort_config_selectorItNS0_10empty_typeEEEZNS1_21radix_sort_block_sortIS4_Lb1EPKtPtPS6_SC_NS0_19identity_decomposerEEE10hipError_tT1_T2_T3_T4_jRjT5_jjP12ihipStream_tbEUlT_E_NS1_11comp_targetILNS1_3genE2ELNS1_11target_archE906ELNS1_3gpuE6ELNS1_3repE0EEENS1_44radix_sort_block_sort_config_static_selectorELNS0_4arch9wavefront6targetE0EEEvSF_ ; -- Begin function _ZN7rocprim17ROCPRIM_400000_NS6detail17trampoline_kernelINS0_13kernel_configILj256ELj4ELj4294967295EEENS1_37radix_sort_block_sort_config_selectorItNS0_10empty_typeEEEZNS1_21radix_sort_block_sortIS4_Lb1EPKtPtPS6_SC_NS0_19identity_decomposerEEE10hipError_tT1_T2_T3_T4_jRjT5_jjP12ihipStream_tbEUlT_E_NS1_11comp_targetILNS1_3genE2ELNS1_11target_archE906ELNS1_3gpuE6ELNS1_3repE0EEENS1_44radix_sort_block_sort_config_static_selectorELNS0_4arch9wavefront6targetE0EEEvSF_
	.globl	_ZN7rocprim17ROCPRIM_400000_NS6detail17trampoline_kernelINS0_13kernel_configILj256ELj4ELj4294967295EEENS1_37radix_sort_block_sort_config_selectorItNS0_10empty_typeEEEZNS1_21radix_sort_block_sortIS4_Lb1EPKtPtPS6_SC_NS0_19identity_decomposerEEE10hipError_tT1_T2_T3_T4_jRjT5_jjP12ihipStream_tbEUlT_E_NS1_11comp_targetILNS1_3genE2ELNS1_11target_archE906ELNS1_3gpuE6ELNS1_3repE0EEENS1_44radix_sort_block_sort_config_static_selectorELNS0_4arch9wavefront6targetE0EEEvSF_
	.p2align	8
	.type	_ZN7rocprim17ROCPRIM_400000_NS6detail17trampoline_kernelINS0_13kernel_configILj256ELj4ELj4294967295EEENS1_37radix_sort_block_sort_config_selectorItNS0_10empty_typeEEEZNS1_21radix_sort_block_sortIS4_Lb1EPKtPtPS6_SC_NS0_19identity_decomposerEEE10hipError_tT1_T2_T3_T4_jRjT5_jjP12ihipStream_tbEUlT_E_NS1_11comp_targetILNS1_3genE2ELNS1_11target_archE906ELNS1_3gpuE6ELNS1_3repE0EEENS1_44radix_sort_block_sort_config_static_selectorELNS0_4arch9wavefront6targetE0EEEvSF_,@function
_ZN7rocprim17ROCPRIM_400000_NS6detail17trampoline_kernelINS0_13kernel_configILj256ELj4ELj4294967295EEENS1_37radix_sort_block_sort_config_selectorItNS0_10empty_typeEEEZNS1_21radix_sort_block_sortIS4_Lb1EPKtPtPS6_SC_NS0_19identity_decomposerEEE10hipError_tT1_T2_T3_T4_jRjT5_jjP12ihipStream_tbEUlT_E_NS1_11comp_targetILNS1_3genE2ELNS1_11target_archE906ELNS1_3gpuE6ELNS1_3repE0EEENS1_44radix_sort_block_sort_config_static_selectorELNS0_4arch9wavefront6targetE0EEEvSF_: ; @_ZN7rocprim17ROCPRIM_400000_NS6detail17trampoline_kernelINS0_13kernel_configILj256ELj4ELj4294967295EEENS1_37radix_sort_block_sort_config_selectorItNS0_10empty_typeEEEZNS1_21radix_sort_block_sortIS4_Lb1EPKtPtPS6_SC_NS0_19identity_decomposerEEE10hipError_tT1_T2_T3_T4_jRjT5_jjP12ihipStream_tbEUlT_E_NS1_11comp_targetILNS1_3genE2ELNS1_11target_archE906ELNS1_3gpuE6ELNS1_3repE0EEENS1_44radix_sort_block_sort_config_static_selectorELNS0_4arch9wavefront6targetE0EEEvSF_
; %bb.0:
	.section	.rodata,"a",@progbits
	.p2align	6, 0x0
	.amdhsa_kernel _ZN7rocprim17ROCPRIM_400000_NS6detail17trampoline_kernelINS0_13kernel_configILj256ELj4ELj4294967295EEENS1_37radix_sort_block_sort_config_selectorItNS0_10empty_typeEEEZNS1_21radix_sort_block_sortIS4_Lb1EPKtPtPS6_SC_NS0_19identity_decomposerEEE10hipError_tT1_T2_T3_T4_jRjT5_jjP12ihipStream_tbEUlT_E_NS1_11comp_targetILNS1_3genE2ELNS1_11target_archE906ELNS1_3gpuE6ELNS1_3repE0EEENS1_44radix_sort_block_sort_config_static_selectorELNS0_4arch9wavefront6targetE0EEEvSF_
		.amdhsa_group_segment_fixed_size 0
		.amdhsa_private_segment_fixed_size 0
		.amdhsa_kernarg_size 48
		.amdhsa_user_sgpr_count 2
		.amdhsa_user_sgpr_dispatch_ptr 0
		.amdhsa_user_sgpr_queue_ptr 0
		.amdhsa_user_sgpr_kernarg_segment_ptr 1
		.amdhsa_user_sgpr_dispatch_id 0
		.amdhsa_user_sgpr_kernarg_preload_length 0
		.amdhsa_user_sgpr_kernarg_preload_offset 0
		.amdhsa_user_sgpr_private_segment_size 0
		.amdhsa_wavefront_size32 1
		.amdhsa_uses_dynamic_stack 0
		.amdhsa_enable_private_segment 0
		.amdhsa_system_sgpr_workgroup_id_x 1
		.amdhsa_system_sgpr_workgroup_id_y 0
		.amdhsa_system_sgpr_workgroup_id_z 0
		.amdhsa_system_sgpr_workgroup_info 0
		.amdhsa_system_vgpr_workitem_id 0
		.amdhsa_next_free_vgpr 1
		.amdhsa_next_free_sgpr 1
		.amdhsa_named_barrier_count 0
		.amdhsa_reserve_vcc 0
		.amdhsa_float_round_mode_32 0
		.amdhsa_float_round_mode_16_64 0
		.amdhsa_float_denorm_mode_32 3
		.amdhsa_float_denorm_mode_16_64 3
		.amdhsa_fp16_overflow 0
		.amdhsa_memory_ordered 1
		.amdhsa_forward_progress 1
		.amdhsa_inst_pref_size 0
		.amdhsa_round_robin_scheduling 0
		.amdhsa_exception_fp_ieee_invalid_op 0
		.amdhsa_exception_fp_denorm_src 0
		.amdhsa_exception_fp_ieee_div_zero 0
		.amdhsa_exception_fp_ieee_overflow 0
		.amdhsa_exception_fp_ieee_underflow 0
		.amdhsa_exception_fp_ieee_inexact 0
		.amdhsa_exception_int_div_zero 0
	.end_amdhsa_kernel
	.section	.text._ZN7rocprim17ROCPRIM_400000_NS6detail17trampoline_kernelINS0_13kernel_configILj256ELj4ELj4294967295EEENS1_37radix_sort_block_sort_config_selectorItNS0_10empty_typeEEEZNS1_21radix_sort_block_sortIS4_Lb1EPKtPtPS6_SC_NS0_19identity_decomposerEEE10hipError_tT1_T2_T3_T4_jRjT5_jjP12ihipStream_tbEUlT_E_NS1_11comp_targetILNS1_3genE2ELNS1_11target_archE906ELNS1_3gpuE6ELNS1_3repE0EEENS1_44radix_sort_block_sort_config_static_selectorELNS0_4arch9wavefront6targetE0EEEvSF_,"axG",@progbits,_ZN7rocprim17ROCPRIM_400000_NS6detail17trampoline_kernelINS0_13kernel_configILj256ELj4ELj4294967295EEENS1_37radix_sort_block_sort_config_selectorItNS0_10empty_typeEEEZNS1_21radix_sort_block_sortIS4_Lb1EPKtPtPS6_SC_NS0_19identity_decomposerEEE10hipError_tT1_T2_T3_T4_jRjT5_jjP12ihipStream_tbEUlT_E_NS1_11comp_targetILNS1_3genE2ELNS1_11target_archE906ELNS1_3gpuE6ELNS1_3repE0EEENS1_44radix_sort_block_sort_config_static_selectorELNS0_4arch9wavefront6targetE0EEEvSF_,comdat
.Lfunc_end2290:
	.size	_ZN7rocprim17ROCPRIM_400000_NS6detail17trampoline_kernelINS0_13kernel_configILj256ELj4ELj4294967295EEENS1_37radix_sort_block_sort_config_selectorItNS0_10empty_typeEEEZNS1_21radix_sort_block_sortIS4_Lb1EPKtPtPS6_SC_NS0_19identity_decomposerEEE10hipError_tT1_T2_T3_T4_jRjT5_jjP12ihipStream_tbEUlT_E_NS1_11comp_targetILNS1_3genE2ELNS1_11target_archE906ELNS1_3gpuE6ELNS1_3repE0EEENS1_44radix_sort_block_sort_config_static_selectorELNS0_4arch9wavefront6targetE0EEEvSF_, .Lfunc_end2290-_ZN7rocprim17ROCPRIM_400000_NS6detail17trampoline_kernelINS0_13kernel_configILj256ELj4ELj4294967295EEENS1_37radix_sort_block_sort_config_selectorItNS0_10empty_typeEEEZNS1_21radix_sort_block_sortIS4_Lb1EPKtPtPS6_SC_NS0_19identity_decomposerEEE10hipError_tT1_T2_T3_T4_jRjT5_jjP12ihipStream_tbEUlT_E_NS1_11comp_targetILNS1_3genE2ELNS1_11target_archE906ELNS1_3gpuE6ELNS1_3repE0EEENS1_44radix_sort_block_sort_config_static_selectorELNS0_4arch9wavefront6targetE0EEEvSF_
                                        ; -- End function
	.set _ZN7rocprim17ROCPRIM_400000_NS6detail17trampoline_kernelINS0_13kernel_configILj256ELj4ELj4294967295EEENS1_37radix_sort_block_sort_config_selectorItNS0_10empty_typeEEEZNS1_21radix_sort_block_sortIS4_Lb1EPKtPtPS6_SC_NS0_19identity_decomposerEEE10hipError_tT1_T2_T3_T4_jRjT5_jjP12ihipStream_tbEUlT_E_NS1_11comp_targetILNS1_3genE2ELNS1_11target_archE906ELNS1_3gpuE6ELNS1_3repE0EEENS1_44radix_sort_block_sort_config_static_selectorELNS0_4arch9wavefront6targetE0EEEvSF_.num_vgpr, 0
	.set _ZN7rocprim17ROCPRIM_400000_NS6detail17trampoline_kernelINS0_13kernel_configILj256ELj4ELj4294967295EEENS1_37radix_sort_block_sort_config_selectorItNS0_10empty_typeEEEZNS1_21radix_sort_block_sortIS4_Lb1EPKtPtPS6_SC_NS0_19identity_decomposerEEE10hipError_tT1_T2_T3_T4_jRjT5_jjP12ihipStream_tbEUlT_E_NS1_11comp_targetILNS1_3genE2ELNS1_11target_archE906ELNS1_3gpuE6ELNS1_3repE0EEENS1_44radix_sort_block_sort_config_static_selectorELNS0_4arch9wavefront6targetE0EEEvSF_.num_agpr, 0
	.set _ZN7rocprim17ROCPRIM_400000_NS6detail17trampoline_kernelINS0_13kernel_configILj256ELj4ELj4294967295EEENS1_37radix_sort_block_sort_config_selectorItNS0_10empty_typeEEEZNS1_21radix_sort_block_sortIS4_Lb1EPKtPtPS6_SC_NS0_19identity_decomposerEEE10hipError_tT1_T2_T3_T4_jRjT5_jjP12ihipStream_tbEUlT_E_NS1_11comp_targetILNS1_3genE2ELNS1_11target_archE906ELNS1_3gpuE6ELNS1_3repE0EEENS1_44radix_sort_block_sort_config_static_selectorELNS0_4arch9wavefront6targetE0EEEvSF_.numbered_sgpr, 0
	.set _ZN7rocprim17ROCPRIM_400000_NS6detail17trampoline_kernelINS0_13kernel_configILj256ELj4ELj4294967295EEENS1_37radix_sort_block_sort_config_selectorItNS0_10empty_typeEEEZNS1_21radix_sort_block_sortIS4_Lb1EPKtPtPS6_SC_NS0_19identity_decomposerEEE10hipError_tT1_T2_T3_T4_jRjT5_jjP12ihipStream_tbEUlT_E_NS1_11comp_targetILNS1_3genE2ELNS1_11target_archE906ELNS1_3gpuE6ELNS1_3repE0EEENS1_44radix_sort_block_sort_config_static_selectorELNS0_4arch9wavefront6targetE0EEEvSF_.num_named_barrier, 0
	.set _ZN7rocprim17ROCPRIM_400000_NS6detail17trampoline_kernelINS0_13kernel_configILj256ELj4ELj4294967295EEENS1_37radix_sort_block_sort_config_selectorItNS0_10empty_typeEEEZNS1_21radix_sort_block_sortIS4_Lb1EPKtPtPS6_SC_NS0_19identity_decomposerEEE10hipError_tT1_T2_T3_T4_jRjT5_jjP12ihipStream_tbEUlT_E_NS1_11comp_targetILNS1_3genE2ELNS1_11target_archE906ELNS1_3gpuE6ELNS1_3repE0EEENS1_44radix_sort_block_sort_config_static_selectorELNS0_4arch9wavefront6targetE0EEEvSF_.private_seg_size, 0
	.set _ZN7rocprim17ROCPRIM_400000_NS6detail17trampoline_kernelINS0_13kernel_configILj256ELj4ELj4294967295EEENS1_37radix_sort_block_sort_config_selectorItNS0_10empty_typeEEEZNS1_21radix_sort_block_sortIS4_Lb1EPKtPtPS6_SC_NS0_19identity_decomposerEEE10hipError_tT1_T2_T3_T4_jRjT5_jjP12ihipStream_tbEUlT_E_NS1_11comp_targetILNS1_3genE2ELNS1_11target_archE906ELNS1_3gpuE6ELNS1_3repE0EEENS1_44radix_sort_block_sort_config_static_selectorELNS0_4arch9wavefront6targetE0EEEvSF_.uses_vcc, 0
	.set _ZN7rocprim17ROCPRIM_400000_NS6detail17trampoline_kernelINS0_13kernel_configILj256ELj4ELj4294967295EEENS1_37radix_sort_block_sort_config_selectorItNS0_10empty_typeEEEZNS1_21radix_sort_block_sortIS4_Lb1EPKtPtPS6_SC_NS0_19identity_decomposerEEE10hipError_tT1_T2_T3_T4_jRjT5_jjP12ihipStream_tbEUlT_E_NS1_11comp_targetILNS1_3genE2ELNS1_11target_archE906ELNS1_3gpuE6ELNS1_3repE0EEENS1_44radix_sort_block_sort_config_static_selectorELNS0_4arch9wavefront6targetE0EEEvSF_.uses_flat_scratch, 0
	.set _ZN7rocprim17ROCPRIM_400000_NS6detail17trampoline_kernelINS0_13kernel_configILj256ELj4ELj4294967295EEENS1_37radix_sort_block_sort_config_selectorItNS0_10empty_typeEEEZNS1_21radix_sort_block_sortIS4_Lb1EPKtPtPS6_SC_NS0_19identity_decomposerEEE10hipError_tT1_T2_T3_T4_jRjT5_jjP12ihipStream_tbEUlT_E_NS1_11comp_targetILNS1_3genE2ELNS1_11target_archE906ELNS1_3gpuE6ELNS1_3repE0EEENS1_44radix_sort_block_sort_config_static_selectorELNS0_4arch9wavefront6targetE0EEEvSF_.has_dyn_sized_stack, 0
	.set _ZN7rocprim17ROCPRIM_400000_NS6detail17trampoline_kernelINS0_13kernel_configILj256ELj4ELj4294967295EEENS1_37radix_sort_block_sort_config_selectorItNS0_10empty_typeEEEZNS1_21radix_sort_block_sortIS4_Lb1EPKtPtPS6_SC_NS0_19identity_decomposerEEE10hipError_tT1_T2_T3_T4_jRjT5_jjP12ihipStream_tbEUlT_E_NS1_11comp_targetILNS1_3genE2ELNS1_11target_archE906ELNS1_3gpuE6ELNS1_3repE0EEENS1_44radix_sort_block_sort_config_static_selectorELNS0_4arch9wavefront6targetE0EEEvSF_.has_recursion, 0
	.set _ZN7rocprim17ROCPRIM_400000_NS6detail17trampoline_kernelINS0_13kernel_configILj256ELj4ELj4294967295EEENS1_37radix_sort_block_sort_config_selectorItNS0_10empty_typeEEEZNS1_21radix_sort_block_sortIS4_Lb1EPKtPtPS6_SC_NS0_19identity_decomposerEEE10hipError_tT1_T2_T3_T4_jRjT5_jjP12ihipStream_tbEUlT_E_NS1_11comp_targetILNS1_3genE2ELNS1_11target_archE906ELNS1_3gpuE6ELNS1_3repE0EEENS1_44radix_sort_block_sort_config_static_selectorELNS0_4arch9wavefront6targetE0EEEvSF_.has_indirect_call, 0
	.section	.AMDGPU.csdata,"",@progbits
; Kernel info:
; codeLenInByte = 0
; TotalNumSgprs: 0
; NumVgprs: 0
; ScratchSize: 0
; MemoryBound: 0
; FloatMode: 240
; IeeeMode: 1
; LDSByteSize: 0 bytes/workgroup (compile time only)
; SGPRBlocks: 0
; VGPRBlocks: 0
; NumSGPRsForWavesPerEU: 1
; NumVGPRsForWavesPerEU: 1
; NamedBarCnt: 0
; Occupancy: 16
; WaveLimiterHint : 0
; COMPUTE_PGM_RSRC2:SCRATCH_EN: 0
; COMPUTE_PGM_RSRC2:USER_SGPR: 2
; COMPUTE_PGM_RSRC2:TRAP_HANDLER: 0
; COMPUTE_PGM_RSRC2:TGID_X_EN: 1
; COMPUTE_PGM_RSRC2:TGID_Y_EN: 0
; COMPUTE_PGM_RSRC2:TGID_Z_EN: 0
; COMPUTE_PGM_RSRC2:TIDIG_COMP_CNT: 0
	.section	.text._ZN7rocprim17ROCPRIM_400000_NS6detail17trampoline_kernelINS0_13kernel_configILj256ELj4ELj4294967295EEENS1_37radix_sort_block_sort_config_selectorItNS0_10empty_typeEEEZNS1_21radix_sort_block_sortIS4_Lb1EPKtPtPS6_SC_NS0_19identity_decomposerEEE10hipError_tT1_T2_T3_T4_jRjT5_jjP12ihipStream_tbEUlT_E_NS1_11comp_targetILNS1_3genE10ELNS1_11target_archE1201ELNS1_3gpuE5ELNS1_3repE0EEENS1_44radix_sort_block_sort_config_static_selectorELNS0_4arch9wavefront6targetE0EEEvSF_,"axG",@progbits,_ZN7rocprim17ROCPRIM_400000_NS6detail17trampoline_kernelINS0_13kernel_configILj256ELj4ELj4294967295EEENS1_37radix_sort_block_sort_config_selectorItNS0_10empty_typeEEEZNS1_21radix_sort_block_sortIS4_Lb1EPKtPtPS6_SC_NS0_19identity_decomposerEEE10hipError_tT1_T2_T3_T4_jRjT5_jjP12ihipStream_tbEUlT_E_NS1_11comp_targetILNS1_3genE10ELNS1_11target_archE1201ELNS1_3gpuE5ELNS1_3repE0EEENS1_44radix_sort_block_sort_config_static_selectorELNS0_4arch9wavefront6targetE0EEEvSF_,comdat
	.protected	_ZN7rocprim17ROCPRIM_400000_NS6detail17trampoline_kernelINS0_13kernel_configILj256ELj4ELj4294967295EEENS1_37radix_sort_block_sort_config_selectorItNS0_10empty_typeEEEZNS1_21radix_sort_block_sortIS4_Lb1EPKtPtPS6_SC_NS0_19identity_decomposerEEE10hipError_tT1_T2_T3_T4_jRjT5_jjP12ihipStream_tbEUlT_E_NS1_11comp_targetILNS1_3genE10ELNS1_11target_archE1201ELNS1_3gpuE5ELNS1_3repE0EEENS1_44radix_sort_block_sort_config_static_selectorELNS0_4arch9wavefront6targetE0EEEvSF_ ; -- Begin function _ZN7rocprim17ROCPRIM_400000_NS6detail17trampoline_kernelINS0_13kernel_configILj256ELj4ELj4294967295EEENS1_37radix_sort_block_sort_config_selectorItNS0_10empty_typeEEEZNS1_21radix_sort_block_sortIS4_Lb1EPKtPtPS6_SC_NS0_19identity_decomposerEEE10hipError_tT1_T2_T3_T4_jRjT5_jjP12ihipStream_tbEUlT_E_NS1_11comp_targetILNS1_3genE10ELNS1_11target_archE1201ELNS1_3gpuE5ELNS1_3repE0EEENS1_44radix_sort_block_sort_config_static_selectorELNS0_4arch9wavefront6targetE0EEEvSF_
	.globl	_ZN7rocprim17ROCPRIM_400000_NS6detail17trampoline_kernelINS0_13kernel_configILj256ELj4ELj4294967295EEENS1_37radix_sort_block_sort_config_selectorItNS0_10empty_typeEEEZNS1_21radix_sort_block_sortIS4_Lb1EPKtPtPS6_SC_NS0_19identity_decomposerEEE10hipError_tT1_T2_T3_T4_jRjT5_jjP12ihipStream_tbEUlT_E_NS1_11comp_targetILNS1_3genE10ELNS1_11target_archE1201ELNS1_3gpuE5ELNS1_3repE0EEENS1_44radix_sort_block_sort_config_static_selectorELNS0_4arch9wavefront6targetE0EEEvSF_
	.p2align	8
	.type	_ZN7rocprim17ROCPRIM_400000_NS6detail17trampoline_kernelINS0_13kernel_configILj256ELj4ELj4294967295EEENS1_37radix_sort_block_sort_config_selectorItNS0_10empty_typeEEEZNS1_21radix_sort_block_sortIS4_Lb1EPKtPtPS6_SC_NS0_19identity_decomposerEEE10hipError_tT1_T2_T3_T4_jRjT5_jjP12ihipStream_tbEUlT_E_NS1_11comp_targetILNS1_3genE10ELNS1_11target_archE1201ELNS1_3gpuE5ELNS1_3repE0EEENS1_44radix_sort_block_sort_config_static_selectorELNS0_4arch9wavefront6targetE0EEEvSF_,@function
_ZN7rocprim17ROCPRIM_400000_NS6detail17trampoline_kernelINS0_13kernel_configILj256ELj4ELj4294967295EEENS1_37radix_sort_block_sort_config_selectorItNS0_10empty_typeEEEZNS1_21radix_sort_block_sortIS4_Lb1EPKtPtPS6_SC_NS0_19identity_decomposerEEE10hipError_tT1_T2_T3_T4_jRjT5_jjP12ihipStream_tbEUlT_E_NS1_11comp_targetILNS1_3genE10ELNS1_11target_archE1201ELNS1_3gpuE5ELNS1_3repE0EEENS1_44radix_sort_block_sort_config_static_selectorELNS0_4arch9wavefront6targetE0EEEvSF_: ; @_ZN7rocprim17ROCPRIM_400000_NS6detail17trampoline_kernelINS0_13kernel_configILj256ELj4ELj4294967295EEENS1_37radix_sort_block_sort_config_selectorItNS0_10empty_typeEEEZNS1_21radix_sort_block_sortIS4_Lb1EPKtPtPS6_SC_NS0_19identity_decomposerEEE10hipError_tT1_T2_T3_T4_jRjT5_jjP12ihipStream_tbEUlT_E_NS1_11comp_targetILNS1_3genE10ELNS1_11target_archE1201ELNS1_3gpuE5ELNS1_3repE0EEENS1_44radix_sort_block_sort_config_static_selectorELNS0_4arch9wavefront6targetE0EEEvSF_
; %bb.0:
	.section	.rodata,"a",@progbits
	.p2align	6, 0x0
	.amdhsa_kernel _ZN7rocprim17ROCPRIM_400000_NS6detail17trampoline_kernelINS0_13kernel_configILj256ELj4ELj4294967295EEENS1_37radix_sort_block_sort_config_selectorItNS0_10empty_typeEEEZNS1_21radix_sort_block_sortIS4_Lb1EPKtPtPS6_SC_NS0_19identity_decomposerEEE10hipError_tT1_T2_T3_T4_jRjT5_jjP12ihipStream_tbEUlT_E_NS1_11comp_targetILNS1_3genE10ELNS1_11target_archE1201ELNS1_3gpuE5ELNS1_3repE0EEENS1_44radix_sort_block_sort_config_static_selectorELNS0_4arch9wavefront6targetE0EEEvSF_
		.amdhsa_group_segment_fixed_size 0
		.amdhsa_private_segment_fixed_size 0
		.amdhsa_kernarg_size 48
		.amdhsa_user_sgpr_count 2
		.amdhsa_user_sgpr_dispatch_ptr 0
		.amdhsa_user_sgpr_queue_ptr 0
		.amdhsa_user_sgpr_kernarg_segment_ptr 1
		.amdhsa_user_sgpr_dispatch_id 0
		.amdhsa_user_sgpr_kernarg_preload_length 0
		.amdhsa_user_sgpr_kernarg_preload_offset 0
		.amdhsa_user_sgpr_private_segment_size 0
		.amdhsa_wavefront_size32 1
		.amdhsa_uses_dynamic_stack 0
		.amdhsa_enable_private_segment 0
		.amdhsa_system_sgpr_workgroup_id_x 1
		.amdhsa_system_sgpr_workgroup_id_y 0
		.amdhsa_system_sgpr_workgroup_id_z 0
		.amdhsa_system_sgpr_workgroup_info 0
		.amdhsa_system_vgpr_workitem_id 0
		.amdhsa_next_free_vgpr 1
		.amdhsa_next_free_sgpr 1
		.amdhsa_named_barrier_count 0
		.amdhsa_reserve_vcc 0
		.amdhsa_float_round_mode_32 0
		.amdhsa_float_round_mode_16_64 0
		.amdhsa_float_denorm_mode_32 3
		.amdhsa_float_denorm_mode_16_64 3
		.amdhsa_fp16_overflow 0
		.amdhsa_memory_ordered 1
		.amdhsa_forward_progress 1
		.amdhsa_inst_pref_size 0
		.amdhsa_round_robin_scheduling 0
		.amdhsa_exception_fp_ieee_invalid_op 0
		.amdhsa_exception_fp_denorm_src 0
		.amdhsa_exception_fp_ieee_div_zero 0
		.amdhsa_exception_fp_ieee_overflow 0
		.amdhsa_exception_fp_ieee_underflow 0
		.amdhsa_exception_fp_ieee_inexact 0
		.amdhsa_exception_int_div_zero 0
	.end_amdhsa_kernel
	.section	.text._ZN7rocprim17ROCPRIM_400000_NS6detail17trampoline_kernelINS0_13kernel_configILj256ELj4ELj4294967295EEENS1_37radix_sort_block_sort_config_selectorItNS0_10empty_typeEEEZNS1_21radix_sort_block_sortIS4_Lb1EPKtPtPS6_SC_NS0_19identity_decomposerEEE10hipError_tT1_T2_T3_T4_jRjT5_jjP12ihipStream_tbEUlT_E_NS1_11comp_targetILNS1_3genE10ELNS1_11target_archE1201ELNS1_3gpuE5ELNS1_3repE0EEENS1_44radix_sort_block_sort_config_static_selectorELNS0_4arch9wavefront6targetE0EEEvSF_,"axG",@progbits,_ZN7rocprim17ROCPRIM_400000_NS6detail17trampoline_kernelINS0_13kernel_configILj256ELj4ELj4294967295EEENS1_37radix_sort_block_sort_config_selectorItNS0_10empty_typeEEEZNS1_21radix_sort_block_sortIS4_Lb1EPKtPtPS6_SC_NS0_19identity_decomposerEEE10hipError_tT1_T2_T3_T4_jRjT5_jjP12ihipStream_tbEUlT_E_NS1_11comp_targetILNS1_3genE10ELNS1_11target_archE1201ELNS1_3gpuE5ELNS1_3repE0EEENS1_44radix_sort_block_sort_config_static_selectorELNS0_4arch9wavefront6targetE0EEEvSF_,comdat
.Lfunc_end2291:
	.size	_ZN7rocprim17ROCPRIM_400000_NS6detail17trampoline_kernelINS0_13kernel_configILj256ELj4ELj4294967295EEENS1_37radix_sort_block_sort_config_selectorItNS0_10empty_typeEEEZNS1_21radix_sort_block_sortIS4_Lb1EPKtPtPS6_SC_NS0_19identity_decomposerEEE10hipError_tT1_T2_T3_T4_jRjT5_jjP12ihipStream_tbEUlT_E_NS1_11comp_targetILNS1_3genE10ELNS1_11target_archE1201ELNS1_3gpuE5ELNS1_3repE0EEENS1_44radix_sort_block_sort_config_static_selectorELNS0_4arch9wavefront6targetE0EEEvSF_, .Lfunc_end2291-_ZN7rocprim17ROCPRIM_400000_NS6detail17trampoline_kernelINS0_13kernel_configILj256ELj4ELj4294967295EEENS1_37radix_sort_block_sort_config_selectorItNS0_10empty_typeEEEZNS1_21radix_sort_block_sortIS4_Lb1EPKtPtPS6_SC_NS0_19identity_decomposerEEE10hipError_tT1_T2_T3_T4_jRjT5_jjP12ihipStream_tbEUlT_E_NS1_11comp_targetILNS1_3genE10ELNS1_11target_archE1201ELNS1_3gpuE5ELNS1_3repE0EEENS1_44radix_sort_block_sort_config_static_selectorELNS0_4arch9wavefront6targetE0EEEvSF_
                                        ; -- End function
	.set _ZN7rocprim17ROCPRIM_400000_NS6detail17trampoline_kernelINS0_13kernel_configILj256ELj4ELj4294967295EEENS1_37radix_sort_block_sort_config_selectorItNS0_10empty_typeEEEZNS1_21radix_sort_block_sortIS4_Lb1EPKtPtPS6_SC_NS0_19identity_decomposerEEE10hipError_tT1_T2_T3_T4_jRjT5_jjP12ihipStream_tbEUlT_E_NS1_11comp_targetILNS1_3genE10ELNS1_11target_archE1201ELNS1_3gpuE5ELNS1_3repE0EEENS1_44radix_sort_block_sort_config_static_selectorELNS0_4arch9wavefront6targetE0EEEvSF_.num_vgpr, 0
	.set _ZN7rocprim17ROCPRIM_400000_NS6detail17trampoline_kernelINS0_13kernel_configILj256ELj4ELj4294967295EEENS1_37radix_sort_block_sort_config_selectorItNS0_10empty_typeEEEZNS1_21radix_sort_block_sortIS4_Lb1EPKtPtPS6_SC_NS0_19identity_decomposerEEE10hipError_tT1_T2_T3_T4_jRjT5_jjP12ihipStream_tbEUlT_E_NS1_11comp_targetILNS1_3genE10ELNS1_11target_archE1201ELNS1_3gpuE5ELNS1_3repE0EEENS1_44radix_sort_block_sort_config_static_selectorELNS0_4arch9wavefront6targetE0EEEvSF_.num_agpr, 0
	.set _ZN7rocprim17ROCPRIM_400000_NS6detail17trampoline_kernelINS0_13kernel_configILj256ELj4ELj4294967295EEENS1_37radix_sort_block_sort_config_selectorItNS0_10empty_typeEEEZNS1_21radix_sort_block_sortIS4_Lb1EPKtPtPS6_SC_NS0_19identity_decomposerEEE10hipError_tT1_T2_T3_T4_jRjT5_jjP12ihipStream_tbEUlT_E_NS1_11comp_targetILNS1_3genE10ELNS1_11target_archE1201ELNS1_3gpuE5ELNS1_3repE0EEENS1_44radix_sort_block_sort_config_static_selectorELNS0_4arch9wavefront6targetE0EEEvSF_.numbered_sgpr, 0
	.set _ZN7rocprim17ROCPRIM_400000_NS6detail17trampoline_kernelINS0_13kernel_configILj256ELj4ELj4294967295EEENS1_37radix_sort_block_sort_config_selectorItNS0_10empty_typeEEEZNS1_21radix_sort_block_sortIS4_Lb1EPKtPtPS6_SC_NS0_19identity_decomposerEEE10hipError_tT1_T2_T3_T4_jRjT5_jjP12ihipStream_tbEUlT_E_NS1_11comp_targetILNS1_3genE10ELNS1_11target_archE1201ELNS1_3gpuE5ELNS1_3repE0EEENS1_44radix_sort_block_sort_config_static_selectorELNS0_4arch9wavefront6targetE0EEEvSF_.num_named_barrier, 0
	.set _ZN7rocprim17ROCPRIM_400000_NS6detail17trampoline_kernelINS0_13kernel_configILj256ELj4ELj4294967295EEENS1_37radix_sort_block_sort_config_selectorItNS0_10empty_typeEEEZNS1_21radix_sort_block_sortIS4_Lb1EPKtPtPS6_SC_NS0_19identity_decomposerEEE10hipError_tT1_T2_T3_T4_jRjT5_jjP12ihipStream_tbEUlT_E_NS1_11comp_targetILNS1_3genE10ELNS1_11target_archE1201ELNS1_3gpuE5ELNS1_3repE0EEENS1_44radix_sort_block_sort_config_static_selectorELNS0_4arch9wavefront6targetE0EEEvSF_.private_seg_size, 0
	.set _ZN7rocprim17ROCPRIM_400000_NS6detail17trampoline_kernelINS0_13kernel_configILj256ELj4ELj4294967295EEENS1_37radix_sort_block_sort_config_selectorItNS0_10empty_typeEEEZNS1_21radix_sort_block_sortIS4_Lb1EPKtPtPS6_SC_NS0_19identity_decomposerEEE10hipError_tT1_T2_T3_T4_jRjT5_jjP12ihipStream_tbEUlT_E_NS1_11comp_targetILNS1_3genE10ELNS1_11target_archE1201ELNS1_3gpuE5ELNS1_3repE0EEENS1_44radix_sort_block_sort_config_static_selectorELNS0_4arch9wavefront6targetE0EEEvSF_.uses_vcc, 0
	.set _ZN7rocprim17ROCPRIM_400000_NS6detail17trampoline_kernelINS0_13kernel_configILj256ELj4ELj4294967295EEENS1_37radix_sort_block_sort_config_selectorItNS0_10empty_typeEEEZNS1_21radix_sort_block_sortIS4_Lb1EPKtPtPS6_SC_NS0_19identity_decomposerEEE10hipError_tT1_T2_T3_T4_jRjT5_jjP12ihipStream_tbEUlT_E_NS1_11comp_targetILNS1_3genE10ELNS1_11target_archE1201ELNS1_3gpuE5ELNS1_3repE0EEENS1_44radix_sort_block_sort_config_static_selectorELNS0_4arch9wavefront6targetE0EEEvSF_.uses_flat_scratch, 0
	.set _ZN7rocprim17ROCPRIM_400000_NS6detail17trampoline_kernelINS0_13kernel_configILj256ELj4ELj4294967295EEENS1_37radix_sort_block_sort_config_selectorItNS0_10empty_typeEEEZNS1_21radix_sort_block_sortIS4_Lb1EPKtPtPS6_SC_NS0_19identity_decomposerEEE10hipError_tT1_T2_T3_T4_jRjT5_jjP12ihipStream_tbEUlT_E_NS1_11comp_targetILNS1_3genE10ELNS1_11target_archE1201ELNS1_3gpuE5ELNS1_3repE0EEENS1_44radix_sort_block_sort_config_static_selectorELNS0_4arch9wavefront6targetE0EEEvSF_.has_dyn_sized_stack, 0
	.set _ZN7rocprim17ROCPRIM_400000_NS6detail17trampoline_kernelINS0_13kernel_configILj256ELj4ELj4294967295EEENS1_37radix_sort_block_sort_config_selectorItNS0_10empty_typeEEEZNS1_21radix_sort_block_sortIS4_Lb1EPKtPtPS6_SC_NS0_19identity_decomposerEEE10hipError_tT1_T2_T3_T4_jRjT5_jjP12ihipStream_tbEUlT_E_NS1_11comp_targetILNS1_3genE10ELNS1_11target_archE1201ELNS1_3gpuE5ELNS1_3repE0EEENS1_44radix_sort_block_sort_config_static_selectorELNS0_4arch9wavefront6targetE0EEEvSF_.has_recursion, 0
	.set _ZN7rocprim17ROCPRIM_400000_NS6detail17trampoline_kernelINS0_13kernel_configILj256ELj4ELj4294967295EEENS1_37radix_sort_block_sort_config_selectorItNS0_10empty_typeEEEZNS1_21radix_sort_block_sortIS4_Lb1EPKtPtPS6_SC_NS0_19identity_decomposerEEE10hipError_tT1_T2_T3_T4_jRjT5_jjP12ihipStream_tbEUlT_E_NS1_11comp_targetILNS1_3genE10ELNS1_11target_archE1201ELNS1_3gpuE5ELNS1_3repE0EEENS1_44radix_sort_block_sort_config_static_selectorELNS0_4arch9wavefront6targetE0EEEvSF_.has_indirect_call, 0
	.section	.AMDGPU.csdata,"",@progbits
; Kernel info:
; codeLenInByte = 0
; TotalNumSgprs: 0
; NumVgprs: 0
; ScratchSize: 0
; MemoryBound: 0
; FloatMode: 240
; IeeeMode: 1
; LDSByteSize: 0 bytes/workgroup (compile time only)
; SGPRBlocks: 0
; VGPRBlocks: 0
; NumSGPRsForWavesPerEU: 1
; NumVGPRsForWavesPerEU: 1
; NamedBarCnt: 0
; Occupancy: 16
; WaveLimiterHint : 0
; COMPUTE_PGM_RSRC2:SCRATCH_EN: 0
; COMPUTE_PGM_RSRC2:USER_SGPR: 2
; COMPUTE_PGM_RSRC2:TRAP_HANDLER: 0
; COMPUTE_PGM_RSRC2:TGID_X_EN: 1
; COMPUTE_PGM_RSRC2:TGID_Y_EN: 0
; COMPUTE_PGM_RSRC2:TGID_Z_EN: 0
; COMPUTE_PGM_RSRC2:TIDIG_COMP_CNT: 0
	.section	.text._ZN7rocprim17ROCPRIM_400000_NS6detail17trampoline_kernelINS0_13kernel_configILj256ELj4ELj4294967295EEENS1_37radix_sort_block_sort_config_selectorItNS0_10empty_typeEEEZNS1_21radix_sort_block_sortIS4_Lb1EPKtPtPS6_SC_NS0_19identity_decomposerEEE10hipError_tT1_T2_T3_T4_jRjT5_jjP12ihipStream_tbEUlT_E_NS1_11comp_targetILNS1_3genE10ELNS1_11target_archE1200ELNS1_3gpuE4ELNS1_3repE0EEENS1_44radix_sort_block_sort_config_static_selectorELNS0_4arch9wavefront6targetE0EEEvSF_,"axG",@progbits,_ZN7rocprim17ROCPRIM_400000_NS6detail17trampoline_kernelINS0_13kernel_configILj256ELj4ELj4294967295EEENS1_37radix_sort_block_sort_config_selectorItNS0_10empty_typeEEEZNS1_21radix_sort_block_sortIS4_Lb1EPKtPtPS6_SC_NS0_19identity_decomposerEEE10hipError_tT1_T2_T3_T4_jRjT5_jjP12ihipStream_tbEUlT_E_NS1_11comp_targetILNS1_3genE10ELNS1_11target_archE1200ELNS1_3gpuE4ELNS1_3repE0EEENS1_44radix_sort_block_sort_config_static_selectorELNS0_4arch9wavefront6targetE0EEEvSF_,comdat
	.protected	_ZN7rocprim17ROCPRIM_400000_NS6detail17trampoline_kernelINS0_13kernel_configILj256ELj4ELj4294967295EEENS1_37radix_sort_block_sort_config_selectorItNS0_10empty_typeEEEZNS1_21radix_sort_block_sortIS4_Lb1EPKtPtPS6_SC_NS0_19identity_decomposerEEE10hipError_tT1_T2_T3_T4_jRjT5_jjP12ihipStream_tbEUlT_E_NS1_11comp_targetILNS1_3genE10ELNS1_11target_archE1200ELNS1_3gpuE4ELNS1_3repE0EEENS1_44radix_sort_block_sort_config_static_selectorELNS0_4arch9wavefront6targetE0EEEvSF_ ; -- Begin function _ZN7rocprim17ROCPRIM_400000_NS6detail17trampoline_kernelINS0_13kernel_configILj256ELj4ELj4294967295EEENS1_37radix_sort_block_sort_config_selectorItNS0_10empty_typeEEEZNS1_21radix_sort_block_sortIS4_Lb1EPKtPtPS6_SC_NS0_19identity_decomposerEEE10hipError_tT1_T2_T3_T4_jRjT5_jjP12ihipStream_tbEUlT_E_NS1_11comp_targetILNS1_3genE10ELNS1_11target_archE1200ELNS1_3gpuE4ELNS1_3repE0EEENS1_44radix_sort_block_sort_config_static_selectorELNS0_4arch9wavefront6targetE0EEEvSF_
	.globl	_ZN7rocprim17ROCPRIM_400000_NS6detail17trampoline_kernelINS0_13kernel_configILj256ELj4ELj4294967295EEENS1_37radix_sort_block_sort_config_selectorItNS0_10empty_typeEEEZNS1_21radix_sort_block_sortIS4_Lb1EPKtPtPS6_SC_NS0_19identity_decomposerEEE10hipError_tT1_T2_T3_T4_jRjT5_jjP12ihipStream_tbEUlT_E_NS1_11comp_targetILNS1_3genE10ELNS1_11target_archE1200ELNS1_3gpuE4ELNS1_3repE0EEENS1_44radix_sort_block_sort_config_static_selectorELNS0_4arch9wavefront6targetE0EEEvSF_
	.p2align	8
	.type	_ZN7rocprim17ROCPRIM_400000_NS6detail17trampoline_kernelINS0_13kernel_configILj256ELj4ELj4294967295EEENS1_37radix_sort_block_sort_config_selectorItNS0_10empty_typeEEEZNS1_21radix_sort_block_sortIS4_Lb1EPKtPtPS6_SC_NS0_19identity_decomposerEEE10hipError_tT1_T2_T3_T4_jRjT5_jjP12ihipStream_tbEUlT_E_NS1_11comp_targetILNS1_3genE10ELNS1_11target_archE1200ELNS1_3gpuE4ELNS1_3repE0EEENS1_44radix_sort_block_sort_config_static_selectorELNS0_4arch9wavefront6targetE0EEEvSF_,@function
_ZN7rocprim17ROCPRIM_400000_NS6detail17trampoline_kernelINS0_13kernel_configILj256ELj4ELj4294967295EEENS1_37radix_sort_block_sort_config_selectorItNS0_10empty_typeEEEZNS1_21radix_sort_block_sortIS4_Lb1EPKtPtPS6_SC_NS0_19identity_decomposerEEE10hipError_tT1_T2_T3_T4_jRjT5_jjP12ihipStream_tbEUlT_E_NS1_11comp_targetILNS1_3genE10ELNS1_11target_archE1200ELNS1_3gpuE4ELNS1_3repE0EEENS1_44radix_sort_block_sort_config_static_selectorELNS0_4arch9wavefront6targetE0EEEvSF_: ; @_ZN7rocprim17ROCPRIM_400000_NS6detail17trampoline_kernelINS0_13kernel_configILj256ELj4ELj4294967295EEENS1_37radix_sort_block_sort_config_selectorItNS0_10empty_typeEEEZNS1_21radix_sort_block_sortIS4_Lb1EPKtPtPS6_SC_NS0_19identity_decomposerEEE10hipError_tT1_T2_T3_T4_jRjT5_jjP12ihipStream_tbEUlT_E_NS1_11comp_targetILNS1_3genE10ELNS1_11target_archE1200ELNS1_3gpuE4ELNS1_3repE0EEENS1_44radix_sort_block_sort_config_static_selectorELNS0_4arch9wavefront6targetE0EEEvSF_
; %bb.0:
	.section	.rodata,"a",@progbits
	.p2align	6, 0x0
	.amdhsa_kernel _ZN7rocprim17ROCPRIM_400000_NS6detail17trampoline_kernelINS0_13kernel_configILj256ELj4ELj4294967295EEENS1_37radix_sort_block_sort_config_selectorItNS0_10empty_typeEEEZNS1_21radix_sort_block_sortIS4_Lb1EPKtPtPS6_SC_NS0_19identity_decomposerEEE10hipError_tT1_T2_T3_T4_jRjT5_jjP12ihipStream_tbEUlT_E_NS1_11comp_targetILNS1_3genE10ELNS1_11target_archE1200ELNS1_3gpuE4ELNS1_3repE0EEENS1_44radix_sort_block_sort_config_static_selectorELNS0_4arch9wavefront6targetE0EEEvSF_
		.amdhsa_group_segment_fixed_size 0
		.amdhsa_private_segment_fixed_size 0
		.amdhsa_kernarg_size 48
		.amdhsa_user_sgpr_count 2
		.amdhsa_user_sgpr_dispatch_ptr 0
		.amdhsa_user_sgpr_queue_ptr 0
		.amdhsa_user_sgpr_kernarg_segment_ptr 1
		.amdhsa_user_sgpr_dispatch_id 0
		.amdhsa_user_sgpr_kernarg_preload_length 0
		.amdhsa_user_sgpr_kernarg_preload_offset 0
		.amdhsa_user_sgpr_private_segment_size 0
		.amdhsa_wavefront_size32 1
		.amdhsa_uses_dynamic_stack 0
		.amdhsa_enable_private_segment 0
		.amdhsa_system_sgpr_workgroup_id_x 1
		.amdhsa_system_sgpr_workgroup_id_y 0
		.amdhsa_system_sgpr_workgroup_id_z 0
		.amdhsa_system_sgpr_workgroup_info 0
		.amdhsa_system_vgpr_workitem_id 0
		.amdhsa_next_free_vgpr 1
		.amdhsa_next_free_sgpr 1
		.amdhsa_named_barrier_count 0
		.amdhsa_reserve_vcc 0
		.amdhsa_float_round_mode_32 0
		.amdhsa_float_round_mode_16_64 0
		.amdhsa_float_denorm_mode_32 3
		.amdhsa_float_denorm_mode_16_64 3
		.amdhsa_fp16_overflow 0
		.amdhsa_memory_ordered 1
		.amdhsa_forward_progress 1
		.amdhsa_inst_pref_size 0
		.amdhsa_round_robin_scheduling 0
		.amdhsa_exception_fp_ieee_invalid_op 0
		.amdhsa_exception_fp_denorm_src 0
		.amdhsa_exception_fp_ieee_div_zero 0
		.amdhsa_exception_fp_ieee_overflow 0
		.amdhsa_exception_fp_ieee_underflow 0
		.amdhsa_exception_fp_ieee_inexact 0
		.amdhsa_exception_int_div_zero 0
	.end_amdhsa_kernel
	.section	.text._ZN7rocprim17ROCPRIM_400000_NS6detail17trampoline_kernelINS0_13kernel_configILj256ELj4ELj4294967295EEENS1_37radix_sort_block_sort_config_selectorItNS0_10empty_typeEEEZNS1_21radix_sort_block_sortIS4_Lb1EPKtPtPS6_SC_NS0_19identity_decomposerEEE10hipError_tT1_T2_T3_T4_jRjT5_jjP12ihipStream_tbEUlT_E_NS1_11comp_targetILNS1_3genE10ELNS1_11target_archE1200ELNS1_3gpuE4ELNS1_3repE0EEENS1_44radix_sort_block_sort_config_static_selectorELNS0_4arch9wavefront6targetE0EEEvSF_,"axG",@progbits,_ZN7rocprim17ROCPRIM_400000_NS6detail17trampoline_kernelINS0_13kernel_configILj256ELj4ELj4294967295EEENS1_37radix_sort_block_sort_config_selectorItNS0_10empty_typeEEEZNS1_21radix_sort_block_sortIS4_Lb1EPKtPtPS6_SC_NS0_19identity_decomposerEEE10hipError_tT1_T2_T3_T4_jRjT5_jjP12ihipStream_tbEUlT_E_NS1_11comp_targetILNS1_3genE10ELNS1_11target_archE1200ELNS1_3gpuE4ELNS1_3repE0EEENS1_44radix_sort_block_sort_config_static_selectorELNS0_4arch9wavefront6targetE0EEEvSF_,comdat
.Lfunc_end2292:
	.size	_ZN7rocprim17ROCPRIM_400000_NS6detail17trampoline_kernelINS0_13kernel_configILj256ELj4ELj4294967295EEENS1_37radix_sort_block_sort_config_selectorItNS0_10empty_typeEEEZNS1_21radix_sort_block_sortIS4_Lb1EPKtPtPS6_SC_NS0_19identity_decomposerEEE10hipError_tT1_T2_T3_T4_jRjT5_jjP12ihipStream_tbEUlT_E_NS1_11comp_targetILNS1_3genE10ELNS1_11target_archE1200ELNS1_3gpuE4ELNS1_3repE0EEENS1_44radix_sort_block_sort_config_static_selectorELNS0_4arch9wavefront6targetE0EEEvSF_, .Lfunc_end2292-_ZN7rocprim17ROCPRIM_400000_NS6detail17trampoline_kernelINS0_13kernel_configILj256ELj4ELj4294967295EEENS1_37radix_sort_block_sort_config_selectorItNS0_10empty_typeEEEZNS1_21radix_sort_block_sortIS4_Lb1EPKtPtPS6_SC_NS0_19identity_decomposerEEE10hipError_tT1_T2_T3_T4_jRjT5_jjP12ihipStream_tbEUlT_E_NS1_11comp_targetILNS1_3genE10ELNS1_11target_archE1200ELNS1_3gpuE4ELNS1_3repE0EEENS1_44radix_sort_block_sort_config_static_selectorELNS0_4arch9wavefront6targetE0EEEvSF_
                                        ; -- End function
	.set _ZN7rocprim17ROCPRIM_400000_NS6detail17trampoline_kernelINS0_13kernel_configILj256ELj4ELj4294967295EEENS1_37radix_sort_block_sort_config_selectorItNS0_10empty_typeEEEZNS1_21radix_sort_block_sortIS4_Lb1EPKtPtPS6_SC_NS0_19identity_decomposerEEE10hipError_tT1_T2_T3_T4_jRjT5_jjP12ihipStream_tbEUlT_E_NS1_11comp_targetILNS1_3genE10ELNS1_11target_archE1200ELNS1_3gpuE4ELNS1_3repE0EEENS1_44radix_sort_block_sort_config_static_selectorELNS0_4arch9wavefront6targetE0EEEvSF_.num_vgpr, 0
	.set _ZN7rocprim17ROCPRIM_400000_NS6detail17trampoline_kernelINS0_13kernel_configILj256ELj4ELj4294967295EEENS1_37radix_sort_block_sort_config_selectorItNS0_10empty_typeEEEZNS1_21radix_sort_block_sortIS4_Lb1EPKtPtPS6_SC_NS0_19identity_decomposerEEE10hipError_tT1_T2_T3_T4_jRjT5_jjP12ihipStream_tbEUlT_E_NS1_11comp_targetILNS1_3genE10ELNS1_11target_archE1200ELNS1_3gpuE4ELNS1_3repE0EEENS1_44radix_sort_block_sort_config_static_selectorELNS0_4arch9wavefront6targetE0EEEvSF_.num_agpr, 0
	.set _ZN7rocprim17ROCPRIM_400000_NS6detail17trampoline_kernelINS0_13kernel_configILj256ELj4ELj4294967295EEENS1_37radix_sort_block_sort_config_selectorItNS0_10empty_typeEEEZNS1_21radix_sort_block_sortIS4_Lb1EPKtPtPS6_SC_NS0_19identity_decomposerEEE10hipError_tT1_T2_T3_T4_jRjT5_jjP12ihipStream_tbEUlT_E_NS1_11comp_targetILNS1_3genE10ELNS1_11target_archE1200ELNS1_3gpuE4ELNS1_3repE0EEENS1_44radix_sort_block_sort_config_static_selectorELNS0_4arch9wavefront6targetE0EEEvSF_.numbered_sgpr, 0
	.set _ZN7rocprim17ROCPRIM_400000_NS6detail17trampoline_kernelINS0_13kernel_configILj256ELj4ELj4294967295EEENS1_37radix_sort_block_sort_config_selectorItNS0_10empty_typeEEEZNS1_21radix_sort_block_sortIS4_Lb1EPKtPtPS6_SC_NS0_19identity_decomposerEEE10hipError_tT1_T2_T3_T4_jRjT5_jjP12ihipStream_tbEUlT_E_NS1_11comp_targetILNS1_3genE10ELNS1_11target_archE1200ELNS1_3gpuE4ELNS1_3repE0EEENS1_44radix_sort_block_sort_config_static_selectorELNS0_4arch9wavefront6targetE0EEEvSF_.num_named_barrier, 0
	.set _ZN7rocprim17ROCPRIM_400000_NS6detail17trampoline_kernelINS0_13kernel_configILj256ELj4ELj4294967295EEENS1_37radix_sort_block_sort_config_selectorItNS0_10empty_typeEEEZNS1_21radix_sort_block_sortIS4_Lb1EPKtPtPS6_SC_NS0_19identity_decomposerEEE10hipError_tT1_T2_T3_T4_jRjT5_jjP12ihipStream_tbEUlT_E_NS1_11comp_targetILNS1_3genE10ELNS1_11target_archE1200ELNS1_3gpuE4ELNS1_3repE0EEENS1_44radix_sort_block_sort_config_static_selectorELNS0_4arch9wavefront6targetE0EEEvSF_.private_seg_size, 0
	.set _ZN7rocprim17ROCPRIM_400000_NS6detail17trampoline_kernelINS0_13kernel_configILj256ELj4ELj4294967295EEENS1_37radix_sort_block_sort_config_selectorItNS0_10empty_typeEEEZNS1_21radix_sort_block_sortIS4_Lb1EPKtPtPS6_SC_NS0_19identity_decomposerEEE10hipError_tT1_T2_T3_T4_jRjT5_jjP12ihipStream_tbEUlT_E_NS1_11comp_targetILNS1_3genE10ELNS1_11target_archE1200ELNS1_3gpuE4ELNS1_3repE0EEENS1_44radix_sort_block_sort_config_static_selectorELNS0_4arch9wavefront6targetE0EEEvSF_.uses_vcc, 0
	.set _ZN7rocprim17ROCPRIM_400000_NS6detail17trampoline_kernelINS0_13kernel_configILj256ELj4ELj4294967295EEENS1_37radix_sort_block_sort_config_selectorItNS0_10empty_typeEEEZNS1_21radix_sort_block_sortIS4_Lb1EPKtPtPS6_SC_NS0_19identity_decomposerEEE10hipError_tT1_T2_T3_T4_jRjT5_jjP12ihipStream_tbEUlT_E_NS1_11comp_targetILNS1_3genE10ELNS1_11target_archE1200ELNS1_3gpuE4ELNS1_3repE0EEENS1_44radix_sort_block_sort_config_static_selectorELNS0_4arch9wavefront6targetE0EEEvSF_.uses_flat_scratch, 0
	.set _ZN7rocprim17ROCPRIM_400000_NS6detail17trampoline_kernelINS0_13kernel_configILj256ELj4ELj4294967295EEENS1_37radix_sort_block_sort_config_selectorItNS0_10empty_typeEEEZNS1_21radix_sort_block_sortIS4_Lb1EPKtPtPS6_SC_NS0_19identity_decomposerEEE10hipError_tT1_T2_T3_T4_jRjT5_jjP12ihipStream_tbEUlT_E_NS1_11comp_targetILNS1_3genE10ELNS1_11target_archE1200ELNS1_3gpuE4ELNS1_3repE0EEENS1_44radix_sort_block_sort_config_static_selectorELNS0_4arch9wavefront6targetE0EEEvSF_.has_dyn_sized_stack, 0
	.set _ZN7rocprim17ROCPRIM_400000_NS6detail17trampoline_kernelINS0_13kernel_configILj256ELj4ELj4294967295EEENS1_37radix_sort_block_sort_config_selectorItNS0_10empty_typeEEEZNS1_21radix_sort_block_sortIS4_Lb1EPKtPtPS6_SC_NS0_19identity_decomposerEEE10hipError_tT1_T2_T3_T4_jRjT5_jjP12ihipStream_tbEUlT_E_NS1_11comp_targetILNS1_3genE10ELNS1_11target_archE1200ELNS1_3gpuE4ELNS1_3repE0EEENS1_44radix_sort_block_sort_config_static_selectorELNS0_4arch9wavefront6targetE0EEEvSF_.has_recursion, 0
	.set _ZN7rocprim17ROCPRIM_400000_NS6detail17trampoline_kernelINS0_13kernel_configILj256ELj4ELj4294967295EEENS1_37radix_sort_block_sort_config_selectorItNS0_10empty_typeEEEZNS1_21radix_sort_block_sortIS4_Lb1EPKtPtPS6_SC_NS0_19identity_decomposerEEE10hipError_tT1_T2_T3_T4_jRjT5_jjP12ihipStream_tbEUlT_E_NS1_11comp_targetILNS1_3genE10ELNS1_11target_archE1200ELNS1_3gpuE4ELNS1_3repE0EEENS1_44radix_sort_block_sort_config_static_selectorELNS0_4arch9wavefront6targetE0EEEvSF_.has_indirect_call, 0
	.section	.AMDGPU.csdata,"",@progbits
; Kernel info:
; codeLenInByte = 0
; TotalNumSgprs: 0
; NumVgprs: 0
; ScratchSize: 0
; MemoryBound: 0
; FloatMode: 240
; IeeeMode: 1
; LDSByteSize: 0 bytes/workgroup (compile time only)
; SGPRBlocks: 0
; VGPRBlocks: 0
; NumSGPRsForWavesPerEU: 1
; NumVGPRsForWavesPerEU: 1
; NamedBarCnt: 0
; Occupancy: 16
; WaveLimiterHint : 0
; COMPUTE_PGM_RSRC2:SCRATCH_EN: 0
; COMPUTE_PGM_RSRC2:USER_SGPR: 2
; COMPUTE_PGM_RSRC2:TRAP_HANDLER: 0
; COMPUTE_PGM_RSRC2:TGID_X_EN: 1
; COMPUTE_PGM_RSRC2:TGID_Y_EN: 0
; COMPUTE_PGM_RSRC2:TGID_Z_EN: 0
; COMPUTE_PGM_RSRC2:TIDIG_COMP_CNT: 0
	.section	.text._ZN7rocprim17ROCPRIM_400000_NS6detail17trampoline_kernelINS0_13kernel_configILj256ELj4ELj4294967295EEENS1_37radix_sort_block_sort_config_selectorItNS0_10empty_typeEEEZNS1_21radix_sort_block_sortIS4_Lb1EPKtPtPS6_SC_NS0_19identity_decomposerEEE10hipError_tT1_T2_T3_T4_jRjT5_jjP12ihipStream_tbEUlT_E_NS1_11comp_targetILNS1_3genE9ELNS1_11target_archE1100ELNS1_3gpuE3ELNS1_3repE0EEENS1_44radix_sort_block_sort_config_static_selectorELNS0_4arch9wavefront6targetE0EEEvSF_,"axG",@progbits,_ZN7rocprim17ROCPRIM_400000_NS6detail17trampoline_kernelINS0_13kernel_configILj256ELj4ELj4294967295EEENS1_37radix_sort_block_sort_config_selectorItNS0_10empty_typeEEEZNS1_21radix_sort_block_sortIS4_Lb1EPKtPtPS6_SC_NS0_19identity_decomposerEEE10hipError_tT1_T2_T3_T4_jRjT5_jjP12ihipStream_tbEUlT_E_NS1_11comp_targetILNS1_3genE9ELNS1_11target_archE1100ELNS1_3gpuE3ELNS1_3repE0EEENS1_44radix_sort_block_sort_config_static_selectorELNS0_4arch9wavefront6targetE0EEEvSF_,comdat
	.protected	_ZN7rocprim17ROCPRIM_400000_NS6detail17trampoline_kernelINS0_13kernel_configILj256ELj4ELj4294967295EEENS1_37radix_sort_block_sort_config_selectorItNS0_10empty_typeEEEZNS1_21radix_sort_block_sortIS4_Lb1EPKtPtPS6_SC_NS0_19identity_decomposerEEE10hipError_tT1_T2_T3_T4_jRjT5_jjP12ihipStream_tbEUlT_E_NS1_11comp_targetILNS1_3genE9ELNS1_11target_archE1100ELNS1_3gpuE3ELNS1_3repE0EEENS1_44radix_sort_block_sort_config_static_selectorELNS0_4arch9wavefront6targetE0EEEvSF_ ; -- Begin function _ZN7rocprim17ROCPRIM_400000_NS6detail17trampoline_kernelINS0_13kernel_configILj256ELj4ELj4294967295EEENS1_37radix_sort_block_sort_config_selectorItNS0_10empty_typeEEEZNS1_21radix_sort_block_sortIS4_Lb1EPKtPtPS6_SC_NS0_19identity_decomposerEEE10hipError_tT1_T2_T3_T4_jRjT5_jjP12ihipStream_tbEUlT_E_NS1_11comp_targetILNS1_3genE9ELNS1_11target_archE1100ELNS1_3gpuE3ELNS1_3repE0EEENS1_44radix_sort_block_sort_config_static_selectorELNS0_4arch9wavefront6targetE0EEEvSF_
	.globl	_ZN7rocprim17ROCPRIM_400000_NS6detail17trampoline_kernelINS0_13kernel_configILj256ELj4ELj4294967295EEENS1_37radix_sort_block_sort_config_selectorItNS0_10empty_typeEEEZNS1_21radix_sort_block_sortIS4_Lb1EPKtPtPS6_SC_NS0_19identity_decomposerEEE10hipError_tT1_T2_T3_T4_jRjT5_jjP12ihipStream_tbEUlT_E_NS1_11comp_targetILNS1_3genE9ELNS1_11target_archE1100ELNS1_3gpuE3ELNS1_3repE0EEENS1_44radix_sort_block_sort_config_static_selectorELNS0_4arch9wavefront6targetE0EEEvSF_
	.p2align	8
	.type	_ZN7rocprim17ROCPRIM_400000_NS6detail17trampoline_kernelINS0_13kernel_configILj256ELj4ELj4294967295EEENS1_37radix_sort_block_sort_config_selectorItNS0_10empty_typeEEEZNS1_21radix_sort_block_sortIS4_Lb1EPKtPtPS6_SC_NS0_19identity_decomposerEEE10hipError_tT1_T2_T3_T4_jRjT5_jjP12ihipStream_tbEUlT_E_NS1_11comp_targetILNS1_3genE9ELNS1_11target_archE1100ELNS1_3gpuE3ELNS1_3repE0EEENS1_44radix_sort_block_sort_config_static_selectorELNS0_4arch9wavefront6targetE0EEEvSF_,@function
_ZN7rocprim17ROCPRIM_400000_NS6detail17trampoline_kernelINS0_13kernel_configILj256ELj4ELj4294967295EEENS1_37radix_sort_block_sort_config_selectorItNS0_10empty_typeEEEZNS1_21radix_sort_block_sortIS4_Lb1EPKtPtPS6_SC_NS0_19identity_decomposerEEE10hipError_tT1_T2_T3_T4_jRjT5_jjP12ihipStream_tbEUlT_E_NS1_11comp_targetILNS1_3genE9ELNS1_11target_archE1100ELNS1_3gpuE3ELNS1_3repE0EEENS1_44radix_sort_block_sort_config_static_selectorELNS0_4arch9wavefront6targetE0EEEvSF_: ; @_ZN7rocprim17ROCPRIM_400000_NS6detail17trampoline_kernelINS0_13kernel_configILj256ELj4ELj4294967295EEENS1_37radix_sort_block_sort_config_selectorItNS0_10empty_typeEEEZNS1_21radix_sort_block_sortIS4_Lb1EPKtPtPS6_SC_NS0_19identity_decomposerEEE10hipError_tT1_T2_T3_T4_jRjT5_jjP12ihipStream_tbEUlT_E_NS1_11comp_targetILNS1_3genE9ELNS1_11target_archE1100ELNS1_3gpuE3ELNS1_3repE0EEENS1_44radix_sort_block_sort_config_static_selectorELNS0_4arch9wavefront6targetE0EEEvSF_
; %bb.0:
	.section	.rodata,"a",@progbits
	.p2align	6, 0x0
	.amdhsa_kernel _ZN7rocprim17ROCPRIM_400000_NS6detail17trampoline_kernelINS0_13kernel_configILj256ELj4ELj4294967295EEENS1_37radix_sort_block_sort_config_selectorItNS0_10empty_typeEEEZNS1_21radix_sort_block_sortIS4_Lb1EPKtPtPS6_SC_NS0_19identity_decomposerEEE10hipError_tT1_T2_T3_T4_jRjT5_jjP12ihipStream_tbEUlT_E_NS1_11comp_targetILNS1_3genE9ELNS1_11target_archE1100ELNS1_3gpuE3ELNS1_3repE0EEENS1_44radix_sort_block_sort_config_static_selectorELNS0_4arch9wavefront6targetE0EEEvSF_
		.amdhsa_group_segment_fixed_size 0
		.amdhsa_private_segment_fixed_size 0
		.amdhsa_kernarg_size 48
		.amdhsa_user_sgpr_count 2
		.amdhsa_user_sgpr_dispatch_ptr 0
		.amdhsa_user_sgpr_queue_ptr 0
		.amdhsa_user_sgpr_kernarg_segment_ptr 1
		.amdhsa_user_sgpr_dispatch_id 0
		.amdhsa_user_sgpr_kernarg_preload_length 0
		.amdhsa_user_sgpr_kernarg_preload_offset 0
		.amdhsa_user_sgpr_private_segment_size 0
		.amdhsa_wavefront_size32 1
		.amdhsa_uses_dynamic_stack 0
		.amdhsa_enable_private_segment 0
		.amdhsa_system_sgpr_workgroup_id_x 1
		.amdhsa_system_sgpr_workgroup_id_y 0
		.amdhsa_system_sgpr_workgroup_id_z 0
		.amdhsa_system_sgpr_workgroup_info 0
		.amdhsa_system_vgpr_workitem_id 0
		.amdhsa_next_free_vgpr 1
		.amdhsa_next_free_sgpr 1
		.amdhsa_named_barrier_count 0
		.amdhsa_reserve_vcc 0
		.amdhsa_float_round_mode_32 0
		.amdhsa_float_round_mode_16_64 0
		.amdhsa_float_denorm_mode_32 3
		.amdhsa_float_denorm_mode_16_64 3
		.amdhsa_fp16_overflow 0
		.amdhsa_memory_ordered 1
		.amdhsa_forward_progress 1
		.amdhsa_inst_pref_size 0
		.amdhsa_round_robin_scheduling 0
		.amdhsa_exception_fp_ieee_invalid_op 0
		.amdhsa_exception_fp_denorm_src 0
		.amdhsa_exception_fp_ieee_div_zero 0
		.amdhsa_exception_fp_ieee_overflow 0
		.amdhsa_exception_fp_ieee_underflow 0
		.amdhsa_exception_fp_ieee_inexact 0
		.amdhsa_exception_int_div_zero 0
	.end_amdhsa_kernel
	.section	.text._ZN7rocprim17ROCPRIM_400000_NS6detail17trampoline_kernelINS0_13kernel_configILj256ELj4ELj4294967295EEENS1_37radix_sort_block_sort_config_selectorItNS0_10empty_typeEEEZNS1_21radix_sort_block_sortIS4_Lb1EPKtPtPS6_SC_NS0_19identity_decomposerEEE10hipError_tT1_T2_T3_T4_jRjT5_jjP12ihipStream_tbEUlT_E_NS1_11comp_targetILNS1_3genE9ELNS1_11target_archE1100ELNS1_3gpuE3ELNS1_3repE0EEENS1_44radix_sort_block_sort_config_static_selectorELNS0_4arch9wavefront6targetE0EEEvSF_,"axG",@progbits,_ZN7rocprim17ROCPRIM_400000_NS6detail17trampoline_kernelINS0_13kernel_configILj256ELj4ELj4294967295EEENS1_37radix_sort_block_sort_config_selectorItNS0_10empty_typeEEEZNS1_21radix_sort_block_sortIS4_Lb1EPKtPtPS6_SC_NS0_19identity_decomposerEEE10hipError_tT1_T2_T3_T4_jRjT5_jjP12ihipStream_tbEUlT_E_NS1_11comp_targetILNS1_3genE9ELNS1_11target_archE1100ELNS1_3gpuE3ELNS1_3repE0EEENS1_44radix_sort_block_sort_config_static_selectorELNS0_4arch9wavefront6targetE0EEEvSF_,comdat
.Lfunc_end2293:
	.size	_ZN7rocprim17ROCPRIM_400000_NS6detail17trampoline_kernelINS0_13kernel_configILj256ELj4ELj4294967295EEENS1_37radix_sort_block_sort_config_selectorItNS0_10empty_typeEEEZNS1_21radix_sort_block_sortIS4_Lb1EPKtPtPS6_SC_NS0_19identity_decomposerEEE10hipError_tT1_T2_T3_T4_jRjT5_jjP12ihipStream_tbEUlT_E_NS1_11comp_targetILNS1_3genE9ELNS1_11target_archE1100ELNS1_3gpuE3ELNS1_3repE0EEENS1_44radix_sort_block_sort_config_static_selectorELNS0_4arch9wavefront6targetE0EEEvSF_, .Lfunc_end2293-_ZN7rocprim17ROCPRIM_400000_NS6detail17trampoline_kernelINS0_13kernel_configILj256ELj4ELj4294967295EEENS1_37radix_sort_block_sort_config_selectorItNS0_10empty_typeEEEZNS1_21radix_sort_block_sortIS4_Lb1EPKtPtPS6_SC_NS0_19identity_decomposerEEE10hipError_tT1_T2_T3_T4_jRjT5_jjP12ihipStream_tbEUlT_E_NS1_11comp_targetILNS1_3genE9ELNS1_11target_archE1100ELNS1_3gpuE3ELNS1_3repE0EEENS1_44radix_sort_block_sort_config_static_selectorELNS0_4arch9wavefront6targetE0EEEvSF_
                                        ; -- End function
	.set _ZN7rocprim17ROCPRIM_400000_NS6detail17trampoline_kernelINS0_13kernel_configILj256ELj4ELj4294967295EEENS1_37radix_sort_block_sort_config_selectorItNS0_10empty_typeEEEZNS1_21radix_sort_block_sortIS4_Lb1EPKtPtPS6_SC_NS0_19identity_decomposerEEE10hipError_tT1_T2_T3_T4_jRjT5_jjP12ihipStream_tbEUlT_E_NS1_11comp_targetILNS1_3genE9ELNS1_11target_archE1100ELNS1_3gpuE3ELNS1_3repE0EEENS1_44radix_sort_block_sort_config_static_selectorELNS0_4arch9wavefront6targetE0EEEvSF_.num_vgpr, 0
	.set _ZN7rocprim17ROCPRIM_400000_NS6detail17trampoline_kernelINS0_13kernel_configILj256ELj4ELj4294967295EEENS1_37radix_sort_block_sort_config_selectorItNS0_10empty_typeEEEZNS1_21radix_sort_block_sortIS4_Lb1EPKtPtPS6_SC_NS0_19identity_decomposerEEE10hipError_tT1_T2_T3_T4_jRjT5_jjP12ihipStream_tbEUlT_E_NS1_11comp_targetILNS1_3genE9ELNS1_11target_archE1100ELNS1_3gpuE3ELNS1_3repE0EEENS1_44radix_sort_block_sort_config_static_selectorELNS0_4arch9wavefront6targetE0EEEvSF_.num_agpr, 0
	.set _ZN7rocprim17ROCPRIM_400000_NS6detail17trampoline_kernelINS0_13kernel_configILj256ELj4ELj4294967295EEENS1_37radix_sort_block_sort_config_selectorItNS0_10empty_typeEEEZNS1_21radix_sort_block_sortIS4_Lb1EPKtPtPS6_SC_NS0_19identity_decomposerEEE10hipError_tT1_T2_T3_T4_jRjT5_jjP12ihipStream_tbEUlT_E_NS1_11comp_targetILNS1_3genE9ELNS1_11target_archE1100ELNS1_3gpuE3ELNS1_3repE0EEENS1_44radix_sort_block_sort_config_static_selectorELNS0_4arch9wavefront6targetE0EEEvSF_.numbered_sgpr, 0
	.set _ZN7rocprim17ROCPRIM_400000_NS6detail17trampoline_kernelINS0_13kernel_configILj256ELj4ELj4294967295EEENS1_37radix_sort_block_sort_config_selectorItNS0_10empty_typeEEEZNS1_21radix_sort_block_sortIS4_Lb1EPKtPtPS6_SC_NS0_19identity_decomposerEEE10hipError_tT1_T2_T3_T4_jRjT5_jjP12ihipStream_tbEUlT_E_NS1_11comp_targetILNS1_3genE9ELNS1_11target_archE1100ELNS1_3gpuE3ELNS1_3repE0EEENS1_44radix_sort_block_sort_config_static_selectorELNS0_4arch9wavefront6targetE0EEEvSF_.num_named_barrier, 0
	.set _ZN7rocprim17ROCPRIM_400000_NS6detail17trampoline_kernelINS0_13kernel_configILj256ELj4ELj4294967295EEENS1_37radix_sort_block_sort_config_selectorItNS0_10empty_typeEEEZNS1_21radix_sort_block_sortIS4_Lb1EPKtPtPS6_SC_NS0_19identity_decomposerEEE10hipError_tT1_T2_T3_T4_jRjT5_jjP12ihipStream_tbEUlT_E_NS1_11comp_targetILNS1_3genE9ELNS1_11target_archE1100ELNS1_3gpuE3ELNS1_3repE0EEENS1_44radix_sort_block_sort_config_static_selectorELNS0_4arch9wavefront6targetE0EEEvSF_.private_seg_size, 0
	.set _ZN7rocprim17ROCPRIM_400000_NS6detail17trampoline_kernelINS0_13kernel_configILj256ELj4ELj4294967295EEENS1_37radix_sort_block_sort_config_selectorItNS0_10empty_typeEEEZNS1_21radix_sort_block_sortIS4_Lb1EPKtPtPS6_SC_NS0_19identity_decomposerEEE10hipError_tT1_T2_T3_T4_jRjT5_jjP12ihipStream_tbEUlT_E_NS1_11comp_targetILNS1_3genE9ELNS1_11target_archE1100ELNS1_3gpuE3ELNS1_3repE0EEENS1_44radix_sort_block_sort_config_static_selectorELNS0_4arch9wavefront6targetE0EEEvSF_.uses_vcc, 0
	.set _ZN7rocprim17ROCPRIM_400000_NS6detail17trampoline_kernelINS0_13kernel_configILj256ELj4ELj4294967295EEENS1_37radix_sort_block_sort_config_selectorItNS0_10empty_typeEEEZNS1_21radix_sort_block_sortIS4_Lb1EPKtPtPS6_SC_NS0_19identity_decomposerEEE10hipError_tT1_T2_T3_T4_jRjT5_jjP12ihipStream_tbEUlT_E_NS1_11comp_targetILNS1_3genE9ELNS1_11target_archE1100ELNS1_3gpuE3ELNS1_3repE0EEENS1_44radix_sort_block_sort_config_static_selectorELNS0_4arch9wavefront6targetE0EEEvSF_.uses_flat_scratch, 0
	.set _ZN7rocprim17ROCPRIM_400000_NS6detail17trampoline_kernelINS0_13kernel_configILj256ELj4ELj4294967295EEENS1_37radix_sort_block_sort_config_selectorItNS0_10empty_typeEEEZNS1_21radix_sort_block_sortIS4_Lb1EPKtPtPS6_SC_NS0_19identity_decomposerEEE10hipError_tT1_T2_T3_T4_jRjT5_jjP12ihipStream_tbEUlT_E_NS1_11comp_targetILNS1_3genE9ELNS1_11target_archE1100ELNS1_3gpuE3ELNS1_3repE0EEENS1_44radix_sort_block_sort_config_static_selectorELNS0_4arch9wavefront6targetE0EEEvSF_.has_dyn_sized_stack, 0
	.set _ZN7rocprim17ROCPRIM_400000_NS6detail17trampoline_kernelINS0_13kernel_configILj256ELj4ELj4294967295EEENS1_37radix_sort_block_sort_config_selectorItNS0_10empty_typeEEEZNS1_21radix_sort_block_sortIS4_Lb1EPKtPtPS6_SC_NS0_19identity_decomposerEEE10hipError_tT1_T2_T3_T4_jRjT5_jjP12ihipStream_tbEUlT_E_NS1_11comp_targetILNS1_3genE9ELNS1_11target_archE1100ELNS1_3gpuE3ELNS1_3repE0EEENS1_44radix_sort_block_sort_config_static_selectorELNS0_4arch9wavefront6targetE0EEEvSF_.has_recursion, 0
	.set _ZN7rocprim17ROCPRIM_400000_NS6detail17trampoline_kernelINS0_13kernel_configILj256ELj4ELj4294967295EEENS1_37radix_sort_block_sort_config_selectorItNS0_10empty_typeEEEZNS1_21radix_sort_block_sortIS4_Lb1EPKtPtPS6_SC_NS0_19identity_decomposerEEE10hipError_tT1_T2_T3_T4_jRjT5_jjP12ihipStream_tbEUlT_E_NS1_11comp_targetILNS1_3genE9ELNS1_11target_archE1100ELNS1_3gpuE3ELNS1_3repE0EEENS1_44radix_sort_block_sort_config_static_selectorELNS0_4arch9wavefront6targetE0EEEvSF_.has_indirect_call, 0
	.section	.AMDGPU.csdata,"",@progbits
; Kernel info:
; codeLenInByte = 0
; TotalNumSgprs: 0
; NumVgprs: 0
; ScratchSize: 0
; MemoryBound: 0
; FloatMode: 240
; IeeeMode: 1
; LDSByteSize: 0 bytes/workgroup (compile time only)
; SGPRBlocks: 0
; VGPRBlocks: 0
; NumSGPRsForWavesPerEU: 1
; NumVGPRsForWavesPerEU: 1
; NamedBarCnt: 0
; Occupancy: 16
; WaveLimiterHint : 0
; COMPUTE_PGM_RSRC2:SCRATCH_EN: 0
; COMPUTE_PGM_RSRC2:USER_SGPR: 2
; COMPUTE_PGM_RSRC2:TRAP_HANDLER: 0
; COMPUTE_PGM_RSRC2:TGID_X_EN: 1
; COMPUTE_PGM_RSRC2:TGID_Y_EN: 0
; COMPUTE_PGM_RSRC2:TGID_Z_EN: 0
; COMPUTE_PGM_RSRC2:TIDIG_COMP_CNT: 0
	.section	.text._ZN7rocprim17ROCPRIM_400000_NS6detail17trampoline_kernelINS0_13kernel_configILj256ELj4ELj4294967295EEENS1_37radix_sort_block_sort_config_selectorItNS0_10empty_typeEEEZNS1_21radix_sort_block_sortIS4_Lb1EPKtPtPS6_SC_NS0_19identity_decomposerEEE10hipError_tT1_T2_T3_T4_jRjT5_jjP12ihipStream_tbEUlT_E_NS1_11comp_targetILNS1_3genE8ELNS1_11target_archE1030ELNS1_3gpuE2ELNS1_3repE0EEENS1_44radix_sort_block_sort_config_static_selectorELNS0_4arch9wavefront6targetE0EEEvSF_,"axG",@progbits,_ZN7rocprim17ROCPRIM_400000_NS6detail17trampoline_kernelINS0_13kernel_configILj256ELj4ELj4294967295EEENS1_37radix_sort_block_sort_config_selectorItNS0_10empty_typeEEEZNS1_21radix_sort_block_sortIS4_Lb1EPKtPtPS6_SC_NS0_19identity_decomposerEEE10hipError_tT1_T2_T3_T4_jRjT5_jjP12ihipStream_tbEUlT_E_NS1_11comp_targetILNS1_3genE8ELNS1_11target_archE1030ELNS1_3gpuE2ELNS1_3repE0EEENS1_44radix_sort_block_sort_config_static_selectorELNS0_4arch9wavefront6targetE0EEEvSF_,comdat
	.protected	_ZN7rocprim17ROCPRIM_400000_NS6detail17trampoline_kernelINS0_13kernel_configILj256ELj4ELj4294967295EEENS1_37radix_sort_block_sort_config_selectorItNS0_10empty_typeEEEZNS1_21radix_sort_block_sortIS4_Lb1EPKtPtPS6_SC_NS0_19identity_decomposerEEE10hipError_tT1_T2_T3_T4_jRjT5_jjP12ihipStream_tbEUlT_E_NS1_11comp_targetILNS1_3genE8ELNS1_11target_archE1030ELNS1_3gpuE2ELNS1_3repE0EEENS1_44radix_sort_block_sort_config_static_selectorELNS0_4arch9wavefront6targetE0EEEvSF_ ; -- Begin function _ZN7rocprim17ROCPRIM_400000_NS6detail17trampoline_kernelINS0_13kernel_configILj256ELj4ELj4294967295EEENS1_37radix_sort_block_sort_config_selectorItNS0_10empty_typeEEEZNS1_21radix_sort_block_sortIS4_Lb1EPKtPtPS6_SC_NS0_19identity_decomposerEEE10hipError_tT1_T2_T3_T4_jRjT5_jjP12ihipStream_tbEUlT_E_NS1_11comp_targetILNS1_3genE8ELNS1_11target_archE1030ELNS1_3gpuE2ELNS1_3repE0EEENS1_44radix_sort_block_sort_config_static_selectorELNS0_4arch9wavefront6targetE0EEEvSF_
	.globl	_ZN7rocprim17ROCPRIM_400000_NS6detail17trampoline_kernelINS0_13kernel_configILj256ELj4ELj4294967295EEENS1_37radix_sort_block_sort_config_selectorItNS0_10empty_typeEEEZNS1_21radix_sort_block_sortIS4_Lb1EPKtPtPS6_SC_NS0_19identity_decomposerEEE10hipError_tT1_T2_T3_T4_jRjT5_jjP12ihipStream_tbEUlT_E_NS1_11comp_targetILNS1_3genE8ELNS1_11target_archE1030ELNS1_3gpuE2ELNS1_3repE0EEENS1_44radix_sort_block_sort_config_static_selectorELNS0_4arch9wavefront6targetE0EEEvSF_
	.p2align	8
	.type	_ZN7rocprim17ROCPRIM_400000_NS6detail17trampoline_kernelINS0_13kernel_configILj256ELj4ELj4294967295EEENS1_37radix_sort_block_sort_config_selectorItNS0_10empty_typeEEEZNS1_21radix_sort_block_sortIS4_Lb1EPKtPtPS6_SC_NS0_19identity_decomposerEEE10hipError_tT1_T2_T3_T4_jRjT5_jjP12ihipStream_tbEUlT_E_NS1_11comp_targetILNS1_3genE8ELNS1_11target_archE1030ELNS1_3gpuE2ELNS1_3repE0EEENS1_44radix_sort_block_sort_config_static_selectorELNS0_4arch9wavefront6targetE0EEEvSF_,@function
_ZN7rocprim17ROCPRIM_400000_NS6detail17trampoline_kernelINS0_13kernel_configILj256ELj4ELj4294967295EEENS1_37radix_sort_block_sort_config_selectorItNS0_10empty_typeEEEZNS1_21radix_sort_block_sortIS4_Lb1EPKtPtPS6_SC_NS0_19identity_decomposerEEE10hipError_tT1_T2_T3_T4_jRjT5_jjP12ihipStream_tbEUlT_E_NS1_11comp_targetILNS1_3genE8ELNS1_11target_archE1030ELNS1_3gpuE2ELNS1_3repE0EEENS1_44radix_sort_block_sort_config_static_selectorELNS0_4arch9wavefront6targetE0EEEvSF_: ; @_ZN7rocprim17ROCPRIM_400000_NS6detail17trampoline_kernelINS0_13kernel_configILj256ELj4ELj4294967295EEENS1_37radix_sort_block_sort_config_selectorItNS0_10empty_typeEEEZNS1_21radix_sort_block_sortIS4_Lb1EPKtPtPS6_SC_NS0_19identity_decomposerEEE10hipError_tT1_T2_T3_T4_jRjT5_jjP12ihipStream_tbEUlT_E_NS1_11comp_targetILNS1_3genE8ELNS1_11target_archE1030ELNS1_3gpuE2ELNS1_3repE0EEENS1_44radix_sort_block_sort_config_static_selectorELNS0_4arch9wavefront6targetE0EEEvSF_
; %bb.0:
	.section	.rodata,"a",@progbits
	.p2align	6, 0x0
	.amdhsa_kernel _ZN7rocprim17ROCPRIM_400000_NS6detail17trampoline_kernelINS0_13kernel_configILj256ELj4ELj4294967295EEENS1_37radix_sort_block_sort_config_selectorItNS0_10empty_typeEEEZNS1_21radix_sort_block_sortIS4_Lb1EPKtPtPS6_SC_NS0_19identity_decomposerEEE10hipError_tT1_T2_T3_T4_jRjT5_jjP12ihipStream_tbEUlT_E_NS1_11comp_targetILNS1_3genE8ELNS1_11target_archE1030ELNS1_3gpuE2ELNS1_3repE0EEENS1_44radix_sort_block_sort_config_static_selectorELNS0_4arch9wavefront6targetE0EEEvSF_
		.amdhsa_group_segment_fixed_size 0
		.amdhsa_private_segment_fixed_size 0
		.amdhsa_kernarg_size 48
		.amdhsa_user_sgpr_count 2
		.amdhsa_user_sgpr_dispatch_ptr 0
		.amdhsa_user_sgpr_queue_ptr 0
		.amdhsa_user_sgpr_kernarg_segment_ptr 1
		.amdhsa_user_sgpr_dispatch_id 0
		.amdhsa_user_sgpr_kernarg_preload_length 0
		.amdhsa_user_sgpr_kernarg_preload_offset 0
		.amdhsa_user_sgpr_private_segment_size 0
		.amdhsa_wavefront_size32 1
		.amdhsa_uses_dynamic_stack 0
		.amdhsa_enable_private_segment 0
		.amdhsa_system_sgpr_workgroup_id_x 1
		.amdhsa_system_sgpr_workgroup_id_y 0
		.amdhsa_system_sgpr_workgroup_id_z 0
		.amdhsa_system_sgpr_workgroup_info 0
		.amdhsa_system_vgpr_workitem_id 0
		.amdhsa_next_free_vgpr 1
		.amdhsa_next_free_sgpr 1
		.amdhsa_named_barrier_count 0
		.amdhsa_reserve_vcc 0
		.amdhsa_float_round_mode_32 0
		.amdhsa_float_round_mode_16_64 0
		.amdhsa_float_denorm_mode_32 3
		.amdhsa_float_denorm_mode_16_64 3
		.amdhsa_fp16_overflow 0
		.amdhsa_memory_ordered 1
		.amdhsa_forward_progress 1
		.amdhsa_inst_pref_size 0
		.amdhsa_round_robin_scheduling 0
		.amdhsa_exception_fp_ieee_invalid_op 0
		.amdhsa_exception_fp_denorm_src 0
		.amdhsa_exception_fp_ieee_div_zero 0
		.amdhsa_exception_fp_ieee_overflow 0
		.amdhsa_exception_fp_ieee_underflow 0
		.amdhsa_exception_fp_ieee_inexact 0
		.amdhsa_exception_int_div_zero 0
	.end_amdhsa_kernel
	.section	.text._ZN7rocprim17ROCPRIM_400000_NS6detail17trampoline_kernelINS0_13kernel_configILj256ELj4ELj4294967295EEENS1_37radix_sort_block_sort_config_selectorItNS0_10empty_typeEEEZNS1_21radix_sort_block_sortIS4_Lb1EPKtPtPS6_SC_NS0_19identity_decomposerEEE10hipError_tT1_T2_T3_T4_jRjT5_jjP12ihipStream_tbEUlT_E_NS1_11comp_targetILNS1_3genE8ELNS1_11target_archE1030ELNS1_3gpuE2ELNS1_3repE0EEENS1_44radix_sort_block_sort_config_static_selectorELNS0_4arch9wavefront6targetE0EEEvSF_,"axG",@progbits,_ZN7rocprim17ROCPRIM_400000_NS6detail17trampoline_kernelINS0_13kernel_configILj256ELj4ELj4294967295EEENS1_37radix_sort_block_sort_config_selectorItNS0_10empty_typeEEEZNS1_21radix_sort_block_sortIS4_Lb1EPKtPtPS6_SC_NS0_19identity_decomposerEEE10hipError_tT1_T2_T3_T4_jRjT5_jjP12ihipStream_tbEUlT_E_NS1_11comp_targetILNS1_3genE8ELNS1_11target_archE1030ELNS1_3gpuE2ELNS1_3repE0EEENS1_44radix_sort_block_sort_config_static_selectorELNS0_4arch9wavefront6targetE0EEEvSF_,comdat
.Lfunc_end2294:
	.size	_ZN7rocprim17ROCPRIM_400000_NS6detail17trampoline_kernelINS0_13kernel_configILj256ELj4ELj4294967295EEENS1_37radix_sort_block_sort_config_selectorItNS0_10empty_typeEEEZNS1_21radix_sort_block_sortIS4_Lb1EPKtPtPS6_SC_NS0_19identity_decomposerEEE10hipError_tT1_T2_T3_T4_jRjT5_jjP12ihipStream_tbEUlT_E_NS1_11comp_targetILNS1_3genE8ELNS1_11target_archE1030ELNS1_3gpuE2ELNS1_3repE0EEENS1_44radix_sort_block_sort_config_static_selectorELNS0_4arch9wavefront6targetE0EEEvSF_, .Lfunc_end2294-_ZN7rocprim17ROCPRIM_400000_NS6detail17trampoline_kernelINS0_13kernel_configILj256ELj4ELj4294967295EEENS1_37radix_sort_block_sort_config_selectorItNS0_10empty_typeEEEZNS1_21radix_sort_block_sortIS4_Lb1EPKtPtPS6_SC_NS0_19identity_decomposerEEE10hipError_tT1_T2_T3_T4_jRjT5_jjP12ihipStream_tbEUlT_E_NS1_11comp_targetILNS1_3genE8ELNS1_11target_archE1030ELNS1_3gpuE2ELNS1_3repE0EEENS1_44radix_sort_block_sort_config_static_selectorELNS0_4arch9wavefront6targetE0EEEvSF_
                                        ; -- End function
	.set _ZN7rocprim17ROCPRIM_400000_NS6detail17trampoline_kernelINS0_13kernel_configILj256ELj4ELj4294967295EEENS1_37radix_sort_block_sort_config_selectorItNS0_10empty_typeEEEZNS1_21radix_sort_block_sortIS4_Lb1EPKtPtPS6_SC_NS0_19identity_decomposerEEE10hipError_tT1_T2_T3_T4_jRjT5_jjP12ihipStream_tbEUlT_E_NS1_11comp_targetILNS1_3genE8ELNS1_11target_archE1030ELNS1_3gpuE2ELNS1_3repE0EEENS1_44radix_sort_block_sort_config_static_selectorELNS0_4arch9wavefront6targetE0EEEvSF_.num_vgpr, 0
	.set _ZN7rocprim17ROCPRIM_400000_NS6detail17trampoline_kernelINS0_13kernel_configILj256ELj4ELj4294967295EEENS1_37radix_sort_block_sort_config_selectorItNS0_10empty_typeEEEZNS1_21radix_sort_block_sortIS4_Lb1EPKtPtPS6_SC_NS0_19identity_decomposerEEE10hipError_tT1_T2_T3_T4_jRjT5_jjP12ihipStream_tbEUlT_E_NS1_11comp_targetILNS1_3genE8ELNS1_11target_archE1030ELNS1_3gpuE2ELNS1_3repE0EEENS1_44radix_sort_block_sort_config_static_selectorELNS0_4arch9wavefront6targetE0EEEvSF_.num_agpr, 0
	.set _ZN7rocprim17ROCPRIM_400000_NS6detail17trampoline_kernelINS0_13kernel_configILj256ELj4ELj4294967295EEENS1_37radix_sort_block_sort_config_selectorItNS0_10empty_typeEEEZNS1_21radix_sort_block_sortIS4_Lb1EPKtPtPS6_SC_NS0_19identity_decomposerEEE10hipError_tT1_T2_T3_T4_jRjT5_jjP12ihipStream_tbEUlT_E_NS1_11comp_targetILNS1_3genE8ELNS1_11target_archE1030ELNS1_3gpuE2ELNS1_3repE0EEENS1_44radix_sort_block_sort_config_static_selectorELNS0_4arch9wavefront6targetE0EEEvSF_.numbered_sgpr, 0
	.set _ZN7rocprim17ROCPRIM_400000_NS6detail17trampoline_kernelINS0_13kernel_configILj256ELj4ELj4294967295EEENS1_37radix_sort_block_sort_config_selectorItNS0_10empty_typeEEEZNS1_21radix_sort_block_sortIS4_Lb1EPKtPtPS6_SC_NS0_19identity_decomposerEEE10hipError_tT1_T2_T3_T4_jRjT5_jjP12ihipStream_tbEUlT_E_NS1_11comp_targetILNS1_3genE8ELNS1_11target_archE1030ELNS1_3gpuE2ELNS1_3repE0EEENS1_44radix_sort_block_sort_config_static_selectorELNS0_4arch9wavefront6targetE0EEEvSF_.num_named_barrier, 0
	.set _ZN7rocprim17ROCPRIM_400000_NS6detail17trampoline_kernelINS0_13kernel_configILj256ELj4ELj4294967295EEENS1_37radix_sort_block_sort_config_selectorItNS0_10empty_typeEEEZNS1_21radix_sort_block_sortIS4_Lb1EPKtPtPS6_SC_NS0_19identity_decomposerEEE10hipError_tT1_T2_T3_T4_jRjT5_jjP12ihipStream_tbEUlT_E_NS1_11comp_targetILNS1_3genE8ELNS1_11target_archE1030ELNS1_3gpuE2ELNS1_3repE0EEENS1_44radix_sort_block_sort_config_static_selectorELNS0_4arch9wavefront6targetE0EEEvSF_.private_seg_size, 0
	.set _ZN7rocprim17ROCPRIM_400000_NS6detail17trampoline_kernelINS0_13kernel_configILj256ELj4ELj4294967295EEENS1_37radix_sort_block_sort_config_selectorItNS0_10empty_typeEEEZNS1_21radix_sort_block_sortIS4_Lb1EPKtPtPS6_SC_NS0_19identity_decomposerEEE10hipError_tT1_T2_T3_T4_jRjT5_jjP12ihipStream_tbEUlT_E_NS1_11comp_targetILNS1_3genE8ELNS1_11target_archE1030ELNS1_3gpuE2ELNS1_3repE0EEENS1_44radix_sort_block_sort_config_static_selectorELNS0_4arch9wavefront6targetE0EEEvSF_.uses_vcc, 0
	.set _ZN7rocprim17ROCPRIM_400000_NS6detail17trampoline_kernelINS0_13kernel_configILj256ELj4ELj4294967295EEENS1_37radix_sort_block_sort_config_selectorItNS0_10empty_typeEEEZNS1_21radix_sort_block_sortIS4_Lb1EPKtPtPS6_SC_NS0_19identity_decomposerEEE10hipError_tT1_T2_T3_T4_jRjT5_jjP12ihipStream_tbEUlT_E_NS1_11comp_targetILNS1_3genE8ELNS1_11target_archE1030ELNS1_3gpuE2ELNS1_3repE0EEENS1_44radix_sort_block_sort_config_static_selectorELNS0_4arch9wavefront6targetE0EEEvSF_.uses_flat_scratch, 0
	.set _ZN7rocprim17ROCPRIM_400000_NS6detail17trampoline_kernelINS0_13kernel_configILj256ELj4ELj4294967295EEENS1_37radix_sort_block_sort_config_selectorItNS0_10empty_typeEEEZNS1_21radix_sort_block_sortIS4_Lb1EPKtPtPS6_SC_NS0_19identity_decomposerEEE10hipError_tT1_T2_T3_T4_jRjT5_jjP12ihipStream_tbEUlT_E_NS1_11comp_targetILNS1_3genE8ELNS1_11target_archE1030ELNS1_3gpuE2ELNS1_3repE0EEENS1_44radix_sort_block_sort_config_static_selectorELNS0_4arch9wavefront6targetE0EEEvSF_.has_dyn_sized_stack, 0
	.set _ZN7rocprim17ROCPRIM_400000_NS6detail17trampoline_kernelINS0_13kernel_configILj256ELj4ELj4294967295EEENS1_37radix_sort_block_sort_config_selectorItNS0_10empty_typeEEEZNS1_21radix_sort_block_sortIS4_Lb1EPKtPtPS6_SC_NS0_19identity_decomposerEEE10hipError_tT1_T2_T3_T4_jRjT5_jjP12ihipStream_tbEUlT_E_NS1_11comp_targetILNS1_3genE8ELNS1_11target_archE1030ELNS1_3gpuE2ELNS1_3repE0EEENS1_44radix_sort_block_sort_config_static_selectorELNS0_4arch9wavefront6targetE0EEEvSF_.has_recursion, 0
	.set _ZN7rocprim17ROCPRIM_400000_NS6detail17trampoline_kernelINS0_13kernel_configILj256ELj4ELj4294967295EEENS1_37radix_sort_block_sort_config_selectorItNS0_10empty_typeEEEZNS1_21radix_sort_block_sortIS4_Lb1EPKtPtPS6_SC_NS0_19identity_decomposerEEE10hipError_tT1_T2_T3_T4_jRjT5_jjP12ihipStream_tbEUlT_E_NS1_11comp_targetILNS1_3genE8ELNS1_11target_archE1030ELNS1_3gpuE2ELNS1_3repE0EEENS1_44radix_sort_block_sort_config_static_selectorELNS0_4arch9wavefront6targetE0EEEvSF_.has_indirect_call, 0
	.section	.AMDGPU.csdata,"",@progbits
; Kernel info:
; codeLenInByte = 0
; TotalNumSgprs: 0
; NumVgprs: 0
; ScratchSize: 0
; MemoryBound: 0
; FloatMode: 240
; IeeeMode: 1
; LDSByteSize: 0 bytes/workgroup (compile time only)
; SGPRBlocks: 0
; VGPRBlocks: 0
; NumSGPRsForWavesPerEU: 1
; NumVGPRsForWavesPerEU: 1
; NamedBarCnt: 0
; Occupancy: 16
; WaveLimiterHint : 0
; COMPUTE_PGM_RSRC2:SCRATCH_EN: 0
; COMPUTE_PGM_RSRC2:USER_SGPR: 2
; COMPUTE_PGM_RSRC2:TRAP_HANDLER: 0
; COMPUTE_PGM_RSRC2:TGID_X_EN: 1
; COMPUTE_PGM_RSRC2:TGID_Y_EN: 0
; COMPUTE_PGM_RSRC2:TGID_Z_EN: 0
; COMPUTE_PGM_RSRC2:TIDIG_COMP_CNT: 0
	.section	.text._ZN7rocprim17ROCPRIM_400000_NS6detail44device_merge_sort_compile_time_verifier_archINS1_11comp_targetILNS1_3genE0ELNS1_11target_archE4294967295ELNS1_3gpuE0ELNS1_3repE0EEES8_NS1_28merge_sort_block_sort_configILj256ELj4ELNS0_20block_sort_algorithmE0EEENS0_14default_configENS1_37merge_sort_block_sort_config_selectorItNS0_10empty_typeEEENS1_38merge_sort_block_merge_config_selectorItSE_EEEEvv,"axG",@progbits,_ZN7rocprim17ROCPRIM_400000_NS6detail44device_merge_sort_compile_time_verifier_archINS1_11comp_targetILNS1_3genE0ELNS1_11target_archE4294967295ELNS1_3gpuE0ELNS1_3repE0EEES8_NS1_28merge_sort_block_sort_configILj256ELj4ELNS0_20block_sort_algorithmE0EEENS0_14default_configENS1_37merge_sort_block_sort_config_selectorItNS0_10empty_typeEEENS1_38merge_sort_block_merge_config_selectorItSE_EEEEvv,comdat
	.protected	_ZN7rocprim17ROCPRIM_400000_NS6detail44device_merge_sort_compile_time_verifier_archINS1_11comp_targetILNS1_3genE0ELNS1_11target_archE4294967295ELNS1_3gpuE0ELNS1_3repE0EEES8_NS1_28merge_sort_block_sort_configILj256ELj4ELNS0_20block_sort_algorithmE0EEENS0_14default_configENS1_37merge_sort_block_sort_config_selectorItNS0_10empty_typeEEENS1_38merge_sort_block_merge_config_selectorItSE_EEEEvv ; -- Begin function _ZN7rocprim17ROCPRIM_400000_NS6detail44device_merge_sort_compile_time_verifier_archINS1_11comp_targetILNS1_3genE0ELNS1_11target_archE4294967295ELNS1_3gpuE0ELNS1_3repE0EEES8_NS1_28merge_sort_block_sort_configILj256ELj4ELNS0_20block_sort_algorithmE0EEENS0_14default_configENS1_37merge_sort_block_sort_config_selectorItNS0_10empty_typeEEENS1_38merge_sort_block_merge_config_selectorItSE_EEEEvv
	.globl	_ZN7rocprim17ROCPRIM_400000_NS6detail44device_merge_sort_compile_time_verifier_archINS1_11comp_targetILNS1_3genE0ELNS1_11target_archE4294967295ELNS1_3gpuE0ELNS1_3repE0EEES8_NS1_28merge_sort_block_sort_configILj256ELj4ELNS0_20block_sort_algorithmE0EEENS0_14default_configENS1_37merge_sort_block_sort_config_selectorItNS0_10empty_typeEEENS1_38merge_sort_block_merge_config_selectorItSE_EEEEvv
	.p2align	8
	.type	_ZN7rocprim17ROCPRIM_400000_NS6detail44device_merge_sort_compile_time_verifier_archINS1_11comp_targetILNS1_3genE0ELNS1_11target_archE4294967295ELNS1_3gpuE0ELNS1_3repE0EEES8_NS1_28merge_sort_block_sort_configILj256ELj4ELNS0_20block_sort_algorithmE0EEENS0_14default_configENS1_37merge_sort_block_sort_config_selectorItNS0_10empty_typeEEENS1_38merge_sort_block_merge_config_selectorItSE_EEEEvv,@function
_ZN7rocprim17ROCPRIM_400000_NS6detail44device_merge_sort_compile_time_verifier_archINS1_11comp_targetILNS1_3genE0ELNS1_11target_archE4294967295ELNS1_3gpuE0ELNS1_3repE0EEES8_NS1_28merge_sort_block_sort_configILj256ELj4ELNS0_20block_sort_algorithmE0EEENS0_14default_configENS1_37merge_sort_block_sort_config_selectorItNS0_10empty_typeEEENS1_38merge_sort_block_merge_config_selectorItSE_EEEEvv: ; @_ZN7rocprim17ROCPRIM_400000_NS6detail44device_merge_sort_compile_time_verifier_archINS1_11comp_targetILNS1_3genE0ELNS1_11target_archE4294967295ELNS1_3gpuE0ELNS1_3repE0EEES8_NS1_28merge_sort_block_sort_configILj256ELj4ELNS0_20block_sort_algorithmE0EEENS0_14default_configENS1_37merge_sort_block_sort_config_selectorItNS0_10empty_typeEEENS1_38merge_sort_block_merge_config_selectorItSE_EEEEvv
; %bb.0:
	s_endpgm
	.section	.rodata,"a",@progbits
	.p2align	6, 0x0
	.amdhsa_kernel _ZN7rocprim17ROCPRIM_400000_NS6detail44device_merge_sort_compile_time_verifier_archINS1_11comp_targetILNS1_3genE0ELNS1_11target_archE4294967295ELNS1_3gpuE0ELNS1_3repE0EEES8_NS1_28merge_sort_block_sort_configILj256ELj4ELNS0_20block_sort_algorithmE0EEENS0_14default_configENS1_37merge_sort_block_sort_config_selectorItNS0_10empty_typeEEENS1_38merge_sort_block_merge_config_selectorItSE_EEEEvv
		.amdhsa_group_segment_fixed_size 0
		.amdhsa_private_segment_fixed_size 0
		.amdhsa_kernarg_size 0
		.amdhsa_user_sgpr_count 0
		.amdhsa_user_sgpr_dispatch_ptr 0
		.amdhsa_user_sgpr_queue_ptr 0
		.amdhsa_user_sgpr_kernarg_segment_ptr 0
		.amdhsa_user_sgpr_dispatch_id 0
		.amdhsa_user_sgpr_kernarg_preload_length 0
		.amdhsa_user_sgpr_kernarg_preload_offset 0
		.amdhsa_user_sgpr_private_segment_size 0
		.amdhsa_wavefront_size32 1
		.amdhsa_uses_dynamic_stack 0
		.amdhsa_enable_private_segment 0
		.amdhsa_system_sgpr_workgroup_id_x 1
		.amdhsa_system_sgpr_workgroup_id_y 0
		.amdhsa_system_sgpr_workgroup_id_z 0
		.amdhsa_system_sgpr_workgroup_info 0
		.amdhsa_system_vgpr_workitem_id 0
		.amdhsa_next_free_vgpr 1
		.amdhsa_next_free_sgpr 1
		.amdhsa_named_barrier_count 0
		.amdhsa_reserve_vcc 0
		.amdhsa_float_round_mode_32 0
		.amdhsa_float_round_mode_16_64 0
		.amdhsa_float_denorm_mode_32 3
		.amdhsa_float_denorm_mode_16_64 3
		.amdhsa_fp16_overflow 0
		.amdhsa_memory_ordered 1
		.amdhsa_forward_progress 1
		.amdhsa_inst_pref_size 1
		.amdhsa_round_robin_scheduling 0
		.amdhsa_exception_fp_ieee_invalid_op 0
		.amdhsa_exception_fp_denorm_src 0
		.amdhsa_exception_fp_ieee_div_zero 0
		.amdhsa_exception_fp_ieee_overflow 0
		.amdhsa_exception_fp_ieee_underflow 0
		.amdhsa_exception_fp_ieee_inexact 0
		.amdhsa_exception_int_div_zero 0
	.end_amdhsa_kernel
	.section	.text._ZN7rocprim17ROCPRIM_400000_NS6detail44device_merge_sort_compile_time_verifier_archINS1_11comp_targetILNS1_3genE0ELNS1_11target_archE4294967295ELNS1_3gpuE0ELNS1_3repE0EEES8_NS1_28merge_sort_block_sort_configILj256ELj4ELNS0_20block_sort_algorithmE0EEENS0_14default_configENS1_37merge_sort_block_sort_config_selectorItNS0_10empty_typeEEENS1_38merge_sort_block_merge_config_selectorItSE_EEEEvv,"axG",@progbits,_ZN7rocprim17ROCPRIM_400000_NS6detail44device_merge_sort_compile_time_verifier_archINS1_11comp_targetILNS1_3genE0ELNS1_11target_archE4294967295ELNS1_3gpuE0ELNS1_3repE0EEES8_NS1_28merge_sort_block_sort_configILj256ELj4ELNS0_20block_sort_algorithmE0EEENS0_14default_configENS1_37merge_sort_block_sort_config_selectorItNS0_10empty_typeEEENS1_38merge_sort_block_merge_config_selectorItSE_EEEEvv,comdat
.Lfunc_end2295:
	.size	_ZN7rocprim17ROCPRIM_400000_NS6detail44device_merge_sort_compile_time_verifier_archINS1_11comp_targetILNS1_3genE0ELNS1_11target_archE4294967295ELNS1_3gpuE0ELNS1_3repE0EEES8_NS1_28merge_sort_block_sort_configILj256ELj4ELNS0_20block_sort_algorithmE0EEENS0_14default_configENS1_37merge_sort_block_sort_config_selectorItNS0_10empty_typeEEENS1_38merge_sort_block_merge_config_selectorItSE_EEEEvv, .Lfunc_end2295-_ZN7rocprim17ROCPRIM_400000_NS6detail44device_merge_sort_compile_time_verifier_archINS1_11comp_targetILNS1_3genE0ELNS1_11target_archE4294967295ELNS1_3gpuE0ELNS1_3repE0EEES8_NS1_28merge_sort_block_sort_configILj256ELj4ELNS0_20block_sort_algorithmE0EEENS0_14default_configENS1_37merge_sort_block_sort_config_selectorItNS0_10empty_typeEEENS1_38merge_sort_block_merge_config_selectorItSE_EEEEvv
                                        ; -- End function
	.set _ZN7rocprim17ROCPRIM_400000_NS6detail44device_merge_sort_compile_time_verifier_archINS1_11comp_targetILNS1_3genE0ELNS1_11target_archE4294967295ELNS1_3gpuE0ELNS1_3repE0EEES8_NS1_28merge_sort_block_sort_configILj256ELj4ELNS0_20block_sort_algorithmE0EEENS0_14default_configENS1_37merge_sort_block_sort_config_selectorItNS0_10empty_typeEEENS1_38merge_sort_block_merge_config_selectorItSE_EEEEvv.num_vgpr, 0
	.set _ZN7rocprim17ROCPRIM_400000_NS6detail44device_merge_sort_compile_time_verifier_archINS1_11comp_targetILNS1_3genE0ELNS1_11target_archE4294967295ELNS1_3gpuE0ELNS1_3repE0EEES8_NS1_28merge_sort_block_sort_configILj256ELj4ELNS0_20block_sort_algorithmE0EEENS0_14default_configENS1_37merge_sort_block_sort_config_selectorItNS0_10empty_typeEEENS1_38merge_sort_block_merge_config_selectorItSE_EEEEvv.num_agpr, 0
	.set _ZN7rocprim17ROCPRIM_400000_NS6detail44device_merge_sort_compile_time_verifier_archINS1_11comp_targetILNS1_3genE0ELNS1_11target_archE4294967295ELNS1_3gpuE0ELNS1_3repE0EEES8_NS1_28merge_sort_block_sort_configILj256ELj4ELNS0_20block_sort_algorithmE0EEENS0_14default_configENS1_37merge_sort_block_sort_config_selectorItNS0_10empty_typeEEENS1_38merge_sort_block_merge_config_selectorItSE_EEEEvv.numbered_sgpr, 0
	.set _ZN7rocprim17ROCPRIM_400000_NS6detail44device_merge_sort_compile_time_verifier_archINS1_11comp_targetILNS1_3genE0ELNS1_11target_archE4294967295ELNS1_3gpuE0ELNS1_3repE0EEES8_NS1_28merge_sort_block_sort_configILj256ELj4ELNS0_20block_sort_algorithmE0EEENS0_14default_configENS1_37merge_sort_block_sort_config_selectorItNS0_10empty_typeEEENS1_38merge_sort_block_merge_config_selectorItSE_EEEEvv.num_named_barrier, 0
	.set _ZN7rocprim17ROCPRIM_400000_NS6detail44device_merge_sort_compile_time_verifier_archINS1_11comp_targetILNS1_3genE0ELNS1_11target_archE4294967295ELNS1_3gpuE0ELNS1_3repE0EEES8_NS1_28merge_sort_block_sort_configILj256ELj4ELNS0_20block_sort_algorithmE0EEENS0_14default_configENS1_37merge_sort_block_sort_config_selectorItNS0_10empty_typeEEENS1_38merge_sort_block_merge_config_selectorItSE_EEEEvv.private_seg_size, 0
	.set _ZN7rocprim17ROCPRIM_400000_NS6detail44device_merge_sort_compile_time_verifier_archINS1_11comp_targetILNS1_3genE0ELNS1_11target_archE4294967295ELNS1_3gpuE0ELNS1_3repE0EEES8_NS1_28merge_sort_block_sort_configILj256ELj4ELNS0_20block_sort_algorithmE0EEENS0_14default_configENS1_37merge_sort_block_sort_config_selectorItNS0_10empty_typeEEENS1_38merge_sort_block_merge_config_selectorItSE_EEEEvv.uses_vcc, 0
	.set _ZN7rocprim17ROCPRIM_400000_NS6detail44device_merge_sort_compile_time_verifier_archINS1_11comp_targetILNS1_3genE0ELNS1_11target_archE4294967295ELNS1_3gpuE0ELNS1_3repE0EEES8_NS1_28merge_sort_block_sort_configILj256ELj4ELNS0_20block_sort_algorithmE0EEENS0_14default_configENS1_37merge_sort_block_sort_config_selectorItNS0_10empty_typeEEENS1_38merge_sort_block_merge_config_selectorItSE_EEEEvv.uses_flat_scratch, 0
	.set _ZN7rocprim17ROCPRIM_400000_NS6detail44device_merge_sort_compile_time_verifier_archINS1_11comp_targetILNS1_3genE0ELNS1_11target_archE4294967295ELNS1_3gpuE0ELNS1_3repE0EEES8_NS1_28merge_sort_block_sort_configILj256ELj4ELNS0_20block_sort_algorithmE0EEENS0_14default_configENS1_37merge_sort_block_sort_config_selectorItNS0_10empty_typeEEENS1_38merge_sort_block_merge_config_selectorItSE_EEEEvv.has_dyn_sized_stack, 0
	.set _ZN7rocprim17ROCPRIM_400000_NS6detail44device_merge_sort_compile_time_verifier_archINS1_11comp_targetILNS1_3genE0ELNS1_11target_archE4294967295ELNS1_3gpuE0ELNS1_3repE0EEES8_NS1_28merge_sort_block_sort_configILj256ELj4ELNS0_20block_sort_algorithmE0EEENS0_14default_configENS1_37merge_sort_block_sort_config_selectorItNS0_10empty_typeEEENS1_38merge_sort_block_merge_config_selectorItSE_EEEEvv.has_recursion, 0
	.set _ZN7rocprim17ROCPRIM_400000_NS6detail44device_merge_sort_compile_time_verifier_archINS1_11comp_targetILNS1_3genE0ELNS1_11target_archE4294967295ELNS1_3gpuE0ELNS1_3repE0EEES8_NS1_28merge_sort_block_sort_configILj256ELj4ELNS0_20block_sort_algorithmE0EEENS0_14default_configENS1_37merge_sort_block_sort_config_selectorItNS0_10empty_typeEEENS1_38merge_sort_block_merge_config_selectorItSE_EEEEvv.has_indirect_call, 0
	.section	.AMDGPU.csdata,"",@progbits
; Kernel info:
; codeLenInByte = 4
; TotalNumSgprs: 0
; NumVgprs: 0
; ScratchSize: 0
; MemoryBound: 0
; FloatMode: 240
; IeeeMode: 1
; LDSByteSize: 0 bytes/workgroup (compile time only)
; SGPRBlocks: 0
; VGPRBlocks: 0
; NumSGPRsForWavesPerEU: 1
; NumVGPRsForWavesPerEU: 1
; NamedBarCnt: 0
; Occupancy: 16
; WaveLimiterHint : 0
; COMPUTE_PGM_RSRC2:SCRATCH_EN: 0
; COMPUTE_PGM_RSRC2:USER_SGPR: 0
; COMPUTE_PGM_RSRC2:TRAP_HANDLER: 0
; COMPUTE_PGM_RSRC2:TGID_X_EN: 1
; COMPUTE_PGM_RSRC2:TGID_Y_EN: 0
; COMPUTE_PGM_RSRC2:TGID_Z_EN: 0
; COMPUTE_PGM_RSRC2:TIDIG_COMP_CNT: 0
	.section	.text._ZN7rocprim17ROCPRIM_400000_NS6detail44device_merge_sort_compile_time_verifier_archINS1_11comp_targetILNS1_3genE5ELNS1_11target_archE942ELNS1_3gpuE9ELNS1_3repE0EEES8_NS1_28merge_sort_block_sort_configILj256ELj4ELNS0_20block_sort_algorithmE0EEENS0_14default_configENS1_37merge_sort_block_sort_config_selectorItNS0_10empty_typeEEENS1_38merge_sort_block_merge_config_selectorItSE_EEEEvv,"axG",@progbits,_ZN7rocprim17ROCPRIM_400000_NS6detail44device_merge_sort_compile_time_verifier_archINS1_11comp_targetILNS1_3genE5ELNS1_11target_archE942ELNS1_3gpuE9ELNS1_3repE0EEES8_NS1_28merge_sort_block_sort_configILj256ELj4ELNS0_20block_sort_algorithmE0EEENS0_14default_configENS1_37merge_sort_block_sort_config_selectorItNS0_10empty_typeEEENS1_38merge_sort_block_merge_config_selectorItSE_EEEEvv,comdat
	.protected	_ZN7rocprim17ROCPRIM_400000_NS6detail44device_merge_sort_compile_time_verifier_archINS1_11comp_targetILNS1_3genE5ELNS1_11target_archE942ELNS1_3gpuE9ELNS1_3repE0EEES8_NS1_28merge_sort_block_sort_configILj256ELj4ELNS0_20block_sort_algorithmE0EEENS0_14default_configENS1_37merge_sort_block_sort_config_selectorItNS0_10empty_typeEEENS1_38merge_sort_block_merge_config_selectorItSE_EEEEvv ; -- Begin function _ZN7rocprim17ROCPRIM_400000_NS6detail44device_merge_sort_compile_time_verifier_archINS1_11comp_targetILNS1_3genE5ELNS1_11target_archE942ELNS1_3gpuE9ELNS1_3repE0EEES8_NS1_28merge_sort_block_sort_configILj256ELj4ELNS0_20block_sort_algorithmE0EEENS0_14default_configENS1_37merge_sort_block_sort_config_selectorItNS0_10empty_typeEEENS1_38merge_sort_block_merge_config_selectorItSE_EEEEvv
	.globl	_ZN7rocprim17ROCPRIM_400000_NS6detail44device_merge_sort_compile_time_verifier_archINS1_11comp_targetILNS1_3genE5ELNS1_11target_archE942ELNS1_3gpuE9ELNS1_3repE0EEES8_NS1_28merge_sort_block_sort_configILj256ELj4ELNS0_20block_sort_algorithmE0EEENS0_14default_configENS1_37merge_sort_block_sort_config_selectorItNS0_10empty_typeEEENS1_38merge_sort_block_merge_config_selectorItSE_EEEEvv
	.p2align	8
	.type	_ZN7rocprim17ROCPRIM_400000_NS6detail44device_merge_sort_compile_time_verifier_archINS1_11comp_targetILNS1_3genE5ELNS1_11target_archE942ELNS1_3gpuE9ELNS1_3repE0EEES8_NS1_28merge_sort_block_sort_configILj256ELj4ELNS0_20block_sort_algorithmE0EEENS0_14default_configENS1_37merge_sort_block_sort_config_selectorItNS0_10empty_typeEEENS1_38merge_sort_block_merge_config_selectorItSE_EEEEvv,@function
_ZN7rocprim17ROCPRIM_400000_NS6detail44device_merge_sort_compile_time_verifier_archINS1_11comp_targetILNS1_3genE5ELNS1_11target_archE942ELNS1_3gpuE9ELNS1_3repE0EEES8_NS1_28merge_sort_block_sort_configILj256ELj4ELNS0_20block_sort_algorithmE0EEENS0_14default_configENS1_37merge_sort_block_sort_config_selectorItNS0_10empty_typeEEENS1_38merge_sort_block_merge_config_selectorItSE_EEEEvv: ; @_ZN7rocprim17ROCPRIM_400000_NS6detail44device_merge_sort_compile_time_verifier_archINS1_11comp_targetILNS1_3genE5ELNS1_11target_archE942ELNS1_3gpuE9ELNS1_3repE0EEES8_NS1_28merge_sort_block_sort_configILj256ELj4ELNS0_20block_sort_algorithmE0EEENS0_14default_configENS1_37merge_sort_block_sort_config_selectorItNS0_10empty_typeEEENS1_38merge_sort_block_merge_config_selectorItSE_EEEEvv
; %bb.0:
	s_endpgm
	.section	.rodata,"a",@progbits
	.p2align	6, 0x0
	.amdhsa_kernel _ZN7rocprim17ROCPRIM_400000_NS6detail44device_merge_sort_compile_time_verifier_archINS1_11comp_targetILNS1_3genE5ELNS1_11target_archE942ELNS1_3gpuE9ELNS1_3repE0EEES8_NS1_28merge_sort_block_sort_configILj256ELj4ELNS0_20block_sort_algorithmE0EEENS0_14default_configENS1_37merge_sort_block_sort_config_selectorItNS0_10empty_typeEEENS1_38merge_sort_block_merge_config_selectorItSE_EEEEvv
		.amdhsa_group_segment_fixed_size 0
		.amdhsa_private_segment_fixed_size 0
		.amdhsa_kernarg_size 0
		.amdhsa_user_sgpr_count 0
		.amdhsa_user_sgpr_dispatch_ptr 0
		.amdhsa_user_sgpr_queue_ptr 0
		.amdhsa_user_sgpr_kernarg_segment_ptr 0
		.amdhsa_user_sgpr_dispatch_id 0
		.amdhsa_user_sgpr_kernarg_preload_length 0
		.amdhsa_user_sgpr_kernarg_preload_offset 0
		.amdhsa_user_sgpr_private_segment_size 0
		.amdhsa_wavefront_size32 1
		.amdhsa_uses_dynamic_stack 0
		.amdhsa_enable_private_segment 0
		.amdhsa_system_sgpr_workgroup_id_x 1
		.amdhsa_system_sgpr_workgroup_id_y 0
		.amdhsa_system_sgpr_workgroup_id_z 0
		.amdhsa_system_sgpr_workgroup_info 0
		.amdhsa_system_vgpr_workitem_id 0
		.amdhsa_next_free_vgpr 1
		.amdhsa_next_free_sgpr 1
		.amdhsa_named_barrier_count 0
		.amdhsa_reserve_vcc 0
		.amdhsa_float_round_mode_32 0
		.amdhsa_float_round_mode_16_64 0
		.amdhsa_float_denorm_mode_32 3
		.amdhsa_float_denorm_mode_16_64 3
		.amdhsa_fp16_overflow 0
		.amdhsa_memory_ordered 1
		.amdhsa_forward_progress 1
		.amdhsa_inst_pref_size 1
		.amdhsa_round_robin_scheduling 0
		.amdhsa_exception_fp_ieee_invalid_op 0
		.amdhsa_exception_fp_denorm_src 0
		.amdhsa_exception_fp_ieee_div_zero 0
		.amdhsa_exception_fp_ieee_overflow 0
		.amdhsa_exception_fp_ieee_underflow 0
		.amdhsa_exception_fp_ieee_inexact 0
		.amdhsa_exception_int_div_zero 0
	.end_amdhsa_kernel
	.section	.text._ZN7rocprim17ROCPRIM_400000_NS6detail44device_merge_sort_compile_time_verifier_archINS1_11comp_targetILNS1_3genE5ELNS1_11target_archE942ELNS1_3gpuE9ELNS1_3repE0EEES8_NS1_28merge_sort_block_sort_configILj256ELj4ELNS0_20block_sort_algorithmE0EEENS0_14default_configENS1_37merge_sort_block_sort_config_selectorItNS0_10empty_typeEEENS1_38merge_sort_block_merge_config_selectorItSE_EEEEvv,"axG",@progbits,_ZN7rocprim17ROCPRIM_400000_NS6detail44device_merge_sort_compile_time_verifier_archINS1_11comp_targetILNS1_3genE5ELNS1_11target_archE942ELNS1_3gpuE9ELNS1_3repE0EEES8_NS1_28merge_sort_block_sort_configILj256ELj4ELNS0_20block_sort_algorithmE0EEENS0_14default_configENS1_37merge_sort_block_sort_config_selectorItNS0_10empty_typeEEENS1_38merge_sort_block_merge_config_selectorItSE_EEEEvv,comdat
.Lfunc_end2296:
	.size	_ZN7rocprim17ROCPRIM_400000_NS6detail44device_merge_sort_compile_time_verifier_archINS1_11comp_targetILNS1_3genE5ELNS1_11target_archE942ELNS1_3gpuE9ELNS1_3repE0EEES8_NS1_28merge_sort_block_sort_configILj256ELj4ELNS0_20block_sort_algorithmE0EEENS0_14default_configENS1_37merge_sort_block_sort_config_selectorItNS0_10empty_typeEEENS1_38merge_sort_block_merge_config_selectorItSE_EEEEvv, .Lfunc_end2296-_ZN7rocprim17ROCPRIM_400000_NS6detail44device_merge_sort_compile_time_verifier_archINS1_11comp_targetILNS1_3genE5ELNS1_11target_archE942ELNS1_3gpuE9ELNS1_3repE0EEES8_NS1_28merge_sort_block_sort_configILj256ELj4ELNS0_20block_sort_algorithmE0EEENS0_14default_configENS1_37merge_sort_block_sort_config_selectorItNS0_10empty_typeEEENS1_38merge_sort_block_merge_config_selectorItSE_EEEEvv
                                        ; -- End function
	.set _ZN7rocprim17ROCPRIM_400000_NS6detail44device_merge_sort_compile_time_verifier_archINS1_11comp_targetILNS1_3genE5ELNS1_11target_archE942ELNS1_3gpuE9ELNS1_3repE0EEES8_NS1_28merge_sort_block_sort_configILj256ELj4ELNS0_20block_sort_algorithmE0EEENS0_14default_configENS1_37merge_sort_block_sort_config_selectorItNS0_10empty_typeEEENS1_38merge_sort_block_merge_config_selectorItSE_EEEEvv.num_vgpr, 0
	.set _ZN7rocprim17ROCPRIM_400000_NS6detail44device_merge_sort_compile_time_verifier_archINS1_11comp_targetILNS1_3genE5ELNS1_11target_archE942ELNS1_3gpuE9ELNS1_3repE0EEES8_NS1_28merge_sort_block_sort_configILj256ELj4ELNS0_20block_sort_algorithmE0EEENS0_14default_configENS1_37merge_sort_block_sort_config_selectorItNS0_10empty_typeEEENS1_38merge_sort_block_merge_config_selectorItSE_EEEEvv.num_agpr, 0
	.set _ZN7rocprim17ROCPRIM_400000_NS6detail44device_merge_sort_compile_time_verifier_archINS1_11comp_targetILNS1_3genE5ELNS1_11target_archE942ELNS1_3gpuE9ELNS1_3repE0EEES8_NS1_28merge_sort_block_sort_configILj256ELj4ELNS0_20block_sort_algorithmE0EEENS0_14default_configENS1_37merge_sort_block_sort_config_selectorItNS0_10empty_typeEEENS1_38merge_sort_block_merge_config_selectorItSE_EEEEvv.numbered_sgpr, 0
	.set _ZN7rocprim17ROCPRIM_400000_NS6detail44device_merge_sort_compile_time_verifier_archINS1_11comp_targetILNS1_3genE5ELNS1_11target_archE942ELNS1_3gpuE9ELNS1_3repE0EEES8_NS1_28merge_sort_block_sort_configILj256ELj4ELNS0_20block_sort_algorithmE0EEENS0_14default_configENS1_37merge_sort_block_sort_config_selectorItNS0_10empty_typeEEENS1_38merge_sort_block_merge_config_selectorItSE_EEEEvv.num_named_barrier, 0
	.set _ZN7rocprim17ROCPRIM_400000_NS6detail44device_merge_sort_compile_time_verifier_archINS1_11comp_targetILNS1_3genE5ELNS1_11target_archE942ELNS1_3gpuE9ELNS1_3repE0EEES8_NS1_28merge_sort_block_sort_configILj256ELj4ELNS0_20block_sort_algorithmE0EEENS0_14default_configENS1_37merge_sort_block_sort_config_selectorItNS0_10empty_typeEEENS1_38merge_sort_block_merge_config_selectorItSE_EEEEvv.private_seg_size, 0
	.set _ZN7rocprim17ROCPRIM_400000_NS6detail44device_merge_sort_compile_time_verifier_archINS1_11comp_targetILNS1_3genE5ELNS1_11target_archE942ELNS1_3gpuE9ELNS1_3repE0EEES8_NS1_28merge_sort_block_sort_configILj256ELj4ELNS0_20block_sort_algorithmE0EEENS0_14default_configENS1_37merge_sort_block_sort_config_selectorItNS0_10empty_typeEEENS1_38merge_sort_block_merge_config_selectorItSE_EEEEvv.uses_vcc, 0
	.set _ZN7rocprim17ROCPRIM_400000_NS6detail44device_merge_sort_compile_time_verifier_archINS1_11comp_targetILNS1_3genE5ELNS1_11target_archE942ELNS1_3gpuE9ELNS1_3repE0EEES8_NS1_28merge_sort_block_sort_configILj256ELj4ELNS0_20block_sort_algorithmE0EEENS0_14default_configENS1_37merge_sort_block_sort_config_selectorItNS0_10empty_typeEEENS1_38merge_sort_block_merge_config_selectorItSE_EEEEvv.uses_flat_scratch, 0
	.set _ZN7rocprim17ROCPRIM_400000_NS6detail44device_merge_sort_compile_time_verifier_archINS1_11comp_targetILNS1_3genE5ELNS1_11target_archE942ELNS1_3gpuE9ELNS1_3repE0EEES8_NS1_28merge_sort_block_sort_configILj256ELj4ELNS0_20block_sort_algorithmE0EEENS0_14default_configENS1_37merge_sort_block_sort_config_selectorItNS0_10empty_typeEEENS1_38merge_sort_block_merge_config_selectorItSE_EEEEvv.has_dyn_sized_stack, 0
	.set _ZN7rocprim17ROCPRIM_400000_NS6detail44device_merge_sort_compile_time_verifier_archINS1_11comp_targetILNS1_3genE5ELNS1_11target_archE942ELNS1_3gpuE9ELNS1_3repE0EEES8_NS1_28merge_sort_block_sort_configILj256ELj4ELNS0_20block_sort_algorithmE0EEENS0_14default_configENS1_37merge_sort_block_sort_config_selectorItNS0_10empty_typeEEENS1_38merge_sort_block_merge_config_selectorItSE_EEEEvv.has_recursion, 0
	.set _ZN7rocprim17ROCPRIM_400000_NS6detail44device_merge_sort_compile_time_verifier_archINS1_11comp_targetILNS1_3genE5ELNS1_11target_archE942ELNS1_3gpuE9ELNS1_3repE0EEES8_NS1_28merge_sort_block_sort_configILj256ELj4ELNS0_20block_sort_algorithmE0EEENS0_14default_configENS1_37merge_sort_block_sort_config_selectorItNS0_10empty_typeEEENS1_38merge_sort_block_merge_config_selectorItSE_EEEEvv.has_indirect_call, 0
	.section	.AMDGPU.csdata,"",@progbits
; Kernel info:
; codeLenInByte = 4
; TotalNumSgprs: 0
; NumVgprs: 0
; ScratchSize: 0
; MemoryBound: 0
; FloatMode: 240
; IeeeMode: 1
; LDSByteSize: 0 bytes/workgroup (compile time only)
; SGPRBlocks: 0
; VGPRBlocks: 0
; NumSGPRsForWavesPerEU: 1
; NumVGPRsForWavesPerEU: 1
; NamedBarCnt: 0
; Occupancy: 16
; WaveLimiterHint : 0
; COMPUTE_PGM_RSRC2:SCRATCH_EN: 0
; COMPUTE_PGM_RSRC2:USER_SGPR: 0
; COMPUTE_PGM_RSRC2:TRAP_HANDLER: 0
; COMPUTE_PGM_RSRC2:TGID_X_EN: 1
; COMPUTE_PGM_RSRC2:TGID_Y_EN: 0
; COMPUTE_PGM_RSRC2:TGID_Z_EN: 0
; COMPUTE_PGM_RSRC2:TIDIG_COMP_CNT: 0
	.section	.text._ZN7rocprim17ROCPRIM_400000_NS6detail44device_merge_sort_compile_time_verifier_archINS1_11comp_targetILNS1_3genE4ELNS1_11target_archE910ELNS1_3gpuE8ELNS1_3repE0EEES8_NS1_28merge_sort_block_sort_configILj256ELj4ELNS0_20block_sort_algorithmE0EEENS0_14default_configENS1_37merge_sort_block_sort_config_selectorItNS0_10empty_typeEEENS1_38merge_sort_block_merge_config_selectorItSE_EEEEvv,"axG",@progbits,_ZN7rocprim17ROCPRIM_400000_NS6detail44device_merge_sort_compile_time_verifier_archINS1_11comp_targetILNS1_3genE4ELNS1_11target_archE910ELNS1_3gpuE8ELNS1_3repE0EEES8_NS1_28merge_sort_block_sort_configILj256ELj4ELNS0_20block_sort_algorithmE0EEENS0_14default_configENS1_37merge_sort_block_sort_config_selectorItNS0_10empty_typeEEENS1_38merge_sort_block_merge_config_selectorItSE_EEEEvv,comdat
	.protected	_ZN7rocprim17ROCPRIM_400000_NS6detail44device_merge_sort_compile_time_verifier_archINS1_11comp_targetILNS1_3genE4ELNS1_11target_archE910ELNS1_3gpuE8ELNS1_3repE0EEES8_NS1_28merge_sort_block_sort_configILj256ELj4ELNS0_20block_sort_algorithmE0EEENS0_14default_configENS1_37merge_sort_block_sort_config_selectorItNS0_10empty_typeEEENS1_38merge_sort_block_merge_config_selectorItSE_EEEEvv ; -- Begin function _ZN7rocprim17ROCPRIM_400000_NS6detail44device_merge_sort_compile_time_verifier_archINS1_11comp_targetILNS1_3genE4ELNS1_11target_archE910ELNS1_3gpuE8ELNS1_3repE0EEES8_NS1_28merge_sort_block_sort_configILj256ELj4ELNS0_20block_sort_algorithmE0EEENS0_14default_configENS1_37merge_sort_block_sort_config_selectorItNS0_10empty_typeEEENS1_38merge_sort_block_merge_config_selectorItSE_EEEEvv
	.globl	_ZN7rocprim17ROCPRIM_400000_NS6detail44device_merge_sort_compile_time_verifier_archINS1_11comp_targetILNS1_3genE4ELNS1_11target_archE910ELNS1_3gpuE8ELNS1_3repE0EEES8_NS1_28merge_sort_block_sort_configILj256ELj4ELNS0_20block_sort_algorithmE0EEENS0_14default_configENS1_37merge_sort_block_sort_config_selectorItNS0_10empty_typeEEENS1_38merge_sort_block_merge_config_selectorItSE_EEEEvv
	.p2align	8
	.type	_ZN7rocprim17ROCPRIM_400000_NS6detail44device_merge_sort_compile_time_verifier_archINS1_11comp_targetILNS1_3genE4ELNS1_11target_archE910ELNS1_3gpuE8ELNS1_3repE0EEES8_NS1_28merge_sort_block_sort_configILj256ELj4ELNS0_20block_sort_algorithmE0EEENS0_14default_configENS1_37merge_sort_block_sort_config_selectorItNS0_10empty_typeEEENS1_38merge_sort_block_merge_config_selectorItSE_EEEEvv,@function
_ZN7rocprim17ROCPRIM_400000_NS6detail44device_merge_sort_compile_time_verifier_archINS1_11comp_targetILNS1_3genE4ELNS1_11target_archE910ELNS1_3gpuE8ELNS1_3repE0EEES8_NS1_28merge_sort_block_sort_configILj256ELj4ELNS0_20block_sort_algorithmE0EEENS0_14default_configENS1_37merge_sort_block_sort_config_selectorItNS0_10empty_typeEEENS1_38merge_sort_block_merge_config_selectorItSE_EEEEvv: ; @_ZN7rocprim17ROCPRIM_400000_NS6detail44device_merge_sort_compile_time_verifier_archINS1_11comp_targetILNS1_3genE4ELNS1_11target_archE910ELNS1_3gpuE8ELNS1_3repE0EEES8_NS1_28merge_sort_block_sort_configILj256ELj4ELNS0_20block_sort_algorithmE0EEENS0_14default_configENS1_37merge_sort_block_sort_config_selectorItNS0_10empty_typeEEENS1_38merge_sort_block_merge_config_selectorItSE_EEEEvv
; %bb.0:
	s_endpgm
	.section	.rodata,"a",@progbits
	.p2align	6, 0x0
	.amdhsa_kernel _ZN7rocprim17ROCPRIM_400000_NS6detail44device_merge_sort_compile_time_verifier_archINS1_11comp_targetILNS1_3genE4ELNS1_11target_archE910ELNS1_3gpuE8ELNS1_3repE0EEES8_NS1_28merge_sort_block_sort_configILj256ELj4ELNS0_20block_sort_algorithmE0EEENS0_14default_configENS1_37merge_sort_block_sort_config_selectorItNS0_10empty_typeEEENS1_38merge_sort_block_merge_config_selectorItSE_EEEEvv
		.amdhsa_group_segment_fixed_size 0
		.amdhsa_private_segment_fixed_size 0
		.amdhsa_kernarg_size 0
		.amdhsa_user_sgpr_count 0
		.amdhsa_user_sgpr_dispatch_ptr 0
		.amdhsa_user_sgpr_queue_ptr 0
		.amdhsa_user_sgpr_kernarg_segment_ptr 0
		.amdhsa_user_sgpr_dispatch_id 0
		.amdhsa_user_sgpr_kernarg_preload_length 0
		.amdhsa_user_sgpr_kernarg_preload_offset 0
		.amdhsa_user_sgpr_private_segment_size 0
		.amdhsa_wavefront_size32 1
		.amdhsa_uses_dynamic_stack 0
		.amdhsa_enable_private_segment 0
		.amdhsa_system_sgpr_workgroup_id_x 1
		.amdhsa_system_sgpr_workgroup_id_y 0
		.amdhsa_system_sgpr_workgroup_id_z 0
		.amdhsa_system_sgpr_workgroup_info 0
		.amdhsa_system_vgpr_workitem_id 0
		.amdhsa_next_free_vgpr 1
		.amdhsa_next_free_sgpr 1
		.amdhsa_named_barrier_count 0
		.amdhsa_reserve_vcc 0
		.amdhsa_float_round_mode_32 0
		.amdhsa_float_round_mode_16_64 0
		.amdhsa_float_denorm_mode_32 3
		.amdhsa_float_denorm_mode_16_64 3
		.amdhsa_fp16_overflow 0
		.amdhsa_memory_ordered 1
		.amdhsa_forward_progress 1
		.amdhsa_inst_pref_size 1
		.amdhsa_round_robin_scheduling 0
		.amdhsa_exception_fp_ieee_invalid_op 0
		.amdhsa_exception_fp_denorm_src 0
		.amdhsa_exception_fp_ieee_div_zero 0
		.amdhsa_exception_fp_ieee_overflow 0
		.amdhsa_exception_fp_ieee_underflow 0
		.amdhsa_exception_fp_ieee_inexact 0
		.amdhsa_exception_int_div_zero 0
	.end_amdhsa_kernel
	.section	.text._ZN7rocprim17ROCPRIM_400000_NS6detail44device_merge_sort_compile_time_verifier_archINS1_11comp_targetILNS1_3genE4ELNS1_11target_archE910ELNS1_3gpuE8ELNS1_3repE0EEES8_NS1_28merge_sort_block_sort_configILj256ELj4ELNS0_20block_sort_algorithmE0EEENS0_14default_configENS1_37merge_sort_block_sort_config_selectorItNS0_10empty_typeEEENS1_38merge_sort_block_merge_config_selectorItSE_EEEEvv,"axG",@progbits,_ZN7rocprim17ROCPRIM_400000_NS6detail44device_merge_sort_compile_time_verifier_archINS1_11comp_targetILNS1_3genE4ELNS1_11target_archE910ELNS1_3gpuE8ELNS1_3repE0EEES8_NS1_28merge_sort_block_sort_configILj256ELj4ELNS0_20block_sort_algorithmE0EEENS0_14default_configENS1_37merge_sort_block_sort_config_selectorItNS0_10empty_typeEEENS1_38merge_sort_block_merge_config_selectorItSE_EEEEvv,comdat
.Lfunc_end2297:
	.size	_ZN7rocprim17ROCPRIM_400000_NS6detail44device_merge_sort_compile_time_verifier_archINS1_11comp_targetILNS1_3genE4ELNS1_11target_archE910ELNS1_3gpuE8ELNS1_3repE0EEES8_NS1_28merge_sort_block_sort_configILj256ELj4ELNS0_20block_sort_algorithmE0EEENS0_14default_configENS1_37merge_sort_block_sort_config_selectorItNS0_10empty_typeEEENS1_38merge_sort_block_merge_config_selectorItSE_EEEEvv, .Lfunc_end2297-_ZN7rocprim17ROCPRIM_400000_NS6detail44device_merge_sort_compile_time_verifier_archINS1_11comp_targetILNS1_3genE4ELNS1_11target_archE910ELNS1_3gpuE8ELNS1_3repE0EEES8_NS1_28merge_sort_block_sort_configILj256ELj4ELNS0_20block_sort_algorithmE0EEENS0_14default_configENS1_37merge_sort_block_sort_config_selectorItNS0_10empty_typeEEENS1_38merge_sort_block_merge_config_selectorItSE_EEEEvv
                                        ; -- End function
	.set _ZN7rocprim17ROCPRIM_400000_NS6detail44device_merge_sort_compile_time_verifier_archINS1_11comp_targetILNS1_3genE4ELNS1_11target_archE910ELNS1_3gpuE8ELNS1_3repE0EEES8_NS1_28merge_sort_block_sort_configILj256ELj4ELNS0_20block_sort_algorithmE0EEENS0_14default_configENS1_37merge_sort_block_sort_config_selectorItNS0_10empty_typeEEENS1_38merge_sort_block_merge_config_selectorItSE_EEEEvv.num_vgpr, 0
	.set _ZN7rocprim17ROCPRIM_400000_NS6detail44device_merge_sort_compile_time_verifier_archINS1_11comp_targetILNS1_3genE4ELNS1_11target_archE910ELNS1_3gpuE8ELNS1_3repE0EEES8_NS1_28merge_sort_block_sort_configILj256ELj4ELNS0_20block_sort_algorithmE0EEENS0_14default_configENS1_37merge_sort_block_sort_config_selectorItNS0_10empty_typeEEENS1_38merge_sort_block_merge_config_selectorItSE_EEEEvv.num_agpr, 0
	.set _ZN7rocprim17ROCPRIM_400000_NS6detail44device_merge_sort_compile_time_verifier_archINS1_11comp_targetILNS1_3genE4ELNS1_11target_archE910ELNS1_3gpuE8ELNS1_3repE0EEES8_NS1_28merge_sort_block_sort_configILj256ELj4ELNS0_20block_sort_algorithmE0EEENS0_14default_configENS1_37merge_sort_block_sort_config_selectorItNS0_10empty_typeEEENS1_38merge_sort_block_merge_config_selectorItSE_EEEEvv.numbered_sgpr, 0
	.set _ZN7rocprim17ROCPRIM_400000_NS6detail44device_merge_sort_compile_time_verifier_archINS1_11comp_targetILNS1_3genE4ELNS1_11target_archE910ELNS1_3gpuE8ELNS1_3repE0EEES8_NS1_28merge_sort_block_sort_configILj256ELj4ELNS0_20block_sort_algorithmE0EEENS0_14default_configENS1_37merge_sort_block_sort_config_selectorItNS0_10empty_typeEEENS1_38merge_sort_block_merge_config_selectorItSE_EEEEvv.num_named_barrier, 0
	.set _ZN7rocprim17ROCPRIM_400000_NS6detail44device_merge_sort_compile_time_verifier_archINS1_11comp_targetILNS1_3genE4ELNS1_11target_archE910ELNS1_3gpuE8ELNS1_3repE0EEES8_NS1_28merge_sort_block_sort_configILj256ELj4ELNS0_20block_sort_algorithmE0EEENS0_14default_configENS1_37merge_sort_block_sort_config_selectorItNS0_10empty_typeEEENS1_38merge_sort_block_merge_config_selectorItSE_EEEEvv.private_seg_size, 0
	.set _ZN7rocprim17ROCPRIM_400000_NS6detail44device_merge_sort_compile_time_verifier_archINS1_11comp_targetILNS1_3genE4ELNS1_11target_archE910ELNS1_3gpuE8ELNS1_3repE0EEES8_NS1_28merge_sort_block_sort_configILj256ELj4ELNS0_20block_sort_algorithmE0EEENS0_14default_configENS1_37merge_sort_block_sort_config_selectorItNS0_10empty_typeEEENS1_38merge_sort_block_merge_config_selectorItSE_EEEEvv.uses_vcc, 0
	.set _ZN7rocprim17ROCPRIM_400000_NS6detail44device_merge_sort_compile_time_verifier_archINS1_11comp_targetILNS1_3genE4ELNS1_11target_archE910ELNS1_3gpuE8ELNS1_3repE0EEES8_NS1_28merge_sort_block_sort_configILj256ELj4ELNS0_20block_sort_algorithmE0EEENS0_14default_configENS1_37merge_sort_block_sort_config_selectorItNS0_10empty_typeEEENS1_38merge_sort_block_merge_config_selectorItSE_EEEEvv.uses_flat_scratch, 0
	.set _ZN7rocprim17ROCPRIM_400000_NS6detail44device_merge_sort_compile_time_verifier_archINS1_11comp_targetILNS1_3genE4ELNS1_11target_archE910ELNS1_3gpuE8ELNS1_3repE0EEES8_NS1_28merge_sort_block_sort_configILj256ELj4ELNS0_20block_sort_algorithmE0EEENS0_14default_configENS1_37merge_sort_block_sort_config_selectorItNS0_10empty_typeEEENS1_38merge_sort_block_merge_config_selectorItSE_EEEEvv.has_dyn_sized_stack, 0
	.set _ZN7rocprim17ROCPRIM_400000_NS6detail44device_merge_sort_compile_time_verifier_archINS1_11comp_targetILNS1_3genE4ELNS1_11target_archE910ELNS1_3gpuE8ELNS1_3repE0EEES8_NS1_28merge_sort_block_sort_configILj256ELj4ELNS0_20block_sort_algorithmE0EEENS0_14default_configENS1_37merge_sort_block_sort_config_selectorItNS0_10empty_typeEEENS1_38merge_sort_block_merge_config_selectorItSE_EEEEvv.has_recursion, 0
	.set _ZN7rocprim17ROCPRIM_400000_NS6detail44device_merge_sort_compile_time_verifier_archINS1_11comp_targetILNS1_3genE4ELNS1_11target_archE910ELNS1_3gpuE8ELNS1_3repE0EEES8_NS1_28merge_sort_block_sort_configILj256ELj4ELNS0_20block_sort_algorithmE0EEENS0_14default_configENS1_37merge_sort_block_sort_config_selectorItNS0_10empty_typeEEENS1_38merge_sort_block_merge_config_selectorItSE_EEEEvv.has_indirect_call, 0
	.section	.AMDGPU.csdata,"",@progbits
; Kernel info:
; codeLenInByte = 4
; TotalNumSgprs: 0
; NumVgprs: 0
; ScratchSize: 0
; MemoryBound: 0
; FloatMode: 240
; IeeeMode: 1
; LDSByteSize: 0 bytes/workgroup (compile time only)
; SGPRBlocks: 0
; VGPRBlocks: 0
; NumSGPRsForWavesPerEU: 1
; NumVGPRsForWavesPerEU: 1
; NamedBarCnt: 0
; Occupancy: 16
; WaveLimiterHint : 0
; COMPUTE_PGM_RSRC2:SCRATCH_EN: 0
; COMPUTE_PGM_RSRC2:USER_SGPR: 0
; COMPUTE_PGM_RSRC2:TRAP_HANDLER: 0
; COMPUTE_PGM_RSRC2:TGID_X_EN: 1
; COMPUTE_PGM_RSRC2:TGID_Y_EN: 0
; COMPUTE_PGM_RSRC2:TGID_Z_EN: 0
; COMPUTE_PGM_RSRC2:TIDIG_COMP_CNT: 0
	.section	.text._ZN7rocprim17ROCPRIM_400000_NS6detail44device_merge_sort_compile_time_verifier_archINS1_11comp_targetILNS1_3genE3ELNS1_11target_archE908ELNS1_3gpuE7ELNS1_3repE0EEES8_NS1_28merge_sort_block_sort_configILj256ELj4ELNS0_20block_sort_algorithmE0EEENS0_14default_configENS1_37merge_sort_block_sort_config_selectorItNS0_10empty_typeEEENS1_38merge_sort_block_merge_config_selectorItSE_EEEEvv,"axG",@progbits,_ZN7rocprim17ROCPRIM_400000_NS6detail44device_merge_sort_compile_time_verifier_archINS1_11comp_targetILNS1_3genE3ELNS1_11target_archE908ELNS1_3gpuE7ELNS1_3repE0EEES8_NS1_28merge_sort_block_sort_configILj256ELj4ELNS0_20block_sort_algorithmE0EEENS0_14default_configENS1_37merge_sort_block_sort_config_selectorItNS0_10empty_typeEEENS1_38merge_sort_block_merge_config_selectorItSE_EEEEvv,comdat
	.protected	_ZN7rocprim17ROCPRIM_400000_NS6detail44device_merge_sort_compile_time_verifier_archINS1_11comp_targetILNS1_3genE3ELNS1_11target_archE908ELNS1_3gpuE7ELNS1_3repE0EEES8_NS1_28merge_sort_block_sort_configILj256ELj4ELNS0_20block_sort_algorithmE0EEENS0_14default_configENS1_37merge_sort_block_sort_config_selectorItNS0_10empty_typeEEENS1_38merge_sort_block_merge_config_selectorItSE_EEEEvv ; -- Begin function _ZN7rocprim17ROCPRIM_400000_NS6detail44device_merge_sort_compile_time_verifier_archINS1_11comp_targetILNS1_3genE3ELNS1_11target_archE908ELNS1_3gpuE7ELNS1_3repE0EEES8_NS1_28merge_sort_block_sort_configILj256ELj4ELNS0_20block_sort_algorithmE0EEENS0_14default_configENS1_37merge_sort_block_sort_config_selectorItNS0_10empty_typeEEENS1_38merge_sort_block_merge_config_selectorItSE_EEEEvv
	.globl	_ZN7rocprim17ROCPRIM_400000_NS6detail44device_merge_sort_compile_time_verifier_archINS1_11comp_targetILNS1_3genE3ELNS1_11target_archE908ELNS1_3gpuE7ELNS1_3repE0EEES8_NS1_28merge_sort_block_sort_configILj256ELj4ELNS0_20block_sort_algorithmE0EEENS0_14default_configENS1_37merge_sort_block_sort_config_selectorItNS0_10empty_typeEEENS1_38merge_sort_block_merge_config_selectorItSE_EEEEvv
	.p2align	8
	.type	_ZN7rocprim17ROCPRIM_400000_NS6detail44device_merge_sort_compile_time_verifier_archINS1_11comp_targetILNS1_3genE3ELNS1_11target_archE908ELNS1_3gpuE7ELNS1_3repE0EEES8_NS1_28merge_sort_block_sort_configILj256ELj4ELNS0_20block_sort_algorithmE0EEENS0_14default_configENS1_37merge_sort_block_sort_config_selectorItNS0_10empty_typeEEENS1_38merge_sort_block_merge_config_selectorItSE_EEEEvv,@function
_ZN7rocprim17ROCPRIM_400000_NS6detail44device_merge_sort_compile_time_verifier_archINS1_11comp_targetILNS1_3genE3ELNS1_11target_archE908ELNS1_3gpuE7ELNS1_3repE0EEES8_NS1_28merge_sort_block_sort_configILj256ELj4ELNS0_20block_sort_algorithmE0EEENS0_14default_configENS1_37merge_sort_block_sort_config_selectorItNS0_10empty_typeEEENS1_38merge_sort_block_merge_config_selectorItSE_EEEEvv: ; @_ZN7rocprim17ROCPRIM_400000_NS6detail44device_merge_sort_compile_time_verifier_archINS1_11comp_targetILNS1_3genE3ELNS1_11target_archE908ELNS1_3gpuE7ELNS1_3repE0EEES8_NS1_28merge_sort_block_sort_configILj256ELj4ELNS0_20block_sort_algorithmE0EEENS0_14default_configENS1_37merge_sort_block_sort_config_selectorItNS0_10empty_typeEEENS1_38merge_sort_block_merge_config_selectorItSE_EEEEvv
; %bb.0:
	s_endpgm
	.section	.rodata,"a",@progbits
	.p2align	6, 0x0
	.amdhsa_kernel _ZN7rocprim17ROCPRIM_400000_NS6detail44device_merge_sort_compile_time_verifier_archINS1_11comp_targetILNS1_3genE3ELNS1_11target_archE908ELNS1_3gpuE7ELNS1_3repE0EEES8_NS1_28merge_sort_block_sort_configILj256ELj4ELNS0_20block_sort_algorithmE0EEENS0_14default_configENS1_37merge_sort_block_sort_config_selectorItNS0_10empty_typeEEENS1_38merge_sort_block_merge_config_selectorItSE_EEEEvv
		.amdhsa_group_segment_fixed_size 0
		.amdhsa_private_segment_fixed_size 0
		.amdhsa_kernarg_size 0
		.amdhsa_user_sgpr_count 0
		.amdhsa_user_sgpr_dispatch_ptr 0
		.amdhsa_user_sgpr_queue_ptr 0
		.amdhsa_user_sgpr_kernarg_segment_ptr 0
		.amdhsa_user_sgpr_dispatch_id 0
		.amdhsa_user_sgpr_kernarg_preload_length 0
		.amdhsa_user_sgpr_kernarg_preload_offset 0
		.amdhsa_user_sgpr_private_segment_size 0
		.amdhsa_wavefront_size32 1
		.amdhsa_uses_dynamic_stack 0
		.amdhsa_enable_private_segment 0
		.amdhsa_system_sgpr_workgroup_id_x 1
		.amdhsa_system_sgpr_workgroup_id_y 0
		.amdhsa_system_sgpr_workgroup_id_z 0
		.amdhsa_system_sgpr_workgroup_info 0
		.amdhsa_system_vgpr_workitem_id 0
		.amdhsa_next_free_vgpr 1
		.amdhsa_next_free_sgpr 1
		.amdhsa_named_barrier_count 0
		.amdhsa_reserve_vcc 0
		.amdhsa_float_round_mode_32 0
		.amdhsa_float_round_mode_16_64 0
		.amdhsa_float_denorm_mode_32 3
		.amdhsa_float_denorm_mode_16_64 3
		.amdhsa_fp16_overflow 0
		.amdhsa_memory_ordered 1
		.amdhsa_forward_progress 1
		.amdhsa_inst_pref_size 1
		.amdhsa_round_robin_scheduling 0
		.amdhsa_exception_fp_ieee_invalid_op 0
		.amdhsa_exception_fp_denorm_src 0
		.amdhsa_exception_fp_ieee_div_zero 0
		.amdhsa_exception_fp_ieee_overflow 0
		.amdhsa_exception_fp_ieee_underflow 0
		.amdhsa_exception_fp_ieee_inexact 0
		.amdhsa_exception_int_div_zero 0
	.end_amdhsa_kernel
	.section	.text._ZN7rocprim17ROCPRIM_400000_NS6detail44device_merge_sort_compile_time_verifier_archINS1_11comp_targetILNS1_3genE3ELNS1_11target_archE908ELNS1_3gpuE7ELNS1_3repE0EEES8_NS1_28merge_sort_block_sort_configILj256ELj4ELNS0_20block_sort_algorithmE0EEENS0_14default_configENS1_37merge_sort_block_sort_config_selectorItNS0_10empty_typeEEENS1_38merge_sort_block_merge_config_selectorItSE_EEEEvv,"axG",@progbits,_ZN7rocprim17ROCPRIM_400000_NS6detail44device_merge_sort_compile_time_verifier_archINS1_11comp_targetILNS1_3genE3ELNS1_11target_archE908ELNS1_3gpuE7ELNS1_3repE0EEES8_NS1_28merge_sort_block_sort_configILj256ELj4ELNS0_20block_sort_algorithmE0EEENS0_14default_configENS1_37merge_sort_block_sort_config_selectorItNS0_10empty_typeEEENS1_38merge_sort_block_merge_config_selectorItSE_EEEEvv,comdat
.Lfunc_end2298:
	.size	_ZN7rocprim17ROCPRIM_400000_NS6detail44device_merge_sort_compile_time_verifier_archINS1_11comp_targetILNS1_3genE3ELNS1_11target_archE908ELNS1_3gpuE7ELNS1_3repE0EEES8_NS1_28merge_sort_block_sort_configILj256ELj4ELNS0_20block_sort_algorithmE0EEENS0_14default_configENS1_37merge_sort_block_sort_config_selectorItNS0_10empty_typeEEENS1_38merge_sort_block_merge_config_selectorItSE_EEEEvv, .Lfunc_end2298-_ZN7rocprim17ROCPRIM_400000_NS6detail44device_merge_sort_compile_time_verifier_archINS1_11comp_targetILNS1_3genE3ELNS1_11target_archE908ELNS1_3gpuE7ELNS1_3repE0EEES8_NS1_28merge_sort_block_sort_configILj256ELj4ELNS0_20block_sort_algorithmE0EEENS0_14default_configENS1_37merge_sort_block_sort_config_selectorItNS0_10empty_typeEEENS1_38merge_sort_block_merge_config_selectorItSE_EEEEvv
                                        ; -- End function
	.set _ZN7rocprim17ROCPRIM_400000_NS6detail44device_merge_sort_compile_time_verifier_archINS1_11comp_targetILNS1_3genE3ELNS1_11target_archE908ELNS1_3gpuE7ELNS1_3repE0EEES8_NS1_28merge_sort_block_sort_configILj256ELj4ELNS0_20block_sort_algorithmE0EEENS0_14default_configENS1_37merge_sort_block_sort_config_selectorItNS0_10empty_typeEEENS1_38merge_sort_block_merge_config_selectorItSE_EEEEvv.num_vgpr, 0
	.set _ZN7rocprim17ROCPRIM_400000_NS6detail44device_merge_sort_compile_time_verifier_archINS1_11comp_targetILNS1_3genE3ELNS1_11target_archE908ELNS1_3gpuE7ELNS1_3repE0EEES8_NS1_28merge_sort_block_sort_configILj256ELj4ELNS0_20block_sort_algorithmE0EEENS0_14default_configENS1_37merge_sort_block_sort_config_selectorItNS0_10empty_typeEEENS1_38merge_sort_block_merge_config_selectorItSE_EEEEvv.num_agpr, 0
	.set _ZN7rocprim17ROCPRIM_400000_NS6detail44device_merge_sort_compile_time_verifier_archINS1_11comp_targetILNS1_3genE3ELNS1_11target_archE908ELNS1_3gpuE7ELNS1_3repE0EEES8_NS1_28merge_sort_block_sort_configILj256ELj4ELNS0_20block_sort_algorithmE0EEENS0_14default_configENS1_37merge_sort_block_sort_config_selectorItNS0_10empty_typeEEENS1_38merge_sort_block_merge_config_selectorItSE_EEEEvv.numbered_sgpr, 0
	.set _ZN7rocprim17ROCPRIM_400000_NS6detail44device_merge_sort_compile_time_verifier_archINS1_11comp_targetILNS1_3genE3ELNS1_11target_archE908ELNS1_3gpuE7ELNS1_3repE0EEES8_NS1_28merge_sort_block_sort_configILj256ELj4ELNS0_20block_sort_algorithmE0EEENS0_14default_configENS1_37merge_sort_block_sort_config_selectorItNS0_10empty_typeEEENS1_38merge_sort_block_merge_config_selectorItSE_EEEEvv.num_named_barrier, 0
	.set _ZN7rocprim17ROCPRIM_400000_NS6detail44device_merge_sort_compile_time_verifier_archINS1_11comp_targetILNS1_3genE3ELNS1_11target_archE908ELNS1_3gpuE7ELNS1_3repE0EEES8_NS1_28merge_sort_block_sort_configILj256ELj4ELNS0_20block_sort_algorithmE0EEENS0_14default_configENS1_37merge_sort_block_sort_config_selectorItNS0_10empty_typeEEENS1_38merge_sort_block_merge_config_selectorItSE_EEEEvv.private_seg_size, 0
	.set _ZN7rocprim17ROCPRIM_400000_NS6detail44device_merge_sort_compile_time_verifier_archINS1_11comp_targetILNS1_3genE3ELNS1_11target_archE908ELNS1_3gpuE7ELNS1_3repE0EEES8_NS1_28merge_sort_block_sort_configILj256ELj4ELNS0_20block_sort_algorithmE0EEENS0_14default_configENS1_37merge_sort_block_sort_config_selectorItNS0_10empty_typeEEENS1_38merge_sort_block_merge_config_selectorItSE_EEEEvv.uses_vcc, 0
	.set _ZN7rocprim17ROCPRIM_400000_NS6detail44device_merge_sort_compile_time_verifier_archINS1_11comp_targetILNS1_3genE3ELNS1_11target_archE908ELNS1_3gpuE7ELNS1_3repE0EEES8_NS1_28merge_sort_block_sort_configILj256ELj4ELNS0_20block_sort_algorithmE0EEENS0_14default_configENS1_37merge_sort_block_sort_config_selectorItNS0_10empty_typeEEENS1_38merge_sort_block_merge_config_selectorItSE_EEEEvv.uses_flat_scratch, 0
	.set _ZN7rocprim17ROCPRIM_400000_NS6detail44device_merge_sort_compile_time_verifier_archINS1_11comp_targetILNS1_3genE3ELNS1_11target_archE908ELNS1_3gpuE7ELNS1_3repE0EEES8_NS1_28merge_sort_block_sort_configILj256ELj4ELNS0_20block_sort_algorithmE0EEENS0_14default_configENS1_37merge_sort_block_sort_config_selectorItNS0_10empty_typeEEENS1_38merge_sort_block_merge_config_selectorItSE_EEEEvv.has_dyn_sized_stack, 0
	.set _ZN7rocprim17ROCPRIM_400000_NS6detail44device_merge_sort_compile_time_verifier_archINS1_11comp_targetILNS1_3genE3ELNS1_11target_archE908ELNS1_3gpuE7ELNS1_3repE0EEES8_NS1_28merge_sort_block_sort_configILj256ELj4ELNS0_20block_sort_algorithmE0EEENS0_14default_configENS1_37merge_sort_block_sort_config_selectorItNS0_10empty_typeEEENS1_38merge_sort_block_merge_config_selectorItSE_EEEEvv.has_recursion, 0
	.set _ZN7rocprim17ROCPRIM_400000_NS6detail44device_merge_sort_compile_time_verifier_archINS1_11comp_targetILNS1_3genE3ELNS1_11target_archE908ELNS1_3gpuE7ELNS1_3repE0EEES8_NS1_28merge_sort_block_sort_configILj256ELj4ELNS0_20block_sort_algorithmE0EEENS0_14default_configENS1_37merge_sort_block_sort_config_selectorItNS0_10empty_typeEEENS1_38merge_sort_block_merge_config_selectorItSE_EEEEvv.has_indirect_call, 0
	.section	.AMDGPU.csdata,"",@progbits
; Kernel info:
; codeLenInByte = 4
; TotalNumSgprs: 0
; NumVgprs: 0
; ScratchSize: 0
; MemoryBound: 0
; FloatMode: 240
; IeeeMode: 1
; LDSByteSize: 0 bytes/workgroup (compile time only)
; SGPRBlocks: 0
; VGPRBlocks: 0
; NumSGPRsForWavesPerEU: 1
; NumVGPRsForWavesPerEU: 1
; NamedBarCnt: 0
; Occupancy: 16
; WaveLimiterHint : 0
; COMPUTE_PGM_RSRC2:SCRATCH_EN: 0
; COMPUTE_PGM_RSRC2:USER_SGPR: 0
; COMPUTE_PGM_RSRC2:TRAP_HANDLER: 0
; COMPUTE_PGM_RSRC2:TGID_X_EN: 1
; COMPUTE_PGM_RSRC2:TGID_Y_EN: 0
; COMPUTE_PGM_RSRC2:TGID_Z_EN: 0
; COMPUTE_PGM_RSRC2:TIDIG_COMP_CNT: 0
	.section	.text._ZN7rocprim17ROCPRIM_400000_NS6detail44device_merge_sort_compile_time_verifier_archINS1_11comp_targetILNS1_3genE2ELNS1_11target_archE906ELNS1_3gpuE6ELNS1_3repE0EEES8_NS1_28merge_sort_block_sort_configILj256ELj4ELNS0_20block_sort_algorithmE0EEENS0_14default_configENS1_37merge_sort_block_sort_config_selectorItNS0_10empty_typeEEENS1_38merge_sort_block_merge_config_selectorItSE_EEEEvv,"axG",@progbits,_ZN7rocprim17ROCPRIM_400000_NS6detail44device_merge_sort_compile_time_verifier_archINS1_11comp_targetILNS1_3genE2ELNS1_11target_archE906ELNS1_3gpuE6ELNS1_3repE0EEES8_NS1_28merge_sort_block_sort_configILj256ELj4ELNS0_20block_sort_algorithmE0EEENS0_14default_configENS1_37merge_sort_block_sort_config_selectorItNS0_10empty_typeEEENS1_38merge_sort_block_merge_config_selectorItSE_EEEEvv,comdat
	.protected	_ZN7rocprim17ROCPRIM_400000_NS6detail44device_merge_sort_compile_time_verifier_archINS1_11comp_targetILNS1_3genE2ELNS1_11target_archE906ELNS1_3gpuE6ELNS1_3repE0EEES8_NS1_28merge_sort_block_sort_configILj256ELj4ELNS0_20block_sort_algorithmE0EEENS0_14default_configENS1_37merge_sort_block_sort_config_selectorItNS0_10empty_typeEEENS1_38merge_sort_block_merge_config_selectorItSE_EEEEvv ; -- Begin function _ZN7rocprim17ROCPRIM_400000_NS6detail44device_merge_sort_compile_time_verifier_archINS1_11comp_targetILNS1_3genE2ELNS1_11target_archE906ELNS1_3gpuE6ELNS1_3repE0EEES8_NS1_28merge_sort_block_sort_configILj256ELj4ELNS0_20block_sort_algorithmE0EEENS0_14default_configENS1_37merge_sort_block_sort_config_selectorItNS0_10empty_typeEEENS1_38merge_sort_block_merge_config_selectorItSE_EEEEvv
	.globl	_ZN7rocprim17ROCPRIM_400000_NS6detail44device_merge_sort_compile_time_verifier_archINS1_11comp_targetILNS1_3genE2ELNS1_11target_archE906ELNS1_3gpuE6ELNS1_3repE0EEES8_NS1_28merge_sort_block_sort_configILj256ELj4ELNS0_20block_sort_algorithmE0EEENS0_14default_configENS1_37merge_sort_block_sort_config_selectorItNS0_10empty_typeEEENS1_38merge_sort_block_merge_config_selectorItSE_EEEEvv
	.p2align	8
	.type	_ZN7rocprim17ROCPRIM_400000_NS6detail44device_merge_sort_compile_time_verifier_archINS1_11comp_targetILNS1_3genE2ELNS1_11target_archE906ELNS1_3gpuE6ELNS1_3repE0EEES8_NS1_28merge_sort_block_sort_configILj256ELj4ELNS0_20block_sort_algorithmE0EEENS0_14default_configENS1_37merge_sort_block_sort_config_selectorItNS0_10empty_typeEEENS1_38merge_sort_block_merge_config_selectorItSE_EEEEvv,@function
_ZN7rocprim17ROCPRIM_400000_NS6detail44device_merge_sort_compile_time_verifier_archINS1_11comp_targetILNS1_3genE2ELNS1_11target_archE906ELNS1_3gpuE6ELNS1_3repE0EEES8_NS1_28merge_sort_block_sort_configILj256ELj4ELNS0_20block_sort_algorithmE0EEENS0_14default_configENS1_37merge_sort_block_sort_config_selectorItNS0_10empty_typeEEENS1_38merge_sort_block_merge_config_selectorItSE_EEEEvv: ; @_ZN7rocprim17ROCPRIM_400000_NS6detail44device_merge_sort_compile_time_verifier_archINS1_11comp_targetILNS1_3genE2ELNS1_11target_archE906ELNS1_3gpuE6ELNS1_3repE0EEES8_NS1_28merge_sort_block_sort_configILj256ELj4ELNS0_20block_sort_algorithmE0EEENS0_14default_configENS1_37merge_sort_block_sort_config_selectorItNS0_10empty_typeEEENS1_38merge_sort_block_merge_config_selectorItSE_EEEEvv
; %bb.0:
	s_endpgm
	.section	.rodata,"a",@progbits
	.p2align	6, 0x0
	.amdhsa_kernel _ZN7rocprim17ROCPRIM_400000_NS6detail44device_merge_sort_compile_time_verifier_archINS1_11comp_targetILNS1_3genE2ELNS1_11target_archE906ELNS1_3gpuE6ELNS1_3repE0EEES8_NS1_28merge_sort_block_sort_configILj256ELj4ELNS0_20block_sort_algorithmE0EEENS0_14default_configENS1_37merge_sort_block_sort_config_selectorItNS0_10empty_typeEEENS1_38merge_sort_block_merge_config_selectorItSE_EEEEvv
		.amdhsa_group_segment_fixed_size 0
		.amdhsa_private_segment_fixed_size 0
		.amdhsa_kernarg_size 0
		.amdhsa_user_sgpr_count 0
		.amdhsa_user_sgpr_dispatch_ptr 0
		.amdhsa_user_sgpr_queue_ptr 0
		.amdhsa_user_sgpr_kernarg_segment_ptr 0
		.amdhsa_user_sgpr_dispatch_id 0
		.amdhsa_user_sgpr_kernarg_preload_length 0
		.amdhsa_user_sgpr_kernarg_preload_offset 0
		.amdhsa_user_sgpr_private_segment_size 0
		.amdhsa_wavefront_size32 1
		.amdhsa_uses_dynamic_stack 0
		.amdhsa_enable_private_segment 0
		.amdhsa_system_sgpr_workgroup_id_x 1
		.amdhsa_system_sgpr_workgroup_id_y 0
		.amdhsa_system_sgpr_workgroup_id_z 0
		.amdhsa_system_sgpr_workgroup_info 0
		.amdhsa_system_vgpr_workitem_id 0
		.amdhsa_next_free_vgpr 1
		.amdhsa_next_free_sgpr 1
		.amdhsa_named_barrier_count 0
		.amdhsa_reserve_vcc 0
		.amdhsa_float_round_mode_32 0
		.amdhsa_float_round_mode_16_64 0
		.amdhsa_float_denorm_mode_32 3
		.amdhsa_float_denorm_mode_16_64 3
		.amdhsa_fp16_overflow 0
		.amdhsa_memory_ordered 1
		.amdhsa_forward_progress 1
		.amdhsa_inst_pref_size 1
		.amdhsa_round_robin_scheduling 0
		.amdhsa_exception_fp_ieee_invalid_op 0
		.amdhsa_exception_fp_denorm_src 0
		.amdhsa_exception_fp_ieee_div_zero 0
		.amdhsa_exception_fp_ieee_overflow 0
		.amdhsa_exception_fp_ieee_underflow 0
		.amdhsa_exception_fp_ieee_inexact 0
		.amdhsa_exception_int_div_zero 0
	.end_amdhsa_kernel
	.section	.text._ZN7rocprim17ROCPRIM_400000_NS6detail44device_merge_sort_compile_time_verifier_archINS1_11comp_targetILNS1_3genE2ELNS1_11target_archE906ELNS1_3gpuE6ELNS1_3repE0EEES8_NS1_28merge_sort_block_sort_configILj256ELj4ELNS0_20block_sort_algorithmE0EEENS0_14default_configENS1_37merge_sort_block_sort_config_selectorItNS0_10empty_typeEEENS1_38merge_sort_block_merge_config_selectorItSE_EEEEvv,"axG",@progbits,_ZN7rocprim17ROCPRIM_400000_NS6detail44device_merge_sort_compile_time_verifier_archINS1_11comp_targetILNS1_3genE2ELNS1_11target_archE906ELNS1_3gpuE6ELNS1_3repE0EEES8_NS1_28merge_sort_block_sort_configILj256ELj4ELNS0_20block_sort_algorithmE0EEENS0_14default_configENS1_37merge_sort_block_sort_config_selectorItNS0_10empty_typeEEENS1_38merge_sort_block_merge_config_selectorItSE_EEEEvv,comdat
.Lfunc_end2299:
	.size	_ZN7rocprim17ROCPRIM_400000_NS6detail44device_merge_sort_compile_time_verifier_archINS1_11comp_targetILNS1_3genE2ELNS1_11target_archE906ELNS1_3gpuE6ELNS1_3repE0EEES8_NS1_28merge_sort_block_sort_configILj256ELj4ELNS0_20block_sort_algorithmE0EEENS0_14default_configENS1_37merge_sort_block_sort_config_selectorItNS0_10empty_typeEEENS1_38merge_sort_block_merge_config_selectorItSE_EEEEvv, .Lfunc_end2299-_ZN7rocprim17ROCPRIM_400000_NS6detail44device_merge_sort_compile_time_verifier_archINS1_11comp_targetILNS1_3genE2ELNS1_11target_archE906ELNS1_3gpuE6ELNS1_3repE0EEES8_NS1_28merge_sort_block_sort_configILj256ELj4ELNS0_20block_sort_algorithmE0EEENS0_14default_configENS1_37merge_sort_block_sort_config_selectorItNS0_10empty_typeEEENS1_38merge_sort_block_merge_config_selectorItSE_EEEEvv
                                        ; -- End function
	.set _ZN7rocprim17ROCPRIM_400000_NS6detail44device_merge_sort_compile_time_verifier_archINS1_11comp_targetILNS1_3genE2ELNS1_11target_archE906ELNS1_3gpuE6ELNS1_3repE0EEES8_NS1_28merge_sort_block_sort_configILj256ELj4ELNS0_20block_sort_algorithmE0EEENS0_14default_configENS1_37merge_sort_block_sort_config_selectorItNS0_10empty_typeEEENS1_38merge_sort_block_merge_config_selectorItSE_EEEEvv.num_vgpr, 0
	.set _ZN7rocprim17ROCPRIM_400000_NS6detail44device_merge_sort_compile_time_verifier_archINS1_11comp_targetILNS1_3genE2ELNS1_11target_archE906ELNS1_3gpuE6ELNS1_3repE0EEES8_NS1_28merge_sort_block_sort_configILj256ELj4ELNS0_20block_sort_algorithmE0EEENS0_14default_configENS1_37merge_sort_block_sort_config_selectorItNS0_10empty_typeEEENS1_38merge_sort_block_merge_config_selectorItSE_EEEEvv.num_agpr, 0
	.set _ZN7rocprim17ROCPRIM_400000_NS6detail44device_merge_sort_compile_time_verifier_archINS1_11comp_targetILNS1_3genE2ELNS1_11target_archE906ELNS1_3gpuE6ELNS1_3repE0EEES8_NS1_28merge_sort_block_sort_configILj256ELj4ELNS0_20block_sort_algorithmE0EEENS0_14default_configENS1_37merge_sort_block_sort_config_selectorItNS0_10empty_typeEEENS1_38merge_sort_block_merge_config_selectorItSE_EEEEvv.numbered_sgpr, 0
	.set _ZN7rocprim17ROCPRIM_400000_NS6detail44device_merge_sort_compile_time_verifier_archINS1_11comp_targetILNS1_3genE2ELNS1_11target_archE906ELNS1_3gpuE6ELNS1_3repE0EEES8_NS1_28merge_sort_block_sort_configILj256ELj4ELNS0_20block_sort_algorithmE0EEENS0_14default_configENS1_37merge_sort_block_sort_config_selectorItNS0_10empty_typeEEENS1_38merge_sort_block_merge_config_selectorItSE_EEEEvv.num_named_barrier, 0
	.set _ZN7rocprim17ROCPRIM_400000_NS6detail44device_merge_sort_compile_time_verifier_archINS1_11comp_targetILNS1_3genE2ELNS1_11target_archE906ELNS1_3gpuE6ELNS1_3repE0EEES8_NS1_28merge_sort_block_sort_configILj256ELj4ELNS0_20block_sort_algorithmE0EEENS0_14default_configENS1_37merge_sort_block_sort_config_selectorItNS0_10empty_typeEEENS1_38merge_sort_block_merge_config_selectorItSE_EEEEvv.private_seg_size, 0
	.set _ZN7rocprim17ROCPRIM_400000_NS6detail44device_merge_sort_compile_time_verifier_archINS1_11comp_targetILNS1_3genE2ELNS1_11target_archE906ELNS1_3gpuE6ELNS1_3repE0EEES8_NS1_28merge_sort_block_sort_configILj256ELj4ELNS0_20block_sort_algorithmE0EEENS0_14default_configENS1_37merge_sort_block_sort_config_selectorItNS0_10empty_typeEEENS1_38merge_sort_block_merge_config_selectorItSE_EEEEvv.uses_vcc, 0
	.set _ZN7rocprim17ROCPRIM_400000_NS6detail44device_merge_sort_compile_time_verifier_archINS1_11comp_targetILNS1_3genE2ELNS1_11target_archE906ELNS1_3gpuE6ELNS1_3repE0EEES8_NS1_28merge_sort_block_sort_configILj256ELj4ELNS0_20block_sort_algorithmE0EEENS0_14default_configENS1_37merge_sort_block_sort_config_selectorItNS0_10empty_typeEEENS1_38merge_sort_block_merge_config_selectorItSE_EEEEvv.uses_flat_scratch, 0
	.set _ZN7rocprim17ROCPRIM_400000_NS6detail44device_merge_sort_compile_time_verifier_archINS1_11comp_targetILNS1_3genE2ELNS1_11target_archE906ELNS1_3gpuE6ELNS1_3repE0EEES8_NS1_28merge_sort_block_sort_configILj256ELj4ELNS0_20block_sort_algorithmE0EEENS0_14default_configENS1_37merge_sort_block_sort_config_selectorItNS0_10empty_typeEEENS1_38merge_sort_block_merge_config_selectorItSE_EEEEvv.has_dyn_sized_stack, 0
	.set _ZN7rocprim17ROCPRIM_400000_NS6detail44device_merge_sort_compile_time_verifier_archINS1_11comp_targetILNS1_3genE2ELNS1_11target_archE906ELNS1_3gpuE6ELNS1_3repE0EEES8_NS1_28merge_sort_block_sort_configILj256ELj4ELNS0_20block_sort_algorithmE0EEENS0_14default_configENS1_37merge_sort_block_sort_config_selectorItNS0_10empty_typeEEENS1_38merge_sort_block_merge_config_selectorItSE_EEEEvv.has_recursion, 0
	.set _ZN7rocprim17ROCPRIM_400000_NS6detail44device_merge_sort_compile_time_verifier_archINS1_11comp_targetILNS1_3genE2ELNS1_11target_archE906ELNS1_3gpuE6ELNS1_3repE0EEES8_NS1_28merge_sort_block_sort_configILj256ELj4ELNS0_20block_sort_algorithmE0EEENS0_14default_configENS1_37merge_sort_block_sort_config_selectorItNS0_10empty_typeEEENS1_38merge_sort_block_merge_config_selectorItSE_EEEEvv.has_indirect_call, 0
	.section	.AMDGPU.csdata,"",@progbits
; Kernel info:
; codeLenInByte = 4
; TotalNumSgprs: 0
; NumVgprs: 0
; ScratchSize: 0
; MemoryBound: 0
; FloatMode: 240
; IeeeMode: 1
; LDSByteSize: 0 bytes/workgroup (compile time only)
; SGPRBlocks: 0
; VGPRBlocks: 0
; NumSGPRsForWavesPerEU: 1
; NumVGPRsForWavesPerEU: 1
; NamedBarCnt: 0
; Occupancy: 16
; WaveLimiterHint : 0
; COMPUTE_PGM_RSRC2:SCRATCH_EN: 0
; COMPUTE_PGM_RSRC2:USER_SGPR: 0
; COMPUTE_PGM_RSRC2:TRAP_HANDLER: 0
; COMPUTE_PGM_RSRC2:TGID_X_EN: 1
; COMPUTE_PGM_RSRC2:TGID_Y_EN: 0
; COMPUTE_PGM_RSRC2:TGID_Z_EN: 0
; COMPUTE_PGM_RSRC2:TIDIG_COMP_CNT: 0
	.section	.text._ZN7rocprim17ROCPRIM_400000_NS6detail44device_merge_sort_compile_time_verifier_archINS1_11comp_targetILNS1_3genE10ELNS1_11target_archE1201ELNS1_3gpuE5ELNS1_3repE0EEES8_NS1_28merge_sort_block_sort_configILj256ELj4ELNS0_20block_sort_algorithmE0EEENS0_14default_configENS1_37merge_sort_block_sort_config_selectorItNS0_10empty_typeEEENS1_38merge_sort_block_merge_config_selectorItSE_EEEEvv,"axG",@progbits,_ZN7rocprim17ROCPRIM_400000_NS6detail44device_merge_sort_compile_time_verifier_archINS1_11comp_targetILNS1_3genE10ELNS1_11target_archE1201ELNS1_3gpuE5ELNS1_3repE0EEES8_NS1_28merge_sort_block_sort_configILj256ELj4ELNS0_20block_sort_algorithmE0EEENS0_14default_configENS1_37merge_sort_block_sort_config_selectorItNS0_10empty_typeEEENS1_38merge_sort_block_merge_config_selectorItSE_EEEEvv,comdat
	.protected	_ZN7rocprim17ROCPRIM_400000_NS6detail44device_merge_sort_compile_time_verifier_archINS1_11comp_targetILNS1_3genE10ELNS1_11target_archE1201ELNS1_3gpuE5ELNS1_3repE0EEES8_NS1_28merge_sort_block_sort_configILj256ELj4ELNS0_20block_sort_algorithmE0EEENS0_14default_configENS1_37merge_sort_block_sort_config_selectorItNS0_10empty_typeEEENS1_38merge_sort_block_merge_config_selectorItSE_EEEEvv ; -- Begin function _ZN7rocprim17ROCPRIM_400000_NS6detail44device_merge_sort_compile_time_verifier_archINS1_11comp_targetILNS1_3genE10ELNS1_11target_archE1201ELNS1_3gpuE5ELNS1_3repE0EEES8_NS1_28merge_sort_block_sort_configILj256ELj4ELNS0_20block_sort_algorithmE0EEENS0_14default_configENS1_37merge_sort_block_sort_config_selectorItNS0_10empty_typeEEENS1_38merge_sort_block_merge_config_selectorItSE_EEEEvv
	.globl	_ZN7rocprim17ROCPRIM_400000_NS6detail44device_merge_sort_compile_time_verifier_archINS1_11comp_targetILNS1_3genE10ELNS1_11target_archE1201ELNS1_3gpuE5ELNS1_3repE0EEES8_NS1_28merge_sort_block_sort_configILj256ELj4ELNS0_20block_sort_algorithmE0EEENS0_14default_configENS1_37merge_sort_block_sort_config_selectorItNS0_10empty_typeEEENS1_38merge_sort_block_merge_config_selectorItSE_EEEEvv
	.p2align	8
	.type	_ZN7rocprim17ROCPRIM_400000_NS6detail44device_merge_sort_compile_time_verifier_archINS1_11comp_targetILNS1_3genE10ELNS1_11target_archE1201ELNS1_3gpuE5ELNS1_3repE0EEES8_NS1_28merge_sort_block_sort_configILj256ELj4ELNS0_20block_sort_algorithmE0EEENS0_14default_configENS1_37merge_sort_block_sort_config_selectorItNS0_10empty_typeEEENS1_38merge_sort_block_merge_config_selectorItSE_EEEEvv,@function
_ZN7rocprim17ROCPRIM_400000_NS6detail44device_merge_sort_compile_time_verifier_archINS1_11comp_targetILNS1_3genE10ELNS1_11target_archE1201ELNS1_3gpuE5ELNS1_3repE0EEES8_NS1_28merge_sort_block_sort_configILj256ELj4ELNS0_20block_sort_algorithmE0EEENS0_14default_configENS1_37merge_sort_block_sort_config_selectorItNS0_10empty_typeEEENS1_38merge_sort_block_merge_config_selectorItSE_EEEEvv: ; @_ZN7rocprim17ROCPRIM_400000_NS6detail44device_merge_sort_compile_time_verifier_archINS1_11comp_targetILNS1_3genE10ELNS1_11target_archE1201ELNS1_3gpuE5ELNS1_3repE0EEES8_NS1_28merge_sort_block_sort_configILj256ELj4ELNS0_20block_sort_algorithmE0EEENS0_14default_configENS1_37merge_sort_block_sort_config_selectorItNS0_10empty_typeEEENS1_38merge_sort_block_merge_config_selectorItSE_EEEEvv
; %bb.0:
	s_endpgm
	.section	.rodata,"a",@progbits
	.p2align	6, 0x0
	.amdhsa_kernel _ZN7rocprim17ROCPRIM_400000_NS6detail44device_merge_sort_compile_time_verifier_archINS1_11comp_targetILNS1_3genE10ELNS1_11target_archE1201ELNS1_3gpuE5ELNS1_3repE0EEES8_NS1_28merge_sort_block_sort_configILj256ELj4ELNS0_20block_sort_algorithmE0EEENS0_14default_configENS1_37merge_sort_block_sort_config_selectorItNS0_10empty_typeEEENS1_38merge_sort_block_merge_config_selectorItSE_EEEEvv
		.amdhsa_group_segment_fixed_size 0
		.amdhsa_private_segment_fixed_size 0
		.amdhsa_kernarg_size 0
		.amdhsa_user_sgpr_count 0
		.amdhsa_user_sgpr_dispatch_ptr 0
		.amdhsa_user_sgpr_queue_ptr 0
		.amdhsa_user_sgpr_kernarg_segment_ptr 0
		.amdhsa_user_sgpr_dispatch_id 0
		.amdhsa_user_sgpr_kernarg_preload_length 0
		.amdhsa_user_sgpr_kernarg_preload_offset 0
		.amdhsa_user_sgpr_private_segment_size 0
		.amdhsa_wavefront_size32 1
		.amdhsa_uses_dynamic_stack 0
		.amdhsa_enable_private_segment 0
		.amdhsa_system_sgpr_workgroup_id_x 1
		.amdhsa_system_sgpr_workgroup_id_y 0
		.amdhsa_system_sgpr_workgroup_id_z 0
		.amdhsa_system_sgpr_workgroup_info 0
		.amdhsa_system_vgpr_workitem_id 0
		.amdhsa_next_free_vgpr 1
		.amdhsa_next_free_sgpr 1
		.amdhsa_named_barrier_count 0
		.amdhsa_reserve_vcc 0
		.amdhsa_float_round_mode_32 0
		.amdhsa_float_round_mode_16_64 0
		.amdhsa_float_denorm_mode_32 3
		.amdhsa_float_denorm_mode_16_64 3
		.amdhsa_fp16_overflow 0
		.amdhsa_memory_ordered 1
		.amdhsa_forward_progress 1
		.amdhsa_inst_pref_size 1
		.amdhsa_round_robin_scheduling 0
		.amdhsa_exception_fp_ieee_invalid_op 0
		.amdhsa_exception_fp_denorm_src 0
		.amdhsa_exception_fp_ieee_div_zero 0
		.amdhsa_exception_fp_ieee_overflow 0
		.amdhsa_exception_fp_ieee_underflow 0
		.amdhsa_exception_fp_ieee_inexact 0
		.amdhsa_exception_int_div_zero 0
	.end_amdhsa_kernel
	.section	.text._ZN7rocprim17ROCPRIM_400000_NS6detail44device_merge_sort_compile_time_verifier_archINS1_11comp_targetILNS1_3genE10ELNS1_11target_archE1201ELNS1_3gpuE5ELNS1_3repE0EEES8_NS1_28merge_sort_block_sort_configILj256ELj4ELNS0_20block_sort_algorithmE0EEENS0_14default_configENS1_37merge_sort_block_sort_config_selectorItNS0_10empty_typeEEENS1_38merge_sort_block_merge_config_selectorItSE_EEEEvv,"axG",@progbits,_ZN7rocprim17ROCPRIM_400000_NS6detail44device_merge_sort_compile_time_verifier_archINS1_11comp_targetILNS1_3genE10ELNS1_11target_archE1201ELNS1_3gpuE5ELNS1_3repE0EEES8_NS1_28merge_sort_block_sort_configILj256ELj4ELNS0_20block_sort_algorithmE0EEENS0_14default_configENS1_37merge_sort_block_sort_config_selectorItNS0_10empty_typeEEENS1_38merge_sort_block_merge_config_selectorItSE_EEEEvv,comdat
.Lfunc_end2300:
	.size	_ZN7rocprim17ROCPRIM_400000_NS6detail44device_merge_sort_compile_time_verifier_archINS1_11comp_targetILNS1_3genE10ELNS1_11target_archE1201ELNS1_3gpuE5ELNS1_3repE0EEES8_NS1_28merge_sort_block_sort_configILj256ELj4ELNS0_20block_sort_algorithmE0EEENS0_14default_configENS1_37merge_sort_block_sort_config_selectorItNS0_10empty_typeEEENS1_38merge_sort_block_merge_config_selectorItSE_EEEEvv, .Lfunc_end2300-_ZN7rocprim17ROCPRIM_400000_NS6detail44device_merge_sort_compile_time_verifier_archINS1_11comp_targetILNS1_3genE10ELNS1_11target_archE1201ELNS1_3gpuE5ELNS1_3repE0EEES8_NS1_28merge_sort_block_sort_configILj256ELj4ELNS0_20block_sort_algorithmE0EEENS0_14default_configENS1_37merge_sort_block_sort_config_selectorItNS0_10empty_typeEEENS1_38merge_sort_block_merge_config_selectorItSE_EEEEvv
                                        ; -- End function
	.set _ZN7rocprim17ROCPRIM_400000_NS6detail44device_merge_sort_compile_time_verifier_archINS1_11comp_targetILNS1_3genE10ELNS1_11target_archE1201ELNS1_3gpuE5ELNS1_3repE0EEES8_NS1_28merge_sort_block_sort_configILj256ELj4ELNS0_20block_sort_algorithmE0EEENS0_14default_configENS1_37merge_sort_block_sort_config_selectorItNS0_10empty_typeEEENS1_38merge_sort_block_merge_config_selectorItSE_EEEEvv.num_vgpr, 0
	.set _ZN7rocprim17ROCPRIM_400000_NS6detail44device_merge_sort_compile_time_verifier_archINS1_11comp_targetILNS1_3genE10ELNS1_11target_archE1201ELNS1_3gpuE5ELNS1_3repE0EEES8_NS1_28merge_sort_block_sort_configILj256ELj4ELNS0_20block_sort_algorithmE0EEENS0_14default_configENS1_37merge_sort_block_sort_config_selectorItNS0_10empty_typeEEENS1_38merge_sort_block_merge_config_selectorItSE_EEEEvv.num_agpr, 0
	.set _ZN7rocprim17ROCPRIM_400000_NS6detail44device_merge_sort_compile_time_verifier_archINS1_11comp_targetILNS1_3genE10ELNS1_11target_archE1201ELNS1_3gpuE5ELNS1_3repE0EEES8_NS1_28merge_sort_block_sort_configILj256ELj4ELNS0_20block_sort_algorithmE0EEENS0_14default_configENS1_37merge_sort_block_sort_config_selectorItNS0_10empty_typeEEENS1_38merge_sort_block_merge_config_selectorItSE_EEEEvv.numbered_sgpr, 0
	.set _ZN7rocprim17ROCPRIM_400000_NS6detail44device_merge_sort_compile_time_verifier_archINS1_11comp_targetILNS1_3genE10ELNS1_11target_archE1201ELNS1_3gpuE5ELNS1_3repE0EEES8_NS1_28merge_sort_block_sort_configILj256ELj4ELNS0_20block_sort_algorithmE0EEENS0_14default_configENS1_37merge_sort_block_sort_config_selectorItNS0_10empty_typeEEENS1_38merge_sort_block_merge_config_selectorItSE_EEEEvv.num_named_barrier, 0
	.set _ZN7rocprim17ROCPRIM_400000_NS6detail44device_merge_sort_compile_time_verifier_archINS1_11comp_targetILNS1_3genE10ELNS1_11target_archE1201ELNS1_3gpuE5ELNS1_3repE0EEES8_NS1_28merge_sort_block_sort_configILj256ELj4ELNS0_20block_sort_algorithmE0EEENS0_14default_configENS1_37merge_sort_block_sort_config_selectorItNS0_10empty_typeEEENS1_38merge_sort_block_merge_config_selectorItSE_EEEEvv.private_seg_size, 0
	.set _ZN7rocprim17ROCPRIM_400000_NS6detail44device_merge_sort_compile_time_verifier_archINS1_11comp_targetILNS1_3genE10ELNS1_11target_archE1201ELNS1_3gpuE5ELNS1_3repE0EEES8_NS1_28merge_sort_block_sort_configILj256ELj4ELNS0_20block_sort_algorithmE0EEENS0_14default_configENS1_37merge_sort_block_sort_config_selectorItNS0_10empty_typeEEENS1_38merge_sort_block_merge_config_selectorItSE_EEEEvv.uses_vcc, 0
	.set _ZN7rocprim17ROCPRIM_400000_NS6detail44device_merge_sort_compile_time_verifier_archINS1_11comp_targetILNS1_3genE10ELNS1_11target_archE1201ELNS1_3gpuE5ELNS1_3repE0EEES8_NS1_28merge_sort_block_sort_configILj256ELj4ELNS0_20block_sort_algorithmE0EEENS0_14default_configENS1_37merge_sort_block_sort_config_selectorItNS0_10empty_typeEEENS1_38merge_sort_block_merge_config_selectorItSE_EEEEvv.uses_flat_scratch, 0
	.set _ZN7rocprim17ROCPRIM_400000_NS6detail44device_merge_sort_compile_time_verifier_archINS1_11comp_targetILNS1_3genE10ELNS1_11target_archE1201ELNS1_3gpuE5ELNS1_3repE0EEES8_NS1_28merge_sort_block_sort_configILj256ELj4ELNS0_20block_sort_algorithmE0EEENS0_14default_configENS1_37merge_sort_block_sort_config_selectorItNS0_10empty_typeEEENS1_38merge_sort_block_merge_config_selectorItSE_EEEEvv.has_dyn_sized_stack, 0
	.set _ZN7rocprim17ROCPRIM_400000_NS6detail44device_merge_sort_compile_time_verifier_archINS1_11comp_targetILNS1_3genE10ELNS1_11target_archE1201ELNS1_3gpuE5ELNS1_3repE0EEES8_NS1_28merge_sort_block_sort_configILj256ELj4ELNS0_20block_sort_algorithmE0EEENS0_14default_configENS1_37merge_sort_block_sort_config_selectorItNS0_10empty_typeEEENS1_38merge_sort_block_merge_config_selectorItSE_EEEEvv.has_recursion, 0
	.set _ZN7rocprim17ROCPRIM_400000_NS6detail44device_merge_sort_compile_time_verifier_archINS1_11comp_targetILNS1_3genE10ELNS1_11target_archE1201ELNS1_3gpuE5ELNS1_3repE0EEES8_NS1_28merge_sort_block_sort_configILj256ELj4ELNS0_20block_sort_algorithmE0EEENS0_14default_configENS1_37merge_sort_block_sort_config_selectorItNS0_10empty_typeEEENS1_38merge_sort_block_merge_config_selectorItSE_EEEEvv.has_indirect_call, 0
	.section	.AMDGPU.csdata,"",@progbits
; Kernel info:
; codeLenInByte = 4
; TotalNumSgprs: 0
; NumVgprs: 0
; ScratchSize: 0
; MemoryBound: 0
; FloatMode: 240
; IeeeMode: 1
; LDSByteSize: 0 bytes/workgroup (compile time only)
; SGPRBlocks: 0
; VGPRBlocks: 0
; NumSGPRsForWavesPerEU: 1
; NumVGPRsForWavesPerEU: 1
; NamedBarCnt: 0
; Occupancy: 16
; WaveLimiterHint : 0
; COMPUTE_PGM_RSRC2:SCRATCH_EN: 0
; COMPUTE_PGM_RSRC2:USER_SGPR: 0
; COMPUTE_PGM_RSRC2:TRAP_HANDLER: 0
; COMPUTE_PGM_RSRC2:TGID_X_EN: 1
; COMPUTE_PGM_RSRC2:TGID_Y_EN: 0
; COMPUTE_PGM_RSRC2:TGID_Z_EN: 0
; COMPUTE_PGM_RSRC2:TIDIG_COMP_CNT: 0
	.section	.text._ZN7rocprim17ROCPRIM_400000_NS6detail44device_merge_sort_compile_time_verifier_archINS1_11comp_targetILNS1_3genE10ELNS1_11target_archE1200ELNS1_3gpuE4ELNS1_3repE0EEENS3_ILS4_10ELS5_1201ELS6_5ELS7_0EEENS1_28merge_sort_block_sort_configILj256ELj4ELNS0_20block_sort_algorithmE0EEENS0_14default_configENS1_37merge_sort_block_sort_config_selectorItNS0_10empty_typeEEENS1_38merge_sort_block_merge_config_selectorItSF_EEEEvv,"axG",@progbits,_ZN7rocprim17ROCPRIM_400000_NS6detail44device_merge_sort_compile_time_verifier_archINS1_11comp_targetILNS1_3genE10ELNS1_11target_archE1200ELNS1_3gpuE4ELNS1_3repE0EEENS3_ILS4_10ELS5_1201ELS6_5ELS7_0EEENS1_28merge_sort_block_sort_configILj256ELj4ELNS0_20block_sort_algorithmE0EEENS0_14default_configENS1_37merge_sort_block_sort_config_selectorItNS0_10empty_typeEEENS1_38merge_sort_block_merge_config_selectorItSF_EEEEvv,comdat
	.protected	_ZN7rocprim17ROCPRIM_400000_NS6detail44device_merge_sort_compile_time_verifier_archINS1_11comp_targetILNS1_3genE10ELNS1_11target_archE1200ELNS1_3gpuE4ELNS1_3repE0EEENS3_ILS4_10ELS5_1201ELS6_5ELS7_0EEENS1_28merge_sort_block_sort_configILj256ELj4ELNS0_20block_sort_algorithmE0EEENS0_14default_configENS1_37merge_sort_block_sort_config_selectorItNS0_10empty_typeEEENS1_38merge_sort_block_merge_config_selectorItSF_EEEEvv ; -- Begin function _ZN7rocprim17ROCPRIM_400000_NS6detail44device_merge_sort_compile_time_verifier_archINS1_11comp_targetILNS1_3genE10ELNS1_11target_archE1200ELNS1_3gpuE4ELNS1_3repE0EEENS3_ILS4_10ELS5_1201ELS6_5ELS7_0EEENS1_28merge_sort_block_sort_configILj256ELj4ELNS0_20block_sort_algorithmE0EEENS0_14default_configENS1_37merge_sort_block_sort_config_selectorItNS0_10empty_typeEEENS1_38merge_sort_block_merge_config_selectorItSF_EEEEvv
	.globl	_ZN7rocprim17ROCPRIM_400000_NS6detail44device_merge_sort_compile_time_verifier_archINS1_11comp_targetILNS1_3genE10ELNS1_11target_archE1200ELNS1_3gpuE4ELNS1_3repE0EEENS3_ILS4_10ELS5_1201ELS6_5ELS7_0EEENS1_28merge_sort_block_sort_configILj256ELj4ELNS0_20block_sort_algorithmE0EEENS0_14default_configENS1_37merge_sort_block_sort_config_selectorItNS0_10empty_typeEEENS1_38merge_sort_block_merge_config_selectorItSF_EEEEvv
	.p2align	8
	.type	_ZN7rocprim17ROCPRIM_400000_NS6detail44device_merge_sort_compile_time_verifier_archINS1_11comp_targetILNS1_3genE10ELNS1_11target_archE1200ELNS1_3gpuE4ELNS1_3repE0EEENS3_ILS4_10ELS5_1201ELS6_5ELS7_0EEENS1_28merge_sort_block_sort_configILj256ELj4ELNS0_20block_sort_algorithmE0EEENS0_14default_configENS1_37merge_sort_block_sort_config_selectorItNS0_10empty_typeEEENS1_38merge_sort_block_merge_config_selectorItSF_EEEEvv,@function
_ZN7rocprim17ROCPRIM_400000_NS6detail44device_merge_sort_compile_time_verifier_archINS1_11comp_targetILNS1_3genE10ELNS1_11target_archE1200ELNS1_3gpuE4ELNS1_3repE0EEENS3_ILS4_10ELS5_1201ELS6_5ELS7_0EEENS1_28merge_sort_block_sort_configILj256ELj4ELNS0_20block_sort_algorithmE0EEENS0_14default_configENS1_37merge_sort_block_sort_config_selectorItNS0_10empty_typeEEENS1_38merge_sort_block_merge_config_selectorItSF_EEEEvv: ; @_ZN7rocprim17ROCPRIM_400000_NS6detail44device_merge_sort_compile_time_verifier_archINS1_11comp_targetILNS1_3genE10ELNS1_11target_archE1200ELNS1_3gpuE4ELNS1_3repE0EEENS3_ILS4_10ELS5_1201ELS6_5ELS7_0EEENS1_28merge_sort_block_sort_configILj256ELj4ELNS0_20block_sort_algorithmE0EEENS0_14default_configENS1_37merge_sort_block_sort_config_selectorItNS0_10empty_typeEEENS1_38merge_sort_block_merge_config_selectorItSF_EEEEvv
; %bb.0:
	s_endpgm
	.section	.rodata,"a",@progbits
	.p2align	6, 0x0
	.amdhsa_kernel _ZN7rocprim17ROCPRIM_400000_NS6detail44device_merge_sort_compile_time_verifier_archINS1_11comp_targetILNS1_3genE10ELNS1_11target_archE1200ELNS1_3gpuE4ELNS1_3repE0EEENS3_ILS4_10ELS5_1201ELS6_5ELS7_0EEENS1_28merge_sort_block_sort_configILj256ELj4ELNS0_20block_sort_algorithmE0EEENS0_14default_configENS1_37merge_sort_block_sort_config_selectorItNS0_10empty_typeEEENS1_38merge_sort_block_merge_config_selectorItSF_EEEEvv
		.amdhsa_group_segment_fixed_size 0
		.amdhsa_private_segment_fixed_size 0
		.amdhsa_kernarg_size 0
		.amdhsa_user_sgpr_count 0
		.amdhsa_user_sgpr_dispatch_ptr 0
		.amdhsa_user_sgpr_queue_ptr 0
		.amdhsa_user_sgpr_kernarg_segment_ptr 0
		.amdhsa_user_sgpr_dispatch_id 0
		.amdhsa_user_sgpr_kernarg_preload_length 0
		.amdhsa_user_sgpr_kernarg_preload_offset 0
		.amdhsa_user_sgpr_private_segment_size 0
		.amdhsa_wavefront_size32 1
		.amdhsa_uses_dynamic_stack 0
		.amdhsa_enable_private_segment 0
		.amdhsa_system_sgpr_workgroup_id_x 1
		.amdhsa_system_sgpr_workgroup_id_y 0
		.amdhsa_system_sgpr_workgroup_id_z 0
		.amdhsa_system_sgpr_workgroup_info 0
		.amdhsa_system_vgpr_workitem_id 0
		.amdhsa_next_free_vgpr 1
		.amdhsa_next_free_sgpr 1
		.amdhsa_named_barrier_count 0
		.amdhsa_reserve_vcc 0
		.amdhsa_float_round_mode_32 0
		.amdhsa_float_round_mode_16_64 0
		.amdhsa_float_denorm_mode_32 3
		.amdhsa_float_denorm_mode_16_64 3
		.amdhsa_fp16_overflow 0
		.amdhsa_memory_ordered 1
		.amdhsa_forward_progress 1
		.amdhsa_inst_pref_size 1
		.amdhsa_round_robin_scheduling 0
		.amdhsa_exception_fp_ieee_invalid_op 0
		.amdhsa_exception_fp_denorm_src 0
		.amdhsa_exception_fp_ieee_div_zero 0
		.amdhsa_exception_fp_ieee_overflow 0
		.amdhsa_exception_fp_ieee_underflow 0
		.amdhsa_exception_fp_ieee_inexact 0
		.amdhsa_exception_int_div_zero 0
	.end_amdhsa_kernel
	.section	.text._ZN7rocprim17ROCPRIM_400000_NS6detail44device_merge_sort_compile_time_verifier_archINS1_11comp_targetILNS1_3genE10ELNS1_11target_archE1200ELNS1_3gpuE4ELNS1_3repE0EEENS3_ILS4_10ELS5_1201ELS6_5ELS7_0EEENS1_28merge_sort_block_sort_configILj256ELj4ELNS0_20block_sort_algorithmE0EEENS0_14default_configENS1_37merge_sort_block_sort_config_selectorItNS0_10empty_typeEEENS1_38merge_sort_block_merge_config_selectorItSF_EEEEvv,"axG",@progbits,_ZN7rocprim17ROCPRIM_400000_NS6detail44device_merge_sort_compile_time_verifier_archINS1_11comp_targetILNS1_3genE10ELNS1_11target_archE1200ELNS1_3gpuE4ELNS1_3repE0EEENS3_ILS4_10ELS5_1201ELS6_5ELS7_0EEENS1_28merge_sort_block_sort_configILj256ELj4ELNS0_20block_sort_algorithmE0EEENS0_14default_configENS1_37merge_sort_block_sort_config_selectorItNS0_10empty_typeEEENS1_38merge_sort_block_merge_config_selectorItSF_EEEEvv,comdat
.Lfunc_end2301:
	.size	_ZN7rocprim17ROCPRIM_400000_NS6detail44device_merge_sort_compile_time_verifier_archINS1_11comp_targetILNS1_3genE10ELNS1_11target_archE1200ELNS1_3gpuE4ELNS1_3repE0EEENS3_ILS4_10ELS5_1201ELS6_5ELS7_0EEENS1_28merge_sort_block_sort_configILj256ELj4ELNS0_20block_sort_algorithmE0EEENS0_14default_configENS1_37merge_sort_block_sort_config_selectorItNS0_10empty_typeEEENS1_38merge_sort_block_merge_config_selectorItSF_EEEEvv, .Lfunc_end2301-_ZN7rocprim17ROCPRIM_400000_NS6detail44device_merge_sort_compile_time_verifier_archINS1_11comp_targetILNS1_3genE10ELNS1_11target_archE1200ELNS1_3gpuE4ELNS1_3repE0EEENS3_ILS4_10ELS5_1201ELS6_5ELS7_0EEENS1_28merge_sort_block_sort_configILj256ELj4ELNS0_20block_sort_algorithmE0EEENS0_14default_configENS1_37merge_sort_block_sort_config_selectorItNS0_10empty_typeEEENS1_38merge_sort_block_merge_config_selectorItSF_EEEEvv
                                        ; -- End function
	.set _ZN7rocprim17ROCPRIM_400000_NS6detail44device_merge_sort_compile_time_verifier_archINS1_11comp_targetILNS1_3genE10ELNS1_11target_archE1200ELNS1_3gpuE4ELNS1_3repE0EEENS3_ILS4_10ELS5_1201ELS6_5ELS7_0EEENS1_28merge_sort_block_sort_configILj256ELj4ELNS0_20block_sort_algorithmE0EEENS0_14default_configENS1_37merge_sort_block_sort_config_selectorItNS0_10empty_typeEEENS1_38merge_sort_block_merge_config_selectorItSF_EEEEvv.num_vgpr, 0
	.set _ZN7rocprim17ROCPRIM_400000_NS6detail44device_merge_sort_compile_time_verifier_archINS1_11comp_targetILNS1_3genE10ELNS1_11target_archE1200ELNS1_3gpuE4ELNS1_3repE0EEENS3_ILS4_10ELS5_1201ELS6_5ELS7_0EEENS1_28merge_sort_block_sort_configILj256ELj4ELNS0_20block_sort_algorithmE0EEENS0_14default_configENS1_37merge_sort_block_sort_config_selectorItNS0_10empty_typeEEENS1_38merge_sort_block_merge_config_selectorItSF_EEEEvv.num_agpr, 0
	.set _ZN7rocprim17ROCPRIM_400000_NS6detail44device_merge_sort_compile_time_verifier_archINS1_11comp_targetILNS1_3genE10ELNS1_11target_archE1200ELNS1_3gpuE4ELNS1_3repE0EEENS3_ILS4_10ELS5_1201ELS6_5ELS7_0EEENS1_28merge_sort_block_sort_configILj256ELj4ELNS0_20block_sort_algorithmE0EEENS0_14default_configENS1_37merge_sort_block_sort_config_selectorItNS0_10empty_typeEEENS1_38merge_sort_block_merge_config_selectorItSF_EEEEvv.numbered_sgpr, 0
	.set _ZN7rocprim17ROCPRIM_400000_NS6detail44device_merge_sort_compile_time_verifier_archINS1_11comp_targetILNS1_3genE10ELNS1_11target_archE1200ELNS1_3gpuE4ELNS1_3repE0EEENS3_ILS4_10ELS5_1201ELS6_5ELS7_0EEENS1_28merge_sort_block_sort_configILj256ELj4ELNS0_20block_sort_algorithmE0EEENS0_14default_configENS1_37merge_sort_block_sort_config_selectorItNS0_10empty_typeEEENS1_38merge_sort_block_merge_config_selectorItSF_EEEEvv.num_named_barrier, 0
	.set _ZN7rocprim17ROCPRIM_400000_NS6detail44device_merge_sort_compile_time_verifier_archINS1_11comp_targetILNS1_3genE10ELNS1_11target_archE1200ELNS1_3gpuE4ELNS1_3repE0EEENS3_ILS4_10ELS5_1201ELS6_5ELS7_0EEENS1_28merge_sort_block_sort_configILj256ELj4ELNS0_20block_sort_algorithmE0EEENS0_14default_configENS1_37merge_sort_block_sort_config_selectorItNS0_10empty_typeEEENS1_38merge_sort_block_merge_config_selectorItSF_EEEEvv.private_seg_size, 0
	.set _ZN7rocprim17ROCPRIM_400000_NS6detail44device_merge_sort_compile_time_verifier_archINS1_11comp_targetILNS1_3genE10ELNS1_11target_archE1200ELNS1_3gpuE4ELNS1_3repE0EEENS3_ILS4_10ELS5_1201ELS6_5ELS7_0EEENS1_28merge_sort_block_sort_configILj256ELj4ELNS0_20block_sort_algorithmE0EEENS0_14default_configENS1_37merge_sort_block_sort_config_selectorItNS0_10empty_typeEEENS1_38merge_sort_block_merge_config_selectorItSF_EEEEvv.uses_vcc, 0
	.set _ZN7rocprim17ROCPRIM_400000_NS6detail44device_merge_sort_compile_time_verifier_archINS1_11comp_targetILNS1_3genE10ELNS1_11target_archE1200ELNS1_3gpuE4ELNS1_3repE0EEENS3_ILS4_10ELS5_1201ELS6_5ELS7_0EEENS1_28merge_sort_block_sort_configILj256ELj4ELNS0_20block_sort_algorithmE0EEENS0_14default_configENS1_37merge_sort_block_sort_config_selectorItNS0_10empty_typeEEENS1_38merge_sort_block_merge_config_selectorItSF_EEEEvv.uses_flat_scratch, 0
	.set _ZN7rocprim17ROCPRIM_400000_NS6detail44device_merge_sort_compile_time_verifier_archINS1_11comp_targetILNS1_3genE10ELNS1_11target_archE1200ELNS1_3gpuE4ELNS1_3repE0EEENS3_ILS4_10ELS5_1201ELS6_5ELS7_0EEENS1_28merge_sort_block_sort_configILj256ELj4ELNS0_20block_sort_algorithmE0EEENS0_14default_configENS1_37merge_sort_block_sort_config_selectorItNS0_10empty_typeEEENS1_38merge_sort_block_merge_config_selectorItSF_EEEEvv.has_dyn_sized_stack, 0
	.set _ZN7rocprim17ROCPRIM_400000_NS6detail44device_merge_sort_compile_time_verifier_archINS1_11comp_targetILNS1_3genE10ELNS1_11target_archE1200ELNS1_3gpuE4ELNS1_3repE0EEENS3_ILS4_10ELS5_1201ELS6_5ELS7_0EEENS1_28merge_sort_block_sort_configILj256ELj4ELNS0_20block_sort_algorithmE0EEENS0_14default_configENS1_37merge_sort_block_sort_config_selectorItNS0_10empty_typeEEENS1_38merge_sort_block_merge_config_selectorItSF_EEEEvv.has_recursion, 0
	.set _ZN7rocprim17ROCPRIM_400000_NS6detail44device_merge_sort_compile_time_verifier_archINS1_11comp_targetILNS1_3genE10ELNS1_11target_archE1200ELNS1_3gpuE4ELNS1_3repE0EEENS3_ILS4_10ELS5_1201ELS6_5ELS7_0EEENS1_28merge_sort_block_sort_configILj256ELj4ELNS0_20block_sort_algorithmE0EEENS0_14default_configENS1_37merge_sort_block_sort_config_selectorItNS0_10empty_typeEEENS1_38merge_sort_block_merge_config_selectorItSF_EEEEvv.has_indirect_call, 0
	.section	.AMDGPU.csdata,"",@progbits
; Kernel info:
; codeLenInByte = 4
; TotalNumSgprs: 0
; NumVgprs: 0
; ScratchSize: 0
; MemoryBound: 0
; FloatMode: 240
; IeeeMode: 1
; LDSByteSize: 0 bytes/workgroup (compile time only)
; SGPRBlocks: 0
; VGPRBlocks: 0
; NumSGPRsForWavesPerEU: 1
; NumVGPRsForWavesPerEU: 1
; NamedBarCnt: 0
; Occupancy: 16
; WaveLimiterHint : 0
; COMPUTE_PGM_RSRC2:SCRATCH_EN: 0
; COMPUTE_PGM_RSRC2:USER_SGPR: 0
; COMPUTE_PGM_RSRC2:TRAP_HANDLER: 0
; COMPUTE_PGM_RSRC2:TGID_X_EN: 1
; COMPUTE_PGM_RSRC2:TGID_Y_EN: 0
; COMPUTE_PGM_RSRC2:TGID_Z_EN: 0
; COMPUTE_PGM_RSRC2:TIDIG_COMP_CNT: 0
	.section	.text._ZN7rocprim17ROCPRIM_400000_NS6detail44device_merge_sort_compile_time_verifier_archINS1_11comp_targetILNS1_3genE9ELNS1_11target_archE1100ELNS1_3gpuE3ELNS1_3repE0EEES8_NS1_28merge_sort_block_sort_configILj256ELj4ELNS0_20block_sort_algorithmE0EEENS0_14default_configENS1_37merge_sort_block_sort_config_selectorItNS0_10empty_typeEEENS1_38merge_sort_block_merge_config_selectorItSE_EEEEvv,"axG",@progbits,_ZN7rocprim17ROCPRIM_400000_NS6detail44device_merge_sort_compile_time_verifier_archINS1_11comp_targetILNS1_3genE9ELNS1_11target_archE1100ELNS1_3gpuE3ELNS1_3repE0EEES8_NS1_28merge_sort_block_sort_configILj256ELj4ELNS0_20block_sort_algorithmE0EEENS0_14default_configENS1_37merge_sort_block_sort_config_selectorItNS0_10empty_typeEEENS1_38merge_sort_block_merge_config_selectorItSE_EEEEvv,comdat
	.protected	_ZN7rocprim17ROCPRIM_400000_NS6detail44device_merge_sort_compile_time_verifier_archINS1_11comp_targetILNS1_3genE9ELNS1_11target_archE1100ELNS1_3gpuE3ELNS1_3repE0EEES8_NS1_28merge_sort_block_sort_configILj256ELj4ELNS0_20block_sort_algorithmE0EEENS0_14default_configENS1_37merge_sort_block_sort_config_selectorItNS0_10empty_typeEEENS1_38merge_sort_block_merge_config_selectorItSE_EEEEvv ; -- Begin function _ZN7rocprim17ROCPRIM_400000_NS6detail44device_merge_sort_compile_time_verifier_archINS1_11comp_targetILNS1_3genE9ELNS1_11target_archE1100ELNS1_3gpuE3ELNS1_3repE0EEES8_NS1_28merge_sort_block_sort_configILj256ELj4ELNS0_20block_sort_algorithmE0EEENS0_14default_configENS1_37merge_sort_block_sort_config_selectorItNS0_10empty_typeEEENS1_38merge_sort_block_merge_config_selectorItSE_EEEEvv
	.globl	_ZN7rocprim17ROCPRIM_400000_NS6detail44device_merge_sort_compile_time_verifier_archINS1_11comp_targetILNS1_3genE9ELNS1_11target_archE1100ELNS1_3gpuE3ELNS1_3repE0EEES8_NS1_28merge_sort_block_sort_configILj256ELj4ELNS0_20block_sort_algorithmE0EEENS0_14default_configENS1_37merge_sort_block_sort_config_selectorItNS0_10empty_typeEEENS1_38merge_sort_block_merge_config_selectorItSE_EEEEvv
	.p2align	8
	.type	_ZN7rocprim17ROCPRIM_400000_NS6detail44device_merge_sort_compile_time_verifier_archINS1_11comp_targetILNS1_3genE9ELNS1_11target_archE1100ELNS1_3gpuE3ELNS1_3repE0EEES8_NS1_28merge_sort_block_sort_configILj256ELj4ELNS0_20block_sort_algorithmE0EEENS0_14default_configENS1_37merge_sort_block_sort_config_selectorItNS0_10empty_typeEEENS1_38merge_sort_block_merge_config_selectorItSE_EEEEvv,@function
_ZN7rocprim17ROCPRIM_400000_NS6detail44device_merge_sort_compile_time_verifier_archINS1_11comp_targetILNS1_3genE9ELNS1_11target_archE1100ELNS1_3gpuE3ELNS1_3repE0EEES8_NS1_28merge_sort_block_sort_configILj256ELj4ELNS0_20block_sort_algorithmE0EEENS0_14default_configENS1_37merge_sort_block_sort_config_selectorItNS0_10empty_typeEEENS1_38merge_sort_block_merge_config_selectorItSE_EEEEvv: ; @_ZN7rocprim17ROCPRIM_400000_NS6detail44device_merge_sort_compile_time_verifier_archINS1_11comp_targetILNS1_3genE9ELNS1_11target_archE1100ELNS1_3gpuE3ELNS1_3repE0EEES8_NS1_28merge_sort_block_sort_configILj256ELj4ELNS0_20block_sort_algorithmE0EEENS0_14default_configENS1_37merge_sort_block_sort_config_selectorItNS0_10empty_typeEEENS1_38merge_sort_block_merge_config_selectorItSE_EEEEvv
; %bb.0:
	s_endpgm
	.section	.rodata,"a",@progbits
	.p2align	6, 0x0
	.amdhsa_kernel _ZN7rocprim17ROCPRIM_400000_NS6detail44device_merge_sort_compile_time_verifier_archINS1_11comp_targetILNS1_3genE9ELNS1_11target_archE1100ELNS1_3gpuE3ELNS1_3repE0EEES8_NS1_28merge_sort_block_sort_configILj256ELj4ELNS0_20block_sort_algorithmE0EEENS0_14default_configENS1_37merge_sort_block_sort_config_selectorItNS0_10empty_typeEEENS1_38merge_sort_block_merge_config_selectorItSE_EEEEvv
		.amdhsa_group_segment_fixed_size 0
		.amdhsa_private_segment_fixed_size 0
		.amdhsa_kernarg_size 0
		.amdhsa_user_sgpr_count 0
		.amdhsa_user_sgpr_dispatch_ptr 0
		.amdhsa_user_sgpr_queue_ptr 0
		.amdhsa_user_sgpr_kernarg_segment_ptr 0
		.amdhsa_user_sgpr_dispatch_id 0
		.amdhsa_user_sgpr_kernarg_preload_length 0
		.amdhsa_user_sgpr_kernarg_preload_offset 0
		.amdhsa_user_sgpr_private_segment_size 0
		.amdhsa_wavefront_size32 1
		.amdhsa_uses_dynamic_stack 0
		.amdhsa_enable_private_segment 0
		.amdhsa_system_sgpr_workgroup_id_x 1
		.amdhsa_system_sgpr_workgroup_id_y 0
		.amdhsa_system_sgpr_workgroup_id_z 0
		.amdhsa_system_sgpr_workgroup_info 0
		.amdhsa_system_vgpr_workitem_id 0
		.amdhsa_next_free_vgpr 1
		.amdhsa_next_free_sgpr 1
		.amdhsa_named_barrier_count 0
		.amdhsa_reserve_vcc 0
		.amdhsa_float_round_mode_32 0
		.amdhsa_float_round_mode_16_64 0
		.amdhsa_float_denorm_mode_32 3
		.amdhsa_float_denorm_mode_16_64 3
		.amdhsa_fp16_overflow 0
		.amdhsa_memory_ordered 1
		.amdhsa_forward_progress 1
		.amdhsa_inst_pref_size 1
		.amdhsa_round_robin_scheduling 0
		.amdhsa_exception_fp_ieee_invalid_op 0
		.amdhsa_exception_fp_denorm_src 0
		.amdhsa_exception_fp_ieee_div_zero 0
		.amdhsa_exception_fp_ieee_overflow 0
		.amdhsa_exception_fp_ieee_underflow 0
		.amdhsa_exception_fp_ieee_inexact 0
		.amdhsa_exception_int_div_zero 0
	.end_amdhsa_kernel
	.section	.text._ZN7rocprim17ROCPRIM_400000_NS6detail44device_merge_sort_compile_time_verifier_archINS1_11comp_targetILNS1_3genE9ELNS1_11target_archE1100ELNS1_3gpuE3ELNS1_3repE0EEES8_NS1_28merge_sort_block_sort_configILj256ELj4ELNS0_20block_sort_algorithmE0EEENS0_14default_configENS1_37merge_sort_block_sort_config_selectorItNS0_10empty_typeEEENS1_38merge_sort_block_merge_config_selectorItSE_EEEEvv,"axG",@progbits,_ZN7rocprim17ROCPRIM_400000_NS6detail44device_merge_sort_compile_time_verifier_archINS1_11comp_targetILNS1_3genE9ELNS1_11target_archE1100ELNS1_3gpuE3ELNS1_3repE0EEES8_NS1_28merge_sort_block_sort_configILj256ELj4ELNS0_20block_sort_algorithmE0EEENS0_14default_configENS1_37merge_sort_block_sort_config_selectorItNS0_10empty_typeEEENS1_38merge_sort_block_merge_config_selectorItSE_EEEEvv,comdat
.Lfunc_end2302:
	.size	_ZN7rocprim17ROCPRIM_400000_NS6detail44device_merge_sort_compile_time_verifier_archINS1_11comp_targetILNS1_3genE9ELNS1_11target_archE1100ELNS1_3gpuE3ELNS1_3repE0EEES8_NS1_28merge_sort_block_sort_configILj256ELj4ELNS0_20block_sort_algorithmE0EEENS0_14default_configENS1_37merge_sort_block_sort_config_selectorItNS0_10empty_typeEEENS1_38merge_sort_block_merge_config_selectorItSE_EEEEvv, .Lfunc_end2302-_ZN7rocprim17ROCPRIM_400000_NS6detail44device_merge_sort_compile_time_verifier_archINS1_11comp_targetILNS1_3genE9ELNS1_11target_archE1100ELNS1_3gpuE3ELNS1_3repE0EEES8_NS1_28merge_sort_block_sort_configILj256ELj4ELNS0_20block_sort_algorithmE0EEENS0_14default_configENS1_37merge_sort_block_sort_config_selectorItNS0_10empty_typeEEENS1_38merge_sort_block_merge_config_selectorItSE_EEEEvv
                                        ; -- End function
	.set _ZN7rocprim17ROCPRIM_400000_NS6detail44device_merge_sort_compile_time_verifier_archINS1_11comp_targetILNS1_3genE9ELNS1_11target_archE1100ELNS1_3gpuE3ELNS1_3repE0EEES8_NS1_28merge_sort_block_sort_configILj256ELj4ELNS0_20block_sort_algorithmE0EEENS0_14default_configENS1_37merge_sort_block_sort_config_selectorItNS0_10empty_typeEEENS1_38merge_sort_block_merge_config_selectorItSE_EEEEvv.num_vgpr, 0
	.set _ZN7rocprim17ROCPRIM_400000_NS6detail44device_merge_sort_compile_time_verifier_archINS1_11comp_targetILNS1_3genE9ELNS1_11target_archE1100ELNS1_3gpuE3ELNS1_3repE0EEES8_NS1_28merge_sort_block_sort_configILj256ELj4ELNS0_20block_sort_algorithmE0EEENS0_14default_configENS1_37merge_sort_block_sort_config_selectorItNS0_10empty_typeEEENS1_38merge_sort_block_merge_config_selectorItSE_EEEEvv.num_agpr, 0
	.set _ZN7rocprim17ROCPRIM_400000_NS6detail44device_merge_sort_compile_time_verifier_archINS1_11comp_targetILNS1_3genE9ELNS1_11target_archE1100ELNS1_3gpuE3ELNS1_3repE0EEES8_NS1_28merge_sort_block_sort_configILj256ELj4ELNS0_20block_sort_algorithmE0EEENS0_14default_configENS1_37merge_sort_block_sort_config_selectorItNS0_10empty_typeEEENS1_38merge_sort_block_merge_config_selectorItSE_EEEEvv.numbered_sgpr, 0
	.set _ZN7rocprim17ROCPRIM_400000_NS6detail44device_merge_sort_compile_time_verifier_archINS1_11comp_targetILNS1_3genE9ELNS1_11target_archE1100ELNS1_3gpuE3ELNS1_3repE0EEES8_NS1_28merge_sort_block_sort_configILj256ELj4ELNS0_20block_sort_algorithmE0EEENS0_14default_configENS1_37merge_sort_block_sort_config_selectorItNS0_10empty_typeEEENS1_38merge_sort_block_merge_config_selectorItSE_EEEEvv.num_named_barrier, 0
	.set _ZN7rocprim17ROCPRIM_400000_NS6detail44device_merge_sort_compile_time_verifier_archINS1_11comp_targetILNS1_3genE9ELNS1_11target_archE1100ELNS1_3gpuE3ELNS1_3repE0EEES8_NS1_28merge_sort_block_sort_configILj256ELj4ELNS0_20block_sort_algorithmE0EEENS0_14default_configENS1_37merge_sort_block_sort_config_selectorItNS0_10empty_typeEEENS1_38merge_sort_block_merge_config_selectorItSE_EEEEvv.private_seg_size, 0
	.set _ZN7rocprim17ROCPRIM_400000_NS6detail44device_merge_sort_compile_time_verifier_archINS1_11comp_targetILNS1_3genE9ELNS1_11target_archE1100ELNS1_3gpuE3ELNS1_3repE0EEES8_NS1_28merge_sort_block_sort_configILj256ELj4ELNS0_20block_sort_algorithmE0EEENS0_14default_configENS1_37merge_sort_block_sort_config_selectorItNS0_10empty_typeEEENS1_38merge_sort_block_merge_config_selectorItSE_EEEEvv.uses_vcc, 0
	.set _ZN7rocprim17ROCPRIM_400000_NS6detail44device_merge_sort_compile_time_verifier_archINS1_11comp_targetILNS1_3genE9ELNS1_11target_archE1100ELNS1_3gpuE3ELNS1_3repE0EEES8_NS1_28merge_sort_block_sort_configILj256ELj4ELNS0_20block_sort_algorithmE0EEENS0_14default_configENS1_37merge_sort_block_sort_config_selectorItNS0_10empty_typeEEENS1_38merge_sort_block_merge_config_selectorItSE_EEEEvv.uses_flat_scratch, 0
	.set _ZN7rocprim17ROCPRIM_400000_NS6detail44device_merge_sort_compile_time_verifier_archINS1_11comp_targetILNS1_3genE9ELNS1_11target_archE1100ELNS1_3gpuE3ELNS1_3repE0EEES8_NS1_28merge_sort_block_sort_configILj256ELj4ELNS0_20block_sort_algorithmE0EEENS0_14default_configENS1_37merge_sort_block_sort_config_selectorItNS0_10empty_typeEEENS1_38merge_sort_block_merge_config_selectorItSE_EEEEvv.has_dyn_sized_stack, 0
	.set _ZN7rocprim17ROCPRIM_400000_NS6detail44device_merge_sort_compile_time_verifier_archINS1_11comp_targetILNS1_3genE9ELNS1_11target_archE1100ELNS1_3gpuE3ELNS1_3repE0EEES8_NS1_28merge_sort_block_sort_configILj256ELj4ELNS0_20block_sort_algorithmE0EEENS0_14default_configENS1_37merge_sort_block_sort_config_selectorItNS0_10empty_typeEEENS1_38merge_sort_block_merge_config_selectorItSE_EEEEvv.has_recursion, 0
	.set _ZN7rocprim17ROCPRIM_400000_NS6detail44device_merge_sort_compile_time_verifier_archINS1_11comp_targetILNS1_3genE9ELNS1_11target_archE1100ELNS1_3gpuE3ELNS1_3repE0EEES8_NS1_28merge_sort_block_sort_configILj256ELj4ELNS0_20block_sort_algorithmE0EEENS0_14default_configENS1_37merge_sort_block_sort_config_selectorItNS0_10empty_typeEEENS1_38merge_sort_block_merge_config_selectorItSE_EEEEvv.has_indirect_call, 0
	.section	.AMDGPU.csdata,"",@progbits
; Kernel info:
; codeLenInByte = 4
; TotalNumSgprs: 0
; NumVgprs: 0
; ScratchSize: 0
; MemoryBound: 0
; FloatMode: 240
; IeeeMode: 1
; LDSByteSize: 0 bytes/workgroup (compile time only)
; SGPRBlocks: 0
; VGPRBlocks: 0
; NumSGPRsForWavesPerEU: 1
; NumVGPRsForWavesPerEU: 1
; NamedBarCnt: 0
; Occupancy: 16
; WaveLimiterHint : 0
; COMPUTE_PGM_RSRC2:SCRATCH_EN: 0
; COMPUTE_PGM_RSRC2:USER_SGPR: 0
; COMPUTE_PGM_RSRC2:TRAP_HANDLER: 0
; COMPUTE_PGM_RSRC2:TGID_X_EN: 1
; COMPUTE_PGM_RSRC2:TGID_Y_EN: 0
; COMPUTE_PGM_RSRC2:TGID_Z_EN: 0
; COMPUTE_PGM_RSRC2:TIDIG_COMP_CNT: 0
	.section	.text._ZN7rocprim17ROCPRIM_400000_NS6detail44device_merge_sort_compile_time_verifier_archINS1_11comp_targetILNS1_3genE8ELNS1_11target_archE1030ELNS1_3gpuE2ELNS1_3repE0EEES8_NS1_28merge_sort_block_sort_configILj256ELj4ELNS0_20block_sort_algorithmE0EEENS0_14default_configENS1_37merge_sort_block_sort_config_selectorItNS0_10empty_typeEEENS1_38merge_sort_block_merge_config_selectorItSE_EEEEvv,"axG",@progbits,_ZN7rocprim17ROCPRIM_400000_NS6detail44device_merge_sort_compile_time_verifier_archINS1_11comp_targetILNS1_3genE8ELNS1_11target_archE1030ELNS1_3gpuE2ELNS1_3repE0EEES8_NS1_28merge_sort_block_sort_configILj256ELj4ELNS0_20block_sort_algorithmE0EEENS0_14default_configENS1_37merge_sort_block_sort_config_selectorItNS0_10empty_typeEEENS1_38merge_sort_block_merge_config_selectorItSE_EEEEvv,comdat
	.protected	_ZN7rocprim17ROCPRIM_400000_NS6detail44device_merge_sort_compile_time_verifier_archINS1_11comp_targetILNS1_3genE8ELNS1_11target_archE1030ELNS1_3gpuE2ELNS1_3repE0EEES8_NS1_28merge_sort_block_sort_configILj256ELj4ELNS0_20block_sort_algorithmE0EEENS0_14default_configENS1_37merge_sort_block_sort_config_selectorItNS0_10empty_typeEEENS1_38merge_sort_block_merge_config_selectorItSE_EEEEvv ; -- Begin function _ZN7rocprim17ROCPRIM_400000_NS6detail44device_merge_sort_compile_time_verifier_archINS1_11comp_targetILNS1_3genE8ELNS1_11target_archE1030ELNS1_3gpuE2ELNS1_3repE0EEES8_NS1_28merge_sort_block_sort_configILj256ELj4ELNS0_20block_sort_algorithmE0EEENS0_14default_configENS1_37merge_sort_block_sort_config_selectorItNS0_10empty_typeEEENS1_38merge_sort_block_merge_config_selectorItSE_EEEEvv
	.globl	_ZN7rocprim17ROCPRIM_400000_NS6detail44device_merge_sort_compile_time_verifier_archINS1_11comp_targetILNS1_3genE8ELNS1_11target_archE1030ELNS1_3gpuE2ELNS1_3repE0EEES8_NS1_28merge_sort_block_sort_configILj256ELj4ELNS0_20block_sort_algorithmE0EEENS0_14default_configENS1_37merge_sort_block_sort_config_selectorItNS0_10empty_typeEEENS1_38merge_sort_block_merge_config_selectorItSE_EEEEvv
	.p2align	8
	.type	_ZN7rocprim17ROCPRIM_400000_NS6detail44device_merge_sort_compile_time_verifier_archINS1_11comp_targetILNS1_3genE8ELNS1_11target_archE1030ELNS1_3gpuE2ELNS1_3repE0EEES8_NS1_28merge_sort_block_sort_configILj256ELj4ELNS0_20block_sort_algorithmE0EEENS0_14default_configENS1_37merge_sort_block_sort_config_selectorItNS0_10empty_typeEEENS1_38merge_sort_block_merge_config_selectorItSE_EEEEvv,@function
_ZN7rocprim17ROCPRIM_400000_NS6detail44device_merge_sort_compile_time_verifier_archINS1_11comp_targetILNS1_3genE8ELNS1_11target_archE1030ELNS1_3gpuE2ELNS1_3repE0EEES8_NS1_28merge_sort_block_sort_configILj256ELj4ELNS0_20block_sort_algorithmE0EEENS0_14default_configENS1_37merge_sort_block_sort_config_selectorItNS0_10empty_typeEEENS1_38merge_sort_block_merge_config_selectorItSE_EEEEvv: ; @_ZN7rocprim17ROCPRIM_400000_NS6detail44device_merge_sort_compile_time_verifier_archINS1_11comp_targetILNS1_3genE8ELNS1_11target_archE1030ELNS1_3gpuE2ELNS1_3repE0EEES8_NS1_28merge_sort_block_sort_configILj256ELj4ELNS0_20block_sort_algorithmE0EEENS0_14default_configENS1_37merge_sort_block_sort_config_selectorItNS0_10empty_typeEEENS1_38merge_sort_block_merge_config_selectorItSE_EEEEvv
; %bb.0:
	s_endpgm
	.section	.rodata,"a",@progbits
	.p2align	6, 0x0
	.amdhsa_kernel _ZN7rocprim17ROCPRIM_400000_NS6detail44device_merge_sort_compile_time_verifier_archINS1_11comp_targetILNS1_3genE8ELNS1_11target_archE1030ELNS1_3gpuE2ELNS1_3repE0EEES8_NS1_28merge_sort_block_sort_configILj256ELj4ELNS0_20block_sort_algorithmE0EEENS0_14default_configENS1_37merge_sort_block_sort_config_selectorItNS0_10empty_typeEEENS1_38merge_sort_block_merge_config_selectorItSE_EEEEvv
		.amdhsa_group_segment_fixed_size 0
		.amdhsa_private_segment_fixed_size 0
		.amdhsa_kernarg_size 0
		.amdhsa_user_sgpr_count 0
		.amdhsa_user_sgpr_dispatch_ptr 0
		.amdhsa_user_sgpr_queue_ptr 0
		.amdhsa_user_sgpr_kernarg_segment_ptr 0
		.amdhsa_user_sgpr_dispatch_id 0
		.amdhsa_user_sgpr_kernarg_preload_length 0
		.amdhsa_user_sgpr_kernarg_preload_offset 0
		.amdhsa_user_sgpr_private_segment_size 0
		.amdhsa_wavefront_size32 1
		.amdhsa_uses_dynamic_stack 0
		.amdhsa_enable_private_segment 0
		.amdhsa_system_sgpr_workgroup_id_x 1
		.amdhsa_system_sgpr_workgroup_id_y 0
		.amdhsa_system_sgpr_workgroup_id_z 0
		.amdhsa_system_sgpr_workgroup_info 0
		.amdhsa_system_vgpr_workitem_id 0
		.amdhsa_next_free_vgpr 1
		.amdhsa_next_free_sgpr 1
		.amdhsa_named_barrier_count 0
		.amdhsa_reserve_vcc 0
		.amdhsa_float_round_mode_32 0
		.amdhsa_float_round_mode_16_64 0
		.amdhsa_float_denorm_mode_32 3
		.amdhsa_float_denorm_mode_16_64 3
		.amdhsa_fp16_overflow 0
		.amdhsa_memory_ordered 1
		.amdhsa_forward_progress 1
		.amdhsa_inst_pref_size 1
		.amdhsa_round_robin_scheduling 0
		.amdhsa_exception_fp_ieee_invalid_op 0
		.amdhsa_exception_fp_denorm_src 0
		.amdhsa_exception_fp_ieee_div_zero 0
		.amdhsa_exception_fp_ieee_overflow 0
		.amdhsa_exception_fp_ieee_underflow 0
		.amdhsa_exception_fp_ieee_inexact 0
		.amdhsa_exception_int_div_zero 0
	.end_amdhsa_kernel
	.section	.text._ZN7rocprim17ROCPRIM_400000_NS6detail44device_merge_sort_compile_time_verifier_archINS1_11comp_targetILNS1_3genE8ELNS1_11target_archE1030ELNS1_3gpuE2ELNS1_3repE0EEES8_NS1_28merge_sort_block_sort_configILj256ELj4ELNS0_20block_sort_algorithmE0EEENS0_14default_configENS1_37merge_sort_block_sort_config_selectorItNS0_10empty_typeEEENS1_38merge_sort_block_merge_config_selectorItSE_EEEEvv,"axG",@progbits,_ZN7rocprim17ROCPRIM_400000_NS6detail44device_merge_sort_compile_time_verifier_archINS1_11comp_targetILNS1_3genE8ELNS1_11target_archE1030ELNS1_3gpuE2ELNS1_3repE0EEES8_NS1_28merge_sort_block_sort_configILj256ELj4ELNS0_20block_sort_algorithmE0EEENS0_14default_configENS1_37merge_sort_block_sort_config_selectorItNS0_10empty_typeEEENS1_38merge_sort_block_merge_config_selectorItSE_EEEEvv,comdat
.Lfunc_end2303:
	.size	_ZN7rocprim17ROCPRIM_400000_NS6detail44device_merge_sort_compile_time_verifier_archINS1_11comp_targetILNS1_3genE8ELNS1_11target_archE1030ELNS1_3gpuE2ELNS1_3repE0EEES8_NS1_28merge_sort_block_sort_configILj256ELj4ELNS0_20block_sort_algorithmE0EEENS0_14default_configENS1_37merge_sort_block_sort_config_selectorItNS0_10empty_typeEEENS1_38merge_sort_block_merge_config_selectorItSE_EEEEvv, .Lfunc_end2303-_ZN7rocprim17ROCPRIM_400000_NS6detail44device_merge_sort_compile_time_verifier_archINS1_11comp_targetILNS1_3genE8ELNS1_11target_archE1030ELNS1_3gpuE2ELNS1_3repE0EEES8_NS1_28merge_sort_block_sort_configILj256ELj4ELNS0_20block_sort_algorithmE0EEENS0_14default_configENS1_37merge_sort_block_sort_config_selectorItNS0_10empty_typeEEENS1_38merge_sort_block_merge_config_selectorItSE_EEEEvv
                                        ; -- End function
	.set _ZN7rocprim17ROCPRIM_400000_NS6detail44device_merge_sort_compile_time_verifier_archINS1_11comp_targetILNS1_3genE8ELNS1_11target_archE1030ELNS1_3gpuE2ELNS1_3repE0EEES8_NS1_28merge_sort_block_sort_configILj256ELj4ELNS0_20block_sort_algorithmE0EEENS0_14default_configENS1_37merge_sort_block_sort_config_selectorItNS0_10empty_typeEEENS1_38merge_sort_block_merge_config_selectorItSE_EEEEvv.num_vgpr, 0
	.set _ZN7rocprim17ROCPRIM_400000_NS6detail44device_merge_sort_compile_time_verifier_archINS1_11comp_targetILNS1_3genE8ELNS1_11target_archE1030ELNS1_3gpuE2ELNS1_3repE0EEES8_NS1_28merge_sort_block_sort_configILj256ELj4ELNS0_20block_sort_algorithmE0EEENS0_14default_configENS1_37merge_sort_block_sort_config_selectorItNS0_10empty_typeEEENS1_38merge_sort_block_merge_config_selectorItSE_EEEEvv.num_agpr, 0
	.set _ZN7rocprim17ROCPRIM_400000_NS6detail44device_merge_sort_compile_time_verifier_archINS1_11comp_targetILNS1_3genE8ELNS1_11target_archE1030ELNS1_3gpuE2ELNS1_3repE0EEES8_NS1_28merge_sort_block_sort_configILj256ELj4ELNS0_20block_sort_algorithmE0EEENS0_14default_configENS1_37merge_sort_block_sort_config_selectorItNS0_10empty_typeEEENS1_38merge_sort_block_merge_config_selectorItSE_EEEEvv.numbered_sgpr, 0
	.set _ZN7rocprim17ROCPRIM_400000_NS6detail44device_merge_sort_compile_time_verifier_archINS1_11comp_targetILNS1_3genE8ELNS1_11target_archE1030ELNS1_3gpuE2ELNS1_3repE0EEES8_NS1_28merge_sort_block_sort_configILj256ELj4ELNS0_20block_sort_algorithmE0EEENS0_14default_configENS1_37merge_sort_block_sort_config_selectorItNS0_10empty_typeEEENS1_38merge_sort_block_merge_config_selectorItSE_EEEEvv.num_named_barrier, 0
	.set _ZN7rocprim17ROCPRIM_400000_NS6detail44device_merge_sort_compile_time_verifier_archINS1_11comp_targetILNS1_3genE8ELNS1_11target_archE1030ELNS1_3gpuE2ELNS1_3repE0EEES8_NS1_28merge_sort_block_sort_configILj256ELj4ELNS0_20block_sort_algorithmE0EEENS0_14default_configENS1_37merge_sort_block_sort_config_selectorItNS0_10empty_typeEEENS1_38merge_sort_block_merge_config_selectorItSE_EEEEvv.private_seg_size, 0
	.set _ZN7rocprim17ROCPRIM_400000_NS6detail44device_merge_sort_compile_time_verifier_archINS1_11comp_targetILNS1_3genE8ELNS1_11target_archE1030ELNS1_3gpuE2ELNS1_3repE0EEES8_NS1_28merge_sort_block_sort_configILj256ELj4ELNS0_20block_sort_algorithmE0EEENS0_14default_configENS1_37merge_sort_block_sort_config_selectorItNS0_10empty_typeEEENS1_38merge_sort_block_merge_config_selectorItSE_EEEEvv.uses_vcc, 0
	.set _ZN7rocprim17ROCPRIM_400000_NS6detail44device_merge_sort_compile_time_verifier_archINS1_11comp_targetILNS1_3genE8ELNS1_11target_archE1030ELNS1_3gpuE2ELNS1_3repE0EEES8_NS1_28merge_sort_block_sort_configILj256ELj4ELNS0_20block_sort_algorithmE0EEENS0_14default_configENS1_37merge_sort_block_sort_config_selectorItNS0_10empty_typeEEENS1_38merge_sort_block_merge_config_selectorItSE_EEEEvv.uses_flat_scratch, 0
	.set _ZN7rocprim17ROCPRIM_400000_NS6detail44device_merge_sort_compile_time_verifier_archINS1_11comp_targetILNS1_3genE8ELNS1_11target_archE1030ELNS1_3gpuE2ELNS1_3repE0EEES8_NS1_28merge_sort_block_sort_configILj256ELj4ELNS0_20block_sort_algorithmE0EEENS0_14default_configENS1_37merge_sort_block_sort_config_selectorItNS0_10empty_typeEEENS1_38merge_sort_block_merge_config_selectorItSE_EEEEvv.has_dyn_sized_stack, 0
	.set _ZN7rocprim17ROCPRIM_400000_NS6detail44device_merge_sort_compile_time_verifier_archINS1_11comp_targetILNS1_3genE8ELNS1_11target_archE1030ELNS1_3gpuE2ELNS1_3repE0EEES8_NS1_28merge_sort_block_sort_configILj256ELj4ELNS0_20block_sort_algorithmE0EEENS0_14default_configENS1_37merge_sort_block_sort_config_selectorItNS0_10empty_typeEEENS1_38merge_sort_block_merge_config_selectorItSE_EEEEvv.has_recursion, 0
	.set _ZN7rocprim17ROCPRIM_400000_NS6detail44device_merge_sort_compile_time_verifier_archINS1_11comp_targetILNS1_3genE8ELNS1_11target_archE1030ELNS1_3gpuE2ELNS1_3repE0EEES8_NS1_28merge_sort_block_sort_configILj256ELj4ELNS0_20block_sort_algorithmE0EEENS0_14default_configENS1_37merge_sort_block_sort_config_selectorItNS0_10empty_typeEEENS1_38merge_sort_block_merge_config_selectorItSE_EEEEvv.has_indirect_call, 0
	.section	.AMDGPU.csdata,"",@progbits
; Kernel info:
; codeLenInByte = 4
; TotalNumSgprs: 0
; NumVgprs: 0
; ScratchSize: 0
; MemoryBound: 0
; FloatMode: 240
; IeeeMode: 1
; LDSByteSize: 0 bytes/workgroup (compile time only)
; SGPRBlocks: 0
; VGPRBlocks: 0
; NumSGPRsForWavesPerEU: 1
; NumVGPRsForWavesPerEU: 1
; NamedBarCnt: 0
; Occupancy: 16
; WaveLimiterHint : 0
; COMPUTE_PGM_RSRC2:SCRATCH_EN: 0
; COMPUTE_PGM_RSRC2:USER_SGPR: 0
; COMPUTE_PGM_RSRC2:TRAP_HANDLER: 0
; COMPUTE_PGM_RSRC2:TGID_X_EN: 1
; COMPUTE_PGM_RSRC2:TGID_Y_EN: 0
; COMPUTE_PGM_RSRC2:TGID_Z_EN: 0
; COMPUTE_PGM_RSRC2:TIDIG_COMP_CNT: 0
	.section	.text._ZN7rocprim17ROCPRIM_400000_NS6detail17trampoline_kernelINS0_14default_configENS1_38merge_sort_block_merge_config_selectorItNS0_10empty_typeEEEZZNS1_27merge_sort_block_merge_implIS3_PtPS5_jNS1_19radix_merge_compareILb1ELb0EtNS0_19identity_decomposerEEEEE10hipError_tT0_T1_T2_jT3_P12ihipStream_tbPNSt15iterator_traitsISE_E10value_typeEPNSK_ISF_E10value_typeEPSG_NS1_7vsmem_tEENKUlT_SE_SF_SG_E_clIS8_S8_S9_S9_EESD_ST_SE_SF_SG_EUlST_E_NS1_11comp_targetILNS1_3genE0ELNS1_11target_archE4294967295ELNS1_3gpuE0ELNS1_3repE0EEENS1_48merge_mergepath_partition_config_static_selectorELNS0_4arch9wavefront6targetE0EEEvSF_,"axG",@progbits,_ZN7rocprim17ROCPRIM_400000_NS6detail17trampoline_kernelINS0_14default_configENS1_38merge_sort_block_merge_config_selectorItNS0_10empty_typeEEEZZNS1_27merge_sort_block_merge_implIS3_PtPS5_jNS1_19radix_merge_compareILb1ELb0EtNS0_19identity_decomposerEEEEE10hipError_tT0_T1_T2_jT3_P12ihipStream_tbPNSt15iterator_traitsISE_E10value_typeEPNSK_ISF_E10value_typeEPSG_NS1_7vsmem_tEENKUlT_SE_SF_SG_E_clIS8_S8_S9_S9_EESD_ST_SE_SF_SG_EUlST_E_NS1_11comp_targetILNS1_3genE0ELNS1_11target_archE4294967295ELNS1_3gpuE0ELNS1_3repE0EEENS1_48merge_mergepath_partition_config_static_selectorELNS0_4arch9wavefront6targetE0EEEvSF_,comdat
	.protected	_ZN7rocprim17ROCPRIM_400000_NS6detail17trampoline_kernelINS0_14default_configENS1_38merge_sort_block_merge_config_selectorItNS0_10empty_typeEEEZZNS1_27merge_sort_block_merge_implIS3_PtPS5_jNS1_19radix_merge_compareILb1ELb0EtNS0_19identity_decomposerEEEEE10hipError_tT0_T1_T2_jT3_P12ihipStream_tbPNSt15iterator_traitsISE_E10value_typeEPNSK_ISF_E10value_typeEPSG_NS1_7vsmem_tEENKUlT_SE_SF_SG_E_clIS8_S8_S9_S9_EESD_ST_SE_SF_SG_EUlST_E_NS1_11comp_targetILNS1_3genE0ELNS1_11target_archE4294967295ELNS1_3gpuE0ELNS1_3repE0EEENS1_48merge_mergepath_partition_config_static_selectorELNS0_4arch9wavefront6targetE0EEEvSF_ ; -- Begin function _ZN7rocprim17ROCPRIM_400000_NS6detail17trampoline_kernelINS0_14default_configENS1_38merge_sort_block_merge_config_selectorItNS0_10empty_typeEEEZZNS1_27merge_sort_block_merge_implIS3_PtPS5_jNS1_19radix_merge_compareILb1ELb0EtNS0_19identity_decomposerEEEEE10hipError_tT0_T1_T2_jT3_P12ihipStream_tbPNSt15iterator_traitsISE_E10value_typeEPNSK_ISF_E10value_typeEPSG_NS1_7vsmem_tEENKUlT_SE_SF_SG_E_clIS8_S8_S9_S9_EESD_ST_SE_SF_SG_EUlST_E_NS1_11comp_targetILNS1_3genE0ELNS1_11target_archE4294967295ELNS1_3gpuE0ELNS1_3repE0EEENS1_48merge_mergepath_partition_config_static_selectorELNS0_4arch9wavefront6targetE0EEEvSF_
	.globl	_ZN7rocprim17ROCPRIM_400000_NS6detail17trampoline_kernelINS0_14default_configENS1_38merge_sort_block_merge_config_selectorItNS0_10empty_typeEEEZZNS1_27merge_sort_block_merge_implIS3_PtPS5_jNS1_19radix_merge_compareILb1ELb0EtNS0_19identity_decomposerEEEEE10hipError_tT0_T1_T2_jT3_P12ihipStream_tbPNSt15iterator_traitsISE_E10value_typeEPNSK_ISF_E10value_typeEPSG_NS1_7vsmem_tEENKUlT_SE_SF_SG_E_clIS8_S8_S9_S9_EESD_ST_SE_SF_SG_EUlST_E_NS1_11comp_targetILNS1_3genE0ELNS1_11target_archE4294967295ELNS1_3gpuE0ELNS1_3repE0EEENS1_48merge_mergepath_partition_config_static_selectorELNS0_4arch9wavefront6targetE0EEEvSF_
	.p2align	8
	.type	_ZN7rocprim17ROCPRIM_400000_NS6detail17trampoline_kernelINS0_14default_configENS1_38merge_sort_block_merge_config_selectorItNS0_10empty_typeEEEZZNS1_27merge_sort_block_merge_implIS3_PtPS5_jNS1_19radix_merge_compareILb1ELb0EtNS0_19identity_decomposerEEEEE10hipError_tT0_T1_T2_jT3_P12ihipStream_tbPNSt15iterator_traitsISE_E10value_typeEPNSK_ISF_E10value_typeEPSG_NS1_7vsmem_tEENKUlT_SE_SF_SG_E_clIS8_S8_S9_S9_EESD_ST_SE_SF_SG_EUlST_E_NS1_11comp_targetILNS1_3genE0ELNS1_11target_archE4294967295ELNS1_3gpuE0ELNS1_3repE0EEENS1_48merge_mergepath_partition_config_static_selectorELNS0_4arch9wavefront6targetE0EEEvSF_,@function
_ZN7rocprim17ROCPRIM_400000_NS6detail17trampoline_kernelINS0_14default_configENS1_38merge_sort_block_merge_config_selectorItNS0_10empty_typeEEEZZNS1_27merge_sort_block_merge_implIS3_PtPS5_jNS1_19radix_merge_compareILb1ELb0EtNS0_19identity_decomposerEEEEE10hipError_tT0_T1_T2_jT3_P12ihipStream_tbPNSt15iterator_traitsISE_E10value_typeEPNSK_ISF_E10value_typeEPSG_NS1_7vsmem_tEENKUlT_SE_SF_SG_E_clIS8_S8_S9_S9_EESD_ST_SE_SF_SG_EUlST_E_NS1_11comp_targetILNS1_3genE0ELNS1_11target_archE4294967295ELNS1_3gpuE0ELNS1_3repE0EEENS1_48merge_mergepath_partition_config_static_selectorELNS0_4arch9wavefront6targetE0EEEvSF_: ; @_ZN7rocprim17ROCPRIM_400000_NS6detail17trampoline_kernelINS0_14default_configENS1_38merge_sort_block_merge_config_selectorItNS0_10empty_typeEEEZZNS1_27merge_sort_block_merge_implIS3_PtPS5_jNS1_19radix_merge_compareILb1ELb0EtNS0_19identity_decomposerEEEEE10hipError_tT0_T1_T2_jT3_P12ihipStream_tbPNSt15iterator_traitsISE_E10value_typeEPNSK_ISF_E10value_typeEPSG_NS1_7vsmem_tEENKUlT_SE_SF_SG_E_clIS8_S8_S9_S9_EESD_ST_SE_SF_SG_EUlST_E_NS1_11comp_targetILNS1_3genE0ELNS1_11target_archE4294967295ELNS1_3gpuE0ELNS1_3repE0EEENS1_48merge_mergepath_partition_config_static_selectorELNS0_4arch9wavefront6targetE0EEEvSF_
; %bb.0:
	s_load_b32 s2, s[0:1], 0x0
	s_bfe_u32 s3, ttmp6, 0x4000c
	s_and_b32 s4, ttmp6, 15
	s_add_co_i32 s3, s3, 1
	s_getreg_b32 s5, hwreg(HW_REG_IB_STS2, 6, 4)
	s_mul_i32 s3, ttmp9, s3
	s_delay_alu instid0(SALU_CYCLE_1) | instskip(SKIP_2) | instid1(SALU_CYCLE_1)
	s_add_co_i32 s4, s4, s3
	s_cmp_eq_u32 s5, 0
	s_cselect_b32 s3, ttmp9, s4
	v_lshl_or_b32 v8, s3, 7, v0
	s_wait_kmcnt 0x0
	s_delay_alu instid0(VALU_DEP_1)
	v_cmp_gt_u32_e32 vcc_lo, s2, v8
	s_and_saveexec_b32 s2, vcc_lo
	s_cbranch_execz .LBB2304_6
; %bb.1:
	s_load_b64 s[2:3], s[0:1], 0x4
	s_wait_kmcnt 0x0
	s_lshr_b32 s4, s2, 9
	s_delay_alu instid0(SALU_CYCLE_1) | instskip(NEXT) | instid1(SALU_CYCLE_1)
	s_and_b32 s4, s4, 0x7ffffe
	s_sub_co_i32 s5, 0, s4
	s_add_co_i32 s4, s4, -1
	s_delay_alu instid0(SALU_CYCLE_1) | instskip(SKIP_2) | instid1(VALU_DEP_1)
	v_and_b32_e32 v1, s4, v8
	v_and_b32_e32 v0, s5, v8
	s_mov_b32 s4, exec_lo
	v_dual_lshlrev_b32 v1, 10, v1 :: v_dual_lshlrev_b32 v0, 10, v0
	s_delay_alu instid0(VALU_DEP_1) | instskip(SKIP_1) | instid1(VALU_DEP_2)
	v_add_min_u32_e64 v2, v0, s2, s3
	v_min_u32_e32 v0, s3, v0
	v_add_min_u32_e64 v3, v2, s2, s3
	s_load_b64 s[2:3], s[0:1], 0x20
	s_delay_alu instid0(VALU_DEP_1) | instskip(NEXT) | instid1(VALU_DEP_1)
	v_dual_sub_nc_u32 v4, v3, v0 :: v_dual_sub_nc_u32 v3, v3, v2
	v_min_u32_e32 v10, v4, v1
	v_sub_nc_u32_e32 v1, v2, v0
	s_delay_alu instid0(VALU_DEP_2) | instskip(NEXT) | instid1(VALU_DEP_2)
	v_sub_nc_u32_e64 v9, v10, v3 clamp
	v_min_u32_e32 v11, v10, v1
	s_delay_alu instid0(VALU_DEP_1)
	v_cmpx_lt_u32_e64 v9, v11
	s_cbranch_execz .LBB2304_5
; %bb.2:
	s_wait_xcnt 0x0
	s_load_b64 s[0:1], s[0:1], 0x10
	v_mov_b32_e32 v3, 0
	s_delay_alu instid0(VALU_DEP_1) | instskip(SKIP_1) | instid1(VALU_DEP_1)
	v_mov_b32_e32 v1, v3
	s_wait_kmcnt 0x0
	v_lshl_add_u64 v[4:5], v[0:1], 1, s[0:1]
	v_lshl_add_u64 v[6:7], v[2:3], 1, s[0:1]
	s_mov_b32 s0, 0
.LBB2304_3:                             ; =>This Inner Loop Header: Depth=1
	v_add_nc_u32_e32 v1, v11, v9
	s_delay_alu instid0(VALU_DEP_1) | instskip(SKIP_1) | instid1(VALU_DEP_2)
	v_dual_mov_b32 v13, v3 :: v_dual_lshrrev_b32 v16, 1, v1
	v_and_b32_e32 v2, -2, v1
	v_xad_u32 v12, v16, -1, v10
	s_delay_alu instid0(VALU_DEP_2) | instskip(NEXT) | instid1(VALU_DEP_2)
	v_add_nc_u64_e32 v[14:15], v[4:5], v[2:3]
	v_lshl_add_u64 v[12:13], v[12:13], 1, v[6:7]
	s_clause 0x1
	global_load_u16 v1, v[14:15], off
	global_load_u16 v2, v[12:13], off
	s_wait_xcnt 0x0
	v_add_nc_u32_e32 v12, 1, v16
	s_wait_loadcnt 0x0
	v_cmp_gt_u16_e32 vcc_lo, v2, v1
	s_delay_alu instid0(VALU_DEP_2) | instskip(NEXT) | instid1(VALU_DEP_1)
	v_dual_cndmask_b32 v11, v11, v16, vcc_lo :: v_dual_cndmask_b32 v9, v12, v9, vcc_lo
	v_cmp_ge_u32_e32 vcc_lo, v9, v11
	s_or_b32 s0, vcc_lo, s0
	s_delay_alu instid0(SALU_CYCLE_1)
	s_and_not1_b32 exec_lo, exec_lo, s0
	s_cbranch_execnz .LBB2304_3
; %bb.4:
	s_or_b32 exec_lo, exec_lo, s0
.LBB2304_5:
	s_delay_alu instid0(SALU_CYCLE_1)
	s_or_b32 exec_lo, exec_lo, s4
	v_add_nc_u32_e32 v0, v9, v0
	s_wait_kmcnt 0x0
	global_store_b32 v8, v0, s[2:3] scale_offset
.LBB2304_6:
	s_endpgm
	.section	.rodata,"a",@progbits
	.p2align	6, 0x0
	.amdhsa_kernel _ZN7rocprim17ROCPRIM_400000_NS6detail17trampoline_kernelINS0_14default_configENS1_38merge_sort_block_merge_config_selectorItNS0_10empty_typeEEEZZNS1_27merge_sort_block_merge_implIS3_PtPS5_jNS1_19radix_merge_compareILb1ELb0EtNS0_19identity_decomposerEEEEE10hipError_tT0_T1_T2_jT3_P12ihipStream_tbPNSt15iterator_traitsISE_E10value_typeEPNSK_ISF_E10value_typeEPSG_NS1_7vsmem_tEENKUlT_SE_SF_SG_E_clIS8_S8_S9_S9_EESD_ST_SE_SF_SG_EUlST_E_NS1_11comp_targetILNS1_3genE0ELNS1_11target_archE4294967295ELNS1_3gpuE0ELNS1_3repE0EEENS1_48merge_mergepath_partition_config_static_selectorELNS0_4arch9wavefront6targetE0EEEvSF_
		.amdhsa_group_segment_fixed_size 0
		.amdhsa_private_segment_fixed_size 0
		.amdhsa_kernarg_size 40
		.amdhsa_user_sgpr_count 2
		.amdhsa_user_sgpr_dispatch_ptr 0
		.amdhsa_user_sgpr_queue_ptr 0
		.amdhsa_user_sgpr_kernarg_segment_ptr 1
		.amdhsa_user_sgpr_dispatch_id 0
		.amdhsa_user_sgpr_kernarg_preload_length 0
		.amdhsa_user_sgpr_kernarg_preload_offset 0
		.amdhsa_user_sgpr_private_segment_size 0
		.amdhsa_wavefront_size32 1
		.amdhsa_uses_dynamic_stack 0
		.amdhsa_enable_private_segment 0
		.amdhsa_system_sgpr_workgroup_id_x 1
		.amdhsa_system_sgpr_workgroup_id_y 0
		.amdhsa_system_sgpr_workgroup_id_z 0
		.amdhsa_system_sgpr_workgroup_info 0
		.amdhsa_system_vgpr_workitem_id 0
		.amdhsa_next_free_vgpr 17
		.amdhsa_next_free_sgpr 6
		.amdhsa_named_barrier_count 0
		.amdhsa_reserve_vcc 1
		.amdhsa_float_round_mode_32 0
		.amdhsa_float_round_mode_16_64 0
		.amdhsa_float_denorm_mode_32 3
		.amdhsa_float_denorm_mode_16_64 3
		.amdhsa_fp16_overflow 0
		.amdhsa_memory_ordered 1
		.amdhsa_forward_progress 1
		.amdhsa_inst_pref_size 4
		.amdhsa_round_robin_scheduling 0
		.amdhsa_exception_fp_ieee_invalid_op 0
		.amdhsa_exception_fp_denorm_src 0
		.amdhsa_exception_fp_ieee_div_zero 0
		.amdhsa_exception_fp_ieee_overflow 0
		.amdhsa_exception_fp_ieee_underflow 0
		.amdhsa_exception_fp_ieee_inexact 0
		.amdhsa_exception_int_div_zero 0
	.end_amdhsa_kernel
	.section	.text._ZN7rocprim17ROCPRIM_400000_NS6detail17trampoline_kernelINS0_14default_configENS1_38merge_sort_block_merge_config_selectorItNS0_10empty_typeEEEZZNS1_27merge_sort_block_merge_implIS3_PtPS5_jNS1_19radix_merge_compareILb1ELb0EtNS0_19identity_decomposerEEEEE10hipError_tT0_T1_T2_jT3_P12ihipStream_tbPNSt15iterator_traitsISE_E10value_typeEPNSK_ISF_E10value_typeEPSG_NS1_7vsmem_tEENKUlT_SE_SF_SG_E_clIS8_S8_S9_S9_EESD_ST_SE_SF_SG_EUlST_E_NS1_11comp_targetILNS1_3genE0ELNS1_11target_archE4294967295ELNS1_3gpuE0ELNS1_3repE0EEENS1_48merge_mergepath_partition_config_static_selectorELNS0_4arch9wavefront6targetE0EEEvSF_,"axG",@progbits,_ZN7rocprim17ROCPRIM_400000_NS6detail17trampoline_kernelINS0_14default_configENS1_38merge_sort_block_merge_config_selectorItNS0_10empty_typeEEEZZNS1_27merge_sort_block_merge_implIS3_PtPS5_jNS1_19radix_merge_compareILb1ELb0EtNS0_19identity_decomposerEEEEE10hipError_tT0_T1_T2_jT3_P12ihipStream_tbPNSt15iterator_traitsISE_E10value_typeEPNSK_ISF_E10value_typeEPSG_NS1_7vsmem_tEENKUlT_SE_SF_SG_E_clIS8_S8_S9_S9_EESD_ST_SE_SF_SG_EUlST_E_NS1_11comp_targetILNS1_3genE0ELNS1_11target_archE4294967295ELNS1_3gpuE0ELNS1_3repE0EEENS1_48merge_mergepath_partition_config_static_selectorELNS0_4arch9wavefront6targetE0EEEvSF_,comdat
.Lfunc_end2304:
	.size	_ZN7rocprim17ROCPRIM_400000_NS6detail17trampoline_kernelINS0_14default_configENS1_38merge_sort_block_merge_config_selectorItNS0_10empty_typeEEEZZNS1_27merge_sort_block_merge_implIS3_PtPS5_jNS1_19radix_merge_compareILb1ELb0EtNS0_19identity_decomposerEEEEE10hipError_tT0_T1_T2_jT3_P12ihipStream_tbPNSt15iterator_traitsISE_E10value_typeEPNSK_ISF_E10value_typeEPSG_NS1_7vsmem_tEENKUlT_SE_SF_SG_E_clIS8_S8_S9_S9_EESD_ST_SE_SF_SG_EUlST_E_NS1_11comp_targetILNS1_3genE0ELNS1_11target_archE4294967295ELNS1_3gpuE0ELNS1_3repE0EEENS1_48merge_mergepath_partition_config_static_selectorELNS0_4arch9wavefront6targetE0EEEvSF_, .Lfunc_end2304-_ZN7rocprim17ROCPRIM_400000_NS6detail17trampoline_kernelINS0_14default_configENS1_38merge_sort_block_merge_config_selectorItNS0_10empty_typeEEEZZNS1_27merge_sort_block_merge_implIS3_PtPS5_jNS1_19radix_merge_compareILb1ELb0EtNS0_19identity_decomposerEEEEE10hipError_tT0_T1_T2_jT3_P12ihipStream_tbPNSt15iterator_traitsISE_E10value_typeEPNSK_ISF_E10value_typeEPSG_NS1_7vsmem_tEENKUlT_SE_SF_SG_E_clIS8_S8_S9_S9_EESD_ST_SE_SF_SG_EUlST_E_NS1_11comp_targetILNS1_3genE0ELNS1_11target_archE4294967295ELNS1_3gpuE0ELNS1_3repE0EEENS1_48merge_mergepath_partition_config_static_selectorELNS0_4arch9wavefront6targetE0EEEvSF_
                                        ; -- End function
	.set _ZN7rocprim17ROCPRIM_400000_NS6detail17trampoline_kernelINS0_14default_configENS1_38merge_sort_block_merge_config_selectorItNS0_10empty_typeEEEZZNS1_27merge_sort_block_merge_implIS3_PtPS5_jNS1_19radix_merge_compareILb1ELb0EtNS0_19identity_decomposerEEEEE10hipError_tT0_T1_T2_jT3_P12ihipStream_tbPNSt15iterator_traitsISE_E10value_typeEPNSK_ISF_E10value_typeEPSG_NS1_7vsmem_tEENKUlT_SE_SF_SG_E_clIS8_S8_S9_S9_EESD_ST_SE_SF_SG_EUlST_E_NS1_11comp_targetILNS1_3genE0ELNS1_11target_archE4294967295ELNS1_3gpuE0ELNS1_3repE0EEENS1_48merge_mergepath_partition_config_static_selectorELNS0_4arch9wavefront6targetE0EEEvSF_.num_vgpr, 17
	.set _ZN7rocprim17ROCPRIM_400000_NS6detail17trampoline_kernelINS0_14default_configENS1_38merge_sort_block_merge_config_selectorItNS0_10empty_typeEEEZZNS1_27merge_sort_block_merge_implIS3_PtPS5_jNS1_19radix_merge_compareILb1ELb0EtNS0_19identity_decomposerEEEEE10hipError_tT0_T1_T2_jT3_P12ihipStream_tbPNSt15iterator_traitsISE_E10value_typeEPNSK_ISF_E10value_typeEPSG_NS1_7vsmem_tEENKUlT_SE_SF_SG_E_clIS8_S8_S9_S9_EESD_ST_SE_SF_SG_EUlST_E_NS1_11comp_targetILNS1_3genE0ELNS1_11target_archE4294967295ELNS1_3gpuE0ELNS1_3repE0EEENS1_48merge_mergepath_partition_config_static_selectorELNS0_4arch9wavefront6targetE0EEEvSF_.num_agpr, 0
	.set _ZN7rocprim17ROCPRIM_400000_NS6detail17trampoline_kernelINS0_14default_configENS1_38merge_sort_block_merge_config_selectorItNS0_10empty_typeEEEZZNS1_27merge_sort_block_merge_implIS3_PtPS5_jNS1_19radix_merge_compareILb1ELb0EtNS0_19identity_decomposerEEEEE10hipError_tT0_T1_T2_jT3_P12ihipStream_tbPNSt15iterator_traitsISE_E10value_typeEPNSK_ISF_E10value_typeEPSG_NS1_7vsmem_tEENKUlT_SE_SF_SG_E_clIS8_S8_S9_S9_EESD_ST_SE_SF_SG_EUlST_E_NS1_11comp_targetILNS1_3genE0ELNS1_11target_archE4294967295ELNS1_3gpuE0ELNS1_3repE0EEENS1_48merge_mergepath_partition_config_static_selectorELNS0_4arch9wavefront6targetE0EEEvSF_.numbered_sgpr, 6
	.set _ZN7rocprim17ROCPRIM_400000_NS6detail17trampoline_kernelINS0_14default_configENS1_38merge_sort_block_merge_config_selectorItNS0_10empty_typeEEEZZNS1_27merge_sort_block_merge_implIS3_PtPS5_jNS1_19radix_merge_compareILb1ELb0EtNS0_19identity_decomposerEEEEE10hipError_tT0_T1_T2_jT3_P12ihipStream_tbPNSt15iterator_traitsISE_E10value_typeEPNSK_ISF_E10value_typeEPSG_NS1_7vsmem_tEENKUlT_SE_SF_SG_E_clIS8_S8_S9_S9_EESD_ST_SE_SF_SG_EUlST_E_NS1_11comp_targetILNS1_3genE0ELNS1_11target_archE4294967295ELNS1_3gpuE0ELNS1_3repE0EEENS1_48merge_mergepath_partition_config_static_selectorELNS0_4arch9wavefront6targetE0EEEvSF_.num_named_barrier, 0
	.set _ZN7rocprim17ROCPRIM_400000_NS6detail17trampoline_kernelINS0_14default_configENS1_38merge_sort_block_merge_config_selectorItNS0_10empty_typeEEEZZNS1_27merge_sort_block_merge_implIS3_PtPS5_jNS1_19radix_merge_compareILb1ELb0EtNS0_19identity_decomposerEEEEE10hipError_tT0_T1_T2_jT3_P12ihipStream_tbPNSt15iterator_traitsISE_E10value_typeEPNSK_ISF_E10value_typeEPSG_NS1_7vsmem_tEENKUlT_SE_SF_SG_E_clIS8_S8_S9_S9_EESD_ST_SE_SF_SG_EUlST_E_NS1_11comp_targetILNS1_3genE0ELNS1_11target_archE4294967295ELNS1_3gpuE0ELNS1_3repE0EEENS1_48merge_mergepath_partition_config_static_selectorELNS0_4arch9wavefront6targetE0EEEvSF_.private_seg_size, 0
	.set _ZN7rocprim17ROCPRIM_400000_NS6detail17trampoline_kernelINS0_14default_configENS1_38merge_sort_block_merge_config_selectorItNS0_10empty_typeEEEZZNS1_27merge_sort_block_merge_implIS3_PtPS5_jNS1_19radix_merge_compareILb1ELb0EtNS0_19identity_decomposerEEEEE10hipError_tT0_T1_T2_jT3_P12ihipStream_tbPNSt15iterator_traitsISE_E10value_typeEPNSK_ISF_E10value_typeEPSG_NS1_7vsmem_tEENKUlT_SE_SF_SG_E_clIS8_S8_S9_S9_EESD_ST_SE_SF_SG_EUlST_E_NS1_11comp_targetILNS1_3genE0ELNS1_11target_archE4294967295ELNS1_3gpuE0ELNS1_3repE0EEENS1_48merge_mergepath_partition_config_static_selectorELNS0_4arch9wavefront6targetE0EEEvSF_.uses_vcc, 1
	.set _ZN7rocprim17ROCPRIM_400000_NS6detail17trampoline_kernelINS0_14default_configENS1_38merge_sort_block_merge_config_selectorItNS0_10empty_typeEEEZZNS1_27merge_sort_block_merge_implIS3_PtPS5_jNS1_19radix_merge_compareILb1ELb0EtNS0_19identity_decomposerEEEEE10hipError_tT0_T1_T2_jT3_P12ihipStream_tbPNSt15iterator_traitsISE_E10value_typeEPNSK_ISF_E10value_typeEPSG_NS1_7vsmem_tEENKUlT_SE_SF_SG_E_clIS8_S8_S9_S9_EESD_ST_SE_SF_SG_EUlST_E_NS1_11comp_targetILNS1_3genE0ELNS1_11target_archE4294967295ELNS1_3gpuE0ELNS1_3repE0EEENS1_48merge_mergepath_partition_config_static_selectorELNS0_4arch9wavefront6targetE0EEEvSF_.uses_flat_scratch, 0
	.set _ZN7rocprim17ROCPRIM_400000_NS6detail17trampoline_kernelINS0_14default_configENS1_38merge_sort_block_merge_config_selectorItNS0_10empty_typeEEEZZNS1_27merge_sort_block_merge_implIS3_PtPS5_jNS1_19radix_merge_compareILb1ELb0EtNS0_19identity_decomposerEEEEE10hipError_tT0_T1_T2_jT3_P12ihipStream_tbPNSt15iterator_traitsISE_E10value_typeEPNSK_ISF_E10value_typeEPSG_NS1_7vsmem_tEENKUlT_SE_SF_SG_E_clIS8_S8_S9_S9_EESD_ST_SE_SF_SG_EUlST_E_NS1_11comp_targetILNS1_3genE0ELNS1_11target_archE4294967295ELNS1_3gpuE0ELNS1_3repE0EEENS1_48merge_mergepath_partition_config_static_selectorELNS0_4arch9wavefront6targetE0EEEvSF_.has_dyn_sized_stack, 0
	.set _ZN7rocprim17ROCPRIM_400000_NS6detail17trampoline_kernelINS0_14default_configENS1_38merge_sort_block_merge_config_selectorItNS0_10empty_typeEEEZZNS1_27merge_sort_block_merge_implIS3_PtPS5_jNS1_19radix_merge_compareILb1ELb0EtNS0_19identity_decomposerEEEEE10hipError_tT0_T1_T2_jT3_P12ihipStream_tbPNSt15iterator_traitsISE_E10value_typeEPNSK_ISF_E10value_typeEPSG_NS1_7vsmem_tEENKUlT_SE_SF_SG_E_clIS8_S8_S9_S9_EESD_ST_SE_SF_SG_EUlST_E_NS1_11comp_targetILNS1_3genE0ELNS1_11target_archE4294967295ELNS1_3gpuE0ELNS1_3repE0EEENS1_48merge_mergepath_partition_config_static_selectorELNS0_4arch9wavefront6targetE0EEEvSF_.has_recursion, 0
	.set _ZN7rocprim17ROCPRIM_400000_NS6detail17trampoline_kernelINS0_14default_configENS1_38merge_sort_block_merge_config_selectorItNS0_10empty_typeEEEZZNS1_27merge_sort_block_merge_implIS3_PtPS5_jNS1_19radix_merge_compareILb1ELb0EtNS0_19identity_decomposerEEEEE10hipError_tT0_T1_T2_jT3_P12ihipStream_tbPNSt15iterator_traitsISE_E10value_typeEPNSK_ISF_E10value_typeEPSG_NS1_7vsmem_tEENKUlT_SE_SF_SG_E_clIS8_S8_S9_S9_EESD_ST_SE_SF_SG_EUlST_E_NS1_11comp_targetILNS1_3genE0ELNS1_11target_archE4294967295ELNS1_3gpuE0ELNS1_3repE0EEENS1_48merge_mergepath_partition_config_static_selectorELNS0_4arch9wavefront6targetE0EEEvSF_.has_indirect_call, 0
	.section	.AMDGPU.csdata,"",@progbits
; Kernel info:
; codeLenInByte = 436
; TotalNumSgprs: 8
; NumVgprs: 17
; ScratchSize: 0
; MemoryBound: 0
; FloatMode: 240
; IeeeMode: 1
; LDSByteSize: 0 bytes/workgroup (compile time only)
; SGPRBlocks: 0
; VGPRBlocks: 1
; NumSGPRsForWavesPerEU: 8
; NumVGPRsForWavesPerEU: 17
; NamedBarCnt: 0
; Occupancy: 16
; WaveLimiterHint : 0
; COMPUTE_PGM_RSRC2:SCRATCH_EN: 0
; COMPUTE_PGM_RSRC2:USER_SGPR: 2
; COMPUTE_PGM_RSRC2:TRAP_HANDLER: 0
; COMPUTE_PGM_RSRC2:TGID_X_EN: 1
; COMPUTE_PGM_RSRC2:TGID_Y_EN: 0
; COMPUTE_PGM_RSRC2:TGID_Z_EN: 0
; COMPUTE_PGM_RSRC2:TIDIG_COMP_CNT: 0
	.section	.text._ZN7rocprim17ROCPRIM_400000_NS6detail17trampoline_kernelINS0_14default_configENS1_38merge_sort_block_merge_config_selectorItNS0_10empty_typeEEEZZNS1_27merge_sort_block_merge_implIS3_PtPS5_jNS1_19radix_merge_compareILb1ELb0EtNS0_19identity_decomposerEEEEE10hipError_tT0_T1_T2_jT3_P12ihipStream_tbPNSt15iterator_traitsISE_E10value_typeEPNSK_ISF_E10value_typeEPSG_NS1_7vsmem_tEENKUlT_SE_SF_SG_E_clIS8_S8_S9_S9_EESD_ST_SE_SF_SG_EUlST_E_NS1_11comp_targetILNS1_3genE10ELNS1_11target_archE1201ELNS1_3gpuE5ELNS1_3repE0EEENS1_48merge_mergepath_partition_config_static_selectorELNS0_4arch9wavefront6targetE0EEEvSF_,"axG",@progbits,_ZN7rocprim17ROCPRIM_400000_NS6detail17trampoline_kernelINS0_14default_configENS1_38merge_sort_block_merge_config_selectorItNS0_10empty_typeEEEZZNS1_27merge_sort_block_merge_implIS3_PtPS5_jNS1_19radix_merge_compareILb1ELb0EtNS0_19identity_decomposerEEEEE10hipError_tT0_T1_T2_jT3_P12ihipStream_tbPNSt15iterator_traitsISE_E10value_typeEPNSK_ISF_E10value_typeEPSG_NS1_7vsmem_tEENKUlT_SE_SF_SG_E_clIS8_S8_S9_S9_EESD_ST_SE_SF_SG_EUlST_E_NS1_11comp_targetILNS1_3genE10ELNS1_11target_archE1201ELNS1_3gpuE5ELNS1_3repE0EEENS1_48merge_mergepath_partition_config_static_selectorELNS0_4arch9wavefront6targetE0EEEvSF_,comdat
	.protected	_ZN7rocprim17ROCPRIM_400000_NS6detail17trampoline_kernelINS0_14default_configENS1_38merge_sort_block_merge_config_selectorItNS0_10empty_typeEEEZZNS1_27merge_sort_block_merge_implIS3_PtPS5_jNS1_19radix_merge_compareILb1ELb0EtNS0_19identity_decomposerEEEEE10hipError_tT0_T1_T2_jT3_P12ihipStream_tbPNSt15iterator_traitsISE_E10value_typeEPNSK_ISF_E10value_typeEPSG_NS1_7vsmem_tEENKUlT_SE_SF_SG_E_clIS8_S8_S9_S9_EESD_ST_SE_SF_SG_EUlST_E_NS1_11comp_targetILNS1_3genE10ELNS1_11target_archE1201ELNS1_3gpuE5ELNS1_3repE0EEENS1_48merge_mergepath_partition_config_static_selectorELNS0_4arch9wavefront6targetE0EEEvSF_ ; -- Begin function _ZN7rocprim17ROCPRIM_400000_NS6detail17trampoline_kernelINS0_14default_configENS1_38merge_sort_block_merge_config_selectorItNS0_10empty_typeEEEZZNS1_27merge_sort_block_merge_implIS3_PtPS5_jNS1_19radix_merge_compareILb1ELb0EtNS0_19identity_decomposerEEEEE10hipError_tT0_T1_T2_jT3_P12ihipStream_tbPNSt15iterator_traitsISE_E10value_typeEPNSK_ISF_E10value_typeEPSG_NS1_7vsmem_tEENKUlT_SE_SF_SG_E_clIS8_S8_S9_S9_EESD_ST_SE_SF_SG_EUlST_E_NS1_11comp_targetILNS1_3genE10ELNS1_11target_archE1201ELNS1_3gpuE5ELNS1_3repE0EEENS1_48merge_mergepath_partition_config_static_selectorELNS0_4arch9wavefront6targetE0EEEvSF_
	.globl	_ZN7rocprim17ROCPRIM_400000_NS6detail17trampoline_kernelINS0_14default_configENS1_38merge_sort_block_merge_config_selectorItNS0_10empty_typeEEEZZNS1_27merge_sort_block_merge_implIS3_PtPS5_jNS1_19radix_merge_compareILb1ELb0EtNS0_19identity_decomposerEEEEE10hipError_tT0_T1_T2_jT3_P12ihipStream_tbPNSt15iterator_traitsISE_E10value_typeEPNSK_ISF_E10value_typeEPSG_NS1_7vsmem_tEENKUlT_SE_SF_SG_E_clIS8_S8_S9_S9_EESD_ST_SE_SF_SG_EUlST_E_NS1_11comp_targetILNS1_3genE10ELNS1_11target_archE1201ELNS1_3gpuE5ELNS1_3repE0EEENS1_48merge_mergepath_partition_config_static_selectorELNS0_4arch9wavefront6targetE0EEEvSF_
	.p2align	8
	.type	_ZN7rocprim17ROCPRIM_400000_NS6detail17trampoline_kernelINS0_14default_configENS1_38merge_sort_block_merge_config_selectorItNS0_10empty_typeEEEZZNS1_27merge_sort_block_merge_implIS3_PtPS5_jNS1_19radix_merge_compareILb1ELb0EtNS0_19identity_decomposerEEEEE10hipError_tT0_T1_T2_jT3_P12ihipStream_tbPNSt15iterator_traitsISE_E10value_typeEPNSK_ISF_E10value_typeEPSG_NS1_7vsmem_tEENKUlT_SE_SF_SG_E_clIS8_S8_S9_S9_EESD_ST_SE_SF_SG_EUlST_E_NS1_11comp_targetILNS1_3genE10ELNS1_11target_archE1201ELNS1_3gpuE5ELNS1_3repE0EEENS1_48merge_mergepath_partition_config_static_selectorELNS0_4arch9wavefront6targetE0EEEvSF_,@function
_ZN7rocprim17ROCPRIM_400000_NS6detail17trampoline_kernelINS0_14default_configENS1_38merge_sort_block_merge_config_selectorItNS0_10empty_typeEEEZZNS1_27merge_sort_block_merge_implIS3_PtPS5_jNS1_19radix_merge_compareILb1ELb0EtNS0_19identity_decomposerEEEEE10hipError_tT0_T1_T2_jT3_P12ihipStream_tbPNSt15iterator_traitsISE_E10value_typeEPNSK_ISF_E10value_typeEPSG_NS1_7vsmem_tEENKUlT_SE_SF_SG_E_clIS8_S8_S9_S9_EESD_ST_SE_SF_SG_EUlST_E_NS1_11comp_targetILNS1_3genE10ELNS1_11target_archE1201ELNS1_3gpuE5ELNS1_3repE0EEENS1_48merge_mergepath_partition_config_static_selectorELNS0_4arch9wavefront6targetE0EEEvSF_: ; @_ZN7rocprim17ROCPRIM_400000_NS6detail17trampoline_kernelINS0_14default_configENS1_38merge_sort_block_merge_config_selectorItNS0_10empty_typeEEEZZNS1_27merge_sort_block_merge_implIS3_PtPS5_jNS1_19radix_merge_compareILb1ELb0EtNS0_19identity_decomposerEEEEE10hipError_tT0_T1_T2_jT3_P12ihipStream_tbPNSt15iterator_traitsISE_E10value_typeEPNSK_ISF_E10value_typeEPSG_NS1_7vsmem_tEENKUlT_SE_SF_SG_E_clIS8_S8_S9_S9_EESD_ST_SE_SF_SG_EUlST_E_NS1_11comp_targetILNS1_3genE10ELNS1_11target_archE1201ELNS1_3gpuE5ELNS1_3repE0EEENS1_48merge_mergepath_partition_config_static_selectorELNS0_4arch9wavefront6targetE0EEEvSF_
; %bb.0:
	.section	.rodata,"a",@progbits
	.p2align	6, 0x0
	.amdhsa_kernel _ZN7rocprim17ROCPRIM_400000_NS6detail17trampoline_kernelINS0_14default_configENS1_38merge_sort_block_merge_config_selectorItNS0_10empty_typeEEEZZNS1_27merge_sort_block_merge_implIS3_PtPS5_jNS1_19radix_merge_compareILb1ELb0EtNS0_19identity_decomposerEEEEE10hipError_tT0_T1_T2_jT3_P12ihipStream_tbPNSt15iterator_traitsISE_E10value_typeEPNSK_ISF_E10value_typeEPSG_NS1_7vsmem_tEENKUlT_SE_SF_SG_E_clIS8_S8_S9_S9_EESD_ST_SE_SF_SG_EUlST_E_NS1_11comp_targetILNS1_3genE10ELNS1_11target_archE1201ELNS1_3gpuE5ELNS1_3repE0EEENS1_48merge_mergepath_partition_config_static_selectorELNS0_4arch9wavefront6targetE0EEEvSF_
		.amdhsa_group_segment_fixed_size 0
		.amdhsa_private_segment_fixed_size 0
		.amdhsa_kernarg_size 40
		.amdhsa_user_sgpr_count 2
		.amdhsa_user_sgpr_dispatch_ptr 0
		.amdhsa_user_sgpr_queue_ptr 0
		.amdhsa_user_sgpr_kernarg_segment_ptr 1
		.amdhsa_user_sgpr_dispatch_id 0
		.amdhsa_user_sgpr_kernarg_preload_length 0
		.amdhsa_user_sgpr_kernarg_preload_offset 0
		.amdhsa_user_sgpr_private_segment_size 0
		.amdhsa_wavefront_size32 1
		.amdhsa_uses_dynamic_stack 0
		.amdhsa_enable_private_segment 0
		.amdhsa_system_sgpr_workgroup_id_x 1
		.amdhsa_system_sgpr_workgroup_id_y 0
		.amdhsa_system_sgpr_workgroup_id_z 0
		.amdhsa_system_sgpr_workgroup_info 0
		.amdhsa_system_vgpr_workitem_id 0
		.amdhsa_next_free_vgpr 1
		.amdhsa_next_free_sgpr 1
		.amdhsa_named_barrier_count 0
		.amdhsa_reserve_vcc 0
		.amdhsa_float_round_mode_32 0
		.amdhsa_float_round_mode_16_64 0
		.amdhsa_float_denorm_mode_32 3
		.amdhsa_float_denorm_mode_16_64 3
		.amdhsa_fp16_overflow 0
		.amdhsa_memory_ordered 1
		.amdhsa_forward_progress 1
		.amdhsa_inst_pref_size 0
		.amdhsa_round_robin_scheduling 0
		.amdhsa_exception_fp_ieee_invalid_op 0
		.amdhsa_exception_fp_denorm_src 0
		.amdhsa_exception_fp_ieee_div_zero 0
		.amdhsa_exception_fp_ieee_overflow 0
		.amdhsa_exception_fp_ieee_underflow 0
		.amdhsa_exception_fp_ieee_inexact 0
		.amdhsa_exception_int_div_zero 0
	.end_amdhsa_kernel
	.section	.text._ZN7rocprim17ROCPRIM_400000_NS6detail17trampoline_kernelINS0_14default_configENS1_38merge_sort_block_merge_config_selectorItNS0_10empty_typeEEEZZNS1_27merge_sort_block_merge_implIS3_PtPS5_jNS1_19radix_merge_compareILb1ELb0EtNS0_19identity_decomposerEEEEE10hipError_tT0_T1_T2_jT3_P12ihipStream_tbPNSt15iterator_traitsISE_E10value_typeEPNSK_ISF_E10value_typeEPSG_NS1_7vsmem_tEENKUlT_SE_SF_SG_E_clIS8_S8_S9_S9_EESD_ST_SE_SF_SG_EUlST_E_NS1_11comp_targetILNS1_3genE10ELNS1_11target_archE1201ELNS1_3gpuE5ELNS1_3repE0EEENS1_48merge_mergepath_partition_config_static_selectorELNS0_4arch9wavefront6targetE0EEEvSF_,"axG",@progbits,_ZN7rocprim17ROCPRIM_400000_NS6detail17trampoline_kernelINS0_14default_configENS1_38merge_sort_block_merge_config_selectorItNS0_10empty_typeEEEZZNS1_27merge_sort_block_merge_implIS3_PtPS5_jNS1_19radix_merge_compareILb1ELb0EtNS0_19identity_decomposerEEEEE10hipError_tT0_T1_T2_jT3_P12ihipStream_tbPNSt15iterator_traitsISE_E10value_typeEPNSK_ISF_E10value_typeEPSG_NS1_7vsmem_tEENKUlT_SE_SF_SG_E_clIS8_S8_S9_S9_EESD_ST_SE_SF_SG_EUlST_E_NS1_11comp_targetILNS1_3genE10ELNS1_11target_archE1201ELNS1_3gpuE5ELNS1_3repE0EEENS1_48merge_mergepath_partition_config_static_selectorELNS0_4arch9wavefront6targetE0EEEvSF_,comdat
.Lfunc_end2305:
	.size	_ZN7rocprim17ROCPRIM_400000_NS6detail17trampoline_kernelINS0_14default_configENS1_38merge_sort_block_merge_config_selectorItNS0_10empty_typeEEEZZNS1_27merge_sort_block_merge_implIS3_PtPS5_jNS1_19radix_merge_compareILb1ELb0EtNS0_19identity_decomposerEEEEE10hipError_tT0_T1_T2_jT3_P12ihipStream_tbPNSt15iterator_traitsISE_E10value_typeEPNSK_ISF_E10value_typeEPSG_NS1_7vsmem_tEENKUlT_SE_SF_SG_E_clIS8_S8_S9_S9_EESD_ST_SE_SF_SG_EUlST_E_NS1_11comp_targetILNS1_3genE10ELNS1_11target_archE1201ELNS1_3gpuE5ELNS1_3repE0EEENS1_48merge_mergepath_partition_config_static_selectorELNS0_4arch9wavefront6targetE0EEEvSF_, .Lfunc_end2305-_ZN7rocprim17ROCPRIM_400000_NS6detail17trampoline_kernelINS0_14default_configENS1_38merge_sort_block_merge_config_selectorItNS0_10empty_typeEEEZZNS1_27merge_sort_block_merge_implIS3_PtPS5_jNS1_19radix_merge_compareILb1ELb0EtNS0_19identity_decomposerEEEEE10hipError_tT0_T1_T2_jT3_P12ihipStream_tbPNSt15iterator_traitsISE_E10value_typeEPNSK_ISF_E10value_typeEPSG_NS1_7vsmem_tEENKUlT_SE_SF_SG_E_clIS8_S8_S9_S9_EESD_ST_SE_SF_SG_EUlST_E_NS1_11comp_targetILNS1_3genE10ELNS1_11target_archE1201ELNS1_3gpuE5ELNS1_3repE0EEENS1_48merge_mergepath_partition_config_static_selectorELNS0_4arch9wavefront6targetE0EEEvSF_
                                        ; -- End function
	.set _ZN7rocprim17ROCPRIM_400000_NS6detail17trampoline_kernelINS0_14default_configENS1_38merge_sort_block_merge_config_selectorItNS0_10empty_typeEEEZZNS1_27merge_sort_block_merge_implIS3_PtPS5_jNS1_19radix_merge_compareILb1ELb0EtNS0_19identity_decomposerEEEEE10hipError_tT0_T1_T2_jT3_P12ihipStream_tbPNSt15iterator_traitsISE_E10value_typeEPNSK_ISF_E10value_typeEPSG_NS1_7vsmem_tEENKUlT_SE_SF_SG_E_clIS8_S8_S9_S9_EESD_ST_SE_SF_SG_EUlST_E_NS1_11comp_targetILNS1_3genE10ELNS1_11target_archE1201ELNS1_3gpuE5ELNS1_3repE0EEENS1_48merge_mergepath_partition_config_static_selectorELNS0_4arch9wavefront6targetE0EEEvSF_.num_vgpr, 0
	.set _ZN7rocprim17ROCPRIM_400000_NS6detail17trampoline_kernelINS0_14default_configENS1_38merge_sort_block_merge_config_selectorItNS0_10empty_typeEEEZZNS1_27merge_sort_block_merge_implIS3_PtPS5_jNS1_19radix_merge_compareILb1ELb0EtNS0_19identity_decomposerEEEEE10hipError_tT0_T1_T2_jT3_P12ihipStream_tbPNSt15iterator_traitsISE_E10value_typeEPNSK_ISF_E10value_typeEPSG_NS1_7vsmem_tEENKUlT_SE_SF_SG_E_clIS8_S8_S9_S9_EESD_ST_SE_SF_SG_EUlST_E_NS1_11comp_targetILNS1_3genE10ELNS1_11target_archE1201ELNS1_3gpuE5ELNS1_3repE0EEENS1_48merge_mergepath_partition_config_static_selectorELNS0_4arch9wavefront6targetE0EEEvSF_.num_agpr, 0
	.set _ZN7rocprim17ROCPRIM_400000_NS6detail17trampoline_kernelINS0_14default_configENS1_38merge_sort_block_merge_config_selectorItNS0_10empty_typeEEEZZNS1_27merge_sort_block_merge_implIS3_PtPS5_jNS1_19radix_merge_compareILb1ELb0EtNS0_19identity_decomposerEEEEE10hipError_tT0_T1_T2_jT3_P12ihipStream_tbPNSt15iterator_traitsISE_E10value_typeEPNSK_ISF_E10value_typeEPSG_NS1_7vsmem_tEENKUlT_SE_SF_SG_E_clIS8_S8_S9_S9_EESD_ST_SE_SF_SG_EUlST_E_NS1_11comp_targetILNS1_3genE10ELNS1_11target_archE1201ELNS1_3gpuE5ELNS1_3repE0EEENS1_48merge_mergepath_partition_config_static_selectorELNS0_4arch9wavefront6targetE0EEEvSF_.numbered_sgpr, 0
	.set _ZN7rocprim17ROCPRIM_400000_NS6detail17trampoline_kernelINS0_14default_configENS1_38merge_sort_block_merge_config_selectorItNS0_10empty_typeEEEZZNS1_27merge_sort_block_merge_implIS3_PtPS5_jNS1_19radix_merge_compareILb1ELb0EtNS0_19identity_decomposerEEEEE10hipError_tT0_T1_T2_jT3_P12ihipStream_tbPNSt15iterator_traitsISE_E10value_typeEPNSK_ISF_E10value_typeEPSG_NS1_7vsmem_tEENKUlT_SE_SF_SG_E_clIS8_S8_S9_S9_EESD_ST_SE_SF_SG_EUlST_E_NS1_11comp_targetILNS1_3genE10ELNS1_11target_archE1201ELNS1_3gpuE5ELNS1_3repE0EEENS1_48merge_mergepath_partition_config_static_selectorELNS0_4arch9wavefront6targetE0EEEvSF_.num_named_barrier, 0
	.set _ZN7rocprim17ROCPRIM_400000_NS6detail17trampoline_kernelINS0_14default_configENS1_38merge_sort_block_merge_config_selectorItNS0_10empty_typeEEEZZNS1_27merge_sort_block_merge_implIS3_PtPS5_jNS1_19radix_merge_compareILb1ELb0EtNS0_19identity_decomposerEEEEE10hipError_tT0_T1_T2_jT3_P12ihipStream_tbPNSt15iterator_traitsISE_E10value_typeEPNSK_ISF_E10value_typeEPSG_NS1_7vsmem_tEENKUlT_SE_SF_SG_E_clIS8_S8_S9_S9_EESD_ST_SE_SF_SG_EUlST_E_NS1_11comp_targetILNS1_3genE10ELNS1_11target_archE1201ELNS1_3gpuE5ELNS1_3repE0EEENS1_48merge_mergepath_partition_config_static_selectorELNS0_4arch9wavefront6targetE0EEEvSF_.private_seg_size, 0
	.set _ZN7rocprim17ROCPRIM_400000_NS6detail17trampoline_kernelINS0_14default_configENS1_38merge_sort_block_merge_config_selectorItNS0_10empty_typeEEEZZNS1_27merge_sort_block_merge_implIS3_PtPS5_jNS1_19radix_merge_compareILb1ELb0EtNS0_19identity_decomposerEEEEE10hipError_tT0_T1_T2_jT3_P12ihipStream_tbPNSt15iterator_traitsISE_E10value_typeEPNSK_ISF_E10value_typeEPSG_NS1_7vsmem_tEENKUlT_SE_SF_SG_E_clIS8_S8_S9_S9_EESD_ST_SE_SF_SG_EUlST_E_NS1_11comp_targetILNS1_3genE10ELNS1_11target_archE1201ELNS1_3gpuE5ELNS1_3repE0EEENS1_48merge_mergepath_partition_config_static_selectorELNS0_4arch9wavefront6targetE0EEEvSF_.uses_vcc, 0
	.set _ZN7rocprim17ROCPRIM_400000_NS6detail17trampoline_kernelINS0_14default_configENS1_38merge_sort_block_merge_config_selectorItNS0_10empty_typeEEEZZNS1_27merge_sort_block_merge_implIS3_PtPS5_jNS1_19radix_merge_compareILb1ELb0EtNS0_19identity_decomposerEEEEE10hipError_tT0_T1_T2_jT3_P12ihipStream_tbPNSt15iterator_traitsISE_E10value_typeEPNSK_ISF_E10value_typeEPSG_NS1_7vsmem_tEENKUlT_SE_SF_SG_E_clIS8_S8_S9_S9_EESD_ST_SE_SF_SG_EUlST_E_NS1_11comp_targetILNS1_3genE10ELNS1_11target_archE1201ELNS1_3gpuE5ELNS1_3repE0EEENS1_48merge_mergepath_partition_config_static_selectorELNS0_4arch9wavefront6targetE0EEEvSF_.uses_flat_scratch, 0
	.set _ZN7rocprim17ROCPRIM_400000_NS6detail17trampoline_kernelINS0_14default_configENS1_38merge_sort_block_merge_config_selectorItNS0_10empty_typeEEEZZNS1_27merge_sort_block_merge_implIS3_PtPS5_jNS1_19radix_merge_compareILb1ELb0EtNS0_19identity_decomposerEEEEE10hipError_tT0_T1_T2_jT3_P12ihipStream_tbPNSt15iterator_traitsISE_E10value_typeEPNSK_ISF_E10value_typeEPSG_NS1_7vsmem_tEENKUlT_SE_SF_SG_E_clIS8_S8_S9_S9_EESD_ST_SE_SF_SG_EUlST_E_NS1_11comp_targetILNS1_3genE10ELNS1_11target_archE1201ELNS1_3gpuE5ELNS1_3repE0EEENS1_48merge_mergepath_partition_config_static_selectorELNS0_4arch9wavefront6targetE0EEEvSF_.has_dyn_sized_stack, 0
	.set _ZN7rocprim17ROCPRIM_400000_NS6detail17trampoline_kernelINS0_14default_configENS1_38merge_sort_block_merge_config_selectorItNS0_10empty_typeEEEZZNS1_27merge_sort_block_merge_implIS3_PtPS5_jNS1_19radix_merge_compareILb1ELb0EtNS0_19identity_decomposerEEEEE10hipError_tT0_T1_T2_jT3_P12ihipStream_tbPNSt15iterator_traitsISE_E10value_typeEPNSK_ISF_E10value_typeEPSG_NS1_7vsmem_tEENKUlT_SE_SF_SG_E_clIS8_S8_S9_S9_EESD_ST_SE_SF_SG_EUlST_E_NS1_11comp_targetILNS1_3genE10ELNS1_11target_archE1201ELNS1_3gpuE5ELNS1_3repE0EEENS1_48merge_mergepath_partition_config_static_selectorELNS0_4arch9wavefront6targetE0EEEvSF_.has_recursion, 0
	.set _ZN7rocprim17ROCPRIM_400000_NS6detail17trampoline_kernelINS0_14default_configENS1_38merge_sort_block_merge_config_selectorItNS0_10empty_typeEEEZZNS1_27merge_sort_block_merge_implIS3_PtPS5_jNS1_19radix_merge_compareILb1ELb0EtNS0_19identity_decomposerEEEEE10hipError_tT0_T1_T2_jT3_P12ihipStream_tbPNSt15iterator_traitsISE_E10value_typeEPNSK_ISF_E10value_typeEPSG_NS1_7vsmem_tEENKUlT_SE_SF_SG_E_clIS8_S8_S9_S9_EESD_ST_SE_SF_SG_EUlST_E_NS1_11comp_targetILNS1_3genE10ELNS1_11target_archE1201ELNS1_3gpuE5ELNS1_3repE0EEENS1_48merge_mergepath_partition_config_static_selectorELNS0_4arch9wavefront6targetE0EEEvSF_.has_indirect_call, 0
	.section	.AMDGPU.csdata,"",@progbits
; Kernel info:
; codeLenInByte = 0
; TotalNumSgprs: 0
; NumVgprs: 0
; ScratchSize: 0
; MemoryBound: 0
; FloatMode: 240
; IeeeMode: 1
; LDSByteSize: 0 bytes/workgroup (compile time only)
; SGPRBlocks: 0
; VGPRBlocks: 0
; NumSGPRsForWavesPerEU: 1
; NumVGPRsForWavesPerEU: 1
; NamedBarCnt: 0
; Occupancy: 16
; WaveLimiterHint : 0
; COMPUTE_PGM_RSRC2:SCRATCH_EN: 0
; COMPUTE_PGM_RSRC2:USER_SGPR: 2
; COMPUTE_PGM_RSRC2:TRAP_HANDLER: 0
; COMPUTE_PGM_RSRC2:TGID_X_EN: 1
; COMPUTE_PGM_RSRC2:TGID_Y_EN: 0
; COMPUTE_PGM_RSRC2:TGID_Z_EN: 0
; COMPUTE_PGM_RSRC2:TIDIG_COMP_CNT: 0
	.section	.text._ZN7rocprim17ROCPRIM_400000_NS6detail17trampoline_kernelINS0_14default_configENS1_38merge_sort_block_merge_config_selectorItNS0_10empty_typeEEEZZNS1_27merge_sort_block_merge_implIS3_PtPS5_jNS1_19radix_merge_compareILb1ELb0EtNS0_19identity_decomposerEEEEE10hipError_tT0_T1_T2_jT3_P12ihipStream_tbPNSt15iterator_traitsISE_E10value_typeEPNSK_ISF_E10value_typeEPSG_NS1_7vsmem_tEENKUlT_SE_SF_SG_E_clIS8_S8_S9_S9_EESD_ST_SE_SF_SG_EUlST_E_NS1_11comp_targetILNS1_3genE5ELNS1_11target_archE942ELNS1_3gpuE9ELNS1_3repE0EEENS1_48merge_mergepath_partition_config_static_selectorELNS0_4arch9wavefront6targetE0EEEvSF_,"axG",@progbits,_ZN7rocprim17ROCPRIM_400000_NS6detail17trampoline_kernelINS0_14default_configENS1_38merge_sort_block_merge_config_selectorItNS0_10empty_typeEEEZZNS1_27merge_sort_block_merge_implIS3_PtPS5_jNS1_19radix_merge_compareILb1ELb0EtNS0_19identity_decomposerEEEEE10hipError_tT0_T1_T2_jT3_P12ihipStream_tbPNSt15iterator_traitsISE_E10value_typeEPNSK_ISF_E10value_typeEPSG_NS1_7vsmem_tEENKUlT_SE_SF_SG_E_clIS8_S8_S9_S9_EESD_ST_SE_SF_SG_EUlST_E_NS1_11comp_targetILNS1_3genE5ELNS1_11target_archE942ELNS1_3gpuE9ELNS1_3repE0EEENS1_48merge_mergepath_partition_config_static_selectorELNS0_4arch9wavefront6targetE0EEEvSF_,comdat
	.protected	_ZN7rocprim17ROCPRIM_400000_NS6detail17trampoline_kernelINS0_14default_configENS1_38merge_sort_block_merge_config_selectorItNS0_10empty_typeEEEZZNS1_27merge_sort_block_merge_implIS3_PtPS5_jNS1_19radix_merge_compareILb1ELb0EtNS0_19identity_decomposerEEEEE10hipError_tT0_T1_T2_jT3_P12ihipStream_tbPNSt15iterator_traitsISE_E10value_typeEPNSK_ISF_E10value_typeEPSG_NS1_7vsmem_tEENKUlT_SE_SF_SG_E_clIS8_S8_S9_S9_EESD_ST_SE_SF_SG_EUlST_E_NS1_11comp_targetILNS1_3genE5ELNS1_11target_archE942ELNS1_3gpuE9ELNS1_3repE0EEENS1_48merge_mergepath_partition_config_static_selectorELNS0_4arch9wavefront6targetE0EEEvSF_ ; -- Begin function _ZN7rocprim17ROCPRIM_400000_NS6detail17trampoline_kernelINS0_14default_configENS1_38merge_sort_block_merge_config_selectorItNS0_10empty_typeEEEZZNS1_27merge_sort_block_merge_implIS3_PtPS5_jNS1_19radix_merge_compareILb1ELb0EtNS0_19identity_decomposerEEEEE10hipError_tT0_T1_T2_jT3_P12ihipStream_tbPNSt15iterator_traitsISE_E10value_typeEPNSK_ISF_E10value_typeEPSG_NS1_7vsmem_tEENKUlT_SE_SF_SG_E_clIS8_S8_S9_S9_EESD_ST_SE_SF_SG_EUlST_E_NS1_11comp_targetILNS1_3genE5ELNS1_11target_archE942ELNS1_3gpuE9ELNS1_3repE0EEENS1_48merge_mergepath_partition_config_static_selectorELNS0_4arch9wavefront6targetE0EEEvSF_
	.globl	_ZN7rocprim17ROCPRIM_400000_NS6detail17trampoline_kernelINS0_14default_configENS1_38merge_sort_block_merge_config_selectorItNS0_10empty_typeEEEZZNS1_27merge_sort_block_merge_implIS3_PtPS5_jNS1_19radix_merge_compareILb1ELb0EtNS0_19identity_decomposerEEEEE10hipError_tT0_T1_T2_jT3_P12ihipStream_tbPNSt15iterator_traitsISE_E10value_typeEPNSK_ISF_E10value_typeEPSG_NS1_7vsmem_tEENKUlT_SE_SF_SG_E_clIS8_S8_S9_S9_EESD_ST_SE_SF_SG_EUlST_E_NS1_11comp_targetILNS1_3genE5ELNS1_11target_archE942ELNS1_3gpuE9ELNS1_3repE0EEENS1_48merge_mergepath_partition_config_static_selectorELNS0_4arch9wavefront6targetE0EEEvSF_
	.p2align	8
	.type	_ZN7rocprim17ROCPRIM_400000_NS6detail17trampoline_kernelINS0_14default_configENS1_38merge_sort_block_merge_config_selectorItNS0_10empty_typeEEEZZNS1_27merge_sort_block_merge_implIS3_PtPS5_jNS1_19radix_merge_compareILb1ELb0EtNS0_19identity_decomposerEEEEE10hipError_tT0_T1_T2_jT3_P12ihipStream_tbPNSt15iterator_traitsISE_E10value_typeEPNSK_ISF_E10value_typeEPSG_NS1_7vsmem_tEENKUlT_SE_SF_SG_E_clIS8_S8_S9_S9_EESD_ST_SE_SF_SG_EUlST_E_NS1_11comp_targetILNS1_3genE5ELNS1_11target_archE942ELNS1_3gpuE9ELNS1_3repE0EEENS1_48merge_mergepath_partition_config_static_selectorELNS0_4arch9wavefront6targetE0EEEvSF_,@function
_ZN7rocprim17ROCPRIM_400000_NS6detail17trampoline_kernelINS0_14default_configENS1_38merge_sort_block_merge_config_selectorItNS0_10empty_typeEEEZZNS1_27merge_sort_block_merge_implIS3_PtPS5_jNS1_19radix_merge_compareILb1ELb0EtNS0_19identity_decomposerEEEEE10hipError_tT0_T1_T2_jT3_P12ihipStream_tbPNSt15iterator_traitsISE_E10value_typeEPNSK_ISF_E10value_typeEPSG_NS1_7vsmem_tEENKUlT_SE_SF_SG_E_clIS8_S8_S9_S9_EESD_ST_SE_SF_SG_EUlST_E_NS1_11comp_targetILNS1_3genE5ELNS1_11target_archE942ELNS1_3gpuE9ELNS1_3repE0EEENS1_48merge_mergepath_partition_config_static_selectorELNS0_4arch9wavefront6targetE0EEEvSF_: ; @_ZN7rocprim17ROCPRIM_400000_NS6detail17trampoline_kernelINS0_14default_configENS1_38merge_sort_block_merge_config_selectorItNS0_10empty_typeEEEZZNS1_27merge_sort_block_merge_implIS3_PtPS5_jNS1_19radix_merge_compareILb1ELb0EtNS0_19identity_decomposerEEEEE10hipError_tT0_T1_T2_jT3_P12ihipStream_tbPNSt15iterator_traitsISE_E10value_typeEPNSK_ISF_E10value_typeEPSG_NS1_7vsmem_tEENKUlT_SE_SF_SG_E_clIS8_S8_S9_S9_EESD_ST_SE_SF_SG_EUlST_E_NS1_11comp_targetILNS1_3genE5ELNS1_11target_archE942ELNS1_3gpuE9ELNS1_3repE0EEENS1_48merge_mergepath_partition_config_static_selectorELNS0_4arch9wavefront6targetE0EEEvSF_
; %bb.0:
	.section	.rodata,"a",@progbits
	.p2align	6, 0x0
	.amdhsa_kernel _ZN7rocprim17ROCPRIM_400000_NS6detail17trampoline_kernelINS0_14default_configENS1_38merge_sort_block_merge_config_selectorItNS0_10empty_typeEEEZZNS1_27merge_sort_block_merge_implIS3_PtPS5_jNS1_19radix_merge_compareILb1ELb0EtNS0_19identity_decomposerEEEEE10hipError_tT0_T1_T2_jT3_P12ihipStream_tbPNSt15iterator_traitsISE_E10value_typeEPNSK_ISF_E10value_typeEPSG_NS1_7vsmem_tEENKUlT_SE_SF_SG_E_clIS8_S8_S9_S9_EESD_ST_SE_SF_SG_EUlST_E_NS1_11comp_targetILNS1_3genE5ELNS1_11target_archE942ELNS1_3gpuE9ELNS1_3repE0EEENS1_48merge_mergepath_partition_config_static_selectorELNS0_4arch9wavefront6targetE0EEEvSF_
		.amdhsa_group_segment_fixed_size 0
		.amdhsa_private_segment_fixed_size 0
		.amdhsa_kernarg_size 40
		.amdhsa_user_sgpr_count 2
		.amdhsa_user_sgpr_dispatch_ptr 0
		.amdhsa_user_sgpr_queue_ptr 0
		.amdhsa_user_sgpr_kernarg_segment_ptr 1
		.amdhsa_user_sgpr_dispatch_id 0
		.amdhsa_user_sgpr_kernarg_preload_length 0
		.amdhsa_user_sgpr_kernarg_preload_offset 0
		.amdhsa_user_sgpr_private_segment_size 0
		.amdhsa_wavefront_size32 1
		.amdhsa_uses_dynamic_stack 0
		.amdhsa_enable_private_segment 0
		.amdhsa_system_sgpr_workgroup_id_x 1
		.amdhsa_system_sgpr_workgroup_id_y 0
		.amdhsa_system_sgpr_workgroup_id_z 0
		.amdhsa_system_sgpr_workgroup_info 0
		.amdhsa_system_vgpr_workitem_id 0
		.amdhsa_next_free_vgpr 1
		.amdhsa_next_free_sgpr 1
		.amdhsa_named_barrier_count 0
		.amdhsa_reserve_vcc 0
		.amdhsa_float_round_mode_32 0
		.amdhsa_float_round_mode_16_64 0
		.amdhsa_float_denorm_mode_32 3
		.amdhsa_float_denorm_mode_16_64 3
		.amdhsa_fp16_overflow 0
		.amdhsa_memory_ordered 1
		.amdhsa_forward_progress 1
		.amdhsa_inst_pref_size 0
		.amdhsa_round_robin_scheduling 0
		.amdhsa_exception_fp_ieee_invalid_op 0
		.amdhsa_exception_fp_denorm_src 0
		.amdhsa_exception_fp_ieee_div_zero 0
		.amdhsa_exception_fp_ieee_overflow 0
		.amdhsa_exception_fp_ieee_underflow 0
		.amdhsa_exception_fp_ieee_inexact 0
		.amdhsa_exception_int_div_zero 0
	.end_amdhsa_kernel
	.section	.text._ZN7rocprim17ROCPRIM_400000_NS6detail17trampoline_kernelINS0_14default_configENS1_38merge_sort_block_merge_config_selectorItNS0_10empty_typeEEEZZNS1_27merge_sort_block_merge_implIS3_PtPS5_jNS1_19radix_merge_compareILb1ELb0EtNS0_19identity_decomposerEEEEE10hipError_tT0_T1_T2_jT3_P12ihipStream_tbPNSt15iterator_traitsISE_E10value_typeEPNSK_ISF_E10value_typeEPSG_NS1_7vsmem_tEENKUlT_SE_SF_SG_E_clIS8_S8_S9_S9_EESD_ST_SE_SF_SG_EUlST_E_NS1_11comp_targetILNS1_3genE5ELNS1_11target_archE942ELNS1_3gpuE9ELNS1_3repE0EEENS1_48merge_mergepath_partition_config_static_selectorELNS0_4arch9wavefront6targetE0EEEvSF_,"axG",@progbits,_ZN7rocprim17ROCPRIM_400000_NS6detail17trampoline_kernelINS0_14default_configENS1_38merge_sort_block_merge_config_selectorItNS0_10empty_typeEEEZZNS1_27merge_sort_block_merge_implIS3_PtPS5_jNS1_19radix_merge_compareILb1ELb0EtNS0_19identity_decomposerEEEEE10hipError_tT0_T1_T2_jT3_P12ihipStream_tbPNSt15iterator_traitsISE_E10value_typeEPNSK_ISF_E10value_typeEPSG_NS1_7vsmem_tEENKUlT_SE_SF_SG_E_clIS8_S8_S9_S9_EESD_ST_SE_SF_SG_EUlST_E_NS1_11comp_targetILNS1_3genE5ELNS1_11target_archE942ELNS1_3gpuE9ELNS1_3repE0EEENS1_48merge_mergepath_partition_config_static_selectorELNS0_4arch9wavefront6targetE0EEEvSF_,comdat
.Lfunc_end2306:
	.size	_ZN7rocprim17ROCPRIM_400000_NS6detail17trampoline_kernelINS0_14default_configENS1_38merge_sort_block_merge_config_selectorItNS0_10empty_typeEEEZZNS1_27merge_sort_block_merge_implIS3_PtPS5_jNS1_19radix_merge_compareILb1ELb0EtNS0_19identity_decomposerEEEEE10hipError_tT0_T1_T2_jT3_P12ihipStream_tbPNSt15iterator_traitsISE_E10value_typeEPNSK_ISF_E10value_typeEPSG_NS1_7vsmem_tEENKUlT_SE_SF_SG_E_clIS8_S8_S9_S9_EESD_ST_SE_SF_SG_EUlST_E_NS1_11comp_targetILNS1_3genE5ELNS1_11target_archE942ELNS1_3gpuE9ELNS1_3repE0EEENS1_48merge_mergepath_partition_config_static_selectorELNS0_4arch9wavefront6targetE0EEEvSF_, .Lfunc_end2306-_ZN7rocprim17ROCPRIM_400000_NS6detail17trampoline_kernelINS0_14default_configENS1_38merge_sort_block_merge_config_selectorItNS0_10empty_typeEEEZZNS1_27merge_sort_block_merge_implIS3_PtPS5_jNS1_19radix_merge_compareILb1ELb0EtNS0_19identity_decomposerEEEEE10hipError_tT0_T1_T2_jT3_P12ihipStream_tbPNSt15iterator_traitsISE_E10value_typeEPNSK_ISF_E10value_typeEPSG_NS1_7vsmem_tEENKUlT_SE_SF_SG_E_clIS8_S8_S9_S9_EESD_ST_SE_SF_SG_EUlST_E_NS1_11comp_targetILNS1_3genE5ELNS1_11target_archE942ELNS1_3gpuE9ELNS1_3repE0EEENS1_48merge_mergepath_partition_config_static_selectorELNS0_4arch9wavefront6targetE0EEEvSF_
                                        ; -- End function
	.set _ZN7rocprim17ROCPRIM_400000_NS6detail17trampoline_kernelINS0_14default_configENS1_38merge_sort_block_merge_config_selectorItNS0_10empty_typeEEEZZNS1_27merge_sort_block_merge_implIS3_PtPS5_jNS1_19radix_merge_compareILb1ELb0EtNS0_19identity_decomposerEEEEE10hipError_tT0_T1_T2_jT3_P12ihipStream_tbPNSt15iterator_traitsISE_E10value_typeEPNSK_ISF_E10value_typeEPSG_NS1_7vsmem_tEENKUlT_SE_SF_SG_E_clIS8_S8_S9_S9_EESD_ST_SE_SF_SG_EUlST_E_NS1_11comp_targetILNS1_3genE5ELNS1_11target_archE942ELNS1_3gpuE9ELNS1_3repE0EEENS1_48merge_mergepath_partition_config_static_selectorELNS0_4arch9wavefront6targetE0EEEvSF_.num_vgpr, 0
	.set _ZN7rocprim17ROCPRIM_400000_NS6detail17trampoline_kernelINS0_14default_configENS1_38merge_sort_block_merge_config_selectorItNS0_10empty_typeEEEZZNS1_27merge_sort_block_merge_implIS3_PtPS5_jNS1_19radix_merge_compareILb1ELb0EtNS0_19identity_decomposerEEEEE10hipError_tT0_T1_T2_jT3_P12ihipStream_tbPNSt15iterator_traitsISE_E10value_typeEPNSK_ISF_E10value_typeEPSG_NS1_7vsmem_tEENKUlT_SE_SF_SG_E_clIS8_S8_S9_S9_EESD_ST_SE_SF_SG_EUlST_E_NS1_11comp_targetILNS1_3genE5ELNS1_11target_archE942ELNS1_3gpuE9ELNS1_3repE0EEENS1_48merge_mergepath_partition_config_static_selectorELNS0_4arch9wavefront6targetE0EEEvSF_.num_agpr, 0
	.set _ZN7rocprim17ROCPRIM_400000_NS6detail17trampoline_kernelINS0_14default_configENS1_38merge_sort_block_merge_config_selectorItNS0_10empty_typeEEEZZNS1_27merge_sort_block_merge_implIS3_PtPS5_jNS1_19radix_merge_compareILb1ELb0EtNS0_19identity_decomposerEEEEE10hipError_tT0_T1_T2_jT3_P12ihipStream_tbPNSt15iterator_traitsISE_E10value_typeEPNSK_ISF_E10value_typeEPSG_NS1_7vsmem_tEENKUlT_SE_SF_SG_E_clIS8_S8_S9_S9_EESD_ST_SE_SF_SG_EUlST_E_NS1_11comp_targetILNS1_3genE5ELNS1_11target_archE942ELNS1_3gpuE9ELNS1_3repE0EEENS1_48merge_mergepath_partition_config_static_selectorELNS0_4arch9wavefront6targetE0EEEvSF_.numbered_sgpr, 0
	.set _ZN7rocprim17ROCPRIM_400000_NS6detail17trampoline_kernelINS0_14default_configENS1_38merge_sort_block_merge_config_selectorItNS0_10empty_typeEEEZZNS1_27merge_sort_block_merge_implIS3_PtPS5_jNS1_19radix_merge_compareILb1ELb0EtNS0_19identity_decomposerEEEEE10hipError_tT0_T1_T2_jT3_P12ihipStream_tbPNSt15iterator_traitsISE_E10value_typeEPNSK_ISF_E10value_typeEPSG_NS1_7vsmem_tEENKUlT_SE_SF_SG_E_clIS8_S8_S9_S9_EESD_ST_SE_SF_SG_EUlST_E_NS1_11comp_targetILNS1_3genE5ELNS1_11target_archE942ELNS1_3gpuE9ELNS1_3repE0EEENS1_48merge_mergepath_partition_config_static_selectorELNS0_4arch9wavefront6targetE0EEEvSF_.num_named_barrier, 0
	.set _ZN7rocprim17ROCPRIM_400000_NS6detail17trampoline_kernelINS0_14default_configENS1_38merge_sort_block_merge_config_selectorItNS0_10empty_typeEEEZZNS1_27merge_sort_block_merge_implIS3_PtPS5_jNS1_19radix_merge_compareILb1ELb0EtNS0_19identity_decomposerEEEEE10hipError_tT0_T1_T2_jT3_P12ihipStream_tbPNSt15iterator_traitsISE_E10value_typeEPNSK_ISF_E10value_typeEPSG_NS1_7vsmem_tEENKUlT_SE_SF_SG_E_clIS8_S8_S9_S9_EESD_ST_SE_SF_SG_EUlST_E_NS1_11comp_targetILNS1_3genE5ELNS1_11target_archE942ELNS1_3gpuE9ELNS1_3repE0EEENS1_48merge_mergepath_partition_config_static_selectorELNS0_4arch9wavefront6targetE0EEEvSF_.private_seg_size, 0
	.set _ZN7rocprim17ROCPRIM_400000_NS6detail17trampoline_kernelINS0_14default_configENS1_38merge_sort_block_merge_config_selectorItNS0_10empty_typeEEEZZNS1_27merge_sort_block_merge_implIS3_PtPS5_jNS1_19radix_merge_compareILb1ELb0EtNS0_19identity_decomposerEEEEE10hipError_tT0_T1_T2_jT3_P12ihipStream_tbPNSt15iterator_traitsISE_E10value_typeEPNSK_ISF_E10value_typeEPSG_NS1_7vsmem_tEENKUlT_SE_SF_SG_E_clIS8_S8_S9_S9_EESD_ST_SE_SF_SG_EUlST_E_NS1_11comp_targetILNS1_3genE5ELNS1_11target_archE942ELNS1_3gpuE9ELNS1_3repE0EEENS1_48merge_mergepath_partition_config_static_selectorELNS0_4arch9wavefront6targetE0EEEvSF_.uses_vcc, 0
	.set _ZN7rocprim17ROCPRIM_400000_NS6detail17trampoline_kernelINS0_14default_configENS1_38merge_sort_block_merge_config_selectorItNS0_10empty_typeEEEZZNS1_27merge_sort_block_merge_implIS3_PtPS5_jNS1_19radix_merge_compareILb1ELb0EtNS0_19identity_decomposerEEEEE10hipError_tT0_T1_T2_jT3_P12ihipStream_tbPNSt15iterator_traitsISE_E10value_typeEPNSK_ISF_E10value_typeEPSG_NS1_7vsmem_tEENKUlT_SE_SF_SG_E_clIS8_S8_S9_S9_EESD_ST_SE_SF_SG_EUlST_E_NS1_11comp_targetILNS1_3genE5ELNS1_11target_archE942ELNS1_3gpuE9ELNS1_3repE0EEENS1_48merge_mergepath_partition_config_static_selectorELNS0_4arch9wavefront6targetE0EEEvSF_.uses_flat_scratch, 0
	.set _ZN7rocprim17ROCPRIM_400000_NS6detail17trampoline_kernelINS0_14default_configENS1_38merge_sort_block_merge_config_selectorItNS0_10empty_typeEEEZZNS1_27merge_sort_block_merge_implIS3_PtPS5_jNS1_19radix_merge_compareILb1ELb0EtNS0_19identity_decomposerEEEEE10hipError_tT0_T1_T2_jT3_P12ihipStream_tbPNSt15iterator_traitsISE_E10value_typeEPNSK_ISF_E10value_typeEPSG_NS1_7vsmem_tEENKUlT_SE_SF_SG_E_clIS8_S8_S9_S9_EESD_ST_SE_SF_SG_EUlST_E_NS1_11comp_targetILNS1_3genE5ELNS1_11target_archE942ELNS1_3gpuE9ELNS1_3repE0EEENS1_48merge_mergepath_partition_config_static_selectorELNS0_4arch9wavefront6targetE0EEEvSF_.has_dyn_sized_stack, 0
	.set _ZN7rocprim17ROCPRIM_400000_NS6detail17trampoline_kernelINS0_14default_configENS1_38merge_sort_block_merge_config_selectorItNS0_10empty_typeEEEZZNS1_27merge_sort_block_merge_implIS3_PtPS5_jNS1_19radix_merge_compareILb1ELb0EtNS0_19identity_decomposerEEEEE10hipError_tT0_T1_T2_jT3_P12ihipStream_tbPNSt15iterator_traitsISE_E10value_typeEPNSK_ISF_E10value_typeEPSG_NS1_7vsmem_tEENKUlT_SE_SF_SG_E_clIS8_S8_S9_S9_EESD_ST_SE_SF_SG_EUlST_E_NS1_11comp_targetILNS1_3genE5ELNS1_11target_archE942ELNS1_3gpuE9ELNS1_3repE0EEENS1_48merge_mergepath_partition_config_static_selectorELNS0_4arch9wavefront6targetE0EEEvSF_.has_recursion, 0
	.set _ZN7rocprim17ROCPRIM_400000_NS6detail17trampoline_kernelINS0_14default_configENS1_38merge_sort_block_merge_config_selectorItNS0_10empty_typeEEEZZNS1_27merge_sort_block_merge_implIS3_PtPS5_jNS1_19radix_merge_compareILb1ELb0EtNS0_19identity_decomposerEEEEE10hipError_tT0_T1_T2_jT3_P12ihipStream_tbPNSt15iterator_traitsISE_E10value_typeEPNSK_ISF_E10value_typeEPSG_NS1_7vsmem_tEENKUlT_SE_SF_SG_E_clIS8_S8_S9_S9_EESD_ST_SE_SF_SG_EUlST_E_NS1_11comp_targetILNS1_3genE5ELNS1_11target_archE942ELNS1_3gpuE9ELNS1_3repE0EEENS1_48merge_mergepath_partition_config_static_selectorELNS0_4arch9wavefront6targetE0EEEvSF_.has_indirect_call, 0
	.section	.AMDGPU.csdata,"",@progbits
; Kernel info:
; codeLenInByte = 0
; TotalNumSgprs: 0
; NumVgprs: 0
; ScratchSize: 0
; MemoryBound: 0
; FloatMode: 240
; IeeeMode: 1
; LDSByteSize: 0 bytes/workgroup (compile time only)
; SGPRBlocks: 0
; VGPRBlocks: 0
; NumSGPRsForWavesPerEU: 1
; NumVGPRsForWavesPerEU: 1
; NamedBarCnt: 0
; Occupancy: 16
; WaveLimiterHint : 0
; COMPUTE_PGM_RSRC2:SCRATCH_EN: 0
; COMPUTE_PGM_RSRC2:USER_SGPR: 2
; COMPUTE_PGM_RSRC2:TRAP_HANDLER: 0
; COMPUTE_PGM_RSRC2:TGID_X_EN: 1
; COMPUTE_PGM_RSRC2:TGID_Y_EN: 0
; COMPUTE_PGM_RSRC2:TGID_Z_EN: 0
; COMPUTE_PGM_RSRC2:TIDIG_COMP_CNT: 0
	.section	.text._ZN7rocprim17ROCPRIM_400000_NS6detail17trampoline_kernelINS0_14default_configENS1_38merge_sort_block_merge_config_selectorItNS0_10empty_typeEEEZZNS1_27merge_sort_block_merge_implIS3_PtPS5_jNS1_19radix_merge_compareILb1ELb0EtNS0_19identity_decomposerEEEEE10hipError_tT0_T1_T2_jT3_P12ihipStream_tbPNSt15iterator_traitsISE_E10value_typeEPNSK_ISF_E10value_typeEPSG_NS1_7vsmem_tEENKUlT_SE_SF_SG_E_clIS8_S8_S9_S9_EESD_ST_SE_SF_SG_EUlST_E_NS1_11comp_targetILNS1_3genE4ELNS1_11target_archE910ELNS1_3gpuE8ELNS1_3repE0EEENS1_48merge_mergepath_partition_config_static_selectorELNS0_4arch9wavefront6targetE0EEEvSF_,"axG",@progbits,_ZN7rocprim17ROCPRIM_400000_NS6detail17trampoline_kernelINS0_14default_configENS1_38merge_sort_block_merge_config_selectorItNS0_10empty_typeEEEZZNS1_27merge_sort_block_merge_implIS3_PtPS5_jNS1_19radix_merge_compareILb1ELb0EtNS0_19identity_decomposerEEEEE10hipError_tT0_T1_T2_jT3_P12ihipStream_tbPNSt15iterator_traitsISE_E10value_typeEPNSK_ISF_E10value_typeEPSG_NS1_7vsmem_tEENKUlT_SE_SF_SG_E_clIS8_S8_S9_S9_EESD_ST_SE_SF_SG_EUlST_E_NS1_11comp_targetILNS1_3genE4ELNS1_11target_archE910ELNS1_3gpuE8ELNS1_3repE0EEENS1_48merge_mergepath_partition_config_static_selectorELNS0_4arch9wavefront6targetE0EEEvSF_,comdat
	.protected	_ZN7rocprim17ROCPRIM_400000_NS6detail17trampoline_kernelINS0_14default_configENS1_38merge_sort_block_merge_config_selectorItNS0_10empty_typeEEEZZNS1_27merge_sort_block_merge_implIS3_PtPS5_jNS1_19radix_merge_compareILb1ELb0EtNS0_19identity_decomposerEEEEE10hipError_tT0_T1_T2_jT3_P12ihipStream_tbPNSt15iterator_traitsISE_E10value_typeEPNSK_ISF_E10value_typeEPSG_NS1_7vsmem_tEENKUlT_SE_SF_SG_E_clIS8_S8_S9_S9_EESD_ST_SE_SF_SG_EUlST_E_NS1_11comp_targetILNS1_3genE4ELNS1_11target_archE910ELNS1_3gpuE8ELNS1_3repE0EEENS1_48merge_mergepath_partition_config_static_selectorELNS0_4arch9wavefront6targetE0EEEvSF_ ; -- Begin function _ZN7rocprim17ROCPRIM_400000_NS6detail17trampoline_kernelINS0_14default_configENS1_38merge_sort_block_merge_config_selectorItNS0_10empty_typeEEEZZNS1_27merge_sort_block_merge_implIS3_PtPS5_jNS1_19radix_merge_compareILb1ELb0EtNS0_19identity_decomposerEEEEE10hipError_tT0_T1_T2_jT3_P12ihipStream_tbPNSt15iterator_traitsISE_E10value_typeEPNSK_ISF_E10value_typeEPSG_NS1_7vsmem_tEENKUlT_SE_SF_SG_E_clIS8_S8_S9_S9_EESD_ST_SE_SF_SG_EUlST_E_NS1_11comp_targetILNS1_3genE4ELNS1_11target_archE910ELNS1_3gpuE8ELNS1_3repE0EEENS1_48merge_mergepath_partition_config_static_selectorELNS0_4arch9wavefront6targetE0EEEvSF_
	.globl	_ZN7rocprim17ROCPRIM_400000_NS6detail17trampoline_kernelINS0_14default_configENS1_38merge_sort_block_merge_config_selectorItNS0_10empty_typeEEEZZNS1_27merge_sort_block_merge_implIS3_PtPS5_jNS1_19radix_merge_compareILb1ELb0EtNS0_19identity_decomposerEEEEE10hipError_tT0_T1_T2_jT3_P12ihipStream_tbPNSt15iterator_traitsISE_E10value_typeEPNSK_ISF_E10value_typeEPSG_NS1_7vsmem_tEENKUlT_SE_SF_SG_E_clIS8_S8_S9_S9_EESD_ST_SE_SF_SG_EUlST_E_NS1_11comp_targetILNS1_3genE4ELNS1_11target_archE910ELNS1_3gpuE8ELNS1_3repE0EEENS1_48merge_mergepath_partition_config_static_selectorELNS0_4arch9wavefront6targetE0EEEvSF_
	.p2align	8
	.type	_ZN7rocprim17ROCPRIM_400000_NS6detail17trampoline_kernelINS0_14default_configENS1_38merge_sort_block_merge_config_selectorItNS0_10empty_typeEEEZZNS1_27merge_sort_block_merge_implIS3_PtPS5_jNS1_19radix_merge_compareILb1ELb0EtNS0_19identity_decomposerEEEEE10hipError_tT0_T1_T2_jT3_P12ihipStream_tbPNSt15iterator_traitsISE_E10value_typeEPNSK_ISF_E10value_typeEPSG_NS1_7vsmem_tEENKUlT_SE_SF_SG_E_clIS8_S8_S9_S9_EESD_ST_SE_SF_SG_EUlST_E_NS1_11comp_targetILNS1_3genE4ELNS1_11target_archE910ELNS1_3gpuE8ELNS1_3repE0EEENS1_48merge_mergepath_partition_config_static_selectorELNS0_4arch9wavefront6targetE0EEEvSF_,@function
_ZN7rocprim17ROCPRIM_400000_NS6detail17trampoline_kernelINS0_14default_configENS1_38merge_sort_block_merge_config_selectorItNS0_10empty_typeEEEZZNS1_27merge_sort_block_merge_implIS3_PtPS5_jNS1_19radix_merge_compareILb1ELb0EtNS0_19identity_decomposerEEEEE10hipError_tT0_T1_T2_jT3_P12ihipStream_tbPNSt15iterator_traitsISE_E10value_typeEPNSK_ISF_E10value_typeEPSG_NS1_7vsmem_tEENKUlT_SE_SF_SG_E_clIS8_S8_S9_S9_EESD_ST_SE_SF_SG_EUlST_E_NS1_11comp_targetILNS1_3genE4ELNS1_11target_archE910ELNS1_3gpuE8ELNS1_3repE0EEENS1_48merge_mergepath_partition_config_static_selectorELNS0_4arch9wavefront6targetE0EEEvSF_: ; @_ZN7rocprim17ROCPRIM_400000_NS6detail17trampoline_kernelINS0_14default_configENS1_38merge_sort_block_merge_config_selectorItNS0_10empty_typeEEEZZNS1_27merge_sort_block_merge_implIS3_PtPS5_jNS1_19radix_merge_compareILb1ELb0EtNS0_19identity_decomposerEEEEE10hipError_tT0_T1_T2_jT3_P12ihipStream_tbPNSt15iterator_traitsISE_E10value_typeEPNSK_ISF_E10value_typeEPSG_NS1_7vsmem_tEENKUlT_SE_SF_SG_E_clIS8_S8_S9_S9_EESD_ST_SE_SF_SG_EUlST_E_NS1_11comp_targetILNS1_3genE4ELNS1_11target_archE910ELNS1_3gpuE8ELNS1_3repE0EEENS1_48merge_mergepath_partition_config_static_selectorELNS0_4arch9wavefront6targetE0EEEvSF_
; %bb.0:
	.section	.rodata,"a",@progbits
	.p2align	6, 0x0
	.amdhsa_kernel _ZN7rocprim17ROCPRIM_400000_NS6detail17trampoline_kernelINS0_14default_configENS1_38merge_sort_block_merge_config_selectorItNS0_10empty_typeEEEZZNS1_27merge_sort_block_merge_implIS3_PtPS5_jNS1_19radix_merge_compareILb1ELb0EtNS0_19identity_decomposerEEEEE10hipError_tT0_T1_T2_jT3_P12ihipStream_tbPNSt15iterator_traitsISE_E10value_typeEPNSK_ISF_E10value_typeEPSG_NS1_7vsmem_tEENKUlT_SE_SF_SG_E_clIS8_S8_S9_S9_EESD_ST_SE_SF_SG_EUlST_E_NS1_11comp_targetILNS1_3genE4ELNS1_11target_archE910ELNS1_3gpuE8ELNS1_3repE0EEENS1_48merge_mergepath_partition_config_static_selectorELNS0_4arch9wavefront6targetE0EEEvSF_
		.amdhsa_group_segment_fixed_size 0
		.amdhsa_private_segment_fixed_size 0
		.amdhsa_kernarg_size 40
		.amdhsa_user_sgpr_count 2
		.amdhsa_user_sgpr_dispatch_ptr 0
		.amdhsa_user_sgpr_queue_ptr 0
		.amdhsa_user_sgpr_kernarg_segment_ptr 1
		.amdhsa_user_sgpr_dispatch_id 0
		.amdhsa_user_sgpr_kernarg_preload_length 0
		.amdhsa_user_sgpr_kernarg_preload_offset 0
		.amdhsa_user_sgpr_private_segment_size 0
		.amdhsa_wavefront_size32 1
		.amdhsa_uses_dynamic_stack 0
		.amdhsa_enable_private_segment 0
		.amdhsa_system_sgpr_workgroup_id_x 1
		.amdhsa_system_sgpr_workgroup_id_y 0
		.amdhsa_system_sgpr_workgroup_id_z 0
		.amdhsa_system_sgpr_workgroup_info 0
		.amdhsa_system_vgpr_workitem_id 0
		.amdhsa_next_free_vgpr 1
		.amdhsa_next_free_sgpr 1
		.amdhsa_named_barrier_count 0
		.amdhsa_reserve_vcc 0
		.amdhsa_float_round_mode_32 0
		.amdhsa_float_round_mode_16_64 0
		.amdhsa_float_denorm_mode_32 3
		.amdhsa_float_denorm_mode_16_64 3
		.amdhsa_fp16_overflow 0
		.amdhsa_memory_ordered 1
		.amdhsa_forward_progress 1
		.amdhsa_inst_pref_size 0
		.amdhsa_round_robin_scheduling 0
		.amdhsa_exception_fp_ieee_invalid_op 0
		.amdhsa_exception_fp_denorm_src 0
		.amdhsa_exception_fp_ieee_div_zero 0
		.amdhsa_exception_fp_ieee_overflow 0
		.amdhsa_exception_fp_ieee_underflow 0
		.amdhsa_exception_fp_ieee_inexact 0
		.amdhsa_exception_int_div_zero 0
	.end_amdhsa_kernel
	.section	.text._ZN7rocprim17ROCPRIM_400000_NS6detail17trampoline_kernelINS0_14default_configENS1_38merge_sort_block_merge_config_selectorItNS0_10empty_typeEEEZZNS1_27merge_sort_block_merge_implIS3_PtPS5_jNS1_19radix_merge_compareILb1ELb0EtNS0_19identity_decomposerEEEEE10hipError_tT0_T1_T2_jT3_P12ihipStream_tbPNSt15iterator_traitsISE_E10value_typeEPNSK_ISF_E10value_typeEPSG_NS1_7vsmem_tEENKUlT_SE_SF_SG_E_clIS8_S8_S9_S9_EESD_ST_SE_SF_SG_EUlST_E_NS1_11comp_targetILNS1_3genE4ELNS1_11target_archE910ELNS1_3gpuE8ELNS1_3repE0EEENS1_48merge_mergepath_partition_config_static_selectorELNS0_4arch9wavefront6targetE0EEEvSF_,"axG",@progbits,_ZN7rocprim17ROCPRIM_400000_NS6detail17trampoline_kernelINS0_14default_configENS1_38merge_sort_block_merge_config_selectorItNS0_10empty_typeEEEZZNS1_27merge_sort_block_merge_implIS3_PtPS5_jNS1_19radix_merge_compareILb1ELb0EtNS0_19identity_decomposerEEEEE10hipError_tT0_T1_T2_jT3_P12ihipStream_tbPNSt15iterator_traitsISE_E10value_typeEPNSK_ISF_E10value_typeEPSG_NS1_7vsmem_tEENKUlT_SE_SF_SG_E_clIS8_S8_S9_S9_EESD_ST_SE_SF_SG_EUlST_E_NS1_11comp_targetILNS1_3genE4ELNS1_11target_archE910ELNS1_3gpuE8ELNS1_3repE0EEENS1_48merge_mergepath_partition_config_static_selectorELNS0_4arch9wavefront6targetE0EEEvSF_,comdat
.Lfunc_end2307:
	.size	_ZN7rocprim17ROCPRIM_400000_NS6detail17trampoline_kernelINS0_14default_configENS1_38merge_sort_block_merge_config_selectorItNS0_10empty_typeEEEZZNS1_27merge_sort_block_merge_implIS3_PtPS5_jNS1_19radix_merge_compareILb1ELb0EtNS0_19identity_decomposerEEEEE10hipError_tT0_T1_T2_jT3_P12ihipStream_tbPNSt15iterator_traitsISE_E10value_typeEPNSK_ISF_E10value_typeEPSG_NS1_7vsmem_tEENKUlT_SE_SF_SG_E_clIS8_S8_S9_S9_EESD_ST_SE_SF_SG_EUlST_E_NS1_11comp_targetILNS1_3genE4ELNS1_11target_archE910ELNS1_3gpuE8ELNS1_3repE0EEENS1_48merge_mergepath_partition_config_static_selectorELNS0_4arch9wavefront6targetE0EEEvSF_, .Lfunc_end2307-_ZN7rocprim17ROCPRIM_400000_NS6detail17trampoline_kernelINS0_14default_configENS1_38merge_sort_block_merge_config_selectorItNS0_10empty_typeEEEZZNS1_27merge_sort_block_merge_implIS3_PtPS5_jNS1_19radix_merge_compareILb1ELb0EtNS0_19identity_decomposerEEEEE10hipError_tT0_T1_T2_jT3_P12ihipStream_tbPNSt15iterator_traitsISE_E10value_typeEPNSK_ISF_E10value_typeEPSG_NS1_7vsmem_tEENKUlT_SE_SF_SG_E_clIS8_S8_S9_S9_EESD_ST_SE_SF_SG_EUlST_E_NS1_11comp_targetILNS1_3genE4ELNS1_11target_archE910ELNS1_3gpuE8ELNS1_3repE0EEENS1_48merge_mergepath_partition_config_static_selectorELNS0_4arch9wavefront6targetE0EEEvSF_
                                        ; -- End function
	.set _ZN7rocprim17ROCPRIM_400000_NS6detail17trampoline_kernelINS0_14default_configENS1_38merge_sort_block_merge_config_selectorItNS0_10empty_typeEEEZZNS1_27merge_sort_block_merge_implIS3_PtPS5_jNS1_19radix_merge_compareILb1ELb0EtNS0_19identity_decomposerEEEEE10hipError_tT0_T1_T2_jT3_P12ihipStream_tbPNSt15iterator_traitsISE_E10value_typeEPNSK_ISF_E10value_typeEPSG_NS1_7vsmem_tEENKUlT_SE_SF_SG_E_clIS8_S8_S9_S9_EESD_ST_SE_SF_SG_EUlST_E_NS1_11comp_targetILNS1_3genE4ELNS1_11target_archE910ELNS1_3gpuE8ELNS1_3repE0EEENS1_48merge_mergepath_partition_config_static_selectorELNS0_4arch9wavefront6targetE0EEEvSF_.num_vgpr, 0
	.set _ZN7rocprim17ROCPRIM_400000_NS6detail17trampoline_kernelINS0_14default_configENS1_38merge_sort_block_merge_config_selectorItNS0_10empty_typeEEEZZNS1_27merge_sort_block_merge_implIS3_PtPS5_jNS1_19radix_merge_compareILb1ELb0EtNS0_19identity_decomposerEEEEE10hipError_tT0_T1_T2_jT3_P12ihipStream_tbPNSt15iterator_traitsISE_E10value_typeEPNSK_ISF_E10value_typeEPSG_NS1_7vsmem_tEENKUlT_SE_SF_SG_E_clIS8_S8_S9_S9_EESD_ST_SE_SF_SG_EUlST_E_NS1_11comp_targetILNS1_3genE4ELNS1_11target_archE910ELNS1_3gpuE8ELNS1_3repE0EEENS1_48merge_mergepath_partition_config_static_selectorELNS0_4arch9wavefront6targetE0EEEvSF_.num_agpr, 0
	.set _ZN7rocprim17ROCPRIM_400000_NS6detail17trampoline_kernelINS0_14default_configENS1_38merge_sort_block_merge_config_selectorItNS0_10empty_typeEEEZZNS1_27merge_sort_block_merge_implIS3_PtPS5_jNS1_19radix_merge_compareILb1ELb0EtNS0_19identity_decomposerEEEEE10hipError_tT0_T1_T2_jT3_P12ihipStream_tbPNSt15iterator_traitsISE_E10value_typeEPNSK_ISF_E10value_typeEPSG_NS1_7vsmem_tEENKUlT_SE_SF_SG_E_clIS8_S8_S9_S9_EESD_ST_SE_SF_SG_EUlST_E_NS1_11comp_targetILNS1_3genE4ELNS1_11target_archE910ELNS1_3gpuE8ELNS1_3repE0EEENS1_48merge_mergepath_partition_config_static_selectorELNS0_4arch9wavefront6targetE0EEEvSF_.numbered_sgpr, 0
	.set _ZN7rocprim17ROCPRIM_400000_NS6detail17trampoline_kernelINS0_14default_configENS1_38merge_sort_block_merge_config_selectorItNS0_10empty_typeEEEZZNS1_27merge_sort_block_merge_implIS3_PtPS5_jNS1_19radix_merge_compareILb1ELb0EtNS0_19identity_decomposerEEEEE10hipError_tT0_T1_T2_jT3_P12ihipStream_tbPNSt15iterator_traitsISE_E10value_typeEPNSK_ISF_E10value_typeEPSG_NS1_7vsmem_tEENKUlT_SE_SF_SG_E_clIS8_S8_S9_S9_EESD_ST_SE_SF_SG_EUlST_E_NS1_11comp_targetILNS1_3genE4ELNS1_11target_archE910ELNS1_3gpuE8ELNS1_3repE0EEENS1_48merge_mergepath_partition_config_static_selectorELNS0_4arch9wavefront6targetE0EEEvSF_.num_named_barrier, 0
	.set _ZN7rocprim17ROCPRIM_400000_NS6detail17trampoline_kernelINS0_14default_configENS1_38merge_sort_block_merge_config_selectorItNS0_10empty_typeEEEZZNS1_27merge_sort_block_merge_implIS3_PtPS5_jNS1_19radix_merge_compareILb1ELb0EtNS0_19identity_decomposerEEEEE10hipError_tT0_T1_T2_jT3_P12ihipStream_tbPNSt15iterator_traitsISE_E10value_typeEPNSK_ISF_E10value_typeEPSG_NS1_7vsmem_tEENKUlT_SE_SF_SG_E_clIS8_S8_S9_S9_EESD_ST_SE_SF_SG_EUlST_E_NS1_11comp_targetILNS1_3genE4ELNS1_11target_archE910ELNS1_3gpuE8ELNS1_3repE0EEENS1_48merge_mergepath_partition_config_static_selectorELNS0_4arch9wavefront6targetE0EEEvSF_.private_seg_size, 0
	.set _ZN7rocprim17ROCPRIM_400000_NS6detail17trampoline_kernelINS0_14default_configENS1_38merge_sort_block_merge_config_selectorItNS0_10empty_typeEEEZZNS1_27merge_sort_block_merge_implIS3_PtPS5_jNS1_19radix_merge_compareILb1ELb0EtNS0_19identity_decomposerEEEEE10hipError_tT0_T1_T2_jT3_P12ihipStream_tbPNSt15iterator_traitsISE_E10value_typeEPNSK_ISF_E10value_typeEPSG_NS1_7vsmem_tEENKUlT_SE_SF_SG_E_clIS8_S8_S9_S9_EESD_ST_SE_SF_SG_EUlST_E_NS1_11comp_targetILNS1_3genE4ELNS1_11target_archE910ELNS1_3gpuE8ELNS1_3repE0EEENS1_48merge_mergepath_partition_config_static_selectorELNS0_4arch9wavefront6targetE0EEEvSF_.uses_vcc, 0
	.set _ZN7rocprim17ROCPRIM_400000_NS6detail17trampoline_kernelINS0_14default_configENS1_38merge_sort_block_merge_config_selectorItNS0_10empty_typeEEEZZNS1_27merge_sort_block_merge_implIS3_PtPS5_jNS1_19radix_merge_compareILb1ELb0EtNS0_19identity_decomposerEEEEE10hipError_tT0_T1_T2_jT3_P12ihipStream_tbPNSt15iterator_traitsISE_E10value_typeEPNSK_ISF_E10value_typeEPSG_NS1_7vsmem_tEENKUlT_SE_SF_SG_E_clIS8_S8_S9_S9_EESD_ST_SE_SF_SG_EUlST_E_NS1_11comp_targetILNS1_3genE4ELNS1_11target_archE910ELNS1_3gpuE8ELNS1_3repE0EEENS1_48merge_mergepath_partition_config_static_selectorELNS0_4arch9wavefront6targetE0EEEvSF_.uses_flat_scratch, 0
	.set _ZN7rocprim17ROCPRIM_400000_NS6detail17trampoline_kernelINS0_14default_configENS1_38merge_sort_block_merge_config_selectorItNS0_10empty_typeEEEZZNS1_27merge_sort_block_merge_implIS3_PtPS5_jNS1_19radix_merge_compareILb1ELb0EtNS0_19identity_decomposerEEEEE10hipError_tT0_T1_T2_jT3_P12ihipStream_tbPNSt15iterator_traitsISE_E10value_typeEPNSK_ISF_E10value_typeEPSG_NS1_7vsmem_tEENKUlT_SE_SF_SG_E_clIS8_S8_S9_S9_EESD_ST_SE_SF_SG_EUlST_E_NS1_11comp_targetILNS1_3genE4ELNS1_11target_archE910ELNS1_3gpuE8ELNS1_3repE0EEENS1_48merge_mergepath_partition_config_static_selectorELNS0_4arch9wavefront6targetE0EEEvSF_.has_dyn_sized_stack, 0
	.set _ZN7rocprim17ROCPRIM_400000_NS6detail17trampoline_kernelINS0_14default_configENS1_38merge_sort_block_merge_config_selectorItNS0_10empty_typeEEEZZNS1_27merge_sort_block_merge_implIS3_PtPS5_jNS1_19radix_merge_compareILb1ELb0EtNS0_19identity_decomposerEEEEE10hipError_tT0_T1_T2_jT3_P12ihipStream_tbPNSt15iterator_traitsISE_E10value_typeEPNSK_ISF_E10value_typeEPSG_NS1_7vsmem_tEENKUlT_SE_SF_SG_E_clIS8_S8_S9_S9_EESD_ST_SE_SF_SG_EUlST_E_NS1_11comp_targetILNS1_3genE4ELNS1_11target_archE910ELNS1_3gpuE8ELNS1_3repE0EEENS1_48merge_mergepath_partition_config_static_selectorELNS0_4arch9wavefront6targetE0EEEvSF_.has_recursion, 0
	.set _ZN7rocprim17ROCPRIM_400000_NS6detail17trampoline_kernelINS0_14default_configENS1_38merge_sort_block_merge_config_selectorItNS0_10empty_typeEEEZZNS1_27merge_sort_block_merge_implIS3_PtPS5_jNS1_19radix_merge_compareILb1ELb0EtNS0_19identity_decomposerEEEEE10hipError_tT0_T1_T2_jT3_P12ihipStream_tbPNSt15iterator_traitsISE_E10value_typeEPNSK_ISF_E10value_typeEPSG_NS1_7vsmem_tEENKUlT_SE_SF_SG_E_clIS8_S8_S9_S9_EESD_ST_SE_SF_SG_EUlST_E_NS1_11comp_targetILNS1_3genE4ELNS1_11target_archE910ELNS1_3gpuE8ELNS1_3repE0EEENS1_48merge_mergepath_partition_config_static_selectorELNS0_4arch9wavefront6targetE0EEEvSF_.has_indirect_call, 0
	.section	.AMDGPU.csdata,"",@progbits
; Kernel info:
; codeLenInByte = 0
; TotalNumSgprs: 0
; NumVgprs: 0
; ScratchSize: 0
; MemoryBound: 0
; FloatMode: 240
; IeeeMode: 1
; LDSByteSize: 0 bytes/workgroup (compile time only)
; SGPRBlocks: 0
; VGPRBlocks: 0
; NumSGPRsForWavesPerEU: 1
; NumVGPRsForWavesPerEU: 1
; NamedBarCnt: 0
; Occupancy: 16
; WaveLimiterHint : 0
; COMPUTE_PGM_RSRC2:SCRATCH_EN: 0
; COMPUTE_PGM_RSRC2:USER_SGPR: 2
; COMPUTE_PGM_RSRC2:TRAP_HANDLER: 0
; COMPUTE_PGM_RSRC2:TGID_X_EN: 1
; COMPUTE_PGM_RSRC2:TGID_Y_EN: 0
; COMPUTE_PGM_RSRC2:TGID_Z_EN: 0
; COMPUTE_PGM_RSRC2:TIDIG_COMP_CNT: 0
	.section	.text._ZN7rocprim17ROCPRIM_400000_NS6detail17trampoline_kernelINS0_14default_configENS1_38merge_sort_block_merge_config_selectorItNS0_10empty_typeEEEZZNS1_27merge_sort_block_merge_implIS3_PtPS5_jNS1_19radix_merge_compareILb1ELb0EtNS0_19identity_decomposerEEEEE10hipError_tT0_T1_T2_jT3_P12ihipStream_tbPNSt15iterator_traitsISE_E10value_typeEPNSK_ISF_E10value_typeEPSG_NS1_7vsmem_tEENKUlT_SE_SF_SG_E_clIS8_S8_S9_S9_EESD_ST_SE_SF_SG_EUlST_E_NS1_11comp_targetILNS1_3genE3ELNS1_11target_archE908ELNS1_3gpuE7ELNS1_3repE0EEENS1_48merge_mergepath_partition_config_static_selectorELNS0_4arch9wavefront6targetE0EEEvSF_,"axG",@progbits,_ZN7rocprim17ROCPRIM_400000_NS6detail17trampoline_kernelINS0_14default_configENS1_38merge_sort_block_merge_config_selectorItNS0_10empty_typeEEEZZNS1_27merge_sort_block_merge_implIS3_PtPS5_jNS1_19radix_merge_compareILb1ELb0EtNS0_19identity_decomposerEEEEE10hipError_tT0_T1_T2_jT3_P12ihipStream_tbPNSt15iterator_traitsISE_E10value_typeEPNSK_ISF_E10value_typeEPSG_NS1_7vsmem_tEENKUlT_SE_SF_SG_E_clIS8_S8_S9_S9_EESD_ST_SE_SF_SG_EUlST_E_NS1_11comp_targetILNS1_3genE3ELNS1_11target_archE908ELNS1_3gpuE7ELNS1_3repE0EEENS1_48merge_mergepath_partition_config_static_selectorELNS0_4arch9wavefront6targetE0EEEvSF_,comdat
	.protected	_ZN7rocprim17ROCPRIM_400000_NS6detail17trampoline_kernelINS0_14default_configENS1_38merge_sort_block_merge_config_selectorItNS0_10empty_typeEEEZZNS1_27merge_sort_block_merge_implIS3_PtPS5_jNS1_19radix_merge_compareILb1ELb0EtNS0_19identity_decomposerEEEEE10hipError_tT0_T1_T2_jT3_P12ihipStream_tbPNSt15iterator_traitsISE_E10value_typeEPNSK_ISF_E10value_typeEPSG_NS1_7vsmem_tEENKUlT_SE_SF_SG_E_clIS8_S8_S9_S9_EESD_ST_SE_SF_SG_EUlST_E_NS1_11comp_targetILNS1_3genE3ELNS1_11target_archE908ELNS1_3gpuE7ELNS1_3repE0EEENS1_48merge_mergepath_partition_config_static_selectorELNS0_4arch9wavefront6targetE0EEEvSF_ ; -- Begin function _ZN7rocprim17ROCPRIM_400000_NS6detail17trampoline_kernelINS0_14default_configENS1_38merge_sort_block_merge_config_selectorItNS0_10empty_typeEEEZZNS1_27merge_sort_block_merge_implIS3_PtPS5_jNS1_19radix_merge_compareILb1ELb0EtNS0_19identity_decomposerEEEEE10hipError_tT0_T1_T2_jT3_P12ihipStream_tbPNSt15iterator_traitsISE_E10value_typeEPNSK_ISF_E10value_typeEPSG_NS1_7vsmem_tEENKUlT_SE_SF_SG_E_clIS8_S8_S9_S9_EESD_ST_SE_SF_SG_EUlST_E_NS1_11comp_targetILNS1_3genE3ELNS1_11target_archE908ELNS1_3gpuE7ELNS1_3repE0EEENS1_48merge_mergepath_partition_config_static_selectorELNS0_4arch9wavefront6targetE0EEEvSF_
	.globl	_ZN7rocprim17ROCPRIM_400000_NS6detail17trampoline_kernelINS0_14default_configENS1_38merge_sort_block_merge_config_selectorItNS0_10empty_typeEEEZZNS1_27merge_sort_block_merge_implIS3_PtPS5_jNS1_19radix_merge_compareILb1ELb0EtNS0_19identity_decomposerEEEEE10hipError_tT0_T1_T2_jT3_P12ihipStream_tbPNSt15iterator_traitsISE_E10value_typeEPNSK_ISF_E10value_typeEPSG_NS1_7vsmem_tEENKUlT_SE_SF_SG_E_clIS8_S8_S9_S9_EESD_ST_SE_SF_SG_EUlST_E_NS1_11comp_targetILNS1_3genE3ELNS1_11target_archE908ELNS1_3gpuE7ELNS1_3repE0EEENS1_48merge_mergepath_partition_config_static_selectorELNS0_4arch9wavefront6targetE0EEEvSF_
	.p2align	8
	.type	_ZN7rocprim17ROCPRIM_400000_NS6detail17trampoline_kernelINS0_14default_configENS1_38merge_sort_block_merge_config_selectorItNS0_10empty_typeEEEZZNS1_27merge_sort_block_merge_implIS3_PtPS5_jNS1_19radix_merge_compareILb1ELb0EtNS0_19identity_decomposerEEEEE10hipError_tT0_T1_T2_jT3_P12ihipStream_tbPNSt15iterator_traitsISE_E10value_typeEPNSK_ISF_E10value_typeEPSG_NS1_7vsmem_tEENKUlT_SE_SF_SG_E_clIS8_S8_S9_S9_EESD_ST_SE_SF_SG_EUlST_E_NS1_11comp_targetILNS1_3genE3ELNS1_11target_archE908ELNS1_3gpuE7ELNS1_3repE0EEENS1_48merge_mergepath_partition_config_static_selectorELNS0_4arch9wavefront6targetE0EEEvSF_,@function
_ZN7rocprim17ROCPRIM_400000_NS6detail17trampoline_kernelINS0_14default_configENS1_38merge_sort_block_merge_config_selectorItNS0_10empty_typeEEEZZNS1_27merge_sort_block_merge_implIS3_PtPS5_jNS1_19radix_merge_compareILb1ELb0EtNS0_19identity_decomposerEEEEE10hipError_tT0_T1_T2_jT3_P12ihipStream_tbPNSt15iterator_traitsISE_E10value_typeEPNSK_ISF_E10value_typeEPSG_NS1_7vsmem_tEENKUlT_SE_SF_SG_E_clIS8_S8_S9_S9_EESD_ST_SE_SF_SG_EUlST_E_NS1_11comp_targetILNS1_3genE3ELNS1_11target_archE908ELNS1_3gpuE7ELNS1_3repE0EEENS1_48merge_mergepath_partition_config_static_selectorELNS0_4arch9wavefront6targetE0EEEvSF_: ; @_ZN7rocprim17ROCPRIM_400000_NS6detail17trampoline_kernelINS0_14default_configENS1_38merge_sort_block_merge_config_selectorItNS0_10empty_typeEEEZZNS1_27merge_sort_block_merge_implIS3_PtPS5_jNS1_19radix_merge_compareILb1ELb0EtNS0_19identity_decomposerEEEEE10hipError_tT0_T1_T2_jT3_P12ihipStream_tbPNSt15iterator_traitsISE_E10value_typeEPNSK_ISF_E10value_typeEPSG_NS1_7vsmem_tEENKUlT_SE_SF_SG_E_clIS8_S8_S9_S9_EESD_ST_SE_SF_SG_EUlST_E_NS1_11comp_targetILNS1_3genE3ELNS1_11target_archE908ELNS1_3gpuE7ELNS1_3repE0EEENS1_48merge_mergepath_partition_config_static_selectorELNS0_4arch9wavefront6targetE0EEEvSF_
; %bb.0:
	.section	.rodata,"a",@progbits
	.p2align	6, 0x0
	.amdhsa_kernel _ZN7rocprim17ROCPRIM_400000_NS6detail17trampoline_kernelINS0_14default_configENS1_38merge_sort_block_merge_config_selectorItNS0_10empty_typeEEEZZNS1_27merge_sort_block_merge_implIS3_PtPS5_jNS1_19radix_merge_compareILb1ELb0EtNS0_19identity_decomposerEEEEE10hipError_tT0_T1_T2_jT3_P12ihipStream_tbPNSt15iterator_traitsISE_E10value_typeEPNSK_ISF_E10value_typeEPSG_NS1_7vsmem_tEENKUlT_SE_SF_SG_E_clIS8_S8_S9_S9_EESD_ST_SE_SF_SG_EUlST_E_NS1_11comp_targetILNS1_3genE3ELNS1_11target_archE908ELNS1_3gpuE7ELNS1_3repE0EEENS1_48merge_mergepath_partition_config_static_selectorELNS0_4arch9wavefront6targetE0EEEvSF_
		.amdhsa_group_segment_fixed_size 0
		.amdhsa_private_segment_fixed_size 0
		.amdhsa_kernarg_size 40
		.amdhsa_user_sgpr_count 2
		.amdhsa_user_sgpr_dispatch_ptr 0
		.amdhsa_user_sgpr_queue_ptr 0
		.amdhsa_user_sgpr_kernarg_segment_ptr 1
		.amdhsa_user_sgpr_dispatch_id 0
		.amdhsa_user_sgpr_kernarg_preload_length 0
		.amdhsa_user_sgpr_kernarg_preload_offset 0
		.amdhsa_user_sgpr_private_segment_size 0
		.amdhsa_wavefront_size32 1
		.amdhsa_uses_dynamic_stack 0
		.amdhsa_enable_private_segment 0
		.amdhsa_system_sgpr_workgroup_id_x 1
		.amdhsa_system_sgpr_workgroup_id_y 0
		.amdhsa_system_sgpr_workgroup_id_z 0
		.amdhsa_system_sgpr_workgroup_info 0
		.amdhsa_system_vgpr_workitem_id 0
		.amdhsa_next_free_vgpr 1
		.amdhsa_next_free_sgpr 1
		.amdhsa_named_barrier_count 0
		.amdhsa_reserve_vcc 0
		.amdhsa_float_round_mode_32 0
		.amdhsa_float_round_mode_16_64 0
		.amdhsa_float_denorm_mode_32 3
		.amdhsa_float_denorm_mode_16_64 3
		.amdhsa_fp16_overflow 0
		.amdhsa_memory_ordered 1
		.amdhsa_forward_progress 1
		.amdhsa_inst_pref_size 0
		.amdhsa_round_robin_scheduling 0
		.amdhsa_exception_fp_ieee_invalid_op 0
		.amdhsa_exception_fp_denorm_src 0
		.amdhsa_exception_fp_ieee_div_zero 0
		.amdhsa_exception_fp_ieee_overflow 0
		.amdhsa_exception_fp_ieee_underflow 0
		.amdhsa_exception_fp_ieee_inexact 0
		.amdhsa_exception_int_div_zero 0
	.end_amdhsa_kernel
	.section	.text._ZN7rocprim17ROCPRIM_400000_NS6detail17trampoline_kernelINS0_14default_configENS1_38merge_sort_block_merge_config_selectorItNS0_10empty_typeEEEZZNS1_27merge_sort_block_merge_implIS3_PtPS5_jNS1_19radix_merge_compareILb1ELb0EtNS0_19identity_decomposerEEEEE10hipError_tT0_T1_T2_jT3_P12ihipStream_tbPNSt15iterator_traitsISE_E10value_typeEPNSK_ISF_E10value_typeEPSG_NS1_7vsmem_tEENKUlT_SE_SF_SG_E_clIS8_S8_S9_S9_EESD_ST_SE_SF_SG_EUlST_E_NS1_11comp_targetILNS1_3genE3ELNS1_11target_archE908ELNS1_3gpuE7ELNS1_3repE0EEENS1_48merge_mergepath_partition_config_static_selectorELNS0_4arch9wavefront6targetE0EEEvSF_,"axG",@progbits,_ZN7rocprim17ROCPRIM_400000_NS6detail17trampoline_kernelINS0_14default_configENS1_38merge_sort_block_merge_config_selectorItNS0_10empty_typeEEEZZNS1_27merge_sort_block_merge_implIS3_PtPS5_jNS1_19radix_merge_compareILb1ELb0EtNS0_19identity_decomposerEEEEE10hipError_tT0_T1_T2_jT3_P12ihipStream_tbPNSt15iterator_traitsISE_E10value_typeEPNSK_ISF_E10value_typeEPSG_NS1_7vsmem_tEENKUlT_SE_SF_SG_E_clIS8_S8_S9_S9_EESD_ST_SE_SF_SG_EUlST_E_NS1_11comp_targetILNS1_3genE3ELNS1_11target_archE908ELNS1_3gpuE7ELNS1_3repE0EEENS1_48merge_mergepath_partition_config_static_selectorELNS0_4arch9wavefront6targetE0EEEvSF_,comdat
.Lfunc_end2308:
	.size	_ZN7rocprim17ROCPRIM_400000_NS6detail17trampoline_kernelINS0_14default_configENS1_38merge_sort_block_merge_config_selectorItNS0_10empty_typeEEEZZNS1_27merge_sort_block_merge_implIS3_PtPS5_jNS1_19radix_merge_compareILb1ELb0EtNS0_19identity_decomposerEEEEE10hipError_tT0_T1_T2_jT3_P12ihipStream_tbPNSt15iterator_traitsISE_E10value_typeEPNSK_ISF_E10value_typeEPSG_NS1_7vsmem_tEENKUlT_SE_SF_SG_E_clIS8_S8_S9_S9_EESD_ST_SE_SF_SG_EUlST_E_NS1_11comp_targetILNS1_3genE3ELNS1_11target_archE908ELNS1_3gpuE7ELNS1_3repE0EEENS1_48merge_mergepath_partition_config_static_selectorELNS0_4arch9wavefront6targetE0EEEvSF_, .Lfunc_end2308-_ZN7rocprim17ROCPRIM_400000_NS6detail17trampoline_kernelINS0_14default_configENS1_38merge_sort_block_merge_config_selectorItNS0_10empty_typeEEEZZNS1_27merge_sort_block_merge_implIS3_PtPS5_jNS1_19radix_merge_compareILb1ELb0EtNS0_19identity_decomposerEEEEE10hipError_tT0_T1_T2_jT3_P12ihipStream_tbPNSt15iterator_traitsISE_E10value_typeEPNSK_ISF_E10value_typeEPSG_NS1_7vsmem_tEENKUlT_SE_SF_SG_E_clIS8_S8_S9_S9_EESD_ST_SE_SF_SG_EUlST_E_NS1_11comp_targetILNS1_3genE3ELNS1_11target_archE908ELNS1_3gpuE7ELNS1_3repE0EEENS1_48merge_mergepath_partition_config_static_selectorELNS0_4arch9wavefront6targetE0EEEvSF_
                                        ; -- End function
	.set _ZN7rocprim17ROCPRIM_400000_NS6detail17trampoline_kernelINS0_14default_configENS1_38merge_sort_block_merge_config_selectorItNS0_10empty_typeEEEZZNS1_27merge_sort_block_merge_implIS3_PtPS5_jNS1_19radix_merge_compareILb1ELb0EtNS0_19identity_decomposerEEEEE10hipError_tT0_T1_T2_jT3_P12ihipStream_tbPNSt15iterator_traitsISE_E10value_typeEPNSK_ISF_E10value_typeEPSG_NS1_7vsmem_tEENKUlT_SE_SF_SG_E_clIS8_S8_S9_S9_EESD_ST_SE_SF_SG_EUlST_E_NS1_11comp_targetILNS1_3genE3ELNS1_11target_archE908ELNS1_3gpuE7ELNS1_3repE0EEENS1_48merge_mergepath_partition_config_static_selectorELNS0_4arch9wavefront6targetE0EEEvSF_.num_vgpr, 0
	.set _ZN7rocprim17ROCPRIM_400000_NS6detail17trampoline_kernelINS0_14default_configENS1_38merge_sort_block_merge_config_selectorItNS0_10empty_typeEEEZZNS1_27merge_sort_block_merge_implIS3_PtPS5_jNS1_19radix_merge_compareILb1ELb0EtNS0_19identity_decomposerEEEEE10hipError_tT0_T1_T2_jT3_P12ihipStream_tbPNSt15iterator_traitsISE_E10value_typeEPNSK_ISF_E10value_typeEPSG_NS1_7vsmem_tEENKUlT_SE_SF_SG_E_clIS8_S8_S9_S9_EESD_ST_SE_SF_SG_EUlST_E_NS1_11comp_targetILNS1_3genE3ELNS1_11target_archE908ELNS1_3gpuE7ELNS1_3repE0EEENS1_48merge_mergepath_partition_config_static_selectorELNS0_4arch9wavefront6targetE0EEEvSF_.num_agpr, 0
	.set _ZN7rocprim17ROCPRIM_400000_NS6detail17trampoline_kernelINS0_14default_configENS1_38merge_sort_block_merge_config_selectorItNS0_10empty_typeEEEZZNS1_27merge_sort_block_merge_implIS3_PtPS5_jNS1_19radix_merge_compareILb1ELb0EtNS0_19identity_decomposerEEEEE10hipError_tT0_T1_T2_jT3_P12ihipStream_tbPNSt15iterator_traitsISE_E10value_typeEPNSK_ISF_E10value_typeEPSG_NS1_7vsmem_tEENKUlT_SE_SF_SG_E_clIS8_S8_S9_S9_EESD_ST_SE_SF_SG_EUlST_E_NS1_11comp_targetILNS1_3genE3ELNS1_11target_archE908ELNS1_3gpuE7ELNS1_3repE0EEENS1_48merge_mergepath_partition_config_static_selectorELNS0_4arch9wavefront6targetE0EEEvSF_.numbered_sgpr, 0
	.set _ZN7rocprim17ROCPRIM_400000_NS6detail17trampoline_kernelINS0_14default_configENS1_38merge_sort_block_merge_config_selectorItNS0_10empty_typeEEEZZNS1_27merge_sort_block_merge_implIS3_PtPS5_jNS1_19radix_merge_compareILb1ELb0EtNS0_19identity_decomposerEEEEE10hipError_tT0_T1_T2_jT3_P12ihipStream_tbPNSt15iterator_traitsISE_E10value_typeEPNSK_ISF_E10value_typeEPSG_NS1_7vsmem_tEENKUlT_SE_SF_SG_E_clIS8_S8_S9_S9_EESD_ST_SE_SF_SG_EUlST_E_NS1_11comp_targetILNS1_3genE3ELNS1_11target_archE908ELNS1_3gpuE7ELNS1_3repE0EEENS1_48merge_mergepath_partition_config_static_selectorELNS0_4arch9wavefront6targetE0EEEvSF_.num_named_barrier, 0
	.set _ZN7rocprim17ROCPRIM_400000_NS6detail17trampoline_kernelINS0_14default_configENS1_38merge_sort_block_merge_config_selectorItNS0_10empty_typeEEEZZNS1_27merge_sort_block_merge_implIS3_PtPS5_jNS1_19radix_merge_compareILb1ELb0EtNS0_19identity_decomposerEEEEE10hipError_tT0_T1_T2_jT3_P12ihipStream_tbPNSt15iterator_traitsISE_E10value_typeEPNSK_ISF_E10value_typeEPSG_NS1_7vsmem_tEENKUlT_SE_SF_SG_E_clIS8_S8_S9_S9_EESD_ST_SE_SF_SG_EUlST_E_NS1_11comp_targetILNS1_3genE3ELNS1_11target_archE908ELNS1_3gpuE7ELNS1_3repE0EEENS1_48merge_mergepath_partition_config_static_selectorELNS0_4arch9wavefront6targetE0EEEvSF_.private_seg_size, 0
	.set _ZN7rocprim17ROCPRIM_400000_NS6detail17trampoline_kernelINS0_14default_configENS1_38merge_sort_block_merge_config_selectorItNS0_10empty_typeEEEZZNS1_27merge_sort_block_merge_implIS3_PtPS5_jNS1_19radix_merge_compareILb1ELb0EtNS0_19identity_decomposerEEEEE10hipError_tT0_T1_T2_jT3_P12ihipStream_tbPNSt15iterator_traitsISE_E10value_typeEPNSK_ISF_E10value_typeEPSG_NS1_7vsmem_tEENKUlT_SE_SF_SG_E_clIS8_S8_S9_S9_EESD_ST_SE_SF_SG_EUlST_E_NS1_11comp_targetILNS1_3genE3ELNS1_11target_archE908ELNS1_3gpuE7ELNS1_3repE0EEENS1_48merge_mergepath_partition_config_static_selectorELNS0_4arch9wavefront6targetE0EEEvSF_.uses_vcc, 0
	.set _ZN7rocprim17ROCPRIM_400000_NS6detail17trampoline_kernelINS0_14default_configENS1_38merge_sort_block_merge_config_selectorItNS0_10empty_typeEEEZZNS1_27merge_sort_block_merge_implIS3_PtPS5_jNS1_19radix_merge_compareILb1ELb0EtNS0_19identity_decomposerEEEEE10hipError_tT0_T1_T2_jT3_P12ihipStream_tbPNSt15iterator_traitsISE_E10value_typeEPNSK_ISF_E10value_typeEPSG_NS1_7vsmem_tEENKUlT_SE_SF_SG_E_clIS8_S8_S9_S9_EESD_ST_SE_SF_SG_EUlST_E_NS1_11comp_targetILNS1_3genE3ELNS1_11target_archE908ELNS1_3gpuE7ELNS1_3repE0EEENS1_48merge_mergepath_partition_config_static_selectorELNS0_4arch9wavefront6targetE0EEEvSF_.uses_flat_scratch, 0
	.set _ZN7rocprim17ROCPRIM_400000_NS6detail17trampoline_kernelINS0_14default_configENS1_38merge_sort_block_merge_config_selectorItNS0_10empty_typeEEEZZNS1_27merge_sort_block_merge_implIS3_PtPS5_jNS1_19radix_merge_compareILb1ELb0EtNS0_19identity_decomposerEEEEE10hipError_tT0_T1_T2_jT3_P12ihipStream_tbPNSt15iterator_traitsISE_E10value_typeEPNSK_ISF_E10value_typeEPSG_NS1_7vsmem_tEENKUlT_SE_SF_SG_E_clIS8_S8_S9_S9_EESD_ST_SE_SF_SG_EUlST_E_NS1_11comp_targetILNS1_3genE3ELNS1_11target_archE908ELNS1_3gpuE7ELNS1_3repE0EEENS1_48merge_mergepath_partition_config_static_selectorELNS0_4arch9wavefront6targetE0EEEvSF_.has_dyn_sized_stack, 0
	.set _ZN7rocprim17ROCPRIM_400000_NS6detail17trampoline_kernelINS0_14default_configENS1_38merge_sort_block_merge_config_selectorItNS0_10empty_typeEEEZZNS1_27merge_sort_block_merge_implIS3_PtPS5_jNS1_19radix_merge_compareILb1ELb0EtNS0_19identity_decomposerEEEEE10hipError_tT0_T1_T2_jT3_P12ihipStream_tbPNSt15iterator_traitsISE_E10value_typeEPNSK_ISF_E10value_typeEPSG_NS1_7vsmem_tEENKUlT_SE_SF_SG_E_clIS8_S8_S9_S9_EESD_ST_SE_SF_SG_EUlST_E_NS1_11comp_targetILNS1_3genE3ELNS1_11target_archE908ELNS1_3gpuE7ELNS1_3repE0EEENS1_48merge_mergepath_partition_config_static_selectorELNS0_4arch9wavefront6targetE0EEEvSF_.has_recursion, 0
	.set _ZN7rocprim17ROCPRIM_400000_NS6detail17trampoline_kernelINS0_14default_configENS1_38merge_sort_block_merge_config_selectorItNS0_10empty_typeEEEZZNS1_27merge_sort_block_merge_implIS3_PtPS5_jNS1_19radix_merge_compareILb1ELb0EtNS0_19identity_decomposerEEEEE10hipError_tT0_T1_T2_jT3_P12ihipStream_tbPNSt15iterator_traitsISE_E10value_typeEPNSK_ISF_E10value_typeEPSG_NS1_7vsmem_tEENKUlT_SE_SF_SG_E_clIS8_S8_S9_S9_EESD_ST_SE_SF_SG_EUlST_E_NS1_11comp_targetILNS1_3genE3ELNS1_11target_archE908ELNS1_3gpuE7ELNS1_3repE0EEENS1_48merge_mergepath_partition_config_static_selectorELNS0_4arch9wavefront6targetE0EEEvSF_.has_indirect_call, 0
	.section	.AMDGPU.csdata,"",@progbits
; Kernel info:
; codeLenInByte = 0
; TotalNumSgprs: 0
; NumVgprs: 0
; ScratchSize: 0
; MemoryBound: 0
; FloatMode: 240
; IeeeMode: 1
; LDSByteSize: 0 bytes/workgroup (compile time only)
; SGPRBlocks: 0
; VGPRBlocks: 0
; NumSGPRsForWavesPerEU: 1
; NumVGPRsForWavesPerEU: 1
; NamedBarCnt: 0
; Occupancy: 16
; WaveLimiterHint : 0
; COMPUTE_PGM_RSRC2:SCRATCH_EN: 0
; COMPUTE_PGM_RSRC2:USER_SGPR: 2
; COMPUTE_PGM_RSRC2:TRAP_HANDLER: 0
; COMPUTE_PGM_RSRC2:TGID_X_EN: 1
; COMPUTE_PGM_RSRC2:TGID_Y_EN: 0
; COMPUTE_PGM_RSRC2:TGID_Z_EN: 0
; COMPUTE_PGM_RSRC2:TIDIG_COMP_CNT: 0
	.section	.text._ZN7rocprim17ROCPRIM_400000_NS6detail17trampoline_kernelINS0_14default_configENS1_38merge_sort_block_merge_config_selectorItNS0_10empty_typeEEEZZNS1_27merge_sort_block_merge_implIS3_PtPS5_jNS1_19radix_merge_compareILb1ELb0EtNS0_19identity_decomposerEEEEE10hipError_tT0_T1_T2_jT3_P12ihipStream_tbPNSt15iterator_traitsISE_E10value_typeEPNSK_ISF_E10value_typeEPSG_NS1_7vsmem_tEENKUlT_SE_SF_SG_E_clIS8_S8_S9_S9_EESD_ST_SE_SF_SG_EUlST_E_NS1_11comp_targetILNS1_3genE2ELNS1_11target_archE906ELNS1_3gpuE6ELNS1_3repE0EEENS1_48merge_mergepath_partition_config_static_selectorELNS0_4arch9wavefront6targetE0EEEvSF_,"axG",@progbits,_ZN7rocprim17ROCPRIM_400000_NS6detail17trampoline_kernelINS0_14default_configENS1_38merge_sort_block_merge_config_selectorItNS0_10empty_typeEEEZZNS1_27merge_sort_block_merge_implIS3_PtPS5_jNS1_19radix_merge_compareILb1ELb0EtNS0_19identity_decomposerEEEEE10hipError_tT0_T1_T2_jT3_P12ihipStream_tbPNSt15iterator_traitsISE_E10value_typeEPNSK_ISF_E10value_typeEPSG_NS1_7vsmem_tEENKUlT_SE_SF_SG_E_clIS8_S8_S9_S9_EESD_ST_SE_SF_SG_EUlST_E_NS1_11comp_targetILNS1_3genE2ELNS1_11target_archE906ELNS1_3gpuE6ELNS1_3repE0EEENS1_48merge_mergepath_partition_config_static_selectorELNS0_4arch9wavefront6targetE0EEEvSF_,comdat
	.protected	_ZN7rocprim17ROCPRIM_400000_NS6detail17trampoline_kernelINS0_14default_configENS1_38merge_sort_block_merge_config_selectorItNS0_10empty_typeEEEZZNS1_27merge_sort_block_merge_implIS3_PtPS5_jNS1_19radix_merge_compareILb1ELb0EtNS0_19identity_decomposerEEEEE10hipError_tT0_T1_T2_jT3_P12ihipStream_tbPNSt15iterator_traitsISE_E10value_typeEPNSK_ISF_E10value_typeEPSG_NS1_7vsmem_tEENKUlT_SE_SF_SG_E_clIS8_S8_S9_S9_EESD_ST_SE_SF_SG_EUlST_E_NS1_11comp_targetILNS1_3genE2ELNS1_11target_archE906ELNS1_3gpuE6ELNS1_3repE0EEENS1_48merge_mergepath_partition_config_static_selectorELNS0_4arch9wavefront6targetE0EEEvSF_ ; -- Begin function _ZN7rocprim17ROCPRIM_400000_NS6detail17trampoline_kernelINS0_14default_configENS1_38merge_sort_block_merge_config_selectorItNS0_10empty_typeEEEZZNS1_27merge_sort_block_merge_implIS3_PtPS5_jNS1_19radix_merge_compareILb1ELb0EtNS0_19identity_decomposerEEEEE10hipError_tT0_T1_T2_jT3_P12ihipStream_tbPNSt15iterator_traitsISE_E10value_typeEPNSK_ISF_E10value_typeEPSG_NS1_7vsmem_tEENKUlT_SE_SF_SG_E_clIS8_S8_S9_S9_EESD_ST_SE_SF_SG_EUlST_E_NS1_11comp_targetILNS1_3genE2ELNS1_11target_archE906ELNS1_3gpuE6ELNS1_3repE0EEENS1_48merge_mergepath_partition_config_static_selectorELNS0_4arch9wavefront6targetE0EEEvSF_
	.globl	_ZN7rocprim17ROCPRIM_400000_NS6detail17trampoline_kernelINS0_14default_configENS1_38merge_sort_block_merge_config_selectorItNS0_10empty_typeEEEZZNS1_27merge_sort_block_merge_implIS3_PtPS5_jNS1_19radix_merge_compareILb1ELb0EtNS0_19identity_decomposerEEEEE10hipError_tT0_T1_T2_jT3_P12ihipStream_tbPNSt15iterator_traitsISE_E10value_typeEPNSK_ISF_E10value_typeEPSG_NS1_7vsmem_tEENKUlT_SE_SF_SG_E_clIS8_S8_S9_S9_EESD_ST_SE_SF_SG_EUlST_E_NS1_11comp_targetILNS1_3genE2ELNS1_11target_archE906ELNS1_3gpuE6ELNS1_3repE0EEENS1_48merge_mergepath_partition_config_static_selectorELNS0_4arch9wavefront6targetE0EEEvSF_
	.p2align	8
	.type	_ZN7rocprim17ROCPRIM_400000_NS6detail17trampoline_kernelINS0_14default_configENS1_38merge_sort_block_merge_config_selectorItNS0_10empty_typeEEEZZNS1_27merge_sort_block_merge_implIS3_PtPS5_jNS1_19radix_merge_compareILb1ELb0EtNS0_19identity_decomposerEEEEE10hipError_tT0_T1_T2_jT3_P12ihipStream_tbPNSt15iterator_traitsISE_E10value_typeEPNSK_ISF_E10value_typeEPSG_NS1_7vsmem_tEENKUlT_SE_SF_SG_E_clIS8_S8_S9_S9_EESD_ST_SE_SF_SG_EUlST_E_NS1_11comp_targetILNS1_3genE2ELNS1_11target_archE906ELNS1_3gpuE6ELNS1_3repE0EEENS1_48merge_mergepath_partition_config_static_selectorELNS0_4arch9wavefront6targetE0EEEvSF_,@function
_ZN7rocprim17ROCPRIM_400000_NS6detail17trampoline_kernelINS0_14default_configENS1_38merge_sort_block_merge_config_selectorItNS0_10empty_typeEEEZZNS1_27merge_sort_block_merge_implIS3_PtPS5_jNS1_19radix_merge_compareILb1ELb0EtNS0_19identity_decomposerEEEEE10hipError_tT0_T1_T2_jT3_P12ihipStream_tbPNSt15iterator_traitsISE_E10value_typeEPNSK_ISF_E10value_typeEPSG_NS1_7vsmem_tEENKUlT_SE_SF_SG_E_clIS8_S8_S9_S9_EESD_ST_SE_SF_SG_EUlST_E_NS1_11comp_targetILNS1_3genE2ELNS1_11target_archE906ELNS1_3gpuE6ELNS1_3repE0EEENS1_48merge_mergepath_partition_config_static_selectorELNS0_4arch9wavefront6targetE0EEEvSF_: ; @_ZN7rocprim17ROCPRIM_400000_NS6detail17trampoline_kernelINS0_14default_configENS1_38merge_sort_block_merge_config_selectorItNS0_10empty_typeEEEZZNS1_27merge_sort_block_merge_implIS3_PtPS5_jNS1_19radix_merge_compareILb1ELb0EtNS0_19identity_decomposerEEEEE10hipError_tT0_T1_T2_jT3_P12ihipStream_tbPNSt15iterator_traitsISE_E10value_typeEPNSK_ISF_E10value_typeEPSG_NS1_7vsmem_tEENKUlT_SE_SF_SG_E_clIS8_S8_S9_S9_EESD_ST_SE_SF_SG_EUlST_E_NS1_11comp_targetILNS1_3genE2ELNS1_11target_archE906ELNS1_3gpuE6ELNS1_3repE0EEENS1_48merge_mergepath_partition_config_static_selectorELNS0_4arch9wavefront6targetE0EEEvSF_
; %bb.0:
	.section	.rodata,"a",@progbits
	.p2align	6, 0x0
	.amdhsa_kernel _ZN7rocprim17ROCPRIM_400000_NS6detail17trampoline_kernelINS0_14default_configENS1_38merge_sort_block_merge_config_selectorItNS0_10empty_typeEEEZZNS1_27merge_sort_block_merge_implIS3_PtPS5_jNS1_19radix_merge_compareILb1ELb0EtNS0_19identity_decomposerEEEEE10hipError_tT0_T1_T2_jT3_P12ihipStream_tbPNSt15iterator_traitsISE_E10value_typeEPNSK_ISF_E10value_typeEPSG_NS1_7vsmem_tEENKUlT_SE_SF_SG_E_clIS8_S8_S9_S9_EESD_ST_SE_SF_SG_EUlST_E_NS1_11comp_targetILNS1_3genE2ELNS1_11target_archE906ELNS1_3gpuE6ELNS1_3repE0EEENS1_48merge_mergepath_partition_config_static_selectorELNS0_4arch9wavefront6targetE0EEEvSF_
		.amdhsa_group_segment_fixed_size 0
		.amdhsa_private_segment_fixed_size 0
		.amdhsa_kernarg_size 40
		.amdhsa_user_sgpr_count 2
		.amdhsa_user_sgpr_dispatch_ptr 0
		.amdhsa_user_sgpr_queue_ptr 0
		.amdhsa_user_sgpr_kernarg_segment_ptr 1
		.amdhsa_user_sgpr_dispatch_id 0
		.amdhsa_user_sgpr_kernarg_preload_length 0
		.amdhsa_user_sgpr_kernarg_preload_offset 0
		.amdhsa_user_sgpr_private_segment_size 0
		.amdhsa_wavefront_size32 1
		.amdhsa_uses_dynamic_stack 0
		.amdhsa_enable_private_segment 0
		.amdhsa_system_sgpr_workgroup_id_x 1
		.amdhsa_system_sgpr_workgroup_id_y 0
		.amdhsa_system_sgpr_workgroup_id_z 0
		.amdhsa_system_sgpr_workgroup_info 0
		.amdhsa_system_vgpr_workitem_id 0
		.amdhsa_next_free_vgpr 1
		.amdhsa_next_free_sgpr 1
		.amdhsa_named_barrier_count 0
		.amdhsa_reserve_vcc 0
		.amdhsa_float_round_mode_32 0
		.amdhsa_float_round_mode_16_64 0
		.amdhsa_float_denorm_mode_32 3
		.amdhsa_float_denorm_mode_16_64 3
		.amdhsa_fp16_overflow 0
		.amdhsa_memory_ordered 1
		.amdhsa_forward_progress 1
		.amdhsa_inst_pref_size 0
		.amdhsa_round_robin_scheduling 0
		.amdhsa_exception_fp_ieee_invalid_op 0
		.amdhsa_exception_fp_denorm_src 0
		.amdhsa_exception_fp_ieee_div_zero 0
		.amdhsa_exception_fp_ieee_overflow 0
		.amdhsa_exception_fp_ieee_underflow 0
		.amdhsa_exception_fp_ieee_inexact 0
		.amdhsa_exception_int_div_zero 0
	.end_amdhsa_kernel
	.section	.text._ZN7rocprim17ROCPRIM_400000_NS6detail17trampoline_kernelINS0_14default_configENS1_38merge_sort_block_merge_config_selectorItNS0_10empty_typeEEEZZNS1_27merge_sort_block_merge_implIS3_PtPS5_jNS1_19radix_merge_compareILb1ELb0EtNS0_19identity_decomposerEEEEE10hipError_tT0_T1_T2_jT3_P12ihipStream_tbPNSt15iterator_traitsISE_E10value_typeEPNSK_ISF_E10value_typeEPSG_NS1_7vsmem_tEENKUlT_SE_SF_SG_E_clIS8_S8_S9_S9_EESD_ST_SE_SF_SG_EUlST_E_NS1_11comp_targetILNS1_3genE2ELNS1_11target_archE906ELNS1_3gpuE6ELNS1_3repE0EEENS1_48merge_mergepath_partition_config_static_selectorELNS0_4arch9wavefront6targetE0EEEvSF_,"axG",@progbits,_ZN7rocprim17ROCPRIM_400000_NS6detail17trampoline_kernelINS0_14default_configENS1_38merge_sort_block_merge_config_selectorItNS0_10empty_typeEEEZZNS1_27merge_sort_block_merge_implIS3_PtPS5_jNS1_19radix_merge_compareILb1ELb0EtNS0_19identity_decomposerEEEEE10hipError_tT0_T1_T2_jT3_P12ihipStream_tbPNSt15iterator_traitsISE_E10value_typeEPNSK_ISF_E10value_typeEPSG_NS1_7vsmem_tEENKUlT_SE_SF_SG_E_clIS8_S8_S9_S9_EESD_ST_SE_SF_SG_EUlST_E_NS1_11comp_targetILNS1_3genE2ELNS1_11target_archE906ELNS1_3gpuE6ELNS1_3repE0EEENS1_48merge_mergepath_partition_config_static_selectorELNS0_4arch9wavefront6targetE0EEEvSF_,comdat
.Lfunc_end2309:
	.size	_ZN7rocprim17ROCPRIM_400000_NS6detail17trampoline_kernelINS0_14default_configENS1_38merge_sort_block_merge_config_selectorItNS0_10empty_typeEEEZZNS1_27merge_sort_block_merge_implIS3_PtPS5_jNS1_19radix_merge_compareILb1ELb0EtNS0_19identity_decomposerEEEEE10hipError_tT0_T1_T2_jT3_P12ihipStream_tbPNSt15iterator_traitsISE_E10value_typeEPNSK_ISF_E10value_typeEPSG_NS1_7vsmem_tEENKUlT_SE_SF_SG_E_clIS8_S8_S9_S9_EESD_ST_SE_SF_SG_EUlST_E_NS1_11comp_targetILNS1_3genE2ELNS1_11target_archE906ELNS1_3gpuE6ELNS1_3repE0EEENS1_48merge_mergepath_partition_config_static_selectorELNS0_4arch9wavefront6targetE0EEEvSF_, .Lfunc_end2309-_ZN7rocprim17ROCPRIM_400000_NS6detail17trampoline_kernelINS0_14default_configENS1_38merge_sort_block_merge_config_selectorItNS0_10empty_typeEEEZZNS1_27merge_sort_block_merge_implIS3_PtPS5_jNS1_19radix_merge_compareILb1ELb0EtNS0_19identity_decomposerEEEEE10hipError_tT0_T1_T2_jT3_P12ihipStream_tbPNSt15iterator_traitsISE_E10value_typeEPNSK_ISF_E10value_typeEPSG_NS1_7vsmem_tEENKUlT_SE_SF_SG_E_clIS8_S8_S9_S9_EESD_ST_SE_SF_SG_EUlST_E_NS1_11comp_targetILNS1_3genE2ELNS1_11target_archE906ELNS1_3gpuE6ELNS1_3repE0EEENS1_48merge_mergepath_partition_config_static_selectorELNS0_4arch9wavefront6targetE0EEEvSF_
                                        ; -- End function
	.set _ZN7rocprim17ROCPRIM_400000_NS6detail17trampoline_kernelINS0_14default_configENS1_38merge_sort_block_merge_config_selectorItNS0_10empty_typeEEEZZNS1_27merge_sort_block_merge_implIS3_PtPS5_jNS1_19radix_merge_compareILb1ELb0EtNS0_19identity_decomposerEEEEE10hipError_tT0_T1_T2_jT3_P12ihipStream_tbPNSt15iterator_traitsISE_E10value_typeEPNSK_ISF_E10value_typeEPSG_NS1_7vsmem_tEENKUlT_SE_SF_SG_E_clIS8_S8_S9_S9_EESD_ST_SE_SF_SG_EUlST_E_NS1_11comp_targetILNS1_3genE2ELNS1_11target_archE906ELNS1_3gpuE6ELNS1_3repE0EEENS1_48merge_mergepath_partition_config_static_selectorELNS0_4arch9wavefront6targetE0EEEvSF_.num_vgpr, 0
	.set _ZN7rocprim17ROCPRIM_400000_NS6detail17trampoline_kernelINS0_14default_configENS1_38merge_sort_block_merge_config_selectorItNS0_10empty_typeEEEZZNS1_27merge_sort_block_merge_implIS3_PtPS5_jNS1_19radix_merge_compareILb1ELb0EtNS0_19identity_decomposerEEEEE10hipError_tT0_T1_T2_jT3_P12ihipStream_tbPNSt15iterator_traitsISE_E10value_typeEPNSK_ISF_E10value_typeEPSG_NS1_7vsmem_tEENKUlT_SE_SF_SG_E_clIS8_S8_S9_S9_EESD_ST_SE_SF_SG_EUlST_E_NS1_11comp_targetILNS1_3genE2ELNS1_11target_archE906ELNS1_3gpuE6ELNS1_3repE0EEENS1_48merge_mergepath_partition_config_static_selectorELNS0_4arch9wavefront6targetE0EEEvSF_.num_agpr, 0
	.set _ZN7rocprim17ROCPRIM_400000_NS6detail17trampoline_kernelINS0_14default_configENS1_38merge_sort_block_merge_config_selectorItNS0_10empty_typeEEEZZNS1_27merge_sort_block_merge_implIS3_PtPS5_jNS1_19radix_merge_compareILb1ELb0EtNS0_19identity_decomposerEEEEE10hipError_tT0_T1_T2_jT3_P12ihipStream_tbPNSt15iterator_traitsISE_E10value_typeEPNSK_ISF_E10value_typeEPSG_NS1_7vsmem_tEENKUlT_SE_SF_SG_E_clIS8_S8_S9_S9_EESD_ST_SE_SF_SG_EUlST_E_NS1_11comp_targetILNS1_3genE2ELNS1_11target_archE906ELNS1_3gpuE6ELNS1_3repE0EEENS1_48merge_mergepath_partition_config_static_selectorELNS0_4arch9wavefront6targetE0EEEvSF_.numbered_sgpr, 0
	.set _ZN7rocprim17ROCPRIM_400000_NS6detail17trampoline_kernelINS0_14default_configENS1_38merge_sort_block_merge_config_selectorItNS0_10empty_typeEEEZZNS1_27merge_sort_block_merge_implIS3_PtPS5_jNS1_19radix_merge_compareILb1ELb0EtNS0_19identity_decomposerEEEEE10hipError_tT0_T1_T2_jT3_P12ihipStream_tbPNSt15iterator_traitsISE_E10value_typeEPNSK_ISF_E10value_typeEPSG_NS1_7vsmem_tEENKUlT_SE_SF_SG_E_clIS8_S8_S9_S9_EESD_ST_SE_SF_SG_EUlST_E_NS1_11comp_targetILNS1_3genE2ELNS1_11target_archE906ELNS1_3gpuE6ELNS1_3repE0EEENS1_48merge_mergepath_partition_config_static_selectorELNS0_4arch9wavefront6targetE0EEEvSF_.num_named_barrier, 0
	.set _ZN7rocprim17ROCPRIM_400000_NS6detail17trampoline_kernelINS0_14default_configENS1_38merge_sort_block_merge_config_selectorItNS0_10empty_typeEEEZZNS1_27merge_sort_block_merge_implIS3_PtPS5_jNS1_19radix_merge_compareILb1ELb0EtNS0_19identity_decomposerEEEEE10hipError_tT0_T1_T2_jT3_P12ihipStream_tbPNSt15iterator_traitsISE_E10value_typeEPNSK_ISF_E10value_typeEPSG_NS1_7vsmem_tEENKUlT_SE_SF_SG_E_clIS8_S8_S9_S9_EESD_ST_SE_SF_SG_EUlST_E_NS1_11comp_targetILNS1_3genE2ELNS1_11target_archE906ELNS1_3gpuE6ELNS1_3repE0EEENS1_48merge_mergepath_partition_config_static_selectorELNS0_4arch9wavefront6targetE0EEEvSF_.private_seg_size, 0
	.set _ZN7rocprim17ROCPRIM_400000_NS6detail17trampoline_kernelINS0_14default_configENS1_38merge_sort_block_merge_config_selectorItNS0_10empty_typeEEEZZNS1_27merge_sort_block_merge_implIS3_PtPS5_jNS1_19radix_merge_compareILb1ELb0EtNS0_19identity_decomposerEEEEE10hipError_tT0_T1_T2_jT3_P12ihipStream_tbPNSt15iterator_traitsISE_E10value_typeEPNSK_ISF_E10value_typeEPSG_NS1_7vsmem_tEENKUlT_SE_SF_SG_E_clIS8_S8_S9_S9_EESD_ST_SE_SF_SG_EUlST_E_NS1_11comp_targetILNS1_3genE2ELNS1_11target_archE906ELNS1_3gpuE6ELNS1_3repE0EEENS1_48merge_mergepath_partition_config_static_selectorELNS0_4arch9wavefront6targetE0EEEvSF_.uses_vcc, 0
	.set _ZN7rocprim17ROCPRIM_400000_NS6detail17trampoline_kernelINS0_14default_configENS1_38merge_sort_block_merge_config_selectorItNS0_10empty_typeEEEZZNS1_27merge_sort_block_merge_implIS3_PtPS5_jNS1_19radix_merge_compareILb1ELb0EtNS0_19identity_decomposerEEEEE10hipError_tT0_T1_T2_jT3_P12ihipStream_tbPNSt15iterator_traitsISE_E10value_typeEPNSK_ISF_E10value_typeEPSG_NS1_7vsmem_tEENKUlT_SE_SF_SG_E_clIS8_S8_S9_S9_EESD_ST_SE_SF_SG_EUlST_E_NS1_11comp_targetILNS1_3genE2ELNS1_11target_archE906ELNS1_3gpuE6ELNS1_3repE0EEENS1_48merge_mergepath_partition_config_static_selectorELNS0_4arch9wavefront6targetE0EEEvSF_.uses_flat_scratch, 0
	.set _ZN7rocprim17ROCPRIM_400000_NS6detail17trampoline_kernelINS0_14default_configENS1_38merge_sort_block_merge_config_selectorItNS0_10empty_typeEEEZZNS1_27merge_sort_block_merge_implIS3_PtPS5_jNS1_19radix_merge_compareILb1ELb0EtNS0_19identity_decomposerEEEEE10hipError_tT0_T1_T2_jT3_P12ihipStream_tbPNSt15iterator_traitsISE_E10value_typeEPNSK_ISF_E10value_typeEPSG_NS1_7vsmem_tEENKUlT_SE_SF_SG_E_clIS8_S8_S9_S9_EESD_ST_SE_SF_SG_EUlST_E_NS1_11comp_targetILNS1_3genE2ELNS1_11target_archE906ELNS1_3gpuE6ELNS1_3repE0EEENS1_48merge_mergepath_partition_config_static_selectorELNS0_4arch9wavefront6targetE0EEEvSF_.has_dyn_sized_stack, 0
	.set _ZN7rocprim17ROCPRIM_400000_NS6detail17trampoline_kernelINS0_14default_configENS1_38merge_sort_block_merge_config_selectorItNS0_10empty_typeEEEZZNS1_27merge_sort_block_merge_implIS3_PtPS5_jNS1_19radix_merge_compareILb1ELb0EtNS0_19identity_decomposerEEEEE10hipError_tT0_T1_T2_jT3_P12ihipStream_tbPNSt15iterator_traitsISE_E10value_typeEPNSK_ISF_E10value_typeEPSG_NS1_7vsmem_tEENKUlT_SE_SF_SG_E_clIS8_S8_S9_S9_EESD_ST_SE_SF_SG_EUlST_E_NS1_11comp_targetILNS1_3genE2ELNS1_11target_archE906ELNS1_3gpuE6ELNS1_3repE0EEENS1_48merge_mergepath_partition_config_static_selectorELNS0_4arch9wavefront6targetE0EEEvSF_.has_recursion, 0
	.set _ZN7rocprim17ROCPRIM_400000_NS6detail17trampoline_kernelINS0_14default_configENS1_38merge_sort_block_merge_config_selectorItNS0_10empty_typeEEEZZNS1_27merge_sort_block_merge_implIS3_PtPS5_jNS1_19radix_merge_compareILb1ELb0EtNS0_19identity_decomposerEEEEE10hipError_tT0_T1_T2_jT3_P12ihipStream_tbPNSt15iterator_traitsISE_E10value_typeEPNSK_ISF_E10value_typeEPSG_NS1_7vsmem_tEENKUlT_SE_SF_SG_E_clIS8_S8_S9_S9_EESD_ST_SE_SF_SG_EUlST_E_NS1_11comp_targetILNS1_3genE2ELNS1_11target_archE906ELNS1_3gpuE6ELNS1_3repE0EEENS1_48merge_mergepath_partition_config_static_selectorELNS0_4arch9wavefront6targetE0EEEvSF_.has_indirect_call, 0
	.section	.AMDGPU.csdata,"",@progbits
; Kernel info:
; codeLenInByte = 0
; TotalNumSgprs: 0
; NumVgprs: 0
; ScratchSize: 0
; MemoryBound: 0
; FloatMode: 240
; IeeeMode: 1
; LDSByteSize: 0 bytes/workgroup (compile time only)
; SGPRBlocks: 0
; VGPRBlocks: 0
; NumSGPRsForWavesPerEU: 1
; NumVGPRsForWavesPerEU: 1
; NamedBarCnt: 0
; Occupancy: 16
; WaveLimiterHint : 0
; COMPUTE_PGM_RSRC2:SCRATCH_EN: 0
; COMPUTE_PGM_RSRC2:USER_SGPR: 2
; COMPUTE_PGM_RSRC2:TRAP_HANDLER: 0
; COMPUTE_PGM_RSRC2:TGID_X_EN: 1
; COMPUTE_PGM_RSRC2:TGID_Y_EN: 0
; COMPUTE_PGM_RSRC2:TGID_Z_EN: 0
; COMPUTE_PGM_RSRC2:TIDIG_COMP_CNT: 0
	.section	.text._ZN7rocprim17ROCPRIM_400000_NS6detail17trampoline_kernelINS0_14default_configENS1_38merge_sort_block_merge_config_selectorItNS0_10empty_typeEEEZZNS1_27merge_sort_block_merge_implIS3_PtPS5_jNS1_19radix_merge_compareILb1ELb0EtNS0_19identity_decomposerEEEEE10hipError_tT0_T1_T2_jT3_P12ihipStream_tbPNSt15iterator_traitsISE_E10value_typeEPNSK_ISF_E10value_typeEPSG_NS1_7vsmem_tEENKUlT_SE_SF_SG_E_clIS8_S8_S9_S9_EESD_ST_SE_SF_SG_EUlST_E_NS1_11comp_targetILNS1_3genE9ELNS1_11target_archE1100ELNS1_3gpuE3ELNS1_3repE0EEENS1_48merge_mergepath_partition_config_static_selectorELNS0_4arch9wavefront6targetE0EEEvSF_,"axG",@progbits,_ZN7rocprim17ROCPRIM_400000_NS6detail17trampoline_kernelINS0_14default_configENS1_38merge_sort_block_merge_config_selectorItNS0_10empty_typeEEEZZNS1_27merge_sort_block_merge_implIS3_PtPS5_jNS1_19radix_merge_compareILb1ELb0EtNS0_19identity_decomposerEEEEE10hipError_tT0_T1_T2_jT3_P12ihipStream_tbPNSt15iterator_traitsISE_E10value_typeEPNSK_ISF_E10value_typeEPSG_NS1_7vsmem_tEENKUlT_SE_SF_SG_E_clIS8_S8_S9_S9_EESD_ST_SE_SF_SG_EUlST_E_NS1_11comp_targetILNS1_3genE9ELNS1_11target_archE1100ELNS1_3gpuE3ELNS1_3repE0EEENS1_48merge_mergepath_partition_config_static_selectorELNS0_4arch9wavefront6targetE0EEEvSF_,comdat
	.protected	_ZN7rocprim17ROCPRIM_400000_NS6detail17trampoline_kernelINS0_14default_configENS1_38merge_sort_block_merge_config_selectorItNS0_10empty_typeEEEZZNS1_27merge_sort_block_merge_implIS3_PtPS5_jNS1_19radix_merge_compareILb1ELb0EtNS0_19identity_decomposerEEEEE10hipError_tT0_T1_T2_jT3_P12ihipStream_tbPNSt15iterator_traitsISE_E10value_typeEPNSK_ISF_E10value_typeEPSG_NS1_7vsmem_tEENKUlT_SE_SF_SG_E_clIS8_S8_S9_S9_EESD_ST_SE_SF_SG_EUlST_E_NS1_11comp_targetILNS1_3genE9ELNS1_11target_archE1100ELNS1_3gpuE3ELNS1_3repE0EEENS1_48merge_mergepath_partition_config_static_selectorELNS0_4arch9wavefront6targetE0EEEvSF_ ; -- Begin function _ZN7rocprim17ROCPRIM_400000_NS6detail17trampoline_kernelINS0_14default_configENS1_38merge_sort_block_merge_config_selectorItNS0_10empty_typeEEEZZNS1_27merge_sort_block_merge_implIS3_PtPS5_jNS1_19radix_merge_compareILb1ELb0EtNS0_19identity_decomposerEEEEE10hipError_tT0_T1_T2_jT3_P12ihipStream_tbPNSt15iterator_traitsISE_E10value_typeEPNSK_ISF_E10value_typeEPSG_NS1_7vsmem_tEENKUlT_SE_SF_SG_E_clIS8_S8_S9_S9_EESD_ST_SE_SF_SG_EUlST_E_NS1_11comp_targetILNS1_3genE9ELNS1_11target_archE1100ELNS1_3gpuE3ELNS1_3repE0EEENS1_48merge_mergepath_partition_config_static_selectorELNS0_4arch9wavefront6targetE0EEEvSF_
	.globl	_ZN7rocprim17ROCPRIM_400000_NS6detail17trampoline_kernelINS0_14default_configENS1_38merge_sort_block_merge_config_selectorItNS0_10empty_typeEEEZZNS1_27merge_sort_block_merge_implIS3_PtPS5_jNS1_19radix_merge_compareILb1ELb0EtNS0_19identity_decomposerEEEEE10hipError_tT0_T1_T2_jT3_P12ihipStream_tbPNSt15iterator_traitsISE_E10value_typeEPNSK_ISF_E10value_typeEPSG_NS1_7vsmem_tEENKUlT_SE_SF_SG_E_clIS8_S8_S9_S9_EESD_ST_SE_SF_SG_EUlST_E_NS1_11comp_targetILNS1_3genE9ELNS1_11target_archE1100ELNS1_3gpuE3ELNS1_3repE0EEENS1_48merge_mergepath_partition_config_static_selectorELNS0_4arch9wavefront6targetE0EEEvSF_
	.p2align	8
	.type	_ZN7rocprim17ROCPRIM_400000_NS6detail17trampoline_kernelINS0_14default_configENS1_38merge_sort_block_merge_config_selectorItNS0_10empty_typeEEEZZNS1_27merge_sort_block_merge_implIS3_PtPS5_jNS1_19radix_merge_compareILb1ELb0EtNS0_19identity_decomposerEEEEE10hipError_tT0_T1_T2_jT3_P12ihipStream_tbPNSt15iterator_traitsISE_E10value_typeEPNSK_ISF_E10value_typeEPSG_NS1_7vsmem_tEENKUlT_SE_SF_SG_E_clIS8_S8_S9_S9_EESD_ST_SE_SF_SG_EUlST_E_NS1_11comp_targetILNS1_3genE9ELNS1_11target_archE1100ELNS1_3gpuE3ELNS1_3repE0EEENS1_48merge_mergepath_partition_config_static_selectorELNS0_4arch9wavefront6targetE0EEEvSF_,@function
_ZN7rocprim17ROCPRIM_400000_NS6detail17trampoline_kernelINS0_14default_configENS1_38merge_sort_block_merge_config_selectorItNS0_10empty_typeEEEZZNS1_27merge_sort_block_merge_implIS3_PtPS5_jNS1_19radix_merge_compareILb1ELb0EtNS0_19identity_decomposerEEEEE10hipError_tT0_T1_T2_jT3_P12ihipStream_tbPNSt15iterator_traitsISE_E10value_typeEPNSK_ISF_E10value_typeEPSG_NS1_7vsmem_tEENKUlT_SE_SF_SG_E_clIS8_S8_S9_S9_EESD_ST_SE_SF_SG_EUlST_E_NS1_11comp_targetILNS1_3genE9ELNS1_11target_archE1100ELNS1_3gpuE3ELNS1_3repE0EEENS1_48merge_mergepath_partition_config_static_selectorELNS0_4arch9wavefront6targetE0EEEvSF_: ; @_ZN7rocprim17ROCPRIM_400000_NS6detail17trampoline_kernelINS0_14default_configENS1_38merge_sort_block_merge_config_selectorItNS0_10empty_typeEEEZZNS1_27merge_sort_block_merge_implIS3_PtPS5_jNS1_19radix_merge_compareILb1ELb0EtNS0_19identity_decomposerEEEEE10hipError_tT0_T1_T2_jT3_P12ihipStream_tbPNSt15iterator_traitsISE_E10value_typeEPNSK_ISF_E10value_typeEPSG_NS1_7vsmem_tEENKUlT_SE_SF_SG_E_clIS8_S8_S9_S9_EESD_ST_SE_SF_SG_EUlST_E_NS1_11comp_targetILNS1_3genE9ELNS1_11target_archE1100ELNS1_3gpuE3ELNS1_3repE0EEENS1_48merge_mergepath_partition_config_static_selectorELNS0_4arch9wavefront6targetE0EEEvSF_
; %bb.0:
	.section	.rodata,"a",@progbits
	.p2align	6, 0x0
	.amdhsa_kernel _ZN7rocprim17ROCPRIM_400000_NS6detail17trampoline_kernelINS0_14default_configENS1_38merge_sort_block_merge_config_selectorItNS0_10empty_typeEEEZZNS1_27merge_sort_block_merge_implIS3_PtPS5_jNS1_19radix_merge_compareILb1ELb0EtNS0_19identity_decomposerEEEEE10hipError_tT0_T1_T2_jT3_P12ihipStream_tbPNSt15iterator_traitsISE_E10value_typeEPNSK_ISF_E10value_typeEPSG_NS1_7vsmem_tEENKUlT_SE_SF_SG_E_clIS8_S8_S9_S9_EESD_ST_SE_SF_SG_EUlST_E_NS1_11comp_targetILNS1_3genE9ELNS1_11target_archE1100ELNS1_3gpuE3ELNS1_3repE0EEENS1_48merge_mergepath_partition_config_static_selectorELNS0_4arch9wavefront6targetE0EEEvSF_
		.amdhsa_group_segment_fixed_size 0
		.amdhsa_private_segment_fixed_size 0
		.amdhsa_kernarg_size 40
		.amdhsa_user_sgpr_count 2
		.amdhsa_user_sgpr_dispatch_ptr 0
		.amdhsa_user_sgpr_queue_ptr 0
		.amdhsa_user_sgpr_kernarg_segment_ptr 1
		.amdhsa_user_sgpr_dispatch_id 0
		.amdhsa_user_sgpr_kernarg_preload_length 0
		.amdhsa_user_sgpr_kernarg_preload_offset 0
		.amdhsa_user_sgpr_private_segment_size 0
		.amdhsa_wavefront_size32 1
		.amdhsa_uses_dynamic_stack 0
		.amdhsa_enable_private_segment 0
		.amdhsa_system_sgpr_workgroup_id_x 1
		.amdhsa_system_sgpr_workgroup_id_y 0
		.amdhsa_system_sgpr_workgroup_id_z 0
		.amdhsa_system_sgpr_workgroup_info 0
		.amdhsa_system_vgpr_workitem_id 0
		.amdhsa_next_free_vgpr 1
		.amdhsa_next_free_sgpr 1
		.amdhsa_named_barrier_count 0
		.amdhsa_reserve_vcc 0
		.amdhsa_float_round_mode_32 0
		.amdhsa_float_round_mode_16_64 0
		.amdhsa_float_denorm_mode_32 3
		.amdhsa_float_denorm_mode_16_64 3
		.amdhsa_fp16_overflow 0
		.amdhsa_memory_ordered 1
		.amdhsa_forward_progress 1
		.amdhsa_inst_pref_size 0
		.amdhsa_round_robin_scheduling 0
		.amdhsa_exception_fp_ieee_invalid_op 0
		.amdhsa_exception_fp_denorm_src 0
		.amdhsa_exception_fp_ieee_div_zero 0
		.amdhsa_exception_fp_ieee_overflow 0
		.amdhsa_exception_fp_ieee_underflow 0
		.amdhsa_exception_fp_ieee_inexact 0
		.amdhsa_exception_int_div_zero 0
	.end_amdhsa_kernel
	.section	.text._ZN7rocprim17ROCPRIM_400000_NS6detail17trampoline_kernelINS0_14default_configENS1_38merge_sort_block_merge_config_selectorItNS0_10empty_typeEEEZZNS1_27merge_sort_block_merge_implIS3_PtPS5_jNS1_19radix_merge_compareILb1ELb0EtNS0_19identity_decomposerEEEEE10hipError_tT0_T1_T2_jT3_P12ihipStream_tbPNSt15iterator_traitsISE_E10value_typeEPNSK_ISF_E10value_typeEPSG_NS1_7vsmem_tEENKUlT_SE_SF_SG_E_clIS8_S8_S9_S9_EESD_ST_SE_SF_SG_EUlST_E_NS1_11comp_targetILNS1_3genE9ELNS1_11target_archE1100ELNS1_3gpuE3ELNS1_3repE0EEENS1_48merge_mergepath_partition_config_static_selectorELNS0_4arch9wavefront6targetE0EEEvSF_,"axG",@progbits,_ZN7rocprim17ROCPRIM_400000_NS6detail17trampoline_kernelINS0_14default_configENS1_38merge_sort_block_merge_config_selectorItNS0_10empty_typeEEEZZNS1_27merge_sort_block_merge_implIS3_PtPS5_jNS1_19radix_merge_compareILb1ELb0EtNS0_19identity_decomposerEEEEE10hipError_tT0_T1_T2_jT3_P12ihipStream_tbPNSt15iterator_traitsISE_E10value_typeEPNSK_ISF_E10value_typeEPSG_NS1_7vsmem_tEENKUlT_SE_SF_SG_E_clIS8_S8_S9_S9_EESD_ST_SE_SF_SG_EUlST_E_NS1_11comp_targetILNS1_3genE9ELNS1_11target_archE1100ELNS1_3gpuE3ELNS1_3repE0EEENS1_48merge_mergepath_partition_config_static_selectorELNS0_4arch9wavefront6targetE0EEEvSF_,comdat
.Lfunc_end2310:
	.size	_ZN7rocprim17ROCPRIM_400000_NS6detail17trampoline_kernelINS0_14default_configENS1_38merge_sort_block_merge_config_selectorItNS0_10empty_typeEEEZZNS1_27merge_sort_block_merge_implIS3_PtPS5_jNS1_19radix_merge_compareILb1ELb0EtNS0_19identity_decomposerEEEEE10hipError_tT0_T1_T2_jT3_P12ihipStream_tbPNSt15iterator_traitsISE_E10value_typeEPNSK_ISF_E10value_typeEPSG_NS1_7vsmem_tEENKUlT_SE_SF_SG_E_clIS8_S8_S9_S9_EESD_ST_SE_SF_SG_EUlST_E_NS1_11comp_targetILNS1_3genE9ELNS1_11target_archE1100ELNS1_3gpuE3ELNS1_3repE0EEENS1_48merge_mergepath_partition_config_static_selectorELNS0_4arch9wavefront6targetE0EEEvSF_, .Lfunc_end2310-_ZN7rocprim17ROCPRIM_400000_NS6detail17trampoline_kernelINS0_14default_configENS1_38merge_sort_block_merge_config_selectorItNS0_10empty_typeEEEZZNS1_27merge_sort_block_merge_implIS3_PtPS5_jNS1_19radix_merge_compareILb1ELb0EtNS0_19identity_decomposerEEEEE10hipError_tT0_T1_T2_jT3_P12ihipStream_tbPNSt15iterator_traitsISE_E10value_typeEPNSK_ISF_E10value_typeEPSG_NS1_7vsmem_tEENKUlT_SE_SF_SG_E_clIS8_S8_S9_S9_EESD_ST_SE_SF_SG_EUlST_E_NS1_11comp_targetILNS1_3genE9ELNS1_11target_archE1100ELNS1_3gpuE3ELNS1_3repE0EEENS1_48merge_mergepath_partition_config_static_selectorELNS0_4arch9wavefront6targetE0EEEvSF_
                                        ; -- End function
	.set _ZN7rocprim17ROCPRIM_400000_NS6detail17trampoline_kernelINS0_14default_configENS1_38merge_sort_block_merge_config_selectorItNS0_10empty_typeEEEZZNS1_27merge_sort_block_merge_implIS3_PtPS5_jNS1_19radix_merge_compareILb1ELb0EtNS0_19identity_decomposerEEEEE10hipError_tT0_T1_T2_jT3_P12ihipStream_tbPNSt15iterator_traitsISE_E10value_typeEPNSK_ISF_E10value_typeEPSG_NS1_7vsmem_tEENKUlT_SE_SF_SG_E_clIS8_S8_S9_S9_EESD_ST_SE_SF_SG_EUlST_E_NS1_11comp_targetILNS1_3genE9ELNS1_11target_archE1100ELNS1_3gpuE3ELNS1_3repE0EEENS1_48merge_mergepath_partition_config_static_selectorELNS0_4arch9wavefront6targetE0EEEvSF_.num_vgpr, 0
	.set _ZN7rocprim17ROCPRIM_400000_NS6detail17trampoline_kernelINS0_14default_configENS1_38merge_sort_block_merge_config_selectorItNS0_10empty_typeEEEZZNS1_27merge_sort_block_merge_implIS3_PtPS5_jNS1_19radix_merge_compareILb1ELb0EtNS0_19identity_decomposerEEEEE10hipError_tT0_T1_T2_jT3_P12ihipStream_tbPNSt15iterator_traitsISE_E10value_typeEPNSK_ISF_E10value_typeEPSG_NS1_7vsmem_tEENKUlT_SE_SF_SG_E_clIS8_S8_S9_S9_EESD_ST_SE_SF_SG_EUlST_E_NS1_11comp_targetILNS1_3genE9ELNS1_11target_archE1100ELNS1_3gpuE3ELNS1_3repE0EEENS1_48merge_mergepath_partition_config_static_selectorELNS0_4arch9wavefront6targetE0EEEvSF_.num_agpr, 0
	.set _ZN7rocprim17ROCPRIM_400000_NS6detail17trampoline_kernelINS0_14default_configENS1_38merge_sort_block_merge_config_selectorItNS0_10empty_typeEEEZZNS1_27merge_sort_block_merge_implIS3_PtPS5_jNS1_19radix_merge_compareILb1ELb0EtNS0_19identity_decomposerEEEEE10hipError_tT0_T1_T2_jT3_P12ihipStream_tbPNSt15iterator_traitsISE_E10value_typeEPNSK_ISF_E10value_typeEPSG_NS1_7vsmem_tEENKUlT_SE_SF_SG_E_clIS8_S8_S9_S9_EESD_ST_SE_SF_SG_EUlST_E_NS1_11comp_targetILNS1_3genE9ELNS1_11target_archE1100ELNS1_3gpuE3ELNS1_3repE0EEENS1_48merge_mergepath_partition_config_static_selectorELNS0_4arch9wavefront6targetE0EEEvSF_.numbered_sgpr, 0
	.set _ZN7rocprim17ROCPRIM_400000_NS6detail17trampoline_kernelINS0_14default_configENS1_38merge_sort_block_merge_config_selectorItNS0_10empty_typeEEEZZNS1_27merge_sort_block_merge_implIS3_PtPS5_jNS1_19radix_merge_compareILb1ELb0EtNS0_19identity_decomposerEEEEE10hipError_tT0_T1_T2_jT3_P12ihipStream_tbPNSt15iterator_traitsISE_E10value_typeEPNSK_ISF_E10value_typeEPSG_NS1_7vsmem_tEENKUlT_SE_SF_SG_E_clIS8_S8_S9_S9_EESD_ST_SE_SF_SG_EUlST_E_NS1_11comp_targetILNS1_3genE9ELNS1_11target_archE1100ELNS1_3gpuE3ELNS1_3repE0EEENS1_48merge_mergepath_partition_config_static_selectorELNS0_4arch9wavefront6targetE0EEEvSF_.num_named_barrier, 0
	.set _ZN7rocprim17ROCPRIM_400000_NS6detail17trampoline_kernelINS0_14default_configENS1_38merge_sort_block_merge_config_selectorItNS0_10empty_typeEEEZZNS1_27merge_sort_block_merge_implIS3_PtPS5_jNS1_19radix_merge_compareILb1ELb0EtNS0_19identity_decomposerEEEEE10hipError_tT0_T1_T2_jT3_P12ihipStream_tbPNSt15iterator_traitsISE_E10value_typeEPNSK_ISF_E10value_typeEPSG_NS1_7vsmem_tEENKUlT_SE_SF_SG_E_clIS8_S8_S9_S9_EESD_ST_SE_SF_SG_EUlST_E_NS1_11comp_targetILNS1_3genE9ELNS1_11target_archE1100ELNS1_3gpuE3ELNS1_3repE0EEENS1_48merge_mergepath_partition_config_static_selectorELNS0_4arch9wavefront6targetE0EEEvSF_.private_seg_size, 0
	.set _ZN7rocprim17ROCPRIM_400000_NS6detail17trampoline_kernelINS0_14default_configENS1_38merge_sort_block_merge_config_selectorItNS0_10empty_typeEEEZZNS1_27merge_sort_block_merge_implIS3_PtPS5_jNS1_19radix_merge_compareILb1ELb0EtNS0_19identity_decomposerEEEEE10hipError_tT0_T1_T2_jT3_P12ihipStream_tbPNSt15iterator_traitsISE_E10value_typeEPNSK_ISF_E10value_typeEPSG_NS1_7vsmem_tEENKUlT_SE_SF_SG_E_clIS8_S8_S9_S9_EESD_ST_SE_SF_SG_EUlST_E_NS1_11comp_targetILNS1_3genE9ELNS1_11target_archE1100ELNS1_3gpuE3ELNS1_3repE0EEENS1_48merge_mergepath_partition_config_static_selectorELNS0_4arch9wavefront6targetE0EEEvSF_.uses_vcc, 0
	.set _ZN7rocprim17ROCPRIM_400000_NS6detail17trampoline_kernelINS0_14default_configENS1_38merge_sort_block_merge_config_selectorItNS0_10empty_typeEEEZZNS1_27merge_sort_block_merge_implIS3_PtPS5_jNS1_19radix_merge_compareILb1ELb0EtNS0_19identity_decomposerEEEEE10hipError_tT0_T1_T2_jT3_P12ihipStream_tbPNSt15iterator_traitsISE_E10value_typeEPNSK_ISF_E10value_typeEPSG_NS1_7vsmem_tEENKUlT_SE_SF_SG_E_clIS8_S8_S9_S9_EESD_ST_SE_SF_SG_EUlST_E_NS1_11comp_targetILNS1_3genE9ELNS1_11target_archE1100ELNS1_3gpuE3ELNS1_3repE0EEENS1_48merge_mergepath_partition_config_static_selectorELNS0_4arch9wavefront6targetE0EEEvSF_.uses_flat_scratch, 0
	.set _ZN7rocprim17ROCPRIM_400000_NS6detail17trampoline_kernelINS0_14default_configENS1_38merge_sort_block_merge_config_selectorItNS0_10empty_typeEEEZZNS1_27merge_sort_block_merge_implIS3_PtPS5_jNS1_19radix_merge_compareILb1ELb0EtNS0_19identity_decomposerEEEEE10hipError_tT0_T1_T2_jT3_P12ihipStream_tbPNSt15iterator_traitsISE_E10value_typeEPNSK_ISF_E10value_typeEPSG_NS1_7vsmem_tEENKUlT_SE_SF_SG_E_clIS8_S8_S9_S9_EESD_ST_SE_SF_SG_EUlST_E_NS1_11comp_targetILNS1_3genE9ELNS1_11target_archE1100ELNS1_3gpuE3ELNS1_3repE0EEENS1_48merge_mergepath_partition_config_static_selectorELNS0_4arch9wavefront6targetE0EEEvSF_.has_dyn_sized_stack, 0
	.set _ZN7rocprim17ROCPRIM_400000_NS6detail17trampoline_kernelINS0_14default_configENS1_38merge_sort_block_merge_config_selectorItNS0_10empty_typeEEEZZNS1_27merge_sort_block_merge_implIS3_PtPS5_jNS1_19radix_merge_compareILb1ELb0EtNS0_19identity_decomposerEEEEE10hipError_tT0_T1_T2_jT3_P12ihipStream_tbPNSt15iterator_traitsISE_E10value_typeEPNSK_ISF_E10value_typeEPSG_NS1_7vsmem_tEENKUlT_SE_SF_SG_E_clIS8_S8_S9_S9_EESD_ST_SE_SF_SG_EUlST_E_NS1_11comp_targetILNS1_3genE9ELNS1_11target_archE1100ELNS1_3gpuE3ELNS1_3repE0EEENS1_48merge_mergepath_partition_config_static_selectorELNS0_4arch9wavefront6targetE0EEEvSF_.has_recursion, 0
	.set _ZN7rocprim17ROCPRIM_400000_NS6detail17trampoline_kernelINS0_14default_configENS1_38merge_sort_block_merge_config_selectorItNS0_10empty_typeEEEZZNS1_27merge_sort_block_merge_implIS3_PtPS5_jNS1_19radix_merge_compareILb1ELb0EtNS0_19identity_decomposerEEEEE10hipError_tT0_T1_T2_jT3_P12ihipStream_tbPNSt15iterator_traitsISE_E10value_typeEPNSK_ISF_E10value_typeEPSG_NS1_7vsmem_tEENKUlT_SE_SF_SG_E_clIS8_S8_S9_S9_EESD_ST_SE_SF_SG_EUlST_E_NS1_11comp_targetILNS1_3genE9ELNS1_11target_archE1100ELNS1_3gpuE3ELNS1_3repE0EEENS1_48merge_mergepath_partition_config_static_selectorELNS0_4arch9wavefront6targetE0EEEvSF_.has_indirect_call, 0
	.section	.AMDGPU.csdata,"",@progbits
; Kernel info:
; codeLenInByte = 0
; TotalNumSgprs: 0
; NumVgprs: 0
; ScratchSize: 0
; MemoryBound: 0
; FloatMode: 240
; IeeeMode: 1
; LDSByteSize: 0 bytes/workgroup (compile time only)
; SGPRBlocks: 0
; VGPRBlocks: 0
; NumSGPRsForWavesPerEU: 1
; NumVGPRsForWavesPerEU: 1
; NamedBarCnt: 0
; Occupancy: 16
; WaveLimiterHint : 0
; COMPUTE_PGM_RSRC2:SCRATCH_EN: 0
; COMPUTE_PGM_RSRC2:USER_SGPR: 2
; COMPUTE_PGM_RSRC2:TRAP_HANDLER: 0
; COMPUTE_PGM_RSRC2:TGID_X_EN: 1
; COMPUTE_PGM_RSRC2:TGID_Y_EN: 0
; COMPUTE_PGM_RSRC2:TGID_Z_EN: 0
; COMPUTE_PGM_RSRC2:TIDIG_COMP_CNT: 0
	.section	.text._ZN7rocprim17ROCPRIM_400000_NS6detail17trampoline_kernelINS0_14default_configENS1_38merge_sort_block_merge_config_selectorItNS0_10empty_typeEEEZZNS1_27merge_sort_block_merge_implIS3_PtPS5_jNS1_19radix_merge_compareILb1ELb0EtNS0_19identity_decomposerEEEEE10hipError_tT0_T1_T2_jT3_P12ihipStream_tbPNSt15iterator_traitsISE_E10value_typeEPNSK_ISF_E10value_typeEPSG_NS1_7vsmem_tEENKUlT_SE_SF_SG_E_clIS8_S8_S9_S9_EESD_ST_SE_SF_SG_EUlST_E_NS1_11comp_targetILNS1_3genE8ELNS1_11target_archE1030ELNS1_3gpuE2ELNS1_3repE0EEENS1_48merge_mergepath_partition_config_static_selectorELNS0_4arch9wavefront6targetE0EEEvSF_,"axG",@progbits,_ZN7rocprim17ROCPRIM_400000_NS6detail17trampoline_kernelINS0_14default_configENS1_38merge_sort_block_merge_config_selectorItNS0_10empty_typeEEEZZNS1_27merge_sort_block_merge_implIS3_PtPS5_jNS1_19radix_merge_compareILb1ELb0EtNS0_19identity_decomposerEEEEE10hipError_tT0_T1_T2_jT3_P12ihipStream_tbPNSt15iterator_traitsISE_E10value_typeEPNSK_ISF_E10value_typeEPSG_NS1_7vsmem_tEENKUlT_SE_SF_SG_E_clIS8_S8_S9_S9_EESD_ST_SE_SF_SG_EUlST_E_NS1_11comp_targetILNS1_3genE8ELNS1_11target_archE1030ELNS1_3gpuE2ELNS1_3repE0EEENS1_48merge_mergepath_partition_config_static_selectorELNS0_4arch9wavefront6targetE0EEEvSF_,comdat
	.protected	_ZN7rocprim17ROCPRIM_400000_NS6detail17trampoline_kernelINS0_14default_configENS1_38merge_sort_block_merge_config_selectorItNS0_10empty_typeEEEZZNS1_27merge_sort_block_merge_implIS3_PtPS5_jNS1_19radix_merge_compareILb1ELb0EtNS0_19identity_decomposerEEEEE10hipError_tT0_T1_T2_jT3_P12ihipStream_tbPNSt15iterator_traitsISE_E10value_typeEPNSK_ISF_E10value_typeEPSG_NS1_7vsmem_tEENKUlT_SE_SF_SG_E_clIS8_S8_S9_S9_EESD_ST_SE_SF_SG_EUlST_E_NS1_11comp_targetILNS1_3genE8ELNS1_11target_archE1030ELNS1_3gpuE2ELNS1_3repE0EEENS1_48merge_mergepath_partition_config_static_selectorELNS0_4arch9wavefront6targetE0EEEvSF_ ; -- Begin function _ZN7rocprim17ROCPRIM_400000_NS6detail17trampoline_kernelINS0_14default_configENS1_38merge_sort_block_merge_config_selectorItNS0_10empty_typeEEEZZNS1_27merge_sort_block_merge_implIS3_PtPS5_jNS1_19radix_merge_compareILb1ELb0EtNS0_19identity_decomposerEEEEE10hipError_tT0_T1_T2_jT3_P12ihipStream_tbPNSt15iterator_traitsISE_E10value_typeEPNSK_ISF_E10value_typeEPSG_NS1_7vsmem_tEENKUlT_SE_SF_SG_E_clIS8_S8_S9_S9_EESD_ST_SE_SF_SG_EUlST_E_NS1_11comp_targetILNS1_3genE8ELNS1_11target_archE1030ELNS1_3gpuE2ELNS1_3repE0EEENS1_48merge_mergepath_partition_config_static_selectorELNS0_4arch9wavefront6targetE0EEEvSF_
	.globl	_ZN7rocprim17ROCPRIM_400000_NS6detail17trampoline_kernelINS0_14default_configENS1_38merge_sort_block_merge_config_selectorItNS0_10empty_typeEEEZZNS1_27merge_sort_block_merge_implIS3_PtPS5_jNS1_19radix_merge_compareILb1ELb0EtNS0_19identity_decomposerEEEEE10hipError_tT0_T1_T2_jT3_P12ihipStream_tbPNSt15iterator_traitsISE_E10value_typeEPNSK_ISF_E10value_typeEPSG_NS1_7vsmem_tEENKUlT_SE_SF_SG_E_clIS8_S8_S9_S9_EESD_ST_SE_SF_SG_EUlST_E_NS1_11comp_targetILNS1_3genE8ELNS1_11target_archE1030ELNS1_3gpuE2ELNS1_3repE0EEENS1_48merge_mergepath_partition_config_static_selectorELNS0_4arch9wavefront6targetE0EEEvSF_
	.p2align	8
	.type	_ZN7rocprim17ROCPRIM_400000_NS6detail17trampoline_kernelINS0_14default_configENS1_38merge_sort_block_merge_config_selectorItNS0_10empty_typeEEEZZNS1_27merge_sort_block_merge_implIS3_PtPS5_jNS1_19radix_merge_compareILb1ELb0EtNS0_19identity_decomposerEEEEE10hipError_tT0_T1_T2_jT3_P12ihipStream_tbPNSt15iterator_traitsISE_E10value_typeEPNSK_ISF_E10value_typeEPSG_NS1_7vsmem_tEENKUlT_SE_SF_SG_E_clIS8_S8_S9_S9_EESD_ST_SE_SF_SG_EUlST_E_NS1_11comp_targetILNS1_3genE8ELNS1_11target_archE1030ELNS1_3gpuE2ELNS1_3repE0EEENS1_48merge_mergepath_partition_config_static_selectorELNS0_4arch9wavefront6targetE0EEEvSF_,@function
_ZN7rocprim17ROCPRIM_400000_NS6detail17trampoline_kernelINS0_14default_configENS1_38merge_sort_block_merge_config_selectorItNS0_10empty_typeEEEZZNS1_27merge_sort_block_merge_implIS3_PtPS5_jNS1_19radix_merge_compareILb1ELb0EtNS0_19identity_decomposerEEEEE10hipError_tT0_T1_T2_jT3_P12ihipStream_tbPNSt15iterator_traitsISE_E10value_typeEPNSK_ISF_E10value_typeEPSG_NS1_7vsmem_tEENKUlT_SE_SF_SG_E_clIS8_S8_S9_S9_EESD_ST_SE_SF_SG_EUlST_E_NS1_11comp_targetILNS1_3genE8ELNS1_11target_archE1030ELNS1_3gpuE2ELNS1_3repE0EEENS1_48merge_mergepath_partition_config_static_selectorELNS0_4arch9wavefront6targetE0EEEvSF_: ; @_ZN7rocprim17ROCPRIM_400000_NS6detail17trampoline_kernelINS0_14default_configENS1_38merge_sort_block_merge_config_selectorItNS0_10empty_typeEEEZZNS1_27merge_sort_block_merge_implIS3_PtPS5_jNS1_19radix_merge_compareILb1ELb0EtNS0_19identity_decomposerEEEEE10hipError_tT0_T1_T2_jT3_P12ihipStream_tbPNSt15iterator_traitsISE_E10value_typeEPNSK_ISF_E10value_typeEPSG_NS1_7vsmem_tEENKUlT_SE_SF_SG_E_clIS8_S8_S9_S9_EESD_ST_SE_SF_SG_EUlST_E_NS1_11comp_targetILNS1_3genE8ELNS1_11target_archE1030ELNS1_3gpuE2ELNS1_3repE0EEENS1_48merge_mergepath_partition_config_static_selectorELNS0_4arch9wavefront6targetE0EEEvSF_
; %bb.0:
	.section	.rodata,"a",@progbits
	.p2align	6, 0x0
	.amdhsa_kernel _ZN7rocprim17ROCPRIM_400000_NS6detail17trampoline_kernelINS0_14default_configENS1_38merge_sort_block_merge_config_selectorItNS0_10empty_typeEEEZZNS1_27merge_sort_block_merge_implIS3_PtPS5_jNS1_19radix_merge_compareILb1ELb0EtNS0_19identity_decomposerEEEEE10hipError_tT0_T1_T2_jT3_P12ihipStream_tbPNSt15iterator_traitsISE_E10value_typeEPNSK_ISF_E10value_typeEPSG_NS1_7vsmem_tEENKUlT_SE_SF_SG_E_clIS8_S8_S9_S9_EESD_ST_SE_SF_SG_EUlST_E_NS1_11comp_targetILNS1_3genE8ELNS1_11target_archE1030ELNS1_3gpuE2ELNS1_3repE0EEENS1_48merge_mergepath_partition_config_static_selectorELNS0_4arch9wavefront6targetE0EEEvSF_
		.amdhsa_group_segment_fixed_size 0
		.amdhsa_private_segment_fixed_size 0
		.amdhsa_kernarg_size 40
		.amdhsa_user_sgpr_count 2
		.amdhsa_user_sgpr_dispatch_ptr 0
		.amdhsa_user_sgpr_queue_ptr 0
		.amdhsa_user_sgpr_kernarg_segment_ptr 1
		.amdhsa_user_sgpr_dispatch_id 0
		.amdhsa_user_sgpr_kernarg_preload_length 0
		.amdhsa_user_sgpr_kernarg_preload_offset 0
		.amdhsa_user_sgpr_private_segment_size 0
		.amdhsa_wavefront_size32 1
		.amdhsa_uses_dynamic_stack 0
		.amdhsa_enable_private_segment 0
		.amdhsa_system_sgpr_workgroup_id_x 1
		.amdhsa_system_sgpr_workgroup_id_y 0
		.amdhsa_system_sgpr_workgroup_id_z 0
		.amdhsa_system_sgpr_workgroup_info 0
		.amdhsa_system_vgpr_workitem_id 0
		.amdhsa_next_free_vgpr 1
		.amdhsa_next_free_sgpr 1
		.amdhsa_named_barrier_count 0
		.amdhsa_reserve_vcc 0
		.amdhsa_float_round_mode_32 0
		.amdhsa_float_round_mode_16_64 0
		.amdhsa_float_denorm_mode_32 3
		.amdhsa_float_denorm_mode_16_64 3
		.amdhsa_fp16_overflow 0
		.amdhsa_memory_ordered 1
		.amdhsa_forward_progress 1
		.amdhsa_inst_pref_size 0
		.amdhsa_round_robin_scheduling 0
		.amdhsa_exception_fp_ieee_invalid_op 0
		.amdhsa_exception_fp_denorm_src 0
		.amdhsa_exception_fp_ieee_div_zero 0
		.amdhsa_exception_fp_ieee_overflow 0
		.amdhsa_exception_fp_ieee_underflow 0
		.amdhsa_exception_fp_ieee_inexact 0
		.amdhsa_exception_int_div_zero 0
	.end_amdhsa_kernel
	.section	.text._ZN7rocprim17ROCPRIM_400000_NS6detail17trampoline_kernelINS0_14default_configENS1_38merge_sort_block_merge_config_selectorItNS0_10empty_typeEEEZZNS1_27merge_sort_block_merge_implIS3_PtPS5_jNS1_19radix_merge_compareILb1ELb0EtNS0_19identity_decomposerEEEEE10hipError_tT0_T1_T2_jT3_P12ihipStream_tbPNSt15iterator_traitsISE_E10value_typeEPNSK_ISF_E10value_typeEPSG_NS1_7vsmem_tEENKUlT_SE_SF_SG_E_clIS8_S8_S9_S9_EESD_ST_SE_SF_SG_EUlST_E_NS1_11comp_targetILNS1_3genE8ELNS1_11target_archE1030ELNS1_3gpuE2ELNS1_3repE0EEENS1_48merge_mergepath_partition_config_static_selectorELNS0_4arch9wavefront6targetE0EEEvSF_,"axG",@progbits,_ZN7rocprim17ROCPRIM_400000_NS6detail17trampoline_kernelINS0_14default_configENS1_38merge_sort_block_merge_config_selectorItNS0_10empty_typeEEEZZNS1_27merge_sort_block_merge_implIS3_PtPS5_jNS1_19radix_merge_compareILb1ELb0EtNS0_19identity_decomposerEEEEE10hipError_tT0_T1_T2_jT3_P12ihipStream_tbPNSt15iterator_traitsISE_E10value_typeEPNSK_ISF_E10value_typeEPSG_NS1_7vsmem_tEENKUlT_SE_SF_SG_E_clIS8_S8_S9_S9_EESD_ST_SE_SF_SG_EUlST_E_NS1_11comp_targetILNS1_3genE8ELNS1_11target_archE1030ELNS1_3gpuE2ELNS1_3repE0EEENS1_48merge_mergepath_partition_config_static_selectorELNS0_4arch9wavefront6targetE0EEEvSF_,comdat
.Lfunc_end2311:
	.size	_ZN7rocprim17ROCPRIM_400000_NS6detail17trampoline_kernelINS0_14default_configENS1_38merge_sort_block_merge_config_selectorItNS0_10empty_typeEEEZZNS1_27merge_sort_block_merge_implIS3_PtPS5_jNS1_19radix_merge_compareILb1ELb0EtNS0_19identity_decomposerEEEEE10hipError_tT0_T1_T2_jT3_P12ihipStream_tbPNSt15iterator_traitsISE_E10value_typeEPNSK_ISF_E10value_typeEPSG_NS1_7vsmem_tEENKUlT_SE_SF_SG_E_clIS8_S8_S9_S9_EESD_ST_SE_SF_SG_EUlST_E_NS1_11comp_targetILNS1_3genE8ELNS1_11target_archE1030ELNS1_3gpuE2ELNS1_3repE0EEENS1_48merge_mergepath_partition_config_static_selectorELNS0_4arch9wavefront6targetE0EEEvSF_, .Lfunc_end2311-_ZN7rocprim17ROCPRIM_400000_NS6detail17trampoline_kernelINS0_14default_configENS1_38merge_sort_block_merge_config_selectorItNS0_10empty_typeEEEZZNS1_27merge_sort_block_merge_implIS3_PtPS5_jNS1_19radix_merge_compareILb1ELb0EtNS0_19identity_decomposerEEEEE10hipError_tT0_T1_T2_jT3_P12ihipStream_tbPNSt15iterator_traitsISE_E10value_typeEPNSK_ISF_E10value_typeEPSG_NS1_7vsmem_tEENKUlT_SE_SF_SG_E_clIS8_S8_S9_S9_EESD_ST_SE_SF_SG_EUlST_E_NS1_11comp_targetILNS1_3genE8ELNS1_11target_archE1030ELNS1_3gpuE2ELNS1_3repE0EEENS1_48merge_mergepath_partition_config_static_selectorELNS0_4arch9wavefront6targetE0EEEvSF_
                                        ; -- End function
	.set _ZN7rocprim17ROCPRIM_400000_NS6detail17trampoline_kernelINS0_14default_configENS1_38merge_sort_block_merge_config_selectorItNS0_10empty_typeEEEZZNS1_27merge_sort_block_merge_implIS3_PtPS5_jNS1_19radix_merge_compareILb1ELb0EtNS0_19identity_decomposerEEEEE10hipError_tT0_T1_T2_jT3_P12ihipStream_tbPNSt15iterator_traitsISE_E10value_typeEPNSK_ISF_E10value_typeEPSG_NS1_7vsmem_tEENKUlT_SE_SF_SG_E_clIS8_S8_S9_S9_EESD_ST_SE_SF_SG_EUlST_E_NS1_11comp_targetILNS1_3genE8ELNS1_11target_archE1030ELNS1_3gpuE2ELNS1_3repE0EEENS1_48merge_mergepath_partition_config_static_selectorELNS0_4arch9wavefront6targetE0EEEvSF_.num_vgpr, 0
	.set _ZN7rocprim17ROCPRIM_400000_NS6detail17trampoline_kernelINS0_14default_configENS1_38merge_sort_block_merge_config_selectorItNS0_10empty_typeEEEZZNS1_27merge_sort_block_merge_implIS3_PtPS5_jNS1_19radix_merge_compareILb1ELb0EtNS0_19identity_decomposerEEEEE10hipError_tT0_T1_T2_jT3_P12ihipStream_tbPNSt15iterator_traitsISE_E10value_typeEPNSK_ISF_E10value_typeEPSG_NS1_7vsmem_tEENKUlT_SE_SF_SG_E_clIS8_S8_S9_S9_EESD_ST_SE_SF_SG_EUlST_E_NS1_11comp_targetILNS1_3genE8ELNS1_11target_archE1030ELNS1_3gpuE2ELNS1_3repE0EEENS1_48merge_mergepath_partition_config_static_selectorELNS0_4arch9wavefront6targetE0EEEvSF_.num_agpr, 0
	.set _ZN7rocprim17ROCPRIM_400000_NS6detail17trampoline_kernelINS0_14default_configENS1_38merge_sort_block_merge_config_selectorItNS0_10empty_typeEEEZZNS1_27merge_sort_block_merge_implIS3_PtPS5_jNS1_19radix_merge_compareILb1ELb0EtNS0_19identity_decomposerEEEEE10hipError_tT0_T1_T2_jT3_P12ihipStream_tbPNSt15iterator_traitsISE_E10value_typeEPNSK_ISF_E10value_typeEPSG_NS1_7vsmem_tEENKUlT_SE_SF_SG_E_clIS8_S8_S9_S9_EESD_ST_SE_SF_SG_EUlST_E_NS1_11comp_targetILNS1_3genE8ELNS1_11target_archE1030ELNS1_3gpuE2ELNS1_3repE0EEENS1_48merge_mergepath_partition_config_static_selectorELNS0_4arch9wavefront6targetE0EEEvSF_.numbered_sgpr, 0
	.set _ZN7rocprim17ROCPRIM_400000_NS6detail17trampoline_kernelINS0_14default_configENS1_38merge_sort_block_merge_config_selectorItNS0_10empty_typeEEEZZNS1_27merge_sort_block_merge_implIS3_PtPS5_jNS1_19radix_merge_compareILb1ELb0EtNS0_19identity_decomposerEEEEE10hipError_tT0_T1_T2_jT3_P12ihipStream_tbPNSt15iterator_traitsISE_E10value_typeEPNSK_ISF_E10value_typeEPSG_NS1_7vsmem_tEENKUlT_SE_SF_SG_E_clIS8_S8_S9_S9_EESD_ST_SE_SF_SG_EUlST_E_NS1_11comp_targetILNS1_3genE8ELNS1_11target_archE1030ELNS1_3gpuE2ELNS1_3repE0EEENS1_48merge_mergepath_partition_config_static_selectorELNS0_4arch9wavefront6targetE0EEEvSF_.num_named_barrier, 0
	.set _ZN7rocprim17ROCPRIM_400000_NS6detail17trampoline_kernelINS0_14default_configENS1_38merge_sort_block_merge_config_selectorItNS0_10empty_typeEEEZZNS1_27merge_sort_block_merge_implIS3_PtPS5_jNS1_19radix_merge_compareILb1ELb0EtNS0_19identity_decomposerEEEEE10hipError_tT0_T1_T2_jT3_P12ihipStream_tbPNSt15iterator_traitsISE_E10value_typeEPNSK_ISF_E10value_typeEPSG_NS1_7vsmem_tEENKUlT_SE_SF_SG_E_clIS8_S8_S9_S9_EESD_ST_SE_SF_SG_EUlST_E_NS1_11comp_targetILNS1_3genE8ELNS1_11target_archE1030ELNS1_3gpuE2ELNS1_3repE0EEENS1_48merge_mergepath_partition_config_static_selectorELNS0_4arch9wavefront6targetE0EEEvSF_.private_seg_size, 0
	.set _ZN7rocprim17ROCPRIM_400000_NS6detail17trampoline_kernelINS0_14default_configENS1_38merge_sort_block_merge_config_selectorItNS0_10empty_typeEEEZZNS1_27merge_sort_block_merge_implIS3_PtPS5_jNS1_19radix_merge_compareILb1ELb0EtNS0_19identity_decomposerEEEEE10hipError_tT0_T1_T2_jT3_P12ihipStream_tbPNSt15iterator_traitsISE_E10value_typeEPNSK_ISF_E10value_typeEPSG_NS1_7vsmem_tEENKUlT_SE_SF_SG_E_clIS8_S8_S9_S9_EESD_ST_SE_SF_SG_EUlST_E_NS1_11comp_targetILNS1_3genE8ELNS1_11target_archE1030ELNS1_3gpuE2ELNS1_3repE0EEENS1_48merge_mergepath_partition_config_static_selectorELNS0_4arch9wavefront6targetE0EEEvSF_.uses_vcc, 0
	.set _ZN7rocprim17ROCPRIM_400000_NS6detail17trampoline_kernelINS0_14default_configENS1_38merge_sort_block_merge_config_selectorItNS0_10empty_typeEEEZZNS1_27merge_sort_block_merge_implIS3_PtPS5_jNS1_19radix_merge_compareILb1ELb0EtNS0_19identity_decomposerEEEEE10hipError_tT0_T1_T2_jT3_P12ihipStream_tbPNSt15iterator_traitsISE_E10value_typeEPNSK_ISF_E10value_typeEPSG_NS1_7vsmem_tEENKUlT_SE_SF_SG_E_clIS8_S8_S9_S9_EESD_ST_SE_SF_SG_EUlST_E_NS1_11comp_targetILNS1_3genE8ELNS1_11target_archE1030ELNS1_3gpuE2ELNS1_3repE0EEENS1_48merge_mergepath_partition_config_static_selectorELNS0_4arch9wavefront6targetE0EEEvSF_.uses_flat_scratch, 0
	.set _ZN7rocprim17ROCPRIM_400000_NS6detail17trampoline_kernelINS0_14default_configENS1_38merge_sort_block_merge_config_selectorItNS0_10empty_typeEEEZZNS1_27merge_sort_block_merge_implIS3_PtPS5_jNS1_19radix_merge_compareILb1ELb0EtNS0_19identity_decomposerEEEEE10hipError_tT0_T1_T2_jT3_P12ihipStream_tbPNSt15iterator_traitsISE_E10value_typeEPNSK_ISF_E10value_typeEPSG_NS1_7vsmem_tEENKUlT_SE_SF_SG_E_clIS8_S8_S9_S9_EESD_ST_SE_SF_SG_EUlST_E_NS1_11comp_targetILNS1_3genE8ELNS1_11target_archE1030ELNS1_3gpuE2ELNS1_3repE0EEENS1_48merge_mergepath_partition_config_static_selectorELNS0_4arch9wavefront6targetE0EEEvSF_.has_dyn_sized_stack, 0
	.set _ZN7rocprim17ROCPRIM_400000_NS6detail17trampoline_kernelINS0_14default_configENS1_38merge_sort_block_merge_config_selectorItNS0_10empty_typeEEEZZNS1_27merge_sort_block_merge_implIS3_PtPS5_jNS1_19radix_merge_compareILb1ELb0EtNS0_19identity_decomposerEEEEE10hipError_tT0_T1_T2_jT3_P12ihipStream_tbPNSt15iterator_traitsISE_E10value_typeEPNSK_ISF_E10value_typeEPSG_NS1_7vsmem_tEENKUlT_SE_SF_SG_E_clIS8_S8_S9_S9_EESD_ST_SE_SF_SG_EUlST_E_NS1_11comp_targetILNS1_3genE8ELNS1_11target_archE1030ELNS1_3gpuE2ELNS1_3repE0EEENS1_48merge_mergepath_partition_config_static_selectorELNS0_4arch9wavefront6targetE0EEEvSF_.has_recursion, 0
	.set _ZN7rocprim17ROCPRIM_400000_NS6detail17trampoline_kernelINS0_14default_configENS1_38merge_sort_block_merge_config_selectorItNS0_10empty_typeEEEZZNS1_27merge_sort_block_merge_implIS3_PtPS5_jNS1_19radix_merge_compareILb1ELb0EtNS0_19identity_decomposerEEEEE10hipError_tT0_T1_T2_jT3_P12ihipStream_tbPNSt15iterator_traitsISE_E10value_typeEPNSK_ISF_E10value_typeEPSG_NS1_7vsmem_tEENKUlT_SE_SF_SG_E_clIS8_S8_S9_S9_EESD_ST_SE_SF_SG_EUlST_E_NS1_11comp_targetILNS1_3genE8ELNS1_11target_archE1030ELNS1_3gpuE2ELNS1_3repE0EEENS1_48merge_mergepath_partition_config_static_selectorELNS0_4arch9wavefront6targetE0EEEvSF_.has_indirect_call, 0
	.section	.AMDGPU.csdata,"",@progbits
; Kernel info:
; codeLenInByte = 0
; TotalNumSgprs: 0
; NumVgprs: 0
; ScratchSize: 0
; MemoryBound: 0
; FloatMode: 240
; IeeeMode: 1
; LDSByteSize: 0 bytes/workgroup (compile time only)
; SGPRBlocks: 0
; VGPRBlocks: 0
; NumSGPRsForWavesPerEU: 1
; NumVGPRsForWavesPerEU: 1
; NamedBarCnt: 0
; Occupancy: 16
; WaveLimiterHint : 0
; COMPUTE_PGM_RSRC2:SCRATCH_EN: 0
; COMPUTE_PGM_RSRC2:USER_SGPR: 2
; COMPUTE_PGM_RSRC2:TRAP_HANDLER: 0
; COMPUTE_PGM_RSRC2:TGID_X_EN: 1
; COMPUTE_PGM_RSRC2:TGID_Y_EN: 0
; COMPUTE_PGM_RSRC2:TGID_Z_EN: 0
; COMPUTE_PGM_RSRC2:TIDIG_COMP_CNT: 0
	.section	.text._ZN7rocprim17ROCPRIM_400000_NS6detail17trampoline_kernelINS0_14default_configENS1_38merge_sort_block_merge_config_selectorItNS0_10empty_typeEEEZZNS1_27merge_sort_block_merge_implIS3_PtPS5_jNS1_19radix_merge_compareILb1ELb0EtNS0_19identity_decomposerEEEEE10hipError_tT0_T1_T2_jT3_P12ihipStream_tbPNSt15iterator_traitsISE_E10value_typeEPNSK_ISF_E10value_typeEPSG_NS1_7vsmem_tEENKUlT_SE_SF_SG_E_clIS8_S8_S9_S9_EESD_ST_SE_SF_SG_EUlST_E0_NS1_11comp_targetILNS1_3genE0ELNS1_11target_archE4294967295ELNS1_3gpuE0ELNS1_3repE0EEENS1_38merge_mergepath_config_static_selectorELNS0_4arch9wavefront6targetE0EEEvSF_,"axG",@progbits,_ZN7rocprim17ROCPRIM_400000_NS6detail17trampoline_kernelINS0_14default_configENS1_38merge_sort_block_merge_config_selectorItNS0_10empty_typeEEEZZNS1_27merge_sort_block_merge_implIS3_PtPS5_jNS1_19radix_merge_compareILb1ELb0EtNS0_19identity_decomposerEEEEE10hipError_tT0_T1_T2_jT3_P12ihipStream_tbPNSt15iterator_traitsISE_E10value_typeEPNSK_ISF_E10value_typeEPSG_NS1_7vsmem_tEENKUlT_SE_SF_SG_E_clIS8_S8_S9_S9_EESD_ST_SE_SF_SG_EUlST_E0_NS1_11comp_targetILNS1_3genE0ELNS1_11target_archE4294967295ELNS1_3gpuE0ELNS1_3repE0EEENS1_38merge_mergepath_config_static_selectorELNS0_4arch9wavefront6targetE0EEEvSF_,comdat
	.protected	_ZN7rocprim17ROCPRIM_400000_NS6detail17trampoline_kernelINS0_14default_configENS1_38merge_sort_block_merge_config_selectorItNS0_10empty_typeEEEZZNS1_27merge_sort_block_merge_implIS3_PtPS5_jNS1_19radix_merge_compareILb1ELb0EtNS0_19identity_decomposerEEEEE10hipError_tT0_T1_T2_jT3_P12ihipStream_tbPNSt15iterator_traitsISE_E10value_typeEPNSK_ISF_E10value_typeEPSG_NS1_7vsmem_tEENKUlT_SE_SF_SG_E_clIS8_S8_S9_S9_EESD_ST_SE_SF_SG_EUlST_E0_NS1_11comp_targetILNS1_3genE0ELNS1_11target_archE4294967295ELNS1_3gpuE0ELNS1_3repE0EEENS1_38merge_mergepath_config_static_selectorELNS0_4arch9wavefront6targetE0EEEvSF_ ; -- Begin function _ZN7rocprim17ROCPRIM_400000_NS6detail17trampoline_kernelINS0_14default_configENS1_38merge_sort_block_merge_config_selectorItNS0_10empty_typeEEEZZNS1_27merge_sort_block_merge_implIS3_PtPS5_jNS1_19radix_merge_compareILb1ELb0EtNS0_19identity_decomposerEEEEE10hipError_tT0_T1_T2_jT3_P12ihipStream_tbPNSt15iterator_traitsISE_E10value_typeEPNSK_ISF_E10value_typeEPSG_NS1_7vsmem_tEENKUlT_SE_SF_SG_E_clIS8_S8_S9_S9_EESD_ST_SE_SF_SG_EUlST_E0_NS1_11comp_targetILNS1_3genE0ELNS1_11target_archE4294967295ELNS1_3gpuE0ELNS1_3repE0EEENS1_38merge_mergepath_config_static_selectorELNS0_4arch9wavefront6targetE0EEEvSF_
	.globl	_ZN7rocprim17ROCPRIM_400000_NS6detail17trampoline_kernelINS0_14default_configENS1_38merge_sort_block_merge_config_selectorItNS0_10empty_typeEEEZZNS1_27merge_sort_block_merge_implIS3_PtPS5_jNS1_19radix_merge_compareILb1ELb0EtNS0_19identity_decomposerEEEEE10hipError_tT0_T1_T2_jT3_P12ihipStream_tbPNSt15iterator_traitsISE_E10value_typeEPNSK_ISF_E10value_typeEPSG_NS1_7vsmem_tEENKUlT_SE_SF_SG_E_clIS8_S8_S9_S9_EESD_ST_SE_SF_SG_EUlST_E0_NS1_11comp_targetILNS1_3genE0ELNS1_11target_archE4294967295ELNS1_3gpuE0ELNS1_3repE0EEENS1_38merge_mergepath_config_static_selectorELNS0_4arch9wavefront6targetE0EEEvSF_
	.p2align	8
	.type	_ZN7rocprim17ROCPRIM_400000_NS6detail17trampoline_kernelINS0_14default_configENS1_38merge_sort_block_merge_config_selectorItNS0_10empty_typeEEEZZNS1_27merge_sort_block_merge_implIS3_PtPS5_jNS1_19radix_merge_compareILb1ELb0EtNS0_19identity_decomposerEEEEE10hipError_tT0_T1_T2_jT3_P12ihipStream_tbPNSt15iterator_traitsISE_E10value_typeEPNSK_ISF_E10value_typeEPSG_NS1_7vsmem_tEENKUlT_SE_SF_SG_E_clIS8_S8_S9_S9_EESD_ST_SE_SF_SG_EUlST_E0_NS1_11comp_targetILNS1_3genE0ELNS1_11target_archE4294967295ELNS1_3gpuE0ELNS1_3repE0EEENS1_38merge_mergepath_config_static_selectorELNS0_4arch9wavefront6targetE0EEEvSF_,@function
_ZN7rocprim17ROCPRIM_400000_NS6detail17trampoline_kernelINS0_14default_configENS1_38merge_sort_block_merge_config_selectorItNS0_10empty_typeEEEZZNS1_27merge_sort_block_merge_implIS3_PtPS5_jNS1_19radix_merge_compareILb1ELb0EtNS0_19identity_decomposerEEEEE10hipError_tT0_T1_T2_jT3_P12ihipStream_tbPNSt15iterator_traitsISE_E10value_typeEPNSK_ISF_E10value_typeEPSG_NS1_7vsmem_tEENKUlT_SE_SF_SG_E_clIS8_S8_S9_S9_EESD_ST_SE_SF_SG_EUlST_E0_NS1_11comp_targetILNS1_3genE0ELNS1_11target_archE4294967295ELNS1_3gpuE0ELNS1_3repE0EEENS1_38merge_mergepath_config_static_selectorELNS0_4arch9wavefront6targetE0EEEvSF_: ; @_ZN7rocprim17ROCPRIM_400000_NS6detail17trampoline_kernelINS0_14default_configENS1_38merge_sort_block_merge_config_selectorItNS0_10empty_typeEEEZZNS1_27merge_sort_block_merge_implIS3_PtPS5_jNS1_19radix_merge_compareILb1ELb0EtNS0_19identity_decomposerEEEEE10hipError_tT0_T1_T2_jT3_P12ihipStream_tbPNSt15iterator_traitsISE_E10value_typeEPNSK_ISF_E10value_typeEPSG_NS1_7vsmem_tEENKUlT_SE_SF_SG_E_clIS8_S8_S9_S9_EESD_ST_SE_SF_SG_EUlST_E0_NS1_11comp_targetILNS1_3genE0ELNS1_11target_archE4294967295ELNS1_3gpuE0ELNS1_3repE0EEENS1_38merge_mergepath_config_static_selectorELNS0_4arch9wavefront6targetE0EEEvSF_
; %bb.0:
	s_bfe_u32 s2, ttmp6, 0x40010
	s_and_b32 s4, ttmp7, 0xffff
	s_add_co_i32 s5, s2, 1
	s_clause 0x1
	s_load_b32 s6, s[0:1], 0x30
	s_load_b64 s[2:3], s[0:1], 0x40
	s_bfe_u32 s8, ttmp6, 0x4000c
	s_mul_i32 s5, s4, s5
	s_bfe_u32 s7, ttmp6, 0x40004
	s_add_co_i32 s8, s8, 1
	s_bfe_u32 s9, ttmp6, 0x40014
	s_add_co_i32 s7, s7, s5
	s_and_b32 s5, ttmp6, 15
	s_mul_i32 s8, ttmp9, s8
	s_lshr_b32 s10, ttmp7, 16
	s_add_co_i32 s9, s9, 1
	s_add_co_i32 s5, s5, s8
	s_mul_i32 s8, s10, s9
	s_bfe_u32 s9, ttmp6, 0x40008
	s_getreg_b32 s11, hwreg(HW_REG_IB_STS2, 6, 4)
	s_add_co_i32 s9, s9, s8
	s_cmp_eq_u32 s11, 0
	s_cselect_b32 s8, s10, s9
	s_cselect_b32 s4, s4, s7
	s_wait_kmcnt 0x0
	s_mul_i32 s8, s3, s8
	s_cselect_b32 s3, ttmp9, s5
	s_add_co_i32 s4, s8, s4
	s_mov_b32 s5, 0
	s_mul_i32 s4, s4, s2
	s_delay_alu instid0(SALU_CYCLE_1) | instskip(NEXT) | instid1(SALU_CYCLE_1)
	s_add_co_i32 s4, s4, s3
	s_cmp_ge_u32 s4, s6
	s_cbranch_scc1 .LBB2312_43
; %bb.1:
	v_mov_b32_e32 v7, 0
	s_add_nc_u64 s[6:7], s[0:1], 64
	v_lshlrev_b32_e32 v6, 1, v0
	global_load_b32 v1, v7, s[6:7] offset:14
	s_clause 0x2
	s_load_b64 s[8:9], s[0:1], 0x28
	s_load_b64 s[10:11], s[0:1], 0x38
	;; [unrolled: 1-line block ×3, first 2 shown]
	s_wait_kmcnt 0x0
	s_lshr_b32 s22, s8, 10
	s_delay_alu instid0(SALU_CYCLE_1) | instskip(SKIP_2) | instid1(SALU_CYCLE_1)
	s_cmp_lg_u32 s4, s22
	s_cselect_b32 s14, -1, 0
	s_lshl_b64 s[12:13], s[4:5], 2
	s_add_nc_u64 s[10:11], s[10:11], s[12:13]
	s_load_b64 s[12:13], s[10:11], 0x0
	s_wait_xcnt 0x0
	s_lshr_b32 s10, s9, 9
	s_delay_alu instid0(SALU_CYCLE_1) | instskip(NEXT) | instid1(SALU_CYCLE_1)
	s_and_b32 s10, s10, 0x7ffffe
	s_sub_co_i32 s11, 0, s10
	s_lshl_b32 s10, s4, 10
	s_and_b32 s15, s4, s11
	s_or_b32 s11, s4, s11
	s_lshl_b32 s18, s15, 11
	s_lshl_b32 s15, s15, 10
	s_add_co_i32 s18, s18, s9
	s_sub_co_i32 s19, s10, s15
	s_sub_co_i32 s15, s18, s15
	s_add_co_i32 s18, s18, s19
	s_min_u32 s20, s8, s15
	s_add_co_i32 s15, s15, s9
	s_wait_kmcnt 0x0
	s_sub_co_i32 s9, s18, s12
	s_sub_co_i32 s19, s18, s13
	s_min_u32 s18, s8, s9
	s_add_co_i32 s9, s19, 0x400
	s_cmp_eq_u32 s11, -1
	s_mov_b32 s19, s5
	s_cselect_b32 s9, s15, s9
	s_cselect_b32 s11, s20, s13
	s_mov_b32 s13, s5
	s_min_u32 s15, s9, s8
	s_lshl_b64 s[20:21], s[18:19], 1
	s_sub_co_i32 s9, s11, s12
	s_lshl_b64 s[12:13], s[12:13], 1
	s_sub_co_i32 s15, s15, s18
	s_cmp_lt_u32 s3, s2
	s_mov_b32 s3, s5
	s_cselect_b32 s2, 12, 18
	s_add_nc_u64 s[12:13], s[16:17], s[12:13]
	s_add_nc_u64 s[2:3], s[6:7], s[2:3]
	s_cmp_eq_u32 s4, s22
	s_load_u16 s2, s[2:3], 0x0
	s_add_nc_u64 s[6:7], s[16:17], s[20:21]
	s_wait_loadcnt 0x0
	v_lshrrev_b32_e32 v2, 16, v1
	v_and_b32_e32 v1, 0xffff, v1
	s_delay_alu instid0(VALU_DEP_1) | instskip(SKIP_1) | instid1(VALU_DEP_1)
	v_mul_lo_u32 v1, v1, v2
	s_wait_kmcnt 0x0
	v_mul_lo_u32 v1, v1, s2
	s_mov_b32 s2, -1
	s_delay_alu instid0(VALU_DEP_1) | instskip(NEXT) | instid1(VALU_DEP_1)
	v_add_nc_u32_e32 v10, v1, v0
	v_add_nc_u32_e32 v8, v10, v1
	s_cbranch_scc1 .LBB2312_3
; %bb.2:
	v_sub_co_u32 v4, vcc_lo, v0, s9
	v_dual_mov_b32 v5, v7 :: v_dual_mov_b32 v11, v7
	v_add_nc_u64_e32 v[2:3], s[12:13], v[6:7]
	v_sub_co_u32 v14, s2, v10, s9
	s_delay_alu instid0(VALU_DEP_3) | instskip(SKIP_3) | instid1(VALU_DEP_4)
	v_lshl_add_u64 v[4:5], v[4:5], 1, s[6:7]
	v_dual_mov_b32 v15, v7 :: v_dual_mov_b32 v9, v7
	v_lshl_add_u64 v[12:13], v[10:11], 1, s[12:13]
	v_dual_mov_b32 v17, v7 :: v_dual_add_nc_u32 v18, v8, v1
	v_dual_cndmask_b32 v3, v5, v3 :: v_dual_cndmask_b32 v2, v4, v2
	s_delay_alu instid0(VALU_DEP_4)
	v_lshl_add_u64 v[4:5], v[14:15], 1, s[6:7]
	v_sub_co_u32 v16, vcc_lo, v8, s9
	v_mov_b32_e32 v19, v7
	v_lshl_add_u64 v[14:15], v[8:9], 1, s[12:13]
	global_load_u16 v9, v[2:3], off
	s_wait_xcnt 0x0
	v_dual_cndmask_b32 v3, v5, v13, s2 :: v_dual_cndmask_b32 v2, v4, v12, s2
	v_lshl_add_u64 v[4:5], v[16:17], 1, s[6:7]
	v_lshl_add_u64 v[12:13], v[18:19], 1, s[12:13]
	v_sub_co_u32 v16, s2, v18, s9
	v_add_nc_u32_e32 v18, v18, v1
	global_load_u16 v11, v[2:3], off
	s_wait_xcnt 0x0
	v_dual_cndmask_b32 v3, v5, v15 :: v_dual_cndmask_b32 v2, v4, v14
	v_lshl_add_u64 v[4:5], v[16:17], 1, s[6:7]
	v_lshl_add_u64 v[14:15], v[18:19], 1, s[12:13]
	v_sub_co_u32 v16, vcc_lo, v18, s9
	v_add_nc_u32_e32 v18, v18, v1
	global_load_u16 v26, v[2:3], off
	s_wait_xcnt 0x0
	v_dual_cndmask_b32 v3, v5, v13, s2 :: v_dual_mov_b32 v21, v7
	v_cndmask_b32_e64 v2, v4, v12, s2
	v_lshl_add_u64 v[4:5], v[16:17], 1, s[6:7]
	v_lshl_add_u64 v[12:13], v[18:19], 1, s[12:13]
	v_add_nc_u32_e32 v16, v18, v1
	v_sub_co_u32 v18, s2, v18, s9
	s_delay_alu instid0(VALU_DEP_4) | instskip(SKIP_1) | instid1(VALU_DEP_3)
	v_cndmask_b32_e32 v5, v5, v15, vcc_lo
	s_add_co_i32 s11, s15, s9
	v_lshl_add_u64 v[22:23], v[16:17], 1, s[12:13]
	s_delay_alu instid0(VALU_DEP_3) | instskip(SKIP_2) | instid1(VALU_DEP_3)
	v_lshl_add_u64 v[18:19], v[18:19], 1, s[6:7]
	v_add_nc_u32_e32 v20, v16, v1
	v_sub_co_u32 v16, s3, v16, s9
	v_dual_cndmask_b32 v4, v4, v14, vcc_lo :: v_dual_cndmask_b32 v13, v19, v13, s2
	s_delay_alu instid0(VALU_DEP_4) | instskip(NEXT) | instid1(VALU_DEP_4)
	v_cndmask_b32_e64 v12, v18, v12, s2
	v_lshl_add_u64 v[24:25], v[20:21], 1, s[12:13]
	v_sub_co_u32 v20, s4, v20, s9
	v_lshl_add_u64 v[16:17], v[16:17], 1, s[6:7]
	s_delay_alu instid0(VALU_DEP_2) | instskip(NEXT) | instid1(VALU_DEP_2)
	v_lshl_add_u64 v[14:15], v[20:21], 1, s[6:7]
	v_dual_cndmask_b32 v17, v17, v23, s3 :: v_dual_cndmask_b32 v16, v16, v22, s3
	s_delay_alu instid0(VALU_DEP_2)
	v_dual_cndmask_b32 v15, v15, v25, s4 :: v_dual_cndmask_b32 v14, v14, v24, s4
	global_load_u16 v7, v[2:3], off
	global_load_u16 v18, v[4:5], off
	;; [unrolled: 1-line block ×5, first 2 shown]
	s_wait_loadcnt 0x6
	s_wait_xcnt 0x4
	v_perm_b32 v2, v11, v9, 0x5040100
	s_wait_loadcnt 0x4
	v_perm_b32 v3, v7, v26, 0x5040100
	s_wait_loadcnt 0x2
	s_wait_xcnt 0x3
	v_perm_b32 v4, v19, v18, 0x5040100
	s_wait_loadcnt 0x0
	v_perm_b32 v5, v21, v20, 0x5040100
	s_cbranch_execz .LBB2312_4
	s_branch .LBB2312_19
.LBB2312_3:
                                        ; implicit-def: $vgpr2_vgpr3_vgpr4_vgpr5
                                        ; implicit-def: $sgpr11
	s_and_not1_b32 vcc_lo, exec_lo, s2
	s_cbranch_vccnz .LBB2312_19
.LBB2312_4:
	v_mov_b32_e32 v2, 0
	s_add_co_i32 s11, s15, s9
	s_mov_b32 s2, exec_lo
	s_delay_alu instid0(VALU_DEP_1)
	v_dual_mov_b32 v3, v2 :: v_dual_mov_b32 v4, v2
	v_mov_b32_e32 v5, v2
	v_cmpx_gt_u32_e64 s11, v0
	s_cbranch_execnz .LBB2312_44
; %bb.5:
	s_or_b32 exec_lo, exec_lo, s2
	s_delay_alu instid0(SALU_CYCLE_1)
	s_mov_b32 s2, exec_lo
	v_cmpx_gt_u32_e64 s11, v10
	s_cbranch_execnz .LBB2312_45
.LBB2312_6:
	s_or_b32 exec_lo, exec_lo, s2
	s_delay_alu instid0(SALU_CYCLE_1)
	s_mov_b32 s2, exec_lo
	v_cmpx_gt_u32_e64 s11, v8
	s_cbranch_execz .LBB2312_8
.LBB2312_7:
	v_sub_co_u32 v12, vcc_lo, v8, s9
	v_mov_b32_e32 v9, 0
	s_delay_alu instid0(VALU_DEP_1) | instskip(SKIP_1) | instid1(VALU_DEP_1)
	v_lshl_add_u64 v[10:11], v[8:9], 1, s[12:13]
	v_mov_b32_e32 v13, v9
	v_lshl_add_u64 v[12:13], v[12:13], 1, s[6:7]
	s_delay_alu instid0(VALU_DEP_1)
	v_dual_cndmask_b32 v11, v13, v11 :: v_dual_cndmask_b32 v10, v12, v10
	global_load_u16 v7, v[10:11], off
	s_wait_loadcnt 0x0
	v_bfi_b32 v3, 0xffff, v7, v3
.LBB2312_8:
	s_or_b32 exec_lo, exec_lo, s2
	v_add_nc_u32_e32 v8, v8, v1
	s_mov_b32 s2, exec_lo
	s_delay_alu instid0(VALU_DEP_1)
	v_cmpx_gt_u32_e64 s11, v8
	s_cbranch_execz .LBB2312_10
; %bb.9:
	v_sub_co_u32 v12, vcc_lo, v8, s9
	v_mov_b32_e32 v9, 0
	s_delay_alu instid0(VALU_DEP_1) | instskip(SKIP_1) | instid1(VALU_DEP_1)
	v_lshl_add_u64 v[10:11], v[8:9], 1, s[12:13]
	v_mov_b32_e32 v13, v9
	v_lshl_add_u64 v[12:13], v[12:13], 1, s[6:7]
	s_delay_alu instid0(VALU_DEP_1)
	v_dual_cndmask_b32 v11, v13, v11 :: v_dual_cndmask_b32 v10, v12, v10
	global_load_u16 v7, v[10:11], off
	s_wait_loadcnt 0x0
	v_perm_b32 v3, v7, v3, 0x5040100
.LBB2312_10:
	s_or_b32 exec_lo, exec_lo, s2
	v_add_nc_u32_e32 v8, v8, v1
	s_mov_b32 s2, exec_lo
	s_delay_alu instid0(VALU_DEP_1)
	v_cmpx_gt_u32_e64 s11, v8
	s_cbranch_execz .LBB2312_12
; %bb.11:
	v_sub_co_u32 v12, vcc_lo, v8, s9
	v_mov_b32_e32 v9, 0
	s_delay_alu instid0(VALU_DEP_1) | instskip(SKIP_1) | instid1(VALU_DEP_1)
	v_lshl_add_u64 v[10:11], v[8:9], 1, s[12:13]
	v_mov_b32_e32 v13, v9
	v_lshl_add_u64 v[12:13], v[12:13], 1, s[6:7]
	s_delay_alu instid0(VALU_DEP_1)
	v_dual_cndmask_b32 v11, v13, v11 :: v_dual_cndmask_b32 v10, v12, v10
	global_load_u16 v7, v[10:11], off
	s_wait_loadcnt 0x0
	v_bfi_b32 v4, 0xffff, v7, v4
.LBB2312_12:
	s_or_b32 exec_lo, exec_lo, s2
	v_add_nc_u32_e32 v8, v8, v1
	s_mov_b32 s2, exec_lo
	s_delay_alu instid0(VALU_DEP_1)
	v_cmpx_gt_u32_e64 s11, v8
	s_cbranch_execz .LBB2312_14
; %bb.13:
	v_sub_co_u32 v12, vcc_lo, v8, s9
	v_mov_b32_e32 v9, 0
	s_delay_alu instid0(VALU_DEP_1) | instskip(SKIP_1) | instid1(VALU_DEP_1)
	v_lshl_add_u64 v[10:11], v[8:9], 1, s[12:13]
	v_mov_b32_e32 v13, v9
	v_lshl_add_u64 v[12:13], v[12:13], 1, s[6:7]
	s_delay_alu instid0(VALU_DEP_1)
	v_dual_cndmask_b32 v11, v13, v11 :: v_dual_cndmask_b32 v10, v12, v10
	global_load_u16 v7, v[10:11], off
	s_wait_loadcnt 0x0
	v_perm_b32 v4, v7, v4, 0x5040100
.LBB2312_14:
	s_or_b32 exec_lo, exec_lo, s2
	v_add_nc_u32_e32 v8, v8, v1
	s_mov_b32 s2, exec_lo
	s_delay_alu instid0(VALU_DEP_1)
	v_cmpx_gt_u32_e64 s11, v8
	s_cbranch_execz .LBB2312_16
; %bb.15:
	v_sub_co_u32 v12, vcc_lo, v8, s9
	v_mov_b32_e32 v9, 0
	s_delay_alu instid0(VALU_DEP_1) | instskip(SKIP_1) | instid1(VALU_DEP_1)
	v_lshl_add_u64 v[10:11], v[8:9], 1, s[12:13]
	v_mov_b32_e32 v13, v9
	v_lshl_add_u64 v[12:13], v[12:13], 1, s[6:7]
	s_delay_alu instid0(VALU_DEP_1)
	v_dual_cndmask_b32 v11, v13, v11 :: v_dual_cndmask_b32 v10, v12, v10
	global_load_u16 v7, v[10:11], off
	s_wait_loadcnt 0x0
	v_bfi_b32 v5, 0xffff, v7, v5
.LBB2312_16:
	s_or_b32 exec_lo, exec_lo, s2
	v_add_nc_u32_e32 v8, v8, v1
	s_mov_b32 s2, exec_lo
	s_delay_alu instid0(VALU_DEP_1)
	v_cmpx_gt_u32_e64 s11, v8
	s_cbranch_execz .LBB2312_18
; %bb.17:
	v_mov_b32_e32 v9, 0
	s_delay_alu instid0(VALU_DEP_1) | instskip(SKIP_1) | instid1(VALU_DEP_1)
	v_lshl_add_u64 v[10:11], v[8:9], 1, s[12:13]
	v_sub_co_u32 v8, vcc_lo, v8, s9
	v_lshl_add_u64 v[8:9], v[8:9], 1, s[6:7]
	s_delay_alu instid0(VALU_DEP_1)
	v_dual_cndmask_b32 v9, v9, v11 :: v_dual_cndmask_b32 v8, v8, v10
	global_load_u16 v1, v[8:9], off
	s_wait_loadcnt 0x0
	v_perm_b32 v5, v1, v5, 0x5040100
.LBB2312_18:
	s_or_b32 exec_lo, exec_lo, s2
.LBB2312_19:
	s_load_b64 s[12:13], s[0:1], 0x10
	v_dual_lshlrev_b32 v1, 3, v0 :: v_dual_lshrrev_b32 v7, 16, v2
	v_dual_lshrrev_b32 v9, 16, v3 :: v_dual_lshrrev_b32 v8, 16, v4
	v_lshrrev_b32_e32 v10, 16, v5
	s_delay_alu instid0(VALU_DEP_3)
	v_min_u32_e32 v12, s11, v1
	s_wait_xcnt 0x0
	s_mov_b32 s0, exec_lo
	ds_store_b16 v6, v2
	ds_store_b16 v6, v7 offset:256
	ds_store_b16 v6, v3 offset:512
	;; [unrolled: 1-line block ×7, first 2 shown]
	s_wait_dscnt 0x0
	s_barrier_signal -1
	v_sub_nc_u32_e64 v11, v12, s15 clamp
	v_min_u32_e32 v13, s9, v12
	s_barrier_wait -1
	s_delay_alu instid0(VALU_DEP_1)
	v_cmpx_lt_u32_e64 v11, v13
	s_cbranch_execz .LBB2312_23
; %bb.20:
	v_lshlrev_b32_e32 v14, 1, v12
	s_mov_b32 s1, 0
	s_delay_alu instid0(VALU_DEP_1)
	v_lshl_add_u32 v14, s9, 1, v14
.LBB2312_21:                            ; =>This Inner Loop Header: Depth=1
	v_add_nc_u32_e32 v15, v13, v11
	s_delay_alu instid0(VALU_DEP_1) | instskip(NEXT) | instid1(VALU_DEP_1)
	v_lshrrev_b32_e32 v16, 1, v15
	v_dual_add_nc_u32 v18, 1, v16 :: v_dual_bitop2_b32 v15, -2, v15 bitop3:0x40
	v_not_b32_e32 v17, v16
	s_delay_alu instid0(VALU_DEP_1)
	v_lshl_add_u32 v17, v17, 1, v14
	ds_load_u16 v15, v15
	ds_load_u16 v17, v17
	s_wait_dscnt 0x0
	v_cmp_gt_u16_e32 vcc_lo, v17, v15
	v_dual_cndmask_b32 v13, v13, v16, vcc_lo :: v_dual_cndmask_b32 v11, v18, v11, vcc_lo
	s_delay_alu instid0(VALU_DEP_1) | instskip(SKIP_1) | instid1(SALU_CYCLE_1)
	v_cmp_ge_u32_e32 vcc_lo, v11, v13
	s_or_b32 s1, vcc_lo, s1
	s_and_not1_b32 exec_lo, exec_lo, s1
	s_cbranch_execnz .LBB2312_21
; %bb.22:
	s_or_b32 exec_lo, exec_lo, s1
.LBB2312_23:
	s_delay_alu instid0(SALU_CYCLE_1) | instskip(SKIP_2) | instid1(VALU_DEP_2)
	s_or_b32 exec_lo, exec_lo, s0
	v_sub_nc_u32_e32 v12, v12, v11
	v_cmp_ge_u32_e32 vcc_lo, s9, v11
	v_add_nc_u32_e32 v12, s9, v12
	s_delay_alu instid0(VALU_DEP_1) | instskip(SKIP_1) | instid1(SALU_CYCLE_1)
	v_cmp_ge_u32_e64 s0, s11, v12
	s_or_b32 s0, vcc_lo, s0
	s_and_saveexec_b32 s15, s0
	s_cbranch_execz .LBB2312_29
; %bb.24:
	v_cmp_gt_u32_e32 vcc_lo, s9, v11
                                        ; implicit-def: $vgpr2
	s_and_saveexec_b32 s0, vcc_lo
; %bb.25:
	v_lshlrev_b32_e32 v2, 1, v11
	ds_load_u16 v2, v2
; %bb.26:
	s_or_b32 exec_lo, exec_lo, s0
	v_cmp_le_u32_e64 s0, s11, v12
	s_mov_b32 s2, exec_lo
                                        ; implicit-def: $vgpr3
	v_cmpx_gt_u32_e64 s11, v12
; %bb.27:
	v_lshlrev_b32_e32 v3, 1, v12
	ds_load_u16 v3, v3
; %bb.28:
	s_or_b32 exec_lo, exec_lo, s2
	s_wait_dscnt 0x0
	v_cmp_le_u16_e64 s1, v3, v2
	s_and_b32 s1, vcc_lo, s1
	s_delay_alu instid0(SALU_CYCLE_1) | instskip(SKIP_1) | instid1(VALU_DEP_1)
	s_or_b32 vcc_lo, s0, s1
	v_dual_mov_b32 v4, s9 :: v_dual_cndmask_b32 v5, v12, v11
	v_dual_cndmask_b32 v7, s11, v4, vcc_lo :: v_dual_add_nc_u32 v5, 1, v5
	s_delay_alu instid0(VALU_DEP_1) | instskip(SKIP_1) | instid1(VALU_DEP_2)
	v_add_min_u32_e64 v7, v7, -1, v5
	v_dual_cndmask_b32 v8, v11, v5 :: v_dual_cndmask_b32 v5, v5, v12
	v_lshlrev_b32_e32 v7, 1, v7
	s_delay_alu instid0(VALU_DEP_2) | instskip(NEXT) | instid1(VALU_DEP_3)
	v_cmp_gt_u32_e64 s0, s9, v8
	v_cmp_le_u32_e64 s2, s11, v5
	ds_load_u16 v7, v7
	s_wait_dscnt 0x0
	v_cndmask_b32_e32 v9, v7, v3, vcc_lo
	v_dual_cndmask_b32 v7, v2, v7 :: v_dual_cndmask_b32 v2, v3, v2
	s_delay_alu instid0(VALU_DEP_1) | instskip(SKIP_1) | instid1(SALU_CYCLE_1)
	v_cmp_le_u16_e64 s1, v9, v7
	s_and_b32 s0, s0, s1
	s_or_b32 s0, s2, s0
	s_delay_alu instid0(SALU_CYCLE_1) | instskip(NEXT) | instid1(VALU_DEP_1)
	v_cndmask_b32_e64 v10, v5, v8, s0
	v_dual_cndmask_b32 v11, s11, v4, s0 :: v_dual_add_nc_u32 v10, 1, v10
	s_delay_alu instid0(VALU_DEP_1) | instskip(SKIP_1) | instid1(VALU_DEP_2)
	v_add_min_u32_e64 v11, v11, -1, v10
	v_dual_cndmask_b32 v8, v8, v10, s0 :: v_dual_cndmask_b32 v5, v10, v5, s0
	v_lshlrev_b32_e32 v11, 1, v11
	s_delay_alu instid0(VALU_DEP_2) | instskip(NEXT) | instid1(VALU_DEP_3)
	v_cmp_gt_u32_e64 s1, s9, v8
	v_cmp_le_u32_e64 s3, s11, v5
	ds_load_u16 v11, v11
	s_wait_dscnt 0x0
	v_cndmask_b32_e64 v12, v11, v9, s0
	v_cndmask_b32_e64 v11, v7, v11, s0
	v_cndmask_b32_e64 v7, v9, v7, s0
	s_delay_alu instid0(VALU_DEP_2) | instskip(SKIP_1) | instid1(SALU_CYCLE_1)
	v_cmp_le_u16_e64 s2, v12, v11
	s_and_b32 s1, s1, s2
	s_or_b32 s1, s3, s1
	s_delay_alu instid0(SALU_CYCLE_1) | instskip(NEXT) | instid1(VALU_DEP_1)
	v_cndmask_b32_e64 v10, v5, v8, s1
	v_dual_cndmask_b32 v13, s11, v4, s1 :: v_dual_add_nc_u32 v10, 1, v10
	s_delay_alu instid0(VALU_DEP_1) | instskip(SKIP_1) | instid1(VALU_DEP_2)
	v_add_min_u32_e64 v13, v13, -1, v10
	v_dual_cndmask_b32 v8, v8, v10, s1 :: v_dual_cndmask_b32 v5, v10, v5, s1
	v_lshlrev_b32_e32 v13, 1, v13
	s_delay_alu instid0(VALU_DEP_2) | instskip(NEXT) | instid1(VALU_DEP_3)
	v_cmp_gt_u32_e64 s2, s9, v8
	v_cmp_le_u32_e64 s4, s11, v5
	ds_load_u16 v13, v13
	s_wait_dscnt 0x0
	v_dual_cndmask_b32 v14, v13, v12, s1 :: v_dual_cndmask_b32 v13, v11, v13, s1
	s_delay_alu instid0(VALU_DEP_1) | instskip(SKIP_1) | instid1(SALU_CYCLE_1)
	v_cmp_le_u16_e64 s3, v14, v13
	s_and_b32 s2, s2, s3
	s_or_b32 s2, s4, s2
	s_delay_alu instid0(SALU_CYCLE_1) | instskip(SKIP_1) | instid1(VALU_DEP_1)
	v_dual_cndmask_b32 v3, v12, v11, s1 :: v_dual_cndmask_b32 v9, v14, v13, s2
	v_cndmask_b32_e64 v10, v5, v8, s2
	v_dual_cndmask_b32 v15, s11, v4, s2 :: v_dual_add_nc_u32 v10, 1, v10
	s_delay_alu instid0(VALU_DEP_1) | instskip(NEXT) | instid1(VALU_DEP_1)
	v_add_min_u32_e64 v15, v15, -1, v10
	v_dual_lshlrev_b32 v15, 1, v15 :: v_dual_cndmask_b32 v5, v10, v5, s2
	ds_load_u16 v15, v15
	v_cndmask_b32_e64 v8, v8, v10, s2
	v_cmp_le_u32_e64 s5, s11, v5
	s_wait_dscnt 0x0
	v_dual_cndmask_b32 v16, v15, v14, s2 :: v_dual_cndmask_b32 v15, v13, v15, s2
	s_delay_alu instid0(VALU_DEP_3) | instskip(NEXT) | instid1(VALU_DEP_2)
	v_cmp_gt_u32_e64 s3, s9, v8
	v_cmp_le_u16_e64 s4, v16, v15
	s_and_b32 s3, s3, s4
	s_delay_alu instid0(SALU_CYCLE_1) | instskip(NEXT) | instid1(SALU_CYCLE_1)
	s_or_b32 s3, s5, s3
	v_cndmask_b32_e64 v10, v5, v8, s3
	s_delay_alu instid0(VALU_DEP_1) | instskip(NEXT) | instid1(VALU_DEP_1)
	v_dual_cndmask_b32 v17, s11, v4, s3 :: v_dual_add_nc_u32 v10, 1, v10
	v_add_min_u32_e64 v17, v17, -1, v10
	v_cndmask_b32_e64 v5, v10, v5, s3
	s_delay_alu instid0(VALU_DEP_2) | instskip(NEXT) | instid1(VALU_DEP_2)
	v_lshlrev_b32_e32 v17, 1, v17
	v_cmp_le_u32_e64 s6, s11, v5
	ds_load_u16 v17, v17
	s_wait_dscnt 0x0
	v_dual_cndmask_b32 v8, v8, v10, s3 :: v_dual_cndmask_b32 v18, v17, v16, s3
	v_cndmask_b32_e64 v17, v15, v17, s3
	s_delay_alu instid0(VALU_DEP_2) | instskip(NEXT) | instid1(VALU_DEP_2)
	v_cmp_gt_u32_e64 s4, s9, v8
	v_cmp_le_u16_e64 s5, v18, v17
	s_and_b32 s4, s4, s5
	s_delay_alu instid0(SALU_CYCLE_1) | instskip(NEXT) | instid1(SALU_CYCLE_1)
	s_or_b32 s4, s6, s4
	v_cndmask_b32_e64 v10, v5, v8, s4
	s_delay_alu instid0(VALU_DEP_1) | instskip(NEXT) | instid1(VALU_DEP_1)
	v_dual_cndmask_b32 v19, s11, v4, s4 :: v_dual_add_nc_u32 v10, 1, v10
	v_add_min_u32_e64 v19, v19, -1, v10
	s_delay_alu instid0(VALU_DEP_1)
	v_dual_lshlrev_b32 v19, 1, v19 :: v_dual_cndmask_b32 v5, v10, v5, s4
	ds_load_u16 v19, v19
	v_cndmask_b32_e64 v8, v8, v10, s4
	v_cmp_le_u32_e64 s7, s11, v5
	s_wait_dscnt 0x0
	v_dual_cndmask_b32 v20, v19, v18, s4 :: v_dual_cndmask_b32 v19, v17, v19, s4
	s_delay_alu instid0(VALU_DEP_3) | instskip(NEXT) | instid1(VALU_DEP_2)
	v_cmp_gt_u32_e64 s5, s9, v8
	v_cmp_le_u16_e64 s6, v20, v19
	s_and_b32 s5, s5, s6
	s_delay_alu instid0(SALU_CYCLE_1) | instskip(NEXT) | instid1(SALU_CYCLE_1)
	s_or_b32 s5, s7, s5
	v_cndmask_b32_e64 v10, v5, v8, s5
	s_delay_alu instid0(VALU_DEP_1) | instskip(NEXT) | instid1(VALU_DEP_1)
	v_dual_cndmask_b32 v4, s11, v4, s5 :: v_dual_add_nc_u32 v10, 1, v10
	v_add_min_u32_e64 v4, v4, -1, v10
	s_delay_alu instid0(VALU_DEP_1) | instskip(NEXT) | instid1(VALU_DEP_1)
	v_dual_cndmask_b32 v8, v8, v10, s5 :: v_dual_lshlrev_b32 v4, 1, v4
	v_cmp_gt_u32_e32 vcc_lo, s9, v8
	v_cndmask_b32_e64 v8, v18, v17, s4
	ds_load_u16 v4, v4
	s_wait_dscnt 0x0
	v_cndmask_b32_e64 v21, v4, v20, s5
	v_dual_cndmask_b32 v22, v19, v4, s5 :: v_dual_cndmask_b32 v4, v10, v5, s5
	s_delay_alu instid0(VALU_DEP_1) | instskip(NEXT) | instid1(VALU_DEP_2)
	v_cmp_le_u16_e64 s0, v21, v22
	v_cmp_le_u32_e64 s1, s11, v4
	v_cndmask_b32_e64 v4, v16, v15, s3
	s_and_b32 s0, vcc_lo, s0
	s_delay_alu instid0(SALU_CYCLE_1) | instskip(NEXT) | instid1(SALU_CYCLE_1)
	s_or_b32 vcc_lo, s1, s0
	v_dual_cndmask_b32 v5, v20, v19, s5 :: v_dual_cndmask_b32 v10, v21, v22, vcc_lo
.LBB2312_29:
	s_or_b32 exec_lo, exec_lo, s15
	v_lshrrev_b32_e32 v11, 1, v0
	v_or_b32_e32 v12, 0x80, v0
	v_perm_b32 v2, v7, v2, 0x5040100
	v_lshrrev_b32_e32 v7, 4, v0
	v_perm_b32 v3, v9, v3, 0x5040100
	s_delay_alu instid0(VALU_DEP_4) | instskip(SKIP_2) | instid1(VALU_DEP_3)
	v_dual_lshrrev_b32 v9, 4, v12 :: v_dual_bitop2_b32 v11, 60, v11 bitop3:0x40
	v_perm_b32 v4, v8, v4, 0x5040100
	v_perm_b32 v5, v10, v5, 0x5040100
	v_lshl_add_u32 v1, v1, 1, v11
	v_or_b32_e32 v11, 0x100, v0
	s_barrier_signal -1
	s_barrier_wait -1
	s_delay_alu instid0(VALU_DEP_1)
	v_dual_lshrrev_b32 v13, 4, v11 :: v_dual_bitop2_b32 v8, 12, v9 bitop3:0x40
	v_and_b32_e32 v7, 4, v7
	v_or_b32_e32 v9, 0x180, v0
	s_barrier_signal -1
	s_barrier_wait -1
	v_and_b32_e32 v14, 20, v13
	ds_store_2addr_b32 v1, v2, v3 offset1:1
	ds_store_2addr_b32 v1, v4, v5 offset0:2 offset1:3
	v_dual_add_nc_u32 v13, v8, v6 :: v_dual_add_nc_u32 v10, v7, v6
	v_dual_lshrrev_b32 v1, 4, v9 :: v_dual_add_nc_u32 v14, v14, v6
	v_or_b32_e32 v8, 0x200, v0
	v_or_b32_e32 v5, 0x280, v0
	;; [unrolled: 1-line block ×3, first 2 shown]
	s_delay_alu instid0(VALU_DEP_4) | instskip(SKIP_1) | instid1(VALU_DEP_4)
	v_and_b32_e32 v2, 28, v1
	v_or_b32_e32 v1, 0x380, v0
	v_dual_lshrrev_b32 v3, 4, v8 :: v_dual_lshrrev_b32 v7, 4, v5
	s_delay_alu instid0(VALU_DEP_3) | instskip(NEXT) | instid1(VALU_DEP_3)
	v_dual_lshrrev_b32 v16, 4, v4 :: v_dual_add_nc_u32 v15, v2, v6
	v_lshrrev_b32_e32 v2, 4, v1
	s_mov_b32 s11, 0
	s_delay_alu instid0(VALU_DEP_3)
	v_and_b32_e32 v3, 36, v3
	v_dual_mov_b32 v7, 0 :: v_dual_bitop2_b32 v17, 44, v7 bitop3:0x40
	s_lshl_b64 s[0:1], s[10:11], 1
	v_and_b32_e32 v18, 52, v16
	v_and_b32_e32 v19, 60, v2
	s_wait_kmcnt 0x0
	s_add_nc_u64 s[0:1], s[12:13], s[0:1]
	v_add_nc_u32_e32 v16, v3, v6
	v_add_nc_u64_e32 v[2:3], s[0:1], v[6:7]
	v_dual_add_nc_u32 v17, v17, v6 :: v_dual_add_nc_u32 v18, v18, v6
	v_add_nc_u32_e32 v19, v19, v6
	s_and_b32 vcc_lo, exec_lo, s14
	s_wait_dscnt 0x0
	s_cbranch_vccz .LBB2312_31
; %bb.30:
	s_barrier_signal -1
	s_barrier_wait -1
	ds_load_u16 v7, v10
	ds_load_u16 v20, v13 offset:256
	ds_load_u16 v21, v14 offset:512
	;; [unrolled: 1-line block ×7, first 2 shown]
	s_mov_b32 s11, -1
	s_wait_dscnt 0x7
	global_store_b16 v[2:3], v7, off
	s_wait_dscnt 0x6
	global_store_b16 v[2:3], v20, off offset:256
	s_wait_dscnt 0x5
	global_store_b16 v[2:3], v21, off offset:512
	;; [unrolled: 2-line block ×6, first 2 shown]
	s_cbranch_execz .LBB2312_32
	s_branch .LBB2312_41
.LBB2312_31:
                                        ; implicit-def: $vgpr6
.LBB2312_32:
	s_barrier_signal -1
	s_barrier_wait -1
	s_wait_storecnt_dscnt 0x0
	s_wait_xcnt 0x4
	ds_load_u16 v21, v13 offset:256
	ds_load_u16 v20, v14 offset:512
	ds_load_u16 v15, v15 offset:768
	ds_load_u16 v14, v16 offset:1024
	ds_load_u16 v13, v17 offset:1280
	ds_load_u16 v7, v18 offset:1536
	ds_load_u16 v6, v19 offset:1792
	s_sub_co_i32 s0, s8, s10
	s_mov_b32 s1, exec_lo
	s_wait_xcnt 0x0
	v_cmpx_gt_u32_e64 s0, v0
	s_cbranch_execnz .LBB2312_46
; %bb.33:
	s_or_b32 exec_lo, exec_lo, s1
	s_delay_alu instid0(SALU_CYCLE_1)
	s_mov_b32 s1, exec_lo
	v_cmpx_gt_u32_e64 s0, v12
	s_cbranch_execnz .LBB2312_47
.LBB2312_34:
	s_or_b32 exec_lo, exec_lo, s1
	s_delay_alu instid0(SALU_CYCLE_1)
	s_mov_b32 s1, exec_lo
	v_cmpx_gt_u32_e64 s0, v11
	s_cbranch_execnz .LBB2312_48
.LBB2312_35:
	s_or_b32 exec_lo, exec_lo, s1
	s_delay_alu instid0(SALU_CYCLE_1)
	s_mov_b32 s1, exec_lo
	v_cmpx_gt_u32_e64 s0, v9
	s_cbranch_execnz .LBB2312_49
.LBB2312_36:
	s_or_b32 exec_lo, exec_lo, s1
	s_delay_alu instid0(SALU_CYCLE_1)
	s_mov_b32 s1, exec_lo
	v_cmpx_gt_u32_e64 s0, v8
	s_cbranch_execnz .LBB2312_50
.LBB2312_37:
	s_or_b32 exec_lo, exec_lo, s1
	s_delay_alu instid0(SALU_CYCLE_1)
	s_mov_b32 s1, exec_lo
	v_cmpx_gt_u32_e64 s0, v5
	s_cbranch_execnz .LBB2312_51
.LBB2312_38:
	s_or_b32 exec_lo, exec_lo, s1
	s_delay_alu instid0(SALU_CYCLE_1)
	s_mov_b32 s1, exec_lo
	v_cmpx_gt_u32_e64 s0, v4
	s_cbranch_execz .LBB2312_40
.LBB2312_39:
	s_wait_dscnt 0x1
	global_store_b16 v[2:3], v7, off offset:1536
.LBB2312_40:
	s_wait_xcnt 0x0
	s_or_b32 exec_lo, exec_lo, s1
	v_cmp_gt_u32_e64 s11, s0, v1
.LBB2312_41:
	s_wait_xcnt 0x0
	s_delay_alu instid0(VALU_DEP_1)
	s_and_saveexec_b32 s0, s11
	s_cbranch_execz .LBB2312_43
; %bb.42:
	s_wait_dscnt 0x0
	global_store_b16 v[2:3], v6, off offset:1792
.LBB2312_43:
	s_endpgm
.LBB2312_44:
	v_dual_mov_b32 v7, v2 :: v_dual_mov_b32 v5, v2
	v_sub_co_u32 v4, vcc_lo, v0, s9
	v_mov_b32_e32 v15, v2
	s_delay_alu instid0(VALU_DEP_3) | instskip(SKIP_1) | instid1(VALU_DEP_4)
	v_add_nc_u64_e32 v[12:13], s[12:13], v[6:7]
	v_mov_b32_e32 v14, v2
	v_lshl_add_u64 v[4:5], v[4:5], 1, s[6:7]
	s_delay_alu instid0(VALU_DEP_1) | instskip(SKIP_4) | instid1(VALU_DEP_1)
	v_dual_cndmask_b32 v5, v5, v13 :: v_dual_cndmask_b32 v4, v4, v12
	v_mov_b32_e32 v13, v2
	global_load_u16 v3, v[4:5], off
	s_wait_loadcnt 0x0
	v_and_b32_e32 v12, 0xffff, v3
	v_mov_b64_e32 v[2:3], v[12:13]
	v_mov_b64_e32 v[4:5], v[14:15]
	s_or_b32 exec_lo, exec_lo, s2
	s_delay_alu instid0(SALU_CYCLE_1)
	s_mov_b32 s2, exec_lo
	v_cmpx_gt_u32_e64 s11, v10
	s_cbranch_execz .LBB2312_6
.LBB2312_45:
	v_mov_b32_e32 v11, 0
	s_delay_alu instid0(VALU_DEP_1) | instskip(SKIP_1) | instid1(VALU_DEP_1)
	v_lshl_add_u64 v[12:13], v[10:11], 1, s[12:13]
	v_sub_co_u32 v10, vcc_lo, v10, s9
	v_lshl_add_u64 v[10:11], v[10:11], 1, s[6:7]
	s_delay_alu instid0(VALU_DEP_1) | instskip(SKIP_4) | instid1(SALU_CYCLE_1)
	v_dual_cndmask_b32 v11, v11, v13 :: v_dual_cndmask_b32 v10, v10, v12
	global_load_u16 v7, v[10:11], off
	s_wait_loadcnt 0x0
	v_perm_b32 v2, v7, v2, 0x5040100
	s_or_b32 exec_lo, exec_lo, s2
	s_mov_b32 s2, exec_lo
	v_cmpx_gt_u32_e64 s11, v8
	s_cbranch_execnz .LBB2312_7
	s_branch .LBB2312_8
.LBB2312_46:
	ds_load_u16 v0, v10
	s_wait_dscnt 0x0
	global_store_b16 v[2:3], v0, off
	s_wait_xcnt 0x0
	s_or_b32 exec_lo, exec_lo, s1
	s_delay_alu instid0(SALU_CYCLE_1)
	s_mov_b32 s1, exec_lo
	v_cmpx_gt_u32_e64 s0, v12
	s_cbranch_execz .LBB2312_34
.LBB2312_47:
	s_wait_dscnt 0x6
	global_store_b16 v[2:3], v21, off offset:256
	s_wait_xcnt 0x0
	s_or_b32 exec_lo, exec_lo, s1
	s_delay_alu instid0(SALU_CYCLE_1)
	s_mov_b32 s1, exec_lo
	v_cmpx_gt_u32_e64 s0, v11
	s_cbranch_execz .LBB2312_35
.LBB2312_48:
	s_wait_dscnt 0x5
	global_store_b16 v[2:3], v20, off offset:512
	s_wait_xcnt 0x0
	s_or_b32 exec_lo, exec_lo, s1
	s_delay_alu instid0(SALU_CYCLE_1)
	s_mov_b32 s1, exec_lo
	v_cmpx_gt_u32_e64 s0, v9
	s_cbranch_execz .LBB2312_36
.LBB2312_49:
	s_wait_dscnt 0x4
	global_store_b16 v[2:3], v15, off offset:768
	s_wait_xcnt 0x0
	s_or_b32 exec_lo, exec_lo, s1
	s_delay_alu instid0(SALU_CYCLE_1)
	s_mov_b32 s1, exec_lo
	v_cmpx_gt_u32_e64 s0, v8
	s_cbranch_execz .LBB2312_37
.LBB2312_50:
	s_wait_dscnt 0x3
	global_store_b16 v[2:3], v14, off offset:1024
	s_wait_xcnt 0x0
	s_or_b32 exec_lo, exec_lo, s1
	s_delay_alu instid0(SALU_CYCLE_1)
	s_mov_b32 s1, exec_lo
	v_cmpx_gt_u32_e64 s0, v5
	s_cbranch_execz .LBB2312_38
.LBB2312_51:
	s_wait_dscnt 0x2
	global_store_b16 v[2:3], v13, off offset:1280
	s_wait_xcnt 0x0
	s_or_b32 exec_lo, exec_lo, s1
	s_delay_alu instid0(SALU_CYCLE_1)
	s_mov_b32 s1, exec_lo
	v_cmpx_gt_u32_e64 s0, v4
	s_cbranch_execnz .LBB2312_39
	s_branch .LBB2312_40
	.section	.rodata,"a",@progbits
	.p2align	6, 0x0
	.amdhsa_kernel _ZN7rocprim17ROCPRIM_400000_NS6detail17trampoline_kernelINS0_14default_configENS1_38merge_sort_block_merge_config_selectorItNS0_10empty_typeEEEZZNS1_27merge_sort_block_merge_implIS3_PtPS5_jNS1_19radix_merge_compareILb1ELb0EtNS0_19identity_decomposerEEEEE10hipError_tT0_T1_T2_jT3_P12ihipStream_tbPNSt15iterator_traitsISE_E10value_typeEPNSK_ISF_E10value_typeEPSG_NS1_7vsmem_tEENKUlT_SE_SF_SG_E_clIS8_S8_S9_S9_EESD_ST_SE_SF_SG_EUlST_E0_NS1_11comp_targetILNS1_3genE0ELNS1_11target_archE4294967295ELNS1_3gpuE0ELNS1_3repE0EEENS1_38merge_mergepath_config_static_selectorELNS0_4arch9wavefront6targetE0EEEvSF_
		.amdhsa_group_segment_fixed_size 2112
		.amdhsa_private_segment_fixed_size 0
		.amdhsa_kernarg_size 320
		.amdhsa_user_sgpr_count 2
		.amdhsa_user_sgpr_dispatch_ptr 0
		.amdhsa_user_sgpr_queue_ptr 0
		.amdhsa_user_sgpr_kernarg_segment_ptr 1
		.amdhsa_user_sgpr_dispatch_id 0
		.amdhsa_user_sgpr_kernarg_preload_length 0
		.amdhsa_user_sgpr_kernarg_preload_offset 0
		.amdhsa_user_sgpr_private_segment_size 0
		.amdhsa_wavefront_size32 1
		.amdhsa_uses_dynamic_stack 0
		.amdhsa_enable_private_segment 0
		.amdhsa_system_sgpr_workgroup_id_x 1
		.amdhsa_system_sgpr_workgroup_id_y 1
		.amdhsa_system_sgpr_workgroup_id_z 1
		.amdhsa_system_sgpr_workgroup_info 0
		.amdhsa_system_vgpr_workitem_id 0
		.amdhsa_next_free_vgpr 27
		.amdhsa_next_free_sgpr 23
		.amdhsa_named_barrier_count 0
		.amdhsa_reserve_vcc 1
		.amdhsa_float_round_mode_32 0
		.amdhsa_float_round_mode_16_64 0
		.amdhsa_float_denorm_mode_32 3
		.amdhsa_float_denorm_mode_16_64 3
		.amdhsa_fp16_overflow 0
		.amdhsa_memory_ordered 1
		.amdhsa_forward_progress 1
		.amdhsa_inst_pref_size 34
		.amdhsa_round_robin_scheduling 0
		.amdhsa_exception_fp_ieee_invalid_op 0
		.amdhsa_exception_fp_denorm_src 0
		.amdhsa_exception_fp_ieee_div_zero 0
		.amdhsa_exception_fp_ieee_overflow 0
		.amdhsa_exception_fp_ieee_underflow 0
		.amdhsa_exception_fp_ieee_inexact 0
		.amdhsa_exception_int_div_zero 0
	.end_amdhsa_kernel
	.section	.text._ZN7rocprim17ROCPRIM_400000_NS6detail17trampoline_kernelINS0_14default_configENS1_38merge_sort_block_merge_config_selectorItNS0_10empty_typeEEEZZNS1_27merge_sort_block_merge_implIS3_PtPS5_jNS1_19radix_merge_compareILb1ELb0EtNS0_19identity_decomposerEEEEE10hipError_tT0_T1_T2_jT3_P12ihipStream_tbPNSt15iterator_traitsISE_E10value_typeEPNSK_ISF_E10value_typeEPSG_NS1_7vsmem_tEENKUlT_SE_SF_SG_E_clIS8_S8_S9_S9_EESD_ST_SE_SF_SG_EUlST_E0_NS1_11comp_targetILNS1_3genE0ELNS1_11target_archE4294967295ELNS1_3gpuE0ELNS1_3repE0EEENS1_38merge_mergepath_config_static_selectorELNS0_4arch9wavefront6targetE0EEEvSF_,"axG",@progbits,_ZN7rocprim17ROCPRIM_400000_NS6detail17trampoline_kernelINS0_14default_configENS1_38merge_sort_block_merge_config_selectorItNS0_10empty_typeEEEZZNS1_27merge_sort_block_merge_implIS3_PtPS5_jNS1_19radix_merge_compareILb1ELb0EtNS0_19identity_decomposerEEEEE10hipError_tT0_T1_T2_jT3_P12ihipStream_tbPNSt15iterator_traitsISE_E10value_typeEPNSK_ISF_E10value_typeEPSG_NS1_7vsmem_tEENKUlT_SE_SF_SG_E_clIS8_S8_S9_S9_EESD_ST_SE_SF_SG_EUlST_E0_NS1_11comp_targetILNS1_3genE0ELNS1_11target_archE4294967295ELNS1_3gpuE0ELNS1_3repE0EEENS1_38merge_mergepath_config_static_selectorELNS0_4arch9wavefront6targetE0EEEvSF_,comdat
.Lfunc_end2312:
	.size	_ZN7rocprim17ROCPRIM_400000_NS6detail17trampoline_kernelINS0_14default_configENS1_38merge_sort_block_merge_config_selectorItNS0_10empty_typeEEEZZNS1_27merge_sort_block_merge_implIS3_PtPS5_jNS1_19radix_merge_compareILb1ELb0EtNS0_19identity_decomposerEEEEE10hipError_tT0_T1_T2_jT3_P12ihipStream_tbPNSt15iterator_traitsISE_E10value_typeEPNSK_ISF_E10value_typeEPSG_NS1_7vsmem_tEENKUlT_SE_SF_SG_E_clIS8_S8_S9_S9_EESD_ST_SE_SF_SG_EUlST_E0_NS1_11comp_targetILNS1_3genE0ELNS1_11target_archE4294967295ELNS1_3gpuE0ELNS1_3repE0EEENS1_38merge_mergepath_config_static_selectorELNS0_4arch9wavefront6targetE0EEEvSF_, .Lfunc_end2312-_ZN7rocprim17ROCPRIM_400000_NS6detail17trampoline_kernelINS0_14default_configENS1_38merge_sort_block_merge_config_selectorItNS0_10empty_typeEEEZZNS1_27merge_sort_block_merge_implIS3_PtPS5_jNS1_19radix_merge_compareILb1ELb0EtNS0_19identity_decomposerEEEEE10hipError_tT0_T1_T2_jT3_P12ihipStream_tbPNSt15iterator_traitsISE_E10value_typeEPNSK_ISF_E10value_typeEPSG_NS1_7vsmem_tEENKUlT_SE_SF_SG_E_clIS8_S8_S9_S9_EESD_ST_SE_SF_SG_EUlST_E0_NS1_11comp_targetILNS1_3genE0ELNS1_11target_archE4294967295ELNS1_3gpuE0ELNS1_3repE0EEENS1_38merge_mergepath_config_static_selectorELNS0_4arch9wavefront6targetE0EEEvSF_
                                        ; -- End function
	.set _ZN7rocprim17ROCPRIM_400000_NS6detail17trampoline_kernelINS0_14default_configENS1_38merge_sort_block_merge_config_selectorItNS0_10empty_typeEEEZZNS1_27merge_sort_block_merge_implIS3_PtPS5_jNS1_19radix_merge_compareILb1ELb0EtNS0_19identity_decomposerEEEEE10hipError_tT0_T1_T2_jT3_P12ihipStream_tbPNSt15iterator_traitsISE_E10value_typeEPNSK_ISF_E10value_typeEPSG_NS1_7vsmem_tEENKUlT_SE_SF_SG_E_clIS8_S8_S9_S9_EESD_ST_SE_SF_SG_EUlST_E0_NS1_11comp_targetILNS1_3genE0ELNS1_11target_archE4294967295ELNS1_3gpuE0ELNS1_3repE0EEENS1_38merge_mergepath_config_static_selectorELNS0_4arch9wavefront6targetE0EEEvSF_.num_vgpr, 27
	.set _ZN7rocprim17ROCPRIM_400000_NS6detail17trampoline_kernelINS0_14default_configENS1_38merge_sort_block_merge_config_selectorItNS0_10empty_typeEEEZZNS1_27merge_sort_block_merge_implIS3_PtPS5_jNS1_19radix_merge_compareILb1ELb0EtNS0_19identity_decomposerEEEEE10hipError_tT0_T1_T2_jT3_P12ihipStream_tbPNSt15iterator_traitsISE_E10value_typeEPNSK_ISF_E10value_typeEPSG_NS1_7vsmem_tEENKUlT_SE_SF_SG_E_clIS8_S8_S9_S9_EESD_ST_SE_SF_SG_EUlST_E0_NS1_11comp_targetILNS1_3genE0ELNS1_11target_archE4294967295ELNS1_3gpuE0ELNS1_3repE0EEENS1_38merge_mergepath_config_static_selectorELNS0_4arch9wavefront6targetE0EEEvSF_.num_agpr, 0
	.set _ZN7rocprim17ROCPRIM_400000_NS6detail17trampoline_kernelINS0_14default_configENS1_38merge_sort_block_merge_config_selectorItNS0_10empty_typeEEEZZNS1_27merge_sort_block_merge_implIS3_PtPS5_jNS1_19radix_merge_compareILb1ELb0EtNS0_19identity_decomposerEEEEE10hipError_tT0_T1_T2_jT3_P12ihipStream_tbPNSt15iterator_traitsISE_E10value_typeEPNSK_ISF_E10value_typeEPSG_NS1_7vsmem_tEENKUlT_SE_SF_SG_E_clIS8_S8_S9_S9_EESD_ST_SE_SF_SG_EUlST_E0_NS1_11comp_targetILNS1_3genE0ELNS1_11target_archE4294967295ELNS1_3gpuE0ELNS1_3repE0EEENS1_38merge_mergepath_config_static_selectorELNS0_4arch9wavefront6targetE0EEEvSF_.numbered_sgpr, 23
	.set _ZN7rocprim17ROCPRIM_400000_NS6detail17trampoline_kernelINS0_14default_configENS1_38merge_sort_block_merge_config_selectorItNS0_10empty_typeEEEZZNS1_27merge_sort_block_merge_implIS3_PtPS5_jNS1_19radix_merge_compareILb1ELb0EtNS0_19identity_decomposerEEEEE10hipError_tT0_T1_T2_jT3_P12ihipStream_tbPNSt15iterator_traitsISE_E10value_typeEPNSK_ISF_E10value_typeEPSG_NS1_7vsmem_tEENKUlT_SE_SF_SG_E_clIS8_S8_S9_S9_EESD_ST_SE_SF_SG_EUlST_E0_NS1_11comp_targetILNS1_3genE0ELNS1_11target_archE4294967295ELNS1_3gpuE0ELNS1_3repE0EEENS1_38merge_mergepath_config_static_selectorELNS0_4arch9wavefront6targetE0EEEvSF_.num_named_barrier, 0
	.set _ZN7rocprim17ROCPRIM_400000_NS6detail17trampoline_kernelINS0_14default_configENS1_38merge_sort_block_merge_config_selectorItNS0_10empty_typeEEEZZNS1_27merge_sort_block_merge_implIS3_PtPS5_jNS1_19radix_merge_compareILb1ELb0EtNS0_19identity_decomposerEEEEE10hipError_tT0_T1_T2_jT3_P12ihipStream_tbPNSt15iterator_traitsISE_E10value_typeEPNSK_ISF_E10value_typeEPSG_NS1_7vsmem_tEENKUlT_SE_SF_SG_E_clIS8_S8_S9_S9_EESD_ST_SE_SF_SG_EUlST_E0_NS1_11comp_targetILNS1_3genE0ELNS1_11target_archE4294967295ELNS1_3gpuE0ELNS1_3repE0EEENS1_38merge_mergepath_config_static_selectorELNS0_4arch9wavefront6targetE0EEEvSF_.private_seg_size, 0
	.set _ZN7rocprim17ROCPRIM_400000_NS6detail17trampoline_kernelINS0_14default_configENS1_38merge_sort_block_merge_config_selectorItNS0_10empty_typeEEEZZNS1_27merge_sort_block_merge_implIS3_PtPS5_jNS1_19radix_merge_compareILb1ELb0EtNS0_19identity_decomposerEEEEE10hipError_tT0_T1_T2_jT3_P12ihipStream_tbPNSt15iterator_traitsISE_E10value_typeEPNSK_ISF_E10value_typeEPSG_NS1_7vsmem_tEENKUlT_SE_SF_SG_E_clIS8_S8_S9_S9_EESD_ST_SE_SF_SG_EUlST_E0_NS1_11comp_targetILNS1_3genE0ELNS1_11target_archE4294967295ELNS1_3gpuE0ELNS1_3repE0EEENS1_38merge_mergepath_config_static_selectorELNS0_4arch9wavefront6targetE0EEEvSF_.uses_vcc, 1
	.set _ZN7rocprim17ROCPRIM_400000_NS6detail17trampoline_kernelINS0_14default_configENS1_38merge_sort_block_merge_config_selectorItNS0_10empty_typeEEEZZNS1_27merge_sort_block_merge_implIS3_PtPS5_jNS1_19radix_merge_compareILb1ELb0EtNS0_19identity_decomposerEEEEE10hipError_tT0_T1_T2_jT3_P12ihipStream_tbPNSt15iterator_traitsISE_E10value_typeEPNSK_ISF_E10value_typeEPSG_NS1_7vsmem_tEENKUlT_SE_SF_SG_E_clIS8_S8_S9_S9_EESD_ST_SE_SF_SG_EUlST_E0_NS1_11comp_targetILNS1_3genE0ELNS1_11target_archE4294967295ELNS1_3gpuE0ELNS1_3repE0EEENS1_38merge_mergepath_config_static_selectorELNS0_4arch9wavefront6targetE0EEEvSF_.uses_flat_scratch, 0
	.set _ZN7rocprim17ROCPRIM_400000_NS6detail17trampoline_kernelINS0_14default_configENS1_38merge_sort_block_merge_config_selectorItNS0_10empty_typeEEEZZNS1_27merge_sort_block_merge_implIS3_PtPS5_jNS1_19radix_merge_compareILb1ELb0EtNS0_19identity_decomposerEEEEE10hipError_tT0_T1_T2_jT3_P12ihipStream_tbPNSt15iterator_traitsISE_E10value_typeEPNSK_ISF_E10value_typeEPSG_NS1_7vsmem_tEENKUlT_SE_SF_SG_E_clIS8_S8_S9_S9_EESD_ST_SE_SF_SG_EUlST_E0_NS1_11comp_targetILNS1_3genE0ELNS1_11target_archE4294967295ELNS1_3gpuE0ELNS1_3repE0EEENS1_38merge_mergepath_config_static_selectorELNS0_4arch9wavefront6targetE0EEEvSF_.has_dyn_sized_stack, 0
	.set _ZN7rocprim17ROCPRIM_400000_NS6detail17trampoline_kernelINS0_14default_configENS1_38merge_sort_block_merge_config_selectorItNS0_10empty_typeEEEZZNS1_27merge_sort_block_merge_implIS3_PtPS5_jNS1_19radix_merge_compareILb1ELb0EtNS0_19identity_decomposerEEEEE10hipError_tT0_T1_T2_jT3_P12ihipStream_tbPNSt15iterator_traitsISE_E10value_typeEPNSK_ISF_E10value_typeEPSG_NS1_7vsmem_tEENKUlT_SE_SF_SG_E_clIS8_S8_S9_S9_EESD_ST_SE_SF_SG_EUlST_E0_NS1_11comp_targetILNS1_3genE0ELNS1_11target_archE4294967295ELNS1_3gpuE0ELNS1_3repE0EEENS1_38merge_mergepath_config_static_selectorELNS0_4arch9wavefront6targetE0EEEvSF_.has_recursion, 0
	.set _ZN7rocprim17ROCPRIM_400000_NS6detail17trampoline_kernelINS0_14default_configENS1_38merge_sort_block_merge_config_selectorItNS0_10empty_typeEEEZZNS1_27merge_sort_block_merge_implIS3_PtPS5_jNS1_19radix_merge_compareILb1ELb0EtNS0_19identity_decomposerEEEEE10hipError_tT0_T1_T2_jT3_P12ihipStream_tbPNSt15iterator_traitsISE_E10value_typeEPNSK_ISF_E10value_typeEPSG_NS1_7vsmem_tEENKUlT_SE_SF_SG_E_clIS8_S8_S9_S9_EESD_ST_SE_SF_SG_EUlST_E0_NS1_11comp_targetILNS1_3genE0ELNS1_11target_archE4294967295ELNS1_3gpuE0ELNS1_3repE0EEENS1_38merge_mergepath_config_static_selectorELNS0_4arch9wavefront6targetE0EEEvSF_.has_indirect_call, 0
	.section	.AMDGPU.csdata,"",@progbits
; Kernel info:
; codeLenInByte = 4336
; TotalNumSgprs: 25
; NumVgprs: 27
; ScratchSize: 0
; MemoryBound: 0
; FloatMode: 240
; IeeeMode: 1
; LDSByteSize: 2112 bytes/workgroup (compile time only)
; SGPRBlocks: 0
; VGPRBlocks: 1
; NumSGPRsForWavesPerEU: 25
; NumVGPRsForWavesPerEU: 27
; NamedBarCnt: 0
; Occupancy: 16
; WaveLimiterHint : 1
; COMPUTE_PGM_RSRC2:SCRATCH_EN: 0
; COMPUTE_PGM_RSRC2:USER_SGPR: 2
; COMPUTE_PGM_RSRC2:TRAP_HANDLER: 0
; COMPUTE_PGM_RSRC2:TGID_X_EN: 1
; COMPUTE_PGM_RSRC2:TGID_Y_EN: 1
; COMPUTE_PGM_RSRC2:TGID_Z_EN: 1
; COMPUTE_PGM_RSRC2:TIDIG_COMP_CNT: 0
	.section	.text._ZN7rocprim17ROCPRIM_400000_NS6detail17trampoline_kernelINS0_14default_configENS1_38merge_sort_block_merge_config_selectorItNS0_10empty_typeEEEZZNS1_27merge_sort_block_merge_implIS3_PtPS5_jNS1_19radix_merge_compareILb1ELb0EtNS0_19identity_decomposerEEEEE10hipError_tT0_T1_T2_jT3_P12ihipStream_tbPNSt15iterator_traitsISE_E10value_typeEPNSK_ISF_E10value_typeEPSG_NS1_7vsmem_tEENKUlT_SE_SF_SG_E_clIS8_S8_S9_S9_EESD_ST_SE_SF_SG_EUlST_E0_NS1_11comp_targetILNS1_3genE10ELNS1_11target_archE1201ELNS1_3gpuE5ELNS1_3repE0EEENS1_38merge_mergepath_config_static_selectorELNS0_4arch9wavefront6targetE0EEEvSF_,"axG",@progbits,_ZN7rocprim17ROCPRIM_400000_NS6detail17trampoline_kernelINS0_14default_configENS1_38merge_sort_block_merge_config_selectorItNS0_10empty_typeEEEZZNS1_27merge_sort_block_merge_implIS3_PtPS5_jNS1_19radix_merge_compareILb1ELb0EtNS0_19identity_decomposerEEEEE10hipError_tT0_T1_T2_jT3_P12ihipStream_tbPNSt15iterator_traitsISE_E10value_typeEPNSK_ISF_E10value_typeEPSG_NS1_7vsmem_tEENKUlT_SE_SF_SG_E_clIS8_S8_S9_S9_EESD_ST_SE_SF_SG_EUlST_E0_NS1_11comp_targetILNS1_3genE10ELNS1_11target_archE1201ELNS1_3gpuE5ELNS1_3repE0EEENS1_38merge_mergepath_config_static_selectorELNS0_4arch9wavefront6targetE0EEEvSF_,comdat
	.protected	_ZN7rocprim17ROCPRIM_400000_NS6detail17trampoline_kernelINS0_14default_configENS1_38merge_sort_block_merge_config_selectorItNS0_10empty_typeEEEZZNS1_27merge_sort_block_merge_implIS3_PtPS5_jNS1_19radix_merge_compareILb1ELb0EtNS0_19identity_decomposerEEEEE10hipError_tT0_T1_T2_jT3_P12ihipStream_tbPNSt15iterator_traitsISE_E10value_typeEPNSK_ISF_E10value_typeEPSG_NS1_7vsmem_tEENKUlT_SE_SF_SG_E_clIS8_S8_S9_S9_EESD_ST_SE_SF_SG_EUlST_E0_NS1_11comp_targetILNS1_3genE10ELNS1_11target_archE1201ELNS1_3gpuE5ELNS1_3repE0EEENS1_38merge_mergepath_config_static_selectorELNS0_4arch9wavefront6targetE0EEEvSF_ ; -- Begin function _ZN7rocprim17ROCPRIM_400000_NS6detail17trampoline_kernelINS0_14default_configENS1_38merge_sort_block_merge_config_selectorItNS0_10empty_typeEEEZZNS1_27merge_sort_block_merge_implIS3_PtPS5_jNS1_19radix_merge_compareILb1ELb0EtNS0_19identity_decomposerEEEEE10hipError_tT0_T1_T2_jT3_P12ihipStream_tbPNSt15iterator_traitsISE_E10value_typeEPNSK_ISF_E10value_typeEPSG_NS1_7vsmem_tEENKUlT_SE_SF_SG_E_clIS8_S8_S9_S9_EESD_ST_SE_SF_SG_EUlST_E0_NS1_11comp_targetILNS1_3genE10ELNS1_11target_archE1201ELNS1_3gpuE5ELNS1_3repE0EEENS1_38merge_mergepath_config_static_selectorELNS0_4arch9wavefront6targetE0EEEvSF_
	.globl	_ZN7rocprim17ROCPRIM_400000_NS6detail17trampoline_kernelINS0_14default_configENS1_38merge_sort_block_merge_config_selectorItNS0_10empty_typeEEEZZNS1_27merge_sort_block_merge_implIS3_PtPS5_jNS1_19radix_merge_compareILb1ELb0EtNS0_19identity_decomposerEEEEE10hipError_tT0_T1_T2_jT3_P12ihipStream_tbPNSt15iterator_traitsISE_E10value_typeEPNSK_ISF_E10value_typeEPSG_NS1_7vsmem_tEENKUlT_SE_SF_SG_E_clIS8_S8_S9_S9_EESD_ST_SE_SF_SG_EUlST_E0_NS1_11comp_targetILNS1_3genE10ELNS1_11target_archE1201ELNS1_3gpuE5ELNS1_3repE0EEENS1_38merge_mergepath_config_static_selectorELNS0_4arch9wavefront6targetE0EEEvSF_
	.p2align	8
	.type	_ZN7rocprim17ROCPRIM_400000_NS6detail17trampoline_kernelINS0_14default_configENS1_38merge_sort_block_merge_config_selectorItNS0_10empty_typeEEEZZNS1_27merge_sort_block_merge_implIS3_PtPS5_jNS1_19radix_merge_compareILb1ELb0EtNS0_19identity_decomposerEEEEE10hipError_tT0_T1_T2_jT3_P12ihipStream_tbPNSt15iterator_traitsISE_E10value_typeEPNSK_ISF_E10value_typeEPSG_NS1_7vsmem_tEENKUlT_SE_SF_SG_E_clIS8_S8_S9_S9_EESD_ST_SE_SF_SG_EUlST_E0_NS1_11comp_targetILNS1_3genE10ELNS1_11target_archE1201ELNS1_3gpuE5ELNS1_3repE0EEENS1_38merge_mergepath_config_static_selectorELNS0_4arch9wavefront6targetE0EEEvSF_,@function
_ZN7rocprim17ROCPRIM_400000_NS6detail17trampoline_kernelINS0_14default_configENS1_38merge_sort_block_merge_config_selectorItNS0_10empty_typeEEEZZNS1_27merge_sort_block_merge_implIS3_PtPS5_jNS1_19radix_merge_compareILb1ELb0EtNS0_19identity_decomposerEEEEE10hipError_tT0_T1_T2_jT3_P12ihipStream_tbPNSt15iterator_traitsISE_E10value_typeEPNSK_ISF_E10value_typeEPSG_NS1_7vsmem_tEENKUlT_SE_SF_SG_E_clIS8_S8_S9_S9_EESD_ST_SE_SF_SG_EUlST_E0_NS1_11comp_targetILNS1_3genE10ELNS1_11target_archE1201ELNS1_3gpuE5ELNS1_3repE0EEENS1_38merge_mergepath_config_static_selectorELNS0_4arch9wavefront6targetE0EEEvSF_: ; @_ZN7rocprim17ROCPRIM_400000_NS6detail17trampoline_kernelINS0_14default_configENS1_38merge_sort_block_merge_config_selectorItNS0_10empty_typeEEEZZNS1_27merge_sort_block_merge_implIS3_PtPS5_jNS1_19radix_merge_compareILb1ELb0EtNS0_19identity_decomposerEEEEE10hipError_tT0_T1_T2_jT3_P12ihipStream_tbPNSt15iterator_traitsISE_E10value_typeEPNSK_ISF_E10value_typeEPSG_NS1_7vsmem_tEENKUlT_SE_SF_SG_E_clIS8_S8_S9_S9_EESD_ST_SE_SF_SG_EUlST_E0_NS1_11comp_targetILNS1_3genE10ELNS1_11target_archE1201ELNS1_3gpuE5ELNS1_3repE0EEENS1_38merge_mergepath_config_static_selectorELNS0_4arch9wavefront6targetE0EEEvSF_
; %bb.0:
	.section	.rodata,"a",@progbits
	.p2align	6, 0x0
	.amdhsa_kernel _ZN7rocprim17ROCPRIM_400000_NS6detail17trampoline_kernelINS0_14default_configENS1_38merge_sort_block_merge_config_selectorItNS0_10empty_typeEEEZZNS1_27merge_sort_block_merge_implIS3_PtPS5_jNS1_19radix_merge_compareILb1ELb0EtNS0_19identity_decomposerEEEEE10hipError_tT0_T1_T2_jT3_P12ihipStream_tbPNSt15iterator_traitsISE_E10value_typeEPNSK_ISF_E10value_typeEPSG_NS1_7vsmem_tEENKUlT_SE_SF_SG_E_clIS8_S8_S9_S9_EESD_ST_SE_SF_SG_EUlST_E0_NS1_11comp_targetILNS1_3genE10ELNS1_11target_archE1201ELNS1_3gpuE5ELNS1_3repE0EEENS1_38merge_mergepath_config_static_selectorELNS0_4arch9wavefront6targetE0EEEvSF_
		.amdhsa_group_segment_fixed_size 0
		.amdhsa_private_segment_fixed_size 0
		.amdhsa_kernarg_size 64
		.amdhsa_user_sgpr_count 2
		.amdhsa_user_sgpr_dispatch_ptr 0
		.amdhsa_user_sgpr_queue_ptr 0
		.amdhsa_user_sgpr_kernarg_segment_ptr 1
		.amdhsa_user_sgpr_dispatch_id 0
		.amdhsa_user_sgpr_kernarg_preload_length 0
		.amdhsa_user_sgpr_kernarg_preload_offset 0
		.amdhsa_user_sgpr_private_segment_size 0
		.amdhsa_wavefront_size32 1
		.amdhsa_uses_dynamic_stack 0
		.amdhsa_enable_private_segment 0
		.amdhsa_system_sgpr_workgroup_id_x 1
		.amdhsa_system_sgpr_workgroup_id_y 0
		.amdhsa_system_sgpr_workgroup_id_z 0
		.amdhsa_system_sgpr_workgroup_info 0
		.amdhsa_system_vgpr_workitem_id 0
		.amdhsa_next_free_vgpr 1
		.amdhsa_next_free_sgpr 1
		.amdhsa_named_barrier_count 0
		.amdhsa_reserve_vcc 0
		.amdhsa_float_round_mode_32 0
		.amdhsa_float_round_mode_16_64 0
		.amdhsa_float_denorm_mode_32 3
		.amdhsa_float_denorm_mode_16_64 3
		.amdhsa_fp16_overflow 0
		.amdhsa_memory_ordered 1
		.amdhsa_forward_progress 1
		.amdhsa_inst_pref_size 0
		.amdhsa_round_robin_scheduling 0
		.amdhsa_exception_fp_ieee_invalid_op 0
		.amdhsa_exception_fp_denorm_src 0
		.amdhsa_exception_fp_ieee_div_zero 0
		.amdhsa_exception_fp_ieee_overflow 0
		.amdhsa_exception_fp_ieee_underflow 0
		.amdhsa_exception_fp_ieee_inexact 0
		.amdhsa_exception_int_div_zero 0
	.end_amdhsa_kernel
	.section	.text._ZN7rocprim17ROCPRIM_400000_NS6detail17trampoline_kernelINS0_14default_configENS1_38merge_sort_block_merge_config_selectorItNS0_10empty_typeEEEZZNS1_27merge_sort_block_merge_implIS3_PtPS5_jNS1_19radix_merge_compareILb1ELb0EtNS0_19identity_decomposerEEEEE10hipError_tT0_T1_T2_jT3_P12ihipStream_tbPNSt15iterator_traitsISE_E10value_typeEPNSK_ISF_E10value_typeEPSG_NS1_7vsmem_tEENKUlT_SE_SF_SG_E_clIS8_S8_S9_S9_EESD_ST_SE_SF_SG_EUlST_E0_NS1_11comp_targetILNS1_3genE10ELNS1_11target_archE1201ELNS1_3gpuE5ELNS1_3repE0EEENS1_38merge_mergepath_config_static_selectorELNS0_4arch9wavefront6targetE0EEEvSF_,"axG",@progbits,_ZN7rocprim17ROCPRIM_400000_NS6detail17trampoline_kernelINS0_14default_configENS1_38merge_sort_block_merge_config_selectorItNS0_10empty_typeEEEZZNS1_27merge_sort_block_merge_implIS3_PtPS5_jNS1_19radix_merge_compareILb1ELb0EtNS0_19identity_decomposerEEEEE10hipError_tT0_T1_T2_jT3_P12ihipStream_tbPNSt15iterator_traitsISE_E10value_typeEPNSK_ISF_E10value_typeEPSG_NS1_7vsmem_tEENKUlT_SE_SF_SG_E_clIS8_S8_S9_S9_EESD_ST_SE_SF_SG_EUlST_E0_NS1_11comp_targetILNS1_3genE10ELNS1_11target_archE1201ELNS1_3gpuE5ELNS1_3repE0EEENS1_38merge_mergepath_config_static_selectorELNS0_4arch9wavefront6targetE0EEEvSF_,comdat
.Lfunc_end2313:
	.size	_ZN7rocprim17ROCPRIM_400000_NS6detail17trampoline_kernelINS0_14default_configENS1_38merge_sort_block_merge_config_selectorItNS0_10empty_typeEEEZZNS1_27merge_sort_block_merge_implIS3_PtPS5_jNS1_19radix_merge_compareILb1ELb0EtNS0_19identity_decomposerEEEEE10hipError_tT0_T1_T2_jT3_P12ihipStream_tbPNSt15iterator_traitsISE_E10value_typeEPNSK_ISF_E10value_typeEPSG_NS1_7vsmem_tEENKUlT_SE_SF_SG_E_clIS8_S8_S9_S9_EESD_ST_SE_SF_SG_EUlST_E0_NS1_11comp_targetILNS1_3genE10ELNS1_11target_archE1201ELNS1_3gpuE5ELNS1_3repE0EEENS1_38merge_mergepath_config_static_selectorELNS0_4arch9wavefront6targetE0EEEvSF_, .Lfunc_end2313-_ZN7rocprim17ROCPRIM_400000_NS6detail17trampoline_kernelINS0_14default_configENS1_38merge_sort_block_merge_config_selectorItNS0_10empty_typeEEEZZNS1_27merge_sort_block_merge_implIS3_PtPS5_jNS1_19radix_merge_compareILb1ELb0EtNS0_19identity_decomposerEEEEE10hipError_tT0_T1_T2_jT3_P12ihipStream_tbPNSt15iterator_traitsISE_E10value_typeEPNSK_ISF_E10value_typeEPSG_NS1_7vsmem_tEENKUlT_SE_SF_SG_E_clIS8_S8_S9_S9_EESD_ST_SE_SF_SG_EUlST_E0_NS1_11comp_targetILNS1_3genE10ELNS1_11target_archE1201ELNS1_3gpuE5ELNS1_3repE0EEENS1_38merge_mergepath_config_static_selectorELNS0_4arch9wavefront6targetE0EEEvSF_
                                        ; -- End function
	.set _ZN7rocprim17ROCPRIM_400000_NS6detail17trampoline_kernelINS0_14default_configENS1_38merge_sort_block_merge_config_selectorItNS0_10empty_typeEEEZZNS1_27merge_sort_block_merge_implIS3_PtPS5_jNS1_19radix_merge_compareILb1ELb0EtNS0_19identity_decomposerEEEEE10hipError_tT0_T1_T2_jT3_P12ihipStream_tbPNSt15iterator_traitsISE_E10value_typeEPNSK_ISF_E10value_typeEPSG_NS1_7vsmem_tEENKUlT_SE_SF_SG_E_clIS8_S8_S9_S9_EESD_ST_SE_SF_SG_EUlST_E0_NS1_11comp_targetILNS1_3genE10ELNS1_11target_archE1201ELNS1_3gpuE5ELNS1_3repE0EEENS1_38merge_mergepath_config_static_selectorELNS0_4arch9wavefront6targetE0EEEvSF_.num_vgpr, 0
	.set _ZN7rocprim17ROCPRIM_400000_NS6detail17trampoline_kernelINS0_14default_configENS1_38merge_sort_block_merge_config_selectorItNS0_10empty_typeEEEZZNS1_27merge_sort_block_merge_implIS3_PtPS5_jNS1_19radix_merge_compareILb1ELb0EtNS0_19identity_decomposerEEEEE10hipError_tT0_T1_T2_jT3_P12ihipStream_tbPNSt15iterator_traitsISE_E10value_typeEPNSK_ISF_E10value_typeEPSG_NS1_7vsmem_tEENKUlT_SE_SF_SG_E_clIS8_S8_S9_S9_EESD_ST_SE_SF_SG_EUlST_E0_NS1_11comp_targetILNS1_3genE10ELNS1_11target_archE1201ELNS1_3gpuE5ELNS1_3repE0EEENS1_38merge_mergepath_config_static_selectorELNS0_4arch9wavefront6targetE0EEEvSF_.num_agpr, 0
	.set _ZN7rocprim17ROCPRIM_400000_NS6detail17trampoline_kernelINS0_14default_configENS1_38merge_sort_block_merge_config_selectorItNS0_10empty_typeEEEZZNS1_27merge_sort_block_merge_implIS3_PtPS5_jNS1_19radix_merge_compareILb1ELb0EtNS0_19identity_decomposerEEEEE10hipError_tT0_T1_T2_jT3_P12ihipStream_tbPNSt15iterator_traitsISE_E10value_typeEPNSK_ISF_E10value_typeEPSG_NS1_7vsmem_tEENKUlT_SE_SF_SG_E_clIS8_S8_S9_S9_EESD_ST_SE_SF_SG_EUlST_E0_NS1_11comp_targetILNS1_3genE10ELNS1_11target_archE1201ELNS1_3gpuE5ELNS1_3repE0EEENS1_38merge_mergepath_config_static_selectorELNS0_4arch9wavefront6targetE0EEEvSF_.numbered_sgpr, 0
	.set _ZN7rocprim17ROCPRIM_400000_NS6detail17trampoline_kernelINS0_14default_configENS1_38merge_sort_block_merge_config_selectorItNS0_10empty_typeEEEZZNS1_27merge_sort_block_merge_implIS3_PtPS5_jNS1_19radix_merge_compareILb1ELb0EtNS0_19identity_decomposerEEEEE10hipError_tT0_T1_T2_jT3_P12ihipStream_tbPNSt15iterator_traitsISE_E10value_typeEPNSK_ISF_E10value_typeEPSG_NS1_7vsmem_tEENKUlT_SE_SF_SG_E_clIS8_S8_S9_S9_EESD_ST_SE_SF_SG_EUlST_E0_NS1_11comp_targetILNS1_3genE10ELNS1_11target_archE1201ELNS1_3gpuE5ELNS1_3repE0EEENS1_38merge_mergepath_config_static_selectorELNS0_4arch9wavefront6targetE0EEEvSF_.num_named_barrier, 0
	.set _ZN7rocprim17ROCPRIM_400000_NS6detail17trampoline_kernelINS0_14default_configENS1_38merge_sort_block_merge_config_selectorItNS0_10empty_typeEEEZZNS1_27merge_sort_block_merge_implIS3_PtPS5_jNS1_19radix_merge_compareILb1ELb0EtNS0_19identity_decomposerEEEEE10hipError_tT0_T1_T2_jT3_P12ihipStream_tbPNSt15iterator_traitsISE_E10value_typeEPNSK_ISF_E10value_typeEPSG_NS1_7vsmem_tEENKUlT_SE_SF_SG_E_clIS8_S8_S9_S9_EESD_ST_SE_SF_SG_EUlST_E0_NS1_11comp_targetILNS1_3genE10ELNS1_11target_archE1201ELNS1_3gpuE5ELNS1_3repE0EEENS1_38merge_mergepath_config_static_selectorELNS0_4arch9wavefront6targetE0EEEvSF_.private_seg_size, 0
	.set _ZN7rocprim17ROCPRIM_400000_NS6detail17trampoline_kernelINS0_14default_configENS1_38merge_sort_block_merge_config_selectorItNS0_10empty_typeEEEZZNS1_27merge_sort_block_merge_implIS3_PtPS5_jNS1_19radix_merge_compareILb1ELb0EtNS0_19identity_decomposerEEEEE10hipError_tT0_T1_T2_jT3_P12ihipStream_tbPNSt15iterator_traitsISE_E10value_typeEPNSK_ISF_E10value_typeEPSG_NS1_7vsmem_tEENKUlT_SE_SF_SG_E_clIS8_S8_S9_S9_EESD_ST_SE_SF_SG_EUlST_E0_NS1_11comp_targetILNS1_3genE10ELNS1_11target_archE1201ELNS1_3gpuE5ELNS1_3repE0EEENS1_38merge_mergepath_config_static_selectorELNS0_4arch9wavefront6targetE0EEEvSF_.uses_vcc, 0
	.set _ZN7rocprim17ROCPRIM_400000_NS6detail17trampoline_kernelINS0_14default_configENS1_38merge_sort_block_merge_config_selectorItNS0_10empty_typeEEEZZNS1_27merge_sort_block_merge_implIS3_PtPS5_jNS1_19radix_merge_compareILb1ELb0EtNS0_19identity_decomposerEEEEE10hipError_tT0_T1_T2_jT3_P12ihipStream_tbPNSt15iterator_traitsISE_E10value_typeEPNSK_ISF_E10value_typeEPSG_NS1_7vsmem_tEENKUlT_SE_SF_SG_E_clIS8_S8_S9_S9_EESD_ST_SE_SF_SG_EUlST_E0_NS1_11comp_targetILNS1_3genE10ELNS1_11target_archE1201ELNS1_3gpuE5ELNS1_3repE0EEENS1_38merge_mergepath_config_static_selectorELNS0_4arch9wavefront6targetE0EEEvSF_.uses_flat_scratch, 0
	.set _ZN7rocprim17ROCPRIM_400000_NS6detail17trampoline_kernelINS0_14default_configENS1_38merge_sort_block_merge_config_selectorItNS0_10empty_typeEEEZZNS1_27merge_sort_block_merge_implIS3_PtPS5_jNS1_19radix_merge_compareILb1ELb0EtNS0_19identity_decomposerEEEEE10hipError_tT0_T1_T2_jT3_P12ihipStream_tbPNSt15iterator_traitsISE_E10value_typeEPNSK_ISF_E10value_typeEPSG_NS1_7vsmem_tEENKUlT_SE_SF_SG_E_clIS8_S8_S9_S9_EESD_ST_SE_SF_SG_EUlST_E0_NS1_11comp_targetILNS1_3genE10ELNS1_11target_archE1201ELNS1_3gpuE5ELNS1_3repE0EEENS1_38merge_mergepath_config_static_selectorELNS0_4arch9wavefront6targetE0EEEvSF_.has_dyn_sized_stack, 0
	.set _ZN7rocprim17ROCPRIM_400000_NS6detail17trampoline_kernelINS0_14default_configENS1_38merge_sort_block_merge_config_selectorItNS0_10empty_typeEEEZZNS1_27merge_sort_block_merge_implIS3_PtPS5_jNS1_19radix_merge_compareILb1ELb0EtNS0_19identity_decomposerEEEEE10hipError_tT0_T1_T2_jT3_P12ihipStream_tbPNSt15iterator_traitsISE_E10value_typeEPNSK_ISF_E10value_typeEPSG_NS1_7vsmem_tEENKUlT_SE_SF_SG_E_clIS8_S8_S9_S9_EESD_ST_SE_SF_SG_EUlST_E0_NS1_11comp_targetILNS1_3genE10ELNS1_11target_archE1201ELNS1_3gpuE5ELNS1_3repE0EEENS1_38merge_mergepath_config_static_selectorELNS0_4arch9wavefront6targetE0EEEvSF_.has_recursion, 0
	.set _ZN7rocprim17ROCPRIM_400000_NS6detail17trampoline_kernelINS0_14default_configENS1_38merge_sort_block_merge_config_selectorItNS0_10empty_typeEEEZZNS1_27merge_sort_block_merge_implIS3_PtPS5_jNS1_19radix_merge_compareILb1ELb0EtNS0_19identity_decomposerEEEEE10hipError_tT0_T1_T2_jT3_P12ihipStream_tbPNSt15iterator_traitsISE_E10value_typeEPNSK_ISF_E10value_typeEPSG_NS1_7vsmem_tEENKUlT_SE_SF_SG_E_clIS8_S8_S9_S9_EESD_ST_SE_SF_SG_EUlST_E0_NS1_11comp_targetILNS1_3genE10ELNS1_11target_archE1201ELNS1_3gpuE5ELNS1_3repE0EEENS1_38merge_mergepath_config_static_selectorELNS0_4arch9wavefront6targetE0EEEvSF_.has_indirect_call, 0
	.section	.AMDGPU.csdata,"",@progbits
; Kernel info:
; codeLenInByte = 0
; TotalNumSgprs: 0
; NumVgprs: 0
; ScratchSize: 0
; MemoryBound: 0
; FloatMode: 240
; IeeeMode: 1
; LDSByteSize: 0 bytes/workgroup (compile time only)
; SGPRBlocks: 0
; VGPRBlocks: 0
; NumSGPRsForWavesPerEU: 1
; NumVGPRsForWavesPerEU: 1
; NamedBarCnt: 0
; Occupancy: 16
; WaveLimiterHint : 0
; COMPUTE_PGM_RSRC2:SCRATCH_EN: 0
; COMPUTE_PGM_RSRC2:USER_SGPR: 2
; COMPUTE_PGM_RSRC2:TRAP_HANDLER: 0
; COMPUTE_PGM_RSRC2:TGID_X_EN: 1
; COMPUTE_PGM_RSRC2:TGID_Y_EN: 0
; COMPUTE_PGM_RSRC2:TGID_Z_EN: 0
; COMPUTE_PGM_RSRC2:TIDIG_COMP_CNT: 0
	.section	.text._ZN7rocprim17ROCPRIM_400000_NS6detail17trampoline_kernelINS0_14default_configENS1_38merge_sort_block_merge_config_selectorItNS0_10empty_typeEEEZZNS1_27merge_sort_block_merge_implIS3_PtPS5_jNS1_19radix_merge_compareILb1ELb0EtNS0_19identity_decomposerEEEEE10hipError_tT0_T1_T2_jT3_P12ihipStream_tbPNSt15iterator_traitsISE_E10value_typeEPNSK_ISF_E10value_typeEPSG_NS1_7vsmem_tEENKUlT_SE_SF_SG_E_clIS8_S8_S9_S9_EESD_ST_SE_SF_SG_EUlST_E0_NS1_11comp_targetILNS1_3genE5ELNS1_11target_archE942ELNS1_3gpuE9ELNS1_3repE0EEENS1_38merge_mergepath_config_static_selectorELNS0_4arch9wavefront6targetE0EEEvSF_,"axG",@progbits,_ZN7rocprim17ROCPRIM_400000_NS6detail17trampoline_kernelINS0_14default_configENS1_38merge_sort_block_merge_config_selectorItNS0_10empty_typeEEEZZNS1_27merge_sort_block_merge_implIS3_PtPS5_jNS1_19radix_merge_compareILb1ELb0EtNS0_19identity_decomposerEEEEE10hipError_tT0_T1_T2_jT3_P12ihipStream_tbPNSt15iterator_traitsISE_E10value_typeEPNSK_ISF_E10value_typeEPSG_NS1_7vsmem_tEENKUlT_SE_SF_SG_E_clIS8_S8_S9_S9_EESD_ST_SE_SF_SG_EUlST_E0_NS1_11comp_targetILNS1_3genE5ELNS1_11target_archE942ELNS1_3gpuE9ELNS1_3repE0EEENS1_38merge_mergepath_config_static_selectorELNS0_4arch9wavefront6targetE0EEEvSF_,comdat
	.protected	_ZN7rocprim17ROCPRIM_400000_NS6detail17trampoline_kernelINS0_14default_configENS1_38merge_sort_block_merge_config_selectorItNS0_10empty_typeEEEZZNS1_27merge_sort_block_merge_implIS3_PtPS5_jNS1_19radix_merge_compareILb1ELb0EtNS0_19identity_decomposerEEEEE10hipError_tT0_T1_T2_jT3_P12ihipStream_tbPNSt15iterator_traitsISE_E10value_typeEPNSK_ISF_E10value_typeEPSG_NS1_7vsmem_tEENKUlT_SE_SF_SG_E_clIS8_S8_S9_S9_EESD_ST_SE_SF_SG_EUlST_E0_NS1_11comp_targetILNS1_3genE5ELNS1_11target_archE942ELNS1_3gpuE9ELNS1_3repE0EEENS1_38merge_mergepath_config_static_selectorELNS0_4arch9wavefront6targetE0EEEvSF_ ; -- Begin function _ZN7rocprim17ROCPRIM_400000_NS6detail17trampoline_kernelINS0_14default_configENS1_38merge_sort_block_merge_config_selectorItNS0_10empty_typeEEEZZNS1_27merge_sort_block_merge_implIS3_PtPS5_jNS1_19radix_merge_compareILb1ELb0EtNS0_19identity_decomposerEEEEE10hipError_tT0_T1_T2_jT3_P12ihipStream_tbPNSt15iterator_traitsISE_E10value_typeEPNSK_ISF_E10value_typeEPSG_NS1_7vsmem_tEENKUlT_SE_SF_SG_E_clIS8_S8_S9_S9_EESD_ST_SE_SF_SG_EUlST_E0_NS1_11comp_targetILNS1_3genE5ELNS1_11target_archE942ELNS1_3gpuE9ELNS1_3repE0EEENS1_38merge_mergepath_config_static_selectorELNS0_4arch9wavefront6targetE0EEEvSF_
	.globl	_ZN7rocprim17ROCPRIM_400000_NS6detail17trampoline_kernelINS0_14default_configENS1_38merge_sort_block_merge_config_selectorItNS0_10empty_typeEEEZZNS1_27merge_sort_block_merge_implIS3_PtPS5_jNS1_19radix_merge_compareILb1ELb0EtNS0_19identity_decomposerEEEEE10hipError_tT0_T1_T2_jT3_P12ihipStream_tbPNSt15iterator_traitsISE_E10value_typeEPNSK_ISF_E10value_typeEPSG_NS1_7vsmem_tEENKUlT_SE_SF_SG_E_clIS8_S8_S9_S9_EESD_ST_SE_SF_SG_EUlST_E0_NS1_11comp_targetILNS1_3genE5ELNS1_11target_archE942ELNS1_3gpuE9ELNS1_3repE0EEENS1_38merge_mergepath_config_static_selectorELNS0_4arch9wavefront6targetE0EEEvSF_
	.p2align	8
	.type	_ZN7rocprim17ROCPRIM_400000_NS6detail17trampoline_kernelINS0_14default_configENS1_38merge_sort_block_merge_config_selectorItNS0_10empty_typeEEEZZNS1_27merge_sort_block_merge_implIS3_PtPS5_jNS1_19radix_merge_compareILb1ELb0EtNS0_19identity_decomposerEEEEE10hipError_tT0_T1_T2_jT3_P12ihipStream_tbPNSt15iterator_traitsISE_E10value_typeEPNSK_ISF_E10value_typeEPSG_NS1_7vsmem_tEENKUlT_SE_SF_SG_E_clIS8_S8_S9_S9_EESD_ST_SE_SF_SG_EUlST_E0_NS1_11comp_targetILNS1_3genE5ELNS1_11target_archE942ELNS1_3gpuE9ELNS1_3repE0EEENS1_38merge_mergepath_config_static_selectorELNS0_4arch9wavefront6targetE0EEEvSF_,@function
_ZN7rocprim17ROCPRIM_400000_NS6detail17trampoline_kernelINS0_14default_configENS1_38merge_sort_block_merge_config_selectorItNS0_10empty_typeEEEZZNS1_27merge_sort_block_merge_implIS3_PtPS5_jNS1_19radix_merge_compareILb1ELb0EtNS0_19identity_decomposerEEEEE10hipError_tT0_T1_T2_jT3_P12ihipStream_tbPNSt15iterator_traitsISE_E10value_typeEPNSK_ISF_E10value_typeEPSG_NS1_7vsmem_tEENKUlT_SE_SF_SG_E_clIS8_S8_S9_S9_EESD_ST_SE_SF_SG_EUlST_E0_NS1_11comp_targetILNS1_3genE5ELNS1_11target_archE942ELNS1_3gpuE9ELNS1_3repE0EEENS1_38merge_mergepath_config_static_selectorELNS0_4arch9wavefront6targetE0EEEvSF_: ; @_ZN7rocprim17ROCPRIM_400000_NS6detail17trampoline_kernelINS0_14default_configENS1_38merge_sort_block_merge_config_selectorItNS0_10empty_typeEEEZZNS1_27merge_sort_block_merge_implIS3_PtPS5_jNS1_19radix_merge_compareILb1ELb0EtNS0_19identity_decomposerEEEEE10hipError_tT0_T1_T2_jT3_P12ihipStream_tbPNSt15iterator_traitsISE_E10value_typeEPNSK_ISF_E10value_typeEPSG_NS1_7vsmem_tEENKUlT_SE_SF_SG_E_clIS8_S8_S9_S9_EESD_ST_SE_SF_SG_EUlST_E0_NS1_11comp_targetILNS1_3genE5ELNS1_11target_archE942ELNS1_3gpuE9ELNS1_3repE0EEENS1_38merge_mergepath_config_static_selectorELNS0_4arch9wavefront6targetE0EEEvSF_
; %bb.0:
	.section	.rodata,"a",@progbits
	.p2align	6, 0x0
	.amdhsa_kernel _ZN7rocprim17ROCPRIM_400000_NS6detail17trampoline_kernelINS0_14default_configENS1_38merge_sort_block_merge_config_selectorItNS0_10empty_typeEEEZZNS1_27merge_sort_block_merge_implIS3_PtPS5_jNS1_19radix_merge_compareILb1ELb0EtNS0_19identity_decomposerEEEEE10hipError_tT0_T1_T2_jT3_P12ihipStream_tbPNSt15iterator_traitsISE_E10value_typeEPNSK_ISF_E10value_typeEPSG_NS1_7vsmem_tEENKUlT_SE_SF_SG_E_clIS8_S8_S9_S9_EESD_ST_SE_SF_SG_EUlST_E0_NS1_11comp_targetILNS1_3genE5ELNS1_11target_archE942ELNS1_3gpuE9ELNS1_3repE0EEENS1_38merge_mergepath_config_static_selectorELNS0_4arch9wavefront6targetE0EEEvSF_
		.amdhsa_group_segment_fixed_size 0
		.amdhsa_private_segment_fixed_size 0
		.amdhsa_kernarg_size 64
		.amdhsa_user_sgpr_count 2
		.amdhsa_user_sgpr_dispatch_ptr 0
		.amdhsa_user_sgpr_queue_ptr 0
		.amdhsa_user_sgpr_kernarg_segment_ptr 1
		.amdhsa_user_sgpr_dispatch_id 0
		.amdhsa_user_sgpr_kernarg_preload_length 0
		.amdhsa_user_sgpr_kernarg_preload_offset 0
		.amdhsa_user_sgpr_private_segment_size 0
		.amdhsa_wavefront_size32 1
		.amdhsa_uses_dynamic_stack 0
		.amdhsa_enable_private_segment 0
		.amdhsa_system_sgpr_workgroup_id_x 1
		.amdhsa_system_sgpr_workgroup_id_y 0
		.amdhsa_system_sgpr_workgroup_id_z 0
		.amdhsa_system_sgpr_workgroup_info 0
		.amdhsa_system_vgpr_workitem_id 0
		.amdhsa_next_free_vgpr 1
		.amdhsa_next_free_sgpr 1
		.amdhsa_named_barrier_count 0
		.amdhsa_reserve_vcc 0
		.amdhsa_float_round_mode_32 0
		.amdhsa_float_round_mode_16_64 0
		.amdhsa_float_denorm_mode_32 3
		.amdhsa_float_denorm_mode_16_64 3
		.amdhsa_fp16_overflow 0
		.amdhsa_memory_ordered 1
		.amdhsa_forward_progress 1
		.amdhsa_inst_pref_size 0
		.amdhsa_round_robin_scheduling 0
		.amdhsa_exception_fp_ieee_invalid_op 0
		.amdhsa_exception_fp_denorm_src 0
		.amdhsa_exception_fp_ieee_div_zero 0
		.amdhsa_exception_fp_ieee_overflow 0
		.amdhsa_exception_fp_ieee_underflow 0
		.amdhsa_exception_fp_ieee_inexact 0
		.amdhsa_exception_int_div_zero 0
	.end_amdhsa_kernel
	.section	.text._ZN7rocprim17ROCPRIM_400000_NS6detail17trampoline_kernelINS0_14default_configENS1_38merge_sort_block_merge_config_selectorItNS0_10empty_typeEEEZZNS1_27merge_sort_block_merge_implIS3_PtPS5_jNS1_19radix_merge_compareILb1ELb0EtNS0_19identity_decomposerEEEEE10hipError_tT0_T1_T2_jT3_P12ihipStream_tbPNSt15iterator_traitsISE_E10value_typeEPNSK_ISF_E10value_typeEPSG_NS1_7vsmem_tEENKUlT_SE_SF_SG_E_clIS8_S8_S9_S9_EESD_ST_SE_SF_SG_EUlST_E0_NS1_11comp_targetILNS1_3genE5ELNS1_11target_archE942ELNS1_3gpuE9ELNS1_3repE0EEENS1_38merge_mergepath_config_static_selectorELNS0_4arch9wavefront6targetE0EEEvSF_,"axG",@progbits,_ZN7rocprim17ROCPRIM_400000_NS6detail17trampoline_kernelINS0_14default_configENS1_38merge_sort_block_merge_config_selectorItNS0_10empty_typeEEEZZNS1_27merge_sort_block_merge_implIS3_PtPS5_jNS1_19radix_merge_compareILb1ELb0EtNS0_19identity_decomposerEEEEE10hipError_tT0_T1_T2_jT3_P12ihipStream_tbPNSt15iterator_traitsISE_E10value_typeEPNSK_ISF_E10value_typeEPSG_NS1_7vsmem_tEENKUlT_SE_SF_SG_E_clIS8_S8_S9_S9_EESD_ST_SE_SF_SG_EUlST_E0_NS1_11comp_targetILNS1_3genE5ELNS1_11target_archE942ELNS1_3gpuE9ELNS1_3repE0EEENS1_38merge_mergepath_config_static_selectorELNS0_4arch9wavefront6targetE0EEEvSF_,comdat
.Lfunc_end2314:
	.size	_ZN7rocprim17ROCPRIM_400000_NS6detail17trampoline_kernelINS0_14default_configENS1_38merge_sort_block_merge_config_selectorItNS0_10empty_typeEEEZZNS1_27merge_sort_block_merge_implIS3_PtPS5_jNS1_19radix_merge_compareILb1ELb0EtNS0_19identity_decomposerEEEEE10hipError_tT0_T1_T2_jT3_P12ihipStream_tbPNSt15iterator_traitsISE_E10value_typeEPNSK_ISF_E10value_typeEPSG_NS1_7vsmem_tEENKUlT_SE_SF_SG_E_clIS8_S8_S9_S9_EESD_ST_SE_SF_SG_EUlST_E0_NS1_11comp_targetILNS1_3genE5ELNS1_11target_archE942ELNS1_3gpuE9ELNS1_3repE0EEENS1_38merge_mergepath_config_static_selectorELNS0_4arch9wavefront6targetE0EEEvSF_, .Lfunc_end2314-_ZN7rocprim17ROCPRIM_400000_NS6detail17trampoline_kernelINS0_14default_configENS1_38merge_sort_block_merge_config_selectorItNS0_10empty_typeEEEZZNS1_27merge_sort_block_merge_implIS3_PtPS5_jNS1_19radix_merge_compareILb1ELb0EtNS0_19identity_decomposerEEEEE10hipError_tT0_T1_T2_jT3_P12ihipStream_tbPNSt15iterator_traitsISE_E10value_typeEPNSK_ISF_E10value_typeEPSG_NS1_7vsmem_tEENKUlT_SE_SF_SG_E_clIS8_S8_S9_S9_EESD_ST_SE_SF_SG_EUlST_E0_NS1_11comp_targetILNS1_3genE5ELNS1_11target_archE942ELNS1_3gpuE9ELNS1_3repE0EEENS1_38merge_mergepath_config_static_selectorELNS0_4arch9wavefront6targetE0EEEvSF_
                                        ; -- End function
	.set _ZN7rocprim17ROCPRIM_400000_NS6detail17trampoline_kernelINS0_14default_configENS1_38merge_sort_block_merge_config_selectorItNS0_10empty_typeEEEZZNS1_27merge_sort_block_merge_implIS3_PtPS5_jNS1_19radix_merge_compareILb1ELb0EtNS0_19identity_decomposerEEEEE10hipError_tT0_T1_T2_jT3_P12ihipStream_tbPNSt15iterator_traitsISE_E10value_typeEPNSK_ISF_E10value_typeEPSG_NS1_7vsmem_tEENKUlT_SE_SF_SG_E_clIS8_S8_S9_S9_EESD_ST_SE_SF_SG_EUlST_E0_NS1_11comp_targetILNS1_3genE5ELNS1_11target_archE942ELNS1_3gpuE9ELNS1_3repE0EEENS1_38merge_mergepath_config_static_selectorELNS0_4arch9wavefront6targetE0EEEvSF_.num_vgpr, 0
	.set _ZN7rocprim17ROCPRIM_400000_NS6detail17trampoline_kernelINS0_14default_configENS1_38merge_sort_block_merge_config_selectorItNS0_10empty_typeEEEZZNS1_27merge_sort_block_merge_implIS3_PtPS5_jNS1_19radix_merge_compareILb1ELb0EtNS0_19identity_decomposerEEEEE10hipError_tT0_T1_T2_jT3_P12ihipStream_tbPNSt15iterator_traitsISE_E10value_typeEPNSK_ISF_E10value_typeEPSG_NS1_7vsmem_tEENKUlT_SE_SF_SG_E_clIS8_S8_S9_S9_EESD_ST_SE_SF_SG_EUlST_E0_NS1_11comp_targetILNS1_3genE5ELNS1_11target_archE942ELNS1_3gpuE9ELNS1_3repE0EEENS1_38merge_mergepath_config_static_selectorELNS0_4arch9wavefront6targetE0EEEvSF_.num_agpr, 0
	.set _ZN7rocprim17ROCPRIM_400000_NS6detail17trampoline_kernelINS0_14default_configENS1_38merge_sort_block_merge_config_selectorItNS0_10empty_typeEEEZZNS1_27merge_sort_block_merge_implIS3_PtPS5_jNS1_19radix_merge_compareILb1ELb0EtNS0_19identity_decomposerEEEEE10hipError_tT0_T1_T2_jT3_P12ihipStream_tbPNSt15iterator_traitsISE_E10value_typeEPNSK_ISF_E10value_typeEPSG_NS1_7vsmem_tEENKUlT_SE_SF_SG_E_clIS8_S8_S9_S9_EESD_ST_SE_SF_SG_EUlST_E0_NS1_11comp_targetILNS1_3genE5ELNS1_11target_archE942ELNS1_3gpuE9ELNS1_3repE0EEENS1_38merge_mergepath_config_static_selectorELNS0_4arch9wavefront6targetE0EEEvSF_.numbered_sgpr, 0
	.set _ZN7rocprim17ROCPRIM_400000_NS6detail17trampoline_kernelINS0_14default_configENS1_38merge_sort_block_merge_config_selectorItNS0_10empty_typeEEEZZNS1_27merge_sort_block_merge_implIS3_PtPS5_jNS1_19radix_merge_compareILb1ELb0EtNS0_19identity_decomposerEEEEE10hipError_tT0_T1_T2_jT3_P12ihipStream_tbPNSt15iterator_traitsISE_E10value_typeEPNSK_ISF_E10value_typeEPSG_NS1_7vsmem_tEENKUlT_SE_SF_SG_E_clIS8_S8_S9_S9_EESD_ST_SE_SF_SG_EUlST_E0_NS1_11comp_targetILNS1_3genE5ELNS1_11target_archE942ELNS1_3gpuE9ELNS1_3repE0EEENS1_38merge_mergepath_config_static_selectorELNS0_4arch9wavefront6targetE0EEEvSF_.num_named_barrier, 0
	.set _ZN7rocprim17ROCPRIM_400000_NS6detail17trampoline_kernelINS0_14default_configENS1_38merge_sort_block_merge_config_selectorItNS0_10empty_typeEEEZZNS1_27merge_sort_block_merge_implIS3_PtPS5_jNS1_19radix_merge_compareILb1ELb0EtNS0_19identity_decomposerEEEEE10hipError_tT0_T1_T2_jT3_P12ihipStream_tbPNSt15iterator_traitsISE_E10value_typeEPNSK_ISF_E10value_typeEPSG_NS1_7vsmem_tEENKUlT_SE_SF_SG_E_clIS8_S8_S9_S9_EESD_ST_SE_SF_SG_EUlST_E0_NS1_11comp_targetILNS1_3genE5ELNS1_11target_archE942ELNS1_3gpuE9ELNS1_3repE0EEENS1_38merge_mergepath_config_static_selectorELNS0_4arch9wavefront6targetE0EEEvSF_.private_seg_size, 0
	.set _ZN7rocprim17ROCPRIM_400000_NS6detail17trampoline_kernelINS0_14default_configENS1_38merge_sort_block_merge_config_selectorItNS0_10empty_typeEEEZZNS1_27merge_sort_block_merge_implIS3_PtPS5_jNS1_19radix_merge_compareILb1ELb0EtNS0_19identity_decomposerEEEEE10hipError_tT0_T1_T2_jT3_P12ihipStream_tbPNSt15iterator_traitsISE_E10value_typeEPNSK_ISF_E10value_typeEPSG_NS1_7vsmem_tEENKUlT_SE_SF_SG_E_clIS8_S8_S9_S9_EESD_ST_SE_SF_SG_EUlST_E0_NS1_11comp_targetILNS1_3genE5ELNS1_11target_archE942ELNS1_3gpuE9ELNS1_3repE0EEENS1_38merge_mergepath_config_static_selectorELNS0_4arch9wavefront6targetE0EEEvSF_.uses_vcc, 0
	.set _ZN7rocprim17ROCPRIM_400000_NS6detail17trampoline_kernelINS0_14default_configENS1_38merge_sort_block_merge_config_selectorItNS0_10empty_typeEEEZZNS1_27merge_sort_block_merge_implIS3_PtPS5_jNS1_19radix_merge_compareILb1ELb0EtNS0_19identity_decomposerEEEEE10hipError_tT0_T1_T2_jT3_P12ihipStream_tbPNSt15iterator_traitsISE_E10value_typeEPNSK_ISF_E10value_typeEPSG_NS1_7vsmem_tEENKUlT_SE_SF_SG_E_clIS8_S8_S9_S9_EESD_ST_SE_SF_SG_EUlST_E0_NS1_11comp_targetILNS1_3genE5ELNS1_11target_archE942ELNS1_3gpuE9ELNS1_3repE0EEENS1_38merge_mergepath_config_static_selectorELNS0_4arch9wavefront6targetE0EEEvSF_.uses_flat_scratch, 0
	.set _ZN7rocprim17ROCPRIM_400000_NS6detail17trampoline_kernelINS0_14default_configENS1_38merge_sort_block_merge_config_selectorItNS0_10empty_typeEEEZZNS1_27merge_sort_block_merge_implIS3_PtPS5_jNS1_19radix_merge_compareILb1ELb0EtNS0_19identity_decomposerEEEEE10hipError_tT0_T1_T2_jT3_P12ihipStream_tbPNSt15iterator_traitsISE_E10value_typeEPNSK_ISF_E10value_typeEPSG_NS1_7vsmem_tEENKUlT_SE_SF_SG_E_clIS8_S8_S9_S9_EESD_ST_SE_SF_SG_EUlST_E0_NS1_11comp_targetILNS1_3genE5ELNS1_11target_archE942ELNS1_3gpuE9ELNS1_3repE0EEENS1_38merge_mergepath_config_static_selectorELNS0_4arch9wavefront6targetE0EEEvSF_.has_dyn_sized_stack, 0
	.set _ZN7rocprim17ROCPRIM_400000_NS6detail17trampoline_kernelINS0_14default_configENS1_38merge_sort_block_merge_config_selectorItNS0_10empty_typeEEEZZNS1_27merge_sort_block_merge_implIS3_PtPS5_jNS1_19radix_merge_compareILb1ELb0EtNS0_19identity_decomposerEEEEE10hipError_tT0_T1_T2_jT3_P12ihipStream_tbPNSt15iterator_traitsISE_E10value_typeEPNSK_ISF_E10value_typeEPSG_NS1_7vsmem_tEENKUlT_SE_SF_SG_E_clIS8_S8_S9_S9_EESD_ST_SE_SF_SG_EUlST_E0_NS1_11comp_targetILNS1_3genE5ELNS1_11target_archE942ELNS1_3gpuE9ELNS1_3repE0EEENS1_38merge_mergepath_config_static_selectorELNS0_4arch9wavefront6targetE0EEEvSF_.has_recursion, 0
	.set _ZN7rocprim17ROCPRIM_400000_NS6detail17trampoline_kernelINS0_14default_configENS1_38merge_sort_block_merge_config_selectorItNS0_10empty_typeEEEZZNS1_27merge_sort_block_merge_implIS3_PtPS5_jNS1_19radix_merge_compareILb1ELb0EtNS0_19identity_decomposerEEEEE10hipError_tT0_T1_T2_jT3_P12ihipStream_tbPNSt15iterator_traitsISE_E10value_typeEPNSK_ISF_E10value_typeEPSG_NS1_7vsmem_tEENKUlT_SE_SF_SG_E_clIS8_S8_S9_S9_EESD_ST_SE_SF_SG_EUlST_E0_NS1_11comp_targetILNS1_3genE5ELNS1_11target_archE942ELNS1_3gpuE9ELNS1_3repE0EEENS1_38merge_mergepath_config_static_selectorELNS0_4arch9wavefront6targetE0EEEvSF_.has_indirect_call, 0
	.section	.AMDGPU.csdata,"",@progbits
; Kernel info:
; codeLenInByte = 0
; TotalNumSgprs: 0
; NumVgprs: 0
; ScratchSize: 0
; MemoryBound: 0
; FloatMode: 240
; IeeeMode: 1
; LDSByteSize: 0 bytes/workgroup (compile time only)
; SGPRBlocks: 0
; VGPRBlocks: 0
; NumSGPRsForWavesPerEU: 1
; NumVGPRsForWavesPerEU: 1
; NamedBarCnt: 0
; Occupancy: 16
; WaveLimiterHint : 0
; COMPUTE_PGM_RSRC2:SCRATCH_EN: 0
; COMPUTE_PGM_RSRC2:USER_SGPR: 2
; COMPUTE_PGM_RSRC2:TRAP_HANDLER: 0
; COMPUTE_PGM_RSRC2:TGID_X_EN: 1
; COMPUTE_PGM_RSRC2:TGID_Y_EN: 0
; COMPUTE_PGM_RSRC2:TGID_Z_EN: 0
; COMPUTE_PGM_RSRC2:TIDIG_COMP_CNT: 0
	.section	.text._ZN7rocprim17ROCPRIM_400000_NS6detail17trampoline_kernelINS0_14default_configENS1_38merge_sort_block_merge_config_selectorItNS0_10empty_typeEEEZZNS1_27merge_sort_block_merge_implIS3_PtPS5_jNS1_19radix_merge_compareILb1ELb0EtNS0_19identity_decomposerEEEEE10hipError_tT0_T1_T2_jT3_P12ihipStream_tbPNSt15iterator_traitsISE_E10value_typeEPNSK_ISF_E10value_typeEPSG_NS1_7vsmem_tEENKUlT_SE_SF_SG_E_clIS8_S8_S9_S9_EESD_ST_SE_SF_SG_EUlST_E0_NS1_11comp_targetILNS1_3genE4ELNS1_11target_archE910ELNS1_3gpuE8ELNS1_3repE0EEENS1_38merge_mergepath_config_static_selectorELNS0_4arch9wavefront6targetE0EEEvSF_,"axG",@progbits,_ZN7rocprim17ROCPRIM_400000_NS6detail17trampoline_kernelINS0_14default_configENS1_38merge_sort_block_merge_config_selectorItNS0_10empty_typeEEEZZNS1_27merge_sort_block_merge_implIS3_PtPS5_jNS1_19radix_merge_compareILb1ELb0EtNS0_19identity_decomposerEEEEE10hipError_tT0_T1_T2_jT3_P12ihipStream_tbPNSt15iterator_traitsISE_E10value_typeEPNSK_ISF_E10value_typeEPSG_NS1_7vsmem_tEENKUlT_SE_SF_SG_E_clIS8_S8_S9_S9_EESD_ST_SE_SF_SG_EUlST_E0_NS1_11comp_targetILNS1_3genE4ELNS1_11target_archE910ELNS1_3gpuE8ELNS1_3repE0EEENS1_38merge_mergepath_config_static_selectorELNS0_4arch9wavefront6targetE0EEEvSF_,comdat
	.protected	_ZN7rocprim17ROCPRIM_400000_NS6detail17trampoline_kernelINS0_14default_configENS1_38merge_sort_block_merge_config_selectorItNS0_10empty_typeEEEZZNS1_27merge_sort_block_merge_implIS3_PtPS5_jNS1_19radix_merge_compareILb1ELb0EtNS0_19identity_decomposerEEEEE10hipError_tT0_T1_T2_jT3_P12ihipStream_tbPNSt15iterator_traitsISE_E10value_typeEPNSK_ISF_E10value_typeEPSG_NS1_7vsmem_tEENKUlT_SE_SF_SG_E_clIS8_S8_S9_S9_EESD_ST_SE_SF_SG_EUlST_E0_NS1_11comp_targetILNS1_3genE4ELNS1_11target_archE910ELNS1_3gpuE8ELNS1_3repE0EEENS1_38merge_mergepath_config_static_selectorELNS0_4arch9wavefront6targetE0EEEvSF_ ; -- Begin function _ZN7rocprim17ROCPRIM_400000_NS6detail17trampoline_kernelINS0_14default_configENS1_38merge_sort_block_merge_config_selectorItNS0_10empty_typeEEEZZNS1_27merge_sort_block_merge_implIS3_PtPS5_jNS1_19radix_merge_compareILb1ELb0EtNS0_19identity_decomposerEEEEE10hipError_tT0_T1_T2_jT3_P12ihipStream_tbPNSt15iterator_traitsISE_E10value_typeEPNSK_ISF_E10value_typeEPSG_NS1_7vsmem_tEENKUlT_SE_SF_SG_E_clIS8_S8_S9_S9_EESD_ST_SE_SF_SG_EUlST_E0_NS1_11comp_targetILNS1_3genE4ELNS1_11target_archE910ELNS1_3gpuE8ELNS1_3repE0EEENS1_38merge_mergepath_config_static_selectorELNS0_4arch9wavefront6targetE0EEEvSF_
	.globl	_ZN7rocprim17ROCPRIM_400000_NS6detail17trampoline_kernelINS0_14default_configENS1_38merge_sort_block_merge_config_selectorItNS0_10empty_typeEEEZZNS1_27merge_sort_block_merge_implIS3_PtPS5_jNS1_19radix_merge_compareILb1ELb0EtNS0_19identity_decomposerEEEEE10hipError_tT0_T1_T2_jT3_P12ihipStream_tbPNSt15iterator_traitsISE_E10value_typeEPNSK_ISF_E10value_typeEPSG_NS1_7vsmem_tEENKUlT_SE_SF_SG_E_clIS8_S8_S9_S9_EESD_ST_SE_SF_SG_EUlST_E0_NS1_11comp_targetILNS1_3genE4ELNS1_11target_archE910ELNS1_3gpuE8ELNS1_3repE0EEENS1_38merge_mergepath_config_static_selectorELNS0_4arch9wavefront6targetE0EEEvSF_
	.p2align	8
	.type	_ZN7rocprim17ROCPRIM_400000_NS6detail17trampoline_kernelINS0_14default_configENS1_38merge_sort_block_merge_config_selectorItNS0_10empty_typeEEEZZNS1_27merge_sort_block_merge_implIS3_PtPS5_jNS1_19radix_merge_compareILb1ELb0EtNS0_19identity_decomposerEEEEE10hipError_tT0_T1_T2_jT3_P12ihipStream_tbPNSt15iterator_traitsISE_E10value_typeEPNSK_ISF_E10value_typeEPSG_NS1_7vsmem_tEENKUlT_SE_SF_SG_E_clIS8_S8_S9_S9_EESD_ST_SE_SF_SG_EUlST_E0_NS1_11comp_targetILNS1_3genE4ELNS1_11target_archE910ELNS1_3gpuE8ELNS1_3repE0EEENS1_38merge_mergepath_config_static_selectorELNS0_4arch9wavefront6targetE0EEEvSF_,@function
_ZN7rocprim17ROCPRIM_400000_NS6detail17trampoline_kernelINS0_14default_configENS1_38merge_sort_block_merge_config_selectorItNS0_10empty_typeEEEZZNS1_27merge_sort_block_merge_implIS3_PtPS5_jNS1_19radix_merge_compareILb1ELb0EtNS0_19identity_decomposerEEEEE10hipError_tT0_T1_T2_jT3_P12ihipStream_tbPNSt15iterator_traitsISE_E10value_typeEPNSK_ISF_E10value_typeEPSG_NS1_7vsmem_tEENKUlT_SE_SF_SG_E_clIS8_S8_S9_S9_EESD_ST_SE_SF_SG_EUlST_E0_NS1_11comp_targetILNS1_3genE4ELNS1_11target_archE910ELNS1_3gpuE8ELNS1_3repE0EEENS1_38merge_mergepath_config_static_selectorELNS0_4arch9wavefront6targetE0EEEvSF_: ; @_ZN7rocprim17ROCPRIM_400000_NS6detail17trampoline_kernelINS0_14default_configENS1_38merge_sort_block_merge_config_selectorItNS0_10empty_typeEEEZZNS1_27merge_sort_block_merge_implIS3_PtPS5_jNS1_19radix_merge_compareILb1ELb0EtNS0_19identity_decomposerEEEEE10hipError_tT0_T1_T2_jT3_P12ihipStream_tbPNSt15iterator_traitsISE_E10value_typeEPNSK_ISF_E10value_typeEPSG_NS1_7vsmem_tEENKUlT_SE_SF_SG_E_clIS8_S8_S9_S9_EESD_ST_SE_SF_SG_EUlST_E0_NS1_11comp_targetILNS1_3genE4ELNS1_11target_archE910ELNS1_3gpuE8ELNS1_3repE0EEENS1_38merge_mergepath_config_static_selectorELNS0_4arch9wavefront6targetE0EEEvSF_
; %bb.0:
	.section	.rodata,"a",@progbits
	.p2align	6, 0x0
	.amdhsa_kernel _ZN7rocprim17ROCPRIM_400000_NS6detail17trampoline_kernelINS0_14default_configENS1_38merge_sort_block_merge_config_selectorItNS0_10empty_typeEEEZZNS1_27merge_sort_block_merge_implIS3_PtPS5_jNS1_19radix_merge_compareILb1ELb0EtNS0_19identity_decomposerEEEEE10hipError_tT0_T1_T2_jT3_P12ihipStream_tbPNSt15iterator_traitsISE_E10value_typeEPNSK_ISF_E10value_typeEPSG_NS1_7vsmem_tEENKUlT_SE_SF_SG_E_clIS8_S8_S9_S9_EESD_ST_SE_SF_SG_EUlST_E0_NS1_11comp_targetILNS1_3genE4ELNS1_11target_archE910ELNS1_3gpuE8ELNS1_3repE0EEENS1_38merge_mergepath_config_static_selectorELNS0_4arch9wavefront6targetE0EEEvSF_
		.amdhsa_group_segment_fixed_size 0
		.amdhsa_private_segment_fixed_size 0
		.amdhsa_kernarg_size 64
		.amdhsa_user_sgpr_count 2
		.amdhsa_user_sgpr_dispatch_ptr 0
		.amdhsa_user_sgpr_queue_ptr 0
		.amdhsa_user_sgpr_kernarg_segment_ptr 1
		.amdhsa_user_sgpr_dispatch_id 0
		.amdhsa_user_sgpr_kernarg_preload_length 0
		.amdhsa_user_sgpr_kernarg_preload_offset 0
		.amdhsa_user_sgpr_private_segment_size 0
		.amdhsa_wavefront_size32 1
		.amdhsa_uses_dynamic_stack 0
		.amdhsa_enable_private_segment 0
		.amdhsa_system_sgpr_workgroup_id_x 1
		.amdhsa_system_sgpr_workgroup_id_y 0
		.amdhsa_system_sgpr_workgroup_id_z 0
		.amdhsa_system_sgpr_workgroup_info 0
		.amdhsa_system_vgpr_workitem_id 0
		.amdhsa_next_free_vgpr 1
		.amdhsa_next_free_sgpr 1
		.amdhsa_named_barrier_count 0
		.amdhsa_reserve_vcc 0
		.amdhsa_float_round_mode_32 0
		.amdhsa_float_round_mode_16_64 0
		.amdhsa_float_denorm_mode_32 3
		.amdhsa_float_denorm_mode_16_64 3
		.amdhsa_fp16_overflow 0
		.amdhsa_memory_ordered 1
		.amdhsa_forward_progress 1
		.amdhsa_inst_pref_size 0
		.amdhsa_round_robin_scheduling 0
		.amdhsa_exception_fp_ieee_invalid_op 0
		.amdhsa_exception_fp_denorm_src 0
		.amdhsa_exception_fp_ieee_div_zero 0
		.amdhsa_exception_fp_ieee_overflow 0
		.amdhsa_exception_fp_ieee_underflow 0
		.amdhsa_exception_fp_ieee_inexact 0
		.amdhsa_exception_int_div_zero 0
	.end_amdhsa_kernel
	.section	.text._ZN7rocprim17ROCPRIM_400000_NS6detail17trampoline_kernelINS0_14default_configENS1_38merge_sort_block_merge_config_selectorItNS0_10empty_typeEEEZZNS1_27merge_sort_block_merge_implIS3_PtPS5_jNS1_19radix_merge_compareILb1ELb0EtNS0_19identity_decomposerEEEEE10hipError_tT0_T1_T2_jT3_P12ihipStream_tbPNSt15iterator_traitsISE_E10value_typeEPNSK_ISF_E10value_typeEPSG_NS1_7vsmem_tEENKUlT_SE_SF_SG_E_clIS8_S8_S9_S9_EESD_ST_SE_SF_SG_EUlST_E0_NS1_11comp_targetILNS1_3genE4ELNS1_11target_archE910ELNS1_3gpuE8ELNS1_3repE0EEENS1_38merge_mergepath_config_static_selectorELNS0_4arch9wavefront6targetE0EEEvSF_,"axG",@progbits,_ZN7rocprim17ROCPRIM_400000_NS6detail17trampoline_kernelINS0_14default_configENS1_38merge_sort_block_merge_config_selectorItNS0_10empty_typeEEEZZNS1_27merge_sort_block_merge_implIS3_PtPS5_jNS1_19radix_merge_compareILb1ELb0EtNS0_19identity_decomposerEEEEE10hipError_tT0_T1_T2_jT3_P12ihipStream_tbPNSt15iterator_traitsISE_E10value_typeEPNSK_ISF_E10value_typeEPSG_NS1_7vsmem_tEENKUlT_SE_SF_SG_E_clIS8_S8_S9_S9_EESD_ST_SE_SF_SG_EUlST_E0_NS1_11comp_targetILNS1_3genE4ELNS1_11target_archE910ELNS1_3gpuE8ELNS1_3repE0EEENS1_38merge_mergepath_config_static_selectorELNS0_4arch9wavefront6targetE0EEEvSF_,comdat
.Lfunc_end2315:
	.size	_ZN7rocprim17ROCPRIM_400000_NS6detail17trampoline_kernelINS0_14default_configENS1_38merge_sort_block_merge_config_selectorItNS0_10empty_typeEEEZZNS1_27merge_sort_block_merge_implIS3_PtPS5_jNS1_19radix_merge_compareILb1ELb0EtNS0_19identity_decomposerEEEEE10hipError_tT0_T1_T2_jT3_P12ihipStream_tbPNSt15iterator_traitsISE_E10value_typeEPNSK_ISF_E10value_typeEPSG_NS1_7vsmem_tEENKUlT_SE_SF_SG_E_clIS8_S8_S9_S9_EESD_ST_SE_SF_SG_EUlST_E0_NS1_11comp_targetILNS1_3genE4ELNS1_11target_archE910ELNS1_3gpuE8ELNS1_3repE0EEENS1_38merge_mergepath_config_static_selectorELNS0_4arch9wavefront6targetE0EEEvSF_, .Lfunc_end2315-_ZN7rocprim17ROCPRIM_400000_NS6detail17trampoline_kernelINS0_14default_configENS1_38merge_sort_block_merge_config_selectorItNS0_10empty_typeEEEZZNS1_27merge_sort_block_merge_implIS3_PtPS5_jNS1_19radix_merge_compareILb1ELb0EtNS0_19identity_decomposerEEEEE10hipError_tT0_T1_T2_jT3_P12ihipStream_tbPNSt15iterator_traitsISE_E10value_typeEPNSK_ISF_E10value_typeEPSG_NS1_7vsmem_tEENKUlT_SE_SF_SG_E_clIS8_S8_S9_S9_EESD_ST_SE_SF_SG_EUlST_E0_NS1_11comp_targetILNS1_3genE4ELNS1_11target_archE910ELNS1_3gpuE8ELNS1_3repE0EEENS1_38merge_mergepath_config_static_selectorELNS0_4arch9wavefront6targetE0EEEvSF_
                                        ; -- End function
	.set _ZN7rocprim17ROCPRIM_400000_NS6detail17trampoline_kernelINS0_14default_configENS1_38merge_sort_block_merge_config_selectorItNS0_10empty_typeEEEZZNS1_27merge_sort_block_merge_implIS3_PtPS5_jNS1_19radix_merge_compareILb1ELb0EtNS0_19identity_decomposerEEEEE10hipError_tT0_T1_T2_jT3_P12ihipStream_tbPNSt15iterator_traitsISE_E10value_typeEPNSK_ISF_E10value_typeEPSG_NS1_7vsmem_tEENKUlT_SE_SF_SG_E_clIS8_S8_S9_S9_EESD_ST_SE_SF_SG_EUlST_E0_NS1_11comp_targetILNS1_3genE4ELNS1_11target_archE910ELNS1_3gpuE8ELNS1_3repE0EEENS1_38merge_mergepath_config_static_selectorELNS0_4arch9wavefront6targetE0EEEvSF_.num_vgpr, 0
	.set _ZN7rocprim17ROCPRIM_400000_NS6detail17trampoline_kernelINS0_14default_configENS1_38merge_sort_block_merge_config_selectorItNS0_10empty_typeEEEZZNS1_27merge_sort_block_merge_implIS3_PtPS5_jNS1_19radix_merge_compareILb1ELb0EtNS0_19identity_decomposerEEEEE10hipError_tT0_T1_T2_jT3_P12ihipStream_tbPNSt15iterator_traitsISE_E10value_typeEPNSK_ISF_E10value_typeEPSG_NS1_7vsmem_tEENKUlT_SE_SF_SG_E_clIS8_S8_S9_S9_EESD_ST_SE_SF_SG_EUlST_E0_NS1_11comp_targetILNS1_3genE4ELNS1_11target_archE910ELNS1_3gpuE8ELNS1_3repE0EEENS1_38merge_mergepath_config_static_selectorELNS0_4arch9wavefront6targetE0EEEvSF_.num_agpr, 0
	.set _ZN7rocprim17ROCPRIM_400000_NS6detail17trampoline_kernelINS0_14default_configENS1_38merge_sort_block_merge_config_selectorItNS0_10empty_typeEEEZZNS1_27merge_sort_block_merge_implIS3_PtPS5_jNS1_19radix_merge_compareILb1ELb0EtNS0_19identity_decomposerEEEEE10hipError_tT0_T1_T2_jT3_P12ihipStream_tbPNSt15iterator_traitsISE_E10value_typeEPNSK_ISF_E10value_typeEPSG_NS1_7vsmem_tEENKUlT_SE_SF_SG_E_clIS8_S8_S9_S9_EESD_ST_SE_SF_SG_EUlST_E0_NS1_11comp_targetILNS1_3genE4ELNS1_11target_archE910ELNS1_3gpuE8ELNS1_3repE0EEENS1_38merge_mergepath_config_static_selectorELNS0_4arch9wavefront6targetE0EEEvSF_.numbered_sgpr, 0
	.set _ZN7rocprim17ROCPRIM_400000_NS6detail17trampoline_kernelINS0_14default_configENS1_38merge_sort_block_merge_config_selectorItNS0_10empty_typeEEEZZNS1_27merge_sort_block_merge_implIS3_PtPS5_jNS1_19radix_merge_compareILb1ELb0EtNS0_19identity_decomposerEEEEE10hipError_tT0_T1_T2_jT3_P12ihipStream_tbPNSt15iterator_traitsISE_E10value_typeEPNSK_ISF_E10value_typeEPSG_NS1_7vsmem_tEENKUlT_SE_SF_SG_E_clIS8_S8_S9_S9_EESD_ST_SE_SF_SG_EUlST_E0_NS1_11comp_targetILNS1_3genE4ELNS1_11target_archE910ELNS1_3gpuE8ELNS1_3repE0EEENS1_38merge_mergepath_config_static_selectorELNS0_4arch9wavefront6targetE0EEEvSF_.num_named_barrier, 0
	.set _ZN7rocprim17ROCPRIM_400000_NS6detail17trampoline_kernelINS0_14default_configENS1_38merge_sort_block_merge_config_selectorItNS0_10empty_typeEEEZZNS1_27merge_sort_block_merge_implIS3_PtPS5_jNS1_19radix_merge_compareILb1ELb0EtNS0_19identity_decomposerEEEEE10hipError_tT0_T1_T2_jT3_P12ihipStream_tbPNSt15iterator_traitsISE_E10value_typeEPNSK_ISF_E10value_typeEPSG_NS1_7vsmem_tEENKUlT_SE_SF_SG_E_clIS8_S8_S9_S9_EESD_ST_SE_SF_SG_EUlST_E0_NS1_11comp_targetILNS1_3genE4ELNS1_11target_archE910ELNS1_3gpuE8ELNS1_3repE0EEENS1_38merge_mergepath_config_static_selectorELNS0_4arch9wavefront6targetE0EEEvSF_.private_seg_size, 0
	.set _ZN7rocprim17ROCPRIM_400000_NS6detail17trampoline_kernelINS0_14default_configENS1_38merge_sort_block_merge_config_selectorItNS0_10empty_typeEEEZZNS1_27merge_sort_block_merge_implIS3_PtPS5_jNS1_19radix_merge_compareILb1ELb0EtNS0_19identity_decomposerEEEEE10hipError_tT0_T1_T2_jT3_P12ihipStream_tbPNSt15iterator_traitsISE_E10value_typeEPNSK_ISF_E10value_typeEPSG_NS1_7vsmem_tEENKUlT_SE_SF_SG_E_clIS8_S8_S9_S9_EESD_ST_SE_SF_SG_EUlST_E0_NS1_11comp_targetILNS1_3genE4ELNS1_11target_archE910ELNS1_3gpuE8ELNS1_3repE0EEENS1_38merge_mergepath_config_static_selectorELNS0_4arch9wavefront6targetE0EEEvSF_.uses_vcc, 0
	.set _ZN7rocprim17ROCPRIM_400000_NS6detail17trampoline_kernelINS0_14default_configENS1_38merge_sort_block_merge_config_selectorItNS0_10empty_typeEEEZZNS1_27merge_sort_block_merge_implIS3_PtPS5_jNS1_19radix_merge_compareILb1ELb0EtNS0_19identity_decomposerEEEEE10hipError_tT0_T1_T2_jT3_P12ihipStream_tbPNSt15iterator_traitsISE_E10value_typeEPNSK_ISF_E10value_typeEPSG_NS1_7vsmem_tEENKUlT_SE_SF_SG_E_clIS8_S8_S9_S9_EESD_ST_SE_SF_SG_EUlST_E0_NS1_11comp_targetILNS1_3genE4ELNS1_11target_archE910ELNS1_3gpuE8ELNS1_3repE0EEENS1_38merge_mergepath_config_static_selectorELNS0_4arch9wavefront6targetE0EEEvSF_.uses_flat_scratch, 0
	.set _ZN7rocprim17ROCPRIM_400000_NS6detail17trampoline_kernelINS0_14default_configENS1_38merge_sort_block_merge_config_selectorItNS0_10empty_typeEEEZZNS1_27merge_sort_block_merge_implIS3_PtPS5_jNS1_19radix_merge_compareILb1ELb0EtNS0_19identity_decomposerEEEEE10hipError_tT0_T1_T2_jT3_P12ihipStream_tbPNSt15iterator_traitsISE_E10value_typeEPNSK_ISF_E10value_typeEPSG_NS1_7vsmem_tEENKUlT_SE_SF_SG_E_clIS8_S8_S9_S9_EESD_ST_SE_SF_SG_EUlST_E0_NS1_11comp_targetILNS1_3genE4ELNS1_11target_archE910ELNS1_3gpuE8ELNS1_3repE0EEENS1_38merge_mergepath_config_static_selectorELNS0_4arch9wavefront6targetE0EEEvSF_.has_dyn_sized_stack, 0
	.set _ZN7rocprim17ROCPRIM_400000_NS6detail17trampoline_kernelINS0_14default_configENS1_38merge_sort_block_merge_config_selectorItNS0_10empty_typeEEEZZNS1_27merge_sort_block_merge_implIS3_PtPS5_jNS1_19radix_merge_compareILb1ELb0EtNS0_19identity_decomposerEEEEE10hipError_tT0_T1_T2_jT3_P12ihipStream_tbPNSt15iterator_traitsISE_E10value_typeEPNSK_ISF_E10value_typeEPSG_NS1_7vsmem_tEENKUlT_SE_SF_SG_E_clIS8_S8_S9_S9_EESD_ST_SE_SF_SG_EUlST_E0_NS1_11comp_targetILNS1_3genE4ELNS1_11target_archE910ELNS1_3gpuE8ELNS1_3repE0EEENS1_38merge_mergepath_config_static_selectorELNS0_4arch9wavefront6targetE0EEEvSF_.has_recursion, 0
	.set _ZN7rocprim17ROCPRIM_400000_NS6detail17trampoline_kernelINS0_14default_configENS1_38merge_sort_block_merge_config_selectorItNS0_10empty_typeEEEZZNS1_27merge_sort_block_merge_implIS3_PtPS5_jNS1_19radix_merge_compareILb1ELb0EtNS0_19identity_decomposerEEEEE10hipError_tT0_T1_T2_jT3_P12ihipStream_tbPNSt15iterator_traitsISE_E10value_typeEPNSK_ISF_E10value_typeEPSG_NS1_7vsmem_tEENKUlT_SE_SF_SG_E_clIS8_S8_S9_S9_EESD_ST_SE_SF_SG_EUlST_E0_NS1_11comp_targetILNS1_3genE4ELNS1_11target_archE910ELNS1_3gpuE8ELNS1_3repE0EEENS1_38merge_mergepath_config_static_selectorELNS0_4arch9wavefront6targetE0EEEvSF_.has_indirect_call, 0
	.section	.AMDGPU.csdata,"",@progbits
; Kernel info:
; codeLenInByte = 0
; TotalNumSgprs: 0
; NumVgprs: 0
; ScratchSize: 0
; MemoryBound: 0
; FloatMode: 240
; IeeeMode: 1
; LDSByteSize: 0 bytes/workgroup (compile time only)
; SGPRBlocks: 0
; VGPRBlocks: 0
; NumSGPRsForWavesPerEU: 1
; NumVGPRsForWavesPerEU: 1
; NamedBarCnt: 0
; Occupancy: 16
; WaveLimiterHint : 0
; COMPUTE_PGM_RSRC2:SCRATCH_EN: 0
; COMPUTE_PGM_RSRC2:USER_SGPR: 2
; COMPUTE_PGM_RSRC2:TRAP_HANDLER: 0
; COMPUTE_PGM_RSRC2:TGID_X_EN: 1
; COMPUTE_PGM_RSRC2:TGID_Y_EN: 0
; COMPUTE_PGM_RSRC2:TGID_Z_EN: 0
; COMPUTE_PGM_RSRC2:TIDIG_COMP_CNT: 0
	.section	.text._ZN7rocprim17ROCPRIM_400000_NS6detail17trampoline_kernelINS0_14default_configENS1_38merge_sort_block_merge_config_selectorItNS0_10empty_typeEEEZZNS1_27merge_sort_block_merge_implIS3_PtPS5_jNS1_19radix_merge_compareILb1ELb0EtNS0_19identity_decomposerEEEEE10hipError_tT0_T1_T2_jT3_P12ihipStream_tbPNSt15iterator_traitsISE_E10value_typeEPNSK_ISF_E10value_typeEPSG_NS1_7vsmem_tEENKUlT_SE_SF_SG_E_clIS8_S8_S9_S9_EESD_ST_SE_SF_SG_EUlST_E0_NS1_11comp_targetILNS1_3genE3ELNS1_11target_archE908ELNS1_3gpuE7ELNS1_3repE0EEENS1_38merge_mergepath_config_static_selectorELNS0_4arch9wavefront6targetE0EEEvSF_,"axG",@progbits,_ZN7rocprim17ROCPRIM_400000_NS6detail17trampoline_kernelINS0_14default_configENS1_38merge_sort_block_merge_config_selectorItNS0_10empty_typeEEEZZNS1_27merge_sort_block_merge_implIS3_PtPS5_jNS1_19radix_merge_compareILb1ELb0EtNS0_19identity_decomposerEEEEE10hipError_tT0_T1_T2_jT3_P12ihipStream_tbPNSt15iterator_traitsISE_E10value_typeEPNSK_ISF_E10value_typeEPSG_NS1_7vsmem_tEENKUlT_SE_SF_SG_E_clIS8_S8_S9_S9_EESD_ST_SE_SF_SG_EUlST_E0_NS1_11comp_targetILNS1_3genE3ELNS1_11target_archE908ELNS1_3gpuE7ELNS1_3repE0EEENS1_38merge_mergepath_config_static_selectorELNS0_4arch9wavefront6targetE0EEEvSF_,comdat
	.protected	_ZN7rocprim17ROCPRIM_400000_NS6detail17trampoline_kernelINS0_14default_configENS1_38merge_sort_block_merge_config_selectorItNS0_10empty_typeEEEZZNS1_27merge_sort_block_merge_implIS3_PtPS5_jNS1_19radix_merge_compareILb1ELb0EtNS0_19identity_decomposerEEEEE10hipError_tT0_T1_T2_jT3_P12ihipStream_tbPNSt15iterator_traitsISE_E10value_typeEPNSK_ISF_E10value_typeEPSG_NS1_7vsmem_tEENKUlT_SE_SF_SG_E_clIS8_S8_S9_S9_EESD_ST_SE_SF_SG_EUlST_E0_NS1_11comp_targetILNS1_3genE3ELNS1_11target_archE908ELNS1_3gpuE7ELNS1_3repE0EEENS1_38merge_mergepath_config_static_selectorELNS0_4arch9wavefront6targetE0EEEvSF_ ; -- Begin function _ZN7rocprim17ROCPRIM_400000_NS6detail17trampoline_kernelINS0_14default_configENS1_38merge_sort_block_merge_config_selectorItNS0_10empty_typeEEEZZNS1_27merge_sort_block_merge_implIS3_PtPS5_jNS1_19radix_merge_compareILb1ELb0EtNS0_19identity_decomposerEEEEE10hipError_tT0_T1_T2_jT3_P12ihipStream_tbPNSt15iterator_traitsISE_E10value_typeEPNSK_ISF_E10value_typeEPSG_NS1_7vsmem_tEENKUlT_SE_SF_SG_E_clIS8_S8_S9_S9_EESD_ST_SE_SF_SG_EUlST_E0_NS1_11comp_targetILNS1_3genE3ELNS1_11target_archE908ELNS1_3gpuE7ELNS1_3repE0EEENS1_38merge_mergepath_config_static_selectorELNS0_4arch9wavefront6targetE0EEEvSF_
	.globl	_ZN7rocprim17ROCPRIM_400000_NS6detail17trampoline_kernelINS0_14default_configENS1_38merge_sort_block_merge_config_selectorItNS0_10empty_typeEEEZZNS1_27merge_sort_block_merge_implIS3_PtPS5_jNS1_19radix_merge_compareILb1ELb0EtNS0_19identity_decomposerEEEEE10hipError_tT0_T1_T2_jT3_P12ihipStream_tbPNSt15iterator_traitsISE_E10value_typeEPNSK_ISF_E10value_typeEPSG_NS1_7vsmem_tEENKUlT_SE_SF_SG_E_clIS8_S8_S9_S9_EESD_ST_SE_SF_SG_EUlST_E0_NS1_11comp_targetILNS1_3genE3ELNS1_11target_archE908ELNS1_3gpuE7ELNS1_3repE0EEENS1_38merge_mergepath_config_static_selectorELNS0_4arch9wavefront6targetE0EEEvSF_
	.p2align	8
	.type	_ZN7rocprim17ROCPRIM_400000_NS6detail17trampoline_kernelINS0_14default_configENS1_38merge_sort_block_merge_config_selectorItNS0_10empty_typeEEEZZNS1_27merge_sort_block_merge_implIS3_PtPS5_jNS1_19radix_merge_compareILb1ELb0EtNS0_19identity_decomposerEEEEE10hipError_tT0_T1_T2_jT3_P12ihipStream_tbPNSt15iterator_traitsISE_E10value_typeEPNSK_ISF_E10value_typeEPSG_NS1_7vsmem_tEENKUlT_SE_SF_SG_E_clIS8_S8_S9_S9_EESD_ST_SE_SF_SG_EUlST_E0_NS1_11comp_targetILNS1_3genE3ELNS1_11target_archE908ELNS1_3gpuE7ELNS1_3repE0EEENS1_38merge_mergepath_config_static_selectorELNS0_4arch9wavefront6targetE0EEEvSF_,@function
_ZN7rocprim17ROCPRIM_400000_NS6detail17trampoline_kernelINS0_14default_configENS1_38merge_sort_block_merge_config_selectorItNS0_10empty_typeEEEZZNS1_27merge_sort_block_merge_implIS3_PtPS5_jNS1_19radix_merge_compareILb1ELb0EtNS0_19identity_decomposerEEEEE10hipError_tT0_T1_T2_jT3_P12ihipStream_tbPNSt15iterator_traitsISE_E10value_typeEPNSK_ISF_E10value_typeEPSG_NS1_7vsmem_tEENKUlT_SE_SF_SG_E_clIS8_S8_S9_S9_EESD_ST_SE_SF_SG_EUlST_E0_NS1_11comp_targetILNS1_3genE3ELNS1_11target_archE908ELNS1_3gpuE7ELNS1_3repE0EEENS1_38merge_mergepath_config_static_selectorELNS0_4arch9wavefront6targetE0EEEvSF_: ; @_ZN7rocprim17ROCPRIM_400000_NS6detail17trampoline_kernelINS0_14default_configENS1_38merge_sort_block_merge_config_selectorItNS0_10empty_typeEEEZZNS1_27merge_sort_block_merge_implIS3_PtPS5_jNS1_19radix_merge_compareILb1ELb0EtNS0_19identity_decomposerEEEEE10hipError_tT0_T1_T2_jT3_P12ihipStream_tbPNSt15iterator_traitsISE_E10value_typeEPNSK_ISF_E10value_typeEPSG_NS1_7vsmem_tEENKUlT_SE_SF_SG_E_clIS8_S8_S9_S9_EESD_ST_SE_SF_SG_EUlST_E0_NS1_11comp_targetILNS1_3genE3ELNS1_11target_archE908ELNS1_3gpuE7ELNS1_3repE0EEENS1_38merge_mergepath_config_static_selectorELNS0_4arch9wavefront6targetE0EEEvSF_
; %bb.0:
	.section	.rodata,"a",@progbits
	.p2align	6, 0x0
	.amdhsa_kernel _ZN7rocprim17ROCPRIM_400000_NS6detail17trampoline_kernelINS0_14default_configENS1_38merge_sort_block_merge_config_selectorItNS0_10empty_typeEEEZZNS1_27merge_sort_block_merge_implIS3_PtPS5_jNS1_19radix_merge_compareILb1ELb0EtNS0_19identity_decomposerEEEEE10hipError_tT0_T1_T2_jT3_P12ihipStream_tbPNSt15iterator_traitsISE_E10value_typeEPNSK_ISF_E10value_typeEPSG_NS1_7vsmem_tEENKUlT_SE_SF_SG_E_clIS8_S8_S9_S9_EESD_ST_SE_SF_SG_EUlST_E0_NS1_11comp_targetILNS1_3genE3ELNS1_11target_archE908ELNS1_3gpuE7ELNS1_3repE0EEENS1_38merge_mergepath_config_static_selectorELNS0_4arch9wavefront6targetE0EEEvSF_
		.amdhsa_group_segment_fixed_size 0
		.amdhsa_private_segment_fixed_size 0
		.amdhsa_kernarg_size 64
		.amdhsa_user_sgpr_count 2
		.amdhsa_user_sgpr_dispatch_ptr 0
		.amdhsa_user_sgpr_queue_ptr 0
		.amdhsa_user_sgpr_kernarg_segment_ptr 1
		.amdhsa_user_sgpr_dispatch_id 0
		.amdhsa_user_sgpr_kernarg_preload_length 0
		.amdhsa_user_sgpr_kernarg_preload_offset 0
		.amdhsa_user_sgpr_private_segment_size 0
		.amdhsa_wavefront_size32 1
		.amdhsa_uses_dynamic_stack 0
		.amdhsa_enable_private_segment 0
		.amdhsa_system_sgpr_workgroup_id_x 1
		.amdhsa_system_sgpr_workgroup_id_y 0
		.amdhsa_system_sgpr_workgroup_id_z 0
		.amdhsa_system_sgpr_workgroup_info 0
		.amdhsa_system_vgpr_workitem_id 0
		.amdhsa_next_free_vgpr 1
		.amdhsa_next_free_sgpr 1
		.amdhsa_named_barrier_count 0
		.amdhsa_reserve_vcc 0
		.amdhsa_float_round_mode_32 0
		.amdhsa_float_round_mode_16_64 0
		.amdhsa_float_denorm_mode_32 3
		.amdhsa_float_denorm_mode_16_64 3
		.amdhsa_fp16_overflow 0
		.amdhsa_memory_ordered 1
		.amdhsa_forward_progress 1
		.amdhsa_inst_pref_size 0
		.amdhsa_round_robin_scheduling 0
		.amdhsa_exception_fp_ieee_invalid_op 0
		.amdhsa_exception_fp_denorm_src 0
		.amdhsa_exception_fp_ieee_div_zero 0
		.amdhsa_exception_fp_ieee_overflow 0
		.amdhsa_exception_fp_ieee_underflow 0
		.amdhsa_exception_fp_ieee_inexact 0
		.amdhsa_exception_int_div_zero 0
	.end_amdhsa_kernel
	.section	.text._ZN7rocprim17ROCPRIM_400000_NS6detail17trampoline_kernelINS0_14default_configENS1_38merge_sort_block_merge_config_selectorItNS0_10empty_typeEEEZZNS1_27merge_sort_block_merge_implIS3_PtPS5_jNS1_19radix_merge_compareILb1ELb0EtNS0_19identity_decomposerEEEEE10hipError_tT0_T1_T2_jT3_P12ihipStream_tbPNSt15iterator_traitsISE_E10value_typeEPNSK_ISF_E10value_typeEPSG_NS1_7vsmem_tEENKUlT_SE_SF_SG_E_clIS8_S8_S9_S9_EESD_ST_SE_SF_SG_EUlST_E0_NS1_11comp_targetILNS1_3genE3ELNS1_11target_archE908ELNS1_3gpuE7ELNS1_3repE0EEENS1_38merge_mergepath_config_static_selectorELNS0_4arch9wavefront6targetE0EEEvSF_,"axG",@progbits,_ZN7rocprim17ROCPRIM_400000_NS6detail17trampoline_kernelINS0_14default_configENS1_38merge_sort_block_merge_config_selectorItNS0_10empty_typeEEEZZNS1_27merge_sort_block_merge_implIS3_PtPS5_jNS1_19radix_merge_compareILb1ELb0EtNS0_19identity_decomposerEEEEE10hipError_tT0_T1_T2_jT3_P12ihipStream_tbPNSt15iterator_traitsISE_E10value_typeEPNSK_ISF_E10value_typeEPSG_NS1_7vsmem_tEENKUlT_SE_SF_SG_E_clIS8_S8_S9_S9_EESD_ST_SE_SF_SG_EUlST_E0_NS1_11comp_targetILNS1_3genE3ELNS1_11target_archE908ELNS1_3gpuE7ELNS1_3repE0EEENS1_38merge_mergepath_config_static_selectorELNS0_4arch9wavefront6targetE0EEEvSF_,comdat
.Lfunc_end2316:
	.size	_ZN7rocprim17ROCPRIM_400000_NS6detail17trampoline_kernelINS0_14default_configENS1_38merge_sort_block_merge_config_selectorItNS0_10empty_typeEEEZZNS1_27merge_sort_block_merge_implIS3_PtPS5_jNS1_19radix_merge_compareILb1ELb0EtNS0_19identity_decomposerEEEEE10hipError_tT0_T1_T2_jT3_P12ihipStream_tbPNSt15iterator_traitsISE_E10value_typeEPNSK_ISF_E10value_typeEPSG_NS1_7vsmem_tEENKUlT_SE_SF_SG_E_clIS8_S8_S9_S9_EESD_ST_SE_SF_SG_EUlST_E0_NS1_11comp_targetILNS1_3genE3ELNS1_11target_archE908ELNS1_3gpuE7ELNS1_3repE0EEENS1_38merge_mergepath_config_static_selectorELNS0_4arch9wavefront6targetE0EEEvSF_, .Lfunc_end2316-_ZN7rocprim17ROCPRIM_400000_NS6detail17trampoline_kernelINS0_14default_configENS1_38merge_sort_block_merge_config_selectorItNS0_10empty_typeEEEZZNS1_27merge_sort_block_merge_implIS3_PtPS5_jNS1_19radix_merge_compareILb1ELb0EtNS0_19identity_decomposerEEEEE10hipError_tT0_T1_T2_jT3_P12ihipStream_tbPNSt15iterator_traitsISE_E10value_typeEPNSK_ISF_E10value_typeEPSG_NS1_7vsmem_tEENKUlT_SE_SF_SG_E_clIS8_S8_S9_S9_EESD_ST_SE_SF_SG_EUlST_E0_NS1_11comp_targetILNS1_3genE3ELNS1_11target_archE908ELNS1_3gpuE7ELNS1_3repE0EEENS1_38merge_mergepath_config_static_selectorELNS0_4arch9wavefront6targetE0EEEvSF_
                                        ; -- End function
	.set _ZN7rocprim17ROCPRIM_400000_NS6detail17trampoline_kernelINS0_14default_configENS1_38merge_sort_block_merge_config_selectorItNS0_10empty_typeEEEZZNS1_27merge_sort_block_merge_implIS3_PtPS5_jNS1_19radix_merge_compareILb1ELb0EtNS0_19identity_decomposerEEEEE10hipError_tT0_T1_T2_jT3_P12ihipStream_tbPNSt15iterator_traitsISE_E10value_typeEPNSK_ISF_E10value_typeEPSG_NS1_7vsmem_tEENKUlT_SE_SF_SG_E_clIS8_S8_S9_S9_EESD_ST_SE_SF_SG_EUlST_E0_NS1_11comp_targetILNS1_3genE3ELNS1_11target_archE908ELNS1_3gpuE7ELNS1_3repE0EEENS1_38merge_mergepath_config_static_selectorELNS0_4arch9wavefront6targetE0EEEvSF_.num_vgpr, 0
	.set _ZN7rocprim17ROCPRIM_400000_NS6detail17trampoline_kernelINS0_14default_configENS1_38merge_sort_block_merge_config_selectorItNS0_10empty_typeEEEZZNS1_27merge_sort_block_merge_implIS3_PtPS5_jNS1_19radix_merge_compareILb1ELb0EtNS0_19identity_decomposerEEEEE10hipError_tT0_T1_T2_jT3_P12ihipStream_tbPNSt15iterator_traitsISE_E10value_typeEPNSK_ISF_E10value_typeEPSG_NS1_7vsmem_tEENKUlT_SE_SF_SG_E_clIS8_S8_S9_S9_EESD_ST_SE_SF_SG_EUlST_E0_NS1_11comp_targetILNS1_3genE3ELNS1_11target_archE908ELNS1_3gpuE7ELNS1_3repE0EEENS1_38merge_mergepath_config_static_selectorELNS0_4arch9wavefront6targetE0EEEvSF_.num_agpr, 0
	.set _ZN7rocprim17ROCPRIM_400000_NS6detail17trampoline_kernelINS0_14default_configENS1_38merge_sort_block_merge_config_selectorItNS0_10empty_typeEEEZZNS1_27merge_sort_block_merge_implIS3_PtPS5_jNS1_19radix_merge_compareILb1ELb0EtNS0_19identity_decomposerEEEEE10hipError_tT0_T1_T2_jT3_P12ihipStream_tbPNSt15iterator_traitsISE_E10value_typeEPNSK_ISF_E10value_typeEPSG_NS1_7vsmem_tEENKUlT_SE_SF_SG_E_clIS8_S8_S9_S9_EESD_ST_SE_SF_SG_EUlST_E0_NS1_11comp_targetILNS1_3genE3ELNS1_11target_archE908ELNS1_3gpuE7ELNS1_3repE0EEENS1_38merge_mergepath_config_static_selectorELNS0_4arch9wavefront6targetE0EEEvSF_.numbered_sgpr, 0
	.set _ZN7rocprim17ROCPRIM_400000_NS6detail17trampoline_kernelINS0_14default_configENS1_38merge_sort_block_merge_config_selectorItNS0_10empty_typeEEEZZNS1_27merge_sort_block_merge_implIS3_PtPS5_jNS1_19radix_merge_compareILb1ELb0EtNS0_19identity_decomposerEEEEE10hipError_tT0_T1_T2_jT3_P12ihipStream_tbPNSt15iterator_traitsISE_E10value_typeEPNSK_ISF_E10value_typeEPSG_NS1_7vsmem_tEENKUlT_SE_SF_SG_E_clIS8_S8_S9_S9_EESD_ST_SE_SF_SG_EUlST_E0_NS1_11comp_targetILNS1_3genE3ELNS1_11target_archE908ELNS1_3gpuE7ELNS1_3repE0EEENS1_38merge_mergepath_config_static_selectorELNS0_4arch9wavefront6targetE0EEEvSF_.num_named_barrier, 0
	.set _ZN7rocprim17ROCPRIM_400000_NS6detail17trampoline_kernelINS0_14default_configENS1_38merge_sort_block_merge_config_selectorItNS0_10empty_typeEEEZZNS1_27merge_sort_block_merge_implIS3_PtPS5_jNS1_19radix_merge_compareILb1ELb0EtNS0_19identity_decomposerEEEEE10hipError_tT0_T1_T2_jT3_P12ihipStream_tbPNSt15iterator_traitsISE_E10value_typeEPNSK_ISF_E10value_typeEPSG_NS1_7vsmem_tEENKUlT_SE_SF_SG_E_clIS8_S8_S9_S9_EESD_ST_SE_SF_SG_EUlST_E0_NS1_11comp_targetILNS1_3genE3ELNS1_11target_archE908ELNS1_3gpuE7ELNS1_3repE0EEENS1_38merge_mergepath_config_static_selectorELNS0_4arch9wavefront6targetE0EEEvSF_.private_seg_size, 0
	.set _ZN7rocprim17ROCPRIM_400000_NS6detail17trampoline_kernelINS0_14default_configENS1_38merge_sort_block_merge_config_selectorItNS0_10empty_typeEEEZZNS1_27merge_sort_block_merge_implIS3_PtPS5_jNS1_19radix_merge_compareILb1ELb0EtNS0_19identity_decomposerEEEEE10hipError_tT0_T1_T2_jT3_P12ihipStream_tbPNSt15iterator_traitsISE_E10value_typeEPNSK_ISF_E10value_typeEPSG_NS1_7vsmem_tEENKUlT_SE_SF_SG_E_clIS8_S8_S9_S9_EESD_ST_SE_SF_SG_EUlST_E0_NS1_11comp_targetILNS1_3genE3ELNS1_11target_archE908ELNS1_3gpuE7ELNS1_3repE0EEENS1_38merge_mergepath_config_static_selectorELNS0_4arch9wavefront6targetE0EEEvSF_.uses_vcc, 0
	.set _ZN7rocprim17ROCPRIM_400000_NS6detail17trampoline_kernelINS0_14default_configENS1_38merge_sort_block_merge_config_selectorItNS0_10empty_typeEEEZZNS1_27merge_sort_block_merge_implIS3_PtPS5_jNS1_19radix_merge_compareILb1ELb0EtNS0_19identity_decomposerEEEEE10hipError_tT0_T1_T2_jT3_P12ihipStream_tbPNSt15iterator_traitsISE_E10value_typeEPNSK_ISF_E10value_typeEPSG_NS1_7vsmem_tEENKUlT_SE_SF_SG_E_clIS8_S8_S9_S9_EESD_ST_SE_SF_SG_EUlST_E0_NS1_11comp_targetILNS1_3genE3ELNS1_11target_archE908ELNS1_3gpuE7ELNS1_3repE0EEENS1_38merge_mergepath_config_static_selectorELNS0_4arch9wavefront6targetE0EEEvSF_.uses_flat_scratch, 0
	.set _ZN7rocprim17ROCPRIM_400000_NS6detail17trampoline_kernelINS0_14default_configENS1_38merge_sort_block_merge_config_selectorItNS0_10empty_typeEEEZZNS1_27merge_sort_block_merge_implIS3_PtPS5_jNS1_19radix_merge_compareILb1ELb0EtNS0_19identity_decomposerEEEEE10hipError_tT0_T1_T2_jT3_P12ihipStream_tbPNSt15iterator_traitsISE_E10value_typeEPNSK_ISF_E10value_typeEPSG_NS1_7vsmem_tEENKUlT_SE_SF_SG_E_clIS8_S8_S9_S9_EESD_ST_SE_SF_SG_EUlST_E0_NS1_11comp_targetILNS1_3genE3ELNS1_11target_archE908ELNS1_3gpuE7ELNS1_3repE0EEENS1_38merge_mergepath_config_static_selectorELNS0_4arch9wavefront6targetE0EEEvSF_.has_dyn_sized_stack, 0
	.set _ZN7rocprim17ROCPRIM_400000_NS6detail17trampoline_kernelINS0_14default_configENS1_38merge_sort_block_merge_config_selectorItNS0_10empty_typeEEEZZNS1_27merge_sort_block_merge_implIS3_PtPS5_jNS1_19radix_merge_compareILb1ELb0EtNS0_19identity_decomposerEEEEE10hipError_tT0_T1_T2_jT3_P12ihipStream_tbPNSt15iterator_traitsISE_E10value_typeEPNSK_ISF_E10value_typeEPSG_NS1_7vsmem_tEENKUlT_SE_SF_SG_E_clIS8_S8_S9_S9_EESD_ST_SE_SF_SG_EUlST_E0_NS1_11comp_targetILNS1_3genE3ELNS1_11target_archE908ELNS1_3gpuE7ELNS1_3repE0EEENS1_38merge_mergepath_config_static_selectorELNS0_4arch9wavefront6targetE0EEEvSF_.has_recursion, 0
	.set _ZN7rocprim17ROCPRIM_400000_NS6detail17trampoline_kernelINS0_14default_configENS1_38merge_sort_block_merge_config_selectorItNS0_10empty_typeEEEZZNS1_27merge_sort_block_merge_implIS3_PtPS5_jNS1_19radix_merge_compareILb1ELb0EtNS0_19identity_decomposerEEEEE10hipError_tT0_T1_T2_jT3_P12ihipStream_tbPNSt15iterator_traitsISE_E10value_typeEPNSK_ISF_E10value_typeEPSG_NS1_7vsmem_tEENKUlT_SE_SF_SG_E_clIS8_S8_S9_S9_EESD_ST_SE_SF_SG_EUlST_E0_NS1_11comp_targetILNS1_3genE3ELNS1_11target_archE908ELNS1_3gpuE7ELNS1_3repE0EEENS1_38merge_mergepath_config_static_selectorELNS0_4arch9wavefront6targetE0EEEvSF_.has_indirect_call, 0
	.section	.AMDGPU.csdata,"",@progbits
; Kernel info:
; codeLenInByte = 0
; TotalNumSgprs: 0
; NumVgprs: 0
; ScratchSize: 0
; MemoryBound: 0
; FloatMode: 240
; IeeeMode: 1
; LDSByteSize: 0 bytes/workgroup (compile time only)
; SGPRBlocks: 0
; VGPRBlocks: 0
; NumSGPRsForWavesPerEU: 1
; NumVGPRsForWavesPerEU: 1
; NamedBarCnt: 0
; Occupancy: 16
; WaveLimiterHint : 0
; COMPUTE_PGM_RSRC2:SCRATCH_EN: 0
; COMPUTE_PGM_RSRC2:USER_SGPR: 2
; COMPUTE_PGM_RSRC2:TRAP_HANDLER: 0
; COMPUTE_PGM_RSRC2:TGID_X_EN: 1
; COMPUTE_PGM_RSRC2:TGID_Y_EN: 0
; COMPUTE_PGM_RSRC2:TGID_Z_EN: 0
; COMPUTE_PGM_RSRC2:TIDIG_COMP_CNT: 0
	.section	.text._ZN7rocprim17ROCPRIM_400000_NS6detail17trampoline_kernelINS0_14default_configENS1_38merge_sort_block_merge_config_selectorItNS0_10empty_typeEEEZZNS1_27merge_sort_block_merge_implIS3_PtPS5_jNS1_19radix_merge_compareILb1ELb0EtNS0_19identity_decomposerEEEEE10hipError_tT0_T1_T2_jT3_P12ihipStream_tbPNSt15iterator_traitsISE_E10value_typeEPNSK_ISF_E10value_typeEPSG_NS1_7vsmem_tEENKUlT_SE_SF_SG_E_clIS8_S8_S9_S9_EESD_ST_SE_SF_SG_EUlST_E0_NS1_11comp_targetILNS1_3genE2ELNS1_11target_archE906ELNS1_3gpuE6ELNS1_3repE0EEENS1_38merge_mergepath_config_static_selectorELNS0_4arch9wavefront6targetE0EEEvSF_,"axG",@progbits,_ZN7rocprim17ROCPRIM_400000_NS6detail17trampoline_kernelINS0_14default_configENS1_38merge_sort_block_merge_config_selectorItNS0_10empty_typeEEEZZNS1_27merge_sort_block_merge_implIS3_PtPS5_jNS1_19radix_merge_compareILb1ELb0EtNS0_19identity_decomposerEEEEE10hipError_tT0_T1_T2_jT3_P12ihipStream_tbPNSt15iterator_traitsISE_E10value_typeEPNSK_ISF_E10value_typeEPSG_NS1_7vsmem_tEENKUlT_SE_SF_SG_E_clIS8_S8_S9_S9_EESD_ST_SE_SF_SG_EUlST_E0_NS1_11comp_targetILNS1_3genE2ELNS1_11target_archE906ELNS1_3gpuE6ELNS1_3repE0EEENS1_38merge_mergepath_config_static_selectorELNS0_4arch9wavefront6targetE0EEEvSF_,comdat
	.protected	_ZN7rocprim17ROCPRIM_400000_NS6detail17trampoline_kernelINS0_14default_configENS1_38merge_sort_block_merge_config_selectorItNS0_10empty_typeEEEZZNS1_27merge_sort_block_merge_implIS3_PtPS5_jNS1_19radix_merge_compareILb1ELb0EtNS0_19identity_decomposerEEEEE10hipError_tT0_T1_T2_jT3_P12ihipStream_tbPNSt15iterator_traitsISE_E10value_typeEPNSK_ISF_E10value_typeEPSG_NS1_7vsmem_tEENKUlT_SE_SF_SG_E_clIS8_S8_S9_S9_EESD_ST_SE_SF_SG_EUlST_E0_NS1_11comp_targetILNS1_3genE2ELNS1_11target_archE906ELNS1_3gpuE6ELNS1_3repE0EEENS1_38merge_mergepath_config_static_selectorELNS0_4arch9wavefront6targetE0EEEvSF_ ; -- Begin function _ZN7rocprim17ROCPRIM_400000_NS6detail17trampoline_kernelINS0_14default_configENS1_38merge_sort_block_merge_config_selectorItNS0_10empty_typeEEEZZNS1_27merge_sort_block_merge_implIS3_PtPS5_jNS1_19radix_merge_compareILb1ELb0EtNS0_19identity_decomposerEEEEE10hipError_tT0_T1_T2_jT3_P12ihipStream_tbPNSt15iterator_traitsISE_E10value_typeEPNSK_ISF_E10value_typeEPSG_NS1_7vsmem_tEENKUlT_SE_SF_SG_E_clIS8_S8_S9_S9_EESD_ST_SE_SF_SG_EUlST_E0_NS1_11comp_targetILNS1_3genE2ELNS1_11target_archE906ELNS1_3gpuE6ELNS1_3repE0EEENS1_38merge_mergepath_config_static_selectorELNS0_4arch9wavefront6targetE0EEEvSF_
	.globl	_ZN7rocprim17ROCPRIM_400000_NS6detail17trampoline_kernelINS0_14default_configENS1_38merge_sort_block_merge_config_selectorItNS0_10empty_typeEEEZZNS1_27merge_sort_block_merge_implIS3_PtPS5_jNS1_19radix_merge_compareILb1ELb0EtNS0_19identity_decomposerEEEEE10hipError_tT0_T1_T2_jT3_P12ihipStream_tbPNSt15iterator_traitsISE_E10value_typeEPNSK_ISF_E10value_typeEPSG_NS1_7vsmem_tEENKUlT_SE_SF_SG_E_clIS8_S8_S9_S9_EESD_ST_SE_SF_SG_EUlST_E0_NS1_11comp_targetILNS1_3genE2ELNS1_11target_archE906ELNS1_3gpuE6ELNS1_3repE0EEENS1_38merge_mergepath_config_static_selectorELNS0_4arch9wavefront6targetE0EEEvSF_
	.p2align	8
	.type	_ZN7rocprim17ROCPRIM_400000_NS6detail17trampoline_kernelINS0_14default_configENS1_38merge_sort_block_merge_config_selectorItNS0_10empty_typeEEEZZNS1_27merge_sort_block_merge_implIS3_PtPS5_jNS1_19radix_merge_compareILb1ELb0EtNS0_19identity_decomposerEEEEE10hipError_tT0_T1_T2_jT3_P12ihipStream_tbPNSt15iterator_traitsISE_E10value_typeEPNSK_ISF_E10value_typeEPSG_NS1_7vsmem_tEENKUlT_SE_SF_SG_E_clIS8_S8_S9_S9_EESD_ST_SE_SF_SG_EUlST_E0_NS1_11comp_targetILNS1_3genE2ELNS1_11target_archE906ELNS1_3gpuE6ELNS1_3repE0EEENS1_38merge_mergepath_config_static_selectorELNS0_4arch9wavefront6targetE0EEEvSF_,@function
_ZN7rocprim17ROCPRIM_400000_NS6detail17trampoline_kernelINS0_14default_configENS1_38merge_sort_block_merge_config_selectorItNS0_10empty_typeEEEZZNS1_27merge_sort_block_merge_implIS3_PtPS5_jNS1_19radix_merge_compareILb1ELb0EtNS0_19identity_decomposerEEEEE10hipError_tT0_T1_T2_jT3_P12ihipStream_tbPNSt15iterator_traitsISE_E10value_typeEPNSK_ISF_E10value_typeEPSG_NS1_7vsmem_tEENKUlT_SE_SF_SG_E_clIS8_S8_S9_S9_EESD_ST_SE_SF_SG_EUlST_E0_NS1_11comp_targetILNS1_3genE2ELNS1_11target_archE906ELNS1_3gpuE6ELNS1_3repE0EEENS1_38merge_mergepath_config_static_selectorELNS0_4arch9wavefront6targetE0EEEvSF_: ; @_ZN7rocprim17ROCPRIM_400000_NS6detail17trampoline_kernelINS0_14default_configENS1_38merge_sort_block_merge_config_selectorItNS0_10empty_typeEEEZZNS1_27merge_sort_block_merge_implIS3_PtPS5_jNS1_19radix_merge_compareILb1ELb0EtNS0_19identity_decomposerEEEEE10hipError_tT0_T1_T2_jT3_P12ihipStream_tbPNSt15iterator_traitsISE_E10value_typeEPNSK_ISF_E10value_typeEPSG_NS1_7vsmem_tEENKUlT_SE_SF_SG_E_clIS8_S8_S9_S9_EESD_ST_SE_SF_SG_EUlST_E0_NS1_11comp_targetILNS1_3genE2ELNS1_11target_archE906ELNS1_3gpuE6ELNS1_3repE0EEENS1_38merge_mergepath_config_static_selectorELNS0_4arch9wavefront6targetE0EEEvSF_
; %bb.0:
	.section	.rodata,"a",@progbits
	.p2align	6, 0x0
	.amdhsa_kernel _ZN7rocprim17ROCPRIM_400000_NS6detail17trampoline_kernelINS0_14default_configENS1_38merge_sort_block_merge_config_selectorItNS0_10empty_typeEEEZZNS1_27merge_sort_block_merge_implIS3_PtPS5_jNS1_19radix_merge_compareILb1ELb0EtNS0_19identity_decomposerEEEEE10hipError_tT0_T1_T2_jT3_P12ihipStream_tbPNSt15iterator_traitsISE_E10value_typeEPNSK_ISF_E10value_typeEPSG_NS1_7vsmem_tEENKUlT_SE_SF_SG_E_clIS8_S8_S9_S9_EESD_ST_SE_SF_SG_EUlST_E0_NS1_11comp_targetILNS1_3genE2ELNS1_11target_archE906ELNS1_3gpuE6ELNS1_3repE0EEENS1_38merge_mergepath_config_static_selectorELNS0_4arch9wavefront6targetE0EEEvSF_
		.amdhsa_group_segment_fixed_size 0
		.amdhsa_private_segment_fixed_size 0
		.amdhsa_kernarg_size 64
		.amdhsa_user_sgpr_count 2
		.amdhsa_user_sgpr_dispatch_ptr 0
		.amdhsa_user_sgpr_queue_ptr 0
		.amdhsa_user_sgpr_kernarg_segment_ptr 1
		.amdhsa_user_sgpr_dispatch_id 0
		.amdhsa_user_sgpr_kernarg_preload_length 0
		.amdhsa_user_sgpr_kernarg_preload_offset 0
		.amdhsa_user_sgpr_private_segment_size 0
		.amdhsa_wavefront_size32 1
		.amdhsa_uses_dynamic_stack 0
		.amdhsa_enable_private_segment 0
		.amdhsa_system_sgpr_workgroup_id_x 1
		.amdhsa_system_sgpr_workgroup_id_y 0
		.amdhsa_system_sgpr_workgroup_id_z 0
		.amdhsa_system_sgpr_workgroup_info 0
		.amdhsa_system_vgpr_workitem_id 0
		.amdhsa_next_free_vgpr 1
		.amdhsa_next_free_sgpr 1
		.amdhsa_named_barrier_count 0
		.amdhsa_reserve_vcc 0
		.amdhsa_float_round_mode_32 0
		.amdhsa_float_round_mode_16_64 0
		.amdhsa_float_denorm_mode_32 3
		.amdhsa_float_denorm_mode_16_64 3
		.amdhsa_fp16_overflow 0
		.amdhsa_memory_ordered 1
		.amdhsa_forward_progress 1
		.amdhsa_inst_pref_size 0
		.amdhsa_round_robin_scheduling 0
		.amdhsa_exception_fp_ieee_invalid_op 0
		.amdhsa_exception_fp_denorm_src 0
		.amdhsa_exception_fp_ieee_div_zero 0
		.amdhsa_exception_fp_ieee_overflow 0
		.amdhsa_exception_fp_ieee_underflow 0
		.amdhsa_exception_fp_ieee_inexact 0
		.amdhsa_exception_int_div_zero 0
	.end_amdhsa_kernel
	.section	.text._ZN7rocprim17ROCPRIM_400000_NS6detail17trampoline_kernelINS0_14default_configENS1_38merge_sort_block_merge_config_selectorItNS0_10empty_typeEEEZZNS1_27merge_sort_block_merge_implIS3_PtPS5_jNS1_19radix_merge_compareILb1ELb0EtNS0_19identity_decomposerEEEEE10hipError_tT0_T1_T2_jT3_P12ihipStream_tbPNSt15iterator_traitsISE_E10value_typeEPNSK_ISF_E10value_typeEPSG_NS1_7vsmem_tEENKUlT_SE_SF_SG_E_clIS8_S8_S9_S9_EESD_ST_SE_SF_SG_EUlST_E0_NS1_11comp_targetILNS1_3genE2ELNS1_11target_archE906ELNS1_3gpuE6ELNS1_3repE0EEENS1_38merge_mergepath_config_static_selectorELNS0_4arch9wavefront6targetE0EEEvSF_,"axG",@progbits,_ZN7rocprim17ROCPRIM_400000_NS6detail17trampoline_kernelINS0_14default_configENS1_38merge_sort_block_merge_config_selectorItNS0_10empty_typeEEEZZNS1_27merge_sort_block_merge_implIS3_PtPS5_jNS1_19radix_merge_compareILb1ELb0EtNS0_19identity_decomposerEEEEE10hipError_tT0_T1_T2_jT3_P12ihipStream_tbPNSt15iterator_traitsISE_E10value_typeEPNSK_ISF_E10value_typeEPSG_NS1_7vsmem_tEENKUlT_SE_SF_SG_E_clIS8_S8_S9_S9_EESD_ST_SE_SF_SG_EUlST_E0_NS1_11comp_targetILNS1_3genE2ELNS1_11target_archE906ELNS1_3gpuE6ELNS1_3repE0EEENS1_38merge_mergepath_config_static_selectorELNS0_4arch9wavefront6targetE0EEEvSF_,comdat
.Lfunc_end2317:
	.size	_ZN7rocprim17ROCPRIM_400000_NS6detail17trampoline_kernelINS0_14default_configENS1_38merge_sort_block_merge_config_selectorItNS0_10empty_typeEEEZZNS1_27merge_sort_block_merge_implIS3_PtPS5_jNS1_19radix_merge_compareILb1ELb0EtNS0_19identity_decomposerEEEEE10hipError_tT0_T1_T2_jT3_P12ihipStream_tbPNSt15iterator_traitsISE_E10value_typeEPNSK_ISF_E10value_typeEPSG_NS1_7vsmem_tEENKUlT_SE_SF_SG_E_clIS8_S8_S9_S9_EESD_ST_SE_SF_SG_EUlST_E0_NS1_11comp_targetILNS1_3genE2ELNS1_11target_archE906ELNS1_3gpuE6ELNS1_3repE0EEENS1_38merge_mergepath_config_static_selectorELNS0_4arch9wavefront6targetE0EEEvSF_, .Lfunc_end2317-_ZN7rocprim17ROCPRIM_400000_NS6detail17trampoline_kernelINS0_14default_configENS1_38merge_sort_block_merge_config_selectorItNS0_10empty_typeEEEZZNS1_27merge_sort_block_merge_implIS3_PtPS5_jNS1_19radix_merge_compareILb1ELb0EtNS0_19identity_decomposerEEEEE10hipError_tT0_T1_T2_jT3_P12ihipStream_tbPNSt15iterator_traitsISE_E10value_typeEPNSK_ISF_E10value_typeEPSG_NS1_7vsmem_tEENKUlT_SE_SF_SG_E_clIS8_S8_S9_S9_EESD_ST_SE_SF_SG_EUlST_E0_NS1_11comp_targetILNS1_3genE2ELNS1_11target_archE906ELNS1_3gpuE6ELNS1_3repE0EEENS1_38merge_mergepath_config_static_selectorELNS0_4arch9wavefront6targetE0EEEvSF_
                                        ; -- End function
	.set _ZN7rocprim17ROCPRIM_400000_NS6detail17trampoline_kernelINS0_14default_configENS1_38merge_sort_block_merge_config_selectorItNS0_10empty_typeEEEZZNS1_27merge_sort_block_merge_implIS3_PtPS5_jNS1_19radix_merge_compareILb1ELb0EtNS0_19identity_decomposerEEEEE10hipError_tT0_T1_T2_jT3_P12ihipStream_tbPNSt15iterator_traitsISE_E10value_typeEPNSK_ISF_E10value_typeEPSG_NS1_7vsmem_tEENKUlT_SE_SF_SG_E_clIS8_S8_S9_S9_EESD_ST_SE_SF_SG_EUlST_E0_NS1_11comp_targetILNS1_3genE2ELNS1_11target_archE906ELNS1_3gpuE6ELNS1_3repE0EEENS1_38merge_mergepath_config_static_selectorELNS0_4arch9wavefront6targetE0EEEvSF_.num_vgpr, 0
	.set _ZN7rocprim17ROCPRIM_400000_NS6detail17trampoline_kernelINS0_14default_configENS1_38merge_sort_block_merge_config_selectorItNS0_10empty_typeEEEZZNS1_27merge_sort_block_merge_implIS3_PtPS5_jNS1_19radix_merge_compareILb1ELb0EtNS0_19identity_decomposerEEEEE10hipError_tT0_T1_T2_jT3_P12ihipStream_tbPNSt15iterator_traitsISE_E10value_typeEPNSK_ISF_E10value_typeEPSG_NS1_7vsmem_tEENKUlT_SE_SF_SG_E_clIS8_S8_S9_S9_EESD_ST_SE_SF_SG_EUlST_E0_NS1_11comp_targetILNS1_3genE2ELNS1_11target_archE906ELNS1_3gpuE6ELNS1_3repE0EEENS1_38merge_mergepath_config_static_selectorELNS0_4arch9wavefront6targetE0EEEvSF_.num_agpr, 0
	.set _ZN7rocprim17ROCPRIM_400000_NS6detail17trampoline_kernelINS0_14default_configENS1_38merge_sort_block_merge_config_selectorItNS0_10empty_typeEEEZZNS1_27merge_sort_block_merge_implIS3_PtPS5_jNS1_19radix_merge_compareILb1ELb0EtNS0_19identity_decomposerEEEEE10hipError_tT0_T1_T2_jT3_P12ihipStream_tbPNSt15iterator_traitsISE_E10value_typeEPNSK_ISF_E10value_typeEPSG_NS1_7vsmem_tEENKUlT_SE_SF_SG_E_clIS8_S8_S9_S9_EESD_ST_SE_SF_SG_EUlST_E0_NS1_11comp_targetILNS1_3genE2ELNS1_11target_archE906ELNS1_3gpuE6ELNS1_3repE0EEENS1_38merge_mergepath_config_static_selectorELNS0_4arch9wavefront6targetE0EEEvSF_.numbered_sgpr, 0
	.set _ZN7rocprim17ROCPRIM_400000_NS6detail17trampoline_kernelINS0_14default_configENS1_38merge_sort_block_merge_config_selectorItNS0_10empty_typeEEEZZNS1_27merge_sort_block_merge_implIS3_PtPS5_jNS1_19radix_merge_compareILb1ELb0EtNS0_19identity_decomposerEEEEE10hipError_tT0_T1_T2_jT3_P12ihipStream_tbPNSt15iterator_traitsISE_E10value_typeEPNSK_ISF_E10value_typeEPSG_NS1_7vsmem_tEENKUlT_SE_SF_SG_E_clIS8_S8_S9_S9_EESD_ST_SE_SF_SG_EUlST_E0_NS1_11comp_targetILNS1_3genE2ELNS1_11target_archE906ELNS1_3gpuE6ELNS1_3repE0EEENS1_38merge_mergepath_config_static_selectorELNS0_4arch9wavefront6targetE0EEEvSF_.num_named_barrier, 0
	.set _ZN7rocprim17ROCPRIM_400000_NS6detail17trampoline_kernelINS0_14default_configENS1_38merge_sort_block_merge_config_selectorItNS0_10empty_typeEEEZZNS1_27merge_sort_block_merge_implIS3_PtPS5_jNS1_19radix_merge_compareILb1ELb0EtNS0_19identity_decomposerEEEEE10hipError_tT0_T1_T2_jT3_P12ihipStream_tbPNSt15iterator_traitsISE_E10value_typeEPNSK_ISF_E10value_typeEPSG_NS1_7vsmem_tEENKUlT_SE_SF_SG_E_clIS8_S8_S9_S9_EESD_ST_SE_SF_SG_EUlST_E0_NS1_11comp_targetILNS1_3genE2ELNS1_11target_archE906ELNS1_3gpuE6ELNS1_3repE0EEENS1_38merge_mergepath_config_static_selectorELNS0_4arch9wavefront6targetE0EEEvSF_.private_seg_size, 0
	.set _ZN7rocprim17ROCPRIM_400000_NS6detail17trampoline_kernelINS0_14default_configENS1_38merge_sort_block_merge_config_selectorItNS0_10empty_typeEEEZZNS1_27merge_sort_block_merge_implIS3_PtPS5_jNS1_19radix_merge_compareILb1ELb0EtNS0_19identity_decomposerEEEEE10hipError_tT0_T1_T2_jT3_P12ihipStream_tbPNSt15iterator_traitsISE_E10value_typeEPNSK_ISF_E10value_typeEPSG_NS1_7vsmem_tEENKUlT_SE_SF_SG_E_clIS8_S8_S9_S9_EESD_ST_SE_SF_SG_EUlST_E0_NS1_11comp_targetILNS1_3genE2ELNS1_11target_archE906ELNS1_3gpuE6ELNS1_3repE0EEENS1_38merge_mergepath_config_static_selectorELNS0_4arch9wavefront6targetE0EEEvSF_.uses_vcc, 0
	.set _ZN7rocprim17ROCPRIM_400000_NS6detail17trampoline_kernelINS0_14default_configENS1_38merge_sort_block_merge_config_selectorItNS0_10empty_typeEEEZZNS1_27merge_sort_block_merge_implIS3_PtPS5_jNS1_19radix_merge_compareILb1ELb0EtNS0_19identity_decomposerEEEEE10hipError_tT0_T1_T2_jT3_P12ihipStream_tbPNSt15iterator_traitsISE_E10value_typeEPNSK_ISF_E10value_typeEPSG_NS1_7vsmem_tEENKUlT_SE_SF_SG_E_clIS8_S8_S9_S9_EESD_ST_SE_SF_SG_EUlST_E0_NS1_11comp_targetILNS1_3genE2ELNS1_11target_archE906ELNS1_3gpuE6ELNS1_3repE0EEENS1_38merge_mergepath_config_static_selectorELNS0_4arch9wavefront6targetE0EEEvSF_.uses_flat_scratch, 0
	.set _ZN7rocprim17ROCPRIM_400000_NS6detail17trampoline_kernelINS0_14default_configENS1_38merge_sort_block_merge_config_selectorItNS0_10empty_typeEEEZZNS1_27merge_sort_block_merge_implIS3_PtPS5_jNS1_19radix_merge_compareILb1ELb0EtNS0_19identity_decomposerEEEEE10hipError_tT0_T1_T2_jT3_P12ihipStream_tbPNSt15iterator_traitsISE_E10value_typeEPNSK_ISF_E10value_typeEPSG_NS1_7vsmem_tEENKUlT_SE_SF_SG_E_clIS8_S8_S9_S9_EESD_ST_SE_SF_SG_EUlST_E0_NS1_11comp_targetILNS1_3genE2ELNS1_11target_archE906ELNS1_3gpuE6ELNS1_3repE0EEENS1_38merge_mergepath_config_static_selectorELNS0_4arch9wavefront6targetE0EEEvSF_.has_dyn_sized_stack, 0
	.set _ZN7rocprim17ROCPRIM_400000_NS6detail17trampoline_kernelINS0_14default_configENS1_38merge_sort_block_merge_config_selectorItNS0_10empty_typeEEEZZNS1_27merge_sort_block_merge_implIS3_PtPS5_jNS1_19radix_merge_compareILb1ELb0EtNS0_19identity_decomposerEEEEE10hipError_tT0_T1_T2_jT3_P12ihipStream_tbPNSt15iterator_traitsISE_E10value_typeEPNSK_ISF_E10value_typeEPSG_NS1_7vsmem_tEENKUlT_SE_SF_SG_E_clIS8_S8_S9_S9_EESD_ST_SE_SF_SG_EUlST_E0_NS1_11comp_targetILNS1_3genE2ELNS1_11target_archE906ELNS1_3gpuE6ELNS1_3repE0EEENS1_38merge_mergepath_config_static_selectorELNS0_4arch9wavefront6targetE0EEEvSF_.has_recursion, 0
	.set _ZN7rocprim17ROCPRIM_400000_NS6detail17trampoline_kernelINS0_14default_configENS1_38merge_sort_block_merge_config_selectorItNS0_10empty_typeEEEZZNS1_27merge_sort_block_merge_implIS3_PtPS5_jNS1_19radix_merge_compareILb1ELb0EtNS0_19identity_decomposerEEEEE10hipError_tT0_T1_T2_jT3_P12ihipStream_tbPNSt15iterator_traitsISE_E10value_typeEPNSK_ISF_E10value_typeEPSG_NS1_7vsmem_tEENKUlT_SE_SF_SG_E_clIS8_S8_S9_S9_EESD_ST_SE_SF_SG_EUlST_E0_NS1_11comp_targetILNS1_3genE2ELNS1_11target_archE906ELNS1_3gpuE6ELNS1_3repE0EEENS1_38merge_mergepath_config_static_selectorELNS0_4arch9wavefront6targetE0EEEvSF_.has_indirect_call, 0
	.section	.AMDGPU.csdata,"",@progbits
; Kernel info:
; codeLenInByte = 0
; TotalNumSgprs: 0
; NumVgprs: 0
; ScratchSize: 0
; MemoryBound: 0
; FloatMode: 240
; IeeeMode: 1
; LDSByteSize: 0 bytes/workgroup (compile time only)
; SGPRBlocks: 0
; VGPRBlocks: 0
; NumSGPRsForWavesPerEU: 1
; NumVGPRsForWavesPerEU: 1
; NamedBarCnt: 0
; Occupancy: 16
; WaveLimiterHint : 0
; COMPUTE_PGM_RSRC2:SCRATCH_EN: 0
; COMPUTE_PGM_RSRC2:USER_SGPR: 2
; COMPUTE_PGM_RSRC2:TRAP_HANDLER: 0
; COMPUTE_PGM_RSRC2:TGID_X_EN: 1
; COMPUTE_PGM_RSRC2:TGID_Y_EN: 0
; COMPUTE_PGM_RSRC2:TGID_Z_EN: 0
; COMPUTE_PGM_RSRC2:TIDIG_COMP_CNT: 0
	.section	.text._ZN7rocprim17ROCPRIM_400000_NS6detail17trampoline_kernelINS0_14default_configENS1_38merge_sort_block_merge_config_selectorItNS0_10empty_typeEEEZZNS1_27merge_sort_block_merge_implIS3_PtPS5_jNS1_19radix_merge_compareILb1ELb0EtNS0_19identity_decomposerEEEEE10hipError_tT0_T1_T2_jT3_P12ihipStream_tbPNSt15iterator_traitsISE_E10value_typeEPNSK_ISF_E10value_typeEPSG_NS1_7vsmem_tEENKUlT_SE_SF_SG_E_clIS8_S8_S9_S9_EESD_ST_SE_SF_SG_EUlST_E0_NS1_11comp_targetILNS1_3genE9ELNS1_11target_archE1100ELNS1_3gpuE3ELNS1_3repE0EEENS1_38merge_mergepath_config_static_selectorELNS0_4arch9wavefront6targetE0EEEvSF_,"axG",@progbits,_ZN7rocprim17ROCPRIM_400000_NS6detail17trampoline_kernelINS0_14default_configENS1_38merge_sort_block_merge_config_selectorItNS0_10empty_typeEEEZZNS1_27merge_sort_block_merge_implIS3_PtPS5_jNS1_19radix_merge_compareILb1ELb0EtNS0_19identity_decomposerEEEEE10hipError_tT0_T1_T2_jT3_P12ihipStream_tbPNSt15iterator_traitsISE_E10value_typeEPNSK_ISF_E10value_typeEPSG_NS1_7vsmem_tEENKUlT_SE_SF_SG_E_clIS8_S8_S9_S9_EESD_ST_SE_SF_SG_EUlST_E0_NS1_11comp_targetILNS1_3genE9ELNS1_11target_archE1100ELNS1_3gpuE3ELNS1_3repE0EEENS1_38merge_mergepath_config_static_selectorELNS0_4arch9wavefront6targetE0EEEvSF_,comdat
	.protected	_ZN7rocprim17ROCPRIM_400000_NS6detail17trampoline_kernelINS0_14default_configENS1_38merge_sort_block_merge_config_selectorItNS0_10empty_typeEEEZZNS1_27merge_sort_block_merge_implIS3_PtPS5_jNS1_19radix_merge_compareILb1ELb0EtNS0_19identity_decomposerEEEEE10hipError_tT0_T1_T2_jT3_P12ihipStream_tbPNSt15iterator_traitsISE_E10value_typeEPNSK_ISF_E10value_typeEPSG_NS1_7vsmem_tEENKUlT_SE_SF_SG_E_clIS8_S8_S9_S9_EESD_ST_SE_SF_SG_EUlST_E0_NS1_11comp_targetILNS1_3genE9ELNS1_11target_archE1100ELNS1_3gpuE3ELNS1_3repE0EEENS1_38merge_mergepath_config_static_selectorELNS0_4arch9wavefront6targetE0EEEvSF_ ; -- Begin function _ZN7rocprim17ROCPRIM_400000_NS6detail17trampoline_kernelINS0_14default_configENS1_38merge_sort_block_merge_config_selectorItNS0_10empty_typeEEEZZNS1_27merge_sort_block_merge_implIS3_PtPS5_jNS1_19radix_merge_compareILb1ELb0EtNS0_19identity_decomposerEEEEE10hipError_tT0_T1_T2_jT3_P12ihipStream_tbPNSt15iterator_traitsISE_E10value_typeEPNSK_ISF_E10value_typeEPSG_NS1_7vsmem_tEENKUlT_SE_SF_SG_E_clIS8_S8_S9_S9_EESD_ST_SE_SF_SG_EUlST_E0_NS1_11comp_targetILNS1_3genE9ELNS1_11target_archE1100ELNS1_3gpuE3ELNS1_3repE0EEENS1_38merge_mergepath_config_static_selectorELNS0_4arch9wavefront6targetE0EEEvSF_
	.globl	_ZN7rocprim17ROCPRIM_400000_NS6detail17trampoline_kernelINS0_14default_configENS1_38merge_sort_block_merge_config_selectorItNS0_10empty_typeEEEZZNS1_27merge_sort_block_merge_implIS3_PtPS5_jNS1_19radix_merge_compareILb1ELb0EtNS0_19identity_decomposerEEEEE10hipError_tT0_T1_T2_jT3_P12ihipStream_tbPNSt15iterator_traitsISE_E10value_typeEPNSK_ISF_E10value_typeEPSG_NS1_7vsmem_tEENKUlT_SE_SF_SG_E_clIS8_S8_S9_S9_EESD_ST_SE_SF_SG_EUlST_E0_NS1_11comp_targetILNS1_3genE9ELNS1_11target_archE1100ELNS1_3gpuE3ELNS1_3repE0EEENS1_38merge_mergepath_config_static_selectorELNS0_4arch9wavefront6targetE0EEEvSF_
	.p2align	8
	.type	_ZN7rocprim17ROCPRIM_400000_NS6detail17trampoline_kernelINS0_14default_configENS1_38merge_sort_block_merge_config_selectorItNS0_10empty_typeEEEZZNS1_27merge_sort_block_merge_implIS3_PtPS5_jNS1_19radix_merge_compareILb1ELb0EtNS0_19identity_decomposerEEEEE10hipError_tT0_T1_T2_jT3_P12ihipStream_tbPNSt15iterator_traitsISE_E10value_typeEPNSK_ISF_E10value_typeEPSG_NS1_7vsmem_tEENKUlT_SE_SF_SG_E_clIS8_S8_S9_S9_EESD_ST_SE_SF_SG_EUlST_E0_NS1_11comp_targetILNS1_3genE9ELNS1_11target_archE1100ELNS1_3gpuE3ELNS1_3repE0EEENS1_38merge_mergepath_config_static_selectorELNS0_4arch9wavefront6targetE0EEEvSF_,@function
_ZN7rocprim17ROCPRIM_400000_NS6detail17trampoline_kernelINS0_14default_configENS1_38merge_sort_block_merge_config_selectorItNS0_10empty_typeEEEZZNS1_27merge_sort_block_merge_implIS3_PtPS5_jNS1_19radix_merge_compareILb1ELb0EtNS0_19identity_decomposerEEEEE10hipError_tT0_T1_T2_jT3_P12ihipStream_tbPNSt15iterator_traitsISE_E10value_typeEPNSK_ISF_E10value_typeEPSG_NS1_7vsmem_tEENKUlT_SE_SF_SG_E_clIS8_S8_S9_S9_EESD_ST_SE_SF_SG_EUlST_E0_NS1_11comp_targetILNS1_3genE9ELNS1_11target_archE1100ELNS1_3gpuE3ELNS1_3repE0EEENS1_38merge_mergepath_config_static_selectorELNS0_4arch9wavefront6targetE0EEEvSF_: ; @_ZN7rocprim17ROCPRIM_400000_NS6detail17trampoline_kernelINS0_14default_configENS1_38merge_sort_block_merge_config_selectorItNS0_10empty_typeEEEZZNS1_27merge_sort_block_merge_implIS3_PtPS5_jNS1_19radix_merge_compareILb1ELb0EtNS0_19identity_decomposerEEEEE10hipError_tT0_T1_T2_jT3_P12ihipStream_tbPNSt15iterator_traitsISE_E10value_typeEPNSK_ISF_E10value_typeEPSG_NS1_7vsmem_tEENKUlT_SE_SF_SG_E_clIS8_S8_S9_S9_EESD_ST_SE_SF_SG_EUlST_E0_NS1_11comp_targetILNS1_3genE9ELNS1_11target_archE1100ELNS1_3gpuE3ELNS1_3repE0EEENS1_38merge_mergepath_config_static_selectorELNS0_4arch9wavefront6targetE0EEEvSF_
; %bb.0:
	.section	.rodata,"a",@progbits
	.p2align	6, 0x0
	.amdhsa_kernel _ZN7rocprim17ROCPRIM_400000_NS6detail17trampoline_kernelINS0_14default_configENS1_38merge_sort_block_merge_config_selectorItNS0_10empty_typeEEEZZNS1_27merge_sort_block_merge_implIS3_PtPS5_jNS1_19radix_merge_compareILb1ELb0EtNS0_19identity_decomposerEEEEE10hipError_tT0_T1_T2_jT3_P12ihipStream_tbPNSt15iterator_traitsISE_E10value_typeEPNSK_ISF_E10value_typeEPSG_NS1_7vsmem_tEENKUlT_SE_SF_SG_E_clIS8_S8_S9_S9_EESD_ST_SE_SF_SG_EUlST_E0_NS1_11comp_targetILNS1_3genE9ELNS1_11target_archE1100ELNS1_3gpuE3ELNS1_3repE0EEENS1_38merge_mergepath_config_static_selectorELNS0_4arch9wavefront6targetE0EEEvSF_
		.amdhsa_group_segment_fixed_size 0
		.amdhsa_private_segment_fixed_size 0
		.amdhsa_kernarg_size 64
		.amdhsa_user_sgpr_count 2
		.amdhsa_user_sgpr_dispatch_ptr 0
		.amdhsa_user_sgpr_queue_ptr 0
		.amdhsa_user_sgpr_kernarg_segment_ptr 1
		.amdhsa_user_sgpr_dispatch_id 0
		.amdhsa_user_sgpr_kernarg_preload_length 0
		.amdhsa_user_sgpr_kernarg_preload_offset 0
		.amdhsa_user_sgpr_private_segment_size 0
		.amdhsa_wavefront_size32 1
		.amdhsa_uses_dynamic_stack 0
		.amdhsa_enable_private_segment 0
		.amdhsa_system_sgpr_workgroup_id_x 1
		.amdhsa_system_sgpr_workgroup_id_y 0
		.amdhsa_system_sgpr_workgroup_id_z 0
		.amdhsa_system_sgpr_workgroup_info 0
		.amdhsa_system_vgpr_workitem_id 0
		.amdhsa_next_free_vgpr 1
		.amdhsa_next_free_sgpr 1
		.amdhsa_named_barrier_count 0
		.amdhsa_reserve_vcc 0
		.amdhsa_float_round_mode_32 0
		.amdhsa_float_round_mode_16_64 0
		.amdhsa_float_denorm_mode_32 3
		.amdhsa_float_denorm_mode_16_64 3
		.amdhsa_fp16_overflow 0
		.amdhsa_memory_ordered 1
		.amdhsa_forward_progress 1
		.amdhsa_inst_pref_size 0
		.amdhsa_round_robin_scheduling 0
		.amdhsa_exception_fp_ieee_invalid_op 0
		.amdhsa_exception_fp_denorm_src 0
		.amdhsa_exception_fp_ieee_div_zero 0
		.amdhsa_exception_fp_ieee_overflow 0
		.amdhsa_exception_fp_ieee_underflow 0
		.amdhsa_exception_fp_ieee_inexact 0
		.amdhsa_exception_int_div_zero 0
	.end_amdhsa_kernel
	.section	.text._ZN7rocprim17ROCPRIM_400000_NS6detail17trampoline_kernelINS0_14default_configENS1_38merge_sort_block_merge_config_selectorItNS0_10empty_typeEEEZZNS1_27merge_sort_block_merge_implIS3_PtPS5_jNS1_19radix_merge_compareILb1ELb0EtNS0_19identity_decomposerEEEEE10hipError_tT0_T1_T2_jT3_P12ihipStream_tbPNSt15iterator_traitsISE_E10value_typeEPNSK_ISF_E10value_typeEPSG_NS1_7vsmem_tEENKUlT_SE_SF_SG_E_clIS8_S8_S9_S9_EESD_ST_SE_SF_SG_EUlST_E0_NS1_11comp_targetILNS1_3genE9ELNS1_11target_archE1100ELNS1_3gpuE3ELNS1_3repE0EEENS1_38merge_mergepath_config_static_selectorELNS0_4arch9wavefront6targetE0EEEvSF_,"axG",@progbits,_ZN7rocprim17ROCPRIM_400000_NS6detail17trampoline_kernelINS0_14default_configENS1_38merge_sort_block_merge_config_selectorItNS0_10empty_typeEEEZZNS1_27merge_sort_block_merge_implIS3_PtPS5_jNS1_19radix_merge_compareILb1ELb0EtNS0_19identity_decomposerEEEEE10hipError_tT0_T1_T2_jT3_P12ihipStream_tbPNSt15iterator_traitsISE_E10value_typeEPNSK_ISF_E10value_typeEPSG_NS1_7vsmem_tEENKUlT_SE_SF_SG_E_clIS8_S8_S9_S9_EESD_ST_SE_SF_SG_EUlST_E0_NS1_11comp_targetILNS1_3genE9ELNS1_11target_archE1100ELNS1_3gpuE3ELNS1_3repE0EEENS1_38merge_mergepath_config_static_selectorELNS0_4arch9wavefront6targetE0EEEvSF_,comdat
.Lfunc_end2318:
	.size	_ZN7rocprim17ROCPRIM_400000_NS6detail17trampoline_kernelINS0_14default_configENS1_38merge_sort_block_merge_config_selectorItNS0_10empty_typeEEEZZNS1_27merge_sort_block_merge_implIS3_PtPS5_jNS1_19radix_merge_compareILb1ELb0EtNS0_19identity_decomposerEEEEE10hipError_tT0_T1_T2_jT3_P12ihipStream_tbPNSt15iterator_traitsISE_E10value_typeEPNSK_ISF_E10value_typeEPSG_NS1_7vsmem_tEENKUlT_SE_SF_SG_E_clIS8_S8_S9_S9_EESD_ST_SE_SF_SG_EUlST_E0_NS1_11comp_targetILNS1_3genE9ELNS1_11target_archE1100ELNS1_3gpuE3ELNS1_3repE0EEENS1_38merge_mergepath_config_static_selectorELNS0_4arch9wavefront6targetE0EEEvSF_, .Lfunc_end2318-_ZN7rocprim17ROCPRIM_400000_NS6detail17trampoline_kernelINS0_14default_configENS1_38merge_sort_block_merge_config_selectorItNS0_10empty_typeEEEZZNS1_27merge_sort_block_merge_implIS3_PtPS5_jNS1_19radix_merge_compareILb1ELb0EtNS0_19identity_decomposerEEEEE10hipError_tT0_T1_T2_jT3_P12ihipStream_tbPNSt15iterator_traitsISE_E10value_typeEPNSK_ISF_E10value_typeEPSG_NS1_7vsmem_tEENKUlT_SE_SF_SG_E_clIS8_S8_S9_S9_EESD_ST_SE_SF_SG_EUlST_E0_NS1_11comp_targetILNS1_3genE9ELNS1_11target_archE1100ELNS1_3gpuE3ELNS1_3repE0EEENS1_38merge_mergepath_config_static_selectorELNS0_4arch9wavefront6targetE0EEEvSF_
                                        ; -- End function
	.set _ZN7rocprim17ROCPRIM_400000_NS6detail17trampoline_kernelINS0_14default_configENS1_38merge_sort_block_merge_config_selectorItNS0_10empty_typeEEEZZNS1_27merge_sort_block_merge_implIS3_PtPS5_jNS1_19radix_merge_compareILb1ELb0EtNS0_19identity_decomposerEEEEE10hipError_tT0_T1_T2_jT3_P12ihipStream_tbPNSt15iterator_traitsISE_E10value_typeEPNSK_ISF_E10value_typeEPSG_NS1_7vsmem_tEENKUlT_SE_SF_SG_E_clIS8_S8_S9_S9_EESD_ST_SE_SF_SG_EUlST_E0_NS1_11comp_targetILNS1_3genE9ELNS1_11target_archE1100ELNS1_3gpuE3ELNS1_3repE0EEENS1_38merge_mergepath_config_static_selectorELNS0_4arch9wavefront6targetE0EEEvSF_.num_vgpr, 0
	.set _ZN7rocprim17ROCPRIM_400000_NS6detail17trampoline_kernelINS0_14default_configENS1_38merge_sort_block_merge_config_selectorItNS0_10empty_typeEEEZZNS1_27merge_sort_block_merge_implIS3_PtPS5_jNS1_19radix_merge_compareILb1ELb0EtNS0_19identity_decomposerEEEEE10hipError_tT0_T1_T2_jT3_P12ihipStream_tbPNSt15iterator_traitsISE_E10value_typeEPNSK_ISF_E10value_typeEPSG_NS1_7vsmem_tEENKUlT_SE_SF_SG_E_clIS8_S8_S9_S9_EESD_ST_SE_SF_SG_EUlST_E0_NS1_11comp_targetILNS1_3genE9ELNS1_11target_archE1100ELNS1_3gpuE3ELNS1_3repE0EEENS1_38merge_mergepath_config_static_selectorELNS0_4arch9wavefront6targetE0EEEvSF_.num_agpr, 0
	.set _ZN7rocprim17ROCPRIM_400000_NS6detail17trampoline_kernelINS0_14default_configENS1_38merge_sort_block_merge_config_selectorItNS0_10empty_typeEEEZZNS1_27merge_sort_block_merge_implIS3_PtPS5_jNS1_19radix_merge_compareILb1ELb0EtNS0_19identity_decomposerEEEEE10hipError_tT0_T1_T2_jT3_P12ihipStream_tbPNSt15iterator_traitsISE_E10value_typeEPNSK_ISF_E10value_typeEPSG_NS1_7vsmem_tEENKUlT_SE_SF_SG_E_clIS8_S8_S9_S9_EESD_ST_SE_SF_SG_EUlST_E0_NS1_11comp_targetILNS1_3genE9ELNS1_11target_archE1100ELNS1_3gpuE3ELNS1_3repE0EEENS1_38merge_mergepath_config_static_selectorELNS0_4arch9wavefront6targetE0EEEvSF_.numbered_sgpr, 0
	.set _ZN7rocprim17ROCPRIM_400000_NS6detail17trampoline_kernelINS0_14default_configENS1_38merge_sort_block_merge_config_selectorItNS0_10empty_typeEEEZZNS1_27merge_sort_block_merge_implIS3_PtPS5_jNS1_19radix_merge_compareILb1ELb0EtNS0_19identity_decomposerEEEEE10hipError_tT0_T1_T2_jT3_P12ihipStream_tbPNSt15iterator_traitsISE_E10value_typeEPNSK_ISF_E10value_typeEPSG_NS1_7vsmem_tEENKUlT_SE_SF_SG_E_clIS8_S8_S9_S9_EESD_ST_SE_SF_SG_EUlST_E0_NS1_11comp_targetILNS1_3genE9ELNS1_11target_archE1100ELNS1_3gpuE3ELNS1_3repE0EEENS1_38merge_mergepath_config_static_selectorELNS0_4arch9wavefront6targetE0EEEvSF_.num_named_barrier, 0
	.set _ZN7rocprim17ROCPRIM_400000_NS6detail17trampoline_kernelINS0_14default_configENS1_38merge_sort_block_merge_config_selectorItNS0_10empty_typeEEEZZNS1_27merge_sort_block_merge_implIS3_PtPS5_jNS1_19radix_merge_compareILb1ELb0EtNS0_19identity_decomposerEEEEE10hipError_tT0_T1_T2_jT3_P12ihipStream_tbPNSt15iterator_traitsISE_E10value_typeEPNSK_ISF_E10value_typeEPSG_NS1_7vsmem_tEENKUlT_SE_SF_SG_E_clIS8_S8_S9_S9_EESD_ST_SE_SF_SG_EUlST_E0_NS1_11comp_targetILNS1_3genE9ELNS1_11target_archE1100ELNS1_3gpuE3ELNS1_3repE0EEENS1_38merge_mergepath_config_static_selectorELNS0_4arch9wavefront6targetE0EEEvSF_.private_seg_size, 0
	.set _ZN7rocprim17ROCPRIM_400000_NS6detail17trampoline_kernelINS0_14default_configENS1_38merge_sort_block_merge_config_selectorItNS0_10empty_typeEEEZZNS1_27merge_sort_block_merge_implIS3_PtPS5_jNS1_19radix_merge_compareILb1ELb0EtNS0_19identity_decomposerEEEEE10hipError_tT0_T1_T2_jT3_P12ihipStream_tbPNSt15iterator_traitsISE_E10value_typeEPNSK_ISF_E10value_typeEPSG_NS1_7vsmem_tEENKUlT_SE_SF_SG_E_clIS8_S8_S9_S9_EESD_ST_SE_SF_SG_EUlST_E0_NS1_11comp_targetILNS1_3genE9ELNS1_11target_archE1100ELNS1_3gpuE3ELNS1_3repE0EEENS1_38merge_mergepath_config_static_selectorELNS0_4arch9wavefront6targetE0EEEvSF_.uses_vcc, 0
	.set _ZN7rocprim17ROCPRIM_400000_NS6detail17trampoline_kernelINS0_14default_configENS1_38merge_sort_block_merge_config_selectorItNS0_10empty_typeEEEZZNS1_27merge_sort_block_merge_implIS3_PtPS5_jNS1_19radix_merge_compareILb1ELb0EtNS0_19identity_decomposerEEEEE10hipError_tT0_T1_T2_jT3_P12ihipStream_tbPNSt15iterator_traitsISE_E10value_typeEPNSK_ISF_E10value_typeEPSG_NS1_7vsmem_tEENKUlT_SE_SF_SG_E_clIS8_S8_S9_S9_EESD_ST_SE_SF_SG_EUlST_E0_NS1_11comp_targetILNS1_3genE9ELNS1_11target_archE1100ELNS1_3gpuE3ELNS1_3repE0EEENS1_38merge_mergepath_config_static_selectorELNS0_4arch9wavefront6targetE0EEEvSF_.uses_flat_scratch, 0
	.set _ZN7rocprim17ROCPRIM_400000_NS6detail17trampoline_kernelINS0_14default_configENS1_38merge_sort_block_merge_config_selectorItNS0_10empty_typeEEEZZNS1_27merge_sort_block_merge_implIS3_PtPS5_jNS1_19radix_merge_compareILb1ELb0EtNS0_19identity_decomposerEEEEE10hipError_tT0_T1_T2_jT3_P12ihipStream_tbPNSt15iterator_traitsISE_E10value_typeEPNSK_ISF_E10value_typeEPSG_NS1_7vsmem_tEENKUlT_SE_SF_SG_E_clIS8_S8_S9_S9_EESD_ST_SE_SF_SG_EUlST_E0_NS1_11comp_targetILNS1_3genE9ELNS1_11target_archE1100ELNS1_3gpuE3ELNS1_3repE0EEENS1_38merge_mergepath_config_static_selectorELNS0_4arch9wavefront6targetE0EEEvSF_.has_dyn_sized_stack, 0
	.set _ZN7rocprim17ROCPRIM_400000_NS6detail17trampoline_kernelINS0_14default_configENS1_38merge_sort_block_merge_config_selectorItNS0_10empty_typeEEEZZNS1_27merge_sort_block_merge_implIS3_PtPS5_jNS1_19radix_merge_compareILb1ELb0EtNS0_19identity_decomposerEEEEE10hipError_tT0_T1_T2_jT3_P12ihipStream_tbPNSt15iterator_traitsISE_E10value_typeEPNSK_ISF_E10value_typeEPSG_NS1_7vsmem_tEENKUlT_SE_SF_SG_E_clIS8_S8_S9_S9_EESD_ST_SE_SF_SG_EUlST_E0_NS1_11comp_targetILNS1_3genE9ELNS1_11target_archE1100ELNS1_3gpuE3ELNS1_3repE0EEENS1_38merge_mergepath_config_static_selectorELNS0_4arch9wavefront6targetE0EEEvSF_.has_recursion, 0
	.set _ZN7rocprim17ROCPRIM_400000_NS6detail17trampoline_kernelINS0_14default_configENS1_38merge_sort_block_merge_config_selectorItNS0_10empty_typeEEEZZNS1_27merge_sort_block_merge_implIS3_PtPS5_jNS1_19radix_merge_compareILb1ELb0EtNS0_19identity_decomposerEEEEE10hipError_tT0_T1_T2_jT3_P12ihipStream_tbPNSt15iterator_traitsISE_E10value_typeEPNSK_ISF_E10value_typeEPSG_NS1_7vsmem_tEENKUlT_SE_SF_SG_E_clIS8_S8_S9_S9_EESD_ST_SE_SF_SG_EUlST_E0_NS1_11comp_targetILNS1_3genE9ELNS1_11target_archE1100ELNS1_3gpuE3ELNS1_3repE0EEENS1_38merge_mergepath_config_static_selectorELNS0_4arch9wavefront6targetE0EEEvSF_.has_indirect_call, 0
	.section	.AMDGPU.csdata,"",@progbits
; Kernel info:
; codeLenInByte = 0
; TotalNumSgprs: 0
; NumVgprs: 0
; ScratchSize: 0
; MemoryBound: 0
; FloatMode: 240
; IeeeMode: 1
; LDSByteSize: 0 bytes/workgroup (compile time only)
; SGPRBlocks: 0
; VGPRBlocks: 0
; NumSGPRsForWavesPerEU: 1
; NumVGPRsForWavesPerEU: 1
; NamedBarCnt: 0
; Occupancy: 16
; WaveLimiterHint : 0
; COMPUTE_PGM_RSRC2:SCRATCH_EN: 0
; COMPUTE_PGM_RSRC2:USER_SGPR: 2
; COMPUTE_PGM_RSRC2:TRAP_HANDLER: 0
; COMPUTE_PGM_RSRC2:TGID_X_EN: 1
; COMPUTE_PGM_RSRC2:TGID_Y_EN: 0
; COMPUTE_PGM_RSRC2:TGID_Z_EN: 0
; COMPUTE_PGM_RSRC2:TIDIG_COMP_CNT: 0
	.section	.text._ZN7rocprim17ROCPRIM_400000_NS6detail17trampoline_kernelINS0_14default_configENS1_38merge_sort_block_merge_config_selectorItNS0_10empty_typeEEEZZNS1_27merge_sort_block_merge_implIS3_PtPS5_jNS1_19radix_merge_compareILb1ELb0EtNS0_19identity_decomposerEEEEE10hipError_tT0_T1_T2_jT3_P12ihipStream_tbPNSt15iterator_traitsISE_E10value_typeEPNSK_ISF_E10value_typeEPSG_NS1_7vsmem_tEENKUlT_SE_SF_SG_E_clIS8_S8_S9_S9_EESD_ST_SE_SF_SG_EUlST_E0_NS1_11comp_targetILNS1_3genE8ELNS1_11target_archE1030ELNS1_3gpuE2ELNS1_3repE0EEENS1_38merge_mergepath_config_static_selectorELNS0_4arch9wavefront6targetE0EEEvSF_,"axG",@progbits,_ZN7rocprim17ROCPRIM_400000_NS6detail17trampoline_kernelINS0_14default_configENS1_38merge_sort_block_merge_config_selectorItNS0_10empty_typeEEEZZNS1_27merge_sort_block_merge_implIS3_PtPS5_jNS1_19radix_merge_compareILb1ELb0EtNS0_19identity_decomposerEEEEE10hipError_tT0_T1_T2_jT3_P12ihipStream_tbPNSt15iterator_traitsISE_E10value_typeEPNSK_ISF_E10value_typeEPSG_NS1_7vsmem_tEENKUlT_SE_SF_SG_E_clIS8_S8_S9_S9_EESD_ST_SE_SF_SG_EUlST_E0_NS1_11comp_targetILNS1_3genE8ELNS1_11target_archE1030ELNS1_3gpuE2ELNS1_3repE0EEENS1_38merge_mergepath_config_static_selectorELNS0_4arch9wavefront6targetE0EEEvSF_,comdat
	.protected	_ZN7rocprim17ROCPRIM_400000_NS6detail17trampoline_kernelINS0_14default_configENS1_38merge_sort_block_merge_config_selectorItNS0_10empty_typeEEEZZNS1_27merge_sort_block_merge_implIS3_PtPS5_jNS1_19radix_merge_compareILb1ELb0EtNS0_19identity_decomposerEEEEE10hipError_tT0_T1_T2_jT3_P12ihipStream_tbPNSt15iterator_traitsISE_E10value_typeEPNSK_ISF_E10value_typeEPSG_NS1_7vsmem_tEENKUlT_SE_SF_SG_E_clIS8_S8_S9_S9_EESD_ST_SE_SF_SG_EUlST_E0_NS1_11comp_targetILNS1_3genE8ELNS1_11target_archE1030ELNS1_3gpuE2ELNS1_3repE0EEENS1_38merge_mergepath_config_static_selectorELNS0_4arch9wavefront6targetE0EEEvSF_ ; -- Begin function _ZN7rocprim17ROCPRIM_400000_NS6detail17trampoline_kernelINS0_14default_configENS1_38merge_sort_block_merge_config_selectorItNS0_10empty_typeEEEZZNS1_27merge_sort_block_merge_implIS3_PtPS5_jNS1_19radix_merge_compareILb1ELb0EtNS0_19identity_decomposerEEEEE10hipError_tT0_T1_T2_jT3_P12ihipStream_tbPNSt15iterator_traitsISE_E10value_typeEPNSK_ISF_E10value_typeEPSG_NS1_7vsmem_tEENKUlT_SE_SF_SG_E_clIS8_S8_S9_S9_EESD_ST_SE_SF_SG_EUlST_E0_NS1_11comp_targetILNS1_3genE8ELNS1_11target_archE1030ELNS1_3gpuE2ELNS1_3repE0EEENS1_38merge_mergepath_config_static_selectorELNS0_4arch9wavefront6targetE0EEEvSF_
	.globl	_ZN7rocprim17ROCPRIM_400000_NS6detail17trampoline_kernelINS0_14default_configENS1_38merge_sort_block_merge_config_selectorItNS0_10empty_typeEEEZZNS1_27merge_sort_block_merge_implIS3_PtPS5_jNS1_19radix_merge_compareILb1ELb0EtNS0_19identity_decomposerEEEEE10hipError_tT0_T1_T2_jT3_P12ihipStream_tbPNSt15iterator_traitsISE_E10value_typeEPNSK_ISF_E10value_typeEPSG_NS1_7vsmem_tEENKUlT_SE_SF_SG_E_clIS8_S8_S9_S9_EESD_ST_SE_SF_SG_EUlST_E0_NS1_11comp_targetILNS1_3genE8ELNS1_11target_archE1030ELNS1_3gpuE2ELNS1_3repE0EEENS1_38merge_mergepath_config_static_selectorELNS0_4arch9wavefront6targetE0EEEvSF_
	.p2align	8
	.type	_ZN7rocprim17ROCPRIM_400000_NS6detail17trampoline_kernelINS0_14default_configENS1_38merge_sort_block_merge_config_selectorItNS0_10empty_typeEEEZZNS1_27merge_sort_block_merge_implIS3_PtPS5_jNS1_19radix_merge_compareILb1ELb0EtNS0_19identity_decomposerEEEEE10hipError_tT0_T1_T2_jT3_P12ihipStream_tbPNSt15iterator_traitsISE_E10value_typeEPNSK_ISF_E10value_typeEPSG_NS1_7vsmem_tEENKUlT_SE_SF_SG_E_clIS8_S8_S9_S9_EESD_ST_SE_SF_SG_EUlST_E0_NS1_11comp_targetILNS1_3genE8ELNS1_11target_archE1030ELNS1_3gpuE2ELNS1_3repE0EEENS1_38merge_mergepath_config_static_selectorELNS0_4arch9wavefront6targetE0EEEvSF_,@function
_ZN7rocprim17ROCPRIM_400000_NS6detail17trampoline_kernelINS0_14default_configENS1_38merge_sort_block_merge_config_selectorItNS0_10empty_typeEEEZZNS1_27merge_sort_block_merge_implIS3_PtPS5_jNS1_19radix_merge_compareILb1ELb0EtNS0_19identity_decomposerEEEEE10hipError_tT0_T1_T2_jT3_P12ihipStream_tbPNSt15iterator_traitsISE_E10value_typeEPNSK_ISF_E10value_typeEPSG_NS1_7vsmem_tEENKUlT_SE_SF_SG_E_clIS8_S8_S9_S9_EESD_ST_SE_SF_SG_EUlST_E0_NS1_11comp_targetILNS1_3genE8ELNS1_11target_archE1030ELNS1_3gpuE2ELNS1_3repE0EEENS1_38merge_mergepath_config_static_selectorELNS0_4arch9wavefront6targetE0EEEvSF_: ; @_ZN7rocprim17ROCPRIM_400000_NS6detail17trampoline_kernelINS0_14default_configENS1_38merge_sort_block_merge_config_selectorItNS0_10empty_typeEEEZZNS1_27merge_sort_block_merge_implIS3_PtPS5_jNS1_19radix_merge_compareILb1ELb0EtNS0_19identity_decomposerEEEEE10hipError_tT0_T1_T2_jT3_P12ihipStream_tbPNSt15iterator_traitsISE_E10value_typeEPNSK_ISF_E10value_typeEPSG_NS1_7vsmem_tEENKUlT_SE_SF_SG_E_clIS8_S8_S9_S9_EESD_ST_SE_SF_SG_EUlST_E0_NS1_11comp_targetILNS1_3genE8ELNS1_11target_archE1030ELNS1_3gpuE2ELNS1_3repE0EEENS1_38merge_mergepath_config_static_selectorELNS0_4arch9wavefront6targetE0EEEvSF_
; %bb.0:
	.section	.rodata,"a",@progbits
	.p2align	6, 0x0
	.amdhsa_kernel _ZN7rocprim17ROCPRIM_400000_NS6detail17trampoline_kernelINS0_14default_configENS1_38merge_sort_block_merge_config_selectorItNS0_10empty_typeEEEZZNS1_27merge_sort_block_merge_implIS3_PtPS5_jNS1_19radix_merge_compareILb1ELb0EtNS0_19identity_decomposerEEEEE10hipError_tT0_T1_T2_jT3_P12ihipStream_tbPNSt15iterator_traitsISE_E10value_typeEPNSK_ISF_E10value_typeEPSG_NS1_7vsmem_tEENKUlT_SE_SF_SG_E_clIS8_S8_S9_S9_EESD_ST_SE_SF_SG_EUlST_E0_NS1_11comp_targetILNS1_3genE8ELNS1_11target_archE1030ELNS1_3gpuE2ELNS1_3repE0EEENS1_38merge_mergepath_config_static_selectorELNS0_4arch9wavefront6targetE0EEEvSF_
		.amdhsa_group_segment_fixed_size 0
		.amdhsa_private_segment_fixed_size 0
		.amdhsa_kernarg_size 64
		.amdhsa_user_sgpr_count 2
		.amdhsa_user_sgpr_dispatch_ptr 0
		.amdhsa_user_sgpr_queue_ptr 0
		.amdhsa_user_sgpr_kernarg_segment_ptr 1
		.amdhsa_user_sgpr_dispatch_id 0
		.amdhsa_user_sgpr_kernarg_preload_length 0
		.amdhsa_user_sgpr_kernarg_preload_offset 0
		.amdhsa_user_sgpr_private_segment_size 0
		.amdhsa_wavefront_size32 1
		.amdhsa_uses_dynamic_stack 0
		.amdhsa_enable_private_segment 0
		.amdhsa_system_sgpr_workgroup_id_x 1
		.amdhsa_system_sgpr_workgroup_id_y 0
		.amdhsa_system_sgpr_workgroup_id_z 0
		.amdhsa_system_sgpr_workgroup_info 0
		.amdhsa_system_vgpr_workitem_id 0
		.amdhsa_next_free_vgpr 1
		.amdhsa_next_free_sgpr 1
		.amdhsa_named_barrier_count 0
		.amdhsa_reserve_vcc 0
		.amdhsa_float_round_mode_32 0
		.amdhsa_float_round_mode_16_64 0
		.amdhsa_float_denorm_mode_32 3
		.amdhsa_float_denorm_mode_16_64 3
		.amdhsa_fp16_overflow 0
		.amdhsa_memory_ordered 1
		.amdhsa_forward_progress 1
		.amdhsa_inst_pref_size 0
		.amdhsa_round_robin_scheduling 0
		.amdhsa_exception_fp_ieee_invalid_op 0
		.amdhsa_exception_fp_denorm_src 0
		.amdhsa_exception_fp_ieee_div_zero 0
		.amdhsa_exception_fp_ieee_overflow 0
		.amdhsa_exception_fp_ieee_underflow 0
		.amdhsa_exception_fp_ieee_inexact 0
		.amdhsa_exception_int_div_zero 0
	.end_amdhsa_kernel
	.section	.text._ZN7rocprim17ROCPRIM_400000_NS6detail17trampoline_kernelINS0_14default_configENS1_38merge_sort_block_merge_config_selectorItNS0_10empty_typeEEEZZNS1_27merge_sort_block_merge_implIS3_PtPS5_jNS1_19radix_merge_compareILb1ELb0EtNS0_19identity_decomposerEEEEE10hipError_tT0_T1_T2_jT3_P12ihipStream_tbPNSt15iterator_traitsISE_E10value_typeEPNSK_ISF_E10value_typeEPSG_NS1_7vsmem_tEENKUlT_SE_SF_SG_E_clIS8_S8_S9_S9_EESD_ST_SE_SF_SG_EUlST_E0_NS1_11comp_targetILNS1_3genE8ELNS1_11target_archE1030ELNS1_3gpuE2ELNS1_3repE0EEENS1_38merge_mergepath_config_static_selectorELNS0_4arch9wavefront6targetE0EEEvSF_,"axG",@progbits,_ZN7rocprim17ROCPRIM_400000_NS6detail17trampoline_kernelINS0_14default_configENS1_38merge_sort_block_merge_config_selectorItNS0_10empty_typeEEEZZNS1_27merge_sort_block_merge_implIS3_PtPS5_jNS1_19radix_merge_compareILb1ELb0EtNS0_19identity_decomposerEEEEE10hipError_tT0_T1_T2_jT3_P12ihipStream_tbPNSt15iterator_traitsISE_E10value_typeEPNSK_ISF_E10value_typeEPSG_NS1_7vsmem_tEENKUlT_SE_SF_SG_E_clIS8_S8_S9_S9_EESD_ST_SE_SF_SG_EUlST_E0_NS1_11comp_targetILNS1_3genE8ELNS1_11target_archE1030ELNS1_3gpuE2ELNS1_3repE0EEENS1_38merge_mergepath_config_static_selectorELNS0_4arch9wavefront6targetE0EEEvSF_,comdat
.Lfunc_end2319:
	.size	_ZN7rocprim17ROCPRIM_400000_NS6detail17trampoline_kernelINS0_14default_configENS1_38merge_sort_block_merge_config_selectorItNS0_10empty_typeEEEZZNS1_27merge_sort_block_merge_implIS3_PtPS5_jNS1_19radix_merge_compareILb1ELb0EtNS0_19identity_decomposerEEEEE10hipError_tT0_T1_T2_jT3_P12ihipStream_tbPNSt15iterator_traitsISE_E10value_typeEPNSK_ISF_E10value_typeEPSG_NS1_7vsmem_tEENKUlT_SE_SF_SG_E_clIS8_S8_S9_S9_EESD_ST_SE_SF_SG_EUlST_E0_NS1_11comp_targetILNS1_3genE8ELNS1_11target_archE1030ELNS1_3gpuE2ELNS1_3repE0EEENS1_38merge_mergepath_config_static_selectorELNS0_4arch9wavefront6targetE0EEEvSF_, .Lfunc_end2319-_ZN7rocprim17ROCPRIM_400000_NS6detail17trampoline_kernelINS0_14default_configENS1_38merge_sort_block_merge_config_selectorItNS0_10empty_typeEEEZZNS1_27merge_sort_block_merge_implIS3_PtPS5_jNS1_19radix_merge_compareILb1ELb0EtNS0_19identity_decomposerEEEEE10hipError_tT0_T1_T2_jT3_P12ihipStream_tbPNSt15iterator_traitsISE_E10value_typeEPNSK_ISF_E10value_typeEPSG_NS1_7vsmem_tEENKUlT_SE_SF_SG_E_clIS8_S8_S9_S9_EESD_ST_SE_SF_SG_EUlST_E0_NS1_11comp_targetILNS1_3genE8ELNS1_11target_archE1030ELNS1_3gpuE2ELNS1_3repE0EEENS1_38merge_mergepath_config_static_selectorELNS0_4arch9wavefront6targetE0EEEvSF_
                                        ; -- End function
	.set _ZN7rocprim17ROCPRIM_400000_NS6detail17trampoline_kernelINS0_14default_configENS1_38merge_sort_block_merge_config_selectorItNS0_10empty_typeEEEZZNS1_27merge_sort_block_merge_implIS3_PtPS5_jNS1_19radix_merge_compareILb1ELb0EtNS0_19identity_decomposerEEEEE10hipError_tT0_T1_T2_jT3_P12ihipStream_tbPNSt15iterator_traitsISE_E10value_typeEPNSK_ISF_E10value_typeEPSG_NS1_7vsmem_tEENKUlT_SE_SF_SG_E_clIS8_S8_S9_S9_EESD_ST_SE_SF_SG_EUlST_E0_NS1_11comp_targetILNS1_3genE8ELNS1_11target_archE1030ELNS1_3gpuE2ELNS1_3repE0EEENS1_38merge_mergepath_config_static_selectorELNS0_4arch9wavefront6targetE0EEEvSF_.num_vgpr, 0
	.set _ZN7rocprim17ROCPRIM_400000_NS6detail17trampoline_kernelINS0_14default_configENS1_38merge_sort_block_merge_config_selectorItNS0_10empty_typeEEEZZNS1_27merge_sort_block_merge_implIS3_PtPS5_jNS1_19radix_merge_compareILb1ELb0EtNS0_19identity_decomposerEEEEE10hipError_tT0_T1_T2_jT3_P12ihipStream_tbPNSt15iterator_traitsISE_E10value_typeEPNSK_ISF_E10value_typeEPSG_NS1_7vsmem_tEENKUlT_SE_SF_SG_E_clIS8_S8_S9_S9_EESD_ST_SE_SF_SG_EUlST_E0_NS1_11comp_targetILNS1_3genE8ELNS1_11target_archE1030ELNS1_3gpuE2ELNS1_3repE0EEENS1_38merge_mergepath_config_static_selectorELNS0_4arch9wavefront6targetE0EEEvSF_.num_agpr, 0
	.set _ZN7rocprim17ROCPRIM_400000_NS6detail17trampoline_kernelINS0_14default_configENS1_38merge_sort_block_merge_config_selectorItNS0_10empty_typeEEEZZNS1_27merge_sort_block_merge_implIS3_PtPS5_jNS1_19radix_merge_compareILb1ELb0EtNS0_19identity_decomposerEEEEE10hipError_tT0_T1_T2_jT3_P12ihipStream_tbPNSt15iterator_traitsISE_E10value_typeEPNSK_ISF_E10value_typeEPSG_NS1_7vsmem_tEENKUlT_SE_SF_SG_E_clIS8_S8_S9_S9_EESD_ST_SE_SF_SG_EUlST_E0_NS1_11comp_targetILNS1_3genE8ELNS1_11target_archE1030ELNS1_3gpuE2ELNS1_3repE0EEENS1_38merge_mergepath_config_static_selectorELNS0_4arch9wavefront6targetE0EEEvSF_.numbered_sgpr, 0
	.set _ZN7rocprim17ROCPRIM_400000_NS6detail17trampoline_kernelINS0_14default_configENS1_38merge_sort_block_merge_config_selectorItNS0_10empty_typeEEEZZNS1_27merge_sort_block_merge_implIS3_PtPS5_jNS1_19radix_merge_compareILb1ELb0EtNS0_19identity_decomposerEEEEE10hipError_tT0_T1_T2_jT3_P12ihipStream_tbPNSt15iterator_traitsISE_E10value_typeEPNSK_ISF_E10value_typeEPSG_NS1_7vsmem_tEENKUlT_SE_SF_SG_E_clIS8_S8_S9_S9_EESD_ST_SE_SF_SG_EUlST_E0_NS1_11comp_targetILNS1_3genE8ELNS1_11target_archE1030ELNS1_3gpuE2ELNS1_3repE0EEENS1_38merge_mergepath_config_static_selectorELNS0_4arch9wavefront6targetE0EEEvSF_.num_named_barrier, 0
	.set _ZN7rocprim17ROCPRIM_400000_NS6detail17trampoline_kernelINS0_14default_configENS1_38merge_sort_block_merge_config_selectorItNS0_10empty_typeEEEZZNS1_27merge_sort_block_merge_implIS3_PtPS5_jNS1_19radix_merge_compareILb1ELb0EtNS0_19identity_decomposerEEEEE10hipError_tT0_T1_T2_jT3_P12ihipStream_tbPNSt15iterator_traitsISE_E10value_typeEPNSK_ISF_E10value_typeEPSG_NS1_7vsmem_tEENKUlT_SE_SF_SG_E_clIS8_S8_S9_S9_EESD_ST_SE_SF_SG_EUlST_E0_NS1_11comp_targetILNS1_3genE8ELNS1_11target_archE1030ELNS1_3gpuE2ELNS1_3repE0EEENS1_38merge_mergepath_config_static_selectorELNS0_4arch9wavefront6targetE0EEEvSF_.private_seg_size, 0
	.set _ZN7rocprim17ROCPRIM_400000_NS6detail17trampoline_kernelINS0_14default_configENS1_38merge_sort_block_merge_config_selectorItNS0_10empty_typeEEEZZNS1_27merge_sort_block_merge_implIS3_PtPS5_jNS1_19radix_merge_compareILb1ELb0EtNS0_19identity_decomposerEEEEE10hipError_tT0_T1_T2_jT3_P12ihipStream_tbPNSt15iterator_traitsISE_E10value_typeEPNSK_ISF_E10value_typeEPSG_NS1_7vsmem_tEENKUlT_SE_SF_SG_E_clIS8_S8_S9_S9_EESD_ST_SE_SF_SG_EUlST_E0_NS1_11comp_targetILNS1_3genE8ELNS1_11target_archE1030ELNS1_3gpuE2ELNS1_3repE0EEENS1_38merge_mergepath_config_static_selectorELNS0_4arch9wavefront6targetE0EEEvSF_.uses_vcc, 0
	.set _ZN7rocprim17ROCPRIM_400000_NS6detail17trampoline_kernelINS0_14default_configENS1_38merge_sort_block_merge_config_selectorItNS0_10empty_typeEEEZZNS1_27merge_sort_block_merge_implIS3_PtPS5_jNS1_19radix_merge_compareILb1ELb0EtNS0_19identity_decomposerEEEEE10hipError_tT0_T1_T2_jT3_P12ihipStream_tbPNSt15iterator_traitsISE_E10value_typeEPNSK_ISF_E10value_typeEPSG_NS1_7vsmem_tEENKUlT_SE_SF_SG_E_clIS8_S8_S9_S9_EESD_ST_SE_SF_SG_EUlST_E0_NS1_11comp_targetILNS1_3genE8ELNS1_11target_archE1030ELNS1_3gpuE2ELNS1_3repE0EEENS1_38merge_mergepath_config_static_selectorELNS0_4arch9wavefront6targetE0EEEvSF_.uses_flat_scratch, 0
	.set _ZN7rocprim17ROCPRIM_400000_NS6detail17trampoline_kernelINS0_14default_configENS1_38merge_sort_block_merge_config_selectorItNS0_10empty_typeEEEZZNS1_27merge_sort_block_merge_implIS3_PtPS5_jNS1_19radix_merge_compareILb1ELb0EtNS0_19identity_decomposerEEEEE10hipError_tT0_T1_T2_jT3_P12ihipStream_tbPNSt15iterator_traitsISE_E10value_typeEPNSK_ISF_E10value_typeEPSG_NS1_7vsmem_tEENKUlT_SE_SF_SG_E_clIS8_S8_S9_S9_EESD_ST_SE_SF_SG_EUlST_E0_NS1_11comp_targetILNS1_3genE8ELNS1_11target_archE1030ELNS1_3gpuE2ELNS1_3repE0EEENS1_38merge_mergepath_config_static_selectorELNS0_4arch9wavefront6targetE0EEEvSF_.has_dyn_sized_stack, 0
	.set _ZN7rocprim17ROCPRIM_400000_NS6detail17trampoline_kernelINS0_14default_configENS1_38merge_sort_block_merge_config_selectorItNS0_10empty_typeEEEZZNS1_27merge_sort_block_merge_implIS3_PtPS5_jNS1_19radix_merge_compareILb1ELb0EtNS0_19identity_decomposerEEEEE10hipError_tT0_T1_T2_jT3_P12ihipStream_tbPNSt15iterator_traitsISE_E10value_typeEPNSK_ISF_E10value_typeEPSG_NS1_7vsmem_tEENKUlT_SE_SF_SG_E_clIS8_S8_S9_S9_EESD_ST_SE_SF_SG_EUlST_E0_NS1_11comp_targetILNS1_3genE8ELNS1_11target_archE1030ELNS1_3gpuE2ELNS1_3repE0EEENS1_38merge_mergepath_config_static_selectorELNS0_4arch9wavefront6targetE0EEEvSF_.has_recursion, 0
	.set _ZN7rocprim17ROCPRIM_400000_NS6detail17trampoline_kernelINS0_14default_configENS1_38merge_sort_block_merge_config_selectorItNS0_10empty_typeEEEZZNS1_27merge_sort_block_merge_implIS3_PtPS5_jNS1_19radix_merge_compareILb1ELb0EtNS0_19identity_decomposerEEEEE10hipError_tT0_T1_T2_jT3_P12ihipStream_tbPNSt15iterator_traitsISE_E10value_typeEPNSK_ISF_E10value_typeEPSG_NS1_7vsmem_tEENKUlT_SE_SF_SG_E_clIS8_S8_S9_S9_EESD_ST_SE_SF_SG_EUlST_E0_NS1_11comp_targetILNS1_3genE8ELNS1_11target_archE1030ELNS1_3gpuE2ELNS1_3repE0EEENS1_38merge_mergepath_config_static_selectorELNS0_4arch9wavefront6targetE0EEEvSF_.has_indirect_call, 0
	.section	.AMDGPU.csdata,"",@progbits
; Kernel info:
; codeLenInByte = 0
; TotalNumSgprs: 0
; NumVgprs: 0
; ScratchSize: 0
; MemoryBound: 0
; FloatMode: 240
; IeeeMode: 1
; LDSByteSize: 0 bytes/workgroup (compile time only)
; SGPRBlocks: 0
; VGPRBlocks: 0
; NumSGPRsForWavesPerEU: 1
; NumVGPRsForWavesPerEU: 1
; NamedBarCnt: 0
; Occupancy: 16
; WaveLimiterHint : 0
; COMPUTE_PGM_RSRC2:SCRATCH_EN: 0
; COMPUTE_PGM_RSRC2:USER_SGPR: 2
; COMPUTE_PGM_RSRC2:TRAP_HANDLER: 0
; COMPUTE_PGM_RSRC2:TGID_X_EN: 1
; COMPUTE_PGM_RSRC2:TGID_Y_EN: 0
; COMPUTE_PGM_RSRC2:TGID_Z_EN: 0
; COMPUTE_PGM_RSRC2:TIDIG_COMP_CNT: 0
	.section	.text._ZN7rocprim17ROCPRIM_400000_NS6detail17trampoline_kernelINS0_14default_configENS1_38merge_sort_block_merge_config_selectorItNS0_10empty_typeEEEZZNS1_27merge_sort_block_merge_implIS3_PtPS5_jNS1_19radix_merge_compareILb1ELb0EtNS0_19identity_decomposerEEEEE10hipError_tT0_T1_T2_jT3_P12ihipStream_tbPNSt15iterator_traitsISE_E10value_typeEPNSK_ISF_E10value_typeEPSG_NS1_7vsmem_tEENKUlT_SE_SF_SG_E_clIS8_S8_S9_S9_EESD_ST_SE_SF_SG_EUlST_E1_NS1_11comp_targetILNS1_3genE0ELNS1_11target_archE4294967295ELNS1_3gpuE0ELNS1_3repE0EEENS1_36merge_oddeven_config_static_selectorELNS0_4arch9wavefront6targetE0EEEvSF_,"axG",@progbits,_ZN7rocprim17ROCPRIM_400000_NS6detail17trampoline_kernelINS0_14default_configENS1_38merge_sort_block_merge_config_selectorItNS0_10empty_typeEEEZZNS1_27merge_sort_block_merge_implIS3_PtPS5_jNS1_19radix_merge_compareILb1ELb0EtNS0_19identity_decomposerEEEEE10hipError_tT0_T1_T2_jT3_P12ihipStream_tbPNSt15iterator_traitsISE_E10value_typeEPNSK_ISF_E10value_typeEPSG_NS1_7vsmem_tEENKUlT_SE_SF_SG_E_clIS8_S8_S9_S9_EESD_ST_SE_SF_SG_EUlST_E1_NS1_11comp_targetILNS1_3genE0ELNS1_11target_archE4294967295ELNS1_3gpuE0ELNS1_3repE0EEENS1_36merge_oddeven_config_static_selectorELNS0_4arch9wavefront6targetE0EEEvSF_,comdat
	.protected	_ZN7rocprim17ROCPRIM_400000_NS6detail17trampoline_kernelINS0_14default_configENS1_38merge_sort_block_merge_config_selectorItNS0_10empty_typeEEEZZNS1_27merge_sort_block_merge_implIS3_PtPS5_jNS1_19radix_merge_compareILb1ELb0EtNS0_19identity_decomposerEEEEE10hipError_tT0_T1_T2_jT3_P12ihipStream_tbPNSt15iterator_traitsISE_E10value_typeEPNSK_ISF_E10value_typeEPSG_NS1_7vsmem_tEENKUlT_SE_SF_SG_E_clIS8_S8_S9_S9_EESD_ST_SE_SF_SG_EUlST_E1_NS1_11comp_targetILNS1_3genE0ELNS1_11target_archE4294967295ELNS1_3gpuE0ELNS1_3repE0EEENS1_36merge_oddeven_config_static_selectorELNS0_4arch9wavefront6targetE0EEEvSF_ ; -- Begin function _ZN7rocprim17ROCPRIM_400000_NS6detail17trampoline_kernelINS0_14default_configENS1_38merge_sort_block_merge_config_selectorItNS0_10empty_typeEEEZZNS1_27merge_sort_block_merge_implIS3_PtPS5_jNS1_19radix_merge_compareILb1ELb0EtNS0_19identity_decomposerEEEEE10hipError_tT0_T1_T2_jT3_P12ihipStream_tbPNSt15iterator_traitsISE_E10value_typeEPNSK_ISF_E10value_typeEPSG_NS1_7vsmem_tEENKUlT_SE_SF_SG_E_clIS8_S8_S9_S9_EESD_ST_SE_SF_SG_EUlST_E1_NS1_11comp_targetILNS1_3genE0ELNS1_11target_archE4294967295ELNS1_3gpuE0ELNS1_3repE0EEENS1_36merge_oddeven_config_static_selectorELNS0_4arch9wavefront6targetE0EEEvSF_
	.globl	_ZN7rocprim17ROCPRIM_400000_NS6detail17trampoline_kernelINS0_14default_configENS1_38merge_sort_block_merge_config_selectorItNS0_10empty_typeEEEZZNS1_27merge_sort_block_merge_implIS3_PtPS5_jNS1_19radix_merge_compareILb1ELb0EtNS0_19identity_decomposerEEEEE10hipError_tT0_T1_T2_jT3_P12ihipStream_tbPNSt15iterator_traitsISE_E10value_typeEPNSK_ISF_E10value_typeEPSG_NS1_7vsmem_tEENKUlT_SE_SF_SG_E_clIS8_S8_S9_S9_EESD_ST_SE_SF_SG_EUlST_E1_NS1_11comp_targetILNS1_3genE0ELNS1_11target_archE4294967295ELNS1_3gpuE0ELNS1_3repE0EEENS1_36merge_oddeven_config_static_selectorELNS0_4arch9wavefront6targetE0EEEvSF_
	.p2align	8
	.type	_ZN7rocprim17ROCPRIM_400000_NS6detail17trampoline_kernelINS0_14default_configENS1_38merge_sort_block_merge_config_selectorItNS0_10empty_typeEEEZZNS1_27merge_sort_block_merge_implIS3_PtPS5_jNS1_19radix_merge_compareILb1ELb0EtNS0_19identity_decomposerEEEEE10hipError_tT0_T1_T2_jT3_P12ihipStream_tbPNSt15iterator_traitsISE_E10value_typeEPNSK_ISF_E10value_typeEPSG_NS1_7vsmem_tEENKUlT_SE_SF_SG_E_clIS8_S8_S9_S9_EESD_ST_SE_SF_SG_EUlST_E1_NS1_11comp_targetILNS1_3genE0ELNS1_11target_archE4294967295ELNS1_3gpuE0ELNS1_3repE0EEENS1_36merge_oddeven_config_static_selectorELNS0_4arch9wavefront6targetE0EEEvSF_,@function
_ZN7rocprim17ROCPRIM_400000_NS6detail17trampoline_kernelINS0_14default_configENS1_38merge_sort_block_merge_config_selectorItNS0_10empty_typeEEEZZNS1_27merge_sort_block_merge_implIS3_PtPS5_jNS1_19radix_merge_compareILb1ELb0EtNS0_19identity_decomposerEEEEE10hipError_tT0_T1_T2_jT3_P12ihipStream_tbPNSt15iterator_traitsISE_E10value_typeEPNSK_ISF_E10value_typeEPSG_NS1_7vsmem_tEENKUlT_SE_SF_SG_E_clIS8_S8_S9_S9_EESD_ST_SE_SF_SG_EUlST_E1_NS1_11comp_targetILNS1_3genE0ELNS1_11target_archE4294967295ELNS1_3gpuE0ELNS1_3repE0EEENS1_36merge_oddeven_config_static_selectorELNS0_4arch9wavefront6targetE0EEEvSF_: ; @_ZN7rocprim17ROCPRIM_400000_NS6detail17trampoline_kernelINS0_14default_configENS1_38merge_sort_block_merge_config_selectorItNS0_10empty_typeEEEZZNS1_27merge_sort_block_merge_implIS3_PtPS5_jNS1_19radix_merge_compareILb1ELb0EtNS0_19identity_decomposerEEEEE10hipError_tT0_T1_T2_jT3_P12ihipStream_tbPNSt15iterator_traitsISE_E10value_typeEPNSK_ISF_E10value_typeEPSG_NS1_7vsmem_tEENKUlT_SE_SF_SG_E_clIS8_S8_S9_S9_EESD_ST_SE_SF_SG_EUlST_E1_NS1_11comp_targetILNS1_3genE0ELNS1_11target_archE4294967295ELNS1_3gpuE0ELNS1_3repE0EEENS1_36merge_oddeven_config_static_selectorELNS0_4arch9wavefront6targetE0EEEvSF_
; %bb.0:
	s_load_b32 s10, s[0:1], 0x20
	s_bfe_u32 s2, ttmp6, 0x4000c
	s_and_b32 s3, ttmp6, 15
	s_add_co_i32 s2, s2, 1
	s_getreg_b32 s4, hwreg(HW_REG_IB_STS2, 6, 4)
	s_mul_i32 s2, ttmp9, s2
	s_mov_b32 s9, 0
	s_add_co_i32 s3, s3, s2
	s_cmp_eq_u32 s4, 0
	s_cselect_b32 s13, ttmp9, s3
	s_wait_kmcnt 0x0
	s_lshr_b32 s2, s10, 8
	s_delay_alu instid0(SALU_CYCLE_1) | instskip(SKIP_4) | instid1(SALU_CYCLE_1)
	s_cmp_lg_u32 s13, s2
	s_cselect_b32 s3, -1, 0
	s_cmp_eq_u32 s13, s2
	s_cselect_b32 s11, -1, 0
	s_lshl_b32 s8, s13, 8
	s_sub_co_i32 s2, s10, s8
	s_delay_alu instid0(SALU_CYCLE_1) | instskip(SKIP_1) | instid1(SALU_CYCLE_1)
	v_cmp_gt_u32_e64 s2, s2, v0
	s_or_b32 s4, s3, s2
	s_and_saveexec_b32 s5, s4
	s_cbranch_execz .LBB2320_20
; %bb.1:
	s_clause 0x1
	s_load_b128 s[4:7], s[0:1], 0x0
	s_load_b32 s12, s[0:1], 0x24
	s_lshl_b64 s[14:15], s[8:9], 1
	v_add_nc_u32_e32 v2, s8, v0
	s_wait_kmcnt 0x0
	s_add_nc_u64 s[0:1], s[4:5], s[14:15]
	global_load_u16 v1, v0, s[0:1] scale_offset
	s_wait_xcnt 0x0
	s_lshr_b32 s0, s12, 8
	s_delay_alu instid0(SALU_CYCLE_1) | instskip(NEXT) | instid1(SALU_CYCLE_1)
	s_sub_co_i32 s1, 0, s0
	s_and_b32 s1, s13, s1
	s_delay_alu instid0(SALU_CYCLE_1) | instskip(SKIP_4) | instid1(SALU_CYCLE_1)
	s_and_b32 s0, s1, s0
	s_lshl_b32 s13, s1, 8
	s_sub_co_i32 s1, 0, s12
	s_cmp_eq_u32 s0, 0
	s_cselect_b32 s0, -1, 0
	s_and_b32 s14, s0, exec_lo
	s_cselect_b32 s1, s12, s1
	s_delay_alu instid0(SALU_CYCLE_1) | instskip(NEXT) | instid1(SALU_CYCLE_1)
	s_add_co_i32 s1, s1, s13
	s_cmp_gt_u32 s10, s1
	s_cbranch_scc1 .LBB2320_3
; %bb.2:
	v_cmp_gt_u32_e32 vcc_lo, s10, v2
	s_or_b32 s8, vcc_lo, s3
	s_delay_alu instid0(SALU_CYCLE_1)
	s_and_b32 s9, s8, exec_lo
	s_cbranch_execz .LBB2320_4
	s_branch .LBB2320_18
.LBB2320_3:
.LBB2320_4:
	s_min_u32 s3, s1, s10
	s_and_b32 vcc_lo, exec_lo, s11
	s_add_co_i32 s8, s13, s3
	s_add_co_i32 s12, s3, s12
	v_subrev_nc_u32_e32 v0, s8, v2
	s_min_u32 s8, s13, s3
	s_delay_alu instid0(VALU_DEP_1) | instid1(SALU_CYCLE_1)
	v_add_nc_u32_e32 v0, s8, v0
	s_min_u32 s8, s12, s10
	s_cbranch_vccz .LBB2320_12
; %bb.5:
                                        ; implicit-def: $vgpr2
	s_and_saveexec_b32 s10, s2
	s_cbranch_execz .LBB2320_11
; %bb.6:
	v_mov_b32_e32 v2, s3
	s_cmp_ge_u32 s1, s8
	s_cbranch_scc1 .LBB2320_10
; %bb.7:
	v_dual_mov_b32 v3, s8 :: v_dual_mov_b32 v2, s3
	s_mov_b32 s2, 0
.LBB2320_8:                             ; =>This Inner Loop Header: Depth=1
	s_delay_alu instid0(VALU_DEP_1) | instskip(NEXT) | instid1(VALU_DEP_1)
	v_add_nc_u32_e32 v4, v2, v3
	v_and_b32_e32 v5, -2, v4
	global_load_u16 v5, v5, s[4:5]
	s_wait_loadcnt 0x0
	v_cmp_gt_u16_e32 vcc_lo, v5, v1
	v_cndmask_b32_e64 v6, 0, 1, vcc_lo
	v_cmp_le_u16_e32 vcc_lo, v1, v5
	v_cndmask_b32_e64 v5, 0, 1, vcc_lo
	s_delay_alu instid0(VALU_DEP_1) | instskip(NEXT) | instid1(VALU_DEP_1)
	v_dual_cndmask_b32 v5, v5, v6, s0 :: v_dual_lshrrev_b32 v4, 1, v4
	v_dual_add_nc_u32 v6, 1, v4 :: v_dual_bitop2_b32 v5, 1, v5 bitop3:0x40
	s_delay_alu instid0(VALU_DEP_1) | instskip(NEXT) | instid1(VALU_DEP_2)
	v_cmp_eq_u32_e32 vcc_lo, 1, v5
	v_dual_cndmask_b32 v3, v4, v3 :: v_dual_cndmask_b32 v2, v2, v6
	s_delay_alu instid0(VALU_DEP_1) | instskip(SKIP_1) | instid1(SALU_CYCLE_1)
	v_cmp_ge_u32_e32 vcc_lo, v2, v3
	s_or_b32 s2, vcc_lo, s2
	s_and_not1_b32 exec_lo, exec_lo, s2
	s_cbranch_execnz .LBB2320_8
; %bb.9:
	s_or_b32 exec_lo, exec_lo, s2
.LBB2320_10:
	s_delay_alu instid0(VALU_DEP_1)
	v_add_nc_u32_e32 v2, v2, v0
	s_or_b32 s9, s9, exec_lo
.LBB2320_11:
	s_or_b32 exec_lo, exec_lo, s10
	s_branch .LBB2320_18
.LBB2320_12:
                                        ; implicit-def: $vgpr2
	s_cbranch_execz .LBB2320_18
; %bb.13:
	v_mov_b32_e32 v2, s3
	s_cmp_ge_u32 s1, s8
	s_cbranch_scc1 .LBB2320_17
; %bb.14:
	v_dual_mov_b32 v3, s8 :: v_dual_mov_b32 v2, s3
	s_mov_b32 s1, 0
.LBB2320_15:                            ; =>This Inner Loop Header: Depth=1
	s_delay_alu instid0(VALU_DEP_1) | instskip(NEXT) | instid1(VALU_DEP_1)
	v_add_nc_u32_e32 v4, v2, v3
	v_and_b32_e32 v5, -2, v4
	global_load_u16 v5, v5, s[4:5]
	s_wait_loadcnt 0x0
	v_cmp_gt_u16_e32 vcc_lo, v5, v1
	v_cndmask_b32_e64 v6, 0, 1, vcc_lo
	v_cmp_le_u16_e32 vcc_lo, v1, v5
	v_cndmask_b32_e64 v5, 0, 1, vcc_lo
	s_delay_alu instid0(VALU_DEP_1) | instskip(NEXT) | instid1(VALU_DEP_1)
	v_dual_cndmask_b32 v5, v5, v6, s0 :: v_dual_lshrrev_b32 v4, 1, v4
	v_dual_add_nc_u32 v6, 1, v4 :: v_dual_bitop2_b32 v5, 1, v5 bitop3:0x40
	s_delay_alu instid0(VALU_DEP_1) | instskip(NEXT) | instid1(VALU_DEP_2)
	v_cmp_eq_u32_e32 vcc_lo, 1, v5
	v_dual_cndmask_b32 v3, v4, v3 :: v_dual_cndmask_b32 v2, v2, v6
	s_delay_alu instid0(VALU_DEP_1) | instskip(SKIP_1) | instid1(SALU_CYCLE_1)
	v_cmp_ge_u32_e32 vcc_lo, v2, v3
	s_or_b32 s1, vcc_lo, s1
	s_and_not1_b32 exec_lo, exec_lo, s1
	s_cbranch_execnz .LBB2320_15
; %bb.16:
	s_or_b32 exec_lo, exec_lo, s1
.LBB2320_17:
	s_delay_alu instid0(VALU_DEP_1)
	v_add_nc_u32_e32 v2, v2, v0
	s_mov_b32 s9, -1
.LBB2320_18:
	s_delay_alu instid0(SALU_CYCLE_1)
	s_and_b32 exec_lo, exec_lo, s9
	s_cbranch_execz .LBB2320_20
; %bb.19:
	s_wait_loadcnt 0x0
	global_store_b16 v2, v1, s[6:7] scale_offset
.LBB2320_20:
	s_endpgm
	.section	.rodata,"a",@progbits
	.p2align	6, 0x0
	.amdhsa_kernel _ZN7rocprim17ROCPRIM_400000_NS6detail17trampoline_kernelINS0_14default_configENS1_38merge_sort_block_merge_config_selectorItNS0_10empty_typeEEEZZNS1_27merge_sort_block_merge_implIS3_PtPS5_jNS1_19radix_merge_compareILb1ELb0EtNS0_19identity_decomposerEEEEE10hipError_tT0_T1_T2_jT3_P12ihipStream_tbPNSt15iterator_traitsISE_E10value_typeEPNSK_ISF_E10value_typeEPSG_NS1_7vsmem_tEENKUlT_SE_SF_SG_E_clIS8_S8_S9_S9_EESD_ST_SE_SF_SG_EUlST_E1_NS1_11comp_targetILNS1_3genE0ELNS1_11target_archE4294967295ELNS1_3gpuE0ELNS1_3repE0EEENS1_36merge_oddeven_config_static_selectorELNS0_4arch9wavefront6targetE0EEEvSF_
		.amdhsa_group_segment_fixed_size 0
		.amdhsa_private_segment_fixed_size 0
		.amdhsa_kernarg_size 48
		.amdhsa_user_sgpr_count 2
		.amdhsa_user_sgpr_dispatch_ptr 0
		.amdhsa_user_sgpr_queue_ptr 0
		.amdhsa_user_sgpr_kernarg_segment_ptr 1
		.amdhsa_user_sgpr_dispatch_id 0
		.amdhsa_user_sgpr_kernarg_preload_length 0
		.amdhsa_user_sgpr_kernarg_preload_offset 0
		.amdhsa_user_sgpr_private_segment_size 0
		.amdhsa_wavefront_size32 1
		.amdhsa_uses_dynamic_stack 0
		.amdhsa_enable_private_segment 0
		.amdhsa_system_sgpr_workgroup_id_x 1
		.amdhsa_system_sgpr_workgroup_id_y 0
		.amdhsa_system_sgpr_workgroup_id_z 0
		.amdhsa_system_sgpr_workgroup_info 0
		.amdhsa_system_vgpr_workitem_id 0
		.amdhsa_next_free_vgpr 7
		.amdhsa_next_free_sgpr 16
		.amdhsa_named_barrier_count 0
		.amdhsa_reserve_vcc 1
		.amdhsa_float_round_mode_32 0
		.amdhsa_float_round_mode_16_64 0
		.amdhsa_float_denorm_mode_32 3
		.amdhsa_float_denorm_mode_16_64 3
		.amdhsa_fp16_overflow 0
		.amdhsa_memory_ordered 1
		.amdhsa_forward_progress 1
		.amdhsa_inst_pref_size 6
		.amdhsa_round_robin_scheduling 0
		.amdhsa_exception_fp_ieee_invalid_op 0
		.amdhsa_exception_fp_denorm_src 0
		.amdhsa_exception_fp_ieee_div_zero 0
		.amdhsa_exception_fp_ieee_overflow 0
		.amdhsa_exception_fp_ieee_underflow 0
		.amdhsa_exception_fp_ieee_inexact 0
		.amdhsa_exception_int_div_zero 0
	.end_amdhsa_kernel
	.section	.text._ZN7rocprim17ROCPRIM_400000_NS6detail17trampoline_kernelINS0_14default_configENS1_38merge_sort_block_merge_config_selectorItNS0_10empty_typeEEEZZNS1_27merge_sort_block_merge_implIS3_PtPS5_jNS1_19radix_merge_compareILb1ELb0EtNS0_19identity_decomposerEEEEE10hipError_tT0_T1_T2_jT3_P12ihipStream_tbPNSt15iterator_traitsISE_E10value_typeEPNSK_ISF_E10value_typeEPSG_NS1_7vsmem_tEENKUlT_SE_SF_SG_E_clIS8_S8_S9_S9_EESD_ST_SE_SF_SG_EUlST_E1_NS1_11comp_targetILNS1_3genE0ELNS1_11target_archE4294967295ELNS1_3gpuE0ELNS1_3repE0EEENS1_36merge_oddeven_config_static_selectorELNS0_4arch9wavefront6targetE0EEEvSF_,"axG",@progbits,_ZN7rocprim17ROCPRIM_400000_NS6detail17trampoline_kernelINS0_14default_configENS1_38merge_sort_block_merge_config_selectorItNS0_10empty_typeEEEZZNS1_27merge_sort_block_merge_implIS3_PtPS5_jNS1_19radix_merge_compareILb1ELb0EtNS0_19identity_decomposerEEEEE10hipError_tT0_T1_T2_jT3_P12ihipStream_tbPNSt15iterator_traitsISE_E10value_typeEPNSK_ISF_E10value_typeEPSG_NS1_7vsmem_tEENKUlT_SE_SF_SG_E_clIS8_S8_S9_S9_EESD_ST_SE_SF_SG_EUlST_E1_NS1_11comp_targetILNS1_3genE0ELNS1_11target_archE4294967295ELNS1_3gpuE0ELNS1_3repE0EEENS1_36merge_oddeven_config_static_selectorELNS0_4arch9wavefront6targetE0EEEvSF_,comdat
.Lfunc_end2320:
	.size	_ZN7rocprim17ROCPRIM_400000_NS6detail17trampoline_kernelINS0_14default_configENS1_38merge_sort_block_merge_config_selectorItNS0_10empty_typeEEEZZNS1_27merge_sort_block_merge_implIS3_PtPS5_jNS1_19radix_merge_compareILb1ELb0EtNS0_19identity_decomposerEEEEE10hipError_tT0_T1_T2_jT3_P12ihipStream_tbPNSt15iterator_traitsISE_E10value_typeEPNSK_ISF_E10value_typeEPSG_NS1_7vsmem_tEENKUlT_SE_SF_SG_E_clIS8_S8_S9_S9_EESD_ST_SE_SF_SG_EUlST_E1_NS1_11comp_targetILNS1_3genE0ELNS1_11target_archE4294967295ELNS1_3gpuE0ELNS1_3repE0EEENS1_36merge_oddeven_config_static_selectorELNS0_4arch9wavefront6targetE0EEEvSF_, .Lfunc_end2320-_ZN7rocprim17ROCPRIM_400000_NS6detail17trampoline_kernelINS0_14default_configENS1_38merge_sort_block_merge_config_selectorItNS0_10empty_typeEEEZZNS1_27merge_sort_block_merge_implIS3_PtPS5_jNS1_19radix_merge_compareILb1ELb0EtNS0_19identity_decomposerEEEEE10hipError_tT0_T1_T2_jT3_P12ihipStream_tbPNSt15iterator_traitsISE_E10value_typeEPNSK_ISF_E10value_typeEPSG_NS1_7vsmem_tEENKUlT_SE_SF_SG_E_clIS8_S8_S9_S9_EESD_ST_SE_SF_SG_EUlST_E1_NS1_11comp_targetILNS1_3genE0ELNS1_11target_archE4294967295ELNS1_3gpuE0ELNS1_3repE0EEENS1_36merge_oddeven_config_static_selectorELNS0_4arch9wavefront6targetE0EEEvSF_
                                        ; -- End function
	.set _ZN7rocprim17ROCPRIM_400000_NS6detail17trampoline_kernelINS0_14default_configENS1_38merge_sort_block_merge_config_selectorItNS0_10empty_typeEEEZZNS1_27merge_sort_block_merge_implIS3_PtPS5_jNS1_19radix_merge_compareILb1ELb0EtNS0_19identity_decomposerEEEEE10hipError_tT0_T1_T2_jT3_P12ihipStream_tbPNSt15iterator_traitsISE_E10value_typeEPNSK_ISF_E10value_typeEPSG_NS1_7vsmem_tEENKUlT_SE_SF_SG_E_clIS8_S8_S9_S9_EESD_ST_SE_SF_SG_EUlST_E1_NS1_11comp_targetILNS1_3genE0ELNS1_11target_archE4294967295ELNS1_3gpuE0ELNS1_3repE0EEENS1_36merge_oddeven_config_static_selectorELNS0_4arch9wavefront6targetE0EEEvSF_.num_vgpr, 7
	.set _ZN7rocprim17ROCPRIM_400000_NS6detail17trampoline_kernelINS0_14default_configENS1_38merge_sort_block_merge_config_selectorItNS0_10empty_typeEEEZZNS1_27merge_sort_block_merge_implIS3_PtPS5_jNS1_19radix_merge_compareILb1ELb0EtNS0_19identity_decomposerEEEEE10hipError_tT0_T1_T2_jT3_P12ihipStream_tbPNSt15iterator_traitsISE_E10value_typeEPNSK_ISF_E10value_typeEPSG_NS1_7vsmem_tEENKUlT_SE_SF_SG_E_clIS8_S8_S9_S9_EESD_ST_SE_SF_SG_EUlST_E1_NS1_11comp_targetILNS1_3genE0ELNS1_11target_archE4294967295ELNS1_3gpuE0ELNS1_3repE0EEENS1_36merge_oddeven_config_static_selectorELNS0_4arch9wavefront6targetE0EEEvSF_.num_agpr, 0
	.set _ZN7rocprim17ROCPRIM_400000_NS6detail17trampoline_kernelINS0_14default_configENS1_38merge_sort_block_merge_config_selectorItNS0_10empty_typeEEEZZNS1_27merge_sort_block_merge_implIS3_PtPS5_jNS1_19radix_merge_compareILb1ELb0EtNS0_19identity_decomposerEEEEE10hipError_tT0_T1_T2_jT3_P12ihipStream_tbPNSt15iterator_traitsISE_E10value_typeEPNSK_ISF_E10value_typeEPSG_NS1_7vsmem_tEENKUlT_SE_SF_SG_E_clIS8_S8_S9_S9_EESD_ST_SE_SF_SG_EUlST_E1_NS1_11comp_targetILNS1_3genE0ELNS1_11target_archE4294967295ELNS1_3gpuE0ELNS1_3repE0EEENS1_36merge_oddeven_config_static_selectorELNS0_4arch9wavefront6targetE0EEEvSF_.numbered_sgpr, 16
	.set _ZN7rocprim17ROCPRIM_400000_NS6detail17trampoline_kernelINS0_14default_configENS1_38merge_sort_block_merge_config_selectorItNS0_10empty_typeEEEZZNS1_27merge_sort_block_merge_implIS3_PtPS5_jNS1_19radix_merge_compareILb1ELb0EtNS0_19identity_decomposerEEEEE10hipError_tT0_T1_T2_jT3_P12ihipStream_tbPNSt15iterator_traitsISE_E10value_typeEPNSK_ISF_E10value_typeEPSG_NS1_7vsmem_tEENKUlT_SE_SF_SG_E_clIS8_S8_S9_S9_EESD_ST_SE_SF_SG_EUlST_E1_NS1_11comp_targetILNS1_3genE0ELNS1_11target_archE4294967295ELNS1_3gpuE0ELNS1_3repE0EEENS1_36merge_oddeven_config_static_selectorELNS0_4arch9wavefront6targetE0EEEvSF_.num_named_barrier, 0
	.set _ZN7rocprim17ROCPRIM_400000_NS6detail17trampoline_kernelINS0_14default_configENS1_38merge_sort_block_merge_config_selectorItNS0_10empty_typeEEEZZNS1_27merge_sort_block_merge_implIS3_PtPS5_jNS1_19radix_merge_compareILb1ELb0EtNS0_19identity_decomposerEEEEE10hipError_tT0_T1_T2_jT3_P12ihipStream_tbPNSt15iterator_traitsISE_E10value_typeEPNSK_ISF_E10value_typeEPSG_NS1_7vsmem_tEENKUlT_SE_SF_SG_E_clIS8_S8_S9_S9_EESD_ST_SE_SF_SG_EUlST_E1_NS1_11comp_targetILNS1_3genE0ELNS1_11target_archE4294967295ELNS1_3gpuE0ELNS1_3repE0EEENS1_36merge_oddeven_config_static_selectorELNS0_4arch9wavefront6targetE0EEEvSF_.private_seg_size, 0
	.set _ZN7rocprim17ROCPRIM_400000_NS6detail17trampoline_kernelINS0_14default_configENS1_38merge_sort_block_merge_config_selectorItNS0_10empty_typeEEEZZNS1_27merge_sort_block_merge_implIS3_PtPS5_jNS1_19radix_merge_compareILb1ELb0EtNS0_19identity_decomposerEEEEE10hipError_tT0_T1_T2_jT3_P12ihipStream_tbPNSt15iterator_traitsISE_E10value_typeEPNSK_ISF_E10value_typeEPSG_NS1_7vsmem_tEENKUlT_SE_SF_SG_E_clIS8_S8_S9_S9_EESD_ST_SE_SF_SG_EUlST_E1_NS1_11comp_targetILNS1_3genE0ELNS1_11target_archE4294967295ELNS1_3gpuE0ELNS1_3repE0EEENS1_36merge_oddeven_config_static_selectorELNS0_4arch9wavefront6targetE0EEEvSF_.uses_vcc, 1
	.set _ZN7rocprim17ROCPRIM_400000_NS6detail17trampoline_kernelINS0_14default_configENS1_38merge_sort_block_merge_config_selectorItNS0_10empty_typeEEEZZNS1_27merge_sort_block_merge_implIS3_PtPS5_jNS1_19radix_merge_compareILb1ELb0EtNS0_19identity_decomposerEEEEE10hipError_tT0_T1_T2_jT3_P12ihipStream_tbPNSt15iterator_traitsISE_E10value_typeEPNSK_ISF_E10value_typeEPSG_NS1_7vsmem_tEENKUlT_SE_SF_SG_E_clIS8_S8_S9_S9_EESD_ST_SE_SF_SG_EUlST_E1_NS1_11comp_targetILNS1_3genE0ELNS1_11target_archE4294967295ELNS1_3gpuE0ELNS1_3repE0EEENS1_36merge_oddeven_config_static_selectorELNS0_4arch9wavefront6targetE0EEEvSF_.uses_flat_scratch, 0
	.set _ZN7rocprim17ROCPRIM_400000_NS6detail17trampoline_kernelINS0_14default_configENS1_38merge_sort_block_merge_config_selectorItNS0_10empty_typeEEEZZNS1_27merge_sort_block_merge_implIS3_PtPS5_jNS1_19radix_merge_compareILb1ELb0EtNS0_19identity_decomposerEEEEE10hipError_tT0_T1_T2_jT3_P12ihipStream_tbPNSt15iterator_traitsISE_E10value_typeEPNSK_ISF_E10value_typeEPSG_NS1_7vsmem_tEENKUlT_SE_SF_SG_E_clIS8_S8_S9_S9_EESD_ST_SE_SF_SG_EUlST_E1_NS1_11comp_targetILNS1_3genE0ELNS1_11target_archE4294967295ELNS1_3gpuE0ELNS1_3repE0EEENS1_36merge_oddeven_config_static_selectorELNS0_4arch9wavefront6targetE0EEEvSF_.has_dyn_sized_stack, 0
	.set _ZN7rocprim17ROCPRIM_400000_NS6detail17trampoline_kernelINS0_14default_configENS1_38merge_sort_block_merge_config_selectorItNS0_10empty_typeEEEZZNS1_27merge_sort_block_merge_implIS3_PtPS5_jNS1_19radix_merge_compareILb1ELb0EtNS0_19identity_decomposerEEEEE10hipError_tT0_T1_T2_jT3_P12ihipStream_tbPNSt15iterator_traitsISE_E10value_typeEPNSK_ISF_E10value_typeEPSG_NS1_7vsmem_tEENKUlT_SE_SF_SG_E_clIS8_S8_S9_S9_EESD_ST_SE_SF_SG_EUlST_E1_NS1_11comp_targetILNS1_3genE0ELNS1_11target_archE4294967295ELNS1_3gpuE0ELNS1_3repE0EEENS1_36merge_oddeven_config_static_selectorELNS0_4arch9wavefront6targetE0EEEvSF_.has_recursion, 0
	.set _ZN7rocprim17ROCPRIM_400000_NS6detail17trampoline_kernelINS0_14default_configENS1_38merge_sort_block_merge_config_selectorItNS0_10empty_typeEEEZZNS1_27merge_sort_block_merge_implIS3_PtPS5_jNS1_19radix_merge_compareILb1ELb0EtNS0_19identity_decomposerEEEEE10hipError_tT0_T1_T2_jT3_P12ihipStream_tbPNSt15iterator_traitsISE_E10value_typeEPNSK_ISF_E10value_typeEPSG_NS1_7vsmem_tEENKUlT_SE_SF_SG_E_clIS8_S8_S9_S9_EESD_ST_SE_SF_SG_EUlST_E1_NS1_11comp_targetILNS1_3genE0ELNS1_11target_archE4294967295ELNS1_3gpuE0ELNS1_3repE0EEENS1_36merge_oddeven_config_static_selectorELNS0_4arch9wavefront6targetE0EEEvSF_.has_indirect_call, 0
	.section	.AMDGPU.csdata,"",@progbits
; Kernel info:
; codeLenInByte = 652
; TotalNumSgprs: 18
; NumVgprs: 7
; ScratchSize: 0
; MemoryBound: 0
; FloatMode: 240
; IeeeMode: 1
; LDSByteSize: 0 bytes/workgroup (compile time only)
; SGPRBlocks: 0
; VGPRBlocks: 0
; NumSGPRsForWavesPerEU: 18
; NumVGPRsForWavesPerEU: 7
; NamedBarCnt: 0
; Occupancy: 16
; WaveLimiterHint : 0
; COMPUTE_PGM_RSRC2:SCRATCH_EN: 0
; COMPUTE_PGM_RSRC2:USER_SGPR: 2
; COMPUTE_PGM_RSRC2:TRAP_HANDLER: 0
; COMPUTE_PGM_RSRC2:TGID_X_EN: 1
; COMPUTE_PGM_RSRC2:TGID_Y_EN: 0
; COMPUTE_PGM_RSRC2:TGID_Z_EN: 0
; COMPUTE_PGM_RSRC2:TIDIG_COMP_CNT: 0
	.section	.text._ZN7rocprim17ROCPRIM_400000_NS6detail17trampoline_kernelINS0_14default_configENS1_38merge_sort_block_merge_config_selectorItNS0_10empty_typeEEEZZNS1_27merge_sort_block_merge_implIS3_PtPS5_jNS1_19radix_merge_compareILb1ELb0EtNS0_19identity_decomposerEEEEE10hipError_tT0_T1_T2_jT3_P12ihipStream_tbPNSt15iterator_traitsISE_E10value_typeEPNSK_ISF_E10value_typeEPSG_NS1_7vsmem_tEENKUlT_SE_SF_SG_E_clIS8_S8_S9_S9_EESD_ST_SE_SF_SG_EUlST_E1_NS1_11comp_targetILNS1_3genE10ELNS1_11target_archE1201ELNS1_3gpuE5ELNS1_3repE0EEENS1_36merge_oddeven_config_static_selectorELNS0_4arch9wavefront6targetE0EEEvSF_,"axG",@progbits,_ZN7rocprim17ROCPRIM_400000_NS6detail17trampoline_kernelINS0_14default_configENS1_38merge_sort_block_merge_config_selectorItNS0_10empty_typeEEEZZNS1_27merge_sort_block_merge_implIS3_PtPS5_jNS1_19radix_merge_compareILb1ELb0EtNS0_19identity_decomposerEEEEE10hipError_tT0_T1_T2_jT3_P12ihipStream_tbPNSt15iterator_traitsISE_E10value_typeEPNSK_ISF_E10value_typeEPSG_NS1_7vsmem_tEENKUlT_SE_SF_SG_E_clIS8_S8_S9_S9_EESD_ST_SE_SF_SG_EUlST_E1_NS1_11comp_targetILNS1_3genE10ELNS1_11target_archE1201ELNS1_3gpuE5ELNS1_3repE0EEENS1_36merge_oddeven_config_static_selectorELNS0_4arch9wavefront6targetE0EEEvSF_,comdat
	.protected	_ZN7rocprim17ROCPRIM_400000_NS6detail17trampoline_kernelINS0_14default_configENS1_38merge_sort_block_merge_config_selectorItNS0_10empty_typeEEEZZNS1_27merge_sort_block_merge_implIS3_PtPS5_jNS1_19radix_merge_compareILb1ELb0EtNS0_19identity_decomposerEEEEE10hipError_tT0_T1_T2_jT3_P12ihipStream_tbPNSt15iterator_traitsISE_E10value_typeEPNSK_ISF_E10value_typeEPSG_NS1_7vsmem_tEENKUlT_SE_SF_SG_E_clIS8_S8_S9_S9_EESD_ST_SE_SF_SG_EUlST_E1_NS1_11comp_targetILNS1_3genE10ELNS1_11target_archE1201ELNS1_3gpuE5ELNS1_3repE0EEENS1_36merge_oddeven_config_static_selectorELNS0_4arch9wavefront6targetE0EEEvSF_ ; -- Begin function _ZN7rocprim17ROCPRIM_400000_NS6detail17trampoline_kernelINS0_14default_configENS1_38merge_sort_block_merge_config_selectorItNS0_10empty_typeEEEZZNS1_27merge_sort_block_merge_implIS3_PtPS5_jNS1_19radix_merge_compareILb1ELb0EtNS0_19identity_decomposerEEEEE10hipError_tT0_T1_T2_jT3_P12ihipStream_tbPNSt15iterator_traitsISE_E10value_typeEPNSK_ISF_E10value_typeEPSG_NS1_7vsmem_tEENKUlT_SE_SF_SG_E_clIS8_S8_S9_S9_EESD_ST_SE_SF_SG_EUlST_E1_NS1_11comp_targetILNS1_3genE10ELNS1_11target_archE1201ELNS1_3gpuE5ELNS1_3repE0EEENS1_36merge_oddeven_config_static_selectorELNS0_4arch9wavefront6targetE0EEEvSF_
	.globl	_ZN7rocprim17ROCPRIM_400000_NS6detail17trampoline_kernelINS0_14default_configENS1_38merge_sort_block_merge_config_selectorItNS0_10empty_typeEEEZZNS1_27merge_sort_block_merge_implIS3_PtPS5_jNS1_19radix_merge_compareILb1ELb0EtNS0_19identity_decomposerEEEEE10hipError_tT0_T1_T2_jT3_P12ihipStream_tbPNSt15iterator_traitsISE_E10value_typeEPNSK_ISF_E10value_typeEPSG_NS1_7vsmem_tEENKUlT_SE_SF_SG_E_clIS8_S8_S9_S9_EESD_ST_SE_SF_SG_EUlST_E1_NS1_11comp_targetILNS1_3genE10ELNS1_11target_archE1201ELNS1_3gpuE5ELNS1_3repE0EEENS1_36merge_oddeven_config_static_selectorELNS0_4arch9wavefront6targetE0EEEvSF_
	.p2align	8
	.type	_ZN7rocprim17ROCPRIM_400000_NS6detail17trampoline_kernelINS0_14default_configENS1_38merge_sort_block_merge_config_selectorItNS0_10empty_typeEEEZZNS1_27merge_sort_block_merge_implIS3_PtPS5_jNS1_19radix_merge_compareILb1ELb0EtNS0_19identity_decomposerEEEEE10hipError_tT0_T1_T2_jT3_P12ihipStream_tbPNSt15iterator_traitsISE_E10value_typeEPNSK_ISF_E10value_typeEPSG_NS1_7vsmem_tEENKUlT_SE_SF_SG_E_clIS8_S8_S9_S9_EESD_ST_SE_SF_SG_EUlST_E1_NS1_11comp_targetILNS1_3genE10ELNS1_11target_archE1201ELNS1_3gpuE5ELNS1_3repE0EEENS1_36merge_oddeven_config_static_selectorELNS0_4arch9wavefront6targetE0EEEvSF_,@function
_ZN7rocprim17ROCPRIM_400000_NS6detail17trampoline_kernelINS0_14default_configENS1_38merge_sort_block_merge_config_selectorItNS0_10empty_typeEEEZZNS1_27merge_sort_block_merge_implIS3_PtPS5_jNS1_19radix_merge_compareILb1ELb0EtNS0_19identity_decomposerEEEEE10hipError_tT0_T1_T2_jT3_P12ihipStream_tbPNSt15iterator_traitsISE_E10value_typeEPNSK_ISF_E10value_typeEPSG_NS1_7vsmem_tEENKUlT_SE_SF_SG_E_clIS8_S8_S9_S9_EESD_ST_SE_SF_SG_EUlST_E1_NS1_11comp_targetILNS1_3genE10ELNS1_11target_archE1201ELNS1_3gpuE5ELNS1_3repE0EEENS1_36merge_oddeven_config_static_selectorELNS0_4arch9wavefront6targetE0EEEvSF_: ; @_ZN7rocprim17ROCPRIM_400000_NS6detail17trampoline_kernelINS0_14default_configENS1_38merge_sort_block_merge_config_selectorItNS0_10empty_typeEEEZZNS1_27merge_sort_block_merge_implIS3_PtPS5_jNS1_19radix_merge_compareILb1ELb0EtNS0_19identity_decomposerEEEEE10hipError_tT0_T1_T2_jT3_P12ihipStream_tbPNSt15iterator_traitsISE_E10value_typeEPNSK_ISF_E10value_typeEPSG_NS1_7vsmem_tEENKUlT_SE_SF_SG_E_clIS8_S8_S9_S9_EESD_ST_SE_SF_SG_EUlST_E1_NS1_11comp_targetILNS1_3genE10ELNS1_11target_archE1201ELNS1_3gpuE5ELNS1_3repE0EEENS1_36merge_oddeven_config_static_selectorELNS0_4arch9wavefront6targetE0EEEvSF_
; %bb.0:
	.section	.rodata,"a",@progbits
	.p2align	6, 0x0
	.amdhsa_kernel _ZN7rocprim17ROCPRIM_400000_NS6detail17trampoline_kernelINS0_14default_configENS1_38merge_sort_block_merge_config_selectorItNS0_10empty_typeEEEZZNS1_27merge_sort_block_merge_implIS3_PtPS5_jNS1_19radix_merge_compareILb1ELb0EtNS0_19identity_decomposerEEEEE10hipError_tT0_T1_T2_jT3_P12ihipStream_tbPNSt15iterator_traitsISE_E10value_typeEPNSK_ISF_E10value_typeEPSG_NS1_7vsmem_tEENKUlT_SE_SF_SG_E_clIS8_S8_S9_S9_EESD_ST_SE_SF_SG_EUlST_E1_NS1_11comp_targetILNS1_3genE10ELNS1_11target_archE1201ELNS1_3gpuE5ELNS1_3repE0EEENS1_36merge_oddeven_config_static_selectorELNS0_4arch9wavefront6targetE0EEEvSF_
		.amdhsa_group_segment_fixed_size 0
		.amdhsa_private_segment_fixed_size 0
		.amdhsa_kernarg_size 48
		.amdhsa_user_sgpr_count 2
		.amdhsa_user_sgpr_dispatch_ptr 0
		.amdhsa_user_sgpr_queue_ptr 0
		.amdhsa_user_sgpr_kernarg_segment_ptr 1
		.amdhsa_user_sgpr_dispatch_id 0
		.amdhsa_user_sgpr_kernarg_preload_length 0
		.amdhsa_user_sgpr_kernarg_preload_offset 0
		.amdhsa_user_sgpr_private_segment_size 0
		.amdhsa_wavefront_size32 1
		.amdhsa_uses_dynamic_stack 0
		.amdhsa_enable_private_segment 0
		.amdhsa_system_sgpr_workgroup_id_x 1
		.amdhsa_system_sgpr_workgroup_id_y 0
		.amdhsa_system_sgpr_workgroup_id_z 0
		.amdhsa_system_sgpr_workgroup_info 0
		.amdhsa_system_vgpr_workitem_id 0
		.amdhsa_next_free_vgpr 1
		.amdhsa_next_free_sgpr 1
		.amdhsa_named_barrier_count 0
		.amdhsa_reserve_vcc 0
		.amdhsa_float_round_mode_32 0
		.amdhsa_float_round_mode_16_64 0
		.amdhsa_float_denorm_mode_32 3
		.amdhsa_float_denorm_mode_16_64 3
		.amdhsa_fp16_overflow 0
		.amdhsa_memory_ordered 1
		.amdhsa_forward_progress 1
		.amdhsa_inst_pref_size 0
		.amdhsa_round_robin_scheduling 0
		.amdhsa_exception_fp_ieee_invalid_op 0
		.amdhsa_exception_fp_denorm_src 0
		.amdhsa_exception_fp_ieee_div_zero 0
		.amdhsa_exception_fp_ieee_overflow 0
		.amdhsa_exception_fp_ieee_underflow 0
		.amdhsa_exception_fp_ieee_inexact 0
		.amdhsa_exception_int_div_zero 0
	.end_amdhsa_kernel
	.section	.text._ZN7rocprim17ROCPRIM_400000_NS6detail17trampoline_kernelINS0_14default_configENS1_38merge_sort_block_merge_config_selectorItNS0_10empty_typeEEEZZNS1_27merge_sort_block_merge_implIS3_PtPS5_jNS1_19radix_merge_compareILb1ELb0EtNS0_19identity_decomposerEEEEE10hipError_tT0_T1_T2_jT3_P12ihipStream_tbPNSt15iterator_traitsISE_E10value_typeEPNSK_ISF_E10value_typeEPSG_NS1_7vsmem_tEENKUlT_SE_SF_SG_E_clIS8_S8_S9_S9_EESD_ST_SE_SF_SG_EUlST_E1_NS1_11comp_targetILNS1_3genE10ELNS1_11target_archE1201ELNS1_3gpuE5ELNS1_3repE0EEENS1_36merge_oddeven_config_static_selectorELNS0_4arch9wavefront6targetE0EEEvSF_,"axG",@progbits,_ZN7rocprim17ROCPRIM_400000_NS6detail17trampoline_kernelINS0_14default_configENS1_38merge_sort_block_merge_config_selectorItNS0_10empty_typeEEEZZNS1_27merge_sort_block_merge_implIS3_PtPS5_jNS1_19radix_merge_compareILb1ELb0EtNS0_19identity_decomposerEEEEE10hipError_tT0_T1_T2_jT3_P12ihipStream_tbPNSt15iterator_traitsISE_E10value_typeEPNSK_ISF_E10value_typeEPSG_NS1_7vsmem_tEENKUlT_SE_SF_SG_E_clIS8_S8_S9_S9_EESD_ST_SE_SF_SG_EUlST_E1_NS1_11comp_targetILNS1_3genE10ELNS1_11target_archE1201ELNS1_3gpuE5ELNS1_3repE0EEENS1_36merge_oddeven_config_static_selectorELNS0_4arch9wavefront6targetE0EEEvSF_,comdat
.Lfunc_end2321:
	.size	_ZN7rocprim17ROCPRIM_400000_NS6detail17trampoline_kernelINS0_14default_configENS1_38merge_sort_block_merge_config_selectorItNS0_10empty_typeEEEZZNS1_27merge_sort_block_merge_implIS3_PtPS5_jNS1_19radix_merge_compareILb1ELb0EtNS0_19identity_decomposerEEEEE10hipError_tT0_T1_T2_jT3_P12ihipStream_tbPNSt15iterator_traitsISE_E10value_typeEPNSK_ISF_E10value_typeEPSG_NS1_7vsmem_tEENKUlT_SE_SF_SG_E_clIS8_S8_S9_S9_EESD_ST_SE_SF_SG_EUlST_E1_NS1_11comp_targetILNS1_3genE10ELNS1_11target_archE1201ELNS1_3gpuE5ELNS1_3repE0EEENS1_36merge_oddeven_config_static_selectorELNS0_4arch9wavefront6targetE0EEEvSF_, .Lfunc_end2321-_ZN7rocprim17ROCPRIM_400000_NS6detail17trampoline_kernelINS0_14default_configENS1_38merge_sort_block_merge_config_selectorItNS0_10empty_typeEEEZZNS1_27merge_sort_block_merge_implIS3_PtPS5_jNS1_19radix_merge_compareILb1ELb0EtNS0_19identity_decomposerEEEEE10hipError_tT0_T1_T2_jT3_P12ihipStream_tbPNSt15iterator_traitsISE_E10value_typeEPNSK_ISF_E10value_typeEPSG_NS1_7vsmem_tEENKUlT_SE_SF_SG_E_clIS8_S8_S9_S9_EESD_ST_SE_SF_SG_EUlST_E1_NS1_11comp_targetILNS1_3genE10ELNS1_11target_archE1201ELNS1_3gpuE5ELNS1_3repE0EEENS1_36merge_oddeven_config_static_selectorELNS0_4arch9wavefront6targetE0EEEvSF_
                                        ; -- End function
	.set _ZN7rocprim17ROCPRIM_400000_NS6detail17trampoline_kernelINS0_14default_configENS1_38merge_sort_block_merge_config_selectorItNS0_10empty_typeEEEZZNS1_27merge_sort_block_merge_implIS3_PtPS5_jNS1_19radix_merge_compareILb1ELb0EtNS0_19identity_decomposerEEEEE10hipError_tT0_T1_T2_jT3_P12ihipStream_tbPNSt15iterator_traitsISE_E10value_typeEPNSK_ISF_E10value_typeEPSG_NS1_7vsmem_tEENKUlT_SE_SF_SG_E_clIS8_S8_S9_S9_EESD_ST_SE_SF_SG_EUlST_E1_NS1_11comp_targetILNS1_3genE10ELNS1_11target_archE1201ELNS1_3gpuE5ELNS1_3repE0EEENS1_36merge_oddeven_config_static_selectorELNS0_4arch9wavefront6targetE0EEEvSF_.num_vgpr, 0
	.set _ZN7rocprim17ROCPRIM_400000_NS6detail17trampoline_kernelINS0_14default_configENS1_38merge_sort_block_merge_config_selectorItNS0_10empty_typeEEEZZNS1_27merge_sort_block_merge_implIS3_PtPS5_jNS1_19radix_merge_compareILb1ELb0EtNS0_19identity_decomposerEEEEE10hipError_tT0_T1_T2_jT3_P12ihipStream_tbPNSt15iterator_traitsISE_E10value_typeEPNSK_ISF_E10value_typeEPSG_NS1_7vsmem_tEENKUlT_SE_SF_SG_E_clIS8_S8_S9_S9_EESD_ST_SE_SF_SG_EUlST_E1_NS1_11comp_targetILNS1_3genE10ELNS1_11target_archE1201ELNS1_3gpuE5ELNS1_3repE0EEENS1_36merge_oddeven_config_static_selectorELNS0_4arch9wavefront6targetE0EEEvSF_.num_agpr, 0
	.set _ZN7rocprim17ROCPRIM_400000_NS6detail17trampoline_kernelINS0_14default_configENS1_38merge_sort_block_merge_config_selectorItNS0_10empty_typeEEEZZNS1_27merge_sort_block_merge_implIS3_PtPS5_jNS1_19radix_merge_compareILb1ELb0EtNS0_19identity_decomposerEEEEE10hipError_tT0_T1_T2_jT3_P12ihipStream_tbPNSt15iterator_traitsISE_E10value_typeEPNSK_ISF_E10value_typeEPSG_NS1_7vsmem_tEENKUlT_SE_SF_SG_E_clIS8_S8_S9_S9_EESD_ST_SE_SF_SG_EUlST_E1_NS1_11comp_targetILNS1_3genE10ELNS1_11target_archE1201ELNS1_3gpuE5ELNS1_3repE0EEENS1_36merge_oddeven_config_static_selectorELNS0_4arch9wavefront6targetE0EEEvSF_.numbered_sgpr, 0
	.set _ZN7rocprim17ROCPRIM_400000_NS6detail17trampoline_kernelINS0_14default_configENS1_38merge_sort_block_merge_config_selectorItNS0_10empty_typeEEEZZNS1_27merge_sort_block_merge_implIS3_PtPS5_jNS1_19radix_merge_compareILb1ELb0EtNS0_19identity_decomposerEEEEE10hipError_tT0_T1_T2_jT3_P12ihipStream_tbPNSt15iterator_traitsISE_E10value_typeEPNSK_ISF_E10value_typeEPSG_NS1_7vsmem_tEENKUlT_SE_SF_SG_E_clIS8_S8_S9_S9_EESD_ST_SE_SF_SG_EUlST_E1_NS1_11comp_targetILNS1_3genE10ELNS1_11target_archE1201ELNS1_3gpuE5ELNS1_3repE0EEENS1_36merge_oddeven_config_static_selectorELNS0_4arch9wavefront6targetE0EEEvSF_.num_named_barrier, 0
	.set _ZN7rocprim17ROCPRIM_400000_NS6detail17trampoline_kernelINS0_14default_configENS1_38merge_sort_block_merge_config_selectorItNS0_10empty_typeEEEZZNS1_27merge_sort_block_merge_implIS3_PtPS5_jNS1_19radix_merge_compareILb1ELb0EtNS0_19identity_decomposerEEEEE10hipError_tT0_T1_T2_jT3_P12ihipStream_tbPNSt15iterator_traitsISE_E10value_typeEPNSK_ISF_E10value_typeEPSG_NS1_7vsmem_tEENKUlT_SE_SF_SG_E_clIS8_S8_S9_S9_EESD_ST_SE_SF_SG_EUlST_E1_NS1_11comp_targetILNS1_3genE10ELNS1_11target_archE1201ELNS1_3gpuE5ELNS1_3repE0EEENS1_36merge_oddeven_config_static_selectorELNS0_4arch9wavefront6targetE0EEEvSF_.private_seg_size, 0
	.set _ZN7rocprim17ROCPRIM_400000_NS6detail17trampoline_kernelINS0_14default_configENS1_38merge_sort_block_merge_config_selectorItNS0_10empty_typeEEEZZNS1_27merge_sort_block_merge_implIS3_PtPS5_jNS1_19radix_merge_compareILb1ELb0EtNS0_19identity_decomposerEEEEE10hipError_tT0_T1_T2_jT3_P12ihipStream_tbPNSt15iterator_traitsISE_E10value_typeEPNSK_ISF_E10value_typeEPSG_NS1_7vsmem_tEENKUlT_SE_SF_SG_E_clIS8_S8_S9_S9_EESD_ST_SE_SF_SG_EUlST_E1_NS1_11comp_targetILNS1_3genE10ELNS1_11target_archE1201ELNS1_3gpuE5ELNS1_3repE0EEENS1_36merge_oddeven_config_static_selectorELNS0_4arch9wavefront6targetE0EEEvSF_.uses_vcc, 0
	.set _ZN7rocprim17ROCPRIM_400000_NS6detail17trampoline_kernelINS0_14default_configENS1_38merge_sort_block_merge_config_selectorItNS0_10empty_typeEEEZZNS1_27merge_sort_block_merge_implIS3_PtPS5_jNS1_19radix_merge_compareILb1ELb0EtNS0_19identity_decomposerEEEEE10hipError_tT0_T1_T2_jT3_P12ihipStream_tbPNSt15iterator_traitsISE_E10value_typeEPNSK_ISF_E10value_typeEPSG_NS1_7vsmem_tEENKUlT_SE_SF_SG_E_clIS8_S8_S9_S9_EESD_ST_SE_SF_SG_EUlST_E1_NS1_11comp_targetILNS1_3genE10ELNS1_11target_archE1201ELNS1_3gpuE5ELNS1_3repE0EEENS1_36merge_oddeven_config_static_selectorELNS0_4arch9wavefront6targetE0EEEvSF_.uses_flat_scratch, 0
	.set _ZN7rocprim17ROCPRIM_400000_NS6detail17trampoline_kernelINS0_14default_configENS1_38merge_sort_block_merge_config_selectorItNS0_10empty_typeEEEZZNS1_27merge_sort_block_merge_implIS3_PtPS5_jNS1_19radix_merge_compareILb1ELb0EtNS0_19identity_decomposerEEEEE10hipError_tT0_T1_T2_jT3_P12ihipStream_tbPNSt15iterator_traitsISE_E10value_typeEPNSK_ISF_E10value_typeEPSG_NS1_7vsmem_tEENKUlT_SE_SF_SG_E_clIS8_S8_S9_S9_EESD_ST_SE_SF_SG_EUlST_E1_NS1_11comp_targetILNS1_3genE10ELNS1_11target_archE1201ELNS1_3gpuE5ELNS1_3repE0EEENS1_36merge_oddeven_config_static_selectorELNS0_4arch9wavefront6targetE0EEEvSF_.has_dyn_sized_stack, 0
	.set _ZN7rocprim17ROCPRIM_400000_NS6detail17trampoline_kernelINS0_14default_configENS1_38merge_sort_block_merge_config_selectorItNS0_10empty_typeEEEZZNS1_27merge_sort_block_merge_implIS3_PtPS5_jNS1_19radix_merge_compareILb1ELb0EtNS0_19identity_decomposerEEEEE10hipError_tT0_T1_T2_jT3_P12ihipStream_tbPNSt15iterator_traitsISE_E10value_typeEPNSK_ISF_E10value_typeEPSG_NS1_7vsmem_tEENKUlT_SE_SF_SG_E_clIS8_S8_S9_S9_EESD_ST_SE_SF_SG_EUlST_E1_NS1_11comp_targetILNS1_3genE10ELNS1_11target_archE1201ELNS1_3gpuE5ELNS1_3repE0EEENS1_36merge_oddeven_config_static_selectorELNS0_4arch9wavefront6targetE0EEEvSF_.has_recursion, 0
	.set _ZN7rocprim17ROCPRIM_400000_NS6detail17trampoline_kernelINS0_14default_configENS1_38merge_sort_block_merge_config_selectorItNS0_10empty_typeEEEZZNS1_27merge_sort_block_merge_implIS3_PtPS5_jNS1_19radix_merge_compareILb1ELb0EtNS0_19identity_decomposerEEEEE10hipError_tT0_T1_T2_jT3_P12ihipStream_tbPNSt15iterator_traitsISE_E10value_typeEPNSK_ISF_E10value_typeEPSG_NS1_7vsmem_tEENKUlT_SE_SF_SG_E_clIS8_S8_S9_S9_EESD_ST_SE_SF_SG_EUlST_E1_NS1_11comp_targetILNS1_3genE10ELNS1_11target_archE1201ELNS1_3gpuE5ELNS1_3repE0EEENS1_36merge_oddeven_config_static_selectorELNS0_4arch9wavefront6targetE0EEEvSF_.has_indirect_call, 0
	.section	.AMDGPU.csdata,"",@progbits
; Kernel info:
; codeLenInByte = 0
; TotalNumSgprs: 0
; NumVgprs: 0
; ScratchSize: 0
; MemoryBound: 0
; FloatMode: 240
; IeeeMode: 1
; LDSByteSize: 0 bytes/workgroup (compile time only)
; SGPRBlocks: 0
; VGPRBlocks: 0
; NumSGPRsForWavesPerEU: 1
; NumVGPRsForWavesPerEU: 1
; NamedBarCnt: 0
; Occupancy: 16
; WaveLimiterHint : 0
; COMPUTE_PGM_RSRC2:SCRATCH_EN: 0
; COMPUTE_PGM_RSRC2:USER_SGPR: 2
; COMPUTE_PGM_RSRC2:TRAP_HANDLER: 0
; COMPUTE_PGM_RSRC2:TGID_X_EN: 1
; COMPUTE_PGM_RSRC2:TGID_Y_EN: 0
; COMPUTE_PGM_RSRC2:TGID_Z_EN: 0
; COMPUTE_PGM_RSRC2:TIDIG_COMP_CNT: 0
	.section	.text._ZN7rocprim17ROCPRIM_400000_NS6detail17trampoline_kernelINS0_14default_configENS1_38merge_sort_block_merge_config_selectorItNS0_10empty_typeEEEZZNS1_27merge_sort_block_merge_implIS3_PtPS5_jNS1_19radix_merge_compareILb1ELb0EtNS0_19identity_decomposerEEEEE10hipError_tT0_T1_T2_jT3_P12ihipStream_tbPNSt15iterator_traitsISE_E10value_typeEPNSK_ISF_E10value_typeEPSG_NS1_7vsmem_tEENKUlT_SE_SF_SG_E_clIS8_S8_S9_S9_EESD_ST_SE_SF_SG_EUlST_E1_NS1_11comp_targetILNS1_3genE5ELNS1_11target_archE942ELNS1_3gpuE9ELNS1_3repE0EEENS1_36merge_oddeven_config_static_selectorELNS0_4arch9wavefront6targetE0EEEvSF_,"axG",@progbits,_ZN7rocprim17ROCPRIM_400000_NS6detail17trampoline_kernelINS0_14default_configENS1_38merge_sort_block_merge_config_selectorItNS0_10empty_typeEEEZZNS1_27merge_sort_block_merge_implIS3_PtPS5_jNS1_19radix_merge_compareILb1ELb0EtNS0_19identity_decomposerEEEEE10hipError_tT0_T1_T2_jT3_P12ihipStream_tbPNSt15iterator_traitsISE_E10value_typeEPNSK_ISF_E10value_typeEPSG_NS1_7vsmem_tEENKUlT_SE_SF_SG_E_clIS8_S8_S9_S9_EESD_ST_SE_SF_SG_EUlST_E1_NS1_11comp_targetILNS1_3genE5ELNS1_11target_archE942ELNS1_3gpuE9ELNS1_3repE0EEENS1_36merge_oddeven_config_static_selectorELNS0_4arch9wavefront6targetE0EEEvSF_,comdat
	.protected	_ZN7rocprim17ROCPRIM_400000_NS6detail17trampoline_kernelINS0_14default_configENS1_38merge_sort_block_merge_config_selectorItNS0_10empty_typeEEEZZNS1_27merge_sort_block_merge_implIS3_PtPS5_jNS1_19radix_merge_compareILb1ELb0EtNS0_19identity_decomposerEEEEE10hipError_tT0_T1_T2_jT3_P12ihipStream_tbPNSt15iterator_traitsISE_E10value_typeEPNSK_ISF_E10value_typeEPSG_NS1_7vsmem_tEENKUlT_SE_SF_SG_E_clIS8_S8_S9_S9_EESD_ST_SE_SF_SG_EUlST_E1_NS1_11comp_targetILNS1_3genE5ELNS1_11target_archE942ELNS1_3gpuE9ELNS1_3repE0EEENS1_36merge_oddeven_config_static_selectorELNS0_4arch9wavefront6targetE0EEEvSF_ ; -- Begin function _ZN7rocprim17ROCPRIM_400000_NS6detail17trampoline_kernelINS0_14default_configENS1_38merge_sort_block_merge_config_selectorItNS0_10empty_typeEEEZZNS1_27merge_sort_block_merge_implIS3_PtPS5_jNS1_19radix_merge_compareILb1ELb0EtNS0_19identity_decomposerEEEEE10hipError_tT0_T1_T2_jT3_P12ihipStream_tbPNSt15iterator_traitsISE_E10value_typeEPNSK_ISF_E10value_typeEPSG_NS1_7vsmem_tEENKUlT_SE_SF_SG_E_clIS8_S8_S9_S9_EESD_ST_SE_SF_SG_EUlST_E1_NS1_11comp_targetILNS1_3genE5ELNS1_11target_archE942ELNS1_3gpuE9ELNS1_3repE0EEENS1_36merge_oddeven_config_static_selectorELNS0_4arch9wavefront6targetE0EEEvSF_
	.globl	_ZN7rocprim17ROCPRIM_400000_NS6detail17trampoline_kernelINS0_14default_configENS1_38merge_sort_block_merge_config_selectorItNS0_10empty_typeEEEZZNS1_27merge_sort_block_merge_implIS3_PtPS5_jNS1_19radix_merge_compareILb1ELb0EtNS0_19identity_decomposerEEEEE10hipError_tT0_T1_T2_jT3_P12ihipStream_tbPNSt15iterator_traitsISE_E10value_typeEPNSK_ISF_E10value_typeEPSG_NS1_7vsmem_tEENKUlT_SE_SF_SG_E_clIS8_S8_S9_S9_EESD_ST_SE_SF_SG_EUlST_E1_NS1_11comp_targetILNS1_3genE5ELNS1_11target_archE942ELNS1_3gpuE9ELNS1_3repE0EEENS1_36merge_oddeven_config_static_selectorELNS0_4arch9wavefront6targetE0EEEvSF_
	.p2align	8
	.type	_ZN7rocprim17ROCPRIM_400000_NS6detail17trampoline_kernelINS0_14default_configENS1_38merge_sort_block_merge_config_selectorItNS0_10empty_typeEEEZZNS1_27merge_sort_block_merge_implIS3_PtPS5_jNS1_19radix_merge_compareILb1ELb0EtNS0_19identity_decomposerEEEEE10hipError_tT0_T1_T2_jT3_P12ihipStream_tbPNSt15iterator_traitsISE_E10value_typeEPNSK_ISF_E10value_typeEPSG_NS1_7vsmem_tEENKUlT_SE_SF_SG_E_clIS8_S8_S9_S9_EESD_ST_SE_SF_SG_EUlST_E1_NS1_11comp_targetILNS1_3genE5ELNS1_11target_archE942ELNS1_3gpuE9ELNS1_3repE0EEENS1_36merge_oddeven_config_static_selectorELNS0_4arch9wavefront6targetE0EEEvSF_,@function
_ZN7rocprim17ROCPRIM_400000_NS6detail17trampoline_kernelINS0_14default_configENS1_38merge_sort_block_merge_config_selectorItNS0_10empty_typeEEEZZNS1_27merge_sort_block_merge_implIS3_PtPS5_jNS1_19radix_merge_compareILb1ELb0EtNS0_19identity_decomposerEEEEE10hipError_tT0_T1_T2_jT3_P12ihipStream_tbPNSt15iterator_traitsISE_E10value_typeEPNSK_ISF_E10value_typeEPSG_NS1_7vsmem_tEENKUlT_SE_SF_SG_E_clIS8_S8_S9_S9_EESD_ST_SE_SF_SG_EUlST_E1_NS1_11comp_targetILNS1_3genE5ELNS1_11target_archE942ELNS1_3gpuE9ELNS1_3repE0EEENS1_36merge_oddeven_config_static_selectorELNS0_4arch9wavefront6targetE0EEEvSF_: ; @_ZN7rocprim17ROCPRIM_400000_NS6detail17trampoline_kernelINS0_14default_configENS1_38merge_sort_block_merge_config_selectorItNS0_10empty_typeEEEZZNS1_27merge_sort_block_merge_implIS3_PtPS5_jNS1_19radix_merge_compareILb1ELb0EtNS0_19identity_decomposerEEEEE10hipError_tT0_T1_T2_jT3_P12ihipStream_tbPNSt15iterator_traitsISE_E10value_typeEPNSK_ISF_E10value_typeEPSG_NS1_7vsmem_tEENKUlT_SE_SF_SG_E_clIS8_S8_S9_S9_EESD_ST_SE_SF_SG_EUlST_E1_NS1_11comp_targetILNS1_3genE5ELNS1_11target_archE942ELNS1_3gpuE9ELNS1_3repE0EEENS1_36merge_oddeven_config_static_selectorELNS0_4arch9wavefront6targetE0EEEvSF_
; %bb.0:
	.section	.rodata,"a",@progbits
	.p2align	6, 0x0
	.amdhsa_kernel _ZN7rocprim17ROCPRIM_400000_NS6detail17trampoline_kernelINS0_14default_configENS1_38merge_sort_block_merge_config_selectorItNS0_10empty_typeEEEZZNS1_27merge_sort_block_merge_implIS3_PtPS5_jNS1_19radix_merge_compareILb1ELb0EtNS0_19identity_decomposerEEEEE10hipError_tT0_T1_T2_jT3_P12ihipStream_tbPNSt15iterator_traitsISE_E10value_typeEPNSK_ISF_E10value_typeEPSG_NS1_7vsmem_tEENKUlT_SE_SF_SG_E_clIS8_S8_S9_S9_EESD_ST_SE_SF_SG_EUlST_E1_NS1_11comp_targetILNS1_3genE5ELNS1_11target_archE942ELNS1_3gpuE9ELNS1_3repE0EEENS1_36merge_oddeven_config_static_selectorELNS0_4arch9wavefront6targetE0EEEvSF_
		.amdhsa_group_segment_fixed_size 0
		.amdhsa_private_segment_fixed_size 0
		.amdhsa_kernarg_size 48
		.amdhsa_user_sgpr_count 2
		.amdhsa_user_sgpr_dispatch_ptr 0
		.amdhsa_user_sgpr_queue_ptr 0
		.amdhsa_user_sgpr_kernarg_segment_ptr 1
		.amdhsa_user_sgpr_dispatch_id 0
		.amdhsa_user_sgpr_kernarg_preload_length 0
		.amdhsa_user_sgpr_kernarg_preload_offset 0
		.amdhsa_user_sgpr_private_segment_size 0
		.amdhsa_wavefront_size32 1
		.amdhsa_uses_dynamic_stack 0
		.amdhsa_enable_private_segment 0
		.amdhsa_system_sgpr_workgroup_id_x 1
		.amdhsa_system_sgpr_workgroup_id_y 0
		.amdhsa_system_sgpr_workgroup_id_z 0
		.amdhsa_system_sgpr_workgroup_info 0
		.amdhsa_system_vgpr_workitem_id 0
		.amdhsa_next_free_vgpr 1
		.amdhsa_next_free_sgpr 1
		.amdhsa_named_barrier_count 0
		.amdhsa_reserve_vcc 0
		.amdhsa_float_round_mode_32 0
		.amdhsa_float_round_mode_16_64 0
		.amdhsa_float_denorm_mode_32 3
		.amdhsa_float_denorm_mode_16_64 3
		.amdhsa_fp16_overflow 0
		.amdhsa_memory_ordered 1
		.amdhsa_forward_progress 1
		.amdhsa_inst_pref_size 0
		.amdhsa_round_robin_scheduling 0
		.amdhsa_exception_fp_ieee_invalid_op 0
		.amdhsa_exception_fp_denorm_src 0
		.amdhsa_exception_fp_ieee_div_zero 0
		.amdhsa_exception_fp_ieee_overflow 0
		.amdhsa_exception_fp_ieee_underflow 0
		.amdhsa_exception_fp_ieee_inexact 0
		.amdhsa_exception_int_div_zero 0
	.end_amdhsa_kernel
	.section	.text._ZN7rocprim17ROCPRIM_400000_NS6detail17trampoline_kernelINS0_14default_configENS1_38merge_sort_block_merge_config_selectorItNS0_10empty_typeEEEZZNS1_27merge_sort_block_merge_implIS3_PtPS5_jNS1_19radix_merge_compareILb1ELb0EtNS0_19identity_decomposerEEEEE10hipError_tT0_T1_T2_jT3_P12ihipStream_tbPNSt15iterator_traitsISE_E10value_typeEPNSK_ISF_E10value_typeEPSG_NS1_7vsmem_tEENKUlT_SE_SF_SG_E_clIS8_S8_S9_S9_EESD_ST_SE_SF_SG_EUlST_E1_NS1_11comp_targetILNS1_3genE5ELNS1_11target_archE942ELNS1_3gpuE9ELNS1_3repE0EEENS1_36merge_oddeven_config_static_selectorELNS0_4arch9wavefront6targetE0EEEvSF_,"axG",@progbits,_ZN7rocprim17ROCPRIM_400000_NS6detail17trampoline_kernelINS0_14default_configENS1_38merge_sort_block_merge_config_selectorItNS0_10empty_typeEEEZZNS1_27merge_sort_block_merge_implIS3_PtPS5_jNS1_19radix_merge_compareILb1ELb0EtNS0_19identity_decomposerEEEEE10hipError_tT0_T1_T2_jT3_P12ihipStream_tbPNSt15iterator_traitsISE_E10value_typeEPNSK_ISF_E10value_typeEPSG_NS1_7vsmem_tEENKUlT_SE_SF_SG_E_clIS8_S8_S9_S9_EESD_ST_SE_SF_SG_EUlST_E1_NS1_11comp_targetILNS1_3genE5ELNS1_11target_archE942ELNS1_3gpuE9ELNS1_3repE0EEENS1_36merge_oddeven_config_static_selectorELNS0_4arch9wavefront6targetE0EEEvSF_,comdat
.Lfunc_end2322:
	.size	_ZN7rocprim17ROCPRIM_400000_NS6detail17trampoline_kernelINS0_14default_configENS1_38merge_sort_block_merge_config_selectorItNS0_10empty_typeEEEZZNS1_27merge_sort_block_merge_implIS3_PtPS5_jNS1_19radix_merge_compareILb1ELb0EtNS0_19identity_decomposerEEEEE10hipError_tT0_T1_T2_jT3_P12ihipStream_tbPNSt15iterator_traitsISE_E10value_typeEPNSK_ISF_E10value_typeEPSG_NS1_7vsmem_tEENKUlT_SE_SF_SG_E_clIS8_S8_S9_S9_EESD_ST_SE_SF_SG_EUlST_E1_NS1_11comp_targetILNS1_3genE5ELNS1_11target_archE942ELNS1_3gpuE9ELNS1_3repE0EEENS1_36merge_oddeven_config_static_selectorELNS0_4arch9wavefront6targetE0EEEvSF_, .Lfunc_end2322-_ZN7rocprim17ROCPRIM_400000_NS6detail17trampoline_kernelINS0_14default_configENS1_38merge_sort_block_merge_config_selectorItNS0_10empty_typeEEEZZNS1_27merge_sort_block_merge_implIS3_PtPS5_jNS1_19radix_merge_compareILb1ELb0EtNS0_19identity_decomposerEEEEE10hipError_tT0_T1_T2_jT3_P12ihipStream_tbPNSt15iterator_traitsISE_E10value_typeEPNSK_ISF_E10value_typeEPSG_NS1_7vsmem_tEENKUlT_SE_SF_SG_E_clIS8_S8_S9_S9_EESD_ST_SE_SF_SG_EUlST_E1_NS1_11comp_targetILNS1_3genE5ELNS1_11target_archE942ELNS1_3gpuE9ELNS1_3repE0EEENS1_36merge_oddeven_config_static_selectorELNS0_4arch9wavefront6targetE0EEEvSF_
                                        ; -- End function
	.set _ZN7rocprim17ROCPRIM_400000_NS6detail17trampoline_kernelINS0_14default_configENS1_38merge_sort_block_merge_config_selectorItNS0_10empty_typeEEEZZNS1_27merge_sort_block_merge_implIS3_PtPS5_jNS1_19radix_merge_compareILb1ELb0EtNS0_19identity_decomposerEEEEE10hipError_tT0_T1_T2_jT3_P12ihipStream_tbPNSt15iterator_traitsISE_E10value_typeEPNSK_ISF_E10value_typeEPSG_NS1_7vsmem_tEENKUlT_SE_SF_SG_E_clIS8_S8_S9_S9_EESD_ST_SE_SF_SG_EUlST_E1_NS1_11comp_targetILNS1_3genE5ELNS1_11target_archE942ELNS1_3gpuE9ELNS1_3repE0EEENS1_36merge_oddeven_config_static_selectorELNS0_4arch9wavefront6targetE0EEEvSF_.num_vgpr, 0
	.set _ZN7rocprim17ROCPRIM_400000_NS6detail17trampoline_kernelINS0_14default_configENS1_38merge_sort_block_merge_config_selectorItNS0_10empty_typeEEEZZNS1_27merge_sort_block_merge_implIS3_PtPS5_jNS1_19radix_merge_compareILb1ELb0EtNS0_19identity_decomposerEEEEE10hipError_tT0_T1_T2_jT3_P12ihipStream_tbPNSt15iterator_traitsISE_E10value_typeEPNSK_ISF_E10value_typeEPSG_NS1_7vsmem_tEENKUlT_SE_SF_SG_E_clIS8_S8_S9_S9_EESD_ST_SE_SF_SG_EUlST_E1_NS1_11comp_targetILNS1_3genE5ELNS1_11target_archE942ELNS1_3gpuE9ELNS1_3repE0EEENS1_36merge_oddeven_config_static_selectorELNS0_4arch9wavefront6targetE0EEEvSF_.num_agpr, 0
	.set _ZN7rocprim17ROCPRIM_400000_NS6detail17trampoline_kernelINS0_14default_configENS1_38merge_sort_block_merge_config_selectorItNS0_10empty_typeEEEZZNS1_27merge_sort_block_merge_implIS3_PtPS5_jNS1_19radix_merge_compareILb1ELb0EtNS0_19identity_decomposerEEEEE10hipError_tT0_T1_T2_jT3_P12ihipStream_tbPNSt15iterator_traitsISE_E10value_typeEPNSK_ISF_E10value_typeEPSG_NS1_7vsmem_tEENKUlT_SE_SF_SG_E_clIS8_S8_S9_S9_EESD_ST_SE_SF_SG_EUlST_E1_NS1_11comp_targetILNS1_3genE5ELNS1_11target_archE942ELNS1_3gpuE9ELNS1_3repE0EEENS1_36merge_oddeven_config_static_selectorELNS0_4arch9wavefront6targetE0EEEvSF_.numbered_sgpr, 0
	.set _ZN7rocprim17ROCPRIM_400000_NS6detail17trampoline_kernelINS0_14default_configENS1_38merge_sort_block_merge_config_selectorItNS0_10empty_typeEEEZZNS1_27merge_sort_block_merge_implIS3_PtPS5_jNS1_19radix_merge_compareILb1ELb0EtNS0_19identity_decomposerEEEEE10hipError_tT0_T1_T2_jT3_P12ihipStream_tbPNSt15iterator_traitsISE_E10value_typeEPNSK_ISF_E10value_typeEPSG_NS1_7vsmem_tEENKUlT_SE_SF_SG_E_clIS8_S8_S9_S9_EESD_ST_SE_SF_SG_EUlST_E1_NS1_11comp_targetILNS1_3genE5ELNS1_11target_archE942ELNS1_3gpuE9ELNS1_3repE0EEENS1_36merge_oddeven_config_static_selectorELNS0_4arch9wavefront6targetE0EEEvSF_.num_named_barrier, 0
	.set _ZN7rocprim17ROCPRIM_400000_NS6detail17trampoline_kernelINS0_14default_configENS1_38merge_sort_block_merge_config_selectorItNS0_10empty_typeEEEZZNS1_27merge_sort_block_merge_implIS3_PtPS5_jNS1_19radix_merge_compareILb1ELb0EtNS0_19identity_decomposerEEEEE10hipError_tT0_T1_T2_jT3_P12ihipStream_tbPNSt15iterator_traitsISE_E10value_typeEPNSK_ISF_E10value_typeEPSG_NS1_7vsmem_tEENKUlT_SE_SF_SG_E_clIS8_S8_S9_S9_EESD_ST_SE_SF_SG_EUlST_E1_NS1_11comp_targetILNS1_3genE5ELNS1_11target_archE942ELNS1_3gpuE9ELNS1_3repE0EEENS1_36merge_oddeven_config_static_selectorELNS0_4arch9wavefront6targetE0EEEvSF_.private_seg_size, 0
	.set _ZN7rocprim17ROCPRIM_400000_NS6detail17trampoline_kernelINS0_14default_configENS1_38merge_sort_block_merge_config_selectorItNS0_10empty_typeEEEZZNS1_27merge_sort_block_merge_implIS3_PtPS5_jNS1_19radix_merge_compareILb1ELb0EtNS0_19identity_decomposerEEEEE10hipError_tT0_T1_T2_jT3_P12ihipStream_tbPNSt15iterator_traitsISE_E10value_typeEPNSK_ISF_E10value_typeEPSG_NS1_7vsmem_tEENKUlT_SE_SF_SG_E_clIS8_S8_S9_S9_EESD_ST_SE_SF_SG_EUlST_E1_NS1_11comp_targetILNS1_3genE5ELNS1_11target_archE942ELNS1_3gpuE9ELNS1_3repE0EEENS1_36merge_oddeven_config_static_selectorELNS0_4arch9wavefront6targetE0EEEvSF_.uses_vcc, 0
	.set _ZN7rocprim17ROCPRIM_400000_NS6detail17trampoline_kernelINS0_14default_configENS1_38merge_sort_block_merge_config_selectorItNS0_10empty_typeEEEZZNS1_27merge_sort_block_merge_implIS3_PtPS5_jNS1_19radix_merge_compareILb1ELb0EtNS0_19identity_decomposerEEEEE10hipError_tT0_T1_T2_jT3_P12ihipStream_tbPNSt15iterator_traitsISE_E10value_typeEPNSK_ISF_E10value_typeEPSG_NS1_7vsmem_tEENKUlT_SE_SF_SG_E_clIS8_S8_S9_S9_EESD_ST_SE_SF_SG_EUlST_E1_NS1_11comp_targetILNS1_3genE5ELNS1_11target_archE942ELNS1_3gpuE9ELNS1_3repE0EEENS1_36merge_oddeven_config_static_selectorELNS0_4arch9wavefront6targetE0EEEvSF_.uses_flat_scratch, 0
	.set _ZN7rocprim17ROCPRIM_400000_NS6detail17trampoline_kernelINS0_14default_configENS1_38merge_sort_block_merge_config_selectorItNS0_10empty_typeEEEZZNS1_27merge_sort_block_merge_implIS3_PtPS5_jNS1_19radix_merge_compareILb1ELb0EtNS0_19identity_decomposerEEEEE10hipError_tT0_T1_T2_jT3_P12ihipStream_tbPNSt15iterator_traitsISE_E10value_typeEPNSK_ISF_E10value_typeEPSG_NS1_7vsmem_tEENKUlT_SE_SF_SG_E_clIS8_S8_S9_S9_EESD_ST_SE_SF_SG_EUlST_E1_NS1_11comp_targetILNS1_3genE5ELNS1_11target_archE942ELNS1_3gpuE9ELNS1_3repE0EEENS1_36merge_oddeven_config_static_selectorELNS0_4arch9wavefront6targetE0EEEvSF_.has_dyn_sized_stack, 0
	.set _ZN7rocprim17ROCPRIM_400000_NS6detail17trampoline_kernelINS0_14default_configENS1_38merge_sort_block_merge_config_selectorItNS0_10empty_typeEEEZZNS1_27merge_sort_block_merge_implIS3_PtPS5_jNS1_19radix_merge_compareILb1ELb0EtNS0_19identity_decomposerEEEEE10hipError_tT0_T1_T2_jT3_P12ihipStream_tbPNSt15iterator_traitsISE_E10value_typeEPNSK_ISF_E10value_typeEPSG_NS1_7vsmem_tEENKUlT_SE_SF_SG_E_clIS8_S8_S9_S9_EESD_ST_SE_SF_SG_EUlST_E1_NS1_11comp_targetILNS1_3genE5ELNS1_11target_archE942ELNS1_3gpuE9ELNS1_3repE0EEENS1_36merge_oddeven_config_static_selectorELNS0_4arch9wavefront6targetE0EEEvSF_.has_recursion, 0
	.set _ZN7rocprim17ROCPRIM_400000_NS6detail17trampoline_kernelINS0_14default_configENS1_38merge_sort_block_merge_config_selectorItNS0_10empty_typeEEEZZNS1_27merge_sort_block_merge_implIS3_PtPS5_jNS1_19radix_merge_compareILb1ELb0EtNS0_19identity_decomposerEEEEE10hipError_tT0_T1_T2_jT3_P12ihipStream_tbPNSt15iterator_traitsISE_E10value_typeEPNSK_ISF_E10value_typeEPSG_NS1_7vsmem_tEENKUlT_SE_SF_SG_E_clIS8_S8_S9_S9_EESD_ST_SE_SF_SG_EUlST_E1_NS1_11comp_targetILNS1_3genE5ELNS1_11target_archE942ELNS1_3gpuE9ELNS1_3repE0EEENS1_36merge_oddeven_config_static_selectorELNS0_4arch9wavefront6targetE0EEEvSF_.has_indirect_call, 0
	.section	.AMDGPU.csdata,"",@progbits
; Kernel info:
; codeLenInByte = 0
; TotalNumSgprs: 0
; NumVgprs: 0
; ScratchSize: 0
; MemoryBound: 0
; FloatMode: 240
; IeeeMode: 1
; LDSByteSize: 0 bytes/workgroup (compile time only)
; SGPRBlocks: 0
; VGPRBlocks: 0
; NumSGPRsForWavesPerEU: 1
; NumVGPRsForWavesPerEU: 1
; NamedBarCnt: 0
; Occupancy: 16
; WaveLimiterHint : 0
; COMPUTE_PGM_RSRC2:SCRATCH_EN: 0
; COMPUTE_PGM_RSRC2:USER_SGPR: 2
; COMPUTE_PGM_RSRC2:TRAP_HANDLER: 0
; COMPUTE_PGM_RSRC2:TGID_X_EN: 1
; COMPUTE_PGM_RSRC2:TGID_Y_EN: 0
; COMPUTE_PGM_RSRC2:TGID_Z_EN: 0
; COMPUTE_PGM_RSRC2:TIDIG_COMP_CNT: 0
	.section	.text._ZN7rocprim17ROCPRIM_400000_NS6detail17trampoline_kernelINS0_14default_configENS1_38merge_sort_block_merge_config_selectorItNS0_10empty_typeEEEZZNS1_27merge_sort_block_merge_implIS3_PtPS5_jNS1_19radix_merge_compareILb1ELb0EtNS0_19identity_decomposerEEEEE10hipError_tT0_T1_T2_jT3_P12ihipStream_tbPNSt15iterator_traitsISE_E10value_typeEPNSK_ISF_E10value_typeEPSG_NS1_7vsmem_tEENKUlT_SE_SF_SG_E_clIS8_S8_S9_S9_EESD_ST_SE_SF_SG_EUlST_E1_NS1_11comp_targetILNS1_3genE4ELNS1_11target_archE910ELNS1_3gpuE8ELNS1_3repE0EEENS1_36merge_oddeven_config_static_selectorELNS0_4arch9wavefront6targetE0EEEvSF_,"axG",@progbits,_ZN7rocprim17ROCPRIM_400000_NS6detail17trampoline_kernelINS0_14default_configENS1_38merge_sort_block_merge_config_selectorItNS0_10empty_typeEEEZZNS1_27merge_sort_block_merge_implIS3_PtPS5_jNS1_19radix_merge_compareILb1ELb0EtNS0_19identity_decomposerEEEEE10hipError_tT0_T1_T2_jT3_P12ihipStream_tbPNSt15iterator_traitsISE_E10value_typeEPNSK_ISF_E10value_typeEPSG_NS1_7vsmem_tEENKUlT_SE_SF_SG_E_clIS8_S8_S9_S9_EESD_ST_SE_SF_SG_EUlST_E1_NS1_11comp_targetILNS1_3genE4ELNS1_11target_archE910ELNS1_3gpuE8ELNS1_3repE0EEENS1_36merge_oddeven_config_static_selectorELNS0_4arch9wavefront6targetE0EEEvSF_,comdat
	.protected	_ZN7rocprim17ROCPRIM_400000_NS6detail17trampoline_kernelINS0_14default_configENS1_38merge_sort_block_merge_config_selectorItNS0_10empty_typeEEEZZNS1_27merge_sort_block_merge_implIS3_PtPS5_jNS1_19radix_merge_compareILb1ELb0EtNS0_19identity_decomposerEEEEE10hipError_tT0_T1_T2_jT3_P12ihipStream_tbPNSt15iterator_traitsISE_E10value_typeEPNSK_ISF_E10value_typeEPSG_NS1_7vsmem_tEENKUlT_SE_SF_SG_E_clIS8_S8_S9_S9_EESD_ST_SE_SF_SG_EUlST_E1_NS1_11comp_targetILNS1_3genE4ELNS1_11target_archE910ELNS1_3gpuE8ELNS1_3repE0EEENS1_36merge_oddeven_config_static_selectorELNS0_4arch9wavefront6targetE0EEEvSF_ ; -- Begin function _ZN7rocprim17ROCPRIM_400000_NS6detail17trampoline_kernelINS0_14default_configENS1_38merge_sort_block_merge_config_selectorItNS0_10empty_typeEEEZZNS1_27merge_sort_block_merge_implIS3_PtPS5_jNS1_19radix_merge_compareILb1ELb0EtNS0_19identity_decomposerEEEEE10hipError_tT0_T1_T2_jT3_P12ihipStream_tbPNSt15iterator_traitsISE_E10value_typeEPNSK_ISF_E10value_typeEPSG_NS1_7vsmem_tEENKUlT_SE_SF_SG_E_clIS8_S8_S9_S9_EESD_ST_SE_SF_SG_EUlST_E1_NS1_11comp_targetILNS1_3genE4ELNS1_11target_archE910ELNS1_3gpuE8ELNS1_3repE0EEENS1_36merge_oddeven_config_static_selectorELNS0_4arch9wavefront6targetE0EEEvSF_
	.globl	_ZN7rocprim17ROCPRIM_400000_NS6detail17trampoline_kernelINS0_14default_configENS1_38merge_sort_block_merge_config_selectorItNS0_10empty_typeEEEZZNS1_27merge_sort_block_merge_implIS3_PtPS5_jNS1_19radix_merge_compareILb1ELb0EtNS0_19identity_decomposerEEEEE10hipError_tT0_T1_T2_jT3_P12ihipStream_tbPNSt15iterator_traitsISE_E10value_typeEPNSK_ISF_E10value_typeEPSG_NS1_7vsmem_tEENKUlT_SE_SF_SG_E_clIS8_S8_S9_S9_EESD_ST_SE_SF_SG_EUlST_E1_NS1_11comp_targetILNS1_3genE4ELNS1_11target_archE910ELNS1_3gpuE8ELNS1_3repE0EEENS1_36merge_oddeven_config_static_selectorELNS0_4arch9wavefront6targetE0EEEvSF_
	.p2align	8
	.type	_ZN7rocprim17ROCPRIM_400000_NS6detail17trampoline_kernelINS0_14default_configENS1_38merge_sort_block_merge_config_selectorItNS0_10empty_typeEEEZZNS1_27merge_sort_block_merge_implIS3_PtPS5_jNS1_19radix_merge_compareILb1ELb0EtNS0_19identity_decomposerEEEEE10hipError_tT0_T1_T2_jT3_P12ihipStream_tbPNSt15iterator_traitsISE_E10value_typeEPNSK_ISF_E10value_typeEPSG_NS1_7vsmem_tEENKUlT_SE_SF_SG_E_clIS8_S8_S9_S9_EESD_ST_SE_SF_SG_EUlST_E1_NS1_11comp_targetILNS1_3genE4ELNS1_11target_archE910ELNS1_3gpuE8ELNS1_3repE0EEENS1_36merge_oddeven_config_static_selectorELNS0_4arch9wavefront6targetE0EEEvSF_,@function
_ZN7rocprim17ROCPRIM_400000_NS6detail17trampoline_kernelINS0_14default_configENS1_38merge_sort_block_merge_config_selectorItNS0_10empty_typeEEEZZNS1_27merge_sort_block_merge_implIS3_PtPS5_jNS1_19radix_merge_compareILb1ELb0EtNS0_19identity_decomposerEEEEE10hipError_tT0_T1_T2_jT3_P12ihipStream_tbPNSt15iterator_traitsISE_E10value_typeEPNSK_ISF_E10value_typeEPSG_NS1_7vsmem_tEENKUlT_SE_SF_SG_E_clIS8_S8_S9_S9_EESD_ST_SE_SF_SG_EUlST_E1_NS1_11comp_targetILNS1_3genE4ELNS1_11target_archE910ELNS1_3gpuE8ELNS1_3repE0EEENS1_36merge_oddeven_config_static_selectorELNS0_4arch9wavefront6targetE0EEEvSF_: ; @_ZN7rocprim17ROCPRIM_400000_NS6detail17trampoline_kernelINS0_14default_configENS1_38merge_sort_block_merge_config_selectorItNS0_10empty_typeEEEZZNS1_27merge_sort_block_merge_implIS3_PtPS5_jNS1_19radix_merge_compareILb1ELb0EtNS0_19identity_decomposerEEEEE10hipError_tT0_T1_T2_jT3_P12ihipStream_tbPNSt15iterator_traitsISE_E10value_typeEPNSK_ISF_E10value_typeEPSG_NS1_7vsmem_tEENKUlT_SE_SF_SG_E_clIS8_S8_S9_S9_EESD_ST_SE_SF_SG_EUlST_E1_NS1_11comp_targetILNS1_3genE4ELNS1_11target_archE910ELNS1_3gpuE8ELNS1_3repE0EEENS1_36merge_oddeven_config_static_selectorELNS0_4arch9wavefront6targetE0EEEvSF_
; %bb.0:
	.section	.rodata,"a",@progbits
	.p2align	6, 0x0
	.amdhsa_kernel _ZN7rocprim17ROCPRIM_400000_NS6detail17trampoline_kernelINS0_14default_configENS1_38merge_sort_block_merge_config_selectorItNS0_10empty_typeEEEZZNS1_27merge_sort_block_merge_implIS3_PtPS5_jNS1_19radix_merge_compareILb1ELb0EtNS0_19identity_decomposerEEEEE10hipError_tT0_T1_T2_jT3_P12ihipStream_tbPNSt15iterator_traitsISE_E10value_typeEPNSK_ISF_E10value_typeEPSG_NS1_7vsmem_tEENKUlT_SE_SF_SG_E_clIS8_S8_S9_S9_EESD_ST_SE_SF_SG_EUlST_E1_NS1_11comp_targetILNS1_3genE4ELNS1_11target_archE910ELNS1_3gpuE8ELNS1_3repE0EEENS1_36merge_oddeven_config_static_selectorELNS0_4arch9wavefront6targetE0EEEvSF_
		.amdhsa_group_segment_fixed_size 0
		.amdhsa_private_segment_fixed_size 0
		.amdhsa_kernarg_size 48
		.amdhsa_user_sgpr_count 2
		.amdhsa_user_sgpr_dispatch_ptr 0
		.amdhsa_user_sgpr_queue_ptr 0
		.amdhsa_user_sgpr_kernarg_segment_ptr 1
		.amdhsa_user_sgpr_dispatch_id 0
		.amdhsa_user_sgpr_kernarg_preload_length 0
		.amdhsa_user_sgpr_kernarg_preload_offset 0
		.amdhsa_user_sgpr_private_segment_size 0
		.amdhsa_wavefront_size32 1
		.amdhsa_uses_dynamic_stack 0
		.amdhsa_enable_private_segment 0
		.amdhsa_system_sgpr_workgroup_id_x 1
		.amdhsa_system_sgpr_workgroup_id_y 0
		.amdhsa_system_sgpr_workgroup_id_z 0
		.amdhsa_system_sgpr_workgroup_info 0
		.amdhsa_system_vgpr_workitem_id 0
		.amdhsa_next_free_vgpr 1
		.amdhsa_next_free_sgpr 1
		.amdhsa_named_barrier_count 0
		.amdhsa_reserve_vcc 0
		.amdhsa_float_round_mode_32 0
		.amdhsa_float_round_mode_16_64 0
		.amdhsa_float_denorm_mode_32 3
		.amdhsa_float_denorm_mode_16_64 3
		.amdhsa_fp16_overflow 0
		.amdhsa_memory_ordered 1
		.amdhsa_forward_progress 1
		.amdhsa_inst_pref_size 0
		.amdhsa_round_robin_scheduling 0
		.amdhsa_exception_fp_ieee_invalid_op 0
		.amdhsa_exception_fp_denorm_src 0
		.amdhsa_exception_fp_ieee_div_zero 0
		.amdhsa_exception_fp_ieee_overflow 0
		.amdhsa_exception_fp_ieee_underflow 0
		.amdhsa_exception_fp_ieee_inexact 0
		.amdhsa_exception_int_div_zero 0
	.end_amdhsa_kernel
	.section	.text._ZN7rocprim17ROCPRIM_400000_NS6detail17trampoline_kernelINS0_14default_configENS1_38merge_sort_block_merge_config_selectorItNS0_10empty_typeEEEZZNS1_27merge_sort_block_merge_implIS3_PtPS5_jNS1_19radix_merge_compareILb1ELb0EtNS0_19identity_decomposerEEEEE10hipError_tT0_T1_T2_jT3_P12ihipStream_tbPNSt15iterator_traitsISE_E10value_typeEPNSK_ISF_E10value_typeEPSG_NS1_7vsmem_tEENKUlT_SE_SF_SG_E_clIS8_S8_S9_S9_EESD_ST_SE_SF_SG_EUlST_E1_NS1_11comp_targetILNS1_3genE4ELNS1_11target_archE910ELNS1_3gpuE8ELNS1_3repE0EEENS1_36merge_oddeven_config_static_selectorELNS0_4arch9wavefront6targetE0EEEvSF_,"axG",@progbits,_ZN7rocprim17ROCPRIM_400000_NS6detail17trampoline_kernelINS0_14default_configENS1_38merge_sort_block_merge_config_selectorItNS0_10empty_typeEEEZZNS1_27merge_sort_block_merge_implIS3_PtPS5_jNS1_19radix_merge_compareILb1ELb0EtNS0_19identity_decomposerEEEEE10hipError_tT0_T1_T2_jT3_P12ihipStream_tbPNSt15iterator_traitsISE_E10value_typeEPNSK_ISF_E10value_typeEPSG_NS1_7vsmem_tEENKUlT_SE_SF_SG_E_clIS8_S8_S9_S9_EESD_ST_SE_SF_SG_EUlST_E1_NS1_11comp_targetILNS1_3genE4ELNS1_11target_archE910ELNS1_3gpuE8ELNS1_3repE0EEENS1_36merge_oddeven_config_static_selectorELNS0_4arch9wavefront6targetE0EEEvSF_,comdat
.Lfunc_end2323:
	.size	_ZN7rocprim17ROCPRIM_400000_NS6detail17trampoline_kernelINS0_14default_configENS1_38merge_sort_block_merge_config_selectorItNS0_10empty_typeEEEZZNS1_27merge_sort_block_merge_implIS3_PtPS5_jNS1_19radix_merge_compareILb1ELb0EtNS0_19identity_decomposerEEEEE10hipError_tT0_T1_T2_jT3_P12ihipStream_tbPNSt15iterator_traitsISE_E10value_typeEPNSK_ISF_E10value_typeEPSG_NS1_7vsmem_tEENKUlT_SE_SF_SG_E_clIS8_S8_S9_S9_EESD_ST_SE_SF_SG_EUlST_E1_NS1_11comp_targetILNS1_3genE4ELNS1_11target_archE910ELNS1_3gpuE8ELNS1_3repE0EEENS1_36merge_oddeven_config_static_selectorELNS0_4arch9wavefront6targetE0EEEvSF_, .Lfunc_end2323-_ZN7rocprim17ROCPRIM_400000_NS6detail17trampoline_kernelINS0_14default_configENS1_38merge_sort_block_merge_config_selectorItNS0_10empty_typeEEEZZNS1_27merge_sort_block_merge_implIS3_PtPS5_jNS1_19radix_merge_compareILb1ELb0EtNS0_19identity_decomposerEEEEE10hipError_tT0_T1_T2_jT3_P12ihipStream_tbPNSt15iterator_traitsISE_E10value_typeEPNSK_ISF_E10value_typeEPSG_NS1_7vsmem_tEENKUlT_SE_SF_SG_E_clIS8_S8_S9_S9_EESD_ST_SE_SF_SG_EUlST_E1_NS1_11comp_targetILNS1_3genE4ELNS1_11target_archE910ELNS1_3gpuE8ELNS1_3repE0EEENS1_36merge_oddeven_config_static_selectorELNS0_4arch9wavefront6targetE0EEEvSF_
                                        ; -- End function
	.set _ZN7rocprim17ROCPRIM_400000_NS6detail17trampoline_kernelINS0_14default_configENS1_38merge_sort_block_merge_config_selectorItNS0_10empty_typeEEEZZNS1_27merge_sort_block_merge_implIS3_PtPS5_jNS1_19radix_merge_compareILb1ELb0EtNS0_19identity_decomposerEEEEE10hipError_tT0_T1_T2_jT3_P12ihipStream_tbPNSt15iterator_traitsISE_E10value_typeEPNSK_ISF_E10value_typeEPSG_NS1_7vsmem_tEENKUlT_SE_SF_SG_E_clIS8_S8_S9_S9_EESD_ST_SE_SF_SG_EUlST_E1_NS1_11comp_targetILNS1_3genE4ELNS1_11target_archE910ELNS1_3gpuE8ELNS1_3repE0EEENS1_36merge_oddeven_config_static_selectorELNS0_4arch9wavefront6targetE0EEEvSF_.num_vgpr, 0
	.set _ZN7rocprim17ROCPRIM_400000_NS6detail17trampoline_kernelINS0_14default_configENS1_38merge_sort_block_merge_config_selectorItNS0_10empty_typeEEEZZNS1_27merge_sort_block_merge_implIS3_PtPS5_jNS1_19radix_merge_compareILb1ELb0EtNS0_19identity_decomposerEEEEE10hipError_tT0_T1_T2_jT3_P12ihipStream_tbPNSt15iterator_traitsISE_E10value_typeEPNSK_ISF_E10value_typeEPSG_NS1_7vsmem_tEENKUlT_SE_SF_SG_E_clIS8_S8_S9_S9_EESD_ST_SE_SF_SG_EUlST_E1_NS1_11comp_targetILNS1_3genE4ELNS1_11target_archE910ELNS1_3gpuE8ELNS1_3repE0EEENS1_36merge_oddeven_config_static_selectorELNS0_4arch9wavefront6targetE0EEEvSF_.num_agpr, 0
	.set _ZN7rocprim17ROCPRIM_400000_NS6detail17trampoline_kernelINS0_14default_configENS1_38merge_sort_block_merge_config_selectorItNS0_10empty_typeEEEZZNS1_27merge_sort_block_merge_implIS3_PtPS5_jNS1_19radix_merge_compareILb1ELb0EtNS0_19identity_decomposerEEEEE10hipError_tT0_T1_T2_jT3_P12ihipStream_tbPNSt15iterator_traitsISE_E10value_typeEPNSK_ISF_E10value_typeEPSG_NS1_7vsmem_tEENKUlT_SE_SF_SG_E_clIS8_S8_S9_S9_EESD_ST_SE_SF_SG_EUlST_E1_NS1_11comp_targetILNS1_3genE4ELNS1_11target_archE910ELNS1_3gpuE8ELNS1_3repE0EEENS1_36merge_oddeven_config_static_selectorELNS0_4arch9wavefront6targetE0EEEvSF_.numbered_sgpr, 0
	.set _ZN7rocprim17ROCPRIM_400000_NS6detail17trampoline_kernelINS0_14default_configENS1_38merge_sort_block_merge_config_selectorItNS0_10empty_typeEEEZZNS1_27merge_sort_block_merge_implIS3_PtPS5_jNS1_19radix_merge_compareILb1ELb0EtNS0_19identity_decomposerEEEEE10hipError_tT0_T1_T2_jT3_P12ihipStream_tbPNSt15iterator_traitsISE_E10value_typeEPNSK_ISF_E10value_typeEPSG_NS1_7vsmem_tEENKUlT_SE_SF_SG_E_clIS8_S8_S9_S9_EESD_ST_SE_SF_SG_EUlST_E1_NS1_11comp_targetILNS1_3genE4ELNS1_11target_archE910ELNS1_3gpuE8ELNS1_3repE0EEENS1_36merge_oddeven_config_static_selectorELNS0_4arch9wavefront6targetE0EEEvSF_.num_named_barrier, 0
	.set _ZN7rocprim17ROCPRIM_400000_NS6detail17trampoline_kernelINS0_14default_configENS1_38merge_sort_block_merge_config_selectorItNS0_10empty_typeEEEZZNS1_27merge_sort_block_merge_implIS3_PtPS5_jNS1_19radix_merge_compareILb1ELb0EtNS0_19identity_decomposerEEEEE10hipError_tT0_T1_T2_jT3_P12ihipStream_tbPNSt15iterator_traitsISE_E10value_typeEPNSK_ISF_E10value_typeEPSG_NS1_7vsmem_tEENKUlT_SE_SF_SG_E_clIS8_S8_S9_S9_EESD_ST_SE_SF_SG_EUlST_E1_NS1_11comp_targetILNS1_3genE4ELNS1_11target_archE910ELNS1_3gpuE8ELNS1_3repE0EEENS1_36merge_oddeven_config_static_selectorELNS0_4arch9wavefront6targetE0EEEvSF_.private_seg_size, 0
	.set _ZN7rocprim17ROCPRIM_400000_NS6detail17trampoline_kernelINS0_14default_configENS1_38merge_sort_block_merge_config_selectorItNS0_10empty_typeEEEZZNS1_27merge_sort_block_merge_implIS3_PtPS5_jNS1_19radix_merge_compareILb1ELb0EtNS0_19identity_decomposerEEEEE10hipError_tT0_T1_T2_jT3_P12ihipStream_tbPNSt15iterator_traitsISE_E10value_typeEPNSK_ISF_E10value_typeEPSG_NS1_7vsmem_tEENKUlT_SE_SF_SG_E_clIS8_S8_S9_S9_EESD_ST_SE_SF_SG_EUlST_E1_NS1_11comp_targetILNS1_3genE4ELNS1_11target_archE910ELNS1_3gpuE8ELNS1_3repE0EEENS1_36merge_oddeven_config_static_selectorELNS0_4arch9wavefront6targetE0EEEvSF_.uses_vcc, 0
	.set _ZN7rocprim17ROCPRIM_400000_NS6detail17trampoline_kernelINS0_14default_configENS1_38merge_sort_block_merge_config_selectorItNS0_10empty_typeEEEZZNS1_27merge_sort_block_merge_implIS3_PtPS5_jNS1_19radix_merge_compareILb1ELb0EtNS0_19identity_decomposerEEEEE10hipError_tT0_T1_T2_jT3_P12ihipStream_tbPNSt15iterator_traitsISE_E10value_typeEPNSK_ISF_E10value_typeEPSG_NS1_7vsmem_tEENKUlT_SE_SF_SG_E_clIS8_S8_S9_S9_EESD_ST_SE_SF_SG_EUlST_E1_NS1_11comp_targetILNS1_3genE4ELNS1_11target_archE910ELNS1_3gpuE8ELNS1_3repE0EEENS1_36merge_oddeven_config_static_selectorELNS0_4arch9wavefront6targetE0EEEvSF_.uses_flat_scratch, 0
	.set _ZN7rocprim17ROCPRIM_400000_NS6detail17trampoline_kernelINS0_14default_configENS1_38merge_sort_block_merge_config_selectorItNS0_10empty_typeEEEZZNS1_27merge_sort_block_merge_implIS3_PtPS5_jNS1_19radix_merge_compareILb1ELb0EtNS0_19identity_decomposerEEEEE10hipError_tT0_T1_T2_jT3_P12ihipStream_tbPNSt15iterator_traitsISE_E10value_typeEPNSK_ISF_E10value_typeEPSG_NS1_7vsmem_tEENKUlT_SE_SF_SG_E_clIS8_S8_S9_S9_EESD_ST_SE_SF_SG_EUlST_E1_NS1_11comp_targetILNS1_3genE4ELNS1_11target_archE910ELNS1_3gpuE8ELNS1_3repE0EEENS1_36merge_oddeven_config_static_selectorELNS0_4arch9wavefront6targetE0EEEvSF_.has_dyn_sized_stack, 0
	.set _ZN7rocprim17ROCPRIM_400000_NS6detail17trampoline_kernelINS0_14default_configENS1_38merge_sort_block_merge_config_selectorItNS0_10empty_typeEEEZZNS1_27merge_sort_block_merge_implIS3_PtPS5_jNS1_19radix_merge_compareILb1ELb0EtNS0_19identity_decomposerEEEEE10hipError_tT0_T1_T2_jT3_P12ihipStream_tbPNSt15iterator_traitsISE_E10value_typeEPNSK_ISF_E10value_typeEPSG_NS1_7vsmem_tEENKUlT_SE_SF_SG_E_clIS8_S8_S9_S9_EESD_ST_SE_SF_SG_EUlST_E1_NS1_11comp_targetILNS1_3genE4ELNS1_11target_archE910ELNS1_3gpuE8ELNS1_3repE0EEENS1_36merge_oddeven_config_static_selectorELNS0_4arch9wavefront6targetE0EEEvSF_.has_recursion, 0
	.set _ZN7rocprim17ROCPRIM_400000_NS6detail17trampoline_kernelINS0_14default_configENS1_38merge_sort_block_merge_config_selectorItNS0_10empty_typeEEEZZNS1_27merge_sort_block_merge_implIS3_PtPS5_jNS1_19radix_merge_compareILb1ELb0EtNS0_19identity_decomposerEEEEE10hipError_tT0_T1_T2_jT3_P12ihipStream_tbPNSt15iterator_traitsISE_E10value_typeEPNSK_ISF_E10value_typeEPSG_NS1_7vsmem_tEENKUlT_SE_SF_SG_E_clIS8_S8_S9_S9_EESD_ST_SE_SF_SG_EUlST_E1_NS1_11comp_targetILNS1_3genE4ELNS1_11target_archE910ELNS1_3gpuE8ELNS1_3repE0EEENS1_36merge_oddeven_config_static_selectorELNS0_4arch9wavefront6targetE0EEEvSF_.has_indirect_call, 0
	.section	.AMDGPU.csdata,"",@progbits
; Kernel info:
; codeLenInByte = 0
; TotalNumSgprs: 0
; NumVgprs: 0
; ScratchSize: 0
; MemoryBound: 0
; FloatMode: 240
; IeeeMode: 1
; LDSByteSize: 0 bytes/workgroup (compile time only)
; SGPRBlocks: 0
; VGPRBlocks: 0
; NumSGPRsForWavesPerEU: 1
; NumVGPRsForWavesPerEU: 1
; NamedBarCnt: 0
; Occupancy: 16
; WaveLimiterHint : 0
; COMPUTE_PGM_RSRC2:SCRATCH_EN: 0
; COMPUTE_PGM_RSRC2:USER_SGPR: 2
; COMPUTE_PGM_RSRC2:TRAP_HANDLER: 0
; COMPUTE_PGM_RSRC2:TGID_X_EN: 1
; COMPUTE_PGM_RSRC2:TGID_Y_EN: 0
; COMPUTE_PGM_RSRC2:TGID_Z_EN: 0
; COMPUTE_PGM_RSRC2:TIDIG_COMP_CNT: 0
	.section	.text._ZN7rocprim17ROCPRIM_400000_NS6detail17trampoline_kernelINS0_14default_configENS1_38merge_sort_block_merge_config_selectorItNS0_10empty_typeEEEZZNS1_27merge_sort_block_merge_implIS3_PtPS5_jNS1_19radix_merge_compareILb1ELb0EtNS0_19identity_decomposerEEEEE10hipError_tT0_T1_T2_jT3_P12ihipStream_tbPNSt15iterator_traitsISE_E10value_typeEPNSK_ISF_E10value_typeEPSG_NS1_7vsmem_tEENKUlT_SE_SF_SG_E_clIS8_S8_S9_S9_EESD_ST_SE_SF_SG_EUlST_E1_NS1_11comp_targetILNS1_3genE3ELNS1_11target_archE908ELNS1_3gpuE7ELNS1_3repE0EEENS1_36merge_oddeven_config_static_selectorELNS0_4arch9wavefront6targetE0EEEvSF_,"axG",@progbits,_ZN7rocprim17ROCPRIM_400000_NS6detail17trampoline_kernelINS0_14default_configENS1_38merge_sort_block_merge_config_selectorItNS0_10empty_typeEEEZZNS1_27merge_sort_block_merge_implIS3_PtPS5_jNS1_19radix_merge_compareILb1ELb0EtNS0_19identity_decomposerEEEEE10hipError_tT0_T1_T2_jT3_P12ihipStream_tbPNSt15iterator_traitsISE_E10value_typeEPNSK_ISF_E10value_typeEPSG_NS1_7vsmem_tEENKUlT_SE_SF_SG_E_clIS8_S8_S9_S9_EESD_ST_SE_SF_SG_EUlST_E1_NS1_11comp_targetILNS1_3genE3ELNS1_11target_archE908ELNS1_3gpuE7ELNS1_3repE0EEENS1_36merge_oddeven_config_static_selectorELNS0_4arch9wavefront6targetE0EEEvSF_,comdat
	.protected	_ZN7rocprim17ROCPRIM_400000_NS6detail17trampoline_kernelINS0_14default_configENS1_38merge_sort_block_merge_config_selectorItNS0_10empty_typeEEEZZNS1_27merge_sort_block_merge_implIS3_PtPS5_jNS1_19radix_merge_compareILb1ELb0EtNS0_19identity_decomposerEEEEE10hipError_tT0_T1_T2_jT3_P12ihipStream_tbPNSt15iterator_traitsISE_E10value_typeEPNSK_ISF_E10value_typeEPSG_NS1_7vsmem_tEENKUlT_SE_SF_SG_E_clIS8_S8_S9_S9_EESD_ST_SE_SF_SG_EUlST_E1_NS1_11comp_targetILNS1_3genE3ELNS1_11target_archE908ELNS1_3gpuE7ELNS1_3repE0EEENS1_36merge_oddeven_config_static_selectorELNS0_4arch9wavefront6targetE0EEEvSF_ ; -- Begin function _ZN7rocprim17ROCPRIM_400000_NS6detail17trampoline_kernelINS0_14default_configENS1_38merge_sort_block_merge_config_selectorItNS0_10empty_typeEEEZZNS1_27merge_sort_block_merge_implIS3_PtPS5_jNS1_19radix_merge_compareILb1ELb0EtNS0_19identity_decomposerEEEEE10hipError_tT0_T1_T2_jT3_P12ihipStream_tbPNSt15iterator_traitsISE_E10value_typeEPNSK_ISF_E10value_typeEPSG_NS1_7vsmem_tEENKUlT_SE_SF_SG_E_clIS8_S8_S9_S9_EESD_ST_SE_SF_SG_EUlST_E1_NS1_11comp_targetILNS1_3genE3ELNS1_11target_archE908ELNS1_3gpuE7ELNS1_3repE0EEENS1_36merge_oddeven_config_static_selectorELNS0_4arch9wavefront6targetE0EEEvSF_
	.globl	_ZN7rocprim17ROCPRIM_400000_NS6detail17trampoline_kernelINS0_14default_configENS1_38merge_sort_block_merge_config_selectorItNS0_10empty_typeEEEZZNS1_27merge_sort_block_merge_implIS3_PtPS5_jNS1_19radix_merge_compareILb1ELb0EtNS0_19identity_decomposerEEEEE10hipError_tT0_T1_T2_jT3_P12ihipStream_tbPNSt15iterator_traitsISE_E10value_typeEPNSK_ISF_E10value_typeEPSG_NS1_7vsmem_tEENKUlT_SE_SF_SG_E_clIS8_S8_S9_S9_EESD_ST_SE_SF_SG_EUlST_E1_NS1_11comp_targetILNS1_3genE3ELNS1_11target_archE908ELNS1_3gpuE7ELNS1_3repE0EEENS1_36merge_oddeven_config_static_selectorELNS0_4arch9wavefront6targetE0EEEvSF_
	.p2align	8
	.type	_ZN7rocprim17ROCPRIM_400000_NS6detail17trampoline_kernelINS0_14default_configENS1_38merge_sort_block_merge_config_selectorItNS0_10empty_typeEEEZZNS1_27merge_sort_block_merge_implIS3_PtPS5_jNS1_19radix_merge_compareILb1ELb0EtNS0_19identity_decomposerEEEEE10hipError_tT0_T1_T2_jT3_P12ihipStream_tbPNSt15iterator_traitsISE_E10value_typeEPNSK_ISF_E10value_typeEPSG_NS1_7vsmem_tEENKUlT_SE_SF_SG_E_clIS8_S8_S9_S9_EESD_ST_SE_SF_SG_EUlST_E1_NS1_11comp_targetILNS1_3genE3ELNS1_11target_archE908ELNS1_3gpuE7ELNS1_3repE0EEENS1_36merge_oddeven_config_static_selectorELNS0_4arch9wavefront6targetE0EEEvSF_,@function
_ZN7rocprim17ROCPRIM_400000_NS6detail17trampoline_kernelINS0_14default_configENS1_38merge_sort_block_merge_config_selectorItNS0_10empty_typeEEEZZNS1_27merge_sort_block_merge_implIS3_PtPS5_jNS1_19radix_merge_compareILb1ELb0EtNS0_19identity_decomposerEEEEE10hipError_tT0_T1_T2_jT3_P12ihipStream_tbPNSt15iterator_traitsISE_E10value_typeEPNSK_ISF_E10value_typeEPSG_NS1_7vsmem_tEENKUlT_SE_SF_SG_E_clIS8_S8_S9_S9_EESD_ST_SE_SF_SG_EUlST_E1_NS1_11comp_targetILNS1_3genE3ELNS1_11target_archE908ELNS1_3gpuE7ELNS1_3repE0EEENS1_36merge_oddeven_config_static_selectorELNS0_4arch9wavefront6targetE0EEEvSF_: ; @_ZN7rocprim17ROCPRIM_400000_NS6detail17trampoline_kernelINS0_14default_configENS1_38merge_sort_block_merge_config_selectorItNS0_10empty_typeEEEZZNS1_27merge_sort_block_merge_implIS3_PtPS5_jNS1_19radix_merge_compareILb1ELb0EtNS0_19identity_decomposerEEEEE10hipError_tT0_T1_T2_jT3_P12ihipStream_tbPNSt15iterator_traitsISE_E10value_typeEPNSK_ISF_E10value_typeEPSG_NS1_7vsmem_tEENKUlT_SE_SF_SG_E_clIS8_S8_S9_S9_EESD_ST_SE_SF_SG_EUlST_E1_NS1_11comp_targetILNS1_3genE3ELNS1_11target_archE908ELNS1_3gpuE7ELNS1_3repE0EEENS1_36merge_oddeven_config_static_selectorELNS0_4arch9wavefront6targetE0EEEvSF_
; %bb.0:
	.section	.rodata,"a",@progbits
	.p2align	6, 0x0
	.amdhsa_kernel _ZN7rocprim17ROCPRIM_400000_NS6detail17trampoline_kernelINS0_14default_configENS1_38merge_sort_block_merge_config_selectorItNS0_10empty_typeEEEZZNS1_27merge_sort_block_merge_implIS3_PtPS5_jNS1_19radix_merge_compareILb1ELb0EtNS0_19identity_decomposerEEEEE10hipError_tT0_T1_T2_jT3_P12ihipStream_tbPNSt15iterator_traitsISE_E10value_typeEPNSK_ISF_E10value_typeEPSG_NS1_7vsmem_tEENKUlT_SE_SF_SG_E_clIS8_S8_S9_S9_EESD_ST_SE_SF_SG_EUlST_E1_NS1_11comp_targetILNS1_3genE3ELNS1_11target_archE908ELNS1_3gpuE7ELNS1_3repE0EEENS1_36merge_oddeven_config_static_selectorELNS0_4arch9wavefront6targetE0EEEvSF_
		.amdhsa_group_segment_fixed_size 0
		.amdhsa_private_segment_fixed_size 0
		.amdhsa_kernarg_size 48
		.amdhsa_user_sgpr_count 2
		.amdhsa_user_sgpr_dispatch_ptr 0
		.amdhsa_user_sgpr_queue_ptr 0
		.amdhsa_user_sgpr_kernarg_segment_ptr 1
		.amdhsa_user_sgpr_dispatch_id 0
		.amdhsa_user_sgpr_kernarg_preload_length 0
		.amdhsa_user_sgpr_kernarg_preload_offset 0
		.amdhsa_user_sgpr_private_segment_size 0
		.amdhsa_wavefront_size32 1
		.amdhsa_uses_dynamic_stack 0
		.amdhsa_enable_private_segment 0
		.amdhsa_system_sgpr_workgroup_id_x 1
		.amdhsa_system_sgpr_workgroup_id_y 0
		.amdhsa_system_sgpr_workgroup_id_z 0
		.amdhsa_system_sgpr_workgroup_info 0
		.amdhsa_system_vgpr_workitem_id 0
		.amdhsa_next_free_vgpr 1
		.amdhsa_next_free_sgpr 1
		.amdhsa_named_barrier_count 0
		.amdhsa_reserve_vcc 0
		.amdhsa_float_round_mode_32 0
		.amdhsa_float_round_mode_16_64 0
		.amdhsa_float_denorm_mode_32 3
		.amdhsa_float_denorm_mode_16_64 3
		.amdhsa_fp16_overflow 0
		.amdhsa_memory_ordered 1
		.amdhsa_forward_progress 1
		.amdhsa_inst_pref_size 0
		.amdhsa_round_robin_scheduling 0
		.amdhsa_exception_fp_ieee_invalid_op 0
		.amdhsa_exception_fp_denorm_src 0
		.amdhsa_exception_fp_ieee_div_zero 0
		.amdhsa_exception_fp_ieee_overflow 0
		.amdhsa_exception_fp_ieee_underflow 0
		.amdhsa_exception_fp_ieee_inexact 0
		.amdhsa_exception_int_div_zero 0
	.end_amdhsa_kernel
	.section	.text._ZN7rocprim17ROCPRIM_400000_NS6detail17trampoline_kernelINS0_14default_configENS1_38merge_sort_block_merge_config_selectorItNS0_10empty_typeEEEZZNS1_27merge_sort_block_merge_implIS3_PtPS5_jNS1_19radix_merge_compareILb1ELb0EtNS0_19identity_decomposerEEEEE10hipError_tT0_T1_T2_jT3_P12ihipStream_tbPNSt15iterator_traitsISE_E10value_typeEPNSK_ISF_E10value_typeEPSG_NS1_7vsmem_tEENKUlT_SE_SF_SG_E_clIS8_S8_S9_S9_EESD_ST_SE_SF_SG_EUlST_E1_NS1_11comp_targetILNS1_3genE3ELNS1_11target_archE908ELNS1_3gpuE7ELNS1_3repE0EEENS1_36merge_oddeven_config_static_selectorELNS0_4arch9wavefront6targetE0EEEvSF_,"axG",@progbits,_ZN7rocprim17ROCPRIM_400000_NS6detail17trampoline_kernelINS0_14default_configENS1_38merge_sort_block_merge_config_selectorItNS0_10empty_typeEEEZZNS1_27merge_sort_block_merge_implIS3_PtPS5_jNS1_19radix_merge_compareILb1ELb0EtNS0_19identity_decomposerEEEEE10hipError_tT0_T1_T2_jT3_P12ihipStream_tbPNSt15iterator_traitsISE_E10value_typeEPNSK_ISF_E10value_typeEPSG_NS1_7vsmem_tEENKUlT_SE_SF_SG_E_clIS8_S8_S9_S9_EESD_ST_SE_SF_SG_EUlST_E1_NS1_11comp_targetILNS1_3genE3ELNS1_11target_archE908ELNS1_3gpuE7ELNS1_3repE0EEENS1_36merge_oddeven_config_static_selectorELNS0_4arch9wavefront6targetE0EEEvSF_,comdat
.Lfunc_end2324:
	.size	_ZN7rocprim17ROCPRIM_400000_NS6detail17trampoline_kernelINS0_14default_configENS1_38merge_sort_block_merge_config_selectorItNS0_10empty_typeEEEZZNS1_27merge_sort_block_merge_implIS3_PtPS5_jNS1_19radix_merge_compareILb1ELb0EtNS0_19identity_decomposerEEEEE10hipError_tT0_T1_T2_jT3_P12ihipStream_tbPNSt15iterator_traitsISE_E10value_typeEPNSK_ISF_E10value_typeEPSG_NS1_7vsmem_tEENKUlT_SE_SF_SG_E_clIS8_S8_S9_S9_EESD_ST_SE_SF_SG_EUlST_E1_NS1_11comp_targetILNS1_3genE3ELNS1_11target_archE908ELNS1_3gpuE7ELNS1_3repE0EEENS1_36merge_oddeven_config_static_selectorELNS0_4arch9wavefront6targetE0EEEvSF_, .Lfunc_end2324-_ZN7rocprim17ROCPRIM_400000_NS6detail17trampoline_kernelINS0_14default_configENS1_38merge_sort_block_merge_config_selectorItNS0_10empty_typeEEEZZNS1_27merge_sort_block_merge_implIS3_PtPS5_jNS1_19radix_merge_compareILb1ELb0EtNS0_19identity_decomposerEEEEE10hipError_tT0_T1_T2_jT3_P12ihipStream_tbPNSt15iterator_traitsISE_E10value_typeEPNSK_ISF_E10value_typeEPSG_NS1_7vsmem_tEENKUlT_SE_SF_SG_E_clIS8_S8_S9_S9_EESD_ST_SE_SF_SG_EUlST_E1_NS1_11comp_targetILNS1_3genE3ELNS1_11target_archE908ELNS1_3gpuE7ELNS1_3repE0EEENS1_36merge_oddeven_config_static_selectorELNS0_4arch9wavefront6targetE0EEEvSF_
                                        ; -- End function
	.set _ZN7rocprim17ROCPRIM_400000_NS6detail17trampoline_kernelINS0_14default_configENS1_38merge_sort_block_merge_config_selectorItNS0_10empty_typeEEEZZNS1_27merge_sort_block_merge_implIS3_PtPS5_jNS1_19radix_merge_compareILb1ELb0EtNS0_19identity_decomposerEEEEE10hipError_tT0_T1_T2_jT3_P12ihipStream_tbPNSt15iterator_traitsISE_E10value_typeEPNSK_ISF_E10value_typeEPSG_NS1_7vsmem_tEENKUlT_SE_SF_SG_E_clIS8_S8_S9_S9_EESD_ST_SE_SF_SG_EUlST_E1_NS1_11comp_targetILNS1_3genE3ELNS1_11target_archE908ELNS1_3gpuE7ELNS1_3repE0EEENS1_36merge_oddeven_config_static_selectorELNS0_4arch9wavefront6targetE0EEEvSF_.num_vgpr, 0
	.set _ZN7rocprim17ROCPRIM_400000_NS6detail17trampoline_kernelINS0_14default_configENS1_38merge_sort_block_merge_config_selectorItNS0_10empty_typeEEEZZNS1_27merge_sort_block_merge_implIS3_PtPS5_jNS1_19radix_merge_compareILb1ELb0EtNS0_19identity_decomposerEEEEE10hipError_tT0_T1_T2_jT3_P12ihipStream_tbPNSt15iterator_traitsISE_E10value_typeEPNSK_ISF_E10value_typeEPSG_NS1_7vsmem_tEENKUlT_SE_SF_SG_E_clIS8_S8_S9_S9_EESD_ST_SE_SF_SG_EUlST_E1_NS1_11comp_targetILNS1_3genE3ELNS1_11target_archE908ELNS1_3gpuE7ELNS1_3repE0EEENS1_36merge_oddeven_config_static_selectorELNS0_4arch9wavefront6targetE0EEEvSF_.num_agpr, 0
	.set _ZN7rocprim17ROCPRIM_400000_NS6detail17trampoline_kernelINS0_14default_configENS1_38merge_sort_block_merge_config_selectorItNS0_10empty_typeEEEZZNS1_27merge_sort_block_merge_implIS3_PtPS5_jNS1_19radix_merge_compareILb1ELb0EtNS0_19identity_decomposerEEEEE10hipError_tT0_T1_T2_jT3_P12ihipStream_tbPNSt15iterator_traitsISE_E10value_typeEPNSK_ISF_E10value_typeEPSG_NS1_7vsmem_tEENKUlT_SE_SF_SG_E_clIS8_S8_S9_S9_EESD_ST_SE_SF_SG_EUlST_E1_NS1_11comp_targetILNS1_3genE3ELNS1_11target_archE908ELNS1_3gpuE7ELNS1_3repE0EEENS1_36merge_oddeven_config_static_selectorELNS0_4arch9wavefront6targetE0EEEvSF_.numbered_sgpr, 0
	.set _ZN7rocprim17ROCPRIM_400000_NS6detail17trampoline_kernelINS0_14default_configENS1_38merge_sort_block_merge_config_selectorItNS0_10empty_typeEEEZZNS1_27merge_sort_block_merge_implIS3_PtPS5_jNS1_19radix_merge_compareILb1ELb0EtNS0_19identity_decomposerEEEEE10hipError_tT0_T1_T2_jT3_P12ihipStream_tbPNSt15iterator_traitsISE_E10value_typeEPNSK_ISF_E10value_typeEPSG_NS1_7vsmem_tEENKUlT_SE_SF_SG_E_clIS8_S8_S9_S9_EESD_ST_SE_SF_SG_EUlST_E1_NS1_11comp_targetILNS1_3genE3ELNS1_11target_archE908ELNS1_3gpuE7ELNS1_3repE0EEENS1_36merge_oddeven_config_static_selectorELNS0_4arch9wavefront6targetE0EEEvSF_.num_named_barrier, 0
	.set _ZN7rocprim17ROCPRIM_400000_NS6detail17trampoline_kernelINS0_14default_configENS1_38merge_sort_block_merge_config_selectorItNS0_10empty_typeEEEZZNS1_27merge_sort_block_merge_implIS3_PtPS5_jNS1_19radix_merge_compareILb1ELb0EtNS0_19identity_decomposerEEEEE10hipError_tT0_T1_T2_jT3_P12ihipStream_tbPNSt15iterator_traitsISE_E10value_typeEPNSK_ISF_E10value_typeEPSG_NS1_7vsmem_tEENKUlT_SE_SF_SG_E_clIS8_S8_S9_S9_EESD_ST_SE_SF_SG_EUlST_E1_NS1_11comp_targetILNS1_3genE3ELNS1_11target_archE908ELNS1_3gpuE7ELNS1_3repE0EEENS1_36merge_oddeven_config_static_selectorELNS0_4arch9wavefront6targetE0EEEvSF_.private_seg_size, 0
	.set _ZN7rocprim17ROCPRIM_400000_NS6detail17trampoline_kernelINS0_14default_configENS1_38merge_sort_block_merge_config_selectorItNS0_10empty_typeEEEZZNS1_27merge_sort_block_merge_implIS3_PtPS5_jNS1_19radix_merge_compareILb1ELb0EtNS0_19identity_decomposerEEEEE10hipError_tT0_T1_T2_jT3_P12ihipStream_tbPNSt15iterator_traitsISE_E10value_typeEPNSK_ISF_E10value_typeEPSG_NS1_7vsmem_tEENKUlT_SE_SF_SG_E_clIS8_S8_S9_S9_EESD_ST_SE_SF_SG_EUlST_E1_NS1_11comp_targetILNS1_3genE3ELNS1_11target_archE908ELNS1_3gpuE7ELNS1_3repE0EEENS1_36merge_oddeven_config_static_selectorELNS0_4arch9wavefront6targetE0EEEvSF_.uses_vcc, 0
	.set _ZN7rocprim17ROCPRIM_400000_NS6detail17trampoline_kernelINS0_14default_configENS1_38merge_sort_block_merge_config_selectorItNS0_10empty_typeEEEZZNS1_27merge_sort_block_merge_implIS3_PtPS5_jNS1_19radix_merge_compareILb1ELb0EtNS0_19identity_decomposerEEEEE10hipError_tT0_T1_T2_jT3_P12ihipStream_tbPNSt15iterator_traitsISE_E10value_typeEPNSK_ISF_E10value_typeEPSG_NS1_7vsmem_tEENKUlT_SE_SF_SG_E_clIS8_S8_S9_S9_EESD_ST_SE_SF_SG_EUlST_E1_NS1_11comp_targetILNS1_3genE3ELNS1_11target_archE908ELNS1_3gpuE7ELNS1_3repE0EEENS1_36merge_oddeven_config_static_selectorELNS0_4arch9wavefront6targetE0EEEvSF_.uses_flat_scratch, 0
	.set _ZN7rocprim17ROCPRIM_400000_NS6detail17trampoline_kernelINS0_14default_configENS1_38merge_sort_block_merge_config_selectorItNS0_10empty_typeEEEZZNS1_27merge_sort_block_merge_implIS3_PtPS5_jNS1_19radix_merge_compareILb1ELb0EtNS0_19identity_decomposerEEEEE10hipError_tT0_T1_T2_jT3_P12ihipStream_tbPNSt15iterator_traitsISE_E10value_typeEPNSK_ISF_E10value_typeEPSG_NS1_7vsmem_tEENKUlT_SE_SF_SG_E_clIS8_S8_S9_S9_EESD_ST_SE_SF_SG_EUlST_E1_NS1_11comp_targetILNS1_3genE3ELNS1_11target_archE908ELNS1_3gpuE7ELNS1_3repE0EEENS1_36merge_oddeven_config_static_selectorELNS0_4arch9wavefront6targetE0EEEvSF_.has_dyn_sized_stack, 0
	.set _ZN7rocprim17ROCPRIM_400000_NS6detail17trampoline_kernelINS0_14default_configENS1_38merge_sort_block_merge_config_selectorItNS0_10empty_typeEEEZZNS1_27merge_sort_block_merge_implIS3_PtPS5_jNS1_19radix_merge_compareILb1ELb0EtNS0_19identity_decomposerEEEEE10hipError_tT0_T1_T2_jT3_P12ihipStream_tbPNSt15iterator_traitsISE_E10value_typeEPNSK_ISF_E10value_typeEPSG_NS1_7vsmem_tEENKUlT_SE_SF_SG_E_clIS8_S8_S9_S9_EESD_ST_SE_SF_SG_EUlST_E1_NS1_11comp_targetILNS1_3genE3ELNS1_11target_archE908ELNS1_3gpuE7ELNS1_3repE0EEENS1_36merge_oddeven_config_static_selectorELNS0_4arch9wavefront6targetE0EEEvSF_.has_recursion, 0
	.set _ZN7rocprim17ROCPRIM_400000_NS6detail17trampoline_kernelINS0_14default_configENS1_38merge_sort_block_merge_config_selectorItNS0_10empty_typeEEEZZNS1_27merge_sort_block_merge_implIS3_PtPS5_jNS1_19radix_merge_compareILb1ELb0EtNS0_19identity_decomposerEEEEE10hipError_tT0_T1_T2_jT3_P12ihipStream_tbPNSt15iterator_traitsISE_E10value_typeEPNSK_ISF_E10value_typeEPSG_NS1_7vsmem_tEENKUlT_SE_SF_SG_E_clIS8_S8_S9_S9_EESD_ST_SE_SF_SG_EUlST_E1_NS1_11comp_targetILNS1_3genE3ELNS1_11target_archE908ELNS1_3gpuE7ELNS1_3repE0EEENS1_36merge_oddeven_config_static_selectorELNS0_4arch9wavefront6targetE0EEEvSF_.has_indirect_call, 0
	.section	.AMDGPU.csdata,"",@progbits
; Kernel info:
; codeLenInByte = 0
; TotalNumSgprs: 0
; NumVgprs: 0
; ScratchSize: 0
; MemoryBound: 0
; FloatMode: 240
; IeeeMode: 1
; LDSByteSize: 0 bytes/workgroup (compile time only)
; SGPRBlocks: 0
; VGPRBlocks: 0
; NumSGPRsForWavesPerEU: 1
; NumVGPRsForWavesPerEU: 1
; NamedBarCnt: 0
; Occupancy: 16
; WaveLimiterHint : 0
; COMPUTE_PGM_RSRC2:SCRATCH_EN: 0
; COMPUTE_PGM_RSRC2:USER_SGPR: 2
; COMPUTE_PGM_RSRC2:TRAP_HANDLER: 0
; COMPUTE_PGM_RSRC2:TGID_X_EN: 1
; COMPUTE_PGM_RSRC2:TGID_Y_EN: 0
; COMPUTE_PGM_RSRC2:TGID_Z_EN: 0
; COMPUTE_PGM_RSRC2:TIDIG_COMP_CNT: 0
	.section	.text._ZN7rocprim17ROCPRIM_400000_NS6detail17trampoline_kernelINS0_14default_configENS1_38merge_sort_block_merge_config_selectorItNS0_10empty_typeEEEZZNS1_27merge_sort_block_merge_implIS3_PtPS5_jNS1_19radix_merge_compareILb1ELb0EtNS0_19identity_decomposerEEEEE10hipError_tT0_T1_T2_jT3_P12ihipStream_tbPNSt15iterator_traitsISE_E10value_typeEPNSK_ISF_E10value_typeEPSG_NS1_7vsmem_tEENKUlT_SE_SF_SG_E_clIS8_S8_S9_S9_EESD_ST_SE_SF_SG_EUlST_E1_NS1_11comp_targetILNS1_3genE2ELNS1_11target_archE906ELNS1_3gpuE6ELNS1_3repE0EEENS1_36merge_oddeven_config_static_selectorELNS0_4arch9wavefront6targetE0EEEvSF_,"axG",@progbits,_ZN7rocprim17ROCPRIM_400000_NS6detail17trampoline_kernelINS0_14default_configENS1_38merge_sort_block_merge_config_selectorItNS0_10empty_typeEEEZZNS1_27merge_sort_block_merge_implIS3_PtPS5_jNS1_19radix_merge_compareILb1ELb0EtNS0_19identity_decomposerEEEEE10hipError_tT0_T1_T2_jT3_P12ihipStream_tbPNSt15iterator_traitsISE_E10value_typeEPNSK_ISF_E10value_typeEPSG_NS1_7vsmem_tEENKUlT_SE_SF_SG_E_clIS8_S8_S9_S9_EESD_ST_SE_SF_SG_EUlST_E1_NS1_11comp_targetILNS1_3genE2ELNS1_11target_archE906ELNS1_3gpuE6ELNS1_3repE0EEENS1_36merge_oddeven_config_static_selectorELNS0_4arch9wavefront6targetE0EEEvSF_,comdat
	.protected	_ZN7rocprim17ROCPRIM_400000_NS6detail17trampoline_kernelINS0_14default_configENS1_38merge_sort_block_merge_config_selectorItNS0_10empty_typeEEEZZNS1_27merge_sort_block_merge_implIS3_PtPS5_jNS1_19radix_merge_compareILb1ELb0EtNS0_19identity_decomposerEEEEE10hipError_tT0_T1_T2_jT3_P12ihipStream_tbPNSt15iterator_traitsISE_E10value_typeEPNSK_ISF_E10value_typeEPSG_NS1_7vsmem_tEENKUlT_SE_SF_SG_E_clIS8_S8_S9_S9_EESD_ST_SE_SF_SG_EUlST_E1_NS1_11comp_targetILNS1_3genE2ELNS1_11target_archE906ELNS1_3gpuE6ELNS1_3repE0EEENS1_36merge_oddeven_config_static_selectorELNS0_4arch9wavefront6targetE0EEEvSF_ ; -- Begin function _ZN7rocprim17ROCPRIM_400000_NS6detail17trampoline_kernelINS0_14default_configENS1_38merge_sort_block_merge_config_selectorItNS0_10empty_typeEEEZZNS1_27merge_sort_block_merge_implIS3_PtPS5_jNS1_19radix_merge_compareILb1ELb0EtNS0_19identity_decomposerEEEEE10hipError_tT0_T1_T2_jT3_P12ihipStream_tbPNSt15iterator_traitsISE_E10value_typeEPNSK_ISF_E10value_typeEPSG_NS1_7vsmem_tEENKUlT_SE_SF_SG_E_clIS8_S8_S9_S9_EESD_ST_SE_SF_SG_EUlST_E1_NS1_11comp_targetILNS1_3genE2ELNS1_11target_archE906ELNS1_3gpuE6ELNS1_3repE0EEENS1_36merge_oddeven_config_static_selectorELNS0_4arch9wavefront6targetE0EEEvSF_
	.globl	_ZN7rocprim17ROCPRIM_400000_NS6detail17trampoline_kernelINS0_14default_configENS1_38merge_sort_block_merge_config_selectorItNS0_10empty_typeEEEZZNS1_27merge_sort_block_merge_implIS3_PtPS5_jNS1_19radix_merge_compareILb1ELb0EtNS0_19identity_decomposerEEEEE10hipError_tT0_T1_T2_jT3_P12ihipStream_tbPNSt15iterator_traitsISE_E10value_typeEPNSK_ISF_E10value_typeEPSG_NS1_7vsmem_tEENKUlT_SE_SF_SG_E_clIS8_S8_S9_S9_EESD_ST_SE_SF_SG_EUlST_E1_NS1_11comp_targetILNS1_3genE2ELNS1_11target_archE906ELNS1_3gpuE6ELNS1_3repE0EEENS1_36merge_oddeven_config_static_selectorELNS0_4arch9wavefront6targetE0EEEvSF_
	.p2align	8
	.type	_ZN7rocprim17ROCPRIM_400000_NS6detail17trampoline_kernelINS0_14default_configENS1_38merge_sort_block_merge_config_selectorItNS0_10empty_typeEEEZZNS1_27merge_sort_block_merge_implIS3_PtPS5_jNS1_19radix_merge_compareILb1ELb0EtNS0_19identity_decomposerEEEEE10hipError_tT0_T1_T2_jT3_P12ihipStream_tbPNSt15iterator_traitsISE_E10value_typeEPNSK_ISF_E10value_typeEPSG_NS1_7vsmem_tEENKUlT_SE_SF_SG_E_clIS8_S8_S9_S9_EESD_ST_SE_SF_SG_EUlST_E1_NS1_11comp_targetILNS1_3genE2ELNS1_11target_archE906ELNS1_3gpuE6ELNS1_3repE0EEENS1_36merge_oddeven_config_static_selectorELNS0_4arch9wavefront6targetE0EEEvSF_,@function
_ZN7rocprim17ROCPRIM_400000_NS6detail17trampoline_kernelINS0_14default_configENS1_38merge_sort_block_merge_config_selectorItNS0_10empty_typeEEEZZNS1_27merge_sort_block_merge_implIS3_PtPS5_jNS1_19radix_merge_compareILb1ELb0EtNS0_19identity_decomposerEEEEE10hipError_tT0_T1_T2_jT3_P12ihipStream_tbPNSt15iterator_traitsISE_E10value_typeEPNSK_ISF_E10value_typeEPSG_NS1_7vsmem_tEENKUlT_SE_SF_SG_E_clIS8_S8_S9_S9_EESD_ST_SE_SF_SG_EUlST_E1_NS1_11comp_targetILNS1_3genE2ELNS1_11target_archE906ELNS1_3gpuE6ELNS1_3repE0EEENS1_36merge_oddeven_config_static_selectorELNS0_4arch9wavefront6targetE0EEEvSF_: ; @_ZN7rocprim17ROCPRIM_400000_NS6detail17trampoline_kernelINS0_14default_configENS1_38merge_sort_block_merge_config_selectorItNS0_10empty_typeEEEZZNS1_27merge_sort_block_merge_implIS3_PtPS5_jNS1_19radix_merge_compareILb1ELb0EtNS0_19identity_decomposerEEEEE10hipError_tT0_T1_T2_jT3_P12ihipStream_tbPNSt15iterator_traitsISE_E10value_typeEPNSK_ISF_E10value_typeEPSG_NS1_7vsmem_tEENKUlT_SE_SF_SG_E_clIS8_S8_S9_S9_EESD_ST_SE_SF_SG_EUlST_E1_NS1_11comp_targetILNS1_3genE2ELNS1_11target_archE906ELNS1_3gpuE6ELNS1_3repE0EEENS1_36merge_oddeven_config_static_selectorELNS0_4arch9wavefront6targetE0EEEvSF_
; %bb.0:
	.section	.rodata,"a",@progbits
	.p2align	6, 0x0
	.amdhsa_kernel _ZN7rocprim17ROCPRIM_400000_NS6detail17trampoline_kernelINS0_14default_configENS1_38merge_sort_block_merge_config_selectorItNS0_10empty_typeEEEZZNS1_27merge_sort_block_merge_implIS3_PtPS5_jNS1_19radix_merge_compareILb1ELb0EtNS0_19identity_decomposerEEEEE10hipError_tT0_T1_T2_jT3_P12ihipStream_tbPNSt15iterator_traitsISE_E10value_typeEPNSK_ISF_E10value_typeEPSG_NS1_7vsmem_tEENKUlT_SE_SF_SG_E_clIS8_S8_S9_S9_EESD_ST_SE_SF_SG_EUlST_E1_NS1_11comp_targetILNS1_3genE2ELNS1_11target_archE906ELNS1_3gpuE6ELNS1_3repE0EEENS1_36merge_oddeven_config_static_selectorELNS0_4arch9wavefront6targetE0EEEvSF_
		.amdhsa_group_segment_fixed_size 0
		.amdhsa_private_segment_fixed_size 0
		.amdhsa_kernarg_size 48
		.amdhsa_user_sgpr_count 2
		.amdhsa_user_sgpr_dispatch_ptr 0
		.amdhsa_user_sgpr_queue_ptr 0
		.amdhsa_user_sgpr_kernarg_segment_ptr 1
		.amdhsa_user_sgpr_dispatch_id 0
		.amdhsa_user_sgpr_kernarg_preload_length 0
		.amdhsa_user_sgpr_kernarg_preload_offset 0
		.amdhsa_user_sgpr_private_segment_size 0
		.amdhsa_wavefront_size32 1
		.amdhsa_uses_dynamic_stack 0
		.amdhsa_enable_private_segment 0
		.amdhsa_system_sgpr_workgroup_id_x 1
		.amdhsa_system_sgpr_workgroup_id_y 0
		.amdhsa_system_sgpr_workgroup_id_z 0
		.amdhsa_system_sgpr_workgroup_info 0
		.amdhsa_system_vgpr_workitem_id 0
		.amdhsa_next_free_vgpr 1
		.amdhsa_next_free_sgpr 1
		.amdhsa_named_barrier_count 0
		.amdhsa_reserve_vcc 0
		.amdhsa_float_round_mode_32 0
		.amdhsa_float_round_mode_16_64 0
		.amdhsa_float_denorm_mode_32 3
		.amdhsa_float_denorm_mode_16_64 3
		.amdhsa_fp16_overflow 0
		.amdhsa_memory_ordered 1
		.amdhsa_forward_progress 1
		.amdhsa_inst_pref_size 0
		.amdhsa_round_robin_scheduling 0
		.amdhsa_exception_fp_ieee_invalid_op 0
		.amdhsa_exception_fp_denorm_src 0
		.amdhsa_exception_fp_ieee_div_zero 0
		.amdhsa_exception_fp_ieee_overflow 0
		.amdhsa_exception_fp_ieee_underflow 0
		.amdhsa_exception_fp_ieee_inexact 0
		.amdhsa_exception_int_div_zero 0
	.end_amdhsa_kernel
	.section	.text._ZN7rocprim17ROCPRIM_400000_NS6detail17trampoline_kernelINS0_14default_configENS1_38merge_sort_block_merge_config_selectorItNS0_10empty_typeEEEZZNS1_27merge_sort_block_merge_implIS3_PtPS5_jNS1_19radix_merge_compareILb1ELb0EtNS0_19identity_decomposerEEEEE10hipError_tT0_T1_T2_jT3_P12ihipStream_tbPNSt15iterator_traitsISE_E10value_typeEPNSK_ISF_E10value_typeEPSG_NS1_7vsmem_tEENKUlT_SE_SF_SG_E_clIS8_S8_S9_S9_EESD_ST_SE_SF_SG_EUlST_E1_NS1_11comp_targetILNS1_3genE2ELNS1_11target_archE906ELNS1_3gpuE6ELNS1_3repE0EEENS1_36merge_oddeven_config_static_selectorELNS0_4arch9wavefront6targetE0EEEvSF_,"axG",@progbits,_ZN7rocprim17ROCPRIM_400000_NS6detail17trampoline_kernelINS0_14default_configENS1_38merge_sort_block_merge_config_selectorItNS0_10empty_typeEEEZZNS1_27merge_sort_block_merge_implIS3_PtPS5_jNS1_19radix_merge_compareILb1ELb0EtNS0_19identity_decomposerEEEEE10hipError_tT0_T1_T2_jT3_P12ihipStream_tbPNSt15iterator_traitsISE_E10value_typeEPNSK_ISF_E10value_typeEPSG_NS1_7vsmem_tEENKUlT_SE_SF_SG_E_clIS8_S8_S9_S9_EESD_ST_SE_SF_SG_EUlST_E1_NS1_11comp_targetILNS1_3genE2ELNS1_11target_archE906ELNS1_3gpuE6ELNS1_3repE0EEENS1_36merge_oddeven_config_static_selectorELNS0_4arch9wavefront6targetE0EEEvSF_,comdat
.Lfunc_end2325:
	.size	_ZN7rocprim17ROCPRIM_400000_NS6detail17trampoline_kernelINS0_14default_configENS1_38merge_sort_block_merge_config_selectorItNS0_10empty_typeEEEZZNS1_27merge_sort_block_merge_implIS3_PtPS5_jNS1_19radix_merge_compareILb1ELb0EtNS0_19identity_decomposerEEEEE10hipError_tT0_T1_T2_jT3_P12ihipStream_tbPNSt15iterator_traitsISE_E10value_typeEPNSK_ISF_E10value_typeEPSG_NS1_7vsmem_tEENKUlT_SE_SF_SG_E_clIS8_S8_S9_S9_EESD_ST_SE_SF_SG_EUlST_E1_NS1_11comp_targetILNS1_3genE2ELNS1_11target_archE906ELNS1_3gpuE6ELNS1_3repE0EEENS1_36merge_oddeven_config_static_selectorELNS0_4arch9wavefront6targetE0EEEvSF_, .Lfunc_end2325-_ZN7rocprim17ROCPRIM_400000_NS6detail17trampoline_kernelINS0_14default_configENS1_38merge_sort_block_merge_config_selectorItNS0_10empty_typeEEEZZNS1_27merge_sort_block_merge_implIS3_PtPS5_jNS1_19radix_merge_compareILb1ELb0EtNS0_19identity_decomposerEEEEE10hipError_tT0_T1_T2_jT3_P12ihipStream_tbPNSt15iterator_traitsISE_E10value_typeEPNSK_ISF_E10value_typeEPSG_NS1_7vsmem_tEENKUlT_SE_SF_SG_E_clIS8_S8_S9_S9_EESD_ST_SE_SF_SG_EUlST_E1_NS1_11comp_targetILNS1_3genE2ELNS1_11target_archE906ELNS1_3gpuE6ELNS1_3repE0EEENS1_36merge_oddeven_config_static_selectorELNS0_4arch9wavefront6targetE0EEEvSF_
                                        ; -- End function
	.set _ZN7rocprim17ROCPRIM_400000_NS6detail17trampoline_kernelINS0_14default_configENS1_38merge_sort_block_merge_config_selectorItNS0_10empty_typeEEEZZNS1_27merge_sort_block_merge_implIS3_PtPS5_jNS1_19radix_merge_compareILb1ELb0EtNS0_19identity_decomposerEEEEE10hipError_tT0_T1_T2_jT3_P12ihipStream_tbPNSt15iterator_traitsISE_E10value_typeEPNSK_ISF_E10value_typeEPSG_NS1_7vsmem_tEENKUlT_SE_SF_SG_E_clIS8_S8_S9_S9_EESD_ST_SE_SF_SG_EUlST_E1_NS1_11comp_targetILNS1_3genE2ELNS1_11target_archE906ELNS1_3gpuE6ELNS1_3repE0EEENS1_36merge_oddeven_config_static_selectorELNS0_4arch9wavefront6targetE0EEEvSF_.num_vgpr, 0
	.set _ZN7rocprim17ROCPRIM_400000_NS6detail17trampoline_kernelINS0_14default_configENS1_38merge_sort_block_merge_config_selectorItNS0_10empty_typeEEEZZNS1_27merge_sort_block_merge_implIS3_PtPS5_jNS1_19radix_merge_compareILb1ELb0EtNS0_19identity_decomposerEEEEE10hipError_tT0_T1_T2_jT3_P12ihipStream_tbPNSt15iterator_traitsISE_E10value_typeEPNSK_ISF_E10value_typeEPSG_NS1_7vsmem_tEENKUlT_SE_SF_SG_E_clIS8_S8_S9_S9_EESD_ST_SE_SF_SG_EUlST_E1_NS1_11comp_targetILNS1_3genE2ELNS1_11target_archE906ELNS1_3gpuE6ELNS1_3repE0EEENS1_36merge_oddeven_config_static_selectorELNS0_4arch9wavefront6targetE0EEEvSF_.num_agpr, 0
	.set _ZN7rocprim17ROCPRIM_400000_NS6detail17trampoline_kernelINS0_14default_configENS1_38merge_sort_block_merge_config_selectorItNS0_10empty_typeEEEZZNS1_27merge_sort_block_merge_implIS3_PtPS5_jNS1_19radix_merge_compareILb1ELb0EtNS0_19identity_decomposerEEEEE10hipError_tT0_T1_T2_jT3_P12ihipStream_tbPNSt15iterator_traitsISE_E10value_typeEPNSK_ISF_E10value_typeEPSG_NS1_7vsmem_tEENKUlT_SE_SF_SG_E_clIS8_S8_S9_S9_EESD_ST_SE_SF_SG_EUlST_E1_NS1_11comp_targetILNS1_3genE2ELNS1_11target_archE906ELNS1_3gpuE6ELNS1_3repE0EEENS1_36merge_oddeven_config_static_selectorELNS0_4arch9wavefront6targetE0EEEvSF_.numbered_sgpr, 0
	.set _ZN7rocprim17ROCPRIM_400000_NS6detail17trampoline_kernelINS0_14default_configENS1_38merge_sort_block_merge_config_selectorItNS0_10empty_typeEEEZZNS1_27merge_sort_block_merge_implIS3_PtPS5_jNS1_19radix_merge_compareILb1ELb0EtNS0_19identity_decomposerEEEEE10hipError_tT0_T1_T2_jT3_P12ihipStream_tbPNSt15iterator_traitsISE_E10value_typeEPNSK_ISF_E10value_typeEPSG_NS1_7vsmem_tEENKUlT_SE_SF_SG_E_clIS8_S8_S9_S9_EESD_ST_SE_SF_SG_EUlST_E1_NS1_11comp_targetILNS1_3genE2ELNS1_11target_archE906ELNS1_3gpuE6ELNS1_3repE0EEENS1_36merge_oddeven_config_static_selectorELNS0_4arch9wavefront6targetE0EEEvSF_.num_named_barrier, 0
	.set _ZN7rocprim17ROCPRIM_400000_NS6detail17trampoline_kernelINS0_14default_configENS1_38merge_sort_block_merge_config_selectorItNS0_10empty_typeEEEZZNS1_27merge_sort_block_merge_implIS3_PtPS5_jNS1_19radix_merge_compareILb1ELb0EtNS0_19identity_decomposerEEEEE10hipError_tT0_T1_T2_jT3_P12ihipStream_tbPNSt15iterator_traitsISE_E10value_typeEPNSK_ISF_E10value_typeEPSG_NS1_7vsmem_tEENKUlT_SE_SF_SG_E_clIS8_S8_S9_S9_EESD_ST_SE_SF_SG_EUlST_E1_NS1_11comp_targetILNS1_3genE2ELNS1_11target_archE906ELNS1_3gpuE6ELNS1_3repE0EEENS1_36merge_oddeven_config_static_selectorELNS0_4arch9wavefront6targetE0EEEvSF_.private_seg_size, 0
	.set _ZN7rocprim17ROCPRIM_400000_NS6detail17trampoline_kernelINS0_14default_configENS1_38merge_sort_block_merge_config_selectorItNS0_10empty_typeEEEZZNS1_27merge_sort_block_merge_implIS3_PtPS5_jNS1_19radix_merge_compareILb1ELb0EtNS0_19identity_decomposerEEEEE10hipError_tT0_T1_T2_jT3_P12ihipStream_tbPNSt15iterator_traitsISE_E10value_typeEPNSK_ISF_E10value_typeEPSG_NS1_7vsmem_tEENKUlT_SE_SF_SG_E_clIS8_S8_S9_S9_EESD_ST_SE_SF_SG_EUlST_E1_NS1_11comp_targetILNS1_3genE2ELNS1_11target_archE906ELNS1_3gpuE6ELNS1_3repE0EEENS1_36merge_oddeven_config_static_selectorELNS0_4arch9wavefront6targetE0EEEvSF_.uses_vcc, 0
	.set _ZN7rocprim17ROCPRIM_400000_NS6detail17trampoline_kernelINS0_14default_configENS1_38merge_sort_block_merge_config_selectorItNS0_10empty_typeEEEZZNS1_27merge_sort_block_merge_implIS3_PtPS5_jNS1_19radix_merge_compareILb1ELb0EtNS0_19identity_decomposerEEEEE10hipError_tT0_T1_T2_jT3_P12ihipStream_tbPNSt15iterator_traitsISE_E10value_typeEPNSK_ISF_E10value_typeEPSG_NS1_7vsmem_tEENKUlT_SE_SF_SG_E_clIS8_S8_S9_S9_EESD_ST_SE_SF_SG_EUlST_E1_NS1_11comp_targetILNS1_3genE2ELNS1_11target_archE906ELNS1_3gpuE6ELNS1_3repE0EEENS1_36merge_oddeven_config_static_selectorELNS0_4arch9wavefront6targetE0EEEvSF_.uses_flat_scratch, 0
	.set _ZN7rocprim17ROCPRIM_400000_NS6detail17trampoline_kernelINS0_14default_configENS1_38merge_sort_block_merge_config_selectorItNS0_10empty_typeEEEZZNS1_27merge_sort_block_merge_implIS3_PtPS5_jNS1_19radix_merge_compareILb1ELb0EtNS0_19identity_decomposerEEEEE10hipError_tT0_T1_T2_jT3_P12ihipStream_tbPNSt15iterator_traitsISE_E10value_typeEPNSK_ISF_E10value_typeEPSG_NS1_7vsmem_tEENKUlT_SE_SF_SG_E_clIS8_S8_S9_S9_EESD_ST_SE_SF_SG_EUlST_E1_NS1_11comp_targetILNS1_3genE2ELNS1_11target_archE906ELNS1_3gpuE6ELNS1_3repE0EEENS1_36merge_oddeven_config_static_selectorELNS0_4arch9wavefront6targetE0EEEvSF_.has_dyn_sized_stack, 0
	.set _ZN7rocprim17ROCPRIM_400000_NS6detail17trampoline_kernelINS0_14default_configENS1_38merge_sort_block_merge_config_selectorItNS0_10empty_typeEEEZZNS1_27merge_sort_block_merge_implIS3_PtPS5_jNS1_19radix_merge_compareILb1ELb0EtNS0_19identity_decomposerEEEEE10hipError_tT0_T1_T2_jT3_P12ihipStream_tbPNSt15iterator_traitsISE_E10value_typeEPNSK_ISF_E10value_typeEPSG_NS1_7vsmem_tEENKUlT_SE_SF_SG_E_clIS8_S8_S9_S9_EESD_ST_SE_SF_SG_EUlST_E1_NS1_11comp_targetILNS1_3genE2ELNS1_11target_archE906ELNS1_3gpuE6ELNS1_3repE0EEENS1_36merge_oddeven_config_static_selectorELNS0_4arch9wavefront6targetE0EEEvSF_.has_recursion, 0
	.set _ZN7rocprim17ROCPRIM_400000_NS6detail17trampoline_kernelINS0_14default_configENS1_38merge_sort_block_merge_config_selectorItNS0_10empty_typeEEEZZNS1_27merge_sort_block_merge_implIS3_PtPS5_jNS1_19radix_merge_compareILb1ELb0EtNS0_19identity_decomposerEEEEE10hipError_tT0_T1_T2_jT3_P12ihipStream_tbPNSt15iterator_traitsISE_E10value_typeEPNSK_ISF_E10value_typeEPSG_NS1_7vsmem_tEENKUlT_SE_SF_SG_E_clIS8_S8_S9_S9_EESD_ST_SE_SF_SG_EUlST_E1_NS1_11comp_targetILNS1_3genE2ELNS1_11target_archE906ELNS1_3gpuE6ELNS1_3repE0EEENS1_36merge_oddeven_config_static_selectorELNS0_4arch9wavefront6targetE0EEEvSF_.has_indirect_call, 0
	.section	.AMDGPU.csdata,"",@progbits
; Kernel info:
; codeLenInByte = 0
; TotalNumSgprs: 0
; NumVgprs: 0
; ScratchSize: 0
; MemoryBound: 0
; FloatMode: 240
; IeeeMode: 1
; LDSByteSize: 0 bytes/workgroup (compile time only)
; SGPRBlocks: 0
; VGPRBlocks: 0
; NumSGPRsForWavesPerEU: 1
; NumVGPRsForWavesPerEU: 1
; NamedBarCnt: 0
; Occupancy: 16
; WaveLimiterHint : 0
; COMPUTE_PGM_RSRC2:SCRATCH_EN: 0
; COMPUTE_PGM_RSRC2:USER_SGPR: 2
; COMPUTE_PGM_RSRC2:TRAP_HANDLER: 0
; COMPUTE_PGM_RSRC2:TGID_X_EN: 1
; COMPUTE_PGM_RSRC2:TGID_Y_EN: 0
; COMPUTE_PGM_RSRC2:TGID_Z_EN: 0
; COMPUTE_PGM_RSRC2:TIDIG_COMP_CNT: 0
	.section	.text._ZN7rocprim17ROCPRIM_400000_NS6detail17trampoline_kernelINS0_14default_configENS1_38merge_sort_block_merge_config_selectorItNS0_10empty_typeEEEZZNS1_27merge_sort_block_merge_implIS3_PtPS5_jNS1_19radix_merge_compareILb1ELb0EtNS0_19identity_decomposerEEEEE10hipError_tT0_T1_T2_jT3_P12ihipStream_tbPNSt15iterator_traitsISE_E10value_typeEPNSK_ISF_E10value_typeEPSG_NS1_7vsmem_tEENKUlT_SE_SF_SG_E_clIS8_S8_S9_S9_EESD_ST_SE_SF_SG_EUlST_E1_NS1_11comp_targetILNS1_3genE9ELNS1_11target_archE1100ELNS1_3gpuE3ELNS1_3repE0EEENS1_36merge_oddeven_config_static_selectorELNS0_4arch9wavefront6targetE0EEEvSF_,"axG",@progbits,_ZN7rocprim17ROCPRIM_400000_NS6detail17trampoline_kernelINS0_14default_configENS1_38merge_sort_block_merge_config_selectorItNS0_10empty_typeEEEZZNS1_27merge_sort_block_merge_implIS3_PtPS5_jNS1_19radix_merge_compareILb1ELb0EtNS0_19identity_decomposerEEEEE10hipError_tT0_T1_T2_jT3_P12ihipStream_tbPNSt15iterator_traitsISE_E10value_typeEPNSK_ISF_E10value_typeEPSG_NS1_7vsmem_tEENKUlT_SE_SF_SG_E_clIS8_S8_S9_S9_EESD_ST_SE_SF_SG_EUlST_E1_NS1_11comp_targetILNS1_3genE9ELNS1_11target_archE1100ELNS1_3gpuE3ELNS1_3repE0EEENS1_36merge_oddeven_config_static_selectorELNS0_4arch9wavefront6targetE0EEEvSF_,comdat
	.protected	_ZN7rocprim17ROCPRIM_400000_NS6detail17trampoline_kernelINS0_14default_configENS1_38merge_sort_block_merge_config_selectorItNS0_10empty_typeEEEZZNS1_27merge_sort_block_merge_implIS3_PtPS5_jNS1_19radix_merge_compareILb1ELb0EtNS0_19identity_decomposerEEEEE10hipError_tT0_T1_T2_jT3_P12ihipStream_tbPNSt15iterator_traitsISE_E10value_typeEPNSK_ISF_E10value_typeEPSG_NS1_7vsmem_tEENKUlT_SE_SF_SG_E_clIS8_S8_S9_S9_EESD_ST_SE_SF_SG_EUlST_E1_NS1_11comp_targetILNS1_3genE9ELNS1_11target_archE1100ELNS1_3gpuE3ELNS1_3repE0EEENS1_36merge_oddeven_config_static_selectorELNS0_4arch9wavefront6targetE0EEEvSF_ ; -- Begin function _ZN7rocprim17ROCPRIM_400000_NS6detail17trampoline_kernelINS0_14default_configENS1_38merge_sort_block_merge_config_selectorItNS0_10empty_typeEEEZZNS1_27merge_sort_block_merge_implIS3_PtPS5_jNS1_19radix_merge_compareILb1ELb0EtNS0_19identity_decomposerEEEEE10hipError_tT0_T1_T2_jT3_P12ihipStream_tbPNSt15iterator_traitsISE_E10value_typeEPNSK_ISF_E10value_typeEPSG_NS1_7vsmem_tEENKUlT_SE_SF_SG_E_clIS8_S8_S9_S9_EESD_ST_SE_SF_SG_EUlST_E1_NS1_11comp_targetILNS1_3genE9ELNS1_11target_archE1100ELNS1_3gpuE3ELNS1_3repE0EEENS1_36merge_oddeven_config_static_selectorELNS0_4arch9wavefront6targetE0EEEvSF_
	.globl	_ZN7rocprim17ROCPRIM_400000_NS6detail17trampoline_kernelINS0_14default_configENS1_38merge_sort_block_merge_config_selectorItNS0_10empty_typeEEEZZNS1_27merge_sort_block_merge_implIS3_PtPS5_jNS1_19radix_merge_compareILb1ELb0EtNS0_19identity_decomposerEEEEE10hipError_tT0_T1_T2_jT3_P12ihipStream_tbPNSt15iterator_traitsISE_E10value_typeEPNSK_ISF_E10value_typeEPSG_NS1_7vsmem_tEENKUlT_SE_SF_SG_E_clIS8_S8_S9_S9_EESD_ST_SE_SF_SG_EUlST_E1_NS1_11comp_targetILNS1_3genE9ELNS1_11target_archE1100ELNS1_3gpuE3ELNS1_3repE0EEENS1_36merge_oddeven_config_static_selectorELNS0_4arch9wavefront6targetE0EEEvSF_
	.p2align	8
	.type	_ZN7rocprim17ROCPRIM_400000_NS6detail17trampoline_kernelINS0_14default_configENS1_38merge_sort_block_merge_config_selectorItNS0_10empty_typeEEEZZNS1_27merge_sort_block_merge_implIS3_PtPS5_jNS1_19radix_merge_compareILb1ELb0EtNS0_19identity_decomposerEEEEE10hipError_tT0_T1_T2_jT3_P12ihipStream_tbPNSt15iterator_traitsISE_E10value_typeEPNSK_ISF_E10value_typeEPSG_NS1_7vsmem_tEENKUlT_SE_SF_SG_E_clIS8_S8_S9_S9_EESD_ST_SE_SF_SG_EUlST_E1_NS1_11comp_targetILNS1_3genE9ELNS1_11target_archE1100ELNS1_3gpuE3ELNS1_3repE0EEENS1_36merge_oddeven_config_static_selectorELNS0_4arch9wavefront6targetE0EEEvSF_,@function
_ZN7rocprim17ROCPRIM_400000_NS6detail17trampoline_kernelINS0_14default_configENS1_38merge_sort_block_merge_config_selectorItNS0_10empty_typeEEEZZNS1_27merge_sort_block_merge_implIS3_PtPS5_jNS1_19radix_merge_compareILb1ELb0EtNS0_19identity_decomposerEEEEE10hipError_tT0_T1_T2_jT3_P12ihipStream_tbPNSt15iterator_traitsISE_E10value_typeEPNSK_ISF_E10value_typeEPSG_NS1_7vsmem_tEENKUlT_SE_SF_SG_E_clIS8_S8_S9_S9_EESD_ST_SE_SF_SG_EUlST_E1_NS1_11comp_targetILNS1_3genE9ELNS1_11target_archE1100ELNS1_3gpuE3ELNS1_3repE0EEENS1_36merge_oddeven_config_static_selectorELNS0_4arch9wavefront6targetE0EEEvSF_: ; @_ZN7rocprim17ROCPRIM_400000_NS6detail17trampoline_kernelINS0_14default_configENS1_38merge_sort_block_merge_config_selectorItNS0_10empty_typeEEEZZNS1_27merge_sort_block_merge_implIS3_PtPS5_jNS1_19radix_merge_compareILb1ELb0EtNS0_19identity_decomposerEEEEE10hipError_tT0_T1_T2_jT3_P12ihipStream_tbPNSt15iterator_traitsISE_E10value_typeEPNSK_ISF_E10value_typeEPSG_NS1_7vsmem_tEENKUlT_SE_SF_SG_E_clIS8_S8_S9_S9_EESD_ST_SE_SF_SG_EUlST_E1_NS1_11comp_targetILNS1_3genE9ELNS1_11target_archE1100ELNS1_3gpuE3ELNS1_3repE0EEENS1_36merge_oddeven_config_static_selectorELNS0_4arch9wavefront6targetE0EEEvSF_
; %bb.0:
	.section	.rodata,"a",@progbits
	.p2align	6, 0x0
	.amdhsa_kernel _ZN7rocprim17ROCPRIM_400000_NS6detail17trampoline_kernelINS0_14default_configENS1_38merge_sort_block_merge_config_selectorItNS0_10empty_typeEEEZZNS1_27merge_sort_block_merge_implIS3_PtPS5_jNS1_19radix_merge_compareILb1ELb0EtNS0_19identity_decomposerEEEEE10hipError_tT0_T1_T2_jT3_P12ihipStream_tbPNSt15iterator_traitsISE_E10value_typeEPNSK_ISF_E10value_typeEPSG_NS1_7vsmem_tEENKUlT_SE_SF_SG_E_clIS8_S8_S9_S9_EESD_ST_SE_SF_SG_EUlST_E1_NS1_11comp_targetILNS1_3genE9ELNS1_11target_archE1100ELNS1_3gpuE3ELNS1_3repE0EEENS1_36merge_oddeven_config_static_selectorELNS0_4arch9wavefront6targetE0EEEvSF_
		.amdhsa_group_segment_fixed_size 0
		.amdhsa_private_segment_fixed_size 0
		.amdhsa_kernarg_size 48
		.amdhsa_user_sgpr_count 2
		.amdhsa_user_sgpr_dispatch_ptr 0
		.amdhsa_user_sgpr_queue_ptr 0
		.amdhsa_user_sgpr_kernarg_segment_ptr 1
		.amdhsa_user_sgpr_dispatch_id 0
		.amdhsa_user_sgpr_kernarg_preload_length 0
		.amdhsa_user_sgpr_kernarg_preload_offset 0
		.amdhsa_user_sgpr_private_segment_size 0
		.amdhsa_wavefront_size32 1
		.amdhsa_uses_dynamic_stack 0
		.amdhsa_enable_private_segment 0
		.amdhsa_system_sgpr_workgroup_id_x 1
		.amdhsa_system_sgpr_workgroup_id_y 0
		.amdhsa_system_sgpr_workgroup_id_z 0
		.amdhsa_system_sgpr_workgroup_info 0
		.amdhsa_system_vgpr_workitem_id 0
		.amdhsa_next_free_vgpr 1
		.amdhsa_next_free_sgpr 1
		.amdhsa_named_barrier_count 0
		.amdhsa_reserve_vcc 0
		.amdhsa_float_round_mode_32 0
		.amdhsa_float_round_mode_16_64 0
		.amdhsa_float_denorm_mode_32 3
		.amdhsa_float_denorm_mode_16_64 3
		.amdhsa_fp16_overflow 0
		.amdhsa_memory_ordered 1
		.amdhsa_forward_progress 1
		.amdhsa_inst_pref_size 0
		.amdhsa_round_robin_scheduling 0
		.amdhsa_exception_fp_ieee_invalid_op 0
		.amdhsa_exception_fp_denorm_src 0
		.amdhsa_exception_fp_ieee_div_zero 0
		.amdhsa_exception_fp_ieee_overflow 0
		.amdhsa_exception_fp_ieee_underflow 0
		.amdhsa_exception_fp_ieee_inexact 0
		.amdhsa_exception_int_div_zero 0
	.end_amdhsa_kernel
	.section	.text._ZN7rocprim17ROCPRIM_400000_NS6detail17trampoline_kernelINS0_14default_configENS1_38merge_sort_block_merge_config_selectorItNS0_10empty_typeEEEZZNS1_27merge_sort_block_merge_implIS3_PtPS5_jNS1_19radix_merge_compareILb1ELb0EtNS0_19identity_decomposerEEEEE10hipError_tT0_T1_T2_jT3_P12ihipStream_tbPNSt15iterator_traitsISE_E10value_typeEPNSK_ISF_E10value_typeEPSG_NS1_7vsmem_tEENKUlT_SE_SF_SG_E_clIS8_S8_S9_S9_EESD_ST_SE_SF_SG_EUlST_E1_NS1_11comp_targetILNS1_3genE9ELNS1_11target_archE1100ELNS1_3gpuE3ELNS1_3repE0EEENS1_36merge_oddeven_config_static_selectorELNS0_4arch9wavefront6targetE0EEEvSF_,"axG",@progbits,_ZN7rocprim17ROCPRIM_400000_NS6detail17trampoline_kernelINS0_14default_configENS1_38merge_sort_block_merge_config_selectorItNS0_10empty_typeEEEZZNS1_27merge_sort_block_merge_implIS3_PtPS5_jNS1_19radix_merge_compareILb1ELb0EtNS0_19identity_decomposerEEEEE10hipError_tT0_T1_T2_jT3_P12ihipStream_tbPNSt15iterator_traitsISE_E10value_typeEPNSK_ISF_E10value_typeEPSG_NS1_7vsmem_tEENKUlT_SE_SF_SG_E_clIS8_S8_S9_S9_EESD_ST_SE_SF_SG_EUlST_E1_NS1_11comp_targetILNS1_3genE9ELNS1_11target_archE1100ELNS1_3gpuE3ELNS1_3repE0EEENS1_36merge_oddeven_config_static_selectorELNS0_4arch9wavefront6targetE0EEEvSF_,comdat
.Lfunc_end2326:
	.size	_ZN7rocprim17ROCPRIM_400000_NS6detail17trampoline_kernelINS0_14default_configENS1_38merge_sort_block_merge_config_selectorItNS0_10empty_typeEEEZZNS1_27merge_sort_block_merge_implIS3_PtPS5_jNS1_19radix_merge_compareILb1ELb0EtNS0_19identity_decomposerEEEEE10hipError_tT0_T1_T2_jT3_P12ihipStream_tbPNSt15iterator_traitsISE_E10value_typeEPNSK_ISF_E10value_typeEPSG_NS1_7vsmem_tEENKUlT_SE_SF_SG_E_clIS8_S8_S9_S9_EESD_ST_SE_SF_SG_EUlST_E1_NS1_11comp_targetILNS1_3genE9ELNS1_11target_archE1100ELNS1_3gpuE3ELNS1_3repE0EEENS1_36merge_oddeven_config_static_selectorELNS0_4arch9wavefront6targetE0EEEvSF_, .Lfunc_end2326-_ZN7rocprim17ROCPRIM_400000_NS6detail17trampoline_kernelINS0_14default_configENS1_38merge_sort_block_merge_config_selectorItNS0_10empty_typeEEEZZNS1_27merge_sort_block_merge_implIS3_PtPS5_jNS1_19radix_merge_compareILb1ELb0EtNS0_19identity_decomposerEEEEE10hipError_tT0_T1_T2_jT3_P12ihipStream_tbPNSt15iterator_traitsISE_E10value_typeEPNSK_ISF_E10value_typeEPSG_NS1_7vsmem_tEENKUlT_SE_SF_SG_E_clIS8_S8_S9_S9_EESD_ST_SE_SF_SG_EUlST_E1_NS1_11comp_targetILNS1_3genE9ELNS1_11target_archE1100ELNS1_3gpuE3ELNS1_3repE0EEENS1_36merge_oddeven_config_static_selectorELNS0_4arch9wavefront6targetE0EEEvSF_
                                        ; -- End function
	.set _ZN7rocprim17ROCPRIM_400000_NS6detail17trampoline_kernelINS0_14default_configENS1_38merge_sort_block_merge_config_selectorItNS0_10empty_typeEEEZZNS1_27merge_sort_block_merge_implIS3_PtPS5_jNS1_19radix_merge_compareILb1ELb0EtNS0_19identity_decomposerEEEEE10hipError_tT0_T1_T2_jT3_P12ihipStream_tbPNSt15iterator_traitsISE_E10value_typeEPNSK_ISF_E10value_typeEPSG_NS1_7vsmem_tEENKUlT_SE_SF_SG_E_clIS8_S8_S9_S9_EESD_ST_SE_SF_SG_EUlST_E1_NS1_11comp_targetILNS1_3genE9ELNS1_11target_archE1100ELNS1_3gpuE3ELNS1_3repE0EEENS1_36merge_oddeven_config_static_selectorELNS0_4arch9wavefront6targetE0EEEvSF_.num_vgpr, 0
	.set _ZN7rocprim17ROCPRIM_400000_NS6detail17trampoline_kernelINS0_14default_configENS1_38merge_sort_block_merge_config_selectorItNS0_10empty_typeEEEZZNS1_27merge_sort_block_merge_implIS3_PtPS5_jNS1_19radix_merge_compareILb1ELb0EtNS0_19identity_decomposerEEEEE10hipError_tT0_T1_T2_jT3_P12ihipStream_tbPNSt15iterator_traitsISE_E10value_typeEPNSK_ISF_E10value_typeEPSG_NS1_7vsmem_tEENKUlT_SE_SF_SG_E_clIS8_S8_S9_S9_EESD_ST_SE_SF_SG_EUlST_E1_NS1_11comp_targetILNS1_3genE9ELNS1_11target_archE1100ELNS1_3gpuE3ELNS1_3repE0EEENS1_36merge_oddeven_config_static_selectorELNS0_4arch9wavefront6targetE0EEEvSF_.num_agpr, 0
	.set _ZN7rocprim17ROCPRIM_400000_NS6detail17trampoline_kernelINS0_14default_configENS1_38merge_sort_block_merge_config_selectorItNS0_10empty_typeEEEZZNS1_27merge_sort_block_merge_implIS3_PtPS5_jNS1_19radix_merge_compareILb1ELb0EtNS0_19identity_decomposerEEEEE10hipError_tT0_T1_T2_jT3_P12ihipStream_tbPNSt15iterator_traitsISE_E10value_typeEPNSK_ISF_E10value_typeEPSG_NS1_7vsmem_tEENKUlT_SE_SF_SG_E_clIS8_S8_S9_S9_EESD_ST_SE_SF_SG_EUlST_E1_NS1_11comp_targetILNS1_3genE9ELNS1_11target_archE1100ELNS1_3gpuE3ELNS1_3repE0EEENS1_36merge_oddeven_config_static_selectorELNS0_4arch9wavefront6targetE0EEEvSF_.numbered_sgpr, 0
	.set _ZN7rocprim17ROCPRIM_400000_NS6detail17trampoline_kernelINS0_14default_configENS1_38merge_sort_block_merge_config_selectorItNS0_10empty_typeEEEZZNS1_27merge_sort_block_merge_implIS3_PtPS5_jNS1_19radix_merge_compareILb1ELb0EtNS0_19identity_decomposerEEEEE10hipError_tT0_T1_T2_jT3_P12ihipStream_tbPNSt15iterator_traitsISE_E10value_typeEPNSK_ISF_E10value_typeEPSG_NS1_7vsmem_tEENKUlT_SE_SF_SG_E_clIS8_S8_S9_S9_EESD_ST_SE_SF_SG_EUlST_E1_NS1_11comp_targetILNS1_3genE9ELNS1_11target_archE1100ELNS1_3gpuE3ELNS1_3repE0EEENS1_36merge_oddeven_config_static_selectorELNS0_4arch9wavefront6targetE0EEEvSF_.num_named_barrier, 0
	.set _ZN7rocprim17ROCPRIM_400000_NS6detail17trampoline_kernelINS0_14default_configENS1_38merge_sort_block_merge_config_selectorItNS0_10empty_typeEEEZZNS1_27merge_sort_block_merge_implIS3_PtPS5_jNS1_19radix_merge_compareILb1ELb0EtNS0_19identity_decomposerEEEEE10hipError_tT0_T1_T2_jT3_P12ihipStream_tbPNSt15iterator_traitsISE_E10value_typeEPNSK_ISF_E10value_typeEPSG_NS1_7vsmem_tEENKUlT_SE_SF_SG_E_clIS8_S8_S9_S9_EESD_ST_SE_SF_SG_EUlST_E1_NS1_11comp_targetILNS1_3genE9ELNS1_11target_archE1100ELNS1_3gpuE3ELNS1_3repE0EEENS1_36merge_oddeven_config_static_selectorELNS0_4arch9wavefront6targetE0EEEvSF_.private_seg_size, 0
	.set _ZN7rocprim17ROCPRIM_400000_NS6detail17trampoline_kernelINS0_14default_configENS1_38merge_sort_block_merge_config_selectorItNS0_10empty_typeEEEZZNS1_27merge_sort_block_merge_implIS3_PtPS5_jNS1_19radix_merge_compareILb1ELb0EtNS0_19identity_decomposerEEEEE10hipError_tT0_T1_T2_jT3_P12ihipStream_tbPNSt15iterator_traitsISE_E10value_typeEPNSK_ISF_E10value_typeEPSG_NS1_7vsmem_tEENKUlT_SE_SF_SG_E_clIS8_S8_S9_S9_EESD_ST_SE_SF_SG_EUlST_E1_NS1_11comp_targetILNS1_3genE9ELNS1_11target_archE1100ELNS1_3gpuE3ELNS1_3repE0EEENS1_36merge_oddeven_config_static_selectorELNS0_4arch9wavefront6targetE0EEEvSF_.uses_vcc, 0
	.set _ZN7rocprim17ROCPRIM_400000_NS6detail17trampoline_kernelINS0_14default_configENS1_38merge_sort_block_merge_config_selectorItNS0_10empty_typeEEEZZNS1_27merge_sort_block_merge_implIS3_PtPS5_jNS1_19radix_merge_compareILb1ELb0EtNS0_19identity_decomposerEEEEE10hipError_tT0_T1_T2_jT3_P12ihipStream_tbPNSt15iterator_traitsISE_E10value_typeEPNSK_ISF_E10value_typeEPSG_NS1_7vsmem_tEENKUlT_SE_SF_SG_E_clIS8_S8_S9_S9_EESD_ST_SE_SF_SG_EUlST_E1_NS1_11comp_targetILNS1_3genE9ELNS1_11target_archE1100ELNS1_3gpuE3ELNS1_3repE0EEENS1_36merge_oddeven_config_static_selectorELNS0_4arch9wavefront6targetE0EEEvSF_.uses_flat_scratch, 0
	.set _ZN7rocprim17ROCPRIM_400000_NS6detail17trampoline_kernelINS0_14default_configENS1_38merge_sort_block_merge_config_selectorItNS0_10empty_typeEEEZZNS1_27merge_sort_block_merge_implIS3_PtPS5_jNS1_19radix_merge_compareILb1ELb0EtNS0_19identity_decomposerEEEEE10hipError_tT0_T1_T2_jT3_P12ihipStream_tbPNSt15iterator_traitsISE_E10value_typeEPNSK_ISF_E10value_typeEPSG_NS1_7vsmem_tEENKUlT_SE_SF_SG_E_clIS8_S8_S9_S9_EESD_ST_SE_SF_SG_EUlST_E1_NS1_11comp_targetILNS1_3genE9ELNS1_11target_archE1100ELNS1_3gpuE3ELNS1_3repE0EEENS1_36merge_oddeven_config_static_selectorELNS0_4arch9wavefront6targetE0EEEvSF_.has_dyn_sized_stack, 0
	.set _ZN7rocprim17ROCPRIM_400000_NS6detail17trampoline_kernelINS0_14default_configENS1_38merge_sort_block_merge_config_selectorItNS0_10empty_typeEEEZZNS1_27merge_sort_block_merge_implIS3_PtPS5_jNS1_19radix_merge_compareILb1ELb0EtNS0_19identity_decomposerEEEEE10hipError_tT0_T1_T2_jT3_P12ihipStream_tbPNSt15iterator_traitsISE_E10value_typeEPNSK_ISF_E10value_typeEPSG_NS1_7vsmem_tEENKUlT_SE_SF_SG_E_clIS8_S8_S9_S9_EESD_ST_SE_SF_SG_EUlST_E1_NS1_11comp_targetILNS1_3genE9ELNS1_11target_archE1100ELNS1_3gpuE3ELNS1_3repE0EEENS1_36merge_oddeven_config_static_selectorELNS0_4arch9wavefront6targetE0EEEvSF_.has_recursion, 0
	.set _ZN7rocprim17ROCPRIM_400000_NS6detail17trampoline_kernelINS0_14default_configENS1_38merge_sort_block_merge_config_selectorItNS0_10empty_typeEEEZZNS1_27merge_sort_block_merge_implIS3_PtPS5_jNS1_19radix_merge_compareILb1ELb0EtNS0_19identity_decomposerEEEEE10hipError_tT0_T1_T2_jT3_P12ihipStream_tbPNSt15iterator_traitsISE_E10value_typeEPNSK_ISF_E10value_typeEPSG_NS1_7vsmem_tEENKUlT_SE_SF_SG_E_clIS8_S8_S9_S9_EESD_ST_SE_SF_SG_EUlST_E1_NS1_11comp_targetILNS1_3genE9ELNS1_11target_archE1100ELNS1_3gpuE3ELNS1_3repE0EEENS1_36merge_oddeven_config_static_selectorELNS0_4arch9wavefront6targetE0EEEvSF_.has_indirect_call, 0
	.section	.AMDGPU.csdata,"",@progbits
; Kernel info:
; codeLenInByte = 0
; TotalNumSgprs: 0
; NumVgprs: 0
; ScratchSize: 0
; MemoryBound: 0
; FloatMode: 240
; IeeeMode: 1
; LDSByteSize: 0 bytes/workgroup (compile time only)
; SGPRBlocks: 0
; VGPRBlocks: 0
; NumSGPRsForWavesPerEU: 1
; NumVGPRsForWavesPerEU: 1
; NamedBarCnt: 0
; Occupancy: 16
; WaveLimiterHint : 0
; COMPUTE_PGM_RSRC2:SCRATCH_EN: 0
; COMPUTE_PGM_RSRC2:USER_SGPR: 2
; COMPUTE_PGM_RSRC2:TRAP_HANDLER: 0
; COMPUTE_PGM_RSRC2:TGID_X_EN: 1
; COMPUTE_PGM_RSRC2:TGID_Y_EN: 0
; COMPUTE_PGM_RSRC2:TGID_Z_EN: 0
; COMPUTE_PGM_RSRC2:TIDIG_COMP_CNT: 0
	.section	.text._ZN7rocprim17ROCPRIM_400000_NS6detail17trampoline_kernelINS0_14default_configENS1_38merge_sort_block_merge_config_selectorItNS0_10empty_typeEEEZZNS1_27merge_sort_block_merge_implIS3_PtPS5_jNS1_19radix_merge_compareILb1ELb0EtNS0_19identity_decomposerEEEEE10hipError_tT0_T1_T2_jT3_P12ihipStream_tbPNSt15iterator_traitsISE_E10value_typeEPNSK_ISF_E10value_typeEPSG_NS1_7vsmem_tEENKUlT_SE_SF_SG_E_clIS8_S8_S9_S9_EESD_ST_SE_SF_SG_EUlST_E1_NS1_11comp_targetILNS1_3genE8ELNS1_11target_archE1030ELNS1_3gpuE2ELNS1_3repE0EEENS1_36merge_oddeven_config_static_selectorELNS0_4arch9wavefront6targetE0EEEvSF_,"axG",@progbits,_ZN7rocprim17ROCPRIM_400000_NS6detail17trampoline_kernelINS0_14default_configENS1_38merge_sort_block_merge_config_selectorItNS0_10empty_typeEEEZZNS1_27merge_sort_block_merge_implIS3_PtPS5_jNS1_19radix_merge_compareILb1ELb0EtNS0_19identity_decomposerEEEEE10hipError_tT0_T1_T2_jT3_P12ihipStream_tbPNSt15iterator_traitsISE_E10value_typeEPNSK_ISF_E10value_typeEPSG_NS1_7vsmem_tEENKUlT_SE_SF_SG_E_clIS8_S8_S9_S9_EESD_ST_SE_SF_SG_EUlST_E1_NS1_11comp_targetILNS1_3genE8ELNS1_11target_archE1030ELNS1_3gpuE2ELNS1_3repE0EEENS1_36merge_oddeven_config_static_selectorELNS0_4arch9wavefront6targetE0EEEvSF_,comdat
	.protected	_ZN7rocprim17ROCPRIM_400000_NS6detail17trampoline_kernelINS0_14default_configENS1_38merge_sort_block_merge_config_selectorItNS0_10empty_typeEEEZZNS1_27merge_sort_block_merge_implIS3_PtPS5_jNS1_19radix_merge_compareILb1ELb0EtNS0_19identity_decomposerEEEEE10hipError_tT0_T1_T2_jT3_P12ihipStream_tbPNSt15iterator_traitsISE_E10value_typeEPNSK_ISF_E10value_typeEPSG_NS1_7vsmem_tEENKUlT_SE_SF_SG_E_clIS8_S8_S9_S9_EESD_ST_SE_SF_SG_EUlST_E1_NS1_11comp_targetILNS1_3genE8ELNS1_11target_archE1030ELNS1_3gpuE2ELNS1_3repE0EEENS1_36merge_oddeven_config_static_selectorELNS0_4arch9wavefront6targetE0EEEvSF_ ; -- Begin function _ZN7rocprim17ROCPRIM_400000_NS6detail17trampoline_kernelINS0_14default_configENS1_38merge_sort_block_merge_config_selectorItNS0_10empty_typeEEEZZNS1_27merge_sort_block_merge_implIS3_PtPS5_jNS1_19radix_merge_compareILb1ELb0EtNS0_19identity_decomposerEEEEE10hipError_tT0_T1_T2_jT3_P12ihipStream_tbPNSt15iterator_traitsISE_E10value_typeEPNSK_ISF_E10value_typeEPSG_NS1_7vsmem_tEENKUlT_SE_SF_SG_E_clIS8_S8_S9_S9_EESD_ST_SE_SF_SG_EUlST_E1_NS1_11comp_targetILNS1_3genE8ELNS1_11target_archE1030ELNS1_3gpuE2ELNS1_3repE0EEENS1_36merge_oddeven_config_static_selectorELNS0_4arch9wavefront6targetE0EEEvSF_
	.globl	_ZN7rocprim17ROCPRIM_400000_NS6detail17trampoline_kernelINS0_14default_configENS1_38merge_sort_block_merge_config_selectorItNS0_10empty_typeEEEZZNS1_27merge_sort_block_merge_implIS3_PtPS5_jNS1_19radix_merge_compareILb1ELb0EtNS0_19identity_decomposerEEEEE10hipError_tT0_T1_T2_jT3_P12ihipStream_tbPNSt15iterator_traitsISE_E10value_typeEPNSK_ISF_E10value_typeEPSG_NS1_7vsmem_tEENKUlT_SE_SF_SG_E_clIS8_S8_S9_S9_EESD_ST_SE_SF_SG_EUlST_E1_NS1_11comp_targetILNS1_3genE8ELNS1_11target_archE1030ELNS1_3gpuE2ELNS1_3repE0EEENS1_36merge_oddeven_config_static_selectorELNS0_4arch9wavefront6targetE0EEEvSF_
	.p2align	8
	.type	_ZN7rocprim17ROCPRIM_400000_NS6detail17trampoline_kernelINS0_14default_configENS1_38merge_sort_block_merge_config_selectorItNS0_10empty_typeEEEZZNS1_27merge_sort_block_merge_implIS3_PtPS5_jNS1_19radix_merge_compareILb1ELb0EtNS0_19identity_decomposerEEEEE10hipError_tT0_T1_T2_jT3_P12ihipStream_tbPNSt15iterator_traitsISE_E10value_typeEPNSK_ISF_E10value_typeEPSG_NS1_7vsmem_tEENKUlT_SE_SF_SG_E_clIS8_S8_S9_S9_EESD_ST_SE_SF_SG_EUlST_E1_NS1_11comp_targetILNS1_3genE8ELNS1_11target_archE1030ELNS1_3gpuE2ELNS1_3repE0EEENS1_36merge_oddeven_config_static_selectorELNS0_4arch9wavefront6targetE0EEEvSF_,@function
_ZN7rocprim17ROCPRIM_400000_NS6detail17trampoline_kernelINS0_14default_configENS1_38merge_sort_block_merge_config_selectorItNS0_10empty_typeEEEZZNS1_27merge_sort_block_merge_implIS3_PtPS5_jNS1_19radix_merge_compareILb1ELb0EtNS0_19identity_decomposerEEEEE10hipError_tT0_T1_T2_jT3_P12ihipStream_tbPNSt15iterator_traitsISE_E10value_typeEPNSK_ISF_E10value_typeEPSG_NS1_7vsmem_tEENKUlT_SE_SF_SG_E_clIS8_S8_S9_S9_EESD_ST_SE_SF_SG_EUlST_E1_NS1_11comp_targetILNS1_3genE8ELNS1_11target_archE1030ELNS1_3gpuE2ELNS1_3repE0EEENS1_36merge_oddeven_config_static_selectorELNS0_4arch9wavefront6targetE0EEEvSF_: ; @_ZN7rocprim17ROCPRIM_400000_NS6detail17trampoline_kernelINS0_14default_configENS1_38merge_sort_block_merge_config_selectorItNS0_10empty_typeEEEZZNS1_27merge_sort_block_merge_implIS3_PtPS5_jNS1_19radix_merge_compareILb1ELb0EtNS0_19identity_decomposerEEEEE10hipError_tT0_T1_T2_jT3_P12ihipStream_tbPNSt15iterator_traitsISE_E10value_typeEPNSK_ISF_E10value_typeEPSG_NS1_7vsmem_tEENKUlT_SE_SF_SG_E_clIS8_S8_S9_S9_EESD_ST_SE_SF_SG_EUlST_E1_NS1_11comp_targetILNS1_3genE8ELNS1_11target_archE1030ELNS1_3gpuE2ELNS1_3repE0EEENS1_36merge_oddeven_config_static_selectorELNS0_4arch9wavefront6targetE0EEEvSF_
; %bb.0:
	.section	.rodata,"a",@progbits
	.p2align	6, 0x0
	.amdhsa_kernel _ZN7rocprim17ROCPRIM_400000_NS6detail17trampoline_kernelINS0_14default_configENS1_38merge_sort_block_merge_config_selectorItNS0_10empty_typeEEEZZNS1_27merge_sort_block_merge_implIS3_PtPS5_jNS1_19radix_merge_compareILb1ELb0EtNS0_19identity_decomposerEEEEE10hipError_tT0_T1_T2_jT3_P12ihipStream_tbPNSt15iterator_traitsISE_E10value_typeEPNSK_ISF_E10value_typeEPSG_NS1_7vsmem_tEENKUlT_SE_SF_SG_E_clIS8_S8_S9_S9_EESD_ST_SE_SF_SG_EUlST_E1_NS1_11comp_targetILNS1_3genE8ELNS1_11target_archE1030ELNS1_3gpuE2ELNS1_3repE0EEENS1_36merge_oddeven_config_static_selectorELNS0_4arch9wavefront6targetE0EEEvSF_
		.amdhsa_group_segment_fixed_size 0
		.amdhsa_private_segment_fixed_size 0
		.amdhsa_kernarg_size 48
		.amdhsa_user_sgpr_count 2
		.amdhsa_user_sgpr_dispatch_ptr 0
		.amdhsa_user_sgpr_queue_ptr 0
		.amdhsa_user_sgpr_kernarg_segment_ptr 1
		.amdhsa_user_sgpr_dispatch_id 0
		.amdhsa_user_sgpr_kernarg_preload_length 0
		.amdhsa_user_sgpr_kernarg_preload_offset 0
		.amdhsa_user_sgpr_private_segment_size 0
		.amdhsa_wavefront_size32 1
		.amdhsa_uses_dynamic_stack 0
		.amdhsa_enable_private_segment 0
		.amdhsa_system_sgpr_workgroup_id_x 1
		.amdhsa_system_sgpr_workgroup_id_y 0
		.amdhsa_system_sgpr_workgroup_id_z 0
		.amdhsa_system_sgpr_workgroup_info 0
		.amdhsa_system_vgpr_workitem_id 0
		.amdhsa_next_free_vgpr 1
		.amdhsa_next_free_sgpr 1
		.amdhsa_named_barrier_count 0
		.amdhsa_reserve_vcc 0
		.amdhsa_float_round_mode_32 0
		.amdhsa_float_round_mode_16_64 0
		.amdhsa_float_denorm_mode_32 3
		.amdhsa_float_denorm_mode_16_64 3
		.amdhsa_fp16_overflow 0
		.amdhsa_memory_ordered 1
		.amdhsa_forward_progress 1
		.amdhsa_inst_pref_size 0
		.amdhsa_round_robin_scheduling 0
		.amdhsa_exception_fp_ieee_invalid_op 0
		.amdhsa_exception_fp_denorm_src 0
		.amdhsa_exception_fp_ieee_div_zero 0
		.amdhsa_exception_fp_ieee_overflow 0
		.amdhsa_exception_fp_ieee_underflow 0
		.amdhsa_exception_fp_ieee_inexact 0
		.amdhsa_exception_int_div_zero 0
	.end_amdhsa_kernel
	.section	.text._ZN7rocprim17ROCPRIM_400000_NS6detail17trampoline_kernelINS0_14default_configENS1_38merge_sort_block_merge_config_selectorItNS0_10empty_typeEEEZZNS1_27merge_sort_block_merge_implIS3_PtPS5_jNS1_19radix_merge_compareILb1ELb0EtNS0_19identity_decomposerEEEEE10hipError_tT0_T1_T2_jT3_P12ihipStream_tbPNSt15iterator_traitsISE_E10value_typeEPNSK_ISF_E10value_typeEPSG_NS1_7vsmem_tEENKUlT_SE_SF_SG_E_clIS8_S8_S9_S9_EESD_ST_SE_SF_SG_EUlST_E1_NS1_11comp_targetILNS1_3genE8ELNS1_11target_archE1030ELNS1_3gpuE2ELNS1_3repE0EEENS1_36merge_oddeven_config_static_selectorELNS0_4arch9wavefront6targetE0EEEvSF_,"axG",@progbits,_ZN7rocprim17ROCPRIM_400000_NS6detail17trampoline_kernelINS0_14default_configENS1_38merge_sort_block_merge_config_selectorItNS0_10empty_typeEEEZZNS1_27merge_sort_block_merge_implIS3_PtPS5_jNS1_19radix_merge_compareILb1ELb0EtNS0_19identity_decomposerEEEEE10hipError_tT0_T1_T2_jT3_P12ihipStream_tbPNSt15iterator_traitsISE_E10value_typeEPNSK_ISF_E10value_typeEPSG_NS1_7vsmem_tEENKUlT_SE_SF_SG_E_clIS8_S8_S9_S9_EESD_ST_SE_SF_SG_EUlST_E1_NS1_11comp_targetILNS1_3genE8ELNS1_11target_archE1030ELNS1_3gpuE2ELNS1_3repE0EEENS1_36merge_oddeven_config_static_selectorELNS0_4arch9wavefront6targetE0EEEvSF_,comdat
.Lfunc_end2327:
	.size	_ZN7rocprim17ROCPRIM_400000_NS6detail17trampoline_kernelINS0_14default_configENS1_38merge_sort_block_merge_config_selectorItNS0_10empty_typeEEEZZNS1_27merge_sort_block_merge_implIS3_PtPS5_jNS1_19radix_merge_compareILb1ELb0EtNS0_19identity_decomposerEEEEE10hipError_tT0_T1_T2_jT3_P12ihipStream_tbPNSt15iterator_traitsISE_E10value_typeEPNSK_ISF_E10value_typeEPSG_NS1_7vsmem_tEENKUlT_SE_SF_SG_E_clIS8_S8_S9_S9_EESD_ST_SE_SF_SG_EUlST_E1_NS1_11comp_targetILNS1_3genE8ELNS1_11target_archE1030ELNS1_3gpuE2ELNS1_3repE0EEENS1_36merge_oddeven_config_static_selectorELNS0_4arch9wavefront6targetE0EEEvSF_, .Lfunc_end2327-_ZN7rocprim17ROCPRIM_400000_NS6detail17trampoline_kernelINS0_14default_configENS1_38merge_sort_block_merge_config_selectorItNS0_10empty_typeEEEZZNS1_27merge_sort_block_merge_implIS3_PtPS5_jNS1_19radix_merge_compareILb1ELb0EtNS0_19identity_decomposerEEEEE10hipError_tT0_T1_T2_jT3_P12ihipStream_tbPNSt15iterator_traitsISE_E10value_typeEPNSK_ISF_E10value_typeEPSG_NS1_7vsmem_tEENKUlT_SE_SF_SG_E_clIS8_S8_S9_S9_EESD_ST_SE_SF_SG_EUlST_E1_NS1_11comp_targetILNS1_3genE8ELNS1_11target_archE1030ELNS1_3gpuE2ELNS1_3repE0EEENS1_36merge_oddeven_config_static_selectorELNS0_4arch9wavefront6targetE0EEEvSF_
                                        ; -- End function
	.set _ZN7rocprim17ROCPRIM_400000_NS6detail17trampoline_kernelINS0_14default_configENS1_38merge_sort_block_merge_config_selectorItNS0_10empty_typeEEEZZNS1_27merge_sort_block_merge_implIS3_PtPS5_jNS1_19radix_merge_compareILb1ELb0EtNS0_19identity_decomposerEEEEE10hipError_tT0_T1_T2_jT3_P12ihipStream_tbPNSt15iterator_traitsISE_E10value_typeEPNSK_ISF_E10value_typeEPSG_NS1_7vsmem_tEENKUlT_SE_SF_SG_E_clIS8_S8_S9_S9_EESD_ST_SE_SF_SG_EUlST_E1_NS1_11comp_targetILNS1_3genE8ELNS1_11target_archE1030ELNS1_3gpuE2ELNS1_3repE0EEENS1_36merge_oddeven_config_static_selectorELNS0_4arch9wavefront6targetE0EEEvSF_.num_vgpr, 0
	.set _ZN7rocprim17ROCPRIM_400000_NS6detail17trampoline_kernelINS0_14default_configENS1_38merge_sort_block_merge_config_selectorItNS0_10empty_typeEEEZZNS1_27merge_sort_block_merge_implIS3_PtPS5_jNS1_19radix_merge_compareILb1ELb0EtNS0_19identity_decomposerEEEEE10hipError_tT0_T1_T2_jT3_P12ihipStream_tbPNSt15iterator_traitsISE_E10value_typeEPNSK_ISF_E10value_typeEPSG_NS1_7vsmem_tEENKUlT_SE_SF_SG_E_clIS8_S8_S9_S9_EESD_ST_SE_SF_SG_EUlST_E1_NS1_11comp_targetILNS1_3genE8ELNS1_11target_archE1030ELNS1_3gpuE2ELNS1_3repE0EEENS1_36merge_oddeven_config_static_selectorELNS0_4arch9wavefront6targetE0EEEvSF_.num_agpr, 0
	.set _ZN7rocprim17ROCPRIM_400000_NS6detail17trampoline_kernelINS0_14default_configENS1_38merge_sort_block_merge_config_selectorItNS0_10empty_typeEEEZZNS1_27merge_sort_block_merge_implIS3_PtPS5_jNS1_19radix_merge_compareILb1ELb0EtNS0_19identity_decomposerEEEEE10hipError_tT0_T1_T2_jT3_P12ihipStream_tbPNSt15iterator_traitsISE_E10value_typeEPNSK_ISF_E10value_typeEPSG_NS1_7vsmem_tEENKUlT_SE_SF_SG_E_clIS8_S8_S9_S9_EESD_ST_SE_SF_SG_EUlST_E1_NS1_11comp_targetILNS1_3genE8ELNS1_11target_archE1030ELNS1_3gpuE2ELNS1_3repE0EEENS1_36merge_oddeven_config_static_selectorELNS0_4arch9wavefront6targetE0EEEvSF_.numbered_sgpr, 0
	.set _ZN7rocprim17ROCPRIM_400000_NS6detail17trampoline_kernelINS0_14default_configENS1_38merge_sort_block_merge_config_selectorItNS0_10empty_typeEEEZZNS1_27merge_sort_block_merge_implIS3_PtPS5_jNS1_19radix_merge_compareILb1ELb0EtNS0_19identity_decomposerEEEEE10hipError_tT0_T1_T2_jT3_P12ihipStream_tbPNSt15iterator_traitsISE_E10value_typeEPNSK_ISF_E10value_typeEPSG_NS1_7vsmem_tEENKUlT_SE_SF_SG_E_clIS8_S8_S9_S9_EESD_ST_SE_SF_SG_EUlST_E1_NS1_11comp_targetILNS1_3genE8ELNS1_11target_archE1030ELNS1_3gpuE2ELNS1_3repE0EEENS1_36merge_oddeven_config_static_selectorELNS0_4arch9wavefront6targetE0EEEvSF_.num_named_barrier, 0
	.set _ZN7rocprim17ROCPRIM_400000_NS6detail17trampoline_kernelINS0_14default_configENS1_38merge_sort_block_merge_config_selectorItNS0_10empty_typeEEEZZNS1_27merge_sort_block_merge_implIS3_PtPS5_jNS1_19radix_merge_compareILb1ELb0EtNS0_19identity_decomposerEEEEE10hipError_tT0_T1_T2_jT3_P12ihipStream_tbPNSt15iterator_traitsISE_E10value_typeEPNSK_ISF_E10value_typeEPSG_NS1_7vsmem_tEENKUlT_SE_SF_SG_E_clIS8_S8_S9_S9_EESD_ST_SE_SF_SG_EUlST_E1_NS1_11comp_targetILNS1_3genE8ELNS1_11target_archE1030ELNS1_3gpuE2ELNS1_3repE0EEENS1_36merge_oddeven_config_static_selectorELNS0_4arch9wavefront6targetE0EEEvSF_.private_seg_size, 0
	.set _ZN7rocprim17ROCPRIM_400000_NS6detail17trampoline_kernelINS0_14default_configENS1_38merge_sort_block_merge_config_selectorItNS0_10empty_typeEEEZZNS1_27merge_sort_block_merge_implIS3_PtPS5_jNS1_19radix_merge_compareILb1ELb0EtNS0_19identity_decomposerEEEEE10hipError_tT0_T1_T2_jT3_P12ihipStream_tbPNSt15iterator_traitsISE_E10value_typeEPNSK_ISF_E10value_typeEPSG_NS1_7vsmem_tEENKUlT_SE_SF_SG_E_clIS8_S8_S9_S9_EESD_ST_SE_SF_SG_EUlST_E1_NS1_11comp_targetILNS1_3genE8ELNS1_11target_archE1030ELNS1_3gpuE2ELNS1_3repE0EEENS1_36merge_oddeven_config_static_selectorELNS0_4arch9wavefront6targetE0EEEvSF_.uses_vcc, 0
	.set _ZN7rocprim17ROCPRIM_400000_NS6detail17trampoline_kernelINS0_14default_configENS1_38merge_sort_block_merge_config_selectorItNS0_10empty_typeEEEZZNS1_27merge_sort_block_merge_implIS3_PtPS5_jNS1_19radix_merge_compareILb1ELb0EtNS0_19identity_decomposerEEEEE10hipError_tT0_T1_T2_jT3_P12ihipStream_tbPNSt15iterator_traitsISE_E10value_typeEPNSK_ISF_E10value_typeEPSG_NS1_7vsmem_tEENKUlT_SE_SF_SG_E_clIS8_S8_S9_S9_EESD_ST_SE_SF_SG_EUlST_E1_NS1_11comp_targetILNS1_3genE8ELNS1_11target_archE1030ELNS1_3gpuE2ELNS1_3repE0EEENS1_36merge_oddeven_config_static_selectorELNS0_4arch9wavefront6targetE0EEEvSF_.uses_flat_scratch, 0
	.set _ZN7rocprim17ROCPRIM_400000_NS6detail17trampoline_kernelINS0_14default_configENS1_38merge_sort_block_merge_config_selectorItNS0_10empty_typeEEEZZNS1_27merge_sort_block_merge_implIS3_PtPS5_jNS1_19radix_merge_compareILb1ELb0EtNS0_19identity_decomposerEEEEE10hipError_tT0_T1_T2_jT3_P12ihipStream_tbPNSt15iterator_traitsISE_E10value_typeEPNSK_ISF_E10value_typeEPSG_NS1_7vsmem_tEENKUlT_SE_SF_SG_E_clIS8_S8_S9_S9_EESD_ST_SE_SF_SG_EUlST_E1_NS1_11comp_targetILNS1_3genE8ELNS1_11target_archE1030ELNS1_3gpuE2ELNS1_3repE0EEENS1_36merge_oddeven_config_static_selectorELNS0_4arch9wavefront6targetE0EEEvSF_.has_dyn_sized_stack, 0
	.set _ZN7rocprim17ROCPRIM_400000_NS6detail17trampoline_kernelINS0_14default_configENS1_38merge_sort_block_merge_config_selectorItNS0_10empty_typeEEEZZNS1_27merge_sort_block_merge_implIS3_PtPS5_jNS1_19radix_merge_compareILb1ELb0EtNS0_19identity_decomposerEEEEE10hipError_tT0_T1_T2_jT3_P12ihipStream_tbPNSt15iterator_traitsISE_E10value_typeEPNSK_ISF_E10value_typeEPSG_NS1_7vsmem_tEENKUlT_SE_SF_SG_E_clIS8_S8_S9_S9_EESD_ST_SE_SF_SG_EUlST_E1_NS1_11comp_targetILNS1_3genE8ELNS1_11target_archE1030ELNS1_3gpuE2ELNS1_3repE0EEENS1_36merge_oddeven_config_static_selectorELNS0_4arch9wavefront6targetE0EEEvSF_.has_recursion, 0
	.set _ZN7rocprim17ROCPRIM_400000_NS6detail17trampoline_kernelINS0_14default_configENS1_38merge_sort_block_merge_config_selectorItNS0_10empty_typeEEEZZNS1_27merge_sort_block_merge_implIS3_PtPS5_jNS1_19radix_merge_compareILb1ELb0EtNS0_19identity_decomposerEEEEE10hipError_tT0_T1_T2_jT3_P12ihipStream_tbPNSt15iterator_traitsISE_E10value_typeEPNSK_ISF_E10value_typeEPSG_NS1_7vsmem_tEENKUlT_SE_SF_SG_E_clIS8_S8_S9_S9_EESD_ST_SE_SF_SG_EUlST_E1_NS1_11comp_targetILNS1_3genE8ELNS1_11target_archE1030ELNS1_3gpuE2ELNS1_3repE0EEENS1_36merge_oddeven_config_static_selectorELNS0_4arch9wavefront6targetE0EEEvSF_.has_indirect_call, 0
	.section	.AMDGPU.csdata,"",@progbits
; Kernel info:
; codeLenInByte = 0
; TotalNumSgprs: 0
; NumVgprs: 0
; ScratchSize: 0
; MemoryBound: 0
; FloatMode: 240
; IeeeMode: 1
; LDSByteSize: 0 bytes/workgroup (compile time only)
; SGPRBlocks: 0
; VGPRBlocks: 0
; NumSGPRsForWavesPerEU: 1
; NumVGPRsForWavesPerEU: 1
; NamedBarCnt: 0
; Occupancy: 16
; WaveLimiterHint : 0
; COMPUTE_PGM_RSRC2:SCRATCH_EN: 0
; COMPUTE_PGM_RSRC2:USER_SGPR: 2
; COMPUTE_PGM_RSRC2:TRAP_HANDLER: 0
; COMPUTE_PGM_RSRC2:TGID_X_EN: 1
; COMPUTE_PGM_RSRC2:TGID_Y_EN: 0
; COMPUTE_PGM_RSRC2:TGID_Z_EN: 0
; COMPUTE_PGM_RSRC2:TIDIG_COMP_CNT: 0
	.section	.text._ZN7rocprim17ROCPRIM_400000_NS6detail17trampoline_kernelINS0_14default_configENS1_25transform_config_selectorItLb1EEEZNS1_14transform_implILb1ES3_S5_PtS7_NS0_8identityItEEEE10hipError_tT2_T3_mT4_P12ihipStream_tbEUlT_E_NS1_11comp_targetILNS1_3genE0ELNS1_11target_archE4294967295ELNS1_3gpuE0ELNS1_3repE0EEENS1_30default_config_static_selectorELNS0_4arch9wavefront6targetE0EEEvT1_,"axG",@progbits,_ZN7rocprim17ROCPRIM_400000_NS6detail17trampoline_kernelINS0_14default_configENS1_25transform_config_selectorItLb1EEEZNS1_14transform_implILb1ES3_S5_PtS7_NS0_8identityItEEEE10hipError_tT2_T3_mT4_P12ihipStream_tbEUlT_E_NS1_11comp_targetILNS1_3genE0ELNS1_11target_archE4294967295ELNS1_3gpuE0ELNS1_3repE0EEENS1_30default_config_static_selectorELNS0_4arch9wavefront6targetE0EEEvT1_,comdat
	.protected	_ZN7rocprim17ROCPRIM_400000_NS6detail17trampoline_kernelINS0_14default_configENS1_25transform_config_selectorItLb1EEEZNS1_14transform_implILb1ES3_S5_PtS7_NS0_8identityItEEEE10hipError_tT2_T3_mT4_P12ihipStream_tbEUlT_E_NS1_11comp_targetILNS1_3genE0ELNS1_11target_archE4294967295ELNS1_3gpuE0ELNS1_3repE0EEENS1_30default_config_static_selectorELNS0_4arch9wavefront6targetE0EEEvT1_ ; -- Begin function _ZN7rocprim17ROCPRIM_400000_NS6detail17trampoline_kernelINS0_14default_configENS1_25transform_config_selectorItLb1EEEZNS1_14transform_implILb1ES3_S5_PtS7_NS0_8identityItEEEE10hipError_tT2_T3_mT4_P12ihipStream_tbEUlT_E_NS1_11comp_targetILNS1_3genE0ELNS1_11target_archE4294967295ELNS1_3gpuE0ELNS1_3repE0EEENS1_30default_config_static_selectorELNS0_4arch9wavefront6targetE0EEEvT1_
	.globl	_ZN7rocprim17ROCPRIM_400000_NS6detail17trampoline_kernelINS0_14default_configENS1_25transform_config_selectorItLb1EEEZNS1_14transform_implILb1ES3_S5_PtS7_NS0_8identityItEEEE10hipError_tT2_T3_mT4_P12ihipStream_tbEUlT_E_NS1_11comp_targetILNS1_3genE0ELNS1_11target_archE4294967295ELNS1_3gpuE0ELNS1_3repE0EEENS1_30default_config_static_selectorELNS0_4arch9wavefront6targetE0EEEvT1_
	.p2align	8
	.type	_ZN7rocprim17ROCPRIM_400000_NS6detail17trampoline_kernelINS0_14default_configENS1_25transform_config_selectorItLb1EEEZNS1_14transform_implILb1ES3_S5_PtS7_NS0_8identityItEEEE10hipError_tT2_T3_mT4_P12ihipStream_tbEUlT_E_NS1_11comp_targetILNS1_3genE0ELNS1_11target_archE4294967295ELNS1_3gpuE0ELNS1_3repE0EEENS1_30default_config_static_selectorELNS0_4arch9wavefront6targetE0EEEvT1_,@function
_ZN7rocprim17ROCPRIM_400000_NS6detail17trampoline_kernelINS0_14default_configENS1_25transform_config_selectorItLb1EEEZNS1_14transform_implILb1ES3_S5_PtS7_NS0_8identityItEEEE10hipError_tT2_T3_mT4_P12ihipStream_tbEUlT_E_NS1_11comp_targetILNS1_3genE0ELNS1_11target_archE4294967295ELNS1_3gpuE0ELNS1_3repE0EEENS1_30default_config_static_selectorELNS0_4arch9wavefront6targetE0EEEvT1_: ; @_ZN7rocprim17ROCPRIM_400000_NS6detail17trampoline_kernelINS0_14default_configENS1_25transform_config_selectorItLb1EEEZNS1_14transform_implILb1ES3_S5_PtS7_NS0_8identityItEEEE10hipError_tT2_T3_mT4_P12ihipStream_tbEUlT_E_NS1_11comp_targetILNS1_3genE0ELNS1_11target_archE4294967295ELNS1_3gpuE0ELNS1_3repE0EEENS1_30default_config_static_selectorELNS0_4arch9wavefront6targetE0EEEvT1_
; %bb.0:
	s_load_b256 s[4:11], s[0:1], 0x0
	s_wait_kmcnt 0x0
	s_load_b32 s9, s[0:1], 0x28
                                        ; kill: killed $sgpr0_sgpr1
	s_wait_xcnt 0x0
	s_bfe_u32 s0, ttmp6, 0x4000c
	s_and_b32 s2, ttmp6, 15
	s_add_co_i32 s0, s0, 1
	s_getreg_b32 s12, hwreg(HW_REG_IB_STS2, 6, 4)
	s_mul_i32 s0, ttmp9, s0
	s_mov_b32 s1, 0
	s_add_co_i32 s0, s2, s0
	s_lshl_b64 s[2:3], s[6:7], 1
	s_cmp_eq_u32 s12, 0
	s_add_nc_u64 s[12:13], s[4:5], s[2:3]
	s_cselect_b32 s14, ttmp9, s0
	s_wait_kmcnt 0x0
	s_add_co_i32 s9, s9, -1
	s_lshl_b32 s0, s14, 9
	s_add_nc_u64 s[4:5], s[10:11], s[2:3]
	s_lshl_b64 s[6:7], s[0:1], 1
	s_mov_b32 s2, -1
	s_cmp_lg_u32 s14, s9
	s_add_nc_u64 s[10:11], s[12:13], s[6:7]
	s_cbranch_scc0 .LBB2328_2
; %bb.1:
	global_load_b64 v[2:3], v0, s[10:11] scale_offset
	s_add_nc_u64 s[12:13], s[4:5], s[6:7]
	s_mov_b32 s2, 0
	s_wait_loadcnt 0x0
	global_store_b64 v0, v[2:3], s[12:13] scale_offset
.LBB2328_2:
	s_and_not1_b32 vcc_lo, exec_lo, s2
	s_cbranch_vccnz .LBB2328_16
; %bb.3:
	s_wait_xcnt 0x0
	v_mov_b32_e32 v2, 0
	s_sub_co_i32 s3, s8, s0
	s_delay_alu instid0(SALU_CYCLE_1) | instskip(NEXT) | instid1(VALU_DEP_2)
	v_cmp_gt_u32_e32 vcc_lo, s3, v0
	v_mov_b32_e32 v3, v2
	s_and_saveexec_b32 s0, vcc_lo
	s_cbranch_execz .LBB2328_5
; %bb.4:
	global_load_u16 v1, v0, s[10:11] scale_offset
	v_mov_b32_e32 v5, v2
	s_wait_loadcnt 0x0
	v_and_b32_e32 v4, 0xffff, v1
	s_delay_alu instid0(VALU_DEP_1)
	v_mov_b64_e32 v[2:3], v[4:5]
.LBB2328_5:
	s_wait_xcnt 0x0
	s_or_b32 exec_lo, exec_lo, s0
	v_or_b32_e32 v1, 0x80, v0
	s_delay_alu instid0(VALU_DEP_1)
	v_cmp_gt_u32_e64 s0, s3, v1
	s_and_saveexec_b32 s1, s0
	s_cbranch_execz .LBB2328_7
; %bb.6:
	global_load_u16 v1, v0, s[10:11] offset:256 scale_offset
	s_wait_loadcnt 0x0
	v_perm_b32 v2, v1, v2, 0x5040100
.LBB2328_7:
	s_wait_xcnt 0x0
	s_or_b32 exec_lo, exec_lo, s1
	v_or_b32_e32 v1, 0x100, v0
	s_delay_alu instid0(VALU_DEP_1)
	v_cmp_gt_u32_e64 s1, s3, v1
	s_and_saveexec_b32 s2, s1
	s_cbranch_execz .LBB2328_9
; %bb.8:
	global_load_u16 v1, v0, s[10:11] offset:512 scale_offset
	s_wait_loadcnt 0x0
	v_bfi_b32 v3, 0xffff, v1, v3
.LBB2328_9:
	s_wait_xcnt 0x0
	s_or_b32 exec_lo, exec_lo, s2
	v_or_b32_e32 v1, 0x180, v0
	s_delay_alu instid0(VALU_DEP_1) | instskip(SKIP_2) | instid1(SALU_CYCLE_1)
	v_cmp_gt_u32_e64 s2, s3, v1
	v_cmp_le_u32_e64 s3, s3, v1
	s_and_saveexec_b32 s8, s3
	s_xor_b32 s3, exec_lo, s8
	s_delay_alu instid0(SALU_CYCLE_1)
	s_and_not1_saveexec_b32 s3, s3
	s_cbranch_execz .LBB2328_11
; %bb.10:
	global_load_u16 v1, v0, s[10:11] offset:768 scale_offset
	s_wait_loadcnt 0x0
	v_perm_b32 v3, v1, v3, 0x5040100
.LBB2328_11:
	s_wait_xcnt 0x0
	s_or_b32 exec_lo, exec_lo, s3
	v_dual_mov_b32 v1, 0 :: v_dual_lshlrev_b32 v0, 1, v0
	v_and_b32_e32 v4, 0xffff, v2
	s_add_nc_u64 s[4:5], s[4:5], s[6:7]
	s_delay_alu instid0(VALU_DEP_2) | instid1(SALU_CYCLE_1)
	v_add_nc_u64_e32 v[0:1], s[4:5], v[0:1]
	s_delay_alu instid0(VALU_DEP_2)
	v_cndmask_b32_e32 v4, 0, v4, vcc_lo
	s_and_saveexec_b32 s3, vcc_lo
	s_cbranch_execnz .LBB2328_17
; %bb.12:
	s_or_b32 exec_lo, exec_lo, s3
	s_delay_alu instid0(VALU_DEP_1)
	v_cndmask_b32_e64 v2, v4, v2, s0
	s_and_saveexec_b32 s3, s0
	s_cbranch_execnz .LBB2328_18
.LBB2328_13:
	s_or_b32 exec_lo, exec_lo, s3
	s_and_saveexec_b32 s0, s1
	s_cbranch_execnz .LBB2328_19
.LBB2328_14:
	s_or_b32 exec_lo, exec_lo, s0
	s_and_saveexec_b32 s0, s2
	s_cbranch_execz .LBB2328_16
.LBB2328_15:
	v_cndmask_b32_e64 v2, 0, v3, s2
	global_store_d16_hi_b16 v[0:1], v2, off offset:768
.LBB2328_16:
	s_endpgm
.LBB2328_17:
	global_store_b16 v[0:1], v4, off
	s_wait_xcnt 0x0
	s_or_b32 exec_lo, exec_lo, s3
	v_cndmask_b32_e64 v2, v4, v2, s0
	s_and_saveexec_b32 s3, s0
	s_cbranch_execz .LBB2328_13
.LBB2328_18:
	global_store_d16_hi_b16 v[0:1], v2, off offset:256
	s_wait_xcnt 0x0
	s_or_b32 exec_lo, exec_lo, s3
	s_and_saveexec_b32 s0, s1
	s_cbranch_execz .LBB2328_14
.LBB2328_19:
	v_cndmask_b32_e64 v2, 0, v3, s1
	global_store_b16 v[0:1], v2, off offset:512
	s_wait_xcnt 0x0
	s_or_b32 exec_lo, exec_lo, s0
	s_and_saveexec_b32 s0, s2
	s_cbranch_execnz .LBB2328_15
	s_branch .LBB2328_16
	.section	.rodata,"a",@progbits
	.p2align	6, 0x0
	.amdhsa_kernel _ZN7rocprim17ROCPRIM_400000_NS6detail17trampoline_kernelINS0_14default_configENS1_25transform_config_selectorItLb1EEEZNS1_14transform_implILb1ES3_S5_PtS7_NS0_8identityItEEEE10hipError_tT2_T3_mT4_P12ihipStream_tbEUlT_E_NS1_11comp_targetILNS1_3genE0ELNS1_11target_archE4294967295ELNS1_3gpuE0ELNS1_3repE0EEENS1_30default_config_static_selectorELNS0_4arch9wavefront6targetE0EEEvT1_
		.amdhsa_group_segment_fixed_size 0
		.amdhsa_private_segment_fixed_size 0
		.amdhsa_kernarg_size 296
		.amdhsa_user_sgpr_count 2
		.amdhsa_user_sgpr_dispatch_ptr 0
		.amdhsa_user_sgpr_queue_ptr 0
		.amdhsa_user_sgpr_kernarg_segment_ptr 1
		.amdhsa_user_sgpr_dispatch_id 0
		.amdhsa_user_sgpr_kernarg_preload_length 0
		.amdhsa_user_sgpr_kernarg_preload_offset 0
		.amdhsa_user_sgpr_private_segment_size 0
		.amdhsa_wavefront_size32 1
		.amdhsa_uses_dynamic_stack 0
		.amdhsa_enable_private_segment 0
		.amdhsa_system_sgpr_workgroup_id_x 1
		.amdhsa_system_sgpr_workgroup_id_y 0
		.amdhsa_system_sgpr_workgroup_id_z 0
		.amdhsa_system_sgpr_workgroup_info 0
		.amdhsa_system_vgpr_workitem_id 0
		.amdhsa_next_free_vgpr 6
		.amdhsa_next_free_sgpr 15
		.amdhsa_named_barrier_count 0
		.amdhsa_reserve_vcc 1
		.amdhsa_float_round_mode_32 0
		.amdhsa_float_round_mode_16_64 0
		.amdhsa_float_denorm_mode_32 3
		.amdhsa_float_denorm_mode_16_64 3
		.amdhsa_fp16_overflow 0
		.amdhsa_memory_ordered 1
		.amdhsa_forward_progress 1
		.amdhsa_inst_pref_size 6
		.amdhsa_round_robin_scheduling 0
		.amdhsa_exception_fp_ieee_invalid_op 0
		.amdhsa_exception_fp_denorm_src 0
		.amdhsa_exception_fp_ieee_div_zero 0
		.amdhsa_exception_fp_ieee_overflow 0
		.amdhsa_exception_fp_ieee_underflow 0
		.amdhsa_exception_fp_ieee_inexact 0
		.amdhsa_exception_int_div_zero 0
	.end_amdhsa_kernel
	.section	.text._ZN7rocprim17ROCPRIM_400000_NS6detail17trampoline_kernelINS0_14default_configENS1_25transform_config_selectorItLb1EEEZNS1_14transform_implILb1ES3_S5_PtS7_NS0_8identityItEEEE10hipError_tT2_T3_mT4_P12ihipStream_tbEUlT_E_NS1_11comp_targetILNS1_3genE0ELNS1_11target_archE4294967295ELNS1_3gpuE0ELNS1_3repE0EEENS1_30default_config_static_selectorELNS0_4arch9wavefront6targetE0EEEvT1_,"axG",@progbits,_ZN7rocprim17ROCPRIM_400000_NS6detail17trampoline_kernelINS0_14default_configENS1_25transform_config_selectorItLb1EEEZNS1_14transform_implILb1ES3_S5_PtS7_NS0_8identityItEEEE10hipError_tT2_T3_mT4_P12ihipStream_tbEUlT_E_NS1_11comp_targetILNS1_3genE0ELNS1_11target_archE4294967295ELNS1_3gpuE0ELNS1_3repE0EEENS1_30default_config_static_selectorELNS0_4arch9wavefront6targetE0EEEvT1_,comdat
.Lfunc_end2328:
	.size	_ZN7rocprim17ROCPRIM_400000_NS6detail17trampoline_kernelINS0_14default_configENS1_25transform_config_selectorItLb1EEEZNS1_14transform_implILb1ES3_S5_PtS7_NS0_8identityItEEEE10hipError_tT2_T3_mT4_P12ihipStream_tbEUlT_E_NS1_11comp_targetILNS1_3genE0ELNS1_11target_archE4294967295ELNS1_3gpuE0ELNS1_3repE0EEENS1_30default_config_static_selectorELNS0_4arch9wavefront6targetE0EEEvT1_, .Lfunc_end2328-_ZN7rocprim17ROCPRIM_400000_NS6detail17trampoline_kernelINS0_14default_configENS1_25transform_config_selectorItLb1EEEZNS1_14transform_implILb1ES3_S5_PtS7_NS0_8identityItEEEE10hipError_tT2_T3_mT4_P12ihipStream_tbEUlT_E_NS1_11comp_targetILNS1_3genE0ELNS1_11target_archE4294967295ELNS1_3gpuE0ELNS1_3repE0EEENS1_30default_config_static_selectorELNS0_4arch9wavefront6targetE0EEEvT1_
                                        ; -- End function
	.set _ZN7rocprim17ROCPRIM_400000_NS6detail17trampoline_kernelINS0_14default_configENS1_25transform_config_selectorItLb1EEEZNS1_14transform_implILb1ES3_S5_PtS7_NS0_8identityItEEEE10hipError_tT2_T3_mT4_P12ihipStream_tbEUlT_E_NS1_11comp_targetILNS1_3genE0ELNS1_11target_archE4294967295ELNS1_3gpuE0ELNS1_3repE0EEENS1_30default_config_static_selectorELNS0_4arch9wavefront6targetE0EEEvT1_.num_vgpr, 6
	.set _ZN7rocprim17ROCPRIM_400000_NS6detail17trampoline_kernelINS0_14default_configENS1_25transform_config_selectorItLb1EEEZNS1_14transform_implILb1ES3_S5_PtS7_NS0_8identityItEEEE10hipError_tT2_T3_mT4_P12ihipStream_tbEUlT_E_NS1_11comp_targetILNS1_3genE0ELNS1_11target_archE4294967295ELNS1_3gpuE0ELNS1_3repE0EEENS1_30default_config_static_selectorELNS0_4arch9wavefront6targetE0EEEvT1_.num_agpr, 0
	.set _ZN7rocprim17ROCPRIM_400000_NS6detail17trampoline_kernelINS0_14default_configENS1_25transform_config_selectorItLb1EEEZNS1_14transform_implILb1ES3_S5_PtS7_NS0_8identityItEEEE10hipError_tT2_T3_mT4_P12ihipStream_tbEUlT_E_NS1_11comp_targetILNS1_3genE0ELNS1_11target_archE4294967295ELNS1_3gpuE0ELNS1_3repE0EEENS1_30default_config_static_selectorELNS0_4arch9wavefront6targetE0EEEvT1_.numbered_sgpr, 15
	.set _ZN7rocprim17ROCPRIM_400000_NS6detail17trampoline_kernelINS0_14default_configENS1_25transform_config_selectorItLb1EEEZNS1_14transform_implILb1ES3_S5_PtS7_NS0_8identityItEEEE10hipError_tT2_T3_mT4_P12ihipStream_tbEUlT_E_NS1_11comp_targetILNS1_3genE0ELNS1_11target_archE4294967295ELNS1_3gpuE0ELNS1_3repE0EEENS1_30default_config_static_selectorELNS0_4arch9wavefront6targetE0EEEvT1_.num_named_barrier, 0
	.set _ZN7rocprim17ROCPRIM_400000_NS6detail17trampoline_kernelINS0_14default_configENS1_25transform_config_selectorItLb1EEEZNS1_14transform_implILb1ES3_S5_PtS7_NS0_8identityItEEEE10hipError_tT2_T3_mT4_P12ihipStream_tbEUlT_E_NS1_11comp_targetILNS1_3genE0ELNS1_11target_archE4294967295ELNS1_3gpuE0ELNS1_3repE0EEENS1_30default_config_static_selectorELNS0_4arch9wavefront6targetE0EEEvT1_.private_seg_size, 0
	.set _ZN7rocprim17ROCPRIM_400000_NS6detail17trampoline_kernelINS0_14default_configENS1_25transform_config_selectorItLb1EEEZNS1_14transform_implILb1ES3_S5_PtS7_NS0_8identityItEEEE10hipError_tT2_T3_mT4_P12ihipStream_tbEUlT_E_NS1_11comp_targetILNS1_3genE0ELNS1_11target_archE4294967295ELNS1_3gpuE0ELNS1_3repE0EEENS1_30default_config_static_selectorELNS0_4arch9wavefront6targetE0EEEvT1_.uses_vcc, 1
	.set _ZN7rocprim17ROCPRIM_400000_NS6detail17trampoline_kernelINS0_14default_configENS1_25transform_config_selectorItLb1EEEZNS1_14transform_implILb1ES3_S5_PtS7_NS0_8identityItEEEE10hipError_tT2_T3_mT4_P12ihipStream_tbEUlT_E_NS1_11comp_targetILNS1_3genE0ELNS1_11target_archE4294967295ELNS1_3gpuE0ELNS1_3repE0EEENS1_30default_config_static_selectorELNS0_4arch9wavefront6targetE0EEEvT1_.uses_flat_scratch, 0
	.set _ZN7rocprim17ROCPRIM_400000_NS6detail17trampoline_kernelINS0_14default_configENS1_25transform_config_selectorItLb1EEEZNS1_14transform_implILb1ES3_S5_PtS7_NS0_8identityItEEEE10hipError_tT2_T3_mT4_P12ihipStream_tbEUlT_E_NS1_11comp_targetILNS1_3genE0ELNS1_11target_archE4294967295ELNS1_3gpuE0ELNS1_3repE0EEENS1_30default_config_static_selectorELNS0_4arch9wavefront6targetE0EEEvT1_.has_dyn_sized_stack, 0
	.set _ZN7rocprim17ROCPRIM_400000_NS6detail17trampoline_kernelINS0_14default_configENS1_25transform_config_selectorItLb1EEEZNS1_14transform_implILb1ES3_S5_PtS7_NS0_8identityItEEEE10hipError_tT2_T3_mT4_P12ihipStream_tbEUlT_E_NS1_11comp_targetILNS1_3genE0ELNS1_11target_archE4294967295ELNS1_3gpuE0ELNS1_3repE0EEENS1_30default_config_static_selectorELNS0_4arch9wavefront6targetE0EEEvT1_.has_recursion, 0
	.set _ZN7rocprim17ROCPRIM_400000_NS6detail17trampoline_kernelINS0_14default_configENS1_25transform_config_selectorItLb1EEEZNS1_14transform_implILb1ES3_S5_PtS7_NS0_8identityItEEEE10hipError_tT2_T3_mT4_P12ihipStream_tbEUlT_E_NS1_11comp_targetILNS1_3genE0ELNS1_11target_archE4294967295ELNS1_3gpuE0ELNS1_3repE0EEENS1_30default_config_static_selectorELNS0_4arch9wavefront6targetE0EEEvT1_.has_indirect_call, 0
	.section	.AMDGPU.csdata,"",@progbits
; Kernel info:
; codeLenInByte = 660
; TotalNumSgprs: 17
; NumVgprs: 6
; ScratchSize: 0
; MemoryBound: 0
; FloatMode: 240
; IeeeMode: 1
; LDSByteSize: 0 bytes/workgroup (compile time only)
; SGPRBlocks: 0
; VGPRBlocks: 0
; NumSGPRsForWavesPerEU: 17
; NumVGPRsForWavesPerEU: 6
; NamedBarCnt: 0
; Occupancy: 16
; WaveLimiterHint : 0
; COMPUTE_PGM_RSRC2:SCRATCH_EN: 0
; COMPUTE_PGM_RSRC2:USER_SGPR: 2
; COMPUTE_PGM_RSRC2:TRAP_HANDLER: 0
; COMPUTE_PGM_RSRC2:TGID_X_EN: 1
; COMPUTE_PGM_RSRC2:TGID_Y_EN: 0
; COMPUTE_PGM_RSRC2:TGID_Z_EN: 0
; COMPUTE_PGM_RSRC2:TIDIG_COMP_CNT: 0
	.section	.text._ZN7rocprim17ROCPRIM_400000_NS6detail17trampoline_kernelINS0_14default_configENS1_25transform_config_selectorItLb1EEEZNS1_14transform_implILb1ES3_S5_PtS7_NS0_8identityItEEEE10hipError_tT2_T3_mT4_P12ihipStream_tbEUlT_E_NS1_11comp_targetILNS1_3genE10ELNS1_11target_archE1201ELNS1_3gpuE5ELNS1_3repE0EEENS1_30default_config_static_selectorELNS0_4arch9wavefront6targetE0EEEvT1_,"axG",@progbits,_ZN7rocprim17ROCPRIM_400000_NS6detail17trampoline_kernelINS0_14default_configENS1_25transform_config_selectorItLb1EEEZNS1_14transform_implILb1ES3_S5_PtS7_NS0_8identityItEEEE10hipError_tT2_T3_mT4_P12ihipStream_tbEUlT_E_NS1_11comp_targetILNS1_3genE10ELNS1_11target_archE1201ELNS1_3gpuE5ELNS1_3repE0EEENS1_30default_config_static_selectorELNS0_4arch9wavefront6targetE0EEEvT1_,comdat
	.protected	_ZN7rocprim17ROCPRIM_400000_NS6detail17trampoline_kernelINS0_14default_configENS1_25transform_config_selectorItLb1EEEZNS1_14transform_implILb1ES3_S5_PtS7_NS0_8identityItEEEE10hipError_tT2_T3_mT4_P12ihipStream_tbEUlT_E_NS1_11comp_targetILNS1_3genE10ELNS1_11target_archE1201ELNS1_3gpuE5ELNS1_3repE0EEENS1_30default_config_static_selectorELNS0_4arch9wavefront6targetE0EEEvT1_ ; -- Begin function _ZN7rocprim17ROCPRIM_400000_NS6detail17trampoline_kernelINS0_14default_configENS1_25transform_config_selectorItLb1EEEZNS1_14transform_implILb1ES3_S5_PtS7_NS0_8identityItEEEE10hipError_tT2_T3_mT4_P12ihipStream_tbEUlT_E_NS1_11comp_targetILNS1_3genE10ELNS1_11target_archE1201ELNS1_3gpuE5ELNS1_3repE0EEENS1_30default_config_static_selectorELNS0_4arch9wavefront6targetE0EEEvT1_
	.globl	_ZN7rocprim17ROCPRIM_400000_NS6detail17trampoline_kernelINS0_14default_configENS1_25transform_config_selectorItLb1EEEZNS1_14transform_implILb1ES3_S5_PtS7_NS0_8identityItEEEE10hipError_tT2_T3_mT4_P12ihipStream_tbEUlT_E_NS1_11comp_targetILNS1_3genE10ELNS1_11target_archE1201ELNS1_3gpuE5ELNS1_3repE0EEENS1_30default_config_static_selectorELNS0_4arch9wavefront6targetE0EEEvT1_
	.p2align	8
	.type	_ZN7rocprim17ROCPRIM_400000_NS6detail17trampoline_kernelINS0_14default_configENS1_25transform_config_selectorItLb1EEEZNS1_14transform_implILb1ES3_S5_PtS7_NS0_8identityItEEEE10hipError_tT2_T3_mT4_P12ihipStream_tbEUlT_E_NS1_11comp_targetILNS1_3genE10ELNS1_11target_archE1201ELNS1_3gpuE5ELNS1_3repE0EEENS1_30default_config_static_selectorELNS0_4arch9wavefront6targetE0EEEvT1_,@function
_ZN7rocprim17ROCPRIM_400000_NS6detail17trampoline_kernelINS0_14default_configENS1_25transform_config_selectorItLb1EEEZNS1_14transform_implILb1ES3_S5_PtS7_NS0_8identityItEEEE10hipError_tT2_T3_mT4_P12ihipStream_tbEUlT_E_NS1_11comp_targetILNS1_3genE10ELNS1_11target_archE1201ELNS1_3gpuE5ELNS1_3repE0EEENS1_30default_config_static_selectorELNS0_4arch9wavefront6targetE0EEEvT1_: ; @_ZN7rocprim17ROCPRIM_400000_NS6detail17trampoline_kernelINS0_14default_configENS1_25transform_config_selectorItLb1EEEZNS1_14transform_implILb1ES3_S5_PtS7_NS0_8identityItEEEE10hipError_tT2_T3_mT4_P12ihipStream_tbEUlT_E_NS1_11comp_targetILNS1_3genE10ELNS1_11target_archE1201ELNS1_3gpuE5ELNS1_3repE0EEENS1_30default_config_static_selectorELNS0_4arch9wavefront6targetE0EEEvT1_
; %bb.0:
	.section	.rodata,"a",@progbits
	.p2align	6, 0x0
	.amdhsa_kernel _ZN7rocprim17ROCPRIM_400000_NS6detail17trampoline_kernelINS0_14default_configENS1_25transform_config_selectorItLb1EEEZNS1_14transform_implILb1ES3_S5_PtS7_NS0_8identityItEEEE10hipError_tT2_T3_mT4_P12ihipStream_tbEUlT_E_NS1_11comp_targetILNS1_3genE10ELNS1_11target_archE1201ELNS1_3gpuE5ELNS1_3repE0EEENS1_30default_config_static_selectorELNS0_4arch9wavefront6targetE0EEEvT1_
		.amdhsa_group_segment_fixed_size 0
		.amdhsa_private_segment_fixed_size 0
		.amdhsa_kernarg_size 40
		.amdhsa_user_sgpr_count 2
		.amdhsa_user_sgpr_dispatch_ptr 0
		.amdhsa_user_sgpr_queue_ptr 0
		.amdhsa_user_sgpr_kernarg_segment_ptr 1
		.amdhsa_user_sgpr_dispatch_id 0
		.amdhsa_user_sgpr_kernarg_preload_length 0
		.amdhsa_user_sgpr_kernarg_preload_offset 0
		.amdhsa_user_sgpr_private_segment_size 0
		.amdhsa_wavefront_size32 1
		.amdhsa_uses_dynamic_stack 0
		.amdhsa_enable_private_segment 0
		.amdhsa_system_sgpr_workgroup_id_x 1
		.amdhsa_system_sgpr_workgroup_id_y 0
		.amdhsa_system_sgpr_workgroup_id_z 0
		.amdhsa_system_sgpr_workgroup_info 0
		.amdhsa_system_vgpr_workitem_id 0
		.amdhsa_next_free_vgpr 1
		.amdhsa_next_free_sgpr 1
		.amdhsa_named_barrier_count 0
		.amdhsa_reserve_vcc 0
		.amdhsa_float_round_mode_32 0
		.amdhsa_float_round_mode_16_64 0
		.amdhsa_float_denorm_mode_32 3
		.amdhsa_float_denorm_mode_16_64 3
		.amdhsa_fp16_overflow 0
		.amdhsa_memory_ordered 1
		.amdhsa_forward_progress 1
		.amdhsa_inst_pref_size 0
		.amdhsa_round_robin_scheduling 0
		.amdhsa_exception_fp_ieee_invalid_op 0
		.amdhsa_exception_fp_denorm_src 0
		.amdhsa_exception_fp_ieee_div_zero 0
		.amdhsa_exception_fp_ieee_overflow 0
		.amdhsa_exception_fp_ieee_underflow 0
		.amdhsa_exception_fp_ieee_inexact 0
		.amdhsa_exception_int_div_zero 0
	.end_amdhsa_kernel
	.section	.text._ZN7rocprim17ROCPRIM_400000_NS6detail17trampoline_kernelINS0_14default_configENS1_25transform_config_selectorItLb1EEEZNS1_14transform_implILb1ES3_S5_PtS7_NS0_8identityItEEEE10hipError_tT2_T3_mT4_P12ihipStream_tbEUlT_E_NS1_11comp_targetILNS1_3genE10ELNS1_11target_archE1201ELNS1_3gpuE5ELNS1_3repE0EEENS1_30default_config_static_selectorELNS0_4arch9wavefront6targetE0EEEvT1_,"axG",@progbits,_ZN7rocprim17ROCPRIM_400000_NS6detail17trampoline_kernelINS0_14default_configENS1_25transform_config_selectorItLb1EEEZNS1_14transform_implILb1ES3_S5_PtS7_NS0_8identityItEEEE10hipError_tT2_T3_mT4_P12ihipStream_tbEUlT_E_NS1_11comp_targetILNS1_3genE10ELNS1_11target_archE1201ELNS1_3gpuE5ELNS1_3repE0EEENS1_30default_config_static_selectorELNS0_4arch9wavefront6targetE0EEEvT1_,comdat
.Lfunc_end2329:
	.size	_ZN7rocprim17ROCPRIM_400000_NS6detail17trampoline_kernelINS0_14default_configENS1_25transform_config_selectorItLb1EEEZNS1_14transform_implILb1ES3_S5_PtS7_NS0_8identityItEEEE10hipError_tT2_T3_mT4_P12ihipStream_tbEUlT_E_NS1_11comp_targetILNS1_3genE10ELNS1_11target_archE1201ELNS1_3gpuE5ELNS1_3repE0EEENS1_30default_config_static_selectorELNS0_4arch9wavefront6targetE0EEEvT1_, .Lfunc_end2329-_ZN7rocprim17ROCPRIM_400000_NS6detail17trampoline_kernelINS0_14default_configENS1_25transform_config_selectorItLb1EEEZNS1_14transform_implILb1ES3_S5_PtS7_NS0_8identityItEEEE10hipError_tT2_T3_mT4_P12ihipStream_tbEUlT_E_NS1_11comp_targetILNS1_3genE10ELNS1_11target_archE1201ELNS1_3gpuE5ELNS1_3repE0EEENS1_30default_config_static_selectorELNS0_4arch9wavefront6targetE0EEEvT1_
                                        ; -- End function
	.set _ZN7rocprim17ROCPRIM_400000_NS6detail17trampoline_kernelINS0_14default_configENS1_25transform_config_selectorItLb1EEEZNS1_14transform_implILb1ES3_S5_PtS7_NS0_8identityItEEEE10hipError_tT2_T3_mT4_P12ihipStream_tbEUlT_E_NS1_11comp_targetILNS1_3genE10ELNS1_11target_archE1201ELNS1_3gpuE5ELNS1_3repE0EEENS1_30default_config_static_selectorELNS0_4arch9wavefront6targetE0EEEvT1_.num_vgpr, 0
	.set _ZN7rocprim17ROCPRIM_400000_NS6detail17trampoline_kernelINS0_14default_configENS1_25transform_config_selectorItLb1EEEZNS1_14transform_implILb1ES3_S5_PtS7_NS0_8identityItEEEE10hipError_tT2_T3_mT4_P12ihipStream_tbEUlT_E_NS1_11comp_targetILNS1_3genE10ELNS1_11target_archE1201ELNS1_3gpuE5ELNS1_3repE0EEENS1_30default_config_static_selectorELNS0_4arch9wavefront6targetE0EEEvT1_.num_agpr, 0
	.set _ZN7rocprim17ROCPRIM_400000_NS6detail17trampoline_kernelINS0_14default_configENS1_25transform_config_selectorItLb1EEEZNS1_14transform_implILb1ES3_S5_PtS7_NS0_8identityItEEEE10hipError_tT2_T3_mT4_P12ihipStream_tbEUlT_E_NS1_11comp_targetILNS1_3genE10ELNS1_11target_archE1201ELNS1_3gpuE5ELNS1_3repE0EEENS1_30default_config_static_selectorELNS0_4arch9wavefront6targetE0EEEvT1_.numbered_sgpr, 0
	.set _ZN7rocprim17ROCPRIM_400000_NS6detail17trampoline_kernelINS0_14default_configENS1_25transform_config_selectorItLb1EEEZNS1_14transform_implILb1ES3_S5_PtS7_NS0_8identityItEEEE10hipError_tT2_T3_mT4_P12ihipStream_tbEUlT_E_NS1_11comp_targetILNS1_3genE10ELNS1_11target_archE1201ELNS1_3gpuE5ELNS1_3repE0EEENS1_30default_config_static_selectorELNS0_4arch9wavefront6targetE0EEEvT1_.num_named_barrier, 0
	.set _ZN7rocprim17ROCPRIM_400000_NS6detail17trampoline_kernelINS0_14default_configENS1_25transform_config_selectorItLb1EEEZNS1_14transform_implILb1ES3_S5_PtS7_NS0_8identityItEEEE10hipError_tT2_T3_mT4_P12ihipStream_tbEUlT_E_NS1_11comp_targetILNS1_3genE10ELNS1_11target_archE1201ELNS1_3gpuE5ELNS1_3repE0EEENS1_30default_config_static_selectorELNS0_4arch9wavefront6targetE0EEEvT1_.private_seg_size, 0
	.set _ZN7rocprim17ROCPRIM_400000_NS6detail17trampoline_kernelINS0_14default_configENS1_25transform_config_selectorItLb1EEEZNS1_14transform_implILb1ES3_S5_PtS7_NS0_8identityItEEEE10hipError_tT2_T3_mT4_P12ihipStream_tbEUlT_E_NS1_11comp_targetILNS1_3genE10ELNS1_11target_archE1201ELNS1_3gpuE5ELNS1_3repE0EEENS1_30default_config_static_selectorELNS0_4arch9wavefront6targetE0EEEvT1_.uses_vcc, 0
	.set _ZN7rocprim17ROCPRIM_400000_NS6detail17trampoline_kernelINS0_14default_configENS1_25transform_config_selectorItLb1EEEZNS1_14transform_implILb1ES3_S5_PtS7_NS0_8identityItEEEE10hipError_tT2_T3_mT4_P12ihipStream_tbEUlT_E_NS1_11comp_targetILNS1_3genE10ELNS1_11target_archE1201ELNS1_3gpuE5ELNS1_3repE0EEENS1_30default_config_static_selectorELNS0_4arch9wavefront6targetE0EEEvT1_.uses_flat_scratch, 0
	.set _ZN7rocprim17ROCPRIM_400000_NS6detail17trampoline_kernelINS0_14default_configENS1_25transform_config_selectorItLb1EEEZNS1_14transform_implILb1ES3_S5_PtS7_NS0_8identityItEEEE10hipError_tT2_T3_mT4_P12ihipStream_tbEUlT_E_NS1_11comp_targetILNS1_3genE10ELNS1_11target_archE1201ELNS1_3gpuE5ELNS1_3repE0EEENS1_30default_config_static_selectorELNS0_4arch9wavefront6targetE0EEEvT1_.has_dyn_sized_stack, 0
	.set _ZN7rocprim17ROCPRIM_400000_NS6detail17trampoline_kernelINS0_14default_configENS1_25transform_config_selectorItLb1EEEZNS1_14transform_implILb1ES3_S5_PtS7_NS0_8identityItEEEE10hipError_tT2_T3_mT4_P12ihipStream_tbEUlT_E_NS1_11comp_targetILNS1_3genE10ELNS1_11target_archE1201ELNS1_3gpuE5ELNS1_3repE0EEENS1_30default_config_static_selectorELNS0_4arch9wavefront6targetE0EEEvT1_.has_recursion, 0
	.set _ZN7rocprim17ROCPRIM_400000_NS6detail17trampoline_kernelINS0_14default_configENS1_25transform_config_selectorItLb1EEEZNS1_14transform_implILb1ES3_S5_PtS7_NS0_8identityItEEEE10hipError_tT2_T3_mT4_P12ihipStream_tbEUlT_E_NS1_11comp_targetILNS1_3genE10ELNS1_11target_archE1201ELNS1_3gpuE5ELNS1_3repE0EEENS1_30default_config_static_selectorELNS0_4arch9wavefront6targetE0EEEvT1_.has_indirect_call, 0
	.section	.AMDGPU.csdata,"",@progbits
; Kernel info:
; codeLenInByte = 0
; TotalNumSgprs: 0
; NumVgprs: 0
; ScratchSize: 0
; MemoryBound: 0
; FloatMode: 240
; IeeeMode: 1
; LDSByteSize: 0 bytes/workgroup (compile time only)
; SGPRBlocks: 0
; VGPRBlocks: 0
; NumSGPRsForWavesPerEU: 1
; NumVGPRsForWavesPerEU: 1
; NamedBarCnt: 0
; Occupancy: 16
; WaveLimiterHint : 0
; COMPUTE_PGM_RSRC2:SCRATCH_EN: 0
; COMPUTE_PGM_RSRC2:USER_SGPR: 2
; COMPUTE_PGM_RSRC2:TRAP_HANDLER: 0
; COMPUTE_PGM_RSRC2:TGID_X_EN: 1
; COMPUTE_PGM_RSRC2:TGID_Y_EN: 0
; COMPUTE_PGM_RSRC2:TGID_Z_EN: 0
; COMPUTE_PGM_RSRC2:TIDIG_COMP_CNT: 0
	.section	.text._ZN7rocprim17ROCPRIM_400000_NS6detail17trampoline_kernelINS0_14default_configENS1_25transform_config_selectorItLb1EEEZNS1_14transform_implILb1ES3_S5_PtS7_NS0_8identityItEEEE10hipError_tT2_T3_mT4_P12ihipStream_tbEUlT_E_NS1_11comp_targetILNS1_3genE5ELNS1_11target_archE942ELNS1_3gpuE9ELNS1_3repE0EEENS1_30default_config_static_selectorELNS0_4arch9wavefront6targetE0EEEvT1_,"axG",@progbits,_ZN7rocprim17ROCPRIM_400000_NS6detail17trampoline_kernelINS0_14default_configENS1_25transform_config_selectorItLb1EEEZNS1_14transform_implILb1ES3_S5_PtS7_NS0_8identityItEEEE10hipError_tT2_T3_mT4_P12ihipStream_tbEUlT_E_NS1_11comp_targetILNS1_3genE5ELNS1_11target_archE942ELNS1_3gpuE9ELNS1_3repE0EEENS1_30default_config_static_selectorELNS0_4arch9wavefront6targetE0EEEvT1_,comdat
	.protected	_ZN7rocprim17ROCPRIM_400000_NS6detail17trampoline_kernelINS0_14default_configENS1_25transform_config_selectorItLb1EEEZNS1_14transform_implILb1ES3_S5_PtS7_NS0_8identityItEEEE10hipError_tT2_T3_mT4_P12ihipStream_tbEUlT_E_NS1_11comp_targetILNS1_3genE5ELNS1_11target_archE942ELNS1_3gpuE9ELNS1_3repE0EEENS1_30default_config_static_selectorELNS0_4arch9wavefront6targetE0EEEvT1_ ; -- Begin function _ZN7rocprim17ROCPRIM_400000_NS6detail17trampoline_kernelINS0_14default_configENS1_25transform_config_selectorItLb1EEEZNS1_14transform_implILb1ES3_S5_PtS7_NS0_8identityItEEEE10hipError_tT2_T3_mT4_P12ihipStream_tbEUlT_E_NS1_11comp_targetILNS1_3genE5ELNS1_11target_archE942ELNS1_3gpuE9ELNS1_3repE0EEENS1_30default_config_static_selectorELNS0_4arch9wavefront6targetE0EEEvT1_
	.globl	_ZN7rocprim17ROCPRIM_400000_NS6detail17trampoline_kernelINS0_14default_configENS1_25transform_config_selectorItLb1EEEZNS1_14transform_implILb1ES3_S5_PtS7_NS0_8identityItEEEE10hipError_tT2_T3_mT4_P12ihipStream_tbEUlT_E_NS1_11comp_targetILNS1_3genE5ELNS1_11target_archE942ELNS1_3gpuE9ELNS1_3repE0EEENS1_30default_config_static_selectorELNS0_4arch9wavefront6targetE0EEEvT1_
	.p2align	8
	.type	_ZN7rocprim17ROCPRIM_400000_NS6detail17trampoline_kernelINS0_14default_configENS1_25transform_config_selectorItLb1EEEZNS1_14transform_implILb1ES3_S5_PtS7_NS0_8identityItEEEE10hipError_tT2_T3_mT4_P12ihipStream_tbEUlT_E_NS1_11comp_targetILNS1_3genE5ELNS1_11target_archE942ELNS1_3gpuE9ELNS1_3repE0EEENS1_30default_config_static_selectorELNS0_4arch9wavefront6targetE0EEEvT1_,@function
_ZN7rocprim17ROCPRIM_400000_NS6detail17trampoline_kernelINS0_14default_configENS1_25transform_config_selectorItLb1EEEZNS1_14transform_implILb1ES3_S5_PtS7_NS0_8identityItEEEE10hipError_tT2_T3_mT4_P12ihipStream_tbEUlT_E_NS1_11comp_targetILNS1_3genE5ELNS1_11target_archE942ELNS1_3gpuE9ELNS1_3repE0EEENS1_30default_config_static_selectorELNS0_4arch9wavefront6targetE0EEEvT1_: ; @_ZN7rocprim17ROCPRIM_400000_NS6detail17trampoline_kernelINS0_14default_configENS1_25transform_config_selectorItLb1EEEZNS1_14transform_implILb1ES3_S5_PtS7_NS0_8identityItEEEE10hipError_tT2_T3_mT4_P12ihipStream_tbEUlT_E_NS1_11comp_targetILNS1_3genE5ELNS1_11target_archE942ELNS1_3gpuE9ELNS1_3repE0EEENS1_30default_config_static_selectorELNS0_4arch9wavefront6targetE0EEEvT1_
; %bb.0:
	.section	.rodata,"a",@progbits
	.p2align	6, 0x0
	.amdhsa_kernel _ZN7rocprim17ROCPRIM_400000_NS6detail17trampoline_kernelINS0_14default_configENS1_25transform_config_selectorItLb1EEEZNS1_14transform_implILb1ES3_S5_PtS7_NS0_8identityItEEEE10hipError_tT2_T3_mT4_P12ihipStream_tbEUlT_E_NS1_11comp_targetILNS1_3genE5ELNS1_11target_archE942ELNS1_3gpuE9ELNS1_3repE0EEENS1_30default_config_static_selectorELNS0_4arch9wavefront6targetE0EEEvT1_
		.amdhsa_group_segment_fixed_size 0
		.amdhsa_private_segment_fixed_size 0
		.amdhsa_kernarg_size 40
		.amdhsa_user_sgpr_count 2
		.amdhsa_user_sgpr_dispatch_ptr 0
		.amdhsa_user_sgpr_queue_ptr 0
		.amdhsa_user_sgpr_kernarg_segment_ptr 1
		.amdhsa_user_sgpr_dispatch_id 0
		.amdhsa_user_sgpr_kernarg_preload_length 0
		.amdhsa_user_sgpr_kernarg_preload_offset 0
		.amdhsa_user_sgpr_private_segment_size 0
		.amdhsa_wavefront_size32 1
		.amdhsa_uses_dynamic_stack 0
		.amdhsa_enable_private_segment 0
		.amdhsa_system_sgpr_workgroup_id_x 1
		.amdhsa_system_sgpr_workgroup_id_y 0
		.amdhsa_system_sgpr_workgroup_id_z 0
		.amdhsa_system_sgpr_workgroup_info 0
		.amdhsa_system_vgpr_workitem_id 0
		.amdhsa_next_free_vgpr 1
		.amdhsa_next_free_sgpr 1
		.amdhsa_named_barrier_count 0
		.amdhsa_reserve_vcc 0
		.amdhsa_float_round_mode_32 0
		.amdhsa_float_round_mode_16_64 0
		.amdhsa_float_denorm_mode_32 3
		.amdhsa_float_denorm_mode_16_64 3
		.amdhsa_fp16_overflow 0
		.amdhsa_memory_ordered 1
		.amdhsa_forward_progress 1
		.amdhsa_inst_pref_size 0
		.amdhsa_round_robin_scheduling 0
		.amdhsa_exception_fp_ieee_invalid_op 0
		.amdhsa_exception_fp_denorm_src 0
		.amdhsa_exception_fp_ieee_div_zero 0
		.amdhsa_exception_fp_ieee_overflow 0
		.amdhsa_exception_fp_ieee_underflow 0
		.amdhsa_exception_fp_ieee_inexact 0
		.amdhsa_exception_int_div_zero 0
	.end_amdhsa_kernel
	.section	.text._ZN7rocprim17ROCPRIM_400000_NS6detail17trampoline_kernelINS0_14default_configENS1_25transform_config_selectorItLb1EEEZNS1_14transform_implILb1ES3_S5_PtS7_NS0_8identityItEEEE10hipError_tT2_T3_mT4_P12ihipStream_tbEUlT_E_NS1_11comp_targetILNS1_3genE5ELNS1_11target_archE942ELNS1_3gpuE9ELNS1_3repE0EEENS1_30default_config_static_selectorELNS0_4arch9wavefront6targetE0EEEvT1_,"axG",@progbits,_ZN7rocprim17ROCPRIM_400000_NS6detail17trampoline_kernelINS0_14default_configENS1_25transform_config_selectorItLb1EEEZNS1_14transform_implILb1ES3_S5_PtS7_NS0_8identityItEEEE10hipError_tT2_T3_mT4_P12ihipStream_tbEUlT_E_NS1_11comp_targetILNS1_3genE5ELNS1_11target_archE942ELNS1_3gpuE9ELNS1_3repE0EEENS1_30default_config_static_selectorELNS0_4arch9wavefront6targetE0EEEvT1_,comdat
.Lfunc_end2330:
	.size	_ZN7rocprim17ROCPRIM_400000_NS6detail17trampoline_kernelINS0_14default_configENS1_25transform_config_selectorItLb1EEEZNS1_14transform_implILb1ES3_S5_PtS7_NS0_8identityItEEEE10hipError_tT2_T3_mT4_P12ihipStream_tbEUlT_E_NS1_11comp_targetILNS1_3genE5ELNS1_11target_archE942ELNS1_3gpuE9ELNS1_3repE0EEENS1_30default_config_static_selectorELNS0_4arch9wavefront6targetE0EEEvT1_, .Lfunc_end2330-_ZN7rocprim17ROCPRIM_400000_NS6detail17trampoline_kernelINS0_14default_configENS1_25transform_config_selectorItLb1EEEZNS1_14transform_implILb1ES3_S5_PtS7_NS0_8identityItEEEE10hipError_tT2_T3_mT4_P12ihipStream_tbEUlT_E_NS1_11comp_targetILNS1_3genE5ELNS1_11target_archE942ELNS1_3gpuE9ELNS1_3repE0EEENS1_30default_config_static_selectorELNS0_4arch9wavefront6targetE0EEEvT1_
                                        ; -- End function
	.set _ZN7rocprim17ROCPRIM_400000_NS6detail17trampoline_kernelINS0_14default_configENS1_25transform_config_selectorItLb1EEEZNS1_14transform_implILb1ES3_S5_PtS7_NS0_8identityItEEEE10hipError_tT2_T3_mT4_P12ihipStream_tbEUlT_E_NS1_11comp_targetILNS1_3genE5ELNS1_11target_archE942ELNS1_3gpuE9ELNS1_3repE0EEENS1_30default_config_static_selectorELNS0_4arch9wavefront6targetE0EEEvT1_.num_vgpr, 0
	.set _ZN7rocprim17ROCPRIM_400000_NS6detail17trampoline_kernelINS0_14default_configENS1_25transform_config_selectorItLb1EEEZNS1_14transform_implILb1ES3_S5_PtS7_NS0_8identityItEEEE10hipError_tT2_T3_mT4_P12ihipStream_tbEUlT_E_NS1_11comp_targetILNS1_3genE5ELNS1_11target_archE942ELNS1_3gpuE9ELNS1_3repE0EEENS1_30default_config_static_selectorELNS0_4arch9wavefront6targetE0EEEvT1_.num_agpr, 0
	.set _ZN7rocprim17ROCPRIM_400000_NS6detail17trampoline_kernelINS0_14default_configENS1_25transform_config_selectorItLb1EEEZNS1_14transform_implILb1ES3_S5_PtS7_NS0_8identityItEEEE10hipError_tT2_T3_mT4_P12ihipStream_tbEUlT_E_NS1_11comp_targetILNS1_3genE5ELNS1_11target_archE942ELNS1_3gpuE9ELNS1_3repE0EEENS1_30default_config_static_selectorELNS0_4arch9wavefront6targetE0EEEvT1_.numbered_sgpr, 0
	.set _ZN7rocprim17ROCPRIM_400000_NS6detail17trampoline_kernelINS0_14default_configENS1_25transform_config_selectorItLb1EEEZNS1_14transform_implILb1ES3_S5_PtS7_NS0_8identityItEEEE10hipError_tT2_T3_mT4_P12ihipStream_tbEUlT_E_NS1_11comp_targetILNS1_3genE5ELNS1_11target_archE942ELNS1_3gpuE9ELNS1_3repE0EEENS1_30default_config_static_selectorELNS0_4arch9wavefront6targetE0EEEvT1_.num_named_barrier, 0
	.set _ZN7rocprim17ROCPRIM_400000_NS6detail17trampoline_kernelINS0_14default_configENS1_25transform_config_selectorItLb1EEEZNS1_14transform_implILb1ES3_S5_PtS7_NS0_8identityItEEEE10hipError_tT2_T3_mT4_P12ihipStream_tbEUlT_E_NS1_11comp_targetILNS1_3genE5ELNS1_11target_archE942ELNS1_3gpuE9ELNS1_3repE0EEENS1_30default_config_static_selectorELNS0_4arch9wavefront6targetE0EEEvT1_.private_seg_size, 0
	.set _ZN7rocprim17ROCPRIM_400000_NS6detail17trampoline_kernelINS0_14default_configENS1_25transform_config_selectorItLb1EEEZNS1_14transform_implILb1ES3_S5_PtS7_NS0_8identityItEEEE10hipError_tT2_T3_mT4_P12ihipStream_tbEUlT_E_NS1_11comp_targetILNS1_3genE5ELNS1_11target_archE942ELNS1_3gpuE9ELNS1_3repE0EEENS1_30default_config_static_selectorELNS0_4arch9wavefront6targetE0EEEvT1_.uses_vcc, 0
	.set _ZN7rocprim17ROCPRIM_400000_NS6detail17trampoline_kernelINS0_14default_configENS1_25transform_config_selectorItLb1EEEZNS1_14transform_implILb1ES3_S5_PtS7_NS0_8identityItEEEE10hipError_tT2_T3_mT4_P12ihipStream_tbEUlT_E_NS1_11comp_targetILNS1_3genE5ELNS1_11target_archE942ELNS1_3gpuE9ELNS1_3repE0EEENS1_30default_config_static_selectorELNS0_4arch9wavefront6targetE0EEEvT1_.uses_flat_scratch, 0
	.set _ZN7rocprim17ROCPRIM_400000_NS6detail17trampoline_kernelINS0_14default_configENS1_25transform_config_selectorItLb1EEEZNS1_14transform_implILb1ES3_S5_PtS7_NS0_8identityItEEEE10hipError_tT2_T3_mT4_P12ihipStream_tbEUlT_E_NS1_11comp_targetILNS1_3genE5ELNS1_11target_archE942ELNS1_3gpuE9ELNS1_3repE0EEENS1_30default_config_static_selectorELNS0_4arch9wavefront6targetE0EEEvT1_.has_dyn_sized_stack, 0
	.set _ZN7rocprim17ROCPRIM_400000_NS6detail17trampoline_kernelINS0_14default_configENS1_25transform_config_selectorItLb1EEEZNS1_14transform_implILb1ES3_S5_PtS7_NS0_8identityItEEEE10hipError_tT2_T3_mT4_P12ihipStream_tbEUlT_E_NS1_11comp_targetILNS1_3genE5ELNS1_11target_archE942ELNS1_3gpuE9ELNS1_3repE0EEENS1_30default_config_static_selectorELNS0_4arch9wavefront6targetE0EEEvT1_.has_recursion, 0
	.set _ZN7rocprim17ROCPRIM_400000_NS6detail17trampoline_kernelINS0_14default_configENS1_25transform_config_selectorItLb1EEEZNS1_14transform_implILb1ES3_S5_PtS7_NS0_8identityItEEEE10hipError_tT2_T3_mT4_P12ihipStream_tbEUlT_E_NS1_11comp_targetILNS1_3genE5ELNS1_11target_archE942ELNS1_3gpuE9ELNS1_3repE0EEENS1_30default_config_static_selectorELNS0_4arch9wavefront6targetE0EEEvT1_.has_indirect_call, 0
	.section	.AMDGPU.csdata,"",@progbits
; Kernel info:
; codeLenInByte = 0
; TotalNumSgprs: 0
; NumVgprs: 0
; ScratchSize: 0
; MemoryBound: 0
; FloatMode: 240
; IeeeMode: 1
; LDSByteSize: 0 bytes/workgroup (compile time only)
; SGPRBlocks: 0
; VGPRBlocks: 0
; NumSGPRsForWavesPerEU: 1
; NumVGPRsForWavesPerEU: 1
; NamedBarCnt: 0
; Occupancy: 16
; WaveLimiterHint : 0
; COMPUTE_PGM_RSRC2:SCRATCH_EN: 0
; COMPUTE_PGM_RSRC2:USER_SGPR: 2
; COMPUTE_PGM_RSRC2:TRAP_HANDLER: 0
; COMPUTE_PGM_RSRC2:TGID_X_EN: 1
; COMPUTE_PGM_RSRC2:TGID_Y_EN: 0
; COMPUTE_PGM_RSRC2:TGID_Z_EN: 0
; COMPUTE_PGM_RSRC2:TIDIG_COMP_CNT: 0
	.section	.text._ZN7rocprim17ROCPRIM_400000_NS6detail17trampoline_kernelINS0_14default_configENS1_25transform_config_selectorItLb1EEEZNS1_14transform_implILb1ES3_S5_PtS7_NS0_8identityItEEEE10hipError_tT2_T3_mT4_P12ihipStream_tbEUlT_E_NS1_11comp_targetILNS1_3genE4ELNS1_11target_archE910ELNS1_3gpuE8ELNS1_3repE0EEENS1_30default_config_static_selectorELNS0_4arch9wavefront6targetE0EEEvT1_,"axG",@progbits,_ZN7rocprim17ROCPRIM_400000_NS6detail17trampoline_kernelINS0_14default_configENS1_25transform_config_selectorItLb1EEEZNS1_14transform_implILb1ES3_S5_PtS7_NS0_8identityItEEEE10hipError_tT2_T3_mT4_P12ihipStream_tbEUlT_E_NS1_11comp_targetILNS1_3genE4ELNS1_11target_archE910ELNS1_3gpuE8ELNS1_3repE0EEENS1_30default_config_static_selectorELNS0_4arch9wavefront6targetE0EEEvT1_,comdat
	.protected	_ZN7rocprim17ROCPRIM_400000_NS6detail17trampoline_kernelINS0_14default_configENS1_25transform_config_selectorItLb1EEEZNS1_14transform_implILb1ES3_S5_PtS7_NS0_8identityItEEEE10hipError_tT2_T3_mT4_P12ihipStream_tbEUlT_E_NS1_11comp_targetILNS1_3genE4ELNS1_11target_archE910ELNS1_3gpuE8ELNS1_3repE0EEENS1_30default_config_static_selectorELNS0_4arch9wavefront6targetE0EEEvT1_ ; -- Begin function _ZN7rocprim17ROCPRIM_400000_NS6detail17trampoline_kernelINS0_14default_configENS1_25transform_config_selectorItLb1EEEZNS1_14transform_implILb1ES3_S5_PtS7_NS0_8identityItEEEE10hipError_tT2_T3_mT4_P12ihipStream_tbEUlT_E_NS1_11comp_targetILNS1_3genE4ELNS1_11target_archE910ELNS1_3gpuE8ELNS1_3repE0EEENS1_30default_config_static_selectorELNS0_4arch9wavefront6targetE0EEEvT1_
	.globl	_ZN7rocprim17ROCPRIM_400000_NS6detail17trampoline_kernelINS0_14default_configENS1_25transform_config_selectorItLb1EEEZNS1_14transform_implILb1ES3_S5_PtS7_NS0_8identityItEEEE10hipError_tT2_T3_mT4_P12ihipStream_tbEUlT_E_NS1_11comp_targetILNS1_3genE4ELNS1_11target_archE910ELNS1_3gpuE8ELNS1_3repE0EEENS1_30default_config_static_selectorELNS0_4arch9wavefront6targetE0EEEvT1_
	.p2align	8
	.type	_ZN7rocprim17ROCPRIM_400000_NS6detail17trampoline_kernelINS0_14default_configENS1_25transform_config_selectorItLb1EEEZNS1_14transform_implILb1ES3_S5_PtS7_NS0_8identityItEEEE10hipError_tT2_T3_mT4_P12ihipStream_tbEUlT_E_NS1_11comp_targetILNS1_3genE4ELNS1_11target_archE910ELNS1_3gpuE8ELNS1_3repE0EEENS1_30default_config_static_selectorELNS0_4arch9wavefront6targetE0EEEvT1_,@function
_ZN7rocprim17ROCPRIM_400000_NS6detail17trampoline_kernelINS0_14default_configENS1_25transform_config_selectorItLb1EEEZNS1_14transform_implILb1ES3_S5_PtS7_NS0_8identityItEEEE10hipError_tT2_T3_mT4_P12ihipStream_tbEUlT_E_NS1_11comp_targetILNS1_3genE4ELNS1_11target_archE910ELNS1_3gpuE8ELNS1_3repE0EEENS1_30default_config_static_selectorELNS0_4arch9wavefront6targetE0EEEvT1_: ; @_ZN7rocprim17ROCPRIM_400000_NS6detail17trampoline_kernelINS0_14default_configENS1_25transform_config_selectorItLb1EEEZNS1_14transform_implILb1ES3_S5_PtS7_NS0_8identityItEEEE10hipError_tT2_T3_mT4_P12ihipStream_tbEUlT_E_NS1_11comp_targetILNS1_3genE4ELNS1_11target_archE910ELNS1_3gpuE8ELNS1_3repE0EEENS1_30default_config_static_selectorELNS0_4arch9wavefront6targetE0EEEvT1_
; %bb.0:
	.section	.rodata,"a",@progbits
	.p2align	6, 0x0
	.amdhsa_kernel _ZN7rocprim17ROCPRIM_400000_NS6detail17trampoline_kernelINS0_14default_configENS1_25transform_config_selectorItLb1EEEZNS1_14transform_implILb1ES3_S5_PtS7_NS0_8identityItEEEE10hipError_tT2_T3_mT4_P12ihipStream_tbEUlT_E_NS1_11comp_targetILNS1_3genE4ELNS1_11target_archE910ELNS1_3gpuE8ELNS1_3repE0EEENS1_30default_config_static_selectorELNS0_4arch9wavefront6targetE0EEEvT1_
		.amdhsa_group_segment_fixed_size 0
		.amdhsa_private_segment_fixed_size 0
		.amdhsa_kernarg_size 40
		.amdhsa_user_sgpr_count 2
		.amdhsa_user_sgpr_dispatch_ptr 0
		.amdhsa_user_sgpr_queue_ptr 0
		.amdhsa_user_sgpr_kernarg_segment_ptr 1
		.amdhsa_user_sgpr_dispatch_id 0
		.amdhsa_user_sgpr_kernarg_preload_length 0
		.amdhsa_user_sgpr_kernarg_preload_offset 0
		.amdhsa_user_sgpr_private_segment_size 0
		.amdhsa_wavefront_size32 1
		.amdhsa_uses_dynamic_stack 0
		.amdhsa_enable_private_segment 0
		.amdhsa_system_sgpr_workgroup_id_x 1
		.amdhsa_system_sgpr_workgroup_id_y 0
		.amdhsa_system_sgpr_workgroup_id_z 0
		.amdhsa_system_sgpr_workgroup_info 0
		.amdhsa_system_vgpr_workitem_id 0
		.amdhsa_next_free_vgpr 1
		.amdhsa_next_free_sgpr 1
		.amdhsa_named_barrier_count 0
		.amdhsa_reserve_vcc 0
		.amdhsa_float_round_mode_32 0
		.amdhsa_float_round_mode_16_64 0
		.amdhsa_float_denorm_mode_32 3
		.amdhsa_float_denorm_mode_16_64 3
		.amdhsa_fp16_overflow 0
		.amdhsa_memory_ordered 1
		.amdhsa_forward_progress 1
		.amdhsa_inst_pref_size 0
		.amdhsa_round_robin_scheduling 0
		.amdhsa_exception_fp_ieee_invalid_op 0
		.amdhsa_exception_fp_denorm_src 0
		.amdhsa_exception_fp_ieee_div_zero 0
		.amdhsa_exception_fp_ieee_overflow 0
		.amdhsa_exception_fp_ieee_underflow 0
		.amdhsa_exception_fp_ieee_inexact 0
		.amdhsa_exception_int_div_zero 0
	.end_amdhsa_kernel
	.section	.text._ZN7rocprim17ROCPRIM_400000_NS6detail17trampoline_kernelINS0_14default_configENS1_25transform_config_selectorItLb1EEEZNS1_14transform_implILb1ES3_S5_PtS7_NS0_8identityItEEEE10hipError_tT2_T3_mT4_P12ihipStream_tbEUlT_E_NS1_11comp_targetILNS1_3genE4ELNS1_11target_archE910ELNS1_3gpuE8ELNS1_3repE0EEENS1_30default_config_static_selectorELNS0_4arch9wavefront6targetE0EEEvT1_,"axG",@progbits,_ZN7rocprim17ROCPRIM_400000_NS6detail17trampoline_kernelINS0_14default_configENS1_25transform_config_selectorItLb1EEEZNS1_14transform_implILb1ES3_S5_PtS7_NS0_8identityItEEEE10hipError_tT2_T3_mT4_P12ihipStream_tbEUlT_E_NS1_11comp_targetILNS1_3genE4ELNS1_11target_archE910ELNS1_3gpuE8ELNS1_3repE0EEENS1_30default_config_static_selectorELNS0_4arch9wavefront6targetE0EEEvT1_,comdat
.Lfunc_end2331:
	.size	_ZN7rocprim17ROCPRIM_400000_NS6detail17trampoline_kernelINS0_14default_configENS1_25transform_config_selectorItLb1EEEZNS1_14transform_implILb1ES3_S5_PtS7_NS0_8identityItEEEE10hipError_tT2_T3_mT4_P12ihipStream_tbEUlT_E_NS1_11comp_targetILNS1_3genE4ELNS1_11target_archE910ELNS1_3gpuE8ELNS1_3repE0EEENS1_30default_config_static_selectorELNS0_4arch9wavefront6targetE0EEEvT1_, .Lfunc_end2331-_ZN7rocprim17ROCPRIM_400000_NS6detail17trampoline_kernelINS0_14default_configENS1_25transform_config_selectorItLb1EEEZNS1_14transform_implILb1ES3_S5_PtS7_NS0_8identityItEEEE10hipError_tT2_T3_mT4_P12ihipStream_tbEUlT_E_NS1_11comp_targetILNS1_3genE4ELNS1_11target_archE910ELNS1_3gpuE8ELNS1_3repE0EEENS1_30default_config_static_selectorELNS0_4arch9wavefront6targetE0EEEvT1_
                                        ; -- End function
	.set _ZN7rocprim17ROCPRIM_400000_NS6detail17trampoline_kernelINS0_14default_configENS1_25transform_config_selectorItLb1EEEZNS1_14transform_implILb1ES3_S5_PtS7_NS0_8identityItEEEE10hipError_tT2_T3_mT4_P12ihipStream_tbEUlT_E_NS1_11comp_targetILNS1_3genE4ELNS1_11target_archE910ELNS1_3gpuE8ELNS1_3repE0EEENS1_30default_config_static_selectorELNS0_4arch9wavefront6targetE0EEEvT1_.num_vgpr, 0
	.set _ZN7rocprim17ROCPRIM_400000_NS6detail17trampoline_kernelINS0_14default_configENS1_25transform_config_selectorItLb1EEEZNS1_14transform_implILb1ES3_S5_PtS7_NS0_8identityItEEEE10hipError_tT2_T3_mT4_P12ihipStream_tbEUlT_E_NS1_11comp_targetILNS1_3genE4ELNS1_11target_archE910ELNS1_3gpuE8ELNS1_3repE0EEENS1_30default_config_static_selectorELNS0_4arch9wavefront6targetE0EEEvT1_.num_agpr, 0
	.set _ZN7rocprim17ROCPRIM_400000_NS6detail17trampoline_kernelINS0_14default_configENS1_25transform_config_selectorItLb1EEEZNS1_14transform_implILb1ES3_S5_PtS7_NS0_8identityItEEEE10hipError_tT2_T3_mT4_P12ihipStream_tbEUlT_E_NS1_11comp_targetILNS1_3genE4ELNS1_11target_archE910ELNS1_3gpuE8ELNS1_3repE0EEENS1_30default_config_static_selectorELNS0_4arch9wavefront6targetE0EEEvT1_.numbered_sgpr, 0
	.set _ZN7rocprim17ROCPRIM_400000_NS6detail17trampoline_kernelINS0_14default_configENS1_25transform_config_selectorItLb1EEEZNS1_14transform_implILb1ES3_S5_PtS7_NS0_8identityItEEEE10hipError_tT2_T3_mT4_P12ihipStream_tbEUlT_E_NS1_11comp_targetILNS1_3genE4ELNS1_11target_archE910ELNS1_3gpuE8ELNS1_3repE0EEENS1_30default_config_static_selectorELNS0_4arch9wavefront6targetE0EEEvT1_.num_named_barrier, 0
	.set _ZN7rocprim17ROCPRIM_400000_NS6detail17trampoline_kernelINS0_14default_configENS1_25transform_config_selectorItLb1EEEZNS1_14transform_implILb1ES3_S5_PtS7_NS0_8identityItEEEE10hipError_tT2_T3_mT4_P12ihipStream_tbEUlT_E_NS1_11comp_targetILNS1_3genE4ELNS1_11target_archE910ELNS1_3gpuE8ELNS1_3repE0EEENS1_30default_config_static_selectorELNS0_4arch9wavefront6targetE0EEEvT1_.private_seg_size, 0
	.set _ZN7rocprim17ROCPRIM_400000_NS6detail17trampoline_kernelINS0_14default_configENS1_25transform_config_selectorItLb1EEEZNS1_14transform_implILb1ES3_S5_PtS7_NS0_8identityItEEEE10hipError_tT2_T3_mT4_P12ihipStream_tbEUlT_E_NS1_11comp_targetILNS1_3genE4ELNS1_11target_archE910ELNS1_3gpuE8ELNS1_3repE0EEENS1_30default_config_static_selectorELNS0_4arch9wavefront6targetE0EEEvT1_.uses_vcc, 0
	.set _ZN7rocprim17ROCPRIM_400000_NS6detail17trampoline_kernelINS0_14default_configENS1_25transform_config_selectorItLb1EEEZNS1_14transform_implILb1ES3_S5_PtS7_NS0_8identityItEEEE10hipError_tT2_T3_mT4_P12ihipStream_tbEUlT_E_NS1_11comp_targetILNS1_3genE4ELNS1_11target_archE910ELNS1_3gpuE8ELNS1_3repE0EEENS1_30default_config_static_selectorELNS0_4arch9wavefront6targetE0EEEvT1_.uses_flat_scratch, 0
	.set _ZN7rocprim17ROCPRIM_400000_NS6detail17trampoline_kernelINS0_14default_configENS1_25transform_config_selectorItLb1EEEZNS1_14transform_implILb1ES3_S5_PtS7_NS0_8identityItEEEE10hipError_tT2_T3_mT4_P12ihipStream_tbEUlT_E_NS1_11comp_targetILNS1_3genE4ELNS1_11target_archE910ELNS1_3gpuE8ELNS1_3repE0EEENS1_30default_config_static_selectorELNS0_4arch9wavefront6targetE0EEEvT1_.has_dyn_sized_stack, 0
	.set _ZN7rocprim17ROCPRIM_400000_NS6detail17trampoline_kernelINS0_14default_configENS1_25transform_config_selectorItLb1EEEZNS1_14transform_implILb1ES3_S5_PtS7_NS0_8identityItEEEE10hipError_tT2_T3_mT4_P12ihipStream_tbEUlT_E_NS1_11comp_targetILNS1_3genE4ELNS1_11target_archE910ELNS1_3gpuE8ELNS1_3repE0EEENS1_30default_config_static_selectorELNS0_4arch9wavefront6targetE0EEEvT1_.has_recursion, 0
	.set _ZN7rocprim17ROCPRIM_400000_NS6detail17trampoline_kernelINS0_14default_configENS1_25transform_config_selectorItLb1EEEZNS1_14transform_implILb1ES3_S5_PtS7_NS0_8identityItEEEE10hipError_tT2_T3_mT4_P12ihipStream_tbEUlT_E_NS1_11comp_targetILNS1_3genE4ELNS1_11target_archE910ELNS1_3gpuE8ELNS1_3repE0EEENS1_30default_config_static_selectorELNS0_4arch9wavefront6targetE0EEEvT1_.has_indirect_call, 0
	.section	.AMDGPU.csdata,"",@progbits
; Kernel info:
; codeLenInByte = 0
; TotalNumSgprs: 0
; NumVgprs: 0
; ScratchSize: 0
; MemoryBound: 0
; FloatMode: 240
; IeeeMode: 1
; LDSByteSize: 0 bytes/workgroup (compile time only)
; SGPRBlocks: 0
; VGPRBlocks: 0
; NumSGPRsForWavesPerEU: 1
; NumVGPRsForWavesPerEU: 1
; NamedBarCnt: 0
; Occupancy: 16
; WaveLimiterHint : 0
; COMPUTE_PGM_RSRC2:SCRATCH_EN: 0
; COMPUTE_PGM_RSRC2:USER_SGPR: 2
; COMPUTE_PGM_RSRC2:TRAP_HANDLER: 0
; COMPUTE_PGM_RSRC2:TGID_X_EN: 1
; COMPUTE_PGM_RSRC2:TGID_Y_EN: 0
; COMPUTE_PGM_RSRC2:TGID_Z_EN: 0
; COMPUTE_PGM_RSRC2:TIDIG_COMP_CNT: 0
	.section	.text._ZN7rocprim17ROCPRIM_400000_NS6detail17trampoline_kernelINS0_14default_configENS1_25transform_config_selectorItLb1EEEZNS1_14transform_implILb1ES3_S5_PtS7_NS0_8identityItEEEE10hipError_tT2_T3_mT4_P12ihipStream_tbEUlT_E_NS1_11comp_targetILNS1_3genE3ELNS1_11target_archE908ELNS1_3gpuE7ELNS1_3repE0EEENS1_30default_config_static_selectorELNS0_4arch9wavefront6targetE0EEEvT1_,"axG",@progbits,_ZN7rocprim17ROCPRIM_400000_NS6detail17trampoline_kernelINS0_14default_configENS1_25transform_config_selectorItLb1EEEZNS1_14transform_implILb1ES3_S5_PtS7_NS0_8identityItEEEE10hipError_tT2_T3_mT4_P12ihipStream_tbEUlT_E_NS1_11comp_targetILNS1_3genE3ELNS1_11target_archE908ELNS1_3gpuE7ELNS1_3repE0EEENS1_30default_config_static_selectorELNS0_4arch9wavefront6targetE0EEEvT1_,comdat
	.protected	_ZN7rocprim17ROCPRIM_400000_NS6detail17trampoline_kernelINS0_14default_configENS1_25transform_config_selectorItLb1EEEZNS1_14transform_implILb1ES3_S5_PtS7_NS0_8identityItEEEE10hipError_tT2_T3_mT4_P12ihipStream_tbEUlT_E_NS1_11comp_targetILNS1_3genE3ELNS1_11target_archE908ELNS1_3gpuE7ELNS1_3repE0EEENS1_30default_config_static_selectorELNS0_4arch9wavefront6targetE0EEEvT1_ ; -- Begin function _ZN7rocprim17ROCPRIM_400000_NS6detail17trampoline_kernelINS0_14default_configENS1_25transform_config_selectorItLb1EEEZNS1_14transform_implILb1ES3_S5_PtS7_NS0_8identityItEEEE10hipError_tT2_T3_mT4_P12ihipStream_tbEUlT_E_NS1_11comp_targetILNS1_3genE3ELNS1_11target_archE908ELNS1_3gpuE7ELNS1_3repE0EEENS1_30default_config_static_selectorELNS0_4arch9wavefront6targetE0EEEvT1_
	.globl	_ZN7rocprim17ROCPRIM_400000_NS6detail17trampoline_kernelINS0_14default_configENS1_25transform_config_selectorItLb1EEEZNS1_14transform_implILb1ES3_S5_PtS7_NS0_8identityItEEEE10hipError_tT2_T3_mT4_P12ihipStream_tbEUlT_E_NS1_11comp_targetILNS1_3genE3ELNS1_11target_archE908ELNS1_3gpuE7ELNS1_3repE0EEENS1_30default_config_static_selectorELNS0_4arch9wavefront6targetE0EEEvT1_
	.p2align	8
	.type	_ZN7rocprim17ROCPRIM_400000_NS6detail17trampoline_kernelINS0_14default_configENS1_25transform_config_selectorItLb1EEEZNS1_14transform_implILb1ES3_S5_PtS7_NS0_8identityItEEEE10hipError_tT2_T3_mT4_P12ihipStream_tbEUlT_E_NS1_11comp_targetILNS1_3genE3ELNS1_11target_archE908ELNS1_3gpuE7ELNS1_3repE0EEENS1_30default_config_static_selectorELNS0_4arch9wavefront6targetE0EEEvT1_,@function
_ZN7rocprim17ROCPRIM_400000_NS6detail17trampoline_kernelINS0_14default_configENS1_25transform_config_selectorItLb1EEEZNS1_14transform_implILb1ES3_S5_PtS7_NS0_8identityItEEEE10hipError_tT2_T3_mT4_P12ihipStream_tbEUlT_E_NS1_11comp_targetILNS1_3genE3ELNS1_11target_archE908ELNS1_3gpuE7ELNS1_3repE0EEENS1_30default_config_static_selectorELNS0_4arch9wavefront6targetE0EEEvT1_: ; @_ZN7rocprim17ROCPRIM_400000_NS6detail17trampoline_kernelINS0_14default_configENS1_25transform_config_selectorItLb1EEEZNS1_14transform_implILb1ES3_S5_PtS7_NS0_8identityItEEEE10hipError_tT2_T3_mT4_P12ihipStream_tbEUlT_E_NS1_11comp_targetILNS1_3genE3ELNS1_11target_archE908ELNS1_3gpuE7ELNS1_3repE0EEENS1_30default_config_static_selectorELNS0_4arch9wavefront6targetE0EEEvT1_
; %bb.0:
	.section	.rodata,"a",@progbits
	.p2align	6, 0x0
	.amdhsa_kernel _ZN7rocprim17ROCPRIM_400000_NS6detail17trampoline_kernelINS0_14default_configENS1_25transform_config_selectorItLb1EEEZNS1_14transform_implILb1ES3_S5_PtS7_NS0_8identityItEEEE10hipError_tT2_T3_mT4_P12ihipStream_tbEUlT_E_NS1_11comp_targetILNS1_3genE3ELNS1_11target_archE908ELNS1_3gpuE7ELNS1_3repE0EEENS1_30default_config_static_selectorELNS0_4arch9wavefront6targetE0EEEvT1_
		.amdhsa_group_segment_fixed_size 0
		.amdhsa_private_segment_fixed_size 0
		.amdhsa_kernarg_size 40
		.amdhsa_user_sgpr_count 2
		.amdhsa_user_sgpr_dispatch_ptr 0
		.amdhsa_user_sgpr_queue_ptr 0
		.amdhsa_user_sgpr_kernarg_segment_ptr 1
		.amdhsa_user_sgpr_dispatch_id 0
		.amdhsa_user_sgpr_kernarg_preload_length 0
		.amdhsa_user_sgpr_kernarg_preload_offset 0
		.amdhsa_user_sgpr_private_segment_size 0
		.amdhsa_wavefront_size32 1
		.amdhsa_uses_dynamic_stack 0
		.amdhsa_enable_private_segment 0
		.amdhsa_system_sgpr_workgroup_id_x 1
		.amdhsa_system_sgpr_workgroup_id_y 0
		.amdhsa_system_sgpr_workgroup_id_z 0
		.amdhsa_system_sgpr_workgroup_info 0
		.amdhsa_system_vgpr_workitem_id 0
		.amdhsa_next_free_vgpr 1
		.amdhsa_next_free_sgpr 1
		.amdhsa_named_barrier_count 0
		.amdhsa_reserve_vcc 0
		.amdhsa_float_round_mode_32 0
		.amdhsa_float_round_mode_16_64 0
		.amdhsa_float_denorm_mode_32 3
		.amdhsa_float_denorm_mode_16_64 3
		.amdhsa_fp16_overflow 0
		.amdhsa_memory_ordered 1
		.amdhsa_forward_progress 1
		.amdhsa_inst_pref_size 0
		.amdhsa_round_robin_scheduling 0
		.amdhsa_exception_fp_ieee_invalid_op 0
		.amdhsa_exception_fp_denorm_src 0
		.amdhsa_exception_fp_ieee_div_zero 0
		.amdhsa_exception_fp_ieee_overflow 0
		.amdhsa_exception_fp_ieee_underflow 0
		.amdhsa_exception_fp_ieee_inexact 0
		.amdhsa_exception_int_div_zero 0
	.end_amdhsa_kernel
	.section	.text._ZN7rocprim17ROCPRIM_400000_NS6detail17trampoline_kernelINS0_14default_configENS1_25transform_config_selectorItLb1EEEZNS1_14transform_implILb1ES3_S5_PtS7_NS0_8identityItEEEE10hipError_tT2_T3_mT4_P12ihipStream_tbEUlT_E_NS1_11comp_targetILNS1_3genE3ELNS1_11target_archE908ELNS1_3gpuE7ELNS1_3repE0EEENS1_30default_config_static_selectorELNS0_4arch9wavefront6targetE0EEEvT1_,"axG",@progbits,_ZN7rocprim17ROCPRIM_400000_NS6detail17trampoline_kernelINS0_14default_configENS1_25transform_config_selectorItLb1EEEZNS1_14transform_implILb1ES3_S5_PtS7_NS0_8identityItEEEE10hipError_tT2_T3_mT4_P12ihipStream_tbEUlT_E_NS1_11comp_targetILNS1_3genE3ELNS1_11target_archE908ELNS1_3gpuE7ELNS1_3repE0EEENS1_30default_config_static_selectorELNS0_4arch9wavefront6targetE0EEEvT1_,comdat
.Lfunc_end2332:
	.size	_ZN7rocprim17ROCPRIM_400000_NS6detail17trampoline_kernelINS0_14default_configENS1_25transform_config_selectorItLb1EEEZNS1_14transform_implILb1ES3_S5_PtS7_NS0_8identityItEEEE10hipError_tT2_T3_mT4_P12ihipStream_tbEUlT_E_NS1_11comp_targetILNS1_3genE3ELNS1_11target_archE908ELNS1_3gpuE7ELNS1_3repE0EEENS1_30default_config_static_selectorELNS0_4arch9wavefront6targetE0EEEvT1_, .Lfunc_end2332-_ZN7rocprim17ROCPRIM_400000_NS6detail17trampoline_kernelINS0_14default_configENS1_25transform_config_selectorItLb1EEEZNS1_14transform_implILb1ES3_S5_PtS7_NS0_8identityItEEEE10hipError_tT2_T3_mT4_P12ihipStream_tbEUlT_E_NS1_11comp_targetILNS1_3genE3ELNS1_11target_archE908ELNS1_3gpuE7ELNS1_3repE0EEENS1_30default_config_static_selectorELNS0_4arch9wavefront6targetE0EEEvT1_
                                        ; -- End function
	.set _ZN7rocprim17ROCPRIM_400000_NS6detail17trampoline_kernelINS0_14default_configENS1_25transform_config_selectorItLb1EEEZNS1_14transform_implILb1ES3_S5_PtS7_NS0_8identityItEEEE10hipError_tT2_T3_mT4_P12ihipStream_tbEUlT_E_NS1_11comp_targetILNS1_3genE3ELNS1_11target_archE908ELNS1_3gpuE7ELNS1_3repE0EEENS1_30default_config_static_selectorELNS0_4arch9wavefront6targetE0EEEvT1_.num_vgpr, 0
	.set _ZN7rocprim17ROCPRIM_400000_NS6detail17trampoline_kernelINS0_14default_configENS1_25transform_config_selectorItLb1EEEZNS1_14transform_implILb1ES3_S5_PtS7_NS0_8identityItEEEE10hipError_tT2_T3_mT4_P12ihipStream_tbEUlT_E_NS1_11comp_targetILNS1_3genE3ELNS1_11target_archE908ELNS1_3gpuE7ELNS1_3repE0EEENS1_30default_config_static_selectorELNS0_4arch9wavefront6targetE0EEEvT1_.num_agpr, 0
	.set _ZN7rocprim17ROCPRIM_400000_NS6detail17trampoline_kernelINS0_14default_configENS1_25transform_config_selectorItLb1EEEZNS1_14transform_implILb1ES3_S5_PtS7_NS0_8identityItEEEE10hipError_tT2_T3_mT4_P12ihipStream_tbEUlT_E_NS1_11comp_targetILNS1_3genE3ELNS1_11target_archE908ELNS1_3gpuE7ELNS1_3repE0EEENS1_30default_config_static_selectorELNS0_4arch9wavefront6targetE0EEEvT1_.numbered_sgpr, 0
	.set _ZN7rocprim17ROCPRIM_400000_NS6detail17trampoline_kernelINS0_14default_configENS1_25transform_config_selectorItLb1EEEZNS1_14transform_implILb1ES3_S5_PtS7_NS0_8identityItEEEE10hipError_tT2_T3_mT4_P12ihipStream_tbEUlT_E_NS1_11comp_targetILNS1_3genE3ELNS1_11target_archE908ELNS1_3gpuE7ELNS1_3repE0EEENS1_30default_config_static_selectorELNS0_4arch9wavefront6targetE0EEEvT1_.num_named_barrier, 0
	.set _ZN7rocprim17ROCPRIM_400000_NS6detail17trampoline_kernelINS0_14default_configENS1_25transform_config_selectorItLb1EEEZNS1_14transform_implILb1ES3_S5_PtS7_NS0_8identityItEEEE10hipError_tT2_T3_mT4_P12ihipStream_tbEUlT_E_NS1_11comp_targetILNS1_3genE3ELNS1_11target_archE908ELNS1_3gpuE7ELNS1_3repE0EEENS1_30default_config_static_selectorELNS0_4arch9wavefront6targetE0EEEvT1_.private_seg_size, 0
	.set _ZN7rocprim17ROCPRIM_400000_NS6detail17trampoline_kernelINS0_14default_configENS1_25transform_config_selectorItLb1EEEZNS1_14transform_implILb1ES3_S5_PtS7_NS0_8identityItEEEE10hipError_tT2_T3_mT4_P12ihipStream_tbEUlT_E_NS1_11comp_targetILNS1_3genE3ELNS1_11target_archE908ELNS1_3gpuE7ELNS1_3repE0EEENS1_30default_config_static_selectorELNS0_4arch9wavefront6targetE0EEEvT1_.uses_vcc, 0
	.set _ZN7rocprim17ROCPRIM_400000_NS6detail17trampoline_kernelINS0_14default_configENS1_25transform_config_selectorItLb1EEEZNS1_14transform_implILb1ES3_S5_PtS7_NS0_8identityItEEEE10hipError_tT2_T3_mT4_P12ihipStream_tbEUlT_E_NS1_11comp_targetILNS1_3genE3ELNS1_11target_archE908ELNS1_3gpuE7ELNS1_3repE0EEENS1_30default_config_static_selectorELNS0_4arch9wavefront6targetE0EEEvT1_.uses_flat_scratch, 0
	.set _ZN7rocprim17ROCPRIM_400000_NS6detail17trampoline_kernelINS0_14default_configENS1_25transform_config_selectorItLb1EEEZNS1_14transform_implILb1ES3_S5_PtS7_NS0_8identityItEEEE10hipError_tT2_T3_mT4_P12ihipStream_tbEUlT_E_NS1_11comp_targetILNS1_3genE3ELNS1_11target_archE908ELNS1_3gpuE7ELNS1_3repE0EEENS1_30default_config_static_selectorELNS0_4arch9wavefront6targetE0EEEvT1_.has_dyn_sized_stack, 0
	.set _ZN7rocprim17ROCPRIM_400000_NS6detail17trampoline_kernelINS0_14default_configENS1_25transform_config_selectorItLb1EEEZNS1_14transform_implILb1ES3_S5_PtS7_NS0_8identityItEEEE10hipError_tT2_T3_mT4_P12ihipStream_tbEUlT_E_NS1_11comp_targetILNS1_3genE3ELNS1_11target_archE908ELNS1_3gpuE7ELNS1_3repE0EEENS1_30default_config_static_selectorELNS0_4arch9wavefront6targetE0EEEvT1_.has_recursion, 0
	.set _ZN7rocprim17ROCPRIM_400000_NS6detail17trampoline_kernelINS0_14default_configENS1_25transform_config_selectorItLb1EEEZNS1_14transform_implILb1ES3_S5_PtS7_NS0_8identityItEEEE10hipError_tT2_T3_mT4_P12ihipStream_tbEUlT_E_NS1_11comp_targetILNS1_3genE3ELNS1_11target_archE908ELNS1_3gpuE7ELNS1_3repE0EEENS1_30default_config_static_selectorELNS0_4arch9wavefront6targetE0EEEvT1_.has_indirect_call, 0
	.section	.AMDGPU.csdata,"",@progbits
; Kernel info:
; codeLenInByte = 0
; TotalNumSgprs: 0
; NumVgprs: 0
; ScratchSize: 0
; MemoryBound: 0
; FloatMode: 240
; IeeeMode: 1
; LDSByteSize: 0 bytes/workgroup (compile time only)
; SGPRBlocks: 0
; VGPRBlocks: 0
; NumSGPRsForWavesPerEU: 1
; NumVGPRsForWavesPerEU: 1
; NamedBarCnt: 0
; Occupancy: 16
; WaveLimiterHint : 0
; COMPUTE_PGM_RSRC2:SCRATCH_EN: 0
; COMPUTE_PGM_RSRC2:USER_SGPR: 2
; COMPUTE_PGM_RSRC2:TRAP_HANDLER: 0
; COMPUTE_PGM_RSRC2:TGID_X_EN: 1
; COMPUTE_PGM_RSRC2:TGID_Y_EN: 0
; COMPUTE_PGM_RSRC2:TGID_Z_EN: 0
; COMPUTE_PGM_RSRC2:TIDIG_COMP_CNT: 0
	.section	.text._ZN7rocprim17ROCPRIM_400000_NS6detail17trampoline_kernelINS0_14default_configENS1_25transform_config_selectorItLb1EEEZNS1_14transform_implILb1ES3_S5_PtS7_NS0_8identityItEEEE10hipError_tT2_T3_mT4_P12ihipStream_tbEUlT_E_NS1_11comp_targetILNS1_3genE2ELNS1_11target_archE906ELNS1_3gpuE6ELNS1_3repE0EEENS1_30default_config_static_selectorELNS0_4arch9wavefront6targetE0EEEvT1_,"axG",@progbits,_ZN7rocprim17ROCPRIM_400000_NS6detail17trampoline_kernelINS0_14default_configENS1_25transform_config_selectorItLb1EEEZNS1_14transform_implILb1ES3_S5_PtS7_NS0_8identityItEEEE10hipError_tT2_T3_mT4_P12ihipStream_tbEUlT_E_NS1_11comp_targetILNS1_3genE2ELNS1_11target_archE906ELNS1_3gpuE6ELNS1_3repE0EEENS1_30default_config_static_selectorELNS0_4arch9wavefront6targetE0EEEvT1_,comdat
	.protected	_ZN7rocprim17ROCPRIM_400000_NS6detail17trampoline_kernelINS0_14default_configENS1_25transform_config_selectorItLb1EEEZNS1_14transform_implILb1ES3_S5_PtS7_NS0_8identityItEEEE10hipError_tT2_T3_mT4_P12ihipStream_tbEUlT_E_NS1_11comp_targetILNS1_3genE2ELNS1_11target_archE906ELNS1_3gpuE6ELNS1_3repE0EEENS1_30default_config_static_selectorELNS0_4arch9wavefront6targetE0EEEvT1_ ; -- Begin function _ZN7rocprim17ROCPRIM_400000_NS6detail17trampoline_kernelINS0_14default_configENS1_25transform_config_selectorItLb1EEEZNS1_14transform_implILb1ES3_S5_PtS7_NS0_8identityItEEEE10hipError_tT2_T3_mT4_P12ihipStream_tbEUlT_E_NS1_11comp_targetILNS1_3genE2ELNS1_11target_archE906ELNS1_3gpuE6ELNS1_3repE0EEENS1_30default_config_static_selectorELNS0_4arch9wavefront6targetE0EEEvT1_
	.globl	_ZN7rocprim17ROCPRIM_400000_NS6detail17trampoline_kernelINS0_14default_configENS1_25transform_config_selectorItLb1EEEZNS1_14transform_implILb1ES3_S5_PtS7_NS0_8identityItEEEE10hipError_tT2_T3_mT4_P12ihipStream_tbEUlT_E_NS1_11comp_targetILNS1_3genE2ELNS1_11target_archE906ELNS1_3gpuE6ELNS1_3repE0EEENS1_30default_config_static_selectorELNS0_4arch9wavefront6targetE0EEEvT1_
	.p2align	8
	.type	_ZN7rocprim17ROCPRIM_400000_NS6detail17trampoline_kernelINS0_14default_configENS1_25transform_config_selectorItLb1EEEZNS1_14transform_implILb1ES3_S5_PtS7_NS0_8identityItEEEE10hipError_tT2_T3_mT4_P12ihipStream_tbEUlT_E_NS1_11comp_targetILNS1_3genE2ELNS1_11target_archE906ELNS1_3gpuE6ELNS1_3repE0EEENS1_30default_config_static_selectorELNS0_4arch9wavefront6targetE0EEEvT1_,@function
_ZN7rocprim17ROCPRIM_400000_NS6detail17trampoline_kernelINS0_14default_configENS1_25transform_config_selectorItLb1EEEZNS1_14transform_implILb1ES3_S5_PtS7_NS0_8identityItEEEE10hipError_tT2_T3_mT4_P12ihipStream_tbEUlT_E_NS1_11comp_targetILNS1_3genE2ELNS1_11target_archE906ELNS1_3gpuE6ELNS1_3repE0EEENS1_30default_config_static_selectorELNS0_4arch9wavefront6targetE0EEEvT1_: ; @_ZN7rocprim17ROCPRIM_400000_NS6detail17trampoline_kernelINS0_14default_configENS1_25transform_config_selectorItLb1EEEZNS1_14transform_implILb1ES3_S5_PtS7_NS0_8identityItEEEE10hipError_tT2_T3_mT4_P12ihipStream_tbEUlT_E_NS1_11comp_targetILNS1_3genE2ELNS1_11target_archE906ELNS1_3gpuE6ELNS1_3repE0EEENS1_30default_config_static_selectorELNS0_4arch9wavefront6targetE0EEEvT1_
; %bb.0:
	.section	.rodata,"a",@progbits
	.p2align	6, 0x0
	.amdhsa_kernel _ZN7rocprim17ROCPRIM_400000_NS6detail17trampoline_kernelINS0_14default_configENS1_25transform_config_selectorItLb1EEEZNS1_14transform_implILb1ES3_S5_PtS7_NS0_8identityItEEEE10hipError_tT2_T3_mT4_P12ihipStream_tbEUlT_E_NS1_11comp_targetILNS1_3genE2ELNS1_11target_archE906ELNS1_3gpuE6ELNS1_3repE0EEENS1_30default_config_static_selectorELNS0_4arch9wavefront6targetE0EEEvT1_
		.amdhsa_group_segment_fixed_size 0
		.amdhsa_private_segment_fixed_size 0
		.amdhsa_kernarg_size 40
		.amdhsa_user_sgpr_count 2
		.amdhsa_user_sgpr_dispatch_ptr 0
		.amdhsa_user_sgpr_queue_ptr 0
		.amdhsa_user_sgpr_kernarg_segment_ptr 1
		.amdhsa_user_sgpr_dispatch_id 0
		.amdhsa_user_sgpr_kernarg_preload_length 0
		.amdhsa_user_sgpr_kernarg_preload_offset 0
		.amdhsa_user_sgpr_private_segment_size 0
		.amdhsa_wavefront_size32 1
		.amdhsa_uses_dynamic_stack 0
		.amdhsa_enable_private_segment 0
		.amdhsa_system_sgpr_workgroup_id_x 1
		.amdhsa_system_sgpr_workgroup_id_y 0
		.amdhsa_system_sgpr_workgroup_id_z 0
		.amdhsa_system_sgpr_workgroup_info 0
		.amdhsa_system_vgpr_workitem_id 0
		.amdhsa_next_free_vgpr 1
		.amdhsa_next_free_sgpr 1
		.amdhsa_named_barrier_count 0
		.amdhsa_reserve_vcc 0
		.amdhsa_float_round_mode_32 0
		.amdhsa_float_round_mode_16_64 0
		.amdhsa_float_denorm_mode_32 3
		.amdhsa_float_denorm_mode_16_64 3
		.amdhsa_fp16_overflow 0
		.amdhsa_memory_ordered 1
		.amdhsa_forward_progress 1
		.amdhsa_inst_pref_size 0
		.amdhsa_round_robin_scheduling 0
		.amdhsa_exception_fp_ieee_invalid_op 0
		.amdhsa_exception_fp_denorm_src 0
		.amdhsa_exception_fp_ieee_div_zero 0
		.amdhsa_exception_fp_ieee_overflow 0
		.amdhsa_exception_fp_ieee_underflow 0
		.amdhsa_exception_fp_ieee_inexact 0
		.amdhsa_exception_int_div_zero 0
	.end_amdhsa_kernel
	.section	.text._ZN7rocprim17ROCPRIM_400000_NS6detail17trampoline_kernelINS0_14default_configENS1_25transform_config_selectorItLb1EEEZNS1_14transform_implILb1ES3_S5_PtS7_NS0_8identityItEEEE10hipError_tT2_T3_mT4_P12ihipStream_tbEUlT_E_NS1_11comp_targetILNS1_3genE2ELNS1_11target_archE906ELNS1_3gpuE6ELNS1_3repE0EEENS1_30default_config_static_selectorELNS0_4arch9wavefront6targetE0EEEvT1_,"axG",@progbits,_ZN7rocprim17ROCPRIM_400000_NS6detail17trampoline_kernelINS0_14default_configENS1_25transform_config_selectorItLb1EEEZNS1_14transform_implILb1ES3_S5_PtS7_NS0_8identityItEEEE10hipError_tT2_T3_mT4_P12ihipStream_tbEUlT_E_NS1_11comp_targetILNS1_3genE2ELNS1_11target_archE906ELNS1_3gpuE6ELNS1_3repE0EEENS1_30default_config_static_selectorELNS0_4arch9wavefront6targetE0EEEvT1_,comdat
.Lfunc_end2333:
	.size	_ZN7rocprim17ROCPRIM_400000_NS6detail17trampoline_kernelINS0_14default_configENS1_25transform_config_selectorItLb1EEEZNS1_14transform_implILb1ES3_S5_PtS7_NS0_8identityItEEEE10hipError_tT2_T3_mT4_P12ihipStream_tbEUlT_E_NS1_11comp_targetILNS1_3genE2ELNS1_11target_archE906ELNS1_3gpuE6ELNS1_3repE0EEENS1_30default_config_static_selectorELNS0_4arch9wavefront6targetE0EEEvT1_, .Lfunc_end2333-_ZN7rocprim17ROCPRIM_400000_NS6detail17trampoline_kernelINS0_14default_configENS1_25transform_config_selectorItLb1EEEZNS1_14transform_implILb1ES3_S5_PtS7_NS0_8identityItEEEE10hipError_tT2_T3_mT4_P12ihipStream_tbEUlT_E_NS1_11comp_targetILNS1_3genE2ELNS1_11target_archE906ELNS1_3gpuE6ELNS1_3repE0EEENS1_30default_config_static_selectorELNS0_4arch9wavefront6targetE0EEEvT1_
                                        ; -- End function
	.set _ZN7rocprim17ROCPRIM_400000_NS6detail17trampoline_kernelINS0_14default_configENS1_25transform_config_selectorItLb1EEEZNS1_14transform_implILb1ES3_S5_PtS7_NS0_8identityItEEEE10hipError_tT2_T3_mT4_P12ihipStream_tbEUlT_E_NS1_11comp_targetILNS1_3genE2ELNS1_11target_archE906ELNS1_3gpuE6ELNS1_3repE0EEENS1_30default_config_static_selectorELNS0_4arch9wavefront6targetE0EEEvT1_.num_vgpr, 0
	.set _ZN7rocprim17ROCPRIM_400000_NS6detail17trampoline_kernelINS0_14default_configENS1_25transform_config_selectorItLb1EEEZNS1_14transform_implILb1ES3_S5_PtS7_NS0_8identityItEEEE10hipError_tT2_T3_mT4_P12ihipStream_tbEUlT_E_NS1_11comp_targetILNS1_3genE2ELNS1_11target_archE906ELNS1_3gpuE6ELNS1_3repE0EEENS1_30default_config_static_selectorELNS0_4arch9wavefront6targetE0EEEvT1_.num_agpr, 0
	.set _ZN7rocprim17ROCPRIM_400000_NS6detail17trampoline_kernelINS0_14default_configENS1_25transform_config_selectorItLb1EEEZNS1_14transform_implILb1ES3_S5_PtS7_NS0_8identityItEEEE10hipError_tT2_T3_mT4_P12ihipStream_tbEUlT_E_NS1_11comp_targetILNS1_3genE2ELNS1_11target_archE906ELNS1_3gpuE6ELNS1_3repE0EEENS1_30default_config_static_selectorELNS0_4arch9wavefront6targetE0EEEvT1_.numbered_sgpr, 0
	.set _ZN7rocprim17ROCPRIM_400000_NS6detail17trampoline_kernelINS0_14default_configENS1_25transform_config_selectorItLb1EEEZNS1_14transform_implILb1ES3_S5_PtS7_NS0_8identityItEEEE10hipError_tT2_T3_mT4_P12ihipStream_tbEUlT_E_NS1_11comp_targetILNS1_3genE2ELNS1_11target_archE906ELNS1_3gpuE6ELNS1_3repE0EEENS1_30default_config_static_selectorELNS0_4arch9wavefront6targetE0EEEvT1_.num_named_barrier, 0
	.set _ZN7rocprim17ROCPRIM_400000_NS6detail17trampoline_kernelINS0_14default_configENS1_25transform_config_selectorItLb1EEEZNS1_14transform_implILb1ES3_S5_PtS7_NS0_8identityItEEEE10hipError_tT2_T3_mT4_P12ihipStream_tbEUlT_E_NS1_11comp_targetILNS1_3genE2ELNS1_11target_archE906ELNS1_3gpuE6ELNS1_3repE0EEENS1_30default_config_static_selectorELNS0_4arch9wavefront6targetE0EEEvT1_.private_seg_size, 0
	.set _ZN7rocprim17ROCPRIM_400000_NS6detail17trampoline_kernelINS0_14default_configENS1_25transform_config_selectorItLb1EEEZNS1_14transform_implILb1ES3_S5_PtS7_NS0_8identityItEEEE10hipError_tT2_T3_mT4_P12ihipStream_tbEUlT_E_NS1_11comp_targetILNS1_3genE2ELNS1_11target_archE906ELNS1_3gpuE6ELNS1_3repE0EEENS1_30default_config_static_selectorELNS0_4arch9wavefront6targetE0EEEvT1_.uses_vcc, 0
	.set _ZN7rocprim17ROCPRIM_400000_NS6detail17trampoline_kernelINS0_14default_configENS1_25transform_config_selectorItLb1EEEZNS1_14transform_implILb1ES3_S5_PtS7_NS0_8identityItEEEE10hipError_tT2_T3_mT4_P12ihipStream_tbEUlT_E_NS1_11comp_targetILNS1_3genE2ELNS1_11target_archE906ELNS1_3gpuE6ELNS1_3repE0EEENS1_30default_config_static_selectorELNS0_4arch9wavefront6targetE0EEEvT1_.uses_flat_scratch, 0
	.set _ZN7rocprim17ROCPRIM_400000_NS6detail17trampoline_kernelINS0_14default_configENS1_25transform_config_selectorItLb1EEEZNS1_14transform_implILb1ES3_S5_PtS7_NS0_8identityItEEEE10hipError_tT2_T3_mT4_P12ihipStream_tbEUlT_E_NS1_11comp_targetILNS1_3genE2ELNS1_11target_archE906ELNS1_3gpuE6ELNS1_3repE0EEENS1_30default_config_static_selectorELNS0_4arch9wavefront6targetE0EEEvT1_.has_dyn_sized_stack, 0
	.set _ZN7rocprim17ROCPRIM_400000_NS6detail17trampoline_kernelINS0_14default_configENS1_25transform_config_selectorItLb1EEEZNS1_14transform_implILb1ES3_S5_PtS7_NS0_8identityItEEEE10hipError_tT2_T3_mT4_P12ihipStream_tbEUlT_E_NS1_11comp_targetILNS1_3genE2ELNS1_11target_archE906ELNS1_3gpuE6ELNS1_3repE0EEENS1_30default_config_static_selectorELNS0_4arch9wavefront6targetE0EEEvT1_.has_recursion, 0
	.set _ZN7rocprim17ROCPRIM_400000_NS6detail17trampoline_kernelINS0_14default_configENS1_25transform_config_selectorItLb1EEEZNS1_14transform_implILb1ES3_S5_PtS7_NS0_8identityItEEEE10hipError_tT2_T3_mT4_P12ihipStream_tbEUlT_E_NS1_11comp_targetILNS1_3genE2ELNS1_11target_archE906ELNS1_3gpuE6ELNS1_3repE0EEENS1_30default_config_static_selectorELNS0_4arch9wavefront6targetE0EEEvT1_.has_indirect_call, 0
	.section	.AMDGPU.csdata,"",@progbits
; Kernel info:
; codeLenInByte = 0
; TotalNumSgprs: 0
; NumVgprs: 0
; ScratchSize: 0
; MemoryBound: 0
; FloatMode: 240
; IeeeMode: 1
; LDSByteSize: 0 bytes/workgroup (compile time only)
; SGPRBlocks: 0
; VGPRBlocks: 0
; NumSGPRsForWavesPerEU: 1
; NumVGPRsForWavesPerEU: 1
; NamedBarCnt: 0
; Occupancy: 16
; WaveLimiterHint : 0
; COMPUTE_PGM_RSRC2:SCRATCH_EN: 0
; COMPUTE_PGM_RSRC2:USER_SGPR: 2
; COMPUTE_PGM_RSRC2:TRAP_HANDLER: 0
; COMPUTE_PGM_RSRC2:TGID_X_EN: 1
; COMPUTE_PGM_RSRC2:TGID_Y_EN: 0
; COMPUTE_PGM_RSRC2:TGID_Z_EN: 0
; COMPUTE_PGM_RSRC2:TIDIG_COMP_CNT: 0
	.section	.text._ZN7rocprim17ROCPRIM_400000_NS6detail17trampoline_kernelINS0_14default_configENS1_25transform_config_selectorItLb1EEEZNS1_14transform_implILb1ES3_S5_PtS7_NS0_8identityItEEEE10hipError_tT2_T3_mT4_P12ihipStream_tbEUlT_E_NS1_11comp_targetILNS1_3genE9ELNS1_11target_archE1100ELNS1_3gpuE3ELNS1_3repE0EEENS1_30default_config_static_selectorELNS0_4arch9wavefront6targetE0EEEvT1_,"axG",@progbits,_ZN7rocprim17ROCPRIM_400000_NS6detail17trampoline_kernelINS0_14default_configENS1_25transform_config_selectorItLb1EEEZNS1_14transform_implILb1ES3_S5_PtS7_NS0_8identityItEEEE10hipError_tT2_T3_mT4_P12ihipStream_tbEUlT_E_NS1_11comp_targetILNS1_3genE9ELNS1_11target_archE1100ELNS1_3gpuE3ELNS1_3repE0EEENS1_30default_config_static_selectorELNS0_4arch9wavefront6targetE0EEEvT1_,comdat
	.protected	_ZN7rocprim17ROCPRIM_400000_NS6detail17trampoline_kernelINS0_14default_configENS1_25transform_config_selectorItLb1EEEZNS1_14transform_implILb1ES3_S5_PtS7_NS0_8identityItEEEE10hipError_tT2_T3_mT4_P12ihipStream_tbEUlT_E_NS1_11comp_targetILNS1_3genE9ELNS1_11target_archE1100ELNS1_3gpuE3ELNS1_3repE0EEENS1_30default_config_static_selectorELNS0_4arch9wavefront6targetE0EEEvT1_ ; -- Begin function _ZN7rocprim17ROCPRIM_400000_NS6detail17trampoline_kernelINS0_14default_configENS1_25transform_config_selectorItLb1EEEZNS1_14transform_implILb1ES3_S5_PtS7_NS0_8identityItEEEE10hipError_tT2_T3_mT4_P12ihipStream_tbEUlT_E_NS1_11comp_targetILNS1_3genE9ELNS1_11target_archE1100ELNS1_3gpuE3ELNS1_3repE0EEENS1_30default_config_static_selectorELNS0_4arch9wavefront6targetE0EEEvT1_
	.globl	_ZN7rocprim17ROCPRIM_400000_NS6detail17trampoline_kernelINS0_14default_configENS1_25transform_config_selectorItLb1EEEZNS1_14transform_implILb1ES3_S5_PtS7_NS0_8identityItEEEE10hipError_tT2_T3_mT4_P12ihipStream_tbEUlT_E_NS1_11comp_targetILNS1_3genE9ELNS1_11target_archE1100ELNS1_3gpuE3ELNS1_3repE0EEENS1_30default_config_static_selectorELNS0_4arch9wavefront6targetE0EEEvT1_
	.p2align	8
	.type	_ZN7rocprim17ROCPRIM_400000_NS6detail17trampoline_kernelINS0_14default_configENS1_25transform_config_selectorItLb1EEEZNS1_14transform_implILb1ES3_S5_PtS7_NS0_8identityItEEEE10hipError_tT2_T3_mT4_P12ihipStream_tbEUlT_E_NS1_11comp_targetILNS1_3genE9ELNS1_11target_archE1100ELNS1_3gpuE3ELNS1_3repE0EEENS1_30default_config_static_selectorELNS0_4arch9wavefront6targetE0EEEvT1_,@function
_ZN7rocprim17ROCPRIM_400000_NS6detail17trampoline_kernelINS0_14default_configENS1_25transform_config_selectorItLb1EEEZNS1_14transform_implILb1ES3_S5_PtS7_NS0_8identityItEEEE10hipError_tT2_T3_mT4_P12ihipStream_tbEUlT_E_NS1_11comp_targetILNS1_3genE9ELNS1_11target_archE1100ELNS1_3gpuE3ELNS1_3repE0EEENS1_30default_config_static_selectorELNS0_4arch9wavefront6targetE0EEEvT1_: ; @_ZN7rocprim17ROCPRIM_400000_NS6detail17trampoline_kernelINS0_14default_configENS1_25transform_config_selectorItLb1EEEZNS1_14transform_implILb1ES3_S5_PtS7_NS0_8identityItEEEE10hipError_tT2_T3_mT4_P12ihipStream_tbEUlT_E_NS1_11comp_targetILNS1_3genE9ELNS1_11target_archE1100ELNS1_3gpuE3ELNS1_3repE0EEENS1_30default_config_static_selectorELNS0_4arch9wavefront6targetE0EEEvT1_
; %bb.0:
	.section	.rodata,"a",@progbits
	.p2align	6, 0x0
	.amdhsa_kernel _ZN7rocprim17ROCPRIM_400000_NS6detail17trampoline_kernelINS0_14default_configENS1_25transform_config_selectorItLb1EEEZNS1_14transform_implILb1ES3_S5_PtS7_NS0_8identityItEEEE10hipError_tT2_T3_mT4_P12ihipStream_tbEUlT_E_NS1_11comp_targetILNS1_3genE9ELNS1_11target_archE1100ELNS1_3gpuE3ELNS1_3repE0EEENS1_30default_config_static_selectorELNS0_4arch9wavefront6targetE0EEEvT1_
		.amdhsa_group_segment_fixed_size 0
		.amdhsa_private_segment_fixed_size 0
		.amdhsa_kernarg_size 40
		.amdhsa_user_sgpr_count 2
		.amdhsa_user_sgpr_dispatch_ptr 0
		.amdhsa_user_sgpr_queue_ptr 0
		.amdhsa_user_sgpr_kernarg_segment_ptr 1
		.amdhsa_user_sgpr_dispatch_id 0
		.amdhsa_user_sgpr_kernarg_preload_length 0
		.amdhsa_user_sgpr_kernarg_preload_offset 0
		.amdhsa_user_sgpr_private_segment_size 0
		.amdhsa_wavefront_size32 1
		.amdhsa_uses_dynamic_stack 0
		.amdhsa_enable_private_segment 0
		.amdhsa_system_sgpr_workgroup_id_x 1
		.amdhsa_system_sgpr_workgroup_id_y 0
		.amdhsa_system_sgpr_workgroup_id_z 0
		.amdhsa_system_sgpr_workgroup_info 0
		.amdhsa_system_vgpr_workitem_id 0
		.amdhsa_next_free_vgpr 1
		.amdhsa_next_free_sgpr 1
		.amdhsa_named_barrier_count 0
		.amdhsa_reserve_vcc 0
		.amdhsa_float_round_mode_32 0
		.amdhsa_float_round_mode_16_64 0
		.amdhsa_float_denorm_mode_32 3
		.amdhsa_float_denorm_mode_16_64 3
		.amdhsa_fp16_overflow 0
		.amdhsa_memory_ordered 1
		.amdhsa_forward_progress 1
		.amdhsa_inst_pref_size 0
		.amdhsa_round_robin_scheduling 0
		.amdhsa_exception_fp_ieee_invalid_op 0
		.amdhsa_exception_fp_denorm_src 0
		.amdhsa_exception_fp_ieee_div_zero 0
		.amdhsa_exception_fp_ieee_overflow 0
		.amdhsa_exception_fp_ieee_underflow 0
		.amdhsa_exception_fp_ieee_inexact 0
		.amdhsa_exception_int_div_zero 0
	.end_amdhsa_kernel
	.section	.text._ZN7rocprim17ROCPRIM_400000_NS6detail17trampoline_kernelINS0_14default_configENS1_25transform_config_selectorItLb1EEEZNS1_14transform_implILb1ES3_S5_PtS7_NS0_8identityItEEEE10hipError_tT2_T3_mT4_P12ihipStream_tbEUlT_E_NS1_11comp_targetILNS1_3genE9ELNS1_11target_archE1100ELNS1_3gpuE3ELNS1_3repE0EEENS1_30default_config_static_selectorELNS0_4arch9wavefront6targetE0EEEvT1_,"axG",@progbits,_ZN7rocprim17ROCPRIM_400000_NS6detail17trampoline_kernelINS0_14default_configENS1_25transform_config_selectorItLb1EEEZNS1_14transform_implILb1ES3_S5_PtS7_NS0_8identityItEEEE10hipError_tT2_T3_mT4_P12ihipStream_tbEUlT_E_NS1_11comp_targetILNS1_3genE9ELNS1_11target_archE1100ELNS1_3gpuE3ELNS1_3repE0EEENS1_30default_config_static_selectorELNS0_4arch9wavefront6targetE0EEEvT1_,comdat
.Lfunc_end2334:
	.size	_ZN7rocprim17ROCPRIM_400000_NS6detail17trampoline_kernelINS0_14default_configENS1_25transform_config_selectorItLb1EEEZNS1_14transform_implILb1ES3_S5_PtS7_NS0_8identityItEEEE10hipError_tT2_T3_mT4_P12ihipStream_tbEUlT_E_NS1_11comp_targetILNS1_3genE9ELNS1_11target_archE1100ELNS1_3gpuE3ELNS1_3repE0EEENS1_30default_config_static_selectorELNS0_4arch9wavefront6targetE0EEEvT1_, .Lfunc_end2334-_ZN7rocprim17ROCPRIM_400000_NS6detail17trampoline_kernelINS0_14default_configENS1_25transform_config_selectorItLb1EEEZNS1_14transform_implILb1ES3_S5_PtS7_NS0_8identityItEEEE10hipError_tT2_T3_mT4_P12ihipStream_tbEUlT_E_NS1_11comp_targetILNS1_3genE9ELNS1_11target_archE1100ELNS1_3gpuE3ELNS1_3repE0EEENS1_30default_config_static_selectorELNS0_4arch9wavefront6targetE0EEEvT1_
                                        ; -- End function
	.set _ZN7rocprim17ROCPRIM_400000_NS6detail17trampoline_kernelINS0_14default_configENS1_25transform_config_selectorItLb1EEEZNS1_14transform_implILb1ES3_S5_PtS7_NS0_8identityItEEEE10hipError_tT2_T3_mT4_P12ihipStream_tbEUlT_E_NS1_11comp_targetILNS1_3genE9ELNS1_11target_archE1100ELNS1_3gpuE3ELNS1_3repE0EEENS1_30default_config_static_selectorELNS0_4arch9wavefront6targetE0EEEvT1_.num_vgpr, 0
	.set _ZN7rocprim17ROCPRIM_400000_NS6detail17trampoline_kernelINS0_14default_configENS1_25transform_config_selectorItLb1EEEZNS1_14transform_implILb1ES3_S5_PtS7_NS0_8identityItEEEE10hipError_tT2_T3_mT4_P12ihipStream_tbEUlT_E_NS1_11comp_targetILNS1_3genE9ELNS1_11target_archE1100ELNS1_3gpuE3ELNS1_3repE0EEENS1_30default_config_static_selectorELNS0_4arch9wavefront6targetE0EEEvT1_.num_agpr, 0
	.set _ZN7rocprim17ROCPRIM_400000_NS6detail17trampoline_kernelINS0_14default_configENS1_25transform_config_selectorItLb1EEEZNS1_14transform_implILb1ES3_S5_PtS7_NS0_8identityItEEEE10hipError_tT2_T3_mT4_P12ihipStream_tbEUlT_E_NS1_11comp_targetILNS1_3genE9ELNS1_11target_archE1100ELNS1_3gpuE3ELNS1_3repE0EEENS1_30default_config_static_selectorELNS0_4arch9wavefront6targetE0EEEvT1_.numbered_sgpr, 0
	.set _ZN7rocprim17ROCPRIM_400000_NS6detail17trampoline_kernelINS0_14default_configENS1_25transform_config_selectorItLb1EEEZNS1_14transform_implILb1ES3_S5_PtS7_NS0_8identityItEEEE10hipError_tT2_T3_mT4_P12ihipStream_tbEUlT_E_NS1_11comp_targetILNS1_3genE9ELNS1_11target_archE1100ELNS1_3gpuE3ELNS1_3repE0EEENS1_30default_config_static_selectorELNS0_4arch9wavefront6targetE0EEEvT1_.num_named_barrier, 0
	.set _ZN7rocprim17ROCPRIM_400000_NS6detail17trampoline_kernelINS0_14default_configENS1_25transform_config_selectorItLb1EEEZNS1_14transform_implILb1ES3_S5_PtS7_NS0_8identityItEEEE10hipError_tT2_T3_mT4_P12ihipStream_tbEUlT_E_NS1_11comp_targetILNS1_3genE9ELNS1_11target_archE1100ELNS1_3gpuE3ELNS1_3repE0EEENS1_30default_config_static_selectorELNS0_4arch9wavefront6targetE0EEEvT1_.private_seg_size, 0
	.set _ZN7rocprim17ROCPRIM_400000_NS6detail17trampoline_kernelINS0_14default_configENS1_25transform_config_selectorItLb1EEEZNS1_14transform_implILb1ES3_S5_PtS7_NS0_8identityItEEEE10hipError_tT2_T3_mT4_P12ihipStream_tbEUlT_E_NS1_11comp_targetILNS1_3genE9ELNS1_11target_archE1100ELNS1_3gpuE3ELNS1_3repE0EEENS1_30default_config_static_selectorELNS0_4arch9wavefront6targetE0EEEvT1_.uses_vcc, 0
	.set _ZN7rocprim17ROCPRIM_400000_NS6detail17trampoline_kernelINS0_14default_configENS1_25transform_config_selectorItLb1EEEZNS1_14transform_implILb1ES3_S5_PtS7_NS0_8identityItEEEE10hipError_tT2_T3_mT4_P12ihipStream_tbEUlT_E_NS1_11comp_targetILNS1_3genE9ELNS1_11target_archE1100ELNS1_3gpuE3ELNS1_3repE0EEENS1_30default_config_static_selectorELNS0_4arch9wavefront6targetE0EEEvT1_.uses_flat_scratch, 0
	.set _ZN7rocprim17ROCPRIM_400000_NS6detail17trampoline_kernelINS0_14default_configENS1_25transform_config_selectorItLb1EEEZNS1_14transform_implILb1ES3_S5_PtS7_NS0_8identityItEEEE10hipError_tT2_T3_mT4_P12ihipStream_tbEUlT_E_NS1_11comp_targetILNS1_3genE9ELNS1_11target_archE1100ELNS1_3gpuE3ELNS1_3repE0EEENS1_30default_config_static_selectorELNS0_4arch9wavefront6targetE0EEEvT1_.has_dyn_sized_stack, 0
	.set _ZN7rocprim17ROCPRIM_400000_NS6detail17trampoline_kernelINS0_14default_configENS1_25transform_config_selectorItLb1EEEZNS1_14transform_implILb1ES3_S5_PtS7_NS0_8identityItEEEE10hipError_tT2_T3_mT4_P12ihipStream_tbEUlT_E_NS1_11comp_targetILNS1_3genE9ELNS1_11target_archE1100ELNS1_3gpuE3ELNS1_3repE0EEENS1_30default_config_static_selectorELNS0_4arch9wavefront6targetE0EEEvT1_.has_recursion, 0
	.set _ZN7rocprim17ROCPRIM_400000_NS6detail17trampoline_kernelINS0_14default_configENS1_25transform_config_selectorItLb1EEEZNS1_14transform_implILb1ES3_S5_PtS7_NS0_8identityItEEEE10hipError_tT2_T3_mT4_P12ihipStream_tbEUlT_E_NS1_11comp_targetILNS1_3genE9ELNS1_11target_archE1100ELNS1_3gpuE3ELNS1_3repE0EEENS1_30default_config_static_selectorELNS0_4arch9wavefront6targetE0EEEvT1_.has_indirect_call, 0
	.section	.AMDGPU.csdata,"",@progbits
; Kernel info:
; codeLenInByte = 0
; TotalNumSgprs: 0
; NumVgprs: 0
; ScratchSize: 0
; MemoryBound: 0
; FloatMode: 240
; IeeeMode: 1
; LDSByteSize: 0 bytes/workgroup (compile time only)
; SGPRBlocks: 0
; VGPRBlocks: 0
; NumSGPRsForWavesPerEU: 1
; NumVGPRsForWavesPerEU: 1
; NamedBarCnt: 0
; Occupancy: 16
; WaveLimiterHint : 0
; COMPUTE_PGM_RSRC2:SCRATCH_EN: 0
; COMPUTE_PGM_RSRC2:USER_SGPR: 2
; COMPUTE_PGM_RSRC2:TRAP_HANDLER: 0
; COMPUTE_PGM_RSRC2:TGID_X_EN: 1
; COMPUTE_PGM_RSRC2:TGID_Y_EN: 0
; COMPUTE_PGM_RSRC2:TGID_Z_EN: 0
; COMPUTE_PGM_RSRC2:TIDIG_COMP_CNT: 0
	.section	.text._ZN7rocprim17ROCPRIM_400000_NS6detail17trampoline_kernelINS0_14default_configENS1_25transform_config_selectorItLb1EEEZNS1_14transform_implILb1ES3_S5_PtS7_NS0_8identityItEEEE10hipError_tT2_T3_mT4_P12ihipStream_tbEUlT_E_NS1_11comp_targetILNS1_3genE8ELNS1_11target_archE1030ELNS1_3gpuE2ELNS1_3repE0EEENS1_30default_config_static_selectorELNS0_4arch9wavefront6targetE0EEEvT1_,"axG",@progbits,_ZN7rocprim17ROCPRIM_400000_NS6detail17trampoline_kernelINS0_14default_configENS1_25transform_config_selectorItLb1EEEZNS1_14transform_implILb1ES3_S5_PtS7_NS0_8identityItEEEE10hipError_tT2_T3_mT4_P12ihipStream_tbEUlT_E_NS1_11comp_targetILNS1_3genE8ELNS1_11target_archE1030ELNS1_3gpuE2ELNS1_3repE0EEENS1_30default_config_static_selectorELNS0_4arch9wavefront6targetE0EEEvT1_,comdat
	.protected	_ZN7rocprim17ROCPRIM_400000_NS6detail17trampoline_kernelINS0_14default_configENS1_25transform_config_selectorItLb1EEEZNS1_14transform_implILb1ES3_S5_PtS7_NS0_8identityItEEEE10hipError_tT2_T3_mT4_P12ihipStream_tbEUlT_E_NS1_11comp_targetILNS1_3genE8ELNS1_11target_archE1030ELNS1_3gpuE2ELNS1_3repE0EEENS1_30default_config_static_selectorELNS0_4arch9wavefront6targetE0EEEvT1_ ; -- Begin function _ZN7rocprim17ROCPRIM_400000_NS6detail17trampoline_kernelINS0_14default_configENS1_25transform_config_selectorItLb1EEEZNS1_14transform_implILb1ES3_S5_PtS7_NS0_8identityItEEEE10hipError_tT2_T3_mT4_P12ihipStream_tbEUlT_E_NS1_11comp_targetILNS1_3genE8ELNS1_11target_archE1030ELNS1_3gpuE2ELNS1_3repE0EEENS1_30default_config_static_selectorELNS0_4arch9wavefront6targetE0EEEvT1_
	.globl	_ZN7rocprim17ROCPRIM_400000_NS6detail17trampoline_kernelINS0_14default_configENS1_25transform_config_selectorItLb1EEEZNS1_14transform_implILb1ES3_S5_PtS7_NS0_8identityItEEEE10hipError_tT2_T3_mT4_P12ihipStream_tbEUlT_E_NS1_11comp_targetILNS1_3genE8ELNS1_11target_archE1030ELNS1_3gpuE2ELNS1_3repE0EEENS1_30default_config_static_selectorELNS0_4arch9wavefront6targetE0EEEvT1_
	.p2align	8
	.type	_ZN7rocprim17ROCPRIM_400000_NS6detail17trampoline_kernelINS0_14default_configENS1_25transform_config_selectorItLb1EEEZNS1_14transform_implILb1ES3_S5_PtS7_NS0_8identityItEEEE10hipError_tT2_T3_mT4_P12ihipStream_tbEUlT_E_NS1_11comp_targetILNS1_3genE8ELNS1_11target_archE1030ELNS1_3gpuE2ELNS1_3repE0EEENS1_30default_config_static_selectorELNS0_4arch9wavefront6targetE0EEEvT1_,@function
_ZN7rocprim17ROCPRIM_400000_NS6detail17trampoline_kernelINS0_14default_configENS1_25transform_config_selectorItLb1EEEZNS1_14transform_implILb1ES3_S5_PtS7_NS0_8identityItEEEE10hipError_tT2_T3_mT4_P12ihipStream_tbEUlT_E_NS1_11comp_targetILNS1_3genE8ELNS1_11target_archE1030ELNS1_3gpuE2ELNS1_3repE0EEENS1_30default_config_static_selectorELNS0_4arch9wavefront6targetE0EEEvT1_: ; @_ZN7rocprim17ROCPRIM_400000_NS6detail17trampoline_kernelINS0_14default_configENS1_25transform_config_selectorItLb1EEEZNS1_14transform_implILb1ES3_S5_PtS7_NS0_8identityItEEEE10hipError_tT2_T3_mT4_P12ihipStream_tbEUlT_E_NS1_11comp_targetILNS1_3genE8ELNS1_11target_archE1030ELNS1_3gpuE2ELNS1_3repE0EEENS1_30default_config_static_selectorELNS0_4arch9wavefront6targetE0EEEvT1_
; %bb.0:
	.section	.rodata,"a",@progbits
	.p2align	6, 0x0
	.amdhsa_kernel _ZN7rocprim17ROCPRIM_400000_NS6detail17trampoline_kernelINS0_14default_configENS1_25transform_config_selectorItLb1EEEZNS1_14transform_implILb1ES3_S5_PtS7_NS0_8identityItEEEE10hipError_tT2_T3_mT4_P12ihipStream_tbEUlT_E_NS1_11comp_targetILNS1_3genE8ELNS1_11target_archE1030ELNS1_3gpuE2ELNS1_3repE0EEENS1_30default_config_static_selectorELNS0_4arch9wavefront6targetE0EEEvT1_
		.amdhsa_group_segment_fixed_size 0
		.amdhsa_private_segment_fixed_size 0
		.amdhsa_kernarg_size 40
		.amdhsa_user_sgpr_count 2
		.amdhsa_user_sgpr_dispatch_ptr 0
		.amdhsa_user_sgpr_queue_ptr 0
		.amdhsa_user_sgpr_kernarg_segment_ptr 1
		.amdhsa_user_sgpr_dispatch_id 0
		.amdhsa_user_sgpr_kernarg_preload_length 0
		.amdhsa_user_sgpr_kernarg_preload_offset 0
		.amdhsa_user_sgpr_private_segment_size 0
		.amdhsa_wavefront_size32 1
		.amdhsa_uses_dynamic_stack 0
		.amdhsa_enable_private_segment 0
		.amdhsa_system_sgpr_workgroup_id_x 1
		.amdhsa_system_sgpr_workgroup_id_y 0
		.amdhsa_system_sgpr_workgroup_id_z 0
		.amdhsa_system_sgpr_workgroup_info 0
		.amdhsa_system_vgpr_workitem_id 0
		.amdhsa_next_free_vgpr 1
		.amdhsa_next_free_sgpr 1
		.amdhsa_named_barrier_count 0
		.amdhsa_reserve_vcc 0
		.amdhsa_float_round_mode_32 0
		.amdhsa_float_round_mode_16_64 0
		.amdhsa_float_denorm_mode_32 3
		.amdhsa_float_denorm_mode_16_64 3
		.amdhsa_fp16_overflow 0
		.amdhsa_memory_ordered 1
		.amdhsa_forward_progress 1
		.amdhsa_inst_pref_size 0
		.amdhsa_round_robin_scheduling 0
		.amdhsa_exception_fp_ieee_invalid_op 0
		.amdhsa_exception_fp_denorm_src 0
		.amdhsa_exception_fp_ieee_div_zero 0
		.amdhsa_exception_fp_ieee_overflow 0
		.amdhsa_exception_fp_ieee_underflow 0
		.amdhsa_exception_fp_ieee_inexact 0
		.amdhsa_exception_int_div_zero 0
	.end_amdhsa_kernel
	.section	.text._ZN7rocprim17ROCPRIM_400000_NS6detail17trampoline_kernelINS0_14default_configENS1_25transform_config_selectorItLb1EEEZNS1_14transform_implILb1ES3_S5_PtS7_NS0_8identityItEEEE10hipError_tT2_T3_mT4_P12ihipStream_tbEUlT_E_NS1_11comp_targetILNS1_3genE8ELNS1_11target_archE1030ELNS1_3gpuE2ELNS1_3repE0EEENS1_30default_config_static_selectorELNS0_4arch9wavefront6targetE0EEEvT1_,"axG",@progbits,_ZN7rocprim17ROCPRIM_400000_NS6detail17trampoline_kernelINS0_14default_configENS1_25transform_config_selectorItLb1EEEZNS1_14transform_implILb1ES3_S5_PtS7_NS0_8identityItEEEE10hipError_tT2_T3_mT4_P12ihipStream_tbEUlT_E_NS1_11comp_targetILNS1_3genE8ELNS1_11target_archE1030ELNS1_3gpuE2ELNS1_3repE0EEENS1_30default_config_static_selectorELNS0_4arch9wavefront6targetE0EEEvT1_,comdat
.Lfunc_end2335:
	.size	_ZN7rocprim17ROCPRIM_400000_NS6detail17trampoline_kernelINS0_14default_configENS1_25transform_config_selectorItLb1EEEZNS1_14transform_implILb1ES3_S5_PtS7_NS0_8identityItEEEE10hipError_tT2_T3_mT4_P12ihipStream_tbEUlT_E_NS1_11comp_targetILNS1_3genE8ELNS1_11target_archE1030ELNS1_3gpuE2ELNS1_3repE0EEENS1_30default_config_static_selectorELNS0_4arch9wavefront6targetE0EEEvT1_, .Lfunc_end2335-_ZN7rocprim17ROCPRIM_400000_NS6detail17trampoline_kernelINS0_14default_configENS1_25transform_config_selectorItLb1EEEZNS1_14transform_implILb1ES3_S5_PtS7_NS0_8identityItEEEE10hipError_tT2_T3_mT4_P12ihipStream_tbEUlT_E_NS1_11comp_targetILNS1_3genE8ELNS1_11target_archE1030ELNS1_3gpuE2ELNS1_3repE0EEENS1_30default_config_static_selectorELNS0_4arch9wavefront6targetE0EEEvT1_
                                        ; -- End function
	.set _ZN7rocprim17ROCPRIM_400000_NS6detail17trampoline_kernelINS0_14default_configENS1_25transform_config_selectorItLb1EEEZNS1_14transform_implILb1ES3_S5_PtS7_NS0_8identityItEEEE10hipError_tT2_T3_mT4_P12ihipStream_tbEUlT_E_NS1_11comp_targetILNS1_3genE8ELNS1_11target_archE1030ELNS1_3gpuE2ELNS1_3repE0EEENS1_30default_config_static_selectorELNS0_4arch9wavefront6targetE0EEEvT1_.num_vgpr, 0
	.set _ZN7rocprim17ROCPRIM_400000_NS6detail17trampoline_kernelINS0_14default_configENS1_25transform_config_selectorItLb1EEEZNS1_14transform_implILb1ES3_S5_PtS7_NS0_8identityItEEEE10hipError_tT2_T3_mT4_P12ihipStream_tbEUlT_E_NS1_11comp_targetILNS1_3genE8ELNS1_11target_archE1030ELNS1_3gpuE2ELNS1_3repE0EEENS1_30default_config_static_selectorELNS0_4arch9wavefront6targetE0EEEvT1_.num_agpr, 0
	.set _ZN7rocprim17ROCPRIM_400000_NS6detail17trampoline_kernelINS0_14default_configENS1_25transform_config_selectorItLb1EEEZNS1_14transform_implILb1ES3_S5_PtS7_NS0_8identityItEEEE10hipError_tT2_T3_mT4_P12ihipStream_tbEUlT_E_NS1_11comp_targetILNS1_3genE8ELNS1_11target_archE1030ELNS1_3gpuE2ELNS1_3repE0EEENS1_30default_config_static_selectorELNS0_4arch9wavefront6targetE0EEEvT1_.numbered_sgpr, 0
	.set _ZN7rocprim17ROCPRIM_400000_NS6detail17trampoline_kernelINS0_14default_configENS1_25transform_config_selectorItLb1EEEZNS1_14transform_implILb1ES3_S5_PtS7_NS0_8identityItEEEE10hipError_tT2_T3_mT4_P12ihipStream_tbEUlT_E_NS1_11comp_targetILNS1_3genE8ELNS1_11target_archE1030ELNS1_3gpuE2ELNS1_3repE0EEENS1_30default_config_static_selectorELNS0_4arch9wavefront6targetE0EEEvT1_.num_named_barrier, 0
	.set _ZN7rocprim17ROCPRIM_400000_NS6detail17trampoline_kernelINS0_14default_configENS1_25transform_config_selectorItLb1EEEZNS1_14transform_implILb1ES3_S5_PtS7_NS0_8identityItEEEE10hipError_tT2_T3_mT4_P12ihipStream_tbEUlT_E_NS1_11comp_targetILNS1_3genE8ELNS1_11target_archE1030ELNS1_3gpuE2ELNS1_3repE0EEENS1_30default_config_static_selectorELNS0_4arch9wavefront6targetE0EEEvT1_.private_seg_size, 0
	.set _ZN7rocprim17ROCPRIM_400000_NS6detail17trampoline_kernelINS0_14default_configENS1_25transform_config_selectorItLb1EEEZNS1_14transform_implILb1ES3_S5_PtS7_NS0_8identityItEEEE10hipError_tT2_T3_mT4_P12ihipStream_tbEUlT_E_NS1_11comp_targetILNS1_3genE8ELNS1_11target_archE1030ELNS1_3gpuE2ELNS1_3repE0EEENS1_30default_config_static_selectorELNS0_4arch9wavefront6targetE0EEEvT1_.uses_vcc, 0
	.set _ZN7rocprim17ROCPRIM_400000_NS6detail17trampoline_kernelINS0_14default_configENS1_25transform_config_selectorItLb1EEEZNS1_14transform_implILb1ES3_S5_PtS7_NS0_8identityItEEEE10hipError_tT2_T3_mT4_P12ihipStream_tbEUlT_E_NS1_11comp_targetILNS1_3genE8ELNS1_11target_archE1030ELNS1_3gpuE2ELNS1_3repE0EEENS1_30default_config_static_selectorELNS0_4arch9wavefront6targetE0EEEvT1_.uses_flat_scratch, 0
	.set _ZN7rocprim17ROCPRIM_400000_NS6detail17trampoline_kernelINS0_14default_configENS1_25transform_config_selectorItLb1EEEZNS1_14transform_implILb1ES3_S5_PtS7_NS0_8identityItEEEE10hipError_tT2_T3_mT4_P12ihipStream_tbEUlT_E_NS1_11comp_targetILNS1_3genE8ELNS1_11target_archE1030ELNS1_3gpuE2ELNS1_3repE0EEENS1_30default_config_static_selectorELNS0_4arch9wavefront6targetE0EEEvT1_.has_dyn_sized_stack, 0
	.set _ZN7rocprim17ROCPRIM_400000_NS6detail17trampoline_kernelINS0_14default_configENS1_25transform_config_selectorItLb1EEEZNS1_14transform_implILb1ES3_S5_PtS7_NS0_8identityItEEEE10hipError_tT2_T3_mT4_P12ihipStream_tbEUlT_E_NS1_11comp_targetILNS1_3genE8ELNS1_11target_archE1030ELNS1_3gpuE2ELNS1_3repE0EEENS1_30default_config_static_selectorELNS0_4arch9wavefront6targetE0EEEvT1_.has_recursion, 0
	.set _ZN7rocprim17ROCPRIM_400000_NS6detail17trampoline_kernelINS0_14default_configENS1_25transform_config_selectorItLb1EEEZNS1_14transform_implILb1ES3_S5_PtS7_NS0_8identityItEEEE10hipError_tT2_T3_mT4_P12ihipStream_tbEUlT_E_NS1_11comp_targetILNS1_3genE8ELNS1_11target_archE1030ELNS1_3gpuE2ELNS1_3repE0EEENS1_30default_config_static_selectorELNS0_4arch9wavefront6targetE0EEEvT1_.has_indirect_call, 0
	.section	.AMDGPU.csdata,"",@progbits
; Kernel info:
; codeLenInByte = 0
; TotalNumSgprs: 0
; NumVgprs: 0
; ScratchSize: 0
; MemoryBound: 0
; FloatMode: 240
; IeeeMode: 1
; LDSByteSize: 0 bytes/workgroup (compile time only)
; SGPRBlocks: 0
; VGPRBlocks: 0
; NumSGPRsForWavesPerEU: 1
; NumVGPRsForWavesPerEU: 1
; NamedBarCnt: 0
; Occupancy: 16
; WaveLimiterHint : 0
; COMPUTE_PGM_RSRC2:SCRATCH_EN: 0
; COMPUTE_PGM_RSRC2:USER_SGPR: 2
; COMPUTE_PGM_RSRC2:TRAP_HANDLER: 0
; COMPUTE_PGM_RSRC2:TGID_X_EN: 1
; COMPUTE_PGM_RSRC2:TGID_Y_EN: 0
; COMPUTE_PGM_RSRC2:TGID_Z_EN: 0
; COMPUTE_PGM_RSRC2:TIDIG_COMP_CNT: 0
	.section	.text._ZN7rocprim17ROCPRIM_400000_NS6detail17trampoline_kernelINS0_14default_configENS1_38merge_sort_block_merge_config_selectorItNS0_10empty_typeEEEZZNS1_27merge_sort_block_merge_implIS3_PtPS5_jNS1_19radix_merge_compareILb1ELb1EtNS0_19identity_decomposerEEEEE10hipError_tT0_T1_T2_jT3_P12ihipStream_tbPNSt15iterator_traitsISE_E10value_typeEPNSK_ISF_E10value_typeEPSG_NS1_7vsmem_tEENKUlT_SE_SF_SG_E_clIS8_S8_S9_S9_EESD_ST_SE_SF_SG_EUlST_E_NS1_11comp_targetILNS1_3genE0ELNS1_11target_archE4294967295ELNS1_3gpuE0ELNS1_3repE0EEENS1_48merge_mergepath_partition_config_static_selectorELNS0_4arch9wavefront6targetE0EEEvSF_,"axG",@progbits,_ZN7rocprim17ROCPRIM_400000_NS6detail17trampoline_kernelINS0_14default_configENS1_38merge_sort_block_merge_config_selectorItNS0_10empty_typeEEEZZNS1_27merge_sort_block_merge_implIS3_PtPS5_jNS1_19radix_merge_compareILb1ELb1EtNS0_19identity_decomposerEEEEE10hipError_tT0_T1_T2_jT3_P12ihipStream_tbPNSt15iterator_traitsISE_E10value_typeEPNSK_ISF_E10value_typeEPSG_NS1_7vsmem_tEENKUlT_SE_SF_SG_E_clIS8_S8_S9_S9_EESD_ST_SE_SF_SG_EUlST_E_NS1_11comp_targetILNS1_3genE0ELNS1_11target_archE4294967295ELNS1_3gpuE0ELNS1_3repE0EEENS1_48merge_mergepath_partition_config_static_selectorELNS0_4arch9wavefront6targetE0EEEvSF_,comdat
	.protected	_ZN7rocprim17ROCPRIM_400000_NS6detail17trampoline_kernelINS0_14default_configENS1_38merge_sort_block_merge_config_selectorItNS0_10empty_typeEEEZZNS1_27merge_sort_block_merge_implIS3_PtPS5_jNS1_19radix_merge_compareILb1ELb1EtNS0_19identity_decomposerEEEEE10hipError_tT0_T1_T2_jT3_P12ihipStream_tbPNSt15iterator_traitsISE_E10value_typeEPNSK_ISF_E10value_typeEPSG_NS1_7vsmem_tEENKUlT_SE_SF_SG_E_clIS8_S8_S9_S9_EESD_ST_SE_SF_SG_EUlST_E_NS1_11comp_targetILNS1_3genE0ELNS1_11target_archE4294967295ELNS1_3gpuE0ELNS1_3repE0EEENS1_48merge_mergepath_partition_config_static_selectorELNS0_4arch9wavefront6targetE0EEEvSF_ ; -- Begin function _ZN7rocprim17ROCPRIM_400000_NS6detail17trampoline_kernelINS0_14default_configENS1_38merge_sort_block_merge_config_selectorItNS0_10empty_typeEEEZZNS1_27merge_sort_block_merge_implIS3_PtPS5_jNS1_19radix_merge_compareILb1ELb1EtNS0_19identity_decomposerEEEEE10hipError_tT0_T1_T2_jT3_P12ihipStream_tbPNSt15iterator_traitsISE_E10value_typeEPNSK_ISF_E10value_typeEPSG_NS1_7vsmem_tEENKUlT_SE_SF_SG_E_clIS8_S8_S9_S9_EESD_ST_SE_SF_SG_EUlST_E_NS1_11comp_targetILNS1_3genE0ELNS1_11target_archE4294967295ELNS1_3gpuE0ELNS1_3repE0EEENS1_48merge_mergepath_partition_config_static_selectorELNS0_4arch9wavefront6targetE0EEEvSF_
	.globl	_ZN7rocprim17ROCPRIM_400000_NS6detail17trampoline_kernelINS0_14default_configENS1_38merge_sort_block_merge_config_selectorItNS0_10empty_typeEEEZZNS1_27merge_sort_block_merge_implIS3_PtPS5_jNS1_19radix_merge_compareILb1ELb1EtNS0_19identity_decomposerEEEEE10hipError_tT0_T1_T2_jT3_P12ihipStream_tbPNSt15iterator_traitsISE_E10value_typeEPNSK_ISF_E10value_typeEPSG_NS1_7vsmem_tEENKUlT_SE_SF_SG_E_clIS8_S8_S9_S9_EESD_ST_SE_SF_SG_EUlST_E_NS1_11comp_targetILNS1_3genE0ELNS1_11target_archE4294967295ELNS1_3gpuE0ELNS1_3repE0EEENS1_48merge_mergepath_partition_config_static_selectorELNS0_4arch9wavefront6targetE0EEEvSF_
	.p2align	8
	.type	_ZN7rocprim17ROCPRIM_400000_NS6detail17trampoline_kernelINS0_14default_configENS1_38merge_sort_block_merge_config_selectorItNS0_10empty_typeEEEZZNS1_27merge_sort_block_merge_implIS3_PtPS5_jNS1_19radix_merge_compareILb1ELb1EtNS0_19identity_decomposerEEEEE10hipError_tT0_T1_T2_jT3_P12ihipStream_tbPNSt15iterator_traitsISE_E10value_typeEPNSK_ISF_E10value_typeEPSG_NS1_7vsmem_tEENKUlT_SE_SF_SG_E_clIS8_S8_S9_S9_EESD_ST_SE_SF_SG_EUlST_E_NS1_11comp_targetILNS1_3genE0ELNS1_11target_archE4294967295ELNS1_3gpuE0ELNS1_3repE0EEENS1_48merge_mergepath_partition_config_static_selectorELNS0_4arch9wavefront6targetE0EEEvSF_,@function
_ZN7rocprim17ROCPRIM_400000_NS6detail17trampoline_kernelINS0_14default_configENS1_38merge_sort_block_merge_config_selectorItNS0_10empty_typeEEEZZNS1_27merge_sort_block_merge_implIS3_PtPS5_jNS1_19radix_merge_compareILb1ELb1EtNS0_19identity_decomposerEEEEE10hipError_tT0_T1_T2_jT3_P12ihipStream_tbPNSt15iterator_traitsISE_E10value_typeEPNSK_ISF_E10value_typeEPSG_NS1_7vsmem_tEENKUlT_SE_SF_SG_E_clIS8_S8_S9_S9_EESD_ST_SE_SF_SG_EUlST_E_NS1_11comp_targetILNS1_3genE0ELNS1_11target_archE4294967295ELNS1_3gpuE0ELNS1_3repE0EEENS1_48merge_mergepath_partition_config_static_selectorELNS0_4arch9wavefront6targetE0EEEvSF_: ; @_ZN7rocprim17ROCPRIM_400000_NS6detail17trampoline_kernelINS0_14default_configENS1_38merge_sort_block_merge_config_selectorItNS0_10empty_typeEEEZZNS1_27merge_sort_block_merge_implIS3_PtPS5_jNS1_19radix_merge_compareILb1ELb1EtNS0_19identity_decomposerEEEEE10hipError_tT0_T1_T2_jT3_P12ihipStream_tbPNSt15iterator_traitsISE_E10value_typeEPNSK_ISF_E10value_typeEPSG_NS1_7vsmem_tEENKUlT_SE_SF_SG_E_clIS8_S8_S9_S9_EESD_ST_SE_SF_SG_EUlST_E_NS1_11comp_targetILNS1_3genE0ELNS1_11target_archE4294967295ELNS1_3gpuE0ELNS1_3repE0EEENS1_48merge_mergepath_partition_config_static_selectorELNS0_4arch9wavefront6targetE0EEEvSF_
; %bb.0:
	s_load_b32 s2, s[0:1], 0x0
	s_bfe_u32 s3, ttmp6, 0x4000c
	s_and_b32 s4, ttmp6, 15
	s_add_co_i32 s3, s3, 1
	s_getreg_b32 s5, hwreg(HW_REG_IB_STS2, 6, 4)
	s_mul_i32 s3, ttmp9, s3
	s_delay_alu instid0(SALU_CYCLE_1) | instskip(SKIP_2) | instid1(SALU_CYCLE_1)
	s_add_co_i32 s4, s4, s3
	s_cmp_eq_u32 s5, 0
	s_cselect_b32 s3, ttmp9, s4
	v_lshl_or_b32 v8, s3, 7, v0
	s_wait_kmcnt 0x0
	s_delay_alu instid0(VALU_DEP_1)
	v_cmp_gt_u32_e32 vcc_lo, s2, v8
	s_and_saveexec_b32 s2, vcc_lo
	s_cbranch_execz .LBB2336_6
; %bb.1:
	s_load_b64 s[2:3], s[0:1], 0x4
	s_mov_b32 s7, exec_lo
	s_wait_kmcnt 0x0
	s_lshr_b32 s4, s2, 9
	s_delay_alu instid0(SALU_CYCLE_1) | instskip(NEXT) | instid1(SALU_CYCLE_1)
	s_and_b32 s4, s4, 0x7ffffe
	s_sub_co_i32 s5, 0, s4
	s_add_co_i32 s4, s4, -1
	s_delay_alu instid0(SALU_CYCLE_1) | instskip(NEXT) | instid1(VALU_DEP_1)
	v_and_b32_e32 v1, s4, v8
	v_dual_lshlrev_b32 v1, 10, v1 :: v_dual_bitop2_b32 v0, s5, v8 bitop3:0x40
	s_delay_alu instid0(VALU_DEP_1) | instskip(NEXT) | instid1(VALU_DEP_1)
	v_lshlrev_b32_e32 v0, 10, v0
	v_add_min_u32_e64 v2, v0, s2, s3
	v_min_u32_e32 v0, s3, v0
	s_delay_alu instid0(VALU_DEP_2) | instskip(SKIP_1) | instid1(VALU_DEP_1)
	v_add_min_u32_e64 v3, v2, s2, s3
	s_load_b64 s[2:3], s[0:1], 0x20
	v_dual_sub_nc_u32 v4, v3, v0 :: v_dual_sub_nc_u32 v3, v3, v2
	s_delay_alu instid0(VALU_DEP_1) | instskip(SKIP_1) | instid1(VALU_DEP_2)
	v_min_u32_e32 v10, v4, v1
	v_sub_nc_u32_e32 v1, v2, v0
	v_sub_nc_u32_e64 v9, v10, v3 clamp
	s_delay_alu instid0(VALU_DEP_2) | instskip(NEXT) | instid1(VALU_DEP_1)
	v_min_u32_e32 v11, v10, v1
	v_cmpx_lt_u32_e64 v9, v11
	s_cbranch_execz .LBB2336_5
; %bb.2:
	s_load_b96 s[4:6], s[0:1], 0x10
	v_mov_b32_e32 v3, 0
	s_wait_xcnt 0x0
	s_mov_b32 s0, 0
	s_delay_alu instid0(VALU_DEP_1) | instskip(SKIP_1) | instid1(VALU_DEP_1)
	v_mov_b32_e32 v1, v3
	s_wait_kmcnt 0x0
	v_lshl_add_u64 v[4:5], v[0:1], 1, s[4:5]
	v_lshl_add_u64 v[6:7], v[2:3], 1, s[4:5]
.LBB2336_3:                             ; =>This Inner Loop Header: Depth=1
	v_add_nc_u32_e32 v1, v11, v9
	s_delay_alu instid0(VALU_DEP_1) | instskip(SKIP_1) | instid1(VALU_DEP_2)
	v_dual_mov_b32 v13, v3 :: v_dual_lshrrev_b32 v16, 1, v1
	v_and_b32_e32 v2, -2, v1
	v_xad_u32 v12, v16, -1, v10
	s_delay_alu instid0(VALU_DEP_2) | instskip(NEXT) | instid1(VALU_DEP_2)
	v_add_nc_u64_e32 v[14:15], v[4:5], v[2:3]
	v_lshl_add_u64 v[12:13], v[12:13], 1, v[6:7]
	s_clause 0x1
	global_load_u16 v1, v[14:15], off
	global_load_u16 v2, v[12:13], off
	s_wait_loadcnt 0x1
	v_and_b32_e32 v1, s6, v1
	s_wait_loadcnt 0x0
	v_and_b32_e32 v2, s6, v2
	s_delay_alu instid0(VALU_DEP_1) | instskip(SKIP_1) | instid1(VALU_DEP_1)
	v_cmp_gt_u16_e32 vcc_lo, v2, v1
	v_dual_cndmask_b32 v11, v11, v16 :: v_dual_add_nc_u32 v12, 1, v16
	v_cndmask_b32_e32 v9, v12, v9, vcc_lo
	s_delay_alu instid0(VALU_DEP_1) | instskip(SKIP_1) | instid1(SALU_CYCLE_1)
	v_cmp_ge_u32_e32 vcc_lo, v9, v11
	s_or_b32 s0, vcc_lo, s0
	s_and_not1_b32 exec_lo, exec_lo, s0
	s_cbranch_execnz .LBB2336_3
; %bb.4:
	s_or_b32 exec_lo, exec_lo, s0
.LBB2336_5:
	s_delay_alu instid0(SALU_CYCLE_1)
	s_or_b32 exec_lo, exec_lo, s7
	v_add_nc_u32_e32 v0, v9, v0
	s_wait_kmcnt 0x0
	global_store_b32 v8, v0, s[2:3] scale_offset
.LBB2336_6:
	s_endpgm
	.section	.rodata,"a",@progbits
	.p2align	6, 0x0
	.amdhsa_kernel _ZN7rocprim17ROCPRIM_400000_NS6detail17trampoline_kernelINS0_14default_configENS1_38merge_sort_block_merge_config_selectorItNS0_10empty_typeEEEZZNS1_27merge_sort_block_merge_implIS3_PtPS5_jNS1_19radix_merge_compareILb1ELb1EtNS0_19identity_decomposerEEEEE10hipError_tT0_T1_T2_jT3_P12ihipStream_tbPNSt15iterator_traitsISE_E10value_typeEPNSK_ISF_E10value_typeEPSG_NS1_7vsmem_tEENKUlT_SE_SF_SG_E_clIS8_S8_S9_S9_EESD_ST_SE_SF_SG_EUlST_E_NS1_11comp_targetILNS1_3genE0ELNS1_11target_archE4294967295ELNS1_3gpuE0ELNS1_3repE0EEENS1_48merge_mergepath_partition_config_static_selectorELNS0_4arch9wavefront6targetE0EEEvSF_
		.amdhsa_group_segment_fixed_size 0
		.amdhsa_private_segment_fixed_size 0
		.amdhsa_kernarg_size 40
		.amdhsa_user_sgpr_count 2
		.amdhsa_user_sgpr_dispatch_ptr 0
		.amdhsa_user_sgpr_queue_ptr 0
		.amdhsa_user_sgpr_kernarg_segment_ptr 1
		.amdhsa_user_sgpr_dispatch_id 0
		.amdhsa_user_sgpr_kernarg_preload_length 0
		.amdhsa_user_sgpr_kernarg_preload_offset 0
		.amdhsa_user_sgpr_private_segment_size 0
		.amdhsa_wavefront_size32 1
		.amdhsa_uses_dynamic_stack 0
		.amdhsa_enable_private_segment 0
		.amdhsa_system_sgpr_workgroup_id_x 1
		.amdhsa_system_sgpr_workgroup_id_y 0
		.amdhsa_system_sgpr_workgroup_id_z 0
		.amdhsa_system_sgpr_workgroup_info 0
		.amdhsa_system_vgpr_workitem_id 0
		.amdhsa_next_free_vgpr 17
		.amdhsa_next_free_sgpr 8
		.amdhsa_named_barrier_count 0
		.amdhsa_reserve_vcc 1
		.amdhsa_float_round_mode_32 0
		.amdhsa_float_round_mode_16_64 0
		.amdhsa_float_denorm_mode_32 3
		.amdhsa_float_denorm_mode_16_64 3
		.amdhsa_fp16_overflow 0
		.amdhsa_memory_ordered 1
		.amdhsa_forward_progress 1
		.amdhsa_inst_pref_size 4
		.amdhsa_round_robin_scheduling 0
		.amdhsa_exception_fp_ieee_invalid_op 0
		.amdhsa_exception_fp_denorm_src 0
		.amdhsa_exception_fp_ieee_div_zero 0
		.amdhsa_exception_fp_ieee_overflow 0
		.amdhsa_exception_fp_ieee_underflow 0
		.amdhsa_exception_fp_ieee_inexact 0
		.amdhsa_exception_int_div_zero 0
	.end_amdhsa_kernel
	.section	.text._ZN7rocprim17ROCPRIM_400000_NS6detail17trampoline_kernelINS0_14default_configENS1_38merge_sort_block_merge_config_selectorItNS0_10empty_typeEEEZZNS1_27merge_sort_block_merge_implIS3_PtPS5_jNS1_19radix_merge_compareILb1ELb1EtNS0_19identity_decomposerEEEEE10hipError_tT0_T1_T2_jT3_P12ihipStream_tbPNSt15iterator_traitsISE_E10value_typeEPNSK_ISF_E10value_typeEPSG_NS1_7vsmem_tEENKUlT_SE_SF_SG_E_clIS8_S8_S9_S9_EESD_ST_SE_SF_SG_EUlST_E_NS1_11comp_targetILNS1_3genE0ELNS1_11target_archE4294967295ELNS1_3gpuE0ELNS1_3repE0EEENS1_48merge_mergepath_partition_config_static_selectorELNS0_4arch9wavefront6targetE0EEEvSF_,"axG",@progbits,_ZN7rocprim17ROCPRIM_400000_NS6detail17trampoline_kernelINS0_14default_configENS1_38merge_sort_block_merge_config_selectorItNS0_10empty_typeEEEZZNS1_27merge_sort_block_merge_implIS3_PtPS5_jNS1_19radix_merge_compareILb1ELb1EtNS0_19identity_decomposerEEEEE10hipError_tT0_T1_T2_jT3_P12ihipStream_tbPNSt15iterator_traitsISE_E10value_typeEPNSK_ISF_E10value_typeEPSG_NS1_7vsmem_tEENKUlT_SE_SF_SG_E_clIS8_S8_S9_S9_EESD_ST_SE_SF_SG_EUlST_E_NS1_11comp_targetILNS1_3genE0ELNS1_11target_archE4294967295ELNS1_3gpuE0ELNS1_3repE0EEENS1_48merge_mergepath_partition_config_static_selectorELNS0_4arch9wavefront6targetE0EEEvSF_,comdat
.Lfunc_end2336:
	.size	_ZN7rocprim17ROCPRIM_400000_NS6detail17trampoline_kernelINS0_14default_configENS1_38merge_sort_block_merge_config_selectorItNS0_10empty_typeEEEZZNS1_27merge_sort_block_merge_implIS3_PtPS5_jNS1_19radix_merge_compareILb1ELb1EtNS0_19identity_decomposerEEEEE10hipError_tT0_T1_T2_jT3_P12ihipStream_tbPNSt15iterator_traitsISE_E10value_typeEPNSK_ISF_E10value_typeEPSG_NS1_7vsmem_tEENKUlT_SE_SF_SG_E_clIS8_S8_S9_S9_EESD_ST_SE_SF_SG_EUlST_E_NS1_11comp_targetILNS1_3genE0ELNS1_11target_archE4294967295ELNS1_3gpuE0ELNS1_3repE0EEENS1_48merge_mergepath_partition_config_static_selectorELNS0_4arch9wavefront6targetE0EEEvSF_, .Lfunc_end2336-_ZN7rocprim17ROCPRIM_400000_NS6detail17trampoline_kernelINS0_14default_configENS1_38merge_sort_block_merge_config_selectorItNS0_10empty_typeEEEZZNS1_27merge_sort_block_merge_implIS3_PtPS5_jNS1_19radix_merge_compareILb1ELb1EtNS0_19identity_decomposerEEEEE10hipError_tT0_T1_T2_jT3_P12ihipStream_tbPNSt15iterator_traitsISE_E10value_typeEPNSK_ISF_E10value_typeEPSG_NS1_7vsmem_tEENKUlT_SE_SF_SG_E_clIS8_S8_S9_S9_EESD_ST_SE_SF_SG_EUlST_E_NS1_11comp_targetILNS1_3genE0ELNS1_11target_archE4294967295ELNS1_3gpuE0ELNS1_3repE0EEENS1_48merge_mergepath_partition_config_static_selectorELNS0_4arch9wavefront6targetE0EEEvSF_
                                        ; -- End function
	.set _ZN7rocprim17ROCPRIM_400000_NS6detail17trampoline_kernelINS0_14default_configENS1_38merge_sort_block_merge_config_selectorItNS0_10empty_typeEEEZZNS1_27merge_sort_block_merge_implIS3_PtPS5_jNS1_19radix_merge_compareILb1ELb1EtNS0_19identity_decomposerEEEEE10hipError_tT0_T1_T2_jT3_P12ihipStream_tbPNSt15iterator_traitsISE_E10value_typeEPNSK_ISF_E10value_typeEPSG_NS1_7vsmem_tEENKUlT_SE_SF_SG_E_clIS8_S8_S9_S9_EESD_ST_SE_SF_SG_EUlST_E_NS1_11comp_targetILNS1_3genE0ELNS1_11target_archE4294967295ELNS1_3gpuE0ELNS1_3repE0EEENS1_48merge_mergepath_partition_config_static_selectorELNS0_4arch9wavefront6targetE0EEEvSF_.num_vgpr, 17
	.set _ZN7rocprim17ROCPRIM_400000_NS6detail17trampoline_kernelINS0_14default_configENS1_38merge_sort_block_merge_config_selectorItNS0_10empty_typeEEEZZNS1_27merge_sort_block_merge_implIS3_PtPS5_jNS1_19radix_merge_compareILb1ELb1EtNS0_19identity_decomposerEEEEE10hipError_tT0_T1_T2_jT3_P12ihipStream_tbPNSt15iterator_traitsISE_E10value_typeEPNSK_ISF_E10value_typeEPSG_NS1_7vsmem_tEENKUlT_SE_SF_SG_E_clIS8_S8_S9_S9_EESD_ST_SE_SF_SG_EUlST_E_NS1_11comp_targetILNS1_3genE0ELNS1_11target_archE4294967295ELNS1_3gpuE0ELNS1_3repE0EEENS1_48merge_mergepath_partition_config_static_selectorELNS0_4arch9wavefront6targetE0EEEvSF_.num_agpr, 0
	.set _ZN7rocprim17ROCPRIM_400000_NS6detail17trampoline_kernelINS0_14default_configENS1_38merge_sort_block_merge_config_selectorItNS0_10empty_typeEEEZZNS1_27merge_sort_block_merge_implIS3_PtPS5_jNS1_19radix_merge_compareILb1ELb1EtNS0_19identity_decomposerEEEEE10hipError_tT0_T1_T2_jT3_P12ihipStream_tbPNSt15iterator_traitsISE_E10value_typeEPNSK_ISF_E10value_typeEPSG_NS1_7vsmem_tEENKUlT_SE_SF_SG_E_clIS8_S8_S9_S9_EESD_ST_SE_SF_SG_EUlST_E_NS1_11comp_targetILNS1_3genE0ELNS1_11target_archE4294967295ELNS1_3gpuE0ELNS1_3repE0EEENS1_48merge_mergepath_partition_config_static_selectorELNS0_4arch9wavefront6targetE0EEEvSF_.numbered_sgpr, 8
	.set _ZN7rocprim17ROCPRIM_400000_NS6detail17trampoline_kernelINS0_14default_configENS1_38merge_sort_block_merge_config_selectorItNS0_10empty_typeEEEZZNS1_27merge_sort_block_merge_implIS3_PtPS5_jNS1_19radix_merge_compareILb1ELb1EtNS0_19identity_decomposerEEEEE10hipError_tT0_T1_T2_jT3_P12ihipStream_tbPNSt15iterator_traitsISE_E10value_typeEPNSK_ISF_E10value_typeEPSG_NS1_7vsmem_tEENKUlT_SE_SF_SG_E_clIS8_S8_S9_S9_EESD_ST_SE_SF_SG_EUlST_E_NS1_11comp_targetILNS1_3genE0ELNS1_11target_archE4294967295ELNS1_3gpuE0ELNS1_3repE0EEENS1_48merge_mergepath_partition_config_static_selectorELNS0_4arch9wavefront6targetE0EEEvSF_.num_named_barrier, 0
	.set _ZN7rocprim17ROCPRIM_400000_NS6detail17trampoline_kernelINS0_14default_configENS1_38merge_sort_block_merge_config_selectorItNS0_10empty_typeEEEZZNS1_27merge_sort_block_merge_implIS3_PtPS5_jNS1_19radix_merge_compareILb1ELb1EtNS0_19identity_decomposerEEEEE10hipError_tT0_T1_T2_jT3_P12ihipStream_tbPNSt15iterator_traitsISE_E10value_typeEPNSK_ISF_E10value_typeEPSG_NS1_7vsmem_tEENKUlT_SE_SF_SG_E_clIS8_S8_S9_S9_EESD_ST_SE_SF_SG_EUlST_E_NS1_11comp_targetILNS1_3genE0ELNS1_11target_archE4294967295ELNS1_3gpuE0ELNS1_3repE0EEENS1_48merge_mergepath_partition_config_static_selectorELNS0_4arch9wavefront6targetE0EEEvSF_.private_seg_size, 0
	.set _ZN7rocprim17ROCPRIM_400000_NS6detail17trampoline_kernelINS0_14default_configENS1_38merge_sort_block_merge_config_selectorItNS0_10empty_typeEEEZZNS1_27merge_sort_block_merge_implIS3_PtPS5_jNS1_19radix_merge_compareILb1ELb1EtNS0_19identity_decomposerEEEEE10hipError_tT0_T1_T2_jT3_P12ihipStream_tbPNSt15iterator_traitsISE_E10value_typeEPNSK_ISF_E10value_typeEPSG_NS1_7vsmem_tEENKUlT_SE_SF_SG_E_clIS8_S8_S9_S9_EESD_ST_SE_SF_SG_EUlST_E_NS1_11comp_targetILNS1_3genE0ELNS1_11target_archE4294967295ELNS1_3gpuE0ELNS1_3repE0EEENS1_48merge_mergepath_partition_config_static_selectorELNS0_4arch9wavefront6targetE0EEEvSF_.uses_vcc, 1
	.set _ZN7rocprim17ROCPRIM_400000_NS6detail17trampoline_kernelINS0_14default_configENS1_38merge_sort_block_merge_config_selectorItNS0_10empty_typeEEEZZNS1_27merge_sort_block_merge_implIS3_PtPS5_jNS1_19radix_merge_compareILb1ELb1EtNS0_19identity_decomposerEEEEE10hipError_tT0_T1_T2_jT3_P12ihipStream_tbPNSt15iterator_traitsISE_E10value_typeEPNSK_ISF_E10value_typeEPSG_NS1_7vsmem_tEENKUlT_SE_SF_SG_E_clIS8_S8_S9_S9_EESD_ST_SE_SF_SG_EUlST_E_NS1_11comp_targetILNS1_3genE0ELNS1_11target_archE4294967295ELNS1_3gpuE0ELNS1_3repE0EEENS1_48merge_mergepath_partition_config_static_selectorELNS0_4arch9wavefront6targetE0EEEvSF_.uses_flat_scratch, 0
	.set _ZN7rocprim17ROCPRIM_400000_NS6detail17trampoline_kernelINS0_14default_configENS1_38merge_sort_block_merge_config_selectorItNS0_10empty_typeEEEZZNS1_27merge_sort_block_merge_implIS3_PtPS5_jNS1_19radix_merge_compareILb1ELb1EtNS0_19identity_decomposerEEEEE10hipError_tT0_T1_T2_jT3_P12ihipStream_tbPNSt15iterator_traitsISE_E10value_typeEPNSK_ISF_E10value_typeEPSG_NS1_7vsmem_tEENKUlT_SE_SF_SG_E_clIS8_S8_S9_S9_EESD_ST_SE_SF_SG_EUlST_E_NS1_11comp_targetILNS1_3genE0ELNS1_11target_archE4294967295ELNS1_3gpuE0ELNS1_3repE0EEENS1_48merge_mergepath_partition_config_static_selectorELNS0_4arch9wavefront6targetE0EEEvSF_.has_dyn_sized_stack, 0
	.set _ZN7rocprim17ROCPRIM_400000_NS6detail17trampoline_kernelINS0_14default_configENS1_38merge_sort_block_merge_config_selectorItNS0_10empty_typeEEEZZNS1_27merge_sort_block_merge_implIS3_PtPS5_jNS1_19radix_merge_compareILb1ELb1EtNS0_19identity_decomposerEEEEE10hipError_tT0_T1_T2_jT3_P12ihipStream_tbPNSt15iterator_traitsISE_E10value_typeEPNSK_ISF_E10value_typeEPSG_NS1_7vsmem_tEENKUlT_SE_SF_SG_E_clIS8_S8_S9_S9_EESD_ST_SE_SF_SG_EUlST_E_NS1_11comp_targetILNS1_3genE0ELNS1_11target_archE4294967295ELNS1_3gpuE0ELNS1_3repE0EEENS1_48merge_mergepath_partition_config_static_selectorELNS0_4arch9wavefront6targetE0EEEvSF_.has_recursion, 0
	.set _ZN7rocprim17ROCPRIM_400000_NS6detail17trampoline_kernelINS0_14default_configENS1_38merge_sort_block_merge_config_selectorItNS0_10empty_typeEEEZZNS1_27merge_sort_block_merge_implIS3_PtPS5_jNS1_19radix_merge_compareILb1ELb1EtNS0_19identity_decomposerEEEEE10hipError_tT0_T1_T2_jT3_P12ihipStream_tbPNSt15iterator_traitsISE_E10value_typeEPNSK_ISF_E10value_typeEPSG_NS1_7vsmem_tEENKUlT_SE_SF_SG_E_clIS8_S8_S9_S9_EESD_ST_SE_SF_SG_EUlST_E_NS1_11comp_targetILNS1_3genE0ELNS1_11target_archE4294967295ELNS1_3gpuE0ELNS1_3repE0EEENS1_48merge_mergepath_partition_config_static_selectorELNS0_4arch9wavefront6targetE0EEEvSF_.has_indirect_call, 0
	.section	.AMDGPU.csdata,"",@progbits
; Kernel info:
; codeLenInByte = 440
; TotalNumSgprs: 10
; NumVgprs: 17
; ScratchSize: 0
; MemoryBound: 0
; FloatMode: 240
; IeeeMode: 1
; LDSByteSize: 0 bytes/workgroup (compile time only)
; SGPRBlocks: 0
; VGPRBlocks: 1
; NumSGPRsForWavesPerEU: 10
; NumVGPRsForWavesPerEU: 17
; NamedBarCnt: 0
; Occupancy: 16
; WaveLimiterHint : 0
; COMPUTE_PGM_RSRC2:SCRATCH_EN: 0
; COMPUTE_PGM_RSRC2:USER_SGPR: 2
; COMPUTE_PGM_RSRC2:TRAP_HANDLER: 0
; COMPUTE_PGM_RSRC2:TGID_X_EN: 1
; COMPUTE_PGM_RSRC2:TGID_Y_EN: 0
; COMPUTE_PGM_RSRC2:TGID_Z_EN: 0
; COMPUTE_PGM_RSRC2:TIDIG_COMP_CNT: 0
	.section	.text._ZN7rocprim17ROCPRIM_400000_NS6detail17trampoline_kernelINS0_14default_configENS1_38merge_sort_block_merge_config_selectorItNS0_10empty_typeEEEZZNS1_27merge_sort_block_merge_implIS3_PtPS5_jNS1_19radix_merge_compareILb1ELb1EtNS0_19identity_decomposerEEEEE10hipError_tT0_T1_T2_jT3_P12ihipStream_tbPNSt15iterator_traitsISE_E10value_typeEPNSK_ISF_E10value_typeEPSG_NS1_7vsmem_tEENKUlT_SE_SF_SG_E_clIS8_S8_S9_S9_EESD_ST_SE_SF_SG_EUlST_E_NS1_11comp_targetILNS1_3genE10ELNS1_11target_archE1201ELNS1_3gpuE5ELNS1_3repE0EEENS1_48merge_mergepath_partition_config_static_selectorELNS0_4arch9wavefront6targetE0EEEvSF_,"axG",@progbits,_ZN7rocprim17ROCPRIM_400000_NS6detail17trampoline_kernelINS0_14default_configENS1_38merge_sort_block_merge_config_selectorItNS0_10empty_typeEEEZZNS1_27merge_sort_block_merge_implIS3_PtPS5_jNS1_19radix_merge_compareILb1ELb1EtNS0_19identity_decomposerEEEEE10hipError_tT0_T1_T2_jT3_P12ihipStream_tbPNSt15iterator_traitsISE_E10value_typeEPNSK_ISF_E10value_typeEPSG_NS1_7vsmem_tEENKUlT_SE_SF_SG_E_clIS8_S8_S9_S9_EESD_ST_SE_SF_SG_EUlST_E_NS1_11comp_targetILNS1_3genE10ELNS1_11target_archE1201ELNS1_3gpuE5ELNS1_3repE0EEENS1_48merge_mergepath_partition_config_static_selectorELNS0_4arch9wavefront6targetE0EEEvSF_,comdat
	.protected	_ZN7rocprim17ROCPRIM_400000_NS6detail17trampoline_kernelINS0_14default_configENS1_38merge_sort_block_merge_config_selectorItNS0_10empty_typeEEEZZNS1_27merge_sort_block_merge_implIS3_PtPS5_jNS1_19radix_merge_compareILb1ELb1EtNS0_19identity_decomposerEEEEE10hipError_tT0_T1_T2_jT3_P12ihipStream_tbPNSt15iterator_traitsISE_E10value_typeEPNSK_ISF_E10value_typeEPSG_NS1_7vsmem_tEENKUlT_SE_SF_SG_E_clIS8_S8_S9_S9_EESD_ST_SE_SF_SG_EUlST_E_NS1_11comp_targetILNS1_3genE10ELNS1_11target_archE1201ELNS1_3gpuE5ELNS1_3repE0EEENS1_48merge_mergepath_partition_config_static_selectorELNS0_4arch9wavefront6targetE0EEEvSF_ ; -- Begin function _ZN7rocprim17ROCPRIM_400000_NS6detail17trampoline_kernelINS0_14default_configENS1_38merge_sort_block_merge_config_selectorItNS0_10empty_typeEEEZZNS1_27merge_sort_block_merge_implIS3_PtPS5_jNS1_19radix_merge_compareILb1ELb1EtNS0_19identity_decomposerEEEEE10hipError_tT0_T1_T2_jT3_P12ihipStream_tbPNSt15iterator_traitsISE_E10value_typeEPNSK_ISF_E10value_typeEPSG_NS1_7vsmem_tEENKUlT_SE_SF_SG_E_clIS8_S8_S9_S9_EESD_ST_SE_SF_SG_EUlST_E_NS1_11comp_targetILNS1_3genE10ELNS1_11target_archE1201ELNS1_3gpuE5ELNS1_3repE0EEENS1_48merge_mergepath_partition_config_static_selectorELNS0_4arch9wavefront6targetE0EEEvSF_
	.globl	_ZN7rocprim17ROCPRIM_400000_NS6detail17trampoline_kernelINS0_14default_configENS1_38merge_sort_block_merge_config_selectorItNS0_10empty_typeEEEZZNS1_27merge_sort_block_merge_implIS3_PtPS5_jNS1_19radix_merge_compareILb1ELb1EtNS0_19identity_decomposerEEEEE10hipError_tT0_T1_T2_jT3_P12ihipStream_tbPNSt15iterator_traitsISE_E10value_typeEPNSK_ISF_E10value_typeEPSG_NS1_7vsmem_tEENKUlT_SE_SF_SG_E_clIS8_S8_S9_S9_EESD_ST_SE_SF_SG_EUlST_E_NS1_11comp_targetILNS1_3genE10ELNS1_11target_archE1201ELNS1_3gpuE5ELNS1_3repE0EEENS1_48merge_mergepath_partition_config_static_selectorELNS0_4arch9wavefront6targetE0EEEvSF_
	.p2align	8
	.type	_ZN7rocprim17ROCPRIM_400000_NS6detail17trampoline_kernelINS0_14default_configENS1_38merge_sort_block_merge_config_selectorItNS0_10empty_typeEEEZZNS1_27merge_sort_block_merge_implIS3_PtPS5_jNS1_19radix_merge_compareILb1ELb1EtNS0_19identity_decomposerEEEEE10hipError_tT0_T1_T2_jT3_P12ihipStream_tbPNSt15iterator_traitsISE_E10value_typeEPNSK_ISF_E10value_typeEPSG_NS1_7vsmem_tEENKUlT_SE_SF_SG_E_clIS8_S8_S9_S9_EESD_ST_SE_SF_SG_EUlST_E_NS1_11comp_targetILNS1_3genE10ELNS1_11target_archE1201ELNS1_3gpuE5ELNS1_3repE0EEENS1_48merge_mergepath_partition_config_static_selectorELNS0_4arch9wavefront6targetE0EEEvSF_,@function
_ZN7rocprim17ROCPRIM_400000_NS6detail17trampoline_kernelINS0_14default_configENS1_38merge_sort_block_merge_config_selectorItNS0_10empty_typeEEEZZNS1_27merge_sort_block_merge_implIS3_PtPS5_jNS1_19radix_merge_compareILb1ELb1EtNS0_19identity_decomposerEEEEE10hipError_tT0_T1_T2_jT3_P12ihipStream_tbPNSt15iterator_traitsISE_E10value_typeEPNSK_ISF_E10value_typeEPSG_NS1_7vsmem_tEENKUlT_SE_SF_SG_E_clIS8_S8_S9_S9_EESD_ST_SE_SF_SG_EUlST_E_NS1_11comp_targetILNS1_3genE10ELNS1_11target_archE1201ELNS1_3gpuE5ELNS1_3repE0EEENS1_48merge_mergepath_partition_config_static_selectorELNS0_4arch9wavefront6targetE0EEEvSF_: ; @_ZN7rocprim17ROCPRIM_400000_NS6detail17trampoline_kernelINS0_14default_configENS1_38merge_sort_block_merge_config_selectorItNS0_10empty_typeEEEZZNS1_27merge_sort_block_merge_implIS3_PtPS5_jNS1_19radix_merge_compareILb1ELb1EtNS0_19identity_decomposerEEEEE10hipError_tT0_T1_T2_jT3_P12ihipStream_tbPNSt15iterator_traitsISE_E10value_typeEPNSK_ISF_E10value_typeEPSG_NS1_7vsmem_tEENKUlT_SE_SF_SG_E_clIS8_S8_S9_S9_EESD_ST_SE_SF_SG_EUlST_E_NS1_11comp_targetILNS1_3genE10ELNS1_11target_archE1201ELNS1_3gpuE5ELNS1_3repE0EEENS1_48merge_mergepath_partition_config_static_selectorELNS0_4arch9wavefront6targetE0EEEvSF_
; %bb.0:
	.section	.rodata,"a",@progbits
	.p2align	6, 0x0
	.amdhsa_kernel _ZN7rocprim17ROCPRIM_400000_NS6detail17trampoline_kernelINS0_14default_configENS1_38merge_sort_block_merge_config_selectorItNS0_10empty_typeEEEZZNS1_27merge_sort_block_merge_implIS3_PtPS5_jNS1_19radix_merge_compareILb1ELb1EtNS0_19identity_decomposerEEEEE10hipError_tT0_T1_T2_jT3_P12ihipStream_tbPNSt15iterator_traitsISE_E10value_typeEPNSK_ISF_E10value_typeEPSG_NS1_7vsmem_tEENKUlT_SE_SF_SG_E_clIS8_S8_S9_S9_EESD_ST_SE_SF_SG_EUlST_E_NS1_11comp_targetILNS1_3genE10ELNS1_11target_archE1201ELNS1_3gpuE5ELNS1_3repE0EEENS1_48merge_mergepath_partition_config_static_selectorELNS0_4arch9wavefront6targetE0EEEvSF_
		.amdhsa_group_segment_fixed_size 0
		.amdhsa_private_segment_fixed_size 0
		.amdhsa_kernarg_size 40
		.amdhsa_user_sgpr_count 2
		.amdhsa_user_sgpr_dispatch_ptr 0
		.amdhsa_user_sgpr_queue_ptr 0
		.amdhsa_user_sgpr_kernarg_segment_ptr 1
		.amdhsa_user_sgpr_dispatch_id 0
		.amdhsa_user_sgpr_kernarg_preload_length 0
		.amdhsa_user_sgpr_kernarg_preload_offset 0
		.amdhsa_user_sgpr_private_segment_size 0
		.amdhsa_wavefront_size32 1
		.amdhsa_uses_dynamic_stack 0
		.amdhsa_enable_private_segment 0
		.amdhsa_system_sgpr_workgroup_id_x 1
		.amdhsa_system_sgpr_workgroup_id_y 0
		.amdhsa_system_sgpr_workgroup_id_z 0
		.amdhsa_system_sgpr_workgroup_info 0
		.amdhsa_system_vgpr_workitem_id 0
		.amdhsa_next_free_vgpr 1
		.amdhsa_next_free_sgpr 1
		.amdhsa_named_barrier_count 0
		.amdhsa_reserve_vcc 0
		.amdhsa_float_round_mode_32 0
		.amdhsa_float_round_mode_16_64 0
		.amdhsa_float_denorm_mode_32 3
		.amdhsa_float_denorm_mode_16_64 3
		.amdhsa_fp16_overflow 0
		.amdhsa_memory_ordered 1
		.amdhsa_forward_progress 1
		.amdhsa_inst_pref_size 0
		.amdhsa_round_robin_scheduling 0
		.amdhsa_exception_fp_ieee_invalid_op 0
		.amdhsa_exception_fp_denorm_src 0
		.amdhsa_exception_fp_ieee_div_zero 0
		.amdhsa_exception_fp_ieee_overflow 0
		.amdhsa_exception_fp_ieee_underflow 0
		.amdhsa_exception_fp_ieee_inexact 0
		.amdhsa_exception_int_div_zero 0
	.end_amdhsa_kernel
	.section	.text._ZN7rocprim17ROCPRIM_400000_NS6detail17trampoline_kernelINS0_14default_configENS1_38merge_sort_block_merge_config_selectorItNS0_10empty_typeEEEZZNS1_27merge_sort_block_merge_implIS3_PtPS5_jNS1_19radix_merge_compareILb1ELb1EtNS0_19identity_decomposerEEEEE10hipError_tT0_T1_T2_jT3_P12ihipStream_tbPNSt15iterator_traitsISE_E10value_typeEPNSK_ISF_E10value_typeEPSG_NS1_7vsmem_tEENKUlT_SE_SF_SG_E_clIS8_S8_S9_S9_EESD_ST_SE_SF_SG_EUlST_E_NS1_11comp_targetILNS1_3genE10ELNS1_11target_archE1201ELNS1_3gpuE5ELNS1_3repE0EEENS1_48merge_mergepath_partition_config_static_selectorELNS0_4arch9wavefront6targetE0EEEvSF_,"axG",@progbits,_ZN7rocprim17ROCPRIM_400000_NS6detail17trampoline_kernelINS0_14default_configENS1_38merge_sort_block_merge_config_selectorItNS0_10empty_typeEEEZZNS1_27merge_sort_block_merge_implIS3_PtPS5_jNS1_19radix_merge_compareILb1ELb1EtNS0_19identity_decomposerEEEEE10hipError_tT0_T1_T2_jT3_P12ihipStream_tbPNSt15iterator_traitsISE_E10value_typeEPNSK_ISF_E10value_typeEPSG_NS1_7vsmem_tEENKUlT_SE_SF_SG_E_clIS8_S8_S9_S9_EESD_ST_SE_SF_SG_EUlST_E_NS1_11comp_targetILNS1_3genE10ELNS1_11target_archE1201ELNS1_3gpuE5ELNS1_3repE0EEENS1_48merge_mergepath_partition_config_static_selectorELNS0_4arch9wavefront6targetE0EEEvSF_,comdat
.Lfunc_end2337:
	.size	_ZN7rocprim17ROCPRIM_400000_NS6detail17trampoline_kernelINS0_14default_configENS1_38merge_sort_block_merge_config_selectorItNS0_10empty_typeEEEZZNS1_27merge_sort_block_merge_implIS3_PtPS5_jNS1_19radix_merge_compareILb1ELb1EtNS0_19identity_decomposerEEEEE10hipError_tT0_T1_T2_jT3_P12ihipStream_tbPNSt15iterator_traitsISE_E10value_typeEPNSK_ISF_E10value_typeEPSG_NS1_7vsmem_tEENKUlT_SE_SF_SG_E_clIS8_S8_S9_S9_EESD_ST_SE_SF_SG_EUlST_E_NS1_11comp_targetILNS1_3genE10ELNS1_11target_archE1201ELNS1_3gpuE5ELNS1_3repE0EEENS1_48merge_mergepath_partition_config_static_selectorELNS0_4arch9wavefront6targetE0EEEvSF_, .Lfunc_end2337-_ZN7rocprim17ROCPRIM_400000_NS6detail17trampoline_kernelINS0_14default_configENS1_38merge_sort_block_merge_config_selectorItNS0_10empty_typeEEEZZNS1_27merge_sort_block_merge_implIS3_PtPS5_jNS1_19radix_merge_compareILb1ELb1EtNS0_19identity_decomposerEEEEE10hipError_tT0_T1_T2_jT3_P12ihipStream_tbPNSt15iterator_traitsISE_E10value_typeEPNSK_ISF_E10value_typeEPSG_NS1_7vsmem_tEENKUlT_SE_SF_SG_E_clIS8_S8_S9_S9_EESD_ST_SE_SF_SG_EUlST_E_NS1_11comp_targetILNS1_3genE10ELNS1_11target_archE1201ELNS1_3gpuE5ELNS1_3repE0EEENS1_48merge_mergepath_partition_config_static_selectorELNS0_4arch9wavefront6targetE0EEEvSF_
                                        ; -- End function
	.set _ZN7rocprim17ROCPRIM_400000_NS6detail17trampoline_kernelINS0_14default_configENS1_38merge_sort_block_merge_config_selectorItNS0_10empty_typeEEEZZNS1_27merge_sort_block_merge_implIS3_PtPS5_jNS1_19radix_merge_compareILb1ELb1EtNS0_19identity_decomposerEEEEE10hipError_tT0_T1_T2_jT3_P12ihipStream_tbPNSt15iterator_traitsISE_E10value_typeEPNSK_ISF_E10value_typeEPSG_NS1_7vsmem_tEENKUlT_SE_SF_SG_E_clIS8_S8_S9_S9_EESD_ST_SE_SF_SG_EUlST_E_NS1_11comp_targetILNS1_3genE10ELNS1_11target_archE1201ELNS1_3gpuE5ELNS1_3repE0EEENS1_48merge_mergepath_partition_config_static_selectorELNS0_4arch9wavefront6targetE0EEEvSF_.num_vgpr, 0
	.set _ZN7rocprim17ROCPRIM_400000_NS6detail17trampoline_kernelINS0_14default_configENS1_38merge_sort_block_merge_config_selectorItNS0_10empty_typeEEEZZNS1_27merge_sort_block_merge_implIS3_PtPS5_jNS1_19radix_merge_compareILb1ELb1EtNS0_19identity_decomposerEEEEE10hipError_tT0_T1_T2_jT3_P12ihipStream_tbPNSt15iterator_traitsISE_E10value_typeEPNSK_ISF_E10value_typeEPSG_NS1_7vsmem_tEENKUlT_SE_SF_SG_E_clIS8_S8_S9_S9_EESD_ST_SE_SF_SG_EUlST_E_NS1_11comp_targetILNS1_3genE10ELNS1_11target_archE1201ELNS1_3gpuE5ELNS1_3repE0EEENS1_48merge_mergepath_partition_config_static_selectorELNS0_4arch9wavefront6targetE0EEEvSF_.num_agpr, 0
	.set _ZN7rocprim17ROCPRIM_400000_NS6detail17trampoline_kernelINS0_14default_configENS1_38merge_sort_block_merge_config_selectorItNS0_10empty_typeEEEZZNS1_27merge_sort_block_merge_implIS3_PtPS5_jNS1_19radix_merge_compareILb1ELb1EtNS0_19identity_decomposerEEEEE10hipError_tT0_T1_T2_jT3_P12ihipStream_tbPNSt15iterator_traitsISE_E10value_typeEPNSK_ISF_E10value_typeEPSG_NS1_7vsmem_tEENKUlT_SE_SF_SG_E_clIS8_S8_S9_S9_EESD_ST_SE_SF_SG_EUlST_E_NS1_11comp_targetILNS1_3genE10ELNS1_11target_archE1201ELNS1_3gpuE5ELNS1_3repE0EEENS1_48merge_mergepath_partition_config_static_selectorELNS0_4arch9wavefront6targetE0EEEvSF_.numbered_sgpr, 0
	.set _ZN7rocprim17ROCPRIM_400000_NS6detail17trampoline_kernelINS0_14default_configENS1_38merge_sort_block_merge_config_selectorItNS0_10empty_typeEEEZZNS1_27merge_sort_block_merge_implIS3_PtPS5_jNS1_19radix_merge_compareILb1ELb1EtNS0_19identity_decomposerEEEEE10hipError_tT0_T1_T2_jT3_P12ihipStream_tbPNSt15iterator_traitsISE_E10value_typeEPNSK_ISF_E10value_typeEPSG_NS1_7vsmem_tEENKUlT_SE_SF_SG_E_clIS8_S8_S9_S9_EESD_ST_SE_SF_SG_EUlST_E_NS1_11comp_targetILNS1_3genE10ELNS1_11target_archE1201ELNS1_3gpuE5ELNS1_3repE0EEENS1_48merge_mergepath_partition_config_static_selectorELNS0_4arch9wavefront6targetE0EEEvSF_.num_named_barrier, 0
	.set _ZN7rocprim17ROCPRIM_400000_NS6detail17trampoline_kernelINS0_14default_configENS1_38merge_sort_block_merge_config_selectorItNS0_10empty_typeEEEZZNS1_27merge_sort_block_merge_implIS3_PtPS5_jNS1_19radix_merge_compareILb1ELb1EtNS0_19identity_decomposerEEEEE10hipError_tT0_T1_T2_jT3_P12ihipStream_tbPNSt15iterator_traitsISE_E10value_typeEPNSK_ISF_E10value_typeEPSG_NS1_7vsmem_tEENKUlT_SE_SF_SG_E_clIS8_S8_S9_S9_EESD_ST_SE_SF_SG_EUlST_E_NS1_11comp_targetILNS1_3genE10ELNS1_11target_archE1201ELNS1_3gpuE5ELNS1_3repE0EEENS1_48merge_mergepath_partition_config_static_selectorELNS0_4arch9wavefront6targetE0EEEvSF_.private_seg_size, 0
	.set _ZN7rocprim17ROCPRIM_400000_NS6detail17trampoline_kernelINS0_14default_configENS1_38merge_sort_block_merge_config_selectorItNS0_10empty_typeEEEZZNS1_27merge_sort_block_merge_implIS3_PtPS5_jNS1_19radix_merge_compareILb1ELb1EtNS0_19identity_decomposerEEEEE10hipError_tT0_T1_T2_jT3_P12ihipStream_tbPNSt15iterator_traitsISE_E10value_typeEPNSK_ISF_E10value_typeEPSG_NS1_7vsmem_tEENKUlT_SE_SF_SG_E_clIS8_S8_S9_S9_EESD_ST_SE_SF_SG_EUlST_E_NS1_11comp_targetILNS1_3genE10ELNS1_11target_archE1201ELNS1_3gpuE5ELNS1_3repE0EEENS1_48merge_mergepath_partition_config_static_selectorELNS0_4arch9wavefront6targetE0EEEvSF_.uses_vcc, 0
	.set _ZN7rocprim17ROCPRIM_400000_NS6detail17trampoline_kernelINS0_14default_configENS1_38merge_sort_block_merge_config_selectorItNS0_10empty_typeEEEZZNS1_27merge_sort_block_merge_implIS3_PtPS5_jNS1_19radix_merge_compareILb1ELb1EtNS0_19identity_decomposerEEEEE10hipError_tT0_T1_T2_jT3_P12ihipStream_tbPNSt15iterator_traitsISE_E10value_typeEPNSK_ISF_E10value_typeEPSG_NS1_7vsmem_tEENKUlT_SE_SF_SG_E_clIS8_S8_S9_S9_EESD_ST_SE_SF_SG_EUlST_E_NS1_11comp_targetILNS1_3genE10ELNS1_11target_archE1201ELNS1_3gpuE5ELNS1_3repE0EEENS1_48merge_mergepath_partition_config_static_selectorELNS0_4arch9wavefront6targetE0EEEvSF_.uses_flat_scratch, 0
	.set _ZN7rocprim17ROCPRIM_400000_NS6detail17trampoline_kernelINS0_14default_configENS1_38merge_sort_block_merge_config_selectorItNS0_10empty_typeEEEZZNS1_27merge_sort_block_merge_implIS3_PtPS5_jNS1_19radix_merge_compareILb1ELb1EtNS0_19identity_decomposerEEEEE10hipError_tT0_T1_T2_jT3_P12ihipStream_tbPNSt15iterator_traitsISE_E10value_typeEPNSK_ISF_E10value_typeEPSG_NS1_7vsmem_tEENKUlT_SE_SF_SG_E_clIS8_S8_S9_S9_EESD_ST_SE_SF_SG_EUlST_E_NS1_11comp_targetILNS1_3genE10ELNS1_11target_archE1201ELNS1_3gpuE5ELNS1_3repE0EEENS1_48merge_mergepath_partition_config_static_selectorELNS0_4arch9wavefront6targetE0EEEvSF_.has_dyn_sized_stack, 0
	.set _ZN7rocprim17ROCPRIM_400000_NS6detail17trampoline_kernelINS0_14default_configENS1_38merge_sort_block_merge_config_selectorItNS0_10empty_typeEEEZZNS1_27merge_sort_block_merge_implIS3_PtPS5_jNS1_19radix_merge_compareILb1ELb1EtNS0_19identity_decomposerEEEEE10hipError_tT0_T1_T2_jT3_P12ihipStream_tbPNSt15iterator_traitsISE_E10value_typeEPNSK_ISF_E10value_typeEPSG_NS1_7vsmem_tEENKUlT_SE_SF_SG_E_clIS8_S8_S9_S9_EESD_ST_SE_SF_SG_EUlST_E_NS1_11comp_targetILNS1_3genE10ELNS1_11target_archE1201ELNS1_3gpuE5ELNS1_3repE0EEENS1_48merge_mergepath_partition_config_static_selectorELNS0_4arch9wavefront6targetE0EEEvSF_.has_recursion, 0
	.set _ZN7rocprim17ROCPRIM_400000_NS6detail17trampoline_kernelINS0_14default_configENS1_38merge_sort_block_merge_config_selectorItNS0_10empty_typeEEEZZNS1_27merge_sort_block_merge_implIS3_PtPS5_jNS1_19radix_merge_compareILb1ELb1EtNS0_19identity_decomposerEEEEE10hipError_tT0_T1_T2_jT3_P12ihipStream_tbPNSt15iterator_traitsISE_E10value_typeEPNSK_ISF_E10value_typeEPSG_NS1_7vsmem_tEENKUlT_SE_SF_SG_E_clIS8_S8_S9_S9_EESD_ST_SE_SF_SG_EUlST_E_NS1_11comp_targetILNS1_3genE10ELNS1_11target_archE1201ELNS1_3gpuE5ELNS1_3repE0EEENS1_48merge_mergepath_partition_config_static_selectorELNS0_4arch9wavefront6targetE0EEEvSF_.has_indirect_call, 0
	.section	.AMDGPU.csdata,"",@progbits
; Kernel info:
; codeLenInByte = 0
; TotalNumSgprs: 0
; NumVgprs: 0
; ScratchSize: 0
; MemoryBound: 0
; FloatMode: 240
; IeeeMode: 1
; LDSByteSize: 0 bytes/workgroup (compile time only)
; SGPRBlocks: 0
; VGPRBlocks: 0
; NumSGPRsForWavesPerEU: 1
; NumVGPRsForWavesPerEU: 1
; NamedBarCnt: 0
; Occupancy: 16
; WaveLimiterHint : 0
; COMPUTE_PGM_RSRC2:SCRATCH_EN: 0
; COMPUTE_PGM_RSRC2:USER_SGPR: 2
; COMPUTE_PGM_RSRC2:TRAP_HANDLER: 0
; COMPUTE_PGM_RSRC2:TGID_X_EN: 1
; COMPUTE_PGM_RSRC2:TGID_Y_EN: 0
; COMPUTE_PGM_RSRC2:TGID_Z_EN: 0
; COMPUTE_PGM_RSRC2:TIDIG_COMP_CNT: 0
	.section	.text._ZN7rocprim17ROCPRIM_400000_NS6detail17trampoline_kernelINS0_14default_configENS1_38merge_sort_block_merge_config_selectorItNS0_10empty_typeEEEZZNS1_27merge_sort_block_merge_implIS3_PtPS5_jNS1_19radix_merge_compareILb1ELb1EtNS0_19identity_decomposerEEEEE10hipError_tT0_T1_T2_jT3_P12ihipStream_tbPNSt15iterator_traitsISE_E10value_typeEPNSK_ISF_E10value_typeEPSG_NS1_7vsmem_tEENKUlT_SE_SF_SG_E_clIS8_S8_S9_S9_EESD_ST_SE_SF_SG_EUlST_E_NS1_11comp_targetILNS1_3genE5ELNS1_11target_archE942ELNS1_3gpuE9ELNS1_3repE0EEENS1_48merge_mergepath_partition_config_static_selectorELNS0_4arch9wavefront6targetE0EEEvSF_,"axG",@progbits,_ZN7rocprim17ROCPRIM_400000_NS6detail17trampoline_kernelINS0_14default_configENS1_38merge_sort_block_merge_config_selectorItNS0_10empty_typeEEEZZNS1_27merge_sort_block_merge_implIS3_PtPS5_jNS1_19radix_merge_compareILb1ELb1EtNS0_19identity_decomposerEEEEE10hipError_tT0_T1_T2_jT3_P12ihipStream_tbPNSt15iterator_traitsISE_E10value_typeEPNSK_ISF_E10value_typeEPSG_NS1_7vsmem_tEENKUlT_SE_SF_SG_E_clIS8_S8_S9_S9_EESD_ST_SE_SF_SG_EUlST_E_NS1_11comp_targetILNS1_3genE5ELNS1_11target_archE942ELNS1_3gpuE9ELNS1_3repE0EEENS1_48merge_mergepath_partition_config_static_selectorELNS0_4arch9wavefront6targetE0EEEvSF_,comdat
	.protected	_ZN7rocprim17ROCPRIM_400000_NS6detail17trampoline_kernelINS0_14default_configENS1_38merge_sort_block_merge_config_selectorItNS0_10empty_typeEEEZZNS1_27merge_sort_block_merge_implIS3_PtPS5_jNS1_19radix_merge_compareILb1ELb1EtNS0_19identity_decomposerEEEEE10hipError_tT0_T1_T2_jT3_P12ihipStream_tbPNSt15iterator_traitsISE_E10value_typeEPNSK_ISF_E10value_typeEPSG_NS1_7vsmem_tEENKUlT_SE_SF_SG_E_clIS8_S8_S9_S9_EESD_ST_SE_SF_SG_EUlST_E_NS1_11comp_targetILNS1_3genE5ELNS1_11target_archE942ELNS1_3gpuE9ELNS1_3repE0EEENS1_48merge_mergepath_partition_config_static_selectorELNS0_4arch9wavefront6targetE0EEEvSF_ ; -- Begin function _ZN7rocprim17ROCPRIM_400000_NS6detail17trampoline_kernelINS0_14default_configENS1_38merge_sort_block_merge_config_selectorItNS0_10empty_typeEEEZZNS1_27merge_sort_block_merge_implIS3_PtPS5_jNS1_19radix_merge_compareILb1ELb1EtNS0_19identity_decomposerEEEEE10hipError_tT0_T1_T2_jT3_P12ihipStream_tbPNSt15iterator_traitsISE_E10value_typeEPNSK_ISF_E10value_typeEPSG_NS1_7vsmem_tEENKUlT_SE_SF_SG_E_clIS8_S8_S9_S9_EESD_ST_SE_SF_SG_EUlST_E_NS1_11comp_targetILNS1_3genE5ELNS1_11target_archE942ELNS1_3gpuE9ELNS1_3repE0EEENS1_48merge_mergepath_partition_config_static_selectorELNS0_4arch9wavefront6targetE0EEEvSF_
	.globl	_ZN7rocprim17ROCPRIM_400000_NS6detail17trampoline_kernelINS0_14default_configENS1_38merge_sort_block_merge_config_selectorItNS0_10empty_typeEEEZZNS1_27merge_sort_block_merge_implIS3_PtPS5_jNS1_19radix_merge_compareILb1ELb1EtNS0_19identity_decomposerEEEEE10hipError_tT0_T1_T2_jT3_P12ihipStream_tbPNSt15iterator_traitsISE_E10value_typeEPNSK_ISF_E10value_typeEPSG_NS1_7vsmem_tEENKUlT_SE_SF_SG_E_clIS8_S8_S9_S9_EESD_ST_SE_SF_SG_EUlST_E_NS1_11comp_targetILNS1_3genE5ELNS1_11target_archE942ELNS1_3gpuE9ELNS1_3repE0EEENS1_48merge_mergepath_partition_config_static_selectorELNS0_4arch9wavefront6targetE0EEEvSF_
	.p2align	8
	.type	_ZN7rocprim17ROCPRIM_400000_NS6detail17trampoline_kernelINS0_14default_configENS1_38merge_sort_block_merge_config_selectorItNS0_10empty_typeEEEZZNS1_27merge_sort_block_merge_implIS3_PtPS5_jNS1_19radix_merge_compareILb1ELb1EtNS0_19identity_decomposerEEEEE10hipError_tT0_T1_T2_jT3_P12ihipStream_tbPNSt15iterator_traitsISE_E10value_typeEPNSK_ISF_E10value_typeEPSG_NS1_7vsmem_tEENKUlT_SE_SF_SG_E_clIS8_S8_S9_S9_EESD_ST_SE_SF_SG_EUlST_E_NS1_11comp_targetILNS1_3genE5ELNS1_11target_archE942ELNS1_3gpuE9ELNS1_3repE0EEENS1_48merge_mergepath_partition_config_static_selectorELNS0_4arch9wavefront6targetE0EEEvSF_,@function
_ZN7rocprim17ROCPRIM_400000_NS6detail17trampoline_kernelINS0_14default_configENS1_38merge_sort_block_merge_config_selectorItNS0_10empty_typeEEEZZNS1_27merge_sort_block_merge_implIS3_PtPS5_jNS1_19radix_merge_compareILb1ELb1EtNS0_19identity_decomposerEEEEE10hipError_tT0_T1_T2_jT3_P12ihipStream_tbPNSt15iterator_traitsISE_E10value_typeEPNSK_ISF_E10value_typeEPSG_NS1_7vsmem_tEENKUlT_SE_SF_SG_E_clIS8_S8_S9_S9_EESD_ST_SE_SF_SG_EUlST_E_NS1_11comp_targetILNS1_3genE5ELNS1_11target_archE942ELNS1_3gpuE9ELNS1_3repE0EEENS1_48merge_mergepath_partition_config_static_selectorELNS0_4arch9wavefront6targetE0EEEvSF_: ; @_ZN7rocprim17ROCPRIM_400000_NS6detail17trampoline_kernelINS0_14default_configENS1_38merge_sort_block_merge_config_selectorItNS0_10empty_typeEEEZZNS1_27merge_sort_block_merge_implIS3_PtPS5_jNS1_19radix_merge_compareILb1ELb1EtNS0_19identity_decomposerEEEEE10hipError_tT0_T1_T2_jT3_P12ihipStream_tbPNSt15iterator_traitsISE_E10value_typeEPNSK_ISF_E10value_typeEPSG_NS1_7vsmem_tEENKUlT_SE_SF_SG_E_clIS8_S8_S9_S9_EESD_ST_SE_SF_SG_EUlST_E_NS1_11comp_targetILNS1_3genE5ELNS1_11target_archE942ELNS1_3gpuE9ELNS1_3repE0EEENS1_48merge_mergepath_partition_config_static_selectorELNS0_4arch9wavefront6targetE0EEEvSF_
; %bb.0:
	.section	.rodata,"a",@progbits
	.p2align	6, 0x0
	.amdhsa_kernel _ZN7rocprim17ROCPRIM_400000_NS6detail17trampoline_kernelINS0_14default_configENS1_38merge_sort_block_merge_config_selectorItNS0_10empty_typeEEEZZNS1_27merge_sort_block_merge_implIS3_PtPS5_jNS1_19radix_merge_compareILb1ELb1EtNS0_19identity_decomposerEEEEE10hipError_tT0_T1_T2_jT3_P12ihipStream_tbPNSt15iterator_traitsISE_E10value_typeEPNSK_ISF_E10value_typeEPSG_NS1_7vsmem_tEENKUlT_SE_SF_SG_E_clIS8_S8_S9_S9_EESD_ST_SE_SF_SG_EUlST_E_NS1_11comp_targetILNS1_3genE5ELNS1_11target_archE942ELNS1_3gpuE9ELNS1_3repE0EEENS1_48merge_mergepath_partition_config_static_selectorELNS0_4arch9wavefront6targetE0EEEvSF_
		.amdhsa_group_segment_fixed_size 0
		.amdhsa_private_segment_fixed_size 0
		.amdhsa_kernarg_size 40
		.amdhsa_user_sgpr_count 2
		.amdhsa_user_sgpr_dispatch_ptr 0
		.amdhsa_user_sgpr_queue_ptr 0
		.amdhsa_user_sgpr_kernarg_segment_ptr 1
		.amdhsa_user_sgpr_dispatch_id 0
		.amdhsa_user_sgpr_kernarg_preload_length 0
		.amdhsa_user_sgpr_kernarg_preload_offset 0
		.amdhsa_user_sgpr_private_segment_size 0
		.amdhsa_wavefront_size32 1
		.amdhsa_uses_dynamic_stack 0
		.amdhsa_enable_private_segment 0
		.amdhsa_system_sgpr_workgroup_id_x 1
		.amdhsa_system_sgpr_workgroup_id_y 0
		.amdhsa_system_sgpr_workgroup_id_z 0
		.amdhsa_system_sgpr_workgroup_info 0
		.amdhsa_system_vgpr_workitem_id 0
		.amdhsa_next_free_vgpr 1
		.amdhsa_next_free_sgpr 1
		.amdhsa_named_barrier_count 0
		.amdhsa_reserve_vcc 0
		.amdhsa_float_round_mode_32 0
		.amdhsa_float_round_mode_16_64 0
		.amdhsa_float_denorm_mode_32 3
		.amdhsa_float_denorm_mode_16_64 3
		.amdhsa_fp16_overflow 0
		.amdhsa_memory_ordered 1
		.amdhsa_forward_progress 1
		.amdhsa_inst_pref_size 0
		.amdhsa_round_robin_scheduling 0
		.amdhsa_exception_fp_ieee_invalid_op 0
		.amdhsa_exception_fp_denorm_src 0
		.amdhsa_exception_fp_ieee_div_zero 0
		.amdhsa_exception_fp_ieee_overflow 0
		.amdhsa_exception_fp_ieee_underflow 0
		.amdhsa_exception_fp_ieee_inexact 0
		.amdhsa_exception_int_div_zero 0
	.end_amdhsa_kernel
	.section	.text._ZN7rocprim17ROCPRIM_400000_NS6detail17trampoline_kernelINS0_14default_configENS1_38merge_sort_block_merge_config_selectorItNS0_10empty_typeEEEZZNS1_27merge_sort_block_merge_implIS3_PtPS5_jNS1_19radix_merge_compareILb1ELb1EtNS0_19identity_decomposerEEEEE10hipError_tT0_T1_T2_jT3_P12ihipStream_tbPNSt15iterator_traitsISE_E10value_typeEPNSK_ISF_E10value_typeEPSG_NS1_7vsmem_tEENKUlT_SE_SF_SG_E_clIS8_S8_S9_S9_EESD_ST_SE_SF_SG_EUlST_E_NS1_11comp_targetILNS1_3genE5ELNS1_11target_archE942ELNS1_3gpuE9ELNS1_3repE0EEENS1_48merge_mergepath_partition_config_static_selectorELNS0_4arch9wavefront6targetE0EEEvSF_,"axG",@progbits,_ZN7rocprim17ROCPRIM_400000_NS6detail17trampoline_kernelINS0_14default_configENS1_38merge_sort_block_merge_config_selectorItNS0_10empty_typeEEEZZNS1_27merge_sort_block_merge_implIS3_PtPS5_jNS1_19radix_merge_compareILb1ELb1EtNS0_19identity_decomposerEEEEE10hipError_tT0_T1_T2_jT3_P12ihipStream_tbPNSt15iterator_traitsISE_E10value_typeEPNSK_ISF_E10value_typeEPSG_NS1_7vsmem_tEENKUlT_SE_SF_SG_E_clIS8_S8_S9_S9_EESD_ST_SE_SF_SG_EUlST_E_NS1_11comp_targetILNS1_3genE5ELNS1_11target_archE942ELNS1_3gpuE9ELNS1_3repE0EEENS1_48merge_mergepath_partition_config_static_selectorELNS0_4arch9wavefront6targetE0EEEvSF_,comdat
.Lfunc_end2338:
	.size	_ZN7rocprim17ROCPRIM_400000_NS6detail17trampoline_kernelINS0_14default_configENS1_38merge_sort_block_merge_config_selectorItNS0_10empty_typeEEEZZNS1_27merge_sort_block_merge_implIS3_PtPS5_jNS1_19radix_merge_compareILb1ELb1EtNS0_19identity_decomposerEEEEE10hipError_tT0_T1_T2_jT3_P12ihipStream_tbPNSt15iterator_traitsISE_E10value_typeEPNSK_ISF_E10value_typeEPSG_NS1_7vsmem_tEENKUlT_SE_SF_SG_E_clIS8_S8_S9_S9_EESD_ST_SE_SF_SG_EUlST_E_NS1_11comp_targetILNS1_3genE5ELNS1_11target_archE942ELNS1_3gpuE9ELNS1_3repE0EEENS1_48merge_mergepath_partition_config_static_selectorELNS0_4arch9wavefront6targetE0EEEvSF_, .Lfunc_end2338-_ZN7rocprim17ROCPRIM_400000_NS6detail17trampoline_kernelINS0_14default_configENS1_38merge_sort_block_merge_config_selectorItNS0_10empty_typeEEEZZNS1_27merge_sort_block_merge_implIS3_PtPS5_jNS1_19radix_merge_compareILb1ELb1EtNS0_19identity_decomposerEEEEE10hipError_tT0_T1_T2_jT3_P12ihipStream_tbPNSt15iterator_traitsISE_E10value_typeEPNSK_ISF_E10value_typeEPSG_NS1_7vsmem_tEENKUlT_SE_SF_SG_E_clIS8_S8_S9_S9_EESD_ST_SE_SF_SG_EUlST_E_NS1_11comp_targetILNS1_3genE5ELNS1_11target_archE942ELNS1_3gpuE9ELNS1_3repE0EEENS1_48merge_mergepath_partition_config_static_selectorELNS0_4arch9wavefront6targetE0EEEvSF_
                                        ; -- End function
	.set _ZN7rocprim17ROCPRIM_400000_NS6detail17trampoline_kernelINS0_14default_configENS1_38merge_sort_block_merge_config_selectorItNS0_10empty_typeEEEZZNS1_27merge_sort_block_merge_implIS3_PtPS5_jNS1_19radix_merge_compareILb1ELb1EtNS0_19identity_decomposerEEEEE10hipError_tT0_T1_T2_jT3_P12ihipStream_tbPNSt15iterator_traitsISE_E10value_typeEPNSK_ISF_E10value_typeEPSG_NS1_7vsmem_tEENKUlT_SE_SF_SG_E_clIS8_S8_S9_S9_EESD_ST_SE_SF_SG_EUlST_E_NS1_11comp_targetILNS1_3genE5ELNS1_11target_archE942ELNS1_3gpuE9ELNS1_3repE0EEENS1_48merge_mergepath_partition_config_static_selectorELNS0_4arch9wavefront6targetE0EEEvSF_.num_vgpr, 0
	.set _ZN7rocprim17ROCPRIM_400000_NS6detail17trampoline_kernelINS0_14default_configENS1_38merge_sort_block_merge_config_selectorItNS0_10empty_typeEEEZZNS1_27merge_sort_block_merge_implIS3_PtPS5_jNS1_19radix_merge_compareILb1ELb1EtNS0_19identity_decomposerEEEEE10hipError_tT0_T1_T2_jT3_P12ihipStream_tbPNSt15iterator_traitsISE_E10value_typeEPNSK_ISF_E10value_typeEPSG_NS1_7vsmem_tEENKUlT_SE_SF_SG_E_clIS8_S8_S9_S9_EESD_ST_SE_SF_SG_EUlST_E_NS1_11comp_targetILNS1_3genE5ELNS1_11target_archE942ELNS1_3gpuE9ELNS1_3repE0EEENS1_48merge_mergepath_partition_config_static_selectorELNS0_4arch9wavefront6targetE0EEEvSF_.num_agpr, 0
	.set _ZN7rocprim17ROCPRIM_400000_NS6detail17trampoline_kernelINS0_14default_configENS1_38merge_sort_block_merge_config_selectorItNS0_10empty_typeEEEZZNS1_27merge_sort_block_merge_implIS3_PtPS5_jNS1_19radix_merge_compareILb1ELb1EtNS0_19identity_decomposerEEEEE10hipError_tT0_T1_T2_jT3_P12ihipStream_tbPNSt15iterator_traitsISE_E10value_typeEPNSK_ISF_E10value_typeEPSG_NS1_7vsmem_tEENKUlT_SE_SF_SG_E_clIS8_S8_S9_S9_EESD_ST_SE_SF_SG_EUlST_E_NS1_11comp_targetILNS1_3genE5ELNS1_11target_archE942ELNS1_3gpuE9ELNS1_3repE0EEENS1_48merge_mergepath_partition_config_static_selectorELNS0_4arch9wavefront6targetE0EEEvSF_.numbered_sgpr, 0
	.set _ZN7rocprim17ROCPRIM_400000_NS6detail17trampoline_kernelINS0_14default_configENS1_38merge_sort_block_merge_config_selectorItNS0_10empty_typeEEEZZNS1_27merge_sort_block_merge_implIS3_PtPS5_jNS1_19radix_merge_compareILb1ELb1EtNS0_19identity_decomposerEEEEE10hipError_tT0_T1_T2_jT3_P12ihipStream_tbPNSt15iterator_traitsISE_E10value_typeEPNSK_ISF_E10value_typeEPSG_NS1_7vsmem_tEENKUlT_SE_SF_SG_E_clIS8_S8_S9_S9_EESD_ST_SE_SF_SG_EUlST_E_NS1_11comp_targetILNS1_3genE5ELNS1_11target_archE942ELNS1_3gpuE9ELNS1_3repE0EEENS1_48merge_mergepath_partition_config_static_selectorELNS0_4arch9wavefront6targetE0EEEvSF_.num_named_barrier, 0
	.set _ZN7rocprim17ROCPRIM_400000_NS6detail17trampoline_kernelINS0_14default_configENS1_38merge_sort_block_merge_config_selectorItNS0_10empty_typeEEEZZNS1_27merge_sort_block_merge_implIS3_PtPS5_jNS1_19radix_merge_compareILb1ELb1EtNS0_19identity_decomposerEEEEE10hipError_tT0_T1_T2_jT3_P12ihipStream_tbPNSt15iterator_traitsISE_E10value_typeEPNSK_ISF_E10value_typeEPSG_NS1_7vsmem_tEENKUlT_SE_SF_SG_E_clIS8_S8_S9_S9_EESD_ST_SE_SF_SG_EUlST_E_NS1_11comp_targetILNS1_3genE5ELNS1_11target_archE942ELNS1_3gpuE9ELNS1_3repE0EEENS1_48merge_mergepath_partition_config_static_selectorELNS0_4arch9wavefront6targetE0EEEvSF_.private_seg_size, 0
	.set _ZN7rocprim17ROCPRIM_400000_NS6detail17trampoline_kernelINS0_14default_configENS1_38merge_sort_block_merge_config_selectorItNS0_10empty_typeEEEZZNS1_27merge_sort_block_merge_implIS3_PtPS5_jNS1_19radix_merge_compareILb1ELb1EtNS0_19identity_decomposerEEEEE10hipError_tT0_T1_T2_jT3_P12ihipStream_tbPNSt15iterator_traitsISE_E10value_typeEPNSK_ISF_E10value_typeEPSG_NS1_7vsmem_tEENKUlT_SE_SF_SG_E_clIS8_S8_S9_S9_EESD_ST_SE_SF_SG_EUlST_E_NS1_11comp_targetILNS1_3genE5ELNS1_11target_archE942ELNS1_3gpuE9ELNS1_3repE0EEENS1_48merge_mergepath_partition_config_static_selectorELNS0_4arch9wavefront6targetE0EEEvSF_.uses_vcc, 0
	.set _ZN7rocprim17ROCPRIM_400000_NS6detail17trampoline_kernelINS0_14default_configENS1_38merge_sort_block_merge_config_selectorItNS0_10empty_typeEEEZZNS1_27merge_sort_block_merge_implIS3_PtPS5_jNS1_19radix_merge_compareILb1ELb1EtNS0_19identity_decomposerEEEEE10hipError_tT0_T1_T2_jT3_P12ihipStream_tbPNSt15iterator_traitsISE_E10value_typeEPNSK_ISF_E10value_typeEPSG_NS1_7vsmem_tEENKUlT_SE_SF_SG_E_clIS8_S8_S9_S9_EESD_ST_SE_SF_SG_EUlST_E_NS1_11comp_targetILNS1_3genE5ELNS1_11target_archE942ELNS1_3gpuE9ELNS1_3repE0EEENS1_48merge_mergepath_partition_config_static_selectorELNS0_4arch9wavefront6targetE0EEEvSF_.uses_flat_scratch, 0
	.set _ZN7rocprim17ROCPRIM_400000_NS6detail17trampoline_kernelINS0_14default_configENS1_38merge_sort_block_merge_config_selectorItNS0_10empty_typeEEEZZNS1_27merge_sort_block_merge_implIS3_PtPS5_jNS1_19radix_merge_compareILb1ELb1EtNS0_19identity_decomposerEEEEE10hipError_tT0_T1_T2_jT3_P12ihipStream_tbPNSt15iterator_traitsISE_E10value_typeEPNSK_ISF_E10value_typeEPSG_NS1_7vsmem_tEENKUlT_SE_SF_SG_E_clIS8_S8_S9_S9_EESD_ST_SE_SF_SG_EUlST_E_NS1_11comp_targetILNS1_3genE5ELNS1_11target_archE942ELNS1_3gpuE9ELNS1_3repE0EEENS1_48merge_mergepath_partition_config_static_selectorELNS0_4arch9wavefront6targetE0EEEvSF_.has_dyn_sized_stack, 0
	.set _ZN7rocprim17ROCPRIM_400000_NS6detail17trampoline_kernelINS0_14default_configENS1_38merge_sort_block_merge_config_selectorItNS0_10empty_typeEEEZZNS1_27merge_sort_block_merge_implIS3_PtPS5_jNS1_19radix_merge_compareILb1ELb1EtNS0_19identity_decomposerEEEEE10hipError_tT0_T1_T2_jT3_P12ihipStream_tbPNSt15iterator_traitsISE_E10value_typeEPNSK_ISF_E10value_typeEPSG_NS1_7vsmem_tEENKUlT_SE_SF_SG_E_clIS8_S8_S9_S9_EESD_ST_SE_SF_SG_EUlST_E_NS1_11comp_targetILNS1_3genE5ELNS1_11target_archE942ELNS1_3gpuE9ELNS1_3repE0EEENS1_48merge_mergepath_partition_config_static_selectorELNS0_4arch9wavefront6targetE0EEEvSF_.has_recursion, 0
	.set _ZN7rocprim17ROCPRIM_400000_NS6detail17trampoline_kernelINS0_14default_configENS1_38merge_sort_block_merge_config_selectorItNS0_10empty_typeEEEZZNS1_27merge_sort_block_merge_implIS3_PtPS5_jNS1_19radix_merge_compareILb1ELb1EtNS0_19identity_decomposerEEEEE10hipError_tT0_T1_T2_jT3_P12ihipStream_tbPNSt15iterator_traitsISE_E10value_typeEPNSK_ISF_E10value_typeEPSG_NS1_7vsmem_tEENKUlT_SE_SF_SG_E_clIS8_S8_S9_S9_EESD_ST_SE_SF_SG_EUlST_E_NS1_11comp_targetILNS1_3genE5ELNS1_11target_archE942ELNS1_3gpuE9ELNS1_3repE0EEENS1_48merge_mergepath_partition_config_static_selectorELNS0_4arch9wavefront6targetE0EEEvSF_.has_indirect_call, 0
	.section	.AMDGPU.csdata,"",@progbits
; Kernel info:
; codeLenInByte = 0
; TotalNumSgprs: 0
; NumVgprs: 0
; ScratchSize: 0
; MemoryBound: 0
; FloatMode: 240
; IeeeMode: 1
; LDSByteSize: 0 bytes/workgroup (compile time only)
; SGPRBlocks: 0
; VGPRBlocks: 0
; NumSGPRsForWavesPerEU: 1
; NumVGPRsForWavesPerEU: 1
; NamedBarCnt: 0
; Occupancy: 16
; WaveLimiterHint : 0
; COMPUTE_PGM_RSRC2:SCRATCH_EN: 0
; COMPUTE_PGM_RSRC2:USER_SGPR: 2
; COMPUTE_PGM_RSRC2:TRAP_HANDLER: 0
; COMPUTE_PGM_RSRC2:TGID_X_EN: 1
; COMPUTE_PGM_RSRC2:TGID_Y_EN: 0
; COMPUTE_PGM_RSRC2:TGID_Z_EN: 0
; COMPUTE_PGM_RSRC2:TIDIG_COMP_CNT: 0
	.section	.text._ZN7rocprim17ROCPRIM_400000_NS6detail17trampoline_kernelINS0_14default_configENS1_38merge_sort_block_merge_config_selectorItNS0_10empty_typeEEEZZNS1_27merge_sort_block_merge_implIS3_PtPS5_jNS1_19radix_merge_compareILb1ELb1EtNS0_19identity_decomposerEEEEE10hipError_tT0_T1_T2_jT3_P12ihipStream_tbPNSt15iterator_traitsISE_E10value_typeEPNSK_ISF_E10value_typeEPSG_NS1_7vsmem_tEENKUlT_SE_SF_SG_E_clIS8_S8_S9_S9_EESD_ST_SE_SF_SG_EUlST_E_NS1_11comp_targetILNS1_3genE4ELNS1_11target_archE910ELNS1_3gpuE8ELNS1_3repE0EEENS1_48merge_mergepath_partition_config_static_selectorELNS0_4arch9wavefront6targetE0EEEvSF_,"axG",@progbits,_ZN7rocprim17ROCPRIM_400000_NS6detail17trampoline_kernelINS0_14default_configENS1_38merge_sort_block_merge_config_selectorItNS0_10empty_typeEEEZZNS1_27merge_sort_block_merge_implIS3_PtPS5_jNS1_19radix_merge_compareILb1ELb1EtNS0_19identity_decomposerEEEEE10hipError_tT0_T1_T2_jT3_P12ihipStream_tbPNSt15iterator_traitsISE_E10value_typeEPNSK_ISF_E10value_typeEPSG_NS1_7vsmem_tEENKUlT_SE_SF_SG_E_clIS8_S8_S9_S9_EESD_ST_SE_SF_SG_EUlST_E_NS1_11comp_targetILNS1_3genE4ELNS1_11target_archE910ELNS1_3gpuE8ELNS1_3repE0EEENS1_48merge_mergepath_partition_config_static_selectorELNS0_4arch9wavefront6targetE0EEEvSF_,comdat
	.protected	_ZN7rocprim17ROCPRIM_400000_NS6detail17trampoline_kernelINS0_14default_configENS1_38merge_sort_block_merge_config_selectorItNS0_10empty_typeEEEZZNS1_27merge_sort_block_merge_implIS3_PtPS5_jNS1_19radix_merge_compareILb1ELb1EtNS0_19identity_decomposerEEEEE10hipError_tT0_T1_T2_jT3_P12ihipStream_tbPNSt15iterator_traitsISE_E10value_typeEPNSK_ISF_E10value_typeEPSG_NS1_7vsmem_tEENKUlT_SE_SF_SG_E_clIS8_S8_S9_S9_EESD_ST_SE_SF_SG_EUlST_E_NS1_11comp_targetILNS1_3genE4ELNS1_11target_archE910ELNS1_3gpuE8ELNS1_3repE0EEENS1_48merge_mergepath_partition_config_static_selectorELNS0_4arch9wavefront6targetE0EEEvSF_ ; -- Begin function _ZN7rocprim17ROCPRIM_400000_NS6detail17trampoline_kernelINS0_14default_configENS1_38merge_sort_block_merge_config_selectorItNS0_10empty_typeEEEZZNS1_27merge_sort_block_merge_implIS3_PtPS5_jNS1_19radix_merge_compareILb1ELb1EtNS0_19identity_decomposerEEEEE10hipError_tT0_T1_T2_jT3_P12ihipStream_tbPNSt15iterator_traitsISE_E10value_typeEPNSK_ISF_E10value_typeEPSG_NS1_7vsmem_tEENKUlT_SE_SF_SG_E_clIS8_S8_S9_S9_EESD_ST_SE_SF_SG_EUlST_E_NS1_11comp_targetILNS1_3genE4ELNS1_11target_archE910ELNS1_3gpuE8ELNS1_3repE0EEENS1_48merge_mergepath_partition_config_static_selectorELNS0_4arch9wavefront6targetE0EEEvSF_
	.globl	_ZN7rocprim17ROCPRIM_400000_NS6detail17trampoline_kernelINS0_14default_configENS1_38merge_sort_block_merge_config_selectorItNS0_10empty_typeEEEZZNS1_27merge_sort_block_merge_implIS3_PtPS5_jNS1_19radix_merge_compareILb1ELb1EtNS0_19identity_decomposerEEEEE10hipError_tT0_T1_T2_jT3_P12ihipStream_tbPNSt15iterator_traitsISE_E10value_typeEPNSK_ISF_E10value_typeEPSG_NS1_7vsmem_tEENKUlT_SE_SF_SG_E_clIS8_S8_S9_S9_EESD_ST_SE_SF_SG_EUlST_E_NS1_11comp_targetILNS1_3genE4ELNS1_11target_archE910ELNS1_3gpuE8ELNS1_3repE0EEENS1_48merge_mergepath_partition_config_static_selectorELNS0_4arch9wavefront6targetE0EEEvSF_
	.p2align	8
	.type	_ZN7rocprim17ROCPRIM_400000_NS6detail17trampoline_kernelINS0_14default_configENS1_38merge_sort_block_merge_config_selectorItNS0_10empty_typeEEEZZNS1_27merge_sort_block_merge_implIS3_PtPS5_jNS1_19radix_merge_compareILb1ELb1EtNS0_19identity_decomposerEEEEE10hipError_tT0_T1_T2_jT3_P12ihipStream_tbPNSt15iterator_traitsISE_E10value_typeEPNSK_ISF_E10value_typeEPSG_NS1_7vsmem_tEENKUlT_SE_SF_SG_E_clIS8_S8_S9_S9_EESD_ST_SE_SF_SG_EUlST_E_NS1_11comp_targetILNS1_3genE4ELNS1_11target_archE910ELNS1_3gpuE8ELNS1_3repE0EEENS1_48merge_mergepath_partition_config_static_selectorELNS0_4arch9wavefront6targetE0EEEvSF_,@function
_ZN7rocprim17ROCPRIM_400000_NS6detail17trampoline_kernelINS0_14default_configENS1_38merge_sort_block_merge_config_selectorItNS0_10empty_typeEEEZZNS1_27merge_sort_block_merge_implIS3_PtPS5_jNS1_19radix_merge_compareILb1ELb1EtNS0_19identity_decomposerEEEEE10hipError_tT0_T1_T2_jT3_P12ihipStream_tbPNSt15iterator_traitsISE_E10value_typeEPNSK_ISF_E10value_typeEPSG_NS1_7vsmem_tEENKUlT_SE_SF_SG_E_clIS8_S8_S9_S9_EESD_ST_SE_SF_SG_EUlST_E_NS1_11comp_targetILNS1_3genE4ELNS1_11target_archE910ELNS1_3gpuE8ELNS1_3repE0EEENS1_48merge_mergepath_partition_config_static_selectorELNS0_4arch9wavefront6targetE0EEEvSF_: ; @_ZN7rocprim17ROCPRIM_400000_NS6detail17trampoline_kernelINS0_14default_configENS1_38merge_sort_block_merge_config_selectorItNS0_10empty_typeEEEZZNS1_27merge_sort_block_merge_implIS3_PtPS5_jNS1_19radix_merge_compareILb1ELb1EtNS0_19identity_decomposerEEEEE10hipError_tT0_T1_T2_jT3_P12ihipStream_tbPNSt15iterator_traitsISE_E10value_typeEPNSK_ISF_E10value_typeEPSG_NS1_7vsmem_tEENKUlT_SE_SF_SG_E_clIS8_S8_S9_S9_EESD_ST_SE_SF_SG_EUlST_E_NS1_11comp_targetILNS1_3genE4ELNS1_11target_archE910ELNS1_3gpuE8ELNS1_3repE0EEENS1_48merge_mergepath_partition_config_static_selectorELNS0_4arch9wavefront6targetE0EEEvSF_
; %bb.0:
	.section	.rodata,"a",@progbits
	.p2align	6, 0x0
	.amdhsa_kernel _ZN7rocprim17ROCPRIM_400000_NS6detail17trampoline_kernelINS0_14default_configENS1_38merge_sort_block_merge_config_selectorItNS0_10empty_typeEEEZZNS1_27merge_sort_block_merge_implIS3_PtPS5_jNS1_19radix_merge_compareILb1ELb1EtNS0_19identity_decomposerEEEEE10hipError_tT0_T1_T2_jT3_P12ihipStream_tbPNSt15iterator_traitsISE_E10value_typeEPNSK_ISF_E10value_typeEPSG_NS1_7vsmem_tEENKUlT_SE_SF_SG_E_clIS8_S8_S9_S9_EESD_ST_SE_SF_SG_EUlST_E_NS1_11comp_targetILNS1_3genE4ELNS1_11target_archE910ELNS1_3gpuE8ELNS1_3repE0EEENS1_48merge_mergepath_partition_config_static_selectorELNS0_4arch9wavefront6targetE0EEEvSF_
		.amdhsa_group_segment_fixed_size 0
		.amdhsa_private_segment_fixed_size 0
		.amdhsa_kernarg_size 40
		.amdhsa_user_sgpr_count 2
		.amdhsa_user_sgpr_dispatch_ptr 0
		.amdhsa_user_sgpr_queue_ptr 0
		.amdhsa_user_sgpr_kernarg_segment_ptr 1
		.amdhsa_user_sgpr_dispatch_id 0
		.amdhsa_user_sgpr_kernarg_preload_length 0
		.amdhsa_user_sgpr_kernarg_preload_offset 0
		.amdhsa_user_sgpr_private_segment_size 0
		.amdhsa_wavefront_size32 1
		.amdhsa_uses_dynamic_stack 0
		.amdhsa_enable_private_segment 0
		.amdhsa_system_sgpr_workgroup_id_x 1
		.amdhsa_system_sgpr_workgroup_id_y 0
		.amdhsa_system_sgpr_workgroup_id_z 0
		.amdhsa_system_sgpr_workgroup_info 0
		.amdhsa_system_vgpr_workitem_id 0
		.amdhsa_next_free_vgpr 1
		.amdhsa_next_free_sgpr 1
		.amdhsa_named_barrier_count 0
		.amdhsa_reserve_vcc 0
		.amdhsa_float_round_mode_32 0
		.amdhsa_float_round_mode_16_64 0
		.amdhsa_float_denorm_mode_32 3
		.amdhsa_float_denorm_mode_16_64 3
		.amdhsa_fp16_overflow 0
		.amdhsa_memory_ordered 1
		.amdhsa_forward_progress 1
		.amdhsa_inst_pref_size 0
		.amdhsa_round_robin_scheduling 0
		.amdhsa_exception_fp_ieee_invalid_op 0
		.amdhsa_exception_fp_denorm_src 0
		.amdhsa_exception_fp_ieee_div_zero 0
		.amdhsa_exception_fp_ieee_overflow 0
		.amdhsa_exception_fp_ieee_underflow 0
		.amdhsa_exception_fp_ieee_inexact 0
		.amdhsa_exception_int_div_zero 0
	.end_amdhsa_kernel
	.section	.text._ZN7rocprim17ROCPRIM_400000_NS6detail17trampoline_kernelINS0_14default_configENS1_38merge_sort_block_merge_config_selectorItNS0_10empty_typeEEEZZNS1_27merge_sort_block_merge_implIS3_PtPS5_jNS1_19radix_merge_compareILb1ELb1EtNS0_19identity_decomposerEEEEE10hipError_tT0_T1_T2_jT3_P12ihipStream_tbPNSt15iterator_traitsISE_E10value_typeEPNSK_ISF_E10value_typeEPSG_NS1_7vsmem_tEENKUlT_SE_SF_SG_E_clIS8_S8_S9_S9_EESD_ST_SE_SF_SG_EUlST_E_NS1_11comp_targetILNS1_3genE4ELNS1_11target_archE910ELNS1_3gpuE8ELNS1_3repE0EEENS1_48merge_mergepath_partition_config_static_selectorELNS0_4arch9wavefront6targetE0EEEvSF_,"axG",@progbits,_ZN7rocprim17ROCPRIM_400000_NS6detail17trampoline_kernelINS0_14default_configENS1_38merge_sort_block_merge_config_selectorItNS0_10empty_typeEEEZZNS1_27merge_sort_block_merge_implIS3_PtPS5_jNS1_19radix_merge_compareILb1ELb1EtNS0_19identity_decomposerEEEEE10hipError_tT0_T1_T2_jT3_P12ihipStream_tbPNSt15iterator_traitsISE_E10value_typeEPNSK_ISF_E10value_typeEPSG_NS1_7vsmem_tEENKUlT_SE_SF_SG_E_clIS8_S8_S9_S9_EESD_ST_SE_SF_SG_EUlST_E_NS1_11comp_targetILNS1_3genE4ELNS1_11target_archE910ELNS1_3gpuE8ELNS1_3repE0EEENS1_48merge_mergepath_partition_config_static_selectorELNS0_4arch9wavefront6targetE0EEEvSF_,comdat
.Lfunc_end2339:
	.size	_ZN7rocprim17ROCPRIM_400000_NS6detail17trampoline_kernelINS0_14default_configENS1_38merge_sort_block_merge_config_selectorItNS0_10empty_typeEEEZZNS1_27merge_sort_block_merge_implIS3_PtPS5_jNS1_19radix_merge_compareILb1ELb1EtNS0_19identity_decomposerEEEEE10hipError_tT0_T1_T2_jT3_P12ihipStream_tbPNSt15iterator_traitsISE_E10value_typeEPNSK_ISF_E10value_typeEPSG_NS1_7vsmem_tEENKUlT_SE_SF_SG_E_clIS8_S8_S9_S9_EESD_ST_SE_SF_SG_EUlST_E_NS1_11comp_targetILNS1_3genE4ELNS1_11target_archE910ELNS1_3gpuE8ELNS1_3repE0EEENS1_48merge_mergepath_partition_config_static_selectorELNS0_4arch9wavefront6targetE0EEEvSF_, .Lfunc_end2339-_ZN7rocprim17ROCPRIM_400000_NS6detail17trampoline_kernelINS0_14default_configENS1_38merge_sort_block_merge_config_selectorItNS0_10empty_typeEEEZZNS1_27merge_sort_block_merge_implIS3_PtPS5_jNS1_19radix_merge_compareILb1ELb1EtNS0_19identity_decomposerEEEEE10hipError_tT0_T1_T2_jT3_P12ihipStream_tbPNSt15iterator_traitsISE_E10value_typeEPNSK_ISF_E10value_typeEPSG_NS1_7vsmem_tEENKUlT_SE_SF_SG_E_clIS8_S8_S9_S9_EESD_ST_SE_SF_SG_EUlST_E_NS1_11comp_targetILNS1_3genE4ELNS1_11target_archE910ELNS1_3gpuE8ELNS1_3repE0EEENS1_48merge_mergepath_partition_config_static_selectorELNS0_4arch9wavefront6targetE0EEEvSF_
                                        ; -- End function
	.set _ZN7rocprim17ROCPRIM_400000_NS6detail17trampoline_kernelINS0_14default_configENS1_38merge_sort_block_merge_config_selectorItNS0_10empty_typeEEEZZNS1_27merge_sort_block_merge_implIS3_PtPS5_jNS1_19radix_merge_compareILb1ELb1EtNS0_19identity_decomposerEEEEE10hipError_tT0_T1_T2_jT3_P12ihipStream_tbPNSt15iterator_traitsISE_E10value_typeEPNSK_ISF_E10value_typeEPSG_NS1_7vsmem_tEENKUlT_SE_SF_SG_E_clIS8_S8_S9_S9_EESD_ST_SE_SF_SG_EUlST_E_NS1_11comp_targetILNS1_3genE4ELNS1_11target_archE910ELNS1_3gpuE8ELNS1_3repE0EEENS1_48merge_mergepath_partition_config_static_selectorELNS0_4arch9wavefront6targetE0EEEvSF_.num_vgpr, 0
	.set _ZN7rocprim17ROCPRIM_400000_NS6detail17trampoline_kernelINS0_14default_configENS1_38merge_sort_block_merge_config_selectorItNS0_10empty_typeEEEZZNS1_27merge_sort_block_merge_implIS3_PtPS5_jNS1_19radix_merge_compareILb1ELb1EtNS0_19identity_decomposerEEEEE10hipError_tT0_T1_T2_jT3_P12ihipStream_tbPNSt15iterator_traitsISE_E10value_typeEPNSK_ISF_E10value_typeEPSG_NS1_7vsmem_tEENKUlT_SE_SF_SG_E_clIS8_S8_S9_S9_EESD_ST_SE_SF_SG_EUlST_E_NS1_11comp_targetILNS1_3genE4ELNS1_11target_archE910ELNS1_3gpuE8ELNS1_3repE0EEENS1_48merge_mergepath_partition_config_static_selectorELNS0_4arch9wavefront6targetE0EEEvSF_.num_agpr, 0
	.set _ZN7rocprim17ROCPRIM_400000_NS6detail17trampoline_kernelINS0_14default_configENS1_38merge_sort_block_merge_config_selectorItNS0_10empty_typeEEEZZNS1_27merge_sort_block_merge_implIS3_PtPS5_jNS1_19radix_merge_compareILb1ELb1EtNS0_19identity_decomposerEEEEE10hipError_tT0_T1_T2_jT3_P12ihipStream_tbPNSt15iterator_traitsISE_E10value_typeEPNSK_ISF_E10value_typeEPSG_NS1_7vsmem_tEENKUlT_SE_SF_SG_E_clIS8_S8_S9_S9_EESD_ST_SE_SF_SG_EUlST_E_NS1_11comp_targetILNS1_3genE4ELNS1_11target_archE910ELNS1_3gpuE8ELNS1_3repE0EEENS1_48merge_mergepath_partition_config_static_selectorELNS0_4arch9wavefront6targetE0EEEvSF_.numbered_sgpr, 0
	.set _ZN7rocprim17ROCPRIM_400000_NS6detail17trampoline_kernelINS0_14default_configENS1_38merge_sort_block_merge_config_selectorItNS0_10empty_typeEEEZZNS1_27merge_sort_block_merge_implIS3_PtPS5_jNS1_19radix_merge_compareILb1ELb1EtNS0_19identity_decomposerEEEEE10hipError_tT0_T1_T2_jT3_P12ihipStream_tbPNSt15iterator_traitsISE_E10value_typeEPNSK_ISF_E10value_typeEPSG_NS1_7vsmem_tEENKUlT_SE_SF_SG_E_clIS8_S8_S9_S9_EESD_ST_SE_SF_SG_EUlST_E_NS1_11comp_targetILNS1_3genE4ELNS1_11target_archE910ELNS1_3gpuE8ELNS1_3repE0EEENS1_48merge_mergepath_partition_config_static_selectorELNS0_4arch9wavefront6targetE0EEEvSF_.num_named_barrier, 0
	.set _ZN7rocprim17ROCPRIM_400000_NS6detail17trampoline_kernelINS0_14default_configENS1_38merge_sort_block_merge_config_selectorItNS0_10empty_typeEEEZZNS1_27merge_sort_block_merge_implIS3_PtPS5_jNS1_19radix_merge_compareILb1ELb1EtNS0_19identity_decomposerEEEEE10hipError_tT0_T1_T2_jT3_P12ihipStream_tbPNSt15iterator_traitsISE_E10value_typeEPNSK_ISF_E10value_typeEPSG_NS1_7vsmem_tEENKUlT_SE_SF_SG_E_clIS8_S8_S9_S9_EESD_ST_SE_SF_SG_EUlST_E_NS1_11comp_targetILNS1_3genE4ELNS1_11target_archE910ELNS1_3gpuE8ELNS1_3repE0EEENS1_48merge_mergepath_partition_config_static_selectorELNS0_4arch9wavefront6targetE0EEEvSF_.private_seg_size, 0
	.set _ZN7rocprim17ROCPRIM_400000_NS6detail17trampoline_kernelINS0_14default_configENS1_38merge_sort_block_merge_config_selectorItNS0_10empty_typeEEEZZNS1_27merge_sort_block_merge_implIS3_PtPS5_jNS1_19radix_merge_compareILb1ELb1EtNS0_19identity_decomposerEEEEE10hipError_tT0_T1_T2_jT3_P12ihipStream_tbPNSt15iterator_traitsISE_E10value_typeEPNSK_ISF_E10value_typeEPSG_NS1_7vsmem_tEENKUlT_SE_SF_SG_E_clIS8_S8_S9_S9_EESD_ST_SE_SF_SG_EUlST_E_NS1_11comp_targetILNS1_3genE4ELNS1_11target_archE910ELNS1_3gpuE8ELNS1_3repE0EEENS1_48merge_mergepath_partition_config_static_selectorELNS0_4arch9wavefront6targetE0EEEvSF_.uses_vcc, 0
	.set _ZN7rocprim17ROCPRIM_400000_NS6detail17trampoline_kernelINS0_14default_configENS1_38merge_sort_block_merge_config_selectorItNS0_10empty_typeEEEZZNS1_27merge_sort_block_merge_implIS3_PtPS5_jNS1_19radix_merge_compareILb1ELb1EtNS0_19identity_decomposerEEEEE10hipError_tT0_T1_T2_jT3_P12ihipStream_tbPNSt15iterator_traitsISE_E10value_typeEPNSK_ISF_E10value_typeEPSG_NS1_7vsmem_tEENKUlT_SE_SF_SG_E_clIS8_S8_S9_S9_EESD_ST_SE_SF_SG_EUlST_E_NS1_11comp_targetILNS1_3genE4ELNS1_11target_archE910ELNS1_3gpuE8ELNS1_3repE0EEENS1_48merge_mergepath_partition_config_static_selectorELNS0_4arch9wavefront6targetE0EEEvSF_.uses_flat_scratch, 0
	.set _ZN7rocprim17ROCPRIM_400000_NS6detail17trampoline_kernelINS0_14default_configENS1_38merge_sort_block_merge_config_selectorItNS0_10empty_typeEEEZZNS1_27merge_sort_block_merge_implIS3_PtPS5_jNS1_19radix_merge_compareILb1ELb1EtNS0_19identity_decomposerEEEEE10hipError_tT0_T1_T2_jT3_P12ihipStream_tbPNSt15iterator_traitsISE_E10value_typeEPNSK_ISF_E10value_typeEPSG_NS1_7vsmem_tEENKUlT_SE_SF_SG_E_clIS8_S8_S9_S9_EESD_ST_SE_SF_SG_EUlST_E_NS1_11comp_targetILNS1_3genE4ELNS1_11target_archE910ELNS1_3gpuE8ELNS1_3repE0EEENS1_48merge_mergepath_partition_config_static_selectorELNS0_4arch9wavefront6targetE0EEEvSF_.has_dyn_sized_stack, 0
	.set _ZN7rocprim17ROCPRIM_400000_NS6detail17trampoline_kernelINS0_14default_configENS1_38merge_sort_block_merge_config_selectorItNS0_10empty_typeEEEZZNS1_27merge_sort_block_merge_implIS3_PtPS5_jNS1_19radix_merge_compareILb1ELb1EtNS0_19identity_decomposerEEEEE10hipError_tT0_T1_T2_jT3_P12ihipStream_tbPNSt15iterator_traitsISE_E10value_typeEPNSK_ISF_E10value_typeEPSG_NS1_7vsmem_tEENKUlT_SE_SF_SG_E_clIS8_S8_S9_S9_EESD_ST_SE_SF_SG_EUlST_E_NS1_11comp_targetILNS1_3genE4ELNS1_11target_archE910ELNS1_3gpuE8ELNS1_3repE0EEENS1_48merge_mergepath_partition_config_static_selectorELNS0_4arch9wavefront6targetE0EEEvSF_.has_recursion, 0
	.set _ZN7rocprim17ROCPRIM_400000_NS6detail17trampoline_kernelINS0_14default_configENS1_38merge_sort_block_merge_config_selectorItNS0_10empty_typeEEEZZNS1_27merge_sort_block_merge_implIS3_PtPS5_jNS1_19radix_merge_compareILb1ELb1EtNS0_19identity_decomposerEEEEE10hipError_tT0_T1_T2_jT3_P12ihipStream_tbPNSt15iterator_traitsISE_E10value_typeEPNSK_ISF_E10value_typeEPSG_NS1_7vsmem_tEENKUlT_SE_SF_SG_E_clIS8_S8_S9_S9_EESD_ST_SE_SF_SG_EUlST_E_NS1_11comp_targetILNS1_3genE4ELNS1_11target_archE910ELNS1_3gpuE8ELNS1_3repE0EEENS1_48merge_mergepath_partition_config_static_selectorELNS0_4arch9wavefront6targetE0EEEvSF_.has_indirect_call, 0
	.section	.AMDGPU.csdata,"",@progbits
; Kernel info:
; codeLenInByte = 0
; TotalNumSgprs: 0
; NumVgprs: 0
; ScratchSize: 0
; MemoryBound: 0
; FloatMode: 240
; IeeeMode: 1
; LDSByteSize: 0 bytes/workgroup (compile time only)
; SGPRBlocks: 0
; VGPRBlocks: 0
; NumSGPRsForWavesPerEU: 1
; NumVGPRsForWavesPerEU: 1
; NamedBarCnt: 0
; Occupancy: 16
; WaveLimiterHint : 0
; COMPUTE_PGM_RSRC2:SCRATCH_EN: 0
; COMPUTE_PGM_RSRC2:USER_SGPR: 2
; COMPUTE_PGM_RSRC2:TRAP_HANDLER: 0
; COMPUTE_PGM_RSRC2:TGID_X_EN: 1
; COMPUTE_PGM_RSRC2:TGID_Y_EN: 0
; COMPUTE_PGM_RSRC2:TGID_Z_EN: 0
; COMPUTE_PGM_RSRC2:TIDIG_COMP_CNT: 0
	.section	.text._ZN7rocprim17ROCPRIM_400000_NS6detail17trampoline_kernelINS0_14default_configENS1_38merge_sort_block_merge_config_selectorItNS0_10empty_typeEEEZZNS1_27merge_sort_block_merge_implIS3_PtPS5_jNS1_19radix_merge_compareILb1ELb1EtNS0_19identity_decomposerEEEEE10hipError_tT0_T1_T2_jT3_P12ihipStream_tbPNSt15iterator_traitsISE_E10value_typeEPNSK_ISF_E10value_typeEPSG_NS1_7vsmem_tEENKUlT_SE_SF_SG_E_clIS8_S8_S9_S9_EESD_ST_SE_SF_SG_EUlST_E_NS1_11comp_targetILNS1_3genE3ELNS1_11target_archE908ELNS1_3gpuE7ELNS1_3repE0EEENS1_48merge_mergepath_partition_config_static_selectorELNS0_4arch9wavefront6targetE0EEEvSF_,"axG",@progbits,_ZN7rocprim17ROCPRIM_400000_NS6detail17trampoline_kernelINS0_14default_configENS1_38merge_sort_block_merge_config_selectorItNS0_10empty_typeEEEZZNS1_27merge_sort_block_merge_implIS3_PtPS5_jNS1_19radix_merge_compareILb1ELb1EtNS0_19identity_decomposerEEEEE10hipError_tT0_T1_T2_jT3_P12ihipStream_tbPNSt15iterator_traitsISE_E10value_typeEPNSK_ISF_E10value_typeEPSG_NS1_7vsmem_tEENKUlT_SE_SF_SG_E_clIS8_S8_S9_S9_EESD_ST_SE_SF_SG_EUlST_E_NS1_11comp_targetILNS1_3genE3ELNS1_11target_archE908ELNS1_3gpuE7ELNS1_3repE0EEENS1_48merge_mergepath_partition_config_static_selectorELNS0_4arch9wavefront6targetE0EEEvSF_,comdat
	.protected	_ZN7rocprim17ROCPRIM_400000_NS6detail17trampoline_kernelINS0_14default_configENS1_38merge_sort_block_merge_config_selectorItNS0_10empty_typeEEEZZNS1_27merge_sort_block_merge_implIS3_PtPS5_jNS1_19radix_merge_compareILb1ELb1EtNS0_19identity_decomposerEEEEE10hipError_tT0_T1_T2_jT3_P12ihipStream_tbPNSt15iterator_traitsISE_E10value_typeEPNSK_ISF_E10value_typeEPSG_NS1_7vsmem_tEENKUlT_SE_SF_SG_E_clIS8_S8_S9_S9_EESD_ST_SE_SF_SG_EUlST_E_NS1_11comp_targetILNS1_3genE3ELNS1_11target_archE908ELNS1_3gpuE7ELNS1_3repE0EEENS1_48merge_mergepath_partition_config_static_selectorELNS0_4arch9wavefront6targetE0EEEvSF_ ; -- Begin function _ZN7rocprim17ROCPRIM_400000_NS6detail17trampoline_kernelINS0_14default_configENS1_38merge_sort_block_merge_config_selectorItNS0_10empty_typeEEEZZNS1_27merge_sort_block_merge_implIS3_PtPS5_jNS1_19radix_merge_compareILb1ELb1EtNS0_19identity_decomposerEEEEE10hipError_tT0_T1_T2_jT3_P12ihipStream_tbPNSt15iterator_traitsISE_E10value_typeEPNSK_ISF_E10value_typeEPSG_NS1_7vsmem_tEENKUlT_SE_SF_SG_E_clIS8_S8_S9_S9_EESD_ST_SE_SF_SG_EUlST_E_NS1_11comp_targetILNS1_3genE3ELNS1_11target_archE908ELNS1_3gpuE7ELNS1_3repE0EEENS1_48merge_mergepath_partition_config_static_selectorELNS0_4arch9wavefront6targetE0EEEvSF_
	.globl	_ZN7rocprim17ROCPRIM_400000_NS6detail17trampoline_kernelINS0_14default_configENS1_38merge_sort_block_merge_config_selectorItNS0_10empty_typeEEEZZNS1_27merge_sort_block_merge_implIS3_PtPS5_jNS1_19radix_merge_compareILb1ELb1EtNS0_19identity_decomposerEEEEE10hipError_tT0_T1_T2_jT3_P12ihipStream_tbPNSt15iterator_traitsISE_E10value_typeEPNSK_ISF_E10value_typeEPSG_NS1_7vsmem_tEENKUlT_SE_SF_SG_E_clIS8_S8_S9_S9_EESD_ST_SE_SF_SG_EUlST_E_NS1_11comp_targetILNS1_3genE3ELNS1_11target_archE908ELNS1_3gpuE7ELNS1_3repE0EEENS1_48merge_mergepath_partition_config_static_selectorELNS0_4arch9wavefront6targetE0EEEvSF_
	.p2align	8
	.type	_ZN7rocprim17ROCPRIM_400000_NS6detail17trampoline_kernelINS0_14default_configENS1_38merge_sort_block_merge_config_selectorItNS0_10empty_typeEEEZZNS1_27merge_sort_block_merge_implIS3_PtPS5_jNS1_19radix_merge_compareILb1ELb1EtNS0_19identity_decomposerEEEEE10hipError_tT0_T1_T2_jT3_P12ihipStream_tbPNSt15iterator_traitsISE_E10value_typeEPNSK_ISF_E10value_typeEPSG_NS1_7vsmem_tEENKUlT_SE_SF_SG_E_clIS8_S8_S9_S9_EESD_ST_SE_SF_SG_EUlST_E_NS1_11comp_targetILNS1_3genE3ELNS1_11target_archE908ELNS1_3gpuE7ELNS1_3repE0EEENS1_48merge_mergepath_partition_config_static_selectorELNS0_4arch9wavefront6targetE0EEEvSF_,@function
_ZN7rocprim17ROCPRIM_400000_NS6detail17trampoline_kernelINS0_14default_configENS1_38merge_sort_block_merge_config_selectorItNS0_10empty_typeEEEZZNS1_27merge_sort_block_merge_implIS3_PtPS5_jNS1_19radix_merge_compareILb1ELb1EtNS0_19identity_decomposerEEEEE10hipError_tT0_T1_T2_jT3_P12ihipStream_tbPNSt15iterator_traitsISE_E10value_typeEPNSK_ISF_E10value_typeEPSG_NS1_7vsmem_tEENKUlT_SE_SF_SG_E_clIS8_S8_S9_S9_EESD_ST_SE_SF_SG_EUlST_E_NS1_11comp_targetILNS1_3genE3ELNS1_11target_archE908ELNS1_3gpuE7ELNS1_3repE0EEENS1_48merge_mergepath_partition_config_static_selectorELNS0_4arch9wavefront6targetE0EEEvSF_: ; @_ZN7rocprim17ROCPRIM_400000_NS6detail17trampoline_kernelINS0_14default_configENS1_38merge_sort_block_merge_config_selectorItNS0_10empty_typeEEEZZNS1_27merge_sort_block_merge_implIS3_PtPS5_jNS1_19radix_merge_compareILb1ELb1EtNS0_19identity_decomposerEEEEE10hipError_tT0_T1_T2_jT3_P12ihipStream_tbPNSt15iterator_traitsISE_E10value_typeEPNSK_ISF_E10value_typeEPSG_NS1_7vsmem_tEENKUlT_SE_SF_SG_E_clIS8_S8_S9_S9_EESD_ST_SE_SF_SG_EUlST_E_NS1_11comp_targetILNS1_3genE3ELNS1_11target_archE908ELNS1_3gpuE7ELNS1_3repE0EEENS1_48merge_mergepath_partition_config_static_selectorELNS0_4arch9wavefront6targetE0EEEvSF_
; %bb.0:
	.section	.rodata,"a",@progbits
	.p2align	6, 0x0
	.amdhsa_kernel _ZN7rocprim17ROCPRIM_400000_NS6detail17trampoline_kernelINS0_14default_configENS1_38merge_sort_block_merge_config_selectorItNS0_10empty_typeEEEZZNS1_27merge_sort_block_merge_implIS3_PtPS5_jNS1_19radix_merge_compareILb1ELb1EtNS0_19identity_decomposerEEEEE10hipError_tT0_T1_T2_jT3_P12ihipStream_tbPNSt15iterator_traitsISE_E10value_typeEPNSK_ISF_E10value_typeEPSG_NS1_7vsmem_tEENKUlT_SE_SF_SG_E_clIS8_S8_S9_S9_EESD_ST_SE_SF_SG_EUlST_E_NS1_11comp_targetILNS1_3genE3ELNS1_11target_archE908ELNS1_3gpuE7ELNS1_3repE0EEENS1_48merge_mergepath_partition_config_static_selectorELNS0_4arch9wavefront6targetE0EEEvSF_
		.amdhsa_group_segment_fixed_size 0
		.amdhsa_private_segment_fixed_size 0
		.amdhsa_kernarg_size 40
		.amdhsa_user_sgpr_count 2
		.amdhsa_user_sgpr_dispatch_ptr 0
		.amdhsa_user_sgpr_queue_ptr 0
		.amdhsa_user_sgpr_kernarg_segment_ptr 1
		.amdhsa_user_sgpr_dispatch_id 0
		.amdhsa_user_sgpr_kernarg_preload_length 0
		.amdhsa_user_sgpr_kernarg_preload_offset 0
		.amdhsa_user_sgpr_private_segment_size 0
		.amdhsa_wavefront_size32 1
		.amdhsa_uses_dynamic_stack 0
		.amdhsa_enable_private_segment 0
		.amdhsa_system_sgpr_workgroup_id_x 1
		.amdhsa_system_sgpr_workgroup_id_y 0
		.amdhsa_system_sgpr_workgroup_id_z 0
		.amdhsa_system_sgpr_workgroup_info 0
		.amdhsa_system_vgpr_workitem_id 0
		.amdhsa_next_free_vgpr 1
		.amdhsa_next_free_sgpr 1
		.amdhsa_named_barrier_count 0
		.amdhsa_reserve_vcc 0
		.amdhsa_float_round_mode_32 0
		.amdhsa_float_round_mode_16_64 0
		.amdhsa_float_denorm_mode_32 3
		.amdhsa_float_denorm_mode_16_64 3
		.amdhsa_fp16_overflow 0
		.amdhsa_memory_ordered 1
		.amdhsa_forward_progress 1
		.amdhsa_inst_pref_size 0
		.amdhsa_round_robin_scheduling 0
		.amdhsa_exception_fp_ieee_invalid_op 0
		.amdhsa_exception_fp_denorm_src 0
		.amdhsa_exception_fp_ieee_div_zero 0
		.amdhsa_exception_fp_ieee_overflow 0
		.amdhsa_exception_fp_ieee_underflow 0
		.amdhsa_exception_fp_ieee_inexact 0
		.amdhsa_exception_int_div_zero 0
	.end_amdhsa_kernel
	.section	.text._ZN7rocprim17ROCPRIM_400000_NS6detail17trampoline_kernelINS0_14default_configENS1_38merge_sort_block_merge_config_selectorItNS0_10empty_typeEEEZZNS1_27merge_sort_block_merge_implIS3_PtPS5_jNS1_19radix_merge_compareILb1ELb1EtNS0_19identity_decomposerEEEEE10hipError_tT0_T1_T2_jT3_P12ihipStream_tbPNSt15iterator_traitsISE_E10value_typeEPNSK_ISF_E10value_typeEPSG_NS1_7vsmem_tEENKUlT_SE_SF_SG_E_clIS8_S8_S9_S9_EESD_ST_SE_SF_SG_EUlST_E_NS1_11comp_targetILNS1_3genE3ELNS1_11target_archE908ELNS1_3gpuE7ELNS1_3repE0EEENS1_48merge_mergepath_partition_config_static_selectorELNS0_4arch9wavefront6targetE0EEEvSF_,"axG",@progbits,_ZN7rocprim17ROCPRIM_400000_NS6detail17trampoline_kernelINS0_14default_configENS1_38merge_sort_block_merge_config_selectorItNS0_10empty_typeEEEZZNS1_27merge_sort_block_merge_implIS3_PtPS5_jNS1_19radix_merge_compareILb1ELb1EtNS0_19identity_decomposerEEEEE10hipError_tT0_T1_T2_jT3_P12ihipStream_tbPNSt15iterator_traitsISE_E10value_typeEPNSK_ISF_E10value_typeEPSG_NS1_7vsmem_tEENKUlT_SE_SF_SG_E_clIS8_S8_S9_S9_EESD_ST_SE_SF_SG_EUlST_E_NS1_11comp_targetILNS1_3genE3ELNS1_11target_archE908ELNS1_3gpuE7ELNS1_3repE0EEENS1_48merge_mergepath_partition_config_static_selectorELNS0_4arch9wavefront6targetE0EEEvSF_,comdat
.Lfunc_end2340:
	.size	_ZN7rocprim17ROCPRIM_400000_NS6detail17trampoline_kernelINS0_14default_configENS1_38merge_sort_block_merge_config_selectorItNS0_10empty_typeEEEZZNS1_27merge_sort_block_merge_implIS3_PtPS5_jNS1_19radix_merge_compareILb1ELb1EtNS0_19identity_decomposerEEEEE10hipError_tT0_T1_T2_jT3_P12ihipStream_tbPNSt15iterator_traitsISE_E10value_typeEPNSK_ISF_E10value_typeEPSG_NS1_7vsmem_tEENKUlT_SE_SF_SG_E_clIS8_S8_S9_S9_EESD_ST_SE_SF_SG_EUlST_E_NS1_11comp_targetILNS1_3genE3ELNS1_11target_archE908ELNS1_3gpuE7ELNS1_3repE0EEENS1_48merge_mergepath_partition_config_static_selectorELNS0_4arch9wavefront6targetE0EEEvSF_, .Lfunc_end2340-_ZN7rocprim17ROCPRIM_400000_NS6detail17trampoline_kernelINS0_14default_configENS1_38merge_sort_block_merge_config_selectorItNS0_10empty_typeEEEZZNS1_27merge_sort_block_merge_implIS3_PtPS5_jNS1_19radix_merge_compareILb1ELb1EtNS0_19identity_decomposerEEEEE10hipError_tT0_T1_T2_jT3_P12ihipStream_tbPNSt15iterator_traitsISE_E10value_typeEPNSK_ISF_E10value_typeEPSG_NS1_7vsmem_tEENKUlT_SE_SF_SG_E_clIS8_S8_S9_S9_EESD_ST_SE_SF_SG_EUlST_E_NS1_11comp_targetILNS1_3genE3ELNS1_11target_archE908ELNS1_3gpuE7ELNS1_3repE0EEENS1_48merge_mergepath_partition_config_static_selectorELNS0_4arch9wavefront6targetE0EEEvSF_
                                        ; -- End function
	.set _ZN7rocprim17ROCPRIM_400000_NS6detail17trampoline_kernelINS0_14default_configENS1_38merge_sort_block_merge_config_selectorItNS0_10empty_typeEEEZZNS1_27merge_sort_block_merge_implIS3_PtPS5_jNS1_19radix_merge_compareILb1ELb1EtNS0_19identity_decomposerEEEEE10hipError_tT0_T1_T2_jT3_P12ihipStream_tbPNSt15iterator_traitsISE_E10value_typeEPNSK_ISF_E10value_typeEPSG_NS1_7vsmem_tEENKUlT_SE_SF_SG_E_clIS8_S8_S9_S9_EESD_ST_SE_SF_SG_EUlST_E_NS1_11comp_targetILNS1_3genE3ELNS1_11target_archE908ELNS1_3gpuE7ELNS1_3repE0EEENS1_48merge_mergepath_partition_config_static_selectorELNS0_4arch9wavefront6targetE0EEEvSF_.num_vgpr, 0
	.set _ZN7rocprim17ROCPRIM_400000_NS6detail17trampoline_kernelINS0_14default_configENS1_38merge_sort_block_merge_config_selectorItNS0_10empty_typeEEEZZNS1_27merge_sort_block_merge_implIS3_PtPS5_jNS1_19radix_merge_compareILb1ELb1EtNS0_19identity_decomposerEEEEE10hipError_tT0_T1_T2_jT3_P12ihipStream_tbPNSt15iterator_traitsISE_E10value_typeEPNSK_ISF_E10value_typeEPSG_NS1_7vsmem_tEENKUlT_SE_SF_SG_E_clIS8_S8_S9_S9_EESD_ST_SE_SF_SG_EUlST_E_NS1_11comp_targetILNS1_3genE3ELNS1_11target_archE908ELNS1_3gpuE7ELNS1_3repE0EEENS1_48merge_mergepath_partition_config_static_selectorELNS0_4arch9wavefront6targetE0EEEvSF_.num_agpr, 0
	.set _ZN7rocprim17ROCPRIM_400000_NS6detail17trampoline_kernelINS0_14default_configENS1_38merge_sort_block_merge_config_selectorItNS0_10empty_typeEEEZZNS1_27merge_sort_block_merge_implIS3_PtPS5_jNS1_19radix_merge_compareILb1ELb1EtNS0_19identity_decomposerEEEEE10hipError_tT0_T1_T2_jT3_P12ihipStream_tbPNSt15iterator_traitsISE_E10value_typeEPNSK_ISF_E10value_typeEPSG_NS1_7vsmem_tEENKUlT_SE_SF_SG_E_clIS8_S8_S9_S9_EESD_ST_SE_SF_SG_EUlST_E_NS1_11comp_targetILNS1_3genE3ELNS1_11target_archE908ELNS1_3gpuE7ELNS1_3repE0EEENS1_48merge_mergepath_partition_config_static_selectorELNS0_4arch9wavefront6targetE0EEEvSF_.numbered_sgpr, 0
	.set _ZN7rocprim17ROCPRIM_400000_NS6detail17trampoline_kernelINS0_14default_configENS1_38merge_sort_block_merge_config_selectorItNS0_10empty_typeEEEZZNS1_27merge_sort_block_merge_implIS3_PtPS5_jNS1_19radix_merge_compareILb1ELb1EtNS0_19identity_decomposerEEEEE10hipError_tT0_T1_T2_jT3_P12ihipStream_tbPNSt15iterator_traitsISE_E10value_typeEPNSK_ISF_E10value_typeEPSG_NS1_7vsmem_tEENKUlT_SE_SF_SG_E_clIS8_S8_S9_S9_EESD_ST_SE_SF_SG_EUlST_E_NS1_11comp_targetILNS1_3genE3ELNS1_11target_archE908ELNS1_3gpuE7ELNS1_3repE0EEENS1_48merge_mergepath_partition_config_static_selectorELNS0_4arch9wavefront6targetE0EEEvSF_.num_named_barrier, 0
	.set _ZN7rocprim17ROCPRIM_400000_NS6detail17trampoline_kernelINS0_14default_configENS1_38merge_sort_block_merge_config_selectorItNS0_10empty_typeEEEZZNS1_27merge_sort_block_merge_implIS3_PtPS5_jNS1_19radix_merge_compareILb1ELb1EtNS0_19identity_decomposerEEEEE10hipError_tT0_T1_T2_jT3_P12ihipStream_tbPNSt15iterator_traitsISE_E10value_typeEPNSK_ISF_E10value_typeEPSG_NS1_7vsmem_tEENKUlT_SE_SF_SG_E_clIS8_S8_S9_S9_EESD_ST_SE_SF_SG_EUlST_E_NS1_11comp_targetILNS1_3genE3ELNS1_11target_archE908ELNS1_3gpuE7ELNS1_3repE0EEENS1_48merge_mergepath_partition_config_static_selectorELNS0_4arch9wavefront6targetE0EEEvSF_.private_seg_size, 0
	.set _ZN7rocprim17ROCPRIM_400000_NS6detail17trampoline_kernelINS0_14default_configENS1_38merge_sort_block_merge_config_selectorItNS0_10empty_typeEEEZZNS1_27merge_sort_block_merge_implIS3_PtPS5_jNS1_19radix_merge_compareILb1ELb1EtNS0_19identity_decomposerEEEEE10hipError_tT0_T1_T2_jT3_P12ihipStream_tbPNSt15iterator_traitsISE_E10value_typeEPNSK_ISF_E10value_typeEPSG_NS1_7vsmem_tEENKUlT_SE_SF_SG_E_clIS8_S8_S9_S9_EESD_ST_SE_SF_SG_EUlST_E_NS1_11comp_targetILNS1_3genE3ELNS1_11target_archE908ELNS1_3gpuE7ELNS1_3repE0EEENS1_48merge_mergepath_partition_config_static_selectorELNS0_4arch9wavefront6targetE0EEEvSF_.uses_vcc, 0
	.set _ZN7rocprim17ROCPRIM_400000_NS6detail17trampoline_kernelINS0_14default_configENS1_38merge_sort_block_merge_config_selectorItNS0_10empty_typeEEEZZNS1_27merge_sort_block_merge_implIS3_PtPS5_jNS1_19radix_merge_compareILb1ELb1EtNS0_19identity_decomposerEEEEE10hipError_tT0_T1_T2_jT3_P12ihipStream_tbPNSt15iterator_traitsISE_E10value_typeEPNSK_ISF_E10value_typeEPSG_NS1_7vsmem_tEENKUlT_SE_SF_SG_E_clIS8_S8_S9_S9_EESD_ST_SE_SF_SG_EUlST_E_NS1_11comp_targetILNS1_3genE3ELNS1_11target_archE908ELNS1_3gpuE7ELNS1_3repE0EEENS1_48merge_mergepath_partition_config_static_selectorELNS0_4arch9wavefront6targetE0EEEvSF_.uses_flat_scratch, 0
	.set _ZN7rocprim17ROCPRIM_400000_NS6detail17trampoline_kernelINS0_14default_configENS1_38merge_sort_block_merge_config_selectorItNS0_10empty_typeEEEZZNS1_27merge_sort_block_merge_implIS3_PtPS5_jNS1_19radix_merge_compareILb1ELb1EtNS0_19identity_decomposerEEEEE10hipError_tT0_T1_T2_jT3_P12ihipStream_tbPNSt15iterator_traitsISE_E10value_typeEPNSK_ISF_E10value_typeEPSG_NS1_7vsmem_tEENKUlT_SE_SF_SG_E_clIS8_S8_S9_S9_EESD_ST_SE_SF_SG_EUlST_E_NS1_11comp_targetILNS1_3genE3ELNS1_11target_archE908ELNS1_3gpuE7ELNS1_3repE0EEENS1_48merge_mergepath_partition_config_static_selectorELNS0_4arch9wavefront6targetE0EEEvSF_.has_dyn_sized_stack, 0
	.set _ZN7rocprim17ROCPRIM_400000_NS6detail17trampoline_kernelINS0_14default_configENS1_38merge_sort_block_merge_config_selectorItNS0_10empty_typeEEEZZNS1_27merge_sort_block_merge_implIS3_PtPS5_jNS1_19radix_merge_compareILb1ELb1EtNS0_19identity_decomposerEEEEE10hipError_tT0_T1_T2_jT3_P12ihipStream_tbPNSt15iterator_traitsISE_E10value_typeEPNSK_ISF_E10value_typeEPSG_NS1_7vsmem_tEENKUlT_SE_SF_SG_E_clIS8_S8_S9_S9_EESD_ST_SE_SF_SG_EUlST_E_NS1_11comp_targetILNS1_3genE3ELNS1_11target_archE908ELNS1_3gpuE7ELNS1_3repE0EEENS1_48merge_mergepath_partition_config_static_selectorELNS0_4arch9wavefront6targetE0EEEvSF_.has_recursion, 0
	.set _ZN7rocprim17ROCPRIM_400000_NS6detail17trampoline_kernelINS0_14default_configENS1_38merge_sort_block_merge_config_selectorItNS0_10empty_typeEEEZZNS1_27merge_sort_block_merge_implIS3_PtPS5_jNS1_19radix_merge_compareILb1ELb1EtNS0_19identity_decomposerEEEEE10hipError_tT0_T1_T2_jT3_P12ihipStream_tbPNSt15iterator_traitsISE_E10value_typeEPNSK_ISF_E10value_typeEPSG_NS1_7vsmem_tEENKUlT_SE_SF_SG_E_clIS8_S8_S9_S9_EESD_ST_SE_SF_SG_EUlST_E_NS1_11comp_targetILNS1_3genE3ELNS1_11target_archE908ELNS1_3gpuE7ELNS1_3repE0EEENS1_48merge_mergepath_partition_config_static_selectorELNS0_4arch9wavefront6targetE0EEEvSF_.has_indirect_call, 0
	.section	.AMDGPU.csdata,"",@progbits
; Kernel info:
; codeLenInByte = 0
; TotalNumSgprs: 0
; NumVgprs: 0
; ScratchSize: 0
; MemoryBound: 0
; FloatMode: 240
; IeeeMode: 1
; LDSByteSize: 0 bytes/workgroup (compile time only)
; SGPRBlocks: 0
; VGPRBlocks: 0
; NumSGPRsForWavesPerEU: 1
; NumVGPRsForWavesPerEU: 1
; NamedBarCnt: 0
; Occupancy: 16
; WaveLimiterHint : 0
; COMPUTE_PGM_RSRC2:SCRATCH_EN: 0
; COMPUTE_PGM_RSRC2:USER_SGPR: 2
; COMPUTE_PGM_RSRC2:TRAP_HANDLER: 0
; COMPUTE_PGM_RSRC2:TGID_X_EN: 1
; COMPUTE_PGM_RSRC2:TGID_Y_EN: 0
; COMPUTE_PGM_RSRC2:TGID_Z_EN: 0
; COMPUTE_PGM_RSRC2:TIDIG_COMP_CNT: 0
	.section	.text._ZN7rocprim17ROCPRIM_400000_NS6detail17trampoline_kernelINS0_14default_configENS1_38merge_sort_block_merge_config_selectorItNS0_10empty_typeEEEZZNS1_27merge_sort_block_merge_implIS3_PtPS5_jNS1_19radix_merge_compareILb1ELb1EtNS0_19identity_decomposerEEEEE10hipError_tT0_T1_T2_jT3_P12ihipStream_tbPNSt15iterator_traitsISE_E10value_typeEPNSK_ISF_E10value_typeEPSG_NS1_7vsmem_tEENKUlT_SE_SF_SG_E_clIS8_S8_S9_S9_EESD_ST_SE_SF_SG_EUlST_E_NS1_11comp_targetILNS1_3genE2ELNS1_11target_archE906ELNS1_3gpuE6ELNS1_3repE0EEENS1_48merge_mergepath_partition_config_static_selectorELNS0_4arch9wavefront6targetE0EEEvSF_,"axG",@progbits,_ZN7rocprim17ROCPRIM_400000_NS6detail17trampoline_kernelINS0_14default_configENS1_38merge_sort_block_merge_config_selectorItNS0_10empty_typeEEEZZNS1_27merge_sort_block_merge_implIS3_PtPS5_jNS1_19radix_merge_compareILb1ELb1EtNS0_19identity_decomposerEEEEE10hipError_tT0_T1_T2_jT3_P12ihipStream_tbPNSt15iterator_traitsISE_E10value_typeEPNSK_ISF_E10value_typeEPSG_NS1_7vsmem_tEENKUlT_SE_SF_SG_E_clIS8_S8_S9_S9_EESD_ST_SE_SF_SG_EUlST_E_NS1_11comp_targetILNS1_3genE2ELNS1_11target_archE906ELNS1_3gpuE6ELNS1_3repE0EEENS1_48merge_mergepath_partition_config_static_selectorELNS0_4arch9wavefront6targetE0EEEvSF_,comdat
	.protected	_ZN7rocprim17ROCPRIM_400000_NS6detail17trampoline_kernelINS0_14default_configENS1_38merge_sort_block_merge_config_selectorItNS0_10empty_typeEEEZZNS1_27merge_sort_block_merge_implIS3_PtPS5_jNS1_19radix_merge_compareILb1ELb1EtNS0_19identity_decomposerEEEEE10hipError_tT0_T1_T2_jT3_P12ihipStream_tbPNSt15iterator_traitsISE_E10value_typeEPNSK_ISF_E10value_typeEPSG_NS1_7vsmem_tEENKUlT_SE_SF_SG_E_clIS8_S8_S9_S9_EESD_ST_SE_SF_SG_EUlST_E_NS1_11comp_targetILNS1_3genE2ELNS1_11target_archE906ELNS1_3gpuE6ELNS1_3repE0EEENS1_48merge_mergepath_partition_config_static_selectorELNS0_4arch9wavefront6targetE0EEEvSF_ ; -- Begin function _ZN7rocprim17ROCPRIM_400000_NS6detail17trampoline_kernelINS0_14default_configENS1_38merge_sort_block_merge_config_selectorItNS0_10empty_typeEEEZZNS1_27merge_sort_block_merge_implIS3_PtPS5_jNS1_19radix_merge_compareILb1ELb1EtNS0_19identity_decomposerEEEEE10hipError_tT0_T1_T2_jT3_P12ihipStream_tbPNSt15iterator_traitsISE_E10value_typeEPNSK_ISF_E10value_typeEPSG_NS1_7vsmem_tEENKUlT_SE_SF_SG_E_clIS8_S8_S9_S9_EESD_ST_SE_SF_SG_EUlST_E_NS1_11comp_targetILNS1_3genE2ELNS1_11target_archE906ELNS1_3gpuE6ELNS1_3repE0EEENS1_48merge_mergepath_partition_config_static_selectorELNS0_4arch9wavefront6targetE0EEEvSF_
	.globl	_ZN7rocprim17ROCPRIM_400000_NS6detail17trampoline_kernelINS0_14default_configENS1_38merge_sort_block_merge_config_selectorItNS0_10empty_typeEEEZZNS1_27merge_sort_block_merge_implIS3_PtPS5_jNS1_19radix_merge_compareILb1ELb1EtNS0_19identity_decomposerEEEEE10hipError_tT0_T1_T2_jT3_P12ihipStream_tbPNSt15iterator_traitsISE_E10value_typeEPNSK_ISF_E10value_typeEPSG_NS1_7vsmem_tEENKUlT_SE_SF_SG_E_clIS8_S8_S9_S9_EESD_ST_SE_SF_SG_EUlST_E_NS1_11comp_targetILNS1_3genE2ELNS1_11target_archE906ELNS1_3gpuE6ELNS1_3repE0EEENS1_48merge_mergepath_partition_config_static_selectorELNS0_4arch9wavefront6targetE0EEEvSF_
	.p2align	8
	.type	_ZN7rocprim17ROCPRIM_400000_NS6detail17trampoline_kernelINS0_14default_configENS1_38merge_sort_block_merge_config_selectorItNS0_10empty_typeEEEZZNS1_27merge_sort_block_merge_implIS3_PtPS5_jNS1_19radix_merge_compareILb1ELb1EtNS0_19identity_decomposerEEEEE10hipError_tT0_T1_T2_jT3_P12ihipStream_tbPNSt15iterator_traitsISE_E10value_typeEPNSK_ISF_E10value_typeEPSG_NS1_7vsmem_tEENKUlT_SE_SF_SG_E_clIS8_S8_S9_S9_EESD_ST_SE_SF_SG_EUlST_E_NS1_11comp_targetILNS1_3genE2ELNS1_11target_archE906ELNS1_3gpuE6ELNS1_3repE0EEENS1_48merge_mergepath_partition_config_static_selectorELNS0_4arch9wavefront6targetE0EEEvSF_,@function
_ZN7rocprim17ROCPRIM_400000_NS6detail17trampoline_kernelINS0_14default_configENS1_38merge_sort_block_merge_config_selectorItNS0_10empty_typeEEEZZNS1_27merge_sort_block_merge_implIS3_PtPS5_jNS1_19radix_merge_compareILb1ELb1EtNS0_19identity_decomposerEEEEE10hipError_tT0_T1_T2_jT3_P12ihipStream_tbPNSt15iterator_traitsISE_E10value_typeEPNSK_ISF_E10value_typeEPSG_NS1_7vsmem_tEENKUlT_SE_SF_SG_E_clIS8_S8_S9_S9_EESD_ST_SE_SF_SG_EUlST_E_NS1_11comp_targetILNS1_3genE2ELNS1_11target_archE906ELNS1_3gpuE6ELNS1_3repE0EEENS1_48merge_mergepath_partition_config_static_selectorELNS0_4arch9wavefront6targetE0EEEvSF_: ; @_ZN7rocprim17ROCPRIM_400000_NS6detail17trampoline_kernelINS0_14default_configENS1_38merge_sort_block_merge_config_selectorItNS0_10empty_typeEEEZZNS1_27merge_sort_block_merge_implIS3_PtPS5_jNS1_19radix_merge_compareILb1ELb1EtNS0_19identity_decomposerEEEEE10hipError_tT0_T1_T2_jT3_P12ihipStream_tbPNSt15iterator_traitsISE_E10value_typeEPNSK_ISF_E10value_typeEPSG_NS1_7vsmem_tEENKUlT_SE_SF_SG_E_clIS8_S8_S9_S9_EESD_ST_SE_SF_SG_EUlST_E_NS1_11comp_targetILNS1_3genE2ELNS1_11target_archE906ELNS1_3gpuE6ELNS1_3repE0EEENS1_48merge_mergepath_partition_config_static_selectorELNS0_4arch9wavefront6targetE0EEEvSF_
; %bb.0:
	.section	.rodata,"a",@progbits
	.p2align	6, 0x0
	.amdhsa_kernel _ZN7rocprim17ROCPRIM_400000_NS6detail17trampoline_kernelINS0_14default_configENS1_38merge_sort_block_merge_config_selectorItNS0_10empty_typeEEEZZNS1_27merge_sort_block_merge_implIS3_PtPS5_jNS1_19radix_merge_compareILb1ELb1EtNS0_19identity_decomposerEEEEE10hipError_tT0_T1_T2_jT3_P12ihipStream_tbPNSt15iterator_traitsISE_E10value_typeEPNSK_ISF_E10value_typeEPSG_NS1_7vsmem_tEENKUlT_SE_SF_SG_E_clIS8_S8_S9_S9_EESD_ST_SE_SF_SG_EUlST_E_NS1_11comp_targetILNS1_3genE2ELNS1_11target_archE906ELNS1_3gpuE6ELNS1_3repE0EEENS1_48merge_mergepath_partition_config_static_selectorELNS0_4arch9wavefront6targetE0EEEvSF_
		.amdhsa_group_segment_fixed_size 0
		.amdhsa_private_segment_fixed_size 0
		.amdhsa_kernarg_size 40
		.amdhsa_user_sgpr_count 2
		.amdhsa_user_sgpr_dispatch_ptr 0
		.amdhsa_user_sgpr_queue_ptr 0
		.amdhsa_user_sgpr_kernarg_segment_ptr 1
		.amdhsa_user_sgpr_dispatch_id 0
		.amdhsa_user_sgpr_kernarg_preload_length 0
		.amdhsa_user_sgpr_kernarg_preload_offset 0
		.amdhsa_user_sgpr_private_segment_size 0
		.amdhsa_wavefront_size32 1
		.amdhsa_uses_dynamic_stack 0
		.amdhsa_enable_private_segment 0
		.amdhsa_system_sgpr_workgroup_id_x 1
		.amdhsa_system_sgpr_workgroup_id_y 0
		.amdhsa_system_sgpr_workgroup_id_z 0
		.amdhsa_system_sgpr_workgroup_info 0
		.amdhsa_system_vgpr_workitem_id 0
		.amdhsa_next_free_vgpr 1
		.amdhsa_next_free_sgpr 1
		.amdhsa_named_barrier_count 0
		.amdhsa_reserve_vcc 0
		.amdhsa_float_round_mode_32 0
		.amdhsa_float_round_mode_16_64 0
		.amdhsa_float_denorm_mode_32 3
		.amdhsa_float_denorm_mode_16_64 3
		.amdhsa_fp16_overflow 0
		.amdhsa_memory_ordered 1
		.amdhsa_forward_progress 1
		.amdhsa_inst_pref_size 0
		.amdhsa_round_robin_scheduling 0
		.amdhsa_exception_fp_ieee_invalid_op 0
		.amdhsa_exception_fp_denorm_src 0
		.amdhsa_exception_fp_ieee_div_zero 0
		.amdhsa_exception_fp_ieee_overflow 0
		.amdhsa_exception_fp_ieee_underflow 0
		.amdhsa_exception_fp_ieee_inexact 0
		.amdhsa_exception_int_div_zero 0
	.end_amdhsa_kernel
	.section	.text._ZN7rocprim17ROCPRIM_400000_NS6detail17trampoline_kernelINS0_14default_configENS1_38merge_sort_block_merge_config_selectorItNS0_10empty_typeEEEZZNS1_27merge_sort_block_merge_implIS3_PtPS5_jNS1_19radix_merge_compareILb1ELb1EtNS0_19identity_decomposerEEEEE10hipError_tT0_T1_T2_jT3_P12ihipStream_tbPNSt15iterator_traitsISE_E10value_typeEPNSK_ISF_E10value_typeEPSG_NS1_7vsmem_tEENKUlT_SE_SF_SG_E_clIS8_S8_S9_S9_EESD_ST_SE_SF_SG_EUlST_E_NS1_11comp_targetILNS1_3genE2ELNS1_11target_archE906ELNS1_3gpuE6ELNS1_3repE0EEENS1_48merge_mergepath_partition_config_static_selectorELNS0_4arch9wavefront6targetE0EEEvSF_,"axG",@progbits,_ZN7rocprim17ROCPRIM_400000_NS6detail17trampoline_kernelINS0_14default_configENS1_38merge_sort_block_merge_config_selectorItNS0_10empty_typeEEEZZNS1_27merge_sort_block_merge_implIS3_PtPS5_jNS1_19radix_merge_compareILb1ELb1EtNS0_19identity_decomposerEEEEE10hipError_tT0_T1_T2_jT3_P12ihipStream_tbPNSt15iterator_traitsISE_E10value_typeEPNSK_ISF_E10value_typeEPSG_NS1_7vsmem_tEENKUlT_SE_SF_SG_E_clIS8_S8_S9_S9_EESD_ST_SE_SF_SG_EUlST_E_NS1_11comp_targetILNS1_3genE2ELNS1_11target_archE906ELNS1_3gpuE6ELNS1_3repE0EEENS1_48merge_mergepath_partition_config_static_selectorELNS0_4arch9wavefront6targetE0EEEvSF_,comdat
.Lfunc_end2341:
	.size	_ZN7rocprim17ROCPRIM_400000_NS6detail17trampoline_kernelINS0_14default_configENS1_38merge_sort_block_merge_config_selectorItNS0_10empty_typeEEEZZNS1_27merge_sort_block_merge_implIS3_PtPS5_jNS1_19radix_merge_compareILb1ELb1EtNS0_19identity_decomposerEEEEE10hipError_tT0_T1_T2_jT3_P12ihipStream_tbPNSt15iterator_traitsISE_E10value_typeEPNSK_ISF_E10value_typeEPSG_NS1_7vsmem_tEENKUlT_SE_SF_SG_E_clIS8_S8_S9_S9_EESD_ST_SE_SF_SG_EUlST_E_NS1_11comp_targetILNS1_3genE2ELNS1_11target_archE906ELNS1_3gpuE6ELNS1_3repE0EEENS1_48merge_mergepath_partition_config_static_selectorELNS0_4arch9wavefront6targetE0EEEvSF_, .Lfunc_end2341-_ZN7rocprim17ROCPRIM_400000_NS6detail17trampoline_kernelINS0_14default_configENS1_38merge_sort_block_merge_config_selectorItNS0_10empty_typeEEEZZNS1_27merge_sort_block_merge_implIS3_PtPS5_jNS1_19radix_merge_compareILb1ELb1EtNS0_19identity_decomposerEEEEE10hipError_tT0_T1_T2_jT3_P12ihipStream_tbPNSt15iterator_traitsISE_E10value_typeEPNSK_ISF_E10value_typeEPSG_NS1_7vsmem_tEENKUlT_SE_SF_SG_E_clIS8_S8_S9_S9_EESD_ST_SE_SF_SG_EUlST_E_NS1_11comp_targetILNS1_3genE2ELNS1_11target_archE906ELNS1_3gpuE6ELNS1_3repE0EEENS1_48merge_mergepath_partition_config_static_selectorELNS0_4arch9wavefront6targetE0EEEvSF_
                                        ; -- End function
	.set _ZN7rocprim17ROCPRIM_400000_NS6detail17trampoline_kernelINS0_14default_configENS1_38merge_sort_block_merge_config_selectorItNS0_10empty_typeEEEZZNS1_27merge_sort_block_merge_implIS3_PtPS5_jNS1_19radix_merge_compareILb1ELb1EtNS0_19identity_decomposerEEEEE10hipError_tT0_T1_T2_jT3_P12ihipStream_tbPNSt15iterator_traitsISE_E10value_typeEPNSK_ISF_E10value_typeEPSG_NS1_7vsmem_tEENKUlT_SE_SF_SG_E_clIS8_S8_S9_S9_EESD_ST_SE_SF_SG_EUlST_E_NS1_11comp_targetILNS1_3genE2ELNS1_11target_archE906ELNS1_3gpuE6ELNS1_3repE0EEENS1_48merge_mergepath_partition_config_static_selectorELNS0_4arch9wavefront6targetE0EEEvSF_.num_vgpr, 0
	.set _ZN7rocprim17ROCPRIM_400000_NS6detail17trampoline_kernelINS0_14default_configENS1_38merge_sort_block_merge_config_selectorItNS0_10empty_typeEEEZZNS1_27merge_sort_block_merge_implIS3_PtPS5_jNS1_19radix_merge_compareILb1ELb1EtNS0_19identity_decomposerEEEEE10hipError_tT0_T1_T2_jT3_P12ihipStream_tbPNSt15iterator_traitsISE_E10value_typeEPNSK_ISF_E10value_typeEPSG_NS1_7vsmem_tEENKUlT_SE_SF_SG_E_clIS8_S8_S9_S9_EESD_ST_SE_SF_SG_EUlST_E_NS1_11comp_targetILNS1_3genE2ELNS1_11target_archE906ELNS1_3gpuE6ELNS1_3repE0EEENS1_48merge_mergepath_partition_config_static_selectorELNS0_4arch9wavefront6targetE0EEEvSF_.num_agpr, 0
	.set _ZN7rocprim17ROCPRIM_400000_NS6detail17trampoline_kernelINS0_14default_configENS1_38merge_sort_block_merge_config_selectorItNS0_10empty_typeEEEZZNS1_27merge_sort_block_merge_implIS3_PtPS5_jNS1_19radix_merge_compareILb1ELb1EtNS0_19identity_decomposerEEEEE10hipError_tT0_T1_T2_jT3_P12ihipStream_tbPNSt15iterator_traitsISE_E10value_typeEPNSK_ISF_E10value_typeEPSG_NS1_7vsmem_tEENKUlT_SE_SF_SG_E_clIS8_S8_S9_S9_EESD_ST_SE_SF_SG_EUlST_E_NS1_11comp_targetILNS1_3genE2ELNS1_11target_archE906ELNS1_3gpuE6ELNS1_3repE0EEENS1_48merge_mergepath_partition_config_static_selectorELNS0_4arch9wavefront6targetE0EEEvSF_.numbered_sgpr, 0
	.set _ZN7rocprim17ROCPRIM_400000_NS6detail17trampoline_kernelINS0_14default_configENS1_38merge_sort_block_merge_config_selectorItNS0_10empty_typeEEEZZNS1_27merge_sort_block_merge_implIS3_PtPS5_jNS1_19radix_merge_compareILb1ELb1EtNS0_19identity_decomposerEEEEE10hipError_tT0_T1_T2_jT3_P12ihipStream_tbPNSt15iterator_traitsISE_E10value_typeEPNSK_ISF_E10value_typeEPSG_NS1_7vsmem_tEENKUlT_SE_SF_SG_E_clIS8_S8_S9_S9_EESD_ST_SE_SF_SG_EUlST_E_NS1_11comp_targetILNS1_3genE2ELNS1_11target_archE906ELNS1_3gpuE6ELNS1_3repE0EEENS1_48merge_mergepath_partition_config_static_selectorELNS0_4arch9wavefront6targetE0EEEvSF_.num_named_barrier, 0
	.set _ZN7rocprim17ROCPRIM_400000_NS6detail17trampoline_kernelINS0_14default_configENS1_38merge_sort_block_merge_config_selectorItNS0_10empty_typeEEEZZNS1_27merge_sort_block_merge_implIS3_PtPS5_jNS1_19radix_merge_compareILb1ELb1EtNS0_19identity_decomposerEEEEE10hipError_tT0_T1_T2_jT3_P12ihipStream_tbPNSt15iterator_traitsISE_E10value_typeEPNSK_ISF_E10value_typeEPSG_NS1_7vsmem_tEENKUlT_SE_SF_SG_E_clIS8_S8_S9_S9_EESD_ST_SE_SF_SG_EUlST_E_NS1_11comp_targetILNS1_3genE2ELNS1_11target_archE906ELNS1_3gpuE6ELNS1_3repE0EEENS1_48merge_mergepath_partition_config_static_selectorELNS0_4arch9wavefront6targetE0EEEvSF_.private_seg_size, 0
	.set _ZN7rocprim17ROCPRIM_400000_NS6detail17trampoline_kernelINS0_14default_configENS1_38merge_sort_block_merge_config_selectorItNS0_10empty_typeEEEZZNS1_27merge_sort_block_merge_implIS3_PtPS5_jNS1_19radix_merge_compareILb1ELb1EtNS0_19identity_decomposerEEEEE10hipError_tT0_T1_T2_jT3_P12ihipStream_tbPNSt15iterator_traitsISE_E10value_typeEPNSK_ISF_E10value_typeEPSG_NS1_7vsmem_tEENKUlT_SE_SF_SG_E_clIS8_S8_S9_S9_EESD_ST_SE_SF_SG_EUlST_E_NS1_11comp_targetILNS1_3genE2ELNS1_11target_archE906ELNS1_3gpuE6ELNS1_3repE0EEENS1_48merge_mergepath_partition_config_static_selectorELNS0_4arch9wavefront6targetE0EEEvSF_.uses_vcc, 0
	.set _ZN7rocprim17ROCPRIM_400000_NS6detail17trampoline_kernelINS0_14default_configENS1_38merge_sort_block_merge_config_selectorItNS0_10empty_typeEEEZZNS1_27merge_sort_block_merge_implIS3_PtPS5_jNS1_19radix_merge_compareILb1ELb1EtNS0_19identity_decomposerEEEEE10hipError_tT0_T1_T2_jT3_P12ihipStream_tbPNSt15iterator_traitsISE_E10value_typeEPNSK_ISF_E10value_typeEPSG_NS1_7vsmem_tEENKUlT_SE_SF_SG_E_clIS8_S8_S9_S9_EESD_ST_SE_SF_SG_EUlST_E_NS1_11comp_targetILNS1_3genE2ELNS1_11target_archE906ELNS1_3gpuE6ELNS1_3repE0EEENS1_48merge_mergepath_partition_config_static_selectorELNS0_4arch9wavefront6targetE0EEEvSF_.uses_flat_scratch, 0
	.set _ZN7rocprim17ROCPRIM_400000_NS6detail17trampoline_kernelINS0_14default_configENS1_38merge_sort_block_merge_config_selectorItNS0_10empty_typeEEEZZNS1_27merge_sort_block_merge_implIS3_PtPS5_jNS1_19radix_merge_compareILb1ELb1EtNS0_19identity_decomposerEEEEE10hipError_tT0_T1_T2_jT3_P12ihipStream_tbPNSt15iterator_traitsISE_E10value_typeEPNSK_ISF_E10value_typeEPSG_NS1_7vsmem_tEENKUlT_SE_SF_SG_E_clIS8_S8_S9_S9_EESD_ST_SE_SF_SG_EUlST_E_NS1_11comp_targetILNS1_3genE2ELNS1_11target_archE906ELNS1_3gpuE6ELNS1_3repE0EEENS1_48merge_mergepath_partition_config_static_selectorELNS0_4arch9wavefront6targetE0EEEvSF_.has_dyn_sized_stack, 0
	.set _ZN7rocprim17ROCPRIM_400000_NS6detail17trampoline_kernelINS0_14default_configENS1_38merge_sort_block_merge_config_selectorItNS0_10empty_typeEEEZZNS1_27merge_sort_block_merge_implIS3_PtPS5_jNS1_19radix_merge_compareILb1ELb1EtNS0_19identity_decomposerEEEEE10hipError_tT0_T1_T2_jT3_P12ihipStream_tbPNSt15iterator_traitsISE_E10value_typeEPNSK_ISF_E10value_typeEPSG_NS1_7vsmem_tEENKUlT_SE_SF_SG_E_clIS8_S8_S9_S9_EESD_ST_SE_SF_SG_EUlST_E_NS1_11comp_targetILNS1_3genE2ELNS1_11target_archE906ELNS1_3gpuE6ELNS1_3repE0EEENS1_48merge_mergepath_partition_config_static_selectorELNS0_4arch9wavefront6targetE0EEEvSF_.has_recursion, 0
	.set _ZN7rocprim17ROCPRIM_400000_NS6detail17trampoline_kernelINS0_14default_configENS1_38merge_sort_block_merge_config_selectorItNS0_10empty_typeEEEZZNS1_27merge_sort_block_merge_implIS3_PtPS5_jNS1_19radix_merge_compareILb1ELb1EtNS0_19identity_decomposerEEEEE10hipError_tT0_T1_T2_jT3_P12ihipStream_tbPNSt15iterator_traitsISE_E10value_typeEPNSK_ISF_E10value_typeEPSG_NS1_7vsmem_tEENKUlT_SE_SF_SG_E_clIS8_S8_S9_S9_EESD_ST_SE_SF_SG_EUlST_E_NS1_11comp_targetILNS1_3genE2ELNS1_11target_archE906ELNS1_3gpuE6ELNS1_3repE0EEENS1_48merge_mergepath_partition_config_static_selectorELNS0_4arch9wavefront6targetE0EEEvSF_.has_indirect_call, 0
	.section	.AMDGPU.csdata,"",@progbits
; Kernel info:
; codeLenInByte = 0
; TotalNumSgprs: 0
; NumVgprs: 0
; ScratchSize: 0
; MemoryBound: 0
; FloatMode: 240
; IeeeMode: 1
; LDSByteSize: 0 bytes/workgroup (compile time only)
; SGPRBlocks: 0
; VGPRBlocks: 0
; NumSGPRsForWavesPerEU: 1
; NumVGPRsForWavesPerEU: 1
; NamedBarCnt: 0
; Occupancy: 16
; WaveLimiterHint : 0
; COMPUTE_PGM_RSRC2:SCRATCH_EN: 0
; COMPUTE_PGM_RSRC2:USER_SGPR: 2
; COMPUTE_PGM_RSRC2:TRAP_HANDLER: 0
; COMPUTE_PGM_RSRC2:TGID_X_EN: 1
; COMPUTE_PGM_RSRC2:TGID_Y_EN: 0
; COMPUTE_PGM_RSRC2:TGID_Z_EN: 0
; COMPUTE_PGM_RSRC2:TIDIG_COMP_CNT: 0
	.section	.text._ZN7rocprim17ROCPRIM_400000_NS6detail17trampoline_kernelINS0_14default_configENS1_38merge_sort_block_merge_config_selectorItNS0_10empty_typeEEEZZNS1_27merge_sort_block_merge_implIS3_PtPS5_jNS1_19radix_merge_compareILb1ELb1EtNS0_19identity_decomposerEEEEE10hipError_tT0_T1_T2_jT3_P12ihipStream_tbPNSt15iterator_traitsISE_E10value_typeEPNSK_ISF_E10value_typeEPSG_NS1_7vsmem_tEENKUlT_SE_SF_SG_E_clIS8_S8_S9_S9_EESD_ST_SE_SF_SG_EUlST_E_NS1_11comp_targetILNS1_3genE9ELNS1_11target_archE1100ELNS1_3gpuE3ELNS1_3repE0EEENS1_48merge_mergepath_partition_config_static_selectorELNS0_4arch9wavefront6targetE0EEEvSF_,"axG",@progbits,_ZN7rocprim17ROCPRIM_400000_NS6detail17trampoline_kernelINS0_14default_configENS1_38merge_sort_block_merge_config_selectorItNS0_10empty_typeEEEZZNS1_27merge_sort_block_merge_implIS3_PtPS5_jNS1_19radix_merge_compareILb1ELb1EtNS0_19identity_decomposerEEEEE10hipError_tT0_T1_T2_jT3_P12ihipStream_tbPNSt15iterator_traitsISE_E10value_typeEPNSK_ISF_E10value_typeEPSG_NS1_7vsmem_tEENKUlT_SE_SF_SG_E_clIS8_S8_S9_S9_EESD_ST_SE_SF_SG_EUlST_E_NS1_11comp_targetILNS1_3genE9ELNS1_11target_archE1100ELNS1_3gpuE3ELNS1_3repE0EEENS1_48merge_mergepath_partition_config_static_selectorELNS0_4arch9wavefront6targetE0EEEvSF_,comdat
	.protected	_ZN7rocprim17ROCPRIM_400000_NS6detail17trampoline_kernelINS0_14default_configENS1_38merge_sort_block_merge_config_selectorItNS0_10empty_typeEEEZZNS1_27merge_sort_block_merge_implIS3_PtPS5_jNS1_19radix_merge_compareILb1ELb1EtNS0_19identity_decomposerEEEEE10hipError_tT0_T1_T2_jT3_P12ihipStream_tbPNSt15iterator_traitsISE_E10value_typeEPNSK_ISF_E10value_typeEPSG_NS1_7vsmem_tEENKUlT_SE_SF_SG_E_clIS8_S8_S9_S9_EESD_ST_SE_SF_SG_EUlST_E_NS1_11comp_targetILNS1_3genE9ELNS1_11target_archE1100ELNS1_3gpuE3ELNS1_3repE0EEENS1_48merge_mergepath_partition_config_static_selectorELNS0_4arch9wavefront6targetE0EEEvSF_ ; -- Begin function _ZN7rocprim17ROCPRIM_400000_NS6detail17trampoline_kernelINS0_14default_configENS1_38merge_sort_block_merge_config_selectorItNS0_10empty_typeEEEZZNS1_27merge_sort_block_merge_implIS3_PtPS5_jNS1_19radix_merge_compareILb1ELb1EtNS0_19identity_decomposerEEEEE10hipError_tT0_T1_T2_jT3_P12ihipStream_tbPNSt15iterator_traitsISE_E10value_typeEPNSK_ISF_E10value_typeEPSG_NS1_7vsmem_tEENKUlT_SE_SF_SG_E_clIS8_S8_S9_S9_EESD_ST_SE_SF_SG_EUlST_E_NS1_11comp_targetILNS1_3genE9ELNS1_11target_archE1100ELNS1_3gpuE3ELNS1_3repE0EEENS1_48merge_mergepath_partition_config_static_selectorELNS0_4arch9wavefront6targetE0EEEvSF_
	.globl	_ZN7rocprim17ROCPRIM_400000_NS6detail17trampoline_kernelINS0_14default_configENS1_38merge_sort_block_merge_config_selectorItNS0_10empty_typeEEEZZNS1_27merge_sort_block_merge_implIS3_PtPS5_jNS1_19radix_merge_compareILb1ELb1EtNS0_19identity_decomposerEEEEE10hipError_tT0_T1_T2_jT3_P12ihipStream_tbPNSt15iterator_traitsISE_E10value_typeEPNSK_ISF_E10value_typeEPSG_NS1_7vsmem_tEENKUlT_SE_SF_SG_E_clIS8_S8_S9_S9_EESD_ST_SE_SF_SG_EUlST_E_NS1_11comp_targetILNS1_3genE9ELNS1_11target_archE1100ELNS1_3gpuE3ELNS1_3repE0EEENS1_48merge_mergepath_partition_config_static_selectorELNS0_4arch9wavefront6targetE0EEEvSF_
	.p2align	8
	.type	_ZN7rocprim17ROCPRIM_400000_NS6detail17trampoline_kernelINS0_14default_configENS1_38merge_sort_block_merge_config_selectorItNS0_10empty_typeEEEZZNS1_27merge_sort_block_merge_implIS3_PtPS5_jNS1_19radix_merge_compareILb1ELb1EtNS0_19identity_decomposerEEEEE10hipError_tT0_T1_T2_jT3_P12ihipStream_tbPNSt15iterator_traitsISE_E10value_typeEPNSK_ISF_E10value_typeEPSG_NS1_7vsmem_tEENKUlT_SE_SF_SG_E_clIS8_S8_S9_S9_EESD_ST_SE_SF_SG_EUlST_E_NS1_11comp_targetILNS1_3genE9ELNS1_11target_archE1100ELNS1_3gpuE3ELNS1_3repE0EEENS1_48merge_mergepath_partition_config_static_selectorELNS0_4arch9wavefront6targetE0EEEvSF_,@function
_ZN7rocprim17ROCPRIM_400000_NS6detail17trampoline_kernelINS0_14default_configENS1_38merge_sort_block_merge_config_selectorItNS0_10empty_typeEEEZZNS1_27merge_sort_block_merge_implIS3_PtPS5_jNS1_19radix_merge_compareILb1ELb1EtNS0_19identity_decomposerEEEEE10hipError_tT0_T1_T2_jT3_P12ihipStream_tbPNSt15iterator_traitsISE_E10value_typeEPNSK_ISF_E10value_typeEPSG_NS1_7vsmem_tEENKUlT_SE_SF_SG_E_clIS8_S8_S9_S9_EESD_ST_SE_SF_SG_EUlST_E_NS1_11comp_targetILNS1_3genE9ELNS1_11target_archE1100ELNS1_3gpuE3ELNS1_3repE0EEENS1_48merge_mergepath_partition_config_static_selectorELNS0_4arch9wavefront6targetE0EEEvSF_: ; @_ZN7rocprim17ROCPRIM_400000_NS6detail17trampoline_kernelINS0_14default_configENS1_38merge_sort_block_merge_config_selectorItNS0_10empty_typeEEEZZNS1_27merge_sort_block_merge_implIS3_PtPS5_jNS1_19radix_merge_compareILb1ELb1EtNS0_19identity_decomposerEEEEE10hipError_tT0_T1_T2_jT3_P12ihipStream_tbPNSt15iterator_traitsISE_E10value_typeEPNSK_ISF_E10value_typeEPSG_NS1_7vsmem_tEENKUlT_SE_SF_SG_E_clIS8_S8_S9_S9_EESD_ST_SE_SF_SG_EUlST_E_NS1_11comp_targetILNS1_3genE9ELNS1_11target_archE1100ELNS1_3gpuE3ELNS1_3repE0EEENS1_48merge_mergepath_partition_config_static_selectorELNS0_4arch9wavefront6targetE0EEEvSF_
; %bb.0:
	.section	.rodata,"a",@progbits
	.p2align	6, 0x0
	.amdhsa_kernel _ZN7rocprim17ROCPRIM_400000_NS6detail17trampoline_kernelINS0_14default_configENS1_38merge_sort_block_merge_config_selectorItNS0_10empty_typeEEEZZNS1_27merge_sort_block_merge_implIS3_PtPS5_jNS1_19radix_merge_compareILb1ELb1EtNS0_19identity_decomposerEEEEE10hipError_tT0_T1_T2_jT3_P12ihipStream_tbPNSt15iterator_traitsISE_E10value_typeEPNSK_ISF_E10value_typeEPSG_NS1_7vsmem_tEENKUlT_SE_SF_SG_E_clIS8_S8_S9_S9_EESD_ST_SE_SF_SG_EUlST_E_NS1_11comp_targetILNS1_3genE9ELNS1_11target_archE1100ELNS1_3gpuE3ELNS1_3repE0EEENS1_48merge_mergepath_partition_config_static_selectorELNS0_4arch9wavefront6targetE0EEEvSF_
		.amdhsa_group_segment_fixed_size 0
		.amdhsa_private_segment_fixed_size 0
		.amdhsa_kernarg_size 40
		.amdhsa_user_sgpr_count 2
		.amdhsa_user_sgpr_dispatch_ptr 0
		.amdhsa_user_sgpr_queue_ptr 0
		.amdhsa_user_sgpr_kernarg_segment_ptr 1
		.amdhsa_user_sgpr_dispatch_id 0
		.amdhsa_user_sgpr_kernarg_preload_length 0
		.amdhsa_user_sgpr_kernarg_preload_offset 0
		.amdhsa_user_sgpr_private_segment_size 0
		.amdhsa_wavefront_size32 1
		.amdhsa_uses_dynamic_stack 0
		.amdhsa_enable_private_segment 0
		.amdhsa_system_sgpr_workgroup_id_x 1
		.amdhsa_system_sgpr_workgroup_id_y 0
		.amdhsa_system_sgpr_workgroup_id_z 0
		.amdhsa_system_sgpr_workgroup_info 0
		.amdhsa_system_vgpr_workitem_id 0
		.amdhsa_next_free_vgpr 1
		.amdhsa_next_free_sgpr 1
		.amdhsa_named_barrier_count 0
		.amdhsa_reserve_vcc 0
		.amdhsa_float_round_mode_32 0
		.amdhsa_float_round_mode_16_64 0
		.amdhsa_float_denorm_mode_32 3
		.amdhsa_float_denorm_mode_16_64 3
		.amdhsa_fp16_overflow 0
		.amdhsa_memory_ordered 1
		.amdhsa_forward_progress 1
		.amdhsa_inst_pref_size 0
		.amdhsa_round_robin_scheduling 0
		.amdhsa_exception_fp_ieee_invalid_op 0
		.amdhsa_exception_fp_denorm_src 0
		.amdhsa_exception_fp_ieee_div_zero 0
		.amdhsa_exception_fp_ieee_overflow 0
		.amdhsa_exception_fp_ieee_underflow 0
		.amdhsa_exception_fp_ieee_inexact 0
		.amdhsa_exception_int_div_zero 0
	.end_amdhsa_kernel
	.section	.text._ZN7rocprim17ROCPRIM_400000_NS6detail17trampoline_kernelINS0_14default_configENS1_38merge_sort_block_merge_config_selectorItNS0_10empty_typeEEEZZNS1_27merge_sort_block_merge_implIS3_PtPS5_jNS1_19radix_merge_compareILb1ELb1EtNS0_19identity_decomposerEEEEE10hipError_tT0_T1_T2_jT3_P12ihipStream_tbPNSt15iterator_traitsISE_E10value_typeEPNSK_ISF_E10value_typeEPSG_NS1_7vsmem_tEENKUlT_SE_SF_SG_E_clIS8_S8_S9_S9_EESD_ST_SE_SF_SG_EUlST_E_NS1_11comp_targetILNS1_3genE9ELNS1_11target_archE1100ELNS1_3gpuE3ELNS1_3repE0EEENS1_48merge_mergepath_partition_config_static_selectorELNS0_4arch9wavefront6targetE0EEEvSF_,"axG",@progbits,_ZN7rocprim17ROCPRIM_400000_NS6detail17trampoline_kernelINS0_14default_configENS1_38merge_sort_block_merge_config_selectorItNS0_10empty_typeEEEZZNS1_27merge_sort_block_merge_implIS3_PtPS5_jNS1_19radix_merge_compareILb1ELb1EtNS0_19identity_decomposerEEEEE10hipError_tT0_T1_T2_jT3_P12ihipStream_tbPNSt15iterator_traitsISE_E10value_typeEPNSK_ISF_E10value_typeEPSG_NS1_7vsmem_tEENKUlT_SE_SF_SG_E_clIS8_S8_S9_S9_EESD_ST_SE_SF_SG_EUlST_E_NS1_11comp_targetILNS1_3genE9ELNS1_11target_archE1100ELNS1_3gpuE3ELNS1_3repE0EEENS1_48merge_mergepath_partition_config_static_selectorELNS0_4arch9wavefront6targetE0EEEvSF_,comdat
.Lfunc_end2342:
	.size	_ZN7rocprim17ROCPRIM_400000_NS6detail17trampoline_kernelINS0_14default_configENS1_38merge_sort_block_merge_config_selectorItNS0_10empty_typeEEEZZNS1_27merge_sort_block_merge_implIS3_PtPS5_jNS1_19radix_merge_compareILb1ELb1EtNS0_19identity_decomposerEEEEE10hipError_tT0_T1_T2_jT3_P12ihipStream_tbPNSt15iterator_traitsISE_E10value_typeEPNSK_ISF_E10value_typeEPSG_NS1_7vsmem_tEENKUlT_SE_SF_SG_E_clIS8_S8_S9_S9_EESD_ST_SE_SF_SG_EUlST_E_NS1_11comp_targetILNS1_3genE9ELNS1_11target_archE1100ELNS1_3gpuE3ELNS1_3repE0EEENS1_48merge_mergepath_partition_config_static_selectorELNS0_4arch9wavefront6targetE0EEEvSF_, .Lfunc_end2342-_ZN7rocprim17ROCPRIM_400000_NS6detail17trampoline_kernelINS0_14default_configENS1_38merge_sort_block_merge_config_selectorItNS0_10empty_typeEEEZZNS1_27merge_sort_block_merge_implIS3_PtPS5_jNS1_19radix_merge_compareILb1ELb1EtNS0_19identity_decomposerEEEEE10hipError_tT0_T1_T2_jT3_P12ihipStream_tbPNSt15iterator_traitsISE_E10value_typeEPNSK_ISF_E10value_typeEPSG_NS1_7vsmem_tEENKUlT_SE_SF_SG_E_clIS8_S8_S9_S9_EESD_ST_SE_SF_SG_EUlST_E_NS1_11comp_targetILNS1_3genE9ELNS1_11target_archE1100ELNS1_3gpuE3ELNS1_3repE0EEENS1_48merge_mergepath_partition_config_static_selectorELNS0_4arch9wavefront6targetE0EEEvSF_
                                        ; -- End function
	.set _ZN7rocprim17ROCPRIM_400000_NS6detail17trampoline_kernelINS0_14default_configENS1_38merge_sort_block_merge_config_selectorItNS0_10empty_typeEEEZZNS1_27merge_sort_block_merge_implIS3_PtPS5_jNS1_19radix_merge_compareILb1ELb1EtNS0_19identity_decomposerEEEEE10hipError_tT0_T1_T2_jT3_P12ihipStream_tbPNSt15iterator_traitsISE_E10value_typeEPNSK_ISF_E10value_typeEPSG_NS1_7vsmem_tEENKUlT_SE_SF_SG_E_clIS8_S8_S9_S9_EESD_ST_SE_SF_SG_EUlST_E_NS1_11comp_targetILNS1_3genE9ELNS1_11target_archE1100ELNS1_3gpuE3ELNS1_3repE0EEENS1_48merge_mergepath_partition_config_static_selectorELNS0_4arch9wavefront6targetE0EEEvSF_.num_vgpr, 0
	.set _ZN7rocprim17ROCPRIM_400000_NS6detail17trampoline_kernelINS0_14default_configENS1_38merge_sort_block_merge_config_selectorItNS0_10empty_typeEEEZZNS1_27merge_sort_block_merge_implIS3_PtPS5_jNS1_19radix_merge_compareILb1ELb1EtNS0_19identity_decomposerEEEEE10hipError_tT0_T1_T2_jT3_P12ihipStream_tbPNSt15iterator_traitsISE_E10value_typeEPNSK_ISF_E10value_typeEPSG_NS1_7vsmem_tEENKUlT_SE_SF_SG_E_clIS8_S8_S9_S9_EESD_ST_SE_SF_SG_EUlST_E_NS1_11comp_targetILNS1_3genE9ELNS1_11target_archE1100ELNS1_3gpuE3ELNS1_3repE0EEENS1_48merge_mergepath_partition_config_static_selectorELNS0_4arch9wavefront6targetE0EEEvSF_.num_agpr, 0
	.set _ZN7rocprim17ROCPRIM_400000_NS6detail17trampoline_kernelINS0_14default_configENS1_38merge_sort_block_merge_config_selectorItNS0_10empty_typeEEEZZNS1_27merge_sort_block_merge_implIS3_PtPS5_jNS1_19radix_merge_compareILb1ELb1EtNS0_19identity_decomposerEEEEE10hipError_tT0_T1_T2_jT3_P12ihipStream_tbPNSt15iterator_traitsISE_E10value_typeEPNSK_ISF_E10value_typeEPSG_NS1_7vsmem_tEENKUlT_SE_SF_SG_E_clIS8_S8_S9_S9_EESD_ST_SE_SF_SG_EUlST_E_NS1_11comp_targetILNS1_3genE9ELNS1_11target_archE1100ELNS1_3gpuE3ELNS1_3repE0EEENS1_48merge_mergepath_partition_config_static_selectorELNS0_4arch9wavefront6targetE0EEEvSF_.numbered_sgpr, 0
	.set _ZN7rocprim17ROCPRIM_400000_NS6detail17trampoline_kernelINS0_14default_configENS1_38merge_sort_block_merge_config_selectorItNS0_10empty_typeEEEZZNS1_27merge_sort_block_merge_implIS3_PtPS5_jNS1_19radix_merge_compareILb1ELb1EtNS0_19identity_decomposerEEEEE10hipError_tT0_T1_T2_jT3_P12ihipStream_tbPNSt15iterator_traitsISE_E10value_typeEPNSK_ISF_E10value_typeEPSG_NS1_7vsmem_tEENKUlT_SE_SF_SG_E_clIS8_S8_S9_S9_EESD_ST_SE_SF_SG_EUlST_E_NS1_11comp_targetILNS1_3genE9ELNS1_11target_archE1100ELNS1_3gpuE3ELNS1_3repE0EEENS1_48merge_mergepath_partition_config_static_selectorELNS0_4arch9wavefront6targetE0EEEvSF_.num_named_barrier, 0
	.set _ZN7rocprim17ROCPRIM_400000_NS6detail17trampoline_kernelINS0_14default_configENS1_38merge_sort_block_merge_config_selectorItNS0_10empty_typeEEEZZNS1_27merge_sort_block_merge_implIS3_PtPS5_jNS1_19radix_merge_compareILb1ELb1EtNS0_19identity_decomposerEEEEE10hipError_tT0_T1_T2_jT3_P12ihipStream_tbPNSt15iterator_traitsISE_E10value_typeEPNSK_ISF_E10value_typeEPSG_NS1_7vsmem_tEENKUlT_SE_SF_SG_E_clIS8_S8_S9_S9_EESD_ST_SE_SF_SG_EUlST_E_NS1_11comp_targetILNS1_3genE9ELNS1_11target_archE1100ELNS1_3gpuE3ELNS1_3repE0EEENS1_48merge_mergepath_partition_config_static_selectorELNS0_4arch9wavefront6targetE0EEEvSF_.private_seg_size, 0
	.set _ZN7rocprim17ROCPRIM_400000_NS6detail17trampoline_kernelINS0_14default_configENS1_38merge_sort_block_merge_config_selectorItNS0_10empty_typeEEEZZNS1_27merge_sort_block_merge_implIS3_PtPS5_jNS1_19radix_merge_compareILb1ELb1EtNS0_19identity_decomposerEEEEE10hipError_tT0_T1_T2_jT3_P12ihipStream_tbPNSt15iterator_traitsISE_E10value_typeEPNSK_ISF_E10value_typeEPSG_NS1_7vsmem_tEENKUlT_SE_SF_SG_E_clIS8_S8_S9_S9_EESD_ST_SE_SF_SG_EUlST_E_NS1_11comp_targetILNS1_3genE9ELNS1_11target_archE1100ELNS1_3gpuE3ELNS1_3repE0EEENS1_48merge_mergepath_partition_config_static_selectorELNS0_4arch9wavefront6targetE0EEEvSF_.uses_vcc, 0
	.set _ZN7rocprim17ROCPRIM_400000_NS6detail17trampoline_kernelINS0_14default_configENS1_38merge_sort_block_merge_config_selectorItNS0_10empty_typeEEEZZNS1_27merge_sort_block_merge_implIS3_PtPS5_jNS1_19radix_merge_compareILb1ELb1EtNS0_19identity_decomposerEEEEE10hipError_tT0_T1_T2_jT3_P12ihipStream_tbPNSt15iterator_traitsISE_E10value_typeEPNSK_ISF_E10value_typeEPSG_NS1_7vsmem_tEENKUlT_SE_SF_SG_E_clIS8_S8_S9_S9_EESD_ST_SE_SF_SG_EUlST_E_NS1_11comp_targetILNS1_3genE9ELNS1_11target_archE1100ELNS1_3gpuE3ELNS1_3repE0EEENS1_48merge_mergepath_partition_config_static_selectorELNS0_4arch9wavefront6targetE0EEEvSF_.uses_flat_scratch, 0
	.set _ZN7rocprim17ROCPRIM_400000_NS6detail17trampoline_kernelINS0_14default_configENS1_38merge_sort_block_merge_config_selectorItNS0_10empty_typeEEEZZNS1_27merge_sort_block_merge_implIS3_PtPS5_jNS1_19radix_merge_compareILb1ELb1EtNS0_19identity_decomposerEEEEE10hipError_tT0_T1_T2_jT3_P12ihipStream_tbPNSt15iterator_traitsISE_E10value_typeEPNSK_ISF_E10value_typeEPSG_NS1_7vsmem_tEENKUlT_SE_SF_SG_E_clIS8_S8_S9_S9_EESD_ST_SE_SF_SG_EUlST_E_NS1_11comp_targetILNS1_3genE9ELNS1_11target_archE1100ELNS1_3gpuE3ELNS1_3repE0EEENS1_48merge_mergepath_partition_config_static_selectorELNS0_4arch9wavefront6targetE0EEEvSF_.has_dyn_sized_stack, 0
	.set _ZN7rocprim17ROCPRIM_400000_NS6detail17trampoline_kernelINS0_14default_configENS1_38merge_sort_block_merge_config_selectorItNS0_10empty_typeEEEZZNS1_27merge_sort_block_merge_implIS3_PtPS5_jNS1_19radix_merge_compareILb1ELb1EtNS0_19identity_decomposerEEEEE10hipError_tT0_T1_T2_jT3_P12ihipStream_tbPNSt15iterator_traitsISE_E10value_typeEPNSK_ISF_E10value_typeEPSG_NS1_7vsmem_tEENKUlT_SE_SF_SG_E_clIS8_S8_S9_S9_EESD_ST_SE_SF_SG_EUlST_E_NS1_11comp_targetILNS1_3genE9ELNS1_11target_archE1100ELNS1_3gpuE3ELNS1_3repE0EEENS1_48merge_mergepath_partition_config_static_selectorELNS0_4arch9wavefront6targetE0EEEvSF_.has_recursion, 0
	.set _ZN7rocprim17ROCPRIM_400000_NS6detail17trampoline_kernelINS0_14default_configENS1_38merge_sort_block_merge_config_selectorItNS0_10empty_typeEEEZZNS1_27merge_sort_block_merge_implIS3_PtPS5_jNS1_19radix_merge_compareILb1ELb1EtNS0_19identity_decomposerEEEEE10hipError_tT0_T1_T2_jT3_P12ihipStream_tbPNSt15iterator_traitsISE_E10value_typeEPNSK_ISF_E10value_typeEPSG_NS1_7vsmem_tEENKUlT_SE_SF_SG_E_clIS8_S8_S9_S9_EESD_ST_SE_SF_SG_EUlST_E_NS1_11comp_targetILNS1_3genE9ELNS1_11target_archE1100ELNS1_3gpuE3ELNS1_3repE0EEENS1_48merge_mergepath_partition_config_static_selectorELNS0_4arch9wavefront6targetE0EEEvSF_.has_indirect_call, 0
	.section	.AMDGPU.csdata,"",@progbits
; Kernel info:
; codeLenInByte = 0
; TotalNumSgprs: 0
; NumVgprs: 0
; ScratchSize: 0
; MemoryBound: 0
; FloatMode: 240
; IeeeMode: 1
; LDSByteSize: 0 bytes/workgroup (compile time only)
; SGPRBlocks: 0
; VGPRBlocks: 0
; NumSGPRsForWavesPerEU: 1
; NumVGPRsForWavesPerEU: 1
; NamedBarCnt: 0
; Occupancy: 16
; WaveLimiterHint : 0
; COMPUTE_PGM_RSRC2:SCRATCH_EN: 0
; COMPUTE_PGM_RSRC2:USER_SGPR: 2
; COMPUTE_PGM_RSRC2:TRAP_HANDLER: 0
; COMPUTE_PGM_RSRC2:TGID_X_EN: 1
; COMPUTE_PGM_RSRC2:TGID_Y_EN: 0
; COMPUTE_PGM_RSRC2:TGID_Z_EN: 0
; COMPUTE_PGM_RSRC2:TIDIG_COMP_CNT: 0
	.section	.text._ZN7rocprim17ROCPRIM_400000_NS6detail17trampoline_kernelINS0_14default_configENS1_38merge_sort_block_merge_config_selectorItNS0_10empty_typeEEEZZNS1_27merge_sort_block_merge_implIS3_PtPS5_jNS1_19radix_merge_compareILb1ELb1EtNS0_19identity_decomposerEEEEE10hipError_tT0_T1_T2_jT3_P12ihipStream_tbPNSt15iterator_traitsISE_E10value_typeEPNSK_ISF_E10value_typeEPSG_NS1_7vsmem_tEENKUlT_SE_SF_SG_E_clIS8_S8_S9_S9_EESD_ST_SE_SF_SG_EUlST_E_NS1_11comp_targetILNS1_3genE8ELNS1_11target_archE1030ELNS1_3gpuE2ELNS1_3repE0EEENS1_48merge_mergepath_partition_config_static_selectorELNS0_4arch9wavefront6targetE0EEEvSF_,"axG",@progbits,_ZN7rocprim17ROCPRIM_400000_NS6detail17trampoline_kernelINS0_14default_configENS1_38merge_sort_block_merge_config_selectorItNS0_10empty_typeEEEZZNS1_27merge_sort_block_merge_implIS3_PtPS5_jNS1_19radix_merge_compareILb1ELb1EtNS0_19identity_decomposerEEEEE10hipError_tT0_T1_T2_jT3_P12ihipStream_tbPNSt15iterator_traitsISE_E10value_typeEPNSK_ISF_E10value_typeEPSG_NS1_7vsmem_tEENKUlT_SE_SF_SG_E_clIS8_S8_S9_S9_EESD_ST_SE_SF_SG_EUlST_E_NS1_11comp_targetILNS1_3genE8ELNS1_11target_archE1030ELNS1_3gpuE2ELNS1_3repE0EEENS1_48merge_mergepath_partition_config_static_selectorELNS0_4arch9wavefront6targetE0EEEvSF_,comdat
	.protected	_ZN7rocprim17ROCPRIM_400000_NS6detail17trampoline_kernelINS0_14default_configENS1_38merge_sort_block_merge_config_selectorItNS0_10empty_typeEEEZZNS1_27merge_sort_block_merge_implIS3_PtPS5_jNS1_19radix_merge_compareILb1ELb1EtNS0_19identity_decomposerEEEEE10hipError_tT0_T1_T2_jT3_P12ihipStream_tbPNSt15iterator_traitsISE_E10value_typeEPNSK_ISF_E10value_typeEPSG_NS1_7vsmem_tEENKUlT_SE_SF_SG_E_clIS8_S8_S9_S9_EESD_ST_SE_SF_SG_EUlST_E_NS1_11comp_targetILNS1_3genE8ELNS1_11target_archE1030ELNS1_3gpuE2ELNS1_3repE0EEENS1_48merge_mergepath_partition_config_static_selectorELNS0_4arch9wavefront6targetE0EEEvSF_ ; -- Begin function _ZN7rocprim17ROCPRIM_400000_NS6detail17trampoline_kernelINS0_14default_configENS1_38merge_sort_block_merge_config_selectorItNS0_10empty_typeEEEZZNS1_27merge_sort_block_merge_implIS3_PtPS5_jNS1_19radix_merge_compareILb1ELb1EtNS0_19identity_decomposerEEEEE10hipError_tT0_T1_T2_jT3_P12ihipStream_tbPNSt15iterator_traitsISE_E10value_typeEPNSK_ISF_E10value_typeEPSG_NS1_7vsmem_tEENKUlT_SE_SF_SG_E_clIS8_S8_S9_S9_EESD_ST_SE_SF_SG_EUlST_E_NS1_11comp_targetILNS1_3genE8ELNS1_11target_archE1030ELNS1_3gpuE2ELNS1_3repE0EEENS1_48merge_mergepath_partition_config_static_selectorELNS0_4arch9wavefront6targetE0EEEvSF_
	.globl	_ZN7rocprim17ROCPRIM_400000_NS6detail17trampoline_kernelINS0_14default_configENS1_38merge_sort_block_merge_config_selectorItNS0_10empty_typeEEEZZNS1_27merge_sort_block_merge_implIS3_PtPS5_jNS1_19radix_merge_compareILb1ELb1EtNS0_19identity_decomposerEEEEE10hipError_tT0_T1_T2_jT3_P12ihipStream_tbPNSt15iterator_traitsISE_E10value_typeEPNSK_ISF_E10value_typeEPSG_NS1_7vsmem_tEENKUlT_SE_SF_SG_E_clIS8_S8_S9_S9_EESD_ST_SE_SF_SG_EUlST_E_NS1_11comp_targetILNS1_3genE8ELNS1_11target_archE1030ELNS1_3gpuE2ELNS1_3repE0EEENS1_48merge_mergepath_partition_config_static_selectorELNS0_4arch9wavefront6targetE0EEEvSF_
	.p2align	8
	.type	_ZN7rocprim17ROCPRIM_400000_NS6detail17trampoline_kernelINS0_14default_configENS1_38merge_sort_block_merge_config_selectorItNS0_10empty_typeEEEZZNS1_27merge_sort_block_merge_implIS3_PtPS5_jNS1_19radix_merge_compareILb1ELb1EtNS0_19identity_decomposerEEEEE10hipError_tT0_T1_T2_jT3_P12ihipStream_tbPNSt15iterator_traitsISE_E10value_typeEPNSK_ISF_E10value_typeEPSG_NS1_7vsmem_tEENKUlT_SE_SF_SG_E_clIS8_S8_S9_S9_EESD_ST_SE_SF_SG_EUlST_E_NS1_11comp_targetILNS1_3genE8ELNS1_11target_archE1030ELNS1_3gpuE2ELNS1_3repE0EEENS1_48merge_mergepath_partition_config_static_selectorELNS0_4arch9wavefront6targetE0EEEvSF_,@function
_ZN7rocprim17ROCPRIM_400000_NS6detail17trampoline_kernelINS0_14default_configENS1_38merge_sort_block_merge_config_selectorItNS0_10empty_typeEEEZZNS1_27merge_sort_block_merge_implIS3_PtPS5_jNS1_19radix_merge_compareILb1ELb1EtNS0_19identity_decomposerEEEEE10hipError_tT0_T1_T2_jT3_P12ihipStream_tbPNSt15iterator_traitsISE_E10value_typeEPNSK_ISF_E10value_typeEPSG_NS1_7vsmem_tEENKUlT_SE_SF_SG_E_clIS8_S8_S9_S9_EESD_ST_SE_SF_SG_EUlST_E_NS1_11comp_targetILNS1_3genE8ELNS1_11target_archE1030ELNS1_3gpuE2ELNS1_3repE0EEENS1_48merge_mergepath_partition_config_static_selectorELNS0_4arch9wavefront6targetE0EEEvSF_: ; @_ZN7rocprim17ROCPRIM_400000_NS6detail17trampoline_kernelINS0_14default_configENS1_38merge_sort_block_merge_config_selectorItNS0_10empty_typeEEEZZNS1_27merge_sort_block_merge_implIS3_PtPS5_jNS1_19radix_merge_compareILb1ELb1EtNS0_19identity_decomposerEEEEE10hipError_tT0_T1_T2_jT3_P12ihipStream_tbPNSt15iterator_traitsISE_E10value_typeEPNSK_ISF_E10value_typeEPSG_NS1_7vsmem_tEENKUlT_SE_SF_SG_E_clIS8_S8_S9_S9_EESD_ST_SE_SF_SG_EUlST_E_NS1_11comp_targetILNS1_3genE8ELNS1_11target_archE1030ELNS1_3gpuE2ELNS1_3repE0EEENS1_48merge_mergepath_partition_config_static_selectorELNS0_4arch9wavefront6targetE0EEEvSF_
; %bb.0:
	.section	.rodata,"a",@progbits
	.p2align	6, 0x0
	.amdhsa_kernel _ZN7rocprim17ROCPRIM_400000_NS6detail17trampoline_kernelINS0_14default_configENS1_38merge_sort_block_merge_config_selectorItNS0_10empty_typeEEEZZNS1_27merge_sort_block_merge_implIS3_PtPS5_jNS1_19radix_merge_compareILb1ELb1EtNS0_19identity_decomposerEEEEE10hipError_tT0_T1_T2_jT3_P12ihipStream_tbPNSt15iterator_traitsISE_E10value_typeEPNSK_ISF_E10value_typeEPSG_NS1_7vsmem_tEENKUlT_SE_SF_SG_E_clIS8_S8_S9_S9_EESD_ST_SE_SF_SG_EUlST_E_NS1_11comp_targetILNS1_3genE8ELNS1_11target_archE1030ELNS1_3gpuE2ELNS1_3repE0EEENS1_48merge_mergepath_partition_config_static_selectorELNS0_4arch9wavefront6targetE0EEEvSF_
		.amdhsa_group_segment_fixed_size 0
		.amdhsa_private_segment_fixed_size 0
		.amdhsa_kernarg_size 40
		.amdhsa_user_sgpr_count 2
		.amdhsa_user_sgpr_dispatch_ptr 0
		.amdhsa_user_sgpr_queue_ptr 0
		.amdhsa_user_sgpr_kernarg_segment_ptr 1
		.amdhsa_user_sgpr_dispatch_id 0
		.amdhsa_user_sgpr_kernarg_preload_length 0
		.amdhsa_user_sgpr_kernarg_preload_offset 0
		.amdhsa_user_sgpr_private_segment_size 0
		.amdhsa_wavefront_size32 1
		.amdhsa_uses_dynamic_stack 0
		.amdhsa_enable_private_segment 0
		.amdhsa_system_sgpr_workgroup_id_x 1
		.amdhsa_system_sgpr_workgroup_id_y 0
		.amdhsa_system_sgpr_workgroup_id_z 0
		.amdhsa_system_sgpr_workgroup_info 0
		.amdhsa_system_vgpr_workitem_id 0
		.amdhsa_next_free_vgpr 1
		.amdhsa_next_free_sgpr 1
		.amdhsa_named_barrier_count 0
		.amdhsa_reserve_vcc 0
		.amdhsa_float_round_mode_32 0
		.amdhsa_float_round_mode_16_64 0
		.amdhsa_float_denorm_mode_32 3
		.amdhsa_float_denorm_mode_16_64 3
		.amdhsa_fp16_overflow 0
		.amdhsa_memory_ordered 1
		.amdhsa_forward_progress 1
		.amdhsa_inst_pref_size 0
		.amdhsa_round_robin_scheduling 0
		.amdhsa_exception_fp_ieee_invalid_op 0
		.amdhsa_exception_fp_denorm_src 0
		.amdhsa_exception_fp_ieee_div_zero 0
		.amdhsa_exception_fp_ieee_overflow 0
		.amdhsa_exception_fp_ieee_underflow 0
		.amdhsa_exception_fp_ieee_inexact 0
		.amdhsa_exception_int_div_zero 0
	.end_amdhsa_kernel
	.section	.text._ZN7rocprim17ROCPRIM_400000_NS6detail17trampoline_kernelINS0_14default_configENS1_38merge_sort_block_merge_config_selectorItNS0_10empty_typeEEEZZNS1_27merge_sort_block_merge_implIS3_PtPS5_jNS1_19radix_merge_compareILb1ELb1EtNS0_19identity_decomposerEEEEE10hipError_tT0_T1_T2_jT3_P12ihipStream_tbPNSt15iterator_traitsISE_E10value_typeEPNSK_ISF_E10value_typeEPSG_NS1_7vsmem_tEENKUlT_SE_SF_SG_E_clIS8_S8_S9_S9_EESD_ST_SE_SF_SG_EUlST_E_NS1_11comp_targetILNS1_3genE8ELNS1_11target_archE1030ELNS1_3gpuE2ELNS1_3repE0EEENS1_48merge_mergepath_partition_config_static_selectorELNS0_4arch9wavefront6targetE0EEEvSF_,"axG",@progbits,_ZN7rocprim17ROCPRIM_400000_NS6detail17trampoline_kernelINS0_14default_configENS1_38merge_sort_block_merge_config_selectorItNS0_10empty_typeEEEZZNS1_27merge_sort_block_merge_implIS3_PtPS5_jNS1_19radix_merge_compareILb1ELb1EtNS0_19identity_decomposerEEEEE10hipError_tT0_T1_T2_jT3_P12ihipStream_tbPNSt15iterator_traitsISE_E10value_typeEPNSK_ISF_E10value_typeEPSG_NS1_7vsmem_tEENKUlT_SE_SF_SG_E_clIS8_S8_S9_S9_EESD_ST_SE_SF_SG_EUlST_E_NS1_11comp_targetILNS1_3genE8ELNS1_11target_archE1030ELNS1_3gpuE2ELNS1_3repE0EEENS1_48merge_mergepath_partition_config_static_selectorELNS0_4arch9wavefront6targetE0EEEvSF_,comdat
.Lfunc_end2343:
	.size	_ZN7rocprim17ROCPRIM_400000_NS6detail17trampoline_kernelINS0_14default_configENS1_38merge_sort_block_merge_config_selectorItNS0_10empty_typeEEEZZNS1_27merge_sort_block_merge_implIS3_PtPS5_jNS1_19radix_merge_compareILb1ELb1EtNS0_19identity_decomposerEEEEE10hipError_tT0_T1_T2_jT3_P12ihipStream_tbPNSt15iterator_traitsISE_E10value_typeEPNSK_ISF_E10value_typeEPSG_NS1_7vsmem_tEENKUlT_SE_SF_SG_E_clIS8_S8_S9_S9_EESD_ST_SE_SF_SG_EUlST_E_NS1_11comp_targetILNS1_3genE8ELNS1_11target_archE1030ELNS1_3gpuE2ELNS1_3repE0EEENS1_48merge_mergepath_partition_config_static_selectorELNS0_4arch9wavefront6targetE0EEEvSF_, .Lfunc_end2343-_ZN7rocprim17ROCPRIM_400000_NS6detail17trampoline_kernelINS0_14default_configENS1_38merge_sort_block_merge_config_selectorItNS0_10empty_typeEEEZZNS1_27merge_sort_block_merge_implIS3_PtPS5_jNS1_19radix_merge_compareILb1ELb1EtNS0_19identity_decomposerEEEEE10hipError_tT0_T1_T2_jT3_P12ihipStream_tbPNSt15iterator_traitsISE_E10value_typeEPNSK_ISF_E10value_typeEPSG_NS1_7vsmem_tEENKUlT_SE_SF_SG_E_clIS8_S8_S9_S9_EESD_ST_SE_SF_SG_EUlST_E_NS1_11comp_targetILNS1_3genE8ELNS1_11target_archE1030ELNS1_3gpuE2ELNS1_3repE0EEENS1_48merge_mergepath_partition_config_static_selectorELNS0_4arch9wavefront6targetE0EEEvSF_
                                        ; -- End function
	.set _ZN7rocprim17ROCPRIM_400000_NS6detail17trampoline_kernelINS0_14default_configENS1_38merge_sort_block_merge_config_selectorItNS0_10empty_typeEEEZZNS1_27merge_sort_block_merge_implIS3_PtPS5_jNS1_19radix_merge_compareILb1ELb1EtNS0_19identity_decomposerEEEEE10hipError_tT0_T1_T2_jT3_P12ihipStream_tbPNSt15iterator_traitsISE_E10value_typeEPNSK_ISF_E10value_typeEPSG_NS1_7vsmem_tEENKUlT_SE_SF_SG_E_clIS8_S8_S9_S9_EESD_ST_SE_SF_SG_EUlST_E_NS1_11comp_targetILNS1_3genE8ELNS1_11target_archE1030ELNS1_3gpuE2ELNS1_3repE0EEENS1_48merge_mergepath_partition_config_static_selectorELNS0_4arch9wavefront6targetE0EEEvSF_.num_vgpr, 0
	.set _ZN7rocprim17ROCPRIM_400000_NS6detail17trampoline_kernelINS0_14default_configENS1_38merge_sort_block_merge_config_selectorItNS0_10empty_typeEEEZZNS1_27merge_sort_block_merge_implIS3_PtPS5_jNS1_19radix_merge_compareILb1ELb1EtNS0_19identity_decomposerEEEEE10hipError_tT0_T1_T2_jT3_P12ihipStream_tbPNSt15iterator_traitsISE_E10value_typeEPNSK_ISF_E10value_typeEPSG_NS1_7vsmem_tEENKUlT_SE_SF_SG_E_clIS8_S8_S9_S9_EESD_ST_SE_SF_SG_EUlST_E_NS1_11comp_targetILNS1_3genE8ELNS1_11target_archE1030ELNS1_3gpuE2ELNS1_3repE0EEENS1_48merge_mergepath_partition_config_static_selectorELNS0_4arch9wavefront6targetE0EEEvSF_.num_agpr, 0
	.set _ZN7rocprim17ROCPRIM_400000_NS6detail17trampoline_kernelINS0_14default_configENS1_38merge_sort_block_merge_config_selectorItNS0_10empty_typeEEEZZNS1_27merge_sort_block_merge_implIS3_PtPS5_jNS1_19radix_merge_compareILb1ELb1EtNS0_19identity_decomposerEEEEE10hipError_tT0_T1_T2_jT3_P12ihipStream_tbPNSt15iterator_traitsISE_E10value_typeEPNSK_ISF_E10value_typeEPSG_NS1_7vsmem_tEENKUlT_SE_SF_SG_E_clIS8_S8_S9_S9_EESD_ST_SE_SF_SG_EUlST_E_NS1_11comp_targetILNS1_3genE8ELNS1_11target_archE1030ELNS1_3gpuE2ELNS1_3repE0EEENS1_48merge_mergepath_partition_config_static_selectorELNS0_4arch9wavefront6targetE0EEEvSF_.numbered_sgpr, 0
	.set _ZN7rocprim17ROCPRIM_400000_NS6detail17trampoline_kernelINS0_14default_configENS1_38merge_sort_block_merge_config_selectorItNS0_10empty_typeEEEZZNS1_27merge_sort_block_merge_implIS3_PtPS5_jNS1_19radix_merge_compareILb1ELb1EtNS0_19identity_decomposerEEEEE10hipError_tT0_T1_T2_jT3_P12ihipStream_tbPNSt15iterator_traitsISE_E10value_typeEPNSK_ISF_E10value_typeEPSG_NS1_7vsmem_tEENKUlT_SE_SF_SG_E_clIS8_S8_S9_S9_EESD_ST_SE_SF_SG_EUlST_E_NS1_11comp_targetILNS1_3genE8ELNS1_11target_archE1030ELNS1_3gpuE2ELNS1_3repE0EEENS1_48merge_mergepath_partition_config_static_selectorELNS0_4arch9wavefront6targetE0EEEvSF_.num_named_barrier, 0
	.set _ZN7rocprim17ROCPRIM_400000_NS6detail17trampoline_kernelINS0_14default_configENS1_38merge_sort_block_merge_config_selectorItNS0_10empty_typeEEEZZNS1_27merge_sort_block_merge_implIS3_PtPS5_jNS1_19radix_merge_compareILb1ELb1EtNS0_19identity_decomposerEEEEE10hipError_tT0_T1_T2_jT3_P12ihipStream_tbPNSt15iterator_traitsISE_E10value_typeEPNSK_ISF_E10value_typeEPSG_NS1_7vsmem_tEENKUlT_SE_SF_SG_E_clIS8_S8_S9_S9_EESD_ST_SE_SF_SG_EUlST_E_NS1_11comp_targetILNS1_3genE8ELNS1_11target_archE1030ELNS1_3gpuE2ELNS1_3repE0EEENS1_48merge_mergepath_partition_config_static_selectorELNS0_4arch9wavefront6targetE0EEEvSF_.private_seg_size, 0
	.set _ZN7rocprim17ROCPRIM_400000_NS6detail17trampoline_kernelINS0_14default_configENS1_38merge_sort_block_merge_config_selectorItNS0_10empty_typeEEEZZNS1_27merge_sort_block_merge_implIS3_PtPS5_jNS1_19radix_merge_compareILb1ELb1EtNS0_19identity_decomposerEEEEE10hipError_tT0_T1_T2_jT3_P12ihipStream_tbPNSt15iterator_traitsISE_E10value_typeEPNSK_ISF_E10value_typeEPSG_NS1_7vsmem_tEENKUlT_SE_SF_SG_E_clIS8_S8_S9_S9_EESD_ST_SE_SF_SG_EUlST_E_NS1_11comp_targetILNS1_3genE8ELNS1_11target_archE1030ELNS1_3gpuE2ELNS1_3repE0EEENS1_48merge_mergepath_partition_config_static_selectorELNS0_4arch9wavefront6targetE0EEEvSF_.uses_vcc, 0
	.set _ZN7rocprim17ROCPRIM_400000_NS6detail17trampoline_kernelINS0_14default_configENS1_38merge_sort_block_merge_config_selectorItNS0_10empty_typeEEEZZNS1_27merge_sort_block_merge_implIS3_PtPS5_jNS1_19radix_merge_compareILb1ELb1EtNS0_19identity_decomposerEEEEE10hipError_tT0_T1_T2_jT3_P12ihipStream_tbPNSt15iterator_traitsISE_E10value_typeEPNSK_ISF_E10value_typeEPSG_NS1_7vsmem_tEENKUlT_SE_SF_SG_E_clIS8_S8_S9_S9_EESD_ST_SE_SF_SG_EUlST_E_NS1_11comp_targetILNS1_3genE8ELNS1_11target_archE1030ELNS1_3gpuE2ELNS1_3repE0EEENS1_48merge_mergepath_partition_config_static_selectorELNS0_4arch9wavefront6targetE0EEEvSF_.uses_flat_scratch, 0
	.set _ZN7rocprim17ROCPRIM_400000_NS6detail17trampoline_kernelINS0_14default_configENS1_38merge_sort_block_merge_config_selectorItNS0_10empty_typeEEEZZNS1_27merge_sort_block_merge_implIS3_PtPS5_jNS1_19radix_merge_compareILb1ELb1EtNS0_19identity_decomposerEEEEE10hipError_tT0_T1_T2_jT3_P12ihipStream_tbPNSt15iterator_traitsISE_E10value_typeEPNSK_ISF_E10value_typeEPSG_NS1_7vsmem_tEENKUlT_SE_SF_SG_E_clIS8_S8_S9_S9_EESD_ST_SE_SF_SG_EUlST_E_NS1_11comp_targetILNS1_3genE8ELNS1_11target_archE1030ELNS1_3gpuE2ELNS1_3repE0EEENS1_48merge_mergepath_partition_config_static_selectorELNS0_4arch9wavefront6targetE0EEEvSF_.has_dyn_sized_stack, 0
	.set _ZN7rocprim17ROCPRIM_400000_NS6detail17trampoline_kernelINS0_14default_configENS1_38merge_sort_block_merge_config_selectorItNS0_10empty_typeEEEZZNS1_27merge_sort_block_merge_implIS3_PtPS5_jNS1_19radix_merge_compareILb1ELb1EtNS0_19identity_decomposerEEEEE10hipError_tT0_T1_T2_jT3_P12ihipStream_tbPNSt15iterator_traitsISE_E10value_typeEPNSK_ISF_E10value_typeEPSG_NS1_7vsmem_tEENKUlT_SE_SF_SG_E_clIS8_S8_S9_S9_EESD_ST_SE_SF_SG_EUlST_E_NS1_11comp_targetILNS1_3genE8ELNS1_11target_archE1030ELNS1_3gpuE2ELNS1_3repE0EEENS1_48merge_mergepath_partition_config_static_selectorELNS0_4arch9wavefront6targetE0EEEvSF_.has_recursion, 0
	.set _ZN7rocprim17ROCPRIM_400000_NS6detail17trampoline_kernelINS0_14default_configENS1_38merge_sort_block_merge_config_selectorItNS0_10empty_typeEEEZZNS1_27merge_sort_block_merge_implIS3_PtPS5_jNS1_19radix_merge_compareILb1ELb1EtNS0_19identity_decomposerEEEEE10hipError_tT0_T1_T2_jT3_P12ihipStream_tbPNSt15iterator_traitsISE_E10value_typeEPNSK_ISF_E10value_typeEPSG_NS1_7vsmem_tEENKUlT_SE_SF_SG_E_clIS8_S8_S9_S9_EESD_ST_SE_SF_SG_EUlST_E_NS1_11comp_targetILNS1_3genE8ELNS1_11target_archE1030ELNS1_3gpuE2ELNS1_3repE0EEENS1_48merge_mergepath_partition_config_static_selectorELNS0_4arch9wavefront6targetE0EEEvSF_.has_indirect_call, 0
	.section	.AMDGPU.csdata,"",@progbits
; Kernel info:
; codeLenInByte = 0
; TotalNumSgprs: 0
; NumVgprs: 0
; ScratchSize: 0
; MemoryBound: 0
; FloatMode: 240
; IeeeMode: 1
; LDSByteSize: 0 bytes/workgroup (compile time only)
; SGPRBlocks: 0
; VGPRBlocks: 0
; NumSGPRsForWavesPerEU: 1
; NumVGPRsForWavesPerEU: 1
; NamedBarCnt: 0
; Occupancy: 16
; WaveLimiterHint : 0
; COMPUTE_PGM_RSRC2:SCRATCH_EN: 0
; COMPUTE_PGM_RSRC2:USER_SGPR: 2
; COMPUTE_PGM_RSRC2:TRAP_HANDLER: 0
; COMPUTE_PGM_RSRC2:TGID_X_EN: 1
; COMPUTE_PGM_RSRC2:TGID_Y_EN: 0
; COMPUTE_PGM_RSRC2:TGID_Z_EN: 0
; COMPUTE_PGM_RSRC2:TIDIG_COMP_CNT: 0
	.section	.text._ZN7rocprim17ROCPRIM_400000_NS6detail17trampoline_kernelINS0_14default_configENS1_38merge_sort_block_merge_config_selectorItNS0_10empty_typeEEEZZNS1_27merge_sort_block_merge_implIS3_PtPS5_jNS1_19radix_merge_compareILb1ELb1EtNS0_19identity_decomposerEEEEE10hipError_tT0_T1_T2_jT3_P12ihipStream_tbPNSt15iterator_traitsISE_E10value_typeEPNSK_ISF_E10value_typeEPSG_NS1_7vsmem_tEENKUlT_SE_SF_SG_E_clIS8_S8_S9_S9_EESD_ST_SE_SF_SG_EUlST_E0_NS1_11comp_targetILNS1_3genE0ELNS1_11target_archE4294967295ELNS1_3gpuE0ELNS1_3repE0EEENS1_38merge_mergepath_config_static_selectorELNS0_4arch9wavefront6targetE0EEEvSF_,"axG",@progbits,_ZN7rocprim17ROCPRIM_400000_NS6detail17trampoline_kernelINS0_14default_configENS1_38merge_sort_block_merge_config_selectorItNS0_10empty_typeEEEZZNS1_27merge_sort_block_merge_implIS3_PtPS5_jNS1_19radix_merge_compareILb1ELb1EtNS0_19identity_decomposerEEEEE10hipError_tT0_T1_T2_jT3_P12ihipStream_tbPNSt15iterator_traitsISE_E10value_typeEPNSK_ISF_E10value_typeEPSG_NS1_7vsmem_tEENKUlT_SE_SF_SG_E_clIS8_S8_S9_S9_EESD_ST_SE_SF_SG_EUlST_E0_NS1_11comp_targetILNS1_3genE0ELNS1_11target_archE4294967295ELNS1_3gpuE0ELNS1_3repE0EEENS1_38merge_mergepath_config_static_selectorELNS0_4arch9wavefront6targetE0EEEvSF_,comdat
	.protected	_ZN7rocprim17ROCPRIM_400000_NS6detail17trampoline_kernelINS0_14default_configENS1_38merge_sort_block_merge_config_selectorItNS0_10empty_typeEEEZZNS1_27merge_sort_block_merge_implIS3_PtPS5_jNS1_19radix_merge_compareILb1ELb1EtNS0_19identity_decomposerEEEEE10hipError_tT0_T1_T2_jT3_P12ihipStream_tbPNSt15iterator_traitsISE_E10value_typeEPNSK_ISF_E10value_typeEPSG_NS1_7vsmem_tEENKUlT_SE_SF_SG_E_clIS8_S8_S9_S9_EESD_ST_SE_SF_SG_EUlST_E0_NS1_11comp_targetILNS1_3genE0ELNS1_11target_archE4294967295ELNS1_3gpuE0ELNS1_3repE0EEENS1_38merge_mergepath_config_static_selectorELNS0_4arch9wavefront6targetE0EEEvSF_ ; -- Begin function _ZN7rocprim17ROCPRIM_400000_NS6detail17trampoline_kernelINS0_14default_configENS1_38merge_sort_block_merge_config_selectorItNS0_10empty_typeEEEZZNS1_27merge_sort_block_merge_implIS3_PtPS5_jNS1_19radix_merge_compareILb1ELb1EtNS0_19identity_decomposerEEEEE10hipError_tT0_T1_T2_jT3_P12ihipStream_tbPNSt15iterator_traitsISE_E10value_typeEPNSK_ISF_E10value_typeEPSG_NS1_7vsmem_tEENKUlT_SE_SF_SG_E_clIS8_S8_S9_S9_EESD_ST_SE_SF_SG_EUlST_E0_NS1_11comp_targetILNS1_3genE0ELNS1_11target_archE4294967295ELNS1_3gpuE0ELNS1_3repE0EEENS1_38merge_mergepath_config_static_selectorELNS0_4arch9wavefront6targetE0EEEvSF_
	.globl	_ZN7rocprim17ROCPRIM_400000_NS6detail17trampoline_kernelINS0_14default_configENS1_38merge_sort_block_merge_config_selectorItNS0_10empty_typeEEEZZNS1_27merge_sort_block_merge_implIS3_PtPS5_jNS1_19radix_merge_compareILb1ELb1EtNS0_19identity_decomposerEEEEE10hipError_tT0_T1_T2_jT3_P12ihipStream_tbPNSt15iterator_traitsISE_E10value_typeEPNSK_ISF_E10value_typeEPSG_NS1_7vsmem_tEENKUlT_SE_SF_SG_E_clIS8_S8_S9_S9_EESD_ST_SE_SF_SG_EUlST_E0_NS1_11comp_targetILNS1_3genE0ELNS1_11target_archE4294967295ELNS1_3gpuE0ELNS1_3repE0EEENS1_38merge_mergepath_config_static_selectorELNS0_4arch9wavefront6targetE0EEEvSF_
	.p2align	8
	.type	_ZN7rocprim17ROCPRIM_400000_NS6detail17trampoline_kernelINS0_14default_configENS1_38merge_sort_block_merge_config_selectorItNS0_10empty_typeEEEZZNS1_27merge_sort_block_merge_implIS3_PtPS5_jNS1_19radix_merge_compareILb1ELb1EtNS0_19identity_decomposerEEEEE10hipError_tT0_T1_T2_jT3_P12ihipStream_tbPNSt15iterator_traitsISE_E10value_typeEPNSK_ISF_E10value_typeEPSG_NS1_7vsmem_tEENKUlT_SE_SF_SG_E_clIS8_S8_S9_S9_EESD_ST_SE_SF_SG_EUlST_E0_NS1_11comp_targetILNS1_3genE0ELNS1_11target_archE4294967295ELNS1_3gpuE0ELNS1_3repE0EEENS1_38merge_mergepath_config_static_selectorELNS0_4arch9wavefront6targetE0EEEvSF_,@function
_ZN7rocprim17ROCPRIM_400000_NS6detail17trampoline_kernelINS0_14default_configENS1_38merge_sort_block_merge_config_selectorItNS0_10empty_typeEEEZZNS1_27merge_sort_block_merge_implIS3_PtPS5_jNS1_19radix_merge_compareILb1ELb1EtNS0_19identity_decomposerEEEEE10hipError_tT0_T1_T2_jT3_P12ihipStream_tbPNSt15iterator_traitsISE_E10value_typeEPNSK_ISF_E10value_typeEPSG_NS1_7vsmem_tEENKUlT_SE_SF_SG_E_clIS8_S8_S9_S9_EESD_ST_SE_SF_SG_EUlST_E0_NS1_11comp_targetILNS1_3genE0ELNS1_11target_archE4294967295ELNS1_3gpuE0ELNS1_3repE0EEENS1_38merge_mergepath_config_static_selectorELNS0_4arch9wavefront6targetE0EEEvSF_: ; @_ZN7rocprim17ROCPRIM_400000_NS6detail17trampoline_kernelINS0_14default_configENS1_38merge_sort_block_merge_config_selectorItNS0_10empty_typeEEEZZNS1_27merge_sort_block_merge_implIS3_PtPS5_jNS1_19radix_merge_compareILb1ELb1EtNS0_19identity_decomposerEEEEE10hipError_tT0_T1_T2_jT3_P12ihipStream_tbPNSt15iterator_traitsISE_E10value_typeEPNSK_ISF_E10value_typeEPSG_NS1_7vsmem_tEENKUlT_SE_SF_SG_E_clIS8_S8_S9_S9_EESD_ST_SE_SF_SG_EUlST_E0_NS1_11comp_targetILNS1_3genE0ELNS1_11target_archE4294967295ELNS1_3gpuE0ELNS1_3repE0EEENS1_38merge_mergepath_config_static_selectorELNS0_4arch9wavefront6targetE0EEEvSF_
; %bb.0:
	s_bfe_u32 s2, ttmp6, 0x40010
	s_and_b32 s4, ttmp7, 0xffff
	s_add_co_i32 s5, s2, 1
	s_clause 0x1
	s_load_b32 s6, s[0:1], 0x30
	s_load_b64 s[2:3], s[0:1], 0x40
	s_bfe_u32 s8, ttmp6, 0x4000c
	s_mul_i32 s5, s4, s5
	s_bfe_u32 s7, ttmp6, 0x40004
	s_add_co_i32 s8, s8, 1
	s_bfe_u32 s9, ttmp6, 0x40014
	s_add_co_i32 s7, s7, s5
	s_and_b32 s5, ttmp6, 15
	s_mul_i32 s8, ttmp9, s8
	s_lshr_b32 s10, ttmp7, 16
	s_add_co_i32 s9, s9, 1
	s_add_co_i32 s5, s5, s8
	s_mul_i32 s8, s10, s9
	s_bfe_u32 s9, ttmp6, 0x40008
	s_getreg_b32 s11, hwreg(HW_REG_IB_STS2, 6, 4)
	s_add_co_i32 s9, s9, s8
	s_cmp_eq_u32 s11, 0
	s_cselect_b32 s8, s10, s9
	s_cselect_b32 s4, s4, s7
	s_wait_kmcnt 0x0
	s_mul_i32 s8, s3, s8
	s_cselect_b32 s3, ttmp9, s5
	s_add_co_i32 s4, s8, s4
	s_mov_b32 s5, 0
	s_mul_i32 s4, s4, s2
	s_delay_alu instid0(SALU_CYCLE_1) | instskip(NEXT) | instid1(SALU_CYCLE_1)
	s_add_co_i32 s4, s4, s3
	s_cmp_ge_u32 s4, s6
	s_cbranch_scc1 .LBB2344_43
; %bb.1:
	v_mov_b32_e32 v7, 0
	s_add_nc_u64 s[6:7], s[0:1], 64
	v_lshlrev_b32_e32 v6, 1, v0
	global_load_b32 v1, v7, s[6:7] offset:14
	s_clause 0x2
	s_load_b64 s[8:9], s[0:1], 0x28
	s_load_b64 s[10:11], s[0:1], 0x38
	;; [unrolled: 1-line block ×3, first 2 shown]
	s_wait_kmcnt 0x0
	s_lshr_b32 s22, s8, 10
	s_delay_alu instid0(SALU_CYCLE_1) | instskip(SKIP_2) | instid1(SALU_CYCLE_1)
	s_cmp_lg_u32 s4, s22
	s_cselect_b32 s14, -1, 0
	s_lshl_b64 s[12:13], s[4:5], 2
	s_add_nc_u64 s[10:11], s[10:11], s[12:13]
	s_load_b64 s[12:13], s[10:11], 0x0
	s_wait_xcnt 0x0
	s_lshr_b32 s10, s9, 9
	s_delay_alu instid0(SALU_CYCLE_1) | instskip(NEXT) | instid1(SALU_CYCLE_1)
	s_and_b32 s10, s10, 0x7ffffe
	s_sub_co_i32 s11, 0, s10
	s_lshl_b32 s10, s4, 10
	s_and_b32 s15, s4, s11
	s_or_b32 s11, s4, s11
	s_lshl_b32 s18, s15, 11
	s_lshl_b32 s15, s15, 10
	s_add_co_i32 s18, s18, s9
	s_sub_co_i32 s19, s10, s15
	s_sub_co_i32 s15, s18, s15
	s_add_co_i32 s18, s18, s19
	s_min_u32 s20, s8, s15
	s_add_co_i32 s15, s15, s9
	s_wait_kmcnt 0x0
	s_sub_co_i32 s9, s18, s12
	s_sub_co_i32 s19, s18, s13
	s_min_u32 s18, s8, s9
	s_add_co_i32 s9, s19, 0x400
	s_cmp_eq_u32 s11, -1
	s_mov_b32 s19, s5
	s_cselect_b32 s9, s15, s9
	s_cselect_b32 s11, s20, s13
	s_mov_b32 s13, s5
	s_min_u32 s15, s9, s8
	s_lshl_b64 s[20:21], s[18:19], 1
	s_sub_co_i32 s9, s11, s12
	s_lshl_b64 s[12:13], s[12:13], 1
	s_sub_co_i32 s15, s15, s18
	s_cmp_lt_u32 s3, s2
	s_mov_b32 s3, s5
	s_cselect_b32 s2, 12, 18
	s_add_nc_u64 s[12:13], s[16:17], s[12:13]
	s_add_nc_u64 s[2:3], s[6:7], s[2:3]
	s_cmp_eq_u32 s4, s22
	s_load_u16 s2, s[2:3], 0x0
	s_add_nc_u64 s[6:7], s[16:17], s[20:21]
	s_wait_loadcnt 0x0
	v_lshrrev_b32_e32 v2, 16, v1
	v_and_b32_e32 v1, 0xffff, v1
	s_delay_alu instid0(VALU_DEP_1) | instskip(SKIP_1) | instid1(VALU_DEP_1)
	v_mul_lo_u32 v1, v1, v2
	s_wait_kmcnt 0x0
	v_mul_lo_u32 v1, v1, s2
	s_mov_b32 s2, -1
	s_delay_alu instid0(VALU_DEP_1) | instskip(NEXT) | instid1(VALU_DEP_1)
	v_add_nc_u32_e32 v10, v1, v0
	v_add_nc_u32_e32 v8, v10, v1
	s_cbranch_scc1 .LBB2344_3
; %bb.2:
	v_sub_co_u32 v4, vcc_lo, v0, s9
	v_dual_mov_b32 v5, v7 :: v_dual_mov_b32 v11, v7
	v_add_nc_u64_e32 v[2:3], s[12:13], v[6:7]
	v_sub_co_u32 v14, s2, v10, s9
	s_delay_alu instid0(VALU_DEP_3) | instskip(SKIP_3) | instid1(VALU_DEP_4)
	v_lshl_add_u64 v[4:5], v[4:5], 1, s[6:7]
	v_dual_mov_b32 v15, v7 :: v_dual_mov_b32 v9, v7
	v_lshl_add_u64 v[12:13], v[10:11], 1, s[12:13]
	v_dual_mov_b32 v17, v7 :: v_dual_add_nc_u32 v18, v8, v1
	v_dual_cndmask_b32 v3, v5, v3 :: v_dual_cndmask_b32 v2, v4, v2
	s_delay_alu instid0(VALU_DEP_4)
	v_lshl_add_u64 v[4:5], v[14:15], 1, s[6:7]
	v_sub_co_u32 v16, vcc_lo, v8, s9
	v_mov_b32_e32 v19, v7
	v_lshl_add_u64 v[14:15], v[8:9], 1, s[12:13]
	global_load_u16 v9, v[2:3], off
	s_wait_xcnt 0x0
	v_dual_cndmask_b32 v3, v5, v13, s2 :: v_dual_cndmask_b32 v2, v4, v12, s2
	v_lshl_add_u64 v[4:5], v[16:17], 1, s[6:7]
	v_lshl_add_u64 v[12:13], v[18:19], 1, s[12:13]
	v_sub_co_u32 v16, s2, v18, s9
	v_add_nc_u32_e32 v18, v18, v1
	global_load_u16 v11, v[2:3], off
	s_wait_xcnt 0x0
	v_dual_cndmask_b32 v3, v5, v15 :: v_dual_cndmask_b32 v2, v4, v14
	v_lshl_add_u64 v[4:5], v[16:17], 1, s[6:7]
	v_lshl_add_u64 v[14:15], v[18:19], 1, s[12:13]
	v_sub_co_u32 v16, vcc_lo, v18, s9
	v_add_nc_u32_e32 v18, v18, v1
	global_load_u16 v26, v[2:3], off
	s_wait_xcnt 0x0
	v_dual_cndmask_b32 v3, v5, v13, s2 :: v_dual_mov_b32 v21, v7
	v_cndmask_b32_e64 v2, v4, v12, s2
	v_lshl_add_u64 v[4:5], v[16:17], 1, s[6:7]
	v_lshl_add_u64 v[12:13], v[18:19], 1, s[12:13]
	v_add_nc_u32_e32 v16, v18, v1
	v_sub_co_u32 v18, s2, v18, s9
	s_delay_alu instid0(VALU_DEP_4) | instskip(SKIP_1) | instid1(VALU_DEP_3)
	v_cndmask_b32_e32 v5, v5, v15, vcc_lo
	s_add_co_i32 s11, s15, s9
	v_lshl_add_u64 v[22:23], v[16:17], 1, s[12:13]
	s_delay_alu instid0(VALU_DEP_3) | instskip(SKIP_2) | instid1(VALU_DEP_3)
	v_lshl_add_u64 v[18:19], v[18:19], 1, s[6:7]
	v_add_nc_u32_e32 v20, v16, v1
	v_sub_co_u32 v16, s3, v16, s9
	v_dual_cndmask_b32 v4, v4, v14, vcc_lo :: v_dual_cndmask_b32 v13, v19, v13, s2
	s_delay_alu instid0(VALU_DEP_4) | instskip(NEXT) | instid1(VALU_DEP_4)
	v_cndmask_b32_e64 v12, v18, v12, s2
	v_lshl_add_u64 v[24:25], v[20:21], 1, s[12:13]
	v_sub_co_u32 v20, s4, v20, s9
	v_lshl_add_u64 v[16:17], v[16:17], 1, s[6:7]
	s_delay_alu instid0(VALU_DEP_2) | instskip(NEXT) | instid1(VALU_DEP_2)
	v_lshl_add_u64 v[14:15], v[20:21], 1, s[6:7]
	v_dual_cndmask_b32 v17, v17, v23, s3 :: v_dual_cndmask_b32 v16, v16, v22, s3
	s_delay_alu instid0(VALU_DEP_2)
	v_dual_cndmask_b32 v15, v15, v25, s4 :: v_dual_cndmask_b32 v14, v14, v24, s4
	global_load_u16 v7, v[2:3], off
	global_load_u16 v18, v[4:5], off
	;; [unrolled: 1-line block ×5, first 2 shown]
	s_wait_loadcnt 0x6
	s_wait_xcnt 0x4
	v_perm_b32 v2, v11, v9, 0x5040100
	s_wait_loadcnt 0x4
	v_perm_b32 v3, v7, v26, 0x5040100
	s_wait_loadcnt 0x2
	s_wait_xcnt 0x3
	v_perm_b32 v4, v19, v18, 0x5040100
	s_wait_loadcnt 0x0
	v_perm_b32 v5, v21, v20, 0x5040100
	s_cbranch_execz .LBB2344_4
	s_branch .LBB2344_19
.LBB2344_3:
                                        ; implicit-def: $vgpr2_vgpr3_vgpr4_vgpr5
                                        ; implicit-def: $sgpr11
	s_and_not1_b32 vcc_lo, exec_lo, s2
	s_cbranch_vccnz .LBB2344_19
.LBB2344_4:
	v_mov_b32_e32 v2, 0
	s_add_co_i32 s11, s15, s9
	s_mov_b32 s2, exec_lo
	s_delay_alu instid0(VALU_DEP_1)
	v_dual_mov_b32 v3, v2 :: v_dual_mov_b32 v4, v2
	v_mov_b32_e32 v5, v2
	v_cmpx_gt_u32_e64 s11, v0
	s_cbranch_execnz .LBB2344_44
; %bb.5:
	s_or_b32 exec_lo, exec_lo, s2
	s_delay_alu instid0(SALU_CYCLE_1)
	s_mov_b32 s2, exec_lo
	v_cmpx_gt_u32_e64 s11, v10
	s_cbranch_execnz .LBB2344_45
.LBB2344_6:
	s_or_b32 exec_lo, exec_lo, s2
	s_delay_alu instid0(SALU_CYCLE_1)
	s_mov_b32 s2, exec_lo
	v_cmpx_gt_u32_e64 s11, v8
	s_cbranch_execz .LBB2344_8
.LBB2344_7:
	v_sub_co_u32 v12, vcc_lo, v8, s9
	v_mov_b32_e32 v9, 0
	s_delay_alu instid0(VALU_DEP_1) | instskip(SKIP_1) | instid1(VALU_DEP_1)
	v_lshl_add_u64 v[10:11], v[8:9], 1, s[12:13]
	v_mov_b32_e32 v13, v9
	v_lshl_add_u64 v[12:13], v[12:13], 1, s[6:7]
	s_delay_alu instid0(VALU_DEP_1)
	v_dual_cndmask_b32 v11, v13, v11 :: v_dual_cndmask_b32 v10, v12, v10
	global_load_u16 v7, v[10:11], off
	s_wait_loadcnt 0x0
	v_bfi_b32 v3, 0xffff, v7, v3
.LBB2344_8:
	s_or_b32 exec_lo, exec_lo, s2
	v_add_nc_u32_e32 v8, v8, v1
	s_mov_b32 s2, exec_lo
	s_delay_alu instid0(VALU_DEP_1)
	v_cmpx_gt_u32_e64 s11, v8
	s_cbranch_execz .LBB2344_10
; %bb.9:
	v_sub_co_u32 v12, vcc_lo, v8, s9
	v_mov_b32_e32 v9, 0
	s_delay_alu instid0(VALU_DEP_1) | instskip(SKIP_1) | instid1(VALU_DEP_1)
	v_lshl_add_u64 v[10:11], v[8:9], 1, s[12:13]
	v_mov_b32_e32 v13, v9
	v_lshl_add_u64 v[12:13], v[12:13], 1, s[6:7]
	s_delay_alu instid0(VALU_DEP_1)
	v_dual_cndmask_b32 v11, v13, v11 :: v_dual_cndmask_b32 v10, v12, v10
	global_load_u16 v7, v[10:11], off
	s_wait_loadcnt 0x0
	v_perm_b32 v3, v7, v3, 0x5040100
.LBB2344_10:
	s_or_b32 exec_lo, exec_lo, s2
	v_add_nc_u32_e32 v8, v8, v1
	s_mov_b32 s2, exec_lo
	s_delay_alu instid0(VALU_DEP_1)
	v_cmpx_gt_u32_e64 s11, v8
	s_cbranch_execz .LBB2344_12
; %bb.11:
	v_sub_co_u32 v12, vcc_lo, v8, s9
	v_mov_b32_e32 v9, 0
	s_delay_alu instid0(VALU_DEP_1) | instskip(SKIP_1) | instid1(VALU_DEP_1)
	v_lshl_add_u64 v[10:11], v[8:9], 1, s[12:13]
	v_mov_b32_e32 v13, v9
	v_lshl_add_u64 v[12:13], v[12:13], 1, s[6:7]
	s_delay_alu instid0(VALU_DEP_1)
	v_dual_cndmask_b32 v11, v13, v11 :: v_dual_cndmask_b32 v10, v12, v10
	global_load_u16 v7, v[10:11], off
	s_wait_loadcnt 0x0
	v_bfi_b32 v4, 0xffff, v7, v4
.LBB2344_12:
	s_or_b32 exec_lo, exec_lo, s2
	v_add_nc_u32_e32 v8, v8, v1
	s_mov_b32 s2, exec_lo
	s_delay_alu instid0(VALU_DEP_1)
	v_cmpx_gt_u32_e64 s11, v8
	s_cbranch_execz .LBB2344_14
; %bb.13:
	v_sub_co_u32 v12, vcc_lo, v8, s9
	v_mov_b32_e32 v9, 0
	s_delay_alu instid0(VALU_DEP_1) | instskip(SKIP_1) | instid1(VALU_DEP_1)
	v_lshl_add_u64 v[10:11], v[8:9], 1, s[12:13]
	v_mov_b32_e32 v13, v9
	v_lshl_add_u64 v[12:13], v[12:13], 1, s[6:7]
	s_delay_alu instid0(VALU_DEP_1)
	v_dual_cndmask_b32 v11, v13, v11 :: v_dual_cndmask_b32 v10, v12, v10
	global_load_u16 v7, v[10:11], off
	s_wait_loadcnt 0x0
	v_perm_b32 v4, v7, v4, 0x5040100
.LBB2344_14:
	s_or_b32 exec_lo, exec_lo, s2
	v_add_nc_u32_e32 v8, v8, v1
	s_mov_b32 s2, exec_lo
	s_delay_alu instid0(VALU_DEP_1)
	v_cmpx_gt_u32_e64 s11, v8
	s_cbranch_execz .LBB2344_16
; %bb.15:
	v_sub_co_u32 v12, vcc_lo, v8, s9
	v_mov_b32_e32 v9, 0
	s_delay_alu instid0(VALU_DEP_1) | instskip(SKIP_1) | instid1(VALU_DEP_1)
	v_lshl_add_u64 v[10:11], v[8:9], 1, s[12:13]
	v_mov_b32_e32 v13, v9
	v_lshl_add_u64 v[12:13], v[12:13], 1, s[6:7]
	s_delay_alu instid0(VALU_DEP_1)
	v_dual_cndmask_b32 v11, v13, v11 :: v_dual_cndmask_b32 v10, v12, v10
	global_load_u16 v7, v[10:11], off
	s_wait_loadcnt 0x0
	v_bfi_b32 v5, 0xffff, v7, v5
.LBB2344_16:
	s_or_b32 exec_lo, exec_lo, s2
	v_add_nc_u32_e32 v8, v8, v1
	s_mov_b32 s2, exec_lo
	s_delay_alu instid0(VALU_DEP_1)
	v_cmpx_gt_u32_e64 s11, v8
	s_cbranch_execz .LBB2344_18
; %bb.17:
	v_mov_b32_e32 v9, 0
	s_delay_alu instid0(VALU_DEP_1) | instskip(SKIP_1) | instid1(VALU_DEP_1)
	v_lshl_add_u64 v[10:11], v[8:9], 1, s[12:13]
	v_sub_co_u32 v8, vcc_lo, v8, s9
	v_lshl_add_u64 v[8:9], v[8:9], 1, s[6:7]
	s_delay_alu instid0(VALU_DEP_1)
	v_dual_cndmask_b32 v9, v9, v11 :: v_dual_cndmask_b32 v8, v8, v10
	global_load_u16 v1, v[8:9], off
	s_wait_loadcnt 0x0
	v_perm_b32 v5, v1, v5, 0x5040100
.LBB2344_18:
	s_or_b32 exec_lo, exec_lo, s2
.LBB2344_19:
	s_clause 0x1
	s_load_b64 s[12:13], s[0:1], 0x10
	s_load_b32 s16, s[0:1], 0x34
	v_dual_lshlrev_b32 v1, 3, v0 :: v_dual_lshrrev_b32 v7, 16, v2
	v_dual_lshrrev_b32 v9, 16, v3 :: v_dual_lshrrev_b32 v8, 16, v4
	v_lshrrev_b32_e32 v10, 16, v5
	s_delay_alu instid0(VALU_DEP_3)
	v_min_u32_e32 v12, s11, v1
	s_wait_xcnt 0x0
	s_mov_b32 s0, exec_lo
	ds_store_b16 v6, v2
	ds_store_b16 v6, v7 offset:256
	ds_store_b16 v6, v3 offset:512
	;; [unrolled: 1-line block ×7, first 2 shown]
	s_wait_dscnt 0x0
	s_barrier_signal -1
	v_sub_nc_u32_e64 v11, v12, s15 clamp
	v_min_u32_e32 v13, s9, v12
	s_barrier_wait -1
	s_delay_alu instid0(VALU_DEP_1)
	v_cmpx_lt_u32_e64 v11, v13
	s_cbranch_execz .LBB2344_23
; %bb.20:
	v_lshlrev_b32_e32 v14, 1, v12
	s_mov_b32 s1, 0
	s_delay_alu instid0(VALU_DEP_1)
	v_lshl_add_u32 v14, s9, 1, v14
.LBB2344_21:                            ; =>This Inner Loop Header: Depth=1
	v_add_nc_u32_e32 v15, v13, v11
	s_delay_alu instid0(VALU_DEP_1) | instskip(NEXT) | instid1(VALU_DEP_1)
	v_dual_lshrrev_b32 v16, 1, v15 :: v_dual_bitop2_b32 v15, -2, v15 bitop3:0x40
	v_not_b32_e32 v17, v16
	v_add_nc_u32_e32 v18, 1, v16
	s_delay_alu instid0(VALU_DEP_2)
	v_lshl_add_u32 v17, v17, 1, v14
	ds_load_u16 v15, v15
	ds_load_u16 v17, v17
	s_wait_dscnt 0x1
	s_wait_kmcnt 0x0
	v_and_b32_e32 v15, s16, v15
	s_wait_dscnt 0x0
	v_and_b32_e32 v17, s16, v17
	s_delay_alu instid0(VALU_DEP_1) | instskip(SKIP_1) | instid1(VALU_DEP_1)
	v_cmp_gt_u16_e32 vcc_lo, v17, v15
	v_dual_cndmask_b32 v13, v13, v16, vcc_lo :: v_dual_cndmask_b32 v11, v18, v11, vcc_lo
	v_cmp_ge_u32_e32 vcc_lo, v11, v13
	s_or_b32 s1, vcc_lo, s1
	s_delay_alu instid0(SALU_CYCLE_1)
	s_and_not1_b32 exec_lo, exec_lo, s1
	s_cbranch_execnz .LBB2344_21
; %bb.22:
	s_or_b32 exec_lo, exec_lo, s1
.LBB2344_23:
	s_delay_alu instid0(SALU_CYCLE_1) | instskip(SKIP_2) | instid1(VALU_DEP_2)
	s_or_b32 exec_lo, exec_lo, s0
	v_sub_nc_u32_e32 v12, v12, v11
	v_cmp_ge_u32_e32 vcc_lo, s9, v11
	v_add_nc_u32_e32 v12, s9, v12
	s_delay_alu instid0(VALU_DEP_1) | instskip(SKIP_1) | instid1(SALU_CYCLE_1)
	v_cmp_ge_u32_e64 s0, s11, v12
	s_or_b32 s0, vcc_lo, s0
	s_and_saveexec_b32 s15, s0
	s_cbranch_execz .LBB2344_29
; %bb.24:
	v_cmp_gt_u32_e32 vcc_lo, s9, v11
                                        ; implicit-def: $vgpr2
	s_and_saveexec_b32 s0, vcc_lo
; %bb.25:
	v_lshlrev_b32_e32 v2, 1, v11
	ds_load_u16 v2, v2
; %bb.26:
	s_or_b32 exec_lo, exec_lo, s0
	v_cmp_le_u32_e64 s0, s11, v12
	s_mov_b32 s2, exec_lo
                                        ; implicit-def: $vgpr3
	v_cmpx_gt_u32_e64 s11, v12
; %bb.27:
	v_lshlrev_b32_e32 v3, 1, v12
	ds_load_u16 v3, v3
; %bb.28:
	s_or_b32 exec_lo, exec_lo, s2
	s_wait_dscnt 0x0
	s_wait_kmcnt 0x0
	v_and_b32_e32 v4, s16, v3
	v_and_b32_e32 v5, s16, v2
	s_delay_alu instid0(VALU_DEP_1) | instskip(SKIP_2) | instid1(SALU_CYCLE_1)
	v_cmp_le_u16_e64 s1, v4, v5
	v_mov_b32_e32 v4, s9
	s_and_b32 s1, vcc_lo, s1
	s_or_b32 vcc_lo, s0, s1
	v_cndmask_b32_e32 v5, v12, v11, vcc_lo
	s_delay_alu instid0(VALU_DEP_1) | instskip(NEXT) | instid1(VALU_DEP_1)
	v_dual_cndmask_b32 v7, s11, v4, vcc_lo :: v_dual_add_nc_u32 v5, 1, v5
	v_add_min_u32_e64 v7, v7, -1, v5
	v_dual_cndmask_b32 v9, v11, v5, vcc_lo :: v_dual_cndmask_b32 v5, v5, v12, vcc_lo
	s_delay_alu instid0(VALU_DEP_2) | instskip(NEXT) | instid1(VALU_DEP_2)
	v_lshlrev_b32_e32 v7, 1, v7
	v_cmp_gt_u32_e64 s0, s9, v9
	s_delay_alu instid0(VALU_DEP_3) | instskip(SKIP_4) | instid1(VALU_DEP_2)
	v_cmp_le_u32_e64 s2, s11, v5
	ds_load_u16 v7, v7
	s_wait_dscnt 0x0
	v_cndmask_b32_e32 v8, v7, v3, vcc_lo
	v_dual_cndmask_b32 v7, v2, v7 :: v_dual_cndmask_b32 v2, v3, v2
	v_and_b32_e32 v10, s16, v8
	s_delay_alu instid0(VALU_DEP_2) | instskip(NEXT) | instid1(VALU_DEP_1)
	v_and_b32_e32 v11, s16, v7
	v_cmp_le_u16_e64 s1, v10, v11
	s_and_b32 s0, s0, s1
	s_delay_alu instid0(SALU_CYCLE_1) | instskip(NEXT) | instid1(SALU_CYCLE_1)
	s_or_b32 s0, s2, s0
	v_cndmask_b32_e64 v10, v5, v9, s0
	s_delay_alu instid0(VALU_DEP_1) | instskip(NEXT) | instid1(VALU_DEP_1)
	v_dual_cndmask_b32 v11, s11, v4, s0 :: v_dual_add_nc_u32 v10, 1, v10
	v_add_min_u32_e64 v11, v11, -1, v10
	v_dual_cndmask_b32 v9, v9, v10, s0 :: v_dual_cndmask_b32 v5, v10, v5, s0
	s_delay_alu instid0(VALU_DEP_2) | instskip(NEXT) | instid1(VALU_DEP_2)
	v_lshlrev_b32_e32 v11, 1, v11
	v_cmp_gt_u32_e64 s1, s9, v9
	s_delay_alu instid0(VALU_DEP_3)
	v_cmp_le_u32_e64 s3, s11, v5
	ds_load_u16 v11, v11
	s_wait_dscnt 0x0
	v_cndmask_b32_e64 v12, v11, v8, s0
	v_cndmask_b32_e64 v11, v7, v11, s0
	;; [unrolled: 1-line block ×3, first 2 shown]
	s_delay_alu instid0(VALU_DEP_2) | instskip(NEXT) | instid1(VALU_DEP_4)
	v_and_b32_e32 v14, s16, v11
	v_and_b32_e32 v13, s16, v12
	s_delay_alu instid0(VALU_DEP_1) | instskip(SKIP_1) | instid1(SALU_CYCLE_1)
	v_cmp_le_u16_e64 s2, v13, v14
	s_and_b32 s1, s1, s2
	s_or_b32 s1, s3, s1
	s_delay_alu instid0(SALU_CYCLE_1) | instskip(NEXT) | instid1(VALU_DEP_1)
	v_cndmask_b32_e64 v10, v5, v9, s1
	v_dual_cndmask_b32 v13, s11, v4, s1 :: v_dual_add_nc_u32 v10, 1, v10
	s_delay_alu instid0(VALU_DEP_1) | instskip(NEXT) | instid1(VALU_DEP_1)
	v_add_min_u32_e64 v13, v13, -1, v10
	v_dual_cndmask_b32 v9, v9, v10, s1 :: v_dual_lshlrev_b32 v13, 1, v13
	s_delay_alu instid0(VALU_DEP_1) | instskip(SKIP_3) | instid1(VALU_DEP_1)
	v_cmp_gt_u32_e64 s2, s9, v9
	ds_load_u16 v13, v13
	s_wait_dscnt 0x0
	v_dual_cndmask_b32 v14, v13, v12, s1 :: v_dual_cndmask_b32 v13, v11, v13, s1
	v_dual_cndmask_b32 v5, v10, v5, s1 :: v_dual_bitop2_b32 v15, s16, v14 bitop3:0x40
	s_delay_alu instid0(VALU_DEP_2) | instskip(NEXT) | instid1(VALU_DEP_2)
	v_and_b32_e32 v16, s16, v13
	v_cmp_le_u32_e64 s4, s11, v5
	s_delay_alu instid0(VALU_DEP_2) | instskip(SKIP_1) | instid1(SALU_CYCLE_1)
	v_cmp_le_u16_e64 s3, v15, v16
	s_and_b32 s2, s2, s3
	s_or_b32 s2, s4, s2
	s_delay_alu instid0(SALU_CYCLE_1) | instskip(NEXT) | instid1(VALU_DEP_1)
	v_dual_cndmask_b32 v3, v12, v11, s1 :: v_dual_cndmask_b32 v10, v5, v9, s2
	v_dual_cndmask_b32 v15, s11, v4, s2 :: v_dual_add_nc_u32 v10, 1, v10
	s_delay_alu instid0(VALU_DEP_1) | instskip(NEXT) | instid1(VALU_DEP_1)
	v_add_min_u32_e64 v15, v15, -1, v10
	v_lshlrev_b32_e32 v15, 1, v15
	ds_load_u16 v15, v15
	s_wait_dscnt 0x0
	v_dual_cndmask_b32 v16, v15, v14, s2 :: v_dual_cndmask_b32 v15, v13, v15, s2
	v_dual_cndmask_b32 v5, v10, v5, s2 :: v_dual_cndmask_b32 v9, v9, v10, s2
	s_delay_alu instid0(VALU_DEP_2) | instskip(NEXT) | instid1(VALU_DEP_3)
	v_and_b32_e32 v17, s16, v16
	v_and_b32_e32 v18, s16, v15
	s_delay_alu instid0(VALU_DEP_3) | instskip(NEXT) | instid1(VALU_DEP_4)
	v_cmp_le_u32_e64 s5, s11, v5
	v_cmp_gt_u32_e64 s3, s9, v9
	s_delay_alu instid0(VALU_DEP_3) | instskip(SKIP_1) | instid1(SALU_CYCLE_1)
	v_cmp_le_u16_e64 s4, v17, v18
	s_and_b32 s3, s3, s4
	s_or_b32 s3, s5, s3
	s_delay_alu instid0(SALU_CYCLE_1) | instskip(NEXT) | instid1(VALU_DEP_1)
	v_cndmask_b32_e64 v10, v5, v9, s3
	v_dual_cndmask_b32 v17, s11, v4, s3 :: v_dual_add_nc_u32 v10, 1, v10
	s_delay_alu instid0(VALU_DEP_1) | instskip(NEXT) | instid1(VALU_DEP_1)
	v_add_min_u32_e64 v17, v17, -1, v10
	v_dual_cndmask_b32 v9, v9, v10, s3 :: v_dual_lshlrev_b32 v17, 1, v17
	s_delay_alu instid0(VALU_DEP_1) | instskip(SKIP_3) | instid1(VALU_DEP_1)
	v_cmp_gt_u32_e64 s4, s9, v9
	ds_load_u16 v17, v17
	s_wait_dscnt 0x0
	v_dual_cndmask_b32 v18, v17, v16, s3 :: v_dual_cndmask_b32 v17, v15, v17, s3
	v_dual_cndmask_b32 v5, v10, v5, s3 :: v_dual_bitop2_b32 v19, s16, v18 bitop3:0x40
	s_delay_alu instid0(VALU_DEP_2) | instskip(NEXT) | instid1(VALU_DEP_2)
	v_and_b32_e32 v20, s16, v17
	v_cmp_le_u32_e64 s6, s11, v5
	s_delay_alu instid0(VALU_DEP_2) | instskip(SKIP_1) | instid1(SALU_CYCLE_1)
	v_cmp_le_u16_e64 s5, v19, v20
	s_and_b32 s4, s4, s5
	s_or_b32 s4, s6, s4
	s_delay_alu instid0(SALU_CYCLE_1) | instskip(SKIP_1) | instid1(VALU_DEP_2)
	v_cndmask_b32_e64 v10, v5, v9, s4
	v_cndmask_b32_e64 v19, s11, v4, s4
	v_dual_cndmask_b32 v8, v18, v17, s4 :: v_dual_add_nc_u32 v10, 1, v10
	s_delay_alu instid0(VALU_DEP_1) | instskip(NEXT) | instid1(VALU_DEP_1)
	v_add_min_u32_e64 v19, v19, -1, v10
	v_lshlrev_b32_e32 v19, 1, v19
	ds_load_u16 v19, v19
	s_wait_dscnt 0x0
	v_dual_cndmask_b32 v20, v19, v18, s4 :: v_dual_cndmask_b32 v19, v17, v19, s4
	v_dual_cndmask_b32 v5, v10, v5, s4 :: v_dual_cndmask_b32 v9, v9, v10, s4
	s_delay_alu instid0(VALU_DEP_2) | instskip(NEXT) | instid1(VALU_DEP_3)
	v_and_b32_e32 v21, s16, v20
	v_and_b32_e32 v22, s16, v19
	s_delay_alu instid0(VALU_DEP_3) | instskip(NEXT) | instid1(VALU_DEP_4)
	v_cmp_le_u32_e64 s7, s11, v5
	v_cmp_gt_u32_e64 s5, s9, v9
	s_delay_alu instid0(VALU_DEP_3) | instskip(SKIP_1) | instid1(SALU_CYCLE_1)
	v_cmp_le_u16_e64 s6, v21, v22
	s_and_b32 s5, s5, s6
	s_or_b32 s5, s7, s5
	s_delay_alu instid0(SALU_CYCLE_1) | instskip(NEXT) | instid1(VALU_DEP_1)
	v_cndmask_b32_e64 v10, v5, v9, s5
	v_dual_cndmask_b32 v4, s11, v4, s5 :: v_dual_add_nc_u32 v10, 1, v10
	s_delay_alu instid0(VALU_DEP_1) | instskip(NEXT) | instid1(VALU_DEP_1)
	v_add_min_u32_e64 v4, v4, -1, v10
	v_dual_cndmask_b32 v5, v10, v5, s5 :: v_dual_lshlrev_b32 v4, 1, v4
	s_delay_alu instid0(VALU_DEP_1) | instskip(SKIP_4) | instid1(VALU_DEP_2)
	v_cmp_le_u32_e64 s1, s11, v5
	ds_load_u16 v4, v4
	s_wait_dscnt 0x0
	v_cndmask_b32_e64 v21, v4, v20, s5
	v_dual_cndmask_b32 v22, v19, v4, s5 :: v_dual_cndmask_b32 v4, v9, v10, s5
	v_and_b32_e32 v9, s16, v21
	s_delay_alu instid0(VALU_DEP_2) | instskip(NEXT) | instid1(VALU_DEP_3)
	v_and_b32_e32 v23, s16, v22
	v_cmp_gt_u32_e32 vcc_lo, s9, v4
	v_cndmask_b32_e64 v4, v16, v15, s3
	s_delay_alu instid0(VALU_DEP_3) | instskip(SKIP_2) | instid1(SALU_CYCLE_1)
	v_cmp_le_u16_e64 s0, v9, v23
	v_cndmask_b32_e64 v9, v14, v13, s2
	s_and_b32 s0, vcc_lo, s0
	s_or_b32 vcc_lo, s1, s0
	s_delay_alu instid0(SALU_CYCLE_1)
	v_dual_cndmask_b32 v5, v20, v19, s5 :: v_dual_cndmask_b32 v10, v21, v22, vcc_lo
.LBB2344_29:
	s_or_b32 exec_lo, exec_lo, s15
	v_lshrrev_b32_e32 v11, 1, v0
	v_or_b32_e32 v12, 0x80, v0
	v_perm_b32 v2, v7, v2, 0x5040100
	v_lshrrev_b32_e32 v7, 4, v0
	v_perm_b32 v3, v9, v3, 0x5040100
	s_delay_alu instid0(VALU_DEP_4) | instskip(SKIP_2) | instid1(VALU_DEP_3)
	v_dual_lshrrev_b32 v9, 4, v12 :: v_dual_bitop2_b32 v11, 60, v11 bitop3:0x40
	v_perm_b32 v4, v8, v4, 0x5040100
	v_perm_b32 v5, v10, v5, 0x5040100
	v_lshl_add_u32 v1, v1, 1, v11
	v_or_b32_e32 v11, 0x100, v0
	s_barrier_signal -1
	s_barrier_wait -1
	s_delay_alu instid0(VALU_DEP_1)
	v_dual_lshrrev_b32 v13, 4, v11 :: v_dual_bitop2_b32 v8, 12, v9 bitop3:0x40
	v_and_b32_e32 v7, 4, v7
	v_or_b32_e32 v9, 0x180, v0
	s_barrier_signal -1
	s_barrier_wait -1
	v_and_b32_e32 v14, 20, v13
	ds_store_2addr_b32 v1, v2, v3 offset1:1
	ds_store_2addr_b32 v1, v4, v5 offset0:2 offset1:3
	v_dual_add_nc_u32 v13, v8, v6 :: v_dual_add_nc_u32 v10, v7, v6
	v_dual_lshrrev_b32 v1, 4, v9 :: v_dual_add_nc_u32 v14, v14, v6
	v_or_b32_e32 v8, 0x200, v0
	v_or_b32_e32 v5, 0x280, v0
	;; [unrolled: 1-line block ×3, first 2 shown]
	s_delay_alu instid0(VALU_DEP_4) | instskip(SKIP_1) | instid1(VALU_DEP_4)
	v_and_b32_e32 v2, 28, v1
	v_or_b32_e32 v1, 0x380, v0
	v_dual_lshrrev_b32 v3, 4, v8 :: v_dual_lshrrev_b32 v7, 4, v5
	s_delay_alu instid0(VALU_DEP_3) | instskip(NEXT) | instid1(VALU_DEP_3)
	v_dual_lshrrev_b32 v16, 4, v4 :: v_dual_add_nc_u32 v15, v2, v6
	v_lshrrev_b32_e32 v2, 4, v1
	s_mov_b32 s11, 0
	s_delay_alu instid0(VALU_DEP_3)
	v_and_b32_e32 v3, 36, v3
	v_dual_mov_b32 v7, 0 :: v_dual_bitop2_b32 v17, 44, v7 bitop3:0x40
	s_lshl_b64 s[0:1], s[10:11], 1
	v_and_b32_e32 v18, 52, v16
	v_and_b32_e32 v19, 60, v2
	s_wait_kmcnt 0x0
	s_add_nc_u64 s[0:1], s[12:13], s[0:1]
	v_add_nc_u32_e32 v16, v3, v6
	v_add_nc_u64_e32 v[2:3], s[0:1], v[6:7]
	v_dual_add_nc_u32 v17, v17, v6 :: v_dual_add_nc_u32 v18, v18, v6
	v_add_nc_u32_e32 v19, v19, v6
	s_and_b32 vcc_lo, exec_lo, s14
	s_wait_dscnt 0x0
	s_cbranch_vccz .LBB2344_31
; %bb.30:
	s_barrier_signal -1
	s_barrier_wait -1
	ds_load_u16 v7, v10
	ds_load_u16 v20, v13 offset:256
	ds_load_u16 v21, v14 offset:512
	;; [unrolled: 1-line block ×7, first 2 shown]
	s_mov_b32 s11, -1
	s_wait_dscnt 0x7
	global_store_b16 v[2:3], v7, off
	s_wait_dscnt 0x6
	global_store_b16 v[2:3], v20, off offset:256
	s_wait_dscnt 0x5
	global_store_b16 v[2:3], v21, off offset:512
	;; [unrolled: 2-line block ×6, first 2 shown]
	s_cbranch_execz .LBB2344_32
	s_branch .LBB2344_41
.LBB2344_31:
                                        ; implicit-def: $vgpr6
.LBB2344_32:
	s_barrier_signal -1
	s_barrier_wait -1
	s_wait_storecnt_dscnt 0x0
	s_wait_xcnt 0x4
	ds_load_u16 v21, v13 offset:256
	ds_load_u16 v20, v14 offset:512
	;; [unrolled: 1-line block ×7, first 2 shown]
	s_sub_co_i32 s0, s8, s10
	s_mov_b32 s1, exec_lo
	s_wait_xcnt 0x0
	v_cmpx_gt_u32_e64 s0, v0
	s_cbranch_execnz .LBB2344_46
; %bb.33:
	s_or_b32 exec_lo, exec_lo, s1
	s_delay_alu instid0(SALU_CYCLE_1)
	s_mov_b32 s1, exec_lo
	v_cmpx_gt_u32_e64 s0, v12
	s_cbranch_execnz .LBB2344_47
.LBB2344_34:
	s_or_b32 exec_lo, exec_lo, s1
	s_delay_alu instid0(SALU_CYCLE_1)
	s_mov_b32 s1, exec_lo
	v_cmpx_gt_u32_e64 s0, v11
	s_cbranch_execnz .LBB2344_48
.LBB2344_35:
	s_or_b32 exec_lo, exec_lo, s1
	s_delay_alu instid0(SALU_CYCLE_1)
	s_mov_b32 s1, exec_lo
	v_cmpx_gt_u32_e64 s0, v9
	s_cbranch_execnz .LBB2344_49
.LBB2344_36:
	s_or_b32 exec_lo, exec_lo, s1
	s_delay_alu instid0(SALU_CYCLE_1)
	s_mov_b32 s1, exec_lo
	v_cmpx_gt_u32_e64 s0, v8
	s_cbranch_execnz .LBB2344_50
.LBB2344_37:
	s_or_b32 exec_lo, exec_lo, s1
	s_delay_alu instid0(SALU_CYCLE_1)
	s_mov_b32 s1, exec_lo
	v_cmpx_gt_u32_e64 s0, v5
	s_cbranch_execnz .LBB2344_51
.LBB2344_38:
	s_or_b32 exec_lo, exec_lo, s1
	s_delay_alu instid0(SALU_CYCLE_1)
	s_mov_b32 s1, exec_lo
	v_cmpx_gt_u32_e64 s0, v4
	s_cbranch_execz .LBB2344_40
.LBB2344_39:
	s_wait_dscnt 0x1
	global_store_b16 v[2:3], v7, off offset:1536
.LBB2344_40:
	s_wait_xcnt 0x0
	s_or_b32 exec_lo, exec_lo, s1
	v_cmp_gt_u32_e64 s11, s0, v1
.LBB2344_41:
	s_wait_xcnt 0x0
	s_delay_alu instid0(VALU_DEP_1)
	s_and_saveexec_b32 s0, s11
	s_cbranch_execz .LBB2344_43
; %bb.42:
	s_wait_dscnt 0x0
	global_store_b16 v[2:3], v6, off offset:1792
.LBB2344_43:
	s_endpgm
.LBB2344_44:
	v_dual_mov_b32 v7, v2 :: v_dual_mov_b32 v5, v2
	v_sub_co_u32 v4, vcc_lo, v0, s9
	v_mov_b32_e32 v15, v2
	s_delay_alu instid0(VALU_DEP_3) | instskip(SKIP_1) | instid1(VALU_DEP_4)
	v_add_nc_u64_e32 v[12:13], s[12:13], v[6:7]
	v_mov_b32_e32 v14, v2
	v_lshl_add_u64 v[4:5], v[4:5], 1, s[6:7]
	s_delay_alu instid0(VALU_DEP_1) | instskip(SKIP_4) | instid1(VALU_DEP_1)
	v_dual_cndmask_b32 v5, v5, v13 :: v_dual_cndmask_b32 v4, v4, v12
	v_mov_b32_e32 v13, v2
	global_load_u16 v3, v[4:5], off
	s_wait_loadcnt 0x0
	v_and_b32_e32 v12, 0xffff, v3
	v_mov_b64_e32 v[2:3], v[12:13]
	v_mov_b64_e32 v[4:5], v[14:15]
	s_or_b32 exec_lo, exec_lo, s2
	s_delay_alu instid0(SALU_CYCLE_1)
	s_mov_b32 s2, exec_lo
	v_cmpx_gt_u32_e64 s11, v10
	s_cbranch_execz .LBB2344_6
.LBB2344_45:
	v_mov_b32_e32 v11, 0
	s_delay_alu instid0(VALU_DEP_1) | instskip(SKIP_1) | instid1(VALU_DEP_1)
	v_lshl_add_u64 v[12:13], v[10:11], 1, s[12:13]
	v_sub_co_u32 v10, vcc_lo, v10, s9
	v_lshl_add_u64 v[10:11], v[10:11], 1, s[6:7]
	s_delay_alu instid0(VALU_DEP_1) | instskip(SKIP_4) | instid1(SALU_CYCLE_1)
	v_dual_cndmask_b32 v11, v11, v13 :: v_dual_cndmask_b32 v10, v10, v12
	global_load_u16 v7, v[10:11], off
	s_wait_loadcnt 0x0
	v_perm_b32 v2, v7, v2, 0x5040100
	s_or_b32 exec_lo, exec_lo, s2
	s_mov_b32 s2, exec_lo
	v_cmpx_gt_u32_e64 s11, v8
	s_cbranch_execnz .LBB2344_7
	s_branch .LBB2344_8
.LBB2344_46:
	ds_load_u16 v0, v10
	s_wait_dscnt 0x0
	global_store_b16 v[2:3], v0, off
	s_wait_xcnt 0x0
	s_or_b32 exec_lo, exec_lo, s1
	s_delay_alu instid0(SALU_CYCLE_1)
	s_mov_b32 s1, exec_lo
	v_cmpx_gt_u32_e64 s0, v12
	s_cbranch_execz .LBB2344_34
.LBB2344_47:
	s_wait_dscnt 0x6
	global_store_b16 v[2:3], v21, off offset:256
	s_wait_xcnt 0x0
	s_or_b32 exec_lo, exec_lo, s1
	s_delay_alu instid0(SALU_CYCLE_1)
	s_mov_b32 s1, exec_lo
	v_cmpx_gt_u32_e64 s0, v11
	s_cbranch_execz .LBB2344_35
.LBB2344_48:
	s_wait_dscnt 0x5
	global_store_b16 v[2:3], v20, off offset:512
	s_wait_xcnt 0x0
	s_or_b32 exec_lo, exec_lo, s1
	s_delay_alu instid0(SALU_CYCLE_1)
	s_mov_b32 s1, exec_lo
	v_cmpx_gt_u32_e64 s0, v9
	s_cbranch_execz .LBB2344_36
.LBB2344_49:
	s_wait_dscnt 0x4
	global_store_b16 v[2:3], v15, off offset:768
	s_wait_xcnt 0x0
	s_or_b32 exec_lo, exec_lo, s1
	s_delay_alu instid0(SALU_CYCLE_1)
	s_mov_b32 s1, exec_lo
	v_cmpx_gt_u32_e64 s0, v8
	s_cbranch_execz .LBB2344_37
.LBB2344_50:
	s_wait_dscnt 0x3
	global_store_b16 v[2:3], v14, off offset:1024
	s_wait_xcnt 0x0
	s_or_b32 exec_lo, exec_lo, s1
	s_delay_alu instid0(SALU_CYCLE_1)
	s_mov_b32 s1, exec_lo
	v_cmpx_gt_u32_e64 s0, v5
	s_cbranch_execz .LBB2344_38
.LBB2344_51:
	s_wait_dscnt 0x2
	global_store_b16 v[2:3], v13, off offset:1280
	s_wait_xcnt 0x0
	s_or_b32 exec_lo, exec_lo, s1
	s_delay_alu instid0(SALU_CYCLE_1)
	s_mov_b32 s1, exec_lo
	v_cmpx_gt_u32_e64 s0, v4
	s_cbranch_execnz .LBB2344_39
	s_branch .LBB2344_40
	.section	.rodata,"a",@progbits
	.p2align	6, 0x0
	.amdhsa_kernel _ZN7rocprim17ROCPRIM_400000_NS6detail17trampoline_kernelINS0_14default_configENS1_38merge_sort_block_merge_config_selectorItNS0_10empty_typeEEEZZNS1_27merge_sort_block_merge_implIS3_PtPS5_jNS1_19radix_merge_compareILb1ELb1EtNS0_19identity_decomposerEEEEE10hipError_tT0_T1_T2_jT3_P12ihipStream_tbPNSt15iterator_traitsISE_E10value_typeEPNSK_ISF_E10value_typeEPSG_NS1_7vsmem_tEENKUlT_SE_SF_SG_E_clIS8_S8_S9_S9_EESD_ST_SE_SF_SG_EUlST_E0_NS1_11comp_targetILNS1_3genE0ELNS1_11target_archE4294967295ELNS1_3gpuE0ELNS1_3repE0EEENS1_38merge_mergepath_config_static_selectorELNS0_4arch9wavefront6targetE0EEEvSF_
		.amdhsa_group_segment_fixed_size 2112
		.amdhsa_private_segment_fixed_size 0
		.amdhsa_kernarg_size 320
		.amdhsa_user_sgpr_count 2
		.amdhsa_user_sgpr_dispatch_ptr 0
		.amdhsa_user_sgpr_queue_ptr 0
		.amdhsa_user_sgpr_kernarg_segment_ptr 1
		.amdhsa_user_sgpr_dispatch_id 0
		.amdhsa_user_sgpr_kernarg_preload_length 0
		.amdhsa_user_sgpr_kernarg_preload_offset 0
		.amdhsa_user_sgpr_private_segment_size 0
		.amdhsa_wavefront_size32 1
		.amdhsa_uses_dynamic_stack 0
		.amdhsa_enable_private_segment 0
		.amdhsa_system_sgpr_workgroup_id_x 1
		.amdhsa_system_sgpr_workgroup_id_y 1
		.amdhsa_system_sgpr_workgroup_id_z 1
		.amdhsa_system_sgpr_workgroup_info 0
		.amdhsa_system_vgpr_workitem_id 0
		.amdhsa_next_free_vgpr 27
		.amdhsa_next_free_sgpr 23
		.amdhsa_named_barrier_count 0
		.amdhsa_reserve_vcc 1
		.amdhsa_float_round_mode_32 0
		.amdhsa_float_round_mode_16_64 0
		.amdhsa_float_denorm_mode_32 3
		.amdhsa_float_denorm_mode_16_64 3
		.amdhsa_fp16_overflow 0
		.amdhsa_memory_ordered 1
		.amdhsa_forward_progress 1
		.amdhsa_inst_pref_size 35
		.amdhsa_round_robin_scheduling 0
		.amdhsa_exception_fp_ieee_invalid_op 0
		.amdhsa_exception_fp_denorm_src 0
		.amdhsa_exception_fp_ieee_div_zero 0
		.amdhsa_exception_fp_ieee_overflow 0
		.amdhsa_exception_fp_ieee_underflow 0
		.amdhsa_exception_fp_ieee_inexact 0
		.amdhsa_exception_int_div_zero 0
	.end_amdhsa_kernel
	.section	.text._ZN7rocprim17ROCPRIM_400000_NS6detail17trampoline_kernelINS0_14default_configENS1_38merge_sort_block_merge_config_selectorItNS0_10empty_typeEEEZZNS1_27merge_sort_block_merge_implIS3_PtPS5_jNS1_19radix_merge_compareILb1ELb1EtNS0_19identity_decomposerEEEEE10hipError_tT0_T1_T2_jT3_P12ihipStream_tbPNSt15iterator_traitsISE_E10value_typeEPNSK_ISF_E10value_typeEPSG_NS1_7vsmem_tEENKUlT_SE_SF_SG_E_clIS8_S8_S9_S9_EESD_ST_SE_SF_SG_EUlST_E0_NS1_11comp_targetILNS1_3genE0ELNS1_11target_archE4294967295ELNS1_3gpuE0ELNS1_3repE0EEENS1_38merge_mergepath_config_static_selectorELNS0_4arch9wavefront6targetE0EEEvSF_,"axG",@progbits,_ZN7rocprim17ROCPRIM_400000_NS6detail17trampoline_kernelINS0_14default_configENS1_38merge_sort_block_merge_config_selectorItNS0_10empty_typeEEEZZNS1_27merge_sort_block_merge_implIS3_PtPS5_jNS1_19radix_merge_compareILb1ELb1EtNS0_19identity_decomposerEEEEE10hipError_tT0_T1_T2_jT3_P12ihipStream_tbPNSt15iterator_traitsISE_E10value_typeEPNSK_ISF_E10value_typeEPSG_NS1_7vsmem_tEENKUlT_SE_SF_SG_E_clIS8_S8_S9_S9_EESD_ST_SE_SF_SG_EUlST_E0_NS1_11comp_targetILNS1_3genE0ELNS1_11target_archE4294967295ELNS1_3gpuE0ELNS1_3repE0EEENS1_38merge_mergepath_config_static_selectorELNS0_4arch9wavefront6targetE0EEEvSF_,comdat
.Lfunc_end2344:
	.size	_ZN7rocprim17ROCPRIM_400000_NS6detail17trampoline_kernelINS0_14default_configENS1_38merge_sort_block_merge_config_selectorItNS0_10empty_typeEEEZZNS1_27merge_sort_block_merge_implIS3_PtPS5_jNS1_19radix_merge_compareILb1ELb1EtNS0_19identity_decomposerEEEEE10hipError_tT0_T1_T2_jT3_P12ihipStream_tbPNSt15iterator_traitsISE_E10value_typeEPNSK_ISF_E10value_typeEPSG_NS1_7vsmem_tEENKUlT_SE_SF_SG_E_clIS8_S8_S9_S9_EESD_ST_SE_SF_SG_EUlST_E0_NS1_11comp_targetILNS1_3genE0ELNS1_11target_archE4294967295ELNS1_3gpuE0ELNS1_3repE0EEENS1_38merge_mergepath_config_static_selectorELNS0_4arch9wavefront6targetE0EEEvSF_, .Lfunc_end2344-_ZN7rocprim17ROCPRIM_400000_NS6detail17trampoline_kernelINS0_14default_configENS1_38merge_sort_block_merge_config_selectorItNS0_10empty_typeEEEZZNS1_27merge_sort_block_merge_implIS3_PtPS5_jNS1_19radix_merge_compareILb1ELb1EtNS0_19identity_decomposerEEEEE10hipError_tT0_T1_T2_jT3_P12ihipStream_tbPNSt15iterator_traitsISE_E10value_typeEPNSK_ISF_E10value_typeEPSG_NS1_7vsmem_tEENKUlT_SE_SF_SG_E_clIS8_S8_S9_S9_EESD_ST_SE_SF_SG_EUlST_E0_NS1_11comp_targetILNS1_3genE0ELNS1_11target_archE4294967295ELNS1_3gpuE0ELNS1_3repE0EEENS1_38merge_mergepath_config_static_selectorELNS0_4arch9wavefront6targetE0EEEvSF_
                                        ; -- End function
	.set _ZN7rocprim17ROCPRIM_400000_NS6detail17trampoline_kernelINS0_14default_configENS1_38merge_sort_block_merge_config_selectorItNS0_10empty_typeEEEZZNS1_27merge_sort_block_merge_implIS3_PtPS5_jNS1_19radix_merge_compareILb1ELb1EtNS0_19identity_decomposerEEEEE10hipError_tT0_T1_T2_jT3_P12ihipStream_tbPNSt15iterator_traitsISE_E10value_typeEPNSK_ISF_E10value_typeEPSG_NS1_7vsmem_tEENKUlT_SE_SF_SG_E_clIS8_S8_S9_S9_EESD_ST_SE_SF_SG_EUlST_E0_NS1_11comp_targetILNS1_3genE0ELNS1_11target_archE4294967295ELNS1_3gpuE0ELNS1_3repE0EEENS1_38merge_mergepath_config_static_selectorELNS0_4arch9wavefront6targetE0EEEvSF_.num_vgpr, 27
	.set _ZN7rocprim17ROCPRIM_400000_NS6detail17trampoline_kernelINS0_14default_configENS1_38merge_sort_block_merge_config_selectorItNS0_10empty_typeEEEZZNS1_27merge_sort_block_merge_implIS3_PtPS5_jNS1_19radix_merge_compareILb1ELb1EtNS0_19identity_decomposerEEEEE10hipError_tT0_T1_T2_jT3_P12ihipStream_tbPNSt15iterator_traitsISE_E10value_typeEPNSK_ISF_E10value_typeEPSG_NS1_7vsmem_tEENKUlT_SE_SF_SG_E_clIS8_S8_S9_S9_EESD_ST_SE_SF_SG_EUlST_E0_NS1_11comp_targetILNS1_3genE0ELNS1_11target_archE4294967295ELNS1_3gpuE0ELNS1_3repE0EEENS1_38merge_mergepath_config_static_selectorELNS0_4arch9wavefront6targetE0EEEvSF_.num_agpr, 0
	.set _ZN7rocprim17ROCPRIM_400000_NS6detail17trampoline_kernelINS0_14default_configENS1_38merge_sort_block_merge_config_selectorItNS0_10empty_typeEEEZZNS1_27merge_sort_block_merge_implIS3_PtPS5_jNS1_19radix_merge_compareILb1ELb1EtNS0_19identity_decomposerEEEEE10hipError_tT0_T1_T2_jT3_P12ihipStream_tbPNSt15iterator_traitsISE_E10value_typeEPNSK_ISF_E10value_typeEPSG_NS1_7vsmem_tEENKUlT_SE_SF_SG_E_clIS8_S8_S9_S9_EESD_ST_SE_SF_SG_EUlST_E0_NS1_11comp_targetILNS1_3genE0ELNS1_11target_archE4294967295ELNS1_3gpuE0ELNS1_3repE0EEENS1_38merge_mergepath_config_static_selectorELNS0_4arch9wavefront6targetE0EEEvSF_.numbered_sgpr, 23
	.set _ZN7rocprim17ROCPRIM_400000_NS6detail17trampoline_kernelINS0_14default_configENS1_38merge_sort_block_merge_config_selectorItNS0_10empty_typeEEEZZNS1_27merge_sort_block_merge_implIS3_PtPS5_jNS1_19radix_merge_compareILb1ELb1EtNS0_19identity_decomposerEEEEE10hipError_tT0_T1_T2_jT3_P12ihipStream_tbPNSt15iterator_traitsISE_E10value_typeEPNSK_ISF_E10value_typeEPSG_NS1_7vsmem_tEENKUlT_SE_SF_SG_E_clIS8_S8_S9_S9_EESD_ST_SE_SF_SG_EUlST_E0_NS1_11comp_targetILNS1_3genE0ELNS1_11target_archE4294967295ELNS1_3gpuE0ELNS1_3repE0EEENS1_38merge_mergepath_config_static_selectorELNS0_4arch9wavefront6targetE0EEEvSF_.num_named_barrier, 0
	.set _ZN7rocprim17ROCPRIM_400000_NS6detail17trampoline_kernelINS0_14default_configENS1_38merge_sort_block_merge_config_selectorItNS0_10empty_typeEEEZZNS1_27merge_sort_block_merge_implIS3_PtPS5_jNS1_19radix_merge_compareILb1ELb1EtNS0_19identity_decomposerEEEEE10hipError_tT0_T1_T2_jT3_P12ihipStream_tbPNSt15iterator_traitsISE_E10value_typeEPNSK_ISF_E10value_typeEPSG_NS1_7vsmem_tEENKUlT_SE_SF_SG_E_clIS8_S8_S9_S9_EESD_ST_SE_SF_SG_EUlST_E0_NS1_11comp_targetILNS1_3genE0ELNS1_11target_archE4294967295ELNS1_3gpuE0ELNS1_3repE0EEENS1_38merge_mergepath_config_static_selectorELNS0_4arch9wavefront6targetE0EEEvSF_.private_seg_size, 0
	.set _ZN7rocprim17ROCPRIM_400000_NS6detail17trampoline_kernelINS0_14default_configENS1_38merge_sort_block_merge_config_selectorItNS0_10empty_typeEEEZZNS1_27merge_sort_block_merge_implIS3_PtPS5_jNS1_19radix_merge_compareILb1ELb1EtNS0_19identity_decomposerEEEEE10hipError_tT0_T1_T2_jT3_P12ihipStream_tbPNSt15iterator_traitsISE_E10value_typeEPNSK_ISF_E10value_typeEPSG_NS1_7vsmem_tEENKUlT_SE_SF_SG_E_clIS8_S8_S9_S9_EESD_ST_SE_SF_SG_EUlST_E0_NS1_11comp_targetILNS1_3genE0ELNS1_11target_archE4294967295ELNS1_3gpuE0ELNS1_3repE0EEENS1_38merge_mergepath_config_static_selectorELNS0_4arch9wavefront6targetE0EEEvSF_.uses_vcc, 1
	.set _ZN7rocprim17ROCPRIM_400000_NS6detail17trampoline_kernelINS0_14default_configENS1_38merge_sort_block_merge_config_selectorItNS0_10empty_typeEEEZZNS1_27merge_sort_block_merge_implIS3_PtPS5_jNS1_19radix_merge_compareILb1ELb1EtNS0_19identity_decomposerEEEEE10hipError_tT0_T1_T2_jT3_P12ihipStream_tbPNSt15iterator_traitsISE_E10value_typeEPNSK_ISF_E10value_typeEPSG_NS1_7vsmem_tEENKUlT_SE_SF_SG_E_clIS8_S8_S9_S9_EESD_ST_SE_SF_SG_EUlST_E0_NS1_11comp_targetILNS1_3genE0ELNS1_11target_archE4294967295ELNS1_3gpuE0ELNS1_3repE0EEENS1_38merge_mergepath_config_static_selectorELNS0_4arch9wavefront6targetE0EEEvSF_.uses_flat_scratch, 0
	.set _ZN7rocprim17ROCPRIM_400000_NS6detail17trampoline_kernelINS0_14default_configENS1_38merge_sort_block_merge_config_selectorItNS0_10empty_typeEEEZZNS1_27merge_sort_block_merge_implIS3_PtPS5_jNS1_19radix_merge_compareILb1ELb1EtNS0_19identity_decomposerEEEEE10hipError_tT0_T1_T2_jT3_P12ihipStream_tbPNSt15iterator_traitsISE_E10value_typeEPNSK_ISF_E10value_typeEPSG_NS1_7vsmem_tEENKUlT_SE_SF_SG_E_clIS8_S8_S9_S9_EESD_ST_SE_SF_SG_EUlST_E0_NS1_11comp_targetILNS1_3genE0ELNS1_11target_archE4294967295ELNS1_3gpuE0ELNS1_3repE0EEENS1_38merge_mergepath_config_static_selectorELNS0_4arch9wavefront6targetE0EEEvSF_.has_dyn_sized_stack, 0
	.set _ZN7rocprim17ROCPRIM_400000_NS6detail17trampoline_kernelINS0_14default_configENS1_38merge_sort_block_merge_config_selectorItNS0_10empty_typeEEEZZNS1_27merge_sort_block_merge_implIS3_PtPS5_jNS1_19radix_merge_compareILb1ELb1EtNS0_19identity_decomposerEEEEE10hipError_tT0_T1_T2_jT3_P12ihipStream_tbPNSt15iterator_traitsISE_E10value_typeEPNSK_ISF_E10value_typeEPSG_NS1_7vsmem_tEENKUlT_SE_SF_SG_E_clIS8_S8_S9_S9_EESD_ST_SE_SF_SG_EUlST_E0_NS1_11comp_targetILNS1_3genE0ELNS1_11target_archE4294967295ELNS1_3gpuE0ELNS1_3repE0EEENS1_38merge_mergepath_config_static_selectorELNS0_4arch9wavefront6targetE0EEEvSF_.has_recursion, 0
	.set _ZN7rocprim17ROCPRIM_400000_NS6detail17trampoline_kernelINS0_14default_configENS1_38merge_sort_block_merge_config_selectorItNS0_10empty_typeEEEZZNS1_27merge_sort_block_merge_implIS3_PtPS5_jNS1_19radix_merge_compareILb1ELb1EtNS0_19identity_decomposerEEEEE10hipError_tT0_T1_T2_jT3_P12ihipStream_tbPNSt15iterator_traitsISE_E10value_typeEPNSK_ISF_E10value_typeEPSG_NS1_7vsmem_tEENKUlT_SE_SF_SG_E_clIS8_S8_S9_S9_EESD_ST_SE_SF_SG_EUlST_E0_NS1_11comp_targetILNS1_3genE0ELNS1_11target_archE4294967295ELNS1_3gpuE0ELNS1_3repE0EEENS1_38merge_mergepath_config_static_selectorELNS0_4arch9wavefront6targetE0EEEvSF_.has_indirect_call, 0
	.section	.AMDGPU.csdata,"",@progbits
; Kernel info:
; codeLenInByte = 4472
; TotalNumSgprs: 25
; NumVgprs: 27
; ScratchSize: 0
; MemoryBound: 0
; FloatMode: 240
; IeeeMode: 1
; LDSByteSize: 2112 bytes/workgroup (compile time only)
; SGPRBlocks: 0
; VGPRBlocks: 1
; NumSGPRsForWavesPerEU: 25
; NumVGPRsForWavesPerEU: 27
; NamedBarCnt: 0
; Occupancy: 16
; WaveLimiterHint : 1
; COMPUTE_PGM_RSRC2:SCRATCH_EN: 0
; COMPUTE_PGM_RSRC2:USER_SGPR: 2
; COMPUTE_PGM_RSRC2:TRAP_HANDLER: 0
; COMPUTE_PGM_RSRC2:TGID_X_EN: 1
; COMPUTE_PGM_RSRC2:TGID_Y_EN: 1
; COMPUTE_PGM_RSRC2:TGID_Z_EN: 1
; COMPUTE_PGM_RSRC2:TIDIG_COMP_CNT: 0
	.section	.text._ZN7rocprim17ROCPRIM_400000_NS6detail17trampoline_kernelINS0_14default_configENS1_38merge_sort_block_merge_config_selectorItNS0_10empty_typeEEEZZNS1_27merge_sort_block_merge_implIS3_PtPS5_jNS1_19radix_merge_compareILb1ELb1EtNS0_19identity_decomposerEEEEE10hipError_tT0_T1_T2_jT3_P12ihipStream_tbPNSt15iterator_traitsISE_E10value_typeEPNSK_ISF_E10value_typeEPSG_NS1_7vsmem_tEENKUlT_SE_SF_SG_E_clIS8_S8_S9_S9_EESD_ST_SE_SF_SG_EUlST_E0_NS1_11comp_targetILNS1_3genE10ELNS1_11target_archE1201ELNS1_3gpuE5ELNS1_3repE0EEENS1_38merge_mergepath_config_static_selectorELNS0_4arch9wavefront6targetE0EEEvSF_,"axG",@progbits,_ZN7rocprim17ROCPRIM_400000_NS6detail17trampoline_kernelINS0_14default_configENS1_38merge_sort_block_merge_config_selectorItNS0_10empty_typeEEEZZNS1_27merge_sort_block_merge_implIS3_PtPS5_jNS1_19radix_merge_compareILb1ELb1EtNS0_19identity_decomposerEEEEE10hipError_tT0_T1_T2_jT3_P12ihipStream_tbPNSt15iterator_traitsISE_E10value_typeEPNSK_ISF_E10value_typeEPSG_NS1_7vsmem_tEENKUlT_SE_SF_SG_E_clIS8_S8_S9_S9_EESD_ST_SE_SF_SG_EUlST_E0_NS1_11comp_targetILNS1_3genE10ELNS1_11target_archE1201ELNS1_3gpuE5ELNS1_3repE0EEENS1_38merge_mergepath_config_static_selectorELNS0_4arch9wavefront6targetE0EEEvSF_,comdat
	.protected	_ZN7rocprim17ROCPRIM_400000_NS6detail17trampoline_kernelINS0_14default_configENS1_38merge_sort_block_merge_config_selectorItNS0_10empty_typeEEEZZNS1_27merge_sort_block_merge_implIS3_PtPS5_jNS1_19radix_merge_compareILb1ELb1EtNS0_19identity_decomposerEEEEE10hipError_tT0_T1_T2_jT3_P12ihipStream_tbPNSt15iterator_traitsISE_E10value_typeEPNSK_ISF_E10value_typeEPSG_NS1_7vsmem_tEENKUlT_SE_SF_SG_E_clIS8_S8_S9_S9_EESD_ST_SE_SF_SG_EUlST_E0_NS1_11comp_targetILNS1_3genE10ELNS1_11target_archE1201ELNS1_3gpuE5ELNS1_3repE0EEENS1_38merge_mergepath_config_static_selectorELNS0_4arch9wavefront6targetE0EEEvSF_ ; -- Begin function _ZN7rocprim17ROCPRIM_400000_NS6detail17trampoline_kernelINS0_14default_configENS1_38merge_sort_block_merge_config_selectorItNS0_10empty_typeEEEZZNS1_27merge_sort_block_merge_implIS3_PtPS5_jNS1_19radix_merge_compareILb1ELb1EtNS0_19identity_decomposerEEEEE10hipError_tT0_T1_T2_jT3_P12ihipStream_tbPNSt15iterator_traitsISE_E10value_typeEPNSK_ISF_E10value_typeEPSG_NS1_7vsmem_tEENKUlT_SE_SF_SG_E_clIS8_S8_S9_S9_EESD_ST_SE_SF_SG_EUlST_E0_NS1_11comp_targetILNS1_3genE10ELNS1_11target_archE1201ELNS1_3gpuE5ELNS1_3repE0EEENS1_38merge_mergepath_config_static_selectorELNS0_4arch9wavefront6targetE0EEEvSF_
	.globl	_ZN7rocprim17ROCPRIM_400000_NS6detail17trampoline_kernelINS0_14default_configENS1_38merge_sort_block_merge_config_selectorItNS0_10empty_typeEEEZZNS1_27merge_sort_block_merge_implIS3_PtPS5_jNS1_19radix_merge_compareILb1ELb1EtNS0_19identity_decomposerEEEEE10hipError_tT0_T1_T2_jT3_P12ihipStream_tbPNSt15iterator_traitsISE_E10value_typeEPNSK_ISF_E10value_typeEPSG_NS1_7vsmem_tEENKUlT_SE_SF_SG_E_clIS8_S8_S9_S9_EESD_ST_SE_SF_SG_EUlST_E0_NS1_11comp_targetILNS1_3genE10ELNS1_11target_archE1201ELNS1_3gpuE5ELNS1_3repE0EEENS1_38merge_mergepath_config_static_selectorELNS0_4arch9wavefront6targetE0EEEvSF_
	.p2align	8
	.type	_ZN7rocprim17ROCPRIM_400000_NS6detail17trampoline_kernelINS0_14default_configENS1_38merge_sort_block_merge_config_selectorItNS0_10empty_typeEEEZZNS1_27merge_sort_block_merge_implIS3_PtPS5_jNS1_19radix_merge_compareILb1ELb1EtNS0_19identity_decomposerEEEEE10hipError_tT0_T1_T2_jT3_P12ihipStream_tbPNSt15iterator_traitsISE_E10value_typeEPNSK_ISF_E10value_typeEPSG_NS1_7vsmem_tEENKUlT_SE_SF_SG_E_clIS8_S8_S9_S9_EESD_ST_SE_SF_SG_EUlST_E0_NS1_11comp_targetILNS1_3genE10ELNS1_11target_archE1201ELNS1_3gpuE5ELNS1_3repE0EEENS1_38merge_mergepath_config_static_selectorELNS0_4arch9wavefront6targetE0EEEvSF_,@function
_ZN7rocprim17ROCPRIM_400000_NS6detail17trampoline_kernelINS0_14default_configENS1_38merge_sort_block_merge_config_selectorItNS0_10empty_typeEEEZZNS1_27merge_sort_block_merge_implIS3_PtPS5_jNS1_19radix_merge_compareILb1ELb1EtNS0_19identity_decomposerEEEEE10hipError_tT0_T1_T2_jT3_P12ihipStream_tbPNSt15iterator_traitsISE_E10value_typeEPNSK_ISF_E10value_typeEPSG_NS1_7vsmem_tEENKUlT_SE_SF_SG_E_clIS8_S8_S9_S9_EESD_ST_SE_SF_SG_EUlST_E0_NS1_11comp_targetILNS1_3genE10ELNS1_11target_archE1201ELNS1_3gpuE5ELNS1_3repE0EEENS1_38merge_mergepath_config_static_selectorELNS0_4arch9wavefront6targetE0EEEvSF_: ; @_ZN7rocprim17ROCPRIM_400000_NS6detail17trampoline_kernelINS0_14default_configENS1_38merge_sort_block_merge_config_selectorItNS0_10empty_typeEEEZZNS1_27merge_sort_block_merge_implIS3_PtPS5_jNS1_19radix_merge_compareILb1ELb1EtNS0_19identity_decomposerEEEEE10hipError_tT0_T1_T2_jT3_P12ihipStream_tbPNSt15iterator_traitsISE_E10value_typeEPNSK_ISF_E10value_typeEPSG_NS1_7vsmem_tEENKUlT_SE_SF_SG_E_clIS8_S8_S9_S9_EESD_ST_SE_SF_SG_EUlST_E0_NS1_11comp_targetILNS1_3genE10ELNS1_11target_archE1201ELNS1_3gpuE5ELNS1_3repE0EEENS1_38merge_mergepath_config_static_selectorELNS0_4arch9wavefront6targetE0EEEvSF_
; %bb.0:
	.section	.rodata,"a",@progbits
	.p2align	6, 0x0
	.amdhsa_kernel _ZN7rocprim17ROCPRIM_400000_NS6detail17trampoline_kernelINS0_14default_configENS1_38merge_sort_block_merge_config_selectorItNS0_10empty_typeEEEZZNS1_27merge_sort_block_merge_implIS3_PtPS5_jNS1_19radix_merge_compareILb1ELb1EtNS0_19identity_decomposerEEEEE10hipError_tT0_T1_T2_jT3_P12ihipStream_tbPNSt15iterator_traitsISE_E10value_typeEPNSK_ISF_E10value_typeEPSG_NS1_7vsmem_tEENKUlT_SE_SF_SG_E_clIS8_S8_S9_S9_EESD_ST_SE_SF_SG_EUlST_E0_NS1_11comp_targetILNS1_3genE10ELNS1_11target_archE1201ELNS1_3gpuE5ELNS1_3repE0EEENS1_38merge_mergepath_config_static_selectorELNS0_4arch9wavefront6targetE0EEEvSF_
		.amdhsa_group_segment_fixed_size 0
		.amdhsa_private_segment_fixed_size 0
		.amdhsa_kernarg_size 64
		.amdhsa_user_sgpr_count 2
		.amdhsa_user_sgpr_dispatch_ptr 0
		.amdhsa_user_sgpr_queue_ptr 0
		.amdhsa_user_sgpr_kernarg_segment_ptr 1
		.amdhsa_user_sgpr_dispatch_id 0
		.amdhsa_user_sgpr_kernarg_preload_length 0
		.amdhsa_user_sgpr_kernarg_preload_offset 0
		.amdhsa_user_sgpr_private_segment_size 0
		.amdhsa_wavefront_size32 1
		.amdhsa_uses_dynamic_stack 0
		.amdhsa_enable_private_segment 0
		.amdhsa_system_sgpr_workgroup_id_x 1
		.amdhsa_system_sgpr_workgroup_id_y 0
		.amdhsa_system_sgpr_workgroup_id_z 0
		.amdhsa_system_sgpr_workgroup_info 0
		.amdhsa_system_vgpr_workitem_id 0
		.amdhsa_next_free_vgpr 1
		.amdhsa_next_free_sgpr 1
		.amdhsa_named_barrier_count 0
		.amdhsa_reserve_vcc 0
		.amdhsa_float_round_mode_32 0
		.amdhsa_float_round_mode_16_64 0
		.amdhsa_float_denorm_mode_32 3
		.amdhsa_float_denorm_mode_16_64 3
		.amdhsa_fp16_overflow 0
		.amdhsa_memory_ordered 1
		.amdhsa_forward_progress 1
		.amdhsa_inst_pref_size 0
		.amdhsa_round_robin_scheduling 0
		.amdhsa_exception_fp_ieee_invalid_op 0
		.amdhsa_exception_fp_denorm_src 0
		.amdhsa_exception_fp_ieee_div_zero 0
		.amdhsa_exception_fp_ieee_overflow 0
		.amdhsa_exception_fp_ieee_underflow 0
		.amdhsa_exception_fp_ieee_inexact 0
		.amdhsa_exception_int_div_zero 0
	.end_amdhsa_kernel
	.section	.text._ZN7rocprim17ROCPRIM_400000_NS6detail17trampoline_kernelINS0_14default_configENS1_38merge_sort_block_merge_config_selectorItNS0_10empty_typeEEEZZNS1_27merge_sort_block_merge_implIS3_PtPS5_jNS1_19radix_merge_compareILb1ELb1EtNS0_19identity_decomposerEEEEE10hipError_tT0_T1_T2_jT3_P12ihipStream_tbPNSt15iterator_traitsISE_E10value_typeEPNSK_ISF_E10value_typeEPSG_NS1_7vsmem_tEENKUlT_SE_SF_SG_E_clIS8_S8_S9_S9_EESD_ST_SE_SF_SG_EUlST_E0_NS1_11comp_targetILNS1_3genE10ELNS1_11target_archE1201ELNS1_3gpuE5ELNS1_3repE0EEENS1_38merge_mergepath_config_static_selectorELNS0_4arch9wavefront6targetE0EEEvSF_,"axG",@progbits,_ZN7rocprim17ROCPRIM_400000_NS6detail17trampoline_kernelINS0_14default_configENS1_38merge_sort_block_merge_config_selectorItNS0_10empty_typeEEEZZNS1_27merge_sort_block_merge_implIS3_PtPS5_jNS1_19radix_merge_compareILb1ELb1EtNS0_19identity_decomposerEEEEE10hipError_tT0_T1_T2_jT3_P12ihipStream_tbPNSt15iterator_traitsISE_E10value_typeEPNSK_ISF_E10value_typeEPSG_NS1_7vsmem_tEENKUlT_SE_SF_SG_E_clIS8_S8_S9_S9_EESD_ST_SE_SF_SG_EUlST_E0_NS1_11comp_targetILNS1_3genE10ELNS1_11target_archE1201ELNS1_3gpuE5ELNS1_3repE0EEENS1_38merge_mergepath_config_static_selectorELNS0_4arch9wavefront6targetE0EEEvSF_,comdat
.Lfunc_end2345:
	.size	_ZN7rocprim17ROCPRIM_400000_NS6detail17trampoline_kernelINS0_14default_configENS1_38merge_sort_block_merge_config_selectorItNS0_10empty_typeEEEZZNS1_27merge_sort_block_merge_implIS3_PtPS5_jNS1_19radix_merge_compareILb1ELb1EtNS0_19identity_decomposerEEEEE10hipError_tT0_T1_T2_jT3_P12ihipStream_tbPNSt15iterator_traitsISE_E10value_typeEPNSK_ISF_E10value_typeEPSG_NS1_7vsmem_tEENKUlT_SE_SF_SG_E_clIS8_S8_S9_S9_EESD_ST_SE_SF_SG_EUlST_E0_NS1_11comp_targetILNS1_3genE10ELNS1_11target_archE1201ELNS1_3gpuE5ELNS1_3repE0EEENS1_38merge_mergepath_config_static_selectorELNS0_4arch9wavefront6targetE0EEEvSF_, .Lfunc_end2345-_ZN7rocprim17ROCPRIM_400000_NS6detail17trampoline_kernelINS0_14default_configENS1_38merge_sort_block_merge_config_selectorItNS0_10empty_typeEEEZZNS1_27merge_sort_block_merge_implIS3_PtPS5_jNS1_19radix_merge_compareILb1ELb1EtNS0_19identity_decomposerEEEEE10hipError_tT0_T1_T2_jT3_P12ihipStream_tbPNSt15iterator_traitsISE_E10value_typeEPNSK_ISF_E10value_typeEPSG_NS1_7vsmem_tEENKUlT_SE_SF_SG_E_clIS8_S8_S9_S9_EESD_ST_SE_SF_SG_EUlST_E0_NS1_11comp_targetILNS1_3genE10ELNS1_11target_archE1201ELNS1_3gpuE5ELNS1_3repE0EEENS1_38merge_mergepath_config_static_selectorELNS0_4arch9wavefront6targetE0EEEvSF_
                                        ; -- End function
	.set _ZN7rocprim17ROCPRIM_400000_NS6detail17trampoline_kernelINS0_14default_configENS1_38merge_sort_block_merge_config_selectorItNS0_10empty_typeEEEZZNS1_27merge_sort_block_merge_implIS3_PtPS5_jNS1_19radix_merge_compareILb1ELb1EtNS0_19identity_decomposerEEEEE10hipError_tT0_T1_T2_jT3_P12ihipStream_tbPNSt15iterator_traitsISE_E10value_typeEPNSK_ISF_E10value_typeEPSG_NS1_7vsmem_tEENKUlT_SE_SF_SG_E_clIS8_S8_S9_S9_EESD_ST_SE_SF_SG_EUlST_E0_NS1_11comp_targetILNS1_3genE10ELNS1_11target_archE1201ELNS1_3gpuE5ELNS1_3repE0EEENS1_38merge_mergepath_config_static_selectorELNS0_4arch9wavefront6targetE0EEEvSF_.num_vgpr, 0
	.set _ZN7rocprim17ROCPRIM_400000_NS6detail17trampoline_kernelINS0_14default_configENS1_38merge_sort_block_merge_config_selectorItNS0_10empty_typeEEEZZNS1_27merge_sort_block_merge_implIS3_PtPS5_jNS1_19radix_merge_compareILb1ELb1EtNS0_19identity_decomposerEEEEE10hipError_tT0_T1_T2_jT3_P12ihipStream_tbPNSt15iterator_traitsISE_E10value_typeEPNSK_ISF_E10value_typeEPSG_NS1_7vsmem_tEENKUlT_SE_SF_SG_E_clIS8_S8_S9_S9_EESD_ST_SE_SF_SG_EUlST_E0_NS1_11comp_targetILNS1_3genE10ELNS1_11target_archE1201ELNS1_3gpuE5ELNS1_3repE0EEENS1_38merge_mergepath_config_static_selectorELNS0_4arch9wavefront6targetE0EEEvSF_.num_agpr, 0
	.set _ZN7rocprim17ROCPRIM_400000_NS6detail17trampoline_kernelINS0_14default_configENS1_38merge_sort_block_merge_config_selectorItNS0_10empty_typeEEEZZNS1_27merge_sort_block_merge_implIS3_PtPS5_jNS1_19radix_merge_compareILb1ELb1EtNS0_19identity_decomposerEEEEE10hipError_tT0_T1_T2_jT3_P12ihipStream_tbPNSt15iterator_traitsISE_E10value_typeEPNSK_ISF_E10value_typeEPSG_NS1_7vsmem_tEENKUlT_SE_SF_SG_E_clIS8_S8_S9_S9_EESD_ST_SE_SF_SG_EUlST_E0_NS1_11comp_targetILNS1_3genE10ELNS1_11target_archE1201ELNS1_3gpuE5ELNS1_3repE0EEENS1_38merge_mergepath_config_static_selectorELNS0_4arch9wavefront6targetE0EEEvSF_.numbered_sgpr, 0
	.set _ZN7rocprim17ROCPRIM_400000_NS6detail17trampoline_kernelINS0_14default_configENS1_38merge_sort_block_merge_config_selectorItNS0_10empty_typeEEEZZNS1_27merge_sort_block_merge_implIS3_PtPS5_jNS1_19radix_merge_compareILb1ELb1EtNS0_19identity_decomposerEEEEE10hipError_tT0_T1_T2_jT3_P12ihipStream_tbPNSt15iterator_traitsISE_E10value_typeEPNSK_ISF_E10value_typeEPSG_NS1_7vsmem_tEENKUlT_SE_SF_SG_E_clIS8_S8_S9_S9_EESD_ST_SE_SF_SG_EUlST_E0_NS1_11comp_targetILNS1_3genE10ELNS1_11target_archE1201ELNS1_3gpuE5ELNS1_3repE0EEENS1_38merge_mergepath_config_static_selectorELNS0_4arch9wavefront6targetE0EEEvSF_.num_named_barrier, 0
	.set _ZN7rocprim17ROCPRIM_400000_NS6detail17trampoline_kernelINS0_14default_configENS1_38merge_sort_block_merge_config_selectorItNS0_10empty_typeEEEZZNS1_27merge_sort_block_merge_implIS3_PtPS5_jNS1_19radix_merge_compareILb1ELb1EtNS0_19identity_decomposerEEEEE10hipError_tT0_T1_T2_jT3_P12ihipStream_tbPNSt15iterator_traitsISE_E10value_typeEPNSK_ISF_E10value_typeEPSG_NS1_7vsmem_tEENKUlT_SE_SF_SG_E_clIS8_S8_S9_S9_EESD_ST_SE_SF_SG_EUlST_E0_NS1_11comp_targetILNS1_3genE10ELNS1_11target_archE1201ELNS1_3gpuE5ELNS1_3repE0EEENS1_38merge_mergepath_config_static_selectorELNS0_4arch9wavefront6targetE0EEEvSF_.private_seg_size, 0
	.set _ZN7rocprim17ROCPRIM_400000_NS6detail17trampoline_kernelINS0_14default_configENS1_38merge_sort_block_merge_config_selectorItNS0_10empty_typeEEEZZNS1_27merge_sort_block_merge_implIS3_PtPS5_jNS1_19radix_merge_compareILb1ELb1EtNS0_19identity_decomposerEEEEE10hipError_tT0_T1_T2_jT3_P12ihipStream_tbPNSt15iterator_traitsISE_E10value_typeEPNSK_ISF_E10value_typeEPSG_NS1_7vsmem_tEENKUlT_SE_SF_SG_E_clIS8_S8_S9_S9_EESD_ST_SE_SF_SG_EUlST_E0_NS1_11comp_targetILNS1_3genE10ELNS1_11target_archE1201ELNS1_3gpuE5ELNS1_3repE0EEENS1_38merge_mergepath_config_static_selectorELNS0_4arch9wavefront6targetE0EEEvSF_.uses_vcc, 0
	.set _ZN7rocprim17ROCPRIM_400000_NS6detail17trampoline_kernelINS0_14default_configENS1_38merge_sort_block_merge_config_selectorItNS0_10empty_typeEEEZZNS1_27merge_sort_block_merge_implIS3_PtPS5_jNS1_19radix_merge_compareILb1ELb1EtNS0_19identity_decomposerEEEEE10hipError_tT0_T1_T2_jT3_P12ihipStream_tbPNSt15iterator_traitsISE_E10value_typeEPNSK_ISF_E10value_typeEPSG_NS1_7vsmem_tEENKUlT_SE_SF_SG_E_clIS8_S8_S9_S9_EESD_ST_SE_SF_SG_EUlST_E0_NS1_11comp_targetILNS1_3genE10ELNS1_11target_archE1201ELNS1_3gpuE5ELNS1_3repE0EEENS1_38merge_mergepath_config_static_selectorELNS0_4arch9wavefront6targetE0EEEvSF_.uses_flat_scratch, 0
	.set _ZN7rocprim17ROCPRIM_400000_NS6detail17trampoline_kernelINS0_14default_configENS1_38merge_sort_block_merge_config_selectorItNS0_10empty_typeEEEZZNS1_27merge_sort_block_merge_implIS3_PtPS5_jNS1_19radix_merge_compareILb1ELb1EtNS0_19identity_decomposerEEEEE10hipError_tT0_T1_T2_jT3_P12ihipStream_tbPNSt15iterator_traitsISE_E10value_typeEPNSK_ISF_E10value_typeEPSG_NS1_7vsmem_tEENKUlT_SE_SF_SG_E_clIS8_S8_S9_S9_EESD_ST_SE_SF_SG_EUlST_E0_NS1_11comp_targetILNS1_3genE10ELNS1_11target_archE1201ELNS1_3gpuE5ELNS1_3repE0EEENS1_38merge_mergepath_config_static_selectorELNS0_4arch9wavefront6targetE0EEEvSF_.has_dyn_sized_stack, 0
	.set _ZN7rocprim17ROCPRIM_400000_NS6detail17trampoline_kernelINS0_14default_configENS1_38merge_sort_block_merge_config_selectorItNS0_10empty_typeEEEZZNS1_27merge_sort_block_merge_implIS3_PtPS5_jNS1_19radix_merge_compareILb1ELb1EtNS0_19identity_decomposerEEEEE10hipError_tT0_T1_T2_jT3_P12ihipStream_tbPNSt15iterator_traitsISE_E10value_typeEPNSK_ISF_E10value_typeEPSG_NS1_7vsmem_tEENKUlT_SE_SF_SG_E_clIS8_S8_S9_S9_EESD_ST_SE_SF_SG_EUlST_E0_NS1_11comp_targetILNS1_3genE10ELNS1_11target_archE1201ELNS1_3gpuE5ELNS1_3repE0EEENS1_38merge_mergepath_config_static_selectorELNS0_4arch9wavefront6targetE0EEEvSF_.has_recursion, 0
	.set _ZN7rocprim17ROCPRIM_400000_NS6detail17trampoline_kernelINS0_14default_configENS1_38merge_sort_block_merge_config_selectorItNS0_10empty_typeEEEZZNS1_27merge_sort_block_merge_implIS3_PtPS5_jNS1_19radix_merge_compareILb1ELb1EtNS0_19identity_decomposerEEEEE10hipError_tT0_T1_T2_jT3_P12ihipStream_tbPNSt15iterator_traitsISE_E10value_typeEPNSK_ISF_E10value_typeEPSG_NS1_7vsmem_tEENKUlT_SE_SF_SG_E_clIS8_S8_S9_S9_EESD_ST_SE_SF_SG_EUlST_E0_NS1_11comp_targetILNS1_3genE10ELNS1_11target_archE1201ELNS1_3gpuE5ELNS1_3repE0EEENS1_38merge_mergepath_config_static_selectorELNS0_4arch9wavefront6targetE0EEEvSF_.has_indirect_call, 0
	.section	.AMDGPU.csdata,"",@progbits
; Kernel info:
; codeLenInByte = 0
; TotalNumSgprs: 0
; NumVgprs: 0
; ScratchSize: 0
; MemoryBound: 0
; FloatMode: 240
; IeeeMode: 1
; LDSByteSize: 0 bytes/workgroup (compile time only)
; SGPRBlocks: 0
; VGPRBlocks: 0
; NumSGPRsForWavesPerEU: 1
; NumVGPRsForWavesPerEU: 1
; NamedBarCnt: 0
; Occupancy: 16
; WaveLimiterHint : 0
; COMPUTE_PGM_RSRC2:SCRATCH_EN: 0
; COMPUTE_PGM_RSRC2:USER_SGPR: 2
; COMPUTE_PGM_RSRC2:TRAP_HANDLER: 0
; COMPUTE_PGM_RSRC2:TGID_X_EN: 1
; COMPUTE_PGM_RSRC2:TGID_Y_EN: 0
; COMPUTE_PGM_RSRC2:TGID_Z_EN: 0
; COMPUTE_PGM_RSRC2:TIDIG_COMP_CNT: 0
	.section	.text._ZN7rocprim17ROCPRIM_400000_NS6detail17trampoline_kernelINS0_14default_configENS1_38merge_sort_block_merge_config_selectorItNS0_10empty_typeEEEZZNS1_27merge_sort_block_merge_implIS3_PtPS5_jNS1_19radix_merge_compareILb1ELb1EtNS0_19identity_decomposerEEEEE10hipError_tT0_T1_T2_jT3_P12ihipStream_tbPNSt15iterator_traitsISE_E10value_typeEPNSK_ISF_E10value_typeEPSG_NS1_7vsmem_tEENKUlT_SE_SF_SG_E_clIS8_S8_S9_S9_EESD_ST_SE_SF_SG_EUlST_E0_NS1_11comp_targetILNS1_3genE5ELNS1_11target_archE942ELNS1_3gpuE9ELNS1_3repE0EEENS1_38merge_mergepath_config_static_selectorELNS0_4arch9wavefront6targetE0EEEvSF_,"axG",@progbits,_ZN7rocprim17ROCPRIM_400000_NS6detail17trampoline_kernelINS0_14default_configENS1_38merge_sort_block_merge_config_selectorItNS0_10empty_typeEEEZZNS1_27merge_sort_block_merge_implIS3_PtPS5_jNS1_19radix_merge_compareILb1ELb1EtNS0_19identity_decomposerEEEEE10hipError_tT0_T1_T2_jT3_P12ihipStream_tbPNSt15iterator_traitsISE_E10value_typeEPNSK_ISF_E10value_typeEPSG_NS1_7vsmem_tEENKUlT_SE_SF_SG_E_clIS8_S8_S9_S9_EESD_ST_SE_SF_SG_EUlST_E0_NS1_11comp_targetILNS1_3genE5ELNS1_11target_archE942ELNS1_3gpuE9ELNS1_3repE0EEENS1_38merge_mergepath_config_static_selectorELNS0_4arch9wavefront6targetE0EEEvSF_,comdat
	.protected	_ZN7rocprim17ROCPRIM_400000_NS6detail17trampoline_kernelINS0_14default_configENS1_38merge_sort_block_merge_config_selectorItNS0_10empty_typeEEEZZNS1_27merge_sort_block_merge_implIS3_PtPS5_jNS1_19radix_merge_compareILb1ELb1EtNS0_19identity_decomposerEEEEE10hipError_tT0_T1_T2_jT3_P12ihipStream_tbPNSt15iterator_traitsISE_E10value_typeEPNSK_ISF_E10value_typeEPSG_NS1_7vsmem_tEENKUlT_SE_SF_SG_E_clIS8_S8_S9_S9_EESD_ST_SE_SF_SG_EUlST_E0_NS1_11comp_targetILNS1_3genE5ELNS1_11target_archE942ELNS1_3gpuE9ELNS1_3repE0EEENS1_38merge_mergepath_config_static_selectorELNS0_4arch9wavefront6targetE0EEEvSF_ ; -- Begin function _ZN7rocprim17ROCPRIM_400000_NS6detail17trampoline_kernelINS0_14default_configENS1_38merge_sort_block_merge_config_selectorItNS0_10empty_typeEEEZZNS1_27merge_sort_block_merge_implIS3_PtPS5_jNS1_19radix_merge_compareILb1ELb1EtNS0_19identity_decomposerEEEEE10hipError_tT0_T1_T2_jT3_P12ihipStream_tbPNSt15iterator_traitsISE_E10value_typeEPNSK_ISF_E10value_typeEPSG_NS1_7vsmem_tEENKUlT_SE_SF_SG_E_clIS8_S8_S9_S9_EESD_ST_SE_SF_SG_EUlST_E0_NS1_11comp_targetILNS1_3genE5ELNS1_11target_archE942ELNS1_3gpuE9ELNS1_3repE0EEENS1_38merge_mergepath_config_static_selectorELNS0_4arch9wavefront6targetE0EEEvSF_
	.globl	_ZN7rocprim17ROCPRIM_400000_NS6detail17trampoline_kernelINS0_14default_configENS1_38merge_sort_block_merge_config_selectorItNS0_10empty_typeEEEZZNS1_27merge_sort_block_merge_implIS3_PtPS5_jNS1_19radix_merge_compareILb1ELb1EtNS0_19identity_decomposerEEEEE10hipError_tT0_T1_T2_jT3_P12ihipStream_tbPNSt15iterator_traitsISE_E10value_typeEPNSK_ISF_E10value_typeEPSG_NS1_7vsmem_tEENKUlT_SE_SF_SG_E_clIS8_S8_S9_S9_EESD_ST_SE_SF_SG_EUlST_E0_NS1_11comp_targetILNS1_3genE5ELNS1_11target_archE942ELNS1_3gpuE9ELNS1_3repE0EEENS1_38merge_mergepath_config_static_selectorELNS0_4arch9wavefront6targetE0EEEvSF_
	.p2align	8
	.type	_ZN7rocprim17ROCPRIM_400000_NS6detail17trampoline_kernelINS0_14default_configENS1_38merge_sort_block_merge_config_selectorItNS0_10empty_typeEEEZZNS1_27merge_sort_block_merge_implIS3_PtPS5_jNS1_19radix_merge_compareILb1ELb1EtNS0_19identity_decomposerEEEEE10hipError_tT0_T1_T2_jT3_P12ihipStream_tbPNSt15iterator_traitsISE_E10value_typeEPNSK_ISF_E10value_typeEPSG_NS1_7vsmem_tEENKUlT_SE_SF_SG_E_clIS8_S8_S9_S9_EESD_ST_SE_SF_SG_EUlST_E0_NS1_11comp_targetILNS1_3genE5ELNS1_11target_archE942ELNS1_3gpuE9ELNS1_3repE0EEENS1_38merge_mergepath_config_static_selectorELNS0_4arch9wavefront6targetE0EEEvSF_,@function
_ZN7rocprim17ROCPRIM_400000_NS6detail17trampoline_kernelINS0_14default_configENS1_38merge_sort_block_merge_config_selectorItNS0_10empty_typeEEEZZNS1_27merge_sort_block_merge_implIS3_PtPS5_jNS1_19radix_merge_compareILb1ELb1EtNS0_19identity_decomposerEEEEE10hipError_tT0_T1_T2_jT3_P12ihipStream_tbPNSt15iterator_traitsISE_E10value_typeEPNSK_ISF_E10value_typeEPSG_NS1_7vsmem_tEENKUlT_SE_SF_SG_E_clIS8_S8_S9_S9_EESD_ST_SE_SF_SG_EUlST_E0_NS1_11comp_targetILNS1_3genE5ELNS1_11target_archE942ELNS1_3gpuE9ELNS1_3repE0EEENS1_38merge_mergepath_config_static_selectorELNS0_4arch9wavefront6targetE0EEEvSF_: ; @_ZN7rocprim17ROCPRIM_400000_NS6detail17trampoline_kernelINS0_14default_configENS1_38merge_sort_block_merge_config_selectorItNS0_10empty_typeEEEZZNS1_27merge_sort_block_merge_implIS3_PtPS5_jNS1_19radix_merge_compareILb1ELb1EtNS0_19identity_decomposerEEEEE10hipError_tT0_T1_T2_jT3_P12ihipStream_tbPNSt15iterator_traitsISE_E10value_typeEPNSK_ISF_E10value_typeEPSG_NS1_7vsmem_tEENKUlT_SE_SF_SG_E_clIS8_S8_S9_S9_EESD_ST_SE_SF_SG_EUlST_E0_NS1_11comp_targetILNS1_3genE5ELNS1_11target_archE942ELNS1_3gpuE9ELNS1_3repE0EEENS1_38merge_mergepath_config_static_selectorELNS0_4arch9wavefront6targetE0EEEvSF_
; %bb.0:
	.section	.rodata,"a",@progbits
	.p2align	6, 0x0
	.amdhsa_kernel _ZN7rocprim17ROCPRIM_400000_NS6detail17trampoline_kernelINS0_14default_configENS1_38merge_sort_block_merge_config_selectorItNS0_10empty_typeEEEZZNS1_27merge_sort_block_merge_implIS3_PtPS5_jNS1_19radix_merge_compareILb1ELb1EtNS0_19identity_decomposerEEEEE10hipError_tT0_T1_T2_jT3_P12ihipStream_tbPNSt15iterator_traitsISE_E10value_typeEPNSK_ISF_E10value_typeEPSG_NS1_7vsmem_tEENKUlT_SE_SF_SG_E_clIS8_S8_S9_S9_EESD_ST_SE_SF_SG_EUlST_E0_NS1_11comp_targetILNS1_3genE5ELNS1_11target_archE942ELNS1_3gpuE9ELNS1_3repE0EEENS1_38merge_mergepath_config_static_selectorELNS0_4arch9wavefront6targetE0EEEvSF_
		.amdhsa_group_segment_fixed_size 0
		.amdhsa_private_segment_fixed_size 0
		.amdhsa_kernarg_size 64
		.amdhsa_user_sgpr_count 2
		.amdhsa_user_sgpr_dispatch_ptr 0
		.amdhsa_user_sgpr_queue_ptr 0
		.amdhsa_user_sgpr_kernarg_segment_ptr 1
		.amdhsa_user_sgpr_dispatch_id 0
		.amdhsa_user_sgpr_kernarg_preload_length 0
		.amdhsa_user_sgpr_kernarg_preload_offset 0
		.amdhsa_user_sgpr_private_segment_size 0
		.amdhsa_wavefront_size32 1
		.amdhsa_uses_dynamic_stack 0
		.amdhsa_enable_private_segment 0
		.amdhsa_system_sgpr_workgroup_id_x 1
		.amdhsa_system_sgpr_workgroup_id_y 0
		.amdhsa_system_sgpr_workgroup_id_z 0
		.amdhsa_system_sgpr_workgroup_info 0
		.amdhsa_system_vgpr_workitem_id 0
		.amdhsa_next_free_vgpr 1
		.amdhsa_next_free_sgpr 1
		.amdhsa_named_barrier_count 0
		.amdhsa_reserve_vcc 0
		.amdhsa_float_round_mode_32 0
		.amdhsa_float_round_mode_16_64 0
		.amdhsa_float_denorm_mode_32 3
		.amdhsa_float_denorm_mode_16_64 3
		.amdhsa_fp16_overflow 0
		.amdhsa_memory_ordered 1
		.amdhsa_forward_progress 1
		.amdhsa_inst_pref_size 0
		.amdhsa_round_robin_scheduling 0
		.amdhsa_exception_fp_ieee_invalid_op 0
		.amdhsa_exception_fp_denorm_src 0
		.amdhsa_exception_fp_ieee_div_zero 0
		.amdhsa_exception_fp_ieee_overflow 0
		.amdhsa_exception_fp_ieee_underflow 0
		.amdhsa_exception_fp_ieee_inexact 0
		.amdhsa_exception_int_div_zero 0
	.end_amdhsa_kernel
	.section	.text._ZN7rocprim17ROCPRIM_400000_NS6detail17trampoline_kernelINS0_14default_configENS1_38merge_sort_block_merge_config_selectorItNS0_10empty_typeEEEZZNS1_27merge_sort_block_merge_implIS3_PtPS5_jNS1_19radix_merge_compareILb1ELb1EtNS0_19identity_decomposerEEEEE10hipError_tT0_T1_T2_jT3_P12ihipStream_tbPNSt15iterator_traitsISE_E10value_typeEPNSK_ISF_E10value_typeEPSG_NS1_7vsmem_tEENKUlT_SE_SF_SG_E_clIS8_S8_S9_S9_EESD_ST_SE_SF_SG_EUlST_E0_NS1_11comp_targetILNS1_3genE5ELNS1_11target_archE942ELNS1_3gpuE9ELNS1_3repE0EEENS1_38merge_mergepath_config_static_selectorELNS0_4arch9wavefront6targetE0EEEvSF_,"axG",@progbits,_ZN7rocprim17ROCPRIM_400000_NS6detail17trampoline_kernelINS0_14default_configENS1_38merge_sort_block_merge_config_selectorItNS0_10empty_typeEEEZZNS1_27merge_sort_block_merge_implIS3_PtPS5_jNS1_19radix_merge_compareILb1ELb1EtNS0_19identity_decomposerEEEEE10hipError_tT0_T1_T2_jT3_P12ihipStream_tbPNSt15iterator_traitsISE_E10value_typeEPNSK_ISF_E10value_typeEPSG_NS1_7vsmem_tEENKUlT_SE_SF_SG_E_clIS8_S8_S9_S9_EESD_ST_SE_SF_SG_EUlST_E0_NS1_11comp_targetILNS1_3genE5ELNS1_11target_archE942ELNS1_3gpuE9ELNS1_3repE0EEENS1_38merge_mergepath_config_static_selectorELNS0_4arch9wavefront6targetE0EEEvSF_,comdat
.Lfunc_end2346:
	.size	_ZN7rocprim17ROCPRIM_400000_NS6detail17trampoline_kernelINS0_14default_configENS1_38merge_sort_block_merge_config_selectorItNS0_10empty_typeEEEZZNS1_27merge_sort_block_merge_implIS3_PtPS5_jNS1_19radix_merge_compareILb1ELb1EtNS0_19identity_decomposerEEEEE10hipError_tT0_T1_T2_jT3_P12ihipStream_tbPNSt15iterator_traitsISE_E10value_typeEPNSK_ISF_E10value_typeEPSG_NS1_7vsmem_tEENKUlT_SE_SF_SG_E_clIS8_S8_S9_S9_EESD_ST_SE_SF_SG_EUlST_E0_NS1_11comp_targetILNS1_3genE5ELNS1_11target_archE942ELNS1_3gpuE9ELNS1_3repE0EEENS1_38merge_mergepath_config_static_selectorELNS0_4arch9wavefront6targetE0EEEvSF_, .Lfunc_end2346-_ZN7rocprim17ROCPRIM_400000_NS6detail17trampoline_kernelINS0_14default_configENS1_38merge_sort_block_merge_config_selectorItNS0_10empty_typeEEEZZNS1_27merge_sort_block_merge_implIS3_PtPS5_jNS1_19radix_merge_compareILb1ELb1EtNS0_19identity_decomposerEEEEE10hipError_tT0_T1_T2_jT3_P12ihipStream_tbPNSt15iterator_traitsISE_E10value_typeEPNSK_ISF_E10value_typeEPSG_NS1_7vsmem_tEENKUlT_SE_SF_SG_E_clIS8_S8_S9_S9_EESD_ST_SE_SF_SG_EUlST_E0_NS1_11comp_targetILNS1_3genE5ELNS1_11target_archE942ELNS1_3gpuE9ELNS1_3repE0EEENS1_38merge_mergepath_config_static_selectorELNS0_4arch9wavefront6targetE0EEEvSF_
                                        ; -- End function
	.set _ZN7rocprim17ROCPRIM_400000_NS6detail17trampoline_kernelINS0_14default_configENS1_38merge_sort_block_merge_config_selectorItNS0_10empty_typeEEEZZNS1_27merge_sort_block_merge_implIS3_PtPS5_jNS1_19radix_merge_compareILb1ELb1EtNS0_19identity_decomposerEEEEE10hipError_tT0_T1_T2_jT3_P12ihipStream_tbPNSt15iterator_traitsISE_E10value_typeEPNSK_ISF_E10value_typeEPSG_NS1_7vsmem_tEENKUlT_SE_SF_SG_E_clIS8_S8_S9_S9_EESD_ST_SE_SF_SG_EUlST_E0_NS1_11comp_targetILNS1_3genE5ELNS1_11target_archE942ELNS1_3gpuE9ELNS1_3repE0EEENS1_38merge_mergepath_config_static_selectorELNS0_4arch9wavefront6targetE0EEEvSF_.num_vgpr, 0
	.set _ZN7rocprim17ROCPRIM_400000_NS6detail17trampoline_kernelINS0_14default_configENS1_38merge_sort_block_merge_config_selectorItNS0_10empty_typeEEEZZNS1_27merge_sort_block_merge_implIS3_PtPS5_jNS1_19radix_merge_compareILb1ELb1EtNS0_19identity_decomposerEEEEE10hipError_tT0_T1_T2_jT3_P12ihipStream_tbPNSt15iterator_traitsISE_E10value_typeEPNSK_ISF_E10value_typeEPSG_NS1_7vsmem_tEENKUlT_SE_SF_SG_E_clIS8_S8_S9_S9_EESD_ST_SE_SF_SG_EUlST_E0_NS1_11comp_targetILNS1_3genE5ELNS1_11target_archE942ELNS1_3gpuE9ELNS1_3repE0EEENS1_38merge_mergepath_config_static_selectorELNS0_4arch9wavefront6targetE0EEEvSF_.num_agpr, 0
	.set _ZN7rocprim17ROCPRIM_400000_NS6detail17trampoline_kernelINS0_14default_configENS1_38merge_sort_block_merge_config_selectorItNS0_10empty_typeEEEZZNS1_27merge_sort_block_merge_implIS3_PtPS5_jNS1_19radix_merge_compareILb1ELb1EtNS0_19identity_decomposerEEEEE10hipError_tT0_T1_T2_jT3_P12ihipStream_tbPNSt15iterator_traitsISE_E10value_typeEPNSK_ISF_E10value_typeEPSG_NS1_7vsmem_tEENKUlT_SE_SF_SG_E_clIS8_S8_S9_S9_EESD_ST_SE_SF_SG_EUlST_E0_NS1_11comp_targetILNS1_3genE5ELNS1_11target_archE942ELNS1_3gpuE9ELNS1_3repE0EEENS1_38merge_mergepath_config_static_selectorELNS0_4arch9wavefront6targetE0EEEvSF_.numbered_sgpr, 0
	.set _ZN7rocprim17ROCPRIM_400000_NS6detail17trampoline_kernelINS0_14default_configENS1_38merge_sort_block_merge_config_selectorItNS0_10empty_typeEEEZZNS1_27merge_sort_block_merge_implIS3_PtPS5_jNS1_19radix_merge_compareILb1ELb1EtNS0_19identity_decomposerEEEEE10hipError_tT0_T1_T2_jT3_P12ihipStream_tbPNSt15iterator_traitsISE_E10value_typeEPNSK_ISF_E10value_typeEPSG_NS1_7vsmem_tEENKUlT_SE_SF_SG_E_clIS8_S8_S9_S9_EESD_ST_SE_SF_SG_EUlST_E0_NS1_11comp_targetILNS1_3genE5ELNS1_11target_archE942ELNS1_3gpuE9ELNS1_3repE0EEENS1_38merge_mergepath_config_static_selectorELNS0_4arch9wavefront6targetE0EEEvSF_.num_named_barrier, 0
	.set _ZN7rocprim17ROCPRIM_400000_NS6detail17trampoline_kernelINS0_14default_configENS1_38merge_sort_block_merge_config_selectorItNS0_10empty_typeEEEZZNS1_27merge_sort_block_merge_implIS3_PtPS5_jNS1_19radix_merge_compareILb1ELb1EtNS0_19identity_decomposerEEEEE10hipError_tT0_T1_T2_jT3_P12ihipStream_tbPNSt15iterator_traitsISE_E10value_typeEPNSK_ISF_E10value_typeEPSG_NS1_7vsmem_tEENKUlT_SE_SF_SG_E_clIS8_S8_S9_S9_EESD_ST_SE_SF_SG_EUlST_E0_NS1_11comp_targetILNS1_3genE5ELNS1_11target_archE942ELNS1_3gpuE9ELNS1_3repE0EEENS1_38merge_mergepath_config_static_selectorELNS0_4arch9wavefront6targetE0EEEvSF_.private_seg_size, 0
	.set _ZN7rocprim17ROCPRIM_400000_NS6detail17trampoline_kernelINS0_14default_configENS1_38merge_sort_block_merge_config_selectorItNS0_10empty_typeEEEZZNS1_27merge_sort_block_merge_implIS3_PtPS5_jNS1_19radix_merge_compareILb1ELb1EtNS0_19identity_decomposerEEEEE10hipError_tT0_T1_T2_jT3_P12ihipStream_tbPNSt15iterator_traitsISE_E10value_typeEPNSK_ISF_E10value_typeEPSG_NS1_7vsmem_tEENKUlT_SE_SF_SG_E_clIS8_S8_S9_S9_EESD_ST_SE_SF_SG_EUlST_E0_NS1_11comp_targetILNS1_3genE5ELNS1_11target_archE942ELNS1_3gpuE9ELNS1_3repE0EEENS1_38merge_mergepath_config_static_selectorELNS0_4arch9wavefront6targetE0EEEvSF_.uses_vcc, 0
	.set _ZN7rocprim17ROCPRIM_400000_NS6detail17trampoline_kernelINS0_14default_configENS1_38merge_sort_block_merge_config_selectorItNS0_10empty_typeEEEZZNS1_27merge_sort_block_merge_implIS3_PtPS5_jNS1_19radix_merge_compareILb1ELb1EtNS0_19identity_decomposerEEEEE10hipError_tT0_T1_T2_jT3_P12ihipStream_tbPNSt15iterator_traitsISE_E10value_typeEPNSK_ISF_E10value_typeEPSG_NS1_7vsmem_tEENKUlT_SE_SF_SG_E_clIS8_S8_S9_S9_EESD_ST_SE_SF_SG_EUlST_E0_NS1_11comp_targetILNS1_3genE5ELNS1_11target_archE942ELNS1_3gpuE9ELNS1_3repE0EEENS1_38merge_mergepath_config_static_selectorELNS0_4arch9wavefront6targetE0EEEvSF_.uses_flat_scratch, 0
	.set _ZN7rocprim17ROCPRIM_400000_NS6detail17trampoline_kernelINS0_14default_configENS1_38merge_sort_block_merge_config_selectorItNS0_10empty_typeEEEZZNS1_27merge_sort_block_merge_implIS3_PtPS5_jNS1_19radix_merge_compareILb1ELb1EtNS0_19identity_decomposerEEEEE10hipError_tT0_T1_T2_jT3_P12ihipStream_tbPNSt15iterator_traitsISE_E10value_typeEPNSK_ISF_E10value_typeEPSG_NS1_7vsmem_tEENKUlT_SE_SF_SG_E_clIS8_S8_S9_S9_EESD_ST_SE_SF_SG_EUlST_E0_NS1_11comp_targetILNS1_3genE5ELNS1_11target_archE942ELNS1_3gpuE9ELNS1_3repE0EEENS1_38merge_mergepath_config_static_selectorELNS0_4arch9wavefront6targetE0EEEvSF_.has_dyn_sized_stack, 0
	.set _ZN7rocprim17ROCPRIM_400000_NS6detail17trampoline_kernelINS0_14default_configENS1_38merge_sort_block_merge_config_selectorItNS0_10empty_typeEEEZZNS1_27merge_sort_block_merge_implIS3_PtPS5_jNS1_19radix_merge_compareILb1ELb1EtNS0_19identity_decomposerEEEEE10hipError_tT0_T1_T2_jT3_P12ihipStream_tbPNSt15iterator_traitsISE_E10value_typeEPNSK_ISF_E10value_typeEPSG_NS1_7vsmem_tEENKUlT_SE_SF_SG_E_clIS8_S8_S9_S9_EESD_ST_SE_SF_SG_EUlST_E0_NS1_11comp_targetILNS1_3genE5ELNS1_11target_archE942ELNS1_3gpuE9ELNS1_3repE0EEENS1_38merge_mergepath_config_static_selectorELNS0_4arch9wavefront6targetE0EEEvSF_.has_recursion, 0
	.set _ZN7rocprim17ROCPRIM_400000_NS6detail17trampoline_kernelINS0_14default_configENS1_38merge_sort_block_merge_config_selectorItNS0_10empty_typeEEEZZNS1_27merge_sort_block_merge_implIS3_PtPS5_jNS1_19radix_merge_compareILb1ELb1EtNS0_19identity_decomposerEEEEE10hipError_tT0_T1_T2_jT3_P12ihipStream_tbPNSt15iterator_traitsISE_E10value_typeEPNSK_ISF_E10value_typeEPSG_NS1_7vsmem_tEENKUlT_SE_SF_SG_E_clIS8_S8_S9_S9_EESD_ST_SE_SF_SG_EUlST_E0_NS1_11comp_targetILNS1_3genE5ELNS1_11target_archE942ELNS1_3gpuE9ELNS1_3repE0EEENS1_38merge_mergepath_config_static_selectorELNS0_4arch9wavefront6targetE0EEEvSF_.has_indirect_call, 0
	.section	.AMDGPU.csdata,"",@progbits
; Kernel info:
; codeLenInByte = 0
; TotalNumSgprs: 0
; NumVgprs: 0
; ScratchSize: 0
; MemoryBound: 0
; FloatMode: 240
; IeeeMode: 1
; LDSByteSize: 0 bytes/workgroup (compile time only)
; SGPRBlocks: 0
; VGPRBlocks: 0
; NumSGPRsForWavesPerEU: 1
; NumVGPRsForWavesPerEU: 1
; NamedBarCnt: 0
; Occupancy: 16
; WaveLimiterHint : 0
; COMPUTE_PGM_RSRC2:SCRATCH_EN: 0
; COMPUTE_PGM_RSRC2:USER_SGPR: 2
; COMPUTE_PGM_RSRC2:TRAP_HANDLER: 0
; COMPUTE_PGM_RSRC2:TGID_X_EN: 1
; COMPUTE_PGM_RSRC2:TGID_Y_EN: 0
; COMPUTE_PGM_RSRC2:TGID_Z_EN: 0
; COMPUTE_PGM_RSRC2:TIDIG_COMP_CNT: 0
	.section	.text._ZN7rocprim17ROCPRIM_400000_NS6detail17trampoline_kernelINS0_14default_configENS1_38merge_sort_block_merge_config_selectorItNS0_10empty_typeEEEZZNS1_27merge_sort_block_merge_implIS3_PtPS5_jNS1_19radix_merge_compareILb1ELb1EtNS0_19identity_decomposerEEEEE10hipError_tT0_T1_T2_jT3_P12ihipStream_tbPNSt15iterator_traitsISE_E10value_typeEPNSK_ISF_E10value_typeEPSG_NS1_7vsmem_tEENKUlT_SE_SF_SG_E_clIS8_S8_S9_S9_EESD_ST_SE_SF_SG_EUlST_E0_NS1_11comp_targetILNS1_3genE4ELNS1_11target_archE910ELNS1_3gpuE8ELNS1_3repE0EEENS1_38merge_mergepath_config_static_selectorELNS0_4arch9wavefront6targetE0EEEvSF_,"axG",@progbits,_ZN7rocprim17ROCPRIM_400000_NS6detail17trampoline_kernelINS0_14default_configENS1_38merge_sort_block_merge_config_selectorItNS0_10empty_typeEEEZZNS1_27merge_sort_block_merge_implIS3_PtPS5_jNS1_19radix_merge_compareILb1ELb1EtNS0_19identity_decomposerEEEEE10hipError_tT0_T1_T2_jT3_P12ihipStream_tbPNSt15iterator_traitsISE_E10value_typeEPNSK_ISF_E10value_typeEPSG_NS1_7vsmem_tEENKUlT_SE_SF_SG_E_clIS8_S8_S9_S9_EESD_ST_SE_SF_SG_EUlST_E0_NS1_11comp_targetILNS1_3genE4ELNS1_11target_archE910ELNS1_3gpuE8ELNS1_3repE0EEENS1_38merge_mergepath_config_static_selectorELNS0_4arch9wavefront6targetE0EEEvSF_,comdat
	.protected	_ZN7rocprim17ROCPRIM_400000_NS6detail17trampoline_kernelINS0_14default_configENS1_38merge_sort_block_merge_config_selectorItNS0_10empty_typeEEEZZNS1_27merge_sort_block_merge_implIS3_PtPS5_jNS1_19radix_merge_compareILb1ELb1EtNS0_19identity_decomposerEEEEE10hipError_tT0_T1_T2_jT3_P12ihipStream_tbPNSt15iterator_traitsISE_E10value_typeEPNSK_ISF_E10value_typeEPSG_NS1_7vsmem_tEENKUlT_SE_SF_SG_E_clIS8_S8_S9_S9_EESD_ST_SE_SF_SG_EUlST_E0_NS1_11comp_targetILNS1_3genE4ELNS1_11target_archE910ELNS1_3gpuE8ELNS1_3repE0EEENS1_38merge_mergepath_config_static_selectorELNS0_4arch9wavefront6targetE0EEEvSF_ ; -- Begin function _ZN7rocprim17ROCPRIM_400000_NS6detail17trampoline_kernelINS0_14default_configENS1_38merge_sort_block_merge_config_selectorItNS0_10empty_typeEEEZZNS1_27merge_sort_block_merge_implIS3_PtPS5_jNS1_19radix_merge_compareILb1ELb1EtNS0_19identity_decomposerEEEEE10hipError_tT0_T1_T2_jT3_P12ihipStream_tbPNSt15iterator_traitsISE_E10value_typeEPNSK_ISF_E10value_typeEPSG_NS1_7vsmem_tEENKUlT_SE_SF_SG_E_clIS8_S8_S9_S9_EESD_ST_SE_SF_SG_EUlST_E0_NS1_11comp_targetILNS1_3genE4ELNS1_11target_archE910ELNS1_3gpuE8ELNS1_3repE0EEENS1_38merge_mergepath_config_static_selectorELNS0_4arch9wavefront6targetE0EEEvSF_
	.globl	_ZN7rocprim17ROCPRIM_400000_NS6detail17trampoline_kernelINS0_14default_configENS1_38merge_sort_block_merge_config_selectorItNS0_10empty_typeEEEZZNS1_27merge_sort_block_merge_implIS3_PtPS5_jNS1_19radix_merge_compareILb1ELb1EtNS0_19identity_decomposerEEEEE10hipError_tT0_T1_T2_jT3_P12ihipStream_tbPNSt15iterator_traitsISE_E10value_typeEPNSK_ISF_E10value_typeEPSG_NS1_7vsmem_tEENKUlT_SE_SF_SG_E_clIS8_S8_S9_S9_EESD_ST_SE_SF_SG_EUlST_E0_NS1_11comp_targetILNS1_3genE4ELNS1_11target_archE910ELNS1_3gpuE8ELNS1_3repE0EEENS1_38merge_mergepath_config_static_selectorELNS0_4arch9wavefront6targetE0EEEvSF_
	.p2align	8
	.type	_ZN7rocprim17ROCPRIM_400000_NS6detail17trampoline_kernelINS0_14default_configENS1_38merge_sort_block_merge_config_selectorItNS0_10empty_typeEEEZZNS1_27merge_sort_block_merge_implIS3_PtPS5_jNS1_19radix_merge_compareILb1ELb1EtNS0_19identity_decomposerEEEEE10hipError_tT0_T1_T2_jT3_P12ihipStream_tbPNSt15iterator_traitsISE_E10value_typeEPNSK_ISF_E10value_typeEPSG_NS1_7vsmem_tEENKUlT_SE_SF_SG_E_clIS8_S8_S9_S9_EESD_ST_SE_SF_SG_EUlST_E0_NS1_11comp_targetILNS1_3genE4ELNS1_11target_archE910ELNS1_3gpuE8ELNS1_3repE0EEENS1_38merge_mergepath_config_static_selectorELNS0_4arch9wavefront6targetE0EEEvSF_,@function
_ZN7rocprim17ROCPRIM_400000_NS6detail17trampoline_kernelINS0_14default_configENS1_38merge_sort_block_merge_config_selectorItNS0_10empty_typeEEEZZNS1_27merge_sort_block_merge_implIS3_PtPS5_jNS1_19radix_merge_compareILb1ELb1EtNS0_19identity_decomposerEEEEE10hipError_tT0_T1_T2_jT3_P12ihipStream_tbPNSt15iterator_traitsISE_E10value_typeEPNSK_ISF_E10value_typeEPSG_NS1_7vsmem_tEENKUlT_SE_SF_SG_E_clIS8_S8_S9_S9_EESD_ST_SE_SF_SG_EUlST_E0_NS1_11comp_targetILNS1_3genE4ELNS1_11target_archE910ELNS1_3gpuE8ELNS1_3repE0EEENS1_38merge_mergepath_config_static_selectorELNS0_4arch9wavefront6targetE0EEEvSF_: ; @_ZN7rocprim17ROCPRIM_400000_NS6detail17trampoline_kernelINS0_14default_configENS1_38merge_sort_block_merge_config_selectorItNS0_10empty_typeEEEZZNS1_27merge_sort_block_merge_implIS3_PtPS5_jNS1_19radix_merge_compareILb1ELb1EtNS0_19identity_decomposerEEEEE10hipError_tT0_T1_T2_jT3_P12ihipStream_tbPNSt15iterator_traitsISE_E10value_typeEPNSK_ISF_E10value_typeEPSG_NS1_7vsmem_tEENKUlT_SE_SF_SG_E_clIS8_S8_S9_S9_EESD_ST_SE_SF_SG_EUlST_E0_NS1_11comp_targetILNS1_3genE4ELNS1_11target_archE910ELNS1_3gpuE8ELNS1_3repE0EEENS1_38merge_mergepath_config_static_selectorELNS0_4arch9wavefront6targetE0EEEvSF_
; %bb.0:
	.section	.rodata,"a",@progbits
	.p2align	6, 0x0
	.amdhsa_kernel _ZN7rocprim17ROCPRIM_400000_NS6detail17trampoline_kernelINS0_14default_configENS1_38merge_sort_block_merge_config_selectorItNS0_10empty_typeEEEZZNS1_27merge_sort_block_merge_implIS3_PtPS5_jNS1_19radix_merge_compareILb1ELb1EtNS0_19identity_decomposerEEEEE10hipError_tT0_T1_T2_jT3_P12ihipStream_tbPNSt15iterator_traitsISE_E10value_typeEPNSK_ISF_E10value_typeEPSG_NS1_7vsmem_tEENKUlT_SE_SF_SG_E_clIS8_S8_S9_S9_EESD_ST_SE_SF_SG_EUlST_E0_NS1_11comp_targetILNS1_3genE4ELNS1_11target_archE910ELNS1_3gpuE8ELNS1_3repE0EEENS1_38merge_mergepath_config_static_selectorELNS0_4arch9wavefront6targetE0EEEvSF_
		.amdhsa_group_segment_fixed_size 0
		.amdhsa_private_segment_fixed_size 0
		.amdhsa_kernarg_size 64
		.amdhsa_user_sgpr_count 2
		.amdhsa_user_sgpr_dispatch_ptr 0
		.amdhsa_user_sgpr_queue_ptr 0
		.amdhsa_user_sgpr_kernarg_segment_ptr 1
		.amdhsa_user_sgpr_dispatch_id 0
		.amdhsa_user_sgpr_kernarg_preload_length 0
		.amdhsa_user_sgpr_kernarg_preload_offset 0
		.amdhsa_user_sgpr_private_segment_size 0
		.amdhsa_wavefront_size32 1
		.amdhsa_uses_dynamic_stack 0
		.amdhsa_enable_private_segment 0
		.amdhsa_system_sgpr_workgroup_id_x 1
		.amdhsa_system_sgpr_workgroup_id_y 0
		.amdhsa_system_sgpr_workgroup_id_z 0
		.amdhsa_system_sgpr_workgroup_info 0
		.amdhsa_system_vgpr_workitem_id 0
		.amdhsa_next_free_vgpr 1
		.amdhsa_next_free_sgpr 1
		.amdhsa_named_barrier_count 0
		.amdhsa_reserve_vcc 0
		.amdhsa_float_round_mode_32 0
		.amdhsa_float_round_mode_16_64 0
		.amdhsa_float_denorm_mode_32 3
		.amdhsa_float_denorm_mode_16_64 3
		.amdhsa_fp16_overflow 0
		.amdhsa_memory_ordered 1
		.amdhsa_forward_progress 1
		.amdhsa_inst_pref_size 0
		.amdhsa_round_robin_scheduling 0
		.amdhsa_exception_fp_ieee_invalid_op 0
		.amdhsa_exception_fp_denorm_src 0
		.amdhsa_exception_fp_ieee_div_zero 0
		.amdhsa_exception_fp_ieee_overflow 0
		.amdhsa_exception_fp_ieee_underflow 0
		.amdhsa_exception_fp_ieee_inexact 0
		.amdhsa_exception_int_div_zero 0
	.end_amdhsa_kernel
	.section	.text._ZN7rocprim17ROCPRIM_400000_NS6detail17trampoline_kernelINS0_14default_configENS1_38merge_sort_block_merge_config_selectorItNS0_10empty_typeEEEZZNS1_27merge_sort_block_merge_implIS3_PtPS5_jNS1_19radix_merge_compareILb1ELb1EtNS0_19identity_decomposerEEEEE10hipError_tT0_T1_T2_jT3_P12ihipStream_tbPNSt15iterator_traitsISE_E10value_typeEPNSK_ISF_E10value_typeEPSG_NS1_7vsmem_tEENKUlT_SE_SF_SG_E_clIS8_S8_S9_S9_EESD_ST_SE_SF_SG_EUlST_E0_NS1_11comp_targetILNS1_3genE4ELNS1_11target_archE910ELNS1_3gpuE8ELNS1_3repE0EEENS1_38merge_mergepath_config_static_selectorELNS0_4arch9wavefront6targetE0EEEvSF_,"axG",@progbits,_ZN7rocprim17ROCPRIM_400000_NS6detail17trampoline_kernelINS0_14default_configENS1_38merge_sort_block_merge_config_selectorItNS0_10empty_typeEEEZZNS1_27merge_sort_block_merge_implIS3_PtPS5_jNS1_19radix_merge_compareILb1ELb1EtNS0_19identity_decomposerEEEEE10hipError_tT0_T1_T2_jT3_P12ihipStream_tbPNSt15iterator_traitsISE_E10value_typeEPNSK_ISF_E10value_typeEPSG_NS1_7vsmem_tEENKUlT_SE_SF_SG_E_clIS8_S8_S9_S9_EESD_ST_SE_SF_SG_EUlST_E0_NS1_11comp_targetILNS1_3genE4ELNS1_11target_archE910ELNS1_3gpuE8ELNS1_3repE0EEENS1_38merge_mergepath_config_static_selectorELNS0_4arch9wavefront6targetE0EEEvSF_,comdat
.Lfunc_end2347:
	.size	_ZN7rocprim17ROCPRIM_400000_NS6detail17trampoline_kernelINS0_14default_configENS1_38merge_sort_block_merge_config_selectorItNS0_10empty_typeEEEZZNS1_27merge_sort_block_merge_implIS3_PtPS5_jNS1_19radix_merge_compareILb1ELb1EtNS0_19identity_decomposerEEEEE10hipError_tT0_T1_T2_jT3_P12ihipStream_tbPNSt15iterator_traitsISE_E10value_typeEPNSK_ISF_E10value_typeEPSG_NS1_7vsmem_tEENKUlT_SE_SF_SG_E_clIS8_S8_S9_S9_EESD_ST_SE_SF_SG_EUlST_E0_NS1_11comp_targetILNS1_3genE4ELNS1_11target_archE910ELNS1_3gpuE8ELNS1_3repE0EEENS1_38merge_mergepath_config_static_selectorELNS0_4arch9wavefront6targetE0EEEvSF_, .Lfunc_end2347-_ZN7rocprim17ROCPRIM_400000_NS6detail17trampoline_kernelINS0_14default_configENS1_38merge_sort_block_merge_config_selectorItNS0_10empty_typeEEEZZNS1_27merge_sort_block_merge_implIS3_PtPS5_jNS1_19radix_merge_compareILb1ELb1EtNS0_19identity_decomposerEEEEE10hipError_tT0_T1_T2_jT3_P12ihipStream_tbPNSt15iterator_traitsISE_E10value_typeEPNSK_ISF_E10value_typeEPSG_NS1_7vsmem_tEENKUlT_SE_SF_SG_E_clIS8_S8_S9_S9_EESD_ST_SE_SF_SG_EUlST_E0_NS1_11comp_targetILNS1_3genE4ELNS1_11target_archE910ELNS1_3gpuE8ELNS1_3repE0EEENS1_38merge_mergepath_config_static_selectorELNS0_4arch9wavefront6targetE0EEEvSF_
                                        ; -- End function
	.set _ZN7rocprim17ROCPRIM_400000_NS6detail17trampoline_kernelINS0_14default_configENS1_38merge_sort_block_merge_config_selectorItNS0_10empty_typeEEEZZNS1_27merge_sort_block_merge_implIS3_PtPS5_jNS1_19radix_merge_compareILb1ELb1EtNS0_19identity_decomposerEEEEE10hipError_tT0_T1_T2_jT3_P12ihipStream_tbPNSt15iterator_traitsISE_E10value_typeEPNSK_ISF_E10value_typeEPSG_NS1_7vsmem_tEENKUlT_SE_SF_SG_E_clIS8_S8_S9_S9_EESD_ST_SE_SF_SG_EUlST_E0_NS1_11comp_targetILNS1_3genE4ELNS1_11target_archE910ELNS1_3gpuE8ELNS1_3repE0EEENS1_38merge_mergepath_config_static_selectorELNS0_4arch9wavefront6targetE0EEEvSF_.num_vgpr, 0
	.set _ZN7rocprim17ROCPRIM_400000_NS6detail17trampoline_kernelINS0_14default_configENS1_38merge_sort_block_merge_config_selectorItNS0_10empty_typeEEEZZNS1_27merge_sort_block_merge_implIS3_PtPS5_jNS1_19radix_merge_compareILb1ELb1EtNS0_19identity_decomposerEEEEE10hipError_tT0_T1_T2_jT3_P12ihipStream_tbPNSt15iterator_traitsISE_E10value_typeEPNSK_ISF_E10value_typeEPSG_NS1_7vsmem_tEENKUlT_SE_SF_SG_E_clIS8_S8_S9_S9_EESD_ST_SE_SF_SG_EUlST_E0_NS1_11comp_targetILNS1_3genE4ELNS1_11target_archE910ELNS1_3gpuE8ELNS1_3repE0EEENS1_38merge_mergepath_config_static_selectorELNS0_4arch9wavefront6targetE0EEEvSF_.num_agpr, 0
	.set _ZN7rocprim17ROCPRIM_400000_NS6detail17trampoline_kernelINS0_14default_configENS1_38merge_sort_block_merge_config_selectorItNS0_10empty_typeEEEZZNS1_27merge_sort_block_merge_implIS3_PtPS5_jNS1_19radix_merge_compareILb1ELb1EtNS0_19identity_decomposerEEEEE10hipError_tT0_T1_T2_jT3_P12ihipStream_tbPNSt15iterator_traitsISE_E10value_typeEPNSK_ISF_E10value_typeEPSG_NS1_7vsmem_tEENKUlT_SE_SF_SG_E_clIS8_S8_S9_S9_EESD_ST_SE_SF_SG_EUlST_E0_NS1_11comp_targetILNS1_3genE4ELNS1_11target_archE910ELNS1_3gpuE8ELNS1_3repE0EEENS1_38merge_mergepath_config_static_selectorELNS0_4arch9wavefront6targetE0EEEvSF_.numbered_sgpr, 0
	.set _ZN7rocprim17ROCPRIM_400000_NS6detail17trampoline_kernelINS0_14default_configENS1_38merge_sort_block_merge_config_selectorItNS0_10empty_typeEEEZZNS1_27merge_sort_block_merge_implIS3_PtPS5_jNS1_19radix_merge_compareILb1ELb1EtNS0_19identity_decomposerEEEEE10hipError_tT0_T1_T2_jT3_P12ihipStream_tbPNSt15iterator_traitsISE_E10value_typeEPNSK_ISF_E10value_typeEPSG_NS1_7vsmem_tEENKUlT_SE_SF_SG_E_clIS8_S8_S9_S9_EESD_ST_SE_SF_SG_EUlST_E0_NS1_11comp_targetILNS1_3genE4ELNS1_11target_archE910ELNS1_3gpuE8ELNS1_3repE0EEENS1_38merge_mergepath_config_static_selectorELNS0_4arch9wavefront6targetE0EEEvSF_.num_named_barrier, 0
	.set _ZN7rocprim17ROCPRIM_400000_NS6detail17trampoline_kernelINS0_14default_configENS1_38merge_sort_block_merge_config_selectorItNS0_10empty_typeEEEZZNS1_27merge_sort_block_merge_implIS3_PtPS5_jNS1_19radix_merge_compareILb1ELb1EtNS0_19identity_decomposerEEEEE10hipError_tT0_T1_T2_jT3_P12ihipStream_tbPNSt15iterator_traitsISE_E10value_typeEPNSK_ISF_E10value_typeEPSG_NS1_7vsmem_tEENKUlT_SE_SF_SG_E_clIS8_S8_S9_S9_EESD_ST_SE_SF_SG_EUlST_E0_NS1_11comp_targetILNS1_3genE4ELNS1_11target_archE910ELNS1_3gpuE8ELNS1_3repE0EEENS1_38merge_mergepath_config_static_selectorELNS0_4arch9wavefront6targetE0EEEvSF_.private_seg_size, 0
	.set _ZN7rocprim17ROCPRIM_400000_NS6detail17trampoline_kernelINS0_14default_configENS1_38merge_sort_block_merge_config_selectorItNS0_10empty_typeEEEZZNS1_27merge_sort_block_merge_implIS3_PtPS5_jNS1_19radix_merge_compareILb1ELb1EtNS0_19identity_decomposerEEEEE10hipError_tT0_T1_T2_jT3_P12ihipStream_tbPNSt15iterator_traitsISE_E10value_typeEPNSK_ISF_E10value_typeEPSG_NS1_7vsmem_tEENKUlT_SE_SF_SG_E_clIS8_S8_S9_S9_EESD_ST_SE_SF_SG_EUlST_E0_NS1_11comp_targetILNS1_3genE4ELNS1_11target_archE910ELNS1_3gpuE8ELNS1_3repE0EEENS1_38merge_mergepath_config_static_selectorELNS0_4arch9wavefront6targetE0EEEvSF_.uses_vcc, 0
	.set _ZN7rocprim17ROCPRIM_400000_NS6detail17trampoline_kernelINS0_14default_configENS1_38merge_sort_block_merge_config_selectorItNS0_10empty_typeEEEZZNS1_27merge_sort_block_merge_implIS3_PtPS5_jNS1_19radix_merge_compareILb1ELb1EtNS0_19identity_decomposerEEEEE10hipError_tT0_T1_T2_jT3_P12ihipStream_tbPNSt15iterator_traitsISE_E10value_typeEPNSK_ISF_E10value_typeEPSG_NS1_7vsmem_tEENKUlT_SE_SF_SG_E_clIS8_S8_S9_S9_EESD_ST_SE_SF_SG_EUlST_E0_NS1_11comp_targetILNS1_3genE4ELNS1_11target_archE910ELNS1_3gpuE8ELNS1_3repE0EEENS1_38merge_mergepath_config_static_selectorELNS0_4arch9wavefront6targetE0EEEvSF_.uses_flat_scratch, 0
	.set _ZN7rocprim17ROCPRIM_400000_NS6detail17trampoline_kernelINS0_14default_configENS1_38merge_sort_block_merge_config_selectorItNS0_10empty_typeEEEZZNS1_27merge_sort_block_merge_implIS3_PtPS5_jNS1_19radix_merge_compareILb1ELb1EtNS0_19identity_decomposerEEEEE10hipError_tT0_T1_T2_jT3_P12ihipStream_tbPNSt15iterator_traitsISE_E10value_typeEPNSK_ISF_E10value_typeEPSG_NS1_7vsmem_tEENKUlT_SE_SF_SG_E_clIS8_S8_S9_S9_EESD_ST_SE_SF_SG_EUlST_E0_NS1_11comp_targetILNS1_3genE4ELNS1_11target_archE910ELNS1_3gpuE8ELNS1_3repE0EEENS1_38merge_mergepath_config_static_selectorELNS0_4arch9wavefront6targetE0EEEvSF_.has_dyn_sized_stack, 0
	.set _ZN7rocprim17ROCPRIM_400000_NS6detail17trampoline_kernelINS0_14default_configENS1_38merge_sort_block_merge_config_selectorItNS0_10empty_typeEEEZZNS1_27merge_sort_block_merge_implIS3_PtPS5_jNS1_19radix_merge_compareILb1ELb1EtNS0_19identity_decomposerEEEEE10hipError_tT0_T1_T2_jT3_P12ihipStream_tbPNSt15iterator_traitsISE_E10value_typeEPNSK_ISF_E10value_typeEPSG_NS1_7vsmem_tEENKUlT_SE_SF_SG_E_clIS8_S8_S9_S9_EESD_ST_SE_SF_SG_EUlST_E0_NS1_11comp_targetILNS1_3genE4ELNS1_11target_archE910ELNS1_3gpuE8ELNS1_3repE0EEENS1_38merge_mergepath_config_static_selectorELNS0_4arch9wavefront6targetE0EEEvSF_.has_recursion, 0
	.set _ZN7rocprim17ROCPRIM_400000_NS6detail17trampoline_kernelINS0_14default_configENS1_38merge_sort_block_merge_config_selectorItNS0_10empty_typeEEEZZNS1_27merge_sort_block_merge_implIS3_PtPS5_jNS1_19radix_merge_compareILb1ELb1EtNS0_19identity_decomposerEEEEE10hipError_tT0_T1_T2_jT3_P12ihipStream_tbPNSt15iterator_traitsISE_E10value_typeEPNSK_ISF_E10value_typeEPSG_NS1_7vsmem_tEENKUlT_SE_SF_SG_E_clIS8_S8_S9_S9_EESD_ST_SE_SF_SG_EUlST_E0_NS1_11comp_targetILNS1_3genE4ELNS1_11target_archE910ELNS1_3gpuE8ELNS1_3repE0EEENS1_38merge_mergepath_config_static_selectorELNS0_4arch9wavefront6targetE0EEEvSF_.has_indirect_call, 0
	.section	.AMDGPU.csdata,"",@progbits
; Kernel info:
; codeLenInByte = 0
; TotalNumSgprs: 0
; NumVgprs: 0
; ScratchSize: 0
; MemoryBound: 0
; FloatMode: 240
; IeeeMode: 1
; LDSByteSize: 0 bytes/workgroup (compile time only)
; SGPRBlocks: 0
; VGPRBlocks: 0
; NumSGPRsForWavesPerEU: 1
; NumVGPRsForWavesPerEU: 1
; NamedBarCnt: 0
; Occupancy: 16
; WaveLimiterHint : 0
; COMPUTE_PGM_RSRC2:SCRATCH_EN: 0
; COMPUTE_PGM_RSRC2:USER_SGPR: 2
; COMPUTE_PGM_RSRC2:TRAP_HANDLER: 0
; COMPUTE_PGM_RSRC2:TGID_X_EN: 1
; COMPUTE_PGM_RSRC2:TGID_Y_EN: 0
; COMPUTE_PGM_RSRC2:TGID_Z_EN: 0
; COMPUTE_PGM_RSRC2:TIDIG_COMP_CNT: 0
	.section	.text._ZN7rocprim17ROCPRIM_400000_NS6detail17trampoline_kernelINS0_14default_configENS1_38merge_sort_block_merge_config_selectorItNS0_10empty_typeEEEZZNS1_27merge_sort_block_merge_implIS3_PtPS5_jNS1_19radix_merge_compareILb1ELb1EtNS0_19identity_decomposerEEEEE10hipError_tT0_T1_T2_jT3_P12ihipStream_tbPNSt15iterator_traitsISE_E10value_typeEPNSK_ISF_E10value_typeEPSG_NS1_7vsmem_tEENKUlT_SE_SF_SG_E_clIS8_S8_S9_S9_EESD_ST_SE_SF_SG_EUlST_E0_NS1_11comp_targetILNS1_3genE3ELNS1_11target_archE908ELNS1_3gpuE7ELNS1_3repE0EEENS1_38merge_mergepath_config_static_selectorELNS0_4arch9wavefront6targetE0EEEvSF_,"axG",@progbits,_ZN7rocprim17ROCPRIM_400000_NS6detail17trampoline_kernelINS0_14default_configENS1_38merge_sort_block_merge_config_selectorItNS0_10empty_typeEEEZZNS1_27merge_sort_block_merge_implIS3_PtPS5_jNS1_19radix_merge_compareILb1ELb1EtNS0_19identity_decomposerEEEEE10hipError_tT0_T1_T2_jT3_P12ihipStream_tbPNSt15iterator_traitsISE_E10value_typeEPNSK_ISF_E10value_typeEPSG_NS1_7vsmem_tEENKUlT_SE_SF_SG_E_clIS8_S8_S9_S9_EESD_ST_SE_SF_SG_EUlST_E0_NS1_11comp_targetILNS1_3genE3ELNS1_11target_archE908ELNS1_3gpuE7ELNS1_3repE0EEENS1_38merge_mergepath_config_static_selectorELNS0_4arch9wavefront6targetE0EEEvSF_,comdat
	.protected	_ZN7rocprim17ROCPRIM_400000_NS6detail17trampoline_kernelINS0_14default_configENS1_38merge_sort_block_merge_config_selectorItNS0_10empty_typeEEEZZNS1_27merge_sort_block_merge_implIS3_PtPS5_jNS1_19radix_merge_compareILb1ELb1EtNS0_19identity_decomposerEEEEE10hipError_tT0_T1_T2_jT3_P12ihipStream_tbPNSt15iterator_traitsISE_E10value_typeEPNSK_ISF_E10value_typeEPSG_NS1_7vsmem_tEENKUlT_SE_SF_SG_E_clIS8_S8_S9_S9_EESD_ST_SE_SF_SG_EUlST_E0_NS1_11comp_targetILNS1_3genE3ELNS1_11target_archE908ELNS1_3gpuE7ELNS1_3repE0EEENS1_38merge_mergepath_config_static_selectorELNS0_4arch9wavefront6targetE0EEEvSF_ ; -- Begin function _ZN7rocprim17ROCPRIM_400000_NS6detail17trampoline_kernelINS0_14default_configENS1_38merge_sort_block_merge_config_selectorItNS0_10empty_typeEEEZZNS1_27merge_sort_block_merge_implIS3_PtPS5_jNS1_19radix_merge_compareILb1ELb1EtNS0_19identity_decomposerEEEEE10hipError_tT0_T1_T2_jT3_P12ihipStream_tbPNSt15iterator_traitsISE_E10value_typeEPNSK_ISF_E10value_typeEPSG_NS1_7vsmem_tEENKUlT_SE_SF_SG_E_clIS8_S8_S9_S9_EESD_ST_SE_SF_SG_EUlST_E0_NS1_11comp_targetILNS1_3genE3ELNS1_11target_archE908ELNS1_3gpuE7ELNS1_3repE0EEENS1_38merge_mergepath_config_static_selectorELNS0_4arch9wavefront6targetE0EEEvSF_
	.globl	_ZN7rocprim17ROCPRIM_400000_NS6detail17trampoline_kernelINS0_14default_configENS1_38merge_sort_block_merge_config_selectorItNS0_10empty_typeEEEZZNS1_27merge_sort_block_merge_implIS3_PtPS5_jNS1_19radix_merge_compareILb1ELb1EtNS0_19identity_decomposerEEEEE10hipError_tT0_T1_T2_jT3_P12ihipStream_tbPNSt15iterator_traitsISE_E10value_typeEPNSK_ISF_E10value_typeEPSG_NS1_7vsmem_tEENKUlT_SE_SF_SG_E_clIS8_S8_S9_S9_EESD_ST_SE_SF_SG_EUlST_E0_NS1_11comp_targetILNS1_3genE3ELNS1_11target_archE908ELNS1_3gpuE7ELNS1_3repE0EEENS1_38merge_mergepath_config_static_selectorELNS0_4arch9wavefront6targetE0EEEvSF_
	.p2align	8
	.type	_ZN7rocprim17ROCPRIM_400000_NS6detail17trampoline_kernelINS0_14default_configENS1_38merge_sort_block_merge_config_selectorItNS0_10empty_typeEEEZZNS1_27merge_sort_block_merge_implIS3_PtPS5_jNS1_19radix_merge_compareILb1ELb1EtNS0_19identity_decomposerEEEEE10hipError_tT0_T1_T2_jT3_P12ihipStream_tbPNSt15iterator_traitsISE_E10value_typeEPNSK_ISF_E10value_typeEPSG_NS1_7vsmem_tEENKUlT_SE_SF_SG_E_clIS8_S8_S9_S9_EESD_ST_SE_SF_SG_EUlST_E0_NS1_11comp_targetILNS1_3genE3ELNS1_11target_archE908ELNS1_3gpuE7ELNS1_3repE0EEENS1_38merge_mergepath_config_static_selectorELNS0_4arch9wavefront6targetE0EEEvSF_,@function
_ZN7rocprim17ROCPRIM_400000_NS6detail17trampoline_kernelINS0_14default_configENS1_38merge_sort_block_merge_config_selectorItNS0_10empty_typeEEEZZNS1_27merge_sort_block_merge_implIS3_PtPS5_jNS1_19radix_merge_compareILb1ELb1EtNS0_19identity_decomposerEEEEE10hipError_tT0_T1_T2_jT3_P12ihipStream_tbPNSt15iterator_traitsISE_E10value_typeEPNSK_ISF_E10value_typeEPSG_NS1_7vsmem_tEENKUlT_SE_SF_SG_E_clIS8_S8_S9_S9_EESD_ST_SE_SF_SG_EUlST_E0_NS1_11comp_targetILNS1_3genE3ELNS1_11target_archE908ELNS1_3gpuE7ELNS1_3repE0EEENS1_38merge_mergepath_config_static_selectorELNS0_4arch9wavefront6targetE0EEEvSF_: ; @_ZN7rocprim17ROCPRIM_400000_NS6detail17trampoline_kernelINS0_14default_configENS1_38merge_sort_block_merge_config_selectorItNS0_10empty_typeEEEZZNS1_27merge_sort_block_merge_implIS3_PtPS5_jNS1_19radix_merge_compareILb1ELb1EtNS0_19identity_decomposerEEEEE10hipError_tT0_T1_T2_jT3_P12ihipStream_tbPNSt15iterator_traitsISE_E10value_typeEPNSK_ISF_E10value_typeEPSG_NS1_7vsmem_tEENKUlT_SE_SF_SG_E_clIS8_S8_S9_S9_EESD_ST_SE_SF_SG_EUlST_E0_NS1_11comp_targetILNS1_3genE3ELNS1_11target_archE908ELNS1_3gpuE7ELNS1_3repE0EEENS1_38merge_mergepath_config_static_selectorELNS0_4arch9wavefront6targetE0EEEvSF_
; %bb.0:
	.section	.rodata,"a",@progbits
	.p2align	6, 0x0
	.amdhsa_kernel _ZN7rocprim17ROCPRIM_400000_NS6detail17trampoline_kernelINS0_14default_configENS1_38merge_sort_block_merge_config_selectorItNS0_10empty_typeEEEZZNS1_27merge_sort_block_merge_implIS3_PtPS5_jNS1_19radix_merge_compareILb1ELb1EtNS0_19identity_decomposerEEEEE10hipError_tT0_T1_T2_jT3_P12ihipStream_tbPNSt15iterator_traitsISE_E10value_typeEPNSK_ISF_E10value_typeEPSG_NS1_7vsmem_tEENKUlT_SE_SF_SG_E_clIS8_S8_S9_S9_EESD_ST_SE_SF_SG_EUlST_E0_NS1_11comp_targetILNS1_3genE3ELNS1_11target_archE908ELNS1_3gpuE7ELNS1_3repE0EEENS1_38merge_mergepath_config_static_selectorELNS0_4arch9wavefront6targetE0EEEvSF_
		.amdhsa_group_segment_fixed_size 0
		.amdhsa_private_segment_fixed_size 0
		.amdhsa_kernarg_size 64
		.amdhsa_user_sgpr_count 2
		.amdhsa_user_sgpr_dispatch_ptr 0
		.amdhsa_user_sgpr_queue_ptr 0
		.amdhsa_user_sgpr_kernarg_segment_ptr 1
		.amdhsa_user_sgpr_dispatch_id 0
		.amdhsa_user_sgpr_kernarg_preload_length 0
		.amdhsa_user_sgpr_kernarg_preload_offset 0
		.amdhsa_user_sgpr_private_segment_size 0
		.amdhsa_wavefront_size32 1
		.amdhsa_uses_dynamic_stack 0
		.amdhsa_enable_private_segment 0
		.amdhsa_system_sgpr_workgroup_id_x 1
		.amdhsa_system_sgpr_workgroup_id_y 0
		.amdhsa_system_sgpr_workgroup_id_z 0
		.amdhsa_system_sgpr_workgroup_info 0
		.amdhsa_system_vgpr_workitem_id 0
		.amdhsa_next_free_vgpr 1
		.amdhsa_next_free_sgpr 1
		.amdhsa_named_barrier_count 0
		.amdhsa_reserve_vcc 0
		.amdhsa_float_round_mode_32 0
		.amdhsa_float_round_mode_16_64 0
		.amdhsa_float_denorm_mode_32 3
		.amdhsa_float_denorm_mode_16_64 3
		.amdhsa_fp16_overflow 0
		.amdhsa_memory_ordered 1
		.amdhsa_forward_progress 1
		.amdhsa_inst_pref_size 0
		.amdhsa_round_robin_scheduling 0
		.amdhsa_exception_fp_ieee_invalid_op 0
		.amdhsa_exception_fp_denorm_src 0
		.amdhsa_exception_fp_ieee_div_zero 0
		.amdhsa_exception_fp_ieee_overflow 0
		.amdhsa_exception_fp_ieee_underflow 0
		.amdhsa_exception_fp_ieee_inexact 0
		.amdhsa_exception_int_div_zero 0
	.end_amdhsa_kernel
	.section	.text._ZN7rocprim17ROCPRIM_400000_NS6detail17trampoline_kernelINS0_14default_configENS1_38merge_sort_block_merge_config_selectorItNS0_10empty_typeEEEZZNS1_27merge_sort_block_merge_implIS3_PtPS5_jNS1_19radix_merge_compareILb1ELb1EtNS0_19identity_decomposerEEEEE10hipError_tT0_T1_T2_jT3_P12ihipStream_tbPNSt15iterator_traitsISE_E10value_typeEPNSK_ISF_E10value_typeEPSG_NS1_7vsmem_tEENKUlT_SE_SF_SG_E_clIS8_S8_S9_S9_EESD_ST_SE_SF_SG_EUlST_E0_NS1_11comp_targetILNS1_3genE3ELNS1_11target_archE908ELNS1_3gpuE7ELNS1_3repE0EEENS1_38merge_mergepath_config_static_selectorELNS0_4arch9wavefront6targetE0EEEvSF_,"axG",@progbits,_ZN7rocprim17ROCPRIM_400000_NS6detail17trampoline_kernelINS0_14default_configENS1_38merge_sort_block_merge_config_selectorItNS0_10empty_typeEEEZZNS1_27merge_sort_block_merge_implIS3_PtPS5_jNS1_19radix_merge_compareILb1ELb1EtNS0_19identity_decomposerEEEEE10hipError_tT0_T1_T2_jT3_P12ihipStream_tbPNSt15iterator_traitsISE_E10value_typeEPNSK_ISF_E10value_typeEPSG_NS1_7vsmem_tEENKUlT_SE_SF_SG_E_clIS8_S8_S9_S9_EESD_ST_SE_SF_SG_EUlST_E0_NS1_11comp_targetILNS1_3genE3ELNS1_11target_archE908ELNS1_3gpuE7ELNS1_3repE0EEENS1_38merge_mergepath_config_static_selectorELNS0_4arch9wavefront6targetE0EEEvSF_,comdat
.Lfunc_end2348:
	.size	_ZN7rocprim17ROCPRIM_400000_NS6detail17trampoline_kernelINS0_14default_configENS1_38merge_sort_block_merge_config_selectorItNS0_10empty_typeEEEZZNS1_27merge_sort_block_merge_implIS3_PtPS5_jNS1_19radix_merge_compareILb1ELb1EtNS0_19identity_decomposerEEEEE10hipError_tT0_T1_T2_jT3_P12ihipStream_tbPNSt15iterator_traitsISE_E10value_typeEPNSK_ISF_E10value_typeEPSG_NS1_7vsmem_tEENKUlT_SE_SF_SG_E_clIS8_S8_S9_S9_EESD_ST_SE_SF_SG_EUlST_E0_NS1_11comp_targetILNS1_3genE3ELNS1_11target_archE908ELNS1_3gpuE7ELNS1_3repE0EEENS1_38merge_mergepath_config_static_selectorELNS0_4arch9wavefront6targetE0EEEvSF_, .Lfunc_end2348-_ZN7rocprim17ROCPRIM_400000_NS6detail17trampoline_kernelINS0_14default_configENS1_38merge_sort_block_merge_config_selectorItNS0_10empty_typeEEEZZNS1_27merge_sort_block_merge_implIS3_PtPS5_jNS1_19radix_merge_compareILb1ELb1EtNS0_19identity_decomposerEEEEE10hipError_tT0_T1_T2_jT3_P12ihipStream_tbPNSt15iterator_traitsISE_E10value_typeEPNSK_ISF_E10value_typeEPSG_NS1_7vsmem_tEENKUlT_SE_SF_SG_E_clIS8_S8_S9_S9_EESD_ST_SE_SF_SG_EUlST_E0_NS1_11comp_targetILNS1_3genE3ELNS1_11target_archE908ELNS1_3gpuE7ELNS1_3repE0EEENS1_38merge_mergepath_config_static_selectorELNS0_4arch9wavefront6targetE0EEEvSF_
                                        ; -- End function
	.set _ZN7rocprim17ROCPRIM_400000_NS6detail17trampoline_kernelINS0_14default_configENS1_38merge_sort_block_merge_config_selectorItNS0_10empty_typeEEEZZNS1_27merge_sort_block_merge_implIS3_PtPS5_jNS1_19radix_merge_compareILb1ELb1EtNS0_19identity_decomposerEEEEE10hipError_tT0_T1_T2_jT3_P12ihipStream_tbPNSt15iterator_traitsISE_E10value_typeEPNSK_ISF_E10value_typeEPSG_NS1_7vsmem_tEENKUlT_SE_SF_SG_E_clIS8_S8_S9_S9_EESD_ST_SE_SF_SG_EUlST_E0_NS1_11comp_targetILNS1_3genE3ELNS1_11target_archE908ELNS1_3gpuE7ELNS1_3repE0EEENS1_38merge_mergepath_config_static_selectorELNS0_4arch9wavefront6targetE0EEEvSF_.num_vgpr, 0
	.set _ZN7rocprim17ROCPRIM_400000_NS6detail17trampoline_kernelINS0_14default_configENS1_38merge_sort_block_merge_config_selectorItNS0_10empty_typeEEEZZNS1_27merge_sort_block_merge_implIS3_PtPS5_jNS1_19radix_merge_compareILb1ELb1EtNS0_19identity_decomposerEEEEE10hipError_tT0_T1_T2_jT3_P12ihipStream_tbPNSt15iterator_traitsISE_E10value_typeEPNSK_ISF_E10value_typeEPSG_NS1_7vsmem_tEENKUlT_SE_SF_SG_E_clIS8_S8_S9_S9_EESD_ST_SE_SF_SG_EUlST_E0_NS1_11comp_targetILNS1_3genE3ELNS1_11target_archE908ELNS1_3gpuE7ELNS1_3repE0EEENS1_38merge_mergepath_config_static_selectorELNS0_4arch9wavefront6targetE0EEEvSF_.num_agpr, 0
	.set _ZN7rocprim17ROCPRIM_400000_NS6detail17trampoline_kernelINS0_14default_configENS1_38merge_sort_block_merge_config_selectorItNS0_10empty_typeEEEZZNS1_27merge_sort_block_merge_implIS3_PtPS5_jNS1_19radix_merge_compareILb1ELb1EtNS0_19identity_decomposerEEEEE10hipError_tT0_T1_T2_jT3_P12ihipStream_tbPNSt15iterator_traitsISE_E10value_typeEPNSK_ISF_E10value_typeEPSG_NS1_7vsmem_tEENKUlT_SE_SF_SG_E_clIS8_S8_S9_S9_EESD_ST_SE_SF_SG_EUlST_E0_NS1_11comp_targetILNS1_3genE3ELNS1_11target_archE908ELNS1_3gpuE7ELNS1_3repE0EEENS1_38merge_mergepath_config_static_selectorELNS0_4arch9wavefront6targetE0EEEvSF_.numbered_sgpr, 0
	.set _ZN7rocprim17ROCPRIM_400000_NS6detail17trampoline_kernelINS0_14default_configENS1_38merge_sort_block_merge_config_selectorItNS0_10empty_typeEEEZZNS1_27merge_sort_block_merge_implIS3_PtPS5_jNS1_19radix_merge_compareILb1ELb1EtNS0_19identity_decomposerEEEEE10hipError_tT0_T1_T2_jT3_P12ihipStream_tbPNSt15iterator_traitsISE_E10value_typeEPNSK_ISF_E10value_typeEPSG_NS1_7vsmem_tEENKUlT_SE_SF_SG_E_clIS8_S8_S9_S9_EESD_ST_SE_SF_SG_EUlST_E0_NS1_11comp_targetILNS1_3genE3ELNS1_11target_archE908ELNS1_3gpuE7ELNS1_3repE0EEENS1_38merge_mergepath_config_static_selectorELNS0_4arch9wavefront6targetE0EEEvSF_.num_named_barrier, 0
	.set _ZN7rocprim17ROCPRIM_400000_NS6detail17trampoline_kernelINS0_14default_configENS1_38merge_sort_block_merge_config_selectorItNS0_10empty_typeEEEZZNS1_27merge_sort_block_merge_implIS3_PtPS5_jNS1_19radix_merge_compareILb1ELb1EtNS0_19identity_decomposerEEEEE10hipError_tT0_T1_T2_jT3_P12ihipStream_tbPNSt15iterator_traitsISE_E10value_typeEPNSK_ISF_E10value_typeEPSG_NS1_7vsmem_tEENKUlT_SE_SF_SG_E_clIS8_S8_S9_S9_EESD_ST_SE_SF_SG_EUlST_E0_NS1_11comp_targetILNS1_3genE3ELNS1_11target_archE908ELNS1_3gpuE7ELNS1_3repE0EEENS1_38merge_mergepath_config_static_selectorELNS0_4arch9wavefront6targetE0EEEvSF_.private_seg_size, 0
	.set _ZN7rocprim17ROCPRIM_400000_NS6detail17trampoline_kernelINS0_14default_configENS1_38merge_sort_block_merge_config_selectorItNS0_10empty_typeEEEZZNS1_27merge_sort_block_merge_implIS3_PtPS5_jNS1_19radix_merge_compareILb1ELb1EtNS0_19identity_decomposerEEEEE10hipError_tT0_T1_T2_jT3_P12ihipStream_tbPNSt15iterator_traitsISE_E10value_typeEPNSK_ISF_E10value_typeEPSG_NS1_7vsmem_tEENKUlT_SE_SF_SG_E_clIS8_S8_S9_S9_EESD_ST_SE_SF_SG_EUlST_E0_NS1_11comp_targetILNS1_3genE3ELNS1_11target_archE908ELNS1_3gpuE7ELNS1_3repE0EEENS1_38merge_mergepath_config_static_selectorELNS0_4arch9wavefront6targetE0EEEvSF_.uses_vcc, 0
	.set _ZN7rocprim17ROCPRIM_400000_NS6detail17trampoline_kernelINS0_14default_configENS1_38merge_sort_block_merge_config_selectorItNS0_10empty_typeEEEZZNS1_27merge_sort_block_merge_implIS3_PtPS5_jNS1_19radix_merge_compareILb1ELb1EtNS0_19identity_decomposerEEEEE10hipError_tT0_T1_T2_jT3_P12ihipStream_tbPNSt15iterator_traitsISE_E10value_typeEPNSK_ISF_E10value_typeEPSG_NS1_7vsmem_tEENKUlT_SE_SF_SG_E_clIS8_S8_S9_S9_EESD_ST_SE_SF_SG_EUlST_E0_NS1_11comp_targetILNS1_3genE3ELNS1_11target_archE908ELNS1_3gpuE7ELNS1_3repE0EEENS1_38merge_mergepath_config_static_selectorELNS0_4arch9wavefront6targetE0EEEvSF_.uses_flat_scratch, 0
	.set _ZN7rocprim17ROCPRIM_400000_NS6detail17trampoline_kernelINS0_14default_configENS1_38merge_sort_block_merge_config_selectorItNS0_10empty_typeEEEZZNS1_27merge_sort_block_merge_implIS3_PtPS5_jNS1_19radix_merge_compareILb1ELb1EtNS0_19identity_decomposerEEEEE10hipError_tT0_T1_T2_jT3_P12ihipStream_tbPNSt15iterator_traitsISE_E10value_typeEPNSK_ISF_E10value_typeEPSG_NS1_7vsmem_tEENKUlT_SE_SF_SG_E_clIS8_S8_S9_S9_EESD_ST_SE_SF_SG_EUlST_E0_NS1_11comp_targetILNS1_3genE3ELNS1_11target_archE908ELNS1_3gpuE7ELNS1_3repE0EEENS1_38merge_mergepath_config_static_selectorELNS0_4arch9wavefront6targetE0EEEvSF_.has_dyn_sized_stack, 0
	.set _ZN7rocprim17ROCPRIM_400000_NS6detail17trampoline_kernelINS0_14default_configENS1_38merge_sort_block_merge_config_selectorItNS0_10empty_typeEEEZZNS1_27merge_sort_block_merge_implIS3_PtPS5_jNS1_19radix_merge_compareILb1ELb1EtNS0_19identity_decomposerEEEEE10hipError_tT0_T1_T2_jT3_P12ihipStream_tbPNSt15iterator_traitsISE_E10value_typeEPNSK_ISF_E10value_typeEPSG_NS1_7vsmem_tEENKUlT_SE_SF_SG_E_clIS8_S8_S9_S9_EESD_ST_SE_SF_SG_EUlST_E0_NS1_11comp_targetILNS1_3genE3ELNS1_11target_archE908ELNS1_3gpuE7ELNS1_3repE0EEENS1_38merge_mergepath_config_static_selectorELNS0_4arch9wavefront6targetE0EEEvSF_.has_recursion, 0
	.set _ZN7rocprim17ROCPRIM_400000_NS6detail17trampoline_kernelINS0_14default_configENS1_38merge_sort_block_merge_config_selectorItNS0_10empty_typeEEEZZNS1_27merge_sort_block_merge_implIS3_PtPS5_jNS1_19radix_merge_compareILb1ELb1EtNS0_19identity_decomposerEEEEE10hipError_tT0_T1_T2_jT3_P12ihipStream_tbPNSt15iterator_traitsISE_E10value_typeEPNSK_ISF_E10value_typeEPSG_NS1_7vsmem_tEENKUlT_SE_SF_SG_E_clIS8_S8_S9_S9_EESD_ST_SE_SF_SG_EUlST_E0_NS1_11comp_targetILNS1_3genE3ELNS1_11target_archE908ELNS1_3gpuE7ELNS1_3repE0EEENS1_38merge_mergepath_config_static_selectorELNS0_4arch9wavefront6targetE0EEEvSF_.has_indirect_call, 0
	.section	.AMDGPU.csdata,"",@progbits
; Kernel info:
; codeLenInByte = 0
; TotalNumSgprs: 0
; NumVgprs: 0
; ScratchSize: 0
; MemoryBound: 0
; FloatMode: 240
; IeeeMode: 1
; LDSByteSize: 0 bytes/workgroup (compile time only)
; SGPRBlocks: 0
; VGPRBlocks: 0
; NumSGPRsForWavesPerEU: 1
; NumVGPRsForWavesPerEU: 1
; NamedBarCnt: 0
; Occupancy: 16
; WaveLimiterHint : 0
; COMPUTE_PGM_RSRC2:SCRATCH_EN: 0
; COMPUTE_PGM_RSRC2:USER_SGPR: 2
; COMPUTE_PGM_RSRC2:TRAP_HANDLER: 0
; COMPUTE_PGM_RSRC2:TGID_X_EN: 1
; COMPUTE_PGM_RSRC2:TGID_Y_EN: 0
; COMPUTE_PGM_RSRC2:TGID_Z_EN: 0
; COMPUTE_PGM_RSRC2:TIDIG_COMP_CNT: 0
	.section	.text._ZN7rocprim17ROCPRIM_400000_NS6detail17trampoline_kernelINS0_14default_configENS1_38merge_sort_block_merge_config_selectorItNS0_10empty_typeEEEZZNS1_27merge_sort_block_merge_implIS3_PtPS5_jNS1_19radix_merge_compareILb1ELb1EtNS0_19identity_decomposerEEEEE10hipError_tT0_T1_T2_jT3_P12ihipStream_tbPNSt15iterator_traitsISE_E10value_typeEPNSK_ISF_E10value_typeEPSG_NS1_7vsmem_tEENKUlT_SE_SF_SG_E_clIS8_S8_S9_S9_EESD_ST_SE_SF_SG_EUlST_E0_NS1_11comp_targetILNS1_3genE2ELNS1_11target_archE906ELNS1_3gpuE6ELNS1_3repE0EEENS1_38merge_mergepath_config_static_selectorELNS0_4arch9wavefront6targetE0EEEvSF_,"axG",@progbits,_ZN7rocprim17ROCPRIM_400000_NS6detail17trampoline_kernelINS0_14default_configENS1_38merge_sort_block_merge_config_selectorItNS0_10empty_typeEEEZZNS1_27merge_sort_block_merge_implIS3_PtPS5_jNS1_19radix_merge_compareILb1ELb1EtNS0_19identity_decomposerEEEEE10hipError_tT0_T1_T2_jT3_P12ihipStream_tbPNSt15iterator_traitsISE_E10value_typeEPNSK_ISF_E10value_typeEPSG_NS1_7vsmem_tEENKUlT_SE_SF_SG_E_clIS8_S8_S9_S9_EESD_ST_SE_SF_SG_EUlST_E0_NS1_11comp_targetILNS1_3genE2ELNS1_11target_archE906ELNS1_3gpuE6ELNS1_3repE0EEENS1_38merge_mergepath_config_static_selectorELNS0_4arch9wavefront6targetE0EEEvSF_,comdat
	.protected	_ZN7rocprim17ROCPRIM_400000_NS6detail17trampoline_kernelINS0_14default_configENS1_38merge_sort_block_merge_config_selectorItNS0_10empty_typeEEEZZNS1_27merge_sort_block_merge_implIS3_PtPS5_jNS1_19radix_merge_compareILb1ELb1EtNS0_19identity_decomposerEEEEE10hipError_tT0_T1_T2_jT3_P12ihipStream_tbPNSt15iterator_traitsISE_E10value_typeEPNSK_ISF_E10value_typeEPSG_NS1_7vsmem_tEENKUlT_SE_SF_SG_E_clIS8_S8_S9_S9_EESD_ST_SE_SF_SG_EUlST_E0_NS1_11comp_targetILNS1_3genE2ELNS1_11target_archE906ELNS1_3gpuE6ELNS1_3repE0EEENS1_38merge_mergepath_config_static_selectorELNS0_4arch9wavefront6targetE0EEEvSF_ ; -- Begin function _ZN7rocprim17ROCPRIM_400000_NS6detail17trampoline_kernelINS0_14default_configENS1_38merge_sort_block_merge_config_selectorItNS0_10empty_typeEEEZZNS1_27merge_sort_block_merge_implIS3_PtPS5_jNS1_19radix_merge_compareILb1ELb1EtNS0_19identity_decomposerEEEEE10hipError_tT0_T1_T2_jT3_P12ihipStream_tbPNSt15iterator_traitsISE_E10value_typeEPNSK_ISF_E10value_typeEPSG_NS1_7vsmem_tEENKUlT_SE_SF_SG_E_clIS8_S8_S9_S9_EESD_ST_SE_SF_SG_EUlST_E0_NS1_11comp_targetILNS1_3genE2ELNS1_11target_archE906ELNS1_3gpuE6ELNS1_3repE0EEENS1_38merge_mergepath_config_static_selectorELNS0_4arch9wavefront6targetE0EEEvSF_
	.globl	_ZN7rocprim17ROCPRIM_400000_NS6detail17trampoline_kernelINS0_14default_configENS1_38merge_sort_block_merge_config_selectorItNS0_10empty_typeEEEZZNS1_27merge_sort_block_merge_implIS3_PtPS5_jNS1_19radix_merge_compareILb1ELb1EtNS0_19identity_decomposerEEEEE10hipError_tT0_T1_T2_jT3_P12ihipStream_tbPNSt15iterator_traitsISE_E10value_typeEPNSK_ISF_E10value_typeEPSG_NS1_7vsmem_tEENKUlT_SE_SF_SG_E_clIS8_S8_S9_S9_EESD_ST_SE_SF_SG_EUlST_E0_NS1_11comp_targetILNS1_3genE2ELNS1_11target_archE906ELNS1_3gpuE6ELNS1_3repE0EEENS1_38merge_mergepath_config_static_selectorELNS0_4arch9wavefront6targetE0EEEvSF_
	.p2align	8
	.type	_ZN7rocprim17ROCPRIM_400000_NS6detail17trampoline_kernelINS0_14default_configENS1_38merge_sort_block_merge_config_selectorItNS0_10empty_typeEEEZZNS1_27merge_sort_block_merge_implIS3_PtPS5_jNS1_19radix_merge_compareILb1ELb1EtNS0_19identity_decomposerEEEEE10hipError_tT0_T1_T2_jT3_P12ihipStream_tbPNSt15iterator_traitsISE_E10value_typeEPNSK_ISF_E10value_typeEPSG_NS1_7vsmem_tEENKUlT_SE_SF_SG_E_clIS8_S8_S9_S9_EESD_ST_SE_SF_SG_EUlST_E0_NS1_11comp_targetILNS1_3genE2ELNS1_11target_archE906ELNS1_3gpuE6ELNS1_3repE0EEENS1_38merge_mergepath_config_static_selectorELNS0_4arch9wavefront6targetE0EEEvSF_,@function
_ZN7rocprim17ROCPRIM_400000_NS6detail17trampoline_kernelINS0_14default_configENS1_38merge_sort_block_merge_config_selectorItNS0_10empty_typeEEEZZNS1_27merge_sort_block_merge_implIS3_PtPS5_jNS1_19radix_merge_compareILb1ELb1EtNS0_19identity_decomposerEEEEE10hipError_tT0_T1_T2_jT3_P12ihipStream_tbPNSt15iterator_traitsISE_E10value_typeEPNSK_ISF_E10value_typeEPSG_NS1_7vsmem_tEENKUlT_SE_SF_SG_E_clIS8_S8_S9_S9_EESD_ST_SE_SF_SG_EUlST_E0_NS1_11comp_targetILNS1_3genE2ELNS1_11target_archE906ELNS1_3gpuE6ELNS1_3repE0EEENS1_38merge_mergepath_config_static_selectorELNS0_4arch9wavefront6targetE0EEEvSF_: ; @_ZN7rocprim17ROCPRIM_400000_NS6detail17trampoline_kernelINS0_14default_configENS1_38merge_sort_block_merge_config_selectorItNS0_10empty_typeEEEZZNS1_27merge_sort_block_merge_implIS3_PtPS5_jNS1_19radix_merge_compareILb1ELb1EtNS0_19identity_decomposerEEEEE10hipError_tT0_T1_T2_jT3_P12ihipStream_tbPNSt15iterator_traitsISE_E10value_typeEPNSK_ISF_E10value_typeEPSG_NS1_7vsmem_tEENKUlT_SE_SF_SG_E_clIS8_S8_S9_S9_EESD_ST_SE_SF_SG_EUlST_E0_NS1_11comp_targetILNS1_3genE2ELNS1_11target_archE906ELNS1_3gpuE6ELNS1_3repE0EEENS1_38merge_mergepath_config_static_selectorELNS0_4arch9wavefront6targetE0EEEvSF_
; %bb.0:
	.section	.rodata,"a",@progbits
	.p2align	6, 0x0
	.amdhsa_kernel _ZN7rocprim17ROCPRIM_400000_NS6detail17trampoline_kernelINS0_14default_configENS1_38merge_sort_block_merge_config_selectorItNS0_10empty_typeEEEZZNS1_27merge_sort_block_merge_implIS3_PtPS5_jNS1_19radix_merge_compareILb1ELb1EtNS0_19identity_decomposerEEEEE10hipError_tT0_T1_T2_jT3_P12ihipStream_tbPNSt15iterator_traitsISE_E10value_typeEPNSK_ISF_E10value_typeEPSG_NS1_7vsmem_tEENKUlT_SE_SF_SG_E_clIS8_S8_S9_S9_EESD_ST_SE_SF_SG_EUlST_E0_NS1_11comp_targetILNS1_3genE2ELNS1_11target_archE906ELNS1_3gpuE6ELNS1_3repE0EEENS1_38merge_mergepath_config_static_selectorELNS0_4arch9wavefront6targetE0EEEvSF_
		.amdhsa_group_segment_fixed_size 0
		.amdhsa_private_segment_fixed_size 0
		.amdhsa_kernarg_size 64
		.amdhsa_user_sgpr_count 2
		.amdhsa_user_sgpr_dispatch_ptr 0
		.amdhsa_user_sgpr_queue_ptr 0
		.amdhsa_user_sgpr_kernarg_segment_ptr 1
		.amdhsa_user_sgpr_dispatch_id 0
		.amdhsa_user_sgpr_kernarg_preload_length 0
		.amdhsa_user_sgpr_kernarg_preload_offset 0
		.amdhsa_user_sgpr_private_segment_size 0
		.amdhsa_wavefront_size32 1
		.amdhsa_uses_dynamic_stack 0
		.amdhsa_enable_private_segment 0
		.amdhsa_system_sgpr_workgroup_id_x 1
		.amdhsa_system_sgpr_workgroup_id_y 0
		.amdhsa_system_sgpr_workgroup_id_z 0
		.amdhsa_system_sgpr_workgroup_info 0
		.amdhsa_system_vgpr_workitem_id 0
		.amdhsa_next_free_vgpr 1
		.amdhsa_next_free_sgpr 1
		.amdhsa_named_barrier_count 0
		.amdhsa_reserve_vcc 0
		.amdhsa_float_round_mode_32 0
		.amdhsa_float_round_mode_16_64 0
		.amdhsa_float_denorm_mode_32 3
		.amdhsa_float_denorm_mode_16_64 3
		.amdhsa_fp16_overflow 0
		.amdhsa_memory_ordered 1
		.amdhsa_forward_progress 1
		.amdhsa_inst_pref_size 0
		.amdhsa_round_robin_scheduling 0
		.amdhsa_exception_fp_ieee_invalid_op 0
		.amdhsa_exception_fp_denorm_src 0
		.amdhsa_exception_fp_ieee_div_zero 0
		.amdhsa_exception_fp_ieee_overflow 0
		.amdhsa_exception_fp_ieee_underflow 0
		.amdhsa_exception_fp_ieee_inexact 0
		.amdhsa_exception_int_div_zero 0
	.end_amdhsa_kernel
	.section	.text._ZN7rocprim17ROCPRIM_400000_NS6detail17trampoline_kernelINS0_14default_configENS1_38merge_sort_block_merge_config_selectorItNS0_10empty_typeEEEZZNS1_27merge_sort_block_merge_implIS3_PtPS5_jNS1_19radix_merge_compareILb1ELb1EtNS0_19identity_decomposerEEEEE10hipError_tT0_T1_T2_jT3_P12ihipStream_tbPNSt15iterator_traitsISE_E10value_typeEPNSK_ISF_E10value_typeEPSG_NS1_7vsmem_tEENKUlT_SE_SF_SG_E_clIS8_S8_S9_S9_EESD_ST_SE_SF_SG_EUlST_E0_NS1_11comp_targetILNS1_3genE2ELNS1_11target_archE906ELNS1_3gpuE6ELNS1_3repE0EEENS1_38merge_mergepath_config_static_selectorELNS0_4arch9wavefront6targetE0EEEvSF_,"axG",@progbits,_ZN7rocprim17ROCPRIM_400000_NS6detail17trampoline_kernelINS0_14default_configENS1_38merge_sort_block_merge_config_selectorItNS0_10empty_typeEEEZZNS1_27merge_sort_block_merge_implIS3_PtPS5_jNS1_19radix_merge_compareILb1ELb1EtNS0_19identity_decomposerEEEEE10hipError_tT0_T1_T2_jT3_P12ihipStream_tbPNSt15iterator_traitsISE_E10value_typeEPNSK_ISF_E10value_typeEPSG_NS1_7vsmem_tEENKUlT_SE_SF_SG_E_clIS8_S8_S9_S9_EESD_ST_SE_SF_SG_EUlST_E0_NS1_11comp_targetILNS1_3genE2ELNS1_11target_archE906ELNS1_3gpuE6ELNS1_3repE0EEENS1_38merge_mergepath_config_static_selectorELNS0_4arch9wavefront6targetE0EEEvSF_,comdat
.Lfunc_end2349:
	.size	_ZN7rocprim17ROCPRIM_400000_NS6detail17trampoline_kernelINS0_14default_configENS1_38merge_sort_block_merge_config_selectorItNS0_10empty_typeEEEZZNS1_27merge_sort_block_merge_implIS3_PtPS5_jNS1_19radix_merge_compareILb1ELb1EtNS0_19identity_decomposerEEEEE10hipError_tT0_T1_T2_jT3_P12ihipStream_tbPNSt15iterator_traitsISE_E10value_typeEPNSK_ISF_E10value_typeEPSG_NS1_7vsmem_tEENKUlT_SE_SF_SG_E_clIS8_S8_S9_S9_EESD_ST_SE_SF_SG_EUlST_E0_NS1_11comp_targetILNS1_3genE2ELNS1_11target_archE906ELNS1_3gpuE6ELNS1_3repE0EEENS1_38merge_mergepath_config_static_selectorELNS0_4arch9wavefront6targetE0EEEvSF_, .Lfunc_end2349-_ZN7rocprim17ROCPRIM_400000_NS6detail17trampoline_kernelINS0_14default_configENS1_38merge_sort_block_merge_config_selectorItNS0_10empty_typeEEEZZNS1_27merge_sort_block_merge_implIS3_PtPS5_jNS1_19radix_merge_compareILb1ELb1EtNS0_19identity_decomposerEEEEE10hipError_tT0_T1_T2_jT3_P12ihipStream_tbPNSt15iterator_traitsISE_E10value_typeEPNSK_ISF_E10value_typeEPSG_NS1_7vsmem_tEENKUlT_SE_SF_SG_E_clIS8_S8_S9_S9_EESD_ST_SE_SF_SG_EUlST_E0_NS1_11comp_targetILNS1_3genE2ELNS1_11target_archE906ELNS1_3gpuE6ELNS1_3repE0EEENS1_38merge_mergepath_config_static_selectorELNS0_4arch9wavefront6targetE0EEEvSF_
                                        ; -- End function
	.set _ZN7rocprim17ROCPRIM_400000_NS6detail17trampoline_kernelINS0_14default_configENS1_38merge_sort_block_merge_config_selectorItNS0_10empty_typeEEEZZNS1_27merge_sort_block_merge_implIS3_PtPS5_jNS1_19radix_merge_compareILb1ELb1EtNS0_19identity_decomposerEEEEE10hipError_tT0_T1_T2_jT3_P12ihipStream_tbPNSt15iterator_traitsISE_E10value_typeEPNSK_ISF_E10value_typeEPSG_NS1_7vsmem_tEENKUlT_SE_SF_SG_E_clIS8_S8_S9_S9_EESD_ST_SE_SF_SG_EUlST_E0_NS1_11comp_targetILNS1_3genE2ELNS1_11target_archE906ELNS1_3gpuE6ELNS1_3repE0EEENS1_38merge_mergepath_config_static_selectorELNS0_4arch9wavefront6targetE0EEEvSF_.num_vgpr, 0
	.set _ZN7rocprim17ROCPRIM_400000_NS6detail17trampoline_kernelINS0_14default_configENS1_38merge_sort_block_merge_config_selectorItNS0_10empty_typeEEEZZNS1_27merge_sort_block_merge_implIS3_PtPS5_jNS1_19radix_merge_compareILb1ELb1EtNS0_19identity_decomposerEEEEE10hipError_tT0_T1_T2_jT3_P12ihipStream_tbPNSt15iterator_traitsISE_E10value_typeEPNSK_ISF_E10value_typeEPSG_NS1_7vsmem_tEENKUlT_SE_SF_SG_E_clIS8_S8_S9_S9_EESD_ST_SE_SF_SG_EUlST_E0_NS1_11comp_targetILNS1_3genE2ELNS1_11target_archE906ELNS1_3gpuE6ELNS1_3repE0EEENS1_38merge_mergepath_config_static_selectorELNS0_4arch9wavefront6targetE0EEEvSF_.num_agpr, 0
	.set _ZN7rocprim17ROCPRIM_400000_NS6detail17trampoline_kernelINS0_14default_configENS1_38merge_sort_block_merge_config_selectorItNS0_10empty_typeEEEZZNS1_27merge_sort_block_merge_implIS3_PtPS5_jNS1_19radix_merge_compareILb1ELb1EtNS0_19identity_decomposerEEEEE10hipError_tT0_T1_T2_jT3_P12ihipStream_tbPNSt15iterator_traitsISE_E10value_typeEPNSK_ISF_E10value_typeEPSG_NS1_7vsmem_tEENKUlT_SE_SF_SG_E_clIS8_S8_S9_S9_EESD_ST_SE_SF_SG_EUlST_E0_NS1_11comp_targetILNS1_3genE2ELNS1_11target_archE906ELNS1_3gpuE6ELNS1_3repE0EEENS1_38merge_mergepath_config_static_selectorELNS0_4arch9wavefront6targetE0EEEvSF_.numbered_sgpr, 0
	.set _ZN7rocprim17ROCPRIM_400000_NS6detail17trampoline_kernelINS0_14default_configENS1_38merge_sort_block_merge_config_selectorItNS0_10empty_typeEEEZZNS1_27merge_sort_block_merge_implIS3_PtPS5_jNS1_19radix_merge_compareILb1ELb1EtNS0_19identity_decomposerEEEEE10hipError_tT0_T1_T2_jT3_P12ihipStream_tbPNSt15iterator_traitsISE_E10value_typeEPNSK_ISF_E10value_typeEPSG_NS1_7vsmem_tEENKUlT_SE_SF_SG_E_clIS8_S8_S9_S9_EESD_ST_SE_SF_SG_EUlST_E0_NS1_11comp_targetILNS1_3genE2ELNS1_11target_archE906ELNS1_3gpuE6ELNS1_3repE0EEENS1_38merge_mergepath_config_static_selectorELNS0_4arch9wavefront6targetE0EEEvSF_.num_named_barrier, 0
	.set _ZN7rocprim17ROCPRIM_400000_NS6detail17trampoline_kernelINS0_14default_configENS1_38merge_sort_block_merge_config_selectorItNS0_10empty_typeEEEZZNS1_27merge_sort_block_merge_implIS3_PtPS5_jNS1_19radix_merge_compareILb1ELb1EtNS0_19identity_decomposerEEEEE10hipError_tT0_T1_T2_jT3_P12ihipStream_tbPNSt15iterator_traitsISE_E10value_typeEPNSK_ISF_E10value_typeEPSG_NS1_7vsmem_tEENKUlT_SE_SF_SG_E_clIS8_S8_S9_S9_EESD_ST_SE_SF_SG_EUlST_E0_NS1_11comp_targetILNS1_3genE2ELNS1_11target_archE906ELNS1_3gpuE6ELNS1_3repE0EEENS1_38merge_mergepath_config_static_selectorELNS0_4arch9wavefront6targetE0EEEvSF_.private_seg_size, 0
	.set _ZN7rocprim17ROCPRIM_400000_NS6detail17trampoline_kernelINS0_14default_configENS1_38merge_sort_block_merge_config_selectorItNS0_10empty_typeEEEZZNS1_27merge_sort_block_merge_implIS3_PtPS5_jNS1_19radix_merge_compareILb1ELb1EtNS0_19identity_decomposerEEEEE10hipError_tT0_T1_T2_jT3_P12ihipStream_tbPNSt15iterator_traitsISE_E10value_typeEPNSK_ISF_E10value_typeEPSG_NS1_7vsmem_tEENKUlT_SE_SF_SG_E_clIS8_S8_S9_S9_EESD_ST_SE_SF_SG_EUlST_E0_NS1_11comp_targetILNS1_3genE2ELNS1_11target_archE906ELNS1_3gpuE6ELNS1_3repE0EEENS1_38merge_mergepath_config_static_selectorELNS0_4arch9wavefront6targetE0EEEvSF_.uses_vcc, 0
	.set _ZN7rocprim17ROCPRIM_400000_NS6detail17trampoline_kernelINS0_14default_configENS1_38merge_sort_block_merge_config_selectorItNS0_10empty_typeEEEZZNS1_27merge_sort_block_merge_implIS3_PtPS5_jNS1_19radix_merge_compareILb1ELb1EtNS0_19identity_decomposerEEEEE10hipError_tT0_T1_T2_jT3_P12ihipStream_tbPNSt15iterator_traitsISE_E10value_typeEPNSK_ISF_E10value_typeEPSG_NS1_7vsmem_tEENKUlT_SE_SF_SG_E_clIS8_S8_S9_S9_EESD_ST_SE_SF_SG_EUlST_E0_NS1_11comp_targetILNS1_3genE2ELNS1_11target_archE906ELNS1_3gpuE6ELNS1_3repE0EEENS1_38merge_mergepath_config_static_selectorELNS0_4arch9wavefront6targetE0EEEvSF_.uses_flat_scratch, 0
	.set _ZN7rocprim17ROCPRIM_400000_NS6detail17trampoline_kernelINS0_14default_configENS1_38merge_sort_block_merge_config_selectorItNS0_10empty_typeEEEZZNS1_27merge_sort_block_merge_implIS3_PtPS5_jNS1_19radix_merge_compareILb1ELb1EtNS0_19identity_decomposerEEEEE10hipError_tT0_T1_T2_jT3_P12ihipStream_tbPNSt15iterator_traitsISE_E10value_typeEPNSK_ISF_E10value_typeEPSG_NS1_7vsmem_tEENKUlT_SE_SF_SG_E_clIS8_S8_S9_S9_EESD_ST_SE_SF_SG_EUlST_E0_NS1_11comp_targetILNS1_3genE2ELNS1_11target_archE906ELNS1_3gpuE6ELNS1_3repE0EEENS1_38merge_mergepath_config_static_selectorELNS0_4arch9wavefront6targetE0EEEvSF_.has_dyn_sized_stack, 0
	.set _ZN7rocprim17ROCPRIM_400000_NS6detail17trampoline_kernelINS0_14default_configENS1_38merge_sort_block_merge_config_selectorItNS0_10empty_typeEEEZZNS1_27merge_sort_block_merge_implIS3_PtPS5_jNS1_19radix_merge_compareILb1ELb1EtNS0_19identity_decomposerEEEEE10hipError_tT0_T1_T2_jT3_P12ihipStream_tbPNSt15iterator_traitsISE_E10value_typeEPNSK_ISF_E10value_typeEPSG_NS1_7vsmem_tEENKUlT_SE_SF_SG_E_clIS8_S8_S9_S9_EESD_ST_SE_SF_SG_EUlST_E0_NS1_11comp_targetILNS1_3genE2ELNS1_11target_archE906ELNS1_3gpuE6ELNS1_3repE0EEENS1_38merge_mergepath_config_static_selectorELNS0_4arch9wavefront6targetE0EEEvSF_.has_recursion, 0
	.set _ZN7rocprim17ROCPRIM_400000_NS6detail17trampoline_kernelINS0_14default_configENS1_38merge_sort_block_merge_config_selectorItNS0_10empty_typeEEEZZNS1_27merge_sort_block_merge_implIS3_PtPS5_jNS1_19radix_merge_compareILb1ELb1EtNS0_19identity_decomposerEEEEE10hipError_tT0_T1_T2_jT3_P12ihipStream_tbPNSt15iterator_traitsISE_E10value_typeEPNSK_ISF_E10value_typeEPSG_NS1_7vsmem_tEENKUlT_SE_SF_SG_E_clIS8_S8_S9_S9_EESD_ST_SE_SF_SG_EUlST_E0_NS1_11comp_targetILNS1_3genE2ELNS1_11target_archE906ELNS1_3gpuE6ELNS1_3repE0EEENS1_38merge_mergepath_config_static_selectorELNS0_4arch9wavefront6targetE0EEEvSF_.has_indirect_call, 0
	.section	.AMDGPU.csdata,"",@progbits
; Kernel info:
; codeLenInByte = 0
; TotalNumSgprs: 0
; NumVgprs: 0
; ScratchSize: 0
; MemoryBound: 0
; FloatMode: 240
; IeeeMode: 1
; LDSByteSize: 0 bytes/workgroup (compile time only)
; SGPRBlocks: 0
; VGPRBlocks: 0
; NumSGPRsForWavesPerEU: 1
; NumVGPRsForWavesPerEU: 1
; NamedBarCnt: 0
; Occupancy: 16
; WaveLimiterHint : 0
; COMPUTE_PGM_RSRC2:SCRATCH_EN: 0
; COMPUTE_PGM_RSRC2:USER_SGPR: 2
; COMPUTE_PGM_RSRC2:TRAP_HANDLER: 0
; COMPUTE_PGM_RSRC2:TGID_X_EN: 1
; COMPUTE_PGM_RSRC2:TGID_Y_EN: 0
; COMPUTE_PGM_RSRC2:TGID_Z_EN: 0
; COMPUTE_PGM_RSRC2:TIDIG_COMP_CNT: 0
	.section	.text._ZN7rocprim17ROCPRIM_400000_NS6detail17trampoline_kernelINS0_14default_configENS1_38merge_sort_block_merge_config_selectorItNS0_10empty_typeEEEZZNS1_27merge_sort_block_merge_implIS3_PtPS5_jNS1_19radix_merge_compareILb1ELb1EtNS0_19identity_decomposerEEEEE10hipError_tT0_T1_T2_jT3_P12ihipStream_tbPNSt15iterator_traitsISE_E10value_typeEPNSK_ISF_E10value_typeEPSG_NS1_7vsmem_tEENKUlT_SE_SF_SG_E_clIS8_S8_S9_S9_EESD_ST_SE_SF_SG_EUlST_E0_NS1_11comp_targetILNS1_3genE9ELNS1_11target_archE1100ELNS1_3gpuE3ELNS1_3repE0EEENS1_38merge_mergepath_config_static_selectorELNS0_4arch9wavefront6targetE0EEEvSF_,"axG",@progbits,_ZN7rocprim17ROCPRIM_400000_NS6detail17trampoline_kernelINS0_14default_configENS1_38merge_sort_block_merge_config_selectorItNS0_10empty_typeEEEZZNS1_27merge_sort_block_merge_implIS3_PtPS5_jNS1_19radix_merge_compareILb1ELb1EtNS0_19identity_decomposerEEEEE10hipError_tT0_T1_T2_jT3_P12ihipStream_tbPNSt15iterator_traitsISE_E10value_typeEPNSK_ISF_E10value_typeEPSG_NS1_7vsmem_tEENKUlT_SE_SF_SG_E_clIS8_S8_S9_S9_EESD_ST_SE_SF_SG_EUlST_E0_NS1_11comp_targetILNS1_3genE9ELNS1_11target_archE1100ELNS1_3gpuE3ELNS1_3repE0EEENS1_38merge_mergepath_config_static_selectorELNS0_4arch9wavefront6targetE0EEEvSF_,comdat
	.protected	_ZN7rocprim17ROCPRIM_400000_NS6detail17trampoline_kernelINS0_14default_configENS1_38merge_sort_block_merge_config_selectorItNS0_10empty_typeEEEZZNS1_27merge_sort_block_merge_implIS3_PtPS5_jNS1_19radix_merge_compareILb1ELb1EtNS0_19identity_decomposerEEEEE10hipError_tT0_T1_T2_jT3_P12ihipStream_tbPNSt15iterator_traitsISE_E10value_typeEPNSK_ISF_E10value_typeEPSG_NS1_7vsmem_tEENKUlT_SE_SF_SG_E_clIS8_S8_S9_S9_EESD_ST_SE_SF_SG_EUlST_E0_NS1_11comp_targetILNS1_3genE9ELNS1_11target_archE1100ELNS1_3gpuE3ELNS1_3repE0EEENS1_38merge_mergepath_config_static_selectorELNS0_4arch9wavefront6targetE0EEEvSF_ ; -- Begin function _ZN7rocprim17ROCPRIM_400000_NS6detail17trampoline_kernelINS0_14default_configENS1_38merge_sort_block_merge_config_selectorItNS0_10empty_typeEEEZZNS1_27merge_sort_block_merge_implIS3_PtPS5_jNS1_19radix_merge_compareILb1ELb1EtNS0_19identity_decomposerEEEEE10hipError_tT0_T1_T2_jT3_P12ihipStream_tbPNSt15iterator_traitsISE_E10value_typeEPNSK_ISF_E10value_typeEPSG_NS1_7vsmem_tEENKUlT_SE_SF_SG_E_clIS8_S8_S9_S9_EESD_ST_SE_SF_SG_EUlST_E0_NS1_11comp_targetILNS1_3genE9ELNS1_11target_archE1100ELNS1_3gpuE3ELNS1_3repE0EEENS1_38merge_mergepath_config_static_selectorELNS0_4arch9wavefront6targetE0EEEvSF_
	.globl	_ZN7rocprim17ROCPRIM_400000_NS6detail17trampoline_kernelINS0_14default_configENS1_38merge_sort_block_merge_config_selectorItNS0_10empty_typeEEEZZNS1_27merge_sort_block_merge_implIS3_PtPS5_jNS1_19radix_merge_compareILb1ELb1EtNS0_19identity_decomposerEEEEE10hipError_tT0_T1_T2_jT3_P12ihipStream_tbPNSt15iterator_traitsISE_E10value_typeEPNSK_ISF_E10value_typeEPSG_NS1_7vsmem_tEENKUlT_SE_SF_SG_E_clIS8_S8_S9_S9_EESD_ST_SE_SF_SG_EUlST_E0_NS1_11comp_targetILNS1_3genE9ELNS1_11target_archE1100ELNS1_3gpuE3ELNS1_3repE0EEENS1_38merge_mergepath_config_static_selectorELNS0_4arch9wavefront6targetE0EEEvSF_
	.p2align	8
	.type	_ZN7rocprim17ROCPRIM_400000_NS6detail17trampoline_kernelINS0_14default_configENS1_38merge_sort_block_merge_config_selectorItNS0_10empty_typeEEEZZNS1_27merge_sort_block_merge_implIS3_PtPS5_jNS1_19radix_merge_compareILb1ELb1EtNS0_19identity_decomposerEEEEE10hipError_tT0_T1_T2_jT3_P12ihipStream_tbPNSt15iterator_traitsISE_E10value_typeEPNSK_ISF_E10value_typeEPSG_NS1_7vsmem_tEENKUlT_SE_SF_SG_E_clIS8_S8_S9_S9_EESD_ST_SE_SF_SG_EUlST_E0_NS1_11comp_targetILNS1_3genE9ELNS1_11target_archE1100ELNS1_3gpuE3ELNS1_3repE0EEENS1_38merge_mergepath_config_static_selectorELNS0_4arch9wavefront6targetE0EEEvSF_,@function
_ZN7rocprim17ROCPRIM_400000_NS6detail17trampoline_kernelINS0_14default_configENS1_38merge_sort_block_merge_config_selectorItNS0_10empty_typeEEEZZNS1_27merge_sort_block_merge_implIS3_PtPS5_jNS1_19radix_merge_compareILb1ELb1EtNS0_19identity_decomposerEEEEE10hipError_tT0_T1_T2_jT3_P12ihipStream_tbPNSt15iterator_traitsISE_E10value_typeEPNSK_ISF_E10value_typeEPSG_NS1_7vsmem_tEENKUlT_SE_SF_SG_E_clIS8_S8_S9_S9_EESD_ST_SE_SF_SG_EUlST_E0_NS1_11comp_targetILNS1_3genE9ELNS1_11target_archE1100ELNS1_3gpuE3ELNS1_3repE0EEENS1_38merge_mergepath_config_static_selectorELNS0_4arch9wavefront6targetE0EEEvSF_: ; @_ZN7rocprim17ROCPRIM_400000_NS6detail17trampoline_kernelINS0_14default_configENS1_38merge_sort_block_merge_config_selectorItNS0_10empty_typeEEEZZNS1_27merge_sort_block_merge_implIS3_PtPS5_jNS1_19radix_merge_compareILb1ELb1EtNS0_19identity_decomposerEEEEE10hipError_tT0_T1_T2_jT3_P12ihipStream_tbPNSt15iterator_traitsISE_E10value_typeEPNSK_ISF_E10value_typeEPSG_NS1_7vsmem_tEENKUlT_SE_SF_SG_E_clIS8_S8_S9_S9_EESD_ST_SE_SF_SG_EUlST_E0_NS1_11comp_targetILNS1_3genE9ELNS1_11target_archE1100ELNS1_3gpuE3ELNS1_3repE0EEENS1_38merge_mergepath_config_static_selectorELNS0_4arch9wavefront6targetE0EEEvSF_
; %bb.0:
	.section	.rodata,"a",@progbits
	.p2align	6, 0x0
	.amdhsa_kernel _ZN7rocprim17ROCPRIM_400000_NS6detail17trampoline_kernelINS0_14default_configENS1_38merge_sort_block_merge_config_selectorItNS0_10empty_typeEEEZZNS1_27merge_sort_block_merge_implIS3_PtPS5_jNS1_19radix_merge_compareILb1ELb1EtNS0_19identity_decomposerEEEEE10hipError_tT0_T1_T2_jT3_P12ihipStream_tbPNSt15iterator_traitsISE_E10value_typeEPNSK_ISF_E10value_typeEPSG_NS1_7vsmem_tEENKUlT_SE_SF_SG_E_clIS8_S8_S9_S9_EESD_ST_SE_SF_SG_EUlST_E0_NS1_11comp_targetILNS1_3genE9ELNS1_11target_archE1100ELNS1_3gpuE3ELNS1_3repE0EEENS1_38merge_mergepath_config_static_selectorELNS0_4arch9wavefront6targetE0EEEvSF_
		.amdhsa_group_segment_fixed_size 0
		.amdhsa_private_segment_fixed_size 0
		.amdhsa_kernarg_size 64
		.amdhsa_user_sgpr_count 2
		.amdhsa_user_sgpr_dispatch_ptr 0
		.amdhsa_user_sgpr_queue_ptr 0
		.amdhsa_user_sgpr_kernarg_segment_ptr 1
		.amdhsa_user_sgpr_dispatch_id 0
		.amdhsa_user_sgpr_kernarg_preload_length 0
		.amdhsa_user_sgpr_kernarg_preload_offset 0
		.amdhsa_user_sgpr_private_segment_size 0
		.amdhsa_wavefront_size32 1
		.amdhsa_uses_dynamic_stack 0
		.amdhsa_enable_private_segment 0
		.amdhsa_system_sgpr_workgroup_id_x 1
		.amdhsa_system_sgpr_workgroup_id_y 0
		.amdhsa_system_sgpr_workgroup_id_z 0
		.amdhsa_system_sgpr_workgroup_info 0
		.amdhsa_system_vgpr_workitem_id 0
		.amdhsa_next_free_vgpr 1
		.amdhsa_next_free_sgpr 1
		.amdhsa_named_barrier_count 0
		.amdhsa_reserve_vcc 0
		.amdhsa_float_round_mode_32 0
		.amdhsa_float_round_mode_16_64 0
		.amdhsa_float_denorm_mode_32 3
		.amdhsa_float_denorm_mode_16_64 3
		.amdhsa_fp16_overflow 0
		.amdhsa_memory_ordered 1
		.amdhsa_forward_progress 1
		.amdhsa_inst_pref_size 0
		.amdhsa_round_robin_scheduling 0
		.amdhsa_exception_fp_ieee_invalid_op 0
		.amdhsa_exception_fp_denorm_src 0
		.amdhsa_exception_fp_ieee_div_zero 0
		.amdhsa_exception_fp_ieee_overflow 0
		.amdhsa_exception_fp_ieee_underflow 0
		.amdhsa_exception_fp_ieee_inexact 0
		.amdhsa_exception_int_div_zero 0
	.end_amdhsa_kernel
	.section	.text._ZN7rocprim17ROCPRIM_400000_NS6detail17trampoline_kernelINS0_14default_configENS1_38merge_sort_block_merge_config_selectorItNS0_10empty_typeEEEZZNS1_27merge_sort_block_merge_implIS3_PtPS5_jNS1_19radix_merge_compareILb1ELb1EtNS0_19identity_decomposerEEEEE10hipError_tT0_T1_T2_jT3_P12ihipStream_tbPNSt15iterator_traitsISE_E10value_typeEPNSK_ISF_E10value_typeEPSG_NS1_7vsmem_tEENKUlT_SE_SF_SG_E_clIS8_S8_S9_S9_EESD_ST_SE_SF_SG_EUlST_E0_NS1_11comp_targetILNS1_3genE9ELNS1_11target_archE1100ELNS1_3gpuE3ELNS1_3repE0EEENS1_38merge_mergepath_config_static_selectorELNS0_4arch9wavefront6targetE0EEEvSF_,"axG",@progbits,_ZN7rocprim17ROCPRIM_400000_NS6detail17trampoline_kernelINS0_14default_configENS1_38merge_sort_block_merge_config_selectorItNS0_10empty_typeEEEZZNS1_27merge_sort_block_merge_implIS3_PtPS5_jNS1_19radix_merge_compareILb1ELb1EtNS0_19identity_decomposerEEEEE10hipError_tT0_T1_T2_jT3_P12ihipStream_tbPNSt15iterator_traitsISE_E10value_typeEPNSK_ISF_E10value_typeEPSG_NS1_7vsmem_tEENKUlT_SE_SF_SG_E_clIS8_S8_S9_S9_EESD_ST_SE_SF_SG_EUlST_E0_NS1_11comp_targetILNS1_3genE9ELNS1_11target_archE1100ELNS1_3gpuE3ELNS1_3repE0EEENS1_38merge_mergepath_config_static_selectorELNS0_4arch9wavefront6targetE0EEEvSF_,comdat
.Lfunc_end2350:
	.size	_ZN7rocprim17ROCPRIM_400000_NS6detail17trampoline_kernelINS0_14default_configENS1_38merge_sort_block_merge_config_selectorItNS0_10empty_typeEEEZZNS1_27merge_sort_block_merge_implIS3_PtPS5_jNS1_19radix_merge_compareILb1ELb1EtNS0_19identity_decomposerEEEEE10hipError_tT0_T1_T2_jT3_P12ihipStream_tbPNSt15iterator_traitsISE_E10value_typeEPNSK_ISF_E10value_typeEPSG_NS1_7vsmem_tEENKUlT_SE_SF_SG_E_clIS8_S8_S9_S9_EESD_ST_SE_SF_SG_EUlST_E0_NS1_11comp_targetILNS1_3genE9ELNS1_11target_archE1100ELNS1_3gpuE3ELNS1_3repE0EEENS1_38merge_mergepath_config_static_selectorELNS0_4arch9wavefront6targetE0EEEvSF_, .Lfunc_end2350-_ZN7rocprim17ROCPRIM_400000_NS6detail17trampoline_kernelINS0_14default_configENS1_38merge_sort_block_merge_config_selectorItNS0_10empty_typeEEEZZNS1_27merge_sort_block_merge_implIS3_PtPS5_jNS1_19radix_merge_compareILb1ELb1EtNS0_19identity_decomposerEEEEE10hipError_tT0_T1_T2_jT3_P12ihipStream_tbPNSt15iterator_traitsISE_E10value_typeEPNSK_ISF_E10value_typeEPSG_NS1_7vsmem_tEENKUlT_SE_SF_SG_E_clIS8_S8_S9_S9_EESD_ST_SE_SF_SG_EUlST_E0_NS1_11comp_targetILNS1_3genE9ELNS1_11target_archE1100ELNS1_3gpuE3ELNS1_3repE0EEENS1_38merge_mergepath_config_static_selectorELNS0_4arch9wavefront6targetE0EEEvSF_
                                        ; -- End function
	.set _ZN7rocprim17ROCPRIM_400000_NS6detail17trampoline_kernelINS0_14default_configENS1_38merge_sort_block_merge_config_selectorItNS0_10empty_typeEEEZZNS1_27merge_sort_block_merge_implIS3_PtPS5_jNS1_19radix_merge_compareILb1ELb1EtNS0_19identity_decomposerEEEEE10hipError_tT0_T1_T2_jT3_P12ihipStream_tbPNSt15iterator_traitsISE_E10value_typeEPNSK_ISF_E10value_typeEPSG_NS1_7vsmem_tEENKUlT_SE_SF_SG_E_clIS8_S8_S9_S9_EESD_ST_SE_SF_SG_EUlST_E0_NS1_11comp_targetILNS1_3genE9ELNS1_11target_archE1100ELNS1_3gpuE3ELNS1_3repE0EEENS1_38merge_mergepath_config_static_selectorELNS0_4arch9wavefront6targetE0EEEvSF_.num_vgpr, 0
	.set _ZN7rocprim17ROCPRIM_400000_NS6detail17trampoline_kernelINS0_14default_configENS1_38merge_sort_block_merge_config_selectorItNS0_10empty_typeEEEZZNS1_27merge_sort_block_merge_implIS3_PtPS5_jNS1_19radix_merge_compareILb1ELb1EtNS0_19identity_decomposerEEEEE10hipError_tT0_T1_T2_jT3_P12ihipStream_tbPNSt15iterator_traitsISE_E10value_typeEPNSK_ISF_E10value_typeEPSG_NS1_7vsmem_tEENKUlT_SE_SF_SG_E_clIS8_S8_S9_S9_EESD_ST_SE_SF_SG_EUlST_E0_NS1_11comp_targetILNS1_3genE9ELNS1_11target_archE1100ELNS1_3gpuE3ELNS1_3repE0EEENS1_38merge_mergepath_config_static_selectorELNS0_4arch9wavefront6targetE0EEEvSF_.num_agpr, 0
	.set _ZN7rocprim17ROCPRIM_400000_NS6detail17trampoline_kernelINS0_14default_configENS1_38merge_sort_block_merge_config_selectorItNS0_10empty_typeEEEZZNS1_27merge_sort_block_merge_implIS3_PtPS5_jNS1_19radix_merge_compareILb1ELb1EtNS0_19identity_decomposerEEEEE10hipError_tT0_T1_T2_jT3_P12ihipStream_tbPNSt15iterator_traitsISE_E10value_typeEPNSK_ISF_E10value_typeEPSG_NS1_7vsmem_tEENKUlT_SE_SF_SG_E_clIS8_S8_S9_S9_EESD_ST_SE_SF_SG_EUlST_E0_NS1_11comp_targetILNS1_3genE9ELNS1_11target_archE1100ELNS1_3gpuE3ELNS1_3repE0EEENS1_38merge_mergepath_config_static_selectorELNS0_4arch9wavefront6targetE0EEEvSF_.numbered_sgpr, 0
	.set _ZN7rocprim17ROCPRIM_400000_NS6detail17trampoline_kernelINS0_14default_configENS1_38merge_sort_block_merge_config_selectorItNS0_10empty_typeEEEZZNS1_27merge_sort_block_merge_implIS3_PtPS5_jNS1_19radix_merge_compareILb1ELb1EtNS0_19identity_decomposerEEEEE10hipError_tT0_T1_T2_jT3_P12ihipStream_tbPNSt15iterator_traitsISE_E10value_typeEPNSK_ISF_E10value_typeEPSG_NS1_7vsmem_tEENKUlT_SE_SF_SG_E_clIS8_S8_S9_S9_EESD_ST_SE_SF_SG_EUlST_E0_NS1_11comp_targetILNS1_3genE9ELNS1_11target_archE1100ELNS1_3gpuE3ELNS1_3repE0EEENS1_38merge_mergepath_config_static_selectorELNS0_4arch9wavefront6targetE0EEEvSF_.num_named_barrier, 0
	.set _ZN7rocprim17ROCPRIM_400000_NS6detail17trampoline_kernelINS0_14default_configENS1_38merge_sort_block_merge_config_selectorItNS0_10empty_typeEEEZZNS1_27merge_sort_block_merge_implIS3_PtPS5_jNS1_19radix_merge_compareILb1ELb1EtNS0_19identity_decomposerEEEEE10hipError_tT0_T1_T2_jT3_P12ihipStream_tbPNSt15iterator_traitsISE_E10value_typeEPNSK_ISF_E10value_typeEPSG_NS1_7vsmem_tEENKUlT_SE_SF_SG_E_clIS8_S8_S9_S9_EESD_ST_SE_SF_SG_EUlST_E0_NS1_11comp_targetILNS1_3genE9ELNS1_11target_archE1100ELNS1_3gpuE3ELNS1_3repE0EEENS1_38merge_mergepath_config_static_selectorELNS0_4arch9wavefront6targetE0EEEvSF_.private_seg_size, 0
	.set _ZN7rocprim17ROCPRIM_400000_NS6detail17trampoline_kernelINS0_14default_configENS1_38merge_sort_block_merge_config_selectorItNS0_10empty_typeEEEZZNS1_27merge_sort_block_merge_implIS3_PtPS5_jNS1_19radix_merge_compareILb1ELb1EtNS0_19identity_decomposerEEEEE10hipError_tT0_T1_T2_jT3_P12ihipStream_tbPNSt15iterator_traitsISE_E10value_typeEPNSK_ISF_E10value_typeEPSG_NS1_7vsmem_tEENKUlT_SE_SF_SG_E_clIS8_S8_S9_S9_EESD_ST_SE_SF_SG_EUlST_E0_NS1_11comp_targetILNS1_3genE9ELNS1_11target_archE1100ELNS1_3gpuE3ELNS1_3repE0EEENS1_38merge_mergepath_config_static_selectorELNS0_4arch9wavefront6targetE0EEEvSF_.uses_vcc, 0
	.set _ZN7rocprim17ROCPRIM_400000_NS6detail17trampoline_kernelINS0_14default_configENS1_38merge_sort_block_merge_config_selectorItNS0_10empty_typeEEEZZNS1_27merge_sort_block_merge_implIS3_PtPS5_jNS1_19radix_merge_compareILb1ELb1EtNS0_19identity_decomposerEEEEE10hipError_tT0_T1_T2_jT3_P12ihipStream_tbPNSt15iterator_traitsISE_E10value_typeEPNSK_ISF_E10value_typeEPSG_NS1_7vsmem_tEENKUlT_SE_SF_SG_E_clIS8_S8_S9_S9_EESD_ST_SE_SF_SG_EUlST_E0_NS1_11comp_targetILNS1_3genE9ELNS1_11target_archE1100ELNS1_3gpuE3ELNS1_3repE0EEENS1_38merge_mergepath_config_static_selectorELNS0_4arch9wavefront6targetE0EEEvSF_.uses_flat_scratch, 0
	.set _ZN7rocprim17ROCPRIM_400000_NS6detail17trampoline_kernelINS0_14default_configENS1_38merge_sort_block_merge_config_selectorItNS0_10empty_typeEEEZZNS1_27merge_sort_block_merge_implIS3_PtPS5_jNS1_19radix_merge_compareILb1ELb1EtNS0_19identity_decomposerEEEEE10hipError_tT0_T1_T2_jT3_P12ihipStream_tbPNSt15iterator_traitsISE_E10value_typeEPNSK_ISF_E10value_typeEPSG_NS1_7vsmem_tEENKUlT_SE_SF_SG_E_clIS8_S8_S9_S9_EESD_ST_SE_SF_SG_EUlST_E0_NS1_11comp_targetILNS1_3genE9ELNS1_11target_archE1100ELNS1_3gpuE3ELNS1_3repE0EEENS1_38merge_mergepath_config_static_selectorELNS0_4arch9wavefront6targetE0EEEvSF_.has_dyn_sized_stack, 0
	.set _ZN7rocprim17ROCPRIM_400000_NS6detail17trampoline_kernelINS0_14default_configENS1_38merge_sort_block_merge_config_selectorItNS0_10empty_typeEEEZZNS1_27merge_sort_block_merge_implIS3_PtPS5_jNS1_19radix_merge_compareILb1ELb1EtNS0_19identity_decomposerEEEEE10hipError_tT0_T1_T2_jT3_P12ihipStream_tbPNSt15iterator_traitsISE_E10value_typeEPNSK_ISF_E10value_typeEPSG_NS1_7vsmem_tEENKUlT_SE_SF_SG_E_clIS8_S8_S9_S9_EESD_ST_SE_SF_SG_EUlST_E0_NS1_11comp_targetILNS1_3genE9ELNS1_11target_archE1100ELNS1_3gpuE3ELNS1_3repE0EEENS1_38merge_mergepath_config_static_selectorELNS0_4arch9wavefront6targetE0EEEvSF_.has_recursion, 0
	.set _ZN7rocprim17ROCPRIM_400000_NS6detail17trampoline_kernelINS0_14default_configENS1_38merge_sort_block_merge_config_selectorItNS0_10empty_typeEEEZZNS1_27merge_sort_block_merge_implIS3_PtPS5_jNS1_19radix_merge_compareILb1ELb1EtNS0_19identity_decomposerEEEEE10hipError_tT0_T1_T2_jT3_P12ihipStream_tbPNSt15iterator_traitsISE_E10value_typeEPNSK_ISF_E10value_typeEPSG_NS1_7vsmem_tEENKUlT_SE_SF_SG_E_clIS8_S8_S9_S9_EESD_ST_SE_SF_SG_EUlST_E0_NS1_11comp_targetILNS1_3genE9ELNS1_11target_archE1100ELNS1_3gpuE3ELNS1_3repE0EEENS1_38merge_mergepath_config_static_selectorELNS0_4arch9wavefront6targetE0EEEvSF_.has_indirect_call, 0
	.section	.AMDGPU.csdata,"",@progbits
; Kernel info:
; codeLenInByte = 0
; TotalNumSgprs: 0
; NumVgprs: 0
; ScratchSize: 0
; MemoryBound: 0
; FloatMode: 240
; IeeeMode: 1
; LDSByteSize: 0 bytes/workgroup (compile time only)
; SGPRBlocks: 0
; VGPRBlocks: 0
; NumSGPRsForWavesPerEU: 1
; NumVGPRsForWavesPerEU: 1
; NamedBarCnt: 0
; Occupancy: 16
; WaveLimiterHint : 0
; COMPUTE_PGM_RSRC2:SCRATCH_EN: 0
; COMPUTE_PGM_RSRC2:USER_SGPR: 2
; COMPUTE_PGM_RSRC2:TRAP_HANDLER: 0
; COMPUTE_PGM_RSRC2:TGID_X_EN: 1
; COMPUTE_PGM_RSRC2:TGID_Y_EN: 0
; COMPUTE_PGM_RSRC2:TGID_Z_EN: 0
; COMPUTE_PGM_RSRC2:TIDIG_COMP_CNT: 0
	.section	.text._ZN7rocprim17ROCPRIM_400000_NS6detail17trampoline_kernelINS0_14default_configENS1_38merge_sort_block_merge_config_selectorItNS0_10empty_typeEEEZZNS1_27merge_sort_block_merge_implIS3_PtPS5_jNS1_19radix_merge_compareILb1ELb1EtNS0_19identity_decomposerEEEEE10hipError_tT0_T1_T2_jT3_P12ihipStream_tbPNSt15iterator_traitsISE_E10value_typeEPNSK_ISF_E10value_typeEPSG_NS1_7vsmem_tEENKUlT_SE_SF_SG_E_clIS8_S8_S9_S9_EESD_ST_SE_SF_SG_EUlST_E0_NS1_11comp_targetILNS1_3genE8ELNS1_11target_archE1030ELNS1_3gpuE2ELNS1_3repE0EEENS1_38merge_mergepath_config_static_selectorELNS0_4arch9wavefront6targetE0EEEvSF_,"axG",@progbits,_ZN7rocprim17ROCPRIM_400000_NS6detail17trampoline_kernelINS0_14default_configENS1_38merge_sort_block_merge_config_selectorItNS0_10empty_typeEEEZZNS1_27merge_sort_block_merge_implIS3_PtPS5_jNS1_19radix_merge_compareILb1ELb1EtNS0_19identity_decomposerEEEEE10hipError_tT0_T1_T2_jT3_P12ihipStream_tbPNSt15iterator_traitsISE_E10value_typeEPNSK_ISF_E10value_typeEPSG_NS1_7vsmem_tEENKUlT_SE_SF_SG_E_clIS8_S8_S9_S9_EESD_ST_SE_SF_SG_EUlST_E0_NS1_11comp_targetILNS1_3genE8ELNS1_11target_archE1030ELNS1_3gpuE2ELNS1_3repE0EEENS1_38merge_mergepath_config_static_selectorELNS0_4arch9wavefront6targetE0EEEvSF_,comdat
	.protected	_ZN7rocprim17ROCPRIM_400000_NS6detail17trampoline_kernelINS0_14default_configENS1_38merge_sort_block_merge_config_selectorItNS0_10empty_typeEEEZZNS1_27merge_sort_block_merge_implIS3_PtPS5_jNS1_19radix_merge_compareILb1ELb1EtNS0_19identity_decomposerEEEEE10hipError_tT0_T1_T2_jT3_P12ihipStream_tbPNSt15iterator_traitsISE_E10value_typeEPNSK_ISF_E10value_typeEPSG_NS1_7vsmem_tEENKUlT_SE_SF_SG_E_clIS8_S8_S9_S9_EESD_ST_SE_SF_SG_EUlST_E0_NS1_11comp_targetILNS1_3genE8ELNS1_11target_archE1030ELNS1_3gpuE2ELNS1_3repE0EEENS1_38merge_mergepath_config_static_selectorELNS0_4arch9wavefront6targetE0EEEvSF_ ; -- Begin function _ZN7rocprim17ROCPRIM_400000_NS6detail17trampoline_kernelINS0_14default_configENS1_38merge_sort_block_merge_config_selectorItNS0_10empty_typeEEEZZNS1_27merge_sort_block_merge_implIS3_PtPS5_jNS1_19radix_merge_compareILb1ELb1EtNS0_19identity_decomposerEEEEE10hipError_tT0_T1_T2_jT3_P12ihipStream_tbPNSt15iterator_traitsISE_E10value_typeEPNSK_ISF_E10value_typeEPSG_NS1_7vsmem_tEENKUlT_SE_SF_SG_E_clIS8_S8_S9_S9_EESD_ST_SE_SF_SG_EUlST_E0_NS1_11comp_targetILNS1_3genE8ELNS1_11target_archE1030ELNS1_3gpuE2ELNS1_3repE0EEENS1_38merge_mergepath_config_static_selectorELNS0_4arch9wavefront6targetE0EEEvSF_
	.globl	_ZN7rocprim17ROCPRIM_400000_NS6detail17trampoline_kernelINS0_14default_configENS1_38merge_sort_block_merge_config_selectorItNS0_10empty_typeEEEZZNS1_27merge_sort_block_merge_implIS3_PtPS5_jNS1_19radix_merge_compareILb1ELb1EtNS0_19identity_decomposerEEEEE10hipError_tT0_T1_T2_jT3_P12ihipStream_tbPNSt15iterator_traitsISE_E10value_typeEPNSK_ISF_E10value_typeEPSG_NS1_7vsmem_tEENKUlT_SE_SF_SG_E_clIS8_S8_S9_S9_EESD_ST_SE_SF_SG_EUlST_E0_NS1_11comp_targetILNS1_3genE8ELNS1_11target_archE1030ELNS1_3gpuE2ELNS1_3repE0EEENS1_38merge_mergepath_config_static_selectorELNS0_4arch9wavefront6targetE0EEEvSF_
	.p2align	8
	.type	_ZN7rocprim17ROCPRIM_400000_NS6detail17trampoline_kernelINS0_14default_configENS1_38merge_sort_block_merge_config_selectorItNS0_10empty_typeEEEZZNS1_27merge_sort_block_merge_implIS3_PtPS5_jNS1_19radix_merge_compareILb1ELb1EtNS0_19identity_decomposerEEEEE10hipError_tT0_T1_T2_jT3_P12ihipStream_tbPNSt15iterator_traitsISE_E10value_typeEPNSK_ISF_E10value_typeEPSG_NS1_7vsmem_tEENKUlT_SE_SF_SG_E_clIS8_S8_S9_S9_EESD_ST_SE_SF_SG_EUlST_E0_NS1_11comp_targetILNS1_3genE8ELNS1_11target_archE1030ELNS1_3gpuE2ELNS1_3repE0EEENS1_38merge_mergepath_config_static_selectorELNS0_4arch9wavefront6targetE0EEEvSF_,@function
_ZN7rocprim17ROCPRIM_400000_NS6detail17trampoline_kernelINS0_14default_configENS1_38merge_sort_block_merge_config_selectorItNS0_10empty_typeEEEZZNS1_27merge_sort_block_merge_implIS3_PtPS5_jNS1_19radix_merge_compareILb1ELb1EtNS0_19identity_decomposerEEEEE10hipError_tT0_T1_T2_jT3_P12ihipStream_tbPNSt15iterator_traitsISE_E10value_typeEPNSK_ISF_E10value_typeEPSG_NS1_7vsmem_tEENKUlT_SE_SF_SG_E_clIS8_S8_S9_S9_EESD_ST_SE_SF_SG_EUlST_E0_NS1_11comp_targetILNS1_3genE8ELNS1_11target_archE1030ELNS1_3gpuE2ELNS1_3repE0EEENS1_38merge_mergepath_config_static_selectorELNS0_4arch9wavefront6targetE0EEEvSF_: ; @_ZN7rocprim17ROCPRIM_400000_NS6detail17trampoline_kernelINS0_14default_configENS1_38merge_sort_block_merge_config_selectorItNS0_10empty_typeEEEZZNS1_27merge_sort_block_merge_implIS3_PtPS5_jNS1_19radix_merge_compareILb1ELb1EtNS0_19identity_decomposerEEEEE10hipError_tT0_T1_T2_jT3_P12ihipStream_tbPNSt15iterator_traitsISE_E10value_typeEPNSK_ISF_E10value_typeEPSG_NS1_7vsmem_tEENKUlT_SE_SF_SG_E_clIS8_S8_S9_S9_EESD_ST_SE_SF_SG_EUlST_E0_NS1_11comp_targetILNS1_3genE8ELNS1_11target_archE1030ELNS1_3gpuE2ELNS1_3repE0EEENS1_38merge_mergepath_config_static_selectorELNS0_4arch9wavefront6targetE0EEEvSF_
; %bb.0:
	.section	.rodata,"a",@progbits
	.p2align	6, 0x0
	.amdhsa_kernel _ZN7rocprim17ROCPRIM_400000_NS6detail17trampoline_kernelINS0_14default_configENS1_38merge_sort_block_merge_config_selectorItNS0_10empty_typeEEEZZNS1_27merge_sort_block_merge_implIS3_PtPS5_jNS1_19radix_merge_compareILb1ELb1EtNS0_19identity_decomposerEEEEE10hipError_tT0_T1_T2_jT3_P12ihipStream_tbPNSt15iterator_traitsISE_E10value_typeEPNSK_ISF_E10value_typeEPSG_NS1_7vsmem_tEENKUlT_SE_SF_SG_E_clIS8_S8_S9_S9_EESD_ST_SE_SF_SG_EUlST_E0_NS1_11comp_targetILNS1_3genE8ELNS1_11target_archE1030ELNS1_3gpuE2ELNS1_3repE0EEENS1_38merge_mergepath_config_static_selectorELNS0_4arch9wavefront6targetE0EEEvSF_
		.amdhsa_group_segment_fixed_size 0
		.amdhsa_private_segment_fixed_size 0
		.amdhsa_kernarg_size 64
		.amdhsa_user_sgpr_count 2
		.amdhsa_user_sgpr_dispatch_ptr 0
		.amdhsa_user_sgpr_queue_ptr 0
		.amdhsa_user_sgpr_kernarg_segment_ptr 1
		.amdhsa_user_sgpr_dispatch_id 0
		.amdhsa_user_sgpr_kernarg_preload_length 0
		.amdhsa_user_sgpr_kernarg_preload_offset 0
		.amdhsa_user_sgpr_private_segment_size 0
		.amdhsa_wavefront_size32 1
		.amdhsa_uses_dynamic_stack 0
		.amdhsa_enable_private_segment 0
		.amdhsa_system_sgpr_workgroup_id_x 1
		.amdhsa_system_sgpr_workgroup_id_y 0
		.amdhsa_system_sgpr_workgroup_id_z 0
		.amdhsa_system_sgpr_workgroup_info 0
		.amdhsa_system_vgpr_workitem_id 0
		.amdhsa_next_free_vgpr 1
		.amdhsa_next_free_sgpr 1
		.amdhsa_named_barrier_count 0
		.amdhsa_reserve_vcc 0
		.amdhsa_float_round_mode_32 0
		.amdhsa_float_round_mode_16_64 0
		.amdhsa_float_denorm_mode_32 3
		.amdhsa_float_denorm_mode_16_64 3
		.amdhsa_fp16_overflow 0
		.amdhsa_memory_ordered 1
		.amdhsa_forward_progress 1
		.amdhsa_inst_pref_size 0
		.amdhsa_round_robin_scheduling 0
		.amdhsa_exception_fp_ieee_invalid_op 0
		.amdhsa_exception_fp_denorm_src 0
		.amdhsa_exception_fp_ieee_div_zero 0
		.amdhsa_exception_fp_ieee_overflow 0
		.amdhsa_exception_fp_ieee_underflow 0
		.amdhsa_exception_fp_ieee_inexact 0
		.amdhsa_exception_int_div_zero 0
	.end_amdhsa_kernel
	.section	.text._ZN7rocprim17ROCPRIM_400000_NS6detail17trampoline_kernelINS0_14default_configENS1_38merge_sort_block_merge_config_selectorItNS0_10empty_typeEEEZZNS1_27merge_sort_block_merge_implIS3_PtPS5_jNS1_19radix_merge_compareILb1ELb1EtNS0_19identity_decomposerEEEEE10hipError_tT0_T1_T2_jT3_P12ihipStream_tbPNSt15iterator_traitsISE_E10value_typeEPNSK_ISF_E10value_typeEPSG_NS1_7vsmem_tEENKUlT_SE_SF_SG_E_clIS8_S8_S9_S9_EESD_ST_SE_SF_SG_EUlST_E0_NS1_11comp_targetILNS1_3genE8ELNS1_11target_archE1030ELNS1_3gpuE2ELNS1_3repE0EEENS1_38merge_mergepath_config_static_selectorELNS0_4arch9wavefront6targetE0EEEvSF_,"axG",@progbits,_ZN7rocprim17ROCPRIM_400000_NS6detail17trampoline_kernelINS0_14default_configENS1_38merge_sort_block_merge_config_selectorItNS0_10empty_typeEEEZZNS1_27merge_sort_block_merge_implIS3_PtPS5_jNS1_19radix_merge_compareILb1ELb1EtNS0_19identity_decomposerEEEEE10hipError_tT0_T1_T2_jT3_P12ihipStream_tbPNSt15iterator_traitsISE_E10value_typeEPNSK_ISF_E10value_typeEPSG_NS1_7vsmem_tEENKUlT_SE_SF_SG_E_clIS8_S8_S9_S9_EESD_ST_SE_SF_SG_EUlST_E0_NS1_11comp_targetILNS1_3genE8ELNS1_11target_archE1030ELNS1_3gpuE2ELNS1_3repE0EEENS1_38merge_mergepath_config_static_selectorELNS0_4arch9wavefront6targetE0EEEvSF_,comdat
.Lfunc_end2351:
	.size	_ZN7rocprim17ROCPRIM_400000_NS6detail17trampoline_kernelINS0_14default_configENS1_38merge_sort_block_merge_config_selectorItNS0_10empty_typeEEEZZNS1_27merge_sort_block_merge_implIS3_PtPS5_jNS1_19radix_merge_compareILb1ELb1EtNS0_19identity_decomposerEEEEE10hipError_tT0_T1_T2_jT3_P12ihipStream_tbPNSt15iterator_traitsISE_E10value_typeEPNSK_ISF_E10value_typeEPSG_NS1_7vsmem_tEENKUlT_SE_SF_SG_E_clIS8_S8_S9_S9_EESD_ST_SE_SF_SG_EUlST_E0_NS1_11comp_targetILNS1_3genE8ELNS1_11target_archE1030ELNS1_3gpuE2ELNS1_3repE0EEENS1_38merge_mergepath_config_static_selectorELNS0_4arch9wavefront6targetE0EEEvSF_, .Lfunc_end2351-_ZN7rocprim17ROCPRIM_400000_NS6detail17trampoline_kernelINS0_14default_configENS1_38merge_sort_block_merge_config_selectorItNS0_10empty_typeEEEZZNS1_27merge_sort_block_merge_implIS3_PtPS5_jNS1_19radix_merge_compareILb1ELb1EtNS0_19identity_decomposerEEEEE10hipError_tT0_T1_T2_jT3_P12ihipStream_tbPNSt15iterator_traitsISE_E10value_typeEPNSK_ISF_E10value_typeEPSG_NS1_7vsmem_tEENKUlT_SE_SF_SG_E_clIS8_S8_S9_S9_EESD_ST_SE_SF_SG_EUlST_E0_NS1_11comp_targetILNS1_3genE8ELNS1_11target_archE1030ELNS1_3gpuE2ELNS1_3repE0EEENS1_38merge_mergepath_config_static_selectorELNS0_4arch9wavefront6targetE0EEEvSF_
                                        ; -- End function
	.set _ZN7rocprim17ROCPRIM_400000_NS6detail17trampoline_kernelINS0_14default_configENS1_38merge_sort_block_merge_config_selectorItNS0_10empty_typeEEEZZNS1_27merge_sort_block_merge_implIS3_PtPS5_jNS1_19radix_merge_compareILb1ELb1EtNS0_19identity_decomposerEEEEE10hipError_tT0_T1_T2_jT3_P12ihipStream_tbPNSt15iterator_traitsISE_E10value_typeEPNSK_ISF_E10value_typeEPSG_NS1_7vsmem_tEENKUlT_SE_SF_SG_E_clIS8_S8_S9_S9_EESD_ST_SE_SF_SG_EUlST_E0_NS1_11comp_targetILNS1_3genE8ELNS1_11target_archE1030ELNS1_3gpuE2ELNS1_3repE0EEENS1_38merge_mergepath_config_static_selectorELNS0_4arch9wavefront6targetE0EEEvSF_.num_vgpr, 0
	.set _ZN7rocprim17ROCPRIM_400000_NS6detail17trampoline_kernelINS0_14default_configENS1_38merge_sort_block_merge_config_selectorItNS0_10empty_typeEEEZZNS1_27merge_sort_block_merge_implIS3_PtPS5_jNS1_19radix_merge_compareILb1ELb1EtNS0_19identity_decomposerEEEEE10hipError_tT0_T1_T2_jT3_P12ihipStream_tbPNSt15iterator_traitsISE_E10value_typeEPNSK_ISF_E10value_typeEPSG_NS1_7vsmem_tEENKUlT_SE_SF_SG_E_clIS8_S8_S9_S9_EESD_ST_SE_SF_SG_EUlST_E0_NS1_11comp_targetILNS1_3genE8ELNS1_11target_archE1030ELNS1_3gpuE2ELNS1_3repE0EEENS1_38merge_mergepath_config_static_selectorELNS0_4arch9wavefront6targetE0EEEvSF_.num_agpr, 0
	.set _ZN7rocprim17ROCPRIM_400000_NS6detail17trampoline_kernelINS0_14default_configENS1_38merge_sort_block_merge_config_selectorItNS0_10empty_typeEEEZZNS1_27merge_sort_block_merge_implIS3_PtPS5_jNS1_19radix_merge_compareILb1ELb1EtNS0_19identity_decomposerEEEEE10hipError_tT0_T1_T2_jT3_P12ihipStream_tbPNSt15iterator_traitsISE_E10value_typeEPNSK_ISF_E10value_typeEPSG_NS1_7vsmem_tEENKUlT_SE_SF_SG_E_clIS8_S8_S9_S9_EESD_ST_SE_SF_SG_EUlST_E0_NS1_11comp_targetILNS1_3genE8ELNS1_11target_archE1030ELNS1_3gpuE2ELNS1_3repE0EEENS1_38merge_mergepath_config_static_selectorELNS0_4arch9wavefront6targetE0EEEvSF_.numbered_sgpr, 0
	.set _ZN7rocprim17ROCPRIM_400000_NS6detail17trampoline_kernelINS0_14default_configENS1_38merge_sort_block_merge_config_selectorItNS0_10empty_typeEEEZZNS1_27merge_sort_block_merge_implIS3_PtPS5_jNS1_19radix_merge_compareILb1ELb1EtNS0_19identity_decomposerEEEEE10hipError_tT0_T1_T2_jT3_P12ihipStream_tbPNSt15iterator_traitsISE_E10value_typeEPNSK_ISF_E10value_typeEPSG_NS1_7vsmem_tEENKUlT_SE_SF_SG_E_clIS8_S8_S9_S9_EESD_ST_SE_SF_SG_EUlST_E0_NS1_11comp_targetILNS1_3genE8ELNS1_11target_archE1030ELNS1_3gpuE2ELNS1_3repE0EEENS1_38merge_mergepath_config_static_selectorELNS0_4arch9wavefront6targetE0EEEvSF_.num_named_barrier, 0
	.set _ZN7rocprim17ROCPRIM_400000_NS6detail17trampoline_kernelINS0_14default_configENS1_38merge_sort_block_merge_config_selectorItNS0_10empty_typeEEEZZNS1_27merge_sort_block_merge_implIS3_PtPS5_jNS1_19radix_merge_compareILb1ELb1EtNS0_19identity_decomposerEEEEE10hipError_tT0_T1_T2_jT3_P12ihipStream_tbPNSt15iterator_traitsISE_E10value_typeEPNSK_ISF_E10value_typeEPSG_NS1_7vsmem_tEENKUlT_SE_SF_SG_E_clIS8_S8_S9_S9_EESD_ST_SE_SF_SG_EUlST_E0_NS1_11comp_targetILNS1_3genE8ELNS1_11target_archE1030ELNS1_3gpuE2ELNS1_3repE0EEENS1_38merge_mergepath_config_static_selectorELNS0_4arch9wavefront6targetE0EEEvSF_.private_seg_size, 0
	.set _ZN7rocprim17ROCPRIM_400000_NS6detail17trampoline_kernelINS0_14default_configENS1_38merge_sort_block_merge_config_selectorItNS0_10empty_typeEEEZZNS1_27merge_sort_block_merge_implIS3_PtPS5_jNS1_19radix_merge_compareILb1ELb1EtNS0_19identity_decomposerEEEEE10hipError_tT0_T1_T2_jT3_P12ihipStream_tbPNSt15iterator_traitsISE_E10value_typeEPNSK_ISF_E10value_typeEPSG_NS1_7vsmem_tEENKUlT_SE_SF_SG_E_clIS8_S8_S9_S9_EESD_ST_SE_SF_SG_EUlST_E0_NS1_11comp_targetILNS1_3genE8ELNS1_11target_archE1030ELNS1_3gpuE2ELNS1_3repE0EEENS1_38merge_mergepath_config_static_selectorELNS0_4arch9wavefront6targetE0EEEvSF_.uses_vcc, 0
	.set _ZN7rocprim17ROCPRIM_400000_NS6detail17trampoline_kernelINS0_14default_configENS1_38merge_sort_block_merge_config_selectorItNS0_10empty_typeEEEZZNS1_27merge_sort_block_merge_implIS3_PtPS5_jNS1_19radix_merge_compareILb1ELb1EtNS0_19identity_decomposerEEEEE10hipError_tT0_T1_T2_jT3_P12ihipStream_tbPNSt15iterator_traitsISE_E10value_typeEPNSK_ISF_E10value_typeEPSG_NS1_7vsmem_tEENKUlT_SE_SF_SG_E_clIS8_S8_S9_S9_EESD_ST_SE_SF_SG_EUlST_E0_NS1_11comp_targetILNS1_3genE8ELNS1_11target_archE1030ELNS1_3gpuE2ELNS1_3repE0EEENS1_38merge_mergepath_config_static_selectorELNS0_4arch9wavefront6targetE0EEEvSF_.uses_flat_scratch, 0
	.set _ZN7rocprim17ROCPRIM_400000_NS6detail17trampoline_kernelINS0_14default_configENS1_38merge_sort_block_merge_config_selectorItNS0_10empty_typeEEEZZNS1_27merge_sort_block_merge_implIS3_PtPS5_jNS1_19radix_merge_compareILb1ELb1EtNS0_19identity_decomposerEEEEE10hipError_tT0_T1_T2_jT3_P12ihipStream_tbPNSt15iterator_traitsISE_E10value_typeEPNSK_ISF_E10value_typeEPSG_NS1_7vsmem_tEENKUlT_SE_SF_SG_E_clIS8_S8_S9_S9_EESD_ST_SE_SF_SG_EUlST_E0_NS1_11comp_targetILNS1_3genE8ELNS1_11target_archE1030ELNS1_3gpuE2ELNS1_3repE0EEENS1_38merge_mergepath_config_static_selectorELNS0_4arch9wavefront6targetE0EEEvSF_.has_dyn_sized_stack, 0
	.set _ZN7rocprim17ROCPRIM_400000_NS6detail17trampoline_kernelINS0_14default_configENS1_38merge_sort_block_merge_config_selectorItNS0_10empty_typeEEEZZNS1_27merge_sort_block_merge_implIS3_PtPS5_jNS1_19radix_merge_compareILb1ELb1EtNS0_19identity_decomposerEEEEE10hipError_tT0_T1_T2_jT3_P12ihipStream_tbPNSt15iterator_traitsISE_E10value_typeEPNSK_ISF_E10value_typeEPSG_NS1_7vsmem_tEENKUlT_SE_SF_SG_E_clIS8_S8_S9_S9_EESD_ST_SE_SF_SG_EUlST_E0_NS1_11comp_targetILNS1_3genE8ELNS1_11target_archE1030ELNS1_3gpuE2ELNS1_3repE0EEENS1_38merge_mergepath_config_static_selectorELNS0_4arch9wavefront6targetE0EEEvSF_.has_recursion, 0
	.set _ZN7rocprim17ROCPRIM_400000_NS6detail17trampoline_kernelINS0_14default_configENS1_38merge_sort_block_merge_config_selectorItNS0_10empty_typeEEEZZNS1_27merge_sort_block_merge_implIS3_PtPS5_jNS1_19radix_merge_compareILb1ELb1EtNS0_19identity_decomposerEEEEE10hipError_tT0_T1_T2_jT3_P12ihipStream_tbPNSt15iterator_traitsISE_E10value_typeEPNSK_ISF_E10value_typeEPSG_NS1_7vsmem_tEENKUlT_SE_SF_SG_E_clIS8_S8_S9_S9_EESD_ST_SE_SF_SG_EUlST_E0_NS1_11comp_targetILNS1_3genE8ELNS1_11target_archE1030ELNS1_3gpuE2ELNS1_3repE0EEENS1_38merge_mergepath_config_static_selectorELNS0_4arch9wavefront6targetE0EEEvSF_.has_indirect_call, 0
	.section	.AMDGPU.csdata,"",@progbits
; Kernel info:
; codeLenInByte = 0
; TotalNumSgprs: 0
; NumVgprs: 0
; ScratchSize: 0
; MemoryBound: 0
; FloatMode: 240
; IeeeMode: 1
; LDSByteSize: 0 bytes/workgroup (compile time only)
; SGPRBlocks: 0
; VGPRBlocks: 0
; NumSGPRsForWavesPerEU: 1
; NumVGPRsForWavesPerEU: 1
; NamedBarCnt: 0
; Occupancy: 16
; WaveLimiterHint : 0
; COMPUTE_PGM_RSRC2:SCRATCH_EN: 0
; COMPUTE_PGM_RSRC2:USER_SGPR: 2
; COMPUTE_PGM_RSRC2:TRAP_HANDLER: 0
; COMPUTE_PGM_RSRC2:TGID_X_EN: 1
; COMPUTE_PGM_RSRC2:TGID_Y_EN: 0
; COMPUTE_PGM_RSRC2:TGID_Z_EN: 0
; COMPUTE_PGM_RSRC2:TIDIG_COMP_CNT: 0
	.section	.text._ZN7rocprim17ROCPRIM_400000_NS6detail17trampoline_kernelINS0_14default_configENS1_38merge_sort_block_merge_config_selectorItNS0_10empty_typeEEEZZNS1_27merge_sort_block_merge_implIS3_PtPS5_jNS1_19radix_merge_compareILb1ELb1EtNS0_19identity_decomposerEEEEE10hipError_tT0_T1_T2_jT3_P12ihipStream_tbPNSt15iterator_traitsISE_E10value_typeEPNSK_ISF_E10value_typeEPSG_NS1_7vsmem_tEENKUlT_SE_SF_SG_E_clIS8_S8_S9_S9_EESD_ST_SE_SF_SG_EUlST_E1_NS1_11comp_targetILNS1_3genE0ELNS1_11target_archE4294967295ELNS1_3gpuE0ELNS1_3repE0EEENS1_36merge_oddeven_config_static_selectorELNS0_4arch9wavefront6targetE0EEEvSF_,"axG",@progbits,_ZN7rocprim17ROCPRIM_400000_NS6detail17trampoline_kernelINS0_14default_configENS1_38merge_sort_block_merge_config_selectorItNS0_10empty_typeEEEZZNS1_27merge_sort_block_merge_implIS3_PtPS5_jNS1_19radix_merge_compareILb1ELb1EtNS0_19identity_decomposerEEEEE10hipError_tT0_T1_T2_jT3_P12ihipStream_tbPNSt15iterator_traitsISE_E10value_typeEPNSK_ISF_E10value_typeEPSG_NS1_7vsmem_tEENKUlT_SE_SF_SG_E_clIS8_S8_S9_S9_EESD_ST_SE_SF_SG_EUlST_E1_NS1_11comp_targetILNS1_3genE0ELNS1_11target_archE4294967295ELNS1_3gpuE0ELNS1_3repE0EEENS1_36merge_oddeven_config_static_selectorELNS0_4arch9wavefront6targetE0EEEvSF_,comdat
	.protected	_ZN7rocprim17ROCPRIM_400000_NS6detail17trampoline_kernelINS0_14default_configENS1_38merge_sort_block_merge_config_selectorItNS0_10empty_typeEEEZZNS1_27merge_sort_block_merge_implIS3_PtPS5_jNS1_19radix_merge_compareILb1ELb1EtNS0_19identity_decomposerEEEEE10hipError_tT0_T1_T2_jT3_P12ihipStream_tbPNSt15iterator_traitsISE_E10value_typeEPNSK_ISF_E10value_typeEPSG_NS1_7vsmem_tEENKUlT_SE_SF_SG_E_clIS8_S8_S9_S9_EESD_ST_SE_SF_SG_EUlST_E1_NS1_11comp_targetILNS1_3genE0ELNS1_11target_archE4294967295ELNS1_3gpuE0ELNS1_3repE0EEENS1_36merge_oddeven_config_static_selectorELNS0_4arch9wavefront6targetE0EEEvSF_ ; -- Begin function _ZN7rocprim17ROCPRIM_400000_NS6detail17trampoline_kernelINS0_14default_configENS1_38merge_sort_block_merge_config_selectorItNS0_10empty_typeEEEZZNS1_27merge_sort_block_merge_implIS3_PtPS5_jNS1_19radix_merge_compareILb1ELb1EtNS0_19identity_decomposerEEEEE10hipError_tT0_T1_T2_jT3_P12ihipStream_tbPNSt15iterator_traitsISE_E10value_typeEPNSK_ISF_E10value_typeEPSG_NS1_7vsmem_tEENKUlT_SE_SF_SG_E_clIS8_S8_S9_S9_EESD_ST_SE_SF_SG_EUlST_E1_NS1_11comp_targetILNS1_3genE0ELNS1_11target_archE4294967295ELNS1_3gpuE0ELNS1_3repE0EEENS1_36merge_oddeven_config_static_selectorELNS0_4arch9wavefront6targetE0EEEvSF_
	.globl	_ZN7rocprim17ROCPRIM_400000_NS6detail17trampoline_kernelINS0_14default_configENS1_38merge_sort_block_merge_config_selectorItNS0_10empty_typeEEEZZNS1_27merge_sort_block_merge_implIS3_PtPS5_jNS1_19radix_merge_compareILb1ELb1EtNS0_19identity_decomposerEEEEE10hipError_tT0_T1_T2_jT3_P12ihipStream_tbPNSt15iterator_traitsISE_E10value_typeEPNSK_ISF_E10value_typeEPSG_NS1_7vsmem_tEENKUlT_SE_SF_SG_E_clIS8_S8_S9_S9_EESD_ST_SE_SF_SG_EUlST_E1_NS1_11comp_targetILNS1_3genE0ELNS1_11target_archE4294967295ELNS1_3gpuE0ELNS1_3repE0EEENS1_36merge_oddeven_config_static_selectorELNS0_4arch9wavefront6targetE0EEEvSF_
	.p2align	8
	.type	_ZN7rocprim17ROCPRIM_400000_NS6detail17trampoline_kernelINS0_14default_configENS1_38merge_sort_block_merge_config_selectorItNS0_10empty_typeEEEZZNS1_27merge_sort_block_merge_implIS3_PtPS5_jNS1_19radix_merge_compareILb1ELb1EtNS0_19identity_decomposerEEEEE10hipError_tT0_T1_T2_jT3_P12ihipStream_tbPNSt15iterator_traitsISE_E10value_typeEPNSK_ISF_E10value_typeEPSG_NS1_7vsmem_tEENKUlT_SE_SF_SG_E_clIS8_S8_S9_S9_EESD_ST_SE_SF_SG_EUlST_E1_NS1_11comp_targetILNS1_3genE0ELNS1_11target_archE4294967295ELNS1_3gpuE0ELNS1_3repE0EEENS1_36merge_oddeven_config_static_selectorELNS0_4arch9wavefront6targetE0EEEvSF_,@function
_ZN7rocprim17ROCPRIM_400000_NS6detail17trampoline_kernelINS0_14default_configENS1_38merge_sort_block_merge_config_selectorItNS0_10empty_typeEEEZZNS1_27merge_sort_block_merge_implIS3_PtPS5_jNS1_19radix_merge_compareILb1ELb1EtNS0_19identity_decomposerEEEEE10hipError_tT0_T1_T2_jT3_P12ihipStream_tbPNSt15iterator_traitsISE_E10value_typeEPNSK_ISF_E10value_typeEPSG_NS1_7vsmem_tEENKUlT_SE_SF_SG_E_clIS8_S8_S9_S9_EESD_ST_SE_SF_SG_EUlST_E1_NS1_11comp_targetILNS1_3genE0ELNS1_11target_archE4294967295ELNS1_3gpuE0ELNS1_3repE0EEENS1_36merge_oddeven_config_static_selectorELNS0_4arch9wavefront6targetE0EEEvSF_: ; @_ZN7rocprim17ROCPRIM_400000_NS6detail17trampoline_kernelINS0_14default_configENS1_38merge_sort_block_merge_config_selectorItNS0_10empty_typeEEEZZNS1_27merge_sort_block_merge_implIS3_PtPS5_jNS1_19radix_merge_compareILb1ELb1EtNS0_19identity_decomposerEEEEE10hipError_tT0_T1_T2_jT3_P12ihipStream_tbPNSt15iterator_traitsISE_E10value_typeEPNSK_ISF_E10value_typeEPSG_NS1_7vsmem_tEENKUlT_SE_SF_SG_E_clIS8_S8_S9_S9_EESD_ST_SE_SF_SG_EUlST_E1_NS1_11comp_targetILNS1_3genE0ELNS1_11target_archE4294967295ELNS1_3gpuE0ELNS1_3repE0EEENS1_36merge_oddeven_config_static_selectorELNS0_4arch9wavefront6targetE0EEEvSF_
; %bb.0:
	s_load_b32 s11, s[0:1], 0x20
	s_bfe_u32 s2, ttmp6, 0x4000c
	s_and_b32 s3, ttmp6, 15
	s_add_co_i32 s2, s2, 1
	s_getreg_b32 s4, hwreg(HW_REG_IB_STS2, 6, 4)
	s_mul_i32 s2, ttmp9, s2
	s_mov_b32 s9, 0
	s_add_co_i32 s3, s3, s2
	s_cmp_eq_u32 s4, 0
	s_cselect_b32 s2, ttmp9, s3
	s_wait_kmcnt 0x0
	s_lshr_b32 s3, s11, 8
	s_delay_alu instid0(SALU_CYCLE_1) | instskip(SKIP_4) | instid1(SALU_CYCLE_1)
	s_cmp_lg_u32 s2, s3
	s_cselect_b32 s15, -1, 0
	s_cmp_eq_u32 s2, s3
	s_cselect_b32 s12, -1, 0
	s_lshl_b32 s8, s2, 8
	s_sub_co_i32 s3, s11, s8
	s_delay_alu instid0(SALU_CYCLE_1) | instskip(SKIP_1) | instid1(SALU_CYCLE_1)
	v_cmp_gt_u32_e64 s3, s3, v0
	s_or_b32 s4, s15, s3
	s_and_saveexec_b32 s5, s4
	s_cbranch_execz .LBB2352_20
; %bb.1:
	s_clause 0x1
	s_load_b128 s[4:7], s[0:1], 0x0
	s_load_b32 s13, s[0:1], 0x24
	s_lshl_b64 s[16:17], s[8:9], 1
	v_add_nc_u32_e32 v3, s8, v0
	s_wait_kmcnt 0x0
	s_add_nc_u64 s[16:17], s[4:5], s[16:17]
	s_lshr_b32 s10, s13, 8
	global_load_u16 v1, v0, s[16:17] scale_offset
	s_sub_co_i32 s14, 0, s10
	s_wait_xcnt 0x0
	s_sub_co_i32 s16, 0, s13
	s_and_b32 s2, s2, s14
	s_delay_alu instid0(SALU_CYCLE_1) | instskip(SKIP_3) | instid1(SALU_CYCLE_1)
	s_and_b32 s10, s2, s10
	s_lshl_b32 s14, s2, 8
	s_cmp_eq_u32 s10, 0
	s_cselect_b32 s2, -1, 0
	s_and_b32 s10, s2, exec_lo
	s_cselect_b32 s10, s13, s16
	s_delay_alu instid0(SALU_CYCLE_1) | instskip(NEXT) | instid1(SALU_CYCLE_1)
	s_add_co_i32 s10, s10, s14
	s_cmp_gt_u32 s11, s10
	s_cbranch_scc1 .LBB2352_3
; %bb.2:
	v_cmp_gt_u32_e32 vcc_lo, s11, v3
	s_or_b32 s9, vcc_lo, s15
	s_delay_alu instid0(SALU_CYCLE_1)
	s_and_b32 s9, s9, exec_lo
	s_cbranch_execz .LBB2352_4
	s_branch .LBB2352_18
.LBB2352_3:
.LBB2352_4:
	s_load_b32 s0, s[0:1], 0x28
	s_wait_xcnt 0x0
	s_min_u32 s1, s10, s11
	s_and_b32 vcc_lo, exec_lo, s12
	s_add_co_i32 s8, s14, s1
	s_add_co_i32 s13, s1, s13
	v_subrev_nc_u32_e32 v0, s8, v3
	s_min_u32 s8, s14, s1
	s_delay_alu instid0(VALU_DEP_1) | instid1(SALU_CYCLE_1)
	v_add_nc_u32_e32 v0, s8, v0
	s_min_u32 s8, s13, s11
	s_wait_loadcnt 0x0
	s_wait_kmcnt 0x0
	v_and_b32_e32 v2, s0, v1
	s_cbranch_vccz .LBB2352_12
; %bb.5:
                                        ; implicit-def: $vgpr3
	s_and_saveexec_b32 s11, s3
	s_cbranch_execz .LBB2352_11
; %bb.6:
	v_mov_b32_e32 v3, s1
	s_cmp_ge_u32 s10, s8
	s_cbranch_scc1 .LBB2352_10
; %bb.7:
	v_dual_mov_b32 v4, s8 :: v_dual_mov_b32 v3, s1
	s_mov_b32 s3, 0
.LBB2352_8:                             ; =>This Inner Loop Header: Depth=1
	s_delay_alu instid0(VALU_DEP_1) | instskip(NEXT) | instid1(VALU_DEP_1)
	v_add_nc_u32_e32 v5, v3, v4
	v_and_b32_e32 v6, -2, v5
	global_load_u16 v6, v6, s[4:5]
	s_wait_loadcnt 0x0
	v_dual_lshrrev_b32 v5, 1, v5 :: v_dual_bitop2_b32 v6, s0, v6 bitop3:0x40
	s_delay_alu instid0(VALU_DEP_1) | instskip(SKIP_3) | instid1(VALU_DEP_1)
	v_cmp_gt_u16_e32 vcc_lo, v6, v2
	v_cndmask_b32_e64 v7, 0, 1, vcc_lo
	v_cmp_le_u16_e32 vcc_lo, v2, v6
	v_cndmask_b32_e64 v6, 0, 1, vcc_lo
	v_dual_cndmask_b32 v6, v6, v7, s2 :: v_dual_add_nc_u32 v7, 1, v5
	s_delay_alu instid0(VALU_DEP_1) | instskip(NEXT) | instid1(VALU_DEP_1)
	v_and_b32_e32 v6, 1, v6
	v_cmp_eq_u32_e32 vcc_lo, 1, v6
	s_delay_alu instid0(VALU_DEP_3) | instskip(NEXT) | instid1(VALU_DEP_1)
	v_dual_cndmask_b32 v4, v5, v4 :: v_dual_cndmask_b32 v3, v3, v7
	v_cmp_ge_u32_e32 vcc_lo, v3, v4
	s_or_b32 s3, vcc_lo, s3
	s_delay_alu instid0(SALU_CYCLE_1)
	s_and_not1_b32 exec_lo, exec_lo, s3
	s_cbranch_execnz .LBB2352_8
; %bb.9:
	s_or_b32 exec_lo, exec_lo, s3
.LBB2352_10:
	s_delay_alu instid0(VALU_DEP_1)
	v_add_nc_u32_e32 v3, v3, v0
	s_or_b32 s9, s9, exec_lo
.LBB2352_11:
	s_or_b32 exec_lo, exec_lo, s11
	s_branch .LBB2352_18
.LBB2352_12:
                                        ; implicit-def: $vgpr3
	s_cbranch_execz .LBB2352_18
; %bb.13:
	v_mov_b32_e32 v3, s1
	s_cmp_ge_u32 s10, s8
	s_cbranch_scc1 .LBB2352_17
; %bb.14:
	v_dual_mov_b32 v4, s8 :: v_dual_mov_b32 v3, s1
	s_mov_b32 s1, 0
.LBB2352_15:                            ; =>This Inner Loop Header: Depth=1
	s_delay_alu instid0(VALU_DEP_1) | instskip(NEXT) | instid1(VALU_DEP_1)
	v_add_nc_u32_e32 v5, v3, v4
	v_and_b32_e32 v6, -2, v5
	global_load_u16 v6, v6, s[4:5]
	s_wait_loadcnt 0x0
	v_dual_lshrrev_b32 v5, 1, v5 :: v_dual_bitop2_b32 v6, s0, v6 bitop3:0x40
	s_delay_alu instid0(VALU_DEP_1) | instskip(SKIP_3) | instid1(VALU_DEP_1)
	v_cmp_gt_u16_e32 vcc_lo, v6, v2
	v_cndmask_b32_e64 v7, 0, 1, vcc_lo
	v_cmp_le_u16_e32 vcc_lo, v2, v6
	v_cndmask_b32_e64 v6, 0, 1, vcc_lo
	v_dual_cndmask_b32 v6, v6, v7, s2 :: v_dual_add_nc_u32 v7, 1, v5
	s_delay_alu instid0(VALU_DEP_1) | instskip(NEXT) | instid1(VALU_DEP_1)
	v_and_b32_e32 v6, 1, v6
	v_cmp_eq_u32_e32 vcc_lo, 1, v6
	s_delay_alu instid0(VALU_DEP_3) | instskip(NEXT) | instid1(VALU_DEP_1)
	v_dual_cndmask_b32 v4, v5, v4 :: v_dual_cndmask_b32 v3, v3, v7
	v_cmp_ge_u32_e32 vcc_lo, v3, v4
	s_or_b32 s1, vcc_lo, s1
	s_delay_alu instid0(SALU_CYCLE_1)
	s_and_not1_b32 exec_lo, exec_lo, s1
	s_cbranch_execnz .LBB2352_15
; %bb.16:
	s_or_b32 exec_lo, exec_lo, s1
.LBB2352_17:
	s_delay_alu instid0(VALU_DEP_1)
	v_add_nc_u32_e32 v3, v3, v0
	s_mov_b32 s9, -1
.LBB2352_18:
	s_delay_alu instid0(SALU_CYCLE_1)
	s_and_b32 exec_lo, exec_lo, s9
	s_cbranch_execz .LBB2352_20
; %bb.19:
	s_wait_loadcnt 0x0
	global_store_b16 v3, v1, s[6:7] scale_offset
.LBB2352_20:
	s_endpgm
	.section	.rodata,"a",@progbits
	.p2align	6, 0x0
	.amdhsa_kernel _ZN7rocprim17ROCPRIM_400000_NS6detail17trampoline_kernelINS0_14default_configENS1_38merge_sort_block_merge_config_selectorItNS0_10empty_typeEEEZZNS1_27merge_sort_block_merge_implIS3_PtPS5_jNS1_19radix_merge_compareILb1ELb1EtNS0_19identity_decomposerEEEEE10hipError_tT0_T1_T2_jT3_P12ihipStream_tbPNSt15iterator_traitsISE_E10value_typeEPNSK_ISF_E10value_typeEPSG_NS1_7vsmem_tEENKUlT_SE_SF_SG_E_clIS8_S8_S9_S9_EESD_ST_SE_SF_SG_EUlST_E1_NS1_11comp_targetILNS1_3genE0ELNS1_11target_archE4294967295ELNS1_3gpuE0ELNS1_3repE0EEENS1_36merge_oddeven_config_static_selectorELNS0_4arch9wavefront6targetE0EEEvSF_
		.amdhsa_group_segment_fixed_size 0
		.amdhsa_private_segment_fixed_size 0
		.amdhsa_kernarg_size 48
		.amdhsa_user_sgpr_count 2
		.amdhsa_user_sgpr_dispatch_ptr 0
		.amdhsa_user_sgpr_queue_ptr 0
		.amdhsa_user_sgpr_kernarg_segment_ptr 1
		.amdhsa_user_sgpr_dispatch_id 0
		.amdhsa_user_sgpr_kernarg_preload_length 0
		.amdhsa_user_sgpr_kernarg_preload_offset 0
		.amdhsa_user_sgpr_private_segment_size 0
		.amdhsa_wavefront_size32 1
		.amdhsa_uses_dynamic_stack 0
		.amdhsa_enable_private_segment 0
		.amdhsa_system_sgpr_workgroup_id_x 1
		.amdhsa_system_sgpr_workgroup_id_y 0
		.amdhsa_system_sgpr_workgroup_id_z 0
		.amdhsa_system_sgpr_workgroup_info 0
		.amdhsa_system_vgpr_workitem_id 0
		.amdhsa_next_free_vgpr 8
		.amdhsa_next_free_sgpr 18
		.amdhsa_named_barrier_count 0
		.amdhsa_reserve_vcc 1
		.amdhsa_float_round_mode_32 0
		.amdhsa_float_round_mode_16_64 0
		.amdhsa_float_denorm_mode_32 3
		.amdhsa_float_denorm_mode_16_64 3
		.amdhsa_fp16_overflow 0
		.amdhsa_memory_ordered 1
		.amdhsa_forward_progress 1
		.amdhsa_inst_pref_size 6
		.amdhsa_round_robin_scheduling 0
		.amdhsa_exception_fp_ieee_invalid_op 0
		.amdhsa_exception_fp_denorm_src 0
		.amdhsa_exception_fp_ieee_div_zero 0
		.amdhsa_exception_fp_ieee_overflow 0
		.amdhsa_exception_fp_ieee_underflow 0
		.amdhsa_exception_fp_ieee_inexact 0
		.amdhsa_exception_int_div_zero 0
	.end_amdhsa_kernel
	.section	.text._ZN7rocprim17ROCPRIM_400000_NS6detail17trampoline_kernelINS0_14default_configENS1_38merge_sort_block_merge_config_selectorItNS0_10empty_typeEEEZZNS1_27merge_sort_block_merge_implIS3_PtPS5_jNS1_19radix_merge_compareILb1ELb1EtNS0_19identity_decomposerEEEEE10hipError_tT0_T1_T2_jT3_P12ihipStream_tbPNSt15iterator_traitsISE_E10value_typeEPNSK_ISF_E10value_typeEPSG_NS1_7vsmem_tEENKUlT_SE_SF_SG_E_clIS8_S8_S9_S9_EESD_ST_SE_SF_SG_EUlST_E1_NS1_11comp_targetILNS1_3genE0ELNS1_11target_archE4294967295ELNS1_3gpuE0ELNS1_3repE0EEENS1_36merge_oddeven_config_static_selectorELNS0_4arch9wavefront6targetE0EEEvSF_,"axG",@progbits,_ZN7rocprim17ROCPRIM_400000_NS6detail17trampoline_kernelINS0_14default_configENS1_38merge_sort_block_merge_config_selectorItNS0_10empty_typeEEEZZNS1_27merge_sort_block_merge_implIS3_PtPS5_jNS1_19radix_merge_compareILb1ELb1EtNS0_19identity_decomposerEEEEE10hipError_tT0_T1_T2_jT3_P12ihipStream_tbPNSt15iterator_traitsISE_E10value_typeEPNSK_ISF_E10value_typeEPSG_NS1_7vsmem_tEENKUlT_SE_SF_SG_E_clIS8_S8_S9_S9_EESD_ST_SE_SF_SG_EUlST_E1_NS1_11comp_targetILNS1_3genE0ELNS1_11target_archE4294967295ELNS1_3gpuE0ELNS1_3repE0EEENS1_36merge_oddeven_config_static_selectorELNS0_4arch9wavefront6targetE0EEEvSF_,comdat
.Lfunc_end2352:
	.size	_ZN7rocprim17ROCPRIM_400000_NS6detail17trampoline_kernelINS0_14default_configENS1_38merge_sort_block_merge_config_selectorItNS0_10empty_typeEEEZZNS1_27merge_sort_block_merge_implIS3_PtPS5_jNS1_19radix_merge_compareILb1ELb1EtNS0_19identity_decomposerEEEEE10hipError_tT0_T1_T2_jT3_P12ihipStream_tbPNSt15iterator_traitsISE_E10value_typeEPNSK_ISF_E10value_typeEPSG_NS1_7vsmem_tEENKUlT_SE_SF_SG_E_clIS8_S8_S9_S9_EESD_ST_SE_SF_SG_EUlST_E1_NS1_11comp_targetILNS1_3genE0ELNS1_11target_archE4294967295ELNS1_3gpuE0ELNS1_3repE0EEENS1_36merge_oddeven_config_static_selectorELNS0_4arch9wavefront6targetE0EEEvSF_, .Lfunc_end2352-_ZN7rocprim17ROCPRIM_400000_NS6detail17trampoline_kernelINS0_14default_configENS1_38merge_sort_block_merge_config_selectorItNS0_10empty_typeEEEZZNS1_27merge_sort_block_merge_implIS3_PtPS5_jNS1_19radix_merge_compareILb1ELb1EtNS0_19identity_decomposerEEEEE10hipError_tT0_T1_T2_jT3_P12ihipStream_tbPNSt15iterator_traitsISE_E10value_typeEPNSK_ISF_E10value_typeEPSG_NS1_7vsmem_tEENKUlT_SE_SF_SG_E_clIS8_S8_S9_S9_EESD_ST_SE_SF_SG_EUlST_E1_NS1_11comp_targetILNS1_3genE0ELNS1_11target_archE4294967295ELNS1_3gpuE0ELNS1_3repE0EEENS1_36merge_oddeven_config_static_selectorELNS0_4arch9wavefront6targetE0EEEvSF_
                                        ; -- End function
	.set _ZN7rocprim17ROCPRIM_400000_NS6detail17trampoline_kernelINS0_14default_configENS1_38merge_sort_block_merge_config_selectorItNS0_10empty_typeEEEZZNS1_27merge_sort_block_merge_implIS3_PtPS5_jNS1_19radix_merge_compareILb1ELb1EtNS0_19identity_decomposerEEEEE10hipError_tT0_T1_T2_jT3_P12ihipStream_tbPNSt15iterator_traitsISE_E10value_typeEPNSK_ISF_E10value_typeEPSG_NS1_7vsmem_tEENKUlT_SE_SF_SG_E_clIS8_S8_S9_S9_EESD_ST_SE_SF_SG_EUlST_E1_NS1_11comp_targetILNS1_3genE0ELNS1_11target_archE4294967295ELNS1_3gpuE0ELNS1_3repE0EEENS1_36merge_oddeven_config_static_selectorELNS0_4arch9wavefront6targetE0EEEvSF_.num_vgpr, 8
	.set _ZN7rocprim17ROCPRIM_400000_NS6detail17trampoline_kernelINS0_14default_configENS1_38merge_sort_block_merge_config_selectorItNS0_10empty_typeEEEZZNS1_27merge_sort_block_merge_implIS3_PtPS5_jNS1_19radix_merge_compareILb1ELb1EtNS0_19identity_decomposerEEEEE10hipError_tT0_T1_T2_jT3_P12ihipStream_tbPNSt15iterator_traitsISE_E10value_typeEPNSK_ISF_E10value_typeEPSG_NS1_7vsmem_tEENKUlT_SE_SF_SG_E_clIS8_S8_S9_S9_EESD_ST_SE_SF_SG_EUlST_E1_NS1_11comp_targetILNS1_3genE0ELNS1_11target_archE4294967295ELNS1_3gpuE0ELNS1_3repE0EEENS1_36merge_oddeven_config_static_selectorELNS0_4arch9wavefront6targetE0EEEvSF_.num_agpr, 0
	.set _ZN7rocprim17ROCPRIM_400000_NS6detail17trampoline_kernelINS0_14default_configENS1_38merge_sort_block_merge_config_selectorItNS0_10empty_typeEEEZZNS1_27merge_sort_block_merge_implIS3_PtPS5_jNS1_19radix_merge_compareILb1ELb1EtNS0_19identity_decomposerEEEEE10hipError_tT0_T1_T2_jT3_P12ihipStream_tbPNSt15iterator_traitsISE_E10value_typeEPNSK_ISF_E10value_typeEPSG_NS1_7vsmem_tEENKUlT_SE_SF_SG_E_clIS8_S8_S9_S9_EESD_ST_SE_SF_SG_EUlST_E1_NS1_11comp_targetILNS1_3genE0ELNS1_11target_archE4294967295ELNS1_3gpuE0ELNS1_3repE0EEENS1_36merge_oddeven_config_static_selectorELNS0_4arch9wavefront6targetE0EEEvSF_.numbered_sgpr, 18
	.set _ZN7rocprim17ROCPRIM_400000_NS6detail17trampoline_kernelINS0_14default_configENS1_38merge_sort_block_merge_config_selectorItNS0_10empty_typeEEEZZNS1_27merge_sort_block_merge_implIS3_PtPS5_jNS1_19radix_merge_compareILb1ELb1EtNS0_19identity_decomposerEEEEE10hipError_tT0_T1_T2_jT3_P12ihipStream_tbPNSt15iterator_traitsISE_E10value_typeEPNSK_ISF_E10value_typeEPSG_NS1_7vsmem_tEENKUlT_SE_SF_SG_E_clIS8_S8_S9_S9_EESD_ST_SE_SF_SG_EUlST_E1_NS1_11comp_targetILNS1_3genE0ELNS1_11target_archE4294967295ELNS1_3gpuE0ELNS1_3repE0EEENS1_36merge_oddeven_config_static_selectorELNS0_4arch9wavefront6targetE0EEEvSF_.num_named_barrier, 0
	.set _ZN7rocprim17ROCPRIM_400000_NS6detail17trampoline_kernelINS0_14default_configENS1_38merge_sort_block_merge_config_selectorItNS0_10empty_typeEEEZZNS1_27merge_sort_block_merge_implIS3_PtPS5_jNS1_19radix_merge_compareILb1ELb1EtNS0_19identity_decomposerEEEEE10hipError_tT0_T1_T2_jT3_P12ihipStream_tbPNSt15iterator_traitsISE_E10value_typeEPNSK_ISF_E10value_typeEPSG_NS1_7vsmem_tEENKUlT_SE_SF_SG_E_clIS8_S8_S9_S9_EESD_ST_SE_SF_SG_EUlST_E1_NS1_11comp_targetILNS1_3genE0ELNS1_11target_archE4294967295ELNS1_3gpuE0ELNS1_3repE0EEENS1_36merge_oddeven_config_static_selectorELNS0_4arch9wavefront6targetE0EEEvSF_.private_seg_size, 0
	.set _ZN7rocprim17ROCPRIM_400000_NS6detail17trampoline_kernelINS0_14default_configENS1_38merge_sort_block_merge_config_selectorItNS0_10empty_typeEEEZZNS1_27merge_sort_block_merge_implIS3_PtPS5_jNS1_19radix_merge_compareILb1ELb1EtNS0_19identity_decomposerEEEEE10hipError_tT0_T1_T2_jT3_P12ihipStream_tbPNSt15iterator_traitsISE_E10value_typeEPNSK_ISF_E10value_typeEPSG_NS1_7vsmem_tEENKUlT_SE_SF_SG_E_clIS8_S8_S9_S9_EESD_ST_SE_SF_SG_EUlST_E1_NS1_11comp_targetILNS1_3genE0ELNS1_11target_archE4294967295ELNS1_3gpuE0ELNS1_3repE0EEENS1_36merge_oddeven_config_static_selectorELNS0_4arch9wavefront6targetE0EEEvSF_.uses_vcc, 1
	.set _ZN7rocprim17ROCPRIM_400000_NS6detail17trampoline_kernelINS0_14default_configENS1_38merge_sort_block_merge_config_selectorItNS0_10empty_typeEEEZZNS1_27merge_sort_block_merge_implIS3_PtPS5_jNS1_19radix_merge_compareILb1ELb1EtNS0_19identity_decomposerEEEEE10hipError_tT0_T1_T2_jT3_P12ihipStream_tbPNSt15iterator_traitsISE_E10value_typeEPNSK_ISF_E10value_typeEPSG_NS1_7vsmem_tEENKUlT_SE_SF_SG_E_clIS8_S8_S9_S9_EESD_ST_SE_SF_SG_EUlST_E1_NS1_11comp_targetILNS1_3genE0ELNS1_11target_archE4294967295ELNS1_3gpuE0ELNS1_3repE0EEENS1_36merge_oddeven_config_static_selectorELNS0_4arch9wavefront6targetE0EEEvSF_.uses_flat_scratch, 0
	.set _ZN7rocprim17ROCPRIM_400000_NS6detail17trampoline_kernelINS0_14default_configENS1_38merge_sort_block_merge_config_selectorItNS0_10empty_typeEEEZZNS1_27merge_sort_block_merge_implIS3_PtPS5_jNS1_19radix_merge_compareILb1ELb1EtNS0_19identity_decomposerEEEEE10hipError_tT0_T1_T2_jT3_P12ihipStream_tbPNSt15iterator_traitsISE_E10value_typeEPNSK_ISF_E10value_typeEPSG_NS1_7vsmem_tEENKUlT_SE_SF_SG_E_clIS8_S8_S9_S9_EESD_ST_SE_SF_SG_EUlST_E1_NS1_11comp_targetILNS1_3genE0ELNS1_11target_archE4294967295ELNS1_3gpuE0ELNS1_3repE0EEENS1_36merge_oddeven_config_static_selectorELNS0_4arch9wavefront6targetE0EEEvSF_.has_dyn_sized_stack, 0
	.set _ZN7rocprim17ROCPRIM_400000_NS6detail17trampoline_kernelINS0_14default_configENS1_38merge_sort_block_merge_config_selectorItNS0_10empty_typeEEEZZNS1_27merge_sort_block_merge_implIS3_PtPS5_jNS1_19radix_merge_compareILb1ELb1EtNS0_19identity_decomposerEEEEE10hipError_tT0_T1_T2_jT3_P12ihipStream_tbPNSt15iterator_traitsISE_E10value_typeEPNSK_ISF_E10value_typeEPSG_NS1_7vsmem_tEENKUlT_SE_SF_SG_E_clIS8_S8_S9_S9_EESD_ST_SE_SF_SG_EUlST_E1_NS1_11comp_targetILNS1_3genE0ELNS1_11target_archE4294967295ELNS1_3gpuE0ELNS1_3repE0EEENS1_36merge_oddeven_config_static_selectorELNS0_4arch9wavefront6targetE0EEEvSF_.has_recursion, 0
	.set _ZN7rocprim17ROCPRIM_400000_NS6detail17trampoline_kernelINS0_14default_configENS1_38merge_sort_block_merge_config_selectorItNS0_10empty_typeEEEZZNS1_27merge_sort_block_merge_implIS3_PtPS5_jNS1_19radix_merge_compareILb1ELb1EtNS0_19identity_decomposerEEEEE10hipError_tT0_T1_T2_jT3_P12ihipStream_tbPNSt15iterator_traitsISE_E10value_typeEPNSK_ISF_E10value_typeEPSG_NS1_7vsmem_tEENKUlT_SE_SF_SG_E_clIS8_S8_S9_S9_EESD_ST_SE_SF_SG_EUlST_E1_NS1_11comp_targetILNS1_3genE0ELNS1_11target_archE4294967295ELNS1_3gpuE0ELNS1_3repE0EEENS1_36merge_oddeven_config_static_selectorELNS0_4arch9wavefront6targetE0EEEvSF_.has_indirect_call, 0
	.section	.AMDGPU.csdata,"",@progbits
; Kernel info:
; codeLenInByte = 688
; TotalNumSgprs: 20
; NumVgprs: 8
; ScratchSize: 0
; MemoryBound: 0
; FloatMode: 240
; IeeeMode: 1
; LDSByteSize: 0 bytes/workgroup (compile time only)
; SGPRBlocks: 0
; VGPRBlocks: 0
; NumSGPRsForWavesPerEU: 20
; NumVGPRsForWavesPerEU: 8
; NamedBarCnt: 0
; Occupancy: 16
; WaveLimiterHint : 0
; COMPUTE_PGM_RSRC2:SCRATCH_EN: 0
; COMPUTE_PGM_RSRC2:USER_SGPR: 2
; COMPUTE_PGM_RSRC2:TRAP_HANDLER: 0
; COMPUTE_PGM_RSRC2:TGID_X_EN: 1
; COMPUTE_PGM_RSRC2:TGID_Y_EN: 0
; COMPUTE_PGM_RSRC2:TGID_Z_EN: 0
; COMPUTE_PGM_RSRC2:TIDIG_COMP_CNT: 0
	.section	.text._ZN7rocprim17ROCPRIM_400000_NS6detail17trampoline_kernelINS0_14default_configENS1_38merge_sort_block_merge_config_selectorItNS0_10empty_typeEEEZZNS1_27merge_sort_block_merge_implIS3_PtPS5_jNS1_19radix_merge_compareILb1ELb1EtNS0_19identity_decomposerEEEEE10hipError_tT0_T1_T2_jT3_P12ihipStream_tbPNSt15iterator_traitsISE_E10value_typeEPNSK_ISF_E10value_typeEPSG_NS1_7vsmem_tEENKUlT_SE_SF_SG_E_clIS8_S8_S9_S9_EESD_ST_SE_SF_SG_EUlST_E1_NS1_11comp_targetILNS1_3genE10ELNS1_11target_archE1201ELNS1_3gpuE5ELNS1_3repE0EEENS1_36merge_oddeven_config_static_selectorELNS0_4arch9wavefront6targetE0EEEvSF_,"axG",@progbits,_ZN7rocprim17ROCPRIM_400000_NS6detail17trampoline_kernelINS0_14default_configENS1_38merge_sort_block_merge_config_selectorItNS0_10empty_typeEEEZZNS1_27merge_sort_block_merge_implIS3_PtPS5_jNS1_19radix_merge_compareILb1ELb1EtNS0_19identity_decomposerEEEEE10hipError_tT0_T1_T2_jT3_P12ihipStream_tbPNSt15iterator_traitsISE_E10value_typeEPNSK_ISF_E10value_typeEPSG_NS1_7vsmem_tEENKUlT_SE_SF_SG_E_clIS8_S8_S9_S9_EESD_ST_SE_SF_SG_EUlST_E1_NS1_11comp_targetILNS1_3genE10ELNS1_11target_archE1201ELNS1_3gpuE5ELNS1_3repE0EEENS1_36merge_oddeven_config_static_selectorELNS0_4arch9wavefront6targetE0EEEvSF_,comdat
	.protected	_ZN7rocprim17ROCPRIM_400000_NS6detail17trampoline_kernelINS0_14default_configENS1_38merge_sort_block_merge_config_selectorItNS0_10empty_typeEEEZZNS1_27merge_sort_block_merge_implIS3_PtPS5_jNS1_19radix_merge_compareILb1ELb1EtNS0_19identity_decomposerEEEEE10hipError_tT0_T1_T2_jT3_P12ihipStream_tbPNSt15iterator_traitsISE_E10value_typeEPNSK_ISF_E10value_typeEPSG_NS1_7vsmem_tEENKUlT_SE_SF_SG_E_clIS8_S8_S9_S9_EESD_ST_SE_SF_SG_EUlST_E1_NS1_11comp_targetILNS1_3genE10ELNS1_11target_archE1201ELNS1_3gpuE5ELNS1_3repE0EEENS1_36merge_oddeven_config_static_selectorELNS0_4arch9wavefront6targetE0EEEvSF_ ; -- Begin function _ZN7rocprim17ROCPRIM_400000_NS6detail17trampoline_kernelINS0_14default_configENS1_38merge_sort_block_merge_config_selectorItNS0_10empty_typeEEEZZNS1_27merge_sort_block_merge_implIS3_PtPS5_jNS1_19radix_merge_compareILb1ELb1EtNS0_19identity_decomposerEEEEE10hipError_tT0_T1_T2_jT3_P12ihipStream_tbPNSt15iterator_traitsISE_E10value_typeEPNSK_ISF_E10value_typeEPSG_NS1_7vsmem_tEENKUlT_SE_SF_SG_E_clIS8_S8_S9_S9_EESD_ST_SE_SF_SG_EUlST_E1_NS1_11comp_targetILNS1_3genE10ELNS1_11target_archE1201ELNS1_3gpuE5ELNS1_3repE0EEENS1_36merge_oddeven_config_static_selectorELNS0_4arch9wavefront6targetE0EEEvSF_
	.globl	_ZN7rocprim17ROCPRIM_400000_NS6detail17trampoline_kernelINS0_14default_configENS1_38merge_sort_block_merge_config_selectorItNS0_10empty_typeEEEZZNS1_27merge_sort_block_merge_implIS3_PtPS5_jNS1_19radix_merge_compareILb1ELb1EtNS0_19identity_decomposerEEEEE10hipError_tT0_T1_T2_jT3_P12ihipStream_tbPNSt15iterator_traitsISE_E10value_typeEPNSK_ISF_E10value_typeEPSG_NS1_7vsmem_tEENKUlT_SE_SF_SG_E_clIS8_S8_S9_S9_EESD_ST_SE_SF_SG_EUlST_E1_NS1_11comp_targetILNS1_3genE10ELNS1_11target_archE1201ELNS1_3gpuE5ELNS1_3repE0EEENS1_36merge_oddeven_config_static_selectorELNS0_4arch9wavefront6targetE0EEEvSF_
	.p2align	8
	.type	_ZN7rocprim17ROCPRIM_400000_NS6detail17trampoline_kernelINS0_14default_configENS1_38merge_sort_block_merge_config_selectorItNS0_10empty_typeEEEZZNS1_27merge_sort_block_merge_implIS3_PtPS5_jNS1_19radix_merge_compareILb1ELb1EtNS0_19identity_decomposerEEEEE10hipError_tT0_T1_T2_jT3_P12ihipStream_tbPNSt15iterator_traitsISE_E10value_typeEPNSK_ISF_E10value_typeEPSG_NS1_7vsmem_tEENKUlT_SE_SF_SG_E_clIS8_S8_S9_S9_EESD_ST_SE_SF_SG_EUlST_E1_NS1_11comp_targetILNS1_3genE10ELNS1_11target_archE1201ELNS1_3gpuE5ELNS1_3repE0EEENS1_36merge_oddeven_config_static_selectorELNS0_4arch9wavefront6targetE0EEEvSF_,@function
_ZN7rocprim17ROCPRIM_400000_NS6detail17trampoline_kernelINS0_14default_configENS1_38merge_sort_block_merge_config_selectorItNS0_10empty_typeEEEZZNS1_27merge_sort_block_merge_implIS3_PtPS5_jNS1_19radix_merge_compareILb1ELb1EtNS0_19identity_decomposerEEEEE10hipError_tT0_T1_T2_jT3_P12ihipStream_tbPNSt15iterator_traitsISE_E10value_typeEPNSK_ISF_E10value_typeEPSG_NS1_7vsmem_tEENKUlT_SE_SF_SG_E_clIS8_S8_S9_S9_EESD_ST_SE_SF_SG_EUlST_E1_NS1_11comp_targetILNS1_3genE10ELNS1_11target_archE1201ELNS1_3gpuE5ELNS1_3repE0EEENS1_36merge_oddeven_config_static_selectorELNS0_4arch9wavefront6targetE0EEEvSF_: ; @_ZN7rocprim17ROCPRIM_400000_NS6detail17trampoline_kernelINS0_14default_configENS1_38merge_sort_block_merge_config_selectorItNS0_10empty_typeEEEZZNS1_27merge_sort_block_merge_implIS3_PtPS5_jNS1_19radix_merge_compareILb1ELb1EtNS0_19identity_decomposerEEEEE10hipError_tT0_T1_T2_jT3_P12ihipStream_tbPNSt15iterator_traitsISE_E10value_typeEPNSK_ISF_E10value_typeEPSG_NS1_7vsmem_tEENKUlT_SE_SF_SG_E_clIS8_S8_S9_S9_EESD_ST_SE_SF_SG_EUlST_E1_NS1_11comp_targetILNS1_3genE10ELNS1_11target_archE1201ELNS1_3gpuE5ELNS1_3repE0EEENS1_36merge_oddeven_config_static_selectorELNS0_4arch9wavefront6targetE0EEEvSF_
; %bb.0:
	.section	.rodata,"a",@progbits
	.p2align	6, 0x0
	.amdhsa_kernel _ZN7rocprim17ROCPRIM_400000_NS6detail17trampoline_kernelINS0_14default_configENS1_38merge_sort_block_merge_config_selectorItNS0_10empty_typeEEEZZNS1_27merge_sort_block_merge_implIS3_PtPS5_jNS1_19radix_merge_compareILb1ELb1EtNS0_19identity_decomposerEEEEE10hipError_tT0_T1_T2_jT3_P12ihipStream_tbPNSt15iterator_traitsISE_E10value_typeEPNSK_ISF_E10value_typeEPSG_NS1_7vsmem_tEENKUlT_SE_SF_SG_E_clIS8_S8_S9_S9_EESD_ST_SE_SF_SG_EUlST_E1_NS1_11comp_targetILNS1_3genE10ELNS1_11target_archE1201ELNS1_3gpuE5ELNS1_3repE0EEENS1_36merge_oddeven_config_static_selectorELNS0_4arch9wavefront6targetE0EEEvSF_
		.amdhsa_group_segment_fixed_size 0
		.amdhsa_private_segment_fixed_size 0
		.amdhsa_kernarg_size 48
		.amdhsa_user_sgpr_count 2
		.amdhsa_user_sgpr_dispatch_ptr 0
		.amdhsa_user_sgpr_queue_ptr 0
		.amdhsa_user_sgpr_kernarg_segment_ptr 1
		.amdhsa_user_sgpr_dispatch_id 0
		.amdhsa_user_sgpr_kernarg_preload_length 0
		.amdhsa_user_sgpr_kernarg_preload_offset 0
		.amdhsa_user_sgpr_private_segment_size 0
		.amdhsa_wavefront_size32 1
		.amdhsa_uses_dynamic_stack 0
		.amdhsa_enable_private_segment 0
		.amdhsa_system_sgpr_workgroup_id_x 1
		.amdhsa_system_sgpr_workgroup_id_y 0
		.amdhsa_system_sgpr_workgroup_id_z 0
		.amdhsa_system_sgpr_workgroup_info 0
		.amdhsa_system_vgpr_workitem_id 0
		.amdhsa_next_free_vgpr 1
		.amdhsa_next_free_sgpr 1
		.amdhsa_named_barrier_count 0
		.amdhsa_reserve_vcc 0
		.amdhsa_float_round_mode_32 0
		.amdhsa_float_round_mode_16_64 0
		.amdhsa_float_denorm_mode_32 3
		.amdhsa_float_denorm_mode_16_64 3
		.amdhsa_fp16_overflow 0
		.amdhsa_memory_ordered 1
		.amdhsa_forward_progress 1
		.amdhsa_inst_pref_size 0
		.amdhsa_round_robin_scheduling 0
		.amdhsa_exception_fp_ieee_invalid_op 0
		.amdhsa_exception_fp_denorm_src 0
		.amdhsa_exception_fp_ieee_div_zero 0
		.amdhsa_exception_fp_ieee_overflow 0
		.amdhsa_exception_fp_ieee_underflow 0
		.amdhsa_exception_fp_ieee_inexact 0
		.amdhsa_exception_int_div_zero 0
	.end_amdhsa_kernel
	.section	.text._ZN7rocprim17ROCPRIM_400000_NS6detail17trampoline_kernelINS0_14default_configENS1_38merge_sort_block_merge_config_selectorItNS0_10empty_typeEEEZZNS1_27merge_sort_block_merge_implIS3_PtPS5_jNS1_19radix_merge_compareILb1ELb1EtNS0_19identity_decomposerEEEEE10hipError_tT0_T1_T2_jT3_P12ihipStream_tbPNSt15iterator_traitsISE_E10value_typeEPNSK_ISF_E10value_typeEPSG_NS1_7vsmem_tEENKUlT_SE_SF_SG_E_clIS8_S8_S9_S9_EESD_ST_SE_SF_SG_EUlST_E1_NS1_11comp_targetILNS1_3genE10ELNS1_11target_archE1201ELNS1_3gpuE5ELNS1_3repE0EEENS1_36merge_oddeven_config_static_selectorELNS0_4arch9wavefront6targetE0EEEvSF_,"axG",@progbits,_ZN7rocprim17ROCPRIM_400000_NS6detail17trampoline_kernelINS0_14default_configENS1_38merge_sort_block_merge_config_selectorItNS0_10empty_typeEEEZZNS1_27merge_sort_block_merge_implIS3_PtPS5_jNS1_19radix_merge_compareILb1ELb1EtNS0_19identity_decomposerEEEEE10hipError_tT0_T1_T2_jT3_P12ihipStream_tbPNSt15iterator_traitsISE_E10value_typeEPNSK_ISF_E10value_typeEPSG_NS1_7vsmem_tEENKUlT_SE_SF_SG_E_clIS8_S8_S9_S9_EESD_ST_SE_SF_SG_EUlST_E1_NS1_11comp_targetILNS1_3genE10ELNS1_11target_archE1201ELNS1_3gpuE5ELNS1_3repE0EEENS1_36merge_oddeven_config_static_selectorELNS0_4arch9wavefront6targetE0EEEvSF_,comdat
.Lfunc_end2353:
	.size	_ZN7rocprim17ROCPRIM_400000_NS6detail17trampoline_kernelINS0_14default_configENS1_38merge_sort_block_merge_config_selectorItNS0_10empty_typeEEEZZNS1_27merge_sort_block_merge_implIS3_PtPS5_jNS1_19radix_merge_compareILb1ELb1EtNS0_19identity_decomposerEEEEE10hipError_tT0_T1_T2_jT3_P12ihipStream_tbPNSt15iterator_traitsISE_E10value_typeEPNSK_ISF_E10value_typeEPSG_NS1_7vsmem_tEENKUlT_SE_SF_SG_E_clIS8_S8_S9_S9_EESD_ST_SE_SF_SG_EUlST_E1_NS1_11comp_targetILNS1_3genE10ELNS1_11target_archE1201ELNS1_3gpuE5ELNS1_3repE0EEENS1_36merge_oddeven_config_static_selectorELNS0_4arch9wavefront6targetE0EEEvSF_, .Lfunc_end2353-_ZN7rocprim17ROCPRIM_400000_NS6detail17trampoline_kernelINS0_14default_configENS1_38merge_sort_block_merge_config_selectorItNS0_10empty_typeEEEZZNS1_27merge_sort_block_merge_implIS3_PtPS5_jNS1_19radix_merge_compareILb1ELb1EtNS0_19identity_decomposerEEEEE10hipError_tT0_T1_T2_jT3_P12ihipStream_tbPNSt15iterator_traitsISE_E10value_typeEPNSK_ISF_E10value_typeEPSG_NS1_7vsmem_tEENKUlT_SE_SF_SG_E_clIS8_S8_S9_S9_EESD_ST_SE_SF_SG_EUlST_E1_NS1_11comp_targetILNS1_3genE10ELNS1_11target_archE1201ELNS1_3gpuE5ELNS1_3repE0EEENS1_36merge_oddeven_config_static_selectorELNS0_4arch9wavefront6targetE0EEEvSF_
                                        ; -- End function
	.set _ZN7rocprim17ROCPRIM_400000_NS6detail17trampoline_kernelINS0_14default_configENS1_38merge_sort_block_merge_config_selectorItNS0_10empty_typeEEEZZNS1_27merge_sort_block_merge_implIS3_PtPS5_jNS1_19radix_merge_compareILb1ELb1EtNS0_19identity_decomposerEEEEE10hipError_tT0_T1_T2_jT3_P12ihipStream_tbPNSt15iterator_traitsISE_E10value_typeEPNSK_ISF_E10value_typeEPSG_NS1_7vsmem_tEENKUlT_SE_SF_SG_E_clIS8_S8_S9_S9_EESD_ST_SE_SF_SG_EUlST_E1_NS1_11comp_targetILNS1_3genE10ELNS1_11target_archE1201ELNS1_3gpuE5ELNS1_3repE0EEENS1_36merge_oddeven_config_static_selectorELNS0_4arch9wavefront6targetE0EEEvSF_.num_vgpr, 0
	.set _ZN7rocprim17ROCPRIM_400000_NS6detail17trampoline_kernelINS0_14default_configENS1_38merge_sort_block_merge_config_selectorItNS0_10empty_typeEEEZZNS1_27merge_sort_block_merge_implIS3_PtPS5_jNS1_19radix_merge_compareILb1ELb1EtNS0_19identity_decomposerEEEEE10hipError_tT0_T1_T2_jT3_P12ihipStream_tbPNSt15iterator_traitsISE_E10value_typeEPNSK_ISF_E10value_typeEPSG_NS1_7vsmem_tEENKUlT_SE_SF_SG_E_clIS8_S8_S9_S9_EESD_ST_SE_SF_SG_EUlST_E1_NS1_11comp_targetILNS1_3genE10ELNS1_11target_archE1201ELNS1_3gpuE5ELNS1_3repE0EEENS1_36merge_oddeven_config_static_selectorELNS0_4arch9wavefront6targetE0EEEvSF_.num_agpr, 0
	.set _ZN7rocprim17ROCPRIM_400000_NS6detail17trampoline_kernelINS0_14default_configENS1_38merge_sort_block_merge_config_selectorItNS0_10empty_typeEEEZZNS1_27merge_sort_block_merge_implIS3_PtPS5_jNS1_19radix_merge_compareILb1ELb1EtNS0_19identity_decomposerEEEEE10hipError_tT0_T1_T2_jT3_P12ihipStream_tbPNSt15iterator_traitsISE_E10value_typeEPNSK_ISF_E10value_typeEPSG_NS1_7vsmem_tEENKUlT_SE_SF_SG_E_clIS8_S8_S9_S9_EESD_ST_SE_SF_SG_EUlST_E1_NS1_11comp_targetILNS1_3genE10ELNS1_11target_archE1201ELNS1_3gpuE5ELNS1_3repE0EEENS1_36merge_oddeven_config_static_selectorELNS0_4arch9wavefront6targetE0EEEvSF_.numbered_sgpr, 0
	.set _ZN7rocprim17ROCPRIM_400000_NS6detail17trampoline_kernelINS0_14default_configENS1_38merge_sort_block_merge_config_selectorItNS0_10empty_typeEEEZZNS1_27merge_sort_block_merge_implIS3_PtPS5_jNS1_19radix_merge_compareILb1ELb1EtNS0_19identity_decomposerEEEEE10hipError_tT0_T1_T2_jT3_P12ihipStream_tbPNSt15iterator_traitsISE_E10value_typeEPNSK_ISF_E10value_typeEPSG_NS1_7vsmem_tEENKUlT_SE_SF_SG_E_clIS8_S8_S9_S9_EESD_ST_SE_SF_SG_EUlST_E1_NS1_11comp_targetILNS1_3genE10ELNS1_11target_archE1201ELNS1_3gpuE5ELNS1_3repE0EEENS1_36merge_oddeven_config_static_selectorELNS0_4arch9wavefront6targetE0EEEvSF_.num_named_barrier, 0
	.set _ZN7rocprim17ROCPRIM_400000_NS6detail17trampoline_kernelINS0_14default_configENS1_38merge_sort_block_merge_config_selectorItNS0_10empty_typeEEEZZNS1_27merge_sort_block_merge_implIS3_PtPS5_jNS1_19radix_merge_compareILb1ELb1EtNS0_19identity_decomposerEEEEE10hipError_tT0_T1_T2_jT3_P12ihipStream_tbPNSt15iterator_traitsISE_E10value_typeEPNSK_ISF_E10value_typeEPSG_NS1_7vsmem_tEENKUlT_SE_SF_SG_E_clIS8_S8_S9_S9_EESD_ST_SE_SF_SG_EUlST_E1_NS1_11comp_targetILNS1_3genE10ELNS1_11target_archE1201ELNS1_3gpuE5ELNS1_3repE0EEENS1_36merge_oddeven_config_static_selectorELNS0_4arch9wavefront6targetE0EEEvSF_.private_seg_size, 0
	.set _ZN7rocprim17ROCPRIM_400000_NS6detail17trampoline_kernelINS0_14default_configENS1_38merge_sort_block_merge_config_selectorItNS0_10empty_typeEEEZZNS1_27merge_sort_block_merge_implIS3_PtPS5_jNS1_19radix_merge_compareILb1ELb1EtNS0_19identity_decomposerEEEEE10hipError_tT0_T1_T2_jT3_P12ihipStream_tbPNSt15iterator_traitsISE_E10value_typeEPNSK_ISF_E10value_typeEPSG_NS1_7vsmem_tEENKUlT_SE_SF_SG_E_clIS8_S8_S9_S9_EESD_ST_SE_SF_SG_EUlST_E1_NS1_11comp_targetILNS1_3genE10ELNS1_11target_archE1201ELNS1_3gpuE5ELNS1_3repE0EEENS1_36merge_oddeven_config_static_selectorELNS0_4arch9wavefront6targetE0EEEvSF_.uses_vcc, 0
	.set _ZN7rocprim17ROCPRIM_400000_NS6detail17trampoline_kernelINS0_14default_configENS1_38merge_sort_block_merge_config_selectorItNS0_10empty_typeEEEZZNS1_27merge_sort_block_merge_implIS3_PtPS5_jNS1_19radix_merge_compareILb1ELb1EtNS0_19identity_decomposerEEEEE10hipError_tT0_T1_T2_jT3_P12ihipStream_tbPNSt15iterator_traitsISE_E10value_typeEPNSK_ISF_E10value_typeEPSG_NS1_7vsmem_tEENKUlT_SE_SF_SG_E_clIS8_S8_S9_S9_EESD_ST_SE_SF_SG_EUlST_E1_NS1_11comp_targetILNS1_3genE10ELNS1_11target_archE1201ELNS1_3gpuE5ELNS1_3repE0EEENS1_36merge_oddeven_config_static_selectorELNS0_4arch9wavefront6targetE0EEEvSF_.uses_flat_scratch, 0
	.set _ZN7rocprim17ROCPRIM_400000_NS6detail17trampoline_kernelINS0_14default_configENS1_38merge_sort_block_merge_config_selectorItNS0_10empty_typeEEEZZNS1_27merge_sort_block_merge_implIS3_PtPS5_jNS1_19radix_merge_compareILb1ELb1EtNS0_19identity_decomposerEEEEE10hipError_tT0_T1_T2_jT3_P12ihipStream_tbPNSt15iterator_traitsISE_E10value_typeEPNSK_ISF_E10value_typeEPSG_NS1_7vsmem_tEENKUlT_SE_SF_SG_E_clIS8_S8_S9_S9_EESD_ST_SE_SF_SG_EUlST_E1_NS1_11comp_targetILNS1_3genE10ELNS1_11target_archE1201ELNS1_3gpuE5ELNS1_3repE0EEENS1_36merge_oddeven_config_static_selectorELNS0_4arch9wavefront6targetE0EEEvSF_.has_dyn_sized_stack, 0
	.set _ZN7rocprim17ROCPRIM_400000_NS6detail17trampoline_kernelINS0_14default_configENS1_38merge_sort_block_merge_config_selectorItNS0_10empty_typeEEEZZNS1_27merge_sort_block_merge_implIS3_PtPS5_jNS1_19radix_merge_compareILb1ELb1EtNS0_19identity_decomposerEEEEE10hipError_tT0_T1_T2_jT3_P12ihipStream_tbPNSt15iterator_traitsISE_E10value_typeEPNSK_ISF_E10value_typeEPSG_NS1_7vsmem_tEENKUlT_SE_SF_SG_E_clIS8_S8_S9_S9_EESD_ST_SE_SF_SG_EUlST_E1_NS1_11comp_targetILNS1_3genE10ELNS1_11target_archE1201ELNS1_3gpuE5ELNS1_3repE0EEENS1_36merge_oddeven_config_static_selectorELNS0_4arch9wavefront6targetE0EEEvSF_.has_recursion, 0
	.set _ZN7rocprim17ROCPRIM_400000_NS6detail17trampoline_kernelINS0_14default_configENS1_38merge_sort_block_merge_config_selectorItNS0_10empty_typeEEEZZNS1_27merge_sort_block_merge_implIS3_PtPS5_jNS1_19radix_merge_compareILb1ELb1EtNS0_19identity_decomposerEEEEE10hipError_tT0_T1_T2_jT3_P12ihipStream_tbPNSt15iterator_traitsISE_E10value_typeEPNSK_ISF_E10value_typeEPSG_NS1_7vsmem_tEENKUlT_SE_SF_SG_E_clIS8_S8_S9_S9_EESD_ST_SE_SF_SG_EUlST_E1_NS1_11comp_targetILNS1_3genE10ELNS1_11target_archE1201ELNS1_3gpuE5ELNS1_3repE0EEENS1_36merge_oddeven_config_static_selectorELNS0_4arch9wavefront6targetE0EEEvSF_.has_indirect_call, 0
	.section	.AMDGPU.csdata,"",@progbits
; Kernel info:
; codeLenInByte = 0
; TotalNumSgprs: 0
; NumVgprs: 0
; ScratchSize: 0
; MemoryBound: 0
; FloatMode: 240
; IeeeMode: 1
; LDSByteSize: 0 bytes/workgroup (compile time only)
; SGPRBlocks: 0
; VGPRBlocks: 0
; NumSGPRsForWavesPerEU: 1
; NumVGPRsForWavesPerEU: 1
; NamedBarCnt: 0
; Occupancy: 16
; WaveLimiterHint : 0
; COMPUTE_PGM_RSRC2:SCRATCH_EN: 0
; COMPUTE_PGM_RSRC2:USER_SGPR: 2
; COMPUTE_PGM_RSRC2:TRAP_HANDLER: 0
; COMPUTE_PGM_RSRC2:TGID_X_EN: 1
; COMPUTE_PGM_RSRC2:TGID_Y_EN: 0
; COMPUTE_PGM_RSRC2:TGID_Z_EN: 0
; COMPUTE_PGM_RSRC2:TIDIG_COMP_CNT: 0
	.section	.text._ZN7rocprim17ROCPRIM_400000_NS6detail17trampoline_kernelINS0_14default_configENS1_38merge_sort_block_merge_config_selectorItNS0_10empty_typeEEEZZNS1_27merge_sort_block_merge_implIS3_PtPS5_jNS1_19radix_merge_compareILb1ELb1EtNS0_19identity_decomposerEEEEE10hipError_tT0_T1_T2_jT3_P12ihipStream_tbPNSt15iterator_traitsISE_E10value_typeEPNSK_ISF_E10value_typeEPSG_NS1_7vsmem_tEENKUlT_SE_SF_SG_E_clIS8_S8_S9_S9_EESD_ST_SE_SF_SG_EUlST_E1_NS1_11comp_targetILNS1_3genE5ELNS1_11target_archE942ELNS1_3gpuE9ELNS1_3repE0EEENS1_36merge_oddeven_config_static_selectorELNS0_4arch9wavefront6targetE0EEEvSF_,"axG",@progbits,_ZN7rocprim17ROCPRIM_400000_NS6detail17trampoline_kernelINS0_14default_configENS1_38merge_sort_block_merge_config_selectorItNS0_10empty_typeEEEZZNS1_27merge_sort_block_merge_implIS3_PtPS5_jNS1_19radix_merge_compareILb1ELb1EtNS0_19identity_decomposerEEEEE10hipError_tT0_T1_T2_jT3_P12ihipStream_tbPNSt15iterator_traitsISE_E10value_typeEPNSK_ISF_E10value_typeEPSG_NS1_7vsmem_tEENKUlT_SE_SF_SG_E_clIS8_S8_S9_S9_EESD_ST_SE_SF_SG_EUlST_E1_NS1_11comp_targetILNS1_3genE5ELNS1_11target_archE942ELNS1_3gpuE9ELNS1_3repE0EEENS1_36merge_oddeven_config_static_selectorELNS0_4arch9wavefront6targetE0EEEvSF_,comdat
	.protected	_ZN7rocprim17ROCPRIM_400000_NS6detail17trampoline_kernelINS0_14default_configENS1_38merge_sort_block_merge_config_selectorItNS0_10empty_typeEEEZZNS1_27merge_sort_block_merge_implIS3_PtPS5_jNS1_19radix_merge_compareILb1ELb1EtNS0_19identity_decomposerEEEEE10hipError_tT0_T1_T2_jT3_P12ihipStream_tbPNSt15iterator_traitsISE_E10value_typeEPNSK_ISF_E10value_typeEPSG_NS1_7vsmem_tEENKUlT_SE_SF_SG_E_clIS8_S8_S9_S9_EESD_ST_SE_SF_SG_EUlST_E1_NS1_11comp_targetILNS1_3genE5ELNS1_11target_archE942ELNS1_3gpuE9ELNS1_3repE0EEENS1_36merge_oddeven_config_static_selectorELNS0_4arch9wavefront6targetE0EEEvSF_ ; -- Begin function _ZN7rocprim17ROCPRIM_400000_NS6detail17trampoline_kernelINS0_14default_configENS1_38merge_sort_block_merge_config_selectorItNS0_10empty_typeEEEZZNS1_27merge_sort_block_merge_implIS3_PtPS5_jNS1_19radix_merge_compareILb1ELb1EtNS0_19identity_decomposerEEEEE10hipError_tT0_T1_T2_jT3_P12ihipStream_tbPNSt15iterator_traitsISE_E10value_typeEPNSK_ISF_E10value_typeEPSG_NS1_7vsmem_tEENKUlT_SE_SF_SG_E_clIS8_S8_S9_S9_EESD_ST_SE_SF_SG_EUlST_E1_NS1_11comp_targetILNS1_3genE5ELNS1_11target_archE942ELNS1_3gpuE9ELNS1_3repE0EEENS1_36merge_oddeven_config_static_selectorELNS0_4arch9wavefront6targetE0EEEvSF_
	.globl	_ZN7rocprim17ROCPRIM_400000_NS6detail17trampoline_kernelINS0_14default_configENS1_38merge_sort_block_merge_config_selectorItNS0_10empty_typeEEEZZNS1_27merge_sort_block_merge_implIS3_PtPS5_jNS1_19radix_merge_compareILb1ELb1EtNS0_19identity_decomposerEEEEE10hipError_tT0_T1_T2_jT3_P12ihipStream_tbPNSt15iterator_traitsISE_E10value_typeEPNSK_ISF_E10value_typeEPSG_NS1_7vsmem_tEENKUlT_SE_SF_SG_E_clIS8_S8_S9_S9_EESD_ST_SE_SF_SG_EUlST_E1_NS1_11comp_targetILNS1_3genE5ELNS1_11target_archE942ELNS1_3gpuE9ELNS1_3repE0EEENS1_36merge_oddeven_config_static_selectorELNS0_4arch9wavefront6targetE0EEEvSF_
	.p2align	8
	.type	_ZN7rocprim17ROCPRIM_400000_NS6detail17trampoline_kernelINS0_14default_configENS1_38merge_sort_block_merge_config_selectorItNS0_10empty_typeEEEZZNS1_27merge_sort_block_merge_implIS3_PtPS5_jNS1_19radix_merge_compareILb1ELb1EtNS0_19identity_decomposerEEEEE10hipError_tT0_T1_T2_jT3_P12ihipStream_tbPNSt15iterator_traitsISE_E10value_typeEPNSK_ISF_E10value_typeEPSG_NS1_7vsmem_tEENKUlT_SE_SF_SG_E_clIS8_S8_S9_S9_EESD_ST_SE_SF_SG_EUlST_E1_NS1_11comp_targetILNS1_3genE5ELNS1_11target_archE942ELNS1_3gpuE9ELNS1_3repE0EEENS1_36merge_oddeven_config_static_selectorELNS0_4arch9wavefront6targetE0EEEvSF_,@function
_ZN7rocprim17ROCPRIM_400000_NS6detail17trampoline_kernelINS0_14default_configENS1_38merge_sort_block_merge_config_selectorItNS0_10empty_typeEEEZZNS1_27merge_sort_block_merge_implIS3_PtPS5_jNS1_19radix_merge_compareILb1ELb1EtNS0_19identity_decomposerEEEEE10hipError_tT0_T1_T2_jT3_P12ihipStream_tbPNSt15iterator_traitsISE_E10value_typeEPNSK_ISF_E10value_typeEPSG_NS1_7vsmem_tEENKUlT_SE_SF_SG_E_clIS8_S8_S9_S9_EESD_ST_SE_SF_SG_EUlST_E1_NS1_11comp_targetILNS1_3genE5ELNS1_11target_archE942ELNS1_3gpuE9ELNS1_3repE0EEENS1_36merge_oddeven_config_static_selectorELNS0_4arch9wavefront6targetE0EEEvSF_: ; @_ZN7rocprim17ROCPRIM_400000_NS6detail17trampoline_kernelINS0_14default_configENS1_38merge_sort_block_merge_config_selectorItNS0_10empty_typeEEEZZNS1_27merge_sort_block_merge_implIS3_PtPS5_jNS1_19radix_merge_compareILb1ELb1EtNS0_19identity_decomposerEEEEE10hipError_tT0_T1_T2_jT3_P12ihipStream_tbPNSt15iterator_traitsISE_E10value_typeEPNSK_ISF_E10value_typeEPSG_NS1_7vsmem_tEENKUlT_SE_SF_SG_E_clIS8_S8_S9_S9_EESD_ST_SE_SF_SG_EUlST_E1_NS1_11comp_targetILNS1_3genE5ELNS1_11target_archE942ELNS1_3gpuE9ELNS1_3repE0EEENS1_36merge_oddeven_config_static_selectorELNS0_4arch9wavefront6targetE0EEEvSF_
; %bb.0:
	.section	.rodata,"a",@progbits
	.p2align	6, 0x0
	.amdhsa_kernel _ZN7rocprim17ROCPRIM_400000_NS6detail17trampoline_kernelINS0_14default_configENS1_38merge_sort_block_merge_config_selectorItNS0_10empty_typeEEEZZNS1_27merge_sort_block_merge_implIS3_PtPS5_jNS1_19radix_merge_compareILb1ELb1EtNS0_19identity_decomposerEEEEE10hipError_tT0_T1_T2_jT3_P12ihipStream_tbPNSt15iterator_traitsISE_E10value_typeEPNSK_ISF_E10value_typeEPSG_NS1_7vsmem_tEENKUlT_SE_SF_SG_E_clIS8_S8_S9_S9_EESD_ST_SE_SF_SG_EUlST_E1_NS1_11comp_targetILNS1_3genE5ELNS1_11target_archE942ELNS1_3gpuE9ELNS1_3repE0EEENS1_36merge_oddeven_config_static_selectorELNS0_4arch9wavefront6targetE0EEEvSF_
		.amdhsa_group_segment_fixed_size 0
		.amdhsa_private_segment_fixed_size 0
		.amdhsa_kernarg_size 48
		.amdhsa_user_sgpr_count 2
		.amdhsa_user_sgpr_dispatch_ptr 0
		.amdhsa_user_sgpr_queue_ptr 0
		.amdhsa_user_sgpr_kernarg_segment_ptr 1
		.amdhsa_user_sgpr_dispatch_id 0
		.amdhsa_user_sgpr_kernarg_preload_length 0
		.amdhsa_user_sgpr_kernarg_preload_offset 0
		.amdhsa_user_sgpr_private_segment_size 0
		.amdhsa_wavefront_size32 1
		.amdhsa_uses_dynamic_stack 0
		.amdhsa_enable_private_segment 0
		.amdhsa_system_sgpr_workgroup_id_x 1
		.amdhsa_system_sgpr_workgroup_id_y 0
		.amdhsa_system_sgpr_workgroup_id_z 0
		.amdhsa_system_sgpr_workgroup_info 0
		.amdhsa_system_vgpr_workitem_id 0
		.amdhsa_next_free_vgpr 1
		.amdhsa_next_free_sgpr 1
		.amdhsa_named_barrier_count 0
		.amdhsa_reserve_vcc 0
		.amdhsa_float_round_mode_32 0
		.amdhsa_float_round_mode_16_64 0
		.amdhsa_float_denorm_mode_32 3
		.amdhsa_float_denorm_mode_16_64 3
		.amdhsa_fp16_overflow 0
		.amdhsa_memory_ordered 1
		.amdhsa_forward_progress 1
		.amdhsa_inst_pref_size 0
		.amdhsa_round_robin_scheduling 0
		.amdhsa_exception_fp_ieee_invalid_op 0
		.amdhsa_exception_fp_denorm_src 0
		.amdhsa_exception_fp_ieee_div_zero 0
		.amdhsa_exception_fp_ieee_overflow 0
		.amdhsa_exception_fp_ieee_underflow 0
		.amdhsa_exception_fp_ieee_inexact 0
		.amdhsa_exception_int_div_zero 0
	.end_amdhsa_kernel
	.section	.text._ZN7rocprim17ROCPRIM_400000_NS6detail17trampoline_kernelINS0_14default_configENS1_38merge_sort_block_merge_config_selectorItNS0_10empty_typeEEEZZNS1_27merge_sort_block_merge_implIS3_PtPS5_jNS1_19radix_merge_compareILb1ELb1EtNS0_19identity_decomposerEEEEE10hipError_tT0_T1_T2_jT3_P12ihipStream_tbPNSt15iterator_traitsISE_E10value_typeEPNSK_ISF_E10value_typeEPSG_NS1_7vsmem_tEENKUlT_SE_SF_SG_E_clIS8_S8_S9_S9_EESD_ST_SE_SF_SG_EUlST_E1_NS1_11comp_targetILNS1_3genE5ELNS1_11target_archE942ELNS1_3gpuE9ELNS1_3repE0EEENS1_36merge_oddeven_config_static_selectorELNS0_4arch9wavefront6targetE0EEEvSF_,"axG",@progbits,_ZN7rocprim17ROCPRIM_400000_NS6detail17trampoline_kernelINS0_14default_configENS1_38merge_sort_block_merge_config_selectorItNS0_10empty_typeEEEZZNS1_27merge_sort_block_merge_implIS3_PtPS5_jNS1_19radix_merge_compareILb1ELb1EtNS0_19identity_decomposerEEEEE10hipError_tT0_T1_T2_jT3_P12ihipStream_tbPNSt15iterator_traitsISE_E10value_typeEPNSK_ISF_E10value_typeEPSG_NS1_7vsmem_tEENKUlT_SE_SF_SG_E_clIS8_S8_S9_S9_EESD_ST_SE_SF_SG_EUlST_E1_NS1_11comp_targetILNS1_3genE5ELNS1_11target_archE942ELNS1_3gpuE9ELNS1_3repE0EEENS1_36merge_oddeven_config_static_selectorELNS0_4arch9wavefront6targetE0EEEvSF_,comdat
.Lfunc_end2354:
	.size	_ZN7rocprim17ROCPRIM_400000_NS6detail17trampoline_kernelINS0_14default_configENS1_38merge_sort_block_merge_config_selectorItNS0_10empty_typeEEEZZNS1_27merge_sort_block_merge_implIS3_PtPS5_jNS1_19radix_merge_compareILb1ELb1EtNS0_19identity_decomposerEEEEE10hipError_tT0_T1_T2_jT3_P12ihipStream_tbPNSt15iterator_traitsISE_E10value_typeEPNSK_ISF_E10value_typeEPSG_NS1_7vsmem_tEENKUlT_SE_SF_SG_E_clIS8_S8_S9_S9_EESD_ST_SE_SF_SG_EUlST_E1_NS1_11comp_targetILNS1_3genE5ELNS1_11target_archE942ELNS1_3gpuE9ELNS1_3repE0EEENS1_36merge_oddeven_config_static_selectorELNS0_4arch9wavefront6targetE0EEEvSF_, .Lfunc_end2354-_ZN7rocprim17ROCPRIM_400000_NS6detail17trampoline_kernelINS0_14default_configENS1_38merge_sort_block_merge_config_selectorItNS0_10empty_typeEEEZZNS1_27merge_sort_block_merge_implIS3_PtPS5_jNS1_19radix_merge_compareILb1ELb1EtNS0_19identity_decomposerEEEEE10hipError_tT0_T1_T2_jT3_P12ihipStream_tbPNSt15iterator_traitsISE_E10value_typeEPNSK_ISF_E10value_typeEPSG_NS1_7vsmem_tEENKUlT_SE_SF_SG_E_clIS8_S8_S9_S9_EESD_ST_SE_SF_SG_EUlST_E1_NS1_11comp_targetILNS1_3genE5ELNS1_11target_archE942ELNS1_3gpuE9ELNS1_3repE0EEENS1_36merge_oddeven_config_static_selectorELNS0_4arch9wavefront6targetE0EEEvSF_
                                        ; -- End function
	.set _ZN7rocprim17ROCPRIM_400000_NS6detail17trampoline_kernelINS0_14default_configENS1_38merge_sort_block_merge_config_selectorItNS0_10empty_typeEEEZZNS1_27merge_sort_block_merge_implIS3_PtPS5_jNS1_19radix_merge_compareILb1ELb1EtNS0_19identity_decomposerEEEEE10hipError_tT0_T1_T2_jT3_P12ihipStream_tbPNSt15iterator_traitsISE_E10value_typeEPNSK_ISF_E10value_typeEPSG_NS1_7vsmem_tEENKUlT_SE_SF_SG_E_clIS8_S8_S9_S9_EESD_ST_SE_SF_SG_EUlST_E1_NS1_11comp_targetILNS1_3genE5ELNS1_11target_archE942ELNS1_3gpuE9ELNS1_3repE0EEENS1_36merge_oddeven_config_static_selectorELNS0_4arch9wavefront6targetE0EEEvSF_.num_vgpr, 0
	.set _ZN7rocprim17ROCPRIM_400000_NS6detail17trampoline_kernelINS0_14default_configENS1_38merge_sort_block_merge_config_selectorItNS0_10empty_typeEEEZZNS1_27merge_sort_block_merge_implIS3_PtPS5_jNS1_19radix_merge_compareILb1ELb1EtNS0_19identity_decomposerEEEEE10hipError_tT0_T1_T2_jT3_P12ihipStream_tbPNSt15iterator_traitsISE_E10value_typeEPNSK_ISF_E10value_typeEPSG_NS1_7vsmem_tEENKUlT_SE_SF_SG_E_clIS8_S8_S9_S9_EESD_ST_SE_SF_SG_EUlST_E1_NS1_11comp_targetILNS1_3genE5ELNS1_11target_archE942ELNS1_3gpuE9ELNS1_3repE0EEENS1_36merge_oddeven_config_static_selectorELNS0_4arch9wavefront6targetE0EEEvSF_.num_agpr, 0
	.set _ZN7rocprim17ROCPRIM_400000_NS6detail17trampoline_kernelINS0_14default_configENS1_38merge_sort_block_merge_config_selectorItNS0_10empty_typeEEEZZNS1_27merge_sort_block_merge_implIS3_PtPS5_jNS1_19radix_merge_compareILb1ELb1EtNS0_19identity_decomposerEEEEE10hipError_tT0_T1_T2_jT3_P12ihipStream_tbPNSt15iterator_traitsISE_E10value_typeEPNSK_ISF_E10value_typeEPSG_NS1_7vsmem_tEENKUlT_SE_SF_SG_E_clIS8_S8_S9_S9_EESD_ST_SE_SF_SG_EUlST_E1_NS1_11comp_targetILNS1_3genE5ELNS1_11target_archE942ELNS1_3gpuE9ELNS1_3repE0EEENS1_36merge_oddeven_config_static_selectorELNS0_4arch9wavefront6targetE0EEEvSF_.numbered_sgpr, 0
	.set _ZN7rocprim17ROCPRIM_400000_NS6detail17trampoline_kernelINS0_14default_configENS1_38merge_sort_block_merge_config_selectorItNS0_10empty_typeEEEZZNS1_27merge_sort_block_merge_implIS3_PtPS5_jNS1_19radix_merge_compareILb1ELb1EtNS0_19identity_decomposerEEEEE10hipError_tT0_T1_T2_jT3_P12ihipStream_tbPNSt15iterator_traitsISE_E10value_typeEPNSK_ISF_E10value_typeEPSG_NS1_7vsmem_tEENKUlT_SE_SF_SG_E_clIS8_S8_S9_S9_EESD_ST_SE_SF_SG_EUlST_E1_NS1_11comp_targetILNS1_3genE5ELNS1_11target_archE942ELNS1_3gpuE9ELNS1_3repE0EEENS1_36merge_oddeven_config_static_selectorELNS0_4arch9wavefront6targetE0EEEvSF_.num_named_barrier, 0
	.set _ZN7rocprim17ROCPRIM_400000_NS6detail17trampoline_kernelINS0_14default_configENS1_38merge_sort_block_merge_config_selectorItNS0_10empty_typeEEEZZNS1_27merge_sort_block_merge_implIS3_PtPS5_jNS1_19radix_merge_compareILb1ELb1EtNS0_19identity_decomposerEEEEE10hipError_tT0_T1_T2_jT3_P12ihipStream_tbPNSt15iterator_traitsISE_E10value_typeEPNSK_ISF_E10value_typeEPSG_NS1_7vsmem_tEENKUlT_SE_SF_SG_E_clIS8_S8_S9_S9_EESD_ST_SE_SF_SG_EUlST_E1_NS1_11comp_targetILNS1_3genE5ELNS1_11target_archE942ELNS1_3gpuE9ELNS1_3repE0EEENS1_36merge_oddeven_config_static_selectorELNS0_4arch9wavefront6targetE0EEEvSF_.private_seg_size, 0
	.set _ZN7rocprim17ROCPRIM_400000_NS6detail17trampoline_kernelINS0_14default_configENS1_38merge_sort_block_merge_config_selectorItNS0_10empty_typeEEEZZNS1_27merge_sort_block_merge_implIS3_PtPS5_jNS1_19radix_merge_compareILb1ELb1EtNS0_19identity_decomposerEEEEE10hipError_tT0_T1_T2_jT3_P12ihipStream_tbPNSt15iterator_traitsISE_E10value_typeEPNSK_ISF_E10value_typeEPSG_NS1_7vsmem_tEENKUlT_SE_SF_SG_E_clIS8_S8_S9_S9_EESD_ST_SE_SF_SG_EUlST_E1_NS1_11comp_targetILNS1_3genE5ELNS1_11target_archE942ELNS1_3gpuE9ELNS1_3repE0EEENS1_36merge_oddeven_config_static_selectorELNS0_4arch9wavefront6targetE0EEEvSF_.uses_vcc, 0
	.set _ZN7rocprim17ROCPRIM_400000_NS6detail17trampoline_kernelINS0_14default_configENS1_38merge_sort_block_merge_config_selectorItNS0_10empty_typeEEEZZNS1_27merge_sort_block_merge_implIS3_PtPS5_jNS1_19radix_merge_compareILb1ELb1EtNS0_19identity_decomposerEEEEE10hipError_tT0_T1_T2_jT3_P12ihipStream_tbPNSt15iterator_traitsISE_E10value_typeEPNSK_ISF_E10value_typeEPSG_NS1_7vsmem_tEENKUlT_SE_SF_SG_E_clIS8_S8_S9_S9_EESD_ST_SE_SF_SG_EUlST_E1_NS1_11comp_targetILNS1_3genE5ELNS1_11target_archE942ELNS1_3gpuE9ELNS1_3repE0EEENS1_36merge_oddeven_config_static_selectorELNS0_4arch9wavefront6targetE0EEEvSF_.uses_flat_scratch, 0
	.set _ZN7rocprim17ROCPRIM_400000_NS6detail17trampoline_kernelINS0_14default_configENS1_38merge_sort_block_merge_config_selectorItNS0_10empty_typeEEEZZNS1_27merge_sort_block_merge_implIS3_PtPS5_jNS1_19radix_merge_compareILb1ELb1EtNS0_19identity_decomposerEEEEE10hipError_tT0_T1_T2_jT3_P12ihipStream_tbPNSt15iterator_traitsISE_E10value_typeEPNSK_ISF_E10value_typeEPSG_NS1_7vsmem_tEENKUlT_SE_SF_SG_E_clIS8_S8_S9_S9_EESD_ST_SE_SF_SG_EUlST_E1_NS1_11comp_targetILNS1_3genE5ELNS1_11target_archE942ELNS1_3gpuE9ELNS1_3repE0EEENS1_36merge_oddeven_config_static_selectorELNS0_4arch9wavefront6targetE0EEEvSF_.has_dyn_sized_stack, 0
	.set _ZN7rocprim17ROCPRIM_400000_NS6detail17trampoline_kernelINS0_14default_configENS1_38merge_sort_block_merge_config_selectorItNS0_10empty_typeEEEZZNS1_27merge_sort_block_merge_implIS3_PtPS5_jNS1_19radix_merge_compareILb1ELb1EtNS0_19identity_decomposerEEEEE10hipError_tT0_T1_T2_jT3_P12ihipStream_tbPNSt15iterator_traitsISE_E10value_typeEPNSK_ISF_E10value_typeEPSG_NS1_7vsmem_tEENKUlT_SE_SF_SG_E_clIS8_S8_S9_S9_EESD_ST_SE_SF_SG_EUlST_E1_NS1_11comp_targetILNS1_3genE5ELNS1_11target_archE942ELNS1_3gpuE9ELNS1_3repE0EEENS1_36merge_oddeven_config_static_selectorELNS0_4arch9wavefront6targetE0EEEvSF_.has_recursion, 0
	.set _ZN7rocprim17ROCPRIM_400000_NS6detail17trampoline_kernelINS0_14default_configENS1_38merge_sort_block_merge_config_selectorItNS0_10empty_typeEEEZZNS1_27merge_sort_block_merge_implIS3_PtPS5_jNS1_19radix_merge_compareILb1ELb1EtNS0_19identity_decomposerEEEEE10hipError_tT0_T1_T2_jT3_P12ihipStream_tbPNSt15iterator_traitsISE_E10value_typeEPNSK_ISF_E10value_typeEPSG_NS1_7vsmem_tEENKUlT_SE_SF_SG_E_clIS8_S8_S9_S9_EESD_ST_SE_SF_SG_EUlST_E1_NS1_11comp_targetILNS1_3genE5ELNS1_11target_archE942ELNS1_3gpuE9ELNS1_3repE0EEENS1_36merge_oddeven_config_static_selectorELNS0_4arch9wavefront6targetE0EEEvSF_.has_indirect_call, 0
	.section	.AMDGPU.csdata,"",@progbits
; Kernel info:
; codeLenInByte = 0
; TotalNumSgprs: 0
; NumVgprs: 0
; ScratchSize: 0
; MemoryBound: 0
; FloatMode: 240
; IeeeMode: 1
; LDSByteSize: 0 bytes/workgroup (compile time only)
; SGPRBlocks: 0
; VGPRBlocks: 0
; NumSGPRsForWavesPerEU: 1
; NumVGPRsForWavesPerEU: 1
; NamedBarCnt: 0
; Occupancy: 16
; WaveLimiterHint : 0
; COMPUTE_PGM_RSRC2:SCRATCH_EN: 0
; COMPUTE_PGM_RSRC2:USER_SGPR: 2
; COMPUTE_PGM_RSRC2:TRAP_HANDLER: 0
; COMPUTE_PGM_RSRC2:TGID_X_EN: 1
; COMPUTE_PGM_RSRC2:TGID_Y_EN: 0
; COMPUTE_PGM_RSRC2:TGID_Z_EN: 0
; COMPUTE_PGM_RSRC2:TIDIG_COMP_CNT: 0
	.section	.text._ZN7rocprim17ROCPRIM_400000_NS6detail17trampoline_kernelINS0_14default_configENS1_38merge_sort_block_merge_config_selectorItNS0_10empty_typeEEEZZNS1_27merge_sort_block_merge_implIS3_PtPS5_jNS1_19radix_merge_compareILb1ELb1EtNS0_19identity_decomposerEEEEE10hipError_tT0_T1_T2_jT3_P12ihipStream_tbPNSt15iterator_traitsISE_E10value_typeEPNSK_ISF_E10value_typeEPSG_NS1_7vsmem_tEENKUlT_SE_SF_SG_E_clIS8_S8_S9_S9_EESD_ST_SE_SF_SG_EUlST_E1_NS1_11comp_targetILNS1_3genE4ELNS1_11target_archE910ELNS1_3gpuE8ELNS1_3repE0EEENS1_36merge_oddeven_config_static_selectorELNS0_4arch9wavefront6targetE0EEEvSF_,"axG",@progbits,_ZN7rocprim17ROCPRIM_400000_NS6detail17trampoline_kernelINS0_14default_configENS1_38merge_sort_block_merge_config_selectorItNS0_10empty_typeEEEZZNS1_27merge_sort_block_merge_implIS3_PtPS5_jNS1_19radix_merge_compareILb1ELb1EtNS0_19identity_decomposerEEEEE10hipError_tT0_T1_T2_jT3_P12ihipStream_tbPNSt15iterator_traitsISE_E10value_typeEPNSK_ISF_E10value_typeEPSG_NS1_7vsmem_tEENKUlT_SE_SF_SG_E_clIS8_S8_S9_S9_EESD_ST_SE_SF_SG_EUlST_E1_NS1_11comp_targetILNS1_3genE4ELNS1_11target_archE910ELNS1_3gpuE8ELNS1_3repE0EEENS1_36merge_oddeven_config_static_selectorELNS0_4arch9wavefront6targetE0EEEvSF_,comdat
	.protected	_ZN7rocprim17ROCPRIM_400000_NS6detail17trampoline_kernelINS0_14default_configENS1_38merge_sort_block_merge_config_selectorItNS0_10empty_typeEEEZZNS1_27merge_sort_block_merge_implIS3_PtPS5_jNS1_19radix_merge_compareILb1ELb1EtNS0_19identity_decomposerEEEEE10hipError_tT0_T1_T2_jT3_P12ihipStream_tbPNSt15iterator_traitsISE_E10value_typeEPNSK_ISF_E10value_typeEPSG_NS1_7vsmem_tEENKUlT_SE_SF_SG_E_clIS8_S8_S9_S9_EESD_ST_SE_SF_SG_EUlST_E1_NS1_11comp_targetILNS1_3genE4ELNS1_11target_archE910ELNS1_3gpuE8ELNS1_3repE0EEENS1_36merge_oddeven_config_static_selectorELNS0_4arch9wavefront6targetE0EEEvSF_ ; -- Begin function _ZN7rocprim17ROCPRIM_400000_NS6detail17trampoline_kernelINS0_14default_configENS1_38merge_sort_block_merge_config_selectorItNS0_10empty_typeEEEZZNS1_27merge_sort_block_merge_implIS3_PtPS5_jNS1_19radix_merge_compareILb1ELb1EtNS0_19identity_decomposerEEEEE10hipError_tT0_T1_T2_jT3_P12ihipStream_tbPNSt15iterator_traitsISE_E10value_typeEPNSK_ISF_E10value_typeEPSG_NS1_7vsmem_tEENKUlT_SE_SF_SG_E_clIS8_S8_S9_S9_EESD_ST_SE_SF_SG_EUlST_E1_NS1_11comp_targetILNS1_3genE4ELNS1_11target_archE910ELNS1_3gpuE8ELNS1_3repE0EEENS1_36merge_oddeven_config_static_selectorELNS0_4arch9wavefront6targetE0EEEvSF_
	.globl	_ZN7rocprim17ROCPRIM_400000_NS6detail17trampoline_kernelINS0_14default_configENS1_38merge_sort_block_merge_config_selectorItNS0_10empty_typeEEEZZNS1_27merge_sort_block_merge_implIS3_PtPS5_jNS1_19radix_merge_compareILb1ELb1EtNS0_19identity_decomposerEEEEE10hipError_tT0_T1_T2_jT3_P12ihipStream_tbPNSt15iterator_traitsISE_E10value_typeEPNSK_ISF_E10value_typeEPSG_NS1_7vsmem_tEENKUlT_SE_SF_SG_E_clIS8_S8_S9_S9_EESD_ST_SE_SF_SG_EUlST_E1_NS1_11comp_targetILNS1_3genE4ELNS1_11target_archE910ELNS1_3gpuE8ELNS1_3repE0EEENS1_36merge_oddeven_config_static_selectorELNS0_4arch9wavefront6targetE0EEEvSF_
	.p2align	8
	.type	_ZN7rocprim17ROCPRIM_400000_NS6detail17trampoline_kernelINS0_14default_configENS1_38merge_sort_block_merge_config_selectorItNS0_10empty_typeEEEZZNS1_27merge_sort_block_merge_implIS3_PtPS5_jNS1_19radix_merge_compareILb1ELb1EtNS0_19identity_decomposerEEEEE10hipError_tT0_T1_T2_jT3_P12ihipStream_tbPNSt15iterator_traitsISE_E10value_typeEPNSK_ISF_E10value_typeEPSG_NS1_7vsmem_tEENKUlT_SE_SF_SG_E_clIS8_S8_S9_S9_EESD_ST_SE_SF_SG_EUlST_E1_NS1_11comp_targetILNS1_3genE4ELNS1_11target_archE910ELNS1_3gpuE8ELNS1_3repE0EEENS1_36merge_oddeven_config_static_selectorELNS0_4arch9wavefront6targetE0EEEvSF_,@function
_ZN7rocprim17ROCPRIM_400000_NS6detail17trampoline_kernelINS0_14default_configENS1_38merge_sort_block_merge_config_selectorItNS0_10empty_typeEEEZZNS1_27merge_sort_block_merge_implIS3_PtPS5_jNS1_19radix_merge_compareILb1ELb1EtNS0_19identity_decomposerEEEEE10hipError_tT0_T1_T2_jT3_P12ihipStream_tbPNSt15iterator_traitsISE_E10value_typeEPNSK_ISF_E10value_typeEPSG_NS1_7vsmem_tEENKUlT_SE_SF_SG_E_clIS8_S8_S9_S9_EESD_ST_SE_SF_SG_EUlST_E1_NS1_11comp_targetILNS1_3genE4ELNS1_11target_archE910ELNS1_3gpuE8ELNS1_3repE0EEENS1_36merge_oddeven_config_static_selectorELNS0_4arch9wavefront6targetE0EEEvSF_: ; @_ZN7rocprim17ROCPRIM_400000_NS6detail17trampoline_kernelINS0_14default_configENS1_38merge_sort_block_merge_config_selectorItNS0_10empty_typeEEEZZNS1_27merge_sort_block_merge_implIS3_PtPS5_jNS1_19radix_merge_compareILb1ELb1EtNS0_19identity_decomposerEEEEE10hipError_tT0_T1_T2_jT3_P12ihipStream_tbPNSt15iterator_traitsISE_E10value_typeEPNSK_ISF_E10value_typeEPSG_NS1_7vsmem_tEENKUlT_SE_SF_SG_E_clIS8_S8_S9_S9_EESD_ST_SE_SF_SG_EUlST_E1_NS1_11comp_targetILNS1_3genE4ELNS1_11target_archE910ELNS1_3gpuE8ELNS1_3repE0EEENS1_36merge_oddeven_config_static_selectorELNS0_4arch9wavefront6targetE0EEEvSF_
; %bb.0:
	.section	.rodata,"a",@progbits
	.p2align	6, 0x0
	.amdhsa_kernel _ZN7rocprim17ROCPRIM_400000_NS6detail17trampoline_kernelINS0_14default_configENS1_38merge_sort_block_merge_config_selectorItNS0_10empty_typeEEEZZNS1_27merge_sort_block_merge_implIS3_PtPS5_jNS1_19radix_merge_compareILb1ELb1EtNS0_19identity_decomposerEEEEE10hipError_tT0_T1_T2_jT3_P12ihipStream_tbPNSt15iterator_traitsISE_E10value_typeEPNSK_ISF_E10value_typeEPSG_NS1_7vsmem_tEENKUlT_SE_SF_SG_E_clIS8_S8_S9_S9_EESD_ST_SE_SF_SG_EUlST_E1_NS1_11comp_targetILNS1_3genE4ELNS1_11target_archE910ELNS1_3gpuE8ELNS1_3repE0EEENS1_36merge_oddeven_config_static_selectorELNS0_4arch9wavefront6targetE0EEEvSF_
		.amdhsa_group_segment_fixed_size 0
		.amdhsa_private_segment_fixed_size 0
		.amdhsa_kernarg_size 48
		.amdhsa_user_sgpr_count 2
		.amdhsa_user_sgpr_dispatch_ptr 0
		.amdhsa_user_sgpr_queue_ptr 0
		.amdhsa_user_sgpr_kernarg_segment_ptr 1
		.amdhsa_user_sgpr_dispatch_id 0
		.amdhsa_user_sgpr_kernarg_preload_length 0
		.amdhsa_user_sgpr_kernarg_preload_offset 0
		.amdhsa_user_sgpr_private_segment_size 0
		.amdhsa_wavefront_size32 1
		.amdhsa_uses_dynamic_stack 0
		.amdhsa_enable_private_segment 0
		.amdhsa_system_sgpr_workgroup_id_x 1
		.amdhsa_system_sgpr_workgroup_id_y 0
		.amdhsa_system_sgpr_workgroup_id_z 0
		.amdhsa_system_sgpr_workgroup_info 0
		.amdhsa_system_vgpr_workitem_id 0
		.amdhsa_next_free_vgpr 1
		.amdhsa_next_free_sgpr 1
		.amdhsa_named_barrier_count 0
		.amdhsa_reserve_vcc 0
		.amdhsa_float_round_mode_32 0
		.amdhsa_float_round_mode_16_64 0
		.amdhsa_float_denorm_mode_32 3
		.amdhsa_float_denorm_mode_16_64 3
		.amdhsa_fp16_overflow 0
		.amdhsa_memory_ordered 1
		.amdhsa_forward_progress 1
		.amdhsa_inst_pref_size 0
		.amdhsa_round_robin_scheduling 0
		.amdhsa_exception_fp_ieee_invalid_op 0
		.amdhsa_exception_fp_denorm_src 0
		.amdhsa_exception_fp_ieee_div_zero 0
		.amdhsa_exception_fp_ieee_overflow 0
		.amdhsa_exception_fp_ieee_underflow 0
		.amdhsa_exception_fp_ieee_inexact 0
		.amdhsa_exception_int_div_zero 0
	.end_amdhsa_kernel
	.section	.text._ZN7rocprim17ROCPRIM_400000_NS6detail17trampoline_kernelINS0_14default_configENS1_38merge_sort_block_merge_config_selectorItNS0_10empty_typeEEEZZNS1_27merge_sort_block_merge_implIS3_PtPS5_jNS1_19radix_merge_compareILb1ELb1EtNS0_19identity_decomposerEEEEE10hipError_tT0_T1_T2_jT3_P12ihipStream_tbPNSt15iterator_traitsISE_E10value_typeEPNSK_ISF_E10value_typeEPSG_NS1_7vsmem_tEENKUlT_SE_SF_SG_E_clIS8_S8_S9_S9_EESD_ST_SE_SF_SG_EUlST_E1_NS1_11comp_targetILNS1_3genE4ELNS1_11target_archE910ELNS1_3gpuE8ELNS1_3repE0EEENS1_36merge_oddeven_config_static_selectorELNS0_4arch9wavefront6targetE0EEEvSF_,"axG",@progbits,_ZN7rocprim17ROCPRIM_400000_NS6detail17trampoline_kernelINS0_14default_configENS1_38merge_sort_block_merge_config_selectorItNS0_10empty_typeEEEZZNS1_27merge_sort_block_merge_implIS3_PtPS5_jNS1_19radix_merge_compareILb1ELb1EtNS0_19identity_decomposerEEEEE10hipError_tT0_T1_T2_jT3_P12ihipStream_tbPNSt15iterator_traitsISE_E10value_typeEPNSK_ISF_E10value_typeEPSG_NS1_7vsmem_tEENKUlT_SE_SF_SG_E_clIS8_S8_S9_S9_EESD_ST_SE_SF_SG_EUlST_E1_NS1_11comp_targetILNS1_3genE4ELNS1_11target_archE910ELNS1_3gpuE8ELNS1_3repE0EEENS1_36merge_oddeven_config_static_selectorELNS0_4arch9wavefront6targetE0EEEvSF_,comdat
.Lfunc_end2355:
	.size	_ZN7rocprim17ROCPRIM_400000_NS6detail17trampoline_kernelINS0_14default_configENS1_38merge_sort_block_merge_config_selectorItNS0_10empty_typeEEEZZNS1_27merge_sort_block_merge_implIS3_PtPS5_jNS1_19radix_merge_compareILb1ELb1EtNS0_19identity_decomposerEEEEE10hipError_tT0_T1_T2_jT3_P12ihipStream_tbPNSt15iterator_traitsISE_E10value_typeEPNSK_ISF_E10value_typeEPSG_NS1_7vsmem_tEENKUlT_SE_SF_SG_E_clIS8_S8_S9_S9_EESD_ST_SE_SF_SG_EUlST_E1_NS1_11comp_targetILNS1_3genE4ELNS1_11target_archE910ELNS1_3gpuE8ELNS1_3repE0EEENS1_36merge_oddeven_config_static_selectorELNS0_4arch9wavefront6targetE0EEEvSF_, .Lfunc_end2355-_ZN7rocprim17ROCPRIM_400000_NS6detail17trampoline_kernelINS0_14default_configENS1_38merge_sort_block_merge_config_selectorItNS0_10empty_typeEEEZZNS1_27merge_sort_block_merge_implIS3_PtPS5_jNS1_19radix_merge_compareILb1ELb1EtNS0_19identity_decomposerEEEEE10hipError_tT0_T1_T2_jT3_P12ihipStream_tbPNSt15iterator_traitsISE_E10value_typeEPNSK_ISF_E10value_typeEPSG_NS1_7vsmem_tEENKUlT_SE_SF_SG_E_clIS8_S8_S9_S9_EESD_ST_SE_SF_SG_EUlST_E1_NS1_11comp_targetILNS1_3genE4ELNS1_11target_archE910ELNS1_3gpuE8ELNS1_3repE0EEENS1_36merge_oddeven_config_static_selectorELNS0_4arch9wavefront6targetE0EEEvSF_
                                        ; -- End function
	.set _ZN7rocprim17ROCPRIM_400000_NS6detail17trampoline_kernelINS0_14default_configENS1_38merge_sort_block_merge_config_selectorItNS0_10empty_typeEEEZZNS1_27merge_sort_block_merge_implIS3_PtPS5_jNS1_19radix_merge_compareILb1ELb1EtNS0_19identity_decomposerEEEEE10hipError_tT0_T1_T2_jT3_P12ihipStream_tbPNSt15iterator_traitsISE_E10value_typeEPNSK_ISF_E10value_typeEPSG_NS1_7vsmem_tEENKUlT_SE_SF_SG_E_clIS8_S8_S9_S9_EESD_ST_SE_SF_SG_EUlST_E1_NS1_11comp_targetILNS1_3genE4ELNS1_11target_archE910ELNS1_3gpuE8ELNS1_3repE0EEENS1_36merge_oddeven_config_static_selectorELNS0_4arch9wavefront6targetE0EEEvSF_.num_vgpr, 0
	.set _ZN7rocprim17ROCPRIM_400000_NS6detail17trampoline_kernelINS0_14default_configENS1_38merge_sort_block_merge_config_selectorItNS0_10empty_typeEEEZZNS1_27merge_sort_block_merge_implIS3_PtPS5_jNS1_19radix_merge_compareILb1ELb1EtNS0_19identity_decomposerEEEEE10hipError_tT0_T1_T2_jT3_P12ihipStream_tbPNSt15iterator_traitsISE_E10value_typeEPNSK_ISF_E10value_typeEPSG_NS1_7vsmem_tEENKUlT_SE_SF_SG_E_clIS8_S8_S9_S9_EESD_ST_SE_SF_SG_EUlST_E1_NS1_11comp_targetILNS1_3genE4ELNS1_11target_archE910ELNS1_3gpuE8ELNS1_3repE0EEENS1_36merge_oddeven_config_static_selectorELNS0_4arch9wavefront6targetE0EEEvSF_.num_agpr, 0
	.set _ZN7rocprim17ROCPRIM_400000_NS6detail17trampoline_kernelINS0_14default_configENS1_38merge_sort_block_merge_config_selectorItNS0_10empty_typeEEEZZNS1_27merge_sort_block_merge_implIS3_PtPS5_jNS1_19radix_merge_compareILb1ELb1EtNS0_19identity_decomposerEEEEE10hipError_tT0_T1_T2_jT3_P12ihipStream_tbPNSt15iterator_traitsISE_E10value_typeEPNSK_ISF_E10value_typeEPSG_NS1_7vsmem_tEENKUlT_SE_SF_SG_E_clIS8_S8_S9_S9_EESD_ST_SE_SF_SG_EUlST_E1_NS1_11comp_targetILNS1_3genE4ELNS1_11target_archE910ELNS1_3gpuE8ELNS1_3repE0EEENS1_36merge_oddeven_config_static_selectorELNS0_4arch9wavefront6targetE0EEEvSF_.numbered_sgpr, 0
	.set _ZN7rocprim17ROCPRIM_400000_NS6detail17trampoline_kernelINS0_14default_configENS1_38merge_sort_block_merge_config_selectorItNS0_10empty_typeEEEZZNS1_27merge_sort_block_merge_implIS3_PtPS5_jNS1_19radix_merge_compareILb1ELb1EtNS0_19identity_decomposerEEEEE10hipError_tT0_T1_T2_jT3_P12ihipStream_tbPNSt15iterator_traitsISE_E10value_typeEPNSK_ISF_E10value_typeEPSG_NS1_7vsmem_tEENKUlT_SE_SF_SG_E_clIS8_S8_S9_S9_EESD_ST_SE_SF_SG_EUlST_E1_NS1_11comp_targetILNS1_3genE4ELNS1_11target_archE910ELNS1_3gpuE8ELNS1_3repE0EEENS1_36merge_oddeven_config_static_selectorELNS0_4arch9wavefront6targetE0EEEvSF_.num_named_barrier, 0
	.set _ZN7rocprim17ROCPRIM_400000_NS6detail17trampoline_kernelINS0_14default_configENS1_38merge_sort_block_merge_config_selectorItNS0_10empty_typeEEEZZNS1_27merge_sort_block_merge_implIS3_PtPS5_jNS1_19radix_merge_compareILb1ELb1EtNS0_19identity_decomposerEEEEE10hipError_tT0_T1_T2_jT3_P12ihipStream_tbPNSt15iterator_traitsISE_E10value_typeEPNSK_ISF_E10value_typeEPSG_NS1_7vsmem_tEENKUlT_SE_SF_SG_E_clIS8_S8_S9_S9_EESD_ST_SE_SF_SG_EUlST_E1_NS1_11comp_targetILNS1_3genE4ELNS1_11target_archE910ELNS1_3gpuE8ELNS1_3repE0EEENS1_36merge_oddeven_config_static_selectorELNS0_4arch9wavefront6targetE0EEEvSF_.private_seg_size, 0
	.set _ZN7rocprim17ROCPRIM_400000_NS6detail17trampoline_kernelINS0_14default_configENS1_38merge_sort_block_merge_config_selectorItNS0_10empty_typeEEEZZNS1_27merge_sort_block_merge_implIS3_PtPS5_jNS1_19radix_merge_compareILb1ELb1EtNS0_19identity_decomposerEEEEE10hipError_tT0_T1_T2_jT3_P12ihipStream_tbPNSt15iterator_traitsISE_E10value_typeEPNSK_ISF_E10value_typeEPSG_NS1_7vsmem_tEENKUlT_SE_SF_SG_E_clIS8_S8_S9_S9_EESD_ST_SE_SF_SG_EUlST_E1_NS1_11comp_targetILNS1_3genE4ELNS1_11target_archE910ELNS1_3gpuE8ELNS1_3repE0EEENS1_36merge_oddeven_config_static_selectorELNS0_4arch9wavefront6targetE0EEEvSF_.uses_vcc, 0
	.set _ZN7rocprim17ROCPRIM_400000_NS6detail17trampoline_kernelINS0_14default_configENS1_38merge_sort_block_merge_config_selectorItNS0_10empty_typeEEEZZNS1_27merge_sort_block_merge_implIS3_PtPS5_jNS1_19radix_merge_compareILb1ELb1EtNS0_19identity_decomposerEEEEE10hipError_tT0_T1_T2_jT3_P12ihipStream_tbPNSt15iterator_traitsISE_E10value_typeEPNSK_ISF_E10value_typeEPSG_NS1_7vsmem_tEENKUlT_SE_SF_SG_E_clIS8_S8_S9_S9_EESD_ST_SE_SF_SG_EUlST_E1_NS1_11comp_targetILNS1_3genE4ELNS1_11target_archE910ELNS1_3gpuE8ELNS1_3repE0EEENS1_36merge_oddeven_config_static_selectorELNS0_4arch9wavefront6targetE0EEEvSF_.uses_flat_scratch, 0
	.set _ZN7rocprim17ROCPRIM_400000_NS6detail17trampoline_kernelINS0_14default_configENS1_38merge_sort_block_merge_config_selectorItNS0_10empty_typeEEEZZNS1_27merge_sort_block_merge_implIS3_PtPS5_jNS1_19radix_merge_compareILb1ELb1EtNS0_19identity_decomposerEEEEE10hipError_tT0_T1_T2_jT3_P12ihipStream_tbPNSt15iterator_traitsISE_E10value_typeEPNSK_ISF_E10value_typeEPSG_NS1_7vsmem_tEENKUlT_SE_SF_SG_E_clIS8_S8_S9_S9_EESD_ST_SE_SF_SG_EUlST_E1_NS1_11comp_targetILNS1_3genE4ELNS1_11target_archE910ELNS1_3gpuE8ELNS1_3repE0EEENS1_36merge_oddeven_config_static_selectorELNS0_4arch9wavefront6targetE0EEEvSF_.has_dyn_sized_stack, 0
	.set _ZN7rocprim17ROCPRIM_400000_NS6detail17trampoline_kernelINS0_14default_configENS1_38merge_sort_block_merge_config_selectorItNS0_10empty_typeEEEZZNS1_27merge_sort_block_merge_implIS3_PtPS5_jNS1_19radix_merge_compareILb1ELb1EtNS0_19identity_decomposerEEEEE10hipError_tT0_T1_T2_jT3_P12ihipStream_tbPNSt15iterator_traitsISE_E10value_typeEPNSK_ISF_E10value_typeEPSG_NS1_7vsmem_tEENKUlT_SE_SF_SG_E_clIS8_S8_S9_S9_EESD_ST_SE_SF_SG_EUlST_E1_NS1_11comp_targetILNS1_3genE4ELNS1_11target_archE910ELNS1_3gpuE8ELNS1_3repE0EEENS1_36merge_oddeven_config_static_selectorELNS0_4arch9wavefront6targetE0EEEvSF_.has_recursion, 0
	.set _ZN7rocprim17ROCPRIM_400000_NS6detail17trampoline_kernelINS0_14default_configENS1_38merge_sort_block_merge_config_selectorItNS0_10empty_typeEEEZZNS1_27merge_sort_block_merge_implIS3_PtPS5_jNS1_19radix_merge_compareILb1ELb1EtNS0_19identity_decomposerEEEEE10hipError_tT0_T1_T2_jT3_P12ihipStream_tbPNSt15iterator_traitsISE_E10value_typeEPNSK_ISF_E10value_typeEPSG_NS1_7vsmem_tEENKUlT_SE_SF_SG_E_clIS8_S8_S9_S9_EESD_ST_SE_SF_SG_EUlST_E1_NS1_11comp_targetILNS1_3genE4ELNS1_11target_archE910ELNS1_3gpuE8ELNS1_3repE0EEENS1_36merge_oddeven_config_static_selectorELNS0_4arch9wavefront6targetE0EEEvSF_.has_indirect_call, 0
	.section	.AMDGPU.csdata,"",@progbits
; Kernel info:
; codeLenInByte = 0
; TotalNumSgprs: 0
; NumVgprs: 0
; ScratchSize: 0
; MemoryBound: 0
; FloatMode: 240
; IeeeMode: 1
; LDSByteSize: 0 bytes/workgroup (compile time only)
; SGPRBlocks: 0
; VGPRBlocks: 0
; NumSGPRsForWavesPerEU: 1
; NumVGPRsForWavesPerEU: 1
; NamedBarCnt: 0
; Occupancy: 16
; WaveLimiterHint : 0
; COMPUTE_PGM_RSRC2:SCRATCH_EN: 0
; COMPUTE_PGM_RSRC2:USER_SGPR: 2
; COMPUTE_PGM_RSRC2:TRAP_HANDLER: 0
; COMPUTE_PGM_RSRC2:TGID_X_EN: 1
; COMPUTE_PGM_RSRC2:TGID_Y_EN: 0
; COMPUTE_PGM_RSRC2:TGID_Z_EN: 0
; COMPUTE_PGM_RSRC2:TIDIG_COMP_CNT: 0
	.section	.text._ZN7rocprim17ROCPRIM_400000_NS6detail17trampoline_kernelINS0_14default_configENS1_38merge_sort_block_merge_config_selectorItNS0_10empty_typeEEEZZNS1_27merge_sort_block_merge_implIS3_PtPS5_jNS1_19radix_merge_compareILb1ELb1EtNS0_19identity_decomposerEEEEE10hipError_tT0_T1_T2_jT3_P12ihipStream_tbPNSt15iterator_traitsISE_E10value_typeEPNSK_ISF_E10value_typeEPSG_NS1_7vsmem_tEENKUlT_SE_SF_SG_E_clIS8_S8_S9_S9_EESD_ST_SE_SF_SG_EUlST_E1_NS1_11comp_targetILNS1_3genE3ELNS1_11target_archE908ELNS1_3gpuE7ELNS1_3repE0EEENS1_36merge_oddeven_config_static_selectorELNS0_4arch9wavefront6targetE0EEEvSF_,"axG",@progbits,_ZN7rocprim17ROCPRIM_400000_NS6detail17trampoline_kernelINS0_14default_configENS1_38merge_sort_block_merge_config_selectorItNS0_10empty_typeEEEZZNS1_27merge_sort_block_merge_implIS3_PtPS5_jNS1_19radix_merge_compareILb1ELb1EtNS0_19identity_decomposerEEEEE10hipError_tT0_T1_T2_jT3_P12ihipStream_tbPNSt15iterator_traitsISE_E10value_typeEPNSK_ISF_E10value_typeEPSG_NS1_7vsmem_tEENKUlT_SE_SF_SG_E_clIS8_S8_S9_S9_EESD_ST_SE_SF_SG_EUlST_E1_NS1_11comp_targetILNS1_3genE3ELNS1_11target_archE908ELNS1_3gpuE7ELNS1_3repE0EEENS1_36merge_oddeven_config_static_selectorELNS0_4arch9wavefront6targetE0EEEvSF_,comdat
	.protected	_ZN7rocprim17ROCPRIM_400000_NS6detail17trampoline_kernelINS0_14default_configENS1_38merge_sort_block_merge_config_selectorItNS0_10empty_typeEEEZZNS1_27merge_sort_block_merge_implIS3_PtPS5_jNS1_19radix_merge_compareILb1ELb1EtNS0_19identity_decomposerEEEEE10hipError_tT0_T1_T2_jT3_P12ihipStream_tbPNSt15iterator_traitsISE_E10value_typeEPNSK_ISF_E10value_typeEPSG_NS1_7vsmem_tEENKUlT_SE_SF_SG_E_clIS8_S8_S9_S9_EESD_ST_SE_SF_SG_EUlST_E1_NS1_11comp_targetILNS1_3genE3ELNS1_11target_archE908ELNS1_3gpuE7ELNS1_3repE0EEENS1_36merge_oddeven_config_static_selectorELNS0_4arch9wavefront6targetE0EEEvSF_ ; -- Begin function _ZN7rocprim17ROCPRIM_400000_NS6detail17trampoline_kernelINS0_14default_configENS1_38merge_sort_block_merge_config_selectorItNS0_10empty_typeEEEZZNS1_27merge_sort_block_merge_implIS3_PtPS5_jNS1_19radix_merge_compareILb1ELb1EtNS0_19identity_decomposerEEEEE10hipError_tT0_T1_T2_jT3_P12ihipStream_tbPNSt15iterator_traitsISE_E10value_typeEPNSK_ISF_E10value_typeEPSG_NS1_7vsmem_tEENKUlT_SE_SF_SG_E_clIS8_S8_S9_S9_EESD_ST_SE_SF_SG_EUlST_E1_NS1_11comp_targetILNS1_3genE3ELNS1_11target_archE908ELNS1_3gpuE7ELNS1_3repE0EEENS1_36merge_oddeven_config_static_selectorELNS0_4arch9wavefront6targetE0EEEvSF_
	.globl	_ZN7rocprim17ROCPRIM_400000_NS6detail17trampoline_kernelINS0_14default_configENS1_38merge_sort_block_merge_config_selectorItNS0_10empty_typeEEEZZNS1_27merge_sort_block_merge_implIS3_PtPS5_jNS1_19radix_merge_compareILb1ELb1EtNS0_19identity_decomposerEEEEE10hipError_tT0_T1_T2_jT3_P12ihipStream_tbPNSt15iterator_traitsISE_E10value_typeEPNSK_ISF_E10value_typeEPSG_NS1_7vsmem_tEENKUlT_SE_SF_SG_E_clIS8_S8_S9_S9_EESD_ST_SE_SF_SG_EUlST_E1_NS1_11comp_targetILNS1_3genE3ELNS1_11target_archE908ELNS1_3gpuE7ELNS1_3repE0EEENS1_36merge_oddeven_config_static_selectorELNS0_4arch9wavefront6targetE0EEEvSF_
	.p2align	8
	.type	_ZN7rocprim17ROCPRIM_400000_NS6detail17trampoline_kernelINS0_14default_configENS1_38merge_sort_block_merge_config_selectorItNS0_10empty_typeEEEZZNS1_27merge_sort_block_merge_implIS3_PtPS5_jNS1_19radix_merge_compareILb1ELb1EtNS0_19identity_decomposerEEEEE10hipError_tT0_T1_T2_jT3_P12ihipStream_tbPNSt15iterator_traitsISE_E10value_typeEPNSK_ISF_E10value_typeEPSG_NS1_7vsmem_tEENKUlT_SE_SF_SG_E_clIS8_S8_S9_S9_EESD_ST_SE_SF_SG_EUlST_E1_NS1_11comp_targetILNS1_3genE3ELNS1_11target_archE908ELNS1_3gpuE7ELNS1_3repE0EEENS1_36merge_oddeven_config_static_selectorELNS0_4arch9wavefront6targetE0EEEvSF_,@function
_ZN7rocprim17ROCPRIM_400000_NS6detail17trampoline_kernelINS0_14default_configENS1_38merge_sort_block_merge_config_selectorItNS0_10empty_typeEEEZZNS1_27merge_sort_block_merge_implIS3_PtPS5_jNS1_19radix_merge_compareILb1ELb1EtNS0_19identity_decomposerEEEEE10hipError_tT0_T1_T2_jT3_P12ihipStream_tbPNSt15iterator_traitsISE_E10value_typeEPNSK_ISF_E10value_typeEPSG_NS1_7vsmem_tEENKUlT_SE_SF_SG_E_clIS8_S8_S9_S9_EESD_ST_SE_SF_SG_EUlST_E1_NS1_11comp_targetILNS1_3genE3ELNS1_11target_archE908ELNS1_3gpuE7ELNS1_3repE0EEENS1_36merge_oddeven_config_static_selectorELNS0_4arch9wavefront6targetE0EEEvSF_: ; @_ZN7rocprim17ROCPRIM_400000_NS6detail17trampoline_kernelINS0_14default_configENS1_38merge_sort_block_merge_config_selectorItNS0_10empty_typeEEEZZNS1_27merge_sort_block_merge_implIS3_PtPS5_jNS1_19radix_merge_compareILb1ELb1EtNS0_19identity_decomposerEEEEE10hipError_tT0_T1_T2_jT3_P12ihipStream_tbPNSt15iterator_traitsISE_E10value_typeEPNSK_ISF_E10value_typeEPSG_NS1_7vsmem_tEENKUlT_SE_SF_SG_E_clIS8_S8_S9_S9_EESD_ST_SE_SF_SG_EUlST_E1_NS1_11comp_targetILNS1_3genE3ELNS1_11target_archE908ELNS1_3gpuE7ELNS1_3repE0EEENS1_36merge_oddeven_config_static_selectorELNS0_4arch9wavefront6targetE0EEEvSF_
; %bb.0:
	.section	.rodata,"a",@progbits
	.p2align	6, 0x0
	.amdhsa_kernel _ZN7rocprim17ROCPRIM_400000_NS6detail17trampoline_kernelINS0_14default_configENS1_38merge_sort_block_merge_config_selectorItNS0_10empty_typeEEEZZNS1_27merge_sort_block_merge_implIS3_PtPS5_jNS1_19radix_merge_compareILb1ELb1EtNS0_19identity_decomposerEEEEE10hipError_tT0_T1_T2_jT3_P12ihipStream_tbPNSt15iterator_traitsISE_E10value_typeEPNSK_ISF_E10value_typeEPSG_NS1_7vsmem_tEENKUlT_SE_SF_SG_E_clIS8_S8_S9_S9_EESD_ST_SE_SF_SG_EUlST_E1_NS1_11comp_targetILNS1_3genE3ELNS1_11target_archE908ELNS1_3gpuE7ELNS1_3repE0EEENS1_36merge_oddeven_config_static_selectorELNS0_4arch9wavefront6targetE0EEEvSF_
		.amdhsa_group_segment_fixed_size 0
		.amdhsa_private_segment_fixed_size 0
		.amdhsa_kernarg_size 48
		.amdhsa_user_sgpr_count 2
		.amdhsa_user_sgpr_dispatch_ptr 0
		.amdhsa_user_sgpr_queue_ptr 0
		.amdhsa_user_sgpr_kernarg_segment_ptr 1
		.amdhsa_user_sgpr_dispatch_id 0
		.amdhsa_user_sgpr_kernarg_preload_length 0
		.amdhsa_user_sgpr_kernarg_preload_offset 0
		.amdhsa_user_sgpr_private_segment_size 0
		.amdhsa_wavefront_size32 1
		.amdhsa_uses_dynamic_stack 0
		.amdhsa_enable_private_segment 0
		.amdhsa_system_sgpr_workgroup_id_x 1
		.amdhsa_system_sgpr_workgroup_id_y 0
		.amdhsa_system_sgpr_workgroup_id_z 0
		.amdhsa_system_sgpr_workgroup_info 0
		.amdhsa_system_vgpr_workitem_id 0
		.amdhsa_next_free_vgpr 1
		.amdhsa_next_free_sgpr 1
		.amdhsa_named_barrier_count 0
		.amdhsa_reserve_vcc 0
		.amdhsa_float_round_mode_32 0
		.amdhsa_float_round_mode_16_64 0
		.amdhsa_float_denorm_mode_32 3
		.amdhsa_float_denorm_mode_16_64 3
		.amdhsa_fp16_overflow 0
		.amdhsa_memory_ordered 1
		.amdhsa_forward_progress 1
		.amdhsa_inst_pref_size 0
		.amdhsa_round_robin_scheduling 0
		.amdhsa_exception_fp_ieee_invalid_op 0
		.amdhsa_exception_fp_denorm_src 0
		.amdhsa_exception_fp_ieee_div_zero 0
		.amdhsa_exception_fp_ieee_overflow 0
		.amdhsa_exception_fp_ieee_underflow 0
		.amdhsa_exception_fp_ieee_inexact 0
		.amdhsa_exception_int_div_zero 0
	.end_amdhsa_kernel
	.section	.text._ZN7rocprim17ROCPRIM_400000_NS6detail17trampoline_kernelINS0_14default_configENS1_38merge_sort_block_merge_config_selectorItNS0_10empty_typeEEEZZNS1_27merge_sort_block_merge_implIS3_PtPS5_jNS1_19radix_merge_compareILb1ELb1EtNS0_19identity_decomposerEEEEE10hipError_tT0_T1_T2_jT3_P12ihipStream_tbPNSt15iterator_traitsISE_E10value_typeEPNSK_ISF_E10value_typeEPSG_NS1_7vsmem_tEENKUlT_SE_SF_SG_E_clIS8_S8_S9_S9_EESD_ST_SE_SF_SG_EUlST_E1_NS1_11comp_targetILNS1_3genE3ELNS1_11target_archE908ELNS1_3gpuE7ELNS1_3repE0EEENS1_36merge_oddeven_config_static_selectorELNS0_4arch9wavefront6targetE0EEEvSF_,"axG",@progbits,_ZN7rocprim17ROCPRIM_400000_NS6detail17trampoline_kernelINS0_14default_configENS1_38merge_sort_block_merge_config_selectorItNS0_10empty_typeEEEZZNS1_27merge_sort_block_merge_implIS3_PtPS5_jNS1_19radix_merge_compareILb1ELb1EtNS0_19identity_decomposerEEEEE10hipError_tT0_T1_T2_jT3_P12ihipStream_tbPNSt15iterator_traitsISE_E10value_typeEPNSK_ISF_E10value_typeEPSG_NS1_7vsmem_tEENKUlT_SE_SF_SG_E_clIS8_S8_S9_S9_EESD_ST_SE_SF_SG_EUlST_E1_NS1_11comp_targetILNS1_3genE3ELNS1_11target_archE908ELNS1_3gpuE7ELNS1_3repE0EEENS1_36merge_oddeven_config_static_selectorELNS0_4arch9wavefront6targetE0EEEvSF_,comdat
.Lfunc_end2356:
	.size	_ZN7rocprim17ROCPRIM_400000_NS6detail17trampoline_kernelINS0_14default_configENS1_38merge_sort_block_merge_config_selectorItNS0_10empty_typeEEEZZNS1_27merge_sort_block_merge_implIS3_PtPS5_jNS1_19radix_merge_compareILb1ELb1EtNS0_19identity_decomposerEEEEE10hipError_tT0_T1_T2_jT3_P12ihipStream_tbPNSt15iterator_traitsISE_E10value_typeEPNSK_ISF_E10value_typeEPSG_NS1_7vsmem_tEENKUlT_SE_SF_SG_E_clIS8_S8_S9_S9_EESD_ST_SE_SF_SG_EUlST_E1_NS1_11comp_targetILNS1_3genE3ELNS1_11target_archE908ELNS1_3gpuE7ELNS1_3repE0EEENS1_36merge_oddeven_config_static_selectorELNS0_4arch9wavefront6targetE0EEEvSF_, .Lfunc_end2356-_ZN7rocprim17ROCPRIM_400000_NS6detail17trampoline_kernelINS0_14default_configENS1_38merge_sort_block_merge_config_selectorItNS0_10empty_typeEEEZZNS1_27merge_sort_block_merge_implIS3_PtPS5_jNS1_19radix_merge_compareILb1ELb1EtNS0_19identity_decomposerEEEEE10hipError_tT0_T1_T2_jT3_P12ihipStream_tbPNSt15iterator_traitsISE_E10value_typeEPNSK_ISF_E10value_typeEPSG_NS1_7vsmem_tEENKUlT_SE_SF_SG_E_clIS8_S8_S9_S9_EESD_ST_SE_SF_SG_EUlST_E1_NS1_11comp_targetILNS1_3genE3ELNS1_11target_archE908ELNS1_3gpuE7ELNS1_3repE0EEENS1_36merge_oddeven_config_static_selectorELNS0_4arch9wavefront6targetE0EEEvSF_
                                        ; -- End function
	.set _ZN7rocprim17ROCPRIM_400000_NS6detail17trampoline_kernelINS0_14default_configENS1_38merge_sort_block_merge_config_selectorItNS0_10empty_typeEEEZZNS1_27merge_sort_block_merge_implIS3_PtPS5_jNS1_19radix_merge_compareILb1ELb1EtNS0_19identity_decomposerEEEEE10hipError_tT0_T1_T2_jT3_P12ihipStream_tbPNSt15iterator_traitsISE_E10value_typeEPNSK_ISF_E10value_typeEPSG_NS1_7vsmem_tEENKUlT_SE_SF_SG_E_clIS8_S8_S9_S9_EESD_ST_SE_SF_SG_EUlST_E1_NS1_11comp_targetILNS1_3genE3ELNS1_11target_archE908ELNS1_3gpuE7ELNS1_3repE0EEENS1_36merge_oddeven_config_static_selectorELNS0_4arch9wavefront6targetE0EEEvSF_.num_vgpr, 0
	.set _ZN7rocprim17ROCPRIM_400000_NS6detail17trampoline_kernelINS0_14default_configENS1_38merge_sort_block_merge_config_selectorItNS0_10empty_typeEEEZZNS1_27merge_sort_block_merge_implIS3_PtPS5_jNS1_19radix_merge_compareILb1ELb1EtNS0_19identity_decomposerEEEEE10hipError_tT0_T1_T2_jT3_P12ihipStream_tbPNSt15iterator_traitsISE_E10value_typeEPNSK_ISF_E10value_typeEPSG_NS1_7vsmem_tEENKUlT_SE_SF_SG_E_clIS8_S8_S9_S9_EESD_ST_SE_SF_SG_EUlST_E1_NS1_11comp_targetILNS1_3genE3ELNS1_11target_archE908ELNS1_3gpuE7ELNS1_3repE0EEENS1_36merge_oddeven_config_static_selectorELNS0_4arch9wavefront6targetE0EEEvSF_.num_agpr, 0
	.set _ZN7rocprim17ROCPRIM_400000_NS6detail17trampoline_kernelINS0_14default_configENS1_38merge_sort_block_merge_config_selectorItNS0_10empty_typeEEEZZNS1_27merge_sort_block_merge_implIS3_PtPS5_jNS1_19radix_merge_compareILb1ELb1EtNS0_19identity_decomposerEEEEE10hipError_tT0_T1_T2_jT3_P12ihipStream_tbPNSt15iterator_traitsISE_E10value_typeEPNSK_ISF_E10value_typeEPSG_NS1_7vsmem_tEENKUlT_SE_SF_SG_E_clIS8_S8_S9_S9_EESD_ST_SE_SF_SG_EUlST_E1_NS1_11comp_targetILNS1_3genE3ELNS1_11target_archE908ELNS1_3gpuE7ELNS1_3repE0EEENS1_36merge_oddeven_config_static_selectorELNS0_4arch9wavefront6targetE0EEEvSF_.numbered_sgpr, 0
	.set _ZN7rocprim17ROCPRIM_400000_NS6detail17trampoline_kernelINS0_14default_configENS1_38merge_sort_block_merge_config_selectorItNS0_10empty_typeEEEZZNS1_27merge_sort_block_merge_implIS3_PtPS5_jNS1_19radix_merge_compareILb1ELb1EtNS0_19identity_decomposerEEEEE10hipError_tT0_T1_T2_jT3_P12ihipStream_tbPNSt15iterator_traitsISE_E10value_typeEPNSK_ISF_E10value_typeEPSG_NS1_7vsmem_tEENKUlT_SE_SF_SG_E_clIS8_S8_S9_S9_EESD_ST_SE_SF_SG_EUlST_E1_NS1_11comp_targetILNS1_3genE3ELNS1_11target_archE908ELNS1_3gpuE7ELNS1_3repE0EEENS1_36merge_oddeven_config_static_selectorELNS0_4arch9wavefront6targetE0EEEvSF_.num_named_barrier, 0
	.set _ZN7rocprim17ROCPRIM_400000_NS6detail17trampoline_kernelINS0_14default_configENS1_38merge_sort_block_merge_config_selectorItNS0_10empty_typeEEEZZNS1_27merge_sort_block_merge_implIS3_PtPS5_jNS1_19radix_merge_compareILb1ELb1EtNS0_19identity_decomposerEEEEE10hipError_tT0_T1_T2_jT3_P12ihipStream_tbPNSt15iterator_traitsISE_E10value_typeEPNSK_ISF_E10value_typeEPSG_NS1_7vsmem_tEENKUlT_SE_SF_SG_E_clIS8_S8_S9_S9_EESD_ST_SE_SF_SG_EUlST_E1_NS1_11comp_targetILNS1_3genE3ELNS1_11target_archE908ELNS1_3gpuE7ELNS1_3repE0EEENS1_36merge_oddeven_config_static_selectorELNS0_4arch9wavefront6targetE0EEEvSF_.private_seg_size, 0
	.set _ZN7rocprim17ROCPRIM_400000_NS6detail17trampoline_kernelINS0_14default_configENS1_38merge_sort_block_merge_config_selectorItNS0_10empty_typeEEEZZNS1_27merge_sort_block_merge_implIS3_PtPS5_jNS1_19radix_merge_compareILb1ELb1EtNS0_19identity_decomposerEEEEE10hipError_tT0_T1_T2_jT3_P12ihipStream_tbPNSt15iterator_traitsISE_E10value_typeEPNSK_ISF_E10value_typeEPSG_NS1_7vsmem_tEENKUlT_SE_SF_SG_E_clIS8_S8_S9_S9_EESD_ST_SE_SF_SG_EUlST_E1_NS1_11comp_targetILNS1_3genE3ELNS1_11target_archE908ELNS1_3gpuE7ELNS1_3repE0EEENS1_36merge_oddeven_config_static_selectorELNS0_4arch9wavefront6targetE0EEEvSF_.uses_vcc, 0
	.set _ZN7rocprim17ROCPRIM_400000_NS6detail17trampoline_kernelINS0_14default_configENS1_38merge_sort_block_merge_config_selectorItNS0_10empty_typeEEEZZNS1_27merge_sort_block_merge_implIS3_PtPS5_jNS1_19radix_merge_compareILb1ELb1EtNS0_19identity_decomposerEEEEE10hipError_tT0_T1_T2_jT3_P12ihipStream_tbPNSt15iterator_traitsISE_E10value_typeEPNSK_ISF_E10value_typeEPSG_NS1_7vsmem_tEENKUlT_SE_SF_SG_E_clIS8_S8_S9_S9_EESD_ST_SE_SF_SG_EUlST_E1_NS1_11comp_targetILNS1_3genE3ELNS1_11target_archE908ELNS1_3gpuE7ELNS1_3repE0EEENS1_36merge_oddeven_config_static_selectorELNS0_4arch9wavefront6targetE0EEEvSF_.uses_flat_scratch, 0
	.set _ZN7rocprim17ROCPRIM_400000_NS6detail17trampoline_kernelINS0_14default_configENS1_38merge_sort_block_merge_config_selectorItNS0_10empty_typeEEEZZNS1_27merge_sort_block_merge_implIS3_PtPS5_jNS1_19radix_merge_compareILb1ELb1EtNS0_19identity_decomposerEEEEE10hipError_tT0_T1_T2_jT3_P12ihipStream_tbPNSt15iterator_traitsISE_E10value_typeEPNSK_ISF_E10value_typeEPSG_NS1_7vsmem_tEENKUlT_SE_SF_SG_E_clIS8_S8_S9_S9_EESD_ST_SE_SF_SG_EUlST_E1_NS1_11comp_targetILNS1_3genE3ELNS1_11target_archE908ELNS1_3gpuE7ELNS1_3repE0EEENS1_36merge_oddeven_config_static_selectorELNS0_4arch9wavefront6targetE0EEEvSF_.has_dyn_sized_stack, 0
	.set _ZN7rocprim17ROCPRIM_400000_NS6detail17trampoline_kernelINS0_14default_configENS1_38merge_sort_block_merge_config_selectorItNS0_10empty_typeEEEZZNS1_27merge_sort_block_merge_implIS3_PtPS5_jNS1_19radix_merge_compareILb1ELb1EtNS0_19identity_decomposerEEEEE10hipError_tT0_T1_T2_jT3_P12ihipStream_tbPNSt15iterator_traitsISE_E10value_typeEPNSK_ISF_E10value_typeEPSG_NS1_7vsmem_tEENKUlT_SE_SF_SG_E_clIS8_S8_S9_S9_EESD_ST_SE_SF_SG_EUlST_E1_NS1_11comp_targetILNS1_3genE3ELNS1_11target_archE908ELNS1_3gpuE7ELNS1_3repE0EEENS1_36merge_oddeven_config_static_selectorELNS0_4arch9wavefront6targetE0EEEvSF_.has_recursion, 0
	.set _ZN7rocprim17ROCPRIM_400000_NS6detail17trampoline_kernelINS0_14default_configENS1_38merge_sort_block_merge_config_selectorItNS0_10empty_typeEEEZZNS1_27merge_sort_block_merge_implIS3_PtPS5_jNS1_19radix_merge_compareILb1ELb1EtNS0_19identity_decomposerEEEEE10hipError_tT0_T1_T2_jT3_P12ihipStream_tbPNSt15iterator_traitsISE_E10value_typeEPNSK_ISF_E10value_typeEPSG_NS1_7vsmem_tEENKUlT_SE_SF_SG_E_clIS8_S8_S9_S9_EESD_ST_SE_SF_SG_EUlST_E1_NS1_11comp_targetILNS1_3genE3ELNS1_11target_archE908ELNS1_3gpuE7ELNS1_3repE0EEENS1_36merge_oddeven_config_static_selectorELNS0_4arch9wavefront6targetE0EEEvSF_.has_indirect_call, 0
	.section	.AMDGPU.csdata,"",@progbits
; Kernel info:
; codeLenInByte = 0
; TotalNumSgprs: 0
; NumVgprs: 0
; ScratchSize: 0
; MemoryBound: 0
; FloatMode: 240
; IeeeMode: 1
; LDSByteSize: 0 bytes/workgroup (compile time only)
; SGPRBlocks: 0
; VGPRBlocks: 0
; NumSGPRsForWavesPerEU: 1
; NumVGPRsForWavesPerEU: 1
; NamedBarCnt: 0
; Occupancy: 16
; WaveLimiterHint : 0
; COMPUTE_PGM_RSRC2:SCRATCH_EN: 0
; COMPUTE_PGM_RSRC2:USER_SGPR: 2
; COMPUTE_PGM_RSRC2:TRAP_HANDLER: 0
; COMPUTE_PGM_RSRC2:TGID_X_EN: 1
; COMPUTE_PGM_RSRC2:TGID_Y_EN: 0
; COMPUTE_PGM_RSRC2:TGID_Z_EN: 0
; COMPUTE_PGM_RSRC2:TIDIG_COMP_CNT: 0
	.section	.text._ZN7rocprim17ROCPRIM_400000_NS6detail17trampoline_kernelINS0_14default_configENS1_38merge_sort_block_merge_config_selectorItNS0_10empty_typeEEEZZNS1_27merge_sort_block_merge_implIS3_PtPS5_jNS1_19radix_merge_compareILb1ELb1EtNS0_19identity_decomposerEEEEE10hipError_tT0_T1_T2_jT3_P12ihipStream_tbPNSt15iterator_traitsISE_E10value_typeEPNSK_ISF_E10value_typeEPSG_NS1_7vsmem_tEENKUlT_SE_SF_SG_E_clIS8_S8_S9_S9_EESD_ST_SE_SF_SG_EUlST_E1_NS1_11comp_targetILNS1_3genE2ELNS1_11target_archE906ELNS1_3gpuE6ELNS1_3repE0EEENS1_36merge_oddeven_config_static_selectorELNS0_4arch9wavefront6targetE0EEEvSF_,"axG",@progbits,_ZN7rocprim17ROCPRIM_400000_NS6detail17trampoline_kernelINS0_14default_configENS1_38merge_sort_block_merge_config_selectorItNS0_10empty_typeEEEZZNS1_27merge_sort_block_merge_implIS3_PtPS5_jNS1_19radix_merge_compareILb1ELb1EtNS0_19identity_decomposerEEEEE10hipError_tT0_T1_T2_jT3_P12ihipStream_tbPNSt15iterator_traitsISE_E10value_typeEPNSK_ISF_E10value_typeEPSG_NS1_7vsmem_tEENKUlT_SE_SF_SG_E_clIS8_S8_S9_S9_EESD_ST_SE_SF_SG_EUlST_E1_NS1_11comp_targetILNS1_3genE2ELNS1_11target_archE906ELNS1_3gpuE6ELNS1_3repE0EEENS1_36merge_oddeven_config_static_selectorELNS0_4arch9wavefront6targetE0EEEvSF_,comdat
	.protected	_ZN7rocprim17ROCPRIM_400000_NS6detail17trampoline_kernelINS0_14default_configENS1_38merge_sort_block_merge_config_selectorItNS0_10empty_typeEEEZZNS1_27merge_sort_block_merge_implIS3_PtPS5_jNS1_19radix_merge_compareILb1ELb1EtNS0_19identity_decomposerEEEEE10hipError_tT0_T1_T2_jT3_P12ihipStream_tbPNSt15iterator_traitsISE_E10value_typeEPNSK_ISF_E10value_typeEPSG_NS1_7vsmem_tEENKUlT_SE_SF_SG_E_clIS8_S8_S9_S9_EESD_ST_SE_SF_SG_EUlST_E1_NS1_11comp_targetILNS1_3genE2ELNS1_11target_archE906ELNS1_3gpuE6ELNS1_3repE0EEENS1_36merge_oddeven_config_static_selectorELNS0_4arch9wavefront6targetE0EEEvSF_ ; -- Begin function _ZN7rocprim17ROCPRIM_400000_NS6detail17trampoline_kernelINS0_14default_configENS1_38merge_sort_block_merge_config_selectorItNS0_10empty_typeEEEZZNS1_27merge_sort_block_merge_implIS3_PtPS5_jNS1_19radix_merge_compareILb1ELb1EtNS0_19identity_decomposerEEEEE10hipError_tT0_T1_T2_jT3_P12ihipStream_tbPNSt15iterator_traitsISE_E10value_typeEPNSK_ISF_E10value_typeEPSG_NS1_7vsmem_tEENKUlT_SE_SF_SG_E_clIS8_S8_S9_S9_EESD_ST_SE_SF_SG_EUlST_E1_NS1_11comp_targetILNS1_3genE2ELNS1_11target_archE906ELNS1_3gpuE6ELNS1_3repE0EEENS1_36merge_oddeven_config_static_selectorELNS0_4arch9wavefront6targetE0EEEvSF_
	.globl	_ZN7rocprim17ROCPRIM_400000_NS6detail17trampoline_kernelINS0_14default_configENS1_38merge_sort_block_merge_config_selectorItNS0_10empty_typeEEEZZNS1_27merge_sort_block_merge_implIS3_PtPS5_jNS1_19radix_merge_compareILb1ELb1EtNS0_19identity_decomposerEEEEE10hipError_tT0_T1_T2_jT3_P12ihipStream_tbPNSt15iterator_traitsISE_E10value_typeEPNSK_ISF_E10value_typeEPSG_NS1_7vsmem_tEENKUlT_SE_SF_SG_E_clIS8_S8_S9_S9_EESD_ST_SE_SF_SG_EUlST_E1_NS1_11comp_targetILNS1_3genE2ELNS1_11target_archE906ELNS1_3gpuE6ELNS1_3repE0EEENS1_36merge_oddeven_config_static_selectorELNS0_4arch9wavefront6targetE0EEEvSF_
	.p2align	8
	.type	_ZN7rocprim17ROCPRIM_400000_NS6detail17trampoline_kernelINS0_14default_configENS1_38merge_sort_block_merge_config_selectorItNS0_10empty_typeEEEZZNS1_27merge_sort_block_merge_implIS3_PtPS5_jNS1_19radix_merge_compareILb1ELb1EtNS0_19identity_decomposerEEEEE10hipError_tT0_T1_T2_jT3_P12ihipStream_tbPNSt15iterator_traitsISE_E10value_typeEPNSK_ISF_E10value_typeEPSG_NS1_7vsmem_tEENKUlT_SE_SF_SG_E_clIS8_S8_S9_S9_EESD_ST_SE_SF_SG_EUlST_E1_NS1_11comp_targetILNS1_3genE2ELNS1_11target_archE906ELNS1_3gpuE6ELNS1_3repE0EEENS1_36merge_oddeven_config_static_selectorELNS0_4arch9wavefront6targetE0EEEvSF_,@function
_ZN7rocprim17ROCPRIM_400000_NS6detail17trampoline_kernelINS0_14default_configENS1_38merge_sort_block_merge_config_selectorItNS0_10empty_typeEEEZZNS1_27merge_sort_block_merge_implIS3_PtPS5_jNS1_19radix_merge_compareILb1ELb1EtNS0_19identity_decomposerEEEEE10hipError_tT0_T1_T2_jT3_P12ihipStream_tbPNSt15iterator_traitsISE_E10value_typeEPNSK_ISF_E10value_typeEPSG_NS1_7vsmem_tEENKUlT_SE_SF_SG_E_clIS8_S8_S9_S9_EESD_ST_SE_SF_SG_EUlST_E1_NS1_11comp_targetILNS1_3genE2ELNS1_11target_archE906ELNS1_3gpuE6ELNS1_3repE0EEENS1_36merge_oddeven_config_static_selectorELNS0_4arch9wavefront6targetE0EEEvSF_: ; @_ZN7rocprim17ROCPRIM_400000_NS6detail17trampoline_kernelINS0_14default_configENS1_38merge_sort_block_merge_config_selectorItNS0_10empty_typeEEEZZNS1_27merge_sort_block_merge_implIS3_PtPS5_jNS1_19radix_merge_compareILb1ELb1EtNS0_19identity_decomposerEEEEE10hipError_tT0_T1_T2_jT3_P12ihipStream_tbPNSt15iterator_traitsISE_E10value_typeEPNSK_ISF_E10value_typeEPSG_NS1_7vsmem_tEENKUlT_SE_SF_SG_E_clIS8_S8_S9_S9_EESD_ST_SE_SF_SG_EUlST_E1_NS1_11comp_targetILNS1_3genE2ELNS1_11target_archE906ELNS1_3gpuE6ELNS1_3repE0EEENS1_36merge_oddeven_config_static_selectorELNS0_4arch9wavefront6targetE0EEEvSF_
; %bb.0:
	.section	.rodata,"a",@progbits
	.p2align	6, 0x0
	.amdhsa_kernel _ZN7rocprim17ROCPRIM_400000_NS6detail17trampoline_kernelINS0_14default_configENS1_38merge_sort_block_merge_config_selectorItNS0_10empty_typeEEEZZNS1_27merge_sort_block_merge_implIS3_PtPS5_jNS1_19radix_merge_compareILb1ELb1EtNS0_19identity_decomposerEEEEE10hipError_tT0_T1_T2_jT3_P12ihipStream_tbPNSt15iterator_traitsISE_E10value_typeEPNSK_ISF_E10value_typeEPSG_NS1_7vsmem_tEENKUlT_SE_SF_SG_E_clIS8_S8_S9_S9_EESD_ST_SE_SF_SG_EUlST_E1_NS1_11comp_targetILNS1_3genE2ELNS1_11target_archE906ELNS1_3gpuE6ELNS1_3repE0EEENS1_36merge_oddeven_config_static_selectorELNS0_4arch9wavefront6targetE0EEEvSF_
		.amdhsa_group_segment_fixed_size 0
		.amdhsa_private_segment_fixed_size 0
		.amdhsa_kernarg_size 48
		.amdhsa_user_sgpr_count 2
		.amdhsa_user_sgpr_dispatch_ptr 0
		.amdhsa_user_sgpr_queue_ptr 0
		.amdhsa_user_sgpr_kernarg_segment_ptr 1
		.amdhsa_user_sgpr_dispatch_id 0
		.amdhsa_user_sgpr_kernarg_preload_length 0
		.amdhsa_user_sgpr_kernarg_preload_offset 0
		.amdhsa_user_sgpr_private_segment_size 0
		.amdhsa_wavefront_size32 1
		.amdhsa_uses_dynamic_stack 0
		.amdhsa_enable_private_segment 0
		.amdhsa_system_sgpr_workgroup_id_x 1
		.amdhsa_system_sgpr_workgroup_id_y 0
		.amdhsa_system_sgpr_workgroup_id_z 0
		.amdhsa_system_sgpr_workgroup_info 0
		.amdhsa_system_vgpr_workitem_id 0
		.amdhsa_next_free_vgpr 1
		.amdhsa_next_free_sgpr 1
		.amdhsa_named_barrier_count 0
		.amdhsa_reserve_vcc 0
		.amdhsa_float_round_mode_32 0
		.amdhsa_float_round_mode_16_64 0
		.amdhsa_float_denorm_mode_32 3
		.amdhsa_float_denorm_mode_16_64 3
		.amdhsa_fp16_overflow 0
		.amdhsa_memory_ordered 1
		.amdhsa_forward_progress 1
		.amdhsa_inst_pref_size 0
		.amdhsa_round_robin_scheduling 0
		.amdhsa_exception_fp_ieee_invalid_op 0
		.amdhsa_exception_fp_denorm_src 0
		.amdhsa_exception_fp_ieee_div_zero 0
		.amdhsa_exception_fp_ieee_overflow 0
		.amdhsa_exception_fp_ieee_underflow 0
		.amdhsa_exception_fp_ieee_inexact 0
		.amdhsa_exception_int_div_zero 0
	.end_amdhsa_kernel
	.section	.text._ZN7rocprim17ROCPRIM_400000_NS6detail17trampoline_kernelINS0_14default_configENS1_38merge_sort_block_merge_config_selectorItNS0_10empty_typeEEEZZNS1_27merge_sort_block_merge_implIS3_PtPS5_jNS1_19radix_merge_compareILb1ELb1EtNS0_19identity_decomposerEEEEE10hipError_tT0_T1_T2_jT3_P12ihipStream_tbPNSt15iterator_traitsISE_E10value_typeEPNSK_ISF_E10value_typeEPSG_NS1_7vsmem_tEENKUlT_SE_SF_SG_E_clIS8_S8_S9_S9_EESD_ST_SE_SF_SG_EUlST_E1_NS1_11comp_targetILNS1_3genE2ELNS1_11target_archE906ELNS1_3gpuE6ELNS1_3repE0EEENS1_36merge_oddeven_config_static_selectorELNS0_4arch9wavefront6targetE0EEEvSF_,"axG",@progbits,_ZN7rocprim17ROCPRIM_400000_NS6detail17trampoline_kernelINS0_14default_configENS1_38merge_sort_block_merge_config_selectorItNS0_10empty_typeEEEZZNS1_27merge_sort_block_merge_implIS3_PtPS5_jNS1_19radix_merge_compareILb1ELb1EtNS0_19identity_decomposerEEEEE10hipError_tT0_T1_T2_jT3_P12ihipStream_tbPNSt15iterator_traitsISE_E10value_typeEPNSK_ISF_E10value_typeEPSG_NS1_7vsmem_tEENKUlT_SE_SF_SG_E_clIS8_S8_S9_S9_EESD_ST_SE_SF_SG_EUlST_E1_NS1_11comp_targetILNS1_3genE2ELNS1_11target_archE906ELNS1_3gpuE6ELNS1_3repE0EEENS1_36merge_oddeven_config_static_selectorELNS0_4arch9wavefront6targetE0EEEvSF_,comdat
.Lfunc_end2357:
	.size	_ZN7rocprim17ROCPRIM_400000_NS6detail17trampoline_kernelINS0_14default_configENS1_38merge_sort_block_merge_config_selectorItNS0_10empty_typeEEEZZNS1_27merge_sort_block_merge_implIS3_PtPS5_jNS1_19radix_merge_compareILb1ELb1EtNS0_19identity_decomposerEEEEE10hipError_tT0_T1_T2_jT3_P12ihipStream_tbPNSt15iterator_traitsISE_E10value_typeEPNSK_ISF_E10value_typeEPSG_NS1_7vsmem_tEENKUlT_SE_SF_SG_E_clIS8_S8_S9_S9_EESD_ST_SE_SF_SG_EUlST_E1_NS1_11comp_targetILNS1_3genE2ELNS1_11target_archE906ELNS1_3gpuE6ELNS1_3repE0EEENS1_36merge_oddeven_config_static_selectorELNS0_4arch9wavefront6targetE0EEEvSF_, .Lfunc_end2357-_ZN7rocprim17ROCPRIM_400000_NS6detail17trampoline_kernelINS0_14default_configENS1_38merge_sort_block_merge_config_selectorItNS0_10empty_typeEEEZZNS1_27merge_sort_block_merge_implIS3_PtPS5_jNS1_19radix_merge_compareILb1ELb1EtNS0_19identity_decomposerEEEEE10hipError_tT0_T1_T2_jT3_P12ihipStream_tbPNSt15iterator_traitsISE_E10value_typeEPNSK_ISF_E10value_typeEPSG_NS1_7vsmem_tEENKUlT_SE_SF_SG_E_clIS8_S8_S9_S9_EESD_ST_SE_SF_SG_EUlST_E1_NS1_11comp_targetILNS1_3genE2ELNS1_11target_archE906ELNS1_3gpuE6ELNS1_3repE0EEENS1_36merge_oddeven_config_static_selectorELNS0_4arch9wavefront6targetE0EEEvSF_
                                        ; -- End function
	.set _ZN7rocprim17ROCPRIM_400000_NS6detail17trampoline_kernelINS0_14default_configENS1_38merge_sort_block_merge_config_selectorItNS0_10empty_typeEEEZZNS1_27merge_sort_block_merge_implIS3_PtPS5_jNS1_19radix_merge_compareILb1ELb1EtNS0_19identity_decomposerEEEEE10hipError_tT0_T1_T2_jT3_P12ihipStream_tbPNSt15iterator_traitsISE_E10value_typeEPNSK_ISF_E10value_typeEPSG_NS1_7vsmem_tEENKUlT_SE_SF_SG_E_clIS8_S8_S9_S9_EESD_ST_SE_SF_SG_EUlST_E1_NS1_11comp_targetILNS1_3genE2ELNS1_11target_archE906ELNS1_3gpuE6ELNS1_3repE0EEENS1_36merge_oddeven_config_static_selectorELNS0_4arch9wavefront6targetE0EEEvSF_.num_vgpr, 0
	.set _ZN7rocprim17ROCPRIM_400000_NS6detail17trampoline_kernelINS0_14default_configENS1_38merge_sort_block_merge_config_selectorItNS0_10empty_typeEEEZZNS1_27merge_sort_block_merge_implIS3_PtPS5_jNS1_19radix_merge_compareILb1ELb1EtNS0_19identity_decomposerEEEEE10hipError_tT0_T1_T2_jT3_P12ihipStream_tbPNSt15iterator_traitsISE_E10value_typeEPNSK_ISF_E10value_typeEPSG_NS1_7vsmem_tEENKUlT_SE_SF_SG_E_clIS8_S8_S9_S9_EESD_ST_SE_SF_SG_EUlST_E1_NS1_11comp_targetILNS1_3genE2ELNS1_11target_archE906ELNS1_3gpuE6ELNS1_3repE0EEENS1_36merge_oddeven_config_static_selectorELNS0_4arch9wavefront6targetE0EEEvSF_.num_agpr, 0
	.set _ZN7rocprim17ROCPRIM_400000_NS6detail17trampoline_kernelINS0_14default_configENS1_38merge_sort_block_merge_config_selectorItNS0_10empty_typeEEEZZNS1_27merge_sort_block_merge_implIS3_PtPS5_jNS1_19radix_merge_compareILb1ELb1EtNS0_19identity_decomposerEEEEE10hipError_tT0_T1_T2_jT3_P12ihipStream_tbPNSt15iterator_traitsISE_E10value_typeEPNSK_ISF_E10value_typeEPSG_NS1_7vsmem_tEENKUlT_SE_SF_SG_E_clIS8_S8_S9_S9_EESD_ST_SE_SF_SG_EUlST_E1_NS1_11comp_targetILNS1_3genE2ELNS1_11target_archE906ELNS1_3gpuE6ELNS1_3repE0EEENS1_36merge_oddeven_config_static_selectorELNS0_4arch9wavefront6targetE0EEEvSF_.numbered_sgpr, 0
	.set _ZN7rocprim17ROCPRIM_400000_NS6detail17trampoline_kernelINS0_14default_configENS1_38merge_sort_block_merge_config_selectorItNS0_10empty_typeEEEZZNS1_27merge_sort_block_merge_implIS3_PtPS5_jNS1_19radix_merge_compareILb1ELb1EtNS0_19identity_decomposerEEEEE10hipError_tT0_T1_T2_jT3_P12ihipStream_tbPNSt15iterator_traitsISE_E10value_typeEPNSK_ISF_E10value_typeEPSG_NS1_7vsmem_tEENKUlT_SE_SF_SG_E_clIS8_S8_S9_S9_EESD_ST_SE_SF_SG_EUlST_E1_NS1_11comp_targetILNS1_3genE2ELNS1_11target_archE906ELNS1_3gpuE6ELNS1_3repE0EEENS1_36merge_oddeven_config_static_selectorELNS0_4arch9wavefront6targetE0EEEvSF_.num_named_barrier, 0
	.set _ZN7rocprim17ROCPRIM_400000_NS6detail17trampoline_kernelINS0_14default_configENS1_38merge_sort_block_merge_config_selectorItNS0_10empty_typeEEEZZNS1_27merge_sort_block_merge_implIS3_PtPS5_jNS1_19radix_merge_compareILb1ELb1EtNS0_19identity_decomposerEEEEE10hipError_tT0_T1_T2_jT3_P12ihipStream_tbPNSt15iterator_traitsISE_E10value_typeEPNSK_ISF_E10value_typeEPSG_NS1_7vsmem_tEENKUlT_SE_SF_SG_E_clIS8_S8_S9_S9_EESD_ST_SE_SF_SG_EUlST_E1_NS1_11comp_targetILNS1_3genE2ELNS1_11target_archE906ELNS1_3gpuE6ELNS1_3repE0EEENS1_36merge_oddeven_config_static_selectorELNS0_4arch9wavefront6targetE0EEEvSF_.private_seg_size, 0
	.set _ZN7rocprim17ROCPRIM_400000_NS6detail17trampoline_kernelINS0_14default_configENS1_38merge_sort_block_merge_config_selectorItNS0_10empty_typeEEEZZNS1_27merge_sort_block_merge_implIS3_PtPS5_jNS1_19radix_merge_compareILb1ELb1EtNS0_19identity_decomposerEEEEE10hipError_tT0_T1_T2_jT3_P12ihipStream_tbPNSt15iterator_traitsISE_E10value_typeEPNSK_ISF_E10value_typeEPSG_NS1_7vsmem_tEENKUlT_SE_SF_SG_E_clIS8_S8_S9_S9_EESD_ST_SE_SF_SG_EUlST_E1_NS1_11comp_targetILNS1_3genE2ELNS1_11target_archE906ELNS1_3gpuE6ELNS1_3repE0EEENS1_36merge_oddeven_config_static_selectorELNS0_4arch9wavefront6targetE0EEEvSF_.uses_vcc, 0
	.set _ZN7rocprim17ROCPRIM_400000_NS6detail17trampoline_kernelINS0_14default_configENS1_38merge_sort_block_merge_config_selectorItNS0_10empty_typeEEEZZNS1_27merge_sort_block_merge_implIS3_PtPS5_jNS1_19radix_merge_compareILb1ELb1EtNS0_19identity_decomposerEEEEE10hipError_tT0_T1_T2_jT3_P12ihipStream_tbPNSt15iterator_traitsISE_E10value_typeEPNSK_ISF_E10value_typeEPSG_NS1_7vsmem_tEENKUlT_SE_SF_SG_E_clIS8_S8_S9_S9_EESD_ST_SE_SF_SG_EUlST_E1_NS1_11comp_targetILNS1_3genE2ELNS1_11target_archE906ELNS1_3gpuE6ELNS1_3repE0EEENS1_36merge_oddeven_config_static_selectorELNS0_4arch9wavefront6targetE0EEEvSF_.uses_flat_scratch, 0
	.set _ZN7rocprim17ROCPRIM_400000_NS6detail17trampoline_kernelINS0_14default_configENS1_38merge_sort_block_merge_config_selectorItNS0_10empty_typeEEEZZNS1_27merge_sort_block_merge_implIS3_PtPS5_jNS1_19radix_merge_compareILb1ELb1EtNS0_19identity_decomposerEEEEE10hipError_tT0_T1_T2_jT3_P12ihipStream_tbPNSt15iterator_traitsISE_E10value_typeEPNSK_ISF_E10value_typeEPSG_NS1_7vsmem_tEENKUlT_SE_SF_SG_E_clIS8_S8_S9_S9_EESD_ST_SE_SF_SG_EUlST_E1_NS1_11comp_targetILNS1_3genE2ELNS1_11target_archE906ELNS1_3gpuE6ELNS1_3repE0EEENS1_36merge_oddeven_config_static_selectorELNS0_4arch9wavefront6targetE0EEEvSF_.has_dyn_sized_stack, 0
	.set _ZN7rocprim17ROCPRIM_400000_NS6detail17trampoline_kernelINS0_14default_configENS1_38merge_sort_block_merge_config_selectorItNS0_10empty_typeEEEZZNS1_27merge_sort_block_merge_implIS3_PtPS5_jNS1_19radix_merge_compareILb1ELb1EtNS0_19identity_decomposerEEEEE10hipError_tT0_T1_T2_jT3_P12ihipStream_tbPNSt15iterator_traitsISE_E10value_typeEPNSK_ISF_E10value_typeEPSG_NS1_7vsmem_tEENKUlT_SE_SF_SG_E_clIS8_S8_S9_S9_EESD_ST_SE_SF_SG_EUlST_E1_NS1_11comp_targetILNS1_3genE2ELNS1_11target_archE906ELNS1_3gpuE6ELNS1_3repE0EEENS1_36merge_oddeven_config_static_selectorELNS0_4arch9wavefront6targetE0EEEvSF_.has_recursion, 0
	.set _ZN7rocprim17ROCPRIM_400000_NS6detail17trampoline_kernelINS0_14default_configENS1_38merge_sort_block_merge_config_selectorItNS0_10empty_typeEEEZZNS1_27merge_sort_block_merge_implIS3_PtPS5_jNS1_19radix_merge_compareILb1ELb1EtNS0_19identity_decomposerEEEEE10hipError_tT0_T1_T2_jT3_P12ihipStream_tbPNSt15iterator_traitsISE_E10value_typeEPNSK_ISF_E10value_typeEPSG_NS1_7vsmem_tEENKUlT_SE_SF_SG_E_clIS8_S8_S9_S9_EESD_ST_SE_SF_SG_EUlST_E1_NS1_11comp_targetILNS1_3genE2ELNS1_11target_archE906ELNS1_3gpuE6ELNS1_3repE0EEENS1_36merge_oddeven_config_static_selectorELNS0_4arch9wavefront6targetE0EEEvSF_.has_indirect_call, 0
	.section	.AMDGPU.csdata,"",@progbits
; Kernel info:
; codeLenInByte = 0
; TotalNumSgprs: 0
; NumVgprs: 0
; ScratchSize: 0
; MemoryBound: 0
; FloatMode: 240
; IeeeMode: 1
; LDSByteSize: 0 bytes/workgroup (compile time only)
; SGPRBlocks: 0
; VGPRBlocks: 0
; NumSGPRsForWavesPerEU: 1
; NumVGPRsForWavesPerEU: 1
; NamedBarCnt: 0
; Occupancy: 16
; WaveLimiterHint : 0
; COMPUTE_PGM_RSRC2:SCRATCH_EN: 0
; COMPUTE_PGM_RSRC2:USER_SGPR: 2
; COMPUTE_PGM_RSRC2:TRAP_HANDLER: 0
; COMPUTE_PGM_RSRC2:TGID_X_EN: 1
; COMPUTE_PGM_RSRC2:TGID_Y_EN: 0
; COMPUTE_PGM_RSRC2:TGID_Z_EN: 0
; COMPUTE_PGM_RSRC2:TIDIG_COMP_CNT: 0
	.section	.text._ZN7rocprim17ROCPRIM_400000_NS6detail17trampoline_kernelINS0_14default_configENS1_38merge_sort_block_merge_config_selectorItNS0_10empty_typeEEEZZNS1_27merge_sort_block_merge_implIS3_PtPS5_jNS1_19radix_merge_compareILb1ELb1EtNS0_19identity_decomposerEEEEE10hipError_tT0_T1_T2_jT3_P12ihipStream_tbPNSt15iterator_traitsISE_E10value_typeEPNSK_ISF_E10value_typeEPSG_NS1_7vsmem_tEENKUlT_SE_SF_SG_E_clIS8_S8_S9_S9_EESD_ST_SE_SF_SG_EUlST_E1_NS1_11comp_targetILNS1_3genE9ELNS1_11target_archE1100ELNS1_3gpuE3ELNS1_3repE0EEENS1_36merge_oddeven_config_static_selectorELNS0_4arch9wavefront6targetE0EEEvSF_,"axG",@progbits,_ZN7rocprim17ROCPRIM_400000_NS6detail17trampoline_kernelINS0_14default_configENS1_38merge_sort_block_merge_config_selectorItNS0_10empty_typeEEEZZNS1_27merge_sort_block_merge_implIS3_PtPS5_jNS1_19radix_merge_compareILb1ELb1EtNS0_19identity_decomposerEEEEE10hipError_tT0_T1_T2_jT3_P12ihipStream_tbPNSt15iterator_traitsISE_E10value_typeEPNSK_ISF_E10value_typeEPSG_NS1_7vsmem_tEENKUlT_SE_SF_SG_E_clIS8_S8_S9_S9_EESD_ST_SE_SF_SG_EUlST_E1_NS1_11comp_targetILNS1_3genE9ELNS1_11target_archE1100ELNS1_3gpuE3ELNS1_3repE0EEENS1_36merge_oddeven_config_static_selectorELNS0_4arch9wavefront6targetE0EEEvSF_,comdat
	.protected	_ZN7rocprim17ROCPRIM_400000_NS6detail17trampoline_kernelINS0_14default_configENS1_38merge_sort_block_merge_config_selectorItNS0_10empty_typeEEEZZNS1_27merge_sort_block_merge_implIS3_PtPS5_jNS1_19radix_merge_compareILb1ELb1EtNS0_19identity_decomposerEEEEE10hipError_tT0_T1_T2_jT3_P12ihipStream_tbPNSt15iterator_traitsISE_E10value_typeEPNSK_ISF_E10value_typeEPSG_NS1_7vsmem_tEENKUlT_SE_SF_SG_E_clIS8_S8_S9_S9_EESD_ST_SE_SF_SG_EUlST_E1_NS1_11comp_targetILNS1_3genE9ELNS1_11target_archE1100ELNS1_3gpuE3ELNS1_3repE0EEENS1_36merge_oddeven_config_static_selectorELNS0_4arch9wavefront6targetE0EEEvSF_ ; -- Begin function _ZN7rocprim17ROCPRIM_400000_NS6detail17trampoline_kernelINS0_14default_configENS1_38merge_sort_block_merge_config_selectorItNS0_10empty_typeEEEZZNS1_27merge_sort_block_merge_implIS3_PtPS5_jNS1_19radix_merge_compareILb1ELb1EtNS0_19identity_decomposerEEEEE10hipError_tT0_T1_T2_jT3_P12ihipStream_tbPNSt15iterator_traitsISE_E10value_typeEPNSK_ISF_E10value_typeEPSG_NS1_7vsmem_tEENKUlT_SE_SF_SG_E_clIS8_S8_S9_S9_EESD_ST_SE_SF_SG_EUlST_E1_NS1_11comp_targetILNS1_3genE9ELNS1_11target_archE1100ELNS1_3gpuE3ELNS1_3repE0EEENS1_36merge_oddeven_config_static_selectorELNS0_4arch9wavefront6targetE0EEEvSF_
	.globl	_ZN7rocprim17ROCPRIM_400000_NS6detail17trampoline_kernelINS0_14default_configENS1_38merge_sort_block_merge_config_selectorItNS0_10empty_typeEEEZZNS1_27merge_sort_block_merge_implIS3_PtPS5_jNS1_19radix_merge_compareILb1ELb1EtNS0_19identity_decomposerEEEEE10hipError_tT0_T1_T2_jT3_P12ihipStream_tbPNSt15iterator_traitsISE_E10value_typeEPNSK_ISF_E10value_typeEPSG_NS1_7vsmem_tEENKUlT_SE_SF_SG_E_clIS8_S8_S9_S9_EESD_ST_SE_SF_SG_EUlST_E1_NS1_11comp_targetILNS1_3genE9ELNS1_11target_archE1100ELNS1_3gpuE3ELNS1_3repE0EEENS1_36merge_oddeven_config_static_selectorELNS0_4arch9wavefront6targetE0EEEvSF_
	.p2align	8
	.type	_ZN7rocprim17ROCPRIM_400000_NS6detail17trampoline_kernelINS0_14default_configENS1_38merge_sort_block_merge_config_selectorItNS0_10empty_typeEEEZZNS1_27merge_sort_block_merge_implIS3_PtPS5_jNS1_19radix_merge_compareILb1ELb1EtNS0_19identity_decomposerEEEEE10hipError_tT0_T1_T2_jT3_P12ihipStream_tbPNSt15iterator_traitsISE_E10value_typeEPNSK_ISF_E10value_typeEPSG_NS1_7vsmem_tEENKUlT_SE_SF_SG_E_clIS8_S8_S9_S9_EESD_ST_SE_SF_SG_EUlST_E1_NS1_11comp_targetILNS1_3genE9ELNS1_11target_archE1100ELNS1_3gpuE3ELNS1_3repE0EEENS1_36merge_oddeven_config_static_selectorELNS0_4arch9wavefront6targetE0EEEvSF_,@function
_ZN7rocprim17ROCPRIM_400000_NS6detail17trampoline_kernelINS0_14default_configENS1_38merge_sort_block_merge_config_selectorItNS0_10empty_typeEEEZZNS1_27merge_sort_block_merge_implIS3_PtPS5_jNS1_19radix_merge_compareILb1ELb1EtNS0_19identity_decomposerEEEEE10hipError_tT0_T1_T2_jT3_P12ihipStream_tbPNSt15iterator_traitsISE_E10value_typeEPNSK_ISF_E10value_typeEPSG_NS1_7vsmem_tEENKUlT_SE_SF_SG_E_clIS8_S8_S9_S9_EESD_ST_SE_SF_SG_EUlST_E1_NS1_11comp_targetILNS1_3genE9ELNS1_11target_archE1100ELNS1_3gpuE3ELNS1_3repE0EEENS1_36merge_oddeven_config_static_selectorELNS0_4arch9wavefront6targetE0EEEvSF_: ; @_ZN7rocprim17ROCPRIM_400000_NS6detail17trampoline_kernelINS0_14default_configENS1_38merge_sort_block_merge_config_selectorItNS0_10empty_typeEEEZZNS1_27merge_sort_block_merge_implIS3_PtPS5_jNS1_19radix_merge_compareILb1ELb1EtNS0_19identity_decomposerEEEEE10hipError_tT0_T1_T2_jT3_P12ihipStream_tbPNSt15iterator_traitsISE_E10value_typeEPNSK_ISF_E10value_typeEPSG_NS1_7vsmem_tEENKUlT_SE_SF_SG_E_clIS8_S8_S9_S9_EESD_ST_SE_SF_SG_EUlST_E1_NS1_11comp_targetILNS1_3genE9ELNS1_11target_archE1100ELNS1_3gpuE3ELNS1_3repE0EEENS1_36merge_oddeven_config_static_selectorELNS0_4arch9wavefront6targetE0EEEvSF_
; %bb.0:
	.section	.rodata,"a",@progbits
	.p2align	6, 0x0
	.amdhsa_kernel _ZN7rocprim17ROCPRIM_400000_NS6detail17trampoline_kernelINS0_14default_configENS1_38merge_sort_block_merge_config_selectorItNS0_10empty_typeEEEZZNS1_27merge_sort_block_merge_implIS3_PtPS5_jNS1_19radix_merge_compareILb1ELb1EtNS0_19identity_decomposerEEEEE10hipError_tT0_T1_T2_jT3_P12ihipStream_tbPNSt15iterator_traitsISE_E10value_typeEPNSK_ISF_E10value_typeEPSG_NS1_7vsmem_tEENKUlT_SE_SF_SG_E_clIS8_S8_S9_S9_EESD_ST_SE_SF_SG_EUlST_E1_NS1_11comp_targetILNS1_3genE9ELNS1_11target_archE1100ELNS1_3gpuE3ELNS1_3repE0EEENS1_36merge_oddeven_config_static_selectorELNS0_4arch9wavefront6targetE0EEEvSF_
		.amdhsa_group_segment_fixed_size 0
		.amdhsa_private_segment_fixed_size 0
		.amdhsa_kernarg_size 48
		.amdhsa_user_sgpr_count 2
		.amdhsa_user_sgpr_dispatch_ptr 0
		.amdhsa_user_sgpr_queue_ptr 0
		.amdhsa_user_sgpr_kernarg_segment_ptr 1
		.amdhsa_user_sgpr_dispatch_id 0
		.amdhsa_user_sgpr_kernarg_preload_length 0
		.amdhsa_user_sgpr_kernarg_preload_offset 0
		.amdhsa_user_sgpr_private_segment_size 0
		.amdhsa_wavefront_size32 1
		.amdhsa_uses_dynamic_stack 0
		.amdhsa_enable_private_segment 0
		.amdhsa_system_sgpr_workgroup_id_x 1
		.amdhsa_system_sgpr_workgroup_id_y 0
		.amdhsa_system_sgpr_workgroup_id_z 0
		.amdhsa_system_sgpr_workgroup_info 0
		.amdhsa_system_vgpr_workitem_id 0
		.amdhsa_next_free_vgpr 1
		.amdhsa_next_free_sgpr 1
		.amdhsa_named_barrier_count 0
		.amdhsa_reserve_vcc 0
		.amdhsa_float_round_mode_32 0
		.amdhsa_float_round_mode_16_64 0
		.amdhsa_float_denorm_mode_32 3
		.amdhsa_float_denorm_mode_16_64 3
		.amdhsa_fp16_overflow 0
		.amdhsa_memory_ordered 1
		.amdhsa_forward_progress 1
		.amdhsa_inst_pref_size 0
		.amdhsa_round_robin_scheduling 0
		.amdhsa_exception_fp_ieee_invalid_op 0
		.amdhsa_exception_fp_denorm_src 0
		.amdhsa_exception_fp_ieee_div_zero 0
		.amdhsa_exception_fp_ieee_overflow 0
		.amdhsa_exception_fp_ieee_underflow 0
		.amdhsa_exception_fp_ieee_inexact 0
		.amdhsa_exception_int_div_zero 0
	.end_amdhsa_kernel
	.section	.text._ZN7rocprim17ROCPRIM_400000_NS6detail17trampoline_kernelINS0_14default_configENS1_38merge_sort_block_merge_config_selectorItNS0_10empty_typeEEEZZNS1_27merge_sort_block_merge_implIS3_PtPS5_jNS1_19radix_merge_compareILb1ELb1EtNS0_19identity_decomposerEEEEE10hipError_tT0_T1_T2_jT3_P12ihipStream_tbPNSt15iterator_traitsISE_E10value_typeEPNSK_ISF_E10value_typeEPSG_NS1_7vsmem_tEENKUlT_SE_SF_SG_E_clIS8_S8_S9_S9_EESD_ST_SE_SF_SG_EUlST_E1_NS1_11comp_targetILNS1_3genE9ELNS1_11target_archE1100ELNS1_3gpuE3ELNS1_3repE0EEENS1_36merge_oddeven_config_static_selectorELNS0_4arch9wavefront6targetE0EEEvSF_,"axG",@progbits,_ZN7rocprim17ROCPRIM_400000_NS6detail17trampoline_kernelINS0_14default_configENS1_38merge_sort_block_merge_config_selectorItNS0_10empty_typeEEEZZNS1_27merge_sort_block_merge_implIS3_PtPS5_jNS1_19radix_merge_compareILb1ELb1EtNS0_19identity_decomposerEEEEE10hipError_tT0_T1_T2_jT3_P12ihipStream_tbPNSt15iterator_traitsISE_E10value_typeEPNSK_ISF_E10value_typeEPSG_NS1_7vsmem_tEENKUlT_SE_SF_SG_E_clIS8_S8_S9_S9_EESD_ST_SE_SF_SG_EUlST_E1_NS1_11comp_targetILNS1_3genE9ELNS1_11target_archE1100ELNS1_3gpuE3ELNS1_3repE0EEENS1_36merge_oddeven_config_static_selectorELNS0_4arch9wavefront6targetE0EEEvSF_,comdat
.Lfunc_end2358:
	.size	_ZN7rocprim17ROCPRIM_400000_NS6detail17trampoline_kernelINS0_14default_configENS1_38merge_sort_block_merge_config_selectorItNS0_10empty_typeEEEZZNS1_27merge_sort_block_merge_implIS3_PtPS5_jNS1_19radix_merge_compareILb1ELb1EtNS0_19identity_decomposerEEEEE10hipError_tT0_T1_T2_jT3_P12ihipStream_tbPNSt15iterator_traitsISE_E10value_typeEPNSK_ISF_E10value_typeEPSG_NS1_7vsmem_tEENKUlT_SE_SF_SG_E_clIS8_S8_S9_S9_EESD_ST_SE_SF_SG_EUlST_E1_NS1_11comp_targetILNS1_3genE9ELNS1_11target_archE1100ELNS1_3gpuE3ELNS1_3repE0EEENS1_36merge_oddeven_config_static_selectorELNS0_4arch9wavefront6targetE0EEEvSF_, .Lfunc_end2358-_ZN7rocprim17ROCPRIM_400000_NS6detail17trampoline_kernelINS0_14default_configENS1_38merge_sort_block_merge_config_selectorItNS0_10empty_typeEEEZZNS1_27merge_sort_block_merge_implIS3_PtPS5_jNS1_19radix_merge_compareILb1ELb1EtNS0_19identity_decomposerEEEEE10hipError_tT0_T1_T2_jT3_P12ihipStream_tbPNSt15iterator_traitsISE_E10value_typeEPNSK_ISF_E10value_typeEPSG_NS1_7vsmem_tEENKUlT_SE_SF_SG_E_clIS8_S8_S9_S9_EESD_ST_SE_SF_SG_EUlST_E1_NS1_11comp_targetILNS1_3genE9ELNS1_11target_archE1100ELNS1_3gpuE3ELNS1_3repE0EEENS1_36merge_oddeven_config_static_selectorELNS0_4arch9wavefront6targetE0EEEvSF_
                                        ; -- End function
	.set _ZN7rocprim17ROCPRIM_400000_NS6detail17trampoline_kernelINS0_14default_configENS1_38merge_sort_block_merge_config_selectorItNS0_10empty_typeEEEZZNS1_27merge_sort_block_merge_implIS3_PtPS5_jNS1_19radix_merge_compareILb1ELb1EtNS0_19identity_decomposerEEEEE10hipError_tT0_T1_T2_jT3_P12ihipStream_tbPNSt15iterator_traitsISE_E10value_typeEPNSK_ISF_E10value_typeEPSG_NS1_7vsmem_tEENKUlT_SE_SF_SG_E_clIS8_S8_S9_S9_EESD_ST_SE_SF_SG_EUlST_E1_NS1_11comp_targetILNS1_3genE9ELNS1_11target_archE1100ELNS1_3gpuE3ELNS1_3repE0EEENS1_36merge_oddeven_config_static_selectorELNS0_4arch9wavefront6targetE0EEEvSF_.num_vgpr, 0
	.set _ZN7rocprim17ROCPRIM_400000_NS6detail17trampoline_kernelINS0_14default_configENS1_38merge_sort_block_merge_config_selectorItNS0_10empty_typeEEEZZNS1_27merge_sort_block_merge_implIS3_PtPS5_jNS1_19radix_merge_compareILb1ELb1EtNS0_19identity_decomposerEEEEE10hipError_tT0_T1_T2_jT3_P12ihipStream_tbPNSt15iterator_traitsISE_E10value_typeEPNSK_ISF_E10value_typeEPSG_NS1_7vsmem_tEENKUlT_SE_SF_SG_E_clIS8_S8_S9_S9_EESD_ST_SE_SF_SG_EUlST_E1_NS1_11comp_targetILNS1_3genE9ELNS1_11target_archE1100ELNS1_3gpuE3ELNS1_3repE0EEENS1_36merge_oddeven_config_static_selectorELNS0_4arch9wavefront6targetE0EEEvSF_.num_agpr, 0
	.set _ZN7rocprim17ROCPRIM_400000_NS6detail17trampoline_kernelINS0_14default_configENS1_38merge_sort_block_merge_config_selectorItNS0_10empty_typeEEEZZNS1_27merge_sort_block_merge_implIS3_PtPS5_jNS1_19radix_merge_compareILb1ELb1EtNS0_19identity_decomposerEEEEE10hipError_tT0_T1_T2_jT3_P12ihipStream_tbPNSt15iterator_traitsISE_E10value_typeEPNSK_ISF_E10value_typeEPSG_NS1_7vsmem_tEENKUlT_SE_SF_SG_E_clIS8_S8_S9_S9_EESD_ST_SE_SF_SG_EUlST_E1_NS1_11comp_targetILNS1_3genE9ELNS1_11target_archE1100ELNS1_3gpuE3ELNS1_3repE0EEENS1_36merge_oddeven_config_static_selectorELNS0_4arch9wavefront6targetE0EEEvSF_.numbered_sgpr, 0
	.set _ZN7rocprim17ROCPRIM_400000_NS6detail17trampoline_kernelINS0_14default_configENS1_38merge_sort_block_merge_config_selectorItNS0_10empty_typeEEEZZNS1_27merge_sort_block_merge_implIS3_PtPS5_jNS1_19radix_merge_compareILb1ELb1EtNS0_19identity_decomposerEEEEE10hipError_tT0_T1_T2_jT3_P12ihipStream_tbPNSt15iterator_traitsISE_E10value_typeEPNSK_ISF_E10value_typeEPSG_NS1_7vsmem_tEENKUlT_SE_SF_SG_E_clIS8_S8_S9_S9_EESD_ST_SE_SF_SG_EUlST_E1_NS1_11comp_targetILNS1_3genE9ELNS1_11target_archE1100ELNS1_3gpuE3ELNS1_3repE0EEENS1_36merge_oddeven_config_static_selectorELNS0_4arch9wavefront6targetE0EEEvSF_.num_named_barrier, 0
	.set _ZN7rocprim17ROCPRIM_400000_NS6detail17trampoline_kernelINS0_14default_configENS1_38merge_sort_block_merge_config_selectorItNS0_10empty_typeEEEZZNS1_27merge_sort_block_merge_implIS3_PtPS5_jNS1_19radix_merge_compareILb1ELb1EtNS0_19identity_decomposerEEEEE10hipError_tT0_T1_T2_jT3_P12ihipStream_tbPNSt15iterator_traitsISE_E10value_typeEPNSK_ISF_E10value_typeEPSG_NS1_7vsmem_tEENKUlT_SE_SF_SG_E_clIS8_S8_S9_S9_EESD_ST_SE_SF_SG_EUlST_E1_NS1_11comp_targetILNS1_3genE9ELNS1_11target_archE1100ELNS1_3gpuE3ELNS1_3repE0EEENS1_36merge_oddeven_config_static_selectorELNS0_4arch9wavefront6targetE0EEEvSF_.private_seg_size, 0
	.set _ZN7rocprim17ROCPRIM_400000_NS6detail17trampoline_kernelINS0_14default_configENS1_38merge_sort_block_merge_config_selectorItNS0_10empty_typeEEEZZNS1_27merge_sort_block_merge_implIS3_PtPS5_jNS1_19radix_merge_compareILb1ELb1EtNS0_19identity_decomposerEEEEE10hipError_tT0_T1_T2_jT3_P12ihipStream_tbPNSt15iterator_traitsISE_E10value_typeEPNSK_ISF_E10value_typeEPSG_NS1_7vsmem_tEENKUlT_SE_SF_SG_E_clIS8_S8_S9_S9_EESD_ST_SE_SF_SG_EUlST_E1_NS1_11comp_targetILNS1_3genE9ELNS1_11target_archE1100ELNS1_3gpuE3ELNS1_3repE0EEENS1_36merge_oddeven_config_static_selectorELNS0_4arch9wavefront6targetE0EEEvSF_.uses_vcc, 0
	.set _ZN7rocprim17ROCPRIM_400000_NS6detail17trampoline_kernelINS0_14default_configENS1_38merge_sort_block_merge_config_selectorItNS0_10empty_typeEEEZZNS1_27merge_sort_block_merge_implIS3_PtPS5_jNS1_19radix_merge_compareILb1ELb1EtNS0_19identity_decomposerEEEEE10hipError_tT0_T1_T2_jT3_P12ihipStream_tbPNSt15iterator_traitsISE_E10value_typeEPNSK_ISF_E10value_typeEPSG_NS1_7vsmem_tEENKUlT_SE_SF_SG_E_clIS8_S8_S9_S9_EESD_ST_SE_SF_SG_EUlST_E1_NS1_11comp_targetILNS1_3genE9ELNS1_11target_archE1100ELNS1_3gpuE3ELNS1_3repE0EEENS1_36merge_oddeven_config_static_selectorELNS0_4arch9wavefront6targetE0EEEvSF_.uses_flat_scratch, 0
	.set _ZN7rocprim17ROCPRIM_400000_NS6detail17trampoline_kernelINS0_14default_configENS1_38merge_sort_block_merge_config_selectorItNS0_10empty_typeEEEZZNS1_27merge_sort_block_merge_implIS3_PtPS5_jNS1_19radix_merge_compareILb1ELb1EtNS0_19identity_decomposerEEEEE10hipError_tT0_T1_T2_jT3_P12ihipStream_tbPNSt15iterator_traitsISE_E10value_typeEPNSK_ISF_E10value_typeEPSG_NS1_7vsmem_tEENKUlT_SE_SF_SG_E_clIS8_S8_S9_S9_EESD_ST_SE_SF_SG_EUlST_E1_NS1_11comp_targetILNS1_3genE9ELNS1_11target_archE1100ELNS1_3gpuE3ELNS1_3repE0EEENS1_36merge_oddeven_config_static_selectorELNS0_4arch9wavefront6targetE0EEEvSF_.has_dyn_sized_stack, 0
	.set _ZN7rocprim17ROCPRIM_400000_NS6detail17trampoline_kernelINS0_14default_configENS1_38merge_sort_block_merge_config_selectorItNS0_10empty_typeEEEZZNS1_27merge_sort_block_merge_implIS3_PtPS5_jNS1_19radix_merge_compareILb1ELb1EtNS0_19identity_decomposerEEEEE10hipError_tT0_T1_T2_jT3_P12ihipStream_tbPNSt15iterator_traitsISE_E10value_typeEPNSK_ISF_E10value_typeEPSG_NS1_7vsmem_tEENKUlT_SE_SF_SG_E_clIS8_S8_S9_S9_EESD_ST_SE_SF_SG_EUlST_E1_NS1_11comp_targetILNS1_3genE9ELNS1_11target_archE1100ELNS1_3gpuE3ELNS1_3repE0EEENS1_36merge_oddeven_config_static_selectorELNS0_4arch9wavefront6targetE0EEEvSF_.has_recursion, 0
	.set _ZN7rocprim17ROCPRIM_400000_NS6detail17trampoline_kernelINS0_14default_configENS1_38merge_sort_block_merge_config_selectorItNS0_10empty_typeEEEZZNS1_27merge_sort_block_merge_implIS3_PtPS5_jNS1_19radix_merge_compareILb1ELb1EtNS0_19identity_decomposerEEEEE10hipError_tT0_T1_T2_jT3_P12ihipStream_tbPNSt15iterator_traitsISE_E10value_typeEPNSK_ISF_E10value_typeEPSG_NS1_7vsmem_tEENKUlT_SE_SF_SG_E_clIS8_S8_S9_S9_EESD_ST_SE_SF_SG_EUlST_E1_NS1_11comp_targetILNS1_3genE9ELNS1_11target_archE1100ELNS1_3gpuE3ELNS1_3repE0EEENS1_36merge_oddeven_config_static_selectorELNS0_4arch9wavefront6targetE0EEEvSF_.has_indirect_call, 0
	.section	.AMDGPU.csdata,"",@progbits
; Kernel info:
; codeLenInByte = 0
; TotalNumSgprs: 0
; NumVgprs: 0
; ScratchSize: 0
; MemoryBound: 0
; FloatMode: 240
; IeeeMode: 1
; LDSByteSize: 0 bytes/workgroup (compile time only)
; SGPRBlocks: 0
; VGPRBlocks: 0
; NumSGPRsForWavesPerEU: 1
; NumVGPRsForWavesPerEU: 1
; NamedBarCnt: 0
; Occupancy: 16
; WaveLimiterHint : 0
; COMPUTE_PGM_RSRC2:SCRATCH_EN: 0
; COMPUTE_PGM_RSRC2:USER_SGPR: 2
; COMPUTE_PGM_RSRC2:TRAP_HANDLER: 0
; COMPUTE_PGM_RSRC2:TGID_X_EN: 1
; COMPUTE_PGM_RSRC2:TGID_Y_EN: 0
; COMPUTE_PGM_RSRC2:TGID_Z_EN: 0
; COMPUTE_PGM_RSRC2:TIDIG_COMP_CNT: 0
	.section	.text._ZN7rocprim17ROCPRIM_400000_NS6detail17trampoline_kernelINS0_14default_configENS1_38merge_sort_block_merge_config_selectorItNS0_10empty_typeEEEZZNS1_27merge_sort_block_merge_implIS3_PtPS5_jNS1_19radix_merge_compareILb1ELb1EtNS0_19identity_decomposerEEEEE10hipError_tT0_T1_T2_jT3_P12ihipStream_tbPNSt15iterator_traitsISE_E10value_typeEPNSK_ISF_E10value_typeEPSG_NS1_7vsmem_tEENKUlT_SE_SF_SG_E_clIS8_S8_S9_S9_EESD_ST_SE_SF_SG_EUlST_E1_NS1_11comp_targetILNS1_3genE8ELNS1_11target_archE1030ELNS1_3gpuE2ELNS1_3repE0EEENS1_36merge_oddeven_config_static_selectorELNS0_4arch9wavefront6targetE0EEEvSF_,"axG",@progbits,_ZN7rocprim17ROCPRIM_400000_NS6detail17trampoline_kernelINS0_14default_configENS1_38merge_sort_block_merge_config_selectorItNS0_10empty_typeEEEZZNS1_27merge_sort_block_merge_implIS3_PtPS5_jNS1_19radix_merge_compareILb1ELb1EtNS0_19identity_decomposerEEEEE10hipError_tT0_T1_T2_jT3_P12ihipStream_tbPNSt15iterator_traitsISE_E10value_typeEPNSK_ISF_E10value_typeEPSG_NS1_7vsmem_tEENKUlT_SE_SF_SG_E_clIS8_S8_S9_S9_EESD_ST_SE_SF_SG_EUlST_E1_NS1_11comp_targetILNS1_3genE8ELNS1_11target_archE1030ELNS1_3gpuE2ELNS1_3repE0EEENS1_36merge_oddeven_config_static_selectorELNS0_4arch9wavefront6targetE0EEEvSF_,comdat
	.protected	_ZN7rocprim17ROCPRIM_400000_NS6detail17trampoline_kernelINS0_14default_configENS1_38merge_sort_block_merge_config_selectorItNS0_10empty_typeEEEZZNS1_27merge_sort_block_merge_implIS3_PtPS5_jNS1_19radix_merge_compareILb1ELb1EtNS0_19identity_decomposerEEEEE10hipError_tT0_T1_T2_jT3_P12ihipStream_tbPNSt15iterator_traitsISE_E10value_typeEPNSK_ISF_E10value_typeEPSG_NS1_7vsmem_tEENKUlT_SE_SF_SG_E_clIS8_S8_S9_S9_EESD_ST_SE_SF_SG_EUlST_E1_NS1_11comp_targetILNS1_3genE8ELNS1_11target_archE1030ELNS1_3gpuE2ELNS1_3repE0EEENS1_36merge_oddeven_config_static_selectorELNS0_4arch9wavefront6targetE0EEEvSF_ ; -- Begin function _ZN7rocprim17ROCPRIM_400000_NS6detail17trampoline_kernelINS0_14default_configENS1_38merge_sort_block_merge_config_selectorItNS0_10empty_typeEEEZZNS1_27merge_sort_block_merge_implIS3_PtPS5_jNS1_19radix_merge_compareILb1ELb1EtNS0_19identity_decomposerEEEEE10hipError_tT0_T1_T2_jT3_P12ihipStream_tbPNSt15iterator_traitsISE_E10value_typeEPNSK_ISF_E10value_typeEPSG_NS1_7vsmem_tEENKUlT_SE_SF_SG_E_clIS8_S8_S9_S9_EESD_ST_SE_SF_SG_EUlST_E1_NS1_11comp_targetILNS1_3genE8ELNS1_11target_archE1030ELNS1_3gpuE2ELNS1_3repE0EEENS1_36merge_oddeven_config_static_selectorELNS0_4arch9wavefront6targetE0EEEvSF_
	.globl	_ZN7rocprim17ROCPRIM_400000_NS6detail17trampoline_kernelINS0_14default_configENS1_38merge_sort_block_merge_config_selectorItNS0_10empty_typeEEEZZNS1_27merge_sort_block_merge_implIS3_PtPS5_jNS1_19radix_merge_compareILb1ELb1EtNS0_19identity_decomposerEEEEE10hipError_tT0_T1_T2_jT3_P12ihipStream_tbPNSt15iterator_traitsISE_E10value_typeEPNSK_ISF_E10value_typeEPSG_NS1_7vsmem_tEENKUlT_SE_SF_SG_E_clIS8_S8_S9_S9_EESD_ST_SE_SF_SG_EUlST_E1_NS1_11comp_targetILNS1_3genE8ELNS1_11target_archE1030ELNS1_3gpuE2ELNS1_3repE0EEENS1_36merge_oddeven_config_static_selectorELNS0_4arch9wavefront6targetE0EEEvSF_
	.p2align	8
	.type	_ZN7rocprim17ROCPRIM_400000_NS6detail17trampoline_kernelINS0_14default_configENS1_38merge_sort_block_merge_config_selectorItNS0_10empty_typeEEEZZNS1_27merge_sort_block_merge_implIS3_PtPS5_jNS1_19radix_merge_compareILb1ELb1EtNS0_19identity_decomposerEEEEE10hipError_tT0_T1_T2_jT3_P12ihipStream_tbPNSt15iterator_traitsISE_E10value_typeEPNSK_ISF_E10value_typeEPSG_NS1_7vsmem_tEENKUlT_SE_SF_SG_E_clIS8_S8_S9_S9_EESD_ST_SE_SF_SG_EUlST_E1_NS1_11comp_targetILNS1_3genE8ELNS1_11target_archE1030ELNS1_3gpuE2ELNS1_3repE0EEENS1_36merge_oddeven_config_static_selectorELNS0_4arch9wavefront6targetE0EEEvSF_,@function
_ZN7rocprim17ROCPRIM_400000_NS6detail17trampoline_kernelINS0_14default_configENS1_38merge_sort_block_merge_config_selectorItNS0_10empty_typeEEEZZNS1_27merge_sort_block_merge_implIS3_PtPS5_jNS1_19radix_merge_compareILb1ELb1EtNS0_19identity_decomposerEEEEE10hipError_tT0_T1_T2_jT3_P12ihipStream_tbPNSt15iterator_traitsISE_E10value_typeEPNSK_ISF_E10value_typeEPSG_NS1_7vsmem_tEENKUlT_SE_SF_SG_E_clIS8_S8_S9_S9_EESD_ST_SE_SF_SG_EUlST_E1_NS1_11comp_targetILNS1_3genE8ELNS1_11target_archE1030ELNS1_3gpuE2ELNS1_3repE0EEENS1_36merge_oddeven_config_static_selectorELNS0_4arch9wavefront6targetE0EEEvSF_: ; @_ZN7rocprim17ROCPRIM_400000_NS6detail17trampoline_kernelINS0_14default_configENS1_38merge_sort_block_merge_config_selectorItNS0_10empty_typeEEEZZNS1_27merge_sort_block_merge_implIS3_PtPS5_jNS1_19radix_merge_compareILb1ELb1EtNS0_19identity_decomposerEEEEE10hipError_tT0_T1_T2_jT3_P12ihipStream_tbPNSt15iterator_traitsISE_E10value_typeEPNSK_ISF_E10value_typeEPSG_NS1_7vsmem_tEENKUlT_SE_SF_SG_E_clIS8_S8_S9_S9_EESD_ST_SE_SF_SG_EUlST_E1_NS1_11comp_targetILNS1_3genE8ELNS1_11target_archE1030ELNS1_3gpuE2ELNS1_3repE0EEENS1_36merge_oddeven_config_static_selectorELNS0_4arch9wavefront6targetE0EEEvSF_
; %bb.0:
	.section	.rodata,"a",@progbits
	.p2align	6, 0x0
	.amdhsa_kernel _ZN7rocprim17ROCPRIM_400000_NS6detail17trampoline_kernelINS0_14default_configENS1_38merge_sort_block_merge_config_selectorItNS0_10empty_typeEEEZZNS1_27merge_sort_block_merge_implIS3_PtPS5_jNS1_19radix_merge_compareILb1ELb1EtNS0_19identity_decomposerEEEEE10hipError_tT0_T1_T2_jT3_P12ihipStream_tbPNSt15iterator_traitsISE_E10value_typeEPNSK_ISF_E10value_typeEPSG_NS1_7vsmem_tEENKUlT_SE_SF_SG_E_clIS8_S8_S9_S9_EESD_ST_SE_SF_SG_EUlST_E1_NS1_11comp_targetILNS1_3genE8ELNS1_11target_archE1030ELNS1_3gpuE2ELNS1_3repE0EEENS1_36merge_oddeven_config_static_selectorELNS0_4arch9wavefront6targetE0EEEvSF_
		.amdhsa_group_segment_fixed_size 0
		.amdhsa_private_segment_fixed_size 0
		.amdhsa_kernarg_size 48
		.amdhsa_user_sgpr_count 2
		.amdhsa_user_sgpr_dispatch_ptr 0
		.amdhsa_user_sgpr_queue_ptr 0
		.amdhsa_user_sgpr_kernarg_segment_ptr 1
		.amdhsa_user_sgpr_dispatch_id 0
		.amdhsa_user_sgpr_kernarg_preload_length 0
		.amdhsa_user_sgpr_kernarg_preload_offset 0
		.amdhsa_user_sgpr_private_segment_size 0
		.amdhsa_wavefront_size32 1
		.amdhsa_uses_dynamic_stack 0
		.amdhsa_enable_private_segment 0
		.amdhsa_system_sgpr_workgroup_id_x 1
		.amdhsa_system_sgpr_workgroup_id_y 0
		.amdhsa_system_sgpr_workgroup_id_z 0
		.amdhsa_system_sgpr_workgroup_info 0
		.amdhsa_system_vgpr_workitem_id 0
		.amdhsa_next_free_vgpr 1
		.amdhsa_next_free_sgpr 1
		.amdhsa_named_barrier_count 0
		.amdhsa_reserve_vcc 0
		.amdhsa_float_round_mode_32 0
		.amdhsa_float_round_mode_16_64 0
		.amdhsa_float_denorm_mode_32 3
		.amdhsa_float_denorm_mode_16_64 3
		.amdhsa_fp16_overflow 0
		.amdhsa_memory_ordered 1
		.amdhsa_forward_progress 1
		.amdhsa_inst_pref_size 0
		.amdhsa_round_robin_scheduling 0
		.amdhsa_exception_fp_ieee_invalid_op 0
		.amdhsa_exception_fp_denorm_src 0
		.amdhsa_exception_fp_ieee_div_zero 0
		.amdhsa_exception_fp_ieee_overflow 0
		.amdhsa_exception_fp_ieee_underflow 0
		.amdhsa_exception_fp_ieee_inexact 0
		.amdhsa_exception_int_div_zero 0
	.end_amdhsa_kernel
	.section	.text._ZN7rocprim17ROCPRIM_400000_NS6detail17trampoline_kernelINS0_14default_configENS1_38merge_sort_block_merge_config_selectorItNS0_10empty_typeEEEZZNS1_27merge_sort_block_merge_implIS3_PtPS5_jNS1_19radix_merge_compareILb1ELb1EtNS0_19identity_decomposerEEEEE10hipError_tT0_T1_T2_jT3_P12ihipStream_tbPNSt15iterator_traitsISE_E10value_typeEPNSK_ISF_E10value_typeEPSG_NS1_7vsmem_tEENKUlT_SE_SF_SG_E_clIS8_S8_S9_S9_EESD_ST_SE_SF_SG_EUlST_E1_NS1_11comp_targetILNS1_3genE8ELNS1_11target_archE1030ELNS1_3gpuE2ELNS1_3repE0EEENS1_36merge_oddeven_config_static_selectorELNS0_4arch9wavefront6targetE0EEEvSF_,"axG",@progbits,_ZN7rocprim17ROCPRIM_400000_NS6detail17trampoline_kernelINS0_14default_configENS1_38merge_sort_block_merge_config_selectorItNS0_10empty_typeEEEZZNS1_27merge_sort_block_merge_implIS3_PtPS5_jNS1_19radix_merge_compareILb1ELb1EtNS0_19identity_decomposerEEEEE10hipError_tT0_T1_T2_jT3_P12ihipStream_tbPNSt15iterator_traitsISE_E10value_typeEPNSK_ISF_E10value_typeEPSG_NS1_7vsmem_tEENKUlT_SE_SF_SG_E_clIS8_S8_S9_S9_EESD_ST_SE_SF_SG_EUlST_E1_NS1_11comp_targetILNS1_3genE8ELNS1_11target_archE1030ELNS1_3gpuE2ELNS1_3repE0EEENS1_36merge_oddeven_config_static_selectorELNS0_4arch9wavefront6targetE0EEEvSF_,comdat
.Lfunc_end2359:
	.size	_ZN7rocprim17ROCPRIM_400000_NS6detail17trampoline_kernelINS0_14default_configENS1_38merge_sort_block_merge_config_selectorItNS0_10empty_typeEEEZZNS1_27merge_sort_block_merge_implIS3_PtPS5_jNS1_19radix_merge_compareILb1ELb1EtNS0_19identity_decomposerEEEEE10hipError_tT0_T1_T2_jT3_P12ihipStream_tbPNSt15iterator_traitsISE_E10value_typeEPNSK_ISF_E10value_typeEPSG_NS1_7vsmem_tEENKUlT_SE_SF_SG_E_clIS8_S8_S9_S9_EESD_ST_SE_SF_SG_EUlST_E1_NS1_11comp_targetILNS1_3genE8ELNS1_11target_archE1030ELNS1_3gpuE2ELNS1_3repE0EEENS1_36merge_oddeven_config_static_selectorELNS0_4arch9wavefront6targetE0EEEvSF_, .Lfunc_end2359-_ZN7rocprim17ROCPRIM_400000_NS6detail17trampoline_kernelINS0_14default_configENS1_38merge_sort_block_merge_config_selectorItNS0_10empty_typeEEEZZNS1_27merge_sort_block_merge_implIS3_PtPS5_jNS1_19radix_merge_compareILb1ELb1EtNS0_19identity_decomposerEEEEE10hipError_tT0_T1_T2_jT3_P12ihipStream_tbPNSt15iterator_traitsISE_E10value_typeEPNSK_ISF_E10value_typeEPSG_NS1_7vsmem_tEENKUlT_SE_SF_SG_E_clIS8_S8_S9_S9_EESD_ST_SE_SF_SG_EUlST_E1_NS1_11comp_targetILNS1_3genE8ELNS1_11target_archE1030ELNS1_3gpuE2ELNS1_3repE0EEENS1_36merge_oddeven_config_static_selectorELNS0_4arch9wavefront6targetE0EEEvSF_
                                        ; -- End function
	.set _ZN7rocprim17ROCPRIM_400000_NS6detail17trampoline_kernelINS0_14default_configENS1_38merge_sort_block_merge_config_selectorItNS0_10empty_typeEEEZZNS1_27merge_sort_block_merge_implIS3_PtPS5_jNS1_19radix_merge_compareILb1ELb1EtNS0_19identity_decomposerEEEEE10hipError_tT0_T1_T2_jT3_P12ihipStream_tbPNSt15iterator_traitsISE_E10value_typeEPNSK_ISF_E10value_typeEPSG_NS1_7vsmem_tEENKUlT_SE_SF_SG_E_clIS8_S8_S9_S9_EESD_ST_SE_SF_SG_EUlST_E1_NS1_11comp_targetILNS1_3genE8ELNS1_11target_archE1030ELNS1_3gpuE2ELNS1_3repE0EEENS1_36merge_oddeven_config_static_selectorELNS0_4arch9wavefront6targetE0EEEvSF_.num_vgpr, 0
	.set _ZN7rocprim17ROCPRIM_400000_NS6detail17trampoline_kernelINS0_14default_configENS1_38merge_sort_block_merge_config_selectorItNS0_10empty_typeEEEZZNS1_27merge_sort_block_merge_implIS3_PtPS5_jNS1_19radix_merge_compareILb1ELb1EtNS0_19identity_decomposerEEEEE10hipError_tT0_T1_T2_jT3_P12ihipStream_tbPNSt15iterator_traitsISE_E10value_typeEPNSK_ISF_E10value_typeEPSG_NS1_7vsmem_tEENKUlT_SE_SF_SG_E_clIS8_S8_S9_S9_EESD_ST_SE_SF_SG_EUlST_E1_NS1_11comp_targetILNS1_3genE8ELNS1_11target_archE1030ELNS1_3gpuE2ELNS1_3repE0EEENS1_36merge_oddeven_config_static_selectorELNS0_4arch9wavefront6targetE0EEEvSF_.num_agpr, 0
	.set _ZN7rocprim17ROCPRIM_400000_NS6detail17trampoline_kernelINS0_14default_configENS1_38merge_sort_block_merge_config_selectorItNS0_10empty_typeEEEZZNS1_27merge_sort_block_merge_implIS3_PtPS5_jNS1_19radix_merge_compareILb1ELb1EtNS0_19identity_decomposerEEEEE10hipError_tT0_T1_T2_jT3_P12ihipStream_tbPNSt15iterator_traitsISE_E10value_typeEPNSK_ISF_E10value_typeEPSG_NS1_7vsmem_tEENKUlT_SE_SF_SG_E_clIS8_S8_S9_S9_EESD_ST_SE_SF_SG_EUlST_E1_NS1_11comp_targetILNS1_3genE8ELNS1_11target_archE1030ELNS1_3gpuE2ELNS1_3repE0EEENS1_36merge_oddeven_config_static_selectorELNS0_4arch9wavefront6targetE0EEEvSF_.numbered_sgpr, 0
	.set _ZN7rocprim17ROCPRIM_400000_NS6detail17trampoline_kernelINS0_14default_configENS1_38merge_sort_block_merge_config_selectorItNS0_10empty_typeEEEZZNS1_27merge_sort_block_merge_implIS3_PtPS5_jNS1_19radix_merge_compareILb1ELb1EtNS0_19identity_decomposerEEEEE10hipError_tT0_T1_T2_jT3_P12ihipStream_tbPNSt15iterator_traitsISE_E10value_typeEPNSK_ISF_E10value_typeEPSG_NS1_7vsmem_tEENKUlT_SE_SF_SG_E_clIS8_S8_S9_S9_EESD_ST_SE_SF_SG_EUlST_E1_NS1_11comp_targetILNS1_3genE8ELNS1_11target_archE1030ELNS1_3gpuE2ELNS1_3repE0EEENS1_36merge_oddeven_config_static_selectorELNS0_4arch9wavefront6targetE0EEEvSF_.num_named_barrier, 0
	.set _ZN7rocprim17ROCPRIM_400000_NS6detail17trampoline_kernelINS0_14default_configENS1_38merge_sort_block_merge_config_selectorItNS0_10empty_typeEEEZZNS1_27merge_sort_block_merge_implIS3_PtPS5_jNS1_19radix_merge_compareILb1ELb1EtNS0_19identity_decomposerEEEEE10hipError_tT0_T1_T2_jT3_P12ihipStream_tbPNSt15iterator_traitsISE_E10value_typeEPNSK_ISF_E10value_typeEPSG_NS1_7vsmem_tEENKUlT_SE_SF_SG_E_clIS8_S8_S9_S9_EESD_ST_SE_SF_SG_EUlST_E1_NS1_11comp_targetILNS1_3genE8ELNS1_11target_archE1030ELNS1_3gpuE2ELNS1_3repE0EEENS1_36merge_oddeven_config_static_selectorELNS0_4arch9wavefront6targetE0EEEvSF_.private_seg_size, 0
	.set _ZN7rocprim17ROCPRIM_400000_NS6detail17trampoline_kernelINS0_14default_configENS1_38merge_sort_block_merge_config_selectorItNS0_10empty_typeEEEZZNS1_27merge_sort_block_merge_implIS3_PtPS5_jNS1_19radix_merge_compareILb1ELb1EtNS0_19identity_decomposerEEEEE10hipError_tT0_T1_T2_jT3_P12ihipStream_tbPNSt15iterator_traitsISE_E10value_typeEPNSK_ISF_E10value_typeEPSG_NS1_7vsmem_tEENKUlT_SE_SF_SG_E_clIS8_S8_S9_S9_EESD_ST_SE_SF_SG_EUlST_E1_NS1_11comp_targetILNS1_3genE8ELNS1_11target_archE1030ELNS1_3gpuE2ELNS1_3repE0EEENS1_36merge_oddeven_config_static_selectorELNS0_4arch9wavefront6targetE0EEEvSF_.uses_vcc, 0
	.set _ZN7rocprim17ROCPRIM_400000_NS6detail17trampoline_kernelINS0_14default_configENS1_38merge_sort_block_merge_config_selectorItNS0_10empty_typeEEEZZNS1_27merge_sort_block_merge_implIS3_PtPS5_jNS1_19radix_merge_compareILb1ELb1EtNS0_19identity_decomposerEEEEE10hipError_tT0_T1_T2_jT3_P12ihipStream_tbPNSt15iterator_traitsISE_E10value_typeEPNSK_ISF_E10value_typeEPSG_NS1_7vsmem_tEENKUlT_SE_SF_SG_E_clIS8_S8_S9_S9_EESD_ST_SE_SF_SG_EUlST_E1_NS1_11comp_targetILNS1_3genE8ELNS1_11target_archE1030ELNS1_3gpuE2ELNS1_3repE0EEENS1_36merge_oddeven_config_static_selectorELNS0_4arch9wavefront6targetE0EEEvSF_.uses_flat_scratch, 0
	.set _ZN7rocprim17ROCPRIM_400000_NS6detail17trampoline_kernelINS0_14default_configENS1_38merge_sort_block_merge_config_selectorItNS0_10empty_typeEEEZZNS1_27merge_sort_block_merge_implIS3_PtPS5_jNS1_19radix_merge_compareILb1ELb1EtNS0_19identity_decomposerEEEEE10hipError_tT0_T1_T2_jT3_P12ihipStream_tbPNSt15iterator_traitsISE_E10value_typeEPNSK_ISF_E10value_typeEPSG_NS1_7vsmem_tEENKUlT_SE_SF_SG_E_clIS8_S8_S9_S9_EESD_ST_SE_SF_SG_EUlST_E1_NS1_11comp_targetILNS1_3genE8ELNS1_11target_archE1030ELNS1_3gpuE2ELNS1_3repE0EEENS1_36merge_oddeven_config_static_selectorELNS0_4arch9wavefront6targetE0EEEvSF_.has_dyn_sized_stack, 0
	.set _ZN7rocprim17ROCPRIM_400000_NS6detail17trampoline_kernelINS0_14default_configENS1_38merge_sort_block_merge_config_selectorItNS0_10empty_typeEEEZZNS1_27merge_sort_block_merge_implIS3_PtPS5_jNS1_19radix_merge_compareILb1ELb1EtNS0_19identity_decomposerEEEEE10hipError_tT0_T1_T2_jT3_P12ihipStream_tbPNSt15iterator_traitsISE_E10value_typeEPNSK_ISF_E10value_typeEPSG_NS1_7vsmem_tEENKUlT_SE_SF_SG_E_clIS8_S8_S9_S9_EESD_ST_SE_SF_SG_EUlST_E1_NS1_11comp_targetILNS1_3genE8ELNS1_11target_archE1030ELNS1_3gpuE2ELNS1_3repE0EEENS1_36merge_oddeven_config_static_selectorELNS0_4arch9wavefront6targetE0EEEvSF_.has_recursion, 0
	.set _ZN7rocprim17ROCPRIM_400000_NS6detail17trampoline_kernelINS0_14default_configENS1_38merge_sort_block_merge_config_selectorItNS0_10empty_typeEEEZZNS1_27merge_sort_block_merge_implIS3_PtPS5_jNS1_19radix_merge_compareILb1ELb1EtNS0_19identity_decomposerEEEEE10hipError_tT0_T1_T2_jT3_P12ihipStream_tbPNSt15iterator_traitsISE_E10value_typeEPNSK_ISF_E10value_typeEPSG_NS1_7vsmem_tEENKUlT_SE_SF_SG_E_clIS8_S8_S9_S9_EESD_ST_SE_SF_SG_EUlST_E1_NS1_11comp_targetILNS1_3genE8ELNS1_11target_archE1030ELNS1_3gpuE2ELNS1_3repE0EEENS1_36merge_oddeven_config_static_selectorELNS0_4arch9wavefront6targetE0EEEvSF_.has_indirect_call, 0
	.section	.AMDGPU.csdata,"",@progbits
; Kernel info:
; codeLenInByte = 0
; TotalNumSgprs: 0
; NumVgprs: 0
; ScratchSize: 0
; MemoryBound: 0
; FloatMode: 240
; IeeeMode: 1
; LDSByteSize: 0 bytes/workgroup (compile time only)
; SGPRBlocks: 0
; VGPRBlocks: 0
; NumSGPRsForWavesPerEU: 1
; NumVGPRsForWavesPerEU: 1
; NamedBarCnt: 0
; Occupancy: 16
; WaveLimiterHint : 0
; COMPUTE_PGM_RSRC2:SCRATCH_EN: 0
; COMPUTE_PGM_RSRC2:USER_SGPR: 2
; COMPUTE_PGM_RSRC2:TRAP_HANDLER: 0
; COMPUTE_PGM_RSRC2:TGID_X_EN: 1
; COMPUTE_PGM_RSRC2:TGID_Y_EN: 0
; COMPUTE_PGM_RSRC2:TGID_Z_EN: 0
; COMPUTE_PGM_RSRC2:TIDIG_COMP_CNT: 0
	.section	.text._ZN7rocprim17ROCPRIM_400000_NS6detail17trampoline_kernelINS0_14default_configENS1_35radix_sort_onesweep_config_selectorItNS0_10empty_typeEEEZNS1_34radix_sort_onesweep_global_offsetsIS3_Lb1EPKtPS5_mNS0_19identity_decomposerEEE10hipError_tT1_T2_PT3_SF_jT4_jjP12ihipStream_tbEUlT_E_NS1_11comp_targetILNS1_3genE0ELNS1_11target_archE4294967295ELNS1_3gpuE0ELNS1_3repE0EEENS1_52radix_sort_onesweep_histogram_config_static_selectorELNS0_4arch9wavefront6targetE0EEEvSD_,"axG",@progbits,_ZN7rocprim17ROCPRIM_400000_NS6detail17trampoline_kernelINS0_14default_configENS1_35radix_sort_onesweep_config_selectorItNS0_10empty_typeEEEZNS1_34radix_sort_onesweep_global_offsetsIS3_Lb1EPKtPS5_mNS0_19identity_decomposerEEE10hipError_tT1_T2_PT3_SF_jT4_jjP12ihipStream_tbEUlT_E_NS1_11comp_targetILNS1_3genE0ELNS1_11target_archE4294967295ELNS1_3gpuE0ELNS1_3repE0EEENS1_52radix_sort_onesweep_histogram_config_static_selectorELNS0_4arch9wavefront6targetE0EEEvSD_,comdat
	.protected	_ZN7rocprim17ROCPRIM_400000_NS6detail17trampoline_kernelINS0_14default_configENS1_35radix_sort_onesweep_config_selectorItNS0_10empty_typeEEEZNS1_34radix_sort_onesweep_global_offsetsIS3_Lb1EPKtPS5_mNS0_19identity_decomposerEEE10hipError_tT1_T2_PT3_SF_jT4_jjP12ihipStream_tbEUlT_E_NS1_11comp_targetILNS1_3genE0ELNS1_11target_archE4294967295ELNS1_3gpuE0ELNS1_3repE0EEENS1_52radix_sort_onesweep_histogram_config_static_selectorELNS0_4arch9wavefront6targetE0EEEvSD_ ; -- Begin function _ZN7rocprim17ROCPRIM_400000_NS6detail17trampoline_kernelINS0_14default_configENS1_35radix_sort_onesweep_config_selectorItNS0_10empty_typeEEEZNS1_34radix_sort_onesweep_global_offsetsIS3_Lb1EPKtPS5_mNS0_19identity_decomposerEEE10hipError_tT1_T2_PT3_SF_jT4_jjP12ihipStream_tbEUlT_E_NS1_11comp_targetILNS1_3genE0ELNS1_11target_archE4294967295ELNS1_3gpuE0ELNS1_3repE0EEENS1_52radix_sort_onesweep_histogram_config_static_selectorELNS0_4arch9wavefront6targetE0EEEvSD_
	.globl	_ZN7rocprim17ROCPRIM_400000_NS6detail17trampoline_kernelINS0_14default_configENS1_35radix_sort_onesweep_config_selectorItNS0_10empty_typeEEEZNS1_34radix_sort_onesweep_global_offsetsIS3_Lb1EPKtPS5_mNS0_19identity_decomposerEEE10hipError_tT1_T2_PT3_SF_jT4_jjP12ihipStream_tbEUlT_E_NS1_11comp_targetILNS1_3genE0ELNS1_11target_archE4294967295ELNS1_3gpuE0ELNS1_3repE0EEENS1_52radix_sort_onesweep_histogram_config_static_selectorELNS0_4arch9wavefront6targetE0EEEvSD_
	.p2align	8
	.type	_ZN7rocprim17ROCPRIM_400000_NS6detail17trampoline_kernelINS0_14default_configENS1_35radix_sort_onesweep_config_selectorItNS0_10empty_typeEEEZNS1_34radix_sort_onesweep_global_offsetsIS3_Lb1EPKtPS5_mNS0_19identity_decomposerEEE10hipError_tT1_T2_PT3_SF_jT4_jjP12ihipStream_tbEUlT_E_NS1_11comp_targetILNS1_3genE0ELNS1_11target_archE4294967295ELNS1_3gpuE0ELNS1_3repE0EEENS1_52radix_sort_onesweep_histogram_config_static_selectorELNS0_4arch9wavefront6targetE0EEEvSD_,@function
_ZN7rocprim17ROCPRIM_400000_NS6detail17trampoline_kernelINS0_14default_configENS1_35radix_sort_onesweep_config_selectorItNS0_10empty_typeEEEZNS1_34radix_sort_onesweep_global_offsetsIS3_Lb1EPKtPS5_mNS0_19identity_decomposerEEE10hipError_tT1_T2_PT3_SF_jT4_jjP12ihipStream_tbEUlT_E_NS1_11comp_targetILNS1_3genE0ELNS1_11target_archE4294967295ELNS1_3gpuE0ELNS1_3repE0EEENS1_52radix_sort_onesweep_histogram_config_static_selectorELNS0_4arch9wavefront6targetE0EEEvSD_: ; @_ZN7rocprim17ROCPRIM_400000_NS6detail17trampoline_kernelINS0_14default_configENS1_35radix_sort_onesweep_config_selectorItNS0_10empty_typeEEEZNS1_34radix_sort_onesweep_global_offsetsIS3_Lb1EPKtPS5_mNS0_19identity_decomposerEEE10hipError_tT1_T2_PT3_SF_jT4_jjP12ihipStream_tbEUlT_E_NS1_11comp_targetILNS1_3genE0ELNS1_11target_archE4294967295ELNS1_3gpuE0ELNS1_3repE0EEENS1_52radix_sort_onesweep_histogram_config_static_selectorELNS0_4arch9wavefront6targetE0EEEvSD_
; %bb.0:
	s_clause 0x1
	s_load_b64 s[8:9], s[0:1], 0x18
	s_load_b128 s[4:7], s[0:1], 0x0
	s_bfe_u32 s10, ttmp6, 0x4000c
	s_load_b64 s[2:3], s[0:1], 0x24
	s_add_co_i32 s10, s10, 1
	s_and_b32 s11, ttmp6, 15
	s_mul_i32 s10, ttmp9, s10
	s_getreg_b32 s12, hwreg(HW_REG_IB_STS2, 6, 4)
	s_add_co_i32 s10, s11, s10
	s_cmp_eq_u32 s12, 0
	s_mov_b32 s11, 0
	s_cselect_b32 s10, ttmp9, s10
	s_wait_kmcnt 0x0
	v_cmp_le_u64_e64 s9, s[8:9], s[10:11]
	s_mul_u64 s[10:11], s[10:11], 0x3000
	s_delay_alu instid0(SALU_CYCLE_1)
	s_add_nc_u64 s[4:5], s[4:5], s[10:11]
	s_and_b32 vcc_lo, exec_lo, s9
	s_mov_b32 s9, -1
	s_cbranch_vccz .LBB2360_119
; %bb.1:
	s_load_b32 s1, s[0:1], 0x10
	v_mov_b32_e32 v2, 0
	s_wait_xcnt 0x0
	s_mul_i32 s0, s8, 0xffffe800
	s_delay_alu instid0(VALU_DEP_1)
	v_dual_mov_b32 v3, v2 :: v_dual_mov_b32 v4, v2
	v_dual_mov_b32 v5, v2 :: v_dual_mov_b32 v6, v2
	v_mov_b32_e32 v7, v2
	s_wait_kmcnt 0x0
	s_add_co_i32 s1, s1, s0
	s_mov_b32 s0, exec_lo
	v_cmpx_gt_u32_e64 s1, v0
	s_cbranch_execz .LBB2360_3
; %bb.2:
	global_load_u16 v1, v0, s[4:5] scale_offset
	v_dual_mov_b32 v5, v2 :: v_dual_mov_b32 v6, v2
	v_dual_mov_b32 v7, v2 :: v_dual_mov_b32 v8, v2
	v_mov_b32_e32 v9, v2
	s_wait_loadcnt 0x0
	v_and_b32_e32 v4, 0xffff, v1
	s_delay_alu instid0(VALU_DEP_1)
	v_mov_b64_e32 v[2:3], v[4:5]
	v_mov_b64_e32 v[4:5], v[6:7]
	v_mov_b64_e32 v[6:7], v[8:9]
	v_mov_b64_e32 v[8:9], v[10:11]
.LBB2360_3:
	s_or_b32 exec_lo, exec_lo, s0
	v_or_b32_e32 v19, 0x200, v0
	s_mov_b32 s0, exec_lo
	s_delay_alu instid0(VALU_DEP_1)
	v_cmpx_gt_u32_e64 s1, v19
	s_cbranch_execz .LBB2360_5
; %bb.4:
	global_load_u16 v1, v0, s[4:5] offset:1024 scale_offset
	s_wait_loadcnt 0x0
	v_perm_b32 v2, v1, v2, 0x5040100
.LBB2360_5:
	s_or_b32 exec_lo, exec_lo, s0
	v_or_b32_e32 v18, 0x400, v0
	s_mov_b32 s0, exec_lo
	s_delay_alu instid0(VALU_DEP_1)
	v_cmpx_gt_u32_e64 s1, v18
	s_cbranch_execz .LBB2360_7
; %bb.6:
	global_load_u16 v1, v0, s[4:5] offset:2048 scale_offset
	s_wait_loadcnt 0x0
	v_bfi_b32 v3, 0xffff, v1, v3
.LBB2360_7:
	s_or_b32 exec_lo, exec_lo, s0
	v_or_b32_e32 v17, 0x600, v0
	s_mov_b32 s0, exec_lo
	s_delay_alu instid0(VALU_DEP_1)
	v_cmpx_gt_u32_e64 s1, v17
	s_cbranch_execz .LBB2360_9
; %bb.8:
	global_load_u16 v1, v0, s[4:5] offset:3072 scale_offset
	s_wait_loadcnt 0x0
	v_perm_b32 v3, v1, v3, 0x5040100
.LBB2360_9:
	s_or_b32 exec_lo, exec_lo, s0
	v_or_b32_e32 v16, 0x800, v0
	s_mov_b32 s0, exec_lo
	s_delay_alu instid0(VALU_DEP_1)
	v_cmpx_gt_u32_e64 s1, v16
	s_cbranch_execz .LBB2360_11
; %bb.10:
	global_load_u16 v1, v0, s[4:5] offset:4096 scale_offset
	s_wait_loadcnt 0x0
	v_bfi_b32 v4, 0xffff, v1, v4
.LBB2360_11:
	;; [unrolled: 22-line block ×5, first 2 shown]
	s_or_b32 exec_lo, exec_lo, s0
	v_or_b32_e32 v9, 0x1600, v0
	s_mov_b32 s0, exec_lo
	s_delay_alu instid0(VALU_DEP_1)
	v_cmpx_gt_u32_e64 s1, v9
	s_cbranch_execz .LBB2360_25
; %bb.24:
	global_load_u16 v1, v0, s[4:5] offset:11264 scale_offset
	s_wait_loadcnt 0x0
	v_perm_b32 v7, v1, v7, 0x5040100
.LBB2360_25:
	s_or_b32 exec_lo, exec_lo, s0
	v_dual_mov_b32 v8, 0 :: v_dual_lshlrev_b32 v1, 2, v0
	s_mov_b32 s0, -1
	ds_store_2addr_stride64_b32 v1, v8, v8 offset1:8
	s_and_saveexec_b32 s8, s0
; %bb.26:
	ds_store_b32 v1, v8 offset:4096
; %bb.27:
	s_or_b32 exec_lo, exec_lo, s8
	s_and_saveexec_b32 s8, s0
; %bb.28:
	v_mov_b32_e32 v8, 0
	ds_store_b32 v1, v8 offset:6144
; %bb.29:
	s_or_b32 exec_lo, exec_lo, s8
	s_cmp_le_u32 s3, s2
	v_xor_b32_e32 v20, -1, v2
	s_cselect_b32 s8, -1, 0
	v_cmp_le_u32_e32 vcc_lo, s1, v0
	s_and_b32 s0, s8, exec_lo
	s_cselect_b32 s9, 8, 10
	s_delay_alu instid0(SALU_CYCLE_1)
	v_dual_mov_b32 v21, s9 :: v_dual_bitop2_b32 v8, 3, v0 bitop3:0x40
	v_and_b32_e32 v20, 0xffff, v20
	s_nor_b32 s10, s8, vcc_lo
	s_wait_dscnt 0x0
	s_barrier_signal -1
	s_barrier_wait -1
	s_and_saveexec_b32 s0, s10
	s_cbranch_execz .LBB2360_31
; %bb.30:
	v_lshrrev_b32_e32 v21, s2, v20
	s_sub_co_i32 s10, s3, s2
	v_lshlrev_b32_e32 v22, 2, v8
	s_min_u32 s10, s10, 8
	s_delay_alu instid0(VALU_DEP_2) | instid1(SALU_CYCLE_1)
	v_bfe_u32 v21, v21, 0, s10
	s_delay_alu instid0(VALU_DEP_1)
	v_lshl_or_b32 v21, v21, 4, v22
	v_mov_b32_e32 v22, 1
	ds_add_u32 v21, v22
	v_mov_b32_e32 v21, 0
.LBB2360_31:
	s_or_b32 exec_lo, exec_lo, s0
	s_mov_b32 s10, -1
	s_mov_b32 s11, exec_lo
	s_delay_alu instid0(VALU_DEP_1)
	v_cmpx_gt_i32_e32 10, v21
; %bb.32:
	v_cmp_eq_u32_e64 s0, 0, v21
	s_or_not1_b32 s10, s0, exec_lo
; %bb.33:
	s_or_b32 exec_lo, exec_lo, s11
	s_and_saveexec_b32 s0, s10
	s_cbranch_execz .LBB2360_36
; %bb.34:
	s_add_co_i32 s10, s2, 8
	s_delay_alu instid0(SALU_CYCLE_1) | instskip(SKIP_2) | instid1(SALU_CYCLE_1)
	s_cmp_gt_u32 s3, s10
	s_cselect_b32 s11, -1, 0
	s_xor_b32 s12, vcc_lo, -1
	s_and_b32 s11, s11, s12
	s_delay_alu instid0(SALU_CYCLE_1)
	s_and_b32 exec_lo, exec_lo, s11
	s_cbranch_execz .LBB2360_36
; %bb.35:
	v_lshrrev_b32_e32 v20, s10, v20
	s_sub_co_i32 s10, s3, s10
	v_lshlrev_b32_e32 v21, 2, v8
	s_min_u32 s10, s10, 8
	s_delay_alu instid0(VALU_DEP_2) | instid1(SALU_CYCLE_1)
	v_bfe_u32 v20, v20, 0, s10
	s_delay_alu instid0(VALU_DEP_1)
	v_lshl_or_b32 v20, v20, 4, v21
	v_mov_b32_e32 v21, 1
	ds_add_u32 v20, v21 offset:4096
.LBB2360_36:
	s_or_b32 exec_lo, exec_lo, s0
	v_lshrrev_b32_e32 v2, 16, v2
	v_cmp_le_u32_e32 vcc_lo, s1, v19
	s_delay_alu instid0(VALU_DEP_2) | instskip(SKIP_1) | instid1(VALU_DEP_1)
	v_dual_mov_b32 v19, s9 :: v_dual_bitop2_b32 v2, -1, v2 bitop3:0x14
	s_nor_b32 s10, s8, vcc_lo
	v_and_b32_e32 v2, 0xffff, v2
	s_and_saveexec_b32 s0, s10
	s_cbranch_execz .LBB2360_38
; %bb.37:
	s_delay_alu instid0(VALU_DEP_1) | instskip(SKIP_1) | instid1(SALU_CYCLE_1)
	v_dual_lshrrev_b32 v19, s2, v2 :: v_dual_lshlrev_b32 v20, 2, v8
	s_sub_co_i32 s10, s3, s2
	s_min_u32 s10, s10, 8
	s_delay_alu instid0(VALU_DEP_1) | instid1(SALU_CYCLE_1)
	v_bfe_u32 v19, v19, 0, s10
	s_delay_alu instid0(VALU_DEP_1)
	v_lshl_or_b32 v19, v19, 4, v20
	v_mov_b32_e32 v20, 1
	ds_add_u32 v19, v20
	v_mov_b32_e32 v19, 0
.LBB2360_38:
	s_or_b32 exec_lo, exec_lo, s0
	s_mov_b32 s10, -1
	s_mov_b32 s11, exec_lo
	s_delay_alu instid0(VALU_DEP_1)
	v_cmpx_gt_i32_e32 10, v19
; %bb.39:
	v_cmp_eq_u32_e64 s0, 0, v19
	s_or_not1_b32 s10, s0, exec_lo
; %bb.40:
	s_or_b32 exec_lo, exec_lo, s11
	s_and_saveexec_b32 s0, s10
	s_cbranch_execz .LBB2360_43
; %bb.41:
	s_add_co_i32 s10, s2, 8
	s_delay_alu instid0(SALU_CYCLE_1) | instskip(SKIP_2) | instid1(SALU_CYCLE_1)
	s_cmp_gt_u32 s3, s10
	s_cselect_b32 s11, -1, 0
	s_xor_b32 s12, vcc_lo, -1
	s_and_b32 s11, s11, s12
	s_delay_alu instid0(SALU_CYCLE_1)
	s_and_b32 exec_lo, exec_lo, s11
	s_cbranch_execz .LBB2360_43
; %bb.42:
	v_dual_lshrrev_b32 v2, s10, v2 :: v_dual_lshlrev_b32 v19, 2, v8
	s_sub_co_i32 s10, s3, s10
	s_delay_alu instid0(SALU_CYCLE_1)
	s_min_u32 s10, s10, 8
	s_delay_alu instid0(VALU_DEP_1) | instid1(SALU_CYCLE_1)
	v_bfe_u32 v2, v2, 0, s10
	s_delay_alu instid0(VALU_DEP_1)
	v_lshl_or_b32 v2, v2, 4, v19
	v_mov_b32_e32 v19, 1
	ds_add_u32 v2, v19 offset:4096
.LBB2360_43:
	s_or_b32 exec_lo, exec_lo, s0
	v_xor_b32_e32 v2, -1, v3
	v_cmp_le_u32_e32 vcc_lo, s1, v18
	v_mov_b32_e32 v18, s9
	s_delay_alu instid0(VALU_DEP_3) | instskip(SKIP_1) | instid1(SALU_CYCLE_1)
	v_and_b32_e32 v2, 0xffff, v2
	s_nor_b32 s10, s8, vcc_lo
	s_and_saveexec_b32 s0, s10
	s_cbranch_execz .LBB2360_45
; %bb.44:
	s_delay_alu instid0(VALU_DEP_1) | instskip(SKIP_1) | instid1(SALU_CYCLE_1)
	v_dual_lshrrev_b32 v18, s2, v2 :: v_dual_lshlrev_b32 v19, 2, v8
	s_sub_co_i32 s10, s3, s2
	s_min_u32 s10, s10, 8
	s_delay_alu instid0(VALU_DEP_1) | instid1(SALU_CYCLE_1)
	v_bfe_u32 v18, v18, 0, s10
	s_delay_alu instid0(VALU_DEP_1)
	v_lshl_or_b32 v18, v18, 4, v19
	v_mov_b32_e32 v19, 1
	ds_add_u32 v18, v19
	v_mov_b32_e32 v18, 0
.LBB2360_45:
	s_or_b32 exec_lo, exec_lo, s0
	s_mov_b32 s10, -1
	s_mov_b32 s11, exec_lo
	s_delay_alu instid0(VALU_DEP_1)
	v_cmpx_gt_i32_e32 10, v18
; %bb.46:
	v_cmp_eq_u32_e64 s0, 0, v18
	s_or_not1_b32 s10, s0, exec_lo
; %bb.47:
	s_or_b32 exec_lo, exec_lo, s11
	s_and_saveexec_b32 s0, s10
	s_cbranch_execz .LBB2360_50
; %bb.48:
	s_add_co_i32 s10, s2, 8
	s_delay_alu instid0(SALU_CYCLE_1) | instskip(SKIP_2) | instid1(SALU_CYCLE_1)
	s_cmp_gt_u32 s3, s10
	s_cselect_b32 s11, -1, 0
	s_xor_b32 s12, vcc_lo, -1
	s_and_b32 s11, s11, s12
	s_delay_alu instid0(SALU_CYCLE_1)
	s_and_b32 exec_lo, exec_lo, s11
	s_cbranch_execz .LBB2360_50
; %bb.49:
	v_dual_lshrrev_b32 v2, s10, v2 :: v_dual_lshlrev_b32 v18, 2, v8
	s_sub_co_i32 s10, s3, s10
	s_delay_alu instid0(SALU_CYCLE_1)
	s_min_u32 s10, s10, 8
	s_delay_alu instid0(VALU_DEP_1) | instid1(SALU_CYCLE_1)
	v_bfe_u32 v2, v2, 0, s10
	s_delay_alu instid0(VALU_DEP_1)
	v_lshl_or_b32 v2, v2, 4, v18
	v_mov_b32_e32 v18, 1
	ds_add_u32 v2, v18 offset:4096
.LBB2360_50:
	s_or_b32 exec_lo, exec_lo, s0
	v_dual_mov_b32 v3, s9 :: v_dual_lshrrev_b32 v2, 16, v3
	v_cmp_le_u32_e32 vcc_lo, s1, v17
	s_delay_alu instid0(VALU_DEP_2) | instskip(SKIP_1) | instid1(VALU_DEP_1)
	v_xor_b32_e32 v2, -1, v2
	s_nor_b32 s10, s8, vcc_lo
	v_and_b32_e32 v2, 0xffff, v2
	s_and_saveexec_b32 s0, s10
	s_cbranch_execz .LBB2360_52
; %bb.51:
	s_delay_alu instid0(VALU_DEP_1) | instskip(SKIP_1) | instid1(SALU_CYCLE_1)
	v_dual_lshrrev_b32 v3, s2, v2 :: v_dual_lshlrev_b32 v17, 2, v8
	s_sub_co_i32 s10, s3, s2
	s_min_u32 s10, s10, 8
	s_delay_alu instid0(VALU_DEP_1) | instid1(SALU_CYCLE_1)
	v_bfe_u32 v3, v3, 0, s10
	s_delay_alu instid0(VALU_DEP_1)
	v_lshl_or_b32 v3, v3, 4, v17
	v_mov_b32_e32 v17, 1
	ds_add_u32 v3, v17
	v_mov_b32_e32 v3, 0
.LBB2360_52:
	s_or_b32 exec_lo, exec_lo, s0
	s_mov_b32 s10, -1
	s_mov_b32 s11, exec_lo
	s_delay_alu instid0(VALU_DEP_1)
	v_cmpx_gt_i32_e32 10, v3
; %bb.53:
	v_cmp_eq_u32_e64 s0, 0, v3
	s_or_not1_b32 s10, s0, exec_lo
; %bb.54:
	s_or_b32 exec_lo, exec_lo, s11
	s_and_saveexec_b32 s0, s10
	s_cbranch_execz .LBB2360_57
; %bb.55:
	s_add_co_i32 s10, s2, 8
	s_delay_alu instid0(SALU_CYCLE_1) | instskip(SKIP_2) | instid1(SALU_CYCLE_1)
	s_cmp_gt_u32 s3, s10
	s_cselect_b32 s11, -1, 0
	s_xor_b32 s12, vcc_lo, -1
	s_and_b32 s11, s11, s12
	s_delay_alu instid0(SALU_CYCLE_1)
	s_and_b32 exec_lo, exec_lo, s11
	s_cbranch_execz .LBB2360_57
; %bb.56:
	v_dual_lshrrev_b32 v2, s10, v2 :: v_dual_lshlrev_b32 v3, 2, v8
	s_sub_co_i32 s10, s3, s10
	s_delay_alu instid0(SALU_CYCLE_1)
	s_min_u32 s10, s10, 8
	s_delay_alu instid0(VALU_DEP_1) | instid1(SALU_CYCLE_1)
	v_bfe_u32 v2, v2, 0, s10
	s_delay_alu instid0(VALU_DEP_1)
	v_lshl_or_b32 v2, v2, 4, v3
	v_mov_b32_e32 v3, 1
	ds_add_u32 v2, v3 offset:4096
.LBB2360_57:
	s_or_b32 exec_lo, exec_lo, s0
	v_dual_mov_b32 v3, s9 :: v_dual_bitop2_b32 v2, -1, v4 bitop3:0x14
	v_cmp_le_u32_e32 vcc_lo, s1, v16
	s_delay_alu instid0(VALU_DEP_2) | instskip(SKIP_1) | instid1(SALU_CYCLE_1)
	v_and_b32_e32 v2, 0xffff, v2
	s_nor_b32 s10, s8, vcc_lo
	s_and_saveexec_b32 s0, s10
	s_cbranch_execz .LBB2360_59
; %bb.58:
	s_delay_alu instid0(VALU_DEP_1) | instskip(SKIP_1) | instid1(SALU_CYCLE_1)
	v_dual_lshrrev_b32 v3, s2, v2 :: v_dual_lshlrev_b32 v16, 2, v8
	s_sub_co_i32 s10, s3, s2
	s_min_u32 s10, s10, 8
	s_delay_alu instid0(VALU_DEP_1) | instid1(SALU_CYCLE_1)
	v_bfe_u32 v3, v3, 0, s10
	s_delay_alu instid0(VALU_DEP_1)
	v_lshl_or_b32 v3, v3, 4, v16
	v_mov_b32_e32 v16, 1
	ds_add_u32 v3, v16
	v_mov_b32_e32 v3, 0
.LBB2360_59:
	s_or_b32 exec_lo, exec_lo, s0
	s_mov_b32 s10, -1
	s_mov_b32 s11, exec_lo
	s_delay_alu instid0(VALU_DEP_1)
	v_cmpx_gt_i32_e32 10, v3
; %bb.60:
	v_cmp_eq_u32_e64 s0, 0, v3
	s_or_not1_b32 s10, s0, exec_lo
; %bb.61:
	s_or_b32 exec_lo, exec_lo, s11
	s_and_saveexec_b32 s0, s10
	s_cbranch_execz .LBB2360_64
; %bb.62:
	s_add_co_i32 s10, s2, 8
	s_delay_alu instid0(SALU_CYCLE_1) | instskip(SKIP_2) | instid1(SALU_CYCLE_1)
	s_cmp_gt_u32 s3, s10
	s_cselect_b32 s11, -1, 0
	s_xor_b32 s12, vcc_lo, -1
	s_and_b32 s11, s11, s12
	s_delay_alu instid0(SALU_CYCLE_1)
	s_and_b32 exec_lo, exec_lo, s11
	s_cbranch_execz .LBB2360_64
; %bb.63:
	v_dual_lshrrev_b32 v2, s10, v2 :: v_dual_lshlrev_b32 v3, 2, v8
	s_sub_co_i32 s10, s3, s10
	s_delay_alu instid0(SALU_CYCLE_1)
	s_min_u32 s10, s10, 8
	s_delay_alu instid0(VALU_DEP_1) | instid1(SALU_CYCLE_1)
	v_bfe_u32 v2, v2, 0, s10
	s_delay_alu instid0(VALU_DEP_1)
	v_lshl_or_b32 v2, v2, 4, v3
	v_mov_b32_e32 v3, 1
	ds_add_u32 v2, v3 offset:4096
.LBB2360_64:
	s_or_b32 exec_lo, exec_lo, s0
	v_dual_mov_b32 v3, s9 :: v_dual_lshrrev_b32 v2, 16, v4
	v_cmp_le_u32_e32 vcc_lo, s1, v15
	s_delay_alu instid0(VALU_DEP_2) | instskip(SKIP_1) | instid1(VALU_DEP_1)
	v_xor_b32_e32 v2, -1, v2
	s_nor_b32 s10, s8, vcc_lo
	v_and_b32_e32 v2, 0xffff, v2
	s_and_saveexec_b32 s0, s10
	s_cbranch_execz .LBB2360_66
; %bb.65:
	s_delay_alu instid0(VALU_DEP_1) | instskip(SKIP_1) | instid1(SALU_CYCLE_1)
	v_dual_lshrrev_b32 v3, s2, v2 :: v_dual_lshlrev_b32 v4, 2, v8
	s_sub_co_i32 s10, s3, s2
	s_min_u32 s10, s10, 8
	s_delay_alu instid0(VALU_DEP_1) | instid1(SALU_CYCLE_1)
	v_bfe_u32 v3, v3, 0, s10
	s_delay_alu instid0(VALU_DEP_1)
	v_lshl_or_b32 v3, v3, 4, v4
	v_mov_b32_e32 v4, 1
	ds_add_u32 v3, v4
	v_mov_b32_e32 v3, 0
.LBB2360_66:
	s_or_b32 exec_lo, exec_lo, s0
	s_mov_b32 s10, -1
	s_mov_b32 s11, exec_lo
	s_delay_alu instid0(VALU_DEP_1)
	v_cmpx_gt_i32_e32 10, v3
; %bb.67:
	v_cmp_eq_u32_e64 s0, 0, v3
	s_or_not1_b32 s10, s0, exec_lo
; %bb.68:
	s_or_b32 exec_lo, exec_lo, s11
	s_and_saveexec_b32 s0, s10
	s_cbranch_execz .LBB2360_71
; %bb.69:
	s_add_co_i32 s10, s2, 8
	s_delay_alu instid0(SALU_CYCLE_1) | instskip(SKIP_2) | instid1(SALU_CYCLE_1)
	s_cmp_gt_u32 s3, s10
	s_cselect_b32 s11, -1, 0
	s_xor_b32 s12, vcc_lo, -1
	s_and_b32 s11, s11, s12
	s_delay_alu instid0(SALU_CYCLE_1)
	s_and_b32 exec_lo, exec_lo, s11
	s_cbranch_execz .LBB2360_71
; %bb.70:
	v_dual_lshrrev_b32 v2, s10, v2 :: v_dual_lshlrev_b32 v3, 2, v8
	s_sub_co_i32 s10, s3, s10
	s_delay_alu instid0(SALU_CYCLE_1)
	s_min_u32 s10, s10, 8
	s_delay_alu instid0(VALU_DEP_1) | instid1(SALU_CYCLE_1)
	v_bfe_u32 v2, v2, 0, s10
	s_delay_alu instid0(VALU_DEP_1)
	v_lshl_or_b32 v2, v2, 4, v3
	v_mov_b32_e32 v3, 1
	ds_add_u32 v2, v3 offset:4096
.LBB2360_71:
	s_or_b32 exec_lo, exec_lo, s0
	v_dual_mov_b32 v3, s9 :: v_dual_bitop2_b32 v2, -1, v5 bitop3:0x14
	v_cmp_le_u32_e32 vcc_lo, s1, v14
	s_delay_alu instid0(VALU_DEP_2) | instskip(SKIP_1) | instid1(SALU_CYCLE_1)
	v_and_b32_e32 v2, 0xffff, v2
	s_nor_b32 s10, s8, vcc_lo
	s_and_saveexec_b32 s0, s10
	s_cbranch_execz .LBB2360_73
; %bb.72:
	s_delay_alu instid0(VALU_DEP_1) | instskip(SKIP_1) | instid1(SALU_CYCLE_1)
	v_dual_lshrrev_b32 v3, s2, v2 :: v_dual_lshlrev_b32 v4, 2, v8
	s_sub_co_i32 s10, s3, s2
	s_min_u32 s10, s10, 8
	s_delay_alu instid0(VALU_DEP_1) | instid1(SALU_CYCLE_1)
	v_bfe_u32 v3, v3, 0, s10
	s_delay_alu instid0(VALU_DEP_1)
	v_lshl_or_b32 v3, v3, 4, v4
	v_mov_b32_e32 v4, 1
	ds_add_u32 v3, v4
	v_mov_b32_e32 v3, 0
.LBB2360_73:
	s_or_b32 exec_lo, exec_lo, s0
	s_mov_b32 s10, -1
	s_mov_b32 s11, exec_lo
	s_delay_alu instid0(VALU_DEP_1)
	v_cmpx_gt_i32_e32 10, v3
; %bb.74:
	v_cmp_eq_u32_e64 s0, 0, v3
	s_or_not1_b32 s10, s0, exec_lo
; %bb.75:
	s_or_b32 exec_lo, exec_lo, s11
	s_and_saveexec_b32 s0, s10
	s_cbranch_execz .LBB2360_78
; %bb.76:
	s_add_co_i32 s10, s2, 8
	s_delay_alu instid0(SALU_CYCLE_1) | instskip(SKIP_2) | instid1(SALU_CYCLE_1)
	s_cmp_gt_u32 s3, s10
	s_cselect_b32 s11, -1, 0
	s_xor_b32 s12, vcc_lo, -1
	s_and_b32 s11, s11, s12
	s_delay_alu instid0(SALU_CYCLE_1)
	s_and_b32 exec_lo, exec_lo, s11
	s_cbranch_execz .LBB2360_78
; %bb.77:
	v_dual_lshrrev_b32 v2, s10, v2 :: v_dual_lshlrev_b32 v3, 2, v8
	s_sub_co_i32 s10, s3, s10
	s_delay_alu instid0(SALU_CYCLE_1)
	s_min_u32 s10, s10, 8
	s_delay_alu instid0(VALU_DEP_1) | instid1(SALU_CYCLE_1)
	v_bfe_u32 v2, v2, 0, s10
	s_delay_alu instid0(VALU_DEP_1)
	v_lshl_or_b32 v2, v2, 4, v3
	v_mov_b32_e32 v3, 1
	ds_add_u32 v2, v3 offset:4096
.LBB2360_78:
	s_or_b32 exec_lo, exec_lo, s0
	v_dual_mov_b32 v3, s9 :: v_dual_lshrrev_b32 v2, 16, v5
	v_cmp_le_u32_e32 vcc_lo, s1, v13
	s_delay_alu instid0(VALU_DEP_2) | instskip(SKIP_1) | instid1(VALU_DEP_1)
	v_xor_b32_e32 v2, -1, v2
	s_nor_b32 s10, s8, vcc_lo
	v_and_b32_e32 v2, 0xffff, v2
	s_and_saveexec_b32 s0, s10
	s_cbranch_execz .LBB2360_80
; %bb.79:
	s_delay_alu instid0(VALU_DEP_1) | instskip(SKIP_1) | instid1(SALU_CYCLE_1)
	v_dual_lshrrev_b32 v3, s2, v2 :: v_dual_lshlrev_b32 v4, 2, v8
	s_sub_co_i32 s10, s3, s2
	s_min_u32 s10, s10, 8
	s_delay_alu instid0(VALU_DEP_1) | instid1(SALU_CYCLE_1)
	v_bfe_u32 v3, v3, 0, s10
	s_delay_alu instid0(VALU_DEP_1)
	v_lshl_or_b32 v3, v3, 4, v4
	v_mov_b32_e32 v4, 1
	ds_add_u32 v3, v4
	v_mov_b32_e32 v3, 0
.LBB2360_80:
	s_or_b32 exec_lo, exec_lo, s0
	s_mov_b32 s10, -1
	s_mov_b32 s11, exec_lo
	s_delay_alu instid0(VALU_DEP_1)
	v_cmpx_gt_i32_e32 10, v3
; %bb.81:
	v_cmp_eq_u32_e64 s0, 0, v3
	s_or_not1_b32 s10, s0, exec_lo
; %bb.82:
	s_or_b32 exec_lo, exec_lo, s11
	s_and_saveexec_b32 s0, s10
	s_cbranch_execz .LBB2360_85
; %bb.83:
	s_add_co_i32 s10, s2, 8
	s_delay_alu instid0(SALU_CYCLE_1) | instskip(SKIP_2) | instid1(SALU_CYCLE_1)
	s_cmp_gt_u32 s3, s10
	s_cselect_b32 s11, -1, 0
	s_xor_b32 s12, vcc_lo, -1
	s_and_b32 s11, s11, s12
	s_delay_alu instid0(SALU_CYCLE_1)
	s_and_b32 exec_lo, exec_lo, s11
	s_cbranch_execz .LBB2360_85
; %bb.84:
	v_dual_lshrrev_b32 v2, s10, v2 :: v_dual_lshlrev_b32 v3, 2, v8
	s_sub_co_i32 s10, s3, s10
	s_delay_alu instid0(SALU_CYCLE_1)
	s_min_u32 s10, s10, 8
	s_delay_alu instid0(VALU_DEP_1) | instid1(SALU_CYCLE_1)
	v_bfe_u32 v2, v2, 0, s10
	s_delay_alu instid0(VALU_DEP_1)
	v_lshl_or_b32 v2, v2, 4, v3
	v_mov_b32_e32 v3, 1
	ds_add_u32 v2, v3 offset:4096
.LBB2360_85:
	s_or_b32 exec_lo, exec_lo, s0
	v_dual_mov_b32 v3, s9 :: v_dual_bitop2_b32 v2, -1, v6 bitop3:0x14
	v_cmp_le_u32_e32 vcc_lo, s1, v12
	s_delay_alu instid0(VALU_DEP_2) | instskip(SKIP_1) | instid1(SALU_CYCLE_1)
	v_and_b32_e32 v2, 0xffff, v2
	s_nor_b32 s10, s8, vcc_lo
	s_and_saveexec_b32 s0, s10
	s_cbranch_execz .LBB2360_87
; %bb.86:
	s_delay_alu instid0(VALU_DEP_1) | instskip(SKIP_1) | instid1(SALU_CYCLE_1)
	v_dual_lshrrev_b32 v3, s2, v2 :: v_dual_lshlrev_b32 v4, 2, v8
	s_sub_co_i32 s10, s3, s2
	s_min_u32 s10, s10, 8
	s_delay_alu instid0(VALU_DEP_1) | instid1(SALU_CYCLE_1)
	v_bfe_u32 v3, v3, 0, s10
	s_delay_alu instid0(VALU_DEP_1)
	v_lshl_or_b32 v3, v3, 4, v4
	v_mov_b32_e32 v4, 1
	ds_add_u32 v3, v4
	v_mov_b32_e32 v3, 0
.LBB2360_87:
	s_or_b32 exec_lo, exec_lo, s0
	s_mov_b32 s10, -1
	s_mov_b32 s11, exec_lo
	s_delay_alu instid0(VALU_DEP_1)
	v_cmpx_gt_i32_e32 10, v3
; %bb.88:
	v_cmp_eq_u32_e64 s0, 0, v3
	s_or_not1_b32 s10, s0, exec_lo
; %bb.89:
	s_or_b32 exec_lo, exec_lo, s11
	s_and_saveexec_b32 s0, s10
	s_cbranch_execz .LBB2360_92
; %bb.90:
	s_add_co_i32 s10, s2, 8
	s_delay_alu instid0(SALU_CYCLE_1) | instskip(SKIP_2) | instid1(SALU_CYCLE_1)
	s_cmp_gt_u32 s3, s10
	s_cselect_b32 s11, -1, 0
	s_xor_b32 s12, vcc_lo, -1
	s_and_b32 s11, s11, s12
	s_delay_alu instid0(SALU_CYCLE_1)
	s_and_b32 exec_lo, exec_lo, s11
	s_cbranch_execz .LBB2360_92
; %bb.91:
	v_dual_lshrrev_b32 v2, s10, v2 :: v_dual_lshlrev_b32 v3, 2, v8
	s_sub_co_i32 s10, s3, s10
	s_delay_alu instid0(SALU_CYCLE_1)
	s_min_u32 s10, s10, 8
	s_delay_alu instid0(VALU_DEP_1) | instid1(SALU_CYCLE_1)
	v_bfe_u32 v2, v2, 0, s10
	s_delay_alu instid0(VALU_DEP_1)
	v_lshl_or_b32 v2, v2, 4, v3
	v_mov_b32_e32 v3, 1
	ds_add_u32 v2, v3 offset:4096
.LBB2360_92:
	s_or_b32 exec_lo, exec_lo, s0
	v_dual_mov_b32 v3, s9 :: v_dual_lshrrev_b32 v2, 16, v6
	v_cmp_le_u32_e32 vcc_lo, s1, v11
	s_delay_alu instid0(VALU_DEP_2) | instskip(SKIP_1) | instid1(VALU_DEP_1)
	v_xor_b32_e32 v2, -1, v2
	s_nor_b32 s10, s8, vcc_lo
	v_and_b32_e32 v2, 0xffff, v2
	s_and_saveexec_b32 s0, s10
	s_cbranch_execz .LBB2360_94
; %bb.93:
	s_delay_alu instid0(VALU_DEP_1) | instskip(SKIP_1) | instid1(SALU_CYCLE_1)
	v_dual_lshrrev_b32 v3, s2, v2 :: v_dual_lshlrev_b32 v4, 2, v8
	s_sub_co_i32 s10, s3, s2
	s_min_u32 s10, s10, 8
	s_delay_alu instid0(VALU_DEP_1) | instid1(SALU_CYCLE_1)
	v_bfe_u32 v3, v3, 0, s10
	s_delay_alu instid0(VALU_DEP_1)
	v_lshl_or_b32 v3, v3, 4, v4
	v_mov_b32_e32 v4, 1
	ds_add_u32 v3, v4
	v_mov_b32_e32 v3, 0
.LBB2360_94:
	s_or_b32 exec_lo, exec_lo, s0
	s_mov_b32 s10, -1
	s_mov_b32 s11, exec_lo
	s_delay_alu instid0(VALU_DEP_1)
	v_cmpx_gt_i32_e32 10, v3
; %bb.95:
	v_cmp_eq_u32_e64 s0, 0, v3
	s_or_not1_b32 s10, s0, exec_lo
; %bb.96:
	s_or_b32 exec_lo, exec_lo, s11
	s_and_saveexec_b32 s0, s10
	s_cbranch_execz .LBB2360_99
; %bb.97:
	s_add_co_i32 s10, s2, 8
	s_delay_alu instid0(SALU_CYCLE_1) | instskip(SKIP_2) | instid1(SALU_CYCLE_1)
	s_cmp_gt_u32 s3, s10
	s_cselect_b32 s11, -1, 0
	s_xor_b32 s12, vcc_lo, -1
	s_and_b32 s11, s11, s12
	s_delay_alu instid0(SALU_CYCLE_1)
	s_and_b32 exec_lo, exec_lo, s11
	s_cbranch_execz .LBB2360_99
; %bb.98:
	v_dual_lshrrev_b32 v2, s10, v2 :: v_dual_lshlrev_b32 v3, 2, v8
	s_sub_co_i32 s10, s3, s10
	s_delay_alu instid0(SALU_CYCLE_1)
	s_min_u32 s10, s10, 8
	s_delay_alu instid0(VALU_DEP_1) | instid1(SALU_CYCLE_1)
	v_bfe_u32 v2, v2, 0, s10
	s_delay_alu instid0(VALU_DEP_1)
	v_lshl_or_b32 v2, v2, 4, v3
	v_mov_b32_e32 v3, 1
	ds_add_u32 v2, v3 offset:4096
.LBB2360_99:
	s_or_b32 exec_lo, exec_lo, s0
	v_dual_mov_b32 v3, s9 :: v_dual_bitop2_b32 v2, -1, v7 bitop3:0x14
	v_cmp_le_u32_e32 vcc_lo, s1, v10
	s_delay_alu instid0(VALU_DEP_2) | instskip(SKIP_1) | instid1(SALU_CYCLE_1)
	v_and_b32_e32 v2, 0xffff, v2
	s_nor_b32 s10, s8, vcc_lo
	s_and_saveexec_b32 s0, s10
	s_cbranch_execz .LBB2360_101
; %bb.100:
	s_delay_alu instid0(VALU_DEP_1) | instskip(SKIP_1) | instid1(SALU_CYCLE_1)
	v_dual_lshrrev_b32 v3, s2, v2 :: v_dual_lshlrev_b32 v4, 2, v8
	s_sub_co_i32 s10, s3, s2
	s_min_u32 s10, s10, 8
	s_delay_alu instid0(VALU_DEP_1) | instid1(SALU_CYCLE_1)
	v_bfe_u32 v3, v3, 0, s10
	s_delay_alu instid0(VALU_DEP_1)
	v_lshl_or_b32 v3, v3, 4, v4
	v_mov_b32_e32 v4, 1
	ds_add_u32 v3, v4
	v_mov_b32_e32 v3, 0
.LBB2360_101:
	s_or_b32 exec_lo, exec_lo, s0
	s_mov_b32 s10, -1
	s_mov_b32 s11, exec_lo
	s_delay_alu instid0(VALU_DEP_1)
	v_cmpx_gt_i32_e32 10, v3
; %bb.102:
	v_cmp_eq_u32_e64 s0, 0, v3
	s_or_not1_b32 s10, s0, exec_lo
; %bb.103:
	s_or_b32 exec_lo, exec_lo, s11
	s_and_saveexec_b32 s0, s10
	s_cbranch_execz .LBB2360_106
; %bb.104:
	s_add_co_i32 s10, s2, 8
	s_delay_alu instid0(SALU_CYCLE_1) | instskip(SKIP_2) | instid1(SALU_CYCLE_1)
	s_cmp_gt_u32 s3, s10
	s_cselect_b32 s11, -1, 0
	s_xor_b32 s12, vcc_lo, -1
	s_and_b32 s11, s11, s12
	s_delay_alu instid0(SALU_CYCLE_1)
	s_and_b32 exec_lo, exec_lo, s11
	s_cbranch_execz .LBB2360_106
; %bb.105:
	v_dual_lshrrev_b32 v2, s10, v2 :: v_dual_lshlrev_b32 v3, 2, v8
	s_sub_co_i32 s10, s3, s10
	s_delay_alu instid0(SALU_CYCLE_1)
	s_min_u32 s10, s10, 8
	s_delay_alu instid0(VALU_DEP_1) | instid1(SALU_CYCLE_1)
	v_bfe_u32 v2, v2, 0, s10
	s_delay_alu instid0(VALU_DEP_1)
	v_lshl_or_b32 v2, v2, 4, v3
	v_mov_b32_e32 v3, 1
	ds_add_u32 v2, v3 offset:4096
.LBB2360_106:
	s_or_b32 exec_lo, exec_lo, s0
	v_dual_mov_b32 v3, s9 :: v_dual_lshrrev_b32 v2, 16, v7
	v_cmp_le_u32_e32 vcc_lo, s1, v9
	s_delay_alu instid0(VALU_DEP_2) | instskip(SKIP_1) | instid1(VALU_DEP_1)
	v_xor_b32_e32 v2, -1, v2
	s_nor_b32 s1, s8, vcc_lo
	v_and_b32_e32 v2, 0xffff, v2
	s_and_saveexec_b32 s0, s1
	s_cbranch_execz .LBB2360_108
; %bb.107:
	s_delay_alu instid0(VALU_DEP_1) | instskip(SKIP_1) | instid1(SALU_CYCLE_1)
	v_dual_lshrrev_b32 v3, s2, v2 :: v_dual_lshlrev_b32 v4, 2, v8
	s_sub_co_i32 s1, s3, s2
	s_min_u32 s1, s1, 8
	s_delay_alu instid0(VALU_DEP_1) | instid1(SALU_CYCLE_1)
	v_bfe_u32 v3, v3, 0, s1
	s_delay_alu instid0(VALU_DEP_1)
	v_lshl_or_b32 v3, v3, 4, v4
	v_mov_b32_e32 v4, 1
	ds_add_u32 v3, v4
	v_mov_b32_e32 v3, 0
.LBB2360_108:
	s_or_b32 exec_lo, exec_lo, s0
	s_mov_b32 s1, -1
	s_mov_b32 s8, exec_lo
	s_delay_alu instid0(VALU_DEP_1)
	v_cmpx_gt_i32_e32 10, v3
; %bb.109:
	v_cmp_eq_u32_e64 s0, 0, v3
	s_or_not1_b32 s1, s0, exec_lo
; %bb.110:
	s_or_b32 exec_lo, exec_lo, s8
	s_and_saveexec_b32 s0, s1
	s_cbranch_execz .LBB2360_113
; %bb.111:
	s_add_co_i32 s1, s2, 8
	s_delay_alu instid0(SALU_CYCLE_1) | instskip(SKIP_2) | instid1(SALU_CYCLE_1)
	s_cmp_gt_u32 s3, s1
	s_cselect_b32 s8, -1, 0
	s_xor_b32 s9, vcc_lo, -1
	s_and_b32 s8, s8, s9
	s_delay_alu instid0(SALU_CYCLE_1)
	s_and_b32 exec_lo, exec_lo, s8
	s_cbranch_execz .LBB2360_113
; %bb.112:
	v_dual_lshrrev_b32 v2, s1, v2 :: v_dual_lshlrev_b32 v3, 2, v8
	s_sub_co_i32 s1, s3, s1
	s_delay_alu instid0(SALU_CYCLE_1)
	s_min_u32 s1, s1, 8
	s_delay_alu instid0(VALU_DEP_1) | instid1(SALU_CYCLE_1)
	v_bfe_u32 v2, v2, 0, s1
	s_delay_alu instid0(VALU_DEP_1)
	v_lshl_or_b32 v2, v2, 4, v3
	v_mov_b32_e32 v3, 1
	ds_add_u32 v2, v3 offset:4096
.LBB2360_113:
	s_or_b32 exec_lo, exec_lo, s0
	s_cmp_gt_u32 s3, s2
	s_wait_dscnt 0x0
	s_barrier_signal -1
	s_barrier_wait -1
	s_cbranch_scc0 .LBB2360_118
; %bb.114:
	v_mad_u32_u24 v1, v0, 12, v1
	v_dual_mov_b32 v3, 0 :: v_dual_mov_b32 v4, v0
	s_mov_b32 s0, s2
	v_cmp_gt_u32_e32 vcc_lo, 0x100, v0
	s_branch .LBB2360_116
.LBB2360_115:                           ;   in Loop: Header=BB2360_116 Depth=1
	s_wait_xcnt 0x0
	s_or_b32 exec_lo, exec_lo, s1
	v_add_nc_u32_e32 v4, 0x100, v4
	v_add_nc_u32_e32 v1, 0x1000, v1
	s_add_co_i32 s0, s0, 8
	s_delay_alu instid0(SALU_CYCLE_1)
	s_cmp_lt_u32 s0, s3
	s_cbranch_scc0 .LBB2360_118
.LBB2360_116:                           ; =>This Inner Loop Header: Depth=1
	s_and_saveexec_b32 s1, vcc_lo
	s_cbranch_execz .LBB2360_115
; %bb.117:                              ;   in Loop: Header=BB2360_116 Depth=1
	ds_load_2addr_b32 v[6:7], v1 offset1:1
	ds_load_2addr_b32 v[8:9], v1 offset0:2 offset1:3
	s_wait_dscnt 0x1
	v_add_nc_u32_e32 v2, v7, v6
	s_wait_dscnt 0x0
	s_delay_alu instid0(VALU_DEP_1)
	v_add3_u32 v2, v2, v8, v9
	global_atomic_add_u64 v4, v[2:3], s[6:7] scale_offset scope:SCOPE_DEV
	s_branch .LBB2360_115
.LBB2360_118:
	s_mov_b32 s9, 0
.LBB2360_119:
	s_delay_alu instid0(SALU_CYCLE_1)
	s_and_b32 vcc_lo, exec_lo, s9
	s_cbranch_vccz .LBB2360_164
; %bb.120:
	s_clause 0xb
	global_load_u16 v9, v0, s[4:5] scale_offset
	global_load_u16 v10, v0, s[4:5] offset:1024 scale_offset
	global_load_u16 v11, v0, s[4:5] offset:2048 scale_offset
	;; [unrolled: 1-line block ×11, first 2 shown]
	s_cmp_eq_u32 s2, 0
	v_dual_mov_b32 v2, 0 :: v_dual_lshlrev_b32 v15, 2, v0
	s_cselect_b32 s0, -1, 0
	s_cmp_eq_u32 s3, 16
	s_wait_xcnt 0x0
	v_cmp_gt_u32_e64 s4, 3, 1
	s_cselect_b32 s1, -1, 0
	s_delay_alu instid0(SALU_CYCLE_1)
	s_and_b32 s0, s0, s1
	s_mov_b32 s1, -1
	s_and_b32 vcc_lo, exec_lo, s0
	v_cmp_gt_u32_e64 s0, 3, 2
	s_cbranch_vccnz .LBB2360_157
; %bb.121:
	ds_store_2addr_stride64_b32 v15, v2, v2 offset1:8
	s_and_saveexec_b32 s1, s4
; %bb.122:
	v_mov_b32_e32 v2, 0
	ds_store_b32 v15, v2 offset:4096
; %bb.123:
	s_or_b32 exec_lo, exec_lo, s1
	s_and_saveexec_b32 s1, s0
; %bb.124:
	v_mov_b32_e32 v2, 0
	ds_store_b32 v15, v2 offset:6144
; %bb.125:
	s_or_b32 exec_lo, exec_lo, s1
	s_cmp_gt_u32 s3, s2
	s_wait_storecnt 0x0
	s_wait_loadcnt_dscnt 0x0
	s_cselect_b32 s0, -1, 0
	s_barrier_signal -1
	s_and_b32 vcc_lo, exec_lo, s0
	s_barrier_wait -1
	s_cbranch_vccz .LBB2360_151
; %bb.126:
	v_xor_b32_e32 v2, -1, v9
	s_sub_co_i32 s1, s3, s2
	s_mov_b32 s8, -1
	s_min_u32 s1, s1, 8
	v_mov_b32_e32 v18, 1
	v_and_b32_e32 v16, 0xffff, v2
	v_and_b32_e32 v2, 3, v0
	s_lshl_b32 s4, -1, s1
	s_add_co_i32 s1, s2, 8
	s_delay_alu instid0(VALU_DEP_1) | instskip(NEXT) | instid1(VALU_DEP_1)
	v_dual_lshrrev_b32 v17, s2, v16 :: v_dual_lshlrev_b32 v3, 2, v2
	v_bitop3_b32 v17, v17, s4, v17 bitop3:0x30
	s_not_b32 s4, s4
	s_cmp_le_u32 s3, s1
	s_cselect_b32 s5, -1, 0
	s_delay_alu instid0(VALU_DEP_1) | instskip(SKIP_3) | instid1(VALU_DEP_1)
	v_lshl_or_b32 v17, v17, 4, v3
	s_and_b32 vcc_lo, exec_lo, s5
	ds_add_u32 v17, v18
	v_xor_b32_e32 v17, -1, v10
                                        ; implicit-def: $vgpr18
	v_and_b32_e32 v17, 0xffff, v17
	s_cbranch_vccz .LBB2360_128
; %bb.127:
	s_delay_alu instid0(VALU_DEP_1) | instskip(SKIP_1) | instid1(VALU_DEP_1)
	v_lshrrev_b32_e32 v18, s2, v17
	s_mov_b32 s8, 0
	v_and_b32_e32 v18, s4, v18
	s_delay_alu instid0(VALU_DEP_1)
	v_lshlrev_b32_e32 v18, 4, v18
.LBB2360_128:
	s_and_not1_b32 vcc_lo, exec_lo, s8
	s_cbranch_vccnz .LBB2360_130
; %bb.129:
	s_sub_co_i32 s8, s3, s1
	v_dual_lshrrev_b32 v16, s1, v16 :: v_dual_lshrrev_b32 v18, s2, v17
	s_min_u32 s8, s8, 8
	v_mov_b32_e32 v19, 1
	s_lshl_b32 s8, -1, s8
	s_delay_alu instid0(VALU_DEP_2) | instid1(SALU_CYCLE_1)
	v_bitop3_b32 v16, v16, s8, v16 bitop3:0x30
	v_and_b32_e32 v18, s4, v18
	s_delay_alu instid0(VALU_DEP_2) | instskip(NEXT) | instid1(VALU_DEP_2)
	v_lshl_or_b32 v16, v16, 4, v3
	v_lshl_or_b32 v18, v18, 4, v3
	ds_add_u32 v16, v19 offset:4096
	ds_add_u32 v18, v19
	v_lshrrev_b32_e32 v16, s1, v17
	s_delay_alu instid0(VALU_DEP_1) | instskip(NEXT) | instid1(VALU_DEP_1)
	v_bitop3_b32 v16, v16, s8, v16 bitop3:0x30
	v_lshl_add_u32 v18, v16, 4, 0x1000
.LBB2360_130:
	v_dual_mov_b32 v19, 1 :: v_dual_bitop2_b32 v16, -1, v11 bitop3:0x14
	s_and_b32 vcc_lo, exec_lo, s5
	s_mov_b32 s8, -1
	s_delay_alu instid0(VALU_DEP_2) | instskip(NEXT) | instid1(VALU_DEP_2)
	v_add_nc_u32_e32 v18, v18, v3
	v_and_b32_e32 v17, 0xffff, v16
	s_delay_alu instid0(VALU_DEP_1) | instskip(NEXT) | instid1(VALU_DEP_1)
	v_lshrrev_b32_e32 v16, s2, v17
	v_and_b32_e32 v16, s4, v16
	s_delay_alu instid0(VALU_DEP_1) | instskip(SKIP_3) | instid1(VALU_DEP_1)
	v_lshl_or_b32 v16, v16, 4, v3
	ds_add_u32 v18, v19
	ds_add_u32 v16, v19
	v_xor_b32_e32 v16, -1, v12
                                        ; implicit-def: $vgpr18
	v_and_b32_e32 v16, 0xffff, v16
	s_cbranch_vccz .LBB2360_132
; %bb.131:
	s_delay_alu instid0(VALU_DEP_1) | instskip(SKIP_1) | instid1(VALU_DEP_1)
	v_lshrrev_b32_e32 v18, s2, v16
	s_mov_b32 s8, 0
	v_and_b32_e32 v18, s4, v18
	s_delay_alu instid0(VALU_DEP_1)
	v_lshlrev_b32_e32 v18, 4, v18
.LBB2360_132:
	s_and_not1_b32 vcc_lo, exec_lo, s8
	s_cbranch_vccnz .LBB2360_134
; %bb.133:
	s_sub_co_i32 s8, s3, s1
	v_dual_lshrrev_b32 v17, s1, v17 :: v_dual_lshrrev_b32 v18, s2, v16
	s_min_u32 s8, s8, 8
	v_lshrrev_b32_e32 v16, s1, v16
	s_lshl_b32 s8, -1, s8
	s_delay_alu instid0(VALU_DEP_2) | instskip(SKIP_1) | instid1(VALU_DEP_3)
	v_dual_mov_b32 v19, 1 :: v_dual_bitop2_b32 v18, s4, v18 bitop3:0x40
	v_bitop3_b32 v17, v17, s8, v17 bitop3:0x30
	v_bitop3_b32 v16, v16, s8, v16 bitop3:0x30
	s_delay_alu instid0(VALU_DEP_3) | instskip(NEXT) | instid1(VALU_DEP_3)
	v_lshl_or_b32 v18, v18, 4, v3
	v_lshl_or_b32 v17, v17, 4, v3
	ds_add_u32 v17, v19 offset:4096
	ds_add_u32 v18, v19
	v_lshl_add_u32 v18, v16, 4, 0x1000
.LBB2360_134:
	s_delay_alu instid0(VALU_DEP_1) | instskip(SKIP_3) | instid1(VALU_DEP_2)
	v_dual_add_nc_u32 v18, v18, v3 :: v_dual_bitop2_b32 v16, -1, v13 bitop3:0x14
	s_and_b32 vcc_lo, exec_lo, s5
	s_mov_b32 s8, -1
	v_mov_b32_e32 v19, 1
	v_and_b32_e32 v17, 0xffff, v16
	s_delay_alu instid0(VALU_DEP_1) | instskip(NEXT) | instid1(VALU_DEP_1)
	v_lshrrev_b32_e32 v16, s2, v17
	v_and_b32_e32 v16, s4, v16
	s_delay_alu instid0(VALU_DEP_1) | instskip(SKIP_3) | instid1(VALU_DEP_1)
	v_lshl_or_b32 v16, v16, 4, v3
	ds_add_u32 v18, v19
	ds_add_u32 v16, v19
	v_xor_b32_e32 v16, -1, v14
                                        ; implicit-def: $vgpr18
	v_and_b32_e32 v16, 0xffff, v16
	s_cbranch_vccz .LBB2360_136
; %bb.135:
	s_delay_alu instid0(VALU_DEP_1) | instskip(SKIP_1) | instid1(VALU_DEP_1)
	v_lshrrev_b32_e32 v18, s2, v16
	s_mov_b32 s8, 0
	v_and_b32_e32 v18, s4, v18
	s_delay_alu instid0(VALU_DEP_1)
	v_lshlrev_b32_e32 v18, 4, v18
.LBB2360_136:
	s_and_not1_b32 vcc_lo, exec_lo, s8
	s_cbranch_vccnz .LBB2360_138
; %bb.137:
	s_sub_co_i32 s8, s3, s1
	v_dual_lshrrev_b32 v17, s1, v17 :: v_dual_lshrrev_b32 v18, s2, v16
	s_min_u32 s8, s8, 8
	v_lshrrev_b32_e32 v16, s1, v16
	s_lshl_b32 s8, -1, s8
	s_delay_alu instid0(VALU_DEP_2) | instskip(SKIP_1) | instid1(VALU_DEP_3)
	v_dual_mov_b32 v19, 1 :: v_dual_bitop2_b32 v18, s4, v18 bitop3:0x40
	v_bitop3_b32 v17, v17, s8, v17 bitop3:0x30
	v_bitop3_b32 v16, v16, s8, v16 bitop3:0x30
	s_delay_alu instid0(VALU_DEP_3) | instskip(NEXT) | instid1(VALU_DEP_3)
	v_lshl_or_b32 v18, v18, 4, v3
	v_lshl_or_b32 v17, v17, 4, v3
	ds_add_u32 v17, v19 offset:4096
	ds_add_u32 v18, v19
	v_lshl_add_u32 v18, v16, 4, 0x1000
.LBB2360_138:
	s_delay_alu instid0(VALU_DEP_1) | instskip(SKIP_3) | instid1(VALU_DEP_2)
	v_dual_add_nc_u32 v18, v18, v3 :: v_dual_bitop2_b32 v16, -1, v6 bitop3:0x14
	s_and_b32 vcc_lo, exec_lo, s5
	s_mov_b32 s8, -1
	v_mov_b32_e32 v19, 1
	v_and_b32_e32 v17, 0xffff, v16
	s_delay_alu instid0(VALU_DEP_1) | instskip(NEXT) | instid1(VALU_DEP_1)
	v_lshrrev_b32_e32 v16, s2, v17
	v_and_b32_e32 v16, s4, v16
	s_delay_alu instid0(VALU_DEP_1) | instskip(SKIP_3) | instid1(VALU_DEP_1)
	v_lshl_or_b32 v16, v16, 4, v3
	ds_add_u32 v18, v19
	ds_add_u32 v16, v19
	v_xor_b32_e32 v16, -1, v7
                                        ; implicit-def: $vgpr18
	v_and_b32_e32 v16, 0xffff, v16
	s_cbranch_vccz .LBB2360_140
; %bb.139:
	s_delay_alu instid0(VALU_DEP_1) | instskip(SKIP_1) | instid1(VALU_DEP_1)
	v_lshrrev_b32_e32 v18, s2, v16
	s_mov_b32 s8, 0
	v_and_b32_e32 v18, s4, v18
	s_delay_alu instid0(VALU_DEP_1)
	v_lshlrev_b32_e32 v18, 4, v18
.LBB2360_140:
	s_and_not1_b32 vcc_lo, exec_lo, s8
	s_cbranch_vccnz .LBB2360_142
; %bb.141:
	s_sub_co_i32 s8, s3, s1
	v_dual_lshrrev_b32 v17, s1, v17 :: v_dual_lshrrev_b32 v18, s2, v16
	s_min_u32 s8, s8, 8
	v_lshrrev_b32_e32 v16, s1, v16
	s_lshl_b32 s8, -1, s8
	s_delay_alu instid0(VALU_DEP_2) | instskip(SKIP_1) | instid1(VALU_DEP_3)
	v_dual_mov_b32 v19, 1 :: v_dual_bitop2_b32 v18, s4, v18 bitop3:0x40
	v_bitop3_b32 v17, v17, s8, v17 bitop3:0x30
	v_bitop3_b32 v16, v16, s8, v16 bitop3:0x30
	s_delay_alu instid0(VALU_DEP_3) | instskip(NEXT) | instid1(VALU_DEP_3)
	v_lshl_or_b32 v18, v18, 4, v3
	v_lshl_or_b32 v17, v17, 4, v3
	ds_add_u32 v17, v19 offset:4096
	ds_add_u32 v18, v19
	v_lshl_add_u32 v18, v16, 4, 0x1000
.LBB2360_142:
	s_delay_alu instid0(VALU_DEP_1) | instskip(SKIP_3) | instid1(VALU_DEP_2)
	v_dual_add_nc_u32 v18, v18, v3 :: v_dual_bitop2_b32 v16, -1, v8 bitop3:0x14
	s_and_b32 vcc_lo, exec_lo, s5
	s_mov_b32 s8, -1
	v_mov_b32_e32 v19, 1
	v_and_b32_e32 v17, 0xffff, v16
	s_delay_alu instid0(VALU_DEP_1) | instskip(NEXT) | instid1(VALU_DEP_1)
	v_lshrrev_b32_e32 v16, s2, v17
	v_and_b32_e32 v16, s4, v16
	s_delay_alu instid0(VALU_DEP_1) | instskip(SKIP_3) | instid1(VALU_DEP_1)
	v_lshl_or_b32 v16, v16, 4, v3
	ds_add_u32 v18, v19
	ds_add_u32 v16, v19
	v_xor_b32_e32 v16, -1, v4
                                        ; implicit-def: $vgpr18
	v_and_b32_e32 v16, 0xffff, v16
	s_cbranch_vccz .LBB2360_144
; %bb.143:
	s_delay_alu instid0(VALU_DEP_1) | instskip(SKIP_1) | instid1(VALU_DEP_1)
	v_lshrrev_b32_e32 v18, s2, v16
	s_mov_b32 s8, 0
	v_and_b32_e32 v18, s4, v18
	s_delay_alu instid0(VALU_DEP_1)
	v_lshlrev_b32_e32 v18, 4, v18
.LBB2360_144:
	s_and_not1_b32 vcc_lo, exec_lo, s8
	s_cbranch_vccnz .LBB2360_146
; %bb.145:
	s_sub_co_i32 s8, s3, s1
	v_dual_lshrrev_b32 v17, s1, v17 :: v_dual_lshrrev_b32 v18, s2, v16
	s_min_u32 s8, s8, 8
	v_lshrrev_b32_e32 v16, s1, v16
	s_lshl_b32 s8, -1, s8
	s_delay_alu instid0(VALU_DEP_2) | instskip(SKIP_1) | instid1(VALU_DEP_3)
	v_dual_mov_b32 v19, 1 :: v_dual_bitop2_b32 v18, s4, v18 bitop3:0x40
	v_bitop3_b32 v17, v17, s8, v17 bitop3:0x30
	v_bitop3_b32 v16, v16, s8, v16 bitop3:0x30
	s_delay_alu instid0(VALU_DEP_3) | instskip(NEXT) | instid1(VALU_DEP_3)
	v_lshl_or_b32 v18, v18, 4, v3
	v_lshl_or_b32 v17, v17, 4, v3
	ds_add_u32 v17, v19 offset:4096
	ds_add_u32 v18, v19
	v_lshl_add_u32 v18, v16, 4, 0x1000
.LBB2360_146:
	s_delay_alu instid0(VALU_DEP_1) | instskip(SKIP_3) | instid1(VALU_DEP_2)
	v_dual_add_nc_u32 v18, v18, v3 :: v_dual_bitop2_b32 v16, -1, v5 bitop3:0x14
	s_and_b32 vcc_lo, exec_lo, s5
	s_mov_b32 s5, -1
	v_mov_b32_e32 v19, 1
	v_and_b32_e32 v17, 0xffff, v16
	s_delay_alu instid0(VALU_DEP_1) | instskip(NEXT) | instid1(VALU_DEP_1)
	v_lshrrev_b32_e32 v16, s2, v17
	v_and_b32_e32 v16, s4, v16
	s_delay_alu instid0(VALU_DEP_1) | instskip(SKIP_3) | instid1(VALU_DEP_1)
	v_lshl_or_b32 v16, v16, 4, v3
	ds_add_u32 v18, v19
	ds_add_u32 v16, v19
	v_xor_b32_e32 v16, -1, v1
                                        ; implicit-def: $vgpr18
	v_and_b32_e32 v16, 0xffff, v16
	s_cbranch_vccz .LBB2360_148
; %bb.147:
	s_delay_alu instid0(VALU_DEP_1) | instskip(SKIP_1) | instid1(VALU_DEP_1)
	v_lshrrev_b32_e32 v18, s2, v16
	s_mov_b32 s5, 0
	v_and_b32_e32 v18, s4, v18
	s_delay_alu instid0(VALU_DEP_1)
	v_lshlrev_b32_e32 v18, 4, v18
.LBB2360_148:
	s_and_not1_b32 vcc_lo, exec_lo, s5
	s_cbranch_vccnz .LBB2360_150
; %bb.149:
	s_sub_co_i32 s5, s3, s1
	v_dual_lshrrev_b32 v17, s1, v17 :: v_dual_lshrrev_b32 v18, s2, v16
	s_min_u32 s5, s5, 8
	v_mov_b32_e32 v19, 1
	s_lshl_b32 s5, -1, s5
	s_delay_alu instid0(VALU_DEP_2) | instid1(SALU_CYCLE_1)
	v_bitop3_b32 v17, v17, s5, v17 bitop3:0x30
	v_and_b32_e32 v18, s4, v18
	s_delay_alu instid0(VALU_DEP_2) | instskip(NEXT) | instid1(VALU_DEP_2)
	v_lshl_or_b32 v17, v17, 4, v3
	v_lshl_or_b32 v3, v18, 4, v3
	ds_add_u32 v17, v19 offset:4096
	ds_add_u32 v3, v19
	v_lshrrev_b32_e32 v3, s1, v16
	s_delay_alu instid0(VALU_DEP_1) | instskip(NEXT) | instid1(VALU_DEP_1)
	v_bitop3_b32 v3, v3, s5, v3 bitop3:0x30
	v_lshl_add_u32 v18, v3, 4, 0x1000
.LBB2360_150:
	s_delay_alu instid0(VALU_DEP_1)
	v_lshl_add_u32 v2, v2, 2, v18
	v_mov_b32_e32 v3, 1
	ds_add_u32 v2, v3
.LBB2360_151:
	s_and_b32 vcc_lo, exec_lo, s0
	s_wait_dscnt 0x0
	s_barrier_signal -1
	s_barrier_wait -1
	s_cbranch_vccz .LBB2360_156
; %bb.152:
	v_dual_mov_b32 v3, 0 :: v_dual_lshlrev_b32 v16, 4, v0
	v_mov_b32_e32 v17, v0
	v_cmp_gt_u32_e32 vcc_lo, 0x100, v0
	s_branch .LBB2360_154
.LBB2360_153:                           ;   in Loop: Header=BB2360_154 Depth=1
	s_wait_xcnt 0x0
	s_or_b32 exec_lo, exec_lo, s0
	v_add_nc_u32_e32 v17, 0x100, v17
	v_add_nc_u32_e32 v16, 0x1000, v16
	s_add_co_i32 s2, s2, 8
	s_delay_alu instid0(SALU_CYCLE_1)
	s_cmp_ge_u32 s2, s3
	s_cbranch_scc1 .LBB2360_156
.LBB2360_154:                           ; =>This Inner Loop Header: Depth=1
	s_and_saveexec_b32 s0, vcc_lo
	s_cbranch_execz .LBB2360_153
; %bb.155:                              ;   in Loop: Header=BB2360_154 Depth=1
	ds_load_2addr_b32 v[18:19], v16 offset1:1
	ds_load_2addr_b32 v[20:21], v16 offset0:2 offset1:3
	s_wait_dscnt 0x1
	v_add_nc_u32_e32 v2, v19, v18
	s_wait_dscnt 0x0
	s_delay_alu instid0(VALU_DEP_1)
	v_add3_u32 v2, v2, v20, v21
	global_atomic_add_u64 v17, v[2:3], s[6:7] scale_offset scope:SCOPE_DEV
	s_branch .LBB2360_153
.LBB2360_156:
	s_mov_b32 s1, 0
.LBB2360_157:
	s_delay_alu instid0(SALU_CYCLE_1)
	s_and_b32 vcc_lo, exec_lo, s1
	s_cbranch_vccz .LBB2360_164
; %bb.158:
	v_mov_b32_e32 v2, 0
	v_cmp_gt_u32_e64 s0, 3, 2
	s_mov_b32 s1, exec_lo
	ds_store_2addr_stride64_b32 v15, v2, v2 offset1:8
	v_cmpx_gt_u32_e64 3, 1
; %bb.159:
	ds_store_b32 v15, v2 offset:4096
; %bb.160:
	s_or_b32 exec_lo, exec_lo, s1
	s_and_saveexec_b32 s1, s0
; %bb.161:
	v_mov_b32_e32 v2, 0
	ds_store_b32 v15, v2 offset:6144
; %bb.162:
	s_or_b32 exec_lo, exec_lo, s1
	s_wait_loadcnt 0xb
	v_dual_mov_b32 v15, 1 :: v_dual_bitop2_b32 v2, -1, v9 bitop3:0x14
	s_wait_storecnt 0x0
	s_wait_loadcnt_dscnt 0x0
	s_barrier_signal -1
	s_barrier_wait -1
	v_and_b32_e32 v2, 0xffff, v2
	v_xor_b32_e32 v9, -1, v11
	v_xor_b32_e32 v11, -1, v13
	v_and_b32_e32 v13, 3, v0
	v_xor_b32_e32 v3, -1, v10
	v_xor_b32_e32 v10, -1, v12
	s_mov_b32 s0, exec_lo
	s_delay_alu instid0(VALU_DEP_3) | instskip(NEXT) | instid1(VALU_DEP_3)
	v_lshlrev_b32_e32 v13, 2, v13
	v_and_b32_e32 v3, 0xffff, v3
	v_xor_b32_e32 v12, -1, v14
	v_dual_lshlrev_b32 v14, 4, v2 :: v_dual_lshrrev_b32 v2, 4, v2
	v_and_b32_e32 v9, 0xffff, v9
	s_delay_alu instid0(VALU_DEP_4) | instskip(NEXT) | instid1(VALU_DEP_3)
	v_dual_lshlrev_b32 v16, 4, v3 :: v_dual_lshrrev_b32 v3, 4, v3
	v_and_or_b32 v14, 0xff0, v14, v13
	s_delay_alu instid0(VALU_DEP_4)
	v_and_or_b32 v2, 0xff0, v2, v13
	v_and_b32_e32 v10, 0xffff, v10
	v_xor_b32_e32 v6, -1, v6
	v_and_or_b32 v3, 0xff0, v3, v13
	ds_add_u32 v14, v15
	ds_add_u32 v2, v15 offset:4096
	v_and_or_b32 v2, 0xff0, v16, v13
	v_dual_lshlrev_b32 v14, 4, v9 :: v_dual_lshrrev_b32 v9, 4, v9
	v_xor_b32_e32 v7, -1, v7
	ds_add_u32 v2, v15
	ds_add_u32 v3, v15 offset:4096
	v_lshlrev_b32_e32 v2, 4, v10
	v_and_or_b32 v3, 0xff0, v14, v13
	v_and_b32_e32 v11, 0xffff, v11
	v_and_or_b32 v9, 0xff0, v9, v13
	v_dual_lshrrev_b32 v10, 4, v10 :: v_dual_bitop2_b32 v8, -1, v8 bitop3:0x14
	v_and_or_b32 v2, 0xff0, v2, v13
	v_xor_b32_e32 v4, -1, v4
	ds_add_u32 v3, v15
	ds_add_u32 v9, v15 offset:4096
	v_lshlrev_b32_e32 v3, 4, v11
	v_and_or_b32 v9, 0xff0, v10, v13
	ds_add_u32 v2, v15
	v_and_b32_e32 v2, 0xffff, v12
	v_and_b32_e32 v6, 0xffff, v6
	v_and_or_b32 v3, 0xff0, v3, v13
	v_dual_lshrrev_b32 v10, 4, v11 :: v_dual_bitop2_b32 v5, -1, v5 bitop3:0x14
	v_xor_b32_e32 v1, -1, v1
	ds_add_u32 v9, v15 offset:4096
	v_lshlrev_b32_e32 v9, 4, v2
	v_and_b32_e32 v7, 0xffff, v7
	v_lshrrev_b32_e32 v2, 4, v2
	ds_add_u32 v3, v15
	v_dual_lshlrev_b32 v3, 4, v6 :: v_dual_lshrrev_b32 v6, 4, v6
	v_and_or_b32 v10, 0xff0, v10, v13
	v_and_or_b32 v9, 0xff0, v9, v13
	;; [unrolled: 1-line block ×3, first 2 shown]
	s_delay_alu instid0(VALU_DEP_4)
	v_and_or_b32 v3, 0xff0, v3, v13
	v_and_or_b32 v6, 0xff0, v6, v13
	ds_add_u32 v10, v15 offset:4096
	ds_add_u32 v9, v15
	ds_add_u32 v2, v15 offset:4096
	ds_add_u32 v3, v15
	v_and_b32_e32 v2, 0xffff, v8
	v_lshlrev_b32_e32 v3, 4, v7
	v_and_b32_e32 v4, 0xffff, v4
	ds_add_u32 v6, v15 offset:4096
	v_dual_lshrrev_b32 v6, 4, v7 :: v_dual_lshlrev_b32 v7, 4, v2
	v_dual_lshrrev_b32 v2, 4, v2 :: v_dual_lshlrev_b32 v8, 4, v4
	v_and_or_b32 v3, 0xff0, v3, v13
	s_delay_alu instid0(VALU_DEP_3) | instskip(NEXT) | instid1(VALU_DEP_4)
	v_and_or_b32 v6, 0xff0, v6, v13
	v_and_or_b32 v7, 0xff0, v7, v13
	s_delay_alu instid0(VALU_DEP_4)
	v_and_or_b32 v2, 0xff0, v2, v13
	v_and_b32_e32 v5, 0xffff, v5
	ds_add_u32 v3, v15
	v_and_or_b32 v3, 0xff0, v8, v13
	ds_add_u32 v6, v15 offset:4096
	v_and_b32_e32 v1, 0xffff, v1
	ds_add_u32 v7, v15
	ds_add_u32 v2, v15 offset:4096
	v_lshrrev_b32_e32 v2, 4, v4
	ds_add_u32 v3, v15
	v_dual_lshlrev_b32 v3, 4, v5 :: v_dual_lshrrev_b32 v4, 4, v5
	v_dual_lshlrev_b32 v5, 4, v1 :: v_dual_lshrrev_b32 v1, 4, v1
	v_and_or_b32 v2, 0xff0, v2, v13
	s_delay_alu instid0(VALU_DEP_3) | instskip(NEXT) | instid1(VALU_DEP_4)
	v_and_or_b32 v3, 0xff0, v3, v13
	v_and_or_b32 v4, 0xff0, v4, v13
	s_delay_alu instid0(VALU_DEP_4)
	v_and_or_b32 v5, 0xff0, v5, v13
	v_and_or_b32 v1, 0xff0, v1, v13
	ds_add_u32 v2, v15 offset:4096
	ds_add_u32 v3, v15
	ds_add_u32 v4, v15 offset:4096
	ds_add_u32 v5, v15
	ds_add_u32 v1, v15 offset:4096
	s_wait_dscnt 0x0
	s_barrier_signal -1
	s_barrier_wait -1
	v_cmpx_gt_u32_e32 0x100, v0
	s_cbranch_execz .LBB2360_164
; %bb.163:
	v_lshlrev_b32_e32 v1, 4, v0
	ds_load_2addr_b32 v[2:3], v1 offset1:1
	ds_load_2addr_b32 v[4:5], v1 offset0:2 offset1:3
	s_wait_dscnt 0x1
	v_dual_mov_b32 v3, 0 :: v_dual_add_nc_u32 v2, v3, v2
	s_wait_dscnt 0x0
	s_delay_alu instid0(VALU_DEP_1)
	v_add3_u32 v2, v2, v4, v5
	v_add_nc_u32_e32 v4, 0x1000, v1
	v_add_nc_u32_e32 v1, 0x1008, v1
	global_atomic_add_u64 v0, v[2:3], s[6:7] scale_offset scope:SCOPE_DEV
	ds_load_2addr_b32 v[4:5], v4 offset1:1
	ds_load_2addr_b32 v[6:7], v1 offset1:1
	s_wait_dscnt 0x1
	v_add_nc_u32_e32 v1, v5, v4
	s_wait_dscnt 0x0
	s_wait_xcnt 0x0
	s_delay_alu instid0(VALU_DEP_1)
	v_add3_u32 v2, v1, v6, v7
	global_atomic_add_u64 v0, v[2:3], s[6:7] offset:2048 scale_offset scope:SCOPE_DEV
.LBB2360_164:
	s_endpgm
	.section	.rodata,"a",@progbits
	.p2align	6, 0x0
	.amdhsa_kernel _ZN7rocprim17ROCPRIM_400000_NS6detail17trampoline_kernelINS0_14default_configENS1_35radix_sort_onesweep_config_selectorItNS0_10empty_typeEEEZNS1_34radix_sort_onesweep_global_offsetsIS3_Lb1EPKtPS5_mNS0_19identity_decomposerEEE10hipError_tT1_T2_PT3_SF_jT4_jjP12ihipStream_tbEUlT_E_NS1_11comp_targetILNS1_3genE0ELNS1_11target_archE4294967295ELNS1_3gpuE0ELNS1_3repE0EEENS1_52radix_sort_onesweep_histogram_config_static_selectorELNS0_4arch9wavefront6targetE0EEEvSD_
		.amdhsa_group_segment_fixed_size 8192
		.amdhsa_private_segment_fixed_size 0
		.amdhsa_kernarg_size 48
		.amdhsa_user_sgpr_count 2
		.amdhsa_user_sgpr_dispatch_ptr 0
		.amdhsa_user_sgpr_queue_ptr 0
		.amdhsa_user_sgpr_kernarg_segment_ptr 1
		.amdhsa_user_sgpr_dispatch_id 0
		.amdhsa_user_sgpr_kernarg_preload_length 0
		.amdhsa_user_sgpr_kernarg_preload_offset 0
		.amdhsa_user_sgpr_private_segment_size 0
		.amdhsa_wavefront_size32 1
		.amdhsa_uses_dynamic_stack 0
		.amdhsa_enable_private_segment 0
		.amdhsa_system_sgpr_workgroup_id_x 1
		.amdhsa_system_sgpr_workgroup_id_y 0
		.amdhsa_system_sgpr_workgroup_id_z 0
		.amdhsa_system_sgpr_workgroup_info 0
		.amdhsa_system_vgpr_workitem_id 0
		.amdhsa_next_free_vgpr 23
		.amdhsa_next_free_sgpr 13
		.amdhsa_named_barrier_count 0
		.amdhsa_reserve_vcc 1
		.amdhsa_float_round_mode_32 0
		.amdhsa_float_round_mode_16_64 0
		.amdhsa_float_denorm_mode_32 3
		.amdhsa_float_denorm_mode_16_64 3
		.amdhsa_fp16_overflow 0
		.amdhsa_memory_ordered 1
		.amdhsa_forward_progress 1
		.amdhsa_inst_pref_size 56
		.amdhsa_round_robin_scheduling 0
		.amdhsa_exception_fp_ieee_invalid_op 0
		.amdhsa_exception_fp_denorm_src 0
		.amdhsa_exception_fp_ieee_div_zero 0
		.amdhsa_exception_fp_ieee_overflow 0
		.amdhsa_exception_fp_ieee_underflow 0
		.amdhsa_exception_fp_ieee_inexact 0
		.amdhsa_exception_int_div_zero 0
	.end_amdhsa_kernel
	.section	.text._ZN7rocprim17ROCPRIM_400000_NS6detail17trampoline_kernelINS0_14default_configENS1_35radix_sort_onesweep_config_selectorItNS0_10empty_typeEEEZNS1_34radix_sort_onesweep_global_offsetsIS3_Lb1EPKtPS5_mNS0_19identity_decomposerEEE10hipError_tT1_T2_PT3_SF_jT4_jjP12ihipStream_tbEUlT_E_NS1_11comp_targetILNS1_3genE0ELNS1_11target_archE4294967295ELNS1_3gpuE0ELNS1_3repE0EEENS1_52radix_sort_onesweep_histogram_config_static_selectorELNS0_4arch9wavefront6targetE0EEEvSD_,"axG",@progbits,_ZN7rocprim17ROCPRIM_400000_NS6detail17trampoline_kernelINS0_14default_configENS1_35radix_sort_onesweep_config_selectorItNS0_10empty_typeEEEZNS1_34radix_sort_onesweep_global_offsetsIS3_Lb1EPKtPS5_mNS0_19identity_decomposerEEE10hipError_tT1_T2_PT3_SF_jT4_jjP12ihipStream_tbEUlT_E_NS1_11comp_targetILNS1_3genE0ELNS1_11target_archE4294967295ELNS1_3gpuE0ELNS1_3repE0EEENS1_52radix_sort_onesweep_histogram_config_static_selectorELNS0_4arch9wavefront6targetE0EEEvSD_,comdat
.Lfunc_end2360:
	.size	_ZN7rocprim17ROCPRIM_400000_NS6detail17trampoline_kernelINS0_14default_configENS1_35radix_sort_onesweep_config_selectorItNS0_10empty_typeEEEZNS1_34radix_sort_onesweep_global_offsetsIS3_Lb1EPKtPS5_mNS0_19identity_decomposerEEE10hipError_tT1_T2_PT3_SF_jT4_jjP12ihipStream_tbEUlT_E_NS1_11comp_targetILNS1_3genE0ELNS1_11target_archE4294967295ELNS1_3gpuE0ELNS1_3repE0EEENS1_52radix_sort_onesweep_histogram_config_static_selectorELNS0_4arch9wavefront6targetE0EEEvSD_, .Lfunc_end2360-_ZN7rocprim17ROCPRIM_400000_NS6detail17trampoline_kernelINS0_14default_configENS1_35radix_sort_onesweep_config_selectorItNS0_10empty_typeEEEZNS1_34radix_sort_onesweep_global_offsetsIS3_Lb1EPKtPS5_mNS0_19identity_decomposerEEE10hipError_tT1_T2_PT3_SF_jT4_jjP12ihipStream_tbEUlT_E_NS1_11comp_targetILNS1_3genE0ELNS1_11target_archE4294967295ELNS1_3gpuE0ELNS1_3repE0EEENS1_52radix_sort_onesweep_histogram_config_static_selectorELNS0_4arch9wavefront6targetE0EEEvSD_
                                        ; -- End function
	.set _ZN7rocprim17ROCPRIM_400000_NS6detail17trampoline_kernelINS0_14default_configENS1_35radix_sort_onesweep_config_selectorItNS0_10empty_typeEEEZNS1_34radix_sort_onesweep_global_offsetsIS3_Lb1EPKtPS5_mNS0_19identity_decomposerEEE10hipError_tT1_T2_PT3_SF_jT4_jjP12ihipStream_tbEUlT_E_NS1_11comp_targetILNS1_3genE0ELNS1_11target_archE4294967295ELNS1_3gpuE0ELNS1_3repE0EEENS1_52radix_sort_onesweep_histogram_config_static_selectorELNS0_4arch9wavefront6targetE0EEEvSD_.num_vgpr, 23
	.set _ZN7rocprim17ROCPRIM_400000_NS6detail17trampoline_kernelINS0_14default_configENS1_35radix_sort_onesweep_config_selectorItNS0_10empty_typeEEEZNS1_34radix_sort_onesweep_global_offsetsIS3_Lb1EPKtPS5_mNS0_19identity_decomposerEEE10hipError_tT1_T2_PT3_SF_jT4_jjP12ihipStream_tbEUlT_E_NS1_11comp_targetILNS1_3genE0ELNS1_11target_archE4294967295ELNS1_3gpuE0ELNS1_3repE0EEENS1_52radix_sort_onesweep_histogram_config_static_selectorELNS0_4arch9wavefront6targetE0EEEvSD_.num_agpr, 0
	.set _ZN7rocprim17ROCPRIM_400000_NS6detail17trampoline_kernelINS0_14default_configENS1_35radix_sort_onesweep_config_selectorItNS0_10empty_typeEEEZNS1_34radix_sort_onesweep_global_offsetsIS3_Lb1EPKtPS5_mNS0_19identity_decomposerEEE10hipError_tT1_T2_PT3_SF_jT4_jjP12ihipStream_tbEUlT_E_NS1_11comp_targetILNS1_3genE0ELNS1_11target_archE4294967295ELNS1_3gpuE0ELNS1_3repE0EEENS1_52radix_sort_onesweep_histogram_config_static_selectorELNS0_4arch9wavefront6targetE0EEEvSD_.numbered_sgpr, 13
	.set _ZN7rocprim17ROCPRIM_400000_NS6detail17trampoline_kernelINS0_14default_configENS1_35radix_sort_onesweep_config_selectorItNS0_10empty_typeEEEZNS1_34radix_sort_onesweep_global_offsetsIS3_Lb1EPKtPS5_mNS0_19identity_decomposerEEE10hipError_tT1_T2_PT3_SF_jT4_jjP12ihipStream_tbEUlT_E_NS1_11comp_targetILNS1_3genE0ELNS1_11target_archE4294967295ELNS1_3gpuE0ELNS1_3repE0EEENS1_52radix_sort_onesweep_histogram_config_static_selectorELNS0_4arch9wavefront6targetE0EEEvSD_.num_named_barrier, 0
	.set _ZN7rocprim17ROCPRIM_400000_NS6detail17trampoline_kernelINS0_14default_configENS1_35radix_sort_onesweep_config_selectorItNS0_10empty_typeEEEZNS1_34radix_sort_onesweep_global_offsetsIS3_Lb1EPKtPS5_mNS0_19identity_decomposerEEE10hipError_tT1_T2_PT3_SF_jT4_jjP12ihipStream_tbEUlT_E_NS1_11comp_targetILNS1_3genE0ELNS1_11target_archE4294967295ELNS1_3gpuE0ELNS1_3repE0EEENS1_52radix_sort_onesweep_histogram_config_static_selectorELNS0_4arch9wavefront6targetE0EEEvSD_.private_seg_size, 0
	.set _ZN7rocprim17ROCPRIM_400000_NS6detail17trampoline_kernelINS0_14default_configENS1_35radix_sort_onesweep_config_selectorItNS0_10empty_typeEEEZNS1_34radix_sort_onesweep_global_offsetsIS3_Lb1EPKtPS5_mNS0_19identity_decomposerEEE10hipError_tT1_T2_PT3_SF_jT4_jjP12ihipStream_tbEUlT_E_NS1_11comp_targetILNS1_3genE0ELNS1_11target_archE4294967295ELNS1_3gpuE0ELNS1_3repE0EEENS1_52radix_sort_onesweep_histogram_config_static_selectorELNS0_4arch9wavefront6targetE0EEEvSD_.uses_vcc, 1
	.set _ZN7rocprim17ROCPRIM_400000_NS6detail17trampoline_kernelINS0_14default_configENS1_35radix_sort_onesweep_config_selectorItNS0_10empty_typeEEEZNS1_34radix_sort_onesweep_global_offsetsIS3_Lb1EPKtPS5_mNS0_19identity_decomposerEEE10hipError_tT1_T2_PT3_SF_jT4_jjP12ihipStream_tbEUlT_E_NS1_11comp_targetILNS1_3genE0ELNS1_11target_archE4294967295ELNS1_3gpuE0ELNS1_3repE0EEENS1_52radix_sort_onesweep_histogram_config_static_selectorELNS0_4arch9wavefront6targetE0EEEvSD_.uses_flat_scratch, 0
	.set _ZN7rocprim17ROCPRIM_400000_NS6detail17trampoline_kernelINS0_14default_configENS1_35radix_sort_onesweep_config_selectorItNS0_10empty_typeEEEZNS1_34radix_sort_onesweep_global_offsetsIS3_Lb1EPKtPS5_mNS0_19identity_decomposerEEE10hipError_tT1_T2_PT3_SF_jT4_jjP12ihipStream_tbEUlT_E_NS1_11comp_targetILNS1_3genE0ELNS1_11target_archE4294967295ELNS1_3gpuE0ELNS1_3repE0EEENS1_52radix_sort_onesweep_histogram_config_static_selectorELNS0_4arch9wavefront6targetE0EEEvSD_.has_dyn_sized_stack, 0
	.set _ZN7rocprim17ROCPRIM_400000_NS6detail17trampoline_kernelINS0_14default_configENS1_35radix_sort_onesweep_config_selectorItNS0_10empty_typeEEEZNS1_34radix_sort_onesweep_global_offsetsIS3_Lb1EPKtPS5_mNS0_19identity_decomposerEEE10hipError_tT1_T2_PT3_SF_jT4_jjP12ihipStream_tbEUlT_E_NS1_11comp_targetILNS1_3genE0ELNS1_11target_archE4294967295ELNS1_3gpuE0ELNS1_3repE0EEENS1_52radix_sort_onesweep_histogram_config_static_selectorELNS0_4arch9wavefront6targetE0EEEvSD_.has_recursion, 0
	.set _ZN7rocprim17ROCPRIM_400000_NS6detail17trampoline_kernelINS0_14default_configENS1_35radix_sort_onesweep_config_selectorItNS0_10empty_typeEEEZNS1_34radix_sort_onesweep_global_offsetsIS3_Lb1EPKtPS5_mNS0_19identity_decomposerEEE10hipError_tT1_T2_PT3_SF_jT4_jjP12ihipStream_tbEUlT_E_NS1_11comp_targetILNS1_3genE0ELNS1_11target_archE4294967295ELNS1_3gpuE0ELNS1_3repE0EEENS1_52radix_sort_onesweep_histogram_config_static_selectorELNS0_4arch9wavefront6targetE0EEEvSD_.has_indirect_call, 0
	.section	.AMDGPU.csdata,"",@progbits
; Kernel info:
; codeLenInByte = 7080
; TotalNumSgprs: 15
; NumVgprs: 23
; ScratchSize: 0
; MemoryBound: 0
; FloatMode: 240
; IeeeMode: 1
; LDSByteSize: 8192 bytes/workgroup (compile time only)
; SGPRBlocks: 0
; VGPRBlocks: 1
; NumSGPRsForWavesPerEU: 15
; NumVGPRsForWavesPerEU: 23
; NamedBarCnt: 0
; Occupancy: 16
; WaveLimiterHint : 1
; COMPUTE_PGM_RSRC2:SCRATCH_EN: 0
; COMPUTE_PGM_RSRC2:USER_SGPR: 2
; COMPUTE_PGM_RSRC2:TRAP_HANDLER: 0
; COMPUTE_PGM_RSRC2:TGID_X_EN: 1
; COMPUTE_PGM_RSRC2:TGID_Y_EN: 0
; COMPUTE_PGM_RSRC2:TGID_Z_EN: 0
; COMPUTE_PGM_RSRC2:TIDIG_COMP_CNT: 0
	.section	.text._ZN7rocprim17ROCPRIM_400000_NS6detail17trampoline_kernelINS0_14default_configENS1_35radix_sort_onesweep_config_selectorItNS0_10empty_typeEEEZNS1_34radix_sort_onesweep_global_offsetsIS3_Lb1EPKtPS5_mNS0_19identity_decomposerEEE10hipError_tT1_T2_PT3_SF_jT4_jjP12ihipStream_tbEUlT_E_NS1_11comp_targetILNS1_3genE6ELNS1_11target_archE950ELNS1_3gpuE13ELNS1_3repE0EEENS1_52radix_sort_onesweep_histogram_config_static_selectorELNS0_4arch9wavefront6targetE0EEEvSD_,"axG",@progbits,_ZN7rocprim17ROCPRIM_400000_NS6detail17trampoline_kernelINS0_14default_configENS1_35radix_sort_onesweep_config_selectorItNS0_10empty_typeEEEZNS1_34radix_sort_onesweep_global_offsetsIS3_Lb1EPKtPS5_mNS0_19identity_decomposerEEE10hipError_tT1_T2_PT3_SF_jT4_jjP12ihipStream_tbEUlT_E_NS1_11comp_targetILNS1_3genE6ELNS1_11target_archE950ELNS1_3gpuE13ELNS1_3repE0EEENS1_52radix_sort_onesweep_histogram_config_static_selectorELNS0_4arch9wavefront6targetE0EEEvSD_,comdat
	.protected	_ZN7rocprim17ROCPRIM_400000_NS6detail17trampoline_kernelINS0_14default_configENS1_35radix_sort_onesweep_config_selectorItNS0_10empty_typeEEEZNS1_34radix_sort_onesweep_global_offsetsIS3_Lb1EPKtPS5_mNS0_19identity_decomposerEEE10hipError_tT1_T2_PT3_SF_jT4_jjP12ihipStream_tbEUlT_E_NS1_11comp_targetILNS1_3genE6ELNS1_11target_archE950ELNS1_3gpuE13ELNS1_3repE0EEENS1_52radix_sort_onesweep_histogram_config_static_selectorELNS0_4arch9wavefront6targetE0EEEvSD_ ; -- Begin function _ZN7rocprim17ROCPRIM_400000_NS6detail17trampoline_kernelINS0_14default_configENS1_35radix_sort_onesweep_config_selectorItNS0_10empty_typeEEEZNS1_34radix_sort_onesweep_global_offsetsIS3_Lb1EPKtPS5_mNS0_19identity_decomposerEEE10hipError_tT1_T2_PT3_SF_jT4_jjP12ihipStream_tbEUlT_E_NS1_11comp_targetILNS1_3genE6ELNS1_11target_archE950ELNS1_3gpuE13ELNS1_3repE0EEENS1_52radix_sort_onesweep_histogram_config_static_selectorELNS0_4arch9wavefront6targetE0EEEvSD_
	.globl	_ZN7rocprim17ROCPRIM_400000_NS6detail17trampoline_kernelINS0_14default_configENS1_35radix_sort_onesweep_config_selectorItNS0_10empty_typeEEEZNS1_34radix_sort_onesweep_global_offsetsIS3_Lb1EPKtPS5_mNS0_19identity_decomposerEEE10hipError_tT1_T2_PT3_SF_jT4_jjP12ihipStream_tbEUlT_E_NS1_11comp_targetILNS1_3genE6ELNS1_11target_archE950ELNS1_3gpuE13ELNS1_3repE0EEENS1_52radix_sort_onesweep_histogram_config_static_selectorELNS0_4arch9wavefront6targetE0EEEvSD_
	.p2align	8
	.type	_ZN7rocprim17ROCPRIM_400000_NS6detail17trampoline_kernelINS0_14default_configENS1_35radix_sort_onesweep_config_selectorItNS0_10empty_typeEEEZNS1_34radix_sort_onesweep_global_offsetsIS3_Lb1EPKtPS5_mNS0_19identity_decomposerEEE10hipError_tT1_T2_PT3_SF_jT4_jjP12ihipStream_tbEUlT_E_NS1_11comp_targetILNS1_3genE6ELNS1_11target_archE950ELNS1_3gpuE13ELNS1_3repE0EEENS1_52radix_sort_onesweep_histogram_config_static_selectorELNS0_4arch9wavefront6targetE0EEEvSD_,@function
_ZN7rocprim17ROCPRIM_400000_NS6detail17trampoline_kernelINS0_14default_configENS1_35radix_sort_onesweep_config_selectorItNS0_10empty_typeEEEZNS1_34radix_sort_onesweep_global_offsetsIS3_Lb1EPKtPS5_mNS0_19identity_decomposerEEE10hipError_tT1_T2_PT3_SF_jT4_jjP12ihipStream_tbEUlT_E_NS1_11comp_targetILNS1_3genE6ELNS1_11target_archE950ELNS1_3gpuE13ELNS1_3repE0EEENS1_52radix_sort_onesweep_histogram_config_static_selectorELNS0_4arch9wavefront6targetE0EEEvSD_: ; @_ZN7rocprim17ROCPRIM_400000_NS6detail17trampoline_kernelINS0_14default_configENS1_35radix_sort_onesweep_config_selectorItNS0_10empty_typeEEEZNS1_34radix_sort_onesweep_global_offsetsIS3_Lb1EPKtPS5_mNS0_19identity_decomposerEEE10hipError_tT1_T2_PT3_SF_jT4_jjP12ihipStream_tbEUlT_E_NS1_11comp_targetILNS1_3genE6ELNS1_11target_archE950ELNS1_3gpuE13ELNS1_3repE0EEENS1_52radix_sort_onesweep_histogram_config_static_selectorELNS0_4arch9wavefront6targetE0EEEvSD_
; %bb.0:
	.section	.rodata,"a",@progbits
	.p2align	6, 0x0
	.amdhsa_kernel _ZN7rocprim17ROCPRIM_400000_NS6detail17trampoline_kernelINS0_14default_configENS1_35radix_sort_onesweep_config_selectorItNS0_10empty_typeEEEZNS1_34radix_sort_onesweep_global_offsetsIS3_Lb1EPKtPS5_mNS0_19identity_decomposerEEE10hipError_tT1_T2_PT3_SF_jT4_jjP12ihipStream_tbEUlT_E_NS1_11comp_targetILNS1_3genE6ELNS1_11target_archE950ELNS1_3gpuE13ELNS1_3repE0EEENS1_52radix_sort_onesweep_histogram_config_static_selectorELNS0_4arch9wavefront6targetE0EEEvSD_
		.amdhsa_group_segment_fixed_size 0
		.amdhsa_private_segment_fixed_size 0
		.amdhsa_kernarg_size 48
		.amdhsa_user_sgpr_count 2
		.amdhsa_user_sgpr_dispatch_ptr 0
		.amdhsa_user_sgpr_queue_ptr 0
		.amdhsa_user_sgpr_kernarg_segment_ptr 1
		.amdhsa_user_sgpr_dispatch_id 0
		.amdhsa_user_sgpr_kernarg_preload_length 0
		.amdhsa_user_sgpr_kernarg_preload_offset 0
		.amdhsa_user_sgpr_private_segment_size 0
		.amdhsa_wavefront_size32 1
		.amdhsa_uses_dynamic_stack 0
		.amdhsa_enable_private_segment 0
		.amdhsa_system_sgpr_workgroup_id_x 1
		.amdhsa_system_sgpr_workgroup_id_y 0
		.amdhsa_system_sgpr_workgroup_id_z 0
		.amdhsa_system_sgpr_workgroup_info 0
		.amdhsa_system_vgpr_workitem_id 0
		.amdhsa_next_free_vgpr 1
		.amdhsa_next_free_sgpr 1
		.amdhsa_named_barrier_count 0
		.amdhsa_reserve_vcc 0
		.amdhsa_float_round_mode_32 0
		.amdhsa_float_round_mode_16_64 0
		.amdhsa_float_denorm_mode_32 3
		.amdhsa_float_denorm_mode_16_64 3
		.amdhsa_fp16_overflow 0
		.amdhsa_memory_ordered 1
		.amdhsa_forward_progress 1
		.amdhsa_inst_pref_size 0
		.amdhsa_round_robin_scheduling 0
		.amdhsa_exception_fp_ieee_invalid_op 0
		.amdhsa_exception_fp_denorm_src 0
		.amdhsa_exception_fp_ieee_div_zero 0
		.amdhsa_exception_fp_ieee_overflow 0
		.amdhsa_exception_fp_ieee_underflow 0
		.amdhsa_exception_fp_ieee_inexact 0
		.amdhsa_exception_int_div_zero 0
	.end_amdhsa_kernel
	.section	.text._ZN7rocprim17ROCPRIM_400000_NS6detail17trampoline_kernelINS0_14default_configENS1_35radix_sort_onesweep_config_selectorItNS0_10empty_typeEEEZNS1_34radix_sort_onesweep_global_offsetsIS3_Lb1EPKtPS5_mNS0_19identity_decomposerEEE10hipError_tT1_T2_PT3_SF_jT4_jjP12ihipStream_tbEUlT_E_NS1_11comp_targetILNS1_3genE6ELNS1_11target_archE950ELNS1_3gpuE13ELNS1_3repE0EEENS1_52radix_sort_onesweep_histogram_config_static_selectorELNS0_4arch9wavefront6targetE0EEEvSD_,"axG",@progbits,_ZN7rocprim17ROCPRIM_400000_NS6detail17trampoline_kernelINS0_14default_configENS1_35radix_sort_onesweep_config_selectorItNS0_10empty_typeEEEZNS1_34radix_sort_onesweep_global_offsetsIS3_Lb1EPKtPS5_mNS0_19identity_decomposerEEE10hipError_tT1_T2_PT3_SF_jT4_jjP12ihipStream_tbEUlT_E_NS1_11comp_targetILNS1_3genE6ELNS1_11target_archE950ELNS1_3gpuE13ELNS1_3repE0EEENS1_52radix_sort_onesweep_histogram_config_static_selectorELNS0_4arch9wavefront6targetE0EEEvSD_,comdat
.Lfunc_end2361:
	.size	_ZN7rocprim17ROCPRIM_400000_NS6detail17trampoline_kernelINS0_14default_configENS1_35radix_sort_onesweep_config_selectorItNS0_10empty_typeEEEZNS1_34radix_sort_onesweep_global_offsetsIS3_Lb1EPKtPS5_mNS0_19identity_decomposerEEE10hipError_tT1_T2_PT3_SF_jT4_jjP12ihipStream_tbEUlT_E_NS1_11comp_targetILNS1_3genE6ELNS1_11target_archE950ELNS1_3gpuE13ELNS1_3repE0EEENS1_52radix_sort_onesweep_histogram_config_static_selectorELNS0_4arch9wavefront6targetE0EEEvSD_, .Lfunc_end2361-_ZN7rocprim17ROCPRIM_400000_NS6detail17trampoline_kernelINS0_14default_configENS1_35radix_sort_onesweep_config_selectorItNS0_10empty_typeEEEZNS1_34radix_sort_onesweep_global_offsetsIS3_Lb1EPKtPS5_mNS0_19identity_decomposerEEE10hipError_tT1_T2_PT3_SF_jT4_jjP12ihipStream_tbEUlT_E_NS1_11comp_targetILNS1_3genE6ELNS1_11target_archE950ELNS1_3gpuE13ELNS1_3repE0EEENS1_52radix_sort_onesweep_histogram_config_static_selectorELNS0_4arch9wavefront6targetE0EEEvSD_
                                        ; -- End function
	.set _ZN7rocprim17ROCPRIM_400000_NS6detail17trampoline_kernelINS0_14default_configENS1_35radix_sort_onesweep_config_selectorItNS0_10empty_typeEEEZNS1_34radix_sort_onesweep_global_offsetsIS3_Lb1EPKtPS5_mNS0_19identity_decomposerEEE10hipError_tT1_T2_PT3_SF_jT4_jjP12ihipStream_tbEUlT_E_NS1_11comp_targetILNS1_3genE6ELNS1_11target_archE950ELNS1_3gpuE13ELNS1_3repE0EEENS1_52radix_sort_onesweep_histogram_config_static_selectorELNS0_4arch9wavefront6targetE0EEEvSD_.num_vgpr, 0
	.set _ZN7rocprim17ROCPRIM_400000_NS6detail17trampoline_kernelINS0_14default_configENS1_35radix_sort_onesweep_config_selectorItNS0_10empty_typeEEEZNS1_34radix_sort_onesweep_global_offsetsIS3_Lb1EPKtPS5_mNS0_19identity_decomposerEEE10hipError_tT1_T2_PT3_SF_jT4_jjP12ihipStream_tbEUlT_E_NS1_11comp_targetILNS1_3genE6ELNS1_11target_archE950ELNS1_3gpuE13ELNS1_3repE0EEENS1_52radix_sort_onesweep_histogram_config_static_selectorELNS0_4arch9wavefront6targetE0EEEvSD_.num_agpr, 0
	.set _ZN7rocprim17ROCPRIM_400000_NS6detail17trampoline_kernelINS0_14default_configENS1_35radix_sort_onesweep_config_selectorItNS0_10empty_typeEEEZNS1_34radix_sort_onesweep_global_offsetsIS3_Lb1EPKtPS5_mNS0_19identity_decomposerEEE10hipError_tT1_T2_PT3_SF_jT4_jjP12ihipStream_tbEUlT_E_NS1_11comp_targetILNS1_3genE6ELNS1_11target_archE950ELNS1_3gpuE13ELNS1_3repE0EEENS1_52radix_sort_onesweep_histogram_config_static_selectorELNS0_4arch9wavefront6targetE0EEEvSD_.numbered_sgpr, 0
	.set _ZN7rocprim17ROCPRIM_400000_NS6detail17trampoline_kernelINS0_14default_configENS1_35radix_sort_onesweep_config_selectorItNS0_10empty_typeEEEZNS1_34radix_sort_onesweep_global_offsetsIS3_Lb1EPKtPS5_mNS0_19identity_decomposerEEE10hipError_tT1_T2_PT3_SF_jT4_jjP12ihipStream_tbEUlT_E_NS1_11comp_targetILNS1_3genE6ELNS1_11target_archE950ELNS1_3gpuE13ELNS1_3repE0EEENS1_52radix_sort_onesweep_histogram_config_static_selectorELNS0_4arch9wavefront6targetE0EEEvSD_.num_named_barrier, 0
	.set _ZN7rocprim17ROCPRIM_400000_NS6detail17trampoline_kernelINS0_14default_configENS1_35radix_sort_onesweep_config_selectorItNS0_10empty_typeEEEZNS1_34radix_sort_onesweep_global_offsetsIS3_Lb1EPKtPS5_mNS0_19identity_decomposerEEE10hipError_tT1_T2_PT3_SF_jT4_jjP12ihipStream_tbEUlT_E_NS1_11comp_targetILNS1_3genE6ELNS1_11target_archE950ELNS1_3gpuE13ELNS1_3repE0EEENS1_52radix_sort_onesweep_histogram_config_static_selectorELNS0_4arch9wavefront6targetE0EEEvSD_.private_seg_size, 0
	.set _ZN7rocprim17ROCPRIM_400000_NS6detail17trampoline_kernelINS0_14default_configENS1_35radix_sort_onesweep_config_selectorItNS0_10empty_typeEEEZNS1_34radix_sort_onesweep_global_offsetsIS3_Lb1EPKtPS5_mNS0_19identity_decomposerEEE10hipError_tT1_T2_PT3_SF_jT4_jjP12ihipStream_tbEUlT_E_NS1_11comp_targetILNS1_3genE6ELNS1_11target_archE950ELNS1_3gpuE13ELNS1_3repE0EEENS1_52radix_sort_onesweep_histogram_config_static_selectorELNS0_4arch9wavefront6targetE0EEEvSD_.uses_vcc, 0
	.set _ZN7rocprim17ROCPRIM_400000_NS6detail17trampoline_kernelINS0_14default_configENS1_35radix_sort_onesweep_config_selectorItNS0_10empty_typeEEEZNS1_34radix_sort_onesweep_global_offsetsIS3_Lb1EPKtPS5_mNS0_19identity_decomposerEEE10hipError_tT1_T2_PT3_SF_jT4_jjP12ihipStream_tbEUlT_E_NS1_11comp_targetILNS1_3genE6ELNS1_11target_archE950ELNS1_3gpuE13ELNS1_3repE0EEENS1_52radix_sort_onesweep_histogram_config_static_selectorELNS0_4arch9wavefront6targetE0EEEvSD_.uses_flat_scratch, 0
	.set _ZN7rocprim17ROCPRIM_400000_NS6detail17trampoline_kernelINS0_14default_configENS1_35radix_sort_onesweep_config_selectorItNS0_10empty_typeEEEZNS1_34radix_sort_onesweep_global_offsetsIS3_Lb1EPKtPS5_mNS0_19identity_decomposerEEE10hipError_tT1_T2_PT3_SF_jT4_jjP12ihipStream_tbEUlT_E_NS1_11comp_targetILNS1_3genE6ELNS1_11target_archE950ELNS1_3gpuE13ELNS1_3repE0EEENS1_52radix_sort_onesweep_histogram_config_static_selectorELNS0_4arch9wavefront6targetE0EEEvSD_.has_dyn_sized_stack, 0
	.set _ZN7rocprim17ROCPRIM_400000_NS6detail17trampoline_kernelINS0_14default_configENS1_35radix_sort_onesweep_config_selectorItNS0_10empty_typeEEEZNS1_34radix_sort_onesweep_global_offsetsIS3_Lb1EPKtPS5_mNS0_19identity_decomposerEEE10hipError_tT1_T2_PT3_SF_jT4_jjP12ihipStream_tbEUlT_E_NS1_11comp_targetILNS1_3genE6ELNS1_11target_archE950ELNS1_3gpuE13ELNS1_3repE0EEENS1_52radix_sort_onesweep_histogram_config_static_selectorELNS0_4arch9wavefront6targetE0EEEvSD_.has_recursion, 0
	.set _ZN7rocprim17ROCPRIM_400000_NS6detail17trampoline_kernelINS0_14default_configENS1_35radix_sort_onesweep_config_selectorItNS0_10empty_typeEEEZNS1_34radix_sort_onesweep_global_offsetsIS3_Lb1EPKtPS5_mNS0_19identity_decomposerEEE10hipError_tT1_T2_PT3_SF_jT4_jjP12ihipStream_tbEUlT_E_NS1_11comp_targetILNS1_3genE6ELNS1_11target_archE950ELNS1_3gpuE13ELNS1_3repE0EEENS1_52radix_sort_onesweep_histogram_config_static_selectorELNS0_4arch9wavefront6targetE0EEEvSD_.has_indirect_call, 0
	.section	.AMDGPU.csdata,"",@progbits
; Kernel info:
; codeLenInByte = 0
; TotalNumSgprs: 0
; NumVgprs: 0
; ScratchSize: 0
; MemoryBound: 0
; FloatMode: 240
; IeeeMode: 1
; LDSByteSize: 0 bytes/workgroup (compile time only)
; SGPRBlocks: 0
; VGPRBlocks: 0
; NumSGPRsForWavesPerEU: 1
; NumVGPRsForWavesPerEU: 1
; NamedBarCnt: 0
; Occupancy: 16
; WaveLimiterHint : 0
; COMPUTE_PGM_RSRC2:SCRATCH_EN: 0
; COMPUTE_PGM_RSRC2:USER_SGPR: 2
; COMPUTE_PGM_RSRC2:TRAP_HANDLER: 0
; COMPUTE_PGM_RSRC2:TGID_X_EN: 1
; COMPUTE_PGM_RSRC2:TGID_Y_EN: 0
; COMPUTE_PGM_RSRC2:TGID_Z_EN: 0
; COMPUTE_PGM_RSRC2:TIDIG_COMP_CNT: 0
	.section	.text._ZN7rocprim17ROCPRIM_400000_NS6detail17trampoline_kernelINS0_14default_configENS1_35radix_sort_onesweep_config_selectorItNS0_10empty_typeEEEZNS1_34radix_sort_onesweep_global_offsetsIS3_Lb1EPKtPS5_mNS0_19identity_decomposerEEE10hipError_tT1_T2_PT3_SF_jT4_jjP12ihipStream_tbEUlT_E_NS1_11comp_targetILNS1_3genE5ELNS1_11target_archE942ELNS1_3gpuE9ELNS1_3repE0EEENS1_52radix_sort_onesweep_histogram_config_static_selectorELNS0_4arch9wavefront6targetE0EEEvSD_,"axG",@progbits,_ZN7rocprim17ROCPRIM_400000_NS6detail17trampoline_kernelINS0_14default_configENS1_35radix_sort_onesweep_config_selectorItNS0_10empty_typeEEEZNS1_34radix_sort_onesweep_global_offsetsIS3_Lb1EPKtPS5_mNS0_19identity_decomposerEEE10hipError_tT1_T2_PT3_SF_jT4_jjP12ihipStream_tbEUlT_E_NS1_11comp_targetILNS1_3genE5ELNS1_11target_archE942ELNS1_3gpuE9ELNS1_3repE0EEENS1_52radix_sort_onesweep_histogram_config_static_selectorELNS0_4arch9wavefront6targetE0EEEvSD_,comdat
	.protected	_ZN7rocprim17ROCPRIM_400000_NS6detail17trampoline_kernelINS0_14default_configENS1_35radix_sort_onesweep_config_selectorItNS0_10empty_typeEEEZNS1_34radix_sort_onesweep_global_offsetsIS3_Lb1EPKtPS5_mNS0_19identity_decomposerEEE10hipError_tT1_T2_PT3_SF_jT4_jjP12ihipStream_tbEUlT_E_NS1_11comp_targetILNS1_3genE5ELNS1_11target_archE942ELNS1_3gpuE9ELNS1_3repE0EEENS1_52radix_sort_onesweep_histogram_config_static_selectorELNS0_4arch9wavefront6targetE0EEEvSD_ ; -- Begin function _ZN7rocprim17ROCPRIM_400000_NS6detail17trampoline_kernelINS0_14default_configENS1_35radix_sort_onesweep_config_selectorItNS0_10empty_typeEEEZNS1_34radix_sort_onesweep_global_offsetsIS3_Lb1EPKtPS5_mNS0_19identity_decomposerEEE10hipError_tT1_T2_PT3_SF_jT4_jjP12ihipStream_tbEUlT_E_NS1_11comp_targetILNS1_3genE5ELNS1_11target_archE942ELNS1_3gpuE9ELNS1_3repE0EEENS1_52radix_sort_onesweep_histogram_config_static_selectorELNS0_4arch9wavefront6targetE0EEEvSD_
	.globl	_ZN7rocprim17ROCPRIM_400000_NS6detail17trampoline_kernelINS0_14default_configENS1_35radix_sort_onesweep_config_selectorItNS0_10empty_typeEEEZNS1_34radix_sort_onesweep_global_offsetsIS3_Lb1EPKtPS5_mNS0_19identity_decomposerEEE10hipError_tT1_T2_PT3_SF_jT4_jjP12ihipStream_tbEUlT_E_NS1_11comp_targetILNS1_3genE5ELNS1_11target_archE942ELNS1_3gpuE9ELNS1_3repE0EEENS1_52radix_sort_onesweep_histogram_config_static_selectorELNS0_4arch9wavefront6targetE0EEEvSD_
	.p2align	8
	.type	_ZN7rocprim17ROCPRIM_400000_NS6detail17trampoline_kernelINS0_14default_configENS1_35radix_sort_onesweep_config_selectorItNS0_10empty_typeEEEZNS1_34radix_sort_onesweep_global_offsetsIS3_Lb1EPKtPS5_mNS0_19identity_decomposerEEE10hipError_tT1_T2_PT3_SF_jT4_jjP12ihipStream_tbEUlT_E_NS1_11comp_targetILNS1_3genE5ELNS1_11target_archE942ELNS1_3gpuE9ELNS1_3repE0EEENS1_52radix_sort_onesweep_histogram_config_static_selectorELNS0_4arch9wavefront6targetE0EEEvSD_,@function
_ZN7rocprim17ROCPRIM_400000_NS6detail17trampoline_kernelINS0_14default_configENS1_35radix_sort_onesweep_config_selectorItNS0_10empty_typeEEEZNS1_34radix_sort_onesweep_global_offsetsIS3_Lb1EPKtPS5_mNS0_19identity_decomposerEEE10hipError_tT1_T2_PT3_SF_jT4_jjP12ihipStream_tbEUlT_E_NS1_11comp_targetILNS1_3genE5ELNS1_11target_archE942ELNS1_3gpuE9ELNS1_3repE0EEENS1_52radix_sort_onesweep_histogram_config_static_selectorELNS0_4arch9wavefront6targetE0EEEvSD_: ; @_ZN7rocprim17ROCPRIM_400000_NS6detail17trampoline_kernelINS0_14default_configENS1_35radix_sort_onesweep_config_selectorItNS0_10empty_typeEEEZNS1_34radix_sort_onesweep_global_offsetsIS3_Lb1EPKtPS5_mNS0_19identity_decomposerEEE10hipError_tT1_T2_PT3_SF_jT4_jjP12ihipStream_tbEUlT_E_NS1_11comp_targetILNS1_3genE5ELNS1_11target_archE942ELNS1_3gpuE9ELNS1_3repE0EEENS1_52radix_sort_onesweep_histogram_config_static_selectorELNS0_4arch9wavefront6targetE0EEEvSD_
; %bb.0:
	.section	.rodata,"a",@progbits
	.p2align	6, 0x0
	.amdhsa_kernel _ZN7rocprim17ROCPRIM_400000_NS6detail17trampoline_kernelINS0_14default_configENS1_35radix_sort_onesweep_config_selectorItNS0_10empty_typeEEEZNS1_34radix_sort_onesweep_global_offsetsIS3_Lb1EPKtPS5_mNS0_19identity_decomposerEEE10hipError_tT1_T2_PT3_SF_jT4_jjP12ihipStream_tbEUlT_E_NS1_11comp_targetILNS1_3genE5ELNS1_11target_archE942ELNS1_3gpuE9ELNS1_3repE0EEENS1_52radix_sort_onesweep_histogram_config_static_selectorELNS0_4arch9wavefront6targetE0EEEvSD_
		.amdhsa_group_segment_fixed_size 0
		.amdhsa_private_segment_fixed_size 0
		.amdhsa_kernarg_size 48
		.amdhsa_user_sgpr_count 2
		.amdhsa_user_sgpr_dispatch_ptr 0
		.amdhsa_user_sgpr_queue_ptr 0
		.amdhsa_user_sgpr_kernarg_segment_ptr 1
		.amdhsa_user_sgpr_dispatch_id 0
		.amdhsa_user_sgpr_kernarg_preload_length 0
		.amdhsa_user_sgpr_kernarg_preload_offset 0
		.amdhsa_user_sgpr_private_segment_size 0
		.amdhsa_wavefront_size32 1
		.amdhsa_uses_dynamic_stack 0
		.amdhsa_enable_private_segment 0
		.amdhsa_system_sgpr_workgroup_id_x 1
		.amdhsa_system_sgpr_workgroup_id_y 0
		.amdhsa_system_sgpr_workgroup_id_z 0
		.amdhsa_system_sgpr_workgroup_info 0
		.amdhsa_system_vgpr_workitem_id 0
		.amdhsa_next_free_vgpr 1
		.amdhsa_next_free_sgpr 1
		.amdhsa_named_barrier_count 0
		.amdhsa_reserve_vcc 0
		.amdhsa_float_round_mode_32 0
		.amdhsa_float_round_mode_16_64 0
		.amdhsa_float_denorm_mode_32 3
		.amdhsa_float_denorm_mode_16_64 3
		.amdhsa_fp16_overflow 0
		.amdhsa_memory_ordered 1
		.amdhsa_forward_progress 1
		.amdhsa_inst_pref_size 0
		.amdhsa_round_robin_scheduling 0
		.amdhsa_exception_fp_ieee_invalid_op 0
		.amdhsa_exception_fp_denorm_src 0
		.amdhsa_exception_fp_ieee_div_zero 0
		.amdhsa_exception_fp_ieee_overflow 0
		.amdhsa_exception_fp_ieee_underflow 0
		.amdhsa_exception_fp_ieee_inexact 0
		.amdhsa_exception_int_div_zero 0
	.end_amdhsa_kernel
	.section	.text._ZN7rocprim17ROCPRIM_400000_NS6detail17trampoline_kernelINS0_14default_configENS1_35radix_sort_onesweep_config_selectorItNS0_10empty_typeEEEZNS1_34radix_sort_onesweep_global_offsetsIS3_Lb1EPKtPS5_mNS0_19identity_decomposerEEE10hipError_tT1_T2_PT3_SF_jT4_jjP12ihipStream_tbEUlT_E_NS1_11comp_targetILNS1_3genE5ELNS1_11target_archE942ELNS1_3gpuE9ELNS1_3repE0EEENS1_52radix_sort_onesweep_histogram_config_static_selectorELNS0_4arch9wavefront6targetE0EEEvSD_,"axG",@progbits,_ZN7rocprim17ROCPRIM_400000_NS6detail17trampoline_kernelINS0_14default_configENS1_35radix_sort_onesweep_config_selectorItNS0_10empty_typeEEEZNS1_34radix_sort_onesweep_global_offsetsIS3_Lb1EPKtPS5_mNS0_19identity_decomposerEEE10hipError_tT1_T2_PT3_SF_jT4_jjP12ihipStream_tbEUlT_E_NS1_11comp_targetILNS1_3genE5ELNS1_11target_archE942ELNS1_3gpuE9ELNS1_3repE0EEENS1_52radix_sort_onesweep_histogram_config_static_selectorELNS0_4arch9wavefront6targetE0EEEvSD_,comdat
.Lfunc_end2362:
	.size	_ZN7rocprim17ROCPRIM_400000_NS6detail17trampoline_kernelINS0_14default_configENS1_35radix_sort_onesweep_config_selectorItNS0_10empty_typeEEEZNS1_34radix_sort_onesweep_global_offsetsIS3_Lb1EPKtPS5_mNS0_19identity_decomposerEEE10hipError_tT1_T2_PT3_SF_jT4_jjP12ihipStream_tbEUlT_E_NS1_11comp_targetILNS1_3genE5ELNS1_11target_archE942ELNS1_3gpuE9ELNS1_3repE0EEENS1_52radix_sort_onesweep_histogram_config_static_selectorELNS0_4arch9wavefront6targetE0EEEvSD_, .Lfunc_end2362-_ZN7rocprim17ROCPRIM_400000_NS6detail17trampoline_kernelINS0_14default_configENS1_35radix_sort_onesweep_config_selectorItNS0_10empty_typeEEEZNS1_34radix_sort_onesweep_global_offsetsIS3_Lb1EPKtPS5_mNS0_19identity_decomposerEEE10hipError_tT1_T2_PT3_SF_jT4_jjP12ihipStream_tbEUlT_E_NS1_11comp_targetILNS1_3genE5ELNS1_11target_archE942ELNS1_3gpuE9ELNS1_3repE0EEENS1_52radix_sort_onesweep_histogram_config_static_selectorELNS0_4arch9wavefront6targetE0EEEvSD_
                                        ; -- End function
	.set _ZN7rocprim17ROCPRIM_400000_NS6detail17trampoline_kernelINS0_14default_configENS1_35radix_sort_onesweep_config_selectorItNS0_10empty_typeEEEZNS1_34radix_sort_onesweep_global_offsetsIS3_Lb1EPKtPS5_mNS0_19identity_decomposerEEE10hipError_tT1_T2_PT3_SF_jT4_jjP12ihipStream_tbEUlT_E_NS1_11comp_targetILNS1_3genE5ELNS1_11target_archE942ELNS1_3gpuE9ELNS1_3repE0EEENS1_52radix_sort_onesweep_histogram_config_static_selectorELNS0_4arch9wavefront6targetE0EEEvSD_.num_vgpr, 0
	.set _ZN7rocprim17ROCPRIM_400000_NS6detail17trampoline_kernelINS0_14default_configENS1_35radix_sort_onesweep_config_selectorItNS0_10empty_typeEEEZNS1_34radix_sort_onesweep_global_offsetsIS3_Lb1EPKtPS5_mNS0_19identity_decomposerEEE10hipError_tT1_T2_PT3_SF_jT4_jjP12ihipStream_tbEUlT_E_NS1_11comp_targetILNS1_3genE5ELNS1_11target_archE942ELNS1_3gpuE9ELNS1_3repE0EEENS1_52radix_sort_onesweep_histogram_config_static_selectorELNS0_4arch9wavefront6targetE0EEEvSD_.num_agpr, 0
	.set _ZN7rocprim17ROCPRIM_400000_NS6detail17trampoline_kernelINS0_14default_configENS1_35radix_sort_onesweep_config_selectorItNS0_10empty_typeEEEZNS1_34radix_sort_onesweep_global_offsetsIS3_Lb1EPKtPS5_mNS0_19identity_decomposerEEE10hipError_tT1_T2_PT3_SF_jT4_jjP12ihipStream_tbEUlT_E_NS1_11comp_targetILNS1_3genE5ELNS1_11target_archE942ELNS1_3gpuE9ELNS1_3repE0EEENS1_52radix_sort_onesweep_histogram_config_static_selectorELNS0_4arch9wavefront6targetE0EEEvSD_.numbered_sgpr, 0
	.set _ZN7rocprim17ROCPRIM_400000_NS6detail17trampoline_kernelINS0_14default_configENS1_35radix_sort_onesweep_config_selectorItNS0_10empty_typeEEEZNS1_34radix_sort_onesweep_global_offsetsIS3_Lb1EPKtPS5_mNS0_19identity_decomposerEEE10hipError_tT1_T2_PT3_SF_jT4_jjP12ihipStream_tbEUlT_E_NS1_11comp_targetILNS1_3genE5ELNS1_11target_archE942ELNS1_3gpuE9ELNS1_3repE0EEENS1_52radix_sort_onesweep_histogram_config_static_selectorELNS0_4arch9wavefront6targetE0EEEvSD_.num_named_barrier, 0
	.set _ZN7rocprim17ROCPRIM_400000_NS6detail17trampoline_kernelINS0_14default_configENS1_35radix_sort_onesweep_config_selectorItNS0_10empty_typeEEEZNS1_34radix_sort_onesweep_global_offsetsIS3_Lb1EPKtPS5_mNS0_19identity_decomposerEEE10hipError_tT1_T2_PT3_SF_jT4_jjP12ihipStream_tbEUlT_E_NS1_11comp_targetILNS1_3genE5ELNS1_11target_archE942ELNS1_3gpuE9ELNS1_3repE0EEENS1_52radix_sort_onesweep_histogram_config_static_selectorELNS0_4arch9wavefront6targetE0EEEvSD_.private_seg_size, 0
	.set _ZN7rocprim17ROCPRIM_400000_NS6detail17trampoline_kernelINS0_14default_configENS1_35radix_sort_onesweep_config_selectorItNS0_10empty_typeEEEZNS1_34radix_sort_onesweep_global_offsetsIS3_Lb1EPKtPS5_mNS0_19identity_decomposerEEE10hipError_tT1_T2_PT3_SF_jT4_jjP12ihipStream_tbEUlT_E_NS1_11comp_targetILNS1_3genE5ELNS1_11target_archE942ELNS1_3gpuE9ELNS1_3repE0EEENS1_52radix_sort_onesweep_histogram_config_static_selectorELNS0_4arch9wavefront6targetE0EEEvSD_.uses_vcc, 0
	.set _ZN7rocprim17ROCPRIM_400000_NS6detail17trampoline_kernelINS0_14default_configENS1_35radix_sort_onesweep_config_selectorItNS0_10empty_typeEEEZNS1_34radix_sort_onesweep_global_offsetsIS3_Lb1EPKtPS5_mNS0_19identity_decomposerEEE10hipError_tT1_T2_PT3_SF_jT4_jjP12ihipStream_tbEUlT_E_NS1_11comp_targetILNS1_3genE5ELNS1_11target_archE942ELNS1_3gpuE9ELNS1_3repE0EEENS1_52radix_sort_onesweep_histogram_config_static_selectorELNS0_4arch9wavefront6targetE0EEEvSD_.uses_flat_scratch, 0
	.set _ZN7rocprim17ROCPRIM_400000_NS6detail17trampoline_kernelINS0_14default_configENS1_35radix_sort_onesweep_config_selectorItNS0_10empty_typeEEEZNS1_34radix_sort_onesweep_global_offsetsIS3_Lb1EPKtPS5_mNS0_19identity_decomposerEEE10hipError_tT1_T2_PT3_SF_jT4_jjP12ihipStream_tbEUlT_E_NS1_11comp_targetILNS1_3genE5ELNS1_11target_archE942ELNS1_3gpuE9ELNS1_3repE0EEENS1_52radix_sort_onesweep_histogram_config_static_selectorELNS0_4arch9wavefront6targetE0EEEvSD_.has_dyn_sized_stack, 0
	.set _ZN7rocprim17ROCPRIM_400000_NS6detail17trampoline_kernelINS0_14default_configENS1_35radix_sort_onesweep_config_selectorItNS0_10empty_typeEEEZNS1_34radix_sort_onesweep_global_offsetsIS3_Lb1EPKtPS5_mNS0_19identity_decomposerEEE10hipError_tT1_T2_PT3_SF_jT4_jjP12ihipStream_tbEUlT_E_NS1_11comp_targetILNS1_3genE5ELNS1_11target_archE942ELNS1_3gpuE9ELNS1_3repE0EEENS1_52radix_sort_onesweep_histogram_config_static_selectorELNS0_4arch9wavefront6targetE0EEEvSD_.has_recursion, 0
	.set _ZN7rocprim17ROCPRIM_400000_NS6detail17trampoline_kernelINS0_14default_configENS1_35radix_sort_onesweep_config_selectorItNS0_10empty_typeEEEZNS1_34radix_sort_onesweep_global_offsetsIS3_Lb1EPKtPS5_mNS0_19identity_decomposerEEE10hipError_tT1_T2_PT3_SF_jT4_jjP12ihipStream_tbEUlT_E_NS1_11comp_targetILNS1_3genE5ELNS1_11target_archE942ELNS1_3gpuE9ELNS1_3repE0EEENS1_52radix_sort_onesweep_histogram_config_static_selectorELNS0_4arch9wavefront6targetE0EEEvSD_.has_indirect_call, 0
	.section	.AMDGPU.csdata,"",@progbits
; Kernel info:
; codeLenInByte = 0
; TotalNumSgprs: 0
; NumVgprs: 0
; ScratchSize: 0
; MemoryBound: 0
; FloatMode: 240
; IeeeMode: 1
; LDSByteSize: 0 bytes/workgroup (compile time only)
; SGPRBlocks: 0
; VGPRBlocks: 0
; NumSGPRsForWavesPerEU: 1
; NumVGPRsForWavesPerEU: 1
; NamedBarCnt: 0
; Occupancy: 16
; WaveLimiterHint : 0
; COMPUTE_PGM_RSRC2:SCRATCH_EN: 0
; COMPUTE_PGM_RSRC2:USER_SGPR: 2
; COMPUTE_PGM_RSRC2:TRAP_HANDLER: 0
; COMPUTE_PGM_RSRC2:TGID_X_EN: 1
; COMPUTE_PGM_RSRC2:TGID_Y_EN: 0
; COMPUTE_PGM_RSRC2:TGID_Z_EN: 0
; COMPUTE_PGM_RSRC2:TIDIG_COMP_CNT: 0
	.section	.text._ZN7rocprim17ROCPRIM_400000_NS6detail17trampoline_kernelINS0_14default_configENS1_35radix_sort_onesweep_config_selectorItNS0_10empty_typeEEEZNS1_34radix_sort_onesweep_global_offsetsIS3_Lb1EPKtPS5_mNS0_19identity_decomposerEEE10hipError_tT1_T2_PT3_SF_jT4_jjP12ihipStream_tbEUlT_E_NS1_11comp_targetILNS1_3genE2ELNS1_11target_archE906ELNS1_3gpuE6ELNS1_3repE0EEENS1_52radix_sort_onesweep_histogram_config_static_selectorELNS0_4arch9wavefront6targetE0EEEvSD_,"axG",@progbits,_ZN7rocprim17ROCPRIM_400000_NS6detail17trampoline_kernelINS0_14default_configENS1_35radix_sort_onesweep_config_selectorItNS0_10empty_typeEEEZNS1_34radix_sort_onesweep_global_offsetsIS3_Lb1EPKtPS5_mNS0_19identity_decomposerEEE10hipError_tT1_T2_PT3_SF_jT4_jjP12ihipStream_tbEUlT_E_NS1_11comp_targetILNS1_3genE2ELNS1_11target_archE906ELNS1_3gpuE6ELNS1_3repE0EEENS1_52radix_sort_onesweep_histogram_config_static_selectorELNS0_4arch9wavefront6targetE0EEEvSD_,comdat
	.protected	_ZN7rocprim17ROCPRIM_400000_NS6detail17trampoline_kernelINS0_14default_configENS1_35radix_sort_onesweep_config_selectorItNS0_10empty_typeEEEZNS1_34radix_sort_onesweep_global_offsetsIS3_Lb1EPKtPS5_mNS0_19identity_decomposerEEE10hipError_tT1_T2_PT3_SF_jT4_jjP12ihipStream_tbEUlT_E_NS1_11comp_targetILNS1_3genE2ELNS1_11target_archE906ELNS1_3gpuE6ELNS1_3repE0EEENS1_52radix_sort_onesweep_histogram_config_static_selectorELNS0_4arch9wavefront6targetE0EEEvSD_ ; -- Begin function _ZN7rocprim17ROCPRIM_400000_NS6detail17trampoline_kernelINS0_14default_configENS1_35radix_sort_onesweep_config_selectorItNS0_10empty_typeEEEZNS1_34radix_sort_onesweep_global_offsetsIS3_Lb1EPKtPS5_mNS0_19identity_decomposerEEE10hipError_tT1_T2_PT3_SF_jT4_jjP12ihipStream_tbEUlT_E_NS1_11comp_targetILNS1_3genE2ELNS1_11target_archE906ELNS1_3gpuE6ELNS1_3repE0EEENS1_52radix_sort_onesweep_histogram_config_static_selectorELNS0_4arch9wavefront6targetE0EEEvSD_
	.globl	_ZN7rocprim17ROCPRIM_400000_NS6detail17trampoline_kernelINS0_14default_configENS1_35radix_sort_onesweep_config_selectorItNS0_10empty_typeEEEZNS1_34radix_sort_onesweep_global_offsetsIS3_Lb1EPKtPS5_mNS0_19identity_decomposerEEE10hipError_tT1_T2_PT3_SF_jT4_jjP12ihipStream_tbEUlT_E_NS1_11comp_targetILNS1_3genE2ELNS1_11target_archE906ELNS1_3gpuE6ELNS1_3repE0EEENS1_52radix_sort_onesweep_histogram_config_static_selectorELNS0_4arch9wavefront6targetE0EEEvSD_
	.p2align	8
	.type	_ZN7rocprim17ROCPRIM_400000_NS6detail17trampoline_kernelINS0_14default_configENS1_35radix_sort_onesweep_config_selectorItNS0_10empty_typeEEEZNS1_34radix_sort_onesweep_global_offsetsIS3_Lb1EPKtPS5_mNS0_19identity_decomposerEEE10hipError_tT1_T2_PT3_SF_jT4_jjP12ihipStream_tbEUlT_E_NS1_11comp_targetILNS1_3genE2ELNS1_11target_archE906ELNS1_3gpuE6ELNS1_3repE0EEENS1_52radix_sort_onesweep_histogram_config_static_selectorELNS0_4arch9wavefront6targetE0EEEvSD_,@function
_ZN7rocprim17ROCPRIM_400000_NS6detail17trampoline_kernelINS0_14default_configENS1_35radix_sort_onesweep_config_selectorItNS0_10empty_typeEEEZNS1_34radix_sort_onesweep_global_offsetsIS3_Lb1EPKtPS5_mNS0_19identity_decomposerEEE10hipError_tT1_T2_PT3_SF_jT4_jjP12ihipStream_tbEUlT_E_NS1_11comp_targetILNS1_3genE2ELNS1_11target_archE906ELNS1_3gpuE6ELNS1_3repE0EEENS1_52radix_sort_onesweep_histogram_config_static_selectorELNS0_4arch9wavefront6targetE0EEEvSD_: ; @_ZN7rocprim17ROCPRIM_400000_NS6detail17trampoline_kernelINS0_14default_configENS1_35radix_sort_onesweep_config_selectorItNS0_10empty_typeEEEZNS1_34radix_sort_onesweep_global_offsetsIS3_Lb1EPKtPS5_mNS0_19identity_decomposerEEE10hipError_tT1_T2_PT3_SF_jT4_jjP12ihipStream_tbEUlT_E_NS1_11comp_targetILNS1_3genE2ELNS1_11target_archE906ELNS1_3gpuE6ELNS1_3repE0EEENS1_52radix_sort_onesweep_histogram_config_static_selectorELNS0_4arch9wavefront6targetE0EEEvSD_
; %bb.0:
	.section	.rodata,"a",@progbits
	.p2align	6, 0x0
	.amdhsa_kernel _ZN7rocprim17ROCPRIM_400000_NS6detail17trampoline_kernelINS0_14default_configENS1_35radix_sort_onesweep_config_selectorItNS0_10empty_typeEEEZNS1_34radix_sort_onesweep_global_offsetsIS3_Lb1EPKtPS5_mNS0_19identity_decomposerEEE10hipError_tT1_T2_PT3_SF_jT4_jjP12ihipStream_tbEUlT_E_NS1_11comp_targetILNS1_3genE2ELNS1_11target_archE906ELNS1_3gpuE6ELNS1_3repE0EEENS1_52radix_sort_onesweep_histogram_config_static_selectorELNS0_4arch9wavefront6targetE0EEEvSD_
		.amdhsa_group_segment_fixed_size 0
		.amdhsa_private_segment_fixed_size 0
		.amdhsa_kernarg_size 48
		.amdhsa_user_sgpr_count 2
		.amdhsa_user_sgpr_dispatch_ptr 0
		.amdhsa_user_sgpr_queue_ptr 0
		.amdhsa_user_sgpr_kernarg_segment_ptr 1
		.amdhsa_user_sgpr_dispatch_id 0
		.amdhsa_user_sgpr_kernarg_preload_length 0
		.amdhsa_user_sgpr_kernarg_preload_offset 0
		.amdhsa_user_sgpr_private_segment_size 0
		.amdhsa_wavefront_size32 1
		.amdhsa_uses_dynamic_stack 0
		.amdhsa_enable_private_segment 0
		.amdhsa_system_sgpr_workgroup_id_x 1
		.amdhsa_system_sgpr_workgroup_id_y 0
		.amdhsa_system_sgpr_workgroup_id_z 0
		.amdhsa_system_sgpr_workgroup_info 0
		.amdhsa_system_vgpr_workitem_id 0
		.amdhsa_next_free_vgpr 1
		.amdhsa_next_free_sgpr 1
		.amdhsa_named_barrier_count 0
		.amdhsa_reserve_vcc 0
		.amdhsa_float_round_mode_32 0
		.amdhsa_float_round_mode_16_64 0
		.amdhsa_float_denorm_mode_32 3
		.amdhsa_float_denorm_mode_16_64 3
		.amdhsa_fp16_overflow 0
		.amdhsa_memory_ordered 1
		.amdhsa_forward_progress 1
		.amdhsa_inst_pref_size 0
		.amdhsa_round_robin_scheduling 0
		.amdhsa_exception_fp_ieee_invalid_op 0
		.amdhsa_exception_fp_denorm_src 0
		.amdhsa_exception_fp_ieee_div_zero 0
		.amdhsa_exception_fp_ieee_overflow 0
		.amdhsa_exception_fp_ieee_underflow 0
		.amdhsa_exception_fp_ieee_inexact 0
		.amdhsa_exception_int_div_zero 0
	.end_amdhsa_kernel
	.section	.text._ZN7rocprim17ROCPRIM_400000_NS6detail17trampoline_kernelINS0_14default_configENS1_35radix_sort_onesweep_config_selectorItNS0_10empty_typeEEEZNS1_34radix_sort_onesweep_global_offsetsIS3_Lb1EPKtPS5_mNS0_19identity_decomposerEEE10hipError_tT1_T2_PT3_SF_jT4_jjP12ihipStream_tbEUlT_E_NS1_11comp_targetILNS1_3genE2ELNS1_11target_archE906ELNS1_3gpuE6ELNS1_3repE0EEENS1_52radix_sort_onesweep_histogram_config_static_selectorELNS0_4arch9wavefront6targetE0EEEvSD_,"axG",@progbits,_ZN7rocprim17ROCPRIM_400000_NS6detail17trampoline_kernelINS0_14default_configENS1_35radix_sort_onesweep_config_selectorItNS0_10empty_typeEEEZNS1_34radix_sort_onesweep_global_offsetsIS3_Lb1EPKtPS5_mNS0_19identity_decomposerEEE10hipError_tT1_T2_PT3_SF_jT4_jjP12ihipStream_tbEUlT_E_NS1_11comp_targetILNS1_3genE2ELNS1_11target_archE906ELNS1_3gpuE6ELNS1_3repE0EEENS1_52radix_sort_onesweep_histogram_config_static_selectorELNS0_4arch9wavefront6targetE0EEEvSD_,comdat
.Lfunc_end2363:
	.size	_ZN7rocprim17ROCPRIM_400000_NS6detail17trampoline_kernelINS0_14default_configENS1_35radix_sort_onesweep_config_selectorItNS0_10empty_typeEEEZNS1_34radix_sort_onesweep_global_offsetsIS3_Lb1EPKtPS5_mNS0_19identity_decomposerEEE10hipError_tT1_T2_PT3_SF_jT4_jjP12ihipStream_tbEUlT_E_NS1_11comp_targetILNS1_3genE2ELNS1_11target_archE906ELNS1_3gpuE6ELNS1_3repE0EEENS1_52radix_sort_onesweep_histogram_config_static_selectorELNS0_4arch9wavefront6targetE0EEEvSD_, .Lfunc_end2363-_ZN7rocprim17ROCPRIM_400000_NS6detail17trampoline_kernelINS0_14default_configENS1_35radix_sort_onesweep_config_selectorItNS0_10empty_typeEEEZNS1_34radix_sort_onesweep_global_offsetsIS3_Lb1EPKtPS5_mNS0_19identity_decomposerEEE10hipError_tT1_T2_PT3_SF_jT4_jjP12ihipStream_tbEUlT_E_NS1_11comp_targetILNS1_3genE2ELNS1_11target_archE906ELNS1_3gpuE6ELNS1_3repE0EEENS1_52radix_sort_onesweep_histogram_config_static_selectorELNS0_4arch9wavefront6targetE0EEEvSD_
                                        ; -- End function
	.set _ZN7rocprim17ROCPRIM_400000_NS6detail17trampoline_kernelINS0_14default_configENS1_35radix_sort_onesweep_config_selectorItNS0_10empty_typeEEEZNS1_34radix_sort_onesweep_global_offsetsIS3_Lb1EPKtPS5_mNS0_19identity_decomposerEEE10hipError_tT1_T2_PT3_SF_jT4_jjP12ihipStream_tbEUlT_E_NS1_11comp_targetILNS1_3genE2ELNS1_11target_archE906ELNS1_3gpuE6ELNS1_3repE0EEENS1_52radix_sort_onesweep_histogram_config_static_selectorELNS0_4arch9wavefront6targetE0EEEvSD_.num_vgpr, 0
	.set _ZN7rocprim17ROCPRIM_400000_NS6detail17trampoline_kernelINS0_14default_configENS1_35radix_sort_onesweep_config_selectorItNS0_10empty_typeEEEZNS1_34radix_sort_onesweep_global_offsetsIS3_Lb1EPKtPS5_mNS0_19identity_decomposerEEE10hipError_tT1_T2_PT3_SF_jT4_jjP12ihipStream_tbEUlT_E_NS1_11comp_targetILNS1_3genE2ELNS1_11target_archE906ELNS1_3gpuE6ELNS1_3repE0EEENS1_52radix_sort_onesweep_histogram_config_static_selectorELNS0_4arch9wavefront6targetE0EEEvSD_.num_agpr, 0
	.set _ZN7rocprim17ROCPRIM_400000_NS6detail17trampoline_kernelINS0_14default_configENS1_35radix_sort_onesweep_config_selectorItNS0_10empty_typeEEEZNS1_34radix_sort_onesweep_global_offsetsIS3_Lb1EPKtPS5_mNS0_19identity_decomposerEEE10hipError_tT1_T2_PT3_SF_jT4_jjP12ihipStream_tbEUlT_E_NS1_11comp_targetILNS1_3genE2ELNS1_11target_archE906ELNS1_3gpuE6ELNS1_3repE0EEENS1_52radix_sort_onesweep_histogram_config_static_selectorELNS0_4arch9wavefront6targetE0EEEvSD_.numbered_sgpr, 0
	.set _ZN7rocprim17ROCPRIM_400000_NS6detail17trampoline_kernelINS0_14default_configENS1_35radix_sort_onesweep_config_selectorItNS0_10empty_typeEEEZNS1_34radix_sort_onesweep_global_offsetsIS3_Lb1EPKtPS5_mNS0_19identity_decomposerEEE10hipError_tT1_T2_PT3_SF_jT4_jjP12ihipStream_tbEUlT_E_NS1_11comp_targetILNS1_3genE2ELNS1_11target_archE906ELNS1_3gpuE6ELNS1_3repE0EEENS1_52radix_sort_onesweep_histogram_config_static_selectorELNS0_4arch9wavefront6targetE0EEEvSD_.num_named_barrier, 0
	.set _ZN7rocprim17ROCPRIM_400000_NS6detail17trampoline_kernelINS0_14default_configENS1_35radix_sort_onesweep_config_selectorItNS0_10empty_typeEEEZNS1_34radix_sort_onesweep_global_offsetsIS3_Lb1EPKtPS5_mNS0_19identity_decomposerEEE10hipError_tT1_T2_PT3_SF_jT4_jjP12ihipStream_tbEUlT_E_NS1_11comp_targetILNS1_3genE2ELNS1_11target_archE906ELNS1_3gpuE6ELNS1_3repE0EEENS1_52radix_sort_onesweep_histogram_config_static_selectorELNS0_4arch9wavefront6targetE0EEEvSD_.private_seg_size, 0
	.set _ZN7rocprim17ROCPRIM_400000_NS6detail17trampoline_kernelINS0_14default_configENS1_35radix_sort_onesweep_config_selectorItNS0_10empty_typeEEEZNS1_34radix_sort_onesweep_global_offsetsIS3_Lb1EPKtPS5_mNS0_19identity_decomposerEEE10hipError_tT1_T2_PT3_SF_jT4_jjP12ihipStream_tbEUlT_E_NS1_11comp_targetILNS1_3genE2ELNS1_11target_archE906ELNS1_3gpuE6ELNS1_3repE0EEENS1_52radix_sort_onesweep_histogram_config_static_selectorELNS0_4arch9wavefront6targetE0EEEvSD_.uses_vcc, 0
	.set _ZN7rocprim17ROCPRIM_400000_NS6detail17trampoline_kernelINS0_14default_configENS1_35radix_sort_onesweep_config_selectorItNS0_10empty_typeEEEZNS1_34radix_sort_onesweep_global_offsetsIS3_Lb1EPKtPS5_mNS0_19identity_decomposerEEE10hipError_tT1_T2_PT3_SF_jT4_jjP12ihipStream_tbEUlT_E_NS1_11comp_targetILNS1_3genE2ELNS1_11target_archE906ELNS1_3gpuE6ELNS1_3repE0EEENS1_52radix_sort_onesweep_histogram_config_static_selectorELNS0_4arch9wavefront6targetE0EEEvSD_.uses_flat_scratch, 0
	.set _ZN7rocprim17ROCPRIM_400000_NS6detail17trampoline_kernelINS0_14default_configENS1_35radix_sort_onesweep_config_selectorItNS0_10empty_typeEEEZNS1_34radix_sort_onesweep_global_offsetsIS3_Lb1EPKtPS5_mNS0_19identity_decomposerEEE10hipError_tT1_T2_PT3_SF_jT4_jjP12ihipStream_tbEUlT_E_NS1_11comp_targetILNS1_3genE2ELNS1_11target_archE906ELNS1_3gpuE6ELNS1_3repE0EEENS1_52radix_sort_onesweep_histogram_config_static_selectorELNS0_4arch9wavefront6targetE0EEEvSD_.has_dyn_sized_stack, 0
	.set _ZN7rocprim17ROCPRIM_400000_NS6detail17trampoline_kernelINS0_14default_configENS1_35radix_sort_onesweep_config_selectorItNS0_10empty_typeEEEZNS1_34radix_sort_onesweep_global_offsetsIS3_Lb1EPKtPS5_mNS0_19identity_decomposerEEE10hipError_tT1_T2_PT3_SF_jT4_jjP12ihipStream_tbEUlT_E_NS1_11comp_targetILNS1_3genE2ELNS1_11target_archE906ELNS1_3gpuE6ELNS1_3repE0EEENS1_52radix_sort_onesweep_histogram_config_static_selectorELNS0_4arch9wavefront6targetE0EEEvSD_.has_recursion, 0
	.set _ZN7rocprim17ROCPRIM_400000_NS6detail17trampoline_kernelINS0_14default_configENS1_35radix_sort_onesweep_config_selectorItNS0_10empty_typeEEEZNS1_34radix_sort_onesweep_global_offsetsIS3_Lb1EPKtPS5_mNS0_19identity_decomposerEEE10hipError_tT1_T2_PT3_SF_jT4_jjP12ihipStream_tbEUlT_E_NS1_11comp_targetILNS1_3genE2ELNS1_11target_archE906ELNS1_3gpuE6ELNS1_3repE0EEENS1_52radix_sort_onesweep_histogram_config_static_selectorELNS0_4arch9wavefront6targetE0EEEvSD_.has_indirect_call, 0
	.section	.AMDGPU.csdata,"",@progbits
; Kernel info:
; codeLenInByte = 0
; TotalNumSgprs: 0
; NumVgprs: 0
; ScratchSize: 0
; MemoryBound: 0
; FloatMode: 240
; IeeeMode: 1
; LDSByteSize: 0 bytes/workgroup (compile time only)
; SGPRBlocks: 0
; VGPRBlocks: 0
; NumSGPRsForWavesPerEU: 1
; NumVGPRsForWavesPerEU: 1
; NamedBarCnt: 0
; Occupancy: 16
; WaveLimiterHint : 0
; COMPUTE_PGM_RSRC2:SCRATCH_EN: 0
; COMPUTE_PGM_RSRC2:USER_SGPR: 2
; COMPUTE_PGM_RSRC2:TRAP_HANDLER: 0
; COMPUTE_PGM_RSRC2:TGID_X_EN: 1
; COMPUTE_PGM_RSRC2:TGID_Y_EN: 0
; COMPUTE_PGM_RSRC2:TGID_Z_EN: 0
; COMPUTE_PGM_RSRC2:TIDIG_COMP_CNT: 0
	.section	.text._ZN7rocprim17ROCPRIM_400000_NS6detail17trampoline_kernelINS0_14default_configENS1_35radix_sort_onesweep_config_selectorItNS0_10empty_typeEEEZNS1_34radix_sort_onesweep_global_offsetsIS3_Lb1EPKtPS5_mNS0_19identity_decomposerEEE10hipError_tT1_T2_PT3_SF_jT4_jjP12ihipStream_tbEUlT_E_NS1_11comp_targetILNS1_3genE4ELNS1_11target_archE910ELNS1_3gpuE8ELNS1_3repE0EEENS1_52radix_sort_onesweep_histogram_config_static_selectorELNS0_4arch9wavefront6targetE0EEEvSD_,"axG",@progbits,_ZN7rocprim17ROCPRIM_400000_NS6detail17trampoline_kernelINS0_14default_configENS1_35radix_sort_onesweep_config_selectorItNS0_10empty_typeEEEZNS1_34radix_sort_onesweep_global_offsetsIS3_Lb1EPKtPS5_mNS0_19identity_decomposerEEE10hipError_tT1_T2_PT3_SF_jT4_jjP12ihipStream_tbEUlT_E_NS1_11comp_targetILNS1_3genE4ELNS1_11target_archE910ELNS1_3gpuE8ELNS1_3repE0EEENS1_52radix_sort_onesweep_histogram_config_static_selectorELNS0_4arch9wavefront6targetE0EEEvSD_,comdat
	.protected	_ZN7rocprim17ROCPRIM_400000_NS6detail17trampoline_kernelINS0_14default_configENS1_35radix_sort_onesweep_config_selectorItNS0_10empty_typeEEEZNS1_34radix_sort_onesweep_global_offsetsIS3_Lb1EPKtPS5_mNS0_19identity_decomposerEEE10hipError_tT1_T2_PT3_SF_jT4_jjP12ihipStream_tbEUlT_E_NS1_11comp_targetILNS1_3genE4ELNS1_11target_archE910ELNS1_3gpuE8ELNS1_3repE0EEENS1_52radix_sort_onesweep_histogram_config_static_selectorELNS0_4arch9wavefront6targetE0EEEvSD_ ; -- Begin function _ZN7rocprim17ROCPRIM_400000_NS6detail17trampoline_kernelINS0_14default_configENS1_35radix_sort_onesweep_config_selectorItNS0_10empty_typeEEEZNS1_34radix_sort_onesweep_global_offsetsIS3_Lb1EPKtPS5_mNS0_19identity_decomposerEEE10hipError_tT1_T2_PT3_SF_jT4_jjP12ihipStream_tbEUlT_E_NS1_11comp_targetILNS1_3genE4ELNS1_11target_archE910ELNS1_3gpuE8ELNS1_3repE0EEENS1_52radix_sort_onesweep_histogram_config_static_selectorELNS0_4arch9wavefront6targetE0EEEvSD_
	.globl	_ZN7rocprim17ROCPRIM_400000_NS6detail17trampoline_kernelINS0_14default_configENS1_35radix_sort_onesweep_config_selectorItNS0_10empty_typeEEEZNS1_34radix_sort_onesweep_global_offsetsIS3_Lb1EPKtPS5_mNS0_19identity_decomposerEEE10hipError_tT1_T2_PT3_SF_jT4_jjP12ihipStream_tbEUlT_E_NS1_11comp_targetILNS1_3genE4ELNS1_11target_archE910ELNS1_3gpuE8ELNS1_3repE0EEENS1_52radix_sort_onesweep_histogram_config_static_selectorELNS0_4arch9wavefront6targetE0EEEvSD_
	.p2align	8
	.type	_ZN7rocprim17ROCPRIM_400000_NS6detail17trampoline_kernelINS0_14default_configENS1_35radix_sort_onesweep_config_selectorItNS0_10empty_typeEEEZNS1_34radix_sort_onesweep_global_offsetsIS3_Lb1EPKtPS5_mNS0_19identity_decomposerEEE10hipError_tT1_T2_PT3_SF_jT4_jjP12ihipStream_tbEUlT_E_NS1_11comp_targetILNS1_3genE4ELNS1_11target_archE910ELNS1_3gpuE8ELNS1_3repE0EEENS1_52radix_sort_onesweep_histogram_config_static_selectorELNS0_4arch9wavefront6targetE0EEEvSD_,@function
_ZN7rocprim17ROCPRIM_400000_NS6detail17trampoline_kernelINS0_14default_configENS1_35radix_sort_onesweep_config_selectorItNS0_10empty_typeEEEZNS1_34radix_sort_onesweep_global_offsetsIS3_Lb1EPKtPS5_mNS0_19identity_decomposerEEE10hipError_tT1_T2_PT3_SF_jT4_jjP12ihipStream_tbEUlT_E_NS1_11comp_targetILNS1_3genE4ELNS1_11target_archE910ELNS1_3gpuE8ELNS1_3repE0EEENS1_52radix_sort_onesweep_histogram_config_static_selectorELNS0_4arch9wavefront6targetE0EEEvSD_: ; @_ZN7rocprim17ROCPRIM_400000_NS6detail17trampoline_kernelINS0_14default_configENS1_35radix_sort_onesweep_config_selectorItNS0_10empty_typeEEEZNS1_34radix_sort_onesweep_global_offsetsIS3_Lb1EPKtPS5_mNS0_19identity_decomposerEEE10hipError_tT1_T2_PT3_SF_jT4_jjP12ihipStream_tbEUlT_E_NS1_11comp_targetILNS1_3genE4ELNS1_11target_archE910ELNS1_3gpuE8ELNS1_3repE0EEENS1_52radix_sort_onesweep_histogram_config_static_selectorELNS0_4arch9wavefront6targetE0EEEvSD_
; %bb.0:
	.section	.rodata,"a",@progbits
	.p2align	6, 0x0
	.amdhsa_kernel _ZN7rocprim17ROCPRIM_400000_NS6detail17trampoline_kernelINS0_14default_configENS1_35radix_sort_onesweep_config_selectorItNS0_10empty_typeEEEZNS1_34radix_sort_onesweep_global_offsetsIS3_Lb1EPKtPS5_mNS0_19identity_decomposerEEE10hipError_tT1_T2_PT3_SF_jT4_jjP12ihipStream_tbEUlT_E_NS1_11comp_targetILNS1_3genE4ELNS1_11target_archE910ELNS1_3gpuE8ELNS1_3repE0EEENS1_52radix_sort_onesweep_histogram_config_static_selectorELNS0_4arch9wavefront6targetE0EEEvSD_
		.amdhsa_group_segment_fixed_size 0
		.amdhsa_private_segment_fixed_size 0
		.amdhsa_kernarg_size 48
		.amdhsa_user_sgpr_count 2
		.amdhsa_user_sgpr_dispatch_ptr 0
		.amdhsa_user_sgpr_queue_ptr 0
		.amdhsa_user_sgpr_kernarg_segment_ptr 1
		.amdhsa_user_sgpr_dispatch_id 0
		.amdhsa_user_sgpr_kernarg_preload_length 0
		.amdhsa_user_sgpr_kernarg_preload_offset 0
		.amdhsa_user_sgpr_private_segment_size 0
		.amdhsa_wavefront_size32 1
		.amdhsa_uses_dynamic_stack 0
		.amdhsa_enable_private_segment 0
		.amdhsa_system_sgpr_workgroup_id_x 1
		.amdhsa_system_sgpr_workgroup_id_y 0
		.amdhsa_system_sgpr_workgroup_id_z 0
		.amdhsa_system_sgpr_workgroup_info 0
		.amdhsa_system_vgpr_workitem_id 0
		.amdhsa_next_free_vgpr 1
		.amdhsa_next_free_sgpr 1
		.amdhsa_named_barrier_count 0
		.amdhsa_reserve_vcc 0
		.amdhsa_float_round_mode_32 0
		.amdhsa_float_round_mode_16_64 0
		.amdhsa_float_denorm_mode_32 3
		.amdhsa_float_denorm_mode_16_64 3
		.amdhsa_fp16_overflow 0
		.amdhsa_memory_ordered 1
		.amdhsa_forward_progress 1
		.amdhsa_inst_pref_size 0
		.amdhsa_round_robin_scheduling 0
		.amdhsa_exception_fp_ieee_invalid_op 0
		.amdhsa_exception_fp_denorm_src 0
		.amdhsa_exception_fp_ieee_div_zero 0
		.amdhsa_exception_fp_ieee_overflow 0
		.amdhsa_exception_fp_ieee_underflow 0
		.amdhsa_exception_fp_ieee_inexact 0
		.amdhsa_exception_int_div_zero 0
	.end_amdhsa_kernel
	.section	.text._ZN7rocprim17ROCPRIM_400000_NS6detail17trampoline_kernelINS0_14default_configENS1_35radix_sort_onesweep_config_selectorItNS0_10empty_typeEEEZNS1_34radix_sort_onesweep_global_offsetsIS3_Lb1EPKtPS5_mNS0_19identity_decomposerEEE10hipError_tT1_T2_PT3_SF_jT4_jjP12ihipStream_tbEUlT_E_NS1_11comp_targetILNS1_3genE4ELNS1_11target_archE910ELNS1_3gpuE8ELNS1_3repE0EEENS1_52radix_sort_onesweep_histogram_config_static_selectorELNS0_4arch9wavefront6targetE0EEEvSD_,"axG",@progbits,_ZN7rocprim17ROCPRIM_400000_NS6detail17trampoline_kernelINS0_14default_configENS1_35radix_sort_onesweep_config_selectorItNS0_10empty_typeEEEZNS1_34radix_sort_onesweep_global_offsetsIS3_Lb1EPKtPS5_mNS0_19identity_decomposerEEE10hipError_tT1_T2_PT3_SF_jT4_jjP12ihipStream_tbEUlT_E_NS1_11comp_targetILNS1_3genE4ELNS1_11target_archE910ELNS1_3gpuE8ELNS1_3repE0EEENS1_52radix_sort_onesweep_histogram_config_static_selectorELNS0_4arch9wavefront6targetE0EEEvSD_,comdat
.Lfunc_end2364:
	.size	_ZN7rocprim17ROCPRIM_400000_NS6detail17trampoline_kernelINS0_14default_configENS1_35radix_sort_onesweep_config_selectorItNS0_10empty_typeEEEZNS1_34radix_sort_onesweep_global_offsetsIS3_Lb1EPKtPS5_mNS0_19identity_decomposerEEE10hipError_tT1_T2_PT3_SF_jT4_jjP12ihipStream_tbEUlT_E_NS1_11comp_targetILNS1_3genE4ELNS1_11target_archE910ELNS1_3gpuE8ELNS1_3repE0EEENS1_52radix_sort_onesweep_histogram_config_static_selectorELNS0_4arch9wavefront6targetE0EEEvSD_, .Lfunc_end2364-_ZN7rocprim17ROCPRIM_400000_NS6detail17trampoline_kernelINS0_14default_configENS1_35radix_sort_onesweep_config_selectorItNS0_10empty_typeEEEZNS1_34radix_sort_onesweep_global_offsetsIS3_Lb1EPKtPS5_mNS0_19identity_decomposerEEE10hipError_tT1_T2_PT3_SF_jT4_jjP12ihipStream_tbEUlT_E_NS1_11comp_targetILNS1_3genE4ELNS1_11target_archE910ELNS1_3gpuE8ELNS1_3repE0EEENS1_52radix_sort_onesweep_histogram_config_static_selectorELNS0_4arch9wavefront6targetE0EEEvSD_
                                        ; -- End function
	.set _ZN7rocprim17ROCPRIM_400000_NS6detail17trampoline_kernelINS0_14default_configENS1_35radix_sort_onesweep_config_selectorItNS0_10empty_typeEEEZNS1_34radix_sort_onesweep_global_offsetsIS3_Lb1EPKtPS5_mNS0_19identity_decomposerEEE10hipError_tT1_T2_PT3_SF_jT4_jjP12ihipStream_tbEUlT_E_NS1_11comp_targetILNS1_3genE4ELNS1_11target_archE910ELNS1_3gpuE8ELNS1_3repE0EEENS1_52radix_sort_onesweep_histogram_config_static_selectorELNS0_4arch9wavefront6targetE0EEEvSD_.num_vgpr, 0
	.set _ZN7rocprim17ROCPRIM_400000_NS6detail17trampoline_kernelINS0_14default_configENS1_35radix_sort_onesweep_config_selectorItNS0_10empty_typeEEEZNS1_34radix_sort_onesweep_global_offsetsIS3_Lb1EPKtPS5_mNS0_19identity_decomposerEEE10hipError_tT1_T2_PT3_SF_jT4_jjP12ihipStream_tbEUlT_E_NS1_11comp_targetILNS1_3genE4ELNS1_11target_archE910ELNS1_3gpuE8ELNS1_3repE0EEENS1_52radix_sort_onesweep_histogram_config_static_selectorELNS0_4arch9wavefront6targetE0EEEvSD_.num_agpr, 0
	.set _ZN7rocprim17ROCPRIM_400000_NS6detail17trampoline_kernelINS0_14default_configENS1_35radix_sort_onesweep_config_selectorItNS0_10empty_typeEEEZNS1_34radix_sort_onesweep_global_offsetsIS3_Lb1EPKtPS5_mNS0_19identity_decomposerEEE10hipError_tT1_T2_PT3_SF_jT4_jjP12ihipStream_tbEUlT_E_NS1_11comp_targetILNS1_3genE4ELNS1_11target_archE910ELNS1_3gpuE8ELNS1_3repE0EEENS1_52radix_sort_onesweep_histogram_config_static_selectorELNS0_4arch9wavefront6targetE0EEEvSD_.numbered_sgpr, 0
	.set _ZN7rocprim17ROCPRIM_400000_NS6detail17trampoline_kernelINS0_14default_configENS1_35radix_sort_onesweep_config_selectorItNS0_10empty_typeEEEZNS1_34radix_sort_onesweep_global_offsetsIS3_Lb1EPKtPS5_mNS0_19identity_decomposerEEE10hipError_tT1_T2_PT3_SF_jT4_jjP12ihipStream_tbEUlT_E_NS1_11comp_targetILNS1_3genE4ELNS1_11target_archE910ELNS1_3gpuE8ELNS1_3repE0EEENS1_52radix_sort_onesweep_histogram_config_static_selectorELNS0_4arch9wavefront6targetE0EEEvSD_.num_named_barrier, 0
	.set _ZN7rocprim17ROCPRIM_400000_NS6detail17trampoline_kernelINS0_14default_configENS1_35radix_sort_onesweep_config_selectorItNS0_10empty_typeEEEZNS1_34radix_sort_onesweep_global_offsetsIS3_Lb1EPKtPS5_mNS0_19identity_decomposerEEE10hipError_tT1_T2_PT3_SF_jT4_jjP12ihipStream_tbEUlT_E_NS1_11comp_targetILNS1_3genE4ELNS1_11target_archE910ELNS1_3gpuE8ELNS1_3repE0EEENS1_52radix_sort_onesweep_histogram_config_static_selectorELNS0_4arch9wavefront6targetE0EEEvSD_.private_seg_size, 0
	.set _ZN7rocprim17ROCPRIM_400000_NS6detail17trampoline_kernelINS0_14default_configENS1_35radix_sort_onesweep_config_selectorItNS0_10empty_typeEEEZNS1_34radix_sort_onesweep_global_offsetsIS3_Lb1EPKtPS5_mNS0_19identity_decomposerEEE10hipError_tT1_T2_PT3_SF_jT4_jjP12ihipStream_tbEUlT_E_NS1_11comp_targetILNS1_3genE4ELNS1_11target_archE910ELNS1_3gpuE8ELNS1_3repE0EEENS1_52radix_sort_onesweep_histogram_config_static_selectorELNS0_4arch9wavefront6targetE0EEEvSD_.uses_vcc, 0
	.set _ZN7rocprim17ROCPRIM_400000_NS6detail17trampoline_kernelINS0_14default_configENS1_35radix_sort_onesweep_config_selectorItNS0_10empty_typeEEEZNS1_34radix_sort_onesweep_global_offsetsIS3_Lb1EPKtPS5_mNS0_19identity_decomposerEEE10hipError_tT1_T2_PT3_SF_jT4_jjP12ihipStream_tbEUlT_E_NS1_11comp_targetILNS1_3genE4ELNS1_11target_archE910ELNS1_3gpuE8ELNS1_3repE0EEENS1_52radix_sort_onesweep_histogram_config_static_selectorELNS0_4arch9wavefront6targetE0EEEvSD_.uses_flat_scratch, 0
	.set _ZN7rocprim17ROCPRIM_400000_NS6detail17trampoline_kernelINS0_14default_configENS1_35radix_sort_onesweep_config_selectorItNS0_10empty_typeEEEZNS1_34radix_sort_onesweep_global_offsetsIS3_Lb1EPKtPS5_mNS0_19identity_decomposerEEE10hipError_tT1_T2_PT3_SF_jT4_jjP12ihipStream_tbEUlT_E_NS1_11comp_targetILNS1_3genE4ELNS1_11target_archE910ELNS1_3gpuE8ELNS1_3repE0EEENS1_52radix_sort_onesweep_histogram_config_static_selectorELNS0_4arch9wavefront6targetE0EEEvSD_.has_dyn_sized_stack, 0
	.set _ZN7rocprim17ROCPRIM_400000_NS6detail17trampoline_kernelINS0_14default_configENS1_35radix_sort_onesweep_config_selectorItNS0_10empty_typeEEEZNS1_34radix_sort_onesweep_global_offsetsIS3_Lb1EPKtPS5_mNS0_19identity_decomposerEEE10hipError_tT1_T2_PT3_SF_jT4_jjP12ihipStream_tbEUlT_E_NS1_11comp_targetILNS1_3genE4ELNS1_11target_archE910ELNS1_3gpuE8ELNS1_3repE0EEENS1_52radix_sort_onesweep_histogram_config_static_selectorELNS0_4arch9wavefront6targetE0EEEvSD_.has_recursion, 0
	.set _ZN7rocprim17ROCPRIM_400000_NS6detail17trampoline_kernelINS0_14default_configENS1_35radix_sort_onesweep_config_selectorItNS0_10empty_typeEEEZNS1_34radix_sort_onesweep_global_offsetsIS3_Lb1EPKtPS5_mNS0_19identity_decomposerEEE10hipError_tT1_T2_PT3_SF_jT4_jjP12ihipStream_tbEUlT_E_NS1_11comp_targetILNS1_3genE4ELNS1_11target_archE910ELNS1_3gpuE8ELNS1_3repE0EEENS1_52radix_sort_onesweep_histogram_config_static_selectorELNS0_4arch9wavefront6targetE0EEEvSD_.has_indirect_call, 0
	.section	.AMDGPU.csdata,"",@progbits
; Kernel info:
; codeLenInByte = 0
; TotalNumSgprs: 0
; NumVgprs: 0
; ScratchSize: 0
; MemoryBound: 0
; FloatMode: 240
; IeeeMode: 1
; LDSByteSize: 0 bytes/workgroup (compile time only)
; SGPRBlocks: 0
; VGPRBlocks: 0
; NumSGPRsForWavesPerEU: 1
; NumVGPRsForWavesPerEU: 1
; NamedBarCnt: 0
; Occupancy: 16
; WaveLimiterHint : 0
; COMPUTE_PGM_RSRC2:SCRATCH_EN: 0
; COMPUTE_PGM_RSRC2:USER_SGPR: 2
; COMPUTE_PGM_RSRC2:TRAP_HANDLER: 0
; COMPUTE_PGM_RSRC2:TGID_X_EN: 1
; COMPUTE_PGM_RSRC2:TGID_Y_EN: 0
; COMPUTE_PGM_RSRC2:TGID_Z_EN: 0
; COMPUTE_PGM_RSRC2:TIDIG_COMP_CNT: 0
	.section	.text._ZN7rocprim17ROCPRIM_400000_NS6detail17trampoline_kernelINS0_14default_configENS1_35radix_sort_onesweep_config_selectorItNS0_10empty_typeEEEZNS1_34radix_sort_onesweep_global_offsetsIS3_Lb1EPKtPS5_mNS0_19identity_decomposerEEE10hipError_tT1_T2_PT3_SF_jT4_jjP12ihipStream_tbEUlT_E_NS1_11comp_targetILNS1_3genE3ELNS1_11target_archE908ELNS1_3gpuE7ELNS1_3repE0EEENS1_52radix_sort_onesweep_histogram_config_static_selectorELNS0_4arch9wavefront6targetE0EEEvSD_,"axG",@progbits,_ZN7rocprim17ROCPRIM_400000_NS6detail17trampoline_kernelINS0_14default_configENS1_35radix_sort_onesweep_config_selectorItNS0_10empty_typeEEEZNS1_34radix_sort_onesweep_global_offsetsIS3_Lb1EPKtPS5_mNS0_19identity_decomposerEEE10hipError_tT1_T2_PT3_SF_jT4_jjP12ihipStream_tbEUlT_E_NS1_11comp_targetILNS1_3genE3ELNS1_11target_archE908ELNS1_3gpuE7ELNS1_3repE0EEENS1_52radix_sort_onesweep_histogram_config_static_selectorELNS0_4arch9wavefront6targetE0EEEvSD_,comdat
	.protected	_ZN7rocprim17ROCPRIM_400000_NS6detail17trampoline_kernelINS0_14default_configENS1_35radix_sort_onesweep_config_selectorItNS0_10empty_typeEEEZNS1_34radix_sort_onesweep_global_offsetsIS3_Lb1EPKtPS5_mNS0_19identity_decomposerEEE10hipError_tT1_T2_PT3_SF_jT4_jjP12ihipStream_tbEUlT_E_NS1_11comp_targetILNS1_3genE3ELNS1_11target_archE908ELNS1_3gpuE7ELNS1_3repE0EEENS1_52radix_sort_onesweep_histogram_config_static_selectorELNS0_4arch9wavefront6targetE0EEEvSD_ ; -- Begin function _ZN7rocprim17ROCPRIM_400000_NS6detail17trampoline_kernelINS0_14default_configENS1_35radix_sort_onesweep_config_selectorItNS0_10empty_typeEEEZNS1_34radix_sort_onesweep_global_offsetsIS3_Lb1EPKtPS5_mNS0_19identity_decomposerEEE10hipError_tT1_T2_PT3_SF_jT4_jjP12ihipStream_tbEUlT_E_NS1_11comp_targetILNS1_3genE3ELNS1_11target_archE908ELNS1_3gpuE7ELNS1_3repE0EEENS1_52radix_sort_onesweep_histogram_config_static_selectorELNS0_4arch9wavefront6targetE0EEEvSD_
	.globl	_ZN7rocprim17ROCPRIM_400000_NS6detail17trampoline_kernelINS0_14default_configENS1_35radix_sort_onesweep_config_selectorItNS0_10empty_typeEEEZNS1_34radix_sort_onesweep_global_offsetsIS3_Lb1EPKtPS5_mNS0_19identity_decomposerEEE10hipError_tT1_T2_PT3_SF_jT4_jjP12ihipStream_tbEUlT_E_NS1_11comp_targetILNS1_3genE3ELNS1_11target_archE908ELNS1_3gpuE7ELNS1_3repE0EEENS1_52radix_sort_onesweep_histogram_config_static_selectorELNS0_4arch9wavefront6targetE0EEEvSD_
	.p2align	8
	.type	_ZN7rocprim17ROCPRIM_400000_NS6detail17trampoline_kernelINS0_14default_configENS1_35radix_sort_onesweep_config_selectorItNS0_10empty_typeEEEZNS1_34radix_sort_onesweep_global_offsetsIS3_Lb1EPKtPS5_mNS0_19identity_decomposerEEE10hipError_tT1_T2_PT3_SF_jT4_jjP12ihipStream_tbEUlT_E_NS1_11comp_targetILNS1_3genE3ELNS1_11target_archE908ELNS1_3gpuE7ELNS1_3repE0EEENS1_52radix_sort_onesweep_histogram_config_static_selectorELNS0_4arch9wavefront6targetE0EEEvSD_,@function
_ZN7rocprim17ROCPRIM_400000_NS6detail17trampoline_kernelINS0_14default_configENS1_35radix_sort_onesweep_config_selectorItNS0_10empty_typeEEEZNS1_34radix_sort_onesweep_global_offsetsIS3_Lb1EPKtPS5_mNS0_19identity_decomposerEEE10hipError_tT1_T2_PT3_SF_jT4_jjP12ihipStream_tbEUlT_E_NS1_11comp_targetILNS1_3genE3ELNS1_11target_archE908ELNS1_3gpuE7ELNS1_3repE0EEENS1_52radix_sort_onesweep_histogram_config_static_selectorELNS0_4arch9wavefront6targetE0EEEvSD_: ; @_ZN7rocprim17ROCPRIM_400000_NS6detail17trampoline_kernelINS0_14default_configENS1_35radix_sort_onesweep_config_selectorItNS0_10empty_typeEEEZNS1_34radix_sort_onesweep_global_offsetsIS3_Lb1EPKtPS5_mNS0_19identity_decomposerEEE10hipError_tT1_T2_PT3_SF_jT4_jjP12ihipStream_tbEUlT_E_NS1_11comp_targetILNS1_3genE3ELNS1_11target_archE908ELNS1_3gpuE7ELNS1_3repE0EEENS1_52radix_sort_onesweep_histogram_config_static_selectorELNS0_4arch9wavefront6targetE0EEEvSD_
; %bb.0:
	.section	.rodata,"a",@progbits
	.p2align	6, 0x0
	.amdhsa_kernel _ZN7rocprim17ROCPRIM_400000_NS6detail17trampoline_kernelINS0_14default_configENS1_35radix_sort_onesweep_config_selectorItNS0_10empty_typeEEEZNS1_34radix_sort_onesweep_global_offsetsIS3_Lb1EPKtPS5_mNS0_19identity_decomposerEEE10hipError_tT1_T2_PT3_SF_jT4_jjP12ihipStream_tbEUlT_E_NS1_11comp_targetILNS1_3genE3ELNS1_11target_archE908ELNS1_3gpuE7ELNS1_3repE0EEENS1_52radix_sort_onesweep_histogram_config_static_selectorELNS0_4arch9wavefront6targetE0EEEvSD_
		.amdhsa_group_segment_fixed_size 0
		.amdhsa_private_segment_fixed_size 0
		.amdhsa_kernarg_size 48
		.amdhsa_user_sgpr_count 2
		.amdhsa_user_sgpr_dispatch_ptr 0
		.amdhsa_user_sgpr_queue_ptr 0
		.amdhsa_user_sgpr_kernarg_segment_ptr 1
		.amdhsa_user_sgpr_dispatch_id 0
		.amdhsa_user_sgpr_kernarg_preload_length 0
		.amdhsa_user_sgpr_kernarg_preload_offset 0
		.amdhsa_user_sgpr_private_segment_size 0
		.amdhsa_wavefront_size32 1
		.amdhsa_uses_dynamic_stack 0
		.amdhsa_enable_private_segment 0
		.amdhsa_system_sgpr_workgroup_id_x 1
		.amdhsa_system_sgpr_workgroup_id_y 0
		.amdhsa_system_sgpr_workgroup_id_z 0
		.amdhsa_system_sgpr_workgroup_info 0
		.amdhsa_system_vgpr_workitem_id 0
		.amdhsa_next_free_vgpr 1
		.amdhsa_next_free_sgpr 1
		.amdhsa_named_barrier_count 0
		.amdhsa_reserve_vcc 0
		.amdhsa_float_round_mode_32 0
		.amdhsa_float_round_mode_16_64 0
		.amdhsa_float_denorm_mode_32 3
		.amdhsa_float_denorm_mode_16_64 3
		.amdhsa_fp16_overflow 0
		.amdhsa_memory_ordered 1
		.amdhsa_forward_progress 1
		.amdhsa_inst_pref_size 0
		.amdhsa_round_robin_scheduling 0
		.amdhsa_exception_fp_ieee_invalid_op 0
		.amdhsa_exception_fp_denorm_src 0
		.amdhsa_exception_fp_ieee_div_zero 0
		.amdhsa_exception_fp_ieee_overflow 0
		.amdhsa_exception_fp_ieee_underflow 0
		.amdhsa_exception_fp_ieee_inexact 0
		.amdhsa_exception_int_div_zero 0
	.end_amdhsa_kernel
	.section	.text._ZN7rocprim17ROCPRIM_400000_NS6detail17trampoline_kernelINS0_14default_configENS1_35radix_sort_onesweep_config_selectorItNS0_10empty_typeEEEZNS1_34radix_sort_onesweep_global_offsetsIS3_Lb1EPKtPS5_mNS0_19identity_decomposerEEE10hipError_tT1_T2_PT3_SF_jT4_jjP12ihipStream_tbEUlT_E_NS1_11comp_targetILNS1_3genE3ELNS1_11target_archE908ELNS1_3gpuE7ELNS1_3repE0EEENS1_52radix_sort_onesweep_histogram_config_static_selectorELNS0_4arch9wavefront6targetE0EEEvSD_,"axG",@progbits,_ZN7rocprim17ROCPRIM_400000_NS6detail17trampoline_kernelINS0_14default_configENS1_35radix_sort_onesweep_config_selectorItNS0_10empty_typeEEEZNS1_34radix_sort_onesweep_global_offsetsIS3_Lb1EPKtPS5_mNS0_19identity_decomposerEEE10hipError_tT1_T2_PT3_SF_jT4_jjP12ihipStream_tbEUlT_E_NS1_11comp_targetILNS1_3genE3ELNS1_11target_archE908ELNS1_3gpuE7ELNS1_3repE0EEENS1_52radix_sort_onesweep_histogram_config_static_selectorELNS0_4arch9wavefront6targetE0EEEvSD_,comdat
.Lfunc_end2365:
	.size	_ZN7rocprim17ROCPRIM_400000_NS6detail17trampoline_kernelINS0_14default_configENS1_35radix_sort_onesweep_config_selectorItNS0_10empty_typeEEEZNS1_34radix_sort_onesweep_global_offsetsIS3_Lb1EPKtPS5_mNS0_19identity_decomposerEEE10hipError_tT1_T2_PT3_SF_jT4_jjP12ihipStream_tbEUlT_E_NS1_11comp_targetILNS1_3genE3ELNS1_11target_archE908ELNS1_3gpuE7ELNS1_3repE0EEENS1_52radix_sort_onesweep_histogram_config_static_selectorELNS0_4arch9wavefront6targetE0EEEvSD_, .Lfunc_end2365-_ZN7rocprim17ROCPRIM_400000_NS6detail17trampoline_kernelINS0_14default_configENS1_35radix_sort_onesweep_config_selectorItNS0_10empty_typeEEEZNS1_34radix_sort_onesweep_global_offsetsIS3_Lb1EPKtPS5_mNS0_19identity_decomposerEEE10hipError_tT1_T2_PT3_SF_jT4_jjP12ihipStream_tbEUlT_E_NS1_11comp_targetILNS1_3genE3ELNS1_11target_archE908ELNS1_3gpuE7ELNS1_3repE0EEENS1_52radix_sort_onesweep_histogram_config_static_selectorELNS0_4arch9wavefront6targetE0EEEvSD_
                                        ; -- End function
	.set _ZN7rocprim17ROCPRIM_400000_NS6detail17trampoline_kernelINS0_14default_configENS1_35radix_sort_onesweep_config_selectorItNS0_10empty_typeEEEZNS1_34radix_sort_onesweep_global_offsetsIS3_Lb1EPKtPS5_mNS0_19identity_decomposerEEE10hipError_tT1_T2_PT3_SF_jT4_jjP12ihipStream_tbEUlT_E_NS1_11comp_targetILNS1_3genE3ELNS1_11target_archE908ELNS1_3gpuE7ELNS1_3repE0EEENS1_52radix_sort_onesweep_histogram_config_static_selectorELNS0_4arch9wavefront6targetE0EEEvSD_.num_vgpr, 0
	.set _ZN7rocprim17ROCPRIM_400000_NS6detail17trampoline_kernelINS0_14default_configENS1_35radix_sort_onesweep_config_selectorItNS0_10empty_typeEEEZNS1_34radix_sort_onesweep_global_offsetsIS3_Lb1EPKtPS5_mNS0_19identity_decomposerEEE10hipError_tT1_T2_PT3_SF_jT4_jjP12ihipStream_tbEUlT_E_NS1_11comp_targetILNS1_3genE3ELNS1_11target_archE908ELNS1_3gpuE7ELNS1_3repE0EEENS1_52radix_sort_onesweep_histogram_config_static_selectorELNS0_4arch9wavefront6targetE0EEEvSD_.num_agpr, 0
	.set _ZN7rocprim17ROCPRIM_400000_NS6detail17trampoline_kernelINS0_14default_configENS1_35radix_sort_onesweep_config_selectorItNS0_10empty_typeEEEZNS1_34radix_sort_onesweep_global_offsetsIS3_Lb1EPKtPS5_mNS0_19identity_decomposerEEE10hipError_tT1_T2_PT3_SF_jT4_jjP12ihipStream_tbEUlT_E_NS1_11comp_targetILNS1_3genE3ELNS1_11target_archE908ELNS1_3gpuE7ELNS1_3repE0EEENS1_52radix_sort_onesweep_histogram_config_static_selectorELNS0_4arch9wavefront6targetE0EEEvSD_.numbered_sgpr, 0
	.set _ZN7rocprim17ROCPRIM_400000_NS6detail17trampoline_kernelINS0_14default_configENS1_35radix_sort_onesweep_config_selectorItNS0_10empty_typeEEEZNS1_34radix_sort_onesweep_global_offsetsIS3_Lb1EPKtPS5_mNS0_19identity_decomposerEEE10hipError_tT1_T2_PT3_SF_jT4_jjP12ihipStream_tbEUlT_E_NS1_11comp_targetILNS1_3genE3ELNS1_11target_archE908ELNS1_3gpuE7ELNS1_3repE0EEENS1_52radix_sort_onesweep_histogram_config_static_selectorELNS0_4arch9wavefront6targetE0EEEvSD_.num_named_barrier, 0
	.set _ZN7rocprim17ROCPRIM_400000_NS6detail17trampoline_kernelINS0_14default_configENS1_35radix_sort_onesweep_config_selectorItNS0_10empty_typeEEEZNS1_34radix_sort_onesweep_global_offsetsIS3_Lb1EPKtPS5_mNS0_19identity_decomposerEEE10hipError_tT1_T2_PT3_SF_jT4_jjP12ihipStream_tbEUlT_E_NS1_11comp_targetILNS1_3genE3ELNS1_11target_archE908ELNS1_3gpuE7ELNS1_3repE0EEENS1_52radix_sort_onesweep_histogram_config_static_selectorELNS0_4arch9wavefront6targetE0EEEvSD_.private_seg_size, 0
	.set _ZN7rocprim17ROCPRIM_400000_NS6detail17trampoline_kernelINS0_14default_configENS1_35radix_sort_onesweep_config_selectorItNS0_10empty_typeEEEZNS1_34radix_sort_onesweep_global_offsetsIS3_Lb1EPKtPS5_mNS0_19identity_decomposerEEE10hipError_tT1_T2_PT3_SF_jT4_jjP12ihipStream_tbEUlT_E_NS1_11comp_targetILNS1_3genE3ELNS1_11target_archE908ELNS1_3gpuE7ELNS1_3repE0EEENS1_52radix_sort_onesweep_histogram_config_static_selectorELNS0_4arch9wavefront6targetE0EEEvSD_.uses_vcc, 0
	.set _ZN7rocprim17ROCPRIM_400000_NS6detail17trampoline_kernelINS0_14default_configENS1_35radix_sort_onesweep_config_selectorItNS0_10empty_typeEEEZNS1_34radix_sort_onesweep_global_offsetsIS3_Lb1EPKtPS5_mNS0_19identity_decomposerEEE10hipError_tT1_T2_PT3_SF_jT4_jjP12ihipStream_tbEUlT_E_NS1_11comp_targetILNS1_3genE3ELNS1_11target_archE908ELNS1_3gpuE7ELNS1_3repE0EEENS1_52radix_sort_onesweep_histogram_config_static_selectorELNS0_4arch9wavefront6targetE0EEEvSD_.uses_flat_scratch, 0
	.set _ZN7rocprim17ROCPRIM_400000_NS6detail17trampoline_kernelINS0_14default_configENS1_35radix_sort_onesweep_config_selectorItNS0_10empty_typeEEEZNS1_34radix_sort_onesweep_global_offsetsIS3_Lb1EPKtPS5_mNS0_19identity_decomposerEEE10hipError_tT1_T2_PT3_SF_jT4_jjP12ihipStream_tbEUlT_E_NS1_11comp_targetILNS1_3genE3ELNS1_11target_archE908ELNS1_3gpuE7ELNS1_3repE0EEENS1_52radix_sort_onesweep_histogram_config_static_selectorELNS0_4arch9wavefront6targetE0EEEvSD_.has_dyn_sized_stack, 0
	.set _ZN7rocprim17ROCPRIM_400000_NS6detail17trampoline_kernelINS0_14default_configENS1_35radix_sort_onesweep_config_selectorItNS0_10empty_typeEEEZNS1_34radix_sort_onesweep_global_offsetsIS3_Lb1EPKtPS5_mNS0_19identity_decomposerEEE10hipError_tT1_T2_PT3_SF_jT4_jjP12ihipStream_tbEUlT_E_NS1_11comp_targetILNS1_3genE3ELNS1_11target_archE908ELNS1_3gpuE7ELNS1_3repE0EEENS1_52radix_sort_onesweep_histogram_config_static_selectorELNS0_4arch9wavefront6targetE0EEEvSD_.has_recursion, 0
	.set _ZN7rocprim17ROCPRIM_400000_NS6detail17trampoline_kernelINS0_14default_configENS1_35radix_sort_onesweep_config_selectorItNS0_10empty_typeEEEZNS1_34radix_sort_onesweep_global_offsetsIS3_Lb1EPKtPS5_mNS0_19identity_decomposerEEE10hipError_tT1_T2_PT3_SF_jT4_jjP12ihipStream_tbEUlT_E_NS1_11comp_targetILNS1_3genE3ELNS1_11target_archE908ELNS1_3gpuE7ELNS1_3repE0EEENS1_52radix_sort_onesweep_histogram_config_static_selectorELNS0_4arch9wavefront6targetE0EEEvSD_.has_indirect_call, 0
	.section	.AMDGPU.csdata,"",@progbits
; Kernel info:
; codeLenInByte = 0
; TotalNumSgprs: 0
; NumVgprs: 0
; ScratchSize: 0
; MemoryBound: 0
; FloatMode: 240
; IeeeMode: 1
; LDSByteSize: 0 bytes/workgroup (compile time only)
; SGPRBlocks: 0
; VGPRBlocks: 0
; NumSGPRsForWavesPerEU: 1
; NumVGPRsForWavesPerEU: 1
; NamedBarCnt: 0
; Occupancy: 16
; WaveLimiterHint : 0
; COMPUTE_PGM_RSRC2:SCRATCH_EN: 0
; COMPUTE_PGM_RSRC2:USER_SGPR: 2
; COMPUTE_PGM_RSRC2:TRAP_HANDLER: 0
; COMPUTE_PGM_RSRC2:TGID_X_EN: 1
; COMPUTE_PGM_RSRC2:TGID_Y_EN: 0
; COMPUTE_PGM_RSRC2:TGID_Z_EN: 0
; COMPUTE_PGM_RSRC2:TIDIG_COMP_CNT: 0
	.section	.text._ZN7rocprim17ROCPRIM_400000_NS6detail17trampoline_kernelINS0_14default_configENS1_35radix_sort_onesweep_config_selectorItNS0_10empty_typeEEEZNS1_34radix_sort_onesweep_global_offsetsIS3_Lb1EPKtPS5_mNS0_19identity_decomposerEEE10hipError_tT1_T2_PT3_SF_jT4_jjP12ihipStream_tbEUlT_E_NS1_11comp_targetILNS1_3genE10ELNS1_11target_archE1201ELNS1_3gpuE5ELNS1_3repE0EEENS1_52radix_sort_onesweep_histogram_config_static_selectorELNS0_4arch9wavefront6targetE0EEEvSD_,"axG",@progbits,_ZN7rocprim17ROCPRIM_400000_NS6detail17trampoline_kernelINS0_14default_configENS1_35radix_sort_onesweep_config_selectorItNS0_10empty_typeEEEZNS1_34radix_sort_onesweep_global_offsetsIS3_Lb1EPKtPS5_mNS0_19identity_decomposerEEE10hipError_tT1_T2_PT3_SF_jT4_jjP12ihipStream_tbEUlT_E_NS1_11comp_targetILNS1_3genE10ELNS1_11target_archE1201ELNS1_3gpuE5ELNS1_3repE0EEENS1_52radix_sort_onesweep_histogram_config_static_selectorELNS0_4arch9wavefront6targetE0EEEvSD_,comdat
	.protected	_ZN7rocprim17ROCPRIM_400000_NS6detail17trampoline_kernelINS0_14default_configENS1_35radix_sort_onesweep_config_selectorItNS0_10empty_typeEEEZNS1_34radix_sort_onesweep_global_offsetsIS3_Lb1EPKtPS5_mNS0_19identity_decomposerEEE10hipError_tT1_T2_PT3_SF_jT4_jjP12ihipStream_tbEUlT_E_NS1_11comp_targetILNS1_3genE10ELNS1_11target_archE1201ELNS1_3gpuE5ELNS1_3repE0EEENS1_52radix_sort_onesweep_histogram_config_static_selectorELNS0_4arch9wavefront6targetE0EEEvSD_ ; -- Begin function _ZN7rocprim17ROCPRIM_400000_NS6detail17trampoline_kernelINS0_14default_configENS1_35radix_sort_onesweep_config_selectorItNS0_10empty_typeEEEZNS1_34radix_sort_onesweep_global_offsetsIS3_Lb1EPKtPS5_mNS0_19identity_decomposerEEE10hipError_tT1_T2_PT3_SF_jT4_jjP12ihipStream_tbEUlT_E_NS1_11comp_targetILNS1_3genE10ELNS1_11target_archE1201ELNS1_3gpuE5ELNS1_3repE0EEENS1_52radix_sort_onesweep_histogram_config_static_selectorELNS0_4arch9wavefront6targetE0EEEvSD_
	.globl	_ZN7rocprim17ROCPRIM_400000_NS6detail17trampoline_kernelINS0_14default_configENS1_35radix_sort_onesweep_config_selectorItNS0_10empty_typeEEEZNS1_34radix_sort_onesweep_global_offsetsIS3_Lb1EPKtPS5_mNS0_19identity_decomposerEEE10hipError_tT1_T2_PT3_SF_jT4_jjP12ihipStream_tbEUlT_E_NS1_11comp_targetILNS1_3genE10ELNS1_11target_archE1201ELNS1_3gpuE5ELNS1_3repE0EEENS1_52radix_sort_onesweep_histogram_config_static_selectorELNS0_4arch9wavefront6targetE0EEEvSD_
	.p2align	8
	.type	_ZN7rocprim17ROCPRIM_400000_NS6detail17trampoline_kernelINS0_14default_configENS1_35radix_sort_onesweep_config_selectorItNS0_10empty_typeEEEZNS1_34radix_sort_onesweep_global_offsetsIS3_Lb1EPKtPS5_mNS0_19identity_decomposerEEE10hipError_tT1_T2_PT3_SF_jT4_jjP12ihipStream_tbEUlT_E_NS1_11comp_targetILNS1_3genE10ELNS1_11target_archE1201ELNS1_3gpuE5ELNS1_3repE0EEENS1_52radix_sort_onesweep_histogram_config_static_selectorELNS0_4arch9wavefront6targetE0EEEvSD_,@function
_ZN7rocprim17ROCPRIM_400000_NS6detail17trampoline_kernelINS0_14default_configENS1_35radix_sort_onesweep_config_selectorItNS0_10empty_typeEEEZNS1_34radix_sort_onesweep_global_offsetsIS3_Lb1EPKtPS5_mNS0_19identity_decomposerEEE10hipError_tT1_T2_PT3_SF_jT4_jjP12ihipStream_tbEUlT_E_NS1_11comp_targetILNS1_3genE10ELNS1_11target_archE1201ELNS1_3gpuE5ELNS1_3repE0EEENS1_52radix_sort_onesweep_histogram_config_static_selectorELNS0_4arch9wavefront6targetE0EEEvSD_: ; @_ZN7rocprim17ROCPRIM_400000_NS6detail17trampoline_kernelINS0_14default_configENS1_35radix_sort_onesweep_config_selectorItNS0_10empty_typeEEEZNS1_34radix_sort_onesweep_global_offsetsIS3_Lb1EPKtPS5_mNS0_19identity_decomposerEEE10hipError_tT1_T2_PT3_SF_jT4_jjP12ihipStream_tbEUlT_E_NS1_11comp_targetILNS1_3genE10ELNS1_11target_archE1201ELNS1_3gpuE5ELNS1_3repE0EEENS1_52radix_sort_onesweep_histogram_config_static_selectorELNS0_4arch9wavefront6targetE0EEEvSD_
; %bb.0:
	.section	.rodata,"a",@progbits
	.p2align	6, 0x0
	.amdhsa_kernel _ZN7rocprim17ROCPRIM_400000_NS6detail17trampoline_kernelINS0_14default_configENS1_35radix_sort_onesweep_config_selectorItNS0_10empty_typeEEEZNS1_34radix_sort_onesweep_global_offsetsIS3_Lb1EPKtPS5_mNS0_19identity_decomposerEEE10hipError_tT1_T2_PT3_SF_jT4_jjP12ihipStream_tbEUlT_E_NS1_11comp_targetILNS1_3genE10ELNS1_11target_archE1201ELNS1_3gpuE5ELNS1_3repE0EEENS1_52radix_sort_onesweep_histogram_config_static_selectorELNS0_4arch9wavefront6targetE0EEEvSD_
		.amdhsa_group_segment_fixed_size 0
		.amdhsa_private_segment_fixed_size 0
		.amdhsa_kernarg_size 48
		.amdhsa_user_sgpr_count 2
		.amdhsa_user_sgpr_dispatch_ptr 0
		.amdhsa_user_sgpr_queue_ptr 0
		.amdhsa_user_sgpr_kernarg_segment_ptr 1
		.amdhsa_user_sgpr_dispatch_id 0
		.amdhsa_user_sgpr_kernarg_preload_length 0
		.amdhsa_user_sgpr_kernarg_preload_offset 0
		.amdhsa_user_sgpr_private_segment_size 0
		.amdhsa_wavefront_size32 1
		.amdhsa_uses_dynamic_stack 0
		.amdhsa_enable_private_segment 0
		.amdhsa_system_sgpr_workgroup_id_x 1
		.amdhsa_system_sgpr_workgroup_id_y 0
		.amdhsa_system_sgpr_workgroup_id_z 0
		.amdhsa_system_sgpr_workgroup_info 0
		.amdhsa_system_vgpr_workitem_id 0
		.amdhsa_next_free_vgpr 1
		.amdhsa_next_free_sgpr 1
		.amdhsa_named_barrier_count 0
		.amdhsa_reserve_vcc 0
		.amdhsa_float_round_mode_32 0
		.amdhsa_float_round_mode_16_64 0
		.amdhsa_float_denorm_mode_32 3
		.amdhsa_float_denorm_mode_16_64 3
		.amdhsa_fp16_overflow 0
		.amdhsa_memory_ordered 1
		.amdhsa_forward_progress 1
		.amdhsa_inst_pref_size 0
		.amdhsa_round_robin_scheduling 0
		.amdhsa_exception_fp_ieee_invalid_op 0
		.amdhsa_exception_fp_denorm_src 0
		.amdhsa_exception_fp_ieee_div_zero 0
		.amdhsa_exception_fp_ieee_overflow 0
		.amdhsa_exception_fp_ieee_underflow 0
		.amdhsa_exception_fp_ieee_inexact 0
		.amdhsa_exception_int_div_zero 0
	.end_amdhsa_kernel
	.section	.text._ZN7rocprim17ROCPRIM_400000_NS6detail17trampoline_kernelINS0_14default_configENS1_35radix_sort_onesweep_config_selectorItNS0_10empty_typeEEEZNS1_34radix_sort_onesweep_global_offsetsIS3_Lb1EPKtPS5_mNS0_19identity_decomposerEEE10hipError_tT1_T2_PT3_SF_jT4_jjP12ihipStream_tbEUlT_E_NS1_11comp_targetILNS1_3genE10ELNS1_11target_archE1201ELNS1_3gpuE5ELNS1_3repE0EEENS1_52radix_sort_onesweep_histogram_config_static_selectorELNS0_4arch9wavefront6targetE0EEEvSD_,"axG",@progbits,_ZN7rocprim17ROCPRIM_400000_NS6detail17trampoline_kernelINS0_14default_configENS1_35radix_sort_onesweep_config_selectorItNS0_10empty_typeEEEZNS1_34radix_sort_onesweep_global_offsetsIS3_Lb1EPKtPS5_mNS0_19identity_decomposerEEE10hipError_tT1_T2_PT3_SF_jT4_jjP12ihipStream_tbEUlT_E_NS1_11comp_targetILNS1_3genE10ELNS1_11target_archE1201ELNS1_3gpuE5ELNS1_3repE0EEENS1_52radix_sort_onesweep_histogram_config_static_selectorELNS0_4arch9wavefront6targetE0EEEvSD_,comdat
.Lfunc_end2366:
	.size	_ZN7rocprim17ROCPRIM_400000_NS6detail17trampoline_kernelINS0_14default_configENS1_35radix_sort_onesweep_config_selectorItNS0_10empty_typeEEEZNS1_34radix_sort_onesweep_global_offsetsIS3_Lb1EPKtPS5_mNS0_19identity_decomposerEEE10hipError_tT1_T2_PT3_SF_jT4_jjP12ihipStream_tbEUlT_E_NS1_11comp_targetILNS1_3genE10ELNS1_11target_archE1201ELNS1_3gpuE5ELNS1_3repE0EEENS1_52radix_sort_onesweep_histogram_config_static_selectorELNS0_4arch9wavefront6targetE0EEEvSD_, .Lfunc_end2366-_ZN7rocprim17ROCPRIM_400000_NS6detail17trampoline_kernelINS0_14default_configENS1_35radix_sort_onesweep_config_selectorItNS0_10empty_typeEEEZNS1_34radix_sort_onesweep_global_offsetsIS3_Lb1EPKtPS5_mNS0_19identity_decomposerEEE10hipError_tT1_T2_PT3_SF_jT4_jjP12ihipStream_tbEUlT_E_NS1_11comp_targetILNS1_3genE10ELNS1_11target_archE1201ELNS1_3gpuE5ELNS1_3repE0EEENS1_52radix_sort_onesweep_histogram_config_static_selectorELNS0_4arch9wavefront6targetE0EEEvSD_
                                        ; -- End function
	.set _ZN7rocprim17ROCPRIM_400000_NS6detail17trampoline_kernelINS0_14default_configENS1_35radix_sort_onesweep_config_selectorItNS0_10empty_typeEEEZNS1_34radix_sort_onesweep_global_offsetsIS3_Lb1EPKtPS5_mNS0_19identity_decomposerEEE10hipError_tT1_T2_PT3_SF_jT4_jjP12ihipStream_tbEUlT_E_NS1_11comp_targetILNS1_3genE10ELNS1_11target_archE1201ELNS1_3gpuE5ELNS1_3repE0EEENS1_52radix_sort_onesweep_histogram_config_static_selectorELNS0_4arch9wavefront6targetE0EEEvSD_.num_vgpr, 0
	.set _ZN7rocprim17ROCPRIM_400000_NS6detail17trampoline_kernelINS0_14default_configENS1_35radix_sort_onesweep_config_selectorItNS0_10empty_typeEEEZNS1_34radix_sort_onesweep_global_offsetsIS3_Lb1EPKtPS5_mNS0_19identity_decomposerEEE10hipError_tT1_T2_PT3_SF_jT4_jjP12ihipStream_tbEUlT_E_NS1_11comp_targetILNS1_3genE10ELNS1_11target_archE1201ELNS1_3gpuE5ELNS1_3repE0EEENS1_52radix_sort_onesweep_histogram_config_static_selectorELNS0_4arch9wavefront6targetE0EEEvSD_.num_agpr, 0
	.set _ZN7rocprim17ROCPRIM_400000_NS6detail17trampoline_kernelINS0_14default_configENS1_35radix_sort_onesweep_config_selectorItNS0_10empty_typeEEEZNS1_34radix_sort_onesweep_global_offsetsIS3_Lb1EPKtPS5_mNS0_19identity_decomposerEEE10hipError_tT1_T2_PT3_SF_jT4_jjP12ihipStream_tbEUlT_E_NS1_11comp_targetILNS1_3genE10ELNS1_11target_archE1201ELNS1_3gpuE5ELNS1_3repE0EEENS1_52radix_sort_onesweep_histogram_config_static_selectorELNS0_4arch9wavefront6targetE0EEEvSD_.numbered_sgpr, 0
	.set _ZN7rocprim17ROCPRIM_400000_NS6detail17trampoline_kernelINS0_14default_configENS1_35radix_sort_onesweep_config_selectorItNS0_10empty_typeEEEZNS1_34radix_sort_onesweep_global_offsetsIS3_Lb1EPKtPS5_mNS0_19identity_decomposerEEE10hipError_tT1_T2_PT3_SF_jT4_jjP12ihipStream_tbEUlT_E_NS1_11comp_targetILNS1_3genE10ELNS1_11target_archE1201ELNS1_3gpuE5ELNS1_3repE0EEENS1_52radix_sort_onesweep_histogram_config_static_selectorELNS0_4arch9wavefront6targetE0EEEvSD_.num_named_barrier, 0
	.set _ZN7rocprim17ROCPRIM_400000_NS6detail17trampoline_kernelINS0_14default_configENS1_35radix_sort_onesweep_config_selectorItNS0_10empty_typeEEEZNS1_34radix_sort_onesweep_global_offsetsIS3_Lb1EPKtPS5_mNS0_19identity_decomposerEEE10hipError_tT1_T2_PT3_SF_jT4_jjP12ihipStream_tbEUlT_E_NS1_11comp_targetILNS1_3genE10ELNS1_11target_archE1201ELNS1_3gpuE5ELNS1_3repE0EEENS1_52radix_sort_onesweep_histogram_config_static_selectorELNS0_4arch9wavefront6targetE0EEEvSD_.private_seg_size, 0
	.set _ZN7rocprim17ROCPRIM_400000_NS6detail17trampoline_kernelINS0_14default_configENS1_35radix_sort_onesweep_config_selectorItNS0_10empty_typeEEEZNS1_34radix_sort_onesweep_global_offsetsIS3_Lb1EPKtPS5_mNS0_19identity_decomposerEEE10hipError_tT1_T2_PT3_SF_jT4_jjP12ihipStream_tbEUlT_E_NS1_11comp_targetILNS1_3genE10ELNS1_11target_archE1201ELNS1_3gpuE5ELNS1_3repE0EEENS1_52radix_sort_onesweep_histogram_config_static_selectorELNS0_4arch9wavefront6targetE0EEEvSD_.uses_vcc, 0
	.set _ZN7rocprim17ROCPRIM_400000_NS6detail17trampoline_kernelINS0_14default_configENS1_35radix_sort_onesweep_config_selectorItNS0_10empty_typeEEEZNS1_34radix_sort_onesweep_global_offsetsIS3_Lb1EPKtPS5_mNS0_19identity_decomposerEEE10hipError_tT1_T2_PT3_SF_jT4_jjP12ihipStream_tbEUlT_E_NS1_11comp_targetILNS1_3genE10ELNS1_11target_archE1201ELNS1_3gpuE5ELNS1_3repE0EEENS1_52radix_sort_onesweep_histogram_config_static_selectorELNS0_4arch9wavefront6targetE0EEEvSD_.uses_flat_scratch, 0
	.set _ZN7rocprim17ROCPRIM_400000_NS6detail17trampoline_kernelINS0_14default_configENS1_35radix_sort_onesweep_config_selectorItNS0_10empty_typeEEEZNS1_34radix_sort_onesweep_global_offsetsIS3_Lb1EPKtPS5_mNS0_19identity_decomposerEEE10hipError_tT1_T2_PT3_SF_jT4_jjP12ihipStream_tbEUlT_E_NS1_11comp_targetILNS1_3genE10ELNS1_11target_archE1201ELNS1_3gpuE5ELNS1_3repE0EEENS1_52radix_sort_onesweep_histogram_config_static_selectorELNS0_4arch9wavefront6targetE0EEEvSD_.has_dyn_sized_stack, 0
	.set _ZN7rocprim17ROCPRIM_400000_NS6detail17trampoline_kernelINS0_14default_configENS1_35radix_sort_onesweep_config_selectorItNS0_10empty_typeEEEZNS1_34radix_sort_onesweep_global_offsetsIS3_Lb1EPKtPS5_mNS0_19identity_decomposerEEE10hipError_tT1_T2_PT3_SF_jT4_jjP12ihipStream_tbEUlT_E_NS1_11comp_targetILNS1_3genE10ELNS1_11target_archE1201ELNS1_3gpuE5ELNS1_3repE0EEENS1_52radix_sort_onesweep_histogram_config_static_selectorELNS0_4arch9wavefront6targetE0EEEvSD_.has_recursion, 0
	.set _ZN7rocprim17ROCPRIM_400000_NS6detail17trampoline_kernelINS0_14default_configENS1_35radix_sort_onesweep_config_selectorItNS0_10empty_typeEEEZNS1_34radix_sort_onesweep_global_offsetsIS3_Lb1EPKtPS5_mNS0_19identity_decomposerEEE10hipError_tT1_T2_PT3_SF_jT4_jjP12ihipStream_tbEUlT_E_NS1_11comp_targetILNS1_3genE10ELNS1_11target_archE1201ELNS1_3gpuE5ELNS1_3repE0EEENS1_52radix_sort_onesweep_histogram_config_static_selectorELNS0_4arch9wavefront6targetE0EEEvSD_.has_indirect_call, 0
	.section	.AMDGPU.csdata,"",@progbits
; Kernel info:
; codeLenInByte = 0
; TotalNumSgprs: 0
; NumVgprs: 0
; ScratchSize: 0
; MemoryBound: 0
; FloatMode: 240
; IeeeMode: 1
; LDSByteSize: 0 bytes/workgroup (compile time only)
; SGPRBlocks: 0
; VGPRBlocks: 0
; NumSGPRsForWavesPerEU: 1
; NumVGPRsForWavesPerEU: 1
; NamedBarCnt: 0
; Occupancy: 16
; WaveLimiterHint : 0
; COMPUTE_PGM_RSRC2:SCRATCH_EN: 0
; COMPUTE_PGM_RSRC2:USER_SGPR: 2
; COMPUTE_PGM_RSRC2:TRAP_HANDLER: 0
; COMPUTE_PGM_RSRC2:TGID_X_EN: 1
; COMPUTE_PGM_RSRC2:TGID_Y_EN: 0
; COMPUTE_PGM_RSRC2:TGID_Z_EN: 0
; COMPUTE_PGM_RSRC2:TIDIG_COMP_CNT: 0
	.section	.text._ZN7rocprim17ROCPRIM_400000_NS6detail17trampoline_kernelINS0_14default_configENS1_35radix_sort_onesweep_config_selectorItNS0_10empty_typeEEEZNS1_34radix_sort_onesweep_global_offsetsIS3_Lb1EPKtPS5_mNS0_19identity_decomposerEEE10hipError_tT1_T2_PT3_SF_jT4_jjP12ihipStream_tbEUlT_E_NS1_11comp_targetILNS1_3genE9ELNS1_11target_archE1100ELNS1_3gpuE3ELNS1_3repE0EEENS1_52radix_sort_onesweep_histogram_config_static_selectorELNS0_4arch9wavefront6targetE0EEEvSD_,"axG",@progbits,_ZN7rocprim17ROCPRIM_400000_NS6detail17trampoline_kernelINS0_14default_configENS1_35radix_sort_onesweep_config_selectorItNS0_10empty_typeEEEZNS1_34radix_sort_onesweep_global_offsetsIS3_Lb1EPKtPS5_mNS0_19identity_decomposerEEE10hipError_tT1_T2_PT3_SF_jT4_jjP12ihipStream_tbEUlT_E_NS1_11comp_targetILNS1_3genE9ELNS1_11target_archE1100ELNS1_3gpuE3ELNS1_3repE0EEENS1_52radix_sort_onesweep_histogram_config_static_selectorELNS0_4arch9wavefront6targetE0EEEvSD_,comdat
	.protected	_ZN7rocprim17ROCPRIM_400000_NS6detail17trampoline_kernelINS0_14default_configENS1_35radix_sort_onesweep_config_selectorItNS0_10empty_typeEEEZNS1_34radix_sort_onesweep_global_offsetsIS3_Lb1EPKtPS5_mNS0_19identity_decomposerEEE10hipError_tT1_T2_PT3_SF_jT4_jjP12ihipStream_tbEUlT_E_NS1_11comp_targetILNS1_3genE9ELNS1_11target_archE1100ELNS1_3gpuE3ELNS1_3repE0EEENS1_52radix_sort_onesweep_histogram_config_static_selectorELNS0_4arch9wavefront6targetE0EEEvSD_ ; -- Begin function _ZN7rocprim17ROCPRIM_400000_NS6detail17trampoline_kernelINS0_14default_configENS1_35radix_sort_onesweep_config_selectorItNS0_10empty_typeEEEZNS1_34radix_sort_onesweep_global_offsetsIS3_Lb1EPKtPS5_mNS0_19identity_decomposerEEE10hipError_tT1_T2_PT3_SF_jT4_jjP12ihipStream_tbEUlT_E_NS1_11comp_targetILNS1_3genE9ELNS1_11target_archE1100ELNS1_3gpuE3ELNS1_3repE0EEENS1_52radix_sort_onesweep_histogram_config_static_selectorELNS0_4arch9wavefront6targetE0EEEvSD_
	.globl	_ZN7rocprim17ROCPRIM_400000_NS6detail17trampoline_kernelINS0_14default_configENS1_35radix_sort_onesweep_config_selectorItNS0_10empty_typeEEEZNS1_34radix_sort_onesweep_global_offsetsIS3_Lb1EPKtPS5_mNS0_19identity_decomposerEEE10hipError_tT1_T2_PT3_SF_jT4_jjP12ihipStream_tbEUlT_E_NS1_11comp_targetILNS1_3genE9ELNS1_11target_archE1100ELNS1_3gpuE3ELNS1_3repE0EEENS1_52radix_sort_onesweep_histogram_config_static_selectorELNS0_4arch9wavefront6targetE0EEEvSD_
	.p2align	8
	.type	_ZN7rocprim17ROCPRIM_400000_NS6detail17trampoline_kernelINS0_14default_configENS1_35radix_sort_onesweep_config_selectorItNS0_10empty_typeEEEZNS1_34radix_sort_onesweep_global_offsetsIS3_Lb1EPKtPS5_mNS0_19identity_decomposerEEE10hipError_tT1_T2_PT3_SF_jT4_jjP12ihipStream_tbEUlT_E_NS1_11comp_targetILNS1_3genE9ELNS1_11target_archE1100ELNS1_3gpuE3ELNS1_3repE0EEENS1_52radix_sort_onesweep_histogram_config_static_selectorELNS0_4arch9wavefront6targetE0EEEvSD_,@function
_ZN7rocprim17ROCPRIM_400000_NS6detail17trampoline_kernelINS0_14default_configENS1_35radix_sort_onesweep_config_selectorItNS0_10empty_typeEEEZNS1_34radix_sort_onesweep_global_offsetsIS3_Lb1EPKtPS5_mNS0_19identity_decomposerEEE10hipError_tT1_T2_PT3_SF_jT4_jjP12ihipStream_tbEUlT_E_NS1_11comp_targetILNS1_3genE9ELNS1_11target_archE1100ELNS1_3gpuE3ELNS1_3repE0EEENS1_52radix_sort_onesweep_histogram_config_static_selectorELNS0_4arch9wavefront6targetE0EEEvSD_: ; @_ZN7rocprim17ROCPRIM_400000_NS6detail17trampoline_kernelINS0_14default_configENS1_35radix_sort_onesweep_config_selectorItNS0_10empty_typeEEEZNS1_34radix_sort_onesweep_global_offsetsIS3_Lb1EPKtPS5_mNS0_19identity_decomposerEEE10hipError_tT1_T2_PT3_SF_jT4_jjP12ihipStream_tbEUlT_E_NS1_11comp_targetILNS1_3genE9ELNS1_11target_archE1100ELNS1_3gpuE3ELNS1_3repE0EEENS1_52radix_sort_onesweep_histogram_config_static_selectorELNS0_4arch9wavefront6targetE0EEEvSD_
; %bb.0:
	.section	.rodata,"a",@progbits
	.p2align	6, 0x0
	.amdhsa_kernel _ZN7rocprim17ROCPRIM_400000_NS6detail17trampoline_kernelINS0_14default_configENS1_35radix_sort_onesweep_config_selectorItNS0_10empty_typeEEEZNS1_34radix_sort_onesweep_global_offsetsIS3_Lb1EPKtPS5_mNS0_19identity_decomposerEEE10hipError_tT1_T2_PT3_SF_jT4_jjP12ihipStream_tbEUlT_E_NS1_11comp_targetILNS1_3genE9ELNS1_11target_archE1100ELNS1_3gpuE3ELNS1_3repE0EEENS1_52radix_sort_onesweep_histogram_config_static_selectorELNS0_4arch9wavefront6targetE0EEEvSD_
		.amdhsa_group_segment_fixed_size 0
		.amdhsa_private_segment_fixed_size 0
		.amdhsa_kernarg_size 48
		.amdhsa_user_sgpr_count 2
		.amdhsa_user_sgpr_dispatch_ptr 0
		.amdhsa_user_sgpr_queue_ptr 0
		.amdhsa_user_sgpr_kernarg_segment_ptr 1
		.amdhsa_user_sgpr_dispatch_id 0
		.amdhsa_user_sgpr_kernarg_preload_length 0
		.amdhsa_user_sgpr_kernarg_preload_offset 0
		.amdhsa_user_sgpr_private_segment_size 0
		.amdhsa_wavefront_size32 1
		.amdhsa_uses_dynamic_stack 0
		.amdhsa_enable_private_segment 0
		.amdhsa_system_sgpr_workgroup_id_x 1
		.amdhsa_system_sgpr_workgroup_id_y 0
		.amdhsa_system_sgpr_workgroup_id_z 0
		.amdhsa_system_sgpr_workgroup_info 0
		.amdhsa_system_vgpr_workitem_id 0
		.amdhsa_next_free_vgpr 1
		.amdhsa_next_free_sgpr 1
		.amdhsa_named_barrier_count 0
		.amdhsa_reserve_vcc 0
		.amdhsa_float_round_mode_32 0
		.amdhsa_float_round_mode_16_64 0
		.amdhsa_float_denorm_mode_32 3
		.amdhsa_float_denorm_mode_16_64 3
		.amdhsa_fp16_overflow 0
		.amdhsa_memory_ordered 1
		.amdhsa_forward_progress 1
		.amdhsa_inst_pref_size 0
		.amdhsa_round_robin_scheduling 0
		.amdhsa_exception_fp_ieee_invalid_op 0
		.amdhsa_exception_fp_denorm_src 0
		.amdhsa_exception_fp_ieee_div_zero 0
		.amdhsa_exception_fp_ieee_overflow 0
		.amdhsa_exception_fp_ieee_underflow 0
		.amdhsa_exception_fp_ieee_inexact 0
		.amdhsa_exception_int_div_zero 0
	.end_amdhsa_kernel
	.section	.text._ZN7rocprim17ROCPRIM_400000_NS6detail17trampoline_kernelINS0_14default_configENS1_35radix_sort_onesweep_config_selectorItNS0_10empty_typeEEEZNS1_34radix_sort_onesweep_global_offsetsIS3_Lb1EPKtPS5_mNS0_19identity_decomposerEEE10hipError_tT1_T2_PT3_SF_jT4_jjP12ihipStream_tbEUlT_E_NS1_11comp_targetILNS1_3genE9ELNS1_11target_archE1100ELNS1_3gpuE3ELNS1_3repE0EEENS1_52radix_sort_onesweep_histogram_config_static_selectorELNS0_4arch9wavefront6targetE0EEEvSD_,"axG",@progbits,_ZN7rocprim17ROCPRIM_400000_NS6detail17trampoline_kernelINS0_14default_configENS1_35radix_sort_onesweep_config_selectorItNS0_10empty_typeEEEZNS1_34radix_sort_onesweep_global_offsetsIS3_Lb1EPKtPS5_mNS0_19identity_decomposerEEE10hipError_tT1_T2_PT3_SF_jT4_jjP12ihipStream_tbEUlT_E_NS1_11comp_targetILNS1_3genE9ELNS1_11target_archE1100ELNS1_3gpuE3ELNS1_3repE0EEENS1_52radix_sort_onesweep_histogram_config_static_selectorELNS0_4arch9wavefront6targetE0EEEvSD_,comdat
.Lfunc_end2367:
	.size	_ZN7rocprim17ROCPRIM_400000_NS6detail17trampoline_kernelINS0_14default_configENS1_35radix_sort_onesweep_config_selectorItNS0_10empty_typeEEEZNS1_34radix_sort_onesweep_global_offsetsIS3_Lb1EPKtPS5_mNS0_19identity_decomposerEEE10hipError_tT1_T2_PT3_SF_jT4_jjP12ihipStream_tbEUlT_E_NS1_11comp_targetILNS1_3genE9ELNS1_11target_archE1100ELNS1_3gpuE3ELNS1_3repE0EEENS1_52radix_sort_onesweep_histogram_config_static_selectorELNS0_4arch9wavefront6targetE0EEEvSD_, .Lfunc_end2367-_ZN7rocprim17ROCPRIM_400000_NS6detail17trampoline_kernelINS0_14default_configENS1_35radix_sort_onesweep_config_selectorItNS0_10empty_typeEEEZNS1_34radix_sort_onesweep_global_offsetsIS3_Lb1EPKtPS5_mNS0_19identity_decomposerEEE10hipError_tT1_T2_PT3_SF_jT4_jjP12ihipStream_tbEUlT_E_NS1_11comp_targetILNS1_3genE9ELNS1_11target_archE1100ELNS1_3gpuE3ELNS1_3repE0EEENS1_52radix_sort_onesweep_histogram_config_static_selectorELNS0_4arch9wavefront6targetE0EEEvSD_
                                        ; -- End function
	.set _ZN7rocprim17ROCPRIM_400000_NS6detail17trampoline_kernelINS0_14default_configENS1_35radix_sort_onesweep_config_selectorItNS0_10empty_typeEEEZNS1_34radix_sort_onesweep_global_offsetsIS3_Lb1EPKtPS5_mNS0_19identity_decomposerEEE10hipError_tT1_T2_PT3_SF_jT4_jjP12ihipStream_tbEUlT_E_NS1_11comp_targetILNS1_3genE9ELNS1_11target_archE1100ELNS1_3gpuE3ELNS1_3repE0EEENS1_52radix_sort_onesweep_histogram_config_static_selectorELNS0_4arch9wavefront6targetE0EEEvSD_.num_vgpr, 0
	.set _ZN7rocprim17ROCPRIM_400000_NS6detail17trampoline_kernelINS0_14default_configENS1_35radix_sort_onesweep_config_selectorItNS0_10empty_typeEEEZNS1_34radix_sort_onesweep_global_offsetsIS3_Lb1EPKtPS5_mNS0_19identity_decomposerEEE10hipError_tT1_T2_PT3_SF_jT4_jjP12ihipStream_tbEUlT_E_NS1_11comp_targetILNS1_3genE9ELNS1_11target_archE1100ELNS1_3gpuE3ELNS1_3repE0EEENS1_52radix_sort_onesweep_histogram_config_static_selectorELNS0_4arch9wavefront6targetE0EEEvSD_.num_agpr, 0
	.set _ZN7rocprim17ROCPRIM_400000_NS6detail17trampoline_kernelINS0_14default_configENS1_35radix_sort_onesweep_config_selectorItNS0_10empty_typeEEEZNS1_34radix_sort_onesweep_global_offsetsIS3_Lb1EPKtPS5_mNS0_19identity_decomposerEEE10hipError_tT1_T2_PT3_SF_jT4_jjP12ihipStream_tbEUlT_E_NS1_11comp_targetILNS1_3genE9ELNS1_11target_archE1100ELNS1_3gpuE3ELNS1_3repE0EEENS1_52radix_sort_onesweep_histogram_config_static_selectorELNS0_4arch9wavefront6targetE0EEEvSD_.numbered_sgpr, 0
	.set _ZN7rocprim17ROCPRIM_400000_NS6detail17trampoline_kernelINS0_14default_configENS1_35radix_sort_onesweep_config_selectorItNS0_10empty_typeEEEZNS1_34radix_sort_onesweep_global_offsetsIS3_Lb1EPKtPS5_mNS0_19identity_decomposerEEE10hipError_tT1_T2_PT3_SF_jT4_jjP12ihipStream_tbEUlT_E_NS1_11comp_targetILNS1_3genE9ELNS1_11target_archE1100ELNS1_3gpuE3ELNS1_3repE0EEENS1_52radix_sort_onesweep_histogram_config_static_selectorELNS0_4arch9wavefront6targetE0EEEvSD_.num_named_barrier, 0
	.set _ZN7rocprim17ROCPRIM_400000_NS6detail17trampoline_kernelINS0_14default_configENS1_35radix_sort_onesweep_config_selectorItNS0_10empty_typeEEEZNS1_34radix_sort_onesweep_global_offsetsIS3_Lb1EPKtPS5_mNS0_19identity_decomposerEEE10hipError_tT1_T2_PT3_SF_jT4_jjP12ihipStream_tbEUlT_E_NS1_11comp_targetILNS1_3genE9ELNS1_11target_archE1100ELNS1_3gpuE3ELNS1_3repE0EEENS1_52radix_sort_onesweep_histogram_config_static_selectorELNS0_4arch9wavefront6targetE0EEEvSD_.private_seg_size, 0
	.set _ZN7rocprim17ROCPRIM_400000_NS6detail17trampoline_kernelINS0_14default_configENS1_35radix_sort_onesweep_config_selectorItNS0_10empty_typeEEEZNS1_34radix_sort_onesweep_global_offsetsIS3_Lb1EPKtPS5_mNS0_19identity_decomposerEEE10hipError_tT1_T2_PT3_SF_jT4_jjP12ihipStream_tbEUlT_E_NS1_11comp_targetILNS1_3genE9ELNS1_11target_archE1100ELNS1_3gpuE3ELNS1_3repE0EEENS1_52radix_sort_onesweep_histogram_config_static_selectorELNS0_4arch9wavefront6targetE0EEEvSD_.uses_vcc, 0
	.set _ZN7rocprim17ROCPRIM_400000_NS6detail17trampoline_kernelINS0_14default_configENS1_35radix_sort_onesweep_config_selectorItNS0_10empty_typeEEEZNS1_34radix_sort_onesweep_global_offsetsIS3_Lb1EPKtPS5_mNS0_19identity_decomposerEEE10hipError_tT1_T2_PT3_SF_jT4_jjP12ihipStream_tbEUlT_E_NS1_11comp_targetILNS1_3genE9ELNS1_11target_archE1100ELNS1_3gpuE3ELNS1_3repE0EEENS1_52radix_sort_onesweep_histogram_config_static_selectorELNS0_4arch9wavefront6targetE0EEEvSD_.uses_flat_scratch, 0
	.set _ZN7rocprim17ROCPRIM_400000_NS6detail17trampoline_kernelINS0_14default_configENS1_35radix_sort_onesweep_config_selectorItNS0_10empty_typeEEEZNS1_34radix_sort_onesweep_global_offsetsIS3_Lb1EPKtPS5_mNS0_19identity_decomposerEEE10hipError_tT1_T2_PT3_SF_jT4_jjP12ihipStream_tbEUlT_E_NS1_11comp_targetILNS1_3genE9ELNS1_11target_archE1100ELNS1_3gpuE3ELNS1_3repE0EEENS1_52radix_sort_onesweep_histogram_config_static_selectorELNS0_4arch9wavefront6targetE0EEEvSD_.has_dyn_sized_stack, 0
	.set _ZN7rocprim17ROCPRIM_400000_NS6detail17trampoline_kernelINS0_14default_configENS1_35radix_sort_onesweep_config_selectorItNS0_10empty_typeEEEZNS1_34radix_sort_onesweep_global_offsetsIS3_Lb1EPKtPS5_mNS0_19identity_decomposerEEE10hipError_tT1_T2_PT3_SF_jT4_jjP12ihipStream_tbEUlT_E_NS1_11comp_targetILNS1_3genE9ELNS1_11target_archE1100ELNS1_3gpuE3ELNS1_3repE0EEENS1_52radix_sort_onesweep_histogram_config_static_selectorELNS0_4arch9wavefront6targetE0EEEvSD_.has_recursion, 0
	.set _ZN7rocprim17ROCPRIM_400000_NS6detail17trampoline_kernelINS0_14default_configENS1_35radix_sort_onesweep_config_selectorItNS0_10empty_typeEEEZNS1_34radix_sort_onesweep_global_offsetsIS3_Lb1EPKtPS5_mNS0_19identity_decomposerEEE10hipError_tT1_T2_PT3_SF_jT4_jjP12ihipStream_tbEUlT_E_NS1_11comp_targetILNS1_3genE9ELNS1_11target_archE1100ELNS1_3gpuE3ELNS1_3repE0EEENS1_52radix_sort_onesweep_histogram_config_static_selectorELNS0_4arch9wavefront6targetE0EEEvSD_.has_indirect_call, 0
	.section	.AMDGPU.csdata,"",@progbits
; Kernel info:
; codeLenInByte = 0
; TotalNumSgprs: 0
; NumVgprs: 0
; ScratchSize: 0
; MemoryBound: 0
; FloatMode: 240
; IeeeMode: 1
; LDSByteSize: 0 bytes/workgroup (compile time only)
; SGPRBlocks: 0
; VGPRBlocks: 0
; NumSGPRsForWavesPerEU: 1
; NumVGPRsForWavesPerEU: 1
; NamedBarCnt: 0
; Occupancy: 16
; WaveLimiterHint : 0
; COMPUTE_PGM_RSRC2:SCRATCH_EN: 0
; COMPUTE_PGM_RSRC2:USER_SGPR: 2
; COMPUTE_PGM_RSRC2:TRAP_HANDLER: 0
; COMPUTE_PGM_RSRC2:TGID_X_EN: 1
; COMPUTE_PGM_RSRC2:TGID_Y_EN: 0
; COMPUTE_PGM_RSRC2:TGID_Z_EN: 0
; COMPUTE_PGM_RSRC2:TIDIG_COMP_CNT: 0
	.section	.text._ZN7rocprim17ROCPRIM_400000_NS6detail17trampoline_kernelINS0_14default_configENS1_35radix_sort_onesweep_config_selectorItNS0_10empty_typeEEEZNS1_34radix_sort_onesweep_global_offsetsIS3_Lb1EPKtPS5_mNS0_19identity_decomposerEEE10hipError_tT1_T2_PT3_SF_jT4_jjP12ihipStream_tbEUlT_E_NS1_11comp_targetILNS1_3genE8ELNS1_11target_archE1030ELNS1_3gpuE2ELNS1_3repE0EEENS1_52radix_sort_onesweep_histogram_config_static_selectorELNS0_4arch9wavefront6targetE0EEEvSD_,"axG",@progbits,_ZN7rocprim17ROCPRIM_400000_NS6detail17trampoline_kernelINS0_14default_configENS1_35radix_sort_onesweep_config_selectorItNS0_10empty_typeEEEZNS1_34radix_sort_onesweep_global_offsetsIS3_Lb1EPKtPS5_mNS0_19identity_decomposerEEE10hipError_tT1_T2_PT3_SF_jT4_jjP12ihipStream_tbEUlT_E_NS1_11comp_targetILNS1_3genE8ELNS1_11target_archE1030ELNS1_3gpuE2ELNS1_3repE0EEENS1_52radix_sort_onesweep_histogram_config_static_selectorELNS0_4arch9wavefront6targetE0EEEvSD_,comdat
	.protected	_ZN7rocprim17ROCPRIM_400000_NS6detail17trampoline_kernelINS0_14default_configENS1_35radix_sort_onesweep_config_selectorItNS0_10empty_typeEEEZNS1_34radix_sort_onesweep_global_offsetsIS3_Lb1EPKtPS5_mNS0_19identity_decomposerEEE10hipError_tT1_T2_PT3_SF_jT4_jjP12ihipStream_tbEUlT_E_NS1_11comp_targetILNS1_3genE8ELNS1_11target_archE1030ELNS1_3gpuE2ELNS1_3repE0EEENS1_52radix_sort_onesweep_histogram_config_static_selectorELNS0_4arch9wavefront6targetE0EEEvSD_ ; -- Begin function _ZN7rocprim17ROCPRIM_400000_NS6detail17trampoline_kernelINS0_14default_configENS1_35radix_sort_onesweep_config_selectorItNS0_10empty_typeEEEZNS1_34radix_sort_onesweep_global_offsetsIS3_Lb1EPKtPS5_mNS0_19identity_decomposerEEE10hipError_tT1_T2_PT3_SF_jT4_jjP12ihipStream_tbEUlT_E_NS1_11comp_targetILNS1_3genE8ELNS1_11target_archE1030ELNS1_3gpuE2ELNS1_3repE0EEENS1_52radix_sort_onesweep_histogram_config_static_selectorELNS0_4arch9wavefront6targetE0EEEvSD_
	.globl	_ZN7rocprim17ROCPRIM_400000_NS6detail17trampoline_kernelINS0_14default_configENS1_35radix_sort_onesweep_config_selectorItNS0_10empty_typeEEEZNS1_34radix_sort_onesweep_global_offsetsIS3_Lb1EPKtPS5_mNS0_19identity_decomposerEEE10hipError_tT1_T2_PT3_SF_jT4_jjP12ihipStream_tbEUlT_E_NS1_11comp_targetILNS1_3genE8ELNS1_11target_archE1030ELNS1_3gpuE2ELNS1_3repE0EEENS1_52radix_sort_onesweep_histogram_config_static_selectorELNS0_4arch9wavefront6targetE0EEEvSD_
	.p2align	8
	.type	_ZN7rocprim17ROCPRIM_400000_NS6detail17trampoline_kernelINS0_14default_configENS1_35radix_sort_onesweep_config_selectorItNS0_10empty_typeEEEZNS1_34radix_sort_onesweep_global_offsetsIS3_Lb1EPKtPS5_mNS0_19identity_decomposerEEE10hipError_tT1_T2_PT3_SF_jT4_jjP12ihipStream_tbEUlT_E_NS1_11comp_targetILNS1_3genE8ELNS1_11target_archE1030ELNS1_3gpuE2ELNS1_3repE0EEENS1_52radix_sort_onesweep_histogram_config_static_selectorELNS0_4arch9wavefront6targetE0EEEvSD_,@function
_ZN7rocprim17ROCPRIM_400000_NS6detail17trampoline_kernelINS0_14default_configENS1_35radix_sort_onesweep_config_selectorItNS0_10empty_typeEEEZNS1_34radix_sort_onesweep_global_offsetsIS3_Lb1EPKtPS5_mNS0_19identity_decomposerEEE10hipError_tT1_T2_PT3_SF_jT4_jjP12ihipStream_tbEUlT_E_NS1_11comp_targetILNS1_3genE8ELNS1_11target_archE1030ELNS1_3gpuE2ELNS1_3repE0EEENS1_52radix_sort_onesweep_histogram_config_static_selectorELNS0_4arch9wavefront6targetE0EEEvSD_: ; @_ZN7rocprim17ROCPRIM_400000_NS6detail17trampoline_kernelINS0_14default_configENS1_35radix_sort_onesweep_config_selectorItNS0_10empty_typeEEEZNS1_34radix_sort_onesweep_global_offsetsIS3_Lb1EPKtPS5_mNS0_19identity_decomposerEEE10hipError_tT1_T2_PT3_SF_jT4_jjP12ihipStream_tbEUlT_E_NS1_11comp_targetILNS1_3genE8ELNS1_11target_archE1030ELNS1_3gpuE2ELNS1_3repE0EEENS1_52radix_sort_onesweep_histogram_config_static_selectorELNS0_4arch9wavefront6targetE0EEEvSD_
; %bb.0:
	.section	.rodata,"a",@progbits
	.p2align	6, 0x0
	.amdhsa_kernel _ZN7rocprim17ROCPRIM_400000_NS6detail17trampoline_kernelINS0_14default_configENS1_35radix_sort_onesweep_config_selectorItNS0_10empty_typeEEEZNS1_34radix_sort_onesweep_global_offsetsIS3_Lb1EPKtPS5_mNS0_19identity_decomposerEEE10hipError_tT1_T2_PT3_SF_jT4_jjP12ihipStream_tbEUlT_E_NS1_11comp_targetILNS1_3genE8ELNS1_11target_archE1030ELNS1_3gpuE2ELNS1_3repE0EEENS1_52radix_sort_onesweep_histogram_config_static_selectorELNS0_4arch9wavefront6targetE0EEEvSD_
		.amdhsa_group_segment_fixed_size 0
		.amdhsa_private_segment_fixed_size 0
		.amdhsa_kernarg_size 48
		.amdhsa_user_sgpr_count 2
		.amdhsa_user_sgpr_dispatch_ptr 0
		.amdhsa_user_sgpr_queue_ptr 0
		.amdhsa_user_sgpr_kernarg_segment_ptr 1
		.amdhsa_user_sgpr_dispatch_id 0
		.amdhsa_user_sgpr_kernarg_preload_length 0
		.amdhsa_user_sgpr_kernarg_preload_offset 0
		.amdhsa_user_sgpr_private_segment_size 0
		.amdhsa_wavefront_size32 1
		.amdhsa_uses_dynamic_stack 0
		.amdhsa_enable_private_segment 0
		.amdhsa_system_sgpr_workgroup_id_x 1
		.amdhsa_system_sgpr_workgroup_id_y 0
		.amdhsa_system_sgpr_workgroup_id_z 0
		.amdhsa_system_sgpr_workgroup_info 0
		.amdhsa_system_vgpr_workitem_id 0
		.amdhsa_next_free_vgpr 1
		.amdhsa_next_free_sgpr 1
		.amdhsa_named_barrier_count 0
		.amdhsa_reserve_vcc 0
		.amdhsa_float_round_mode_32 0
		.amdhsa_float_round_mode_16_64 0
		.amdhsa_float_denorm_mode_32 3
		.amdhsa_float_denorm_mode_16_64 3
		.amdhsa_fp16_overflow 0
		.amdhsa_memory_ordered 1
		.amdhsa_forward_progress 1
		.amdhsa_inst_pref_size 0
		.amdhsa_round_robin_scheduling 0
		.amdhsa_exception_fp_ieee_invalid_op 0
		.amdhsa_exception_fp_denorm_src 0
		.amdhsa_exception_fp_ieee_div_zero 0
		.amdhsa_exception_fp_ieee_overflow 0
		.amdhsa_exception_fp_ieee_underflow 0
		.amdhsa_exception_fp_ieee_inexact 0
		.amdhsa_exception_int_div_zero 0
	.end_amdhsa_kernel
	.section	.text._ZN7rocprim17ROCPRIM_400000_NS6detail17trampoline_kernelINS0_14default_configENS1_35radix_sort_onesweep_config_selectorItNS0_10empty_typeEEEZNS1_34radix_sort_onesweep_global_offsetsIS3_Lb1EPKtPS5_mNS0_19identity_decomposerEEE10hipError_tT1_T2_PT3_SF_jT4_jjP12ihipStream_tbEUlT_E_NS1_11comp_targetILNS1_3genE8ELNS1_11target_archE1030ELNS1_3gpuE2ELNS1_3repE0EEENS1_52radix_sort_onesweep_histogram_config_static_selectorELNS0_4arch9wavefront6targetE0EEEvSD_,"axG",@progbits,_ZN7rocprim17ROCPRIM_400000_NS6detail17trampoline_kernelINS0_14default_configENS1_35radix_sort_onesweep_config_selectorItNS0_10empty_typeEEEZNS1_34radix_sort_onesweep_global_offsetsIS3_Lb1EPKtPS5_mNS0_19identity_decomposerEEE10hipError_tT1_T2_PT3_SF_jT4_jjP12ihipStream_tbEUlT_E_NS1_11comp_targetILNS1_3genE8ELNS1_11target_archE1030ELNS1_3gpuE2ELNS1_3repE0EEENS1_52radix_sort_onesweep_histogram_config_static_selectorELNS0_4arch9wavefront6targetE0EEEvSD_,comdat
.Lfunc_end2368:
	.size	_ZN7rocprim17ROCPRIM_400000_NS6detail17trampoline_kernelINS0_14default_configENS1_35radix_sort_onesweep_config_selectorItNS0_10empty_typeEEEZNS1_34radix_sort_onesweep_global_offsetsIS3_Lb1EPKtPS5_mNS0_19identity_decomposerEEE10hipError_tT1_T2_PT3_SF_jT4_jjP12ihipStream_tbEUlT_E_NS1_11comp_targetILNS1_3genE8ELNS1_11target_archE1030ELNS1_3gpuE2ELNS1_3repE0EEENS1_52radix_sort_onesweep_histogram_config_static_selectorELNS0_4arch9wavefront6targetE0EEEvSD_, .Lfunc_end2368-_ZN7rocprim17ROCPRIM_400000_NS6detail17trampoline_kernelINS0_14default_configENS1_35radix_sort_onesweep_config_selectorItNS0_10empty_typeEEEZNS1_34radix_sort_onesweep_global_offsetsIS3_Lb1EPKtPS5_mNS0_19identity_decomposerEEE10hipError_tT1_T2_PT3_SF_jT4_jjP12ihipStream_tbEUlT_E_NS1_11comp_targetILNS1_3genE8ELNS1_11target_archE1030ELNS1_3gpuE2ELNS1_3repE0EEENS1_52radix_sort_onesweep_histogram_config_static_selectorELNS0_4arch9wavefront6targetE0EEEvSD_
                                        ; -- End function
	.set _ZN7rocprim17ROCPRIM_400000_NS6detail17trampoline_kernelINS0_14default_configENS1_35radix_sort_onesweep_config_selectorItNS0_10empty_typeEEEZNS1_34radix_sort_onesweep_global_offsetsIS3_Lb1EPKtPS5_mNS0_19identity_decomposerEEE10hipError_tT1_T2_PT3_SF_jT4_jjP12ihipStream_tbEUlT_E_NS1_11comp_targetILNS1_3genE8ELNS1_11target_archE1030ELNS1_3gpuE2ELNS1_3repE0EEENS1_52radix_sort_onesweep_histogram_config_static_selectorELNS0_4arch9wavefront6targetE0EEEvSD_.num_vgpr, 0
	.set _ZN7rocprim17ROCPRIM_400000_NS6detail17trampoline_kernelINS0_14default_configENS1_35radix_sort_onesweep_config_selectorItNS0_10empty_typeEEEZNS1_34radix_sort_onesweep_global_offsetsIS3_Lb1EPKtPS5_mNS0_19identity_decomposerEEE10hipError_tT1_T2_PT3_SF_jT4_jjP12ihipStream_tbEUlT_E_NS1_11comp_targetILNS1_3genE8ELNS1_11target_archE1030ELNS1_3gpuE2ELNS1_3repE0EEENS1_52radix_sort_onesweep_histogram_config_static_selectorELNS0_4arch9wavefront6targetE0EEEvSD_.num_agpr, 0
	.set _ZN7rocprim17ROCPRIM_400000_NS6detail17trampoline_kernelINS0_14default_configENS1_35radix_sort_onesweep_config_selectorItNS0_10empty_typeEEEZNS1_34radix_sort_onesweep_global_offsetsIS3_Lb1EPKtPS5_mNS0_19identity_decomposerEEE10hipError_tT1_T2_PT3_SF_jT4_jjP12ihipStream_tbEUlT_E_NS1_11comp_targetILNS1_3genE8ELNS1_11target_archE1030ELNS1_3gpuE2ELNS1_3repE0EEENS1_52radix_sort_onesweep_histogram_config_static_selectorELNS0_4arch9wavefront6targetE0EEEvSD_.numbered_sgpr, 0
	.set _ZN7rocprim17ROCPRIM_400000_NS6detail17trampoline_kernelINS0_14default_configENS1_35radix_sort_onesweep_config_selectorItNS0_10empty_typeEEEZNS1_34radix_sort_onesweep_global_offsetsIS3_Lb1EPKtPS5_mNS0_19identity_decomposerEEE10hipError_tT1_T2_PT3_SF_jT4_jjP12ihipStream_tbEUlT_E_NS1_11comp_targetILNS1_3genE8ELNS1_11target_archE1030ELNS1_3gpuE2ELNS1_3repE0EEENS1_52radix_sort_onesweep_histogram_config_static_selectorELNS0_4arch9wavefront6targetE0EEEvSD_.num_named_barrier, 0
	.set _ZN7rocprim17ROCPRIM_400000_NS6detail17trampoline_kernelINS0_14default_configENS1_35radix_sort_onesweep_config_selectorItNS0_10empty_typeEEEZNS1_34radix_sort_onesweep_global_offsetsIS3_Lb1EPKtPS5_mNS0_19identity_decomposerEEE10hipError_tT1_T2_PT3_SF_jT4_jjP12ihipStream_tbEUlT_E_NS1_11comp_targetILNS1_3genE8ELNS1_11target_archE1030ELNS1_3gpuE2ELNS1_3repE0EEENS1_52radix_sort_onesweep_histogram_config_static_selectorELNS0_4arch9wavefront6targetE0EEEvSD_.private_seg_size, 0
	.set _ZN7rocprim17ROCPRIM_400000_NS6detail17trampoline_kernelINS0_14default_configENS1_35radix_sort_onesweep_config_selectorItNS0_10empty_typeEEEZNS1_34radix_sort_onesweep_global_offsetsIS3_Lb1EPKtPS5_mNS0_19identity_decomposerEEE10hipError_tT1_T2_PT3_SF_jT4_jjP12ihipStream_tbEUlT_E_NS1_11comp_targetILNS1_3genE8ELNS1_11target_archE1030ELNS1_3gpuE2ELNS1_3repE0EEENS1_52radix_sort_onesweep_histogram_config_static_selectorELNS0_4arch9wavefront6targetE0EEEvSD_.uses_vcc, 0
	.set _ZN7rocprim17ROCPRIM_400000_NS6detail17trampoline_kernelINS0_14default_configENS1_35radix_sort_onesweep_config_selectorItNS0_10empty_typeEEEZNS1_34radix_sort_onesweep_global_offsetsIS3_Lb1EPKtPS5_mNS0_19identity_decomposerEEE10hipError_tT1_T2_PT3_SF_jT4_jjP12ihipStream_tbEUlT_E_NS1_11comp_targetILNS1_3genE8ELNS1_11target_archE1030ELNS1_3gpuE2ELNS1_3repE0EEENS1_52radix_sort_onesweep_histogram_config_static_selectorELNS0_4arch9wavefront6targetE0EEEvSD_.uses_flat_scratch, 0
	.set _ZN7rocprim17ROCPRIM_400000_NS6detail17trampoline_kernelINS0_14default_configENS1_35radix_sort_onesweep_config_selectorItNS0_10empty_typeEEEZNS1_34radix_sort_onesweep_global_offsetsIS3_Lb1EPKtPS5_mNS0_19identity_decomposerEEE10hipError_tT1_T2_PT3_SF_jT4_jjP12ihipStream_tbEUlT_E_NS1_11comp_targetILNS1_3genE8ELNS1_11target_archE1030ELNS1_3gpuE2ELNS1_3repE0EEENS1_52radix_sort_onesweep_histogram_config_static_selectorELNS0_4arch9wavefront6targetE0EEEvSD_.has_dyn_sized_stack, 0
	.set _ZN7rocprim17ROCPRIM_400000_NS6detail17trampoline_kernelINS0_14default_configENS1_35radix_sort_onesweep_config_selectorItNS0_10empty_typeEEEZNS1_34radix_sort_onesweep_global_offsetsIS3_Lb1EPKtPS5_mNS0_19identity_decomposerEEE10hipError_tT1_T2_PT3_SF_jT4_jjP12ihipStream_tbEUlT_E_NS1_11comp_targetILNS1_3genE8ELNS1_11target_archE1030ELNS1_3gpuE2ELNS1_3repE0EEENS1_52radix_sort_onesweep_histogram_config_static_selectorELNS0_4arch9wavefront6targetE0EEEvSD_.has_recursion, 0
	.set _ZN7rocprim17ROCPRIM_400000_NS6detail17trampoline_kernelINS0_14default_configENS1_35radix_sort_onesweep_config_selectorItNS0_10empty_typeEEEZNS1_34radix_sort_onesweep_global_offsetsIS3_Lb1EPKtPS5_mNS0_19identity_decomposerEEE10hipError_tT1_T2_PT3_SF_jT4_jjP12ihipStream_tbEUlT_E_NS1_11comp_targetILNS1_3genE8ELNS1_11target_archE1030ELNS1_3gpuE2ELNS1_3repE0EEENS1_52radix_sort_onesweep_histogram_config_static_selectorELNS0_4arch9wavefront6targetE0EEEvSD_.has_indirect_call, 0
	.section	.AMDGPU.csdata,"",@progbits
; Kernel info:
; codeLenInByte = 0
; TotalNumSgprs: 0
; NumVgprs: 0
; ScratchSize: 0
; MemoryBound: 0
; FloatMode: 240
; IeeeMode: 1
; LDSByteSize: 0 bytes/workgroup (compile time only)
; SGPRBlocks: 0
; VGPRBlocks: 0
; NumSGPRsForWavesPerEU: 1
; NumVGPRsForWavesPerEU: 1
; NamedBarCnt: 0
; Occupancy: 16
; WaveLimiterHint : 0
; COMPUTE_PGM_RSRC2:SCRATCH_EN: 0
; COMPUTE_PGM_RSRC2:USER_SGPR: 2
; COMPUTE_PGM_RSRC2:TRAP_HANDLER: 0
; COMPUTE_PGM_RSRC2:TGID_X_EN: 1
; COMPUTE_PGM_RSRC2:TGID_Y_EN: 0
; COMPUTE_PGM_RSRC2:TGID_Z_EN: 0
; COMPUTE_PGM_RSRC2:TIDIG_COMP_CNT: 0
	.section	.text._ZN7rocprim17ROCPRIM_400000_NS6detail17trampoline_kernelINS0_14default_configENS1_35radix_sort_onesweep_config_selectorItNS0_10empty_typeEEEZNS1_34radix_sort_onesweep_global_offsetsIS3_Lb1EPKtPS5_mNS0_19identity_decomposerEEE10hipError_tT1_T2_PT3_SF_jT4_jjP12ihipStream_tbEUlT_E0_NS1_11comp_targetILNS1_3genE0ELNS1_11target_archE4294967295ELNS1_3gpuE0ELNS1_3repE0EEENS1_52radix_sort_onesweep_histogram_config_static_selectorELNS0_4arch9wavefront6targetE0EEEvSD_,"axG",@progbits,_ZN7rocprim17ROCPRIM_400000_NS6detail17trampoline_kernelINS0_14default_configENS1_35radix_sort_onesweep_config_selectorItNS0_10empty_typeEEEZNS1_34radix_sort_onesweep_global_offsetsIS3_Lb1EPKtPS5_mNS0_19identity_decomposerEEE10hipError_tT1_T2_PT3_SF_jT4_jjP12ihipStream_tbEUlT_E0_NS1_11comp_targetILNS1_3genE0ELNS1_11target_archE4294967295ELNS1_3gpuE0ELNS1_3repE0EEENS1_52radix_sort_onesweep_histogram_config_static_selectorELNS0_4arch9wavefront6targetE0EEEvSD_,comdat
	.protected	_ZN7rocprim17ROCPRIM_400000_NS6detail17trampoline_kernelINS0_14default_configENS1_35radix_sort_onesweep_config_selectorItNS0_10empty_typeEEEZNS1_34radix_sort_onesweep_global_offsetsIS3_Lb1EPKtPS5_mNS0_19identity_decomposerEEE10hipError_tT1_T2_PT3_SF_jT4_jjP12ihipStream_tbEUlT_E0_NS1_11comp_targetILNS1_3genE0ELNS1_11target_archE4294967295ELNS1_3gpuE0ELNS1_3repE0EEENS1_52radix_sort_onesweep_histogram_config_static_selectorELNS0_4arch9wavefront6targetE0EEEvSD_ ; -- Begin function _ZN7rocprim17ROCPRIM_400000_NS6detail17trampoline_kernelINS0_14default_configENS1_35radix_sort_onesweep_config_selectorItNS0_10empty_typeEEEZNS1_34radix_sort_onesweep_global_offsetsIS3_Lb1EPKtPS5_mNS0_19identity_decomposerEEE10hipError_tT1_T2_PT3_SF_jT4_jjP12ihipStream_tbEUlT_E0_NS1_11comp_targetILNS1_3genE0ELNS1_11target_archE4294967295ELNS1_3gpuE0ELNS1_3repE0EEENS1_52radix_sort_onesweep_histogram_config_static_selectorELNS0_4arch9wavefront6targetE0EEEvSD_
	.globl	_ZN7rocprim17ROCPRIM_400000_NS6detail17trampoline_kernelINS0_14default_configENS1_35radix_sort_onesweep_config_selectorItNS0_10empty_typeEEEZNS1_34radix_sort_onesweep_global_offsetsIS3_Lb1EPKtPS5_mNS0_19identity_decomposerEEE10hipError_tT1_T2_PT3_SF_jT4_jjP12ihipStream_tbEUlT_E0_NS1_11comp_targetILNS1_3genE0ELNS1_11target_archE4294967295ELNS1_3gpuE0ELNS1_3repE0EEENS1_52radix_sort_onesweep_histogram_config_static_selectorELNS0_4arch9wavefront6targetE0EEEvSD_
	.p2align	8
	.type	_ZN7rocprim17ROCPRIM_400000_NS6detail17trampoline_kernelINS0_14default_configENS1_35radix_sort_onesweep_config_selectorItNS0_10empty_typeEEEZNS1_34radix_sort_onesweep_global_offsetsIS3_Lb1EPKtPS5_mNS0_19identity_decomposerEEE10hipError_tT1_T2_PT3_SF_jT4_jjP12ihipStream_tbEUlT_E0_NS1_11comp_targetILNS1_3genE0ELNS1_11target_archE4294967295ELNS1_3gpuE0ELNS1_3repE0EEENS1_52radix_sort_onesweep_histogram_config_static_selectorELNS0_4arch9wavefront6targetE0EEEvSD_,@function
_ZN7rocprim17ROCPRIM_400000_NS6detail17trampoline_kernelINS0_14default_configENS1_35radix_sort_onesweep_config_selectorItNS0_10empty_typeEEEZNS1_34radix_sort_onesweep_global_offsetsIS3_Lb1EPKtPS5_mNS0_19identity_decomposerEEE10hipError_tT1_T2_PT3_SF_jT4_jjP12ihipStream_tbEUlT_E0_NS1_11comp_targetILNS1_3genE0ELNS1_11target_archE4294967295ELNS1_3gpuE0ELNS1_3repE0EEENS1_52radix_sort_onesweep_histogram_config_static_selectorELNS0_4arch9wavefront6targetE0EEEvSD_: ; @_ZN7rocprim17ROCPRIM_400000_NS6detail17trampoline_kernelINS0_14default_configENS1_35radix_sort_onesweep_config_selectorItNS0_10empty_typeEEEZNS1_34radix_sort_onesweep_global_offsetsIS3_Lb1EPKtPS5_mNS0_19identity_decomposerEEE10hipError_tT1_T2_PT3_SF_jT4_jjP12ihipStream_tbEUlT_E0_NS1_11comp_targetILNS1_3genE0ELNS1_11target_archE4294967295ELNS1_3gpuE0ELNS1_3repE0EEENS1_52radix_sort_onesweep_histogram_config_static_selectorELNS0_4arch9wavefront6targetE0EEEvSD_
; %bb.0:
	s_load_b64 s[0:1], s[0:1], 0x0
	s_bfe_u32 s2, ttmp6, 0x4000c
	s_and_b32 s3, ttmp6, 15
	s_add_co_i32 s2, s2, 1
	s_getreg_b32 s4, hwreg(HW_REG_IB_STS2, 6, 4)
	s_mul_i32 s2, ttmp9, s2
	v_cmp_gt_u32_e32 vcc_lo, 0x100, v0
	s_add_co_i32 s3, s3, s2
	s_cmp_eq_u32 s4, 0
                                        ; implicit-def: $vgpr2_vgpr3
	s_cselect_b32 s2, ttmp9, s3
	s_mov_b32 s3, 0
	s_lshl_b32 s2, s2, 8
	s_delay_alu instid0(SALU_CYCLE_1)
	s_lshl_b64 s[2:3], s[2:3], 3
	s_wait_kmcnt 0x0
	s_add_nc_u64 s[6:7], s[0:1], s[2:3]
	s_and_saveexec_b32 s0, vcc_lo
	s_cbranch_execz .LBB2369_2
; %bb.1:
	global_load_b64 v[2:3], v0, s[6:7] scale_offset
.LBB2369_2:
	s_wait_xcnt 0x0
	s_or_b32 exec_lo, exec_lo, s0
	v_mbcnt_lo_u32_b32 v1, -1, 0
	s_wait_loadcnt 0x0
	v_mov_b32_dpp v6, v2 row_shr:1 row_mask:0xf bank_mask:0xf
	v_mov_b32_dpp v9, v3 row_shr:1 row_mask:0xf bank_mask:0xf
	s_delay_alu instid0(VALU_DEP_3) | instskip(NEXT) | instid1(VALU_DEP_1)
	v_dual_mov_b32 v4, v2 :: v_dual_bitop2_b32 v10, 15, v1 bitop3:0x40
	v_cmp_ne_u32_e64 s0, 0, v10
	s_and_saveexec_b32 s1, s0
; %bb.3:
	v_mov_b32_e32 v8, 0
	s_delay_alu instid0(VALU_DEP_1) | instskip(NEXT) | instid1(VALU_DEP_1)
	v_mov_b32_e32 v7, v8
	v_add_nc_u64_e32 v[4:5], v[2:3], v[6:7]
	s_delay_alu instid0(VALU_DEP_1)
	v_add_nc_u64_e32 v[2:3], v[8:9], v[4:5]
; %bb.4:
	s_or_b32 exec_lo, exec_lo, s1
	v_mov_b32_dpp v6, v4 row_shr:2 row_mask:0xf bank_mask:0xf
	s_delay_alu instid0(VALU_DEP_2)
	v_mov_b32_dpp v9, v3 row_shr:2 row_mask:0xf bank_mask:0xf
	v_cmp_lt_u32_e64 s1, 1, v10
	s_and_saveexec_b32 s2, s1
; %bb.5:
	v_mov_b32_e32 v8, 0
	s_delay_alu instid0(VALU_DEP_1) | instskip(NEXT) | instid1(VALU_DEP_1)
	v_mov_b32_e32 v7, v8
	v_add_nc_u64_e32 v[4:5], v[2:3], v[6:7]
	s_delay_alu instid0(VALU_DEP_1)
	v_add_nc_u64_e32 v[2:3], v[8:9], v[4:5]
; %bb.6:
	s_or_b32 exec_lo, exec_lo, s2
	v_mov_b32_dpp v6, v4 row_shr:4 row_mask:0xf bank_mask:0xf
	s_delay_alu instid0(VALU_DEP_2)
	v_mov_b32_dpp v9, v3 row_shr:4 row_mask:0xf bank_mask:0xf
	v_cmp_lt_u32_e64 s2, 3, v10
	;; [unrolled: 14-line block ×3, first 2 shown]
	s_and_saveexec_b32 s4, s3
; %bb.9:
	v_mov_b32_e32 v8, 0
	s_delay_alu instid0(VALU_DEP_1) | instskip(NEXT) | instid1(VALU_DEP_1)
	v_mov_b32_e32 v7, v8
	v_add_nc_u64_e32 v[4:5], v[2:3], v[6:7]
	s_delay_alu instid0(VALU_DEP_1)
	v_add_nc_u64_e32 v[2:3], v[8:9], v[4:5]
; %bb.10:
	s_or_b32 exec_lo, exec_lo, s4
	ds_swizzle_b32 v4, v4 offset:swizzle(BROADCAST,32,15)
	ds_swizzle_b32 v7, v3 offset:swizzle(BROADCAST,32,15)
	v_and_b32_e32 v5, 16, v1
	s_mov_b32 s5, exec_lo
	s_delay_alu instid0(VALU_DEP_1)
	v_cmpx_ne_u32_e32 0, v5
	s_cbranch_execz .LBB2369_12
; %bb.11:
	v_mov_b32_e32 v6, 0
	s_delay_alu instid0(VALU_DEP_1) | instskip(SKIP_1) | instid1(VALU_DEP_1)
	v_mov_b32_e32 v5, v6
	s_wait_dscnt 0x1
	v_add_nc_u64_e32 v[2:3], v[2:3], v[4:5]
	s_wait_dscnt 0x0
	s_delay_alu instid0(VALU_DEP_1)
	v_add_nc_u64_e32 v[2:3], v[2:3], v[6:7]
.LBB2369_12:
	s_or_b32 exec_lo, exec_lo, s5
	s_wait_dscnt 0x1
	v_dual_lshrrev_b32 v12, 5, v0 :: v_dual_bitop2_b32 v4, 31, v0 bitop3:0x54
	s_mov_b32 s5, exec_lo
	s_delay_alu instid0(VALU_DEP_1)
	v_cmpx_eq_u32_e64 v0, v4
; %bb.13:
	s_delay_alu instid0(VALU_DEP_2)
	v_lshlrev_b32_e32 v4, 3, v12
	ds_store_b64 v4, v[2:3]
; %bb.14:
	s_or_b32 exec_lo, exec_lo, s5
	s_delay_alu instid0(SALU_CYCLE_1)
	s_mov_b32 s5, exec_lo
	s_wait_dscnt 0x0
	s_barrier_signal -1
	s_barrier_wait -1
	v_cmpx_gt_u32_e32 16, v0
	s_cbranch_execz .LBB2369_24
; %bb.15:
	v_lshlrev_b32_e32 v13, 3, v0
	ds_load_b64 v[4:5], v13
	s_wait_dscnt 0x0
	v_mov_b32_dpp v8, v4 row_shr:1 row_mask:0xf bank_mask:0xf
	v_mov_b32_dpp v11, v5 row_shr:1 row_mask:0xf bank_mask:0xf
	v_mov_b32_e32 v6, v4
	s_and_saveexec_b32 s4, s0
; %bb.16:
	v_mov_b32_e32 v10, 0
	s_delay_alu instid0(VALU_DEP_1) | instskip(NEXT) | instid1(VALU_DEP_1)
	v_mov_b32_e32 v9, v10
	v_add_nc_u64_e32 v[6:7], v[4:5], v[8:9]
	s_delay_alu instid0(VALU_DEP_1)
	v_add_nc_u64_e32 v[4:5], v[10:11], v[6:7]
; %bb.17:
	s_or_b32 exec_lo, exec_lo, s4
	v_mov_b32_dpp v8, v6 row_shr:2 row_mask:0xf bank_mask:0xf
	s_delay_alu instid0(VALU_DEP_2)
	v_mov_b32_dpp v11, v5 row_shr:2 row_mask:0xf bank_mask:0xf
	s_and_saveexec_b32 s0, s1
; %bb.18:
	v_mov_b32_e32 v10, 0
	s_delay_alu instid0(VALU_DEP_1) | instskip(NEXT) | instid1(VALU_DEP_1)
	v_mov_b32_e32 v9, v10
	v_add_nc_u64_e32 v[6:7], v[4:5], v[8:9]
	s_delay_alu instid0(VALU_DEP_1)
	v_add_nc_u64_e32 v[4:5], v[10:11], v[6:7]
; %bb.19:
	s_or_b32 exec_lo, exec_lo, s0
	v_mov_b32_dpp v8, v6 row_shr:4 row_mask:0xf bank_mask:0xf
	s_delay_alu instid0(VALU_DEP_2)
	v_mov_b32_dpp v11, v5 row_shr:4 row_mask:0xf bank_mask:0xf
	;; [unrolled: 13-line block ×3, first 2 shown]
	s_and_saveexec_b32 s0, s3
; %bb.22:
	v_mov_b32_e32 v8, 0
	s_delay_alu instid0(VALU_DEP_1) | instskip(NEXT) | instid1(VALU_DEP_1)
	v_mov_b32_e32 v7, v8
	v_add_nc_u64_e32 v[4:5], v[4:5], v[6:7]
	s_delay_alu instid0(VALU_DEP_1)
	v_add_nc_u64_e32 v[4:5], v[4:5], v[8:9]
; %bb.23:
	s_or_b32 exec_lo, exec_lo, s0
	ds_store_b64 v13, v[4:5]
.LBB2369_24:
	s_or_b32 exec_lo, exec_lo, s5
	v_mov_b64_e32 v[4:5], 0
	s_mov_b32 s1, exec_lo
	s_wait_dscnt 0x0
	s_barrier_signal -1
	s_barrier_wait -1
	v_cmpx_lt_u32_e32 31, v0
; %bb.25:
	v_lshl_add_u32 v4, v12, 3, -8
	ds_load_b64 v[4:5], v4
; %bb.26:
	s_or_b32 exec_lo, exec_lo, s1
	v_add_nc_u32_e32 v6, -1, v1
	s_wait_dscnt 0x0
	v_add_nc_u64_e32 v[2:3], v[4:5], v[2:3]
	s_delay_alu instid0(VALU_DEP_2) | instskip(NEXT) | instid1(VALU_DEP_1)
	v_cmp_gt_i32_e64 s0, 0, v6
	v_cndmask_b32_e64 v6, v6, v1, s0
	s_delay_alu instid0(VALU_DEP_1)
	v_lshlrev_b32_e32 v6, 2, v6
	ds_bpermute_b32 v2, v6, v2
	ds_bpermute_b32 v3, v6, v3
	s_and_saveexec_b32 s0, vcc_lo
	s_cbranch_execz .LBB2369_28
; %bb.27:
	v_cmp_eq_u32_e32 vcc_lo, 0, v1
	s_wait_dscnt 0x0
	v_dual_cndmask_b32 v3, v3, v5 :: v_dual_cndmask_b32 v2, v2, v4
	global_store_b64 v0, v[2:3], s[6:7] scale_offset
.LBB2369_28:
	s_endpgm
	.section	.rodata,"a",@progbits
	.p2align	6, 0x0
	.amdhsa_kernel _ZN7rocprim17ROCPRIM_400000_NS6detail17trampoline_kernelINS0_14default_configENS1_35radix_sort_onesweep_config_selectorItNS0_10empty_typeEEEZNS1_34radix_sort_onesweep_global_offsetsIS3_Lb1EPKtPS5_mNS0_19identity_decomposerEEE10hipError_tT1_T2_PT3_SF_jT4_jjP12ihipStream_tbEUlT_E0_NS1_11comp_targetILNS1_3genE0ELNS1_11target_archE4294967295ELNS1_3gpuE0ELNS1_3repE0EEENS1_52radix_sort_onesweep_histogram_config_static_selectorELNS0_4arch9wavefront6targetE0EEEvSD_
		.amdhsa_group_segment_fixed_size 128
		.amdhsa_private_segment_fixed_size 0
		.amdhsa_kernarg_size 8
		.amdhsa_user_sgpr_count 2
		.amdhsa_user_sgpr_dispatch_ptr 0
		.amdhsa_user_sgpr_queue_ptr 0
		.amdhsa_user_sgpr_kernarg_segment_ptr 1
		.amdhsa_user_sgpr_dispatch_id 0
		.amdhsa_user_sgpr_kernarg_preload_length 0
		.amdhsa_user_sgpr_kernarg_preload_offset 0
		.amdhsa_user_sgpr_private_segment_size 0
		.amdhsa_wavefront_size32 1
		.amdhsa_uses_dynamic_stack 0
		.amdhsa_enable_private_segment 0
		.amdhsa_system_sgpr_workgroup_id_x 1
		.amdhsa_system_sgpr_workgroup_id_y 0
		.amdhsa_system_sgpr_workgroup_id_z 0
		.amdhsa_system_sgpr_workgroup_info 0
		.amdhsa_system_vgpr_workitem_id 0
		.amdhsa_next_free_vgpr 14
		.amdhsa_next_free_sgpr 8
		.amdhsa_named_barrier_count 0
		.amdhsa_reserve_vcc 1
		.amdhsa_float_round_mode_32 0
		.amdhsa_float_round_mode_16_64 0
		.amdhsa_float_denorm_mode_32 3
		.amdhsa_float_denorm_mode_16_64 3
		.amdhsa_fp16_overflow 0
		.amdhsa_memory_ordered 1
		.amdhsa_forward_progress 1
		.amdhsa_inst_pref_size 7
		.amdhsa_round_robin_scheduling 0
		.amdhsa_exception_fp_ieee_invalid_op 0
		.amdhsa_exception_fp_denorm_src 0
		.amdhsa_exception_fp_ieee_div_zero 0
		.amdhsa_exception_fp_ieee_overflow 0
		.amdhsa_exception_fp_ieee_underflow 0
		.amdhsa_exception_fp_ieee_inexact 0
		.amdhsa_exception_int_div_zero 0
	.end_amdhsa_kernel
	.section	.text._ZN7rocprim17ROCPRIM_400000_NS6detail17trampoline_kernelINS0_14default_configENS1_35radix_sort_onesweep_config_selectorItNS0_10empty_typeEEEZNS1_34radix_sort_onesweep_global_offsetsIS3_Lb1EPKtPS5_mNS0_19identity_decomposerEEE10hipError_tT1_T2_PT3_SF_jT4_jjP12ihipStream_tbEUlT_E0_NS1_11comp_targetILNS1_3genE0ELNS1_11target_archE4294967295ELNS1_3gpuE0ELNS1_3repE0EEENS1_52radix_sort_onesweep_histogram_config_static_selectorELNS0_4arch9wavefront6targetE0EEEvSD_,"axG",@progbits,_ZN7rocprim17ROCPRIM_400000_NS6detail17trampoline_kernelINS0_14default_configENS1_35radix_sort_onesweep_config_selectorItNS0_10empty_typeEEEZNS1_34radix_sort_onesweep_global_offsetsIS3_Lb1EPKtPS5_mNS0_19identity_decomposerEEE10hipError_tT1_T2_PT3_SF_jT4_jjP12ihipStream_tbEUlT_E0_NS1_11comp_targetILNS1_3genE0ELNS1_11target_archE4294967295ELNS1_3gpuE0ELNS1_3repE0EEENS1_52radix_sort_onesweep_histogram_config_static_selectorELNS0_4arch9wavefront6targetE0EEEvSD_,comdat
.Lfunc_end2369:
	.size	_ZN7rocprim17ROCPRIM_400000_NS6detail17trampoline_kernelINS0_14default_configENS1_35radix_sort_onesweep_config_selectorItNS0_10empty_typeEEEZNS1_34radix_sort_onesweep_global_offsetsIS3_Lb1EPKtPS5_mNS0_19identity_decomposerEEE10hipError_tT1_T2_PT3_SF_jT4_jjP12ihipStream_tbEUlT_E0_NS1_11comp_targetILNS1_3genE0ELNS1_11target_archE4294967295ELNS1_3gpuE0ELNS1_3repE0EEENS1_52radix_sort_onesweep_histogram_config_static_selectorELNS0_4arch9wavefront6targetE0EEEvSD_, .Lfunc_end2369-_ZN7rocprim17ROCPRIM_400000_NS6detail17trampoline_kernelINS0_14default_configENS1_35radix_sort_onesweep_config_selectorItNS0_10empty_typeEEEZNS1_34radix_sort_onesweep_global_offsetsIS3_Lb1EPKtPS5_mNS0_19identity_decomposerEEE10hipError_tT1_T2_PT3_SF_jT4_jjP12ihipStream_tbEUlT_E0_NS1_11comp_targetILNS1_3genE0ELNS1_11target_archE4294967295ELNS1_3gpuE0ELNS1_3repE0EEENS1_52radix_sort_onesweep_histogram_config_static_selectorELNS0_4arch9wavefront6targetE0EEEvSD_
                                        ; -- End function
	.set _ZN7rocprim17ROCPRIM_400000_NS6detail17trampoline_kernelINS0_14default_configENS1_35radix_sort_onesweep_config_selectorItNS0_10empty_typeEEEZNS1_34radix_sort_onesweep_global_offsetsIS3_Lb1EPKtPS5_mNS0_19identity_decomposerEEE10hipError_tT1_T2_PT3_SF_jT4_jjP12ihipStream_tbEUlT_E0_NS1_11comp_targetILNS1_3genE0ELNS1_11target_archE4294967295ELNS1_3gpuE0ELNS1_3repE0EEENS1_52radix_sort_onesweep_histogram_config_static_selectorELNS0_4arch9wavefront6targetE0EEEvSD_.num_vgpr, 14
	.set _ZN7rocprim17ROCPRIM_400000_NS6detail17trampoline_kernelINS0_14default_configENS1_35radix_sort_onesweep_config_selectorItNS0_10empty_typeEEEZNS1_34radix_sort_onesweep_global_offsetsIS3_Lb1EPKtPS5_mNS0_19identity_decomposerEEE10hipError_tT1_T2_PT3_SF_jT4_jjP12ihipStream_tbEUlT_E0_NS1_11comp_targetILNS1_3genE0ELNS1_11target_archE4294967295ELNS1_3gpuE0ELNS1_3repE0EEENS1_52radix_sort_onesweep_histogram_config_static_selectorELNS0_4arch9wavefront6targetE0EEEvSD_.num_agpr, 0
	.set _ZN7rocprim17ROCPRIM_400000_NS6detail17trampoline_kernelINS0_14default_configENS1_35radix_sort_onesweep_config_selectorItNS0_10empty_typeEEEZNS1_34radix_sort_onesweep_global_offsetsIS3_Lb1EPKtPS5_mNS0_19identity_decomposerEEE10hipError_tT1_T2_PT3_SF_jT4_jjP12ihipStream_tbEUlT_E0_NS1_11comp_targetILNS1_3genE0ELNS1_11target_archE4294967295ELNS1_3gpuE0ELNS1_3repE0EEENS1_52radix_sort_onesweep_histogram_config_static_selectorELNS0_4arch9wavefront6targetE0EEEvSD_.numbered_sgpr, 8
	.set _ZN7rocprim17ROCPRIM_400000_NS6detail17trampoline_kernelINS0_14default_configENS1_35radix_sort_onesweep_config_selectorItNS0_10empty_typeEEEZNS1_34radix_sort_onesweep_global_offsetsIS3_Lb1EPKtPS5_mNS0_19identity_decomposerEEE10hipError_tT1_T2_PT3_SF_jT4_jjP12ihipStream_tbEUlT_E0_NS1_11comp_targetILNS1_3genE0ELNS1_11target_archE4294967295ELNS1_3gpuE0ELNS1_3repE0EEENS1_52radix_sort_onesweep_histogram_config_static_selectorELNS0_4arch9wavefront6targetE0EEEvSD_.num_named_barrier, 0
	.set _ZN7rocprim17ROCPRIM_400000_NS6detail17trampoline_kernelINS0_14default_configENS1_35radix_sort_onesweep_config_selectorItNS0_10empty_typeEEEZNS1_34radix_sort_onesweep_global_offsetsIS3_Lb1EPKtPS5_mNS0_19identity_decomposerEEE10hipError_tT1_T2_PT3_SF_jT4_jjP12ihipStream_tbEUlT_E0_NS1_11comp_targetILNS1_3genE0ELNS1_11target_archE4294967295ELNS1_3gpuE0ELNS1_3repE0EEENS1_52radix_sort_onesweep_histogram_config_static_selectorELNS0_4arch9wavefront6targetE0EEEvSD_.private_seg_size, 0
	.set _ZN7rocprim17ROCPRIM_400000_NS6detail17trampoline_kernelINS0_14default_configENS1_35radix_sort_onesweep_config_selectorItNS0_10empty_typeEEEZNS1_34radix_sort_onesweep_global_offsetsIS3_Lb1EPKtPS5_mNS0_19identity_decomposerEEE10hipError_tT1_T2_PT3_SF_jT4_jjP12ihipStream_tbEUlT_E0_NS1_11comp_targetILNS1_3genE0ELNS1_11target_archE4294967295ELNS1_3gpuE0ELNS1_3repE0EEENS1_52radix_sort_onesweep_histogram_config_static_selectorELNS0_4arch9wavefront6targetE0EEEvSD_.uses_vcc, 1
	.set _ZN7rocprim17ROCPRIM_400000_NS6detail17trampoline_kernelINS0_14default_configENS1_35radix_sort_onesweep_config_selectorItNS0_10empty_typeEEEZNS1_34radix_sort_onesweep_global_offsetsIS3_Lb1EPKtPS5_mNS0_19identity_decomposerEEE10hipError_tT1_T2_PT3_SF_jT4_jjP12ihipStream_tbEUlT_E0_NS1_11comp_targetILNS1_3genE0ELNS1_11target_archE4294967295ELNS1_3gpuE0ELNS1_3repE0EEENS1_52radix_sort_onesweep_histogram_config_static_selectorELNS0_4arch9wavefront6targetE0EEEvSD_.uses_flat_scratch, 0
	.set _ZN7rocprim17ROCPRIM_400000_NS6detail17trampoline_kernelINS0_14default_configENS1_35radix_sort_onesweep_config_selectorItNS0_10empty_typeEEEZNS1_34radix_sort_onesweep_global_offsetsIS3_Lb1EPKtPS5_mNS0_19identity_decomposerEEE10hipError_tT1_T2_PT3_SF_jT4_jjP12ihipStream_tbEUlT_E0_NS1_11comp_targetILNS1_3genE0ELNS1_11target_archE4294967295ELNS1_3gpuE0ELNS1_3repE0EEENS1_52radix_sort_onesweep_histogram_config_static_selectorELNS0_4arch9wavefront6targetE0EEEvSD_.has_dyn_sized_stack, 0
	.set _ZN7rocprim17ROCPRIM_400000_NS6detail17trampoline_kernelINS0_14default_configENS1_35radix_sort_onesweep_config_selectorItNS0_10empty_typeEEEZNS1_34radix_sort_onesweep_global_offsetsIS3_Lb1EPKtPS5_mNS0_19identity_decomposerEEE10hipError_tT1_T2_PT3_SF_jT4_jjP12ihipStream_tbEUlT_E0_NS1_11comp_targetILNS1_3genE0ELNS1_11target_archE4294967295ELNS1_3gpuE0ELNS1_3repE0EEENS1_52radix_sort_onesweep_histogram_config_static_selectorELNS0_4arch9wavefront6targetE0EEEvSD_.has_recursion, 0
	.set _ZN7rocprim17ROCPRIM_400000_NS6detail17trampoline_kernelINS0_14default_configENS1_35radix_sort_onesweep_config_selectorItNS0_10empty_typeEEEZNS1_34radix_sort_onesweep_global_offsetsIS3_Lb1EPKtPS5_mNS0_19identity_decomposerEEE10hipError_tT1_T2_PT3_SF_jT4_jjP12ihipStream_tbEUlT_E0_NS1_11comp_targetILNS1_3genE0ELNS1_11target_archE4294967295ELNS1_3gpuE0ELNS1_3repE0EEENS1_52radix_sort_onesweep_histogram_config_static_selectorELNS0_4arch9wavefront6targetE0EEEvSD_.has_indirect_call, 0
	.section	.AMDGPU.csdata,"",@progbits
; Kernel info:
; codeLenInByte = 896
; TotalNumSgprs: 10
; NumVgprs: 14
; ScratchSize: 0
; MemoryBound: 0
; FloatMode: 240
; IeeeMode: 1
; LDSByteSize: 128 bytes/workgroup (compile time only)
; SGPRBlocks: 0
; VGPRBlocks: 0
; NumSGPRsForWavesPerEU: 10
; NumVGPRsForWavesPerEU: 14
; NamedBarCnt: 0
; Occupancy: 16
; WaveLimiterHint : 0
; COMPUTE_PGM_RSRC2:SCRATCH_EN: 0
; COMPUTE_PGM_RSRC2:USER_SGPR: 2
; COMPUTE_PGM_RSRC2:TRAP_HANDLER: 0
; COMPUTE_PGM_RSRC2:TGID_X_EN: 1
; COMPUTE_PGM_RSRC2:TGID_Y_EN: 0
; COMPUTE_PGM_RSRC2:TGID_Z_EN: 0
; COMPUTE_PGM_RSRC2:TIDIG_COMP_CNT: 0
	.section	.text._ZN7rocprim17ROCPRIM_400000_NS6detail17trampoline_kernelINS0_14default_configENS1_35radix_sort_onesweep_config_selectorItNS0_10empty_typeEEEZNS1_34radix_sort_onesweep_global_offsetsIS3_Lb1EPKtPS5_mNS0_19identity_decomposerEEE10hipError_tT1_T2_PT3_SF_jT4_jjP12ihipStream_tbEUlT_E0_NS1_11comp_targetILNS1_3genE6ELNS1_11target_archE950ELNS1_3gpuE13ELNS1_3repE0EEENS1_52radix_sort_onesweep_histogram_config_static_selectorELNS0_4arch9wavefront6targetE0EEEvSD_,"axG",@progbits,_ZN7rocprim17ROCPRIM_400000_NS6detail17trampoline_kernelINS0_14default_configENS1_35radix_sort_onesweep_config_selectorItNS0_10empty_typeEEEZNS1_34radix_sort_onesweep_global_offsetsIS3_Lb1EPKtPS5_mNS0_19identity_decomposerEEE10hipError_tT1_T2_PT3_SF_jT4_jjP12ihipStream_tbEUlT_E0_NS1_11comp_targetILNS1_3genE6ELNS1_11target_archE950ELNS1_3gpuE13ELNS1_3repE0EEENS1_52radix_sort_onesweep_histogram_config_static_selectorELNS0_4arch9wavefront6targetE0EEEvSD_,comdat
	.protected	_ZN7rocprim17ROCPRIM_400000_NS6detail17trampoline_kernelINS0_14default_configENS1_35radix_sort_onesweep_config_selectorItNS0_10empty_typeEEEZNS1_34radix_sort_onesweep_global_offsetsIS3_Lb1EPKtPS5_mNS0_19identity_decomposerEEE10hipError_tT1_T2_PT3_SF_jT4_jjP12ihipStream_tbEUlT_E0_NS1_11comp_targetILNS1_3genE6ELNS1_11target_archE950ELNS1_3gpuE13ELNS1_3repE0EEENS1_52radix_sort_onesweep_histogram_config_static_selectorELNS0_4arch9wavefront6targetE0EEEvSD_ ; -- Begin function _ZN7rocprim17ROCPRIM_400000_NS6detail17trampoline_kernelINS0_14default_configENS1_35radix_sort_onesweep_config_selectorItNS0_10empty_typeEEEZNS1_34radix_sort_onesweep_global_offsetsIS3_Lb1EPKtPS5_mNS0_19identity_decomposerEEE10hipError_tT1_T2_PT3_SF_jT4_jjP12ihipStream_tbEUlT_E0_NS1_11comp_targetILNS1_3genE6ELNS1_11target_archE950ELNS1_3gpuE13ELNS1_3repE0EEENS1_52radix_sort_onesweep_histogram_config_static_selectorELNS0_4arch9wavefront6targetE0EEEvSD_
	.globl	_ZN7rocprim17ROCPRIM_400000_NS6detail17trampoline_kernelINS0_14default_configENS1_35radix_sort_onesweep_config_selectorItNS0_10empty_typeEEEZNS1_34radix_sort_onesweep_global_offsetsIS3_Lb1EPKtPS5_mNS0_19identity_decomposerEEE10hipError_tT1_T2_PT3_SF_jT4_jjP12ihipStream_tbEUlT_E0_NS1_11comp_targetILNS1_3genE6ELNS1_11target_archE950ELNS1_3gpuE13ELNS1_3repE0EEENS1_52radix_sort_onesweep_histogram_config_static_selectorELNS0_4arch9wavefront6targetE0EEEvSD_
	.p2align	8
	.type	_ZN7rocprim17ROCPRIM_400000_NS6detail17trampoline_kernelINS0_14default_configENS1_35radix_sort_onesweep_config_selectorItNS0_10empty_typeEEEZNS1_34radix_sort_onesweep_global_offsetsIS3_Lb1EPKtPS5_mNS0_19identity_decomposerEEE10hipError_tT1_T2_PT3_SF_jT4_jjP12ihipStream_tbEUlT_E0_NS1_11comp_targetILNS1_3genE6ELNS1_11target_archE950ELNS1_3gpuE13ELNS1_3repE0EEENS1_52radix_sort_onesweep_histogram_config_static_selectorELNS0_4arch9wavefront6targetE0EEEvSD_,@function
_ZN7rocprim17ROCPRIM_400000_NS6detail17trampoline_kernelINS0_14default_configENS1_35radix_sort_onesweep_config_selectorItNS0_10empty_typeEEEZNS1_34radix_sort_onesweep_global_offsetsIS3_Lb1EPKtPS5_mNS0_19identity_decomposerEEE10hipError_tT1_T2_PT3_SF_jT4_jjP12ihipStream_tbEUlT_E0_NS1_11comp_targetILNS1_3genE6ELNS1_11target_archE950ELNS1_3gpuE13ELNS1_3repE0EEENS1_52radix_sort_onesweep_histogram_config_static_selectorELNS0_4arch9wavefront6targetE0EEEvSD_: ; @_ZN7rocprim17ROCPRIM_400000_NS6detail17trampoline_kernelINS0_14default_configENS1_35radix_sort_onesweep_config_selectorItNS0_10empty_typeEEEZNS1_34radix_sort_onesweep_global_offsetsIS3_Lb1EPKtPS5_mNS0_19identity_decomposerEEE10hipError_tT1_T2_PT3_SF_jT4_jjP12ihipStream_tbEUlT_E0_NS1_11comp_targetILNS1_3genE6ELNS1_11target_archE950ELNS1_3gpuE13ELNS1_3repE0EEENS1_52radix_sort_onesweep_histogram_config_static_selectorELNS0_4arch9wavefront6targetE0EEEvSD_
; %bb.0:
	.section	.rodata,"a",@progbits
	.p2align	6, 0x0
	.amdhsa_kernel _ZN7rocprim17ROCPRIM_400000_NS6detail17trampoline_kernelINS0_14default_configENS1_35radix_sort_onesweep_config_selectorItNS0_10empty_typeEEEZNS1_34radix_sort_onesweep_global_offsetsIS3_Lb1EPKtPS5_mNS0_19identity_decomposerEEE10hipError_tT1_T2_PT3_SF_jT4_jjP12ihipStream_tbEUlT_E0_NS1_11comp_targetILNS1_3genE6ELNS1_11target_archE950ELNS1_3gpuE13ELNS1_3repE0EEENS1_52radix_sort_onesweep_histogram_config_static_selectorELNS0_4arch9wavefront6targetE0EEEvSD_
		.amdhsa_group_segment_fixed_size 0
		.amdhsa_private_segment_fixed_size 0
		.amdhsa_kernarg_size 8
		.amdhsa_user_sgpr_count 2
		.amdhsa_user_sgpr_dispatch_ptr 0
		.amdhsa_user_sgpr_queue_ptr 0
		.amdhsa_user_sgpr_kernarg_segment_ptr 1
		.amdhsa_user_sgpr_dispatch_id 0
		.amdhsa_user_sgpr_kernarg_preload_length 0
		.amdhsa_user_sgpr_kernarg_preload_offset 0
		.amdhsa_user_sgpr_private_segment_size 0
		.amdhsa_wavefront_size32 1
		.amdhsa_uses_dynamic_stack 0
		.amdhsa_enable_private_segment 0
		.amdhsa_system_sgpr_workgroup_id_x 1
		.amdhsa_system_sgpr_workgroup_id_y 0
		.amdhsa_system_sgpr_workgroup_id_z 0
		.amdhsa_system_sgpr_workgroup_info 0
		.amdhsa_system_vgpr_workitem_id 0
		.amdhsa_next_free_vgpr 1
		.amdhsa_next_free_sgpr 1
		.amdhsa_named_barrier_count 0
		.amdhsa_reserve_vcc 0
		.amdhsa_float_round_mode_32 0
		.amdhsa_float_round_mode_16_64 0
		.amdhsa_float_denorm_mode_32 3
		.amdhsa_float_denorm_mode_16_64 3
		.amdhsa_fp16_overflow 0
		.amdhsa_memory_ordered 1
		.amdhsa_forward_progress 1
		.amdhsa_inst_pref_size 0
		.amdhsa_round_robin_scheduling 0
		.amdhsa_exception_fp_ieee_invalid_op 0
		.amdhsa_exception_fp_denorm_src 0
		.amdhsa_exception_fp_ieee_div_zero 0
		.amdhsa_exception_fp_ieee_overflow 0
		.amdhsa_exception_fp_ieee_underflow 0
		.amdhsa_exception_fp_ieee_inexact 0
		.amdhsa_exception_int_div_zero 0
	.end_amdhsa_kernel
	.section	.text._ZN7rocprim17ROCPRIM_400000_NS6detail17trampoline_kernelINS0_14default_configENS1_35radix_sort_onesweep_config_selectorItNS0_10empty_typeEEEZNS1_34radix_sort_onesweep_global_offsetsIS3_Lb1EPKtPS5_mNS0_19identity_decomposerEEE10hipError_tT1_T2_PT3_SF_jT4_jjP12ihipStream_tbEUlT_E0_NS1_11comp_targetILNS1_3genE6ELNS1_11target_archE950ELNS1_3gpuE13ELNS1_3repE0EEENS1_52radix_sort_onesweep_histogram_config_static_selectorELNS0_4arch9wavefront6targetE0EEEvSD_,"axG",@progbits,_ZN7rocprim17ROCPRIM_400000_NS6detail17trampoline_kernelINS0_14default_configENS1_35radix_sort_onesweep_config_selectorItNS0_10empty_typeEEEZNS1_34radix_sort_onesweep_global_offsetsIS3_Lb1EPKtPS5_mNS0_19identity_decomposerEEE10hipError_tT1_T2_PT3_SF_jT4_jjP12ihipStream_tbEUlT_E0_NS1_11comp_targetILNS1_3genE6ELNS1_11target_archE950ELNS1_3gpuE13ELNS1_3repE0EEENS1_52radix_sort_onesweep_histogram_config_static_selectorELNS0_4arch9wavefront6targetE0EEEvSD_,comdat
.Lfunc_end2370:
	.size	_ZN7rocprim17ROCPRIM_400000_NS6detail17trampoline_kernelINS0_14default_configENS1_35radix_sort_onesweep_config_selectorItNS0_10empty_typeEEEZNS1_34radix_sort_onesweep_global_offsetsIS3_Lb1EPKtPS5_mNS0_19identity_decomposerEEE10hipError_tT1_T2_PT3_SF_jT4_jjP12ihipStream_tbEUlT_E0_NS1_11comp_targetILNS1_3genE6ELNS1_11target_archE950ELNS1_3gpuE13ELNS1_3repE0EEENS1_52radix_sort_onesweep_histogram_config_static_selectorELNS0_4arch9wavefront6targetE0EEEvSD_, .Lfunc_end2370-_ZN7rocprim17ROCPRIM_400000_NS6detail17trampoline_kernelINS0_14default_configENS1_35radix_sort_onesweep_config_selectorItNS0_10empty_typeEEEZNS1_34radix_sort_onesweep_global_offsetsIS3_Lb1EPKtPS5_mNS0_19identity_decomposerEEE10hipError_tT1_T2_PT3_SF_jT4_jjP12ihipStream_tbEUlT_E0_NS1_11comp_targetILNS1_3genE6ELNS1_11target_archE950ELNS1_3gpuE13ELNS1_3repE0EEENS1_52radix_sort_onesweep_histogram_config_static_selectorELNS0_4arch9wavefront6targetE0EEEvSD_
                                        ; -- End function
	.set _ZN7rocprim17ROCPRIM_400000_NS6detail17trampoline_kernelINS0_14default_configENS1_35radix_sort_onesweep_config_selectorItNS0_10empty_typeEEEZNS1_34radix_sort_onesweep_global_offsetsIS3_Lb1EPKtPS5_mNS0_19identity_decomposerEEE10hipError_tT1_T2_PT3_SF_jT4_jjP12ihipStream_tbEUlT_E0_NS1_11comp_targetILNS1_3genE6ELNS1_11target_archE950ELNS1_3gpuE13ELNS1_3repE0EEENS1_52radix_sort_onesweep_histogram_config_static_selectorELNS0_4arch9wavefront6targetE0EEEvSD_.num_vgpr, 0
	.set _ZN7rocprim17ROCPRIM_400000_NS6detail17trampoline_kernelINS0_14default_configENS1_35radix_sort_onesweep_config_selectorItNS0_10empty_typeEEEZNS1_34radix_sort_onesweep_global_offsetsIS3_Lb1EPKtPS5_mNS0_19identity_decomposerEEE10hipError_tT1_T2_PT3_SF_jT4_jjP12ihipStream_tbEUlT_E0_NS1_11comp_targetILNS1_3genE6ELNS1_11target_archE950ELNS1_3gpuE13ELNS1_3repE0EEENS1_52radix_sort_onesweep_histogram_config_static_selectorELNS0_4arch9wavefront6targetE0EEEvSD_.num_agpr, 0
	.set _ZN7rocprim17ROCPRIM_400000_NS6detail17trampoline_kernelINS0_14default_configENS1_35radix_sort_onesweep_config_selectorItNS0_10empty_typeEEEZNS1_34radix_sort_onesweep_global_offsetsIS3_Lb1EPKtPS5_mNS0_19identity_decomposerEEE10hipError_tT1_T2_PT3_SF_jT4_jjP12ihipStream_tbEUlT_E0_NS1_11comp_targetILNS1_3genE6ELNS1_11target_archE950ELNS1_3gpuE13ELNS1_3repE0EEENS1_52radix_sort_onesweep_histogram_config_static_selectorELNS0_4arch9wavefront6targetE0EEEvSD_.numbered_sgpr, 0
	.set _ZN7rocprim17ROCPRIM_400000_NS6detail17trampoline_kernelINS0_14default_configENS1_35radix_sort_onesweep_config_selectorItNS0_10empty_typeEEEZNS1_34radix_sort_onesweep_global_offsetsIS3_Lb1EPKtPS5_mNS0_19identity_decomposerEEE10hipError_tT1_T2_PT3_SF_jT4_jjP12ihipStream_tbEUlT_E0_NS1_11comp_targetILNS1_3genE6ELNS1_11target_archE950ELNS1_3gpuE13ELNS1_3repE0EEENS1_52radix_sort_onesweep_histogram_config_static_selectorELNS0_4arch9wavefront6targetE0EEEvSD_.num_named_barrier, 0
	.set _ZN7rocprim17ROCPRIM_400000_NS6detail17trampoline_kernelINS0_14default_configENS1_35radix_sort_onesweep_config_selectorItNS0_10empty_typeEEEZNS1_34radix_sort_onesweep_global_offsetsIS3_Lb1EPKtPS5_mNS0_19identity_decomposerEEE10hipError_tT1_T2_PT3_SF_jT4_jjP12ihipStream_tbEUlT_E0_NS1_11comp_targetILNS1_3genE6ELNS1_11target_archE950ELNS1_3gpuE13ELNS1_3repE0EEENS1_52radix_sort_onesweep_histogram_config_static_selectorELNS0_4arch9wavefront6targetE0EEEvSD_.private_seg_size, 0
	.set _ZN7rocprim17ROCPRIM_400000_NS6detail17trampoline_kernelINS0_14default_configENS1_35radix_sort_onesweep_config_selectorItNS0_10empty_typeEEEZNS1_34radix_sort_onesweep_global_offsetsIS3_Lb1EPKtPS5_mNS0_19identity_decomposerEEE10hipError_tT1_T2_PT3_SF_jT4_jjP12ihipStream_tbEUlT_E0_NS1_11comp_targetILNS1_3genE6ELNS1_11target_archE950ELNS1_3gpuE13ELNS1_3repE0EEENS1_52radix_sort_onesweep_histogram_config_static_selectorELNS0_4arch9wavefront6targetE0EEEvSD_.uses_vcc, 0
	.set _ZN7rocprim17ROCPRIM_400000_NS6detail17trampoline_kernelINS0_14default_configENS1_35radix_sort_onesweep_config_selectorItNS0_10empty_typeEEEZNS1_34radix_sort_onesweep_global_offsetsIS3_Lb1EPKtPS5_mNS0_19identity_decomposerEEE10hipError_tT1_T2_PT3_SF_jT4_jjP12ihipStream_tbEUlT_E0_NS1_11comp_targetILNS1_3genE6ELNS1_11target_archE950ELNS1_3gpuE13ELNS1_3repE0EEENS1_52radix_sort_onesweep_histogram_config_static_selectorELNS0_4arch9wavefront6targetE0EEEvSD_.uses_flat_scratch, 0
	.set _ZN7rocprim17ROCPRIM_400000_NS6detail17trampoline_kernelINS0_14default_configENS1_35radix_sort_onesweep_config_selectorItNS0_10empty_typeEEEZNS1_34radix_sort_onesweep_global_offsetsIS3_Lb1EPKtPS5_mNS0_19identity_decomposerEEE10hipError_tT1_T2_PT3_SF_jT4_jjP12ihipStream_tbEUlT_E0_NS1_11comp_targetILNS1_3genE6ELNS1_11target_archE950ELNS1_3gpuE13ELNS1_3repE0EEENS1_52radix_sort_onesweep_histogram_config_static_selectorELNS0_4arch9wavefront6targetE0EEEvSD_.has_dyn_sized_stack, 0
	.set _ZN7rocprim17ROCPRIM_400000_NS6detail17trampoline_kernelINS0_14default_configENS1_35radix_sort_onesweep_config_selectorItNS0_10empty_typeEEEZNS1_34radix_sort_onesweep_global_offsetsIS3_Lb1EPKtPS5_mNS0_19identity_decomposerEEE10hipError_tT1_T2_PT3_SF_jT4_jjP12ihipStream_tbEUlT_E0_NS1_11comp_targetILNS1_3genE6ELNS1_11target_archE950ELNS1_3gpuE13ELNS1_3repE0EEENS1_52radix_sort_onesweep_histogram_config_static_selectorELNS0_4arch9wavefront6targetE0EEEvSD_.has_recursion, 0
	.set _ZN7rocprim17ROCPRIM_400000_NS6detail17trampoline_kernelINS0_14default_configENS1_35radix_sort_onesweep_config_selectorItNS0_10empty_typeEEEZNS1_34radix_sort_onesweep_global_offsetsIS3_Lb1EPKtPS5_mNS0_19identity_decomposerEEE10hipError_tT1_T2_PT3_SF_jT4_jjP12ihipStream_tbEUlT_E0_NS1_11comp_targetILNS1_3genE6ELNS1_11target_archE950ELNS1_3gpuE13ELNS1_3repE0EEENS1_52radix_sort_onesweep_histogram_config_static_selectorELNS0_4arch9wavefront6targetE0EEEvSD_.has_indirect_call, 0
	.section	.AMDGPU.csdata,"",@progbits
; Kernel info:
; codeLenInByte = 0
; TotalNumSgprs: 0
; NumVgprs: 0
; ScratchSize: 0
; MemoryBound: 0
; FloatMode: 240
; IeeeMode: 1
; LDSByteSize: 0 bytes/workgroup (compile time only)
; SGPRBlocks: 0
; VGPRBlocks: 0
; NumSGPRsForWavesPerEU: 1
; NumVGPRsForWavesPerEU: 1
; NamedBarCnt: 0
; Occupancy: 16
; WaveLimiterHint : 0
; COMPUTE_PGM_RSRC2:SCRATCH_EN: 0
; COMPUTE_PGM_RSRC2:USER_SGPR: 2
; COMPUTE_PGM_RSRC2:TRAP_HANDLER: 0
; COMPUTE_PGM_RSRC2:TGID_X_EN: 1
; COMPUTE_PGM_RSRC2:TGID_Y_EN: 0
; COMPUTE_PGM_RSRC2:TGID_Z_EN: 0
; COMPUTE_PGM_RSRC2:TIDIG_COMP_CNT: 0
	.section	.text._ZN7rocprim17ROCPRIM_400000_NS6detail17trampoline_kernelINS0_14default_configENS1_35radix_sort_onesweep_config_selectorItNS0_10empty_typeEEEZNS1_34radix_sort_onesweep_global_offsetsIS3_Lb1EPKtPS5_mNS0_19identity_decomposerEEE10hipError_tT1_T2_PT3_SF_jT4_jjP12ihipStream_tbEUlT_E0_NS1_11comp_targetILNS1_3genE5ELNS1_11target_archE942ELNS1_3gpuE9ELNS1_3repE0EEENS1_52radix_sort_onesweep_histogram_config_static_selectorELNS0_4arch9wavefront6targetE0EEEvSD_,"axG",@progbits,_ZN7rocprim17ROCPRIM_400000_NS6detail17trampoline_kernelINS0_14default_configENS1_35radix_sort_onesweep_config_selectorItNS0_10empty_typeEEEZNS1_34radix_sort_onesweep_global_offsetsIS3_Lb1EPKtPS5_mNS0_19identity_decomposerEEE10hipError_tT1_T2_PT3_SF_jT4_jjP12ihipStream_tbEUlT_E0_NS1_11comp_targetILNS1_3genE5ELNS1_11target_archE942ELNS1_3gpuE9ELNS1_3repE0EEENS1_52radix_sort_onesweep_histogram_config_static_selectorELNS0_4arch9wavefront6targetE0EEEvSD_,comdat
	.protected	_ZN7rocprim17ROCPRIM_400000_NS6detail17trampoline_kernelINS0_14default_configENS1_35radix_sort_onesweep_config_selectorItNS0_10empty_typeEEEZNS1_34radix_sort_onesweep_global_offsetsIS3_Lb1EPKtPS5_mNS0_19identity_decomposerEEE10hipError_tT1_T2_PT3_SF_jT4_jjP12ihipStream_tbEUlT_E0_NS1_11comp_targetILNS1_3genE5ELNS1_11target_archE942ELNS1_3gpuE9ELNS1_3repE0EEENS1_52radix_sort_onesweep_histogram_config_static_selectorELNS0_4arch9wavefront6targetE0EEEvSD_ ; -- Begin function _ZN7rocprim17ROCPRIM_400000_NS6detail17trampoline_kernelINS0_14default_configENS1_35radix_sort_onesweep_config_selectorItNS0_10empty_typeEEEZNS1_34radix_sort_onesweep_global_offsetsIS3_Lb1EPKtPS5_mNS0_19identity_decomposerEEE10hipError_tT1_T2_PT3_SF_jT4_jjP12ihipStream_tbEUlT_E0_NS1_11comp_targetILNS1_3genE5ELNS1_11target_archE942ELNS1_3gpuE9ELNS1_3repE0EEENS1_52radix_sort_onesweep_histogram_config_static_selectorELNS0_4arch9wavefront6targetE0EEEvSD_
	.globl	_ZN7rocprim17ROCPRIM_400000_NS6detail17trampoline_kernelINS0_14default_configENS1_35radix_sort_onesweep_config_selectorItNS0_10empty_typeEEEZNS1_34radix_sort_onesweep_global_offsetsIS3_Lb1EPKtPS5_mNS0_19identity_decomposerEEE10hipError_tT1_T2_PT3_SF_jT4_jjP12ihipStream_tbEUlT_E0_NS1_11comp_targetILNS1_3genE5ELNS1_11target_archE942ELNS1_3gpuE9ELNS1_3repE0EEENS1_52radix_sort_onesweep_histogram_config_static_selectorELNS0_4arch9wavefront6targetE0EEEvSD_
	.p2align	8
	.type	_ZN7rocprim17ROCPRIM_400000_NS6detail17trampoline_kernelINS0_14default_configENS1_35radix_sort_onesweep_config_selectorItNS0_10empty_typeEEEZNS1_34radix_sort_onesweep_global_offsetsIS3_Lb1EPKtPS5_mNS0_19identity_decomposerEEE10hipError_tT1_T2_PT3_SF_jT4_jjP12ihipStream_tbEUlT_E0_NS1_11comp_targetILNS1_3genE5ELNS1_11target_archE942ELNS1_3gpuE9ELNS1_3repE0EEENS1_52radix_sort_onesweep_histogram_config_static_selectorELNS0_4arch9wavefront6targetE0EEEvSD_,@function
_ZN7rocprim17ROCPRIM_400000_NS6detail17trampoline_kernelINS0_14default_configENS1_35radix_sort_onesweep_config_selectorItNS0_10empty_typeEEEZNS1_34radix_sort_onesweep_global_offsetsIS3_Lb1EPKtPS5_mNS0_19identity_decomposerEEE10hipError_tT1_T2_PT3_SF_jT4_jjP12ihipStream_tbEUlT_E0_NS1_11comp_targetILNS1_3genE5ELNS1_11target_archE942ELNS1_3gpuE9ELNS1_3repE0EEENS1_52radix_sort_onesweep_histogram_config_static_selectorELNS0_4arch9wavefront6targetE0EEEvSD_: ; @_ZN7rocprim17ROCPRIM_400000_NS6detail17trampoline_kernelINS0_14default_configENS1_35radix_sort_onesweep_config_selectorItNS0_10empty_typeEEEZNS1_34radix_sort_onesweep_global_offsetsIS3_Lb1EPKtPS5_mNS0_19identity_decomposerEEE10hipError_tT1_T2_PT3_SF_jT4_jjP12ihipStream_tbEUlT_E0_NS1_11comp_targetILNS1_3genE5ELNS1_11target_archE942ELNS1_3gpuE9ELNS1_3repE0EEENS1_52radix_sort_onesweep_histogram_config_static_selectorELNS0_4arch9wavefront6targetE0EEEvSD_
; %bb.0:
	.section	.rodata,"a",@progbits
	.p2align	6, 0x0
	.amdhsa_kernel _ZN7rocprim17ROCPRIM_400000_NS6detail17trampoline_kernelINS0_14default_configENS1_35radix_sort_onesweep_config_selectorItNS0_10empty_typeEEEZNS1_34radix_sort_onesweep_global_offsetsIS3_Lb1EPKtPS5_mNS0_19identity_decomposerEEE10hipError_tT1_T2_PT3_SF_jT4_jjP12ihipStream_tbEUlT_E0_NS1_11comp_targetILNS1_3genE5ELNS1_11target_archE942ELNS1_3gpuE9ELNS1_3repE0EEENS1_52radix_sort_onesweep_histogram_config_static_selectorELNS0_4arch9wavefront6targetE0EEEvSD_
		.amdhsa_group_segment_fixed_size 0
		.amdhsa_private_segment_fixed_size 0
		.amdhsa_kernarg_size 8
		.amdhsa_user_sgpr_count 2
		.amdhsa_user_sgpr_dispatch_ptr 0
		.amdhsa_user_sgpr_queue_ptr 0
		.amdhsa_user_sgpr_kernarg_segment_ptr 1
		.amdhsa_user_sgpr_dispatch_id 0
		.amdhsa_user_sgpr_kernarg_preload_length 0
		.amdhsa_user_sgpr_kernarg_preload_offset 0
		.amdhsa_user_sgpr_private_segment_size 0
		.amdhsa_wavefront_size32 1
		.amdhsa_uses_dynamic_stack 0
		.amdhsa_enable_private_segment 0
		.amdhsa_system_sgpr_workgroup_id_x 1
		.amdhsa_system_sgpr_workgroup_id_y 0
		.amdhsa_system_sgpr_workgroup_id_z 0
		.amdhsa_system_sgpr_workgroup_info 0
		.amdhsa_system_vgpr_workitem_id 0
		.amdhsa_next_free_vgpr 1
		.amdhsa_next_free_sgpr 1
		.amdhsa_named_barrier_count 0
		.amdhsa_reserve_vcc 0
		.amdhsa_float_round_mode_32 0
		.amdhsa_float_round_mode_16_64 0
		.amdhsa_float_denorm_mode_32 3
		.amdhsa_float_denorm_mode_16_64 3
		.amdhsa_fp16_overflow 0
		.amdhsa_memory_ordered 1
		.amdhsa_forward_progress 1
		.amdhsa_inst_pref_size 0
		.amdhsa_round_robin_scheduling 0
		.amdhsa_exception_fp_ieee_invalid_op 0
		.amdhsa_exception_fp_denorm_src 0
		.amdhsa_exception_fp_ieee_div_zero 0
		.amdhsa_exception_fp_ieee_overflow 0
		.amdhsa_exception_fp_ieee_underflow 0
		.amdhsa_exception_fp_ieee_inexact 0
		.amdhsa_exception_int_div_zero 0
	.end_amdhsa_kernel
	.section	.text._ZN7rocprim17ROCPRIM_400000_NS6detail17trampoline_kernelINS0_14default_configENS1_35radix_sort_onesweep_config_selectorItNS0_10empty_typeEEEZNS1_34radix_sort_onesweep_global_offsetsIS3_Lb1EPKtPS5_mNS0_19identity_decomposerEEE10hipError_tT1_T2_PT3_SF_jT4_jjP12ihipStream_tbEUlT_E0_NS1_11comp_targetILNS1_3genE5ELNS1_11target_archE942ELNS1_3gpuE9ELNS1_3repE0EEENS1_52radix_sort_onesweep_histogram_config_static_selectorELNS0_4arch9wavefront6targetE0EEEvSD_,"axG",@progbits,_ZN7rocprim17ROCPRIM_400000_NS6detail17trampoline_kernelINS0_14default_configENS1_35radix_sort_onesweep_config_selectorItNS0_10empty_typeEEEZNS1_34radix_sort_onesweep_global_offsetsIS3_Lb1EPKtPS5_mNS0_19identity_decomposerEEE10hipError_tT1_T2_PT3_SF_jT4_jjP12ihipStream_tbEUlT_E0_NS1_11comp_targetILNS1_3genE5ELNS1_11target_archE942ELNS1_3gpuE9ELNS1_3repE0EEENS1_52radix_sort_onesweep_histogram_config_static_selectorELNS0_4arch9wavefront6targetE0EEEvSD_,comdat
.Lfunc_end2371:
	.size	_ZN7rocprim17ROCPRIM_400000_NS6detail17trampoline_kernelINS0_14default_configENS1_35radix_sort_onesweep_config_selectorItNS0_10empty_typeEEEZNS1_34radix_sort_onesweep_global_offsetsIS3_Lb1EPKtPS5_mNS0_19identity_decomposerEEE10hipError_tT1_T2_PT3_SF_jT4_jjP12ihipStream_tbEUlT_E0_NS1_11comp_targetILNS1_3genE5ELNS1_11target_archE942ELNS1_3gpuE9ELNS1_3repE0EEENS1_52radix_sort_onesweep_histogram_config_static_selectorELNS0_4arch9wavefront6targetE0EEEvSD_, .Lfunc_end2371-_ZN7rocprim17ROCPRIM_400000_NS6detail17trampoline_kernelINS0_14default_configENS1_35radix_sort_onesweep_config_selectorItNS0_10empty_typeEEEZNS1_34radix_sort_onesweep_global_offsetsIS3_Lb1EPKtPS5_mNS0_19identity_decomposerEEE10hipError_tT1_T2_PT3_SF_jT4_jjP12ihipStream_tbEUlT_E0_NS1_11comp_targetILNS1_3genE5ELNS1_11target_archE942ELNS1_3gpuE9ELNS1_3repE0EEENS1_52radix_sort_onesweep_histogram_config_static_selectorELNS0_4arch9wavefront6targetE0EEEvSD_
                                        ; -- End function
	.set _ZN7rocprim17ROCPRIM_400000_NS6detail17trampoline_kernelINS0_14default_configENS1_35radix_sort_onesweep_config_selectorItNS0_10empty_typeEEEZNS1_34radix_sort_onesweep_global_offsetsIS3_Lb1EPKtPS5_mNS0_19identity_decomposerEEE10hipError_tT1_T2_PT3_SF_jT4_jjP12ihipStream_tbEUlT_E0_NS1_11comp_targetILNS1_3genE5ELNS1_11target_archE942ELNS1_3gpuE9ELNS1_3repE0EEENS1_52radix_sort_onesweep_histogram_config_static_selectorELNS0_4arch9wavefront6targetE0EEEvSD_.num_vgpr, 0
	.set _ZN7rocprim17ROCPRIM_400000_NS6detail17trampoline_kernelINS0_14default_configENS1_35radix_sort_onesweep_config_selectorItNS0_10empty_typeEEEZNS1_34radix_sort_onesweep_global_offsetsIS3_Lb1EPKtPS5_mNS0_19identity_decomposerEEE10hipError_tT1_T2_PT3_SF_jT4_jjP12ihipStream_tbEUlT_E0_NS1_11comp_targetILNS1_3genE5ELNS1_11target_archE942ELNS1_3gpuE9ELNS1_3repE0EEENS1_52radix_sort_onesweep_histogram_config_static_selectorELNS0_4arch9wavefront6targetE0EEEvSD_.num_agpr, 0
	.set _ZN7rocprim17ROCPRIM_400000_NS6detail17trampoline_kernelINS0_14default_configENS1_35radix_sort_onesweep_config_selectorItNS0_10empty_typeEEEZNS1_34radix_sort_onesweep_global_offsetsIS3_Lb1EPKtPS5_mNS0_19identity_decomposerEEE10hipError_tT1_T2_PT3_SF_jT4_jjP12ihipStream_tbEUlT_E0_NS1_11comp_targetILNS1_3genE5ELNS1_11target_archE942ELNS1_3gpuE9ELNS1_3repE0EEENS1_52radix_sort_onesweep_histogram_config_static_selectorELNS0_4arch9wavefront6targetE0EEEvSD_.numbered_sgpr, 0
	.set _ZN7rocprim17ROCPRIM_400000_NS6detail17trampoline_kernelINS0_14default_configENS1_35radix_sort_onesweep_config_selectorItNS0_10empty_typeEEEZNS1_34radix_sort_onesweep_global_offsetsIS3_Lb1EPKtPS5_mNS0_19identity_decomposerEEE10hipError_tT1_T2_PT3_SF_jT4_jjP12ihipStream_tbEUlT_E0_NS1_11comp_targetILNS1_3genE5ELNS1_11target_archE942ELNS1_3gpuE9ELNS1_3repE0EEENS1_52radix_sort_onesweep_histogram_config_static_selectorELNS0_4arch9wavefront6targetE0EEEvSD_.num_named_barrier, 0
	.set _ZN7rocprim17ROCPRIM_400000_NS6detail17trampoline_kernelINS0_14default_configENS1_35radix_sort_onesweep_config_selectorItNS0_10empty_typeEEEZNS1_34radix_sort_onesweep_global_offsetsIS3_Lb1EPKtPS5_mNS0_19identity_decomposerEEE10hipError_tT1_T2_PT3_SF_jT4_jjP12ihipStream_tbEUlT_E0_NS1_11comp_targetILNS1_3genE5ELNS1_11target_archE942ELNS1_3gpuE9ELNS1_3repE0EEENS1_52radix_sort_onesweep_histogram_config_static_selectorELNS0_4arch9wavefront6targetE0EEEvSD_.private_seg_size, 0
	.set _ZN7rocprim17ROCPRIM_400000_NS6detail17trampoline_kernelINS0_14default_configENS1_35radix_sort_onesweep_config_selectorItNS0_10empty_typeEEEZNS1_34radix_sort_onesweep_global_offsetsIS3_Lb1EPKtPS5_mNS0_19identity_decomposerEEE10hipError_tT1_T2_PT3_SF_jT4_jjP12ihipStream_tbEUlT_E0_NS1_11comp_targetILNS1_3genE5ELNS1_11target_archE942ELNS1_3gpuE9ELNS1_3repE0EEENS1_52radix_sort_onesweep_histogram_config_static_selectorELNS0_4arch9wavefront6targetE0EEEvSD_.uses_vcc, 0
	.set _ZN7rocprim17ROCPRIM_400000_NS6detail17trampoline_kernelINS0_14default_configENS1_35radix_sort_onesweep_config_selectorItNS0_10empty_typeEEEZNS1_34radix_sort_onesweep_global_offsetsIS3_Lb1EPKtPS5_mNS0_19identity_decomposerEEE10hipError_tT1_T2_PT3_SF_jT4_jjP12ihipStream_tbEUlT_E0_NS1_11comp_targetILNS1_3genE5ELNS1_11target_archE942ELNS1_3gpuE9ELNS1_3repE0EEENS1_52radix_sort_onesweep_histogram_config_static_selectorELNS0_4arch9wavefront6targetE0EEEvSD_.uses_flat_scratch, 0
	.set _ZN7rocprim17ROCPRIM_400000_NS6detail17trampoline_kernelINS0_14default_configENS1_35radix_sort_onesweep_config_selectorItNS0_10empty_typeEEEZNS1_34radix_sort_onesweep_global_offsetsIS3_Lb1EPKtPS5_mNS0_19identity_decomposerEEE10hipError_tT1_T2_PT3_SF_jT4_jjP12ihipStream_tbEUlT_E0_NS1_11comp_targetILNS1_3genE5ELNS1_11target_archE942ELNS1_3gpuE9ELNS1_3repE0EEENS1_52radix_sort_onesweep_histogram_config_static_selectorELNS0_4arch9wavefront6targetE0EEEvSD_.has_dyn_sized_stack, 0
	.set _ZN7rocprim17ROCPRIM_400000_NS6detail17trampoline_kernelINS0_14default_configENS1_35radix_sort_onesweep_config_selectorItNS0_10empty_typeEEEZNS1_34radix_sort_onesweep_global_offsetsIS3_Lb1EPKtPS5_mNS0_19identity_decomposerEEE10hipError_tT1_T2_PT3_SF_jT4_jjP12ihipStream_tbEUlT_E0_NS1_11comp_targetILNS1_3genE5ELNS1_11target_archE942ELNS1_3gpuE9ELNS1_3repE0EEENS1_52radix_sort_onesweep_histogram_config_static_selectorELNS0_4arch9wavefront6targetE0EEEvSD_.has_recursion, 0
	.set _ZN7rocprim17ROCPRIM_400000_NS6detail17trampoline_kernelINS0_14default_configENS1_35radix_sort_onesweep_config_selectorItNS0_10empty_typeEEEZNS1_34radix_sort_onesweep_global_offsetsIS3_Lb1EPKtPS5_mNS0_19identity_decomposerEEE10hipError_tT1_T2_PT3_SF_jT4_jjP12ihipStream_tbEUlT_E0_NS1_11comp_targetILNS1_3genE5ELNS1_11target_archE942ELNS1_3gpuE9ELNS1_3repE0EEENS1_52radix_sort_onesweep_histogram_config_static_selectorELNS0_4arch9wavefront6targetE0EEEvSD_.has_indirect_call, 0
	.section	.AMDGPU.csdata,"",@progbits
; Kernel info:
; codeLenInByte = 0
; TotalNumSgprs: 0
; NumVgprs: 0
; ScratchSize: 0
; MemoryBound: 0
; FloatMode: 240
; IeeeMode: 1
; LDSByteSize: 0 bytes/workgroup (compile time only)
; SGPRBlocks: 0
; VGPRBlocks: 0
; NumSGPRsForWavesPerEU: 1
; NumVGPRsForWavesPerEU: 1
; NamedBarCnt: 0
; Occupancy: 16
; WaveLimiterHint : 0
; COMPUTE_PGM_RSRC2:SCRATCH_EN: 0
; COMPUTE_PGM_RSRC2:USER_SGPR: 2
; COMPUTE_PGM_RSRC2:TRAP_HANDLER: 0
; COMPUTE_PGM_RSRC2:TGID_X_EN: 1
; COMPUTE_PGM_RSRC2:TGID_Y_EN: 0
; COMPUTE_PGM_RSRC2:TGID_Z_EN: 0
; COMPUTE_PGM_RSRC2:TIDIG_COMP_CNT: 0
	.section	.text._ZN7rocprim17ROCPRIM_400000_NS6detail17trampoline_kernelINS0_14default_configENS1_35radix_sort_onesweep_config_selectorItNS0_10empty_typeEEEZNS1_34radix_sort_onesweep_global_offsetsIS3_Lb1EPKtPS5_mNS0_19identity_decomposerEEE10hipError_tT1_T2_PT3_SF_jT4_jjP12ihipStream_tbEUlT_E0_NS1_11comp_targetILNS1_3genE2ELNS1_11target_archE906ELNS1_3gpuE6ELNS1_3repE0EEENS1_52radix_sort_onesweep_histogram_config_static_selectorELNS0_4arch9wavefront6targetE0EEEvSD_,"axG",@progbits,_ZN7rocprim17ROCPRIM_400000_NS6detail17trampoline_kernelINS0_14default_configENS1_35radix_sort_onesweep_config_selectorItNS0_10empty_typeEEEZNS1_34radix_sort_onesweep_global_offsetsIS3_Lb1EPKtPS5_mNS0_19identity_decomposerEEE10hipError_tT1_T2_PT3_SF_jT4_jjP12ihipStream_tbEUlT_E0_NS1_11comp_targetILNS1_3genE2ELNS1_11target_archE906ELNS1_3gpuE6ELNS1_3repE0EEENS1_52radix_sort_onesweep_histogram_config_static_selectorELNS0_4arch9wavefront6targetE0EEEvSD_,comdat
	.protected	_ZN7rocprim17ROCPRIM_400000_NS6detail17trampoline_kernelINS0_14default_configENS1_35radix_sort_onesweep_config_selectorItNS0_10empty_typeEEEZNS1_34radix_sort_onesweep_global_offsetsIS3_Lb1EPKtPS5_mNS0_19identity_decomposerEEE10hipError_tT1_T2_PT3_SF_jT4_jjP12ihipStream_tbEUlT_E0_NS1_11comp_targetILNS1_3genE2ELNS1_11target_archE906ELNS1_3gpuE6ELNS1_3repE0EEENS1_52radix_sort_onesweep_histogram_config_static_selectorELNS0_4arch9wavefront6targetE0EEEvSD_ ; -- Begin function _ZN7rocprim17ROCPRIM_400000_NS6detail17trampoline_kernelINS0_14default_configENS1_35radix_sort_onesweep_config_selectorItNS0_10empty_typeEEEZNS1_34radix_sort_onesweep_global_offsetsIS3_Lb1EPKtPS5_mNS0_19identity_decomposerEEE10hipError_tT1_T2_PT3_SF_jT4_jjP12ihipStream_tbEUlT_E0_NS1_11comp_targetILNS1_3genE2ELNS1_11target_archE906ELNS1_3gpuE6ELNS1_3repE0EEENS1_52radix_sort_onesweep_histogram_config_static_selectorELNS0_4arch9wavefront6targetE0EEEvSD_
	.globl	_ZN7rocprim17ROCPRIM_400000_NS6detail17trampoline_kernelINS0_14default_configENS1_35radix_sort_onesweep_config_selectorItNS0_10empty_typeEEEZNS1_34radix_sort_onesweep_global_offsetsIS3_Lb1EPKtPS5_mNS0_19identity_decomposerEEE10hipError_tT1_T2_PT3_SF_jT4_jjP12ihipStream_tbEUlT_E0_NS1_11comp_targetILNS1_3genE2ELNS1_11target_archE906ELNS1_3gpuE6ELNS1_3repE0EEENS1_52radix_sort_onesweep_histogram_config_static_selectorELNS0_4arch9wavefront6targetE0EEEvSD_
	.p2align	8
	.type	_ZN7rocprim17ROCPRIM_400000_NS6detail17trampoline_kernelINS0_14default_configENS1_35radix_sort_onesweep_config_selectorItNS0_10empty_typeEEEZNS1_34radix_sort_onesweep_global_offsetsIS3_Lb1EPKtPS5_mNS0_19identity_decomposerEEE10hipError_tT1_T2_PT3_SF_jT4_jjP12ihipStream_tbEUlT_E0_NS1_11comp_targetILNS1_3genE2ELNS1_11target_archE906ELNS1_3gpuE6ELNS1_3repE0EEENS1_52radix_sort_onesweep_histogram_config_static_selectorELNS0_4arch9wavefront6targetE0EEEvSD_,@function
_ZN7rocprim17ROCPRIM_400000_NS6detail17trampoline_kernelINS0_14default_configENS1_35radix_sort_onesweep_config_selectorItNS0_10empty_typeEEEZNS1_34radix_sort_onesweep_global_offsetsIS3_Lb1EPKtPS5_mNS0_19identity_decomposerEEE10hipError_tT1_T2_PT3_SF_jT4_jjP12ihipStream_tbEUlT_E0_NS1_11comp_targetILNS1_3genE2ELNS1_11target_archE906ELNS1_3gpuE6ELNS1_3repE0EEENS1_52radix_sort_onesweep_histogram_config_static_selectorELNS0_4arch9wavefront6targetE0EEEvSD_: ; @_ZN7rocprim17ROCPRIM_400000_NS6detail17trampoline_kernelINS0_14default_configENS1_35radix_sort_onesweep_config_selectorItNS0_10empty_typeEEEZNS1_34radix_sort_onesweep_global_offsetsIS3_Lb1EPKtPS5_mNS0_19identity_decomposerEEE10hipError_tT1_T2_PT3_SF_jT4_jjP12ihipStream_tbEUlT_E0_NS1_11comp_targetILNS1_3genE2ELNS1_11target_archE906ELNS1_3gpuE6ELNS1_3repE0EEENS1_52radix_sort_onesweep_histogram_config_static_selectorELNS0_4arch9wavefront6targetE0EEEvSD_
; %bb.0:
	.section	.rodata,"a",@progbits
	.p2align	6, 0x0
	.amdhsa_kernel _ZN7rocprim17ROCPRIM_400000_NS6detail17trampoline_kernelINS0_14default_configENS1_35radix_sort_onesweep_config_selectorItNS0_10empty_typeEEEZNS1_34radix_sort_onesweep_global_offsetsIS3_Lb1EPKtPS5_mNS0_19identity_decomposerEEE10hipError_tT1_T2_PT3_SF_jT4_jjP12ihipStream_tbEUlT_E0_NS1_11comp_targetILNS1_3genE2ELNS1_11target_archE906ELNS1_3gpuE6ELNS1_3repE0EEENS1_52radix_sort_onesweep_histogram_config_static_selectorELNS0_4arch9wavefront6targetE0EEEvSD_
		.amdhsa_group_segment_fixed_size 0
		.amdhsa_private_segment_fixed_size 0
		.amdhsa_kernarg_size 8
		.amdhsa_user_sgpr_count 2
		.amdhsa_user_sgpr_dispatch_ptr 0
		.amdhsa_user_sgpr_queue_ptr 0
		.amdhsa_user_sgpr_kernarg_segment_ptr 1
		.amdhsa_user_sgpr_dispatch_id 0
		.amdhsa_user_sgpr_kernarg_preload_length 0
		.amdhsa_user_sgpr_kernarg_preload_offset 0
		.amdhsa_user_sgpr_private_segment_size 0
		.amdhsa_wavefront_size32 1
		.amdhsa_uses_dynamic_stack 0
		.amdhsa_enable_private_segment 0
		.amdhsa_system_sgpr_workgroup_id_x 1
		.amdhsa_system_sgpr_workgroup_id_y 0
		.amdhsa_system_sgpr_workgroup_id_z 0
		.amdhsa_system_sgpr_workgroup_info 0
		.amdhsa_system_vgpr_workitem_id 0
		.amdhsa_next_free_vgpr 1
		.amdhsa_next_free_sgpr 1
		.amdhsa_named_barrier_count 0
		.amdhsa_reserve_vcc 0
		.amdhsa_float_round_mode_32 0
		.amdhsa_float_round_mode_16_64 0
		.amdhsa_float_denorm_mode_32 3
		.amdhsa_float_denorm_mode_16_64 3
		.amdhsa_fp16_overflow 0
		.amdhsa_memory_ordered 1
		.amdhsa_forward_progress 1
		.amdhsa_inst_pref_size 0
		.amdhsa_round_robin_scheduling 0
		.amdhsa_exception_fp_ieee_invalid_op 0
		.amdhsa_exception_fp_denorm_src 0
		.amdhsa_exception_fp_ieee_div_zero 0
		.amdhsa_exception_fp_ieee_overflow 0
		.amdhsa_exception_fp_ieee_underflow 0
		.amdhsa_exception_fp_ieee_inexact 0
		.amdhsa_exception_int_div_zero 0
	.end_amdhsa_kernel
	.section	.text._ZN7rocprim17ROCPRIM_400000_NS6detail17trampoline_kernelINS0_14default_configENS1_35radix_sort_onesweep_config_selectorItNS0_10empty_typeEEEZNS1_34radix_sort_onesweep_global_offsetsIS3_Lb1EPKtPS5_mNS0_19identity_decomposerEEE10hipError_tT1_T2_PT3_SF_jT4_jjP12ihipStream_tbEUlT_E0_NS1_11comp_targetILNS1_3genE2ELNS1_11target_archE906ELNS1_3gpuE6ELNS1_3repE0EEENS1_52radix_sort_onesweep_histogram_config_static_selectorELNS0_4arch9wavefront6targetE0EEEvSD_,"axG",@progbits,_ZN7rocprim17ROCPRIM_400000_NS6detail17trampoline_kernelINS0_14default_configENS1_35radix_sort_onesweep_config_selectorItNS0_10empty_typeEEEZNS1_34radix_sort_onesweep_global_offsetsIS3_Lb1EPKtPS5_mNS0_19identity_decomposerEEE10hipError_tT1_T2_PT3_SF_jT4_jjP12ihipStream_tbEUlT_E0_NS1_11comp_targetILNS1_3genE2ELNS1_11target_archE906ELNS1_3gpuE6ELNS1_3repE0EEENS1_52radix_sort_onesweep_histogram_config_static_selectorELNS0_4arch9wavefront6targetE0EEEvSD_,comdat
.Lfunc_end2372:
	.size	_ZN7rocprim17ROCPRIM_400000_NS6detail17trampoline_kernelINS0_14default_configENS1_35radix_sort_onesweep_config_selectorItNS0_10empty_typeEEEZNS1_34radix_sort_onesweep_global_offsetsIS3_Lb1EPKtPS5_mNS0_19identity_decomposerEEE10hipError_tT1_T2_PT3_SF_jT4_jjP12ihipStream_tbEUlT_E0_NS1_11comp_targetILNS1_3genE2ELNS1_11target_archE906ELNS1_3gpuE6ELNS1_3repE0EEENS1_52radix_sort_onesweep_histogram_config_static_selectorELNS0_4arch9wavefront6targetE0EEEvSD_, .Lfunc_end2372-_ZN7rocprim17ROCPRIM_400000_NS6detail17trampoline_kernelINS0_14default_configENS1_35radix_sort_onesweep_config_selectorItNS0_10empty_typeEEEZNS1_34radix_sort_onesweep_global_offsetsIS3_Lb1EPKtPS5_mNS0_19identity_decomposerEEE10hipError_tT1_T2_PT3_SF_jT4_jjP12ihipStream_tbEUlT_E0_NS1_11comp_targetILNS1_3genE2ELNS1_11target_archE906ELNS1_3gpuE6ELNS1_3repE0EEENS1_52radix_sort_onesweep_histogram_config_static_selectorELNS0_4arch9wavefront6targetE0EEEvSD_
                                        ; -- End function
	.set _ZN7rocprim17ROCPRIM_400000_NS6detail17trampoline_kernelINS0_14default_configENS1_35radix_sort_onesweep_config_selectorItNS0_10empty_typeEEEZNS1_34radix_sort_onesweep_global_offsetsIS3_Lb1EPKtPS5_mNS0_19identity_decomposerEEE10hipError_tT1_T2_PT3_SF_jT4_jjP12ihipStream_tbEUlT_E0_NS1_11comp_targetILNS1_3genE2ELNS1_11target_archE906ELNS1_3gpuE6ELNS1_3repE0EEENS1_52radix_sort_onesweep_histogram_config_static_selectorELNS0_4arch9wavefront6targetE0EEEvSD_.num_vgpr, 0
	.set _ZN7rocprim17ROCPRIM_400000_NS6detail17trampoline_kernelINS0_14default_configENS1_35radix_sort_onesweep_config_selectorItNS0_10empty_typeEEEZNS1_34radix_sort_onesweep_global_offsetsIS3_Lb1EPKtPS5_mNS0_19identity_decomposerEEE10hipError_tT1_T2_PT3_SF_jT4_jjP12ihipStream_tbEUlT_E0_NS1_11comp_targetILNS1_3genE2ELNS1_11target_archE906ELNS1_3gpuE6ELNS1_3repE0EEENS1_52radix_sort_onesweep_histogram_config_static_selectorELNS0_4arch9wavefront6targetE0EEEvSD_.num_agpr, 0
	.set _ZN7rocprim17ROCPRIM_400000_NS6detail17trampoline_kernelINS0_14default_configENS1_35radix_sort_onesweep_config_selectorItNS0_10empty_typeEEEZNS1_34radix_sort_onesweep_global_offsetsIS3_Lb1EPKtPS5_mNS0_19identity_decomposerEEE10hipError_tT1_T2_PT3_SF_jT4_jjP12ihipStream_tbEUlT_E0_NS1_11comp_targetILNS1_3genE2ELNS1_11target_archE906ELNS1_3gpuE6ELNS1_3repE0EEENS1_52radix_sort_onesweep_histogram_config_static_selectorELNS0_4arch9wavefront6targetE0EEEvSD_.numbered_sgpr, 0
	.set _ZN7rocprim17ROCPRIM_400000_NS6detail17trampoline_kernelINS0_14default_configENS1_35radix_sort_onesweep_config_selectorItNS0_10empty_typeEEEZNS1_34radix_sort_onesweep_global_offsetsIS3_Lb1EPKtPS5_mNS0_19identity_decomposerEEE10hipError_tT1_T2_PT3_SF_jT4_jjP12ihipStream_tbEUlT_E0_NS1_11comp_targetILNS1_3genE2ELNS1_11target_archE906ELNS1_3gpuE6ELNS1_3repE0EEENS1_52radix_sort_onesweep_histogram_config_static_selectorELNS0_4arch9wavefront6targetE0EEEvSD_.num_named_barrier, 0
	.set _ZN7rocprim17ROCPRIM_400000_NS6detail17trampoline_kernelINS0_14default_configENS1_35radix_sort_onesweep_config_selectorItNS0_10empty_typeEEEZNS1_34radix_sort_onesweep_global_offsetsIS3_Lb1EPKtPS5_mNS0_19identity_decomposerEEE10hipError_tT1_T2_PT3_SF_jT4_jjP12ihipStream_tbEUlT_E0_NS1_11comp_targetILNS1_3genE2ELNS1_11target_archE906ELNS1_3gpuE6ELNS1_3repE0EEENS1_52radix_sort_onesweep_histogram_config_static_selectorELNS0_4arch9wavefront6targetE0EEEvSD_.private_seg_size, 0
	.set _ZN7rocprim17ROCPRIM_400000_NS6detail17trampoline_kernelINS0_14default_configENS1_35radix_sort_onesweep_config_selectorItNS0_10empty_typeEEEZNS1_34radix_sort_onesweep_global_offsetsIS3_Lb1EPKtPS5_mNS0_19identity_decomposerEEE10hipError_tT1_T2_PT3_SF_jT4_jjP12ihipStream_tbEUlT_E0_NS1_11comp_targetILNS1_3genE2ELNS1_11target_archE906ELNS1_3gpuE6ELNS1_3repE0EEENS1_52radix_sort_onesweep_histogram_config_static_selectorELNS0_4arch9wavefront6targetE0EEEvSD_.uses_vcc, 0
	.set _ZN7rocprim17ROCPRIM_400000_NS6detail17trampoline_kernelINS0_14default_configENS1_35radix_sort_onesweep_config_selectorItNS0_10empty_typeEEEZNS1_34radix_sort_onesweep_global_offsetsIS3_Lb1EPKtPS5_mNS0_19identity_decomposerEEE10hipError_tT1_T2_PT3_SF_jT4_jjP12ihipStream_tbEUlT_E0_NS1_11comp_targetILNS1_3genE2ELNS1_11target_archE906ELNS1_3gpuE6ELNS1_3repE0EEENS1_52radix_sort_onesweep_histogram_config_static_selectorELNS0_4arch9wavefront6targetE0EEEvSD_.uses_flat_scratch, 0
	.set _ZN7rocprim17ROCPRIM_400000_NS6detail17trampoline_kernelINS0_14default_configENS1_35radix_sort_onesweep_config_selectorItNS0_10empty_typeEEEZNS1_34radix_sort_onesweep_global_offsetsIS3_Lb1EPKtPS5_mNS0_19identity_decomposerEEE10hipError_tT1_T2_PT3_SF_jT4_jjP12ihipStream_tbEUlT_E0_NS1_11comp_targetILNS1_3genE2ELNS1_11target_archE906ELNS1_3gpuE6ELNS1_3repE0EEENS1_52radix_sort_onesweep_histogram_config_static_selectorELNS0_4arch9wavefront6targetE0EEEvSD_.has_dyn_sized_stack, 0
	.set _ZN7rocprim17ROCPRIM_400000_NS6detail17trampoline_kernelINS0_14default_configENS1_35radix_sort_onesweep_config_selectorItNS0_10empty_typeEEEZNS1_34radix_sort_onesweep_global_offsetsIS3_Lb1EPKtPS5_mNS0_19identity_decomposerEEE10hipError_tT1_T2_PT3_SF_jT4_jjP12ihipStream_tbEUlT_E0_NS1_11comp_targetILNS1_3genE2ELNS1_11target_archE906ELNS1_3gpuE6ELNS1_3repE0EEENS1_52radix_sort_onesweep_histogram_config_static_selectorELNS0_4arch9wavefront6targetE0EEEvSD_.has_recursion, 0
	.set _ZN7rocprim17ROCPRIM_400000_NS6detail17trampoline_kernelINS0_14default_configENS1_35radix_sort_onesweep_config_selectorItNS0_10empty_typeEEEZNS1_34radix_sort_onesweep_global_offsetsIS3_Lb1EPKtPS5_mNS0_19identity_decomposerEEE10hipError_tT1_T2_PT3_SF_jT4_jjP12ihipStream_tbEUlT_E0_NS1_11comp_targetILNS1_3genE2ELNS1_11target_archE906ELNS1_3gpuE6ELNS1_3repE0EEENS1_52radix_sort_onesweep_histogram_config_static_selectorELNS0_4arch9wavefront6targetE0EEEvSD_.has_indirect_call, 0
	.section	.AMDGPU.csdata,"",@progbits
; Kernel info:
; codeLenInByte = 0
; TotalNumSgprs: 0
; NumVgprs: 0
; ScratchSize: 0
; MemoryBound: 0
; FloatMode: 240
; IeeeMode: 1
; LDSByteSize: 0 bytes/workgroup (compile time only)
; SGPRBlocks: 0
; VGPRBlocks: 0
; NumSGPRsForWavesPerEU: 1
; NumVGPRsForWavesPerEU: 1
; NamedBarCnt: 0
; Occupancy: 16
; WaveLimiterHint : 0
; COMPUTE_PGM_RSRC2:SCRATCH_EN: 0
; COMPUTE_PGM_RSRC2:USER_SGPR: 2
; COMPUTE_PGM_RSRC2:TRAP_HANDLER: 0
; COMPUTE_PGM_RSRC2:TGID_X_EN: 1
; COMPUTE_PGM_RSRC2:TGID_Y_EN: 0
; COMPUTE_PGM_RSRC2:TGID_Z_EN: 0
; COMPUTE_PGM_RSRC2:TIDIG_COMP_CNT: 0
	.section	.text._ZN7rocprim17ROCPRIM_400000_NS6detail17trampoline_kernelINS0_14default_configENS1_35radix_sort_onesweep_config_selectorItNS0_10empty_typeEEEZNS1_34radix_sort_onesweep_global_offsetsIS3_Lb1EPKtPS5_mNS0_19identity_decomposerEEE10hipError_tT1_T2_PT3_SF_jT4_jjP12ihipStream_tbEUlT_E0_NS1_11comp_targetILNS1_3genE4ELNS1_11target_archE910ELNS1_3gpuE8ELNS1_3repE0EEENS1_52radix_sort_onesweep_histogram_config_static_selectorELNS0_4arch9wavefront6targetE0EEEvSD_,"axG",@progbits,_ZN7rocprim17ROCPRIM_400000_NS6detail17trampoline_kernelINS0_14default_configENS1_35radix_sort_onesweep_config_selectorItNS0_10empty_typeEEEZNS1_34radix_sort_onesweep_global_offsetsIS3_Lb1EPKtPS5_mNS0_19identity_decomposerEEE10hipError_tT1_T2_PT3_SF_jT4_jjP12ihipStream_tbEUlT_E0_NS1_11comp_targetILNS1_3genE4ELNS1_11target_archE910ELNS1_3gpuE8ELNS1_3repE0EEENS1_52radix_sort_onesweep_histogram_config_static_selectorELNS0_4arch9wavefront6targetE0EEEvSD_,comdat
	.protected	_ZN7rocprim17ROCPRIM_400000_NS6detail17trampoline_kernelINS0_14default_configENS1_35radix_sort_onesweep_config_selectorItNS0_10empty_typeEEEZNS1_34radix_sort_onesweep_global_offsetsIS3_Lb1EPKtPS5_mNS0_19identity_decomposerEEE10hipError_tT1_T2_PT3_SF_jT4_jjP12ihipStream_tbEUlT_E0_NS1_11comp_targetILNS1_3genE4ELNS1_11target_archE910ELNS1_3gpuE8ELNS1_3repE0EEENS1_52radix_sort_onesweep_histogram_config_static_selectorELNS0_4arch9wavefront6targetE0EEEvSD_ ; -- Begin function _ZN7rocprim17ROCPRIM_400000_NS6detail17trampoline_kernelINS0_14default_configENS1_35radix_sort_onesweep_config_selectorItNS0_10empty_typeEEEZNS1_34radix_sort_onesweep_global_offsetsIS3_Lb1EPKtPS5_mNS0_19identity_decomposerEEE10hipError_tT1_T2_PT3_SF_jT4_jjP12ihipStream_tbEUlT_E0_NS1_11comp_targetILNS1_3genE4ELNS1_11target_archE910ELNS1_3gpuE8ELNS1_3repE0EEENS1_52radix_sort_onesweep_histogram_config_static_selectorELNS0_4arch9wavefront6targetE0EEEvSD_
	.globl	_ZN7rocprim17ROCPRIM_400000_NS6detail17trampoline_kernelINS0_14default_configENS1_35radix_sort_onesweep_config_selectorItNS0_10empty_typeEEEZNS1_34radix_sort_onesweep_global_offsetsIS3_Lb1EPKtPS5_mNS0_19identity_decomposerEEE10hipError_tT1_T2_PT3_SF_jT4_jjP12ihipStream_tbEUlT_E0_NS1_11comp_targetILNS1_3genE4ELNS1_11target_archE910ELNS1_3gpuE8ELNS1_3repE0EEENS1_52radix_sort_onesweep_histogram_config_static_selectorELNS0_4arch9wavefront6targetE0EEEvSD_
	.p2align	8
	.type	_ZN7rocprim17ROCPRIM_400000_NS6detail17trampoline_kernelINS0_14default_configENS1_35radix_sort_onesweep_config_selectorItNS0_10empty_typeEEEZNS1_34radix_sort_onesweep_global_offsetsIS3_Lb1EPKtPS5_mNS0_19identity_decomposerEEE10hipError_tT1_T2_PT3_SF_jT4_jjP12ihipStream_tbEUlT_E0_NS1_11comp_targetILNS1_3genE4ELNS1_11target_archE910ELNS1_3gpuE8ELNS1_3repE0EEENS1_52radix_sort_onesweep_histogram_config_static_selectorELNS0_4arch9wavefront6targetE0EEEvSD_,@function
_ZN7rocprim17ROCPRIM_400000_NS6detail17trampoline_kernelINS0_14default_configENS1_35radix_sort_onesweep_config_selectorItNS0_10empty_typeEEEZNS1_34radix_sort_onesweep_global_offsetsIS3_Lb1EPKtPS5_mNS0_19identity_decomposerEEE10hipError_tT1_T2_PT3_SF_jT4_jjP12ihipStream_tbEUlT_E0_NS1_11comp_targetILNS1_3genE4ELNS1_11target_archE910ELNS1_3gpuE8ELNS1_3repE0EEENS1_52radix_sort_onesweep_histogram_config_static_selectorELNS0_4arch9wavefront6targetE0EEEvSD_: ; @_ZN7rocprim17ROCPRIM_400000_NS6detail17trampoline_kernelINS0_14default_configENS1_35radix_sort_onesweep_config_selectorItNS0_10empty_typeEEEZNS1_34radix_sort_onesweep_global_offsetsIS3_Lb1EPKtPS5_mNS0_19identity_decomposerEEE10hipError_tT1_T2_PT3_SF_jT4_jjP12ihipStream_tbEUlT_E0_NS1_11comp_targetILNS1_3genE4ELNS1_11target_archE910ELNS1_3gpuE8ELNS1_3repE0EEENS1_52radix_sort_onesweep_histogram_config_static_selectorELNS0_4arch9wavefront6targetE0EEEvSD_
; %bb.0:
	.section	.rodata,"a",@progbits
	.p2align	6, 0x0
	.amdhsa_kernel _ZN7rocprim17ROCPRIM_400000_NS6detail17trampoline_kernelINS0_14default_configENS1_35radix_sort_onesweep_config_selectorItNS0_10empty_typeEEEZNS1_34radix_sort_onesweep_global_offsetsIS3_Lb1EPKtPS5_mNS0_19identity_decomposerEEE10hipError_tT1_T2_PT3_SF_jT4_jjP12ihipStream_tbEUlT_E0_NS1_11comp_targetILNS1_3genE4ELNS1_11target_archE910ELNS1_3gpuE8ELNS1_3repE0EEENS1_52radix_sort_onesweep_histogram_config_static_selectorELNS0_4arch9wavefront6targetE0EEEvSD_
		.amdhsa_group_segment_fixed_size 0
		.amdhsa_private_segment_fixed_size 0
		.amdhsa_kernarg_size 8
		.amdhsa_user_sgpr_count 2
		.amdhsa_user_sgpr_dispatch_ptr 0
		.amdhsa_user_sgpr_queue_ptr 0
		.amdhsa_user_sgpr_kernarg_segment_ptr 1
		.amdhsa_user_sgpr_dispatch_id 0
		.amdhsa_user_sgpr_kernarg_preload_length 0
		.amdhsa_user_sgpr_kernarg_preload_offset 0
		.amdhsa_user_sgpr_private_segment_size 0
		.amdhsa_wavefront_size32 1
		.amdhsa_uses_dynamic_stack 0
		.amdhsa_enable_private_segment 0
		.amdhsa_system_sgpr_workgroup_id_x 1
		.amdhsa_system_sgpr_workgroup_id_y 0
		.amdhsa_system_sgpr_workgroup_id_z 0
		.amdhsa_system_sgpr_workgroup_info 0
		.amdhsa_system_vgpr_workitem_id 0
		.amdhsa_next_free_vgpr 1
		.amdhsa_next_free_sgpr 1
		.amdhsa_named_barrier_count 0
		.amdhsa_reserve_vcc 0
		.amdhsa_float_round_mode_32 0
		.amdhsa_float_round_mode_16_64 0
		.amdhsa_float_denorm_mode_32 3
		.amdhsa_float_denorm_mode_16_64 3
		.amdhsa_fp16_overflow 0
		.amdhsa_memory_ordered 1
		.amdhsa_forward_progress 1
		.amdhsa_inst_pref_size 0
		.amdhsa_round_robin_scheduling 0
		.amdhsa_exception_fp_ieee_invalid_op 0
		.amdhsa_exception_fp_denorm_src 0
		.amdhsa_exception_fp_ieee_div_zero 0
		.amdhsa_exception_fp_ieee_overflow 0
		.amdhsa_exception_fp_ieee_underflow 0
		.amdhsa_exception_fp_ieee_inexact 0
		.amdhsa_exception_int_div_zero 0
	.end_amdhsa_kernel
	.section	.text._ZN7rocprim17ROCPRIM_400000_NS6detail17trampoline_kernelINS0_14default_configENS1_35radix_sort_onesweep_config_selectorItNS0_10empty_typeEEEZNS1_34radix_sort_onesweep_global_offsetsIS3_Lb1EPKtPS5_mNS0_19identity_decomposerEEE10hipError_tT1_T2_PT3_SF_jT4_jjP12ihipStream_tbEUlT_E0_NS1_11comp_targetILNS1_3genE4ELNS1_11target_archE910ELNS1_3gpuE8ELNS1_3repE0EEENS1_52radix_sort_onesweep_histogram_config_static_selectorELNS0_4arch9wavefront6targetE0EEEvSD_,"axG",@progbits,_ZN7rocprim17ROCPRIM_400000_NS6detail17trampoline_kernelINS0_14default_configENS1_35radix_sort_onesweep_config_selectorItNS0_10empty_typeEEEZNS1_34radix_sort_onesweep_global_offsetsIS3_Lb1EPKtPS5_mNS0_19identity_decomposerEEE10hipError_tT1_T2_PT3_SF_jT4_jjP12ihipStream_tbEUlT_E0_NS1_11comp_targetILNS1_3genE4ELNS1_11target_archE910ELNS1_3gpuE8ELNS1_3repE0EEENS1_52radix_sort_onesweep_histogram_config_static_selectorELNS0_4arch9wavefront6targetE0EEEvSD_,comdat
.Lfunc_end2373:
	.size	_ZN7rocprim17ROCPRIM_400000_NS6detail17trampoline_kernelINS0_14default_configENS1_35radix_sort_onesweep_config_selectorItNS0_10empty_typeEEEZNS1_34radix_sort_onesweep_global_offsetsIS3_Lb1EPKtPS5_mNS0_19identity_decomposerEEE10hipError_tT1_T2_PT3_SF_jT4_jjP12ihipStream_tbEUlT_E0_NS1_11comp_targetILNS1_3genE4ELNS1_11target_archE910ELNS1_3gpuE8ELNS1_3repE0EEENS1_52radix_sort_onesweep_histogram_config_static_selectorELNS0_4arch9wavefront6targetE0EEEvSD_, .Lfunc_end2373-_ZN7rocprim17ROCPRIM_400000_NS6detail17trampoline_kernelINS0_14default_configENS1_35radix_sort_onesweep_config_selectorItNS0_10empty_typeEEEZNS1_34radix_sort_onesweep_global_offsetsIS3_Lb1EPKtPS5_mNS0_19identity_decomposerEEE10hipError_tT1_T2_PT3_SF_jT4_jjP12ihipStream_tbEUlT_E0_NS1_11comp_targetILNS1_3genE4ELNS1_11target_archE910ELNS1_3gpuE8ELNS1_3repE0EEENS1_52radix_sort_onesweep_histogram_config_static_selectorELNS0_4arch9wavefront6targetE0EEEvSD_
                                        ; -- End function
	.set _ZN7rocprim17ROCPRIM_400000_NS6detail17trampoline_kernelINS0_14default_configENS1_35radix_sort_onesweep_config_selectorItNS0_10empty_typeEEEZNS1_34radix_sort_onesweep_global_offsetsIS3_Lb1EPKtPS5_mNS0_19identity_decomposerEEE10hipError_tT1_T2_PT3_SF_jT4_jjP12ihipStream_tbEUlT_E0_NS1_11comp_targetILNS1_3genE4ELNS1_11target_archE910ELNS1_3gpuE8ELNS1_3repE0EEENS1_52radix_sort_onesweep_histogram_config_static_selectorELNS0_4arch9wavefront6targetE0EEEvSD_.num_vgpr, 0
	.set _ZN7rocprim17ROCPRIM_400000_NS6detail17trampoline_kernelINS0_14default_configENS1_35radix_sort_onesweep_config_selectorItNS0_10empty_typeEEEZNS1_34radix_sort_onesweep_global_offsetsIS3_Lb1EPKtPS5_mNS0_19identity_decomposerEEE10hipError_tT1_T2_PT3_SF_jT4_jjP12ihipStream_tbEUlT_E0_NS1_11comp_targetILNS1_3genE4ELNS1_11target_archE910ELNS1_3gpuE8ELNS1_3repE0EEENS1_52radix_sort_onesweep_histogram_config_static_selectorELNS0_4arch9wavefront6targetE0EEEvSD_.num_agpr, 0
	.set _ZN7rocprim17ROCPRIM_400000_NS6detail17trampoline_kernelINS0_14default_configENS1_35radix_sort_onesweep_config_selectorItNS0_10empty_typeEEEZNS1_34radix_sort_onesweep_global_offsetsIS3_Lb1EPKtPS5_mNS0_19identity_decomposerEEE10hipError_tT1_T2_PT3_SF_jT4_jjP12ihipStream_tbEUlT_E0_NS1_11comp_targetILNS1_3genE4ELNS1_11target_archE910ELNS1_3gpuE8ELNS1_3repE0EEENS1_52radix_sort_onesweep_histogram_config_static_selectorELNS0_4arch9wavefront6targetE0EEEvSD_.numbered_sgpr, 0
	.set _ZN7rocprim17ROCPRIM_400000_NS6detail17trampoline_kernelINS0_14default_configENS1_35radix_sort_onesweep_config_selectorItNS0_10empty_typeEEEZNS1_34radix_sort_onesweep_global_offsetsIS3_Lb1EPKtPS5_mNS0_19identity_decomposerEEE10hipError_tT1_T2_PT3_SF_jT4_jjP12ihipStream_tbEUlT_E0_NS1_11comp_targetILNS1_3genE4ELNS1_11target_archE910ELNS1_3gpuE8ELNS1_3repE0EEENS1_52radix_sort_onesweep_histogram_config_static_selectorELNS0_4arch9wavefront6targetE0EEEvSD_.num_named_barrier, 0
	.set _ZN7rocprim17ROCPRIM_400000_NS6detail17trampoline_kernelINS0_14default_configENS1_35radix_sort_onesweep_config_selectorItNS0_10empty_typeEEEZNS1_34radix_sort_onesweep_global_offsetsIS3_Lb1EPKtPS5_mNS0_19identity_decomposerEEE10hipError_tT1_T2_PT3_SF_jT4_jjP12ihipStream_tbEUlT_E0_NS1_11comp_targetILNS1_3genE4ELNS1_11target_archE910ELNS1_3gpuE8ELNS1_3repE0EEENS1_52radix_sort_onesweep_histogram_config_static_selectorELNS0_4arch9wavefront6targetE0EEEvSD_.private_seg_size, 0
	.set _ZN7rocprim17ROCPRIM_400000_NS6detail17trampoline_kernelINS0_14default_configENS1_35radix_sort_onesweep_config_selectorItNS0_10empty_typeEEEZNS1_34radix_sort_onesweep_global_offsetsIS3_Lb1EPKtPS5_mNS0_19identity_decomposerEEE10hipError_tT1_T2_PT3_SF_jT4_jjP12ihipStream_tbEUlT_E0_NS1_11comp_targetILNS1_3genE4ELNS1_11target_archE910ELNS1_3gpuE8ELNS1_3repE0EEENS1_52radix_sort_onesweep_histogram_config_static_selectorELNS0_4arch9wavefront6targetE0EEEvSD_.uses_vcc, 0
	.set _ZN7rocprim17ROCPRIM_400000_NS6detail17trampoline_kernelINS0_14default_configENS1_35radix_sort_onesweep_config_selectorItNS0_10empty_typeEEEZNS1_34radix_sort_onesweep_global_offsetsIS3_Lb1EPKtPS5_mNS0_19identity_decomposerEEE10hipError_tT1_T2_PT3_SF_jT4_jjP12ihipStream_tbEUlT_E0_NS1_11comp_targetILNS1_3genE4ELNS1_11target_archE910ELNS1_3gpuE8ELNS1_3repE0EEENS1_52radix_sort_onesweep_histogram_config_static_selectorELNS0_4arch9wavefront6targetE0EEEvSD_.uses_flat_scratch, 0
	.set _ZN7rocprim17ROCPRIM_400000_NS6detail17trampoline_kernelINS0_14default_configENS1_35radix_sort_onesweep_config_selectorItNS0_10empty_typeEEEZNS1_34radix_sort_onesweep_global_offsetsIS3_Lb1EPKtPS5_mNS0_19identity_decomposerEEE10hipError_tT1_T2_PT3_SF_jT4_jjP12ihipStream_tbEUlT_E0_NS1_11comp_targetILNS1_3genE4ELNS1_11target_archE910ELNS1_3gpuE8ELNS1_3repE0EEENS1_52radix_sort_onesweep_histogram_config_static_selectorELNS0_4arch9wavefront6targetE0EEEvSD_.has_dyn_sized_stack, 0
	.set _ZN7rocprim17ROCPRIM_400000_NS6detail17trampoline_kernelINS0_14default_configENS1_35radix_sort_onesweep_config_selectorItNS0_10empty_typeEEEZNS1_34radix_sort_onesweep_global_offsetsIS3_Lb1EPKtPS5_mNS0_19identity_decomposerEEE10hipError_tT1_T2_PT3_SF_jT4_jjP12ihipStream_tbEUlT_E0_NS1_11comp_targetILNS1_3genE4ELNS1_11target_archE910ELNS1_3gpuE8ELNS1_3repE0EEENS1_52radix_sort_onesweep_histogram_config_static_selectorELNS0_4arch9wavefront6targetE0EEEvSD_.has_recursion, 0
	.set _ZN7rocprim17ROCPRIM_400000_NS6detail17trampoline_kernelINS0_14default_configENS1_35radix_sort_onesweep_config_selectorItNS0_10empty_typeEEEZNS1_34radix_sort_onesweep_global_offsetsIS3_Lb1EPKtPS5_mNS0_19identity_decomposerEEE10hipError_tT1_T2_PT3_SF_jT4_jjP12ihipStream_tbEUlT_E0_NS1_11comp_targetILNS1_3genE4ELNS1_11target_archE910ELNS1_3gpuE8ELNS1_3repE0EEENS1_52radix_sort_onesweep_histogram_config_static_selectorELNS0_4arch9wavefront6targetE0EEEvSD_.has_indirect_call, 0
	.section	.AMDGPU.csdata,"",@progbits
; Kernel info:
; codeLenInByte = 0
; TotalNumSgprs: 0
; NumVgprs: 0
; ScratchSize: 0
; MemoryBound: 0
; FloatMode: 240
; IeeeMode: 1
; LDSByteSize: 0 bytes/workgroup (compile time only)
; SGPRBlocks: 0
; VGPRBlocks: 0
; NumSGPRsForWavesPerEU: 1
; NumVGPRsForWavesPerEU: 1
; NamedBarCnt: 0
; Occupancy: 16
; WaveLimiterHint : 0
; COMPUTE_PGM_RSRC2:SCRATCH_EN: 0
; COMPUTE_PGM_RSRC2:USER_SGPR: 2
; COMPUTE_PGM_RSRC2:TRAP_HANDLER: 0
; COMPUTE_PGM_RSRC2:TGID_X_EN: 1
; COMPUTE_PGM_RSRC2:TGID_Y_EN: 0
; COMPUTE_PGM_RSRC2:TGID_Z_EN: 0
; COMPUTE_PGM_RSRC2:TIDIG_COMP_CNT: 0
	.section	.text._ZN7rocprim17ROCPRIM_400000_NS6detail17trampoline_kernelINS0_14default_configENS1_35radix_sort_onesweep_config_selectorItNS0_10empty_typeEEEZNS1_34radix_sort_onesweep_global_offsetsIS3_Lb1EPKtPS5_mNS0_19identity_decomposerEEE10hipError_tT1_T2_PT3_SF_jT4_jjP12ihipStream_tbEUlT_E0_NS1_11comp_targetILNS1_3genE3ELNS1_11target_archE908ELNS1_3gpuE7ELNS1_3repE0EEENS1_52radix_sort_onesweep_histogram_config_static_selectorELNS0_4arch9wavefront6targetE0EEEvSD_,"axG",@progbits,_ZN7rocprim17ROCPRIM_400000_NS6detail17trampoline_kernelINS0_14default_configENS1_35radix_sort_onesweep_config_selectorItNS0_10empty_typeEEEZNS1_34radix_sort_onesweep_global_offsetsIS3_Lb1EPKtPS5_mNS0_19identity_decomposerEEE10hipError_tT1_T2_PT3_SF_jT4_jjP12ihipStream_tbEUlT_E0_NS1_11comp_targetILNS1_3genE3ELNS1_11target_archE908ELNS1_3gpuE7ELNS1_3repE0EEENS1_52radix_sort_onesweep_histogram_config_static_selectorELNS0_4arch9wavefront6targetE0EEEvSD_,comdat
	.protected	_ZN7rocprim17ROCPRIM_400000_NS6detail17trampoline_kernelINS0_14default_configENS1_35radix_sort_onesweep_config_selectorItNS0_10empty_typeEEEZNS1_34radix_sort_onesweep_global_offsetsIS3_Lb1EPKtPS5_mNS0_19identity_decomposerEEE10hipError_tT1_T2_PT3_SF_jT4_jjP12ihipStream_tbEUlT_E0_NS1_11comp_targetILNS1_3genE3ELNS1_11target_archE908ELNS1_3gpuE7ELNS1_3repE0EEENS1_52radix_sort_onesweep_histogram_config_static_selectorELNS0_4arch9wavefront6targetE0EEEvSD_ ; -- Begin function _ZN7rocprim17ROCPRIM_400000_NS6detail17trampoline_kernelINS0_14default_configENS1_35radix_sort_onesweep_config_selectorItNS0_10empty_typeEEEZNS1_34radix_sort_onesweep_global_offsetsIS3_Lb1EPKtPS5_mNS0_19identity_decomposerEEE10hipError_tT1_T2_PT3_SF_jT4_jjP12ihipStream_tbEUlT_E0_NS1_11comp_targetILNS1_3genE3ELNS1_11target_archE908ELNS1_3gpuE7ELNS1_3repE0EEENS1_52radix_sort_onesweep_histogram_config_static_selectorELNS0_4arch9wavefront6targetE0EEEvSD_
	.globl	_ZN7rocprim17ROCPRIM_400000_NS6detail17trampoline_kernelINS0_14default_configENS1_35radix_sort_onesweep_config_selectorItNS0_10empty_typeEEEZNS1_34radix_sort_onesweep_global_offsetsIS3_Lb1EPKtPS5_mNS0_19identity_decomposerEEE10hipError_tT1_T2_PT3_SF_jT4_jjP12ihipStream_tbEUlT_E0_NS1_11comp_targetILNS1_3genE3ELNS1_11target_archE908ELNS1_3gpuE7ELNS1_3repE0EEENS1_52radix_sort_onesweep_histogram_config_static_selectorELNS0_4arch9wavefront6targetE0EEEvSD_
	.p2align	8
	.type	_ZN7rocprim17ROCPRIM_400000_NS6detail17trampoline_kernelINS0_14default_configENS1_35radix_sort_onesweep_config_selectorItNS0_10empty_typeEEEZNS1_34radix_sort_onesweep_global_offsetsIS3_Lb1EPKtPS5_mNS0_19identity_decomposerEEE10hipError_tT1_T2_PT3_SF_jT4_jjP12ihipStream_tbEUlT_E0_NS1_11comp_targetILNS1_3genE3ELNS1_11target_archE908ELNS1_3gpuE7ELNS1_3repE0EEENS1_52radix_sort_onesweep_histogram_config_static_selectorELNS0_4arch9wavefront6targetE0EEEvSD_,@function
_ZN7rocprim17ROCPRIM_400000_NS6detail17trampoline_kernelINS0_14default_configENS1_35radix_sort_onesweep_config_selectorItNS0_10empty_typeEEEZNS1_34radix_sort_onesweep_global_offsetsIS3_Lb1EPKtPS5_mNS0_19identity_decomposerEEE10hipError_tT1_T2_PT3_SF_jT4_jjP12ihipStream_tbEUlT_E0_NS1_11comp_targetILNS1_3genE3ELNS1_11target_archE908ELNS1_3gpuE7ELNS1_3repE0EEENS1_52radix_sort_onesweep_histogram_config_static_selectorELNS0_4arch9wavefront6targetE0EEEvSD_: ; @_ZN7rocprim17ROCPRIM_400000_NS6detail17trampoline_kernelINS0_14default_configENS1_35radix_sort_onesweep_config_selectorItNS0_10empty_typeEEEZNS1_34radix_sort_onesweep_global_offsetsIS3_Lb1EPKtPS5_mNS0_19identity_decomposerEEE10hipError_tT1_T2_PT3_SF_jT4_jjP12ihipStream_tbEUlT_E0_NS1_11comp_targetILNS1_3genE3ELNS1_11target_archE908ELNS1_3gpuE7ELNS1_3repE0EEENS1_52radix_sort_onesweep_histogram_config_static_selectorELNS0_4arch9wavefront6targetE0EEEvSD_
; %bb.0:
	.section	.rodata,"a",@progbits
	.p2align	6, 0x0
	.amdhsa_kernel _ZN7rocprim17ROCPRIM_400000_NS6detail17trampoline_kernelINS0_14default_configENS1_35radix_sort_onesweep_config_selectorItNS0_10empty_typeEEEZNS1_34radix_sort_onesweep_global_offsetsIS3_Lb1EPKtPS5_mNS0_19identity_decomposerEEE10hipError_tT1_T2_PT3_SF_jT4_jjP12ihipStream_tbEUlT_E0_NS1_11comp_targetILNS1_3genE3ELNS1_11target_archE908ELNS1_3gpuE7ELNS1_3repE0EEENS1_52radix_sort_onesweep_histogram_config_static_selectorELNS0_4arch9wavefront6targetE0EEEvSD_
		.amdhsa_group_segment_fixed_size 0
		.amdhsa_private_segment_fixed_size 0
		.amdhsa_kernarg_size 8
		.amdhsa_user_sgpr_count 2
		.amdhsa_user_sgpr_dispatch_ptr 0
		.amdhsa_user_sgpr_queue_ptr 0
		.amdhsa_user_sgpr_kernarg_segment_ptr 1
		.amdhsa_user_sgpr_dispatch_id 0
		.amdhsa_user_sgpr_kernarg_preload_length 0
		.amdhsa_user_sgpr_kernarg_preload_offset 0
		.amdhsa_user_sgpr_private_segment_size 0
		.amdhsa_wavefront_size32 1
		.amdhsa_uses_dynamic_stack 0
		.amdhsa_enable_private_segment 0
		.amdhsa_system_sgpr_workgroup_id_x 1
		.amdhsa_system_sgpr_workgroup_id_y 0
		.amdhsa_system_sgpr_workgroup_id_z 0
		.amdhsa_system_sgpr_workgroup_info 0
		.amdhsa_system_vgpr_workitem_id 0
		.amdhsa_next_free_vgpr 1
		.amdhsa_next_free_sgpr 1
		.amdhsa_named_barrier_count 0
		.amdhsa_reserve_vcc 0
		.amdhsa_float_round_mode_32 0
		.amdhsa_float_round_mode_16_64 0
		.amdhsa_float_denorm_mode_32 3
		.amdhsa_float_denorm_mode_16_64 3
		.amdhsa_fp16_overflow 0
		.amdhsa_memory_ordered 1
		.amdhsa_forward_progress 1
		.amdhsa_inst_pref_size 0
		.amdhsa_round_robin_scheduling 0
		.amdhsa_exception_fp_ieee_invalid_op 0
		.amdhsa_exception_fp_denorm_src 0
		.amdhsa_exception_fp_ieee_div_zero 0
		.amdhsa_exception_fp_ieee_overflow 0
		.amdhsa_exception_fp_ieee_underflow 0
		.amdhsa_exception_fp_ieee_inexact 0
		.amdhsa_exception_int_div_zero 0
	.end_amdhsa_kernel
	.section	.text._ZN7rocprim17ROCPRIM_400000_NS6detail17trampoline_kernelINS0_14default_configENS1_35radix_sort_onesweep_config_selectorItNS0_10empty_typeEEEZNS1_34radix_sort_onesweep_global_offsetsIS3_Lb1EPKtPS5_mNS0_19identity_decomposerEEE10hipError_tT1_T2_PT3_SF_jT4_jjP12ihipStream_tbEUlT_E0_NS1_11comp_targetILNS1_3genE3ELNS1_11target_archE908ELNS1_3gpuE7ELNS1_3repE0EEENS1_52radix_sort_onesweep_histogram_config_static_selectorELNS0_4arch9wavefront6targetE0EEEvSD_,"axG",@progbits,_ZN7rocprim17ROCPRIM_400000_NS6detail17trampoline_kernelINS0_14default_configENS1_35radix_sort_onesweep_config_selectorItNS0_10empty_typeEEEZNS1_34radix_sort_onesweep_global_offsetsIS3_Lb1EPKtPS5_mNS0_19identity_decomposerEEE10hipError_tT1_T2_PT3_SF_jT4_jjP12ihipStream_tbEUlT_E0_NS1_11comp_targetILNS1_3genE3ELNS1_11target_archE908ELNS1_3gpuE7ELNS1_3repE0EEENS1_52radix_sort_onesweep_histogram_config_static_selectorELNS0_4arch9wavefront6targetE0EEEvSD_,comdat
.Lfunc_end2374:
	.size	_ZN7rocprim17ROCPRIM_400000_NS6detail17trampoline_kernelINS0_14default_configENS1_35radix_sort_onesweep_config_selectorItNS0_10empty_typeEEEZNS1_34radix_sort_onesweep_global_offsetsIS3_Lb1EPKtPS5_mNS0_19identity_decomposerEEE10hipError_tT1_T2_PT3_SF_jT4_jjP12ihipStream_tbEUlT_E0_NS1_11comp_targetILNS1_3genE3ELNS1_11target_archE908ELNS1_3gpuE7ELNS1_3repE0EEENS1_52radix_sort_onesweep_histogram_config_static_selectorELNS0_4arch9wavefront6targetE0EEEvSD_, .Lfunc_end2374-_ZN7rocprim17ROCPRIM_400000_NS6detail17trampoline_kernelINS0_14default_configENS1_35radix_sort_onesweep_config_selectorItNS0_10empty_typeEEEZNS1_34radix_sort_onesweep_global_offsetsIS3_Lb1EPKtPS5_mNS0_19identity_decomposerEEE10hipError_tT1_T2_PT3_SF_jT4_jjP12ihipStream_tbEUlT_E0_NS1_11comp_targetILNS1_3genE3ELNS1_11target_archE908ELNS1_3gpuE7ELNS1_3repE0EEENS1_52radix_sort_onesweep_histogram_config_static_selectorELNS0_4arch9wavefront6targetE0EEEvSD_
                                        ; -- End function
	.set _ZN7rocprim17ROCPRIM_400000_NS6detail17trampoline_kernelINS0_14default_configENS1_35radix_sort_onesweep_config_selectorItNS0_10empty_typeEEEZNS1_34radix_sort_onesweep_global_offsetsIS3_Lb1EPKtPS5_mNS0_19identity_decomposerEEE10hipError_tT1_T2_PT3_SF_jT4_jjP12ihipStream_tbEUlT_E0_NS1_11comp_targetILNS1_3genE3ELNS1_11target_archE908ELNS1_3gpuE7ELNS1_3repE0EEENS1_52radix_sort_onesweep_histogram_config_static_selectorELNS0_4arch9wavefront6targetE0EEEvSD_.num_vgpr, 0
	.set _ZN7rocprim17ROCPRIM_400000_NS6detail17trampoline_kernelINS0_14default_configENS1_35radix_sort_onesweep_config_selectorItNS0_10empty_typeEEEZNS1_34radix_sort_onesweep_global_offsetsIS3_Lb1EPKtPS5_mNS0_19identity_decomposerEEE10hipError_tT1_T2_PT3_SF_jT4_jjP12ihipStream_tbEUlT_E0_NS1_11comp_targetILNS1_3genE3ELNS1_11target_archE908ELNS1_3gpuE7ELNS1_3repE0EEENS1_52radix_sort_onesweep_histogram_config_static_selectorELNS0_4arch9wavefront6targetE0EEEvSD_.num_agpr, 0
	.set _ZN7rocprim17ROCPRIM_400000_NS6detail17trampoline_kernelINS0_14default_configENS1_35radix_sort_onesweep_config_selectorItNS0_10empty_typeEEEZNS1_34radix_sort_onesweep_global_offsetsIS3_Lb1EPKtPS5_mNS0_19identity_decomposerEEE10hipError_tT1_T2_PT3_SF_jT4_jjP12ihipStream_tbEUlT_E0_NS1_11comp_targetILNS1_3genE3ELNS1_11target_archE908ELNS1_3gpuE7ELNS1_3repE0EEENS1_52radix_sort_onesweep_histogram_config_static_selectorELNS0_4arch9wavefront6targetE0EEEvSD_.numbered_sgpr, 0
	.set _ZN7rocprim17ROCPRIM_400000_NS6detail17trampoline_kernelINS0_14default_configENS1_35radix_sort_onesweep_config_selectorItNS0_10empty_typeEEEZNS1_34radix_sort_onesweep_global_offsetsIS3_Lb1EPKtPS5_mNS0_19identity_decomposerEEE10hipError_tT1_T2_PT3_SF_jT4_jjP12ihipStream_tbEUlT_E0_NS1_11comp_targetILNS1_3genE3ELNS1_11target_archE908ELNS1_3gpuE7ELNS1_3repE0EEENS1_52radix_sort_onesweep_histogram_config_static_selectorELNS0_4arch9wavefront6targetE0EEEvSD_.num_named_barrier, 0
	.set _ZN7rocprim17ROCPRIM_400000_NS6detail17trampoline_kernelINS0_14default_configENS1_35radix_sort_onesweep_config_selectorItNS0_10empty_typeEEEZNS1_34radix_sort_onesweep_global_offsetsIS3_Lb1EPKtPS5_mNS0_19identity_decomposerEEE10hipError_tT1_T2_PT3_SF_jT4_jjP12ihipStream_tbEUlT_E0_NS1_11comp_targetILNS1_3genE3ELNS1_11target_archE908ELNS1_3gpuE7ELNS1_3repE0EEENS1_52radix_sort_onesweep_histogram_config_static_selectorELNS0_4arch9wavefront6targetE0EEEvSD_.private_seg_size, 0
	.set _ZN7rocprim17ROCPRIM_400000_NS6detail17trampoline_kernelINS0_14default_configENS1_35radix_sort_onesweep_config_selectorItNS0_10empty_typeEEEZNS1_34radix_sort_onesweep_global_offsetsIS3_Lb1EPKtPS5_mNS0_19identity_decomposerEEE10hipError_tT1_T2_PT3_SF_jT4_jjP12ihipStream_tbEUlT_E0_NS1_11comp_targetILNS1_3genE3ELNS1_11target_archE908ELNS1_3gpuE7ELNS1_3repE0EEENS1_52radix_sort_onesweep_histogram_config_static_selectorELNS0_4arch9wavefront6targetE0EEEvSD_.uses_vcc, 0
	.set _ZN7rocprim17ROCPRIM_400000_NS6detail17trampoline_kernelINS0_14default_configENS1_35radix_sort_onesweep_config_selectorItNS0_10empty_typeEEEZNS1_34radix_sort_onesweep_global_offsetsIS3_Lb1EPKtPS5_mNS0_19identity_decomposerEEE10hipError_tT1_T2_PT3_SF_jT4_jjP12ihipStream_tbEUlT_E0_NS1_11comp_targetILNS1_3genE3ELNS1_11target_archE908ELNS1_3gpuE7ELNS1_3repE0EEENS1_52radix_sort_onesweep_histogram_config_static_selectorELNS0_4arch9wavefront6targetE0EEEvSD_.uses_flat_scratch, 0
	.set _ZN7rocprim17ROCPRIM_400000_NS6detail17trampoline_kernelINS0_14default_configENS1_35radix_sort_onesweep_config_selectorItNS0_10empty_typeEEEZNS1_34radix_sort_onesweep_global_offsetsIS3_Lb1EPKtPS5_mNS0_19identity_decomposerEEE10hipError_tT1_T2_PT3_SF_jT4_jjP12ihipStream_tbEUlT_E0_NS1_11comp_targetILNS1_3genE3ELNS1_11target_archE908ELNS1_3gpuE7ELNS1_3repE0EEENS1_52radix_sort_onesweep_histogram_config_static_selectorELNS0_4arch9wavefront6targetE0EEEvSD_.has_dyn_sized_stack, 0
	.set _ZN7rocprim17ROCPRIM_400000_NS6detail17trampoline_kernelINS0_14default_configENS1_35radix_sort_onesweep_config_selectorItNS0_10empty_typeEEEZNS1_34radix_sort_onesweep_global_offsetsIS3_Lb1EPKtPS5_mNS0_19identity_decomposerEEE10hipError_tT1_T2_PT3_SF_jT4_jjP12ihipStream_tbEUlT_E0_NS1_11comp_targetILNS1_3genE3ELNS1_11target_archE908ELNS1_3gpuE7ELNS1_3repE0EEENS1_52radix_sort_onesweep_histogram_config_static_selectorELNS0_4arch9wavefront6targetE0EEEvSD_.has_recursion, 0
	.set _ZN7rocprim17ROCPRIM_400000_NS6detail17trampoline_kernelINS0_14default_configENS1_35radix_sort_onesweep_config_selectorItNS0_10empty_typeEEEZNS1_34radix_sort_onesweep_global_offsetsIS3_Lb1EPKtPS5_mNS0_19identity_decomposerEEE10hipError_tT1_T2_PT3_SF_jT4_jjP12ihipStream_tbEUlT_E0_NS1_11comp_targetILNS1_3genE3ELNS1_11target_archE908ELNS1_3gpuE7ELNS1_3repE0EEENS1_52radix_sort_onesweep_histogram_config_static_selectorELNS0_4arch9wavefront6targetE0EEEvSD_.has_indirect_call, 0
	.section	.AMDGPU.csdata,"",@progbits
; Kernel info:
; codeLenInByte = 0
; TotalNumSgprs: 0
; NumVgprs: 0
; ScratchSize: 0
; MemoryBound: 0
; FloatMode: 240
; IeeeMode: 1
; LDSByteSize: 0 bytes/workgroup (compile time only)
; SGPRBlocks: 0
; VGPRBlocks: 0
; NumSGPRsForWavesPerEU: 1
; NumVGPRsForWavesPerEU: 1
; NamedBarCnt: 0
; Occupancy: 16
; WaveLimiterHint : 0
; COMPUTE_PGM_RSRC2:SCRATCH_EN: 0
; COMPUTE_PGM_RSRC2:USER_SGPR: 2
; COMPUTE_PGM_RSRC2:TRAP_HANDLER: 0
; COMPUTE_PGM_RSRC2:TGID_X_EN: 1
; COMPUTE_PGM_RSRC2:TGID_Y_EN: 0
; COMPUTE_PGM_RSRC2:TGID_Z_EN: 0
; COMPUTE_PGM_RSRC2:TIDIG_COMP_CNT: 0
	.section	.text._ZN7rocprim17ROCPRIM_400000_NS6detail17trampoline_kernelINS0_14default_configENS1_35radix_sort_onesweep_config_selectorItNS0_10empty_typeEEEZNS1_34radix_sort_onesweep_global_offsetsIS3_Lb1EPKtPS5_mNS0_19identity_decomposerEEE10hipError_tT1_T2_PT3_SF_jT4_jjP12ihipStream_tbEUlT_E0_NS1_11comp_targetILNS1_3genE10ELNS1_11target_archE1201ELNS1_3gpuE5ELNS1_3repE0EEENS1_52radix_sort_onesweep_histogram_config_static_selectorELNS0_4arch9wavefront6targetE0EEEvSD_,"axG",@progbits,_ZN7rocprim17ROCPRIM_400000_NS6detail17trampoline_kernelINS0_14default_configENS1_35radix_sort_onesweep_config_selectorItNS0_10empty_typeEEEZNS1_34radix_sort_onesweep_global_offsetsIS3_Lb1EPKtPS5_mNS0_19identity_decomposerEEE10hipError_tT1_T2_PT3_SF_jT4_jjP12ihipStream_tbEUlT_E0_NS1_11comp_targetILNS1_3genE10ELNS1_11target_archE1201ELNS1_3gpuE5ELNS1_3repE0EEENS1_52radix_sort_onesweep_histogram_config_static_selectorELNS0_4arch9wavefront6targetE0EEEvSD_,comdat
	.protected	_ZN7rocprim17ROCPRIM_400000_NS6detail17trampoline_kernelINS0_14default_configENS1_35radix_sort_onesweep_config_selectorItNS0_10empty_typeEEEZNS1_34radix_sort_onesweep_global_offsetsIS3_Lb1EPKtPS5_mNS0_19identity_decomposerEEE10hipError_tT1_T2_PT3_SF_jT4_jjP12ihipStream_tbEUlT_E0_NS1_11comp_targetILNS1_3genE10ELNS1_11target_archE1201ELNS1_3gpuE5ELNS1_3repE0EEENS1_52radix_sort_onesweep_histogram_config_static_selectorELNS0_4arch9wavefront6targetE0EEEvSD_ ; -- Begin function _ZN7rocprim17ROCPRIM_400000_NS6detail17trampoline_kernelINS0_14default_configENS1_35radix_sort_onesweep_config_selectorItNS0_10empty_typeEEEZNS1_34radix_sort_onesweep_global_offsetsIS3_Lb1EPKtPS5_mNS0_19identity_decomposerEEE10hipError_tT1_T2_PT3_SF_jT4_jjP12ihipStream_tbEUlT_E0_NS1_11comp_targetILNS1_3genE10ELNS1_11target_archE1201ELNS1_3gpuE5ELNS1_3repE0EEENS1_52radix_sort_onesweep_histogram_config_static_selectorELNS0_4arch9wavefront6targetE0EEEvSD_
	.globl	_ZN7rocprim17ROCPRIM_400000_NS6detail17trampoline_kernelINS0_14default_configENS1_35radix_sort_onesweep_config_selectorItNS0_10empty_typeEEEZNS1_34radix_sort_onesweep_global_offsetsIS3_Lb1EPKtPS5_mNS0_19identity_decomposerEEE10hipError_tT1_T2_PT3_SF_jT4_jjP12ihipStream_tbEUlT_E0_NS1_11comp_targetILNS1_3genE10ELNS1_11target_archE1201ELNS1_3gpuE5ELNS1_3repE0EEENS1_52radix_sort_onesweep_histogram_config_static_selectorELNS0_4arch9wavefront6targetE0EEEvSD_
	.p2align	8
	.type	_ZN7rocprim17ROCPRIM_400000_NS6detail17trampoline_kernelINS0_14default_configENS1_35radix_sort_onesweep_config_selectorItNS0_10empty_typeEEEZNS1_34radix_sort_onesweep_global_offsetsIS3_Lb1EPKtPS5_mNS0_19identity_decomposerEEE10hipError_tT1_T2_PT3_SF_jT4_jjP12ihipStream_tbEUlT_E0_NS1_11comp_targetILNS1_3genE10ELNS1_11target_archE1201ELNS1_3gpuE5ELNS1_3repE0EEENS1_52radix_sort_onesweep_histogram_config_static_selectorELNS0_4arch9wavefront6targetE0EEEvSD_,@function
_ZN7rocprim17ROCPRIM_400000_NS6detail17trampoline_kernelINS0_14default_configENS1_35radix_sort_onesweep_config_selectorItNS0_10empty_typeEEEZNS1_34radix_sort_onesweep_global_offsetsIS3_Lb1EPKtPS5_mNS0_19identity_decomposerEEE10hipError_tT1_T2_PT3_SF_jT4_jjP12ihipStream_tbEUlT_E0_NS1_11comp_targetILNS1_3genE10ELNS1_11target_archE1201ELNS1_3gpuE5ELNS1_3repE0EEENS1_52radix_sort_onesweep_histogram_config_static_selectorELNS0_4arch9wavefront6targetE0EEEvSD_: ; @_ZN7rocprim17ROCPRIM_400000_NS6detail17trampoline_kernelINS0_14default_configENS1_35radix_sort_onesweep_config_selectorItNS0_10empty_typeEEEZNS1_34radix_sort_onesweep_global_offsetsIS3_Lb1EPKtPS5_mNS0_19identity_decomposerEEE10hipError_tT1_T2_PT3_SF_jT4_jjP12ihipStream_tbEUlT_E0_NS1_11comp_targetILNS1_3genE10ELNS1_11target_archE1201ELNS1_3gpuE5ELNS1_3repE0EEENS1_52radix_sort_onesweep_histogram_config_static_selectorELNS0_4arch9wavefront6targetE0EEEvSD_
; %bb.0:
	.section	.rodata,"a",@progbits
	.p2align	6, 0x0
	.amdhsa_kernel _ZN7rocprim17ROCPRIM_400000_NS6detail17trampoline_kernelINS0_14default_configENS1_35radix_sort_onesweep_config_selectorItNS0_10empty_typeEEEZNS1_34radix_sort_onesweep_global_offsetsIS3_Lb1EPKtPS5_mNS0_19identity_decomposerEEE10hipError_tT1_T2_PT3_SF_jT4_jjP12ihipStream_tbEUlT_E0_NS1_11comp_targetILNS1_3genE10ELNS1_11target_archE1201ELNS1_3gpuE5ELNS1_3repE0EEENS1_52radix_sort_onesweep_histogram_config_static_selectorELNS0_4arch9wavefront6targetE0EEEvSD_
		.amdhsa_group_segment_fixed_size 0
		.amdhsa_private_segment_fixed_size 0
		.amdhsa_kernarg_size 8
		.amdhsa_user_sgpr_count 2
		.amdhsa_user_sgpr_dispatch_ptr 0
		.amdhsa_user_sgpr_queue_ptr 0
		.amdhsa_user_sgpr_kernarg_segment_ptr 1
		.amdhsa_user_sgpr_dispatch_id 0
		.amdhsa_user_sgpr_kernarg_preload_length 0
		.amdhsa_user_sgpr_kernarg_preload_offset 0
		.amdhsa_user_sgpr_private_segment_size 0
		.amdhsa_wavefront_size32 1
		.amdhsa_uses_dynamic_stack 0
		.amdhsa_enable_private_segment 0
		.amdhsa_system_sgpr_workgroup_id_x 1
		.amdhsa_system_sgpr_workgroup_id_y 0
		.amdhsa_system_sgpr_workgroup_id_z 0
		.amdhsa_system_sgpr_workgroup_info 0
		.amdhsa_system_vgpr_workitem_id 0
		.amdhsa_next_free_vgpr 1
		.amdhsa_next_free_sgpr 1
		.amdhsa_named_barrier_count 0
		.amdhsa_reserve_vcc 0
		.amdhsa_float_round_mode_32 0
		.amdhsa_float_round_mode_16_64 0
		.amdhsa_float_denorm_mode_32 3
		.amdhsa_float_denorm_mode_16_64 3
		.amdhsa_fp16_overflow 0
		.amdhsa_memory_ordered 1
		.amdhsa_forward_progress 1
		.amdhsa_inst_pref_size 0
		.amdhsa_round_robin_scheduling 0
		.amdhsa_exception_fp_ieee_invalid_op 0
		.amdhsa_exception_fp_denorm_src 0
		.amdhsa_exception_fp_ieee_div_zero 0
		.amdhsa_exception_fp_ieee_overflow 0
		.amdhsa_exception_fp_ieee_underflow 0
		.amdhsa_exception_fp_ieee_inexact 0
		.amdhsa_exception_int_div_zero 0
	.end_amdhsa_kernel
	.section	.text._ZN7rocprim17ROCPRIM_400000_NS6detail17trampoline_kernelINS0_14default_configENS1_35radix_sort_onesweep_config_selectorItNS0_10empty_typeEEEZNS1_34radix_sort_onesweep_global_offsetsIS3_Lb1EPKtPS5_mNS0_19identity_decomposerEEE10hipError_tT1_T2_PT3_SF_jT4_jjP12ihipStream_tbEUlT_E0_NS1_11comp_targetILNS1_3genE10ELNS1_11target_archE1201ELNS1_3gpuE5ELNS1_3repE0EEENS1_52radix_sort_onesweep_histogram_config_static_selectorELNS0_4arch9wavefront6targetE0EEEvSD_,"axG",@progbits,_ZN7rocprim17ROCPRIM_400000_NS6detail17trampoline_kernelINS0_14default_configENS1_35radix_sort_onesweep_config_selectorItNS0_10empty_typeEEEZNS1_34radix_sort_onesweep_global_offsetsIS3_Lb1EPKtPS5_mNS0_19identity_decomposerEEE10hipError_tT1_T2_PT3_SF_jT4_jjP12ihipStream_tbEUlT_E0_NS1_11comp_targetILNS1_3genE10ELNS1_11target_archE1201ELNS1_3gpuE5ELNS1_3repE0EEENS1_52radix_sort_onesweep_histogram_config_static_selectorELNS0_4arch9wavefront6targetE0EEEvSD_,comdat
.Lfunc_end2375:
	.size	_ZN7rocprim17ROCPRIM_400000_NS6detail17trampoline_kernelINS0_14default_configENS1_35radix_sort_onesweep_config_selectorItNS0_10empty_typeEEEZNS1_34radix_sort_onesweep_global_offsetsIS3_Lb1EPKtPS5_mNS0_19identity_decomposerEEE10hipError_tT1_T2_PT3_SF_jT4_jjP12ihipStream_tbEUlT_E0_NS1_11comp_targetILNS1_3genE10ELNS1_11target_archE1201ELNS1_3gpuE5ELNS1_3repE0EEENS1_52radix_sort_onesweep_histogram_config_static_selectorELNS0_4arch9wavefront6targetE0EEEvSD_, .Lfunc_end2375-_ZN7rocprim17ROCPRIM_400000_NS6detail17trampoline_kernelINS0_14default_configENS1_35radix_sort_onesweep_config_selectorItNS0_10empty_typeEEEZNS1_34radix_sort_onesweep_global_offsetsIS3_Lb1EPKtPS5_mNS0_19identity_decomposerEEE10hipError_tT1_T2_PT3_SF_jT4_jjP12ihipStream_tbEUlT_E0_NS1_11comp_targetILNS1_3genE10ELNS1_11target_archE1201ELNS1_3gpuE5ELNS1_3repE0EEENS1_52radix_sort_onesweep_histogram_config_static_selectorELNS0_4arch9wavefront6targetE0EEEvSD_
                                        ; -- End function
	.set _ZN7rocprim17ROCPRIM_400000_NS6detail17trampoline_kernelINS0_14default_configENS1_35radix_sort_onesweep_config_selectorItNS0_10empty_typeEEEZNS1_34radix_sort_onesweep_global_offsetsIS3_Lb1EPKtPS5_mNS0_19identity_decomposerEEE10hipError_tT1_T2_PT3_SF_jT4_jjP12ihipStream_tbEUlT_E0_NS1_11comp_targetILNS1_3genE10ELNS1_11target_archE1201ELNS1_3gpuE5ELNS1_3repE0EEENS1_52radix_sort_onesweep_histogram_config_static_selectorELNS0_4arch9wavefront6targetE0EEEvSD_.num_vgpr, 0
	.set _ZN7rocprim17ROCPRIM_400000_NS6detail17trampoline_kernelINS0_14default_configENS1_35radix_sort_onesweep_config_selectorItNS0_10empty_typeEEEZNS1_34radix_sort_onesweep_global_offsetsIS3_Lb1EPKtPS5_mNS0_19identity_decomposerEEE10hipError_tT1_T2_PT3_SF_jT4_jjP12ihipStream_tbEUlT_E0_NS1_11comp_targetILNS1_3genE10ELNS1_11target_archE1201ELNS1_3gpuE5ELNS1_3repE0EEENS1_52radix_sort_onesweep_histogram_config_static_selectorELNS0_4arch9wavefront6targetE0EEEvSD_.num_agpr, 0
	.set _ZN7rocprim17ROCPRIM_400000_NS6detail17trampoline_kernelINS0_14default_configENS1_35radix_sort_onesweep_config_selectorItNS0_10empty_typeEEEZNS1_34radix_sort_onesweep_global_offsetsIS3_Lb1EPKtPS5_mNS0_19identity_decomposerEEE10hipError_tT1_T2_PT3_SF_jT4_jjP12ihipStream_tbEUlT_E0_NS1_11comp_targetILNS1_3genE10ELNS1_11target_archE1201ELNS1_3gpuE5ELNS1_3repE0EEENS1_52radix_sort_onesweep_histogram_config_static_selectorELNS0_4arch9wavefront6targetE0EEEvSD_.numbered_sgpr, 0
	.set _ZN7rocprim17ROCPRIM_400000_NS6detail17trampoline_kernelINS0_14default_configENS1_35radix_sort_onesweep_config_selectorItNS0_10empty_typeEEEZNS1_34radix_sort_onesweep_global_offsetsIS3_Lb1EPKtPS5_mNS0_19identity_decomposerEEE10hipError_tT1_T2_PT3_SF_jT4_jjP12ihipStream_tbEUlT_E0_NS1_11comp_targetILNS1_3genE10ELNS1_11target_archE1201ELNS1_3gpuE5ELNS1_3repE0EEENS1_52radix_sort_onesweep_histogram_config_static_selectorELNS0_4arch9wavefront6targetE0EEEvSD_.num_named_barrier, 0
	.set _ZN7rocprim17ROCPRIM_400000_NS6detail17trampoline_kernelINS0_14default_configENS1_35radix_sort_onesweep_config_selectorItNS0_10empty_typeEEEZNS1_34radix_sort_onesweep_global_offsetsIS3_Lb1EPKtPS5_mNS0_19identity_decomposerEEE10hipError_tT1_T2_PT3_SF_jT4_jjP12ihipStream_tbEUlT_E0_NS1_11comp_targetILNS1_3genE10ELNS1_11target_archE1201ELNS1_3gpuE5ELNS1_3repE0EEENS1_52radix_sort_onesweep_histogram_config_static_selectorELNS0_4arch9wavefront6targetE0EEEvSD_.private_seg_size, 0
	.set _ZN7rocprim17ROCPRIM_400000_NS6detail17trampoline_kernelINS0_14default_configENS1_35radix_sort_onesweep_config_selectorItNS0_10empty_typeEEEZNS1_34radix_sort_onesweep_global_offsetsIS3_Lb1EPKtPS5_mNS0_19identity_decomposerEEE10hipError_tT1_T2_PT3_SF_jT4_jjP12ihipStream_tbEUlT_E0_NS1_11comp_targetILNS1_3genE10ELNS1_11target_archE1201ELNS1_3gpuE5ELNS1_3repE0EEENS1_52radix_sort_onesweep_histogram_config_static_selectorELNS0_4arch9wavefront6targetE0EEEvSD_.uses_vcc, 0
	.set _ZN7rocprim17ROCPRIM_400000_NS6detail17trampoline_kernelINS0_14default_configENS1_35radix_sort_onesweep_config_selectorItNS0_10empty_typeEEEZNS1_34radix_sort_onesweep_global_offsetsIS3_Lb1EPKtPS5_mNS0_19identity_decomposerEEE10hipError_tT1_T2_PT3_SF_jT4_jjP12ihipStream_tbEUlT_E0_NS1_11comp_targetILNS1_3genE10ELNS1_11target_archE1201ELNS1_3gpuE5ELNS1_3repE0EEENS1_52radix_sort_onesweep_histogram_config_static_selectorELNS0_4arch9wavefront6targetE0EEEvSD_.uses_flat_scratch, 0
	.set _ZN7rocprim17ROCPRIM_400000_NS6detail17trampoline_kernelINS0_14default_configENS1_35radix_sort_onesweep_config_selectorItNS0_10empty_typeEEEZNS1_34radix_sort_onesweep_global_offsetsIS3_Lb1EPKtPS5_mNS0_19identity_decomposerEEE10hipError_tT1_T2_PT3_SF_jT4_jjP12ihipStream_tbEUlT_E0_NS1_11comp_targetILNS1_3genE10ELNS1_11target_archE1201ELNS1_3gpuE5ELNS1_3repE0EEENS1_52radix_sort_onesweep_histogram_config_static_selectorELNS0_4arch9wavefront6targetE0EEEvSD_.has_dyn_sized_stack, 0
	.set _ZN7rocprim17ROCPRIM_400000_NS6detail17trampoline_kernelINS0_14default_configENS1_35radix_sort_onesweep_config_selectorItNS0_10empty_typeEEEZNS1_34radix_sort_onesweep_global_offsetsIS3_Lb1EPKtPS5_mNS0_19identity_decomposerEEE10hipError_tT1_T2_PT3_SF_jT4_jjP12ihipStream_tbEUlT_E0_NS1_11comp_targetILNS1_3genE10ELNS1_11target_archE1201ELNS1_3gpuE5ELNS1_3repE0EEENS1_52radix_sort_onesweep_histogram_config_static_selectorELNS0_4arch9wavefront6targetE0EEEvSD_.has_recursion, 0
	.set _ZN7rocprim17ROCPRIM_400000_NS6detail17trampoline_kernelINS0_14default_configENS1_35radix_sort_onesweep_config_selectorItNS0_10empty_typeEEEZNS1_34radix_sort_onesweep_global_offsetsIS3_Lb1EPKtPS5_mNS0_19identity_decomposerEEE10hipError_tT1_T2_PT3_SF_jT4_jjP12ihipStream_tbEUlT_E0_NS1_11comp_targetILNS1_3genE10ELNS1_11target_archE1201ELNS1_3gpuE5ELNS1_3repE0EEENS1_52radix_sort_onesweep_histogram_config_static_selectorELNS0_4arch9wavefront6targetE0EEEvSD_.has_indirect_call, 0
	.section	.AMDGPU.csdata,"",@progbits
; Kernel info:
; codeLenInByte = 0
; TotalNumSgprs: 0
; NumVgprs: 0
; ScratchSize: 0
; MemoryBound: 0
; FloatMode: 240
; IeeeMode: 1
; LDSByteSize: 0 bytes/workgroup (compile time only)
; SGPRBlocks: 0
; VGPRBlocks: 0
; NumSGPRsForWavesPerEU: 1
; NumVGPRsForWavesPerEU: 1
; NamedBarCnt: 0
; Occupancy: 16
; WaveLimiterHint : 0
; COMPUTE_PGM_RSRC2:SCRATCH_EN: 0
; COMPUTE_PGM_RSRC2:USER_SGPR: 2
; COMPUTE_PGM_RSRC2:TRAP_HANDLER: 0
; COMPUTE_PGM_RSRC2:TGID_X_EN: 1
; COMPUTE_PGM_RSRC2:TGID_Y_EN: 0
; COMPUTE_PGM_RSRC2:TGID_Z_EN: 0
; COMPUTE_PGM_RSRC2:TIDIG_COMP_CNT: 0
	.section	.text._ZN7rocprim17ROCPRIM_400000_NS6detail17trampoline_kernelINS0_14default_configENS1_35radix_sort_onesweep_config_selectorItNS0_10empty_typeEEEZNS1_34radix_sort_onesweep_global_offsetsIS3_Lb1EPKtPS5_mNS0_19identity_decomposerEEE10hipError_tT1_T2_PT3_SF_jT4_jjP12ihipStream_tbEUlT_E0_NS1_11comp_targetILNS1_3genE9ELNS1_11target_archE1100ELNS1_3gpuE3ELNS1_3repE0EEENS1_52radix_sort_onesweep_histogram_config_static_selectorELNS0_4arch9wavefront6targetE0EEEvSD_,"axG",@progbits,_ZN7rocprim17ROCPRIM_400000_NS6detail17trampoline_kernelINS0_14default_configENS1_35radix_sort_onesweep_config_selectorItNS0_10empty_typeEEEZNS1_34radix_sort_onesweep_global_offsetsIS3_Lb1EPKtPS5_mNS0_19identity_decomposerEEE10hipError_tT1_T2_PT3_SF_jT4_jjP12ihipStream_tbEUlT_E0_NS1_11comp_targetILNS1_3genE9ELNS1_11target_archE1100ELNS1_3gpuE3ELNS1_3repE0EEENS1_52radix_sort_onesweep_histogram_config_static_selectorELNS0_4arch9wavefront6targetE0EEEvSD_,comdat
	.protected	_ZN7rocprim17ROCPRIM_400000_NS6detail17trampoline_kernelINS0_14default_configENS1_35radix_sort_onesweep_config_selectorItNS0_10empty_typeEEEZNS1_34radix_sort_onesweep_global_offsetsIS3_Lb1EPKtPS5_mNS0_19identity_decomposerEEE10hipError_tT1_T2_PT3_SF_jT4_jjP12ihipStream_tbEUlT_E0_NS1_11comp_targetILNS1_3genE9ELNS1_11target_archE1100ELNS1_3gpuE3ELNS1_3repE0EEENS1_52radix_sort_onesweep_histogram_config_static_selectorELNS0_4arch9wavefront6targetE0EEEvSD_ ; -- Begin function _ZN7rocprim17ROCPRIM_400000_NS6detail17trampoline_kernelINS0_14default_configENS1_35radix_sort_onesweep_config_selectorItNS0_10empty_typeEEEZNS1_34radix_sort_onesweep_global_offsetsIS3_Lb1EPKtPS5_mNS0_19identity_decomposerEEE10hipError_tT1_T2_PT3_SF_jT4_jjP12ihipStream_tbEUlT_E0_NS1_11comp_targetILNS1_3genE9ELNS1_11target_archE1100ELNS1_3gpuE3ELNS1_3repE0EEENS1_52radix_sort_onesweep_histogram_config_static_selectorELNS0_4arch9wavefront6targetE0EEEvSD_
	.globl	_ZN7rocprim17ROCPRIM_400000_NS6detail17trampoline_kernelINS0_14default_configENS1_35radix_sort_onesweep_config_selectorItNS0_10empty_typeEEEZNS1_34radix_sort_onesweep_global_offsetsIS3_Lb1EPKtPS5_mNS0_19identity_decomposerEEE10hipError_tT1_T2_PT3_SF_jT4_jjP12ihipStream_tbEUlT_E0_NS1_11comp_targetILNS1_3genE9ELNS1_11target_archE1100ELNS1_3gpuE3ELNS1_3repE0EEENS1_52radix_sort_onesweep_histogram_config_static_selectorELNS0_4arch9wavefront6targetE0EEEvSD_
	.p2align	8
	.type	_ZN7rocprim17ROCPRIM_400000_NS6detail17trampoline_kernelINS0_14default_configENS1_35radix_sort_onesweep_config_selectorItNS0_10empty_typeEEEZNS1_34radix_sort_onesweep_global_offsetsIS3_Lb1EPKtPS5_mNS0_19identity_decomposerEEE10hipError_tT1_T2_PT3_SF_jT4_jjP12ihipStream_tbEUlT_E0_NS1_11comp_targetILNS1_3genE9ELNS1_11target_archE1100ELNS1_3gpuE3ELNS1_3repE0EEENS1_52radix_sort_onesweep_histogram_config_static_selectorELNS0_4arch9wavefront6targetE0EEEvSD_,@function
_ZN7rocprim17ROCPRIM_400000_NS6detail17trampoline_kernelINS0_14default_configENS1_35radix_sort_onesweep_config_selectorItNS0_10empty_typeEEEZNS1_34radix_sort_onesweep_global_offsetsIS3_Lb1EPKtPS5_mNS0_19identity_decomposerEEE10hipError_tT1_T2_PT3_SF_jT4_jjP12ihipStream_tbEUlT_E0_NS1_11comp_targetILNS1_3genE9ELNS1_11target_archE1100ELNS1_3gpuE3ELNS1_3repE0EEENS1_52radix_sort_onesweep_histogram_config_static_selectorELNS0_4arch9wavefront6targetE0EEEvSD_: ; @_ZN7rocprim17ROCPRIM_400000_NS6detail17trampoline_kernelINS0_14default_configENS1_35radix_sort_onesweep_config_selectorItNS0_10empty_typeEEEZNS1_34radix_sort_onesweep_global_offsetsIS3_Lb1EPKtPS5_mNS0_19identity_decomposerEEE10hipError_tT1_T2_PT3_SF_jT4_jjP12ihipStream_tbEUlT_E0_NS1_11comp_targetILNS1_3genE9ELNS1_11target_archE1100ELNS1_3gpuE3ELNS1_3repE0EEENS1_52radix_sort_onesweep_histogram_config_static_selectorELNS0_4arch9wavefront6targetE0EEEvSD_
; %bb.0:
	.section	.rodata,"a",@progbits
	.p2align	6, 0x0
	.amdhsa_kernel _ZN7rocprim17ROCPRIM_400000_NS6detail17trampoline_kernelINS0_14default_configENS1_35radix_sort_onesweep_config_selectorItNS0_10empty_typeEEEZNS1_34radix_sort_onesweep_global_offsetsIS3_Lb1EPKtPS5_mNS0_19identity_decomposerEEE10hipError_tT1_T2_PT3_SF_jT4_jjP12ihipStream_tbEUlT_E0_NS1_11comp_targetILNS1_3genE9ELNS1_11target_archE1100ELNS1_3gpuE3ELNS1_3repE0EEENS1_52radix_sort_onesweep_histogram_config_static_selectorELNS0_4arch9wavefront6targetE0EEEvSD_
		.amdhsa_group_segment_fixed_size 0
		.amdhsa_private_segment_fixed_size 0
		.amdhsa_kernarg_size 8
		.amdhsa_user_sgpr_count 2
		.amdhsa_user_sgpr_dispatch_ptr 0
		.amdhsa_user_sgpr_queue_ptr 0
		.amdhsa_user_sgpr_kernarg_segment_ptr 1
		.amdhsa_user_sgpr_dispatch_id 0
		.amdhsa_user_sgpr_kernarg_preload_length 0
		.amdhsa_user_sgpr_kernarg_preload_offset 0
		.amdhsa_user_sgpr_private_segment_size 0
		.amdhsa_wavefront_size32 1
		.amdhsa_uses_dynamic_stack 0
		.amdhsa_enable_private_segment 0
		.amdhsa_system_sgpr_workgroup_id_x 1
		.amdhsa_system_sgpr_workgroup_id_y 0
		.amdhsa_system_sgpr_workgroup_id_z 0
		.amdhsa_system_sgpr_workgroup_info 0
		.amdhsa_system_vgpr_workitem_id 0
		.amdhsa_next_free_vgpr 1
		.amdhsa_next_free_sgpr 1
		.amdhsa_named_barrier_count 0
		.amdhsa_reserve_vcc 0
		.amdhsa_float_round_mode_32 0
		.amdhsa_float_round_mode_16_64 0
		.amdhsa_float_denorm_mode_32 3
		.amdhsa_float_denorm_mode_16_64 3
		.amdhsa_fp16_overflow 0
		.amdhsa_memory_ordered 1
		.amdhsa_forward_progress 1
		.amdhsa_inst_pref_size 0
		.amdhsa_round_robin_scheduling 0
		.amdhsa_exception_fp_ieee_invalid_op 0
		.amdhsa_exception_fp_denorm_src 0
		.amdhsa_exception_fp_ieee_div_zero 0
		.amdhsa_exception_fp_ieee_overflow 0
		.amdhsa_exception_fp_ieee_underflow 0
		.amdhsa_exception_fp_ieee_inexact 0
		.amdhsa_exception_int_div_zero 0
	.end_amdhsa_kernel
	.section	.text._ZN7rocprim17ROCPRIM_400000_NS6detail17trampoline_kernelINS0_14default_configENS1_35radix_sort_onesweep_config_selectorItNS0_10empty_typeEEEZNS1_34radix_sort_onesweep_global_offsetsIS3_Lb1EPKtPS5_mNS0_19identity_decomposerEEE10hipError_tT1_T2_PT3_SF_jT4_jjP12ihipStream_tbEUlT_E0_NS1_11comp_targetILNS1_3genE9ELNS1_11target_archE1100ELNS1_3gpuE3ELNS1_3repE0EEENS1_52radix_sort_onesweep_histogram_config_static_selectorELNS0_4arch9wavefront6targetE0EEEvSD_,"axG",@progbits,_ZN7rocprim17ROCPRIM_400000_NS6detail17trampoline_kernelINS0_14default_configENS1_35radix_sort_onesweep_config_selectorItNS0_10empty_typeEEEZNS1_34radix_sort_onesweep_global_offsetsIS3_Lb1EPKtPS5_mNS0_19identity_decomposerEEE10hipError_tT1_T2_PT3_SF_jT4_jjP12ihipStream_tbEUlT_E0_NS1_11comp_targetILNS1_3genE9ELNS1_11target_archE1100ELNS1_3gpuE3ELNS1_3repE0EEENS1_52radix_sort_onesweep_histogram_config_static_selectorELNS0_4arch9wavefront6targetE0EEEvSD_,comdat
.Lfunc_end2376:
	.size	_ZN7rocprim17ROCPRIM_400000_NS6detail17trampoline_kernelINS0_14default_configENS1_35radix_sort_onesweep_config_selectorItNS0_10empty_typeEEEZNS1_34radix_sort_onesweep_global_offsetsIS3_Lb1EPKtPS5_mNS0_19identity_decomposerEEE10hipError_tT1_T2_PT3_SF_jT4_jjP12ihipStream_tbEUlT_E0_NS1_11comp_targetILNS1_3genE9ELNS1_11target_archE1100ELNS1_3gpuE3ELNS1_3repE0EEENS1_52radix_sort_onesweep_histogram_config_static_selectorELNS0_4arch9wavefront6targetE0EEEvSD_, .Lfunc_end2376-_ZN7rocprim17ROCPRIM_400000_NS6detail17trampoline_kernelINS0_14default_configENS1_35radix_sort_onesweep_config_selectorItNS0_10empty_typeEEEZNS1_34radix_sort_onesweep_global_offsetsIS3_Lb1EPKtPS5_mNS0_19identity_decomposerEEE10hipError_tT1_T2_PT3_SF_jT4_jjP12ihipStream_tbEUlT_E0_NS1_11comp_targetILNS1_3genE9ELNS1_11target_archE1100ELNS1_3gpuE3ELNS1_3repE0EEENS1_52radix_sort_onesweep_histogram_config_static_selectorELNS0_4arch9wavefront6targetE0EEEvSD_
                                        ; -- End function
	.set _ZN7rocprim17ROCPRIM_400000_NS6detail17trampoline_kernelINS0_14default_configENS1_35radix_sort_onesweep_config_selectorItNS0_10empty_typeEEEZNS1_34radix_sort_onesweep_global_offsetsIS3_Lb1EPKtPS5_mNS0_19identity_decomposerEEE10hipError_tT1_T2_PT3_SF_jT4_jjP12ihipStream_tbEUlT_E0_NS1_11comp_targetILNS1_3genE9ELNS1_11target_archE1100ELNS1_3gpuE3ELNS1_3repE0EEENS1_52radix_sort_onesweep_histogram_config_static_selectorELNS0_4arch9wavefront6targetE0EEEvSD_.num_vgpr, 0
	.set _ZN7rocprim17ROCPRIM_400000_NS6detail17trampoline_kernelINS0_14default_configENS1_35radix_sort_onesweep_config_selectorItNS0_10empty_typeEEEZNS1_34radix_sort_onesweep_global_offsetsIS3_Lb1EPKtPS5_mNS0_19identity_decomposerEEE10hipError_tT1_T2_PT3_SF_jT4_jjP12ihipStream_tbEUlT_E0_NS1_11comp_targetILNS1_3genE9ELNS1_11target_archE1100ELNS1_3gpuE3ELNS1_3repE0EEENS1_52radix_sort_onesweep_histogram_config_static_selectorELNS0_4arch9wavefront6targetE0EEEvSD_.num_agpr, 0
	.set _ZN7rocprim17ROCPRIM_400000_NS6detail17trampoline_kernelINS0_14default_configENS1_35radix_sort_onesweep_config_selectorItNS0_10empty_typeEEEZNS1_34radix_sort_onesweep_global_offsetsIS3_Lb1EPKtPS5_mNS0_19identity_decomposerEEE10hipError_tT1_T2_PT3_SF_jT4_jjP12ihipStream_tbEUlT_E0_NS1_11comp_targetILNS1_3genE9ELNS1_11target_archE1100ELNS1_3gpuE3ELNS1_3repE0EEENS1_52radix_sort_onesweep_histogram_config_static_selectorELNS0_4arch9wavefront6targetE0EEEvSD_.numbered_sgpr, 0
	.set _ZN7rocprim17ROCPRIM_400000_NS6detail17trampoline_kernelINS0_14default_configENS1_35radix_sort_onesweep_config_selectorItNS0_10empty_typeEEEZNS1_34radix_sort_onesweep_global_offsetsIS3_Lb1EPKtPS5_mNS0_19identity_decomposerEEE10hipError_tT1_T2_PT3_SF_jT4_jjP12ihipStream_tbEUlT_E0_NS1_11comp_targetILNS1_3genE9ELNS1_11target_archE1100ELNS1_3gpuE3ELNS1_3repE0EEENS1_52radix_sort_onesweep_histogram_config_static_selectorELNS0_4arch9wavefront6targetE0EEEvSD_.num_named_barrier, 0
	.set _ZN7rocprim17ROCPRIM_400000_NS6detail17trampoline_kernelINS0_14default_configENS1_35radix_sort_onesweep_config_selectorItNS0_10empty_typeEEEZNS1_34radix_sort_onesweep_global_offsetsIS3_Lb1EPKtPS5_mNS0_19identity_decomposerEEE10hipError_tT1_T2_PT3_SF_jT4_jjP12ihipStream_tbEUlT_E0_NS1_11comp_targetILNS1_3genE9ELNS1_11target_archE1100ELNS1_3gpuE3ELNS1_3repE0EEENS1_52radix_sort_onesweep_histogram_config_static_selectorELNS0_4arch9wavefront6targetE0EEEvSD_.private_seg_size, 0
	.set _ZN7rocprim17ROCPRIM_400000_NS6detail17trampoline_kernelINS0_14default_configENS1_35radix_sort_onesweep_config_selectorItNS0_10empty_typeEEEZNS1_34radix_sort_onesweep_global_offsetsIS3_Lb1EPKtPS5_mNS0_19identity_decomposerEEE10hipError_tT1_T2_PT3_SF_jT4_jjP12ihipStream_tbEUlT_E0_NS1_11comp_targetILNS1_3genE9ELNS1_11target_archE1100ELNS1_3gpuE3ELNS1_3repE0EEENS1_52radix_sort_onesweep_histogram_config_static_selectorELNS0_4arch9wavefront6targetE0EEEvSD_.uses_vcc, 0
	.set _ZN7rocprim17ROCPRIM_400000_NS6detail17trampoline_kernelINS0_14default_configENS1_35radix_sort_onesweep_config_selectorItNS0_10empty_typeEEEZNS1_34radix_sort_onesweep_global_offsetsIS3_Lb1EPKtPS5_mNS0_19identity_decomposerEEE10hipError_tT1_T2_PT3_SF_jT4_jjP12ihipStream_tbEUlT_E0_NS1_11comp_targetILNS1_3genE9ELNS1_11target_archE1100ELNS1_3gpuE3ELNS1_3repE0EEENS1_52radix_sort_onesweep_histogram_config_static_selectorELNS0_4arch9wavefront6targetE0EEEvSD_.uses_flat_scratch, 0
	.set _ZN7rocprim17ROCPRIM_400000_NS6detail17trampoline_kernelINS0_14default_configENS1_35radix_sort_onesweep_config_selectorItNS0_10empty_typeEEEZNS1_34radix_sort_onesweep_global_offsetsIS3_Lb1EPKtPS5_mNS0_19identity_decomposerEEE10hipError_tT1_T2_PT3_SF_jT4_jjP12ihipStream_tbEUlT_E0_NS1_11comp_targetILNS1_3genE9ELNS1_11target_archE1100ELNS1_3gpuE3ELNS1_3repE0EEENS1_52radix_sort_onesweep_histogram_config_static_selectorELNS0_4arch9wavefront6targetE0EEEvSD_.has_dyn_sized_stack, 0
	.set _ZN7rocprim17ROCPRIM_400000_NS6detail17trampoline_kernelINS0_14default_configENS1_35radix_sort_onesweep_config_selectorItNS0_10empty_typeEEEZNS1_34radix_sort_onesweep_global_offsetsIS3_Lb1EPKtPS5_mNS0_19identity_decomposerEEE10hipError_tT1_T2_PT3_SF_jT4_jjP12ihipStream_tbEUlT_E0_NS1_11comp_targetILNS1_3genE9ELNS1_11target_archE1100ELNS1_3gpuE3ELNS1_3repE0EEENS1_52radix_sort_onesweep_histogram_config_static_selectorELNS0_4arch9wavefront6targetE0EEEvSD_.has_recursion, 0
	.set _ZN7rocprim17ROCPRIM_400000_NS6detail17trampoline_kernelINS0_14default_configENS1_35radix_sort_onesweep_config_selectorItNS0_10empty_typeEEEZNS1_34radix_sort_onesweep_global_offsetsIS3_Lb1EPKtPS5_mNS0_19identity_decomposerEEE10hipError_tT1_T2_PT3_SF_jT4_jjP12ihipStream_tbEUlT_E0_NS1_11comp_targetILNS1_3genE9ELNS1_11target_archE1100ELNS1_3gpuE3ELNS1_3repE0EEENS1_52radix_sort_onesweep_histogram_config_static_selectorELNS0_4arch9wavefront6targetE0EEEvSD_.has_indirect_call, 0
	.section	.AMDGPU.csdata,"",@progbits
; Kernel info:
; codeLenInByte = 0
; TotalNumSgprs: 0
; NumVgprs: 0
; ScratchSize: 0
; MemoryBound: 0
; FloatMode: 240
; IeeeMode: 1
; LDSByteSize: 0 bytes/workgroup (compile time only)
; SGPRBlocks: 0
; VGPRBlocks: 0
; NumSGPRsForWavesPerEU: 1
; NumVGPRsForWavesPerEU: 1
; NamedBarCnt: 0
; Occupancy: 16
; WaveLimiterHint : 0
; COMPUTE_PGM_RSRC2:SCRATCH_EN: 0
; COMPUTE_PGM_RSRC2:USER_SGPR: 2
; COMPUTE_PGM_RSRC2:TRAP_HANDLER: 0
; COMPUTE_PGM_RSRC2:TGID_X_EN: 1
; COMPUTE_PGM_RSRC2:TGID_Y_EN: 0
; COMPUTE_PGM_RSRC2:TGID_Z_EN: 0
; COMPUTE_PGM_RSRC2:TIDIG_COMP_CNT: 0
	.section	.text._ZN7rocprim17ROCPRIM_400000_NS6detail17trampoline_kernelINS0_14default_configENS1_35radix_sort_onesweep_config_selectorItNS0_10empty_typeEEEZNS1_34radix_sort_onesweep_global_offsetsIS3_Lb1EPKtPS5_mNS0_19identity_decomposerEEE10hipError_tT1_T2_PT3_SF_jT4_jjP12ihipStream_tbEUlT_E0_NS1_11comp_targetILNS1_3genE8ELNS1_11target_archE1030ELNS1_3gpuE2ELNS1_3repE0EEENS1_52radix_sort_onesweep_histogram_config_static_selectorELNS0_4arch9wavefront6targetE0EEEvSD_,"axG",@progbits,_ZN7rocprim17ROCPRIM_400000_NS6detail17trampoline_kernelINS0_14default_configENS1_35radix_sort_onesweep_config_selectorItNS0_10empty_typeEEEZNS1_34radix_sort_onesweep_global_offsetsIS3_Lb1EPKtPS5_mNS0_19identity_decomposerEEE10hipError_tT1_T2_PT3_SF_jT4_jjP12ihipStream_tbEUlT_E0_NS1_11comp_targetILNS1_3genE8ELNS1_11target_archE1030ELNS1_3gpuE2ELNS1_3repE0EEENS1_52radix_sort_onesweep_histogram_config_static_selectorELNS0_4arch9wavefront6targetE0EEEvSD_,comdat
	.protected	_ZN7rocprim17ROCPRIM_400000_NS6detail17trampoline_kernelINS0_14default_configENS1_35radix_sort_onesweep_config_selectorItNS0_10empty_typeEEEZNS1_34radix_sort_onesweep_global_offsetsIS3_Lb1EPKtPS5_mNS0_19identity_decomposerEEE10hipError_tT1_T2_PT3_SF_jT4_jjP12ihipStream_tbEUlT_E0_NS1_11comp_targetILNS1_3genE8ELNS1_11target_archE1030ELNS1_3gpuE2ELNS1_3repE0EEENS1_52radix_sort_onesweep_histogram_config_static_selectorELNS0_4arch9wavefront6targetE0EEEvSD_ ; -- Begin function _ZN7rocprim17ROCPRIM_400000_NS6detail17trampoline_kernelINS0_14default_configENS1_35radix_sort_onesweep_config_selectorItNS0_10empty_typeEEEZNS1_34radix_sort_onesweep_global_offsetsIS3_Lb1EPKtPS5_mNS0_19identity_decomposerEEE10hipError_tT1_T2_PT3_SF_jT4_jjP12ihipStream_tbEUlT_E0_NS1_11comp_targetILNS1_3genE8ELNS1_11target_archE1030ELNS1_3gpuE2ELNS1_3repE0EEENS1_52radix_sort_onesweep_histogram_config_static_selectorELNS0_4arch9wavefront6targetE0EEEvSD_
	.globl	_ZN7rocprim17ROCPRIM_400000_NS6detail17trampoline_kernelINS0_14default_configENS1_35radix_sort_onesweep_config_selectorItNS0_10empty_typeEEEZNS1_34radix_sort_onesweep_global_offsetsIS3_Lb1EPKtPS5_mNS0_19identity_decomposerEEE10hipError_tT1_T2_PT3_SF_jT4_jjP12ihipStream_tbEUlT_E0_NS1_11comp_targetILNS1_3genE8ELNS1_11target_archE1030ELNS1_3gpuE2ELNS1_3repE0EEENS1_52radix_sort_onesweep_histogram_config_static_selectorELNS0_4arch9wavefront6targetE0EEEvSD_
	.p2align	8
	.type	_ZN7rocprim17ROCPRIM_400000_NS6detail17trampoline_kernelINS0_14default_configENS1_35radix_sort_onesweep_config_selectorItNS0_10empty_typeEEEZNS1_34radix_sort_onesweep_global_offsetsIS3_Lb1EPKtPS5_mNS0_19identity_decomposerEEE10hipError_tT1_T2_PT3_SF_jT4_jjP12ihipStream_tbEUlT_E0_NS1_11comp_targetILNS1_3genE8ELNS1_11target_archE1030ELNS1_3gpuE2ELNS1_3repE0EEENS1_52radix_sort_onesweep_histogram_config_static_selectorELNS0_4arch9wavefront6targetE0EEEvSD_,@function
_ZN7rocprim17ROCPRIM_400000_NS6detail17trampoline_kernelINS0_14default_configENS1_35radix_sort_onesweep_config_selectorItNS0_10empty_typeEEEZNS1_34radix_sort_onesweep_global_offsetsIS3_Lb1EPKtPS5_mNS0_19identity_decomposerEEE10hipError_tT1_T2_PT3_SF_jT4_jjP12ihipStream_tbEUlT_E0_NS1_11comp_targetILNS1_3genE8ELNS1_11target_archE1030ELNS1_3gpuE2ELNS1_3repE0EEENS1_52radix_sort_onesweep_histogram_config_static_selectorELNS0_4arch9wavefront6targetE0EEEvSD_: ; @_ZN7rocprim17ROCPRIM_400000_NS6detail17trampoline_kernelINS0_14default_configENS1_35radix_sort_onesweep_config_selectorItNS0_10empty_typeEEEZNS1_34radix_sort_onesweep_global_offsetsIS3_Lb1EPKtPS5_mNS0_19identity_decomposerEEE10hipError_tT1_T2_PT3_SF_jT4_jjP12ihipStream_tbEUlT_E0_NS1_11comp_targetILNS1_3genE8ELNS1_11target_archE1030ELNS1_3gpuE2ELNS1_3repE0EEENS1_52radix_sort_onesweep_histogram_config_static_selectorELNS0_4arch9wavefront6targetE0EEEvSD_
; %bb.0:
	.section	.rodata,"a",@progbits
	.p2align	6, 0x0
	.amdhsa_kernel _ZN7rocprim17ROCPRIM_400000_NS6detail17trampoline_kernelINS0_14default_configENS1_35radix_sort_onesweep_config_selectorItNS0_10empty_typeEEEZNS1_34radix_sort_onesweep_global_offsetsIS3_Lb1EPKtPS5_mNS0_19identity_decomposerEEE10hipError_tT1_T2_PT3_SF_jT4_jjP12ihipStream_tbEUlT_E0_NS1_11comp_targetILNS1_3genE8ELNS1_11target_archE1030ELNS1_3gpuE2ELNS1_3repE0EEENS1_52radix_sort_onesweep_histogram_config_static_selectorELNS0_4arch9wavefront6targetE0EEEvSD_
		.amdhsa_group_segment_fixed_size 0
		.amdhsa_private_segment_fixed_size 0
		.amdhsa_kernarg_size 8
		.amdhsa_user_sgpr_count 2
		.amdhsa_user_sgpr_dispatch_ptr 0
		.amdhsa_user_sgpr_queue_ptr 0
		.amdhsa_user_sgpr_kernarg_segment_ptr 1
		.amdhsa_user_sgpr_dispatch_id 0
		.amdhsa_user_sgpr_kernarg_preload_length 0
		.amdhsa_user_sgpr_kernarg_preload_offset 0
		.amdhsa_user_sgpr_private_segment_size 0
		.amdhsa_wavefront_size32 1
		.amdhsa_uses_dynamic_stack 0
		.amdhsa_enable_private_segment 0
		.amdhsa_system_sgpr_workgroup_id_x 1
		.amdhsa_system_sgpr_workgroup_id_y 0
		.amdhsa_system_sgpr_workgroup_id_z 0
		.amdhsa_system_sgpr_workgroup_info 0
		.amdhsa_system_vgpr_workitem_id 0
		.amdhsa_next_free_vgpr 1
		.amdhsa_next_free_sgpr 1
		.amdhsa_named_barrier_count 0
		.amdhsa_reserve_vcc 0
		.amdhsa_float_round_mode_32 0
		.amdhsa_float_round_mode_16_64 0
		.amdhsa_float_denorm_mode_32 3
		.amdhsa_float_denorm_mode_16_64 3
		.amdhsa_fp16_overflow 0
		.amdhsa_memory_ordered 1
		.amdhsa_forward_progress 1
		.amdhsa_inst_pref_size 0
		.amdhsa_round_robin_scheduling 0
		.amdhsa_exception_fp_ieee_invalid_op 0
		.amdhsa_exception_fp_denorm_src 0
		.amdhsa_exception_fp_ieee_div_zero 0
		.amdhsa_exception_fp_ieee_overflow 0
		.amdhsa_exception_fp_ieee_underflow 0
		.amdhsa_exception_fp_ieee_inexact 0
		.amdhsa_exception_int_div_zero 0
	.end_amdhsa_kernel
	.section	.text._ZN7rocprim17ROCPRIM_400000_NS6detail17trampoline_kernelINS0_14default_configENS1_35radix_sort_onesweep_config_selectorItNS0_10empty_typeEEEZNS1_34radix_sort_onesweep_global_offsetsIS3_Lb1EPKtPS5_mNS0_19identity_decomposerEEE10hipError_tT1_T2_PT3_SF_jT4_jjP12ihipStream_tbEUlT_E0_NS1_11comp_targetILNS1_3genE8ELNS1_11target_archE1030ELNS1_3gpuE2ELNS1_3repE0EEENS1_52radix_sort_onesweep_histogram_config_static_selectorELNS0_4arch9wavefront6targetE0EEEvSD_,"axG",@progbits,_ZN7rocprim17ROCPRIM_400000_NS6detail17trampoline_kernelINS0_14default_configENS1_35radix_sort_onesweep_config_selectorItNS0_10empty_typeEEEZNS1_34radix_sort_onesweep_global_offsetsIS3_Lb1EPKtPS5_mNS0_19identity_decomposerEEE10hipError_tT1_T2_PT3_SF_jT4_jjP12ihipStream_tbEUlT_E0_NS1_11comp_targetILNS1_3genE8ELNS1_11target_archE1030ELNS1_3gpuE2ELNS1_3repE0EEENS1_52radix_sort_onesweep_histogram_config_static_selectorELNS0_4arch9wavefront6targetE0EEEvSD_,comdat
.Lfunc_end2377:
	.size	_ZN7rocprim17ROCPRIM_400000_NS6detail17trampoline_kernelINS0_14default_configENS1_35radix_sort_onesweep_config_selectorItNS0_10empty_typeEEEZNS1_34radix_sort_onesweep_global_offsetsIS3_Lb1EPKtPS5_mNS0_19identity_decomposerEEE10hipError_tT1_T2_PT3_SF_jT4_jjP12ihipStream_tbEUlT_E0_NS1_11comp_targetILNS1_3genE8ELNS1_11target_archE1030ELNS1_3gpuE2ELNS1_3repE0EEENS1_52radix_sort_onesweep_histogram_config_static_selectorELNS0_4arch9wavefront6targetE0EEEvSD_, .Lfunc_end2377-_ZN7rocprim17ROCPRIM_400000_NS6detail17trampoline_kernelINS0_14default_configENS1_35radix_sort_onesweep_config_selectorItNS0_10empty_typeEEEZNS1_34radix_sort_onesweep_global_offsetsIS3_Lb1EPKtPS5_mNS0_19identity_decomposerEEE10hipError_tT1_T2_PT3_SF_jT4_jjP12ihipStream_tbEUlT_E0_NS1_11comp_targetILNS1_3genE8ELNS1_11target_archE1030ELNS1_3gpuE2ELNS1_3repE0EEENS1_52radix_sort_onesweep_histogram_config_static_selectorELNS0_4arch9wavefront6targetE0EEEvSD_
                                        ; -- End function
	.set _ZN7rocprim17ROCPRIM_400000_NS6detail17trampoline_kernelINS0_14default_configENS1_35radix_sort_onesweep_config_selectorItNS0_10empty_typeEEEZNS1_34radix_sort_onesweep_global_offsetsIS3_Lb1EPKtPS5_mNS0_19identity_decomposerEEE10hipError_tT1_T2_PT3_SF_jT4_jjP12ihipStream_tbEUlT_E0_NS1_11comp_targetILNS1_3genE8ELNS1_11target_archE1030ELNS1_3gpuE2ELNS1_3repE0EEENS1_52radix_sort_onesweep_histogram_config_static_selectorELNS0_4arch9wavefront6targetE0EEEvSD_.num_vgpr, 0
	.set _ZN7rocprim17ROCPRIM_400000_NS6detail17trampoline_kernelINS0_14default_configENS1_35radix_sort_onesweep_config_selectorItNS0_10empty_typeEEEZNS1_34radix_sort_onesweep_global_offsetsIS3_Lb1EPKtPS5_mNS0_19identity_decomposerEEE10hipError_tT1_T2_PT3_SF_jT4_jjP12ihipStream_tbEUlT_E0_NS1_11comp_targetILNS1_3genE8ELNS1_11target_archE1030ELNS1_3gpuE2ELNS1_3repE0EEENS1_52radix_sort_onesweep_histogram_config_static_selectorELNS0_4arch9wavefront6targetE0EEEvSD_.num_agpr, 0
	.set _ZN7rocprim17ROCPRIM_400000_NS6detail17trampoline_kernelINS0_14default_configENS1_35radix_sort_onesweep_config_selectorItNS0_10empty_typeEEEZNS1_34radix_sort_onesweep_global_offsetsIS3_Lb1EPKtPS5_mNS0_19identity_decomposerEEE10hipError_tT1_T2_PT3_SF_jT4_jjP12ihipStream_tbEUlT_E0_NS1_11comp_targetILNS1_3genE8ELNS1_11target_archE1030ELNS1_3gpuE2ELNS1_3repE0EEENS1_52radix_sort_onesweep_histogram_config_static_selectorELNS0_4arch9wavefront6targetE0EEEvSD_.numbered_sgpr, 0
	.set _ZN7rocprim17ROCPRIM_400000_NS6detail17trampoline_kernelINS0_14default_configENS1_35radix_sort_onesweep_config_selectorItNS0_10empty_typeEEEZNS1_34radix_sort_onesweep_global_offsetsIS3_Lb1EPKtPS5_mNS0_19identity_decomposerEEE10hipError_tT1_T2_PT3_SF_jT4_jjP12ihipStream_tbEUlT_E0_NS1_11comp_targetILNS1_3genE8ELNS1_11target_archE1030ELNS1_3gpuE2ELNS1_3repE0EEENS1_52radix_sort_onesweep_histogram_config_static_selectorELNS0_4arch9wavefront6targetE0EEEvSD_.num_named_barrier, 0
	.set _ZN7rocprim17ROCPRIM_400000_NS6detail17trampoline_kernelINS0_14default_configENS1_35radix_sort_onesweep_config_selectorItNS0_10empty_typeEEEZNS1_34radix_sort_onesweep_global_offsetsIS3_Lb1EPKtPS5_mNS0_19identity_decomposerEEE10hipError_tT1_T2_PT3_SF_jT4_jjP12ihipStream_tbEUlT_E0_NS1_11comp_targetILNS1_3genE8ELNS1_11target_archE1030ELNS1_3gpuE2ELNS1_3repE0EEENS1_52radix_sort_onesweep_histogram_config_static_selectorELNS0_4arch9wavefront6targetE0EEEvSD_.private_seg_size, 0
	.set _ZN7rocprim17ROCPRIM_400000_NS6detail17trampoline_kernelINS0_14default_configENS1_35radix_sort_onesweep_config_selectorItNS0_10empty_typeEEEZNS1_34radix_sort_onesweep_global_offsetsIS3_Lb1EPKtPS5_mNS0_19identity_decomposerEEE10hipError_tT1_T2_PT3_SF_jT4_jjP12ihipStream_tbEUlT_E0_NS1_11comp_targetILNS1_3genE8ELNS1_11target_archE1030ELNS1_3gpuE2ELNS1_3repE0EEENS1_52radix_sort_onesweep_histogram_config_static_selectorELNS0_4arch9wavefront6targetE0EEEvSD_.uses_vcc, 0
	.set _ZN7rocprim17ROCPRIM_400000_NS6detail17trampoline_kernelINS0_14default_configENS1_35radix_sort_onesweep_config_selectorItNS0_10empty_typeEEEZNS1_34radix_sort_onesweep_global_offsetsIS3_Lb1EPKtPS5_mNS0_19identity_decomposerEEE10hipError_tT1_T2_PT3_SF_jT4_jjP12ihipStream_tbEUlT_E0_NS1_11comp_targetILNS1_3genE8ELNS1_11target_archE1030ELNS1_3gpuE2ELNS1_3repE0EEENS1_52radix_sort_onesweep_histogram_config_static_selectorELNS0_4arch9wavefront6targetE0EEEvSD_.uses_flat_scratch, 0
	.set _ZN7rocprim17ROCPRIM_400000_NS6detail17trampoline_kernelINS0_14default_configENS1_35radix_sort_onesweep_config_selectorItNS0_10empty_typeEEEZNS1_34radix_sort_onesweep_global_offsetsIS3_Lb1EPKtPS5_mNS0_19identity_decomposerEEE10hipError_tT1_T2_PT3_SF_jT4_jjP12ihipStream_tbEUlT_E0_NS1_11comp_targetILNS1_3genE8ELNS1_11target_archE1030ELNS1_3gpuE2ELNS1_3repE0EEENS1_52radix_sort_onesweep_histogram_config_static_selectorELNS0_4arch9wavefront6targetE0EEEvSD_.has_dyn_sized_stack, 0
	.set _ZN7rocprim17ROCPRIM_400000_NS6detail17trampoline_kernelINS0_14default_configENS1_35radix_sort_onesweep_config_selectorItNS0_10empty_typeEEEZNS1_34radix_sort_onesweep_global_offsetsIS3_Lb1EPKtPS5_mNS0_19identity_decomposerEEE10hipError_tT1_T2_PT3_SF_jT4_jjP12ihipStream_tbEUlT_E0_NS1_11comp_targetILNS1_3genE8ELNS1_11target_archE1030ELNS1_3gpuE2ELNS1_3repE0EEENS1_52radix_sort_onesweep_histogram_config_static_selectorELNS0_4arch9wavefront6targetE0EEEvSD_.has_recursion, 0
	.set _ZN7rocprim17ROCPRIM_400000_NS6detail17trampoline_kernelINS0_14default_configENS1_35radix_sort_onesweep_config_selectorItNS0_10empty_typeEEEZNS1_34radix_sort_onesweep_global_offsetsIS3_Lb1EPKtPS5_mNS0_19identity_decomposerEEE10hipError_tT1_T2_PT3_SF_jT4_jjP12ihipStream_tbEUlT_E0_NS1_11comp_targetILNS1_3genE8ELNS1_11target_archE1030ELNS1_3gpuE2ELNS1_3repE0EEENS1_52radix_sort_onesweep_histogram_config_static_selectorELNS0_4arch9wavefront6targetE0EEEvSD_.has_indirect_call, 0
	.section	.AMDGPU.csdata,"",@progbits
; Kernel info:
; codeLenInByte = 0
; TotalNumSgprs: 0
; NumVgprs: 0
; ScratchSize: 0
; MemoryBound: 0
; FloatMode: 240
; IeeeMode: 1
; LDSByteSize: 0 bytes/workgroup (compile time only)
; SGPRBlocks: 0
; VGPRBlocks: 0
; NumSGPRsForWavesPerEU: 1
; NumVGPRsForWavesPerEU: 1
; NamedBarCnt: 0
; Occupancy: 16
; WaveLimiterHint : 0
; COMPUTE_PGM_RSRC2:SCRATCH_EN: 0
; COMPUTE_PGM_RSRC2:USER_SGPR: 2
; COMPUTE_PGM_RSRC2:TRAP_HANDLER: 0
; COMPUTE_PGM_RSRC2:TGID_X_EN: 1
; COMPUTE_PGM_RSRC2:TGID_Y_EN: 0
; COMPUTE_PGM_RSRC2:TGID_Z_EN: 0
; COMPUTE_PGM_RSRC2:TIDIG_COMP_CNT: 0
	.section	.text._ZN7rocprim17ROCPRIM_400000_NS6detail17trampoline_kernelINS0_14default_configENS1_25transform_config_selectorItLb1EEEZNS1_14transform_implILb1ES3_S5_PKtPtNS0_8identityItEEEE10hipError_tT2_T3_mT4_P12ihipStream_tbEUlT_E_NS1_11comp_targetILNS1_3genE0ELNS1_11target_archE4294967295ELNS1_3gpuE0ELNS1_3repE0EEENS1_30default_config_static_selectorELNS0_4arch9wavefront6targetE0EEEvT1_,"axG",@progbits,_ZN7rocprim17ROCPRIM_400000_NS6detail17trampoline_kernelINS0_14default_configENS1_25transform_config_selectorItLb1EEEZNS1_14transform_implILb1ES3_S5_PKtPtNS0_8identityItEEEE10hipError_tT2_T3_mT4_P12ihipStream_tbEUlT_E_NS1_11comp_targetILNS1_3genE0ELNS1_11target_archE4294967295ELNS1_3gpuE0ELNS1_3repE0EEENS1_30default_config_static_selectorELNS0_4arch9wavefront6targetE0EEEvT1_,comdat
	.protected	_ZN7rocprim17ROCPRIM_400000_NS6detail17trampoline_kernelINS0_14default_configENS1_25transform_config_selectorItLb1EEEZNS1_14transform_implILb1ES3_S5_PKtPtNS0_8identityItEEEE10hipError_tT2_T3_mT4_P12ihipStream_tbEUlT_E_NS1_11comp_targetILNS1_3genE0ELNS1_11target_archE4294967295ELNS1_3gpuE0ELNS1_3repE0EEENS1_30default_config_static_selectorELNS0_4arch9wavefront6targetE0EEEvT1_ ; -- Begin function _ZN7rocprim17ROCPRIM_400000_NS6detail17trampoline_kernelINS0_14default_configENS1_25transform_config_selectorItLb1EEEZNS1_14transform_implILb1ES3_S5_PKtPtNS0_8identityItEEEE10hipError_tT2_T3_mT4_P12ihipStream_tbEUlT_E_NS1_11comp_targetILNS1_3genE0ELNS1_11target_archE4294967295ELNS1_3gpuE0ELNS1_3repE0EEENS1_30default_config_static_selectorELNS0_4arch9wavefront6targetE0EEEvT1_
	.globl	_ZN7rocprim17ROCPRIM_400000_NS6detail17trampoline_kernelINS0_14default_configENS1_25transform_config_selectorItLb1EEEZNS1_14transform_implILb1ES3_S5_PKtPtNS0_8identityItEEEE10hipError_tT2_T3_mT4_P12ihipStream_tbEUlT_E_NS1_11comp_targetILNS1_3genE0ELNS1_11target_archE4294967295ELNS1_3gpuE0ELNS1_3repE0EEENS1_30default_config_static_selectorELNS0_4arch9wavefront6targetE0EEEvT1_
	.p2align	8
	.type	_ZN7rocprim17ROCPRIM_400000_NS6detail17trampoline_kernelINS0_14default_configENS1_25transform_config_selectorItLb1EEEZNS1_14transform_implILb1ES3_S5_PKtPtNS0_8identityItEEEE10hipError_tT2_T3_mT4_P12ihipStream_tbEUlT_E_NS1_11comp_targetILNS1_3genE0ELNS1_11target_archE4294967295ELNS1_3gpuE0ELNS1_3repE0EEENS1_30default_config_static_selectorELNS0_4arch9wavefront6targetE0EEEvT1_,@function
_ZN7rocprim17ROCPRIM_400000_NS6detail17trampoline_kernelINS0_14default_configENS1_25transform_config_selectorItLb1EEEZNS1_14transform_implILb1ES3_S5_PKtPtNS0_8identityItEEEE10hipError_tT2_T3_mT4_P12ihipStream_tbEUlT_E_NS1_11comp_targetILNS1_3genE0ELNS1_11target_archE4294967295ELNS1_3gpuE0ELNS1_3repE0EEENS1_30default_config_static_selectorELNS0_4arch9wavefront6targetE0EEEvT1_: ; @_ZN7rocprim17ROCPRIM_400000_NS6detail17trampoline_kernelINS0_14default_configENS1_25transform_config_selectorItLb1EEEZNS1_14transform_implILb1ES3_S5_PKtPtNS0_8identityItEEEE10hipError_tT2_T3_mT4_P12ihipStream_tbEUlT_E_NS1_11comp_targetILNS1_3genE0ELNS1_11target_archE4294967295ELNS1_3gpuE0ELNS1_3repE0EEENS1_30default_config_static_selectorELNS0_4arch9wavefront6targetE0EEEvT1_
; %bb.0:
	s_load_b256 s[4:11], s[0:1], 0x0
	s_wait_kmcnt 0x0
	s_load_b32 s9, s[0:1], 0x28
                                        ; kill: killed $sgpr0_sgpr1
	s_wait_xcnt 0x0
	s_bfe_u32 s0, ttmp6, 0x4000c
	s_and_b32 s2, ttmp6, 15
	s_add_co_i32 s0, s0, 1
	s_getreg_b32 s12, hwreg(HW_REG_IB_STS2, 6, 4)
	s_mul_i32 s0, ttmp9, s0
	s_mov_b32 s1, 0
	s_add_co_i32 s0, s2, s0
	s_lshl_b64 s[2:3], s[6:7], 1
	s_cmp_eq_u32 s12, 0
	s_add_nc_u64 s[12:13], s[4:5], s[2:3]
	s_cselect_b32 s14, ttmp9, s0
	s_wait_kmcnt 0x0
	s_add_co_i32 s9, s9, -1
	s_lshl_b32 s0, s14, 9
	s_add_nc_u64 s[4:5], s[10:11], s[2:3]
	s_lshl_b64 s[6:7], s[0:1], 1
	s_mov_b32 s2, -1
	s_cmp_lg_u32 s14, s9
	s_add_nc_u64 s[10:11], s[12:13], s[6:7]
	s_cbranch_scc0 .LBB2378_2
; %bb.1:
	global_load_b64 v[2:3], v0, s[10:11] scale_offset
	s_add_nc_u64 s[12:13], s[4:5], s[6:7]
	s_mov_b32 s2, 0
	s_wait_loadcnt 0x0
	global_store_b64 v0, v[2:3], s[12:13] scale_offset
.LBB2378_2:
	s_and_not1_b32 vcc_lo, exec_lo, s2
	s_cbranch_vccnz .LBB2378_16
; %bb.3:
	s_wait_xcnt 0x0
	v_mov_b32_e32 v2, 0
	s_sub_co_i32 s3, s8, s0
	s_delay_alu instid0(SALU_CYCLE_1) | instskip(NEXT) | instid1(VALU_DEP_2)
	v_cmp_gt_u32_e32 vcc_lo, s3, v0
	v_mov_b32_e32 v3, v2
	s_and_saveexec_b32 s0, vcc_lo
	s_cbranch_execz .LBB2378_5
; %bb.4:
	global_load_u16 v1, v0, s[10:11] scale_offset
	v_mov_b32_e32 v5, v2
	s_wait_loadcnt 0x0
	v_and_b32_e32 v4, 0xffff, v1
	s_delay_alu instid0(VALU_DEP_1)
	v_mov_b64_e32 v[2:3], v[4:5]
.LBB2378_5:
	s_wait_xcnt 0x0
	s_or_b32 exec_lo, exec_lo, s0
	v_or_b32_e32 v1, 0x80, v0
	s_delay_alu instid0(VALU_DEP_1)
	v_cmp_gt_u32_e64 s0, s3, v1
	s_and_saveexec_b32 s1, s0
	s_cbranch_execz .LBB2378_7
; %bb.6:
	global_load_u16 v1, v0, s[10:11] offset:256 scale_offset
	s_wait_loadcnt 0x0
	v_perm_b32 v2, v1, v2, 0x5040100
.LBB2378_7:
	s_wait_xcnt 0x0
	s_or_b32 exec_lo, exec_lo, s1
	v_or_b32_e32 v1, 0x100, v0
	s_delay_alu instid0(VALU_DEP_1)
	v_cmp_gt_u32_e64 s1, s3, v1
	s_and_saveexec_b32 s2, s1
	s_cbranch_execz .LBB2378_9
; %bb.8:
	global_load_u16 v1, v0, s[10:11] offset:512 scale_offset
	s_wait_loadcnt 0x0
	v_bfi_b32 v3, 0xffff, v1, v3
.LBB2378_9:
	s_wait_xcnt 0x0
	s_or_b32 exec_lo, exec_lo, s2
	v_or_b32_e32 v1, 0x180, v0
	s_delay_alu instid0(VALU_DEP_1) | instskip(SKIP_2) | instid1(SALU_CYCLE_1)
	v_cmp_gt_u32_e64 s2, s3, v1
	v_cmp_le_u32_e64 s3, s3, v1
	s_and_saveexec_b32 s8, s3
	s_xor_b32 s3, exec_lo, s8
	s_delay_alu instid0(SALU_CYCLE_1)
	s_and_not1_saveexec_b32 s3, s3
	s_cbranch_execz .LBB2378_11
; %bb.10:
	global_load_u16 v1, v0, s[10:11] offset:768 scale_offset
	s_wait_loadcnt 0x0
	v_perm_b32 v3, v1, v3, 0x5040100
.LBB2378_11:
	s_wait_xcnt 0x0
	s_or_b32 exec_lo, exec_lo, s3
	v_dual_mov_b32 v1, 0 :: v_dual_lshlrev_b32 v0, 1, v0
	v_and_b32_e32 v4, 0xffff, v2
	s_add_nc_u64 s[4:5], s[4:5], s[6:7]
	s_delay_alu instid0(VALU_DEP_2) | instid1(SALU_CYCLE_1)
	v_add_nc_u64_e32 v[0:1], s[4:5], v[0:1]
	s_delay_alu instid0(VALU_DEP_2)
	v_cndmask_b32_e32 v4, 0, v4, vcc_lo
	s_and_saveexec_b32 s3, vcc_lo
	s_cbranch_execnz .LBB2378_17
; %bb.12:
	s_or_b32 exec_lo, exec_lo, s3
	s_delay_alu instid0(VALU_DEP_1)
	v_cndmask_b32_e64 v2, v4, v2, s0
	s_and_saveexec_b32 s3, s0
	s_cbranch_execnz .LBB2378_18
.LBB2378_13:
	s_or_b32 exec_lo, exec_lo, s3
	s_and_saveexec_b32 s0, s1
	s_cbranch_execnz .LBB2378_19
.LBB2378_14:
	s_or_b32 exec_lo, exec_lo, s0
	s_and_saveexec_b32 s0, s2
	s_cbranch_execz .LBB2378_16
.LBB2378_15:
	v_cndmask_b32_e64 v2, 0, v3, s2
	global_store_d16_hi_b16 v[0:1], v2, off offset:768
.LBB2378_16:
	s_endpgm
.LBB2378_17:
	global_store_b16 v[0:1], v4, off
	s_wait_xcnt 0x0
	s_or_b32 exec_lo, exec_lo, s3
	v_cndmask_b32_e64 v2, v4, v2, s0
	s_and_saveexec_b32 s3, s0
	s_cbranch_execz .LBB2378_13
.LBB2378_18:
	global_store_d16_hi_b16 v[0:1], v2, off offset:256
	s_wait_xcnt 0x0
	s_or_b32 exec_lo, exec_lo, s3
	s_and_saveexec_b32 s0, s1
	s_cbranch_execz .LBB2378_14
.LBB2378_19:
	v_cndmask_b32_e64 v2, 0, v3, s1
	global_store_b16 v[0:1], v2, off offset:512
	s_wait_xcnt 0x0
	s_or_b32 exec_lo, exec_lo, s0
	s_and_saveexec_b32 s0, s2
	s_cbranch_execnz .LBB2378_15
	s_branch .LBB2378_16
	.section	.rodata,"a",@progbits
	.p2align	6, 0x0
	.amdhsa_kernel _ZN7rocprim17ROCPRIM_400000_NS6detail17trampoline_kernelINS0_14default_configENS1_25transform_config_selectorItLb1EEEZNS1_14transform_implILb1ES3_S5_PKtPtNS0_8identityItEEEE10hipError_tT2_T3_mT4_P12ihipStream_tbEUlT_E_NS1_11comp_targetILNS1_3genE0ELNS1_11target_archE4294967295ELNS1_3gpuE0ELNS1_3repE0EEENS1_30default_config_static_selectorELNS0_4arch9wavefront6targetE0EEEvT1_
		.amdhsa_group_segment_fixed_size 0
		.amdhsa_private_segment_fixed_size 0
		.amdhsa_kernarg_size 296
		.amdhsa_user_sgpr_count 2
		.amdhsa_user_sgpr_dispatch_ptr 0
		.amdhsa_user_sgpr_queue_ptr 0
		.amdhsa_user_sgpr_kernarg_segment_ptr 1
		.amdhsa_user_sgpr_dispatch_id 0
		.amdhsa_user_sgpr_kernarg_preload_length 0
		.amdhsa_user_sgpr_kernarg_preload_offset 0
		.amdhsa_user_sgpr_private_segment_size 0
		.amdhsa_wavefront_size32 1
		.amdhsa_uses_dynamic_stack 0
		.amdhsa_enable_private_segment 0
		.amdhsa_system_sgpr_workgroup_id_x 1
		.amdhsa_system_sgpr_workgroup_id_y 0
		.amdhsa_system_sgpr_workgroup_id_z 0
		.amdhsa_system_sgpr_workgroup_info 0
		.amdhsa_system_vgpr_workitem_id 0
		.amdhsa_next_free_vgpr 6
		.amdhsa_next_free_sgpr 15
		.amdhsa_named_barrier_count 0
		.amdhsa_reserve_vcc 1
		.amdhsa_float_round_mode_32 0
		.amdhsa_float_round_mode_16_64 0
		.amdhsa_float_denorm_mode_32 3
		.amdhsa_float_denorm_mode_16_64 3
		.amdhsa_fp16_overflow 0
		.amdhsa_memory_ordered 1
		.amdhsa_forward_progress 1
		.amdhsa_inst_pref_size 6
		.amdhsa_round_robin_scheduling 0
		.amdhsa_exception_fp_ieee_invalid_op 0
		.amdhsa_exception_fp_denorm_src 0
		.amdhsa_exception_fp_ieee_div_zero 0
		.amdhsa_exception_fp_ieee_overflow 0
		.amdhsa_exception_fp_ieee_underflow 0
		.amdhsa_exception_fp_ieee_inexact 0
		.amdhsa_exception_int_div_zero 0
	.end_amdhsa_kernel
	.section	.text._ZN7rocprim17ROCPRIM_400000_NS6detail17trampoline_kernelINS0_14default_configENS1_25transform_config_selectorItLb1EEEZNS1_14transform_implILb1ES3_S5_PKtPtNS0_8identityItEEEE10hipError_tT2_T3_mT4_P12ihipStream_tbEUlT_E_NS1_11comp_targetILNS1_3genE0ELNS1_11target_archE4294967295ELNS1_3gpuE0ELNS1_3repE0EEENS1_30default_config_static_selectorELNS0_4arch9wavefront6targetE0EEEvT1_,"axG",@progbits,_ZN7rocprim17ROCPRIM_400000_NS6detail17trampoline_kernelINS0_14default_configENS1_25transform_config_selectorItLb1EEEZNS1_14transform_implILb1ES3_S5_PKtPtNS0_8identityItEEEE10hipError_tT2_T3_mT4_P12ihipStream_tbEUlT_E_NS1_11comp_targetILNS1_3genE0ELNS1_11target_archE4294967295ELNS1_3gpuE0ELNS1_3repE0EEENS1_30default_config_static_selectorELNS0_4arch9wavefront6targetE0EEEvT1_,comdat
.Lfunc_end2378:
	.size	_ZN7rocprim17ROCPRIM_400000_NS6detail17trampoline_kernelINS0_14default_configENS1_25transform_config_selectorItLb1EEEZNS1_14transform_implILb1ES3_S5_PKtPtNS0_8identityItEEEE10hipError_tT2_T3_mT4_P12ihipStream_tbEUlT_E_NS1_11comp_targetILNS1_3genE0ELNS1_11target_archE4294967295ELNS1_3gpuE0ELNS1_3repE0EEENS1_30default_config_static_selectorELNS0_4arch9wavefront6targetE0EEEvT1_, .Lfunc_end2378-_ZN7rocprim17ROCPRIM_400000_NS6detail17trampoline_kernelINS0_14default_configENS1_25transform_config_selectorItLb1EEEZNS1_14transform_implILb1ES3_S5_PKtPtNS0_8identityItEEEE10hipError_tT2_T3_mT4_P12ihipStream_tbEUlT_E_NS1_11comp_targetILNS1_3genE0ELNS1_11target_archE4294967295ELNS1_3gpuE0ELNS1_3repE0EEENS1_30default_config_static_selectorELNS0_4arch9wavefront6targetE0EEEvT1_
                                        ; -- End function
	.set _ZN7rocprim17ROCPRIM_400000_NS6detail17trampoline_kernelINS0_14default_configENS1_25transform_config_selectorItLb1EEEZNS1_14transform_implILb1ES3_S5_PKtPtNS0_8identityItEEEE10hipError_tT2_T3_mT4_P12ihipStream_tbEUlT_E_NS1_11comp_targetILNS1_3genE0ELNS1_11target_archE4294967295ELNS1_3gpuE0ELNS1_3repE0EEENS1_30default_config_static_selectorELNS0_4arch9wavefront6targetE0EEEvT1_.num_vgpr, 6
	.set _ZN7rocprim17ROCPRIM_400000_NS6detail17trampoline_kernelINS0_14default_configENS1_25transform_config_selectorItLb1EEEZNS1_14transform_implILb1ES3_S5_PKtPtNS0_8identityItEEEE10hipError_tT2_T3_mT4_P12ihipStream_tbEUlT_E_NS1_11comp_targetILNS1_3genE0ELNS1_11target_archE4294967295ELNS1_3gpuE0ELNS1_3repE0EEENS1_30default_config_static_selectorELNS0_4arch9wavefront6targetE0EEEvT1_.num_agpr, 0
	.set _ZN7rocprim17ROCPRIM_400000_NS6detail17trampoline_kernelINS0_14default_configENS1_25transform_config_selectorItLb1EEEZNS1_14transform_implILb1ES3_S5_PKtPtNS0_8identityItEEEE10hipError_tT2_T3_mT4_P12ihipStream_tbEUlT_E_NS1_11comp_targetILNS1_3genE0ELNS1_11target_archE4294967295ELNS1_3gpuE0ELNS1_3repE0EEENS1_30default_config_static_selectorELNS0_4arch9wavefront6targetE0EEEvT1_.numbered_sgpr, 15
	.set _ZN7rocprim17ROCPRIM_400000_NS6detail17trampoline_kernelINS0_14default_configENS1_25transform_config_selectorItLb1EEEZNS1_14transform_implILb1ES3_S5_PKtPtNS0_8identityItEEEE10hipError_tT2_T3_mT4_P12ihipStream_tbEUlT_E_NS1_11comp_targetILNS1_3genE0ELNS1_11target_archE4294967295ELNS1_3gpuE0ELNS1_3repE0EEENS1_30default_config_static_selectorELNS0_4arch9wavefront6targetE0EEEvT1_.num_named_barrier, 0
	.set _ZN7rocprim17ROCPRIM_400000_NS6detail17trampoline_kernelINS0_14default_configENS1_25transform_config_selectorItLb1EEEZNS1_14transform_implILb1ES3_S5_PKtPtNS0_8identityItEEEE10hipError_tT2_T3_mT4_P12ihipStream_tbEUlT_E_NS1_11comp_targetILNS1_3genE0ELNS1_11target_archE4294967295ELNS1_3gpuE0ELNS1_3repE0EEENS1_30default_config_static_selectorELNS0_4arch9wavefront6targetE0EEEvT1_.private_seg_size, 0
	.set _ZN7rocprim17ROCPRIM_400000_NS6detail17trampoline_kernelINS0_14default_configENS1_25transform_config_selectorItLb1EEEZNS1_14transform_implILb1ES3_S5_PKtPtNS0_8identityItEEEE10hipError_tT2_T3_mT4_P12ihipStream_tbEUlT_E_NS1_11comp_targetILNS1_3genE0ELNS1_11target_archE4294967295ELNS1_3gpuE0ELNS1_3repE0EEENS1_30default_config_static_selectorELNS0_4arch9wavefront6targetE0EEEvT1_.uses_vcc, 1
	.set _ZN7rocprim17ROCPRIM_400000_NS6detail17trampoline_kernelINS0_14default_configENS1_25transform_config_selectorItLb1EEEZNS1_14transform_implILb1ES3_S5_PKtPtNS0_8identityItEEEE10hipError_tT2_T3_mT4_P12ihipStream_tbEUlT_E_NS1_11comp_targetILNS1_3genE0ELNS1_11target_archE4294967295ELNS1_3gpuE0ELNS1_3repE0EEENS1_30default_config_static_selectorELNS0_4arch9wavefront6targetE0EEEvT1_.uses_flat_scratch, 0
	.set _ZN7rocprim17ROCPRIM_400000_NS6detail17trampoline_kernelINS0_14default_configENS1_25transform_config_selectorItLb1EEEZNS1_14transform_implILb1ES3_S5_PKtPtNS0_8identityItEEEE10hipError_tT2_T3_mT4_P12ihipStream_tbEUlT_E_NS1_11comp_targetILNS1_3genE0ELNS1_11target_archE4294967295ELNS1_3gpuE0ELNS1_3repE0EEENS1_30default_config_static_selectorELNS0_4arch9wavefront6targetE0EEEvT1_.has_dyn_sized_stack, 0
	.set _ZN7rocprim17ROCPRIM_400000_NS6detail17trampoline_kernelINS0_14default_configENS1_25transform_config_selectorItLb1EEEZNS1_14transform_implILb1ES3_S5_PKtPtNS0_8identityItEEEE10hipError_tT2_T3_mT4_P12ihipStream_tbEUlT_E_NS1_11comp_targetILNS1_3genE0ELNS1_11target_archE4294967295ELNS1_3gpuE0ELNS1_3repE0EEENS1_30default_config_static_selectorELNS0_4arch9wavefront6targetE0EEEvT1_.has_recursion, 0
	.set _ZN7rocprim17ROCPRIM_400000_NS6detail17trampoline_kernelINS0_14default_configENS1_25transform_config_selectorItLb1EEEZNS1_14transform_implILb1ES3_S5_PKtPtNS0_8identityItEEEE10hipError_tT2_T3_mT4_P12ihipStream_tbEUlT_E_NS1_11comp_targetILNS1_3genE0ELNS1_11target_archE4294967295ELNS1_3gpuE0ELNS1_3repE0EEENS1_30default_config_static_selectorELNS0_4arch9wavefront6targetE0EEEvT1_.has_indirect_call, 0
	.section	.AMDGPU.csdata,"",@progbits
; Kernel info:
; codeLenInByte = 660
; TotalNumSgprs: 17
; NumVgprs: 6
; ScratchSize: 0
; MemoryBound: 0
; FloatMode: 240
; IeeeMode: 1
; LDSByteSize: 0 bytes/workgroup (compile time only)
; SGPRBlocks: 0
; VGPRBlocks: 0
; NumSGPRsForWavesPerEU: 17
; NumVGPRsForWavesPerEU: 6
; NamedBarCnt: 0
; Occupancy: 16
; WaveLimiterHint : 0
; COMPUTE_PGM_RSRC2:SCRATCH_EN: 0
; COMPUTE_PGM_RSRC2:USER_SGPR: 2
; COMPUTE_PGM_RSRC2:TRAP_HANDLER: 0
; COMPUTE_PGM_RSRC2:TGID_X_EN: 1
; COMPUTE_PGM_RSRC2:TGID_Y_EN: 0
; COMPUTE_PGM_RSRC2:TGID_Z_EN: 0
; COMPUTE_PGM_RSRC2:TIDIG_COMP_CNT: 0
	.section	.text._ZN7rocprim17ROCPRIM_400000_NS6detail17trampoline_kernelINS0_14default_configENS1_25transform_config_selectorItLb1EEEZNS1_14transform_implILb1ES3_S5_PKtPtNS0_8identityItEEEE10hipError_tT2_T3_mT4_P12ihipStream_tbEUlT_E_NS1_11comp_targetILNS1_3genE10ELNS1_11target_archE1201ELNS1_3gpuE5ELNS1_3repE0EEENS1_30default_config_static_selectorELNS0_4arch9wavefront6targetE0EEEvT1_,"axG",@progbits,_ZN7rocprim17ROCPRIM_400000_NS6detail17trampoline_kernelINS0_14default_configENS1_25transform_config_selectorItLb1EEEZNS1_14transform_implILb1ES3_S5_PKtPtNS0_8identityItEEEE10hipError_tT2_T3_mT4_P12ihipStream_tbEUlT_E_NS1_11comp_targetILNS1_3genE10ELNS1_11target_archE1201ELNS1_3gpuE5ELNS1_3repE0EEENS1_30default_config_static_selectorELNS0_4arch9wavefront6targetE0EEEvT1_,comdat
	.protected	_ZN7rocprim17ROCPRIM_400000_NS6detail17trampoline_kernelINS0_14default_configENS1_25transform_config_selectorItLb1EEEZNS1_14transform_implILb1ES3_S5_PKtPtNS0_8identityItEEEE10hipError_tT2_T3_mT4_P12ihipStream_tbEUlT_E_NS1_11comp_targetILNS1_3genE10ELNS1_11target_archE1201ELNS1_3gpuE5ELNS1_3repE0EEENS1_30default_config_static_selectorELNS0_4arch9wavefront6targetE0EEEvT1_ ; -- Begin function _ZN7rocprim17ROCPRIM_400000_NS6detail17trampoline_kernelINS0_14default_configENS1_25transform_config_selectorItLb1EEEZNS1_14transform_implILb1ES3_S5_PKtPtNS0_8identityItEEEE10hipError_tT2_T3_mT4_P12ihipStream_tbEUlT_E_NS1_11comp_targetILNS1_3genE10ELNS1_11target_archE1201ELNS1_3gpuE5ELNS1_3repE0EEENS1_30default_config_static_selectorELNS0_4arch9wavefront6targetE0EEEvT1_
	.globl	_ZN7rocprim17ROCPRIM_400000_NS6detail17trampoline_kernelINS0_14default_configENS1_25transform_config_selectorItLb1EEEZNS1_14transform_implILb1ES3_S5_PKtPtNS0_8identityItEEEE10hipError_tT2_T3_mT4_P12ihipStream_tbEUlT_E_NS1_11comp_targetILNS1_3genE10ELNS1_11target_archE1201ELNS1_3gpuE5ELNS1_3repE0EEENS1_30default_config_static_selectorELNS0_4arch9wavefront6targetE0EEEvT1_
	.p2align	8
	.type	_ZN7rocprim17ROCPRIM_400000_NS6detail17trampoline_kernelINS0_14default_configENS1_25transform_config_selectorItLb1EEEZNS1_14transform_implILb1ES3_S5_PKtPtNS0_8identityItEEEE10hipError_tT2_T3_mT4_P12ihipStream_tbEUlT_E_NS1_11comp_targetILNS1_3genE10ELNS1_11target_archE1201ELNS1_3gpuE5ELNS1_3repE0EEENS1_30default_config_static_selectorELNS0_4arch9wavefront6targetE0EEEvT1_,@function
_ZN7rocprim17ROCPRIM_400000_NS6detail17trampoline_kernelINS0_14default_configENS1_25transform_config_selectorItLb1EEEZNS1_14transform_implILb1ES3_S5_PKtPtNS0_8identityItEEEE10hipError_tT2_T3_mT4_P12ihipStream_tbEUlT_E_NS1_11comp_targetILNS1_3genE10ELNS1_11target_archE1201ELNS1_3gpuE5ELNS1_3repE0EEENS1_30default_config_static_selectorELNS0_4arch9wavefront6targetE0EEEvT1_: ; @_ZN7rocprim17ROCPRIM_400000_NS6detail17trampoline_kernelINS0_14default_configENS1_25transform_config_selectorItLb1EEEZNS1_14transform_implILb1ES3_S5_PKtPtNS0_8identityItEEEE10hipError_tT2_T3_mT4_P12ihipStream_tbEUlT_E_NS1_11comp_targetILNS1_3genE10ELNS1_11target_archE1201ELNS1_3gpuE5ELNS1_3repE0EEENS1_30default_config_static_selectorELNS0_4arch9wavefront6targetE0EEEvT1_
; %bb.0:
	.section	.rodata,"a",@progbits
	.p2align	6, 0x0
	.amdhsa_kernel _ZN7rocprim17ROCPRIM_400000_NS6detail17trampoline_kernelINS0_14default_configENS1_25transform_config_selectorItLb1EEEZNS1_14transform_implILb1ES3_S5_PKtPtNS0_8identityItEEEE10hipError_tT2_T3_mT4_P12ihipStream_tbEUlT_E_NS1_11comp_targetILNS1_3genE10ELNS1_11target_archE1201ELNS1_3gpuE5ELNS1_3repE0EEENS1_30default_config_static_selectorELNS0_4arch9wavefront6targetE0EEEvT1_
		.amdhsa_group_segment_fixed_size 0
		.amdhsa_private_segment_fixed_size 0
		.amdhsa_kernarg_size 40
		.amdhsa_user_sgpr_count 2
		.amdhsa_user_sgpr_dispatch_ptr 0
		.amdhsa_user_sgpr_queue_ptr 0
		.amdhsa_user_sgpr_kernarg_segment_ptr 1
		.amdhsa_user_sgpr_dispatch_id 0
		.amdhsa_user_sgpr_kernarg_preload_length 0
		.amdhsa_user_sgpr_kernarg_preload_offset 0
		.amdhsa_user_sgpr_private_segment_size 0
		.amdhsa_wavefront_size32 1
		.amdhsa_uses_dynamic_stack 0
		.amdhsa_enable_private_segment 0
		.amdhsa_system_sgpr_workgroup_id_x 1
		.amdhsa_system_sgpr_workgroup_id_y 0
		.amdhsa_system_sgpr_workgroup_id_z 0
		.amdhsa_system_sgpr_workgroup_info 0
		.amdhsa_system_vgpr_workitem_id 0
		.amdhsa_next_free_vgpr 1
		.amdhsa_next_free_sgpr 1
		.amdhsa_named_barrier_count 0
		.amdhsa_reserve_vcc 0
		.amdhsa_float_round_mode_32 0
		.amdhsa_float_round_mode_16_64 0
		.amdhsa_float_denorm_mode_32 3
		.amdhsa_float_denorm_mode_16_64 3
		.amdhsa_fp16_overflow 0
		.amdhsa_memory_ordered 1
		.amdhsa_forward_progress 1
		.amdhsa_inst_pref_size 0
		.amdhsa_round_robin_scheduling 0
		.amdhsa_exception_fp_ieee_invalid_op 0
		.amdhsa_exception_fp_denorm_src 0
		.amdhsa_exception_fp_ieee_div_zero 0
		.amdhsa_exception_fp_ieee_overflow 0
		.amdhsa_exception_fp_ieee_underflow 0
		.amdhsa_exception_fp_ieee_inexact 0
		.amdhsa_exception_int_div_zero 0
	.end_amdhsa_kernel
	.section	.text._ZN7rocprim17ROCPRIM_400000_NS6detail17trampoline_kernelINS0_14default_configENS1_25transform_config_selectorItLb1EEEZNS1_14transform_implILb1ES3_S5_PKtPtNS0_8identityItEEEE10hipError_tT2_T3_mT4_P12ihipStream_tbEUlT_E_NS1_11comp_targetILNS1_3genE10ELNS1_11target_archE1201ELNS1_3gpuE5ELNS1_3repE0EEENS1_30default_config_static_selectorELNS0_4arch9wavefront6targetE0EEEvT1_,"axG",@progbits,_ZN7rocprim17ROCPRIM_400000_NS6detail17trampoline_kernelINS0_14default_configENS1_25transform_config_selectorItLb1EEEZNS1_14transform_implILb1ES3_S5_PKtPtNS0_8identityItEEEE10hipError_tT2_T3_mT4_P12ihipStream_tbEUlT_E_NS1_11comp_targetILNS1_3genE10ELNS1_11target_archE1201ELNS1_3gpuE5ELNS1_3repE0EEENS1_30default_config_static_selectorELNS0_4arch9wavefront6targetE0EEEvT1_,comdat
.Lfunc_end2379:
	.size	_ZN7rocprim17ROCPRIM_400000_NS6detail17trampoline_kernelINS0_14default_configENS1_25transform_config_selectorItLb1EEEZNS1_14transform_implILb1ES3_S5_PKtPtNS0_8identityItEEEE10hipError_tT2_T3_mT4_P12ihipStream_tbEUlT_E_NS1_11comp_targetILNS1_3genE10ELNS1_11target_archE1201ELNS1_3gpuE5ELNS1_3repE0EEENS1_30default_config_static_selectorELNS0_4arch9wavefront6targetE0EEEvT1_, .Lfunc_end2379-_ZN7rocprim17ROCPRIM_400000_NS6detail17trampoline_kernelINS0_14default_configENS1_25transform_config_selectorItLb1EEEZNS1_14transform_implILb1ES3_S5_PKtPtNS0_8identityItEEEE10hipError_tT2_T3_mT4_P12ihipStream_tbEUlT_E_NS1_11comp_targetILNS1_3genE10ELNS1_11target_archE1201ELNS1_3gpuE5ELNS1_3repE0EEENS1_30default_config_static_selectorELNS0_4arch9wavefront6targetE0EEEvT1_
                                        ; -- End function
	.set _ZN7rocprim17ROCPRIM_400000_NS6detail17trampoline_kernelINS0_14default_configENS1_25transform_config_selectorItLb1EEEZNS1_14transform_implILb1ES3_S5_PKtPtNS0_8identityItEEEE10hipError_tT2_T3_mT4_P12ihipStream_tbEUlT_E_NS1_11comp_targetILNS1_3genE10ELNS1_11target_archE1201ELNS1_3gpuE5ELNS1_3repE0EEENS1_30default_config_static_selectorELNS0_4arch9wavefront6targetE0EEEvT1_.num_vgpr, 0
	.set _ZN7rocprim17ROCPRIM_400000_NS6detail17trampoline_kernelINS0_14default_configENS1_25transform_config_selectorItLb1EEEZNS1_14transform_implILb1ES3_S5_PKtPtNS0_8identityItEEEE10hipError_tT2_T3_mT4_P12ihipStream_tbEUlT_E_NS1_11comp_targetILNS1_3genE10ELNS1_11target_archE1201ELNS1_3gpuE5ELNS1_3repE0EEENS1_30default_config_static_selectorELNS0_4arch9wavefront6targetE0EEEvT1_.num_agpr, 0
	.set _ZN7rocprim17ROCPRIM_400000_NS6detail17trampoline_kernelINS0_14default_configENS1_25transform_config_selectorItLb1EEEZNS1_14transform_implILb1ES3_S5_PKtPtNS0_8identityItEEEE10hipError_tT2_T3_mT4_P12ihipStream_tbEUlT_E_NS1_11comp_targetILNS1_3genE10ELNS1_11target_archE1201ELNS1_3gpuE5ELNS1_3repE0EEENS1_30default_config_static_selectorELNS0_4arch9wavefront6targetE0EEEvT1_.numbered_sgpr, 0
	.set _ZN7rocprim17ROCPRIM_400000_NS6detail17trampoline_kernelINS0_14default_configENS1_25transform_config_selectorItLb1EEEZNS1_14transform_implILb1ES3_S5_PKtPtNS0_8identityItEEEE10hipError_tT2_T3_mT4_P12ihipStream_tbEUlT_E_NS1_11comp_targetILNS1_3genE10ELNS1_11target_archE1201ELNS1_3gpuE5ELNS1_3repE0EEENS1_30default_config_static_selectorELNS0_4arch9wavefront6targetE0EEEvT1_.num_named_barrier, 0
	.set _ZN7rocprim17ROCPRIM_400000_NS6detail17trampoline_kernelINS0_14default_configENS1_25transform_config_selectorItLb1EEEZNS1_14transform_implILb1ES3_S5_PKtPtNS0_8identityItEEEE10hipError_tT2_T3_mT4_P12ihipStream_tbEUlT_E_NS1_11comp_targetILNS1_3genE10ELNS1_11target_archE1201ELNS1_3gpuE5ELNS1_3repE0EEENS1_30default_config_static_selectorELNS0_4arch9wavefront6targetE0EEEvT1_.private_seg_size, 0
	.set _ZN7rocprim17ROCPRIM_400000_NS6detail17trampoline_kernelINS0_14default_configENS1_25transform_config_selectorItLb1EEEZNS1_14transform_implILb1ES3_S5_PKtPtNS0_8identityItEEEE10hipError_tT2_T3_mT4_P12ihipStream_tbEUlT_E_NS1_11comp_targetILNS1_3genE10ELNS1_11target_archE1201ELNS1_3gpuE5ELNS1_3repE0EEENS1_30default_config_static_selectorELNS0_4arch9wavefront6targetE0EEEvT1_.uses_vcc, 0
	.set _ZN7rocprim17ROCPRIM_400000_NS6detail17trampoline_kernelINS0_14default_configENS1_25transform_config_selectorItLb1EEEZNS1_14transform_implILb1ES3_S5_PKtPtNS0_8identityItEEEE10hipError_tT2_T3_mT4_P12ihipStream_tbEUlT_E_NS1_11comp_targetILNS1_3genE10ELNS1_11target_archE1201ELNS1_3gpuE5ELNS1_3repE0EEENS1_30default_config_static_selectorELNS0_4arch9wavefront6targetE0EEEvT1_.uses_flat_scratch, 0
	.set _ZN7rocprim17ROCPRIM_400000_NS6detail17trampoline_kernelINS0_14default_configENS1_25transform_config_selectorItLb1EEEZNS1_14transform_implILb1ES3_S5_PKtPtNS0_8identityItEEEE10hipError_tT2_T3_mT4_P12ihipStream_tbEUlT_E_NS1_11comp_targetILNS1_3genE10ELNS1_11target_archE1201ELNS1_3gpuE5ELNS1_3repE0EEENS1_30default_config_static_selectorELNS0_4arch9wavefront6targetE0EEEvT1_.has_dyn_sized_stack, 0
	.set _ZN7rocprim17ROCPRIM_400000_NS6detail17trampoline_kernelINS0_14default_configENS1_25transform_config_selectorItLb1EEEZNS1_14transform_implILb1ES3_S5_PKtPtNS0_8identityItEEEE10hipError_tT2_T3_mT4_P12ihipStream_tbEUlT_E_NS1_11comp_targetILNS1_3genE10ELNS1_11target_archE1201ELNS1_3gpuE5ELNS1_3repE0EEENS1_30default_config_static_selectorELNS0_4arch9wavefront6targetE0EEEvT1_.has_recursion, 0
	.set _ZN7rocprim17ROCPRIM_400000_NS6detail17trampoline_kernelINS0_14default_configENS1_25transform_config_selectorItLb1EEEZNS1_14transform_implILb1ES3_S5_PKtPtNS0_8identityItEEEE10hipError_tT2_T3_mT4_P12ihipStream_tbEUlT_E_NS1_11comp_targetILNS1_3genE10ELNS1_11target_archE1201ELNS1_3gpuE5ELNS1_3repE0EEENS1_30default_config_static_selectorELNS0_4arch9wavefront6targetE0EEEvT1_.has_indirect_call, 0
	.section	.AMDGPU.csdata,"",@progbits
; Kernel info:
; codeLenInByte = 0
; TotalNumSgprs: 0
; NumVgprs: 0
; ScratchSize: 0
; MemoryBound: 0
; FloatMode: 240
; IeeeMode: 1
; LDSByteSize: 0 bytes/workgroup (compile time only)
; SGPRBlocks: 0
; VGPRBlocks: 0
; NumSGPRsForWavesPerEU: 1
; NumVGPRsForWavesPerEU: 1
; NamedBarCnt: 0
; Occupancy: 16
; WaveLimiterHint : 0
; COMPUTE_PGM_RSRC2:SCRATCH_EN: 0
; COMPUTE_PGM_RSRC2:USER_SGPR: 2
; COMPUTE_PGM_RSRC2:TRAP_HANDLER: 0
; COMPUTE_PGM_RSRC2:TGID_X_EN: 1
; COMPUTE_PGM_RSRC2:TGID_Y_EN: 0
; COMPUTE_PGM_RSRC2:TGID_Z_EN: 0
; COMPUTE_PGM_RSRC2:TIDIG_COMP_CNT: 0
	.section	.text._ZN7rocprim17ROCPRIM_400000_NS6detail17trampoline_kernelINS0_14default_configENS1_25transform_config_selectorItLb1EEEZNS1_14transform_implILb1ES3_S5_PKtPtNS0_8identityItEEEE10hipError_tT2_T3_mT4_P12ihipStream_tbEUlT_E_NS1_11comp_targetILNS1_3genE5ELNS1_11target_archE942ELNS1_3gpuE9ELNS1_3repE0EEENS1_30default_config_static_selectorELNS0_4arch9wavefront6targetE0EEEvT1_,"axG",@progbits,_ZN7rocprim17ROCPRIM_400000_NS6detail17trampoline_kernelINS0_14default_configENS1_25transform_config_selectorItLb1EEEZNS1_14transform_implILb1ES3_S5_PKtPtNS0_8identityItEEEE10hipError_tT2_T3_mT4_P12ihipStream_tbEUlT_E_NS1_11comp_targetILNS1_3genE5ELNS1_11target_archE942ELNS1_3gpuE9ELNS1_3repE0EEENS1_30default_config_static_selectorELNS0_4arch9wavefront6targetE0EEEvT1_,comdat
	.protected	_ZN7rocprim17ROCPRIM_400000_NS6detail17trampoline_kernelINS0_14default_configENS1_25transform_config_selectorItLb1EEEZNS1_14transform_implILb1ES3_S5_PKtPtNS0_8identityItEEEE10hipError_tT2_T3_mT4_P12ihipStream_tbEUlT_E_NS1_11comp_targetILNS1_3genE5ELNS1_11target_archE942ELNS1_3gpuE9ELNS1_3repE0EEENS1_30default_config_static_selectorELNS0_4arch9wavefront6targetE0EEEvT1_ ; -- Begin function _ZN7rocprim17ROCPRIM_400000_NS6detail17trampoline_kernelINS0_14default_configENS1_25transform_config_selectorItLb1EEEZNS1_14transform_implILb1ES3_S5_PKtPtNS0_8identityItEEEE10hipError_tT2_T3_mT4_P12ihipStream_tbEUlT_E_NS1_11comp_targetILNS1_3genE5ELNS1_11target_archE942ELNS1_3gpuE9ELNS1_3repE0EEENS1_30default_config_static_selectorELNS0_4arch9wavefront6targetE0EEEvT1_
	.globl	_ZN7rocprim17ROCPRIM_400000_NS6detail17trampoline_kernelINS0_14default_configENS1_25transform_config_selectorItLb1EEEZNS1_14transform_implILb1ES3_S5_PKtPtNS0_8identityItEEEE10hipError_tT2_T3_mT4_P12ihipStream_tbEUlT_E_NS1_11comp_targetILNS1_3genE5ELNS1_11target_archE942ELNS1_3gpuE9ELNS1_3repE0EEENS1_30default_config_static_selectorELNS0_4arch9wavefront6targetE0EEEvT1_
	.p2align	8
	.type	_ZN7rocprim17ROCPRIM_400000_NS6detail17trampoline_kernelINS0_14default_configENS1_25transform_config_selectorItLb1EEEZNS1_14transform_implILb1ES3_S5_PKtPtNS0_8identityItEEEE10hipError_tT2_T3_mT4_P12ihipStream_tbEUlT_E_NS1_11comp_targetILNS1_3genE5ELNS1_11target_archE942ELNS1_3gpuE9ELNS1_3repE0EEENS1_30default_config_static_selectorELNS0_4arch9wavefront6targetE0EEEvT1_,@function
_ZN7rocprim17ROCPRIM_400000_NS6detail17trampoline_kernelINS0_14default_configENS1_25transform_config_selectorItLb1EEEZNS1_14transform_implILb1ES3_S5_PKtPtNS0_8identityItEEEE10hipError_tT2_T3_mT4_P12ihipStream_tbEUlT_E_NS1_11comp_targetILNS1_3genE5ELNS1_11target_archE942ELNS1_3gpuE9ELNS1_3repE0EEENS1_30default_config_static_selectorELNS0_4arch9wavefront6targetE0EEEvT1_: ; @_ZN7rocprim17ROCPRIM_400000_NS6detail17trampoline_kernelINS0_14default_configENS1_25transform_config_selectorItLb1EEEZNS1_14transform_implILb1ES3_S5_PKtPtNS0_8identityItEEEE10hipError_tT2_T3_mT4_P12ihipStream_tbEUlT_E_NS1_11comp_targetILNS1_3genE5ELNS1_11target_archE942ELNS1_3gpuE9ELNS1_3repE0EEENS1_30default_config_static_selectorELNS0_4arch9wavefront6targetE0EEEvT1_
; %bb.0:
	.section	.rodata,"a",@progbits
	.p2align	6, 0x0
	.amdhsa_kernel _ZN7rocprim17ROCPRIM_400000_NS6detail17trampoline_kernelINS0_14default_configENS1_25transform_config_selectorItLb1EEEZNS1_14transform_implILb1ES3_S5_PKtPtNS0_8identityItEEEE10hipError_tT2_T3_mT4_P12ihipStream_tbEUlT_E_NS1_11comp_targetILNS1_3genE5ELNS1_11target_archE942ELNS1_3gpuE9ELNS1_3repE0EEENS1_30default_config_static_selectorELNS0_4arch9wavefront6targetE0EEEvT1_
		.amdhsa_group_segment_fixed_size 0
		.amdhsa_private_segment_fixed_size 0
		.amdhsa_kernarg_size 40
		.amdhsa_user_sgpr_count 2
		.amdhsa_user_sgpr_dispatch_ptr 0
		.amdhsa_user_sgpr_queue_ptr 0
		.amdhsa_user_sgpr_kernarg_segment_ptr 1
		.amdhsa_user_sgpr_dispatch_id 0
		.amdhsa_user_sgpr_kernarg_preload_length 0
		.amdhsa_user_sgpr_kernarg_preload_offset 0
		.amdhsa_user_sgpr_private_segment_size 0
		.amdhsa_wavefront_size32 1
		.amdhsa_uses_dynamic_stack 0
		.amdhsa_enable_private_segment 0
		.amdhsa_system_sgpr_workgroup_id_x 1
		.amdhsa_system_sgpr_workgroup_id_y 0
		.amdhsa_system_sgpr_workgroup_id_z 0
		.amdhsa_system_sgpr_workgroup_info 0
		.amdhsa_system_vgpr_workitem_id 0
		.amdhsa_next_free_vgpr 1
		.amdhsa_next_free_sgpr 1
		.amdhsa_named_barrier_count 0
		.amdhsa_reserve_vcc 0
		.amdhsa_float_round_mode_32 0
		.amdhsa_float_round_mode_16_64 0
		.amdhsa_float_denorm_mode_32 3
		.amdhsa_float_denorm_mode_16_64 3
		.amdhsa_fp16_overflow 0
		.amdhsa_memory_ordered 1
		.amdhsa_forward_progress 1
		.amdhsa_inst_pref_size 0
		.amdhsa_round_robin_scheduling 0
		.amdhsa_exception_fp_ieee_invalid_op 0
		.amdhsa_exception_fp_denorm_src 0
		.amdhsa_exception_fp_ieee_div_zero 0
		.amdhsa_exception_fp_ieee_overflow 0
		.amdhsa_exception_fp_ieee_underflow 0
		.amdhsa_exception_fp_ieee_inexact 0
		.amdhsa_exception_int_div_zero 0
	.end_amdhsa_kernel
	.section	.text._ZN7rocprim17ROCPRIM_400000_NS6detail17trampoline_kernelINS0_14default_configENS1_25transform_config_selectorItLb1EEEZNS1_14transform_implILb1ES3_S5_PKtPtNS0_8identityItEEEE10hipError_tT2_T3_mT4_P12ihipStream_tbEUlT_E_NS1_11comp_targetILNS1_3genE5ELNS1_11target_archE942ELNS1_3gpuE9ELNS1_3repE0EEENS1_30default_config_static_selectorELNS0_4arch9wavefront6targetE0EEEvT1_,"axG",@progbits,_ZN7rocprim17ROCPRIM_400000_NS6detail17trampoline_kernelINS0_14default_configENS1_25transform_config_selectorItLb1EEEZNS1_14transform_implILb1ES3_S5_PKtPtNS0_8identityItEEEE10hipError_tT2_T3_mT4_P12ihipStream_tbEUlT_E_NS1_11comp_targetILNS1_3genE5ELNS1_11target_archE942ELNS1_3gpuE9ELNS1_3repE0EEENS1_30default_config_static_selectorELNS0_4arch9wavefront6targetE0EEEvT1_,comdat
.Lfunc_end2380:
	.size	_ZN7rocprim17ROCPRIM_400000_NS6detail17trampoline_kernelINS0_14default_configENS1_25transform_config_selectorItLb1EEEZNS1_14transform_implILb1ES3_S5_PKtPtNS0_8identityItEEEE10hipError_tT2_T3_mT4_P12ihipStream_tbEUlT_E_NS1_11comp_targetILNS1_3genE5ELNS1_11target_archE942ELNS1_3gpuE9ELNS1_3repE0EEENS1_30default_config_static_selectorELNS0_4arch9wavefront6targetE0EEEvT1_, .Lfunc_end2380-_ZN7rocprim17ROCPRIM_400000_NS6detail17trampoline_kernelINS0_14default_configENS1_25transform_config_selectorItLb1EEEZNS1_14transform_implILb1ES3_S5_PKtPtNS0_8identityItEEEE10hipError_tT2_T3_mT4_P12ihipStream_tbEUlT_E_NS1_11comp_targetILNS1_3genE5ELNS1_11target_archE942ELNS1_3gpuE9ELNS1_3repE0EEENS1_30default_config_static_selectorELNS0_4arch9wavefront6targetE0EEEvT1_
                                        ; -- End function
	.set _ZN7rocprim17ROCPRIM_400000_NS6detail17trampoline_kernelINS0_14default_configENS1_25transform_config_selectorItLb1EEEZNS1_14transform_implILb1ES3_S5_PKtPtNS0_8identityItEEEE10hipError_tT2_T3_mT4_P12ihipStream_tbEUlT_E_NS1_11comp_targetILNS1_3genE5ELNS1_11target_archE942ELNS1_3gpuE9ELNS1_3repE0EEENS1_30default_config_static_selectorELNS0_4arch9wavefront6targetE0EEEvT1_.num_vgpr, 0
	.set _ZN7rocprim17ROCPRIM_400000_NS6detail17trampoline_kernelINS0_14default_configENS1_25transform_config_selectorItLb1EEEZNS1_14transform_implILb1ES3_S5_PKtPtNS0_8identityItEEEE10hipError_tT2_T3_mT4_P12ihipStream_tbEUlT_E_NS1_11comp_targetILNS1_3genE5ELNS1_11target_archE942ELNS1_3gpuE9ELNS1_3repE0EEENS1_30default_config_static_selectorELNS0_4arch9wavefront6targetE0EEEvT1_.num_agpr, 0
	.set _ZN7rocprim17ROCPRIM_400000_NS6detail17trampoline_kernelINS0_14default_configENS1_25transform_config_selectorItLb1EEEZNS1_14transform_implILb1ES3_S5_PKtPtNS0_8identityItEEEE10hipError_tT2_T3_mT4_P12ihipStream_tbEUlT_E_NS1_11comp_targetILNS1_3genE5ELNS1_11target_archE942ELNS1_3gpuE9ELNS1_3repE0EEENS1_30default_config_static_selectorELNS0_4arch9wavefront6targetE0EEEvT1_.numbered_sgpr, 0
	.set _ZN7rocprim17ROCPRIM_400000_NS6detail17trampoline_kernelINS0_14default_configENS1_25transform_config_selectorItLb1EEEZNS1_14transform_implILb1ES3_S5_PKtPtNS0_8identityItEEEE10hipError_tT2_T3_mT4_P12ihipStream_tbEUlT_E_NS1_11comp_targetILNS1_3genE5ELNS1_11target_archE942ELNS1_3gpuE9ELNS1_3repE0EEENS1_30default_config_static_selectorELNS0_4arch9wavefront6targetE0EEEvT1_.num_named_barrier, 0
	.set _ZN7rocprim17ROCPRIM_400000_NS6detail17trampoline_kernelINS0_14default_configENS1_25transform_config_selectorItLb1EEEZNS1_14transform_implILb1ES3_S5_PKtPtNS0_8identityItEEEE10hipError_tT2_T3_mT4_P12ihipStream_tbEUlT_E_NS1_11comp_targetILNS1_3genE5ELNS1_11target_archE942ELNS1_3gpuE9ELNS1_3repE0EEENS1_30default_config_static_selectorELNS0_4arch9wavefront6targetE0EEEvT1_.private_seg_size, 0
	.set _ZN7rocprim17ROCPRIM_400000_NS6detail17trampoline_kernelINS0_14default_configENS1_25transform_config_selectorItLb1EEEZNS1_14transform_implILb1ES3_S5_PKtPtNS0_8identityItEEEE10hipError_tT2_T3_mT4_P12ihipStream_tbEUlT_E_NS1_11comp_targetILNS1_3genE5ELNS1_11target_archE942ELNS1_3gpuE9ELNS1_3repE0EEENS1_30default_config_static_selectorELNS0_4arch9wavefront6targetE0EEEvT1_.uses_vcc, 0
	.set _ZN7rocprim17ROCPRIM_400000_NS6detail17trampoline_kernelINS0_14default_configENS1_25transform_config_selectorItLb1EEEZNS1_14transform_implILb1ES3_S5_PKtPtNS0_8identityItEEEE10hipError_tT2_T3_mT4_P12ihipStream_tbEUlT_E_NS1_11comp_targetILNS1_3genE5ELNS1_11target_archE942ELNS1_3gpuE9ELNS1_3repE0EEENS1_30default_config_static_selectorELNS0_4arch9wavefront6targetE0EEEvT1_.uses_flat_scratch, 0
	.set _ZN7rocprim17ROCPRIM_400000_NS6detail17trampoline_kernelINS0_14default_configENS1_25transform_config_selectorItLb1EEEZNS1_14transform_implILb1ES3_S5_PKtPtNS0_8identityItEEEE10hipError_tT2_T3_mT4_P12ihipStream_tbEUlT_E_NS1_11comp_targetILNS1_3genE5ELNS1_11target_archE942ELNS1_3gpuE9ELNS1_3repE0EEENS1_30default_config_static_selectorELNS0_4arch9wavefront6targetE0EEEvT1_.has_dyn_sized_stack, 0
	.set _ZN7rocprim17ROCPRIM_400000_NS6detail17trampoline_kernelINS0_14default_configENS1_25transform_config_selectorItLb1EEEZNS1_14transform_implILb1ES3_S5_PKtPtNS0_8identityItEEEE10hipError_tT2_T3_mT4_P12ihipStream_tbEUlT_E_NS1_11comp_targetILNS1_3genE5ELNS1_11target_archE942ELNS1_3gpuE9ELNS1_3repE0EEENS1_30default_config_static_selectorELNS0_4arch9wavefront6targetE0EEEvT1_.has_recursion, 0
	.set _ZN7rocprim17ROCPRIM_400000_NS6detail17trampoline_kernelINS0_14default_configENS1_25transform_config_selectorItLb1EEEZNS1_14transform_implILb1ES3_S5_PKtPtNS0_8identityItEEEE10hipError_tT2_T3_mT4_P12ihipStream_tbEUlT_E_NS1_11comp_targetILNS1_3genE5ELNS1_11target_archE942ELNS1_3gpuE9ELNS1_3repE0EEENS1_30default_config_static_selectorELNS0_4arch9wavefront6targetE0EEEvT1_.has_indirect_call, 0
	.section	.AMDGPU.csdata,"",@progbits
; Kernel info:
; codeLenInByte = 0
; TotalNumSgprs: 0
; NumVgprs: 0
; ScratchSize: 0
; MemoryBound: 0
; FloatMode: 240
; IeeeMode: 1
; LDSByteSize: 0 bytes/workgroup (compile time only)
; SGPRBlocks: 0
; VGPRBlocks: 0
; NumSGPRsForWavesPerEU: 1
; NumVGPRsForWavesPerEU: 1
; NamedBarCnt: 0
; Occupancy: 16
; WaveLimiterHint : 0
; COMPUTE_PGM_RSRC2:SCRATCH_EN: 0
; COMPUTE_PGM_RSRC2:USER_SGPR: 2
; COMPUTE_PGM_RSRC2:TRAP_HANDLER: 0
; COMPUTE_PGM_RSRC2:TGID_X_EN: 1
; COMPUTE_PGM_RSRC2:TGID_Y_EN: 0
; COMPUTE_PGM_RSRC2:TGID_Z_EN: 0
; COMPUTE_PGM_RSRC2:TIDIG_COMP_CNT: 0
	.section	.text._ZN7rocprim17ROCPRIM_400000_NS6detail17trampoline_kernelINS0_14default_configENS1_25transform_config_selectorItLb1EEEZNS1_14transform_implILb1ES3_S5_PKtPtNS0_8identityItEEEE10hipError_tT2_T3_mT4_P12ihipStream_tbEUlT_E_NS1_11comp_targetILNS1_3genE4ELNS1_11target_archE910ELNS1_3gpuE8ELNS1_3repE0EEENS1_30default_config_static_selectorELNS0_4arch9wavefront6targetE0EEEvT1_,"axG",@progbits,_ZN7rocprim17ROCPRIM_400000_NS6detail17trampoline_kernelINS0_14default_configENS1_25transform_config_selectorItLb1EEEZNS1_14transform_implILb1ES3_S5_PKtPtNS0_8identityItEEEE10hipError_tT2_T3_mT4_P12ihipStream_tbEUlT_E_NS1_11comp_targetILNS1_3genE4ELNS1_11target_archE910ELNS1_3gpuE8ELNS1_3repE0EEENS1_30default_config_static_selectorELNS0_4arch9wavefront6targetE0EEEvT1_,comdat
	.protected	_ZN7rocprim17ROCPRIM_400000_NS6detail17trampoline_kernelINS0_14default_configENS1_25transform_config_selectorItLb1EEEZNS1_14transform_implILb1ES3_S5_PKtPtNS0_8identityItEEEE10hipError_tT2_T3_mT4_P12ihipStream_tbEUlT_E_NS1_11comp_targetILNS1_3genE4ELNS1_11target_archE910ELNS1_3gpuE8ELNS1_3repE0EEENS1_30default_config_static_selectorELNS0_4arch9wavefront6targetE0EEEvT1_ ; -- Begin function _ZN7rocprim17ROCPRIM_400000_NS6detail17trampoline_kernelINS0_14default_configENS1_25transform_config_selectorItLb1EEEZNS1_14transform_implILb1ES3_S5_PKtPtNS0_8identityItEEEE10hipError_tT2_T3_mT4_P12ihipStream_tbEUlT_E_NS1_11comp_targetILNS1_3genE4ELNS1_11target_archE910ELNS1_3gpuE8ELNS1_3repE0EEENS1_30default_config_static_selectorELNS0_4arch9wavefront6targetE0EEEvT1_
	.globl	_ZN7rocprim17ROCPRIM_400000_NS6detail17trampoline_kernelINS0_14default_configENS1_25transform_config_selectorItLb1EEEZNS1_14transform_implILb1ES3_S5_PKtPtNS0_8identityItEEEE10hipError_tT2_T3_mT4_P12ihipStream_tbEUlT_E_NS1_11comp_targetILNS1_3genE4ELNS1_11target_archE910ELNS1_3gpuE8ELNS1_3repE0EEENS1_30default_config_static_selectorELNS0_4arch9wavefront6targetE0EEEvT1_
	.p2align	8
	.type	_ZN7rocprim17ROCPRIM_400000_NS6detail17trampoline_kernelINS0_14default_configENS1_25transform_config_selectorItLb1EEEZNS1_14transform_implILb1ES3_S5_PKtPtNS0_8identityItEEEE10hipError_tT2_T3_mT4_P12ihipStream_tbEUlT_E_NS1_11comp_targetILNS1_3genE4ELNS1_11target_archE910ELNS1_3gpuE8ELNS1_3repE0EEENS1_30default_config_static_selectorELNS0_4arch9wavefront6targetE0EEEvT1_,@function
_ZN7rocprim17ROCPRIM_400000_NS6detail17trampoline_kernelINS0_14default_configENS1_25transform_config_selectorItLb1EEEZNS1_14transform_implILb1ES3_S5_PKtPtNS0_8identityItEEEE10hipError_tT2_T3_mT4_P12ihipStream_tbEUlT_E_NS1_11comp_targetILNS1_3genE4ELNS1_11target_archE910ELNS1_3gpuE8ELNS1_3repE0EEENS1_30default_config_static_selectorELNS0_4arch9wavefront6targetE0EEEvT1_: ; @_ZN7rocprim17ROCPRIM_400000_NS6detail17trampoline_kernelINS0_14default_configENS1_25transform_config_selectorItLb1EEEZNS1_14transform_implILb1ES3_S5_PKtPtNS0_8identityItEEEE10hipError_tT2_T3_mT4_P12ihipStream_tbEUlT_E_NS1_11comp_targetILNS1_3genE4ELNS1_11target_archE910ELNS1_3gpuE8ELNS1_3repE0EEENS1_30default_config_static_selectorELNS0_4arch9wavefront6targetE0EEEvT1_
; %bb.0:
	.section	.rodata,"a",@progbits
	.p2align	6, 0x0
	.amdhsa_kernel _ZN7rocprim17ROCPRIM_400000_NS6detail17trampoline_kernelINS0_14default_configENS1_25transform_config_selectorItLb1EEEZNS1_14transform_implILb1ES3_S5_PKtPtNS0_8identityItEEEE10hipError_tT2_T3_mT4_P12ihipStream_tbEUlT_E_NS1_11comp_targetILNS1_3genE4ELNS1_11target_archE910ELNS1_3gpuE8ELNS1_3repE0EEENS1_30default_config_static_selectorELNS0_4arch9wavefront6targetE0EEEvT1_
		.amdhsa_group_segment_fixed_size 0
		.amdhsa_private_segment_fixed_size 0
		.amdhsa_kernarg_size 40
		.amdhsa_user_sgpr_count 2
		.amdhsa_user_sgpr_dispatch_ptr 0
		.amdhsa_user_sgpr_queue_ptr 0
		.amdhsa_user_sgpr_kernarg_segment_ptr 1
		.amdhsa_user_sgpr_dispatch_id 0
		.amdhsa_user_sgpr_kernarg_preload_length 0
		.amdhsa_user_sgpr_kernarg_preload_offset 0
		.amdhsa_user_sgpr_private_segment_size 0
		.amdhsa_wavefront_size32 1
		.amdhsa_uses_dynamic_stack 0
		.amdhsa_enable_private_segment 0
		.amdhsa_system_sgpr_workgroup_id_x 1
		.amdhsa_system_sgpr_workgroup_id_y 0
		.amdhsa_system_sgpr_workgroup_id_z 0
		.amdhsa_system_sgpr_workgroup_info 0
		.amdhsa_system_vgpr_workitem_id 0
		.amdhsa_next_free_vgpr 1
		.amdhsa_next_free_sgpr 1
		.amdhsa_named_barrier_count 0
		.amdhsa_reserve_vcc 0
		.amdhsa_float_round_mode_32 0
		.amdhsa_float_round_mode_16_64 0
		.amdhsa_float_denorm_mode_32 3
		.amdhsa_float_denorm_mode_16_64 3
		.amdhsa_fp16_overflow 0
		.amdhsa_memory_ordered 1
		.amdhsa_forward_progress 1
		.amdhsa_inst_pref_size 0
		.amdhsa_round_robin_scheduling 0
		.amdhsa_exception_fp_ieee_invalid_op 0
		.amdhsa_exception_fp_denorm_src 0
		.amdhsa_exception_fp_ieee_div_zero 0
		.amdhsa_exception_fp_ieee_overflow 0
		.amdhsa_exception_fp_ieee_underflow 0
		.amdhsa_exception_fp_ieee_inexact 0
		.amdhsa_exception_int_div_zero 0
	.end_amdhsa_kernel
	.section	.text._ZN7rocprim17ROCPRIM_400000_NS6detail17trampoline_kernelINS0_14default_configENS1_25transform_config_selectorItLb1EEEZNS1_14transform_implILb1ES3_S5_PKtPtNS0_8identityItEEEE10hipError_tT2_T3_mT4_P12ihipStream_tbEUlT_E_NS1_11comp_targetILNS1_3genE4ELNS1_11target_archE910ELNS1_3gpuE8ELNS1_3repE0EEENS1_30default_config_static_selectorELNS0_4arch9wavefront6targetE0EEEvT1_,"axG",@progbits,_ZN7rocprim17ROCPRIM_400000_NS6detail17trampoline_kernelINS0_14default_configENS1_25transform_config_selectorItLb1EEEZNS1_14transform_implILb1ES3_S5_PKtPtNS0_8identityItEEEE10hipError_tT2_T3_mT4_P12ihipStream_tbEUlT_E_NS1_11comp_targetILNS1_3genE4ELNS1_11target_archE910ELNS1_3gpuE8ELNS1_3repE0EEENS1_30default_config_static_selectorELNS0_4arch9wavefront6targetE0EEEvT1_,comdat
.Lfunc_end2381:
	.size	_ZN7rocprim17ROCPRIM_400000_NS6detail17trampoline_kernelINS0_14default_configENS1_25transform_config_selectorItLb1EEEZNS1_14transform_implILb1ES3_S5_PKtPtNS0_8identityItEEEE10hipError_tT2_T3_mT4_P12ihipStream_tbEUlT_E_NS1_11comp_targetILNS1_3genE4ELNS1_11target_archE910ELNS1_3gpuE8ELNS1_3repE0EEENS1_30default_config_static_selectorELNS0_4arch9wavefront6targetE0EEEvT1_, .Lfunc_end2381-_ZN7rocprim17ROCPRIM_400000_NS6detail17trampoline_kernelINS0_14default_configENS1_25transform_config_selectorItLb1EEEZNS1_14transform_implILb1ES3_S5_PKtPtNS0_8identityItEEEE10hipError_tT2_T3_mT4_P12ihipStream_tbEUlT_E_NS1_11comp_targetILNS1_3genE4ELNS1_11target_archE910ELNS1_3gpuE8ELNS1_3repE0EEENS1_30default_config_static_selectorELNS0_4arch9wavefront6targetE0EEEvT1_
                                        ; -- End function
	.set _ZN7rocprim17ROCPRIM_400000_NS6detail17trampoline_kernelINS0_14default_configENS1_25transform_config_selectorItLb1EEEZNS1_14transform_implILb1ES3_S5_PKtPtNS0_8identityItEEEE10hipError_tT2_T3_mT4_P12ihipStream_tbEUlT_E_NS1_11comp_targetILNS1_3genE4ELNS1_11target_archE910ELNS1_3gpuE8ELNS1_3repE0EEENS1_30default_config_static_selectorELNS0_4arch9wavefront6targetE0EEEvT1_.num_vgpr, 0
	.set _ZN7rocprim17ROCPRIM_400000_NS6detail17trampoline_kernelINS0_14default_configENS1_25transform_config_selectorItLb1EEEZNS1_14transform_implILb1ES3_S5_PKtPtNS0_8identityItEEEE10hipError_tT2_T3_mT4_P12ihipStream_tbEUlT_E_NS1_11comp_targetILNS1_3genE4ELNS1_11target_archE910ELNS1_3gpuE8ELNS1_3repE0EEENS1_30default_config_static_selectorELNS0_4arch9wavefront6targetE0EEEvT1_.num_agpr, 0
	.set _ZN7rocprim17ROCPRIM_400000_NS6detail17trampoline_kernelINS0_14default_configENS1_25transform_config_selectorItLb1EEEZNS1_14transform_implILb1ES3_S5_PKtPtNS0_8identityItEEEE10hipError_tT2_T3_mT4_P12ihipStream_tbEUlT_E_NS1_11comp_targetILNS1_3genE4ELNS1_11target_archE910ELNS1_3gpuE8ELNS1_3repE0EEENS1_30default_config_static_selectorELNS0_4arch9wavefront6targetE0EEEvT1_.numbered_sgpr, 0
	.set _ZN7rocprim17ROCPRIM_400000_NS6detail17trampoline_kernelINS0_14default_configENS1_25transform_config_selectorItLb1EEEZNS1_14transform_implILb1ES3_S5_PKtPtNS0_8identityItEEEE10hipError_tT2_T3_mT4_P12ihipStream_tbEUlT_E_NS1_11comp_targetILNS1_3genE4ELNS1_11target_archE910ELNS1_3gpuE8ELNS1_3repE0EEENS1_30default_config_static_selectorELNS0_4arch9wavefront6targetE0EEEvT1_.num_named_barrier, 0
	.set _ZN7rocprim17ROCPRIM_400000_NS6detail17trampoline_kernelINS0_14default_configENS1_25transform_config_selectorItLb1EEEZNS1_14transform_implILb1ES3_S5_PKtPtNS0_8identityItEEEE10hipError_tT2_T3_mT4_P12ihipStream_tbEUlT_E_NS1_11comp_targetILNS1_3genE4ELNS1_11target_archE910ELNS1_3gpuE8ELNS1_3repE0EEENS1_30default_config_static_selectorELNS0_4arch9wavefront6targetE0EEEvT1_.private_seg_size, 0
	.set _ZN7rocprim17ROCPRIM_400000_NS6detail17trampoline_kernelINS0_14default_configENS1_25transform_config_selectorItLb1EEEZNS1_14transform_implILb1ES3_S5_PKtPtNS0_8identityItEEEE10hipError_tT2_T3_mT4_P12ihipStream_tbEUlT_E_NS1_11comp_targetILNS1_3genE4ELNS1_11target_archE910ELNS1_3gpuE8ELNS1_3repE0EEENS1_30default_config_static_selectorELNS0_4arch9wavefront6targetE0EEEvT1_.uses_vcc, 0
	.set _ZN7rocprim17ROCPRIM_400000_NS6detail17trampoline_kernelINS0_14default_configENS1_25transform_config_selectorItLb1EEEZNS1_14transform_implILb1ES3_S5_PKtPtNS0_8identityItEEEE10hipError_tT2_T3_mT4_P12ihipStream_tbEUlT_E_NS1_11comp_targetILNS1_3genE4ELNS1_11target_archE910ELNS1_3gpuE8ELNS1_3repE0EEENS1_30default_config_static_selectorELNS0_4arch9wavefront6targetE0EEEvT1_.uses_flat_scratch, 0
	.set _ZN7rocprim17ROCPRIM_400000_NS6detail17trampoline_kernelINS0_14default_configENS1_25transform_config_selectorItLb1EEEZNS1_14transform_implILb1ES3_S5_PKtPtNS0_8identityItEEEE10hipError_tT2_T3_mT4_P12ihipStream_tbEUlT_E_NS1_11comp_targetILNS1_3genE4ELNS1_11target_archE910ELNS1_3gpuE8ELNS1_3repE0EEENS1_30default_config_static_selectorELNS0_4arch9wavefront6targetE0EEEvT1_.has_dyn_sized_stack, 0
	.set _ZN7rocprim17ROCPRIM_400000_NS6detail17trampoline_kernelINS0_14default_configENS1_25transform_config_selectorItLb1EEEZNS1_14transform_implILb1ES3_S5_PKtPtNS0_8identityItEEEE10hipError_tT2_T3_mT4_P12ihipStream_tbEUlT_E_NS1_11comp_targetILNS1_3genE4ELNS1_11target_archE910ELNS1_3gpuE8ELNS1_3repE0EEENS1_30default_config_static_selectorELNS0_4arch9wavefront6targetE0EEEvT1_.has_recursion, 0
	.set _ZN7rocprim17ROCPRIM_400000_NS6detail17trampoline_kernelINS0_14default_configENS1_25transform_config_selectorItLb1EEEZNS1_14transform_implILb1ES3_S5_PKtPtNS0_8identityItEEEE10hipError_tT2_T3_mT4_P12ihipStream_tbEUlT_E_NS1_11comp_targetILNS1_3genE4ELNS1_11target_archE910ELNS1_3gpuE8ELNS1_3repE0EEENS1_30default_config_static_selectorELNS0_4arch9wavefront6targetE0EEEvT1_.has_indirect_call, 0
	.section	.AMDGPU.csdata,"",@progbits
; Kernel info:
; codeLenInByte = 0
; TotalNumSgprs: 0
; NumVgprs: 0
; ScratchSize: 0
; MemoryBound: 0
; FloatMode: 240
; IeeeMode: 1
; LDSByteSize: 0 bytes/workgroup (compile time only)
; SGPRBlocks: 0
; VGPRBlocks: 0
; NumSGPRsForWavesPerEU: 1
; NumVGPRsForWavesPerEU: 1
; NamedBarCnt: 0
; Occupancy: 16
; WaveLimiterHint : 0
; COMPUTE_PGM_RSRC2:SCRATCH_EN: 0
; COMPUTE_PGM_RSRC2:USER_SGPR: 2
; COMPUTE_PGM_RSRC2:TRAP_HANDLER: 0
; COMPUTE_PGM_RSRC2:TGID_X_EN: 1
; COMPUTE_PGM_RSRC2:TGID_Y_EN: 0
; COMPUTE_PGM_RSRC2:TGID_Z_EN: 0
; COMPUTE_PGM_RSRC2:TIDIG_COMP_CNT: 0
	.section	.text._ZN7rocprim17ROCPRIM_400000_NS6detail17trampoline_kernelINS0_14default_configENS1_25transform_config_selectorItLb1EEEZNS1_14transform_implILb1ES3_S5_PKtPtNS0_8identityItEEEE10hipError_tT2_T3_mT4_P12ihipStream_tbEUlT_E_NS1_11comp_targetILNS1_3genE3ELNS1_11target_archE908ELNS1_3gpuE7ELNS1_3repE0EEENS1_30default_config_static_selectorELNS0_4arch9wavefront6targetE0EEEvT1_,"axG",@progbits,_ZN7rocprim17ROCPRIM_400000_NS6detail17trampoline_kernelINS0_14default_configENS1_25transform_config_selectorItLb1EEEZNS1_14transform_implILb1ES3_S5_PKtPtNS0_8identityItEEEE10hipError_tT2_T3_mT4_P12ihipStream_tbEUlT_E_NS1_11comp_targetILNS1_3genE3ELNS1_11target_archE908ELNS1_3gpuE7ELNS1_3repE0EEENS1_30default_config_static_selectorELNS0_4arch9wavefront6targetE0EEEvT1_,comdat
	.protected	_ZN7rocprim17ROCPRIM_400000_NS6detail17trampoline_kernelINS0_14default_configENS1_25transform_config_selectorItLb1EEEZNS1_14transform_implILb1ES3_S5_PKtPtNS0_8identityItEEEE10hipError_tT2_T3_mT4_P12ihipStream_tbEUlT_E_NS1_11comp_targetILNS1_3genE3ELNS1_11target_archE908ELNS1_3gpuE7ELNS1_3repE0EEENS1_30default_config_static_selectorELNS0_4arch9wavefront6targetE0EEEvT1_ ; -- Begin function _ZN7rocprim17ROCPRIM_400000_NS6detail17trampoline_kernelINS0_14default_configENS1_25transform_config_selectorItLb1EEEZNS1_14transform_implILb1ES3_S5_PKtPtNS0_8identityItEEEE10hipError_tT2_T3_mT4_P12ihipStream_tbEUlT_E_NS1_11comp_targetILNS1_3genE3ELNS1_11target_archE908ELNS1_3gpuE7ELNS1_3repE0EEENS1_30default_config_static_selectorELNS0_4arch9wavefront6targetE0EEEvT1_
	.globl	_ZN7rocprim17ROCPRIM_400000_NS6detail17trampoline_kernelINS0_14default_configENS1_25transform_config_selectorItLb1EEEZNS1_14transform_implILb1ES3_S5_PKtPtNS0_8identityItEEEE10hipError_tT2_T3_mT4_P12ihipStream_tbEUlT_E_NS1_11comp_targetILNS1_3genE3ELNS1_11target_archE908ELNS1_3gpuE7ELNS1_3repE0EEENS1_30default_config_static_selectorELNS0_4arch9wavefront6targetE0EEEvT1_
	.p2align	8
	.type	_ZN7rocprim17ROCPRIM_400000_NS6detail17trampoline_kernelINS0_14default_configENS1_25transform_config_selectorItLb1EEEZNS1_14transform_implILb1ES3_S5_PKtPtNS0_8identityItEEEE10hipError_tT2_T3_mT4_P12ihipStream_tbEUlT_E_NS1_11comp_targetILNS1_3genE3ELNS1_11target_archE908ELNS1_3gpuE7ELNS1_3repE0EEENS1_30default_config_static_selectorELNS0_4arch9wavefront6targetE0EEEvT1_,@function
_ZN7rocprim17ROCPRIM_400000_NS6detail17trampoline_kernelINS0_14default_configENS1_25transform_config_selectorItLb1EEEZNS1_14transform_implILb1ES3_S5_PKtPtNS0_8identityItEEEE10hipError_tT2_T3_mT4_P12ihipStream_tbEUlT_E_NS1_11comp_targetILNS1_3genE3ELNS1_11target_archE908ELNS1_3gpuE7ELNS1_3repE0EEENS1_30default_config_static_selectorELNS0_4arch9wavefront6targetE0EEEvT1_: ; @_ZN7rocprim17ROCPRIM_400000_NS6detail17trampoline_kernelINS0_14default_configENS1_25transform_config_selectorItLb1EEEZNS1_14transform_implILb1ES3_S5_PKtPtNS0_8identityItEEEE10hipError_tT2_T3_mT4_P12ihipStream_tbEUlT_E_NS1_11comp_targetILNS1_3genE3ELNS1_11target_archE908ELNS1_3gpuE7ELNS1_3repE0EEENS1_30default_config_static_selectorELNS0_4arch9wavefront6targetE0EEEvT1_
; %bb.0:
	.section	.rodata,"a",@progbits
	.p2align	6, 0x0
	.amdhsa_kernel _ZN7rocprim17ROCPRIM_400000_NS6detail17trampoline_kernelINS0_14default_configENS1_25transform_config_selectorItLb1EEEZNS1_14transform_implILb1ES3_S5_PKtPtNS0_8identityItEEEE10hipError_tT2_T3_mT4_P12ihipStream_tbEUlT_E_NS1_11comp_targetILNS1_3genE3ELNS1_11target_archE908ELNS1_3gpuE7ELNS1_3repE0EEENS1_30default_config_static_selectorELNS0_4arch9wavefront6targetE0EEEvT1_
		.amdhsa_group_segment_fixed_size 0
		.amdhsa_private_segment_fixed_size 0
		.amdhsa_kernarg_size 40
		.amdhsa_user_sgpr_count 2
		.amdhsa_user_sgpr_dispatch_ptr 0
		.amdhsa_user_sgpr_queue_ptr 0
		.amdhsa_user_sgpr_kernarg_segment_ptr 1
		.amdhsa_user_sgpr_dispatch_id 0
		.amdhsa_user_sgpr_kernarg_preload_length 0
		.amdhsa_user_sgpr_kernarg_preload_offset 0
		.amdhsa_user_sgpr_private_segment_size 0
		.amdhsa_wavefront_size32 1
		.amdhsa_uses_dynamic_stack 0
		.amdhsa_enable_private_segment 0
		.amdhsa_system_sgpr_workgroup_id_x 1
		.amdhsa_system_sgpr_workgroup_id_y 0
		.amdhsa_system_sgpr_workgroup_id_z 0
		.amdhsa_system_sgpr_workgroup_info 0
		.amdhsa_system_vgpr_workitem_id 0
		.amdhsa_next_free_vgpr 1
		.amdhsa_next_free_sgpr 1
		.amdhsa_named_barrier_count 0
		.amdhsa_reserve_vcc 0
		.amdhsa_float_round_mode_32 0
		.amdhsa_float_round_mode_16_64 0
		.amdhsa_float_denorm_mode_32 3
		.amdhsa_float_denorm_mode_16_64 3
		.amdhsa_fp16_overflow 0
		.amdhsa_memory_ordered 1
		.amdhsa_forward_progress 1
		.amdhsa_inst_pref_size 0
		.amdhsa_round_robin_scheduling 0
		.amdhsa_exception_fp_ieee_invalid_op 0
		.amdhsa_exception_fp_denorm_src 0
		.amdhsa_exception_fp_ieee_div_zero 0
		.amdhsa_exception_fp_ieee_overflow 0
		.amdhsa_exception_fp_ieee_underflow 0
		.amdhsa_exception_fp_ieee_inexact 0
		.amdhsa_exception_int_div_zero 0
	.end_amdhsa_kernel
	.section	.text._ZN7rocprim17ROCPRIM_400000_NS6detail17trampoline_kernelINS0_14default_configENS1_25transform_config_selectorItLb1EEEZNS1_14transform_implILb1ES3_S5_PKtPtNS0_8identityItEEEE10hipError_tT2_T3_mT4_P12ihipStream_tbEUlT_E_NS1_11comp_targetILNS1_3genE3ELNS1_11target_archE908ELNS1_3gpuE7ELNS1_3repE0EEENS1_30default_config_static_selectorELNS0_4arch9wavefront6targetE0EEEvT1_,"axG",@progbits,_ZN7rocprim17ROCPRIM_400000_NS6detail17trampoline_kernelINS0_14default_configENS1_25transform_config_selectorItLb1EEEZNS1_14transform_implILb1ES3_S5_PKtPtNS0_8identityItEEEE10hipError_tT2_T3_mT4_P12ihipStream_tbEUlT_E_NS1_11comp_targetILNS1_3genE3ELNS1_11target_archE908ELNS1_3gpuE7ELNS1_3repE0EEENS1_30default_config_static_selectorELNS0_4arch9wavefront6targetE0EEEvT1_,comdat
.Lfunc_end2382:
	.size	_ZN7rocprim17ROCPRIM_400000_NS6detail17trampoline_kernelINS0_14default_configENS1_25transform_config_selectorItLb1EEEZNS1_14transform_implILb1ES3_S5_PKtPtNS0_8identityItEEEE10hipError_tT2_T3_mT4_P12ihipStream_tbEUlT_E_NS1_11comp_targetILNS1_3genE3ELNS1_11target_archE908ELNS1_3gpuE7ELNS1_3repE0EEENS1_30default_config_static_selectorELNS0_4arch9wavefront6targetE0EEEvT1_, .Lfunc_end2382-_ZN7rocprim17ROCPRIM_400000_NS6detail17trampoline_kernelINS0_14default_configENS1_25transform_config_selectorItLb1EEEZNS1_14transform_implILb1ES3_S5_PKtPtNS0_8identityItEEEE10hipError_tT2_T3_mT4_P12ihipStream_tbEUlT_E_NS1_11comp_targetILNS1_3genE3ELNS1_11target_archE908ELNS1_3gpuE7ELNS1_3repE0EEENS1_30default_config_static_selectorELNS0_4arch9wavefront6targetE0EEEvT1_
                                        ; -- End function
	.set _ZN7rocprim17ROCPRIM_400000_NS6detail17trampoline_kernelINS0_14default_configENS1_25transform_config_selectorItLb1EEEZNS1_14transform_implILb1ES3_S5_PKtPtNS0_8identityItEEEE10hipError_tT2_T3_mT4_P12ihipStream_tbEUlT_E_NS1_11comp_targetILNS1_3genE3ELNS1_11target_archE908ELNS1_3gpuE7ELNS1_3repE0EEENS1_30default_config_static_selectorELNS0_4arch9wavefront6targetE0EEEvT1_.num_vgpr, 0
	.set _ZN7rocprim17ROCPRIM_400000_NS6detail17trampoline_kernelINS0_14default_configENS1_25transform_config_selectorItLb1EEEZNS1_14transform_implILb1ES3_S5_PKtPtNS0_8identityItEEEE10hipError_tT2_T3_mT4_P12ihipStream_tbEUlT_E_NS1_11comp_targetILNS1_3genE3ELNS1_11target_archE908ELNS1_3gpuE7ELNS1_3repE0EEENS1_30default_config_static_selectorELNS0_4arch9wavefront6targetE0EEEvT1_.num_agpr, 0
	.set _ZN7rocprim17ROCPRIM_400000_NS6detail17trampoline_kernelINS0_14default_configENS1_25transform_config_selectorItLb1EEEZNS1_14transform_implILb1ES3_S5_PKtPtNS0_8identityItEEEE10hipError_tT2_T3_mT4_P12ihipStream_tbEUlT_E_NS1_11comp_targetILNS1_3genE3ELNS1_11target_archE908ELNS1_3gpuE7ELNS1_3repE0EEENS1_30default_config_static_selectorELNS0_4arch9wavefront6targetE0EEEvT1_.numbered_sgpr, 0
	.set _ZN7rocprim17ROCPRIM_400000_NS6detail17trampoline_kernelINS0_14default_configENS1_25transform_config_selectorItLb1EEEZNS1_14transform_implILb1ES3_S5_PKtPtNS0_8identityItEEEE10hipError_tT2_T3_mT4_P12ihipStream_tbEUlT_E_NS1_11comp_targetILNS1_3genE3ELNS1_11target_archE908ELNS1_3gpuE7ELNS1_3repE0EEENS1_30default_config_static_selectorELNS0_4arch9wavefront6targetE0EEEvT1_.num_named_barrier, 0
	.set _ZN7rocprim17ROCPRIM_400000_NS6detail17trampoline_kernelINS0_14default_configENS1_25transform_config_selectorItLb1EEEZNS1_14transform_implILb1ES3_S5_PKtPtNS0_8identityItEEEE10hipError_tT2_T3_mT4_P12ihipStream_tbEUlT_E_NS1_11comp_targetILNS1_3genE3ELNS1_11target_archE908ELNS1_3gpuE7ELNS1_3repE0EEENS1_30default_config_static_selectorELNS0_4arch9wavefront6targetE0EEEvT1_.private_seg_size, 0
	.set _ZN7rocprim17ROCPRIM_400000_NS6detail17trampoline_kernelINS0_14default_configENS1_25transform_config_selectorItLb1EEEZNS1_14transform_implILb1ES3_S5_PKtPtNS0_8identityItEEEE10hipError_tT2_T3_mT4_P12ihipStream_tbEUlT_E_NS1_11comp_targetILNS1_3genE3ELNS1_11target_archE908ELNS1_3gpuE7ELNS1_3repE0EEENS1_30default_config_static_selectorELNS0_4arch9wavefront6targetE0EEEvT1_.uses_vcc, 0
	.set _ZN7rocprim17ROCPRIM_400000_NS6detail17trampoline_kernelINS0_14default_configENS1_25transform_config_selectorItLb1EEEZNS1_14transform_implILb1ES3_S5_PKtPtNS0_8identityItEEEE10hipError_tT2_T3_mT4_P12ihipStream_tbEUlT_E_NS1_11comp_targetILNS1_3genE3ELNS1_11target_archE908ELNS1_3gpuE7ELNS1_3repE0EEENS1_30default_config_static_selectorELNS0_4arch9wavefront6targetE0EEEvT1_.uses_flat_scratch, 0
	.set _ZN7rocprim17ROCPRIM_400000_NS6detail17trampoline_kernelINS0_14default_configENS1_25transform_config_selectorItLb1EEEZNS1_14transform_implILb1ES3_S5_PKtPtNS0_8identityItEEEE10hipError_tT2_T3_mT4_P12ihipStream_tbEUlT_E_NS1_11comp_targetILNS1_3genE3ELNS1_11target_archE908ELNS1_3gpuE7ELNS1_3repE0EEENS1_30default_config_static_selectorELNS0_4arch9wavefront6targetE0EEEvT1_.has_dyn_sized_stack, 0
	.set _ZN7rocprim17ROCPRIM_400000_NS6detail17trampoline_kernelINS0_14default_configENS1_25transform_config_selectorItLb1EEEZNS1_14transform_implILb1ES3_S5_PKtPtNS0_8identityItEEEE10hipError_tT2_T3_mT4_P12ihipStream_tbEUlT_E_NS1_11comp_targetILNS1_3genE3ELNS1_11target_archE908ELNS1_3gpuE7ELNS1_3repE0EEENS1_30default_config_static_selectorELNS0_4arch9wavefront6targetE0EEEvT1_.has_recursion, 0
	.set _ZN7rocprim17ROCPRIM_400000_NS6detail17trampoline_kernelINS0_14default_configENS1_25transform_config_selectorItLb1EEEZNS1_14transform_implILb1ES3_S5_PKtPtNS0_8identityItEEEE10hipError_tT2_T3_mT4_P12ihipStream_tbEUlT_E_NS1_11comp_targetILNS1_3genE3ELNS1_11target_archE908ELNS1_3gpuE7ELNS1_3repE0EEENS1_30default_config_static_selectorELNS0_4arch9wavefront6targetE0EEEvT1_.has_indirect_call, 0
	.section	.AMDGPU.csdata,"",@progbits
; Kernel info:
; codeLenInByte = 0
; TotalNumSgprs: 0
; NumVgprs: 0
; ScratchSize: 0
; MemoryBound: 0
; FloatMode: 240
; IeeeMode: 1
; LDSByteSize: 0 bytes/workgroup (compile time only)
; SGPRBlocks: 0
; VGPRBlocks: 0
; NumSGPRsForWavesPerEU: 1
; NumVGPRsForWavesPerEU: 1
; NamedBarCnt: 0
; Occupancy: 16
; WaveLimiterHint : 0
; COMPUTE_PGM_RSRC2:SCRATCH_EN: 0
; COMPUTE_PGM_RSRC2:USER_SGPR: 2
; COMPUTE_PGM_RSRC2:TRAP_HANDLER: 0
; COMPUTE_PGM_RSRC2:TGID_X_EN: 1
; COMPUTE_PGM_RSRC2:TGID_Y_EN: 0
; COMPUTE_PGM_RSRC2:TGID_Z_EN: 0
; COMPUTE_PGM_RSRC2:TIDIG_COMP_CNT: 0
	.section	.text._ZN7rocprim17ROCPRIM_400000_NS6detail17trampoline_kernelINS0_14default_configENS1_25transform_config_selectorItLb1EEEZNS1_14transform_implILb1ES3_S5_PKtPtNS0_8identityItEEEE10hipError_tT2_T3_mT4_P12ihipStream_tbEUlT_E_NS1_11comp_targetILNS1_3genE2ELNS1_11target_archE906ELNS1_3gpuE6ELNS1_3repE0EEENS1_30default_config_static_selectorELNS0_4arch9wavefront6targetE0EEEvT1_,"axG",@progbits,_ZN7rocprim17ROCPRIM_400000_NS6detail17trampoline_kernelINS0_14default_configENS1_25transform_config_selectorItLb1EEEZNS1_14transform_implILb1ES3_S5_PKtPtNS0_8identityItEEEE10hipError_tT2_T3_mT4_P12ihipStream_tbEUlT_E_NS1_11comp_targetILNS1_3genE2ELNS1_11target_archE906ELNS1_3gpuE6ELNS1_3repE0EEENS1_30default_config_static_selectorELNS0_4arch9wavefront6targetE0EEEvT1_,comdat
	.protected	_ZN7rocprim17ROCPRIM_400000_NS6detail17trampoline_kernelINS0_14default_configENS1_25transform_config_selectorItLb1EEEZNS1_14transform_implILb1ES3_S5_PKtPtNS0_8identityItEEEE10hipError_tT2_T3_mT4_P12ihipStream_tbEUlT_E_NS1_11comp_targetILNS1_3genE2ELNS1_11target_archE906ELNS1_3gpuE6ELNS1_3repE0EEENS1_30default_config_static_selectorELNS0_4arch9wavefront6targetE0EEEvT1_ ; -- Begin function _ZN7rocprim17ROCPRIM_400000_NS6detail17trampoline_kernelINS0_14default_configENS1_25transform_config_selectorItLb1EEEZNS1_14transform_implILb1ES3_S5_PKtPtNS0_8identityItEEEE10hipError_tT2_T3_mT4_P12ihipStream_tbEUlT_E_NS1_11comp_targetILNS1_3genE2ELNS1_11target_archE906ELNS1_3gpuE6ELNS1_3repE0EEENS1_30default_config_static_selectorELNS0_4arch9wavefront6targetE0EEEvT1_
	.globl	_ZN7rocprim17ROCPRIM_400000_NS6detail17trampoline_kernelINS0_14default_configENS1_25transform_config_selectorItLb1EEEZNS1_14transform_implILb1ES3_S5_PKtPtNS0_8identityItEEEE10hipError_tT2_T3_mT4_P12ihipStream_tbEUlT_E_NS1_11comp_targetILNS1_3genE2ELNS1_11target_archE906ELNS1_3gpuE6ELNS1_3repE0EEENS1_30default_config_static_selectorELNS0_4arch9wavefront6targetE0EEEvT1_
	.p2align	8
	.type	_ZN7rocprim17ROCPRIM_400000_NS6detail17trampoline_kernelINS0_14default_configENS1_25transform_config_selectorItLb1EEEZNS1_14transform_implILb1ES3_S5_PKtPtNS0_8identityItEEEE10hipError_tT2_T3_mT4_P12ihipStream_tbEUlT_E_NS1_11comp_targetILNS1_3genE2ELNS1_11target_archE906ELNS1_3gpuE6ELNS1_3repE0EEENS1_30default_config_static_selectorELNS0_4arch9wavefront6targetE0EEEvT1_,@function
_ZN7rocprim17ROCPRIM_400000_NS6detail17trampoline_kernelINS0_14default_configENS1_25transform_config_selectorItLb1EEEZNS1_14transform_implILb1ES3_S5_PKtPtNS0_8identityItEEEE10hipError_tT2_T3_mT4_P12ihipStream_tbEUlT_E_NS1_11comp_targetILNS1_3genE2ELNS1_11target_archE906ELNS1_3gpuE6ELNS1_3repE0EEENS1_30default_config_static_selectorELNS0_4arch9wavefront6targetE0EEEvT1_: ; @_ZN7rocprim17ROCPRIM_400000_NS6detail17trampoline_kernelINS0_14default_configENS1_25transform_config_selectorItLb1EEEZNS1_14transform_implILb1ES3_S5_PKtPtNS0_8identityItEEEE10hipError_tT2_T3_mT4_P12ihipStream_tbEUlT_E_NS1_11comp_targetILNS1_3genE2ELNS1_11target_archE906ELNS1_3gpuE6ELNS1_3repE0EEENS1_30default_config_static_selectorELNS0_4arch9wavefront6targetE0EEEvT1_
; %bb.0:
	.section	.rodata,"a",@progbits
	.p2align	6, 0x0
	.amdhsa_kernel _ZN7rocprim17ROCPRIM_400000_NS6detail17trampoline_kernelINS0_14default_configENS1_25transform_config_selectorItLb1EEEZNS1_14transform_implILb1ES3_S5_PKtPtNS0_8identityItEEEE10hipError_tT2_T3_mT4_P12ihipStream_tbEUlT_E_NS1_11comp_targetILNS1_3genE2ELNS1_11target_archE906ELNS1_3gpuE6ELNS1_3repE0EEENS1_30default_config_static_selectorELNS0_4arch9wavefront6targetE0EEEvT1_
		.amdhsa_group_segment_fixed_size 0
		.amdhsa_private_segment_fixed_size 0
		.amdhsa_kernarg_size 40
		.amdhsa_user_sgpr_count 2
		.amdhsa_user_sgpr_dispatch_ptr 0
		.amdhsa_user_sgpr_queue_ptr 0
		.amdhsa_user_sgpr_kernarg_segment_ptr 1
		.amdhsa_user_sgpr_dispatch_id 0
		.amdhsa_user_sgpr_kernarg_preload_length 0
		.amdhsa_user_sgpr_kernarg_preload_offset 0
		.amdhsa_user_sgpr_private_segment_size 0
		.amdhsa_wavefront_size32 1
		.amdhsa_uses_dynamic_stack 0
		.amdhsa_enable_private_segment 0
		.amdhsa_system_sgpr_workgroup_id_x 1
		.amdhsa_system_sgpr_workgroup_id_y 0
		.amdhsa_system_sgpr_workgroup_id_z 0
		.amdhsa_system_sgpr_workgroup_info 0
		.amdhsa_system_vgpr_workitem_id 0
		.amdhsa_next_free_vgpr 1
		.amdhsa_next_free_sgpr 1
		.amdhsa_named_barrier_count 0
		.amdhsa_reserve_vcc 0
		.amdhsa_float_round_mode_32 0
		.amdhsa_float_round_mode_16_64 0
		.amdhsa_float_denorm_mode_32 3
		.amdhsa_float_denorm_mode_16_64 3
		.amdhsa_fp16_overflow 0
		.amdhsa_memory_ordered 1
		.amdhsa_forward_progress 1
		.amdhsa_inst_pref_size 0
		.amdhsa_round_robin_scheduling 0
		.amdhsa_exception_fp_ieee_invalid_op 0
		.amdhsa_exception_fp_denorm_src 0
		.amdhsa_exception_fp_ieee_div_zero 0
		.amdhsa_exception_fp_ieee_overflow 0
		.amdhsa_exception_fp_ieee_underflow 0
		.amdhsa_exception_fp_ieee_inexact 0
		.amdhsa_exception_int_div_zero 0
	.end_amdhsa_kernel
	.section	.text._ZN7rocprim17ROCPRIM_400000_NS6detail17trampoline_kernelINS0_14default_configENS1_25transform_config_selectorItLb1EEEZNS1_14transform_implILb1ES3_S5_PKtPtNS0_8identityItEEEE10hipError_tT2_T3_mT4_P12ihipStream_tbEUlT_E_NS1_11comp_targetILNS1_3genE2ELNS1_11target_archE906ELNS1_3gpuE6ELNS1_3repE0EEENS1_30default_config_static_selectorELNS0_4arch9wavefront6targetE0EEEvT1_,"axG",@progbits,_ZN7rocprim17ROCPRIM_400000_NS6detail17trampoline_kernelINS0_14default_configENS1_25transform_config_selectorItLb1EEEZNS1_14transform_implILb1ES3_S5_PKtPtNS0_8identityItEEEE10hipError_tT2_T3_mT4_P12ihipStream_tbEUlT_E_NS1_11comp_targetILNS1_3genE2ELNS1_11target_archE906ELNS1_3gpuE6ELNS1_3repE0EEENS1_30default_config_static_selectorELNS0_4arch9wavefront6targetE0EEEvT1_,comdat
.Lfunc_end2383:
	.size	_ZN7rocprim17ROCPRIM_400000_NS6detail17trampoline_kernelINS0_14default_configENS1_25transform_config_selectorItLb1EEEZNS1_14transform_implILb1ES3_S5_PKtPtNS0_8identityItEEEE10hipError_tT2_T3_mT4_P12ihipStream_tbEUlT_E_NS1_11comp_targetILNS1_3genE2ELNS1_11target_archE906ELNS1_3gpuE6ELNS1_3repE0EEENS1_30default_config_static_selectorELNS0_4arch9wavefront6targetE0EEEvT1_, .Lfunc_end2383-_ZN7rocprim17ROCPRIM_400000_NS6detail17trampoline_kernelINS0_14default_configENS1_25transform_config_selectorItLb1EEEZNS1_14transform_implILb1ES3_S5_PKtPtNS0_8identityItEEEE10hipError_tT2_T3_mT4_P12ihipStream_tbEUlT_E_NS1_11comp_targetILNS1_3genE2ELNS1_11target_archE906ELNS1_3gpuE6ELNS1_3repE0EEENS1_30default_config_static_selectorELNS0_4arch9wavefront6targetE0EEEvT1_
                                        ; -- End function
	.set _ZN7rocprim17ROCPRIM_400000_NS6detail17trampoline_kernelINS0_14default_configENS1_25transform_config_selectorItLb1EEEZNS1_14transform_implILb1ES3_S5_PKtPtNS0_8identityItEEEE10hipError_tT2_T3_mT4_P12ihipStream_tbEUlT_E_NS1_11comp_targetILNS1_3genE2ELNS1_11target_archE906ELNS1_3gpuE6ELNS1_3repE0EEENS1_30default_config_static_selectorELNS0_4arch9wavefront6targetE0EEEvT1_.num_vgpr, 0
	.set _ZN7rocprim17ROCPRIM_400000_NS6detail17trampoline_kernelINS0_14default_configENS1_25transform_config_selectorItLb1EEEZNS1_14transform_implILb1ES3_S5_PKtPtNS0_8identityItEEEE10hipError_tT2_T3_mT4_P12ihipStream_tbEUlT_E_NS1_11comp_targetILNS1_3genE2ELNS1_11target_archE906ELNS1_3gpuE6ELNS1_3repE0EEENS1_30default_config_static_selectorELNS0_4arch9wavefront6targetE0EEEvT1_.num_agpr, 0
	.set _ZN7rocprim17ROCPRIM_400000_NS6detail17trampoline_kernelINS0_14default_configENS1_25transform_config_selectorItLb1EEEZNS1_14transform_implILb1ES3_S5_PKtPtNS0_8identityItEEEE10hipError_tT2_T3_mT4_P12ihipStream_tbEUlT_E_NS1_11comp_targetILNS1_3genE2ELNS1_11target_archE906ELNS1_3gpuE6ELNS1_3repE0EEENS1_30default_config_static_selectorELNS0_4arch9wavefront6targetE0EEEvT1_.numbered_sgpr, 0
	.set _ZN7rocprim17ROCPRIM_400000_NS6detail17trampoline_kernelINS0_14default_configENS1_25transform_config_selectorItLb1EEEZNS1_14transform_implILb1ES3_S5_PKtPtNS0_8identityItEEEE10hipError_tT2_T3_mT4_P12ihipStream_tbEUlT_E_NS1_11comp_targetILNS1_3genE2ELNS1_11target_archE906ELNS1_3gpuE6ELNS1_3repE0EEENS1_30default_config_static_selectorELNS0_4arch9wavefront6targetE0EEEvT1_.num_named_barrier, 0
	.set _ZN7rocprim17ROCPRIM_400000_NS6detail17trampoline_kernelINS0_14default_configENS1_25transform_config_selectorItLb1EEEZNS1_14transform_implILb1ES3_S5_PKtPtNS0_8identityItEEEE10hipError_tT2_T3_mT4_P12ihipStream_tbEUlT_E_NS1_11comp_targetILNS1_3genE2ELNS1_11target_archE906ELNS1_3gpuE6ELNS1_3repE0EEENS1_30default_config_static_selectorELNS0_4arch9wavefront6targetE0EEEvT1_.private_seg_size, 0
	.set _ZN7rocprim17ROCPRIM_400000_NS6detail17trampoline_kernelINS0_14default_configENS1_25transform_config_selectorItLb1EEEZNS1_14transform_implILb1ES3_S5_PKtPtNS0_8identityItEEEE10hipError_tT2_T3_mT4_P12ihipStream_tbEUlT_E_NS1_11comp_targetILNS1_3genE2ELNS1_11target_archE906ELNS1_3gpuE6ELNS1_3repE0EEENS1_30default_config_static_selectorELNS0_4arch9wavefront6targetE0EEEvT1_.uses_vcc, 0
	.set _ZN7rocprim17ROCPRIM_400000_NS6detail17trampoline_kernelINS0_14default_configENS1_25transform_config_selectorItLb1EEEZNS1_14transform_implILb1ES3_S5_PKtPtNS0_8identityItEEEE10hipError_tT2_T3_mT4_P12ihipStream_tbEUlT_E_NS1_11comp_targetILNS1_3genE2ELNS1_11target_archE906ELNS1_3gpuE6ELNS1_3repE0EEENS1_30default_config_static_selectorELNS0_4arch9wavefront6targetE0EEEvT1_.uses_flat_scratch, 0
	.set _ZN7rocprim17ROCPRIM_400000_NS6detail17trampoline_kernelINS0_14default_configENS1_25transform_config_selectorItLb1EEEZNS1_14transform_implILb1ES3_S5_PKtPtNS0_8identityItEEEE10hipError_tT2_T3_mT4_P12ihipStream_tbEUlT_E_NS1_11comp_targetILNS1_3genE2ELNS1_11target_archE906ELNS1_3gpuE6ELNS1_3repE0EEENS1_30default_config_static_selectorELNS0_4arch9wavefront6targetE0EEEvT1_.has_dyn_sized_stack, 0
	.set _ZN7rocprim17ROCPRIM_400000_NS6detail17trampoline_kernelINS0_14default_configENS1_25transform_config_selectorItLb1EEEZNS1_14transform_implILb1ES3_S5_PKtPtNS0_8identityItEEEE10hipError_tT2_T3_mT4_P12ihipStream_tbEUlT_E_NS1_11comp_targetILNS1_3genE2ELNS1_11target_archE906ELNS1_3gpuE6ELNS1_3repE0EEENS1_30default_config_static_selectorELNS0_4arch9wavefront6targetE0EEEvT1_.has_recursion, 0
	.set _ZN7rocprim17ROCPRIM_400000_NS6detail17trampoline_kernelINS0_14default_configENS1_25transform_config_selectorItLb1EEEZNS1_14transform_implILb1ES3_S5_PKtPtNS0_8identityItEEEE10hipError_tT2_T3_mT4_P12ihipStream_tbEUlT_E_NS1_11comp_targetILNS1_3genE2ELNS1_11target_archE906ELNS1_3gpuE6ELNS1_3repE0EEENS1_30default_config_static_selectorELNS0_4arch9wavefront6targetE0EEEvT1_.has_indirect_call, 0
	.section	.AMDGPU.csdata,"",@progbits
; Kernel info:
; codeLenInByte = 0
; TotalNumSgprs: 0
; NumVgprs: 0
; ScratchSize: 0
; MemoryBound: 0
; FloatMode: 240
; IeeeMode: 1
; LDSByteSize: 0 bytes/workgroup (compile time only)
; SGPRBlocks: 0
; VGPRBlocks: 0
; NumSGPRsForWavesPerEU: 1
; NumVGPRsForWavesPerEU: 1
; NamedBarCnt: 0
; Occupancy: 16
; WaveLimiterHint : 0
; COMPUTE_PGM_RSRC2:SCRATCH_EN: 0
; COMPUTE_PGM_RSRC2:USER_SGPR: 2
; COMPUTE_PGM_RSRC2:TRAP_HANDLER: 0
; COMPUTE_PGM_RSRC2:TGID_X_EN: 1
; COMPUTE_PGM_RSRC2:TGID_Y_EN: 0
; COMPUTE_PGM_RSRC2:TGID_Z_EN: 0
; COMPUTE_PGM_RSRC2:TIDIG_COMP_CNT: 0
	.section	.text._ZN7rocprim17ROCPRIM_400000_NS6detail17trampoline_kernelINS0_14default_configENS1_25transform_config_selectorItLb1EEEZNS1_14transform_implILb1ES3_S5_PKtPtNS0_8identityItEEEE10hipError_tT2_T3_mT4_P12ihipStream_tbEUlT_E_NS1_11comp_targetILNS1_3genE9ELNS1_11target_archE1100ELNS1_3gpuE3ELNS1_3repE0EEENS1_30default_config_static_selectorELNS0_4arch9wavefront6targetE0EEEvT1_,"axG",@progbits,_ZN7rocprim17ROCPRIM_400000_NS6detail17trampoline_kernelINS0_14default_configENS1_25transform_config_selectorItLb1EEEZNS1_14transform_implILb1ES3_S5_PKtPtNS0_8identityItEEEE10hipError_tT2_T3_mT4_P12ihipStream_tbEUlT_E_NS1_11comp_targetILNS1_3genE9ELNS1_11target_archE1100ELNS1_3gpuE3ELNS1_3repE0EEENS1_30default_config_static_selectorELNS0_4arch9wavefront6targetE0EEEvT1_,comdat
	.protected	_ZN7rocprim17ROCPRIM_400000_NS6detail17trampoline_kernelINS0_14default_configENS1_25transform_config_selectorItLb1EEEZNS1_14transform_implILb1ES3_S5_PKtPtNS0_8identityItEEEE10hipError_tT2_T3_mT4_P12ihipStream_tbEUlT_E_NS1_11comp_targetILNS1_3genE9ELNS1_11target_archE1100ELNS1_3gpuE3ELNS1_3repE0EEENS1_30default_config_static_selectorELNS0_4arch9wavefront6targetE0EEEvT1_ ; -- Begin function _ZN7rocprim17ROCPRIM_400000_NS6detail17trampoline_kernelINS0_14default_configENS1_25transform_config_selectorItLb1EEEZNS1_14transform_implILb1ES3_S5_PKtPtNS0_8identityItEEEE10hipError_tT2_T3_mT4_P12ihipStream_tbEUlT_E_NS1_11comp_targetILNS1_3genE9ELNS1_11target_archE1100ELNS1_3gpuE3ELNS1_3repE0EEENS1_30default_config_static_selectorELNS0_4arch9wavefront6targetE0EEEvT1_
	.globl	_ZN7rocprim17ROCPRIM_400000_NS6detail17trampoline_kernelINS0_14default_configENS1_25transform_config_selectorItLb1EEEZNS1_14transform_implILb1ES3_S5_PKtPtNS0_8identityItEEEE10hipError_tT2_T3_mT4_P12ihipStream_tbEUlT_E_NS1_11comp_targetILNS1_3genE9ELNS1_11target_archE1100ELNS1_3gpuE3ELNS1_3repE0EEENS1_30default_config_static_selectorELNS0_4arch9wavefront6targetE0EEEvT1_
	.p2align	8
	.type	_ZN7rocprim17ROCPRIM_400000_NS6detail17trampoline_kernelINS0_14default_configENS1_25transform_config_selectorItLb1EEEZNS1_14transform_implILb1ES3_S5_PKtPtNS0_8identityItEEEE10hipError_tT2_T3_mT4_P12ihipStream_tbEUlT_E_NS1_11comp_targetILNS1_3genE9ELNS1_11target_archE1100ELNS1_3gpuE3ELNS1_3repE0EEENS1_30default_config_static_selectorELNS0_4arch9wavefront6targetE0EEEvT1_,@function
_ZN7rocprim17ROCPRIM_400000_NS6detail17trampoline_kernelINS0_14default_configENS1_25transform_config_selectorItLb1EEEZNS1_14transform_implILb1ES3_S5_PKtPtNS0_8identityItEEEE10hipError_tT2_T3_mT4_P12ihipStream_tbEUlT_E_NS1_11comp_targetILNS1_3genE9ELNS1_11target_archE1100ELNS1_3gpuE3ELNS1_3repE0EEENS1_30default_config_static_selectorELNS0_4arch9wavefront6targetE0EEEvT1_: ; @_ZN7rocprim17ROCPRIM_400000_NS6detail17trampoline_kernelINS0_14default_configENS1_25transform_config_selectorItLb1EEEZNS1_14transform_implILb1ES3_S5_PKtPtNS0_8identityItEEEE10hipError_tT2_T3_mT4_P12ihipStream_tbEUlT_E_NS1_11comp_targetILNS1_3genE9ELNS1_11target_archE1100ELNS1_3gpuE3ELNS1_3repE0EEENS1_30default_config_static_selectorELNS0_4arch9wavefront6targetE0EEEvT1_
; %bb.0:
	.section	.rodata,"a",@progbits
	.p2align	6, 0x0
	.amdhsa_kernel _ZN7rocprim17ROCPRIM_400000_NS6detail17trampoline_kernelINS0_14default_configENS1_25transform_config_selectorItLb1EEEZNS1_14transform_implILb1ES3_S5_PKtPtNS0_8identityItEEEE10hipError_tT2_T3_mT4_P12ihipStream_tbEUlT_E_NS1_11comp_targetILNS1_3genE9ELNS1_11target_archE1100ELNS1_3gpuE3ELNS1_3repE0EEENS1_30default_config_static_selectorELNS0_4arch9wavefront6targetE0EEEvT1_
		.amdhsa_group_segment_fixed_size 0
		.amdhsa_private_segment_fixed_size 0
		.amdhsa_kernarg_size 40
		.amdhsa_user_sgpr_count 2
		.amdhsa_user_sgpr_dispatch_ptr 0
		.amdhsa_user_sgpr_queue_ptr 0
		.amdhsa_user_sgpr_kernarg_segment_ptr 1
		.amdhsa_user_sgpr_dispatch_id 0
		.amdhsa_user_sgpr_kernarg_preload_length 0
		.amdhsa_user_sgpr_kernarg_preload_offset 0
		.amdhsa_user_sgpr_private_segment_size 0
		.amdhsa_wavefront_size32 1
		.amdhsa_uses_dynamic_stack 0
		.amdhsa_enable_private_segment 0
		.amdhsa_system_sgpr_workgroup_id_x 1
		.amdhsa_system_sgpr_workgroup_id_y 0
		.amdhsa_system_sgpr_workgroup_id_z 0
		.amdhsa_system_sgpr_workgroup_info 0
		.amdhsa_system_vgpr_workitem_id 0
		.amdhsa_next_free_vgpr 1
		.amdhsa_next_free_sgpr 1
		.amdhsa_named_barrier_count 0
		.amdhsa_reserve_vcc 0
		.amdhsa_float_round_mode_32 0
		.amdhsa_float_round_mode_16_64 0
		.amdhsa_float_denorm_mode_32 3
		.amdhsa_float_denorm_mode_16_64 3
		.amdhsa_fp16_overflow 0
		.amdhsa_memory_ordered 1
		.amdhsa_forward_progress 1
		.amdhsa_inst_pref_size 0
		.amdhsa_round_robin_scheduling 0
		.amdhsa_exception_fp_ieee_invalid_op 0
		.amdhsa_exception_fp_denorm_src 0
		.amdhsa_exception_fp_ieee_div_zero 0
		.amdhsa_exception_fp_ieee_overflow 0
		.amdhsa_exception_fp_ieee_underflow 0
		.amdhsa_exception_fp_ieee_inexact 0
		.amdhsa_exception_int_div_zero 0
	.end_amdhsa_kernel
	.section	.text._ZN7rocprim17ROCPRIM_400000_NS6detail17trampoline_kernelINS0_14default_configENS1_25transform_config_selectorItLb1EEEZNS1_14transform_implILb1ES3_S5_PKtPtNS0_8identityItEEEE10hipError_tT2_T3_mT4_P12ihipStream_tbEUlT_E_NS1_11comp_targetILNS1_3genE9ELNS1_11target_archE1100ELNS1_3gpuE3ELNS1_3repE0EEENS1_30default_config_static_selectorELNS0_4arch9wavefront6targetE0EEEvT1_,"axG",@progbits,_ZN7rocprim17ROCPRIM_400000_NS6detail17trampoline_kernelINS0_14default_configENS1_25transform_config_selectorItLb1EEEZNS1_14transform_implILb1ES3_S5_PKtPtNS0_8identityItEEEE10hipError_tT2_T3_mT4_P12ihipStream_tbEUlT_E_NS1_11comp_targetILNS1_3genE9ELNS1_11target_archE1100ELNS1_3gpuE3ELNS1_3repE0EEENS1_30default_config_static_selectorELNS0_4arch9wavefront6targetE0EEEvT1_,comdat
.Lfunc_end2384:
	.size	_ZN7rocprim17ROCPRIM_400000_NS6detail17trampoline_kernelINS0_14default_configENS1_25transform_config_selectorItLb1EEEZNS1_14transform_implILb1ES3_S5_PKtPtNS0_8identityItEEEE10hipError_tT2_T3_mT4_P12ihipStream_tbEUlT_E_NS1_11comp_targetILNS1_3genE9ELNS1_11target_archE1100ELNS1_3gpuE3ELNS1_3repE0EEENS1_30default_config_static_selectorELNS0_4arch9wavefront6targetE0EEEvT1_, .Lfunc_end2384-_ZN7rocprim17ROCPRIM_400000_NS6detail17trampoline_kernelINS0_14default_configENS1_25transform_config_selectorItLb1EEEZNS1_14transform_implILb1ES3_S5_PKtPtNS0_8identityItEEEE10hipError_tT2_T3_mT4_P12ihipStream_tbEUlT_E_NS1_11comp_targetILNS1_3genE9ELNS1_11target_archE1100ELNS1_3gpuE3ELNS1_3repE0EEENS1_30default_config_static_selectorELNS0_4arch9wavefront6targetE0EEEvT1_
                                        ; -- End function
	.set _ZN7rocprim17ROCPRIM_400000_NS6detail17trampoline_kernelINS0_14default_configENS1_25transform_config_selectorItLb1EEEZNS1_14transform_implILb1ES3_S5_PKtPtNS0_8identityItEEEE10hipError_tT2_T3_mT4_P12ihipStream_tbEUlT_E_NS1_11comp_targetILNS1_3genE9ELNS1_11target_archE1100ELNS1_3gpuE3ELNS1_3repE0EEENS1_30default_config_static_selectorELNS0_4arch9wavefront6targetE0EEEvT1_.num_vgpr, 0
	.set _ZN7rocprim17ROCPRIM_400000_NS6detail17trampoline_kernelINS0_14default_configENS1_25transform_config_selectorItLb1EEEZNS1_14transform_implILb1ES3_S5_PKtPtNS0_8identityItEEEE10hipError_tT2_T3_mT4_P12ihipStream_tbEUlT_E_NS1_11comp_targetILNS1_3genE9ELNS1_11target_archE1100ELNS1_3gpuE3ELNS1_3repE0EEENS1_30default_config_static_selectorELNS0_4arch9wavefront6targetE0EEEvT1_.num_agpr, 0
	.set _ZN7rocprim17ROCPRIM_400000_NS6detail17trampoline_kernelINS0_14default_configENS1_25transform_config_selectorItLb1EEEZNS1_14transform_implILb1ES3_S5_PKtPtNS0_8identityItEEEE10hipError_tT2_T3_mT4_P12ihipStream_tbEUlT_E_NS1_11comp_targetILNS1_3genE9ELNS1_11target_archE1100ELNS1_3gpuE3ELNS1_3repE0EEENS1_30default_config_static_selectorELNS0_4arch9wavefront6targetE0EEEvT1_.numbered_sgpr, 0
	.set _ZN7rocprim17ROCPRIM_400000_NS6detail17trampoline_kernelINS0_14default_configENS1_25transform_config_selectorItLb1EEEZNS1_14transform_implILb1ES3_S5_PKtPtNS0_8identityItEEEE10hipError_tT2_T3_mT4_P12ihipStream_tbEUlT_E_NS1_11comp_targetILNS1_3genE9ELNS1_11target_archE1100ELNS1_3gpuE3ELNS1_3repE0EEENS1_30default_config_static_selectorELNS0_4arch9wavefront6targetE0EEEvT1_.num_named_barrier, 0
	.set _ZN7rocprim17ROCPRIM_400000_NS6detail17trampoline_kernelINS0_14default_configENS1_25transform_config_selectorItLb1EEEZNS1_14transform_implILb1ES3_S5_PKtPtNS0_8identityItEEEE10hipError_tT2_T3_mT4_P12ihipStream_tbEUlT_E_NS1_11comp_targetILNS1_3genE9ELNS1_11target_archE1100ELNS1_3gpuE3ELNS1_3repE0EEENS1_30default_config_static_selectorELNS0_4arch9wavefront6targetE0EEEvT1_.private_seg_size, 0
	.set _ZN7rocprim17ROCPRIM_400000_NS6detail17trampoline_kernelINS0_14default_configENS1_25transform_config_selectorItLb1EEEZNS1_14transform_implILb1ES3_S5_PKtPtNS0_8identityItEEEE10hipError_tT2_T3_mT4_P12ihipStream_tbEUlT_E_NS1_11comp_targetILNS1_3genE9ELNS1_11target_archE1100ELNS1_3gpuE3ELNS1_3repE0EEENS1_30default_config_static_selectorELNS0_4arch9wavefront6targetE0EEEvT1_.uses_vcc, 0
	.set _ZN7rocprim17ROCPRIM_400000_NS6detail17trampoline_kernelINS0_14default_configENS1_25transform_config_selectorItLb1EEEZNS1_14transform_implILb1ES3_S5_PKtPtNS0_8identityItEEEE10hipError_tT2_T3_mT4_P12ihipStream_tbEUlT_E_NS1_11comp_targetILNS1_3genE9ELNS1_11target_archE1100ELNS1_3gpuE3ELNS1_3repE0EEENS1_30default_config_static_selectorELNS0_4arch9wavefront6targetE0EEEvT1_.uses_flat_scratch, 0
	.set _ZN7rocprim17ROCPRIM_400000_NS6detail17trampoline_kernelINS0_14default_configENS1_25transform_config_selectorItLb1EEEZNS1_14transform_implILb1ES3_S5_PKtPtNS0_8identityItEEEE10hipError_tT2_T3_mT4_P12ihipStream_tbEUlT_E_NS1_11comp_targetILNS1_3genE9ELNS1_11target_archE1100ELNS1_3gpuE3ELNS1_3repE0EEENS1_30default_config_static_selectorELNS0_4arch9wavefront6targetE0EEEvT1_.has_dyn_sized_stack, 0
	.set _ZN7rocprim17ROCPRIM_400000_NS6detail17trampoline_kernelINS0_14default_configENS1_25transform_config_selectorItLb1EEEZNS1_14transform_implILb1ES3_S5_PKtPtNS0_8identityItEEEE10hipError_tT2_T3_mT4_P12ihipStream_tbEUlT_E_NS1_11comp_targetILNS1_3genE9ELNS1_11target_archE1100ELNS1_3gpuE3ELNS1_3repE0EEENS1_30default_config_static_selectorELNS0_4arch9wavefront6targetE0EEEvT1_.has_recursion, 0
	.set _ZN7rocprim17ROCPRIM_400000_NS6detail17trampoline_kernelINS0_14default_configENS1_25transform_config_selectorItLb1EEEZNS1_14transform_implILb1ES3_S5_PKtPtNS0_8identityItEEEE10hipError_tT2_T3_mT4_P12ihipStream_tbEUlT_E_NS1_11comp_targetILNS1_3genE9ELNS1_11target_archE1100ELNS1_3gpuE3ELNS1_3repE0EEENS1_30default_config_static_selectorELNS0_4arch9wavefront6targetE0EEEvT1_.has_indirect_call, 0
	.section	.AMDGPU.csdata,"",@progbits
; Kernel info:
; codeLenInByte = 0
; TotalNumSgprs: 0
; NumVgprs: 0
; ScratchSize: 0
; MemoryBound: 0
; FloatMode: 240
; IeeeMode: 1
; LDSByteSize: 0 bytes/workgroup (compile time only)
; SGPRBlocks: 0
; VGPRBlocks: 0
; NumSGPRsForWavesPerEU: 1
; NumVGPRsForWavesPerEU: 1
; NamedBarCnt: 0
; Occupancy: 16
; WaveLimiterHint : 0
; COMPUTE_PGM_RSRC2:SCRATCH_EN: 0
; COMPUTE_PGM_RSRC2:USER_SGPR: 2
; COMPUTE_PGM_RSRC2:TRAP_HANDLER: 0
; COMPUTE_PGM_RSRC2:TGID_X_EN: 1
; COMPUTE_PGM_RSRC2:TGID_Y_EN: 0
; COMPUTE_PGM_RSRC2:TGID_Z_EN: 0
; COMPUTE_PGM_RSRC2:TIDIG_COMP_CNT: 0
	.section	.text._ZN7rocprim17ROCPRIM_400000_NS6detail17trampoline_kernelINS0_14default_configENS1_25transform_config_selectorItLb1EEEZNS1_14transform_implILb1ES3_S5_PKtPtNS0_8identityItEEEE10hipError_tT2_T3_mT4_P12ihipStream_tbEUlT_E_NS1_11comp_targetILNS1_3genE8ELNS1_11target_archE1030ELNS1_3gpuE2ELNS1_3repE0EEENS1_30default_config_static_selectorELNS0_4arch9wavefront6targetE0EEEvT1_,"axG",@progbits,_ZN7rocprim17ROCPRIM_400000_NS6detail17trampoline_kernelINS0_14default_configENS1_25transform_config_selectorItLb1EEEZNS1_14transform_implILb1ES3_S5_PKtPtNS0_8identityItEEEE10hipError_tT2_T3_mT4_P12ihipStream_tbEUlT_E_NS1_11comp_targetILNS1_3genE8ELNS1_11target_archE1030ELNS1_3gpuE2ELNS1_3repE0EEENS1_30default_config_static_selectorELNS0_4arch9wavefront6targetE0EEEvT1_,comdat
	.protected	_ZN7rocprim17ROCPRIM_400000_NS6detail17trampoline_kernelINS0_14default_configENS1_25transform_config_selectorItLb1EEEZNS1_14transform_implILb1ES3_S5_PKtPtNS0_8identityItEEEE10hipError_tT2_T3_mT4_P12ihipStream_tbEUlT_E_NS1_11comp_targetILNS1_3genE8ELNS1_11target_archE1030ELNS1_3gpuE2ELNS1_3repE0EEENS1_30default_config_static_selectorELNS0_4arch9wavefront6targetE0EEEvT1_ ; -- Begin function _ZN7rocprim17ROCPRIM_400000_NS6detail17trampoline_kernelINS0_14default_configENS1_25transform_config_selectorItLb1EEEZNS1_14transform_implILb1ES3_S5_PKtPtNS0_8identityItEEEE10hipError_tT2_T3_mT4_P12ihipStream_tbEUlT_E_NS1_11comp_targetILNS1_3genE8ELNS1_11target_archE1030ELNS1_3gpuE2ELNS1_3repE0EEENS1_30default_config_static_selectorELNS0_4arch9wavefront6targetE0EEEvT1_
	.globl	_ZN7rocprim17ROCPRIM_400000_NS6detail17trampoline_kernelINS0_14default_configENS1_25transform_config_selectorItLb1EEEZNS1_14transform_implILb1ES3_S5_PKtPtNS0_8identityItEEEE10hipError_tT2_T3_mT4_P12ihipStream_tbEUlT_E_NS1_11comp_targetILNS1_3genE8ELNS1_11target_archE1030ELNS1_3gpuE2ELNS1_3repE0EEENS1_30default_config_static_selectorELNS0_4arch9wavefront6targetE0EEEvT1_
	.p2align	8
	.type	_ZN7rocprim17ROCPRIM_400000_NS6detail17trampoline_kernelINS0_14default_configENS1_25transform_config_selectorItLb1EEEZNS1_14transform_implILb1ES3_S5_PKtPtNS0_8identityItEEEE10hipError_tT2_T3_mT4_P12ihipStream_tbEUlT_E_NS1_11comp_targetILNS1_3genE8ELNS1_11target_archE1030ELNS1_3gpuE2ELNS1_3repE0EEENS1_30default_config_static_selectorELNS0_4arch9wavefront6targetE0EEEvT1_,@function
_ZN7rocprim17ROCPRIM_400000_NS6detail17trampoline_kernelINS0_14default_configENS1_25transform_config_selectorItLb1EEEZNS1_14transform_implILb1ES3_S5_PKtPtNS0_8identityItEEEE10hipError_tT2_T3_mT4_P12ihipStream_tbEUlT_E_NS1_11comp_targetILNS1_3genE8ELNS1_11target_archE1030ELNS1_3gpuE2ELNS1_3repE0EEENS1_30default_config_static_selectorELNS0_4arch9wavefront6targetE0EEEvT1_: ; @_ZN7rocprim17ROCPRIM_400000_NS6detail17trampoline_kernelINS0_14default_configENS1_25transform_config_selectorItLb1EEEZNS1_14transform_implILb1ES3_S5_PKtPtNS0_8identityItEEEE10hipError_tT2_T3_mT4_P12ihipStream_tbEUlT_E_NS1_11comp_targetILNS1_3genE8ELNS1_11target_archE1030ELNS1_3gpuE2ELNS1_3repE0EEENS1_30default_config_static_selectorELNS0_4arch9wavefront6targetE0EEEvT1_
; %bb.0:
	.section	.rodata,"a",@progbits
	.p2align	6, 0x0
	.amdhsa_kernel _ZN7rocprim17ROCPRIM_400000_NS6detail17trampoline_kernelINS0_14default_configENS1_25transform_config_selectorItLb1EEEZNS1_14transform_implILb1ES3_S5_PKtPtNS0_8identityItEEEE10hipError_tT2_T3_mT4_P12ihipStream_tbEUlT_E_NS1_11comp_targetILNS1_3genE8ELNS1_11target_archE1030ELNS1_3gpuE2ELNS1_3repE0EEENS1_30default_config_static_selectorELNS0_4arch9wavefront6targetE0EEEvT1_
		.amdhsa_group_segment_fixed_size 0
		.amdhsa_private_segment_fixed_size 0
		.amdhsa_kernarg_size 40
		.amdhsa_user_sgpr_count 2
		.amdhsa_user_sgpr_dispatch_ptr 0
		.amdhsa_user_sgpr_queue_ptr 0
		.amdhsa_user_sgpr_kernarg_segment_ptr 1
		.amdhsa_user_sgpr_dispatch_id 0
		.amdhsa_user_sgpr_kernarg_preload_length 0
		.amdhsa_user_sgpr_kernarg_preload_offset 0
		.amdhsa_user_sgpr_private_segment_size 0
		.amdhsa_wavefront_size32 1
		.amdhsa_uses_dynamic_stack 0
		.amdhsa_enable_private_segment 0
		.amdhsa_system_sgpr_workgroup_id_x 1
		.amdhsa_system_sgpr_workgroup_id_y 0
		.amdhsa_system_sgpr_workgroup_id_z 0
		.amdhsa_system_sgpr_workgroup_info 0
		.amdhsa_system_vgpr_workitem_id 0
		.amdhsa_next_free_vgpr 1
		.amdhsa_next_free_sgpr 1
		.amdhsa_named_barrier_count 0
		.amdhsa_reserve_vcc 0
		.amdhsa_float_round_mode_32 0
		.amdhsa_float_round_mode_16_64 0
		.amdhsa_float_denorm_mode_32 3
		.amdhsa_float_denorm_mode_16_64 3
		.amdhsa_fp16_overflow 0
		.amdhsa_memory_ordered 1
		.amdhsa_forward_progress 1
		.amdhsa_inst_pref_size 0
		.amdhsa_round_robin_scheduling 0
		.amdhsa_exception_fp_ieee_invalid_op 0
		.amdhsa_exception_fp_denorm_src 0
		.amdhsa_exception_fp_ieee_div_zero 0
		.amdhsa_exception_fp_ieee_overflow 0
		.amdhsa_exception_fp_ieee_underflow 0
		.amdhsa_exception_fp_ieee_inexact 0
		.amdhsa_exception_int_div_zero 0
	.end_amdhsa_kernel
	.section	.text._ZN7rocprim17ROCPRIM_400000_NS6detail17trampoline_kernelINS0_14default_configENS1_25transform_config_selectorItLb1EEEZNS1_14transform_implILb1ES3_S5_PKtPtNS0_8identityItEEEE10hipError_tT2_T3_mT4_P12ihipStream_tbEUlT_E_NS1_11comp_targetILNS1_3genE8ELNS1_11target_archE1030ELNS1_3gpuE2ELNS1_3repE0EEENS1_30default_config_static_selectorELNS0_4arch9wavefront6targetE0EEEvT1_,"axG",@progbits,_ZN7rocprim17ROCPRIM_400000_NS6detail17trampoline_kernelINS0_14default_configENS1_25transform_config_selectorItLb1EEEZNS1_14transform_implILb1ES3_S5_PKtPtNS0_8identityItEEEE10hipError_tT2_T3_mT4_P12ihipStream_tbEUlT_E_NS1_11comp_targetILNS1_3genE8ELNS1_11target_archE1030ELNS1_3gpuE2ELNS1_3repE0EEENS1_30default_config_static_selectorELNS0_4arch9wavefront6targetE0EEEvT1_,comdat
.Lfunc_end2385:
	.size	_ZN7rocprim17ROCPRIM_400000_NS6detail17trampoline_kernelINS0_14default_configENS1_25transform_config_selectorItLb1EEEZNS1_14transform_implILb1ES3_S5_PKtPtNS0_8identityItEEEE10hipError_tT2_T3_mT4_P12ihipStream_tbEUlT_E_NS1_11comp_targetILNS1_3genE8ELNS1_11target_archE1030ELNS1_3gpuE2ELNS1_3repE0EEENS1_30default_config_static_selectorELNS0_4arch9wavefront6targetE0EEEvT1_, .Lfunc_end2385-_ZN7rocprim17ROCPRIM_400000_NS6detail17trampoline_kernelINS0_14default_configENS1_25transform_config_selectorItLb1EEEZNS1_14transform_implILb1ES3_S5_PKtPtNS0_8identityItEEEE10hipError_tT2_T3_mT4_P12ihipStream_tbEUlT_E_NS1_11comp_targetILNS1_3genE8ELNS1_11target_archE1030ELNS1_3gpuE2ELNS1_3repE0EEENS1_30default_config_static_selectorELNS0_4arch9wavefront6targetE0EEEvT1_
                                        ; -- End function
	.set _ZN7rocprim17ROCPRIM_400000_NS6detail17trampoline_kernelINS0_14default_configENS1_25transform_config_selectorItLb1EEEZNS1_14transform_implILb1ES3_S5_PKtPtNS0_8identityItEEEE10hipError_tT2_T3_mT4_P12ihipStream_tbEUlT_E_NS1_11comp_targetILNS1_3genE8ELNS1_11target_archE1030ELNS1_3gpuE2ELNS1_3repE0EEENS1_30default_config_static_selectorELNS0_4arch9wavefront6targetE0EEEvT1_.num_vgpr, 0
	.set _ZN7rocprim17ROCPRIM_400000_NS6detail17trampoline_kernelINS0_14default_configENS1_25transform_config_selectorItLb1EEEZNS1_14transform_implILb1ES3_S5_PKtPtNS0_8identityItEEEE10hipError_tT2_T3_mT4_P12ihipStream_tbEUlT_E_NS1_11comp_targetILNS1_3genE8ELNS1_11target_archE1030ELNS1_3gpuE2ELNS1_3repE0EEENS1_30default_config_static_selectorELNS0_4arch9wavefront6targetE0EEEvT1_.num_agpr, 0
	.set _ZN7rocprim17ROCPRIM_400000_NS6detail17trampoline_kernelINS0_14default_configENS1_25transform_config_selectorItLb1EEEZNS1_14transform_implILb1ES3_S5_PKtPtNS0_8identityItEEEE10hipError_tT2_T3_mT4_P12ihipStream_tbEUlT_E_NS1_11comp_targetILNS1_3genE8ELNS1_11target_archE1030ELNS1_3gpuE2ELNS1_3repE0EEENS1_30default_config_static_selectorELNS0_4arch9wavefront6targetE0EEEvT1_.numbered_sgpr, 0
	.set _ZN7rocprim17ROCPRIM_400000_NS6detail17trampoline_kernelINS0_14default_configENS1_25transform_config_selectorItLb1EEEZNS1_14transform_implILb1ES3_S5_PKtPtNS0_8identityItEEEE10hipError_tT2_T3_mT4_P12ihipStream_tbEUlT_E_NS1_11comp_targetILNS1_3genE8ELNS1_11target_archE1030ELNS1_3gpuE2ELNS1_3repE0EEENS1_30default_config_static_selectorELNS0_4arch9wavefront6targetE0EEEvT1_.num_named_barrier, 0
	.set _ZN7rocprim17ROCPRIM_400000_NS6detail17trampoline_kernelINS0_14default_configENS1_25transform_config_selectorItLb1EEEZNS1_14transform_implILb1ES3_S5_PKtPtNS0_8identityItEEEE10hipError_tT2_T3_mT4_P12ihipStream_tbEUlT_E_NS1_11comp_targetILNS1_3genE8ELNS1_11target_archE1030ELNS1_3gpuE2ELNS1_3repE0EEENS1_30default_config_static_selectorELNS0_4arch9wavefront6targetE0EEEvT1_.private_seg_size, 0
	.set _ZN7rocprim17ROCPRIM_400000_NS6detail17trampoline_kernelINS0_14default_configENS1_25transform_config_selectorItLb1EEEZNS1_14transform_implILb1ES3_S5_PKtPtNS0_8identityItEEEE10hipError_tT2_T3_mT4_P12ihipStream_tbEUlT_E_NS1_11comp_targetILNS1_3genE8ELNS1_11target_archE1030ELNS1_3gpuE2ELNS1_3repE0EEENS1_30default_config_static_selectorELNS0_4arch9wavefront6targetE0EEEvT1_.uses_vcc, 0
	.set _ZN7rocprim17ROCPRIM_400000_NS6detail17trampoline_kernelINS0_14default_configENS1_25transform_config_selectorItLb1EEEZNS1_14transform_implILb1ES3_S5_PKtPtNS0_8identityItEEEE10hipError_tT2_T3_mT4_P12ihipStream_tbEUlT_E_NS1_11comp_targetILNS1_3genE8ELNS1_11target_archE1030ELNS1_3gpuE2ELNS1_3repE0EEENS1_30default_config_static_selectorELNS0_4arch9wavefront6targetE0EEEvT1_.uses_flat_scratch, 0
	.set _ZN7rocprim17ROCPRIM_400000_NS6detail17trampoline_kernelINS0_14default_configENS1_25transform_config_selectorItLb1EEEZNS1_14transform_implILb1ES3_S5_PKtPtNS0_8identityItEEEE10hipError_tT2_T3_mT4_P12ihipStream_tbEUlT_E_NS1_11comp_targetILNS1_3genE8ELNS1_11target_archE1030ELNS1_3gpuE2ELNS1_3repE0EEENS1_30default_config_static_selectorELNS0_4arch9wavefront6targetE0EEEvT1_.has_dyn_sized_stack, 0
	.set _ZN7rocprim17ROCPRIM_400000_NS6detail17trampoline_kernelINS0_14default_configENS1_25transform_config_selectorItLb1EEEZNS1_14transform_implILb1ES3_S5_PKtPtNS0_8identityItEEEE10hipError_tT2_T3_mT4_P12ihipStream_tbEUlT_E_NS1_11comp_targetILNS1_3genE8ELNS1_11target_archE1030ELNS1_3gpuE2ELNS1_3repE0EEENS1_30default_config_static_selectorELNS0_4arch9wavefront6targetE0EEEvT1_.has_recursion, 0
	.set _ZN7rocprim17ROCPRIM_400000_NS6detail17trampoline_kernelINS0_14default_configENS1_25transform_config_selectorItLb1EEEZNS1_14transform_implILb1ES3_S5_PKtPtNS0_8identityItEEEE10hipError_tT2_T3_mT4_P12ihipStream_tbEUlT_E_NS1_11comp_targetILNS1_3genE8ELNS1_11target_archE1030ELNS1_3gpuE2ELNS1_3repE0EEENS1_30default_config_static_selectorELNS0_4arch9wavefront6targetE0EEEvT1_.has_indirect_call, 0
	.section	.AMDGPU.csdata,"",@progbits
; Kernel info:
; codeLenInByte = 0
; TotalNumSgprs: 0
; NumVgprs: 0
; ScratchSize: 0
; MemoryBound: 0
; FloatMode: 240
; IeeeMode: 1
; LDSByteSize: 0 bytes/workgroup (compile time only)
; SGPRBlocks: 0
; VGPRBlocks: 0
; NumSGPRsForWavesPerEU: 1
; NumVGPRsForWavesPerEU: 1
; NamedBarCnt: 0
; Occupancy: 16
; WaveLimiterHint : 0
; COMPUTE_PGM_RSRC2:SCRATCH_EN: 0
; COMPUTE_PGM_RSRC2:USER_SGPR: 2
; COMPUTE_PGM_RSRC2:TRAP_HANDLER: 0
; COMPUTE_PGM_RSRC2:TGID_X_EN: 1
; COMPUTE_PGM_RSRC2:TGID_Y_EN: 0
; COMPUTE_PGM_RSRC2:TGID_Z_EN: 0
; COMPUTE_PGM_RSRC2:TIDIG_COMP_CNT: 0
	.section	.text._ZN7rocprim17ROCPRIM_400000_NS6detail17trampoline_kernelINS0_14default_configENS1_35radix_sort_onesweep_config_selectorItNS0_10empty_typeEEEZZNS1_29radix_sort_onesweep_iterationIS3_Lb1EPKtPtPS5_SB_mNS0_19identity_decomposerENS1_16block_id_wrapperIjLb1EEEEE10hipError_tT1_PNSt15iterator_traitsISG_E10value_typeET2_T3_PNSH_ISM_E10value_typeET4_T5_PSR_SS_PNS1_23onesweep_lookback_stateEbbT6_jjT7_P12ihipStream_tbENKUlT_T0_SG_SL_E_clIS9_SA_SB_SB_EEDaSZ_S10_SG_SL_EUlSZ_E_NS1_11comp_targetILNS1_3genE0ELNS1_11target_archE4294967295ELNS1_3gpuE0ELNS1_3repE0EEENS1_47radix_sort_onesweep_sort_config_static_selectorELNS0_4arch9wavefront6targetE0EEEvSG_,"axG",@progbits,_ZN7rocprim17ROCPRIM_400000_NS6detail17trampoline_kernelINS0_14default_configENS1_35radix_sort_onesweep_config_selectorItNS0_10empty_typeEEEZZNS1_29radix_sort_onesweep_iterationIS3_Lb1EPKtPtPS5_SB_mNS0_19identity_decomposerENS1_16block_id_wrapperIjLb1EEEEE10hipError_tT1_PNSt15iterator_traitsISG_E10value_typeET2_T3_PNSH_ISM_E10value_typeET4_T5_PSR_SS_PNS1_23onesweep_lookback_stateEbbT6_jjT7_P12ihipStream_tbENKUlT_T0_SG_SL_E_clIS9_SA_SB_SB_EEDaSZ_S10_SG_SL_EUlSZ_E_NS1_11comp_targetILNS1_3genE0ELNS1_11target_archE4294967295ELNS1_3gpuE0ELNS1_3repE0EEENS1_47radix_sort_onesweep_sort_config_static_selectorELNS0_4arch9wavefront6targetE0EEEvSG_,comdat
	.protected	_ZN7rocprim17ROCPRIM_400000_NS6detail17trampoline_kernelINS0_14default_configENS1_35radix_sort_onesweep_config_selectorItNS0_10empty_typeEEEZZNS1_29radix_sort_onesweep_iterationIS3_Lb1EPKtPtPS5_SB_mNS0_19identity_decomposerENS1_16block_id_wrapperIjLb1EEEEE10hipError_tT1_PNSt15iterator_traitsISG_E10value_typeET2_T3_PNSH_ISM_E10value_typeET4_T5_PSR_SS_PNS1_23onesweep_lookback_stateEbbT6_jjT7_P12ihipStream_tbENKUlT_T0_SG_SL_E_clIS9_SA_SB_SB_EEDaSZ_S10_SG_SL_EUlSZ_E_NS1_11comp_targetILNS1_3genE0ELNS1_11target_archE4294967295ELNS1_3gpuE0ELNS1_3repE0EEENS1_47radix_sort_onesweep_sort_config_static_selectorELNS0_4arch9wavefront6targetE0EEEvSG_ ; -- Begin function _ZN7rocprim17ROCPRIM_400000_NS6detail17trampoline_kernelINS0_14default_configENS1_35radix_sort_onesweep_config_selectorItNS0_10empty_typeEEEZZNS1_29radix_sort_onesweep_iterationIS3_Lb1EPKtPtPS5_SB_mNS0_19identity_decomposerENS1_16block_id_wrapperIjLb1EEEEE10hipError_tT1_PNSt15iterator_traitsISG_E10value_typeET2_T3_PNSH_ISM_E10value_typeET4_T5_PSR_SS_PNS1_23onesweep_lookback_stateEbbT6_jjT7_P12ihipStream_tbENKUlT_T0_SG_SL_E_clIS9_SA_SB_SB_EEDaSZ_S10_SG_SL_EUlSZ_E_NS1_11comp_targetILNS1_3genE0ELNS1_11target_archE4294967295ELNS1_3gpuE0ELNS1_3repE0EEENS1_47radix_sort_onesweep_sort_config_static_selectorELNS0_4arch9wavefront6targetE0EEEvSG_
	.globl	_ZN7rocprim17ROCPRIM_400000_NS6detail17trampoline_kernelINS0_14default_configENS1_35radix_sort_onesweep_config_selectorItNS0_10empty_typeEEEZZNS1_29radix_sort_onesweep_iterationIS3_Lb1EPKtPtPS5_SB_mNS0_19identity_decomposerENS1_16block_id_wrapperIjLb1EEEEE10hipError_tT1_PNSt15iterator_traitsISG_E10value_typeET2_T3_PNSH_ISM_E10value_typeET4_T5_PSR_SS_PNS1_23onesweep_lookback_stateEbbT6_jjT7_P12ihipStream_tbENKUlT_T0_SG_SL_E_clIS9_SA_SB_SB_EEDaSZ_S10_SG_SL_EUlSZ_E_NS1_11comp_targetILNS1_3genE0ELNS1_11target_archE4294967295ELNS1_3gpuE0ELNS1_3repE0EEENS1_47radix_sort_onesweep_sort_config_static_selectorELNS0_4arch9wavefront6targetE0EEEvSG_
	.p2align	8
	.type	_ZN7rocprim17ROCPRIM_400000_NS6detail17trampoline_kernelINS0_14default_configENS1_35radix_sort_onesweep_config_selectorItNS0_10empty_typeEEEZZNS1_29radix_sort_onesweep_iterationIS3_Lb1EPKtPtPS5_SB_mNS0_19identity_decomposerENS1_16block_id_wrapperIjLb1EEEEE10hipError_tT1_PNSt15iterator_traitsISG_E10value_typeET2_T3_PNSH_ISM_E10value_typeET4_T5_PSR_SS_PNS1_23onesweep_lookback_stateEbbT6_jjT7_P12ihipStream_tbENKUlT_T0_SG_SL_E_clIS9_SA_SB_SB_EEDaSZ_S10_SG_SL_EUlSZ_E_NS1_11comp_targetILNS1_3genE0ELNS1_11target_archE4294967295ELNS1_3gpuE0ELNS1_3repE0EEENS1_47radix_sort_onesweep_sort_config_static_selectorELNS0_4arch9wavefront6targetE0EEEvSG_,@function
_ZN7rocprim17ROCPRIM_400000_NS6detail17trampoline_kernelINS0_14default_configENS1_35radix_sort_onesweep_config_selectorItNS0_10empty_typeEEEZZNS1_29radix_sort_onesweep_iterationIS3_Lb1EPKtPtPS5_SB_mNS0_19identity_decomposerENS1_16block_id_wrapperIjLb1EEEEE10hipError_tT1_PNSt15iterator_traitsISG_E10value_typeET2_T3_PNSH_ISM_E10value_typeET4_T5_PSR_SS_PNS1_23onesweep_lookback_stateEbbT6_jjT7_P12ihipStream_tbENKUlT_T0_SG_SL_E_clIS9_SA_SB_SB_EEDaSZ_S10_SG_SL_EUlSZ_E_NS1_11comp_targetILNS1_3genE0ELNS1_11target_archE4294967295ELNS1_3gpuE0ELNS1_3repE0EEENS1_47radix_sort_onesweep_sort_config_static_selectorELNS0_4arch9wavefront6targetE0EEEvSG_: ; @_ZN7rocprim17ROCPRIM_400000_NS6detail17trampoline_kernelINS0_14default_configENS1_35radix_sort_onesweep_config_selectorItNS0_10empty_typeEEEZZNS1_29radix_sort_onesweep_iterationIS3_Lb1EPKtPtPS5_SB_mNS0_19identity_decomposerENS1_16block_id_wrapperIjLb1EEEEE10hipError_tT1_PNSt15iterator_traitsISG_E10value_typeET2_T3_PNSH_ISM_E10value_typeET4_T5_PSR_SS_PNS1_23onesweep_lookback_stateEbbT6_jjT7_P12ihipStream_tbENKUlT_T0_SG_SL_E_clIS9_SA_SB_SB_EEDaSZ_S10_SG_SL_EUlSZ_E_NS1_11comp_targetILNS1_3genE0ELNS1_11target_archE4294967295ELNS1_3gpuE0ELNS1_3repE0EEENS1_47radix_sort_onesweep_sort_config_static_selectorELNS0_4arch9wavefront6targetE0EEEvSG_
; %bb.0:
	s_clause 0x1
	s_load_b128 s[12:15], s[0:1], 0x28
	s_load_b64 s[10:11], s[0:1], 0x38
	v_and_b32_e32 v14, 0x3ff, v0
	s_delay_alu instid0(VALU_DEP_1)
	v_cmp_eq_u32_e64 s2, 0, v14
	s_and_saveexec_b32 s3, s2
	s_cbranch_execz .LBB2386_4
; %bb.1:
	s_mov_b32 s5, exec_lo
	s_mov_b32 s4, exec_lo
	v_mbcnt_lo_u32_b32 v1, s5, 0
                                        ; implicit-def: $vgpr2
	s_delay_alu instid0(VALU_DEP_1)
	v_cmpx_eq_u32_e32 0, v1
	s_cbranch_execz .LBB2386_3
; %bb.2:
	s_load_b64 s[6:7], s[0:1], 0x50
	s_bcnt1_i32_b32 s5, s5
	s_delay_alu instid0(SALU_CYCLE_1)
	v_dual_mov_b32 v2, 0 :: v_dual_mov_b32 v3, s5
	s_wait_xcnt 0x0
	s_wait_kmcnt 0x0
	global_atomic_add_u32 v2, v2, v3, s[6:7] th:TH_ATOMIC_RETURN scope:SCOPE_DEV
.LBB2386_3:
	s_wait_xcnt 0x0
	s_or_b32 exec_lo, exec_lo, s4
	s_wait_loadcnt 0x0
	v_readfirstlane_b32 s4, v2
	s_delay_alu instid0(VALU_DEP_1)
	v_dual_mov_b32 v2, 0 :: v_dual_add_nc_u32 v1, s4, v1
	ds_store_b32 v2, v1 offset:18496
.LBB2386_4:
	s_or_b32 exec_lo, exec_lo, s3
	v_mov_b32_e32 v9, 0
	s_clause 0x2
	s_load_b128 s[16:19], s[0:1], 0x0
	s_load_b32 s3, s[0:1], 0x20
	s_load_b96 s[20:22], s[0:1], 0x44
	s_wait_dscnt 0x0
	s_barrier_signal -1
	s_barrier_wait -1
	ds_load_b32 v1, v9 offset:18496
	v_mbcnt_lo_u32_b32 v15, -1, 0
	v_and_b32_e32 v16, 0x3e0, v14
	s_mov_b32 s4, -1
	s_add_nc_u64 s[26:27], s[0:1], 0x58
	s_getreg_b32 s28, hwreg(HW_REG_IB_STS2, 6, 4)
	s_wait_dscnt 0x0
	s_barrier_signal -1
	s_barrier_wait -1
	s_wait_kmcnt 0x0
	v_cmp_le_u32_e32 vcc_lo, s22, v1
	v_readfirstlane_b32 s23, v1
	s_mul_i32 s24, s23, 0x1800
	s_cbranch_vccz .LBB2386_100
; %bb.5:
	s_mov_b32 s25, 0
	v_mul_u32_u24_e32 v2, 12, v16
	v_lshlrev_b32_e32 v8, 1, v15
	s_lshl_b64 s[4:5], s[24:25], 1
	s_mulk_i32 s22, 0xe800
	s_add_nc_u64 s[4:5], s[16:17], s[4:5]
	v_or_b32_e32 v1, v15, v2
	v_add_nc_u64_e32 v[4:5], s[4:5], v[8:9]
	v_dual_lshlrev_b32 v8, 1, v2 :: v_dual_mov_b32 v6, v9
	v_dual_mov_b32 v2, v9 :: v_dual_mov_b32 v3, v9
	s_add_co_i32 s22, s22, s3
	s_mov_b32 s3, exec_lo
	s_delay_alu instid0(VALU_DEP_2)
	v_add_nc_u64_e32 v[10:11], v[4:5], v[8:9]
	v_dual_mov_b32 v4, v9 :: v_dual_mov_b32 v5, v9
	v_cmpx_gt_u32_e64 s22, v1
	s_cbranch_execz .LBB2386_7
; %bb.6:
	global_load_u16 v5, v[10:11], off
	v_mov_b32_e32 v9, 0
	s_delay_alu instid0(VALU_DEP_1)
	v_dual_mov_b32 v2, v9 :: v_dual_mov_b32 v3, v9
	v_mov_b32_e32 v4, v9
	s_wait_loadcnt 0x0
	v_and_b32_e32 v6, 0xffff, v5
	v_mov_b32_e32 v5, v9
.LBB2386_7:
	s_or_b32 exec_lo, exec_lo, s3
	v_or_b32_e32 v7, 32, v1
	s_mov_b32 s3, exec_lo
	s_delay_alu instid0(VALU_DEP_1)
	v_cmpx_gt_u32_e64 s22, v7
	s_cbranch_execz .LBB2386_9
; %bb.8:
	global_load_u16 v7, v[10:11], off offset:64
	s_wait_loadcnt 0x0
	v_perm_b32 v6, v7, v6, 0x5040100
.LBB2386_9:
	s_or_b32 exec_lo, exec_lo, s3
	v_or_b32_e32 v7, 64, v1
	s_mov_b32 s3, exec_lo
	s_delay_alu instid0(VALU_DEP_1)
	v_cmpx_gt_u32_e64 s22, v7
	s_cbranch_execz .LBB2386_11
; %bb.10:
	global_load_u16 v7, v[10:11], off offset:128
	s_wait_loadcnt 0x0
	v_bfi_b32 v9, 0xffff, v7, v9
.LBB2386_11:
	s_or_b32 exec_lo, exec_lo, s3
	v_or_b32_e32 v7, 0x60, v1
	s_mov_b32 s3, exec_lo
	s_delay_alu instid0(VALU_DEP_1)
	v_cmpx_gt_u32_e64 s22, v7
	s_cbranch_execz .LBB2386_13
; %bb.12:
	global_load_u16 v7, v[10:11], off offset:192
	s_wait_loadcnt 0x0
	v_perm_b32 v9, v7, v9, 0x5040100
.LBB2386_13:
	s_or_b32 exec_lo, exec_lo, s3
	v_add_nc_u32_e32 v7, 0x80, v1
	s_mov_b32 s3, exec_lo
	s_delay_alu instid0(VALU_DEP_1)
	v_cmpx_gt_u32_e64 s22, v7
	s_cbranch_execz .LBB2386_15
; %bb.14:
	global_load_u16 v7, v[10:11], off offset:256
	s_wait_loadcnt 0x0
	v_bfi_b32 v2, 0xffff, v7, v2
.LBB2386_15:
	s_or_b32 exec_lo, exec_lo, s3
	v_add_nc_u32_e32 v7, 0xa0, v1
	s_mov_b32 s3, exec_lo
	s_delay_alu instid0(VALU_DEP_1)
	v_cmpx_gt_u32_e64 s22, v7
	s_cbranch_execz .LBB2386_17
; %bb.16:
	global_load_u16 v7, v[10:11], off offset:320
	s_wait_loadcnt 0x0
	v_perm_b32 v2, v7, v2, 0x5040100
.LBB2386_17:
	s_or_b32 exec_lo, exec_lo, s3
	v_add_nc_u32_e32 v7, 0xc0, v1
	s_mov_b32 s3, exec_lo
	s_delay_alu instid0(VALU_DEP_1)
	v_cmpx_gt_u32_e64 s22, v7
	s_cbranch_execz .LBB2386_19
; %bb.18:
	global_load_u16 v7, v[10:11], off offset:384
	s_wait_loadcnt 0x0
	v_bfi_b32 v3, 0xffff, v7, v3
.LBB2386_19:
	s_or_b32 exec_lo, exec_lo, s3
	v_add_nc_u32_e32 v7, 0xe0, v1
	;; [unrolled: 22-line block ×4, first 2 shown]
	s_mov_b32 s3, exec_lo
	s_delay_alu instid0(VALU_DEP_1)
	v_cmpx_gt_u32_e64 s22, v1
	s_cbranch_execz .LBB2386_29
; %bb.28:
	global_load_u16 v1, v[10:11], off offset:704
	s_wait_loadcnt 0x0
	v_perm_b32 v5, v1, v5, 0x5040100
.LBB2386_29:
	s_or_b32 exec_lo, exec_lo, s3
	s_clause 0x1
	s_load_b32 s25, s[0:1], 0x58
	s_load_u16 s3, s[0:1], 0x66
	v_xor_b32_e32 v1, -1, v6
	s_bfe_u32 s4, ttmp6, 0x4000c
	s_and_b32 s5, ttmp6, 15
	s_add_co_i32 s4, s4, 1
	v_bfe_u32 v7, v0, 10, 10
	s_mul_i32 s4, ttmp9, s4
	v_and_b32_e32 v8, 0xffff, v1
	s_add_co_i32 s5, s5, s4
	s_cmp_eq_u32 s28, 0
	v_bfe_u32 v10, v0, 20, 10
	s_cselect_b32 s4, ttmp9, s5
	v_lshrrev_b32_e32 v8, s20, v8
	s_mov_b32 s5, 0
	s_wait_kmcnt 0x0
	s_cmp_lt_u32 s4, s25
	v_mad_u32_u24 v7, v10, s3, v7
	s_cselect_b32 s4, 12, 18
	s_lshl_b32 s6, -1, s21
	s_add_nc_u64 s[4:5], s[26:27], s[4:5]
	v_bitop3_b32 v10, v8, 1, s6 bitop3:0x40
	v_bitop3_b32 v11, v8, s6, v8 bitop3:0x30
	s_load_u16 s7, s[4:5], 0x0
	s_not_b32 s29, s6
	s_delay_alu instid0(VALU_DEP_2) | instskip(NEXT) | instid1(VALU_DEP_1)
	v_add_co_u32 v8, s3, v10, -1
	v_cndmask_b32_e64 v10, 0, 1, s3
	v_dual_lshlrev_b32 v12, 30, v11 :: v_dual_lshlrev_b32 v13, 29, v11
	v_dual_lshlrev_b32 v17, 28, v11 :: v_dual_lshlrev_b32 v18, 27, v11
	s_delay_alu instid0(VALU_DEP_3) | instskip(NEXT) | instid1(VALU_DEP_3)
	v_cmp_ne_u32_e32 vcc_lo, 0, v10
	v_not_b32_e32 v10, v12
	v_lshlrev_b32_e32 v21, 24, v11
	v_cmp_gt_i32_e64 s3, 0, v12
	s_wait_xcnt 0x0
	v_cmp_gt_i32_e64 s4, 0, v13
	v_not_b32_e32 v12, v13
	v_not_b32_e32 v13, v17
	v_dual_ashrrev_i32 v10, 31, v10 :: v_dual_lshlrev_b32 v19, 26, v11
	v_lshlrev_b32_e32 v20, 25, v11
	v_cmp_gt_i32_e64 s5, 0, v17
	s_delay_alu instid0(VALU_DEP_4) | instskip(NEXT) | instid1(VALU_DEP_4)
	v_dual_ashrrev_i32 v13, 31, v13 :: v_dual_bitop2_b32 v8, vcc_lo, v8 bitop3:0x14
	v_dual_ashrrev_i32 v12, 31, v12 :: v_dual_bitop2_b32 v10, s3, v10 bitop3:0x14
	v_not_b32_e32 v17, v18
	v_not_b32_e32 v22, v19
	s_delay_alu instid0(VALU_DEP_4) | instskip(NEXT) | instid1(VALU_DEP_4)
	v_xor_b32_e32 v13, s5, v13
	v_xor_b32_e32 v12, s4, v12
	v_bitop3_b32 v8, v8, v10, exec_lo bitop3:0x80
	s_wait_kmcnt 0x0
	v_mad_u32 v7, v7, s7, v14
	v_cmp_gt_i32_e32 vcc_lo, 0, v18
	v_ashrrev_i32_e32 v10, 31, v17
	v_cmp_gt_i32_e64 s3, 0, v19
	v_ashrrev_i32_e32 v17, 31, v22
	v_bitop3_b32 v8, v8, v13, v12 bitop3:0x80
	v_not_b32_e32 v12, v20
	v_not_b32_e32 v13, v21
	v_xor_b32_e32 v10, vcc_lo, v10
	v_xor_b32_e32 v17, s3, v17
	v_cmp_gt_i32_e32 vcc_lo, 0, v20
	v_ashrrev_i32_e32 v18, 31, v12
	v_cmp_gt_i32_e64 s3, 0, v21
	v_dual_ashrrev_i32 v13, 31, v13 :: v_dual_lshrrev_b32 v7, 3, v7
	v_bitop3_b32 v8, v8, v17, v10 bitop3:0x80
	s_delay_alu instid0(VALU_DEP_4) | instskip(NEXT) | instid1(VALU_DEP_3)
	v_dual_mov_b32 v17, 0 :: v_dual_bitop2_b32 v10, vcc_lo, v18 bitop3:0x14
	v_xor_b32_e32 v13, s3, v13
	s_delay_alu instid0(VALU_DEP_4)
	v_and_b32_e32 v7, 0x1ffffffc, v7
	v_mul_u32_u24_e32 v11, 0x44, v11
	v_mul_u32_u24_e32 v12, 36, v14
	ds_store_2addr_b32 v12, v17, v17 offset0:16 offset1:17
	ds_store_2addr_b32 v12, v17, v17 offset0:18 offset1:19
	;; [unrolled: 1-line block ×4, first 2 shown]
	v_bitop3_b32 v8, v8, v13, v10 bitop3:0x80
	v_add_nc_u32_e32 v13, v7, v11
	ds_store_b32 v12, v17 offset:96
	s_wait_dscnt 0x0
	s_barrier_signal -1
	v_mbcnt_lo_u32_b32 v10, v8, 0
	v_cmp_ne_u32_e64 s3, 0, v8
	s_barrier_wait -1
	s_delay_alu instid0(VALU_DEP_2) | instskip(SKIP_1) | instid1(SALU_CYCLE_1)
	v_cmp_eq_u32_e32 vcc_lo, 0, v10
	; wave barrier
	s_and_b32 s4, s3, vcc_lo
	s_and_saveexec_b32 s3, s4
; %bb.30:
	v_bcnt_u32_b32 v8, v8, 0
	ds_store_b32 v13, v8 offset:64
; %bb.31:
	s_or_b32 exec_lo, exec_lo, s3
	v_lshrrev_b32_e32 v6, 16, v6
	; wave barrier
	s_delay_alu instid0(VALU_DEP_1) | instskip(NEXT) | instid1(VALU_DEP_1)
	v_xor_b32_e32 v11, -1, v6
	v_and_b32_e32 v6, 0xffff, v11
	s_delay_alu instid0(VALU_DEP_1) | instskip(NEXT) | instid1(VALU_DEP_1)
	v_lshrrev_b32_e32 v6, s20, v6
	v_bitop3_b32 v8, v6, 1, s29 bitop3:0x80
	v_and_b32_e32 v17, s29, v6
	s_delay_alu instid0(VALU_DEP_2) | instskip(NEXT) | instid1(VALU_DEP_1)
	v_add_co_u32 v6, s3, v8, -1
	v_cndmask_b32_e64 v8, 0, 1, s3
	s_delay_alu instid0(VALU_DEP_3) | instskip(NEXT) | instid1(VALU_DEP_2)
	v_lshlrev_b32_e32 v18, 30, v17
	v_cmp_ne_u32_e32 vcc_lo, 0, v8
	s_delay_alu instid0(VALU_DEP_2) | instskip(SKIP_1) | instid1(VALU_DEP_2)
	v_not_b32_e32 v8, v18
	v_cmp_gt_i32_e64 s3, 0, v18
	v_dual_ashrrev_i32 v8, 31, v8 :: v_dual_lshlrev_b32 v19, 29, v17
	v_dual_lshlrev_b32 v20, 28, v17 :: v_dual_lshlrev_b32 v21, 27, v17
	v_dual_lshlrev_b32 v22, 26, v17 :: v_dual_lshlrev_b32 v23, 25, v17
	v_lshlrev_b32_e32 v24, 24, v17
	s_delay_alu instid0(VALU_DEP_4)
	v_cmp_gt_i32_e64 s4, 0, v19
	v_not_b32_e32 v18, v19
	v_not_b32_e32 v19, v20
	v_cmp_gt_i32_e64 s5, 0, v20
	v_cmp_gt_i32_e64 s6, 0, v21
	v_not_b32_e32 v20, v21
	v_not_b32_e32 v21, v22
	v_dual_ashrrev_i32 v19, 31, v19 :: v_dual_bitop2_b32 v6, vcc_lo, v6 bitop3:0x14
	v_dual_ashrrev_i32 v18, 31, v18 :: v_dual_bitop2_b32 v8, s3, v8 bitop3:0x14
	v_cmp_gt_i32_e64 s7, 0, v22
	v_cmp_gt_i32_e64 s8, 0, v23
	v_not_b32_e32 v22, v23
	v_not_b32_e32 v23, v24
	v_dual_ashrrev_i32 v20, 31, v20 :: v_dual_ashrrev_i32 v21, 31, v21
	v_xor_b32_e32 v18, s4, v18
	v_xor_b32_e32 v19, s5, v19
	v_bitop3_b32 v6, v6, v8, exec_lo bitop3:0x80
	v_cmp_gt_i32_e64 s9, 0, v24
	v_dual_ashrrev_i32 v8, 31, v22 :: v_dual_ashrrev_i32 v22, 31, v23
	v_xor_b32_e32 v20, s6, v20
	v_xor_b32_e32 v21, s7, v21
	v_bitop3_b32 v6, v6, v19, v18 bitop3:0x80
	v_mad_u32_u24 v18, 0x44, v17, v7
	v_xor_b32_e32 v8, s8, v8
	v_xor_b32_e32 v19, s9, v22
	s_delay_alu instid0(VALU_DEP_4) | instskip(SKIP_3) | instid1(VALU_DEP_2)
	v_bitop3_b32 v6, v6, v21, v20 bitop3:0x80
	ds_load_b32 v18, v18 offset:64
	; wave barrier
	v_bitop3_b32 v6, v6, v19, v8 bitop3:0x80
	v_mul_u32_u24_e32 v8, 0x44, v17
	v_mbcnt_lo_u32_b32 v19, v6, 0
	v_cmp_ne_u32_e64 s3, 0, v6
	s_delay_alu instid0(VALU_DEP_3) | instskip(NEXT) | instid1(VALU_DEP_3)
	v_add_nc_u32_e32 v20, v7, v8
	v_cmp_eq_u32_e32 vcc_lo, 0, v19
	s_and_b32 s4, s3, vcc_lo
	s_delay_alu instid0(SALU_CYCLE_1)
	s_and_saveexec_b32 s3, s4
	s_cbranch_execz .LBB2386_33
; %bb.32:
	s_wait_dscnt 0x0
	v_bcnt_u32_b32 v6, v6, v18
	ds_store_b32 v20, v6 offset:64
.LBB2386_33:
	s_or_b32 exec_lo, exec_lo, s3
	v_xor_b32_e32 v17, -1, v9
	; wave barrier
	s_delay_alu instid0(VALU_DEP_1) | instskip(NEXT) | instid1(VALU_DEP_1)
	v_and_b32_e32 v6, 0xffff, v17
	v_lshrrev_b32_e32 v6, s20, v6
	s_delay_alu instid0(VALU_DEP_1) | instskip(SKIP_1) | instid1(VALU_DEP_2)
	v_bitop3_b32 v8, v6, 1, s29 bitop3:0x80
	v_and_b32_e32 v21, s29, v6
	v_add_co_u32 v6, s3, v8, -1
	s_delay_alu instid0(VALU_DEP_1) | instskip(NEXT) | instid1(VALU_DEP_3)
	v_cndmask_b32_e64 v8, 0, 1, s3
	v_lshlrev_b32_e32 v22, 30, v21
	s_delay_alu instid0(VALU_DEP_2) | instskip(NEXT) | instid1(VALU_DEP_2)
	v_cmp_ne_u32_e32 vcc_lo, 0, v8
	v_not_b32_e32 v8, v22
	s_delay_alu instid0(VALU_DEP_1) | instskip(SKIP_4) | instid1(VALU_DEP_4)
	v_dual_ashrrev_i32 v8, 31, v8 :: v_dual_bitop2_b32 v6, vcc_lo, v6 bitop3:0x14
	v_dual_lshlrev_b32 v23, 29, v21 :: v_dual_lshlrev_b32 v24, 28, v21
	v_dual_lshlrev_b32 v25, 27, v21 :: v_dual_lshlrev_b32 v26, 26, v21
	v_lshlrev_b32_e32 v27, 25, v21
	v_cmp_gt_i32_e64 s3, 0, v22
	v_cmp_gt_i32_e64 s4, 0, v23
	v_not_b32_e32 v22, v23
	v_not_b32_e32 v23, v24
	v_lshlrev_b32_e32 v28, 24, v21
	v_cmp_gt_i32_e64 s5, 0, v24
	v_cmp_gt_i32_e64 s6, 0, v25
	v_not_b32_e32 v24, v25
	v_not_b32_e32 v25, v26
	v_dual_ashrrev_i32 v22, 31, v22 :: v_dual_ashrrev_i32 v23, 31, v23
	v_xor_b32_e32 v8, s3, v8
	v_cmp_gt_i32_e64 s7, 0, v26
	v_cmp_gt_i32_e64 s8, 0, v27
	v_not_b32_e32 v26, v27
	v_not_b32_e32 v27, v28
	v_dual_ashrrev_i32 v24, 31, v24 :: v_dual_bitop2_b32 v22, s4, v22 bitop3:0x14
	v_dual_ashrrev_i32 v25, 31, v25 :: v_dual_bitop2_b32 v23, s5, v23 bitop3:0x14
	v_bitop3_b32 v6, v6, v8, exec_lo bitop3:0x80
	v_cmp_gt_i32_e64 s9, 0, v28
	v_dual_ashrrev_i32 v8, 31, v26 :: v_dual_ashrrev_i32 v26, 31, v27
	v_xor_b32_e32 v24, s6, v24
	v_xor_b32_e32 v25, s7, v25
	v_bitop3_b32 v6, v6, v23, v22 bitop3:0x80
	v_mad_u32_u24 v22, 0x44, v21, v7
	v_xor_b32_e32 v8, s8, v8
	v_xor_b32_e32 v23, s9, v26
	s_delay_alu instid0(VALU_DEP_4) | instskip(SKIP_3) | instid1(VALU_DEP_2)
	v_bitop3_b32 v6, v6, v25, v24 bitop3:0x80
	ds_load_b32 v22, v22 offset:64
	; wave barrier
	v_bitop3_b32 v6, v6, v23, v8 bitop3:0x80
	v_mul_u32_u24_e32 v8, 0x44, v21
	v_mbcnt_lo_u32_b32 v23, v6, 0
	v_cmp_ne_u32_e64 s3, 0, v6
	s_delay_alu instid0(VALU_DEP_3) | instskip(NEXT) | instid1(VALU_DEP_3)
	v_add_nc_u32_e32 v24, v7, v8
	v_cmp_eq_u32_e32 vcc_lo, 0, v23
	s_and_b32 s4, s3, vcc_lo
	s_delay_alu instid0(SALU_CYCLE_1)
	s_and_saveexec_b32 s3, s4
	s_cbranch_execz .LBB2386_35
; %bb.34:
	s_wait_dscnt 0x0
	v_bcnt_u32_b32 v6, v6, v22
	ds_store_b32 v24, v6 offset:64
.LBB2386_35:
	s_or_b32 exec_lo, exec_lo, s3
	v_lshrrev_b32_e32 v6, 16, v9
	; wave barrier
	s_delay_alu instid0(VALU_DEP_1) | instskip(NEXT) | instid1(VALU_DEP_1)
	v_xor_b32_e32 v21, -1, v6
	v_and_b32_e32 v6, 0xffff, v21
	s_delay_alu instid0(VALU_DEP_1) | instskip(NEXT) | instid1(VALU_DEP_1)
	v_lshrrev_b32_e32 v6, s20, v6
	v_bitop3_b32 v8, v6, 1, s29 bitop3:0x80
	v_and_b32_e32 v9, s29, v6
	s_delay_alu instid0(VALU_DEP_2) | instskip(NEXT) | instid1(VALU_DEP_1)
	v_add_co_u32 v6, s3, v8, -1
	v_cndmask_b32_e64 v8, 0, 1, s3
	s_delay_alu instid0(VALU_DEP_3) | instskip(NEXT) | instid1(VALU_DEP_2)
	v_lshlrev_b32_e32 v25, 30, v9
	v_cmp_ne_u32_e32 vcc_lo, 0, v8
	s_delay_alu instid0(VALU_DEP_2) | instskip(SKIP_1) | instid1(VALU_DEP_2)
	v_not_b32_e32 v8, v25
	v_cmp_gt_i32_e64 s3, 0, v25
	v_dual_ashrrev_i32 v8, 31, v8 :: v_dual_lshlrev_b32 v26, 29, v9
	v_dual_lshlrev_b32 v27, 28, v9 :: v_dual_lshlrev_b32 v28, 27, v9
	v_dual_lshlrev_b32 v29, 26, v9 :: v_dual_lshlrev_b32 v30, 25, v9
	v_lshlrev_b32_e32 v31, 24, v9
	s_delay_alu instid0(VALU_DEP_4)
	v_cmp_gt_i32_e64 s4, 0, v26
	v_not_b32_e32 v25, v26
	v_not_b32_e32 v26, v27
	v_cmp_gt_i32_e64 s5, 0, v27
	v_cmp_gt_i32_e64 s6, 0, v28
	v_not_b32_e32 v27, v28
	v_not_b32_e32 v28, v29
	v_dual_ashrrev_i32 v25, 31, v25 :: v_dual_bitop2_b32 v6, vcc_lo, v6 bitop3:0x14
	v_dual_ashrrev_i32 v26, 31, v26 :: v_dual_bitop2_b32 v8, s3, v8 bitop3:0x14
	v_cmp_gt_i32_e64 s7, 0, v29
	v_cmp_gt_i32_e64 s8, 0, v30
	v_not_b32_e32 v29, v30
	v_not_b32_e32 v30, v31
	v_dual_ashrrev_i32 v27, 31, v27 :: v_dual_ashrrev_i32 v28, 31, v28
	v_xor_b32_e32 v25, s4, v25
	v_xor_b32_e32 v26, s5, v26
	v_bitop3_b32 v6, v6, v8, exec_lo bitop3:0x80
	v_cmp_gt_i32_e64 s9, 0, v31
	v_dual_ashrrev_i32 v8, 31, v29 :: v_dual_ashrrev_i32 v29, 31, v30
	v_xor_b32_e32 v27, s6, v27
	v_xor_b32_e32 v28, s7, v28
	v_bitop3_b32 v6, v6, v26, v25 bitop3:0x80
	v_mad_u32_u24 v25, 0x44, v9, v7
	v_xor_b32_e32 v8, s8, v8
	v_xor_b32_e32 v29, s9, v29
	s_delay_alu instid0(VALU_DEP_4) | instskip(SKIP_3) | instid1(VALU_DEP_2)
	v_bitop3_b32 v6, v6, v28, v27 bitop3:0x80
	ds_load_b32 v26, v25 offset:64
	; wave barrier
	v_bitop3_b32 v6, v6, v29, v8 bitop3:0x80
	v_mul_u32_u24_e32 v8, 0x44, v9
	v_mbcnt_lo_u32_b32 v27, v6, 0
	v_cmp_ne_u32_e64 s3, 0, v6
	s_delay_alu instid0(VALU_DEP_3) | instskip(NEXT) | instid1(VALU_DEP_3)
	v_add_nc_u32_e32 v28, v7, v8
	v_cmp_eq_u32_e32 vcc_lo, 0, v27
	s_and_b32 s4, s3, vcc_lo
	s_delay_alu instid0(SALU_CYCLE_1)
	s_and_saveexec_b32 s3, s4
	s_cbranch_execz .LBB2386_37
; %bb.36:
	s_wait_dscnt 0x0
	v_bcnt_u32_b32 v6, v6, v26
	ds_store_b32 v28, v6 offset:64
.LBB2386_37:
	s_or_b32 exec_lo, exec_lo, s3
	v_xor_b32_e32 v25, -1, v2
	; wave barrier
	s_delay_alu instid0(VALU_DEP_1) | instskip(NEXT) | instid1(VALU_DEP_1)
	v_and_b32_e32 v6, 0xffff, v25
	v_lshrrev_b32_e32 v6, s20, v6
	s_delay_alu instid0(VALU_DEP_1) | instskip(NEXT) | instid1(VALU_DEP_1)
	v_and_b32_e32 v9, s29, v6
	v_lshlrev_b32_e32 v30, 29, v9
	v_bitop3_b32 v8, v6, 1, s29 bitop3:0x80
	v_lshlrev_b32_e32 v29, 30, v9
	s_delay_alu instid0(VALU_DEP_3) | instskip(NEXT) | instid1(VALU_DEP_3)
	v_cmp_gt_i32_e64 s4, 0, v30
	v_add_co_u32 v6, s3, v8, -1
	s_delay_alu instid0(VALU_DEP_1) | instskip(NEXT) | instid1(VALU_DEP_4)
	v_cndmask_b32_e64 v8, 0, 1, s3
	v_cmp_gt_i32_e64 s3, 0, v29
	s_delay_alu instid0(VALU_DEP_2) | instskip(SKIP_2) | instid1(VALU_DEP_2)
	v_cmp_ne_u32_e32 vcc_lo, 0, v8
	v_not_b32_e32 v8, v29
	v_not_b32_e32 v29, v30
	v_dual_ashrrev_i32 v8, 31, v8 :: v_dual_bitop2_b32 v6, vcc_lo, v6 bitop3:0x14
	v_dual_lshlrev_b32 v31, 28, v9 :: v_dual_lshlrev_b32 v32, 27, v9
	v_dual_lshlrev_b32 v33, 26, v9 :: v_dual_lshlrev_b32 v34, 25, v9
	v_lshlrev_b32_e32 v35, 24, v9
	s_delay_alu instid0(VALU_DEP_3)
	v_not_b32_e32 v30, v31
	v_cmp_gt_i32_e64 s5, 0, v31
	v_cmp_gt_i32_e64 s6, 0, v32
	v_not_b32_e32 v31, v32
	v_not_b32_e32 v32, v33
	v_dual_ashrrev_i32 v29, 31, v29 :: v_dual_ashrrev_i32 v30, 31, v30
	s_delay_alu instid0(VALU_DEP_3)
	v_dual_ashrrev_i32 v31, 31, v31 :: v_dual_bitop2_b32 v8, s3, v8 bitop3:0x14
	v_cmp_gt_i32_e64 s7, 0, v33
	v_cmp_gt_i32_e64 s8, 0, v34
	v_not_b32_e32 v33, v34
	v_not_b32_e32 v34, v35
	v_dual_ashrrev_i32 v32, 31, v32 :: v_dual_bitop2_b32 v29, s4, v29 bitop3:0x14
	v_xor_b32_e32 v30, s5, v30
	v_bitop3_b32 v6, v6, v8, exec_lo bitop3:0x80
	v_cmp_gt_i32_e64 s9, 0, v35
	v_dual_ashrrev_i32 v8, 31, v33 :: v_dual_ashrrev_i32 v33, 31, v34
	v_xor_b32_e32 v31, s6, v31
	v_xor_b32_e32 v32, s7, v32
	v_bitop3_b32 v6, v6, v30, v29 bitop3:0x80
	v_mad_u32_u24 v29, 0x44, v9, v7
	v_xor_b32_e32 v8, s8, v8
	v_xor_b32_e32 v30, s9, v33
	s_delay_alu instid0(VALU_DEP_4) | instskip(SKIP_3) | instid1(VALU_DEP_2)
	v_bitop3_b32 v6, v6, v32, v31 bitop3:0x80
	ds_load_b32 v29, v29 offset:64
	; wave barrier
	v_bitop3_b32 v6, v6, v30, v8 bitop3:0x80
	v_mul_u32_u24_e32 v8, 0x44, v9
	v_mbcnt_lo_u32_b32 v31, v6, 0
	v_cmp_ne_u32_e64 s3, 0, v6
	s_delay_alu instid0(VALU_DEP_3) | instskip(NEXT) | instid1(VALU_DEP_3)
	v_add_nc_u32_e32 v32, v7, v8
	v_cmp_eq_u32_e32 vcc_lo, 0, v31
	s_and_b32 s4, s3, vcc_lo
	s_delay_alu instid0(SALU_CYCLE_1)
	s_and_saveexec_b32 s3, s4
	s_cbranch_execz .LBB2386_39
; %bb.38:
	s_wait_dscnt 0x0
	v_bcnt_u32_b32 v6, v6, v29
	ds_store_b32 v32, v6 offset:64
.LBB2386_39:
	s_or_b32 exec_lo, exec_lo, s3
	v_lshrrev_b32_e32 v2, 16, v2
	; wave barrier
	s_delay_alu instid0(VALU_DEP_1) | instskip(NEXT) | instid1(VALU_DEP_1)
	v_xor_b32_e32 v30, -1, v2
	v_and_b32_e32 v2, 0xffff, v30
	s_delay_alu instid0(VALU_DEP_1) | instskip(NEXT) | instid1(VALU_DEP_1)
	v_lshrrev_b32_e32 v2, s20, v2
	v_bitop3_b32 v6, v2, 1, s29 bitop3:0x80
	v_and_b32_e32 v8, s29, v2
	s_delay_alu instid0(VALU_DEP_2) | instskip(NEXT) | instid1(VALU_DEP_1)
	v_add_co_u32 v2, s3, v6, -1
	v_cndmask_b32_e64 v6, 0, 1, s3
	s_delay_alu instid0(VALU_DEP_3) | instskip(NEXT) | instid1(VALU_DEP_2)
	v_dual_lshlrev_b32 v9, 30, v8 :: v_dual_lshlrev_b32 v33, 29, v8
	v_cmp_ne_u32_e32 vcc_lo, 0, v6
	s_delay_alu instid0(VALU_DEP_2) | instskip(SKIP_1) | instid1(VALU_DEP_4)
	v_cmp_gt_i32_e64 s3, 0, v9
	v_not_b32_e32 v6, v9
	v_not_b32_e32 v9, v33
	s_delay_alu instid0(VALU_DEP_1) | instskip(SKIP_3) | instid1(VALU_DEP_4)
	v_dual_ashrrev_i32 v9, 31, v9 :: v_dual_lshlrev_b32 v34, 28, v8
	v_dual_lshlrev_b32 v35, 27, v8 :: v_dual_lshlrev_b32 v36, 26, v8
	v_dual_lshlrev_b32 v37, 25, v8 :: v_dual_lshlrev_b32 v38, 24, v8
	v_cmp_gt_i32_e64 s4, 0, v33
	v_not_b32_e32 v33, v34
	v_ashrrev_i32_e32 v6, 31, v6
	v_cmp_gt_i32_e64 s5, 0, v34
	v_cmp_gt_i32_e64 s6, 0, v35
	v_not_b32_e32 v34, v35
	v_cmp_gt_i32_e64 s7, 0, v36
	v_not_b32_e32 v35, v36
	;; [unrolled: 2-line block ×3, first 2 shown]
	v_not_b32_e32 v37, v38
	s_delay_alu instid0(VALU_DEP_4) | instskip(SKIP_3) | instid1(VALU_DEP_3)
	v_dual_ashrrev_i32 v35, 31, v35 :: v_dual_bitop2_b32 v2, vcc_lo, v2 bitop3:0x14
	v_dual_ashrrev_i32 v33, 31, v33 :: v_dual_bitop2_b32 v6, s3, v6 bitop3:0x14
	v_dual_ashrrev_i32 v34, 31, v34 :: v_dual_bitop2_b32 v9, s4, v9 bitop3:0x14
	v_cmp_gt_i32_e64 s9, 0, v38
	v_xor_b32_e32 v33, s5, v33
	s_delay_alu instid0(VALU_DEP_4) | instskip(SKIP_3) | instid1(VALU_DEP_4)
	v_bitop3_b32 v2, v2, v6, exec_lo bitop3:0x80
	v_dual_ashrrev_i32 v6, 31, v36 :: v_dual_ashrrev_i32 v36, 31, v37
	v_xor_b32_e32 v34, s6, v34
	v_xor_b32_e32 v35, s7, v35
	v_bitop3_b32 v2, v2, v33, v9 bitop3:0x80
	v_mad_u32_u24 v9, 0x44, v8, v7
	v_xor_b32_e32 v6, s8, v6
	v_xor_b32_e32 v36, s9, v36
	s_delay_alu instid0(VALU_DEP_4) | instskip(SKIP_3) | instid1(VALU_DEP_2)
	v_bitop3_b32 v2, v2, v35, v34 bitop3:0x80
	ds_load_b32 v33, v9 offset:64
	; wave barrier
	v_bitop3_b32 v2, v2, v36, v6 bitop3:0x80
	v_mul_u32_u24_e32 v6, 0x44, v8
	v_mbcnt_lo_u32_b32 v34, v2, 0
	v_cmp_ne_u32_e64 s3, 0, v2
	s_delay_alu instid0(VALU_DEP_3) | instskip(NEXT) | instid1(VALU_DEP_3)
	v_add_nc_u32_e32 v37, v7, v6
	v_cmp_eq_u32_e32 vcc_lo, 0, v34
	s_and_b32 s4, s3, vcc_lo
	s_delay_alu instid0(SALU_CYCLE_1)
	s_and_saveexec_b32 s3, s4
	s_cbranch_execz .LBB2386_41
; %bb.40:
	s_wait_dscnt 0x0
	v_bcnt_u32_b32 v2, v2, v33
	ds_store_b32 v37, v2 offset:64
.LBB2386_41:
	s_or_b32 exec_lo, exec_lo, s3
	v_xor_b32_e32 v35, -1, v3
	; wave barrier
	s_delay_alu instid0(VALU_DEP_1) | instskip(NEXT) | instid1(VALU_DEP_1)
	v_and_b32_e32 v2, 0xffff, v35
	v_lshrrev_b32_e32 v2, s20, v2
	s_delay_alu instid0(VALU_DEP_1) | instskip(SKIP_1) | instid1(VALU_DEP_2)
	v_bitop3_b32 v6, v2, 1, s29 bitop3:0x80
	v_and_b32_e32 v8, s29, v2
	v_add_co_u32 v2, s3, v6, -1
	s_delay_alu instid0(VALU_DEP_1) | instskip(NEXT) | instid1(VALU_DEP_3)
	v_cndmask_b32_e64 v6, 0, 1, s3
	v_dual_lshlrev_b32 v9, 30, v8 :: v_dual_lshlrev_b32 v36, 29, v8
	s_delay_alu instid0(VALU_DEP_2) | instskip(NEXT) | instid1(VALU_DEP_2)
	v_cmp_ne_u32_e32 vcc_lo, 0, v6
	v_cmp_gt_i32_e64 s3, 0, v9
	v_not_b32_e32 v6, v9
	s_delay_alu instid0(VALU_DEP_4) | instskip(SKIP_1) | instid1(VALU_DEP_2)
	v_not_b32_e32 v9, v36
	v_cmp_gt_i32_e64 s4, 0, v36
	v_dual_ashrrev_i32 v6, 31, v6 :: v_dual_ashrrev_i32 v9, 31, v9
	v_dual_lshlrev_b32 v38, 28, v8 :: v_dual_lshlrev_b32 v39, 27, v8
	v_dual_lshlrev_b32 v40, 26, v8 :: v_dual_lshlrev_b32 v41, 25, v8
	v_lshlrev_b32_e32 v42, 24, v8
	s_delay_alu instid0(VALU_DEP_3)
	v_not_b32_e32 v36, v38
	v_cmp_gt_i32_e64 s5, 0, v38
	v_cmp_gt_i32_e64 s6, 0, v39
	v_not_b32_e32 v38, v39
	v_not_b32_e32 v39, v40
	v_dual_ashrrev_i32 v36, 31, v36 :: v_dual_bitop2_b32 v2, vcc_lo, v2 bitop3:0x14
	v_xor_b32_e32 v6, s3, v6
	v_cmp_gt_i32_e64 s7, 0, v40
	v_cmp_gt_i32_e64 s8, 0, v41
	v_not_b32_e32 v40, v41
	v_not_b32_e32 v41, v42
	v_dual_ashrrev_i32 v38, 31, v38 :: v_dual_bitop2_b32 v9, s4, v9 bitop3:0x14
	v_dual_ashrrev_i32 v39, 31, v39 :: v_dual_bitop2_b32 v36, s5, v36 bitop3:0x14
	v_bitop3_b32 v2, v2, v6, exec_lo bitop3:0x80
	v_cmp_gt_i32_e64 s9, 0, v42
	s_delay_alu instid0(VALU_DEP_4) | instskip(NEXT) | instid1(VALU_DEP_4)
	v_dual_ashrrev_i32 v6, 31, v40 :: v_dual_bitop2_b32 v38, s6, v38 bitop3:0x14
	v_dual_ashrrev_i32 v40, 31, v41 :: v_dual_bitop2_b32 v39, s7, v39 bitop3:0x14
	s_delay_alu instid0(VALU_DEP_4) | instskip(SKIP_1) | instid1(VALU_DEP_4)
	v_bitop3_b32 v2, v2, v36, v9 bitop3:0x80
	v_mad_u32_u24 v9, 0x44, v8, v7
	v_xor_b32_e32 v6, s8, v6
	s_delay_alu instid0(VALU_DEP_4) | instskip(NEXT) | instid1(VALU_DEP_4)
	v_xor_b32_e32 v36, s9, v40
	v_bitop3_b32 v2, v2, v39, v38 bitop3:0x80
	ds_load_b32 v38, v9 offset:64
	; wave barrier
	v_bitop3_b32 v2, v2, v36, v6 bitop3:0x80
	v_mul_u32_u24_e32 v6, 0x44, v8
	s_delay_alu instid0(VALU_DEP_2) | instskip(SKIP_1) | instid1(VALU_DEP_3)
	v_mbcnt_lo_u32_b32 v39, v2, 0
	v_cmp_ne_u32_e64 s3, 0, v2
	v_add_nc_u32_e32 v42, v7, v6
	s_delay_alu instid0(VALU_DEP_3) | instskip(SKIP_1) | instid1(SALU_CYCLE_1)
	v_cmp_eq_u32_e32 vcc_lo, 0, v39
	s_and_b32 s4, s3, vcc_lo
	s_and_saveexec_b32 s3, s4
	s_cbranch_execz .LBB2386_43
; %bb.42:
	s_wait_dscnt 0x0
	v_bcnt_u32_b32 v2, v2, v38
	ds_store_b32 v42, v2 offset:64
.LBB2386_43:
	s_or_b32 exec_lo, exec_lo, s3
	v_lshrrev_b32_e32 v2, 16, v3
	; wave barrier
	s_delay_alu instid0(VALU_DEP_1) | instskip(NEXT) | instid1(VALU_DEP_1)
	v_xor_b32_e32 v36, -1, v2
	v_and_b32_e32 v2, 0xffff, v36
	s_delay_alu instid0(VALU_DEP_1) | instskip(NEXT) | instid1(VALU_DEP_1)
	v_lshrrev_b32_e32 v2, s20, v2
	v_bitop3_b32 v3, v2, 1, s29 bitop3:0x80
	v_and_b32_e32 v6, s29, v2
	s_delay_alu instid0(VALU_DEP_2) | instskip(NEXT) | instid1(VALU_DEP_1)
	v_add_co_u32 v2, s3, v3, -1
	v_cndmask_b32_e64 v3, 0, 1, s3
	s_delay_alu instid0(VALU_DEP_3) | instskip(NEXT) | instid1(VALU_DEP_2)
	v_lshlrev_b32_e32 v8, 30, v6
	v_cmp_ne_u32_e32 vcc_lo, 0, v3
	s_delay_alu instid0(VALU_DEP_2) | instskip(SKIP_1) | instid1(VALU_DEP_2)
	v_not_b32_e32 v3, v8
	v_cmp_gt_i32_e64 s3, 0, v8
	v_dual_ashrrev_i32 v3, 31, v3 :: v_dual_lshlrev_b32 v9, 29, v6
	v_dual_lshlrev_b32 v40, 28, v6 :: v_dual_lshlrev_b32 v41, 27, v6
	v_dual_lshlrev_b32 v43, 26, v6 :: v_dual_lshlrev_b32 v44, 25, v6
	v_lshlrev_b32_e32 v45, 24, v6
	s_delay_alu instid0(VALU_DEP_4)
	v_cmp_gt_i32_e64 s4, 0, v9
	v_not_b32_e32 v8, v9
	v_not_b32_e32 v9, v40
	v_cmp_gt_i32_e64 s5, 0, v40
	v_cmp_gt_i32_e64 s6, 0, v41
	v_not_b32_e32 v40, v41
	v_not_b32_e32 v41, v43
	v_dual_ashrrev_i32 v8, 31, v8 :: v_dual_bitop2_b32 v2, vcc_lo, v2 bitop3:0x14
	v_dual_ashrrev_i32 v9, 31, v9 :: v_dual_bitop2_b32 v3, s3, v3 bitop3:0x14
	v_cmp_gt_i32_e64 s7, 0, v43
	v_cmp_gt_i32_e64 s8, 0, v44
	v_not_b32_e32 v43, v44
	v_not_b32_e32 v44, v45
	v_dual_ashrrev_i32 v40, 31, v40 :: v_dual_ashrrev_i32 v41, 31, v41
	v_xor_b32_e32 v8, s4, v8
	v_xor_b32_e32 v9, s5, v9
	v_bitop3_b32 v2, v2, v3, exec_lo bitop3:0x80
	v_cmp_gt_i32_e64 s9, 0, v45
	v_dual_ashrrev_i32 v3, 31, v43 :: v_dual_ashrrev_i32 v43, 31, v44
	v_xor_b32_e32 v40, s6, v40
	v_xor_b32_e32 v41, s7, v41
	v_bitop3_b32 v2, v2, v9, v8 bitop3:0x80
	v_mad_u32_u24 v8, 0x44, v6, v7
	v_xor_b32_e32 v3, s8, v3
	v_xor_b32_e32 v9, s9, v43
	s_delay_alu instid0(VALU_DEP_4) | instskip(SKIP_3) | instid1(VALU_DEP_2)
	v_bitop3_b32 v2, v2, v41, v40 bitop3:0x80
	ds_load_b32 v41, v8 offset:64
	; wave barrier
	v_bitop3_b32 v2, v2, v9, v3 bitop3:0x80
	v_mul_u32_u24_e32 v3, 0x44, v6
	v_mbcnt_lo_u32_b32 v43, v2, 0
	v_cmp_ne_u32_e64 s3, 0, v2
	s_delay_alu instid0(VALU_DEP_3) | instskip(NEXT) | instid1(VALU_DEP_3)
	v_add_nc_u32_e32 v47, v7, v3
	v_cmp_eq_u32_e32 vcc_lo, 0, v43
	s_and_b32 s4, s3, vcc_lo
	s_delay_alu instid0(SALU_CYCLE_1)
	s_and_saveexec_b32 s3, s4
	s_cbranch_execz .LBB2386_45
; %bb.44:
	s_wait_dscnt 0x0
	v_bcnt_u32_b32 v2, v2, v41
	ds_store_b32 v47, v2 offset:64
.LBB2386_45:
	s_or_b32 exec_lo, exec_lo, s3
	v_xor_b32_e32 v40, -1, v4
	; wave barrier
	s_delay_alu instid0(VALU_DEP_1) | instskip(NEXT) | instid1(VALU_DEP_1)
	v_and_b32_e32 v2, 0xffff, v40
	v_lshrrev_b32_e32 v2, s20, v2
	s_delay_alu instid0(VALU_DEP_1) | instskip(SKIP_1) | instid1(VALU_DEP_2)
	v_bitop3_b32 v3, v2, 1, s29 bitop3:0x80
	v_and_b32_e32 v6, s29, v2
	v_add_co_u32 v2, s3, v3, -1
	s_delay_alu instid0(VALU_DEP_1) | instskip(NEXT) | instid1(VALU_DEP_3)
	v_cndmask_b32_e64 v3, 0, 1, s3
	v_lshlrev_b32_e32 v8, 30, v6
	s_delay_alu instid0(VALU_DEP_2) | instskip(NEXT) | instid1(VALU_DEP_2)
	v_cmp_ne_u32_e32 vcc_lo, 0, v3
	v_not_b32_e32 v3, v8
	s_delay_alu instid0(VALU_DEP_1) | instskip(SKIP_3) | instid1(VALU_DEP_4)
	v_dual_ashrrev_i32 v3, 31, v3 :: v_dual_lshlrev_b32 v9, 29, v6
	v_dual_lshlrev_b32 v44, 28, v6 :: v_dual_lshlrev_b32 v45, 27, v6
	v_dual_lshlrev_b32 v46, 26, v6 :: v_dual_lshlrev_b32 v48, 25, v6
	v_cmp_gt_i32_e64 s3, 0, v8
	v_cmp_gt_i32_e64 s4, 0, v9
	v_not_b32_e32 v8, v9
	v_not_b32_e32 v9, v44
	v_lshlrev_b32_e32 v49, 24, v6
	v_cmp_gt_i32_e64 s5, 0, v44
	v_cmp_gt_i32_e64 s6, 0, v45
	v_not_b32_e32 v44, v45
	v_not_b32_e32 v45, v46
	v_dual_ashrrev_i32 v9, 31, v9 :: v_dual_bitop2_b32 v2, vcc_lo, v2 bitop3:0x14
	v_dual_ashrrev_i32 v8, 31, v8 :: v_dual_bitop2_b32 v3, s3, v3 bitop3:0x14
	s_delay_alu instid0(VALU_DEP_4)
	v_ashrrev_i32_e32 v44, 31, v44
	v_cmp_gt_i32_e64 s7, 0, v46
	v_cmp_gt_i32_e64 s8, 0, v48
	v_not_b32_e32 v46, v48
	v_not_b32_e32 v48, v49
	v_dual_ashrrev_i32 v45, 31, v45 :: v_dual_bitop2_b32 v8, s4, v8 bitop3:0x14
	v_xor_b32_e32 v9, s5, v9
	v_bitop3_b32 v2, v2, v3, exec_lo bitop3:0x80
	v_cmp_gt_i32_e64 s9, 0, v49
	v_dual_ashrrev_i32 v3, 31, v46 :: v_dual_ashrrev_i32 v46, 31, v48
	v_xor_b32_e32 v45, s7, v45
	v_xor_b32_e32 v44, s6, v44
	v_bitop3_b32 v2, v2, v9, v8 bitop3:0x80
	v_mad_u32_u24 v8, 0x44, v6, v7
	v_xor_b32_e32 v3, s8, v3
	v_xor_b32_e32 v9, s9, v46
	s_delay_alu instid0(VALU_DEP_4) | instskip(SKIP_3) | instid1(VALU_DEP_2)
	v_bitop3_b32 v2, v2, v45, v44 bitop3:0x80
	ds_load_b32 v44, v8 offset:64
	; wave barrier
	v_bitop3_b32 v2, v2, v9, v3 bitop3:0x80
	v_mul_u32_u24_e32 v3, 0x44, v6
	v_mbcnt_lo_u32_b32 v46, v2, 0
	v_cmp_ne_u32_e64 s3, 0, v2
	s_delay_alu instid0(VALU_DEP_3) | instskip(NEXT) | instid1(VALU_DEP_3)
	v_add_nc_u32_e32 v51, v7, v3
	v_cmp_eq_u32_e32 vcc_lo, 0, v46
	s_and_b32 s4, s3, vcc_lo
	s_delay_alu instid0(SALU_CYCLE_1)
	s_and_saveexec_b32 s3, s4
	s_cbranch_execz .LBB2386_47
; %bb.46:
	s_wait_dscnt 0x0
	v_bcnt_u32_b32 v2, v2, v44
	ds_store_b32 v51, v2 offset:64
.LBB2386_47:
	s_or_b32 exec_lo, exec_lo, s3
	v_lshrrev_b32_e32 v2, 16, v4
	; wave barrier
	s_delay_alu instid0(VALU_DEP_1) | instskip(NEXT) | instid1(VALU_DEP_1)
	v_xor_b32_e32 v45, -1, v2
	v_and_b32_e32 v2, 0xffff, v45
	s_delay_alu instid0(VALU_DEP_1) | instskip(NEXT) | instid1(VALU_DEP_1)
	v_lshrrev_b32_e32 v2, s20, v2
	v_bitop3_b32 v3, v2, 1, s29 bitop3:0x80
	v_and_b32_e32 v4, s29, v2
	s_delay_alu instid0(VALU_DEP_2) | instskip(NEXT) | instid1(VALU_DEP_1)
	v_add_co_u32 v2, s3, v3, -1
	v_cndmask_b32_e64 v3, 0, 1, s3
	s_delay_alu instid0(VALU_DEP_3) | instskip(NEXT) | instid1(VALU_DEP_2)
	v_lshlrev_b32_e32 v6, 30, v4
	v_cmp_ne_u32_e32 vcc_lo, 0, v3
	s_delay_alu instid0(VALU_DEP_2) | instskip(SKIP_1) | instid1(VALU_DEP_2)
	v_not_b32_e32 v3, v6
	v_cmp_gt_i32_e64 s3, 0, v6
	v_dual_ashrrev_i32 v3, 31, v3 :: v_dual_lshlrev_b32 v8, 29, v4
	v_dual_lshlrev_b32 v9, 28, v4 :: v_dual_lshlrev_b32 v48, 27, v4
	v_dual_lshlrev_b32 v49, 26, v4 :: v_dual_lshlrev_b32 v50, 25, v4
	v_lshlrev_b32_e32 v52, 24, v4
	s_delay_alu instid0(VALU_DEP_4)
	v_cmp_gt_i32_e64 s4, 0, v8
	v_not_b32_e32 v6, v8
	v_not_b32_e32 v8, v9
	v_cmp_gt_i32_e64 s5, 0, v9
	v_cmp_gt_i32_e64 s6, 0, v48
	v_not_b32_e32 v9, v48
	v_not_b32_e32 v48, v49
	v_dual_ashrrev_i32 v8, 31, v8 :: v_dual_bitop2_b32 v2, vcc_lo, v2 bitop3:0x14
	v_dual_ashrrev_i32 v6, 31, v6 :: v_dual_bitop2_b32 v3, s3, v3 bitop3:0x14
	v_cmp_gt_i32_e64 s7, 0, v49
	v_cmp_gt_i32_e64 s8, 0, v50
	v_not_b32_e32 v49, v50
	v_not_b32_e32 v50, v52
	v_dual_ashrrev_i32 v9, 31, v9 :: v_dual_ashrrev_i32 v48, 31, v48
	v_xor_b32_e32 v6, s4, v6
	v_xor_b32_e32 v8, s5, v8
	v_bitop3_b32 v2, v2, v3, exec_lo bitop3:0x80
	v_cmp_gt_i32_e64 s9, 0, v52
	v_dual_ashrrev_i32 v3, 31, v49 :: v_dual_ashrrev_i32 v49, 31, v50
	v_xor_b32_e32 v9, s6, v9
	v_xor_b32_e32 v48, s7, v48
	v_bitop3_b32 v2, v2, v8, v6 bitop3:0x80
	v_mad_u32_u24 v6, 0x44, v4, v7
	v_xor_b32_e32 v3, s8, v3
	v_xor_b32_e32 v8, s9, v49
	s_delay_alu instid0(VALU_DEP_4) | instskip(SKIP_3) | instid1(VALU_DEP_2)
	v_bitop3_b32 v2, v2, v48, v9 bitop3:0x80
	ds_load_b32 v48, v6 offset:64
	; wave barrier
	v_bitop3_b32 v2, v2, v8, v3 bitop3:0x80
	v_mul_u32_u24_e32 v3, 0x44, v4
	v_mbcnt_lo_u32_b32 v50, v2, 0
	v_cmp_ne_u32_e64 s3, 0, v2
	s_delay_alu instid0(VALU_DEP_3) | instskip(NEXT) | instid1(VALU_DEP_3)
	v_add_nc_u32_e32 v55, v7, v3
	v_cmp_eq_u32_e32 vcc_lo, 0, v50
	s_and_b32 s4, s3, vcc_lo
	s_delay_alu instid0(SALU_CYCLE_1)
	s_and_saveexec_b32 s3, s4
	s_cbranch_execz .LBB2386_49
; %bb.48:
	s_wait_dscnt 0x0
	v_bcnt_u32_b32 v2, v2, v48
	ds_store_b32 v55, v2 offset:64
.LBB2386_49:
	s_or_b32 exec_lo, exec_lo, s3
	v_xor_b32_e32 v49, -1, v5
	; wave barrier
	s_delay_alu instid0(VALU_DEP_1) | instskip(NEXT) | instid1(VALU_DEP_1)
	v_and_b32_e32 v2, 0xffff, v49
	v_lshrrev_b32_e32 v2, s20, v2
	s_delay_alu instid0(VALU_DEP_1) | instskip(SKIP_1) | instid1(VALU_DEP_2)
	v_bitop3_b32 v3, v2, 1, s29 bitop3:0x80
	v_and_b32_e32 v4, s29, v2
	v_add_co_u32 v2, s3, v3, -1
	s_delay_alu instid0(VALU_DEP_1) | instskip(NEXT) | instid1(VALU_DEP_3)
	v_cndmask_b32_e64 v3, 0, 1, s3
	v_lshlrev_b32_e32 v6, 30, v4
	s_delay_alu instid0(VALU_DEP_2) | instskip(NEXT) | instid1(VALU_DEP_2)
	v_cmp_ne_u32_e32 vcc_lo, 0, v3
	v_not_b32_e32 v3, v6
	s_delay_alu instid0(VALU_DEP_1) | instskip(SKIP_4) | instid1(VALU_DEP_4)
	v_dual_ashrrev_i32 v3, 31, v3 :: v_dual_bitop2_b32 v2, vcc_lo, v2 bitop3:0x14
	v_dual_lshlrev_b32 v8, 29, v4 :: v_dual_lshlrev_b32 v9, 28, v4
	v_dual_lshlrev_b32 v52, 27, v4 :: v_dual_lshlrev_b32 v53, 26, v4
	v_lshlrev_b32_e32 v54, 25, v4
	v_cmp_gt_i32_e64 s3, 0, v6
	v_cmp_gt_i32_e64 s4, 0, v8
	v_not_b32_e32 v6, v8
	v_not_b32_e32 v8, v9
	v_lshlrev_b32_e32 v56, 24, v4
	v_cmp_gt_i32_e64 s5, 0, v9
	v_cmp_gt_i32_e64 s6, 0, v52
	v_not_b32_e32 v9, v52
	v_not_b32_e32 v52, v53
	v_dual_ashrrev_i32 v6, 31, v6 :: v_dual_ashrrev_i32 v8, 31, v8
	s_delay_alu instid0(VALU_DEP_3)
	v_dual_ashrrev_i32 v9, 31, v9 :: v_dual_bitop2_b32 v3, s3, v3 bitop3:0x14
	v_cmp_gt_i32_e64 s7, 0, v53
	v_cmp_gt_i32_e64 s8, 0, v54
	v_not_b32_e32 v53, v54
	v_not_b32_e32 v54, v56
	v_dual_ashrrev_i32 v52, 31, v52 :: v_dual_bitop2_b32 v6, s4, v6 bitop3:0x14
	v_xor_b32_e32 v8, s5, v8
	v_bitop3_b32 v2, v2, v3, exec_lo bitop3:0x80
	v_cmp_gt_i32_e64 s9, 0, v56
	v_dual_ashrrev_i32 v3, 31, v53 :: v_dual_ashrrev_i32 v53, 31, v54
	v_xor_b32_e32 v9, s6, v9
	v_xor_b32_e32 v52, s7, v52
	v_bitop3_b32 v2, v2, v8, v6 bitop3:0x80
	v_mad_u32_u24 v6, 0x44, v4, v7
	v_xor_b32_e32 v3, s8, v3
	v_xor_b32_e32 v8, s9, v53
	s_delay_alu instid0(VALU_DEP_4) | instskip(SKIP_3) | instid1(VALU_DEP_2)
	v_bitop3_b32 v2, v2, v52, v9 bitop3:0x80
	ds_load_b32 v52, v6 offset:64
	; wave barrier
	v_bitop3_b32 v2, v2, v8, v3 bitop3:0x80
	v_mul_u32_u24_e32 v3, 0x44, v4
	v_mbcnt_lo_u32_b32 v53, v2, 0
	v_cmp_ne_u32_e64 s3, 0, v2
	s_delay_alu instid0(VALU_DEP_3) | instskip(NEXT) | instid1(VALU_DEP_3)
	v_add_nc_u32_e32 v58, v7, v3
	v_cmp_eq_u32_e32 vcc_lo, 0, v53
	s_and_b32 s4, s3, vcc_lo
	s_delay_alu instid0(SALU_CYCLE_1)
	s_and_saveexec_b32 s3, s4
	s_cbranch_execz .LBB2386_51
; %bb.50:
	s_wait_dscnt 0x0
	v_bcnt_u32_b32 v2, v2, v52
	ds_store_b32 v58, v2 offset:64
.LBB2386_51:
	s_or_b32 exec_lo, exec_lo, s3
	v_lshrrev_b32_e32 v2, 16, v5
	; wave barrier
	s_delay_alu instid0(VALU_DEP_1) | instskip(NEXT) | instid1(VALU_DEP_1)
	v_xor_b32_e32 v54, -1, v2
	v_and_b32_e32 v2, 0xffff, v54
	s_delay_alu instid0(VALU_DEP_1) | instskip(NEXT) | instid1(VALU_DEP_1)
	v_lshrrev_b32_e32 v2, s20, v2
	v_bitop3_b32 v3, v2, 1, s29 bitop3:0x80
	v_and_b32_e32 v4, s29, v2
	s_delay_alu instid0(VALU_DEP_2) | instskip(NEXT) | instid1(VALU_DEP_1)
	v_add_co_u32 v2, s3, v3, -1
	v_cndmask_b32_e64 v3, 0, 1, s3
	s_delay_alu instid0(VALU_DEP_3) | instskip(NEXT) | instid1(VALU_DEP_2)
	v_lshlrev_b32_e32 v5, 30, v4
	v_cmp_ne_u32_e32 vcc_lo, 0, v3
	s_delay_alu instid0(VALU_DEP_2) | instskip(SKIP_1) | instid1(VALU_DEP_2)
	v_not_b32_e32 v3, v5
	v_cmp_gt_i32_e64 s3, 0, v5
	v_dual_ashrrev_i32 v3, 31, v3 :: v_dual_lshlrev_b32 v6, 29, v4
	v_dual_lshlrev_b32 v8, 28, v4 :: v_dual_lshlrev_b32 v9, 27, v4
	v_dual_lshlrev_b32 v56, 26, v4 :: v_dual_lshlrev_b32 v57, 25, v4
	v_lshlrev_b32_e32 v59, 24, v4
	s_delay_alu instid0(VALU_DEP_4)
	v_cmp_gt_i32_e64 s4, 0, v6
	v_not_b32_e32 v5, v6
	v_not_b32_e32 v6, v8
	v_cmp_gt_i32_e64 s5, 0, v8
	v_cmp_gt_i32_e64 s6, 0, v9
	v_not_b32_e32 v8, v9
	v_not_b32_e32 v9, v56
	v_dual_ashrrev_i32 v5, 31, v5 :: v_dual_bitop2_b32 v2, vcc_lo, v2 bitop3:0x14
	v_dual_ashrrev_i32 v6, 31, v6 :: v_dual_bitop2_b32 v3, s3, v3 bitop3:0x14
	v_cmp_gt_i32_e64 s7, 0, v56
	v_cmp_gt_i32_e64 s8, 0, v57
	v_not_b32_e32 v56, v57
	v_not_b32_e32 v57, v59
	v_dual_ashrrev_i32 v8, 31, v8 :: v_dual_ashrrev_i32 v9, 31, v9
	v_xor_b32_e32 v5, s4, v5
	v_xor_b32_e32 v6, s5, v6
	v_bitop3_b32 v2, v2, v3, exec_lo bitop3:0x80
	v_cmp_gt_i32_e64 s9, 0, v59
	v_dual_ashrrev_i32 v3, 31, v56 :: v_dual_ashrrev_i32 v56, 31, v57
	v_xor_b32_e32 v8, s6, v8
	v_xor_b32_e32 v9, s7, v9
	v_bitop3_b32 v2, v2, v6, v5 bitop3:0x80
	v_mad_u32_u24 v5, 0x44, v4, v7
	v_xor_b32_e32 v3, s8, v3
	v_xor_b32_e32 v6, s9, v56
	s_delay_alu instid0(VALU_DEP_4) | instskip(SKIP_3) | instid1(VALU_DEP_2)
	v_bitop3_b32 v2, v2, v9, v8 bitop3:0x80
	ds_load_b32 v56, v5 offset:64
	; wave barrier
	v_bitop3_b32 v2, v2, v6, v3 bitop3:0x80
	v_mul_u32_u24_e32 v3, 0x44, v4
	v_mbcnt_lo_u32_b32 v57, v2, 0
	v_cmp_ne_u32_e64 s3, 0, v2
	s_delay_alu instid0(VALU_DEP_3) | instskip(NEXT) | instid1(VALU_DEP_3)
	v_add_nc_u32_e32 v59, v7, v3
	v_cmp_eq_u32_e32 vcc_lo, 0, v57
	s_and_b32 s4, s3, vcc_lo
	s_delay_alu instid0(SALU_CYCLE_1)
	s_and_saveexec_b32 s3, s4
	s_cbranch_execz .LBB2386_53
; %bb.52:
	s_wait_dscnt 0x0
	v_bcnt_u32_b32 v2, v2, v56
	ds_store_b32 v59, v2 offset:64
.LBB2386_53:
	s_or_b32 exec_lo, exec_lo, s3
	; wave barrier
	s_wait_dscnt 0x0
	s_barrier_signal -1
	s_barrier_wait -1
	ds_load_2addr_b32 v[8:9], v12 offset0:16 offset1:17
	ds_load_2addr_b32 v[6:7], v12 offset0:18 offset1:19
	ds_load_2addr_b32 v[4:5], v12 offset0:20 offset1:21
	ds_load_2addr_b32 v[2:3], v12 offset0:22 offset1:23
	ds_load_b32 v60, v12 offset:96
	s_mov_b32 s7, exec_lo
	s_wait_dscnt 0x3
	v_add3_u32 v61, v9, v8, v6
	s_wait_dscnt 0x2
	s_delay_alu instid0(VALU_DEP_1) | instskip(SKIP_1) | instid1(VALU_DEP_1)
	v_add3_u32 v61, v61, v7, v4
	s_wait_dscnt 0x1
	v_add3_u32 v61, v61, v5, v2
	s_wait_dscnt 0x0
	s_delay_alu instid0(VALU_DEP_1) | instskip(SKIP_1) | instid1(VALU_DEP_2)
	v_add3_u32 v60, v61, v3, v60
	v_and_b32_e32 v61, 15, v15
	v_mov_b32_dpp v62, v60 row_shr:1 row_mask:0xf bank_mask:0xf
	s_delay_alu instid0(VALU_DEP_2) | instskip(NEXT) | instid1(VALU_DEP_2)
	v_cmp_eq_u32_e32 vcc_lo, 0, v61
	v_cndmask_b32_e64 v62, v62, 0, vcc_lo
	s_delay_alu instid0(VALU_DEP_1) | instskip(SKIP_3) | instid1(VALU_DEP_4)
	v_add_nc_u32_e32 v60, v62, v60
	v_cmp_lt_u32_e64 s3, 1, v61
	v_cmp_lt_u32_e64 s4, 3, v61
	;; [unrolled: 1-line block ×3, first 2 shown]
	v_mov_b32_dpp v62, v60 row_shr:2 row_mask:0xf bank_mask:0xf
	s_delay_alu instid0(VALU_DEP_1) | instskip(NEXT) | instid1(VALU_DEP_1)
	v_cndmask_b32_e64 v62, 0, v62, s3
	v_add_nc_u32_e32 v60, v60, v62
	s_delay_alu instid0(VALU_DEP_1) | instskip(NEXT) | instid1(VALU_DEP_1)
	v_mov_b32_dpp v62, v60 row_shr:4 row_mask:0xf bank_mask:0xf
	v_cndmask_b32_e64 v62, 0, v62, s4
	s_delay_alu instid0(VALU_DEP_1) | instskip(NEXT) | instid1(VALU_DEP_1)
	v_add_nc_u32_e32 v60, v60, v62
	v_mov_b32_dpp v62, v60 row_shr:8 row_mask:0xf bank_mask:0xf
	s_delay_alu instid0(VALU_DEP_1) | instskip(SKIP_1) | instid1(VALU_DEP_2)
	v_cndmask_b32_e64 v61, 0, v62, s5
	v_bfe_i32 v62, v15, 4, 1
	v_add_nc_u32_e32 v60, v60, v61
	ds_swizzle_b32 v61, v60 offset:swizzle(BROADCAST,32,15)
	s_wait_dscnt 0x0
	v_and_b32_e32 v61, v62, v61
	v_min_u32_e32 v62, 0x1e0, v16
	s_delay_alu instid0(VALU_DEP_2) | instskip(NEXT) | instid1(VALU_DEP_2)
	v_dual_add_nc_u32 v60, v60, v61 :: v_dual_lshrrev_b32 v61, 5, v14
	v_or_b32_e32 v62, 31, v62
	s_delay_alu instid0(VALU_DEP_1)
	v_cmpx_eq_u32_e64 v14, v62
; %bb.54:
	s_delay_alu instid0(VALU_DEP_3)
	v_lshlrev_b32_e32 v62, 2, v61
	ds_store_b32 v62, v60
; %bb.55:
	s_or_b32 exec_lo, exec_lo, s7
	s_delay_alu instid0(SALU_CYCLE_1)
	s_mov_b32 s7, exec_lo
	s_wait_dscnt 0x0
	s_barrier_signal -1
	s_barrier_wait -1
	v_cmpx_gt_u32_e32 16, v14
	s_cbranch_execz .LBB2386_57
; %bb.56:
	v_lshlrev_b32_e32 v62, 2, v14
	ds_load_b32 v63, v62
	s_wait_dscnt 0x0
	v_mov_b32_dpp v64, v63 row_shr:1 row_mask:0xf bank_mask:0xf
	s_delay_alu instid0(VALU_DEP_1) | instskip(NEXT) | instid1(VALU_DEP_1)
	v_cndmask_b32_e64 v64, v64, 0, vcc_lo
	v_add_nc_u32_e32 v63, v64, v63
	s_delay_alu instid0(VALU_DEP_1) | instskip(NEXT) | instid1(VALU_DEP_1)
	v_mov_b32_dpp v64, v63 row_shr:2 row_mask:0xf bank_mask:0xf
	v_cndmask_b32_e64 v64, 0, v64, s3
	s_delay_alu instid0(VALU_DEP_1) | instskip(NEXT) | instid1(VALU_DEP_1)
	v_add_nc_u32_e32 v63, v63, v64
	v_mov_b32_dpp v64, v63 row_shr:4 row_mask:0xf bank_mask:0xf
	s_delay_alu instid0(VALU_DEP_1) | instskip(NEXT) | instid1(VALU_DEP_1)
	v_cndmask_b32_e64 v64, 0, v64, s4
	v_add_nc_u32_e32 v63, v63, v64
	s_delay_alu instid0(VALU_DEP_1) | instskip(NEXT) | instid1(VALU_DEP_1)
	v_mov_b32_dpp v64, v63 row_shr:8 row_mask:0xf bank_mask:0xf
	v_cndmask_b32_e64 v64, 0, v64, s5
	s_delay_alu instid0(VALU_DEP_1)
	v_add_nc_u32_e32 v63, v63, v64
	ds_store_b32 v62, v63
.LBB2386_57:
	s_or_b32 exec_lo, exec_lo, s7
	v_mov_b32_e32 v62, 0
	s_mov_b32 s3, exec_lo
	s_wait_dscnt 0x0
	s_barrier_signal -1
	s_barrier_wait -1
	v_cmpx_lt_u32_e32 31, v14
; %bb.58:
	v_lshl_add_u32 v61, v61, 2, -4
	ds_load_b32 v62, v61
; %bb.59:
	s_or_b32 exec_lo, exec_lo, s3
	v_sub_co_u32 v61, vcc_lo, v15, 1
	s_wait_dscnt 0x0
	v_add_nc_u32_e32 v60, v62, v60
	s_delay_alu instid0(VALU_DEP_2) | instskip(NEXT) | instid1(VALU_DEP_1)
	v_cmp_gt_i32_e64 s3, 0, v61
	v_cndmask_b32_e64 v61, v61, v15, s3
	v_cmp_gt_u32_e64 s3, 0x100, v14
	s_delay_alu instid0(VALU_DEP_2) | instskip(SKIP_4) | instid1(VALU_DEP_2)
	v_lshlrev_b32_e32 v61, 2, v61
	ds_bpermute_b32 v60, v61, v60
	s_wait_dscnt 0x0
	v_cndmask_b32_e32 v60, v60, v62, vcc_lo
	v_cmp_lt_u32_e32 vcc_lo, 0xff, v14
	v_cndmask_b32_e64 v60, v60, 0, s2
	s_delay_alu instid0(VALU_DEP_1) | instskip(NEXT) | instid1(VALU_DEP_1)
	v_add_nc_u32_e32 v8, v60, v8
	v_add_nc_u32_e32 v9, v8, v9
	s_delay_alu instid0(VALU_DEP_1) | instskip(NEXT) | instid1(VALU_DEP_1)
	v_add_nc_u32_e32 v6, v9, v6
	v_add_nc_u32_e32 v7, v6, v7
	;; [unrolled: 3-line block ×4, first 2 shown]
	ds_store_2addr_b32 v12, v60, v8 offset0:16 offset1:17
	ds_store_2addr_b32 v12, v9, v6 offset0:18 offset1:19
	;; [unrolled: 1-line block ×4, first 2 shown]
	ds_store_b32 v12, v3 offset:96
	s_wait_dscnt 0x0
	s_barrier_signal -1
	s_barrier_wait -1
	ds_load_b32 v61, v13 offset:64
	ds_load_b32 v62, v20 offset:64
	;; [unrolled: 1-line block ×12, first 2 shown]
	v_mov_b64_e32 v[2:3], 0
                                        ; implicit-def: $vgpr4
	s_and_saveexec_b32 s5, s3
	s_cbranch_execz .LBB2386_63
; %bb.60:
	v_mul_u32_u24_e32 v2, 0x44, v14
	v_dual_mov_b32 v3, 0x1800 :: v_dual_add_nc_u32 v4, 1, v14
	s_mov_b32 s6, exec_lo
	ds_load_b32 v2, v2 offset:64
	v_cmpx_ne_u32_e32 0x100, v4
; %bb.61:
	v_mul_u32_u24_e32 v3, 0x44, v4
	ds_load_b32 v3, v3 offset:64
; %bb.62:
	s_or_b32 exec_lo, exec_lo, s6
	s_wait_dscnt 0x0
	v_dual_mov_b32 v3, 0 :: v_dual_sub_nc_u32 v4, v3, v2
.LBB2386_63:
	s_or_b32 exec_lo, exec_lo, s5
	v_dual_lshlrev_b32 v10, 1, v10 :: v_dual_lshlrev_b32 v19, 1, v19
	s_wait_dscnt 0xa
	v_lshlrev_b32_e32 v28, 1, v62
	v_dual_lshlrev_b32 v18, 1, v18 :: v_dual_lshlrev_b32 v23, 1, v23
	s_delay_alu instid0(VALU_DEP_3) | instskip(SKIP_2) | instid1(VALU_DEP_3)
	v_lshl_add_u32 v10, v61, 1, v10
	v_lshlrev_b32_e32 v22, 1, v22
	s_wait_dscnt 0x0
	v_add3_u32 v18, v28, v19, v18
	v_lshlrev_b32_e32 v19, 1, v60
	s_barrier_signal -1
	s_barrier_wait -1
	ds_store_b16 v10, v1 offset:2048
	ds_store_b16 v18, v11 offset:2048
	v_lshlrev_b32_e32 v10, 1, v24
	v_add3_u32 v1, v19, v23, v22
	v_dual_lshlrev_b32 v11, 1, v27 :: v_dual_lshlrev_b32 v18, 1, v26
	v_dual_lshlrev_b32 v22, 1, v29 :: v_dual_lshlrev_b32 v23, 1, v34
	;; [unrolled: 1-line block ×6, first 2 shown]
	ds_store_b16 v1, v17 offset:2048
	v_add3_u32 v1, v10, v11, v18
	v_add3_u32 v11, v13, v23, v24
	v_dual_lshlrev_b32 v13, 1, v43 :: v_dual_lshlrev_b32 v17, 1, v41
	v_add3_u32 v10, v19, v20, v22
	v_add3_u32 v12, v12, v26, v27
	ds_store_b16 v1, v21 offset:2048
	ds_store_b16 v10, v25 offset:2048
	ds_store_b16 v11, v30 offset:2048
	ds_store_b16 v12, v35 offset:2048
	v_add3_u32 v1, v9, v13, v17
	v_dual_lshlrev_b32 v8, 1, v8 :: v_dual_lshlrev_b32 v9, 1, v46
	v_dual_lshlrev_b32 v10, 1, v44 :: v_dual_lshlrev_b32 v7, 1, v7
	;; [unrolled: 1-line block ×6, first 2 shown]
	ds_store_b16 v1, v36 offset:2048
	v_add3_u32 v8, v8, v9, v10
	v_add3_u32 v9, v7, v11, v12
	v_dual_mov_b32 v7, 0 :: v_dual_lshlrev_b32 v1, 3, v14
	v_add3_u32 v6, v6, v13, v17
	v_add3_u32 v5, v5, v18, v19
	ds_store_b16 v8, v40 offset:2048
	ds_store_b16 v9, v45 offset:2048
	;; [unrolled: 1-line block ×4, first 2 shown]
	s_and_saveexec_b32 s4, s3
	s_cbranch_execz .LBB2386_73
; %bb.64:
	v_lshl_add_u32 v6, s23, 8, v14
	v_dual_mov_b32 v10, 0 :: v_dual_bitop2_b32 v5, 2.0, v4 bitop3:0x54
	s_mov_b32 s5, 0
	s_mov_b32 s6, s23
	s_delay_alu instid0(VALU_DEP_2)
	v_lshl_add_u64 v[8:9], v[6:7], 2, s[10:11]
	global_store_b32 v6, v5, s[10:11] scale_offset scope:SCOPE_DEV
                                        ; implicit-def: $sgpr3
	s_branch .LBB2386_67
.LBB2386_65:                            ;   in Loop: Header=BB2386_67 Depth=1
	s_or_b32 exec_lo, exec_lo, s8
.LBB2386_66:                            ;   in Loop: Header=BB2386_67 Depth=1
	s_delay_alu instid0(SALU_CYCLE_1) | instskip(SKIP_2) | instid1(VALU_DEP_2)
	s_or_b32 exec_lo, exec_lo, s7
	v_and_b32_e32 v6, 0x3fffffff, v5
	v_cmp_gt_i32_e64 s3, -2.0, v5
	v_add_nc_u32_e32 v10, v6, v10
	s_and_b32 s7, exec_lo, s3
	s_delay_alu instid0(SALU_CYCLE_1) | instskip(NEXT) | instid1(SALU_CYCLE_1)
	s_or_b32 s5, s7, s5
	s_and_not1_b32 exec_lo, exec_lo, s5
	s_cbranch_execz .LBB2386_72
.LBB2386_67:                            ; =>This Loop Header: Depth=1
                                        ;     Child Loop BB2386_70 Depth 2
	s_or_b32 s3, s3, exec_lo
	s_cmp_eq_u32 s6, 0
	s_cbranch_scc1 .LBB2386_71
; %bb.68:                               ;   in Loop: Header=BB2386_67 Depth=1
	s_add_co_i32 s6, s6, -1
	s_mov_b32 s7, exec_lo
	s_wait_xcnt 0x0
	v_lshl_or_b32 v6, s6, 8, v14
	global_load_b32 v5, v6, s[10:11] scale_offset scope:SCOPE_DEV
	s_wait_loadcnt 0x0
	v_cmpx_gt_u32_e32 2.0, v5
	s_cbranch_execz .LBB2386_66
; %bb.69:                               ;   in Loop: Header=BB2386_67 Depth=1
	v_lshl_add_u64 v[12:13], v[6:7], 2, s[10:11]
	s_mov_b32 s8, 0
.LBB2386_70:                            ;   Parent Loop BB2386_67 Depth=1
                                        ; =>  This Inner Loop Header: Depth=2
	global_load_b32 v5, v[12:13], off scope:SCOPE_DEV
	s_wait_loadcnt 0x0
	v_cmp_lt_u32_e64 s3, 0x3fffffff, v5
	s_or_b32 s8, s3, s8
	s_wait_xcnt 0x0
	s_and_not1_b32 exec_lo, exec_lo, s8
	s_cbranch_execnz .LBB2386_70
	s_branch .LBB2386_65
.LBB2386_71:                            ;   in Loop: Header=BB2386_67 Depth=1
                                        ; implicit-def: $sgpr6
	s_and_b32 s7, exec_lo, s3
	s_delay_alu instid0(SALU_CYCLE_1)
	s_or_b32 s5, s7, s5
	s_wait_xcnt 0x0
	s_and_not1_b32 exec_lo, exec_lo, s5
	s_cbranch_execnz .LBB2386_67
.LBB2386_72:
	s_or_b32 exec_lo, exec_lo, s5
	v_dual_add_nc_u32 v5, v10, v4 :: v_dual_mov_b32 v11, 0
	s_delay_alu instid0(VALU_DEP_1)
	v_or_b32_e32 v5, 0x80000000, v5
	global_store_b32 v[8:9], v5, off scope:SCOPE_DEV
	global_load_b64 v[6:7], v14, s[12:13] scale_offset
	s_wait_xcnt 0x1
	v_sub_nc_u64_e32 v[8:9], v[10:11], v[2:3]
	s_wait_loadcnt 0x0
	s_delay_alu instid0(VALU_DEP_1)
	v_add_nc_u64_e32 v[6:7], v[8:9], v[6:7]
	ds_store_b64 v1, v[6:7]
.LBB2386_73:
	s_wait_xcnt 0x0
	s_or_b32 exec_lo, exec_lo, s4
	v_mad_i32_i24 v5, v14, -6, v1
	s_mov_b32 s4, exec_lo
	s_wait_storecnt_dscnt 0x0
	s_barrier_signal -1
	s_barrier_wait -1
	v_cmpx_gt_u32_e64 s22, v14
	s_cbranch_execz .LBB2386_75
; %bb.74:
	ds_load_u16 v10, v5 offset:2048
	v_dual_mov_b32 v9, 0 :: v_dual_lshlrev_b32 v8, 1, v14
	s_wait_dscnt 0x0
	v_and_b32_e32 v6, 0xffff, v10
	s_delay_alu instid0(VALU_DEP_1) | instskip(NEXT) | instid1(VALU_DEP_1)
	v_lshrrev_b32_e32 v6, s20, v6
	v_and_b32_e32 v6, s29, v6
	s_delay_alu instid0(VALU_DEP_1) | instskip(SKIP_3) | instid1(VALU_DEP_1)
	v_lshlrev_b32_e32 v6, 3, v6
	ds_load_b64 v[6:7], v6
	s_wait_dscnt 0x0
	v_lshl_add_u64 v[6:7], v[6:7], 1, s[18:19]
	v_add_nc_u64_e32 v[6:7], v[6:7], v[8:9]
	v_xor_b32_e32 v8, -1, v10
	global_store_b16 v[6:7], v8, off
.LBB2386_75:
	s_wait_xcnt 0x0
	s_or_b32 exec_lo, exec_lo, s4
	v_add_nc_u32_e32 v6, 0x200, v14
	s_mov_b32 s4, exec_lo
	s_delay_alu instid0(VALU_DEP_1)
	v_cmpx_gt_u32_e64 s22, v6
	s_cbranch_execz .LBB2386_77
; %bb.76:
	ds_load_u16 v10, v5 offset:3072
	v_dual_mov_b32 v9, 0 :: v_dual_lshlrev_b32 v8, 1, v14
	s_wait_dscnt 0x0
	v_and_b32_e32 v6, 0xffff, v10
	s_delay_alu instid0(VALU_DEP_1) | instskip(NEXT) | instid1(VALU_DEP_1)
	v_lshrrev_b32_e32 v6, s20, v6
	v_and_b32_e32 v6, s29, v6
	s_delay_alu instid0(VALU_DEP_1) | instskip(SKIP_3) | instid1(VALU_DEP_1)
	v_lshlrev_b32_e32 v6, 3, v6
	ds_load_b64 v[6:7], v6
	s_wait_dscnt 0x0
	v_lshl_add_u64 v[6:7], v[6:7], 1, s[18:19]
	v_add_nc_u64_e32 v[6:7], v[6:7], v[8:9]
	v_xor_b32_e32 v8, -1, v10
	global_store_b16 v[6:7], v8, off offset:1024
.LBB2386_77:
	s_wait_xcnt 0x0
	s_or_b32 exec_lo, exec_lo, s4
	v_or_b32_e32 v6, 0x400, v14
	s_mov_b32 s4, exec_lo
	s_delay_alu instid0(VALU_DEP_1)
	v_cmpx_gt_u32_e64 s22, v6
	s_cbranch_execz .LBB2386_79
; %bb.78:
	ds_load_u16 v10, v5 offset:4096
	v_dual_mov_b32 v9, 0 :: v_dual_lshlrev_b32 v8, 1, v14
	s_wait_dscnt 0x0
	v_and_b32_e32 v6, 0xffff, v10
	s_delay_alu instid0(VALU_DEP_1) | instskip(NEXT) | instid1(VALU_DEP_1)
	v_lshrrev_b32_e32 v6, s20, v6
	v_and_b32_e32 v6, s29, v6
	s_delay_alu instid0(VALU_DEP_1) | instskip(SKIP_3) | instid1(VALU_DEP_1)
	v_lshlrev_b32_e32 v6, 3, v6
	ds_load_b64 v[6:7], v6
	s_wait_dscnt 0x0
	v_lshl_add_u64 v[6:7], v[6:7], 1, s[18:19]
	v_add_nc_u64_e32 v[6:7], v[6:7], v[8:9]
	v_xor_b32_e32 v8, -1, v10
	global_store_b16 v[6:7], v8, off offset:2048
.LBB2386_79:
	s_wait_xcnt 0x0
	s_or_b32 exec_lo, exec_lo, s4
	v_add_nc_u32_e32 v6, 0x600, v14
	s_mov_b32 s4, exec_lo
	s_delay_alu instid0(VALU_DEP_1)
	v_cmpx_gt_u32_e64 s22, v6
	s_cbranch_execz .LBB2386_81
; %bb.80:
	ds_load_u16 v10, v5 offset:5120
	v_dual_mov_b32 v9, 0 :: v_dual_lshlrev_b32 v8, 1, v14
	s_wait_dscnt 0x0
	v_and_b32_e32 v6, 0xffff, v10
	s_delay_alu instid0(VALU_DEP_1) | instskip(NEXT) | instid1(VALU_DEP_1)
	v_lshrrev_b32_e32 v6, s20, v6
	v_and_b32_e32 v6, s29, v6
	s_delay_alu instid0(VALU_DEP_1) | instskip(SKIP_3) | instid1(VALU_DEP_1)
	v_lshlrev_b32_e32 v6, 3, v6
	ds_load_b64 v[6:7], v6
	s_wait_dscnt 0x0
	v_lshl_add_u64 v[6:7], v[6:7], 1, s[18:19]
	v_add_nc_u64_e32 v[6:7], v[6:7], v[8:9]
	v_xor_b32_e32 v8, -1, v10
	global_store_b16 v[6:7], v8, off offset:3072
.LBB2386_81:
	s_wait_xcnt 0x0
	s_or_b32 exec_lo, exec_lo, s4
	v_or_b32_e32 v6, 0x800, v14
	s_mov_b32 s4, exec_lo
	s_delay_alu instid0(VALU_DEP_1)
	v_cmpx_gt_u32_e64 s22, v6
	s_cbranch_execz .LBB2386_83
; %bb.82:
	ds_load_u16 v10, v5 offset:6144
	v_dual_mov_b32 v9, 0 :: v_dual_lshlrev_b32 v8, 1, v14
	s_wait_dscnt 0x0
	v_and_b32_e32 v6, 0xffff, v10
	s_delay_alu instid0(VALU_DEP_1) | instskip(NEXT) | instid1(VALU_DEP_1)
	v_lshrrev_b32_e32 v6, s20, v6
	v_and_b32_e32 v6, s29, v6
	s_delay_alu instid0(VALU_DEP_1) | instskip(SKIP_3) | instid1(VALU_DEP_1)
	v_lshlrev_b32_e32 v6, 3, v6
	ds_load_b64 v[6:7], v6
	s_wait_dscnt 0x0
	v_lshl_add_u64 v[6:7], v[6:7], 1, s[18:19]
	v_add_nc_u64_e32 v[6:7], v[6:7], v[8:9]
	v_xor_b32_e32 v8, -1, v10
	global_store_b16 v[6:7], v8, off offset:4096
.LBB2386_83:
	;; [unrolled: 48-line block ×3, first 2 shown]
	s_wait_xcnt 0x0
	s_or_b32 exec_lo, exec_lo, s4
	v_add_nc_u32_e32 v6, 0xe00, v14
	s_mov_b32 s4, exec_lo
	s_delay_alu instid0(VALU_DEP_1)
	v_cmpx_gt_u32_e64 s22, v6
	s_cbranch_execz .LBB2386_89
; %bb.88:
	ds_load_u16 v5, v5 offset:9216
	v_dual_mov_b32 v9, 0 :: v_dual_lshlrev_b32 v8, 1, v14
	s_wait_dscnt 0x0
	v_and_b32_e32 v6, 0xffff, v5
	s_delay_alu instid0(VALU_DEP_1) | instskip(NEXT) | instid1(VALU_DEP_1)
	v_dual_lshrrev_b32 v6, s20, v6 :: v_dual_bitop2_b32 v5, -1, v5 bitop3:0x14
	v_and_b32_e32 v6, s29, v6
	s_delay_alu instid0(VALU_DEP_1) | instskip(SKIP_3) | instid1(VALU_DEP_1)
	v_lshlrev_b32_e32 v6, 3, v6
	ds_load_b64 v[6:7], v6
	s_wait_dscnt 0x0
	v_lshl_add_u64 v[6:7], v[6:7], 1, s[18:19]
	v_add_nc_u64_e32 v[6:7], v[6:7], v[8:9]
	global_store_b16 v[6:7], v5, off offset:7168
.LBB2386_89:
	s_wait_xcnt 0x0
	s_or_b32 exec_lo, exec_lo, s4
	v_or_b32_e32 v5, 0x1000, v14
	s_mov_b32 s4, exec_lo
	s_delay_alu instid0(VALU_DEP_1)
	v_cmpx_gt_u32_e64 s22, v5
	s_cbranch_execz .LBB2386_91
; %bb.90:
	v_lshlrev_b32_e32 v6, 1, v14
	ds_load_u16 v5, v6 offset:10240
	s_wait_dscnt 0x0
	v_and_b32_e32 v7, 0xffff, v5
	s_delay_alu instid0(VALU_DEP_1) | instskip(NEXT) | instid1(VALU_DEP_1)
	v_dual_lshrrev_b32 v7, s20, v7 :: v_dual_bitop2_b32 v5, -1, v5 bitop3:0x14
	v_and_b32_e32 v7, s29, v7
	s_delay_alu instid0(VALU_DEP_1) | instskip(SKIP_4) | instid1(VALU_DEP_1)
	v_lshlrev_b32_e32 v7, 3, v7
	ds_load_b64 v[8:9], v7
	v_mov_b32_e32 v7, 0
	s_wait_dscnt 0x0
	v_lshl_add_u64 v[8:9], v[8:9], 1, s[18:19]
	v_add_nc_u64_e32 v[6:7], v[8:9], v[6:7]
	global_store_b16 v[6:7], v5, off offset:8192
.LBB2386_91:
	s_wait_xcnt 0x0
	s_or_b32 exec_lo, exec_lo, s4
	v_add_nc_u32_e32 v5, 0x1200, v14
	s_mov_b32 s4, exec_lo
	s_delay_alu instid0(VALU_DEP_1)
	v_cmpx_gt_u32_e64 s22, v5
	s_cbranch_execz .LBB2386_93
; %bb.92:
	v_lshlrev_b32_e32 v6, 1, v14
	ds_load_u16 v5, v6 offset:11264
	s_wait_dscnt 0x0
	v_and_b32_e32 v7, 0xffff, v5
	s_delay_alu instid0(VALU_DEP_1) | instskip(NEXT) | instid1(VALU_DEP_1)
	v_dual_lshrrev_b32 v7, s20, v7 :: v_dual_bitop2_b32 v5, -1, v5 bitop3:0x14
	v_and_b32_e32 v7, s29, v7
	s_delay_alu instid0(VALU_DEP_1) | instskip(SKIP_4) | instid1(VALU_DEP_1)
	v_lshlrev_b32_e32 v7, 3, v7
	ds_load_b64 v[8:9], v7
	v_mov_b32_e32 v7, 0
	s_wait_dscnt 0x0
	v_lshl_add_u64 v[8:9], v[8:9], 1, s[18:19]
	v_add_nc_u64_e32 v[6:7], v[8:9], v[6:7]
	global_store_b16 v[6:7], v5, off offset:9216
.LBB2386_93:
	s_wait_xcnt 0x0
	s_or_b32 exec_lo, exec_lo, s4
	v_or_b32_e32 v5, 0x1400, v14
	s_mov_b32 s4, exec_lo
	s_delay_alu instid0(VALU_DEP_1)
	v_cmpx_gt_u32_e64 s22, v5
	s_cbranch_execz .LBB2386_95
; %bb.94:
	v_lshlrev_b32_e32 v6, 1, v14
	ds_load_u16 v5, v6 offset:12288
	s_wait_dscnt 0x0
	v_and_b32_e32 v7, 0xffff, v5
	s_delay_alu instid0(VALU_DEP_1) | instskip(NEXT) | instid1(VALU_DEP_1)
	v_dual_lshrrev_b32 v7, s20, v7 :: v_dual_bitop2_b32 v5, -1, v5 bitop3:0x14
	v_and_b32_e32 v7, s29, v7
	s_delay_alu instid0(VALU_DEP_1) | instskip(SKIP_4) | instid1(VALU_DEP_1)
	v_lshlrev_b32_e32 v7, 3, v7
	ds_load_b64 v[8:9], v7
	v_mov_b32_e32 v7, 0
	s_wait_dscnt 0x0
	v_lshl_add_u64 v[8:9], v[8:9], 1, s[18:19]
	v_add_nc_u64_e32 v[6:7], v[8:9], v[6:7]
	global_store_b16 v[6:7], v5, off offset:10240
.LBB2386_95:
	s_wait_xcnt 0x0
	s_or_b32 exec_lo, exec_lo, s4
	v_add_nc_u32_e32 v5, 0x1600, v14
	s_mov_b32 s4, exec_lo
	s_delay_alu instid0(VALU_DEP_1)
	v_cmpx_gt_u32_e64 s22, v5
	s_cbranch_execz .LBB2386_97
; %bb.96:
	v_lshlrev_b32_e32 v6, 1, v14
	ds_load_u16 v5, v6 offset:13312
	s_wait_dscnt 0x0
	v_and_b32_e32 v7, 0xffff, v5
	s_delay_alu instid0(VALU_DEP_1) | instskip(NEXT) | instid1(VALU_DEP_1)
	v_dual_lshrrev_b32 v7, s20, v7 :: v_dual_bitop2_b32 v5, -1, v5 bitop3:0x14
	v_and_b32_e32 v7, s29, v7
	s_delay_alu instid0(VALU_DEP_1) | instskip(SKIP_4) | instid1(VALU_DEP_1)
	v_lshlrev_b32_e32 v7, 3, v7
	ds_load_b64 v[8:9], v7
	v_mov_b32_e32 v7, 0
	s_wait_dscnt 0x0
	v_lshl_add_u64 v[8:9], v[8:9], 1, s[18:19]
	v_add_nc_u64_e32 v[6:7], v[8:9], v[6:7]
	global_store_b16 v[6:7], v5, off offset:11264
.LBB2386_97:
	s_wait_xcnt 0x0
	s_or_b32 exec_lo, exec_lo, s4
	s_add_co_i32 s25, s25, -1
	s_delay_alu instid0(SALU_CYCLE_1) | instskip(SKIP_2) | instid1(SALU_CYCLE_1)
	s_cmp_eq_u32 s23, s25
	s_cselect_b32 s3, -1, 0
	s_xor_b32 s4, vcc_lo, -1
	s_and_b32 s4, s4, s3
	s_delay_alu instid0(SALU_CYCLE_1)
	s_and_saveexec_b32 s3, s4
	s_cbranch_execz .LBB2386_99
; %bb.98:
	ds_load_b64 v[6:7], v1
	v_mov_b32_e32 v5, 0
	s_delay_alu instid0(VALU_DEP_1) | instskip(SKIP_1) | instid1(VALU_DEP_1)
	v_add_nc_u64_e32 v[2:3], v[2:3], v[4:5]
	s_wait_dscnt 0x0
	v_add_nc_u64_e32 v[2:3], v[2:3], v[6:7]
	global_store_b64 v14, v[2:3], s[14:15] scale_offset
.LBB2386_99:
	s_wait_xcnt 0x0
	s_or_b32 exec_lo, exec_lo, s3
	s_mov_b32 s4, 0
.LBB2386_100:
	s_delay_alu instid0(SALU_CYCLE_1)
	s_and_b32 vcc_lo, exec_lo, s4
	s_cbranch_vccz .LBB2386_147
; %bb.101:
	s_mov_b32 s25, 0
	v_dual_mov_b32 v9, 0 :: v_dual_lshlrev_b32 v8, 1, v15
	s_lshl_b64 s[4:5], s[24:25], 1
	v_mul_u32_u24_e32 v1, 12, v16
	s_add_nc_u64 s[4:5], s[16:17], s[4:5]
	v_bfe_u32 v12, v0, 10, 10
	v_add_nc_u64_e32 v[2:3], s[4:5], v[8:9]
	v_bfe_u32 v0, v0, 20, 10
	v_lshlrev_b32_e32 v8, 1, v1
	s_delay_alu instid0(VALU_DEP_1)
	v_add_nc_u64_e32 v[18:19], v[2:3], v[8:9]
	s_clause 0xb
	global_load_u16 v8, v[18:19], off
	global_load_u16 v10, v[18:19], off offset:64
	global_load_u16 v13, v[18:19], off offset:128
	global_load_u16 v20, v[18:19], off offset:192
	global_load_u16 v24, v[18:19], off offset:256
	global_load_u16 v7, v[18:19], off offset:320
	global_load_u16 v6, v[18:19], off offset:384
	global_load_u16 v5, v[18:19], off offset:448
	global_load_u16 v4, v[18:19], off offset:512
	global_load_u16 v3, v[18:19], off offset:576
	global_load_u16 v2, v[18:19], off offset:640
	global_load_u16 v1, v[18:19], off offset:704
	s_clause 0x1
	s_load_b32 s8, s[0:1], 0x58
	s_load_u16 s3, s[0:1], 0x66
	s_wait_xcnt 0x0
	s_bfe_u32 s0, ttmp6, 0x4000c
	s_and_b32 s1, ttmp6, 15
	s_add_co_i32 s0, s0, 1
	s_delay_alu instid0(SALU_CYCLE_1) | instskip(NEXT) | instid1(SALU_CYCLE_1)
	s_mul_i32 s0, ttmp9, s0
	s_add_co_i32 s1, s1, s0
	s_cmp_eq_u32 s28, 0
	s_cselect_b32 s0, ttmp9, s1
	s_wait_kmcnt 0x0
	s_cmp_lt_u32 s0, s8
	v_mad_u32_u24 v0, v0, s3, v12
	s_cselect_b32 s24, 12, 18
	s_lshl_b32 s9, -1, s21
	s_add_nc_u64 s[0:1], s[26:27], s[24:25]
	s_load_u16 s16, s[0:1], 0x0
	s_wait_kmcnt 0x0
	v_mad_u32 v0, v0, s16, v14
	s_delay_alu instid0(VALU_DEP_1) | instskip(NEXT) | instid1(VALU_DEP_1)
	v_lshrrev_b32_e32 v0, 5, v0
	v_lshlrev_b32_e32 v0, 2, v0
	s_wait_loadcnt 0xb
	v_xor_b32_e32 v8, -1, v8
	s_delay_alu instid0(VALU_DEP_1) | instskip(NEXT) | instid1(VALU_DEP_1)
	v_and_b32_e32 v11, 0xffff, v8
	v_lshrrev_b32_e32 v11, s20, v11
	s_delay_alu instid0(VALU_DEP_1) | instskip(SKIP_2) | instid1(VALU_DEP_2)
	v_bitop3_b32 v12, v11, 1, s9 bitop3:0x40
	v_bitop3_b32 v18, v11, s9, v11 bitop3:0x30
	s_not_b32 s9, s9
	v_add_co_u32 v11, s0, v12, -1
	s_delay_alu instid0(VALU_DEP_1) | instskip(NEXT) | instid1(VALU_DEP_3)
	v_cndmask_b32_e64 v12, 0, 1, s0
	v_dual_lshlrev_b32 v17, 30, v18 :: v_dual_lshlrev_b32 v19, 29, v18
	v_dual_lshlrev_b32 v21, 28, v18 :: v_dual_lshlrev_b32 v22, 27, v18
	v_lshlrev_b32_e32 v23, 26, v18
	s_delay_alu instid0(VALU_DEP_4) | instskip(NEXT) | instid1(VALU_DEP_4)
	v_cmp_ne_u32_e32 vcc_lo, 0, v12
	v_not_b32_e32 v12, v17
	v_cmp_gt_i32_e64 s0, 0, v17
	v_cmp_gt_i32_e64 s1, 0, v19
	v_not_b32_e32 v17, v19
	v_not_b32_e32 v19, v21
	v_dual_ashrrev_i32 v12, 31, v12 :: v_dual_bitop2_b32 v11, vcc_lo, v11 bitop3:0x14
	v_dual_lshlrev_b32 v25, 25, v18 :: v_dual_lshlrev_b32 v26, 24, v18
	v_cmp_gt_i32_e64 s3, 0, v21
	v_cmp_gt_i32_e64 s4, 0, v22
	v_not_b32_e32 v21, v22
	v_not_b32_e32 v22, v23
	v_dual_ashrrev_i32 v17, 31, v17 :: v_dual_ashrrev_i32 v19, 31, v19
	s_delay_alu instid0(VALU_DEP_3)
	v_dual_ashrrev_i32 v21, 31, v21 :: v_dual_bitop2_b32 v12, s0, v12 bitop3:0x14
	v_cmp_gt_i32_e64 s5, 0, v23
	v_cmp_gt_i32_e64 s6, 0, v25
	v_not_b32_e32 v23, v25
	v_not_b32_e32 v25, v26
	v_dual_ashrrev_i32 v22, 31, v22 :: v_dual_bitop2_b32 v17, s1, v17 bitop3:0x14
	v_xor_b32_e32 v19, s3, v19
	v_bitop3_b32 v11, v11, v12, exec_lo bitop3:0x80
	v_cmp_gt_i32_e64 s7, 0, v26
	v_dual_ashrrev_i32 v12, 31, v23 :: v_dual_bitop2_b32 v21, s4, v21 bitop3:0x14
	v_dual_ashrrev_i32 v23, 31, v25 :: v_dual_bitop2_b32 v22, s5, v22 bitop3:0x14
	s_delay_alu instid0(VALU_DEP_4) | instskip(NEXT) | instid1(VALU_DEP_3)
	v_bitop3_b32 v11, v11, v19, v17 bitop3:0x80
	v_xor_b32_e32 v12, s6, v12
	s_delay_alu instid0(VALU_DEP_3) | instskip(NEXT) | instid1(VALU_DEP_3)
	v_xor_b32_e32 v17, s7, v23
	v_bitop3_b32 v19, v11, v22, v21 bitop3:0x80
	v_mul_u32_u24_e32 v11, 36, v14
	ds_store_2addr_b32 v11, v9, v9 offset0:16 offset1:17
	ds_store_2addr_b32 v11, v9, v9 offset0:18 offset1:19
	;; [unrolled: 1-line block ×4, first 2 shown]
	v_bitop3_b32 v17, v19, v17, v12 bitop3:0x80
	ds_store_b32 v11, v9 offset:96
	v_mad_u32_u24 v12, 0x44, v18, v0
	s_wait_storecnt 0x0
	s_wait_loadcnt_dscnt 0x0
	s_barrier_signal -1
	v_mbcnt_lo_u32_b32 v9, v17, 0
	v_cmp_ne_u32_e64 s0, 0, v17
	s_barrier_wait -1
	s_delay_alu instid0(VALU_DEP_2) | instskip(SKIP_1) | instid1(SALU_CYCLE_1)
	v_cmp_eq_u32_e32 vcc_lo, 0, v9
	; wave barrier
	s_and_b32 s1, s0, vcc_lo
	s_and_saveexec_b32 s0, s1
; %bb.102:
	v_bcnt_u32_b32 v17, v17, 0
	ds_store_b32 v12, v17 offset:64
; %bb.103:
	s_or_b32 exec_lo, exec_lo, s0
	v_xor_b32_e32 v10, -1, v10
	; wave barrier
	s_delay_alu instid0(VALU_DEP_1) | instskip(NEXT) | instid1(VALU_DEP_1)
	v_and_b32_e32 v17, 0xffff, v10
	v_lshrrev_b32_e32 v17, s20, v17
	s_delay_alu instid0(VALU_DEP_1) | instskip(SKIP_1) | instid1(VALU_DEP_2)
	v_bitop3_b32 v18, v17, 1, s9 bitop3:0x80
	v_and_b32_e32 v17, s9, v17
	v_add_co_u32 v18, s0, v18, -1
	s_delay_alu instid0(VALU_DEP_1) | instskip(NEXT) | instid1(VALU_DEP_3)
	v_cndmask_b32_e64 v19, 0, 1, s0
	v_lshlrev_b32_e32 v21, 30, v17
	s_delay_alu instid0(VALU_DEP_2) | instskip(NEXT) | instid1(VALU_DEP_2)
	v_cmp_ne_u32_e32 vcc_lo, 0, v19
	v_not_b32_e32 v19, v21
	s_delay_alu instid0(VALU_DEP_1) | instskip(SKIP_4) | instid1(VALU_DEP_4)
	v_dual_ashrrev_i32 v19, 31, v19 :: v_dual_bitop2_b32 v18, vcc_lo, v18 bitop3:0x14
	v_dual_lshlrev_b32 v22, 29, v17 :: v_dual_lshlrev_b32 v23, 28, v17
	v_dual_lshlrev_b32 v25, 27, v17 :: v_dual_lshlrev_b32 v26, 26, v17
	v_lshlrev_b32_e32 v27, 25, v17
	v_cmp_gt_i32_e64 s0, 0, v21
	v_cmp_gt_i32_e64 s1, 0, v22
	v_not_b32_e32 v21, v22
	v_not_b32_e32 v22, v23
	v_lshlrev_b32_e32 v28, 24, v17
	v_cmp_gt_i32_e64 s3, 0, v23
	v_cmp_gt_i32_e64 s4, 0, v25
	v_not_b32_e32 v23, v25
	v_not_b32_e32 v25, v26
	v_dual_ashrrev_i32 v21, 31, v21 :: v_dual_ashrrev_i32 v22, 31, v22
	v_xor_b32_e32 v19, s0, v19
	v_cmp_gt_i32_e64 s5, 0, v26
	v_cmp_gt_i32_e64 s6, 0, v27
	v_not_b32_e32 v26, v27
	v_not_b32_e32 v27, v28
	v_dual_ashrrev_i32 v23, 31, v23 :: v_dual_bitop2_b32 v21, s1, v21 bitop3:0x14
	v_dual_ashrrev_i32 v25, 31, v25 :: v_dual_bitop2_b32 v22, s3, v22 bitop3:0x14
	s_delay_alu instid0(VALU_DEP_3) | instskip(SKIP_4) | instid1(VALU_DEP_4)
	v_ashrrev_i32_e32 v27, 31, v27
	v_bitop3_b32 v18, v18, v19, exec_lo bitop3:0x80
	v_cmp_gt_i32_e64 s7, 0, v28
	v_dual_ashrrev_i32 v26, 31, v26 :: v_dual_bitop2_b32 v23, s4, v23 bitop3:0x14
	v_xor_b32_e32 v25, s5, v25
	v_bitop3_b32 v18, v18, v22, v21 bitop3:0x80
	v_mad_u32_u24 v19, 0x44, v17, v0
	s_delay_alu instid0(VALU_DEP_4) | instskip(SKIP_1) | instid1(VALU_DEP_4)
	v_xor_b32_e32 v21, s6, v26
	v_xor_b32_e32 v22, s7, v27
	v_bitop3_b32 v18, v18, v25, v23 bitop3:0x80
	ds_load_b32 v17, v19 offset:64
	; wave barrier
	v_bitop3_b32 v21, v18, v22, v21 bitop3:0x80
	s_delay_alu instid0(VALU_DEP_1) | instskip(SKIP_1) | instid1(VALU_DEP_2)
	v_mbcnt_lo_u32_b32 v18, v21, 0
	v_cmp_ne_u32_e64 s0, 0, v21
	v_cmp_eq_u32_e32 vcc_lo, 0, v18
	s_and_b32 s1, s0, vcc_lo
	s_delay_alu instid0(SALU_CYCLE_1)
	s_and_saveexec_b32 s0, s1
	s_cbranch_execz .LBB2386_105
; %bb.104:
	s_wait_dscnt 0x0
	v_bcnt_u32_b32 v21, v21, v17
	ds_store_b32 v19, v21 offset:64
.LBB2386_105:
	s_or_b32 exec_lo, exec_lo, s0
	v_xor_b32_e32 v13, -1, v13
	; wave barrier
	s_delay_alu instid0(VALU_DEP_1) | instskip(NEXT) | instid1(VALU_DEP_1)
	v_and_b32_e32 v21, 0xffff, v13
	v_lshrrev_b32_e32 v21, s20, v21
	s_delay_alu instid0(VALU_DEP_1) | instskip(NEXT) | instid1(VALU_DEP_1)
	v_bitop3_b32 v22, v21, 1, s9 bitop3:0x80
	v_add_co_u32 v22, s0, v22, -1
	s_delay_alu instid0(VALU_DEP_1) | instskip(NEXT) | instid1(VALU_DEP_1)
	v_cndmask_b32_e64 v23, 0, 1, s0
	v_cmp_ne_u32_e32 vcc_lo, 0, v23
	s_delay_alu instid0(VALU_DEP_3) | instskip(SKIP_1) | instid1(VALU_DEP_1)
	v_xor_b32_e32 v22, vcc_lo, v22
	v_and_b32_e32 v21, s9, v21
	v_dual_lshlrev_b32 v25, 30, v21 :: v_dual_lshlrev_b32 v26, 29, v21
	v_lshlrev_b32_e32 v27, 28, v21
	s_delay_alu instid0(VALU_DEP_2) | instskip(SKIP_1) | instid1(VALU_DEP_4)
	v_cmp_gt_i32_e64 s0, 0, v25
	v_not_b32_e32 v23, v25
	v_cmp_gt_i32_e64 s1, 0, v26
	v_not_b32_e32 v25, v26
	v_not_b32_e32 v26, v27
	s_delay_alu instid0(VALU_DEP_1) | instskip(SKIP_2) | instid1(VALU_DEP_3)
	v_dual_ashrrev_i32 v23, 31, v23 :: v_dual_ashrrev_i32 v26, 31, v26
	v_dual_lshlrev_b32 v28, 27, v21 :: v_dual_lshlrev_b32 v29, 26, v21
	v_dual_lshlrev_b32 v30, 25, v21 :: v_dual_lshlrev_b32 v31, 24, v21
	v_xor_b32_e32 v23, s0, v23
	v_cmp_gt_i32_e64 s3, 0, v27
	s_delay_alu instid0(VALU_DEP_4)
	v_cmp_gt_i32_e64 s4, 0, v28
	v_not_b32_e32 v27, v28
	v_not_b32_e32 v28, v29
	v_ashrrev_i32_e32 v25, 31, v25
	v_cmp_gt_i32_e64 s5, 0, v29
	v_cmp_gt_i32_e64 s6, 0, v30
	v_not_b32_e32 v29, v30
	v_not_b32_e32 v30, v31
	v_dual_ashrrev_i32 v27, 31, v27 :: v_dual_ashrrev_i32 v28, 31, v28
	v_xor_b32_e32 v25, s1, v25
	s_delay_alu instid0(VALU_DEP_4) | instskip(SKIP_4) | instid1(VALU_DEP_4)
	v_dual_ashrrev_i32 v29, 31, v29 :: v_dual_bitop2_b32 v26, s3, v26 bitop3:0x14
	v_bitop3_b32 v22, v22, v23, exec_lo bitop3:0x80
	v_cmp_gt_i32_e64 s7, 0, v31
	v_dual_ashrrev_i32 v30, 31, v30 :: v_dual_bitop2_b32 v27, s4, v27 bitop3:0x14
	v_xor_b32_e32 v28, s5, v28
	v_bitop3_b32 v22, v22, v26, v25 bitop3:0x80
	v_mad_u32_u24 v23, 0x44, v21, v0
	v_xor_b32_e32 v25, s6, v29
	v_xor_b32_e32 v26, s7, v30
	s_delay_alu instid0(VALU_DEP_4) | instskip(SKIP_2) | instid1(VALU_DEP_1)
	v_bitop3_b32 v22, v22, v28, v27 bitop3:0x80
	ds_load_b32 v21, v23 offset:64
	; wave barrier
	v_bitop3_b32 v25, v22, v26, v25 bitop3:0x80
	v_mbcnt_lo_u32_b32 v22, v25, 0
	v_cmp_ne_u32_e64 s0, 0, v25
	s_delay_alu instid0(VALU_DEP_2) | instskip(SKIP_1) | instid1(SALU_CYCLE_1)
	v_cmp_eq_u32_e32 vcc_lo, 0, v22
	s_and_b32 s1, s0, vcc_lo
	s_and_saveexec_b32 s0, s1
	s_cbranch_execz .LBB2386_107
; %bb.106:
	s_wait_dscnt 0x0
	v_bcnt_u32_b32 v25, v25, v21
	ds_store_b32 v23, v25 offset:64
.LBB2386_107:
	s_or_b32 exec_lo, exec_lo, s0
	v_xor_b32_e32 v20, -1, v20
	; wave barrier
	s_delay_alu instid0(VALU_DEP_1) | instskip(NEXT) | instid1(VALU_DEP_1)
	v_and_b32_e32 v25, 0xffff, v20
	v_lshrrev_b32_e32 v25, s20, v25
	s_delay_alu instid0(VALU_DEP_1) | instskip(SKIP_1) | instid1(VALU_DEP_2)
	v_bitop3_b32 v26, v25, 1, s9 bitop3:0x80
	v_and_b32_e32 v25, s9, v25
	v_add_co_u32 v26, s0, v26, -1
	s_delay_alu instid0(VALU_DEP_1) | instskip(NEXT) | instid1(VALU_DEP_3)
	v_cndmask_b32_e64 v27, 0, 1, s0
	v_lshlrev_b32_e32 v28, 30, v25
	s_delay_alu instid0(VALU_DEP_2) | instskip(NEXT) | instid1(VALU_DEP_2)
	v_cmp_ne_u32_e32 vcc_lo, 0, v27
	v_not_b32_e32 v27, v28
	s_delay_alu instid0(VALU_DEP_1) | instskip(SKIP_4) | instid1(VALU_DEP_4)
	v_dual_ashrrev_i32 v27, 31, v27 :: v_dual_bitop2_b32 v26, vcc_lo, v26 bitop3:0x14
	v_dual_lshlrev_b32 v29, 29, v25 :: v_dual_lshlrev_b32 v30, 28, v25
	v_dual_lshlrev_b32 v31, 27, v25 :: v_dual_lshlrev_b32 v32, 26, v25
	v_lshlrev_b32_e32 v33, 25, v25
	v_cmp_gt_i32_e64 s0, 0, v28
	v_cmp_gt_i32_e64 s1, 0, v29
	v_not_b32_e32 v28, v29
	v_not_b32_e32 v29, v30
	v_lshlrev_b32_e32 v34, 24, v25
	v_cmp_gt_i32_e64 s3, 0, v30
	v_cmp_gt_i32_e64 s4, 0, v31
	v_not_b32_e32 v30, v31
	v_not_b32_e32 v31, v32
	v_dual_ashrrev_i32 v28, 31, v28 :: v_dual_ashrrev_i32 v29, 31, v29
	s_delay_alu instid0(VALU_DEP_3)
	v_dual_ashrrev_i32 v30, 31, v30 :: v_dual_bitop2_b32 v27, s0, v27 bitop3:0x14
	v_cmp_gt_i32_e64 s5, 0, v32
	v_cmp_gt_i32_e64 s6, 0, v33
	v_not_b32_e32 v32, v33
	v_not_b32_e32 v33, v34
	v_dual_ashrrev_i32 v31, 31, v31 :: v_dual_bitop2_b32 v28, s1, v28 bitop3:0x14
	s_delay_alu instid0(VALU_DEP_3) | instskip(SKIP_4) | instid1(VALU_DEP_4)
	v_dual_ashrrev_i32 v32, 31, v32 :: v_dual_bitop2_b32 v29, s3, v29 bitop3:0x14
	v_bitop3_b32 v26, v26, v27, exec_lo bitop3:0x80
	v_cmp_gt_i32_e64 s7, 0, v34
	v_dual_ashrrev_i32 v33, 31, v33 :: v_dual_bitop2_b32 v30, s4, v30 bitop3:0x14
	v_xor_b32_e32 v31, s5, v31
	v_bitop3_b32 v26, v26, v29, v28 bitop3:0x80
	v_mad_u32_u24 v27, 0x44, v25, v0
	v_xor_b32_e32 v28, s6, v32
	v_xor_b32_e32 v29, s7, v33
	s_delay_alu instid0(VALU_DEP_4) | instskip(SKIP_2) | instid1(VALU_DEP_1)
	v_bitop3_b32 v26, v26, v31, v30 bitop3:0x80
	ds_load_b32 v25, v27 offset:64
	; wave barrier
	v_bitop3_b32 v28, v26, v29, v28 bitop3:0x80
	v_mbcnt_lo_u32_b32 v26, v28, 0
	v_cmp_ne_u32_e64 s0, 0, v28
	s_delay_alu instid0(VALU_DEP_2) | instskip(SKIP_1) | instid1(SALU_CYCLE_1)
	v_cmp_eq_u32_e32 vcc_lo, 0, v26
	s_and_b32 s1, s0, vcc_lo
	s_and_saveexec_b32 s0, s1
	s_cbranch_execz .LBB2386_109
; %bb.108:
	s_wait_dscnt 0x0
	v_bcnt_u32_b32 v28, v28, v25
	ds_store_b32 v27, v28 offset:64
.LBB2386_109:
	s_or_b32 exec_lo, exec_lo, s0
	v_xor_b32_e32 v24, -1, v24
	; wave barrier
	s_delay_alu instid0(VALU_DEP_1) | instskip(NEXT) | instid1(VALU_DEP_1)
	v_and_b32_e32 v28, 0xffff, v24
	v_lshrrev_b32_e32 v28, s20, v28
	s_delay_alu instid0(VALU_DEP_1) | instskip(NEXT) | instid1(VALU_DEP_1)
	v_bitop3_b32 v29, v28, 1, s9 bitop3:0x80
	v_add_co_u32 v29, s0, v29, -1
	s_delay_alu instid0(VALU_DEP_1) | instskip(NEXT) | instid1(VALU_DEP_1)
	v_cndmask_b32_e64 v30, 0, 1, s0
	v_cmp_ne_u32_e32 vcc_lo, 0, v30
	s_delay_alu instid0(VALU_DEP_3) | instskip(SKIP_1) | instid1(VALU_DEP_1)
	v_xor_b32_e32 v29, vcc_lo, v29
	v_and_b32_e32 v28, s9, v28
	v_dual_lshlrev_b32 v31, 30, v28 :: v_dual_lshlrev_b32 v32, 29, v28
	s_delay_alu instid0(VALU_DEP_1) | instskip(SKIP_1) | instid1(VALU_DEP_3)
	v_cmp_gt_i32_e64 s0, 0, v31
	v_not_b32_e32 v30, v31
	v_not_b32_e32 v31, v32
	v_cmp_gt_i32_e64 s1, 0, v32
	s_delay_alu instid0(VALU_DEP_2) | instskip(SKIP_2) | instid1(VALU_DEP_3)
	v_dual_ashrrev_i32 v30, 31, v30 :: v_dual_ashrrev_i32 v31, 31, v31
	v_dual_lshlrev_b32 v33, 28, v28 :: v_dual_lshlrev_b32 v34, 27, v28
	v_dual_lshlrev_b32 v35, 26, v28 :: v_dual_lshlrev_b32 v36, 25, v28
	v_dual_lshlrev_b32 v37, 24, v28 :: v_dual_bitop2_b32 v30, s0, v30 bitop3:0x14
	s_delay_alu instid0(VALU_DEP_3)
	v_not_b32_e32 v32, v33
	v_cmp_gt_i32_e64 s3, 0, v33
	v_cmp_gt_i32_e64 s4, 0, v34
	v_not_b32_e32 v33, v34
	v_not_b32_e32 v34, v35
	v_ashrrev_i32_e32 v32, 31, v32
	v_cmp_gt_i32_e64 s5, 0, v35
	v_cmp_gt_i32_e64 s6, 0, v36
	v_not_b32_e32 v35, v36
	v_not_b32_e32 v36, v37
	v_dual_ashrrev_i32 v33, 31, v33 :: v_dual_ashrrev_i32 v34, 31, v34
	v_xor_b32_e32 v31, s1, v31
	v_xor_b32_e32 v32, s3, v32
	v_bitop3_b32 v29, v29, v30, exec_lo bitop3:0x80
	v_cmp_gt_i32_e64 s7, 0, v37
	v_dual_ashrrev_i32 v30, 31, v35 :: v_dual_ashrrev_i32 v35, 31, v36
	v_xor_b32_e32 v33, s4, v33
	v_xor_b32_e32 v34, s5, v34
	v_bitop3_b32 v29, v29, v32, v31 bitop3:0x80
	v_mad_u32_u24 v31, 0x44, v28, v0
	v_xor_b32_e32 v30, s6, v30
	v_xor_b32_e32 v32, s7, v35
	s_delay_alu instid0(VALU_DEP_4) | instskip(SKIP_2) | instid1(VALU_DEP_1)
	v_bitop3_b32 v29, v29, v34, v33 bitop3:0x80
	ds_load_b32 v28, v31 offset:64
	; wave barrier
	v_bitop3_b32 v29, v29, v32, v30 bitop3:0x80
	v_mbcnt_lo_u32_b32 v30, v29, 0
	v_cmp_ne_u32_e64 s0, 0, v29
	s_delay_alu instid0(VALU_DEP_2) | instskip(SKIP_1) | instid1(SALU_CYCLE_1)
	v_cmp_eq_u32_e32 vcc_lo, 0, v30
	s_and_b32 s1, s0, vcc_lo
	s_and_saveexec_b32 s0, s1
	s_cbranch_execz .LBB2386_111
; %bb.110:
	s_wait_dscnt 0x0
	v_bcnt_u32_b32 v29, v29, v28
	ds_store_b32 v31, v29 offset:64
.LBB2386_111:
	s_or_b32 exec_lo, exec_lo, s0
	v_xor_b32_e32 v29, -1, v7
	; wave barrier
	s_delay_alu instid0(VALU_DEP_1) | instskip(NEXT) | instid1(VALU_DEP_1)
	v_and_b32_e32 v7, 0xffff, v29
	v_lshrrev_b32_e32 v7, s20, v7
	s_delay_alu instid0(VALU_DEP_1) | instskip(SKIP_1) | instid1(VALU_DEP_2)
	v_bitop3_b32 v32, v7, 1, s9 bitop3:0x80
	v_and_b32_e32 v7, s9, v7
	v_add_co_u32 v32, s0, v32, -1
	s_delay_alu instid0(VALU_DEP_1) | instskip(NEXT) | instid1(VALU_DEP_3)
	v_cndmask_b32_e64 v33, 0, 1, s0
	v_lshlrev_b32_e32 v34, 30, v7
	s_delay_alu instid0(VALU_DEP_2) | instskip(NEXT) | instid1(VALU_DEP_2)
	v_cmp_ne_u32_e32 vcc_lo, 0, v33
	v_not_b32_e32 v33, v34
	s_delay_alu instid0(VALU_DEP_1) | instskip(SKIP_4) | instid1(VALU_DEP_4)
	v_dual_ashrrev_i32 v33, 31, v33 :: v_dual_bitop2_b32 v32, vcc_lo, v32 bitop3:0x14
	v_dual_lshlrev_b32 v35, 29, v7 :: v_dual_lshlrev_b32 v36, 28, v7
	v_dual_lshlrev_b32 v37, 27, v7 :: v_dual_lshlrev_b32 v38, 26, v7
	v_lshlrev_b32_e32 v39, 25, v7
	v_cmp_gt_i32_e64 s0, 0, v34
	v_cmp_gt_i32_e64 s1, 0, v35
	v_not_b32_e32 v34, v35
	v_not_b32_e32 v35, v36
	v_lshlrev_b32_e32 v40, 24, v7
	v_cmp_gt_i32_e64 s3, 0, v36
	v_cmp_gt_i32_e64 s4, 0, v37
	v_not_b32_e32 v36, v37
	v_not_b32_e32 v37, v38
	v_dual_ashrrev_i32 v34, 31, v34 :: v_dual_ashrrev_i32 v35, 31, v35
	s_delay_alu instid0(VALU_DEP_3)
	v_dual_ashrrev_i32 v36, 31, v36 :: v_dual_bitop2_b32 v33, s0, v33 bitop3:0x14
	v_cmp_gt_i32_e64 s5, 0, v38
	v_cmp_gt_i32_e64 s6, 0, v39
	v_not_b32_e32 v38, v39
	v_not_b32_e32 v39, v40
	v_dual_ashrrev_i32 v37, 31, v37 :: v_dual_bitop2_b32 v34, s1, v34 bitop3:0x14
	v_xor_b32_e32 v35, s3, v35
	v_bitop3_b32 v32, v32, v33, exec_lo bitop3:0x80
	v_cmp_gt_i32_e64 s7, 0, v40
	v_dual_ashrrev_i32 v33, 31, v38 :: v_dual_ashrrev_i32 v38, 31, v39
	v_xor_b32_e32 v36, s4, v36
	v_xor_b32_e32 v37, s5, v37
	v_bitop3_b32 v32, v32, v35, v34 bitop3:0x80
	v_mad_u32_u24 v35, 0x44, v7, v0
	v_xor_b32_e32 v7, s6, v33
	v_xor_b32_e32 v33, s7, v38
	s_delay_alu instid0(VALU_DEP_4) | instskip(SKIP_2) | instid1(VALU_DEP_1)
	v_bitop3_b32 v34, v32, v37, v36 bitop3:0x80
	ds_load_b32 v32, v35 offset:64
	; wave barrier
	v_bitop3_b32 v7, v34, v33, v7 bitop3:0x80
	v_mbcnt_lo_u32_b32 v34, v7, 0
	v_cmp_ne_u32_e64 s0, 0, v7
	s_delay_alu instid0(VALU_DEP_2) | instskip(SKIP_1) | instid1(SALU_CYCLE_1)
	v_cmp_eq_u32_e32 vcc_lo, 0, v34
	s_and_b32 s1, s0, vcc_lo
	s_and_saveexec_b32 s0, s1
	s_cbranch_execz .LBB2386_113
; %bb.112:
	s_wait_dscnt 0x0
	v_bcnt_u32_b32 v7, v7, v32
	ds_store_b32 v35, v7 offset:64
.LBB2386_113:
	s_or_b32 exec_lo, exec_lo, s0
	v_xor_b32_e32 v33, -1, v6
	; wave barrier
	s_delay_alu instid0(VALU_DEP_1) | instskip(NEXT) | instid1(VALU_DEP_1)
	v_and_b32_e32 v6, 0xffff, v33
	v_lshrrev_b32_e32 v6, s20, v6
	s_delay_alu instid0(VALU_DEP_1) | instskip(SKIP_1) | instid1(VALU_DEP_2)
	v_bitop3_b32 v7, v6, 1, s9 bitop3:0x80
	v_and_b32_e32 v6, s9, v6
	v_add_co_u32 v7, s0, v7, -1
	s_delay_alu instid0(VALU_DEP_1) | instskip(NEXT) | instid1(VALU_DEP_3)
	v_cndmask_b32_e64 v36, 0, 1, s0
	v_lshlrev_b32_e32 v37, 30, v6
	s_delay_alu instid0(VALU_DEP_2) | instskip(NEXT) | instid1(VALU_DEP_2)
	v_cmp_ne_u32_e32 vcc_lo, 0, v36
	v_not_b32_e32 v36, v37
	s_delay_alu instid0(VALU_DEP_1) | instskip(SKIP_4) | instid1(VALU_DEP_4)
	v_dual_ashrrev_i32 v36, 31, v36 :: v_dual_bitop2_b32 v7, vcc_lo, v7 bitop3:0x14
	v_dual_lshlrev_b32 v38, 29, v6 :: v_dual_lshlrev_b32 v39, 28, v6
	v_dual_lshlrev_b32 v40, 27, v6 :: v_dual_lshlrev_b32 v41, 26, v6
	v_lshlrev_b32_e32 v42, 25, v6
	v_cmp_gt_i32_e64 s0, 0, v37
	v_cmp_gt_i32_e64 s1, 0, v38
	v_not_b32_e32 v37, v38
	v_not_b32_e32 v38, v39
	v_lshlrev_b32_e32 v43, 24, v6
	v_cmp_gt_i32_e64 s3, 0, v39
	v_cmp_gt_i32_e64 s4, 0, v40
	v_not_b32_e32 v39, v40
	v_not_b32_e32 v40, v41
	v_dual_ashrrev_i32 v37, 31, v37 :: v_dual_ashrrev_i32 v38, 31, v38
	s_delay_alu instid0(VALU_DEP_3)
	v_dual_ashrrev_i32 v39, 31, v39 :: v_dual_bitop2_b32 v36, s0, v36 bitop3:0x14
	v_cmp_gt_i32_e64 s5, 0, v41
	v_cmp_gt_i32_e64 s6, 0, v42
	v_not_b32_e32 v41, v42
	v_not_b32_e32 v42, v43
	v_dual_ashrrev_i32 v40, 31, v40 :: v_dual_bitop2_b32 v37, s1, v37 bitop3:0x14
	v_xor_b32_e32 v38, s3, v38
	v_bitop3_b32 v7, v7, v36, exec_lo bitop3:0x80
	v_cmp_gt_i32_e64 s7, 0, v43
	v_dual_ashrrev_i32 v36, 31, v41 :: v_dual_ashrrev_i32 v41, 31, v42
	v_xor_b32_e32 v42, s4, v39
	v_xor_b32_e32 v40, s5, v40
	v_bitop3_b32 v7, v7, v38, v37 bitop3:0x80
	v_mad_u32_u24 v39, 0x44, v6, v0
	v_xor_b32_e32 v6, s6, v36
	v_xor_b32_e32 v36, s7, v41
	s_delay_alu instid0(VALU_DEP_4) | instskip(SKIP_2) | instid1(VALU_DEP_1)
	v_bitop3_b32 v7, v7, v40, v42 bitop3:0x80
	ds_load_b32 v37, v39 offset:64
	; wave barrier
	v_bitop3_b32 v6, v7, v36, v6 bitop3:0x80
	v_mbcnt_lo_u32_b32 v38, v6, 0
	v_cmp_ne_u32_e64 s0, 0, v6
	s_delay_alu instid0(VALU_DEP_2) | instskip(SKIP_1) | instid1(SALU_CYCLE_1)
	v_cmp_eq_u32_e32 vcc_lo, 0, v38
	s_and_b32 s1, s0, vcc_lo
	s_and_saveexec_b32 s0, s1
	s_cbranch_execz .LBB2386_115
; %bb.114:
	s_wait_dscnt 0x0
	v_bcnt_u32_b32 v6, v6, v37
	ds_store_b32 v39, v6 offset:64
.LBB2386_115:
	s_or_b32 exec_lo, exec_lo, s0
	v_xor_b32_e32 v36, -1, v5
	; wave barrier
	s_delay_alu instid0(VALU_DEP_1) | instskip(NEXT) | instid1(VALU_DEP_1)
	v_and_b32_e32 v5, 0xffff, v36
	v_lshrrev_b32_e32 v5, s20, v5
	s_delay_alu instid0(VALU_DEP_1) | instskip(SKIP_1) | instid1(VALU_DEP_2)
	v_bitop3_b32 v6, v5, 1, s9 bitop3:0x80
	v_and_b32_e32 v5, s9, v5
	v_add_co_u32 v6, s0, v6, -1
	s_delay_alu instid0(VALU_DEP_1) | instskip(NEXT) | instid1(VALU_DEP_3)
	v_cndmask_b32_e64 v7, 0, 1, s0
	v_lshlrev_b32_e32 v40, 30, v5
	s_delay_alu instid0(VALU_DEP_2) | instskip(NEXT) | instid1(VALU_DEP_2)
	v_cmp_ne_u32_e32 vcc_lo, 0, v7
	v_not_b32_e32 v7, v40
	s_delay_alu instid0(VALU_DEP_1) | instskip(SKIP_4) | instid1(VALU_DEP_4)
	v_dual_ashrrev_i32 v7, 31, v7 :: v_dual_bitop2_b32 v6, vcc_lo, v6 bitop3:0x14
	v_dual_lshlrev_b32 v41, 29, v5 :: v_dual_lshlrev_b32 v42, 28, v5
	v_dual_lshlrev_b32 v43, 27, v5 :: v_dual_lshlrev_b32 v44, 26, v5
	v_lshlrev_b32_e32 v45, 25, v5
	v_cmp_gt_i32_e64 s0, 0, v40
	v_cmp_gt_i32_e64 s1, 0, v41
	v_not_b32_e32 v40, v41
	v_not_b32_e32 v41, v42
	v_lshlrev_b32_e32 v46, 24, v5
	v_cmp_gt_i32_e64 s3, 0, v42
	v_cmp_gt_i32_e64 s4, 0, v43
	v_not_b32_e32 v42, v43
	v_not_b32_e32 v43, v44
	v_dual_ashrrev_i32 v40, 31, v40 :: v_dual_ashrrev_i32 v41, 31, v41
	s_delay_alu instid0(VALU_DEP_3)
	v_dual_ashrrev_i32 v42, 31, v42 :: v_dual_bitop2_b32 v7, s0, v7 bitop3:0x14
	v_cmp_gt_i32_e64 s5, 0, v44
	v_cmp_gt_i32_e64 s6, 0, v45
	v_not_b32_e32 v44, v45
	v_not_b32_e32 v45, v46
	v_dual_ashrrev_i32 v43, 31, v43 :: v_dual_bitop2_b32 v40, s1, v40 bitop3:0x14
	v_xor_b32_e32 v41, s3, v41
	v_bitop3_b32 v6, v6, v7, exec_lo bitop3:0x80
	v_cmp_gt_i32_e64 s7, 0, v46
	v_dual_ashrrev_i32 v7, 31, v44 :: v_dual_ashrrev_i32 v44, 31, v45
	v_xor_b32_e32 v42, s4, v42
	v_xor_b32_e32 v45, s5, v43
	v_bitop3_b32 v6, v6, v41, v40 bitop3:0x80
	v_mad_u32_u24 v43, 0x44, v5, v0
	v_xor_b32_e32 v5, s6, v7
	v_xor_b32_e32 v7, s7, v44
	s_delay_alu instid0(VALU_DEP_4) | instskip(SKIP_2) | instid1(VALU_DEP_1)
	v_bitop3_b32 v6, v6, v45, v42 bitop3:0x80
	ds_load_b32 v41, v43 offset:64
	; wave barrier
	v_bitop3_b32 v5, v6, v7, v5 bitop3:0x80
	v_mbcnt_lo_u32_b32 v42, v5, 0
	v_cmp_ne_u32_e64 s0, 0, v5
	s_delay_alu instid0(VALU_DEP_2) | instskip(SKIP_1) | instid1(SALU_CYCLE_1)
	v_cmp_eq_u32_e32 vcc_lo, 0, v42
	s_and_b32 s1, s0, vcc_lo
	s_and_saveexec_b32 s0, s1
	s_cbranch_execz .LBB2386_117
; %bb.116:
	s_wait_dscnt 0x0
	v_bcnt_u32_b32 v5, v5, v41
	ds_store_b32 v43, v5 offset:64
.LBB2386_117:
	s_or_b32 exec_lo, exec_lo, s0
	v_xor_b32_e32 v40, -1, v4
	; wave barrier
	s_delay_alu instid0(VALU_DEP_1) | instskip(NEXT) | instid1(VALU_DEP_1)
	v_and_b32_e32 v4, 0xffff, v40
	v_lshrrev_b32_e32 v4, s20, v4
	s_delay_alu instid0(VALU_DEP_1) | instskip(SKIP_1) | instid1(VALU_DEP_2)
	v_bitop3_b32 v5, v4, 1, s9 bitop3:0x80
	v_and_b32_e32 v4, s9, v4
	v_add_co_u32 v5, s0, v5, -1
	s_delay_alu instid0(VALU_DEP_1) | instskip(NEXT) | instid1(VALU_DEP_3)
	v_cndmask_b32_e64 v6, 0, 1, s0
	v_lshlrev_b32_e32 v7, 30, v4
	s_delay_alu instid0(VALU_DEP_2) | instskip(NEXT) | instid1(VALU_DEP_2)
	v_cmp_ne_u32_e32 vcc_lo, 0, v6
	v_not_b32_e32 v6, v7
	s_delay_alu instid0(VALU_DEP_1) | instskip(SKIP_4) | instid1(VALU_DEP_4)
	v_dual_ashrrev_i32 v6, 31, v6 :: v_dual_bitop2_b32 v5, vcc_lo, v5 bitop3:0x14
	v_dual_lshlrev_b32 v44, 29, v4 :: v_dual_lshlrev_b32 v45, 28, v4
	v_dual_lshlrev_b32 v46, 27, v4 :: v_dual_lshlrev_b32 v47, 26, v4
	v_lshlrev_b32_e32 v48, 25, v4
	v_cmp_gt_i32_e64 s0, 0, v7
	v_cmp_gt_i32_e64 s1, 0, v44
	v_not_b32_e32 v7, v44
	v_not_b32_e32 v44, v45
	v_lshlrev_b32_e32 v49, 24, v4
	v_cmp_gt_i32_e64 s3, 0, v45
	v_cmp_gt_i32_e64 s4, 0, v46
	v_not_b32_e32 v45, v46
	v_not_b32_e32 v46, v47
	v_dual_ashrrev_i32 v7, 31, v7 :: v_dual_ashrrev_i32 v44, 31, v44
	s_delay_alu instid0(VALU_DEP_3)
	v_dual_ashrrev_i32 v45, 31, v45 :: v_dual_bitop2_b32 v6, s0, v6 bitop3:0x14
	v_cmp_gt_i32_e64 s5, 0, v47
	v_cmp_gt_i32_e64 s6, 0, v48
	v_not_b32_e32 v47, v48
	v_not_b32_e32 v48, v49
	v_dual_ashrrev_i32 v46, 31, v46 :: v_dual_bitop2_b32 v7, s1, v7 bitop3:0x14
	v_xor_b32_e32 v44, s3, v44
	v_bitop3_b32 v5, v5, v6, exec_lo bitop3:0x80
	v_cmp_gt_i32_e64 s7, 0, v49
	v_dual_ashrrev_i32 v6, 31, v47 :: v_dual_ashrrev_i32 v48, 31, v48
	v_xor_b32_e32 v45, s4, v45
	v_xor_b32_e32 v46, s5, v46
	v_bitop3_b32 v5, v5, v44, v7 bitop3:0x80
	v_mad_u32_u24 v47, 0x44, v4, v0
	v_xor_b32_e32 v4, s6, v6
	v_xor_b32_e32 v6, s7, v48
	s_delay_alu instid0(VALU_DEP_4) | instskip(SKIP_2) | instid1(VALU_DEP_1)
	v_bitop3_b32 v5, v5, v46, v45 bitop3:0x80
	ds_load_b32 v45, v47 offset:64
	; wave barrier
	v_bitop3_b32 v4, v5, v6, v4 bitop3:0x80
	v_mbcnt_lo_u32_b32 v46, v4, 0
	v_cmp_ne_u32_e64 s0, 0, v4
	s_delay_alu instid0(VALU_DEP_2) | instskip(SKIP_1) | instid1(SALU_CYCLE_1)
	v_cmp_eq_u32_e32 vcc_lo, 0, v46
	s_and_b32 s1, s0, vcc_lo
	s_and_saveexec_b32 s0, s1
	s_cbranch_execz .LBB2386_119
; %bb.118:
	s_wait_dscnt 0x0
	v_bcnt_u32_b32 v4, v4, v45
	ds_store_b32 v47, v4 offset:64
.LBB2386_119:
	s_or_b32 exec_lo, exec_lo, s0
	v_xor_b32_e32 v44, -1, v3
	; wave barrier
	s_delay_alu instid0(VALU_DEP_1) | instskip(NEXT) | instid1(VALU_DEP_1)
	v_and_b32_e32 v3, 0xffff, v44
	v_lshrrev_b32_e32 v3, s20, v3
	s_delay_alu instid0(VALU_DEP_1) | instskip(SKIP_1) | instid1(VALU_DEP_2)
	v_bitop3_b32 v4, v3, 1, s9 bitop3:0x80
	v_and_b32_e32 v3, s9, v3
	v_add_co_u32 v4, s0, v4, -1
	s_delay_alu instid0(VALU_DEP_1) | instskip(NEXT) | instid1(VALU_DEP_3)
	v_cndmask_b32_e64 v5, 0, 1, s0
	v_lshlrev_b32_e32 v6, 30, v3
	s_delay_alu instid0(VALU_DEP_2) | instskip(NEXT) | instid1(VALU_DEP_2)
	v_cmp_ne_u32_e32 vcc_lo, 0, v5
	v_not_b32_e32 v5, v6
	s_delay_alu instid0(VALU_DEP_1) | instskip(SKIP_4) | instid1(VALU_DEP_4)
	v_dual_ashrrev_i32 v5, 31, v5 :: v_dual_bitop2_b32 v4, vcc_lo, v4 bitop3:0x14
	v_dual_lshlrev_b32 v7, 29, v3 :: v_dual_lshlrev_b32 v48, 28, v3
	v_dual_lshlrev_b32 v49, 27, v3 :: v_dual_lshlrev_b32 v50, 26, v3
	v_lshlrev_b32_e32 v51, 25, v3
	v_cmp_gt_i32_e64 s0, 0, v6
	v_cmp_gt_i32_e64 s1, 0, v7
	v_not_b32_e32 v6, v7
	v_not_b32_e32 v7, v48
	v_lshlrev_b32_e32 v52, 24, v3
	v_cmp_gt_i32_e64 s3, 0, v48
	v_cmp_gt_i32_e64 s4, 0, v49
	v_not_b32_e32 v48, v49
	v_not_b32_e32 v49, v50
	v_dual_ashrrev_i32 v6, 31, v6 :: v_dual_ashrrev_i32 v7, 31, v7
	s_delay_alu instid0(VALU_DEP_3)
	v_dual_ashrrev_i32 v48, 31, v48 :: v_dual_bitop2_b32 v5, s0, v5 bitop3:0x14
	v_cmp_gt_i32_e64 s5, 0, v50
	v_cmp_gt_i32_e64 s6, 0, v51
	v_not_b32_e32 v50, v51
	v_not_b32_e32 v51, v52
	v_dual_ashrrev_i32 v49, 31, v49 :: v_dual_bitop2_b32 v6, s1, v6 bitop3:0x14
	v_xor_b32_e32 v7, s3, v7
	v_bitop3_b32 v4, v4, v5, exec_lo bitop3:0x80
	v_cmp_gt_i32_e64 s7, 0, v52
	v_dual_ashrrev_i32 v5, 31, v50 :: v_dual_ashrrev_i32 v50, 31, v51
	v_xor_b32_e32 v48, s4, v48
	v_xor_b32_e32 v49, s5, v49
	v_bitop3_b32 v4, v4, v7, v6 bitop3:0x80
	v_mad_u32_u24 v52, 0x44, v3, v0
	v_xor_b32_e32 v3, s6, v5
	v_xor_b32_e32 v5, s7, v50
	s_delay_alu instid0(VALU_DEP_4) | instskip(SKIP_2) | instid1(VALU_DEP_1)
	v_bitop3_b32 v4, v4, v49, v48 bitop3:0x80
	ds_load_b32 v48, v52 offset:64
	; wave barrier
	v_bitop3_b32 v3, v4, v5, v3 bitop3:0x80
	v_mbcnt_lo_u32_b32 v50, v3, 0
	v_cmp_ne_u32_e64 s0, 0, v3
	s_delay_alu instid0(VALU_DEP_2) | instskip(SKIP_1) | instid1(SALU_CYCLE_1)
	v_cmp_eq_u32_e32 vcc_lo, 0, v50
	s_and_b32 s1, s0, vcc_lo
	s_and_saveexec_b32 s0, s1
	s_cbranch_execz .LBB2386_121
; %bb.120:
	s_wait_dscnt 0x0
	v_bcnt_u32_b32 v3, v3, v48
	ds_store_b32 v52, v3 offset:64
.LBB2386_121:
	s_or_b32 exec_lo, exec_lo, s0
	v_xor_b32_e32 v49, -1, v2
	; wave barrier
	s_delay_alu instid0(VALU_DEP_1) | instskip(NEXT) | instid1(VALU_DEP_1)
	v_and_b32_e32 v2, 0xffff, v49
	v_lshrrev_b32_e32 v2, s20, v2
	s_delay_alu instid0(VALU_DEP_1) | instskip(SKIP_1) | instid1(VALU_DEP_2)
	v_bitop3_b32 v3, v2, 1, s9 bitop3:0x80
	v_and_b32_e32 v2, s9, v2
	v_add_co_u32 v3, s0, v3, -1
	s_delay_alu instid0(VALU_DEP_1) | instskip(NEXT) | instid1(VALU_DEP_3)
	v_cndmask_b32_e64 v4, 0, 1, s0
	v_lshlrev_b32_e32 v5, 30, v2
	s_delay_alu instid0(VALU_DEP_2) | instskip(NEXT) | instid1(VALU_DEP_2)
	v_cmp_ne_u32_e32 vcc_lo, 0, v4
	v_not_b32_e32 v4, v5
	s_delay_alu instid0(VALU_DEP_1) | instskip(SKIP_4) | instid1(VALU_DEP_4)
	v_dual_ashrrev_i32 v4, 31, v4 :: v_dual_bitop2_b32 v3, vcc_lo, v3 bitop3:0x14
	v_dual_lshlrev_b32 v6, 29, v2 :: v_dual_lshlrev_b32 v7, 28, v2
	v_dual_lshlrev_b32 v51, 27, v2 :: v_dual_lshlrev_b32 v53, 26, v2
	v_lshlrev_b32_e32 v54, 25, v2
	v_cmp_gt_i32_e64 s0, 0, v5
	v_cmp_gt_i32_e64 s1, 0, v6
	v_not_b32_e32 v5, v6
	v_not_b32_e32 v6, v7
	v_lshlrev_b32_e32 v55, 24, v2
	v_cmp_gt_i32_e64 s3, 0, v7
	v_cmp_gt_i32_e64 s4, 0, v51
	v_not_b32_e32 v7, v51
	v_not_b32_e32 v51, v53
	v_dual_ashrrev_i32 v5, 31, v5 :: v_dual_ashrrev_i32 v6, 31, v6
	s_delay_alu instid0(VALU_DEP_3)
	v_dual_ashrrev_i32 v7, 31, v7 :: v_dual_bitop2_b32 v4, s0, v4 bitop3:0x14
	v_cmp_gt_i32_e64 s5, 0, v53
	v_cmp_gt_i32_e64 s6, 0, v54
	v_not_b32_e32 v53, v54
	v_not_b32_e32 v54, v55
	v_dual_ashrrev_i32 v51, 31, v51 :: v_dual_bitop2_b32 v5, s1, v5 bitop3:0x14
	v_xor_b32_e32 v6, s3, v6
	v_bitop3_b32 v3, v3, v4, exec_lo bitop3:0x80
	v_cmp_gt_i32_e64 s7, 0, v55
	v_dual_ashrrev_i32 v4, 31, v53 :: v_dual_ashrrev_i32 v53, 31, v54
	v_xor_b32_e32 v7, s4, v7
	v_xor_b32_e32 v51, s5, v51
	v_bitop3_b32 v3, v3, v6, v5 bitop3:0x80
	v_mad_u32_u24 v57, 0x44, v2, v0
	v_xor_b32_e32 v2, s6, v4
	v_xor_b32_e32 v4, s7, v53
	s_delay_alu instid0(VALU_DEP_4) | instskip(SKIP_2) | instid1(VALU_DEP_1)
	v_bitop3_b32 v3, v3, v51, v7 bitop3:0x80
	ds_load_b32 v51, v57 offset:64
	; wave barrier
	v_bitop3_b32 v2, v3, v4, v2 bitop3:0x80
	v_mbcnt_lo_u32_b32 v54, v2, 0
	v_cmp_ne_u32_e64 s0, 0, v2
	s_delay_alu instid0(VALU_DEP_2) | instskip(SKIP_1) | instid1(SALU_CYCLE_1)
	v_cmp_eq_u32_e32 vcc_lo, 0, v54
	s_and_b32 s1, s0, vcc_lo
	s_and_saveexec_b32 s0, s1
	s_cbranch_execz .LBB2386_123
; %bb.122:
	s_wait_dscnt 0x0
	v_bcnt_u32_b32 v2, v2, v51
	ds_store_b32 v57, v2 offset:64
.LBB2386_123:
	s_or_b32 exec_lo, exec_lo, s0
	v_xor_b32_e32 v53, -1, v1
	; wave barrier
	s_delay_alu instid0(VALU_DEP_1) | instskip(NEXT) | instid1(VALU_DEP_1)
	v_and_b32_e32 v1, 0xffff, v53
	v_lshrrev_b32_e32 v1, s20, v1
	s_delay_alu instid0(VALU_DEP_1) | instskip(SKIP_1) | instid1(VALU_DEP_2)
	v_bitop3_b32 v2, v1, 1, s9 bitop3:0x80
	v_and_b32_e32 v1, s9, v1
	v_add_co_u32 v2, s0, v2, -1
	s_delay_alu instid0(VALU_DEP_1) | instskip(NEXT) | instid1(VALU_DEP_3)
	v_cndmask_b32_e64 v3, 0, 1, s0
	v_lshlrev_b32_e32 v4, 30, v1
	s_delay_alu instid0(VALU_DEP_2) | instskip(NEXT) | instid1(VALU_DEP_2)
	v_cmp_ne_u32_e32 vcc_lo, 0, v3
	v_not_b32_e32 v3, v4
	s_delay_alu instid0(VALU_DEP_1) | instskip(SKIP_4) | instid1(VALU_DEP_4)
	v_dual_ashrrev_i32 v3, 31, v3 :: v_dual_bitop2_b32 v2, vcc_lo, v2 bitop3:0x14
	v_dual_lshlrev_b32 v5, 29, v1 :: v_dual_lshlrev_b32 v6, 28, v1
	v_dual_lshlrev_b32 v7, 27, v1 :: v_dual_lshlrev_b32 v55, 26, v1
	v_lshlrev_b32_e32 v56, 25, v1
	v_cmp_gt_i32_e64 s0, 0, v4
	v_cmp_gt_i32_e64 s1, 0, v5
	v_not_b32_e32 v4, v5
	v_not_b32_e32 v5, v6
	v_lshlrev_b32_e32 v58, 24, v1
	v_cmp_gt_i32_e64 s3, 0, v6
	v_cmp_gt_i32_e64 s4, 0, v7
	v_not_b32_e32 v6, v7
	v_not_b32_e32 v7, v55
	v_dual_ashrrev_i32 v4, 31, v4 :: v_dual_ashrrev_i32 v5, 31, v5
	s_delay_alu instid0(VALU_DEP_3)
	v_dual_ashrrev_i32 v6, 31, v6 :: v_dual_bitop2_b32 v3, s0, v3 bitop3:0x14
	v_cmp_gt_i32_e64 s5, 0, v55
	v_cmp_gt_i32_e64 s6, 0, v56
	v_not_b32_e32 v55, v56
	v_not_b32_e32 v56, v58
	v_dual_ashrrev_i32 v7, 31, v7 :: v_dual_bitop2_b32 v4, s1, v4 bitop3:0x14
	v_xor_b32_e32 v5, s3, v5
	v_bitop3_b32 v2, v2, v3, exec_lo bitop3:0x80
	v_cmp_gt_i32_e64 s7, 0, v58
	v_dual_ashrrev_i32 v3, 31, v55 :: v_dual_ashrrev_i32 v55, 31, v56
	v_xor_b32_e32 v6, s4, v6
	v_xor_b32_e32 v7, s5, v7
	v_bitop3_b32 v2, v2, v5, v4 bitop3:0x80
	v_mad_u32_u24 v58, 0x44, v1, v0
	v_xor_b32_e32 v0, s6, v3
	v_xor_b32_e32 v1, s7, v55
	s_delay_alu instid0(VALU_DEP_4) | instskip(SKIP_2) | instid1(VALU_DEP_1)
	v_bitop3_b32 v2, v2, v7, v6 bitop3:0x80
	ds_load_b32 v55, v58 offset:64
	; wave barrier
	v_bitop3_b32 v0, v2, v1, v0 bitop3:0x80
	v_mbcnt_lo_u32_b32 v56, v0, 0
	v_cmp_ne_u32_e64 s0, 0, v0
	s_delay_alu instid0(VALU_DEP_2) | instskip(SKIP_1) | instid1(SALU_CYCLE_1)
	v_cmp_eq_u32_e32 vcc_lo, 0, v56
	s_and_b32 s1, s0, vcc_lo
	s_and_saveexec_b32 s0, s1
	s_cbranch_execz .LBB2386_125
; %bb.124:
	s_wait_dscnt 0x0
	v_bcnt_u32_b32 v0, v0, v55
	ds_store_b32 v58, v0 offset:64
.LBB2386_125:
	s_or_b32 exec_lo, exec_lo, s0
	; wave barrier
	s_wait_dscnt 0x0
	s_barrier_signal -1
	s_barrier_wait -1
	ds_load_2addr_b32 v[6:7], v11 offset0:16 offset1:17
	ds_load_2addr_b32 v[4:5], v11 offset0:18 offset1:19
	;; [unrolled: 1-line block ×4, first 2 shown]
	ds_load_b32 v59, v11 offset:96
	v_min_u32_e32 v16, 0x1e0, v16
	s_mov_b32 s5, exec_lo
	s_delay_alu instid0(VALU_DEP_1) | instskip(SKIP_3) | instid1(VALU_DEP_1)
	v_or_b32_e32 v62, 31, v16
	s_wait_dscnt 0x3
	v_add3_u32 v60, v7, v6, v4
	s_wait_dscnt 0x2
	v_add3_u32 v60, v60, v5, v2
	s_wait_dscnt 0x1
	s_delay_alu instid0(VALU_DEP_1) | instskip(SKIP_1) | instid1(VALU_DEP_1)
	v_add3_u32 v60, v60, v3, v0
	s_wait_dscnt 0x0
	v_add3_u32 v59, v60, v1, v59
	v_and_b32_e32 v60, 15, v15
	s_delay_alu instid0(VALU_DEP_2) | instskip(NEXT) | instid1(VALU_DEP_2)
	v_mov_b32_dpp v61, v59 row_shr:1 row_mask:0xf bank_mask:0xf
	v_cmp_eq_u32_e32 vcc_lo, 0, v60
	v_cmp_lt_u32_e64 s0, 1, v60
	s_delay_alu instid0(VALU_DEP_3) | instskip(NEXT) | instid1(VALU_DEP_1)
	v_cndmask_b32_e64 v61, v61, 0, vcc_lo
	v_add_nc_u32_e32 v59, v61, v59
	s_delay_alu instid0(VALU_DEP_1) | instskip(NEXT) | instid1(VALU_DEP_1)
	v_mov_b32_dpp v61, v59 row_shr:2 row_mask:0xf bank_mask:0xf
	v_cndmask_b32_e64 v61, 0, v61, s0
	v_cmp_lt_u32_e64 s3, 7, v60
	v_cmp_lt_u32_e64 s1, 3, v60
	s_delay_alu instid0(VALU_DEP_3) | instskip(NEXT) | instid1(VALU_DEP_1)
	v_add_nc_u32_e32 v59, v59, v61
	v_mov_b32_dpp v61, v59 row_shr:4 row_mask:0xf bank_mask:0xf
	s_delay_alu instid0(VALU_DEP_1) | instskip(NEXT) | instid1(VALU_DEP_1)
	v_cndmask_b32_e64 v61, 0, v61, s1
	v_add_nc_u32_e32 v59, v59, v61
	s_delay_alu instid0(VALU_DEP_1) | instskip(NEXT) | instid1(VALU_DEP_1)
	v_mov_b32_dpp v61, v59 row_shr:8 row_mask:0xf bank_mask:0xf
	v_cndmask_b32_e64 v60, 0, v61, s3
	v_bfe_i32 v61, v15, 4, 1
	s_delay_alu instid0(VALU_DEP_2) | instskip(SKIP_3) | instid1(VALU_DEP_1)
	v_add_nc_u32_e32 v60, v59, v60
	ds_swizzle_b32 v59, v60 offset:swizzle(BROADCAST,32,15)
	s_wait_dscnt 0x0
	v_dual_lshrrev_b32 v59, 5, v14 :: v_dual_bitop2_b32 v61, v61, v59 bitop3:0x40
	v_add_nc_u32_e32 v16, v60, v61
	v_cmpx_eq_u32_e64 v14, v62
; %bb.126:
	s_delay_alu instid0(VALU_DEP_3)
	v_lshlrev_b32_e32 v60, 2, v59
	ds_store_b32 v60, v16
; %bb.127:
	s_or_b32 exec_lo, exec_lo, s5
	s_delay_alu instid0(SALU_CYCLE_1)
	s_mov_b32 s5, exec_lo
	s_wait_dscnt 0x0
	s_barrier_signal -1
	s_barrier_wait -1
	v_cmpx_gt_u32_e32 16, v14
	s_cbranch_execz .LBB2386_129
; %bb.128:
	v_lshlrev_b32_e32 v60, 2, v14
	ds_load_b32 v61, v60
	s_wait_dscnt 0x0
	v_mov_b32_dpp v62, v61 row_shr:1 row_mask:0xf bank_mask:0xf
	s_delay_alu instid0(VALU_DEP_1) | instskip(NEXT) | instid1(VALU_DEP_1)
	v_cndmask_b32_e64 v62, v62, 0, vcc_lo
	v_add_nc_u32_e32 v61, v62, v61
	s_delay_alu instid0(VALU_DEP_1) | instskip(NEXT) | instid1(VALU_DEP_1)
	v_mov_b32_dpp v62, v61 row_shr:2 row_mask:0xf bank_mask:0xf
	v_cndmask_b32_e64 v62, 0, v62, s0
	s_delay_alu instid0(VALU_DEP_1) | instskip(NEXT) | instid1(VALU_DEP_1)
	v_add_nc_u32_e32 v61, v61, v62
	v_mov_b32_dpp v62, v61 row_shr:4 row_mask:0xf bank_mask:0xf
	s_delay_alu instid0(VALU_DEP_1) | instskip(NEXT) | instid1(VALU_DEP_1)
	v_cndmask_b32_e64 v62, 0, v62, s1
	v_add_nc_u32_e32 v61, v61, v62
	s_delay_alu instid0(VALU_DEP_1) | instskip(NEXT) | instid1(VALU_DEP_1)
	v_mov_b32_dpp v62, v61 row_shr:8 row_mask:0xf bank_mask:0xf
	v_cndmask_b32_e64 v62, 0, v62, s3
	s_delay_alu instid0(VALU_DEP_1)
	v_add_nc_u32_e32 v61, v61, v62
	ds_store_b32 v60, v61
.LBB2386_129:
	s_or_b32 exec_lo, exec_lo, s5
	v_mov_b32_e32 v60, 0
	s_mov_b32 s0, exec_lo
	s_wait_dscnt 0x0
	s_barrier_signal -1
	s_barrier_wait -1
	v_cmpx_lt_u32_e32 31, v14
; %bb.130:
	v_lshl_add_u32 v59, v59, 2, -4
	ds_load_b32 v60, v59
; %bb.131:
	s_or_b32 exec_lo, exec_lo, s0
	v_sub_co_u32 v59, vcc_lo, v15, 1
	s_wait_dscnt 0x0
	v_add_nc_u32_e32 v16, v60, v16
	s_delay_alu instid0(VALU_DEP_2) | instskip(NEXT) | instid1(VALU_DEP_1)
	v_cmp_gt_i32_e64 s0, 0, v59
	v_cndmask_b32_e64 v15, v59, v15, s0
	v_cmp_gt_u32_e64 s0, 0x100, v14
	s_delay_alu instid0(VALU_DEP_2) | instskip(SKIP_4) | instid1(VALU_DEP_2)
	v_lshlrev_b32_e32 v15, 2, v15
	ds_bpermute_b32 v15, v15, v16
	s_wait_dscnt 0x0
	v_cndmask_b32_e32 v15, v15, v60, vcc_lo
	v_cmp_lt_u32_e32 vcc_lo, 0xff, v14
	v_cndmask_b32_e64 v15, v15, 0, s2
	s_delay_alu instid0(VALU_DEP_1) | instskip(NEXT) | instid1(VALU_DEP_1)
	v_add_nc_u32_e32 v6, v15, v6
	v_add_nc_u32_e32 v7, v6, v7
	s_delay_alu instid0(VALU_DEP_1) | instskip(NEXT) | instid1(VALU_DEP_1)
	v_add_nc_u32_e32 v4, v7, v4
	v_add_nc_u32_e32 v5, v4, v5
	;; [unrolled: 3-line block ×4, first 2 shown]
	ds_store_2addr_b32 v11, v15, v6 offset0:16 offset1:17
	ds_store_2addr_b32 v11, v7, v4 offset0:18 offset1:19
	;; [unrolled: 1-line block ×4, first 2 shown]
	ds_store_b32 v11, v1 offset:96
	s_wait_dscnt 0x0
	s_barrier_signal -1
	s_barrier_wait -1
	ds_load_b32 v59, v12 offset:64
	ds_load_b32 v60, v19 offset:64
	;; [unrolled: 1-line block ×12, first 2 shown]
	v_mov_b64_e32 v[0:1], 0
                                        ; implicit-def: $vgpr2
	s_and_saveexec_b32 s2, s0
	s_cbranch_execz .LBB2386_135
; %bb.132:
	v_mul_u32_u24_e32 v0, 0x44, v14
	v_dual_mov_b32 v1, 0x1800 :: v_dual_add_nc_u32 v2, 1, v14
	s_mov_b32 s3, exec_lo
	ds_load_b32 v0, v0 offset:64
	v_cmpx_ne_u32_e32 0x100, v2
; %bb.133:
	v_mul_u32_u24_e32 v1, 0x44, v2
	ds_load_b32 v1, v1 offset:64
; %bb.134:
	s_or_b32 exec_lo, exec_lo, s3
	s_wait_dscnt 0x0
	v_dual_mov_b32 v1, 0 :: v_dual_sub_nc_u32 v2, v1, v0
.LBB2386_135:
	s_or_b32 exec_lo, exec_lo, s2
	s_wait_dscnt 0xa
	v_dual_lshlrev_b32 v9, 1, v9 :: v_dual_lshlrev_b32 v23, 1, v60
	v_dual_lshlrev_b32 v18, 1, v18 :: v_dual_lshlrev_b32 v17, 1, v17
	v_lshlrev_b32_e32 v21, 1, v21
	s_delay_alu instid0(VALU_DEP_3)
	v_lshl_add_u32 v9, v59, 1, v9
	s_wait_dscnt 0x0
	s_barrier_signal -1
	v_add3_u32 v17, v23, v18, v17
	v_dual_lshlrev_b32 v18, 1, v19 :: v_dual_lshlrev_b32 v19, 1, v22
	s_barrier_wait -1
	ds_store_b16 v9, v8 offset:2048
	ds_store_b16 v17, v10 offset:2048
	v_lshlrev_b32_e32 v9, 1, v16
	v_add3_u32 v8, v18, v19, v21
	v_dual_lshlrev_b32 v10, 1, v26 :: v_dual_lshlrev_b32 v16, 1, v25
	v_dual_lshlrev_b32 v18, 1, v28 :: v_dual_lshlrev_b32 v19, 1, v34
	;; [unrolled: 1-line block ×6, first 2 shown]
	ds_store_b16 v8, v13 offset:2048
	v_add3_u32 v8, v9, v10, v16
	v_add3_u32 v10, v12, v19, v21
	v_dual_lshlrev_b32 v12, 1, v42 :: v_dual_lshlrev_b32 v13, 1, v41
	v_add3_u32 v9, v15, v17, v18
	v_add3_u32 v11, v11, v22, v23
	ds_store_b16 v8, v20 offset:2048
	ds_store_b16 v9, v24 offset:2048
	;; [unrolled: 1-line block ×4, first 2 shown]
	v_add3_u32 v7, v7, v12, v13
	v_dual_lshlrev_b32 v6, 1, v6 :: v_dual_lshlrev_b32 v9, 1, v45
	v_dual_lshlrev_b32 v8, 1, v46 :: v_dual_lshlrev_b32 v5, 1, v5
	;; [unrolled: 1-line block ×4, first 2 shown]
	v_lshlrev_b32_e32 v3, 1, v3
	v_dual_lshlrev_b32 v16, 1, v55 :: v_dual_lshlrev_b32 v4, 1, v4
	v_lshlrev_b32_e32 v12, 1, v54
	ds_store_b16 v7, v36 offset:2048
	v_add3_u32 v6, v6, v8, v9
	v_add3_u32 v7, v5, v10, v11
	v_mov_b32_e32 v5, 0
	v_add3_u32 v8, v3, v15, v16
	v_lshlrev_b32_e32 v3, 3, v14
	v_add3_u32 v4, v4, v12, v13
	ds_store_b16 v6, v40 offset:2048
	ds_store_b16 v7, v44 offset:2048
	;; [unrolled: 1-line block ×4, first 2 shown]
	s_and_saveexec_b32 s1, s0
	s_cbranch_execz .LBB2386_145
; %bb.136:
	v_lshl_add_u32 v4, s23, 8, v14
	v_dual_mov_b32 v8, 0 :: v_dual_bitop2_b32 v9, 2.0, v2 bitop3:0x54
	s_mov_b32 s2, 0
	s_mov_b32 s3, s23
	s_delay_alu instid0(VALU_DEP_2)
	v_lshl_add_u64 v[6:7], v[4:5], 2, s[10:11]
	global_store_b32 v4, v9, s[10:11] scale_offset scope:SCOPE_DEV
                                        ; implicit-def: $sgpr0
	s_branch .LBB2386_139
.LBB2386_137:                           ;   in Loop: Header=BB2386_139 Depth=1
	s_or_b32 exec_lo, exec_lo, s5
.LBB2386_138:                           ;   in Loop: Header=BB2386_139 Depth=1
	s_delay_alu instid0(SALU_CYCLE_1) | instskip(SKIP_2) | instid1(VALU_DEP_2)
	s_or_b32 exec_lo, exec_lo, s4
	v_and_b32_e32 v4, 0x3fffffff, v9
	v_cmp_gt_i32_e64 s0, -2.0, v9
	v_add_nc_u32_e32 v8, v4, v8
	s_and_b32 s4, exec_lo, s0
	s_delay_alu instid0(SALU_CYCLE_1) | instskip(NEXT) | instid1(SALU_CYCLE_1)
	s_or_b32 s2, s4, s2
	s_and_not1_b32 exec_lo, exec_lo, s2
	s_cbranch_execz .LBB2386_144
.LBB2386_139:                           ; =>This Loop Header: Depth=1
                                        ;     Child Loop BB2386_142 Depth 2
	s_or_b32 s0, s0, exec_lo
	s_cmp_eq_u32 s3, 0
	s_cbranch_scc1 .LBB2386_143
; %bb.140:                              ;   in Loop: Header=BB2386_139 Depth=1
	s_add_co_i32 s3, s3, -1
	s_mov_b32 s4, exec_lo
	s_wait_xcnt 0x0
	v_lshl_or_b32 v4, s3, 8, v14
	global_load_b32 v9, v4, s[10:11] scale_offset scope:SCOPE_DEV
	s_wait_loadcnt 0x0
	v_cmpx_gt_u32_e32 2.0, v9
	s_cbranch_execz .LBB2386_138
; %bb.141:                              ;   in Loop: Header=BB2386_139 Depth=1
	v_lshl_add_u64 v[10:11], v[4:5], 2, s[10:11]
	s_mov_b32 s5, 0
.LBB2386_142:                           ;   Parent Loop BB2386_139 Depth=1
                                        ; =>  This Inner Loop Header: Depth=2
	global_load_b32 v9, v[10:11], off scope:SCOPE_DEV
	s_wait_loadcnt 0x0
	v_cmp_lt_u32_e64 s0, 0x3fffffff, v9
	s_or_b32 s5, s0, s5
	s_wait_xcnt 0x0
	s_and_not1_b32 exec_lo, exec_lo, s5
	s_cbranch_execnz .LBB2386_142
	s_branch .LBB2386_137
.LBB2386_143:                           ;   in Loop: Header=BB2386_139 Depth=1
                                        ; implicit-def: $sgpr3
	s_and_b32 s4, exec_lo, s0
	s_delay_alu instid0(SALU_CYCLE_1)
	s_or_b32 s2, s4, s2
	s_wait_xcnt 0x0
	s_and_not1_b32 exec_lo, exec_lo, s2
	s_cbranch_execnz .LBB2386_139
.LBB2386_144:
	s_or_b32 exec_lo, exec_lo, s2
	v_dual_mov_b32 v9, 0 :: v_dual_add_nc_u32 v4, v8, v2
	s_delay_alu instid0(VALU_DEP_1) | instskip(SKIP_4) | instid1(VALU_DEP_1)
	v_or_b32_e32 v4, 0x80000000, v4
	global_store_b32 v[6:7], v4, off scope:SCOPE_DEV
	global_load_b64 v[4:5], v14, s[12:13] scale_offset
	v_sub_nc_u64_e32 v[6:7], v[8:9], v[0:1]
	s_wait_loadcnt 0x0
	v_add_nc_u64_e32 v[4:5], v[6:7], v[4:5]
	ds_store_b64 v3, v[4:5]
.LBB2386_145:
	s_wait_xcnt 0x0
	s_or_b32 exec_lo, exec_lo, s1
	v_mad_i32_i24 v15, v14, -6, v3
	s_wait_storecnt_dscnt 0x0
	s_barrier_signal -1
	s_barrier_wait -1
	ds_load_u16 v6, v15 offset:2048
	ds_load_u16 v7, v15 offset:3072
	;; [unrolled: 1-line block ×8, first 2 shown]
	v_dual_mov_b32 v5, 0 :: v_dual_lshlrev_b32 v4, 1, v14
	s_add_co_i32 s8, s8, -1
	s_delay_alu instid0(SALU_CYCLE_1) | instskip(SKIP_2) | instid1(SALU_CYCLE_1)
	s_cmp_eq_u32 s23, s8
	s_cselect_b32 s0, -1, 0
	s_xor_b32 s1, vcc_lo, -1
	s_and_b32 s0, s1, s0
	s_wait_dscnt 0x7
	v_and_b32_e32 v10, 0xffff, v6
	v_xor_b32_e32 v20, -1, v6
	s_wait_dscnt 0x6
	v_and_b32_e32 v6, 0xffff, v7
	v_xor_b32_e32 v21, -1, v7
	;; [unrolled: 3-line block ×4, first 2 shown]
	s_wait_dscnt 0x3
	v_and_b32_e32 v9, 0xffff, v22
	v_lshrrev_b32_e32 v10, s20, v10
	v_dual_lshrrev_b32 v6, s20, v6 :: v_dual_lshrrev_b32 v7, s20, v7
	s_wait_dscnt 0x2
	v_and_b32_e32 v11, 0xffff, v24
	v_dual_lshrrev_b32 v8, s20, v8 :: v_dual_lshrrev_b32 v16, s20, v9
	v_and_b32_e32 v9, s9, v10
	s_delay_alu instid0(VALU_DEP_3)
	v_dual_lshrrev_b32 v17, s20, v11 :: v_dual_bitop2_b32 v6, s9, v6 bitop3:0x40
	v_and_b32_e32 v7, s9, v7
	s_wait_dscnt 0x1
	v_and_b32_e32 v12, 0xffff, v26
	s_wait_dscnt 0x0
	v_and_b32_e32 v13, 0xffff, v27
	v_dual_lshlrev_b32 v8, 3, v9 :: v_dual_bitop2_b32 v18, s9, v8 bitop3:0x40
	v_dual_lshlrev_b32 v9, 3, v6 :: v_dual_lshlrev_b32 v10, 3, v7
	v_lshrrev_b32_e32 v12, s20, v12
	ds_load_u16 v29, v15 offset:10240
	ds_load_u16 v30, v15 offset:11264
	;; [unrolled: 1-line block ×3, first 2 shown]
	ds_load_b64 v[6:7], v8
	ds_load_b64 v[8:9], v9
	;; [unrolled: 1-line block ×3, first 2 shown]
	v_dual_lshrrev_b32 v13, s20, v13 :: v_dual_bitop2_b32 v16, s9, v16 bitop3:0x40
	v_dual_lshlrev_b32 v18, 3, v18 :: v_dual_bitop2_b32 v17, s9, v17 bitop3:0x40
	v_and_b32_e32 v19, s9, v12
	s_delay_alu instid0(VALU_DEP_3)
	v_dual_lshlrev_b32 v16, 3, v16 :: v_dual_bitop2_b32 v25, s9, v13 bitop3:0x40
	ds_load_b64 v[12:13], v18
	v_dual_lshlrev_b32 v18, 3, v17 :: v_dual_lshlrev_b32 v32, 3, v19
	v_lshlrev_b32_e32 v25, 3, v25
	ds_load_u16 v15, v15 offset:13312
	ds_load_b64 v[16:17], v16
	ds_load_b64 v[18:19], v18
	s_wait_dscnt 0x9
	v_and_b32_e32 v33, 0xffff, v29
	s_wait_dscnt 0x8
	v_and_b32_e32 v34, 0xffff, v30
	;; [unrolled: 2-line block ×3, first 2 shown]
	s_wait_dscnt 0x6
	v_lshl_add_u64 v[6:7], v[6:7], 1, s[18:19]
	s_wait_dscnt 0x5
	v_lshl_add_u64 v[8:9], v[8:9], 1, s[18:19]
	;; [unrolled: 2-line block ×3, first 2 shown]
	v_dual_lshrrev_b32 v33, s20, v33 :: v_dual_lshrrev_b32 v34, s20, v34
	v_add_nc_u64_e32 v[6:7], v[6:7], v[4:5]
	v_add_nc_u64_e32 v[8:9], v[8:9], v[4:5]
	s_delay_alu instid0(VALU_DEP_4) | instskip(NEXT) | instid1(VALU_DEP_4)
	v_add_nc_u64_e32 v[10:11], v[10:11], v[4:5]
	v_and_b32_e32 v33, s9, v33
	s_clause 0x2
	global_store_b16 v[6:7], v20, off
	global_store_b16 v[8:9], v21, off offset:1024
	global_store_b16 v[10:11], v23, off offset:2048
	s_wait_dscnt 0x2
	s_wait_xcnt 0x0
	v_and_b32_e32 v10, 0xffff, v15
	v_dual_lshrrev_b32 v21, s20, v35 :: v_dual_bitop2_b32 v34, s9, v34 bitop3:0x40
	v_lshlrev_b32_e32 v20, 3, v33
	ds_load_b64 v[6:7], v32
	ds_load_b64 v[8:9], v25
	v_lshrrev_b32_e32 v25, s20, v10
	s_wait_dscnt 0x3
	v_lshl_add_u64 v[10:11], v[16:17], 1, s[18:19]
	v_dual_lshlrev_b32 v23, 3, v34 :: v_dual_bitop2_b32 v32, s9, v21 bitop3:0x40
	ds_load_b64 v[16:17], v20
	v_xor_b32_e32 v33, -1, v22
	v_xor_b32_e32 v34, -1, v24
	ds_load_b64 v[20:21], v23
	v_dual_lshlrev_b32 v25, 3, v32 :: v_dual_bitop2_b32 v23, s9, v25 bitop3:0x40
	v_lshl_add_u64 v[12:13], v[12:13], 1, s[18:19]
	s_wait_dscnt 0x4
	v_lshl_add_u64 v[18:19], v[18:19], 1, s[18:19]
	v_add_nc_u64_e32 v[10:11], v[10:11], v[4:5]
	v_lshlrev_b32_e32 v32, 3, v23
	ds_load_b64 v[22:23], v25
	v_add_nc_u64_e32 v[12:13], v[12:13], v[4:5]
	v_add_nc_u64_e32 v[18:19], v[18:19], v[4:5]
	ds_load_b64 v[24:25], v32
	s_wait_dscnt 0x5
	v_lshl_add_u64 v[6:7], v[6:7], 1, s[18:19]
	s_wait_dscnt 0x4
	v_lshl_add_u64 v[8:9], v[8:9], 1, s[18:19]
	s_clause 0x2
	global_store_b16 v[12:13], v28, off offset:3072
	global_store_b16 v[10:11], v33, off offset:4096
	;; [unrolled: 1-line block ×3, first 2 shown]
	v_add_nc_u64_e32 v[6:7], v[6:7], v[4:5]
	v_add_nc_u64_e32 v[8:9], v[8:9], v[4:5]
	s_wait_xcnt 0x0
	v_xor_b32_e32 v18, -1, v26
	s_wait_dscnt 0x3
	v_lshl_add_u64 v[10:11], v[16:17], 1, s[18:19]
	v_xor_b32_e32 v16, -1, v27
	s_wait_dscnt 0x2
	v_lshl_add_u64 v[12:13], v[20:21], 1, s[18:19]
	v_xor_b32_e32 v17, -1, v29
	global_store_b16 v[6:7], v18, off offset:6144
	v_add_nc_u64_e32 v[10:11], v[10:11], v[4:5]
	global_store_b16 v[8:9], v16, off offset:7168
	s_wait_dscnt 0x1
	s_wait_xcnt 0x1
	v_lshl_add_u64 v[6:7], v[22:23], 1, s[18:19]
	v_add_nc_u64_e32 v[12:13], v[12:13], v[4:5]
	v_xor_b32_e32 v18, -1, v30
	s_wait_dscnt 0x0
	s_wait_xcnt 0x0
	v_lshl_add_u64 v[8:9], v[24:25], 1, s[18:19]
	v_add_nc_u64_e32 v[6:7], v[6:7], v[4:5]
	global_store_b16 v[10:11], v17, off offset:8192
	s_wait_xcnt 0x0
	v_xor_b32_e32 v10, -1, v31
	global_store_b16 v[12:13], v18, off offset:9216
	v_add_nc_u64_e32 v[8:9], v[8:9], v[4:5]
	v_xor_b32_e32 v4, -1, v15
	s_clause 0x1
	global_store_b16 v[6:7], v10, off offset:10240
	global_store_b16 v[8:9], v4, off offset:11264
	s_wait_xcnt 0x0
	s_and_saveexec_b32 s1, s0
	s_cbranch_execz .LBB2386_147
; %bb.146:
	ds_load_b64 v[6:7], v3
	v_mov_b32_e32 v3, v5
	s_delay_alu instid0(VALU_DEP_1) | instskip(SKIP_1) | instid1(VALU_DEP_1)
	v_add_nc_u64_e32 v[0:1], v[0:1], v[2:3]
	s_wait_dscnt 0x0
	v_add_nc_u64_e32 v[0:1], v[0:1], v[6:7]
	global_store_b64 v14, v[0:1], s[14:15] scale_offset
.LBB2386_147:
	s_sendmsg sendmsg(MSG_DEALLOC_VGPRS)
	s_endpgm
	.section	.rodata,"a",@progbits
	.p2align	6, 0x0
	.amdhsa_kernel _ZN7rocprim17ROCPRIM_400000_NS6detail17trampoline_kernelINS0_14default_configENS1_35radix_sort_onesweep_config_selectorItNS0_10empty_typeEEEZZNS1_29radix_sort_onesweep_iterationIS3_Lb1EPKtPtPS5_SB_mNS0_19identity_decomposerENS1_16block_id_wrapperIjLb1EEEEE10hipError_tT1_PNSt15iterator_traitsISG_E10value_typeET2_T3_PNSH_ISM_E10value_typeET4_T5_PSR_SS_PNS1_23onesweep_lookback_stateEbbT6_jjT7_P12ihipStream_tbENKUlT_T0_SG_SL_E_clIS9_SA_SB_SB_EEDaSZ_S10_SG_SL_EUlSZ_E_NS1_11comp_targetILNS1_3genE0ELNS1_11target_archE4294967295ELNS1_3gpuE0ELNS1_3repE0EEENS1_47radix_sort_onesweep_sort_config_static_selectorELNS0_4arch9wavefront6targetE0EEEvSG_
		.amdhsa_group_segment_fixed_size 18504
		.amdhsa_private_segment_fixed_size 0
		.amdhsa_kernarg_size 344
		.amdhsa_user_sgpr_count 2
		.amdhsa_user_sgpr_dispatch_ptr 0
		.amdhsa_user_sgpr_queue_ptr 0
		.amdhsa_user_sgpr_kernarg_segment_ptr 1
		.amdhsa_user_sgpr_dispatch_id 0
		.amdhsa_user_sgpr_kernarg_preload_length 0
		.amdhsa_user_sgpr_kernarg_preload_offset 0
		.amdhsa_user_sgpr_private_segment_size 0
		.amdhsa_wavefront_size32 1
		.amdhsa_uses_dynamic_stack 0
		.amdhsa_enable_private_segment 0
		.amdhsa_system_sgpr_workgroup_id_x 1
		.amdhsa_system_sgpr_workgroup_id_y 0
		.amdhsa_system_sgpr_workgroup_id_z 0
		.amdhsa_system_sgpr_workgroup_info 0
		.amdhsa_system_vgpr_workitem_id 2
		.amdhsa_next_free_vgpr 65
		.amdhsa_next_free_sgpr 30
		.amdhsa_named_barrier_count 0
		.amdhsa_reserve_vcc 1
		.amdhsa_float_round_mode_32 0
		.amdhsa_float_round_mode_16_64 0
		.amdhsa_float_denorm_mode_32 3
		.amdhsa_float_denorm_mode_16_64 3
		.amdhsa_fp16_overflow 0
		.amdhsa_memory_ordered 1
		.amdhsa_forward_progress 1
		.amdhsa_inst_pref_size 135
		.amdhsa_round_robin_scheduling 0
		.amdhsa_exception_fp_ieee_invalid_op 0
		.amdhsa_exception_fp_denorm_src 0
		.amdhsa_exception_fp_ieee_div_zero 0
		.amdhsa_exception_fp_ieee_overflow 0
		.amdhsa_exception_fp_ieee_underflow 0
		.amdhsa_exception_fp_ieee_inexact 0
		.amdhsa_exception_int_div_zero 0
	.end_amdhsa_kernel
	.section	.text._ZN7rocprim17ROCPRIM_400000_NS6detail17trampoline_kernelINS0_14default_configENS1_35radix_sort_onesweep_config_selectorItNS0_10empty_typeEEEZZNS1_29radix_sort_onesweep_iterationIS3_Lb1EPKtPtPS5_SB_mNS0_19identity_decomposerENS1_16block_id_wrapperIjLb1EEEEE10hipError_tT1_PNSt15iterator_traitsISG_E10value_typeET2_T3_PNSH_ISM_E10value_typeET4_T5_PSR_SS_PNS1_23onesweep_lookback_stateEbbT6_jjT7_P12ihipStream_tbENKUlT_T0_SG_SL_E_clIS9_SA_SB_SB_EEDaSZ_S10_SG_SL_EUlSZ_E_NS1_11comp_targetILNS1_3genE0ELNS1_11target_archE4294967295ELNS1_3gpuE0ELNS1_3repE0EEENS1_47radix_sort_onesweep_sort_config_static_selectorELNS0_4arch9wavefront6targetE0EEEvSG_,"axG",@progbits,_ZN7rocprim17ROCPRIM_400000_NS6detail17trampoline_kernelINS0_14default_configENS1_35radix_sort_onesweep_config_selectorItNS0_10empty_typeEEEZZNS1_29radix_sort_onesweep_iterationIS3_Lb1EPKtPtPS5_SB_mNS0_19identity_decomposerENS1_16block_id_wrapperIjLb1EEEEE10hipError_tT1_PNSt15iterator_traitsISG_E10value_typeET2_T3_PNSH_ISM_E10value_typeET4_T5_PSR_SS_PNS1_23onesweep_lookback_stateEbbT6_jjT7_P12ihipStream_tbENKUlT_T0_SG_SL_E_clIS9_SA_SB_SB_EEDaSZ_S10_SG_SL_EUlSZ_E_NS1_11comp_targetILNS1_3genE0ELNS1_11target_archE4294967295ELNS1_3gpuE0ELNS1_3repE0EEENS1_47radix_sort_onesweep_sort_config_static_selectorELNS0_4arch9wavefront6targetE0EEEvSG_,comdat
.Lfunc_end2386:
	.size	_ZN7rocprim17ROCPRIM_400000_NS6detail17trampoline_kernelINS0_14default_configENS1_35radix_sort_onesweep_config_selectorItNS0_10empty_typeEEEZZNS1_29radix_sort_onesweep_iterationIS3_Lb1EPKtPtPS5_SB_mNS0_19identity_decomposerENS1_16block_id_wrapperIjLb1EEEEE10hipError_tT1_PNSt15iterator_traitsISG_E10value_typeET2_T3_PNSH_ISM_E10value_typeET4_T5_PSR_SS_PNS1_23onesweep_lookback_stateEbbT6_jjT7_P12ihipStream_tbENKUlT_T0_SG_SL_E_clIS9_SA_SB_SB_EEDaSZ_S10_SG_SL_EUlSZ_E_NS1_11comp_targetILNS1_3genE0ELNS1_11target_archE4294967295ELNS1_3gpuE0ELNS1_3repE0EEENS1_47radix_sort_onesweep_sort_config_static_selectorELNS0_4arch9wavefront6targetE0EEEvSG_, .Lfunc_end2386-_ZN7rocprim17ROCPRIM_400000_NS6detail17trampoline_kernelINS0_14default_configENS1_35radix_sort_onesweep_config_selectorItNS0_10empty_typeEEEZZNS1_29radix_sort_onesweep_iterationIS3_Lb1EPKtPtPS5_SB_mNS0_19identity_decomposerENS1_16block_id_wrapperIjLb1EEEEE10hipError_tT1_PNSt15iterator_traitsISG_E10value_typeET2_T3_PNSH_ISM_E10value_typeET4_T5_PSR_SS_PNS1_23onesweep_lookback_stateEbbT6_jjT7_P12ihipStream_tbENKUlT_T0_SG_SL_E_clIS9_SA_SB_SB_EEDaSZ_S10_SG_SL_EUlSZ_E_NS1_11comp_targetILNS1_3genE0ELNS1_11target_archE4294967295ELNS1_3gpuE0ELNS1_3repE0EEENS1_47radix_sort_onesweep_sort_config_static_selectorELNS0_4arch9wavefront6targetE0EEEvSG_
                                        ; -- End function
	.set _ZN7rocprim17ROCPRIM_400000_NS6detail17trampoline_kernelINS0_14default_configENS1_35radix_sort_onesweep_config_selectorItNS0_10empty_typeEEEZZNS1_29radix_sort_onesweep_iterationIS3_Lb1EPKtPtPS5_SB_mNS0_19identity_decomposerENS1_16block_id_wrapperIjLb1EEEEE10hipError_tT1_PNSt15iterator_traitsISG_E10value_typeET2_T3_PNSH_ISM_E10value_typeET4_T5_PSR_SS_PNS1_23onesweep_lookback_stateEbbT6_jjT7_P12ihipStream_tbENKUlT_T0_SG_SL_E_clIS9_SA_SB_SB_EEDaSZ_S10_SG_SL_EUlSZ_E_NS1_11comp_targetILNS1_3genE0ELNS1_11target_archE4294967295ELNS1_3gpuE0ELNS1_3repE0EEENS1_47radix_sort_onesweep_sort_config_static_selectorELNS0_4arch9wavefront6targetE0EEEvSG_.num_vgpr, 65
	.set _ZN7rocprim17ROCPRIM_400000_NS6detail17trampoline_kernelINS0_14default_configENS1_35radix_sort_onesweep_config_selectorItNS0_10empty_typeEEEZZNS1_29radix_sort_onesweep_iterationIS3_Lb1EPKtPtPS5_SB_mNS0_19identity_decomposerENS1_16block_id_wrapperIjLb1EEEEE10hipError_tT1_PNSt15iterator_traitsISG_E10value_typeET2_T3_PNSH_ISM_E10value_typeET4_T5_PSR_SS_PNS1_23onesweep_lookback_stateEbbT6_jjT7_P12ihipStream_tbENKUlT_T0_SG_SL_E_clIS9_SA_SB_SB_EEDaSZ_S10_SG_SL_EUlSZ_E_NS1_11comp_targetILNS1_3genE0ELNS1_11target_archE4294967295ELNS1_3gpuE0ELNS1_3repE0EEENS1_47radix_sort_onesweep_sort_config_static_selectorELNS0_4arch9wavefront6targetE0EEEvSG_.num_agpr, 0
	.set _ZN7rocprim17ROCPRIM_400000_NS6detail17trampoline_kernelINS0_14default_configENS1_35radix_sort_onesweep_config_selectorItNS0_10empty_typeEEEZZNS1_29radix_sort_onesweep_iterationIS3_Lb1EPKtPtPS5_SB_mNS0_19identity_decomposerENS1_16block_id_wrapperIjLb1EEEEE10hipError_tT1_PNSt15iterator_traitsISG_E10value_typeET2_T3_PNSH_ISM_E10value_typeET4_T5_PSR_SS_PNS1_23onesweep_lookback_stateEbbT6_jjT7_P12ihipStream_tbENKUlT_T0_SG_SL_E_clIS9_SA_SB_SB_EEDaSZ_S10_SG_SL_EUlSZ_E_NS1_11comp_targetILNS1_3genE0ELNS1_11target_archE4294967295ELNS1_3gpuE0ELNS1_3repE0EEENS1_47radix_sort_onesweep_sort_config_static_selectorELNS0_4arch9wavefront6targetE0EEEvSG_.numbered_sgpr, 30
	.set _ZN7rocprim17ROCPRIM_400000_NS6detail17trampoline_kernelINS0_14default_configENS1_35radix_sort_onesweep_config_selectorItNS0_10empty_typeEEEZZNS1_29radix_sort_onesweep_iterationIS3_Lb1EPKtPtPS5_SB_mNS0_19identity_decomposerENS1_16block_id_wrapperIjLb1EEEEE10hipError_tT1_PNSt15iterator_traitsISG_E10value_typeET2_T3_PNSH_ISM_E10value_typeET4_T5_PSR_SS_PNS1_23onesweep_lookback_stateEbbT6_jjT7_P12ihipStream_tbENKUlT_T0_SG_SL_E_clIS9_SA_SB_SB_EEDaSZ_S10_SG_SL_EUlSZ_E_NS1_11comp_targetILNS1_3genE0ELNS1_11target_archE4294967295ELNS1_3gpuE0ELNS1_3repE0EEENS1_47radix_sort_onesweep_sort_config_static_selectorELNS0_4arch9wavefront6targetE0EEEvSG_.num_named_barrier, 0
	.set _ZN7rocprim17ROCPRIM_400000_NS6detail17trampoline_kernelINS0_14default_configENS1_35radix_sort_onesweep_config_selectorItNS0_10empty_typeEEEZZNS1_29radix_sort_onesweep_iterationIS3_Lb1EPKtPtPS5_SB_mNS0_19identity_decomposerENS1_16block_id_wrapperIjLb1EEEEE10hipError_tT1_PNSt15iterator_traitsISG_E10value_typeET2_T3_PNSH_ISM_E10value_typeET4_T5_PSR_SS_PNS1_23onesweep_lookback_stateEbbT6_jjT7_P12ihipStream_tbENKUlT_T0_SG_SL_E_clIS9_SA_SB_SB_EEDaSZ_S10_SG_SL_EUlSZ_E_NS1_11comp_targetILNS1_3genE0ELNS1_11target_archE4294967295ELNS1_3gpuE0ELNS1_3repE0EEENS1_47radix_sort_onesweep_sort_config_static_selectorELNS0_4arch9wavefront6targetE0EEEvSG_.private_seg_size, 0
	.set _ZN7rocprim17ROCPRIM_400000_NS6detail17trampoline_kernelINS0_14default_configENS1_35radix_sort_onesweep_config_selectorItNS0_10empty_typeEEEZZNS1_29radix_sort_onesweep_iterationIS3_Lb1EPKtPtPS5_SB_mNS0_19identity_decomposerENS1_16block_id_wrapperIjLb1EEEEE10hipError_tT1_PNSt15iterator_traitsISG_E10value_typeET2_T3_PNSH_ISM_E10value_typeET4_T5_PSR_SS_PNS1_23onesweep_lookback_stateEbbT6_jjT7_P12ihipStream_tbENKUlT_T0_SG_SL_E_clIS9_SA_SB_SB_EEDaSZ_S10_SG_SL_EUlSZ_E_NS1_11comp_targetILNS1_3genE0ELNS1_11target_archE4294967295ELNS1_3gpuE0ELNS1_3repE0EEENS1_47radix_sort_onesweep_sort_config_static_selectorELNS0_4arch9wavefront6targetE0EEEvSG_.uses_vcc, 1
	.set _ZN7rocprim17ROCPRIM_400000_NS6detail17trampoline_kernelINS0_14default_configENS1_35radix_sort_onesweep_config_selectorItNS0_10empty_typeEEEZZNS1_29radix_sort_onesweep_iterationIS3_Lb1EPKtPtPS5_SB_mNS0_19identity_decomposerENS1_16block_id_wrapperIjLb1EEEEE10hipError_tT1_PNSt15iterator_traitsISG_E10value_typeET2_T3_PNSH_ISM_E10value_typeET4_T5_PSR_SS_PNS1_23onesweep_lookback_stateEbbT6_jjT7_P12ihipStream_tbENKUlT_T0_SG_SL_E_clIS9_SA_SB_SB_EEDaSZ_S10_SG_SL_EUlSZ_E_NS1_11comp_targetILNS1_3genE0ELNS1_11target_archE4294967295ELNS1_3gpuE0ELNS1_3repE0EEENS1_47radix_sort_onesweep_sort_config_static_selectorELNS0_4arch9wavefront6targetE0EEEvSG_.uses_flat_scratch, 0
	.set _ZN7rocprim17ROCPRIM_400000_NS6detail17trampoline_kernelINS0_14default_configENS1_35radix_sort_onesweep_config_selectorItNS0_10empty_typeEEEZZNS1_29radix_sort_onesweep_iterationIS3_Lb1EPKtPtPS5_SB_mNS0_19identity_decomposerENS1_16block_id_wrapperIjLb1EEEEE10hipError_tT1_PNSt15iterator_traitsISG_E10value_typeET2_T3_PNSH_ISM_E10value_typeET4_T5_PSR_SS_PNS1_23onesweep_lookback_stateEbbT6_jjT7_P12ihipStream_tbENKUlT_T0_SG_SL_E_clIS9_SA_SB_SB_EEDaSZ_S10_SG_SL_EUlSZ_E_NS1_11comp_targetILNS1_3genE0ELNS1_11target_archE4294967295ELNS1_3gpuE0ELNS1_3repE0EEENS1_47radix_sort_onesweep_sort_config_static_selectorELNS0_4arch9wavefront6targetE0EEEvSG_.has_dyn_sized_stack, 0
	.set _ZN7rocprim17ROCPRIM_400000_NS6detail17trampoline_kernelINS0_14default_configENS1_35radix_sort_onesweep_config_selectorItNS0_10empty_typeEEEZZNS1_29radix_sort_onesweep_iterationIS3_Lb1EPKtPtPS5_SB_mNS0_19identity_decomposerENS1_16block_id_wrapperIjLb1EEEEE10hipError_tT1_PNSt15iterator_traitsISG_E10value_typeET2_T3_PNSH_ISM_E10value_typeET4_T5_PSR_SS_PNS1_23onesweep_lookback_stateEbbT6_jjT7_P12ihipStream_tbENKUlT_T0_SG_SL_E_clIS9_SA_SB_SB_EEDaSZ_S10_SG_SL_EUlSZ_E_NS1_11comp_targetILNS1_3genE0ELNS1_11target_archE4294967295ELNS1_3gpuE0ELNS1_3repE0EEENS1_47radix_sort_onesweep_sort_config_static_selectorELNS0_4arch9wavefront6targetE0EEEvSG_.has_recursion, 0
	.set _ZN7rocprim17ROCPRIM_400000_NS6detail17trampoline_kernelINS0_14default_configENS1_35radix_sort_onesweep_config_selectorItNS0_10empty_typeEEEZZNS1_29radix_sort_onesweep_iterationIS3_Lb1EPKtPtPS5_SB_mNS0_19identity_decomposerENS1_16block_id_wrapperIjLb1EEEEE10hipError_tT1_PNSt15iterator_traitsISG_E10value_typeET2_T3_PNSH_ISM_E10value_typeET4_T5_PSR_SS_PNS1_23onesweep_lookback_stateEbbT6_jjT7_P12ihipStream_tbENKUlT_T0_SG_SL_E_clIS9_SA_SB_SB_EEDaSZ_S10_SG_SL_EUlSZ_E_NS1_11comp_targetILNS1_3genE0ELNS1_11target_archE4294967295ELNS1_3gpuE0ELNS1_3repE0EEENS1_47radix_sort_onesweep_sort_config_static_selectorELNS0_4arch9wavefront6targetE0EEEvSG_.has_indirect_call, 0
	.section	.AMDGPU.csdata,"",@progbits
; Kernel info:
; codeLenInByte = 17208
; TotalNumSgprs: 32
; NumVgprs: 65
; ScratchSize: 0
; MemoryBound: 0
; FloatMode: 240
; IeeeMode: 1
; LDSByteSize: 18504 bytes/workgroup (compile time only)
; SGPRBlocks: 0
; VGPRBlocks: 4
; NumSGPRsForWavesPerEU: 32
; NumVGPRsForWavesPerEU: 65
; NamedBarCnt: 0
; Occupancy: 12
; WaveLimiterHint : 0
; COMPUTE_PGM_RSRC2:SCRATCH_EN: 0
; COMPUTE_PGM_RSRC2:USER_SGPR: 2
; COMPUTE_PGM_RSRC2:TRAP_HANDLER: 0
; COMPUTE_PGM_RSRC2:TGID_X_EN: 1
; COMPUTE_PGM_RSRC2:TGID_Y_EN: 0
; COMPUTE_PGM_RSRC2:TGID_Z_EN: 0
; COMPUTE_PGM_RSRC2:TIDIG_COMP_CNT: 2
	.section	.text._ZN7rocprim17ROCPRIM_400000_NS6detail17trampoline_kernelINS0_14default_configENS1_35radix_sort_onesweep_config_selectorItNS0_10empty_typeEEEZZNS1_29radix_sort_onesweep_iterationIS3_Lb1EPKtPtPS5_SB_mNS0_19identity_decomposerENS1_16block_id_wrapperIjLb1EEEEE10hipError_tT1_PNSt15iterator_traitsISG_E10value_typeET2_T3_PNSH_ISM_E10value_typeET4_T5_PSR_SS_PNS1_23onesweep_lookback_stateEbbT6_jjT7_P12ihipStream_tbENKUlT_T0_SG_SL_E_clIS9_SA_SB_SB_EEDaSZ_S10_SG_SL_EUlSZ_E_NS1_11comp_targetILNS1_3genE6ELNS1_11target_archE950ELNS1_3gpuE13ELNS1_3repE0EEENS1_47radix_sort_onesweep_sort_config_static_selectorELNS0_4arch9wavefront6targetE0EEEvSG_,"axG",@progbits,_ZN7rocprim17ROCPRIM_400000_NS6detail17trampoline_kernelINS0_14default_configENS1_35radix_sort_onesweep_config_selectorItNS0_10empty_typeEEEZZNS1_29radix_sort_onesweep_iterationIS3_Lb1EPKtPtPS5_SB_mNS0_19identity_decomposerENS1_16block_id_wrapperIjLb1EEEEE10hipError_tT1_PNSt15iterator_traitsISG_E10value_typeET2_T3_PNSH_ISM_E10value_typeET4_T5_PSR_SS_PNS1_23onesweep_lookback_stateEbbT6_jjT7_P12ihipStream_tbENKUlT_T0_SG_SL_E_clIS9_SA_SB_SB_EEDaSZ_S10_SG_SL_EUlSZ_E_NS1_11comp_targetILNS1_3genE6ELNS1_11target_archE950ELNS1_3gpuE13ELNS1_3repE0EEENS1_47radix_sort_onesweep_sort_config_static_selectorELNS0_4arch9wavefront6targetE0EEEvSG_,comdat
	.protected	_ZN7rocprim17ROCPRIM_400000_NS6detail17trampoline_kernelINS0_14default_configENS1_35radix_sort_onesweep_config_selectorItNS0_10empty_typeEEEZZNS1_29radix_sort_onesweep_iterationIS3_Lb1EPKtPtPS5_SB_mNS0_19identity_decomposerENS1_16block_id_wrapperIjLb1EEEEE10hipError_tT1_PNSt15iterator_traitsISG_E10value_typeET2_T3_PNSH_ISM_E10value_typeET4_T5_PSR_SS_PNS1_23onesweep_lookback_stateEbbT6_jjT7_P12ihipStream_tbENKUlT_T0_SG_SL_E_clIS9_SA_SB_SB_EEDaSZ_S10_SG_SL_EUlSZ_E_NS1_11comp_targetILNS1_3genE6ELNS1_11target_archE950ELNS1_3gpuE13ELNS1_3repE0EEENS1_47radix_sort_onesweep_sort_config_static_selectorELNS0_4arch9wavefront6targetE0EEEvSG_ ; -- Begin function _ZN7rocprim17ROCPRIM_400000_NS6detail17trampoline_kernelINS0_14default_configENS1_35radix_sort_onesweep_config_selectorItNS0_10empty_typeEEEZZNS1_29radix_sort_onesweep_iterationIS3_Lb1EPKtPtPS5_SB_mNS0_19identity_decomposerENS1_16block_id_wrapperIjLb1EEEEE10hipError_tT1_PNSt15iterator_traitsISG_E10value_typeET2_T3_PNSH_ISM_E10value_typeET4_T5_PSR_SS_PNS1_23onesweep_lookback_stateEbbT6_jjT7_P12ihipStream_tbENKUlT_T0_SG_SL_E_clIS9_SA_SB_SB_EEDaSZ_S10_SG_SL_EUlSZ_E_NS1_11comp_targetILNS1_3genE6ELNS1_11target_archE950ELNS1_3gpuE13ELNS1_3repE0EEENS1_47radix_sort_onesweep_sort_config_static_selectorELNS0_4arch9wavefront6targetE0EEEvSG_
	.globl	_ZN7rocprim17ROCPRIM_400000_NS6detail17trampoline_kernelINS0_14default_configENS1_35radix_sort_onesweep_config_selectorItNS0_10empty_typeEEEZZNS1_29radix_sort_onesweep_iterationIS3_Lb1EPKtPtPS5_SB_mNS0_19identity_decomposerENS1_16block_id_wrapperIjLb1EEEEE10hipError_tT1_PNSt15iterator_traitsISG_E10value_typeET2_T3_PNSH_ISM_E10value_typeET4_T5_PSR_SS_PNS1_23onesweep_lookback_stateEbbT6_jjT7_P12ihipStream_tbENKUlT_T0_SG_SL_E_clIS9_SA_SB_SB_EEDaSZ_S10_SG_SL_EUlSZ_E_NS1_11comp_targetILNS1_3genE6ELNS1_11target_archE950ELNS1_3gpuE13ELNS1_3repE0EEENS1_47radix_sort_onesweep_sort_config_static_selectorELNS0_4arch9wavefront6targetE0EEEvSG_
	.p2align	8
	.type	_ZN7rocprim17ROCPRIM_400000_NS6detail17trampoline_kernelINS0_14default_configENS1_35radix_sort_onesweep_config_selectorItNS0_10empty_typeEEEZZNS1_29radix_sort_onesweep_iterationIS3_Lb1EPKtPtPS5_SB_mNS0_19identity_decomposerENS1_16block_id_wrapperIjLb1EEEEE10hipError_tT1_PNSt15iterator_traitsISG_E10value_typeET2_T3_PNSH_ISM_E10value_typeET4_T5_PSR_SS_PNS1_23onesweep_lookback_stateEbbT6_jjT7_P12ihipStream_tbENKUlT_T0_SG_SL_E_clIS9_SA_SB_SB_EEDaSZ_S10_SG_SL_EUlSZ_E_NS1_11comp_targetILNS1_3genE6ELNS1_11target_archE950ELNS1_3gpuE13ELNS1_3repE0EEENS1_47radix_sort_onesweep_sort_config_static_selectorELNS0_4arch9wavefront6targetE0EEEvSG_,@function
_ZN7rocprim17ROCPRIM_400000_NS6detail17trampoline_kernelINS0_14default_configENS1_35radix_sort_onesweep_config_selectorItNS0_10empty_typeEEEZZNS1_29radix_sort_onesweep_iterationIS3_Lb1EPKtPtPS5_SB_mNS0_19identity_decomposerENS1_16block_id_wrapperIjLb1EEEEE10hipError_tT1_PNSt15iterator_traitsISG_E10value_typeET2_T3_PNSH_ISM_E10value_typeET4_T5_PSR_SS_PNS1_23onesweep_lookback_stateEbbT6_jjT7_P12ihipStream_tbENKUlT_T0_SG_SL_E_clIS9_SA_SB_SB_EEDaSZ_S10_SG_SL_EUlSZ_E_NS1_11comp_targetILNS1_3genE6ELNS1_11target_archE950ELNS1_3gpuE13ELNS1_3repE0EEENS1_47radix_sort_onesweep_sort_config_static_selectorELNS0_4arch9wavefront6targetE0EEEvSG_: ; @_ZN7rocprim17ROCPRIM_400000_NS6detail17trampoline_kernelINS0_14default_configENS1_35radix_sort_onesweep_config_selectorItNS0_10empty_typeEEEZZNS1_29radix_sort_onesweep_iterationIS3_Lb1EPKtPtPS5_SB_mNS0_19identity_decomposerENS1_16block_id_wrapperIjLb1EEEEE10hipError_tT1_PNSt15iterator_traitsISG_E10value_typeET2_T3_PNSH_ISM_E10value_typeET4_T5_PSR_SS_PNS1_23onesweep_lookback_stateEbbT6_jjT7_P12ihipStream_tbENKUlT_T0_SG_SL_E_clIS9_SA_SB_SB_EEDaSZ_S10_SG_SL_EUlSZ_E_NS1_11comp_targetILNS1_3genE6ELNS1_11target_archE950ELNS1_3gpuE13ELNS1_3repE0EEENS1_47radix_sort_onesweep_sort_config_static_selectorELNS0_4arch9wavefront6targetE0EEEvSG_
; %bb.0:
	.section	.rodata,"a",@progbits
	.p2align	6, 0x0
	.amdhsa_kernel _ZN7rocprim17ROCPRIM_400000_NS6detail17trampoline_kernelINS0_14default_configENS1_35radix_sort_onesweep_config_selectorItNS0_10empty_typeEEEZZNS1_29radix_sort_onesweep_iterationIS3_Lb1EPKtPtPS5_SB_mNS0_19identity_decomposerENS1_16block_id_wrapperIjLb1EEEEE10hipError_tT1_PNSt15iterator_traitsISG_E10value_typeET2_T3_PNSH_ISM_E10value_typeET4_T5_PSR_SS_PNS1_23onesweep_lookback_stateEbbT6_jjT7_P12ihipStream_tbENKUlT_T0_SG_SL_E_clIS9_SA_SB_SB_EEDaSZ_S10_SG_SL_EUlSZ_E_NS1_11comp_targetILNS1_3genE6ELNS1_11target_archE950ELNS1_3gpuE13ELNS1_3repE0EEENS1_47radix_sort_onesweep_sort_config_static_selectorELNS0_4arch9wavefront6targetE0EEEvSG_
		.amdhsa_group_segment_fixed_size 0
		.amdhsa_private_segment_fixed_size 0
		.amdhsa_kernarg_size 88
		.amdhsa_user_sgpr_count 2
		.amdhsa_user_sgpr_dispatch_ptr 0
		.amdhsa_user_sgpr_queue_ptr 0
		.amdhsa_user_sgpr_kernarg_segment_ptr 1
		.amdhsa_user_sgpr_dispatch_id 0
		.amdhsa_user_sgpr_kernarg_preload_length 0
		.amdhsa_user_sgpr_kernarg_preload_offset 0
		.amdhsa_user_sgpr_private_segment_size 0
		.amdhsa_wavefront_size32 1
		.amdhsa_uses_dynamic_stack 0
		.amdhsa_enable_private_segment 0
		.amdhsa_system_sgpr_workgroup_id_x 1
		.amdhsa_system_sgpr_workgroup_id_y 0
		.amdhsa_system_sgpr_workgroup_id_z 0
		.amdhsa_system_sgpr_workgroup_info 0
		.amdhsa_system_vgpr_workitem_id 0
		.amdhsa_next_free_vgpr 1
		.amdhsa_next_free_sgpr 1
		.amdhsa_named_barrier_count 0
		.amdhsa_reserve_vcc 0
		.amdhsa_float_round_mode_32 0
		.amdhsa_float_round_mode_16_64 0
		.amdhsa_float_denorm_mode_32 3
		.amdhsa_float_denorm_mode_16_64 3
		.amdhsa_fp16_overflow 0
		.amdhsa_memory_ordered 1
		.amdhsa_forward_progress 1
		.amdhsa_inst_pref_size 0
		.amdhsa_round_robin_scheduling 0
		.amdhsa_exception_fp_ieee_invalid_op 0
		.amdhsa_exception_fp_denorm_src 0
		.amdhsa_exception_fp_ieee_div_zero 0
		.amdhsa_exception_fp_ieee_overflow 0
		.amdhsa_exception_fp_ieee_underflow 0
		.amdhsa_exception_fp_ieee_inexact 0
		.amdhsa_exception_int_div_zero 0
	.end_amdhsa_kernel
	.section	.text._ZN7rocprim17ROCPRIM_400000_NS6detail17trampoline_kernelINS0_14default_configENS1_35radix_sort_onesweep_config_selectorItNS0_10empty_typeEEEZZNS1_29radix_sort_onesweep_iterationIS3_Lb1EPKtPtPS5_SB_mNS0_19identity_decomposerENS1_16block_id_wrapperIjLb1EEEEE10hipError_tT1_PNSt15iterator_traitsISG_E10value_typeET2_T3_PNSH_ISM_E10value_typeET4_T5_PSR_SS_PNS1_23onesweep_lookback_stateEbbT6_jjT7_P12ihipStream_tbENKUlT_T0_SG_SL_E_clIS9_SA_SB_SB_EEDaSZ_S10_SG_SL_EUlSZ_E_NS1_11comp_targetILNS1_3genE6ELNS1_11target_archE950ELNS1_3gpuE13ELNS1_3repE0EEENS1_47radix_sort_onesweep_sort_config_static_selectorELNS0_4arch9wavefront6targetE0EEEvSG_,"axG",@progbits,_ZN7rocprim17ROCPRIM_400000_NS6detail17trampoline_kernelINS0_14default_configENS1_35radix_sort_onesweep_config_selectorItNS0_10empty_typeEEEZZNS1_29radix_sort_onesweep_iterationIS3_Lb1EPKtPtPS5_SB_mNS0_19identity_decomposerENS1_16block_id_wrapperIjLb1EEEEE10hipError_tT1_PNSt15iterator_traitsISG_E10value_typeET2_T3_PNSH_ISM_E10value_typeET4_T5_PSR_SS_PNS1_23onesweep_lookback_stateEbbT6_jjT7_P12ihipStream_tbENKUlT_T0_SG_SL_E_clIS9_SA_SB_SB_EEDaSZ_S10_SG_SL_EUlSZ_E_NS1_11comp_targetILNS1_3genE6ELNS1_11target_archE950ELNS1_3gpuE13ELNS1_3repE0EEENS1_47radix_sort_onesweep_sort_config_static_selectorELNS0_4arch9wavefront6targetE0EEEvSG_,comdat
.Lfunc_end2387:
	.size	_ZN7rocprim17ROCPRIM_400000_NS6detail17trampoline_kernelINS0_14default_configENS1_35radix_sort_onesweep_config_selectorItNS0_10empty_typeEEEZZNS1_29radix_sort_onesweep_iterationIS3_Lb1EPKtPtPS5_SB_mNS0_19identity_decomposerENS1_16block_id_wrapperIjLb1EEEEE10hipError_tT1_PNSt15iterator_traitsISG_E10value_typeET2_T3_PNSH_ISM_E10value_typeET4_T5_PSR_SS_PNS1_23onesweep_lookback_stateEbbT6_jjT7_P12ihipStream_tbENKUlT_T0_SG_SL_E_clIS9_SA_SB_SB_EEDaSZ_S10_SG_SL_EUlSZ_E_NS1_11comp_targetILNS1_3genE6ELNS1_11target_archE950ELNS1_3gpuE13ELNS1_3repE0EEENS1_47radix_sort_onesweep_sort_config_static_selectorELNS0_4arch9wavefront6targetE0EEEvSG_, .Lfunc_end2387-_ZN7rocprim17ROCPRIM_400000_NS6detail17trampoline_kernelINS0_14default_configENS1_35radix_sort_onesweep_config_selectorItNS0_10empty_typeEEEZZNS1_29radix_sort_onesweep_iterationIS3_Lb1EPKtPtPS5_SB_mNS0_19identity_decomposerENS1_16block_id_wrapperIjLb1EEEEE10hipError_tT1_PNSt15iterator_traitsISG_E10value_typeET2_T3_PNSH_ISM_E10value_typeET4_T5_PSR_SS_PNS1_23onesweep_lookback_stateEbbT6_jjT7_P12ihipStream_tbENKUlT_T0_SG_SL_E_clIS9_SA_SB_SB_EEDaSZ_S10_SG_SL_EUlSZ_E_NS1_11comp_targetILNS1_3genE6ELNS1_11target_archE950ELNS1_3gpuE13ELNS1_3repE0EEENS1_47radix_sort_onesweep_sort_config_static_selectorELNS0_4arch9wavefront6targetE0EEEvSG_
                                        ; -- End function
	.set _ZN7rocprim17ROCPRIM_400000_NS6detail17trampoline_kernelINS0_14default_configENS1_35radix_sort_onesweep_config_selectorItNS0_10empty_typeEEEZZNS1_29radix_sort_onesweep_iterationIS3_Lb1EPKtPtPS5_SB_mNS0_19identity_decomposerENS1_16block_id_wrapperIjLb1EEEEE10hipError_tT1_PNSt15iterator_traitsISG_E10value_typeET2_T3_PNSH_ISM_E10value_typeET4_T5_PSR_SS_PNS1_23onesweep_lookback_stateEbbT6_jjT7_P12ihipStream_tbENKUlT_T0_SG_SL_E_clIS9_SA_SB_SB_EEDaSZ_S10_SG_SL_EUlSZ_E_NS1_11comp_targetILNS1_3genE6ELNS1_11target_archE950ELNS1_3gpuE13ELNS1_3repE0EEENS1_47radix_sort_onesweep_sort_config_static_selectorELNS0_4arch9wavefront6targetE0EEEvSG_.num_vgpr, 0
	.set _ZN7rocprim17ROCPRIM_400000_NS6detail17trampoline_kernelINS0_14default_configENS1_35radix_sort_onesweep_config_selectorItNS0_10empty_typeEEEZZNS1_29radix_sort_onesweep_iterationIS3_Lb1EPKtPtPS5_SB_mNS0_19identity_decomposerENS1_16block_id_wrapperIjLb1EEEEE10hipError_tT1_PNSt15iterator_traitsISG_E10value_typeET2_T3_PNSH_ISM_E10value_typeET4_T5_PSR_SS_PNS1_23onesweep_lookback_stateEbbT6_jjT7_P12ihipStream_tbENKUlT_T0_SG_SL_E_clIS9_SA_SB_SB_EEDaSZ_S10_SG_SL_EUlSZ_E_NS1_11comp_targetILNS1_3genE6ELNS1_11target_archE950ELNS1_3gpuE13ELNS1_3repE0EEENS1_47radix_sort_onesweep_sort_config_static_selectorELNS0_4arch9wavefront6targetE0EEEvSG_.num_agpr, 0
	.set _ZN7rocprim17ROCPRIM_400000_NS6detail17trampoline_kernelINS0_14default_configENS1_35radix_sort_onesweep_config_selectorItNS0_10empty_typeEEEZZNS1_29radix_sort_onesweep_iterationIS3_Lb1EPKtPtPS5_SB_mNS0_19identity_decomposerENS1_16block_id_wrapperIjLb1EEEEE10hipError_tT1_PNSt15iterator_traitsISG_E10value_typeET2_T3_PNSH_ISM_E10value_typeET4_T5_PSR_SS_PNS1_23onesweep_lookback_stateEbbT6_jjT7_P12ihipStream_tbENKUlT_T0_SG_SL_E_clIS9_SA_SB_SB_EEDaSZ_S10_SG_SL_EUlSZ_E_NS1_11comp_targetILNS1_3genE6ELNS1_11target_archE950ELNS1_3gpuE13ELNS1_3repE0EEENS1_47radix_sort_onesweep_sort_config_static_selectorELNS0_4arch9wavefront6targetE0EEEvSG_.numbered_sgpr, 0
	.set _ZN7rocprim17ROCPRIM_400000_NS6detail17trampoline_kernelINS0_14default_configENS1_35radix_sort_onesweep_config_selectorItNS0_10empty_typeEEEZZNS1_29radix_sort_onesweep_iterationIS3_Lb1EPKtPtPS5_SB_mNS0_19identity_decomposerENS1_16block_id_wrapperIjLb1EEEEE10hipError_tT1_PNSt15iterator_traitsISG_E10value_typeET2_T3_PNSH_ISM_E10value_typeET4_T5_PSR_SS_PNS1_23onesweep_lookback_stateEbbT6_jjT7_P12ihipStream_tbENKUlT_T0_SG_SL_E_clIS9_SA_SB_SB_EEDaSZ_S10_SG_SL_EUlSZ_E_NS1_11comp_targetILNS1_3genE6ELNS1_11target_archE950ELNS1_3gpuE13ELNS1_3repE0EEENS1_47radix_sort_onesweep_sort_config_static_selectorELNS0_4arch9wavefront6targetE0EEEvSG_.num_named_barrier, 0
	.set _ZN7rocprim17ROCPRIM_400000_NS6detail17trampoline_kernelINS0_14default_configENS1_35radix_sort_onesweep_config_selectorItNS0_10empty_typeEEEZZNS1_29radix_sort_onesweep_iterationIS3_Lb1EPKtPtPS5_SB_mNS0_19identity_decomposerENS1_16block_id_wrapperIjLb1EEEEE10hipError_tT1_PNSt15iterator_traitsISG_E10value_typeET2_T3_PNSH_ISM_E10value_typeET4_T5_PSR_SS_PNS1_23onesweep_lookback_stateEbbT6_jjT7_P12ihipStream_tbENKUlT_T0_SG_SL_E_clIS9_SA_SB_SB_EEDaSZ_S10_SG_SL_EUlSZ_E_NS1_11comp_targetILNS1_3genE6ELNS1_11target_archE950ELNS1_3gpuE13ELNS1_3repE0EEENS1_47radix_sort_onesweep_sort_config_static_selectorELNS0_4arch9wavefront6targetE0EEEvSG_.private_seg_size, 0
	.set _ZN7rocprim17ROCPRIM_400000_NS6detail17trampoline_kernelINS0_14default_configENS1_35radix_sort_onesweep_config_selectorItNS0_10empty_typeEEEZZNS1_29radix_sort_onesweep_iterationIS3_Lb1EPKtPtPS5_SB_mNS0_19identity_decomposerENS1_16block_id_wrapperIjLb1EEEEE10hipError_tT1_PNSt15iterator_traitsISG_E10value_typeET2_T3_PNSH_ISM_E10value_typeET4_T5_PSR_SS_PNS1_23onesweep_lookback_stateEbbT6_jjT7_P12ihipStream_tbENKUlT_T0_SG_SL_E_clIS9_SA_SB_SB_EEDaSZ_S10_SG_SL_EUlSZ_E_NS1_11comp_targetILNS1_3genE6ELNS1_11target_archE950ELNS1_3gpuE13ELNS1_3repE0EEENS1_47radix_sort_onesweep_sort_config_static_selectorELNS0_4arch9wavefront6targetE0EEEvSG_.uses_vcc, 0
	.set _ZN7rocprim17ROCPRIM_400000_NS6detail17trampoline_kernelINS0_14default_configENS1_35radix_sort_onesweep_config_selectorItNS0_10empty_typeEEEZZNS1_29radix_sort_onesweep_iterationIS3_Lb1EPKtPtPS5_SB_mNS0_19identity_decomposerENS1_16block_id_wrapperIjLb1EEEEE10hipError_tT1_PNSt15iterator_traitsISG_E10value_typeET2_T3_PNSH_ISM_E10value_typeET4_T5_PSR_SS_PNS1_23onesweep_lookback_stateEbbT6_jjT7_P12ihipStream_tbENKUlT_T0_SG_SL_E_clIS9_SA_SB_SB_EEDaSZ_S10_SG_SL_EUlSZ_E_NS1_11comp_targetILNS1_3genE6ELNS1_11target_archE950ELNS1_3gpuE13ELNS1_3repE0EEENS1_47radix_sort_onesweep_sort_config_static_selectorELNS0_4arch9wavefront6targetE0EEEvSG_.uses_flat_scratch, 0
	.set _ZN7rocprim17ROCPRIM_400000_NS6detail17trampoline_kernelINS0_14default_configENS1_35radix_sort_onesweep_config_selectorItNS0_10empty_typeEEEZZNS1_29radix_sort_onesweep_iterationIS3_Lb1EPKtPtPS5_SB_mNS0_19identity_decomposerENS1_16block_id_wrapperIjLb1EEEEE10hipError_tT1_PNSt15iterator_traitsISG_E10value_typeET2_T3_PNSH_ISM_E10value_typeET4_T5_PSR_SS_PNS1_23onesweep_lookback_stateEbbT6_jjT7_P12ihipStream_tbENKUlT_T0_SG_SL_E_clIS9_SA_SB_SB_EEDaSZ_S10_SG_SL_EUlSZ_E_NS1_11comp_targetILNS1_3genE6ELNS1_11target_archE950ELNS1_3gpuE13ELNS1_3repE0EEENS1_47radix_sort_onesweep_sort_config_static_selectorELNS0_4arch9wavefront6targetE0EEEvSG_.has_dyn_sized_stack, 0
	.set _ZN7rocprim17ROCPRIM_400000_NS6detail17trampoline_kernelINS0_14default_configENS1_35radix_sort_onesweep_config_selectorItNS0_10empty_typeEEEZZNS1_29radix_sort_onesweep_iterationIS3_Lb1EPKtPtPS5_SB_mNS0_19identity_decomposerENS1_16block_id_wrapperIjLb1EEEEE10hipError_tT1_PNSt15iterator_traitsISG_E10value_typeET2_T3_PNSH_ISM_E10value_typeET4_T5_PSR_SS_PNS1_23onesweep_lookback_stateEbbT6_jjT7_P12ihipStream_tbENKUlT_T0_SG_SL_E_clIS9_SA_SB_SB_EEDaSZ_S10_SG_SL_EUlSZ_E_NS1_11comp_targetILNS1_3genE6ELNS1_11target_archE950ELNS1_3gpuE13ELNS1_3repE0EEENS1_47radix_sort_onesweep_sort_config_static_selectorELNS0_4arch9wavefront6targetE0EEEvSG_.has_recursion, 0
	.set _ZN7rocprim17ROCPRIM_400000_NS6detail17trampoline_kernelINS0_14default_configENS1_35radix_sort_onesweep_config_selectorItNS0_10empty_typeEEEZZNS1_29radix_sort_onesweep_iterationIS3_Lb1EPKtPtPS5_SB_mNS0_19identity_decomposerENS1_16block_id_wrapperIjLb1EEEEE10hipError_tT1_PNSt15iterator_traitsISG_E10value_typeET2_T3_PNSH_ISM_E10value_typeET4_T5_PSR_SS_PNS1_23onesweep_lookback_stateEbbT6_jjT7_P12ihipStream_tbENKUlT_T0_SG_SL_E_clIS9_SA_SB_SB_EEDaSZ_S10_SG_SL_EUlSZ_E_NS1_11comp_targetILNS1_3genE6ELNS1_11target_archE950ELNS1_3gpuE13ELNS1_3repE0EEENS1_47radix_sort_onesweep_sort_config_static_selectorELNS0_4arch9wavefront6targetE0EEEvSG_.has_indirect_call, 0
	.section	.AMDGPU.csdata,"",@progbits
; Kernel info:
; codeLenInByte = 0
; TotalNumSgprs: 0
; NumVgprs: 0
; ScratchSize: 0
; MemoryBound: 0
; FloatMode: 240
; IeeeMode: 1
; LDSByteSize: 0 bytes/workgroup (compile time only)
; SGPRBlocks: 0
; VGPRBlocks: 0
; NumSGPRsForWavesPerEU: 1
; NumVGPRsForWavesPerEU: 1
; NamedBarCnt: 0
; Occupancy: 16
; WaveLimiterHint : 0
; COMPUTE_PGM_RSRC2:SCRATCH_EN: 0
; COMPUTE_PGM_RSRC2:USER_SGPR: 2
; COMPUTE_PGM_RSRC2:TRAP_HANDLER: 0
; COMPUTE_PGM_RSRC2:TGID_X_EN: 1
; COMPUTE_PGM_RSRC2:TGID_Y_EN: 0
; COMPUTE_PGM_RSRC2:TGID_Z_EN: 0
; COMPUTE_PGM_RSRC2:TIDIG_COMP_CNT: 0
	.section	.text._ZN7rocprim17ROCPRIM_400000_NS6detail17trampoline_kernelINS0_14default_configENS1_35radix_sort_onesweep_config_selectorItNS0_10empty_typeEEEZZNS1_29radix_sort_onesweep_iterationIS3_Lb1EPKtPtPS5_SB_mNS0_19identity_decomposerENS1_16block_id_wrapperIjLb1EEEEE10hipError_tT1_PNSt15iterator_traitsISG_E10value_typeET2_T3_PNSH_ISM_E10value_typeET4_T5_PSR_SS_PNS1_23onesweep_lookback_stateEbbT6_jjT7_P12ihipStream_tbENKUlT_T0_SG_SL_E_clIS9_SA_SB_SB_EEDaSZ_S10_SG_SL_EUlSZ_E_NS1_11comp_targetILNS1_3genE5ELNS1_11target_archE942ELNS1_3gpuE9ELNS1_3repE0EEENS1_47radix_sort_onesweep_sort_config_static_selectorELNS0_4arch9wavefront6targetE0EEEvSG_,"axG",@progbits,_ZN7rocprim17ROCPRIM_400000_NS6detail17trampoline_kernelINS0_14default_configENS1_35radix_sort_onesweep_config_selectorItNS0_10empty_typeEEEZZNS1_29radix_sort_onesweep_iterationIS3_Lb1EPKtPtPS5_SB_mNS0_19identity_decomposerENS1_16block_id_wrapperIjLb1EEEEE10hipError_tT1_PNSt15iterator_traitsISG_E10value_typeET2_T3_PNSH_ISM_E10value_typeET4_T5_PSR_SS_PNS1_23onesweep_lookback_stateEbbT6_jjT7_P12ihipStream_tbENKUlT_T0_SG_SL_E_clIS9_SA_SB_SB_EEDaSZ_S10_SG_SL_EUlSZ_E_NS1_11comp_targetILNS1_3genE5ELNS1_11target_archE942ELNS1_3gpuE9ELNS1_3repE0EEENS1_47radix_sort_onesweep_sort_config_static_selectorELNS0_4arch9wavefront6targetE0EEEvSG_,comdat
	.protected	_ZN7rocprim17ROCPRIM_400000_NS6detail17trampoline_kernelINS0_14default_configENS1_35radix_sort_onesweep_config_selectorItNS0_10empty_typeEEEZZNS1_29radix_sort_onesweep_iterationIS3_Lb1EPKtPtPS5_SB_mNS0_19identity_decomposerENS1_16block_id_wrapperIjLb1EEEEE10hipError_tT1_PNSt15iterator_traitsISG_E10value_typeET2_T3_PNSH_ISM_E10value_typeET4_T5_PSR_SS_PNS1_23onesweep_lookback_stateEbbT6_jjT7_P12ihipStream_tbENKUlT_T0_SG_SL_E_clIS9_SA_SB_SB_EEDaSZ_S10_SG_SL_EUlSZ_E_NS1_11comp_targetILNS1_3genE5ELNS1_11target_archE942ELNS1_3gpuE9ELNS1_3repE0EEENS1_47radix_sort_onesweep_sort_config_static_selectorELNS0_4arch9wavefront6targetE0EEEvSG_ ; -- Begin function _ZN7rocprim17ROCPRIM_400000_NS6detail17trampoline_kernelINS0_14default_configENS1_35radix_sort_onesweep_config_selectorItNS0_10empty_typeEEEZZNS1_29radix_sort_onesweep_iterationIS3_Lb1EPKtPtPS5_SB_mNS0_19identity_decomposerENS1_16block_id_wrapperIjLb1EEEEE10hipError_tT1_PNSt15iterator_traitsISG_E10value_typeET2_T3_PNSH_ISM_E10value_typeET4_T5_PSR_SS_PNS1_23onesweep_lookback_stateEbbT6_jjT7_P12ihipStream_tbENKUlT_T0_SG_SL_E_clIS9_SA_SB_SB_EEDaSZ_S10_SG_SL_EUlSZ_E_NS1_11comp_targetILNS1_3genE5ELNS1_11target_archE942ELNS1_3gpuE9ELNS1_3repE0EEENS1_47radix_sort_onesweep_sort_config_static_selectorELNS0_4arch9wavefront6targetE0EEEvSG_
	.globl	_ZN7rocprim17ROCPRIM_400000_NS6detail17trampoline_kernelINS0_14default_configENS1_35radix_sort_onesweep_config_selectorItNS0_10empty_typeEEEZZNS1_29radix_sort_onesweep_iterationIS3_Lb1EPKtPtPS5_SB_mNS0_19identity_decomposerENS1_16block_id_wrapperIjLb1EEEEE10hipError_tT1_PNSt15iterator_traitsISG_E10value_typeET2_T3_PNSH_ISM_E10value_typeET4_T5_PSR_SS_PNS1_23onesweep_lookback_stateEbbT6_jjT7_P12ihipStream_tbENKUlT_T0_SG_SL_E_clIS9_SA_SB_SB_EEDaSZ_S10_SG_SL_EUlSZ_E_NS1_11comp_targetILNS1_3genE5ELNS1_11target_archE942ELNS1_3gpuE9ELNS1_3repE0EEENS1_47radix_sort_onesweep_sort_config_static_selectorELNS0_4arch9wavefront6targetE0EEEvSG_
	.p2align	8
	.type	_ZN7rocprim17ROCPRIM_400000_NS6detail17trampoline_kernelINS0_14default_configENS1_35radix_sort_onesweep_config_selectorItNS0_10empty_typeEEEZZNS1_29radix_sort_onesweep_iterationIS3_Lb1EPKtPtPS5_SB_mNS0_19identity_decomposerENS1_16block_id_wrapperIjLb1EEEEE10hipError_tT1_PNSt15iterator_traitsISG_E10value_typeET2_T3_PNSH_ISM_E10value_typeET4_T5_PSR_SS_PNS1_23onesweep_lookback_stateEbbT6_jjT7_P12ihipStream_tbENKUlT_T0_SG_SL_E_clIS9_SA_SB_SB_EEDaSZ_S10_SG_SL_EUlSZ_E_NS1_11comp_targetILNS1_3genE5ELNS1_11target_archE942ELNS1_3gpuE9ELNS1_3repE0EEENS1_47radix_sort_onesweep_sort_config_static_selectorELNS0_4arch9wavefront6targetE0EEEvSG_,@function
_ZN7rocprim17ROCPRIM_400000_NS6detail17trampoline_kernelINS0_14default_configENS1_35radix_sort_onesweep_config_selectorItNS0_10empty_typeEEEZZNS1_29radix_sort_onesweep_iterationIS3_Lb1EPKtPtPS5_SB_mNS0_19identity_decomposerENS1_16block_id_wrapperIjLb1EEEEE10hipError_tT1_PNSt15iterator_traitsISG_E10value_typeET2_T3_PNSH_ISM_E10value_typeET4_T5_PSR_SS_PNS1_23onesweep_lookback_stateEbbT6_jjT7_P12ihipStream_tbENKUlT_T0_SG_SL_E_clIS9_SA_SB_SB_EEDaSZ_S10_SG_SL_EUlSZ_E_NS1_11comp_targetILNS1_3genE5ELNS1_11target_archE942ELNS1_3gpuE9ELNS1_3repE0EEENS1_47radix_sort_onesweep_sort_config_static_selectorELNS0_4arch9wavefront6targetE0EEEvSG_: ; @_ZN7rocprim17ROCPRIM_400000_NS6detail17trampoline_kernelINS0_14default_configENS1_35radix_sort_onesweep_config_selectorItNS0_10empty_typeEEEZZNS1_29radix_sort_onesweep_iterationIS3_Lb1EPKtPtPS5_SB_mNS0_19identity_decomposerENS1_16block_id_wrapperIjLb1EEEEE10hipError_tT1_PNSt15iterator_traitsISG_E10value_typeET2_T3_PNSH_ISM_E10value_typeET4_T5_PSR_SS_PNS1_23onesweep_lookback_stateEbbT6_jjT7_P12ihipStream_tbENKUlT_T0_SG_SL_E_clIS9_SA_SB_SB_EEDaSZ_S10_SG_SL_EUlSZ_E_NS1_11comp_targetILNS1_3genE5ELNS1_11target_archE942ELNS1_3gpuE9ELNS1_3repE0EEENS1_47radix_sort_onesweep_sort_config_static_selectorELNS0_4arch9wavefront6targetE0EEEvSG_
; %bb.0:
	.section	.rodata,"a",@progbits
	.p2align	6, 0x0
	.amdhsa_kernel _ZN7rocprim17ROCPRIM_400000_NS6detail17trampoline_kernelINS0_14default_configENS1_35radix_sort_onesweep_config_selectorItNS0_10empty_typeEEEZZNS1_29radix_sort_onesweep_iterationIS3_Lb1EPKtPtPS5_SB_mNS0_19identity_decomposerENS1_16block_id_wrapperIjLb1EEEEE10hipError_tT1_PNSt15iterator_traitsISG_E10value_typeET2_T3_PNSH_ISM_E10value_typeET4_T5_PSR_SS_PNS1_23onesweep_lookback_stateEbbT6_jjT7_P12ihipStream_tbENKUlT_T0_SG_SL_E_clIS9_SA_SB_SB_EEDaSZ_S10_SG_SL_EUlSZ_E_NS1_11comp_targetILNS1_3genE5ELNS1_11target_archE942ELNS1_3gpuE9ELNS1_3repE0EEENS1_47radix_sort_onesweep_sort_config_static_selectorELNS0_4arch9wavefront6targetE0EEEvSG_
		.amdhsa_group_segment_fixed_size 0
		.amdhsa_private_segment_fixed_size 0
		.amdhsa_kernarg_size 88
		.amdhsa_user_sgpr_count 2
		.amdhsa_user_sgpr_dispatch_ptr 0
		.amdhsa_user_sgpr_queue_ptr 0
		.amdhsa_user_sgpr_kernarg_segment_ptr 1
		.amdhsa_user_sgpr_dispatch_id 0
		.amdhsa_user_sgpr_kernarg_preload_length 0
		.amdhsa_user_sgpr_kernarg_preload_offset 0
		.amdhsa_user_sgpr_private_segment_size 0
		.amdhsa_wavefront_size32 1
		.amdhsa_uses_dynamic_stack 0
		.amdhsa_enable_private_segment 0
		.amdhsa_system_sgpr_workgroup_id_x 1
		.amdhsa_system_sgpr_workgroup_id_y 0
		.amdhsa_system_sgpr_workgroup_id_z 0
		.amdhsa_system_sgpr_workgroup_info 0
		.amdhsa_system_vgpr_workitem_id 0
		.amdhsa_next_free_vgpr 1
		.amdhsa_next_free_sgpr 1
		.amdhsa_named_barrier_count 0
		.amdhsa_reserve_vcc 0
		.amdhsa_float_round_mode_32 0
		.amdhsa_float_round_mode_16_64 0
		.amdhsa_float_denorm_mode_32 3
		.amdhsa_float_denorm_mode_16_64 3
		.amdhsa_fp16_overflow 0
		.amdhsa_memory_ordered 1
		.amdhsa_forward_progress 1
		.amdhsa_inst_pref_size 0
		.amdhsa_round_robin_scheduling 0
		.amdhsa_exception_fp_ieee_invalid_op 0
		.amdhsa_exception_fp_denorm_src 0
		.amdhsa_exception_fp_ieee_div_zero 0
		.amdhsa_exception_fp_ieee_overflow 0
		.amdhsa_exception_fp_ieee_underflow 0
		.amdhsa_exception_fp_ieee_inexact 0
		.amdhsa_exception_int_div_zero 0
	.end_amdhsa_kernel
	.section	.text._ZN7rocprim17ROCPRIM_400000_NS6detail17trampoline_kernelINS0_14default_configENS1_35radix_sort_onesweep_config_selectorItNS0_10empty_typeEEEZZNS1_29radix_sort_onesweep_iterationIS3_Lb1EPKtPtPS5_SB_mNS0_19identity_decomposerENS1_16block_id_wrapperIjLb1EEEEE10hipError_tT1_PNSt15iterator_traitsISG_E10value_typeET2_T3_PNSH_ISM_E10value_typeET4_T5_PSR_SS_PNS1_23onesweep_lookback_stateEbbT6_jjT7_P12ihipStream_tbENKUlT_T0_SG_SL_E_clIS9_SA_SB_SB_EEDaSZ_S10_SG_SL_EUlSZ_E_NS1_11comp_targetILNS1_3genE5ELNS1_11target_archE942ELNS1_3gpuE9ELNS1_3repE0EEENS1_47radix_sort_onesweep_sort_config_static_selectorELNS0_4arch9wavefront6targetE0EEEvSG_,"axG",@progbits,_ZN7rocprim17ROCPRIM_400000_NS6detail17trampoline_kernelINS0_14default_configENS1_35radix_sort_onesweep_config_selectorItNS0_10empty_typeEEEZZNS1_29radix_sort_onesweep_iterationIS3_Lb1EPKtPtPS5_SB_mNS0_19identity_decomposerENS1_16block_id_wrapperIjLb1EEEEE10hipError_tT1_PNSt15iterator_traitsISG_E10value_typeET2_T3_PNSH_ISM_E10value_typeET4_T5_PSR_SS_PNS1_23onesweep_lookback_stateEbbT6_jjT7_P12ihipStream_tbENKUlT_T0_SG_SL_E_clIS9_SA_SB_SB_EEDaSZ_S10_SG_SL_EUlSZ_E_NS1_11comp_targetILNS1_3genE5ELNS1_11target_archE942ELNS1_3gpuE9ELNS1_3repE0EEENS1_47radix_sort_onesweep_sort_config_static_selectorELNS0_4arch9wavefront6targetE0EEEvSG_,comdat
.Lfunc_end2388:
	.size	_ZN7rocprim17ROCPRIM_400000_NS6detail17trampoline_kernelINS0_14default_configENS1_35radix_sort_onesweep_config_selectorItNS0_10empty_typeEEEZZNS1_29radix_sort_onesweep_iterationIS3_Lb1EPKtPtPS5_SB_mNS0_19identity_decomposerENS1_16block_id_wrapperIjLb1EEEEE10hipError_tT1_PNSt15iterator_traitsISG_E10value_typeET2_T3_PNSH_ISM_E10value_typeET4_T5_PSR_SS_PNS1_23onesweep_lookback_stateEbbT6_jjT7_P12ihipStream_tbENKUlT_T0_SG_SL_E_clIS9_SA_SB_SB_EEDaSZ_S10_SG_SL_EUlSZ_E_NS1_11comp_targetILNS1_3genE5ELNS1_11target_archE942ELNS1_3gpuE9ELNS1_3repE0EEENS1_47radix_sort_onesweep_sort_config_static_selectorELNS0_4arch9wavefront6targetE0EEEvSG_, .Lfunc_end2388-_ZN7rocprim17ROCPRIM_400000_NS6detail17trampoline_kernelINS0_14default_configENS1_35radix_sort_onesweep_config_selectorItNS0_10empty_typeEEEZZNS1_29radix_sort_onesweep_iterationIS3_Lb1EPKtPtPS5_SB_mNS0_19identity_decomposerENS1_16block_id_wrapperIjLb1EEEEE10hipError_tT1_PNSt15iterator_traitsISG_E10value_typeET2_T3_PNSH_ISM_E10value_typeET4_T5_PSR_SS_PNS1_23onesweep_lookback_stateEbbT6_jjT7_P12ihipStream_tbENKUlT_T0_SG_SL_E_clIS9_SA_SB_SB_EEDaSZ_S10_SG_SL_EUlSZ_E_NS1_11comp_targetILNS1_3genE5ELNS1_11target_archE942ELNS1_3gpuE9ELNS1_3repE0EEENS1_47radix_sort_onesweep_sort_config_static_selectorELNS0_4arch9wavefront6targetE0EEEvSG_
                                        ; -- End function
	.set _ZN7rocprim17ROCPRIM_400000_NS6detail17trampoline_kernelINS0_14default_configENS1_35radix_sort_onesweep_config_selectorItNS0_10empty_typeEEEZZNS1_29radix_sort_onesweep_iterationIS3_Lb1EPKtPtPS5_SB_mNS0_19identity_decomposerENS1_16block_id_wrapperIjLb1EEEEE10hipError_tT1_PNSt15iterator_traitsISG_E10value_typeET2_T3_PNSH_ISM_E10value_typeET4_T5_PSR_SS_PNS1_23onesweep_lookback_stateEbbT6_jjT7_P12ihipStream_tbENKUlT_T0_SG_SL_E_clIS9_SA_SB_SB_EEDaSZ_S10_SG_SL_EUlSZ_E_NS1_11comp_targetILNS1_3genE5ELNS1_11target_archE942ELNS1_3gpuE9ELNS1_3repE0EEENS1_47radix_sort_onesweep_sort_config_static_selectorELNS0_4arch9wavefront6targetE0EEEvSG_.num_vgpr, 0
	.set _ZN7rocprim17ROCPRIM_400000_NS6detail17trampoline_kernelINS0_14default_configENS1_35radix_sort_onesweep_config_selectorItNS0_10empty_typeEEEZZNS1_29radix_sort_onesweep_iterationIS3_Lb1EPKtPtPS5_SB_mNS0_19identity_decomposerENS1_16block_id_wrapperIjLb1EEEEE10hipError_tT1_PNSt15iterator_traitsISG_E10value_typeET2_T3_PNSH_ISM_E10value_typeET4_T5_PSR_SS_PNS1_23onesweep_lookback_stateEbbT6_jjT7_P12ihipStream_tbENKUlT_T0_SG_SL_E_clIS9_SA_SB_SB_EEDaSZ_S10_SG_SL_EUlSZ_E_NS1_11comp_targetILNS1_3genE5ELNS1_11target_archE942ELNS1_3gpuE9ELNS1_3repE0EEENS1_47radix_sort_onesweep_sort_config_static_selectorELNS0_4arch9wavefront6targetE0EEEvSG_.num_agpr, 0
	.set _ZN7rocprim17ROCPRIM_400000_NS6detail17trampoline_kernelINS0_14default_configENS1_35radix_sort_onesweep_config_selectorItNS0_10empty_typeEEEZZNS1_29radix_sort_onesweep_iterationIS3_Lb1EPKtPtPS5_SB_mNS0_19identity_decomposerENS1_16block_id_wrapperIjLb1EEEEE10hipError_tT1_PNSt15iterator_traitsISG_E10value_typeET2_T3_PNSH_ISM_E10value_typeET4_T5_PSR_SS_PNS1_23onesweep_lookback_stateEbbT6_jjT7_P12ihipStream_tbENKUlT_T0_SG_SL_E_clIS9_SA_SB_SB_EEDaSZ_S10_SG_SL_EUlSZ_E_NS1_11comp_targetILNS1_3genE5ELNS1_11target_archE942ELNS1_3gpuE9ELNS1_3repE0EEENS1_47radix_sort_onesweep_sort_config_static_selectorELNS0_4arch9wavefront6targetE0EEEvSG_.numbered_sgpr, 0
	.set _ZN7rocprim17ROCPRIM_400000_NS6detail17trampoline_kernelINS0_14default_configENS1_35radix_sort_onesweep_config_selectorItNS0_10empty_typeEEEZZNS1_29radix_sort_onesweep_iterationIS3_Lb1EPKtPtPS5_SB_mNS0_19identity_decomposerENS1_16block_id_wrapperIjLb1EEEEE10hipError_tT1_PNSt15iterator_traitsISG_E10value_typeET2_T3_PNSH_ISM_E10value_typeET4_T5_PSR_SS_PNS1_23onesweep_lookback_stateEbbT6_jjT7_P12ihipStream_tbENKUlT_T0_SG_SL_E_clIS9_SA_SB_SB_EEDaSZ_S10_SG_SL_EUlSZ_E_NS1_11comp_targetILNS1_3genE5ELNS1_11target_archE942ELNS1_3gpuE9ELNS1_3repE0EEENS1_47radix_sort_onesweep_sort_config_static_selectorELNS0_4arch9wavefront6targetE0EEEvSG_.num_named_barrier, 0
	.set _ZN7rocprim17ROCPRIM_400000_NS6detail17trampoline_kernelINS0_14default_configENS1_35radix_sort_onesweep_config_selectorItNS0_10empty_typeEEEZZNS1_29radix_sort_onesweep_iterationIS3_Lb1EPKtPtPS5_SB_mNS0_19identity_decomposerENS1_16block_id_wrapperIjLb1EEEEE10hipError_tT1_PNSt15iterator_traitsISG_E10value_typeET2_T3_PNSH_ISM_E10value_typeET4_T5_PSR_SS_PNS1_23onesweep_lookback_stateEbbT6_jjT7_P12ihipStream_tbENKUlT_T0_SG_SL_E_clIS9_SA_SB_SB_EEDaSZ_S10_SG_SL_EUlSZ_E_NS1_11comp_targetILNS1_3genE5ELNS1_11target_archE942ELNS1_3gpuE9ELNS1_3repE0EEENS1_47radix_sort_onesweep_sort_config_static_selectorELNS0_4arch9wavefront6targetE0EEEvSG_.private_seg_size, 0
	.set _ZN7rocprim17ROCPRIM_400000_NS6detail17trampoline_kernelINS0_14default_configENS1_35radix_sort_onesweep_config_selectorItNS0_10empty_typeEEEZZNS1_29radix_sort_onesweep_iterationIS3_Lb1EPKtPtPS5_SB_mNS0_19identity_decomposerENS1_16block_id_wrapperIjLb1EEEEE10hipError_tT1_PNSt15iterator_traitsISG_E10value_typeET2_T3_PNSH_ISM_E10value_typeET4_T5_PSR_SS_PNS1_23onesweep_lookback_stateEbbT6_jjT7_P12ihipStream_tbENKUlT_T0_SG_SL_E_clIS9_SA_SB_SB_EEDaSZ_S10_SG_SL_EUlSZ_E_NS1_11comp_targetILNS1_3genE5ELNS1_11target_archE942ELNS1_3gpuE9ELNS1_3repE0EEENS1_47radix_sort_onesweep_sort_config_static_selectorELNS0_4arch9wavefront6targetE0EEEvSG_.uses_vcc, 0
	.set _ZN7rocprim17ROCPRIM_400000_NS6detail17trampoline_kernelINS0_14default_configENS1_35radix_sort_onesweep_config_selectorItNS0_10empty_typeEEEZZNS1_29radix_sort_onesweep_iterationIS3_Lb1EPKtPtPS5_SB_mNS0_19identity_decomposerENS1_16block_id_wrapperIjLb1EEEEE10hipError_tT1_PNSt15iterator_traitsISG_E10value_typeET2_T3_PNSH_ISM_E10value_typeET4_T5_PSR_SS_PNS1_23onesweep_lookback_stateEbbT6_jjT7_P12ihipStream_tbENKUlT_T0_SG_SL_E_clIS9_SA_SB_SB_EEDaSZ_S10_SG_SL_EUlSZ_E_NS1_11comp_targetILNS1_3genE5ELNS1_11target_archE942ELNS1_3gpuE9ELNS1_3repE0EEENS1_47radix_sort_onesweep_sort_config_static_selectorELNS0_4arch9wavefront6targetE0EEEvSG_.uses_flat_scratch, 0
	.set _ZN7rocprim17ROCPRIM_400000_NS6detail17trampoline_kernelINS0_14default_configENS1_35radix_sort_onesweep_config_selectorItNS0_10empty_typeEEEZZNS1_29radix_sort_onesweep_iterationIS3_Lb1EPKtPtPS5_SB_mNS0_19identity_decomposerENS1_16block_id_wrapperIjLb1EEEEE10hipError_tT1_PNSt15iterator_traitsISG_E10value_typeET2_T3_PNSH_ISM_E10value_typeET4_T5_PSR_SS_PNS1_23onesweep_lookback_stateEbbT6_jjT7_P12ihipStream_tbENKUlT_T0_SG_SL_E_clIS9_SA_SB_SB_EEDaSZ_S10_SG_SL_EUlSZ_E_NS1_11comp_targetILNS1_3genE5ELNS1_11target_archE942ELNS1_3gpuE9ELNS1_3repE0EEENS1_47radix_sort_onesweep_sort_config_static_selectorELNS0_4arch9wavefront6targetE0EEEvSG_.has_dyn_sized_stack, 0
	.set _ZN7rocprim17ROCPRIM_400000_NS6detail17trampoline_kernelINS0_14default_configENS1_35radix_sort_onesweep_config_selectorItNS0_10empty_typeEEEZZNS1_29radix_sort_onesweep_iterationIS3_Lb1EPKtPtPS5_SB_mNS0_19identity_decomposerENS1_16block_id_wrapperIjLb1EEEEE10hipError_tT1_PNSt15iterator_traitsISG_E10value_typeET2_T3_PNSH_ISM_E10value_typeET4_T5_PSR_SS_PNS1_23onesweep_lookback_stateEbbT6_jjT7_P12ihipStream_tbENKUlT_T0_SG_SL_E_clIS9_SA_SB_SB_EEDaSZ_S10_SG_SL_EUlSZ_E_NS1_11comp_targetILNS1_3genE5ELNS1_11target_archE942ELNS1_3gpuE9ELNS1_3repE0EEENS1_47radix_sort_onesweep_sort_config_static_selectorELNS0_4arch9wavefront6targetE0EEEvSG_.has_recursion, 0
	.set _ZN7rocprim17ROCPRIM_400000_NS6detail17trampoline_kernelINS0_14default_configENS1_35radix_sort_onesweep_config_selectorItNS0_10empty_typeEEEZZNS1_29radix_sort_onesweep_iterationIS3_Lb1EPKtPtPS5_SB_mNS0_19identity_decomposerENS1_16block_id_wrapperIjLb1EEEEE10hipError_tT1_PNSt15iterator_traitsISG_E10value_typeET2_T3_PNSH_ISM_E10value_typeET4_T5_PSR_SS_PNS1_23onesweep_lookback_stateEbbT6_jjT7_P12ihipStream_tbENKUlT_T0_SG_SL_E_clIS9_SA_SB_SB_EEDaSZ_S10_SG_SL_EUlSZ_E_NS1_11comp_targetILNS1_3genE5ELNS1_11target_archE942ELNS1_3gpuE9ELNS1_3repE0EEENS1_47radix_sort_onesweep_sort_config_static_selectorELNS0_4arch9wavefront6targetE0EEEvSG_.has_indirect_call, 0
	.section	.AMDGPU.csdata,"",@progbits
; Kernel info:
; codeLenInByte = 0
; TotalNumSgprs: 0
; NumVgprs: 0
; ScratchSize: 0
; MemoryBound: 0
; FloatMode: 240
; IeeeMode: 1
; LDSByteSize: 0 bytes/workgroup (compile time only)
; SGPRBlocks: 0
; VGPRBlocks: 0
; NumSGPRsForWavesPerEU: 1
; NumVGPRsForWavesPerEU: 1
; NamedBarCnt: 0
; Occupancy: 16
; WaveLimiterHint : 0
; COMPUTE_PGM_RSRC2:SCRATCH_EN: 0
; COMPUTE_PGM_RSRC2:USER_SGPR: 2
; COMPUTE_PGM_RSRC2:TRAP_HANDLER: 0
; COMPUTE_PGM_RSRC2:TGID_X_EN: 1
; COMPUTE_PGM_RSRC2:TGID_Y_EN: 0
; COMPUTE_PGM_RSRC2:TGID_Z_EN: 0
; COMPUTE_PGM_RSRC2:TIDIG_COMP_CNT: 0
	.section	.text._ZN7rocprim17ROCPRIM_400000_NS6detail17trampoline_kernelINS0_14default_configENS1_35radix_sort_onesweep_config_selectorItNS0_10empty_typeEEEZZNS1_29radix_sort_onesweep_iterationIS3_Lb1EPKtPtPS5_SB_mNS0_19identity_decomposerENS1_16block_id_wrapperIjLb1EEEEE10hipError_tT1_PNSt15iterator_traitsISG_E10value_typeET2_T3_PNSH_ISM_E10value_typeET4_T5_PSR_SS_PNS1_23onesweep_lookback_stateEbbT6_jjT7_P12ihipStream_tbENKUlT_T0_SG_SL_E_clIS9_SA_SB_SB_EEDaSZ_S10_SG_SL_EUlSZ_E_NS1_11comp_targetILNS1_3genE2ELNS1_11target_archE906ELNS1_3gpuE6ELNS1_3repE0EEENS1_47radix_sort_onesweep_sort_config_static_selectorELNS0_4arch9wavefront6targetE0EEEvSG_,"axG",@progbits,_ZN7rocprim17ROCPRIM_400000_NS6detail17trampoline_kernelINS0_14default_configENS1_35radix_sort_onesweep_config_selectorItNS0_10empty_typeEEEZZNS1_29radix_sort_onesweep_iterationIS3_Lb1EPKtPtPS5_SB_mNS0_19identity_decomposerENS1_16block_id_wrapperIjLb1EEEEE10hipError_tT1_PNSt15iterator_traitsISG_E10value_typeET2_T3_PNSH_ISM_E10value_typeET4_T5_PSR_SS_PNS1_23onesweep_lookback_stateEbbT6_jjT7_P12ihipStream_tbENKUlT_T0_SG_SL_E_clIS9_SA_SB_SB_EEDaSZ_S10_SG_SL_EUlSZ_E_NS1_11comp_targetILNS1_3genE2ELNS1_11target_archE906ELNS1_3gpuE6ELNS1_3repE0EEENS1_47radix_sort_onesweep_sort_config_static_selectorELNS0_4arch9wavefront6targetE0EEEvSG_,comdat
	.protected	_ZN7rocprim17ROCPRIM_400000_NS6detail17trampoline_kernelINS0_14default_configENS1_35radix_sort_onesweep_config_selectorItNS0_10empty_typeEEEZZNS1_29radix_sort_onesweep_iterationIS3_Lb1EPKtPtPS5_SB_mNS0_19identity_decomposerENS1_16block_id_wrapperIjLb1EEEEE10hipError_tT1_PNSt15iterator_traitsISG_E10value_typeET2_T3_PNSH_ISM_E10value_typeET4_T5_PSR_SS_PNS1_23onesweep_lookback_stateEbbT6_jjT7_P12ihipStream_tbENKUlT_T0_SG_SL_E_clIS9_SA_SB_SB_EEDaSZ_S10_SG_SL_EUlSZ_E_NS1_11comp_targetILNS1_3genE2ELNS1_11target_archE906ELNS1_3gpuE6ELNS1_3repE0EEENS1_47radix_sort_onesweep_sort_config_static_selectorELNS0_4arch9wavefront6targetE0EEEvSG_ ; -- Begin function _ZN7rocprim17ROCPRIM_400000_NS6detail17trampoline_kernelINS0_14default_configENS1_35radix_sort_onesweep_config_selectorItNS0_10empty_typeEEEZZNS1_29radix_sort_onesweep_iterationIS3_Lb1EPKtPtPS5_SB_mNS0_19identity_decomposerENS1_16block_id_wrapperIjLb1EEEEE10hipError_tT1_PNSt15iterator_traitsISG_E10value_typeET2_T3_PNSH_ISM_E10value_typeET4_T5_PSR_SS_PNS1_23onesweep_lookback_stateEbbT6_jjT7_P12ihipStream_tbENKUlT_T0_SG_SL_E_clIS9_SA_SB_SB_EEDaSZ_S10_SG_SL_EUlSZ_E_NS1_11comp_targetILNS1_3genE2ELNS1_11target_archE906ELNS1_3gpuE6ELNS1_3repE0EEENS1_47radix_sort_onesweep_sort_config_static_selectorELNS0_4arch9wavefront6targetE0EEEvSG_
	.globl	_ZN7rocprim17ROCPRIM_400000_NS6detail17trampoline_kernelINS0_14default_configENS1_35radix_sort_onesweep_config_selectorItNS0_10empty_typeEEEZZNS1_29radix_sort_onesweep_iterationIS3_Lb1EPKtPtPS5_SB_mNS0_19identity_decomposerENS1_16block_id_wrapperIjLb1EEEEE10hipError_tT1_PNSt15iterator_traitsISG_E10value_typeET2_T3_PNSH_ISM_E10value_typeET4_T5_PSR_SS_PNS1_23onesweep_lookback_stateEbbT6_jjT7_P12ihipStream_tbENKUlT_T0_SG_SL_E_clIS9_SA_SB_SB_EEDaSZ_S10_SG_SL_EUlSZ_E_NS1_11comp_targetILNS1_3genE2ELNS1_11target_archE906ELNS1_3gpuE6ELNS1_3repE0EEENS1_47radix_sort_onesweep_sort_config_static_selectorELNS0_4arch9wavefront6targetE0EEEvSG_
	.p2align	8
	.type	_ZN7rocprim17ROCPRIM_400000_NS6detail17trampoline_kernelINS0_14default_configENS1_35radix_sort_onesweep_config_selectorItNS0_10empty_typeEEEZZNS1_29radix_sort_onesweep_iterationIS3_Lb1EPKtPtPS5_SB_mNS0_19identity_decomposerENS1_16block_id_wrapperIjLb1EEEEE10hipError_tT1_PNSt15iterator_traitsISG_E10value_typeET2_T3_PNSH_ISM_E10value_typeET4_T5_PSR_SS_PNS1_23onesweep_lookback_stateEbbT6_jjT7_P12ihipStream_tbENKUlT_T0_SG_SL_E_clIS9_SA_SB_SB_EEDaSZ_S10_SG_SL_EUlSZ_E_NS1_11comp_targetILNS1_3genE2ELNS1_11target_archE906ELNS1_3gpuE6ELNS1_3repE0EEENS1_47radix_sort_onesweep_sort_config_static_selectorELNS0_4arch9wavefront6targetE0EEEvSG_,@function
_ZN7rocprim17ROCPRIM_400000_NS6detail17trampoline_kernelINS0_14default_configENS1_35radix_sort_onesweep_config_selectorItNS0_10empty_typeEEEZZNS1_29radix_sort_onesweep_iterationIS3_Lb1EPKtPtPS5_SB_mNS0_19identity_decomposerENS1_16block_id_wrapperIjLb1EEEEE10hipError_tT1_PNSt15iterator_traitsISG_E10value_typeET2_T3_PNSH_ISM_E10value_typeET4_T5_PSR_SS_PNS1_23onesweep_lookback_stateEbbT6_jjT7_P12ihipStream_tbENKUlT_T0_SG_SL_E_clIS9_SA_SB_SB_EEDaSZ_S10_SG_SL_EUlSZ_E_NS1_11comp_targetILNS1_3genE2ELNS1_11target_archE906ELNS1_3gpuE6ELNS1_3repE0EEENS1_47radix_sort_onesweep_sort_config_static_selectorELNS0_4arch9wavefront6targetE0EEEvSG_: ; @_ZN7rocprim17ROCPRIM_400000_NS6detail17trampoline_kernelINS0_14default_configENS1_35radix_sort_onesweep_config_selectorItNS0_10empty_typeEEEZZNS1_29radix_sort_onesweep_iterationIS3_Lb1EPKtPtPS5_SB_mNS0_19identity_decomposerENS1_16block_id_wrapperIjLb1EEEEE10hipError_tT1_PNSt15iterator_traitsISG_E10value_typeET2_T3_PNSH_ISM_E10value_typeET4_T5_PSR_SS_PNS1_23onesweep_lookback_stateEbbT6_jjT7_P12ihipStream_tbENKUlT_T0_SG_SL_E_clIS9_SA_SB_SB_EEDaSZ_S10_SG_SL_EUlSZ_E_NS1_11comp_targetILNS1_3genE2ELNS1_11target_archE906ELNS1_3gpuE6ELNS1_3repE0EEENS1_47radix_sort_onesweep_sort_config_static_selectorELNS0_4arch9wavefront6targetE0EEEvSG_
; %bb.0:
	.section	.rodata,"a",@progbits
	.p2align	6, 0x0
	.amdhsa_kernel _ZN7rocprim17ROCPRIM_400000_NS6detail17trampoline_kernelINS0_14default_configENS1_35radix_sort_onesweep_config_selectorItNS0_10empty_typeEEEZZNS1_29radix_sort_onesweep_iterationIS3_Lb1EPKtPtPS5_SB_mNS0_19identity_decomposerENS1_16block_id_wrapperIjLb1EEEEE10hipError_tT1_PNSt15iterator_traitsISG_E10value_typeET2_T3_PNSH_ISM_E10value_typeET4_T5_PSR_SS_PNS1_23onesweep_lookback_stateEbbT6_jjT7_P12ihipStream_tbENKUlT_T0_SG_SL_E_clIS9_SA_SB_SB_EEDaSZ_S10_SG_SL_EUlSZ_E_NS1_11comp_targetILNS1_3genE2ELNS1_11target_archE906ELNS1_3gpuE6ELNS1_3repE0EEENS1_47radix_sort_onesweep_sort_config_static_selectorELNS0_4arch9wavefront6targetE0EEEvSG_
		.amdhsa_group_segment_fixed_size 0
		.amdhsa_private_segment_fixed_size 0
		.amdhsa_kernarg_size 88
		.amdhsa_user_sgpr_count 2
		.amdhsa_user_sgpr_dispatch_ptr 0
		.amdhsa_user_sgpr_queue_ptr 0
		.amdhsa_user_sgpr_kernarg_segment_ptr 1
		.amdhsa_user_sgpr_dispatch_id 0
		.amdhsa_user_sgpr_kernarg_preload_length 0
		.amdhsa_user_sgpr_kernarg_preload_offset 0
		.amdhsa_user_sgpr_private_segment_size 0
		.amdhsa_wavefront_size32 1
		.amdhsa_uses_dynamic_stack 0
		.amdhsa_enable_private_segment 0
		.amdhsa_system_sgpr_workgroup_id_x 1
		.amdhsa_system_sgpr_workgroup_id_y 0
		.amdhsa_system_sgpr_workgroup_id_z 0
		.amdhsa_system_sgpr_workgroup_info 0
		.amdhsa_system_vgpr_workitem_id 0
		.amdhsa_next_free_vgpr 1
		.amdhsa_next_free_sgpr 1
		.amdhsa_named_barrier_count 0
		.amdhsa_reserve_vcc 0
		.amdhsa_float_round_mode_32 0
		.amdhsa_float_round_mode_16_64 0
		.amdhsa_float_denorm_mode_32 3
		.amdhsa_float_denorm_mode_16_64 3
		.amdhsa_fp16_overflow 0
		.amdhsa_memory_ordered 1
		.amdhsa_forward_progress 1
		.amdhsa_inst_pref_size 0
		.amdhsa_round_robin_scheduling 0
		.amdhsa_exception_fp_ieee_invalid_op 0
		.amdhsa_exception_fp_denorm_src 0
		.amdhsa_exception_fp_ieee_div_zero 0
		.amdhsa_exception_fp_ieee_overflow 0
		.amdhsa_exception_fp_ieee_underflow 0
		.amdhsa_exception_fp_ieee_inexact 0
		.amdhsa_exception_int_div_zero 0
	.end_amdhsa_kernel
	.section	.text._ZN7rocprim17ROCPRIM_400000_NS6detail17trampoline_kernelINS0_14default_configENS1_35radix_sort_onesweep_config_selectorItNS0_10empty_typeEEEZZNS1_29radix_sort_onesweep_iterationIS3_Lb1EPKtPtPS5_SB_mNS0_19identity_decomposerENS1_16block_id_wrapperIjLb1EEEEE10hipError_tT1_PNSt15iterator_traitsISG_E10value_typeET2_T3_PNSH_ISM_E10value_typeET4_T5_PSR_SS_PNS1_23onesweep_lookback_stateEbbT6_jjT7_P12ihipStream_tbENKUlT_T0_SG_SL_E_clIS9_SA_SB_SB_EEDaSZ_S10_SG_SL_EUlSZ_E_NS1_11comp_targetILNS1_3genE2ELNS1_11target_archE906ELNS1_3gpuE6ELNS1_3repE0EEENS1_47radix_sort_onesweep_sort_config_static_selectorELNS0_4arch9wavefront6targetE0EEEvSG_,"axG",@progbits,_ZN7rocprim17ROCPRIM_400000_NS6detail17trampoline_kernelINS0_14default_configENS1_35radix_sort_onesweep_config_selectorItNS0_10empty_typeEEEZZNS1_29radix_sort_onesweep_iterationIS3_Lb1EPKtPtPS5_SB_mNS0_19identity_decomposerENS1_16block_id_wrapperIjLb1EEEEE10hipError_tT1_PNSt15iterator_traitsISG_E10value_typeET2_T3_PNSH_ISM_E10value_typeET4_T5_PSR_SS_PNS1_23onesweep_lookback_stateEbbT6_jjT7_P12ihipStream_tbENKUlT_T0_SG_SL_E_clIS9_SA_SB_SB_EEDaSZ_S10_SG_SL_EUlSZ_E_NS1_11comp_targetILNS1_3genE2ELNS1_11target_archE906ELNS1_3gpuE6ELNS1_3repE0EEENS1_47radix_sort_onesweep_sort_config_static_selectorELNS0_4arch9wavefront6targetE0EEEvSG_,comdat
.Lfunc_end2389:
	.size	_ZN7rocprim17ROCPRIM_400000_NS6detail17trampoline_kernelINS0_14default_configENS1_35radix_sort_onesweep_config_selectorItNS0_10empty_typeEEEZZNS1_29radix_sort_onesweep_iterationIS3_Lb1EPKtPtPS5_SB_mNS0_19identity_decomposerENS1_16block_id_wrapperIjLb1EEEEE10hipError_tT1_PNSt15iterator_traitsISG_E10value_typeET2_T3_PNSH_ISM_E10value_typeET4_T5_PSR_SS_PNS1_23onesweep_lookback_stateEbbT6_jjT7_P12ihipStream_tbENKUlT_T0_SG_SL_E_clIS9_SA_SB_SB_EEDaSZ_S10_SG_SL_EUlSZ_E_NS1_11comp_targetILNS1_3genE2ELNS1_11target_archE906ELNS1_3gpuE6ELNS1_3repE0EEENS1_47radix_sort_onesweep_sort_config_static_selectorELNS0_4arch9wavefront6targetE0EEEvSG_, .Lfunc_end2389-_ZN7rocprim17ROCPRIM_400000_NS6detail17trampoline_kernelINS0_14default_configENS1_35radix_sort_onesweep_config_selectorItNS0_10empty_typeEEEZZNS1_29radix_sort_onesweep_iterationIS3_Lb1EPKtPtPS5_SB_mNS0_19identity_decomposerENS1_16block_id_wrapperIjLb1EEEEE10hipError_tT1_PNSt15iterator_traitsISG_E10value_typeET2_T3_PNSH_ISM_E10value_typeET4_T5_PSR_SS_PNS1_23onesweep_lookback_stateEbbT6_jjT7_P12ihipStream_tbENKUlT_T0_SG_SL_E_clIS9_SA_SB_SB_EEDaSZ_S10_SG_SL_EUlSZ_E_NS1_11comp_targetILNS1_3genE2ELNS1_11target_archE906ELNS1_3gpuE6ELNS1_3repE0EEENS1_47radix_sort_onesweep_sort_config_static_selectorELNS0_4arch9wavefront6targetE0EEEvSG_
                                        ; -- End function
	.set _ZN7rocprim17ROCPRIM_400000_NS6detail17trampoline_kernelINS0_14default_configENS1_35radix_sort_onesweep_config_selectorItNS0_10empty_typeEEEZZNS1_29radix_sort_onesweep_iterationIS3_Lb1EPKtPtPS5_SB_mNS0_19identity_decomposerENS1_16block_id_wrapperIjLb1EEEEE10hipError_tT1_PNSt15iterator_traitsISG_E10value_typeET2_T3_PNSH_ISM_E10value_typeET4_T5_PSR_SS_PNS1_23onesweep_lookback_stateEbbT6_jjT7_P12ihipStream_tbENKUlT_T0_SG_SL_E_clIS9_SA_SB_SB_EEDaSZ_S10_SG_SL_EUlSZ_E_NS1_11comp_targetILNS1_3genE2ELNS1_11target_archE906ELNS1_3gpuE6ELNS1_3repE0EEENS1_47radix_sort_onesweep_sort_config_static_selectorELNS0_4arch9wavefront6targetE0EEEvSG_.num_vgpr, 0
	.set _ZN7rocprim17ROCPRIM_400000_NS6detail17trampoline_kernelINS0_14default_configENS1_35radix_sort_onesweep_config_selectorItNS0_10empty_typeEEEZZNS1_29radix_sort_onesweep_iterationIS3_Lb1EPKtPtPS5_SB_mNS0_19identity_decomposerENS1_16block_id_wrapperIjLb1EEEEE10hipError_tT1_PNSt15iterator_traitsISG_E10value_typeET2_T3_PNSH_ISM_E10value_typeET4_T5_PSR_SS_PNS1_23onesweep_lookback_stateEbbT6_jjT7_P12ihipStream_tbENKUlT_T0_SG_SL_E_clIS9_SA_SB_SB_EEDaSZ_S10_SG_SL_EUlSZ_E_NS1_11comp_targetILNS1_3genE2ELNS1_11target_archE906ELNS1_3gpuE6ELNS1_3repE0EEENS1_47radix_sort_onesweep_sort_config_static_selectorELNS0_4arch9wavefront6targetE0EEEvSG_.num_agpr, 0
	.set _ZN7rocprim17ROCPRIM_400000_NS6detail17trampoline_kernelINS0_14default_configENS1_35radix_sort_onesweep_config_selectorItNS0_10empty_typeEEEZZNS1_29radix_sort_onesweep_iterationIS3_Lb1EPKtPtPS5_SB_mNS0_19identity_decomposerENS1_16block_id_wrapperIjLb1EEEEE10hipError_tT1_PNSt15iterator_traitsISG_E10value_typeET2_T3_PNSH_ISM_E10value_typeET4_T5_PSR_SS_PNS1_23onesweep_lookback_stateEbbT6_jjT7_P12ihipStream_tbENKUlT_T0_SG_SL_E_clIS9_SA_SB_SB_EEDaSZ_S10_SG_SL_EUlSZ_E_NS1_11comp_targetILNS1_3genE2ELNS1_11target_archE906ELNS1_3gpuE6ELNS1_3repE0EEENS1_47radix_sort_onesweep_sort_config_static_selectorELNS0_4arch9wavefront6targetE0EEEvSG_.numbered_sgpr, 0
	.set _ZN7rocprim17ROCPRIM_400000_NS6detail17trampoline_kernelINS0_14default_configENS1_35radix_sort_onesweep_config_selectorItNS0_10empty_typeEEEZZNS1_29radix_sort_onesweep_iterationIS3_Lb1EPKtPtPS5_SB_mNS0_19identity_decomposerENS1_16block_id_wrapperIjLb1EEEEE10hipError_tT1_PNSt15iterator_traitsISG_E10value_typeET2_T3_PNSH_ISM_E10value_typeET4_T5_PSR_SS_PNS1_23onesweep_lookback_stateEbbT6_jjT7_P12ihipStream_tbENKUlT_T0_SG_SL_E_clIS9_SA_SB_SB_EEDaSZ_S10_SG_SL_EUlSZ_E_NS1_11comp_targetILNS1_3genE2ELNS1_11target_archE906ELNS1_3gpuE6ELNS1_3repE0EEENS1_47radix_sort_onesweep_sort_config_static_selectorELNS0_4arch9wavefront6targetE0EEEvSG_.num_named_barrier, 0
	.set _ZN7rocprim17ROCPRIM_400000_NS6detail17trampoline_kernelINS0_14default_configENS1_35radix_sort_onesweep_config_selectorItNS0_10empty_typeEEEZZNS1_29radix_sort_onesweep_iterationIS3_Lb1EPKtPtPS5_SB_mNS0_19identity_decomposerENS1_16block_id_wrapperIjLb1EEEEE10hipError_tT1_PNSt15iterator_traitsISG_E10value_typeET2_T3_PNSH_ISM_E10value_typeET4_T5_PSR_SS_PNS1_23onesweep_lookback_stateEbbT6_jjT7_P12ihipStream_tbENKUlT_T0_SG_SL_E_clIS9_SA_SB_SB_EEDaSZ_S10_SG_SL_EUlSZ_E_NS1_11comp_targetILNS1_3genE2ELNS1_11target_archE906ELNS1_3gpuE6ELNS1_3repE0EEENS1_47radix_sort_onesweep_sort_config_static_selectorELNS0_4arch9wavefront6targetE0EEEvSG_.private_seg_size, 0
	.set _ZN7rocprim17ROCPRIM_400000_NS6detail17trampoline_kernelINS0_14default_configENS1_35radix_sort_onesweep_config_selectorItNS0_10empty_typeEEEZZNS1_29radix_sort_onesweep_iterationIS3_Lb1EPKtPtPS5_SB_mNS0_19identity_decomposerENS1_16block_id_wrapperIjLb1EEEEE10hipError_tT1_PNSt15iterator_traitsISG_E10value_typeET2_T3_PNSH_ISM_E10value_typeET4_T5_PSR_SS_PNS1_23onesweep_lookback_stateEbbT6_jjT7_P12ihipStream_tbENKUlT_T0_SG_SL_E_clIS9_SA_SB_SB_EEDaSZ_S10_SG_SL_EUlSZ_E_NS1_11comp_targetILNS1_3genE2ELNS1_11target_archE906ELNS1_3gpuE6ELNS1_3repE0EEENS1_47radix_sort_onesweep_sort_config_static_selectorELNS0_4arch9wavefront6targetE0EEEvSG_.uses_vcc, 0
	.set _ZN7rocprim17ROCPRIM_400000_NS6detail17trampoline_kernelINS0_14default_configENS1_35radix_sort_onesweep_config_selectorItNS0_10empty_typeEEEZZNS1_29radix_sort_onesweep_iterationIS3_Lb1EPKtPtPS5_SB_mNS0_19identity_decomposerENS1_16block_id_wrapperIjLb1EEEEE10hipError_tT1_PNSt15iterator_traitsISG_E10value_typeET2_T3_PNSH_ISM_E10value_typeET4_T5_PSR_SS_PNS1_23onesweep_lookback_stateEbbT6_jjT7_P12ihipStream_tbENKUlT_T0_SG_SL_E_clIS9_SA_SB_SB_EEDaSZ_S10_SG_SL_EUlSZ_E_NS1_11comp_targetILNS1_3genE2ELNS1_11target_archE906ELNS1_3gpuE6ELNS1_3repE0EEENS1_47radix_sort_onesweep_sort_config_static_selectorELNS0_4arch9wavefront6targetE0EEEvSG_.uses_flat_scratch, 0
	.set _ZN7rocprim17ROCPRIM_400000_NS6detail17trampoline_kernelINS0_14default_configENS1_35radix_sort_onesweep_config_selectorItNS0_10empty_typeEEEZZNS1_29radix_sort_onesweep_iterationIS3_Lb1EPKtPtPS5_SB_mNS0_19identity_decomposerENS1_16block_id_wrapperIjLb1EEEEE10hipError_tT1_PNSt15iterator_traitsISG_E10value_typeET2_T3_PNSH_ISM_E10value_typeET4_T5_PSR_SS_PNS1_23onesweep_lookback_stateEbbT6_jjT7_P12ihipStream_tbENKUlT_T0_SG_SL_E_clIS9_SA_SB_SB_EEDaSZ_S10_SG_SL_EUlSZ_E_NS1_11comp_targetILNS1_3genE2ELNS1_11target_archE906ELNS1_3gpuE6ELNS1_3repE0EEENS1_47radix_sort_onesweep_sort_config_static_selectorELNS0_4arch9wavefront6targetE0EEEvSG_.has_dyn_sized_stack, 0
	.set _ZN7rocprim17ROCPRIM_400000_NS6detail17trampoline_kernelINS0_14default_configENS1_35radix_sort_onesweep_config_selectorItNS0_10empty_typeEEEZZNS1_29radix_sort_onesweep_iterationIS3_Lb1EPKtPtPS5_SB_mNS0_19identity_decomposerENS1_16block_id_wrapperIjLb1EEEEE10hipError_tT1_PNSt15iterator_traitsISG_E10value_typeET2_T3_PNSH_ISM_E10value_typeET4_T5_PSR_SS_PNS1_23onesweep_lookback_stateEbbT6_jjT7_P12ihipStream_tbENKUlT_T0_SG_SL_E_clIS9_SA_SB_SB_EEDaSZ_S10_SG_SL_EUlSZ_E_NS1_11comp_targetILNS1_3genE2ELNS1_11target_archE906ELNS1_3gpuE6ELNS1_3repE0EEENS1_47radix_sort_onesweep_sort_config_static_selectorELNS0_4arch9wavefront6targetE0EEEvSG_.has_recursion, 0
	.set _ZN7rocprim17ROCPRIM_400000_NS6detail17trampoline_kernelINS0_14default_configENS1_35radix_sort_onesweep_config_selectorItNS0_10empty_typeEEEZZNS1_29radix_sort_onesweep_iterationIS3_Lb1EPKtPtPS5_SB_mNS0_19identity_decomposerENS1_16block_id_wrapperIjLb1EEEEE10hipError_tT1_PNSt15iterator_traitsISG_E10value_typeET2_T3_PNSH_ISM_E10value_typeET4_T5_PSR_SS_PNS1_23onesweep_lookback_stateEbbT6_jjT7_P12ihipStream_tbENKUlT_T0_SG_SL_E_clIS9_SA_SB_SB_EEDaSZ_S10_SG_SL_EUlSZ_E_NS1_11comp_targetILNS1_3genE2ELNS1_11target_archE906ELNS1_3gpuE6ELNS1_3repE0EEENS1_47radix_sort_onesweep_sort_config_static_selectorELNS0_4arch9wavefront6targetE0EEEvSG_.has_indirect_call, 0
	.section	.AMDGPU.csdata,"",@progbits
; Kernel info:
; codeLenInByte = 0
; TotalNumSgprs: 0
; NumVgprs: 0
; ScratchSize: 0
; MemoryBound: 0
; FloatMode: 240
; IeeeMode: 1
; LDSByteSize: 0 bytes/workgroup (compile time only)
; SGPRBlocks: 0
; VGPRBlocks: 0
; NumSGPRsForWavesPerEU: 1
; NumVGPRsForWavesPerEU: 1
; NamedBarCnt: 0
; Occupancy: 16
; WaveLimiterHint : 0
; COMPUTE_PGM_RSRC2:SCRATCH_EN: 0
; COMPUTE_PGM_RSRC2:USER_SGPR: 2
; COMPUTE_PGM_RSRC2:TRAP_HANDLER: 0
; COMPUTE_PGM_RSRC2:TGID_X_EN: 1
; COMPUTE_PGM_RSRC2:TGID_Y_EN: 0
; COMPUTE_PGM_RSRC2:TGID_Z_EN: 0
; COMPUTE_PGM_RSRC2:TIDIG_COMP_CNT: 0
	.section	.text._ZN7rocprim17ROCPRIM_400000_NS6detail17trampoline_kernelINS0_14default_configENS1_35radix_sort_onesweep_config_selectorItNS0_10empty_typeEEEZZNS1_29radix_sort_onesweep_iterationIS3_Lb1EPKtPtPS5_SB_mNS0_19identity_decomposerENS1_16block_id_wrapperIjLb1EEEEE10hipError_tT1_PNSt15iterator_traitsISG_E10value_typeET2_T3_PNSH_ISM_E10value_typeET4_T5_PSR_SS_PNS1_23onesweep_lookback_stateEbbT6_jjT7_P12ihipStream_tbENKUlT_T0_SG_SL_E_clIS9_SA_SB_SB_EEDaSZ_S10_SG_SL_EUlSZ_E_NS1_11comp_targetILNS1_3genE4ELNS1_11target_archE910ELNS1_3gpuE8ELNS1_3repE0EEENS1_47radix_sort_onesweep_sort_config_static_selectorELNS0_4arch9wavefront6targetE0EEEvSG_,"axG",@progbits,_ZN7rocprim17ROCPRIM_400000_NS6detail17trampoline_kernelINS0_14default_configENS1_35radix_sort_onesweep_config_selectorItNS0_10empty_typeEEEZZNS1_29radix_sort_onesweep_iterationIS3_Lb1EPKtPtPS5_SB_mNS0_19identity_decomposerENS1_16block_id_wrapperIjLb1EEEEE10hipError_tT1_PNSt15iterator_traitsISG_E10value_typeET2_T3_PNSH_ISM_E10value_typeET4_T5_PSR_SS_PNS1_23onesweep_lookback_stateEbbT6_jjT7_P12ihipStream_tbENKUlT_T0_SG_SL_E_clIS9_SA_SB_SB_EEDaSZ_S10_SG_SL_EUlSZ_E_NS1_11comp_targetILNS1_3genE4ELNS1_11target_archE910ELNS1_3gpuE8ELNS1_3repE0EEENS1_47radix_sort_onesweep_sort_config_static_selectorELNS0_4arch9wavefront6targetE0EEEvSG_,comdat
	.protected	_ZN7rocprim17ROCPRIM_400000_NS6detail17trampoline_kernelINS0_14default_configENS1_35radix_sort_onesweep_config_selectorItNS0_10empty_typeEEEZZNS1_29radix_sort_onesweep_iterationIS3_Lb1EPKtPtPS5_SB_mNS0_19identity_decomposerENS1_16block_id_wrapperIjLb1EEEEE10hipError_tT1_PNSt15iterator_traitsISG_E10value_typeET2_T3_PNSH_ISM_E10value_typeET4_T5_PSR_SS_PNS1_23onesweep_lookback_stateEbbT6_jjT7_P12ihipStream_tbENKUlT_T0_SG_SL_E_clIS9_SA_SB_SB_EEDaSZ_S10_SG_SL_EUlSZ_E_NS1_11comp_targetILNS1_3genE4ELNS1_11target_archE910ELNS1_3gpuE8ELNS1_3repE0EEENS1_47radix_sort_onesweep_sort_config_static_selectorELNS0_4arch9wavefront6targetE0EEEvSG_ ; -- Begin function _ZN7rocprim17ROCPRIM_400000_NS6detail17trampoline_kernelINS0_14default_configENS1_35radix_sort_onesweep_config_selectorItNS0_10empty_typeEEEZZNS1_29radix_sort_onesweep_iterationIS3_Lb1EPKtPtPS5_SB_mNS0_19identity_decomposerENS1_16block_id_wrapperIjLb1EEEEE10hipError_tT1_PNSt15iterator_traitsISG_E10value_typeET2_T3_PNSH_ISM_E10value_typeET4_T5_PSR_SS_PNS1_23onesweep_lookback_stateEbbT6_jjT7_P12ihipStream_tbENKUlT_T0_SG_SL_E_clIS9_SA_SB_SB_EEDaSZ_S10_SG_SL_EUlSZ_E_NS1_11comp_targetILNS1_3genE4ELNS1_11target_archE910ELNS1_3gpuE8ELNS1_3repE0EEENS1_47radix_sort_onesweep_sort_config_static_selectorELNS0_4arch9wavefront6targetE0EEEvSG_
	.globl	_ZN7rocprim17ROCPRIM_400000_NS6detail17trampoline_kernelINS0_14default_configENS1_35radix_sort_onesweep_config_selectorItNS0_10empty_typeEEEZZNS1_29radix_sort_onesweep_iterationIS3_Lb1EPKtPtPS5_SB_mNS0_19identity_decomposerENS1_16block_id_wrapperIjLb1EEEEE10hipError_tT1_PNSt15iterator_traitsISG_E10value_typeET2_T3_PNSH_ISM_E10value_typeET4_T5_PSR_SS_PNS1_23onesweep_lookback_stateEbbT6_jjT7_P12ihipStream_tbENKUlT_T0_SG_SL_E_clIS9_SA_SB_SB_EEDaSZ_S10_SG_SL_EUlSZ_E_NS1_11comp_targetILNS1_3genE4ELNS1_11target_archE910ELNS1_3gpuE8ELNS1_3repE0EEENS1_47radix_sort_onesweep_sort_config_static_selectorELNS0_4arch9wavefront6targetE0EEEvSG_
	.p2align	8
	.type	_ZN7rocprim17ROCPRIM_400000_NS6detail17trampoline_kernelINS0_14default_configENS1_35radix_sort_onesweep_config_selectorItNS0_10empty_typeEEEZZNS1_29radix_sort_onesweep_iterationIS3_Lb1EPKtPtPS5_SB_mNS0_19identity_decomposerENS1_16block_id_wrapperIjLb1EEEEE10hipError_tT1_PNSt15iterator_traitsISG_E10value_typeET2_T3_PNSH_ISM_E10value_typeET4_T5_PSR_SS_PNS1_23onesweep_lookback_stateEbbT6_jjT7_P12ihipStream_tbENKUlT_T0_SG_SL_E_clIS9_SA_SB_SB_EEDaSZ_S10_SG_SL_EUlSZ_E_NS1_11comp_targetILNS1_3genE4ELNS1_11target_archE910ELNS1_3gpuE8ELNS1_3repE0EEENS1_47radix_sort_onesweep_sort_config_static_selectorELNS0_4arch9wavefront6targetE0EEEvSG_,@function
_ZN7rocprim17ROCPRIM_400000_NS6detail17trampoline_kernelINS0_14default_configENS1_35radix_sort_onesweep_config_selectorItNS0_10empty_typeEEEZZNS1_29radix_sort_onesweep_iterationIS3_Lb1EPKtPtPS5_SB_mNS0_19identity_decomposerENS1_16block_id_wrapperIjLb1EEEEE10hipError_tT1_PNSt15iterator_traitsISG_E10value_typeET2_T3_PNSH_ISM_E10value_typeET4_T5_PSR_SS_PNS1_23onesweep_lookback_stateEbbT6_jjT7_P12ihipStream_tbENKUlT_T0_SG_SL_E_clIS9_SA_SB_SB_EEDaSZ_S10_SG_SL_EUlSZ_E_NS1_11comp_targetILNS1_3genE4ELNS1_11target_archE910ELNS1_3gpuE8ELNS1_3repE0EEENS1_47radix_sort_onesweep_sort_config_static_selectorELNS0_4arch9wavefront6targetE0EEEvSG_: ; @_ZN7rocprim17ROCPRIM_400000_NS6detail17trampoline_kernelINS0_14default_configENS1_35radix_sort_onesweep_config_selectorItNS0_10empty_typeEEEZZNS1_29radix_sort_onesweep_iterationIS3_Lb1EPKtPtPS5_SB_mNS0_19identity_decomposerENS1_16block_id_wrapperIjLb1EEEEE10hipError_tT1_PNSt15iterator_traitsISG_E10value_typeET2_T3_PNSH_ISM_E10value_typeET4_T5_PSR_SS_PNS1_23onesweep_lookback_stateEbbT6_jjT7_P12ihipStream_tbENKUlT_T0_SG_SL_E_clIS9_SA_SB_SB_EEDaSZ_S10_SG_SL_EUlSZ_E_NS1_11comp_targetILNS1_3genE4ELNS1_11target_archE910ELNS1_3gpuE8ELNS1_3repE0EEENS1_47radix_sort_onesweep_sort_config_static_selectorELNS0_4arch9wavefront6targetE0EEEvSG_
; %bb.0:
	.section	.rodata,"a",@progbits
	.p2align	6, 0x0
	.amdhsa_kernel _ZN7rocprim17ROCPRIM_400000_NS6detail17trampoline_kernelINS0_14default_configENS1_35radix_sort_onesweep_config_selectorItNS0_10empty_typeEEEZZNS1_29radix_sort_onesweep_iterationIS3_Lb1EPKtPtPS5_SB_mNS0_19identity_decomposerENS1_16block_id_wrapperIjLb1EEEEE10hipError_tT1_PNSt15iterator_traitsISG_E10value_typeET2_T3_PNSH_ISM_E10value_typeET4_T5_PSR_SS_PNS1_23onesweep_lookback_stateEbbT6_jjT7_P12ihipStream_tbENKUlT_T0_SG_SL_E_clIS9_SA_SB_SB_EEDaSZ_S10_SG_SL_EUlSZ_E_NS1_11comp_targetILNS1_3genE4ELNS1_11target_archE910ELNS1_3gpuE8ELNS1_3repE0EEENS1_47radix_sort_onesweep_sort_config_static_selectorELNS0_4arch9wavefront6targetE0EEEvSG_
		.amdhsa_group_segment_fixed_size 0
		.amdhsa_private_segment_fixed_size 0
		.amdhsa_kernarg_size 88
		.amdhsa_user_sgpr_count 2
		.amdhsa_user_sgpr_dispatch_ptr 0
		.amdhsa_user_sgpr_queue_ptr 0
		.amdhsa_user_sgpr_kernarg_segment_ptr 1
		.amdhsa_user_sgpr_dispatch_id 0
		.amdhsa_user_sgpr_kernarg_preload_length 0
		.amdhsa_user_sgpr_kernarg_preload_offset 0
		.amdhsa_user_sgpr_private_segment_size 0
		.amdhsa_wavefront_size32 1
		.amdhsa_uses_dynamic_stack 0
		.amdhsa_enable_private_segment 0
		.amdhsa_system_sgpr_workgroup_id_x 1
		.amdhsa_system_sgpr_workgroup_id_y 0
		.amdhsa_system_sgpr_workgroup_id_z 0
		.amdhsa_system_sgpr_workgroup_info 0
		.amdhsa_system_vgpr_workitem_id 0
		.amdhsa_next_free_vgpr 1
		.amdhsa_next_free_sgpr 1
		.amdhsa_named_barrier_count 0
		.amdhsa_reserve_vcc 0
		.amdhsa_float_round_mode_32 0
		.amdhsa_float_round_mode_16_64 0
		.amdhsa_float_denorm_mode_32 3
		.amdhsa_float_denorm_mode_16_64 3
		.amdhsa_fp16_overflow 0
		.amdhsa_memory_ordered 1
		.amdhsa_forward_progress 1
		.amdhsa_inst_pref_size 0
		.amdhsa_round_robin_scheduling 0
		.amdhsa_exception_fp_ieee_invalid_op 0
		.amdhsa_exception_fp_denorm_src 0
		.amdhsa_exception_fp_ieee_div_zero 0
		.amdhsa_exception_fp_ieee_overflow 0
		.amdhsa_exception_fp_ieee_underflow 0
		.amdhsa_exception_fp_ieee_inexact 0
		.amdhsa_exception_int_div_zero 0
	.end_amdhsa_kernel
	.section	.text._ZN7rocprim17ROCPRIM_400000_NS6detail17trampoline_kernelINS0_14default_configENS1_35radix_sort_onesweep_config_selectorItNS0_10empty_typeEEEZZNS1_29radix_sort_onesweep_iterationIS3_Lb1EPKtPtPS5_SB_mNS0_19identity_decomposerENS1_16block_id_wrapperIjLb1EEEEE10hipError_tT1_PNSt15iterator_traitsISG_E10value_typeET2_T3_PNSH_ISM_E10value_typeET4_T5_PSR_SS_PNS1_23onesweep_lookback_stateEbbT6_jjT7_P12ihipStream_tbENKUlT_T0_SG_SL_E_clIS9_SA_SB_SB_EEDaSZ_S10_SG_SL_EUlSZ_E_NS1_11comp_targetILNS1_3genE4ELNS1_11target_archE910ELNS1_3gpuE8ELNS1_3repE0EEENS1_47radix_sort_onesweep_sort_config_static_selectorELNS0_4arch9wavefront6targetE0EEEvSG_,"axG",@progbits,_ZN7rocprim17ROCPRIM_400000_NS6detail17trampoline_kernelINS0_14default_configENS1_35radix_sort_onesweep_config_selectorItNS0_10empty_typeEEEZZNS1_29radix_sort_onesweep_iterationIS3_Lb1EPKtPtPS5_SB_mNS0_19identity_decomposerENS1_16block_id_wrapperIjLb1EEEEE10hipError_tT1_PNSt15iterator_traitsISG_E10value_typeET2_T3_PNSH_ISM_E10value_typeET4_T5_PSR_SS_PNS1_23onesweep_lookback_stateEbbT6_jjT7_P12ihipStream_tbENKUlT_T0_SG_SL_E_clIS9_SA_SB_SB_EEDaSZ_S10_SG_SL_EUlSZ_E_NS1_11comp_targetILNS1_3genE4ELNS1_11target_archE910ELNS1_3gpuE8ELNS1_3repE0EEENS1_47radix_sort_onesweep_sort_config_static_selectorELNS0_4arch9wavefront6targetE0EEEvSG_,comdat
.Lfunc_end2390:
	.size	_ZN7rocprim17ROCPRIM_400000_NS6detail17trampoline_kernelINS0_14default_configENS1_35radix_sort_onesweep_config_selectorItNS0_10empty_typeEEEZZNS1_29radix_sort_onesweep_iterationIS3_Lb1EPKtPtPS5_SB_mNS0_19identity_decomposerENS1_16block_id_wrapperIjLb1EEEEE10hipError_tT1_PNSt15iterator_traitsISG_E10value_typeET2_T3_PNSH_ISM_E10value_typeET4_T5_PSR_SS_PNS1_23onesweep_lookback_stateEbbT6_jjT7_P12ihipStream_tbENKUlT_T0_SG_SL_E_clIS9_SA_SB_SB_EEDaSZ_S10_SG_SL_EUlSZ_E_NS1_11comp_targetILNS1_3genE4ELNS1_11target_archE910ELNS1_3gpuE8ELNS1_3repE0EEENS1_47radix_sort_onesweep_sort_config_static_selectorELNS0_4arch9wavefront6targetE0EEEvSG_, .Lfunc_end2390-_ZN7rocprim17ROCPRIM_400000_NS6detail17trampoline_kernelINS0_14default_configENS1_35radix_sort_onesweep_config_selectorItNS0_10empty_typeEEEZZNS1_29radix_sort_onesweep_iterationIS3_Lb1EPKtPtPS5_SB_mNS0_19identity_decomposerENS1_16block_id_wrapperIjLb1EEEEE10hipError_tT1_PNSt15iterator_traitsISG_E10value_typeET2_T3_PNSH_ISM_E10value_typeET4_T5_PSR_SS_PNS1_23onesweep_lookback_stateEbbT6_jjT7_P12ihipStream_tbENKUlT_T0_SG_SL_E_clIS9_SA_SB_SB_EEDaSZ_S10_SG_SL_EUlSZ_E_NS1_11comp_targetILNS1_3genE4ELNS1_11target_archE910ELNS1_3gpuE8ELNS1_3repE0EEENS1_47radix_sort_onesweep_sort_config_static_selectorELNS0_4arch9wavefront6targetE0EEEvSG_
                                        ; -- End function
	.set _ZN7rocprim17ROCPRIM_400000_NS6detail17trampoline_kernelINS0_14default_configENS1_35radix_sort_onesweep_config_selectorItNS0_10empty_typeEEEZZNS1_29radix_sort_onesweep_iterationIS3_Lb1EPKtPtPS5_SB_mNS0_19identity_decomposerENS1_16block_id_wrapperIjLb1EEEEE10hipError_tT1_PNSt15iterator_traitsISG_E10value_typeET2_T3_PNSH_ISM_E10value_typeET4_T5_PSR_SS_PNS1_23onesweep_lookback_stateEbbT6_jjT7_P12ihipStream_tbENKUlT_T0_SG_SL_E_clIS9_SA_SB_SB_EEDaSZ_S10_SG_SL_EUlSZ_E_NS1_11comp_targetILNS1_3genE4ELNS1_11target_archE910ELNS1_3gpuE8ELNS1_3repE0EEENS1_47radix_sort_onesweep_sort_config_static_selectorELNS0_4arch9wavefront6targetE0EEEvSG_.num_vgpr, 0
	.set _ZN7rocprim17ROCPRIM_400000_NS6detail17trampoline_kernelINS0_14default_configENS1_35radix_sort_onesweep_config_selectorItNS0_10empty_typeEEEZZNS1_29radix_sort_onesweep_iterationIS3_Lb1EPKtPtPS5_SB_mNS0_19identity_decomposerENS1_16block_id_wrapperIjLb1EEEEE10hipError_tT1_PNSt15iterator_traitsISG_E10value_typeET2_T3_PNSH_ISM_E10value_typeET4_T5_PSR_SS_PNS1_23onesweep_lookback_stateEbbT6_jjT7_P12ihipStream_tbENKUlT_T0_SG_SL_E_clIS9_SA_SB_SB_EEDaSZ_S10_SG_SL_EUlSZ_E_NS1_11comp_targetILNS1_3genE4ELNS1_11target_archE910ELNS1_3gpuE8ELNS1_3repE0EEENS1_47radix_sort_onesweep_sort_config_static_selectorELNS0_4arch9wavefront6targetE0EEEvSG_.num_agpr, 0
	.set _ZN7rocprim17ROCPRIM_400000_NS6detail17trampoline_kernelINS0_14default_configENS1_35radix_sort_onesweep_config_selectorItNS0_10empty_typeEEEZZNS1_29radix_sort_onesweep_iterationIS3_Lb1EPKtPtPS5_SB_mNS0_19identity_decomposerENS1_16block_id_wrapperIjLb1EEEEE10hipError_tT1_PNSt15iterator_traitsISG_E10value_typeET2_T3_PNSH_ISM_E10value_typeET4_T5_PSR_SS_PNS1_23onesweep_lookback_stateEbbT6_jjT7_P12ihipStream_tbENKUlT_T0_SG_SL_E_clIS9_SA_SB_SB_EEDaSZ_S10_SG_SL_EUlSZ_E_NS1_11comp_targetILNS1_3genE4ELNS1_11target_archE910ELNS1_3gpuE8ELNS1_3repE0EEENS1_47radix_sort_onesweep_sort_config_static_selectorELNS0_4arch9wavefront6targetE0EEEvSG_.numbered_sgpr, 0
	.set _ZN7rocprim17ROCPRIM_400000_NS6detail17trampoline_kernelINS0_14default_configENS1_35radix_sort_onesweep_config_selectorItNS0_10empty_typeEEEZZNS1_29radix_sort_onesweep_iterationIS3_Lb1EPKtPtPS5_SB_mNS0_19identity_decomposerENS1_16block_id_wrapperIjLb1EEEEE10hipError_tT1_PNSt15iterator_traitsISG_E10value_typeET2_T3_PNSH_ISM_E10value_typeET4_T5_PSR_SS_PNS1_23onesweep_lookback_stateEbbT6_jjT7_P12ihipStream_tbENKUlT_T0_SG_SL_E_clIS9_SA_SB_SB_EEDaSZ_S10_SG_SL_EUlSZ_E_NS1_11comp_targetILNS1_3genE4ELNS1_11target_archE910ELNS1_3gpuE8ELNS1_3repE0EEENS1_47radix_sort_onesweep_sort_config_static_selectorELNS0_4arch9wavefront6targetE0EEEvSG_.num_named_barrier, 0
	.set _ZN7rocprim17ROCPRIM_400000_NS6detail17trampoline_kernelINS0_14default_configENS1_35radix_sort_onesweep_config_selectorItNS0_10empty_typeEEEZZNS1_29radix_sort_onesweep_iterationIS3_Lb1EPKtPtPS5_SB_mNS0_19identity_decomposerENS1_16block_id_wrapperIjLb1EEEEE10hipError_tT1_PNSt15iterator_traitsISG_E10value_typeET2_T3_PNSH_ISM_E10value_typeET4_T5_PSR_SS_PNS1_23onesweep_lookback_stateEbbT6_jjT7_P12ihipStream_tbENKUlT_T0_SG_SL_E_clIS9_SA_SB_SB_EEDaSZ_S10_SG_SL_EUlSZ_E_NS1_11comp_targetILNS1_3genE4ELNS1_11target_archE910ELNS1_3gpuE8ELNS1_3repE0EEENS1_47radix_sort_onesweep_sort_config_static_selectorELNS0_4arch9wavefront6targetE0EEEvSG_.private_seg_size, 0
	.set _ZN7rocprim17ROCPRIM_400000_NS6detail17trampoline_kernelINS0_14default_configENS1_35radix_sort_onesweep_config_selectorItNS0_10empty_typeEEEZZNS1_29radix_sort_onesweep_iterationIS3_Lb1EPKtPtPS5_SB_mNS0_19identity_decomposerENS1_16block_id_wrapperIjLb1EEEEE10hipError_tT1_PNSt15iterator_traitsISG_E10value_typeET2_T3_PNSH_ISM_E10value_typeET4_T5_PSR_SS_PNS1_23onesweep_lookback_stateEbbT6_jjT7_P12ihipStream_tbENKUlT_T0_SG_SL_E_clIS9_SA_SB_SB_EEDaSZ_S10_SG_SL_EUlSZ_E_NS1_11comp_targetILNS1_3genE4ELNS1_11target_archE910ELNS1_3gpuE8ELNS1_3repE0EEENS1_47radix_sort_onesweep_sort_config_static_selectorELNS0_4arch9wavefront6targetE0EEEvSG_.uses_vcc, 0
	.set _ZN7rocprim17ROCPRIM_400000_NS6detail17trampoline_kernelINS0_14default_configENS1_35radix_sort_onesweep_config_selectorItNS0_10empty_typeEEEZZNS1_29radix_sort_onesweep_iterationIS3_Lb1EPKtPtPS5_SB_mNS0_19identity_decomposerENS1_16block_id_wrapperIjLb1EEEEE10hipError_tT1_PNSt15iterator_traitsISG_E10value_typeET2_T3_PNSH_ISM_E10value_typeET4_T5_PSR_SS_PNS1_23onesweep_lookback_stateEbbT6_jjT7_P12ihipStream_tbENKUlT_T0_SG_SL_E_clIS9_SA_SB_SB_EEDaSZ_S10_SG_SL_EUlSZ_E_NS1_11comp_targetILNS1_3genE4ELNS1_11target_archE910ELNS1_3gpuE8ELNS1_3repE0EEENS1_47radix_sort_onesweep_sort_config_static_selectorELNS0_4arch9wavefront6targetE0EEEvSG_.uses_flat_scratch, 0
	.set _ZN7rocprim17ROCPRIM_400000_NS6detail17trampoline_kernelINS0_14default_configENS1_35radix_sort_onesweep_config_selectorItNS0_10empty_typeEEEZZNS1_29radix_sort_onesweep_iterationIS3_Lb1EPKtPtPS5_SB_mNS0_19identity_decomposerENS1_16block_id_wrapperIjLb1EEEEE10hipError_tT1_PNSt15iterator_traitsISG_E10value_typeET2_T3_PNSH_ISM_E10value_typeET4_T5_PSR_SS_PNS1_23onesweep_lookback_stateEbbT6_jjT7_P12ihipStream_tbENKUlT_T0_SG_SL_E_clIS9_SA_SB_SB_EEDaSZ_S10_SG_SL_EUlSZ_E_NS1_11comp_targetILNS1_3genE4ELNS1_11target_archE910ELNS1_3gpuE8ELNS1_3repE0EEENS1_47radix_sort_onesweep_sort_config_static_selectorELNS0_4arch9wavefront6targetE0EEEvSG_.has_dyn_sized_stack, 0
	.set _ZN7rocprim17ROCPRIM_400000_NS6detail17trampoline_kernelINS0_14default_configENS1_35radix_sort_onesweep_config_selectorItNS0_10empty_typeEEEZZNS1_29radix_sort_onesweep_iterationIS3_Lb1EPKtPtPS5_SB_mNS0_19identity_decomposerENS1_16block_id_wrapperIjLb1EEEEE10hipError_tT1_PNSt15iterator_traitsISG_E10value_typeET2_T3_PNSH_ISM_E10value_typeET4_T5_PSR_SS_PNS1_23onesweep_lookback_stateEbbT6_jjT7_P12ihipStream_tbENKUlT_T0_SG_SL_E_clIS9_SA_SB_SB_EEDaSZ_S10_SG_SL_EUlSZ_E_NS1_11comp_targetILNS1_3genE4ELNS1_11target_archE910ELNS1_3gpuE8ELNS1_3repE0EEENS1_47radix_sort_onesweep_sort_config_static_selectorELNS0_4arch9wavefront6targetE0EEEvSG_.has_recursion, 0
	.set _ZN7rocprim17ROCPRIM_400000_NS6detail17trampoline_kernelINS0_14default_configENS1_35radix_sort_onesweep_config_selectorItNS0_10empty_typeEEEZZNS1_29radix_sort_onesweep_iterationIS3_Lb1EPKtPtPS5_SB_mNS0_19identity_decomposerENS1_16block_id_wrapperIjLb1EEEEE10hipError_tT1_PNSt15iterator_traitsISG_E10value_typeET2_T3_PNSH_ISM_E10value_typeET4_T5_PSR_SS_PNS1_23onesweep_lookback_stateEbbT6_jjT7_P12ihipStream_tbENKUlT_T0_SG_SL_E_clIS9_SA_SB_SB_EEDaSZ_S10_SG_SL_EUlSZ_E_NS1_11comp_targetILNS1_3genE4ELNS1_11target_archE910ELNS1_3gpuE8ELNS1_3repE0EEENS1_47radix_sort_onesweep_sort_config_static_selectorELNS0_4arch9wavefront6targetE0EEEvSG_.has_indirect_call, 0
	.section	.AMDGPU.csdata,"",@progbits
; Kernel info:
; codeLenInByte = 0
; TotalNumSgprs: 0
; NumVgprs: 0
; ScratchSize: 0
; MemoryBound: 0
; FloatMode: 240
; IeeeMode: 1
; LDSByteSize: 0 bytes/workgroup (compile time only)
; SGPRBlocks: 0
; VGPRBlocks: 0
; NumSGPRsForWavesPerEU: 1
; NumVGPRsForWavesPerEU: 1
; NamedBarCnt: 0
; Occupancy: 16
; WaveLimiterHint : 0
; COMPUTE_PGM_RSRC2:SCRATCH_EN: 0
; COMPUTE_PGM_RSRC2:USER_SGPR: 2
; COMPUTE_PGM_RSRC2:TRAP_HANDLER: 0
; COMPUTE_PGM_RSRC2:TGID_X_EN: 1
; COMPUTE_PGM_RSRC2:TGID_Y_EN: 0
; COMPUTE_PGM_RSRC2:TGID_Z_EN: 0
; COMPUTE_PGM_RSRC2:TIDIG_COMP_CNT: 0
	.section	.text._ZN7rocprim17ROCPRIM_400000_NS6detail17trampoline_kernelINS0_14default_configENS1_35radix_sort_onesweep_config_selectorItNS0_10empty_typeEEEZZNS1_29radix_sort_onesweep_iterationIS3_Lb1EPKtPtPS5_SB_mNS0_19identity_decomposerENS1_16block_id_wrapperIjLb1EEEEE10hipError_tT1_PNSt15iterator_traitsISG_E10value_typeET2_T3_PNSH_ISM_E10value_typeET4_T5_PSR_SS_PNS1_23onesweep_lookback_stateEbbT6_jjT7_P12ihipStream_tbENKUlT_T0_SG_SL_E_clIS9_SA_SB_SB_EEDaSZ_S10_SG_SL_EUlSZ_E_NS1_11comp_targetILNS1_3genE3ELNS1_11target_archE908ELNS1_3gpuE7ELNS1_3repE0EEENS1_47radix_sort_onesweep_sort_config_static_selectorELNS0_4arch9wavefront6targetE0EEEvSG_,"axG",@progbits,_ZN7rocprim17ROCPRIM_400000_NS6detail17trampoline_kernelINS0_14default_configENS1_35radix_sort_onesweep_config_selectorItNS0_10empty_typeEEEZZNS1_29radix_sort_onesweep_iterationIS3_Lb1EPKtPtPS5_SB_mNS0_19identity_decomposerENS1_16block_id_wrapperIjLb1EEEEE10hipError_tT1_PNSt15iterator_traitsISG_E10value_typeET2_T3_PNSH_ISM_E10value_typeET4_T5_PSR_SS_PNS1_23onesweep_lookback_stateEbbT6_jjT7_P12ihipStream_tbENKUlT_T0_SG_SL_E_clIS9_SA_SB_SB_EEDaSZ_S10_SG_SL_EUlSZ_E_NS1_11comp_targetILNS1_3genE3ELNS1_11target_archE908ELNS1_3gpuE7ELNS1_3repE0EEENS1_47radix_sort_onesweep_sort_config_static_selectorELNS0_4arch9wavefront6targetE0EEEvSG_,comdat
	.protected	_ZN7rocprim17ROCPRIM_400000_NS6detail17trampoline_kernelINS0_14default_configENS1_35radix_sort_onesweep_config_selectorItNS0_10empty_typeEEEZZNS1_29radix_sort_onesweep_iterationIS3_Lb1EPKtPtPS5_SB_mNS0_19identity_decomposerENS1_16block_id_wrapperIjLb1EEEEE10hipError_tT1_PNSt15iterator_traitsISG_E10value_typeET2_T3_PNSH_ISM_E10value_typeET4_T5_PSR_SS_PNS1_23onesweep_lookback_stateEbbT6_jjT7_P12ihipStream_tbENKUlT_T0_SG_SL_E_clIS9_SA_SB_SB_EEDaSZ_S10_SG_SL_EUlSZ_E_NS1_11comp_targetILNS1_3genE3ELNS1_11target_archE908ELNS1_3gpuE7ELNS1_3repE0EEENS1_47radix_sort_onesweep_sort_config_static_selectorELNS0_4arch9wavefront6targetE0EEEvSG_ ; -- Begin function _ZN7rocprim17ROCPRIM_400000_NS6detail17trampoline_kernelINS0_14default_configENS1_35radix_sort_onesweep_config_selectorItNS0_10empty_typeEEEZZNS1_29radix_sort_onesweep_iterationIS3_Lb1EPKtPtPS5_SB_mNS0_19identity_decomposerENS1_16block_id_wrapperIjLb1EEEEE10hipError_tT1_PNSt15iterator_traitsISG_E10value_typeET2_T3_PNSH_ISM_E10value_typeET4_T5_PSR_SS_PNS1_23onesweep_lookback_stateEbbT6_jjT7_P12ihipStream_tbENKUlT_T0_SG_SL_E_clIS9_SA_SB_SB_EEDaSZ_S10_SG_SL_EUlSZ_E_NS1_11comp_targetILNS1_3genE3ELNS1_11target_archE908ELNS1_3gpuE7ELNS1_3repE0EEENS1_47radix_sort_onesweep_sort_config_static_selectorELNS0_4arch9wavefront6targetE0EEEvSG_
	.globl	_ZN7rocprim17ROCPRIM_400000_NS6detail17trampoline_kernelINS0_14default_configENS1_35radix_sort_onesweep_config_selectorItNS0_10empty_typeEEEZZNS1_29radix_sort_onesweep_iterationIS3_Lb1EPKtPtPS5_SB_mNS0_19identity_decomposerENS1_16block_id_wrapperIjLb1EEEEE10hipError_tT1_PNSt15iterator_traitsISG_E10value_typeET2_T3_PNSH_ISM_E10value_typeET4_T5_PSR_SS_PNS1_23onesweep_lookback_stateEbbT6_jjT7_P12ihipStream_tbENKUlT_T0_SG_SL_E_clIS9_SA_SB_SB_EEDaSZ_S10_SG_SL_EUlSZ_E_NS1_11comp_targetILNS1_3genE3ELNS1_11target_archE908ELNS1_3gpuE7ELNS1_3repE0EEENS1_47radix_sort_onesweep_sort_config_static_selectorELNS0_4arch9wavefront6targetE0EEEvSG_
	.p2align	8
	.type	_ZN7rocprim17ROCPRIM_400000_NS6detail17trampoline_kernelINS0_14default_configENS1_35radix_sort_onesweep_config_selectorItNS0_10empty_typeEEEZZNS1_29radix_sort_onesweep_iterationIS3_Lb1EPKtPtPS5_SB_mNS0_19identity_decomposerENS1_16block_id_wrapperIjLb1EEEEE10hipError_tT1_PNSt15iterator_traitsISG_E10value_typeET2_T3_PNSH_ISM_E10value_typeET4_T5_PSR_SS_PNS1_23onesweep_lookback_stateEbbT6_jjT7_P12ihipStream_tbENKUlT_T0_SG_SL_E_clIS9_SA_SB_SB_EEDaSZ_S10_SG_SL_EUlSZ_E_NS1_11comp_targetILNS1_3genE3ELNS1_11target_archE908ELNS1_3gpuE7ELNS1_3repE0EEENS1_47radix_sort_onesweep_sort_config_static_selectorELNS0_4arch9wavefront6targetE0EEEvSG_,@function
_ZN7rocprim17ROCPRIM_400000_NS6detail17trampoline_kernelINS0_14default_configENS1_35radix_sort_onesweep_config_selectorItNS0_10empty_typeEEEZZNS1_29radix_sort_onesweep_iterationIS3_Lb1EPKtPtPS5_SB_mNS0_19identity_decomposerENS1_16block_id_wrapperIjLb1EEEEE10hipError_tT1_PNSt15iterator_traitsISG_E10value_typeET2_T3_PNSH_ISM_E10value_typeET4_T5_PSR_SS_PNS1_23onesweep_lookback_stateEbbT6_jjT7_P12ihipStream_tbENKUlT_T0_SG_SL_E_clIS9_SA_SB_SB_EEDaSZ_S10_SG_SL_EUlSZ_E_NS1_11comp_targetILNS1_3genE3ELNS1_11target_archE908ELNS1_3gpuE7ELNS1_3repE0EEENS1_47radix_sort_onesweep_sort_config_static_selectorELNS0_4arch9wavefront6targetE0EEEvSG_: ; @_ZN7rocprim17ROCPRIM_400000_NS6detail17trampoline_kernelINS0_14default_configENS1_35radix_sort_onesweep_config_selectorItNS0_10empty_typeEEEZZNS1_29radix_sort_onesweep_iterationIS3_Lb1EPKtPtPS5_SB_mNS0_19identity_decomposerENS1_16block_id_wrapperIjLb1EEEEE10hipError_tT1_PNSt15iterator_traitsISG_E10value_typeET2_T3_PNSH_ISM_E10value_typeET4_T5_PSR_SS_PNS1_23onesweep_lookback_stateEbbT6_jjT7_P12ihipStream_tbENKUlT_T0_SG_SL_E_clIS9_SA_SB_SB_EEDaSZ_S10_SG_SL_EUlSZ_E_NS1_11comp_targetILNS1_3genE3ELNS1_11target_archE908ELNS1_3gpuE7ELNS1_3repE0EEENS1_47radix_sort_onesweep_sort_config_static_selectorELNS0_4arch9wavefront6targetE0EEEvSG_
; %bb.0:
	.section	.rodata,"a",@progbits
	.p2align	6, 0x0
	.amdhsa_kernel _ZN7rocprim17ROCPRIM_400000_NS6detail17trampoline_kernelINS0_14default_configENS1_35radix_sort_onesweep_config_selectorItNS0_10empty_typeEEEZZNS1_29radix_sort_onesweep_iterationIS3_Lb1EPKtPtPS5_SB_mNS0_19identity_decomposerENS1_16block_id_wrapperIjLb1EEEEE10hipError_tT1_PNSt15iterator_traitsISG_E10value_typeET2_T3_PNSH_ISM_E10value_typeET4_T5_PSR_SS_PNS1_23onesweep_lookback_stateEbbT6_jjT7_P12ihipStream_tbENKUlT_T0_SG_SL_E_clIS9_SA_SB_SB_EEDaSZ_S10_SG_SL_EUlSZ_E_NS1_11comp_targetILNS1_3genE3ELNS1_11target_archE908ELNS1_3gpuE7ELNS1_3repE0EEENS1_47radix_sort_onesweep_sort_config_static_selectorELNS0_4arch9wavefront6targetE0EEEvSG_
		.amdhsa_group_segment_fixed_size 0
		.amdhsa_private_segment_fixed_size 0
		.amdhsa_kernarg_size 88
		.amdhsa_user_sgpr_count 2
		.amdhsa_user_sgpr_dispatch_ptr 0
		.amdhsa_user_sgpr_queue_ptr 0
		.amdhsa_user_sgpr_kernarg_segment_ptr 1
		.amdhsa_user_sgpr_dispatch_id 0
		.amdhsa_user_sgpr_kernarg_preload_length 0
		.amdhsa_user_sgpr_kernarg_preload_offset 0
		.amdhsa_user_sgpr_private_segment_size 0
		.amdhsa_wavefront_size32 1
		.amdhsa_uses_dynamic_stack 0
		.amdhsa_enable_private_segment 0
		.amdhsa_system_sgpr_workgroup_id_x 1
		.amdhsa_system_sgpr_workgroup_id_y 0
		.amdhsa_system_sgpr_workgroup_id_z 0
		.amdhsa_system_sgpr_workgroup_info 0
		.amdhsa_system_vgpr_workitem_id 0
		.amdhsa_next_free_vgpr 1
		.amdhsa_next_free_sgpr 1
		.amdhsa_named_barrier_count 0
		.amdhsa_reserve_vcc 0
		.amdhsa_float_round_mode_32 0
		.amdhsa_float_round_mode_16_64 0
		.amdhsa_float_denorm_mode_32 3
		.amdhsa_float_denorm_mode_16_64 3
		.amdhsa_fp16_overflow 0
		.amdhsa_memory_ordered 1
		.amdhsa_forward_progress 1
		.amdhsa_inst_pref_size 0
		.amdhsa_round_robin_scheduling 0
		.amdhsa_exception_fp_ieee_invalid_op 0
		.amdhsa_exception_fp_denorm_src 0
		.amdhsa_exception_fp_ieee_div_zero 0
		.amdhsa_exception_fp_ieee_overflow 0
		.amdhsa_exception_fp_ieee_underflow 0
		.amdhsa_exception_fp_ieee_inexact 0
		.amdhsa_exception_int_div_zero 0
	.end_amdhsa_kernel
	.section	.text._ZN7rocprim17ROCPRIM_400000_NS6detail17trampoline_kernelINS0_14default_configENS1_35radix_sort_onesweep_config_selectorItNS0_10empty_typeEEEZZNS1_29radix_sort_onesweep_iterationIS3_Lb1EPKtPtPS5_SB_mNS0_19identity_decomposerENS1_16block_id_wrapperIjLb1EEEEE10hipError_tT1_PNSt15iterator_traitsISG_E10value_typeET2_T3_PNSH_ISM_E10value_typeET4_T5_PSR_SS_PNS1_23onesweep_lookback_stateEbbT6_jjT7_P12ihipStream_tbENKUlT_T0_SG_SL_E_clIS9_SA_SB_SB_EEDaSZ_S10_SG_SL_EUlSZ_E_NS1_11comp_targetILNS1_3genE3ELNS1_11target_archE908ELNS1_3gpuE7ELNS1_3repE0EEENS1_47radix_sort_onesweep_sort_config_static_selectorELNS0_4arch9wavefront6targetE0EEEvSG_,"axG",@progbits,_ZN7rocprim17ROCPRIM_400000_NS6detail17trampoline_kernelINS0_14default_configENS1_35radix_sort_onesweep_config_selectorItNS0_10empty_typeEEEZZNS1_29radix_sort_onesweep_iterationIS3_Lb1EPKtPtPS5_SB_mNS0_19identity_decomposerENS1_16block_id_wrapperIjLb1EEEEE10hipError_tT1_PNSt15iterator_traitsISG_E10value_typeET2_T3_PNSH_ISM_E10value_typeET4_T5_PSR_SS_PNS1_23onesweep_lookback_stateEbbT6_jjT7_P12ihipStream_tbENKUlT_T0_SG_SL_E_clIS9_SA_SB_SB_EEDaSZ_S10_SG_SL_EUlSZ_E_NS1_11comp_targetILNS1_3genE3ELNS1_11target_archE908ELNS1_3gpuE7ELNS1_3repE0EEENS1_47radix_sort_onesweep_sort_config_static_selectorELNS0_4arch9wavefront6targetE0EEEvSG_,comdat
.Lfunc_end2391:
	.size	_ZN7rocprim17ROCPRIM_400000_NS6detail17trampoline_kernelINS0_14default_configENS1_35radix_sort_onesweep_config_selectorItNS0_10empty_typeEEEZZNS1_29radix_sort_onesweep_iterationIS3_Lb1EPKtPtPS5_SB_mNS0_19identity_decomposerENS1_16block_id_wrapperIjLb1EEEEE10hipError_tT1_PNSt15iterator_traitsISG_E10value_typeET2_T3_PNSH_ISM_E10value_typeET4_T5_PSR_SS_PNS1_23onesweep_lookback_stateEbbT6_jjT7_P12ihipStream_tbENKUlT_T0_SG_SL_E_clIS9_SA_SB_SB_EEDaSZ_S10_SG_SL_EUlSZ_E_NS1_11comp_targetILNS1_3genE3ELNS1_11target_archE908ELNS1_3gpuE7ELNS1_3repE0EEENS1_47radix_sort_onesweep_sort_config_static_selectorELNS0_4arch9wavefront6targetE0EEEvSG_, .Lfunc_end2391-_ZN7rocprim17ROCPRIM_400000_NS6detail17trampoline_kernelINS0_14default_configENS1_35radix_sort_onesweep_config_selectorItNS0_10empty_typeEEEZZNS1_29radix_sort_onesweep_iterationIS3_Lb1EPKtPtPS5_SB_mNS0_19identity_decomposerENS1_16block_id_wrapperIjLb1EEEEE10hipError_tT1_PNSt15iterator_traitsISG_E10value_typeET2_T3_PNSH_ISM_E10value_typeET4_T5_PSR_SS_PNS1_23onesweep_lookback_stateEbbT6_jjT7_P12ihipStream_tbENKUlT_T0_SG_SL_E_clIS9_SA_SB_SB_EEDaSZ_S10_SG_SL_EUlSZ_E_NS1_11comp_targetILNS1_3genE3ELNS1_11target_archE908ELNS1_3gpuE7ELNS1_3repE0EEENS1_47radix_sort_onesweep_sort_config_static_selectorELNS0_4arch9wavefront6targetE0EEEvSG_
                                        ; -- End function
	.set _ZN7rocprim17ROCPRIM_400000_NS6detail17trampoline_kernelINS0_14default_configENS1_35radix_sort_onesweep_config_selectorItNS0_10empty_typeEEEZZNS1_29radix_sort_onesweep_iterationIS3_Lb1EPKtPtPS5_SB_mNS0_19identity_decomposerENS1_16block_id_wrapperIjLb1EEEEE10hipError_tT1_PNSt15iterator_traitsISG_E10value_typeET2_T3_PNSH_ISM_E10value_typeET4_T5_PSR_SS_PNS1_23onesweep_lookback_stateEbbT6_jjT7_P12ihipStream_tbENKUlT_T0_SG_SL_E_clIS9_SA_SB_SB_EEDaSZ_S10_SG_SL_EUlSZ_E_NS1_11comp_targetILNS1_3genE3ELNS1_11target_archE908ELNS1_3gpuE7ELNS1_3repE0EEENS1_47radix_sort_onesweep_sort_config_static_selectorELNS0_4arch9wavefront6targetE0EEEvSG_.num_vgpr, 0
	.set _ZN7rocprim17ROCPRIM_400000_NS6detail17trampoline_kernelINS0_14default_configENS1_35radix_sort_onesweep_config_selectorItNS0_10empty_typeEEEZZNS1_29radix_sort_onesweep_iterationIS3_Lb1EPKtPtPS5_SB_mNS0_19identity_decomposerENS1_16block_id_wrapperIjLb1EEEEE10hipError_tT1_PNSt15iterator_traitsISG_E10value_typeET2_T3_PNSH_ISM_E10value_typeET4_T5_PSR_SS_PNS1_23onesweep_lookback_stateEbbT6_jjT7_P12ihipStream_tbENKUlT_T0_SG_SL_E_clIS9_SA_SB_SB_EEDaSZ_S10_SG_SL_EUlSZ_E_NS1_11comp_targetILNS1_3genE3ELNS1_11target_archE908ELNS1_3gpuE7ELNS1_3repE0EEENS1_47radix_sort_onesweep_sort_config_static_selectorELNS0_4arch9wavefront6targetE0EEEvSG_.num_agpr, 0
	.set _ZN7rocprim17ROCPRIM_400000_NS6detail17trampoline_kernelINS0_14default_configENS1_35radix_sort_onesweep_config_selectorItNS0_10empty_typeEEEZZNS1_29radix_sort_onesweep_iterationIS3_Lb1EPKtPtPS5_SB_mNS0_19identity_decomposerENS1_16block_id_wrapperIjLb1EEEEE10hipError_tT1_PNSt15iterator_traitsISG_E10value_typeET2_T3_PNSH_ISM_E10value_typeET4_T5_PSR_SS_PNS1_23onesweep_lookback_stateEbbT6_jjT7_P12ihipStream_tbENKUlT_T0_SG_SL_E_clIS9_SA_SB_SB_EEDaSZ_S10_SG_SL_EUlSZ_E_NS1_11comp_targetILNS1_3genE3ELNS1_11target_archE908ELNS1_3gpuE7ELNS1_3repE0EEENS1_47radix_sort_onesweep_sort_config_static_selectorELNS0_4arch9wavefront6targetE0EEEvSG_.numbered_sgpr, 0
	.set _ZN7rocprim17ROCPRIM_400000_NS6detail17trampoline_kernelINS0_14default_configENS1_35radix_sort_onesweep_config_selectorItNS0_10empty_typeEEEZZNS1_29radix_sort_onesweep_iterationIS3_Lb1EPKtPtPS5_SB_mNS0_19identity_decomposerENS1_16block_id_wrapperIjLb1EEEEE10hipError_tT1_PNSt15iterator_traitsISG_E10value_typeET2_T3_PNSH_ISM_E10value_typeET4_T5_PSR_SS_PNS1_23onesweep_lookback_stateEbbT6_jjT7_P12ihipStream_tbENKUlT_T0_SG_SL_E_clIS9_SA_SB_SB_EEDaSZ_S10_SG_SL_EUlSZ_E_NS1_11comp_targetILNS1_3genE3ELNS1_11target_archE908ELNS1_3gpuE7ELNS1_3repE0EEENS1_47radix_sort_onesweep_sort_config_static_selectorELNS0_4arch9wavefront6targetE0EEEvSG_.num_named_barrier, 0
	.set _ZN7rocprim17ROCPRIM_400000_NS6detail17trampoline_kernelINS0_14default_configENS1_35radix_sort_onesweep_config_selectorItNS0_10empty_typeEEEZZNS1_29radix_sort_onesweep_iterationIS3_Lb1EPKtPtPS5_SB_mNS0_19identity_decomposerENS1_16block_id_wrapperIjLb1EEEEE10hipError_tT1_PNSt15iterator_traitsISG_E10value_typeET2_T3_PNSH_ISM_E10value_typeET4_T5_PSR_SS_PNS1_23onesweep_lookback_stateEbbT6_jjT7_P12ihipStream_tbENKUlT_T0_SG_SL_E_clIS9_SA_SB_SB_EEDaSZ_S10_SG_SL_EUlSZ_E_NS1_11comp_targetILNS1_3genE3ELNS1_11target_archE908ELNS1_3gpuE7ELNS1_3repE0EEENS1_47radix_sort_onesweep_sort_config_static_selectorELNS0_4arch9wavefront6targetE0EEEvSG_.private_seg_size, 0
	.set _ZN7rocprim17ROCPRIM_400000_NS6detail17trampoline_kernelINS0_14default_configENS1_35radix_sort_onesweep_config_selectorItNS0_10empty_typeEEEZZNS1_29radix_sort_onesweep_iterationIS3_Lb1EPKtPtPS5_SB_mNS0_19identity_decomposerENS1_16block_id_wrapperIjLb1EEEEE10hipError_tT1_PNSt15iterator_traitsISG_E10value_typeET2_T3_PNSH_ISM_E10value_typeET4_T5_PSR_SS_PNS1_23onesweep_lookback_stateEbbT6_jjT7_P12ihipStream_tbENKUlT_T0_SG_SL_E_clIS9_SA_SB_SB_EEDaSZ_S10_SG_SL_EUlSZ_E_NS1_11comp_targetILNS1_3genE3ELNS1_11target_archE908ELNS1_3gpuE7ELNS1_3repE0EEENS1_47radix_sort_onesweep_sort_config_static_selectorELNS0_4arch9wavefront6targetE0EEEvSG_.uses_vcc, 0
	.set _ZN7rocprim17ROCPRIM_400000_NS6detail17trampoline_kernelINS0_14default_configENS1_35radix_sort_onesweep_config_selectorItNS0_10empty_typeEEEZZNS1_29radix_sort_onesweep_iterationIS3_Lb1EPKtPtPS5_SB_mNS0_19identity_decomposerENS1_16block_id_wrapperIjLb1EEEEE10hipError_tT1_PNSt15iterator_traitsISG_E10value_typeET2_T3_PNSH_ISM_E10value_typeET4_T5_PSR_SS_PNS1_23onesweep_lookback_stateEbbT6_jjT7_P12ihipStream_tbENKUlT_T0_SG_SL_E_clIS9_SA_SB_SB_EEDaSZ_S10_SG_SL_EUlSZ_E_NS1_11comp_targetILNS1_3genE3ELNS1_11target_archE908ELNS1_3gpuE7ELNS1_3repE0EEENS1_47radix_sort_onesweep_sort_config_static_selectorELNS0_4arch9wavefront6targetE0EEEvSG_.uses_flat_scratch, 0
	.set _ZN7rocprim17ROCPRIM_400000_NS6detail17trampoline_kernelINS0_14default_configENS1_35radix_sort_onesweep_config_selectorItNS0_10empty_typeEEEZZNS1_29radix_sort_onesweep_iterationIS3_Lb1EPKtPtPS5_SB_mNS0_19identity_decomposerENS1_16block_id_wrapperIjLb1EEEEE10hipError_tT1_PNSt15iterator_traitsISG_E10value_typeET2_T3_PNSH_ISM_E10value_typeET4_T5_PSR_SS_PNS1_23onesweep_lookback_stateEbbT6_jjT7_P12ihipStream_tbENKUlT_T0_SG_SL_E_clIS9_SA_SB_SB_EEDaSZ_S10_SG_SL_EUlSZ_E_NS1_11comp_targetILNS1_3genE3ELNS1_11target_archE908ELNS1_3gpuE7ELNS1_3repE0EEENS1_47radix_sort_onesweep_sort_config_static_selectorELNS0_4arch9wavefront6targetE0EEEvSG_.has_dyn_sized_stack, 0
	.set _ZN7rocprim17ROCPRIM_400000_NS6detail17trampoline_kernelINS0_14default_configENS1_35radix_sort_onesweep_config_selectorItNS0_10empty_typeEEEZZNS1_29radix_sort_onesweep_iterationIS3_Lb1EPKtPtPS5_SB_mNS0_19identity_decomposerENS1_16block_id_wrapperIjLb1EEEEE10hipError_tT1_PNSt15iterator_traitsISG_E10value_typeET2_T3_PNSH_ISM_E10value_typeET4_T5_PSR_SS_PNS1_23onesweep_lookback_stateEbbT6_jjT7_P12ihipStream_tbENKUlT_T0_SG_SL_E_clIS9_SA_SB_SB_EEDaSZ_S10_SG_SL_EUlSZ_E_NS1_11comp_targetILNS1_3genE3ELNS1_11target_archE908ELNS1_3gpuE7ELNS1_3repE0EEENS1_47radix_sort_onesweep_sort_config_static_selectorELNS0_4arch9wavefront6targetE0EEEvSG_.has_recursion, 0
	.set _ZN7rocprim17ROCPRIM_400000_NS6detail17trampoline_kernelINS0_14default_configENS1_35radix_sort_onesweep_config_selectorItNS0_10empty_typeEEEZZNS1_29radix_sort_onesweep_iterationIS3_Lb1EPKtPtPS5_SB_mNS0_19identity_decomposerENS1_16block_id_wrapperIjLb1EEEEE10hipError_tT1_PNSt15iterator_traitsISG_E10value_typeET2_T3_PNSH_ISM_E10value_typeET4_T5_PSR_SS_PNS1_23onesweep_lookback_stateEbbT6_jjT7_P12ihipStream_tbENKUlT_T0_SG_SL_E_clIS9_SA_SB_SB_EEDaSZ_S10_SG_SL_EUlSZ_E_NS1_11comp_targetILNS1_3genE3ELNS1_11target_archE908ELNS1_3gpuE7ELNS1_3repE0EEENS1_47radix_sort_onesweep_sort_config_static_selectorELNS0_4arch9wavefront6targetE0EEEvSG_.has_indirect_call, 0
	.section	.AMDGPU.csdata,"",@progbits
; Kernel info:
; codeLenInByte = 0
; TotalNumSgprs: 0
; NumVgprs: 0
; ScratchSize: 0
; MemoryBound: 0
; FloatMode: 240
; IeeeMode: 1
; LDSByteSize: 0 bytes/workgroup (compile time only)
; SGPRBlocks: 0
; VGPRBlocks: 0
; NumSGPRsForWavesPerEU: 1
; NumVGPRsForWavesPerEU: 1
; NamedBarCnt: 0
; Occupancy: 16
; WaveLimiterHint : 0
; COMPUTE_PGM_RSRC2:SCRATCH_EN: 0
; COMPUTE_PGM_RSRC2:USER_SGPR: 2
; COMPUTE_PGM_RSRC2:TRAP_HANDLER: 0
; COMPUTE_PGM_RSRC2:TGID_X_EN: 1
; COMPUTE_PGM_RSRC2:TGID_Y_EN: 0
; COMPUTE_PGM_RSRC2:TGID_Z_EN: 0
; COMPUTE_PGM_RSRC2:TIDIG_COMP_CNT: 0
	.section	.text._ZN7rocprim17ROCPRIM_400000_NS6detail17trampoline_kernelINS0_14default_configENS1_35radix_sort_onesweep_config_selectorItNS0_10empty_typeEEEZZNS1_29radix_sort_onesweep_iterationIS3_Lb1EPKtPtPS5_SB_mNS0_19identity_decomposerENS1_16block_id_wrapperIjLb1EEEEE10hipError_tT1_PNSt15iterator_traitsISG_E10value_typeET2_T3_PNSH_ISM_E10value_typeET4_T5_PSR_SS_PNS1_23onesweep_lookback_stateEbbT6_jjT7_P12ihipStream_tbENKUlT_T0_SG_SL_E_clIS9_SA_SB_SB_EEDaSZ_S10_SG_SL_EUlSZ_E_NS1_11comp_targetILNS1_3genE10ELNS1_11target_archE1201ELNS1_3gpuE5ELNS1_3repE0EEENS1_47radix_sort_onesweep_sort_config_static_selectorELNS0_4arch9wavefront6targetE0EEEvSG_,"axG",@progbits,_ZN7rocprim17ROCPRIM_400000_NS6detail17trampoline_kernelINS0_14default_configENS1_35radix_sort_onesweep_config_selectorItNS0_10empty_typeEEEZZNS1_29radix_sort_onesweep_iterationIS3_Lb1EPKtPtPS5_SB_mNS0_19identity_decomposerENS1_16block_id_wrapperIjLb1EEEEE10hipError_tT1_PNSt15iterator_traitsISG_E10value_typeET2_T3_PNSH_ISM_E10value_typeET4_T5_PSR_SS_PNS1_23onesweep_lookback_stateEbbT6_jjT7_P12ihipStream_tbENKUlT_T0_SG_SL_E_clIS9_SA_SB_SB_EEDaSZ_S10_SG_SL_EUlSZ_E_NS1_11comp_targetILNS1_3genE10ELNS1_11target_archE1201ELNS1_3gpuE5ELNS1_3repE0EEENS1_47radix_sort_onesweep_sort_config_static_selectorELNS0_4arch9wavefront6targetE0EEEvSG_,comdat
	.protected	_ZN7rocprim17ROCPRIM_400000_NS6detail17trampoline_kernelINS0_14default_configENS1_35radix_sort_onesweep_config_selectorItNS0_10empty_typeEEEZZNS1_29radix_sort_onesweep_iterationIS3_Lb1EPKtPtPS5_SB_mNS0_19identity_decomposerENS1_16block_id_wrapperIjLb1EEEEE10hipError_tT1_PNSt15iterator_traitsISG_E10value_typeET2_T3_PNSH_ISM_E10value_typeET4_T5_PSR_SS_PNS1_23onesweep_lookback_stateEbbT6_jjT7_P12ihipStream_tbENKUlT_T0_SG_SL_E_clIS9_SA_SB_SB_EEDaSZ_S10_SG_SL_EUlSZ_E_NS1_11comp_targetILNS1_3genE10ELNS1_11target_archE1201ELNS1_3gpuE5ELNS1_3repE0EEENS1_47radix_sort_onesweep_sort_config_static_selectorELNS0_4arch9wavefront6targetE0EEEvSG_ ; -- Begin function _ZN7rocprim17ROCPRIM_400000_NS6detail17trampoline_kernelINS0_14default_configENS1_35radix_sort_onesweep_config_selectorItNS0_10empty_typeEEEZZNS1_29radix_sort_onesweep_iterationIS3_Lb1EPKtPtPS5_SB_mNS0_19identity_decomposerENS1_16block_id_wrapperIjLb1EEEEE10hipError_tT1_PNSt15iterator_traitsISG_E10value_typeET2_T3_PNSH_ISM_E10value_typeET4_T5_PSR_SS_PNS1_23onesweep_lookback_stateEbbT6_jjT7_P12ihipStream_tbENKUlT_T0_SG_SL_E_clIS9_SA_SB_SB_EEDaSZ_S10_SG_SL_EUlSZ_E_NS1_11comp_targetILNS1_3genE10ELNS1_11target_archE1201ELNS1_3gpuE5ELNS1_3repE0EEENS1_47radix_sort_onesweep_sort_config_static_selectorELNS0_4arch9wavefront6targetE0EEEvSG_
	.globl	_ZN7rocprim17ROCPRIM_400000_NS6detail17trampoline_kernelINS0_14default_configENS1_35radix_sort_onesweep_config_selectorItNS0_10empty_typeEEEZZNS1_29radix_sort_onesweep_iterationIS3_Lb1EPKtPtPS5_SB_mNS0_19identity_decomposerENS1_16block_id_wrapperIjLb1EEEEE10hipError_tT1_PNSt15iterator_traitsISG_E10value_typeET2_T3_PNSH_ISM_E10value_typeET4_T5_PSR_SS_PNS1_23onesweep_lookback_stateEbbT6_jjT7_P12ihipStream_tbENKUlT_T0_SG_SL_E_clIS9_SA_SB_SB_EEDaSZ_S10_SG_SL_EUlSZ_E_NS1_11comp_targetILNS1_3genE10ELNS1_11target_archE1201ELNS1_3gpuE5ELNS1_3repE0EEENS1_47radix_sort_onesweep_sort_config_static_selectorELNS0_4arch9wavefront6targetE0EEEvSG_
	.p2align	8
	.type	_ZN7rocprim17ROCPRIM_400000_NS6detail17trampoline_kernelINS0_14default_configENS1_35radix_sort_onesweep_config_selectorItNS0_10empty_typeEEEZZNS1_29radix_sort_onesweep_iterationIS3_Lb1EPKtPtPS5_SB_mNS0_19identity_decomposerENS1_16block_id_wrapperIjLb1EEEEE10hipError_tT1_PNSt15iterator_traitsISG_E10value_typeET2_T3_PNSH_ISM_E10value_typeET4_T5_PSR_SS_PNS1_23onesweep_lookback_stateEbbT6_jjT7_P12ihipStream_tbENKUlT_T0_SG_SL_E_clIS9_SA_SB_SB_EEDaSZ_S10_SG_SL_EUlSZ_E_NS1_11comp_targetILNS1_3genE10ELNS1_11target_archE1201ELNS1_3gpuE5ELNS1_3repE0EEENS1_47radix_sort_onesweep_sort_config_static_selectorELNS0_4arch9wavefront6targetE0EEEvSG_,@function
_ZN7rocprim17ROCPRIM_400000_NS6detail17trampoline_kernelINS0_14default_configENS1_35radix_sort_onesweep_config_selectorItNS0_10empty_typeEEEZZNS1_29radix_sort_onesweep_iterationIS3_Lb1EPKtPtPS5_SB_mNS0_19identity_decomposerENS1_16block_id_wrapperIjLb1EEEEE10hipError_tT1_PNSt15iterator_traitsISG_E10value_typeET2_T3_PNSH_ISM_E10value_typeET4_T5_PSR_SS_PNS1_23onesweep_lookback_stateEbbT6_jjT7_P12ihipStream_tbENKUlT_T0_SG_SL_E_clIS9_SA_SB_SB_EEDaSZ_S10_SG_SL_EUlSZ_E_NS1_11comp_targetILNS1_3genE10ELNS1_11target_archE1201ELNS1_3gpuE5ELNS1_3repE0EEENS1_47radix_sort_onesweep_sort_config_static_selectorELNS0_4arch9wavefront6targetE0EEEvSG_: ; @_ZN7rocprim17ROCPRIM_400000_NS6detail17trampoline_kernelINS0_14default_configENS1_35radix_sort_onesweep_config_selectorItNS0_10empty_typeEEEZZNS1_29radix_sort_onesweep_iterationIS3_Lb1EPKtPtPS5_SB_mNS0_19identity_decomposerENS1_16block_id_wrapperIjLb1EEEEE10hipError_tT1_PNSt15iterator_traitsISG_E10value_typeET2_T3_PNSH_ISM_E10value_typeET4_T5_PSR_SS_PNS1_23onesweep_lookback_stateEbbT6_jjT7_P12ihipStream_tbENKUlT_T0_SG_SL_E_clIS9_SA_SB_SB_EEDaSZ_S10_SG_SL_EUlSZ_E_NS1_11comp_targetILNS1_3genE10ELNS1_11target_archE1201ELNS1_3gpuE5ELNS1_3repE0EEENS1_47radix_sort_onesweep_sort_config_static_selectorELNS0_4arch9wavefront6targetE0EEEvSG_
; %bb.0:
	.section	.rodata,"a",@progbits
	.p2align	6, 0x0
	.amdhsa_kernel _ZN7rocprim17ROCPRIM_400000_NS6detail17trampoline_kernelINS0_14default_configENS1_35radix_sort_onesweep_config_selectorItNS0_10empty_typeEEEZZNS1_29radix_sort_onesweep_iterationIS3_Lb1EPKtPtPS5_SB_mNS0_19identity_decomposerENS1_16block_id_wrapperIjLb1EEEEE10hipError_tT1_PNSt15iterator_traitsISG_E10value_typeET2_T3_PNSH_ISM_E10value_typeET4_T5_PSR_SS_PNS1_23onesweep_lookback_stateEbbT6_jjT7_P12ihipStream_tbENKUlT_T0_SG_SL_E_clIS9_SA_SB_SB_EEDaSZ_S10_SG_SL_EUlSZ_E_NS1_11comp_targetILNS1_3genE10ELNS1_11target_archE1201ELNS1_3gpuE5ELNS1_3repE0EEENS1_47radix_sort_onesweep_sort_config_static_selectorELNS0_4arch9wavefront6targetE0EEEvSG_
		.amdhsa_group_segment_fixed_size 0
		.amdhsa_private_segment_fixed_size 0
		.amdhsa_kernarg_size 88
		.amdhsa_user_sgpr_count 2
		.amdhsa_user_sgpr_dispatch_ptr 0
		.amdhsa_user_sgpr_queue_ptr 0
		.amdhsa_user_sgpr_kernarg_segment_ptr 1
		.amdhsa_user_sgpr_dispatch_id 0
		.amdhsa_user_sgpr_kernarg_preload_length 0
		.amdhsa_user_sgpr_kernarg_preload_offset 0
		.amdhsa_user_sgpr_private_segment_size 0
		.amdhsa_wavefront_size32 1
		.amdhsa_uses_dynamic_stack 0
		.amdhsa_enable_private_segment 0
		.amdhsa_system_sgpr_workgroup_id_x 1
		.amdhsa_system_sgpr_workgroup_id_y 0
		.amdhsa_system_sgpr_workgroup_id_z 0
		.amdhsa_system_sgpr_workgroup_info 0
		.amdhsa_system_vgpr_workitem_id 0
		.amdhsa_next_free_vgpr 1
		.amdhsa_next_free_sgpr 1
		.amdhsa_named_barrier_count 0
		.amdhsa_reserve_vcc 0
		.amdhsa_float_round_mode_32 0
		.amdhsa_float_round_mode_16_64 0
		.amdhsa_float_denorm_mode_32 3
		.amdhsa_float_denorm_mode_16_64 3
		.amdhsa_fp16_overflow 0
		.amdhsa_memory_ordered 1
		.amdhsa_forward_progress 1
		.amdhsa_inst_pref_size 0
		.amdhsa_round_robin_scheduling 0
		.amdhsa_exception_fp_ieee_invalid_op 0
		.amdhsa_exception_fp_denorm_src 0
		.amdhsa_exception_fp_ieee_div_zero 0
		.amdhsa_exception_fp_ieee_overflow 0
		.amdhsa_exception_fp_ieee_underflow 0
		.amdhsa_exception_fp_ieee_inexact 0
		.amdhsa_exception_int_div_zero 0
	.end_amdhsa_kernel
	.section	.text._ZN7rocprim17ROCPRIM_400000_NS6detail17trampoline_kernelINS0_14default_configENS1_35radix_sort_onesweep_config_selectorItNS0_10empty_typeEEEZZNS1_29radix_sort_onesweep_iterationIS3_Lb1EPKtPtPS5_SB_mNS0_19identity_decomposerENS1_16block_id_wrapperIjLb1EEEEE10hipError_tT1_PNSt15iterator_traitsISG_E10value_typeET2_T3_PNSH_ISM_E10value_typeET4_T5_PSR_SS_PNS1_23onesweep_lookback_stateEbbT6_jjT7_P12ihipStream_tbENKUlT_T0_SG_SL_E_clIS9_SA_SB_SB_EEDaSZ_S10_SG_SL_EUlSZ_E_NS1_11comp_targetILNS1_3genE10ELNS1_11target_archE1201ELNS1_3gpuE5ELNS1_3repE0EEENS1_47radix_sort_onesweep_sort_config_static_selectorELNS0_4arch9wavefront6targetE0EEEvSG_,"axG",@progbits,_ZN7rocprim17ROCPRIM_400000_NS6detail17trampoline_kernelINS0_14default_configENS1_35radix_sort_onesweep_config_selectorItNS0_10empty_typeEEEZZNS1_29radix_sort_onesweep_iterationIS3_Lb1EPKtPtPS5_SB_mNS0_19identity_decomposerENS1_16block_id_wrapperIjLb1EEEEE10hipError_tT1_PNSt15iterator_traitsISG_E10value_typeET2_T3_PNSH_ISM_E10value_typeET4_T5_PSR_SS_PNS1_23onesweep_lookback_stateEbbT6_jjT7_P12ihipStream_tbENKUlT_T0_SG_SL_E_clIS9_SA_SB_SB_EEDaSZ_S10_SG_SL_EUlSZ_E_NS1_11comp_targetILNS1_3genE10ELNS1_11target_archE1201ELNS1_3gpuE5ELNS1_3repE0EEENS1_47radix_sort_onesweep_sort_config_static_selectorELNS0_4arch9wavefront6targetE0EEEvSG_,comdat
.Lfunc_end2392:
	.size	_ZN7rocprim17ROCPRIM_400000_NS6detail17trampoline_kernelINS0_14default_configENS1_35radix_sort_onesweep_config_selectorItNS0_10empty_typeEEEZZNS1_29radix_sort_onesweep_iterationIS3_Lb1EPKtPtPS5_SB_mNS0_19identity_decomposerENS1_16block_id_wrapperIjLb1EEEEE10hipError_tT1_PNSt15iterator_traitsISG_E10value_typeET2_T3_PNSH_ISM_E10value_typeET4_T5_PSR_SS_PNS1_23onesweep_lookback_stateEbbT6_jjT7_P12ihipStream_tbENKUlT_T0_SG_SL_E_clIS9_SA_SB_SB_EEDaSZ_S10_SG_SL_EUlSZ_E_NS1_11comp_targetILNS1_3genE10ELNS1_11target_archE1201ELNS1_3gpuE5ELNS1_3repE0EEENS1_47radix_sort_onesweep_sort_config_static_selectorELNS0_4arch9wavefront6targetE0EEEvSG_, .Lfunc_end2392-_ZN7rocprim17ROCPRIM_400000_NS6detail17trampoline_kernelINS0_14default_configENS1_35radix_sort_onesweep_config_selectorItNS0_10empty_typeEEEZZNS1_29radix_sort_onesweep_iterationIS3_Lb1EPKtPtPS5_SB_mNS0_19identity_decomposerENS1_16block_id_wrapperIjLb1EEEEE10hipError_tT1_PNSt15iterator_traitsISG_E10value_typeET2_T3_PNSH_ISM_E10value_typeET4_T5_PSR_SS_PNS1_23onesweep_lookback_stateEbbT6_jjT7_P12ihipStream_tbENKUlT_T0_SG_SL_E_clIS9_SA_SB_SB_EEDaSZ_S10_SG_SL_EUlSZ_E_NS1_11comp_targetILNS1_3genE10ELNS1_11target_archE1201ELNS1_3gpuE5ELNS1_3repE0EEENS1_47radix_sort_onesweep_sort_config_static_selectorELNS0_4arch9wavefront6targetE0EEEvSG_
                                        ; -- End function
	.set _ZN7rocprim17ROCPRIM_400000_NS6detail17trampoline_kernelINS0_14default_configENS1_35radix_sort_onesweep_config_selectorItNS0_10empty_typeEEEZZNS1_29radix_sort_onesweep_iterationIS3_Lb1EPKtPtPS5_SB_mNS0_19identity_decomposerENS1_16block_id_wrapperIjLb1EEEEE10hipError_tT1_PNSt15iterator_traitsISG_E10value_typeET2_T3_PNSH_ISM_E10value_typeET4_T5_PSR_SS_PNS1_23onesweep_lookback_stateEbbT6_jjT7_P12ihipStream_tbENKUlT_T0_SG_SL_E_clIS9_SA_SB_SB_EEDaSZ_S10_SG_SL_EUlSZ_E_NS1_11comp_targetILNS1_3genE10ELNS1_11target_archE1201ELNS1_3gpuE5ELNS1_3repE0EEENS1_47radix_sort_onesweep_sort_config_static_selectorELNS0_4arch9wavefront6targetE0EEEvSG_.num_vgpr, 0
	.set _ZN7rocprim17ROCPRIM_400000_NS6detail17trampoline_kernelINS0_14default_configENS1_35radix_sort_onesweep_config_selectorItNS0_10empty_typeEEEZZNS1_29radix_sort_onesweep_iterationIS3_Lb1EPKtPtPS5_SB_mNS0_19identity_decomposerENS1_16block_id_wrapperIjLb1EEEEE10hipError_tT1_PNSt15iterator_traitsISG_E10value_typeET2_T3_PNSH_ISM_E10value_typeET4_T5_PSR_SS_PNS1_23onesweep_lookback_stateEbbT6_jjT7_P12ihipStream_tbENKUlT_T0_SG_SL_E_clIS9_SA_SB_SB_EEDaSZ_S10_SG_SL_EUlSZ_E_NS1_11comp_targetILNS1_3genE10ELNS1_11target_archE1201ELNS1_3gpuE5ELNS1_3repE0EEENS1_47radix_sort_onesweep_sort_config_static_selectorELNS0_4arch9wavefront6targetE0EEEvSG_.num_agpr, 0
	.set _ZN7rocprim17ROCPRIM_400000_NS6detail17trampoline_kernelINS0_14default_configENS1_35radix_sort_onesweep_config_selectorItNS0_10empty_typeEEEZZNS1_29radix_sort_onesweep_iterationIS3_Lb1EPKtPtPS5_SB_mNS0_19identity_decomposerENS1_16block_id_wrapperIjLb1EEEEE10hipError_tT1_PNSt15iterator_traitsISG_E10value_typeET2_T3_PNSH_ISM_E10value_typeET4_T5_PSR_SS_PNS1_23onesweep_lookback_stateEbbT6_jjT7_P12ihipStream_tbENKUlT_T0_SG_SL_E_clIS9_SA_SB_SB_EEDaSZ_S10_SG_SL_EUlSZ_E_NS1_11comp_targetILNS1_3genE10ELNS1_11target_archE1201ELNS1_3gpuE5ELNS1_3repE0EEENS1_47radix_sort_onesweep_sort_config_static_selectorELNS0_4arch9wavefront6targetE0EEEvSG_.numbered_sgpr, 0
	.set _ZN7rocprim17ROCPRIM_400000_NS6detail17trampoline_kernelINS0_14default_configENS1_35radix_sort_onesweep_config_selectorItNS0_10empty_typeEEEZZNS1_29radix_sort_onesweep_iterationIS3_Lb1EPKtPtPS5_SB_mNS0_19identity_decomposerENS1_16block_id_wrapperIjLb1EEEEE10hipError_tT1_PNSt15iterator_traitsISG_E10value_typeET2_T3_PNSH_ISM_E10value_typeET4_T5_PSR_SS_PNS1_23onesweep_lookback_stateEbbT6_jjT7_P12ihipStream_tbENKUlT_T0_SG_SL_E_clIS9_SA_SB_SB_EEDaSZ_S10_SG_SL_EUlSZ_E_NS1_11comp_targetILNS1_3genE10ELNS1_11target_archE1201ELNS1_3gpuE5ELNS1_3repE0EEENS1_47radix_sort_onesweep_sort_config_static_selectorELNS0_4arch9wavefront6targetE0EEEvSG_.num_named_barrier, 0
	.set _ZN7rocprim17ROCPRIM_400000_NS6detail17trampoline_kernelINS0_14default_configENS1_35radix_sort_onesweep_config_selectorItNS0_10empty_typeEEEZZNS1_29radix_sort_onesweep_iterationIS3_Lb1EPKtPtPS5_SB_mNS0_19identity_decomposerENS1_16block_id_wrapperIjLb1EEEEE10hipError_tT1_PNSt15iterator_traitsISG_E10value_typeET2_T3_PNSH_ISM_E10value_typeET4_T5_PSR_SS_PNS1_23onesweep_lookback_stateEbbT6_jjT7_P12ihipStream_tbENKUlT_T0_SG_SL_E_clIS9_SA_SB_SB_EEDaSZ_S10_SG_SL_EUlSZ_E_NS1_11comp_targetILNS1_3genE10ELNS1_11target_archE1201ELNS1_3gpuE5ELNS1_3repE0EEENS1_47radix_sort_onesweep_sort_config_static_selectorELNS0_4arch9wavefront6targetE0EEEvSG_.private_seg_size, 0
	.set _ZN7rocprim17ROCPRIM_400000_NS6detail17trampoline_kernelINS0_14default_configENS1_35radix_sort_onesweep_config_selectorItNS0_10empty_typeEEEZZNS1_29radix_sort_onesweep_iterationIS3_Lb1EPKtPtPS5_SB_mNS0_19identity_decomposerENS1_16block_id_wrapperIjLb1EEEEE10hipError_tT1_PNSt15iterator_traitsISG_E10value_typeET2_T3_PNSH_ISM_E10value_typeET4_T5_PSR_SS_PNS1_23onesweep_lookback_stateEbbT6_jjT7_P12ihipStream_tbENKUlT_T0_SG_SL_E_clIS9_SA_SB_SB_EEDaSZ_S10_SG_SL_EUlSZ_E_NS1_11comp_targetILNS1_3genE10ELNS1_11target_archE1201ELNS1_3gpuE5ELNS1_3repE0EEENS1_47radix_sort_onesweep_sort_config_static_selectorELNS0_4arch9wavefront6targetE0EEEvSG_.uses_vcc, 0
	.set _ZN7rocprim17ROCPRIM_400000_NS6detail17trampoline_kernelINS0_14default_configENS1_35radix_sort_onesweep_config_selectorItNS0_10empty_typeEEEZZNS1_29radix_sort_onesweep_iterationIS3_Lb1EPKtPtPS5_SB_mNS0_19identity_decomposerENS1_16block_id_wrapperIjLb1EEEEE10hipError_tT1_PNSt15iterator_traitsISG_E10value_typeET2_T3_PNSH_ISM_E10value_typeET4_T5_PSR_SS_PNS1_23onesweep_lookback_stateEbbT6_jjT7_P12ihipStream_tbENKUlT_T0_SG_SL_E_clIS9_SA_SB_SB_EEDaSZ_S10_SG_SL_EUlSZ_E_NS1_11comp_targetILNS1_3genE10ELNS1_11target_archE1201ELNS1_3gpuE5ELNS1_3repE0EEENS1_47radix_sort_onesweep_sort_config_static_selectorELNS0_4arch9wavefront6targetE0EEEvSG_.uses_flat_scratch, 0
	.set _ZN7rocprim17ROCPRIM_400000_NS6detail17trampoline_kernelINS0_14default_configENS1_35radix_sort_onesweep_config_selectorItNS0_10empty_typeEEEZZNS1_29radix_sort_onesweep_iterationIS3_Lb1EPKtPtPS5_SB_mNS0_19identity_decomposerENS1_16block_id_wrapperIjLb1EEEEE10hipError_tT1_PNSt15iterator_traitsISG_E10value_typeET2_T3_PNSH_ISM_E10value_typeET4_T5_PSR_SS_PNS1_23onesweep_lookback_stateEbbT6_jjT7_P12ihipStream_tbENKUlT_T0_SG_SL_E_clIS9_SA_SB_SB_EEDaSZ_S10_SG_SL_EUlSZ_E_NS1_11comp_targetILNS1_3genE10ELNS1_11target_archE1201ELNS1_3gpuE5ELNS1_3repE0EEENS1_47radix_sort_onesweep_sort_config_static_selectorELNS0_4arch9wavefront6targetE0EEEvSG_.has_dyn_sized_stack, 0
	.set _ZN7rocprim17ROCPRIM_400000_NS6detail17trampoline_kernelINS0_14default_configENS1_35radix_sort_onesweep_config_selectorItNS0_10empty_typeEEEZZNS1_29radix_sort_onesweep_iterationIS3_Lb1EPKtPtPS5_SB_mNS0_19identity_decomposerENS1_16block_id_wrapperIjLb1EEEEE10hipError_tT1_PNSt15iterator_traitsISG_E10value_typeET2_T3_PNSH_ISM_E10value_typeET4_T5_PSR_SS_PNS1_23onesweep_lookback_stateEbbT6_jjT7_P12ihipStream_tbENKUlT_T0_SG_SL_E_clIS9_SA_SB_SB_EEDaSZ_S10_SG_SL_EUlSZ_E_NS1_11comp_targetILNS1_3genE10ELNS1_11target_archE1201ELNS1_3gpuE5ELNS1_3repE0EEENS1_47radix_sort_onesweep_sort_config_static_selectorELNS0_4arch9wavefront6targetE0EEEvSG_.has_recursion, 0
	.set _ZN7rocprim17ROCPRIM_400000_NS6detail17trampoline_kernelINS0_14default_configENS1_35radix_sort_onesweep_config_selectorItNS0_10empty_typeEEEZZNS1_29radix_sort_onesweep_iterationIS3_Lb1EPKtPtPS5_SB_mNS0_19identity_decomposerENS1_16block_id_wrapperIjLb1EEEEE10hipError_tT1_PNSt15iterator_traitsISG_E10value_typeET2_T3_PNSH_ISM_E10value_typeET4_T5_PSR_SS_PNS1_23onesweep_lookback_stateEbbT6_jjT7_P12ihipStream_tbENKUlT_T0_SG_SL_E_clIS9_SA_SB_SB_EEDaSZ_S10_SG_SL_EUlSZ_E_NS1_11comp_targetILNS1_3genE10ELNS1_11target_archE1201ELNS1_3gpuE5ELNS1_3repE0EEENS1_47radix_sort_onesweep_sort_config_static_selectorELNS0_4arch9wavefront6targetE0EEEvSG_.has_indirect_call, 0
	.section	.AMDGPU.csdata,"",@progbits
; Kernel info:
; codeLenInByte = 0
; TotalNumSgprs: 0
; NumVgprs: 0
; ScratchSize: 0
; MemoryBound: 0
; FloatMode: 240
; IeeeMode: 1
; LDSByteSize: 0 bytes/workgroup (compile time only)
; SGPRBlocks: 0
; VGPRBlocks: 0
; NumSGPRsForWavesPerEU: 1
; NumVGPRsForWavesPerEU: 1
; NamedBarCnt: 0
; Occupancy: 16
; WaveLimiterHint : 0
; COMPUTE_PGM_RSRC2:SCRATCH_EN: 0
; COMPUTE_PGM_RSRC2:USER_SGPR: 2
; COMPUTE_PGM_RSRC2:TRAP_HANDLER: 0
; COMPUTE_PGM_RSRC2:TGID_X_EN: 1
; COMPUTE_PGM_RSRC2:TGID_Y_EN: 0
; COMPUTE_PGM_RSRC2:TGID_Z_EN: 0
; COMPUTE_PGM_RSRC2:TIDIG_COMP_CNT: 0
	.section	.text._ZN7rocprim17ROCPRIM_400000_NS6detail17trampoline_kernelINS0_14default_configENS1_35radix_sort_onesweep_config_selectorItNS0_10empty_typeEEEZZNS1_29radix_sort_onesweep_iterationIS3_Lb1EPKtPtPS5_SB_mNS0_19identity_decomposerENS1_16block_id_wrapperIjLb1EEEEE10hipError_tT1_PNSt15iterator_traitsISG_E10value_typeET2_T3_PNSH_ISM_E10value_typeET4_T5_PSR_SS_PNS1_23onesweep_lookback_stateEbbT6_jjT7_P12ihipStream_tbENKUlT_T0_SG_SL_E_clIS9_SA_SB_SB_EEDaSZ_S10_SG_SL_EUlSZ_E_NS1_11comp_targetILNS1_3genE9ELNS1_11target_archE1100ELNS1_3gpuE3ELNS1_3repE0EEENS1_47radix_sort_onesweep_sort_config_static_selectorELNS0_4arch9wavefront6targetE0EEEvSG_,"axG",@progbits,_ZN7rocprim17ROCPRIM_400000_NS6detail17trampoline_kernelINS0_14default_configENS1_35radix_sort_onesweep_config_selectorItNS0_10empty_typeEEEZZNS1_29radix_sort_onesweep_iterationIS3_Lb1EPKtPtPS5_SB_mNS0_19identity_decomposerENS1_16block_id_wrapperIjLb1EEEEE10hipError_tT1_PNSt15iterator_traitsISG_E10value_typeET2_T3_PNSH_ISM_E10value_typeET4_T5_PSR_SS_PNS1_23onesweep_lookback_stateEbbT6_jjT7_P12ihipStream_tbENKUlT_T0_SG_SL_E_clIS9_SA_SB_SB_EEDaSZ_S10_SG_SL_EUlSZ_E_NS1_11comp_targetILNS1_3genE9ELNS1_11target_archE1100ELNS1_3gpuE3ELNS1_3repE0EEENS1_47radix_sort_onesweep_sort_config_static_selectorELNS0_4arch9wavefront6targetE0EEEvSG_,comdat
	.protected	_ZN7rocprim17ROCPRIM_400000_NS6detail17trampoline_kernelINS0_14default_configENS1_35radix_sort_onesweep_config_selectorItNS0_10empty_typeEEEZZNS1_29radix_sort_onesweep_iterationIS3_Lb1EPKtPtPS5_SB_mNS0_19identity_decomposerENS1_16block_id_wrapperIjLb1EEEEE10hipError_tT1_PNSt15iterator_traitsISG_E10value_typeET2_T3_PNSH_ISM_E10value_typeET4_T5_PSR_SS_PNS1_23onesweep_lookback_stateEbbT6_jjT7_P12ihipStream_tbENKUlT_T0_SG_SL_E_clIS9_SA_SB_SB_EEDaSZ_S10_SG_SL_EUlSZ_E_NS1_11comp_targetILNS1_3genE9ELNS1_11target_archE1100ELNS1_3gpuE3ELNS1_3repE0EEENS1_47radix_sort_onesweep_sort_config_static_selectorELNS0_4arch9wavefront6targetE0EEEvSG_ ; -- Begin function _ZN7rocprim17ROCPRIM_400000_NS6detail17trampoline_kernelINS0_14default_configENS1_35radix_sort_onesweep_config_selectorItNS0_10empty_typeEEEZZNS1_29radix_sort_onesweep_iterationIS3_Lb1EPKtPtPS5_SB_mNS0_19identity_decomposerENS1_16block_id_wrapperIjLb1EEEEE10hipError_tT1_PNSt15iterator_traitsISG_E10value_typeET2_T3_PNSH_ISM_E10value_typeET4_T5_PSR_SS_PNS1_23onesweep_lookback_stateEbbT6_jjT7_P12ihipStream_tbENKUlT_T0_SG_SL_E_clIS9_SA_SB_SB_EEDaSZ_S10_SG_SL_EUlSZ_E_NS1_11comp_targetILNS1_3genE9ELNS1_11target_archE1100ELNS1_3gpuE3ELNS1_3repE0EEENS1_47radix_sort_onesweep_sort_config_static_selectorELNS0_4arch9wavefront6targetE0EEEvSG_
	.globl	_ZN7rocprim17ROCPRIM_400000_NS6detail17trampoline_kernelINS0_14default_configENS1_35radix_sort_onesweep_config_selectorItNS0_10empty_typeEEEZZNS1_29radix_sort_onesweep_iterationIS3_Lb1EPKtPtPS5_SB_mNS0_19identity_decomposerENS1_16block_id_wrapperIjLb1EEEEE10hipError_tT1_PNSt15iterator_traitsISG_E10value_typeET2_T3_PNSH_ISM_E10value_typeET4_T5_PSR_SS_PNS1_23onesweep_lookback_stateEbbT6_jjT7_P12ihipStream_tbENKUlT_T0_SG_SL_E_clIS9_SA_SB_SB_EEDaSZ_S10_SG_SL_EUlSZ_E_NS1_11comp_targetILNS1_3genE9ELNS1_11target_archE1100ELNS1_3gpuE3ELNS1_3repE0EEENS1_47radix_sort_onesweep_sort_config_static_selectorELNS0_4arch9wavefront6targetE0EEEvSG_
	.p2align	8
	.type	_ZN7rocprim17ROCPRIM_400000_NS6detail17trampoline_kernelINS0_14default_configENS1_35radix_sort_onesweep_config_selectorItNS0_10empty_typeEEEZZNS1_29radix_sort_onesweep_iterationIS3_Lb1EPKtPtPS5_SB_mNS0_19identity_decomposerENS1_16block_id_wrapperIjLb1EEEEE10hipError_tT1_PNSt15iterator_traitsISG_E10value_typeET2_T3_PNSH_ISM_E10value_typeET4_T5_PSR_SS_PNS1_23onesweep_lookback_stateEbbT6_jjT7_P12ihipStream_tbENKUlT_T0_SG_SL_E_clIS9_SA_SB_SB_EEDaSZ_S10_SG_SL_EUlSZ_E_NS1_11comp_targetILNS1_3genE9ELNS1_11target_archE1100ELNS1_3gpuE3ELNS1_3repE0EEENS1_47radix_sort_onesweep_sort_config_static_selectorELNS0_4arch9wavefront6targetE0EEEvSG_,@function
_ZN7rocprim17ROCPRIM_400000_NS6detail17trampoline_kernelINS0_14default_configENS1_35radix_sort_onesweep_config_selectorItNS0_10empty_typeEEEZZNS1_29radix_sort_onesweep_iterationIS3_Lb1EPKtPtPS5_SB_mNS0_19identity_decomposerENS1_16block_id_wrapperIjLb1EEEEE10hipError_tT1_PNSt15iterator_traitsISG_E10value_typeET2_T3_PNSH_ISM_E10value_typeET4_T5_PSR_SS_PNS1_23onesweep_lookback_stateEbbT6_jjT7_P12ihipStream_tbENKUlT_T0_SG_SL_E_clIS9_SA_SB_SB_EEDaSZ_S10_SG_SL_EUlSZ_E_NS1_11comp_targetILNS1_3genE9ELNS1_11target_archE1100ELNS1_3gpuE3ELNS1_3repE0EEENS1_47radix_sort_onesweep_sort_config_static_selectorELNS0_4arch9wavefront6targetE0EEEvSG_: ; @_ZN7rocprim17ROCPRIM_400000_NS6detail17trampoline_kernelINS0_14default_configENS1_35radix_sort_onesweep_config_selectorItNS0_10empty_typeEEEZZNS1_29radix_sort_onesweep_iterationIS3_Lb1EPKtPtPS5_SB_mNS0_19identity_decomposerENS1_16block_id_wrapperIjLb1EEEEE10hipError_tT1_PNSt15iterator_traitsISG_E10value_typeET2_T3_PNSH_ISM_E10value_typeET4_T5_PSR_SS_PNS1_23onesweep_lookback_stateEbbT6_jjT7_P12ihipStream_tbENKUlT_T0_SG_SL_E_clIS9_SA_SB_SB_EEDaSZ_S10_SG_SL_EUlSZ_E_NS1_11comp_targetILNS1_3genE9ELNS1_11target_archE1100ELNS1_3gpuE3ELNS1_3repE0EEENS1_47radix_sort_onesweep_sort_config_static_selectorELNS0_4arch9wavefront6targetE0EEEvSG_
; %bb.0:
	.section	.rodata,"a",@progbits
	.p2align	6, 0x0
	.amdhsa_kernel _ZN7rocprim17ROCPRIM_400000_NS6detail17trampoline_kernelINS0_14default_configENS1_35radix_sort_onesweep_config_selectorItNS0_10empty_typeEEEZZNS1_29radix_sort_onesweep_iterationIS3_Lb1EPKtPtPS5_SB_mNS0_19identity_decomposerENS1_16block_id_wrapperIjLb1EEEEE10hipError_tT1_PNSt15iterator_traitsISG_E10value_typeET2_T3_PNSH_ISM_E10value_typeET4_T5_PSR_SS_PNS1_23onesweep_lookback_stateEbbT6_jjT7_P12ihipStream_tbENKUlT_T0_SG_SL_E_clIS9_SA_SB_SB_EEDaSZ_S10_SG_SL_EUlSZ_E_NS1_11comp_targetILNS1_3genE9ELNS1_11target_archE1100ELNS1_3gpuE3ELNS1_3repE0EEENS1_47radix_sort_onesweep_sort_config_static_selectorELNS0_4arch9wavefront6targetE0EEEvSG_
		.amdhsa_group_segment_fixed_size 0
		.amdhsa_private_segment_fixed_size 0
		.amdhsa_kernarg_size 88
		.amdhsa_user_sgpr_count 2
		.amdhsa_user_sgpr_dispatch_ptr 0
		.amdhsa_user_sgpr_queue_ptr 0
		.amdhsa_user_sgpr_kernarg_segment_ptr 1
		.amdhsa_user_sgpr_dispatch_id 0
		.amdhsa_user_sgpr_kernarg_preload_length 0
		.amdhsa_user_sgpr_kernarg_preload_offset 0
		.amdhsa_user_sgpr_private_segment_size 0
		.amdhsa_wavefront_size32 1
		.amdhsa_uses_dynamic_stack 0
		.amdhsa_enable_private_segment 0
		.amdhsa_system_sgpr_workgroup_id_x 1
		.amdhsa_system_sgpr_workgroup_id_y 0
		.amdhsa_system_sgpr_workgroup_id_z 0
		.amdhsa_system_sgpr_workgroup_info 0
		.amdhsa_system_vgpr_workitem_id 0
		.amdhsa_next_free_vgpr 1
		.amdhsa_next_free_sgpr 1
		.amdhsa_named_barrier_count 0
		.amdhsa_reserve_vcc 0
		.amdhsa_float_round_mode_32 0
		.amdhsa_float_round_mode_16_64 0
		.amdhsa_float_denorm_mode_32 3
		.amdhsa_float_denorm_mode_16_64 3
		.amdhsa_fp16_overflow 0
		.amdhsa_memory_ordered 1
		.amdhsa_forward_progress 1
		.amdhsa_inst_pref_size 0
		.amdhsa_round_robin_scheduling 0
		.amdhsa_exception_fp_ieee_invalid_op 0
		.amdhsa_exception_fp_denorm_src 0
		.amdhsa_exception_fp_ieee_div_zero 0
		.amdhsa_exception_fp_ieee_overflow 0
		.amdhsa_exception_fp_ieee_underflow 0
		.amdhsa_exception_fp_ieee_inexact 0
		.amdhsa_exception_int_div_zero 0
	.end_amdhsa_kernel
	.section	.text._ZN7rocprim17ROCPRIM_400000_NS6detail17trampoline_kernelINS0_14default_configENS1_35radix_sort_onesweep_config_selectorItNS0_10empty_typeEEEZZNS1_29radix_sort_onesweep_iterationIS3_Lb1EPKtPtPS5_SB_mNS0_19identity_decomposerENS1_16block_id_wrapperIjLb1EEEEE10hipError_tT1_PNSt15iterator_traitsISG_E10value_typeET2_T3_PNSH_ISM_E10value_typeET4_T5_PSR_SS_PNS1_23onesweep_lookback_stateEbbT6_jjT7_P12ihipStream_tbENKUlT_T0_SG_SL_E_clIS9_SA_SB_SB_EEDaSZ_S10_SG_SL_EUlSZ_E_NS1_11comp_targetILNS1_3genE9ELNS1_11target_archE1100ELNS1_3gpuE3ELNS1_3repE0EEENS1_47radix_sort_onesweep_sort_config_static_selectorELNS0_4arch9wavefront6targetE0EEEvSG_,"axG",@progbits,_ZN7rocprim17ROCPRIM_400000_NS6detail17trampoline_kernelINS0_14default_configENS1_35radix_sort_onesweep_config_selectorItNS0_10empty_typeEEEZZNS1_29radix_sort_onesweep_iterationIS3_Lb1EPKtPtPS5_SB_mNS0_19identity_decomposerENS1_16block_id_wrapperIjLb1EEEEE10hipError_tT1_PNSt15iterator_traitsISG_E10value_typeET2_T3_PNSH_ISM_E10value_typeET4_T5_PSR_SS_PNS1_23onesweep_lookback_stateEbbT6_jjT7_P12ihipStream_tbENKUlT_T0_SG_SL_E_clIS9_SA_SB_SB_EEDaSZ_S10_SG_SL_EUlSZ_E_NS1_11comp_targetILNS1_3genE9ELNS1_11target_archE1100ELNS1_3gpuE3ELNS1_3repE0EEENS1_47radix_sort_onesweep_sort_config_static_selectorELNS0_4arch9wavefront6targetE0EEEvSG_,comdat
.Lfunc_end2393:
	.size	_ZN7rocprim17ROCPRIM_400000_NS6detail17trampoline_kernelINS0_14default_configENS1_35radix_sort_onesweep_config_selectorItNS0_10empty_typeEEEZZNS1_29radix_sort_onesweep_iterationIS3_Lb1EPKtPtPS5_SB_mNS0_19identity_decomposerENS1_16block_id_wrapperIjLb1EEEEE10hipError_tT1_PNSt15iterator_traitsISG_E10value_typeET2_T3_PNSH_ISM_E10value_typeET4_T5_PSR_SS_PNS1_23onesweep_lookback_stateEbbT6_jjT7_P12ihipStream_tbENKUlT_T0_SG_SL_E_clIS9_SA_SB_SB_EEDaSZ_S10_SG_SL_EUlSZ_E_NS1_11comp_targetILNS1_3genE9ELNS1_11target_archE1100ELNS1_3gpuE3ELNS1_3repE0EEENS1_47radix_sort_onesweep_sort_config_static_selectorELNS0_4arch9wavefront6targetE0EEEvSG_, .Lfunc_end2393-_ZN7rocprim17ROCPRIM_400000_NS6detail17trampoline_kernelINS0_14default_configENS1_35radix_sort_onesweep_config_selectorItNS0_10empty_typeEEEZZNS1_29radix_sort_onesweep_iterationIS3_Lb1EPKtPtPS5_SB_mNS0_19identity_decomposerENS1_16block_id_wrapperIjLb1EEEEE10hipError_tT1_PNSt15iterator_traitsISG_E10value_typeET2_T3_PNSH_ISM_E10value_typeET4_T5_PSR_SS_PNS1_23onesweep_lookback_stateEbbT6_jjT7_P12ihipStream_tbENKUlT_T0_SG_SL_E_clIS9_SA_SB_SB_EEDaSZ_S10_SG_SL_EUlSZ_E_NS1_11comp_targetILNS1_3genE9ELNS1_11target_archE1100ELNS1_3gpuE3ELNS1_3repE0EEENS1_47radix_sort_onesweep_sort_config_static_selectorELNS0_4arch9wavefront6targetE0EEEvSG_
                                        ; -- End function
	.set _ZN7rocprim17ROCPRIM_400000_NS6detail17trampoline_kernelINS0_14default_configENS1_35radix_sort_onesweep_config_selectorItNS0_10empty_typeEEEZZNS1_29radix_sort_onesweep_iterationIS3_Lb1EPKtPtPS5_SB_mNS0_19identity_decomposerENS1_16block_id_wrapperIjLb1EEEEE10hipError_tT1_PNSt15iterator_traitsISG_E10value_typeET2_T3_PNSH_ISM_E10value_typeET4_T5_PSR_SS_PNS1_23onesweep_lookback_stateEbbT6_jjT7_P12ihipStream_tbENKUlT_T0_SG_SL_E_clIS9_SA_SB_SB_EEDaSZ_S10_SG_SL_EUlSZ_E_NS1_11comp_targetILNS1_3genE9ELNS1_11target_archE1100ELNS1_3gpuE3ELNS1_3repE0EEENS1_47radix_sort_onesweep_sort_config_static_selectorELNS0_4arch9wavefront6targetE0EEEvSG_.num_vgpr, 0
	.set _ZN7rocprim17ROCPRIM_400000_NS6detail17trampoline_kernelINS0_14default_configENS1_35radix_sort_onesweep_config_selectorItNS0_10empty_typeEEEZZNS1_29radix_sort_onesweep_iterationIS3_Lb1EPKtPtPS5_SB_mNS0_19identity_decomposerENS1_16block_id_wrapperIjLb1EEEEE10hipError_tT1_PNSt15iterator_traitsISG_E10value_typeET2_T3_PNSH_ISM_E10value_typeET4_T5_PSR_SS_PNS1_23onesweep_lookback_stateEbbT6_jjT7_P12ihipStream_tbENKUlT_T0_SG_SL_E_clIS9_SA_SB_SB_EEDaSZ_S10_SG_SL_EUlSZ_E_NS1_11comp_targetILNS1_3genE9ELNS1_11target_archE1100ELNS1_3gpuE3ELNS1_3repE0EEENS1_47radix_sort_onesweep_sort_config_static_selectorELNS0_4arch9wavefront6targetE0EEEvSG_.num_agpr, 0
	.set _ZN7rocprim17ROCPRIM_400000_NS6detail17trampoline_kernelINS0_14default_configENS1_35radix_sort_onesweep_config_selectorItNS0_10empty_typeEEEZZNS1_29radix_sort_onesweep_iterationIS3_Lb1EPKtPtPS5_SB_mNS0_19identity_decomposerENS1_16block_id_wrapperIjLb1EEEEE10hipError_tT1_PNSt15iterator_traitsISG_E10value_typeET2_T3_PNSH_ISM_E10value_typeET4_T5_PSR_SS_PNS1_23onesweep_lookback_stateEbbT6_jjT7_P12ihipStream_tbENKUlT_T0_SG_SL_E_clIS9_SA_SB_SB_EEDaSZ_S10_SG_SL_EUlSZ_E_NS1_11comp_targetILNS1_3genE9ELNS1_11target_archE1100ELNS1_3gpuE3ELNS1_3repE0EEENS1_47radix_sort_onesweep_sort_config_static_selectorELNS0_4arch9wavefront6targetE0EEEvSG_.numbered_sgpr, 0
	.set _ZN7rocprim17ROCPRIM_400000_NS6detail17trampoline_kernelINS0_14default_configENS1_35radix_sort_onesweep_config_selectorItNS0_10empty_typeEEEZZNS1_29radix_sort_onesweep_iterationIS3_Lb1EPKtPtPS5_SB_mNS0_19identity_decomposerENS1_16block_id_wrapperIjLb1EEEEE10hipError_tT1_PNSt15iterator_traitsISG_E10value_typeET2_T3_PNSH_ISM_E10value_typeET4_T5_PSR_SS_PNS1_23onesweep_lookback_stateEbbT6_jjT7_P12ihipStream_tbENKUlT_T0_SG_SL_E_clIS9_SA_SB_SB_EEDaSZ_S10_SG_SL_EUlSZ_E_NS1_11comp_targetILNS1_3genE9ELNS1_11target_archE1100ELNS1_3gpuE3ELNS1_3repE0EEENS1_47radix_sort_onesweep_sort_config_static_selectorELNS0_4arch9wavefront6targetE0EEEvSG_.num_named_barrier, 0
	.set _ZN7rocprim17ROCPRIM_400000_NS6detail17trampoline_kernelINS0_14default_configENS1_35radix_sort_onesweep_config_selectorItNS0_10empty_typeEEEZZNS1_29radix_sort_onesweep_iterationIS3_Lb1EPKtPtPS5_SB_mNS0_19identity_decomposerENS1_16block_id_wrapperIjLb1EEEEE10hipError_tT1_PNSt15iterator_traitsISG_E10value_typeET2_T3_PNSH_ISM_E10value_typeET4_T5_PSR_SS_PNS1_23onesweep_lookback_stateEbbT6_jjT7_P12ihipStream_tbENKUlT_T0_SG_SL_E_clIS9_SA_SB_SB_EEDaSZ_S10_SG_SL_EUlSZ_E_NS1_11comp_targetILNS1_3genE9ELNS1_11target_archE1100ELNS1_3gpuE3ELNS1_3repE0EEENS1_47radix_sort_onesweep_sort_config_static_selectorELNS0_4arch9wavefront6targetE0EEEvSG_.private_seg_size, 0
	.set _ZN7rocprim17ROCPRIM_400000_NS6detail17trampoline_kernelINS0_14default_configENS1_35radix_sort_onesweep_config_selectorItNS0_10empty_typeEEEZZNS1_29radix_sort_onesweep_iterationIS3_Lb1EPKtPtPS5_SB_mNS0_19identity_decomposerENS1_16block_id_wrapperIjLb1EEEEE10hipError_tT1_PNSt15iterator_traitsISG_E10value_typeET2_T3_PNSH_ISM_E10value_typeET4_T5_PSR_SS_PNS1_23onesweep_lookback_stateEbbT6_jjT7_P12ihipStream_tbENKUlT_T0_SG_SL_E_clIS9_SA_SB_SB_EEDaSZ_S10_SG_SL_EUlSZ_E_NS1_11comp_targetILNS1_3genE9ELNS1_11target_archE1100ELNS1_3gpuE3ELNS1_3repE0EEENS1_47radix_sort_onesweep_sort_config_static_selectorELNS0_4arch9wavefront6targetE0EEEvSG_.uses_vcc, 0
	.set _ZN7rocprim17ROCPRIM_400000_NS6detail17trampoline_kernelINS0_14default_configENS1_35radix_sort_onesweep_config_selectorItNS0_10empty_typeEEEZZNS1_29radix_sort_onesweep_iterationIS3_Lb1EPKtPtPS5_SB_mNS0_19identity_decomposerENS1_16block_id_wrapperIjLb1EEEEE10hipError_tT1_PNSt15iterator_traitsISG_E10value_typeET2_T3_PNSH_ISM_E10value_typeET4_T5_PSR_SS_PNS1_23onesweep_lookback_stateEbbT6_jjT7_P12ihipStream_tbENKUlT_T0_SG_SL_E_clIS9_SA_SB_SB_EEDaSZ_S10_SG_SL_EUlSZ_E_NS1_11comp_targetILNS1_3genE9ELNS1_11target_archE1100ELNS1_3gpuE3ELNS1_3repE0EEENS1_47radix_sort_onesweep_sort_config_static_selectorELNS0_4arch9wavefront6targetE0EEEvSG_.uses_flat_scratch, 0
	.set _ZN7rocprim17ROCPRIM_400000_NS6detail17trampoline_kernelINS0_14default_configENS1_35radix_sort_onesweep_config_selectorItNS0_10empty_typeEEEZZNS1_29radix_sort_onesweep_iterationIS3_Lb1EPKtPtPS5_SB_mNS0_19identity_decomposerENS1_16block_id_wrapperIjLb1EEEEE10hipError_tT1_PNSt15iterator_traitsISG_E10value_typeET2_T3_PNSH_ISM_E10value_typeET4_T5_PSR_SS_PNS1_23onesweep_lookback_stateEbbT6_jjT7_P12ihipStream_tbENKUlT_T0_SG_SL_E_clIS9_SA_SB_SB_EEDaSZ_S10_SG_SL_EUlSZ_E_NS1_11comp_targetILNS1_3genE9ELNS1_11target_archE1100ELNS1_3gpuE3ELNS1_3repE0EEENS1_47radix_sort_onesweep_sort_config_static_selectorELNS0_4arch9wavefront6targetE0EEEvSG_.has_dyn_sized_stack, 0
	.set _ZN7rocprim17ROCPRIM_400000_NS6detail17trampoline_kernelINS0_14default_configENS1_35radix_sort_onesweep_config_selectorItNS0_10empty_typeEEEZZNS1_29radix_sort_onesweep_iterationIS3_Lb1EPKtPtPS5_SB_mNS0_19identity_decomposerENS1_16block_id_wrapperIjLb1EEEEE10hipError_tT1_PNSt15iterator_traitsISG_E10value_typeET2_T3_PNSH_ISM_E10value_typeET4_T5_PSR_SS_PNS1_23onesweep_lookback_stateEbbT6_jjT7_P12ihipStream_tbENKUlT_T0_SG_SL_E_clIS9_SA_SB_SB_EEDaSZ_S10_SG_SL_EUlSZ_E_NS1_11comp_targetILNS1_3genE9ELNS1_11target_archE1100ELNS1_3gpuE3ELNS1_3repE0EEENS1_47radix_sort_onesweep_sort_config_static_selectorELNS0_4arch9wavefront6targetE0EEEvSG_.has_recursion, 0
	.set _ZN7rocprim17ROCPRIM_400000_NS6detail17trampoline_kernelINS0_14default_configENS1_35radix_sort_onesweep_config_selectorItNS0_10empty_typeEEEZZNS1_29radix_sort_onesweep_iterationIS3_Lb1EPKtPtPS5_SB_mNS0_19identity_decomposerENS1_16block_id_wrapperIjLb1EEEEE10hipError_tT1_PNSt15iterator_traitsISG_E10value_typeET2_T3_PNSH_ISM_E10value_typeET4_T5_PSR_SS_PNS1_23onesweep_lookback_stateEbbT6_jjT7_P12ihipStream_tbENKUlT_T0_SG_SL_E_clIS9_SA_SB_SB_EEDaSZ_S10_SG_SL_EUlSZ_E_NS1_11comp_targetILNS1_3genE9ELNS1_11target_archE1100ELNS1_3gpuE3ELNS1_3repE0EEENS1_47radix_sort_onesweep_sort_config_static_selectorELNS0_4arch9wavefront6targetE0EEEvSG_.has_indirect_call, 0
	.section	.AMDGPU.csdata,"",@progbits
; Kernel info:
; codeLenInByte = 0
; TotalNumSgprs: 0
; NumVgprs: 0
; ScratchSize: 0
; MemoryBound: 0
; FloatMode: 240
; IeeeMode: 1
; LDSByteSize: 0 bytes/workgroup (compile time only)
; SGPRBlocks: 0
; VGPRBlocks: 0
; NumSGPRsForWavesPerEU: 1
; NumVGPRsForWavesPerEU: 1
; NamedBarCnt: 0
; Occupancy: 16
; WaveLimiterHint : 0
; COMPUTE_PGM_RSRC2:SCRATCH_EN: 0
; COMPUTE_PGM_RSRC2:USER_SGPR: 2
; COMPUTE_PGM_RSRC2:TRAP_HANDLER: 0
; COMPUTE_PGM_RSRC2:TGID_X_EN: 1
; COMPUTE_PGM_RSRC2:TGID_Y_EN: 0
; COMPUTE_PGM_RSRC2:TGID_Z_EN: 0
; COMPUTE_PGM_RSRC2:TIDIG_COMP_CNT: 0
	.section	.text._ZN7rocprim17ROCPRIM_400000_NS6detail17trampoline_kernelINS0_14default_configENS1_35radix_sort_onesweep_config_selectorItNS0_10empty_typeEEEZZNS1_29radix_sort_onesweep_iterationIS3_Lb1EPKtPtPS5_SB_mNS0_19identity_decomposerENS1_16block_id_wrapperIjLb1EEEEE10hipError_tT1_PNSt15iterator_traitsISG_E10value_typeET2_T3_PNSH_ISM_E10value_typeET4_T5_PSR_SS_PNS1_23onesweep_lookback_stateEbbT6_jjT7_P12ihipStream_tbENKUlT_T0_SG_SL_E_clIS9_SA_SB_SB_EEDaSZ_S10_SG_SL_EUlSZ_E_NS1_11comp_targetILNS1_3genE8ELNS1_11target_archE1030ELNS1_3gpuE2ELNS1_3repE0EEENS1_47radix_sort_onesweep_sort_config_static_selectorELNS0_4arch9wavefront6targetE0EEEvSG_,"axG",@progbits,_ZN7rocprim17ROCPRIM_400000_NS6detail17trampoline_kernelINS0_14default_configENS1_35radix_sort_onesweep_config_selectorItNS0_10empty_typeEEEZZNS1_29radix_sort_onesweep_iterationIS3_Lb1EPKtPtPS5_SB_mNS0_19identity_decomposerENS1_16block_id_wrapperIjLb1EEEEE10hipError_tT1_PNSt15iterator_traitsISG_E10value_typeET2_T3_PNSH_ISM_E10value_typeET4_T5_PSR_SS_PNS1_23onesweep_lookback_stateEbbT6_jjT7_P12ihipStream_tbENKUlT_T0_SG_SL_E_clIS9_SA_SB_SB_EEDaSZ_S10_SG_SL_EUlSZ_E_NS1_11comp_targetILNS1_3genE8ELNS1_11target_archE1030ELNS1_3gpuE2ELNS1_3repE0EEENS1_47radix_sort_onesweep_sort_config_static_selectorELNS0_4arch9wavefront6targetE0EEEvSG_,comdat
	.protected	_ZN7rocprim17ROCPRIM_400000_NS6detail17trampoline_kernelINS0_14default_configENS1_35radix_sort_onesweep_config_selectorItNS0_10empty_typeEEEZZNS1_29radix_sort_onesweep_iterationIS3_Lb1EPKtPtPS5_SB_mNS0_19identity_decomposerENS1_16block_id_wrapperIjLb1EEEEE10hipError_tT1_PNSt15iterator_traitsISG_E10value_typeET2_T3_PNSH_ISM_E10value_typeET4_T5_PSR_SS_PNS1_23onesweep_lookback_stateEbbT6_jjT7_P12ihipStream_tbENKUlT_T0_SG_SL_E_clIS9_SA_SB_SB_EEDaSZ_S10_SG_SL_EUlSZ_E_NS1_11comp_targetILNS1_3genE8ELNS1_11target_archE1030ELNS1_3gpuE2ELNS1_3repE0EEENS1_47radix_sort_onesweep_sort_config_static_selectorELNS0_4arch9wavefront6targetE0EEEvSG_ ; -- Begin function _ZN7rocprim17ROCPRIM_400000_NS6detail17trampoline_kernelINS0_14default_configENS1_35radix_sort_onesweep_config_selectorItNS0_10empty_typeEEEZZNS1_29radix_sort_onesweep_iterationIS3_Lb1EPKtPtPS5_SB_mNS0_19identity_decomposerENS1_16block_id_wrapperIjLb1EEEEE10hipError_tT1_PNSt15iterator_traitsISG_E10value_typeET2_T3_PNSH_ISM_E10value_typeET4_T5_PSR_SS_PNS1_23onesweep_lookback_stateEbbT6_jjT7_P12ihipStream_tbENKUlT_T0_SG_SL_E_clIS9_SA_SB_SB_EEDaSZ_S10_SG_SL_EUlSZ_E_NS1_11comp_targetILNS1_3genE8ELNS1_11target_archE1030ELNS1_3gpuE2ELNS1_3repE0EEENS1_47radix_sort_onesweep_sort_config_static_selectorELNS0_4arch9wavefront6targetE0EEEvSG_
	.globl	_ZN7rocprim17ROCPRIM_400000_NS6detail17trampoline_kernelINS0_14default_configENS1_35radix_sort_onesweep_config_selectorItNS0_10empty_typeEEEZZNS1_29radix_sort_onesweep_iterationIS3_Lb1EPKtPtPS5_SB_mNS0_19identity_decomposerENS1_16block_id_wrapperIjLb1EEEEE10hipError_tT1_PNSt15iterator_traitsISG_E10value_typeET2_T3_PNSH_ISM_E10value_typeET4_T5_PSR_SS_PNS1_23onesweep_lookback_stateEbbT6_jjT7_P12ihipStream_tbENKUlT_T0_SG_SL_E_clIS9_SA_SB_SB_EEDaSZ_S10_SG_SL_EUlSZ_E_NS1_11comp_targetILNS1_3genE8ELNS1_11target_archE1030ELNS1_3gpuE2ELNS1_3repE0EEENS1_47radix_sort_onesweep_sort_config_static_selectorELNS0_4arch9wavefront6targetE0EEEvSG_
	.p2align	8
	.type	_ZN7rocprim17ROCPRIM_400000_NS6detail17trampoline_kernelINS0_14default_configENS1_35radix_sort_onesweep_config_selectorItNS0_10empty_typeEEEZZNS1_29radix_sort_onesweep_iterationIS3_Lb1EPKtPtPS5_SB_mNS0_19identity_decomposerENS1_16block_id_wrapperIjLb1EEEEE10hipError_tT1_PNSt15iterator_traitsISG_E10value_typeET2_T3_PNSH_ISM_E10value_typeET4_T5_PSR_SS_PNS1_23onesweep_lookback_stateEbbT6_jjT7_P12ihipStream_tbENKUlT_T0_SG_SL_E_clIS9_SA_SB_SB_EEDaSZ_S10_SG_SL_EUlSZ_E_NS1_11comp_targetILNS1_3genE8ELNS1_11target_archE1030ELNS1_3gpuE2ELNS1_3repE0EEENS1_47radix_sort_onesweep_sort_config_static_selectorELNS0_4arch9wavefront6targetE0EEEvSG_,@function
_ZN7rocprim17ROCPRIM_400000_NS6detail17trampoline_kernelINS0_14default_configENS1_35radix_sort_onesweep_config_selectorItNS0_10empty_typeEEEZZNS1_29radix_sort_onesweep_iterationIS3_Lb1EPKtPtPS5_SB_mNS0_19identity_decomposerENS1_16block_id_wrapperIjLb1EEEEE10hipError_tT1_PNSt15iterator_traitsISG_E10value_typeET2_T3_PNSH_ISM_E10value_typeET4_T5_PSR_SS_PNS1_23onesweep_lookback_stateEbbT6_jjT7_P12ihipStream_tbENKUlT_T0_SG_SL_E_clIS9_SA_SB_SB_EEDaSZ_S10_SG_SL_EUlSZ_E_NS1_11comp_targetILNS1_3genE8ELNS1_11target_archE1030ELNS1_3gpuE2ELNS1_3repE0EEENS1_47radix_sort_onesweep_sort_config_static_selectorELNS0_4arch9wavefront6targetE0EEEvSG_: ; @_ZN7rocprim17ROCPRIM_400000_NS6detail17trampoline_kernelINS0_14default_configENS1_35radix_sort_onesweep_config_selectorItNS0_10empty_typeEEEZZNS1_29radix_sort_onesweep_iterationIS3_Lb1EPKtPtPS5_SB_mNS0_19identity_decomposerENS1_16block_id_wrapperIjLb1EEEEE10hipError_tT1_PNSt15iterator_traitsISG_E10value_typeET2_T3_PNSH_ISM_E10value_typeET4_T5_PSR_SS_PNS1_23onesweep_lookback_stateEbbT6_jjT7_P12ihipStream_tbENKUlT_T0_SG_SL_E_clIS9_SA_SB_SB_EEDaSZ_S10_SG_SL_EUlSZ_E_NS1_11comp_targetILNS1_3genE8ELNS1_11target_archE1030ELNS1_3gpuE2ELNS1_3repE0EEENS1_47radix_sort_onesweep_sort_config_static_selectorELNS0_4arch9wavefront6targetE0EEEvSG_
; %bb.0:
	.section	.rodata,"a",@progbits
	.p2align	6, 0x0
	.amdhsa_kernel _ZN7rocprim17ROCPRIM_400000_NS6detail17trampoline_kernelINS0_14default_configENS1_35radix_sort_onesweep_config_selectorItNS0_10empty_typeEEEZZNS1_29radix_sort_onesweep_iterationIS3_Lb1EPKtPtPS5_SB_mNS0_19identity_decomposerENS1_16block_id_wrapperIjLb1EEEEE10hipError_tT1_PNSt15iterator_traitsISG_E10value_typeET2_T3_PNSH_ISM_E10value_typeET4_T5_PSR_SS_PNS1_23onesweep_lookback_stateEbbT6_jjT7_P12ihipStream_tbENKUlT_T0_SG_SL_E_clIS9_SA_SB_SB_EEDaSZ_S10_SG_SL_EUlSZ_E_NS1_11comp_targetILNS1_3genE8ELNS1_11target_archE1030ELNS1_3gpuE2ELNS1_3repE0EEENS1_47radix_sort_onesweep_sort_config_static_selectorELNS0_4arch9wavefront6targetE0EEEvSG_
		.amdhsa_group_segment_fixed_size 0
		.amdhsa_private_segment_fixed_size 0
		.amdhsa_kernarg_size 88
		.amdhsa_user_sgpr_count 2
		.amdhsa_user_sgpr_dispatch_ptr 0
		.amdhsa_user_sgpr_queue_ptr 0
		.amdhsa_user_sgpr_kernarg_segment_ptr 1
		.amdhsa_user_sgpr_dispatch_id 0
		.amdhsa_user_sgpr_kernarg_preload_length 0
		.amdhsa_user_sgpr_kernarg_preload_offset 0
		.amdhsa_user_sgpr_private_segment_size 0
		.amdhsa_wavefront_size32 1
		.amdhsa_uses_dynamic_stack 0
		.amdhsa_enable_private_segment 0
		.amdhsa_system_sgpr_workgroup_id_x 1
		.amdhsa_system_sgpr_workgroup_id_y 0
		.amdhsa_system_sgpr_workgroup_id_z 0
		.amdhsa_system_sgpr_workgroup_info 0
		.amdhsa_system_vgpr_workitem_id 0
		.amdhsa_next_free_vgpr 1
		.amdhsa_next_free_sgpr 1
		.amdhsa_named_barrier_count 0
		.amdhsa_reserve_vcc 0
		.amdhsa_float_round_mode_32 0
		.amdhsa_float_round_mode_16_64 0
		.amdhsa_float_denorm_mode_32 3
		.amdhsa_float_denorm_mode_16_64 3
		.amdhsa_fp16_overflow 0
		.amdhsa_memory_ordered 1
		.amdhsa_forward_progress 1
		.amdhsa_inst_pref_size 0
		.amdhsa_round_robin_scheduling 0
		.amdhsa_exception_fp_ieee_invalid_op 0
		.amdhsa_exception_fp_denorm_src 0
		.amdhsa_exception_fp_ieee_div_zero 0
		.amdhsa_exception_fp_ieee_overflow 0
		.amdhsa_exception_fp_ieee_underflow 0
		.amdhsa_exception_fp_ieee_inexact 0
		.amdhsa_exception_int_div_zero 0
	.end_amdhsa_kernel
	.section	.text._ZN7rocprim17ROCPRIM_400000_NS6detail17trampoline_kernelINS0_14default_configENS1_35radix_sort_onesweep_config_selectorItNS0_10empty_typeEEEZZNS1_29radix_sort_onesweep_iterationIS3_Lb1EPKtPtPS5_SB_mNS0_19identity_decomposerENS1_16block_id_wrapperIjLb1EEEEE10hipError_tT1_PNSt15iterator_traitsISG_E10value_typeET2_T3_PNSH_ISM_E10value_typeET4_T5_PSR_SS_PNS1_23onesweep_lookback_stateEbbT6_jjT7_P12ihipStream_tbENKUlT_T0_SG_SL_E_clIS9_SA_SB_SB_EEDaSZ_S10_SG_SL_EUlSZ_E_NS1_11comp_targetILNS1_3genE8ELNS1_11target_archE1030ELNS1_3gpuE2ELNS1_3repE0EEENS1_47radix_sort_onesweep_sort_config_static_selectorELNS0_4arch9wavefront6targetE0EEEvSG_,"axG",@progbits,_ZN7rocprim17ROCPRIM_400000_NS6detail17trampoline_kernelINS0_14default_configENS1_35radix_sort_onesweep_config_selectorItNS0_10empty_typeEEEZZNS1_29radix_sort_onesweep_iterationIS3_Lb1EPKtPtPS5_SB_mNS0_19identity_decomposerENS1_16block_id_wrapperIjLb1EEEEE10hipError_tT1_PNSt15iterator_traitsISG_E10value_typeET2_T3_PNSH_ISM_E10value_typeET4_T5_PSR_SS_PNS1_23onesweep_lookback_stateEbbT6_jjT7_P12ihipStream_tbENKUlT_T0_SG_SL_E_clIS9_SA_SB_SB_EEDaSZ_S10_SG_SL_EUlSZ_E_NS1_11comp_targetILNS1_3genE8ELNS1_11target_archE1030ELNS1_3gpuE2ELNS1_3repE0EEENS1_47radix_sort_onesweep_sort_config_static_selectorELNS0_4arch9wavefront6targetE0EEEvSG_,comdat
.Lfunc_end2394:
	.size	_ZN7rocprim17ROCPRIM_400000_NS6detail17trampoline_kernelINS0_14default_configENS1_35radix_sort_onesweep_config_selectorItNS0_10empty_typeEEEZZNS1_29radix_sort_onesweep_iterationIS3_Lb1EPKtPtPS5_SB_mNS0_19identity_decomposerENS1_16block_id_wrapperIjLb1EEEEE10hipError_tT1_PNSt15iterator_traitsISG_E10value_typeET2_T3_PNSH_ISM_E10value_typeET4_T5_PSR_SS_PNS1_23onesweep_lookback_stateEbbT6_jjT7_P12ihipStream_tbENKUlT_T0_SG_SL_E_clIS9_SA_SB_SB_EEDaSZ_S10_SG_SL_EUlSZ_E_NS1_11comp_targetILNS1_3genE8ELNS1_11target_archE1030ELNS1_3gpuE2ELNS1_3repE0EEENS1_47radix_sort_onesweep_sort_config_static_selectorELNS0_4arch9wavefront6targetE0EEEvSG_, .Lfunc_end2394-_ZN7rocprim17ROCPRIM_400000_NS6detail17trampoline_kernelINS0_14default_configENS1_35radix_sort_onesweep_config_selectorItNS0_10empty_typeEEEZZNS1_29radix_sort_onesweep_iterationIS3_Lb1EPKtPtPS5_SB_mNS0_19identity_decomposerENS1_16block_id_wrapperIjLb1EEEEE10hipError_tT1_PNSt15iterator_traitsISG_E10value_typeET2_T3_PNSH_ISM_E10value_typeET4_T5_PSR_SS_PNS1_23onesweep_lookback_stateEbbT6_jjT7_P12ihipStream_tbENKUlT_T0_SG_SL_E_clIS9_SA_SB_SB_EEDaSZ_S10_SG_SL_EUlSZ_E_NS1_11comp_targetILNS1_3genE8ELNS1_11target_archE1030ELNS1_3gpuE2ELNS1_3repE0EEENS1_47radix_sort_onesweep_sort_config_static_selectorELNS0_4arch9wavefront6targetE0EEEvSG_
                                        ; -- End function
	.set _ZN7rocprim17ROCPRIM_400000_NS6detail17trampoline_kernelINS0_14default_configENS1_35radix_sort_onesweep_config_selectorItNS0_10empty_typeEEEZZNS1_29radix_sort_onesweep_iterationIS3_Lb1EPKtPtPS5_SB_mNS0_19identity_decomposerENS1_16block_id_wrapperIjLb1EEEEE10hipError_tT1_PNSt15iterator_traitsISG_E10value_typeET2_T3_PNSH_ISM_E10value_typeET4_T5_PSR_SS_PNS1_23onesweep_lookback_stateEbbT6_jjT7_P12ihipStream_tbENKUlT_T0_SG_SL_E_clIS9_SA_SB_SB_EEDaSZ_S10_SG_SL_EUlSZ_E_NS1_11comp_targetILNS1_3genE8ELNS1_11target_archE1030ELNS1_3gpuE2ELNS1_3repE0EEENS1_47radix_sort_onesweep_sort_config_static_selectorELNS0_4arch9wavefront6targetE0EEEvSG_.num_vgpr, 0
	.set _ZN7rocprim17ROCPRIM_400000_NS6detail17trampoline_kernelINS0_14default_configENS1_35radix_sort_onesweep_config_selectorItNS0_10empty_typeEEEZZNS1_29radix_sort_onesweep_iterationIS3_Lb1EPKtPtPS5_SB_mNS0_19identity_decomposerENS1_16block_id_wrapperIjLb1EEEEE10hipError_tT1_PNSt15iterator_traitsISG_E10value_typeET2_T3_PNSH_ISM_E10value_typeET4_T5_PSR_SS_PNS1_23onesweep_lookback_stateEbbT6_jjT7_P12ihipStream_tbENKUlT_T0_SG_SL_E_clIS9_SA_SB_SB_EEDaSZ_S10_SG_SL_EUlSZ_E_NS1_11comp_targetILNS1_3genE8ELNS1_11target_archE1030ELNS1_3gpuE2ELNS1_3repE0EEENS1_47radix_sort_onesweep_sort_config_static_selectorELNS0_4arch9wavefront6targetE0EEEvSG_.num_agpr, 0
	.set _ZN7rocprim17ROCPRIM_400000_NS6detail17trampoline_kernelINS0_14default_configENS1_35radix_sort_onesweep_config_selectorItNS0_10empty_typeEEEZZNS1_29radix_sort_onesweep_iterationIS3_Lb1EPKtPtPS5_SB_mNS0_19identity_decomposerENS1_16block_id_wrapperIjLb1EEEEE10hipError_tT1_PNSt15iterator_traitsISG_E10value_typeET2_T3_PNSH_ISM_E10value_typeET4_T5_PSR_SS_PNS1_23onesweep_lookback_stateEbbT6_jjT7_P12ihipStream_tbENKUlT_T0_SG_SL_E_clIS9_SA_SB_SB_EEDaSZ_S10_SG_SL_EUlSZ_E_NS1_11comp_targetILNS1_3genE8ELNS1_11target_archE1030ELNS1_3gpuE2ELNS1_3repE0EEENS1_47radix_sort_onesweep_sort_config_static_selectorELNS0_4arch9wavefront6targetE0EEEvSG_.numbered_sgpr, 0
	.set _ZN7rocprim17ROCPRIM_400000_NS6detail17trampoline_kernelINS0_14default_configENS1_35radix_sort_onesweep_config_selectorItNS0_10empty_typeEEEZZNS1_29radix_sort_onesweep_iterationIS3_Lb1EPKtPtPS5_SB_mNS0_19identity_decomposerENS1_16block_id_wrapperIjLb1EEEEE10hipError_tT1_PNSt15iterator_traitsISG_E10value_typeET2_T3_PNSH_ISM_E10value_typeET4_T5_PSR_SS_PNS1_23onesweep_lookback_stateEbbT6_jjT7_P12ihipStream_tbENKUlT_T0_SG_SL_E_clIS9_SA_SB_SB_EEDaSZ_S10_SG_SL_EUlSZ_E_NS1_11comp_targetILNS1_3genE8ELNS1_11target_archE1030ELNS1_3gpuE2ELNS1_3repE0EEENS1_47radix_sort_onesweep_sort_config_static_selectorELNS0_4arch9wavefront6targetE0EEEvSG_.num_named_barrier, 0
	.set _ZN7rocprim17ROCPRIM_400000_NS6detail17trampoline_kernelINS0_14default_configENS1_35radix_sort_onesweep_config_selectorItNS0_10empty_typeEEEZZNS1_29radix_sort_onesweep_iterationIS3_Lb1EPKtPtPS5_SB_mNS0_19identity_decomposerENS1_16block_id_wrapperIjLb1EEEEE10hipError_tT1_PNSt15iterator_traitsISG_E10value_typeET2_T3_PNSH_ISM_E10value_typeET4_T5_PSR_SS_PNS1_23onesweep_lookback_stateEbbT6_jjT7_P12ihipStream_tbENKUlT_T0_SG_SL_E_clIS9_SA_SB_SB_EEDaSZ_S10_SG_SL_EUlSZ_E_NS1_11comp_targetILNS1_3genE8ELNS1_11target_archE1030ELNS1_3gpuE2ELNS1_3repE0EEENS1_47radix_sort_onesweep_sort_config_static_selectorELNS0_4arch9wavefront6targetE0EEEvSG_.private_seg_size, 0
	.set _ZN7rocprim17ROCPRIM_400000_NS6detail17trampoline_kernelINS0_14default_configENS1_35radix_sort_onesweep_config_selectorItNS0_10empty_typeEEEZZNS1_29radix_sort_onesweep_iterationIS3_Lb1EPKtPtPS5_SB_mNS0_19identity_decomposerENS1_16block_id_wrapperIjLb1EEEEE10hipError_tT1_PNSt15iterator_traitsISG_E10value_typeET2_T3_PNSH_ISM_E10value_typeET4_T5_PSR_SS_PNS1_23onesweep_lookback_stateEbbT6_jjT7_P12ihipStream_tbENKUlT_T0_SG_SL_E_clIS9_SA_SB_SB_EEDaSZ_S10_SG_SL_EUlSZ_E_NS1_11comp_targetILNS1_3genE8ELNS1_11target_archE1030ELNS1_3gpuE2ELNS1_3repE0EEENS1_47radix_sort_onesweep_sort_config_static_selectorELNS0_4arch9wavefront6targetE0EEEvSG_.uses_vcc, 0
	.set _ZN7rocprim17ROCPRIM_400000_NS6detail17trampoline_kernelINS0_14default_configENS1_35radix_sort_onesweep_config_selectorItNS0_10empty_typeEEEZZNS1_29radix_sort_onesweep_iterationIS3_Lb1EPKtPtPS5_SB_mNS0_19identity_decomposerENS1_16block_id_wrapperIjLb1EEEEE10hipError_tT1_PNSt15iterator_traitsISG_E10value_typeET2_T3_PNSH_ISM_E10value_typeET4_T5_PSR_SS_PNS1_23onesweep_lookback_stateEbbT6_jjT7_P12ihipStream_tbENKUlT_T0_SG_SL_E_clIS9_SA_SB_SB_EEDaSZ_S10_SG_SL_EUlSZ_E_NS1_11comp_targetILNS1_3genE8ELNS1_11target_archE1030ELNS1_3gpuE2ELNS1_3repE0EEENS1_47radix_sort_onesweep_sort_config_static_selectorELNS0_4arch9wavefront6targetE0EEEvSG_.uses_flat_scratch, 0
	.set _ZN7rocprim17ROCPRIM_400000_NS6detail17trampoline_kernelINS0_14default_configENS1_35radix_sort_onesweep_config_selectorItNS0_10empty_typeEEEZZNS1_29radix_sort_onesweep_iterationIS3_Lb1EPKtPtPS5_SB_mNS0_19identity_decomposerENS1_16block_id_wrapperIjLb1EEEEE10hipError_tT1_PNSt15iterator_traitsISG_E10value_typeET2_T3_PNSH_ISM_E10value_typeET4_T5_PSR_SS_PNS1_23onesweep_lookback_stateEbbT6_jjT7_P12ihipStream_tbENKUlT_T0_SG_SL_E_clIS9_SA_SB_SB_EEDaSZ_S10_SG_SL_EUlSZ_E_NS1_11comp_targetILNS1_3genE8ELNS1_11target_archE1030ELNS1_3gpuE2ELNS1_3repE0EEENS1_47radix_sort_onesweep_sort_config_static_selectorELNS0_4arch9wavefront6targetE0EEEvSG_.has_dyn_sized_stack, 0
	.set _ZN7rocprim17ROCPRIM_400000_NS6detail17trampoline_kernelINS0_14default_configENS1_35radix_sort_onesweep_config_selectorItNS0_10empty_typeEEEZZNS1_29radix_sort_onesweep_iterationIS3_Lb1EPKtPtPS5_SB_mNS0_19identity_decomposerENS1_16block_id_wrapperIjLb1EEEEE10hipError_tT1_PNSt15iterator_traitsISG_E10value_typeET2_T3_PNSH_ISM_E10value_typeET4_T5_PSR_SS_PNS1_23onesweep_lookback_stateEbbT6_jjT7_P12ihipStream_tbENKUlT_T0_SG_SL_E_clIS9_SA_SB_SB_EEDaSZ_S10_SG_SL_EUlSZ_E_NS1_11comp_targetILNS1_3genE8ELNS1_11target_archE1030ELNS1_3gpuE2ELNS1_3repE0EEENS1_47radix_sort_onesweep_sort_config_static_selectorELNS0_4arch9wavefront6targetE0EEEvSG_.has_recursion, 0
	.set _ZN7rocprim17ROCPRIM_400000_NS6detail17trampoline_kernelINS0_14default_configENS1_35radix_sort_onesweep_config_selectorItNS0_10empty_typeEEEZZNS1_29radix_sort_onesweep_iterationIS3_Lb1EPKtPtPS5_SB_mNS0_19identity_decomposerENS1_16block_id_wrapperIjLb1EEEEE10hipError_tT1_PNSt15iterator_traitsISG_E10value_typeET2_T3_PNSH_ISM_E10value_typeET4_T5_PSR_SS_PNS1_23onesweep_lookback_stateEbbT6_jjT7_P12ihipStream_tbENKUlT_T0_SG_SL_E_clIS9_SA_SB_SB_EEDaSZ_S10_SG_SL_EUlSZ_E_NS1_11comp_targetILNS1_3genE8ELNS1_11target_archE1030ELNS1_3gpuE2ELNS1_3repE0EEENS1_47radix_sort_onesweep_sort_config_static_selectorELNS0_4arch9wavefront6targetE0EEEvSG_.has_indirect_call, 0
	.section	.AMDGPU.csdata,"",@progbits
; Kernel info:
; codeLenInByte = 0
; TotalNumSgprs: 0
; NumVgprs: 0
; ScratchSize: 0
; MemoryBound: 0
; FloatMode: 240
; IeeeMode: 1
; LDSByteSize: 0 bytes/workgroup (compile time only)
; SGPRBlocks: 0
; VGPRBlocks: 0
; NumSGPRsForWavesPerEU: 1
; NumVGPRsForWavesPerEU: 1
; NamedBarCnt: 0
; Occupancy: 16
; WaveLimiterHint : 0
; COMPUTE_PGM_RSRC2:SCRATCH_EN: 0
; COMPUTE_PGM_RSRC2:USER_SGPR: 2
; COMPUTE_PGM_RSRC2:TRAP_HANDLER: 0
; COMPUTE_PGM_RSRC2:TGID_X_EN: 1
; COMPUTE_PGM_RSRC2:TGID_Y_EN: 0
; COMPUTE_PGM_RSRC2:TGID_Z_EN: 0
; COMPUTE_PGM_RSRC2:TIDIG_COMP_CNT: 0
	.section	.text._ZN7rocprim17ROCPRIM_400000_NS6detail17trampoline_kernelINS0_14default_configENS1_35radix_sort_onesweep_config_selectorItNS0_10empty_typeEEEZZNS1_29radix_sort_onesweep_iterationIS3_Lb1EPKtPtPS5_SB_mNS0_19identity_decomposerENS1_16block_id_wrapperIjLb1EEEEE10hipError_tT1_PNSt15iterator_traitsISG_E10value_typeET2_T3_PNSH_ISM_E10value_typeET4_T5_PSR_SS_PNS1_23onesweep_lookback_stateEbbT6_jjT7_P12ihipStream_tbENKUlT_T0_SG_SL_E_clISA_SA_SB_SB_EEDaSZ_S10_SG_SL_EUlSZ_E_NS1_11comp_targetILNS1_3genE0ELNS1_11target_archE4294967295ELNS1_3gpuE0ELNS1_3repE0EEENS1_47radix_sort_onesweep_sort_config_static_selectorELNS0_4arch9wavefront6targetE0EEEvSG_,"axG",@progbits,_ZN7rocprim17ROCPRIM_400000_NS6detail17trampoline_kernelINS0_14default_configENS1_35radix_sort_onesweep_config_selectorItNS0_10empty_typeEEEZZNS1_29radix_sort_onesweep_iterationIS3_Lb1EPKtPtPS5_SB_mNS0_19identity_decomposerENS1_16block_id_wrapperIjLb1EEEEE10hipError_tT1_PNSt15iterator_traitsISG_E10value_typeET2_T3_PNSH_ISM_E10value_typeET4_T5_PSR_SS_PNS1_23onesweep_lookback_stateEbbT6_jjT7_P12ihipStream_tbENKUlT_T0_SG_SL_E_clISA_SA_SB_SB_EEDaSZ_S10_SG_SL_EUlSZ_E_NS1_11comp_targetILNS1_3genE0ELNS1_11target_archE4294967295ELNS1_3gpuE0ELNS1_3repE0EEENS1_47radix_sort_onesweep_sort_config_static_selectorELNS0_4arch9wavefront6targetE0EEEvSG_,comdat
	.protected	_ZN7rocprim17ROCPRIM_400000_NS6detail17trampoline_kernelINS0_14default_configENS1_35radix_sort_onesweep_config_selectorItNS0_10empty_typeEEEZZNS1_29radix_sort_onesweep_iterationIS3_Lb1EPKtPtPS5_SB_mNS0_19identity_decomposerENS1_16block_id_wrapperIjLb1EEEEE10hipError_tT1_PNSt15iterator_traitsISG_E10value_typeET2_T3_PNSH_ISM_E10value_typeET4_T5_PSR_SS_PNS1_23onesweep_lookback_stateEbbT6_jjT7_P12ihipStream_tbENKUlT_T0_SG_SL_E_clISA_SA_SB_SB_EEDaSZ_S10_SG_SL_EUlSZ_E_NS1_11comp_targetILNS1_3genE0ELNS1_11target_archE4294967295ELNS1_3gpuE0ELNS1_3repE0EEENS1_47radix_sort_onesweep_sort_config_static_selectorELNS0_4arch9wavefront6targetE0EEEvSG_ ; -- Begin function _ZN7rocprim17ROCPRIM_400000_NS6detail17trampoline_kernelINS0_14default_configENS1_35radix_sort_onesweep_config_selectorItNS0_10empty_typeEEEZZNS1_29radix_sort_onesweep_iterationIS3_Lb1EPKtPtPS5_SB_mNS0_19identity_decomposerENS1_16block_id_wrapperIjLb1EEEEE10hipError_tT1_PNSt15iterator_traitsISG_E10value_typeET2_T3_PNSH_ISM_E10value_typeET4_T5_PSR_SS_PNS1_23onesweep_lookback_stateEbbT6_jjT7_P12ihipStream_tbENKUlT_T0_SG_SL_E_clISA_SA_SB_SB_EEDaSZ_S10_SG_SL_EUlSZ_E_NS1_11comp_targetILNS1_3genE0ELNS1_11target_archE4294967295ELNS1_3gpuE0ELNS1_3repE0EEENS1_47radix_sort_onesweep_sort_config_static_selectorELNS0_4arch9wavefront6targetE0EEEvSG_
	.globl	_ZN7rocprim17ROCPRIM_400000_NS6detail17trampoline_kernelINS0_14default_configENS1_35radix_sort_onesweep_config_selectorItNS0_10empty_typeEEEZZNS1_29radix_sort_onesweep_iterationIS3_Lb1EPKtPtPS5_SB_mNS0_19identity_decomposerENS1_16block_id_wrapperIjLb1EEEEE10hipError_tT1_PNSt15iterator_traitsISG_E10value_typeET2_T3_PNSH_ISM_E10value_typeET4_T5_PSR_SS_PNS1_23onesweep_lookback_stateEbbT6_jjT7_P12ihipStream_tbENKUlT_T0_SG_SL_E_clISA_SA_SB_SB_EEDaSZ_S10_SG_SL_EUlSZ_E_NS1_11comp_targetILNS1_3genE0ELNS1_11target_archE4294967295ELNS1_3gpuE0ELNS1_3repE0EEENS1_47radix_sort_onesweep_sort_config_static_selectorELNS0_4arch9wavefront6targetE0EEEvSG_
	.p2align	8
	.type	_ZN7rocprim17ROCPRIM_400000_NS6detail17trampoline_kernelINS0_14default_configENS1_35radix_sort_onesweep_config_selectorItNS0_10empty_typeEEEZZNS1_29radix_sort_onesweep_iterationIS3_Lb1EPKtPtPS5_SB_mNS0_19identity_decomposerENS1_16block_id_wrapperIjLb1EEEEE10hipError_tT1_PNSt15iterator_traitsISG_E10value_typeET2_T3_PNSH_ISM_E10value_typeET4_T5_PSR_SS_PNS1_23onesweep_lookback_stateEbbT6_jjT7_P12ihipStream_tbENKUlT_T0_SG_SL_E_clISA_SA_SB_SB_EEDaSZ_S10_SG_SL_EUlSZ_E_NS1_11comp_targetILNS1_3genE0ELNS1_11target_archE4294967295ELNS1_3gpuE0ELNS1_3repE0EEENS1_47radix_sort_onesweep_sort_config_static_selectorELNS0_4arch9wavefront6targetE0EEEvSG_,@function
_ZN7rocprim17ROCPRIM_400000_NS6detail17trampoline_kernelINS0_14default_configENS1_35radix_sort_onesweep_config_selectorItNS0_10empty_typeEEEZZNS1_29radix_sort_onesweep_iterationIS3_Lb1EPKtPtPS5_SB_mNS0_19identity_decomposerENS1_16block_id_wrapperIjLb1EEEEE10hipError_tT1_PNSt15iterator_traitsISG_E10value_typeET2_T3_PNSH_ISM_E10value_typeET4_T5_PSR_SS_PNS1_23onesweep_lookback_stateEbbT6_jjT7_P12ihipStream_tbENKUlT_T0_SG_SL_E_clISA_SA_SB_SB_EEDaSZ_S10_SG_SL_EUlSZ_E_NS1_11comp_targetILNS1_3genE0ELNS1_11target_archE4294967295ELNS1_3gpuE0ELNS1_3repE0EEENS1_47radix_sort_onesweep_sort_config_static_selectorELNS0_4arch9wavefront6targetE0EEEvSG_: ; @_ZN7rocprim17ROCPRIM_400000_NS6detail17trampoline_kernelINS0_14default_configENS1_35radix_sort_onesweep_config_selectorItNS0_10empty_typeEEEZZNS1_29radix_sort_onesweep_iterationIS3_Lb1EPKtPtPS5_SB_mNS0_19identity_decomposerENS1_16block_id_wrapperIjLb1EEEEE10hipError_tT1_PNSt15iterator_traitsISG_E10value_typeET2_T3_PNSH_ISM_E10value_typeET4_T5_PSR_SS_PNS1_23onesweep_lookback_stateEbbT6_jjT7_P12ihipStream_tbENKUlT_T0_SG_SL_E_clISA_SA_SB_SB_EEDaSZ_S10_SG_SL_EUlSZ_E_NS1_11comp_targetILNS1_3genE0ELNS1_11target_archE4294967295ELNS1_3gpuE0ELNS1_3repE0EEENS1_47radix_sort_onesweep_sort_config_static_selectorELNS0_4arch9wavefront6targetE0EEEvSG_
; %bb.0:
	s_clause 0x1
	s_load_b128 s[12:15], s[0:1], 0x28
	s_load_b64 s[10:11], s[0:1], 0x38
	v_and_b32_e32 v14, 0x3ff, v0
	s_delay_alu instid0(VALU_DEP_1)
	v_cmp_eq_u32_e64 s2, 0, v14
	s_and_saveexec_b32 s3, s2
	s_cbranch_execz .LBB2395_4
; %bb.1:
	s_mov_b32 s5, exec_lo
	s_mov_b32 s4, exec_lo
	v_mbcnt_lo_u32_b32 v1, s5, 0
                                        ; implicit-def: $vgpr2
	s_delay_alu instid0(VALU_DEP_1)
	v_cmpx_eq_u32_e32 0, v1
	s_cbranch_execz .LBB2395_3
; %bb.2:
	s_load_b64 s[6:7], s[0:1], 0x50
	s_bcnt1_i32_b32 s5, s5
	s_delay_alu instid0(SALU_CYCLE_1)
	v_dual_mov_b32 v2, 0 :: v_dual_mov_b32 v3, s5
	s_wait_xcnt 0x0
	s_wait_kmcnt 0x0
	global_atomic_add_u32 v2, v2, v3, s[6:7] th:TH_ATOMIC_RETURN scope:SCOPE_DEV
.LBB2395_3:
	s_wait_xcnt 0x0
	s_or_b32 exec_lo, exec_lo, s4
	s_wait_loadcnt 0x0
	v_readfirstlane_b32 s4, v2
	s_delay_alu instid0(VALU_DEP_1)
	v_dual_mov_b32 v2, 0 :: v_dual_add_nc_u32 v1, s4, v1
	ds_store_b32 v2, v1 offset:18496
.LBB2395_4:
	s_or_b32 exec_lo, exec_lo, s3
	v_mov_b32_e32 v9, 0
	s_clause 0x2
	s_load_b128 s[16:19], s[0:1], 0x0
	s_load_b32 s3, s[0:1], 0x20
	s_load_b96 s[20:22], s[0:1], 0x44
	s_wait_dscnt 0x0
	s_barrier_signal -1
	s_barrier_wait -1
	ds_load_b32 v1, v9 offset:18496
	v_mbcnt_lo_u32_b32 v15, -1, 0
	v_and_b32_e32 v16, 0x3e0, v14
	s_mov_b32 s4, -1
	s_add_nc_u64 s[26:27], s[0:1], 0x58
	s_getreg_b32 s28, hwreg(HW_REG_IB_STS2, 6, 4)
	s_wait_dscnt 0x0
	s_barrier_signal -1
	s_barrier_wait -1
	s_wait_kmcnt 0x0
	v_cmp_le_u32_e32 vcc_lo, s22, v1
	v_readfirstlane_b32 s23, v1
	s_mul_i32 s24, s23, 0x1800
	s_cbranch_vccz .LBB2395_100
; %bb.5:
	s_mov_b32 s25, 0
	v_mul_u32_u24_e32 v2, 12, v16
	v_lshlrev_b32_e32 v8, 1, v15
	s_lshl_b64 s[4:5], s[24:25], 1
	s_mulk_i32 s22, 0xe800
	s_add_nc_u64 s[4:5], s[16:17], s[4:5]
	v_or_b32_e32 v1, v15, v2
	v_add_nc_u64_e32 v[4:5], s[4:5], v[8:9]
	v_dual_lshlrev_b32 v8, 1, v2 :: v_dual_mov_b32 v6, v9
	v_dual_mov_b32 v2, v9 :: v_dual_mov_b32 v3, v9
	s_add_co_i32 s22, s22, s3
	s_mov_b32 s3, exec_lo
	s_delay_alu instid0(VALU_DEP_2)
	v_add_nc_u64_e32 v[10:11], v[4:5], v[8:9]
	v_dual_mov_b32 v4, v9 :: v_dual_mov_b32 v5, v9
	v_cmpx_gt_u32_e64 s22, v1
	s_cbranch_execz .LBB2395_7
; %bb.6:
	global_load_u16 v5, v[10:11], off
	v_mov_b32_e32 v9, 0
	s_delay_alu instid0(VALU_DEP_1)
	v_dual_mov_b32 v2, v9 :: v_dual_mov_b32 v3, v9
	v_mov_b32_e32 v4, v9
	s_wait_loadcnt 0x0
	v_and_b32_e32 v6, 0xffff, v5
	v_mov_b32_e32 v5, v9
.LBB2395_7:
	s_or_b32 exec_lo, exec_lo, s3
	v_or_b32_e32 v7, 32, v1
	s_mov_b32 s3, exec_lo
	s_delay_alu instid0(VALU_DEP_1)
	v_cmpx_gt_u32_e64 s22, v7
	s_cbranch_execz .LBB2395_9
; %bb.8:
	global_load_u16 v7, v[10:11], off offset:64
	s_wait_loadcnt 0x0
	v_perm_b32 v6, v7, v6, 0x5040100
.LBB2395_9:
	s_or_b32 exec_lo, exec_lo, s3
	v_or_b32_e32 v7, 64, v1
	s_mov_b32 s3, exec_lo
	s_delay_alu instid0(VALU_DEP_1)
	v_cmpx_gt_u32_e64 s22, v7
	s_cbranch_execz .LBB2395_11
; %bb.10:
	global_load_u16 v7, v[10:11], off offset:128
	s_wait_loadcnt 0x0
	v_bfi_b32 v9, 0xffff, v7, v9
.LBB2395_11:
	s_or_b32 exec_lo, exec_lo, s3
	v_or_b32_e32 v7, 0x60, v1
	s_mov_b32 s3, exec_lo
	s_delay_alu instid0(VALU_DEP_1)
	v_cmpx_gt_u32_e64 s22, v7
	s_cbranch_execz .LBB2395_13
; %bb.12:
	global_load_u16 v7, v[10:11], off offset:192
	s_wait_loadcnt 0x0
	v_perm_b32 v9, v7, v9, 0x5040100
.LBB2395_13:
	s_or_b32 exec_lo, exec_lo, s3
	v_add_nc_u32_e32 v7, 0x80, v1
	s_mov_b32 s3, exec_lo
	s_delay_alu instid0(VALU_DEP_1)
	v_cmpx_gt_u32_e64 s22, v7
	s_cbranch_execz .LBB2395_15
; %bb.14:
	global_load_u16 v7, v[10:11], off offset:256
	s_wait_loadcnt 0x0
	v_bfi_b32 v2, 0xffff, v7, v2
.LBB2395_15:
	s_or_b32 exec_lo, exec_lo, s3
	v_add_nc_u32_e32 v7, 0xa0, v1
	s_mov_b32 s3, exec_lo
	s_delay_alu instid0(VALU_DEP_1)
	v_cmpx_gt_u32_e64 s22, v7
	s_cbranch_execz .LBB2395_17
; %bb.16:
	global_load_u16 v7, v[10:11], off offset:320
	s_wait_loadcnt 0x0
	v_perm_b32 v2, v7, v2, 0x5040100
.LBB2395_17:
	s_or_b32 exec_lo, exec_lo, s3
	v_add_nc_u32_e32 v7, 0xc0, v1
	s_mov_b32 s3, exec_lo
	s_delay_alu instid0(VALU_DEP_1)
	v_cmpx_gt_u32_e64 s22, v7
	s_cbranch_execz .LBB2395_19
; %bb.18:
	global_load_u16 v7, v[10:11], off offset:384
	s_wait_loadcnt 0x0
	v_bfi_b32 v3, 0xffff, v7, v3
.LBB2395_19:
	s_or_b32 exec_lo, exec_lo, s3
	v_add_nc_u32_e32 v7, 0xe0, v1
	;; [unrolled: 22-line block ×4, first 2 shown]
	s_mov_b32 s3, exec_lo
	s_delay_alu instid0(VALU_DEP_1)
	v_cmpx_gt_u32_e64 s22, v1
	s_cbranch_execz .LBB2395_29
; %bb.28:
	global_load_u16 v1, v[10:11], off offset:704
	s_wait_loadcnt 0x0
	v_perm_b32 v5, v1, v5, 0x5040100
.LBB2395_29:
	s_or_b32 exec_lo, exec_lo, s3
	s_clause 0x1
	s_load_b32 s25, s[0:1], 0x58
	s_load_u16 s3, s[0:1], 0x66
	v_xor_b32_e32 v1, -1, v6
	s_bfe_u32 s4, ttmp6, 0x4000c
	s_and_b32 s5, ttmp6, 15
	s_add_co_i32 s4, s4, 1
	v_bfe_u32 v7, v0, 10, 10
	s_mul_i32 s4, ttmp9, s4
	v_and_b32_e32 v8, 0xffff, v1
	s_add_co_i32 s5, s5, s4
	s_cmp_eq_u32 s28, 0
	v_bfe_u32 v10, v0, 20, 10
	s_cselect_b32 s4, ttmp9, s5
	v_lshrrev_b32_e32 v8, s20, v8
	s_mov_b32 s5, 0
	s_wait_kmcnt 0x0
	s_cmp_lt_u32 s4, s25
	v_mad_u32_u24 v7, v10, s3, v7
	s_cselect_b32 s4, 12, 18
	s_lshl_b32 s6, -1, s21
	s_add_nc_u64 s[4:5], s[26:27], s[4:5]
	v_bitop3_b32 v10, v8, 1, s6 bitop3:0x40
	v_bitop3_b32 v11, v8, s6, v8 bitop3:0x30
	s_load_u16 s7, s[4:5], 0x0
	s_not_b32 s29, s6
	s_delay_alu instid0(VALU_DEP_2) | instskip(NEXT) | instid1(VALU_DEP_1)
	v_add_co_u32 v8, s3, v10, -1
	v_cndmask_b32_e64 v10, 0, 1, s3
	v_dual_lshlrev_b32 v12, 30, v11 :: v_dual_lshlrev_b32 v13, 29, v11
	v_dual_lshlrev_b32 v17, 28, v11 :: v_dual_lshlrev_b32 v18, 27, v11
	s_delay_alu instid0(VALU_DEP_3) | instskip(NEXT) | instid1(VALU_DEP_3)
	v_cmp_ne_u32_e32 vcc_lo, 0, v10
	v_not_b32_e32 v10, v12
	v_lshlrev_b32_e32 v21, 24, v11
	v_cmp_gt_i32_e64 s3, 0, v12
	s_wait_xcnt 0x0
	v_cmp_gt_i32_e64 s4, 0, v13
	v_not_b32_e32 v12, v13
	v_not_b32_e32 v13, v17
	v_dual_ashrrev_i32 v10, 31, v10 :: v_dual_lshlrev_b32 v19, 26, v11
	v_lshlrev_b32_e32 v20, 25, v11
	v_cmp_gt_i32_e64 s5, 0, v17
	s_delay_alu instid0(VALU_DEP_4) | instskip(NEXT) | instid1(VALU_DEP_4)
	v_dual_ashrrev_i32 v13, 31, v13 :: v_dual_bitop2_b32 v8, vcc_lo, v8 bitop3:0x14
	v_dual_ashrrev_i32 v12, 31, v12 :: v_dual_bitop2_b32 v10, s3, v10 bitop3:0x14
	v_not_b32_e32 v17, v18
	v_not_b32_e32 v22, v19
	s_delay_alu instid0(VALU_DEP_4) | instskip(NEXT) | instid1(VALU_DEP_4)
	v_xor_b32_e32 v13, s5, v13
	v_xor_b32_e32 v12, s4, v12
	v_bitop3_b32 v8, v8, v10, exec_lo bitop3:0x80
	s_wait_kmcnt 0x0
	v_mad_u32 v7, v7, s7, v14
	v_cmp_gt_i32_e32 vcc_lo, 0, v18
	v_ashrrev_i32_e32 v10, 31, v17
	v_cmp_gt_i32_e64 s3, 0, v19
	v_ashrrev_i32_e32 v17, 31, v22
	v_bitop3_b32 v8, v8, v13, v12 bitop3:0x80
	v_not_b32_e32 v12, v20
	v_not_b32_e32 v13, v21
	v_xor_b32_e32 v10, vcc_lo, v10
	v_xor_b32_e32 v17, s3, v17
	v_cmp_gt_i32_e32 vcc_lo, 0, v20
	v_ashrrev_i32_e32 v18, 31, v12
	v_cmp_gt_i32_e64 s3, 0, v21
	v_dual_ashrrev_i32 v13, 31, v13 :: v_dual_lshrrev_b32 v7, 3, v7
	v_bitop3_b32 v8, v8, v17, v10 bitop3:0x80
	s_delay_alu instid0(VALU_DEP_4) | instskip(NEXT) | instid1(VALU_DEP_3)
	v_dual_mov_b32 v17, 0 :: v_dual_bitop2_b32 v10, vcc_lo, v18 bitop3:0x14
	v_xor_b32_e32 v13, s3, v13
	s_delay_alu instid0(VALU_DEP_4)
	v_and_b32_e32 v7, 0x1ffffffc, v7
	v_mul_u32_u24_e32 v11, 0x44, v11
	v_mul_u32_u24_e32 v12, 36, v14
	ds_store_2addr_b32 v12, v17, v17 offset0:16 offset1:17
	ds_store_2addr_b32 v12, v17, v17 offset0:18 offset1:19
	;; [unrolled: 1-line block ×4, first 2 shown]
	v_bitop3_b32 v8, v8, v13, v10 bitop3:0x80
	v_add_nc_u32_e32 v13, v7, v11
	ds_store_b32 v12, v17 offset:96
	s_wait_dscnt 0x0
	s_barrier_signal -1
	v_mbcnt_lo_u32_b32 v10, v8, 0
	v_cmp_ne_u32_e64 s3, 0, v8
	s_barrier_wait -1
	s_delay_alu instid0(VALU_DEP_2) | instskip(SKIP_1) | instid1(SALU_CYCLE_1)
	v_cmp_eq_u32_e32 vcc_lo, 0, v10
	; wave barrier
	s_and_b32 s4, s3, vcc_lo
	s_and_saveexec_b32 s3, s4
; %bb.30:
	v_bcnt_u32_b32 v8, v8, 0
	ds_store_b32 v13, v8 offset:64
; %bb.31:
	s_or_b32 exec_lo, exec_lo, s3
	v_lshrrev_b32_e32 v6, 16, v6
	; wave barrier
	s_delay_alu instid0(VALU_DEP_1) | instskip(NEXT) | instid1(VALU_DEP_1)
	v_xor_b32_e32 v11, -1, v6
	v_and_b32_e32 v6, 0xffff, v11
	s_delay_alu instid0(VALU_DEP_1) | instskip(NEXT) | instid1(VALU_DEP_1)
	v_lshrrev_b32_e32 v6, s20, v6
	v_bitop3_b32 v8, v6, 1, s29 bitop3:0x80
	v_and_b32_e32 v17, s29, v6
	s_delay_alu instid0(VALU_DEP_2) | instskip(NEXT) | instid1(VALU_DEP_1)
	v_add_co_u32 v6, s3, v8, -1
	v_cndmask_b32_e64 v8, 0, 1, s3
	s_delay_alu instid0(VALU_DEP_3) | instskip(NEXT) | instid1(VALU_DEP_2)
	v_lshlrev_b32_e32 v18, 30, v17
	v_cmp_ne_u32_e32 vcc_lo, 0, v8
	s_delay_alu instid0(VALU_DEP_2) | instskip(SKIP_1) | instid1(VALU_DEP_2)
	v_not_b32_e32 v8, v18
	v_cmp_gt_i32_e64 s3, 0, v18
	v_dual_ashrrev_i32 v8, 31, v8 :: v_dual_lshlrev_b32 v19, 29, v17
	v_dual_lshlrev_b32 v20, 28, v17 :: v_dual_lshlrev_b32 v21, 27, v17
	v_dual_lshlrev_b32 v22, 26, v17 :: v_dual_lshlrev_b32 v23, 25, v17
	v_lshlrev_b32_e32 v24, 24, v17
	s_delay_alu instid0(VALU_DEP_4)
	v_cmp_gt_i32_e64 s4, 0, v19
	v_not_b32_e32 v18, v19
	v_not_b32_e32 v19, v20
	v_cmp_gt_i32_e64 s5, 0, v20
	v_cmp_gt_i32_e64 s6, 0, v21
	v_not_b32_e32 v20, v21
	v_not_b32_e32 v21, v22
	v_dual_ashrrev_i32 v19, 31, v19 :: v_dual_bitop2_b32 v6, vcc_lo, v6 bitop3:0x14
	v_dual_ashrrev_i32 v18, 31, v18 :: v_dual_bitop2_b32 v8, s3, v8 bitop3:0x14
	v_cmp_gt_i32_e64 s7, 0, v22
	v_cmp_gt_i32_e64 s8, 0, v23
	v_not_b32_e32 v22, v23
	v_not_b32_e32 v23, v24
	v_dual_ashrrev_i32 v20, 31, v20 :: v_dual_ashrrev_i32 v21, 31, v21
	v_xor_b32_e32 v18, s4, v18
	v_xor_b32_e32 v19, s5, v19
	v_bitop3_b32 v6, v6, v8, exec_lo bitop3:0x80
	v_cmp_gt_i32_e64 s9, 0, v24
	v_dual_ashrrev_i32 v8, 31, v22 :: v_dual_ashrrev_i32 v22, 31, v23
	v_xor_b32_e32 v20, s6, v20
	v_xor_b32_e32 v21, s7, v21
	v_bitop3_b32 v6, v6, v19, v18 bitop3:0x80
	v_mad_u32_u24 v18, 0x44, v17, v7
	v_xor_b32_e32 v8, s8, v8
	v_xor_b32_e32 v19, s9, v22
	s_delay_alu instid0(VALU_DEP_4) | instskip(SKIP_3) | instid1(VALU_DEP_2)
	v_bitop3_b32 v6, v6, v21, v20 bitop3:0x80
	ds_load_b32 v18, v18 offset:64
	; wave barrier
	v_bitop3_b32 v6, v6, v19, v8 bitop3:0x80
	v_mul_u32_u24_e32 v8, 0x44, v17
	v_mbcnt_lo_u32_b32 v19, v6, 0
	v_cmp_ne_u32_e64 s3, 0, v6
	s_delay_alu instid0(VALU_DEP_3) | instskip(NEXT) | instid1(VALU_DEP_3)
	v_add_nc_u32_e32 v20, v7, v8
	v_cmp_eq_u32_e32 vcc_lo, 0, v19
	s_and_b32 s4, s3, vcc_lo
	s_delay_alu instid0(SALU_CYCLE_1)
	s_and_saveexec_b32 s3, s4
	s_cbranch_execz .LBB2395_33
; %bb.32:
	s_wait_dscnt 0x0
	v_bcnt_u32_b32 v6, v6, v18
	ds_store_b32 v20, v6 offset:64
.LBB2395_33:
	s_or_b32 exec_lo, exec_lo, s3
	v_xor_b32_e32 v17, -1, v9
	; wave barrier
	s_delay_alu instid0(VALU_DEP_1) | instskip(NEXT) | instid1(VALU_DEP_1)
	v_and_b32_e32 v6, 0xffff, v17
	v_lshrrev_b32_e32 v6, s20, v6
	s_delay_alu instid0(VALU_DEP_1) | instskip(SKIP_1) | instid1(VALU_DEP_2)
	v_bitop3_b32 v8, v6, 1, s29 bitop3:0x80
	v_and_b32_e32 v21, s29, v6
	v_add_co_u32 v6, s3, v8, -1
	s_delay_alu instid0(VALU_DEP_1) | instskip(NEXT) | instid1(VALU_DEP_3)
	v_cndmask_b32_e64 v8, 0, 1, s3
	v_lshlrev_b32_e32 v22, 30, v21
	s_delay_alu instid0(VALU_DEP_2) | instskip(NEXT) | instid1(VALU_DEP_2)
	v_cmp_ne_u32_e32 vcc_lo, 0, v8
	v_not_b32_e32 v8, v22
	s_delay_alu instid0(VALU_DEP_1) | instskip(SKIP_4) | instid1(VALU_DEP_4)
	v_dual_ashrrev_i32 v8, 31, v8 :: v_dual_bitop2_b32 v6, vcc_lo, v6 bitop3:0x14
	v_dual_lshlrev_b32 v23, 29, v21 :: v_dual_lshlrev_b32 v24, 28, v21
	v_dual_lshlrev_b32 v25, 27, v21 :: v_dual_lshlrev_b32 v26, 26, v21
	v_lshlrev_b32_e32 v27, 25, v21
	v_cmp_gt_i32_e64 s3, 0, v22
	v_cmp_gt_i32_e64 s4, 0, v23
	v_not_b32_e32 v22, v23
	v_not_b32_e32 v23, v24
	v_lshlrev_b32_e32 v28, 24, v21
	v_cmp_gt_i32_e64 s5, 0, v24
	v_cmp_gt_i32_e64 s6, 0, v25
	v_not_b32_e32 v24, v25
	v_not_b32_e32 v25, v26
	v_dual_ashrrev_i32 v22, 31, v22 :: v_dual_ashrrev_i32 v23, 31, v23
	v_xor_b32_e32 v8, s3, v8
	v_cmp_gt_i32_e64 s7, 0, v26
	v_cmp_gt_i32_e64 s8, 0, v27
	v_not_b32_e32 v26, v27
	v_not_b32_e32 v27, v28
	v_dual_ashrrev_i32 v24, 31, v24 :: v_dual_bitop2_b32 v22, s4, v22 bitop3:0x14
	v_dual_ashrrev_i32 v25, 31, v25 :: v_dual_bitop2_b32 v23, s5, v23 bitop3:0x14
	v_bitop3_b32 v6, v6, v8, exec_lo bitop3:0x80
	v_cmp_gt_i32_e64 s9, 0, v28
	v_dual_ashrrev_i32 v8, 31, v26 :: v_dual_ashrrev_i32 v26, 31, v27
	v_xor_b32_e32 v24, s6, v24
	v_xor_b32_e32 v25, s7, v25
	v_bitop3_b32 v6, v6, v23, v22 bitop3:0x80
	v_mad_u32_u24 v22, 0x44, v21, v7
	v_xor_b32_e32 v8, s8, v8
	v_xor_b32_e32 v23, s9, v26
	s_delay_alu instid0(VALU_DEP_4) | instskip(SKIP_3) | instid1(VALU_DEP_2)
	v_bitop3_b32 v6, v6, v25, v24 bitop3:0x80
	ds_load_b32 v22, v22 offset:64
	; wave barrier
	v_bitop3_b32 v6, v6, v23, v8 bitop3:0x80
	v_mul_u32_u24_e32 v8, 0x44, v21
	v_mbcnt_lo_u32_b32 v23, v6, 0
	v_cmp_ne_u32_e64 s3, 0, v6
	s_delay_alu instid0(VALU_DEP_3) | instskip(NEXT) | instid1(VALU_DEP_3)
	v_add_nc_u32_e32 v24, v7, v8
	v_cmp_eq_u32_e32 vcc_lo, 0, v23
	s_and_b32 s4, s3, vcc_lo
	s_delay_alu instid0(SALU_CYCLE_1)
	s_and_saveexec_b32 s3, s4
	s_cbranch_execz .LBB2395_35
; %bb.34:
	s_wait_dscnt 0x0
	v_bcnt_u32_b32 v6, v6, v22
	ds_store_b32 v24, v6 offset:64
.LBB2395_35:
	s_or_b32 exec_lo, exec_lo, s3
	v_lshrrev_b32_e32 v6, 16, v9
	; wave barrier
	s_delay_alu instid0(VALU_DEP_1) | instskip(NEXT) | instid1(VALU_DEP_1)
	v_xor_b32_e32 v21, -1, v6
	v_and_b32_e32 v6, 0xffff, v21
	s_delay_alu instid0(VALU_DEP_1) | instskip(NEXT) | instid1(VALU_DEP_1)
	v_lshrrev_b32_e32 v6, s20, v6
	v_bitop3_b32 v8, v6, 1, s29 bitop3:0x80
	v_and_b32_e32 v9, s29, v6
	s_delay_alu instid0(VALU_DEP_2) | instskip(NEXT) | instid1(VALU_DEP_1)
	v_add_co_u32 v6, s3, v8, -1
	v_cndmask_b32_e64 v8, 0, 1, s3
	s_delay_alu instid0(VALU_DEP_3) | instskip(NEXT) | instid1(VALU_DEP_2)
	v_lshlrev_b32_e32 v25, 30, v9
	v_cmp_ne_u32_e32 vcc_lo, 0, v8
	s_delay_alu instid0(VALU_DEP_2) | instskip(SKIP_1) | instid1(VALU_DEP_2)
	v_not_b32_e32 v8, v25
	v_cmp_gt_i32_e64 s3, 0, v25
	v_dual_ashrrev_i32 v8, 31, v8 :: v_dual_lshlrev_b32 v26, 29, v9
	v_dual_lshlrev_b32 v27, 28, v9 :: v_dual_lshlrev_b32 v28, 27, v9
	v_dual_lshlrev_b32 v29, 26, v9 :: v_dual_lshlrev_b32 v30, 25, v9
	v_lshlrev_b32_e32 v31, 24, v9
	s_delay_alu instid0(VALU_DEP_4)
	v_cmp_gt_i32_e64 s4, 0, v26
	v_not_b32_e32 v25, v26
	v_not_b32_e32 v26, v27
	v_cmp_gt_i32_e64 s5, 0, v27
	v_cmp_gt_i32_e64 s6, 0, v28
	v_not_b32_e32 v27, v28
	v_not_b32_e32 v28, v29
	v_dual_ashrrev_i32 v25, 31, v25 :: v_dual_bitop2_b32 v6, vcc_lo, v6 bitop3:0x14
	v_dual_ashrrev_i32 v26, 31, v26 :: v_dual_bitop2_b32 v8, s3, v8 bitop3:0x14
	v_cmp_gt_i32_e64 s7, 0, v29
	v_cmp_gt_i32_e64 s8, 0, v30
	v_not_b32_e32 v29, v30
	v_not_b32_e32 v30, v31
	v_dual_ashrrev_i32 v27, 31, v27 :: v_dual_ashrrev_i32 v28, 31, v28
	v_xor_b32_e32 v25, s4, v25
	v_xor_b32_e32 v26, s5, v26
	v_bitop3_b32 v6, v6, v8, exec_lo bitop3:0x80
	v_cmp_gt_i32_e64 s9, 0, v31
	v_dual_ashrrev_i32 v8, 31, v29 :: v_dual_ashrrev_i32 v29, 31, v30
	v_xor_b32_e32 v27, s6, v27
	v_xor_b32_e32 v28, s7, v28
	v_bitop3_b32 v6, v6, v26, v25 bitop3:0x80
	v_mad_u32_u24 v25, 0x44, v9, v7
	v_xor_b32_e32 v8, s8, v8
	v_xor_b32_e32 v29, s9, v29
	s_delay_alu instid0(VALU_DEP_4) | instskip(SKIP_3) | instid1(VALU_DEP_2)
	v_bitop3_b32 v6, v6, v28, v27 bitop3:0x80
	ds_load_b32 v26, v25 offset:64
	; wave barrier
	v_bitop3_b32 v6, v6, v29, v8 bitop3:0x80
	v_mul_u32_u24_e32 v8, 0x44, v9
	v_mbcnt_lo_u32_b32 v27, v6, 0
	v_cmp_ne_u32_e64 s3, 0, v6
	s_delay_alu instid0(VALU_DEP_3) | instskip(NEXT) | instid1(VALU_DEP_3)
	v_add_nc_u32_e32 v28, v7, v8
	v_cmp_eq_u32_e32 vcc_lo, 0, v27
	s_and_b32 s4, s3, vcc_lo
	s_delay_alu instid0(SALU_CYCLE_1)
	s_and_saveexec_b32 s3, s4
	s_cbranch_execz .LBB2395_37
; %bb.36:
	s_wait_dscnt 0x0
	v_bcnt_u32_b32 v6, v6, v26
	ds_store_b32 v28, v6 offset:64
.LBB2395_37:
	s_or_b32 exec_lo, exec_lo, s3
	v_xor_b32_e32 v25, -1, v2
	; wave barrier
	s_delay_alu instid0(VALU_DEP_1) | instskip(NEXT) | instid1(VALU_DEP_1)
	v_and_b32_e32 v6, 0xffff, v25
	v_lshrrev_b32_e32 v6, s20, v6
	s_delay_alu instid0(VALU_DEP_1) | instskip(NEXT) | instid1(VALU_DEP_1)
	v_and_b32_e32 v9, s29, v6
	v_lshlrev_b32_e32 v30, 29, v9
	v_bitop3_b32 v8, v6, 1, s29 bitop3:0x80
	v_lshlrev_b32_e32 v29, 30, v9
	s_delay_alu instid0(VALU_DEP_3) | instskip(NEXT) | instid1(VALU_DEP_3)
	v_cmp_gt_i32_e64 s4, 0, v30
	v_add_co_u32 v6, s3, v8, -1
	s_delay_alu instid0(VALU_DEP_1) | instskip(NEXT) | instid1(VALU_DEP_4)
	v_cndmask_b32_e64 v8, 0, 1, s3
	v_cmp_gt_i32_e64 s3, 0, v29
	s_delay_alu instid0(VALU_DEP_2) | instskip(SKIP_2) | instid1(VALU_DEP_2)
	v_cmp_ne_u32_e32 vcc_lo, 0, v8
	v_not_b32_e32 v8, v29
	v_not_b32_e32 v29, v30
	v_dual_ashrrev_i32 v8, 31, v8 :: v_dual_bitop2_b32 v6, vcc_lo, v6 bitop3:0x14
	v_dual_lshlrev_b32 v31, 28, v9 :: v_dual_lshlrev_b32 v32, 27, v9
	v_dual_lshlrev_b32 v33, 26, v9 :: v_dual_lshlrev_b32 v34, 25, v9
	v_lshlrev_b32_e32 v35, 24, v9
	s_delay_alu instid0(VALU_DEP_3)
	v_not_b32_e32 v30, v31
	v_cmp_gt_i32_e64 s5, 0, v31
	v_cmp_gt_i32_e64 s6, 0, v32
	v_not_b32_e32 v31, v32
	v_not_b32_e32 v32, v33
	v_dual_ashrrev_i32 v29, 31, v29 :: v_dual_ashrrev_i32 v30, 31, v30
	s_delay_alu instid0(VALU_DEP_3)
	v_dual_ashrrev_i32 v31, 31, v31 :: v_dual_bitop2_b32 v8, s3, v8 bitop3:0x14
	v_cmp_gt_i32_e64 s7, 0, v33
	v_cmp_gt_i32_e64 s8, 0, v34
	v_not_b32_e32 v33, v34
	v_not_b32_e32 v34, v35
	v_dual_ashrrev_i32 v32, 31, v32 :: v_dual_bitop2_b32 v29, s4, v29 bitop3:0x14
	v_xor_b32_e32 v30, s5, v30
	v_bitop3_b32 v6, v6, v8, exec_lo bitop3:0x80
	v_cmp_gt_i32_e64 s9, 0, v35
	v_dual_ashrrev_i32 v8, 31, v33 :: v_dual_ashrrev_i32 v33, 31, v34
	v_xor_b32_e32 v31, s6, v31
	v_xor_b32_e32 v32, s7, v32
	v_bitop3_b32 v6, v6, v30, v29 bitop3:0x80
	v_mad_u32_u24 v29, 0x44, v9, v7
	v_xor_b32_e32 v8, s8, v8
	v_xor_b32_e32 v30, s9, v33
	s_delay_alu instid0(VALU_DEP_4) | instskip(SKIP_3) | instid1(VALU_DEP_2)
	v_bitop3_b32 v6, v6, v32, v31 bitop3:0x80
	ds_load_b32 v29, v29 offset:64
	; wave barrier
	v_bitop3_b32 v6, v6, v30, v8 bitop3:0x80
	v_mul_u32_u24_e32 v8, 0x44, v9
	v_mbcnt_lo_u32_b32 v31, v6, 0
	v_cmp_ne_u32_e64 s3, 0, v6
	s_delay_alu instid0(VALU_DEP_3) | instskip(NEXT) | instid1(VALU_DEP_3)
	v_add_nc_u32_e32 v32, v7, v8
	v_cmp_eq_u32_e32 vcc_lo, 0, v31
	s_and_b32 s4, s3, vcc_lo
	s_delay_alu instid0(SALU_CYCLE_1)
	s_and_saveexec_b32 s3, s4
	s_cbranch_execz .LBB2395_39
; %bb.38:
	s_wait_dscnt 0x0
	v_bcnt_u32_b32 v6, v6, v29
	ds_store_b32 v32, v6 offset:64
.LBB2395_39:
	s_or_b32 exec_lo, exec_lo, s3
	v_lshrrev_b32_e32 v2, 16, v2
	; wave barrier
	s_delay_alu instid0(VALU_DEP_1) | instskip(NEXT) | instid1(VALU_DEP_1)
	v_xor_b32_e32 v30, -1, v2
	v_and_b32_e32 v2, 0xffff, v30
	s_delay_alu instid0(VALU_DEP_1) | instskip(NEXT) | instid1(VALU_DEP_1)
	v_lshrrev_b32_e32 v2, s20, v2
	v_bitop3_b32 v6, v2, 1, s29 bitop3:0x80
	v_and_b32_e32 v8, s29, v2
	s_delay_alu instid0(VALU_DEP_2) | instskip(NEXT) | instid1(VALU_DEP_1)
	v_add_co_u32 v2, s3, v6, -1
	v_cndmask_b32_e64 v6, 0, 1, s3
	s_delay_alu instid0(VALU_DEP_3) | instskip(NEXT) | instid1(VALU_DEP_2)
	v_dual_lshlrev_b32 v9, 30, v8 :: v_dual_lshlrev_b32 v33, 29, v8
	v_cmp_ne_u32_e32 vcc_lo, 0, v6
	s_delay_alu instid0(VALU_DEP_2) | instskip(SKIP_1) | instid1(VALU_DEP_4)
	v_cmp_gt_i32_e64 s3, 0, v9
	v_not_b32_e32 v6, v9
	v_not_b32_e32 v9, v33
	s_delay_alu instid0(VALU_DEP_1) | instskip(SKIP_3) | instid1(VALU_DEP_4)
	v_dual_ashrrev_i32 v9, 31, v9 :: v_dual_lshlrev_b32 v34, 28, v8
	v_dual_lshlrev_b32 v35, 27, v8 :: v_dual_lshlrev_b32 v36, 26, v8
	v_dual_lshlrev_b32 v37, 25, v8 :: v_dual_lshlrev_b32 v38, 24, v8
	v_cmp_gt_i32_e64 s4, 0, v33
	v_not_b32_e32 v33, v34
	v_ashrrev_i32_e32 v6, 31, v6
	v_cmp_gt_i32_e64 s5, 0, v34
	v_cmp_gt_i32_e64 s6, 0, v35
	v_not_b32_e32 v34, v35
	v_cmp_gt_i32_e64 s7, 0, v36
	v_not_b32_e32 v35, v36
	;; [unrolled: 2-line block ×3, first 2 shown]
	v_not_b32_e32 v37, v38
	s_delay_alu instid0(VALU_DEP_4) | instskip(SKIP_3) | instid1(VALU_DEP_3)
	v_dual_ashrrev_i32 v35, 31, v35 :: v_dual_bitop2_b32 v2, vcc_lo, v2 bitop3:0x14
	v_dual_ashrrev_i32 v33, 31, v33 :: v_dual_bitop2_b32 v6, s3, v6 bitop3:0x14
	v_dual_ashrrev_i32 v34, 31, v34 :: v_dual_bitop2_b32 v9, s4, v9 bitop3:0x14
	v_cmp_gt_i32_e64 s9, 0, v38
	v_xor_b32_e32 v33, s5, v33
	s_delay_alu instid0(VALU_DEP_4) | instskip(SKIP_3) | instid1(VALU_DEP_4)
	v_bitop3_b32 v2, v2, v6, exec_lo bitop3:0x80
	v_dual_ashrrev_i32 v6, 31, v36 :: v_dual_ashrrev_i32 v36, 31, v37
	v_xor_b32_e32 v34, s6, v34
	v_xor_b32_e32 v35, s7, v35
	v_bitop3_b32 v2, v2, v33, v9 bitop3:0x80
	v_mad_u32_u24 v9, 0x44, v8, v7
	v_xor_b32_e32 v6, s8, v6
	v_xor_b32_e32 v36, s9, v36
	s_delay_alu instid0(VALU_DEP_4) | instskip(SKIP_3) | instid1(VALU_DEP_2)
	v_bitop3_b32 v2, v2, v35, v34 bitop3:0x80
	ds_load_b32 v33, v9 offset:64
	; wave barrier
	v_bitop3_b32 v2, v2, v36, v6 bitop3:0x80
	v_mul_u32_u24_e32 v6, 0x44, v8
	v_mbcnt_lo_u32_b32 v34, v2, 0
	v_cmp_ne_u32_e64 s3, 0, v2
	s_delay_alu instid0(VALU_DEP_3) | instskip(NEXT) | instid1(VALU_DEP_3)
	v_add_nc_u32_e32 v37, v7, v6
	v_cmp_eq_u32_e32 vcc_lo, 0, v34
	s_and_b32 s4, s3, vcc_lo
	s_delay_alu instid0(SALU_CYCLE_1)
	s_and_saveexec_b32 s3, s4
	s_cbranch_execz .LBB2395_41
; %bb.40:
	s_wait_dscnt 0x0
	v_bcnt_u32_b32 v2, v2, v33
	ds_store_b32 v37, v2 offset:64
.LBB2395_41:
	s_or_b32 exec_lo, exec_lo, s3
	v_xor_b32_e32 v35, -1, v3
	; wave barrier
	s_delay_alu instid0(VALU_DEP_1) | instskip(NEXT) | instid1(VALU_DEP_1)
	v_and_b32_e32 v2, 0xffff, v35
	v_lshrrev_b32_e32 v2, s20, v2
	s_delay_alu instid0(VALU_DEP_1) | instskip(SKIP_1) | instid1(VALU_DEP_2)
	v_bitop3_b32 v6, v2, 1, s29 bitop3:0x80
	v_and_b32_e32 v8, s29, v2
	v_add_co_u32 v2, s3, v6, -1
	s_delay_alu instid0(VALU_DEP_1) | instskip(NEXT) | instid1(VALU_DEP_3)
	v_cndmask_b32_e64 v6, 0, 1, s3
	v_dual_lshlrev_b32 v9, 30, v8 :: v_dual_lshlrev_b32 v36, 29, v8
	s_delay_alu instid0(VALU_DEP_2) | instskip(NEXT) | instid1(VALU_DEP_2)
	v_cmp_ne_u32_e32 vcc_lo, 0, v6
	v_cmp_gt_i32_e64 s3, 0, v9
	v_not_b32_e32 v6, v9
	s_delay_alu instid0(VALU_DEP_4) | instskip(SKIP_1) | instid1(VALU_DEP_2)
	v_not_b32_e32 v9, v36
	v_cmp_gt_i32_e64 s4, 0, v36
	v_dual_ashrrev_i32 v6, 31, v6 :: v_dual_ashrrev_i32 v9, 31, v9
	v_dual_lshlrev_b32 v38, 28, v8 :: v_dual_lshlrev_b32 v39, 27, v8
	v_dual_lshlrev_b32 v40, 26, v8 :: v_dual_lshlrev_b32 v41, 25, v8
	v_lshlrev_b32_e32 v42, 24, v8
	s_delay_alu instid0(VALU_DEP_3)
	v_not_b32_e32 v36, v38
	v_cmp_gt_i32_e64 s5, 0, v38
	v_cmp_gt_i32_e64 s6, 0, v39
	v_not_b32_e32 v38, v39
	v_not_b32_e32 v39, v40
	v_dual_ashrrev_i32 v36, 31, v36 :: v_dual_bitop2_b32 v2, vcc_lo, v2 bitop3:0x14
	v_xor_b32_e32 v6, s3, v6
	v_cmp_gt_i32_e64 s7, 0, v40
	v_cmp_gt_i32_e64 s8, 0, v41
	v_not_b32_e32 v40, v41
	v_not_b32_e32 v41, v42
	v_dual_ashrrev_i32 v38, 31, v38 :: v_dual_bitop2_b32 v9, s4, v9 bitop3:0x14
	v_dual_ashrrev_i32 v39, 31, v39 :: v_dual_bitop2_b32 v36, s5, v36 bitop3:0x14
	v_bitop3_b32 v2, v2, v6, exec_lo bitop3:0x80
	v_cmp_gt_i32_e64 s9, 0, v42
	s_delay_alu instid0(VALU_DEP_4) | instskip(NEXT) | instid1(VALU_DEP_4)
	v_dual_ashrrev_i32 v6, 31, v40 :: v_dual_bitop2_b32 v38, s6, v38 bitop3:0x14
	v_dual_ashrrev_i32 v40, 31, v41 :: v_dual_bitop2_b32 v39, s7, v39 bitop3:0x14
	s_delay_alu instid0(VALU_DEP_4) | instskip(SKIP_1) | instid1(VALU_DEP_4)
	v_bitop3_b32 v2, v2, v36, v9 bitop3:0x80
	v_mad_u32_u24 v9, 0x44, v8, v7
	v_xor_b32_e32 v6, s8, v6
	s_delay_alu instid0(VALU_DEP_4) | instskip(NEXT) | instid1(VALU_DEP_4)
	v_xor_b32_e32 v36, s9, v40
	v_bitop3_b32 v2, v2, v39, v38 bitop3:0x80
	ds_load_b32 v38, v9 offset:64
	; wave barrier
	v_bitop3_b32 v2, v2, v36, v6 bitop3:0x80
	v_mul_u32_u24_e32 v6, 0x44, v8
	s_delay_alu instid0(VALU_DEP_2) | instskip(SKIP_1) | instid1(VALU_DEP_3)
	v_mbcnt_lo_u32_b32 v39, v2, 0
	v_cmp_ne_u32_e64 s3, 0, v2
	v_add_nc_u32_e32 v42, v7, v6
	s_delay_alu instid0(VALU_DEP_3) | instskip(SKIP_1) | instid1(SALU_CYCLE_1)
	v_cmp_eq_u32_e32 vcc_lo, 0, v39
	s_and_b32 s4, s3, vcc_lo
	s_and_saveexec_b32 s3, s4
	s_cbranch_execz .LBB2395_43
; %bb.42:
	s_wait_dscnt 0x0
	v_bcnt_u32_b32 v2, v2, v38
	ds_store_b32 v42, v2 offset:64
.LBB2395_43:
	s_or_b32 exec_lo, exec_lo, s3
	v_lshrrev_b32_e32 v2, 16, v3
	; wave barrier
	s_delay_alu instid0(VALU_DEP_1) | instskip(NEXT) | instid1(VALU_DEP_1)
	v_xor_b32_e32 v36, -1, v2
	v_and_b32_e32 v2, 0xffff, v36
	s_delay_alu instid0(VALU_DEP_1) | instskip(NEXT) | instid1(VALU_DEP_1)
	v_lshrrev_b32_e32 v2, s20, v2
	v_bitop3_b32 v3, v2, 1, s29 bitop3:0x80
	v_and_b32_e32 v6, s29, v2
	s_delay_alu instid0(VALU_DEP_2) | instskip(NEXT) | instid1(VALU_DEP_1)
	v_add_co_u32 v2, s3, v3, -1
	v_cndmask_b32_e64 v3, 0, 1, s3
	s_delay_alu instid0(VALU_DEP_3) | instskip(NEXT) | instid1(VALU_DEP_2)
	v_lshlrev_b32_e32 v8, 30, v6
	v_cmp_ne_u32_e32 vcc_lo, 0, v3
	s_delay_alu instid0(VALU_DEP_2) | instskip(SKIP_1) | instid1(VALU_DEP_2)
	v_not_b32_e32 v3, v8
	v_cmp_gt_i32_e64 s3, 0, v8
	v_dual_ashrrev_i32 v3, 31, v3 :: v_dual_lshlrev_b32 v9, 29, v6
	v_dual_lshlrev_b32 v40, 28, v6 :: v_dual_lshlrev_b32 v41, 27, v6
	v_dual_lshlrev_b32 v43, 26, v6 :: v_dual_lshlrev_b32 v44, 25, v6
	v_lshlrev_b32_e32 v45, 24, v6
	s_delay_alu instid0(VALU_DEP_4)
	v_cmp_gt_i32_e64 s4, 0, v9
	v_not_b32_e32 v8, v9
	v_not_b32_e32 v9, v40
	v_cmp_gt_i32_e64 s5, 0, v40
	v_cmp_gt_i32_e64 s6, 0, v41
	v_not_b32_e32 v40, v41
	v_not_b32_e32 v41, v43
	v_dual_ashrrev_i32 v8, 31, v8 :: v_dual_bitop2_b32 v2, vcc_lo, v2 bitop3:0x14
	v_dual_ashrrev_i32 v9, 31, v9 :: v_dual_bitop2_b32 v3, s3, v3 bitop3:0x14
	v_cmp_gt_i32_e64 s7, 0, v43
	v_cmp_gt_i32_e64 s8, 0, v44
	v_not_b32_e32 v43, v44
	v_not_b32_e32 v44, v45
	v_dual_ashrrev_i32 v40, 31, v40 :: v_dual_ashrrev_i32 v41, 31, v41
	v_xor_b32_e32 v8, s4, v8
	v_xor_b32_e32 v9, s5, v9
	v_bitop3_b32 v2, v2, v3, exec_lo bitop3:0x80
	v_cmp_gt_i32_e64 s9, 0, v45
	v_dual_ashrrev_i32 v3, 31, v43 :: v_dual_ashrrev_i32 v43, 31, v44
	v_xor_b32_e32 v40, s6, v40
	v_xor_b32_e32 v41, s7, v41
	v_bitop3_b32 v2, v2, v9, v8 bitop3:0x80
	v_mad_u32_u24 v8, 0x44, v6, v7
	v_xor_b32_e32 v3, s8, v3
	v_xor_b32_e32 v9, s9, v43
	s_delay_alu instid0(VALU_DEP_4) | instskip(SKIP_3) | instid1(VALU_DEP_2)
	v_bitop3_b32 v2, v2, v41, v40 bitop3:0x80
	ds_load_b32 v41, v8 offset:64
	; wave barrier
	v_bitop3_b32 v2, v2, v9, v3 bitop3:0x80
	v_mul_u32_u24_e32 v3, 0x44, v6
	v_mbcnt_lo_u32_b32 v43, v2, 0
	v_cmp_ne_u32_e64 s3, 0, v2
	s_delay_alu instid0(VALU_DEP_3) | instskip(NEXT) | instid1(VALU_DEP_3)
	v_add_nc_u32_e32 v47, v7, v3
	v_cmp_eq_u32_e32 vcc_lo, 0, v43
	s_and_b32 s4, s3, vcc_lo
	s_delay_alu instid0(SALU_CYCLE_1)
	s_and_saveexec_b32 s3, s4
	s_cbranch_execz .LBB2395_45
; %bb.44:
	s_wait_dscnt 0x0
	v_bcnt_u32_b32 v2, v2, v41
	ds_store_b32 v47, v2 offset:64
.LBB2395_45:
	s_or_b32 exec_lo, exec_lo, s3
	v_xor_b32_e32 v40, -1, v4
	; wave barrier
	s_delay_alu instid0(VALU_DEP_1) | instskip(NEXT) | instid1(VALU_DEP_1)
	v_and_b32_e32 v2, 0xffff, v40
	v_lshrrev_b32_e32 v2, s20, v2
	s_delay_alu instid0(VALU_DEP_1) | instskip(SKIP_1) | instid1(VALU_DEP_2)
	v_bitop3_b32 v3, v2, 1, s29 bitop3:0x80
	v_and_b32_e32 v6, s29, v2
	v_add_co_u32 v2, s3, v3, -1
	s_delay_alu instid0(VALU_DEP_1) | instskip(NEXT) | instid1(VALU_DEP_3)
	v_cndmask_b32_e64 v3, 0, 1, s3
	v_lshlrev_b32_e32 v8, 30, v6
	s_delay_alu instid0(VALU_DEP_2) | instskip(NEXT) | instid1(VALU_DEP_2)
	v_cmp_ne_u32_e32 vcc_lo, 0, v3
	v_not_b32_e32 v3, v8
	s_delay_alu instid0(VALU_DEP_1) | instskip(SKIP_3) | instid1(VALU_DEP_4)
	v_dual_ashrrev_i32 v3, 31, v3 :: v_dual_lshlrev_b32 v9, 29, v6
	v_dual_lshlrev_b32 v44, 28, v6 :: v_dual_lshlrev_b32 v45, 27, v6
	v_dual_lshlrev_b32 v46, 26, v6 :: v_dual_lshlrev_b32 v48, 25, v6
	v_cmp_gt_i32_e64 s3, 0, v8
	v_cmp_gt_i32_e64 s4, 0, v9
	v_not_b32_e32 v8, v9
	v_not_b32_e32 v9, v44
	v_lshlrev_b32_e32 v49, 24, v6
	v_cmp_gt_i32_e64 s5, 0, v44
	v_cmp_gt_i32_e64 s6, 0, v45
	v_not_b32_e32 v44, v45
	v_not_b32_e32 v45, v46
	v_dual_ashrrev_i32 v9, 31, v9 :: v_dual_bitop2_b32 v2, vcc_lo, v2 bitop3:0x14
	v_dual_ashrrev_i32 v8, 31, v8 :: v_dual_bitop2_b32 v3, s3, v3 bitop3:0x14
	s_delay_alu instid0(VALU_DEP_4)
	v_ashrrev_i32_e32 v44, 31, v44
	v_cmp_gt_i32_e64 s7, 0, v46
	v_cmp_gt_i32_e64 s8, 0, v48
	v_not_b32_e32 v46, v48
	v_not_b32_e32 v48, v49
	v_dual_ashrrev_i32 v45, 31, v45 :: v_dual_bitop2_b32 v8, s4, v8 bitop3:0x14
	v_xor_b32_e32 v9, s5, v9
	v_bitop3_b32 v2, v2, v3, exec_lo bitop3:0x80
	v_cmp_gt_i32_e64 s9, 0, v49
	v_dual_ashrrev_i32 v3, 31, v46 :: v_dual_ashrrev_i32 v46, 31, v48
	v_xor_b32_e32 v45, s7, v45
	v_xor_b32_e32 v44, s6, v44
	v_bitop3_b32 v2, v2, v9, v8 bitop3:0x80
	v_mad_u32_u24 v8, 0x44, v6, v7
	v_xor_b32_e32 v3, s8, v3
	v_xor_b32_e32 v9, s9, v46
	s_delay_alu instid0(VALU_DEP_4) | instskip(SKIP_3) | instid1(VALU_DEP_2)
	v_bitop3_b32 v2, v2, v45, v44 bitop3:0x80
	ds_load_b32 v44, v8 offset:64
	; wave barrier
	v_bitop3_b32 v2, v2, v9, v3 bitop3:0x80
	v_mul_u32_u24_e32 v3, 0x44, v6
	v_mbcnt_lo_u32_b32 v46, v2, 0
	v_cmp_ne_u32_e64 s3, 0, v2
	s_delay_alu instid0(VALU_DEP_3) | instskip(NEXT) | instid1(VALU_DEP_3)
	v_add_nc_u32_e32 v51, v7, v3
	v_cmp_eq_u32_e32 vcc_lo, 0, v46
	s_and_b32 s4, s3, vcc_lo
	s_delay_alu instid0(SALU_CYCLE_1)
	s_and_saveexec_b32 s3, s4
	s_cbranch_execz .LBB2395_47
; %bb.46:
	s_wait_dscnt 0x0
	v_bcnt_u32_b32 v2, v2, v44
	ds_store_b32 v51, v2 offset:64
.LBB2395_47:
	s_or_b32 exec_lo, exec_lo, s3
	v_lshrrev_b32_e32 v2, 16, v4
	; wave barrier
	s_delay_alu instid0(VALU_DEP_1) | instskip(NEXT) | instid1(VALU_DEP_1)
	v_xor_b32_e32 v45, -1, v2
	v_and_b32_e32 v2, 0xffff, v45
	s_delay_alu instid0(VALU_DEP_1) | instskip(NEXT) | instid1(VALU_DEP_1)
	v_lshrrev_b32_e32 v2, s20, v2
	v_bitop3_b32 v3, v2, 1, s29 bitop3:0x80
	v_and_b32_e32 v4, s29, v2
	s_delay_alu instid0(VALU_DEP_2) | instskip(NEXT) | instid1(VALU_DEP_1)
	v_add_co_u32 v2, s3, v3, -1
	v_cndmask_b32_e64 v3, 0, 1, s3
	s_delay_alu instid0(VALU_DEP_3) | instskip(NEXT) | instid1(VALU_DEP_2)
	v_lshlrev_b32_e32 v6, 30, v4
	v_cmp_ne_u32_e32 vcc_lo, 0, v3
	s_delay_alu instid0(VALU_DEP_2) | instskip(SKIP_1) | instid1(VALU_DEP_2)
	v_not_b32_e32 v3, v6
	v_cmp_gt_i32_e64 s3, 0, v6
	v_dual_ashrrev_i32 v3, 31, v3 :: v_dual_lshlrev_b32 v8, 29, v4
	v_dual_lshlrev_b32 v9, 28, v4 :: v_dual_lshlrev_b32 v48, 27, v4
	v_dual_lshlrev_b32 v49, 26, v4 :: v_dual_lshlrev_b32 v50, 25, v4
	v_lshlrev_b32_e32 v52, 24, v4
	s_delay_alu instid0(VALU_DEP_4)
	v_cmp_gt_i32_e64 s4, 0, v8
	v_not_b32_e32 v6, v8
	v_not_b32_e32 v8, v9
	v_cmp_gt_i32_e64 s5, 0, v9
	v_cmp_gt_i32_e64 s6, 0, v48
	v_not_b32_e32 v9, v48
	v_not_b32_e32 v48, v49
	v_dual_ashrrev_i32 v8, 31, v8 :: v_dual_bitop2_b32 v2, vcc_lo, v2 bitop3:0x14
	v_dual_ashrrev_i32 v6, 31, v6 :: v_dual_bitop2_b32 v3, s3, v3 bitop3:0x14
	v_cmp_gt_i32_e64 s7, 0, v49
	v_cmp_gt_i32_e64 s8, 0, v50
	v_not_b32_e32 v49, v50
	v_not_b32_e32 v50, v52
	v_dual_ashrrev_i32 v9, 31, v9 :: v_dual_ashrrev_i32 v48, 31, v48
	v_xor_b32_e32 v6, s4, v6
	v_xor_b32_e32 v8, s5, v8
	v_bitop3_b32 v2, v2, v3, exec_lo bitop3:0x80
	v_cmp_gt_i32_e64 s9, 0, v52
	v_dual_ashrrev_i32 v3, 31, v49 :: v_dual_ashrrev_i32 v49, 31, v50
	v_xor_b32_e32 v9, s6, v9
	v_xor_b32_e32 v48, s7, v48
	v_bitop3_b32 v2, v2, v8, v6 bitop3:0x80
	v_mad_u32_u24 v6, 0x44, v4, v7
	v_xor_b32_e32 v3, s8, v3
	v_xor_b32_e32 v8, s9, v49
	s_delay_alu instid0(VALU_DEP_4) | instskip(SKIP_3) | instid1(VALU_DEP_2)
	v_bitop3_b32 v2, v2, v48, v9 bitop3:0x80
	ds_load_b32 v48, v6 offset:64
	; wave barrier
	v_bitop3_b32 v2, v2, v8, v3 bitop3:0x80
	v_mul_u32_u24_e32 v3, 0x44, v4
	v_mbcnt_lo_u32_b32 v50, v2, 0
	v_cmp_ne_u32_e64 s3, 0, v2
	s_delay_alu instid0(VALU_DEP_3) | instskip(NEXT) | instid1(VALU_DEP_3)
	v_add_nc_u32_e32 v55, v7, v3
	v_cmp_eq_u32_e32 vcc_lo, 0, v50
	s_and_b32 s4, s3, vcc_lo
	s_delay_alu instid0(SALU_CYCLE_1)
	s_and_saveexec_b32 s3, s4
	s_cbranch_execz .LBB2395_49
; %bb.48:
	s_wait_dscnt 0x0
	v_bcnt_u32_b32 v2, v2, v48
	ds_store_b32 v55, v2 offset:64
.LBB2395_49:
	s_or_b32 exec_lo, exec_lo, s3
	v_xor_b32_e32 v49, -1, v5
	; wave barrier
	s_delay_alu instid0(VALU_DEP_1) | instskip(NEXT) | instid1(VALU_DEP_1)
	v_and_b32_e32 v2, 0xffff, v49
	v_lshrrev_b32_e32 v2, s20, v2
	s_delay_alu instid0(VALU_DEP_1) | instskip(SKIP_1) | instid1(VALU_DEP_2)
	v_bitop3_b32 v3, v2, 1, s29 bitop3:0x80
	v_and_b32_e32 v4, s29, v2
	v_add_co_u32 v2, s3, v3, -1
	s_delay_alu instid0(VALU_DEP_1) | instskip(NEXT) | instid1(VALU_DEP_3)
	v_cndmask_b32_e64 v3, 0, 1, s3
	v_lshlrev_b32_e32 v6, 30, v4
	s_delay_alu instid0(VALU_DEP_2) | instskip(NEXT) | instid1(VALU_DEP_2)
	v_cmp_ne_u32_e32 vcc_lo, 0, v3
	v_not_b32_e32 v3, v6
	s_delay_alu instid0(VALU_DEP_1) | instskip(SKIP_4) | instid1(VALU_DEP_4)
	v_dual_ashrrev_i32 v3, 31, v3 :: v_dual_bitop2_b32 v2, vcc_lo, v2 bitop3:0x14
	v_dual_lshlrev_b32 v8, 29, v4 :: v_dual_lshlrev_b32 v9, 28, v4
	v_dual_lshlrev_b32 v52, 27, v4 :: v_dual_lshlrev_b32 v53, 26, v4
	v_lshlrev_b32_e32 v54, 25, v4
	v_cmp_gt_i32_e64 s3, 0, v6
	v_cmp_gt_i32_e64 s4, 0, v8
	v_not_b32_e32 v6, v8
	v_not_b32_e32 v8, v9
	v_lshlrev_b32_e32 v56, 24, v4
	v_cmp_gt_i32_e64 s5, 0, v9
	v_cmp_gt_i32_e64 s6, 0, v52
	v_not_b32_e32 v9, v52
	v_not_b32_e32 v52, v53
	v_dual_ashrrev_i32 v6, 31, v6 :: v_dual_ashrrev_i32 v8, 31, v8
	s_delay_alu instid0(VALU_DEP_3)
	v_dual_ashrrev_i32 v9, 31, v9 :: v_dual_bitop2_b32 v3, s3, v3 bitop3:0x14
	v_cmp_gt_i32_e64 s7, 0, v53
	v_cmp_gt_i32_e64 s8, 0, v54
	v_not_b32_e32 v53, v54
	v_not_b32_e32 v54, v56
	v_dual_ashrrev_i32 v52, 31, v52 :: v_dual_bitop2_b32 v6, s4, v6 bitop3:0x14
	v_xor_b32_e32 v8, s5, v8
	v_bitop3_b32 v2, v2, v3, exec_lo bitop3:0x80
	v_cmp_gt_i32_e64 s9, 0, v56
	v_dual_ashrrev_i32 v3, 31, v53 :: v_dual_ashrrev_i32 v53, 31, v54
	v_xor_b32_e32 v9, s6, v9
	v_xor_b32_e32 v52, s7, v52
	v_bitop3_b32 v2, v2, v8, v6 bitop3:0x80
	v_mad_u32_u24 v6, 0x44, v4, v7
	v_xor_b32_e32 v3, s8, v3
	v_xor_b32_e32 v8, s9, v53
	s_delay_alu instid0(VALU_DEP_4) | instskip(SKIP_3) | instid1(VALU_DEP_2)
	v_bitop3_b32 v2, v2, v52, v9 bitop3:0x80
	ds_load_b32 v52, v6 offset:64
	; wave barrier
	v_bitop3_b32 v2, v2, v8, v3 bitop3:0x80
	v_mul_u32_u24_e32 v3, 0x44, v4
	v_mbcnt_lo_u32_b32 v53, v2, 0
	v_cmp_ne_u32_e64 s3, 0, v2
	s_delay_alu instid0(VALU_DEP_3) | instskip(NEXT) | instid1(VALU_DEP_3)
	v_add_nc_u32_e32 v58, v7, v3
	v_cmp_eq_u32_e32 vcc_lo, 0, v53
	s_and_b32 s4, s3, vcc_lo
	s_delay_alu instid0(SALU_CYCLE_1)
	s_and_saveexec_b32 s3, s4
	s_cbranch_execz .LBB2395_51
; %bb.50:
	s_wait_dscnt 0x0
	v_bcnt_u32_b32 v2, v2, v52
	ds_store_b32 v58, v2 offset:64
.LBB2395_51:
	s_or_b32 exec_lo, exec_lo, s3
	v_lshrrev_b32_e32 v2, 16, v5
	; wave barrier
	s_delay_alu instid0(VALU_DEP_1) | instskip(NEXT) | instid1(VALU_DEP_1)
	v_xor_b32_e32 v54, -1, v2
	v_and_b32_e32 v2, 0xffff, v54
	s_delay_alu instid0(VALU_DEP_1) | instskip(NEXT) | instid1(VALU_DEP_1)
	v_lshrrev_b32_e32 v2, s20, v2
	v_bitop3_b32 v3, v2, 1, s29 bitop3:0x80
	v_and_b32_e32 v4, s29, v2
	s_delay_alu instid0(VALU_DEP_2) | instskip(NEXT) | instid1(VALU_DEP_1)
	v_add_co_u32 v2, s3, v3, -1
	v_cndmask_b32_e64 v3, 0, 1, s3
	s_delay_alu instid0(VALU_DEP_3) | instskip(NEXT) | instid1(VALU_DEP_2)
	v_lshlrev_b32_e32 v5, 30, v4
	v_cmp_ne_u32_e32 vcc_lo, 0, v3
	s_delay_alu instid0(VALU_DEP_2) | instskip(SKIP_1) | instid1(VALU_DEP_2)
	v_not_b32_e32 v3, v5
	v_cmp_gt_i32_e64 s3, 0, v5
	v_dual_ashrrev_i32 v3, 31, v3 :: v_dual_lshlrev_b32 v6, 29, v4
	v_dual_lshlrev_b32 v8, 28, v4 :: v_dual_lshlrev_b32 v9, 27, v4
	v_dual_lshlrev_b32 v56, 26, v4 :: v_dual_lshlrev_b32 v57, 25, v4
	v_lshlrev_b32_e32 v59, 24, v4
	s_delay_alu instid0(VALU_DEP_4)
	v_cmp_gt_i32_e64 s4, 0, v6
	v_not_b32_e32 v5, v6
	v_not_b32_e32 v6, v8
	v_cmp_gt_i32_e64 s5, 0, v8
	v_cmp_gt_i32_e64 s6, 0, v9
	v_not_b32_e32 v8, v9
	v_not_b32_e32 v9, v56
	v_dual_ashrrev_i32 v5, 31, v5 :: v_dual_bitop2_b32 v2, vcc_lo, v2 bitop3:0x14
	v_dual_ashrrev_i32 v6, 31, v6 :: v_dual_bitop2_b32 v3, s3, v3 bitop3:0x14
	v_cmp_gt_i32_e64 s7, 0, v56
	v_cmp_gt_i32_e64 s8, 0, v57
	v_not_b32_e32 v56, v57
	v_not_b32_e32 v57, v59
	v_dual_ashrrev_i32 v8, 31, v8 :: v_dual_ashrrev_i32 v9, 31, v9
	v_xor_b32_e32 v5, s4, v5
	v_xor_b32_e32 v6, s5, v6
	v_bitop3_b32 v2, v2, v3, exec_lo bitop3:0x80
	v_cmp_gt_i32_e64 s9, 0, v59
	v_dual_ashrrev_i32 v3, 31, v56 :: v_dual_ashrrev_i32 v56, 31, v57
	v_xor_b32_e32 v8, s6, v8
	v_xor_b32_e32 v9, s7, v9
	v_bitop3_b32 v2, v2, v6, v5 bitop3:0x80
	v_mad_u32_u24 v5, 0x44, v4, v7
	v_xor_b32_e32 v3, s8, v3
	v_xor_b32_e32 v6, s9, v56
	s_delay_alu instid0(VALU_DEP_4) | instskip(SKIP_3) | instid1(VALU_DEP_2)
	v_bitop3_b32 v2, v2, v9, v8 bitop3:0x80
	ds_load_b32 v56, v5 offset:64
	; wave barrier
	v_bitop3_b32 v2, v2, v6, v3 bitop3:0x80
	v_mul_u32_u24_e32 v3, 0x44, v4
	v_mbcnt_lo_u32_b32 v57, v2, 0
	v_cmp_ne_u32_e64 s3, 0, v2
	s_delay_alu instid0(VALU_DEP_3) | instskip(NEXT) | instid1(VALU_DEP_3)
	v_add_nc_u32_e32 v59, v7, v3
	v_cmp_eq_u32_e32 vcc_lo, 0, v57
	s_and_b32 s4, s3, vcc_lo
	s_delay_alu instid0(SALU_CYCLE_1)
	s_and_saveexec_b32 s3, s4
	s_cbranch_execz .LBB2395_53
; %bb.52:
	s_wait_dscnt 0x0
	v_bcnt_u32_b32 v2, v2, v56
	ds_store_b32 v59, v2 offset:64
.LBB2395_53:
	s_or_b32 exec_lo, exec_lo, s3
	; wave barrier
	s_wait_dscnt 0x0
	s_barrier_signal -1
	s_barrier_wait -1
	ds_load_2addr_b32 v[8:9], v12 offset0:16 offset1:17
	ds_load_2addr_b32 v[6:7], v12 offset0:18 offset1:19
	;; [unrolled: 1-line block ×4, first 2 shown]
	ds_load_b32 v60, v12 offset:96
	s_mov_b32 s7, exec_lo
	s_wait_dscnt 0x3
	v_add3_u32 v61, v9, v8, v6
	s_wait_dscnt 0x2
	s_delay_alu instid0(VALU_DEP_1) | instskip(SKIP_1) | instid1(VALU_DEP_1)
	v_add3_u32 v61, v61, v7, v4
	s_wait_dscnt 0x1
	v_add3_u32 v61, v61, v5, v2
	s_wait_dscnt 0x0
	s_delay_alu instid0(VALU_DEP_1) | instskip(SKIP_1) | instid1(VALU_DEP_2)
	v_add3_u32 v60, v61, v3, v60
	v_and_b32_e32 v61, 15, v15
	v_mov_b32_dpp v62, v60 row_shr:1 row_mask:0xf bank_mask:0xf
	s_delay_alu instid0(VALU_DEP_2) | instskip(NEXT) | instid1(VALU_DEP_2)
	v_cmp_eq_u32_e32 vcc_lo, 0, v61
	v_cndmask_b32_e64 v62, v62, 0, vcc_lo
	s_delay_alu instid0(VALU_DEP_1) | instskip(SKIP_3) | instid1(VALU_DEP_4)
	v_add_nc_u32_e32 v60, v62, v60
	v_cmp_lt_u32_e64 s3, 1, v61
	v_cmp_lt_u32_e64 s4, 3, v61
	;; [unrolled: 1-line block ×3, first 2 shown]
	v_mov_b32_dpp v62, v60 row_shr:2 row_mask:0xf bank_mask:0xf
	s_delay_alu instid0(VALU_DEP_1) | instskip(NEXT) | instid1(VALU_DEP_1)
	v_cndmask_b32_e64 v62, 0, v62, s3
	v_add_nc_u32_e32 v60, v60, v62
	s_delay_alu instid0(VALU_DEP_1) | instskip(NEXT) | instid1(VALU_DEP_1)
	v_mov_b32_dpp v62, v60 row_shr:4 row_mask:0xf bank_mask:0xf
	v_cndmask_b32_e64 v62, 0, v62, s4
	s_delay_alu instid0(VALU_DEP_1) | instskip(NEXT) | instid1(VALU_DEP_1)
	v_add_nc_u32_e32 v60, v60, v62
	v_mov_b32_dpp v62, v60 row_shr:8 row_mask:0xf bank_mask:0xf
	s_delay_alu instid0(VALU_DEP_1) | instskip(SKIP_1) | instid1(VALU_DEP_2)
	v_cndmask_b32_e64 v61, 0, v62, s5
	v_bfe_i32 v62, v15, 4, 1
	v_add_nc_u32_e32 v60, v60, v61
	ds_swizzle_b32 v61, v60 offset:swizzle(BROADCAST,32,15)
	s_wait_dscnt 0x0
	v_and_b32_e32 v61, v62, v61
	v_min_u32_e32 v62, 0x1e0, v16
	s_delay_alu instid0(VALU_DEP_2) | instskip(NEXT) | instid1(VALU_DEP_2)
	v_dual_add_nc_u32 v60, v60, v61 :: v_dual_lshrrev_b32 v61, 5, v14
	v_or_b32_e32 v62, 31, v62
	s_delay_alu instid0(VALU_DEP_1)
	v_cmpx_eq_u32_e64 v14, v62
; %bb.54:
	s_delay_alu instid0(VALU_DEP_3)
	v_lshlrev_b32_e32 v62, 2, v61
	ds_store_b32 v62, v60
; %bb.55:
	s_or_b32 exec_lo, exec_lo, s7
	s_delay_alu instid0(SALU_CYCLE_1)
	s_mov_b32 s7, exec_lo
	s_wait_dscnt 0x0
	s_barrier_signal -1
	s_barrier_wait -1
	v_cmpx_gt_u32_e32 16, v14
	s_cbranch_execz .LBB2395_57
; %bb.56:
	v_lshlrev_b32_e32 v62, 2, v14
	ds_load_b32 v63, v62
	s_wait_dscnt 0x0
	v_mov_b32_dpp v64, v63 row_shr:1 row_mask:0xf bank_mask:0xf
	s_delay_alu instid0(VALU_DEP_1) | instskip(NEXT) | instid1(VALU_DEP_1)
	v_cndmask_b32_e64 v64, v64, 0, vcc_lo
	v_add_nc_u32_e32 v63, v64, v63
	s_delay_alu instid0(VALU_DEP_1) | instskip(NEXT) | instid1(VALU_DEP_1)
	v_mov_b32_dpp v64, v63 row_shr:2 row_mask:0xf bank_mask:0xf
	v_cndmask_b32_e64 v64, 0, v64, s3
	s_delay_alu instid0(VALU_DEP_1) | instskip(NEXT) | instid1(VALU_DEP_1)
	v_add_nc_u32_e32 v63, v63, v64
	v_mov_b32_dpp v64, v63 row_shr:4 row_mask:0xf bank_mask:0xf
	s_delay_alu instid0(VALU_DEP_1) | instskip(NEXT) | instid1(VALU_DEP_1)
	v_cndmask_b32_e64 v64, 0, v64, s4
	v_add_nc_u32_e32 v63, v63, v64
	s_delay_alu instid0(VALU_DEP_1) | instskip(NEXT) | instid1(VALU_DEP_1)
	v_mov_b32_dpp v64, v63 row_shr:8 row_mask:0xf bank_mask:0xf
	v_cndmask_b32_e64 v64, 0, v64, s5
	s_delay_alu instid0(VALU_DEP_1)
	v_add_nc_u32_e32 v63, v63, v64
	ds_store_b32 v62, v63
.LBB2395_57:
	s_or_b32 exec_lo, exec_lo, s7
	v_mov_b32_e32 v62, 0
	s_mov_b32 s3, exec_lo
	s_wait_dscnt 0x0
	s_barrier_signal -1
	s_barrier_wait -1
	v_cmpx_lt_u32_e32 31, v14
; %bb.58:
	v_lshl_add_u32 v61, v61, 2, -4
	ds_load_b32 v62, v61
; %bb.59:
	s_or_b32 exec_lo, exec_lo, s3
	v_sub_co_u32 v61, vcc_lo, v15, 1
	s_wait_dscnt 0x0
	v_add_nc_u32_e32 v60, v62, v60
	s_delay_alu instid0(VALU_DEP_2) | instskip(NEXT) | instid1(VALU_DEP_1)
	v_cmp_gt_i32_e64 s3, 0, v61
	v_cndmask_b32_e64 v61, v61, v15, s3
	v_cmp_gt_u32_e64 s3, 0x100, v14
	s_delay_alu instid0(VALU_DEP_2) | instskip(SKIP_4) | instid1(VALU_DEP_2)
	v_lshlrev_b32_e32 v61, 2, v61
	ds_bpermute_b32 v60, v61, v60
	s_wait_dscnt 0x0
	v_cndmask_b32_e32 v60, v60, v62, vcc_lo
	v_cmp_lt_u32_e32 vcc_lo, 0xff, v14
	v_cndmask_b32_e64 v60, v60, 0, s2
	s_delay_alu instid0(VALU_DEP_1) | instskip(NEXT) | instid1(VALU_DEP_1)
	v_add_nc_u32_e32 v8, v60, v8
	v_add_nc_u32_e32 v9, v8, v9
	s_delay_alu instid0(VALU_DEP_1) | instskip(NEXT) | instid1(VALU_DEP_1)
	v_add_nc_u32_e32 v6, v9, v6
	v_add_nc_u32_e32 v7, v6, v7
	;; [unrolled: 3-line block ×4, first 2 shown]
	ds_store_2addr_b32 v12, v60, v8 offset0:16 offset1:17
	ds_store_2addr_b32 v12, v9, v6 offset0:18 offset1:19
	;; [unrolled: 1-line block ×4, first 2 shown]
	ds_store_b32 v12, v3 offset:96
	s_wait_dscnt 0x0
	s_barrier_signal -1
	s_barrier_wait -1
	ds_load_b32 v61, v13 offset:64
	ds_load_b32 v62, v20 offset:64
	;; [unrolled: 1-line block ×12, first 2 shown]
	v_mov_b64_e32 v[2:3], 0
                                        ; implicit-def: $vgpr4
	s_and_saveexec_b32 s5, s3
	s_cbranch_execz .LBB2395_63
; %bb.60:
	v_mul_u32_u24_e32 v2, 0x44, v14
	v_dual_mov_b32 v3, 0x1800 :: v_dual_add_nc_u32 v4, 1, v14
	s_mov_b32 s6, exec_lo
	ds_load_b32 v2, v2 offset:64
	v_cmpx_ne_u32_e32 0x100, v4
; %bb.61:
	v_mul_u32_u24_e32 v3, 0x44, v4
	ds_load_b32 v3, v3 offset:64
; %bb.62:
	s_or_b32 exec_lo, exec_lo, s6
	s_wait_dscnt 0x0
	v_dual_mov_b32 v3, 0 :: v_dual_sub_nc_u32 v4, v3, v2
.LBB2395_63:
	s_or_b32 exec_lo, exec_lo, s5
	v_dual_lshlrev_b32 v10, 1, v10 :: v_dual_lshlrev_b32 v19, 1, v19
	s_wait_dscnt 0xa
	v_lshlrev_b32_e32 v28, 1, v62
	v_dual_lshlrev_b32 v18, 1, v18 :: v_dual_lshlrev_b32 v23, 1, v23
	s_delay_alu instid0(VALU_DEP_3) | instskip(SKIP_2) | instid1(VALU_DEP_3)
	v_lshl_add_u32 v10, v61, 1, v10
	v_lshlrev_b32_e32 v22, 1, v22
	s_wait_dscnt 0x0
	v_add3_u32 v18, v28, v19, v18
	v_lshlrev_b32_e32 v19, 1, v60
	s_barrier_signal -1
	s_barrier_wait -1
	ds_store_b16 v10, v1 offset:2048
	ds_store_b16 v18, v11 offset:2048
	v_lshlrev_b32_e32 v10, 1, v24
	v_add3_u32 v1, v19, v23, v22
	v_dual_lshlrev_b32 v11, 1, v27 :: v_dual_lshlrev_b32 v18, 1, v26
	v_dual_lshlrev_b32 v22, 1, v29 :: v_dual_lshlrev_b32 v23, 1, v34
	;; [unrolled: 1-line block ×6, first 2 shown]
	ds_store_b16 v1, v17 offset:2048
	v_add3_u32 v1, v10, v11, v18
	v_add3_u32 v11, v13, v23, v24
	v_dual_lshlrev_b32 v13, 1, v43 :: v_dual_lshlrev_b32 v17, 1, v41
	v_add3_u32 v10, v19, v20, v22
	v_add3_u32 v12, v12, v26, v27
	ds_store_b16 v1, v21 offset:2048
	ds_store_b16 v10, v25 offset:2048
	;; [unrolled: 1-line block ×4, first 2 shown]
	v_add3_u32 v1, v9, v13, v17
	v_dual_lshlrev_b32 v8, 1, v8 :: v_dual_lshlrev_b32 v9, 1, v46
	v_dual_lshlrev_b32 v10, 1, v44 :: v_dual_lshlrev_b32 v7, 1, v7
	;; [unrolled: 1-line block ×6, first 2 shown]
	ds_store_b16 v1, v36 offset:2048
	v_add3_u32 v8, v8, v9, v10
	v_add3_u32 v9, v7, v11, v12
	v_dual_mov_b32 v7, 0 :: v_dual_lshlrev_b32 v1, 3, v14
	v_add3_u32 v6, v6, v13, v17
	v_add3_u32 v5, v5, v18, v19
	ds_store_b16 v8, v40 offset:2048
	ds_store_b16 v9, v45 offset:2048
	;; [unrolled: 1-line block ×4, first 2 shown]
	s_and_saveexec_b32 s4, s3
	s_cbranch_execz .LBB2395_73
; %bb.64:
	v_lshl_add_u32 v6, s23, 8, v14
	v_dual_mov_b32 v10, 0 :: v_dual_bitop2_b32 v5, 2.0, v4 bitop3:0x54
	s_mov_b32 s5, 0
	s_mov_b32 s6, s23
	s_delay_alu instid0(VALU_DEP_2)
	v_lshl_add_u64 v[8:9], v[6:7], 2, s[10:11]
	global_store_b32 v6, v5, s[10:11] scale_offset scope:SCOPE_DEV
                                        ; implicit-def: $sgpr3
	s_branch .LBB2395_67
.LBB2395_65:                            ;   in Loop: Header=BB2395_67 Depth=1
	s_or_b32 exec_lo, exec_lo, s8
.LBB2395_66:                            ;   in Loop: Header=BB2395_67 Depth=1
	s_delay_alu instid0(SALU_CYCLE_1) | instskip(SKIP_2) | instid1(VALU_DEP_2)
	s_or_b32 exec_lo, exec_lo, s7
	v_and_b32_e32 v6, 0x3fffffff, v5
	v_cmp_gt_i32_e64 s3, -2.0, v5
	v_add_nc_u32_e32 v10, v6, v10
	s_and_b32 s7, exec_lo, s3
	s_delay_alu instid0(SALU_CYCLE_1) | instskip(NEXT) | instid1(SALU_CYCLE_1)
	s_or_b32 s5, s7, s5
	s_and_not1_b32 exec_lo, exec_lo, s5
	s_cbranch_execz .LBB2395_72
.LBB2395_67:                            ; =>This Loop Header: Depth=1
                                        ;     Child Loop BB2395_70 Depth 2
	s_or_b32 s3, s3, exec_lo
	s_cmp_eq_u32 s6, 0
	s_cbranch_scc1 .LBB2395_71
; %bb.68:                               ;   in Loop: Header=BB2395_67 Depth=1
	s_add_co_i32 s6, s6, -1
	s_mov_b32 s7, exec_lo
	s_wait_xcnt 0x0
	v_lshl_or_b32 v6, s6, 8, v14
	global_load_b32 v5, v6, s[10:11] scale_offset scope:SCOPE_DEV
	s_wait_loadcnt 0x0
	v_cmpx_gt_u32_e32 2.0, v5
	s_cbranch_execz .LBB2395_66
; %bb.69:                               ;   in Loop: Header=BB2395_67 Depth=1
	v_lshl_add_u64 v[12:13], v[6:7], 2, s[10:11]
	s_mov_b32 s8, 0
.LBB2395_70:                            ;   Parent Loop BB2395_67 Depth=1
                                        ; =>  This Inner Loop Header: Depth=2
	global_load_b32 v5, v[12:13], off scope:SCOPE_DEV
	s_wait_loadcnt 0x0
	v_cmp_lt_u32_e64 s3, 0x3fffffff, v5
	s_or_b32 s8, s3, s8
	s_wait_xcnt 0x0
	s_and_not1_b32 exec_lo, exec_lo, s8
	s_cbranch_execnz .LBB2395_70
	s_branch .LBB2395_65
.LBB2395_71:                            ;   in Loop: Header=BB2395_67 Depth=1
                                        ; implicit-def: $sgpr6
	s_and_b32 s7, exec_lo, s3
	s_delay_alu instid0(SALU_CYCLE_1)
	s_or_b32 s5, s7, s5
	s_wait_xcnt 0x0
	s_and_not1_b32 exec_lo, exec_lo, s5
	s_cbranch_execnz .LBB2395_67
.LBB2395_72:
	s_or_b32 exec_lo, exec_lo, s5
	v_dual_add_nc_u32 v5, v10, v4 :: v_dual_mov_b32 v11, 0
	s_delay_alu instid0(VALU_DEP_1)
	v_or_b32_e32 v5, 0x80000000, v5
	global_store_b32 v[8:9], v5, off scope:SCOPE_DEV
	global_load_b64 v[6:7], v14, s[12:13] scale_offset
	s_wait_xcnt 0x1
	v_sub_nc_u64_e32 v[8:9], v[10:11], v[2:3]
	s_wait_loadcnt 0x0
	s_delay_alu instid0(VALU_DEP_1)
	v_add_nc_u64_e32 v[6:7], v[8:9], v[6:7]
	ds_store_b64 v1, v[6:7]
.LBB2395_73:
	s_wait_xcnt 0x0
	s_or_b32 exec_lo, exec_lo, s4
	v_mad_i32_i24 v5, v14, -6, v1
	s_mov_b32 s4, exec_lo
	s_wait_storecnt_dscnt 0x0
	s_barrier_signal -1
	s_barrier_wait -1
	v_cmpx_gt_u32_e64 s22, v14
	s_cbranch_execz .LBB2395_75
; %bb.74:
	ds_load_u16 v10, v5 offset:2048
	v_dual_mov_b32 v9, 0 :: v_dual_lshlrev_b32 v8, 1, v14
	s_wait_dscnt 0x0
	v_and_b32_e32 v6, 0xffff, v10
	s_delay_alu instid0(VALU_DEP_1) | instskip(NEXT) | instid1(VALU_DEP_1)
	v_lshrrev_b32_e32 v6, s20, v6
	v_and_b32_e32 v6, s29, v6
	s_delay_alu instid0(VALU_DEP_1) | instskip(SKIP_3) | instid1(VALU_DEP_1)
	v_lshlrev_b32_e32 v6, 3, v6
	ds_load_b64 v[6:7], v6
	s_wait_dscnt 0x0
	v_lshl_add_u64 v[6:7], v[6:7], 1, s[18:19]
	v_add_nc_u64_e32 v[6:7], v[6:7], v[8:9]
	v_xor_b32_e32 v8, -1, v10
	global_store_b16 v[6:7], v8, off
.LBB2395_75:
	s_wait_xcnt 0x0
	s_or_b32 exec_lo, exec_lo, s4
	v_add_nc_u32_e32 v6, 0x200, v14
	s_mov_b32 s4, exec_lo
	s_delay_alu instid0(VALU_DEP_1)
	v_cmpx_gt_u32_e64 s22, v6
	s_cbranch_execz .LBB2395_77
; %bb.76:
	ds_load_u16 v10, v5 offset:3072
	v_dual_mov_b32 v9, 0 :: v_dual_lshlrev_b32 v8, 1, v14
	s_wait_dscnt 0x0
	v_and_b32_e32 v6, 0xffff, v10
	s_delay_alu instid0(VALU_DEP_1) | instskip(NEXT) | instid1(VALU_DEP_1)
	v_lshrrev_b32_e32 v6, s20, v6
	v_and_b32_e32 v6, s29, v6
	s_delay_alu instid0(VALU_DEP_1) | instskip(SKIP_3) | instid1(VALU_DEP_1)
	v_lshlrev_b32_e32 v6, 3, v6
	ds_load_b64 v[6:7], v6
	s_wait_dscnt 0x0
	v_lshl_add_u64 v[6:7], v[6:7], 1, s[18:19]
	v_add_nc_u64_e32 v[6:7], v[6:7], v[8:9]
	v_xor_b32_e32 v8, -1, v10
	global_store_b16 v[6:7], v8, off offset:1024
.LBB2395_77:
	s_wait_xcnt 0x0
	s_or_b32 exec_lo, exec_lo, s4
	v_or_b32_e32 v6, 0x400, v14
	s_mov_b32 s4, exec_lo
	s_delay_alu instid0(VALU_DEP_1)
	v_cmpx_gt_u32_e64 s22, v6
	s_cbranch_execz .LBB2395_79
; %bb.78:
	ds_load_u16 v10, v5 offset:4096
	v_dual_mov_b32 v9, 0 :: v_dual_lshlrev_b32 v8, 1, v14
	s_wait_dscnt 0x0
	v_and_b32_e32 v6, 0xffff, v10
	s_delay_alu instid0(VALU_DEP_1) | instskip(NEXT) | instid1(VALU_DEP_1)
	v_lshrrev_b32_e32 v6, s20, v6
	v_and_b32_e32 v6, s29, v6
	s_delay_alu instid0(VALU_DEP_1) | instskip(SKIP_3) | instid1(VALU_DEP_1)
	v_lshlrev_b32_e32 v6, 3, v6
	ds_load_b64 v[6:7], v6
	s_wait_dscnt 0x0
	v_lshl_add_u64 v[6:7], v[6:7], 1, s[18:19]
	v_add_nc_u64_e32 v[6:7], v[6:7], v[8:9]
	v_xor_b32_e32 v8, -1, v10
	global_store_b16 v[6:7], v8, off offset:2048
.LBB2395_79:
	s_wait_xcnt 0x0
	s_or_b32 exec_lo, exec_lo, s4
	v_add_nc_u32_e32 v6, 0x600, v14
	s_mov_b32 s4, exec_lo
	s_delay_alu instid0(VALU_DEP_1)
	v_cmpx_gt_u32_e64 s22, v6
	s_cbranch_execz .LBB2395_81
; %bb.80:
	ds_load_u16 v10, v5 offset:5120
	v_dual_mov_b32 v9, 0 :: v_dual_lshlrev_b32 v8, 1, v14
	s_wait_dscnt 0x0
	v_and_b32_e32 v6, 0xffff, v10
	s_delay_alu instid0(VALU_DEP_1) | instskip(NEXT) | instid1(VALU_DEP_1)
	v_lshrrev_b32_e32 v6, s20, v6
	v_and_b32_e32 v6, s29, v6
	s_delay_alu instid0(VALU_DEP_1) | instskip(SKIP_3) | instid1(VALU_DEP_1)
	v_lshlrev_b32_e32 v6, 3, v6
	ds_load_b64 v[6:7], v6
	s_wait_dscnt 0x0
	v_lshl_add_u64 v[6:7], v[6:7], 1, s[18:19]
	v_add_nc_u64_e32 v[6:7], v[6:7], v[8:9]
	v_xor_b32_e32 v8, -1, v10
	global_store_b16 v[6:7], v8, off offset:3072
.LBB2395_81:
	s_wait_xcnt 0x0
	s_or_b32 exec_lo, exec_lo, s4
	v_or_b32_e32 v6, 0x800, v14
	s_mov_b32 s4, exec_lo
	s_delay_alu instid0(VALU_DEP_1)
	v_cmpx_gt_u32_e64 s22, v6
	s_cbranch_execz .LBB2395_83
; %bb.82:
	ds_load_u16 v10, v5 offset:6144
	v_dual_mov_b32 v9, 0 :: v_dual_lshlrev_b32 v8, 1, v14
	s_wait_dscnt 0x0
	v_and_b32_e32 v6, 0xffff, v10
	s_delay_alu instid0(VALU_DEP_1) | instskip(NEXT) | instid1(VALU_DEP_1)
	v_lshrrev_b32_e32 v6, s20, v6
	v_and_b32_e32 v6, s29, v6
	s_delay_alu instid0(VALU_DEP_1) | instskip(SKIP_3) | instid1(VALU_DEP_1)
	v_lshlrev_b32_e32 v6, 3, v6
	ds_load_b64 v[6:7], v6
	s_wait_dscnt 0x0
	v_lshl_add_u64 v[6:7], v[6:7], 1, s[18:19]
	v_add_nc_u64_e32 v[6:7], v[6:7], v[8:9]
	v_xor_b32_e32 v8, -1, v10
	global_store_b16 v[6:7], v8, off offset:4096
.LBB2395_83:
	s_wait_xcnt 0x0
	s_or_b32 exec_lo, exec_lo, s4
	v_add_nc_u32_e32 v6, 0xa00, v14
	s_mov_b32 s4, exec_lo
	s_delay_alu instid0(VALU_DEP_1)
	v_cmpx_gt_u32_e64 s22, v6
	s_cbranch_execz .LBB2395_85
; %bb.84:
	ds_load_u16 v10, v5 offset:7168
	v_dual_mov_b32 v9, 0 :: v_dual_lshlrev_b32 v8, 1, v14
	s_wait_dscnt 0x0
	v_and_b32_e32 v6, 0xffff, v10
	s_delay_alu instid0(VALU_DEP_1) | instskip(NEXT) | instid1(VALU_DEP_1)
	v_lshrrev_b32_e32 v6, s20, v6
	v_and_b32_e32 v6, s29, v6
	s_delay_alu instid0(VALU_DEP_1) | instskip(SKIP_3) | instid1(VALU_DEP_1)
	v_lshlrev_b32_e32 v6, 3, v6
	ds_load_b64 v[6:7], v6
	s_wait_dscnt 0x0
	v_lshl_add_u64 v[6:7], v[6:7], 1, s[18:19]
	v_add_nc_u64_e32 v[6:7], v[6:7], v[8:9]
	v_xor_b32_e32 v8, -1, v10
	global_store_b16 v[6:7], v8, off offset:5120
.LBB2395_85:
	s_wait_xcnt 0x0
	s_or_b32 exec_lo, exec_lo, s4
	v_or_b32_e32 v6, 0xc00, v14
	s_mov_b32 s4, exec_lo
	s_delay_alu instid0(VALU_DEP_1)
	v_cmpx_gt_u32_e64 s22, v6
	s_cbranch_execz .LBB2395_87
; %bb.86:
	ds_load_u16 v10, v5 offset:8192
	v_dual_mov_b32 v9, 0 :: v_dual_lshlrev_b32 v8, 1, v14
	s_wait_dscnt 0x0
	v_and_b32_e32 v6, 0xffff, v10
	s_delay_alu instid0(VALU_DEP_1) | instskip(NEXT) | instid1(VALU_DEP_1)
	v_lshrrev_b32_e32 v6, s20, v6
	v_and_b32_e32 v6, s29, v6
	s_delay_alu instid0(VALU_DEP_1) | instskip(SKIP_3) | instid1(VALU_DEP_1)
	v_lshlrev_b32_e32 v6, 3, v6
	ds_load_b64 v[6:7], v6
	s_wait_dscnt 0x0
	v_lshl_add_u64 v[6:7], v[6:7], 1, s[18:19]
	v_add_nc_u64_e32 v[6:7], v[6:7], v[8:9]
	v_xor_b32_e32 v8, -1, v10
	global_store_b16 v[6:7], v8, off offset:6144
.LBB2395_87:
	s_wait_xcnt 0x0
	s_or_b32 exec_lo, exec_lo, s4
	v_add_nc_u32_e32 v6, 0xe00, v14
	s_mov_b32 s4, exec_lo
	s_delay_alu instid0(VALU_DEP_1)
	v_cmpx_gt_u32_e64 s22, v6
	s_cbranch_execz .LBB2395_89
; %bb.88:
	ds_load_u16 v5, v5 offset:9216
	v_dual_mov_b32 v9, 0 :: v_dual_lshlrev_b32 v8, 1, v14
	s_wait_dscnt 0x0
	v_and_b32_e32 v6, 0xffff, v5
	s_delay_alu instid0(VALU_DEP_1) | instskip(NEXT) | instid1(VALU_DEP_1)
	v_dual_lshrrev_b32 v6, s20, v6 :: v_dual_bitop2_b32 v5, -1, v5 bitop3:0x14
	v_and_b32_e32 v6, s29, v6
	s_delay_alu instid0(VALU_DEP_1) | instskip(SKIP_3) | instid1(VALU_DEP_1)
	v_lshlrev_b32_e32 v6, 3, v6
	ds_load_b64 v[6:7], v6
	s_wait_dscnt 0x0
	v_lshl_add_u64 v[6:7], v[6:7], 1, s[18:19]
	v_add_nc_u64_e32 v[6:7], v[6:7], v[8:9]
	global_store_b16 v[6:7], v5, off offset:7168
.LBB2395_89:
	s_wait_xcnt 0x0
	s_or_b32 exec_lo, exec_lo, s4
	v_or_b32_e32 v5, 0x1000, v14
	s_mov_b32 s4, exec_lo
	s_delay_alu instid0(VALU_DEP_1)
	v_cmpx_gt_u32_e64 s22, v5
	s_cbranch_execz .LBB2395_91
; %bb.90:
	v_lshlrev_b32_e32 v6, 1, v14
	ds_load_u16 v5, v6 offset:10240
	s_wait_dscnt 0x0
	v_and_b32_e32 v7, 0xffff, v5
	s_delay_alu instid0(VALU_DEP_1) | instskip(NEXT) | instid1(VALU_DEP_1)
	v_dual_lshrrev_b32 v7, s20, v7 :: v_dual_bitop2_b32 v5, -1, v5 bitop3:0x14
	v_and_b32_e32 v7, s29, v7
	s_delay_alu instid0(VALU_DEP_1) | instskip(SKIP_4) | instid1(VALU_DEP_1)
	v_lshlrev_b32_e32 v7, 3, v7
	ds_load_b64 v[8:9], v7
	v_mov_b32_e32 v7, 0
	s_wait_dscnt 0x0
	v_lshl_add_u64 v[8:9], v[8:9], 1, s[18:19]
	v_add_nc_u64_e32 v[6:7], v[8:9], v[6:7]
	global_store_b16 v[6:7], v5, off offset:8192
.LBB2395_91:
	s_wait_xcnt 0x0
	s_or_b32 exec_lo, exec_lo, s4
	v_add_nc_u32_e32 v5, 0x1200, v14
	s_mov_b32 s4, exec_lo
	s_delay_alu instid0(VALU_DEP_1)
	v_cmpx_gt_u32_e64 s22, v5
	s_cbranch_execz .LBB2395_93
; %bb.92:
	v_lshlrev_b32_e32 v6, 1, v14
	ds_load_u16 v5, v6 offset:11264
	s_wait_dscnt 0x0
	v_and_b32_e32 v7, 0xffff, v5
	s_delay_alu instid0(VALU_DEP_1) | instskip(NEXT) | instid1(VALU_DEP_1)
	v_dual_lshrrev_b32 v7, s20, v7 :: v_dual_bitop2_b32 v5, -1, v5 bitop3:0x14
	v_and_b32_e32 v7, s29, v7
	s_delay_alu instid0(VALU_DEP_1) | instskip(SKIP_4) | instid1(VALU_DEP_1)
	v_lshlrev_b32_e32 v7, 3, v7
	ds_load_b64 v[8:9], v7
	v_mov_b32_e32 v7, 0
	s_wait_dscnt 0x0
	v_lshl_add_u64 v[8:9], v[8:9], 1, s[18:19]
	v_add_nc_u64_e32 v[6:7], v[8:9], v[6:7]
	global_store_b16 v[6:7], v5, off offset:9216
.LBB2395_93:
	s_wait_xcnt 0x0
	s_or_b32 exec_lo, exec_lo, s4
	v_or_b32_e32 v5, 0x1400, v14
	s_mov_b32 s4, exec_lo
	s_delay_alu instid0(VALU_DEP_1)
	v_cmpx_gt_u32_e64 s22, v5
	s_cbranch_execz .LBB2395_95
; %bb.94:
	v_lshlrev_b32_e32 v6, 1, v14
	ds_load_u16 v5, v6 offset:12288
	s_wait_dscnt 0x0
	v_and_b32_e32 v7, 0xffff, v5
	s_delay_alu instid0(VALU_DEP_1) | instskip(NEXT) | instid1(VALU_DEP_1)
	v_dual_lshrrev_b32 v7, s20, v7 :: v_dual_bitop2_b32 v5, -1, v5 bitop3:0x14
	v_and_b32_e32 v7, s29, v7
	s_delay_alu instid0(VALU_DEP_1) | instskip(SKIP_4) | instid1(VALU_DEP_1)
	v_lshlrev_b32_e32 v7, 3, v7
	ds_load_b64 v[8:9], v7
	v_mov_b32_e32 v7, 0
	s_wait_dscnt 0x0
	v_lshl_add_u64 v[8:9], v[8:9], 1, s[18:19]
	v_add_nc_u64_e32 v[6:7], v[8:9], v[6:7]
	global_store_b16 v[6:7], v5, off offset:10240
.LBB2395_95:
	s_wait_xcnt 0x0
	s_or_b32 exec_lo, exec_lo, s4
	v_add_nc_u32_e32 v5, 0x1600, v14
	s_mov_b32 s4, exec_lo
	s_delay_alu instid0(VALU_DEP_1)
	v_cmpx_gt_u32_e64 s22, v5
	s_cbranch_execz .LBB2395_97
; %bb.96:
	v_lshlrev_b32_e32 v6, 1, v14
	ds_load_u16 v5, v6 offset:13312
	s_wait_dscnt 0x0
	v_and_b32_e32 v7, 0xffff, v5
	s_delay_alu instid0(VALU_DEP_1) | instskip(NEXT) | instid1(VALU_DEP_1)
	v_dual_lshrrev_b32 v7, s20, v7 :: v_dual_bitop2_b32 v5, -1, v5 bitop3:0x14
	v_and_b32_e32 v7, s29, v7
	s_delay_alu instid0(VALU_DEP_1) | instskip(SKIP_4) | instid1(VALU_DEP_1)
	v_lshlrev_b32_e32 v7, 3, v7
	ds_load_b64 v[8:9], v7
	v_mov_b32_e32 v7, 0
	s_wait_dscnt 0x0
	v_lshl_add_u64 v[8:9], v[8:9], 1, s[18:19]
	v_add_nc_u64_e32 v[6:7], v[8:9], v[6:7]
	global_store_b16 v[6:7], v5, off offset:11264
.LBB2395_97:
	s_wait_xcnt 0x0
	s_or_b32 exec_lo, exec_lo, s4
	s_add_co_i32 s25, s25, -1
	s_delay_alu instid0(SALU_CYCLE_1) | instskip(SKIP_2) | instid1(SALU_CYCLE_1)
	s_cmp_eq_u32 s23, s25
	s_cselect_b32 s3, -1, 0
	s_xor_b32 s4, vcc_lo, -1
	s_and_b32 s4, s4, s3
	s_delay_alu instid0(SALU_CYCLE_1)
	s_and_saveexec_b32 s3, s4
	s_cbranch_execz .LBB2395_99
; %bb.98:
	ds_load_b64 v[6:7], v1
	v_mov_b32_e32 v5, 0
	s_delay_alu instid0(VALU_DEP_1) | instskip(SKIP_1) | instid1(VALU_DEP_1)
	v_add_nc_u64_e32 v[2:3], v[2:3], v[4:5]
	s_wait_dscnt 0x0
	v_add_nc_u64_e32 v[2:3], v[2:3], v[6:7]
	global_store_b64 v14, v[2:3], s[14:15] scale_offset
.LBB2395_99:
	s_wait_xcnt 0x0
	s_or_b32 exec_lo, exec_lo, s3
	s_mov_b32 s4, 0
.LBB2395_100:
	s_delay_alu instid0(SALU_CYCLE_1)
	s_and_b32 vcc_lo, exec_lo, s4
	s_cbranch_vccz .LBB2395_147
; %bb.101:
	s_mov_b32 s25, 0
	v_dual_mov_b32 v9, 0 :: v_dual_lshlrev_b32 v8, 1, v15
	s_lshl_b64 s[4:5], s[24:25], 1
	v_mul_u32_u24_e32 v1, 12, v16
	s_add_nc_u64 s[4:5], s[16:17], s[4:5]
	v_bfe_u32 v12, v0, 10, 10
	v_add_nc_u64_e32 v[2:3], s[4:5], v[8:9]
	v_bfe_u32 v0, v0, 20, 10
	v_lshlrev_b32_e32 v8, 1, v1
	s_delay_alu instid0(VALU_DEP_1)
	v_add_nc_u64_e32 v[18:19], v[2:3], v[8:9]
	s_clause 0xb
	global_load_u16 v8, v[18:19], off
	global_load_u16 v10, v[18:19], off offset:64
	global_load_u16 v13, v[18:19], off offset:128
	;; [unrolled: 1-line block ×11, first 2 shown]
	s_clause 0x1
	s_load_b32 s8, s[0:1], 0x58
	s_load_u16 s3, s[0:1], 0x66
	s_wait_xcnt 0x0
	s_bfe_u32 s0, ttmp6, 0x4000c
	s_and_b32 s1, ttmp6, 15
	s_add_co_i32 s0, s0, 1
	s_delay_alu instid0(SALU_CYCLE_1) | instskip(NEXT) | instid1(SALU_CYCLE_1)
	s_mul_i32 s0, ttmp9, s0
	s_add_co_i32 s1, s1, s0
	s_cmp_eq_u32 s28, 0
	s_cselect_b32 s0, ttmp9, s1
	s_wait_kmcnt 0x0
	s_cmp_lt_u32 s0, s8
	v_mad_u32_u24 v0, v0, s3, v12
	s_cselect_b32 s24, 12, 18
	s_lshl_b32 s9, -1, s21
	s_add_nc_u64 s[0:1], s[26:27], s[24:25]
	s_load_u16 s16, s[0:1], 0x0
	s_wait_kmcnt 0x0
	v_mad_u32 v0, v0, s16, v14
	s_delay_alu instid0(VALU_DEP_1) | instskip(NEXT) | instid1(VALU_DEP_1)
	v_lshrrev_b32_e32 v0, 5, v0
	v_lshlrev_b32_e32 v0, 2, v0
	s_wait_loadcnt 0xb
	v_xor_b32_e32 v8, -1, v8
	s_delay_alu instid0(VALU_DEP_1) | instskip(NEXT) | instid1(VALU_DEP_1)
	v_and_b32_e32 v11, 0xffff, v8
	v_lshrrev_b32_e32 v11, s20, v11
	s_delay_alu instid0(VALU_DEP_1) | instskip(SKIP_2) | instid1(VALU_DEP_2)
	v_bitop3_b32 v12, v11, 1, s9 bitop3:0x40
	v_bitop3_b32 v18, v11, s9, v11 bitop3:0x30
	s_not_b32 s9, s9
	v_add_co_u32 v11, s0, v12, -1
	s_delay_alu instid0(VALU_DEP_1) | instskip(NEXT) | instid1(VALU_DEP_3)
	v_cndmask_b32_e64 v12, 0, 1, s0
	v_dual_lshlrev_b32 v17, 30, v18 :: v_dual_lshlrev_b32 v19, 29, v18
	v_dual_lshlrev_b32 v21, 28, v18 :: v_dual_lshlrev_b32 v22, 27, v18
	v_lshlrev_b32_e32 v23, 26, v18
	s_delay_alu instid0(VALU_DEP_4) | instskip(NEXT) | instid1(VALU_DEP_4)
	v_cmp_ne_u32_e32 vcc_lo, 0, v12
	v_not_b32_e32 v12, v17
	v_cmp_gt_i32_e64 s0, 0, v17
	v_cmp_gt_i32_e64 s1, 0, v19
	v_not_b32_e32 v17, v19
	v_not_b32_e32 v19, v21
	v_dual_ashrrev_i32 v12, 31, v12 :: v_dual_bitop2_b32 v11, vcc_lo, v11 bitop3:0x14
	v_dual_lshlrev_b32 v25, 25, v18 :: v_dual_lshlrev_b32 v26, 24, v18
	v_cmp_gt_i32_e64 s3, 0, v21
	v_cmp_gt_i32_e64 s4, 0, v22
	v_not_b32_e32 v21, v22
	v_not_b32_e32 v22, v23
	v_dual_ashrrev_i32 v17, 31, v17 :: v_dual_ashrrev_i32 v19, 31, v19
	s_delay_alu instid0(VALU_DEP_3)
	v_dual_ashrrev_i32 v21, 31, v21 :: v_dual_bitop2_b32 v12, s0, v12 bitop3:0x14
	v_cmp_gt_i32_e64 s5, 0, v23
	v_cmp_gt_i32_e64 s6, 0, v25
	v_not_b32_e32 v23, v25
	v_not_b32_e32 v25, v26
	v_dual_ashrrev_i32 v22, 31, v22 :: v_dual_bitop2_b32 v17, s1, v17 bitop3:0x14
	v_xor_b32_e32 v19, s3, v19
	v_bitop3_b32 v11, v11, v12, exec_lo bitop3:0x80
	v_cmp_gt_i32_e64 s7, 0, v26
	v_dual_ashrrev_i32 v12, 31, v23 :: v_dual_bitop2_b32 v21, s4, v21 bitop3:0x14
	v_dual_ashrrev_i32 v23, 31, v25 :: v_dual_bitop2_b32 v22, s5, v22 bitop3:0x14
	s_delay_alu instid0(VALU_DEP_4) | instskip(NEXT) | instid1(VALU_DEP_3)
	v_bitop3_b32 v11, v11, v19, v17 bitop3:0x80
	v_xor_b32_e32 v12, s6, v12
	s_delay_alu instid0(VALU_DEP_3) | instskip(NEXT) | instid1(VALU_DEP_3)
	v_xor_b32_e32 v17, s7, v23
	v_bitop3_b32 v19, v11, v22, v21 bitop3:0x80
	v_mul_u32_u24_e32 v11, 36, v14
	ds_store_2addr_b32 v11, v9, v9 offset0:16 offset1:17
	ds_store_2addr_b32 v11, v9, v9 offset0:18 offset1:19
	ds_store_2addr_b32 v11, v9, v9 offset0:20 offset1:21
	ds_store_2addr_b32 v11, v9, v9 offset0:22 offset1:23
	v_bitop3_b32 v17, v19, v17, v12 bitop3:0x80
	ds_store_b32 v11, v9 offset:96
	v_mad_u32_u24 v12, 0x44, v18, v0
	s_wait_storecnt 0x0
	s_wait_loadcnt_dscnt 0x0
	s_barrier_signal -1
	v_mbcnt_lo_u32_b32 v9, v17, 0
	v_cmp_ne_u32_e64 s0, 0, v17
	s_barrier_wait -1
	s_delay_alu instid0(VALU_DEP_2) | instskip(SKIP_1) | instid1(SALU_CYCLE_1)
	v_cmp_eq_u32_e32 vcc_lo, 0, v9
	; wave barrier
	s_and_b32 s1, s0, vcc_lo
	s_and_saveexec_b32 s0, s1
; %bb.102:
	v_bcnt_u32_b32 v17, v17, 0
	ds_store_b32 v12, v17 offset:64
; %bb.103:
	s_or_b32 exec_lo, exec_lo, s0
	v_xor_b32_e32 v10, -1, v10
	; wave barrier
	s_delay_alu instid0(VALU_DEP_1) | instskip(NEXT) | instid1(VALU_DEP_1)
	v_and_b32_e32 v17, 0xffff, v10
	v_lshrrev_b32_e32 v17, s20, v17
	s_delay_alu instid0(VALU_DEP_1) | instskip(SKIP_1) | instid1(VALU_DEP_2)
	v_bitop3_b32 v18, v17, 1, s9 bitop3:0x80
	v_and_b32_e32 v17, s9, v17
	v_add_co_u32 v18, s0, v18, -1
	s_delay_alu instid0(VALU_DEP_1) | instskip(NEXT) | instid1(VALU_DEP_3)
	v_cndmask_b32_e64 v19, 0, 1, s0
	v_lshlrev_b32_e32 v21, 30, v17
	s_delay_alu instid0(VALU_DEP_2) | instskip(NEXT) | instid1(VALU_DEP_2)
	v_cmp_ne_u32_e32 vcc_lo, 0, v19
	v_not_b32_e32 v19, v21
	s_delay_alu instid0(VALU_DEP_1) | instskip(SKIP_4) | instid1(VALU_DEP_4)
	v_dual_ashrrev_i32 v19, 31, v19 :: v_dual_bitop2_b32 v18, vcc_lo, v18 bitop3:0x14
	v_dual_lshlrev_b32 v22, 29, v17 :: v_dual_lshlrev_b32 v23, 28, v17
	v_dual_lshlrev_b32 v25, 27, v17 :: v_dual_lshlrev_b32 v26, 26, v17
	v_lshlrev_b32_e32 v27, 25, v17
	v_cmp_gt_i32_e64 s0, 0, v21
	v_cmp_gt_i32_e64 s1, 0, v22
	v_not_b32_e32 v21, v22
	v_not_b32_e32 v22, v23
	v_lshlrev_b32_e32 v28, 24, v17
	v_cmp_gt_i32_e64 s3, 0, v23
	v_cmp_gt_i32_e64 s4, 0, v25
	v_not_b32_e32 v23, v25
	v_not_b32_e32 v25, v26
	v_dual_ashrrev_i32 v21, 31, v21 :: v_dual_ashrrev_i32 v22, 31, v22
	v_xor_b32_e32 v19, s0, v19
	v_cmp_gt_i32_e64 s5, 0, v26
	v_cmp_gt_i32_e64 s6, 0, v27
	v_not_b32_e32 v26, v27
	v_not_b32_e32 v27, v28
	v_dual_ashrrev_i32 v23, 31, v23 :: v_dual_bitop2_b32 v21, s1, v21 bitop3:0x14
	v_dual_ashrrev_i32 v25, 31, v25 :: v_dual_bitop2_b32 v22, s3, v22 bitop3:0x14
	s_delay_alu instid0(VALU_DEP_3) | instskip(SKIP_4) | instid1(VALU_DEP_4)
	v_ashrrev_i32_e32 v27, 31, v27
	v_bitop3_b32 v18, v18, v19, exec_lo bitop3:0x80
	v_cmp_gt_i32_e64 s7, 0, v28
	v_dual_ashrrev_i32 v26, 31, v26 :: v_dual_bitop2_b32 v23, s4, v23 bitop3:0x14
	v_xor_b32_e32 v25, s5, v25
	v_bitop3_b32 v18, v18, v22, v21 bitop3:0x80
	v_mad_u32_u24 v19, 0x44, v17, v0
	s_delay_alu instid0(VALU_DEP_4) | instskip(SKIP_1) | instid1(VALU_DEP_4)
	v_xor_b32_e32 v21, s6, v26
	v_xor_b32_e32 v22, s7, v27
	v_bitop3_b32 v18, v18, v25, v23 bitop3:0x80
	ds_load_b32 v17, v19 offset:64
	; wave barrier
	v_bitop3_b32 v21, v18, v22, v21 bitop3:0x80
	s_delay_alu instid0(VALU_DEP_1) | instskip(SKIP_1) | instid1(VALU_DEP_2)
	v_mbcnt_lo_u32_b32 v18, v21, 0
	v_cmp_ne_u32_e64 s0, 0, v21
	v_cmp_eq_u32_e32 vcc_lo, 0, v18
	s_and_b32 s1, s0, vcc_lo
	s_delay_alu instid0(SALU_CYCLE_1)
	s_and_saveexec_b32 s0, s1
	s_cbranch_execz .LBB2395_105
; %bb.104:
	s_wait_dscnt 0x0
	v_bcnt_u32_b32 v21, v21, v17
	ds_store_b32 v19, v21 offset:64
.LBB2395_105:
	s_or_b32 exec_lo, exec_lo, s0
	v_xor_b32_e32 v13, -1, v13
	; wave barrier
	s_delay_alu instid0(VALU_DEP_1) | instskip(NEXT) | instid1(VALU_DEP_1)
	v_and_b32_e32 v21, 0xffff, v13
	v_lshrrev_b32_e32 v21, s20, v21
	s_delay_alu instid0(VALU_DEP_1) | instskip(NEXT) | instid1(VALU_DEP_1)
	v_bitop3_b32 v22, v21, 1, s9 bitop3:0x80
	v_add_co_u32 v22, s0, v22, -1
	s_delay_alu instid0(VALU_DEP_1) | instskip(NEXT) | instid1(VALU_DEP_1)
	v_cndmask_b32_e64 v23, 0, 1, s0
	v_cmp_ne_u32_e32 vcc_lo, 0, v23
	s_delay_alu instid0(VALU_DEP_3) | instskip(SKIP_1) | instid1(VALU_DEP_1)
	v_xor_b32_e32 v22, vcc_lo, v22
	v_and_b32_e32 v21, s9, v21
	v_dual_lshlrev_b32 v25, 30, v21 :: v_dual_lshlrev_b32 v26, 29, v21
	v_lshlrev_b32_e32 v27, 28, v21
	s_delay_alu instid0(VALU_DEP_2) | instskip(SKIP_1) | instid1(VALU_DEP_4)
	v_cmp_gt_i32_e64 s0, 0, v25
	v_not_b32_e32 v23, v25
	v_cmp_gt_i32_e64 s1, 0, v26
	v_not_b32_e32 v25, v26
	v_not_b32_e32 v26, v27
	s_delay_alu instid0(VALU_DEP_1) | instskip(SKIP_2) | instid1(VALU_DEP_3)
	v_dual_ashrrev_i32 v23, 31, v23 :: v_dual_ashrrev_i32 v26, 31, v26
	v_dual_lshlrev_b32 v28, 27, v21 :: v_dual_lshlrev_b32 v29, 26, v21
	v_dual_lshlrev_b32 v30, 25, v21 :: v_dual_lshlrev_b32 v31, 24, v21
	v_xor_b32_e32 v23, s0, v23
	v_cmp_gt_i32_e64 s3, 0, v27
	s_delay_alu instid0(VALU_DEP_4)
	v_cmp_gt_i32_e64 s4, 0, v28
	v_not_b32_e32 v27, v28
	v_not_b32_e32 v28, v29
	v_ashrrev_i32_e32 v25, 31, v25
	v_cmp_gt_i32_e64 s5, 0, v29
	v_cmp_gt_i32_e64 s6, 0, v30
	v_not_b32_e32 v29, v30
	v_not_b32_e32 v30, v31
	v_dual_ashrrev_i32 v27, 31, v27 :: v_dual_ashrrev_i32 v28, 31, v28
	v_xor_b32_e32 v25, s1, v25
	s_delay_alu instid0(VALU_DEP_4) | instskip(SKIP_4) | instid1(VALU_DEP_4)
	v_dual_ashrrev_i32 v29, 31, v29 :: v_dual_bitop2_b32 v26, s3, v26 bitop3:0x14
	v_bitop3_b32 v22, v22, v23, exec_lo bitop3:0x80
	v_cmp_gt_i32_e64 s7, 0, v31
	v_dual_ashrrev_i32 v30, 31, v30 :: v_dual_bitop2_b32 v27, s4, v27 bitop3:0x14
	v_xor_b32_e32 v28, s5, v28
	v_bitop3_b32 v22, v22, v26, v25 bitop3:0x80
	v_mad_u32_u24 v23, 0x44, v21, v0
	v_xor_b32_e32 v25, s6, v29
	v_xor_b32_e32 v26, s7, v30
	s_delay_alu instid0(VALU_DEP_4) | instskip(SKIP_2) | instid1(VALU_DEP_1)
	v_bitop3_b32 v22, v22, v28, v27 bitop3:0x80
	ds_load_b32 v21, v23 offset:64
	; wave barrier
	v_bitop3_b32 v25, v22, v26, v25 bitop3:0x80
	v_mbcnt_lo_u32_b32 v22, v25, 0
	v_cmp_ne_u32_e64 s0, 0, v25
	s_delay_alu instid0(VALU_DEP_2) | instskip(SKIP_1) | instid1(SALU_CYCLE_1)
	v_cmp_eq_u32_e32 vcc_lo, 0, v22
	s_and_b32 s1, s0, vcc_lo
	s_and_saveexec_b32 s0, s1
	s_cbranch_execz .LBB2395_107
; %bb.106:
	s_wait_dscnt 0x0
	v_bcnt_u32_b32 v25, v25, v21
	ds_store_b32 v23, v25 offset:64
.LBB2395_107:
	s_or_b32 exec_lo, exec_lo, s0
	v_xor_b32_e32 v20, -1, v20
	; wave barrier
	s_delay_alu instid0(VALU_DEP_1) | instskip(NEXT) | instid1(VALU_DEP_1)
	v_and_b32_e32 v25, 0xffff, v20
	v_lshrrev_b32_e32 v25, s20, v25
	s_delay_alu instid0(VALU_DEP_1) | instskip(SKIP_1) | instid1(VALU_DEP_2)
	v_bitop3_b32 v26, v25, 1, s9 bitop3:0x80
	v_and_b32_e32 v25, s9, v25
	v_add_co_u32 v26, s0, v26, -1
	s_delay_alu instid0(VALU_DEP_1) | instskip(NEXT) | instid1(VALU_DEP_3)
	v_cndmask_b32_e64 v27, 0, 1, s0
	v_lshlrev_b32_e32 v28, 30, v25
	s_delay_alu instid0(VALU_DEP_2) | instskip(NEXT) | instid1(VALU_DEP_2)
	v_cmp_ne_u32_e32 vcc_lo, 0, v27
	v_not_b32_e32 v27, v28
	s_delay_alu instid0(VALU_DEP_1) | instskip(SKIP_4) | instid1(VALU_DEP_4)
	v_dual_ashrrev_i32 v27, 31, v27 :: v_dual_bitop2_b32 v26, vcc_lo, v26 bitop3:0x14
	v_dual_lshlrev_b32 v29, 29, v25 :: v_dual_lshlrev_b32 v30, 28, v25
	v_dual_lshlrev_b32 v31, 27, v25 :: v_dual_lshlrev_b32 v32, 26, v25
	v_lshlrev_b32_e32 v33, 25, v25
	v_cmp_gt_i32_e64 s0, 0, v28
	v_cmp_gt_i32_e64 s1, 0, v29
	v_not_b32_e32 v28, v29
	v_not_b32_e32 v29, v30
	v_lshlrev_b32_e32 v34, 24, v25
	v_cmp_gt_i32_e64 s3, 0, v30
	v_cmp_gt_i32_e64 s4, 0, v31
	v_not_b32_e32 v30, v31
	v_not_b32_e32 v31, v32
	v_dual_ashrrev_i32 v28, 31, v28 :: v_dual_ashrrev_i32 v29, 31, v29
	s_delay_alu instid0(VALU_DEP_3)
	v_dual_ashrrev_i32 v30, 31, v30 :: v_dual_bitop2_b32 v27, s0, v27 bitop3:0x14
	v_cmp_gt_i32_e64 s5, 0, v32
	v_cmp_gt_i32_e64 s6, 0, v33
	v_not_b32_e32 v32, v33
	v_not_b32_e32 v33, v34
	v_dual_ashrrev_i32 v31, 31, v31 :: v_dual_bitop2_b32 v28, s1, v28 bitop3:0x14
	s_delay_alu instid0(VALU_DEP_3) | instskip(SKIP_4) | instid1(VALU_DEP_4)
	v_dual_ashrrev_i32 v32, 31, v32 :: v_dual_bitop2_b32 v29, s3, v29 bitop3:0x14
	v_bitop3_b32 v26, v26, v27, exec_lo bitop3:0x80
	v_cmp_gt_i32_e64 s7, 0, v34
	v_dual_ashrrev_i32 v33, 31, v33 :: v_dual_bitop2_b32 v30, s4, v30 bitop3:0x14
	v_xor_b32_e32 v31, s5, v31
	v_bitop3_b32 v26, v26, v29, v28 bitop3:0x80
	v_mad_u32_u24 v27, 0x44, v25, v0
	v_xor_b32_e32 v28, s6, v32
	v_xor_b32_e32 v29, s7, v33
	s_delay_alu instid0(VALU_DEP_4) | instskip(SKIP_2) | instid1(VALU_DEP_1)
	v_bitop3_b32 v26, v26, v31, v30 bitop3:0x80
	ds_load_b32 v25, v27 offset:64
	; wave barrier
	v_bitop3_b32 v28, v26, v29, v28 bitop3:0x80
	v_mbcnt_lo_u32_b32 v26, v28, 0
	v_cmp_ne_u32_e64 s0, 0, v28
	s_delay_alu instid0(VALU_DEP_2) | instskip(SKIP_1) | instid1(SALU_CYCLE_1)
	v_cmp_eq_u32_e32 vcc_lo, 0, v26
	s_and_b32 s1, s0, vcc_lo
	s_and_saveexec_b32 s0, s1
	s_cbranch_execz .LBB2395_109
; %bb.108:
	s_wait_dscnt 0x0
	v_bcnt_u32_b32 v28, v28, v25
	ds_store_b32 v27, v28 offset:64
.LBB2395_109:
	s_or_b32 exec_lo, exec_lo, s0
	v_xor_b32_e32 v24, -1, v24
	; wave barrier
	s_delay_alu instid0(VALU_DEP_1) | instskip(NEXT) | instid1(VALU_DEP_1)
	v_and_b32_e32 v28, 0xffff, v24
	v_lshrrev_b32_e32 v28, s20, v28
	s_delay_alu instid0(VALU_DEP_1) | instskip(NEXT) | instid1(VALU_DEP_1)
	v_bitop3_b32 v29, v28, 1, s9 bitop3:0x80
	v_add_co_u32 v29, s0, v29, -1
	s_delay_alu instid0(VALU_DEP_1) | instskip(NEXT) | instid1(VALU_DEP_1)
	v_cndmask_b32_e64 v30, 0, 1, s0
	v_cmp_ne_u32_e32 vcc_lo, 0, v30
	s_delay_alu instid0(VALU_DEP_3) | instskip(SKIP_1) | instid1(VALU_DEP_1)
	v_xor_b32_e32 v29, vcc_lo, v29
	v_and_b32_e32 v28, s9, v28
	v_dual_lshlrev_b32 v31, 30, v28 :: v_dual_lshlrev_b32 v32, 29, v28
	s_delay_alu instid0(VALU_DEP_1) | instskip(SKIP_1) | instid1(VALU_DEP_3)
	v_cmp_gt_i32_e64 s0, 0, v31
	v_not_b32_e32 v30, v31
	v_not_b32_e32 v31, v32
	v_cmp_gt_i32_e64 s1, 0, v32
	s_delay_alu instid0(VALU_DEP_2) | instskip(SKIP_2) | instid1(VALU_DEP_3)
	v_dual_ashrrev_i32 v30, 31, v30 :: v_dual_ashrrev_i32 v31, 31, v31
	v_dual_lshlrev_b32 v33, 28, v28 :: v_dual_lshlrev_b32 v34, 27, v28
	v_dual_lshlrev_b32 v35, 26, v28 :: v_dual_lshlrev_b32 v36, 25, v28
	v_dual_lshlrev_b32 v37, 24, v28 :: v_dual_bitop2_b32 v30, s0, v30 bitop3:0x14
	s_delay_alu instid0(VALU_DEP_3)
	v_not_b32_e32 v32, v33
	v_cmp_gt_i32_e64 s3, 0, v33
	v_cmp_gt_i32_e64 s4, 0, v34
	v_not_b32_e32 v33, v34
	v_not_b32_e32 v34, v35
	v_ashrrev_i32_e32 v32, 31, v32
	v_cmp_gt_i32_e64 s5, 0, v35
	v_cmp_gt_i32_e64 s6, 0, v36
	v_not_b32_e32 v35, v36
	v_not_b32_e32 v36, v37
	v_dual_ashrrev_i32 v33, 31, v33 :: v_dual_ashrrev_i32 v34, 31, v34
	v_xor_b32_e32 v31, s1, v31
	v_xor_b32_e32 v32, s3, v32
	v_bitop3_b32 v29, v29, v30, exec_lo bitop3:0x80
	v_cmp_gt_i32_e64 s7, 0, v37
	v_dual_ashrrev_i32 v30, 31, v35 :: v_dual_ashrrev_i32 v35, 31, v36
	v_xor_b32_e32 v33, s4, v33
	v_xor_b32_e32 v34, s5, v34
	v_bitop3_b32 v29, v29, v32, v31 bitop3:0x80
	v_mad_u32_u24 v31, 0x44, v28, v0
	v_xor_b32_e32 v30, s6, v30
	v_xor_b32_e32 v32, s7, v35
	s_delay_alu instid0(VALU_DEP_4) | instskip(SKIP_2) | instid1(VALU_DEP_1)
	v_bitop3_b32 v29, v29, v34, v33 bitop3:0x80
	ds_load_b32 v28, v31 offset:64
	; wave barrier
	v_bitop3_b32 v29, v29, v32, v30 bitop3:0x80
	v_mbcnt_lo_u32_b32 v30, v29, 0
	v_cmp_ne_u32_e64 s0, 0, v29
	s_delay_alu instid0(VALU_DEP_2) | instskip(SKIP_1) | instid1(SALU_CYCLE_1)
	v_cmp_eq_u32_e32 vcc_lo, 0, v30
	s_and_b32 s1, s0, vcc_lo
	s_and_saveexec_b32 s0, s1
	s_cbranch_execz .LBB2395_111
; %bb.110:
	s_wait_dscnt 0x0
	v_bcnt_u32_b32 v29, v29, v28
	ds_store_b32 v31, v29 offset:64
.LBB2395_111:
	s_or_b32 exec_lo, exec_lo, s0
	v_xor_b32_e32 v29, -1, v7
	; wave barrier
	s_delay_alu instid0(VALU_DEP_1) | instskip(NEXT) | instid1(VALU_DEP_1)
	v_and_b32_e32 v7, 0xffff, v29
	v_lshrrev_b32_e32 v7, s20, v7
	s_delay_alu instid0(VALU_DEP_1) | instskip(SKIP_1) | instid1(VALU_DEP_2)
	v_bitop3_b32 v32, v7, 1, s9 bitop3:0x80
	v_and_b32_e32 v7, s9, v7
	v_add_co_u32 v32, s0, v32, -1
	s_delay_alu instid0(VALU_DEP_1) | instskip(NEXT) | instid1(VALU_DEP_3)
	v_cndmask_b32_e64 v33, 0, 1, s0
	v_lshlrev_b32_e32 v34, 30, v7
	s_delay_alu instid0(VALU_DEP_2) | instskip(NEXT) | instid1(VALU_DEP_2)
	v_cmp_ne_u32_e32 vcc_lo, 0, v33
	v_not_b32_e32 v33, v34
	s_delay_alu instid0(VALU_DEP_1) | instskip(SKIP_4) | instid1(VALU_DEP_4)
	v_dual_ashrrev_i32 v33, 31, v33 :: v_dual_bitop2_b32 v32, vcc_lo, v32 bitop3:0x14
	v_dual_lshlrev_b32 v35, 29, v7 :: v_dual_lshlrev_b32 v36, 28, v7
	v_dual_lshlrev_b32 v37, 27, v7 :: v_dual_lshlrev_b32 v38, 26, v7
	v_lshlrev_b32_e32 v39, 25, v7
	v_cmp_gt_i32_e64 s0, 0, v34
	v_cmp_gt_i32_e64 s1, 0, v35
	v_not_b32_e32 v34, v35
	v_not_b32_e32 v35, v36
	v_lshlrev_b32_e32 v40, 24, v7
	v_cmp_gt_i32_e64 s3, 0, v36
	v_cmp_gt_i32_e64 s4, 0, v37
	v_not_b32_e32 v36, v37
	v_not_b32_e32 v37, v38
	v_dual_ashrrev_i32 v34, 31, v34 :: v_dual_ashrrev_i32 v35, 31, v35
	s_delay_alu instid0(VALU_DEP_3)
	v_dual_ashrrev_i32 v36, 31, v36 :: v_dual_bitop2_b32 v33, s0, v33 bitop3:0x14
	v_cmp_gt_i32_e64 s5, 0, v38
	v_cmp_gt_i32_e64 s6, 0, v39
	v_not_b32_e32 v38, v39
	v_not_b32_e32 v39, v40
	v_dual_ashrrev_i32 v37, 31, v37 :: v_dual_bitop2_b32 v34, s1, v34 bitop3:0x14
	v_xor_b32_e32 v35, s3, v35
	v_bitop3_b32 v32, v32, v33, exec_lo bitop3:0x80
	v_cmp_gt_i32_e64 s7, 0, v40
	v_dual_ashrrev_i32 v33, 31, v38 :: v_dual_ashrrev_i32 v38, 31, v39
	v_xor_b32_e32 v36, s4, v36
	v_xor_b32_e32 v37, s5, v37
	v_bitop3_b32 v32, v32, v35, v34 bitop3:0x80
	v_mad_u32_u24 v35, 0x44, v7, v0
	v_xor_b32_e32 v7, s6, v33
	v_xor_b32_e32 v33, s7, v38
	s_delay_alu instid0(VALU_DEP_4) | instskip(SKIP_2) | instid1(VALU_DEP_1)
	v_bitop3_b32 v34, v32, v37, v36 bitop3:0x80
	ds_load_b32 v32, v35 offset:64
	; wave barrier
	v_bitop3_b32 v7, v34, v33, v7 bitop3:0x80
	v_mbcnt_lo_u32_b32 v34, v7, 0
	v_cmp_ne_u32_e64 s0, 0, v7
	s_delay_alu instid0(VALU_DEP_2) | instskip(SKIP_1) | instid1(SALU_CYCLE_1)
	v_cmp_eq_u32_e32 vcc_lo, 0, v34
	s_and_b32 s1, s0, vcc_lo
	s_and_saveexec_b32 s0, s1
	s_cbranch_execz .LBB2395_113
; %bb.112:
	s_wait_dscnt 0x0
	v_bcnt_u32_b32 v7, v7, v32
	ds_store_b32 v35, v7 offset:64
.LBB2395_113:
	s_or_b32 exec_lo, exec_lo, s0
	v_xor_b32_e32 v33, -1, v6
	; wave barrier
	s_delay_alu instid0(VALU_DEP_1) | instskip(NEXT) | instid1(VALU_DEP_1)
	v_and_b32_e32 v6, 0xffff, v33
	v_lshrrev_b32_e32 v6, s20, v6
	s_delay_alu instid0(VALU_DEP_1) | instskip(SKIP_1) | instid1(VALU_DEP_2)
	v_bitop3_b32 v7, v6, 1, s9 bitop3:0x80
	v_and_b32_e32 v6, s9, v6
	v_add_co_u32 v7, s0, v7, -1
	s_delay_alu instid0(VALU_DEP_1) | instskip(NEXT) | instid1(VALU_DEP_3)
	v_cndmask_b32_e64 v36, 0, 1, s0
	v_lshlrev_b32_e32 v37, 30, v6
	s_delay_alu instid0(VALU_DEP_2) | instskip(NEXT) | instid1(VALU_DEP_2)
	v_cmp_ne_u32_e32 vcc_lo, 0, v36
	v_not_b32_e32 v36, v37
	s_delay_alu instid0(VALU_DEP_1) | instskip(SKIP_4) | instid1(VALU_DEP_4)
	v_dual_ashrrev_i32 v36, 31, v36 :: v_dual_bitop2_b32 v7, vcc_lo, v7 bitop3:0x14
	v_dual_lshlrev_b32 v38, 29, v6 :: v_dual_lshlrev_b32 v39, 28, v6
	v_dual_lshlrev_b32 v40, 27, v6 :: v_dual_lshlrev_b32 v41, 26, v6
	v_lshlrev_b32_e32 v42, 25, v6
	v_cmp_gt_i32_e64 s0, 0, v37
	v_cmp_gt_i32_e64 s1, 0, v38
	v_not_b32_e32 v37, v38
	v_not_b32_e32 v38, v39
	v_lshlrev_b32_e32 v43, 24, v6
	v_cmp_gt_i32_e64 s3, 0, v39
	v_cmp_gt_i32_e64 s4, 0, v40
	v_not_b32_e32 v39, v40
	v_not_b32_e32 v40, v41
	v_dual_ashrrev_i32 v37, 31, v37 :: v_dual_ashrrev_i32 v38, 31, v38
	s_delay_alu instid0(VALU_DEP_3)
	v_dual_ashrrev_i32 v39, 31, v39 :: v_dual_bitop2_b32 v36, s0, v36 bitop3:0x14
	v_cmp_gt_i32_e64 s5, 0, v41
	v_cmp_gt_i32_e64 s6, 0, v42
	v_not_b32_e32 v41, v42
	v_not_b32_e32 v42, v43
	v_dual_ashrrev_i32 v40, 31, v40 :: v_dual_bitop2_b32 v37, s1, v37 bitop3:0x14
	v_xor_b32_e32 v38, s3, v38
	v_bitop3_b32 v7, v7, v36, exec_lo bitop3:0x80
	v_cmp_gt_i32_e64 s7, 0, v43
	v_dual_ashrrev_i32 v36, 31, v41 :: v_dual_ashrrev_i32 v41, 31, v42
	v_xor_b32_e32 v42, s4, v39
	v_xor_b32_e32 v40, s5, v40
	v_bitop3_b32 v7, v7, v38, v37 bitop3:0x80
	v_mad_u32_u24 v39, 0x44, v6, v0
	v_xor_b32_e32 v6, s6, v36
	v_xor_b32_e32 v36, s7, v41
	s_delay_alu instid0(VALU_DEP_4) | instskip(SKIP_2) | instid1(VALU_DEP_1)
	v_bitop3_b32 v7, v7, v40, v42 bitop3:0x80
	ds_load_b32 v37, v39 offset:64
	; wave barrier
	v_bitop3_b32 v6, v7, v36, v6 bitop3:0x80
	v_mbcnt_lo_u32_b32 v38, v6, 0
	v_cmp_ne_u32_e64 s0, 0, v6
	s_delay_alu instid0(VALU_DEP_2) | instskip(SKIP_1) | instid1(SALU_CYCLE_1)
	v_cmp_eq_u32_e32 vcc_lo, 0, v38
	s_and_b32 s1, s0, vcc_lo
	s_and_saveexec_b32 s0, s1
	s_cbranch_execz .LBB2395_115
; %bb.114:
	s_wait_dscnt 0x0
	v_bcnt_u32_b32 v6, v6, v37
	ds_store_b32 v39, v6 offset:64
.LBB2395_115:
	s_or_b32 exec_lo, exec_lo, s0
	v_xor_b32_e32 v36, -1, v5
	; wave barrier
	s_delay_alu instid0(VALU_DEP_1) | instskip(NEXT) | instid1(VALU_DEP_1)
	v_and_b32_e32 v5, 0xffff, v36
	v_lshrrev_b32_e32 v5, s20, v5
	s_delay_alu instid0(VALU_DEP_1) | instskip(SKIP_1) | instid1(VALU_DEP_2)
	v_bitop3_b32 v6, v5, 1, s9 bitop3:0x80
	v_and_b32_e32 v5, s9, v5
	v_add_co_u32 v6, s0, v6, -1
	s_delay_alu instid0(VALU_DEP_1) | instskip(NEXT) | instid1(VALU_DEP_3)
	v_cndmask_b32_e64 v7, 0, 1, s0
	v_lshlrev_b32_e32 v40, 30, v5
	s_delay_alu instid0(VALU_DEP_2) | instskip(NEXT) | instid1(VALU_DEP_2)
	v_cmp_ne_u32_e32 vcc_lo, 0, v7
	v_not_b32_e32 v7, v40
	s_delay_alu instid0(VALU_DEP_1) | instskip(SKIP_4) | instid1(VALU_DEP_4)
	v_dual_ashrrev_i32 v7, 31, v7 :: v_dual_bitop2_b32 v6, vcc_lo, v6 bitop3:0x14
	v_dual_lshlrev_b32 v41, 29, v5 :: v_dual_lshlrev_b32 v42, 28, v5
	v_dual_lshlrev_b32 v43, 27, v5 :: v_dual_lshlrev_b32 v44, 26, v5
	v_lshlrev_b32_e32 v45, 25, v5
	v_cmp_gt_i32_e64 s0, 0, v40
	v_cmp_gt_i32_e64 s1, 0, v41
	v_not_b32_e32 v40, v41
	v_not_b32_e32 v41, v42
	v_lshlrev_b32_e32 v46, 24, v5
	v_cmp_gt_i32_e64 s3, 0, v42
	v_cmp_gt_i32_e64 s4, 0, v43
	v_not_b32_e32 v42, v43
	v_not_b32_e32 v43, v44
	v_dual_ashrrev_i32 v40, 31, v40 :: v_dual_ashrrev_i32 v41, 31, v41
	s_delay_alu instid0(VALU_DEP_3)
	v_dual_ashrrev_i32 v42, 31, v42 :: v_dual_bitop2_b32 v7, s0, v7 bitop3:0x14
	v_cmp_gt_i32_e64 s5, 0, v44
	v_cmp_gt_i32_e64 s6, 0, v45
	v_not_b32_e32 v44, v45
	v_not_b32_e32 v45, v46
	v_dual_ashrrev_i32 v43, 31, v43 :: v_dual_bitop2_b32 v40, s1, v40 bitop3:0x14
	v_xor_b32_e32 v41, s3, v41
	v_bitop3_b32 v6, v6, v7, exec_lo bitop3:0x80
	v_cmp_gt_i32_e64 s7, 0, v46
	v_dual_ashrrev_i32 v7, 31, v44 :: v_dual_ashrrev_i32 v44, 31, v45
	v_xor_b32_e32 v42, s4, v42
	v_xor_b32_e32 v45, s5, v43
	v_bitop3_b32 v6, v6, v41, v40 bitop3:0x80
	v_mad_u32_u24 v43, 0x44, v5, v0
	v_xor_b32_e32 v5, s6, v7
	v_xor_b32_e32 v7, s7, v44
	s_delay_alu instid0(VALU_DEP_4) | instskip(SKIP_2) | instid1(VALU_DEP_1)
	v_bitop3_b32 v6, v6, v45, v42 bitop3:0x80
	ds_load_b32 v41, v43 offset:64
	; wave barrier
	v_bitop3_b32 v5, v6, v7, v5 bitop3:0x80
	v_mbcnt_lo_u32_b32 v42, v5, 0
	v_cmp_ne_u32_e64 s0, 0, v5
	s_delay_alu instid0(VALU_DEP_2) | instskip(SKIP_1) | instid1(SALU_CYCLE_1)
	v_cmp_eq_u32_e32 vcc_lo, 0, v42
	s_and_b32 s1, s0, vcc_lo
	s_and_saveexec_b32 s0, s1
	s_cbranch_execz .LBB2395_117
; %bb.116:
	s_wait_dscnt 0x0
	v_bcnt_u32_b32 v5, v5, v41
	ds_store_b32 v43, v5 offset:64
.LBB2395_117:
	s_or_b32 exec_lo, exec_lo, s0
	v_xor_b32_e32 v40, -1, v4
	; wave barrier
	s_delay_alu instid0(VALU_DEP_1) | instskip(NEXT) | instid1(VALU_DEP_1)
	v_and_b32_e32 v4, 0xffff, v40
	v_lshrrev_b32_e32 v4, s20, v4
	s_delay_alu instid0(VALU_DEP_1) | instskip(SKIP_1) | instid1(VALU_DEP_2)
	v_bitop3_b32 v5, v4, 1, s9 bitop3:0x80
	v_and_b32_e32 v4, s9, v4
	v_add_co_u32 v5, s0, v5, -1
	s_delay_alu instid0(VALU_DEP_1) | instskip(NEXT) | instid1(VALU_DEP_3)
	v_cndmask_b32_e64 v6, 0, 1, s0
	v_lshlrev_b32_e32 v7, 30, v4
	s_delay_alu instid0(VALU_DEP_2) | instskip(NEXT) | instid1(VALU_DEP_2)
	v_cmp_ne_u32_e32 vcc_lo, 0, v6
	v_not_b32_e32 v6, v7
	s_delay_alu instid0(VALU_DEP_1) | instskip(SKIP_4) | instid1(VALU_DEP_4)
	v_dual_ashrrev_i32 v6, 31, v6 :: v_dual_bitop2_b32 v5, vcc_lo, v5 bitop3:0x14
	v_dual_lshlrev_b32 v44, 29, v4 :: v_dual_lshlrev_b32 v45, 28, v4
	v_dual_lshlrev_b32 v46, 27, v4 :: v_dual_lshlrev_b32 v47, 26, v4
	v_lshlrev_b32_e32 v48, 25, v4
	v_cmp_gt_i32_e64 s0, 0, v7
	v_cmp_gt_i32_e64 s1, 0, v44
	v_not_b32_e32 v7, v44
	v_not_b32_e32 v44, v45
	v_lshlrev_b32_e32 v49, 24, v4
	v_cmp_gt_i32_e64 s3, 0, v45
	v_cmp_gt_i32_e64 s4, 0, v46
	v_not_b32_e32 v45, v46
	v_not_b32_e32 v46, v47
	v_dual_ashrrev_i32 v7, 31, v7 :: v_dual_ashrrev_i32 v44, 31, v44
	s_delay_alu instid0(VALU_DEP_3)
	v_dual_ashrrev_i32 v45, 31, v45 :: v_dual_bitop2_b32 v6, s0, v6 bitop3:0x14
	v_cmp_gt_i32_e64 s5, 0, v47
	v_cmp_gt_i32_e64 s6, 0, v48
	v_not_b32_e32 v47, v48
	v_not_b32_e32 v48, v49
	v_dual_ashrrev_i32 v46, 31, v46 :: v_dual_bitop2_b32 v7, s1, v7 bitop3:0x14
	v_xor_b32_e32 v44, s3, v44
	v_bitop3_b32 v5, v5, v6, exec_lo bitop3:0x80
	v_cmp_gt_i32_e64 s7, 0, v49
	v_dual_ashrrev_i32 v6, 31, v47 :: v_dual_ashrrev_i32 v48, 31, v48
	v_xor_b32_e32 v45, s4, v45
	v_xor_b32_e32 v46, s5, v46
	v_bitop3_b32 v5, v5, v44, v7 bitop3:0x80
	v_mad_u32_u24 v47, 0x44, v4, v0
	v_xor_b32_e32 v4, s6, v6
	v_xor_b32_e32 v6, s7, v48
	s_delay_alu instid0(VALU_DEP_4) | instskip(SKIP_2) | instid1(VALU_DEP_1)
	v_bitop3_b32 v5, v5, v46, v45 bitop3:0x80
	ds_load_b32 v45, v47 offset:64
	; wave barrier
	v_bitop3_b32 v4, v5, v6, v4 bitop3:0x80
	v_mbcnt_lo_u32_b32 v46, v4, 0
	v_cmp_ne_u32_e64 s0, 0, v4
	s_delay_alu instid0(VALU_DEP_2) | instskip(SKIP_1) | instid1(SALU_CYCLE_1)
	v_cmp_eq_u32_e32 vcc_lo, 0, v46
	s_and_b32 s1, s0, vcc_lo
	s_and_saveexec_b32 s0, s1
	s_cbranch_execz .LBB2395_119
; %bb.118:
	s_wait_dscnt 0x0
	v_bcnt_u32_b32 v4, v4, v45
	ds_store_b32 v47, v4 offset:64
.LBB2395_119:
	s_or_b32 exec_lo, exec_lo, s0
	v_xor_b32_e32 v44, -1, v3
	; wave barrier
	s_delay_alu instid0(VALU_DEP_1) | instskip(NEXT) | instid1(VALU_DEP_1)
	v_and_b32_e32 v3, 0xffff, v44
	v_lshrrev_b32_e32 v3, s20, v3
	s_delay_alu instid0(VALU_DEP_1) | instskip(SKIP_1) | instid1(VALU_DEP_2)
	v_bitop3_b32 v4, v3, 1, s9 bitop3:0x80
	v_and_b32_e32 v3, s9, v3
	v_add_co_u32 v4, s0, v4, -1
	s_delay_alu instid0(VALU_DEP_1) | instskip(NEXT) | instid1(VALU_DEP_3)
	v_cndmask_b32_e64 v5, 0, 1, s0
	v_lshlrev_b32_e32 v6, 30, v3
	s_delay_alu instid0(VALU_DEP_2) | instskip(NEXT) | instid1(VALU_DEP_2)
	v_cmp_ne_u32_e32 vcc_lo, 0, v5
	v_not_b32_e32 v5, v6
	s_delay_alu instid0(VALU_DEP_1) | instskip(SKIP_4) | instid1(VALU_DEP_4)
	v_dual_ashrrev_i32 v5, 31, v5 :: v_dual_bitop2_b32 v4, vcc_lo, v4 bitop3:0x14
	v_dual_lshlrev_b32 v7, 29, v3 :: v_dual_lshlrev_b32 v48, 28, v3
	v_dual_lshlrev_b32 v49, 27, v3 :: v_dual_lshlrev_b32 v50, 26, v3
	v_lshlrev_b32_e32 v51, 25, v3
	v_cmp_gt_i32_e64 s0, 0, v6
	v_cmp_gt_i32_e64 s1, 0, v7
	v_not_b32_e32 v6, v7
	v_not_b32_e32 v7, v48
	v_lshlrev_b32_e32 v52, 24, v3
	v_cmp_gt_i32_e64 s3, 0, v48
	v_cmp_gt_i32_e64 s4, 0, v49
	v_not_b32_e32 v48, v49
	v_not_b32_e32 v49, v50
	v_dual_ashrrev_i32 v6, 31, v6 :: v_dual_ashrrev_i32 v7, 31, v7
	s_delay_alu instid0(VALU_DEP_3)
	v_dual_ashrrev_i32 v48, 31, v48 :: v_dual_bitop2_b32 v5, s0, v5 bitop3:0x14
	v_cmp_gt_i32_e64 s5, 0, v50
	v_cmp_gt_i32_e64 s6, 0, v51
	v_not_b32_e32 v50, v51
	v_not_b32_e32 v51, v52
	v_dual_ashrrev_i32 v49, 31, v49 :: v_dual_bitop2_b32 v6, s1, v6 bitop3:0x14
	v_xor_b32_e32 v7, s3, v7
	v_bitop3_b32 v4, v4, v5, exec_lo bitop3:0x80
	v_cmp_gt_i32_e64 s7, 0, v52
	v_dual_ashrrev_i32 v5, 31, v50 :: v_dual_ashrrev_i32 v50, 31, v51
	v_xor_b32_e32 v48, s4, v48
	v_xor_b32_e32 v49, s5, v49
	v_bitop3_b32 v4, v4, v7, v6 bitop3:0x80
	v_mad_u32_u24 v52, 0x44, v3, v0
	v_xor_b32_e32 v3, s6, v5
	v_xor_b32_e32 v5, s7, v50
	s_delay_alu instid0(VALU_DEP_4) | instskip(SKIP_2) | instid1(VALU_DEP_1)
	v_bitop3_b32 v4, v4, v49, v48 bitop3:0x80
	ds_load_b32 v48, v52 offset:64
	; wave barrier
	v_bitop3_b32 v3, v4, v5, v3 bitop3:0x80
	v_mbcnt_lo_u32_b32 v50, v3, 0
	v_cmp_ne_u32_e64 s0, 0, v3
	s_delay_alu instid0(VALU_DEP_2) | instskip(SKIP_1) | instid1(SALU_CYCLE_1)
	v_cmp_eq_u32_e32 vcc_lo, 0, v50
	s_and_b32 s1, s0, vcc_lo
	s_and_saveexec_b32 s0, s1
	s_cbranch_execz .LBB2395_121
; %bb.120:
	s_wait_dscnt 0x0
	v_bcnt_u32_b32 v3, v3, v48
	ds_store_b32 v52, v3 offset:64
.LBB2395_121:
	s_or_b32 exec_lo, exec_lo, s0
	v_xor_b32_e32 v49, -1, v2
	; wave barrier
	s_delay_alu instid0(VALU_DEP_1) | instskip(NEXT) | instid1(VALU_DEP_1)
	v_and_b32_e32 v2, 0xffff, v49
	v_lshrrev_b32_e32 v2, s20, v2
	s_delay_alu instid0(VALU_DEP_1) | instskip(SKIP_1) | instid1(VALU_DEP_2)
	v_bitop3_b32 v3, v2, 1, s9 bitop3:0x80
	v_and_b32_e32 v2, s9, v2
	v_add_co_u32 v3, s0, v3, -1
	s_delay_alu instid0(VALU_DEP_1) | instskip(NEXT) | instid1(VALU_DEP_3)
	v_cndmask_b32_e64 v4, 0, 1, s0
	v_lshlrev_b32_e32 v5, 30, v2
	s_delay_alu instid0(VALU_DEP_2) | instskip(NEXT) | instid1(VALU_DEP_2)
	v_cmp_ne_u32_e32 vcc_lo, 0, v4
	v_not_b32_e32 v4, v5
	s_delay_alu instid0(VALU_DEP_1) | instskip(SKIP_4) | instid1(VALU_DEP_4)
	v_dual_ashrrev_i32 v4, 31, v4 :: v_dual_bitop2_b32 v3, vcc_lo, v3 bitop3:0x14
	v_dual_lshlrev_b32 v6, 29, v2 :: v_dual_lshlrev_b32 v7, 28, v2
	v_dual_lshlrev_b32 v51, 27, v2 :: v_dual_lshlrev_b32 v53, 26, v2
	v_lshlrev_b32_e32 v54, 25, v2
	v_cmp_gt_i32_e64 s0, 0, v5
	v_cmp_gt_i32_e64 s1, 0, v6
	v_not_b32_e32 v5, v6
	v_not_b32_e32 v6, v7
	v_lshlrev_b32_e32 v55, 24, v2
	v_cmp_gt_i32_e64 s3, 0, v7
	v_cmp_gt_i32_e64 s4, 0, v51
	v_not_b32_e32 v7, v51
	v_not_b32_e32 v51, v53
	v_dual_ashrrev_i32 v5, 31, v5 :: v_dual_ashrrev_i32 v6, 31, v6
	s_delay_alu instid0(VALU_DEP_3)
	v_dual_ashrrev_i32 v7, 31, v7 :: v_dual_bitop2_b32 v4, s0, v4 bitop3:0x14
	v_cmp_gt_i32_e64 s5, 0, v53
	v_cmp_gt_i32_e64 s6, 0, v54
	v_not_b32_e32 v53, v54
	v_not_b32_e32 v54, v55
	v_dual_ashrrev_i32 v51, 31, v51 :: v_dual_bitop2_b32 v5, s1, v5 bitop3:0x14
	v_xor_b32_e32 v6, s3, v6
	v_bitop3_b32 v3, v3, v4, exec_lo bitop3:0x80
	v_cmp_gt_i32_e64 s7, 0, v55
	v_dual_ashrrev_i32 v4, 31, v53 :: v_dual_ashrrev_i32 v53, 31, v54
	v_xor_b32_e32 v7, s4, v7
	v_xor_b32_e32 v51, s5, v51
	v_bitop3_b32 v3, v3, v6, v5 bitop3:0x80
	v_mad_u32_u24 v57, 0x44, v2, v0
	v_xor_b32_e32 v2, s6, v4
	v_xor_b32_e32 v4, s7, v53
	s_delay_alu instid0(VALU_DEP_4) | instskip(SKIP_2) | instid1(VALU_DEP_1)
	v_bitop3_b32 v3, v3, v51, v7 bitop3:0x80
	ds_load_b32 v51, v57 offset:64
	; wave barrier
	v_bitop3_b32 v2, v3, v4, v2 bitop3:0x80
	v_mbcnt_lo_u32_b32 v54, v2, 0
	v_cmp_ne_u32_e64 s0, 0, v2
	s_delay_alu instid0(VALU_DEP_2) | instskip(SKIP_1) | instid1(SALU_CYCLE_1)
	v_cmp_eq_u32_e32 vcc_lo, 0, v54
	s_and_b32 s1, s0, vcc_lo
	s_and_saveexec_b32 s0, s1
	s_cbranch_execz .LBB2395_123
; %bb.122:
	s_wait_dscnt 0x0
	v_bcnt_u32_b32 v2, v2, v51
	ds_store_b32 v57, v2 offset:64
.LBB2395_123:
	s_or_b32 exec_lo, exec_lo, s0
	v_xor_b32_e32 v53, -1, v1
	; wave barrier
	s_delay_alu instid0(VALU_DEP_1) | instskip(NEXT) | instid1(VALU_DEP_1)
	v_and_b32_e32 v1, 0xffff, v53
	v_lshrrev_b32_e32 v1, s20, v1
	s_delay_alu instid0(VALU_DEP_1) | instskip(SKIP_1) | instid1(VALU_DEP_2)
	v_bitop3_b32 v2, v1, 1, s9 bitop3:0x80
	v_and_b32_e32 v1, s9, v1
	v_add_co_u32 v2, s0, v2, -1
	s_delay_alu instid0(VALU_DEP_1) | instskip(NEXT) | instid1(VALU_DEP_3)
	v_cndmask_b32_e64 v3, 0, 1, s0
	v_lshlrev_b32_e32 v4, 30, v1
	s_delay_alu instid0(VALU_DEP_2) | instskip(NEXT) | instid1(VALU_DEP_2)
	v_cmp_ne_u32_e32 vcc_lo, 0, v3
	v_not_b32_e32 v3, v4
	s_delay_alu instid0(VALU_DEP_1) | instskip(SKIP_4) | instid1(VALU_DEP_4)
	v_dual_ashrrev_i32 v3, 31, v3 :: v_dual_bitop2_b32 v2, vcc_lo, v2 bitop3:0x14
	v_dual_lshlrev_b32 v5, 29, v1 :: v_dual_lshlrev_b32 v6, 28, v1
	v_dual_lshlrev_b32 v7, 27, v1 :: v_dual_lshlrev_b32 v55, 26, v1
	v_lshlrev_b32_e32 v56, 25, v1
	v_cmp_gt_i32_e64 s0, 0, v4
	v_cmp_gt_i32_e64 s1, 0, v5
	v_not_b32_e32 v4, v5
	v_not_b32_e32 v5, v6
	v_lshlrev_b32_e32 v58, 24, v1
	v_cmp_gt_i32_e64 s3, 0, v6
	v_cmp_gt_i32_e64 s4, 0, v7
	v_not_b32_e32 v6, v7
	v_not_b32_e32 v7, v55
	v_dual_ashrrev_i32 v4, 31, v4 :: v_dual_ashrrev_i32 v5, 31, v5
	s_delay_alu instid0(VALU_DEP_3)
	v_dual_ashrrev_i32 v6, 31, v6 :: v_dual_bitop2_b32 v3, s0, v3 bitop3:0x14
	v_cmp_gt_i32_e64 s5, 0, v55
	v_cmp_gt_i32_e64 s6, 0, v56
	v_not_b32_e32 v55, v56
	v_not_b32_e32 v56, v58
	v_dual_ashrrev_i32 v7, 31, v7 :: v_dual_bitop2_b32 v4, s1, v4 bitop3:0x14
	v_xor_b32_e32 v5, s3, v5
	v_bitop3_b32 v2, v2, v3, exec_lo bitop3:0x80
	v_cmp_gt_i32_e64 s7, 0, v58
	v_dual_ashrrev_i32 v3, 31, v55 :: v_dual_ashrrev_i32 v55, 31, v56
	v_xor_b32_e32 v6, s4, v6
	v_xor_b32_e32 v7, s5, v7
	v_bitop3_b32 v2, v2, v5, v4 bitop3:0x80
	v_mad_u32_u24 v58, 0x44, v1, v0
	v_xor_b32_e32 v0, s6, v3
	v_xor_b32_e32 v1, s7, v55
	s_delay_alu instid0(VALU_DEP_4) | instskip(SKIP_2) | instid1(VALU_DEP_1)
	v_bitop3_b32 v2, v2, v7, v6 bitop3:0x80
	ds_load_b32 v55, v58 offset:64
	; wave barrier
	v_bitop3_b32 v0, v2, v1, v0 bitop3:0x80
	v_mbcnt_lo_u32_b32 v56, v0, 0
	v_cmp_ne_u32_e64 s0, 0, v0
	s_delay_alu instid0(VALU_DEP_2) | instskip(SKIP_1) | instid1(SALU_CYCLE_1)
	v_cmp_eq_u32_e32 vcc_lo, 0, v56
	s_and_b32 s1, s0, vcc_lo
	s_and_saveexec_b32 s0, s1
	s_cbranch_execz .LBB2395_125
; %bb.124:
	s_wait_dscnt 0x0
	v_bcnt_u32_b32 v0, v0, v55
	ds_store_b32 v58, v0 offset:64
.LBB2395_125:
	s_or_b32 exec_lo, exec_lo, s0
	; wave barrier
	s_wait_dscnt 0x0
	s_barrier_signal -1
	s_barrier_wait -1
	ds_load_2addr_b32 v[6:7], v11 offset0:16 offset1:17
	ds_load_2addr_b32 v[4:5], v11 offset0:18 offset1:19
	;; [unrolled: 1-line block ×4, first 2 shown]
	ds_load_b32 v59, v11 offset:96
	v_min_u32_e32 v16, 0x1e0, v16
	s_mov_b32 s5, exec_lo
	s_delay_alu instid0(VALU_DEP_1) | instskip(SKIP_3) | instid1(VALU_DEP_1)
	v_or_b32_e32 v62, 31, v16
	s_wait_dscnt 0x3
	v_add3_u32 v60, v7, v6, v4
	s_wait_dscnt 0x2
	v_add3_u32 v60, v60, v5, v2
	s_wait_dscnt 0x1
	s_delay_alu instid0(VALU_DEP_1) | instskip(SKIP_1) | instid1(VALU_DEP_1)
	v_add3_u32 v60, v60, v3, v0
	s_wait_dscnt 0x0
	v_add3_u32 v59, v60, v1, v59
	v_and_b32_e32 v60, 15, v15
	s_delay_alu instid0(VALU_DEP_2) | instskip(NEXT) | instid1(VALU_DEP_2)
	v_mov_b32_dpp v61, v59 row_shr:1 row_mask:0xf bank_mask:0xf
	v_cmp_eq_u32_e32 vcc_lo, 0, v60
	v_cmp_lt_u32_e64 s0, 1, v60
	s_delay_alu instid0(VALU_DEP_3) | instskip(NEXT) | instid1(VALU_DEP_1)
	v_cndmask_b32_e64 v61, v61, 0, vcc_lo
	v_add_nc_u32_e32 v59, v61, v59
	s_delay_alu instid0(VALU_DEP_1) | instskip(NEXT) | instid1(VALU_DEP_1)
	v_mov_b32_dpp v61, v59 row_shr:2 row_mask:0xf bank_mask:0xf
	v_cndmask_b32_e64 v61, 0, v61, s0
	v_cmp_lt_u32_e64 s3, 7, v60
	v_cmp_lt_u32_e64 s1, 3, v60
	s_delay_alu instid0(VALU_DEP_3) | instskip(NEXT) | instid1(VALU_DEP_1)
	v_add_nc_u32_e32 v59, v59, v61
	v_mov_b32_dpp v61, v59 row_shr:4 row_mask:0xf bank_mask:0xf
	s_delay_alu instid0(VALU_DEP_1) | instskip(NEXT) | instid1(VALU_DEP_1)
	v_cndmask_b32_e64 v61, 0, v61, s1
	v_add_nc_u32_e32 v59, v59, v61
	s_delay_alu instid0(VALU_DEP_1) | instskip(NEXT) | instid1(VALU_DEP_1)
	v_mov_b32_dpp v61, v59 row_shr:8 row_mask:0xf bank_mask:0xf
	v_cndmask_b32_e64 v60, 0, v61, s3
	v_bfe_i32 v61, v15, 4, 1
	s_delay_alu instid0(VALU_DEP_2) | instskip(SKIP_3) | instid1(VALU_DEP_1)
	v_add_nc_u32_e32 v60, v59, v60
	ds_swizzle_b32 v59, v60 offset:swizzle(BROADCAST,32,15)
	s_wait_dscnt 0x0
	v_dual_lshrrev_b32 v59, 5, v14 :: v_dual_bitop2_b32 v61, v61, v59 bitop3:0x40
	v_add_nc_u32_e32 v16, v60, v61
	v_cmpx_eq_u32_e64 v14, v62
; %bb.126:
	s_delay_alu instid0(VALU_DEP_3)
	v_lshlrev_b32_e32 v60, 2, v59
	ds_store_b32 v60, v16
; %bb.127:
	s_or_b32 exec_lo, exec_lo, s5
	s_delay_alu instid0(SALU_CYCLE_1)
	s_mov_b32 s5, exec_lo
	s_wait_dscnt 0x0
	s_barrier_signal -1
	s_barrier_wait -1
	v_cmpx_gt_u32_e32 16, v14
	s_cbranch_execz .LBB2395_129
; %bb.128:
	v_lshlrev_b32_e32 v60, 2, v14
	ds_load_b32 v61, v60
	s_wait_dscnt 0x0
	v_mov_b32_dpp v62, v61 row_shr:1 row_mask:0xf bank_mask:0xf
	s_delay_alu instid0(VALU_DEP_1) | instskip(NEXT) | instid1(VALU_DEP_1)
	v_cndmask_b32_e64 v62, v62, 0, vcc_lo
	v_add_nc_u32_e32 v61, v62, v61
	s_delay_alu instid0(VALU_DEP_1) | instskip(NEXT) | instid1(VALU_DEP_1)
	v_mov_b32_dpp v62, v61 row_shr:2 row_mask:0xf bank_mask:0xf
	v_cndmask_b32_e64 v62, 0, v62, s0
	s_delay_alu instid0(VALU_DEP_1) | instskip(NEXT) | instid1(VALU_DEP_1)
	v_add_nc_u32_e32 v61, v61, v62
	v_mov_b32_dpp v62, v61 row_shr:4 row_mask:0xf bank_mask:0xf
	s_delay_alu instid0(VALU_DEP_1) | instskip(NEXT) | instid1(VALU_DEP_1)
	v_cndmask_b32_e64 v62, 0, v62, s1
	v_add_nc_u32_e32 v61, v61, v62
	s_delay_alu instid0(VALU_DEP_1) | instskip(NEXT) | instid1(VALU_DEP_1)
	v_mov_b32_dpp v62, v61 row_shr:8 row_mask:0xf bank_mask:0xf
	v_cndmask_b32_e64 v62, 0, v62, s3
	s_delay_alu instid0(VALU_DEP_1)
	v_add_nc_u32_e32 v61, v61, v62
	ds_store_b32 v60, v61
.LBB2395_129:
	s_or_b32 exec_lo, exec_lo, s5
	v_mov_b32_e32 v60, 0
	s_mov_b32 s0, exec_lo
	s_wait_dscnt 0x0
	s_barrier_signal -1
	s_barrier_wait -1
	v_cmpx_lt_u32_e32 31, v14
; %bb.130:
	v_lshl_add_u32 v59, v59, 2, -4
	ds_load_b32 v60, v59
; %bb.131:
	s_or_b32 exec_lo, exec_lo, s0
	v_sub_co_u32 v59, vcc_lo, v15, 1
	s_wait_dscnt 0x0
	v_add_nc_u32_e32 v16, v60, v16
	s_delay_alu instid0(VALU_DEP_2) | instskip(NEXT) | instid1(VALU_DEP_1)
	v_cmp_gt_i32_e64 s0, 0, v59
	v_cndmask_b32_e64 v15, v59, v15, s0
	v_cmp_gt_u32_e64 s0, 0x100, v14
	s_delay_alu instid0(VALU_DEP_2) | instskip(SKIP_4) | instid1(VALU_DEP_2)
	v_lshlrev_b32_e32 v15, 2, v15
	ds_bpermute_b32 v15, v15, v16
	s_wait_dscnt 0x0
	v_cndmask_b32_e32 v15, v15, v60, vcc_lo
	v_cmp_lt_u32_e32 vcc_lo, 0xff, v14
	v_cndmask_b32_e64 v15, v15, 0, s2
	s_delay_alu instid0(VALU_DEP_1) | instskip(NEXT) | instid1(VALU_DEP_1)
	v_add_nc_u32_e32 v6, v15, v6
	v_add_nc_u32_e32 v7, v6, v7
	s_delay_alu instid0(VALU_DEP_1) | instskip(NEXT) | instid1(VALU_DEP_1)
	v_add_nc_u32_e32 v4, v7, v4
	v_add_nc_u32_e32 v5, v4, v5
	;; [unrolled: 3-line block ×4, first 2 shown]
	ds_store_2addr_b32 v11, v15, v6 offset0:16 offset1:17
	ds_store_2addr_b32 v11, v7, v4 offset0:18 offset1:19
	;; [unrolled: 1-line block ×4, first 2 shown]
	ds_store_b32 v11, v1 offset:96
	s_wait_dscnt 0x0
	s_barrier_signal -1
	s_barrier_wait -1
	ds_load_b32 v59, v12 offset:64
	ds_load_b32 v60, v19 offset:64
	;; [unrolled: 1-line block ×12, first 2 shown]
	v_mov_b64_e32 v[0:1], 0
                                        ; implicit-def: $vgpr2
	s_and_saveexec_b32 s2, s0
	s_cbranch_execz .LBB2395_135
; %bb.132:
	v_mul_u32_u24_e32 v0, 0x44, v14
	v_dual_mov_b32 v1, 0x1800 :: v_dual_add_nc_u32 v2, 1, v14
	s_mov_b32 s3, exec_lo
	ds_load_b32 v0, v0 offset:64
	v_cmpx_ne_u32_e32 0x100, v2
; %bb.133:
	v_mul_u32_u24_e32 v1, 0x44, v2
	ds_load_b32 v1, v1 offset:64
; %bb.134:
	s_or_b32 exec_lo, exec_lo, s3
	s_wait_dscnt 0x0
	v_dual_mov_b32 v1, 0 :: v_dual_sub_nc_u32 v2, v1, v0
.LBB2395_135:
	s_or_b32 exec_lo, exec_lo, s2
	s_wait_dscnt 0xa
	v_dual_lshlrev_b32 v9, 1, v9 :: v_dual_lshlrev_b32 v23, 1, v60
	v_dual_lshlrev_b32 v18, 1, v18 :: v_dual_lshlrev_b32 v17, 1, v17
	v_lshlrev_b32_e32 v21, 1, v21
	s_delay_alu instid0(VALU_DEP_3)
	v_lshl_add_u32 v9, v59, 1, v9
	s_wait_dscnt 0x0
	s_barrier_signal -1
	v_add3_u32 v17, v23, v18, v17
	v_dual_lshlrev_b32 v18, 1, v19 :: v_dual_lshlrev_b32 v19, 1, v22
	s_barrier_wait -1
	ds_store_b16 v9, v8 offset:2048
	ds_store_b16 v17, v10 offset:2048
	v_lshlrev_b32_e32 v9, 1, v16
	v_add3_u32 v8, v18, v19, v21
	v_dual_lshlrev_b32 v10, 1, v26 :: v_dual_lshlrev_b32 v16, 1, v25
	v_dual_lshlrev_b32 v18, 1, v28 :: v_dual_lshlrev_b32 v19, 1, v34
	v_dual_lshlrev_b32 v12, 1, v12 :: v_dual_lshlrev_b32 v11, 1, v11
	v_dual_lshlrev_b32 v21, 1, v32 :: v_dual_lshlrev_b32 v22, 1, v38
	v_dual_lshlrev_b32 v15, 1, v15 :: v_dual_lshlrev_b32 v17, 1, v30
	v_dual_lshlrev_b32 v23, 1, v37 :: v_dual_lshlrev_b32 v7, 1, v7
	ds_store_b16 v8, v13 offset:2048
	v_add3_u32 v8, v9, v10, v16
	v_add3_u32 v10, v12, v19, v21
	v_dual_lshlrev_b32 v12, 1, v42 :: v_dual_lshlrev_b32 v13, 1, v41
	v_add3_u32 v9, v15, v17, v18
	v_add3_u32 v11, v11, v22, v23
	ds_store_b16 v8, v20 offset:2048
	ds_store_b16 v9, v24 offset:2048
	;; [unrolled: 1-line block ×4, first 2 shown]
	v_add3_u32 v7, v7, v12, v13
	v_dual_lshlrev_b32 v6, 1, v6 :: v_dual_lshlrev_b32 v9, 1, v45
	v_dual_lshlrev_b32 v8, 1, v46 :: v_dual_lshlrev_b32 v5, 1, v5
	;; [unrolled: 1-line block ×4, first 2 shown]
	v_lshlrev_b32_e32 v3, 1, v3
	v_dual_lshlrev_b32 v16, 1, v55 :: v_dual_lshlrev_b32 v4, 1, v4
	v_lshlrev_b32_e32 v12, 1, v54
	ds_store_b16 v7, v36 offset:2048
	v_add3_u32 v6, v6, v8, v9
	v_add3_u32 v7, v5, v10, v11
	v_mov_b32_e32 v5, 0
	v_add3_u32 v8, v3, v15, v16
	v_lshlrev_b32_e32 v3, 3, v14
	v_add3_u32 v4, v4, v12, v13
	ds_store_b16 v6, v40 offset:2048
	ds_store_b16 v7, v44 offset:2048
	;; [unrolled: 1-line block ×4, first 2 shown]
	s_and_saveexec_b32 s1, s0
	s_cbranch_execz .LBB2395_145
; %bb.136:
	v_lshl_add_u32 v4, s23, 8, v14
	v_dual_mov_b32 v8, 0 :: v_dual_bitop2_b32 v9, 2.0, v2 bitop3:0x54
	s_mov_b32 s2, 0
	s_mov_b32 s3, s23
	s_delay_alu instid0(VALU_DEP_2)
	v_lshl_add_u64 v[6:7], v[4:5], 2, s[10:11]
	global_store_b32 v4, v9, s[10:11] scale_offset scope:SCOPE_DEV
                                        ; implicit-def: $sgpr0
	s_branch .LBB2395_139
.LBB2395_137:                           ;   in Loop: Header=BB2395_139 Depth=1
	s_or_b32 exec_lo, exec_lo, s5
.LBB2395_138:                           ;   in Loop: Header=BB2395_139 Depth=1
	s_delay_alu instid0(SALU_CYCLE_1) | instskip(SKIP_2) | instid1(VALU_DEP_2)
	s_or_b32 exec_lo, exec_lo, s4
	v_and_b32_e32 v4, 0x3fffffff, v9
	v_cmp_gt_i32_e64 s0, -2.0, v9
	v_add_nc_u32_e32 v8, v4, v8
	s_and_b32 s4, exec_lo, s0
	s_delay_alu instid0(SALU_CYCLE_1) | instskip(NEXT) | instid1(SALU_CYCLE_1)
	s_or_b32 s2, s4, s2
	s_and_not1_b32 exec_lo, exec_lo, s2
	s_cbranch_execz .LBB2395_144
.LBB2395_139:                           ; =>This Loop Header: Depth=1
                                        ;     Child Loop BB2395_142 Depth 2
	s_or_b32 s0, s0, exec_lo
	s_cmp_eq_u32 s3, 0
	s_cbranch_scc1 .LBB2395_143
; %bb.140:                              ;   in Loop: Header=BB2395_139 Depth=1
	s_add_co_i32 s3, s3, -1
	s_mov_b32 s4, exec_lo
	s_wait_xcnt 0x0
	v_lshl_or_b32 v4, s3, 8, v14
	global_load_b32 v9, v4, s[10:11] scale_offset scope:SCOPE_DEV
	s_wait_loadcnt 0x0
	v_cmpx_gt_u32_e32 2.0, v9
	s_cbranch_execz .LBB2395_138
; %bb.141:                              ;   in Loop: Header=BB2395_139 Depth=1
	v_lshl_add_u64 v[10:11], v[4:5], 2, s[10:11]
	s_mov_b32 s5, 0
.LBB2395_142:                           ;   Parent Loop BB2395_139 Depth=1
                                        ; =>  This Inner Loop Header: Depth=2
	global_load_b32 v9, v[10:11], off scope:SCOPE_DEV
	s_wait_loadcnt 0x0
	v_cmp_lt_u32_e64 s0, 0x3fffffff, v9
	s_or_b32 s5, s0, s5
	s_wait_xcnt 0x0
	s_and_not1_b32 exec_lo, exec_lo, s5
	s_cbranch_execnz .LBB2395_142
	s_branch .LBB2395_137
.LBB2395_143:                           ;   in Loop: Header=BB2395_139 Depth=1
                                        ; implicit-def: $sgpr3
	s_and_b32 s4, exec_lo, s0
	s_delay_alu instid0(SALU_CYCLE_1)
	s_or_b32 s2, s4, s2
	s_wait_xcnt 0x0
	s_and_not1_b32 exec_lo, exec_lo, s2
	s_cbranch_execnz .LBB2395_139
.LBB2395_144:
	s_or_b32 exec_lo, exec_lo, s2
	v_dual_mov_b32 v9, 0 :: v_dual_add_nc_u32 v4, v8, v2
	s_delay_alu instid0(VALU_DEP_1) | instskip(SKIP_4) | instid1(VALU_DEP_1)
	v_or_b32_e32 v4, 0x80000000, v4
	global_store_b32 v[6:7], v4, off scope:SCOPE_DEV
	global_load_b64 v[4:5], v14, s[12:13] scale_offset
	v_sub_nc_u64_e32 v[6:7], v[8:9], v[0:1]
	s_wait_loadcnt 0x0
	v_add_nc_u64_e32 v[4:5], v[6:7], v[4:5]
	ds_store_b64 v3, v[4:5]
.LBB2395_145:
	s_wait_xcnt 0x0
	s_or_b32 exec_lo, exec_lo, s1
	v_mad_i32_i24 v15, v14, -6, v3
	s_wait_storecnt_dscnt 0x0
	s_barrier_signal -1
	s_barrier_wait -1
	ds_load_u16 v6, v15 offset:2048
	ds_load_u16 v7, v15 offset:3072
	;; [unrolled: 1-line block ×8, first 2 shown]
	v_dual_mov_b32 v5, 0 :: v_dual_lshlrev_b32 v4, 1, v14
	s_add_co_i32 s8, s8, -1
	s_delay_alu instid0(SALU_CYCLE_1) | instskip(SKIP_2) | instid1(SALU_CYCLE_1)
	s_cmp_eq_u32 s23, s8
	s_cselect_b32 s0, -1, 0
	s_xor_b32 s1, vcc_lo, -1
	s_and_b32 s0, s1, s0
	s_wait_dscnt 0x7
	v_and_b32_e32 v10, 0xffff, v6
	v_xor_b32_e32 v20, -1, v6
	s_wait_dscnt 0x6
	v_and_b32_e32 v6, 0xffff, v7
	v_xor_b32_e32 v21, -1, v7
	s_wait_dscnt 0x5
	v_and_b32_e32 v7, 0xffff, v8
	v_xor_b32_e32 v23, -1, v8
	s_wait_dscnt 0x4
	v_and_b32_e32 v8, 0xffff, v9
	v_xor_b32_e32 v28, -1, v9
	s_wait_dscnt 0x3
	v_and_b32_e32 v9, 0xffff, v22
	v_lshrrev_b32_e32 v10, s20, v10
	v_dual_lshrrev_b32 v6, s20, v6 :: v_dual_lshrrev_b32 v7, s20, v7
	s_wait_dscnt 0x2
	v_and_b32_e32 v11, 0xffff, v24
	v_dual_lshrrev_b32 v8, s20, v8 :: v_dual_lshrrev_b32 v16, s20, v9
	v_and_b32_e32 v9, s9, v10
	s_delay_alu instid0(VALU_DEP_3)
	v_dual_lshrrev_b32 v17, s20, v11 :: v_dual_bitop2_b32 v6, s9, v6 bitop3:0x40
	v_and_b32_e32 v7, s9, v7
	s_wait_dscnt 0x1
	v_and_b32_e32 v12, 0xffff, v26
	s_wait_dscnt 0x0
	v_and_b32_e32 v13, 0xffff, v27
	v_dual_lshlrev_b32 v8, 3, v9 :: v_dual_bitop2_b32 v18, s9, v8 bitop3:0x40
	v_dual_lshlrev_b32 v9, 3, v6 :: v_dual_lshlrev_b32 v10, 3, v7
	v_lshrrev_b32_e32 v12, s20, v12
	ds_load_u16 v29, v15 offset:10240
	ds_load_u16 v30, v15 offset:11264
	;; [unrolled: 1-line block ×3, first 2 shown]
	ds_load_b64 v[6:7], v8
	ds_load_b64 v[8:9], v9
	;; [unrolled: 1-line block ×3, first 2 shown]
	v_dual_lshrrev_b32 v13, s20, v13 :: v_dual_bitop2_b32 v16, s9, v16 bitop3:0x40
	v_dual_lshlrev_b32 v18, 3, v18 :: v_dual_bitop2_b32 v17, s9, v17 bitop3:0x40
	v_and_b32_e32 v19, s9, v12
	s_delay_alu instid0(VALU_DEP_3)
	v_dual_lshlrev_b32 v16, 3, v16 :: v_dual_bitop2_b32 v25, s9, v13 bitop3:0x40
	ds_load_b64 v[12:13], v18
	v_dual_lshlrev_b32 v18, 3, v17 :: v_dual_lshlrev_b32 v32, 3, v19
	v_lshlrev_b32_e32 v25, 3, v25
	ds_load_u16 v15, v15 offset:13312
	ds_load_b64 v[16:17], v16
	ds_load_b64 v[18:19], v18
	s_wait_dscnt 0x9
	v_and_b32_e32 v33, 0xffff, v29
	s_wait_dscnt 0x8
	v_and_b32_e32 v34, 0xffff, v30
	;; [unrolled: 2-line block ×3, first 2 shown]
	s_wait_dscnt 0x6
	v_lshl_add_u64 v[6:7], v[6:7], 1, s[18:19]
	s_wait_dscnt 0x5
	v_lshl_add_u64 v[8:9], v[8:9], 1, s[18:19]
	;; [unrolled: 2-line block ×3, first 2 shown]
	v_dual_lshrrev_b32 v33, s20, v33 :: v_dual_lshrrev_b32 v34, s20, v34
	v_add_nc_u64_e32 v[6:7], v[6:7], v[4:5]
	v_add_nc_u64_e32 v[8:9], v[8:9], v[4:5]
	s_delay_alu instid0(VALU_DEP_4) | instskip(NEXT) | instid1(VALU_DEP_4)
	v_add_nc_u64_e32 v[10:11], v[10:11], v[4:5]
	v_and_b32_e32 v33, s9, v33
	s_clause 0x2
	global_store_b16 v[6:7], v20, off
	global_store_b16 v[8:9], v21, off offset:1024
	global_store_b16 v[10:11], v23, off offset:2048
	s_wait_dscnt 0x2
	s_wait_xcnt 0x0
	v_and_b32_e32 v10, 0xffff, v15
	v_dual_lshrrev_b32 v21, s20, v35 :: v_dual_bitop2_b32 v34, s9, v34 bitop3:0x40
	v_lshlrev_b32_e32 v20, 3, v33
	ds_load_b64 v[6:7], v32
	ds_load_b64 v[8:9], v25
	v_lshrrev_b32_e32 v25, s20, v10
	s_wait_dscnt 0x3
	v_lshl_add_u64 v[10:11], v[16:17], 1, s[18:19]
	v_dual_lshlrev_b32 v23, 3, v34 :: v_dual_bitop2_b32 v32, s9, v21 bitop3:0x40
	ds_load_b64 v[16:17], v20
	v_xor_b32_e32 v33, -1, v22
	v_xor_b32_e32 v34, -1, v24
	ds_load_b64 v[20:21], v23
	v_dual_lshlrev_b32 v25, 3, v32 :: v_dual_bitop2_b32 v23, s9, v25 bitop3:0x40
	v_lshl_add_u64 v[12:13], v[12:13], 1, s[18:19]
	s_wait_dscnt 0x4
	v_lshl_add_u64 v[18:19], v[18:19], 1, s[18:19]
	v_add_nc_u64_e32 v[10:11], v[10:11], v[4:5]
	v_lshlrev_b32_e32 v32, 3, v23
	ds_load_b64 v[22:23], v25
	v_add_nc_u64_e32 v[12:13], v[12:13], v[4:5]
	v_add_nc_u64_e32 v[18:19], v[18:19], v[4:5]
	ds_load_b64 v[24:25], v32
	s_wait_dscnt 0x5
	v_lshl_add_u64 v[6:7], v[6:7], 1, s[18:19]
	s_wait_dscnt 0x4
	v_lshl_add_u64 v[8:9], v[8:9], 1, s[18:19]
	s_clause 0x2
	global_store_b16 v[12:13], v28, off offset:3072
	global_store_b16 v[10:11], v33, off offset:4096
	;; [unrolled: 1-line block ×3, first 2 shown]
	v_add_nc_u64_e32 v[6:7], v[6:7], v[4:5]
	v_add_nc_u64_e32 v[8:9], v[8:9], v[4:5]
	s_wait_xcnt 0x0
	v_xor_b32_e32 v18, -1, v26
	s_wait_dscnt 0x3
	v_lshl_add_u64 v[10:11], v[16:17], 1, s[18:19]
	v_xor_b32_e32 v16, -1, v27
	s_wait_dscnt 0x2
	v_lshl_add_u64 v[12:13], v[20:21], 1, s[18:19]
	v_xor_b32_e32 v17, -1, v29
	global_store_b16 v[6:7], v18, off offset:6144
	v_add_nc_u64_e32 v[10:11], v[10:11], v[4:5]
	global_store_b16 v[8:9], v16, off offset:7168
	s_wait_dscnt 0x1
	s_wait_xcnt 0x1
	v_lshl_add_u64 v[6:7], v[22:23], 1, s[18:19]
	v_add_nc_u64_e32 v[12:13], v[12:13], v[4:5]
	v_xor_b32_e32 v18, -1, v30
	s_wait_dscnt 0x0
	s_wait_xcnt 0x0
	v_lshl_add_u64 v[8:9], v[24:25], 1, s[18:19]
	v_add_nc_u64_e32 v[6:7], v[6:7], v[4:5]
	global_store_b16 v[10:11], v17, off offset:8192
	s_wait_xcnt 0x0
	v_xor_b32_e32 v10, -1, v31
	global_store_b16 v[12:13], v18, off offset:9216
	v_add_nc_u64_e32 v[8:9], v[8:9], v[4:5]
	v_xor_b32_e32 v4, -1, v15
	s_clause 0x1
	global_store_b16 v[6:7], v10, off offset:10240
	global_store_b16 v[8:9], v4, off offset:11264
	s_wait_xcnt 0x0
	s_and_saveexec_b32 s1, s0
	s_cbranch_execz .LBB2395_147
; %bb.146:
	ds_load_b64 v[6:7], v3
	v_mov_b32_e32 v3, v5
	s_delay_alu instid0(VALU_DEP_1) | instskip(SKIP_1) | instid1(VALU_DEP_1)
	v_add_nc_u64_e32 v[0:1], v[0:1], v[2:3]
	s_wait_dscnt 0x0
	v_add_nc_u64_e32 v[0:1], v[0:1], v[6:7]
	global_store_b64 v14, v[0:1], s[14:15] scale_offset
.LBB2395_147:
	s_sendmsg sendmsg(MSG_DEALLOC_VGPRS)
	s_endpgm
	.section	.rodata,"a",@progbits
	.p2align	6, 0x0
	.amdhsa_kernel _ZN7rocprim17ROCPRIM_400000_NS6detail17trampoline_kernelINS0_14default_configENS1_35radix_sort_onesweep_config_selectorItNS0_10empty_typeEEEZZNS1_29radix_sort_onesweep_iterationIS3_Lb1EPKtPtPS5_SB_mNS0_19identity_decomposerENS1_16block_id_wrapperIjLb1EEEEE10hipError_tT1_PNSt15iterator_traitsISG_E10value_typeET2_T3_PNSH_ISM_E10value_typeET4_T5_PSR_SS_PNS1_23onesweep_lookback_stateEbbT6_jjT7_P12ihipStream_tbENKUlT_T0_SG_SL_E_clISA_SA_SB_SB_EEDaSZ_S10_SG_SL_EUlSZ_E_NS1_11comp_targetILNS1_3genE0ELNS1_11target_archE4294967295ELNS1_3gpuE0ELNS1_3repE0EEENS1_47radix_sort_onesweep_sort_config_static_selectorELNS0_4arch9wavefront6targetE0EEEvSG_
		.amdhsa_group_segment_fixed_size 18504
		.amdhsa_private_segment_fixed_size 0
		.amdhsa_kernarg_size 344
		.amdhsa_user_sgpr_count 2
		.amdhsa_user_sgpr_dispatch_ptr 0
		.amdhsa_user_sgpr_queue_ptr 0
		.amdhsa_user_sgpr_kernarg_segment_ptr 1
		.amdhsa_user_sgpr_dispatch_id 0
		.amdhsa_user_sgpr_kernarg_preload_length 0
		.amdhsa_user_sgpr_kernarg_preload_offset 0
		.amdhsa_user_sgpr_private_segment_size 0
		.amdhsa_wavefront_size32 1
		.amdhsa_uses_dynamic_stack 0
		.amdhsa_enable_private_segment 0
		.amdhsa_system_sgpr_workgroup_id_x 1
		.amdhsa_system_sgpr_workgroup_id_y 0
		.amdhsa_system_sgpr_workgroup_id_z 0
		.amdhsa_system_sgpr_workgroup_info 0
		.amdhsa_system_vgpr_workitem_id 2
		.amdhsa_next_free_vgpr 65
		.amdhsa_next_free_sgpr 30
		.amdhsa_named_barrier_count 0
		.amdhsa_reserve_vcc 1
		.amdhsa_float_round_mode_32 0
		.amdhsa_float_round_mode_16_64 0
		.amdhsa_float_denorm_mode_32 3
		.amdhsa_float_denorm_mode_16_64 3
		.amdhsa_fp16_overflow 0
		.amdhsa_memory_ordered 1
		.amdhsa_forward_progress 1
		.amdhsa_inst_pref_size 135
		.amdhsa_round_robin_scheduling 0
		.amdhsa_exception_fp_ieee_invalid_op 0
		.amdhsa_exception_fp_denorm_src 0
		.amdhsa_exception_fp_ieee_div_zero 0
		.amdhsa_exception_fp_ieee_overflow 0
		.amdhsa_exception_fp_ieee_underflow 0
		.amdhsa_exception_fp_ieee_inexact 0
		.amdhsa_exception_int_div_zero 0
	.end_amdhsa_kernel
	.section	.text._ZN7rocprim17ROCPRIM_400000_NS6detail17trampoline_kernelINS0_14default_configENS1_35radix_sort_onesweep_config_selectorItNS0_10empty_typeEEEZZNS1_29radix_sort_onesweep_iterationIS3_Lb1EPKtPtPS5_SB_mNS0_19identity_decomposerENS1_16block_id_wrapperIjLb1EEEEE10hipError_tT1_PNSt15iterator_traitsISG_E10value_typeET2_T3_PNSH_ISM_E10value_typeET4_T5_PSR_SS_PNS1_23onesweep_lookback_stateEbbT6_jjT7_P12ihipStream_tbENKUlT_T0_SG_SL_E_clISA_SA_SB_SB_EEDaSZ_S10_SG_SL_EUlSZ_E_NS1_11comp_targetILNS1_3genE0ELNS1_11target_archE4294967295ELNS1_3gpuE0ELNS1_3repE0EEENS1_47radix_sort_onesweep_sort_config_static_selectorELNS0_4arch9wavefront6targetE0EEEvSG_,"axG",@progbits,_ZN7rocprim17ROCPRIM_400000_NS6detail17trampoline_kernelINS0_14default_configENS1_35radix_sort_onesweep_config_selectorItNS0_10empty_typeEEEZZNS1_29radix_sort_onesweep_iterationIS3_Lb1EPKtPtPS5_SB_mNS0_19identity_decomposerENS1_16block_id_wrapperIjLb1EEEEE10hipError_tT1_PNSt15iterator_traitsISG_E10value_typeET2_T3_PNSH_ISM_E10value_typeET4_T5_PSR_SS_PNS1_23onesweep_lookback_stateEbbT6_jjT7_P12ihipStream_tbENKUlT_T0_SG_SL_E_clISA_SA_SB_SB_EEDaSZ_S10_SG_SL_EUlSZ_E_NS1_11comp_targetILNS1_3genE0ELNS1_11target_archE4294967295ELNS1_3gpuE0ELNS1_3repE0EEENS1_47radix_sort_onesweep_sort_config_static_selectorELNS0_4arch9wavefront6targetE0EEEvSG_,comdat
.Lfunc_end2395:
	.size	_ZN7rocprim17ROCPRIM_400000_NS6detail17trampoline_kernelINS0_14default_configENS1_35radix_sort_onesweep_config_selectorItNS0_10empty_typeEEEZZNS1_29radix_sort_onesweep_iterationIS3_Lb1EPKtPtPS5_SB_mNS0_19identity_decomposerENS1_16block_id_wrapperIjLb1EEEEE10hipError_tT1_PNSt15iterator_traitsISG_E10value_typeET2_T3_PNSH_ISM_E10value_typeET4_T5_PSR_SS_PNS1_23onesweep_lookback_stateEbbT6_jjT7_P12ihipStream_tbENKUlT_T0_SG_SL_E_clISA_SA_SB_SB_EEDaSZ_S10_SG_SL_EUlSZ_E_NS1_11comp_targetILNS1_3genE0ELNS1_11target_archE4294967295ELNS1_3gpuE0ELNS1_3repE0EEENS1_47radix_sort_onesweep_sort_config_static_selectorELNS0_4arch9wavefront6targetE0EEEvSG_, .Lfunc_end2395-_ZN7rocprim17ROCPRIM_400000_NS6detail17trampoline_kernelINS0_14default_configENS1_35radix_sort_onesweep_config_selectorItNS0_10empty_typeEEEZZNS1_29radix_sort_onesweep_iterationIS3_Lb1EPKtPtPS5_SB_mNS0_19identity_decomposerENS1_16block_id_wrapperIjLb1EEEEE10hipError_tT1_PNSt15iterator_traitsISG_E10value_typeET2_T3_PNSH_ISM_E10value_typeET4_T5_PSR_SS_PNS1_23onesweep_lookback_stateEbbT6_jjT7_P12ihipStream_tbENKUlT_T0_SG_SL_E_clISA_SA_SB_SB_EEDaSZ_S10_SG_SL_EUlSZ_E_NS1_11comp_targetILNS1_3genE0ELNS1_11target_archE4294967295ELNS1_3gpuE0ELNS1_3repE0EEENS1_47radix_sort_onesweep_sort_config_static_selectorELNS0_4arch9wavefront6targetE0EEEvSG_
                                        ; -- End function
	.set _ZN7rocprim17ROCPRIM_400000_NS6detail17trampoline_kernelINS0_14default_configENS1_35radix_sort_onesweep_config_selectorItNS0_10empty_typeEEEZZNS1_29radix_sort_onesweep_iterationIS3_Lb1EPKtPtPS5_SB_mNS0_19identity_decomposerENS1_16block_id_wrapperIjLb1EEEEE10hipError_tT1_PNSt15iterator_traitsISG_E10value_typeET2_T3_PNSH_ISM_E10value_typeET4_T5_PSR_SS_PNS1_23onesweep_lookback_stateEbbT6_jjT7_P12ihipStream_tbENKUlT_T0_SG_SL_E_clISA_SA_SB_SB_EEDaSZ_S10_SG_SL_EUlSZ_E_NS1_11comp_targetILNS1_3genE0ELNS1_11target_archE4294967295ELNS1_3gpuE0ELNS1_3repE0EEENS1_47radix_sort_onesweep_sort_config_static_selectorELNS0_4arch9wavefront6targetE0EEEvSG_.num_vgpr, 65
	.set _ZN7rocprim17ROCPRIM_400000_NS6detail17trampoline_kernelINS0_14default_configENS1_35radix_sort_onesweep_config_selectorItNS0_10empty_typeEEEZZNS1_29radix_sort_onesweep_iterationIS3_Lb1EPKtPtPS5_SB_mNS0_19identity_decomposerENS1_16block_id_wrapperIjLb1EEEEE10hipError_tT1_PNSt15iterator_traitsISG_E10value_typeET2_T3_PNSH_ISM_E10value_typeET4_T5_PSR_SS_PNS1_23onesweep_lookback_stateEbbT6_jjT7_P12ihipStream_tbENKUlT_T0_SG_SL_E_clISA_SA_SB_SB_EEDaSZ_S10_SG_SL_EUlSZ_E_NS1_11comp_targetILNS1_3genE0ELNS1_11target_archE4294967295ELNS1_3gpuE0ELNS1_3repE0EEENS1_47radix_sort_onesweep_sort_config_static_selectorELNS0_4arch9wavefront6targetE0EEEvSG_.num_agpr, 0
	.set _ZN7rocprim17ROCPRIM_400000_NS6detail17trampoline_kernelINS0_14default_configENS1_35radix_sort_onesweep_config_selectorItNS0_10empty_typeEEEZZNS1_29radix_sort_onesweep_iterationIS3_Lb1EPKtPtPS5_SB_mNS0_19identity_decomposerENS1_16block_id_wrapperIjLb1EEEEE10hipError_tT1_PNSt15iterator_traitsISG_E10value_typeET2_T3_PNSH_ISM_E10value_typeET4_T5_PSR_SS_PNS1_23onesweep_lookback_stateEbbT6_jjT7_P12ihipStream_tbENKUlT_T0_SG_SL_E_clISA_SA_SB_SB_EEDaSZ_S10_SG_SL_EUlSZ_E_NS1_11comp_targetILNS1_3genE0ELNS1_11target_archE4294967295ELNS1_3gpuE0ELNS1_3repE0EEENS1_47radix_sort_onesweep_sort_config_static_selectorELNS0_4arch9wavefront6targetE0EEEvSG_.numbered_sgpr, 30
	.set _ZN7rocprim17ROCPRIM_400000_NS6detail17trampoline_kernelINS0_14default_configENS1_35radix_sort_onesweep_config_selectorItNS0_10empty_typeEEEZZNS1_29radix_sort_onesweep_iterationIS3_Lb1EPKtPtPS5_SB_mNS0_19identity_decomposerENS1_16block_id_wrapperIjLb1EEEEE10hipError_tT1_PNSt15iterator_traitsISG_E10value_typeET2_T3_PNSH_ISM_E10value_typeET4_T5_PSR_SS_PNS1_23onesweep_lookback_stateEbbT6_jjT7_P12ihipStream_tbENKUlT_T0_SG_SL_E_clISA_SA_SB_SB_EEDaSZ_S10_SG_SL_EUlSZ_E_NS1_11comp_targetILNS1_3genE0ELNS1_11target_archE4294967295ELNS1_3gpuE0ELNS1_3repE0EEENS1_47radix_sort_onesweep_sort_config_static_selectorELNS0_4arch9wavefront6targetE0EEEvSG_.num_named_barrier, 0
	.set _ZN7rocprim17ROCPRIM_400000_NS6detail17trampoline_kernelINS0_14default_configENS1_35radix_sort_onesweep_config_selectorItNS0_10empty_typeEEEZZNS1_29radix_sort_onesweep_iterationIS3_Lb1EPKtPtPS5_SB_mNS0_19identity_decomposerENS1_16block_id_wrapperIjLb1EEEEE10hipError_tT1_PNSt15iterator_traitsISG_E10value_typeET2_T3_PNSH_ISM_E10value_typeET4_T5_PSR_SS_PNS1_23onesweep_lookback_stateEbbT6_jjT7_P12ihipStream_tbENKUlT_T0_SG_SL_E_clISA_SA_SB_SB_EEDaSZ_S10_SG_SL_EUlSZ_E_NS1_11comp_targetILNS1_3genE0ELNS1_11target_archE4294967295ELNS1_3gpuE0ELNS1_3repE0EEENS1_47radix_sort_onesweep_sort_config_static_selectorELNS0_4arch9wavefront6targetE0EEEvSG_.private_seg_size, 0
	.set _ZN7rocprim17ROCPRIM_400000_NS6detail17trampoline_kernelINS0_14default_configENS1_35radix_sort_onesweep_config_selectorItNS0_10empty_typeEEEZZNS1_29radix_sort_onesweep_iterationIS3_Lb1EPKtPtPS5_SB_mNS0_19identity_decomposerENS1_16block_id_wrapperIjLb1EEEEE10hipError_tT1_PNSt15iterator_traitsISG_E10value_typeET2_T3_PNSH_ISM_E10value_typeET4_T5_PSR_SS_PNS1_23onesweep_lookback_stateEbbT6_jjT7_P12ihipStream_tbENKUlT_T0_SG_SL_E_clISA_SA_SB_SB_EEDaSZ_S10_SG_SL_EUlSZ_E_NS1_11comp_targetILNS1_3genE0ELNS1_11target_archE4294967295ELNS1_3gpuE0ELNS1_3repE0EEENS1_47radix_sort_onesweep_sort_config_static_selectorELNS0_4arch9wavefront6targetE0EEEvSG_.uses_vcc, 1
	.set _ZN7rocprim17ROCPRIM_400000_NS6detail17trampoline_kernelINS0_14default_configENS1_35radix_sort_onesweep_config_selectorItNS0_10empty_typeEEEZZNS1_29radix_sort_onesweep_iterationIS3_Lb1EPKtPtPS5_SB_mNS0_19identity_decomposerENS1_16block_id_wrapperIjLb1EEEEE10hipError_tT1_PNSt15iterator_traitsISG_E10value_typeET2_T3_PNSH_ISM_E10value_typeET4_T5_PSR_SS_PNS1_23onesweep_lookback_stateEbbT6_jjT7_P12ihipStream_tbENKUlT_T0_SG_SL_E_clISA_SA_SB_SB_EEDaSZ_S10_SG_SL_EUlSZ_E_NS1_11comp_targetILNS1_3genE0ELNS1_11target_archE4294967295ELNS1_3gpuE0ELNS1_3repE0EEENS1_47radix_sort_onesweep_sort_config_static_selectorELNS0_4arch9wavefront6targetE0EEEvSG_.uses_flat_scratch, 0
	.set _ZN7rocprim17ROCPRIM_400000_NS6detail17trampoline_kernelINS0_14default_configENS1_35radix_sort_onesweep_config_selectorItNS0_10empty_typeEEEZZNS1_29radix_sort_onesweep_iterationIS3_Lb1EPKtPtPS5_SB_mNS0_19identity_decomposerENS1_16block_id_wrapperIjLb1EEEEE10hipError_tT1_PNSt15iterator_traitsISG_E10value_typeET2_T3_PNSH_ISM_E10value_typeET4_T5_PSR_SS_PNS1_23onesweep_lookback_stateEbbT6_jjT7_P12ihipStream_tbENKUlT_T0_SG_SL_E_clISA_SA_SB_SB_EEDaSZ_S10_SG_SL_EUlSZ_E_NS1_11comp_targetILNS1_3genE0ELNS1_11target_archE4294967295ELNS1_3gpuE0ELNS1_3repE0EEENS1_47radix_sort_onesweep_sort_config_static_selectorELNS0_4arch9wavefront6targetE0EEEvSG_.has_dyn_sized_stack, 0
	.set _ZN7rocprim17ROCPRIM_400000_NS6detail17trampoline_kernelINS0_14default_configENS1_35radix_sort_onesweep_config_selectorItNS0_10empty_typeEEEZZNS1_29radix_sort_onesweep_iterationIS3_Lb1EPKtPtPS5_SB_mNS0_19identity_decomposerENS1_16block_id_wrapperIjLb1EEEEE10hipError_tT1_PNSt15iterator_traitsISG_E10value_typeET2_T3_PNSH_ISM_E10value_typeET4_T5_PSR_SS_PNS1_23onesweep_lookback_stateEbbT6_jjT7_P12ihipStream_tbENKUlT_T0_SG_SL_E_clISA_SA_SB_SB_EEDaSZ_S10_SG_SL_EUlSZ_E_NS1_11comp_targetILNS1_3genE0ELNS1_11target_archE4294967295ELNS1_3gpuE0ELNS1_3repE0EEENS1_47radix_sort_onesweep_sort_config_static_selectorELNS0_4arch9wavefront6targetE0EEEvSG_.has_recursion, 0
	.set _ZN7rocprim17ROCPRIM_400000_NS6detail17trampoline_kernelINS0_14default_configENS1_35radix_sort_onesweep_config_selectorItNS0_10empty_typeEEEZZNS1_29radix_sort_onesweep_iterationIS3_Lb1EPKtPtPS5_SB_mNS0_19identity_decomposerENS1_16block_id_wrapperIjLb1EEEEE10hipError_tT1_PNSt15iterator_traitsISG_E10value_typeET2_T3_PNSH_ISM_E10value_typeET4_T5_PSR_SS_PNS1_23onesweep_lookback_stateEbbT6_jjT7_P12ihipStream_tbENKUlT_T0_SG_SL_E_clISA_SA_SB_SB_EEDaSZ_S10_SG_SL_EUlSZ_E_NS1_11comp_targetILNS1_3genE0ELNS1_11target_archE4294967295ELNS1_3gpuE0ELNS1_3repE0EEENS1_47radix_sort_onesweep_sort_config_static_selectorELNS0_4arch9wavefront6targetE0EEEvSG_.has_indirect_call, 0
	.section	.AMDGPU.csdata,"",@progbits
; Kernel info:
; codeLenInByte = 17208
; TotalNumSgprs: 32
; NumVgprs: 65
; ScratchSize: 0
; MemoryBound: 0
; FloatMode: 240
; IeeeMode: 1
; LDSByteSize: 18504 bytes/workgroup (compile time only)
; SGPRBlocks: 0
; VGPRBlocks: 4
; NumSGPRsForWavesPerEU: 32
; NumVGPRsForWavesPerEU: 65
; NamedBarCnt: 0
; Occupancy: 12
; WaveLimiterHint : 0
; COMPUTE_PGM_RSRC2:SCRATCH_EN: 0
; COMPUTE_PGM_RSRC2:USER_SGPR: 2
; COMPUTE_PGM_RSRC2:TRAP_HANDLER: 0
; COMPUTE_PGM_RSRC2:TGID_X_EN: 1
; COMPUTE_PGM_RSRC2:TGID_Y_EN: 0
; COMPUTE_PGM_RSRC2:TGID_Z_EN: 0
; COMPUTE_PGM_RSRC2:TIDIG_COMP_CNT: 2
	.section	.text._ZN7rocprim17ROCPRIM_400000_NS6detail17trampoline_kernelINS0_14default_configENS1_35radix_sort_onesweep_config_selectorItNS0_10empty_typeEEEZZNS1_29radix_sort_onesweep_iterationIS3_Lb1EPKtPtPS5_SB_mNS0_19identity_decomposerENS1_16block_id_wrapperIjLb1EEEEE10hipError_tT1_PNSt15iterator_traitsISG_E10value_typeET2_T3_PNSH_ISM_E10value_typeET4_T5_PSR_SS_PNS1_23onesweep_lookback_stateEbbT6_jjT7_P12ihipStream_tbENKUlT_T0_SG_SL_E_clISA_SA_SB_SB_EEDaSZ_S10_SG_SL_EUlSZ_E_NS1_11comp_targetILNS1_3genE6ELNS1_11target_archE950ELNS1_3gpuE13ELNS1_3repE0EEENS1_47radix_sort_onesweep_sort_config_static_selectorELNS0_4arch9wavefront6targetE0EEEvSG_,"axG",@progbits,_ZN7rocprim17ROCPRIM_400000_NS6detail17trampoline_kernelINS0_14default_configENS1_35radix_sort_onesweep_config_selectorItNS0_10empty_typeEEEZZNS1_29radix_sort_onesweep_iterationIS3_Lb1EPKtPtPS5_SB_mNS0_19identity_decomposerENS1_16block_id_wrapperIjLb1EEEEE10hipError_tT1_PNSt15iterator_traitsISG_E10value_typeET2_T3_PNSH_ISM_E10value_typeET4_T5_PSR_SS_PNS1_23onesweep_lookback_stateEbbT6_jjT7_P12ihipStream_tbENKUlT_T0_SG_SL_E_clISA_SA_SB_SB_EEDaSZ_S10_SG_SL_EUlSZ_E_NS1_11comp_targetILNS1_3genE6ELNS1_11target_archE950ELNS1_3gpuE13ELNS1_3repE0EEENS1_47radix_sort_onesweep_sort_config_static_selectorELNS0_4arch9wavefront6targetE0EEEvSG_,comdat
	.protected	_ZN7rocprim17ROCPRIM_400000_NS6detail17trampoline_kernelINS0_14default_configENS1_35radix_sort_onesweep_config_selectorItNS0_10empty_typeEEEZZNS1_29radix_sort_onesweep_iterationIS3_Lb1EPKtPtPS5_SB_mNS0_19identity_decomposerENS1_16block_id_wrapperIjLb1EEEEE10hipError_tT1_PNSt15iterator_traitsISG_E10value_typeET2_T3_PNSH_ISM_E10value_typeET4_T5_PSR_SS_PNS1_23onesweep_lookback_stateEbbT6_jjT7_P12ihipStream_tbENKUlT_T0_SG_SL_E_clISA_SA_SB_SB_EEDaSZ_S10_SG_SL_EUlSZ_E_NS1_11comp_targetILNS1_3genE6ELNS1_11target_archE950ELNS1_3gpuE13ELNS1_3repE0EEENS1_47radix_sort_onesweep_sort_config_static_selectorELNS0_4arch9wavefront6targetE0EEEvSG_ ; -- Begin function _ZN7rocprim17ROCPRIM_400000_NS6detail17trampoline_kernelINS0_14default_configENS1_35radix_sort_onesweep_config_selectorItNS0_10empty_typeEEEZZNS1_29radix_sort_onesweep_iterationIS3_Lb1EPKtPtPS5_SB_mNS0_19identity_decomposerENS1_16block_id_wrapperIjLb1EEEEE10hipError_tT1_PNSt15iterator_traitsISG_E10value_typeET2_T3_PNSH_ISM_E10value_typeET4_T5_PSR_SS_PNS1_23onesweep_lookback_stateEbbT6_jjT7_P12ihipStream_tbENKUlT_T0_SG_SL_E_clISA_SA_SB_SB_EEDaSZ_S10_SG_SL_EUlSZ_E_NS1_11comp_targetILNS1_3genE6ELNS1_11target_archE950ELNS1_3gpuE13ELNS1_3repE0EEENS1_47radix_sort_onesweep_sort_config_static_selectorELNS0_4arch9wavefront6targetE0EEEvSG_
	.globl	_ZN7rocprim17ROCPRIM_400000_NS6detail17trampoline_kernelINS0_14default_configENS1_35radix_sort_onesweep_config_selectorItNS0_10empty_typeEEEZZNS1_29radix_sort_onesweep_iterationIS3_Lb1EPKtPtPS5_SB_mNS0_19identity_decomposerENS1_16block_id_wrapperIjLb1EEEEE10hipError_tT1_PNSt15iterator_traitsISG_E10value_typeET2_T3_PNSH_ISM_E10value_typeET4_T5_PSR_SS_PNS1_23onesweep_lookback_stateEbbT6_jjT7_P12ihipStream_tbENKUlT_T0_SG_SL_E_clISA_SA_SB_SB_EEDaSZ_S10_SG_SL_EUlSZ_E_NS1_11comp_targetILNS1_3genE6ELNS1_11target_archE950ELNS1_3gpuE13ELNS1_3repE0EEENS1_47radix_sort_onesweep_sort_config_static_selectorELNS0_4arch9wavefront6targetE0EEEvSG_
	.p2align	8
	.type	_ZN7rocprim17ROCPRIM_400000_NS6detail17trampoline_kernelINS0_14default_configENS1_35radix_sort_onesweep_config_selectorItNS0_10empty_typeEEEZZNS1_29radix_sort_onesweep_iterationIS3_Lb1EPKtPtPS5_SB_mNS0_19identity_decomposerENS1_16block_id_wrapperIjLb1EEEEE10hipError_tT1_PNSt15iterator_traitsISG_E10value_typeET2_T3_PNSH_ISM_E10value_typeET4_T5_PSR_SS_PNS1_23onesweep_lookback_stateEbbT6_jjT7_P12ihipStream_tbENKUlT_T0_SG_SL_E_clISA_SA_SB_SB_EEDaSZ_S10_SG_SL_EUlSZ_E_NS1_11comp_targetILNS1_3genE6ELNS1_11target_archE950ELNS1_3gpuE13ELNS1_3repE0EEENS1_47radix_sort_onesweep_sort_config_static_selectorELNS0_4arch9wavefront6targetE0EEEvSG_,@function
_ZN7rocprim17ROCPRIM_400000_NS6detail17trampoline_kernelINS0_14default_configENS1_35radix_sort_onesweep_config_selectorItNS0_10empty_typeEEEZZNS1_29radix_sort_onesweep_iterationIS3_Lb1EPKtPtPS5_SB_mNS0_19identity_decomposerENS1_16block_id_wrapperIjLb1EEEEE10hipError_tT1_PNSt15iterator_traitsISG_E10value_typeET2_T3_PNSH_ISM_E10value_typeET4_T5_PSR_SS_PNS1_23onesweep_lookback_stateEbbT6_jjT7_P12ihipStream_tbENKUlT_T0_SG_SL_E_clISA_SA_SB_SB_EEDaSZ_S10_SG_SL_EUlSZ_E_NS1_11comp_targetILNS1_3genE6ELNS1_11target_archE950ELNS1_3gpuE13ELNS1_3repE0EEENS1_47radix_sort_onesweep_sort_config_static_selectorELNS0_4arch9wavefront6targetE0EEEvSG_: ; @_ZN7rocprim17ROCPRIM_400000_NS6detail17trampoline_kernelINS0_14default_configENS1_35radix_sort_onesweep_config_selectorItNS0_10empty_typeEEEZZNS1_29radix_sort_onesweep_iterationIS3_Lb1EPKtPtPS5_SB_mNS0_19identity_decomposerENS1_16block_id_wrapperIjLb1EEEEE10hipError_tT1_PNSt15iterator_traitsISG_E10value_typeET2_T3_PNSH_ISM_E10value_typeET4_T5_PSR_SS_PNS1_23onesweep_lookback_stateEbbT6_jjT7_P12ihipStream_tbENKUlT_T0_SG_SL_E_clISA_SA_SB_SB_EEDaSZ_S10_SG_SL_EUlSZ_E_NS1_11comp_targetILNS1_3genE6ELNS1_11target_archE950ELNS1_3gpuE13ELNS1_3repE0EEENS1_47radix_sort_onesweep_sort_config_static_selectorELNS0_4arch9wavefront6targetE0EEEvSG_
; %bb.0:
	.section	.rodata,"a",@progbits
	.p2align	6, 0x0
	.amdhsa_kernel _ZN7rocprim17ROCPRIM_400000_NS6detail17trampoline_kernelINS0_14default_configENS1_35radix_sort_onesweep_config_selectorItNS0_10empty_typeEEEZZNS1_29radix_sort_onesweep_iterationIS3_Lb1EPKtPtPS5_SB_mNS0_19identity_decomposerENS1_16block_id_wrapperIjLb1EEEEE10hipError_tT1_PNSt15iterator_traitsISG_E10value_typeET2_T3_PNSH_ISM_E10value_typeET4_T5_PSR_SS_PNS1_23onesweep_lookback_stateEbbT6_jjT7_P12ihipStream_tbENKUlT_T0_SG_SL_E_clISA_SA_SB_SB_EEDaSZ_S10_SG_SL_EUlSZ_E_NS1_11comp_targetILNS1_3genE6ELNS1_11target_archE950ELNS1_3gpuE13ELNS1_3repE0EEENS1_47radix_sort_onesweep_sort_config_static_selectorELNS0_4arch9wavefront6targetE0EEEvSG_
		.amdhsa_group_segment_fixed_size 0
		.amdhsa_private_segment_fixed_size 0
		.amdhsa_kernarg_size 88
		.amdhsa_user_sgpr_count 2
		.amdhsa_user_sgpr_dispatch_ptr 0
		.amdhsa_user_sgpr_queue_ptr 0
		.amdhsa_user_sgpr_kernarg_segment_ptr 1
		.amdhsa_user_sgpr_dispatch_id 0
		.amdhsa_user_sgpr_kernarg_preload_length 0
		.amdhsa_user_sgpr_kernarg_preload_offset 0
		.amdhsa_user_sgpr_private_segment_size 0
		.amdhsa_wavefront_size32 1
		.amdhsa_uses_dynamic_stack 0
		.amdhsa_enable_private_segment 0
		.amdhsa_system_sgpr_workgroup_id_x 1
		.amdhsa_system_sgpr_workgroup_id_y 0
		.amdhsa_system_sgpr_workgroup_id_z 0
		.amdhsa_system_sgpr_workgroup_info 0
		.amdhsa_system_vgpr_workitem_id 0
		.amdhsa_next_free_vgpr 1
		.amdhsa_next_free_sgpr 1
		.amdhsa_named_barrier_count 0
		.amdhsa_reserve_vcc 0
		.amdhsa_float_round_mode_32 0
		.amdhsa_float_round_mode_16_64 0
		.amdhsa_float_denorm_mode_32 3
		.amdhsa_float_denorm_mode_16_64 3
		.amdhsa_fp16_overflow 0
		.amdhsa_memory_ordered 1
		.amdhsa_forward_progress 1
		.amdhsa_inst_pref_size 0
		.amdhsa_round_robin_scheduling 0
		.amdhsa_exception_fp_ieee_invalid_op 0
		.amdhsa_exception_fp_denorm_src 0
		.amdhsa_exception_fp_ieee_div_zero 0
		.amdhsa_exception_fp_ieee_overflow 0
		.amdhsa_exception_fp_ieee_underflow 0
		.amdhsa_exception_fp_ieee_inexact 0
		.amdhsa_exception_int_div_zero 0
	.end_amdhsa_kernel
	.section	.text._ZN7rocprim17ROCPRIM_400000_NS6detail17trampoline_kernelINS0_14default_configENS1_35radix_sort_onesweep_config_selectorItNS0_10empty_typeEEEZZNS1_29radix_sort_onesweep_iterationIS3_Lb1EPKtPtPS5_SB_mNS0_19identity_decomposerENS1_16block_id_wrapperIjLb1EEEEE10hipError_tT1_PNSt15iterator_traitsISG_E10value_typeET2_T3_PNSH_ISM_E10value_typeET4_T5_PSR_SS_PNS1_23onesweep_lookback_stateEbbT6_jjT7_P12ihipStream_tbENKUlT_T0_SG_SL_E_clISA_SA_SB_SB_EEDaSZ_S10_SG_SL_EUlSZ_E_NS1_11comp_targetILNS1_3genE6ELNS1_11target_archE950ELNS1_3gpuE13ELNS1_3repE0EEENS1_47radix_sort_onesweep_sort_config_static_selectorELNS0_4arch9wavefront6targetE0EEEvSG_,"axG",@progbits,_ZN7rocprim17ROCPRIM_400000_NS6detail17trampoline_kernelINS0_14default_configENS1_35radix_sort_onesweep_config_selectorItNS0_10empty_typeEEEZZNS1_29radix_sort_onesweep_iterationIS3_Lb1EPKtPtPS5_SB_mNS0_19identity_decomposerENS1_16block_id_wrapperIjLb1EEEEE10hipError_tT1_PNSt15iterator_traitsISG_E10value_typeET2_T3_PNSH_ISM_E10value_typeET4_T5_PSR_SS_PNS1_23onesweep_lookback_stateEbbT6_jjT7_P12ihipStream_tbENKUlT_T0_SG_SL_E_clISA_SA_SB_SB_EEDaSZ_S10_SG_SL_EUlSZ_E_NS1_11comp_targetILNS1_3genE6ELNS1_11target_archE950ELNS1_3gpuE13ELNS1_3repE0EEENS1_47radix_sort_onesweep_sort_config_static_selectorELNS0_4arch9wavefront6targetE0EEEvSG_,comdat
.Lfunc_end2396:
	.size	_ZN7rocprim17ROCPRIM_400000_NS6detail17trampoline_kernelINS0_14default_configENS1_35radix_sort_onesweep_config_selectorItNS0_10empty_typeEEEZZNS1_29radix_sort_onesweep_iterationIS3_Lb1EPKtPtPS5_SB_mNS0_19identity_decomposerENS1_16block_id_wrapperIjLb1EEEEE10hipError_tT1_PNSt15iterator_traitsISG_E10value_typeET2_T3_PNSH_ISM_E10value_typeET4_T5_PSR_SS_PNS1_23onesweep_lookback_stateEbbT6_jjT7_P12ihipStream_tbENKUlT_T0_SG_SL_E_clISA_SA_SB_SB_EEDaSZ_S10_SG_SL_EUlSZ_E_NS1_11comp_targetILNS1_3genE6ELNS1_11target_archE950ELNS1_3gpuE13ELNS1_3repE0EEENS1_47radix_sort_onesweep_sort_config_static_selectorELNS0_4arch9wavefront6targetE0EEEvSG_, .Lfunc_end2396-_ZN7rocprim17ROCPRIM_400000_NS6detail17trampoline_kernelINS0_14default_configENS1_35radix_sort_onesweep_config_selectorItNS0_10empty_typeEEEZZNS1_29radix_sort_onesweep_iterationIS3_Lb1EPKtPtPS5_SB_mNS0_19identity_decomposerENS1_16block_id_wrapperIjLb1EEEEE10hipError_tT1_PNSt15iterator_traitsISG_E10value_typeET2_T3_PNSH_ISM_E10value_typeET4_T5_PSR_SS_PNS1_23onesweep_lookback_stateEbbT6_jjT7_P12ihipStream_tbENKUlT_T0_SG_SL_E_clISA_SA_SB_SB_EEDaSZ_S10_SG_SL_EUlSZ_E_NS1_11comp_targetILNS1_3genE6ELNS1_11target_archE950ELNS1_3gpuE13ELNS1_3repE0EEENS1_47radix_sort_onesweep_sort_config_static_selectorELNS0_4arch9wavefront6targetE0EEEvSG_
                                        ; -- End function
	.set _ZN7rocprim17ROCPRIM_400000_NS6detail17trampoline_kernelINS0_14default_configENS1_35radix_sort_onesweep_config_selectorItNS0_10empty_typeEEEZZNS1_29radix_sort_onesweep_iterationIS3_Lb1EPKtPtPS5_SB_mNS0_19identity_decomposerENS1_16block_id_wrapperIjLb1EEEEE10hipError_tT1_PNSt15iterator_traitsISG_E10value_typeET2_T3_PNSH_ISM_E10value_typeET4_T5_PSR_SS_PNS1_23onesweep_lookback_stateEbbT6_jjT7_P12ihipStream_tbENKUlT_T0_SG_SL_E_clISA_SA_SB_SB_EEDaSZ_S10_SG_SL_EUlSZ_E_NS1_11comp_targetILNS1_3genE6ELNS1_11target_archE950ELNS1_3gpuE13ELNS1_3repE0EEENS1_47radix_sort_onesweep_sort_config_static_selectorELNS0_4arch9wavefront6targetE0EEEvSG_.num_vgpr, 0
	.set _ZN7rocprim17ROCPRIM_400000_NS6detail17trampoline_kernelINS0_14default_configENS1_35radix_sort_onesweep_config_selectorItNS0_10empty_typeEEEZZNS1_29radix_sort_onesweep_iterationIS3_Lb1EPKtPtPS5_SB_mNS0_19identity_decomposerENS1_16block_id_wrapperIjLb1EEEEE10hipError_tT1_PNSt15iterator_traitsISG_E10value_typeET2_T3_PNSH_ISM_E10value_typeET4_T5_PSR_SS_PNS1_23onesweep_lookback_stateEbbT6_jjT7_P12ihipStream_tbENKUlT_T0_SG_SL_E_clISA_SA_SB_SB_EEDaSZ_S10_SG_SL_EUlSZ_E_NS1_11comp_targetILNS1_3genE6ELNS1_11target_archE950ELNS1_3gpuE13ELNS1_3repE0EEENS1_47radix_sort_onesweep_sort_config_static_selectorELNS0_4arch9wavefront6targetE0EEEvSG_.num_agpr, 0
	.set _ZN7rocprim17ROCPRIM_400000_NS6detail17trampoline_kernelINS0_14default_configENS1_35radix_sort_onesweep_config_selectorItNS0_10empty_typeEEEZZNS1_29radix_sort_onesweep_iterationIS3_Lb1EPKtPtPS5_SB_mNS0_19identity_decomposerENS1_16block_id_wrapperIjLb1EEEEE10hipError_tT1_PNSt15iterator_traitsISG_E10value_typeET2_T3_PNSH_ISM_E10value_typeET4_T5_PSR_SS_PNS1_23onesweep_lookback_stateEbbT6_jjT7_P12ihipStream_tbENKUlT_T0_SG_SL_E_clISA_SA_SB_SB_EEDaSZ_S10_SG_SL_EUlSZ_E_NS1_11comp_targetILNS1_3genE6ELNS1_11target_archE950ELNS1_3gpuE13ELNS1_3repE0EEENS1_47radix_sort_onesweep_sort_config_static_selectorELNS0_4arch9wavefront6targetE0EEEvSG_.numbered_sgpr, 0
	.set _ZN7rocprim17ROCPRIM_400000_NS6detail17trampoline_kernelINS0_14default_configENS1_35radix_sort_onesweep_config_selectorItNS0_10empty_typeEEEZZNS1_29radix_sort_onesweep_iterationIS3_Lb1EPKtPtPS5_SB_mNS0_19identity_decomposerENS1_16block_id_wrapperIjLb1EEEEE10hipError_tT1_PNSt15iterator_traitsISG_E10value_typeET2_T3_PNSH_ISM_E10value_typeET4_T5_PSR_SS_PNS1_23onesweep_lookback_stateEbbT6_jjT7_P12ihipStream_tbENKUlT_T0_SG_SL_E_clISA_SA_SB_SB_EEDaSZ_S10_SG_SL_EUlSZ_E_NS1_11comp_targetILNS1_3genE6ELNS1_11target_archE950ELNS1_3gpuE13ELNS1_3repE0EEENS1_47radix_sort_onesweep_sort_config_static_selectorELNS0_4arch9wavefront6targetE0EEEvSG_.num_named_barrier, 0
	.set _ZN7rocprim17ROCPRIM_400000_NS6detail17trampoline_kernelINS0_14default_configENS1_35radix_sort_onesweep_config_selectorItNS0_10empty_typeEEEZZNS1_29radix_sort_onesweep_iterationIS3_Lb1EPKtPtPS5_SB_mNS0_19identity_decomposerENS1_16block_id_wrapperIjLb1EEEEE10hipError_tT1_PNSt15iterator_traitsISG_E10value_typeET2_T3_PNSH_ISM_E10value_typeET4_T5_PSR_SS_PNS1_23onesweep_lookback_stateEbbT6_jjT7_P12ihipStream_tbENKUlT_T0_SG_SL_E_clISA_SA_SB_SB_EEDaSZ_S10_SG_SL_EUlSZ_E_NS1_11comp_targetILNS1_3genE6ELNS1_11target_archE950ELNS1_3gpuE13ELNS1_3repE0EEENS1_47radix_sort_onesweep_sort_config_static_selectorELNS0_4arch9wavefront6targetE0EEEvSG_.private_seg_size, 0
	.set _ZN7rocprim17ROCPRIM_400000_NS6detail17trampoline_kernelINS0_14default_configENS1_35radix_sort_onesweep_config_selectorItNS0_10empty_typeEEEZZNS1_29radix_sort_onesweep_iterationIS3_Lb1EPKtPtPS5_SB_mNS0_19identity_decomposerENS1_16block_id_wrapperIjLb1EEEEE10hipError_tT1_PNSt15iterator_traitsISG_E10value_typeET2_T3_PNSH_ISM_E10value_typeET4_T5_PSR_SS_PNS1_23onesweep_lookback_stateEbbT6_jjT7_P12ihipStream_tbENKUlT_T0_SG_SL_E_clISA_SA_SB_SB_EEDaSZ_S10_SG_SL_EUlSZ_E_NS1_11comp_targetILNS1_3genE6ELNS1_11target_archE950ELNS1_3gpuE13ELNS1_3repE0EEENS1_47radix_sort_onesweep_sort_config_static_selectorELNS0_4arch9wavefront6targetE0EEEvSG_.uses_vcc, 0
	.set _ZN7rocprim17ROCPRIM_400000_NS6detail17trampoline_kernelINS0_14default_configENS1_35radix_sort_onesweep_config_selectorItNS0_10empty_typeEEEZZNS1_29radix_sort_onesweep_iterationIS3_Lb1EPKtPtPS5_SB_mNS0_19identity_decomposerENS1_16block_id_wrapperIjLb1EEEEE10hipError_tT1_PNSt15iterator_traitsISG_E10value_typeET2_T3_PNSH_ISM_E10value_typeET4_T5_PSR_SS_PNS1_23onesweep_lookback_stateEbbT6_jjT7_P12ihipStream_tbENKUlT_T0_SG_SL_E_clISA_SA_SB_SB_EEDaSZ_S10_SG_SL_EUlSZ_E_NS1_11comp_targetILNS1_3genE6ELNS1_11target_archE950ELNS1_3gpuE13ELNS1_3repE0EEENS1_47radix_sort_onesweep_sort_config_static_selectorELNS0_4arch9wavefront6targetE0EEEvSG_.uses_flat_scratch, 0
	.set _ZN7rocprim17ROCPRIM_400000_NS6detail17trampoline_kernelINS0_14default_configENS1_35radix_sort_onesweep_config_selectorItNS0_10empty_typeEEEZZNS1_29radix_sort_onesweep_iterationIS3_Lb1EPKtPtPS5_SB_mNS0_19identity_decomposerENS1_16block_id_wrapperIjLb1EEEEE10hipError_tT1_PNSt15iterator_traitsISG_E10value_typeET2_T3_PNSH_ISM_E10value_typeET4_T5_PSR_SS_PNS1_23onesweep_lookback_stateEbbT6_jjT7_P12ihipStream_tbENKUlT_T0_SG_SL_E_clISA_SA_SB_SB_EEDaSZ_S10_SG_SL_EUlSZ_E_NS1_11comp_targetILNS1_3genE6ELNS1_11target_archE950ELNS1_3gpuE13ELNS1_3repE0EEENS1_47radix_sort_onesweep_sort_config_static_selectorELNS0_4arch9wavefront6targetE0EEEvSG_.has_dyn_sized_stack, 0
	.set _ZN7rocprim17ROCPRIM_400000_NS6detail17trampoline_kernelINS0_14default_configENS1_35radix_sort_onesweep_config_selectorItNS0_10empty_typeEEEZZNS1_29radix_sort_onesweep_iterationIS3_Lb1EPKtPtPS5_SB_mNS0_19identity_decomposerENS1_16block_id_wrapperIjLb1EEEEE10hipError_tT1_PNSt15iterator_traitsISG_E10value_typeET2_T3_PNSH_ISM_E10value_typeET4_T5_PSR_SS_PNS1_23onesweep_lookback_stateEbbT6_jjT7_P12ihipStream_tbENKUlT_T0_SG_SL_E_clISA_SA_SB_SB_EEDaSZ_S10_SG_SL_EUlSZ_E_NS1_11comp_targetILNS1_3genE6ELNS1_11target_archE950ELNS1_3gpuE13ELNS1_3repE0EEENS1_47radix_sort_onesweep_sort_config_static_selectorELNS0_4arch9wavefront6targetE0EEEvSG_.has_recursion, 0
	.set _ZN7rocprim17ROCPRIM_400000_NS6detail17trampoline_kernelINS0_14default_configENS1_35radix_sort_onesweep_config_selectorItNS0_10empty_typeEEEZZNS1_29radix_sort_onesweep_iterationIS3_Lb1EPKtPtPS5_SB_mNS0_19identity_decomposerENS1_16block_id_wrapperIjLb1EEEEE10hipError_tT1_PNSt15iterator_traitsISG_E10value_typeET2_T3_PNSH_ISM_E10value_typeET4_T5_PSR_SS_PNS1_23onesweep_lookback_stateEbbT6_jjT7_P12ihipStream_tbENKUlT_T0_SG_SL_E_clISA_SA_SB_SB_EEDaSZ_S10_SG_SL_EUlSZ_E_NS1_11comp_targetILNS1_3genE6ELNS1_11target_archE950ELNS1_3gpuE13ELNS1_3repE0EEENS1_47radix_sort_onesweep_sort_config_static_selectorELNS0_4arch9wavefront6targetE0EEEvSG_.has_indirect_call, 0
	.section	.AMDGPU.csdata,"",@progbits
; Kernel info:
; codeLenInByte = 0
; TotalNumSgprs: 0
; NumVgprs: 0
; ScratchSize: 0
; MemoryBound: 0
; FloatMode: 240
; IeeeMode: 1
; LDSByteSize: 0 bytes/workgroup (compile time only)
; SGPRBlocks: 0
; VGPRBlocks: 0
; NumSGPRsForWavesPerEU: 1
; NumVGPRsForWavesPerEU: 1
; NamedBarCnt: 0
; Occupancy: 16
; WaveLimiterHint : 0
; COMPUTE_PGM_RSRC2:SCRATCH_EN: 0
; COMPUTE_PGM_RSRC2:USER_SGPR: 2
; COMPUTE_PGM_RSRC2:TRAP_HANDLER: 0
; COMPUTE_PGM_RSRC2:TGID_X_EN: 1
; COMPUTE_PGM_RSRC2:TGID_Y_EN: 0
; COMPUTE_PGM_RSRC2:TGID_Z_EN: 0
; COMPUTE_PGM_RSRC2:TIDIG_COMP_CNT: 0
	.section	.text._ZN7rocprim17ROCPRIM_400000_NS6detail17trampoline_kernelINS0_14default_configENS1_35radix_sort_onesweep_config_selectorItNS0_10empty_typeEEEZZNS1_29radix_sort_onesweep_iterationIS3_Lb1EPKtPtPS5_SB_mNS0_19identity_decomposerENS1_16block_id_wrapperIjLb1EEEEE10hipError_tT1_PNSt15iterator_traitsISG_E10value_typeET2_T3_PNSH_ISM_E10value_typeET4_T5_PSR_SS_PNS1_23onesweep_lookback_stateEbbT6_jjT7_P12ihipStream_tbENKUlT_T0_SG_SL_E_clISA_SA_SB_SB_EEDaSZ_S10_SG_SL_EUlSZ_E_NS1_11comp_targetILNS1_3genE5ELNS1_11target_archE942ELNS1_3gpuE9ELNS1_3repE0EEENS1_47radix_sort_onesweep_sort_config_static_selectorELNS0_4arch9wavefront6targetE0EEEvSG_,"axG",@progbits,_ZN7rocprim17ROCPRIM_400000_NS6detail17trampoline_kernelINS0_14default_configENS1_35radix_sort_onesweep_config_selectorItNS0_10empty_typeEEEZZNS1_29radix_sort_onesweep_iterationIS3_Lb1EPKtPtPS5_SB_mNS0_19identity_decomposerENS1_16block_id_wrapperIjLb1EEEEE10hipError_tT1_PNSt15iterator_traitsISG_E10value_typeET2_T3_PNSH_ISM_E10value_typeET4_T5_PSR_SS_PNS1_23onesweep_lookback_stateEbbT6_jjT7_P12ihipStream_tbENKUlT_T0_SG_SL_E_clISA_SA_SB_SB_EEDaSZ_S10_SG_SL_EUlSZ_E_NS1_11comp_targetILNS1_3genE5ELNS1_11target_archE942ELNS1_3gpuE9ELNS1_3repE0EEENS1_47radix_sort_onesweep_sort_config_static_selectorELNS0_4arch9wavefront6targetE0EEEvSG_,comdat
	.protected	_ZN7rocprim17ROCPRIM_400000_NS6detail17trampoline_kernelINS0_14default_configENS1_35radix_sort_onesweep_config_selectorItNS0_10empty_typeEEEZZNS1_29radix_sort_onesweep_iterationIS3_Lb1EPKtPtPS5_SB_mNS0_19identity_decomposerENS1_16block_id_wrapperIjLb1EEEEE10hipError_tT1_PNSt15iterator_traitsISG_E10value_typeET2_T3_PNSH_ISM_E10value_typeET4_T5_PSR_SS_PNS1_23onesweep_lookback_stateEbbT6_jjT7_P12ihipStream_tbENKUlT_T0_SG_SL_E_clISA_SA_SB_SB_EEDaSZ_S10_SG_SL_EUlSZ_E_NS1_11comp_targetILNS1_3genE5ELNS1_11target_archE942ELNS1_3gpuE9ELNS1_3repE0EEENS1_47radix_sort_onesweep_sort_config_static_selectorELNS0_4arch9wavefront6targetE0EEEvSG_ ; -- Begin function _ZN7rocprim17ROCPRIM_400000_NS6detail17trampoline_kernelINS0_14default_configENS1_35radix_sort_onesweep_config_selectorItNS0_10empty_typeEEEZZNS1_29radix_sort_onesweep_iterationIS3_Lb1EPKtPtPS5_SB_mNS0_19identity_decomposerENS1_16block_id_wrapperIjLb1EEEEE10hipError_tT1_PNSt15iterator_traitsISG_E10value_typeET2_T3_PNSH_ISM_E10value_typeET4_T5_PSR_SS_PNS1_23onesweep_lookback_stateEbbT6_jjT7_P12ihipStream_tbENKUlT_T0_SG_SL_E_clISA_SA_SB_SB_EEDaSZ_S10_SG_SL_EUlSZ_E_NS1_11comp_targetILNS1_3genE5ELNS1_11target_archE942ELNS1_3gpuE9ELNS1_3repE0EEENS1_47radix_sort_onesweep_sort_config_static_selectorELNS0_4arch9wavefront6targetE0EEEvSG_
	.globl	_ZN7rocprim17ROCPRIM_400000_NS6detail17trampoline_kernelINS0_14default_configENS1_35radix_sort_onesweep_config_selectorItNS0_10empty_typeEEEZZNS1_29radix_sort_onesweep_iterationIS3_Lb1EPKtPtPS5_SB_mNS0_19identity_decomposerENS1_16block_id_wrapperIjLb1EEEEE10hipError_tT1_PNSt15iterator_traitsISG_E10value_typeET2_T3_PNSH_ISM_E10value_typeET4_T5_PSR_SS_PNS1_23onesweep_lookback_stateEbbT6_jjT7_P12ihipStream_tbENKUlT_T0_SG_SL_E_clISA_SA_SB_SB_EEDaSZ_S10_SG_SL_EUlSZ_E_NS1_11comp_targetILNS1_3genE5ELNS1_11target_archE942ELNS1_3gpuE9ELNS1_3repE0EEENS1_47radix_sort_onesweep_sort_config_static_selectorELNS0_4arch9wavefront6targetE0EEEvSG_
	.p2align	8
	.type	_ZN7rocprim17ROCPRIM_400000_NS6detail17trampoline_kernelINS0_14default_configENS1_35radix_sort_onesweep_config_selectorItNS0_10empty_typeEEEZZNS1_29radix_sort_onesweep_iterationIS3_Lb1EPKtPtPS5_SB_mNS0_19identity_decomposerENS1_16block_id_wrapperIjLb1EEEEE10hipError_tT1_PNSt15iterator_traitsISG_E10value_typeET2_T3_PNSH_ISM_E10value_typeET4_T5_PSR_SS_PNS1_23onesweep_lookback_stateEbbT6_jjT7_P12ihipStream_tbENKUlT_T0_SG_SL_E_clISA_SA_SB_SB_EEDaSZ_S10_SG_SL_EUlSZ_E_NS1_11comp_targetILNS1_3genE5ELNS1_11target_archE942ELNS1_3gpuE9ELNS1_3repE0EEENS1_47radix_sort_onesweep_sort_config_static_selectorELNS0_4arch9wavefront6targetE0EEEvSG_,@function
_ZN7rocprim17ROCPRIM_400000_NS6detail17trampoline_kernelINS0_14default_configENS1_35radix_sort_onesweep_config_selectorItNS0_10empty_typeEEEZZNS1_29radix_sort_onesweep_iterationIS3_Lb1EPKtPtPS5_SB_mNS0_19identity_decomposerENS1_16block_id_wrapperIjLb1EEEEE10hipError_tT1_PNSt15iterator_traitsISG_E10value_typeET2_T3_PNSH_ISM_E10value_typeET4_T5_PSR_SS_PNS1_23onesweep_lookback_stateEbbT6_jjT7_P12ihipStream_tbENKUlT_T0_SG_SL_E_clISA_SA_SB_SB_EEDaSZ_S10_SG_SL_EUlSZ_E_NS1_11comp_targetILNS1_3genE5ELNS1_11target_archE942ELNS1_3gpuE9ELNS1_3repE0EEENS1_47radix_sort_onesweep_sort_config_static_selectorELNS0_4arch9wavefront6targetE0EEEvSG_: ; @_ZN7rocprim17ROCPRIM_400000_NS6detail17trampoline_kernelINS0_14default_configENS1_35radix_sort_onesweep_config_selectorItNS0_10empty_typeEEEZZNS1_29radix_sort_onesweep_iterationIS3_Lb1EPKtPtPS5_SB_mNS0_19identity_decomposerENS1_16block_id_wrapperIjLb1EEEEE10hipError_tT1_PNSt15iterator_traitsISG_E10value_typeET2_T3_PNSH_ISM_E10value_typeET4_T5_PSR_SS_PNS1_23onesweep_lookback_stateEbbT6_jjT7_P12ihipStream_tbENKUlT_T0_SG_SL_E_clISA_SA_SB_SB_EEDaSZ_S10_SG_SL_EUlSZ_E_NS1_11comp_targetILNS1_3genE5ELNS1_11target_archE942ELNS1_3gpuE9ELNS1_3repE0EEENS1_47radix_sort_onesweep_sort_config_static_selectorELNS0_4arch9wavefront6targetE0EEEvSG_
; %bb.0:
	.section	.rodata,"a",@progbits
	.p2align	6, 0x0
	.amdhsa_kernel _ZN7rocprim17ROCPRIM_400000_NS6detail17trampoline_kernelINS0_14default_configENS1_35radix_sort_onesweep_config_selectorItNS0_10empty_typeEEEZZNS1_29radix_sort_onesweep_iterationIS3_Lb1EPKtPtPS5_SB_mNS0_19identity_decomposerENS1_16block_id_wrapperIjLb1EEEEE10hipError_tT1_PNSt15iterator_traitsISG_E10value_typeET2_T3_PNSH_ISM_E10value_typeET4_T5_PSR_SS_PNS1_23onesweep_lookback_stateEbbT6_jjT7_P12ihipStream_tbENKUlT_T0_SG_SL_E_clISA_SA_SB_SB_EEDaSZ_S10_SG_SL_EUlSZ_E_NS1_11comp_targetILNS1_3genE5ELNS1_11target_archE942ELNS1_3gpuE9ELNS1_3repE0EEENS1_47radix_sort_onesweep_sort_config_static_selectorELNS0_4arch9wavefront6targetE0EEEvSG_
		.amdhsa_group_segment_fixed_size 0
		.amdhsa_private_segment_fixed_size 0
		.amdhsa_kernarg_size 88
		.amdhsa_user_sgpr_count 2
		.amdhsa_user_sgpr_dispatch_ptr 0
		.amdhsa_user_sgpr_queue_ptr 0
		.amdhsa_user_sgpr_kernarg_segment_ptr 1
		.amdhsa_user_sgpr_dispatch_id 0
		.amdhsa_user_sgpr_kernarg_preload_length 0
		.amdhsa_user_sgpr_kernarg_preload_offset 0
		.amdhsa_user_sgpr_private_segment_size 0
		.amdhsa_wavefront_size32 1
		.amdhsa_uses_dynamic_stack 0
		.amdhsa_enable_private_segment 0
		.amdhsa_system_sgpr_workgroup_id_x 1
		.amdhsa_system_sgpr_workgroup_id_y 0
		.amdhsa_system_sgpr_workgroup_id_z 0
		.amdhsa_system_sgpr_workgroup_info 0
		.amdhsa_system_vgpr_workitem_id 0
		.amdhsa_next_free_vgpr 1
		.amdhsa_next_free_sgpr 1
		.amdhsa_named_barrier_count 0
		.amdhsa_reserve_vcc 0
		.amdhsa_float_round_mode_32 0
		.amdhsa_float_round_mode_16_64 0
		.amdhsa_float_denorm_mode_32 3
		.amdhsa_float_denorm_mode_16_64 3
		.amdhsa_fp16_overflow 0
		.amdhsa_memory_ordered 1
		.amdhsa_forward_progress 1
		.amdhsa_inst_pref_size 0
		.amdhsa_round_robin_scheduling 0
		.amdhsa_exception_fp_ieee_invalid_op 0
		.amdhsa_exception_fp_denorm_src 0
		.amdhsa_exception_fp_ieee_div_zero 0
		.amdhsa_exception_fp_ieee_overflow 0
		.amdhsa_exception_fp_ieee_underflow 0
		.amdhsa_exception_fp_ieee_inexact 0
		.amdhsa_exception_int_div_zero 0
	.end_amdhsa_kernel
	.section	.text._ZN7rocprim17ROCPRIM_400000_NS6detail17trampoline_kernelINS0_14default_configENS1_35radix_sort_onesweep_config_selectorItNS0_10empty_typeEEEZZNS1_29radix_sort_onesweep_iterationIS3_Lb1EPKtPtPS5_SB_mNS0_19identity_decomposerENS1_16block_id_wrapperIjLb1EEEEE10hipError_tT1_PNSt15iterator_traitsISG_E10value_typeET2_T3_PNSH_ISM_E10value_typeET4_T5_PSR_SS_PNS1_23onesweep_lookback_stateEbbT6_jjT7_P12ihipStream_tbENKUlT_T0_SG_SL_E_clISA_SA_SB_SB_EEDaSZ_S10_SG_SL_EUlSZ_E_NS1_11comp_targetILNS1_3genE5ELNS1_11target_archE942ELNS1_3gpuE9ELNS1_3repE0EEENS1_47radix_sort_onesweep_sort_config_static_selectorELNS0_4arch9wavefront6targetE0EEEvSG_,"axG",@progbits,_ZN7rocprim17ROCPRIM_400000_NS6detail17trampoline_kernelINS0_14default_configENS1_35radix_sort_onesweep_config_selectorItNS0_10empty_typeEEEZZNS1_29radix_sort_onesweep_iterationIS3_Lb1EPKtPtPS5_SB_mNS0_19identity_decomposerENS1_16block_id_wrapperIjLb1EEEEE10hipError_tT1_PNSt15iterator_traitsISG_E10value_typeET2_T3_PNSH_ISM_E10value_typeET4_T5_PSR_SS_PNS1_23onesweep_lookback_stateEbbT6_jjT7_P12ihipStream_tbENKUlT_T0_SG_SL_E_clISA_SA_SB_SB_EEDaSZ_S10_SG_SL_EUlSZ_E_NS1_11comp_targetILNS1_3genE5ELNS1_11target_archE942ELNS1_3gpuE9ELNS1_3repE0EEENS1_47radix_sort_onesweep_sort_config_static_selectorELNS0_4arch9wavefront6targetE0EEEvSG_,comdat
.Lfunc_end2397:
	.size	_ZN7rocprim17ROCPRIM_400000_NS6detail17trampoline_kernelINS0_14default_configENS1_35radix_sort_onesweep_config_selectorItNS0_10empty_typeEEEZZNS1_29radix_sort_onesweep_iterationIS3_Lb1EPKtPtPS5_SB_mNS0_19identity_decomposerENS1_16block_id_wrapperIjLb1EEEEE10hipError_tT1_PNSt15iterator_traitsISG_E10value_typeET2_T3_PNSH_ISM_E10value_typeET4_T5_PSR_SS_PNS1_23onesweep_lookback_stateEbbT6_jjT7_P12ihipStream_tbENKUlT_T0_SG_SL_E_clISA_SA_SB_SB_EEDaSZ_S10_SG_SL_EUlSZ_E_NS1_11comp_targetILNS1_3genE5ELNS1_11target_archE942ELNS1_3gpuE9ELNS1_3repE0EEENS1_47radix_sort_onesweep_sort_config_static_selectorELNS0_4arch9wavefront6targetE0EEEvSG_, .Lfunc_end2397-_ZN7rocprim17ROCPRIM_400000_NS6detail17trampoline_kernelINS0_14default_configENS1_35radix_sort_onesweep_config_selectorItNS0_10empty_typeEEEZZNS1_29radix_sort_onesweep_iterationIS3_Lb1EPKtPtPS5_SB_mNS0_19identity_decomposerENS1_16block_id_wrapperIjLb1EEEEE10hipError_tT1_PNSt15iterator_traitsISG_E10value_typeET2_T3_PNSH_ISM_E10value_typeET4_T5_PSR_SS_PNS1_23onesweep_lookback_stateEbbT6_jjT7_P12ihipStream_tbENKUlT_T0_SG_SL_E_clISA_SA_SB_SB_EEDaSZ_S10_SG_SL_EUlSZ_E_NS1_11comp_targetILNS1_3genE5ELNS1_11target_archE942ELNS1_3gpuE9ELNS1_3repE0EEENS1_47radix_sort_onesweep_sort_config_static_selectorELNS0_4arch9wavefront6targetE0EEEvSG_
                                        ; -- End function
	.set _ZN7rocprim17ROCPRIM_400000_NS6detail17trampoline_kernelINS0_14default_configENS1_35radix_sort_onesweep_config_selectorItNS0_10empty_typeEEEZZNS1_29radix_sort_onesweep_iterationIS3_Lb1EPKtPtPS5_SB_mNS0_19identity_decomposerENS1_16block_id_wrapperIjLb1EEEEE10hipError_tT1_PNSt15iterator_traitsISG_E10value_typeET2_T3_PNSH_ISM_E10value_typeET4_T5_PSR_SS_PNS1_23onesweep_lookback_stateEbbT6_jjT7_P12ihipStream_tbENKUlT_T0_SG_SL_E_clISA_SA_SB_SB_EEDaSZ_S10_SG_SL_EUlSZ_E_NS1_11comp_targetILNS1_3genE5ELNS1_11target_archE942ELNS1_3gpuE9ELNS1_3repE0EEENS1_47radix_sort_onesweep_sort_config_static_selectorELNS0_4arch9wavefront6targetE0EEEvSG_.num_vgpr, 0
	.set _ZN7rocprim17ROCPRIM_400000_NS6detail17trampoline_kernelINS0_14default_configENS1_35radix_sort_onesweep_config_selectorItNS0_10empty_typeEEEZZNS1_29radix_sort_onesweep_iterationIS3_Lb1EPKtPtPS5_SB_mNS0_19identity_decomposerENS1_16block_id_wrapperIjLb1EEEEE10hipError_tT1_PNSt15iterator_traitsISG_E10value_typeET2_T3_PNSH_ISM_E10value_typeET4_T5_PSR_SS_PNS1_23onesweep_lookback_stateEbbT6_jjT7_P12ihipStream_tbENKUlT_T0_SG_SL_E_clISA_SA_SB_SB_EEDaSZ_S10_SG_SL_EUlSZ_E_NS1_11comp_targetILNS1_3genE5ELNS1_11target_archE942ELNS1_3gpuE9ELNS1_3repE0EEENS1_47radix_sort_onesweep_sort_config_static_selectorELNS0_4arch9wavefront6targetE0EEEvSG_.num_agpr, 0
	.set _ZN7rocprim17ROCPRIM_400000_NS6detail17trampoline_kernelINS0_14default_configENS1_35radix_sort_onesweep_config_selectorItNS0_10empty_typeEEEZZNS1_29radix_sort_onesweep_iterationIS3_Lb1EPKtPtPS5_SB_mNS0_19identity_decomposerENS1_16block_id_wrapperIjLb1EEEEE10hipError_tT1_PNSt15iterator_traitsISG_E10value_typeET2_T3_PNSH_ISM_E10value_typeET4_T5_PSR_SS_PNS1_23onesweep_lookback_stateEbbT6_jjT7_P12ihipStream_tbENKUlT_T0_SG_SL_E_clISA_SA_SB_SB_EEDaSZ_S10_SG_SL_EUlSZ_E_NS1_11comp_targetILNS1_3genE5ELNS1_11target_archE942ELNS1_3gpuE9ELNS1_3repE0EEENS1_47radix_sort_onesweep_sort_config_static_selectorELNS0_4arch9wavefront6targetE0EEEvSG_.numbered_sgpr, 0
	.set _ZN7rocprim17ROCPRIM_400000_NS6detail17trampoline_kernelINS0_14default_configENS1_35radix_sort_onesweep_config_selectorItNS0_10empty_typeEEEZZNS1_29radix_sort_onesweep_iterationIS3_Lb1EPKtPtPS5_SB_mNS0_19identity_decomposerENS1_16block_id_wrapperIjLb1EEEEE10hipError_tT1_PNSt15iterator_traitsISG_E10value_typeET2_T3_PNSH_ISM_E10value_typeET4_T5_PSR_SS_PNS1_23onesweep_lookback_stateEbbT6_jjT7_P12ihipStream_tbENKUlT_T0_SG_SL_E_clISA_SA_SB_SB_EEDaSZ_S10_SG_SL_EUlSZ_E_NS1_11comp_targetILNS1_3genE5ELNS1_11target_archE942ELNS1_3gpuE9ELNS1_3repE0EEENS1_47radix_sort_onesweep_sort_config_static_selectorELNS0_4arch9wavefront6targetE0EEEvSG_.num_named_barrier, 0
	.set _ZN7rocprim17ROCPRIM_400000_NS6detail17trampoline_kernelINS0_14default_configENS1_35radix_sort_onesweep_config_selectorItNS0_10empty_typeEEEZZNS1_29radix_sort_onesweep_iterationIS3_Lb1EPKtPtPS5_SB_mNS0_19identity_decomposerENS1_16block_id_wrapperIjLb1EEEEE10hipError_tT1_PNSt15iterator_traitsISG_E10value_typeET2_T3_PNSH_ISM_E10value_typeET4_T5_PSR_SS_PNS1_23onesweep_lookback_stateEbbT6_jjT7_P12ihipStream_tbENKUlT_T0_SG_SL_E_clISA_SA_SB_SB_EEDaSZ_S10_SG_SL_EUlSZ_E_NS1_11comp_targetILNS1_3genE5ELNS1_11target_archE942ELNS1_3gpuE9ELNS1_3repE0EEENS1_47radix_sort_onesweep_sort_config_static_selectorELNS0_4arch9wavefront6targetE0EEEvSG_.private_seg_size, 0
	.set _ZN7rocprim17ROCPRIM_400000_NS6detail17trampoline_kernelINS0_14default_configENS1_35radix_sort_onesweep_config_selectorItNS0_10empty_typeEEEZZNS1_29radix_sort_onesweep_iterationIS3_Lb1EPKtPtPS5_SB_mNS0_19identity_decomposerENS1_16block_id_wrapperIjLb1EEEEE10hipError_tT1_PNSt15iterator_traitsISG_E10value_typeET2_T3_PNSH_ISM_E10value_typeET4_T5_PSR_SS_PNS1_23onesweep_lookback_stateEbbT6_jjT7_P12ihipStream_tbENKUlT_T0_SG_SL_E_clISA_SA_SB_SB_EEDaSZ_S10_SG_SL_EUlSZ_E_NS1_11comp_targetILNS1_3genE5ELNS1_11target_archE942ELNS1_3gpuE9ELNS1_3repE0EEENS1_47radix_sort_onesweep_sort_config_static_selectorELNS0_4arch9wavefront6targetE0EEEvSG_.uses_vcc, 0
	.set _ZN7rocprim17ROCPRIM_400000_NS6detail17trampoline_kernelINS0_14default_configENS1_35radix_sort_onesweep_config_selectorItNS0_10empty_typeEEEZZNS1_29radix_sort_onesweep_iterationIS3_Lb1EPKtPtPS5_SB_mNS0_19identity_decomposerENS1_16block_id_wrapperIjLb1EEEEE10hipError_tT1_PNSt15iterator_traitsISG_E10value_typeET2_T3_PNSH_ISM_E10value_typeET4_T5_PSR_SS_PNS1_23onesweep_lookback_stateEbbT6_jjT7_P12ihipStream_tbENKUlT_T0_SG_SL_E_clISA_SA_SB_SB_EEDaSZ_S10_SG_SL_EUlSZ_E_NS1_11comp_targetILNS1_3genE5ELNS1_11target_archE942ELNS1_3gpuE9ELNS1_3repE0EEENS1_47radix_sort_onesweep_sort_config_static_selectorELNS0_4arch9wavefront6targetE0EEEvSG_.uses_flat_scratch, 0
	.set _ZN7rocprim17ROCPRIM_400000_NS6detail17trampoline_kernelINS0_14default_configENS1_35radix_sort_onesweep_config_selectorItNS0_10empty_typeEEEZZNS1_29radix_sort_onesweep_iterationIS3_Lb1EPKtPtPS5_SB_mNS0_19identity_decomposerENS1_16block_id_wrapperIjLb1EEEEE10hipError_tT1_PNSt15iterator_traitsISG_E10value_typeET2_T3_PNSH_ISM_E10value_typeET4_T5_PSR_SS_PNS1_23onesweep_lookback_stateEbbT6_jjT7_P12ihipStream_tbENKUlT_T0_SG_SL_E_clISA_SA_SB_SB_EEDaSZ_S10_SG_SL_EUlSZ_E_NS1_11comp_targetILNS1_3genE5ELNS1_11target_archE942ELNS1_3gpuE9ELNS1_3repE0EEENS1_47radix_sort_onesweep_sort_config_static_selectorELNS0_4arch9wavefront6targetE0EEEvSG_.has_dyn_sized_stack, 0
	.set _ZN7rocprim17ROCPRIM_400000_NS6detail17trampoline_kernelINS0_14default_configENS1_35radix_sort_onesweep_config_selectorItNS0_10empty_typeEEEZZNS1_29radix_sort_onesweep_iterationIS3_Lb1EPKtPtPS5_SB_mNS0_19identity_decomposerENS1_16block_id_wrapperIjLb1EEEEE10hipError_tT1_PNSt15iterator_traitsISG_E10value_typeET2_T3_PNSH_ISM_E10value_typeET4_T5_PSR_SS_PNS1_23onesweep_lookback_stateEbbT6_jjT7_P12ihipStream_tbENKUlT_T0_SG_SL_E_clISA_SA_SB_SB_EEDaSZ_S10_SG_SL_EUlSZ_E_NS1_11comp_targetILNS1_3genE5ELNS1_11target_archE942ELNS1_3gpuE9ELNS1_3repE0EEENS1_47radix_sort_onesweep_sort_config_static_selectorELNS0_4arch9wavefront6targetE0EEEvSG_.has_recursion, 0
	.set _ZN7rocprim17ROCPRIM_400000_NS6detail17trampoline_kernelINS0_14default_configENS1_35radix_sort_onesweep_config_selectorItNS0_10empty_typeEEEZZNS1_29radix_sort_onesweep_iterationIS3_Lb1EPKtPtPS5_SB_mNS0_19identity_decomposerENS1_16block_id_wrapperIjLb1EEEEE10hipError_tT1_PNSt15iterator_traitsISG_E10value_typeET2_T3_PNSH_ISM_E10value_typeET4_T5_PSR_SS_PNS1_23onesweep_lookback_stateEbbT6_jjT7_P12ihipStream_tbENKUlT_T0_SG_SL_E_clISA_SA_SB_SB_EEDaSZ_S10_SG_SL_EUlSZ_E_NS1_11comp_targetILNS1_3genE5ELNS1_11target_archE942ELNS1_3gpuE9ELNS1_3repE0EEENS1_47radix_sort_onesweep_sort_config_static_selectorELNS0_4arch9wavefront6targetE0EEEvSG_.has_indirect_call, 0
	.section	.AMDGPU.csdata,"",@progbits
; Kernel info:
; codeLenInByte = 0
; TotalNumSgprs: 0
; NumVgprs: 0
; ScratchSize: 0
; MemoryBound: 0
; FloatMode: 240
; IeeeMode: 1
; LDSByteSize: 0 bytes/workgroup (compile time only)
; SGPRBlocks: 0
; VGPRBlocks: 0
; NumSGPRsForWavesPerEU: 1
; NumVGPRsForWavesPerEU: 1
; NamedBarCnt: 0
; Occupancy: 16
; WaveLimiterHint : 0
; COMPUTE_PGM_RSRC2:SCRATCH_EN: 0
; COMPUTE_PGM_RSRC2:USER_SGPR: 2
; COMPUTE_PGM_RSRC2:TRAP_HANDLER: 0
; COMPUTE_PGM_RSRC2:TGID_X_EN: 1
; COMPUTE_PGM_RSRC2:TGID_Y_EN: 0
; COMPUTE_PGM_RSRC2:TGID_Z_EN: 0
; COMPUTE_PGM_RSRC2:TIDIG_COMP_CNT: 0
	.section	.text._ZN7rocprim17ROCPRIM_400000_NS6detail17trampoline_kernelINS0_14default_configENS1_35radix_sort_onesweep_config_selectorItNS0_10empty_typeEEEZZNS1_29radix_sort_onesweep_iterationIS3_Lb1EPKtPtPS5_SB_mNS0_19identity_decomposerENS1_16block_id_wrapperIjLb1EEEEE10hipError_tT1_PNSt15iterator_traitsISG_E10value_typeET2_T3_PNSH_ISM_E10value_typeET4_T5_PSR_SS_PNS1_23onesweep_lookback_stateEbbT6_jjT7_P12ihipStream_tbENKUlT_T0_SG_SL_E_clISA_SA_SB_SB_EEDaSZ_S10_SG_SL_EUlSZ_E_NS1_11comp_targetILNS1_3genE2ELNS1_11target_archE906ELNS1_3gpuE6ELNS1_3repE0EEENS1_47radix_sort_onesweep_sort_config_static_selectorELNS0_4arch9wavefront6targetE0EEEvSG_,"axG",@progbits,_ZN7rocprim17ROCPRIM_400000_NS6detail17trampoline_kernelINS0_14default_configENS1_35radix_sort_onesweep_config_selectorItNS0_10empty_typeEEEZZNS1_29radix_sort_onesweep_iterationIS3_Lb1EPKtPtPS5_SB_mNS0_19identity_decomposerENS1_16block_id_wrapperIjLb1EEEEE10hipError_tT1_PNSt15iterator_traitsISG_E10value_typeET2_T3_PNSH_ISM_E10value_typeET4_T5_PSR_SS_PNS1_23onesweep_lookback_stateEbbT6_jjT7_P12ihipStream_tbENKUlT_T0_SG_SL_E_clISA_SA_SB_SB_EEDaSZ_S10_SG_SL_EUlSZ_E_NS1_11comp_targetILNS1_3genE2ELNS1_11target_archE906ELNS1_3gpuE6ELNS1_3repE0EEENS1_47radix_sort_onesweep_sort_config_static_selectorELNS0_4arch9wavefront6targetE0EEEvSG_,comdat
	.protected	_ZN7rocprim17ROCPRIM_400000_NS6detail17trampoline_kernelINS0_14default_configENS1_35radix_sort_onesweep_config_selectorItNS0_10empty_typeEEEZZNS1_29radix_sort_onesweep_iterationIS3_Lb1EPKtPtPS5_SB_mNS0_19identity_decomposerENS1_16block_id_wrapperIjLb1EEEEE10hipError_tT1_PNSt15iterator_traitsISG_E10value_typeET2_T3_PNSH_ISM_E10value_typeET4_T5_PSR_SS_PNS1_23onesweep_lookback_stateEbbT6_jjT7_P12ihipStream_tbENKUlT_T0_SG_SL_E_clISA_SA_SB_SB_EEDaSZ_S10_SG_SL_EUlSZ_E_NS1_11comp_targetILNS1_3genE2ELNS1_11target_archE906ELNS1_3gpuE6ELNS1_3repE0EEENS1_47radix_sort_onesweep_sort_config_static_selectorELNS0_4arch9wavefront6targetE0EEEvSG_ ; -- Begin function _ZN7rocprim17ROCPRIM_400000_NS6detail17trampoline_kernelINS0_14default_configENS1_35radix_sort_onesweep_config_selectorItNS0_10empty_typeEEEZZNS1_29radix_sort_onesweep_iterationIS3_Lb1EPKtPtPS5_SB_mNS0_19identity_decomposerENS1_16block_id_wrapperIjLb1EEEEE10hipError_tT1_PNSt15iterator_traitsISG_E10value_typeET2_T3_PNSH_ISM_E10value_typeET4_T5_PSR_SS_PNS1_23onesweep_lookback_stateEbbT6_jjT7_P12ihipStream_tbENKUlT_T0_SG_SL_E_clISA_SA_SB_SB_EEDaSZ_S10_SG_SL_EUlSZ_E_NS1_11comp_targetILNS1_3genE2ELNS1_11target_archE906ELNS1_3gpuE6ELNS1_3repE0EEENS1_47radix_sort_onesweep_sort_config_static_selectorELNS0_4arch9wavefront6targetE0EEEvSG_
	.globl	_ZN7rocprim17ROCPRIM_400000_NS6detail17trampoline_kernelINS0_14default_configENS1_35radix_sort_onesweep_config_selectorItNS0_10empty_typeEEEZZNS1_29radix_sort_onesweep_iterationIS3_Lb1EPKtPtPS5_SB_mNS0_19identity_decomposerENS1_16block_id_wrapperIjLb1EEEEE10hipError_tT1_PNSt15iterator_traitsISG_E10value_typeET2_T3_PNSH_ISM_E10value_typeET4_T5_PSR_SS_PNS1_23onesweep_lookback_stateEbbT6_jjT7_P12ihipStream_tbENKUlT_T0_SG_SL_E_clISA_SA_SB_SB_EEDaSZ_S10_SG_SL_EUlSZ_E_NS1_11comp_targetILNS1_3genE2ELNS1_11target_archE906ELNS1_3gpuE6ELNS1_3repE0EEENS1_47radix_sort_onesweep_sort_config_static_selectorELNS0_4arch9wavefront6targetE0EEEvSG_
	.p2align	8
	.type	_ZN7rocprim17ROCPRIM_400000_NS6detail17trampoline_kernelINS0_14default_configENS1_35radix_sort_onesweep_config_selectorItNS0_10empty_typeEEEZZNS1_29radix_sort_onesweep_iterationIS3_Lb1EPKtPtPS5_SB_mNS0_19identity_decomposerENS1_16block_id_wrapperIjLb1EEEEE10hipError_tT1_PNSt15iterator_traitsISG_E10value_typeET2_T3_PNSH_ISM_E10value_typeET4_T5_PSR_SS_PNS1_23onesweep_lookback_stateEbbT6_jjT7_P12ihipStream_tbENKUlT_T0_SG_SL_E_clISA_SA_SB_SB_EEDaSZ_S10_SG_SL_EUlSZ_E_NS1_11comp_targetILNS1_3genE2ELNS1_11target_archE906ELNS1_3gpuE6ELNS1_3repE0EEENS1_47radix_sort_onesweep_sort_config_static_selectorELNS0_4arch9wavefront6targetE0EEEvSG_,@function
_ZN7rocprim17ROCPRIM_400000_NS6detail17trampoline_kernelINS0_14default_configENS1_35radix_sort_onesweep_config_selectorItNS0_10empty_typeEEEZZNS1_29radix_sort_onesweep_iterationIS3_Lb1EPKtPtPS5_SB_mNS0_19identity_decomposerENS1_16block_id_wrapperIjLb1EEEEE10hipError_tT1_PNSt15iterator_traitsISG_E10value_typeET2_T3_PNSH_ISM_E10value_typeET4_T5_PSR_SS_PNS1_23onesweep_lookback_stateEbbT6_jjT7_P12ihipStream_tbENKUlT_T0_SG_SL_E_clISA_SA_SB_SB_EEDaSZ_S10_SG_SL_EUlSZ_E_NS1_11comp_targetILNS1_3genE2ELNS1_11target_archE906ELNS1_3gpuE6ELNS1_3repE0EEENS1_47radix_sort_onesweep_sort_config_static_selectorELNS0_4arch9wavefront6targetE0EEEvSG_: ; @_ZN7rocprim17ROCPRIM_400000_NS6detail17trampoline_kernelINS0_14default_configENS1_35radix_sort_onesweep_config_selectorItNS0_10empty_typeEEEZZNS1_29radix_sort_onesweep_iterationIS3_Lb1EPKtPtPS5_SB_mNS0_19identity_decomposerENS1_16block_id_wrapperIjLb1EEEEE10hipError_tT1_PNSt15iterator_traitsISG_E10value_typeET2_T3_PNSH_ISM_E10value_typeET4_T5_PSR_SS_PNS1_23onesweep_lookback_stateEbbT6_jjT7_P12ihipStream_tbENKUlT_T0_SG_SL_E_clISA_SA_SB_SB_EEDaSZ_S10_SG_SL_EUlSZ_E_NS1_11comp_targetILNS1_3genE2ELNS1_11target_archE906ELNS1_3gpuE6ELNS1_3repE0EEENS1_47radix_sort_onesweep_sort_config_static_selectorELNS0_4arch9wavefront6targetE0EEEvSG_
; %bb.0:
	.section	.rodata,"a",@progbits
	.p2align	6, 0x0
	.amdhsa_kernel _ZN7rocprim17ROCPRIM_400000_NS6detail17trampoline_kernelINS0_14default_configENS1_35radix_sort_onesweep_config_selectorItNS0_10empty_typeEEEZZNS1_29radix_sort_onesweep_iterationIS3_Lb1EPKtPtPS5_SB_mNS0_19identity_decomposerENS1_16block_id_wrapperIjLb1EEEEE10hipError_tT1_PNSt15iterator_traitsISG_E10value_typeET2_T3_PNSH_ISM_E10value_typeET4_T5_PSR_SS_PNS1_23onesweep_lookback_stateEbbT6_jjT7_P12ihipStream_tbENKUlT_T0_SG_SL_E_clISA_SA_SB_SB_EEDaSZ_S10_SG_SL_EUlSZ_E_NS1_11comp_targetILNS1_3genE2ELNS1_11target_archE906ELNS1_3gpuE6ELNS1_3repE0EEENS1_47radix_sort_onesweep_sort_config_static_selectorELNS0_4arch9wavefront6targetE0EEEvSG_
		.amdhsa_group_segment_fixed_size 0
		.amdhsa_private_segment_fixed_size 0
		.amdhsa_kernarg_size 88
		.amdhsa_user_sgpr_count 2
		.amdhsa_user_sgpr_dispatch_ptr 0
		.amdhsa_user_sgpr_queue_ptr 0
		.amdhsa_user_sgpr_kernarg_segment_ptr 1
		.amdhsa_user_sgpr_dispatch_id 0
		.amdhsa_user_sgpr_kernarg_preload_length 0
		.amdhsa_user_sgpr_kernarg_preload_offset 0
		.amdhsa_user_sgpr_private_segment_size 0
		.amdhsa_wavefront_size32 1
		.amdhsa_uses_dynamic_stack 0
		.amdhsa_enable_private_segment 0
		.amdhsa_system_sgpr_workgroup_id_x 1
		.amdhsa_system_sgpr_workgroup_id_y 0
		.amdhsa_system_sgpr_workgroup_id_z 0
		.amdhsa_system_sgpr_workgroup_info 0
		.amdhsa_system_vgpr_workitem_id 0
		.amdhsa_next_free_vgpr 1
		.amdhsa_next_free_sgpr 1
		.amdhsa_named_barrier_count 0
		.amdhsa_reserve_vcc 0
		.amdhsa_float_round_mode_32 0
		.amdhsa_float_round_mode_16_64 0
		.amdhsa_float_denorm_mode_32 3
		.amdhsa_float_denorm_mode_16_64 3
		.amdhsa_fp16_overflow 0
		.amdhsa_memory_ordered 1
		.amdhsa_forward_progress 1
		.amdhsa_inst_pref_size 0
		.amdhsa_round_robin_scheduling 0
		.amdhsa_exception_fp_ieee_invalid_op 0
		.amdhsa_exception_fp_denorm_src 0
		.amdhsa_exception_fp_ieee_div_zero 0
		.amdhsa_exception_fp_ieee_overflow 0
		.amdhsa_exception_fp_ieee_underflow 0
		.amdhsa_exception_fp_ieee_inexact 0
		.amdhsa_exception_int_div_zero 0
	.end_amdhsa_kernel
	.section	.text._ZN7rocprim17ROCPRIM_400000_NS6detail17trampoline_kernelINS0_14default_configENS1_35radix_sort_onesweep_config_selectorItNS0_10empty_typeEEEZZNS1_29radix_sort_onesweep_iterationIS3_Lb1EPKtPtPS5_SB_mNS0_19identity_decomposerENS1_16block_id_wrapperIjLb1EEEEE10hipError_tT1_PNSt15iterator_traitsISG_E10value_typeET2_T3_PNSH_ISM_E10value_typeET4_T5_PSR_SS_PNS1_23onesweep_lookback_stateEbbT6_jjT7_P12ihipStream_tbENKUlT_T0_SG_SL_E_clISA_SA_SB_SB_EEDaSZ_S10_SG_SL_EUlSZ_E_NS1_11comp_targetILNS1_3genE2ELNS1_11target_archE906ELNS1_3gpuE6ELNS1_3repE0EEENS1_47radix_sort_onesweep_sort_config_static_selectorELNS0_4arch9wavefront6targetE0EEEvSG_,"axG",@progbits,_ZN7rocprim17ROCPRIM_400000_NS6detail17trampoline_kernelINS0_14default_configENS1_35radix_sort_onesweep_config_selectorItNS0_10empty_typeEEEZZNS1_29radix_sort_onesweep_iterationIS3_Lb1EPKtPtPS5_SB_mNS0_19identity_decomposerENS1_16block_id_wrapperIjLb1EEEEE10hipError_tT1_PNSt15iterator_traitsISG_E10value_typeET2_T3_PNSH_ISM_E10value_typeET4_T5_PSR_SS_PNS1_23onesweep_lookback_stateEbbT6_jjT7_P12ihipStream_tbENKUlT_T0_SG_SL_E_clISA_SA_SB_SB_EEDaSZ_S10_SG_SL_EUlSZ_E_NS1_11comp_targetILNS1_3genE2ELNS1_11target_archE906ELNS1_3gpuE6ELNS1_3repE0EEENS1_47radix_sort_onesweep_sort_config_static_selectorELNS0_4arch9wavefront6targetE0EEEvSG_,comdat
.Lfunc_end2398:
	.size	_ZN7rocprim17ROCPRIM_400000_NS6detail17trampoline_kernelINS0_14default_configENS1_35radix_sort_onesweep_config_selectorItNS0_10empty_typeEEEZZNS1_29radix_sort_onesweep_iterationIS3_Lb1EPKtPtPS5_SB_mNS0_19identity_decomposerENS1_16block_id_wrapperIjLb1EEEEE10hipError_tT1_PNSt15iterator_traitsISG_E10value_typeET2_T3_PNSH_ISM_E10value_typeET4_T5_PSR_SS_PNS1_23onesweep_lookback_stateEbbT6_jjT7_P12ihipStream_tbENKUlT_T0_SG_SL_E_clISA_SA_SB_SB_EEDaSZ_S10_SG_SL_EUlSZ_E_NS1_11comp_targetILNS1_3genE2ELNS1_11target_archE906ELNS1_3gpuE6ELNS1_3repE0EEENS1_47radix_sort_onesweep_sort_config_static_selectorELNS0_4arch9wavefront6targetE0EEEvSG_, .Lfunc_end2398-_ZN7rocprim17ROCPRIM_400000_NS6detail17trampoline_kernelINS0_14default_configENS1_35radix_sort_onesweep_config_selectorItNS0_10empty_typeEEEZZNS1_29radix_sort_onesweep_iterationIS3_Lb1EPKtPtPS5_SB_mNS0_19identity_decomposerENS1_16block_id_wrapperIjLb1EEEEE10hipError_tT1_PNSt15iterator_traitsISG_E10value_typeET2_T3_PNSH_ISM_E10value_typeET4_T5_PSR_SS_PNS1_23onesweep_lookback_stateEbbT6_jjT7_P12ihipStream_tbENKUlT_T0_SG_SL_E_clISA_SA_SB_SB_EEDaSZ_S10_SG_SL_EUlSZ_E_NS1_11comp_targetILNS1_3genE2ELNS1_11target_archE906ELNS1_3gpuE6ELNS1_3repE0EEENS1_47radix_sort_onesweep_sort_config_static_selectorELNS0_4arch9wavefront6targetE0EEEvSG_
                                        ; -- End function
	.set _ZN7rocprim17ROCPRIM_400000_NS6detail17trampoline_kernelINS0_14default_configENS1_35radix_sort_onesweep_config_selectorItNS0_10empty_typeEEEZZNS1_29radix_sort_onesweep_iterationIS3_Lb1EPKtPtPS5_SB_mNS0_19identity_decomposerENS1_16block_id_wrapperIjLb1EEEEE10hipError_tT1_PNSt15iterator_traitsISG_E10value_typeET2_T3_PNSH_ISM_E10value_typeET4_T5_PSR_SS_PNS1_23onesweep_lookback_stateEbbT6_jjT7_P12ihipStream_tbENKUlT_T0_SG_SL_E_clISA_SA_SB_SB_EEDaSZ_S10_SG_SL_EUlSZ_E_NS1_11comp_targetILNS1_3genE2ELNS1_11target_archE906ELNS1_3gpuE6ELNS1_3repE0EEENS1_47radix_sort_onesweep_sort_config_static_selectorELNS0_4arch9wavefront6targetE0EEEvSG_.num_vgpr, 0
	.set _ZN7rocprim17ROCPRIM_400000_NS6detail17trampoline_kernelINS0_14default_configENS1_35radix_sort_onesweep_config_selectorItNS0_10empty_typeEEEZZNS1_29radix_sort_onesweep_iterationIS3_Lb1EPKtPtPS5_SB_mNS0_19identity_decomposerENS1_16block_id_wrapperIjLb1EEEEE10hipError_tT1_PNSt15iterator_traitsISG_E10value_typeET2_T3_PNSH_ISM_E10value_typeET4_T5_PSR_SS_PNS1_23onesweep_lookback_stateEbbT6_jjT7_P12ihipStream_tbENKUlT_T0_SG_SL_E_clISA_SA_SB_SB_EEDaSZ_S10_SG_SL_EUlSZ_E_NS1_11comp_targetILNS1_3genE2ELNS1_11target_archE906ELNS1_3gpuE6ELNS1_3repE0EEENS1_47radix_sort_onesweep_sort_config_static_selectorELNS0_4arch9wavefront6targetE0EEEvSG_.num_agpr, 0
	.set _ZN7rocprim17ROCPRIM_400000_NS6detail17trampoline_kernelINS0_14default_configENS1_35radix_sort_onesweep_config_selectorItNS0_10empty_typeEEEZZNS1_29radix_sort_onesweep_iterationIS3_Lb1EPKtPtPS5_SB_mNS0_19identity_decomposerENS1_16block_id_wrapperIjLb1EEEEE10hipError_tT1_PNSt15iterator_traitsISG_E10value_typeET2_T3_PNSH_ISM_E10value_typeET4_T5_PSR_SS_PNS1_23onesweep_lookback_stateEbbT6_jjT7_P12ihipStream_tbENKUlT_T0_SG_SL_E_clISA_SA_SB_SB_EEDaSZ_S10_SG_SL_EUlSZ_E_NS1_11comp_targetILNS1_3genE2ELNS1_11target_archE906ELNS1_3gpuE6ELNS1_3repE0EEENS1_47radix_sort_onesweep_sort_config_static_selectorELNS0_4arch9wavefront6targetE0EEEvSG_.numbered_sgpr, 0
	.set _ZN7rocprim17ROCPRIM_400000_NS6detail17trampoline_kernelINS0_14default_configENS1_35radix_sort_onesweep_config_selectorItNS0_10empty_typeEEEZZNS1_29radix_sort_onesweep_iterationIS3_Lb1EPKtPtPS5_SB_mNS0_19identity_decomposerENS1_16block_id_wrapperIjLb1EEEEE10hipError_tT1_PNSt15iterator_traitsISG_E10value_typeET2_T3_PNSH_ISM_E10value_typeET4_T5_PSR_SS_PNS1_23onesweep_lookback_stateEbbT6_jjT7_P12ihipStream_tbENKUlT_T0_SG_SL_E_clISA_SA_SB_SB_EEDaSZ_S10_SG_SL_EUlSZ_E_NS1_11comp_targetILNS1_3genE2ELNS1_11target_archE906ELNS1_3gpuE6ELNS1_3repE0EEENS1_47radix_sort_onesweep_sort_config_static_selectorELNS0_4arch9wavefront6targetE0EEEvSG_.num_named_barrier, 0
	.set _ZN7rocprim17ROCPRIM_400000_NS6detail17trampoline_kernelINS0_14default_configENS1_35radix_sort_onesweep_config_selectorItNS0_10empty_typeEEEZZNS1_29radix_sort_onesweep_iterationIS3_Lb1EPKtPtPS5_SB_mNS0_19identity_decomposerENS1_16block_id_wrapperIjLb1EEEEE10hipError_tT1_PNSt15iterator_traitsISG_E10value_typeET2_T3_PNSH_ISM_E10value_typeET4_T5_PSR_SS_PNS1_23onesweep_lookback_stateEbbT6_jjT7_P12ihipStream_tbENKUlT_T0_SG_SL_E_clISA_SA_SB_SB_EEDaSZ_S10_SG_SL_EUlSZ_E_NS1_11comp_targetILNS1_3genE2ELNS1_11target_archE906ELNS1_3gpuE6ELNS1_3repE0EEENS1_47radix_sort_onesweep_sort_config_static_selectorELNS0_4arch9wavefront6targetE0EEEvSG_.private_seg_size, 0
	.set _ZN7rocprim17ROCPRIM_400000_NS6detail17trampoline_kernelINS0_14default_configENS1_35radix_sort_onesweep_config_selectorItNS0_10empty_typeEEEZZNS1_29radix_sort_onesweep_iterationIS3_Lb1EPKtPtPS5_SB_mNS0_19identity_decomposerENS1_16block_id_wrapperIjLb1EEEEE10hipError_tT1_PNSt15iterator_traitsISG_E10value_typeET2_T3_PNSH_ISM_E10value_typeET4_T5_PSR_SS_PNS1_23onesweep_lookback_stateEbbT6_jjT7_P12ihipStream_tbENKUlT_T0_SG_SL_E_clISA_SA_SB_SB_EEDaSZ_S10_SG_SL_EUlSZ_E_NS1_11comp_targetILNS1_3genE2ELNS1_11target_archE906ELNS1_3gpuE6ELNS1_3repE0EEENS1_47radix_sort_onesweep_sort_config_static_selectorELNS0_4arch9wavefront6targetE0EEEvSG_.uses_vcc, 0
	.set _ZN7rocprim17ROCPRIM_400000_NS6detail17trampoline_kernelINS0_14default_configENS1_35radix_sort_onesweep_config_selectorItNS0_10empty_typeEEEZZNS1_29radix_sort_onesweep_iterationIS3_Lb1EPKtPtPS5_SB_mNS0_19identity_decomposerENS1_16block_id_wrapperIjLb1EEEEE10hipError_tT1_PNSt15iterator_traitsISG_E10value_typeET2_T3_PNSH_ISM_E10value_typeET4_T5_PSR_SS_PNS1_23onesweep_lookback_stateEbbT6_jjT7_P12ihipStream_tbENKUlT_T0_SG_SL_E_clISA_SA_SB_SB_EEDaSZ_S10_SG_SL_EUlSZ_E_NS1_11comp_targetILNS1_3genE2ELNS1_11target_archE906ELNS1_3gpuE6ELNS1_3repE0EEENS1_47radix_sort_onesweep_sort_config_static_selectorELNS0_4arch9wavefront6targetE0EEEvSG_.uses_flat_scratch, 0
	.set _ZN7rocprim17ROCPRIM_400000_NS6detail17trampoline_kernelINS0_14default_configENS1_35radix_sort_onesweep_config_selectorItNS0_10empty_typeEEEZZNS1_29radix_sort_onesweep_iterationIS3_Lb1EPKtPtPS5_SB_mNS0_19identity_decomposerENS1_16block_id_wrapperIjLb1EEEEE10hipError_tT1_PNSt15iterator_traitsISG_E10value_typeET2_T3_PNSH_ISM_E10value_typeET4_T5_PSR_SS_PNS1_23onesweep_lookback_stateEbbT6_jjT7_P12ihipStream_tbENKUlT_T0_SG_SL_E_clISA_SA_SB_SB_EEDaSZ_S10_SG_SL_EUlSZ_E_NS1_11comp_targetILNS1_3genE2ELNS1_11target_archE906ELNS1_3gpuE6ELNS1_3repE0EEENS1_47radix_sort_onesweep_sort_config_static_selectorELNS0_4arch9wavefront6targetE0EEEvSG_.has_dyn_sized_stack, 0
	.set _ZN7rocprim17ROCPRIM_400000_NS6detail17trampoline_kernelINS0_14default_configENS1_35radix_sort_onesweep_config_selectorItNS0_10empty_typeEEEZZNS1_29radix_sort_onesweep_iterationIS3_Lb1EPKtPtPS5_SB_mNS0_19identity_decomposerENS1_16block_id_wrapperIjLb1EEEEE10hipError_tT1_PNSt15iterator_traitsISG_E10value_typeET2_T3_PNSH_ISM_E10value_typeET4_T5_PSR_SS_PNS1_23onesweep_lookback_stateEbbT6_jjT7_P12ihipStream_tbENKUlT_T0_SG_SL_E_clISA_SA_SB_SB_EEDaSZ_S10_SG_SL_EUlSZ_E_NS1_11comp_targetILNS1_3genE2ELNS1_11target_archE906ELNS1_3gpuE6ELNS1_3repE0EEENS1_47radix_sort_onesweep_sort_config_static_selectorELNS0_4arch9wavefront6targetE0EEEvSG_.has_recursion, 0
	.set _ZN7rocprim17ROCPRIM_400000_NS6detail17trampoline_kernelINS0_14default_configENS1_35radix_sort_onesweep_config_selectorItNS0_10empty_typeEEEZZNS1_29radix_sort_onesweep_iterationIS3_Lb1EPKtPtPS5_SB_mNS0_19identity_decomposerENS1_16block_id_wrapperIjLb1EEEEE10hipError_tT1_PNSt15iterator_traitsISG_E10value_typeET2_T3_PNSH_ISM_E10value_typeET4_T5_PSR_SS_PNS1_23onesweep_lookback_stateEbbT6_jjT7_P12ihipStream_tbENKUlT_T0_SG_SL_E_clISA_SA_SB_SB_EEDaSZ_S10_SG_SL_EUlSZ_E_NS1_11comp_targetILNS1_3genE2ELNS1_11target_archE906ELNS1_3gpuE6ELNS1_3repE0EEENS1_47radix_sort_onesweep_sort_config_static_selectorELNS0_4arch9wavefront6targetE0EEEvSG_.has_indirect_call, 0
	.section	.AMDGPU.csdata,"",@progbits
; Kernel info:
; codeLenInByte = 0
; TotalNumSgprs: 0
; NumVgprs: 0
; ScratchSize: 0
; MemoryBound: 0
; FloatMode: 240
; IeeeMode: 1
; LDSByteSize: 0 bytes/workgroup (compile time only)
; SGPRBlocks: 0
; VGPRBlocks: 0
; NumSGPRsForWavesPerEU: 1
; NumVGPRsForWavesPerEU: 1
; NamedBarCnt: 0
; Occupancy: 16
; WaveLimiterHint : 0
; COMPUTE_PGM_RSRC2:SCRATCH_EN: 0
; COMPUTE_PGM_RSRC2:USER_SGPR: 2
; COMPUTE_PGM_RSRC2:TRAP_HANDLER: 0
; COMPUTE_PGM_RSRC2:TGID_X_EN: 1
; COMPUTE_PGM_RSRC2:TGID_Y_EN: 0
; COMPUTE_PGM_RSRC2:TGID_Z_EN: 0
; COMPUTE_PGM_RSRC2:TIDIG_COMP_CNT: 0
	.section	.text._ZN7rocprim17ROCPRIM_400000_NS6detail17trampoline_kernelINS0_14default_configENS1_35radix_sort_onesweep_config_selectorItNS0_10empty_typeEEEZZNS1_29radix_sort_onesweep_iterationIS3_Lb1EPKtPtPS5_SB_mNS0_19identity_decomposerENS1_16block_id_wrapperIjLb1EEEEE10hipError_tT1_PNSt15iterator_traitsISG_E10value_typeET2_T3_PNSH_ISM_E10value_typeET4_T5_PSR_SS_PNS1_23onesweep_lookback_stateEbbT6_jjT7_P12ihipStream_tbENKUlT_T0_SG_SL_E_clISA_SA_SB_SB_EEDaSZ_S10_SG_SL_EUlSZ_E_NS1_11comp_targetILNS1_3genE4ELNS1_11target_archE910ELNS1_3gpuE8ELNS1_3repE0EEENS1_47radix_sort_onesweep_sort_config_static_selectorELNS0_4arch9wavefront6targetE0EEEvSG_,"axG",@progbits,_ZN7rocprim17ROCPRIM_400000_NS6detail17trampoline_kernelINS0_14default_configENS1_35radix_sort_onesweep_config_selectorItNS0_10empty_typeEEEZZNS1_29radix_sort_onesweep_iterationIS3_Lb1EPKtPtPS5_SB_mNS0_19identity_decomposerENS1_16block_id_wrapperIjLb1EEEEE10hipError_tT1_PNSt15iterator_traitsISG_E10value_typeET2_T3_PNSH_ISM_E10value_typeET4_T5_PSR_SS_PNS1_23onesweep_lookback_stateEbbT6_jjT7_P12ihipStream_tbENKUlT_T0_SG_SL_E_clISA_SA_SB_SB_EEDaSZ_S10_SG_SL_EUlSZ_E_NS1_11comp_targetILNS1_3genE4ELNS1_11target_archE910ELNS1_3gpuE8ELNS1_3repE0EEENS1_47radix_sort_onesweep_sort_config_static_selectorELNS0_4arch9wavefront6targetE0EEEvSG_,comdat
	.protected	_ZN7rocprim17ROCPRIM_400000_NS6detail17trampoline_kernelINS0_14default_configENS1_35radix_sort_onesweep_config_selectorItNS0_10empty_typeEEEZZNS1_29radix_sort_onesweep_iterationIS3_Lb1EPKtPtPS5_SB_mNS0_19identity_decomposerENS1_16block_id_wrapperIjLb1EEEEE10hipError_tT1_PNSt15iterator_traitsISG_E10value_typeET2_T3_PNSH_ISM_E10value_typeET4_T5_PSR_SS_PNS1_23onesweep_lookback_stateEbbT6_jjT7_P12ihipStream_tbENKUlT_T0_SG_SL_E_clISA_SA_SB_SB_EEDaSZ_S10_SG_SL_EUlSZ_E_NS1_11comp_targetILNS1_3genE4ELNS1_11target_archE910ELNS1_3gpuE8ELNS1_3repE0EEENS1_47radix_sort_onesweep_sort_config_static_selectorELNS0_4arch9wavefront6targetE0EEEvSG_ ; -- Begin function _ZN7rocprim17ROCPRIM_400000_NS6detail17trampoline_kernelINS0_14default_configENS1_35radix_sort_onesweep_config_selectorItNS0_10empty_typeEEEZZNS1_29radix_sort_onesweep_iterationIS3_Lb1EPKtPtPS5_SB_mNS0_19identity_decomposerENS1_16block_id_wrapperIjLb1EEEEE10hipError_tT1_PNSt15iterator_traitsISG_E10value_typeET2_T3_PNSH_ISM_E10value_typeET4_T5_PSR_SS_PNS1_23onesweep_lookback_stateEbbT6_jjT7_P12ihipStream_tbENKUlT_T0_SG_SL_E_clISA_SA_SB_SB_EEDaSZ_S10_SG_SL_EUlSZ_E_NS1_11comp_targetILNS1_3genE4ELNS1_11target_archE910ELNS1_3gpuE8ELNS1_3repE0EEENS1_47radix_sort_onesweep_sort_config_static_selectorELNS0_4arch9wavefront6targetE0EEEvSG_
	.globl	_ZN7rocprim17ROCPRIM_400000_NS6detail17trampoline_kernelINS0_14default_configENS1_35radix_sort_onesweep_config_selectorItNS0_10empty_typeEEEZZNS1_29radix_sort_onesweep_iterationIS3_Lb1EPKtPtPS5_SB_mNS0_19identity_decomposerENS1_16block_id_wrapperIjLb1EEEEE10hipError_tT1_PNSt15iterator_traitsISG_E10value_typeET2_T3_PNSH_ISM_E10value_typeET4_T5_PSR_SS_PNS1_23onesweep_lookback_stateEbbT6_jjT7_P12ihipStream_tbENKUlT_T0_SG_SL_E_clISA_SA_SB_SB_EEDaSZ_S10_SG_SL_EUlSZ_E_NS1_11comp_targetILNS1_3genE4ELNS1_11target_archE910ELNS1_3gpuE8ELNS1_3repE0EEENS1_47radix_sort_onesweep_sort_config_static_selectorELNS0_4arch9wavefront6targetE0EEEvSG_
	.p2align	8
	.type	_ZN7rocprim17ROCPRIM_400000_NS6detail17trampoline_kernelINS0_14default_configENS1_35radix_sort_onesweep_config_selectorItNS0_10empty_typeEEEZZNS1_29radix_sort_onesweep_iterationIS3_Lb1EPKtPtPS5_SB_mNS0_19identity_decomposerENS1_16block_id_wrapperIjLb1EEEEE10hipError_tT1_PNSt15iterator_traitsISG_E10value_typeET2_T3_PNSH_ISM_E10value_typeET4_T5_PSR_SS_PNS1_23onesweep_lookback_stateEbbT6_jjT7_P12ihipStream_tbENKUlT_T0_SG_SL_E_clISA_SA_SB_SB_EEDaSZ_S10_SG_SL_EUlSZ_E_NS1_11comp_targetILNS1_3genE4ELNS1_11target_archE910ELNS1_3gpuE8ELNS1_3repE0EEENS1_47radix_sort_onesweep_sort_config_static_selectorELNS0_4arch9wavefront6targetE0EEEvSG_,@function
_ZN7rocprim17ROCPRIM_400000_NS6detail17trampoline_kernelINS0_14default_configENS1_35radix_sort_onesweep_config_selectorItNS0_10empty_typeEEEZZNS1_29radix_sort_onesweep_iterationIS3_Lb1EPKtPtPS5_SB_mNS0_19identity_decomposerENS1_16block_id_wrapperIjLb1EEEEE10hipError_tT1_PNSt15iterator_traitsISG_E10value_typeET2_T3_PNSH_ISM_E10value_typeET4_T5_PSR_SS_PNS1_23onesweep_lookback_stateEbbT6_jjT7_P12ihipStream_tbENKUlT_T0_SG_SL_E_clISA_SA_SB_SB_EEDaSZ_S10_SG_SL_EUlSZ_E_NS1_11comp_targetILNS1_3genE4ELNS1_11target_archE910ELNS1_3gpuE8ELNS1_3repE0EEENS1_47radix_sort_onesweep_sort_config_static_selectorELNS0_4arch9wavefront6targetE0EEEvSG_: ; @_ZN7rocprim17ROCPRIM_400000_NS6detail17trampoline_kernelINS0_14default_configENS1_35radix_sort_onesweep_config_selectorItNS0_10empty_typeEEEZZNS1_29radix_sort_onesweep_iterationIS3_Lb1EPKtPtPS5_SB_mNS0_19identity_decomposerENS1_16block_id_wrapperIjLb1EEEEE10hipError_tT1_PNSt15iterator_traitsISG_E10value_typeET2_T3_PNSH_ISM_E10value_typeET4_T5_PSR_SS_PNS1_23onesweep_lookback_stateEbbT6_jjT7_P12ihipStream_tbENKUlT_T0_SG_SL_E_clISA_SA_SB_SB_EEDaSZ_S10_SG_SL_EUlSZ_E_NS1_11comp_targetILNS1_3genE4ELNS1_11target_archE910ELNS1_3gpuE8ELNS1_3repE0EEENS1_47radix_sort_onesweep_sort_config_static_selectorELNS0_4arch9wavefront6targetE0EEEvSG_
; %bb.0:
	.section	.rodata,"a",@progbits
	.p2align	6, 0x0
	.amdhsa_kernel _ZN7rocprim17ROCPRIM_400000_NS6detail17trampoline_kernelINS0_14default_configENS1_35radix_sort_onesweep_config_selectorItNS0_10empty_typeEEEZZNS1_29radix_sort_onesweep_iterationIS3_Lb1EPKtPtPS5_SB_mNS0_19identity_decomposerENS1_16block_id_wrapperIjLb1EEEEE10hipError_tT1_PNSt15iterator_traitsISG_E10value_typeET2_T3_PNSH_ISM_E10value_typeET4_T5_PSR_SS_PNS1_23onesweep_lookback_stateEbbT6_jjT7_P12ihipStream_tbENKUlT_T0_SG_SL_E_clISA_SA_SB_SB_EEDaSZ_S10_SG_SL_EUlSZ_E_NS1_11comp_targetILNS1_3genE4ELNS1_11target_archE910ELNS1_3gpuE8ELNS1_3repE0EEENS1_47radix_sort_onesweep_sort_config_static_selectorELNS0_4arch9wavefront6targetE0EEEvSG_
		.amdhsa_group_segment_fixed_size 0
		.amdhsa_private_segment_fixed_size 0
		.amdhsa_kernarg_size 88
		.amdhsa_user_sgpr_count 2
		.amdhsa_user_sgpr_dispatch_ptr 0
		.amdhsa_user_sgpr_queue_ptr 0
		.amdhsa_user_sgpr_kernarg_segment_ptr 1
		.amdhsa_user_sgpr_dispatch_id 0
		.amdhsa_user_sgpr_kernarg_preload_length 0
		.amdhsa_user_sgpr_kernarg_preload_offset 0
		.amdhsa_user_sgpr_private_segment_size 0
		.amdhsa_wavefront_size32 1
		.amdhsa_uses_dynamic_stack 0
		.amdhsa_enable_private_segment 0
		.amdhsa_system_sgpr_workgroup_id_x 1
		.amdhsa_system_sgpr_workgroup_id_y 0
		.amdhsa_system_sgpr_workgroup_id_z 0
		.amdhsa_system_sgpr_workgroup_info 0
		.amdhsa_system_vgpr_workitem_id 0
		.amdhsa_next_free_vgpr 1
		.amdhsa_next_free_sgpr 1
		.amdhsa_named_barrier_count 0
		.amdhsa_reserve_vcc 0
		.amdhsa_float_round_mode_32 0
		.amdhsa_float_round_mode_16_64 0
		.amdhsa_float_denorm_mode_32 3
		.amdhsa_float_denorm_mode_16_64 3
		.amdhsa_fp16_overflow 0
		.amdhsa_memory_ordered 1
		.amdhsa_forward_progress 1
		.amdhsa_inst_pref_size 0
		.amdhsa_round_robin_scheduling 0
		.amdhsa_exception_fp_ieee_invalid_op 0
		.amdhsa_exception_fp_denorm_src 0
		.amdhsa_exception_fp_ieee_div_zero 0
		.amdhsa_exception_fp_ieee_overflow 0
		.amdhsa_exception_fp_ieee_underflow 0
		.amdhsa_exception_fp_ieee_inexact 0
		.amdhsa_exception_int_div_zero 0
	.end_amdhsa_kernel
	.section	.text._ZN7rocprim17ROCPRIM_400000_NS6detail17trampoline_kernelINS0_14default_configENS1_35radix_sort_onesweep_config_selectorItNS0_10empty_typeEEEZZNS1_29radix_sort_onesweep_iterationIS3_Lb1EPKtPtPS5_SB_mNS0_19identity_decomposerENS1_16block_id_wrapperIjLb1EEEEE10hipError_tT1_PNSt15iterator_traitsISG_E10value_typeET2_T3_PNSH_ISM_E10value_typeET4_T5_PSR_SS_PNS1_23onesweep_lookback_stateEbbT6_jjT7_P12ihipStream_tbENKUlT_T0_SG_SL_E_clISA_SA_SB_SB_EEDaSZ_S10_SG_SL_EUlSZ_E_NS1_11comp_targetILNS1_3genE4ELNS1_11target_archE910ELNS1_3gpuE8ELNS1_3repE0EEENS1_47radix_sort_onesweep_sort_config_static_selectorELNS0_4arch9wavefront6targetE0EEEvSG_,"axG",@progbits,_ZN7rocprim17ROCPRIM_400000_NS6detail17trampoline_kernelINS0_14default_configENS1_35radix_sort_onesweep_config_selectorItNS0_10empty_typeEEEZZNS1_29radix_sort_onesweep_iterationIS3_Lb1EPKtPtPS5_SB_mNS0_19identity_decomposerENS1_16block_id_wrapperIjLb1EEEEE10hipError_tT1_PNSt15iterator_traitsISG_E10value_typeET2_T3_PNSH_ISM_E10value_typeET4_T5_PSR_SS_PNS1_23onesweep_lookback_stateEbbT6_jjT7_P12ihipStream_tbENKUlT_T0_SG_SL_E_clISA_SA_SB_SB_EEDaSZ_S10_SG_SL_EUlSZ_E_NS1_11comp_targetILNS1_3genE4ELNS1_11target_archE910ELNS1_3gpuE8ELNS1_3repE0EEENS1_47radix_sort_onesweep_sort_config_static_selectorELNS0_4arch9wavefront6targetE0EEEvSG_,comdat
.Lfunc_end2399:
	.size	_ZN7rocprim17ROCPRIM_400000_NS6detail17trampoline_kernelINS0_14default_configENS1_35radix_sort_onesweep_config_selectorItNS0_10empty_typeEEEZZNS1_29radix_sort_onesweep_iterationIS3_Lb1EPKtPtPS5_SB_mNS0_19identity_decomposerENS1_16block_id_wrapperIjLb1EEEEE10hipError_tT1_PNSt15iterator_traitsISG_E10value_typeET2_T3_PNSH_ISM_E10value_typeET4_T5_PSR_SS_PNS1_23onesweep_lookback_stateEbbT6_jjT7_P12ihipStream_tbENKUlT_T0_SG_SL_E_clISA_SA_SB_SB_EEDaSZ_S10_SG_SL_EUlSZ_E_NS1_11comp_targetILNS1_3genE4ELNS1_11target_archE910ELNS1_3gpuE8ELNS1_3repE0EEENS1_47radix_sort_onesweep_sort_config_static_selectorELNS0_4arch9wavefront6targetE0EEEvSG_, .Lfunc_end2399-_ZN7rocprim17ROCPRIM_400000_NS6detail17trampoline_kernelINS0_14default_configENS1_35radix_sort_onesweep_config_selectorItNS0_10empty_typeEEEZZNS1_29radix_sort_onesweep_iterationIS3_Lb1EPKtPtPS5_SB_mNS0_19identity_decomposerENS1_16block_id_wrapperIjLb1EEEEE10hipError_tT1_PNSt15iterator_traitsISG_E10value_typeET2_T3_PNSH_ISM_E10value_typeET4_T5_PSR_SS_PNS1_23onesweep_lookback_stateEbbT6_jjT7_P12ihipStream_tbENKUlT_T0_SG_SL_E_clISA_SA_SB_SB_EEDaSZ_S10_SG_SL_EUlSZ_E_NS1_11comp_targetILNS1_3genE4ELNS1_11target_archE910ELNS1_3gpuE8ELNS1_3repE0EEENS1_47radix_sort_onesweep_sort_config_static_selectorELNS0_4arch9wavefront6targetE0EEEvSG_
                                        ; -- End function
	.set _ZN7rocprim17ROCPRIM_400000_NS6detail17trampoline_kernelINS0_14default_configENS1_35radix_sort_onesweep_config_selectorItNS0_10empty_typeEEEZZNS1_29radix_sort_onesweep_iterationIS3_Lb1EPKtPtPS5_SB_mNS0_19identity_decomposerENS1_16block_id_wrapperIjLb1EEEEE10hipError_tT1_PNSt15iterator_traitsISG_E10value_typeET2_T3_PNSH_ISM_E10value_typeET4_T5_PSR_SS_PNS1_23onesweep_lookback_stateEbbT6_jjT7_P12ihipStream_tbENKUlT_T0_SG_SL_E_clISA_SA_SB_SB_EEDaSZ_S10_SG_SL_EUlSZ_E_NS1_11comp_targetILNS1_3genE4ELNS1_11target_archE910ELNS1_3gpuE8ELNS1_3repE0EEENS1_47radix_sort_onesweep_sort_config_static_selectorELNS0_4arch9wavefront6targetE0EEEvSG_.num_vgpr, 0
	.set _ZN7rocprim17ROCPRIM_400000_NS6detail17trampoline_kernelINS0_14default_configENS1_35radix_sort_onesweep_config_selectorItNS0_10empty_typeEEEZZNS1_29radix_sort_onesweep_iterationIS3_Lb1EPKtPtPS5_SB_mNS0_19identity_decomposerENS1_16block_id_wrapperIjLb1EEEEE10hipError_tT1_PNSt15iterator_traitsISG_E10value_typeET2_T3_PNSH_ISM_E10value_typeET4_T5_PSR_SS_PNS1_23onesweep_lookback_stateEbbT6_jjT7_P12ihipStream_tbENKUlT_T0_SG_SL_E_clISA_SA_SB_SB_EEDaSZ_S10_SG_SL_EUlSZ_E_NS1_11comp_targetILNS1_3genE4ELNS1_11target_archE910ELNS1_3gpuE8ELNS1_3repE0EEENS1_47radix_sort_onesweep_sort_config_static_selectorELNS0_4arch9wavefront6targetE0EEEvSG_.num_agpr, 0
	.set _ZN7rocprim17ROCPRIM_400000_NS6detail17trampoline_kernelINS0_14default_configENS1_35radix_sort_onesweep_config_selectorItNS0_10empty_typeEEEZZNS1_29radix_sort_onesweep_iterationIS3_Lb1EPKtPtPS5_SB_mNS0_19identity_decomposerENS1_16block_id_wrapperIjLb1EEEEE10hipError_tT1_PNSt15iterator_traitsISG_E10value_typeET2_T3_PNSH_ISM_E10value_typeET4_T5_PSR_SS_PNS1_23onesweep_lookback_stateEbbT6_jjT7_P12ihipStream_tbENKUlT_T0_SG_SL_E_clISA_SA_SB_SB_EEDaSZ_S10_SG_SL_EUlSZ_E_NS1_11comp_targetILNS1_3genE4ELNS1_11target_archE910ELNS1_3gpuE8ELNS1_3repE0EEENS1_47radix_sort_onesweep_sort_config_static_selectorELNS0_4arch9wavefront6targetE0EEEvSG_.numbered_sgpr, 0
	.set _ZN7rocprim17ROCPRIM_400000_NS6detail17trampoline_kernelINS0_14default_configENS1_35radix_sort_onesweep_config_selectorItNS0_10empty_typeEEEZZNS1_29radix_sort_onesweep_iterationIS3_Lb1EPKtPtPS5_SB_mNS0_19identity_decomposerENS1_16block_id_wrapperIjLb1EEEEE10hipError_tT1_PNSt15iterator_traitsISG_E10value_typeET2_T3_PNSH_ISM_E10value_typeET4_T5_PSR_SS_PNS1_23onesweep_lookback_stateEbbT6_jjT7_P12ihipStream_tbENKUlT_T0_SG_SL_E_clISA_SA_SB_SB_EEDaSZ_S10_SG_SL_EUlSZ_E_NS1_11comp_targetILNS1_3genE4ELNS1_11target_archE910ELNS1_3gpuE8ELNS1_3repE0EEENS1_47radix_sort_onesweep_sort_config_static_selectorELNS0_4arch9wavefront6targetE0EEEvSG_.num_named_barrier, 0
	.set _ZN7rocprim17ROCPRIM_400000_NS6detail17trampoline_kernelINS0_14default_configENS1_35radix_sort_onesweep_config_selectorItNS0_10empty_typeEEEZZNS1_29radix_sort_onesweep_iterationIS3_Lb1EPKtPtPS5_SB_mNS0_19identity_decomposerENS1_16block_id_wrapperIjLb1EEEEE10hipError_tT1_PNSt15iterator_traitsISG_E10value_typeET2_T3_PNSH_ISM_E10value_typeET4_T5_PSR_SS_PNS1_23onesweep_lookback_stateEbbT6_jjT7_P12ihipStream_tbENKUlT_T0_SG_SL_E_clISA_SA_SB_SB_EEDaSZ_S10_SG_SL_EUlSZ_E_NS1_11comp_targetILNS1_3genE4ELNS1_11target_archE910ELNS1_3gpuE8ELNS1_3repE0EEENS1_47radix_sort_onesweep_sort_config_static_selectorELNS0_4arch9wavefront6targetE0EEEvSG_.private_seg_size, 0
	.set _ZN7rocprim17ROCPRIM_400000_NS6detail17trampoline_kernelINS0_14default_configENS1_35radix_sort_onesweep_config_selectorItNS0_10empty_typeEEEZZNS1_29radix_sort_onesweep_iterationIS3_Lb1EPKtPtPS5_SB_mNS0_19identity_decomposerENS1_16block_id_wrapperIjLb1EEEEE10hipError_tT1_PNSt15iterator_traitsISG_E10value_typeET2_T3_PNSH_ISM_E10value_typeET4_T5_PSR_SS_PNS1_23onesweep_lookback_stateEbbT6_jjT7_P12ihipStream_tbENKUlT_T0_SG_SL_E_clISA_SA_SB_SB_EEDaSZ_S10_SG_SL_EUlSZ_E_NS1_11comp_targetILNS1_3genE4ELNS1_11target_archE910ELNS1_3gpuE8ELNS1_3repE0EEENS1_47radix_sort_onesweep_sort_config_static_selectorELNS0_4arch9wavefront6targetE0EEEvSG_.uses_vcc, 0
	.set _ZN7rocprim17ROCPRIM_400000_NS6detail17trampoline_kernelINS0_14default_configENS1_35radix_sort_onesweep_config_selectorItNS0_10empty_typeEEEZZNS1_29radix_sort_onesweep_iterationIS3_Lb1EPKtPtPS5_SB_mNS0_19identity_decomposerENS1_16block_id_wrapperIjLb1EEEEE10hipError_tT1_PNSt15iterator_traitsISG_E10value_typeET2_T3_PNSH_ISM_E10value_typeET4_T5_PSR_SS_PNS1_23onesweep_lookback_stateEbbT6_jjT7_P12ihipStream_tbENKUlT_T0_SG_SL_E_clISA_SA_SB_SB_EEDaSZ_S10_SG_SL_EUlSZ_E_NS1_11comp_targetILNS1_3genE4ELNS1_11target_archE910ELNS1_3gpuE8ELNS1_3repE0EEENS1_47radix_sort_onesweep_sort_config_static_selectorELNS0_4arch9wavefront6targetE0EEEvSG_.uses_flat_scratch, 0
	.set _ZN7rocprim17ROCPRIM_400000_NS6detail17trampoline_kernelINS0_14default_configENS1_35radix_sort_onesweep_config_selectorItNS0_10empty_typeEEEZZNS1_29radix_sort_onesweep_iterationIS3_Lb1EPKtPtPS5_SB_mNS0_19identity_decomposerENS1_16block_id_wrapperIjLb1EEEEE10hipError_tT1_PNSt15iterator_traitsISG_E10value_typeET2_T3_PNSH_ISM_E10value_typeET4_T5_PSR_SS_PNS1_23onesweep_lookback_stateEbbT6_jjT7_P12ihipStream_tbENKUlT_T0_SG_SL_E_clISA_SA_SB_SB_EEDaSZ_S10_SG_SL_EUlSZ_E_NS1_11comp_targetILNS1_3genE4ELNS1_11target_archE910ELNS1_3gpuE8ELNS1_3repE0EEENS1_47radix_sort_onesweep_sort_config_static_selectorELNS0_4arch9wavefront6targetE0EEEvSG_.has_dyn_sized_stack, 0
	.set _ZN7rocprim17ROCPRIM_400000_NS6detail17trampoline_kernelINS0_14default_configENS1_35radix_sort_onesweep_config_selectorItNS0_10empty_typeEEEZZNS1_29radix_sort_onesweep_iterationIS3_Lb1EPKtPtPS5_SB_mNS0_19identity_decomposerENS1_16block_id_wrapperIjLb1EEEEE10hipError_tT1_PNSt15iterator_traitsISG_E10value_typeET2_T3_PNSH_ISM_E10value_typeET4_T5_PSR_SS_PNS1_23onesweep_lookback_stateEbbT6_jjT7_P12ihipStream_tbENKUlT_T0_SG_SL_E_clISA_SA_SB_SB_EEDaSZ_S10_SG_SL_EUlSZ_E_NS1_11comp_targetILNS1_3genE4ELNS1_11target_archE910ELNS1_3gpuE8ELNS1_3repE0EEENS1_47radix_sort_onesweep_sort_config_static_selectorELNS0_4arch9wavefront6targetE0EEEvSG_.has_recursion, 0
	.set _ZN7rocprim17ROCPRIM_400000_NS6detail17trampoline_kernelINS0_14default_configENS1_35radix_sort_onesweep_config_selectorItNS0_10empty_typeEEEZZNS1_29radix_sort_onesweep_iterationIS3_Lb1EPKtPtPS5_SB_mNS0_19identity_decomposerENS1_16block_id_wrapperIjLb1EEEEE10hipError_tT1_PNSt15iterator_traitsISG_E10value_typeET2_T3_PNSH_ISM_E10value_typeET4_T5_PSR_SS_PNS1_23onesweep_lookback_stateEbbT6_jjT7_P12ihipStream_tbENKUlT_T0_SG_SL_E_clISA_SA_SB_SB_EEDaSZ_S10_SG_SL_EUlSZ_E_NS1_11comp_targetILNS1_3genE4ELNS1_11target_archE910ELNS1_3gpuE8ELNS1_3repE0EEENS1_47radix_sort_onesweep_sort_config_static_selectorELNS0_4arch9wavefront6targetE0EEEvSG_.has_indirect_call, 0
	.section	.AMDGPU.csdata,"",@progbits
; Kernel info:
; codeLenInByte = 0
; TotalNumSgprs: 0
; NumVgprs: 0
; ScratchSize: 0
; MemoryBound: 0
; FloatMode: 240
; IeeeMode: 1
; LDSByteSize: 0 bytes/workgroup (compile time only)
; SGPRBlocks: 0
; VGPRBlocks: 0
; NumSGPRsForWavesPerEU: 1
; NumVGPRsForWavesPerEU: 1
; NamedBarCnt: 0
; Occupancy: 16
; WaveLimiterHint : 0
; COMPUTE_PGM_RSRC2:SCRATCH_EN: 0
; COMPUTE_PGM_RSRC2:USER_SGPR: 2
; COMPUTE_PGM_RSRC2:TRAP_HANDLER: 0
; COMPUTE_PGM_RSRC2:TGID_X_EN: 1
; COMPUTE_PGM_RSRC2:TGID_Y_EN: 0
; COMPUTE_PGM_RSRC2:TGID_Z_EN: 0
; COMPUTE_PGM_RSRC2:TIDIG_COMP_CNT: 0
	.section	.text._ZN7rocprim17ROCPRIM_400000_NS6detail17trampoline_kernelINS0_14default_configENS1_35radix_sort_onesweep_config_selectorItNS0_10empty_typeEEEZZNS1_29radix_sort_onesweep_iterationIS3_Lb1EPKtPtPS5_SB_mNS0_19identity_decomposerENS1_16block_id_wrapperIjLb1EEEEE10hipError_tT1_PNSt15iterator_traitsISG_E10value_typeET2_T3_PNSH_ISM_E10value_typeET4_T5_PSR_SS_PNS1_23onesweep_lookback_stateEbbT6_jjT7_P12ihipStream_tbENKUlT_T0_SG_SL_E_clISA_SA_SB_SB_EEDaSZ_S10_SG_SL_EUlSZ_E_NS1_11comp_targetILNS1_3genE3ELNS1_11target_archE908ELNS1_3gpuE7ELNS1_3repE0EEENS1_47radix_sort_onesweep_sort_config_static_selectorELNS0_4arch9wavefront6targetE0EEEvSG_,"axG",@progbits,_ZN7rocprim17ROCPRIM_400000_NS6detail17trampoline_kernelINS0_14default_configENS1_35radix_sort_onesweep_config_selectorItNS0_10empty_typeEEEZZNS1_29radix_sort_onesweep_iterationIS3_Lb1EPKtPtPS5_SB_mNS0_19identity_decomposerENS1_16block_id_wrapperIjLb1EEEEE10hipError_tT1_PNSt15iterator_traitsISG_E10value_typeET2_T3_PNSH_ISM_E10value_typeET4_T5_PSR_SS_PNS1_23onesweep_lookback_stateEbbT6_jjT7_P12ihipStream_tbENKUlT_T0_SG_SL_E_clISA_SA_SB_SB_EEDaSZ_S10_SG_SL_EUlSZ_E_NS1_11comp_targetILNS1_3genE3ELNS1_11target_archE908ELNS1_3gpuE7ELNS1_3repE0EEENS1_47radix_sort_onesweep_sort_config_static_selectorELNS0_4arch9wavefront6targetE0EEEvSG_,comdat
	.protected	_ZN7rocprim17ROCPRIM_400000_NS6detail17trampoline_kernelINS0_14default_configENS1_35radix_sort_onesweep_config_selectorItNS0_10empty_typeEEEZZNS1_29radix_sort_onesweep_iterationIS3_Lb1EPKtPtPS5_SB_mNS0_19identity_decomposerENS1_16block_id_wrapperIjLb1EEEEE10hipError_tT1_PNSt15iterator_traitsISG_E10value_typeET2_T3_PNSH_ISM_E10value_typeET4_T5_PSR_SS_PNS1_23onesweep_lookback_stateEbbT6_jjT7_P12ihipStream_tbENKUlT_T0_SG_SL_E_clISA_SA_SB_SB_EEDaSZ_S10_SG_SL_EUlSZ_E_NS1_11comp_targetILNS1_3genE3ELNS1_11target_archE908ELNS1_3gpuE7ELNS1_3repE0EEENS1_47radix_sort_onesweep_sort_config_static_selectorELNS0_4arch9wavefront6targetE0EEEvSG_ ; -- Begin function _ZN7rocprim17ROCPRIM_400000_NS6detail17trampoline_kernelINS0_14default_configENS1_35radix_sort_onesweep_config_selectorItNS0_10empty_typeEEEZZNS1_29radix_sort_onesweep_iterationIS3_Lb1EPKtPtPS5_SB_mNS0_19identity_decomposerENS1_16block_id_wrapperIjLb1EEEEE10hipError_tT1_PNSt15iterator_traitsISG_E10value_typeET2_T3_PNSH_ISM_E10value_typeET4_T5_PSR_SS_PNS1_23onesweep_lookback_stateEbbT6_jjT7_P12ihipStream_tbENKUlT_T0_SG_SL_E_clISA_SA_SB_SB_EEDaSZ_S10_SG_SL_EUlSZ_E_NS1_11comp_targetILNS1_3genE3ELNS1_11target_archE908ELNS1_3gpuE7ELNS1_3repE0EEENS1_47radix_sort_onesweep_sort_config_static_selectorELNS0_4arch9wavefront6targetE0EEEvSG_
	.globl	_ZN7rocprim17ROCPRIM_400000_NS6detail17trampoline_kernelINS0_14default_configENS1_35radix_sort_onesweep_config_selectorItNS0_10empty_typeEEEZZNS1_29radix_sort_onesweep_iterationIS3_Lb1EPKtPtPS5_SB_mNS0_19identity_decomposerENS1_16block_id_wrapperIjLb1EEEEE10hipError_tT1_PNSt15iterator_traitsISG_E10value_typeET2_T3_PNSH_ISM_E10value_typeET4_T5_PSR_SS_PNS1_23onesweep_lookback_stateEbbT6_jjT7_P12ihipStream_tbENKUlT_T0_SG_SL_E_clISA_SA_SB_SB_EEDaSZ_S10_SG_SL_EUlSZ_E_NS1_11comp_targetILNS1_3genE3ELNS1_11target_archE908ELNS1_3gpuE7ELNS1_3repE0EEENS1_47radix_sort_onesweep_sort_config_static_selectorELNS0_4arch9wavefront6targetE0EEEvSG_
	.p2align	8
	.type	_ZN7rocprim17ROCPRIM_400000_NS6detail17trampoline_kernelINS0_14default_configENS1_35radix_sort_onesweep_config_selectorItNS0_10empty_typeEEEZZNS1_29radix_sort_onesweep_iterationIS3_Lb1EPKtPtPS5_SB_mNS0_19identity_decomposerENS1_16block_id_wrapperIjLb1EEEEE10hipError_tT1_PNSt15iterator_traitsISG_E10value_typeET2_T3_PNSH_ISM_E10value_typeET4_T5_PSR_SS_PNS1_23onesweep_lookback_stateEbbT6_jjT7_P12ihipStream_tbENKUlT_T0_SG_SL_E_clISA_SA_SB_SB_EEDaSZ_S10_SG_SL_EUlSZ_E_NS1_11comp_targetILNS1_3genE3ELNS1_11target_archE908ELNS1_3gpuE7ELNS1_3repE0EEENS1_47radix_sort_onesweep_sort_config_static_selectorELNS0_4arch9wavefront6targetE0EEEvSG_,@function
_ZN7rocprim17ROCPRIM_400000_NS6detail17trampoline_kernelINS0_14default_configENS1_35radix_sort_onesweep_config_selectorItNS0_10empty_typeEEEZZNS1_29radix_sort_onesweep_iterationIS3_Lb1EPKtPtPS5_SB_mNS0_19identity_decomposerENS1_16block_id_wrapperIjLb1EEEEE10hipError_tT1_PNSt15iterator_traitsISG_E10value_typeET2_T3_PNSH_ISM_E10value_typeET4_T5_PSR_SS_PNS1_23onesweep_lookback_stateEbbT6_jjT7_P12ihipStream_tbENKUlT_T0_SG_SL_E_clISA_SA_SB_SB_EEDaSZ_S10_SG_SL_EUlSZ_E_NS1_11comp_targetILNS1_3genE3ELNS1_11target_archE908ELNS1_3gpuE7ELNS1_3repE0EEENS1_47radix_sort_onesweep_sort_config_static_selectorELNS0_4arch9wavefront6targetE0EEEvSG_: ; @_ZN7rocprim17ROCPRIM_400000_NS6detail17trampoline_kernelINS0_14default_configENS1_35radix_sort_onesweep_config_selectorItNS0_10empty_typeEEEZZNS1_29radix_sort_onesweep_iterationIS3_Lb1EPKtPtPS5_SB_mNS0_19identity_decomposerENS1_16block_id_wrapperIjLb1EEEEE10hipError_tT1_PNSt15iterator_traitsISG_E10value_typeET2_T3_PNSH_ISM_E10value_typeET4_T5_PSR_SS_PNS1_23onesweep_lookback_stateEbbT6_jjT7_P12ihipStream_tbENKUlT_T0_SG_SL_E_clISA_SA_SB_SB_EEDaSZ_S10_SG_SL_EUlSZ_E_NS1_11comp_targetILNS1_3genE3ELNS1_11target_archE908ELNS1_3gpuE7ELNS1_3repE0EEENS1_47radix_sort_onesweep_sort_config_static_selectorELNS0_4arch9wavefront6targetE0EEEvSG_
; %bb.0:
	.section	.rodata,"a",@progbits
	.p2align	6, 0x0
	.amdhsa_kernel _ZN7rocprim17ROCPRIM_400000_NS6detail17trampoline_kernelINS0_14default_configENS1_35radix_sort_onesweep_config_selectorItNS0_10empty_typeEEEZZNS1_29radix_sort_onesweep_iterationIS3_Lb1EPKtPtPS5_SB_mNS0_19identity_decomposerENS1_16block_id_wrapperIjLb1EEEEE10hipError_tT1_PNSt15iterator_traitsISG_E10value_typeET2_T3_PNSH_ISM_E10value_typeET4_T5_PSR_SS_PNS1_23onesweep_lookback_stateEbbT6_jjT7_P12ihipStream_tbENKUlT_T0_SG_SL_E_clISA_SA_SB_SB_EEDaSZ_S10_SG_SL_EUlSZ_E_NS1_11comp_targetILNS1_3genE3ELNS1_11target_archE908ELNS1_3gpuE7ELNS1_3repE0EEENS1_47radix_sort_onesweep_sort_config_static_selectorELNS0_4arch9wavefront6targetE0EEEvSG_
		.amdhsa_group_segment_fixed_size 0
		.amdhsa_private_segment_fixed_size 0
		.amdhsa_kernarg_size 88
		.amdhsa_user_sgpr_count 2
		.amdhsa_user_sgpr_dispatch_ptr 0
		.amdhsa_user_sgpr_queue_ptr 0
		.amdhsa_user_sgpr_kernarg_segment_ptr 1
		.amdhsa_user_sgpr_dispatch_id 0
		.amdhsa_user_sgpr_kernarg_preload_length 0
		.amdhsa_user_sgpr_kernarg_preload_offset 0
		.amdhsa_user_sgpr_private_segment_size 0
		.amdhsa_wavefront_size32 1
		.amdhsa_uses_dynamic_stack 0
		.amdhsa_enable_private_segment 0
		.amdhsa_system_sgpr_workgroup_id_x 1
		.amdhsa_system_sgpr_workgroup_id_y 0
		.amdhsa_system_sgpr_workgroup_id_z 0
		.amdhsa_system_sgpr_workgroup_info 0
		.amdhsa_system_vgpr_workitem_id 0
		.amdhsa_next_free_vgpr 1
		.amdhsa_next_free_sgpr 1
		.amdhsa_named_barrier_count 0
		.amdhsa_reserve_vcc 0
		.amdhsa_float_round_mode_32 0
		.amdhsa_float_round_mode_16_64 0
		.amdhsa_float_denorm_mode_32 3
		.amdhsa_float_denorm_mode_16_64 3
		.amdhsa_fp16_overflow 0
		.amdhsa_memory_ordered 1
		.amdhsa_forward_progress 1
		.amdhsa_inst_pref_size 0
		.amdhsa_round_robin_scheduling 0
		.amdhsa_exception_fp_ieee_invalid_op 0
		.amdhsa_exception_fp_denorm_src 0
		.amdhsa_exception_fp_ieee_div_zero 0
		.amdhsa_exception_fp_ieee_overflow 0
		.amdhsa_exception_fp_ieee_underflow 0
		.amdhsa_exception_fp_ieee_inexact 0
		.amdhsa_exception_int_div_zero 0
	.end_amdhsa_kernel
	.section	.text._ZN7rocprim17ROCPRIM_400000_NS6detail17trampoline_kernelINS0_14default_configENS1_35radix_sort_onesweep_config_selectorItNS0_10empty_typeEEEZZNS1_29radix_sort_onesweep_iterationIS3_Lb1EPKtPtPS5_SB_mNS0_19identity_decomposerENS1_16block_id_wrapperIjLb1EEEEE10hipError_tT1_PNSt15iterator_traitsISG_E10value_typeET2_T3_PNSH_ISM_E10value_typeET4_T5_PSR_SS_PNS1_23onesweep_lookback_stateEbbT6_jjT7_P12ihipStream_tbENKUlT_T0_SG_SL_E_clISA_SA_SB_SB_EEDaSZ_S10_SG_SL_EUlSZ_E_NS1_11comp_targetILNS1_3genE3ELNS1_11target_archE908ELNS1_3gpuE7ELNS1_3repE0EEENS1_47radix_sort_onesweep_sort_config_static_selectorELNS0_4arch9wavefront6targetE0EEEvSG_,"axG",@progbits,_ZN7rocprim17ROCPRIM_400000_NS6detail17trampoline_kernelINS0_14default_configENS1_35radix_sort_onesweep_config_selectorItNS0_10empty_typeEEEZZNS1_29radix_sort_onesweep_iterationIS3_Lb1EPKtPtPS5_SB_mNS0_19identity_decomposerENS1_16block_id_wrapperIjLb1EEEEE10hipError_tT1_PNSt15iterator_traitsISG_E10value_typeET2_T3_PNSH_ISM_E10value_typeET4_T5_PSR_SS_PNS1_23onesweep_lookback_stateEbbT6_jjT7_P12ihipStream_tbENKUlT_T0_SG_SL_E_clISA_SA_SB_SB_EEDaSZ_S10_SG_SL_EUlSZ_E_NS1_11comp_targetILNS1_3genE3ELNS1_11target_archE908ELNS1_3gpuE7ELNS1_3repE0EEENS1_47radix_sort_onesweep_sort_config_static_selectorELNS0_4arch9wavefront6targetE0EEEvSG_,comdat
.Lfunc_end2400:
	.size	_ZN7rocprim17ROCPRIM_400000_NS6detail17trampoline_kernelINS0_14default_configENS1_35radix_sort_onesweep_config_selectorItNS0_10empty_typeEEEZZNS1_29radix_sort_onesweep_iterationIS3_Lb1EPKtPtPS5_SB_mNS0_19identity_decomposerENS1_16block_id_wrapperIjLb1EEEEE10hipError_tT1_PNSt15iterator_traitsISG_E10value_typeET2_T3_PNSH_ISM_E10value_typeET4_T5_PSR_SS_PNS1_23onesweep_lookback_stateEbbT6_jjT7_P12ihipStream_tbENKUlT_T0_SG_SL_E_clISA_SA_SB_SB_EEDaSZ_S10_SG_SL_EUlSZ_E_NS1_11comp_targetILNS1_3genE3ELNS1_11target_archE908ELNS1_3gpuE7ELNS1_3repE0EEENS1_47radix_sort_onesweep_sort_config_static_selectorELNS0_4arch9wavefront6targetE0EEEvSG_, .Lfunc_end2400-_ZN7rocprim17ROCPRIM_400000_NS6detail17trampoline_kernelINS0_14default_configENS1_35radix_sort_onesweep_config_selectorItNS0_10empty_typeEEEZZNS1_29radix_sort_onesweep_iterationIS3_Lb1EPKtPtPS5_SB_mNS0_19identity_decomposerENS1_16block_id_wrapperIjLb1EEEEE10hipError_tT1_PNSt15iterator_traitsISG_E10value_typeET2_T3_PNSH_ISM_E10value_typeET4_T5_PSR_SS_PNS1_23onesweep_lookback_stateEbbT6_jjT7_P12ihipStream_tbENKUlT_T0_SG_SL_E_clISA_SA_SB_SB_EEDaSZ_S10_SG_SL_EUlSZ_E_NS1_11comp_targetILNS1_3genE3ELNS1_11target_archE908ELNS1_3gpuE7ELNS1_3repE0EEENS1_47radix_sort_onesweep_sort_config_static_selectorELNS0_4arch9wavefront6targetE0EEEvSG_
                                        ; -- End function
	.set _ZN7rocprim17ROCPRIM_400000_NS6detail17trampoline_kernelINS0_14default_configENS1_35radix_sort_onesweep_config_selectorItNS0_10empty_typeEEEZZNS1_29radix_sort_onesweep_iterationIS3_Lb1EPKtPtPS5_SB_mNS0_19identity_decomposerENS1_16block_id_wrapperIjLb1EEEEE10hipError_tT1_PNSt15iterator_traitsISG_E10value_typeET2_T3_PNSH_ISM_E10value_typeET4_T5_PSR_SS_PNS1_23onesweep_lookback_stateEbbT6_jjT7_P12ihipStream_tbENKUlT_T0_SG_SL_E_clISA_SA_SB_SB_EEDaSZ_S10_SG_SL_EUlSZ_E_NS1_11comp_targetILNS1_3genE3ELNS1_11target_archE908ELNS1_3gpuE7ELNS1_3repE0EEENS1_47radix_sort_onesweep_sort_config_static_selectorELNS0_4arch9wavefront6targetE0EEEvSG_.num_vgpr, 0
	.set _ZN7rocprim17ROCPRIM_400000_NS6detail17trampoline_kernelINS0_14default_configENS1_35radix_sort_onesweep_config_selectorItNS0_10empty_typeEEEZZNS1_29radix_sort_onesweep_iterationIS3_Lb1EPKtPtPS5_SB_mNS0_19identity_decomposerENS1_16block_id_wrapperIjLb1EEEEE10hipError_tT1_PNSt15iterator_traitsISG_E10value_typeET2_T3_PNSH_ISM_E10value_typeET4_T5_PSR_SS_PNS1_23onesweep_lookback_stateEbbT6_jjT7_P12ihipStream_tbENKUlT_T0_SG_SL_E_clISA_SA_SB_SB_EEDaSZ_S10_SG_SL_EUlSZ_E_NS1_11comp_targetILNS1_3genE3ELNS1_11target_archE908ELNS1_3gpuE7ELNS1_3repE0EEENS1_47radix_sort_onesweep_sort_config_static_selectorELNS0_4arch9wavefront6targetE0EEEvSG_.num_agpr, 0
	.set _ZN7rocprim17ROCPRIM_400000_NS6detail17trampoline_kernelINS0_14default_configENS1_35radix_sort_onesweep_config_selectorItNS0_10empty_typeEEEZZNS1_29radix_sort_onesweep_iterationIS3_Lb1EPKtPtPS5_SB_mNS0_19identity_decomposerENS1_16block_id_wrapperIjLb1EEEEE10hipError_tT1_PNSt15iterator_traitsISG_E10value_typeET2_T3_PNSH_ISM_E10value_typeET4_T5_PSR_SS_PNS1_23onesweep_lookback_stateEbbT6_jjT7_P12ihipStream_tbENKUlT_T0_SG_SL_E_clISA_SA_SB_SB_EEDaSZ_S10_SG_SL_EUlSZ_E_NS1_11comp_targetILNS1_3genE3ELNS1_11target_archE908ELNS1_3gpuE7ELNS1_3repE0EEENS1_47radix_sort_onesweep_sort_config_static_selectorELNS0_4arch9wavefront6targetE0EEEvSG_.numbered_sgpr, 0
	.set _ZN7rocprim17ROCPRIM_400000_NS6detail17trampoline_kernelINS0_14default_configENS1_35radix_sort_onesweep_config_selectorItNS0_10empty_typeEEEZZNS1_29radix_sort_onesweep_iterationIS3_Lb1EPKtPtPS5_SB_mNS0_19identity_decomposerENS1_16block_id_wrapperIjLb1EEEEE10hipError_tT1_PNSt15iterator_traitsISG_E10value_typeET2_T3_PNSH_ISM_E10value_typeET4_T5_PSR_SS_PNS1_23onesweep_lookback_stateEbbT6_jjT7_P12ihipStream_tbENKUlT_T0_SG_SL_E_clISA_SA_SB_SB_EEDaSZ_S10_SG_SL_EUlSZ_E_NS1_11comp_targetILNS1_3genE3ELNS1_11target_archE908ELNS1_3gpuE7ELNS1_3repE0EEENS1_47radix_sort_onesweep_sort_config_static_selectorELNS0_4arch9wavefront6targetE0EEEvSG_.num_named_barrier, 0
	.set _ZN7rocprim17ROCPRIM_400000_NS6detail17trampoline_kernelINS0_14default_configENS1_35radix_sort_onesweep_config_selectorItNS0_10empty_typeEEEZZNS1_29radix_sort_onesweep_iterationIS3_Lb1EPKtPtPS5_SB_mNS0_19identity_decomposerENS1_16block_id_wrapperIjLb1EEEEE10hipError_tT1_PNSt15iterator_traitsISG_E10value_typeET2_T3_PNSH_ISM_E10value_typeET4_T5_PSR_SS_PNS1_23onesweep_lookback_stateEbbT6_jjT7_P12ihipStream_tbENKUlT_T0_SG_SL_E_clISA_SA_SB_SB_EEDaSZ_S10_SG_SL_EUlSZ_E_NS1_11comp_targetILNS1_3genE3ELNS1_11target_archE908ELNS1_3gpuE7ELNS1_3repE0EEENS1_47radix_sort_onesweep_sort_config_static_selectorELNS0_4arch9wavefront6targetE0EEEvSG_.private_seg_size, 0
	.set _ZN7rocprim17ROCPRIM_400000_NS6detail17trampoline_kernelINS0_14default_configENS1_35radix_sort_onesweep_config_selectorItNS0_10empty_typeEEEZZNS1_29radix_sort_onesweep_iterationIS3_Lb1EPKtPtPS5_SB_mNS0_19identity_decomposerENS1_16block_id_wrapperIjLb1EEEEE10hipError_tT1_PNSt15iterator_traitsISG_E10value_typeET2_T3_PNSH_ISM_E10value_typeET4_T5_PSR_SS_PNS1_23onesweep_lookback_stateEbbT6_jjT7_P12ihipStream_tbENKUlT_T0_SG_SL_E_clISA_SA_SB_SB_EEDaSZ_S10_SG_SL_EUlSZ_E_NS1_11comp_targetILNS1_3genE3ELNS1_11target_archE908ELNS1_3gpuE7ELNS1_3repE0EEENS1_47radix_sort_onesweep_sort_config_static_selectorELNS0_4arch9wavefront6targetE0EEEvSG_.uses_vcc, 0
	.set _ZN7rocprim17ROCPRIM_400000_NS6detail17trampoline_kernelINS0_14default_configENS1_35radix_sort_onesweep_config_selectorItNS0_10empty_typeEEEZZNS1_29radix_sort_onesweep_iterationIS3_Lb1EPKtPtPS5_SB_mNS0_19identity_decomposerENS1_16block_id_wrapperIjLb1EEEEE10hipError_tT1_PNSt15iterator_traitsISG_E10value_typeET2_T3_PNSH_ISM_E10value_typeET4_T5_PSR_SS_PNS1_23onesweep_lookback_stateEbbT6_jjT7_P12ihipStream_tbENKUlT_T0_SG_SL_E_clISA_SA_SB_SB_EEDaSZ_S10_SG_SL_EUlSZ_E_NS1_11comp_targetILNS1_3genE3ELNS1_11target_archE908ELNS1_3gpuE7ELNS1_3repE0EEENS1_47radix_sort_onesweep_sort_config_static_selectorELNS0_4arch9wavefront6targetE0EEEvSG_.uses_flat_scratch, 0
	.set _ZN7rocprim17ROCPRIM_400000_NS6detail17trampoline_kernelINS0_14default_configENS1_35radix_sort_onesweep_config_selectorItNS0_10empty_typeEEEZZNS1_29radix_sort_onesweep_iterationIS3_Lb1EPKtPtPS5_SB_mNS0_19identity_decomposerENS1_16block_id_wrapperIjLb1EEEEE10hipError_tT1_PNSt15iterator_traitsISG_E10value_typeET2_T3_PNSH_ISM_E10value_typeET4_T5_PSR_SS_PNS1_23onesweep_lookback_stateEbbT6_jjT7_P12ihipStream_tbENKUlT_T0_SG_SL_E_clISA_SA_SB_SB_EEDaSZ_S10_SG_SL_EUlSZ_E_NS1_11comp_targetILNS1_3genE3ELNS1_11target_archE908ELNS1_3gpuE7ELNS1_3repE0EEENS1_47radix_sort_onesweep_sort_config_static_selectorELNS0_4arch9wavefront6targetE0EEEvSG_.has_dyn_sized_stack, 0
	.set _ZN7rocprim17ROCPRIM_400000_NS6detail17trampoline_kernelINS0_14default_configENS1_35radix_sort_onesweep_config_selectorItNS0_10empty_typeEEEZZNS1_29radix_sort_onesweep_iterationIS3_Lb1EPKtPtPS5_SB_mNS0_19identity_decomposerENS1_16block_id_wrapperIjLb1EEEEE10hipError_tT1_PNSt15iterator_traitsISG_E10value_typeET2_T3_PNSH_ISM_E10value_typeET4_T5_PSR_SS_PNS1_23onesweep_lookback_stateEbbT6_jjT7_P12ihipStream_tbENKUlT_T0_SG_SL_E_clISA_SA_SB_SB_EEDaSZ_S10_SG_SL_EUlSZ_E_NS1_11comp_targetILNS1_3genE3ELNS1_11target_archE908ELNS1_3gpuE7ELNS1_3repE0EEENS1_47radix_sort_onesweep_sort_config_static_selectorELNS0_4arch9wavefront6targetE0EEEvSG_.has_recursion, 0
	.set _ZN7rocprim17ROCPRIM_400000_NS6detail17trampoline_kernelINS0_14default_configENS1_35radix_sort_onesweep_config_selectorItNS0_10empty_typeEEEZZNS1_29radix_sort_onesweep_iterationIS3_Lb1EPKtPtPS5_SB_mNS0_19identity_decomposerENS1_16block_id_wrapperIjLb1EEEEE10hipError_tT1_PNSt15iterator_traitsISG_E10value_typeET2_T3_PNSH_ISM_E10value_typeET4_T5_PSR_SS_PNS1_23onesweep_lookback_stateEbbT6_jjT7_P12ihipStream_tbENKUlT_T0_SG_SL_E_clISA_SA_SB_SB_EEDaSZ_S10_SG_SL_EUlSZ_E_NS1_11comp_targetILNS1_3genE3ELNS1_11target_archE908ELNS1_3gpuE7ELNS1_3repE0EEENS1_47radix_sort_onesweep_sort_config_static_selectorELNS0_4arch9wavefront6targetE0EEEvSG_.has_indirect_call, 0
	.section	.AMDGPU.csdata,"",@progbits
; Kernel info:
; codeLenInByte = 0
; TotalNumSgprs: 0
; NumVgprs: 0
; ScratchSize: 0
; MemoryBound: 0
; FloatMode: 240
; IeeeMode: 1
; LDSByteSize: 0 bytes/workgroup (compile time only)
; SGPRBlocks: 0
; VGPRBlocks: 0
; NumSGPRsForWavesPerEU: 1
; NumVGPRsForWavesPerEU: 1
; NamedBarCnt: 0
; Occupancy: 16
; WaveLimiterHint : 0
; COMPUTE_PGM_RSRC2:SCRATCH_EN: 0
; COMPUTE_PGM_RSRC2:USER_SGPR: 2
; COMPUTE_PGM_RSRC2:TRAP_HANDLER: 0
; COMPUTE_PGM_RSRC2:TGID_X_EN: 1
; COMPUTE_PGM_RSRC2:TGID_Y_EN: 0
; COMPUTE_PGM_RSRC2:TGID_Z_EN: 0
; COMPUTE_PGM_RSRC2:TIDIG_COMP_CNT: 0
	.section	.text._ZN7rocprim17ROCPRIM_400000_NS6detail17trampoline_kernelINS0_14default_configENS1_35radix_sort_onesweep_config_selectorItNS0_10empty_typeEEEZZNS1_29radix_sort_onesweep_iterationIS3_Lb1EPKtPtPS5_SB_mNS0_19identity_decomposerENS1_16block_id_wrapperIjLb1EEEEE10hipError_tT1_PNSt15iterator_traitsISG_E10value_typeET2_T3_PNSH_ISM_E10value_typeET4_T5_PSR_SS_PNS1_23onesweep_lookback_stateEbbT6_jjT7_P12ihipStream_tbENKUlT_T0_SG_SL_E_clISA_SA_SB_SB_EEDaSZ_S10_SG_SL_EUlSZ_E_NS1_11comp_targetILNS1_3genE10ELNS1_11target_archE1201ELNS1_3gpuE5ELNS1_3repE0EEENS1_47radix_sort_onesweep_sort_config_static_selectorELNS0_4arch9wavefront6targetE0EEEvSG_,"axG",@progbits,_ZN7rocprim17ROCPRIM_400000_NS6detail17trampoline_kernelINS0_14default_configENS1_35radix_sort_onesweep_config_selectorItNS0_10empty_typeEEEZZNS1_29radix_sort_onesweep_iterationIS3_Lb1EPKtPtPS5_SB_mNS0_19identity_decomposerENS1_16block_id_wrapperIjLb1EEEEE10hipError_tT1_PNSt15iterator_traitsISG_E10value_typeET2_T3_PNSH_ISM_E10value_typeET4_T5_PSR_SS_PNS1_23onesweep_lookback_stateEbbT6_jjT7_P12ihipStream_tbENKUlT_T0_SG_SL_E_clISA_SA_SB_SB_EEDaSZ_S10_SG_SL_EUlSZ_E_NS1_11comp_targetILNS1_3genE10ELNS1_11target_archE1201ELNS1_3gpuE5ELNS1_3repE0EEENS1_47radix_sort_onesweep_sort_config_static_selectorELNS0_4arch9wavefront6targetE0EEEvSG_,comdat
	.protected	_ZN7rocprim17ROCPRIM_400000_NS6detail17trampoline_kernelINS0_14default_configENS1_35radix_sort_onesweep_config_selectorItNS0_10empty_typeEEEZZNS1_29radix_sort_onesweep_iterationIS3_Lb1EPKtPtPS5_SB_mNS0_19identity_decomposerENS1_16block_id_wrapperIjLb1EEEEE10hipError_tT1_PNSt15iterator_traitsISG_E10value_typeET2_T3_PNSH_ISM_E10value_typeET4_T5_PSR_SS_PNS1_23onesweep_lookback_stateEbbT6_jjT7_P12ihipStream_tbENKUlT_T0_SG_SL_E_clISA_SA_SB_SB_EEDaSZ_S10_SG_SL_EUlSZ_E_NS1_11comp_targetILNS1_3genE10ELNS1_11target_archE1201ELNS1_3gpuE5ELNS1_3repE0EEENS1_47radix_sort_onesweep_sort_config_static_selectorELNS0_4arch9wavefront6targetE0EEEvSG_ ; -- Begin function _ZN7rocprim17ROCPRIM_400000_NS6detail17trampoline_kernelINS0_14default_configENS1_35radix_sort_onesweep_config_selectorItNS0_10empty_typeEEEZZNS1_29radix_sort_onesweep_iterationIS3_Lb1EPKtPtPS5_SB_mNS0_19identity_decomposerENS1_16block_id_wrapperIjLb1EEEEE10hipError_tT1_PNSt15iterator_traitsISG_E10value_typeET2_T3_PNSH_ISM_E10value_typeET4_T5_PSR_SS_PNS1_23onesweep_lookback_stateEbbT6_jjT7_P12ihipStream_tbENKUlT_T0_SG_SL_E_clISA_SA_SB_SB_EEDaSZ_S10_SG_SL_EUlSZ_E_NS1_11comp_targetILNS1_3genE10ELNS1_11target_archE1201ELNS1_3gpuE5ELNS1_3repE0EEENS1_47radix_sort_onesweep_sort_config_static_selectorELNS0_4arch9wavefront6targetE0EEEvSG_
	.globl	_ZN7rocprim17ROCPRIM_400000_NS6detail17trampoline_kernelINS0_14default_configENS1_35radix_sort_onesweep_config_selectorItNS0_10empty_typeEEEZZNS1_29radix_sort_onesweep_iterationIS3_Lb1EPKtPtPS5_SB_mNS0_19identity_decomposerENS1_16block_id_wrapperIjLb1EEEEE10hipError_tT1_PNSt15iterator_traitsISG_E10value_typeET2_T3_PNSH_ISM_E10value_typeET4_T5_PSR_SS_PNS1_23onesweep_lookback_stateEbbT6_jjT7_P12ihipStream_tbENKUlT_T0_SG_SL_E_clISA_SA_SB_SB_EEDaSZ_S10_SG_SL_EUlSZ_E_NS1_11comp_targetILNS1_3genE10ELNS1_11target_archE1201ELNS1_3gpuE5ELNS1_3repE0EEENS1_47radix_sort_onesweep_sort_config_static_selectorELNS0_4arch9wavefront6targetE0EEEvSG_
	.p2align	8
	.type	_ZN7rocprim17ROCPRIM_400000_NS6detail17trampoline_kernelINS0_14default_configENS1_35radix_sort_onesweep_config_selectorItNS0_10empty_typeEEEZZNS1_29radix_sort_onesweep_iterationIS3_Lb1EPKtPtPS5_SB_mNS0_19identity_decomposerENS1_16block_id_wrapperIjLb1EEEEE10hipError_tT1_PNSt15iterator_traitsISG_E10value_typeET2_T3_PNSH_ISM_E10value_typeET4_T5_PSR_SS_PNS1_23onesweep_lookback_stateEbbT6_jjT7_P12ihipStream_tbENKUlT_T0_SG_SL_E_clISA_SA_SB_SB_EEDaSZ_S10_SG_SL_EUlSZ_E_NS1_11comp_targetILNS1_3genE10ELNS1_11target_archE1201ELNS1_3gpuE5ELNS1_3repE0EEENS1_47radix_sort_onesweep_sort_config_static_selectorELNS0_4arch9wavefront6targetE0EEEvSG_,@function
_ZN7rocprim17ROCPRIM_400000_NS6detail17trampoline_kernelINS0_14default_configENS1_35radix_sort_onesweep_config_selectorItNS0_10empty_typeEEEZZNS1_29radix_sort_onesweep_iterationIS3_Lb1EPKtPtPS5_SB_mNS0_19identity_decomposerENS1_16block_id_wrapperIjLb1EEEEE10hipError_tT1_PNSt15iterator_traitsISG_E10value_typeET2_T3_PNSH_ISM_E10value_typeET4_T5_PSR_SS_PNS1_23onesweep_lookback_stateEbbT6_jjT7_P12ihipStream_tbENKUlT_T0_SG_SL_E_clISA_SA_SB_SB_EEDaSZ_S10_SG_SL_EUlSZ_E_NS1_11comp_targetILNS1_3genE10ELNS1_11target_archE1201ELNS1_3gpuE5ELNS1_3repE0EEENS1_47radix_sort_onesweep_sort_config_static_selectorELNS0_4arch9wavefront6targetE0EEEvSG_: ; @_ZN7rocprim17ROCPRIM_400000_NS6detail17trampoline_kernelINS0_14default_configENS1_35radix_sort_onesweep_config_selectorItNS0_10empty_typeEEEZZNS1_29radix_sort_onesweep_iterationIS3_Lb1EPKtPtPS5_SB_mNS0_19identity_decomposerENS1_16block_id_wrapperIjLb1EEEEE10hipError_tT1_PNSt15iterator_traitsISG_E10value_typeET2_T3_PNSH_ISM_E10value_typeET4_T5_PSR_SS_PNS1_23onesweep_lookback_stateEbbT6_jjT7_P12ihipStream_tbENKUlT_T0_SG_SL_E_clISA_SA_SB_SB_EEDaSZ_S10_SG_SL_EUlSZ_E_NS1_11comp_targetILNS1_3genE10ELNS1_11target_archE1201ELNS1_3gpuE5ELNS1_3repE0EEENS1_47radix_sort_onesweep_sort_config_static_selectorELNS0_4arch9wavefront6targetE0EEEvSG_
; %bb.0:
	.section	.rodata,"a",@progbits
	.p2align	6, 0x0
	.amdhsa_kernel _ZN7rocprim17ROCPRIM_400000_NS6detail17trampoline_kernelINS0_14default_configENS1_35radix_sort_onesweep_config_selectorItNS0_10empty_typeEEEZZNS1_29radix_sort_onesweep_iterationIS3_Lb1EPKtPtPS5_SB_mNS0_19identity_decomposerENS1_16block_id_wrapperIjLb1EEEEE10hipError_tT1_PNSt15iterator_traitsISG_E10value_typeET2_T3_PNSH_ISM_E10value_typeET4_T5_PSR_SS_PNS1_23onesweep_lookback_stateEbbT6_jjT7_P12ihipStream_tbENKUlT_T0_SG_SL_E_clISA_SA_SB_SB_EEDaSZ_S10_SG_SL_EUlSZ_E_NS1_11comp_targetILNS1_3genE10ELNS1_11target_archE1201ELNS1_3gpuE5ELNS1_3repE0EEENS1_47radix_sort_onesweep_sort_config_static_selectorELNS0_4arch9wavefront6targetE0EEEvSG_
		.amdhsa_group_segment_fixed_size 0
		.amdhsa_private_segment_fixed_size 0
		.amdhsa_kernarg_size 88
		.amdhsa_user_sgpr_count 2
		.amdhsa_user_sgpr_dispatch_ptr 0
		.amdhsa_user_sgpr_queue_ptr 0
		.amdhsa_user_sgpr_kernarg_segment_ptr 1
		.amdhsa_user_sgpr_dispatch_id 0
		.amdhsa_user_sgpr_kernarg_preload_length 0
		.amdhsa_user_sgpr_kernarg_preload_offset 0
		.amdhsa_user_sgpr_private_segment_size 0
		.amdhsa_wavefront_size32 1
		.amdhsa_uses_dynamic_stack 0
		.amdhsa_enable_private_segment 0
		.amdhsa_system_sgpr_workgroup_id_x 1
		.amdhsa_system_sgpr_workgroup_id_y 0
		.amdhsa_system_sgpr_workgroup_id_z 0
		.amdhsa_system_sgpr_workgroup_info 0
		.amdhsa_system_vgpr_workitem_id 0
		.amdhsa_next_free_vgpr 1
		.amdhsa_next_free_sgpr 1
		.amdhsa_named_barrier_count 0
		.amdhsa_reserve_vcc 0
		.amdhsa_float_round_mode_32 0
		.amdhsa_float_round_mode_16_64 0
		.amdhsa_float_denorm_mode_32 3
		.amdhsa_float_denorm_mode_16_64 3
		.amdhsa_fp16_overflow 0
		.amdhsa_memory_ordered 1
		.amdhsa_forward_progress 1
		.amdhsa_inst_pref_size 0
		.amdhsa_round_robin_scheduling 0
		.amdhsa_exception_fp_ieee_invalid_op 0
		.amdhsa_exception_fp_denorm_src 0
		.amdhsa_exception_fp_ieee_div_zero 0
		.amdhsa_exception_fp_ieee_overflow 0
		.amdhsa_exception_fp_ieee_underflow 0
		.amdhsa_exception_fp_ieee_inexact 0
		.amdhsa_exception_int_div_zero 0
	.end_amdhsa_kernel
	.section	.text._ZN7rocprim17ROCPRIM_400000_NS6detail17trampoline_kernelINS0_14default_configENS1_35radix_sort_onesweep_config_selectorItNS0_10empty_typeEEEZZNS1_29radix_sort_onesweep_iterationIS3_Lb1EPKtPtPS5_SB_mNS0_19identity_decomposerENS1_16block_id_wrapperIjLb1EEEEE10hipError_tT1_PNSt15iterator_traitsISG_E10value_typeET2_T3_PNSH_ISM_E10value_typeET4_T5_PSR_SS_PNS1_23onesweep_lookback_stateEbbT6_jjT7_P12ihipStream_tbENKUlT_T0_SG_SL_E_clISA_SA_SB_SB_EEDaSZ_S10_SG_SL_EUlSZ_E_NS1_11comp_targetILNS1_3genE10ELNS1_11target_archE1201ELNS1_3gpuE5ELNS1_3repE0EEENS1_47radix_sort_onesweep_sort_config_static_selectorELNS0_4arch9wavefront6targetE0EEEvSG_,"axG",@progbits,_ZN7rocprim17ROCPRIM_400000_NS6detail17trampoline_kernelINS0_14default_configENS1_35radix_sort_onesweep_config_selectorItNS0_10empty_typeEEEZZNS1_29radix_sort_onesweep_iterationIS3_Lb1EPKtPtPS5_SB_mNS0_19identity_decomposerENS1_16block_id_wrapperIjLb1EEEEE10hipError_tT1_PNSt15iterator_traitsISG_E10value_typeET2_T3_PNSH_ISM_E10value_typeET4_T5_PSR_SS_PNS1_23onesweep_lookback_stateEbbT6_jjT7_P12ihipStream_tbENKUlT_T0_SG_SL_E_clISA_SA_SB_SB_EEDaSZ_S10_SG_SL_EUlSZ_E_NS1_11comp_targetILNS1_3genE10ELNS1_11target_archE1201ELNS1_3gpuE5ELNS1_3repE0EEENS1_47radix_sort_onesweep_sort_config_static_selectorELNS0_4arch9wavefront6targetE0EEEvSG_,comdat
.Lfunc_end2401:
	.size	_ZN7rocprim17ROCPRIM_400000_NS6detail17trampoline_kernelINS0_14default_configENS1_35radix_sort_onesweep_config_selectorItNS0_10empty_typeEEEZZNS1_29radix_sort_onesweep_iterationIS3_Lb1EPKtPtPS5_SB_mNS0_19identity_decomposerENS1_16block_id_wrapperIjLb1EEEEE10hipError_tT1_PNSt15iterator_traitsISG_E10value_typeET2_T3_PNSH_ISM_E10value_typeET4_T5_PSR_SS_PNS1_23onesweep_lookback_stateEbbT6_jjT7_P12ihipStream_tbENKUlT_T0_SG_SL_E_clISA_SA_SB_SB_EEDaSZ_S10_SG_SL_EUlSZ_E_NS1_11comp_targetILNS1_3genE10ELNS1_11target_archE1201ELNS1_3gpuE5ELNS1_3repE0EEENS1_47radix_sort_onesweep_sort_config_static_selectorELNS0_4arch9wavefront6targetE0EEEvSG_, .Lfunc_end2401-_ZN7rocprim17ROCPRIM_400000_NS6detail17trampoline_kernelINS0_14default_configENS1_35radix_sort_onesweep_config_selectorItNS0_10empty_typeEEEZZNS1_29radix_sort_onesweep_iterationIS3_Lb1EPKtPtPS5_SB_mNS0_19identity_decomposerENS1_16block_id_wrapperIjLb1EEEEE10hipError_tT1_PNSt15iterator_traitsISG_E10value_typeET2_T3_PNSH_ISM_E10value_typeET4_T5_PSR_SS_PNS1_23onesweep_lookback_stateEbbT6_jjT7_P12ihipStream_tbENKUlT_T0_SG_SL_E_clISA_SA_SB_SB_EEDaSZ_S10_SG_SL_EUlSZ_E_NS1_11comp_targetILNS1_3genE10ELNS1_11target_archE1201ELNS1_3gpuE5ELNS1_3repE0EEENS1_47radix_sort_onesweep_sort_config_static_selectorELNS0_4arch9wavefront6targetE0EEEvSG_
                                        ; -- End function
	.set _ZN7rocprim17ROCPRIM_400000_NS6detail17trampoline_kernelINS0_14default_configENS1_35radix_sort_onesweep_config_selectorItNS0_10empty_typeEEEZZNS1_29radix_sort_onesweep_iterationIS3_Lb1EPKtPtPS5_SB_mNS0_19identity_decomposerENS1_16block_id_wrapperIjLb1EEEEE10hipError_tT1_PNSt15iterator_traitsISG_E10value_typeET2_T3_PNSH_ISM_E10value_typeET4_T5_PSR_SS_PNS1_23onesweep_lookback_stateEbbT6_jjT7_P12ihipStream_tbENKUlT_T0_SG_SL_E_clISA_SA_SB_SB_EEDaSZ_S10_SG_SL_EUlSZ_E_NS1_11comp_targetILNS1_3genE10ELNS1_11target_archE1201ELNS1_3gpuE5ELNS1_3repE0EEENS1_47radix_sort_onesweep_sort_config_static_selectorELNS0_4arch9wavefront6targetE0EEEvSG_.num_vgpr, 0
	.set _ZN7rocprim17ROCPRIM_400000_NS6detail17trampoline_kernelINS0_14default_configENS1_35radix_sort_onesweep_config_selectorItNS0_10empty_typeEEEZZNS1_29radix_sort_onesweep_iterationIS3_Lb1EPKtPtPS5_SB_mNS0_19identity_decomposerENS1_16block_id_wrapperIjLb1EEEEE10hipError_tT1_PNSt15iterator_traitsISG_E10value_typeET2_T3_PNSH_ISM_E10value_typeET4_T5_PSR_SS_PNS1_23onesweep_lookback_stateEbbT6_jjT7_P12ihipStream_tbENKUlT_T0_SG_SL_E_clISA_SA_SB_SB_EEDaSZ_S10_SG_SL_EUlSZ_E_NS1_11comp_targetILNS1_3genE10ELNS1_11target_archE1201ELNS1_3gpuE5ELNS1_3repE0EEENS1_47radix_sort_onesweep_sort_config_static_selectorELNS0_4arch9wavefront6targetE0EEEvSG_.num_agpr, 0
	.set _ZN7rocprim17ROCPRIM_400000_NS6detail17trampoline_kernelINS0_14default_configENS1_35radix_sort_onesweep_config_selectorItNS0_10empty_typeEEEZZNS1_29radix_sort_onesweep_iterationIS3_Lb1EPKtPtPS5_SB_mNS0_19identity_decomposerENS1_16block_id_wrapperIjLb1EEEEE10hipError_tT1_PNSt15iterator_traitsISG_E10value_typeET2_T3_PNSH_ISM_E10value_typeET4_T5_PSR_SS_PNS1_23onesweep_lookback_stateEbbT6_jjT7_P12ihipStream_tbENKUlT_T0_SG_SL_E_clISA_SA_SB_SB_EEDaSZ_S10_SG_SL_EUlSZ_E_NS1_11comp_targetILNS1_3genE10ELNS1_11target_archE1201ELNS1_3gpuE5ELNS1_3repE0EEENS1_47radix_sort_onesweep_sort_config_static_selectorELNS0_4arch9wavefront6targetE0EEEvSG_.numbered_sgpr, 0
	.set _ZN7rocprim17ROCPRIM_400000_NS6detail17trampoline_kernelINS0_14default_configENS1_35radix_sort_onesweep_config_selectorItNS0_10empty_typeEEEZZNS1_29radix_sort_onesweep_iterationIS3_Lb1EPKtPtPS5_SB_mNS0_19identity_decomposerENS1_16block_id_wrapperIjLb1EEEEE10hipError_tT1_PNSt15iterator_traitsISG_E10value_typeET2_T3_PNSH_ISM_E10value_typeET4_T5_PSR_SS_PNS1_23onesweep_lookback_stateEbbT6_jjT7_P12ihipStream_tbENKUlT_T0_SG_SL_E_clISA_SA_SB_SB_EEDaSZ_S10_SG_SL_EUlSZ_E_NS1_11comp_targetILNS1_3genE10ELNS1_11target_archE1201ELNS1_3gpuE5ELNS1_3repE0EEENS1_47radix_sort_onesweep_sort_config_static_selectorELNS0_4arch9wavefront6targetE0EEEvSG_.num_named_barrier, 0
	.set _ZN7rocprim17ROCPRIM_400000_NS6detail17trampoline_kernelINS0_14default_configENS1_35radix_sort_onesweep_config_selectorItNS0_10empty_typeEEEZZNS1_29radix_sort_onesweep_iterationIS3_Lb1EPKtPtPS5_SB_mNS0_19identity_decomposerENS1_16block_id_wrapperIjLb1EEEEE10hipError_tT1_PNSt15iterator_traitsISG_E10value_typeET2_T3_PNSH_ISM_E10value_typeET4_T5_PSR_SS_PNS1_23onesweep_lookback_stateEbbT6_jjT7_P12ihipStream_tbENKUlT_T0_SG_SL_E_clISA_SA_SB_SB_EEDaSZ_S10_SG_SL_EUlSZ_E_NS1_11comp_targetILNS1_3genE10ELNS1_11target_archE1201ELNS1_3gpuE5ELNS1_3repE0EEENS1_47radix_sort_onesweep_sort_config_static_selectorELNS0_4arch9wavefront6targetE0EEEvSG_.private_seg_size, 0
	.set _ZN7rocprim17ROCPRIM_400000_NS6detail17trampoline_kernelINS0_14default_configENS1_35radix_sort_onesweep_config_selectorItNS0_10empty_typeEEEZZNS1_29radix_sort_onesweep_iterationIS3_Lb1EPKtPtPS5_SB_mNS0_19identity_decomposerENS1_16block_id_wrapperIjLb1EEEEE10hipError_tT1_PNSt15iterator_traitsISG_E10value_typeET2_T3_PNSH_ISM_E10value_typeET4_T5_PSR_SS_PNS1_23onesweep_lookback_stateEbbT6_jjT7_P12ihipStream_tbENKUlT_T0_SG_SL_E_clISA_SA_SB_SB_EEDaSZ_S10_SG_SL_EUlSZ_E_NS1_11comp_targetILNS1_3genE10ELNS1_11target_archE1201ELNS1_3gpuE5ELNS1_3repE0EEENS1_47radix_sort_onesweep_sort_config_static_selectorELNS0_4arch9wavefront6targetE0EEEvSG_.uses_vcc, 0
	.set _ZN7rocprim17ROCPRIM_400000_NS6detail17trampoline_kernelINS0_14default_configENS1_35radix_sort_onesweep_config_selectorItNS0_10empty_typeEEEZZNS1_29radix_sort_onesweep_iterationIS3_Lb1EPKtPtPS5_SB_mNS0_19identity_decomposerENS1_16block_id_wrapperIjLb1EEEEE10hipError_tT1_PNSt15iterator_traitsISG_E10value_typeET2_T3_PNSH_ISM_E10value_typeET4_T5_PSR_SS_PNS1_23onesweep_lookback_stateEbbT6_jjT7_P12ihipStream_tbENKUlT_T0_SG_SL_E_clISA_SA_SB_SB_EEDaSZ_S10_SG_SL_EUlSZ_E_NS1_11comp_targetILNS1_3genE10ELNS1_11target_archE1201ELNS1_3gpuE5ELNS1_3repE0EEENS1_47radix_sort_onesweep_sort_config_static_selectorELNS0_4arch9wavefront6targetE0EEEvSG_.uses_flat_scratch, 0
	.set _ZN7rocprim17ROCPRIM_400000_NS6detail17trampoline_kernelINS0_14default_configENS1_35radix_sort_onesweep_config_selectorItNS0_10empty_typeEEEZZNS1_29radix_sort_onesweep_iterationIS3_Lb1EPKtPtPS5_SB_mNS0_19identity_decomposerENS1_16block_id_wrapperIjLb1EEEEE10hipError_tT1_PNSt15iterator_traitsISG_E10value_typeET2_T3_PNSH_ISM_E10value_typeET4_T5_PSR_SS_PNS1_23onesweep_lookback_stateEbbT6_jjT7_P12ihipStream_tbENKUlT_T0_SG_SL_E_clISA_SA_SB_SB_EEDaSZ_S10_SG_SL_EUlSZ_E_NS1_11comp_targetILNS1_3genE10ELNS1_11target_archE1201ELNS1_3gpuE5ELNS1_3repE0EEENS1_47radix_sort_onesweep_sort_config_static_selectorELNS0_4arch9wavefront6targetE0EEEvSG_.has_dyn_sized_stack, 0
	.set _ZN7rocprim17ROCPRIM_400000_NS6detail17trampoline_kernelINS0_14default_configENS1_35radix_sort_onesweep_config_selectorItNS0_10empty_typeEEEZZNS1_29radix_sort_onesweep_iterationIS3_Lb1EPKtPtPS5_SB_mNS0_19identity_decomposerENS1_16block_id_wrapperIjLb1EEEEE10hipError_tT1_PNSt15iterator_traitsISG_E10value_typeET2_T3_PNSH_ISM_E10value_typeET4_T5_PSR_SS_PNS1_23onesweep_lookback_stateEbbT6_jjT7_P12ihipStream_tbENKUlT_T0_SG_SL_E_clISA_SA_SB_SB_EEDaSZ_S10_SG_SL_EUlSZ_E_NS1_11comp_targetILNS1_3genE10ELNS1_11target_archE1201ELNS1_3gpuE5ELNS1_3repE0EEENS1_47radix_sort_onesweep_sort_config_static_selectorELNS0_4arch9wavefront6targetE0EEEvSG_.has_recursion, 0
	.set _ZN7rocprim17ROCPRIM_400000_NS6detail17trampoline_kernelINS0_14default_configENS1_35radix_sort_onesweep_config_selectorItNS0_10empty_typeEEEZZNS1_29radix_sort_onesweep_iterationIS3_Lb1EPKtPtPS5_SB_mNS0_19identity_decomposerENS1_16block_id_wrapperIjLb1EEEEE10hipError_tT1_PNSt15iterator_traitsISG_E10value_typeET2_T3_PNSH_ISM_E10value_typeET4_T5_PSR_SS_PNS1_23onesweep_lookback_stateEbbT6_jjT7_P12ihipStream_tbENKUlT_T0_SG_SL_E_clISA_SA_SB_SB_EEDaSZ_S10_SG_SL_EUlSZ_E_NS1_11comp_targetILNS1_3genE10ELNS1_11target_archE1201ELNS1_3gpuE5ELNS1_3repE0EEENS1_47radix_sort_onesweep_sort_config_static_selectorELNS0_4arch9wavefront6targetE0EEEvSG_.has_indirect_call, 0
	.section	.AMDGPU.csdata,"",@progbits
; Kernel info:
; codeLenInByte = 0
; TotalNumSgprs: 0
; NumVgprs: 0
; ScratchSize: 0
; MemoryBound: 0
; FloatMode: 240
; IeeeMode: 1
; LDSByteSize: 0 bytes/workgroup (compile time only)
; SGPRBlocks: 0
; VGPRBlocks: 0
; NumSGPRsForWavesPerEU: 1
; NumVGPRsForWavesPerEU: 1
; NamedBarCnt: 0
; Occupancy: 16
; WaveLimiterHint : 0
; COMPUTE_PGM_RSRC2:SCRATCH_EN: 0
; COMPUTE_PGM_RSRC2:USER_SGPR: 2
; COMPUTE_PGM_RSRC2:TRAP_HANDLER: 0
; COMPUTE_PGM_RSRC2:TGID_X_EN: 1
; COMPUTE_PGM_RSRC2:TGID_Y_EN: 0
; COMPUTE_PGM_RSRC2:TGID_Z_EN: 0
; COMPUTE_PGM_RSRC2:TIDIG_COMP_CNT: 0
	.section	.text._ZN7rocprim17ROCPRIM_400000_NS6detail17trampoline_kernelINS0_14default_configENS1_35radix_sort_onesweep_config_selectorItNS0_10empty_typeEEEZZNS1_29radix_sort_onesweep_iterationIS3_Lb1EPKtPtPS5_SB_mNS0_19identity_decomposerENS1_16block_id_wrapperIjLb1EEEEE10hipError_tT1_PNSt15iterator_traitsISG_E10value_typeET2_T3_PNSH_ISM_E10value_typeET4_T5_PSR_SS_PNS1_23onesweep_lookback_stateEbbT6_jjT7_P12ihipStream_tbENKUlT_T0_SG_SL_E_clISA_SA_SB_SB_EEDaSZ_S10_SG_SL_EUlSZ_E_NS1_11comp_targetILNS1_3genE9ELNS1_11target_archE1100ELNS1_3gpuE3ELNS1_3repE0EEENS1_47radix_sort_onesweep_sort_config_static_selectorELNS0_4arch9wavefront6targetE0EEEvSG_,"axG",@progbits,_ZN7rocprim17ROCPRIM_400000_NS6detail17trampoline_kernelINS0_14default_configENS1_35radix_sort_onesweep_config_selectorItNS0_10empty_typeEEEZZNS1_29radix_sort_onesweep_iterationIS3_Lb1EPKtPtPS5_SB_mNS0_19identity_decomposerENS1_16block_id_wrapperIjLb1EEEEE10hipError_tT1_PNSt15iterator_traitsISG_E10value_typeET2_T3_PNSH_ISM_E10value_typeET4_T5_PSR_SS_PNS1_23onesweep_lookback_stateEbbT6_jjT7_P12ihipStream_tbENKUlT_T0_SG_SL_E_clISA_SA_SB_SB_EEDaSZ_S10_SG_SL_EUlSZ_E_NS1_11comp_targetILNS1_3genE9ELNS1_11target_archE1100ELNS1_3gpuE3ELNS1_3repE0EEENS1_47radix_sort_onesweep_sort_config_static_selectorELNS0_4arch9wavefront6targetE0EEEvSG_,comdat
	.protected	_ZN7rocprim17ROCPRIM_400000_NS6detail17trampoline_kernelINS0_14default_configENS1_35radix_sort_onesweep_config_selectorItNS0_10empty_typeEEEZZNS1_29radix_sort_onesweep_iterationIS3_Lb1EPKtPtPS5_SB_mNS0_19identity_decomposerENS1_16block_id_wrapperIjLb1EEEEE10hipError_tT1_PNSt15iterator_traitsISG_E10value_typeET2_T3_PNSH_ISM_E10value_typeET4_T5_PSR_SS_PNS1_23onesweep_lookback_stateEbbT6_jjT7_P12ihipStream_tbENKUlT_T0_SG_SL_E_clISA_SA_SB_SB_EEDaSZ_S10_SG_SL_EUlSZ_E_NS1_11comp_targetILNS1_3genE9ELNS1_11target_archE1100ELNS1_3gpuE3ELNS1_3repE0EEENS1_47radix_sort_onesweep_sort_config_static_selectorELNS0_4arch9wavefront6targetE0EEEvSG_ ; -- Begin function _ZN7rocprim17ROCPRIM_400000_NS6detail17trampoline_kernelINS0_14default_configENS1_35radix_sort_onesweep_config_selectorItNS0_10empty_typeEEEZZNS1_29radix_sort_onesweep_iterationIS3_Lb1EPKtPtPS5_SB_mNS0_19identity_decomposerENS1_16block_id_wrapperIjLb1EEEEE10hipError_tT1_PNSt15iterator_traitsISG_E10value_typeET2_T3_PNSH_ISM_E10value_typeET4_T5_PSR_SS_PNS1_23onesweep_lookback_stateEbbT6_jjT7_P12ihipStream_tbENKUlT_T0_SG_SL_E_clISA_SA_SB_SB_EEDaSZ_S10_SG_SL_EUlSZ_E_NS1_11comp_targetILNS1_3genE9ELNS1_11target_archE1100ELNS1_3gpuE3ELNS1_3repE0EEENS1_47radix_sort_onesweep_sort_config_static_selectorELNS0_4arch9wavefront6targetE0EEEvSG_
	.globl	_ZN7rocprim17ROCPRIM_400000_NS6detail17trampoline_kernelINS0_14default_configENS1_35radix_sort_onesweep_config_selectorItNS0_10empty_typeEEEZZNS1_29radix_sort_onesweep_iterationIS3_Lb1EPKtPtPS5_SB_mNS0_19identity_decomposerENS1_16block_id_wrapperIjLb1EEEEE10hipError_tT1_PNSt15iterator_traitsISG_E10value_typeET2_T3_PNSH_ISM_E10value_typeET4_T5_PSR_SS_PNS1_23onesweep_lookback_stateEbbT6_jjT7_P12ihipStream_tbENKUlT_T0_SG_SL_E_clISA_SA_SB_SB_EEDaSZ_S10_SG_SL_EUlSZ_E_NS1_11comp_targetILNS1_3genE9ELNS1_11target_archE1100ELNS1_3gpuE3ELNS1_3repE0EEENS1_47radix_sort_onesweep_sort_config_static_selectorELNS0_4arch9wavefront6targetE0EEEvSG_
	.p2align	8
	.type	_ZN7rocprim17ROCPRIM_400000_NS6detail17trampoline_kernelINS0_14default_configENS1_35radix_sort_onesweep_config_selectorItNS0_10empty_typeEEEZZNS1_29radix_sort_onesweep_iterationIS3_Lb1EPKtPtPS5_SB_mNS0_19identity_decomposerENS1_16block_id_wrapperIjLb1EEEEE10hipError_tT1_PNSt15iterator_traitsISG_E10value_typeET2_T3_PNSH_ISM_E10value_typeET4_T5_PSR_SS_PNS1_23onesweep_lookback_stateEbbT6_jjT7_P12ihipStream_tbENKUlT_T0_SG_SL_E_clISA_SA_SB_SB_EEDaSZ_S10_SG_SL_EUlSZ_E_NS1_11comp_targetILNS1_3genE9ELNS1_11target_archE1100ELNS1_3gpuE3ELNS1_3repE0EEENS1_47radix_sort_onesweep_sort_config_static_selectorELNS0_4arch9wavefront6targetE0EEEvSG_,@function
_ZN7rocprim17ROCPRIM_400000_NS6detail17trampoline_kernelINS0_14default_configENS1_35radix_sort_onesweep_config_selectorItNS0_10empty_typeEEEZZNS1_29radix_sort_onesweep_iterationIS3_Lb1EPKtPtPS5_SB_mNS0_19identity_decomposerENS1_16block_id_wrapperIjLb1EEEEE10hipError_tT1_PNSt15iterator_traitsISG_E10value_typeET2_T3_PNSH_ISM_E10value_typeET4_T5_PSR_SS_PNS1_23onesweep_lookback_stateEbbT6_jjT7_P12ihipStream_tbENKUlT_T0_SG_SL_E_clISA_SA_SB_SB_EEDaSZ_S10_SG_SL_EUlSZ_E_NS1_11comp_targetILNS1_3genE9ELNS1_11target_archE1100ELNS1_3gpuE3ELNS1_3repE0EEENS1_47radix_sort_onesweep_sort_config_static_selectorELNS0_4arch9wavefront6targetE0EEEvSG_: ; @_ZN7rocprim17ROCPRIM_400000_NS6detail17trampoline_kernelINS0_14default_configENS1_35radix_sort_onesweep_config_selectorItNS0_10empty_typeEEEZZNS1_29radix_sort_onesweep_iterationIS3_Lb1EPKtPtPS5_SB_mNS0_19identity_decomposerENS1_16block_id_wrapperIjLb1EEEEE10hipError_tT1_PNSt15iterator_traitsISG_E10value_typeET2_T3_PNSH_ISM_E10value_typeET4_T5_PSR_SS_PNS1_23onesweep_lookback_stateEbbT6_jjT7_P12ihipStream_tbENKUlT_T0_SG_SL_E_clISA_SA_SB_SB_EEDaSZ_S10_SG_SL_EUlSZ_E_NS1_11comp_targetILNS1_3genE9ELNS1_11target_archE1100ELNS1_3gpuE3ELNS1_3repE0EEENS1_47radix_sort_onesweep_sort_config_static_selectorELNS0_4arch9wavefront6targetE0EEEvSG_
; %bb.0:
	.section	.rodata,"a",@progbits
	.p2align	6, 0x0
	.amdhsa_kernel _ZN7rocprim17ROCPRIM_400000_NS6detail17trampoline_kernelINS0_14default_configENS1_35radix_sort_onesweep_config_selectorItNS0_10empty_typeEEEZZNS1_29radix_sort_onesweep_iterationIS3_Lb1EPKtPtPS5_SB_mNS0_19identity_decomposerENS1_16block_id_wrapperIjLb1EEEEE10hipError_tT1_PNSt15iterator_traitsISG_E10value_typeET2_T3_PNSH_ISM_E10value_typeET4_T5_PSR_SS_PNS1_23onesweep_lookback_stateEbbT6_jjT7_P12ihipStream_tbENKUlT_T0_SG_SL_E_clISA_SA_SB_SB_EEDaSZ_S10_SG_SL_EUlSZ_E_NS1_11comp_targetILNS1_3genE9ELNS1_11target_archE1100ELNS1_3gpuE3ELNS1_3repE0EEENS1_47radix_sort_onesweep_sort_config_static_selectorELNS0_4arch9wavefront6targetE0EEEvSG_
		.amdhsa_group_segment_fixed_size 0
		.amdhsa_private_segment_fixed_size 0
		.amdhsa_kernarg_size 88
		.amdhsa_user_sgpr_count 2
		.amdhsa_user_sgpr_dispatch_ptr 0
		.amdhsa_user_sgpr_queue_ptr 0
		.amdhsa_user_sgpr_kernarg_segment_ptr 1
		.amdhsa_user_sgpr_dispatch_id 0
		.amdhsa_user_sgpr_kernarg_preload_length 0
		.amdhsa_user_sgpr_kernarg_preload_offset 0
		.amdhsa_user_sgpr_private_segment_size 0
		.amdhsa_wavefront_size32 1
		.amdhsa_uses_dynamic_stack 0
		.amdhsa_enable_private_segment 0
		.amdhsa_system_sgpr_workgroup_id_x 1
		.amdhsa_system_sgpr_workgroup_id_y 0
		.amdhsa_system_sgpr_workgroup_id_z 0
		.amdhsa_system_sgpr_workgroup_info 0
		.amdhsa_system_vgpr_workitem_id 0
		.amdhsa_next_free_vgpr 1
		.amdhsa_next_free_sgpr 1
		.amdhsa_named_barrier_count 0
		.amdhsa_reserve_vcc 0
		.amdhsa_float_round_mode_32 0
		.amdhsa_float_round_mode_16_64 0
		.amdhsa_float_denorm_mode_32 3
		.amdhsa_float_denorm_mode_16_64 3
		.amdhsa_fp16_overflow 0
		.amdhsa_memory_ordered 1
		.amdhsa_forward_progress 1
		.amdhsa_inst_pref_size 0
		.amdhsa_round_robin_scheduling 0
		.amdhsa_exception_fp_ieee_invalid_op 0
		.amdhsa_exception_fp_denorm_src 0
		.amdhsa_exception_fp_ieee_div_zero 0
		.amdhsa_exception_fp_ieee_overflow 0
		.amdhsa_exception_fp_ieee_underflow 0
		.amdhsa_exception_fp_ieee_inexact 0
		.amdhsa_exception_int_div_zero 0
	.end_amdhsa_kernel
	.section	.text._ZN7rocprim17ROCPRIM_400000_NS6detail17trampoline_kernelINS0_14default_configENS1_35radix_sort_onesweep_config_selectorItNS0_10empty_typeEEEZZNS1_29radix_sort_onesweep_iterationIS3_Lb1EPKtPtPS5_SB_mNS0_19identity_decomposerENS1_16block_id_wrapperIjLb1EEEEE10hipError_tT1_PNSt15iterator_traitsISG_E10value_typeET2_T3_PNSH_ISM_E10value_typeET4_T5_PSR_SS_PNS1_23onesweep_lookback_stateEbbT6_jjT7_P12ihipStream_tbENKUlT_T0_SG_SL_E_clISA_SA_SB_SB_EEDaSZ_S10_SG_SL_EUlSZ_E_NS1_11comp_targetILNS1_3genE9ELNS1_11target_archE1100ELNS1_3gpuE3ELNS1_3repE0EEENS1_47radix_sort_onesweep_sort_config_static_selectorELNS0_4arch9wavefront6targetE0EEEvSG_,"axG",@progbits,_ZN7rocprim17ROCPRIM_400000_NS6detail17trampoline_kernelINS0_14default_configENS1_35radix_sort_onesweep_config_selectorItNS0_10empty_typeEEEZZNS1_29radix_sort_onesweep_iterationIS3_Lb1EPKtPtPS5_SB_mNS0_19identity_decomposerENS1_16block_id_wrapperIjLb1EEEEE10hipError_tT1_PNSt15iterator_traitsISG_E10value_typeET2_T3_PNSH_ISM_E10value_typeET4_T5_PSR_SS_PNS1_23onesweep_lookback_stateEbbT6_jjT7_P12ihipStream_tbENKUlT_T0_SG_SL_E_clISA_SA_SB_SB_EEDaSZ_S10_SG_SL_EUlSZ_E_NS1_11comp_targetILNS1_3genE9ELNS1_11target_archE1100ELNS1_3gpuE3ELNS1_3repE0EEENS1_47radix_sort_onesweep_sort_config_static_selectorELNS0_4arch9wavefront6targetE0EEEvSG_,comdat
.Lfunc_end2402:
	.size	_ZN7rocprim17ROCPRIM_400000_NS6detail17trampoline_kernelINS0_14default_configENS1_35radix_sort_onesweep_config_selectorItNS0_10empty_typeEEEZZNS1_29radix_sort_onesweep_iterationIS3_Lb1EPKtPtPS5_SB_mNS0_19identity_decomposerENS1_16block_id_wrapperIjLb1EEEEE10hipError_tT1_PNSt15iterator_traitsISG_E10value_typeET2_T3_PNSH_ISM_E10value_typeET4_T5_PSR_SS_PNS1_23onesweep_lookback_stateEbbT6_jjT7_P12ihipStream_tbENKUlT_T0_SG_SL_E_clISA_SA_SB_SB_EEDaSZ_S10_SG_SL_EUlSZ_E_NS1_11comp_targetILNS1_3genE9ELNS1_11target_archE1100ELNS1_3gpuE3ELNS1_3repE0EEENS1_47radix_sort_onesweep_sort_config_static_selectorELNS0_4arch9wavefront6targetE0EEEvSG_, .Lfunc_end2402-_ZN7rocprim17ROCPRIM_400000_NS6detail17trampoline_kernelINS0_14default_configENS1_35radix_sort_onesweep_config_selectorItNS0_10empty_typeEEEZZNS1_29radix_sort_onesweep_iterationIS3_Lb1EPKtPtPS5_SB_mNS0_19identity_decomposerENS1_16block_id_wrapperIjLb1EEEEE10hipError_tT1_PNSt15iterator_traitsISG_E10value_typeET2_T3_PNSH_ISM_E10value_typeET4_T5_PSR_SS_PNS1_23onesweep_lookback_stateEbbT6_jjT7_P12ihipStream_tbENKUlT_T0_SG_SL_E_clISA_SA_SB_SB_EEDaSZ_S10_SG_SL_EUlSZ_E_NS1_11comp_targetILNS1_3genE9ELNS1_11target_archE1100ELNS1_3gpuE3ELNS1_3repE0EEENS1_47radix_sort_onesweep_sort_config_static_selectorELNS0_4arch9wavefront6targetE0EEEvSG_
                                        ; -- End function
	.set _ZN7rocprim17ROCPRIM_400000_NS6detail17trampoline_kernelINS0_14default_configENS1_35radix_sort_onesweep_config_selectorItNS0_10empty_typeEEEZZNS1_29radix_sort_onesweep_iterationIS3_Lb1EPKtPtPS5_SB_mNS0_19identity_decomposerENS1_16block_id_wrapperIjLb1EEEEE10hipError_tT1_PNSt15iterator_traitsISG_E10value_typeET2_T3_PNSH_ISM_E10value_typeET4_T5_PSR_SS_PNS1_23onesweep_lookback_stateEbbT6_jjT7_P12ihipStream_tbENKUlT_T0_SG_SL_E_clISA_SA_SB_SB_EEDaSZ_S10_SG_SL_EUlSZ_E_NS1_11comp_targetILNS1_3genE9ELNS1_11target_archE1100ELNS1_3gpuE3ELNS1_3repE0EEENS1_47radix_sort_onesweep_sort_config_static_selectorELNS0_4arch9wavefront6targetE0EEEvSG_.num_vgpr, 0
	.set _ZN7rocprim17ROCPRIM_400000_NS6detail17trampoline_kernelINS0_14default_configENS1_35radix_sort_onesweep_config_selectorItNS0_10empty_typeEEEZZNS1_29radix_sort_onesweep_iterationIS3_Lb1EPKtPtPS5_SB_mNS0_19identity_decomposerENS1_16block_id_wrapperIjLb1EEEEE10hipError_tT1_PNSt15iterator_traitsISG_E10value_typeET2_T3_PNSH_ISM_E10value_typeET4_T5_PSR_SS_PNS1_23onesweep_lookback_stateEbbT6_jjT7_P12ihipStream_tbENKUlT_T0_SG_SL_E_clISA_SA_SB_SB_EEDaSZ_S10_SG_SL_EUlSZ_E_NS1_11comp_targetILNS1_3genE9ELNS1_11target_archE1100ELNS1_3gpuE3ELNS1_3repE0EEENS1_47radix_sort_onesweep_sort_config_static_selectorELNS0_4arch9wavefront6targetE0EEEvSG_.num_agpr, 0
	.set _ZN7rocprim17ROCPRIM_400000_NS6detail17trampoline_kernelINS0_14default_configENS1_35radix_sort_onesweep_config_selectorItNS0_10empty_typeEEEZZNS1_29radix_sort_onesweep_iterationIS3_Lb1EPKtPtPS5_SB_mNS0_19identity_decomposerENS1_16block_id_wrapperIjLb1EEEEE10hipError_tT1_PNSt15iterator_traitsISG_E10value_typeET2_T3_PNSH_ISM_E10value_typeET4_T5_PSR_SS_PNS1_23onesweep_lookback_stateEbbT6_jjT7_P12ihipStream_tbENKUlT_T0_SG_SL_E_clISA_SA_SB_SB_EEDaSZ_S10_SG_SL_EUlSZ_E_NS1_11comp_targetILNS1_3genE9ELNS1_11target_archE1100ELNS1_3gpuE3ELNS1_3repE0EEENS1_47radix_sort_onesweep_sort_config_static_selectorELNS0_4arch9wavefront6targetE0EEEvSG_.numbered_sgpr, 0
	.set _ZN7rocprim17ROCPRIM_400000_NS6detail17trampoline_kernelINS0_14default_configENS1_35radix_sort_onesweep_config_selectorItNS0_10empty_typeEEEZZNS1_29radix_sort_onesweep_iterationIS3_Lb1EPKtPtPS5_SB_mNS0_19identity_decomposerENS1_16block_id_wrapperIjLb1EEEEE10hipError_tT1_PNSt15iterator_traitsISG_E10value_typeET2_T3_PNSH_ISM_E10value_typeET4_T5_PSR_SS_PNS1_23onesweep_lookback_stateEbbT6_jjT7_P12ihipStream_tbENKUlT_T0_SG_SL_E_clISA_SA_SB_SB_EEDaSZ_S10_SG_SL_EUlSZ_E_NS1_11comp_targetILNS1_3genE9ELNS1_11target_archE1100ELNS1_3gpuE3ELNS1_3repE0EEENS1_47radix_sort_onesweep_sort_config_static_selectorELNS0_4arch9wavefront6targetE0EEEvSG_.num_named_barrier, 0
	.set _ZN7rocprim17ROCPRIM_400000_NS6detail17trampoline_kernelINS0_14default_configENS1_35radix_sort_onesweep_config_selectorItNS0_10empty_typeEEEZZNS1_29radix_sort_onesweep_iterationIS3_Lb1EPKtPtPS5_SB_mNS0_19identity_decomposerENS1_16block_id_wrapperIjLb1EEEEE10hipError_tT1_PNSt15iterator_traitsISG_E10value_typeET2_T3_PNSH_ISM_E10value_typeET4_T5_PSR_SS_PNS1_23onesweep_lookback_stateEbbT6_jjT7_P12ihipStream_tbENKUlT_T0_SG_SL_E_clISA_SA_SB_SB_EEDaSZ_S10_SG_SL_EUlSZ_E_NS1_11comp_targetILNS1_3genE9ELNS1_11target_archE1100ELNS1_3gpuE3ELNS1_3repE0EEENS1_47radix_sort_onesweep_sort_config_static_selectorELNS0_4arch9wavefront6targetE0EEEvSG_.private_seg_size, 0
	.set _ZN7rocprim17ROCPRIM_400000_NS6detail17trampoline_kernelINS0_14default_configENS1_35radix_sort_onesweep_config_selectorItNS0_10empty_typeEEEZZNS1_29radix_sort_onesweep_iterationIS3_Lb1EPKtPtPS5_SB_mNS0_19identity_decomposerENS1_16block_id_wrapperIjLb1EEEEE10hipError_tT1_PNSt15iterator_traitsISG_E10value_typeET2_T3_PNSH_ISM_E10value_typeET4_T5_PSR_SS_PNS1_23onesweep_lookback_stateEbbT6_jjT7_P12ihipStream_tbENKUlT_T0_SG_SL_E_clISA_SA_SB_SB_EEDaSZ_S10_SG_SL_EUlSZ_E_NS1_11comp_targetILNS1_3genE9ELNS1_11target_archE1100ELNS1_3gpuE3ELNS1_3repE0EEENS1_47radix_sort_onesweep_sort_config_static_selectorELNS0_4arch9wavefront6targetE0EEEvSG_.uses_vcc, 0
	.set _ZN7rocprim17ROCPRIM_400000_NS6detail17trampoline_kernelINS0_14default_configENS1_35radix_sort_onesweep_config_selectorItNS0_10empty_typeEEEZZNS1_29radix_sort_onesweep_iterationIS3_Lb1EPKtPtPS5_SB_mNS0_19identity_decomposerENS1_16block_id_wrapperIjLb1EEEEE10hipError_tT1_PNSt15iterator_traitsISG_E10value_typeET2_T3_PNSH_ISM_E10value_typeET4_T5_PSR_SS_PNS1_23onesweep_lookback_stateEbbT6_jjT7_P12ihipStream_tbENKUlT_T0_SG_SL_E_clISA_SA_SB_SB_EEDaSZ_S10_SG_SL_EUlSZ_E_NS1_11comp_targetILNS1_3genE9ELNS1_11target_archE1100ELNS1_3gpuE3ELNS1_3repE0EEENS1_47radix_sort_onesweep_sort_config_static_selectorELNS0_4arch9wavefront6targetE0EEEvSG_.uses_flat_scratch, 0
	.set _ZN7rocprim17ROCPRIM_400000_NS6detail17trampoline_kernelINS0_14default_configENS1_35radix_sort_onesweep_config_selectorItNS0_10empty_typeEEEZZNS1_29radix_sort_onesweep_iterationIS3_Lb1EPKtPtPS5_SB_mNS0_19identity_decomposerENS1_16block_id_wrapperIjLb1EEEEE10hipError_tT1_PNSt15iterator_traitsISG_E10value_typeET2_T3_PNSH_ISM_E10value_typeET4_T5_PSR_SS_PNS1_23onesweep_lookback_stateEbbT6_jjT7_P12ihipStream_tbENKUlT_T0_SG_SL_E_clISA_SA_SB_SB_EEDaSZ_S10_SG_SL_EUlSZ_E_NS1_11comp_targetILNS1_3genE9ELNS1_11target_archE1100ELNS1_3gpuE3ELNS1_3repE0EEENS1_47radix_sort_onesweep_sort_config_static_selectorELNS0_4arch9wavefront6targetE0EEEvSG_.has_dyn_sized_stack, 0
	.set _ZN7rocprim17ROCPRIM_400000_NS6detail17trampoline_kernelINS0_14default_configENS1_35radix_sort_onesweep_config_selectorItNS0_10empty_typeEEEZZNS1_29radix_sort_onesweep_iterationIS3_Lb1EPKtPtPS5_SB_mNS0_19identity_decomposerENS1_16block_id_wrapperIjLb1EEEEE10hipError_tT1_PNSt15iterator_traitsISG_E10value_typeET2_T3_PNSH_ISM_E10value_typeET4_T5_PSR_SS_PNS1_23onesweep_lookback_stateEbbT6_jjT7_P12ihipStream_tbENKUlT_T0_SG_SL_E_clISA_SA_SB_SB_EEDaSZ_S10_SG_SL_EUlSZ_E_NS1_11comp_targetILNS1_3genE9ELNS1_11target_archE1100ELNS1_3gpuE3ELNS1_3repE0EEENS1_47radix_sort_onesweep_sort_config_static_selectorELNS0_4arch9wavefront6targetE0EEEvSG_.has_recursion, 0
	.set _ZN7rocprim17ROCPRIM_400000_NS6detail17trampoline_kernelINS0_14default_configENS1_35radix_sort_onesweep_config_selectorItNS0_10empty_typeEEEZZNS1_29radix_sort_onesweep_iterationIS3_Lb1EPKtPtPS5_SB_mNS0_19identity_decomposerENS1_16block_id_wrapperIjLb1EEEEE10hipError_tT1_PNSt15iterator_traitsISG_E10value_typeET2_T3_PNSH_ISM_E10value_typeET4_T5_PSR_SS_PNS1_23onesweep_lookback_stateEbbT6_jjT7_P12ihipStream_tbENKUlT_T0_SG_SL_E_clISA_SA_SB_SB_EEDaSZ_S10_SG_SL_EUlSZ_E_NS1_11comp_targetILNS1_3genE9ELNS1_11target_archE1100ELNS1_3gpuE3ELNS1_3repE0EEENS1_47radix_sort_onesweep_sort_config_static_selectorELNS0_4arch9wavefront6targetE0EEEvSG_.has_indirect_call, 0
	.section	.AMDGPU.csdata,"",@progbits
; Kernel info:
; codeLenInByte = 0
; TotalNumSgprs: 0
; NumVgprs: 0
; ScratchSize: 0
; MemoryBound: 0
; FloatMode: 240
; IeeeMode: 1
; LDSByteSize: 0 bytes/workgroup (compile time only)
; SGPRBlocks: 0
; VGPRBlocks: 0
; NumSGPRsForWavesPerEU: 1
; NumVGPRsForWavesPerEU: 1
; NamedBarCnt: 0
; Occupancy: 16
; WaveLimiterHint : 0
; COMPUTE_PGM_RSRC2:SCRATCH_EN: 0
; COMPUTE_PGM_RSRC2:USER_SGPR: 2
; COMPUTE_PGM_RSRC2:TRAP_HANDLER: 0
; COMPUTE_PGM_RSRC2:TGID_X_EN: 1
; COMPUTE_PGM_RSRC2:TGID_Y_EN: 0
; COMPUTE_PGM_RSRC2:TGID_Z_EN: 0
; COMPUTE_PGM_RSRC2:TIDIG_COMP_CNT: 0
	.section	.text._ZN7rocprim17ROCPRIM_400000_NS6detail17trampoline_kernelINS0_14default_configENS1_35radix_sort_onesweep_config_selectorItNS0_10empty_typeEEEZZNS1_29radix_sort_onesweep_iterationIS3_Lb1EPKtPtPS5_SB_mNS0_19identity_decomposerENS1_16block_id_wrapperIjLb1EEEEE10hipError_tT1_PNSt15iterator_traitsISG_E10value_typeET2_T3_PNSH_ISM_E10value_typeET4_T5_PSR_SS_PNS1_23onesweep_lookback_stateEbbT6_jjT7_P12ihipStream_tbENKUlT_T0_SG_SL_E_clISA_SA_SB_SB_EEDaSZ_S10_SG_SL_EUlSZ_E_NS1_11comp_targetILNS1_3genE8ELNS1_11target_archE1030ELNS1_3gpuE2ELNS1_3repE0EEENS1_47radix_sort_onesweep_sort_config_static_selectorELNS0_4arch9wavefront6targetE0EEEvSG_,"axG",@progbits,_ZN7rocprim17ROCPRIM_400000_NS6detail17trampoline_kernelINS0_14default_configENS1_35radix_sort_onesweep_config_selectorItNS0_10empty_typeEEEZZNS1_29radix_sort_onesweep_iterationIS3_Lb1EPKtPtPS5_SB_mNS0_19identity_decomposerENS1_16block_id_wrapperIjLb1EEEEE10hipError_tT1_PNSt15iterator_traitsISG_E10value_typeET2_T3_PNSH_ISM_E10value_typeET4_T5_PSR_SS_PNS1_23onesweep_lookback_stateEbbT6_jjT7_P12ihipStream_tbENKUlT_T0_SG_SL_E_clISA_SA_SB_SB_EEDaSZ_S10_SG_SL_EUlSZ_E_NS1_11comp_targetILNS1_3genE8ELNS1_11target_archE1030ELNS1_3gpuE2ELNS1_3repE0EEENS1_47radix_sort_onesweep_sort_config_static_selectorELNS0_4arch9wavefront6targetE0EEEvSG_,comdat
	.protected	_ZN7rocprim17ROCPRIM_400000_NS6detail17trampoline_kernelINS0_14default_configENS1_35radix_sort_onesweep_config_selectorItNS0_10empty_typeEEEZZNS1_29radix_sort_onesweep_iterationIS3_Lb1EPKtPtPS5_SB_mNS0_19identity_decomposerENS1_16block_id_wrapperIjLb1EEEEE10hipError_tT1_PNSt15iterator_traitsISG_E10value_typeET2_T3_PNSH_ISM_E10value_typeET4_T5_PSR_SS_PNS1_23onesweep_lookback_stateEbbT6_jjT7_P12ihipStream_tbENKUlT_T0_SG_SL_E_clISA_SA_SB_SB_EEDaSZ_S10_SG_SL_EUlSZ_E_NS1_11comp_targetILNS1_3genE8ELNS1_11target_archE1030ELNS1_3gpuE2ELNS1_3repE0EEENS1_47radix_sort_onesweep_sort_config_static_selectorELNS0_4arch9wavefront6targetE0EEEvSG_ ; -- Begin function _ZN7rocprim17ROCPRIM_400000_NS6detail17trampoline_kernelINS0_14default_configENS1_35radix_sort_onesweep_config_selectorItNS0_10empty_typeEEEZZNS1_29radix_sort_onesweep_iterationIS3_Lb1EPKtPtPS5_SB_mNS0_19identity_decomposerENS1_16block_id_wrapperIjLb1EEEEE10hipError_tT1_PNSt15iterator_traitsISG_E10value_typeET2_T3_PNSH_ISM_E10value_typeET4_T5_PSR_SS_PNS1_23onesweep_lookback_stateEbbT6_jjT7_P12ihipStream_tbENKUlT_T0_SG_SL_E_clISA_SA_SB_SB_EEDaSZ_S10_SG_SL_EUlSZ_E_NS1_11comp_targetILNS1_3genE8ELNS1_11target_archE1030ELNS1_3gpuE2ELNS1_3repE0EEENS1_47radix_sort_onesweep_sort_config_static_selectorELNS0_4arch9wavefront6targetE0EEEvSG_
	.globl	_ZN7rocprim17ROCPRIM_400000_NS6detail17trampoline_kernelINS0_14default_configENS1_35radix_sort_onesweep_config_selectorItNS0_10empty_typeEEEZZNS1_29radix_sort_onesweep_iterationIS3_Lb1EPKtPtPS5_SB_mNS0_19identity_decomposerENS1_16block_id_wrapperIjLb1EEEEE10hipError_tT1_PNSt15iterator_traitsISG_E10value_typeET2_T3_PNSH_ISM_E10value_typeET4_T5_PSR_SS_PNS1_23onesweep_lookback_stateEbbT6_jjT7_P12ihipStream_tbENKUlT_T0_SG_SL_E_clISA_SA_SB_SB_EEDaSZ_S10_SG_SL_EUlSZ_E_NS1_11comp_targetILNS1_3genE8ELNS1_11target_archE1030ELNS1_3gpuE2ELNS1_3repE0EEENS1_47radix_sort_onesweep_sort_config_static_selectorELNS0_4arch9wavefront6targetE0EEEvSG_
	.p2align	8
	.type	_ZN7rocprim17ROCPRIM_400000_NS6detail17trampoline_kernelINS0_14default_configENS1_35radix_sort_onesweep_config_selectorItNS0_10empty_typeEEEZZNS1_29radix_sort_onesweep_iterationIS3_Lb1EPKtPtPS5_SB_mNS0_19identity_decomposerENS1_16block_id_wrapperIjLb1EEEEE10hipError_tT1_PNSt15iterator_traitsISG_E10value_typeET2_T3_PNSH_ISM_E10value_typeET4_T5_PSR_SS_PNS1_23onesweep_lookback_stateEbbT6_jjT7_P12ihipStream_tbENKUlT_T0_SG_SL_E_clISA_SA_SB_SB_EEDaSZ_S10_SG_SL_EUlSZ_E_NS1_11comp_targetILNS1_3genE8ELNS1_11target_archE1030ELNS1_3gpuE2ELNS1_3repE0EEENS1_47radix_sort_onesweep_sort_config_static_selectorELNS0_4arch9wavefront6targetE0EEEvSG_,@function
_ZN7rocprim17ROCPRIM_400000_NS6detail17trampoline_kernelINS0_14default_configENS1_35radix_sort_onesweep_config_selectorItNS0_10empty_typeEEEZZNS1_29radix_sort_onesweep_iterationIS3_Lb1EPKtPtPS5_SB_mNS0_19identity_decomposerENS1_16block_id_wrapperIjLb1EEEEE10hipError_tT1_PNSt15iterator_traitsISG_E10value_typeET2_T3_PNSH_ISM_E10value_typeET4_T5_PSR_SS_PNS1_23onesweep_lookback_stateEbbT6_jjT7_P12ihipStream_tbENKUlT_T0_SG_SL_E_clISA_SA_SB_SB_EEDaSZ_S10_SG_SL_EUlSZ_E_NS1_11comp_targetILNS1_3genE8ELNS1_11target_archE1030ELNS1_3gpuE2ELNS1_3repE0EEENS1_47radix_sort_onesweep_sort_config_static_selectorELNS0_4arch9wavefront6targetE0EEEvSG_: ; @_ZN7rocprim17ROCPRIM_400000_NS6detail17trampoline_kernelINS0_14default_configENS1_35radix_sort_onesweep_config_selectorItNS0_10empty_typeEEEZZNS1_29radix_sort_onesweep_iterationIS3_Lb1EPKtPtPS5_SB_mNS0_19identity_decomposerENS1_16block_id_wrapperIjLb1EEEEE10hipError_tT1_PNSt15iterator_traitsISG_E10value_typeET2_T3_PNSH_ISM_E10value_typeET4_T5_PSR_SS_PNS1_23onesweep_lookback_stateEbbT6_jjT7_P12ihipStream_tbENKUlT_T0_SG_SL_E_clISA_SA_SB_SB_EEDaSZ_S10_SG_SL_EUlSZ_E_NS1_11comp_targetILNS1_3genE8ELNS1_11target_archE1030ELNS1_3gpuE2ELNS1_3repE0EEENS1_47radix_sort_onesweep_sort_config_static_selectorELNS0_4arch9wavefront6targetE0EEEvSG_
; %bb.0:
	.section	.rodata,"a",@progbits
	.p2align	6, 0x0
	.amdhsa_kernel _ZN7rocprim17ROCPRIM_400000_NS6detail17trampoline_kernelINS0_14default_configENS1_35radix_sort_onesweep_config_selectorItNS0_10empty_typeEEEZZNS1_29radix_sort_onesweep_iterationIS3_Lb1EPKtPtPS5_SB_mNS0_19identity_decomposerENS1_16block_id_wrapperIjLb1EEEEE10hipError_tT1_PNSt15iterator_traitsISG_E10value_typeET2_T3_PNSH_ISM_E10value_typeET4_T5_PSR_SS_PNS1_23onesweep_lookback_stateEbbT6_jjT7_P12ihipStream_tbENKUlT_T0_SG_SL_E_clISA_SA_SB_SB_EEDaSZ_S10_SG_SL_EUlSZ_E_NS1_11comp_targetILNS1_3genE8ELNS1_11target_archE1030ELNS1_3gpuE2ELNS1_3repE0EEENS1_47radix_sort_onesweep_sort_config_static_selectorELNS0_4arch9wavefront6targetE0EEEvSG_
		.amdhsa_group_segment_fixed_size 0
		.amdhsa_private_segment_fixed_size 0
		.amdhsa_kernarg_size 88
		.amdhsa_user_sgpr_count 2
		.amdhsa_user_sgpr_dispatch_ptr 0
		.amdhsa_user_sgpr_queue_ptr 0
		.amdhsa_user_sgpr_kernarg_segment_ptr 1
		.amdhsa_user_sgpr_dispatch_id 0
		.amdhsa_user_sgpr_kernarg_preload_length 0
		.amdhsa_user_sgpr_kernarg_preload_offset 0
		.amdhsa_user_sgpr_private_segment_size 0
		.amdhsa_wavefront_size32 1
		.amdhsa_uses_dynamic_stack 0
		.amdhsa_enable_private_segment 0
		.amdhsa_system_sgpr_workgroup_id_x 1
		.amdhsa_system_sgpr_workgroup_id_y 0
		.amdhsa_system_sgpr_workgroup_id_z 0
		.amdhsa_system_sgpr_workgroup_info 0
		.amdhsa_system_vgpr_workitem_id 0
		.amdhsa_next_free_vgpr 1
		.amdhsa_next_free_sgpr 1
		.amdhsa_named_barrier_count 0
		.amdhsa_reserve_vcc 0
		.amdhsa_float_round_mode_32 0
		.amdhsa_float_round_mode_16_64 0
		.amdhsa_float_denorm_mode_32 3
		.amdhsa_float_denorm_mode_16_64 3
		.amdhsa_fp16_overflow 0
		.amdhsa_memory_ordered 1
		.amdhsa_forward_progress 1
		.amdhsa_inst_pref_size 0
		.amdhsa_round_robin_scheduling 0
		.amdhsa_exception_fp_ieee_invalid_op 0
		.amdhsa_exception_fp_denorm_src 0
		.amdhsa_exception_fp_ieee_div_zero 0
		.amdhsa_exception_fp_ieee_overflow 0
		.amdhsa_exception_fp_ieee_underflow 0
		.amdhsa_exception_fp_ieee_inexact 0
		.amdhsa_exception_int_div_zero 0
	.end_amdhsa_kernel
	.section	.text._ZN7rocprim17ROCPRIM_400000_NS6detail17trampoline_kernelINS0_14default_configENS1_35radix_sort_onesweep_config_selectorItNS0_10empty_typeEEEZZNS1_29radix_sort_onesweep_iterationIS3_Lb1EPKtPtPS5_SB_mNS0_19identity_decomposerENS1_16block_id_wrapperIjLb1EEEEE10hipError_tT1_PNSt15iterator_traitsISG_E10value_typeET2_T3_PNSH_ISM_E10value_typeET4_T5_PSR_SS_PNS1_23onesweep_lookback_stateEbbT6_jjT7_P12ihipStream_tbENKUlT_T0_SG_SL_E_clISA_SA_SB_SB_EEDaSZ_S10_SG_SL_EUlSZ_E_NS1_11comp_targetILNS1_3genE8ELNS1_11target_archE1030ELNS1_3gpuE2ELNS1_3repE0EEENS1_47radix_sort_onesweep_sort_config_static_selectorELNS0_4arch9wavefront6targetE0EEEvSG_,"axG",@progbits,_ZN7rocprim17ROCPRIM_400000_NS6detail17trampoline_kernelINS0_14default_configENS1_35radix_sort_onesweep_config_selectorItNS0_10empty_typeEEEZZNS1_29radix_sort_onesweep_iterationIS3_Lb1EPKtPtPS5_SB_mNS0_19identity_decomposerENS1_16block_id_wrapperIjLb1EEEEE10hipError_tT1_PNSt15iterator_traitsISG_E10value_typeET2_T3_PNSH_ISM_E10value_typeET4_T5_PSR_SS_PNS1_23onesweep_lookback_stateEbbT6_jjT7_P12ihipStream_tbENKUlT_T0_SG_SL_E_clISA_SA_SB_SB_EEDaSZ_S10_SG_SL_EUlSZ_E_NS1_11comp_targetILNS1_3genE8ELNS1_11target_archE1030ELNS1_3gpuE2ELNS1_3repE0EEENS1_47radix_sort_onesweep_sort_config_static_selectorELNS0_4arch9wavefront6targetE0EEEvSG_,comdat
.Lfunc_end2403:
	.size	_ZN7rocprim17ROCPRIM_400000_NS6detail17trampoline_kernelINS0_14default_configENS1_35radix_sort_onesweep_config_selectorItNS0_10empty_typeEEEZZNS1_29radix_sort_onesweep_iterationIS3_Lb1EPKtPtPS5_SB_mNS0_19identity_decomposerENS1_16block_id_wrapperIjLb1EEEEE10hipError_tT1_PNSt15iterator_traitsISG_E10value_typeET2_T3_PNSH_ISM_E10value_typeET4_T5_PSR_SS_PNS1_23onesweep_lookback_stateEbbT6_jjT7_P12ihipStream_tbENKUlT_T0_SG_SL_E_clISA_SA_SB_SB_EEDaSZ_S10_SG_SL_EUlSZ_E_NS1_11comp_targetILNS1_3genE8ELNS1_11target_archE1030ELNS1_3gpuE2ELNS1_3repE0EEENS1_47radix_sort_onesweep_sort_config_static_selectorELNS0_4arch9wavefront6targetE0EEEvSG_, .Lfunc_end2403-_ZN7rocprim17ROCPRIM_400000_NS6detail17trampoline_kernelINS0_14default_configENS1_35radix_sort_onesweep_config_selectorItNS0_10empty_typeEEEZZNS1_29radix_sort_onesweep_iterationIS3_Lb1EPKtPtPS5_SB_mNS0_19identity_decomposerENS1_16block_id_wrapperIjLb1EEEEE10hipError_tT1_PNSt15iterator_traitsISG_E10value_typeET2_T3_PNSH_ISM_E10value_typeET4_T5_PSR_SS_PNS1_23onesweep_lookback_stateEbbT6_jjT7_P12ihipStream_tbENKUlT_T0_SG_SL_E_clISA_SA_SB_SB_EEDaSZ_S10_SG_SL_EUlSZ_E_NS1_11comp_targetILNS1_3genE8ELNS1_11target_archE1030ELNS1_3gpuE2ELNS1_3repE0EEENS1_47radix_sort_onesweep_sort_config_static_selectorELNS0_4arch9wavefront6targetE0EEEvSG_
                                        ; -- End function
	.set _ZN7rocprim17ROCPRIM_400000_NS6detail17trampoline_kernelINS0_14default_configENS1_35radix_sort_onesweep_config_selectorItNS0_10empty_typeEEEZZNS1_29radix_sort_onesweep_iterationIS3_Lb1EPKtPtPS5_SB_mNS0_19identity_decomposerENS1_16block_id_wrapperIjLb1EEEEE10hipError_tT1_PNSt15iterator_traitsISG_E10value_typeET2_T3_PNSH_ISM_E10value_typeET4_T5_PSR_SS_PNS1_23onesweep_lookback_stateEbbT6_jjT7_P12ihipStream_tbENKUlT_T0_SG_SL_E_clISA_SA_SB_SB_EEDaSZ_S10_SG_SL_EUlSZ_E_NS1_11comp_targetILNS1_3genE8ELNS1_11target_archE1030ELNS1_3gpuE2ELNS1_3repE0EEENS1_47radix_sort_onesweep_sort_config_static_selectorELNS0_4arch9wavefront6targetE0EEEvSG_.num_vgpr, 0
	.set _ZN7rocprim17ROCPRIM_400000_NS6detail17trampoline_kernelINS0_14default_configENS1_35radix_sort_onesweep_config_selectorItNS0_10empty_typeEEEZZNS1_29radix_sort_onesweep_iterationIS3_Lb1EPKtPtPS5_SB_mNS0_19identity_decomposerENS1_16block_id_wrapperIjLb1EEEEE10hipError_tT1_PNSt15iterator_traitsISG_E10value_typeET2_T3_PNSH_ISM_E10value_typeET4_T5_PSR_SS_PNS1_23onesweep_lookback_stateEbbT6_jjT7_P12ihipStream_tbENKUlT_T0_SG_SL_E_clISA_SA_SB_SB_EEDaSZ_S10_SG_SL_EUlSZ_E_NS1_11comp_targetILNS1_3genE8ELNS1_11target_archE1030ELNS1_3gpuE2ELNS1_3repE0EEENS1_47radix_sort_onesweep_sort_config_static_selectorELNS0_4arch9wavefront6targetE0EEEvSG_.num_agpr, 0
	.set _ZN7rocprim17ROCPRIM_400000_NS6detail17trampoline_kernelINS0_14default_configENS1_35radix_sort_onesweep_config_selectorItNS0_10empty_typeEEEZZNS1_29radix_sort_onesweep_iterationIS3_Lb1EPKtPtPS5_SB_mNS0_19identity_decomposerENS1_16block_id_wrapperIjLb1EEEEE10hipError_tT1_PNSt15iterator_traitsISG_E10value_typeET2_T3_PNSH_ISM_E10value_typeET4_T5_PSR_SS_PNS1_23onesweep_lookback_stateEbbT6_jjT7_P12ihipStream_tbENKUlT_T0_SG_SL_E_clISA_SA_SB_SB_EEDaSZ_S10_SG_SL_EUlSZ_E_NS1_11comp_targetILNS1_3genE8ELNS1_11target_archE1030ELNS1_3gpuE2ELNS1_3repE0EEENS1_47radix_sort_onesweep_sort_config_static_selectorELNS0_4arch9wavefront6targetE0EEEvSG_.numbered_sgpr, 0
	.set _ZN7rocprim17ROCPRIM_400000_NS6detail17trampoline_kernelINS0_14default_configENS1_35radix_sort_onesweep_config_selectorItNS0_10empty_typeEEEZZNS1_29radix_sort_onesweep_iterationIS3_Lb1EPKtPtPS5_SB_mNS0_19identity_decomposerENS1_16block_id_wrapperIjLb1EEEEE10hipError_tT1_PNSt15iterator_traitsISG_E10value_typeET2_T3_PNSH_ISM_E10value_typeET4_T5_PSR_SS_PNS1_23onesweep_lookback_stateEbbT6_jjT7_P12ihipStream_tbENKUlT_T0_SG_SL_E_clISA_SA_SB_SB_EEDaSZ_S10_SG_SL_EUlSZ_E_NS1_11comp_targetILNS1_3genE8ELNS1_11target_archE1030ELNS1_3gpuE2ELNS1_3repE0EEENS1_47radix_sort_onesweep_sort_config_static_selectorELNS0_4arch9wavefront6targetE0EEEvSG_.num_named_barrier, 0
	.set _ZN7rocprim17ROCPRIM_400000_NS6detail17trampoline_kernelINS0_14default_configENS1_35radix_sort_onesweep_config_selectorItNS0_10empty_typeEEEZZNS1_29radix_sort_onesweep_iterationIS3_Lb1EPKtPtPS5_SB_mNS0_19identity_decomposerENS1_16block_id_wrapperIjLb1EEEEE10hipError_tT1_PNSt15iterator_traitsISG_E10value_typeET2_T3_PNSH_ISM_E10value_typeET4_T5_PSR_SS_PNS1_23onesweep_lookback_stateEbbT6_jjT7_P12ihipStream_tbENKUlT_T0_SG_SL_E_clISA_SA_SB_SB_EEDaSZ_S10_SG_SL_EUlSZ_E_NS1_11comp_targetILNS1_3genE8ELNS1_11target_archE1030ELNS1_3gpuE2ELNS1_3repE0EEENS1_47radix_sort_onesweep_sort_config_static_selectorELNS0_4arch9wavefront6targetE0EEEvSG_.private_seg_size, 0
	.set _ZN7rocprim17ROCPRIM_400000_NS6detail17trampoline_kernelINS0_14default_configENS1_35radix_sort_onesweep_config_selectorItNS0_10empty_typeEEEZZNS1_29radix_sort_onesweep_iterationIS3_Lb1EPKtPtPS5_SB_mNS0_19identity_decomposerENS1_16block_id_wrapperIjLb1EEEEE10hipError_tT1_PNSt15iterator_traitsISG_E10value_typeET2_T3_PNSH_ISM_E10value_typeET4_T5_PSR_SS_PNS1_23onesweep_lookback_stateEbbT6_jjT7_P12ihipStream_tbENKUlT_T0_SG_SL_E_clISA_SA_SB_SB_EEDaSZ_S10_SG_SL_EUlSZ_E_NS1_11comp_targetILNS1_3genE8ELNS1_11target_archE1030ELNS1_3gpuE2ELNS1_3repE0EEENS1_47radix_sort_onesweep_sort_config_static_selectorELNS0_4arch9wavefront6targetE0EEEvSG_.uses_vcc, 0
	.set _ZN7rocprim17ROCPRIM_400000_NS6detail17trampoline_kernelINS0_14default_configENS1_35radix_sort_onesweep_config_selectorItNS0_10empty_typeEEEZZNS1_29radix_sort_onesweep_iterationIS3_Lb1EPKtPtPS5_SB_mNS0_19identity_decomposerENS1_16block_id_wrapperIjLb1EEEEE10hipError_tT1_PNSt15iterator_traitsISG_E10value_typeET2_T3_PNSH_ISM_E10value_typeET4_T5_PSR_SS_PNS1_23onesweep_lookback_stateEbbT6_jjT7_P12ihipStream_tbENKUlT_T0_SG_SL_E_clISA_SA_SB_SB_EEDaSZ_S10_SG_SL_EUlSZ_E_NS1_11comp_targetILNS1_3genE8ELNS1_11target_archE1030ELNS1_3gpuE2ELNS1_3repE0EEENS1_47radix_sort_onesweep_sort_config_static_selectorELNS0_4arch9wavefront6targetE0EEEvSG_.uses_flat_scratch, 0
	.set _ZN7rocprim17ROCPRIM_400000_NS6detail17trampoline_kernelINS0_14default_configENS1_35radix_sort_onesweep_config_selectorItNS0_10empty_typeEEEZZNS1_29radix_sort_onesweep_iterationIS3_Lb1EPKtPtPS5_SB_mNS0_19identity_decomposerENS1_16block_id_wrapperIjLb1EEEEE10hipError_tT1_PNSt15iterator_traitsISG_E10value_typeET2_T3_PNSH_ISM_E10value_typeET4_T5_PSR_SS_PNS1_23onesweep_lookback_stateEbbT6_jjT7_P12ihipStream_tbENKUlT_T0_SG_SL_E_clISA_SA_SB_SB_EEDaSZ_S10_SG_SL_EUlSZ_E_NS1_11comp_targetILNS1_3genE8ELNS1_11target_archE1030ELNS1_3gpuE2ELNS1_3repE0EEENS1_47radix_sort_onesweep_sort_config_static_selectorELNS0_4arch9wavefront6targetE0EEEvSG_.has_dyn_sized_stack, 0
	.set _ZN7rocprim17ROCPRIM_400000_NS6detail17trampoline_kernelINS0_14default_configENS1_35radix_sort_onesweep_config_selectorItNS0_10empty_typeEEEZZNS1_29radix_sort_onesweep_iterationIS3_Lb1EPKtPtPS5_SB_mNS0_19identity_decomposerENS1_16block_id_wrapperIjLb1EEEEE10hipError_tT1_PNSt15iterator_traitsISG_E10value_typeET2_T3_PNSH_ISM_E10value_typeET4_T5_PSR_SS_PNS1_23onesweep_lookback_stateEbbT6_jjT7_P12ihipStream_tbENKUlT_T0_SG_SL_E_clISA_SA_SB_SB_EEDaSZ_S10_SG_SL_EUlSZ_E_NS1_11comp_targetILNS1_3genE8ELNS1_11target_archE1030ELNS1_3gpuE2ELNS1_3repE0EEENS1_47radix_sort_onesweep_sort_config_static_selectorELNS0_4arch9wavefront6targetE0EEEvSG_.has_recursion, 0
	.set _ZN7rocprim17ROCPRIM_400000_NS6detail17trampoline_kernelINS0_14default_configENS1_35radix_sort_onesweep_config_selectorItNS0_10empty_typeEEEZZNS1_29radix_sort_onesweep_iterationIS3_Lb1EPKtPtPS5_SB_mNS0_19identity_decomposerENS1_16block_id_wrapperIjLb1EEEEE10hipError_tT1_PNSt15iterator_traitsISG_E10value_typeET2_T3_PNSH_ISM_E10value_typeET4_T5_PSR_SS_PNS1_23onesweep_lookback_stateEbbT6_jjT7_P12ihipStream_tbENKUlT_T0_SG_SL_E_clISA_SA_SB_SB_EEDaSZ_S10_SG_SL_EUlSZ_E_NS1_11comp_targetILNS1_3genE8ELNS1_11target_archE1030ELNS1_3gpuE2ELNS1_3repE0EEENS1_47radix_sort_onesweep_sort_config_static_selectorELNS0_4arch9wavefront6targetE0EEEvSG_.has_indirect_call, 0
	.section	.AMDGPU.csdata,"",@progbits
; Kernel info:
; codeLenInByte = 0
; TotalNumSgprs: 0
; NumVgprs: 0
; ScratchSize: 0
; MemoryBound: 0
; FloatMode: 240
; IeeeMode: 1
; LDSByteSize: 0 bytes/workgroup (compile time only)
; SGPRBlocks: 0
; VGPRBlocks: 0
; NumSGPRsForWavesPerEU: 1
; NumVGPRsForWavesPerEU: 1
; NamedBarCnt: 0
; Occupancy: 16
; WaveLimiterHint : 0
; COMPUTE_PGM_RSRC2:SCRATCH_EN: 0
; COMPUTE_PGM_RSRC2:USER_SGPR: 2
; COMPUTE_PGM_RSRC2:TRAP_HANDLER: 0
; COMPUTE_PGM_RSRC2:TGID_X_EN: 1
; COMPUTE_PGM_RSRC2:TGID_Y_EN: 0
; COMPUTE_PGM_RSRC2:TGID_Z_EN: 0
; COMPUTE_PGM_RSRC2:TIDIG_COMP_CNT: 0
	.section	.text._ZN7rocprim17ROCPRIM_400000_NS6detail17trampoline_kernelINS0_14default_configENS1_35radix_sort_onesweep_config_selectorItNS0_10empty_typeEEEZZNS1_29radix_sort_onesweep_iterationIS3_Lb1EPKtPtPS5_SB_mNS0_19identity_decomposerENS1_16block_id_wrapperIjLb0EEEEE10hipError_tT1_PNSt15iterator_traitsISG_E10value_typeET2_T3_PNSH_ISM_E10value_typeET4_T5_PSR_SS_PNS1_23onesweep_lookback_stateEbbT6_jjT7_P12ihipStream_tbENKUlT_T0_SG_SL_E_clIS9_SA_SB_SB_EEDaSZ_S10_SG_SL_EUlSZ_E_NS1_11comp_targetILNS1_3genE0ELNS1_11target_archE4294967295ELNS1_3gpuE0ELNS1_3repE0EEENS1_47radix_sort_onesweep_sort_config_static_selectorELNS0_4arch9wavefront6targetE0EEEvSG_,"axG",@progbits,_ZN7rocprim17ROCPRIM_400000_NS6detail17trampoline_kernelINS0_14default_configENS1_35radix_sort_onesweep_config_selectorItNS0_10empty_typeEEEZZNS1_29radix_sort_onesweep_iterationIS3_Lb1EPKtPtPS5_SB_mNS0_19identity_decomposerENS1_16block_id_wrapperIjLb0EEEEE10hipError_tT1_PNSt15iterator_traitsISG_E10value_typeET2_T3_PNSH_ISM_E10value_typeET4_T5_PSR_SS_PNS1_23onesweep_lookback_stateEbbT6_jjT7_P12ihipStream_tbENKUlT_T0_SG_SL_E_clIS9_SA_SB_SB_EEDaSZ_S10_SG_SL_EUlSZ_E_NS1_11comp_targetILNS1_3genE0ELNS1_11target_archE4294967295ELNS1_3gpuE0ELNS1_3repE0EEENS1_47radix_sort_onesweep_sort_config_static_selectorELNS0_4arch9wavefront6targetE0EEEvSG_,comdat
	.protected	_ZN7rocprim17ROCPRIM_400000_NS6detail17trampoline_kernelINS0_14default_configENS1_35radix_sort_onesweep_config_selectorItNS0_10empty_typeEEEZZNS1_29radix_sort_onesweep_iterationIS3_Lb1EPKtPtPS5_SB_mNS0_19identity_decomposerENS1_16block_id_wrapperIjLb0EEEEE10hipError_tT1_PNSt15iterator_traitsISG_E10value_typeET2_T3_PNSH_ISM_E10value_typeET4_T5_PSR_SS_PNS1_23onesweep_lookback_stateEbbT6_jjT7_P12ihipStream_tbENKUlT_T0_SG_SL_E_clIS9_SA_SB_SB_EEDaSZ_S10_SG_SL_EUlSZ_E_NS1_11comp_targetILNS1_3genE0ELNS1_11target_archE4294967295ELNS1_3gpuE0ELNS1_3repE0EEENS1_47radix_sort_onesweep_sort_config_static_selectorELNS0_4arch9wavefront6targetE0EEEvSG_ ; -- Begin function _ZN7rocprim17ROCPRIM_400000_NS6detail17trampoline_kernelINS0_14default_configENS1_35radix_sort_onesweep_config_selectorItNS0_10empty_typeEEEZZNS1_29radix_sort_onesweep_iterationIS3_Lb1EPKtPtPS5_SB_mNS0_19identity_decomposerENS1_16block_id_wrapperIjLb0EEEEE10hipError_tT1_PNSt15iterator_traitsISG_E10value_typeET2_T3_PNSH_ISM_E10value_typeET4_T5_PSR_SS_PNS1_23onesweep_lookback_stateEbbT6_jjT7_P12ihipStream_tbENKUlT_T0_SG_SL_E_clIS9_SA_SB_SB_EEDaSZ_S10_SG_SL_EUlSZ_E_NS1_11comp_targetILNS1_3genE0ELNS1_11target_archE4294967295ELNS1_3gpuE0ELNS1_3repE0EEENS1_47radix_sort_onesweep_sort_config_static_selectorELNS0_4arch9wavefront6targetE0EEEvSG_
	.globl	_ZN7rocprim17ROCPRIM_400000_NS6detail17trampoline_kernelINS0_14default_configENS1_35radix_sort_onesweep_config_selectorItNS0_10empty_typeEEEZZNS1_29radix_sort_onesweep_iterationIS3_Lb1EPKtPtPS5_SB_mNS0_19identity_decomposerENS1_16block_id_wrapperIjLb0EEEEE10hipError_tT1_PNSt15iterator_traitsISG_E10value_typeET2_T3_PNSH_ISM_E10value_typeET4_T5_PSR_SS_PNS1_23onesweep_lookback_stateEbbT6_jjT7_P12ihipStream_tbENKUlT_T0_SG_SL_E_clIS9_SA_SB_SB_EEDaSZ_S10_SG_SL_EUlSZ_E_NS1_11comp_targetILNS1_3genE0ELNS1_11target_archE4294967295ELNS1_3gpuE0ELNS1_3repE0EEENS1_47radix_sort_onesweep_sort_config_static_selectorELNS0_4arch9wavefront6targetE0EEEvSG_
	.p2align	8
	.type	_ZN7rocprim17ROCPRIM_400000_NS6detail17trampoline_kernelINS0_14default_configENS1_35radix_sort_onesweep_config_selectorItNS0_10empty_typeEEEZZNS1_29radix_sort_onesweep_iterationIS3_Lb1EPKtPtPS5_SB_mNS0_19identity_decomposerENS1_16block_id_wrapperIjLb0EEEEE10hipError_tT1_PNSt15iterator_traitsISG_E10value_typeET2_T3_PNSH_ISM_E10value_typeET4_T5_PSR_SS_PNS1_23onesweep_lookback_stateEbbT6_jjT7_P12ihipStream_tbENKUlT_T0_SG_SL_E_clIS9_SA_SB_SB_EEDaSZ_S10_SG_SL_EUlSZ_E_NS1_11comp_targetILNS1_3genE0ELNS1_11target_archE4294967295ELNS1_3gpuE0ELNS1_3repE0EEENS1_47radix_sort_onesweep_sort_config_static_selectorELNS0_4arch9wavefront6targetE0EEEvSG_,@function
_ZN7rocprim17ROCPRIM_400000_NS6detail17trampoline_kernelINS0_14default_configENS1_35radix_sort_onesweep_config_selectorItNS0_10empty_typeEEEZZNS1_29radix_sort_onesweep_iterationIS3_Lb1EPKtPtPS5_SB_mNS0_19identity_decomposerENS1_16block_id_wrapperIjLb0EEEEE10hipError_tT1_PNSt15iterator_traitsISG_E10value_typeET2_T3_PNSH_ISM_E10value_typeET4_T5_PSR_SS_PNS1_23onesweep_lookback_stateEbbT6_jjT7_P12ihipStream_tbENKUlT_T0_SG_SL_E_clIS9_SA_SB_SB_EEDaSZ_S10_SG_SL_EUlSZ_E_NS1_11comp_targetILNS1_3genE0ELNS1_11target_archE4294967295ELNS1_3gpuE0ELNS1_3repE0EEENS1_47radix_sort_onesweep_sort_config_static_selectorELNS0_4arch9wavefront6targetE0EEEvSG_: ; @_ZN7rocprim17ROCPRIM_400000_NS6detail17trampoline_kernelINS0_14default_configENS1_35radix_sort_onesweep_config_selectorItNS0_10empty_typeEEEZZNS1_29radix_sort_onesweep_iterationIS3_Lb1EPKtPtPS5_SB_mNS0_19identity_decomposerENS1_16block_id_wrapperIjLb0EEEEE10hipError_tT1_PNSt15iterator_traitsISG_E10value_typeET2_T3_PNSH_ISM_E10value_typeET4_T5_PSR_SS_PNS1_23onesweep_lookback_stateEbbT6_jjT7_P12ihipStream_tbENKUlT_T0_SG_SL_E_clIS9_SA_SB_SB_EEDaSZ_S10_SG_SL_EUlSZ_E_NS1_11comp_targetILNS1_3genE0ELNS1_11target_archE4294967295ELNS1_3gpuE0ELNS1_3repE0EEENS1_47radix_sort_onesweep_sort_config_static_selectorELNS0_4arch9wavefront6targetE0EEEvSG_
; %bb.0:
	s_clause 0x3
	s_load_b96 s[20:22], s[0:1], 0x44
	s_load_b64 s[10:11], s[0:1], 0x38
	s_load_b128 s[16:19], s[0:1], 0x0
	s_load_b128 s[12:15], s[0:1], 0x28
	s_bfe_u32 s2, ttmp6, 0x4000c
	s_and_b32 s3, ttmp6, 15
	s_add_co_i32 s2, s2, 1
	s_getreg_b32 s4, hwreg(HW_REG_IB_STS2, 6, 4)
	s_mul_i32 s5, ttmp9, s2
	v_mbcnt_lo_u32_b32 v14, -1, 0
	s_add_co_i32 s3, s3, s5
	s_cmp_eq_u32 s4, 0
	v_and_b32_e32 v15, 0x1e0, v0
	s_cselect_b32 s9, ttmp9, s3
	s_mov_b32 s25, 0
	s_mov_b32 s2, -1
	s_mul_i32 s24, s9, 0x1800
	s_add_nc_u64 s[26:27], s[0:1], 0x58
	s_wait_kmcnt 0x0
	s_cmp_ge_u32 s9, s22
	s_cbranch_scc0 .LBB2404_96
; %bb.1:
	s_load_b32 s4, s[0:1], 0x20
	v_dual_mov_b32 v9, 0 :: v_dual_lshlrev_b32 v8, 1, v14
	s_lshl_b64 s[2:3], s[24:25], 1
	v_mul_u32_u24_e32 v1, 12, v15
	s_add_nc_u64 s[2:3], s[16:17], s[2:3]
	s_mul_i32 s5, s22, 0xffffe800
	v_add_nc_u64_e32 v[10:11], s[2:3], v[8:9]
	v_dual_mov_b32 v6, v9 :: v_dual_mov_b32 v2, v9
	v_dual_lshlrev_b32 v8, 1, v1 :: v_dual_bitop2_b32 v1, v14, v1 bitop3:0x54
	v_dual_mov_b32 v3, v9 :: v_dual_mov_b32 v4, v9
	v_mov_b32_e32 v5, v9
	s_delay_alu instid0(VALU_DEP_3) | instskip(SKIP_3) | instid1(SALU_CYCLE_1)
	v_add_nc_u64_e32 v[10:11], v[10:11], v[8:9]
	s_mov_b32 s2, exec_lo
	s_wait_kmcnt 0x0
	s_add_co_i32 s22, s4, s5
	v_cmpx_gt_u32_e64 s22, v1
	s_cbranch_execz .LBB2404_3
; %bb.2:
	global_load_u16 v5, v[10:11], off
	v_dual_mov_b32 v2, v9 :: v_dual_mov_b32 v3, v9
	v_mov_b32_e32 v4, v9
	s_wait_loadcnt 0x0
	v_and_b32_e32 v6, 0xffff, v5
	v_mov_b32_e32 v5, v9
.LBB2404_3:
	s_or_b32 exec_lo, exec_lo, s2
	v_or_b32_e32 v7, 32, v1
	s_mov_b32 s2, exec_lo
	s_delay_alu instid0(VALU_DEP_1)
	v_cmpx_gt_u32_e64 s22, v7
	s_cbranch_execz .LBB2404_5
; %bb.4:
	global_load_u16 v7, v[10:11], off offset:64
	s_wait_loadcnt 0x0
	v_perm_b32 v6, v7, v6, 0x5040100
.LBB2404_5:
	s_or_b32 exec_lo, exec_lo, s2
	v_or_b32_e32 v7, 64, v1
	s_mov_b32 s2, exec_lo
	s_delay_alu instid0(VALU_DEP_1)
	v_cmpx_gt_u32_e64 s22, v7
	s_cbranch_execz .LBB2404_7
; %bb.6:
	global_load_u16 v7, v[10:11], off offset:128
	s_wait_loadcnt 0x0
	v_bfi_b32 v9, 0xffff, v7, v9
.LBB2404_7:
	s_or_b32 exec_lo, exec_lo, s2
	v_or_b32_e32 v7, 0x60, v1
	s_mov_b32 s2, exec_lo
	s_delay_alu instid0(VALU_DEP_1)
	v_cmpx_gt_u32_e64 s22, v7
	s_cbranch_execz .LBB2404_9
; %bb.8:
	global_load_u16 v7, v[10:11], off offset:192
	s_wait_loadcnt 0x0
	v_perm_b32 v9, v7, v9, 0x5040100
.LBB2404_9:
	s_or_b32 exec_lo, exec_lo, s2
	v_add_nc_u32_e32 v7, 0x80, v1
	s_mov_b32 s2, exec_lo
	s_delay_alu instid0(VALU_DEP_1)
	v_cmpx_gt_u32_e64 s22, v7
	s_cbranch_execz .LBB2404_11
; %bb.10:
	global_load_u16 v7, v[10:11], off offset:256
	s_wait_loadcnt 0x0
	v_bfi_b32 v2, 0xffff, v7, v2
.LBB2404_11:
	s_or_b32 exec_lo, exec_lo, s2
	v_add_nc_u32_e32 v7, 0xa0, v1
	s_mov_b32 s2, exec_lo
	s_delay_alu instid0(VALU_DEP_1)
	v_cmpx_gt_u32_e64 s22, v7
	s_cbranch_execz .LBB2404_13
; %bb.12:
	global_load_u16 v7, v[10:11], off offset:320
	s_wait_loadcnt 0x0
	v_perm_b32 v2, v7, v2, 0x5040100
.LBB2404_13:
	s_or_b32 exec_lo, exec_lo, s2
	v_add_nc_u32_e32 v7, 0xc0, v1
	s_mov_b32 s2, exec_lo
	s_delay_alu instid0(VALU_DEP_1)
	v_cmpx_gt_u32_e64 s22, v7
	s_cbranch_execz .LBB2404_15
; %bb.14:
	global_load_u16 v7, v[10:11], off offset:384
	s_wait_loadcnt 0x0
	v_bfi_b32 v3, 0xffff, v7, v3
.LBB2404_15:
	s_or_b32 exec_lo, exec_lo, s2
	v_add_nc_u32_e32 v7, 0xe0, v1
	;; [unrolled: 22-line block ×4, first 2 shown]
	v_and_b32_e32 v1, 0x3ff, v0
	s_mov_b32 s2, exec_lo
	s_delay_alu instid0(VALU_DEP_2)
	v_cmpx_gt_u32_e64 s22, v7
	s_cbranch_execz .LBB2404_25
; %bb.24:
	global_load_u16 v7, v[10:11], off offset:704
	s_wait_loadcnt 0x0
	v_perm_b32 v5, v7, v5, 0x5040100
.LBB2404_25:
	s_or_b32 exec_lo, exec_lo, s2
	s_clause 0x1
	s_load_b32 s23, s[0:1], 0x58
	s_load_u16 s4, s[0:1], 0x66
	v_xor_b32_e32 v10, -1, v6
	v_bfe_u32 v8, v0, 10, 10
	v_bfe_u32 v11, v0, 20, 10
	s_mov_b32 s3, 0
	s_delay_alu instid0(VALU_DEP_3) | instskip(NEXT) | instid1(VALU_DEP_1)
	v_and_b32_e32 v7, 0xffff, v10
	v_lshrrev_b32_e32 v7, s20, v7
	s_wait_kmcnt 0x0
	s_cmp_lt_u32 s9, s23
	v_mad_u32_u24 v8, v11, s4, v8
	s_cselect_b32 s2, 12, 18
	s_lshl_b32 s25, -1, s21
	s_add_nc_u64 s[2:3], s[26:27], s[2:3]
	v_bitop3_b32 v11, v7, 1, s25 bitop3:0x40
	v_bitop3_b32 v12, v7, s25, v7 bitop3:0x30
	s_load_u16 s28, s[2:3], 0x0
	s_not_b32 s25, s25
	s_wait_xcnt 0x0
	v_add_co_u32 v7, s2, v11, -1
	s_delay_alu instid0(VALU_DEP_1) | instskip(SKIP_2) | instid1(VALU_DEP_3)
	v_cndmask_b32_e64 v11, 0, 1, s2
	v_dual_lshlrev_b32 v13, 30, v12 :: v_dual_lshlrev_b32 v16, 29, v12
	v_dual_lshlrev_b32 v17, 28, v12 :: v_dual_lshlrev_b32 v18, 27, v12
	v_cmp_ne_u32_e32 vcc_lo, 0, v11
	s_delay_alu instid0(VALU_DEP_3)
	v_not_b32_e32 v11, v13
	v_dual_lshlrev_b32 v19, 26, v12 :: v_dual_lshlrev_b32 v20, 25, v12
	v_lshlrev_b32_e32 v21, 24, v12
	v_cmp_gt_i32_e64 s2, 0, v13
	v_cmp_gt_i32_e64 s3, 0, v16
	v_not_b32_e32 v13, v16
	v_not_b32_e32 v16, v17
	v_ashrrev_i32_e32 v11, 31, v11
	v_cmp_gt_i32_e64 s4, 0, v17
	v_cmp_gt_i32_e64 s5, 0, v18
	v_not_b32_e32 v17, v18
	v_not_b32_e32 v18, v19
	v_dual_ashrrev_i32 v13, 31, v13 :: v_dual_bitop2_b32 v7, vcc_lo, v7 bitop3:0x14
	v_dual_ashrrev_i32 v16, 31, v16 :: v_dual_bitop2_b32 v11, s2, v11 bitop3:0x14
	v_cmp_gt_i32_e64 s6, 0, v19
	v_not_b32_e32 v19, v20
	v_dual_ashrrev_i32 v17, 31, v17 :: v_dual_ashrrev_i32 v18, 31, v18
	v_xor_b32_e32 v13, s3, v13
	v_bitop3_b32 v7, v7, v11, exec_lo bitop3:0x80
	v_not_b32_e32 v11, v21
	v_xor_b32_e32 v16, s4, v16
	v_cmp_gt_i32_e64 s7, 0, v20
	v_cmp_gt_i32_e64 s8, 0, v21
	v_dual_ashrrev_i32 v19, 31, v19 :: v_dual_bitop2_b32 v17, s5, v17 bitop3:0x14
	v_ashrrev_i32_e32 v11, 31, v11
	v_bitop3_b32 v7, v7, v16, v13 bitop3:0x80
	s_wait_kmcnt 0x0
	v_mad_u32 v20, v8, s28, v1
	v_dual_mov_b32 v16, 0 :: v_dual_bitop2_b32 v18, s6, v18 bitop3:0x14
	v_xor_b32_e32 v8, s8, v11
	v_mul_u32_u24_e32 v12, 0x44, v12
	v_xor_b32_e32 v19, s7, v19
	s_delay_alu instid0(VALU_DEP_4)
	v_bitop3_b32 v7, v7, v18, v17 bitop3:0x80
	v_mul_u32_u24_e32 v13, 36, v1
	ds_store_2addr_b32 v13, v16, v16 offset0:16 offset1:17
	ds_store_2addr_b32 v13, v16, v16 offset0:18 offset1:19
	;; [unrolled: 1-line block ×4, first 2 shown]
	v_bitop3_b32 v8, v7, v8, v19 bitop3:0x80
	v_lshrrev_b32_e32 v7, 3, v20
	ds_store_b32 v13, v16 offset:96
	s_wait_dscnt 0x0
	s_barrier_signal -1
	v_mbcnt_lo_u32_b32 v11, v8, 0
	v_and_b32_e32 v7, 0x1ffffffc, v7
	v_cmp_ne_u32_e64 s2, 0, v8
	s_barrier_wait -1
	s_delay_alu instid0(VALU_DEP_3) | instskip(NEXT) | instid1(VALU_DEP_3)
	v_cmp_eq_u32_e32 vcc_lo, 0, v11
	v_add_nc_u32_e32 v16, v7, v12
	; wave barrier
	s_and_b32 s3, s2, vcc_lo
	s_delay_alu instid0(SALU_CYCLE_1)
	s_and_saveexec_b32 s2, s3
; %bb.26:
	v_bcnt_u32_b32 v8, v8, 0
	ds_store_b32 v16, v8 offset:64
; %bb.27:
	s_or_b32 exec_lo, exec_lo, s2
	v_lshrrev_b32_e32 v6, 16, v6
	; wave barrier
	s_delay_alu instid0(VALU_DEP_1) | instskip(NEXT) | instid1(VALU_DEP_1)
	v_xor_b32_e32 v12, -1, v6
	v_and_b32_e32 v6, 0xffff, v12
	s_delay_alu instid0(VALU_DEP_1) | instskip(NEXT) | instid1(VALU_DEP_1)
	v_lshrrev_b32_e32 v6, s20, v6
	v_bitop3_b32 v8, v6, 1, s25 bitop3:0x80
	v_and_b32_e32 v17, s25, v6
	s_delay_alu instid0(VALU_DEP_2) | instskip(NEXT) | instid1(VALU_DEP_1)
	v_add_co_u32 v6, s2, v8, -1
	v_cndmask_b32_e64 v8, 0, 1, s2
	s_delay_alu instid0(VALU_DEP_3) | instskip(NEXT) | instid1(VALU_DEP_2)
	v_lshlrev_b32_e32 v18, 30, v17
	v_cmp_ne_u32_e32 vcc_lo, 0, v8
	s_delay_alu instid0(VALU_DEP_2) | instskip(SKIP_1) | instid1(VALU_DEP_2)
	v_not_b32_e32 v8, v18
	v_cmp_gt_i32_e64 s2, 0, v18
	v_dual_ashrrev_i32 v8, 31, v8 :: v_dual_lshlrev_b32 v19, 29, v17
	v_dual_lshlrev_b32 v20, 28, v17 :: v_dual_lshlrev_b32 v21, 27, v17
	v_dual_lshlrev_b32 v22, 26, v17 :: v_dual_lshlrev_b32 v23, 25, v17
	v_lshlrev_b32_e32 v24, 24, v17
	s_delay_alu instid0(VALU_DEP_4)
	v_cmp_gt_i32_e64 s3, 0, v19
	v_not_b32_e32 v18, v19
	v_not_b32_e32 v19, v20
	v_cmp_gt_i32_e64 s4, 0, v20
	v_cmp_gt_i32_e64 s5, 0, v21
	v_not_b32_e32 v20, v21
	v_not_b32_e32 v21, v22
	v_dual_ashrrev_i32 v19, 31, v19 :: v_dual_bitop2_b32 v6, vcc_lo, v6 bitop3:0x14
	v_dual_ashrrev_i32 v18, 31, v18 :: v_dual_bitop2_b32 v8, s2, v8 bitop3:0x14
	v_cmp_gt_i32_e64 s6, 0, v22
	v_cmp_gt_i32_e64 s7, 0, v23
	v_not_b32_e32 v22, v23
	v_not_b32_e32 v23, v24
	v_dual_ashrrev_i32 v20, 31, v20 :: v_dual_ashrrev_i32 v21, 31, v21
	v_xor_b32_e32 v18, s3, v18
	v_xor_b32_e32 v19, s4, v19
	v_bitop3_b32 v6, v6, v8, exec_lo bitop3:0x80
	v_cmp_gt_i32_e64 s8, 0, v24
	v_dual_ashrrev_i32 v8, 31, v22 :: v_dual_ashrrev_i32 v22, 31, v23
	v_xor_b32_e32 v20, s5, v20
	v_xor_b32_e32 v21, s6, v21
	v_bitop3_b32 v6, v6, v19, v18 bitop3:0x80
	v_mad_u32_u24 v18, 0x44, v17, v7
	v_xor_b32_e32 v8, s7, v8
	v_xor_b32_e32 v19, s8, v22
	s_delay_alu instid0(VALU_DEP_4) | instskip(SKIP_3) | instid1(VALU_DEP_2)
	v_bitop3_b32 v6, v6, v21, v20 bitop3:0x80
	ds_load_b32 v18, v18 offset:64
	; wave barrier
	v_bitop3_b32 v6, v6, v19, v8 bitop3:0x80
	v_mul_u32_u24_e32 v8, 0x44, v17
	v_mbcnt_lo_u32_b32 v19, v6, 0
	v_cmp_ne_u32_e64 s2, 0, v6
	s_delay_alu instid0(VALU_DEP_3) | instskip(NEXT) | instid1(VALU_DEP_3)
	v_add_nc_u32_e32 v20, v7, v8
	v_cmp_eq_u32_e32 vcc_lo, 0, v19
	s_and_b32 s3, s2, vcc_lo
	s_delay_alu instid0(SALU_CYCLE_1)
	s_and_saveexec_b32 s2, s3
	s_cbranch_execz .LBB2404_29
; %bb.28:
	s_wait_dscnt 0x0
	v_bcnt_u32_b32 v6, v6, v18
	ds_store_b32 v20, v6 offset:64
.LBB2404_29:
	s_or_b32 exec_lo, exec_lo, s2
	v_xor_b32_e32 v17, -1, v9
	; wave barrier
	s_delay_alu instid0(VALU_DEP_1) | instskip(NEXT) | instid1(VALU_DEP_1)
	v_and_b32_e32 v6, 0xffff, v17
	v_lshrrev_b32_e32 v6, s20, v6
	s_delay_alu instid0(VALU_DEP_1) | instskip(SKIP_1) | instid1(VALU_DEP_2)
	v_bitop3_b32 v8, v6, 1, s25 bitop3:0x80
	v_and_b32_e32 v21, s25, v6
	v_add_co_u32 v6, s2, v8, -1
	s_delay_alu instid0(VALU_DEP_1) | instskip(NEXT) | instid1(VALU_DEP_3)
	v_cndmask_b32_e64 v8, 0, 1, s2
	v_lshlrev_b32_e32 v22, 30, v21
	s_delay_alu instid0(VALU_DEP_2) | instskip(NEXT) | instid1(VALU_DEP_2)
	v_cmp_ne_u32_e32 vcc_lo, 0, v8
	v_not_b32_e32 v8, v22
	s_delay_alu instid0(VALU_DEP_1) | instskip(SKIP_4) | instid1(VALU_DEP_4)
	v_dual_ashrrev_i32 v8, 31, v8 :: v_dual_bitop2_b32 v6, vcc_lo, v6 bitop3:0x14
	v_dual_lshlrev_b32 v23, 29, v21 :: v_dual_lshlrev_b32 v24, 28, v21
	v_dual_lshlrev_b32 v25, 27, v21 :: v_dual_lshlrev_b32 v26, 26, v21
	v_lshlrev_b32_e32 v27, 25, v21
	v_cmp_gt_i32_e64 s2, 0, v22
	v_cmp_gt_i32_e64 s3, 0, v23
	v_not_b32_e32 v22, v23
	v_not_b32_e32 v23, v24
	v_lshlrev_b32_e32 v28, 24, v21
	v_cmp_gt_i32_e64 s4, 0, v24
	v_cmp_gt_i32_e64 s5, 0, v25
	v_not_b32_e32 v24, v25
	v_not_b32_e32 v25, v26
	v_dual_ashrrev_i32 v22, 31, v22 :: v_dual_ashrrev_i32 v23, 31, v23
	v_xor_b32_e32 v8, s2, v8
	v_cmp_gt_i32_e64 s6, 0, v26
	v_cmp_gt_i32_e64 s7, 0, v27
	v_not_b32_e32 v26, v27
	v_not_b32_e32 v27, v28
	v_dual_ashrrev_i32 v24, 31, v24 :: v_dual_bitop2_b32 v22, s3, v22 bitop3:0x14
	v_dual_ashrrev_i32 v25, 31, v25 :: v_dual_bitop2_b32 v23, s4, v23 bitop3:0x14
	v_bitop3_b32 v6, v6, v8, exec_lo bitop3:0x80
	v_cmp_gt_i32_e64 s8, 0, v28
	v_dual_ashrrev_i32 v8, 31, v26 :: v_dual_ashrrev_i32 v26, 31, v27
	v_xor_b32_e32 v24, s5, v24
	v_xor_b32_e32 v25, s6, v25
	v_bitop3_b32 v6, v6, v23, v22 bitop3:0x80
	v_mad_u32_u24 v22, 0x44, v21, v7
	v_xor_b32_e32 v8, s7, v8
	v_xor_b32_e32 v23, s8, v26
	s_delay_alu instid0(VALU_DEP_4) | instskip(SKIP_3) | instid1(VALU_DEP_2)
	v_bitop3_b32 v6, v6, v25, v24 bitop3:0x80
	ds_load_b32 v22, v22 offset:64
	; wave barrier
	v_bitop3_b32 v6, v6, v23, v8 bitop3:0x80
	v_mul_u32_u24_e32 v8, 0x44, v21
	v_mbcnt_lo_u32_b32 v23, v6, 0
	v_cmp_ne_u32_e64 s2, 0, v6
	s_delay_alu instid0(VALU_DEP_3) | instskip(NEXT) | instid1(VALU_DEP_3)
	v_add_nc_u32_e32 v24, v7, v8
	v_cmp_eq_u32_e32 vcc_lo, 0, v23
	s_and_b32 s3, s2, vcc_lo
	s_delay_alu instid0(SALU_CYCLE_1)
	s_and_saveexec_b32 s2, s3
	s_cbranch_execz .LBB2404_31
; %bb.30:
	s_wait_dscnt 0x0
	v_bcnt_u32_b32 v6, v6, v22
	ds_store_b32 v24, v6 offset:64
.LBB2404_31:
	s_or_b32 exec_lo, exec_lo, s2
	v_lshrrev_b32_e32 v6, 16, v9
	; wave barrier
	s_delay_alu instid0(VALU_DEP_1) | instskip(NEXT) | instid1(VALU_DEP_1)
	v_xor_b32_e32 v21, -1, v6
	v_and_b32_e32 v6, 0xffff, v21
	s_delay_alu instid0(VALU_DEP_1) | instskip(NEXT) | instid1(VALU_DEP_1)
	v_lshrrev_b32_e32 v6, s20, v6
	v_bitop3_b32 v8, v6, 1, s25 bitop3:0x80
	v_and_b32_e32 v9, s25, v6
	s_delay_alu instid0(VALU_DEP_2) | instskip(NEXT) | instid1(VALU_DEP_1)
	v_add_co_u32 v6, s2, v8, -1
	v_cndmask_b32_e64 v8, 0, 1, s2
	s_delay_alu instid0(VALU_DEP_3) | instskip(NEXT) | instid1(VALU_DEP_2)
	v_lshlrev_b32_e32 v25, 30, v9
	v_cmp_ne_u32_e32 vcc_lo, 0, v8
	s_delay_alu instid0(VALU_DEP_2) | instskip(SKIP_1) | instid1(VALU_DEP_2)
	v_not_b32_e32 v8, v25
	v_cmp_gt_i32_e64 s2, 0, v25
	v_dual_ashrrev_i32 v8, 31, v8 :: v_dual_lshlrev_b32 v26, 29, v9
	v_dual_lshlrev_b32 v27, 28, v9 :: v_dual_lshlrev_b32 v28, 27, v9
	v_dual_lshlrev_b32 v29, 26, v9 :: v_dual_lshlrev_b32 v30, 25, v9
	v_lshlrev_b32_e32 v31, 24, v9
	s_delay_alu instid0(VALU_DEP_4)
	v_cmp_gt_i32_e64 s3, 0, v26
	v_not_b32_e32 v25, v26
	v_not_b32_e32 v26, v27
	v_cmp_gt_i32_e64 s4, 0, v27
	v_cmp_gt_i32_e64 s5, 0, v28
	v_not_b32_e32 v27, v28
	v_not_b32_e32 v28, v29
	v_dual_ashrrev_i32 v25, 31, v25 :: v_dual_bitop2_b32 v6, vcc_lo, v6 bitop3:0x14
	v_dual_ashrrev_i32 v26, 31, v26 :: v_dual_bitop2_b32 v8, s2, v8 bitop3:0x14
	v_cmp_gt_i32_e64 s6, 0, v29
	v_cmp_gt_i32_e64 s7, 0, v30
	v_not_b32_e32 v29, v30
	v_not_b32_e32 v30, v31
	v_dual_ashrrev_i32 v27, 31, v27 :: v_dual_ashrrev_i32 v28, 31, v28
	v_xor_b32_e32 v25, s3, v25
	v_xor_b32_e32 v26, s4, v26
	v_bitop3_b32 v6, v6, v8, exec_lo bitop3:0x80
	v_cmp_gt_i32_e64 s8, 0, v31
	v_dual_ashrrev_i32 v8, 31, v29 :: v_dual_ashrrev_i32 v29, 31, v30
	v_xor_b32_e32 v27, s5, v27
	v_xor_b32_e32 v28, s6, v28
	v_bitop3_b32 v6, v6, v26, v25 bitop3:0x80
	v_mad_u32_u24 v25, 0x44, v9, v7
	v_xor_b32_e32 v8, s7, v8
	v_xor_b32_e32 v29, s8, v29
	s_delay_alu instid0(VALU_DEP_4) | instskip(SKIP_3) | instid1(VALU_DEP_2)
	v_bitop3_b32 v6, v6, v28, v27 bitop3:0x80
	ds_load_b32 v26, v25 offset:64
	; wave barrier
	v_bitop3_b32 v6, v6, v29, v8 bitop3:0x80
	v_mul_u32_u24_e32 v8, 0x44, v9
	v_mbcnt_lo_u32_b32 v27, v6, 0
	v_cmp_ne_u32_e64 s2, 0, v6
	s_delay_alu instid0(VALU_DEP_3) | instskip(NEXT) | instid1(VALU_DEP_3)
	v_add_nc_u32_e32 v28, v7, v8
	v_cmp_eq_u32_e32 vcc_lo, 0, v27
	s_and_b32 s3, s2, vcc_lo
	s_delay_alu instid0(SALU_CYCLE_1)
	s_and_saveexec_b32 s2, s3
	s_cbranch_execz .LBB2404_33
; %bb.32:
	s_wait_dscnt 0x0
	v_bcnt_u32_b32 v6, v6, v26
	ds_store_b32 v28, v6 offset:64
.LBB2404_33:
	s_or_b32 exec_lo, exec_lo, s2
	v_xor_b32_e32 v25, -1, v2
	; wave barrier
	s_delay_alu instid0(VALU_DEP_1) | instskip(NEXT) | instid1(VALU_DEP_1)
	v_and_b32_e32 v6, 0xffff, v25
	v_lshrrev_b32_e32 v6, s20, v6
	s_delay_alu instid0(VALU_DEP_1) | instskip(NEXT) | instid1(VALU_DEP_1)
	v_and_b32_e32 v9, s25, v6
	v_lshlrev_b32_e32 v30, 29, v9
	v_bitop3_b32 v8, v6, 1, s25 bitop3:0x80
	v_lshlrev_b32_e32 v29, 30, v9
	s_delay_alu instid0(VALU_DEP_3) | instskip(NEXT) | instid1(VALU_DEP_3)
	v_cmp_gt_i32_e64 s3, 0, v30
	v_add_co_u32 v6, s2, v8, -1
	s_delay_alu instid0(VALU_DEP_1) | instskip(NEXT) | instid1(VALU_DEP_4)
	v_cndmask_b32_e64 v8, 0, 1, s2
	v_cmp_gt_i32_e64 s2, 0, v29
	s_delay_alu instid0(VALU_DEP_2) | instskip(SKIP_2) | instid1(VALU_DEP_2)
	v_cmp_ne_u32_e32 vcc_lo, 0, v8
	v_not_b32_e32 v8, v29
	v_not_b32_e32 v29, v30
	v_dual_ashrrev_i32 v8, 31, v8 :: v_dual_bitop2_b32 v6, vcc_lo, v6 bitop3:0x14
	v_dual_lshlrev_b32 v31, 28, v9 :: v_dual_lshlrev_b32 v32, 27, v9
	v_dual_lshlrev_b32 v33, 26, v9 :: v_dual_lshlrev_b32 v34, 25, v9
	v_lshlrev_b32_e32 v35, 24, v9
	s_delay_alu instid0(VALU_DEP_3)
	v_not_b32_e32 v30, v31
	v_cmp_gt_i32_e64 s4, 0, v31
	v_cmp_gt_i32_e64 s5, 0, v32
	v_not_b32_e32 v31, v32
	v_not_b32_e32 v32, v33
	v_dual_ashrrev_i32 v29, 31, v29 :: v_dual_ashrrev_i32 v30, 31, v30
	s_delay_alu instid0(VALU_DEP_3)
	v_dual_ashrrev_i32 v31, 31, v31 :: v_dual_bitop2_b32 v8, s2, v8 bitop3:0x14
	v_cmp_gt_i32_e64 s6, 0, v33
	v_cmp_gt_i32_e64 s7, 0, v34
	v_not_b32_e32 v33, v34
	v_not_b32_e32 v34, v35
	v_dual_ashrrev_i32 v32, 31, v32 :: v_dual_bitop2_b32 v29, s3, v29 bitop3:0x14
	v_xor_b32_e32 v30, s4, v30
	v_bitop3_b32 v6, v6, v8, exec_lo bitop3:0x80
	v_cmp_gt_i32_e64 s8, 0, v35
	v_dual_ashrrev_i32 v8, 31, v33 :: v_dual_ashrrev_i32 v33, 31, v34
	v_xor_b32_e32 v31, s5, v31
	v_xor_b32_e32 v32, s6, v32
	v_bitop3_b32 v6, v6, v30, v29 bitop3:0x80
	v_mad_u32_u24 v29, 0x44, v9, v7
	v_xor_b32_e32 v8, s7, v8
	v_xor_b32_e32 v30, s8, v33
	s_delay_alu instid0(VALU_DEP_4) | instskip(SKIP_3) | instid1(VALU_DEP_2)
	v_bitop3_b32 v6, v6, v32, v31 bitop3:0x80
	ds_load_b32 v29, v29 offset:64
	; wave barrier
	v_bitop3_b32 v6, v6, v30, v8 bitop3:0x80
	v_mul_u32_u24_e32 v8, 0x44, v9
	v_mbcnt_lo_u32_b32 v31, v6, 0
	v_cmp_ne_u32_e64 s2, 0, v6
	s_delay_alu instid0(VALU_DEP_3) | instskip(NEXT) | instid1(VALU_DEP_3)
	v_add_nc_u32_e32 v32, v7, v8
	v_cmp_eq_u32_e32 vcc_lo, 0, v31
	s_and_b32 s3, s2, vcc_lo
	s_delay_alu instid0(SALU_CYCLE_1)
	s_and_saveexec_b32 s2, s3
	s_cbranch_execz .LBB2404_35
; %bb.34:
	s_wait_dscnt 0x0
	v_bcnt_u32_b32 v6, v6, v29
	ds_store_b32 v32, v6 offset:64
.LBB2404_35:
	s_or_b32 exec_lo, exec_lo, s2
	v_lshrrev_b32_e32 v2, 16, v2
	; wave barrier
	s_delay_alu instid0(VALU_DEP_1) | instskip(NEXT) | instid1(VALU_DEP_1)
	v_xor_b32_e32 v30, -1, v2
	v_and_b32_e32 v2, 0xffff, v30
	s_delay_alu instid0(VALU_DEP_1) | instskip(NEXT) | instid1(VALU_DEP_1)
	v_lshrrev_b32_e32 v2, s20, v2
	v_bitop3_b32 v6, v2, 1, s25 bitop3:0x80
	v_and_b32_e32 v8, s25, v2
	s_delay_alu instid0(VALU_DEP_2) | instskip(NEXT) | instid1(VALU_DEP_1)
	v_add_co_u32 v2, s2, v6, -1
	v_cndmask_b32_e64 v6, 0, 1, s2
	s_delay_alu instid0(VALU_DEP_3) | instskip(NEXT) | instid1(VALU_DEP_2)
	v_dual_lshlrev_b32 v9, 30, v8 :: v_dual_lshlrev_b32 v33, 29, v8
	v_cmp_ne_u32_e32 vcc_lo, 0, v6
	s_delay_alu instid0(VALU_DEP_2) | instskip(SKIP_1) | instid1(VALU_DEP_4)
	v_cmp_gt_i32_e64 s2, 0, v9
	v_not_b32_e32 v6, v9
	v_not_b32_e32 v9, v33
	s_delay_alu instid0(VALU_DEP_1) | instskip(SKIP_3) | instid1(VALU_DEP_4)
	v_dual_ashrrev_i32 v9, 31, v9 :: v_dual_lshlrev_b32 v34, 28, v8
	v_dual_lshlrev_b32 v35, 27, v8 :: v_dual_lshlrev_b32 v36, 26, v8
	v_dual_lshlrev_b32 v37, 25, v8 :: v_dual_lshlrev_b32 v38, 24, v8
	v_cmp_gt_i32_e64 s3, 0, v33
	v_not_b32_e32 v33, v34
	v_ashrrev_i32_e32 v6, 31, v6
	v_cmp_gt_i32_e64 s4, 0, v34
	v_cmp_gt_i32_e64 s5, 0, v35
	v_not_b32_e32 v34, v35
	v_cmp_gt_i32_e64 s6, 0, v36
	v_not_b32_e32 v35, v36
	;; [unrolled: 2-line block ×3, first 2 shown]
	v_not_b32_e32 v37, v38
	s_delay_alu instid0(VALU_DEP_4) | instskip(SKIP_3) | instid1(VALU_DEP_3)
	v_dual_ashrrev_i32 v35, 31, v35 :: v_dual_bitop2_b32 v2, vcc_lo, v2 bitop3:0x14
	v_dual_ashrrev_i32 v33, 31, v33 :: v_dual_bitop2_b32 v6, s2, v6 bitop3:0x14
	v_dual_ashrrev_i32 v34, 31, v34 :: v_dual_bitop2_b32 v9, s3, v9 bitop3:0x14
	v_cmp_gt_i32_e64 s8, 0, v38
	v_xor_b32_e32 v33, s4, v33
	s_delay_alu instid0(VALU_DEP_4) | instskip(SKIP_3) | instid1(VALU_DEP_4)
	v_bitop3_b32 v2, v2, v6, exec_lo bitop3:0x80
	v_dual_ashrrev_i32 v6, 31, v36 :: v_dual_ashrrev_i32 v36, 31, v37
	v_xor_b32_e32 v34, s5, v34
	v_xor_b32_e32 v35, s6, v35
	v_bitop3_b32 v2, v2, v33, v9 bitop3:0x80
	v_mad_u32_u24 v9, 0x44, v8, v7
	v_xor_b32_e32 v6, s7, v6
	v_xor_b32_e32 v36, s8, v36
	s_delay_alu instid0(VALU_DEP_4) | instskip(SKIP_3) | instid1(VALU_DEP_2)
	v_bitop3_b32 v2, v2, v35, v34 bitop3:0x80
	ds_load_b32 v33, v9 offset:64
	; wave barrier
	v_bitop3_b32 v2, v2, v36, v6 bitop3:0x80
	v_mul_u32_u24_e32 v6, 0x44, v8
	v_mbcnt_lo_u32_b32 v34, v2, 0
	v_cmp_ne_u32_e64 s2, 0, v2
	s_delay_alu instid0(VALU_DEP_3) | instskip(NEXT) | instid1(VALU_DEP_3)
	v_add_nc_u32_e32 v37, v7, v6
	v_cmp_eq_u32_e32 vcc_lo, 0, v34
	s_and_b32 s3, s2, vcc_lo
	s_delay_alu instid0(SALU_CYCLE_1)
	s_and_saveexec_b32 s2, s3
	s_cbranch_execz .LBB2404_37
; %bb.36:
	s_wait_dscnt 0x0
	v_bcnt_u32_b32 v2, v2, v33
	ds_store_b32 v37, v2 offset:64
.LBB2404_37:
	s_or_b32 exec_lo, exec_lo, s2
	v_xor_b32_e32 v35, -1, v3
	; wave barrier
	s_delay_alu instid0(VALU_DEP_1) | instskip(NEXT) | instid1(VALU_DEP_1)
	v_and_b32_e32 v2, 0xffff, v35
	v_lshrrev_b32_e32 v2, s20, v2
	s_delay_alu instid0(VALU_DEP_1) | instskip(SKIP_1) | instid1(VALU_DEP_2)
	v_bitop3_b32 v6, v2, 1, s25 bitop3:0x80
	v_and_b32_e32 v8, s25, v2
	v_add_co_u32 v2, s2, v6, -1
	s_delay_alu instid0(VALU_DEP_1) | instskip(NEXT) | instid1(VALU_DEP_3)
	v_cndmask_b32_e64 v6, 0, 1, s2
	v_dual_lshlrev_b32 v9, 30, v8 :: v_dual_lshlrev_b32 v36, 29, v8
	s_delay_alu instid0(VALU_DEP_2) | instskip(NEXT) | instid1(VALU_DEP_2)
	v_cmp_ne_u32_e32 vcc_lo, 0, v6
	v_cmp_gt_i32_e64 s2, 0, v9
	v_not_b32_e32 v6, v9
	s_delay_alu instid0(VALU_DEP_4) | instskip(SKIP_1) | instid1(VALU_DEP_2)
	v_not_b32_e32 v9, v36
	v_cmp_gt_i32_e64 s3, 0, v36
	v_dual_ashrrev_i32 v6, 31, v6 :: v_dual_ashrrev_i32 v9, 31, v9
	v_dual_lshlrev_b32 v38, 28, v8 :: v_dual_lshlrev_b32 v39, 27, v8
	v_dual_lshlrev_b32 v40, 26, v8 :: v_dual_lshlrev_b32 v41, 25, v8
	v_lshlrev_b32_e32 v42, 24, v8
	s_delay_alu instid0(VALU_DEP_3)
	v_not_b32_e32 v36, v38
	v_cmp_gt_i32_e64 s4, 0, v38
	v_cmp_gt_i32_e64 s5, 0, v39
	v_not_b32_e32 v38, v39
	v_not_b32_e32 v39, v40
	v_dual_ashrrev_i32 v36, 31, v36 :: v_dual_bitop2_b32 v2, vcc_lo, v2 bitop3:0x14
	v_xor_b32_e32 v6, s2, v6
	v_cmp_gt_i32_e64 s6, 0, v40
	v_cmp_gt_i32_e64 s7, 0, v41
	v_not_b32_e32 v40, v41
	v_not_b32_e32 v41, v42
	v_dual_ashrrev_i32 v38, 31, v38 :: v_dual_bitop2_b32 v9, s3, v9 bitop3:0x14
	v_dual_ashrrev_i32 v39, 31, v39 :: v_dual_bitop2_b32 v36, s4, v36 bitop3:0x14
	v_bitop3_b32 v2, v2, v6, exec_lo bitop3:0x80
	v_cmp_gt_i32_e64 s8, 0, v42
	s_delay_alu instid0(VALU_DEP_4) | instskip(NEXT) | instid1(VALU_DEP_4)
	v_dual_ashrrev_i32 v6, 31, v40 :: v_dual_bitop2_b32 v38, s5, v38 bitop3:0x14
	v_dual_ashrrev_i32 v40, 31, v41 :: v_dual_bitop2_b32 v39, s6, v39 bitop3:0x14
	s_delay_alu instid0(VALU_DEP_4) | instskip(SKIP_1) | instid1(VALU_DEP_4)
	v_bitop3_b32 v2, v2, v36, v9 bitop3:0x80
	v_mad_u32_u24 v9, 0x44, v8, v7
	v_xor_b32_e32 v6, s7, v6
	s_delay_alu instid0(VALU_DEP_4) | instskip(NEXT) | instid1(VALU_DEP_4)
	v_xor_b32_e32 v36, s8, v40
	v_bitop3_b32 v2, v2, v39, v38 bitop3:0x80
	ds_load_b32 v38, v9 offset:64
	; wave barrier
	v_bitop3_b32 v2, v2, v36, v6 bitop3:0x80
	v_mul_u32_u24_e32 v6, 0x44, v8
	s_delay_alu instid0(VALU_DEP_2) | instskip(SKIP_1) | instid1(VALU_DEP_3)
	v_mbcnt_lo_u32_b32 v39, v2, 0
	v_cmp_ne_u32_e64 s2, 0, v2
	v_add_nc_u32_e32 v42, v7, v6
	s_delay_alu instid0(VALU_DEP_3) | instskip(SKIP_1) | instid1(SALU_CYCLE_1)
	v_cmp_eq_u32_e32 vcc_lo, 0, v39
	s_and_b32 s3, s2, vcc_lo
	s_and_saveexec_b32 s2, s3
	s_cbranch_execz .LBB2404_39
; %bb.38:
	s_wait_dscnt 0x0
	v_bcnt_u32_b32 v2, v2, v38
	ds_store_b32 v42, v2 offset:64
.LBB2404_39:
	s_or_b32 exec_lo, exec_lo, s2
	v_lshrrev_b32_e32 v2, 16, v3
	; wave barrier
	s_delay_alu instid0(VALU_DEP_1) | instskip(NEXT) | instid1(VALU_DEP_1)
	v_xor_b32_e32 v36, -1, v2
	v_and_b32_e32 v2, 0xffff, v36
	s_delay_alu instid0(VALU_DEP_1) | instskip(NEXT) | instid1(VALU_DEP_1)
	v_lshrrev_b32_e32 v2, s20, v2
	v_bitop3_b32 v3, v2, 1, s25 bitop3:0x80
	v_and_b32_e32 v6, s25, v2
	s_delay_alu instid0(VALU_DEP_2) | instskip(NEXT) | instid1(VALU_DEP_1)
	v_add_co_u32 v2, s2, v3, -1
	v_cndmask_b32_e64 v3, 0, 1, s2
	s_delay_alu instid0(VALU_DEP_3) | instskip(NEXT) | instid1(VALU_DEP_2)
	v_lshlrev_b32_e32 v8, 30, v6
	v_cmp_ne_u32_e32 vcc_lo, 0, v3
	s_delay_alu instid0(VALU_DEP_2) | instskip(SKIP_1) | instid1(VALU_DEP_2)
	v_not_b32_e32 v3, v8
	v_cmp_gt_i32_e64 s2, 0, v8
	v_dual_ashrrev_i32 v3, 31, v3 :: v_dual_lshlrev_b32 v9, 29, v6
	v_dual_lshlrev_b32 v40, 28, v6 :: v_dual_lshlrev_b32 v41, 27, v6
	v_dual_lshlrev_b32 v43, 26, v6 :: v_dual_lshlrev_b32 v44, 25, v6
	v_lshlrev_b32_e32 v45, 24, v6
	s_delay_alu instid0(VALU_DEP_4)
	v_cmp_gt_i32_e64 s3, 0, v9
	v_not_b32_e32 v8, v9
	v_not_b32_e32 v9, v40
	v_cmp_gt_i32_e64 s4, 0, v40
	v_cmp_gt_i32_e64 s5, 0, v41
	v_not_b32_e32 v40, v41
	v_not_b32_e32 v41, v43
	v_dual_ashrrev_i32 v8, 31, v8 :: v_dual_bitop2_b32 v2, vcc_lo, v2 bitop3:0x14
	v_dual_ashrrev_i32 v9, 31, v9 :: v_dual_bitop2_b32 v3, s2, v3 bitop3:0x14
	v_cmp_gt_i32_e64 s6, 0, v43
	v_cmp_gt_i32_e64 s7, 0, v44
	v_not_b32_e32 v43, v44
	v_not_b32_e32 v44, v45
	v_dual_ashrrev_i32 v40, 31, v40 :: v_dual_ashrrev_i32 v41, 31, v41
	v_xor_b32_e32 v8, s3, v8
	v_xor_b32_e32 v9, s4, v9
	v_bitop3_b32 v2, v2, v3, exec_lo bitop3:0x80
	v_cmp_gt_i32_e64 s8, 0, v45
	v_dual_ashrrev_i32 v3, 31, v43 :: v_dual_ashrrev_i32 v43, 31, v44
	v_xor_b32_e32 v40, s5, v40
	v_xor_b32_e32 v41, s6, v41
	v_bitop3_b32 v2, v2, v9, v8 bitop3:0x80
	v_mad_u32_u24 v8, 0x44, v6, v7
	v_xor_b32_e32 v3, s7, v3
	v_xor_b32_e32 v9, s8, v43
	s_delay_alu instid0(VALU_DEP_4) | instskip(SKIP_3) | instid1(VALU_DEP_2)
	v_bitop3_b32 v2, v2, v41, v40 bitop3:0x80
	ds_load_b32 v41, v8 offset:64
	; wave barrier
	v_bitop3_b32 v2, v2, v9, v3 bitop3:0x80
	v_mul_u32_u24_e32 v3, 0x44, v6
	v_mbcnt_lo_u32_b32 v43, v2, 0
	v_cmp_ne_u32_e64 s2, 0, v2
	s_delay_alu instid0(VALU_DEP_3) | instskip(NEXT) | instid1(VALU_DEP_3)
	v_add_nc_u32_e32 v47, v7, v3
	v_cmp_eq_u32_e32 vcc_lo, 0, v43
	s_and_b32 s3, s2, vcc_lo
	s_delay_alu instid0(SALU_CYCLE_1)
	s_and_saveexec_b32 s2, s3
	s_cbranch_execz .LBB2404_41
; %bb.40:
	s_wait_dscnt 0x0
	v_bcnt_u32_b32 v2, v2, v41
	ds_store_b32 v47, v2 offset:64
.LBB2404_41:
	s_or_b32 exec_lo, exec_lo, s2
	v_xor_b32_e32 v40, -1, v4
	; wave barrier
	s_delay_alu instid0(VALU_DEP_1) | instskip(NEXT) | instid1(VALU_DEP_1)
	v_and_b32_e32 v2, 0xffff, v40
	v_lshrrev_b32_e32 v2, s20, v2
	s_delay_alu instid0(VALU_DEP_1) | instskip(SKIP_1) | instid1(VALU_DEP_2)
	v_bitop3_b32 v3, v2, 1, s25 bitop3:0x80
	v_and_b32_e32 v6, s25, v2
	v_add_co_u32 v2, s2, v3, -1
	s_delay_alu instid0(VALU_DEP_1) | instskip(NEXT) | instid1(VALU_DEP_3)
	v_cndmask_b32_e64 v3, 0, 1, s2
	v_lshlrev_b32_e32 v8, 30, v6
	s_delay_alu instid0(VALU_DEP_2) | instskip(NEXT) | instid1(VALU_DEP_2)
	v_cmp_ne_u32_e32 vcc_lo, 0, v3
	v_not_b32_e32 v3, v8
	s_delay_alu instid0(VALU_DEP_1) | instskip(SKIP_3) | instid1(VALU_DEP_4)
	v_dual_ashrrev_i32 v3, 31, v3 :: v_dual_lshlrev_b32 v9, 29, v6
	v_dual_lshlrev_b32 v44, 28, v6 :: v_dual_lshlrev_b32 v45, 27, v6
	v_dual_lshlrev_b32 v46, 26, v6 :: v_dual_lshlrev_b32 v48, 25, v6
	v_cmp_gt_i32_e64 s2, 0, v8
	v_cmp_gt_i32_e64 s3, 0, v9
	v_not_b32_e32 v8, v9
	v_not_b32_e32 v9, v44
	v_lshlrev_b32_e32 v49, 24, v6
	v_cmp_gt_i32_e64 s4, 0, v44
	v_cmp_gt_i32_e64 s5, 0, v45
	v_not_b32_e32 v44, v45
	v_not_b32_e32 v45, v46
	v_dual_ashrrev_i32 v9, 31, v9 :: v_dual_bitop2_b32 v2, vcc_lo, v2 bitop3:0x14
	v_dual_ashrrev_i32 v8, 31, v8 :: v_dual_bitop2_b32 v3, s2, v3 bitop3:0x14
	s_delay_alu instid0(VALU_DEP_4)
	v_ashrrev_i32_e32 v44, 31, v44
	v_cmp_gt_i32_e64 s6, 0, v46
	v_cmp_gt_i32_e64 s7, 0, v48
	v_not_b32_e32 v46, v48
	v_not_b32_e32 v48, v49
	v_dual_ashrrev_i32 v45, 31, v45 :: v_dual_bitop2_b32 v8, s3, v8 bitop3:0x14
	v_xor_b32_e32 v9, s4, v9
	v_bitop3_b32 v2, v2, v3, exec_lo bitop3:0x80
	v_cmp_gt_i32_e64 s8, 0, v49
	v_dual_ashrrev_i32 v3, 31, v46 :: v_dual_ashrrev_i32 v46, 31, v48
	v_xor_b32_e32 v45, s6, v45
	v_xor_b32_e32 v44, s5, v44
	v_bitop3_b32 v2, v2, v9, v8 bitop3:0x80
	v_mad_u32_u24 v8, 0x44, v6, v7
	v_xor_b32_e32 v3, s7, v3
	v_xor_b32_e32 v9, s8, v46
	s_delay_alu instid0(VALU_DEP_4) | instskip(SKIP_3) | instid1(VALU_DEP_2)
	v_bitop3_b32 v2, v2, v45, v44 bitop3:0x80
	ds_load_b32 v44, v8 offset:64
	; wave barrier
	v_bitop3_b32 v2, v2, v9, v3 bitop3:0x80
	v_mul_u32_u24_e32 v3, 0x44, v6
	v_mbcnt_lo_u32_b32 v46, v2, 0
	v_cmp_ne_u32_e64 s2, 0, v2
	s_delay_alu instid0(VALU_DEP_3) | instskip(NEXT) | instid1(VALU_DEP_3)
	v_add_nc_u32_e32 v51, v7, v3
	v_cmp_eq_u32_e32 vcc_lo, 0, v46
	s_and_b32 s3, s2, vcc_lo
	s_delay_alu instid0(SALU_CYCLE_1)
	s_and_saveexec_b32 s2, s3
	s_cbranch_execz .LBB2404_43
; %bb.42:
	s_wait_dscnt 0x0
	v_bcnt_u32_b32 v2, v2, v44
	ds_store_b32 v51, v2 offset:64
.LBB2404_43:
	s_or_b32 exec_lo, exec_lo, s2
	v_lshrrev_b32_e32 v2, 16, v4
	; wave barrier
	s_delay_alu instid0(VALU_DEP_1) | instskip(NEXT) | instid1(VALU_DEP_1)
	v_xor_b32_e32 v45, -1, v2
	v_and_b32_e32 v2, 0xffff, v45
	s_delay_alu instid0(VALU_DEP_1) | instskip(NEXT) | instid1(VALU_DEP_1)
	v_lshrrev_b32_e32 v2, s20, v2
	v_bitop3_b32 v3, v2, 1, s25 bitop3:0x80
	v_and_b32_e32 v4, s25, v2
	s_delay_alu instid0(VALU_DEP_2) | instskip(NEXT) | instid1(VALU_DEP_1)
	v_add_co_u32 v2, s2, v3, -1
	v_cndmask_b32_e64 v3, 0, 1, s2
	s_delay_alu instid0(VALU_DEP_3) | instskip(NEXT) | instid1(VALU_DEP_2)
	v_lshlrev_b32_e32 v6, 30, v4
	v_cmp_ne_u32_e32 vcc_lo, 0, v3
	s_delay_alu instid0(VALU_DEP_2) | instskip(SKIP_1) | instid1(VALU_DEP_2)
	v_not_b32_e32 v3, v6
	v_cmp_gt_i32_e64 s2, 0, v6
	v_dual_ashrrev_i32 v3, 31, v3 :: v_dual_lshlrev_b32 v8, 29, v4
	v_dual_lshlrev_b32 v9, 28, v4 :: v_dual_lshlrev_b32 v48, 27, v4
	v_dual_lshlrev_b32 v49, 26, v4 :: v_dual_lshlrev_b32 v50, 25, v4
	v_lshlrev_b32_e32 v52, 24, v4
	s_delay_alu instid0(VALU_DEP_4)
	v_cmp_gt_i32_e64 s3, 0, v8
	v_not_b32_e32 v6, v8
	v_not_b32_e32 v8, v9
	v_cmp_gt_i32_e64 s4, 0, v9
	v_cmp_gt_i32_e64 s5, 0, v48
	v_not_b32_e32 v9, v48
	v_not_b32_e32 v48, v49
	v_dual_ashrrev_i32 v8, 31, v8 :: v_dual_bitop2_b32 v2, vcc_lo, v2 bitop3:0x14
	v_dual_ashrrev_i32 v6, 31, v6 :: v_dual_bitop2_b32 v3, s2, v3 bitop3:0x14
	v_cmp_gt_i32_e64 s6, 0, v49
	v_cmp_gt_i32_e64 s7, 0, v50
	v_not_b32_e32 v49, v50
	v_not_b32_e32 v50, v52
	v_dual_ashrrev_i32 v9, 31, v9 :: v_dual_ashrrev_i32 v48, 31, v48
	v_xor_b32_e32 v6, s3, v6
	v_xor_b32_e32 v8, s4, v8
	v_bitop3_b32 v2, v2, v3, exec_lo bitop3:0x80
	v_cmp_gt_i32_e64 s8, 0, v52
	v_dual_ashrrev_i32 v3, 31, v49 :: v_dual_ashrrev_i32 v49, 31, v50
	v_xor_b32_e32 v9, s5, v9
	v_xor_b32_e32 v48, s6, v48
	v_bitop3_b32 v2, v2, v8, v6 bitop3:0x80
	v_mad_u32_u24 v6, 0x44, v4, v7
	v_xor_b32_e32 v3, s7, v3
	v_xor_b32_e32 v8, s8, v49
	s_delay_alu instid0(VALU_DEP_4) | instskip(SKIP_3) | instid1(VALU_DEP_2)
	v_bitop3_b32 v2, v2, v48, v9 bitop3:0x80
	ds_load_b32 v48, v6 offset:64
	; wave barrier
	v_bitop3_b32 v2, v2, v8, v3 bitop3:0x80
	v_mul_u32_u24_e32 v3, 0x44, v4
	v_mbcnt_lo_u32_b32 v50, v2, 0
	v_cmp_ne_u32_e64 s2, 0, v2
	s_delay_alu instid0(VALU_DEP_3) | instskip(NEXT) | instid1(VALU_DEP_3)
	v_add_nc_u32_e32 v55, v7, v3
	v_cmp_eq_u32_e32 vcc_lo, 0, v50
	s_and_b32 s3, s2, vcc_lo
	s_delay_alu instid0(SALU_CYCLE_1)
	s_and_saveexec_b32 s2, s3
	s_cbranch_execz .LBB2404_45
; %bb.44:
	s_wait_dscnt 0x0
	v_bcnt_u32_b32 v2, v2, v48
	ds_store_b32 v55, v2 offset:64
.LBB2404_45:
	s_or_b32 exec_lo, exec_lo, s2
	v_xor_b32_e32 v49, -1, v5
	; wave barrier
	s_delay_alu instid0(VALU_DEP_1) | instskip(NEXT) | instid1(VALU_DEP_1)
	v_and_b32_e32 v2, 0xffff, v49
	v_lshrrev_b32_e32 v2, s20, v2
	s_delay_alu instid0(VALU_DEP_1) | instskip(SKIP_1) | instid1(VALU_DEP_2)
	v_bitop3_b32 v3, v2, 1, s25 bitop3:0x80
	v_and_b32_e32 v4, s25, v2
	v_add_co_u32 v2, s2, v3, -1
	s_delay_alu instid0(VALU_DEP_1) | instskip(NEXT) | instid1(VALU_DEP_3)
	v_cndmask_b32_e64 v3, 0, 1, s2
	v_lshlrev_b32_e32 v6, 30, v4
	s_delay_alu instid0(VALU_DEP_2) | instskip(NEXT) | instid1(VALU_DEP_2)
	v_cmp_ne_u32_e32 vcc_lo, 0, v3
	v_not_b32_e32 v3, v6
	s_delay_alu instid0(VALU_DEP_1) | instskip(SKIP_4) | instid1(VALU_DEP_4)
	v_dual_ashrrev_i32 v3, 31, v3 :: v_dual_bitop2_b32 v2, vcc_lo, v2 bitop3:0x14
	v_dual_lshlrev_b32 v8, 29, v4 :: v_dual_lshlrev_b32 v9, 28, v4
	v_dual_lshlrev_b32 v52, 27, v4 :: v_dual_lshlrev_b32 v53, 26, v4
	v_lshlrev_b32_e32 v54, 25, v4
	v_cmp_gt_i32_e64 s2, 0, v6
	v_cmp_gt_i32_e64 s3, 0, v8
	v_not_b32_e32 v6, v8
	v_not_b32_e32 v8, v9
	v_lshlrev_b32_e32 v56, 24, v4
	v_cmp_gt_i32_e64 s4, 0, v9
	v_cmp_gt_i32_e64 s5, 0, v52
	v_not_b32_e32 v9, v52
	v_not_b32_e32 v52, v53
	v_dual_ashrrev_i32 v6, 31, v6 :: v_dual_ashrrev_i32 v8, 31, v8
	s_delay_alu instid0(VALU_DEP_3)
	v_dual_ashrrev_i32 v9, 31, v9 :: v_dual_bitop2_b32 v3, s2, v3 bitop3:0x14
	v_cmp_gt_i32_e64 s6, 0, v53
	v_cmp_gt_i32_e64 s7, 0, v54
	v_not_b32_e32 v53, v54
	v_not_b32_e32 v54, v56
	v_dual_ashrrev_i32 v52, 31, v52 :: v_dual_bitop2_b32 v6, s3, v6 bitop3:0x14
	v_xor_b32_e32 v8, s4, v8
	v_bitop3_b32 v2, v2, v3, exec_lo bitop3:0x80
	v_cmp_gt_i32_e64 s8, 0, v56
	v_dual_ashrrev_i32 v3, 31, v53 :: v_dual_ashrrev_i32 v53, 31, v54
	v_xor_b32_e32 v9, s5, v9
	v_xor_b32_e32 v52, s6, v52
	v_bitop3_b32 v2, v2, v8, v6 bitop3:0x80
	v_mad_u32_u24 v6, 0x44, v4, v7
	v_xor_b32_e32 v3, s7, v3
	v_xor_b32_e32 v8, s8, v53
	s_delay_alu instid0(VALU_DEP_4) | instskip(SKIP_3) | instid1(VALU_DEP_2)
	v_bitop3_b32 v2, v2, v52, v9 bitop3:0x80
	ds_load_b32 v52, v6 offset:64
	; wave barrier
	v_bitop3_b32 v2, v2, v8, v3 bitop3:0x80
	v_mul_u32_u24_e32 v3, 0x44, v4
	v_mbcnt_lo_u32_b32 v53, v2, 0
	v_cmp_ne_u32_e64 s2, 0, v2
	s_delay_alu instid0(VALU_DEP_3) | instskip(NEXT) | instid1(VALU_DEP_3)
	v_add_nc_u32_e32 v58, v7, v3
	v_cmp_eq_u32_e32 vcc_lo, 0, v53
	s_and_b32 s3, s2, vcc_lo
	s_delay_alu instid0(SALU_CYCLE_1)
	s_and_saveexec_b32 s2, s3
	s_cbranch_execz .LBB2404_47
; %bb.46:
	s_wait_dscnt 0x0
	v_bcnt_u32_b32 v2, v2, v52
	ds_store_b32 v58, v2 offset:64
.LBB2404_47:
	s_or_b32 exec_lo, exec_lo, s2
	v_lshrrev_b32_e32 v2, 16, v5
	; wave barrier
	s_delay_alu instid0(VALU_DEP_1) | instskip(NEXT) | instid1(VALU_DEP_1)
	v_xor_b32_e32 v54, -1, v2
	v_and_b32_e32 v2, 0xffff, v54
	s_delay_alu instid0(VALU_DEP_1) | instskip(NEXT) | instid1(VALU_DEP_1)
	v_lshrrev_b32_e32 v2, s20, v2
	v_bitop3_b32 v3, v2, 1, s25 bitop3:0x80
	v_and_b32_e32 v4, s25, v2
	s_delay_alu instid0(VALU_DEP_2) | instskip(NEXT) | instid1(VALU_DEP_1)
	v_add_co_u32 v2, s2, v3, -1
	v_cndmask_b32_e64 v3, 0, 1, s2
	s_delay_alu instid0(VALU_DEP_3) | instskip(NEXT) | instid1(VALU_DEP_2)
	v_lshlrev_b32_e32 v5, 30, v4
	v_cmp_ne_u32_e32 vcc_lo, 0, v3
	s_delay_alu instid0(VALU_DEP_2) | instskip(SKIP_1) | instid1(VALU_DEP_2)
	v_not_b32_e32 v3, v5
	v_cmp_gt_i32_e64 s2, 0, v5
	v_dual_ashrrev_i32 v3, 31, v3 :: v_dual_lshlrev_b32 v6, 29, v4
	v_dual_lshlrev_b32 v8, 28, v4 :: v_dual_lshlrev_b32 v9, 27, v4
	v_dual_lshlrev_b32 v56, 26, v4 :: v_dual_lshlrev_b32 v57, 25, v4
	v_lshlrev_b32_e32 v59, 24, v4
	s_delay_alu instid0(VALU_DEP_4)
	v_cmp_gt_i32_e64 s3, 0, v6
	v_not_b32_e32 v5, v6
	v_not_b32_e32 v6, v8
	v_cmp_gt_i32_e64 s4, 0, v8
	v_cmp_gt_i32_e64 s5, 0, v9
	v_not_b32_e32 v8, v9
	v_not_b32_e32 v9, v56
	v_dual_ashrrev_i32 v5, 31, v5 :: v_dual_bitop2_b32 v2, vcc_lo, v2 bitop3:0x14
	v_dual_ashrrev_i32 v6, 31, v6 :: v_dual_bitop2_b32 v3, s2, v3 bitop3:0x14
	v_cmp_gt_i32_e64 s6, 0, v56
	v_cmp_gt_i32_e64 s7, 0, v57
	v_not_b32_e32 v56, v57
	v_not_b32_e32 v57, v59
	v_dual_ashrrev_i32 v8, 31, v8 :: v_dual_ashrrev_i32 v9, 31, v9
	v_xor_b32_e32 v5, s3, v5
	v_xor_b32_e32 v6, s4, v6
	v_bitop3_b32 v2, v2, v3, exec_lo bitop3:0x80
	v_cmp_gt_i32_e64 s8, 0, v59
	v_dual_ashrrev_i32 v3, 31, v56 :: v_dual_ashrrev_i32 v56, 31, v57
	v_xor_b32_e32 v8, s5, v8
	v_xor_b32_e32 v9, s6, v9
	v_bitop3_b32 v2, v2, v6, v5 bitop3:0x80
	v_mad_u32_u24 v5, 0x44, v4, v7
	v_xor_b32_e32 v3, s7, v3
	v_xor_b32_e32 v6, s8, v56
	s_delay_alu instid0(VALU_DEP_4) | instskip(SKIP_3) | instid1(VALU_DEP_2)
	v_bitop3_b32 v2, v2, v9, v8 bitop3:0x80
	ds_load_b32 v56, v5 offset:64
	; wave barrier
	v_bitop3_b32 v2, v2, v6, v3 bitop3:0x80
	v_mul_u32_u24_e32 v3, 0x44, v4
	v_mbcnt_lo_u32_b32 v57, v2, 0
	v_cmp_ne_u32_e64 s2, 0, v2
	s_delay_alu instid0(VALU_DEP_3) | instskip(NEXT) | instid1(VALU_DEP_3)
	v_add_nc_u32_e32 v59, v7, v3
	v_cmp_eq_u32_e32 vcc_lo, 0, v57
	s_and_b32 s3, s2, vcc_lo
	s_delay_alu instid0(SALU_CYCLE_1)
	s_and_saveexec_b32 s2, s3
	s_cbranch_execz .LBB2404_49
; %bb.48:
	s_wait_dscnt 0x0
	v_bcnt_u32_b32 v2, v2, v56
	ds_store_b32 v59, v2 offset:64
.LBB2404_49:
	s_or_b32 exec_lo, exec_lo, s2
	; wave barrier
	s_wait_dscnt 0x0
	s_barrier_signal -1
	s_barrier_wait -1
	ds_load_2addr_b32 v[8:9], v13 offset0:16 offset1:17
	ds_load_2addr_b32 v[6:7], v13 offset0:18 offset1:19
	;; [unrolled: 1-line block ×4, first 2 shown]
	ds_load_b32 v60, v13 offset:96
	s_mov_b32 s6, exec_lo
	s_wait_dscnt 0x3
	v_add3_u32 v61, v9, v8, v6
	s_wait_dscnt 0x2
	s_delay_alu instid0(VALU_DEP_1) | instskip(SKIP_1) | instid1(VALU_DEP_1)
	v_add3_u32 v61, v61, v7, v4
	s_wait_dscnt 0x1
	v_add3_u32 v61, v61, v5, v2
	s_wait_dscnt 0x0
	s_delay_alu instid0(VALU_DEP_1) | instskip(SKIP_1) | instid1(VALU_DEP_2)
	v_add3_u32 v60, v61, v3, v60
	v_and_b32_e32 v61, 15, v14
	v_mov_b32_dpp v62, v60 row_shr:1 row_mask:0xf bank_mask:0xf
	s_delay_alu instid0(VALU_DEP_2) | instskip(NEXT) | instid1(VALU_DEP_2)
	v_cmp_eq_u32_e32 vcc_lo, 0, v61
	v_cndmask_b32_e64 v62, v62, 0, vcc_lo
	s_delay_alu instid0(VALU_DEP_1) | instskip(SKIP_3) | instid1(VALU_DEP_4)
	v_add_nc_u32_e32 v60, v62, v60
	v_cmp_lt_u32_e64 s2, 1, v61
	v_cmp_lt_u32_e64 s3, 3, v61
	v_cmp_lt_u32_e64 s4, 7, v61
	v_mov_b32_dpp v62, v60 row_shr:2 row_mask:0xf bank_mask:0xf
	s_delay_alu instid0(VALU_DEP_1) | instskip(NEXT) | instid1(VALU_DEP_1)
	v_cndmask_b32_e64 v62, 0, v62, s2
	v_add_nc_u32_e32 v60, v60, v62
	s_delay_alu instid0(VALU_DEP_1) | instskip(NEXT) | instid1(VALU_DEP_1)
	v_mov_b32_dpp v62, v60 row_shr:4 row_mask:0xf bank_mask:0xf
	v_cndmask_b32_e64 v62, 0, v62, s3
	s_delay_alu instid0(VALU_DEP_1) | instskip(NEXT) | instid1(VALU_DEP_1)
	v_add_nc_u32_e32 v60, v60, v62
	v_mov_b32_dpp v62, v60 row_shr:8 row_mask:0xf bank_mask:0xf
	s_delay_alu instid0(VALU_DEP_1) | instskip(SKIP_1) | instid1(VALU_DEP_2)
	v_cndmask_b32_e64 v61, 0, v62, s4
	v_bfe_i32 v62, v14, 4, 1
	v_add_nc_u32_e32 v60, v60, v61
	ds_swizzle_b32 v61, v60 offset:swizzle(BROADCAST,32,15)
	s_wait_dscnt 0x0
	v_and_b32_e32 v61, v62, v61
	v_min_u32_e32 v62, 0x1e0, v15
	s_delay_alu instid0(VALU_DEP_1) | instskip(SKIP_1) | instid1(VALU_DEP_2)
	v_dual_add_nc_u32 v60, v60, v61 :: v_dual_bitop2_b32 v62, 31, v62 bitop3:0x54
	v_lshrrev_b32_e32 v61, 5, v1
	v_cmpx_eq_u32_e64 v1, v62
; %bb.50:
	s_delay_alu instid0(VALU_DEP_2)
	v_lshlrev_b32_e32 v62, 2, v61
	ds_store_b32 v62, v60
; %bb.51:
	s_or_b32 exec_lo, exec_lo, s6
	s_delay_alu instid0(SALU_CYCLE_1)
	s_mov_b32 s6, exec_lo
	s_wait_dscnt 0x0
	s_barrier_signal -1
	s_barrier_wait -1
	v_cmpx_gt_u32_e32 16, v1
	s_cbranch_execz .LBB2404_53
; %bb.52:
	v_lshlrev_b32_e32 v62, 2, v1
	ds_load_b32 v63, v62
	s_wait_dscnt 0x0
	v_mov_b32_dpp v64, v63 row_shr:1 row_mask:0xf bank_mask:0xf
	s_delay_alu instid0(VALU_DEP_1) | instskip(NEXT) | instid1(VALU_DEP_1)
	v_cndmask_b32_e64 v64, v64, 0, vcc_lo
	v_add_nc_u32_e32 v63, v64, v63
	s_delay_alu instid0(VALU_DEP_1) | instskip(NEXT) | instid1(VALU_DEP_1)
	v_mov_b32_dpp v64, v63 row_shr:2 row_mask:0xf bank_mask:0xf
	v_cndmask_b32_e64 v64, 0, v64, s2
	s_delay_alu instid0(VALU_DEP_1) | instskip(NEXT) | instid1(VALU_DEP_1)
	v_add_nc_u32_e32 v63, v63, v64
	v_mov_b32_dpp v64, v63 row_shr:4 row_mask:0xf bank_mask:0xf
	s_delay_alu instid0(VALU_DEP_1) | instskip(NEXT) | instid1(VALU_DEP_1)
	v_cndmask_b32_e64 v64, 0, v64, s3
	v_add_nc_u32_e32 v63, v63, v64
	s_delay_alu instid0(VALU_DEP_1) | instskip(NEXT) | instid1(VALU_DEP_1)
	v_mov_b32_dpp v64, v63 row_shr:8 row_mask:0xf bank_mask:0xf
	v_cndmask_b32_e64 v64, 0, v64, s4
	s_delay_alu instid0(VALU_DEP_1)
	v_add_nc_u32_e32 v63, v63, v64
	ds_store_b32 v62, v63
.LBB2404_53:
	s_or_b32 exec_lo, exec_lo, s6
	v_mov_b32_e32 v62, 0
	s_mov_b32 s2, exec_lo
	s_wait_dscnt 0x0
	s_barrier_signal -1
	s_barrier_wait -1
	v_cmpx_lt_u32_e32 31, v1
; %bb.54:
	v_lshl_add_u32 v61, v61, 2, -4
	ds_load_b32 v62, v61
; %bb.55:
	s_or_b32 exec_lo, exec_lo, s2
	v_sub_co_u32 v61, vcc_lo, v14, 1
	s_wait_dscnt 0x0
	v_add_nc_u32_e32 v60, v62, v60
	s_delay_alu instid0(VALU_DEP_2) | instskip(NEXT) | instid1(VALU_DEP_1)
	v_cmp_gt_i32_e64 s2, 0, v61
	v_cndmask_b32_e64 v61, v61, v14, s2
	v_cmp_gt_u32_e64 s2, 0x100, v1
	s_delay_alu instid0(VALU_DEP_2) | instskip(SKIP_4) | instid1(VALU_DEP_2)
	v_lshlrev_b32_e32 v61, 2, v61
	ds_bpermute_b32 v60, v61, v60
	s_wait_dscnt 0x0
	v_cndmask_b32_e32 v60, v60, v62, vcc_lo
	v_cmp_ne_u32_e32 vcc_lo, 0, v1
	v_cndmask_b32_e32 v60, 0, v60, vcc_lo
	v_cmp_lt_u32_e32 vcc_lo, 0xff, v1
	s_delay_alu instid0(VALU_DEP_2) | instskip(NEXT) | instid1(VALU_DEP_1)
	v_add_nc_u32_e32 v8, v60, v8
	v_add_nc_u32_e32 v9, v8, v9
	s_delay_alu instid0(VALU_DEP_1) | instskip(NEXT) | instid1(VALU_DEP_1)
	v_add_nc_u32_e32 v6, v9, v6
	v_add_nc_u32_e32 v7, v6, v7
	s_delay_alu instid0(VALU_DEP_1) | instskip(NEXT) | instid1(VALU_DEP_1)
	;; [unrolled: 3-line block ×3, first 2 shown]
	v_add_nc_u32_e32 v2, v5, v2
	v_add_nc_u32_e32 v3, v2, v3
	ds_store_2addr_b32 v13, v60, v8 offset0:16 offset1:17
	ds_store_2addr_b32 v13, v9, v6 offset0:18 offset1:19
	;; [unrolled: 1-line block ×4, first 2 shown]
	ds_store_b32 v13, v3 offset:96
	s_wait_dscnt 0x0
	s_barrier_signal -1
	s_barrier_wait -1
	ds_load_b32 v61, v16 offset:64
	ds_load_b32 v62, v20 offset:64
	;; [unrolled: 1-line block ×12, first 2 shown]
	v_mov_b64_e32 v[2:3], 0
                                        ; implicit-def: $vgpr4
	s_and_saveexec_b32 s4, s2
	s_cbranch_execz .LBB2404_59
; %bb.56:
	v_mul_u32_u24_e32 v2, 0x44, v1
	v_dual_mov_b32 v3, 0x1800 :: v_dual_add_nc_u32 v4, 1, v1
	s_mov_b32 s5, exec_lo
	ds_load_b32 v2, v2 offset:64
	v_cmpx_ne_u32_e32 0x100, v4
; %bb.57:
	v_mul_u32_u24_e32 v3, 0x44, v4
	ds_load_b32 v3, v3 offset:64
; %bb.58:
	s_or_b32 exec_lo, exec_lo, s5
	s_wait_dscnt 0x0
	v_dual_mov_b32 v3, 0 :: v_dual_sub_nc_u32 v4, v3, v2
.LBB2404_59:
	s_or_b32 exec_lo, exec_lo, s4
	s_wait_dscnt 0xa
	v_dual_lshlrev_b32 v11, 1, v11 :: v_dual_lshlrev_b32 v28, 1, v62
	v_dual_lshlrev_b32 v19, 1, v19 :: v_dual_lshlrev_b32 v18, 1, v18
	v_lshlrev_b32_e32 v22, 1, v22
	s_delay_alu instid0(VALU_DEP_3)
	v_lshl_add_u32 v11, v61, 1, v11
	v_lshlrev_b32_e32 v23, 1, v23
	s_wait_dscnt 0x0
	v_add3_u32 v18, v28, v19, v18
	v_lshlrev_b32_e32 v19, 1, v60
	s_barrier_signal -1
	s_barrier_wait -1
	ds_store_b16 v11, v10 offset:2048
	ds_store_b16 v18, v12 offset:2048
	v_lshlrev_b32_e32 v11, 1, v24
	v_add3_u32 v10, v19, v23, v22
	v_dual_lshlrev_b32 v12, 1, v27 :: v_dual_lshlrev_b32 v18, 1, v26
	v_dual_lshlrev_b32 v22, 1, v29 :: v_dual_lshlrev_b32 v16, 1, v16
	;; [unrolled: 1-line block ×6, first 2 shown]
	ds_store_b16 v10, v17 offset:2048
	v_add3_u32 v10, v11, v12, v18
	v_add3_u32 v12, v16, v23, v24
	v_dual_lshlrev_b32 v16, 1, v43 :: v_dual_lshlrev_b32 v17, 1, v41
	v_add3_u32 v11, v19, v20, v22
	v_add3_u32 v13, v13, v26, v27
	ds_store_b16 v10, v21 offset:2048
	ds_store_b16 v11, v25 offset:2048
	;; [unrolled: 1-line block ×4, first 2 shown]
	v_add3_u32 v9, v9, v16, v17
	v_dual_lshlrev_b32 v8, 1, v8 :: v_dual_lshlrev_b32 v10, 1, v46
	v_dual_lshlrev_b32 v11, 1, v44 :: v_dual_lshlrev_b32 v7, 1, v7
	;; [unrolled: 1-line block ×6, first 2 shown]
	ds_store_b16 v9, v36 offset:2048
	v_add3_u32 v8, v8, v10, v11
	v_add3_u32 v9, v7, v12, v13
	v_add3_u32 v10, v5, v18, v19
	v_dual_mov_b32 v7, 0 :: v_dual_lshlrev_b32 v5, 3, v1
	v_add3_u32 v6, v6, v16, v17
	ds_store_b16 v8, v40 offset:2048
	ds_store_b16 v9, v45 offset:2048
	;; [unrolled: 1-line block ×4, first 2 shown]
	s_and_saveexec_b32 s3, s2
	s_cbranch_execz .LBB2404_69
; %bb.60:
	v_lshl_add_u32 v6, s9, 8, v1
	v_dual_mov_b32 v10, 0 :: v_dual_bitop2_b32 v11, 2.0, v4 bitop3:0x54
	s_mov_b32 s4, 0
	s_mov_b32 s5, s9
	s_delay_alu instid0(VALU_DEP_2)
	v_lshl_add_u64 v[8:9], v[6:7], 2, s[10:11]
	global_store_b32 v6, v11, s[10:11] scale_offset scope:SCOPE_DEV
                                        ; implicit-def: $sgpr2
	s_branch .LBB2404_63
.LBB2404_61:                            ;   in Loop: Header=BB2404_63 Depth=1
	s_or_b32 exec_lo, exec_lo, s7
.LBB2404_62:                            ;   in Loop: Header=BB2404_63 Depth=1
	s_delay_alu instid0(SALU_CYCLE_1) | instskip(SKIP_2) | instid1(VALU_DEP_2)
	s_or_b32 exec_lo, exec_lo, s6
	v_and_b32_e32 v6, 0x3fffffff, v11
	v_cmp_gt_i32_e64 s2, -2.0, v11
	v_add_nc_u32_e32 v10, v6, v10
	s_and_b32 s6, exec_lo, s2
	s_delay_alu instid0(SALU_CYCLE_1) | instskip(NEXT) | instid1(SALU_CYCLE_1)
	s_or_b32 s4, s6, s4
	s_and_not1_b32 exec_lo, exec_lo, s4
	s_cbranch_execz .LBB2404_68
.LBB2404_63:                            ; =>This Loop Header: Depth=1
                                        ;     Child Loop BB2404_66 Depth 2
	s_or_b32 s2, s2, exec_lo
	s_cmp_eq_u32 s5, 0
	s_cbranch_scc1 .LBB2404_67
; %bb.64:                               ;   in Loop: Header=BB2404_63 Depth=1
	s_add_co_i32 s5, s5, -1
	s_mov_b32 s6, exec_lo
	s_wait_xcnt 0x0
	v_lshl_or_b32 v6, s5, 8, v1
	global_load_b32 v11, v6, s[10:11] scale_offset scope:SCOPE_DEV
	s_wait_loadcnt 0x0
	v_cmpx_gt_u32_e32 2.0, v11
	s_cbranch_execz .LBB2404_62
; %bb.65:                               ;   in Loop: Header=BB2404_63 Depth=1
	v_lshl_add_u64 v[12:13], v[6:7], 2, s[10:11]
	s_mov_b32 s7, 0
.LBB2404_66:                            ;   Parent Loop BB2404_63 Depth=1
                                        ; =>  This Inner Loop Header: Depth=2
	global_load_b32 v11, v[12:13], off scope:SCOPE_DEV
	s_wait_loadcnt 0x0
	v_cmp_lt_u32_e64 s2, 0x3fffffff, v11
	s_or_b32 s7, s2, s7
	s_wait_xcnt 0x0
	s_and_not1_b32 exec_lo, exec_lo, s7
	s_cbranch_execnz .LBB2404_66
	s_branch .LBB2404_61
.LBB2404_67:                            ;   in Loop: Header=BB2404_63 Depth=1
                                        ; implicit-def: $sgpr5
	s_and_b32 s6, exec_lo, s2
	s_delay_alu instid0(SALU_CYCLE_1)
	s_or_b32 s4, s6, s4
	s_wait_xcnt 0x0
	s_and_not1_b32 exec_lo, exec_lo, s4
	s_cbranch_execnz .LBB2404_63
.LBB2404_68:
	s_or_b32 exec_lo, exec_lo, s4
	v_dual_mov_b32 v11, 0 :: v_dual_add_nc_u32 v6, v10, v4
	s_delay_alu instid0(VALU_DEP_1) | instskip(SKIP_4) | instid1(VALU_DEP_1)
	v_or_b32_e32 v6, 0x80000000, v6
	global_store_b32 v[8:9], v6, off scope:SCOPE_DEV
	global_load_b64 v[6:7], v1, s[12:13] scale_offset
	v_sub_nc_u64_e32 v[8:9], v[10:11], v[2:3]
	s_wait_loadcnt 0x0
	v_add_nc_u64_e32 v[6:7], v[8:9], v[6:7]
	ds_store_b64 v5, v[6:7]
.LBB2404_69:
	s_wait_xcnt 0x0
	s_or_b32 exec_lo, exec_lo, s3
	v_mad_i32_i24 v8, v1, -6, v5
	v_lshlrev_b32_e32 v6, 1, v1
	s_mov_b32 s3, exec_lo
	s_wait_storecnt_dscnt 0x0
	s_barrier_signal -1
	s_barrier_wait -1
	v_cmpx_gt_u32_e64 s22, v1
	s_cbranch_execz .LBB2404_71
; %bb.70:
	ds_load_u16 v9, v8 offset:2048
	s_wait_dscnt 0x0
	v_and_b32_e32 v7, 0xffff, v9
	s_delay_alu instid0(VALU_DEP_1) | instskip(NEXT) | instid1(VALU_DEP_1)
	v_lshrrev_b32_e32 v7, s20, v7
	v_and_b32_e32 v7, s25, v7
	s_delay_alu instid0(VALU_DEP_1) | instskip(SKIP_4) | instid1(VALU_DEP_1)
	v_lshlrev_b32_e32 v7, 3, v7
	ds_load_b64 v[10:11], v7
	v_mov_b32_e32 v7, 0
	s_wait_dscnt 0x0
	v_lshl_add_u64 v[10:11], v[10:11], 1, s[18:19]
	v_add_nc_u64_e32 v[10:11], v[10:11], v[6:7]
	v_xor_b32_e32 v7, -1, v9
	global_store_b16 v[10:11], v7, off
.LBB2404_71:
	s_wait_xcnt 0x0
	s_or_b32 exec_lo, exec_lo, s3
	v_add_nc_u32_e32 v7, 0x200, v1
	s_mov_b32 s3, exec_lo
	s_delay_alu instid0(VALU_DEP_1)
	v_cmpx_gt_u32_e64 s22, v7
	s_cbranch_execz .LBB2404_73
; %bb.72:
	ds_load_u16 v9, v8 offset:3072
	s_wait_dscnt 0x0
	v_and_b32_e32 v7, 0xffff, v9
	s_delay_alu instid0(VALU_DEP_1) | instskip(NEXT) | instid1(VALU_DEP_1)
	v_lshrrev_b32_e32 v7, s20, v7
	v_and_b32_e32 v7, s25, v7
	s_delay_alu instid0(VALU_DEP_1) | instskip(SKIP_4) | instid1(VALU_DEP_1)
	v_lshlrev_b32_e32 v7, 3, v7
	ds_load_b64 v[10:11], v7
	v_mov_b32_e32 v7, 0
	s_wait_dscnt 0x0
	v_lshl_add_u64 v[10:11], v[10:11], 1, s[18:19]
	v_add_nc_u64_e32 v[10:11], v[10:11], v[6:7]
	v_xor_b32_e32 v7, -1, v9
	global_store_b16 v[10:11], v7, off offset:1024
.LBB2404_73:
	s_wait_xcnt 0x0
	s_or_b32 exec_lo, exec_lo, s3
	v_or_b32_e32 v7, 0x400, v1
	s_mov_b32 s3, exec_lo
	s_delay_alu instid0(VALU_DEP_1)
	v_cmpx_gt_u32_e64 s22, v7
	s_cbranch_execz .LBB2404_75
; %bb.74:
	ds_load_u16 v9, v8 offset:4096
	s_wait_dscnt 0x0
	v_and_b32_e32 v7, 0xffff, v9
	s_delay_alu instid0(VALU_DEP_1) | instskip(NEXT) | instid1(VALU_DEP_1)
	v_lshrrev_b32_e32 v7, s20, v7
	v_and_b32_e32 v7, s25, v7
	s_delay_alu instid0(VALU_DEP_1) | instskip(SKIP_4) | instid1(VALU_DEP_1)
	v_lshlrev_b32_e32 v7, 3, v7
	ds_load_b64 v[10:11], v7
	v_mov_b32_e32 v7, 0
	s_wait_dscnt 0x0
	v_lshl_add_u64 v[10:11], v[10:11], 1, s[18:19]
	v_add_nc_u64_e32 v[10:11], v[10:11], v[6:7]
	v_xor_b32_e32 v7, -1, v9
	global_store_b16 v[10:11], v7, off offset:2048
.LBB2404_75:
	s_wait_xcnt 0x0
	s_or_b32 exec_lo, exec_lo, s3
	v_add_nc_u32_e32 v7, 0x600, v1
	s_mov_b32 s3, exec_lo
	s_delay_alu instid0(VALU_DEP_1)
	v_cmpx_gt_u32_e64 s22, v7
	s_cbranch_execz .LBB2404_77
; %bb.76:
	ds_load_u16 v9, v8 offset:5120
	s_wait_dscnt 0x0
	v_and_b32_e32 v7, 0xffff, v9
	s_delay_alu instid0(VALU_DEP_1) | instskip(NEXT) | instid1(VALU_DEP_1)
	v_lshrrev_b32_e32 v7, s20, v7
	v_and_b32_e32 v7, s25, v7
	s_delay_alu instid0(VALU_DEP_1) | instskip(SKIP_4) | instid1(VALU_DEP_1)
	v_lshlrev_b32_e32 v7, 3, v7
	ds_load_b64 v[10:11], v7
	v_mov_b32_e32 v7, 0
	s_wait_dscnt 0x0
	v_lshl_add_u64 v[10:11], v[10:11], 1, s[18:19]
	v_add_nc_u64_e32 v[10:11], v[10:11], v[6:7]
	v_xor_b32_e32 v7, -1, v9
	global_store_b16 v[10:11], v7, off offset:3072
.LBB2404_77:
	s_wait_xcnt 0x0
	s_or_b32 exec_lo, exec_lo, s3
	v_or_b32_e32 v7, 0x800, v1
	s_mov_b32 s3, exec_lo
	s_delay_alu instid0(VALU_DEP_1)
	v_cmpx_gt_u32_e64 s22, v7
	s_cbranch_execz .LBB2404_79
; %bb.78:
	ds_load_u16 v9, v8 offset:6144
	s_wait_dscnt 0x0
	v_and_b32_e32 v7, 0xffff, v9
	s_delay_alu instid0(VALU_DEP_1) | instskip(NEXT) | instid1(VALU_DEP_1)
	v_lshrrev_b32_e32 v7, s20, v7
	v_and_b32_e32 v7, s25, v7
	s_delay_alu instid0(VALU_DEP_1) | instskip(SKIP_4) | instid1(VALU_DEP_1)
	v_lshlrev_b32_e32 v7, 3, v7
	ds_load_b64 v[10:11], v7
	v_mov_b32_e32 v7, 0
	s_wait_dscnt 0x0
	v_lshl_add_u64 v[10:11], v[10:11], 1, s[18:19]
	v_add_nc_u64_e32 v[10:11], v[10:11], v[6:7]
	v_xor_b32_e32 v7, -1, v9
	global_store_b16 v[10:11], v7, off offset:4096
.LBB2404_79:
	;; [unrolled: 48-line block ×5, first 2 shown]
	s_wait_xcnt 0x0
	s_or_b32 exec_lo, exec_lo, s3
	v_add_nc_u32_e32 v7, 0x1600, v1
	s_mov_b32 s3, exec_lo
	s_delay_alu instid0(VALU_DEP_1)
	v_cmpx_gt_u32_e64 s22, v7
	s_cbranch_execz .LBB2404_93
; %bb.92:
	ds_load_u16 v10, v6 offset:13312
	s_wait_dscnt 0x0
	v_and_b32_e32 v7, 0xffff, v10
	s_delay_alu instid0(VALU_DEP_1) | instskip(NEXT) | instid1(VALU_DEP_1)
	v_lshrrev_b32_e32 v7, s20, v7
	v_and_b32_e32 v7, s25, v7
	s_delay_alu instid0(VALU_DEP_1) | instskip(SKIP_4) | instid1(VALU_DEP_1)
	v_lshlrev_b32_e32 v7, 3, v7
	ds_load_b64 v[8:9], v7
	v_mov_b32_e32 v7, 0
	s_wait_dscnt 0x0
	v_lshl_add_u64 v[8:9], v[8:9], 1, s[18:19]
	v_add_nc_u64_e32 v[6:7], v[8:9], v[6:7]
	v_xor_b32_e32 v8, -1, v10
	global_store_b16 v[6:7], v8, off offset:11264
.LBB2404_93:
	s_wait_xcnt 0x0
	s_or_b32 exec_lo, exec_lo, s3
	s_add_co_i32 s23, s23, -1
	s_delay_alu instid0(SALU_CYCLE_1) | instskip(SKIP_2) | instid1(SALU_CYCLE_1)
	s_cmp_eq_u32 s9, s23
	s_cselect_b32 s2, -1, 0
	s_xor_b32 s3, vcc_lo, -1
	s_and_b32 s3, s3, s2
	s_delay_alu instid0(SALU_CYCLE_1)
	s_and_saveexec_b32 s2, s3
	s_cbranch_execz .LBB2404_95
; %bb.94:
	ds_load_b64 v[6:7], v5
	v_mov_b32_e32 v5, 0
	s_delay_alu instid0(VALU_DEP_1) | instskip(SKIP_1) | instid1(VALU_DEP_1)
	v_add_nc_u64_e32 v[2:3], v[2:3], v[4:5]
	s_wait_dscnt 0x0
	v_add_nc_u64_e32 v[2:3], v[2:3], v[6:7]
	global_store_b64 v1, v[2:3], s[14:15] scale_offset
.LBB2404_95:
	s_wait_xcnt 0x0
	s_or_b32 exec_lo, exec_lo, s2
	s_mov_b32 s2, 0
.LBB2404_96:
	s_delay_alu instid0(SALU_CYCLE_1)
	s_and_b32 vcc_lo, exec_lo, s2
	s_cbranch_vccz .LBB2404_143
; %bb.97:
	s_mov_b32 s25, 0
	v_dual_mov_b32 v9, 0 :: v_dual_lshlrev_b32 v8, 1, v14
	s_lshl_b64 s[2:3], s[24:25], 1
	v_mul_u32_u24_e32 v1, 12, v15
	s_add_nc_u64 s[2:3], s[16:17], s[2:3]
	v_bfe_u32 v17, v0, 20, 10
	v_add_nc_u64_e32 v[2:3], s[2:3], v[8:9]
	s_delay_alu instid0(VALU_DEP_3) | instskip(NEXT) | instid1(VALU_DEP_1)
	v_lshlrev_b32_e32 v8, 1, v1
	v_add_nc_u64_e32 v[12:13], v[2:3], v[8:9]
	s_clause 0xb
	global_load_u16 v8, v[12:13], off
	global_load_u16 v10, v[12:13], off offset:64
	global_load_u16 v16, v[12:13], off offset:128
	;; [unrolled: 1-line block ×11, first 2 shown]
	s_clause 0x1
	s_load_b32 s7, s[0:1], 0x58
	s_load_u16 s2, s[0:1], 0x66
	v_bfe_u32 v13, v0, 10, 10
	v_and_b32_e32 v12, 0x3ff, v0
	s_wait_kmcnt 0x0
	s_cmp_lt_u32 s9, s7
	s_delay_alu instid0(VALU_DEP_2)
	v_mad_u32_u24 v0, v17, s2, v13
	s_cselect_b32 s24, 12, 18
	s_lshl_b32 s8, -1, s21
	s_add_nc_u64 s[0:1], s[26:27], s[24:25]
	s_load_u16 s16, s[0:1], 0x0
	s_wait_kmcnt 0x0
	v_mad_u32 v0, v0, s16, v12
	s_delay_alu instid0(VALU_DEP_1) | instskip(NEXT) | instid1(VALU_DEP_1)
	v_lshrrev_b32_e32 v0, 5, v0
	v_lshlrev_b32_e32 v0, 2, v0
	s_wait_loadcnt 0xb
	v_xor_b32_e32 v8, -1, v8
	s_delay_alu instid0(VALU_DEP_1) | instskip(NEXT) | instid1(VALU_DEP_1)
	v_and_b32_e32 v11, 0xffff, v8
	v_lshrrev_b32_e32 v11, s20, v11
	s_delay_alu instid0(VALU_DEP_1) | instskip(SKIP_2) | instid1(VALU_DEP_2)
	v_bitop3_b32 v13, v11, 1, s8 bitop3:0x40
	v_bitop3_b32 v18, v11, s8, v11 bitop3:0x30
	s_not_b32 s8, s8
	v_add_co_u32 v11, s0, v13, -1
	s_delay_alu instid0(VALU_DEP_1) | instskip(NEXT) | instid1(VALU_DEP_3)
	v_cndmask_b32_e64 v13, 0, 1, s0
	v_dual_lshlrev_b32 v17, 30, v18 :: v_dual_lshlrev_b32 v19, 29, v18
	v_dual_lshlrev_b32 v21, 28, v18 :: v_dual_lshlrev_b32 v22, 27, v18
	v_lshlrev_b32_e32 v23, 26, v18
	s_delay_alu instid0(VALU_DEP_4) | instskip(NEXT) | instid1(VALU_DEP_4)
	v_cmp_ne_u32_e32 vcc_lo, 0, v13
	v_not_b32_e32 v13, v17
	v_cmp_gt_i32_e64 s0, 0, v17
	v_cmp_gt_i32_e64 s1, 0, v19
	v_not_b32_e32 v17, v19
	v_not_b32_e32 v19, v21
	v_dual_ashrrev_i32 v13, 31, v13 :: v_dual_bitop2_b32 v11, vcc_lo, v11 bitop3:0x14
	v_dual_lshlrev_b32 v25, 25, v18 :: v_dual_lshlrev_b32 v26, 24, v18
	v_cmp_gt_i32_e64 s2, 0, v21
	v_cmp_gt_i32_e64 s3, 0, v22
	v_not_b32_e32 v21, v22
	v_not_b32_e32 v22, v23
	v_dual_ashrrev_i32 v17, 31, v17 :: v_dual_ashrrev_i32 v19, 31, v19
	v_xor_b32_e32 v13, s0, v13
	v_cmp_gt_i32_e64 s4, 0, v23
	v_cmp_gt_i32_e64 s5, 0, v25
	v_not_b32_e32 v23, v25
	v_not_b32_e32 v25, v26
	v_dual_ashrrev_i32 v21, 31, v21 :: v_dual_bitop2_b32 v19, s2, v19 bitop3:0x14
	v_dual_ashrrev_i32 v22, 31, v22 :: v_dual_bitop2_b32 v17, s1, v17 bitop3:0x14
	v_bitop3_b32 v11, v11, v13, exec_lo bitop3:0x80
	v_cmp_gt_i32_e64 s6, 0, v26
	v_dual_ashrrev_i32 v13, 31, v23 :: v_dual_ashrrev_i32 v23, 31, v25
	s_delay_alu instid0(VALU_DEP_4) | instskip(SKIP_2) | instid1(VALU_DEP_4)
	v_xor_b32_e32 v22, s4, v22
	v_xor_b32_e32 v21, s3, v21
	v_bitop3_b32 v11, v11, v19, v17 bitop3:0x80
	v_xor_b32_e32 v13, s5, v13
	v_xor_b32_e32 v17, s6, v23
	s_delay_alu instid0(VALU_DEP_3)
	v_bitop3_b32 v19, v11, v22, v21 bitop3:0x80
	v_mul_u32_u24_e32 v11, 36, v12
	ds_store_2addr_b32 v11, v9, v9 offset0:16 offset1:17
	ds_store_2addr_b32 v11, v9, v9 offset0:18 offset1:19
	;; [unrolled: 1-line block ×4, first 2 shown]
	v_bitop3_b32 v17, v19, v17, v13 bitop3:0x80
	ds_store_b32 v11, v9 offset:96
	v_mad_u32_u24 v13, 0x44, v18, v0
	s_wait_storecnt 0x0
	s_wait_loadcnt_dscnt 0x0
	s_barrier_signal -1
	v_mbcnt_lo_u32_b32 v9, v17, 0
	v_cmp_ne_u32_e64 s0, 0, v17
	s_barrier_wait -1
	s_delay_alu instid0(VALU_DEP_2) | instskip(SKIP_1) | instid1(SALU_CYCLE_1)
	v_cmp_eq_u32_e32 vcc_lo, 0, v9
	; wave barrier
	s_and_b32 s1, s0, vcc_lo
	s_and_saveexec_b32 s0, s1
; %bb.98:
	v_bcnt_u32_b32 v17, v17, 0
	ds_store_b32 v13, v17 offset:64
; %bb.99:
	s_or_b32 exec_lo, exec_lo, s0
	v_xor_b32_e32 v10, -1, v10
	; wave barrier
	s_delay_alu instid0(VALU_DEP_1) | instskip(NEXT) | instid1(VALU_DEP_1)
	v_and_b32_e32 v17, 0xffff, v10
	v_lshrrev_b32_e32 v17, s20, v17
	s_delay_alu instid0(VALU_DEP_1) | instskip(SKIP_1) | instid1(VALU_DEP_2)
	v_bitop3_b32 v18, v17, 1, s8 bitop3:0x80
	v_and_b32_e32 v17, s8, v17
	v_add_co_u32 v18, s0, v18, -1
	s_delay_alu instid0(VALU_DEP_1) | instskip(NEXT) | instid1(VALU_DEP_3)
	v_cndmask_b32_e64 v19, 0, 1, s0
	v_lshlrev_b32_e32 v21, 30, v17
	s_delay_alu instid0(VALU_DEP_2) | instskip(NEXT) | instid1(VALU_DEP_2)
	v_cmp_ne_u32_e32 vcc_lo, 0, v19
	v_not_b32_e32 v19, v21
	s_delay_alu instid0(VALU_DEP_1) | instskip(SKIP_4) | instid1(VALU_DEP_4)
	v_dual_ashrrev_i32 v19, 31, v19 :: v_dual_bitop2_b32 v18, vcc_lo, v18 bitop3:0x14
	v_dual_lshlrev_b32 v22, 29, v17 :: v_dual_lshlrev_b32 v23, 28, v17
	v_dual_lshlrev_b32 v25, 27, v17 :: v_dual_lshlrev_b32 v26, 26, v17
	v_lshlrev_b32_e32 v27, 25, v17
	v_cmp_gt_i32_e64 s0, 0, v21
	v_cmp_gt_i32_e64 s1, 0, v22
	v_not_b32_e32 v21, v22
	v_not_b32_e32 v22, v23
	v_lshlrev_b32_e32 v28, 24, v17
	v_cmp_gt_i32_e64 s2, 0, v23
	v_cmp_gt_i32_e64 s3, 0, v25
	v_not_b32_e32 v23, v25
	v_not_b32_e32 v25, v26
	v_dual_ashrrev_i32 v21, 31, v21 :: v_dual_ashrrev_i32 v22, 31, v22
	v_xor_b32_e32 v19, s0, v19
	v_cmp_gt_i32_e64 s4, 0, v26
	v_cmp_gt_i32_e64 s5, 0, v27
	v_not_b32_e32 v26, v27
	v_not_b32_e32 v27, v28
	v_dual_ashrrev_i32 v23, 31, v23 :: v_dual_bitop2_b32 v21, s1, v21 bitop3:0x14
	v_dual_ashrrev_i32 v25, 31, v25 :: v_dual_bitop2_b32 v22, s2, v22 bitop3:0x14
	s_delay_alu instid0(VALU_DEP_3) | instskip(SKIP_4) | instid1(VALU_DEP_4)
	v_ashrrev_i32_e32 v27, 31, v27
	v_bitop3_b32 v18, v18, v19, exec_lo bitop3:0x80
	v_cmp_gt_i32_e64 s6, 0, v28
	v_dual_ashrrev_i32 v26, 31, v26 :: v_dual_bitop2_b32 v23, s3, v23 bitop3:0x14
	v_xor_b32_e32 v25, s4, v25
	v_bitop3_b32 v18, v18, v22, v21 bitop3:0x80
	v_mad_u32_u24 v19, 0x44, v17, v0
	s_delay_alu instid0(VALU_DEP_4) | instskip(SKIP_1) | instid1(VALU_DEP_4)
	v_xor_b32_e32 v21, s5, v26
	v_xor_b32_e32 v22, s6, v27
	v_bitop3_b32 v18, v18, v25, v23 bitop3:0x80
	ds_load_b32 v17, v19 offset:64
	; wave barrier
	v_bitop3_b32 v21, v18, v22, v21 bitop3:0x80
	s_delay_alu instid0(VALU_DEP_1) | instskip(SKIP_1) | instid1(VALU_DEP_2)
	v_mbcnt_lo_u32_b32 v18, v21, 0
	v_cmp_ne_u32_e64 s0, 0, v21
	v_cmp_eq_u32_e32 vcc_lo, 0, v18
	s_and_b32 s1, s0, vcc_lo
	s_delay_alu instid0(SALU_CYCLE_1)
	s_and_saveexec_b32 s0, s1
	s_cbranch_execz .LBB2404_101
; %bb.100:
	s_wait_dscnt 0x0
	v_bcnt_u32_b32 v21, v21, v17
	ds_store_b32 v19, v21 offset:64
.LBB2404_101:
	s_or_b32 exec_lo, exec_lo, s0
	v_xor_b32_e32 v16, -1, v16
	; wave barrier
	s_delay_alu instid0(VALU_DEP_1) | instskip(NEXT) | instid1(VALU_DEP_1)
	v_and_b32_e32 v21, 0xffff, v16
	v_lshrrev_b32_e32 v21, s20, v21
	s_delay_alu instid0(VALU_DEP_1) | instskip(SKIP_1) | instid1(VALU_DEP_2)
	v_bitop3_b32 v22, v21, 1, s8 bitop3:0x80
	v_and_b32_e32 v21, s8, v21
	v_add_co_u32 v22, s0, v22, -1
	s_delay_alu instid0(VALU_DEP_1) | instskip(NEXT) | instid1(VALU_DEP_3)
	v_cndmask_b32_e64 v23, 0, 1, s0
	v_lshlrev_b32_e32 v25, 30, v21
	s_delay_alu instid0(VALU_DEP_2) | instskip(NEXT) | instid1(VALU_DEP_2)
	v_cmp_ne_u32_e32 vcc_lo, 0, v23
	v_not_b32_e32 v23, v25
	s_delay_alu instid0(VALU_DEP_1) | instskip(SKIP_4) | instid1(VALU_DEP_4)
	v_dual_ashrrev_i32 v23, 31, v23 :: v_dual_bitop2_b32 v22, vcc_lo, v22 bitop3:0x14
	v_dual_lshlrev_b32 v26, 29, v21 :: v_dual_lshlrev_b32 v27, 28, v21
	v_dual_lshlrev_b32 v28, 27, v21 :: v_dual_lshlrev_b32 v29, 26, v21
	v_lshlrev_b32_e32 v30, 25, v21
	v_cmp_gt_i32_e64 s0, 0, v25
	v_cmp_gt_i32_e64 s1, 0, v26
	v_not_b32_e32 v25, v26
	v_not_b32_e32 v26, v27
	v_lshlrev_b32_e32 v31, 24, v21
	v_cmp_gt_i32_e64 s2, 0, v27
	v_cmp_gt_i32_e64 s3, 0, v28
	v_not_b32_e32 v27, v28
	v_not_b32_e32 v28, v29
	v_dual_ashrrev_i32 v25, 31, v25 :: v_dual_ashrrev_i32 v26, 31, v26
	v_xor_b32_e32 v23, s0, v23
	v_cmp_gt_i32_e64 s4, 0, v29
	v_cmp_gt_i32_e64 s5, 0, v30
	v_not_b32_e32 v29, v30
	v_not_b32_e32 v30, v31
	v_dual_ashrrev_i32 v27, 31, v27 :: v_dual_bitop2_b32 v25, s1, v25 bitop3:0x14
	v_dual_ashrrev_i32 v28, 31, v28 :: v_dual_bitop2_b32 v26, s2, v26 bitop3:0x14
	s_delay_alu instid0(VALU_DEP_4) | instskip(SKIP_4) | instid1(VALU_DEP_4)
	v_ashrrev_i32_e32 v29, 31, v29
	v_bitop3_b32 v22, v22, v23, exec_lo bitop3:0x80
	v_cmp_gt_i32_e64 s6, 0, v31
	v_dual_ashrrev_i32 v30, 31, v30 :: v_dual_bitop2_b32 v27, s3, v27 bitop3:0x14
	v_xor_b32_e32 v28, s4, v28
	v_bitop3_b32 v22, v22, v26, v25 bitop3:0x80
	v_mad_u32_u24 v23, 0x44, v21, v0
	v_xor_b32_e32 v25, s5, v29
	v_xor_b32_e32 v26, s6, v30
	s_delay_alu instid0(VALU_DEP_4) | instskip(SKIP_2) | instid1(VALU_DEP_1)
	v_bitop3_b32 v22, v22, v28, v27 bitop3:0x80
	ds_load_b32 v21, v23 offset:64
	; wave barrier
	v_bitop3_b32 v25, v22, v26, v25 bitop3:0x80
	v_mbcnt_lo_u32_b32 v22, v25, 0
	v_cmp_ne_u32_e64 s0, 0, v25
	s_delay_alu instid0(VALU_DEP_2) | instskip(SKIP_1) | instid1(SALU_CYCLE_1)
	v_cmp_eq_u32_e32 vcc_lo, 0, v22
	s_and_b32 s1, s0, vcc_lo
	s_and_saveexec_b32 s0, s1
	s_cbranch_execz .LBB2404_103
; %bb.102:
	s_wait_dscnt 0x0
	v_bcnt_u32_b32 v25, v25, v21
	ds_store_b32 v23, v25 offset:64
.LBB2404_103:
	s_or_b32 exec_lo, exec_lo, s0
	v_xor_b32_e32 v20, -1, v20
	; wave barrier
	s_delay_alu instid0(VALU_DEP_1) | instskip(NEXT) | instid1(VALU_DEP_1)
	v_and_b32_e32 v25, 0xffff, v20
	v_lshrrev_b32_e32 v25, s20, v25
	s_delay_alu instid0(VALU_DEP_1) | instskip(SKIP_1) | instid1(VALU_DEP_2)
	v_bitop3_b32 v26, v25, 1, s8 bitop3:0x80
	v_and_b32_e32 v25, s8, v25
	v_add_co_u32 v26, s0, v26, -1
	s_delay_alu instid0(VALU_DEP_1) | instskip(NEXT) | instid1(VALU_DEP_3)
	v_cndmask_b32_e64 v27, 0, 1, s0
	v_lshlrev_b32_e32 v28, 30, v25
	s_delay_alu instid0(VALU_DEP_2) | instskip(NEXT) | instid1(VALU_DEP_2)
	v_cmp_ne_u32_e32 vcc_lo, 0, v27
	v_not_b32_e32 v27, v28
	s_delay_alu instid0(VALU_DEP_1) | instskip(SKIP_4) | instid1(VALU_DEP_4)
	v_dual_ashrrev_i32 v27, 31, v27 :: v_dual_bitop2_b32 v26, vcc_lo, v26 bitop3:0x14
	v_dual_lshlrev_b32 v29, 29, v25 :: v_dual_lshlrev_b32 v30, 28, v25
	v_dual_lshlrev_b32 v31, 27, v25 :: v_dual_lshlrev_b32 v32, 26, v25
	v_lshlrev_b32_e32 v33, 25, v25
	v_cmp_gt_i32_e64 s0, 0, v28
	v_cmp_gt_i32_e64 s1, 0, v29
	v_not_b32_e32 v28, v29
	v_not_b32_e32 v29, v30
	v_lshlrev_b32_e32 v34, 24, v25
	v_cmp_gt_i32_e64 s2, 0, v30
	v_cmp_gt_i32_e64 s3, 0, v31
	v_not_b32_e32 v30, v31
	v_not_b32_e32 v31, v32
	v_dual_ashrrev_i32 v28, 31, v28 :: v_dual_ashrrev_i32 v29, 31, v29
	s_delay_alu instid0(VALU_DEP_3)
	v_dual_ashrrev_i32 v30, 31, v30 :: v_dual_bitop2_b32 v27, s0, v27 bitop3:0x14
	v_cmp_gt_i32_e64 s4, 0, v32
	v_cmp_gt_i32_e64 s5, 0, v33
	v_not_b32_e32 v32, v33
	v_not_b32_e32 v33, v34
	v_dual_ashrrev_i32 v31, 31, v31 :: v_dual_bitop2_b32 v28, s1, v28 bitop3:0x14
	s_delay_alu instid0(VALU_DEP_3) | instskip(SKIP_4) | instid1(VALU_DEP_4)
	v_dual_ashrrev_i32 v32, 31, v32 :: v_dual_bitop2_b32 v29, s2, v29 bitop3:0x14
	v_bitop3_b32 v26, v26, v27, exec_lo bitop3:0x80
	v_cmp_gt_i32_e64 s6, 0, v34
	v_dual_ashrrev_i32 v33, 31, v33 :: v_dual_bitop2_b32 v30, s3, v30 bitop3:0x14
	v_xor_b32_e32 v31, s4, v31
	v_bitop3_b32 v26, v26, v29, v28 bitop3:0x80
	v_mad_u32_u24 v27, 0x44, v25, v0
	v_xor_b32_e32 v28, s5, v32
	v_xor_b32_e32 v29, s6, v33
	s_delay_alu instid0(VALU_DEP_4) | instskip(SKIP_2) | instid1(VALU_DEP_1)
	v_bitop3_b32 v26, v26, v31, v30 bitop3:0x80
	ds_load_b32 v25, v27 offset:64
	; wave barrier
	v_bitop3_b32 v28, v26, v29, v28 bitop3:0x80
	v_mbcnt_lo_u32_b32 v26, v28, 0
	v_cmp_ne_u32_e64 s0, 0, v28
	s_delay_alu instid0(VALU_DEP_2) | instskip(SKIP_1) | instid1(SALU_CYCLE_1)
	v_cmp_eq_u32_e32 vcc_lo, 0, v26
	s_and_b32 s1, s0, vcc_lo
	s_and_saveexec_b32 s0, s1
	s_cbranch_execz .LBB2404_105
; %bb.104:
	s_wait_dscnt 0x0
	v_bcnt_u32_b32 v28, v28, v25
	ds_store_b32 v27, v28 offset:64
.LBB2404_105:
	s_or_b32 exec_lo, exec_lo, s0
	v_xor_b32_e32 v24, -1, v24
	; wave barrier
	s_delay_alu instid0(VALU_DEP_1) | instskip(NEXT) | instid1(VALU_DEP_1)
	v_and_b32_e32 v28, 0xffff, v24
	v_lshrrev_b32_e32 v28, s20, v28
	s_delay_alu instid0(VALU_DEP_1) | instskip(NEXT) | instid1(VALU_DEP_1)
	v_bitop3_b32 v29, v28, 1, s8 bitop3:0x80
	v_add_co_u32 v29, s0, v29, -1
	s_delay_alu instid0(VALU_DEP_1) | instskip(NEXT) | instid1(VALU_DEP_1)
	v_cndmask_b32_e64 v30, 0, 1, s0
	v_cmp_ne_u32_e32 vcc_lo, 0, v30
	s_delay_alu instid0(VALU_DEP_3) | instskip(SKIP_1) | instid1(VALU_DEP_1)
	v_xor_b32_e32 v29, vcc_lo, v29
	v_and_b32_e32 v28, s8, v28
	v_dual_lshlrev_b32 v31, 30, v28 :: v_dual_lshlrev_b32 v32, 29, v28
	s_delay_alu instid0(VALU_DEP_1) | instskip(SKIP_1) | instid1(VALU_DEP_3)
	v_cmp_gt_i32_e64 s0, 0, v31
	v_not_b32_e32 v30, v31
	v_not_b32_e32 v31, v32
	v_cmp_gt_i32_e64 s1, 0, v32
	s_delay_alu instid0(VALU_DEP_2) | instskip(SKIP_2) | instid1(VALU_DEP_3)
	v_dual_ashrrev_i32 v30, 31, v30 :: v_dual_ashrrev_i32 v31, 31, v31
	v_dual_lshlrev_b32 v33, 28, v28 :: v_dual_lshlrev_b32 v34, 27, v28
	v_dual_lshlrev_b32 v35, 26, v28 :: v_dual_lshlrev_b32 v36, 25, v28
	v_dual_lshlrev_b32 v37, 24, v28 :: v_dual_bitop2_b32 v30, s0, v30 bitop3:0x14
	s_delay_alu instid0(VALU_DEP_3)
	v_not_b32_e32 v32, v33
	v_cmp_gt_i32_e64 s2, 0, v33
	v_cmp_gt_i32_e64 s3, 0, v34
	v_not_b32_e32 v33, v34
	v_not_b32_e32 v34, v35
	v_ashrrev_i32_e32 v32, 31, v32
	v_cmp_gt_i32_e64 s4, 0, v35
	v_cmp_gt_i32_e64 s5, 0, v36
	v_not_b32_e32 v35, v36
	v_not_b32_e32 v36, v37
	v_dual_ashrrev_i32 v33, 31, v33 :: v_dual_ashrrev_i32 v34, 31, v34
	v_xor_b32_e32 v31, s1, v31
	v_xor_b32_e32 v32, s2, v32
	v_bitop3_b32 v29, v29, v30, exec_lo bitop3:0x80
	v_cmp_gt_i32_e64 s6, 0, v37
	v_dual_ashrrev_i32 v30, 31, v35 :: v_dual_ashrrev_i32 v35, 31, v36
	v_xor_b32_e32 v33, s3, v33
	v_xor_b32_e32 v34, s4, v34
	v_bitop3_b32 v29, v29, v32, v31 bitop3:0x80
	v_mad_u32_u24 v31, 0x44, v28, v0
	v_xor_b32_e32 v30, s5, v30
	v_xor_b32_e32 v32, s6, v35
	s_delay_alu instid0(VALU_DEP_4) | instskip(SKIP_2) | instid1(VALU_DEP_1)
	v_bitop3_b32 v29, v29, v34, v33 bitop3:0x80
	ds_load_b32 v28, v31 offset:64
	; wave barrier
	v_bitop3_b32 v29, v29, v32, v30 bitop3:0x80
	v_mbcnt_lo_u32_b32 v30, v29, 0
	v_cmp_ne_u32_e64 s0, 0, v29
	s_delay_alu instid0(VALU_DEP_2) | instskip(SKIP_1) | instid1(SALU_CYCLE_1)
	v_cmp_eq_u32_e32 vcc_lo, 0, v30
	s_and_b32 s1, s0, vcc_lo
	s_and_saveexec_b32 s0, s1
	s_cbranch_execz .LBB2404_107
; %bb.106:
	s_wait_dscnt 0x0
	v_bcnt_u32_b32 v29, v29, v28
	ds_store_b32 v31, v29 offset:64
.LBB2404_107:
	s_or_b32 exec_lo, exec_lo, s0
	v_xor_b32_e32 v29, -1, v7
	; wave barrier
	s_delay_alu instid0(VALU_DEP_1) | instskip(NEXT) | instid1(VALU_DEP_1)
	v_and_b32_e32 v7, 0xffff, v29
	v_lshrrev_b32_e32 v7, s20, v7
	s_delay_alu instid0(VALU_DEP_1) | instskip(SKIP_1) | instid1(VALU_DEP_2)
	v_bitop3_b32 v32, v7, 1, s8 bitop3:0x80
	v_and_b32_e32 v7, s8, v7
	v_add_co_u32 v32, s0, v32, -1
	s_delay_alu instid0(VALU_DEP_1) | instskip(NEXT) | instid1(VALU_DEP_3)
	v_cndmask_b32_e64 v33, 0, 1, s0
	v_lshlrev_b32_e32 v34, 30, v7
	s_delay_alu instid0(VALU_DEP_2) | instskip(NEXT) | instid1(VALU_DEP_2)
	v_cmp_ne_u32_e32 vcc_lo, 0, v33
	v_not_b32_e32 v33, v34
	s_delay_alu instid0(VALU_DEP_1) | instskip(SKIP_4) | instid1(VALU_DEP_4)
	v_dual_ashrrev_i32 v33, 31, v33 :: v_dual_bitop2_b32 v32, vcc_lo, v32 bitop3:0x14
	v_dual_lshlrev_b32 v35, 29, v7 :: v_dual_lshlrev_b32 v36, 28, v7
	v_dual_lshlrev_b32 v37, 27, v7 :: v_dual_lshlrev_b32 v38, 26, v7
	v_lshlrev_b32_e32 v39, 25, v7
	v_cmp_gt_i32_e64 s0, 0, v34
	v_cmp_gt_i32_e64 s1, 0, v35
	v_not_b32_e32 v34, v35
	v_not_b32_e32 v35, v36
	v_lshlrev_b32_e32 v40, 24, v7
	v_cmp_gt_i32_e64 s2, 0, v36
	v_cmp_gt_i32_e64 s3, 0, v37
	v_not_b32_e32 v36, v37
	v_not_b32_e32 v37, v38
	v_dual_ashrrev_i32 v34, 31, v34 :: v_dual_ashrrev_i32 v35, 31, v35
	s_delay_alu instid0(VALU_DEP_3)
	v_dual_ashrrev_i32 v36, 31, v36 :: v_dual_bitop2_b32 v33, s0, v33 bitop3:0x14
	v_cmp_gt_i32_e64 s4, 0, v38
	v_cmp_gt_i32_e64 s5, 0, v39
	v_not_b32_e32 v38, v39
	v_not_b32_e32 v39, v40
	v_dual_ashrrev_i32 v37, 31, v37 :: v_dual_bitop2_b32 v34, s1, v34 bitop3:0x14
	v_xor_b32_e32 v35, s2, v35
	v_bitop3_b32 v32, v32, v33, exec_lo bitop3:0x80
	v_cmp_gt_i32_e64 s6, 0, v40
	v_dual_ashrrev_i32 v33, 31, v38 :: v_dual_ashrrev_i32 v38, 31, v39
	v_xor_b32_e32 v36, s3, v36
	v_xor_b32_e32 v37, s4, v37
	v_bitop3_b32 v32, v32, v35, v34 bitop3:0x80
	v_mad_u32_u24 v35, 0x44, v7, v0
	v_xor_b32_e32 v7, s5, v33
	v_xor_b32_e32 v33, s6, v38
	s_delay_alu instid0(VALU_DEP_4) | instskip(SKIP_2) | instid1(VALU_DEP_1)
	v_bitop3_b32 v34, v32, v37, v36 bitop3:0x80
	ds_load_b32 v32, v35 offset:64
	; wave barrier
	v_bitop3_b32 v7, v34, v33, v7 bitop3:0x80
	v_mbcnt_lo_u32_b32 v34, v7, 0
	v_cmp_ne_u32_e64 s0, 0, v7
	s_delay_alu instid0(VALU_DEP_2) | instskip(SKIP_1) | instid1(SALU_CYCLE_1)
	v_cmp_eq_u32_e32 vcc_lo, 0, v34
	s_and_b32 s1, s0, vcc_lo
	s_and_saveexec_b32 s0, s1
	s_cbranch_execz .LBB2404_109
; %bb.108:
	s_wait_dscnt 0x0
	v_bcnt_u32_b32 v7, v7, v32
	ds_store_b32 v35, v7 offset:64
.LBB2404_109:
	s_or_b32 exec_lo, exec_lo, s0
	v_xor_b32_e32 v33, -1, v6
	; wave barrier
	s_delay_alu instid0(VALU_DEP_1) | instskip(NEXT) | instid1(VALU_DEP_1)
	v_and_b32_e32 v6, 0xffff, v33
	v_lshrrev_b32_e32 v6, s20, v6
	s_delay_alu instid0(VALU_DEP_1) | instskip(SKIP_1) | instid1(VALU_DEP_2)
	v_bitop3_b32 v7, v6, 1, s8 bitop3:0x80
	v_and_b32_e32 v6, s8, v6
	v_add_co_u32 v7, s0, v7, -1
	s_delay_alu instid0(VALU_DEP_1) | instskip(NEXT) | instid1(VALU_DEP_3)
	v_cndmask_b32_e64 v36, 0, 1, s0
	v_lshlrev_b32_e32 v37, 30, v6
	s_delay_alu instid0(VALU_DEP_2) | instskip(NEXT) | instid1(VALU_DEP_2)
	v_cmp_ne_u32_e32 vcc_lo, 0, v36
	v_not_b32_e32 v36, v37
	s_delay_alu instid0(VALU_DEP_1) | instskip(SKIP_4) | instid1(VALU_DEP_4)
	v_dual_ashrrev_i32 v36, 31, v36 :: v_dual_bitop2_b32 v7, vcc_lo, v7 bitop3:0x14
	v_dual_lshlrev_b32 v38, 29, v6 :: v_dual_lshlrev_b32 v39, 28, v6
	v_dual_lshlrev_b32 v40, 27, v6 :: v_dual_lshlrev_b32 v41, 26, v6
	v_lshlrev_b32_e32 v42, 25, v6
	v_cmp_gt_i32_e64 s0, 0, v37
	v_cmp_gt_i32_e64 s1, 0, v38
	v_not_b32_e32 v37, v38
	v_not_b32_e32 v38, v39
	v_lshlrev_b32_e32 v43, 24, v6
	v_cmp_gt_i32_e64 s2, 0, v39
	v_cmp_gt_i32_e64 s3, 0, v40
	v_not_b32_e32 v39, v40
	v_not_b32_e32 v40, v41
	v_dual_ashrrev_i32 v37, 31, v37 :: v_dual_ashrrev_i32 v38, 31, v38
	s_delay_alu instid0(VALU_DEP_3)
	v_dual_ashrrev_i32 v39, 31, v39 :: v_dual_bitop2_b32 v36, s0, v36 bitop3:0x14
	v_cmp_gt_i32_e64 s4, 0, v41
	v_cmp_gt_i32_e64 s5, 0, v42
	v_not_b32_e32 v41, v42
	v_not_b32_e32 v42, v43
	v_dual_ashrrev_i32 v40, 31, v40 :: v_dual_bitop2_b32 v37, s1, v37 bitop3:0x14
	v_xor_b32_e32 v38, s2, v38
	v_bitop3_b32 v7, v7, v36, exec_lo bitop3:0x80
	v_cmp_gt_i32_e64 s6, 0, v43
	v_dual_ashrrev_i32 v36, 31, v41 :: v_dual_ashrrev_i32 v41, 31, v42
	v_xor_b32_e32 v42, s3, v39
	v_xor_b32_e32 v40, s4, v40
	v_bitop3_b32 v7, v7, v38, v37 bitop3:0x80
	v_mad_u32_u24 v39, 0x44, v6, v0
	v_xor_b32_e32 v6, s5, v36
	v_xor_b32_e32 v36, s6, v41
	s_delay_alu instid0(VALU_DEP_4) | instskip(SKIP_2) | instid1(VALU_DEP_1)
	v_bitop3_b32 v7, v7, v40, v42 bitop3:0x80
	ds_load_b32 v37, v39 offset:64
	; wave barrier
	v_bitop3_b32 v6, v7, v36, v6 bitop3:0x80
	v_mbcnt_lo_u32_b32 v38, v6, 0
	v_cmp_ne_u32_e64 s0, 0, v6
	s_delay_alu instid0(VALU_DEP_2) | instskip(SKIP_1) | instid1(SALU_CYCLE_1)
	v_cmp_eq_u32_e32 vcc_lo, 0, v38
	s_and_b32 s1, s0, vcc_lo
	s_and_saveexec_b32 s0, s1
	s_cbranch_execz .LBB2404_111
; %bb.110:
	s_wait_dscnt 0x0
	v_bcnt_u32_b32 v6, v6, v37
	ds_store_b32 v39, v6 offset:64
.LBB2404_111:
	s_or_b32 exec_lo, exec_lo, s0
	v_xor_b32_e32 v36, -1, v5
	; wave barrier
	s_delay_alu instid0(VALU_DEP_1) | instskip(NEXT) | instid1(VALU_DEP_1)
	v_and_b32_e32 v5, 0xffff, v36
	v_lshrrev_b32_e32 v5, s20, v5
	s_delay_alu instid0(VALU_DEP_1) | instskip(SKIP_1) | instid1(VALU_DEP_2)
	v_bitop3_b32 v6, v5, 1, s8 bitop3:0x80
	v_and_b32_e32 v5, s8, v5
	v_add_co_u32 v6, s0, v6, -1
	s_delay_alu instid0(VALU_DEP_1) | instskip(NEXT) | instid1(VALU_DEP_3)
	v_cndmask_b32_e64 v7, 0, 1, s0
	v_lshlrev_b32_e32 v40, 30, v5
	s_delay_alu instid0(VALU_DEP_2) | instskip(NEXT) | instid1(VALU_DEP_2)
	v_cmp_ne_u32_e32 vcc_lo, 0, v7
	v_not_b32_e32 v7, v40
	s_delay_alu instid0(VALU_DEP_1) | instskip(SKIP_4) | instid1(VALU_DEP_4)
	v_dual_ashrrev_i32 v7, 31, v7 :: v_dual_bitop2_b32 v6, vcc_lo, v6 bitop3:0x14
	v_dual_lshlrev_b32 v41, 29, v5 :: v_dual_lshlrev_b32 v42, 28, v5
	v_dual_lshlrev_b32 v43, 27, v5 :: v_dual_lshlrev_b32 v44, 26, v5
	v_lshlrev_b32_e32 v45, 25, v5
	v_cmp_gt_i32_e64 s0, 0, v40
	v_cmp_gt_i32_e64 s1, 0, v41
	v_not_b32_e32 v40, v41
	v_not_b32_e32 v41, v42
	v_lshlrev_b32_e32 v46, 24, v5
	v_cmp_gt_i32_e64 s2, 0, v42
	v_cmp_gt_i32_e64 s3, 0, v43
	v_not_b32_e32 v42, v43
	v_not_b32_e32 v43, v44
	v_dual_ashrrev_i32 v40, 31, v40 :: v_dual_ashrrev_i32 v41, 31, v41
	s_delay_alu instid0(VALU_DEP_3)
	v_dual_ashrrev_i32 v42, 31, v42 :: v_dual_bitop2_b32 v7, s0, v7 bitop3:0x14
	v_cmp_gt_i32_e64 s4, 0, v44
	v_cmp_gt_i32_e64 s5, 0, v45
	v_not_b32_e32 v44, v45
	v_not_b32_e32 v45, v46
	v_dual_ashrrev_i32 v43, 31, v43 :: v_dual_bitop2_b32 v40, s1, v40 bitop3:0x14
	v_xor_b32_e32 v41, s2, v41
	v_bitop3_b32 v6, v6, v7, exec_lo bitop3:0x80
	v_cmp_gt_i32_e64 s6, 0, v46
	v_dual_ashrrev_i32 v7, 31, v44 :: v_dual_ashrrev_i32 v44, 31, v45
	v_xor_b32_e32 v42, s3, v42
	v_xor_b32_e32 v45, s4, v43
	v_bitop3_b32 v6, v6, v41, v40 bitop3:0x80
	v_mad_u32_u24 v43, 0x44, v5, v0
	v_xor_b32_e32 v5, s5, v7
	v_xor_b32_e32 v7, s6, v44
	s_delay_alu instid0(VALU_DEP_4) | instskip(SKIP_2) | instid1(VALU_DEP_1)
	v_bitop3_b32 v6, v6, v45, v42 bitop3:0x80
	ds_load_b32 v41, v43 offset:64
	; wave barrier
	v_bitop3_b32 v5, v6, v7, v5 bitop3:0x80
	v_mbcnt_lo_u32_b32 v42, v5, 0
	v_cmp_ne_u32_e64 s0, 0, v5
	s_delay_alu instid0(VALU_DEP_2) | instskip(SKIP_1) | instid1(SALU_CYCLE_1)
	v_cmp_eq_u32_e32 vcc_lo, 0, v42
	s_and_b32 s1, s0, vcc_lo
	s_and_saveexec_b32 s0, s1
	s_cbranch_execz .LBB2404_113
; %bb.112:
	s_wait_dscnt 0x0
	v_bcnt_u32_b32 v5, v5, v41
	ds_store_b32 v43, v5 offset:64
.LBB2404_113:
	s_or_b32 exec_lo, exec_lo, s0
	v_xor_b32_e32 v40, -1, v4
	; wave barrier
	s_delay_alu instid0(VALU_DEP_1) | instskip(NEXT) | instid1(VALU_DEP_1)
	v_and_b32_e32 v4, 0xffff, v40
	v_lshrrev_b32_e32 v4, s20, v4
	s_delay_alu instid0(VALU_DEP_1) | instskip(SKIP_1) | instid1(VALU_DEP_2)
	v_bitop3_b32 v5, v4, 1, s8 bitop3:0x80
	v_and_b32_e32 v4, s8, v4
	v_add_co_u32 v5, s0, v5, -1
	s_delay_alu instid0(VALU_DEP_1) | instskip(NEXT) | instid1(VALU_DEP_3)
	v_cndmask_b32_e64 v6, 0, 1, s0
	v_lshlrev_b32_e32 v7, 30, v4
	s_delay_alu instid0(VALU_DEP_2) | instskip(NEXT) | instid1(VALU_DEP_2)
	v_cmp_ne_u32_e32 vcc_lo, 0, v6
	v_not_b32_e32 v6, v7
	s_delay_alu instid0(VALU_DEP_1) | instskip(SKIP_4) | instid1(VALU_DEP_4)
	v_dual_ashrrev_i32 v6, 31, v6 :: v_dual_bitop2_b32 v5, vcc_lo, v5 bitop3:0x14
	v_dual_lshlrev_b32 v44, 29, v4 :: v_dual_lshlrev_b32 v45, 28, v4
	v_dual_lshlrev_b32 v46, 27, v4 :: v_dual_lshlrev_b32 v47, 26, v4
	v_lshlrev_b32_e32 v48, 25, v4
	v_cmp_gt_i32_e64 s0, 0, v7
	v_cmp_gt_i32_e64 s1, 0, v44
	v_not_b32_e32 v7, v44
	v_not_b32_e32 v44, v45
	v_lshlrev_b32_e32 v49, 24, v4
	v_cmp_gt_i32_e64 s2, 0, v45
	v_cmp_gt_i32_e64 s3, 0, v46
	v_not_b32_e32 v45, v46
	v_not_b32_e32 v46, v47
	v_dual_ashrrev_i32 v7, 31, v7 :: v_dual_ashrrev_i32 v44, 31, v44
	s_delay_alu instid0(VALU_DEP_3)
	v_dual_ashrrev_i32 v45, 31, v45 :: v_dual_bitop2_b32 v6, s0, v6 bitop3:0x14
	v_cmp_gt_i32_e64 s4, 0, v47
	v_cmp_gt_i32_e64 s5, 0, v48
	v_not_b32_e32 v47, v48
	v_not_b32_e32 v48, v49
	v_dual_ashrrev_i32 v46, 31, v46 :: v_dual_bitop2_b32 v7, s1, v7 bitop3:0x14
	v_xor_b32_e32 v44, s2, v44
	v_bitop3_b32 v5, v5, v6, exec_lo bitop3:0x80
	v_cmp_gt_i32_e64 s6, 0, v49
	v_dual_ashrrev_i32 v6, 31, v47 :: v_dual_ashrrev_i32 v48, 31, v48
	v_xor_b32_e32 v45, s3, v45
	v_xor_b32_e32 v46, s4, v46
	v_bitop3_b32 v5, v5, v44, v7 bitop3:0x80
	v_mad_u32_u24 v47, 0x44, v4, v0
	v_xor_b32_e32 v4, s5, v6
	v_xor_b32_e32 v6, s6, v48
	s_delay_alu instid0(VALU_DEP_4) | instskip(SKIP_2) | instid1(VALU_DEP_1)
	v_bitop3_b32 v5, v5, v46, v45 bitop3:0x80
	ds_load_b32 v45, v47 offset:64
	; wave barrier
	v_bitop3_b32 v4, v5, v6, v4 bitop3:0x80
	v_mbcnt_lo_u32_b32 v46, v4, 0
	v_cmp_ne_u32_e64 s0, 0, v4
	s_delay_alu instid0(VALU_DEP_2) | instskip(SKIP_1) | instid1(SALU_CYCLE_1)
	v_cmp_eq_u32_e32 vcc_lo, 0, v46
	s_and_b32 s1, s0, vcc_lo
	s_and_saveexec_b32 s0, s1
	s_cbranch_execz .LBB2404_115
; %bb.114:
	s_wait_dscnt 0x0
	v_bcnt_u32_b32 v4, v4, v45
	ds_store_b32 v47, v4 offset:64
.LBB2404_115:
	s_or_b32 exec_lo, exec_lo, s0
	v_xor_b32_e32 v44, -1, v3
	; wave barrier
	s_delay_alu instid0(VALU_DEP_1) | instskip(NEXT) | instid1(VALU_DEP_1)
	v_and_b32_e32 v3, 0xffff, v44
	v_lshrrev_b32_e32 v3, s20, v3
	s_delay_alu instid0(VALU_DEP_1) | instskip(SKIP_1) | instid1(VALU_DEP_2)
	v_bitop3_b32 v4, v3, 1, s8 bitop3:0x80
	v_and_b32_e32 v3, s8, v3
	v_add_co_u32 v4, s0, v4, -1
	s_delay_alu instid0(VALU_DEP_1) | instskip(NEXT) | instid1(VALU_DEP_3)
	v_cndmask_b32_e64 v5, 0, 1, s0
	v_lshlrev_b32_e32 v6, 30, v3
	s_delay_alu instid0(VALU_DEP_2) | instskip(NEXT) | instid1(VALU_DEP_2)
	v_cmp_ne_u32_e32 vcc_lo, 0, v5
	v_not_b32_e32 v5, v6
	s_delay_alu instid0(VALU_DEP_1) | instskip(SKIP_4) | instid1(VALU_DEP_4)
	v_dual_ashrrev_i32 v5, 31, v5 :: v_dual_bitop2_b32 v4, vcc_lo, v4 bitop3:0x14
	v_dual_lshlrev_b32 v7, 29, v3 :: v_dual_lshlrev_b32 v48, 28, v3
	v_dual_lshlrev_b32 v49, 27, v3 :: v_dual_lshlrev_b32 v50, 26, v3
	v_lshlrev_b32_e32 v51, 25, v3
	v_cmp_gt_i32_e64 s0, 0, v6
	v_cmp_gt_i32_e64 s1, 0, v7
	v_not_b32_e32 v6, v7
	v_not_b32_e32 v7, v48
	v_lshlrev_b32_e32 v52, 24, v3
	v_cmp_gt_i32_e64 s2, 0, v48
	v_cmp_gt_i32_e64 s3, 0, v49
	v_not_b32_e32 v48, v49
	v_not_b32_e32 v49, v50
	v_dual_ashrrev_i32 v6, 31, v6 :: v_dual_ashrrev_i32 v7, 31, v7
	s_delay_alu instid0(VALU_DEP_3)
	v_dual_ashrrev_i32 v48, 31, v48 :: v_dual_bitop2_b32 v5, s0, v5 bitop3:0x14
	v_cmp_gt_i32_e64 s4, 0, v50
	v_cmp_gt_i32_e64 s5, 0, v51
	v_not_b32_e32 v50, v51
	v_not_b32_e32 v51, v52
	v_dual_ashrrev_i32 v49, 31, v49 :: v_dual_bitop2_b32 v6, s1, v6 bitop3:0x14
	v_xor_b32_e32 v7, s2, v7
	v_bitop3_b32 v4, v4, v5, exec_lo bitop3:0x80
	v_cmp_gt_i32_e64 s6, 0, v52
	v_dual_ashrrev_i32 v5, 31, v50 :: v_dual_ashrrev_i32 v50, 31, v51
	v_xor_b32_e32 v48, s3, v48
	v_xor_b32_e32 v49, s4, v49
	v_bitop3_b32 v4, v4, v7, v6 bitop3:0x80
	v_mad_u32_u24 v52, 0x44, v3, v0
	v_xor_b32_e32 v3, s5, v5
	v_xor_b32_e32 v5, s6, v50
	s_delay_alu instid0(VALU_DEP_4) | instskip(SKIP_2) | instid1(VALU_DEP_1)
	v_bitop3_b32 v4, v4, v49, v48 bitop3:0x80
	ds_load_b32 v48, v52 offset:64
	; wave barrier
	v_bitop3_b32 v3, v4, v5, v3 bitop3:0x80
	v_mbcnt_lo_u32_b32 v50, v3, 0
	v_cmp_ne_u32_e64 s0, 0, v3
	s_delay_alu instid0(VALU_DEP_2) | instskip(SKIP_1) | instid1(SALU_CYCLE_1)
	v_cmp_eq_u32_e32 vcc_lo, 0, v50
	s_and_b32 s1, s0, vcc_lo
	s_and_saveexec_b32 s0, s1
	s_cbranch_execz .LBB2404_117
; %bb.116:
	s_wait_dscnt 0x0
	v_bcnt_u32_b32 v3, v3, v48
	ds_store_b32 v52, v3 offset:64
.LBB2404_117:
	s_or_b32 exec_lo, exec_lo, s0
	v_xor_b32_e32 v49, -1, v2
	; wave barrier
	s_delay_alu instid0(VALU_DEP_1) | instskip(NEXT) | instid1(VALU_DEP_1)
	v_and_b32_e32 v2, 0xffff, v49
	v_lshrrev_b32_e32 v2, s20, v2
	s_delay_alu instid0(VALU_DEP_1) | instskip(SKIP_1) | instid1(VALU_DEP_2)
	v_bitop3_b32 v3, v2, 1, s8 bitop3:0x80
	v_and_b32_e32 v2, s8, v2
	v_add_co_u32 v3, s0, v3, -1
	s_delay_alu instid0(VALU_DEP_1) | instskip(NEXT) | instid1(VALU_DEP_3)
	v_cndmask_b32_e64 v4, 0, 1, s0
	v_lshlrev_b32_e32 v5, 30, v2
	s_delay_alu instid0(VALU_DEP_2) | instskip(NEXT) | instid1(VALU_DEP_2)
	v_cmp_ne_u32_e32 vcc_lo, 0, v4
	v_not_b32_e32 v4, v5
	s_delay_alu instid0(VALU_DEP_1) | instskip(SKIP_4) | instid1(VALU_DEP_4)
	v_dual_ashrrev_i32 v4, 31, v4 :: v_dual_bitop2_b32 v3, vcc_lo, v3 bitop3:0x14
	v_dual_lshlrev_b32 v6, 29, v2 :: v_dual_lshlrev_b32 v7, 28, v2
	v_dual_lshlrev_b32 v51, 27, v2 :: v_dual_lshlrev_b32 v53, 26, v2
	v_lshlrev_b32_e32 v54, 25, v2
	v_cmp_gt_i32_e64 s0, 0, v5
	v_cmp_gt_i32_e64 s1, 0, v6
	v_not_b32_e32 v5, v6
	v_not_b32_e32 v6, v7
	v_lshlrev_b32_e32 v55, 24, v2
	v_cmp_gt_i32_e64 s2, 0, v7
	v_cmp_gt_i32_e64 s3, 0, v51
	v_not_b32_e32 v7, v51
	v_not_b32_e32 v51, v53
	v_dual_ashrrev_i32 v5, 31, v5 :: v_dual_ashrrev_i32 v6, 31, v6
	s_delay_alu instid0(VALU_DEP_3)
	v_dual_ashrrev_i32 v7, 31, v7 :: v_dual_bitop2_b32 v4, s0, v4 bitop3:0x14
	v_cmp_gt_i32_e64 s4, 0, v53
	v_cmp_gt_i32_e64 s5, 0, v54
	v_not_b32_e32 v53, v54
	v_not_b32_e32 v54, v55
	v_dual_ashrrev_i32 v51, 31, v51 :: v_dual_bitop2_b32 v5, s1, v5 bitop3:0x14
	v_xor_b32_e32 v6, s2, v6
	v_bitop3_b32 v3, v3, v4, exec_lo bitop3:0x80
	v_cmp_gt_i32_e64 s6, 0, v55
	v_dual_ashrrev_i32 v4, 31, v53 :: v_dual_ashrrev_i32 v53, 31, v54
	v_xor_b32_e32 v7, s3, v7
	v_xor_b32_e32 v51, s4, v51
	v_bitop3_b32 v3, v3, v6, v5 bitop3:0x80
	v_mad_u32_u24 v57, 0x44, v2, v0
	v_xor_b32_e32 v2, s5, v4
	v_xor_b32_e32 v4, s6, v53
	s_delay_alu instid0(VALU_DEP_4) | instskip(SKIP_2) | instid1(VALU_DEP_1)
	v_bitop3_b32 v3, v3, v51, v7 bitop3:0x80
	ds_load_b32 v51, v57 offset:64
	; wave barrier
	v_bitop3_b32 v2, v3, v4, v2 bitop3:0x80
	v_mbcnt_lo_u32_b32 v54, v2, 0
	v_cmp_ne_u32_e64 s0, 0, v2
	s_delay_alu instid0(VALU_DEP_2) | instskip(SKIP_1) | instid1(SALU_CYCLE_1)
	v_cmp_eq_u32_e32 vcc_lo, 0, v54
	s_and_b32 s1, s0, vcc_lo
	s_and_saveexec_b32 s0, s1
	s_cbranch_execz .LBB2404_119
; %bb.118:
	s_wait_dscnt 0x0
	v_bcnt_u32_b32 v2, v2, v51
	ds_store_b32 v57, v2 offset:64
.LBB2404_119:
	s_or_b32 exec_lo, exec_lo, s0
	v_xor_b32_e32 v53, -1, v1
	; wave barrier
	s_delay_alu instid0(VALU_DEP_1) | instskip(NEXT) | instid1(VALU_DEP_1)
	v_and_b32_e32 v1, 0xffff, v53
	v_lshrrev_b32_e32 v1, s20, v1
	s_delay_alu instid0(VALU_DEP_1) | instskip(SKIP_1) | instid1(VALU_DEP_2)
	v_bitop3_b32 v2, v1, 1, s8 bitop3:0x80
	v_and_b32_e32 v1, s8, v1
	v_add_co_u32 v2, s0, v2, -1
	s_delay_alu instid0(VALU_DEP_1) | instskip(NEXT) | instid1(VALU_DEP_3)
	v_cndmask_b32_e64 v3, 0, 1, s0
	v_lshlrev_b32_e32 v4, 30, v1
	s_delay_alu instid0(VALU_DEP_2) | instskip(NEXT) | instid1(VALU_DEP_2)
	v_cmp_ne_u32_e32 vcc_lo, 0, v3
	v_not_b32_e32 v3, v4
	s_delay_alu instid0(VALU_DEP_1) | instskip(SKIP_4) | instid1(VALU_DEP_4)
	v_dual_ashrrev_i32 v3, 31, v3 :: v_dual_bitop2_b32 v2, vcc_lo, v2 bitop3:0x14
	v_dual_lshlrev_b32 v5, 29, v1 :: v_dual_lshlrev_b32 v6, 28, v1
	v_dual_lshlrev_b32 v7, 27, v1 :: v_dual_lshlrev_b32 v55, 26, v1
	v_lshlrev_b32_e32 v56, 25, v1
	v_cmp_gt_i32_e64 s0, 0, v4
	v_cmp_gt_i32_e64 s1, 0, v5
	v_not_b32_e32 v4, v5
	v_not_b32_e32 v5, v6
	v_lshlrev_b32_e32 v58, 24, v1
	v_cmp_gt_i32_e64 s2, 0, v6
	v_cmp_gt_i32_e64 s3, 0, v7
	v_not_b32_e32 v6, v7
	v_not_b32_e32 v7, v55
	v_dual_ashrrev_i32 v4, 31, v4 :: v_dual_ashrrev_i32 v5, 31, v5
	s_delay_alu instid0(VALU_DEP_3)
	v_dual_ashrrev_i32 v6, 31, v6 :: v_dual_bitop2_b32 v3, s0, v3 bitop3:0x14
	v_cmp_gt_i32_e64 s4, 0, v55
	v_cmp_gt_i32_e64 s5, 0, v56
	v_not_b32_e32 v55, v56
	v_not_b32_e32 v56, v58
	v_dual_ashrrev_i32 v7, 31, v7 :: v_dual_bitop2_b32 v4, s1, v4 bitop3:0x14
	v_xor_b32_e32 v5, s2, v5
	v_bitop3_b32 v2, v2, v3, exec_lo bitop3:0x80
	v_cmp_gt_i32_e64 s6, 0, v58
	v_dual_ashrrev_i32 v3, 31, v55 :: v_dual_ashrrev_i32 v55, 31, v56
	v_xor_b32_e32 v6, s3, v6
	v_xor_b32_e32 v7, s4, v7
	v_bitop3_b32 v2, v2, v5, v4 bitop3:0x80
	v_mad_u32_u24 v58, 0x44, v1, v0
	v_xor_b32_e32 v0, s5, v3
	v_xor_b32_e32 v1, s6, v55
	s_delay_alu instid0(VALU_DEP_4) | instskip(SKIP_2) | instid1(VALU_DEP_1)
	v_bitop3_b32 v2, v2, v7, v6 bitop3:0x80
	ds_load_b32 v55, v58 offset:64
	; wave barrier
	v_bitop3_b32 v0, v2, v1, v0 bitop3:0x80
	v_mbcnt_lo_u32_b32 v56, v0, 0
	v_cmp_ne_u32_e64 s0, 0, v0
	s_delay_alu instid0(VALU_DEP_2) | instskip(SKIP_1) | instid1(SALU_CYCLE_1)
	v_cmp_eq_u32_e32 vcc_lo, 0, v56
	s_and_b32 s1, s0, vcc_lo
	s_and_saveexec_b32 s0, s1
	s_cbranch_execz .LBB2404_121
; %bb.120:
	s_wait_dscnt 0x0
	v_bcnt_u32_b32 v0, v0, v55
	ds_store_b32 v58, v0 offset:64
.LBB2404_121:
	s_or_b32 exec_lo, exec_lo, s0
	; wave barrier
	s_wait_dscnt 0x0
	s_barrier_signal -1
	s_barrier_wait -1
	ds_load_2addr_b32 v[6:7], v11 offset0:16 offset1:17
	ds_load_2addr_b32 v[4:5], v11 offset0:18 offset1:19
	;; [unrolled: 1-line block ×4, first 2 shown]
	ds_load_b32 v59, v11 offset:96
	v_min_u32_e32 v15, 0x1e0, v15
	s_mov_b32 s4, exec_lo
	s_wait_dscnt 0x3
	v_add3_u32 v60, v7, v6, v4
	s_wait_dscnt 0x2
	s_delay_alu instid0(VALU_DEP_1) | instskip(SKIP_1) | instid1(VALU_DEP_1)
	v_add3_u32 v60, v60, v5, v2
	s_wait_dscnt 0x1
	v_add3_u32 v60, v60, v3, v0
	s_wait_dscnt 0x0
	s_delay_alu instid0(VALU_DEP_1) | instskip(SKIP_1) | instid1(VALU_DEP_2)
	v_add3_u32 v59, v60, v1, v59
	v_and_b32_e32 v60, 15, v14
	v_mov_b32_dpp v61, v59 row_shr:1 row_mask:0xf bank_mask:0xf
	s_delay_alu instid0(VALU_DEP_2) | instskip(NEXT) | instid1(VALU_DEP_2)
	v_cmp_eq_u32_e32 vcc_lo, 0, v60
	v_cndmask_b32_e64 v61, v61, 0, vcc_lo
	s_delay_alu instid0(VALU_DEP_1) | instskip(SKIP_3) | instid1(VALU_DEP_4)
	v_add_nc_u32_e32 v59, v61, v59
	v_cmp_lt_u32_e64 s0, 1, v60
	v_cmp_lt_u32_e64 s1, 3, v60
	;; [unrolled: 1-line block ×3, first 2 shown]
	v_mov_b32_dpp v61, v59 row_shr:2 row_mask:0xf bank_mask:0xf
	s_delay_alu instid0(VALU_DEP_1) | instskip(NEXT) | instid1(VALU_DEP_1)
	v_cndmask_b32_e64 v61, 0, v61, s0
	v_add_nc_u32_e32 v59, v59, v61
	s_delay_alu instid0(VALU_DEP_1) | instskip(NEXT) | instid1(VALU_DEP_1)
	v_mov_b32_dpp v61, v59 row_shr:4 row_mask:0xf bank_mask:0xf
	v_cndmask_b32_e64 v61, 0, v61, s1
	s_delay_alu instid0(VALU_DEP_1) | instskip(NEXT) | instid1(VALU_DEP_1)
	v_add_nc_u32_e32 v59, v59, v61
	v_mov_b32_dpp v61, v59 row_shr:8 row_mask:0xf bank_mask:0xf
	s_delay_alu instid0(VALU_DEP_1) | instskip(SKIP_1) | instid1(VALU_DEP_2)
	v_cndmask_b32_e64 v60, 0, v61, s2
	v_bfe_i32 v61, v14, 4, 1
	v_add_nc_u32_e32 v60, v59, v60
	ds_swizzle_b32 v59, v60 offset:swizzle(BROADCAST,32,15)
	s_wait_dscnt 0x0
	v_dual_lshrrev_b32 v59, 5, v12 :: v_dual_bitop2_b32 v61, v61, v59 bitop3:0x40
	s_delay_alu instid0(VALU_DEP_1) | instskip(NEXT) | instid1(VALU_DEP_1)
	v_dual_add_nc_u32 v15, v60, v61 :: v_dual_bitop2_b32 v62, 31, v15 bitop3:0x54
	v_cmpx_eq_u32_e64 v12, v62
; %bb.122:
	s_delay_alu instid0(VALU_DEP_3)
	v_lshlrev_b32_e32 v60, 2, v59
	ds_store_b32 v60, v15
; %bb.123:
	s_or_b32 exec_lo, exec_lo, s4
	s_delay_alu instid0(SALU_CYCLE_1)
	s_mov_b32 s4, exec_lo
	s_wait_dscnt 0x0
	s_barrier_signal -1
	s_barrier_wait -1
	v_cmpx_gt_u32_e32 16, v12
	s_cbranch_execz .LBB2404_125
; %bb.124:
	v_lshlrev_b32_e32 v60, 2, v12
	ds_load_b32 v61, v60
	s_wait_dscnt 0x0
	v_mov_b32_dpp v62, v61 row_shr:1 row_mask:0xf bank_mask:0xf
	s_delay_alu instid0(VALU_DEP_1) | instskip(NEXT) | instid1(VALU_DEP_1)
	v_cndmask_b32_e64 v62, v62, 0, vcc_lo
	v_add_nc_u32_e32 v61, v62, v61
	s_delay_alu instid0(VALU_DEP_1) | instskip(NEXT) | instid1(VALU_DEP_1)
	v_mov_b32_dpp v62, v61 row_shr:2 row_mask:0xf bank_mask:0xf
	v_cndmask_b32_e64 v62, 0, v62, s0
	s_delay_alu instid0(VALU_DEP_1) | instskip(NEXT) | instid1(VALU_DEP_1)
	v_add_nc_u32_e32 v61, v61, v62
	v_mov_b32_dpp v62, v61 row_shr:4 row_mask:0xf bank_mask:0xf
	s_delay_alu instid0(VALU_DEP_1) | instskip(NEXT) | instid1(VALU_DEP_1)
	v_cndmask_b32_e64 v62, 0, v62, s1
	v_add_nc_u32_e32 v61, v61, v62
	s_delay_alu instid0(VALU_DEP_1) | instskip(NEXT) | instid1(VALU_DEP_1)
	v_mov_b32_dpp v62, v61 row_shr:8 row_mask:0xf bank_mask:0xf
	v_cndmask_b32_e64 v62, 0, v62, s2
	s_delay_alu instid0(VALU_DEP_1)
	v_add_nc_u32_e32 v61, v61, v62
	ds_store_b32 v60, v61
.LBB2404_125:
	s_or_b32 exec_lo, exec_lo, s4
	v_mov_b32_e32 v60, 0
	s_mov_b32 s0, exec_lo
	s_wait_dscnt 0x0
	s_barrier_signal -1
	s_barrier_wait -1
	v_cmpx_lt_u32_e32 31, v12
; %bb.126:
	v_lshl_add_u32 v59, v59, 2, -4
	ds_load_b32 v60, v59
; %bb.127:
	s_or_b32 exec_lo, exec_lo, s0
	v_sub_co_u32 v59, vcc_lo, v14, 1
	s_wait_dscnt 0x0
	v_add_nc_u32_e32 v15, v60, v15
	s_delay_alu instid0(VALU_DEP_2) | instskip(NEXT) | instid1(VALU_DEP_1)
	v_cmp_gt_i32_e64 s0, 0, v59
	v_cndmask_b32_e64 v14, v59, v14, s0
	v_cmp_gt_u32_e64 s0, 0x100, v12
	s_delay_alu instid0(VALU_DEP_2) | instskip(SKIP_4) | instid1(VALU_DEP_2)
	v_lshlrev_b32_e32 v14, 2, v14
	ds_bpermute_b32 v14, v14, v15
	s_wait_dscnt 0x0
	v_cndmask_b32_e32 v14, v14, v60, vcc_lo
	v_cmp_ne_u32_e32 vcc_lo, 0, v12
	v_cndmask_b32_e32 v14, 0, v14, vcc_lo
	v_cmp_lt_u32_e32 vcc_lo, 0xff, v12
	s_delay_alu instid0(VALU_DEP_2) | instskip(NEXT) | instid1(VALU_DEP_1)
	v_add_nc_u32_e32 v6, v14, v6
	v_add_nc_u32_e32 v7, v6, v7
	s_delay_alu instid0(VALU_DEP_1) | instskip(NEXT) | instid1(VALU_DEP_1)
	v_add_nc_u32_e32 v4, v7, v4
	v_add_nc_u32_e32 v5, v4, v5
	s_delay_alu instid0(VALU_DEP_1) | instskip(NEXT) | instid1(VALU_DEP_1)
	;; [unrolled: 3-line block ×3, first 2 shown]
	v_add_nc_u32_e32 v0, v3, v0
	v_add_nc_u32_e32 v1, v0, v1
	ds_store_2addr_b32 v11, v14, v6 offset0:16 offset1:17
	ds_store_2addr_b32 v11, v7, v4 offset0:18 offset1:19
	;; [unrolled: 1-line block ×4, first 2 shown]
	ds_store_b32 v11, v1 offset:96
	s_wait_dscnt 0x0
	s_barrier_signal -1
	s_barrier_wait -1
	ds_load_b32 v59, v13 offset:64
	ds_load_b32 v60, v19 offset:64
	ds_load_b32 v19, v23 offset:64
	ds_load_b32 v15, v27 offset:64
	ds_load_b32 v14, v31 offset:64
	ds_load_b32 v13, v35 offset:64
	ds_load_b32 v11, v39 offset:64
	ds_load_b32 v7, v43 offset:64
	ds_load_b32 v6, v47 offset:64
	ds_load_b32 v5, v52 offset:64
	ds_load_b32 v4, v57 offset:64
	ds_load_b32 v3, v58 offset:64
	v_mov_b64_e32 v[0:1], 0
                                        ; implicit-def: $vgpr2
	s_and_saveexec_b32 s2, s0
	s_cbranch_execz .LBB2404_131
; %bb.128:
	v_mul_u32_u24_e32 v0, 0x44, v12
	v_dual_mov_b32 v1, 0x1800 :: v_dual_add_nc_u32 v2, 1, v12
	s_mov_b32 s3, exec_lo
	ds_load_b32 v0, v0 offset:64
	v_cmpx_ne_u32_e32 0x100, v2
; %bb.129:
	v_mul_u32_u24_e32 v1, 0x44, v2
	ds_load_b32 v1, v1 offset:64
; %bb.130:
	s_or_b32 exec_lo, exec_lo, s3
	s_wait_dscnt 0x0
	v_dual_mov_b32 v1, 0 :: v_dual_sub_nc_u32 v2, v1, v0
.LBB2404_131:
	s_or_b32 exec_lo, exec_lo, s2
	s_wait_dscnt 0xa
	v_dual_lshlrev_b32 v9, 1, v9 :: v_dual_lshlrev_b32 v23, 1, v60
	v_dual_lshlrev_b32 v18, 1, v18 :: v_dual_lshlrev_b32 v17, 1, v17
	v_lshlrev_b32_e32 v21, 1, v21
	s_delay_alu instid0(VALU_DEP_3)
	v_lshl_add_u32 v9, v59, 1, v9
	s_wait_dscnt 0x0
	s_barrier_signal -1
	v_add3_u32 v17, v23, v18, v17
	v_dual_lshlrev_b32 v18, 1, v19 :: v_dual_lshlrev_b32 v19, 1, v22
	s_barrier_wait -1
	ds_store_b16 v9, v8 offset:2048
	ds_store_b16 v17, v10 offset:2048
	v_lshlrev_b32_e32 v9, 1, v15
	v_add3_u32 v8, v18, v19, v21
	v_dual_lshlrev_b32 v10, 1, v26 :: v_dual_lshlrev_b32 v15, 1, v25
	v_dual_lshlrev_b32 v14, 1, v14 :: v_dual_lshlrev_b32 v18, 1, v28
	;; [unrolled: 1-line block ×6, first 2 shown]
	ds_store_b16 v8, v16 offset:2048
	v_add3_u32 v8, v9, v10, v15
	v_add3_u32 v9, v14, v17, v18
	;; [unrolled: 1-line block ×3, first 2 shown]
	v_dual_lshlrev_b32 v13, 1, v42 :: v_dual_lshlrev_b32 v14, 1, v41
	v_add3_u32 v11, v11, v22, v23
	ds_store_b16 v8, v20 offset:2048
	ds_store_b16 v9, v24 offset:2048
	;; [unrolled: 1-line block ×4, first 2 shown]
	v_dual_lshlrev_b32 v6, 1, v6 :: v_dual_lshlrev_b32 v9, 1, v45
	v_add3_u32 v7, v7, v13, v14
	v_dual_lshlrev_b32 v8, 1, v46 :: v_dual_lshlrev_b32 v5, 1, v5
	v_dual_lshlrev_b32 v10, 1, v50 :: v_dual_lshlrev_b32 v11, 1, v48
	;; [unrolled: 1-line block ×3, first 2 shown]
	v_lshlrev_b32_e32 v3, 1, v3
	v_dual_lshlrev_b32 v16, 1, v55 :: v_dual_lshlrev_b32 v4, 1, v4
	v_lshlrev_b32_e32 v13, 1, v54
	ds_store_b16 v7, v36 offset:2048
	v_add3_u32 v6, v6, v8, v9
	v_add3_u32 v7, v5, v10, v11
	v_mov_b32_e32 v5, 0
	v_add3_u32 v8, v3, v15, v16
	v_lshlrev_b32_e32 v3, 3, v12
	v_add3_u32 v4, v4, v13, v14
	ds_store_b16 v6, v40 offset:2048
	ds_store_b16 v7, v44 offset:2048
	;; [unrolled: 1-line block ×4, first 2 shown]
	s_and_saveexec_b32 s1, s0
	s_cbranch_execz .LBB2404_141
; %bb.132:
	v_lshl_add_u32 v4, s9, 8, v12
	v_dual_mov_b32 v8, 0 :: v_dual_bitop2_b32 v9, 2.0, v2 bitop3:0x54
	s_mov_b32 s2, 0
	s_mov_b32 s3, s9
	s_delay_alu instid0(VALU_DEP_2)
	v_lshl_add_u64 v[6:7], v[4:5], 2, s[10:11]
	global_store_b32 v4, v9, s[10:11] scale_offset scope:SCOPE_DEV
                                        ; implicit-def: $sgpr0
	s_branch .LBB2404_135
.LBB2404_133:                           ;   in Loop: Header=BB2404_135 Depth=1
	s_or_b32 exec_lo, exec_lo, s5
.LBB2404_134:                           ;   in Loop: Header=BB2404_135 Depth=1
	s_delay_alu instid0(SALU_CYCLE_1) | instskip(SKIP_2) | instid1(VALU_DEP_2)
	s_or_b32 exec_lo, exec_lo, s4
	v_and_b32_e32 v4, 0x3fffffff, v9
	v_cmp_gt_i32_e64 s0, -2.0, v9
	v_add_nc_u32_e32 v8, v4, v8
	s_and_b32 s4, exec_lo, s0
	s_delay_alu instid0(SALU_CYCLE_1) | instskip(NEXT) | instid1(SALU_CYCLE_1)
	s_or_b32 s2, s4, s2
	s_and_not1_b32 exec_lo, exec_lo, s2
	s_cbranch_execz .LBB2404_140
.LBB2404_135:                           ; =>This Loop Header: Depth=1
                                        ;     Child Loop BB2404_138 Depth 2
	s_or_b32 s0, s0, exec_lo
	s_cmp_eq_u32 s3, 0
	s_cbranch_scc1 .LBB2404_139
; %bb.136:                              ;   in Loop: Header=BB2404_135 Depth=1
	s_add_co_i32 s3, s3, -1
	s_mov_b32 s4, exec_lo
	s_wait_xcnt 0x0
	v_lshl_or_b32 v4, s3, 8, v12
	global_load_b32 v9, v4, s[10:11] scale_offset scope:SCOPE_DEV
	s_wait_loadcnt 0x0
	v_cmpx_gt_u32_e32 2.0, v9
	s_cbranch_execz .LBB2404_134
; %bb.137:                              ;   in Loop: Header=BB2404_135 Depth=1
	v_lshl_add_u64 v[10:11], v[4:5], 2, s[10:11]
	s_mov_b32 s5, 0
.LBB2404_138:                           ;   Parent Loop BB2404_135 Depth=1
                                        ; =>  This Inner Loop Header: Depth=2
	global_load_b32 v9, v[10:11], off scope:SCOPE_DEV
	s_wait_loadcnt 0x0
	v_cmp_lt_u32_e64 s0, 0x3fffffff, v9
	s_or_b32 s5, s0, s5
	s_wait_xcnt 0x0
	s_and_not1_b32 exec_lo, exec_lo, s5
	s_cbranch_execnz .LBB2404_138
	s_branch .LBB2404_133
.LBB2404_139:                           ;   in Loop: Header=BB2404_135 Depth=1
                                        ; implicit-def: $sgpr3
	s_and_b32 s4, exec_lo, s0
	s_delay_alu instid0(SALU_CYCLE_1)
	s_or_b32 s2, s4, s2
	s_wait_xcnt 0x0
	s_and_not1_b32 exec_lo, exec_lo, s2
	s_cbranch_execnz .LBB2404_135
.LBB2404_140:
	s_or_b32 exec_lo, exec_lo, s2
	v_dual_mov_b32 v9, 0 :: v_dual_add_nc_u32 v4, v8, v2
	s_delay_alu instid0(VALU_DEP_1) | instskip(SKIP_4) | instid1(VALU_DEP_1)
	v_or_b32_e32 v4, 0x80000000, v4
	global_store_b32 v[6:7], v4, off scope:SCOPE_DEV
	global_load_b64 v[4:5], v12, s[12:13] scale_offset
	v_sub_nc_u64_e32 v[6:7], v[8:9], v[0:1]
	s_wait_loadcnt 0x0
	v_add_nc_u64_e32 v[4:5], v[6:7], v[4:5]
	ds_store_b64 v3, v[4:5]
.LBB2404_141:
	s_wait_xcnt 0x0
	s_or_b32 exec_lo, exec_lo, s1
	v_mad_i32_i24 v13, v12, -6, v3
	s_wait_storecnt_dscnt 0x0
	s_barrier_signal -1
	s_barrier_wait -1
	ds_load_u16 v6, v13 offset:2048
	ds_load_u16 v7, v13 offset:3072
	;; [unrolled: 1-line block ×8, first 2 shown]
	v_dual_mov_b32 v5, 0 :: v_dual_lshlrev_b32 v4, 1, v12
	s_add_co_i32 s7, s7, -1
	s_delay_alu instid0(SALU_CYCLE_1) | instskip(SKIP_2) | instid1(SALU_CYCLE_1)
	s_cmp_eq_u32 s9, s7
	s_cselect_b32 s0, -1, 0
	s_xor_b32 s1, vcc_lo, -1
	s_and_b32 s0, s1, s0
	s_wait_dscnt 0x7
	v_and_b32_e32 v10, 0xffff, v6
	v_xor_b32_e32 v20, -1, v6
	s_wait_dscnt 0x6
	v_and_b32_e32 v6, 0xffff, v7
	v_xor_b32_e32 v21, -1, v7
	;; [unrolled: 3-line block ×4, first 2 shown]
	s_wait_dscnt 0x3
	v_and_b32_e32 v9, 0xffff, v22
	v_lshrrev_b32_e32 v10, s20, v10
	v_dual_lshrrev_b32 v6, s20, v6 :: v_dual_lshrrev_b32 v7, s20, v7
	s_wait_dscnt 0x2
	v_and_b32_e32 v11, 0xffff, v24
	v_dual_lshrrev_b32 v8, s20, v8 :: v_dual_lshrrev_b32 v16, s20, v9
	v_and_b32_e32 v9, s8, v10
	s_delay_alu instid0(VALU_DEP_3)
	v_dual_lshrrev_b32 v17, s20, v11 :: v_dual_bitop2_b32 v6, s8, v6 bitop3:0x40
	v_and_b32_e32 v7, s8, v7
	s_wait_dscnt 0x1
	v_and_b32_e32 v14, 0xffff, v26
	s_wait_dscnt 0x0
	v_and_b32_e32 v15, 0xffff, v27
	v_dual_lshlrev_b32 v8, 3, v9 :: v_dual_bitop2_b32 v18, s8, v8 bitop3:0x40
	v_dual_lshlrev_b32 v9, 3, v6 :: v_dual_lshlrev_b32 v10, 3, v7
	v_lshrrev_b32_e32 v14, s20, v14
	ds_load_u16 v29, v13 offset:10240
	ds_load_u16 v30, v13 offset:11264
	;; [unrolled: 1-line block ×3, first 2 shown]
	ds_load_b64 v[6:7], v8
	ds_load_b64 v[8:9], v9
	;; [unrolled: 1-line block ×3, first 2 shown]
	v_dual_lshrrev_b32 v15, s20, v15 :: v_dual_bitop2_b32 v16, s8, v16 bitop3:0x40
	v_dual_lshlrev_b32 v18, 3, v18 :: v_dual_bitop2_b32 v17, s8, v17 bitop3:0x40
	v_and_b32_e32 v19, s8, v14
	s_delay_alu instid0(VALU_DEP_3)
	v_dual_lshlrev_b32 v16, 3, v16 :: v_dual_bitop2_b32 v25, s8, v15 bitop3:0x40
	ds_load_b64 v[14:15], v18
	v_dual_lshlrev_b32 v18, 3, v17 :: v_dual_lshlrev_b32 v32, 3, v19
	v_lshlrev_b32_e32 v25, 3, v25
	ds_load_u16 v13, v13 offset:13312
	ds_load_b64 v[16:17], v16
	ds_load_b64 v[18:19], v18
	s_wait_dscnt 0x9
	v_and_b32_e32 v33, 0xffff, v29
	s_wait_dscnt 0x8
	v_and_b32_e32 v34, 0xffff, v30
	;; [unrolled: 2-line block ×3, first 2 shown]
	s_wait_dscnt 0x6
	v_lshl_add_u64 v[6:7], v[6:7], 1, s[18:19]
	s_wait_dscnt 0x5
	v_lshl_add_u64 v[8:9], v[8:9], 1, s[18:19]
	s_wait_dscnt 0x4
	v_lshl_add_u64 v[10:11], v[10:11], 1, s[18:19]
	v_dual_lshrrev_b32 v33, s20, v33 :: v_dual_lshrrev_b32 v34, s20, v34
	v_add_nc_u64_e32 v[6:7], v[6:7], v[4:5]
	v_add_nc_u64_e32 v[8:9], v[8:9], v[4:5]
	s_delay_alu instid0(VALU_DEP_4) | instskip(NEXT) | instid1(VALU_DEP_4)
	v_add_nc_u64_e32 v[10:11], v[10:11], v[4:5]
	v_and_b32_e32 v33, s8, v33
	s_clause 0x2
	global_store_b16 v[6:7], v20, off
	global_store_b16 v[8:9], v21, off offset:1024
	global_store_b16 v[10:11], v23, off offset:2048
	s_wait_dscnt 0x2
	s_wait_xcnt 0x0
	v_and_b32_e32 v10, 0xffff, v13
	v_dual_lshrrev_b32 v21, s20, v35 :: v_dual_bitop2_b32 v34, s8, v34 bitop3:0x40
	v_lshlrev_b32_e32 v20, 3, v33
	ds_load_b64 v[6:7], v32
	ds_load_b64 v[8:9], v25
	v_lshrrev_b32_e32 v25, s20, v10
	s_wait_dscnt 0x3
	v_lshl_add_u64 v[10:11], v[16:17], 1, s[18:19]
	v_dual_lshlrev_b32 v23, 3, v34 :: v_dual_bitop2_b32 v32, s8, v21 bitop3:0x40
	ds_load_b64 v[16:17], v20
	v_xor_b32_e32 v33, -1, v22
	v_xor_b32_e32 v34, -1, v24
	ds_load_b64 v[20:21], v23
	v_dual_lshlrev_b32 v25, 3, v32 :: v_dual_bitop2_b32 v23, s8, v25 bitop3:0x40
	v_lshl_add_u64 v[14:15], v[14:15], 1, s[18:19]
	s_wait_dscnt 0x4
	v_lshl_add_u64 v[18:19], v[18:19], 1, s[18:19]
	v_add_nc_u64_e32 v[10:11], v[10:11], v[4:5]
	v_lshlrev_b32_e32 v32, 3, v23
	ds_load_b64 v[22:23], v25
	v_add_nc_u64_e32 v[14:15], v[14:15], v[4:5]
	v_add_nc_u64_e32 v[18:19], v[18:19], v[4:5]
	ds_load_b64 v[24:25], v32
	s_wait_dscnt 0x5
	v_lshl_add_u64 v[6:7], v[6:7], 1, s[18:19]
	s_wait_dscnt 0x4
	v_lshl_add_u64 v[8:9], v[8:9], 1, s[18:19]
	s_clause 0x2
	global_store_b16 v[14:15], v28, off offset:3072
	global_store_b16 v[10:11], v33, off offset:4096
	global_store_b16 v[18:19], v34, off offset:5120
	v_add_nc_u64_e32 v[6:7], v[6:7], v[4:5]
	v_add_nc_u64_e32 v[8:9], v[8:9], v[4:5]
	s_wait_xcnt 0x0
	v_xor_b32_e32 v18, -1, v26
	s_wait_dscnt 0x3
	v_lshl_add_u64 v[10:11], v[16:17], 1, s[18:19]
	v_xor_b32_e32 v16, -1, v27
	s_wait_dscnt 0x2
	v_lshl_add_u64 v[14:15], v[20:21], 1, s[18:19]
	v_xor_b32_e32 v17, -1, v29
	global_store_b16 v[6:7], v18, off offset:6144
	v_add_nc_u64_e32 v[10:11], v[10:11], v[4:5]
	global_store_b16 v[8:9], v16, off offset:7168
	s_wait_dscnt 0x1
	s_wait_xcnt 0x1
	v_lshl_add_u64 v[6:7], v[22:23], 1, s[18:19]
	v_add_nc_u64_e32 v[14:15], v[14:15], v[4:5]
	v_xor_b32_e32 v18, -1, v30
	s_wait_dscnt 0x0
	s_wait_xcnt 0x0
	v_lshl_add_u64 v[8:9], v[24:25], 1, s[18:19]
	v_add_nc_u64_e32 v[6:7], v[6:7], v[4:5]
	global_store_b16 v[10:11], v17, off offset:8192
	s_wait_xcnt 0x0
	v_xor_b32_e32 v10, -1, v31
	global_store_b16 v[14:15], v18, off offset:9216
	v_add_nc_u64_e32 v[8:9], v[8:9], v[4:5]
	v_xor_b32_e32 v4, -1, v13
	s_clause 0x1
	global_store_b16 v[6:7], v10, off offset:10240
	global_store_b16 v[8:9], v4, off offset:11264
	s_wait_xcnt 0x0
	s_and_saveexec_b32 s1, s0
	s_cbranch_execz .LBB2404_143
; %bb.142:
	ds_load_b64 v[6:7], v3
	v_mov_b32_e32 v3, v5
	s_delay_alu instid0(VALU_DEP_1) | instskip(SKIP_1) | instid1(VALU_DEP_1)
	v_add_nc_u64_e32 v[0:1], v[0:1], v[2:3]
	s_wait_dscnt 0x0
	v_add_nc_u64_e32 v[0:1], v[0:1], v[6:7]
	global_store_b64 v12, v[0:1], s[14:15] scale_offset
.LBB2404_143:
	s_sendmsg sendmsg(MSG_DEALLOC_VGPRS)
	s_endpgm
	.section	.rodata,"a",@progbits
	.p2align	6, 0x0
	.amdhsa_kernel _ZN7rocprim17ROCPRIM_400000_NS6detail17trampoline_kernelINS0_14default_configENS1_35radix_sort_onesweep_config_selectorItNS0_10empty_typeEEEZZNS1_29radix_sort_onesweep_iterationIS3_Lb1EPKtPtPS5_SB_mNS0_19identity_decomposerENS1_16block_id_wrapperIjLb0EEEEE10hipError_tT1_PNSt15iterator_traitsISG_E10value_typeET2_T3_PNSH_ISM_E10value_typeET4_T5_PSR_SS_PNS1_23onesweep_lookback_stateEbbT6_jjT7_P12ihipStream_tbENKUlT_T0_SG_SL_E_clIS9_SA_SB_SB_EEDaSZ_S10_SG_SL_EUlSZ_E_NS1_11comp_targetILNS1_3genE0ELNS1_11target_archE4294967295ELNS1_3gpuE0ELNS1_3repE0EEENS1_47radix_sort_onesweep_sort_config_static_selectorELNS0_4arch9wavefront6targetE0EEEvSG_
		.amdhsa_group_segment_fixed_size 18504
		.amdhsa_private_segment_fixed_size 0
		.amdhsa_kernarg_size 344
		.amdhsa_user_sgpr_count 2
		.amdhsa_user_sgpr_dispatch_ptr 0
		.amdhsa_user_sgpr_queue_ptr 0
		.amdhsa_user_sgpr_kernarg_segment_ptr 1
		.amdhsa_user_sgpr_dispatch_id 0
		.amdhsa_user_sgpr_kernarg_preload_length 0
		.amdhsa_user_sgpr_kernarg_preload_offset 0
		.amdhsa_user_sgpr_private_segment_size 0
		.amdhsa_wavefront_size32 1
		.amdhsa_uses_dynamic_stack 0
		.amdhsa_enable_private_segment 0
		.amdhsa_system_sgpr_workgroup_id_x 1
		.amdhsa_system_sgpr_workgroup_id_y 0
		.amdhsa_system_sgpr_workgroup_id_z 0
		.amdhsa_system_sgpr_workgroup_info 0
		.amdhsa_system_vgpr_workitem_id 2
		.amdhsa_next_free_vgpr 65
		.amdhsa_next_free_sgpr 29
		.amdhsa_named_barrier_count 0
		.amdhsa_reserve_vcc 1
		.amdhsa_float_round_mode_32 0
		.amdhsa_float_round_mode_16_64 0
		.amdhsa_float_denorm_mode_32 3
		.amdhsa_float_denorm_mode_16_64 3
		.amdhsa_fp16_overflow 0
		.amdhsa_memory_ordered 1
		.amdhsa_forward_progress 1
		.amdhsa_inst_pref_size 133
		.amdhsa_round_robin_scheduling 0
		.amdhsa_exception_fp_ieee_invalid_op 0
		.amdhsa_exception_fp_denorm_src 0
		.amdhsa_exception_fp_ieee_div_zero 0
		.amdhsa_exception_fp_ieee_overflow 0
		.amdhsa_exception_fp_ieee_underflow 0
		.amdhsa_exception_fp_ieee_inexact 0
		.amdhsa_exception_int_div_zero 0
	.end_amdhsa_kernel
	.section	.text._ZN7rocprim17ROCPRIM_400000_NS6detail17trampoline_kernelINS0_14default_configENS1_35radix_sort_onesweep_config_selectorItNS0_10empty_typeEEEZZNS1_29radix_sort_onesweep_iterationIS3_Lb1EPKtPtPS5_SB_mNS0_19identity_decomposerENS1_16block_id_wrapperIjLb0EEEEE10hipError_tT1_PNSt15iterator_traitsISG_E10value_typeET2_T3_PNSH_ISM_E10value_typeET4_T5_PSR_SS_PNS1_23onesweep_lookback_stateEbbT6_jjT7_P12ihipStream_tbENKUlT_T0_SG_SL_E_clIS9_SA_SB_SB_EEDaSZ_S10_SG_SL_EUlSZ_E_NS1_11comp_targetILNS1_3genE0ELNS1_11target_archE4294967295ELNS1_3gpuE0ELNS1_3repE0EEENS1_47radix_sort_onesweep_sort_config_static_selectorELNS0_4arch9wavefront6targetE0EEEvSG_,"axG",@progbits,_ZN7rocprim17ROCPRIM_400000_NS6detail17trampoline_kernelINS0_14default_configENS1_35radix_sort_onesweep_config_selectorItNS0_10empty_typeEEEZZNS1_29radix_sort_onesweep_iterationIS3_Lb1EPKtPtPS5_SB_mNS0_19identity_decomposerENS1_16block_id_wrapperIjLb0EEEEE10hipError_tT1_PNSt15iterator_traitsISG_E10value_typeET2_T3_PNSH_ISM_E10value_typeET4_T5_PSR_SS_PNS1_23onesweep_lookback_stateEbbT6_jjT7_P12ihipStream_tbENKUlT_T0_SG_SL_E_clIS9_SA_SB_SB_EEDaSZ_S10_SG_SL_EUlSZ_E_NS1_11comp_targetILNS1_3genE0ELNS1_11target_archE4294967295ELNS1_3gpuE0ELNS1_3repE0EEENS1_47radix_sort_onesweep_sort_config_static_selectorELNS0_4arch9wavefront6targetE0EEEvSG_,comdat
.Lfunc_end2404:
	.size	_ZN7rocprim17ROCPRIM_400000_NS6detail17trampoline_kernelINS0_14default_configENS1_35radix_sort_onesweep_config_selectorItNS0_10empty_typeEEEZZNS1_29radix_sort_onesweep_iterationIS3_Lb1EPKtPtPS5_SB_mNS0_19identity_decomposerENS1_16block_id_wrapperIjLb0EEEEE10hipError_tT1_PNSt15iterator_traitsISG_E10value_typeET2_T3_PNSH_ISM_E10value_typeET4_T5_PSR_SS_PNS1_23onesweep_lookback_stateEbbT6_jjT7_P12ihipStream_tbENKUlT_T0_SG_SL_E_clIS9_SA_SB_SB_EEDaSZ_S10_SG_SL_EUlSZ_E_NS1_11comp_targetILNS1_3genE0ELNS1_11target_archE4294967295ELNS1_3gpuE0ELNS1_3repE0EEENS1_47radix_sort_onesweep_sort_config_static_selectorELNS0_4arch9wavefront6targetE0EEEvSG_, .Lfunc_end2404-_ZN7rocprim17ROCPRIM_400000_NS6detail17trampoline_kernelINS0_14default_configENS1_35radix_sort_onesweep_config_selectorItNS0_10empty_typeEEEZZNS1_29radix_sort_onesweep_iterationIS3_Lb1EPKtPtPS5_SB_mNS0_19identity_decomposerENS1_16block_id_wrapperIjLb0EEEEE10hipError_tT1_PNSt15iterator_traitsISG_E10value_typeET2_T3_PNSH_ISM_E10value_typeET4_T5_PSR_SS_PNS1_23onesweep_lookback_stateEbbT6_jjT7_P12ihipStream_tbENKUlT_T0_SG_SL_E_clIS9_SA_SB_SB_EEDaSZ_S10_SG_SL_EUlSZ_E_NS1_11comp_targetILNS1_3genE0ELNS1_11target_archE4294967295ELNS1_3gpuE0ELNS1_3repE0EEENS1_47radix_sort_onesweep_sort_config_static_selectorELNS0_4arch9wavefront6targetE0EEEvSG_
                                        ; -- End function
	.set _ZN7rocprim17ROCPRIM_400000_NS6detail17trampoline_kernelINS0_14default_configENS1_35radix_sort_onesweep_config_selectorItNS0_10empty_typeEEEZZNS1_29radix_sort_onesweep_iterationIS3_Lb1EPKtPtPS5_SB_mNS0_19identity_decomposerENS1_16block_id_wrapperIjLb0EEEEE10hipError_tT1_PNSt15iterator_traitsISG_E10value_typeET2_T3_PNSH_ISM_E10value_typeET4_T5_PSR_SS_PNS1_23onesweep_lookback_stateEbbT6_jjT7_P12ihipStream_tbENKUlT_T0_SG_SL_E_clIS9_SA_SB_SB_EEDaSZ_S10_SG_SL_EUlSZ_E_NS1_11comp_targetILNS1_3genE0ELNS1_11target_archE4294967295ELNS1_3gpuE0ELNS1_3repE0EEENS1_47radix_sort_onesweep_sort_config_static_selectorELNS0_4arch9wavefront6targetE0EEEvSG_.num_vgpr, 65
	.set _ZN7rocprim17ROCPRIM_400000_NS6detail17trampoline_kernelINS0_14default_configENS1_35radix_sort_onesweep_config_selectorItNS0_10empty_typeEEEZZNS1_29radix_sort_onesweep_iterationIS3_Lb1EPKtPtPS5_SB_mNS0_19identity_decomposerENS1_16block_id_wrapperIjLb0EEEEE10hipError_tT1_PNSt15iterator_traitsISG_E10value_typeET2_T3_PNSH_ISM_E10value_typeET4_T5_PSR_SS_PNS1_23onesweep_lookback_stateEbbT6_jjT7_P12ihipStream_tbENKUlT_T0_SG_SL_E_clIS9_SA_SB_SB_EEDaSZ_S10_SG_SL_EUlSZ_E_NS1_11comp_targetILNS1_3genE0ELNS1_11target_archE4294967295ELNS1_3gpuE0ELNS1_3repE0EEENS1_47radix_sort_onesweep_sort_config_static_selectorELNS0_4arch9wavefront6targetE0EEEvSG_.num_agpr, 0
	.set _ZN7rocprim17ROCPRIM_400000_NS6detail17trampoline_kernelINS0_14default_configENS1_35radix_sort_onesweep_config_selectorItNS0_10empty_typeEEEZZNS1_29radix_sort_onesweep_iterationIS3_Lb1EPKtPtPS5_SB_mNS0_19identity_decomposerENS1_16block_id_wrapperIjLb0EEEEE10hipError_tT1_PNSt15iterator_traitsISG_E10value_typeET2_T3_PNSH_ISM_E10value_typeET4_T5_PSR_SS_PNS1_23onesweep_lookback_stateEbbT6_jjT7_P12ihipStream_tbENKUlT_T0_SG_SL_E_clIS9_SA_SB_SB_EEDaSZ_S10_SG_SL_EUlSZ_E_NS1_11comp_targetILNS1_3genE0ELNS1_11target_archE4294967295ELNS1_3gpuE0ELNS1_3repE0EEENS1_47radix_sort_onesweep_sort_config_static_selectorELNS0_4arch9wavefront6targetE0EEEvSG_.numbered_sgpr, 29
	.set _ZN7rocprim17ROCPRIM_400000_NS6detail17trampoline_kernelINS0_14default_configENS1_35radix_sort_onesweep_config_selectorItNS0_10empty_typeEEEZZNS1_29radix_sort_onesweep_iterationIS3_Lb1EPKtPtPS5_SB_mNS0_19identity_decomposerENS1_16block_id_wrapperIjLb0EEEEE10hipError_tT1_PNSt15iterator_traitsISG_E10value_typeET2_T3_PNSH_ISM_E10value_typeET4_T5_PSR_SS_PNS1_23onesweep_lookback_stateEbbT6_jjT7_P12ihipStream_tbENKUlT_T0_SG_SL_E_clIS9_SA_SB_SB_EEDaSZ_S10_SG_SL_EUlSZ_E_NS1_11comp_targetILNS1_3genE0ELNS1_11target_archE4294967295ELNS1_3gpuE0ELNS1_3repE0EEENS1_47radix_sort_onesweep_sort_config_static_selectorELNS0_4arch9wavefront6targetE0EEEvSG_.num_named_barrier, 0
	.set _ZN7rocprim17ROCPRIM_400000_NS6detail17trampoline_kernelINS0_14default_configENS1_35radix_sort_onesweep_config_selectorItNS0_10empty_typeEEEZZNS1_29radix_sort_onesweep_iterationIS3_Lb1EPKtPtPS5_SB_mNS0_19identity_decomposerENS1_16block_id_wrapperIjLb0EEEEE10hipError_tT1_PNSt15iterator_traitsISG_E10value_typeET2_T3_PNSH_ISM_E10value_typeET4_T5_PSR_SS_PNS1_23onesweep_lookback_stateEbbT6_jjT7_P12ihipStream_tbENKUlT_T0_SG_SL_E_clIS9_SA_SB_SB_EEDaSZ_S10_SG_SL_EUlSZ_E_NS1_11comp_targetILNS1_3genE0ELNS1_11target_archE4294967295ELNS1_3gpuE0ELNS1_3repE0EEENS1_47radix_sort_onesweep_sort_config_static_selectorELNS0_4arch9wavefront6targetE0EEEvSG_.private_seg_size, 0
	.set _ZN7rocprim17ROCPRIM_400000_NS6detail17trampoline_kernelINS0_14default_configENS1_35radix_sort_onesweep_config_selectorItNS0_10empty_typeEEEZZNS1_29radix_sort_onesweep_iterationIS3_Lb1EPKtPtPS5_SB_mNS0_19identity_decomposerENS1_16block_id_wrapperIjLb0EEEEE10hipError_tT1_PNSt15iterator_traitsISG_E10value_typeET2_T3_PNSH_ISM_E10value_typeET4_T5_PSR_SS_PNS1_23onesweep_lookback_stateEbbT6_jjT7_P12ihipStream_tbENKUlT_T0_SG_SL_E_clIS9_SA_SB_SB_EEDaSZ_S10_SG_SL_EUlSZ_E_NS1_11comp_targetILNS1_3genE0ELNS1_11target_archE4294967295ELNS1_3gpuE0ELNS1_3repE0EEENS1_47radix_sort_onesweep_sort_config_static_selectorELNS0_4arch9wavefront6targetE0EEEvSG_.uses_vcc, 1
	.set _ZN7rocprim17ROCPRIM_400000_NS6detail17trampoline_kernelINS0_14default_configENS1_35radix_sort_onesweep_config_selectorItNS0_10empty_typeEEEZZNS1_29radix_sort_onesweep_iterationIS3_Lb1EPKtPtPS5_SB_mNS0_19identity_decomposerENS1_16block_id_wrapperIjLb0EEEEE10hipError_tT1_PNSt15iterator_traitsISG_E10value_typeET2_T3_PNSH_ISM_E10value_typeET4_T5_PSR_SS_PNS1_23onesweep_lookback_stateEbbT6_jjT7_P12ihipStream_tbENKUlT_T0_SG_SL_E_clIS9_SA_SB_SB_EEDaSZ_S10_SG_SL_EUlSZ_E_NS1_11comp_targetILNS1_3genE0ELNS1_11target_archE4294967295ELNS1_3gpuE0ELNS1_3repE0EEENS1_47radix_sort_onesweep_sort_config_static_selectorELNS0_4arch9wavefront6targetE0EEEvSG_.uses_flat_scratch, 0
	.set _ZN7rocprim17ROCPRIM_400000_NS6detail17trampoline_kernelINS0_14default_configENS1_35radix_sort_onesweep_config_selectorItNS0_10empty_typeEEEZZNS1_29radix_sort_onesweep_iterationIS3_Lb1EPKtPtPS5_SB_mNS0_19identity_decomposerENS1_16block_id_wrapperIjLb0EEEEE10hipError_tT1_PNSt15iterator_traitsISG_E10value_typeET2_T3_PNSH_ISM_E10value_typeET4_T5_PSR_SS_PNS1_23onesweep_lookback_stateEbbT6_jjT7_P12ihipStream_tbENKUlT_T0_SG_SL_E_clIS9_SA_SB_SB_EEDaSZ_S10_SG_SL_EUlSZ_E_NS1_11comp_targetILNS1_3genE0ELNS1_11target_archE4294967295ELNS1_3gpuE0ELNS1_3repE0EEENS1_47radix_sort_onesweep_sort_config_static_selectorELNS0_4arch9wavefront6targetE0EEEvSG_.has_dyn_sized_stack, 0
	.set _ZN7rocprim17ROCPRIM_400000_NS6detail17trampoline_kernelINS0_14default_configENS1_35radix_sort_onesweep_config_selectorItNS0_10empty_typeEEEZZNS1_29radix_sort_onesweep_iterationIS3_Lb1EPKtPtPS5_SB_mNS0_19identity_decomposerENS1_16block_id_wrapperIjLb0EEEEE10hipError_tT1_PNSt15iterator_traitsISG_E10value_typeET2_T3_PNSH_ISM_E10value_typeET4_T5_PSR_SS_PNS1_23onesweep_lookback_stateEbbT6_jjT7_P12ihipStream_tbENKUlT_T0_SG_SL_E_clIS9_SA_SB_SB_EEDaSZ_S10_SG_SL_EUlSZ_E_NS1_11comp_targetILNS1_3genE0ELNS1_11target_archE4294967295ELNS1_3gpuE0ELNS1_3repE0EEENS1_47radix_sort_onesweep_sort_config_static_selectorELNS0_4arch9wavefront6targetE0EEEvSG_.has_recursion, 0
	.set _ZN7rocprim17ROCPRIM_400000_NS6detail17trampoline_kernelINS0_14default_configENS1_35radix_sort_onesweep_config_selectorItNS0_10empty_typeEEEZZNS1_29radix_sort_onesweep_iterationIS3_Lb1EPKtPtPS5_SB_mNS0_19identity_decomposerENS1_16block_id_wrapperIjLb0EEEEE10hipError_tT1_PNSt15iterator_traitsISG_E10value_typeET2_T3_PNSH_ISM_E10value_typeET4_T5_PSR_SS_PNS1_23onesweep_lookback_stateEbbT6_jjT7_P12ihipStream_tbENKUlT_T0_SG_SL_E_clIS9_SA_SB_SB_EEDaSZ_S10_SG_SL_EUlSZ_E_NS1_11comp_targetILNS1_3genE0ELNS1_11target_archE4294967295ELNS1_3gpuE0ELNS1_3repE0EEENS1_47radix_sort_onesweep_sort_config_static_selectorELNS0_4arch9wavefront6targetE0EEEvSG_.has_indirect_call, 0
	.section	.AMDGPU.csdata,"",@progbits
; Kernel info:
; codeLenInByte = 16928
; TotalNumSgprs: 31
; NumVgprs: 65
; ScratchSize: 0
; MemoryBound: 0
; FloatMode: 240
; IeeeMode: 1
; LDSByteSize: 18504 bytes/workgroup (compile time only)
; SGPRBlocks: 0
; VGPRBlocks: 4
; NumSGPRsForWavesPerEU: 31
; NumVGPRsForWavesPerEU: 65
; NamedBarCnt: 0
; Occupancy: 12
; WaveLimiterHint : 0
; COMPUTE_PGM_RSRC2:SCRATCH_EN: 0
; COMPUTE_PGM_RSRC2:USER_SGPR: 2
; COMPUTE_PGM_RSRC2:TRAP_HANDLER: 0
; COMPUTE_PGM_RSRC2:TGID_X_EN: 1
; COMPUTE_PGM_RSRC2:TGID_Y_EN: 0
; COMPUTE_PGM_RSRC2:TGID_Z_EN: 0
; COMPUTE_PGM_RSRC2:TIDIG_COMP_CNT: 2
	.section	.text._ZN7rocprim17ROCPRIM_400000_NS6detail17trampoline_kernelINS0_14default_configENS1_35radix_sort_onesweep_config_selectorItNS0_10empty_typeEEEZZNS1_29radix_sort_onesweep_iterationIS3_Lb1EPKtPtPS5_SB_mNS0_19identity_decomposerENS1_16block_id_wrapperIjLb0EEEEE10hipError_tT1_PNSt15iterator_traitsISG_E10value_typeET2_T3_PNSH_ISM_E10value_typeET4_T5_PSR_SS_PNS1_23onesweep_lookback_stateEbbT6_jjT7_P12ihipStream_tbENKUlT_T0_SG_SL_E_clIS9_SA_SB_SB_EEDaSZ_S10_SG_SL_EUlSZ_E_NS1_11comp_targetILNS1_3genE6ELNS1_11target_archE950ELNS1_3gpuE13ELNS1_3repE0EEENS1_47radix_sort_onesweep_sort_config_static_selectorELNS0_4arch9wavefront6targetE0EEEvSG_,"axG",@progbits,_ZN7rocprim17ROCPRIM_400000_NS6detail17trampoline_kernelINS0_14default_configENS1_35radix_sort_onesweep_config_selectorItNS0_10empty_typeEEEZZNS1_29radix_sort_onesweep_iterationIS3_Lb1EPKtPtPS5_SB_mNS0_19identity_decomposerENS1_16block_id_wrapperIjLb0EEEEE10hipError_tT1_PNSt15iterator_traitsISG_E10value_typeET2_T3_PNSH_ISM_E10value_typeET4_T5_PSR_SS_PNS1_23onesweep_lookback_stateEbbT6_jjT7_P12ihipStream_tbENKUlT_T0_SG_SL_E_clIS9_SA_SB_SB_EEDaSZ_S10_SG_SL_EUlSZ_E_NS1_11comp_targetILNS1_3genE6ELNS1_11target_archE950ELNS1_3gpuE13ELNS1_3repE0EEENS1_47radix_sort_onesweep_sort_config_static_selectorELNS0_4arch9wavefront6targetE0EEEvSG_,comdat
	.protected	_ZN7rocprim17ROCPRIM_400000_NS6detail17trampoline_kernelINS0_14default_configENS1_35radix_sort_onesweep_config_selectorItNS0_10empty_typeEEEZZNS1_29radix_sort_onesweep_iterationIS3_Lb1EPKtPtPS5_SB_mNS0_19identity_decomposerENS1_16block_id_wrapperIjLb0EEEEE10hipError_tT1_PNSt15iterator_traitsISG_E10value_typeET2_T3_PNSH_ISM_E10value_typeET4_T5_PSR_SS_PNS1_23onesweep_lookback_stateEbbT6_jjT7_P12ihipStream_tbENKUlT_T0_SG_SL_E_clIS9_SA_SB_SB_EEDaSZ_S10_SG_SL_EUlSZ_E_NS1_11comp_targetILNS1_3genE6ELNS1_11target_archE950ELNS1_3gpuE13ELNS1_3repE0EEENS1_47radix_sort_onesweep_sort_config_static_selectorELNS0_4arch9wavefront6targetE0EEEvSG_ ; -- Begin function _ZN7rocprim17ROCPRIM_400000_NS6detail17trampoline_kernelINS0_14default_configENS1_35radix_sort_onesweep_config_selectorItNS0_10empty_typeEEEZZNS1_29radix_sort_onesweep_iterationIS3_Lb1EPKtPtPS5_SB_mNS0_19identity_decomposerENS1_16block_id_wrapperIjLb0EEEEE10hipError_tT1_PNSt15iterator_traitsISG_E10value_typeET2_T3_PNSH_ISM_E10value_typeET4_T5_PSR_SS_PNS1_23onesweep_lookback_stateEbbT6_jjT7_P12ihipStream_tbENKUlT_T0_SG_SL_E_clIS9_SA_SB_SB_EEDaSZ_S10_SG_SL_EUlSZ_E_NS1_11comp_targetILNS1_3genE6ELNS1_11target_archE950ELNS1_3gpuE13ELNS1_3repE0EEENS1_47radix_sort_onesweep_sort_config_static_selectorELNS0_4arch9wavefront6targetE0EEEvSG_
	.globl	_ZN7rocprim17ROCPRIM_400000_NS6detail17trampoline_kernelINS0_14default_configENS1_35radix_sort_onesweep_config_selectorItNS0_10empty_typeEEEZZNS1_29radix_sort_onesweep_iterationIS3_Lb1EPKtPtPS5_SB_mNS0_19identity_decomposerENS1_16block_id_wrapperIjLb0EEEEE10hipError_tT1_PNSt15iterator_traitsISG_E10value_typeET2_T3_PNSH_ISM_E10value_typeET4_T5_PSR_SS_PNS1_23onesweep_lookback_stateEbbT6_jjT7_P12ihipStream_tbENKUlT_T0_SG_SL_E_clIS9_SA_SB_SB_EEDaSZ_S10_SG_SL_EUlSZ_E_NS1_11comp_targetILNS1_3genE6ELNS1_11target_archE950ELNS1_3gpuE13ELNS1_3repE0EEENS1_47radix_sort_onesweep_sort_config_static_selectorELNS0_4arch9wavefront6targetE0EEEvSG_
	.p2align	8
	.type	_ZN7rocprim17ROCPRIM_400000_NS6detail17trampoline_kernelINS0_14default_configENS1_35radix_sort_onesweep_config_selectorItNS0_10empty_typeEEEZZNS1_29radix_sort_onesweep_iterationIS3_Lb1EPKtPtPS5_SB_mNS0_19identity_decomposerENS1_16block_id_wrapperIjLb0EEEEE10hipError_tT1_PNSt15iterator_traitsISG_E10value_typeET2_T3_PNSH_ISM_E10value_typeET4_T5_PSR_SS_PNS1_23onesweep_lookback_stateEbbT6_jjT7_P12ihipStream_tbENKUlT_T0_SG_SL_E_clIS9_SA_SB_SB_EEDaSZ_S10_SG_SL_EUlSZ_E_NS1_11comp_targetILNS1_3genE6ELNS1_11target_archE950ELNS1_3gpuE13ELNS1_3repE0EEENS1_47radix_sort_onesweep_sort_config_static_selectorELNS0_4arch9wavefront6targetE0EEEvSG_,@function
_ZN7rocprim17ROCPRIM_400000_NS6detail17trampoline_kernelINS0_14default_configENS1_35radix_sort_onesweep_config_selectorItNS0_10empty_typeEEEZZNS1_29radix_sort_onesweep_iterationIS3_Lb1EPKtPtPS5_SB_mNS0_19identity_decomposerENS1_16block_id_wrapperIjLb0EEEEE10hipError_tT1_PNSt15iterator_traitsISG_E10value_typeET2_T3_PNSH_ISM_E10value_typeET4_T5_PSR_SS_PNS1_23onesweep_lookback_stateEbbT6_jjT7_P12ihipStream_tbENKUlT_T0_SG_SL_E_clIS9_SA_SB_SB_EEDaSZ_S10_SG_SL_EUlSZ_E_NS1_11comp_targetILNS1_3genE6ELNS1_11target_archE950ELNS1_3gpuE13ELNS1_3repE0EEENS1_47radix_sort_onesweep_sort_config_static_selectorELNS0_4arch9wavefront6targetE0EEEvSG_: ; @_ZN7rocprim17ROCPRIM_400000_NS6detail17trampoline_kernelINS0_14default_configENS1_35radix_sort_onesweep_config_selectorItNS0_10empty_typeEEEZZNS1_29radix_sort_onesweep_iterationIS3_Lb1EPKtPtPS5_SB_mNS0_19identity_decomposerENS1_16block_id_wrapperIjLb0EEEEE10hipError_tT1_PNSt15iterator_traitsISG_E10value_typeET2_T3_PNSH_ISM_E10value_typeET4_T5_PSR_SS_PNS1_23onesweep_lookback_stateEbbT6_jjT7_P12ihipStream_tbENKUlT_T0_SG_SL_E_clIS9_SA_SB_SB_EEDaSZ_S10_SG_SL_EUlSZ_E_NS1_11comp_targetILNS1_3genE6ELNS1_11target_archE950ELNS1_3gpuE13ELNS1_3repE0EEENS1_47radix_sort_onesweep_sort_config_static_selectorELNS0_4arch9wavefront6targetE0EEEvSG_
; %bb.0:
	.section	.rodata,"a",@progbits
	.p2align	6, 0x0
	.amdhsa_kernel _ZN7rocprim17ROCPRIM_400000_NS6detail17trampoline_kernelINS0_14default_configENS1_35radix_sort_onesweep_config_selectorItNS0_10empty_typeEEEZZNS1_29radix_sort_onesweep_iterationIS3_Lb1EPKtPtPS5_SB_mNS0_19identity_decomposerENS1_16block_id_wrapperIjLb0EEEEE10hipError_tT1_PNSt15iterator_traitsISG_E10value_typeET2_T3_PNSH_ISM_E10value_typeET4_T5_PSR_SS_PNS1_23onesweep_lookback_stateEbbT6_jjT7_P12ihipStream_tbENKUlT_T0_SG_SL_E_clIS9_SA_SB_SB_EEDaSZ_S10_SG_SL_EUlSZ_E_NS1_11comp_targetILNS1_3genE6ELNS1_11target_archE950ELNS1_3gpuE13ELNS1_3repE0EEENS1_47radix_sort_onesweep_sort_config_static_selectorELNS0_4arch9wavefront6targetE0EEEvSG_
		.amdhsa_group_segment_fixed_size 0
		.amdhsa_private_segment_fixed_size 0
		.amdhsa_kernarg_size 88
		.amdhsa_user_sgpr_count 2
		.amdhsa_user_sgpr_dispatch_ptr 0
		.amdhsa_user_sgpr_queue_ptr 0
		.amdhsa_user_sgpr_kernarg_segment_ptr 1
		.amdhsa_user_sgpr_dispatch_id 0
		.amdhsa_user_sgpr_kernarg_preload_length 0
		.amdhsa_user_sgpr_kernarg_preload_offset 0
		.amdhsa_user_sgpr_private_segment_size 0
		.amdhsa_wavefront_size32 1
		.amdhsa_uses_dynamic_stack 0
		.amdhsa_enable_private_segment 0
		.amdhsa_system_sgpr_workgroup_id_x 1
		.amdhsa_system_sgpr_workgroup_id_y 0
		.amdhsa_system_sgpr_workgroup_id_z 0
		.amdhsa_system_sgpr_workgroup_info 0
		.amdhsa_system_vgpr_workitem_id 0
		.amdhsa_next_free_vgpr 1
		.amdhsa_next_free_sgpr 1
		.amdhsa_named_barrier_count 0
		.amdhsa_reserve_vcc 0
		.amdhsa_float_round_mode_32 0
		.amdhsa_float_round_mode_16_64 0
		.amdhsa_float_denorm_mode_32 3
		.amdhsa_float_denorm_mode_16_64 3
		.amdhsa_fp16_overflow 0
		.amdhsa_memory_ordered 1
		.amdhsa_forward_progress 1
		.amdhsa_inst_pref_size 0
		.amdhsa_round_robin_scheduling 0
		.amdhsa_exception_fp_ieee_invalid_op 0
		.amdhsa_exception_fp_denorm_src 0
		.amdhsa_exception_fp_ieee_div_zero 0
		.amdhsa_exception_fp_ieee_overflow 0
		.amdhsa_exception_fp_ieee_underflow 0
		.amdhsa_exception_fp_ieee_inexact 0
		.amdhsa_exception_int_div_zero 0
	.end_amdhsa_kernel
	.section	.text._ZN7rocprim17ROCPRIM_400000_NS6detail17trampoline_kernelINS0_14default_configENS1_35radix_sort_onesweep_config_selectorItNS0_10empty_typeEEEZZNS1_29radix_sort_onesweep_iterationIS3_Lb1EPKtPtPS5_SB_mNS0_19identity_decomposerENS1_16block_id_wrapperIjLb0EEEEE10hipError_tT1_PNSt15iterator_traitsISG_E10value_typeET2_T3_PNSH_ISM_E10value_typeET4_T5_PSR_SS_PNS1_23onesweep_lookback_stateEbbT6_jjT7_P12ihipStream_tbENKUlT_T0_SG_SL_E_clIS9_SA_SB_SB_EEDaSZ_S10_SG_SL_EUlSZ_E_NS1_11comp_targetILNS1_3genE6ELNS1_11target_archE950ELNS1_3gpuE13ELNS1_3repE0EEENS1_47radix_sort_onesweep_sort_config_static_selectorELNS0_4arch9wavefront6targetE0EEEvSG_,"axG",@progbits,_ZN7rocprim17ROCPRIM_400000_NS6detail17trampoline_kernelINS0_14default_configENS1_35radix_sort_onesweep_config_selectorItNS0_10empty_typeEEEZZNS1_29radix_sort_onesweep_iterationIS3_Lb1EPKtPtPS5_SB_mNS0_19identity_decomposerENS1_16block_id_wrapperIjLb0EEEEE10hipError_tT1_PNSt15iterator_traitsISG_E10value_typeET2_T3_PNSH_ISM_E10value_typeET4_T5_PSR_SS_PNS1_23onesweep_lookback_stateEbbT6_jjT7_P12ihipStream_tbENKUlT_T0_SG_SL_E_clIS9_SA_SB_SB_EEDaSZ_S10_SG_SL_EUlSZ_E_NS1_11comp_targetILNS1_3genE6ELNS1_11target_archE950ELNS1_3gpuE13ELNS1_3repE0EEENS1_47radix_sort_onesweep_sort_config_static_selectorELNS0_4arch9wavefront6targetE0EEEvSG_,comdat
.Lfunc_end2405:
	.size	_ZN7rocprim17ROCPRIM_400000_NS6detail17trampoline_kernelINS0_14default_configENS1_35radix_sort_onesweep_config_selectorItNS0_10empty_typeEEEZZNS1_29radix_sort_onesweep_iterationIS3_Lb1EPKtPtPS5_SB_mNS0_19identity_decomposerENS1_16block_id_wrapperIjLb0EEEEE10hipError_tT1_PNSt15iterator_traitsISG_E10value_typeET2_T3_PNSH_ISM_E10value_typeET4_T5_PSR_SS_PNS1_23onesweep_lookback_stateEbbT6_jjT7_P12ihipStream_tbENKUlT_T0_SG_SL_E_clIS9_SA_SB_SB_EEDaSZ_S10_SG_SL_EUlSZ_E_NS1_11comp_targetILNS1_3genE6ELNS1_11target_archE950ELNS1_3gpuE13ELNS1_3repE0EEENS1_47radix_sort_onesweep_sort_config_static_selectorELNS0_4arch9wavefront6targetE0EEEvSG_, .Lfunc_end2405-_ZN7rocprim17ROCPRIM_400000_NS6detail17trampoline_kernelINS0_14default_configENS1_35radix_sort_onesweep_config_selectorItNS0_10empty_typeEEEZZNS1_29radix_sort_onesweep_iterationIS3_Lb1EPKtPtPS5_SB_mNS0_19identity_decomposerENS1_16block_id_wrapperIjLb0EEEEE10hipError_tT1_PNSt15iterator_traitsISG_E10value_typeET2_T3_PNSH_ISM_E10value_typeET4_T5_PSR_SS_PNS1_23onesweep_lookback_stateEbbT6_jjT7_P12ihipStream_tbENKUlT_T0_SG_SL_E_clIS9_SA_SB_SB_EEDaSZ_S10_SG_SL_EUlSZ_E_NS1_11comp_targetILNS1_3genE6ELNS1_11target_archE950ELNS1_3gpuE13ELNS1_3repE0EEENS1_47radix_sort_onesweep_sort_config_static_selectorELNS0_4arch9wavefront6targetE0EEEvSG_
                                        ; -- End function
	.set _ZN7rocprim17ROCPRIM_400000_NS6detail17trampoline_kernelINS0_14default_configENS1_35radix_sort_onesweep_config_selectorItNS0_10empty_typeEEEZZNS1_29radix_sort_onesweep_iterationIS3_Lb1EPKtPtPS5_SB_mNS0_19identity_decomposerENS1_16block_id_wrapperIjLb0EEEEE10hipError_tT1_PNSt15iterator_traitsISG_E10value_typeET2_T3_PNSH_ISM_E10value_typeET4_T5_PSR_SS_PNS1_23onesweep_lookback_stateEbbT6_jjT7_P12ihipStream_tbENKUlT_T0_SG_SL_E_clIS9_SA_SB_SB_EEDaSZ_S10_SG_SL_EUlSZ_E_NS1_11comp_targetILNS1_3genE6ELNS1_11target_archE950ELNS1_3gpuE13ELNS1_3repE0EEENS1_47radix_sort_onesweep_sort_config_static_selectorELNS0_4arch9wavefront6targetE0EEEvSG_.num_vgpr, 0
	.set _ZN7rocprim17ROCPRIM_400000_NS6detail17trampoline_kernelINS0_14default_configENS1_35radix_sort_onesweep_config_selectorItNS0_10empty_typeEEEZZNS1_29radix_sort_onesweep_iterationIS3_Lb1EPKtPtPS5_SB_mNS0_19identity_decomposerENS1_16block_id_wrapperIjLb0EEEEE10hipError_tT1_PNSt15iterator_traitsISG_E10value_typeET2_T3_PNSH_ISM_E10value_typeET4_T5_PSR_SS_PNS1_23onesweep_lookback_stateEbbT6_jjT7_P12ihipStream_tbENKUlT_T0_SG_SL_E_clIS9_SA_SB_SB_EEDaSZ_S10_SG_SL_EUlSZ_E_NS1_11comp_targetILNS1_3genE6ELNS1_11target_archE950ELNS1_3gpuE13ELNS1_3repE0EEENS1_47radix_sort_onesweep_sort_config_static_selectorELNS0_4arch9wavefront6targetE0EEEvSG_.num_agpr, 0
	.set _ZN7rocprim17ROCPRIM_400000_NS6detail17trampoline_kernelINS0_14default_configENS1_35radix_sort_onesweep_config_selectorItNS0_10empty_typeEEEZZNS1_29radix_sort_onesweep_iterationIS3_Lb1EPKtPtPS5_SB_mNS0_19identity_decomposerENS1_16block_id_wrapperIjLb0EEEEE10hipError_tT1_PNSt15iterator_traitsISG_E10value_typeET2_T3_PNSH_ISM_E10value_typeET4_T5_PSR_SS_PNS1_23onesweep_lookback_stateEbbT6_jjT7_P12ihipStream_tbENKUlT_T0_SG_SL_E_clIS9_SA_SB_SB_EEDaSZ_S10_SG_SL_EUlSZ_E_NS1_11comp_targetILNS1_3genE6ELNS1_11target_archE950ELNS1_3gpuE13ELNS1_3repE0EEENS1_47radix_sort_onesweep_sort_config_static_selectorELNS0_4arch9wavefront6targetE0EEEvSG_.numbered_sgpr, 0
	.set _ZN7rocprim17ROCPRIM_400000_NS6detail17trampoline_kernelINS0_14default_configENS1_35radix_sort_onesweep_config_selectorItNS0_10empty_typeEEEZZNS1_29radix_sort_onesweep_iterationIS3_Lb1EPKtPtPS5_SB_mNS0_19identity_decomposerENS1_16block_id_wrapperIjLb0EEEEE10hipError_tT1_PNSt15iterator_traitsISG_E10value_typeET2_T3_PNSH_ISM_E10value_typeET4_T5_PSR_SS_PNS1_23onesweep_lookback_stateEbbT6_jjT7_P12ihipStream_tbENKUlT_T0_SG_SL_E_clIS9_SA_SB_SB_EEDaSZ_S10_SG_SL_EUlSZ_E_NS1_11comp_targetILNS1_3genE6ELNS1_11target_archE950ELNS1_3gpuE13ELNS1_3repE0EEENS1_47radix_sort_onesweep_sort_config_static_selectorELNS0_4arch9wavefront6targetE0EEEvSG_.num_named_barrier, 0
	.set _ZN7rocprim17ROCPRIM_400000_NS6detail17trampoline_kernelINS0_14default_configENS1_35radix_sort_onesweep_config_selectorItNS0_10empty_typeEEEZZNS1_29radix_sort_onesweep_iterationIS3_Lb1EPKtPtPS5_SB_mNS0_19identity_decomposerENS1_16block_id_wrapperIjLb0EEEEE10hipError_tT1_PNSt15iterator_traitsISG_E10value_typeET2_T3_PNSH_ISM_E10value_typeET4_T5_PSR_SS_PNS1_23onesweep_lookback_stateEbbT6_jjT7_P12ihipStream_tbENKUlT_T0_SG_SL_E_clIS9_SA_SB_SB_EEDaSZ_S10_SG_SL_EUlSZ_E_NS1_11comp_targetILNS1_3genE6ELNS1_11target_archE950ELNS1_3gpuE13ELNS1_3repE0EEENS1_47radix_sort_onesweep_sort_config_static_selectorELNS0_4arch9wavefront6targetE0EEEvSG_.private_seg_size, 0
	.set _ZN7rocprim17ROCPRIM_400000_NS6detail17trampoline_kernelINS0_14default_configENS1_35radix_sort_onesweep_config_selectorItNS0_10empty_typeEEEZZNS1_29radix_sort_onesweep_iterationIS3_Lb1EPKtPtPS5_SB_mNS0_19identity_decomposerENS1_16block_id_wrapperIjLb0EEEEE10hipError_tT1_PNSt15iterator_traitsISG_E10value_typeET2_T3_PNSH_ISM_E10value_typeET4_T5_PSR_SS_PNS1_23onesweep_lookback_stateEbbT6_jjT7_P12ihipStream_tbENKUlT_T0_SG_SL_E_clIS9_SA_SB_SB_EEDaSZ_S10_SG_SL_EUlSZ_E_NS1_11comp_targetILNS1_3genE6ELNS1_11target_archE950ELNS1_3gpuE13ELNS1_3repE0EEENS1_47radix_sort_onesweep_sort_config_static_selectorELNS0_4arch9wavefront6targetE0EEEvSG_.uses_vcc, 0
	.set _ZN7rocprim17ROCPRIM_400000_NS6detail17trampoline_kernelINS0_14default_configENS1_35radix_sort_onesweep_config_selectorItNS0_10empty_typeEEEZZNS1_29radix_sort_onesweep_iterationIS3_Lb1EPKtPtPS5_SB_mNS0_19identity_decomposerENS1_16block_id_wrapperIjLb0EEEEE10hipError_tT1_PNSt15iterator_traitsISG_E10value_typeET2_T3_PNSH_ISM_E10value_typeET4_T5_PSR_SS_PNS1_23onesweep_lookback_stateEbbT6_jjT7_P12ihipStream_tbENKUlT_T0_SG_SL_E_clIS9_SA_SB_SB_EEDaSZ_S10_SG_SL_EUlSZ_E_NS1_11comp_targetILNS1_3genE6ELNS1_11target_archE950ELNS1_3gpuE13ELNS1_3repE0EEENS1_47radix_sort_onesweep_sort_config_static_selectorELNS0_4arch9wavefront6targetE0EEEvSG_.uses_flat_scratch, 0
	.set _ZN7rocprim17ROCPRIM_400000_NS6detail17trampoline_kernelINS0_14default_configENS1_35radix_sort_onesweep_config_selectorItNS0_10empty_typeEEEZZNS1_29radix_sort_onesweep_iterationIS3_Lb1EPKtPtPS5_SB_mNS0_19identity_decomposerENS1_16block_id_wrapperIjLb0EEEEE10hipError_tT1_PNSt15iterator_traitsISG_E10value_typeET2_T3_PNSH_ISM_E10value_typeET4_T5_PSR_SS_PNS1_23onesweep_lookback_stateEbbT6_jjT7_P12ihipStream_tbENKUlT_T0_SG_SL_E_clIS9_SA_SB_SB_EEDaSZ_S10_SG_SL_EUlSZ_E_NS1_11comp_targetILNS1_3genE6ELNS1_11target_archE950ELNS1_3gpuE13ELNS1_3repE0EEENS1_47radix_sort_onesweep_sort_config_static_selectorELNS0_4arch9wavefront6targetE0EEEvSG_.has_dyn_sized_stack, 0
	.set _ZN7rocprim17ROCPRIM_400000_NS6detail17trampoline_kernelINS0_14default_configENS1_35radix_sort_onesweep_config_selectorItNS0_10empty_typeEEEZZNS1_29radix_sort_onesweep_iterationIS3_Lb1EPKtPtPS5_SB_mNS0_19identity_decomposerENS1_16block_id_wrapperIjLb0EEEEE10hipError_tT1_PNSt15iterator_traitsISG_E10value_typeET2_T3_PNSH_ISM_E10value_typeET4_T5_PSR_SS_PNS1_23onesweep_lookback_stateEbbT6_jjT7_P12ihipStream_tbENKUlT_T0_SG_SL_E_clIS9_SA_SB_SB_EEDaSZ_S10_SG_SL_EUlSZ_E_NS1_11comp_targetILNS1_3genE6ELNS1_11target_archE950ELNS1_3gpuE13ELNS1_3repE0EEENS1_47radix_sort_onesweep_sort_config_static_selectorELNS0_4arch9wavefront6targetE0EEEvSG_.has_recursion, 0
	.set _ZN7rocprim17ROCPRIM_400000_NS6detail17trampoline_kernelINS0_14default_configENS1_35radix_sort_onesweep_config_selectorItNS0_10empty_typeEEEZZNS1_29radix_sort_onesweep_iterationIS3_Lb1EPKtPtPS5_SB_mNS0_19identity_decomposerENS1_16block_id_wrapperIjLb0EEEEE10hipError_tT1_PNSt15iterator_traitsISG_E10value_typeET2_T3_PNSH_ISM_E10value_typeET4_T5_PSR_SS_PNS1_23onesweep_lookback_stateEbbT6_jjT7_P12ihipStream_tbENKUlT_T0_SG_SL_E_clIS9_SA_SB_SB_EEDaSZ_S10_SG_SL_EUlSZ_E_NS1_11comp_targetILNS1_3genE6ELNS1_11target_archE950ELNS1_3gpuE13ELNS1_3repE0EEENS1_47radix_sort_onesweep_sort_config_static_selectorELNS0_4arch9wavefront6targetE0EEEvSG_.has_indirect_call, 0
	.section	.AMDGPU.csdata,"",@progbits
; Kernel info:
; codeLenInByte = 0
; TotalNumSgprs: 0
; NumVgprs: 0
; ScratchSize: 0
; MemoryBound: 0
; FloatMode: 240
; IeeeMode: 1
; LDSByteSize: 0 bytes/workgroup (compile time only)
; SGPRBlocks: 0
; VGPRBlocks: 0
; NumSGPRsForWavesPerEU: 1
; NumVGPRsForWavesPerEU: 1
; NamedBarCnt: 0
; Occupancy: 16
; WaveLimiterHint : 0
; COMPUTE_PGM_RSRC2:SCRATCH_EN: 0
; COMPUTE_PGM_RSRC2:USER_SGPR: 2
; COMPUTE_PGM_RSRC2:TRAP_HANDLER: 0
; COMPUTE_PGM_RSRC2:TGID_X_EN: 1
; COMPUTE_PGM_RSRC2:TGID_Y_EN: 0
; COMPUTE_PGM_RSRC2:TGID_Z_EN: 0
; COMPUTE_PGM_RSRC2:TIDIG_COMP_CNT: 0
	.section	.text._ZN7rocprim17ROCPRIM_400000_NS6detail17trampoline_kernelINS0_14default_configENS1_35radix_sort_onesweep_config_selectorItNS0_10empty_typeEEEZZNS1_29radix_sort_onesweep_iterationIS3_Lb1EPKtPtPS5_SB_mNS0_19identity_decomposerENS1_16block_id_wrapperIjLb0EEEEE10hipError_tT1_PNSt15iterator_traitsISG_E10value_typeET2_T3_PNSH_ISM_E10value_typeET4_T5_PSR_SS_PNS1_23onesweep_lookback_stateEbbT6_jjT7_P12ihipStream_tbENKUlT_T0_SG_SL_E_clIS9_SA_SB_SB_EEDaSZ_S10_SG_SL_EUlSZ_E_NS1_11comp_targetILNS1_3genE5ELNS1_11target_archE942ELNS1_3gpuE9ELNS1_3repE0EEENS1_47radix_sort_onesweep_sort_config_static_selectorELNS0_4arch9wavefront6targetE0EEEvSG_,"axG",@progbits,_ZN7rocprim17ROCPRIM_400000_NS6detail17trampoline_kernelINS0_14default_configENS1_35radix_sort_onesweep_config_selectorItNS0_10empty_typeEEEZZNS1_29radix_sort_onesweep_iterationIS3_Lb1EPKtPtPS5_SB_mNS0_19identity_decomposerENS1_16block_id_wrapperIjLb0EEEEE10hipError_tT1_PNSt15iterator_traitsISG_E10value_typeET2_T3_PNSH_ISM_E10value_typeET4_T5_PSR_SS_PNS1_23onesweep_lookback_stateEbbT6_jjT7_P12ihipStream_tbENKUlT_T0_SG_SL_E_clIS9_SA_SB_SB_EEDaSZ_S10_SG_SL_EUlSZ_E_NS1_11comp_targetILNS1_3genE5ELNS1_11target_archE942ELNS1_3gpuE9ELNS1_3repE0EEENS1_47radix_sort_onesweep_sort_config_static_selectorELNS0_4arch9wavefront6targetE0EEEvSG_,comdat
	.protected	_ZN7rocprim17ROCPRIM_400000_NS6detail17trampoline_kernelINS0_14default_configENS1_35radix_sort_onesweep_config_selectorItNS0_10empty_typeEEEZZNS1_29radix_sort_onesweep_iterationIS3_Lb1EPKtPtPS5_SB_mNS0_19identity_decomposerENS1_16block_id_wrapperIjLb0EEEEE10hipError_tT1_PNSt15iterator_traitsISG_E10value_typeET2_T3_PNSH_ISM_E10value_typeET4_T5_PSR_SS_PNS1_23onesweep_lookback_stateEbbT6_jjT7_P12ihipStream_tbENKUlT_T0_SG_SL_E_clIS9_SA_SB_SB_EEDaSZ_S10_SG_SL_EUlSZ_E_NS1_11comp_targetILNS1_3genE5ELNS1_11target_archE942ELNS1_3gpuE9ELNS1_3repE0EEENS1_47radix_sort_onesweep_sort_config_static_selectorELNS0_4arch9wavefront6targetE0EEEvSG_ ; -- Begin function _ZN7rocprim17ROCPRIM_400000_NS6detail17trampoline_kernelINS0_14default_configENS1_35radix_sort_onesweep_config_selectorItNS0_10empty_typeEEEZZNS1_29radix_sort_onesweep_iterationIS3_Lb1EPKtPtPS5_SB_mNS0_19identity_decomposerENS1_16block_id_wrapperIjLb0EEEEE10hipError_tT1_PNSt15iterator_traitsISG_E10value_typeET2_T3_PNSH_ISM_E10value_typeET4_T5_PSR_SS_PNS1_23onesweep_lookback_stateEbbT6_jjT7_P12ihipStream_tbENKUlT_T0_SG_SL_E_clIS9_SA_SB_SB_EEDaSZ_S10_SG_SL_EUlSZ_E_NS1_11comp_targetILNS1_3genE5ELNS1_11target_archE942ELNS1_3gpuE9ELNS1_3repE0EEENS1_47radix_sort_onesweep_sort_config_static_selectorELNS0_4arch9wavefront6targetE0EEEvSG_
	.globl	_ZN7rocprim17ROCPRIM_400000_NS6detail17trampoline_kernelINS0_14default_configENS1_35radix_sort_onesweep_config_selectorItNS0_10empty_typeEEEZZNS1_29radix_sort_onesweep_iterationIS3_Lb1EPKtPtPS5_SB_mNS0_19identity_decomposerENS1_16block_id_wrapperIjLb0EEEEE10hipError_tT1_PNSt15iterator_traitsISG_E10value_typeET2_T3_PNSH_ISM_E10value_typeET4_T5_PSR_SS_PNS1_23onesweep_lookback_stateEbbT6_jjT7_P12ihipStream_tbENKUlT_T0_SG_SL_E_clIS9_SA_SB_SB_EEDaSZ_S10_SG_SL_EUlSZ_E_NS1_11comp_targetILNS1_3genE5ELNS1_11target_archE942ELNS1_3gpuE9ELNS1_3repE0EEENS1_47radix_sort_onesweep_sort_config_static_selectorELNS0_4arch9wavefront6targetE0EEEvSG_
	.p2align	8
	.type	_ZN7rocprim17ROCPRIM_400000_NS6detail17trampoline_kernelINS0_14default_configENS1_35radix_sort_onesweep_config_selectorItNS0_10empty_typeEEEZZNS1_29radix_sort_onesweep_iterationIS3_Lb1EPKtPtPS5_SB_mNS0_19identity_decomposerENS1_16block_id_wrapperIjLb0EEEEE10hipError_tT1_PNSt15iterator_traitsISG_E10value_typeET2_T3_PNSH_ISM_E10value_typeET4_T5_PSR_SS_PNS1_23onesweep_lookback_stateEbbT6_jjT7_P12ihipStream_tbENKUlT_T0_SG_SL_E_clIS9_SA_SB_SB_EEDaSZ_S10_SG_SL_EUlSZ_E_NS1_11comp_targetILNS1_3genE5ELNS1_11target_archE942ELNS1_3gpuE9ELNS1_3repE0EEENS1_47radix_sort_onesweep_sort_config_static_selectorELNS0_4arch9wavefront6targetE0EEEvSG_,@function
_ZN7rocprim17ROCPRIM_400000_NS6detail17trampoline_kernelINS0_14default_configENS1_35radix_sort_onesweep_config_selectorItNS0_10empty_typeEEEZZNS1_29radix_sort_onesweep_iterationIS3_Lb1EPKtPtPS5_SB_mNS0_19identity_decomposerENS1_16block_id_wrapperIjLb0EEEEE10hipError_tT1_PNSt15iterator_traitsISG_E10value_typeET2_T3_PNSH_ISM_E10value_typeET4_T5_PSR_SS_PNS1_23onesweep_lookback_stateEbbT6_jjT7_P12ihipStream_tbENKUlT_T0_SG_SL_E_clIS9_SA_SB_SB_EEDaSZ_S10_SG_SL_EUlSZ_E_NS1_11comp_targetILNS1_3genE5ELNS1_11target_archE942ELNS1_3gpuE9ELNS1_3repE0EEENS1_47radix_sort_onesweep_sort_config_static_selectorELNS0_4arch9wavefront6targetE0EEEvSG_: ; @_ZN7rocprim17ROCPRIM_400000_NS6detail17trampoline_kernelINS0_14default_configENS1_35radix_sort_onesweep_config_selectorItNS0_10empty_typeEEEZZNS1_29radix_sort_onesweep_iterationIS3_Lb1EPKtPtPS5_SB_mNS0_19identity_decomposerENS1_16block_id_wrapperIjLb0EEEEE10hipError_tT1_PNSt15iterator_traitsISG_E10value_typeET2_T3_PNSH_ISM_E10value_typeET4_T5_PSR_SS_PNS1_23onesweep_lookback_stateEbbT6_jjT7_P12ihipStream_tbENKUlT_T0_SG_SL_E_clIS9_SA_SB_SB_EEDaSZ_S10_SG_SL_EUlSZ_E_NS1_11comp_targetILNS1_3genE5ELNS1_11target_archE942ELNS1_3gpuE9ELNS1_3repE0EEENS1_47radix_sort_onesweep_sort_config_static_selectorELNS0_4arch9wavefront6targetE0EEEvSG_
; %bb.0:
	.section	.rodata,"a",@progbits
	.p2align	6, 0x0
	.amdhsa_kernel _ZN7rocprim17ROCPRIM_400000_NS6detail17trampoline_kernelINS0_14default_configENS1_35radix_sort_onesweep_config_selectorItNS0_10empty_typeEEEZZNS1_29radix_sort_onesweep_iterationIS3_Lb1EPKtPtPS5_SB_mNS0_19identity_decomposerENS1_16block_id_wrapperIjLb0EEEEE10hipError_tT1_PNSt15iterator_traitsISG_E10value_typeET2_T3_PNSH_ISM_E10value_typeET4_T5_PSR_SS_PNS1_23onesweep_lookback_stateEbbT6_jjT7_P12ihipStream_tbENKUlT_T0_SG_SL_E_clIS9_SA_SB_SB_EEDaSZ_S10_SG_SL_EUlSZ_E_NS1_11comp_targetILNS1_3genE5ELNS1_11target_archE942ELNS1_3gpuE9ELNS1_3repE0EEENS1_47radix_sort_onesweep_sort_config_static_selectorELNS0_4arch9wavefront6targetE0EEEvSG_
		.amdhsa_group_segment_fixed_size 0
		.amdhsa_private_segment_fixed_size 0
		.amdhsa_kernarg_size 88
		.amdhsa_user_sgpr_count 2
		.amdhsa_user_sgpr_dispatch_ptr 0
		.amdhsa_user_sgpr_queue_ptr 0
		.amdhsa_user_sgpr_kernarg_segment_ptr 1
		.amdhsa_user_sgpr_dispatch_id 0
		.amdhsa_user_sgpr_kernarg_preload_length 0
		.amdhsa_user_sgpr_kernarg_preload_offset 0
		.amdhsa_user_sgpr_private_segment_size 0
		.amdhsa_wavefront_size32 1
		.amdhsa_uses_dynamic_stack 0
		.amdhsa_enable_private_segment 0
		.amdhsa_system_sgpr_workgroup_id_x 1
		.amdhsa_system_sgpr_workgroup_id_y 0
		.amdhsa_system_sgpr_workgroup_id_z 0
		.amdhsa_system_sgpr_workgroup_info 0
		.amdhsa_system_vgpr_workitem_id 0
		.amdhsa_next_free_vgpr 1
		.amdhsa_next_free_sgpr 1
		.amdhsa_named_barrier_count 0
		.amdhsa_reserve_vcc 0
		.amdhsa_float_round_mode_32 0
		.amdhsa_float_round_mode_16_64 0
		.amdhsa_float_denorm_mode_32 3
		.amdhsa_float_denorm_mode_16_64 3
		.amdhsa_fp16_overflow 0
		.amdhsa_memory_ordered 1
		.amdhsa_forward_progress 1
		.amdhsa_inst_pref_size 0
		.amdhsa_round_robin_scheduling 0
		.amdhsa_exception_fp_ieee_invalid_op 0
		.amdhsa_exception_fp_denorm_src 0
		.amdhsa_exception_fp_ieee_div_zero 0
		.amdhsa_exception_fp_ieee_overflow 0
		.amdhsa_exception_fp_ieee_underflow 0
		.amdhsa_exception_fp_ieee_inexact 0
		.amdhsa_exception_int_div_zero 0
	.end_amdhsa_kernel
	.section	.text._ZN7rocprim17ROCPRIM_400000_NS6detail17trampoline_kernelINS0_14default_configENS1_35radix_sort_onesweep_config_selectorItNS0_10empty_typeEEEZZNS1_29radix_sort_onesweep_iterationIS3_Lb1EPKtPtPS5_SB_mNS0_19identity_decomposerENS1_16block_id_wrapperIjLb0EEEEE10hipError_tT1_PNSt15iterator_traitsISG_E10value_typeET2_T3_PNSH_ISM_E10value_typeET4_T5_PSR_SS_PNS1_23onesweep_lookback_stateEbbT6_jjT7_P12ihipStream_tbENKUlT_T0_SG_SL_E_clIS9_SA_SB_SB_EEDaSZ_S10_SG_SL_EUlSZ_E_NS1_11comp_targetILNS1_3genE5ELNS1_11target_archE942ELNS1_3gpuE9ELNS1_3repE0EEENS1_47radix_sort_onesweep_sort_config_static_selectorELNS0_4arch9wavefront6targetE0EEEvSG_,"axG",@progbits,_ZN7rocprim17ROCPRIM_400000_NS6detail17trampoline_kernelINS0_14default_configENS1_35radix_sort_onesweep_config_selectorItNS0_10empty_typeEEEZZNS1_29radix_sort_onesweep_iterationIS3_Lb1EPKtPtPS5_SB_mNS0_19identity_decomposerENS1_16block_id_wrapperIjLb0EEEEE10hipError_tT1_PNSt15iterator_traitsISG_E10value_typeET2_T3_PNSH_ISM_E10value_typeET4_T5_PSR_SS_PNS1_23onesweep_lookback_stateEbbT6_jjT7_P12ihipStream_tbENKUlT_T0_SG_SL_E_clIS9_SA_SB_SB_EEDaSZ_S10_SG_SL_EUlSZ_E_NS1_11comp_targetILNS1_3genE5ELNS1_11target_archE942ELNS1_3gpuE9ELNS1_3repE0EEENS1_47radix_sort_onesweep_sort_config_static_selectorELNS0_4arch9wavefront6targetE0EEEvSG_,comdat
.Lfunc_end2406:
	.size	_ZN7rocprim17ROCPRIM_400000_NS6detail17trampoline_kernelINS0_14default_configENS1_35radix_sort_onesweep_config_selectorItNS0_10empty_typeEEEZZNS1_29radix_sort_onesweep_iterationIS3_Lb1EPKtPtPS5_SB_mNS0_19identity_decomposerENS1_16block_id_wrapperIjLb0EEEEE10hipError_tT1_PNSt15iterator_traitsISG_E10value_typeET2_T3_PNSH_ISM_E10value_typeET4_T5_PSR_SS_PNS1_23onesweep_lookback_stateEbbT6_jjT7_P12ihipStream_tbENKUlT_T0_SG_SL_E_clIS9_SA_SB_SB_EEDaSZ_S10_SG_SL_EUlSZ_E_NS1_11comp_targetILNS1_3genE5ELNS1_11target_archE942ELNS1_3gpuE9ELNS1_3repE0EEENS1_47radix_sort_onesweep_sort_config_static_selectorELNS0_4arch9wavefront6targetE0EEEvSG_, .Lfunc_end2406-_ZN7rocprim17ROCPRIM_400000_NS6detail17trampoline_kernelINS0_14default_configENS1_35radix_sort_onesweep_config_selectorItNS0_10empty_typeEEEZZNS1_29radix_sort_onesweep_iterationIS3_Lb1EPKtPtPS5_SB_mNS0_19identity_decomposerENS1_16block_id_wrapperIjLb0EEEEE10hipError_tT1_PNSt15iterator_traitsISG_E10value_typeET2_T3_PNSH_ISM_E10value_typeET4_T5_PSR_SS_PNS1_23onesweep_lookback_stateEbbT6_jjT7_P12ihipStream_tbENKUlT_T0_SG_SL_E_clIS9_SA_SB_SB_EEDaSZ_S10_SG_SL_EUlSZ_E_NS1_11comp_targetILNS1_3genE5ELNS1_11target_archE942ELNS1_3gpuE9ELNS1_3repE0EEENS1_47radix_sort_onesweep_sort_config_static_selectorELNS0_4arch9wavefront6targetE0EEEvSG_
                                        ; -- End function
	.set _ZN7rocprim17ROCPRIM_400000_NS6detail17trampoline_kernelINS0_14default_configENS1_35radix_sort_onesweep_config_selectorItNS0_10empty_typeEEEZZNS1_29radix_sort_onesweep_iterationIS3_Lb1EPKtPtPS5_SB_mNS0_19identity_decomposerENS1_16block_id_wrapperIjLb0EEEEE10hipError_tT1_PNSt15iterator_traitsISG_E10value_typeET2_T3_PNSH_ISM_E10value_typeET4_T5_PSR_SS_PNS1_23onesweep_lookback_stateEbbT6_jjT7_P12ihipStream_tbENKUlT_T0_SG_SL_E_clIS9_SA_SB_SB_EEDaSZ_S10_SG_SL_EUlSZ_E_NS1_11comp_targetILNS1_3genE5ELNS1_11target_archE942ELNS1_3gpuE9ELNS1_3repE0EEENS1_47radix_sort_onesweep_sort_config_static_selectorELNS0_4arch9wavefront6targetE0EEEvSG_.num_vgpr, 0
	.set _ZN7rocprim17ROCPRIM_400000_NS6detail17trampoline_kernelINS0_14default_configENS1_35radix_sort_onesweep_config_selectorItNS0_10empty_typeEEEZZNS1_29radix_sort_onesweep_iterationIS3_Lb1EPKtPtPS5_SB_mNS0_19identity_decomposerENS1_16block_id_wrapperIjLb0EEEEE10hipError_tT1_PNSt15iterator_traitsISG_E10value_typeET2_T3_PNSH_ISM_E10value_typeET4_T5_PSR_SS_PNS1_23onesweep_lookback_stateEbbT6_jjT7_P12ihipStream_tbENKUlT_T0_SG_SL_E_clIS9_SA_SB_SB_EEDaSZ_S10_SG_SL_EUlSZ_E_NS1_11comp_targetILNS1_3genE5ELNS1_11target_archE942ELNS1_3gpuE9ELNS1_3repE0EEENS1_47radix_sort_onesweep_sort_config_static_selectorELNS0_4arch9wavefront6targetE0EEEvSG_.num_agpr, 0
	.set _ZN7rocprim17ROCPRIM_400000_NS6detail17trampoline_kernelINS0_14default_configENS1_35radix_sort_onesweep_config_selectorItNS0_10empty_typeEEEZZNS1_29radix_sort_onesweep_iterationIS3_Lb1EPKtPtPS5_SB_mNS0_19identity_decomposerENS1_16block_id_wrapperIjLb0EEEEE10hipError_tT1_PNSt15iterator_traitsISG_E10value_typeET2_T3_PNSH_ISM_E10value_typeET4_T5_PSR_SS_PNS1_23onesweep_lookback_stateEbbT6_jjT7_P12ihipStream_tbENKUlT_T0_SG_SL_E_clIS9_SA_SB_SB_EEDaSZ_S10_SG_SL_EUlSZ_E_NS1_11comp_targetILNS1_3genE5ELNS1_11target_archE942ELNS1_3gpuE9ELNS1_3repE0EEENS1_47radix_sort_onesweep_sort_config_static_selectorELNS0_4arch9wavefront6targetE0EEEvSG_.numbered_sgpr, 0
	.set _ZN7rocprim17ROCPRIM_400000_NS6detail17trampoline_kernelINS0_14default_configENS1_35radix_sort_onesweep_config_selectorItNS0_10empty_typeEEEZZNS1_29radix_sort_onesweep_iterationIS3_Lb1EPKtPtPS5_SB_mNS0_19identity_decomposerENS1_16block_id_wrapperIjLb0EEEEE10hipError_tT1_PNSt15iterator_traitsISG_E10value_typeET2_T3_PNSH_ISM_E10value_typeET4_T5_PSR_SS_PNS1_23onesweep_lookback_stateEbbT6_jjT7_P12ihipStream_tbENKUlT_T0_SG_SL_E_clIS9_SA_SB_SB_EEDaSZ_S10_SG_SL_EUlSZ_E_NS1_11comp_targetILNS1_3genE5ELNS1_11target_archE942ELNS1_3gpuE9ELNS1_3repE0EEENS1_47radix_sort_onesweep_sort_config_static_selectorELNS0_4arch9wavefront6targetE0EEEvSG_.num_named_barrier, 0
	.set _ZN7rocprim17ROCPRIM_400000_NS6detail17trampoline_kernelINS0_14default_configENS1_35radix_sort_onesweep_config_selectorItNS0_10empty_typeEEEZZNS1_29radix_sort_onesweep_iterationIS3_Lb1EPKtPtPS5_SB_mNS0_19identity_decomposerENS1_16block_id_wrapperIjLb0EEEEE10hipError_tT1_PNSt15iterator_traitsISG_E10value_typeET2_T3_PNSH_ISM_E10value_typeET4_T5_PSR_SS_PNS1_23onesweep_lookback_stateEbbT6_jjT7_P12ihipStream_tbENKUlT_T0_SG_SL_E_clIS9_SA_SB_SB_EEDaSZ_S10_SG_SL_EUlSZ_E_NS1_11comp_targetILNS1_3genE5ELNS1_11target_archE942ELNS1_3gpuE9ELNS1_3repE0EEENS1_47radix_sort_onesweep_sort_config_static_selectorELNS0_4arch9wavefront6targetE0EEEvSG_.private_seg_size, 0
	.set _ZN7rocprim17ROCPRIM_400000_NS6detail17trampoline_kernelINS0_14default_configENS1_35radix_sort_onesweep_config_selectorItNS0_10empty_typeEEEZZNS1_29radix_sort_onesweep_iterationIS3_Lb1EPKtPtPS5_SB_mNS0_19identity_decomposerENS1_16block_id_wrapperIjLb0EEEEE10hipError_tT1_PNSt15iterator_traitsISG_E10value_typeET2_T3_PNSH_ISM_E10value_typeET4_T5_PSR_SS_PNS1_23onesweep_lookback_stateEbbT6_jjT7_P12ihipStream_tbENKUlT_T0_SG_SL_E_clIS9_SA_SB_SB_EEDaSZ_S10_SG_SL_EUlSZ_E_NS1_11comp_targetILNS1_3genE5ELNS1_11target_archE942ELNS1_3gpuE9ELNS1_3repE0EEENS1_47radix_sort_onesweep_sort_config_static_selectorELNS0_4arch9wavefront6targetE0EEEvSG_.uses_vcc, 0
	.set _ZN7rocprim17ROCPRIM_400000_NS6detail17trampoline_kernelINS0_14default_configENS1_35radix_sort_onesweep_config_selectorItNS0_10empty_typeEEEZZNS1_29radix_sort_onesweep_iterationIS3_Lb1EPKtPtPS5_SB_mNS0_19identity_decomposerENS1_16block_id_wrapperIjLb0EEEEE10hipError_tT1_PNSt15iterator_traitsISG_E10value_typeET2_T3_PNSH_ISM_E10value_typeET4_T5_PSR_SS_PNS1_23onesweep_lookback_stateEbbT6_jjT7_P12ihipStream_tbENKUlT_T0_SG_SL_E_clIS9_SA_SB_SB_EEDaSZ_S10_SG_SL_EUlSZ_E_NS1_11comp_targetILNS1_3genE5ELNS1_11target_archE942ELNS1_3gpuE9ELNS1_3repE0EEENS1_47radix_sort_onesweep_sort_config_static_selectorELNS0_4arch9wavefront6targetE0EEEvSG_.uses_flat_scratch, 0
	.set _ZN7rocprim17ROCPRIM_400000_NS6detail17trampoline_kernelINS0_14default_configENS1_35radix_sort_onesweep_config_selectorItNS0_10empty_typeEEEZZNS1_29radix_sort_onesweep_iterationIS3_Lb1EPKtPtPS5_SB_mNS0_19identity_decomposerENS1_16block_id_wrapperIjLb0EEEEE10hipError_tT1_PNSt15iterator_traitsISG_E10value_typeET2_T3_PNSH_ISM_E10value_typeET4_T5_PSR_SS_PNS1_23onesweep_lookback_stateEbbT6_jjT7_P12ihipStream_tbENKUlT_T0_SG_SL_E_clIS9_SA_SB_SB_EEDaSZ_S10_SG_SL_EUlSZ_E_NS1_11comp_targetILNS1_3genE5ELNS1_11target_archE942ELNS1_3gpuE9ELNS1_3repE0EEENS1_47radix_sort_onesweep_sort_config_static_selectorELNS0_4arch9wavefront6targetE0EEEvSG_.has_dyn_sized_stack, 0
	.set _ZN7rocprim17ROCPRIM_400000_NS6detail17trampoline_kernelINS0_14default_configENS1_35radix_sort_onesweep_config_selectorItNS0_10empty_typeEEEZZNS1_29radix_sort_onesweep_iterationIS3_Lb1EPKtPtPS5_SB_mNS0_19identity_decomposerENS1_16block_id_wrapperIjLb0EEEEE10hipError_tT1_PNSt15iterator_traitsISG_E10value_typeET2_T3_PNSH_ISM_E10value_typeET4_T5_PSR_SS_PNS1_23onesweep_lookback_stateEbbT6_jjT7_P12ihipStream_tbENKUlT_T0_SG_SL_E_clIS9_SA_SB_SB_EEDaSZ_S10_SG_SL_EUlSZ_E_NS1_11comp_targetILNS1_3genE5ELNS1_11target_archE942ELNS1_3gpuE9ELNS1_3repE0EEENS1_47radix_sort_onesweep_sort_config_static_selectorELNS0_4arch9wavefront6targetE0EEEvSG_.has_recursion, 0
	.set _ZN7rocprim17ROCPRIM_400000_NS6detail17trampoline_kernelINS0_14default_configENS1_35radix_sort_onesweep_config_selectorItNS0_10empty_typeEEEZZNS1_29radix_sort_onesweep_iterationIS3_Lb1EPKtPtPS5_SB_mNS0_19identity_decomposerENS1_16block_id_wrapperIjLb0EEEEE10hipError_tT1_PNSt15iterator_traitsISG_E10value_typeET2_T3_PNSH_ISM_E10value_typeET4_T5_PSR_SS_PNS1_23onesweep_lookback_stateEbbT6_jjT7_P12ihipStream_tbENKUlT_T0_SG_SL_E_clIS9_SA_SB_SB_EEDaSZ_S10_SG_SL_EUlSZ_E_NS1_11comp_targetILNS1_3genE5ELNS1_11target_archE942ELNS1_3gpuE9ELNS1_3repE0EEENS1_47radix_sort_onesweep_sort_config_static_selectorELNS0_4arch9wavefront6targetE0EEEvSG_.has_indirect_call, 0
	.section	.AMDGPU.csdata,"",@progbits
; Kernel info:
; codeLenInByte = 0
; TotalNumSgprs: 0
; NumVgprs: 0
; ScratchSize: 0
; MemoryBound: 0
; FloatMode: 240
; IeeeMode: 1
; LDSByteSize: 0 bytes/workgroup (compile time only)
; SGPRBlocks: 0
; VGPRBlocks: 0
; NumSGPRsForWavesPerEU: 1
; NumVGPRsForWavesPerEU: 1
; NamedBarCnt: 0
; Occupancy: 16
; WaveLimiterHint : 0
; COMPUTE_PGM_RSRC2:SCRATCH_EN: 0
; COMPUTE_PGM_RSRC2:USER_SGPR: 2
; COMPUTE_PGM_RSRC2:TRAP_HANDLER: 0
; COMPUTE_PGM_RSRC2:TGID_X_EN: 1
; COMPUTE_PGM_RSRC2:TGID_Y_EN: 0
; COMPUTE_PGM_RSRC2:TGID_Z_EN: 0
; COMPUTE_PGM_RSRC2:TIDIG_COMP_CNT: 0
	.section	.text._ZN7rocprim17ROCPRIM_400000_NS6detail17trampoline_kernelINS0_14default_configENS1_35radix_sort_onesweep_config_selectorItNS0_10empty_typeEEEZZNS1_29radix_sort_onesweep_iterationIS3_Lb1EPKtPtPS5_SB_mNS0_19identity_decomposerENS1_16block_id_wrapperIjLb0EEEEE10hipError_tT1_PNSt15iterator_traitsISG_E10value_typeET2_T3_PNSH_ISM_E10value_typeET4_T5_PSR_SS_PNS1_23onesweep_lookback_stateEbbT6_jjT7_P12ihipStream_tbENKUlT_T0_SG_SL_E_clIS9_SA_SB_SB_EEDaSZ_S10_SG_SL_EUlSZ_E_NS1_11comp_targetILNS1_3genE2ELNS1_11target_archE906ELNS1_3gpuE6ELNS1_3repE0EEENS1_47radix_sort_onesweep_sort_config_static_selectorELNS0_4arch9wavefront6targetE0EEEvSG_,"axG",@progbits,_ZN7rocprim17ROCPRIM_400000_NS6detail17trampoline_kernelINS0_14default_configENS1_35radix_sort_onesweep_config_selectorItNS0_10empty_typeEEEZZNS1_29radix_sort_onesweep_iterationIS3_Lb1EPKtPtPS5_SB_mNS0_19identity_decomposerENS1_16block_id_wrapperIjLb0EEEEE10hipError_tT1_PNSt15iterator_traitsISG_E10value_typeET2_T3_PNSH_ISM_E10value_typeET4_T5_PSR_SS_PNS1_23onesweep_lookback_stateEbbT6_jjT7_P12ihipStream_tbENKUlT_T0_SG_SL_E_clIS9_SA_SB_SB_EEDaSZ_S10_SG_SL_EUlSZ_E_NS1_11comp_targetILNS1_3genE2ELNS1_11target_archE906ELNS1_3gpuE6ELNS1_3repE0EEENS1_47radix_sort_onesweep_sort_config_static_selectorELNS0_4arch9wavefront6targetE0EEEvSG_,comdat
	.protected	_ZN7rocprim17ROCPRIM_400000_NS6detail17trampoline_kernelINS0_14default_configENS1_35radix_sort_onesweep_config_selectorItNS0_10empty_typeEEEZZNS1_29radix_sort_onesweep_iterationIS3_Lb1EPKtPtPS5_SB_mNS0_19identity_decomposerENS1_16block_id_wrapperIjLb0EEEEE10hipError_tT1_PNSt15iterator_traitsISG_E10value_typeET2_T3_PNSH_ISM_E10value_typeET4_T5_PSR_SS_PNS1_23onesweep_lookback_stateEbbT6_jjT7_P12ihipStream_tbENKUlT_T0_SG_SL_E_clIS9_SA_SB_SB_EEDaSZ_S10_SG_SL_EUlSZ_E_NS1_11comp_targetILNS1_3genE2ELNS1_11target_archE906ELNS1_3gpuE6ELNS1_3repE0EEENS1_47radix_sort_onesweep_sort_config_static_selectorELNS0_4arch9wavefront6targetE0EEEvSG_ ; -- Begin function _ZN7rocprim17ROCPRIM_400000_NS6detail17trampoline_kernelINS0_14default_configENS1_35radix_sort_onesweep_config_selectorItNS0_10empty_typeEEEZZNS1_29radix_sort_onesweep_iterationIS3_Lb1EPKtPtPS5_SB_mNS0_19identity_decomposerENS1_16block_id_wrapperIjLb0EEEEE10hipError_tT1_PNSt15iterator_traitsISG_E10value_typeET2_T3_PNSH_ISM_E10value_typeET4_T5_PSR_SS_PNS1_23onesweep_lookback_stateEbbT6_jjT7_P12ihipStream_tbENKUlT_T0_SG_SL_E_clIS9_SA_SB_SB_EEDaSZ_S10_SG_SL_EUlSZ_E_NS1_11comp_targetILNS1_3genE2ELNS1_11target_archE906ELNS1_3gpuE6ELNS1_3repE0EEENS1_47radix_sort_onesweep_sort_config_static_selectorELNS0_4arch9wavefront6targetE0EEEvSG_
	.globl	_ZN7rocprim17ROCPRIM_400000_NS6detail17trampoline_kernelINS0_14default_configENS1_35radix_sort_onesweep_config_selectorItNS0_10empty_typeEEEZZNS1_29radix_sort_onesweep_iterationIS3_Lb1EPKtPtPS5_SB_mNS0_19identity_decomposerENS1_16block_id_wrapperIjLb0EEEEE10hipError_tT1_PNSt15iterator_traitsISG_E10value_typeET2_T3_PNSH_ISM_E10value_typeET4_T5_PSR_SS_PNS1_23onesweep_lookback_stateEbbT6_jjT7_P12ihipStream_tbENKUlT_T0_SG_SL_E_clIS9_SA_SB_SB_EEDaSZ_S10_SG_SL_EUlSZ_E_NS1_11comp_targetILNS1_3genE2ELNS1_11target_archE906ELNS1_3gpuE6ELNS1_3repE0EEENS1_47radix_sort_onesweep_sort_config_static_selectorELNS0_4arch9wavefront6targetE0EEEvSG_
	.p2align	8
	.type	_ZN7rocprim17ROCPRIM_400000_NS6detail17trampoline_kernelINS0_14default_configENS1_35radix_sort_onesweep_config_selectorItNS0_10empty_typeEEEZZNS1_29radix_sort_onesweep_iterationIS3_Lb1EPKtPtPS5_SB_mNS0_19identity_decomposerENS1_16block_id_wrapperIjLb0EEEEE10hipError_tT1_PNSt15iterator_traitsISG_E10value_typeET2_T3_PNSH_ISM_E10value_typeET4_T5_PSR_SS_PNS1_23onesweep_lookback_stateEbbT6_jjT7_P12ihipStream_tbENKUlT_T0_SG_SL_E_clIS9_SA_SB_SB_EEDaSZ_S10_SG_SL_EUlSZ_E_NS1_11comp_targetILNS1_3genE2ELNS1_11target_archE906ELNS1_3gpuE6ELNS1_3repE0EEENS1_47radix_sort_onesweep_sort_config_static_selectorELNS0_4arch9wavefront6targetE0EEEvSG_,@function
_ZN7rocprim17ROCPRIM_400000_NS6detail17trampoline_kernelINS0_14default_configENS1_35radix_sort_onesweep_config_selectorItNS0_10empty_typeEEEZZNS1_29radix_sort_onesweep_iterationIS3_Lb1EPKtPtPS5_SB_mNS0_19identity_decomposerENS1_16block_id_wrapperIjLb0EEEEE10hipError_tT1_PNSt15iterator_traitsISG_E10value_typeET2_T3_PNSH_ISM_E10value_typeET4_T5_PSR_SS_PNS1_23onesweep_lookback_stateEbbT6_jjT7_P12ihipStream_tbENKUlT_T0_SG_SL_E_clIS9_SA_SB_SB_EEDaSZ_S10_SG_SL_EUlSZ_E_NS1_11comp_targetILNS1_3genE2ELNS1_11target_archE906ELNS1_3gpuE6ELNS1_3repE0EEENS1_47radix_sort_onesweep_sort_config_static_selectorELNS0_4arch9wavefront6targetE0EEEvSG_: ; @_ZN7rocprim17ROCPRIM_400000_NS6detail17trampoline_kernelINS0_14default_configENS1_35radix_sort_onesweep_config_selectorItNS0_10empty_typeEEEZZNS1_29radix_sort_onesweep_iterationIS3_Lb1EPKtPtPS5_SB_mNS0_19identity_decomposerENS1_16block_id_wrapperIjLb0EEEEE10hipError_tT1_PNSt15iterator_traitsISG_E10value_typeET2_T3_PNSH_ISM_E10value_typeET4_T5_PSR_SS_PNS1_23onesweep_lookback_stateEbbT6_jjT7_P12ihipStream_tbENKUlT_T0_SG_SL_E_clIS9_SA_SB_SB_EEDaSZ_S10_SG_SL_EUlSZ_E_NS1_11comp_targetILNS1_3genE2ELNS1_11target_archE906ELNS1_3gpuE6ELNS1_3repE0EEENS1_47radix_sort_onesweep_sort_config_static_selectorELNS0_4arch9wavefront6targetE0EEEvSG_
; %bb.0:
	.section	.rodata,"a",@progbits
	.p2align	6, 0x0
	.amdhsa_kernel _ZN7rocprim17ROCPRIM_400000_NS6detail17trampoline_kernelINS0_14default_configENS1_35radix_sort_onesweep_config_selectorItNS0_10empty_typeEEEZZNS1_29radix_sort_onesweep_iterationIS3_Lb1EPKtPtPS5_SB_mNS0_19identity_decomposerENS1_16block_id_wrapperIjLb0EEEEE10hipError_tT1_PNSt15iterator_traitsISG_E10value_typeET2_T3_PNSH_ISM_E10value_typeET4_T5_PSR_SS_PNS1_23onesweep_lookback_stateEbbT6_jjT7_P12ihipStream_tbENKUlT_T0_SG_SL_E_clIS9_SA_SB_SB_EEDaSZ_S10_SG_SL_EUlSZ_E_NS1_11comp_targetILNS1_3genE2ELNS1_11target_archE906ELNS1_3gpuE6ELNS1_3repE0EEENS1_47radix_sort_onesweep_sort_config_static_selectorELNS0_4arch9wavefront6targetE0EEEvSG_
		.amdhsa_group_segment_fixed_size 0
		.amdhsa_private_segment_fixed_size 0
		.amdhsa_kernarg_size 88
		.amdhsa_user_sgpr_count 2
		.amdhsa_user_sgpr_dispatch_ptr 0
		.amdhsa_user_sgpr_queue_ptr 0
		.amdhsa_user_sgpr_kernarg_segment_ptr 1
		.amdhsa_user_sgpr_dispatch_id 0
		.amdhsa_user_sgpr_kernarg_preload_length 0
		.amdhsa_user_sgpr_kernarg_preload_offset 0
		.amdhsa_user_sgpr_private_segment_size 0
		.amdhsa_wavefront_size32 1
		.amdhsa_uses_dynamic_stack 0
		.amdhsa_enable_private_segment 0
		.amdhsa_system_sgpr_workgroup_id_x 1
		.amdhsa_system_sgpr_workgroup_id_y 0
		.amdhsa_system_sgpr_workgroup_id_z 0
		.amdhsa_system_sgpr_workgroup_info 0
		.amdhsa_system_vgpr_workitem_id 0
		.amdhsa_next_free_vgpr 1
		.amdhsa_next_free_sgpr 1
		.amdhsa_named_barrier_count 0
		.amdhsa_reserve_vcc 0
		.amdhsa_float_round_mode_32 0
		.amdhsa_float_round_mode_16_64 0
		.amdhsa_float_denorm_mode_32 3
		.amdhsa_float_denorm_mode_16_64 3
		.amdhsa_fp16_overflow 0
		.amdhsa_memory_ordered 1
		.amdhsa_forward_progress 1
		.amdhsa_inst_pref_size 0
		.amdhsa_round_robin_scheduling 0
		.amdhsa_exception_fp_ieee_invalid_op 0
		.amdhsa_exception_fp_denorm_src 0
		.amdhsa_exception_fp_ieee_div_zero 0
		.amdhsa_exception_fp_ieee_overflow 0
		.amdhsa_exception_fp_ieee_underflow 0
		.amdhsa_exception_fp_ieee_inexact 0
		.amdhsa_exception_int_div_zero 0
	.end_amdhsa_kernel
	.section	.text._ZN7rocprim17ROCPRIM_400000_NS6detail17trampoline_kernelINS0_14default_configENS1_35radix_sort_onesweep_config_selectorItNS0_10empty_typeEEEZZNS1_29radix_sort_onesweep_iterationIS3_Lb1EPKtPtPS5_SB_mNS0_19identity_decomposerENS1_16block_id_wrapperIjLb0EEEEE10hipError_tT1_PNSt15iterator_traitsISG_E10value_typeET2_T3_PNSH_ISM_E10value_typeET4_T5_PSR_SS_PNS1_23onesweep_lookback_stateEbbT6_jjT7_P12ihipStream_tbENKUlT_T0_SG_SL_E_clIS9_SA_SB_SB_EEDaSZ_S10_SG_SL_EUlSZ_E_NS1_11comp_targetILNS1_3genE2ELNS1_11target_archE906ELNS1_3gpuE6ELNS1_3repE0EEENS1_47radix_sort_onesweep_sort_config_static_selectorELNS0_4arch9wavefront6targetE0EEEvSG_,"axG",@progbits,_ZN7rocprim17ROCPRIM_400000_NS6detail17trampoline_kernelINS0_14default_configENS1_35radix_sort_onesweep_config_selectorItNS0_10empty_typeEEEZZNS1_29radix_sort_onesweep_iterationIS3_Lb1EPKtPtPS5_SB_mNS0_19identity_decomposerENS1_16block_id_wrapperIjLb0EEEEE10hipError_tT1_PNSt15iterator_traitsISG_E10value_typeET2_T3_PNSH_ISM_E10value_typeET4_T5_PSR_SS_PNS1_23onesweep_lookback_stateEbbT6_jjT7_P12ihipStream_tbENKUlT_T0_SG_SL_E_clIS9_SA_SB_SB_EEDaSZ_S10_SG_SL_EUlSZ_E_NS1_11comp_targetILNS1_3genE2ELNS1_11target_archE906ELNS1_3gpuE6ELNS1_3repE0EEENS1_47radix_sort_onesweep_sort_config_static_selectorELNS0_4arch9wavefront6targetE0EEEvSG_,comdat
.Lfunc_end2407:
	.size	_ZN7rocprim17ROCPRIM_400000_NS6detail17trampoline_kernelINS0_14default_configENS1_35radix_sort_onesweep_config_selectorItNS0_10empty_typeEEEZZNS1_29radix_sort_onesweep_iterationIS3_Lb1EPKtPtPS5_SB_mNS0_19identity_decomposerENS1_16block_id_wrapperIjLb0EEEEE10hipError_tT1_PNSt15iterator_traitsISG_E10value_typeET2_T3_PNSH_ISM_E10value_typeET4_T5_PSR_SS_PNS1_23onesweep_lookback_stateEbbT6_jjT7_P12ihipStream_tbENKUlT_T0_SG_SL_E_clIS9_SA_SB_SB_EEDaSZ_S10_SG_SL_EUlSZ_E_NS1_11comp_targetILNS1_3genE2ELNS1_11target_archE906ELNS1_3gpuE6ELNS1_3repE0EEENS1_47radix_sort_onesweep_sort_config_static_selectorELNS0_4arch9wavefront6targetE0EEEvSG_, .Lfunc_end2407-_ZN7rocprim17ROCPRIM_400000_NS6detail17trampoline_kernelINS0_14default_configENS1_35radix_sort_onesweep_config_selectorItNS0_10empty_typeEEEZZNS1_29radix_sort_onesweep_iterationIS3_Lb1EPKtPtPS5_SB_mNS0_19identity_decomposerENS1_16block_id_wrapperIjLb0EEEEE10hipError_tT1_PNSt15iterator_traitsISG_E10value_typeET2_T3_PNSH_ISM_E10value_typeET4_T5_PSR_SS_PNS1_23onesweep_lookback_stateEbbT6_jjT7_P12ihipStream_tbENKUlT_T0_SG_SL_E_clIS9_SA_SB_SB_EEDaSZ_S10_SG_SL_EUlSZ_E_NS1_11comp_targetILNS1_3genE2ELNS1_11target_archE906ELNS1_3gpuE6ELNS1_3repE0EEENS1_47radix_sort_onesweep_sort_config_static_selectorELNS0_4arch9wavefront6targetE0EEEvSG_
                                        ; -- End function
	.set _ZN7rocprim17ROCPRIM_400000_NS6detail17trampoline_kernelINS0_14default_configENS1_35radix_sort_onesweep_config_selectorItNS0_10empty_typeEEEZZNS1_29radix_sort_onesweep_iterationIS3_Lb1EPKtPtPS5_SB_mNS0_19identity_decomposerENS1_16block_id_wrapperIjLb0EEEEE10hipError_tT1_PNSt15iterator_traitsISG_E10value_typeET2_T3_PNSH_ISM_E10value_typeET4_T5_PSR_SS_PNS1_23onesweep_lookback_stateEbbT6_jjT7_P12ihipStream_tbENKUlT_T0_SG_SL_E_clIS9_SA_SB_SB_EEDaSZ_S10_SG_SL_EUlSZ_E_NS1_11comp_targetILNS1_3genE2ELNS1_11target_archE906ELNS1_3gpuE6ELNS1_3repE0EEENS1_47radix_sort_onesweep_sort_config_static_selectorELNS0_4arch9wavefront6targetE0EEEvSG_.num_vgpr, 0
	.set _ZN7rocprim17ROCPRIM_400000_NS6detail17trampoline_kernelINS0_14default_configENS1_35radix_sort_onesweep_config_selectorItNS0_10empty_typeEEEZZNS1_29radix_sort_onesweep_iterationIS3_Lb1EPKtPtPS5_SB_mNS0_19identity_decomposerENS1_16block_id_wrapperIjLb0EEEEE10hipError_tT1_PNSt15iterator_traitsISG_E10value_typeET2_T3_PNSH_ISM_E10value_typeET4_T5_PSR_SS_PNS1_23onesweep_lookback_stateEbbT6_jjT7_P12ihipStream_tbENKUlT_T0_SG_SL_E_clIS9_SA_SB_SB_EEDaSZ_S10_SG_SL_EUlSZ_E_NS1_11comp_targetILNS1_3genE2ELNS1_11target_archE906ELNS1_3gpuE6ELNS1_3repE0EEENS1_47radix_sort_onesweep_sort_config_static_selectorELNS0_4arch9wavefront6targetE0EEEvSG_.num_agpr, 0
	.set _ZN7rocprim17ROCPRIM_400000_NS6detail17trampoline_kernelINS0_14default_configENS1_35radix_sort_onesweep_config_selectorItNS0_10empty_typeEEEZZNS1_29radix_sort_onesweep_iterationIS3_Lb1EPKtPtPS5_SB_mNS0_19identity_decomposerENS1_16block_id_wrapperIjLb0EEEEE10hipError_tT1_PNSt15iterator_traitsISG_E10value_typeET2_T3_PNSH_ISM_E10value_typeET4_T5_PSR_SS_PNS1_23onesweep_lookback_stateEbbT6_jjT7_P12ihipStream_tbENKUlT_T0_SG_SL_E_clIS9_SA_SB_SB_EEDaSZ_S10_SG_SL_EUlSZ_E_NS1_11comp_targetILNS1_3genE2ELNS1_11target_archE906ELNS1_3gpuE6ELNS1_3repE0EEENS1_47radix_sort_onesweep_sort_config_static_selectorELNS0_4arch9wavefront6targetE0EEEvSG_.numbered_sgpr, 0
	.set _ZN7rocprim17ROCPRIM_400000_NS6detail17trampoline_kernelINS0_14default_configENS1_35radix_sort_onesweep_config_selectorItNS0_10empty_typeEEEZZNS1_29radix_sort_onesweep_iterationIS3_Lb1EPKtPtPS5_SB_mNS0_19identity_decomposerENS1_16block_id_wrapperIjLb0EEEEE10hipError_tT1_PNSt15iterator_traitsISG_E10value_typeET2_T3_PNSH_ISM_E10value_typeET4_T5_PSR_SS_PNS1_23onesweep_lookback_stateEbbT6_jjT7_P12ihipStream_tbENKUlT_T0_SG_SL_E_clIS9_SA_SB_SB_EEDaSZ_S10_SG_SL_EUlSZ_E_NS1_11comp_targetILNS1_3genE2ELNS1_11target_archE906ELNS1_3gpuE6ELNS1_3repE0EEENS1_47radix_sort_onesweep_sort_config_static_selectorELNS0_4arch9wavefront6targetE0EEEvSG_.num_named_barrier, 0
	.set _ZN7rocprim17ROCPRIM_400000_NS6detail17trampoline_kernelINS0_14default_configENS1_35radix_sort_onesweep_config_selectorItNS0_10empty_typeEEEZZNS1_29radix_sort_onesweep_iterationIS3_Lb1EPKtPtPS5_SB_mNS0_19identity_decomposerENS1_16block_id_wrapperIjLb0EEEEE10hipError_tT1_PNSt15iterator_traitsISG_E10value_typeET2_T3_PNSH_ISM_E10value_typeET4_T5_PSR_SS_PNS1_23onesweep_lookback_stateEbbT6_jjT7_P12ihipStream_tbENKUlT_T0_SG_SL_E_clIS9_SA_SB_SB_EEDaSZ_S10_SG_SL_EUlSZ_E_NS1_11comp_targetILNS1_3genE2ELNS1_11target_archE906ELNS1_3gpuE6ELNS1_3repE0EEENS1_47radix_sort_onesweep_sort_config_static_selectorELNS0_4arch9wavefront6targetE0EEEvSG_.private_seg_size, 0
	.set _ZN7rocprim17ROCPRIM_400000_NS6detail17trampoline_kernelINS0_14default_configENS1_35radix_sort_onesweep_config_selectorItNS0_10empty_typeEEEZZNS1_29radix_sort_onesweep_iterationIS3_Lb1EPKtPtPS5_SB_mNS0_19identity_decomposerENS1_16block_id_wrapperIjLb0EEEEE10hipError_tT1_PNSt15iterator_traitsISG_E10value_typeET2_T3_PNSH_ISM_E10value_typeET4_T5_PSR_SS_PNS1_23onesweep_lookback_stateEbbT6_jjT7_P12ihipStream_tbENKUlT_T0_SG_SL_E_clIS9_SA_SB_SB_EEDaSZ_S10_SG_SL_EUlSZ_E_NS1_11comp_targetILNS1_3genE2ELNS1_11target_archE906ELNS1_3gpuE6ELNS1_3repE0EEENS1_47radix_sort_onesweep_sort_config_static_selectorELNS0_4arch9wavefront6targetE0EEEvSG_.uses_vcc, 0
	.set _ZN7rocprim17ROCPRIM_400000_NS6detail17trampoline_kernelINS0_14default_configENS1_35radix_sort_onesweep_config_selectorItNS0_10empty_typeEEEZZNS1_29radix_sort_onesweep_iterationIS3_Lb1EPKtPtPS5_SB_mNS0_19identity_decomposerENS1_16block_id_wrapperIjLb0EEEEE10hipError_tT1_PNSt15iterator_traitsISG_E10value_typeET2_T3_PNSH_ISM_E10value_typeET4_T5_PSR_SS_PNS1_23onesweep_lookback_stateEbbT6_jjT7_P12ihipStream_tbENKUlT_T0_SG_SL_E_clIS9_SA_SB_SB_EEDaSZ_S10_SG_SL_EUlSZ_E_NS1_11comp_targetILNS1_3genE2ELNS1_11target_archE906ELNS1_3gpuE6ELNS1_3repE0EEENS1_47radix_sort_onesweep_sort_config_static_selectorELNS0_4arch9wavefront6targetE0EEEvSG_.uses_flat_scratch, 0
	.set _ZN7rocprim17ROCPRIM_400000_NS6detail17trampoline_kernelINS0_14default_configENS1_35radix_sort_onesweep_config_selectorItNS0_10empty_typeEEEZZNS1_29radix_sort_onesweep_iterationIS3_Lb1EPKtPtPS5_SB_mNS0_19identity_decomposerENS1_16block_id_wrapperIjLb0EEEEE10hipError_tT1_PNSt15iterator_traitsISG_E10value_typeET2_T3_PNSH_ISM_E10value_typeET4_T5_PSR_SS_PNS1_23onesweep_lookback_stateEbbT6_jjT7_P12ihipStream_tbENKUlT_T0_SG_SL_E_clIS9_SA_SB_SB_EEDaSZ_S10_SG_SL_EUlSZ_E_NS1_11comp_targetILNS1_3genE2ELNS1_11target_archE906ELNS1_3gpuE6ELNS1_3repE0EEENS1_47radix_sort_onesweep_sort_config_static_selectorELNS0_4arch9wavefront6targetE0EEEvSG_.has_dyn_sized_stack, 0
	.set _ZN7rocprim17ROCPRIM_400000_NS6detail17trampoline_kernelINS0_14default_configENS1_35radix_sort_onesweep_config_selectorItNS0_10empty_typeEEEZZNS1_29radix_sort_onesweep_iterationIS3_Lb1EPKtPtPS5_SB_mNS0_19identity_decomposerENS1_16block_id_wrapperIjLb0EEEEE10hipError_tT1_PNSt15iterator_traitsISG_E10value_typeET2_T3_PNSH_ISM_E10value_typeET4_T5_PSR_SS_PNS1_23onesweep_lookback_stateEbbT6_jjT7_P12ihipStream_tbENKUlT_T0_SG_SL_E_clIS9_SA_SB_SB_EEDaSZ_S10_SG_SL_EUlSZ_E_NS1_11comp_targetILNS1_3genE2ELNS1_11target_archE906ELNS1_3gpuE6ELNS1_3repE0EEENS1_47radix_sort_onesweep_sort_config_static_selectorELNS0_4arch9wavefront6targetE0EEEvSG_.has_recursion, 0
	.set _ZN7rocprim17ROCPRIM_400000_NS6detail17trampoline_kernelINS0_14default_configENS1_35radix_sort_onesweep_config_selectorItNS0_10empty_typeEEEZZNS1_29radix_sort_onesweep_iterationIS3_Lb1EPKtPtPS5_SB_mNS0_19identity_decomposerENS1_16block_id_wrapperIjLb0EEEEE10hipError_tT1_PNSt15iterator_traitsISG_E10value_typeET2_T3_PNSH_ISM_E10value_typeET4_T5_PSR_SS_PNS1_23onesweep_lookback_stateEbbT6_jjT7_P12ihipStream_tbENKUlT_T0_SG_SL_E_clIS9_SA_SB_SB_EEDaSZ_S10_SG_SL_EUlSZ_E_NS1_11comp_targetILNS1_3genE2ELNS1_11target_archE906ELNS1_3gpuE6ELNS1_3repE0EEENS1_47radix_sort_onesweep_sort_config_static_selectorELNS0_4arch9wavefront6targetE0EEEvSG_.has_indirect_call, 0
	.section	.AMDGPU.csdata,"",@progbits
; Kernel info:
; codeLenInByte = 0
; TotalNumSgprs: 0
; NumVgprs: 0
; ScratchSize: 0
; MemoryBound: 0
; FloatMode: 240
; IeeeMode: 1
; LDSByteSize: 0 bytes/workgroup (compile time only)
; SGPRBlocks: 0
; VGPRBlocks: 0
; NumSGPRsForWavesPerEU: 1
; NumVGPRsForWavesPerEU: 1
; NamedBarCnt: 0
; Occupancy: 16
; WaveLimiterHint : 0
; COMPUTE_PGM_RSRC2:SCRATCH_EN: 0
; COMPUTE_PGM_RSRC2:USER_SGPR: 2
; COMPUTE_PGM_RSRC2:TRAP_HANDLER: 0
; COMPUTE_PGM_RSRC2:TGID_X_EN: 1
; COMPUTE_PGM_RSRC2:TGID_Y_EN: 0
; COMPUTE_PGM_RSRC2:TGID_Z_EN: 0
; COMPUTE_PGM_RSRC2:TIDIG_COMP_CNT: 0
	.section	.text._ZN7rocprim17ROCPRIM_400000_NS6detail17trampoline_kernelINS0_14default_configENS1_35radix_sort_onesweep_config_selectorItNS0_10empty_typeEEEZZNS1_29radix_sort_onesweep_iterationIS3_Lb1EPKtPtPS5_SB_mNS0_19identity_decomposerENS1_16block_id_wrapperIjLb0EEEEE10hipError_tT1_PNSt15iterator_traitsISG_E10value_typeET2_T3_PNSH_ISM_E10value_typeET4_T5_PSR_SS_PNS1_23onesweep_lookback_stateEbbT6_jjT7_P12ihipStream_tbENKUlT_T0_SG_SL_E_clIS9_SA_SB_SB_EEDaSZ_S10_SG_SL_EUlSZ_E_NS1_11comp_targetILNS1_3genE4ELNS1_11target_archE910ELNS1_3gpuE8ELNS1_3repE0EEENS1_47radix_sort_onesweep_sort_config_static_selectorELNS0_4arch9wavefront6targetE0EEEvSG_,"axG",@progbits,_ZN7rocprim17ROCPRIM_400000_NS6detail17trampoline_kernelINS0_14default_configENS1_35radix_sort_onesweep_config_selectorItNS0_10empty_typeEEEZZNS1_29radix_sort_onesweep_iterationIS3_Lb1EPKtPtPS5_SB_mNS0_19identity_decomposerENS1_16block_id_wrapperIjLb0EEEEE10hipError_tT1_PNSt15iterator_traitsISG_E10value_typeET2_T3_PNSH_ISM_E10value_typeET4_T5_PSR_SS_PNS1_23onesweep_lookback_stateEbbT6_jjT7_P12ihipStream_tbENKUlT_T0_SG_SL_E_clIS9_SA_SB_SB_EEDaSZ_S10_SG_SL_EUlSZ_E_NS1_11comp_targetILNS1_3genE4ELNS1_11target_archE910ELNS1_3gpuE8ELNS1_3repE0EEENS1_47radix_sort_onesweep_sort_config_static_selectorELNS0_4arch9wavefront6targetE0EEEvSG_,comdat
	.protected	_ZN7rocprim17ROCPRIM_400000_NS6detail17trampoline_kernelINS0_14default_configENS1_35radix_sort_onesweep_config_selectorItNS0_10empty_typeEEEZZNS1_29radix_sort_onesweep_iterationIS3_Lb1EPKtPtPS5_SB_mNS0_19identity_decomposerENS1_16block_id_wrapperIjLb0EEEEE10hipError_tT1_PNSt15iterator_traitsISG_E10value_typeET2_T3_PNSH_ISM_E10value_typeET4_T5_PSR_SS_PNS1_23onesweep_lookback_stateEbbT6_jjT7_P12ihipStream_tbENKUlT_T0_SG_SL_E_clIS9_SA_SB_SB_EEDaSZ_S10_SG_SL_EUlSZ_E_NS1_11comp_targetILNS1_3genE4ELNS1_11target_archE910ELNS1_3gpuE8ELNS1_3repE0EEENS1_47radix_sort_onesweep_sort_config_static_selectorELNS0_4arch9wavefront6targetE0EEEvSG_ ; -- Begin function _ZN7rocprim17ROCPRIM_400000_NS6detail17trampoline_kernelINS0_14default_configENS1_35radix_sort_onesweep_config_selectorItNS0_10empty_typeEEEZZNS1_29radix_sort_onesweep_iterationIS3_Lb1EPKtPtPS5_SB_mNS0_19identity_decomposerENS1_16block_id_wrapperIjLb0EEEEE10hipError_tT1_PNSt15iterator_traitsISG_E10value_typeET2_T3_PNSH_ISM_E10value_typeET4_T5_PSR_SS_PNS1_23onesweep_lookback_stateEbbT6_jjT7_P12ihipStream_tbENKUlT_T0_SG_SL_E_clIS9_SA_SB_SB_EEDaSZ_S10_SG_SL_EUlSZ_E_NS1_11comp_targetILNS1_3genE4ELNS1_11target_archE910ELNS1_3gpuE8ELNS1_3repE0EEENS1_47radix_sort_onesweep_sort_config_static_selectorELNS0_4arch9wavefront6targetE0EEEvSG_
	.globl	_ZN7rocprim17ROCPRIM_400000_NS6detail17trampoline_kernelINS0_14default_configENS1_35radix_sort_onesweep_config_selectorItNS0_10empty_typeEEEZZNS1_29radix_sort_onesweep_iterationIS3_Lb1EPKtPtPS5_SB_mNS0_19identity_decomposerENS1_16block_id_wrapperIjLb0EEEEE10hipError_tT1_PNSt15iterator_traitsISG_E10value_typeET2_T3_PNSH_ISM_E10value_typeET4_T5_PSR_SS_PNS1_23onesweep_lookback_stateEbbT6_jjT7_P12ihipStream_tbENKUlT_T0_SG_SL_E_clIS9_SA_SB_SB_EEDaSZ_S10_SG_SL_EUlSZ_E_NS1_11comp_targetILNS1_3genE4ELNS1_11target_archE910ELNS1_3gpuE8ELNS1_3repE0EEENS1_47radix_sort_onesweep_sort_config_static_selectorELNS0_4arch9wavefront6targetE0EEEvSG_
	.p2align	8
	.type	_ZN7rocprim17ROCPRIM_400000_NS6detail17trampoline_kernelINS0_14default_configENS1_35radix_sort_onesweep_config_selectorItNS0_10empty_typeEEEZZNS1_29radix_sort_onesweep_iterationIS3_Lb1EPKtPtPS5_SB_mNS0_19identity_decomposerENS1_16block_id_wrapperIjLb0EEEEE10hipError_tT1_PNSt15iterator_traitsISG_E10value_typeET2_T3_PNSH_ISM_E10value_typeET4_T5_PSR_SS_PNS1_23onesweep_lookback_stateEbbT6_jjT7_P12ihipStream_tbENKUlT_T0_SG_SL_E_clIS9_SA_SB_SB_EEDaSZ_S10_SG_SL_EUlSZ_E_NS1_11comp_targetILNS1_3genE4ELNS1_11target_archE910ELNS1_3gpuE8ELNS1_3repE0EEENS1_47radix_sort_onesweep_sort_config_static_selectorELNS0_4arch9wavefront6targetE0EEEvSG_,@function
_ZN7rocprim17ROCPRIM_400000_NS6detail17trampoline_kernelINS0_14default_configENS1_35radix_sort_onesweep_config_selectorItNS0_10empty_typeEEEZZNS1_29radix_sort_onesweep_iterationIS3_Lb1EPKtPtPS5_SB_mNS0_19identity_decomposerENS1_16block_id_wrapperIjLb0EEEEE10hipError_tT1_PNSt15iterator_traitsISG_E10value_typeET2_T3_PNSH_ISM_E10value_typeET4_T5_PSR_SS_PNS1_23onesweep_lookback_stateEbbT6_jjT7_P12ihipStream_tbENKUlT_T0_SG_SL_E_clIS9_SA_SB_SB_EEDaSZ_S10_SG_SL_EUlSZ_E_NS1_11comp_targetILNS1_3genE4ELNS1_11target_archE910ELNS1_3gpuE8ELNS1_3repE0EEENS1_47radix_sort_onesweep_sort_config_static_selectorELNS0_4arch9wavefront6targetE0EEEvSG_: ; @_ZN7rocprim17ROCPRIM_400000_NS6detail17trampoline_kernelINS0_14default_configENS1_35radix_sort_onesweep_config_selectorItNS0_10empty_typeEEEZZNS1_29radix_sort_onesweep_iterationIS3_Lb1EPKtPtPS5_SB_mNS0_19identity_decomposerENS1_16block_id_wrapperIjLb0EEEEE10hipError_tT1_PNSt15iterator_traitsISG_E10value_typeET2_T3_PNSH_ISM_E10value_typeET4_T5_PSR_SS_PNS1_23onesweep_lookback_stateEbbT6_jjT7_P12ihipStream_tbENKUlT_T0_SG_SL_E_clIS9_SA_SB_SB_EEDaSZ_S10_SG_SL_EUlSZ_E_NS1_11comp_targetILNS1_3genE4ELNS1_11target_archE910ELNS1_3gpuE8ELNS1_3repE0EEENS1_47radix_sort_onesweep_sort_config_static_selectorELNS0_4arch9wavefront6targetE0EEEvSG_
; %bb.0:
	.section	.rodata,"a",@progbits
	.p2align	6, 0x0
	.amdhsa_kernel _ZN7rocprim17ROCPRIM_400000_NS6detail17trampoline_kernelINS0_14default_configENS1_35radix_sort_onesweep_config_selectorItNS0_10empty_typeEEEZZNS1_29radix_sort_onesweep_iterationIS3_Lb1EPKtPtPS5_SB_mNS0_19identity_decomposerENS1_16block_id_wrapperIjLb0EEEEE10hipError_tT1_PNSt15iterator_traitsISG_E10value_typeET2_T3_PNSH_ISM_E10value_typeET4_T5_PSR_SS_PNS1_23onesweep_lookback_stateEbbT6_jjT7_P12ihipStream_tbENKUlT_T0_SG_SL_E_clIS9_SA_SB_SB_EEDaSZ_S10_SG_SL_EUlSZ_E_NS1_11comp_targetILNS1_3genE4ELNS1_11target_archE910ELNS1_3gpuE8ELNS1_3repE0EEENS1_47radix_sort_onesweep_sort_config_static_selectorELNS0_4arch9wavefront6targetE0EEEvSG_
		.amdhsa_group_segment_fixed_size 0
		.amdhsa_private_segment_fixed_size 0
		.amdhsa_kernarg_size 88
		.amdhsa_user_sgpr_count 2
		.amdhsa_user_sgpr_dispatch_ptr 0
		.amdhsa_user_sgpr_queue_ptr 0
		.amdhsa_user_sgpr_kernarg_segment_ptr 1
		.amdhsa_user_sgpr_dispatch_id 0
		.amdhsa_user_sgpr_kernarg_preload_length 0
		.amdhsa_user_sgpr_kernarg_preload_offset 0
		.amdhsa_user_sgpr_private_segment_size 0
		.amdhsa_wavefront_size32 1
		.amdhsa_uses_dynamic_stack 0
		.amdhsa_enable_private_segment 0
		.amdhsa_system_sgpr_workgroup_id_x 1
		.amdhsa_system_sgpr_workgroup_id_y 0
		.amdhsa_system_sgpr_workgroup_id_z 0
		.amdhsa_system_sgpr_workgroup_info 0
		.amdhsa_system_vgpr_workitem_id 0
		.amdhsa_next_free_vgpr 1
		.amdhsa_next_free_sgpr 1
		.amdhsa_named_barrier_count 0
		.amdhsa_reserve_vcc 0
		.amdhsa_float_round_mode_32 0
		.amdhsa_float_round_mode_16_64 0
		.amdhsa_float_denorm_mode_32 3
		.amdhsa_float_denorm_mode_16_64 3
		.amdhsa_fp16_overflow 0
		.amdhsa_memory_ordered 1
		.amdhsa_forward_progress 1
		.amdhsa_inst_pref_size 0
		.amdhsa_round_robin_scheduling 0
		.amdhsa_exception_fp_ieee_invalid_op 0
		.amdhsa_exception_fp_denorm_src 0
		.amdhsa_exception_fp_ieee_div_zero 0
		.amdhsa_exception_fp_ieee_overflow 0
		.amdhsa_exception_fp_ieee_underflow 0
		.amdhsa_exception_fp_ieee_inexact 0
		.amdhsa_exception_int_div_zero 0
	.end_amdhsa_kernel
	.section	.text._ZN7rocprim17ROCPRIM_400000_NS6detail17trampoline_kernelINS0_14default_configENS1_35radix_sort_onesweep_config_selectorItNS0_10empty_typeEEEZZNS1_29radix_sort_onesweep_iterationIS3_Lb1EPKtPtPS5_SB_mNS0_19identity_decomposerENS1_16block_id_wrapperIjLb0EEEEE10hipError_tT1_PNSt15iterator_traitsISG_E10value_typeET2_T3_PNSH_ISM_E10value_typeET4_T5_PSR_SS_PNS1_23onesweep_lookback_stateEbbT6_jjT7_P12ihipStream_tbENKUlT_T0_SG_SL_E_clIS9_SA_SB_SB_EEDaSZ_S10_SG_SL_EUlSZ_E_NS1_11comp_targetILNS1_3genE4ELNS1_11target_archE910ELNS1_3gpuE8ELNS1_3repE0EEENS1_47radix_sort_onesweep_sort_config_static_selectorELNS0_4arch9wavefront6targetE0EEEvSG_,"axG",@progbits,_ZN7rocprim17ROCPRIM_400000_NS6detail17trampoline_kernelINS0_14default_configENS1_35radix_sort_onesweep_config_selectorItNS0_10empty_typeEEEZZNS1_29radix_sort_onesweep_iterationIS3_Lb1EPKtPtPS5_SB_mNS0_19identity_decomposerENS1_16block_id_wrapperIjLb0EEEEE10hipError_tT1_PNSt15iterator_traitsISG_E10value_typeET2_T3_PNSH_ISM_E10value_typeET4_T5_PSR_SS_PNS1_23onesweep_lookback_stateEbbT6_jjT7_P12ihipStream_tbENKUlT_T0_SG_SL_E_clIS9_SA_SB_SB_EEDaSZ_S10_SG_SL_EUlSZ_E_NS1_11comp_targetILNS1_3genE4ELNS1_11target_archE910ELNS1_3gpuE8ELNS1_3repE0EEENS1_47radix_sort_onesweep_sort_config_static_selectorELNS0_4arch9wavefront6targetE0EEEvSG_,comdat
.Lfunc_end2408:
	.size	_ZN7rocprim17ROCPRIM_400000_NS6detail17trampoline_kernelINS0_14default_configENS1_35radix_sort_onesweep_config_selectorItNS0_10empty_typeEEEZZNS1_29radix_sort_onesweep_iterationIS3_Lb1EPKtPtPS5_SB_mNS0_19identity_decomposerENS1_16block_id_wrapperIjLb0EEEEE10hipError_tT1_PNSt15iterator_traitsISG_E10value_typeET2_T3_PNSH_ISM_E10value_typeET4_T5_PSR_SS_PNS1_23onesweep_lookback_stateEbbT6_jjT7_P12ihipStream_tbENKUlT_T0_SG_SL_E_clIS9_SA_SB_SB_EEDaSZ_S10_SG_SL_EUlSZ_E_NS1_11comp_targetILNS1_3genE4ELNS1_11target_archE910ELNS1_3gpuE8ELNS1_3repE0EEENS1_47radix_sort_onesweep_sort_config_static_selectorELNS0_4arch9wavefront6targetE0EEEvSG_, .Lfunc_end2408-_ZN7rocprim17ROCPRIM_400000_NS6detail17trampoline_kernelINS0_14default_configENS1_35radix_sort_onesweep_config_selectorItNS0_10empty_typeEEEZZNS1_29radix_sort_onesweep_iterationIS3_Lb1EPKtPtPS5_SB_mNS0_19identity_decomposerENS1_16block_id_wrapperIjLb0EEEEE10hipError_tT1_PNSt15iterator_traitsISG_E10value_typeET2_T3_PNSH_ISM_E10value_typeET4_T5_PSR_SS_PNS1_23onesweep_lookback_stateEbbT6_jjT7_P12ihipStream_tbENKUlT_T0_SG_SL_E_clIS9_SA_SB_SB_EEDaSZ_S10_SG_SL_EUlSZ_E_NS1_11comp_targetILNS1_3genE4ELNS1_11target_archE910ELNS1_3gpuE8ELNS1_3repE0EEENS1_47radix_sort_onesweep_sort_config_static_selectorELNS0_4arch9wavefront6targetE0EEEvSG_
                                        ; -- End function
	.set _ZN7rocprim17ROCPRIM_400000_NS6detail17trampoline_kernelINS0_14default_configENS1_35radix_sort_onesweep_config_selectorItNS0_10empty_typeEEEZZNS1_29radix_sort_onesweep_iterationIS3_Lb1EPKtPtPS5_SB_mNS0_19identity_decomposerENS1_16block_id_wrapperIjLb0EEEEE10hipError_tT1_PNSt15iterator_traitsISG_E10value_typeET2_T3_PNSH_ISM_E10value_typeET4_T5_PSR_SS_PNS1_23onesweep_lookback_stateEbbT6_jjT7_P12ihipStream_tbENKUlT_T0_SG_SL_E_clIS9_SA_SB_SB_EEDaSZ_S10_SG_SL_EUlSZ_E_NS1_11comp_targetILNS1_3genE4ELNS1_11target_archE910ELNS1_3gpuE8ELNS1_3repE0EEENS1_47radix_sort_onesweep_sort_config_static_selectorELNS0_4arch9wavefront6targetE0EEEvSG_.num_vgpr, 0
	.set _ZN7rocprim17ROCPRIM_400000_NS6detail17trampoline_kernelINS0_14default_configENS1_35radix_sort_onesweep_config_selectorItNS0_10empty_typeEEEZZNS1_29radix_sort_onesweep_iterationIS3_Lb1EPKtPtPS5_SB_mNS0_19identity_decomposerENS1_16block_id_wrapperIjLb0EEEEE10hipError_tT1_PNSt15iterator_traitsISG_E10value_typeET2_T3_PNSH_ISM_E10value_typeET4_T5_PSR_SS_PNS1_23onesweep_lookback_stateEbbT6_jjT7_P12ihipStream_tbENKUlT_T0_SG_SL_E_clIS9_SA_SB_SB_EEDaSZ_S10_SG_SL_EUlSZ_E_NS1_11comp_targetILNS1_3genE4ELNS1_11target_archE910ELNS1_3gpuE8ELNS1_3repE0EEENS1_47radix_sort_onesweep_sort_config_static_selectorELNS0_4arch9wavefront6targetE0EEEvSG_.num_agpr, 0
	.set _ZN7rocprim17ROCPRIM_400000_NS6detail17trampoline_kernelINS0_14default_configENS1_35radix_sort_onesweep_config_selectorItNS0_10empty_typeEEEZZNS1_29radix_sort_onesweep_iterationIS3_Lb1EPKtPtPS5_SB_mNS0_19identity_decomposerENS1_16block_id_wrapperIjLb0EEEEE10hipError_tT1_PNSt15iterator_traitsISG_E10value_typeET2_T3_PNSH_ISM_E10value_typeET4_T5_PSR_SS_PNS1_23onesweep_lookback_stateEbbT6_jjT7_P12ihipStream_tbENKUlT_T0_SG_SL_E_clIS9_SA_SB_SB_EEDaSZ_S10_SG_SL_EUlSZ_E_NS1_11comp_targetILNS1_3genE4ELNS1_11target_archE910ELNS1_3gpuE8ELNS1_3repE0EEENS1_47radix_sort_onesweep_sort_config_static_selectorELNS0_4arch9wavefront6targetE0EEEvSG_.numbered_sgpr, 0
	.set _ZN7rocprim17ROCPRIM_400000_NS6detail17trampoline_kernelINS0_14default_configENS1_35radix_sort_onesweep_config_selectorItNS0_10empty_typeEEEZZNS1_29radix_sort_onesweep_iterationIS3_Lb1EPKtPtPS5_SB_mNS0_19identity_decomposerENS1_16block_id_wrapperIjLb0EEEEE10hipError_tT1_PNSt15iterator_traitsISG_E10value_typeET2_T3_PNSH_ISM_E10value_typeET4_T5_PSR_SS_PNS1_23onesweep_lookback_stateEbbT6_jjT7_P12ihipStream_tbENKUlT_T0_SG_SL_E_clIS9_SA_SB_SB_EEDaSZ_S10_SG_SL_EUlSZ_E_NS1_11comp_targetILNS1_3genE4ELNS1_11target_archE910ELNS1_3gpuE8ELNS1_3repE0EEENS1_47radix_sort_onesweep_sort_config_static_selectorELNS0_4arch9wavefront6targetE0EEEvSG_.num_named_barrier, 0
	.set _ZN7rocprim17ROCPRIM_400000_NS6detail17trampoline_kernelINS0_14default_configENS1_35radix_sort_onesweep_config_selectorItNS0_10empty_typeEEEZZNS1_29radix_sort_onesweep_iterationIS3_Lb1EPKtPtPS5_SB_mNS0_19identity_decomposerENS1_16block_id_wrapperIjLb0EEEEE10hipError_tT1_PNSt15iterator_traitsISG_E10value_typeET2_T3_PNSH_ISM_E10value_typeET4_T5_PSR_SS_PNS1_23onesweep_lookback_stateEbbT6_jjT7_P12ihipStream_tbENKUlT_T0_SG_SL_E_clIS9_SA_SB_SB_EEDaSZ_S10_SG_SL_EUlSZ_E_NS1_11comp_targetILNS1_3genE4ELNS1_11target_archE910ELNS1_3gpuE8ELNS1_3repE0EEENS1_47radix_sort_onesweep_sort_config_static_selectorELNS0_4arch9wavefront6targetE0EEEvSG_.private_seg_size, 0
	.set _ZN7rocprim17ROCPRIM_400000_NS6detail17trampoline_kernelINS0_14default_configENS1_35radix_sort_onesweep_config_selectorItNS0_10empty_typeEEEZZNS1_29radix_sort_onesweep_iterationIS3_Lb1EPKtPtPS5_SB_mNS0_19identity_decomposerENS1_16block_id_wrapperIjLb0EEEEE10hipError_tT1_PNSt15iterator_traitsISG_E10value_typeET2_T3_PNSH_ISM_E10value_typeET4_T5_PSR_SS_PNS1_23onesweep_lookback_stateEbbT6_jjT7_P12ihipStream_tbENKUlT_T0_SG_SL_E_clIS9_SA_SB_SB_EEDaSZ_S10_SG_SL_EUlSZ_E_NS1_11comp_targetILNS1_3genE4ELNS1_11target_archE910ELNS1_3gpuE8ELNS1_3repE0EEENS1_47radix_sort_onesweep_sort_config_static_selectorELNS0_4arch9wavefront6targetE0EEEvSG_.uses_vcc, 0
	.set _ZN7rocprim17ROCPRIM_400000_NS6detail17trampoline_kernelINS0_14default_configENS1_35radix_sort_onesweep_config_selectorItNS0_10empty_typeEEEZZNS1_29radix_sort_onesweep_iterationIS3_Lb1EPKtPtPS5_SB_mNS0_19identity_decomposerENS1_16block_id_wrapperIjLb0EEEEE10hipError_tT1_PNSt15iterator_traitsISG_E10value_typeET2_T3_PNSH_ISM_E10value_typeET4_T5_PSR_SS_PNS1_23onesweep_lookback_stateEbbT6_jjT7_P12ihipStream_tbENKUlT_T0_SG_SL_E_clIS9_SA_SB_SB_EEDaSZ_S10_SG_SL_EUlSZ_E_NS1_11comp_targetILNS1_3genE4ELNS1_11target_archE910ELNS1_3gpuE8ELNS1_3repE0EEENS1_47radix_sort_onesweep_sort_config_static_selectorELNS0_4arch9wavefront6targetE0EEEvSG_.uses_flat_scratch, 0
	.set _ZN7rocprim17ROCPRIM_400000_NS6detail17trampoline_kernelINS0_14default_configENS1_35radix_sort_onesweep_config_selectorItNS0_10empty_typeEEEZZNS1_29radix_sort_onesweep_iterationIS3_Lb1EPKtPtPS5_SB_mNS0_19identity_decomposerENS1_16block_id_wrapperIjLb0EEEEE10hipError_tT1_PNSt15iterator_traitsISG_E10value_typeET2_T3_PNSH_ISM_E10value_typeET4_T5_PSR_SS_PNS1_23onesweep_lookback_stateEbbT6_jjT7_P12ihipStream_tbENKUlT_T0_SG_SL_E_clIS9_SA_SB_SB_EEDaSZ_S10_SG_SL_EUlSZ_E_NS1_11comp_targetILNS1_3genE4ELNS1_11target_archE910ELNS1_3gpuE8ELNS1_3repE0EEENS1_47radix_sort_onesweep_sort_config_static_selectorELNS0_4arch9wavefront6targetE0EEEvSG_.has_dyn_sized_stack, 0
	.set _ZN7rocprim17ROCPRIM_400000_NS6detail17trampoline_kernelINS0_14default_configENS1_35radix_sort_onesweep_config_selectorItNS0_10empty_typeEEEZZNS1_29radix_sort_onesweep_iterationIS3_Lb1EPKtPtPS5_SB_mNS0_19identity_decomposerENS1_16block_id_wrapperIjLb0EEEEE10hipError_tT1_PNSt15iterator_traitsISG_E10value_typeET2_T3_PNSH_ISM_E10value_typeET4_T5_PSR_SS_PNS1_23onesweep_lookback_stateEbbT6_jjT7_P12ihipStream_tbENKUlT_T0_SG_SL_E_clIS9_SA_SB_SB_EEDaSZ_S10_SG_SL_EUlSZ_E_NS1_11comp_targetILNS1_3genE4ELNS1_11target_archE910ELNS1_3gpuE8ELNS1_3repE0EEENS1_47radix_sort_onesweep_sort_config_static_selectorELNS0_4arch9wavefront6targetE0EEEvSG_.has_recursion, 0
	.set _ZN7rocprim17ROCPRIM_400000_NS6detail17trampoline_kernelINS0_14default_configENS1_35radix_sort_onesweep_config_selectorItNS0_10empty_typeEEEZZNS1_29radix_sort_onesweep_iterationIS3_Lb1EPKtPtPS5_SB_mNS0_19identity_decomposerENS1_16block_id_wrapperIjLb0EEEEE10hipError_tT1_PNSt15iterator_traitsISG_E10value_typeET2_T3_PNSH_ISM_E10value_typeET4_T5_PSR_SS_PNS1_23onesweep_lookback_stateEbbT6_jjT7_P12ihipStream_tbENKUlT_T0_SG_SL_E_clIS9_SA_SB_SB_EEDaSZ_S10_SG_SL_EUlSZ_E_NS1_11comp_targetILNS1_3genE4ELNS1_11target_archE910ELNS1_3gpuE8ELNS1_3repE0EEENS1_47radix_sort_onesweep_sort_config_static_selectorELNS0_4arch9wavefront6targetE0EEEvSG_.has_indirect_call, 0
	.section	.AMDGPU.csdata,"",@progbits
; Kernel info:
; codeLenInByte = 0
; TotalNumSgprs: 0
; NumVgprs: 0
; ScratchSize: 0
; MemoryBound: 0
; FloatMode: 240
; IeeeMode: 1
; LDSByteSize: 0 bytes/workgroup (compile time only)
; SGPRBlocks: 0
; VGPRBlocks: 0
; NumSGPRsForWavesPerEU: 1
; NumVGPRsForWavesPerEU: 1
; NamedBarCnt: 0
; Occupancy: 16
; WaveLimiterHint : 0
; COMPUTE_PGM_RSRC2:SCRATCH_EN: 0
; COMPUTE_PGM_RSRC2:USER_SGPR: 2
; COMPUTE_PGM_RSRC2:TRAP_HANDLER: 0
; COMPUTE_PGM_RSRC2:TGID_X_EN: 1
; COMPUTE_PGM_RSRC2:TGID_Y_EN: 0
; COMPUTE_PGM_RSRC2:TGID_Z_EN: 0
; COMPUTE_PGM_RSRC2:TIDIG_COMP_CNT: 0
	.section	.text._ZN7rocprim17ROCPRIM_400000_NS6detail17trampoline_kernelINS0_14default_configENS1_35radix_sort_onesweep_config_selectorItNS0_10empty_typeEEEZZNS1_29radix_sort_onesweep_iterationIS3_Lb1EPKtPtPS5_SB_mNS0_19identity_decomposerENS1_16block_id_wrapperIjLb0EEEEE10hipError_tT1_PNSt15iterator_traitsISG_E10value_typeET2_T3_PNSH_ISM_E10value_typeET4_T5_PSR_SS_PNS1_23onesweep_lookback_stateEbbT6_jjT7_P12ihipStream_tbENKUlT_T0_SG_SL_E_clIS9_SA_SB_SB_EEDaSZ_S10_SG_SL_EUlSZ_E_NS1_11comp_targetILNS1_3genE3ELNS1_11target_archE908ELNS1_3gpuE7ELNS1_3repE0EEENS1_47radix_sort_onesweep_sort_config_static_selectorELNS0_4arch9wavefront6targetE0EEEvSG_,"axG",@progbits,_ZN7rocprim17ROCPRIM_400000_NS6detail17trampoline_kernelINS0_14default_configENS1_35radix_sort_onesweep_config_selectorItNS0_10empty_typeEEEZZNS1_29radix_sort_onesweep_iterationIS3_Lb1EPKtPtPS5_SB_mNS0_19identity_decomposerENS1_16block_id_wrapperIjLb0EEEEE10hipError_tT1_PNSt15iterator_traitsISG_E10value_typeET2_T3_PNSH_ISM_E10value_typeET4_T5_PSR_SS_PNS1_23onesweep_lookback_stateEbbT6_jjT7_P12ihipStream_tbENKUlT_T0_SG_SL_E_clIS9_SA_SB_SB_EEDaSZ_S10_SG_SL_EUlSZ_E_NS1_11comp_targetILNS1_3genE3ELNS1_11target_archE908ELNS1_3gpuE7ELNS1_3repE0EEENS1_47radix_sort_onesweep_sort_config_static_selectorELNS0_4arch9wavefront6targetE0EEEvSG_,comdat
	.protected	_ZN7rocprim17ROCPRIM_400000_NS6detail17trampoline_kernelINS0_14default_configENS1_35radix_sort_onesweep_config_selectorItNS0_10empty_typeEEEZZNS1_29radix_sort_onesweep_iterationIS3_Lb1EPKtPtPS5_SB_mNS0_19identity_decomposerENS1_16block_id_wrapperIjLb0EEEEE10hipError_tT1_PNSt15iterator_traitsISG_E10value_typeET2_T3_PNSH_ISM_E10value_typeET4_T5_PSR_SS_PNS1_23onesweep_lookback_stateEbbT6_jjT7_P12ihipStream_tbENKUlT_T0_SG_SL_E_clIS9_SA_SB_SB_EEDaSZ_S10_SG_SL_EUlSZ_E_NS1_11comp_targetILNS1_3genE3ELNS1_11target_archE908ELNS1_3gpuE7ELNS1_3repE0EEENS1_47radix_sort_onesweep_sort_config_static_selectorELNS0_4arch9wavefront6targetE0EEEvSG_ ; -- Begin function _ZN7rocprim17ROCPRIM_400000_NS6detail17trampoline_kernelINS0_14default_configENS1_35radix_sort_onesweep_config_selectorItNS0_10empty_typeEEEZZNS1_29radix_sort_onesweep_iterationIS3_Lb1EPKtPtPS5_SB_mNS0_19identity_decomposerENS1_16block_id_wrapperIjLb0EEEEE10hipError_tT1_PNSt15iterator_traitsISG_E10value_typeET2_T3_PNSH_ISM_E10value_typeET4_T5_PSR_SS_PNS1_23onesweep_lookback_stateEbbT6_jjT7_P12ihipStream_tbENKUlT_T0_SG_SL_E_clIS9_SA_SB_SB_EEDaSZ_S10_SG_SL_EUlSZ_E_NS1_11comp_targetILNS1_3genE3ELNS1_11target_archE908ELNS1_3gpuE7ELNS1_3repE0EEENS1_47radix_sort_onesweep_sort_config_static_selectorELNS0_4arch9wavefront6targetE0EEEvSG_
	.globl	_ZN7rocprim17ROCPRIM_400000_NS6detail17trampoline_kernelINS0_14default_configENS1_35radix_sort_onesweep_config_selectorItNS0_10empty_typeEEEZZNS1_29radix_sort_onesweep_iterationIS3_Lb1EPKtPtPS5_SB_mNS0_19identity_decomposerENS1_16block_id_wrapperIjLb0EEEEE10hipError_tT1_PNSt15iterator_traitsISG_E10value_typeET2_T3_PNSH_ISM_E10value_typeET4_T5_PSR_SS_PNS1_23onesweep_lookback_stateEbbT6_jjT7_P12ihipStream_tbENKUlT_T0_SG_SL_E_clIS9_SA_SB_SB_EEDaSZ_S10_SG_SL_EUlSZ_E_NS1_11comp_targetILNS1_3genE3ELNS1_11target_archE908ELNS1_3gpuE7ELNS1_3repE0EEENS1_47radix_sort_onesweep_sort_config_static_selectorELNS0_4arch9wavefront6targetE0EEEvSG_
	.p2align	8
	.type	_ZN7rocprim17ROCPRIM_400000_NS6detail17trampoline_kernelINS0_14default_configENS1_35radix_sort_onesweep_config_selectorItNS0_10empty_typeEEEZZNS1_29radix_sort_onesweep_iterationIS3_Lb1EPKtPtPS5_SB_mNS0_19identity_decomposerENS1_16block_id_wrapperIjLb0EEEEE10hipError_tT1_PNSt15iterator_traitsISG_E10value_typeET2_T3_PNSH_ISM_E10value_typeET4_T5_PSR_SS_PNS1_23onesweep_lookback_stateEbbT6_jjT7_P12ihipStream_tbENKUlT_T0_SG_SL_E_clIS9_SA_SB_SB_EEDaSZ_S10_SG_SL_EUlSZ_E_NS1_11comp_targetILNS1_3genE3ELNS1_11target_archE908ELNS1_3gpuE7ELNS1_3repE0EEENS1_47radix_sort_onesweep_sort_config_static_selectorELNS0_4arch9wavefront6targetE0EEEvSG_,@function
_ZN7rocprim17ROCPRIM_400000_NS6detail17trampoline_kernelINS0_14default_configENS1_35radix_sort_onesweep_config_selectorItNS0_10empty_typeEEEZZNS1_29radix_sort_onesweep_iterationIS3_Lb1EPKtPtPS5_SB_mNS0_19identity_decomposerENS1_16block_id_wrapperIjLb0EEEEE10hipError_tT1_PNSt15iterator_traitsISG_E10value_typeET2_T3_PNSH_ISM_E10value_typeET4_T5_PSR_SS_PNS1_23onesweep_lookback_stateEbbT6_jjT7_P12ihipStream_tbENKUlT_T0_SG_SL_E_clIS9_SA_SB_SB_EEDaSZ_S10_SG_SL_EUlSZ_E_NS1_11comp_targetILNS1_3genE3ELNS1_11target_archE908ELNS1_3gpuE7ELNS1_3repE0EEENS1_47radix_sort_onesweep_sort_config_static_selectorELNS0_4arch9wavefront6targetE0EEEvSG_: ; @_ZN7rocprim17ROCPRIM_400000_NS6detail17trampoline_kernelINS0_14default_configENS1_35radix_sort_onesweep_config_selectorItNS0_10empty_typeEEEZZNS1_29radix_sort_onesweep_iterationIS3_Lb1EPKtPtPS5_SB_mNS0_19identity_decomposerENS1_16block_id_wrapperIjLb0EEEEE10hipError_tT1_PNSt15iterator_traitsISG_E10value_typeET2_T3_PNSH_ISM_E10value_typeET4_T5_PSR_SS_PNS1_23onesweep_lookback_stateEbbT6_jjT7_P12ihipStream_tbENKUlT_T0_SG_SL_E_clIS9_SA_SB_SB_EEDaSZ_S10_SG_SL_EUlSZ_E_NS1_11comp_targetILNS1_3genE3ELNS1_11target_archE908ELNS1_3gpuE7ELNS1_3repE0EEENS1_47radix_sort_onesweep_sort_config_static_selectorELNS0_4arch9wavefront6targetE0EEEvSG_
; %bb.0:
	.section	.rodata,"a",@progbits
	.p2align	6, 0x0
	.amdhsa_kernel _ZN7rocprim17ROCPRIM_400000_NS6detail17trampoline_kernelINS0_14default_configENS1_35radix_sort_onesweep_config_selectorItNS0_10empty_typeEEEZZNS1_29radix_sort_onesweep_iterationIS3_Lb1EPKtPtPS5_SB_mNS0_19identity_decomposerENS1_16block_id_wrapperIjLb0EEEEE10hipError_tT1_PNSt15iterator_traitsISG_E10value_typeET2_T3_PNSH_ISM_E10value_typeET4_T5_PSR_SS_PNS1_23onesweep_lookback_stateEbbT6_jjT7_P12ihipStream_tbENKUlT_T0_SG_SL_E_clIS9_SA_SB_SB_EEDaSZ_S10_SG_SL_EUlSZ_E_NS1_11comp_targetILNS1_3genE3ELNS1_11target_archE908ELNS1_3gpuE7ELNS1_3repE0EEENS1_47radix_sort_onesweep_sort_config_static_selectorELNS0_4arch9wavefront6targetE0EEEvSG_
		.amdhsa_group_segment_fixed_size 0
		.amdhsa_private_segment_fixed_size 0
		.amdhsa_kernarg_size 88
		.amdhsa_user_sgpr_count 2
		.amdhsa_user_sgpr_dispatch_ptr 0
		.amdhsa_user_sgpr_queue_ptr 0
		.amdhsa_user_sgpr_kernarg_segment_ptr 1
		.amdhsa_user_sgpr_dispatch_id 0
		.amdhsa_user_sgpr_kernarg_preload_length 0
		.amdhsa_user_sgpr_kernarg_preload_offset 0
		.amdhsa_user_sgpr_private_segment_size 0
		.amdhsa_wavefront_size32 1
		.amdhsa_uses_dynamic_stack 0
		.amdhsa_enable_private_segment 0
		.amdhsa_system_sgpr_workgroup_id_x 1
		.amdhsa_system_sgpr_workgroup_id_y 0
		.amdhsa_system_sgpr_workgroup_id_z 0
		.amdhsa_system_sgpr_workgroup_info 0
		.amdhsa_system_vgpr_workitem_id 0
		.amdhsa_next_free_vgpr 1
		.amdhsa_next_free_sgpr 1
		.amdhsa_named_barrier_count 0
		.amdhsa_reserve_vcc 0
		.amdhsa_float_round_mode_32 0
		.amdhsa_float_round_mode_16_64 0
		.amdhsa_float_denorm_mode_32 3
		.amdhsa_float_denorm_mode_16_64 3
		.amdhsa_fp16_overflow 0
		.amdhsa_memory_ordered 1
		.amdhsa_forward_progress 1
		.amdhsa_inst_pref_size 0
		.amdhsa_round_robin_scheduling 0
		.amdhsa_exception_fp_ieee_invalid_op 0
		.amdhsa_exception_fp_denorm_src 0
		.amdhsa_exception_fp_ieee_div_zero 0
		.amdhsa_exception_fp_ieee_overflow 0
		.amdhsa_exception_fp_ieee_underflow 0
		.amdhsa_exception_fp_ieee_inexact 0
		.amdhsa_exception_int_div_zero 0
	.end_amdhsa_kernel
	.section	.text._ZN7rocprim17ROCPRIM_400000_NS6detail17trampoline_kernelINS0_14default_configENS1_35radix_sort_onesweep_config_selectorItNS0_10empty_typeEEEZZNS1_29radix_sort_onesweep_iterationIS3_Lb1EPKtPtPS5_SB_mNS0_19identity_decomposerENS1_16block_id_wrapperIjLb0EEEEE10hipError_tT1_PNSt15iterator_traitsISG_E10value_typeET2_T3_PNSH_ISM_E10value_typeET4_T5_PSR_SS_PNS1_23onesweep_lookback_stateEbbT6_jjT7_P12ihipStream_tbENKUlT_T0_SG_SL_E_clIS9_SA_SB_SB_EEDaSZ_S10_SG_SL_EUlSZ_E_NS1_11comp_targetILNS1_3genE3ELNS1_11target_archE908ELNS1_3gpuE7ELNS1_3repE0EEENS1_47radix_sort_onesweep_sort_config_static_selectorELNS0_4arch9wavefront6targetE0EEEvSG_,"axG",@progbits,_ZN7rocprim17ROCPRIM_400000_NS6detail17trampoline_kernelINS0_14default_configENS1_35radix_sort_onesweep_config_selectorItNS0_10empty_typeEEEZZNS1_29radix_sort_onesweep_iterationIS3_Lb1EPKtPtPS5_SB_mNS0_19identity_decomposerENS1_16block_id_wrapperIjLb0EEEEE10hipError_tT1_PNSt15iterator_traitsISG_E10value_typeET2_T3_PNSH_ISM_E10value_typeET4_T5_PSR_SS_PNS1_23onesweep_lookback_stateEbbT6_jjT7_P12ihipStream_tbENKUlT_T0_SG_SL_E_clIS9_SA_SB_SB_EEDaSZ_S10_SG_SL_EUlSZ_E_NS1_11comp_targetILNS1_3genE3ELNS1_11target_archE908ELNS1_3gpuE7ELNS1_3repE0EEENS1_47radix_sort_onesweep_sort_config_static_selectorELNS0_4arch9wavefront6targetE0EEEvSG_,comdat
.Lfunc_end2409:
	.size	_ZN7rocprim17ROCPRIM_400000_NS6detail17trampoline_kernelINS0_14default_configENS1_35radix_sort_onesweep_config_selectorItNS0_10empty_typeEEEZZNS1_29radix_sort_onesweep_iterationIS3_Lb1EPKtPtPS5_SB_mNS0_19identity_decomposerENS1_16block_id_wrapperIjLb0EEEEE10hipError_tT1_PNSt15iterator_traitsISG_E10value_typeET2_T3_PNSH_ISM_E10value_typeET4_T5_PSR_SS_PNS1_23onesweep_lookback_stateEbbT6_jjT7_P12ihipStream_tbENKUlT_T0_SG_SL_E_clIS9_SA_SB_SB_EEDaSZ_S10_SG_SL_EUlSZ_E_NS1_11comp_targetILNS1_3genE3ELNS1_11target_archE908ELNS1_3gpuE7ELNS1_3repE0EEENS1_47radix_sort_onesweep_sort_config_static_selectorELNS0_4arch9wavefront6targetE0EEEvSG_, .Lfunc_end2409-_ZN7rocprim17ROCPRIM_400000_NS6detail17trampoline_kernelINS0_14default_configENS1_35radix_sort_onesweep_config_selectorItNS0_10empty_typeEEEZZNS1_29radix_sort_onesweep_iterationIS3_Lb1EPKtPtPS5_SB_mNS0_19identity_decomposerENS1_16block_id_wrapperIjLb0EEEEE10hipError_tT1_PNSt15iterator_traitsISG_E10value_typeET2_T3_PNSH_ISM_E10value_typeET4_T5_PSR_SS_PNS1_23onesweep_lookback_stateEbbT6_jjT7_P12ihipStream_tbENKUlT_T0_SG_SL_E_clIS9_SA_SB_SB_EEDaSZ_S10_SG_SL_EUlSZ_E_NS1_11comp_targetILNS1_3genE3ELNS1_11target_archE908ELNS1_3gpuE7ELNS1_3repE0EEENS1_47radix_sort_onesweep_sort_config_static_selectorELNS0_4arch9wavefront6targetE0EEEvSG_
                                        ; -- End function
	.set _ZN7rocprim17ROCPRIM_400000_NS6detail17trampoline_kernelINS0_14default_configENS1_35radix_sort_onesweep_config_selectorItNS0_10empty_typeEEEZZNS1_29radix_sort_onesweep_iterationIS3_Lb1EPKtPtPS5_SB_mNS0_19identity_decomposerENS1_16block_id_wrapperIjLb0EEEEE10hipError_tT1_PNSt15iterator_traitsISG_E10value_typeET2_T3_PNSH_ISM_E10value_typeET4_T5_PSR_SS_PNS1_23onesweep_lookback_stateEbbT6_jjT7_P12ihipStream_tbENKUlT_T0_SG_SL_E_clIS9_SA_SB_SB_EEDaSZ_S10_SG_SL_EUlSZ_E_NS1_11comp_targetILNS1_3genE3ELNS1_11target_archE908ELNS1_3gpuE7ELNS1_3repE0EEENS1_47radix_sort_onesweep_sort_config_static_selectorELNS0_4arch9wavefront6targetE0EEEvSG_.num_vgpr, 0
	.set _ZN7rocprim17ROCPRIM_400000_NS6detail17trampoline_kernelINS0_14default_configENS1_35radix_sort_onesweep_config_selectorItNS0_10empty_typeEEEZZNS1_29radix_sort_onesweep_iterationIS3_Lb1EPKtPtPS5_SB_mNS0_19identity_decomposerENS1_16block_id_wrapperIjLb0EEEEE10hipError_tT1_PNSt15iterator_traitsISG_E10value_typeET2_T3_PNSH_ISM_E10value_typeET4_T5_PSR_SS_PNS1_23onesweep_lookback_stateEbbT6_jjT7_P12ihipStream_tbENKUlT_T0_SG_SL_E_clIS9_SA_SB_SB_EEDaSZ_S10_SG_SL_EUlSZ_E_NS1_11comp_targetILNS1_3genE3ELNS1_11target_archE908ELNS1_3gpuE7ELNS1_3repE0EEENS1_47radix_sort_onesweep_sort_config_static_selectorELNS0_4arch9wavefront6targetE0EEEvSG_.num_agpr, 0
	.set _ZN7rocprim17ROCPRIM_400000_NS6detail17trampoline_kernelINS0_14default_configENS1_35radix_sort_onesweep_config_selectorItNS0_10empty_typeEEEZZNS1_29radix_sort_onesweep_iterationIS3_Lb1EPKtPtPS5_SB_mNS0_19identity_decomposerENS1_16block_id_wrapperIjLb0EEEEE10hipError_tT1_PNSt15iterator_traitsISG_E10value_typeET2_T3_PNSH_ISM_E10value_typeET4_T5_PSR_SS_PNS1_23onesweep_lookback_stateEbbT6_jjT7_P12ihipStream_tbENKUlT_T0_SG_SL_E_clIS9_SA_SB_SB_EEDaSZ_S10_SG_SL_EUlSZ_E_NS1_11comp_targetILNS1_3genE3ELNS1_11target_archE908ELNS1_3gpuE7ELNS1_3repE0EEENS1_47radix_sort_onesweep_sort_config_static_selectorELNS0_4arch9wavefront6targetE0EEEvSG_.numbered_sgpr, 0
	.set _ZN7rocprim17ROCPRIM_400000_NS6detail17trampoline_kernelINS0_14default_configENS1_35radix_sort_onesweep_config_selectorItNS0_10empty_typeEEEZZNS1_29radix_sort_onesweep_iterationIS3_Lb1EPKtPtPS5_SB_mNS0_19identity_decomposerENS1_16block_id_wrapperIjLb0EEEEE10hipError_tT1_PNSt15iterator_traitsISG_E10value_typeET2_T3_PNSH_ISM_E10value_typeET4_T5_PSR_SS_PNS1_23onesweep_lookback_stateEbbT6_jjT7_P12ihipStream_tbENKUlT_T0_SG_SL_E_clIS9_SA_SB_SB_EEDaSZ_S10_SG_SL_EUlSZ_E_NS1_11comp_targetILNS1_3genE3ELNS1_11target_archE908ELNS1_3gpuE7ELNS1_3repE0EEENS1_47radix_sort_onesweep_sort_config_static_selectorELNS0_4arch9wavefront6targetE0EEEvSG_.num_named_barrier, 0
	.set _ZN7rocprim17ROCPRIM_400000_NS6detail17trampoline_kernelINS0_14default_configENS1_35radix_sort_onesweep_config_selectorItNS0_10empty_typeEEEZZNS1_29radix_sort_onesweep_iterationIS3_Lb1EPKtPtPS5_SB_mNS0_19identity_decomposerENS1_16block_id_wrapperIjLb0EEEEE10hipError_tT1_PNSt15iterator_traitsISG_E10value_typeET2_T3_PNSH_ISM_E10value_typeET4_T5_PSR_SS_PNS1_23onesweep_lookback_stateEbbT6_jjT7_P12ihipStream_tbENKUlT_T0_SG_SL_E_clIS9_SA_SB_SB_EEDaSZ_S10_SG_SL_EUlSZ_E_NS1_11comp_targetILNS1_3genE3ELNS1_11target_archE908ELNS1_3gpuE7ELNS1_3repE0EEENS1_47radix_sort_onesweep_sort_config_static_selectorELNS0_4arch9wavefront6targetE0EEEvSG_.private_seg_size, 0
	.set _ZN7rocprim17ROCPRIM_400000_NS6detail17trampoline_kernelINS0_14default_configENS1_35radix_sort_onesweep_config_selectorItNS0_10empty_typeEEEZZNS1_29radix_sort_onesweep_iterationIS3_Lb1EPKtPtPS5_SB_mNS0_19identity_decomposerENS1_16block_id_wrapperIjLb0EEEEE10hipError_tT1_PNSt15iterator_traitsISG_E10value_typeET2_T3_PNSH_ISM_E10value_typeET4_T5_PSR_SS_PNS1_23onesweep_lookback_stateEbbT6_jjT7_P12ihipStream_tbENKUlT_T0_SG_SL_E_clIS9_SA_SB_SB_EEDaSZ_S10_SG_SL_EUlSZ_E_NS1_11comp_targetILNS1_3genE3ELNS1_11target_archE908ELNS1_3gpuE7ELNS1_3repE0EEENS1_47radix_sort_onesweep_sort_config_static_selectorELNS0_4arch9wavefront6targetE0EEEvSG_.uses_vcc, 0
	.set _ZN7rocprim17ROCPRIM_400000_NS6detail17trampoline_kernelINS0_14default_configENS1_35radix_sort_onesweep_config_selectorItNS0_10empty_typeEEEZZNS1_29radix_sort_onesweep_iterationIS3_Lb1EPKtPtPS5_SB_mNS0_19identity_decomposerENS1_16block_id_wrapperIjLb0EEEEE10hipError_tT1_PNSt15iterator_traitsISG_E10value_typeET2_T3_PNSH_ISM_E10value_typeET4_T5_PSR_SS_PNS1_23onesweep_lookback_stateEbbT6_jjT7_P12ihipStream_tbENKUlT_T0_SG_SL_E_clIS9_SA_SB_SB_EEDaSZ_S10_SG_SL_EUlSZ_E_NS1_11comp_targetILNS1_3genE3ELNS1_11target_archE908ELNS1_3gpuE7ELNS1_3repE0EEENS1_47radix_sort_onesweep_sort_config_static_selectorELNS0_4arch9wavefront6targetE0EEEvSG_.uses_flat_scratch, 0
	.set _ZN7rocprim17ROCPRIM_400000_NS6detail17trampoline_kernelINS0_14default_configENS1_35radix_sort_onesweep_config_selectorItNS0_10empty_typeEEEZZNS1_29radix_sort_onesweep_iterationIS3_Lb1EPKtPtPS5_SB_mNS0_19identity_decomposerENS1_16block_id_wrapperIjLb0EEEEE10hipError_tT1_PNSt15iterator_traitsISG_E10value_typeET2_T3_PNSH_ISM_E10value_typeET4_T5_PSR_SS_PNS1_23onesweep_lookback_stateEbbT6_jjT7_P12ihipStream_tbENKUlT_T0_SG_SL_E_clIS9_SA_SB_SB_EEDaSZ_S10_SG_SL_EUlSZ_E_NS1_11comp_targetILNS1_3genE3ELNS1_11target_archE908ELNS1_3gpuE7ELNS1_3repE0EEENS1_47radix_sort_onesweep_sort_config_static_selectorELNS0_4arch9wavefront6targetE0EEEvSG_.has_dyn_sized_stack, 0
	.set _ZN7rocprim17ROCPRIM_400000_NS6detail17trampoline_kernelINS0_14default_configENS1_35radix_sort_onesweep_config_selectorItNS0_10empty_typeEEEZZNS1_29radix_sort_onesweep_iterationIS3_Lb1EPKtPtPS5_SB_mNS0_19identity_decomposerENS1_16block_id_wrapperIjLb0EEEEE10hipError_tT1_PNSt15iterator_traitsISG_E10value_typeET2_T3_PNSH_ISM_E10value_typeET4_T5_PSR_SS_PNS1_23onesweep_lookback_stateEbbT6_jjT7_P12ihipStream_tbENKUlT_T0_SG_SL_E_clIS9_SA_SB_SB_EEDaSZ_S10_SG_SL_EUlSZ_E_NS1_11comp_targetILNS1_3genE3ELNS1_11target_archE908ELNS1_3gpuE7ELNS1_3repE0EEENS1_47radix_sort_onesweep_sort_config_static_selectorELNS0_4arch9wavefront6targetE0EEEvSG_.has_recursion, 0
	.set _ZN7rocprim17ROCPRIM_400000_NS6detail17trampoline_kernelINS0_14default_configENS1_35radix_sort_onesweep_config_selectorItNS0_10empty_typeEEEZZNS1_29radix_sort_onesweep_iterationIS3_Lb1EPKtPtPS5_SB_mNS0_19identity_decomposerENS1_16block_id_wrapperIjLb0EEEEE10hipError_tT1_PNSt15iterator_traitsISG_E10value_typeET2_T3_PNSH_ISM_E10value_typeET4_T5_PSR_SS_PNS1_23onesweep_lookback_stateEbbT6_jjT7_P12ihipStream_tbENKUlT_T0_SG_SL_E_clIS9_SA_SB_SB_EEDaSZ_S10_SG_SL_EUlSZ_E_NS1_11comp_targetILNS1_3genE3ELNS1_11target_archE908ELNS1_3gpuE7ELNS1_3repE0EEENS1_47radix_sort_onesweep_sort_config_static_selectorELNS0_4arch9wavefront6targetE0EEEvSG_.has_indirect_call, 0
	.section	.AMDGPU.csdata,"",@progbits
; Kernel info:
; codeLenInByte = 0
; TotalNumSgprs: 0
; NumVgprs: 0
; ScratchSize: 0
; MemoryBound: 0
; FloatMode: 240
; IeeeMode: 1
; LDSByteSize: 0 bytes/workgroup (compile time only)
; SGPRBlocks: 0
; VGPRBlocks: 0
; NumSGPRsForWavesPerEU: 1
; NumVGPRsForWavesPerEU: 1
; NamedBarCnt: 0
; Occupancy: 16
; WaveLimiterHint : 0
; COMPUTE_PGM_RSRC2:SCRATCH_EN: 0
; COMPUTE_PGM_RSRC2:USER_SGPR: 2
; COMPUTE_PGM_RSRC2:TRAP_HANDLER: 0
; COMPUTE_PGM_RSRC2:TGID_X_EN: 1
; COMPUTE_PGM_RSRC2:TGID_Y_EN: 0
; COMPUTE_PGM_RSRC2:TGID_Z_EN: 0
; COMPUTE_PGM_RSRC2:TIDIG_COMP_CNT: 0
	.section	.text._ZN7rocprim17ROCPRIM_400000_NS6detail17trampoline_kernelINS0_14default_configENS1_35radix_sort_onesweep_config_selectorItNS0_10empty_typeEEEZZNS1_29radix_sort_onesweep_iterationIS3_Lb1EPKtPtPS5_SB_mNS0_19identity_decomposerENS1_16block_id_wrapperIjLb0EEEEE10hipError_tT1_PNSt15iterator_traitsISG_E10value_typeET2_T3_PNSH_ISM_E10value_typeET4_T5_PSR_SS_PNS1_23onesweep_lookback_stateEbbT6_jjT7_P12ihipStream_tbENKUlT_T0_SG_SL_E_clIS9_SA_SB_SB_EEDaSZ_S10_SG_SL_EUlSZ_E_NS1_11comp_targetILNS1_3genE10ELNS1_11target_archE1201ELNS1_3gpuE5ELNS1_3repE0EEENS1_47radix_sort_onesweep_sort_config_static_selectorELNS0_4arch9wavefront6targetE0EEEvSG_,"axG",@progbits,_ZN7rocprim17ROCPRIM_400000_NS6detail17trampoline_kernelINS0_14default_configENS1_35radix_sort_onesweep_config_selectorItNS0_10empty_typeEEEZZNS1_29radix_sort_onesweep_iterationIS3_Lb1EPKtPtPS5_SB_mNS0_19identity_decomposerENS1_16block_id_wrapperIjLb0EEEEE10hipError_tT1_PNSt15iterator_traitsISG_E10value_typeET2_T3_PNSH_ISM_E10value_typeET4_T5_PSR_SS_PNS1_23onesweep_lookback_stateEbbT6_jjT7_P12ihipStream_tbENKUlT_T0_SG_SL_E_clIS9_SA_SB_SB_EEDaSZ_S10_SG_SL_EUlSZ_E_NS1_11comp_targetILNS1_3genE10ELNS1_11target_archE1201ELNS1_3gpuE5ELNS1_3repE0EEENS1_47radix_sort_onesweep_sort_config_static_selectorELNS0_4arch9wavefront6targetE0EEEvSG_,comdat
	.protected	_ZN7rocprim17ROCPRIM_400000_NS6detail17trampoline_kernelINS0_14default_configENS1_35radix_sort_onesweep_config_selectorItNS0_10empty_typeEEEZZNS1_29radix_sort_onesweep_iterationIS3_Lb1EPKtPtPS5_SB_mNS0_19identity_decomposerENS1_16block_id_wrapperIjLb0EEEEE10hipError_tT1_PNSt15iterator_traitsISG_E10value_typeET2_T3_PNSH_ISM_E10value_typeET4_T5_PSR_SS_PNS1_23onesweep_lookback_stateEbbT6_jjT7_P12ihipStream_tbENKUlT_T0_SG_SL_E_clIS9_SA_SB_SB_EEDaSZ_S10_SG_SL_EUlSZ_E_NS1_11comp_targetILNS1_3genE10ELNS1_11target_archE1201ELNS1_3gpuE5ELNS1_3repE0EEENS1_47radix_sort_onesweep_sort_config_static_selectorELNS0_4arch9wavefront6targetE0EEEvSG_ ; -- Begin function _ZN7rocprim17ROCPRIM_400000_NS6detail17trampoline_kernelINS0_14default_configENS1_35radix_sort_onesweep_config_selectorItNS0_10empty_typeEEEZZNS1_29radix_sort_onesweep_iterationIS3_Lb1EPKtPtPS5_SB_mNS0_19identity_decomposerENS1_16block_id_wrapperIjLb0EEEEE10hipError_tT1_PNSt15iterator_traitsISG_E10value_typeET2_T3_PNSH_ISM_E10value_typeET4_T5_PSR_SS_PNS1_23onesweep_lookback_stateEbbT6_jjT7_P12ihipStream_tbENKUlT_T0_SG_SL_E_clIS9_SA_SB_SB_EEDaSZ_S10_SG_SL_EUlSZ_E_NS1_11comp_targetILNS1_3genE10ELNS1_11target_archE1201ELNS1_3gpuE5ELNS1_3repE0EEENS1_47radix_sort_onesweep_sort_config_static_selectorELNS0_4arch9wavefront6targetE0EEEvSG_
	.globl	_ZN7rocprim17ROCPRIM_400000_NS6detail17trampoline_kernelINS0_14default_configENS1_35radix_sort_onesweep_config_selectorItNS0_10empty_typeEEEZZNS1_29radix_sort_onesweep_iterationIS3_Lb1EPKtPtPS5_SB_mNS0_19identity_decomposerENS1_16block_id_wrapperIjLb0EEEEE10hipError_tT1_PNSt15iterator_traitsISG_E10value_typeET2_T3_PNSH_ISM_E10value_typeET4_T5_PSR_SS_PNS1_23onesweep_lookback_stateEbbT6_jjT7_P12ihipStream_tbENKUlT_T0_SG_SL_E_clIS9_SA_SB_SB_EEDaSZ_S10_SG_SL_EUlSZ_E_NS1_11comp_targetILNS1_3genE10ELNS1_11target_archE1201ELNS1_3gpuE5ELNS1_3repE0EEENS1_47radix_sort_onesweep_sort_config_static_selectorELNS0_4arch9wavefront6targetE0EEEvSG_
	.p2align	8
	.type	_ZN7rocprim17ROCPRIM_400000_NS6detail17trampoline_kernelINS0_14default_configENS1_35radix_sort_onesweep_config_selectorItNS0_10empty_typeEEEZZNS1_29radix_sort_onesweep_iterationIS3_Lb1EPKtPtPS5_SB_mNS0_19identity_decomposerENS1_16block_id_wrapperIjLb0EEEEE10hipError_tT1_PNSt15iterator_traitsISG_E10value_typeET2_T3_PNSH_ISM_E10value_typeET4_T5_PSR_SS_PNS1_23onesweep_lookback_stateEbbT6_jjT7_P12ihipStream_tbENKUlT_T0_SG_SL_E_clIS9_SA_SB_SB_EEDaSZ_S10_SG_SL_EUlSZ_E_NS1_11comp_targetILNS1_3genE10ELNS1_11target_archE1201ELNS1_3gpuE5ELNS1_3repE0EEENS1_47radix_sort_onesweep_sort_config_static_selectorELNS0_4arch9wavefront6targetE0EEEvSG_,@function
_ZN7rocprim17ROCPRIM_400000_NS6detail17trampoline_kernelINS0_14default_configENS1_35radix_sort_onesweep_config_selectorItNS0_10empty_typeEEEZZNS1_29radix_sort_onesweep_iterationIS3_Lb1EPKtPtPS5_SB_mNS0_19identity_decomposerENS1_16block_id_wrapperIjLb0EEEEE10hipError_tT1_PNSt15iterator_traitsISG_E10value_typeET2_T3_PNSH_ISM_E10value_typeET4_T5_PSR_SS_PNS1_23onesweep_lookback_stateEbbT6_jjT7_P12ihipStream_tbENKUlT_T0_SG_SL_E_clIS9_SA_SB_SB_EEDaSZ_S10_SG_SL_EUlSZ_E_NS1_11comp_targetILNS1_3genE10ELNS1_11target_archE1201ELNS1_3gpuE5ELNS1_3repE0EEENS1_47radix_sort_onesweep_sort_config_static_selectorELNS0_4arch9wavefront6targetE0EEEvSG_: ; @_ZN7rocprim17ROCPRIM_400000_NS6detail17trampoline_kernelINS0_14default_configENS1_35radix_sort_onesweep_config_selectorItNS0_10empty_typeEEEZZNS1_29radix_sort_onesweep_iterationIS3_Lb1EPKtPtPS5_SB_mNS0_19identity_decomposerENS1_16block_id_wrapperIjLb0EEEEE10hipError_tT1_PNSt15iterator_traitsISG_E10value_typeET2_T3_PNSH_ISM_E10value_typeET4_T5_PSR_SS_PNS1_23onesweep_lookback_stateEbbT6_jjT7_P12ihipStream_tbENKUlT_T0_SG_SL_E_clIS9_SA_SB_SB_EEDaSZ_S10_SG_SL_EUlSZ_E_NS1_11comp_targetILNS1_3genE10ELNS1_11target_archE1201ELNS1_3gpuE5ELNS1_3repE0EEENS1_47radix_sort_onesweep_sort_config_static_selectorELNS0_4arch9wavefront6targetE0EEEvSG_
; %bb.0:
	.section	.rodata,"a",@progbits
	.p2align	6, 0x0
	.amdhsa_kernel _ZN7rocprim17ROCPRIM_400000_NS6detail17trampoline_kernelINS0_14default_configENS1_35radix_sort_onesweep_config_selectorItNS0_10empty_typeEEEZZNS1_29radix_sort_onesweep_iterationIS3_Lb1EPKtPtPS5_SB_mNS0_19identity_decomposerENS1_16block_id_wrapperIjLb0EEEEE10hipError_tT1_PNSt15iterator_traitsISG_E10value_typeET2_T3_PNSH_ISM_E10value_typeET4_T5_PSR_SS_PNS1_23onesweep_lookback_stateEbbT6_jjT7_P12ihipStream_tbENKUlT_T0_SG_SL_E_clIS9_SA_SB_SB_EEDaSZ_S10_SG_SL_EUlSZ_E_NS1_11comp_targetILNS1_3genE10ELNS1_11target_archE1201ELNS1_3gpuE5ELNS1_3repE0EEENS1_47radix_sort_onesweep_sort_config_static_selectorELNS0_4arch9wavefront6targetE0EEEvSG_
		.amdhsa_group_segment_fixed_size 0
		.amdhsa_private_segment_fixed_size 0
		.amdhsa_kernarg_size 88
		.amdhsa_user_sgpr_count 2
		.amdhsa_user_sgpr_dispatch_ptr 0
		.amdhsa_user_sgpr_queue_ptr 0
		.amdhsa_user_sgpr_kernarg_segment_ptr 1
		.amdhsa_user_sgpr_dispatch_id 0
		.amdhsa_user_sgpr_kernarg_preload_length 0
		.amdhsa_user_sgpr_kernarg_preload_offset 0
		.amdhsa_user_sgpr_private_segment_size 0
		.amdhsa_wavefront_size32 1
		.amdhsa_uses_dynamic_stack 0
		.amdhsa_enable_private_segment 0
		.amdhsa_system_sgpr_workgroup_id_x 1
		.amdhsa_system_sgpr_workgroup_id_y 0
		.amdhsa_system_sgpr_workgroup_id_z 0
		.amdhsa_system_sgpr_workgroup_info 0
		.amdhsa_system_vgpr_workitem_id 0
		.amdhsa_next_free_vgpr 1
		.amdhsa_next_free_sgpr 1
		.amdhsa_named_barrier_count 0
		.amdhsa_reserve_vcc 0
		.amdhsa_float_round_mode_32 0
		.amdhsa_float_round_mode_16_64 0
		.amdhsa_float_denorm_mode_32 3
		.amdhsa_float_denorm_mode_16_64 3
		.amdhsa_fp16_overflow 0
		.amdhsa_memory_ordered 1
		.amdhsa_forward_progress 1
		.amdhsa_inst_pref_size 0
		.amdhsa_round_robin_scheduling 0
		.amdhsa_exception_fp_ieee_invalid_op 0
		.amdhsa_exception_fp_denorm_src 0
		.amdhsa_exception_fp_ieee_div_zero 0
		.amdhsa_exception_fp_ieee_overflow 0
		.amdhsa_exception_fp_ieee_underflow 0
		.amdhsa_exception_fp_ieee_inexact 0
		.amdhsa_exception_int_div_zero 0
	.end_amdhsa_kernel
	.section	.text._ZN7rocprim17ROCPRIM_400000_NS6detail17trampoline_kernelINS0_14default_configENS1_35radix_sort_onesweep_config_selectorItNS0_10empty_typeEEEZZNS1_29radix_sort_onesweep_iterationIS3_Lb1EPKtPtPS5_SB_mNS0_19identity_decomposerENS1_16block_id_wrapperIjLb0EEEEE10hipError_tT1_PNSt15iterator_traitsISG_E10value_typeET2_T3_PNSH_ISM_E10value_typeET4_T5_PSR_SS_PNS1_23onesweep_lookback_stateEbbT6_jjT7_P12ihipStream_tbENKUlT_T0_SG_SL_E_clIS9_SA_SB_SB_EEDaSZ_S10_SG_SL_EUlSZ_E_NS1_11comp_targetILNS1_3genE10ELNS1_11target_archE1201ELNS1_3gpuE5ELNS1_3repE0EEENS1_47radix_sort_onesweep_sort_config_static_selectorELNS0_4arch9wavefront6targetE0EEEvSG_,"axG",@progbits,_ZN7rocprim17ROCPRIM_400000_NS6detail17trampoline_kernelINS0_14default_configENS1_35radix_sort_onesweep_config_selectorItNS0_10empty_typeEEEZZNS1_29radix_sort_onesweep_iterationIS3_Lb1EPKtPtPS5_SB_mNS0_19identity_decomposerENS1_16block_id_wrapperIjLb0EEEEE10hipError_tT1_PNSt15iterator_traitsISG_E10value_typeET2_T3_PNSH_ISM_E10value_typeET4_T5_PSR_SS_PNS1_23onesweep_lookback_stateEbbT6_jjT7_P12ihipStream_tbENKUlT_T0_SG_SL_E_clIS9_SA_SB_SB_EEDaSZ_S10_SG_SL_EUlSZ_E_NS1_11comp_targetILNS1_3genE10ELNS1_11target_archE1201ELNS1_3gpuE5ELNS1_3repE0EEENS1_47radix_sort_onesweep_sort_config_static_selectorELNS0_4arch9wavefront6targetE0EEEvSG_,comdat
.Lfunc_end2410:
	.size	_ZN7rocprim17ROCPRIM_400000_NS6detail17trampoline_kernelINS0_14default_configENS1_35radix_sort_onesweep_config_selectorItNS0_10empty_typeEEEZZNS1_29radix_sort_onesweep_iterationIS3_Lb1EPKtPtPS5_SB_mNS0_19identity_decomposerENS1_16block_id_wrapperIjLb0EEEEE10hipError_tT1_PNSt15iterator_traitsISG_E10value_typeET2_T3_PNSH_ISM_E10value_typeET4_T5_PSR_SS_PNS1_23onesweep_lookback_stateEbbT6_jjT7_P12ihipStream_tbENKUlT_T0_SG_SL_E_clIS9_SA_SB_SB_EEDaSZ_S10_SG_SL_EUlSZ_E_NS1_11comp_targetILNS1_3genE10ELNS1_11target_archE1201ELNS1_3gpuE5ELNS1_3repE0EEENS1_47radix_sort_onesweep_sort_config_static_selectorELNS0_4arch9wavefront6targetE0EEEvSG_, .Lfunc_end2410-_ZN7rocprim17ROCPRIM_400000_NS6detail17trampoline_kernelINS0_14default_configENS1_35radix_sort_onesweep_config_selectorItNS0_10empty_typeEEEZZNS1_29radix_sort_onesweep_iterationIS3_Lb1EPKtPtPS5_SB_mNS0_19identity_decomposerENS1_16block_id_wrapperIjLb0EEEEE10hipError_tT1_PNSt15iterator_traitsISG_E10value_typeET2_T3_PNSH_ISM_E10value_typeET4_T5_PSR_SS_PNS1_23onesweep_lookback_stateEbbT6_jjT7_P12ihipStream_tbENKUlT_T0_SG_SL_E_clIS9_SA_SB_SB_EEDaSZ_S10_SG_SL_EUlSZ_E_NS1_11comp_targetILNS1_3genE10ELNS1_11target_archE1201ELNS1_3gpuE5ELNS1_3repE0EEENS1_47radix_sort_onesweep_sort_config_static_selectorELNS0_4arch9wavefront6targetE0EEEvSG_
                                        ; -- End function
	.set _ZN7rocprim17ROCPRIM_400000_NS6detail17trampoline_kernelINS0_14default_configENS1_35radix_sort_onesweep_config_selectorItNS0_10empty_typeEEEZZNS1_29radix_sort_onesweep_iterationIS3_Lb1EPKtPtPS5_SB_mNS0_19identity_decomposerENS1_16block_id_wrapperIjLb0EEEEE10hipError_tT1_PNSt15iterator_traitsISG_E10value_typeET2_T3_PNSH_ISM_E10value_typeET4_T5_PSR_SS_PNS1_23onesweep_lookback_stateEbbT6_jjT7_P12ihipStream_tbENKUlT_T0_SG_SL_E_clIS9_SA_SB_SB_EEDaSZ_S10_SG_SL_EUlSZ_E_NS1_11comp_targetILNS1_3genE10ELNS1_11target_archE1201ELNS1_3gpuE5ELNS1_3repE0EEENS1_47radix_sort_onesweep_sort_config_static_selectorELNS0_4arch9wavefront6targetE0EEEvSG_.num_vgpr, 0
	.set _ZN7rocprim17ROCPRIM_400000_NS6detail17trampoline_kernelINS0_14default_configENS1_35radix_sort_onesweep_config_selectorItNS0_10empty_typeEEEZZNS1_29radix_sort_onesweep_iterationIS3_Lb1EPKtPtPS5_SB_mNS0_19identity_decomposerENS1_16block_id_wrapperIjLb0EEEEE10hipError_tT1_PNSt15iterator_traitsISG_E10value_typeET2_T3_PNSH_ISM_E10value_typeET4_T5_PSR_SS_PNS1_23onesweep_lookback_stateEbbT6_jjT7_P12ihipStream_tbENKUlT_T0_SG_SL_E_clIS9_SA_SB_SB_EEDaSZ_S10_SG_SL_EUlSZ_E_NS1_11comp_targetILNS1_3genE10ELNS1_11target_archE1201ELNS1_3gpuE5ELNS1_3repE0EEENS1_47radix_sort_onesweep_sort_config_static_selectorELNS0_4arch9wavefront6targetE0EEEvSG_.num_agpr, 0
	.set _ZN7rocprim17ROCPRIM_400000_NS6detail17trampoline_kernelINS0_14default_configENS1_35radix_sort_onesweep_config_selectorItNS0_10empty_typeEEEZZNS1_29radix_sort_onesweep_iterationIS3_Lb1EPKtPtPS5_SB_mNS0_19identity_decomposerENS1_16block_id_wrapperIjLb0EEEEE10hipError_tT1_PNSt15iterator_traitsISG_E10value_typeET2_T3_PNSH_ISM_E10value_typeET4_T5_PSR_SS_PNS1_23onesweep_lookback_stateEbbT6_jjT7_P12ihipStream_tbENKUlT_T0_SG_SL_E_clIS9_SA_SB_SB_EEDaSZ_S10_SG_SL_EUlSZ_E_NS1_11comp_targetILNS1_3genE10ELNS1_11target_archE1201ELNS1_3gpuE5ELNS1_3repE0EEENS1_47radix_sort_onesweep_sort_config_static_selectorELNS0_4arch9wavefront6targetE0EEEvSG_.numbered_sgpr, 0
	.set _ZN7rocprim17ROCPRIM_400000_NS6detail17trampoline_kernelINS0_14default_configENS1_35radix_sort_onesweep_config_selectorItNS0_10empty_typeEEEZZNS1_29radix_sort_onesweep_iterationIS3_Lb1EPKtPtPS5_SB_mNS0_19identity_decomposerENS1_16block_id_wrapperIjLb0EEEEE10hipError_tT1_PNSt15iterator_traitsISG_E10value_typeET2_T3_PNSH_ISM_E10value_typeET4_T5_PSR_SS_PNS1_23onesweep_lookback_stateEbbT6_jjT7_P12ihipStream_tbENKUlT_T0_SG_SL_E_clIS9_SA_SB_SB_EEDaSZ_S10_SG_SL_EUlSZ_E_NS1_11comp_targetILNS1_3genE10ELNS1_11target_archE1201ELNS1_3gpuE5ELNS1_3repE0EEENS1_47radix_sort_onesweep_sort_config_static_selectorELNS0_4arch9wavefront6targetE0EEEvSG_.num_named_barrier, 0
	.set _ZN7rocprim17ROCPRIM_400000_NS6detail17trampoline_kernelINS0_14default_configENS1_35radix_sort_onesweep_config_selectorItNS0_10empty_typeEEEZZNS1_29radix_sort_onesweep_iterationIS3_Lb1EPKtPtPS5_SB_mNS0_19identity_decomposerENS1_16block_id_wrapperIjLb0EEEEE10hipError_tT1_PNSt15iterator_traitsISG_E10value_typeET2_T3_PNSH_ISM_E10value_typeET4_T5_PSR_SS_PNS1_23onesweep_lookback_stateEbbT6_jjT7_P12ihipStream_tbENKUlT_T0_SG_SL_E_clIS9_SA_SB_SB_EEDaSZ_S10_SG_SL_EUlSZ_E_NS1_11comp_targetILNS1_3genE10ELNS1_11target_archE1201ELNS1_3gpuE5ELNS1_3repE0EEENS1_47radix_sort_onesweep_sort_config_static_selectorELNS0_4arch9wavefront6targetE0EEEvSG_.private_seg_size, 0
	.set _ZN7rocprim17ROCPRIM_400000_NS6detail17trampoline_kernelINS0_14default_configENS1_35radix_sort_onesweep_config_selectorItNS0_10empty_typeEEEZZNS1_29radix_sort_onesweep_iterationIS3_Lb1EPKtPtPS5_SB_mNS0_19identity_decomposerENS1_16block_id_wrapperIjLb0EEEEE10hipError_tT1_PNSt15iterator_traitsISG_E10value_typeET2_T3_PNSH_ISM_E10value_typeET4_T5_PSR_SS_PNS1_23onesweep_lookback_stateEbbT6_jjT7_P12ihipStream_tbENKUlT_T0_SG_SL_E_clIS9_SA_SB_SB_EEDaSZ_S10_SG_SL_EUlSZ_E_NS1_11comp_targetILNS1_3genE10ELNS1_11target_archE1201ELNS1_3gpuE5ELNS1_3repE0EEENS1_47radix_sort_onesweep_sort_config_static_selectorELNS0_4arch9wavefront6targetE0EEEvSG_.uses_vcc, 0
	.set _ZN7rocprim17ROCPRIM_400000_NS6detail17trampoline_kernelINS0_14default_configENS1_35radix_sort_onesweep_config_selectorItNS0_10empty_typeEEEZZNS1_29radix_sort_onesweep_iterationIS3_Lb1EPKtPtPS5_SB_mNS0_19identity_decomposerENS1_16block_id_wrapperIjLb0EEEEE10hipError_tT1_PNSt15iterator_traitsISG_E10value_typeET2_T3_PNSH_ISM_E10value_typeET4_T5_PSR_SS_PNS1_23onesweep_lookback_stateEbbT6_jjT7_P12ihipStream_tbENKUlT_T0_SG_SL_E_clIS9_SA_SB_SB_EEDaSZ_S10_SG_SL_EUlSZ_E_NS1_11comp_targetILNS1_3genE10ELNS1_11target_archE1201ELNS1_3gpuE5ELNS1_3repE0EEENS1_47radix_sort_onesweep_sort_config_static_selectorELNS0_4arch9wavefront6targetE0EEEvSG_.uses_flat_scratch, 0
	.set _ZN7rocprim17ROCPRIM_400000_NS6detail17trampoline_kernelINS0_14default_configENS1_35radix_sort_onesweep_config_selectorItNS0_10empty_typeEEEZZNS1_29radix_sort_onesweep_iterationIS3_Lb1EPKtPtPS5_SB_mNS0_19identity_decomposerENS1_16block_id_wrapperIjLb0EEEEE10hipError_tT1_PNSt15iterator_traitsISG_E10value_typeET2_T3_PNSH_ISM_E10value_typeET4_T5_PSR_SS_PNS1_23onesweep_lookback_stateEbbT6_jjT7_P12ihipStream_tbENKUlT_T0_SG_SL_E_clIS9_SA_SB_SB_EEDaSZ_S10_SG_SL_EUlSZ_E_NS1_11comp_targetILNS1_3genE10ELNS1_11target_archE1201ELNS1_3gpuE5ELNS1_3repE0EEENS1_47radix_sort_onesweep_sort_config_static_selectorELNS0_4arch9wavefront6targetE0EEEvSG_.has_dyn_sized_stack, 0
	.set _ZN7rocprim17ROCPRIM_400000_NS6detail17trampoline_kernelINS0_14default_configENS1_35radix_sort_onesweep_config_selectorItNS0_10empty_typeEEEZZNS1_29radix_sort_onesweep_iterationIS3_Lb1EPKtPtPS5_SB_mNS0_19identity_decomposerENS1_16block_id_wrapperIjLb0EEEEE10hipError_tT1_PNSt15iterator_traitsISG_E10value_typeET2_T3_PNSH_ISM_E10value_typeET4_T5_PSR_SS_PNS1_23onesweep_lookback_stateEbbT6_jjT7_P12ihipStream_tbENKUlT_T0_SG_SL_E_clIS9_SA_SB_SB_EEDaSZ_S10_SG_SL_EUlSZ_E_NS1_11comp_targetILNS1_3genE10ELNS1_11target_archE1201ELNS1_3gpuE5ELNS1_3repE0EEENS1_47radix_sort_onesweep_sort_config_static_selectorELNS0_4arch9wavefront6targetE0EEEvSG_.has_recursion, 0
	.set _ZN7rocprim17ROCPRIM_400000_NS6detail17trampoline_kernelINS0_14default_configENS1_35radix_sort_onesweep_config_selectorItNS0_10empty_typeEEEZZNS1_29radix_sort_onesweep_iterationIS3_Lb1EPKtPtPS5_SB_mNS0_19identity_decomposerENS1_16block_id_wrapperIjLb0EEEEE10hipError_tT1_PNSt15iterator_traitsISG_E10value_typeET2_T3_PNSH_ISM_E10value_typeET4_T5_PSR_SS_PNS1_23onesweep_lookback_stateEbbT6_jjT7_P12ihipStream_tbENKUlT_T0_SG_SL_E_clIS9_SA_SB_SB_EEDaSZ_S10_SG_SL_EUlSZ_E_NS1_11comp_targetILNS1_3genE10ELNS1_11target_archE1201ELNS1_3gpuE5ELNS1_3repE0EEENS1_47radix_sort_onesweep_sort_config_static_selectorELNS0_4arch9wavefront6targetE0EEEvSG_.has_indirect_call, 0
	.section	.AMDGPU.csdata,"",@progbits
; Kernel info:
; codeLenInByte = 0
; TotalNumSgprs: 0
; NumVgprs: 0
; ScratchSize: 0
; MemoryBound: 0
; FloatMode: 240
; IeeeMode: 1
; LDSByteSize: 0 bytes/workgroup (compile time only)
; SGPRBlocks: 0
; VGPRBlocks: 0
; NumSGPRsForWavesPerEU: 1
; NumVGPRsForWavesPerEU: 1
; NamedBarCnt: 0
; Occupancy: 16
; WaveLimiterHint : 0
; COMPUTE_PGM_RSRC2:SCRATCH_EN: 0
; COMPUTE_PGM_RSRC2:USER_SGPR: 2
; COMPUTE_PGM_RSRC2:TRAP_HANDLER: 0
; COMPUTE_PGM_RSRC2:TGID_X_EN: 1
; COMPUTE_PGM_RSRC2:TGID_Y_EN: 0
; COMPUTE_PGM_RSRC2:TGID_Z_EN: 0
; COMPUTE_PGM_RSRC2:TIDIG_COMP_CNT: 0
	.section	.text._ZN7rocprim17ROCPRIM_400000_NS6detail17trampoline_kernelINS0_14default_configENS1_35radix_sort_onesweep_config_selectorItNS0_10empty_typeEEEZZNS1_29radix_sort_onesweep_iterationIS3_Lb1EPKtPtPS5_SB_mNS0_19identity_decomposerENS1_16block_id_wrapperIjLb0EEEEE10hipError_tT1_PNSt15iterator_traitsISG_E10value_typeET2_T3_PNSH_ISM_E10value_typeET4_T5_PSR_SS_PNS1_23onesweep_lookback_stateEbbT6_jjT7_P12ihipStream_tbENKUlT_T0_SG_SL_E_clIS9_SA_SB_SB_EEDaSZ_S10_SG_SL_EUlSZ_E_NS1_11comp_targetILNS1_3genE9ELNS1_11target_archE1100ELNS1_3gpuE3ELNS1_3repE0EEENS1_47radix_sort_onesweep_sort_config_static_selectorELNS0_4arch9wavefront6targetE0EEEvSG_,"axG",@progbits,_ZN7rocprim17ROCPRIM_400000_NS6detail17trampoline_kernelINS0_14default_configENS1_35radix_sort_onesweep_config_selectorItNS0_10empty_typeEEEZZNS1_29radix_sort_onesweep_iterationIS3_Lb1EPKtPtPS5_SB_mNS0_19identity_decomposerENS1_16block_id_wrapperIjLb0EEEEE10hipError_tT1_PNSt15iterator_traitsISG_E10value_typeET2_T3_PNSH_ISM_E10value_typeET4_T5_PSR_SS_PNS1_23onesweep_lookback_stateEbbT6_jjT7_P12ihipStream_tbENKUlT_T0_SG_SL_E_clIS9_SA_SB_SB_EEDaSZ_S10_SG_SL_EUlSZ_E_NS1_11comp_targetILNS1_3genE9ELNS1_11target_archE1100ELNS1_3gpuE3ELNS1_3repE0EEENS1_47radix_sort_onesweep_sort_config_static_selectorELNS0_4arch9wavefront6targetE0EEEvSG_,comdat
	.protected	_ZN7rocprim17ROCPRIM_400000_NS6detail17trampoline_kernelINS0_14default_configENS1_35radix_sort_onesweep_config_selectorItNS0_10empty_typeEEEZZNS1_29radix_sort_onesweep_iterationIS3_Lb1EPKtPtPS5_SB_mNS0_19identity_decomposerENS1_16block_id_wrapperIjLb0EEEEE10hipError_tT1_PNSt15iterator_traitsISG_E10value_typeET2_T3_PNSH_ISM_E10value_typeET4_T5_PSR_SS_PNS1_23onesweep_lookback_stateEbbT6_jjT7_P12ihipStream_tbENKUlT_T0_SG_SL_E_clIS9_SA_SB_SB_EEDaSZ_S10_SG_SL_EUlSZ_E_NS1_11comp_targetILNS1_3genE9ELNS1_11target_archE1100ELNS1_3gpuE3ELNS1_3repE0EEENS1_47radix_sort_onesweep_sort_config_static_selectorELNS0_4arch9wavefront6targetE0EEEvSG_ ; -- Begin function _ZN7rocprim17ROCPRIM_400000_NS6detail17trampoline_kernelINS0_14default_configENS1_35radix_sort_onesweep_config_selectorItNS0_10empty_typeEEEZZNS1_29radix_sort_onesweep_iterationIS3_Lb1EPKtPtPS5_SB_mNS0_19identity_decomposerENS1_16block_id_wrapperIjLb0EEEEE10hipError_tT1_PNSt15iterator_traitsISG_E10value_typeET2_T3_PNSH_ISM_E10value_typeET4_T5_PSR_SS_PNS1_23onesweep_lookback_stateEbbT6_jjT7_P12ihipStream_tbENKUlT_T0_SG_SL_E_clIS9_SA_SB_SB_EEDaSZ_S10_SG_SL_EUlSZ_E_NS1_11comp_targetILNS1_3genE9ELNS1_11target_archE1100ELNS1_3gpuE3ELNS1_3repE0EEENS1_47radix_sort_onesweep_sort_config_static_selectorELNS0_4arch9wavefront6targetE0EEEvSG_
	.globl	_ZN7rocprim17ROCPRIM_400000_NS6detail17trampoline_kernelINS0_14default_configENS1_35radix_sort_onesweep_config_selectorItNS0_10empty_typeEEEZZNS1_29radix_sort_onesweep_iterationIS3_Lb1EPKtPtPS5_SB_mNS0_19identity_decomposerENS1_16block_id_wrapperIjLb0EEEEE10hipError_tT1_PNSt15iterator_traitsISG_E10value_typeET2_T3_PNSH_ISM_E10value_typeET4_T5_PSR_SS_PNS1_23onesweep_lookback_stateEbbT6_jjT7_P12ihipStream_tbENKUlT_T0_SG_SL_E_clIS9_SA_SB_SB_EEDaSZ_S10_SG_SL_EUlSZ_E_NS1_11comp_targetILNS1_3genE9ELNS1_11target_archE1100ELNS1_3gpuE3ELNS1_3repE0EEENS1_47radix_sort_onesweep_sort_config_static_selectorELNS0_4arch9wavefront6targetE0EEEvSG_
	.p2align	8
	.type	_ZN7rocprim17ROCPRIM_400000_NS6detail17trampoline_kernelINS0_14default_configENS1_35radix_sort_onesweep_config_selectorItNS0_10empty_typeEEEZZNS1_29radix_sort_onesweep_iterationIS3_Lb1EPKtPtPS5_SB_mNS0_19identity_decomposerENS1_16block_id_wrapperIjLb0EEEEE10hipError_tT1_PNSt15iterator_traitsISG_E10value_typeET2_T3_PNSH_ISM_E10value_typeET4_T5_PSR_SS_PNS1_23onesweep_lookback_stateEbbT6_jjT7_P12ihipStream_tbENKUlT_T0_SG_SL_E_clIS9_SA_SB_SB_EEDaSZ_S10_SG_SL_EUlSZ_E_NS1_11comp_targetILNS1_3genE9ELNS1_11target_archE1100ELNS1_3gpuE3ELNS1_3repE0EEENS1_47radix_sort_onesweep_sort_config_static_selectorELNS0_4arch9wavefront6targetE0EEEvSG_,@function
_ZN7rocprim17ROCPRIM_400000_NS6detail17trampoline_kernelINS0_14default_configENS1_35radix_sort_onesweep_config_selectorItNS0_10empty_typeEEEZZNS1_29radix_sort_onesweep_iterationIS3_Lb1EPKtPtPS5_SB_mNS0_19identity_decomposerENS1_16block_id_wrapperIjLb0EEEEE10hipError_tT1_PNSt15iterator_traitsISG_E10value_typeET2_T3_PNSH_ISM_E10value_typeET4_T5_PSR_SS_PNS1_23onesweep_lookback_stateEbbT6_jjT7_P12ihipStream_tbENKUlT_T0_SG_SL_E_clIS9_SA_SB_SB_EEDaSZ_S10_SG_SL_EUlSZ_E_NS1_11comp_targetILNS1_3genE9ELNS1_11target_archE1100ELNS1_3gpuE3ELNS1_3repE0EEENS1_47radix_sort_onesweep_sort_config_static_selectorELNS0_4arch9wavefront6targetE0EEEvSG_: ; @_ZN7rocprim17ROCPRIM_400000_NS6detail17trampoline_kernelINS0_14default_configENS1_35radix_sort_onesweep_config_selectorItNS0_10empty_typeEEEZZNS1_29radix_sort_onesweep_iterationIS3_Lb1EPKtPtPS5_SB_mNS0_19identity_decomposerENS1_16block_id_wrapperIjLb0EEEEE10hipError_tT1_PNSt15iterator_traitsISG_E10value_typeET2_T3_PNSH_ISM_E10value_typeET4_T5_PSR_SS_PNS1_23onesweep_lookback_stateEbbT6_jjT7_P12ihipStream_tbENKUlT_T0_SG_SL_E_clIS9_SA_SB_SB_EEDaSZ_S10_SG_SL_EUlSZ_E_NS1_11comp_targetILNS1_3genE9ELNS1_11target_archE1100ELNS1_3gpuE3ELNS1_3repE0EEENS1_47radix_sort_onesweep_sort_config_static_selectorELNS0_4arch9wavefront6targetE0EEEvSG_
; %bb.0:
	.section	.rodata,"a",@progbits
	.p2align	6, 0x0
	.amdhsa_kernel _ZN7rocprim17ROCPRIM_400000_NS6detail17trampoline_kernelINS0_14default_configENS1_35radix_sort_onesweep_config_selectorItNS0_10empty_typeEEEZZNS1_29radix_sort_onesweep_iterationIS3_Lb1EPKtPtPS5_SB_mNS0_19identity_decomposerENS1_16block_id_wrapperIjLb0EEEEE10hipError_tT1_PNSt15iterator_traitsISG_E10value_typeET2_T3_PNSH_ISM_E10value_typeET4_T5_PSR_SS_PNS1_23onesweep_lookback_stateEbbT6_jjT7_P12ihipStream_tbENKUlT_T0_SG_SL_E_clIS9_SA_SB_SB_EEDaSZ_S10_SG_SL_EUlSZ_E_NS1_11comp_targetILNS1_3genE9ELNS1_11target_archE1100ELNS1_3gpuE3ELNS1_3repE0EEENS1_47radix_sort_onesweep_sort_config_static_selectorELNS0_4arch9wavefront6targetE0EEEvSG_
		.amdhsa_group_segment_fixed_size 0
		.amdhsa_private_segment_fixed_size 0
		.amdhsa_kernarg_size 88
		.amdhsa_user_sgpr_count 2
		.amdhsa_user_sgpr_dispatch_ptr 0
		.amdhsa_user_sgpr_queue_ptr 0
		.amdhsa_user_sgpr_kernarg_segment_ptr 1
		.amdhsa_user_sgpr_dispatch_id 0
		.amdhsa_user_sgpr_kernarg_preload_length 0
		.amdhsa_user_sgpr_kernarg_preload_offset 0
		.amdhsa_user_sgpr_private_segment_size 0
		.amdhsa_wavefront_size32 1
		.amdhsa_uses_dynamic_stack 0
		.amdhsa_enable_private_segment 0
		.amdhsa_system_sgpr_workgroup_id_x 1
		.amdhsa_system_sgpr_workgroup_id_y 0
		.amdhsa_system_sgpr_workgroup_id_z 0
		.amdhsa_system_sgpr_workgroup_info 0
		.amdhsa_system_vgpr_workitem_id 0
		.amdhsa_next_free_vgpr 1
		.amdhsa_next_free_sgpr 1
		.amdhsa_named_barrier_count 0
		.amdhsa_reserve_vcc 0
		.amdhsa_float_round_mode_32 0
		.amdhsa_float_round_mode_16_64 0
		.amdhsa_float_denorm_mode_32 3
		.amdhsa_float_denorm_mode_16_64 3
		.amdhsa_fp16_overflow 0
		.amdhsa_memory_ordered 1
		.amdhsa_forward_progress 1
		.amdhsa_inst_pref_size 0
		.amdhsa_round_robin_scheduling 0
		.amdhsa_exception_fp_ieee_invalid_op 0
		.amdhsa_exception_fp_denorm_src 0
		.amdhsa_exception_fp_ieee_div_zero 0
		.amdhsa_exception_fp_ieee_overflow 0
		.amdhsa_exception_fp_ieee_underflow 0
		.amdhsa_exception_fp_ieee_inexact 0
		.amdhsa_exception_int_div_zero 0
	.end_amdhsa_kernel
	.section	.text._ZN7rocprim17ROCPRIM_400000_NS6detail17trampoline_kernelINS0_14default_configENS1_35radix_sort_onesweep_config_selectorItNS0_10empty_typeEEEZZNS1_29radix_sort_onesweep_iterationIS3_Lb1EPKtPtPS5_SB_mNS0_19identity_decomposerENS1_16block_id_wrapperIjLb0EEEEE10hipError_tT1_PNSt15iterator_traitsISG_E10value_typeET2_T3_PNSH_ISM_E10value_typeET4_T5_PSR_SS_PNS1_23onesweep_lookback_stateEbbT6_jjT7_P12ihipStream_tbENKUlT_T0_SG_SL_E_clIS9_SA_SB_SB_EEDaSZ_S10_SG_SL_EUlSZ_E_NS1_11comp_targetILNS1_3genE9ELNS1_11target_archE1100ELNS1_3gpuE3ELNS1_3repE0EEENS1_47radix_sort_onesweep_sort_config_static_selectorELNS0_4arch9wavefront6targetE0EEEvSG_,"axG",@progbits,_ZN7rocprim17ROCPRIM_400000_NS6detail17trampoline_kernelINS0_14default_configENS1_35radix_sort_onesweep_config_selectorItNS0_10empty_typeEEEZZNS1_29radix_sort_onesweep_iterationIS3_Lb1EPKtPtPS5_SB_mNS0_19identity_decomposerENS1_16block_id_wrapperIjLb0EEEEE10hipError_tT1_PNSt15iterator_traitsISG_E10value_typeET2_T3_PNSH_ISM_E10value_typeET4_T5_PSR_SS_PNS1_23onesweep_lookback_stateEbbT6_jjT7_P12ihipStream_tbENKUlT_T0_SG_SL_E_clIS9_SA_SB_SB_EEDaSZ_S10_SG_SL_EUlSZ_E_NS1_11comp_targetILNS1_3genE9ELNS1_11target_archE1100ELNS1_3gpuE3ELNS1_3repE0EEENS1_47radix_sort_onesweep_sort_config_static_selectorELNS0_4arch9wavefront6targetE0EEEvSG_,comdat
.Lfunc_end2411:
	.size	_ZN7rocprim17ROCPRIM_400000_NS6detail17trampoline_kernelINS0_14default_configENS1_35radix_sort_onesweep_config_selectorItNS0_10empty_typeEEEZZNS1_29radix_sort_onesweep_iterationIS3_Lb1EPKtPtPS5_SB_mNS0_19identity_decomposerENS1_16block_id_wrapperIjLb0EEEEE10hipError_tT1_PNSt15iterator_traitsISG_E10value_typeET2_T3_PNSH_ISM_E10value_typeET4_T5_PSR_SS_PNS1_23onesweep_lookback_stateEbbT6_jjT7_P12ihipStream_tbENKUlT_T0_SG_SL_E_clIS9_SA_SB_SB_EEDaSZ_S10_SG_SL_EUlSZ_E_NS1_11comp_targetILNS1_3genE9ELNS1_11target_archE1100ELNS1_3gpuE3ELNS1_3repE0EEENS1_47radix_sort_onesweep_sort_config_static_selectorELNS0_4arch9wavefront6targetE0EEEvSG_, .Lfunc_end2411-_ZN7rocprim17ROCPRIM_400000_NS6detail17trampoline_kernelINS0_14default_configENS1_35radix_sort_onesweep_config_selectorItNS0_10empty_typeEEEZZNS1_29radix_sort_onesweep_iterationIS3_Lb1EPKtPtPS5_SB_mNS0_19identity_decomposerENS1_16block_id_wrapperIjLb0EEEEE10hipError_tT1_PNSt15iterator_traitsISG_E10value_typeET2_T3_PNSH_ISM_E10value_typeET4_T5_PSR_SS_PNS1_23onesweep_lookback_stateEbbT6_jjT7_P12ihipStream_tbENKUlT_T0_SG_SL_E_clIS9_SA_SB_SB_EEDaSZ_S10_SG_SL_EUlSZ_E_NS1_11comp_targetILNS1_3genE9ELNS1_11target_archE1100ELNS1_3gpuE3ELNS1_3repE0EEENS1_47radix_sort_onesweep_sort_config_static_selectorELNS0_4arch9wavefront6targetE0EEEvSG_
                                        ; -- End function
	.set _ZN7rocprim17ROCPRIM_400000_NS6detail17trampoline_kernelINS0_14default_configENS1_35radix_sort_onesweep_config_selectorItNS0_10empty_typeEEEZZNS1_29radix_sort_onesweep_iterationIS3_Lb1EPKtPtPS5_SB_mNS0_19identity_decomposerENS1_16block_id_wrapperIjLb0EEEEE10hipError_tT1_PNSt15iterator_traitsISG_E10value_typeET2_T3_PNSH_ISM_E10value_typeET4_T5_PSR_SS_PNS1_23onesweep_lookback_stateEbbT6_jjT7_P12ihipStream_tbENKUlT_T0_SG_SL_E_clIS9_SA_SB_SB_EEDaSZ_S10_SG_SL_EUlSZ_E_NS1_11comp_targetILNS1_3genE9ELNS1_11target_archE1100ELNS1_3gpuE3ELNS1_3repE0EEENS1_47radix_sort_onesweep_sort_config_static_selectorELNS0_4arch9wavefront6targetE0EEEvSG_.num_vgpr, 0
	.set _ZN7rocprim17ROCPRIM_400000_NS6detail17trampoline_kernelINS0_14default_configENS1_35radix_sort_onesweep_config_selectorItNS0_10empty_typeEEEZZNS1_29radix_sort_onesweep_iterationIS3_Lb1EPKtPtPS5_SB_mNS0_19identity_decomposerENS1_16block_id_wrapperIjLb0EEEEE10hipError_tT1_PNSt15iterator_traitsISG_E10value_typeET2_T3_PNSH_ISM_E10value_typeET4_T5_PSR_SS_PNS1_23onesweep_lookback_stateEbbT6_jjT7_P12ihipStream_tbENKUlT_T0_SG_SL_E_clIS9_SA_SB_SB_EEDaSZ_S10_SG_SL_EUlSZ_E_NS1_11comp_targetILNS1_3genE9ELNS1_11target_archE1100ELNS1_3gpuE3ELNS1_3repE0EEENS1_47radix_sort_onesweep_sort_config_static_selectorELNS0_4arch9wavefront6targetE0EEEvSG_.num_agpr, 0
	.set _ZN7rocprim17ROCPRIM_400000_NS6detail17trampoline_kernelINS0_14default_configENS1_35radix_sort_onesweep_config_selectorItNS0_10empty_typeEEEZZNS1_29radix_sort_onesweep_iterationIS3_Lb1EPKtPtPS5_SB_mNS0_19identity_decomposerENS1_16block_id_wrapperIjLb0EEEEE10hipError_tT1_PNSt15iterator_traitsISG_E10value_typeET2_T3_PNSH_ISM_E10value_typeET4_T5_PSR_SS_PNS1_23onesweep_lookback_stateEbbT6_jjT7_P12ihipStream_tbENKUlT_T0_SG_SL_E_clIS9_SA_SB_SB_EEDaSZ_S10_SG_SL_EUlSZ_E_NS1_11comp_targetILNS1_3genE9ELNS1_11target_archE1100ELNS1_3gpuE3ELNS1_3repE0EEENS1_47radix_sort_onesweep_sort_config_static_selectorELNS0_4arch9wavefront6targetE0EEEvSG_.numbered_sgpr, 0
	.set _ZN7rocprim17ROCPRIM_400000_NS6detail17trampoline_kernelINS0_14default_configENS1_35radix_sort_onesweep_config_selectorItNS0_10empty_typeEEEZZNS1_29radix_sort_onesweep_iterationIS3_Lb1EPKtPtPS5_SB_mNS0_19identity_decomposerENS1_16block_id_wrapperIjLb0EEEEE10hipError_tT1_PNSt15iterator_traitsISG_E10value_typeET2_T3_PNSH_ISM_E10value_typeET4_T5_PSR_SS_PNS1_23onesweep_lookback_stateEbbT6_jjT7_P12ihipStream_tbENKUlT_T0_SG_SL_E_clIS9_SA_SB_SB_EEDaSZ_S10_SG_SL_EUlSZ_E_NS1_11comp_targetILNS1_3genE9ELNS1_11target_archE1100ELNS1_3gpuE3ELNS1_3repE0EEENS1_47radix_sort_onesweep_sort_config_static_selectorELNS0_4arch9wavefront6targetE0EEEvSG_.num_named_barrier, 0
	.set _ZN7rocprim17ROCPRIM_400000_NS6detail17trampoline_kernelINS0_14default_configENS1_35radix_sort_onesweep_config_selectorItNS0_10empty_typeEEEZZNS1_29radix_sort_onesweep_iterationIS3_Lb1EPKtPtPS5_SB_mNS0_19identity_decomposerENS1_16block_id_wrapperIjLb0EEEEE10hipError_tT1_PNSt15iterator_traitsISG_E10value_typeET2_T3_PNSH_ISM_E10value_typeET4_T5_PSR_SS_PNS1_23onesweep_lookback_stateEbbT6_jjT7_P12ihipStream_tbENKUlT_T0_SG_SL_E_clIS9_SA_SB_SB_EEDaSZ_S10_SG_SL_EUlSZ_E_NS1_11comp_targetILNS1_3genE9ELNS1_11target_archE1100ELNS1_3gpuE3ELNS1_3repE0EEENS1_47radix_sort_onesweep_sort_config_static_selectorELNS0_4arch9wavefront6targetE0EEEvSG_.private_seg_size, 0
	.set _ZN7rocprim17ROCPRIM_400000_NS6detail17trampoline_kernelINS0_14default_configENS1_35radix_sort_onesweep_config_selectorItNS0_10empty_typeEEEZZNS1_29radix_sort_onesweep_iterationIS3_Lb1EPKtPtPS5_SB_mNS0_19identity_decomposerENS1_16block_id_wrapperIjLb0EEEEE10hipError_tT1_PNSt15iterator_traitsISG_E10value_typeET2_T3_PNSH_ISM_E10value_typeET4_T5_PSR_SS_PNS1_23onesweep_lookback_stateEbbT6_jjT7_P12ihipStream_tbENKUlT_T0_SG_SL_E_clIS9_SA_SB_SB_EEDaSZ_S10_SG_SL_EUlSZ_E_NS1_11comp_targetILNS1_3genE9ELNS1_11target_archE1100ELNS1_3gpuE3ELNS1_3repE0EEENS1_47radix_sort_onesweep_sort_config_static_selectorELNS0_4arch9wavefront6targetE0EEEvSG_.uses_vcc, 0
	.set _ZN7rocprim17ROCPRIM_400000_NS6detail17trampoline_kernelINS0_14default_configENS1_35radix_sort_onesweep_config_selectorItNS0_10empty_typeEEEZZNS1_29radix_sort_onesweep_iterationIS3_Lb1EPKtPtPS5_SB_mNS0_19identity_decomposerENS1_16block_id_wrapperIjLb0EEEEE10hipError_tT1_PNSt15iterator_traitsISG_E10value_typeET2_T3_PNSH_ISM_E10value_typeET4_T5_PSR_SS_PNS1_23onesweep_lookback_stateEbbT6_jjT7_P12ihipStream_tbENKUlT_T0_SG_SL_E_clIS9_SA_SB_SB_EEDaSZ_S10_SG_SL_EUlSZ_E_NS1_11comp_targetILNS1_3genE9ELNS1_11target_archE1100ELNS1_3gpuE3ELNS1_3repE0EEENS1_47radix_sort_onesweep_sort_config_static_selectorELNS0_4arch9wavefront6targetE0EEEvSG_.uses_flat_scratch, 0
	.set _ZN7rocprim17ROCPRIM_400000_NS6detail17trampoline_kernelINS0_14default_configENS1_35radix_sort_onesweep_config_selectorItNS0_10empty_typeEEEZZNS1_29radix_sort_onesweep_iterationIS3_Lb1EPKtPtPS5_SB_mNS0_19identity_decomposerENS1_16block_id_wrapperIjLb0EEEEE10hipError_tT1_PNSt15iterator_traitsISG_E10value_typeET2_T3_PNSH_ISM_E10value_typeET4_T5_PSR_SS_PNS1_23onesweep_lookback_stateEbbT6_jjT7_P12ihipStream_tbENKUlT_T0_SG_SL_E_clIS9_SA_SB_SB_EEDaSZ_S10_SG_SL_EUlSZ_E_NS1_11comp_targetILNS1_3genE9ELNS1_11target_archE1100ELNS1_3gpuE3ELNS1_3repE0EEENS1_47radix_sort_onesweep_sort_config_static_selectorELNS0_4arch9wavefront6targetE0EEEvSG_.has_dyn_sized_stack, 0
	.set _ZN7rocprim17ROCPRIM_400000_NS6detail17trampoline_kernelINS0_14default_configENS1_35radix_sort_onesweep_config_selectorItNS0_10empty_typeEEEZZNS1_29radix_sort_onesweep_iterationIS3_Lb1EPKtPtPS5_SB_mNS0_19identity_decomposerENS1_16block_id_wrapperIjLb0EEEEE10hipError_tT1_PNSt15iterator_traitsISG_E10value_typeET2_T3_PNSH_ISM_E10value_typeET4_T5_PSR_SS_PNS1_23onesweep_lookback_stateEbbT6_jjT7_P12ihipStream_tbENKUlT_T0_SG_SL_E_clIS9_SA_SB_SB_EEDaSZ_S10_SG_SL_EUlSZ_E_NS1_11comp_targetILNS1_3genE9ELNS1_11target_archE1100ELNS1_3gpuE3ELNS1_3repE0EEENS1_47radix_sort_onesweep_sort_config_static_selectorELNS0_4arch9wavefront6targetE0EEEvSG_.has_recursion, 0
	.set _ZN7rocprim17ROCPRIM_400000_NS6detail17trampoline_kernelINS0_14default_configENS1_35radix_sort_onesweep_config_selectorItNS0_10empty_typeEEEZZNS1_29radix_sort_onesweep_iterationIS3_Lb1EPKtPtPS5_SB_mNS0_19identity_decomposerENS1_16block_id_wrapperIjLb0EEEEE10hipError_tT1_PNSt15iterator_traitsISG_E10value_typeET2_T3_PNSH_ISM_E10value_typeET4_T5_PSR_SS_PNS1_23onesweep_lookback_stateEbbT6_jjT7_P12ihipStream_tbENKUlT_T0_SG_SL_E_clIS9_SA_SB_SB_EEDaSZ_S10_SG_SL_EUlSZ_E_NS1_11comp_targetILNS1_3genE9ELNS1_11target_archE1100ELNS1_3gpuE3ELNS1_3repE0EEENS1_47radix_sort_onesweep_sort_config_static_selectorELNS0_4arch9wavefront6targetE0EEEvSG_.has_indirect_call, 0
	.section	.AMDGPU.csdata,"",@progbits
; Kernel info:
; codeLenInByte = 0
; TotalNumSgprs: 0
; NumVgprs: 0
; ScratchSize: 0
; MemoryBound: 0
; FloatMode: 240
; IeeeMode: 1
; LDSByteSize: 0 bytes/workgroup (compile time only)
; SGPRBlocks: 0
; VGPRBlocks: 0
; NumSGPRsForWavesPerEU: 1
; NumVGPRsForWavesPerEU: 1
; NamedBarCnt: 0
; Occupancy: 16
; WaveLimiterHint : 0
; COMPUTE_PGM_RSRC2:SCRATCH_EN: 0
; COMPUTE_PGM_RSRC2:USER_SGPR: 2
; COMPUTE_PGM_RSRC2:TRAP_HANDLER: 0
; COMPUTE_PGM_RSRC2:TGID_X_EN: 1
; COMPUTE_PGM_RSRC2:TGID_Y_EN: 0
; COMPUTE_PGM_RSRC2:TGID_Z_EN: 0
; COMPUTE_PGM_RSRC2:TIDIG_COMP_CNT: 0
	.section	.text._ZN7rocprim17ROCPRIM_400000_NS6detail17trampoline_kernelINS0_14default_configENS1_35radix_sort_onesweep_config_selectorItNS0_10empty_typeEEEZZNS1_29radix_sort_onesweep_iterationIS3_Lb1EPKtPtPS5_SB_mNS0_19identity_decomposerENS1_16block_id_wrapperIjLb0EEEEE10hipError_tT1_PNSt15iterator_traitsISG_E10value_typeET2_T3_PNSH_ISM_E10value_typeET4_T5_PSR_SS_PNS1_23onesweep_lookback_stateEbbT6_jjT7_P12ihipStream_tbENKUlT_T0_SG_SL_E_clIS9_SA_SB_SB_EEDaSZ_S10_SG_SL_EUlSZ_E_NS1_11comp_targetILNS1_3genE8ELNS1_11target_archE1030ELNS1_3gpuE2ELNS1_3repE0EEENS1_47radix_sort_onesweep_sort_config_static_selectorELNS0_4arch9wavefront6targetE0EEEvSG_,"axG",@progbits,_ZN7rocprim17ROCPRIM_400000_NS6detail17trampoline_kernelINS0_14default_configENS1_35radix_sort_onesweep_config_selectorItNS0_10empty_typeEEEZZNS1_29radix_sort_onesweep_iterationIS3_Lb1EPKtPtPS5_SB_mNS0_19identity_decomposerENS1_16block_id_wrapperIjLb0EEEEE10hipError_tT1_PNSt15iterator_traitsISG_E10value_typeET2_T3_PNSH_ISM_E10value_typeET4_T5_PSR_SS_PNS1_23onesweep_lookback_stateEbbT6_jjT7_P12ihipStream_tbENKUlT_T0_SG_SL_E_clIS9_SA_SB_SB_EEDaSZ_S10_SG_SL_EUlSZ_E_NS1_11comp_targetILNS1_3genE8ELNS1_11target_archE1030ELNS1_3gpuE2ELNS1_3repE0EEENS1_47radix_sort_onesweep_sort_config_static_selectorELNS0_4arch9wavefront6targetE0EEEvSG_,comdat
	.protected	_ZN7rocprim17ROCPRIM_400000_NS6detail17trampoline_kernelINS0_14default_configENS1_35radix_sort_onesweep_config_selectorItNS0_10empty_typeEEEZZNS1_29radix_sort_onesweep_iterationIS3_Lb1EPKtPtPS5_SB_mNS0_19identity_decomposerENS1_16block_id_wrapperIjLb0EEEEE10hipError_tT1_PNSt15iterator_traitsISG_E10value_typeET2_T3_PNSH_ISM_E10value_typeET4_T5_PSR_SS_PNS1_23onesweep_lookback_stateEbbT6_jjT7_P12ihipStream_tbENKUlT_T0_SG_SL_E_clIS9_SA_SB_SB_EEDaSZ_S10_SG_SL_EUlSZ_E_NS1_11comp_targetILNS1_3genE8ELNS1_11target_archE1030ELNS1_3gpuE2ELNS1_3repE0EEENS1_47radix_sort_onesweep_sort_config_static_selectorELNS0_4arch9wavefront6targetE0EEEvSG_ ; -- Begin function _ZN7rocprim17ROCPRIM_400000_NS6detail17trampoline_kernelINS0_14default_configENS1_35radix_sort_onesweep_config_selectorItNS0_10empty_typeEEEZZNS1_29radix_sort_onesweep_iterationIS3_Lb1EPKtPtPS5_SB_mNS0_19identity_decomposerENS1_16block_id_wrapperIjLb0EEEEE10hipError_tT1_PNSt15iterator_traitsISG_E10value_typeET2_T3_PNSH_ISM_E10value_typeET4_T5_PSR_SS_PNS1_23onesweep_lookback_stateEbbT6_jjT7_P12ihipStream_tbENKUlT_T0_SG_SL_E_clIS9_SA_SB_SB_EEDaSZ_S10_SG_SL_EUlSZ_E_NS1_11comp_targetILNS1_3genE8ELNS1_11target_archE1030ELNS1_3gpuE2ELNS1_3repE0EEENS1_47radix_sort_onesweep_sort_config_static_selectorELNS0_4arch9wavefront6targetE0EEEvSG_
	.globl	_ZN7rocprim17ROCPRIM_400000_NS6detail17trampoline_kernelINS0_14default_configENS1_35radix_sort_onesweep_config_selectorItNS0_10empty_typeEEEZZNS1_29radix_sort_onesweep_iterationIS3_Lb1EPKtPtPS5_SB_mNS0_19identity_decomposerENS1_16block_id_wrapperIjLb0EEEEE10hipError_tT1_PNSt15iterator_traitsISG_E10value_typeET2_T3_PNSH_ISM_E10value_typeET4_T5_PSR_SS_PNS1_23onesweep_lookback_stateEbbT6_jjT7_P12ihipStream_tbENKUlT_T0_SG_SL_E_clIS9_SA_SB_SB_EEDaSZ_S10_SG_SL_EUlSZ_E_NS1_11comp_targetILNS1_3genE8ELNS1_11target_archE1030ELNS1_3gpuE2ELNS1_3repE0EEENS1_47radix_sort_onesweep_sort_config_static_selectorELNS0_4arch9wavefront6targetE0EEEvSG_
	.p2align	8
	.type	_ZN7rocprim17ROCPRIM_400000_NS6detail17trampoline_kernelINS0_14default_configENS1_35radix_sort_onesweep_config_selectorItNS0_10empty_typeEEEZZNS1_29radix_sort_onesweep_iterationIS3_Lb1EPKtPtPS5_SB_mNS0_19identity_decomposerENS1_16block_id_wrapperIjLb0EEEEE10hipError_tT1_PNSt15iterator_traitsISG_E10value_typeET2_T3_PNSH_ISM_E10value_typeET4_T5_PSR_SS_PNS1_23onesweep_lookback_stateEbbT6_jjT7_P12ihipStream_tbENKUlT_T0_SG_SL_E_clIS9_SA_SB_SB_EEDaSZ_S10_SG_SL_EUlSZ_E_NS1_11comp_targetILNS1_3genE8ELNS1_11target_archE1030ELNS1_3gpuE2ELNS1_3repE0EEENS1_47radix_sort_onesweep_sort_config_static_selectorELNS0_4arch9wavefront6targetE0EEEvSG_,@function
_ZN7rocprim17ROCPRIM_400000_NS6detail17trampoline_kernelINS0_14default_configENS1_35radix_sort_onesweep_config_selectorItNS0_10empty_typeEEEZZNS1_29radix_sort_onesweep_iterationIS3_Lb1EPKtPtPS5_SB_mNS0_19identity_decomposerENS1_16block_id_wrapperIjLb0EEEEE10hipError_tT1_PNSt15iterator_traitsISG_E10value_typeET2_T3_PNSH_ISM_E10value_typeET4_T5_PSR_SS_PNS1_23onesweep_lookback_stateEbbT6_jjT7_P12ihipStream_tbENKUlT_T0_SG_SL_E_clIS9_SA_SB_SB_EEDaSZ_S10_SG_SL_EUlSZ_E_NS1_11comp_targetILNS1_3genE8ELNS1_11target_archE1030ELNS1_3gpuE2ELNS1_3repE0EEENS1_47radix_sort_onesweep_sort_config_static_selectorELNS0_4arch9wavefront6targetE0EEEvSG_: ; @_ZN7rocprim17ROCPRIM_400000_NS6detail17trampoline_kernelINS0_14default_configENS1_35radix_sort_onesweep_config_selectorItNS0_10empty_typeEEEZZNS1_29radix_sort_onesweep_iterationIS3_Lb1EPKtPtPS5_SB_mNS0_19identity_decomposerENS1_16block_id_wrapperIjLb0EEEEE10hipError_tT1_PNSt15iterator_traitsISG_E10value_typeET2_T3_PNSH_ISM_E10value_typeET4_T5_PSR_SS_PNS1_23onesweep_lookback_stateEbbT6_jjT7_P12ihipStream_tbENKUlT_T0_SG_SL_E_clIS9_SA_SB_SB_EEDaSZ_S10_SG_SL_EUlSZ_E_NS1_11comp_targetILNS1_3genE8ELNS1_11target_archE1030ELNS1_3gpuE2ELNS1_3repE0EEENS1_47radix_sort_onesweep_sort_config_static_selectorELNS0_4arch9wavefront6targetE0EEEvSG_
; %bb.0:
	.section	.rodata,"a",@progbits
	.p2align	6, 0x0
	.amdhsa_kernel _ZN7rocprim17ROCPRIM_400000_NS6detail17trampoline_kernelINS0_14default_configENS1_35radix_sort_onesweep_config_selectorItNS0_10empty_typeEEEZZNS1_29radix_sort_onesweep_iterationIS3_Lb1EPKtPtPS5_SB_mNS0_19identity_decomposerENS1_16block_id_wrapperIjLb0EEEEE10hipError_tT1_PNSt15iterator_traitsISG_E10value_typeET2_T3_PNSH_ISM_E10value_typeET4_T5_PSR_SS_PNS1_23onesweep_lookback_stateEbbT6_jjT7_P12ihipStream_tbENKUlT_T0_SG_SL_E_clIS9_SA_SB_SB_EEDaSZ_S10_SG_SL_EUlSZ_E_NS1_11comp_targetILNS1_3genE8ELNS1_11target_archE1030ELNS1_3gpuE2ELNS1_3repE0EEENS1_47radix_sort_onesweep_sort_config_static_selectorELNS0_4arch9wavefront6targetE0EEEvSG_
		.amdhsa_group_segment_fixed_size 0
		.amdhsa_private_segment_fixed_size 0
		.amdhsa_kernarg_size 88
		.amdhsa_user_sgpr_count 2
		.amdhsa_user_sgpr_dispatch_ptr 0
		.amdhsa_user_sgpr_queue_ptr 0
		.amdhsa_user_sgpr_kernarg_segment_ptr 1
		.amdhsa_user_sgpr_dispatch_id 0
		.amdhsa_user_sgpr_kernarg_preload_length 0
		.amdhsa_user_sgpr_kernarg_preload_offset 0
		.amdhsa_user_sgpr_private_segment_size 0
		.amdhsa_wavefront_size32 1
		.amdhsa_uses_dynamic_stack 0
		.amdhsa_enable_private_segment 0
		.amdhsa_system_sgpr_workgroup_id_x 1
		.amdhsa_system_sgpr_workgroup_id_y 0
		.amdhsa_system_sgpr_workgroup_id_z 0
		.amdhsa_system_sgpr_workgroup_info 0
		.amdhsa_system_vgpr_workitem_id 0
		.amdhsa_next_free_vgpr 1
		.amdhsa_next_free_sgpr 1
		.amdhsa_named_barrier_count 0
		.amdhsa_reserve_vcc 0
		.amdhsa_float_round_mode_32 0
		.amdhsa_float_round_mode_16_64 0
		.amdhsa_float_denorm_mode_32 3
		.amdhsa_float_denorm_mode_16_64 3
		.amdhsa_fp16_overflow 0
		.amdhsa_memory_ordered 1
		.amdhsa_forward_progress 1
		.amdhsa_inst_pref_size 0
		.amdhsa_round_robin_scheduling 0
		.amdhsa_exception_fp_ieee_invalid_op 0
		.amdhsa_exception_fp_denorm_src 0
		.amdhsa_exception_fp_ieee_div_zero 0
		.amdhsa_exception_fp_ieee_overflow 0
		.amdhsa_exception_fp_ieee_underflow 0
		.amdhsa_exception_fp_ieee_inexact 0
		.amdhsa_exception_int_div_zero 0
	.end_amdhsa_kernel
	.section	.text._ZN7rocprim17ROCPRIM_400000_NS6detail17trampoline_kernelINS0_14default_configENS1_35radix_sort_onesweep_config_selectorItNS0_10empty_typeEEEZZNS1_29radix_sort_onesweep_iterationIS3_Lb1EPKtPtPS5_SB_mNS0_19identity_decomposerENS1_16block_id_wrapperIjLb0EEEEE10hipError_tT1_PNSt15iterator_traitsISG_E10value_typeET2_T3_PNSH_ISM_E10value_typeET4_T5_PSR_SS_PNS1_23onesweep_lookback_stateEbbT6_jjT7_P12ihipStream_tbENKUlT_T0_SG_SL_E_clIS9_SA_SB_SB_EEDaSZ_S10_SG_SL_EUlSZ_E_NS1_11comp_targetILNS1_3genE8ELNS1_11target_archE1030ELNS1_3gpuE2ELNS1_3repE0EEENS1_47radix_sort_onesweep_sort_config_static_selectorELNS0_4arch9wavefront6targetE0EEEvSG_,"axG",@progbits,_ZN7rocprim17ROCPRIM_400000_NS6detail17trampoline_kernelINS0_14default_configENS1_35radix_sort_onesweep_config_selectorItNS0_10empty_typeEEEZZNS1_29radix_sort_onesweep_iterationIS3_Lb1EPKtPtPS5_SB_mNS0_19identity_decomposerENS1_16block_id_wrapperIjLb0EEEEE10hipError_tT1_PNSt15iterator_traitsISG_E10value_typeET2_T3_PNSH_ISM_E10value_typeET4_T5_PSR_SS_PNS1_23onesweep_lookback_stateEbbT6_jjT7_P12ihipStream_tbENKUlT_T0_SG_SL_E_clIS9_SA_SB_SB_EEDaSZ_S10_SG_SL_EUlSZ_E_NS1_11comp_targetILNS1_3genE8ELNS1_11target_archE1030ELNS1_3gpuE2ELNS1_3repE0EEENS1_47radix_sort_onesweep_sort_config_static_selectorELNS0_4arch9wavefront6targetE0EEEvSG_,comdat
.Lfunc_end2412:
	.size	_ZN7rocprim17ROCPRIM_400000_NS6detail17trampoline_kernelINS0_14default_configENS1_35radix_sort_onesweep_config_selectorItNS0_10empty_typeEEEZZNS1_29radix_sort_onesweep_iterationIS3_Lb1EPKtPtPS5_SB_mNS0_19identity_decomposerENS1_16block_id_wrapperIjLb0EEEEE10hipError_tT1_PNSt15iterator_traitsISG_E10value_typeET2_T3_PNSH_ISM_E10value_typeET4_T5_PSR_SS_PNS1_23onesweep_lookback_stateEbbT6_jjT7_P12ihipStream_tbENKUlT_T0_SG_SL_E_clIS9_SA_SB_SB_EEDaSZ_S10_SG_SL_EUlSZ_E_NS1_11comp_targetILNS1_3genE8ELNS1_11target_archE1030ELNS1_3gpuE2ELNS1_3repE0EEENS1_47radix_sort_onesweep_sort_config_static_selectorELNS0_4arch9wavefront6targetE0EEEvSG_, .Lfunc_end2412-_ZN7rocprim17ROCPRIM_400000_NS6detail17trampoline_kernelINS0_14default_configENS1_35radix_sort_onesweep_config_selectorItNS0_10empty_typeEEEZZNS1_29radix_sort_onesweep_iterationIS3_Lb1EPKtPtPS5_SB_mNS0_19identity_decomposerENS1_16block_id_wrapperIjLb0EEEEE10hipError_tT1_PNSt15iterator_traitsISG_E10value_typeET2_T3_PNSH_ISM_E10value_typeET4_T5_PSR_SS_PNS1_23onesweep_lookback_stateEbbT6_jjT7_P12ihipStream_tbENKUlT_T0_SG_SL_E_clIS9_SA_SB_SB_EEDaSZ_S10_SG_SL_EUlSZ_E_NS1_11comp_targetILNS1_3genE8ELNS1_11target_archE1030ELNS1_3gpuE2ELNS1_3repE0EEENS1_47radix_sort_onesweep_sort_config_static_selectorELNS0_4arch9wavefront6targetE0EEEvSG_
                                        ; -- End function
	.set _ZN7rocprim17ROCPRIM_400000_NS6detail17trampoline_kernelINS0_14default_configENS1_35radix_sort_onesweep_config_selectorItNS0_10empty_typeEEEZZNS1_29radix_sort_onesweep_iterationIS3_Lb1EPKtPtPS5_SB_mNS0_19identity_decomposerENS1_16block_id_wrapperIjLb0EEEEE10hipError_tT1_PNSt15iterator_traitsISG_E10value_typeET2_T3_PNSH_ISM_E10value_typeET4_T5_PSR_SS_PNS1_23onesweep_lookback_stateEbbT6_jjT7_P12ihipStream_tbENKUlT_T0_SG_SL_E_clIS9_SA_SB_SB_EEDaSZ_S10_SG_SL_EUlSZ_E_NS1_11comp_targetILNS1_3genE8ELNS1_11target_archE1030ELNS1_3gpuE2ELNS1_3repE0EEENS1_47radix_sort_onesweep_sort_config_static_selectorELNS0_4arch9wavefront6targetE0EEEvSG_.num_vgpr, 0
	.set _ZN7rocprim17ROCPRIM_400000_NS6detail17trampoline_kernelINS0_14default_configENS1_35radix_sort_onesweep_config_selectorItNS0_10empty_typeEEEZZNS1_29radix_sort_onesweep_iterationIS3_Lb1EPKtPtPS5_SB_mNS0_19identity_decomposerENS1_16block_id_wrapperIjLb0EEEEE10hipError_tT1_PNSt15iterator_traitsISG_E10value_typeET2_T3_PNSH_ISM_E10value_typeET4_T5_PSR_SS_PNS1_23onesweep_lookback_stateEbbT6_jjT7_P12ihipStream_tbENKUlT_T0_SG_SL_E_clIS9_SA_SB_SB_EEDaSZ_S10_SG_SL_EUlSZ_E_NS1_11comp_targetILNS1_3genE8ELNS1_11target_archE1030ELNS1_3gpuE2ELNS1_3repE0EEENS1_47radix_sort_onesweep_sort_config_static_selectorELNS0_4arch9wavefront6targetE0EEEvSG_.num_agpr, 0
	.set _ZN7rocprim17ROCPRIM_400000_NS6detail17trampoline_kernelINS0_14default_configENS1_35radix_sort_onesweep_config_selectorItNS0_10empty_typeEEEZZNS1_29radix_sort_onesweep_iterationIS3_Lb1EPKtPtPS5_SB_mNS0_19identity_decomposerENS1_16block_id_wrapperIjLb0EEEEE10hipError_tT1_PNSt15iterator_traitsISG_E10value_typeET2_T3_PNSH_ISM_E10value_typeET4_T5_PSR_SS_PNS1_23onesweep_lookback_stateEbbT6_jjT7_P12ihipStream_tbENKUlT_T0_SG_SL_E_clIS9_SA_SB_SB_EEDaSZ_S10_SG_SL_EUlSZ_E_NS1_11comp_targetILNS1_3genE8ELNS1_11target_archE1030ELNS1_3gpuE2ELNS1_3repE0EEENS1_47radix_sort_onesweep_sort_config_static_selectorELNS0_4arch9wavefront6targetE0EEEvSG_.numbered_sgpr, 0
	.set _ZN7rocprim17ROCPRIM_400000_NS6detail17trampoline_kernelINS0_14default_configENS1_35radix_sort_onesweep_config_selectorItNS0_10empty_typeEEEZZNS1_29radix_sort_onesweep_iterationIS3_Lb1EPKtPtPS5_SB_mNS0_19identity_decomposerENS1_16block_id_wrapperIjLb0EEEEE10hipError_tT1_PNSt15iterator_traitsISG_E10value_typeET2_T3_PNSH_ISM_E10value_typeET4_T5_PSR_SS_PNS1_23onesweep_lookback_stateEbbT6_jjT7_P12ihipStream_tbENKUlT_T0_SG_SL_E_clIS9_SA_SB_SB_EEDaSZ_S10_SG_SL_EUlSZ_E_NS1_11comp_targetILNS1_3genE8ELNS1_11target_archE1030ELNS1_3gpuE2ELNS1_3repE0EEENS1_47radix_sort_onesweep_sort_config_static_selectorELNS0_4arch9wavefront6targetE0EEEvSG_.num_named_barrier, 0
	.set _ZN7rocprim17ROCPRIM_400000_NS6detail17trampoline_kernelINS0_14default_configENS1_35radix_sort_onesweep_config_selectorItNS0_10empty_typeEEEZZNS1_29radix_sort_onesweep_iterationIS3_Lb1EPKtPtPS5_SB_mNS0_19identity_decomposerENS1_16block_id_wrapperIjLb0EEEEE10hipError_tT1_PNSt15iterator_traitsISG_E10value_typeET2_T3_PNSH_ISM_E10value_typeET4_T5_PSR_SS_PNS1_23onesweep_lookback_stateEbbT6_jjT7_P12ihipStream_tbENKUlT_T0_SG_SL_E_clIS9_SA_SB_SB_EEDaSZ_S10_SG_SL_EUlSZ_E_NS1_11comp_targetILNS1_3genE8ELNS1_11target_archE1030ELNS1_3gpuE2ELNS1_3repE0EEENS1_47radix_sort_onesweep_sort_config_static_selectorELNS0_4arch9wavefront6targetE0EEEvSG_.private_seg_size, 0
	.set _ZN7rocprim17ROCPRIM_400000_NS6detail17trampoline_kernelINS0_14default_configENS1_35radix_sort_onesweep_config_selectorItNS0_10empty_typeEEEZZNS1_29radix_sort_onesweep_iterationIS3_Lb1EPKtPtPS5_SB_mNS0_19identity_decomposerENS1_16block_id_wrapperIjLb0EEEEE10hipError_tT1_PNSt15iterator_traitsISG_E10value_typeET2_T3_PNSH_ISM_E10value_typeET4_T5_PSR_SS_PNS1_23onesweep_lookback_stateEbbT6_jjT7_P12ihipStream_tbENKUlT_T0_SG_SL_E_clIS9_SA_SB_SB_EEDaSZ_S10_SG_SL_EUlSZ_E_NS1_11comp_targetILNS1_3genE8ELNS1_11target_archE1030ELNS1_3gpuE2ELNS1_3repE0EEENS1_47radix_sort_onesweep_sort_config_static_selectorELNS0_4arch9wavefront6targetE0EEEvSG_.uses_vcc, 0
	.set _ZN7rocprim17ROCPRIM_400000_NS6detail17trampoline_kernelINS0_14default_configENS1_35radix_sort_onesweep_config_selectorItNS0_10empty_typeEEEZZNS1_29radix_sort_onesweep_iterationIS3_Lb1EPKtPtPS5_SB_mNS0_19identity_decomposerENS1_16block_id_wrapperIjLb0EEEEE10hipError_tT1_PNSt15iterator_traitsISG_E10value_typeET2_T3_PNSH_ISM_E10value_typeET4_T5_PSR_SS_PNS1_23onesweep_lookback_stateEbbT6_jjT7_P12ihipStream_tbENKUlT_T0_SG_SL_E_clIS9_SA_SB_SB_EEDaSZ_S10_SG_SL_EUlSZ_E_NS1_11comp_targetILNS1_3genE8ELNS1_11target_archE1030ELNS1_3gpuE2ELNS1_3repE0EEENS1_47radix_sort_onesweep_sort_config_static_selectorELNS0_4arch9wavefront6targetE0EEEvSG_.uses_flat_scratch, 0
	.set _ZN7rocprim17ROCPRIM_400000_NS6detail17trampoline_kernelINS0_14default_configENS1_35radix_sort_onesweep_config_selectorItNS0_10empty_typeEEEZZNS1_29radix_sort_onesweep_iterationIS3_Lb1EPKtPtPS5_SB_mNS0_19identity_decomposerENS1_16block_id_wrapperIjLb0EEEEE10hipError_tT1_PNSt15iterator_traitsISG_E10value_typeET2_T3_PNSH_ISM_E10value_typeET4_T5_PSR_SS_PNS1_23onesweep_lookback_stateEbbT6_jjT7_P12ihipStream_tbENKUlT_T0_SG_SL_E_clIS9_SA_SB_SB_EEDaSZ_S10_SG_SL_EUlSZ_E_NS1_11comp_targetILNS1_3genE8ELNS1_11target_archE1030ELNS1_3gpuE2ELNS1_3repE0EEENS1_47radix_sort_onesweep_sort_config_static_selectorELNS0_4arch9wavefront6targetE0EEEvSG_.has_dyn_sized_stack, 0
	.set _ZN7rocprim17ROCPRIM_400000_NS6detail17trampoline_kernelINS0_14default_configENS1_35radix_sort_onesweep_config_selectorItNS0_10empty_typeEEEZZNS1_29radix_sort_onesweep_iterationIS3_Lb1EPKtPtPS5_SB_mNS0_19identity_decomposerENS1_16block_id_wrapperIjLb0EEEEE10hipError_tT1_PNSt15iterator_traitsISG_E10value_typeET2_T3_PNSH_ISM_E10value_typeET4_T5_PSR_SS_PNS1_23onesweep_lookback_stateEbbT6_jjT7_P12ihipStream_tbENKUlT_T0_SG_SL_E_clIS9_SA_SB_SB_EEDaSZ_S10_SG_SL_EUlSZ_E_NS1_11comp_targetILNS1_3genE8ELNS1_11target_archE1030ELNS1_3gpuE2ELNS1_3repE0EEENS1_47radix_sort_onesweep_sort_config_static_selectorELNS0_4arch9wavefront6targetE0EEEvSG_.has_recursion, 0
	.set _ZN7rocprim17ROCPRIM_400000_NS6detail17trampoline_kernelINS0_14default_configENS1_35radix_sort_onesweep_config_selectorItNS0_10empty_typeEEEZZNS1_29radix_sort_onesweep_iterationIS3_Lb1EPKtPtPS5_SB_mNS0_19identity_decomposerENS1_16block_id_wrapperIjLb0EEEEE10hipError_tT1_PNSt15iterator_traitsISG_E10value_typeET2_T3_PNSH_ISM_E10value_typeET4_T5_PSR_SS_PNS1_23onesweep_lookback_stateEbbT6_jjT7_P12ihipStream_tbENKUlT_T0_SG_SL_E_clIS9_SA_SB_SB_EEDaSZ_S10_SG_SL_EUlSZ_E_NS1_11comp_targetILNS1_3genE8ELNS1_11target_archE1030ELNS1_3gpuE2ELNS1_3repE0EEENS1_47radix_sort_onesweep_sort_config_static_selectorELNS0_4arch9wavefront6targetE0EEEvSG_.has_indirect_call, 0
	.section	.AMDGPU.csdata,"",@progbits
; Kernel info:
; codeLenInByte = 0
; TotalNumSgprs: 0
; NumVgprs: 0
; ScratchSize: 0
; MemoryBound: 0
; FloatMode: 240
; IeeeMode: 1
; LDSByteSize: 0 bytes/workgroup (compile time only)
; SGPRBlocks: 0
; VGPRBlocks: 0
; NumSGPRsForWavesPerEU: 1
; NumVGPRsForWavesPerEU: 1
; NamedBarCnt: 0
; Occupancy: 16
; WaveLimiterHint : 0
; COMPUTE_PGM_RSRC2:SCRATCH_EN: 0
; COMPUTE_PGM_RSRC2:USER_SGPR: 2
; COMPUTE_PGM_RSRC2:TRAP_HANDLER: 0
; COMPUTE_PGM_RSRC2:TGID_X_EN: 1
; COMPUTE_PGM_RSRC2:TGID_Y_EN: 0
; COMPUTE_PGM_RSRC2:TGID_Z_EN: 0
; COMPUTE_PGM_RSRC2:TIDIG_COMP_CNT: 0
	.section	.text._ZN7rocprim17ROCPRIM_400000_NS6detail17trampoline_kernelINS0_14default_configENS1_35radix_sort_onesweep_config_selectorItNS0_10empty_typeEEEZZNS1_29radix_sort_onesweep_iterationIS3_Lb1EPKtPtPS5_SB_mNS0_19identity_decomposerENS1_16block_id_wrapperIjLb0EEEEE10hipError_tT1_PNSt15iterator_traitsISG_E10value_typeET2_T3_PNSH_ISM_E10value_typeET4_T5_PSR_SS_PNS1_23onesweep_lookback_stateEbbT6_jjT7_P12ihipStream_tbENKUlT_T0_SG_SL_E_clISA_SA_SB_SB_EEDaSZ_S10_SG_SL_EUlSZ_E_NS1_11comp_targetILNS1_3genE0ELNS1_11target_archE4294967295ELNS1_3gpuE0ELNS1_3repE0EEENS1_47radix_sort_onesweep_sort_config_static_selectorELNS0_4arch9wavefront6targetE0EEEvSG_,"axG",@progbits,_ZN7rocprim17ROCPRIM_400000_NS6detail17trampoline_kernelINS0_14default_configENS1_35radix_sort_onesweep_config_selectorItNS0_10empty_typeEEEZZNS1_29radix_sort_onesweep_iterationIS3_Lb1EPKtPtPS5_SB_mNS0_19identity_decomposerENS1_16block_id_wrapperIjLb0EEEEE10hipError_tT1_PNSt15iterator_traitsISG_E10value_typeET2_T3_PNSH_ISM_E10value_typeET4_T5_PSR_SS_PNS1_23onesweep_lookback_stateEbbT6_jjT7_P12ihipStream_tbENKUlT_T0_SG_SL_E_clISA_SA_SB_SB_EEDaSZ_S10_SG_SL_EUlSZ_E_NS1_11comp_targetILNS1_3genE0ELNS1_11target_archE4294967295ELNS1_3gpuE0ELNS1_3repE0EEENS1_47radix_sort_onesweep_sort_config_static_selectorELNS0_4arch9wavefront6targetE0EEEvSG_,comdat
	.protected	_ZN7rocprim17ROCPRIM_400000_NS6detail17trampoline_kernelINS0_14default_configENS1_35radix_sort_onesweep_config_selectorItNS0_10empty_typeEEEZZNS1_29radix_sort_onesweep_iterationIS3_Lb1EPKtPtPS5_SB_mNS0_19identity_decomposerENS1_16block_id_wrapperIjLb0EEEEE10hipError_tT1_PNSt15iterator_traitsISG_E10value_typeET2_T3_PNSH_ISM_E10value_typeET4_T5_PSR_SS_PNS1_23onesweep_lookback_stateEbbT6_jjT7_P12ihipStream_tbENKUlT_T0_SG_SL_E_clISA_SA_SB_SB_EEDaSZ_S10_SG_SL_EUlSZ_E_NS1_11comp_targetILNS1_3genE0ELNS1_11target_archE4294967295ELNS1_3gpuE0ELNS1_3repE0EEENS1_47radix_sort_onesweep_sort_config_static_selectorELNS0_4arch9wavefront6targetE0EEEvSG_ ; -- Begin function _ZN7rocprim17ROCPRIM_400000_NS6detail17trampoline_kernelINS0_14default_configENS1_35radix_sort_onesweep_config_selectorItNS0_10empty_typeEEEZZNS1_29radix_sort_onesweep_iterationIS3_Lb1EPKtPtPS5_SB_mNS0_19identity_decomposerENS1_16block_id_wrapperIjLb0EEEEE10hipError_tT1_PNSt15iterator_traitsISG_E10value_typeET2_T3_PNSH_ISM_E10value_typeET4_T5_PSR_SS_PNS1_23onesweep_lookback_stateEbbT6_jjT7_P12ihipStream_tbENKUlT_T0_SG_SL_E_clISA_SA_SB_SB_EEDaSZ_S10_SG_SL_EUlSZ_E_NS1_11comp_targetILNS1_3genE0ELNS1_11target_archE4294967295ELNS1_3gpuE0ELNS1_3repE0EEENS1_47radix_sort_onesweep_sort_config_static_selectorELNS0_4arch9wavefront6targetE0EEEvSG_
	.globl	_ZN7rocprim17ROCPRIM_400000_NS6detail17trampoline_kernelINS0_14default_configENS1_35radix_sort_onesweep_config_selectorItNS0_10empty_typeEEEZZNS1_29radix_sort_onesweep_iterationIS3_Lb1EPKtPtPS5_SB_mNS0_19identity_decomposerENS1_16block_id_wrapperIjLb0EEEEE10hipError_tT1_PNSt15iterator_traitsISG_E10value_typeET2_T3_PNSH_ISM_E10value_typeET4_T5_PSR_SS_PNS1_23onesweep_lookback_stateEbbT6_jjT7_P12ihipStream_tbENKUlT_T0_SG_SL_E_clISA_SA_SB_SB_EEDaSZ_S10_SG_SL_EUlSZ_E_NS1_11comp_targetILNS1_3genE0ELNS1_11target_archE4294967295ELNS1_3gpuE0ELNS1_3repE0EEENS1_47radix_sort_onesweep_sort_config_static_selectorELNS0_4arch9wavefront6targetE0EEEvSG_
	.p2align	8
	.type	_ZN7rocprim17ROCPRIM_400000_NS6detail17trampoline_kernelINS0_14default_configENS1_35radix_sort_onesweep_config_selectorItNS0_10empty_typeEEEZZNS1_29radix_sort_onesweep_iterationIS3_Lb1EPKtPtPS5_SB_mNS0_19identity_decomposerENS1_16block_id_wrapperIjLb0EEEEE10hipError_tT1_PNSt15iterator_traitsISG_E10value_typeET2_T3_PNSH_ISM_E10value_typeET4_T5_PSR_SS_PNS1_23onesweep_lookback_stateEbbT6_jjT7_P12ihipStream_tbENKUlT_T0_SG_SL_E_clISA_SA_SB_SB_EEDaSZ_S10_SG_SL_EUlSZ_E_NS1_11comp_targetILNS1_3genE0ELNS1_11target_archE4294967295ELNS1_3gpuE0ELNS1_3repE0EEENS1_47radix_sort_onesweep_sort_config_static_selectorELNS0_4arch9wavefront6targetE0EEEvSG_,@function
_ZN7rocprim17ROCPRIM_400000_NS6detail17trampoline_kernelINS0_14default_configENS1_35radix_sort_onesweep_config_selectorItNS0_10empty_typeEEEZZNS1_29radix_sort_onesweep_iterationIS3_Lb1EPKtPtPS5_SB_mNS0_19identity_decomposerENS1_16block_id_wrapperIjLb0EEEEE10hipError_tT1_PNSt15iterator_traitsISG_E10value_typeET2_T3_PNSH_ISM_E10value_typeET4_T5_PSR_SS_PNS1_23onesweep_lookback_stateEbbT6_jjT7_P12ihipStream_tbENKUlT_T0_SG_SL_E_clISA_SA_SB_SB_EEDaSZ_S10_SG_SL_EUlSZ_E_NS1_11comp_targetILNS1_3genE0ELNS1_11target_archE4294967295ELNS1_3gpuE0ELNS1_3repE0EEENS1_47radix_sort_onesweep_sort_config_static_selectorELNS0_4arch9wavefront6targetE0EEEvSG_: ; @_ZN7rocprim17ROCPRIM_400000_NS6detail17trampoline_kernelINS0_14default_configENS1_35radix_sort_onesweep_config_selectorItNS0_10empty_typeEEEZZNS1_29radix_sort_onesweep_iterationIS3_Lb1EPKtPtPS5_SB_mNS0_19identity_decomposerENS1_16block_id_wrapperIjLb0EEEEE10hipError_tT1_PNSt15iterator_traitsISG_E10value_typeET2_T3_PNSH_ISM_E10value_typeET4_T5_PSR_SS_PNS1_23onesweep_lookback_stateEbbT6_jjT7_P12ihipStream_tbENKUlT_T0_SG_SL_E_clISA_SA_SB_SB_EEDaSZ_S10_SG_SL_EUlSZ_E_NS1_11comp_targetILNS1_3genE0ELNS1_11target_archE4294967295ELNS1_3gpuE0ELNS1_3repE0EEENS1_47radix_sort_onesweep_sort_config_static_selectorELNS0_4arch9wavefront6targetE0EEEvSG_
; %bb.0:
	s_clause 0x3
	s_load_b96 s[20:22], s[0:1], 0x44
	s_load_b64 s[10:11], s[0:1], 0x38
	s_load_b128 s[16:19], s[0:1], 0x0
	s_load_b128 s[12:15], s[0:1], 0x28
	s_bfe_u32 s2, ttmp6, 0x4000c
	s_and_b32 s3, ttmp6, 15
	s_add_co_i32 s2, s2, 1
	s_getreg_b32 s4, hwreg(HW_REG_IB_STS2, 6, 4)
	s_mul_i32 s5, ttmp9, s2
	v_mbcnt_lo_u32_b32 v14, -1, 0
	s_add_co_i32 s3, s3, s5
	s_cmp_eq_u32 s4, 0
	v_and_b32_e32 v15, 0x1e0, v0
	s_cselect_b32 s9, ttmp9, s3
	s_mov_b32 s25, 0
	s_mov_b32 s2, -1
	s_mul_i32 s24, s9, 0x1800
	s_add_nc_u64 s[26:27], s[0:1], 0x58
	s_wait_kmcnt 0x0
	s_cmp_ge_u32 s9, s22
	s_cbranch_scc0 .LBB2413_96
; %bb.1:
	s_load_b32 s4, s[0:1], 0x20
	v_dual_mov_b32 v9, 0 :: v_dual_lshlrev_b32 v8, 1, v14
	s_lshl_b64 s[2:3], s[24:25], 1
	v_mul_u32_u24_e32 v1, 12, v15
	s_add_nc_u64 s[2:3], s[16:17], s[2:3]
	s_mul_i32 s5, s22, 0xffffe800
	v_add_nc_u64_e32 v[10:11], s[2:3], v[8:9]
	v_dual_mov_b32 v6, v9 :: v_dual_mov_b32 v2, v9
	v_dual_lshlrev_b32 v8, 1, v1 :: v_dual_bitop2_b32 v1, v14, v1 bitop3:0x54
	v_dual_mov_b32 v3, v9 :: v_dual_mov_b32 v4, v9
	v_mov_b32_e32 v5, v9
	s_delay_alu instid0(VALU_DEP_3) | instskip(SKIP_3) | instid1(SALU_CYCLE_1)
	v_add_nc_u64_e32 v[10:11], v[10:11], v[8:9]
	s_mov_b32 s2, exec_lo
	s_wait_kmcnt 0x0
	s_add_co_i32 s22, s4, s5
	v_cmpx_gt_u32_e64 s22, v1
	s_cbranch_execz .LBB2413_3
; %bb.2:
	global_load_u16 v5, v[10:11], off
	v_dual_mov_b32 v2, v9 :: v_dual_mov_b32 v3, v9
	v_mov_b32_e32 v4, v9
	s_wait_loadcnt 0x0
	v_and_b32_e32 v6, 0xffff, v5
	v_mov_b32_e32 v5, v9
.LBB2413_3:
	s_or_b32 exec_lo, exec_lo, s2
	v_or_b32_e32 v7, 32, v1
	s_mov_b32 s2, exec_lo
	s_delay_alu instid0(VALU_DEP_1)
	v_cmpx_gt_u32_e64 s22, v7
	s_cbranch_execz .LBB2413_5
; %bb.4:
	global_load_u16 v7, v[10:11], off offset:64
	s_wait_loadcnt 0x0
	v_perm_b32 v6, v7, v6, 0x5040100
.LBB2413_5:
	s_or_b32 exec_lo, exec_lo, s2
	v_or_b32_e32 v7, 64, v1
	s_mov_b32 s2, exec_lo
	s_delay_alu instid0(VALU_DEP_1)
	v_cmpx_gt_u32_e64 s22, v7
	s_cbranch_execz .LBB2413_7
; %bb.6:
	global_load_u16 v7, v[10:11], off offset:128
	s_wait_loadcnt 0x0
	v_bfi_b32 v9, 0xffff, v7, v9
.LBB2413_7:
	s_or_b32 exec_lo, exec_lo, s2
	v_or_b32_e32 v7, 0x60, v1
	s_mov_b32 s2, exec_lo
	s_delay_alu instid0(VALU_DEP_1)
	v_cmpx_gt_u32_e64 s22, v7
	s_cbranch_execz .LBB2413_9
; %bb.8:
	global_load_u16 v7, v[10:11], off offset:192
	s_wait_loadcnt 0x0
	v_perm_b32 v9, v7, v9, 0x5040100
.LBB2413_9:
	s_or_b32 exec_lo, exec_lo, s2
	v_add_nc_u32_e32 v7, 0x80, v1
	s_mov_b32 s2, exec_lo
	s_delay_alu instid0(VALU_DEP_1)
	v_cmpx_gt_u32_e64 s22, v7
	s_cbranch_execz .LBB2413_11
; %bb.10:
	global_load_u16 v7, v[10:11], off offset:256
	s_wait_loadcnt 0x0
	v_bfi_b32 v2, 0xffff, v7, v2
.LBB2413_11:
	s_or_b32 exec_lo, exec_lo, s2
	v_add_nc_u32_e32 v7, 0xa0, v1
	s_mov_b32 s2, exec_lo
	s_delay_alu instid0(VALU_DEP_1)
	v_cmpx_gt_u32_e64 s22, v7
	s_cbranch_execz .LBB2413_13
; %bb.12:
	global_load_u16 v7, v[10:11], off offset:320
	s_wait_loadcnt 0x0
	v_perm_b32 v2, v7, v2, 0x5040100
.LBB2413_13:
	s_or_b32 exec_lo, exec_lo, s2
	v_add_nc_u32_e32 v7, 0xc0, v1
	s_mov_b32 s2, exec_lo
	s_delay_alu instid0(VALU_DEP_1)
	v_cmpx_gt_u32_e64 s22, v7
	s_cbranch_execz .LBB2413_15
; %bb.14:
	global_load_u16 v7, v[10:11], off offset:384
	s_wait_loadcnt 0x0
	v_bfi_b32 v3, 0xffff, v7, v3
.LBB2413_15:
	s_or_b32 exec_lo, exec_lo, s2
	v_add_nc_u32_e32 v7, 0xe0, v1
	;; [unrolled: 22-line block ×4, first 2 shown]
	v_and_b32_e32 v1, 0x3ff, v0
	s_mov_b32 s2, exec_lo
	s_delay_alu instid0(VALU_DEP_2)
	v_cmpx_gt_u32_e64 s22, v7
	s_cbranch_execz .LBB2413_25
; %bb.24:
	global_load_u16 v7, v[10:11], off offset:704
	s_wait_loadcnt 0x0
	v_perm_b32 v5, v7, v5, 0x5040100
.LBB2413_25:
	s_or_b32 exec_lo, exec_lo, s2
	s_clause 0x1
	s_load_b32 s23, s[0:1], 0x58
	s_load_u16 s4, s[0:1], 0x66
	v_xor_b32_e32 v10, -1, v6
	v_bfe_u32 v8, v0, 10, 10
	v_bfe_u32 v11, v0, 20, 10
	s_mov_b32 s3, 0
	s_delay_alu instid0(VALU_DEP_3) | instskip(NEXT) | instid1(VALU_DEP_1)
	v_and_b32_e32 v7, 0xffff, v10
	v_lshrrev_b32_e32 v7, s20, v7
	s_wait_kmcnt 0x0
	s_cmp_lt_u32 s9, s23
	v_mad_u32_u24 v8, v11, s4, v8
	s_cselect_b32 s2, 12, 18
	s_lshl_b32 s25, -1, s21
	s_add_nc_u64 s[2:3], s[26:27], s[2:3]
	v_bitop3_b32 v11, v7, 1, s25 bitop3:0x40
	v_bitop3_b32 v12, v7, s25, v7 bitop3:0x30
	s_load_u16 s28, s[2:3], 0x0
	s_not_b32 s25, s25
	s_wait_xcnt 0x0
	v_add_co_u32 v7, s2, v11, -1
	s_delay_alu instid0(VALU_DEP_1) | instskip(SKIP_2) | instid1(VALU_DEP_3)
	v_cndmask_b32_e64 v11, 0, 1, s2
	v_dual_lshlrev_b32 v13, 30, v12 :: v_dual_lshlrev_b32 v16, 29, v12
	v_dual_lshlrev_b32 v17, 28, v12 :: v_dual_lshlrev_b32 v18, 27, v12
	v_cmp_ne_u32_e32 vcc_lo, 0, v11
	s_delay_alu instid0(VALU_DEP_3)
	v_not_b32_e32 v11, v13
	v_dual_lshlrev_b32 v19, 26, v12 :: v_dual_lshlrev_b32 v20, 25, v12
	v_lshlrev_b32_e32 v21, 24, v12
	v_cmp_gt_i32_e64 s2, 0, v13
	v_cmp_gt_i32_e64 s3, 0, v16
	v_not_b32_e32 v13, v16
	v_not_b32_e32 v16, v17
	v_ashrrev_i32_e32 v11, 31, v11
	v_cmp_gt_i32_e64 s4, 0, v17
	v_cmp_gt_i32_e64 s5, 0, v18
	v_not_b32_e32 v17, v18
	v_not_b32_e32 v18, v19
	v_dual_ashrrev_i32 v13, 31, v13 :: v_dual_bitop2_b32 v7, vcc_lo, v7 bitop3:0x14
	v_dual_ashrrev_i32 v16, 31, v16 :: v_dual_bitop2_b32 v11, s2, v11 bitop3:0x14
	v_cmp_gt_i32_e64 s6, 0, v19
	v_not_b32_e32 v19, v20
	v_dual_ashrrev_i32 v17, 31, v17 :: v_dual_ashrrev_i32 v18, 31, v18
	v_xor_b32_e32 v13, s3, v13
	v_bitop3_b32 v7, v7, v11, exec_lo bitop3:0x80
	v_not_b32_e32 v11, v21
	v_xor_b32_e32 v16, s4, v16
	v_cmp_gt_i32_e64 s7, 0, v20
	v_cmp_gt_i32_e64 s8, 0, v21
	v_dual_ashrrev_i32 v19, 31, v19 :: v_dual_bitop2_b32 v17, s5, v17 bitop3:0x14
	v_ashrrev_i32_e32 v11, 31, v11
	v_bitop3_b32 v7, v7, v16, v13 bitop3:0x80
	s_wait_kmcnt 0x0
	v_mad_u32 v20, v8, s28, v1
	v_dual_mov_b32 v16, 0 :: v_dual_bitop2_b32 v18, s6, v18 bitop3:0x14
	v_xor_b32_e32 v8, s8, v11
	v_mul_u32_u24_e32 v12, 0x44, v12
	v_xor_b32_e32 v19, s7, v19
	s_delay_alu instid0(VALU_DEP_4)
	v_bitop3_b32 v7, v7, v18, v17 bitop3:0x80
	v_mul_u32_u24_e32 v13, 36, v1
	ds_store_2addr_b32 v13, v16, v16 offset0:16 offset1:17
	ds_store_2addr_b32 v13, v16, v16 offset0:18 offset1:19
	;; [unrolled: 1-line block ×4, first 2 shown]
	v_bitop3_b32 v8, v7, v8, v19 bitop3:0x80
	v_lshrrev_b32_e32 v7, 3, v20
	ds_store_b32 v13, v16 offset:96
	s_wait_dscnt 0x0
	s_barrier_signal -1
	v_mbcnt_lo_u32_b32 v11, v8, 0
	v_and_b32_e32 v7, 0x1ffffffc, v7
	v_cmp_ne_u32_e64 s2, 0, v8
	s_barrier_wait -1
	s_delay_alu instid0(VALU_DEP_3) | instskip(NEXT) | instid1(VALU_DEP_3)
	v_cmp_eq_u32_e32 vcc_lo, 0, v11
	v_add_nc_u32_e32 v16, v7, v12
	; wave barrier
	s_and_b32 s3, s2, vcc_lo
	s_delay_alu instid0(SALU_CYCLE_1)
	s_and_saveexec_b32 s2, s3
; %bb.26:
	v_bcnt_u32_b32 v8, v8, 0
	ds_store_b32 v16, v8 offset:64
; %bb.27:
	s_or_b32 exec_lo, exec_lo, s2
	v_lshrrev_b32_e32 v6, 16, v6
	; wave barrier
	s_delay_alu instid0(VALU_DEP_1) | instskip(NEXT) | instid1(VALU_DEP_1)
	v_xor_b32_e32 v12, -1, v6
	v_and_b32_e32 v6, 0xffff, v12
	s_delay_alu instid0(VALU_DEP_1) | instskip(NEXT) | instid1(VALU_DEP_1)
	v_lshrrev_b32_e32 v6, s20, v6
	v_bitop3_b32 v8, v6, 1, s25 bitop3:0x80
	v_and_b32_e32 v17, s25, v6
	s_delay_alu instid0(VALU_DEP_2) | instskip(NEXT) | instid1(VALU_DEP_1)
	v_add_co_u32 v6, s2, v8, -1
	v_cndmask_b32_e64 v8, 0, 1, s2
	s_delay_alu instid0(VALU_DEP_3) | instskip(NEXT) | instid1(VALU_DEP_2)
	v_lshlrev_b32_e32 v18, 30, v17
	v_cmp_ne_u32_e32 vcc_lo, 0, v8
	s_delay_alu instid0(VALU_DEP_2) | instskip(SKIP_1) | instid1(VALU_DEP_2)
	v_not_b32_e32 v8, v18
	v_cmp_gt_i32_e64 s2, 0, v18
	v_dual_ashrrev_i32 v8, 31, v8 :: v_dual_lshlrev_b32 v19, 29, v17
	v_dual_lshlrev_b32 v20, 28, v17 :: v_dual_lshlrev_b32 v21, 27, v17
	v_dual_lshlrev_b32 v22, 26, v17 :: v_dual_lshlrev_b32 v23, 25, v17
	v_lshlrev_b32_e32 v24, 24, v17
	s_delay_alu instid0(VALU_DEP_4)
	v_cmp_gt_i32_e64 s3, 0, v19
	v_not_b32_e32 v18, v19
	v_not_b32_e32 v19, v20
	v_cmp_gt_i32_e64 s4, 0, v20
	v_cmp_gt_i32_e64 s5, 0, v21
	v_not_b32_e32 v20, v21
	v_not_b32_e32 v21, v22
	v_dual_ashrrev_i32 v19, 31, v19 :: v_dual_bitop2_b32 v6, vcc_lo, v6 bitop3:0x14
	v_dual_ashrrev_i32 v18, 31, v18 :: v_dual_bitop2_b32 v8, s2, v8 bitop3:0x14
	v_cmp_gt_i32_e64 s6, 0, v22
	v_cmp_gt_i32_e64 s7, 0, v23
	v_not_b32_e32 v22, v23
	v_not_b32_e32 v23, v24
	v_dual_ashrrev_i32 v20, 31, v20 :: v_dual_ashrrev_i32 v21, 31, v21
	v_xor_b32_e32 v18, s3, v18
	v_xor_b32_e32 v19, s4, v19
	v_bitop3_b32 v6, v6, v8, exec_lo bitop3:0x80
	v_cmp_gt_i32_e64 s8, 0, v24
	v_dual_ashrrev_i32 v8, 31, v22 :: v_dual_ashrrev_i32 v22, 31, v23
	v_xor_b32_e32 v20, s5, v20
	v_xor_b32_e32 v21, s6, v21
	v_bitop3_b32 v6, v6, v19, v18 bitop3:0x80
	v_mad_u32_u24 v18, 0x44, v17, v7
	v_xor_b32_e32 v8, s7, v8
	v_xor_b32_e32 v19, s8, v22
	s_delay_alu instid0(VALU_DEP_4) | instskip(SKIP_3) | instid1(VALU_DEP_2)
	v_bitop3_b32 v6, v6, v21, v20 bitop3:0x80
	ds_load_b32 v18, v18 offset:64
	; wave barrier
	v_bitop3_b32 v6, v6, v19, v8 bitop3:0x80
	v_mul_u32_u24_e32 v8, 0x44, v17
	v_mbcnt_lo_u32_b32 v19, v6, 0
	v_cmp_ne_u32_e64 s2, 0, v6
	s_delay_alu instid0(VALU_DEP_3) | instskip(NEXT) | instid1(VALU_DEP_3)
	v_add_nc_u32_e32 v20, v7, v8
	v_cmp_eq_u32_e32 vcc_lo, 0, v19
	s_and_b32 s3, s2, vcc_lo
	s_delay_alu instid0(SALU_CYCLE_1)
	s_and_saveexec_b32 s2, s3
	s_cbranch_execz .LBB2413_29
; %bb.28:
	s_wait_dscnt 0x0
	v_bcnt_u32_b32 v6, v6, v18
	ds_store_b32 v20, v6 offset:64
.LBB2413_29:
	s_or_b32 exec_lo, exec_lo, s2
	v_xor_b32_e32 v17, -1, v9
	; wave barrier
	s_delay_alu instid0(VALU_DEP_1) | instskip(NEXT) | instid1(VALU_DEP_1)
	v_and_b32_e32 v6, 0xffff, v17
	v_lshrrev_b32_e32 v6, s20, v6
	s_delay_alu instid0(VALU_DEP_1) | instskip(SKIP_1) | instid1(VALU_DEP_2)
	v_bitop3_b32 v8, v6, 1, s25 bitop3:0x80
	v_and_b32_e32 v21, s25, v6
	v_add_co_u32 v6, s2, v8, -1
	s_delay_alu instid0(VALU_DEP_1) | instskip(NEXT) | instid1(VALU_DEP_3)
	v_cndmask_b32_e64 v8, 0, 1, s2
	v_lshlrev_b32_e32 v22, 30, v21
	s_delay_alu instid0(VALU_DEP_2) | instskip(NEXT) | instid1(VALU_DEP_2)
	v_cmp_ne_u32_e32 vcc_lo, 0, v8
	v_not_b32_e32 v8, v22
	s_delay_alu instid0(VALU_DEP_1) | instskip(SKIP_4) | instid1(VALU_DEP_4)
	v_dual_ashrrev_i32 v8, 31, v8 :: v_dual_bitop2_b32 v6, vcc_lo, v6 bitop3:0x14
	v_dual_lshlrev_b32 v23, 29, v21 :: v_dual_lshlrev_b32 v24, 28, v21
	v_dual_lshlrev_b32 v25, 27, v21 :: v_dual_lshlrev_b32 v26, 26, v21
	v_lshlrev_b32_e32 v27, 25, v21
	v_cmp_gt_i32_e64 s2, 0, v22
	v_cmp_gt_i32_e64 s3, 0, v23
	v_not_b32_e32 v22, v23
	v_not_b32_e32 v23, v24
	v_lshlrev_b32_e32 v28, 24, v21
	v_cmp_gt_i32_e64 s4, 0, v24
	v_cmp_gt_i32_e64 s5, 0, v25
	v_not_b32_e32 v24, v25
	v_not_b32_e32 v25, v26
	v_dual_ashrrev_i32 v22, 31, v22 :: v_dual_ashrrev_i32 v23, 31, v23
	v_xor_b32_e32 v8, s2, v8
	v_cmp_gt_i32_e64 s6, 0, v26
	v_cmp_gt_i32_e64 s7, 0, v27
	v_not_b32_e32 v26, v27
	v_not_b32_e32 v27, v28
	v_dual_ashrrev_i32 v24, 31, v24 :: v_dual_bitop2_b32 v22, s3, v22 bitop3:0x14
	v_dual_ashrrev_i32 v25, 31, v25 :: v_dual_bitop2_b32 v23, s4, v23 bitop3:0x14
	v_bitop3_b32 v6, v6, v8, exec_lo bitop3:0x80
	v_cmp_gt_i32_e64 s8, 0, v28
	v_dual_ashrrev_i32 v8, 31, v26 :: v_dual_ashrrev_i32 v26, 31, v27
	v_xor_b32_e32 v24, s5, v24
	v_xor_b32_e32 v25, s6, v25
	v_bitop3_b32 v6, v6, v23, v22 bitop3:0x80
	v_mad_u32_u24 v22, 0x44, v21, v7
	v_xor_b32_e32 v8, s7, v8
	v_xor_b32_e32 v23, s8, v26
	s_delay_alu instid0(VALU_DEP_4) | instskip(SKIP_3) | instid1(VALU_DEP_2)
	v_bitop3_b32 v6, v6, v25, v24 bitop3:0x80
	ds_load_b32 v22, v22 offset:64
	; wave barrier
	v_bitop3_b32 v6, v6, v23, v8 bitop3:0x80
	v_mul_u32_u24_e32 v8, 0x44, v21
	v_mbcnt_lo_u32_b32 v23, v6, 0
	v_cmp_ne_u32_e64 s2, 0, v6
	s_delay_alu instid0(VALU_DEP_3) | instskip(NEXT) | instid1(VALU_DEP_3)
	v_add_nc_u32_e32 v24, v7, v8
	v_cmp_eq_u32_e32 vcc_lo, 0, v23
	s_and_b32 s3, s2, vcc_lo
	s_delay_alu instid0(SALU_CYCLE_1)
	s_and_saveexec_b32 s2, s3
	s_cbranch_execz .LBB2413_31
; %bb.30:
	s_wait_dscnt 0x0
	v_bcnt_u32_b32 v6, v6, v22
	ds_store_b32 v24, v6 offset:64
.LBB2413_31:
	s_or_b32 exec_lo, exec_lo, s2
	v_lshrrev_b32_e32 v6, 16, v9
	; wave barrier
	s_delay_alu instid0(VALU_DEP_1) | instskip(NEXT) | instid1(VALU_DEP_1)
	v_xor_b32_e32 v21, -1, v6
	v_and_b32_e32 v6, 0xffff, v21
	s_delay_alu instid0(VALU_DEP_1) | instskip(NEXT) | instid1(VALU_DEP_1)
	v_lshrrev_b32_e32 v6, s20, v6
	v_bitop3_b32 v8, v6, 1, s25 bitop3:0x80
	v_and_b32_e32 v9, s25, v6
	s_delay_alu instid0(VALU_DEP_2) | instskip(NEXT) | instid1(VALU_DEP_1)
	v_add_co_u32 v6, s2, v8, -1
	v_cndmask_b32_e64 v8, 0, 1, s2
	s_delay_alu instid0(VALU_DEP_3) | instskip(NEXT) | instid1(VALU_DEP_2)
	v_lshlrev_b32_e32 v25, 30, v9
	v_cmp_ne_u32_e32 vcc_lo, 0, v8
	s_delay_alu instid0(VALU_DEP_2) | instskip(SKIP_1) | instid1(VALU_DEP_2)
	v_not_b32_e32 v8, v25
	v_cmp_gt_i32_e64 s2, 0, v25
	v_dual_ashrrev_i32 v8, 31, v8 :: v_dual_lshlrev_b32 v26, 29, v9
	v_dual_lshlrev_b32 v27, 28, v9 :: v_dual_lshlrev_b32 v28, 27, v9
	v_dual_lshlrev_b32 v29, 26, v9 :: v_dual_lshlrev_b32 v30, 25, v9
	v_lshlrev_b32_e32 v31, 24, v9
	s_delay_alu instid0(VALU_DEP_4)
	v_cmp_gt_i32_e64 s3, 0, v26
	v_not_b32_e32 v25, v26
	v_not_b32_e32 v26, v27
	v_cmp_gt_i32_e64 s4, 0, v27
	v_cmp_gt_i32_e64 s5, 0, v28
	v_not_b32_e32 v27, v28
	v_not_b32_e32 v28, v29
	v_dual_ashrrev_i32 v25, 31, v25 :: v_dual_bitop2_b32 v6, vcc_lo, v6 bitop3:0x14
	v_dual_ashrrev_i32 v26, 31, v26 :: v_dual_bitop2_b32 v8, s2, v8 bitop3:0x14
	v_cmp_gt_i32_e64 s6, 0, v29
	v_cmp_gt_i32_e64 s7, 0, v30
	v_not_b32_e32 v29, v30
	v_not_b32_e32 v30, v31
	v_dual_ashrrev_i32 v27, 31, v27 :: v_dual_ashrrev_i32 v28, 31, v28
	v_xor_b32_e32 v25, s3, v25
	v_xor_b32_e32 v26, s4, v26
	v_bitop3_b32 v6, v6, v8, exec_lo bitop3:0x80
	v_cmp_gt_i32_e64 s8, 0, v31
	v_dual_ashrrev_i32 v8, 31, v29 :: v_dual_ashrrev_i32 v29, 31, v30
	v_xor_b32_e32 v27, s5, v27
	v_xor_b32_e32 v28, s6, v28
	v_bitop3_b32 v6, v6, v26, v25 bitop3:0x80
	v_mad_u32_u24 v25, 0x44, v9, v7
	v_xor_b32_e32 v8, s7, v8
	v_xor_b32_e32 v29, s8, v29
	s_delay_alu instid0(VALU_DEP_4) | instskip(SKIP_3) | instid1(VALU_DEP_2)
	v_bitop3_b32 v6, v6, v28, v27 bitop3:0x80
	ds_load_b32 v26, v25 offset:64
	; wave barrier
	v_bitop3_b32 v6, v6, v29, v8 bitop3:0x80
	v_mul_u32_u24_e32 v8, 0x44, v9
	v_mbcnt_lo_u32_b32 v27, v6, 0
	v_cmp_ne_u32_e64 s2, 0, v6
	s_delay_alu instid0(VALU_DEP_3) | instskip(NEXT) | instid1(VALU_DEP_3)
	v_add_nc_u32_e32 v28, v7, v8
	v_cmp_eq_u32_e32 vcc_lo, 0, v27
	s_and_b32 s3, s2, vcc_lo
	s_delay_alu instid0(SALU_CYCLE_1)
	s_and_saveexec_b32 s2, s3
	s_cbranch_execz .LBB2413_33
; %bb.32:
	s_wait_dscnt 0x0
	v_bcnt_u32_b32 v6, v6, v26
	ds_store_b32 v28, v6 offset:64
.LBB2413_33:
	s_or_b32 exec_lo, exec_lo, s2
	v_xor_b32_e32 v25, -1, v2
	; wave barrier
	s_delay_alu instid0(VALU_DEP_1) | instskip(NEXT) | instid1(VALU_DEP_1)
	v_and_b32_e32 v6, 0xffff, v25
	v_lshrrev_b32_e32 v6, s20, v6
	s_delay_alu instid0(VALU_DEP_1) | instskip(NEXT) | instid1(VALU_DEP_1)
	v_and_b32_e32 v9, s25, v6
	v_lshlrev_b32_e32 v30, 29, v9
	v_bitop3_b32 v8, v6, 1, s25 bitop3:0x80
	v_lshlrev_b32_e32 v29, 30, v9
	s_delay_alu instid0(VALU_DEP_3) | instskip(NEXT) | instid1(VALU_DEP_3)
	v_cmp_gt_i32_e64 s3, 0, v30
	v_add_co_u32 v6, s2, v8, -1
	s_delay_alu instid0(VALU_DEP_1) | instskip(NEXT) | instid1(VALU_DEP_4)
	v_cndmask_b32_e64 v8, 0, 1, s2
	v_cmp_gt_i32_e64 s2, 0, v29
	s_delay_alu instid0(VALU_DEP_2) | instskip(SKIP_2) | instid1(VALU_DEP_2)
	v_cmp_ne_u32_e32 vcc_lo, 0, v8
	v_not_b32_e32 v8, v29
	v_not_b32_e32 v29, v30
	v_dual_ashrrev_i32 v8, 31, v8 :: v_dual_bitop2_b32 v6, vcc_lo, v6 bitop3:0x14
	v_dual_lshlrev_b32 v31, 28, v9 :: v_dual_lshlrev_b32 v32, 27, v9
	v_dual_lshlrev_b32 v33, 26, v9 :: v_dual_lshlrev_b32 v34, 25, v9
	v_lshlrev_b32_e32 v35, 24, v9
	s_delay_alu instid0(VALU_DEP_3)
	v_not_b32_e32 v30, v31
	v_cmp_gt_i32_e64 s4, 0, v31
	v_cmp_gt_i32_e64 s5, 0, v32
	v_not_b32_e32 v31, v32
	v_not_b32_e32 v32, v33
	v_dual_ashrrev_i32 v29, 31, v29 :: v_dual_ashrrev_i32 v30, 31, v30
	s_delay_alu instid0(VALU_DEP_3)
	v_dual_ashrrev_i32 v31, 31, v31 :: v_dual_bitop2_b32 v8, s2, v8 bitop3:0x14
	v_cmp_gt_i32_e64 s6, 0, v33
	v_cmp_gt_i32_e64 s7, 0, v34
	v_not_b32_e32 v33, v34
	v_not_b32_e32 v34, v35
	v_dual_ashrrev_i32 v32, 31, v32 :: v_dual_bitop2_b32 v29, s3, v29 bitop3:0x14
	v_xor_b32_e32 v30, s4, v30
	v_bitop3_b32 v6, v6, v8, exec_lo bitop3:0x80
	v_cmp_gt_i32_e64 s8, 0, v35
	v_dual_ashrrev_i32 v8, 31, v33 :: v_dual_ashrrev_i32 v33, 31, v34
	v_xor_b32_e32 v31, s5, v31
	v_xor_b32_e32 v32, s6, v32
	v_bitop3_b32 v6, v6, v30, v29 bitop3:0x80
	v_mad_u32_u24 v29, 0x44, v9, v7
	v_xor_b32_e32 v8, s7, v8
	v_xor_b32_e32 v30, s8, v33
	s_delay_alu instid0(VALU_DEP_4) | instskip(SKIP_3) | instid1(VALU_DEP_2)
	v_bitop3_b32 v6, v6, v32, v31 bitop3:0x80
	ds_load_b32 v29, v29 offset:64
	; wave barrier
	v_bitop3_b32 v6, v6, v30, v8 bitop3:0x80
	v_mul_u32_u24_e32 v8, 0x44, v9
	v_mbcnt_lo_u32_b32 v31, v6, 0
	v_cmp_ne_u32_e64 s2, 0, v6
	s_delay_alu instid0(VALU_DEP_3) | instskip(NEXT) | instid1(VALU_DEP_3)
	v_add_nc_u32_e32 v32, v7, v8
	v_cmp_eq_u32_e32 vcc_lo, 0, v31
	s_and_b32 s3, s2, vcc_lo
	s_delay_alu instid0(SALU_CYCLE_1)
	s_and_saveexec_b32 s2, s3
	s_cbranch_execz .LBB2413_35
; %bb.34:
	s_wait_dscnt 0x0
	v_bcnt_u32_b32 v6, v6, v29
	ds_store_b32 v32, v6 offset:64
.LBB2413_35:
	s_or_b32 exec_lo, exec_lo, s2
	v_lshrrev_b32_e32 v2, 16, v2
	; wave barrier
	s_delay_alu instid0(VALU_DEP_1) | instskip(NEXT) | instid1(VALU_DEP_1)
	v_xor_b32_e32 v30, -1, v2
	v_and_b32_e32 v2, 0xffff, v30
	s_delay_alu instid0(VALU_DEP_1) | instskip(NEXT) | instid1(VALU_DEP_1)
	v_lshrrev_b32_e32 v2, s20, v2
	v_bitop3_b32 v6, v2, 1, s25 bitop3:0x80
	v_and_b32_e32 v8, s25, v2
	s_delay_alu instid0(VALU_DEP_2) | instskip(NEXT) | instid1(VALU_DEP_1)
	v_add_co_u32 v2, s2, v6, -1
	v_cndmask_b32_e64 v6, 0, 1, s2
	s_delay_alu instid0(VALU_DEP_3) | instskip(NEXT) | instid1(VALU_DEP_2)
	v_dual_lshlrev_b32 v9, 30, v8 :: v_dual_lshlrev_b32 v33, 29, v8
	v_cmp_ne_u32_e32 vcc_lo, 0, v6
	s_delay_alu instid0(VALU_DEP_2) | instskip(SKIP_1) | instid1(VALU_DEP_4)
	v_cmp_gt_i32_e64 s2, 0, v9
	v_not_b32_e32 v6, v9
	v_not_b32_e32 v9, v33
	s_delay_alu instid0(VALU_DEP_1) | instskip(SKIP_3) | instid1(VALU_DEP_4)
	v_dual_ashrrev_i32 v9, 31, v9 :: v_dual_lshlrev_b32 v34, 28, v8
	v_dual_lshlrev_b32 v35, 27, v8 :: v_dual_lshlrev_b32 v36, 26, v8
	v_dual_lshlrev_b32 v37, 25, v8 :: v_dual_lshlrev_b32 v38, 24, v8
	v_cmp_gt_i32_e64 s3, 0, v33
	v_not_b32_e32 v33, v34
	v_ashrrev_i32_e32 v6, 31, v6
	v_cmp_gt_i32_e64 s4, 0, v34
	v_cmp_gt_i32_e64 s5, 0, v35
	v_not_b32_e32 v34, v35
	v_cmp_gt_i32_e64 s6, 0, v36
	v_not_b32_e32 v35, v36
	;; [unrolled: 2-line block ×3, first 2 shown]
	v_not_b32_e32 v37, v38
	s_delay_alu instid0(VALU_DEP_4) | instskip(SKIP_3) | instid1(VALU_DEP_3)
	v_dual_ashrrev_i32 v35, 31, v35 :: v_dual_bitop2_b32 v2, vcc_lo, v2 bitop3:0x14
	v_dual_ashrrev_i32 v33, 31, v33 :: v_dual_bitop2_b32 v6, s2, v6 bitop3:0x14
	v_dual_ashrrev_i32 v34, 31, v34 :: v_dual_bitop2_b32 v9, s3, v9 bitop3:0x14
	v_cmp_gt_i32_e64 s8, 0, v38
	v_xor_b32_e32 v33, s4, v33
	s_delay_alu instid0(VALU_DEP_4) | instskip(SKIP_3) | instid1(VALU_DEP_4)
	v_bitop3_b32 v2, v2, v6, exec_lo bitop3:0x80
	v_dual_ashrrev_i32 v6, 31, v36 :: v_dual_ashrrev_i32 v36, 31, v37
	v_xor_b32_e32 v34, s5, v34
	v_xor_b32_e32 v35, s6, v35
	v_bitop3_b32 v2, v2, v33, v9 bitop3:0x80
	v_mad_u32_u24 v9, 0x44, v8, v7
	v_xor_b32_e32 v6, s7, v6
	v_xor_b32_e32 v36, s8, v36
	s_delay_alu instid0(VALU_DEP_4) | instskip(SKIP_3) | instid1(VALU_DEP_2)
	v_bitop3_b32 v2, v2, v35, v34 bitop3:0x80
	ds_load_b32 v33, v9 offset:64
	; wave barrier
	v_bitop3_b32 v2, v2, v36, v6 bitop3:0x80
	v_mul_u32_u24_e32 v6, 0x44, v8
	v_mbcnt_lo_u32_b32 v34, v2, 0
	v_cmp_ne_u32_e64 s2, 0, v2
	s_delay_alu instid0(VALU_DEP_3) | instskip(NEXT) | instid1(VALU_DEP_3)
	v_add_nc_u32_e32 v37, v7, v6
	v_cmp_eq_u32_e32 vcc_lo, 0, v34
	s_and_b32 s3, s2, vcc_lo
	s_delay_alu instid0(SALU_CYCLE_1)
	s_and_saveexec_b32 s2, s3
	s_cbranch_execz .LBB2413_37
; %bb.36:
	s_wait_dscnt 0x0
	v_bcnt_u32_b32 v2, v2, v33
	ds_store_b32 v37, v2 offset:64
.LBB2413_37:
	s_or_b32 exec_lo, exec_lo, s2
	v_xor_b32_e32 v35, -1, v3
	; wave barrier
	s_delay_alu instid0(VALU_DEP_1) | instskip(NEXT) | instid1(VALU_DEP_1)
	v_and_b32_e32 v2, 0xffff, v35
	v_lshrrev_b32_e32 v2, s20, v2
	s_delay_alu instid0(VALU_DEP_1) | instskip(SKIP_1) | instid1(VALU_DEP_2)
	v_bitop3_b32 v6, v2, 1, s25 bitop3:0x80
	v_and_b32_e32 v8, s25, v2
	v_add_co_u32 v2, s2, v6, -1
	s_delay_alu instid0(VALU_DEP_1) | instskip(NEXT) | instid1(VALU_DEP_3)
	v_cndmask_b32_e64 v6, 0, 1, s2
	v_dual_lshlrev_b32 v9, 30, v8 :: v_dual_lshlrev_b32 v36, 29, v8
	s_delay_alu instid0(VALU_DEP_2) | instskip(NEXT) | instid1(VALU_DEP_2)
	v_cmp_ne_u32_e32 vcc_lo, 0, v6
	v_cmp_gt_i32_e64 s2, 0, v9
	v_not_b32_e32 v6, v9
	s_delay_alu instid0(VALU_DEP_4) | instskip(SKIP_1) | instid1(VALU_DEP_2)
	v_not_b32_e32 v9, v36
	v_cmp_gt_i32_e64 s3, 0, v36
	v_dual_ashrrev_i32 v6, 31, v6 :: v_dual_ashrrev_i32 v9, 31, v9
	v_dual_lshlrev_b32 v38, 28, v8 :: v_dual_lshlrev_b32 v39, 27, v8
	v_dual_lshlrev_b32 v40, 26, v8 :: v_dual_lshlrev_b32 v41, 25, v8
	v_lshlrev_b32_e32 v42, 24, v8
	s_delay_alu instid0(VALU_DEP_3)
	v_not_b32_e32 v36, v38
	v_cmp_gt_i32_e64 s4, 0, v38
	v_cmp_gt_i32_e64 s5, 0, v39
	v_not_b32_e32 v38, v39
	v_not_b32_e32 v39, v40
	v_dual_ashrrev_i32 v36, 31, v36 :: v_dual_bitop2_b32 v2, vcc_lo, v2 bitop3:0x14
	v_xor_b32_e32 v6, s2, v6
	v_cmp_gt_i32_e64 s6, 0, v40
	v_cmp_gt_i32_e64 s7, 0, v41
	v_not_b32_e32 v40, v41
	v_not_b32_e32 v41, v42
	v_dual_ashrrev_i32 v38, 31, v38 :: v_dual_bitop2_b32 v9, s3, v9 bitop3:0x14
	v_dual_ashrrev_i32 v39, 31, v39 :: v_dual_bitop2_b32 v36, s4, v36 bitop3:0x14
	v_bitop3_b32 v2, v2, v6, exec_lo bitop3:0x80
	v_cmp_gt_i32_e64 s8, 0, v42
	s_delay_alu instid0(VALU_DEP_4) | instskip(NEXT) | instid1(VALU_DEP_4)
	v_dual_ashrrev_i32 v6, 31, v40 :: v_dual_bitop2_b32 v38, s5, v38 bitop3:0x14
	v_dual_ashrrev_i32 v40, 31, v41 :: v_dual_bitop2_b32 v39, s6, v39 bitop3:0x14
	s_delay_alu instid0(VALU_DEP_4) | instskip(SKIP_1) | instid1(VALU_DEP_4)
	v_bitop3_b32 v2, v2, v36, v9 bitop3:0x80
	v_mad_u32_u24 v9, 0x44, v8, v7
	v_xor_b32_e32 v6, s7, v6
	s_delay_alu instid0(VALU_DEP_4) | instskip(NEXT) | instid1(VALU_DEP_4)
	v_xor_b32_e32 v36, s8, v40
	v_bitop3_b32 v2, v2, v39, v38 bitop3:0x80
	ds_load_b32 v38, v9 offset:64
	; wave barrier
	v_bitop3_b32 v2, v2, v36, v6 bitop3:0x80
	v_mul_u32_u24_e32 v6, 0x44, v8
	s_delay_alu instid0(VALU_DEP_2) | instskip(SKIP_1) | instid1(VALU_DEP_3)
	v_mbcnt_lo_u32_b32 v39, v2, 0
	v_cmp_ne_u32_e64 s2, 0, v2
	v_add_nc_u32_e32 v42, v7, v6
	s_delay_alu instid0(VALU_DEP_3) | instskip(SKIP_1) | instid1(SALU_CYCLE_1)
	v_cmp_eq_u32_e32 vcc_lo, 0, v39
	s_and_b32 s3, s2, vcc_lo
	s_and_saveexec_b32 s2, s3
	s_cbranch_execz .LBB2413_39
; %bb.38:
	s_wait_dscnt 0x0
	v_bcnt_u32_b32 v2, v2, v38
	ds_store_b32 v42, v2 offset:64
.LBB2413_39:
	s_or_b32 exec_lo, exec_lo, s2
	v_lshrrev_b32_e32 v2, 16, v3
	; wave barrier
	s_delay_alu instid0(VALU_DEP_1) | instskip(NEXT) | instid1(VALU_DEP_1)
	v_xor_b32_e32 v36, -1, v2
	v_and_b32_e32 v2, 0xffff, v36
	s_delay_alu instid0(VALU_DEP_1) | instskip(NEXT) | instid1(VALU_DEP_1)
	v_lshrrev_b32_e32 v2, s20, v2
	v_bitop3_b32 v3, v2, 1, s25 bitop3:0x80
	v_and_b32_e32 v6, s25, v2
	s_delay_alu instid0(VALU_DEP_2) | instskip(NEXT) | instid1(VALU_DEP_1)
	v_add_co_u32 v2, s2, v3, -1
	v_cndmask_b32_e64 v3, 0, 1, s2
	s_delay_alu instid0(VALU_DEP_3) | instskip(NEXT) | instid1(VALU_DEP_2)
	v_lshlrev_b32_e32 v8, 30, v6
	v_cmp_ne_u32_e32 vcc_lo, 0, v3
	s_delay_alu instid0(VALU_DEP_2) | instskip(SKIP_1) | instid1(VALU_DEP_2)
	v_not_b32_e32 v3, v8
	v_cmp_gt_i32_e64 s2, 0, v8
	v_dual_ashrrev_i32 v3, 31, v3 :: v_dual_lshlrev_b32 v9, 29, v6
	v_dual_lshlrev_b32 v40, 28, v6 :: v_dual_lshlrev_b32 v41, 27, v6
	v_dual_lshlrev_b32 v43, 26, v6 :: v_dual_lshlrev_b32 v44, 25, v6
	v_lshlrev_b32_e32 v45, 24, v6
	s_delay_alu instid0(VALU_DEP_4)
	v_cmp_gt_i32_e64 s3, 0, v9
	v_not_b32_e32 v8, v9
	v_not_b32_e32 v9, v40
	v_cmp_gt_i32_e64 s4, 0, v40
	v_cmp_gt_i32_e64 s5, 0, v41
	v_not_b32_e32 v40, v41
	v_not_b32_e32 v41, v43
	v_dual_ashrrev_i32 v8, 31, v8 :: v_dual_bitop2_b32 v2, vcc_lo, v2 bitop3:0x14
	v_dual_ashrrev_i32 v9, 31, v9 :: v_dual_bitop2_b32 v3, s2, v3 bitop3:0x14
	v_cmp_gt_i32_e64 s6, 0, v43
	v_cmp_gt_i32_e64 s7, 0, v44
	v_not_b32_e32 v43, v44
	v_not_b32_e32 v44, v45
	v_dual_ashrrev_i32 v40, 31, v40 :: v_dual_ashrrev_i32 v41, 31, v41
	v_xor_b32_e32 v8, s3, v8
	v_xor_b32_e32 v9, s4, v9
	v_bitop3_b32 v2, v2, v3, exec_lo bitop3:0x80
	v_cmp_gt_i32_e64 s8, 0, v45
	v_dual_ashrrev_i32 v3, 31, v43 :: v_dual_ashrrev_i32 v43, 31, v44
	v_xor_b32_e32 v40, s5, v40
	v_xor_b32_e32 v41, s6, v41
	v_bitop3_b32 v2, v2, v9, v8 bitop3:0x80
	v_mad_u32_u24 v8, 0x44, v6, v7
	v_xor_b32_e32 v3, s7, v3
	v_xor_b32_e32 v9, s8, v43
	s_delay_alu instid0(VALU_DEP_4) | instskip(SKIP_3) | instid1(VALU_DEP_2)
	v_bitop3_b32 v2, v2, v41, v40 bitop3:0x80
	ds_load_b32 v41, v8 offset:64
	; wave barrier
	v_bitop3_b32 v2, v2, v9, v3 bitop3:0x80
	v_mul_u32_u24_e32 v3, 0x44, v6
	v_mbcnt_lo_u32_b32 v43, v2, 0
	v_cmp_ne_u32_e64 s2, 0, v2
	s_delay_alu instid0(VALU_DEP_3) | instskip(NEXT) | instid1(VALU_DEP_3)
	v_add_nc_u32_e32 v47, v7, v3
	v_cmp_eq_u32_e32 vcc_lo, 0, v43
	s_and_b32 s3, s2, vcc_lo
	s_delay_alu instid0(SALU_CYCLE_1)
	s_and_saveexec_b32 s2, s3
	s_cbranch_execz .LBB2413_41
; %bb.40:
	s_wait_dscnt 0x0
	v_bcnt_u32_b32 v2, v2, v41
	ds_store_b32 v47, v2 offset:64
.LBB2413_41:
	s_or_b32 exec_lo, exec_lo, s2
	v_xor_b32_e32 v40, -1, v4
	; wave barrier
	s_delay_alu instid0(VALU_DEP_1) | instskip(NEXT) | instid1(VALU_DEP_1)
	v_and_b32_e32 v2, 0xffff, v40
	v_lshrrev_b32_e32 v2, s20, v2
	s_delay_alu instid0(VALU_DEP_1) | instskip(SKIP_1) | instid1(VALU_DEP_2)
	v_bitop3_b32 v3, v2, 1, s25 bitop3:0x80
	v_and_b32_e32 v6, s25, v2
	v_add_co_u32 v2, s2, v3, -1
	s_delay_alu instid0(VALU_DEP_1) | instskip(NEXT) | instid1(VALU_DEP_3)
	v_cndmask_b32_e64 v3, 0, 1, s2
	v_lshlrev_b32_e32 v8, 30, v6
	s_delay_alu instid0(VALU_DEP_2) | instskip(NEXT) | instid1(VALU_DEP_2)
	v_cmp_ne_u32_e32 vcc_lo, 0, v3
	v_not_b32_e32 v3, v8
	s_delay_alu instid0(VALU_DEP_1) | instskip(SKIP_3) | instid1(VALU_DEP_4)
	v_dual_ashrrev_i32 v3, 31, v3 :: v_dual_lshlrev_b32 v9, 29, v6
	v_dual_lshlrev_b32 v44, 28, v6 :: v_dual_lshlrev_b32 v45, 27, v6
	v_dual_lshlrev_b32 v46, 26, v6 :: v_dual_lshlrev_b32 v48, 25, v6
	v_cmp_gt_i32_e64 s2, 0, v8
	v_cmp_gt_i32_e64 s3, 0, v9
	v_not_b32_e32 v8, v9
	v_not_b32_e32 v9, v44
	v_lshlrev_b32_e32 v49, 24, v6
	v_cmp_gt_i32_e64 s4, 0, v44
	v_cmp_gt_i32_e64 s5, 0, v45
	v_not_b32_e32 v44, v45
	v_not_b32_e32 v45, v46
	v_dual_ashrrev_i32 v9, 31, v9 :: v_dual_bitop2_b32 v2, vcc_lo, v2 bitop3:0x14
	v_dual_ashrrev_i32 v8, 31, v8 :: v_dual_bitop2_b32 v3, s2, v3 bitop3:0x14
	s_delay_alu instid0(VALU_DEP_4)
	v_ashrrev_i32_e32 v44, 31, v44
	v_cmp_gt_i32_e64 s6, 0, v46
	v_cmp_gt_i32_e64 s7, 0, v48
	v_not_b32_e32 v46, v48
	v_not_b32_e32 v48, v49
	v_dual_ashrrev_i32 v45, 31, v45 :: v_dual_bitop2_b32 v8, s3, v8 bitop3:0x14
	v_xor_b32_e32 v9, s4, v9
	v_bitop3_b32 v2, v2, v3, exec_lo bitop3:0x80
	v_cmp_gt_i32_e64 s8, 0, v49
	v_dual_ashrrev_i32 v3, 31, v46 :: v_dual_ashrrev_i32 v46, 31, v48
	v_xor_b32_e32 v45, s6, v45
	v_xor_b32_e32 v44, s5, v44
	v_bitop3_b32 v2, v2, v9, v8 bitop3:0x80
	v_mad_u32_u24 v8, 0x44, v6, v7
	v_xor_b32_e32 v3, s7, v3
	v_xor_b32_e32 v9, s8, v46
	s_delay_alu instid0(VALU_DEP_4) | instskip(SKIP_3) | instid1(VALU_DEP_2)
	v_bitop3_b32 v2, v2, v45, v44 bitop3:0x80
	ds_load_b32 v44, v8 offset:64
	; wave barrier
	v_bitop3_b32 v2, v2, v9, v3 bitop3:0x80
	v_mul_u32_u24_e32 v3, 0x44, v6
	v_mbcnt_lo_u32_b32 v46, v2, 0
	v_cmp_ne_u32_e64 s2, 0, v2
	s_delay_alu instid0(VALU_DEP_3) | instskip(NEXT) | instid1(VALU_DEP_3)
	v_add_nc_u32_e32 v51, v7, v3
	v_cmp_eq_u32_e32 vcc_lo, 0, v46
	s_and_b32 s3, s2, vcc_lo
	s_delay_alu instid0(SALU_CYCLE_1)
	s_and_saveexec_b32 s2, s3
	s_cbranch_execz .LBB2413_43
; %bb.42:
	s_wait_dscnt 0x0
	v_bcnt_u32_b32 v2, v2, v44
	ds_store_b32 v51, v2 offset:64
.LBB2413_43:
	s_or_b32 exec_lo, exec_lo, s2
	v_lshrrev_b32_e32 v2, 16, v4
	; wave barrier
	s_delay_alu instid0(VALU_DEP_1) | instskip(NEXT) | instid1(VALU_DEP_1)
	v_xor_b32_e32 v45, -1, v2
	v_and_b32_e32 v2, 0xffff, v45
	s_delay_alu instid0(VALU_DEP_1) | instskip(NEXT) | instid1(VALU_DEP_1)
	v_lshrrev_b32_e32 v2, s20, v2
	v_bitop3_b32 v3, v2, 1, s25 bitop3:0x80
	v_and_b32_e32 v4, s25, v2
	s_delay_alu instid0(VALU_DEP_2) | instskip(NEXT) | instid1(VALU_DEP_1)
	v_add_co_u32 v2, s2, v3, -1
	v_cndmask_b32_e64 v3, 0, 1, s2
	s_delay_alu instid0(VALU_DEP_3) | instskip(NEXT) | instid1(VALU_DEP_2)
	v_lshlrev_b32_e32 v6, 30, v4
	v_cmp_ne_u32_e32 vcc_lo, 0, v3
	s_delay_alu instid0(VALU_DEP_2) | instskip(SKIP_1) | instid1(VALU_DEP_2)
	v_not_b32_e32 v3, v6
	v_cmp_gt_i32_e64 s2, 0, v6
	v_dual_ashrrev_i32 v3, 31, v3 :: v_dual_lshlrev_b32 v8, 29, v4
	v_dual_lshlrev_b32 v9, 28, v4 :: v_dual_lshlrev_b32 v48, 27, v4
	v_dual_lshlrev_b32 v49, 26, v4 :: v_dual_lshlrev_b32 v50, 25, v4
	v_lshlrev_b32_e32 v52, 24, v4
	s_delay_alu instid0(VALU_DEP_4)
	v_cmp_gt_i32_e64 s3, 0, v8
	v_not_b32_e32 v6, v8
	v_not_b32_e32 v8, v9
	v_cmp_gt_i32_e64 s4, 0, v9
	v_cmp_gt_i32_e64 s5, 0, v48
	v_not_b32_e32 v9, v48
	v_not_b32_e32 v48, v49
	v_dual_ashrrev_i32 v8, 31, v8 :: v_dual_bitop2_b32 v2, vcc_lo, v2 bitop3:0x14
	v_dual_ashrrev_i32 v6, 31, v6 :: v_dual_bitop2_b32 v3, s2, v3 bitop3:0x14
	v_cmp_gt_i32_e64 s6, 0, v49
	v_cmp_gt_i32_e64 s7, 0, v50
	v_not_b32_e32 v49, v50
	v_not_b32_e32 v50, v52
	v_dual_ashrrev_i32 v9, 31, v9 :: v_dual_ashrrev_i32 v48, 31, v48
	v_xor_b32_e32 v6, s3, v6
	v_xor_b32_e32 v8, s4, v8
	v_bitop3_b32 v2, v2, v3, exec_lo bitop3:0x80
	v_cmp_gt_i32_e64 s8, 0, v52
	v_dual_ashrrev_i32 v3, 31, v49 :: v_dual_ashrrev_i32 v49, 31, v50
	v_xor_b32_e32 v9, s5, v9
	v_xor_b32_e32 v48, s6, v48
	v_bitop3_b32 v2, v2, v8, v6 bitop3:0x80
	v_mad_u32_u24 v6, 0x44, v4, v7
	v_xor_b32_e32 v3, s7, v3
	v_xor_b32_e32 v8, s8, v49
	s_delay_alu instid0(VALU_DEP_4) | instskip(SKIP_3) | instid1(VALU_DEP_2)
	v_bitop3_b32 v2, v2, v48, v9 bitop3:0x80
	ds_load_b32 v48, v6 offset:64
	; wave barrier
	v_bitop3_b32 v2, v2, v8, v3 bitop3:0x80
	v_mul_u32_u24_e32 v3, 0x44, v4
	v_mbcnt_lo_u32_b32 v50, v2, 0
	v_cmp_ne_u32_e64 s2, 0, v2
	s_delay_alu instid0(VALU_DEP_3) | instskip(NEXT) | instid1(VALU_DEP_3)
	v_add_nc_u32_e32 v55, v7, v3
	v_cmp_eq_u32_e32 vcc_lo, 0, v50
	s_and_b32 s3, s2, vcc_lo
	s_delay_alu instid0(SALU_CYCLE_1)
	s_and_saveexec_b32 s2, s3
	s_cbranch_execz .LBB2413_45
; %bb.44:
	s_wait_dscnt 0x0
	v_bcnt_u32_b32 v2, v2, v48
	ds_store_b32 v55, v2 offset:64
.LBB2413_45:
	s_or_b32 exec_lo, exec_lo, s2
	v_xor_b32_e32 v49, -1, v5
	; wave barrier
	s_delay_alu instid0(VALU_DEP_1) | instskip(NEXT) | instid1(VALU_DEP_1)
	v_and_b32_e32 v2, 0xffff, v49
	v_lshrrev_b32_e32 v2, s20, v2
	s_delay_alu instid0(VALU_DEP_1) | instskip(SKIP_1) | instid1(VALU_DEP_2)
	v_bitop3_b32 v3, v2, 1, s25 bitop3:0x80
	v_and_b32_e32 v4, s25, v2
	v_add_co_u32 v2, s2, v3, -1
	s_delay_alu instid0(VALU_DEP_1) | instskip(NEXT) | instid1(VALU_DEP_3)
	v_cndmask_b32_e64 v3, 0, 1, s2
	v_lshlrev_b32_e32 v6, 30, v4
	s_delay_alu instid0(VALU_DEP_2) | instskip(NEXT) | instid1(VALU_DEP_2)
	v_cmp_ne_u32_e32 vcc_lo, 0, v3
	v_not_b32_e32 v3, v6
	s_delay_alu instid0(VALU_DEP_1) | instskip(SKIP_4) | instid1(VALU_DEP_4)
	v_dual_ashrrev_i32 v3, 31, v3 :: v_dual_bitop2_b32 v2, vcc_lo, v2 bitop3:0x14
	v_dual_lshlrev_b32 v8, 29, v4 :: v_dual_lshlrev_b32 v9, 28, v4
	v_dual_lshlrev_b32 v52, 27, v4 :: v_dual_lshlrev_b32 v53, 26, v4
	v_lshlrev_b32_e32 v54, 25, v4
	v_cmp_gt_i32_e64 s2, 0, v6
	v_cmp_gt_i32_e64 s3, 0, v8
	v_not_b32_e32 v6, v8
	v_not_b32_e32 v8, v9
	v_lshlrev_b32_e32 v56, 24, v4
	v_cmp_gt_i32_e64 s4, 0, v9
	v_cmp_gt_i32_e64 s5, 0, v52
	v_not_b32_e32 v9, v52
	v_not_b32_e32 v52, v53
	v_dual_ashrrev_i32 v6, 31, v6 :: v_dual_ashrrev_i32 v8, 31, v8
	s_delay_alu instid0(VALU_DEP_3)
	v_dual_ashrrev_i32 v9, 31, v9 :: v_dual_bitop2_b32 v3, s2, v3 bitop3:0x14
	v_cmp_gt_i32_e64 s6, 0, v53
	v_cmp_gt_i32_e64 s7, 0, v54
	v_not_b32_e32 v53, v54
	v_not_b32_e32 v54, v56
	v_dual_ashrrev_i32 v52, 31, v52 :: v_dual_bitop2_b32 v6, s3, v6 bitop3:0x14
	v_xor_b32_e32 v8, s4, v8
	v_bitop3_b32 v2, v2, v3, exec_lo bitop3:0x80
	v_cmp_gt_i32_e64 s8, 0, v56
	v_dual_ashrrev_i32 v3, 31, v53 :: v_dual_ashrrev_i32 v53, 31, v54
	v_xor_b32_e32 v9, s5, v9
	v_xor_b32_e32 v52, s6, v52
	v_bitop3_b32 v2, v2, v8, v6 bitop3:0x80
	v_mad_u32_u24 v6, 0x44, v4, v7
	v_xor_b32_e32 v3, s7, v3
	v_xor_b32_e32 v8, s8, v53
	s_delay_alu instid0(VALU_DEP_4) | instskip(SKIP_3) | instid1(VALU_DEP_2)
	v_bitop3_b32 v2, v2, v52, v9 bitop3:0x80
	ds_load_b32 v52, v6 offset:64
	; wave barrier
	v_bitop3_b32 v2, v2, v8, v3 bitop3:0x80
	v_mul_u32_u24_e32 v3, 0x44, v4
	v_mbcnt_lo_u32_b32 v53, v2, 0
	v_cmp_ne_u32_e64 s2, 0, v2
	s_delay_alu instid0(VALU_DEP_3) | instskip(NEXT) | instid1(VALU_DEP_3)
	v_add_nc_u32_e32 v58, v7, v3
	v_cmp_eq_u32_e32 vcc_lo, 0, v53
	s_and_b32 s3, s2, vcc_lo
	s_delay_alu instid0(SALU_CYCLE_1)
	s_and_saveexec_b32 s2, s3
	s_cbranch_execz .LBB2413_47
; %bb.46:
	s_wait_dscnt 0x0
	v_bcnt_u32_b32 v2, v2, v52
	ds_store_b32 v58, v2 offset:64
.LBB2413_47:
	s_or_b32 exec_lo, exec_lo, s2
	v_lshrrev_b32_e32 v2, 16, v5
	; wave barrier
	s_delay_alu instid0(VALU_DEP_1) | instskip(NEXT) | instid1(VALU_DEP_1)
	v_xor_b32_e32 v54, -1, v2
	v_and_b32_e32 v2, 0xffff, v54
	s_delay_alu instid0(VALU_DEP_1) | instskip(NEXT) | instid1(VALU_DEP_1)
	v_lshrrev_b32_e32 v2, s20, v2
	v_bitop3_b32 v3, v2, 1, s25 bitop3:0x80
	v_and_b32_e32 v4, s25, v2
	s_delay_alu instid0(VALU_DEP_2) | instskip(NEXT) | instid1(VALU_DEP_1)
	v_add_co_u32 v2, s2, v3, -1
	v_cndmask_b32_e64 v3, 0, 1, s2
	s_delay_alu instid0(VALU_DEP_3) | instskip(NEXT) | instid1(VALU_DEP_2)
	v_lshlrev_b32_e32 v5, 30, v4
	v_cmp_ne_u32_e32 vcc_lo, 0, v3
	s_delay_alu instid0(VALU_DEP_2) | instskip(SKIP_1) | instid1(VALU_DEP_2)
	v_not_b32_e32 v3, v5
	v_cmp_gt_i32_e64 s2, 0, v5
	v_dual_ashrrev_i32 v3, 31, v3 :: v_dual_lshlrev_b32 v6, 29, v4
	v_dual_lshlrev_b32 v8, 28, v4 :: v_dual_lshlrev_b32 v9, 27, v4
	v_dual_lshlrev_b32 v56, 26, v4 :: v_dual_lshlrev_b32 v57, 25, v4
	v_lshlrev_b32_e32 v59, 24, v4
	s_delay_alu instid0(VALU_DEP_4)
	v_cmp_gt_i32_e64 s3, 0, v6
	v_not_b32_e32 v5, v6
	v_not_b32_e32 v6, v8
	v_cmp_gt_i32_e64 s4, 0, v8
	v_cmp_gt_i32_e64 s5, 0, v9
	v_not_b32_e32 v8, v9
	v_not_b32_e32 v9, v56
	v_dual_ashrrev_i32 v5, 31, v5 :: v_dual_bitop2_b32 v2, vcc_lo, v2 bitop3:0x14
	v_dual_ashrrev_i32 v6, 31, v6 :: v_dual_bitop2_b32 v3, s2, v3 bitop3:0x14
	v_cmp_gt_i32_e64 s6, 0, v56
	v_cmp_gt_i32_e64 s7, 0, v57
	v_not_b32_e32 v56, v57
	v_not_b32_e32 v57, v59
	v_dual_ashrrev_i32 v8, 31, v8 :: v_dual_ashrrev_i32 v9, 31, v9
	v_xor_b32_e32 v5, s3, v5
	v_xor_b32_e32 v6, s4, v6
	v_bitop3_b32 v2, v2, v3, exec_lo bitop3:0x80
	v_cmp_gt_i32_e64 s8, 0, v59
	v_dual_ashrrev_i32 v3, 31, v56 :: v_dual_ashrrev_i32 v56, 31, v57
	v_xor_b32_e32 v8, s5, v8
	v_xor_b32_e32 v9, s6, v9
	v_bitop3_b32 v2, v2, v6, v5 bitop3:0x80
	v_mad_u32_u24 v5, 0x44, v4, v7
	v_xor_b32_e32 v3, s7, v3
	v_xor_b32_e32 v6, s8, v56
	s_delay_alu instid0(VALU_DEP_4) | instskip(SKIP_3) | instid1(VALU_DEP_2)
	v_bitop3_b32 v2, v2, v9, v8 bitop3:0x80
	ds_load_b32 v56, v5 offset:64
	; wave barrier
	v_bitop3_b32 v2, v2, v6, v3 bitop3:0x80
	v_mul_u32_u24_e32 v3, 0x44, v4
	v_mbcnt_lo_u32_b32 v57, v2, 0
	v_cmp_ne_u32_e64 s2, 0, v2
	s_delay_alu instid0(VALU_DEP_3) | instskip(NEXT) | instid1(VALU_DEP_3)
	v_add_nc_u32_e32 v59, v7, v3
	v_cmp_eq_u32_e32 vcc_lo, 0, v57
	s_and_b32 s3, s2, vcc_lo
	s_delay_alu instid0(SALU_CYCLE_1)
	s_and_saveexec_b32 s2, s3
	s_cbranch_execz .LBB2413_49
; %bb.48:
	s_wait_dscnt 0x0
	v_bcnt_u32_b32 v2, v2, v56
	ds_store_b32 v59, v2 offset:64
.LBB2413_49:
	s_or_b32 exec_lo, exec_lo, s2
	; wave barrier
	s_wait_dscnt 0x0
	s_barrier_signal -1
	s_barrier_wait -1
	ds_load_2addr_b32 v[8:9], v13 offset0:16 offset1:17
	ds_load_2addr_b32 v[6:7], v13 offset0:18 offset1:19
	;; [unrolled: 1-line block ×4, first 2 shown]
	ds_load_b32 v60, v13 offset:96
	s_mov_b32 s6, exec_lo
	s_wait_dscnt 0x3
	v_add3_u32 v61, v9, v8, v6
	s_wait_dscnt 0x2
	s_delay_alu instid0(VALU_DEP_1) | instskip(SKIP_1) | instid1(VALU_DEP_1)
	v_add3_u32 v61, v61, v7, v4
	s_wait_dscnt 0x1
	v_add3_u32 v61, v61, v5, v2
	s_wait_dscnt 0x0
	s_delay_alu instid0(VALU_DEP_1) | instskip(SKIP_1) | instid1(VALU_DEP_2)
	v_add3_u32 v60, v61, v3, v60
	v_and_b32_e32 v61, 15, v14
	v_mov_b32_dpp v62, v60 row_shr:1 row_mask:0xf bank_mask:0xf
	s_delay_alu instid0(VALU_DEP_2) | instskip(NEXT) | instid1(VALU_DEP_2)
	v_cmp_eq_u32_e32 vcc_lo, 0, v61
	v_cndmask_b32_e64 v62, v62, 0, vcc_lo
	s_delay_alu instid0(VALU_DEP_1) | instskip(SKIP_3) | instid1(VALU_DEP_4)
	v_add_nc_u32_e32 v60, v62, v60
	v_cmp_lt_u32_e64 s2, 1, v61
	v_cmp_lt_u32_e64 s3, 3, v61
	;; [unrolled: 1-line block ×3, first 2 shown]
	v_mov_b32_dpp v62, v60 row_shr:2 row_mask:0xf bank_mask:0xf
	s_delay_alu instid0(VALU_DEP_1) | instskip(NEXT) | instid1(VALU_DEP_1)
	v_cndmask_b32_e64 v62, 0, v62, s2
	v_add_nc_u32_e32 v60, v60, v62
	s_delay_alu instid0(VALU_DEP_1) | instskip(NEXT) | instid1(VALU_DEP_1)
	v_mov_b32_dpp v62, v60 row_shr:4 row_mask:0xf bank_mask:0xf
	v_cndmask_b32_e64 v62, 0, v62, s3
	s_delay_alu instid0(VALU_DEP_1) | instskip(NEXT) | instid1(VALU_DEP_1)
	v_add_nc_u32_e32 v60, v60, v62
	v_mov_b32_dpp v62, v60 row_shr:8 row_mask:0xf bank_mask:0xf
	s_delay_alu instid0(VALU_DEP_1) | instskip(SKIP_1) | instid1(VALU_DEP_2)
	v_cndmask_b32_e64 v61, 0, v62, s4
	v_bfe_i32 v62, v14, 4, 1
	v_add_nc_u32_e32 v60, v60, v61
	ds_swizzle_b32 v61, v60 offset:swizzle(BROADCAST,32,15)
	s_wait_dscnt 0x0
	v_and_b32_e32 v61, v62, v61
	v_min_u32_e32 v62, 0x1e0, v15
	s_delay_alu instid0(VALU_DEP_1) | instskip(SKIP_1) | instid1(VALU_DEP_2)
	v_dual_add_nc_u32 v60, v60, v61 :: v_dual_bitop2_b32 v62, 31, v62 bitop3:0x54
	v_lshrrev_b32_e32 v61, 5, v1
	v_cmpx_eq_u32_e64 v1, v62
; %bb.50:
	s_delay_alu instid0(VALU_DEP_2)
	v_lshlrev_b32_e32 v62, 2, v61
	ds_store_b32 v62, v60
; %bb.51:
	s_or_b32 exec_lo, exec_lo, s6
	s_delay_alu instid0(SALU_CYCLE_1)
	s_mov_b32 s6, exec_lo
	s_wait_dscnt 0x0
	s_barrier_signal -1
	s_barrier_wait -1
	v_cmpx_gt_u32_e32 16, v1
	s_cbranch_execz .LBB2413_53
; %bb.52:
	v_lshlrev_b32_e32 v62, 2, v1
	ds_load_b32 v63, v62
	s_wait_dscnt 0x0
	v_mov_b32_dpp v64, v63 row_shr:1 row_mask:0xf bank_mask:0xf
	s_delay_alu instid0(VALU_DEP_1) | instskip(NEXT) | instid1(VALU_DEP_1)
	v_cndmask_b32_e64 v64, v64, 0, vcc_lo
	v_add_nc_u32_e32 v63, v64, v63
	s_delay_alu instid0(VALU_DEP_1) | instskip(NEXT) | instid1(VALU_DEP_1)
	v_mov_b32_dpp v64, v63 row_shr:2 row_mask:0xf bank_mask:0xf
	v_cndmask_b32_e64 v64, 0, v64, s2
	s_delay_alu instid0(VALU_DEP_1) | instskip(NEXT) | instid1(VALU_DEP_1)
	v_add_nc_u32_e32 v63, v63, v64
	v_mov_b32_dpp v64, v63 row_shr:4 row_mask:0xf bank_mask:0xf
	s_delay_alu instid0(VALU_DEP_1) | instskip(NEXT) | instid1(VALU_DEP_1)
	v_cndmask_b32_e64 v64, 0, v64, s3
	v_add_nc_u32_e32 v63, v63, v64
	s_delay_alu instid0(VALU_DEP_1) | instskip(NEXT) | instid1(VALU_DEP_1)
	v_mov_b32_dpp v64, v63 row_shr:8 row_mask:0xf bank_mask:0xf
	v_cndmask_b32_e64 v64, 0, v64, s4
	s_delay_alu instid0(VALU_DEP_1)
	v_add_nc_u32_e32 v63, v63, v64
	ds_store_b32 v62, v63
.LBB2413_53:
	s_or_b32 exec_lo, exec_lo, s6
	v_mov_b32_e32 v62, 0
	s_mov_b32 s2, exec_lo
	s_wait_dscnt 0x0
	s_barrier_signal -1
	s_barrier_wait -1
	v_cmpx_lt_u32_e32 31, v1
; %bb.54:
	v_lshl_add_u32 v61, v61, 2, -4
	ds_load_b32 v62, v61
; %bb.55:
	s_or_b32 exec_lo, exec_lo, s2
	v_sub_co_u32 v61, vcc_lo, v14, 1
	s_wait_dscnt 0x0
	v_add_nc_u32_e32 v60, v62, v60
	s_delay_alu instid0(VALU_DEP_2) | instskip(NEXT) | instid1(VALU_DEP_1)
	v_cmp_gt_i32_e64 s2, 0, v61
	v_cndmask_b32_e64 v61, v61, v14, s2
	v_cmp_gt_u32_e64 s2, 0x100, v1
	s_delay_alu instid0(VALU_DEP_2) | instskip(SKIP_4) | instid1(VALU_DEP_2)
	v_lshlrev_b32_e32 v61, 2, v61
	ds_bpermute_b32 v60, v61, v60
	s_wait_dscnt 0x0
	v_cndmask_b32_e32 v60, v60, v62, vcc_lo
	v_cmp_ne_u32_e32 vcc_lo, 0, v1
	v_cndmask_b32_e32 v60, 0, v60, vcc_lo
	v_cmp_lt_u32_e32 vcc_lo, 0xff, v1
	s_delay_alu instid0(VALU_DEP_2) | instskip(NEXT) | instid1(VALU_DEP_1)
	v_add_nc_u32_e32 v8, v60, v8
	v_add_nc_u32_e32 v9, v8, v9
	s_delay_alu instid0(VALU_DEP_1) | instskip(NEXT) | instid1(VALU_DEP_1)
	v_add_nc_u32_e32 v6, v9, v6
	v_add_nc_u32_e32 v7, v6, v7
	s_delay_alu instid0(VALU_DEP_1) | instskip(NEXT) | instid1(VALU_DEP_1)
	;; [unrolled: 3-line block ×3, first 2 shown]
	v_add_nc_u32_e32 v2, v5, v2
	v_add_nc_u32_e32 v3, v2, v3
	ds_store_2addr_b32 v13, v60, v8 offset0:16 offset1:17
	ds_store_2addr_b32 v13, v9, v6 offset0:18 offset1:19
	;; [unrolled: 1-line block ×4, first 2 shown]
	ds_store_b32 v13, v3 offset:96
	s_wait_dscnt 0x0
	s_barrier_signal -1
	s_barrier_wait -1
	ds_load_b32 v61, v16 offset:64
	ds_load_b32 v62, v20 offset:64
	;; [unrolled: 1-line block ×12, first 2 shown]
	v_mov_b64_e32 v[2:3], 0
                                        ; implicit-def: $vgpr4
	s_and_saveexec_b32 s4, s2
	s_cbranch_execz .LBB2413_59
; %bb.56:
	v_mul_u32_u24_e32 v2, 0x44, v1
	v_dual_mov_b32 v3, 0x1800 :: v_dual_add_nc_u32 v4, 1, v1
	s_mov_b32 s5, exec_lo
	ds_load_b32 v2, v2 offset:64
	v_cmpx_ne_u32_e32 0x100, v4
; %bb.57:
	v_mul_u32_u24_e32 v3, 0x44, v4
	ds_load_b32 v3, v3 offset:64
; %bb.58:
	s_or_b32 exec_lo, exec_lo, s5
	s_wait_dscnt 0x0
	v_dual_mov_b32 v3, 0 :: v_dual_sub_nc_u32 v4, v3, v2
.LBB2413_59:
	s_or_b32 exec_lo, exec_lo, s4
	s_wait_dscnt 0xa
	v_dual_lshlrev_b32 v11, 1, v11 :: v_dual_lshlrev_b32 v28, 1, v62
	v_dual_lshlrev_b32 v19, 1, v19 :: v_dual_lshlrev_b32 v18, 1, v18
	v_lshlrev_b32_e32 v22, 1, v22
	s_delay_alu instid0(VALU_DEP_3)
	v_lshl_add_u32 v11, v61, 1, v11
	v_lshlrev_b32_e32 v23, 1, v23
	s_wait_dscnt 0x0
	v_add3_u32 v18, v28, v19, v18
	v_lshlrev_b32_e32 v19, 1, v60
	s_barrier_signal -1
	s_barrier_wait -1
	ds_store_b16 v11, v10 offset:2048
	ds_store_b16 v18, v12 offset:2048
	v_lshlrev_b32_e32 v11, 1, v24
	v_add3_u32 v10, v19, v23, v22
	v_dual_lshlrev_b32 v12, 1, v27 :: v_dual_lshlrev_b32 v18, 1, v26
	v_dual_lshlrev_b32 v22, 1, v29 :: v_dual_lshlrev_b32 v16, 1, v16
	v_dual_lshlrev_b32 v23, 1, v34 :: v_dual_lshlrev_b32 v24, 1, v33
	v_dual_lshlrev_b32 v19, 1, v20 :: v_dual_lshlrev_b32 v20, 1, v31
	v_dual_lshlrev_b32 v13, 1, v13 :: v_dual_lshlrev_b32 v26, 1, v39
	v_dual_lshlrev_b32 v27, 1, v38 :: v_dual_lshlrev_b32 v9, 1, v9
	ds_store_b16 v10, v17 offset:2048
	v_add3_u32 v10, v11, v12, v18
	v_add3_u32 v12, v16, v23, v24
	v_dual_lshlrev_b32 v16, 1, v43 :: v_dual_lshlrev_b32 v17, 1, v41
	v_add3_u32 v11, v19, v20, v22
	v_add3_u32 v13, v13, v26, v27
	ds_store_b16 v10, v21 offset:2048
	ds_store_b16 v11, v25 offset:2048
	;; [unrolled: 1-line block ×4, first 2 shown]
	v_add3_u32 v9, v9, v16, v17
	v_dual_lshlrev_b32 v8, 1, v8 :: v_dual_lshlrev_b32 v10, 1, v46
	v_dual_lshlrev_b32 v11, 1, v44 :: v_dual_lshlrev_b32 v7, 1, v7
	;; [unrolled: 1-line block ×6, first 2 shown]
	ds_store_b16 v9, v36 offset:2048
	v_add3_u32 v8, v8, v10, v11
	v_add3_u32 v9, v7, v12, v13
	;; [unrolled: 1-line block ×3, first 2 shown]
	v_dual_mov_b32 v7, 0 :: v_dual_lshlrev_b32 v5, 3, v1
	v_add3_u32 v6, v6, v16, v17
	ds_store_b16 v8, v40 offset:2048
	ds_store_b16 v9, v45 offset:2048
	;; [unrolled: 1-line block ×4, first 2 shown]
	s_and_saveexec_b32 s3, s2
	s_cbranch_execz .LBB2413_69
; %bb.60:
	v_lshl_add_u32 v6, s9, 8, v1
	v_dual_mov_b32 v10, 0 :: v_dual_bitop2_b32 v11, 2.0, v4 bitop3:0x54
	s_mov_b32 s4, 0
	s_mov_b32 s5, s9
	s_delay_alu instid0(VALU_DEP_2)
	v_lshl_add_u64 v[8:9], v[6:7], 2, s[10:11]
	global_store_b32 v6, v11, s[10:11] scale_offset scope:SCOPE_DEV
                                        ; implicit-def: $sgpr2
	s_branch .LBB2413_63
.LBB2413_61:                            ;   in Loop: Header=BB2413_63 Depth=1
	s_or_b32 exec_lo, exec_lo, s7
.LBB2413_62:                            ;   in Loop: Header=BB2413_63 Depth=1
	s_delay_alu instid0(SALU_CYCLE_1) | instskip(SKIP_2) | instid1(VALU_DEP_2)
	s_or_b32 exec_lo, exec_lo, s6
	v_and_b32_e32 v6, 0x3fffffff, v11
	v_cmp_gt_i32_e64 s2, -2.0, v11
	v_add_nc_u32_e32 v10, v6, v10
	s_and_b32 s6, exec_lo, s2
	s_delay_alu instid0(SALU_CYCLE_1) | instskip(NEXT) | instid1(SALU_CYCLE_1)
	s_or_b32 s4, s6, s4
	s_and_not1_b32 exec_lo, exec_lo, s4
	s_cbranch_execz .LBB2413_68
.LBB2413_63:                            ; =>This Loop Header: Depth=1
                                        ;     Child Loop BB2413_66 Depth 2
	s_or_b32 s2, s2, exec_lo
	s_cmp_eq_u32 s5, 0
	s_cbranch_scc1 .LBB2413_67
; %bb.64:                               ;   in Loop: Header=BB2413_63 Depth=1
	s_add_co_i32 s5, s5, -1
	s_mov_b32 s6, exec_lo
	s_wait_xcnt 0x0
	v_lshl_or_b32 v6, s5, 8, v1
	global_load_b32 v11, v6, s[10:11] scale_offset scope:SCOPE_DEV
	s_wait_loadcnt 0x0
	v_cmpx_gt_u32_e32 2.0, v11
	s_cbranch_execz .LBB2413_62
; %bb.65:                               ;   in Loop: Header=BB2413_63 Depth=1
	v_lshl_add_u64 v[12:13], v[6:7], 2, s[10:11]
	s_mov_b32 s7, 0
.LBB2413_66:                            ;   Parent Loop BB2413_63 Depth=1
                                        ; =>  This Inner Loop Header: Depth=2
	global_load_b32 v11, v[12:13], off scope:SCOPE_DEV
	s_wait_loadcnt 0x0
	v_cmp_lt_u32_e64 s2, 0x3fffffff, v11
	s_or_b32 s7, s2, s7
	s_wait_xcnt 0x0
	s_and_not1_b32 exec_lo, exec_lo, s7
	s_cbranch_execnz .LBB2413_66
	s_branch .LBB2413_61
.LBB2413_67:                            ;   in Loop: Header=BB2413_63 Depth=1
                                        ; implicit-def: $sgpr5
	s_and_b32 s6, exec_lo, s2
	s_delay_alu instid0(SALU_CYCLE_1)
	s_or_b32 s4, s6, s4
	s_wait_xcnt 0x0
	s_and_not1_b32 exec_lo, exec_lo, s4
	s_cbranch_execnz .LBB2413_63
.LBB2413_68:
	s_or_b32 exec_lo, exec_lo, s4
	v_dual_mov_b32 v11, 0 :: v_dual_add_nc_u32 v6, v10, v4
	s_delay_alu instid0(VALU_DEP_1) | instskip(SKIP_4) | instid1(VALU_DEP_1)
	v_or_b32_e32 v6, 0x80000000, v6
	global_store_b32 v[8:9], v6, off scope:SCOPE_DEV
	global_load_b64 v[6:7], v1, s[12:13] scale_offset
	v_sub_nc_u64_e32 v[8:9], v[10:11], v[2:3]
	s_wait_loadcnt 0x0
	v_add_nc_u64_e32 v[6:7], v[8:9], v[6:7]
	ds_store_b64 v5, v[6:7]
.LBB2413_69:
	s_wait_xcnt 0x0
	s_or_b32 exec_lo, exec_lo, s3
	v_mad_i32_i24 v8, v1, -6, v5
	v_lshlrev_b32_e32 v6, 1, v1
	s_mov_b32 s3, exec_lo
	s_wait_storecnt_dscnt 0x0
	s_barrier_signal -1
	s_barrier_wait -1
	v_cmpx_gt_u32_e64 s22, v1
	s_cbranch_execz .LBB2413_71
; %bb.70:
	ds_load_u16 v9, v8 offset:2048
	s_wait_dscnt 0x0
	v_and_b32_e32 v7, 0xffff, v9
	s_delay_alu instid0(VALU_DEP_1) | instskip(NEXT) | instid1(VALU_DEP_1)
	v_lshrrev_b32_e32 v7, s20, v7
	v_and_b32_e32 v7, s25, v7
	s_delay_alu instid0(VALU_DEP_1) | instskip(SKIP_4) | instid1(VALU_DEP_1)
	v_lshlrev_b32_e32 v7, 3, v7
	ds_load_b64 v[10:11], v7
	v_mov_b32_e32 v7, 0
	s_wait_dscnt 0x0
	v_lshl_add_u64 v[10:11], v[10:11], 1, s[18:19]
	v_add_nc_u64_e32 v[10:11], v[10:11], v[6:7]
	v_xor_b32_e32 v7, -1, v9
	global_store_b16 v[10:11], v7, off
.LBB2413_71:
	s_wait_xcnt 0x0
	s_or_b32 exec_lo, exec_lo, s3
	v_add_nc_u32_e32 v7, 0x200, v1
	s_mov_b32 s3, exec_lo
	s_delay_alu instid0(VALU_DEP_1)
	v_cmpx_gt_u32_e64 s22, v7
	s_cbranch_execz .LBB2413_73
; %bb.72:
	ds_load_u16 v9, v8 offset:3072
	s_wait_dscnt 0x0
	v_and_b32_e32 v7, 0xffff, v9
	s_delay_alu instid0(VALU_DEP_1) | instskip(NEXT) | instid1(VALU_DEP_1)
	v_lshrrev_b32_e32 v7, s20, v7
	v_and_b32_e32 v7, s25, v7
	s_delay_alu instid0(VALU_DEP_1) | instskip(SKIP_4) | instid1(VALU_DEP_1)
	v_lshlrev_b32_e32 v7, 3, v7
	ds_load_b64 v[10:11], v7
	v_mov_b32_e32 v7, 0
	s_wait_dscnt 0x0
	v_lshl_add_u64 v[10:11], v[10:11], 1, s[18:19]
	v_add_nc_u64_e32 v[10:11], v[10:11], v[6:7]
	v_xor_b32_e32 v7, -1, v9
	global_store_b16 v[10:11], v7, off offset:1024
.LBB2413_73:
	s_wait_xcnt 0x0
	s_or_b32 exec_lo, exec_lo, s3
	v_or_b32_e32 v7, 0x400, v1
	s_mov_b32 s3, exec_lo
	s_delay_alu instid0(VALU_DEP_1)
	v_cmpx_gt_u32_e64 s22, v7
	s_cbranch_execz .LBB2413_75
; %bb.74:
	ds_load_u16 v9, v8 offset:4096
	s_wait_dscnt 0x0
	v_and_b32_e32 v7, 0xffff, v9
	s_delay_alu instid0(VALU_DEP_1) | instskip(NEXT) | instid1(VALU_DEP_1)
	v_lshrrev_b32_e32 v7, s20, v7
	v_and_b32_e32 v7, s25, v7
	s_delay_alu instid0(VALU_DEP_1) | instskip(SKIP_4) | instid1(VALU_DEP_1)
	v_lshlrev_b32_e32 v7, 3, v7
	ds_load_b64 v[10:11], v7
	v_mov_b32_e32 v7, 0
	s_wait_dscnt 0x0
	v_lshl_add_u64 v[10:11], v[10:11], 1, s[18:19]
	v_add_nc_u64_e32 v[10:11], v[10:11], v[6:7]
	v_xor_b32_e32 v7, -1, v9
	global_store_b16 v[10:11], v7, off offset:2048
.LBB2413_75:
	s_wait_xcnt 0x0
	s_or_b32 exec_lo, exec_lo, s3
	v_add_nc_u32_e32 v7, 0x600, v1
	s_mov_b32 s3, exec_lo
	s_delay_alu instid0(VALU_DEP_1)
	v_cmpx_gt_u32_e64 s22, v7
	s_cbranch_execz .LBB2413_77
; %bb.76:
	ds_load_u16 v9, v8 offset:5120
	s_wait_dscnt 0x0
	v_and_b32_e32 v7, 0xffff, v9
	s_delay_alu instid0(VALU_DEP_1) | instskip(NEXT) | instid1(VALU_DEP_1)
	v_lshrrev_b32_e32 v7, s20, v7
	v_and_b32_e32 v7, s25, v7
	s_delay_alu instid0(VALU_DEP_1) | instskip(SKIP_4) | instid1(VALU_DEP_1)
	v_lshlrev_b32_e32 v7, 3, v7
	ds_load_b64 v[10:11], v7
	v_mov_b32_e32 v7, 0
	s_wait_dscnt 0x0
	v_lshl_add_u64 v[10:11], v[10:11], 1, s[18:19]
	v_add_nc_u64_e32 v[10:11], v[10:11], v[6:7]
	v_xor_b32_e32 v7, -1, v9
	global_store_b16 v[10:11], v7, off offset:3072
.LBB2413_77:
	s_wait_xcnt 0x0
	s_or_b32 exec_lo, exec_lo, s3
	v_or_b32_e32 v7, 0x800, v1
	s_mov_b32 s3, exec_lo
	s_delay_alu instid0(VALU_DEP_1)
	v_cmpx_gt_u32_e64 s22, v7
	s_cbranch_execz .LBB2413_79
; %bb.78:
	ds_load_u16 v9, v8 offset:6144
	s_wait_dscnt 0x0
	v_and_b32_e32 v7, 0xffff, v9
	s_delay_alu instid0(VALU_DEP_1) | instskip(NEXT) | instid1(VALU_DEP_1)
	v_lshrrev_b32_e32 v7, s20, v7
	v_and_b32_e32 v7, s25, v7
	s_delay_alu instid0(VALU_DEP_1) | instskip(SKIP_4) | instid1(VALU_DEP_1)
	v_lshlrev_b32_e32 v7, 3, v7
	ds_load_b64 v[10:11], v7
	v_mov_b32_e32 v7, 0
	s_wait_dscnt 0x0
	v_lshl_add_u64 v[10:11], v[10:11], 1, s[18:19]
	v_add_nc_u64_e32 v[10:11], v[10:11], v[6:7]
	v_xor_b32_e32 v7, -1, v9
	global_store_b16 v[10:11], v7, off offset:4096
.LBB2413_79:
	;; [unrolled: 48-line block ×5, first 2 shown]
	s_wait_xcnt 0x0
	s_or_b32 exec_lo, exec_lo, s3
	v_add_nc_u32_e32 v7, 0x1600, v1
	s_mov_b32 s3, exec_lo
	s_delay_alu instid0(VALU_DEP_1)
	v_cmpx_gt_u32_e64 s22, v7
	s_cbranch_execz .LBB2413_93
; %bb.92:
	ds_load_u16 v10, v6 offset:13312
	s_wait_dscnt 0x0
	v_and_b32_e32 v7, 0xffff, v10
	s_delay_alu instid0(VALU_DEP_1) | instskip(NEXT) | instid1(VALU_DEP_1)
	v_lshrrev_b32_e32 v7, s20, v7
	v_and_b32_e32 v7, s25, v7
	s_delay_alu instid0(VALU_DEP_1) | instskip(SKIP_4) | instid1(VALU_DEP_1)
	v_lshlrev_b32_e32 v7, 3, v7
	ds_load_b64 v[8:9], v7
	v_mov_b32_e32 v7, 0
	s_wait_dscnt 0x0
	v_lshl_add_u64 v[8:9], v[8:9], 1, s[18:19]
	v_add_nc_u64_e32 v[6:7], v[8:9], v[6:7]
	v_xor_b32_e32 v8, -1, v10
	global_store_b16 v[6:7], v8, off offset:11264
.LBB2413_93:
	s_wait_xcnt 0x0
	s_or_b32 exec_lo, exec_lo, s3
	s_add_co_i32 s23, s23, -1
	s_delay_alu instid0(SALU_CYCLE_1) | instskip(SKIP_2) | instid1(SALU_CYCLE_1)
	s_cmp_eq_u32 s9, s23
	s_cselect_b32 s2, -1, 0
	s_xor_b32 s3, vcc_lo, -1
	s_and_b32 s3, s3, s2
	s_delay_alu instid0(SALU_CYCLE_1)
	s_and_saveexec_b32 s2, s3
	s_cbranch_execz .LBB2413_95
; %bb.94:
	ds_load_b64 v[6:7], v5
	v_mov_b32_e32 v5, 0
	s_delay_alu instid0(VALU_DEP_1) | instskip(SKIP_1) | instid1(VALU_DEP_1)
	v_add_nc_u64_e32 v[2:3], v[2:3], v[4:5]
	s_wait_dscnt 0x0
	v_add_nc_u64_e32 v[2:3], v[2:3], v[6:7]
	global_store_b64 v1, v[2:3], s[14:15] scale_offset
.LBB2413_95:
	s_wait_xcnt 0x0
	s_or_b32 exec_lo, exec_lo, s2
	s_mov_b32 s2, 0
.LBB2413_96:
	s_delay_alu instid0(SALU_CYCLE_1)
	s_and_b32 vcc_lo, exec_lo, s2
	s_cbranch_vccz .LBB2413_143
; %bb.97:
	s_mov_b32 s25, 0
	v_dual_mov_b32 v9, 0 :: v_dual_lshlrev_b32 v8, 1, v14
	s_lshl_b64 s[2:3], s[24:25], 1
	v_mul_u32_u24_e32 v1, 12, v15
	s_add_nc_u64 s[2:3], s[16:17], s[2:3]
	v_bfe_u32 v17, v0, 20, 10
	v_add_nc_u64_e32 v[2:3], s[2:3], v[8:9]
	s_delay_alu instid0(VALU_DEP_3) | instskip(NEXT) | instid1(VALU_DEP_1)
	v_lshlrev_b32_e32 v8, 1, v1
	v_add_nc_u64_e32 v[12:13], v[2:3], v[8:9]
	s_clause 0xb
	global_load_u16 v8, v[12:13], off
	global_load_u16 v10, v[12:13], off offset:64
	global_load_u16 v16, v[12:13], off offset:128
	;; [unrolled: 1-line block ×11, first 2 shown]
	s_clause 0x1
	s_load_b32 s7, s[0:1], 0x58
	s_load_u16 s2, s[0:1], 0x66
	v_bfe_u32 v13, v0, 10, 10
	v_and_b32_e32 v12, 0x3ff, v0
	s_wait_kmcnt 0x0
	s_cmp_lt_u32 s9, s7
	s_delay_alu instid0(VALU_DEP_2)
	v_mad_u32_u24 v0, v17, s2, v13
	s_cselect_b32 s24, 12, 18
	s_lshl_b32 s8, -1, s21
	s_add_nc_u64 s[0:1], s[26:27], s[24:25]
	s_load_u16 s16, s[0:1], 0x0
	s_wait_kmcnt 0x0
	v_mad_u32 v0, v0, s16, v12
	s_delay_alu instid0(VALU_DEP_1) | instskip(NEXT) | instid1(VALU_DEP_1)
	v_lshrrev_b32_e32 v0, 5, v0
	v_lshlrev_b32_e32 v0, 2, v0
	s_wait_loadcnt 0xb
	v_xor_b32_e32 v8, -1, v8
	s_delay_alu instid0(VALU_DEP_1) | instskip(NEXT) | instid1(VALU_DEP_1)
	v_and_b32_e32 v11, 0xffff, v8
	v_lshrrev_b32_e32 v11, s20, v11
	s_delay_alu instid0(VALU_DEP_1) | instskip(SKIP_2) | instid1(VALU_DEP_2)
	v_bitop3_b32 v13, v11, 1, s8 bitop3:0x40
	v_bitop3_b32 v18, v11, s8, v11 bitop3:0x30
	s_not_b32 s8, s8
	v_add_co_u32 v11, s0, v13, -1
	s_delay_alu instid0(VALU_DEP_1) | instskip(NEXT) | instid1(VALU_DEP_3)
	v_cndmask_b32_e64 v13, 0, 1, s0
	v_dual_lshlrev_b32 v17, 30, v18 :: v_dual_lshlrev_b32 v19, 29, v18
	v_dual_lshlrev_b32 v21, 28, v18 :: v_dual_lshlrev_b32 v22, 27, v18
	v_lshlrev_b32_e32 v23, 26, v18
	s_delay_alu instid0(VALU_DEP_4) | instskip(NEXT) | instid1(VALU_DEP_4)
	v_cmp_ne_u32_e32 vcc_lo, 0, v13
	v_not_b32_e32 v13, v17
	v_cmp_gt_i32_e64 s0, 0, v17
	v_cmp_gt_i32_e64 s1, 0, v19
	v_not_b32_e32 v17, v19
	v_not_b32_e32 v19, v21
	v_dual_ashrrev_i32 v13, 31, v13 :: v_dual_bitop2_b32 v11, vcc_lo, v11 bitop3:0x14
	v_dual_lshlrev_b32 v25, 25, v18 :: v_dual_lshlrev_b32 v26, 24, v18
	v_cmp_gt_i32_e64 s2, 0, v21
	v_cmp_gt_i32_e64 s3, 0, v22
	v_not_b32_e32 v21, v22
	v_not_b32_e32 v22, v23
	v_dual_ashrrev_i32 v17, 31, v17 :: v_dual_ashrrev_i32 v19, 31, v19
	v_xor_b32_e32 v13, s0, v13
	v_cmp_gt_i32_e64 s4, 0, v23
	v_cmp_gt_i32_e64 s5, 0, v25
	v_not_b32_e32 v23, v25
	v_not_b32_e32 v25, v26
	v_dual_ashrrev_i32 v21, 31, v21 :: v_dual_bitop2_b32 v19, s2, v19 bitop3:0x14
	v_dual_ashrrev_i32 v22, 31, v22 :: v_dual_bitop2_b32 v17, s1, v17 bitop3:0x14
	v_bitop3_b32 v11, v11, v13, exec_lo bitop3:0x80
	v_cmp_gt_i32_e64 s6, 0, v26
	v_dual_ashrrev_i32 v13, 31, v23 :: v_dual_ashrrev_i32 v23, 31, v25
	s_delay_alu instid0(VALU_DEP_4) | instskip(SKIP_2) | instid1(VALU_DEP_4)
	v_xor_b32_e32 v22, s4, v22
	v_xor_b32_e32 v21, s3, v21
	v_bitop3_b32 v11, v11, v19, v17 bitop3:0x80
	v_xor_b32_e32 v13, s5, v13
	v_xor_b32_e32 v17, s6, v23
	s_delay_alu instid0(VALU_DEP_3)
	v_bitop3_b32 v19, v11, v22, v21 bitop3:0x80
	v_mul_u32_u24_e32 v11, 36, v12
	ds_store_2addr_b32 v11, v9, v9 offset0:16 offset1:17
	ds_store_2addr_b32 v11, v9, v9 offset0:18 offset1:19
	;; [unrolled: 1-line block ×4, first 2 shown]
	v_bitop3_b32 v17, v19, v17, v13 bitop3:0x80
	ds_store_b32 v11, v9 offset:96
	v_mad_u32_u24 v13, 0x44, v18, v0
	s_wait_storecnt 0x0
	s_wait_loadcnt_dscnt 0x0
	s_barrier_signal -1
	v_mbcnt_lo_u32_b32 v9, v17, 0
	v_cmp_ne_u32_e64 s0, 0, v17
	s_barrier_wait -1
	s_delay_alu instid0(VALU_DEP_2) | instskip(SKIP_1) | instid1(SALU_CYCLE_1)
	v_cmp_eq_u32_e32 vcc_lo, 0, v9
	; wave barrier
	s_and_b32 s1, s0, vcc_lo
	s_and_saveexec_b32 s0, s1
; %bb.98:
	v_bcnt_u32_b32 v17, v17, 0
	ds_store_b32 v13, v17 offset:64
; %bb.99:
	s_or_b32 exec_lo, exec_lo, s0
	v_xor_b32_e32 v10, -1, v10
	; wave barrier
	s_delay_alu instid0(VALU_DEP_1) | instskip(NEXT) | instid1(VALU_DEP_1)
	v_and_b32_e32 v17, 0xffff, v10
	v_lshrrev_b32_e32 v17, s20, v17
	s_delay_alu instid0(VALU_DEP_1) | instskip(SKIP_1) | instid1(VALU_DEP_2)
	v_bitop3_b32 v18, v17, 1, s8 bitop3:0x80
	v_and_b32_e32 v17, s8, v17
	v_add_co_u32 v18, s0, v18, -1
	s_delay_alu instid0(VALU_DEP_1) | instskip(NEXT) | instid1(VALU_DEP_3)
	v_cndmask_b32_e64 v19, 0, 1, s0
	v_lshlrev_b32_e32 v21, 30, v17
	s_delay_alu instid0(VALU_DEP_2) | instskip(NEXT) | instid1(VALU_DEP_2)
	v_cmp_ne_u32_e32 vcc_lo, 0, v19
	v_not_b32_e32 v19, v21
	s_delay_alu instid0(VALU_DEP_1) | instskip(SKIP_4) | instid1(VALU_DEP_4)
	v_dual_ashrrev_i32 v19, 31, v19 :: v_dual_bitop2_b32 v18, vcc_lo, v18 bitop3:0x14
	v_dual_lshlrev_b32 v22, 29, v17 :: v_dual_lshlrev_b32 v23, 28, v17
	v_dual_lshlrev_b32 v25, 27, v17 :: v_dual_lshlrev_b32 v26, 26, v17
	v_lshlrev_b32_e32 v27, 25, v17
	v_cmp_gt_i32_e64 s0, 0, v21
	v_cmp_gt_i32_e64 s1, 0, v22
	v_not_b32_e32 v21, v22
	v_not_b32_e32 v22, v23
	v_lshlrev_b32_e32 v28, 24, v17
	v_cmp_gt_i32_e64 s2, 0, v23
	v_cmp_gt_i32_e64 s3, 0, v25
	v_not_b32_e32 v23, v25
	v_not_b32_e32 v25, v26
	v_dual_ashrrev_i32 v21, 31, v21 :: v_dual_ashrrev_i32 v22, 31, v22
	v_xor_b32_e32 v19, s0, v19
	v_cmp_gt_i32_e64 s4, 0, v26
	v_cmp_gt_i32_e64 s5, 0, v27
	v_not_b32_e32 v26, v27
	v_not_b32_e32 v27, v28
	v_dual_ashrrev_i32 v23, 31, v23 :: v_dual_bitop2_b32 v21, s1, v21 bitop3:0x14
	v_dual_ashrrev_i32 v25, 31, v25 :: v_dual_bitop2_b32 v22, s2, v22 bitop3:0x14
	s_delay_alu instid0(VALU_DEP_3) | instskip(SKIP_4) | instid1(VALU_DEP_4)
	v_ashrrev_i32_e32 v27, 31, v27
	v_bitop3_b32 v18, v18, v19, exec_lo bitop3:0x80
	v_cmp_gt_i32_e64 s6, 0, v28
	v_dual_ashrrev_i32 v26, 31, v26 :: v_dual_bitop2_b32 v23, s3, v23 bitop3:0x14
	v_xor_b32_e32 v25, s4, v25
	v_bitop3_b32 v18, v18, v22, v21 bitop3:0x80
	v_mad_u32_u24 v19, 0x44, v17, v0
	s_delay_alu instid0(VALU_DEP_4) | instskip(SKIP_1) | instid1(VALU_DEP_4)
	v_xor_b32_e32 v21, s5, v26
	v_xor_b32_e32 v22, s6, v27
	v_bitop3_b32 v18, v18, v25, v23 bitop3:0x80
	ds_load_b32 v17, v19 offset:64
	; wave barrier
	v_bitop3_b32 v21, v18, v22, v21 bitop3:0x80
	s_delay_alu instid0(VALU_DEP_1) | instskip(SKIP_1) | instid1(VALU_DEP_2)
	v_mbcnt_lo_u32_b32 v18, v21, 0
	v_cmp_ne_u32_e64 s0, 0, v21
	v_cmp_eq_u32_e32 vcc_lo, 0, v18
	s_and_b32 s1, s0, vcc_lo
	s_delay_alu instid0(SALU_CYCLE_1)
	s_and_saveexec_b32 s0, s1
	s_cbranch_execz .LBB2413_101
; %bb.100:
	s_wait_dscnt 0x0
	v_bcnt_u32_b32 v21, v21, v17
	ds_store_b32 v19, v21 offset:64
.LBB2413_101:
	s_or_b32 exec_lo, exec_lo, s0
	v_xor_b32_e32 v16, -1, v16
	; wave barrier
	s_delay_alu instid0(VALU_DEP_1) | instskip(NEXT) | instid1(VALU_DEP_1)
	v_and_b32_e32 v21, 0xffff, v16
	v_lshrrev_b32_e32 v21, s20, v21
	s_delay_alu instid0(VALU_DEP_1) | instskip(SKIP_1) | instid1(VALU_DEP_2)
	v_bitop3_b32 v22, v21, 1, s8 bitop3:0x80
	v_and_b32_e32 v21, s8, v21
	v_add_co_u32 v22, s0, v22, -1
	s_delay_alu instid0(VALU_DEP_1) | instskip(NEXT) | instid1(VALU_DEP_3)
	v_cndmask_b32_e64 v23, 0, 1, s0
	v_lshlrev_b32_e32 v25, 30, v21
	s_delay_alu instid0(VALU_DEP_2) | instskip(NEXT) | instid1(VALU_DEP_2)
	v_cmp_ne_u32_e32 vcc_lo, 0, v23
	v_not_b32_e32 v23, v25
	s_delay_alu instid0(VALU_DEP_1) | instskip(SKIP_4) | instid1(VALU_DEP_4)
	v_dual_ashrrev_i32 v23, 31, v23 :: v_dual_bitop2_b32 v22, vcc_lo, v22 bitop3:0x14
	v_dual_lshlrev_b32 v26, 29, v21 :: v_dual_lshlrev_b32 v27, 28, v21
	v_dual_lshlrev_b32 v28, 27, v21 :: v_dual_lshlrev_b32 v29, 26, v21
	v_lshlrev_b32_e32 v30, 25, v21
	v_cmp_gt_i32_e64 s0, 0, v25
	v_cmp_gt_i32_e64 s1, 0, v26
	v_not_b32_e32 v25, v26
	v_not_b32_e32 v26, v27
	v_lshlrev_b32_e32 v31, 24, v21
	v_cmp_gt_i32_e64 s2, 0, v27
	v_cmp_gt_i32_e64 s3, 0, v28
	v_not_b32_e32 v27, v28
	v_not_b32_e32 v28, v29
	v_dual_ashrrev_i32 v25, 31, v25 :: v_dual_ashrrev_i32 v26, 31, v26
	v_xor_b32_e32 v23, s0, v23
	v_cmp_gt_i32_e64 s4, 0, v29
	v_cmp_gt_i32_e64 s5, 0, v30
	v_not_b32_e32 v29, v30
	v_not_b32_e32 v30, v31
	v_dual_ashrrev_i32 v27, 31, v27 :: v_dual_bitop2_b32 v25, s1, v25 bitop3:0x14
	v_dual_ashrrev_i32 v28, 31, v28 :: v_dual_bitop2_b32 v26, s2, v26 bitop3:0x14
	s_delay_alu instid0(VALU_DEP_4) | instskip(SKIP_4) | instid1(VALU_DEP_4)
	v_ashrrev_i32_e32 v29, 31, v29
	v_bitop3_b32 v22, v22, v23, exec_lo bitop3:0x80
	v_cmp_gt_i32_e64 s6, 0, v31
	v_dual_ashrrev_i32 v30, 31, v30 :: v_dual_bitop2_b32 v27, s3, v27 bitop3:0x14
	v_xor_b32_e32 v28, s4, v28
	v_bitop3_b32 v22, v22, v26, v25 bitop3:0x80
	v_mad_u32_u24 v23, 0x44, v21, v0
	v_xor_b32_e32 v25, s5, v29
	v_xor_b32_e32 v26, s6, v30
	s_delay_alu instid0(VALU_DEP_4) | instskip(SKIP_2) | instid1(VALU_DEP_1)
	v_bitop3_b32 v22, v22, v28, v27 bitop3:0x80
	ds_load_b32 v21, v23 offset:64
	; wave barrier
	v_bitop3_b32 v25, v22, v26, v25 bitop3:0x80
	v_mbcnt_lo_u32_b32 v22, v25, 0
	v_cmp_ne_u32_e64 s0, 0, v25
	s_delay_alu instid0(VALU_DEP_2) | instskip(SKIP_1) | instid1(SALU_CYCLE_1)
	v_cmp_eq_u32_e32 vcc_lo, 0, v22
	s_and_b32 s1, s0, vcc_lo
	s_and_saveexec_b32 s0, s1
	s_cbranch_execz .LBB2413_103
; %bb.102:
	s_wait_dscnt 0x0
	v_bcnt_u32_b32 v25, v25, v21
	ds_store_b32 v23, v25 offset:64
.LBB2413_103:
	s_or_b32 exec_lo, exec_lo, s0
	v_xor_b32_e32 v20, -1, v20
	; wave barrier
	s_delay_alu instid0(VALU_DEP_1) | instskip(NEXT) | instid1(VALU_DEP_1)
	v_and_b32_e32 v25, 0xffff, v20
	v_lshrrev_b32_e32 v25, s20, v25
	s_delay_alu instid0(VALU_DEP_1) | instskip(SKIP_1) | instid1(VALU_DEP_2)
	v_bitop3_b32 v26, v25, 1, s8 bitop3:0x80
	v_and_b32_e32 v25, s8, v25
	v_add_co_u32 v26, s0, v26, -1
	s_delay_alu instid0(VALU_DEP_1) | instskip(NEXT) | instid1(VALU_DEP_3)
	v_cndmask_b32_e64 v27, 0, 1, s0
	v_lshlrev_b32_e32 v28, 30, v25
	s_delay_alu instid0(VALU_DEP_2) | instskip(NEXT) | instid1(VALU_DEP_2)
	v_cmp_ne_u32_e32 vcc_lo, 0, v27
	v_not_b32_e32 v27, v28
	s_delay_alu instid0(VALU_DEP_1) | instskip(SKIP_4) | instid1(VALU_DEP_4)
	v_dual_ashrrev_i32 v27, 31, v27 :: v_dual_bitop2_b32 v26, vcc_lo, v26 bitop3:0x14
	v_dual_lshlrev_b32 v29, 29, v25 :: v_dual_lshlrev_b32 v30, 28, v25
	v_dual_lshlrev_b32 v31, 27, v25 :: v_dual_lshlrev_b32 v32, 26, v25
	v_lshlrev_b32_e32 v33, 25, v25
	v_cmp_gt_i32_e64 s0, 0, v28
	v_cmp_gt_i32_e64 s1, 0, v29
	v_not_b32_e32 v28, v29
	v_not_b32_e32 v29, v30
	v_lshlrev_b32_e32 v34, 24, v25
	v_cmp_gt_i32_e64 s2, 0, v30
	v_cmp_gt_i32_e64 s3, 0, v31
	v_not_b32_e32 v30, v31
	v_not_b32_e32 v31, v32
	v_dual_ashrrev_i32 v28, 31, v28 :: v_dual_ashrrev_i32 v29, 31, v29
	s_delay_alu instid0(VALU_DEP_3)
	v_dual_ashrrev_i32 v30, 31, v30 :: v_dual_bitop2_b32 v27, s0, v27 bitop3:0x14
	v_cmp_gt_i32_e64 s4, 0, v32
	v_cmp_gt_i32_e64 s5, 0, v33
	v_not_b32_e32 v32, v33
	v_not_b32_e32 v33, v34
	v_dual_ashrrev_i32 v31, 31, v31 :: v_dual_bitop2_b32 v28, s1, v28 bitop3:0x14
	s_delay_alu instid0(VALU_DEP_3) | instskip(SKIP_4) | instid1(VALU_DEP_4)
	v_dual_ashrrev_i32 v32, 31, v32 :: v_dual_bitop2_b32 v29, s2, v29 bitop3:0x14
	v_bitop3_b32 v26, v26, v27, exec_lo bitop3:0x80
	v_cmp_gt_i32_e64 s6, 0, v34
	v_dual_ashrrev_i32 v33, 31, v33 :: v_dual_bitop2_b32 v30, s3, v30 bitop3:0x14
	v_xor_b32_e32 v31, s4, v31
	v_bitop3_b32 v26, v26, v29, v28 bitop3:0x80
	v_mad_u32_u24 v27, 0x44, v25, v0
	v_xor_b32_e32 v28, s5, v32
	v_xor_b32_e32 v29, s6, v33
	s_delay_alu instid0(VALU_DEP_4) | instskip(SKIP_2) | instid1(VALU_DEP_1)
	v_bitop3_b32 v26, v26, v31, v30 bitop3:0x80
	ds_load_b32 v25, v27 offset:64
	; wave barrier
	v_bitop3_b32 v28, v26, v29, v28 bitop3:0x80
	v_mbcnt_lo_u32_b32 v26, v28, 0
	v_cmp_ne_u32_e64 s0, 0, v28
	s_delay_alu instid0(VALU_DEP_2) | instskip(SKIP_1) | instid1(SALU_CYCLE_1)
	v_cmp_eq_u32_e32 vcc_lo, 0, v26
	s_and_b32 s1, s0, vcc_lo
	s_and_saveexec_b32 s0, s1
	s_cbranch_execz .LBB2413_105
; %bb.104:
	s_wait_dscnt 0x0
	v_bcnt_u32_b32 v28, v28, v25
	ds_store_b32 v27, v28 offset:64
.LBB2413_105:
	s_or_b32 exec_lo, exec_lo, s0
	v_xor_b32_e32 v24, -1, v24
	; wave barrier
	s_delay_alu instid0(VALU_DEP_1) | instskip(NEXT) | instid1(VALU_DEP_1)
	v_and_b32_e32 v28, 0xffff, v24
	v_lshrrev_b32_e32 v28, s20, v28
	s_delay_alu instid0(VALU_DEP_1) | instskip(NEXT) | instid1(VALU_DEP_1)
	v_bitop3_b32 v29, v28, 1, s8 bitop3:0x80
	v_add_co_u32 v29, s0, v29, -1
	s_delay_alu instid0(VALU_DEP_1) | instskip(NEXT) | instid1(VALU_DEP_1)
	v_cndmask_b32_e64 v30, 0, 1, s0
	v_cmp_ne_u32_e32 vcc_lo, 0, v30
	s_delay_alu instid0(VALU_DEP_3) | instskip(SKIP_1) | instid1(VALU_DEP_1)
	v_xor_b32_e32 v29, vcc_lo, v29
	v_and_b32_e32 v28, s8, v28
	v_dual_lshlrev_b32 v31, 30, v28 :: v_dual_lshlrev_b32 v32, 29, v28
	s_delay_alu instid0(VALU_DEP_1) | instskip(SKIP_1) | instid1(VALU_DEP_3)
	v_cmp_gt_i32_e64 s0, 0, v31
	v_not_b32_e32 v30, v31
	v_not_b32_e32 v31, v32
	v_cmp_gt_i32_e64 s1, 0, v32
	s_delay_alu instid0(VALU_DEP_2) | instskip(SKIP_2) | instid1(VALU_DEP_3)
	v_dual_ashrrev_i32 v30, 31, v30 :: v_dual_ashrrev_i32 v31, 31, v31
	v_dual_lshlrev_b32 v33, 28, v28 :: v_dual_lshlrev_b32 v34, 27, v28
	v_dual_lshlrev_b32 v35, 26, v28 :: v_dual_lshlrev_b32 v36, 25, v28
	v_dual_lshlrev_b32 v37, 24, v28 :: v_dual_bitop2_b32 v30, s0, v30 bitop3:0x14
	s_delay_alu instid0(VALU_DEP_3)
	v_not_b32_e32 v32, v33
	v_cmp_gt_i32_e64 s2, 0, v33
	v_cmp_gt_i32_e64 s3, 0, v34
	v_not_b32_e32 v33, v34
	v_not_b32_e32 v34, v35
	v_ashrrev_i32_e32 v32, 31, v32
	v_cmp_gt_i32_e64 s4, 0, v35
	v_cmp_gt_i32_e64 s5, 0, v36
	v_not_b32_e32 v35, v36
	v_not_b32_e32 v36, v37
	v_dual_ashrrev_i32 v33, 31, v33 :: v_dual_ashrrev_i32 v34, 31, v34
	v_xor_b32_e32 v31, s1, v31
	v_xor_b32_e32 v32, s2, v32
	v_bitop3_b32 v29, v29, v30, exec_lo bitop3:0x80
	v_cmp_gt_i32_e64 s6, 0, v37
	v_dual_ashrrev_i32 v30, 31, v35 :: v_dual_ashrrev_i32 v35, 31, v36
	v_xor_b32_e32 v33, s3, v33
	v_xor_b32_e32 v34, s4, v34
	v_bitop3_b32 v29, v29, v32, v31 bitop3:0x80
	v_mad_u32_u24 v31, 0x44, v28, v0
	v_xor_b32_e32 v30, s5, v30
	v_xor_b32_e32 v32, s6, v35
	s_delay_alu instid0(VALU_DEP_4) | instskip(SKIP_2) | instid1(VALU_DEP_1)
	v_bitop3_b32 v29, v29, v34, v33 bitop3:0x80
	ds_load_b32 v28, v31 offset:64
	; wave barrier
	v_bitop3_b32 v29, v29, v32, v30 bitop3:0x80
	v_mbcnt_lo_u32_b32 v30, v29, 0
	v_cmp_ne_u32_e64 s0, 0, v29
	s_delay_alu instid0(VALU_DEP_2) | instskip(SKIP_1) | instid1(SALU_CYCLE_1)
	v_cmp_eq_u32_e32 vcc_lo, 0, v30
	s_and_b32 s1, s0, vcc_lo
	s_and_saveexec_b32 s0, s1
	s_cbranch_execz .LBB2413_107
; %bb.106:
	s_wait_dscnt 0x0
	v_bcnt_u32_b32 v29, v29, v28
	ds_store_b32 v31, v29 offset:64
.LBB2413_107:
	s_or_b32 exec_lo, exec_lo, s0
	v_xor_b32_e32 v29, -1, v7
	; wave barrier
	s_delay_alu instid0(VALU_DEP_1) | instskip(NEXT) | instid1(VALU_DEP_1)
	v_and_b32_e32 v7, 0xffff, v29
	v_lshrrev_b32_e32 v7, s20, v7
	s_delay_alu instid0(VALU_DEP_1) | instskip(SKIP_1) | instid1(VALU_DEP_2)
	v_bitop3_b32 v32, v7, 1, s8 bitop3:0x80
	v_and_b32_e32 v7, s8, v7
	v_add_co_u32 v32, s0, v32, -1
	s_delay_alu instid0(VALU_DEP_1) | instskip(NEXT) | instid1(VALU_DEP_3)
	v_cndmask_b32_e64 v33, 0, 1, s0
	v_lshlrev_b32_e32 v34, 30, v7
	s_delay_alu instid0(VALU_DEP_2) | instskip(NEXT) | instid1(VALU_DEP_2)
	v_cmp_ne_u32_e32 vcc_lo, 0, v33
	v_not_b32_e32 v33, v34
	s_delay_alu instid0(VALU_DEP_1) | instskip(SKIP_4) | instid1(VALU_DEP_4)
	v_dual_ashrrev_i32 v33, 31, v33 :: v_dual_bitop2_b32 v32, vcc_lo, v32 bitop3:0x14
	v_dual_lshlrev_b32 v35, 29, v7 :: v_dual_lshlrev_b32 v36, 28, v7
	v_dual_lshlrev_b32 v37, 27, v7 :: v_dual_lshlrev_b32 v38, 26, v7
	v_lshlrev_b32_e32 v39, 25, v7
	v_cmp_gt_i32_e64 s0, 0, v34
	v_cmp_gt_i32_e64 s1, 0, v35
	v_not_b32_e32 v34, v35
	v_not_b32_e32 v35, v36
	v_lshlrev_b32_e32 v40, 24, v7
	v_cmp_gt_i32_e64 s2, 0, v36
	v_cmp_gt_i32_e64 s3, 0, v37
	v_not_b32_e32 v36, v37
	v_not_b32_e32 v37, v38
	v_dual_ashrrev_i32 v34, 31, v34 :: v_dual_ashrrev_i32 v35, 31, v35
	s_delay_alu instid0(VALU_DEP_3)
	v_dual_ashrrev_i32 v36, 31, v36 :: v_dual_bitop2_b32 v33, s0, v33 bitop3:0x14
	v_cmp_gt_i32_e64 s4, 0, v38
	v_cmp_gt_i32_e64 s5, 0, v39
	v_not_b32_e32 v38, v39
	v_not_b32_e32 v39, v40
	v_dual_ashrrev_i32 v37, 31, v37 :: v_dual_bitop2_b32 v34, s1, v34 bitop3:0x14
	v_xor_b32_e32 v35, s2, v35
	v_bitop3_b32 v32, v32, v33, exec_lo bitop3:0x80
	v_cmp_gt_i32_e64 s6, 0, v40
	v_dual_ashrrev_i32 v33, 31, v38 :: v_dual_ashrrev_i32 v38, 31, v39
	v_xor_b32_e32 v36, s3, v36
	v_xor_b32_e32 v37, s4, v37
	v_bitop3_b32 v32, v32, v35, v34 bitop3:0x80
	v_mad_u32_u24 v35, 0x44, v7, v0
	v_xor_b32_e32 v7, s5, v33
	v_xor_b32_e32 v33, s6, v38
	s_delay_alu instid0(VALU_DEP_4) | instskip(SKIP_2) | instid1(VALU_DEP_1)
	v_bitop3_b32 v34, v32, v37, v36 bitop3:0x80
	ds_load_b32 v32, v35 offset:64
	; wave barrier
	v_bitop3_b32 v7, v34, v33, v7 bitop3:0x80
	v_mbcnt_lo_u32_b32 v34, v7, 0
	v_cmp_ne_u32_e64 s0, 0, v7
	s_delay_alu instid0(VALU_DEP_2) | instskip(SKIP_1) | instid1(SALU_CYCLE_1)
	v_cmp_eq_u32_e32 vcc_lo, 0, v34
	s_and_b32 s1, s0, vcc_lo
	s_and_saveexec_b32 s0, s1
	s_cbranch_execz .LBB2413_109
; %bb.108:
	s_wait_dscnt 0x0
	v_bcnt_u32_b32 v7, v7, v32
	ds_store_b32 v35, v7 offset:64
.LBB2413_109:
	s_or_b32 exec_lo, exec_lo, s0
	v_xor_b32_e32 v33, -1, v6
	; wave barrier
	s_delay_alu instid0(VALU_DEP_1) | instskip(NEXT) | instid1(VALU_DEP_1)
	v_and_b32_e32 v6, 0xffff, v33
	v_lshrrev_b32_e32 v6, s20, v6
	s_delay_alu instid0(VALU_DEP_1) | instskip(SKIP_1) | instid1(VALU_DEP_2)
	v_bitop3_b32 v7, v6, 1, s8 bitop3:0x80
	v_and_b32_e32 v6, s8, v6
	v_add_co_u32 v7, s0, v7, -1
	s_delay_alu instid0(VALU_DEP_1) | instskip(NEXT) | instid1(VALU_DEP_3)
	v_cndmask_b32_e64 v36, 0, 1, s0
	v_lshlrev_b32_e32 v37, 30, v6
	s_delay_alu instid0(VALU_DEP_2) | instskip(NEXT) | instid1(VALU_DEP_2)
	v_cmp_ne_u32_e32 vcc_lo, 0, v36
	v_not_b32_e32 v36, v37
	s_delay_alu instid0(VALU_DEP_1) | instskip(SKIP_4) | instid1(VALU_DEP_4)
	v_dual_ashrrev_i32 v36, 31, v36 :: v_dual_bitop2_b32 v7, vcc_lo, v7 bitop3:0x14
	v_dual_lshlrev_b32 v38, 29, v6 :: v_dual_lshlrev_b32 v39, 28, v6
	v_dual_lshlrev_b32 v40, 27, v6 :: v_dual_lshlrev_b32 v41, 26, v6
	v_lshlrev_b32_e32 v42, 25, v6
	v_cmp_gt_i32_e64 s0, 0, v37
	v_cmp_gt_i32_e64 s1, 0, v38
	v_not_b32_e32 v37, v38
	v_not_b32_e32 v38, v39
	v_lshlrev_b32_e32 v43, 24, v6
	v_cmp_gt_i32_e64 s2, 0, v39
	v_cmp_gt_i32_e64 s3, 0, v40
	v_not_b32_e32 v39, v40
	v_not_b32_e32 v40, v41
	v_dual_ashrrev_i32 v37, 31, v37 :: v_dual_ashrrev_i32 v38, 31, v38
	s_delay_alu instid0(VALU_DEP_3)
	v_dual_ashrrev_i32 v39, 31, v39 :: v_dual_bitop2_b32 v36, s0, v36 bitop3:0x14
	v_cmp_gt_i32_e64 s4, 0, v41
	v_cmp_gt_i32_e64 s5, 0, v42
	v_not_b32_e32 v41, v42
	v_not_b32_e32 v42, v43
	v_dual_ashrrev_i32 v40, 31, v40 :: v_dual_bitop2_b32 v37, s1, v37 bitop3:0x14
	v_xor_b32_e32 v38, s2, v38
	v_bitop3_b32 v7, v7, v36, exec_lo bitop3:0x80
	v_cmp_gt_i32_e64 s6, 0, v43
	v_dual_ashrrev_i32 v36, 31, v41 :: v_dual_ashrrev_i32 v41, 31, v42
	v_xor_b32_e32 v42, s3, v39
	v_xor_b32_e32 v40, s4, v40
	v_bitop3_b32 v7, v7, v38, v37 bitop3:0x80
	v_mad_u32_u24 v39, 0x44, v6, v0
	v_xor_b32_e32 v6, s5, v36
	v_xor_b32_e32 v36, s6, v41
	s_delay_alu instid0(VALU_DEP_4) | instskip(SKIP_2) | instid1(VALU_DEP_1)
	v_bitop3_b32 v7, v7, v40, v42 bitop3:0x80
	ds_load_b32 v37, v39 offset:64
	; wave barrier
	v_bitop3_b32 v6, v7, v36, v6 bitop3:0x80
	v_mbcnt_lo_u32_b32 v38, v6, 0
	v_cmp_ne_u32_e64 s0, 0, v6
	s_delay_alu instid0(VALU_DEP_2) | instskip(SKIP_1) | instid1(SALU_CYCLE_1)
	v_cmp_eq_u32_e32 vcc_lo, 0, v38
	s_and_b32 s1, s0, vcc_lo
	s_and_saveexec_b32 s0, s1
	s_cbranch_execz .LBB2413_111
; %bb.110:
	s_wait_dscnt 0x0
	v_bcnt_u32_b32 v6, v6, v37
	ds_store_b32 v39, v6 offset:64
.LBB2413_111:
	s_or_b32 exec_lo, exec_lo, s0
	v_xor_b32_e32 v36, -1, v5
	; wave barrier
	s_delay_alu instid0(VALU_DEP_1) | instskip(NEXT) | instid1(VALU_DEP_1)
	v_and_b32_e32 v5, 0xffff, v36
	v_lshrrev_b32_e32 v5, s20, v5
	s_delay_alu instid0(VALU_DEP_1) | instskip(SKIP_1) | instid1(VALU_DEP_2)
	v_bitop3_b32 v6, v5, 1, s8 bitop3:0x80
	v_and_b32_e32 v5, s8, v5
	v_add_co_u32 v6, s0, v6, -1
	s_delay_alu instid0(VALU_DEP_1) | instskip(NEXT) | instid1(VALU_DEP_3)
	v_cndmask_b32_e64 v7, 0, 1, s0
	v_lshlrev_b32_e32 v40, 30, v5
	s_delay_alu instid0(VALU_DEP_2) | instskip(NEXT) | instid1(VALU_DEP_2)
	v_cmp_ne_u32_e32 vcc_lo, 0, v7
	v_not_b32_e32 v7, v40
	s_delay_alu instid0(VALU_DEP_1) | instskip(SKIP_4) | instid1(VALU_DEP_4)
	v_dual_ashrrev_i32 v7, 31, v7 :: v_dual_bitop2_b32 v6, vcc_lo, v6 bitop3:0x14
	v_dual_lshlrev_b32 v41, 29, v5 :: v_dual_lshlrev_b32 v42, 28, v5
	v_dual_lshlrev_b32 v43, 27, v5 :: v_dual_lshlrev_b32 v44, 26, v5
	v_lshlrev_b32_e32 v45, 25, v5
	v_cmp_gt_i32_e64 s0, 0, v40
	v_cmp_gt_i32_e64 s1, 0, v41
	v_not_b32_e32 v40, v41
	v_not_b32_e32 v41, v42
	v_lshlrev_b32_e32 v46, 24, v5
	v_cmp_gt_i32_e64 s2, 0, v42
	v_cmp_gt_i32_e64 s3, 0, v43
	v_not_b32_e32 v42, v43
	v_not_b32_e32 v43, v44
	v_dual_ashrrev_i32 v40, 31, v40 :: v_dual_ashrrev_i32 v41, 31, v41
	s_delay_alu instid0(VALU_DEP_3)
	v_dual_ashrrev_i32 v42, 31, v42 :: v_dual_bitop2_b32 v7, s0, v7 bitop3:0x14
	v_cmp_gt_i32_e64 s4, 0, v44
	v_cmp_gt_i32_e64 s5, 0, v45
	v_not_b32_e32 v44, v45
	v_not_b32_e32 v45, v46
	v_dual_ashrrev_i32 v43, 31, v43 :: v_dual_bitop2_b32 v40, s1, v40 bitop3:0x14
	v_xor_b32_e32 v41, s2, v41
	v_bitop3_b32 v6, v6, v7, exec_lo bitop3:0x80
	v_cmp_gt_i32_e64 s6, 0, v46
	v_dual_ashrrev_i32 v7, 31, v44 :: v_dual_ashrrev_i32 v44, 31, v45
	v_xor_b32_e32 v42, s3, v42
	v_xor_b32_e32 v45, s4, v43
	v_bitop3_b32 v6, v6, v41, v40 bitop3:0x80
	v_mad_u32_u24 v43, 0x44, v5, v0
	v_xor_b32_e32 v5, s5, v7
	v_xor_b32_e32 v7, s6, v44
	s_delay_alu instid0(VALU_DEP_4) | instskip(SKIP_2) | instid1(VALU_DEP_1)
	v_bitop3_b32 v6, v6, v45, v42 bitop3:0x80
	ds_load_b32 v41, v43 offset:64
	; wave barrier
	v_bitop3_b32 v5, v6, v7, v5 bitop3:0x80
	v_mbcnt_lo_u32_b32 v42, v5, 0
	v_cmp_ne_u32_e64 s0, 0, v5
	s_delay_alu instid0(VALU_DEP_2) | instskip(SKIP_1) | instid1(SALU_CYCLE_1)
	v_cmp_eq_u32_e32 vcc_lo, 0, v42
	s_and_b32 s1, s0, vcc_lo
	s_and_saveexec_b32 s0, s1
	s_cbranch_execz .LBB2413_113
; %bb.112:
	s_wait_dscnt 0x0
	v_bcnt_u32_b32 v5, v5, v41
	ds_store_b32 v43, v5 offset:64
.LBB2413_113:
	s_or_b32 exec_lo, exec_lo, s0
	v_xor_b32_e32 v40, -1, v4
	; wave barrier
	s_delay_alu instid0(VALU_DEP_1) | instskip(NEXT) | instid1(VALU_DEP_1)
	v_and_b32_e32 v4, 0xffff, v40
	v_lshrrev_b32_e32 v4, s20, v4
	s_delay_alu instid0(VALU_DEP_1) | instskip(SKIP_1) | instid1(VALU_DEP_2)
	v_bitop3_b32 v5, v4, 1, s8 bitop3:0x80
	v_and_b32_e32 v4, s8, v4
	v_add_co_u32 v5, s0, v5, -1
	s_delay_alu instid0(VALU_DEP_1) | instskip(NEXT) | instid1(VALU_DEP_3)
	v_cndmask_b32_e64 v6, 0, 1, s0
	v_lshlrev_b32_e32 v7, 30, v4
	s_delay_alu instid0(VALU_DEP_2) | instskip(NEXT) | instid1(VALU_DEP_2)
	v_cmp_ne_u32_e32 vcc_lo, 0, v6
	v_not_b32_e32 v6, v7
	s_delay_alu instid0(VALU_DEP_1) | instskip(SKIP_4) | instid1(VALU_DEP_4)
	v_dual_ashrrev_i32 v6, 31, v6 :: v_dual_bitop2_b32 v5, vcc_lo, v5 bitop3:0x14
	v_dual_lshlrev_b32 v44, 29, v4 :: v_dual_lshlrev_b32 v45, 28, v4
	v_dual_lshlrev_b32 v46, 27, v4 :: v_dual_lshlrev_b32 v47, 26, v4
	v_lshlrev_b32_e32 v48, 25, v4
	v_cmp_gt_i32_e64 s0, 0, v7
	v_cmp_gt_i32_e64 s1, 0, v44
	v_not_b32_e32 v7, v44
	v_not_b32_e32 v44, v45
	v_lshlrev_b32_e32 v49, 24, v4
	v_cmp_gt_i32_e64 s2, 0, v45
	v_cmp_gt_i32_e64 s3, 0, v46
	v_not_b32_e32 v45, v46
	v_not_b32_e32 v46, v47
	v_dual_ashrrev_i32 v7, 31, v7 :: v_dual_ashrrev_i32 v44, 31, v44
	s_delay_alu instid0(VALU_DEP_3)
	v_dual_ashrrev_i32 v45, 31, v45 :: v_dual_bitop2_b32 v6, s0, v6 bitop3:0x14
	v_cmp_gt_i32_e64 s4, 0, v47
	v_cmp_gt_i32_e64 s5, 0, v48
	v_not_b32_e32 v47, v48
	v_not_b32_e32 v48, v49
	v_dual_ashrrev_i32 v46, 31, v46 :: v_dual_bitop2_b32 v7, s1, v7 bitop3:0x14
	v_xor_b32_e32 v44, s2, v44
	v_bitop3_b32 v5, v5, v6, exec_lo bitop3:0x80
	v_cmp_gt_i32_e64 s6, 0, v49
	v_dual_ashrrev_i32 v6, 31, v47 :: v_dual_ashrrev_i32 v48, 31, v48
	v_xor_b32_e32 v45, s3, v45
	v_xor_b32_e32 v46, s4, v46
	v_bitop3_b32 v5, v5, v44, v7 bitop3:0x80
	v_mad_u32_u24 v47, 0x44, v4, v0
	v_xor_b32_e32 v4, s5, v6
	v_xor_b32_e32 v6, s6, v48
	s_delay_alu instid0(VALU_DEP_4) | instskip(SKIP_2) | instid1(VALU_DEP_1)
	v_bitop3_b32 v5, v5, v46, v45 bitop3:0x80
	ds_load_b32 v45, v47 offset:64
	; wave barrier
	v_bitop3_b32 v4, v5, v6, v4 bitop3:0x80
	v_mbcnt_lo_u32_b32 v46, v4, 0
	v_cmp_ne_u32_e64 s0, 0, v4
	s_delay_alu instid0(VALU_DEP_2) | instskip(SKIP_1) | instid1(SALU_CYCLE_1)
	v_cmp_eq_u32_e32 vcc_lo, 0, v46
	s_and_b32 s1, s0, vcc_lo
	s_and_saveexec_b32 s0, s1
	s_cbranch_execz .LBB2413_115
; %bb.114:
	s_wait_dscnt 0x0
	v_bcnt_u32_b32 v4, v4, v45
	ds_store_b32 v47, v4 offset:64
.LBB2413_115:
	s_or_b32 exec_lo, exec_lo, s0
	v_xor_b32_e32 v44, -1, v3
	; wave barrier
	s_delay_alu instid0(VALU_DEP_1) | instskip(NEXT) | instid1(VALU_DEP_1)
	v_and_b32_e32 v3, 0xffff, v44
	v_lshrrev_b32_e32 v3, s20, v3
	s_delay_alu instid0(VALU_DEP_1) | instskip(SKIP_1) | instid1(VALU_DEP_2)
	v_bitop3_b32 v4, v3, 1, s8 bitop3:0x80
	v_and_b32_e32 v3, s8, v3
	v_add_co_u32 v4, s0, v4, -1
	s_delay_alu instid0(VALU_DEP_1) | instskip(NEXT) | instid1(VALU_DEP_3)
	v_cndmask_b32_e64 v5, 0, 1, s0
	v_lshlrev_b32_e32 v6, 30, v3
	s_delay_alu instid0(VALU_DEP_2) | instskip(NEXT) | instid1(VALU_DEP_2)
	v_cmp_ne_u32_e32 vcc_lo, 0, v5
	v_not_b32_e32 v5, v6
	s_delay_alu instid0(VALU_DEP_1) | instskip(SKIP_4) | instid1(VALU_DEP_4)
	v_dual_ashrrev_i32 v5, 31, v5 :: v_dual_bitop2_b32 v4, vcc_lo, v4 bitop3:0x14
	v_dual_lshlrev_b32 v7, 29, v3 :: v_dual_lshlrev_b32 v48, 28, v3
	v_dual_lshlrev_b32 v49, 27, v3 :: v_dual_lshlrev_b32 v50, 26, v3
	v_lshlrev_b32_e32 v51, 25, v3
	v_cmp_gt_i32_e64 s0, 0, v6
	v_cmp_gt_i32_e64 s1, 0, v7
	v_not_b32_e32 v6, v7
	v_not_b32_e32 v7, v48
	v_lshlrev_b32_e32 v52, 24, v3
	v_cmp_gt_i32_e64 s2, 0, v48
	v_cmp_gt_i32_e64 s3, 0, v49
	v_not_b32_e32 v48, v49
	v_not_b32_e32 v49, v50
	v_dual_ashrrev_i32 v6, 31, v6 :: v_dual_ashrrev_i32 v7, 31, v7
	s_delay_alu instid0(VALU_DEP_3)
	v_dual_ashrrev_i32 v48, 31, v48 :: v_dual_bitop2_b32 v5, s0, v5 bitop3:0x14
	v_cmp_gt_i32_e64 s4, 0, v50
	v_cmp_gt_i32_e64 s5, 0, v51
	v_not_b32_e32 v50, v51
	v_not_b32_e32 v51, v52
	v_dual_ashrrev_i32 v49, 31, v49 :: v_dual_bitop2_b32 v6, s1, v6 bitop3:0x14
	v_xor_b32_e32 v7, s2, v7
	v_bitop3_b32 v4, v4, v5, exec_lo bitop3:0x80
	v_cmp_gt_i32_e64 s6, 0, v52
	v_dual_ashrrev_i32 v5, 31, v50 :: v_dual_ashrrev_i32 v50, 31, v51
	v_xor_b32_e32 v48, s3, v48
	v_xor_b32_e32 v49, s4, v49
	v_bitop3_b32 v4, v4, v7, v6 bitop3:0x80
	v_mad_u32_u24 v52, 0x44, v3, v0
	v_xor_b32_e32 v3, s5, v5
	v_xor_b32_e32 v5, s6, v50
	s_delay_alu instid0(VALU_DEP_4) | instskip(SKIP_2) | instid1(VALU_DEP_1)
	v_bitop3_b32 v4, v4, v49, v48 bitop3:0x80
	ds_load_b32 v48, v52 offset:64
	; wave barrier
	v_bitop3_b32 v3, v4, v5, v3 bitop3:0x80
	v_mbcnt_lo_u32_b32 v50, v3, 0
	v_cmp_ne_u32_e64 s0, 0, v3
	s_delay_alu instid0(VALU_DEP_2) | instskip(SKIP_1) | instid1(SALU_CYCLE_1)
	v_cmp_eq_u32_e32 vcc_lo, 0, v50
	s_and_b32 s1, s0, vcc_lo
	s_and_saveexec_b32 s0, s1
	s_cbranch_execz .LBB2413_117
; %bb.116:
	s_wait_dscnt 0x0
	v_bcnt_u32_b32 v3, v3, v48
	ds_store_b32 v52, v3 offset:64
.LBB2413_117:
	s_or_b32 exec_lo, exec_lo, s0
	v_xor_b32_e32 v49, -1, v2
	; wave barrier
	s_delay_alu instid0(VALU_DEP_1) | instskip(NEXT) | instid1(VALU_DEP_1)
	v_and_b32_e32 v2, 0xffff, v49
	v_lshrrev_b32_e32 v2, s20, v2
	s_delay_alu instid0(VALU_DEP_1) | instskip(SKIP_1) | instid1(VALU_DEP_2)
	v_bitop3_b32 v3, v2, 1, s8 bitop3:0x80
	v_and_b32_e32 v2, s8, v2
	v_add_co_u32 v3, s0, v3, -1
	s_delay_alu instid0(VALU_DEP_1) | instskip(NEXT) | instid1(VALU_DEP_3)
	v_cndmask_b32_e64 v4, 0, 1, s0
	v_lshlrev_b32_e32 v5, 30, v2
	s_delay_alu instid0(VALU_DEP_2) | instskip(NEXT) | instid1(VALU_DEP_2)
	v_cmp_ne_u32_e32 vcc_lo, 0, v4
	v_not_b32_e32 v4, v5
	s_delay_alu instid0(VALU_DEP_1) | instskip(SKIP_4) | instid1(VALU_DEP_4)
	v_dual_ashrrev_i32 v4, 31, v4 :: v_dual_bitop2_b32 v3, vcc_lo, v3 bitop3:0x14
	v_dual_lshlrev_b32 v6, 29, v2 :: v_dual_lshlrev_b32 v7, 28, v2
	v_dual_lshlrev_b32 v51, 27, v2 :: v_dual_lshlrev_b32 v53, 26, v2
	v_lshlrev_b32_e32 v54, 25, v2
	v_cmp_gt_i32_e64 s0, 0, v5
	v_cmp_gt_i32_e64 s1, 0, v6
	v_not_b32_e32 v5, v6
	v_not_b32_e32 v6, v7
	v_lshlrev_b32_e32 v55, 24, v2
	v_cmp_gt_i32_e64 s2, 0, v7
	v_cmp_gt_i32_e64 s3, 0, v51
	v_not_b32_e32 v7, v51
	v_not_b32_e32 v51, v53
	v_dual_ashrrev_i32 v5, 31, v5 :: v_dual_ashrrev_i32 v6, 31, v6
	s_delay_alu instid0(VALU_DEP_3)
	v_dual_ashrrev_i32 v7, 31, v7 :: v_dual_bitop2_b32 v4, s0, v4 bitop3:0x14
	v_cmp_gt_i32_e64 s4, 0, v53
	v_cmp_gt_i32_e64 s5, 0, v54
	v_not_b32_e32 v53, v54
	v_not_b32_e32 v54, v55
	v_dual_ashrrev_i32 v51, 31, v51 :: v_dual_bitop2_b32 v5, s1, v5 bitop3:0x14
	v_xor_b32_e32 v6, s2, v6
	v_bitop3_b32 v3, v3, v4, exec_lo bitop3:0x80
	v_cmp_gt_i32_e64 s6, 0, v55
	v_dual_ashrrev_i32 v4, 31, v53 :: v_dual_ashrrev_i32 v53, 31, v54
	v_xor_b32_e32 v7, s3, v7
	v_xor_b32_e32 v51, s4, v51
	v_bitop3_b32 v3, v3, v6, v5 bitop3:0x80
	v_mad_u32_u24 v57, 0x44, v2, v0
	v_xor_b32_e32 v2, s5, v4
	v_xor_b32_e32 v4, s6, v53
	s_delay_alu instid0(VALU_DEP_4) | instskip(SKIP_2) | instid1(VALU_DEP_1)
	v_bitop3_b32 v3, v3, v51, v7 bitop3:0x80
	ds_load_b32 v51, v57 offset:64
	; wave barrier
	v_bitop3_b32 v2, v3, v4, v2 bitop3:0x80
	v_mbcnt_lo_u32_b32 v54, v2, 0
	v_cmp_ne_u32_e64 s0, 0, v2
	s_delay_alu instid0(VALU_DEP_2) | instskip(SKIP_1) | instid1(SALU_CYCLE_1)
	v_cmp_eq_u32_e32 vcc_lo, 0, v54
	s_and_b32 s1, s0, vcc_lo
	s_and_saveexec_b32 s0, s1
	s_cbranch_execz .LBB2413_119
; %bb.118:
	s_wait_dscnt 0x0
	v_bcnt_u32_b32 v2, v2, v51
	ds_store_b32 v57, v2 offset:64
.LBB2413_119:
	s_or_b32 exec_lo, exec_lo, s0
	v_xor_b32_e32 v53, -1, v1
	; wave barrier
	s_delay_alu instid0(VALU_DEP_1) | instskip(NEXT) | instid1(VALU_DEP_1)
	v_and_b32_e32 v1, 0xffff, v53
	v_lshrrev_b32_e32 v1, s20, v1
	s_delay_alu instid0(VALU_DEP_1) | instskip(SKIP_1) | instid1(VALU_DEP_2)
	v_bitop3_b32 v2, v1, 1, s8 bitop3:0x80
	v_and_b32_e32 v1, s8, v1
	v_add_co_u32 v2, s0, v2, -1
	s_delay_alu instid0(VALU_DEP_1) | instskip(NEXT) | instid1(VALU_DEP_3)
	v_cndmask_b32_e64 v3, 0, 1, s0
	v_lshlrev_b32_e32 v4, 30, v1
	s_delay_alu instid0(VALU_DEP_2) | instskip(NEXT) | instid1(VALU_DEP_2)
	v_cmp_ne_u32_e32 vcc_lo, 0, v3
	v_not_b32_e32 v3, v4
	s_delay_alu instid0(VALU_DEP_1) | instskip(SKIP_4) | instid1(VALU_DEP_4)
	v_dual_ashrrev_i32 v3, 31, v3 :: v_dual_bitop2_b32 v2, vcc_lo, v2 bitop3:0x14
	v_dual_lshlrev_b32 v5, 29, v1 :: v_dual_lshlrev_b32 v6, 28, v1
	v_dual_lshlrev_b32 v7, 27, v1 :: v_dual_lshlrev_b32 v55, 26, v1
	v_lshlrev_b32_e32 v56, 25, v1
	v_cmp_gt_i32_e64 s0, 0, v4
	v_cmp_gt_i32_e64 s1, 0, v5
	v_not_b32_e32 v4, v5
	v_not_b32_e32 v5, v6
	v_lshlrev_b32_e32 v58, 24, v1
	v_cmp_gt_i32_e64 s2, 0, v6
	v_cmp_gt_i32_e64 s3, 0, v7
	v_not_b32_e32 v6, v7
	v_not_b32_e32 v7, v55
	v_dual_ashrrev_i32 v4, 31, v4 :: v_dual_ashrrev_i32 v5, 31, v5
	s_delay_alu instid0(VALU_DEP_3)
	v_dual_ashrrev_i32 v6, 31, v6 :: v_dual_bitop2_b32 v3, s0, v3 bitop3:0x14
	v_cmp_gt_i32_e64 s4, 0, v55
	v_cmp_gt_i32_e64 s5, 0, v56
	v_not_b32_e32 v55, v56
	v_not_b32_e32 v56, v58
	v_dual_ashrrev_i32 v7, 31, v7 :: v_dual_bitop2_b32 v4, s1, v4 bitop3:0x14
	v_xor_b32_e32 v5, s2, v5
	v_bitop3_b32 v2, v2, v3, exec_lo bitop3:0x80
	v_cmp_gt_i32_e64 s6, 0, v58
	v_dual_ashrrev_i32 v3, 31, v55 :: v_dual_ashrrev_i32 v55, 31, v56
	v_xor_b32_e32 v6, s3, v6
	v_xor_b32_e32 v7, s4, v7
	v_bitop3_b32 v2, v2, v5, v4 bitop3:0x80
	v_mad_u32_u24 v58, 0x44, v1, v0
	v_xor_b32_e32 v0, s5, v3
	v_xor_b32_e32 v1, s6, v55
	s_delay_alu instid0(VALU_DEP_4) | instskip(SKIP_2) | instid1(VALU_DEP_1)
	v_bitop3_b32 v2, v2, v7, v6 bitop3:0x80
	ds_load_b32 v55, v58 offset:64
	; wave barrier
	v_bitop3_b32 v0, v2, v1, v0 bitop3:0x80
	v_mbcnt_lo_u32_b32 v56, v0, 0
	v_cmp_ne_u32_e64 s0, 0, v0
	s_delay_alu instid0(VALU_DEP_2) | instskip(SKIP_1) | instid1(SALU_CYCLE_1)
	v_cmp_eq_u32_e32 vcc_lo, 0, v56
	s_and_b32 s1, s0, vcc_lo
	s_and_saveexec_b32 s0, s1
	s_cbranch_execz .LBB2413_121
; %bb.120:
	s_wait_dscnt 0x0
	v_bcnt_u32_b32 v0, v0, v55
	ds_store_b32 v58, v0 offset:64
.LBB2413_121:
	s_or_b32 exec_lo, exec_lo, s0
	; wave barrier
	s_wait_dscnt 0x0
	s_barrier_signal -1
	s_barrier_wait -1
	ds_load_2addr_b32 v[6:7], v11 offset0:16 offset1:17
	ds_load_2addr_b32 v[4:5], v11 offset0:18 offset1:19
	;; [unrolled: 1-line block ×4, first 2 shown]
	ds_load_b32 v59, v11 offset:96
	v_min_u32_e32 v15, 0x1e0, v15
	s_mov_b32 s4, exec_lo
	s_wait_dscnt 0x3
	v_add3_u32 v60, v7, v6, v4
	s_wait_dscnt 0x2
	s_delay_alu instid0(VALU_DEP_1) | instskip(SKIP_1) | instid1(VALU_DEP_1)
	v_add3_u32 v60, v60, v5, v2
	s_wait_dscnt 0x1
	v_add3_u32 v60, v60, v3, v0
	s_wait_dscnt 0x0
	s_delay_alu instid0(VALU_DEP_1) | instskip(SKIP_1) | instid1(VALU_DEP_2)
	v_add3_u32 v59, v60, v1, v59
	v_and_b32_e32 v60, 15, v14
	v_mov_b32_dpp v61, v59 row_shr:1 row_mask:0xf bank_mask:0xf
	s_delay_alu instid0(VALU_DEP_2) | instskip(NEXT) | instid1(VALU_DEP_2)
	v_cmp_eq_u32_e32 vcc_lo, 0, v60
	v_cndmask_b32_e64 v61, v61, 0, vcc_lo
	s_delay_alu instid0(VALU_DEP_1) | instskip(SKIP_3) | instid1(VALU_DEP_4)
	v_add_nc_u32_e32 v59, v61, v59
	v_cmp_lt_u32_e64 s0, 1, v60
	v_cmp_lt_u32_e64 s1, 3, v60
	;; [unrolled: 1-line block ×3, first 2 shown]
	v_mov_b32_dpp v61, v59 row_shr:2 row_mask:0xf bank_mask:0xf
	s_delay_alu instid0(VALU_DEP_1) | instskip(NEXT) | instid1(VALU_DEP_1)
	v_cndmask_b32_e64 v61, 0, v61, s0
	v_add_nc_u32_e32 v59, v59, v61
	s_delay_alu instid0(VALU_DEP_1) | instskip(NEXT) | instid1(VALU_DEP_1)
	v_mov_b32_dpp v61, v59 row_shr:4 row_mask:0xf bank_mask:0xf
	v_cndmask_b32_e64 v61, 0, v61, s1
	s_delay_alu instid0(VALU_DEP_1) | instskip(NEXT) | instid1(VALU_DEP_1)
	v_add_nc_u32_e32 v59, v59, v61
	v_mov_b32_dpp v61, v59 row_shr:8 row_mask:0xf bank_mask:0xf
	s_delay_alu instid0(VALU_DEP_1) | instskip(SKIP_1) | instid1(VALU_DEP_2)
	v_cndmask_b32_e64 v60, 0, v61, s2
	v_bfe_i32 v61, v14, 4, 1
	v_add_nc_u32_e32 v60, v59, v60
	ds_swizzle_b32 v59, v60 offset:swizzle(BROADCAST,32,15)
	s_wait_dscnt 0x0
	v_dual_lshrrev_b32 v59, 5, v12 :: v_dual_bitop2_b32 v61, v61, v59 bitop3:0x40
	s_delay_alu instid0(VALU_DEP_1) | instskip(NEXT) | instid1(VALU_DEP_1)
	v_dual_add_nc_u32 v15, v60, v61 :: v_dual_bitop2_b32 v62, 31, v15 bitop3:0x54
	v_cmpx_eq_u32_e64 v12, v62
; %bb.122:
	s_delay_alu instid0(VALU_DEP_3)
	v_lshlrev_b32_e32 v60, 2, v59
	ds_store_b32 v60, v15
; %bb.123:
	s_or_b32 exec_lo, exec_lo, s4
	s_delay_alu instid0(SALU_CYCLE_1)
	s_mov_b32 s4, exec_lo
	s_wait_dscnt 0x0
	s_barrier_signal -1
	s_barrier_wait -1
	v_cmpx_gt_u32_e32 16, v12
	s_cbranch_execz .LBB2413_125
; %bb.124:
	v_lshlrev_b32_e32 v60, 2, v12
	ds_load_b32 v61, v60
	s_wait_dscnt 0x0
	v_mov_b32_dpp v62, v61 row_shr:1 row_mask:0xf bank_mask:0xf
	s_delay_alu instid0(VALU_DEP_1) | instskip(NEXT) | instid1(VALU_DEP_1)
	v_cndmask_b32_e64 v62, v62, 0, vcc_lo
	v_add_nc_u32_e32 v61, v62, v61
	s_delay_alu instid0(VALU_DEP_1) | instskip(NEXT) | instid1(VALU_DEP_1)
	v_mov_b32_dpp v62, v61 row_shr:2 row_mask:0xf bank_mask:0xf
	v_cndmask_b32_e64 v62, 0, v62, s0
	s_delay_alu instid0(VALU_DEP_1) | instskip(NEXT) | instid1(VALU_DEP_1)
	v_add_nc_u32_e32 v61, v61, v62
	v_mov_b32_dpp v62, v61 row_shr:4 row_mask:0xf bank_mask:0xf
	s_delay_alu instid0(VALU_DEP_1) | instskip(NEXT) | instid1(VALU_DEP_1)
	v_cndmask_b32_e64 v62, 0, v62, s1
	v_add_nc_u32_e32 v61, v61, v62
	s_delay_alu instid0(VALU_DEP_1) | instskip(NEXT) | instid1(VALU_DEP_1)
	v_mov_b32_dpp v62, v61 row_shr:8 row_mask:0xf bank_mask:0xf
	v_cndmask_b32_e64 v62, 0, v62, s2
	s_delay_alu instid0(VALU_DEP_1)
	v_add_nc_u32_e32 v61, v61, v62
	ds_store_b32 v60, v61
.LBB2413_125:
	s_or_b32 exec_lo, exec_lo, s4
	v_mov_b32_e32 v60, 0
	s_mov_b32 s0, exec_lo
	s_wait_dscnt 0x0
	s_barrier_signal -1
	s_barrier_wait -1
	v_cmpx_lt_u32_e32 31, v12
; %bb.126:
	v_lshl_add_u32 v59, v59, 2, -4
	ds_load_b32 v60, v59
; %bb.127:
	s_or_b32 exec_lo, exec_lo, s0
	v_sub_co_u32 v59, vcc_lo, v14, 1
	s_wait_dscnt 0x0
	v_add_nc_u32_e32 v15, v60, v15
	s_delay_alu instid0(VALU_DEP_2) | instskip(NEXT) | instid1(VALU_DEP_1)
	v_cmp_gt_i32_e64 s0, 0, v59
	v_cndmask_b32_e64 v14, v59, v14, s0
	v_cmp_gt_u32_e64 s0, 0x100, v12
	s_delay_alu instid0(VALU_DEP_2) | instskip(SKIP_4) | instid1(VALU_DEP_2)
	v_lshlrev_b32_e32 v14, 2, v14
	ds_bpermute_b32 v14, v14, v15
	s_wait_dscnt 0x0
	v_cndmask_b32_e32 v14, v14, v60, vcc_lo
	v_cmp_ne_u32_e32 vcc_lo, 0, v12
	v_cndmask_b32_e32 v14, 0, v14, vcc_lo
	v_cmp_lt_u32_e32 vcc_lo, 0xff, v12
	s_delay_alu instid0(VALU_DEP_2) | instskip(NEXT) | instid1(VALU_DEP_1)
	v_add_nc_u32_e32 v6, v14, v6
	v_add_nc_u32_e32 v7, v6, v7
	s_delay_alu instid0(VALU_DEP_1) | instskip(NEXT) | instid1(VALU_DEP_1)
	v_add_nc_u32_e32 v4, v7, v4
	v_add_nc_u32_e32 v5, v4, v5
	s_delay_alu instid0(VALU_DEP_1) | instskip(NEXT) | instid1(VALU_DEP_1)
	;; [unrolled: 3-line block ×3, first 2 shown]
	v_add_nc_u32_e32 v0, v3, v0
	v_add_nc_u32_e32 v1, v0, v1
	ds_store_2addr_b32 v11, v14, v6 offset0:16 offset1:17
	ds_store_2addr_b32 v11, v7, v4 offset0:18 offset1:19
	;; [unrolled: 1-line block ×4, first 2 shown]
	ds_store_b32 v11, v1 offset:96
	s_wait_dscnt 0x0
	s_barrier_signal -1
	s_barrier_wait -1
	ds_load_b32 v59, v13 offset:64
	ds_load_b32 v60, v19 offset:64
	;; [unrolled: 1-line block ×12, first 2 shown]
	v_mov_b64_e32 v[0:1], 0
                                        ; implicit-def: $vgpr2
	s_and_saveexec_b32 s2, s0
	s_cbranch_execz .LBB2413_131
; %bb.128:
	v_mul_u32_u24_e32 v0, 0x44, v12
	v_dual_mov_b32 v1, 0x1800 :: v_dual_add_nc_u32 v2, 1, v12
	s_mov_b32 s3, exec_lo
	ds_load_b32 v0, v0 offset:64
	v_cmpx_ne_u32_e32 0x100, v2
; %bb.129:
	v_mul_u32_u24_e32 v1, 0x44, v2
	ds_load_b32 v1, v1 offset:64
; %bb.130:
	s_or_b32 exec_lo, exec_lo, s3
	s_wait_dscnt 0x0
	v_dual_mov_b32 v1, 0 :: v_dual_sub_nc_u32 v2, v1, v0
.LBB2413_131:
	s_or_b32 exec_lo, exec_lo, s2
	s_wait_dscnt 0xa
	v_dual_lshlrev_b32 v9, 1, v9 :: v_dual_lshlrev_b32 v23, 1, v60
	v_dual_lshlrev_b32 v18, 1, v18 :: v_dual_lshlrev_b32 v17, 1, v17
	v_lshlrev_b32_e32 v21, 1, v21
	s_delay_alu instid0(VALU_DEP_3)
	v_lshl_add_u32 v9, v59, 1, v9
	s_wait_dscnt 0x0
	s_barrier_signal -1
	v_add3_u32 v17, v23, v18, v17
	v_dual_lshlrev_b32 v18, 1, v19 :: v_dual_lshlrev_b32 v19, 1, v22
	s_barrier_wait -1
	ds_store_b16 v9, v8 offset:2048
	ds_store_b16 v17, v10 offset:2048
	v_lshlrev_b32_e32 v9, 1, v15
	v_add3_u32 v8, v18, v19, v21
	v_dual_lshlrev_b32 v10, 1, v26 :: v_dual_lshlrev_b32 v15, 1, v25
	v_dual_lshlrev_b32 v14, 1, v14 :: v_dual_lshlrev_b32 v18, 1, v28
	;; [unrolled: 1-line block ×6, first 2 shown]
	ds_store_b16 v8, v16 offset:2048
	v_add3_u32 v8, v9, v10, v15
	v_add3_u32 v9, v14, v17, v18
	;; [unrolled: 1-line block ×3, first 2 shown]
	v_dual_lshlrev_b32 v13, 1, v42 :: v_dual_lshlrev_b32 v14, 1, v41
	v_add3_u32 v11, v11, v22, v23
	ds_store_b16 v8, v20 offset:2048
	ds_store_b16 v9, v24 offset:2048
	;; [unrolled: 1-line block ×4, first 2 shown]
	v_dual_lshlrev_b32 v6, 1, v6 :: v_dual_lshlrev_b32 v9, 1, v45
	v_add3_u32 v7, v7, v13, v14
	v_dual_lshlrev_b32 v8, 1, v46 :: v_dual_lshlrev_b32 v5, 1, v5
	v_dual_lshlrev_b32 v10, 1, v50 :: v_dual_lshlrev_b32 v11, 1, v48
	;; [unrolled: 1-line block ×3, first 2 shown]
	v_lshlrev_b32_e32 v3, 1, v3
	v_dual_lshlrev_b32 v16, 1, v55 :: v_dual_lshlrev_b32 v4, 1, v4
	v_lshlrev_b32_e32 v13, 1, v54
	ds_store_b16 v7, v36 offset:2048
	v_add3_u32 v6, v6, v8, v9
	v_add3_u32 v7, v5, v10, v11
	v_mov_b32_e32 v5, 0
	v_add3_u32 v8, v3, v15, v16
	v_lshlrev_b32_e32 v3, 3, v12
	v_add3_u32 v4, v4, v13, v14
	ds_store_b16 v6, v40 offset:2048
	ds_store_b16 v7, v44 offset:2048
	;; [unrolled: 1-line block ×4, first 2 shown]
	s_and_saveexec_b32 s1, s0
	s_cbranch_execz .LBB2413_141
; %bb.132:
	v_lshl_add_u32 v4, s9, 8, v12
	v_dual_mov_b32 v8, 0 :: v_dual_bitop2_b32 v9, 2.0, v2 bitop3:0x54
	s_mov_b32 s2, 0
	s_mov_b32 s3, s9
	s_delay_alu instid0(VALU_DEP_2)
	v_lshl_add_u64 v[6:7], v[4:5], 2, s[10:11]
	global_store_b32 v4, v9, s[10:11] scale_offset scope:SCOPE_DEV
                                        ; implicit-def: $sgpr0
	s_branch .LBB2413_135
.LBB2413_133:                           ;   in Loop: Header=BB2413_135 Depth=1
	s_or_b32 exec_lo, exec_lo, s5
.LBB2413_134:                           ;   in Loop: Header=BB2413_135 Depth=1
	s_delay_alu instid0(SALU_CYCLE_1) | instskip(SKIP_2) | instid1(VALU_DEP_2)
	s_or_b32 exec_lo, exec_lo, s4
	v_and_b32_e32 v4, 0x3fffffff, v9
	v_cmp_gt_i32_e64 s0, -2.0, v9
	v_add_nc_u32_e32 v8, v4, v8
	s_and_b32 s4, exec_lo, s0
	s_delay_alu instid0(SALU_CYCLE_1) | instskip(NEXT) | instid1(SALU_CYCLE_1)
	s_or_b32 s2, s4, s2
	s_and_not1_b32 exec_lo, exec_lo, s2
	s_cbranch_execz .LBB2413_140
.LBB2413_135:                           ; =>This Loop Header: Depth=1
                                        ;     Child Loop BB2413_138 Depth 2
	s_or_b32 s0, s0, exec_lo
	s_cmp_eq_u32 s3, 0
	s_cbranch_scc1 .LBB2413_139
; %bb.136:                              ;   in Loop: Header=BB2413_135 Depth=1
	s_add_co_i32 s3, s3, -1
	s_mov_b32 s4, exec_lo
	s_wait_xcnt 0x0
	v_lshl_or_b32 v4, s3, 8, v12
	global_load_b32 v9, v4, s[10:11] scale_offset scope:SCOPE_DEV
	s_wait_loadcnt 0x0
	v_cmpx_gt_u32_e32 2.0, v9
	s_cbranch_execz .LBB2413_134
; %bb.137:                              ;   in Loop: Header=BB2413_135 Depth=1
	v_lshl_add_u64 v[10:11], v[4:5], 2, s[10:11]
	s_mov_b32 s5, 0
.LBB2413_138:                           ;   Parent Loop BB2413_135 Depth=1
                                        ; =>  This Inner Loop Header: Depth=2
	global_load_b32 v9, v[10:11], off scope:SCOPE_DEV
	s_wait_loadcnt 0x0
	v_cmp_lt_u32_e64 s0, 0x3fffffff, v9
	s_or_b32 s5, s0, s5
	s_wait_xcnt 0x0
	s_and_not1_b32 exec_lo, exec_lo, s5
	s_cbranch_execnz .LBB2413_138
	s_branch .LBB2413_133
.LBB2413_139:                           ;   in Loop: Header=BB2413_135 Depth=1
                                        ; implicit-def: $sgpr3
	s_and_b32 s4, exec_lo, s0
	s_delay_alu instid0(SALU_CYCLE_1)
	s_or_b32 s2, s4, s2
	s_wait_xcnt 0x0
	s_and_not1_b32 exec_lo, exec_lo, s2
	s_cbranch_execnz .LBB2413_135
.LBB2413_140:
	s_or_b32 exec_lo, exec_lo, s2
	v_dual_mov_b32 v9, 0 :: v_dual_add_nc_u32 v4, v8, v2
	s_delay_alu instid0(VALU_DEP_1) | instskip(SKIP_4) | instid1(VALU_DEP_1)
	v_or_b32_e32 v4, 0x80000000, v4
	global_store_b32 v[6:7], v4, off scope:SCOPE_DEV
	global_load_b64 v[4:5], v12, s[12:13] scale_offset
	v_sub_nc_u64_e32 v[6:7], v[8:9], v[0:1]
	s_wait_loadcnt 0x0
	v_add_nc_u64_e32 v[4:5], v[6:7], v[4:5]
	ds_store_b64 v3, v[4:5]
.LBB2413_141:
	s_wait_xcnt 0x0
	s_or_b32 exec_lo, exec_lo, s1
	v_mad_i32_i24 v13, v12, -6, v3
	s_wait_storecnt_dscnt 0x0
	s_barrier_signal -1
	s_barrier_wait -1
	ds_load_u16 v6, v13 offset:2048
	ds_load_u16 v7, v13 offset:3072
	;; [unrolled: 1-line block ×8, first 2 shown]
	v_dual_mov_b32 v5, 0 :: v_dual_lshlrev_b32 v4, 1, v12
	s_add_co_i32 s7, s7, -1
	s_delay_alu instid0(SALU_CYCLE_1) | instskip(SKIP_2) | instid1(SALU_CYCLE_1)
	s_cmp_eq_u32 s9, s7
	s_cselect_b32 s0, -1, 0
	s_xor_b32 s1, vcc_lo, -1
	s_and_b32 s0, s1, s0
	s_wait_dscnt 0x7
	v_and_b32_e32 v10, 0xffff, v6
	v_xor_b32_e32 v20, -1, v6
	s_wait_dscnt 0x6
	v_and_b32_e32 v6, 0xffff, v7
	v_xor_b32_e32 v21, -1, v7
	s_wait_dscnt 0x5
	v_and_b32_e32 v7, 0xffff, v8
	v_xor_b32_e32 v23, -1, v8
	s_wait_dscnt 0x4
	v_and_b32_e32 v8, 0xffff, v9
	v_xor_b32_e32 v28, -1, v9
	s_wait_dscnt 0x3
	v_and_b32_e32 v9, 0xffff, v22
	v_lshrrev_b32_e32 v10, s20, v10
	v_dual_lshrrev_b32 v6, s20, v6 :: v_dual_lshrrev_b32 v7, s20, v7
	s_wait_dscnt 0x2
	v_and_b32_e32 v11, 0xffff, v24
	v_dual_lshrrev_b32 v8, s20, v8 :: v_dual_lshrrev_b32 v16, s20, v9
	v_and_b32_e32 v9, s8, v10
	s_delay_alu instid0(VALU_DEP_3)
	v_dual_lshrrev_b32 v17, s20, v11 :: v_dual_bitop2_b32 v6, s8, v6 bitop3:0x40
	v_and_b32_e32 v7, s8, v7
	s_wait_dscnt 0x1
	v_and_b32_e32 v14, 0xffff, v26
	s_wait_dscnt 0x0
	v_and_b32_e32 v15, 0xffff, v27
	v_dual_lshlrev_b32 v8, 3, v9 :: v_dual_bitop2_b32 v18, s8, v8 bitop3:0x40
	v_dual_lshlrev_b32 v9, 3, v6 :: v_dual_lshlrev_b32 v10, 3, v7
	v_lshrrev_b32_e32 v14, s20, v14
	ds_load_u16 v29, v13 offset:10240
	ds_load_u16 v30, v13 offset:11264
	;; [unrolled: 1-line block ×3, first 2 shown]
	ds_load_b64 v[6:7], v8
	ds_load_b64 v[8:9], v9
	ds_load_b64 v[10:11], v10
	v_dual_lshrrev_b32 v15, s20, v15 :: v_dual_bitop2_b32 v16, s8, v16 bitop3:0x40
	v_dual_lshlrev_b32 v18, 3, v18 :: v_dual_bitop2_b32 v17, s8, v17 bitop3:0x40
	v_and_b32_e32 v19, s8, v14
	s_delay_alu instid0(VALU_DEP_3)
	v_dual_lshlrev_b32 v16, 3, v16 :: v_dual_bitop2_b32 v25, s8, v15 bitop3:0x40
	ds_load_b64 v[14:15], v18
	v_dual_lshlrev_b32 v18, 3, v17 :: v_dual_lshlrev_b32 v32, 3, v19
	v_lshlrev_b32_e32 v25, 3, v25
	ds_load_u16 v13, v13 offset:13312
	ds_load_b64 v[16:17], v16
	ds_load_b64 v[18:19], v18
	s_wait_dscnt 0x9
	v_and_b32_e32 v33, 0xffff, v29
	s_wait_dscnt 0x8
	v_and_b32_e32 v34, 0xffff, v30
	;; [unrolled: 2-line block ×3, first 2 shown]
	s_wait_dscnt 0x6
	v_lshl_add_u64 v[6:7], v[6:7], 1, s[18:19]
	s_wait_dscnt 0x5
	v_lshl_add_u64 v[8:9], v[8:9], 1, s[18:19]
	;; [unrolled: 2-line block ×3, first 2 shown]
	v_dual_lshrrev_b32 v33, s20, v33 :: v_dual_lshrrev_b32 v34, s20, v34
	v_add_nc_u64_e32 v[6:7], v[6:7], v[4:5]
	v_add_nc_u64_e32 v[8:9], v[8:9], v[4:5]
	s_delay_alu instid0(VALU_DEP_4) | instskip(NEXT) | instid1(VALU_DEP_4)
	v_add_nc_u64_e32 v[10:11], v[10:11], v[4:5]
	v_and_b32_e32 v33, s8, v33
	s_clause 0x2
	global_store_b16 v[6:7], v20, off
	global_store_b16 v[8:9], v21, off offset:1024
	global_store_b16 v[10:11], v23, off offset:2048
	s_wait_dscnt 0x2
	s_wait_xcnt 0x0
	v_and_b32_e32 v10, 0xffff, v13
	v_dual_lshrrev_b32 v21, s20, v35 :: v_dual_bitop2_b32 v34, s8, v34 bitop3:0x40
	v_lshlrev_b32_e32 v20, 3, v33
	ds_load_b64 v[6:7], v32
	ds_load_b64 v[8:9], v25
	v_lshrrev_b32_e32 v25, s20, v10
	s_wait_dscnt 0x3
	v_lshl_add_u64 v[10:11], v[16:17], 1, s[18:19]
	v_dual_lshlrev_b32 v23, 3, v34 :: v_dual_bitop2_b32 v32, s8, v21 bitop3:0x40
	ds_load_b64 v[16:17], v20
	v_xor_b32_e32 v33, -1, v22
	v_xor_b32_e32 v34, -1, v24
	ds_load_b64 v[20:21], v23
	v_dual_lshlrev_b32 v25, 3, v32 :: v_dual_bitop2_b32 v23, s8, v25 bitop3:0x40
	v_lshl_add_u64 v[14:15], v[14:15], 1, s[18:19]
	s_wait_dscnt 0x4
	v_lshl_add_u64 v[18:19], v[18:19], 1, s[18:19]
	v_add_nc_u64_e32 v[10:11], v[10:11], v[4:5]
	v_lshlrev_b32_e32 v32, 3, v23
	ds_load_b64 v[22:23], v25
	v_add_nc_u64_e32 v[14:15], v[14:15], v[4:5]
	v_add_nc_u64_e32 v[18:19], v[18:19], v[4:5]
	ds_load_b64 v[24:25], v32
	s_wait_dscnt 0x5
	v_lshl_add_u64 v[6:7], v[6:7], 1, s[18:19]
	s_wait_dscnt 0x4
	v_lshl_add_u64 v[8:9], v[8:9], 1, s[18:19]
	s_clause 0x2
	global_store_b16 v[14:15], v28, off offset:3072
	global_store_b16 v[10:11], v33, off offset:4096
	;; [unrolled: 1-line block ×3, first 2 shown]
	v_add_nc_u64_e32 v[6:7], v[6:7], v[4:5]
	v_add_nc_u64_e32 v[8:9], v[8:9], v[4:5]
	s_wait_xcnt 0x0
	v_xor_b32_e32 v18, -1, v26
	s_wait_dscnt 0x3
	v_lshl_add_u64 v[10:11], v[16:17], 1, s[18:19]
	v_xor_b32_e32 v16, -1, v27
	s_wait_dscnt 0x2
	v_lshl_add_u64 v[14:15], v[20:21], 1, s[18:19]
	v_xor_b32_e32 v17, -1, v29
	global_store_b16 v[6:7], v18, off offset:6144
	v_add_nc_u64_e32 v[10:11], v[10:11], v[4:5]
	global_store_b16 v[8:9], v16, off offset:7168
	s_wait_dscnt 0x1
	s_wait_xcnt 0x1
	v_lshl_add_u64 v[6:7], v[22:23], 1, s[18:19]
	v_add_nc_u64_e32 v[14:15], v[14:15], v[4:5]
	v_xor_b32_e32 v18, -1, v30
	s_wait_dscnt 0x0
	s_wait_xcnt 0x0
	v_lshl_add_u64 v[8:9], v[24:25], 1, s[18:19]
	v_add_nc_u64_e32 v[6:7], v[6:7], v[4:5]
	global_store_b16 v[10:11], v17, off offset:8192
	s_wait_xcnt 0x0
	v_xor_b32_e32 v10, -1, v31
	global_store_b16 v[14:15], v18, off offset:9216
	v_add_nc_u64_e32 v[8:9], v[8:9], v[4:5]
	v_xor_b32_e32 v4, -1, v13
	s_clause 0x1
	global_store_b16 v[6:7], v10, off offset:10240
	global_store_b16 v[8:9], v4, off offset:11264
	s_wait_xcnt 0x0
	s_and_saveexec_b32 s1, s0
	s_cbranch_execz .LBB2413_143
; %bb.142:
	ds_load_b64 v[6:7], v3
	v_mov_b32_e32 v3, v5
	s_delay_alu instid0(VALU_DEP_1) | instskip(SKIP_1) | instid1(VALU_DEP_1)
	v_add_nc_u64_e32 v[0:1], v[0:1], v[2:3]
	s_wait_dscnt 0x0
	v_add_nc_u64_e32 v[0:1], v[0:1], v[6:7]
	global_store_b64 v12, v[0:1], s[14:15] scale_offset
.LBB2413_143:
	s_sendmsg sendmsg(MSG_DEALLOC_VGPRS)
	s_endpgm
	.section	.rodata,"a",@progbits
	.p2align	6, 0x0
	.amdhsa_kernel _ZN7rocprim17ROCPRIM_400000_NS6detail17trampoline_kernelINS0_14default_configENS1_35radix_sort_onesweep_config_selectorItNS0_10empty_typeEEEZZNS1_29radix_sort_onesweep_iterationIS3_Lb1EPKtPtPS5_SB_mNS0_19identity_decomposerENS1_16block_id_wrapperIjLb0EEEEE10hipError_tT1_PNSt15iterator_traitsISG_E10value_typeET2_T3_PNSH_ISM_E10value_typeET4_T5_PSR_SS_PNS1_23onesweep_lookback_stateEbbT6_jjT7_P12ihipStream_tbENKUlT_T0_SG_SL_E_clISA_SA_SB_SB_EEDaSZ_S10_SG_SL_EUlSZ_E_NS1_11comp_targetILNS1_3genE0ELNS1_11target_archE4294967295ELNS1_3gpuE0ELNS1_3repE0EEENS1_47radix_sort_onesweep_sort_config_static_selectorELNS0_4arch9wavefront6targetE0EEEvSG_
		.amdhsa_group_segment_fixed_size 18504
		.amdhsa_private_segment_fixed_size 0
		.amdhsa_kernarg_size 344
		.amdhsa_user_sgpr_count 2
		.amdhsa_user_sgpr_dispatch_ptr 0
		.amdhsa_user_sgpr_queue_ptr 0
		.amdhsa_user_sgpr_kernarg_segment_ptr 1
		.amdhsa_user_sgpr_dispatch_id 0
		.amdhsa_user_sgpr_kernarg_preload_length 0
		.amdhsa_user_sgpr_kernarg_preload_offset 0
		.amdhsa_user_sgpr_private_segment_size 0
		.amdhsa_wavefront_size32 1
		.amdhsa_uses_dynamic_stack 0
		.amdhsa_enable_private_segment 0
		.amdhsa_system_sgpr_workgroup_id_x 1
		.amdhsa_system_sgpr_workgroup_id_y 0
		.amdhsa_system_sgpr_workgroup_id_z 0
		.amdhsa_system_sgpr_workgroup_info 0
		.amdhsa_system_vgpr_workitem_id 2
		.amdhsa_next_free_vgpr 65
		.amdhsa_next_free_sgpr 29
		.amdhsa_named_barrier_count 0
		.amdhsa_reserve_vcc 1
		.amdhsa_float_round_mode_32 0
		.amdhsa_float_round_mode_16_64 0
		.amdhsa_float_denorm_mode_32 3
		.amdhsa_float_denorm_mode_16_64 3
		.amdhsa_fp16_overflow 0
		.amdhsa_memory_ordered 1
		.amdhsa_forward_progress 1
		.amdhsa_inst_pref_size 133
		.amdhsa_round_robin_scheduling 0
		.amdhsa_exception_fp_ieee_invalid_op 0
		.amdhsa_exception_fp_denorm_src 0
		.amdhsa_exception_fp_ieee_div_zero 0
		.amdhsa_exception_fp_ieee_overflow 0
		.amdhsa_exception_fp_ieee_underflow 0
		.amdhsa_exception_fp_ieee_inexact 0
		.amdhsa_exception_int_div_zero 0
	.end_amdhsa_kernel
	.section	.text._ZN7rocprim17ROCPRIM_400000_NS6detail17trampoline_kernelINS0_14default_configENS1_35radix_sort_onesweep_config_selectorItNS0_10empty_typeEEEZZNS1_29radix_sort_onesweep_iterationIS3_Lb1EPKtPtPS5_SB_mNS0_19identity_decomposerENS1_16block_id_wrapperIjLb0EEEEE10hipError_tT1_PNSt15iterator_traitsISG_E10value_typeET2_T3_PNSH_ISM_E10value_typeET4_T5_PSR_SS_PNS1_23onesweep_lookback_stateEbbT6_jjT7_P12ihipStream_tbENKUlT_T0_SG_SL_E_clISA_SA_SB_SB_EEDaSZ_S10_SG_SL_EUlSZ_E_NS1_11comp_targetILNS1_3genE0ELNS1_11target_archE4294967295ELNS1_3gpuE0ELNS1_3repE0EEENS1_47radix_sort_onesweep_sort_config_static_selectorELNS0_4arch9wavefront6targetE0EEEvSG_,"axG",@progbits,_ZN7rocprim17ROCPRIM_400000_NS6detail17trampoline_kernelINS0_14default_configENS1_35radix_sort_onesweep_config_selectorItNS0_10empty_typeEEEZZNS1_29radix_sort_onesweep_iterationIS3_Lb1EPKtPtPS5_SB_mNS0_19identity_decomposerENS1_16block_id_wrapperIjLb0EEEEE10hipError_tT1_PNSt15iterator_traitsISG_E10value_typeET2_T3_PNSH_ISM_E10value_typeET4_T5_PSR_SS_PNS1_23onesweep_lookback_stateEbbT6_jjT7_P12ihipStream_tbENKUlT_T0_SG_SL_E_clISA_SA_SB_SB_EEDaSZ_S10_SG_SL_EUlSZ_E_NS1_11comp_targetILNS1_3genE0ELNS1_11target_archE4294967295ELNS1_3gpuE0ELNS1_3repE0EEENS1_47radix_sort_onesweep_sort_config_static_selectorELNS0_4arch9wavefront6targetE0EEEvSG_,comdat
.Lfunc_end2413:
	.size	_ZN7rocprim17ROCPRIM_400000_NS6detail17trampoline_kernelINS0_14default_configENS1_35radix_sort_onesweep_config_selectorItNS0_10empty_typeEEEZZNS1_29radix_sort_onesweep_iterationIS3_Lb1EPKtPtPS5_SB_mNS0_19identity_decomposerENS1_16block_id_wrapperIjLb0EEEEE10hipError_tT1_PNSt15iterator_traitsISG_E10value_typeET2_T3_PNSH_ISM_E10value_typeET4_T5_PSR_SS_PNS1_23onesweep_lookback_stateEbbT6_jjT7_P12ihipStream_tbENKUlT_T0_SG_SL_E_clISA_SA_SB_SB_EEDaSZ_S10_SG_SL_EUlSZ_E_NS1_11comp_targetILNS1_3genE0ELNS1_11target_archE4294967295ELNS1_3gpuE0ELNS1_3repE0EEENS1_47radix_sort_onesweep_sort_config_static_selectorELNS0_4arch9wavefront6targetE0EEEvSG_, .Lfunc_end2413-_ZN7rocprim17ROCPRIM_400000_NS6detail17trampoline_kernelINS0_14default_configENS1_35radix_sort_onesweep_config_selectorItNS0_10empty_typeEEEZZNS1_29radix_sort_onesweep_iterationIS3_Lb1EPKtPtPS5_SB_mNS0_19identity_decomposerENS1_16block_id_wrapperIjLb0EEEEE10hipError_tT1_PNSt15iterator_traitsISG_E10value_typeET2_T3_PNSH_ISM_E10value_typeET4_T5_PSR_SS_PNS1_23onesweep_lookback_stateEbbT6_jjT7_P12ihipStream_tbENKUlT_T0_SG_SL_E_clISA_SA_SB_SB_EEDaSZ_S10_SG_SL_EUlSZ_E_NS1_11comp_targetILNS1_3genE0ELNS1_11target_archE4294967295ELNS1_3gpuE0ELNS1_3repE0EEENS1_47radix_sort_onesweep_sort_config_static_selectorELNS0_4arch9wavefront6targetE0EEEvSG_
                                        ; -- End function
	.set _ZN7rocprim17ROCPRIM_400000_NS6detail17trampoline_kernelINS0_14default_configENS1_35radix_sort_onesweep_config_selectorItNS0_10empty_typeEEEZZNS1_29radix_sort_onesweep_iterationIS3_Lb1EPKtPtPS5_SB_mNS0_19identity_decomposerENS1_16block_id_wrapperIjLb0EEEEE10hipError_tT1_PNSt15iterator_traitsISG_E10value_typeET2_T3_PNSH_ISM_E10value_typeET4_T5_PSR_SS_PNS1_23onesweep_lookback_stateEbbT6_jjT7_P12ihipStream_tbENKUlT_T0_SG_SL_E_clISA_SA_SB_SB_EEDaSZ_S10_SG_SL_EUlSZ_E_NS1_11comp_targetILNS1_3genE0ELNS1_11target_archE4294967295ELNS1_3gpuE0ELNS1_3repE0EEENS1_47radix_sort_onesweep_sort_config_static_selectorELNS0_4arch9wavefront6targetE0EEEvSG_.num_vgpr, 65
	.set _ZN7rocprim17ROCPRIM_400000_NS6detail17trampoline_kernelINS0_14default_configENS1_35radix_sort_onesweep_config_selectorItNS0_10empty_typeEEEZZNS1_29radix_sort_onesweep_iterationIS3_Lb1EPKtPtPS5_SB_mNS0_19identity_decomposerENS1_16block_id_wrapperIjLb0EEEEE10hipError_tT1_PNSt15iterator_traitsISG_E10value_typeET2_T3_PNSH_ISM_E10value_typeET4_T5_PSR_SS_PNS1_23onesweep_lookback_stateEbbT6_jjT7_P12ihipStream_tbENKUlT_T0_SG_SL_E_clISA_SA_SB_SB_EEDaSZ_S10_SG_SL_EUlSZ_E_NS1_11comp_targetILNS1_3genE0ELNS1_11target_archE4294967295ELNS1_3gpuE0ELNS1_3repE0EEENS1_47radix_sort_onesweep_sort_config_static_selectorELNS0_4arch9wavefront6targetE0EEEvSG_.num_agpr, 0
	.set _ZN7rocprim17ROCPRIM_400000_NS6detail17trampoline_kernelINS0_14default_configENS1_35radix_sort_onesweep_config_selectorItNS0_10empty_typeEEEZZNS1_29radix_sort_onesweep_iterationIS3_Lb1EPKtPtPS5_SB_mNS0_19identity_decomposerENS1_16block_id_wrapperIjLb0EEEEE10hipError_tT1_PNSt15iterator_traitsISG_E10value_typeET2_T3_PNSH_ISM_E10value_typeET4_T5_PSR_SS_PNS1_23onesweep_lookback_stateEbbT6_jjT7_P12ihipStream_tbENKUlT_T0_SG_SL_E_clISA_SA_SB_SB_EEDaSZ_S10_SG_SL_EUlSZ_E_NS1_11comp_targetILNS1_3genE0ELNS1_11target_archE4294967295ELNS1_3gpuE0ELNS1_3repE0EEENS1_47radix_sort_onesweep_sort_config_static_selectorELNS0_4arch9wavefront6targetE0EEEvSG_.numbered_sgpr, 29
	.set _ZN7rocprim17ROCPRIM_400000_NS6detail17trampoline_kernelINS0_14default_configENS1_35radix_sort_onesweep_config_selectorItNS0_10empty_typeEEEZZNS1_29radix_sort_onesweep_iterationIS3_Lb1EPKtPtPS5_SB_mNS0_19identity_decomposerENS1_16block_id_wrapperIjLb0EEEEE10hipError_tT1_PNSt15iterator_traitsISG_E10value_typeET2_T3_PNSH_ISM_E10value_typeET4_T5_PSR_SS_PNS1_23onesweep_lookback_stateEbbT6_jjT7_P12ihipStream_tbENKUlT_T0_SG_SL_E_clISA_SA_SB_SB_EEDaSZ_S10_SG_SL_EUlSZ_E_NS1_11comp_targetILNS1_3genE0ELNS1_11target_archE4294967295ELNS1_3gpuE0ELNS1_3repE0EEENS1_47radix_sort_onesweep_sort_config_static_selectorELNS0_4arch9wavefront6targetE0EEEvSG_.num_named_barrier, 0
	.set _ZN7rocprim17ROCPRIM_400000_NS6detail17trampoline_kernelINS0_14default_configENS1_35radix_sort_onesweep_config_selectorItNS0_10empty_typeEEEZZNS1_29radix_sort_onesweep_iterationIS3_Lb1EPKtPtPS5_SB_mNS0_19identity_decomposerENS1_16block_id_wrapperIjLb0EEEEE10hipError_tT1_PNSt15iterator_traitsISG_E10value_typeET2_T3_PNSH_ISM_E10value_typeET4_T5_PSR_SS_PNS1_23onesweep_lookback_stateEbbT6_jjT7_P12ihipStream_tbENKUlT_T0_SG_SL_E_clISA_SA_SB_SB_EEDaSZ_S10_SG_SL_EUlSZ_E_NS1_11comp_targetILNS1_3genE0ELNS1_11target_archE4294967295ELNS1_3gpuE0ELNS1_3repE0EEENS1_47radix_sort_onesweep_sort_config_static_selectorELNS0_4arch9wavefront6targetE0EEEvSG_.private_seg_size, 0
	.set _ZN7rocprim17ROCPRIM_400000_NS6detail17trampoline_kernelINS0_14default_configENS1_35radix_sort_onesweep_config_selectorItNS0_10empty_typeEEEZZNS1_29radix_sort_onesweep_iterationIS3_Lb1EPKtPtPS5_SB_mNS0_19identity_decomposerENS1_16block_id_wrapperIjLb0EEEEE10hipError_tT1_PNSt15iterator_traitsISG_E10value_typeET2_T3_PNSH_ISM_E10value_typeET4_T5_PSR_SS_PNS1_23onesweep_lookback_stateEbbT6_jjT7_P12ihipStream_tbENKUlT_T0_SG_SL_E_clISA_SA_SB_SB_EEDaSZ_S10_SG_SL_EUlSZ_E_NS1_11comp_targetILNS1_3genE0ELNS1_11target_archE4294967295ELNS1_3gpuE0ELNS1_3repE0EEENS1_47radix_sort_onesweep_sort_config_static_selectorELNS0_4arch9wavefront6targetE0EEEvSG_.uses_vcc, 1
	.set _ZN7rocprim17ROCPRIM_400000_NS6detail17trampoline_kernelINS0_14default_configENS1_35radix_sort_onesweep_config_selectorItNS0_10empty_typeEEEZZNS1_29radix_sort_onesweep_iterationIS3_Lb1EPKtPtPS5_SB_mNS0_19identity_decomposerENS1_16block_id_wrapperIjLb0EEEEE10hipError_tT1_PNSt15iterator_traitsISG_E10value_typeET2_T3_PNSH_ISM_E10value_typeET4_T5_PSR_SS_PNS1_23onesweep_lookback_stateEbbT6_jjT7_P12ihipStream_tbENKUlT_T0_SG_SL_E_clISA_SA_SB_SB_EEDaSZ_S10_SG_SL_EUlSZ_E_NS1_11comp_targetILNS1_3genE0ELNS1_11target_archE4294967295ELNS1_3gpuE0ELNS1_3repE0EEENS1_47radix_sort_onesweep_sort_config_static_selectorELNS0_4arch9wavefront6targetE0EEEvSG_.uses_flat_scratch, 0
	.set _ZN7rocprim17ROCPRIM_400000_NS6detail17trampoline_kernelINS0_14default_configENS1_35radix_sort_onesweep_config_selectorItNS0_10empty_typeEEEZZNS1_29radix_sort_onesweep_iterationIS3_Lb1EPKtPtPS5_SB_mNS0_19identity_decomposerENS1_16block_id_wrapperIjLb0EEEEE10hipError_tT1_PNSt15iterator_traitsISG_E10value_typeET2_T3_PNSH_ISM_E10value_typeET4_T5_PSR_SS_PNS1_23onesweep_lookback_stateEbbT6_jjT7_P12ihipStream_tbENKUlT_T0_SG_SL_E_clISA_SA_SB_SB_EEDaSZ_S10_SG_SL_EUlSZ_E_NS1_11comp_targetILNS1_3genE0ELNS1_11target_archE4294967295ELNS1_3gpuE0ELNS1_3repE0EEENS1_47radix_sort_onesweep_sort_config_static_selectorELNS0_4arch9wavefront6targetE0EEEvSG_.has_dyn_sized_stack, 0
	.set _ZN7rocprim17ROCPRIM_400000_NS6detail17trampoline_kernelINS0_14default_configENS1_35radix_sort_onesweep_config_selectorItNS0_10empty_typeEEEZZNS1_29radix_sort_onesweep_iterationIS3_Lb1EPKtPtPS5_SB_mNS0_19identity_decomposerENS1_16block_id_wrapperIjLb0EEEEE10hipError_tT1_PNSt15iterator_traitsISG_E10value_typeET2_T3_PNSH_ISM_E10value_typeET4_T5_PSR_SS_PNS1_23onesweep_lookback_stateEbbT6_jjT7_P12ihipStream_tbENKUlT_T0_SG_SL_E_clISA_SA_SB_SB_EEDaSZ_S10_SG_SL_EUlSZ_E_NS1_11comp_targetILNS1_3genE0ELNS1_11target_archE4294967295ELNS1_3gpuE0ELNS1_3repE0EEENS1_47radix_sort_onesweep_sort_config_static_selectorELNS0_4arch9wavefront6targetE0EEEvSG_.has_recursion, 0
	.set _ZN7rocprim17ROCPRIM_400000_NS6detail17trampoline_kernelINS0_14default_configENS1_35radix_sort_onesweep_config_selectorItNS0_10empty_typeEEEZZNS1_29radix_sort_onesweep_iterationIS3_Lb1EPKtPtPS5_SB_mNS0_19identity_decomposerENS1_16block_id_wrapperIjLb0EEEEE10hipError_tT1_PNSt15iterator_traitsISG_E10value_typeET2_T3_PNSH_ISM_E10value_typeET4_T5_PSR_SS_PNS1_23onesweep_lookback_stateEbbT6_jjT7_P12ihipStream_tbENKUlT_T0_SG_SL_E_clISA_SA_SB_SB_EEDaSZ_S10_SG_SL_EUlSZ_E_NS1_11comp_targetILNS1_3genE0ELNS1_11target_archE4294967295ELNS1_3gpuE0ELNS1_3repE0EEENS1_47radix_sort_onesweep_sort_config_static_selectorELNS0_4arch9wavefront6targetE0EEEvSG_.has_indirect_call, 0
	.section	.AMDGPU.csdata,"",@progbits
; Kernel info:
; codeLenInByte = 16928
; TotalNumSgprs: 31
; NumVgprs: 65
; ScratchSize: 0
; MemoryBound: 0
; FloatMode: 240
; IeeeMode: 1
; LDSByteSize: 18504 bytes/workgroup (compile time only)
; SGPRBlocks: 0
; VGPRBlocks: 4
; NumSGPRsForWavesPerEU: 31
; NumVGPRsForWavesPerEU: 65
; NamedBarCnt: 0
; Occupancy: 12
; WaveLimiterHint : 0
; COMPUTE_PGM_RSRC2:SCRATCH_EN: 0
; COMPUTE_PGM_RSRC2:USER_SGPR: 2
; COMPUTE_PGM_RSRC2:TRAP_HANDLER: 0
; COMPUTE_PGM_RSRC2:TGID_X_EN: 1
; COMPUTE_PGM_RSRC2:TGID_Y_EN: 0
; COMPUTE_PGM_RSRC2:TGID_Z_EN: 0
; COMPUTE_PGM_RSRC2:TIDIG_COMP_CNT: 2
	.section	.text._ZN7rocprim17ROCPRIM_400000_NS6detail17trampoline_kernelINS0_14default_configENS1_35radix_sort_onesweep_config_selectorItNS0_10empty_typeEEEZZNS1_29radix_sort_onesweep_iterationIS3_Lb1EPKtPtPS5_SB_mNS0_19identity_decomposerENS1_16block_id_wrapperIjLb0EEEEE10hipError_tT1_PNSt15iterator_traitsISG_E10value_typeET2_T3_PNSH_ISM_E10value_typeET4_T5_PSR_SS_PNS1_23onesweep_lookback_stateEbbT6_jjT7_P12ihipStream_tbENKUlT_T0_SG_SL_E_clISA_SA_SB_SB_EEDaSZ_S10_SG_SL_EUlSZ_E_NS1_11comp_targetILNS1_3genE6ELNS1_11target_archE950ELNS1_3gpuE13ELNS1_3repE0EEENS1_47radix_sort_onesweep_sort_config_static_selectorELNS0_4arch9wavefront6targetE0EEEvSG_,"axG",@progbits,_ZN7rocprim17ROCPRIM_400000_NS6detail17trampoline_kernelINS0_14default_configENS1_35radix_sort_onesweep_config_selectorItNS0_10empty_typeEEEZZNS1_29radix_sort_onesweep_iterationIS3_Lb1EPKtPtPS5_SB_mNS0_19identity_decomposerENS1_16block_id_wrapperIjLb0EEEEE10hipError_tT1_PNSt15iterator_traitsISG_E10value_typeET2_T3_PNSH_ISM_E10value_typeET4_T5_PSR_SS_PNS1_23onesweep_lookback_stateEbbT6_jjT7_P12ihipStream_tbENKUlT_T0_SG_SL_E_clISA_SA_SB_SB_EEDaSZ_S10_SG_SL_EUlSZ_E_NS1_11comp_targetILNS1_3genE6ELNS1_11target_archE950ELNS1_3gpuE13ELNS1_3repE0EEENS1_47radix_sort_onesweep_sort_config_static_selectorELNS0_4arch9wavefront6targetE0EEEvSG_,comdat
	.protected	_ZN7rocprim17ROCPRIM_400000_NS6detail17trampoline_kernelINS0_14default_configENS1_35radix_sort_onesweep_config_selectorItNS0_10empty_typeEEEZZNS1_29radix_sort_onesweep_iterationIS3_Lb1EPKtPtPS5_SB_mNS0_19identity_decomposerENS1_16block_id_wrapperIjLb0EEEEE10hipError_tT1_PNSt15iterator_traitsISG_E10value_typeET2_T3_PNSH_ISM_E10value_typeET4_T5_PSR_SS_PNS1_23onesweep_lookback_stateEbbT6_jjT7_P12ihipStream_tbENKUlT_T0_SG_SL_E_clISA_SA_SB_SB_EEDaSZ_S10_SG_SL_EUlSZ_E_NS1_11comp_targetILNS1_3genE6ELNS1_11target_archE950ELNS1_3gpuE13ELNS1_3repE0EEENS1_47radix_sort_onesweep_sort_config_static_selectorELNS0_4arch9wavefront6targetE0EEEvSG_ ; -- Begin function _ZN7rocprim17ROCPRIM_400000_NS6detail17trampoline_kernelINS0_14default_configENS1_35radix_sort_onesweep_config_selectorItNS0_10empty_typeEEEZZNS1_29radix_sort_onesweep_iterationIS3_Lb1EPKtPtPS5_SB_mNS0_19identity_decomposerENS1_16block_id_wrapperIjLb0EEEEE10hipError_tT1_PNSt15iterator_traitsISG_E10value_typeET2_T3_PNSH_ISM_E10value_typeET4_T5_PSR_SS_PNS1_23onesweep_lookback_stateEbbT6_jjT7_P12ihipStream_tbENKUlT_T0_SG_SL_E_clISA_SA_SB_SB_EEDaSZ_S10_SG_SL_EUlSZ_E_NS1_11comp_targetILNS1_3genE6ELNS1_11target_archE950ELNS1_3gpuE13ELNS1_3repE0EEENS1_47radix_sort_onesweep_sort_config_static_selectorELNS0_4arch9wavefront6targetE0EEEvSG_
	.globl	_ZN7rocprim17ROCPRIM_400000_NS6detail17trampoline_kernelINS0_14default_configENS1_35radix_sort_onesweep_config_selectorItNS0_10empty_typeEEEZZNS1_29radix_sort_onesweep_iterationIS3_Lb1EPKtPtPS5_SB_mNS0_19identity_decomposerENS1_16block_id_wrapperIjLb0EEEEE10hipError_tT1_PNSt15iterator_traitsISG_E10value_typeET2_T3_PNSH_ISM_E10value_typeET4_T5_PSR_SS_PNS1_23onesweep_lookback_stateEbbT6_jjT7_P12ihipStream_tbENKUlT_T0_SG_SL_E_clISA_SA_SB_SB_EEDaSZ_S10_SG_SL_EUlSZ_E_NS1_11comp_targetILNS1_3genE6ELNS1_11target_archE950ELNS1_3gpuE13ELNS1_3repE0EEENS1_47radix_sort_onesweep_sort_config_static_selectorELNS0_4arch9wavefront6targetE0EEEvSG_
	.p2align	8
	.type	_ZN7rocprim17ROCPRIM_400000_NS6detail17trampoline_kernelINS0_14default_configENS1_35radix_sort_onesweep_config_selectorItNS0_10empty_typeEEEZZNS1_29radix_sort_onesweep_iterationIS3_Lb1EPKtPtPS5_SB_mNS0_19identity_decomposerENS1_16block_id_wrapperIjLb0EEEEE10hipError_tT1_PNSt15iterator_traitsISG_E10value_typeET2_T3_PNSH_ISM_E10value_typeET4_T5_PSR_SS_PNS1_23onesweep_lookback_stateEbbT6_jjT7_P12ihipStream_tbENKUlT_T0_SG_SL_E_clISA_SA_SB_SB_EEDaSZ_S10_SG_SL_EUlSZ_E_NS1_11comp_targetILNS1_3genE6ELNS1_11target_archE950ELNS1_3gpuE13ELNS1_3repE0EEENS1_47radix_sort_onesweep_sort_config_static_selectorELNS0_4arch9wavefront6targetE0EEEvSG_,@function
_ZN7rocprim17ROCPRIM_400000_NS6detail17trampoline_kernelINS0_14default_configENS1_35radix_sort_onesweep_config_selectorItNS0_10empty_typeEEEZZNS1_29radix_sort_onesweep_iterationIS3_Lb1EPKtPtPS5_SB_mNS0_19identity_decomposerENS1_16block_id_wrapperIjLb0EEEEE10hipError_tT1_PNSt15iterator_traitsISG_E10value_typeET2_T3_PNSH_ISM_E10value_typeET4_T5_PSR_SS_PNS1_23onesweep_lookback_stateEbbT6_jjT7_P12ihipStream_tbENKUlT_T0_SG_SL_E_clISA_SA_SB_SB_EEDaSZ_S10_SG_SL_EUlSZ_E_NS1_11comp_targetILNS1_3genE6ELNS1_11target_archE950ELNS1_3gpuE13ELNS1_3repE0EEENS1_47radix_sort_onesweep_sort_config_static_selectorELNS0_4arch9wavefront6targetE0EEEvSG_: ; @_ZN7rocprim17ROCPRIM_400000_NS6detail17trampoline_kernelINS0_14default_configENS1_35radix_sort_onesweep_config_selectorItNS0_10empty_typeEEEZZNS1_29radix_sort_onesweep_iterationIS3_Lb1EPKtPtPS5_SB_mNS0_19identity_decomposerENS1_16block_id_wrapperIjLb0EEEEE10hipError_tT1_PNSt15iterator_traitsISG_E10value_typeET2_T3_PNSH_ISM_E10value_typeET4_T5_PSR_SS_PNS1_23onesweep_lookback_stateEbbT6_jjT7_P12ihipStream_tbENKUlT_T0_SG_SL_E_clISA_SA_SB_SB_EEDaSZ_S10_SG_SL_EUlSZ_E_NS1_11comp_targetILNS1_3genE6ELNS1_11target_archE950ELNS1_3gpuE13ELNS1_3repE0EEENS1_47radix_sort_onesweep_sort_config_static_selectorELNS0_4arch9wavefront6targetE0EEEvSG_
; %bb.0:
	.section	.rodata,"a",@progbits
	.p2align	6, 0x0
	.amdhsa_kernel _ZN7rocprim17ROCPRIM_400000_NS6detail17trampoline_kernelINS0_14default_configENS1_35radix_sort_onesweep_config_selectorItNS0_10empty_typeEEEZZNS1_29radix_sort_onesweep_iterationIS3_Lb1EPKtPtPS5_SB_mNS0_19identity_decomposerENS1_16block_id_wrapperIjLb0EEEEE10hipError_tT1_PNSt15iterator_traitsISG_E10value_typeET2_T3_PNSH_ISM_E10value_typeET4_T5_PSR_SS_PNS1_23onesweep_lookback_stateEbbT6_jjT7_P12ihipStream_tbENKUlT_T0_SG_SL_E_clISA_SA_SB_SB_EEDaSZ_S10_SG_SL_EUlSZ_E_NS1_11comp_targetILNS1_3genE6ELNS1_11target_archE950ELNS1_3gpuE13ELNS1_3repE0EEENS1_47radix_sort_onesweep_sort_config_static_selectorELNS0_4arch9wavefront6targetE0EEEvSG_
		.amdhsa_group_segment_fixed_size 0
		.amdhsa_private_segment_fixed_size 0
		.amdhsa_kernarg_size 88
		.amdhsa_user_sgpr_count 2
		.amdhsa_user_sgpr_dispatch_ptr 0
		.amdhsa_user_sgpr_queue_ptr 0
		.amdhsa_user_sgpr_kernarg_segment_ptr 1
		.amdhsa_user_sgpr_dispatch_id 0
		.amdhsa_user_sgpr_kernarg_preload_length 0
		.amdhsa_user_sgpr_kernarg_preload_offset 0
		.amdhsa_user_sgpr_private_segment_size 0
		.amdhsa_wavefront_size32 1
		.amdhsa_uses_dynamic_stack 0
		.amdhsa_enable_private_segment 0
		.amdhsa_system_sgpr_workgroup_id_x 1
		.amdhsa_system_sgpr_workgroup_id_y 0
		.amdhsa_system_sgpr_workgroup_id_z 0
		.amdhsa_system_sgpr_workgroup_info 0
		.amdhsa_system_vgpr_workitem_id 0
		.amdhsa_next_free_vgpr 1
		.amdhsa_next_free_sgpr 1
		.amdhsa_named_barrier_count 0
		.amdhsa_reserve_vcc 0
		.amdhsa_float_round_mode_32 0
		.amdhsa_float_round_mode_16_64 0
		.amdhsa_float_denorm_mode_32 3
		.amdhsa_float_denorm_mode_16_64 3
		.amdhsa_fp16_overflow 0
		.amdhsa_memory_ordered 1
		.amdhsa_forward_progress 1
		.amdhsa_inst_pref_size 0
		.amdhsa_round_robin_scheduling 0
		.amdhsa_exception_fp_ieee_invalid_op 0
		.amdhsa_exception_fp_denorm_src 0
		.amdhsa_exception_fp_ieee_div_zero 0
		.amdhsa_exception_fp_ieee_overflow 0
		.amdhsa_exception_fp_ieee_underflow 0
		.amdhsa_exception_fp_ieee_inexact 0
		.amdhsa_exception_int_div_zero 0
	.end_amdhsa_kernel
	.section	.text._ZN7rocprim17ROCPRIM_400000_NS6detail17trampoline_kernelINS0_14default_configENS1_35radix_sort_onesweep_config_selectorItNS0_10empty_typeEEEZZNS1_29radix_sort_onesweep_iterationIS3_Lb1EPKtPtPS5_SB_mNS0_19identity_decomposerENS1_16block_id_wrapperIjLb0EEEEE10hipError_tT1_PNSt15iterator_traitsISG_E10value_typeET2_T3_PNSH_ISM_E10value_typeET4_T5_PSR_SS_PNS1_23onesweep_lookback_stateEbbT6_jjT7_P12ihipStream_tbENKUlT_T0_SG_SL_E_clISA_SA_SB_SB_EEDaSZ_S10_SG_SL_EUlSZ_E_NS1_11comp_targetILNS1_3genE6ELNS1_11target_archE950ELNS1_3gpuE13ELNS1_3repE0EEENS1_47radix_sort_onesweep_sort_config_static_selectorELNS0_4arch9wavefront6targetE0EEEvSG_,"axG",@progbits,_ZN7rocprim17ROCPRIM_400000_NS6detail17trampoline_kernelINS0_14default_configENS1_35radix_sort_onesweep_config_selectorItNS0_10empty_typeEEEZZNS1_29radix_sort_onesweep_iterationIS3_Lb1EPKtPtPS5_SB_mNS0_19identity_decomposerENS1_16block_id_wrapperIjLb0EEEEE10hipError_tT1_PNSt15iterator_traitsISG_E10value_typeET2_T3_PNSH_ISM_E10value_typeET4_T5_PSR_SS_PNS1_23onesweep_lookback_stateEbbT6_jjT7_P12ihipStream_tbENKUlT_T0_SG_SL_E_clISA_SA_SB_SB_EEDaSZ_S10_SG_SL_EUlSZ_E_NS1_11comp_targetILNS1_3genE6ELNS1_11target_archE950ELNS1_3gpuE13ELNS1_3repE0EEENS1_47radix_sort_onesweep_sort_config_static_selectorELNS0_4arch9wavefront6targetE0EEEvSG_,comdat
.Lfunc_end2414:
	.size	_ZN7rocprim17ROCPRIM_400000_NS6detail17trampoline_kernelINS0_14default_configENS1_35radix_sort_onesweep_config_selectorItNS0_10empty_typeEEEZZNS1_29radix_sort_onesweep_iterationIS3_Lb1EPKtPtPS5_SB_mNS0_19identity_decomposerENS1_16block_id_wrapperIjLb0EEEEE10hipError_tT1_PNSt15iterator_traitsISG_E10value_typeET2_T3_PNSH_ISM_E10value_typeET4_T5_PSR_SS_PNS1_23onesweep_lookback_stateEbbT6_jjT7_P12ihipStream_tbENKUlT_T0_SG_SL_E_clISA_SA_SB_SB_EEDaSZ_S10_SG_SL_EUlSZ_E_NS1_11comp_targetILNS1_3genE6ELNS1_11target_archE950ELNS1_3gpuE13ELNS1_3repE0EEENS1_47radix_sort_onesweep_sort_config_static_selectorELNS0_4arch9wavefront6targetE0EEEvSG_, .Lfunc_end2414-_ZN7rocprim17ROCPRIM_400000_NS6detail17trampoline_kernelINS0_14default_configENS1_35radix_sort_onesweep_config_selectorItNS0_10empty_typeEEEZZNS1_29radix_sort_onesweep_iterationIS3_Lb1EPKtPtPS5_SB_mNS0_19identity_decomposerENS1_16block_id_wrapperIjLb0EEEEE10hipError_tT1_PNSt15iterator_traitsISG_E10value_typeET2_T3_PNSH_ISM_E10value_typeET4_T5_PSR_SS_PNS1_23onesweep_lookback_stateEbbT6_jjT7_P12ihipStream_tbENKUlT_T0_SG_SL_E_clISA_SA_SB_SB_EEDaSZ_S10_SG_SL_EUlSZ_E_NS1_11comp_targetILNS1_3genE6ELNS1_11target_archE950ELNS1_3gpuE13ELNS1_3repE0EEENS1_47radix_sort_onesweep_sort_config_static_selectorELNS0_4arch9wavefront6targetE0EEEvSG_
                                        ; -- End function
	.set _ZN7rocprim17ROCPRIM_400000_NS6detail17trampoline_kernelINS0_14default_configENS1_35radix_sort_onesweep_config_selectorItNS0_10empty_typeEEEZZNS1_29radix_sort_onesweep_iterationIS3_Lb1EPKtPtPS5_SB_mNS0_19identity_decomposerENS1_16block_id_wrapperIjLb0EEEEE10hipError_tT1_PNSt15iterator_traitsISG_E10value_typeET2_T3_PNSH_ISM_E10value_typeET4_T5_PSR_SS_PNS1_23onesweep_lookback_stateEbbT6_jjT7_P12ihipStream_tbENKUlT_T0_SG_SL_E_clISA_SA_SB_SB_EEDaSZ_S10_SG_SL_EUlSZ_E_NS1_11comp_targetILNS1_3genE6ELNS1_11target_archE950ELNS1_3gpuE13ELNS1_3repE0EEENS1_47radix_sort_onesweep_sort_config_static_selectorELNS0_4arch9wavefront6targetE0EEEvSG_.num_vgpr, 0
	.set _ZN7rocprim17ROCPRIM_400000_NS6detail17trampoline_kernelINS0_14default_configENS1_35radix_sort_onesweep_config_selectorItNS0_10empty_typeEEEZZNS1_29radix_sort_onesweep_iterationIS3_Lb1EPKtPtPS5_SB_mNS0_19identity_decomposerENS1_16block_id_wrapperIjLb0EEEEE10hipError_tT1_PNSt15iterator_traitsISG_E10value_typeET2_T3_PNSH_ISM_E10value_typeET4_T5_PSR_SS_PNS1_23onesweep_lookback_stateEbbT6_jjT7_P12ihipStream_tbENKUlT_T0_SG_SL_E_clISA_SA_SB_SB_EEDaSZ_S10_SG_SL_EUlSZ_E_NS1_11comp_targetILNS1_3genE6ELNS1_11target_archE950ELNS1_3gpuE13ELNS1_3repE0EEENS1_47radix_sort_onesweep_sort_config_static_selectorELNS0_4arch9wavefront6targetE0EEEvSG_.num_agpr, 0
	.set _ZN7rocprim17ROCPRIM_400000_NS6detail17trampoline_kernelINS0_14default_configENS1_35radix_sort_onesweep_config_selectorItNS0_10empty_typeEEEZZNS1_29radix_sort_onesweep_iterationIS3_Lb1EPKtPtPS5_SB_mNS0_19identity_decomposerENS1_16block_id_wrapperIjLb0EEEEE10hipError_tT1_PNSt15iterator_traitsISG_E10value_typeET2_T3_PNSH_ISM_E10value_typeET4_T5_PSR_SS_PNS1_23onesweep_lookback_stateEbbT6_jjT7_P12ihipStream_tbENKUlT_T0_SG_SL_E_clISA_SA_SB_SB_EEDaSZ_S10_SG_SL_EUlSZ_E_NS1_11comp_targetILNS1_3genE6ELNS1_11target_archE950ELNS1_3gpuE13ELNS1_3repE0EEENS1_47radix_sort_onesweep_sort_config_static_selectorELNS0_4arch9wavefront6targetE0EEEvSG_.numbered_sgpr, 0
	.set _ZN7rocprim17ROCPRIM_400000_NS6detail17trampoline_kernelINS0_14default_configENS1_35radix_sort_onesweep_config_selectorItNS0_10empty_typeEEEZZNS1_29radix_sort_onesweep_iterationIS3_Lb1EPKtPtPS5_SB_mNS0_19identity_decomposerENS1_16block_id_wrapperIjLb0EEEEE10hipError_tT1_PNSt15iterator_traitsISG_E10value_typeET2_T3_PNSH_ISM_E10value_typeET4_T5_PSR_SS_PNS1_23onesweep_lookback_stateEbbT6_jjT7_P12ihipStream_tbENKUlT_T0_SG_SL_E_clISA_SA_SB_SB_EEDaSZ_S10_SG_SL_EUlSZ_E_NS1_11comp_targetILNS1_3genE6ELNS1_11target_archE950ELNS1_3gpuE13ELNS1_3repE0EEENS1_47radix_sort_onesweep_sort_config_static_selectorELNS0_4arch9wavefront6targetE0EEEvSG_.num_named_barrier, 0
	.set _ZN7rocprim17ROCPRIM_400000_NS6detail17trampoline_kernelINS0_14default_configENS1_35radix_sort_onesweep_config_selectorItNS0_10empty_typeEEEZZNS1_29radix_sort_onesweep_iterationIS3_Lb1EPKtPtPS5_SB_mNS0_19identity_decomposerENS1_16block_id_wrapperIjLb0EEEEE10hipError_tT1_PNSt15iterator_traitsISG_E10value_typeET2_T3_PNSH_ISM_E10value_typeET4_T5_PSR_SS_PNS1_23onesweep_lookback_stateEbbT6_jjT7_P12ihipStream_tbENKUlT_T0_SG_SL_E_clISA_SA_SB_SB_EEDaSZ_S10_SG_SL_EUlSZ_E_NS1_11comp_targetILNS1_3genE6ELNS1_11target_archE950ELNS1_3gpuE13ELNS1_3repE0EEENS1_47radix_sort_onesweep_sort_config_static_selectorELNS0_4arch9wavefront6targetE0EEEvSG_.private_seg_size, 0
	.set _ZN7rocprim17ROCPRIM_400000_NS6detail17trampoline_kernelINS0_14default_configENS1_35radix_sort_onesweep_config_selectorItNS0_10empty_typeEEEZZNS1_29radix_sort_onesweep_iterationIS3_Lb1EPKtPtPS5_SB_mNS0_19identity_decomposerENS1_16block_id_wrapperIjLb0EEEEE10hipError_tT1_PNSt15iterator_traitsISG_E10value_typeET2_T3_PNSH_ISM_E10value_typeET4_T5_PSR_SS_PNS1_23onesweep_lookback_stateEbbT6_jjT7_P12ihipStream_tbENKUlT_T0_SG_SL_E_clISA_SA_SB_SB_EEDaSZ_S10_SG_SL_EUlSZ_E_NS1_11comp_targetILNS1_3genE6ELNS1_11target_archE950ELNS1_3gpuE13ELNS1_3repE0EEENS1_47radix_sort_onesweep_sort_config_static_selectorELNS0_4arch9wavefront6targetE0EEEvSG_.uses_vcc, 0
	.set _ZN7rocprim17ROCPRIM_400000_NS6detail17trampoline_kernelINS0_14default_configENS1_35radix_sort_onesweep_config_selectorItNS0_10empty_typeEEEZZNS1_29radix_sort_onesweep_iterationIS3_Lb1EPKtPtPS5_SB_mNS0_19identity_decomposerENS1_16block_id_wrapperIjLb0EEEEE10hipError_tT1_PNSt15iterator_traitsISG_E10value_typeET2_T3_PNSH_ISM_E10value_typeET4_T5_PSR_SS_PNS1_23onesweep_lookback_stateEbbT6_jjT7_P12ihipStream_tbENKUlT_T0_SG_SL_E_clISA_SA_SB_SB_EEDaSZ_S10_SG_SL_EUlSZ_E_NS1_11comp_targetILNS1_3genE6ELNS1_11target_archE950ELNS1_3gpuE13ELNS1_3repE0EEENS1_47radix_sort_onesweep_sort_config_static_selectorELNS0_4arch9wavefront6targetE0EEEvSG_.uses_flat_scratch, 0
	.set _ZN7rocprim17ROCPRIM_400000_NS6detail17trampoline_kernelINS0_14default_configENS1_35radix_sort_onesweep_config_selectorItNS0_10empty_typeEEEZZNS1_29radix_sort_onesweep_iterationIS3_Lb1EPKtPtPS5_SB_mNS0_19identity_decomposerENS1_16block_id_wrapperIjLb0EEEEE10hipError_tT1_PNSt15iterator_traitsISG_E10value_typeET2_T3_PNSH_ISM_E10value_typeET4_T5_PSR_SS_PNS1_23onesweep_lookback_stateEbbT6_jjT7_P12ihipStream_tbENKUlT_T0_SG_SL_E_clISA_SA_SB_SB_EEDaSZ_S10_SG_SL_EUlSZ_E_NS1_11comp_targetILNS1_3genE6ELNS1_11target_archE950ELNS1_3gpuE13ELNS1_3repE0EEENS1_47radix_sort_onesweep_sort_config_static_selectorELNS0_4arch9wavefront6targetE0EEEvSG_.has_dyn_sized_stack, 0
	.set _ZN7rocprim17ROCPRIM_400000_NS6detail17trampoline_kernelINS0_14default_configENS1_35radix_sort_onesweep_config_selectorItNS0_10empty_typeEEEZZNS1_29radix_sort_onesweep_iterationIS3_Lb1EPKtPtPS5_SB_mNS0_19identity_decomposerENS1_16block_id_wrapperIjLb0EEEEE10hipError_tT1_PNSt15iterator_traitsISG_E10value_typeET2_T3_PNSH_ISM_E10value_typeET4_T5_PSR_SS_PNS1_23onesweep_lookback_stateEbbT6_jjT7_P12ihipStream_tbENKUlT_T0_SG_SL_E_clISA_SA_SB_SB_EEDaSZ_S10_SG_SL_EUlSZ_E_NS1_11comp_targetILNS1_3genE6ELNS1_11target_archE950ELNS1_3gpuE13ELNS1_3repE0EEENS1_47radix_sort_onesweep_sort_config_static_selectorELNS0_4arch9wavefront6targetE0EEEvSG_.has_recursion, 0
	.set _ZN7rocprim17ROCPRIM_400000_NS6detail17trampoline_kernelINS0_14default_configENS1_35radix_sort_onesweep_config_selectorItNS0_10empty_typeEEEZZNS1_29radix_sort_onesweep_iterationIS3_Lb1EPKtPtPS5_SB_mNS0_19identity_decomposerENS1_16block_id_wrapperIjLb0EEEEE10hipError_tT1_PNSt15iterator_traitsISG_E10value_typeET2_T3_PNSH_ISM_E10value_typeET4_T5_PSR_SS_PNS1_23onesweep_lookback_stateEbbT6_jjT7_P12ihipStream_tbENKUlT_T0_SG_SL_E_clISA_SA_SB_SB_EEDaSZ_S10_SG_SL_EUlSZ_E_NS1_11comp_targetILNS1_3genE6ELNS1_11target_archE950ELNS1_3gpuE13ELNS1_3repE0EEENS1_47radix_sort_onesweep_sort_config_static_selectorELNS0_4arch9wavefront6targetE0EEEvSG_.has_indirect_call, 0
	.section	.AMDGPU.csdata,"",@progbits
; Kernel info:
; codeLenInByte = 0
; TotalNumSgprs: 0
; NumVgprs: 0
; ScratchSize: 0
; MemoryBound: 0
; FloatMode: 240
; IeeeMode: 1
; LDSByteSize: 0 bytes/workgroup (compile time only)
; SGPRBlocks: 0
; VGPRBlocks: 0
; NumSGPRsForWavesPerEU: 1
; NumVGPRsForWavesPerEU: 1
; NamedBarCnt: 0
; Occupancy: 16
; WaveLimiterHint : 0
; COMPUTE_PGM_RSRC2:SCRATCH_EN: 0
; COMPUTE_PGM_RSRC2:USER_SGPR: 2
; COMPUTE_PGM_RSRC2:TRAP_HANDLER: 0
; COMPUTE_PGM_RSRC2:TGID_X_EN: 1
; COMPUTE_PGM_RSRC2:TGID_Y_EN: 0
; COMPUTE_PGM_RSRC2:TGID_Z_EN: 0
; COMPUTE_PGM_RSRC2:TIDIG_COMP_CNT: 0
	.section	.text._ZN7rocprim17ROCPRIM_400000_NS6detail17trampoline_kernelINS0_14default_configENS1_35radix_sort_onesweep_config_selectorItNS0_10empty_typeEEEZZNS1_29radix_sort_onesweep_iterationIS3_Lb1EPKtPtPS5_SB_mNS0_19identity_decomposerENS1_16block_id_wrapperIjLb0EEEEE10hipError_tT1_PNSt15iterator_traitsISG_E10value_typeET2_T3_PNSH_ISM_E10value_typeET4_T5_PSR_SS_PNS1_23onesweep_lookback_stateEbbT6_jjT7_P12ihipStream_tbENKUlT_T0_SG_SL_E_clISA_SA_SB_SB_EEDaSZ_S10_SG_SL_EUlSZ_E_NS1_11comp_targetILNS1_3genE5ELNS1_11target_archE942ELNS1_3gpuE9ELNS1_3repE0EEENS1_47radix_sort_onesweep_sort_config_static_selectorELNS0_4arch9wavefront6targetE0EEEvSG_,"axG",@progbits,_ZN7rocprim17ROCPRIM_400000_NS6detail17trampoline_kernelINS0_14default_configENS1_35radix_sort_onesweep_config_selectorItNS0_10empty_typeEEEZZNS1_29radix_sort_onesweep_iterationIS3_Lb1EPKtPtPS5_SB_mNS0_19identity_decomposerENS1_16block_id_wrapperIjLb0EEEEE10hipError_tT1_PNSt15iterator_traitsISG_E10value_typeET2_T3_PNSH_ISM_E10value_typeET4_T5_PSR_SS_PNS1_23onesweep_lookback_stateEbbT6_jjT7_P12ihipStream_tbENKUlT_T0_SG_SL_E_clISA_SA_SB_SB_EEDaSZ_S10_SG_SL_EUlSZ_E_NS1_11comp_targetILNS1_3genE5ELNS1_11target_archE942ELNS1_3gpuE9ELNS1_3repE0EEENS1_47radix_sort_onesweep_sort_config_static_selectorELNS0_4arch9wavefront6targetE0EEEvSG_,comdat
	.protected	_ZN7rocprim17ROCPRIM_400000_NS6detail17trampoline_kernelINS0_14default_configENS1_35radix_sort_onesweep_config_selectorItNS0_10empty_typeEEEZZNS1_29radix_sort_onesweep_iterationIS3_Lb1EPKtPtPS5_SB_mNS0_19identity_decomposerENS1_16block_id_wrapperIjLb0EEEEE10hipError_tT1_PNSt15iterator_traitsISG_E10value_typeET2_T3_PNSH_ISM_E10value_typeET4_T5_PSR_SS_PNS1_23onesweep_lookback_stateEbbT6_jjT7_P12ihipStream_tbENKUlT_T0_SG_SL_E_clISA_SA_SB_SB_EEDaSZ_S10_SG_SL_EUlSZ_E_NS1_11comp_targetILNS1_3genE5ELNS1_11target_archE942ELNS1_3gpuE9ELNS1_3repE0EEENS1_47radix_sort_onesweep_sort_config_static_selectorELNS0_4arch9wavefront6targetE0EEEvSG_ ; -- Begin function _ZN7rocprim17ROCPRIM_400000_NS6detail17trampoline_kernelINS0_14default_configENS1_35radix_sort_onesweep_config_selectorItNS0_10empty_typeEEEZZNS1_29radix_sort_onesweep_iterationIS3_Lb1EPKtPtPS5_SB_mNS0_19identity_decomposerENS1_16block_id_wrapperIjLb0EEEEE10hipError_tT1_PNSt15iterator_traitsISG_E10value_typeET2_T3_PNSH_ISM_E10value_typeET4_T5_PSR_SS_PNS1_23onesweep_lookback_stateEbbT6_jjT7_P12ihipStream_tbENKUlT_T0_SG_SL_E_clISA_SA_SB_SB_EEDaSZ_S10_SG_SL_EUlSZ_E_NS1_11comp_targetILNS1_3genE5ELNS1_11target_archE942ELNS1_3gpuE9ELNS1_3repE0EEENS1_47radix_sort_onesweep_sort_config_static_selectorELNS0_4arch9wavefront6targetE0EEEvSG_
	.globl	_ZN7rocprim17ROCPRIM_400000_NS6detail17trampoline_kernelINS0_14default_configENS1_35radix_sort_onesweep_config_selectorItNS0_10empty_typeEEEZZNS1_29radix_sort_onesweep_iterationIS3_Lb1EPKtPtPS5_SB_mNS0_19identity_decomposerENS1_16block_id_wrapperIjLb0EEEEE10hipError_tT1_PNSt15iterator_traitsISG_E10value_typeET2_T3_PNSH_ISM_E10value_typeET4_T5_PSR_SS_PNS1_23onesweep_lookback_stateEbbT6_jjT7_P12ihipStream_tbENKUlT_T0_SG_SL_E_clISA_SA_SB_SB_EEDaSZ_S10_SG_SL_EUlSZ_E_NS1_11comp_targetILNS1_3genE5ELNS1_11target_archE942ELNS1_3gpuE9ELNS1_3repE0EEENS1_47radix_sort_onesweep_sort_config_static_selectorELNS0_4arch9wavefront6targetE0EEEvSG_
	.p2align	8
	.type	_ZN7rocprim17ROCPRIM_400000_NS6detail17trampoline_kernelINS0_14default_configENS1_35radix_sort_onesweep_config_selectorItNS0_10empty_typeEEEZZNS1_29radix_sort_onesweep_iterationIS3_Lb1EPKtPtPS5_SB_mNS0_19identity_decomposerENS1_16block_id_wrapperIjLb0EEEEE10hipError_tT1_PNSt15iterator_traitsISG_E10value_typeET2_T3_PNSH_ISM_E10value_typeET4_T5_PSR_SS_PNS1_23onesweep_lookback_stateEbbT6_jjT7_P12ihipStream_tbENKUlT_T0_SG_SL_E_clISA_SA_SB_SB_EEDaSZ_S10_SG_SL_EUlSZ_E_NS1_11comp_targetILNS1_3genE5ELNS1_11target_archE942ELNS1_3gpuE9ELNS1_3repE0EEENS1_47radix_sort_onesweep_sort_config_static_selectorELNS0_4arch9wavefront6targetE0EEEvSG_,@function
_ZN7rocprim17ROCPRIM_400000_NS6detail17trampoline_kernelINS0_14default_configENS1_35radix_sort_onesweep_config_selectorItNS0_10empty_typeEEEZZNS1_29radix_sort_onesweep_iterationIS3_Lb1EPKtPtPS5_SB_mNS0_19identity_decomposerENS1_16block_id_wrapperIjLb0EEEEE10hipError_tT1_PNSt15iterator_traitsISG_E10value_typeET2_T3_PNSH_ISM_E10value_typeET4_T5_PSR_SS_PNS1_23onesweep_lookback_stateEbbT6_jjT7_P12ihipStream_tbENKUlT_T0_SG_SL_E_clISA_SA_SB_SB_EEDaSZ_S10_SG_SL_EUlSZ_E_NS1_11comp_targetILNS1_3genE5ELNS1_11target_archE942ELNS1_3gpuE9ELNS1_3repE0EEENS1_47radix_sort_onesweep_sort_config_static_selectorELNS0_4arch9wavefront6targetE0EEEvSG_: ; @_ZN7rocprim17ROCPRIM_400000_NS6detail17trampoline_kernelINS0_14default_configENS1_35radix_sort_onesweep_config_selectorItNS0_10empty_typeEEEZZNS1_29radix_sort_onesweep_iterationIS3_Lb1EPKtPtPS5_SB_mNS0_19identity_decomposerENS1_16block_id_wrapperIjLb0EEEEE10hipError_tT1_PNSt15iterator_traitsISG_E10value_typeET2_T3_PNSH_ISM_E10value_typeET4_T5_PSR_SS_PNS1_23onesweep_lookback_stateEbbT6_jjT7_P12ihipStream_tbENKUlT_T0_SG_SL_E_clISA_SA_SB_SB_EEDaSZ_S10_SG_SL_EUlSZ_E_NS1_11comp_targetILNS1_3genE5ELNS1_11target_archE942ELNS1_3gpuE9ELNS1_3repE0EEENS1_47radix_sort_onesweep_sort_config_static_selectorELNS0_4arch9wavefront6targetE0EEEvSG_
; %bb.0:
	.section	.rodata,"a",@progbits
	.p2align	6, 0x0
	.amdhsa_kernel _ZN7rocprim17ROCPRIM_400000_NS6detail17trampoline_kernelINS0_14default_configENS1_35radix_sort_onesweep_config_selectorItNS0_10empty_typeEEEZZNS1_29radix_sort_onesweep_iterationIS3_Lb1EPKtPtPS5_SB_mNS0_19identity_decomposerENS1_16block_id_wrapperIjLb0EEEEE10hipError_tT1_PNSt15iterator_traitsISG_E10value_typeET2_T3_PNSH_ISM_E10value_typeET4_T5_PSR_SS_PNS1_23onesweep_lookback_stateEbbT6_jjT7_P12ihipStream_tbENKUlT_T0_SG_SL_E_clISA_SA_SB_SB_EEDaSZ_S10_SG_SL_EUlSZ_E_NS1_11comp_targetILNS1_3genE5ELNS1_11target_archE942ELNS1_3gpuE9ELNS1_3repE0EEENS1_47radix_sort_onesweep_sort_config_static_selectorELNS0_4arch9wavefront6targetE0EEEvSG_
		.amdhsa_group_segment_fixed_size 0
		.amdhsa_private_segment_fixed_size 0
		.amdhsa_kernarg_size 88
		.amdhsa_user_sgpr_count 2
		.amdhsa_user_sgpr_dispatch_ptr 0
		.amdhsa_user_sgpr_queue_ptr 0
		.amdhsa_user_sgpr_kernarg_segment_ptr 1
		.amdhsa_user_sgpr_dispatch_id 0
		.amdhsa_user_sgpr_kernarg_preload_length 0
		.amdhsa_user_sgpr_kernarg_preload_offset 0
		.amdhsa_user_sgpr_private_segment_size 0
		.amdhsa_wavefront_size32 1
		.amdhsa_uses_dynamic_stack 0
		.amdhsa_enable_private_segment 0
		.amdhsa_system_sgpr_workgroup_id_x 1
		.amdhsa_system_sgpr_workgroup_id_y 0
		.amdhsa_system_sgpr_workgroup_id_z 0
		.amdhsa_system_sgpr_workgroup_info 0
		.amdhsa_system_vgpr_workitem_id 0
		.amdhsa_next_free_vgpr 1
		.amdhsa_next_free_sgpr 1
		.amdhsa_named_barrier_count 0
		.amdhsa_reserve_vcc 0
		.amdhsa_float_round_mode_32 0
		.amdhsa_float_round_mode_16_64 0
		.amdhsa_float_denorm_mode_32 3
		.amdhsa_float_denorm_mode_16_64 3
		.amdhsa_fp16_overflow 0
		.amdhsa_memory_ordered 1
		.amdhsa_forward_progress 1
		.amdhsa_inst_pref_size 0
		.amdhsa_round_robin_scheduling 0
		.amdhsa_exception_fp_ieee_invalid_op 0
		.amdhsa_exception_fp_denorm_src 0
		.amdhsa_exception_fp_ieee_div_zero 0
		.amdhsa_exception_fp_ieee_overflow 0
		.amdhsa_exception_fp_ieee_underflow 0
		.amdhsa_exception_fp_ieee_inexact 0
		.amdhsa_exception_int_div_zero 0
	.end_amdhsa_kernel
	.section	.text._ZN7rocprim17ROCPRIM_400000_NS6detail17trampoline_kernelINS0_14default_configENS1_35radix_sort_onesweep_config_selectorItNS0_10empty_typeEEEZZNS1_29radix_sort_onesweep_iterationIS3_Lb1EPKtPtPS5_SB_mNS0_19identity_decomposerENS1_16block_id_wrapperIjLb0EEEEE10hipError_tT1_PNSt15iterator_traitsISG_E10value_typeET2_T3_PNSH_ISM_E10value_typeET4_T5_PSR_SS_PNS1_23onesweep_lookback_stateEbbT6_jjT7_P12ihipStream_tbENKUlT_T0_SG_SL_E_clISA_SA_SB_SB_EEDaSZ_S10_SG_SL_EUlSZ_E_NS1_11comp_targetILNS1_3genE5ELNS1_11target_archE942ELNS1_3gpuE9ELNS1_3repE0EEENS1_47radix_sort_onesweep_sort_config_static_selectorELNS0_4arch9wavefront6targetE0EEEvSG_,"axG",@progbits,_ZN7rocprim17ROCPRIM_400000_NS6detail17trampoline_kernelINS0_14default_configENS1_35radix_sort_onesweep_config_selectorItNS0_10empty_typeEEEZZNS1_29radix_sort_onesweep_iterationIS3_Lb1EPKtPtPS5_SB_mNS0_19identity_decomposerENS1_16block_id_wrapperIjLb0EEEEE10hipError_tT1_PNSt15iterator_traitsISG_E10value_typeET2_T3_PNSH_ISM_E10value_typeET4_T5_PSR_SS_PNS1_23onesweep_lookback_stateEbbT6_jjT7_P12ihipStream_tbENKUlT_T0_SG_SL_E_clISA_SA_SB_SB_EEDaSZ_S10_SG_SL_EUlSZ_E_NS1_11comp_targetILNS1_3genE5ELNS1_11target_archE942ELNS1_3gpuE9ELNS1_3repE0EEENS1_47radix_sort_onesweep_sort_config_static_selectorELNS0_4arch9wavefront6targetE0EEEvSG_,comdat
.Lfunc_end2415:
	.size	_ZN7rocprim17ROCPRIM_400000_NS6detail17trampoline_kernelINS0_14default_configENS1_35radix_sort_onesweep_config_selectorItNS0_10empty_typeEEEZZNS1_29radix_sort_onesweep_iterationIS3_Lb1EPKtPtPS5_SB_mNS0_19identity_decomposerENS1_16block_id_wrapperIjLb0EEEEE10hipError_tT1_PNSt15iterator_traitsISG_E10value_typeET2_T3_PNSH_ISM_E10value_typeET4_T5_PSR_SS_PNS1_23onesweep_lookback_stateEbbT6_jjT7_P12ihipStream_tbENKUlT_T0_SG_SL_E_clISA_SA_SB_SB_EEDaSZ_S10_SG_SL_EUlSZ_E_NS1_11comp_targetILNS1_3genE5ELNS1_11target_archE942ELNS1_3gpuE9ELNS1_3repE0EEENS1_47radix_sort_onesweep_sort_config_static_selectorELNS0_4arch9wavefront6targetE0EEEvSG_, .Lfunc_end2415-_ZN7rocprim17ROCPRIM_400000_NS6detail17trampoline_kernelINS0_14default_configENS1_35radix_sort_onesweep_config_selectorItNS0_10empty_typeEEEZZNS1_29radix_sort_onesweep_iterationIS3_Lb1EPKtPtPS5_SB_mNS0_19identity_decomposerENS1_16block_id_wrapperIjLb0EEEEE10hipError_tT1_PNSt15iterator_traitsISG_E10value_typeET2_T3_PNSH_ISM_E10value_typeET4_T5_PSR_SS_PNS1_23onesweep_lookback_stateEbbT6_jjT7_P12ihipStream_tbENKUlT_T0_SG_SL_E_clISA_SA_SB_SB_EEDaSZ_S10_SG_SL_EUlSZ_E_NS1_11comp_targetILNS1_3genE5ELNS1_11target_archE942ELNS1_3gpuE9ELNS1_3repE0EEENS1_47radix_sort_onesweep_sort_config_static_selectorELNS0_4arch9wavefront6targetE0EEEvSG_
                                        ; -- End function
	.set _ZN7rocprim17ROCPRIM_400000_NS6detail17trampoline_kernelINS0_14default_configENS1_35radix_sort_onesweep_config_selectorItNS0_10empty_typeEEEZZNS1_29radix_sort_onesweep_iterationIS3_Lb1EPKtPtPS5_SB_mNS0_19identity_decomposerENS1_16block_id_wrapperIjLb0EEEEE10hipError_tT1_PNSt15iterator_traitsISG_E10value_typeET2_T3_PNSH_ISM_E10value_typeET4_T5_PSR_SS_PNS1_23onesweep_lookback_stateEbbT6_jjT7_P12ihipStream_tbENKUlT_T0_SG_SL_E_clISA_SA_SB_SB_EEDaSZ_S10_SG_SL_EUlSZ_E_NS1_11comp_targetILNS1_3genE5ELNS1_11target_archE942ELNS1_3gpuE9ELNS1_3repE0EEENS1_47radix_sort_onesweep_sort_config_static_selectorELNS0_4arch9wavefront6targetE0EEEvSG_.num_vgpr, 0
	.set _ZN7rocprim17ROCPRIM_400000_NS6detail17trampoline_kernelINS0_14default_configENS1_35radix_sort_onesweep_config_selectorItNS0_10empty_typeEEEZZNS1_29radix_sort_onesweep_iterationIS3_Lb1EPKtPtPS5_SB_mNS0_19identity_decomposerENS1_16block_id_wrapperIjLb0EEEEE10hipError_tT1_PNSt15iterator_traitsISG_E10value_typeET2_T3_PNSH_ISM_E10value_typeET4_T5_PSR_SS_PNS1_23onesweep_lookback_stateEbbT6_jjT7_P12ihipStream_tbENKUlT_T0_SG_SL_E_clISA_SA_SB_SB_EEDaSZ_S10_SG_SL_EUlSZ_E_NS1_11comp_targetILNS1_3genE5ELNS1_11target_archE942ELNS1_3gpuE9ELNS1_3repE0EEENS1_47radix_sort_onesweep_sort_config_static_selectorELNS0_4arch9wavefront6targetE0EEEvSG_.num_agpr, 0
	.set _ZN7rocprim17ROCPRIM_400000_NS6detail17trampoline_kernelINS0_14default_configENS1_35radix_sort_onesweep_config_selectorItNS0_10empty_typeEEEZZNS1_29radix_sort_onesweep_iterationIS3_Lb1EPKtPtPS5_SB_mNS0_19identity_decomposerENS1_16block_id_wrapperIjLb0EEEEE10hipError_tT1_PNSt15iterator_traitsISG_E10value_typeET2_T3_PNSH_ISM_E10value_typeET4_T5_PSR_SS_PNS1_23onesweep_lookback_stateEbbT6_jjT7_P12ihipStream_tbENKUlT_T0_SG_SL_E_clISA_SA_SB_SB_EEDaSZ_S10_SG_SL_EUlSZ_E_NS1_11comp_targetILNS1_3genE5ELNS1_11target_archE942ELNS1_3gpuE9ELNS1_3repE0EEENS1_47radix_sort_onesweep_sort_config_static_selectorELNS0_4arch9wavefront6targetE0EEEvSG_.numbered_sgpr, 0
	.set _ZN7rocprim17ROCPRIM_400000_NS6detail17trampoline_kernelINS0_14default_configENS1_35radix_sort_onesweep_config_selectorItNS0_10empty_typeEEEZZNS1_29radix_sort_onesweep_iterationIS3_Lb1EPKtPtPS5_SB_mNS0_19identity_decomposerENS1_16block_id_wrapperIjLb0EEEEE10hipError_tT1_PNSt15iterator_traitsISG_E10value_typeET2_T3_PNSH_ISM_E10value_typeET4_T5_PSR_SS_PNS1_23onesweep_lookback_stateEbbT6_jjT7_P12ihipStream_tbENKUlT_T0_SG_SL_E_clISA_SA_SB_SB_EEDaSZ_S10_SG_SL_EUlSZ_E_NS1_11comp_targetILNS1_3genE5ELNS1_11target_archE942ELNS1_3gpuE9ELNS1_3repE0EEENS1_47radix_sort_onesweep_sort_config_static_selectorELNS0_4arch9wavefront6targetE0EEEvSG_.num_named_barrier, 0
	.set _ZN7rocprim17ROCPRIM_400000_NS6detail17trampoline_kernelINS0_14default_configENS1_35radix_sort_onesweep_config_selectorItNS0_10empty_typeEEEZZNS1_29radix_sort_onesweep_iterationIS3_Lb1EPKtPtPS5_SB_mNS0_19identity_decomposerENS1_16block_id_wrapperIjLb0EEEEE10hipError_tT1_PNSt15iterator_traitsISG_E10value_typeET2_T3_PNSH_ISM_E10value_typeET4_T5_PSR_SS_PNS1_23onesweep_lookback_stateEbbT6_jjT7_P12ihipStream_tbENKUlT_T0_SG_SL_E_clISA_SA_SB_SB_EEDaSZ_S10_SG_SL_EUlSZ_E_NS1_11comp_targetILNS1_3genE5ELNS1_11target_archE942ELNS1_3gpuE9ELNS1_3repE0EEENS1_47radix_sort_onesweep_sort_config_static_selectorELNS0_4arch9wavefront6targetE0EEEvSG_.private_seg_size, 0
	.set _ZN7rocprim17ROCPRIM_400000_NS6detail17trampoline_kernelINS0_14default_configENS1_35radix_sort_onesweep_config_selectorItNS0_10empty_typeEEEZZNS1_29radix_sort_onesweep_iterationIS3_Lb1EPKtPtPS5_SB_mNS0_19identity_decomposerENS1_16block_id_wrapperIjLb0EEEEE10hipError_tT1_PNSt15iterator_traitsISG_E10value_typeET2_T3_PNSH_ISM_E10value_typeET4_T5_PSR_SS_PNS1_23onesweep_lookback_stateEbbT6_jjT7_P12ihipStream_tbENKUlT_T0_SG_SL_E_clISA_SA_SB_SB_EEDaSZ_S10_SG_SL_EUlSZ_E_NS1_11comp_targetILNS1_3genE5ELNS1_11target_archE942ELNS1_3gpuE9ELNS1_3repE0EEENS1_47radix_sort_onesweep_sort_config_static_selectorELNS0_4arch9wavefront6targetE0EEEvSG_.uses_vcc, 0
	.set _ZN7rocprim17ROCPRIM_400000_NS6detail17trampoline_kernelINS0_14default_configENS1_35radix_sort_onesweep_config_selectorItNS0_10empty_typeEEEZZNS1_29radix_sort_onesweep_iterationIS3_Lb1EPKtPtPS5_SB_mNS0_19identity_decomposerENS1_16block_id_wrapperIjLb0EEEEE10hipError_tT1_PNSt15iterator_traitsISG_E10value_typeET2_T3_PNSH_ISM_E10value_typeET4_T5_PSR_SS_PNS1_23onesweep_lookback_stateEbbT6_jjT7_P12ihipStream_tbENKUlT_T0_SG_SL_E_clISA_SA_SB_SB_EEDaSZ_S10_SG_SL_EUlSZ_E_NS1_11comp_targetILNS1_3genE5ELNS1_11target_archE942ELNS1_3gpuE9ELNS1_3repE0EEENS1_47radix_sort_onesweep_sort_config_static_selectorELNS0_4arch9wavefront6targetE0EEEvSG_.uses_flat_scratch, 0
	.set _ZN7rocprim17ROCPRIM_400000_NS6detail17trampoline_kernelINS0_14default_configENS1_35radix_sort_onesweep_config_selectorItNS0_10empty_typeEEEZZNS1_29radix_sort_onesweep_iterationIS3_Lb1EPKtPtPS5_SB_mNS0_19identity_decomposerENS1_16block_id_wrapperIjLb0EEEEE10hipError_tT1_PNSt15iterator_traitsISG_E10value_typeET2_T3_PNSH_ISM_E10value_typeET4_T5_PSR_SS_PNS1_23onesweep_lookback_stateEbbT6_jjT7_P12ihipStream_tbENKUlT_T0_SG_SL_E_clISA_SA_SB_SB_EEDaSZ_S10_SG_SL_EUlSZ_E_NS1_11comp_targetILNS1_3genE5ELNS1_11target_archE942ELNS1_3gpuE9ELNS1_3repE0EEENS1_47radix_sort_onesweep_sort_config_static_selectorELNS0_4arch9wavefront6targetE0EEEvSG_.has_dyn_sized_stack, 0
	.set _ZN7rocprim17ROCPRIM_400000_NS6detail17trampoline_kernelINS0_14default_configENS1_35radix_sort_onesweep_config_selectorItNS0_10empty_typeEEEZZNS1_29radix_sort_onesweep_iterationIS3_Lb1EPKtPtPS5_SB_mNS0_19identity_decomposerENS1_16block_id_wrapperIjLb0EEEEE10hipError_tT1_PNSt15iterator_traitsISG_E10value_typeET2_T3_PNSH_ISM_E10value_typeET4_T5_PSR_SS_PNS1_23onesweep_lookback_stateEbbT6_jjT7_P12ihipStream_tbENKUlT_T0_SG_SL_E_clISA_SA_SB_SB_EEDaSZ_S10_SG_SL_EUlSZ_E_NS1_11comp_targetILNS1_3genE5ELNS1_11target_archE942ELNS1_3gpuE9ELNS1_3repE0EEENS1_47radix_sort_onesweep_sort_config_static_selectorELNS0_4arch9wavefront6targetE0EEEvSG_.has_recursion, 0
	.set _ZN7rocprim17ROCPRIM_400000_NS6detail17trampoline_kernelINS0_14default_configENS1_35radix_sort_onesweep_config_selectorItNS0_10empty_typeEEEZZNS1_29radix_sort_onesweep_iterationIS3_Lb1EPKtPtPS5_SB_mNS0_19identity_decomposerENS1_16block_id_wrapperIjLb0EEEEE10hipError_tT1_PNSt15iterator_traitsISG_E10value_typeET2_T3_PNSH_ISM_E10value_typeET4_T5_PSR_SS_PNS1_23onesweep_lookback_stateEbbT6_jjT7_P12ihipStream_tbENKUlT_T0_SG_SL_E_clISA_SA_SB_SB_EEDaSZ_S10_SG_SL_EUlSZ_E_NS1_11comp_targetILNS1_3genE5ELNS1_11target_archE942ELNS1_3gpuE9ELNS1_3repE0EEENS1_47radix_sort_onesweep_sort_config_static_selectorELNS0_4arch9wavefront6targetE0EEEvSG_.has_indirect_call, 0
	.section	.AMDGPU.csdata,"",@progbits
; Kernel info:
; codeLenInByte = 0
; TotalNumSgprs: 0
; NumVgprs: 0
; ScratchSize: 0
; MemoryBound: 0
; FloatMode: 240
; IeeeMode: 1
; LDSByteSize: 0 bytes/workgroup (compile time only)
; SGPRBlocks: 0
; VGPRBlocks: 0
; NumSGPRsForWavesPerEU: 1
; NumVGPRsForWavesPerEU: 1
; NamedBarCnt: 0
; Occupancy: 16
; WaveLimiterHint : 0
; COMPUTE_PGM_RSRC2:SCRATCH_EN: 0
; COMPUTE_PGM_RSRC2:USER_SGPR: 2
; COMPUTE_PGM_RSRC2:TRAP_HANDLER: 0
; COMPUTE_PGM_RSRC2:TGID_X_EN: 1
; COMPUTE_PGM_RSRC2:TGID_Y_EN: 0
; COMPUTE_PGM_RSRC2:TGID_Z_EN: 0
; COMPUTE_PGM_RSRC2:TIDIG_COMP_CNT: 0
	.section	.text._ZN7rocprim17ROCPRIM_400000_NS6detail17trampoline_kernelINS0_14default_configENS1_35radix_sort_onesweep_config_selectorItNS0_10empty_typeEEEZZNS1_29radix_sort_onesweep_iterationIS3_Lb1EPKtPtPS5_SB_mNS0_19identity_decomposerENS1_16block_id_wrapperIjLb0EEEEE10hipError_tT1_PNSt15iterator_traitsISG_E10value_typeET2_T3_PNSH_ISM_E10value_typeET4_T5_PSR_SS_PNS1_23onesweep_lookback_stateEbbT6_jjT7_P12ihipStream_tbENKUlT_T0_SG_SL_E_clISA_SA_SB_SB_EEDaSZ_S10_SG_SL_EUlSZ_E_NS1_11comp_targetILNS1_3genE2ELNS1_11target_archE906ELNS1_3gpuE6ELNS1_3repE0EEENS1_47radix_sort_onesweep_sort_config_static_selectorELNS0_4arch9wavefront6targetE0EEEvSG_,"axG",@progbits,_ZN7rocprim17ROCPRIM_400000_NS6detail17trampoline_kernelINS0_14default_configENS1_35radix_sort_onesweep_config_selectorItNS0_10empty_typeEEEZZNS1_29radix_sort_onesweep_iterationIS3_Lb1EPKtPtPS5_SB_mNS0_19identity_decomposerENS1_16block_id_wrapperIjLb0EEEEE10hipError_tT1_PNSt15iterator_traitsISG_E10value_typeET2_T3_PNSH_ISM_E10value_typeET4_T5_PSR_SS_PNS1_23onesweep_lookback_stateEbbT6_jjT7_P12ihipStream_tbENKUlT_T0_SG_SL_E_clISA_SA_SB_SB_EEDaSZ_S10_SG_SL_EUlSZ_E_NS1_11comp_targetILNS1_3genE2ELNS1_11target_archE906ELNS1_3gpuE6ELNS1_3repE0EEENS1_47radix_sort_onesweep_sort_config_static_selectorELNS0_4arch9wavefront6targetE0EEEvSG_,comdat
	.protected	_ZN7rocprim17ROCPRIM_400000_NS6detail17trampoline_kernelINS0_14default_configENS1_35radix_sort_onesweep_config_selectorItNS0_10empty_typeEEEZZNS1_29radix_sort_onesweep_iterationIS3_Lb1EPKtPtPS5_SB_mNS0_19identity_decomposerENS1_16block_id_wrapperIjLb0EEEEE10hipError_tT1_PNSt15iterator_traitsISG_E10value_typeET2_T3_PNSH_ISM_E10value_typeET4_T5_PSR_SS_PNS1_23onesweep_lookback_stateEbbT6_jjT7_P12ihipStream_tbENKUlT_T0_SG_SL_E_clISA_SA_SB_SB_EEDaSZ_S10_SG_SL_EUlSZ_E_NS1_11comp_targetILNS1_3genE2ELNS1_11target_archE906ELNS1_3gpuE6ELNS1_3repE0EEENS1_47radix_sort_onesweep_sort_config_static_selectorELNS0_4arch9wavefront6targetE0EEEvSG_ ; -- Begin function _ZN7rocprim17ROCPRIM_400000_NS6detail17trampoline_kernelINS0_14default_configENS1_35radix_sort_onesweep_config_selectorItNS0_10empty_typeEEEZZNS1_29radix_sort_onesweep_iterationIS3_Lb1EPKtPtPS5_SB_mNS0_19identity_decomposerENS1_16block_id_wrapperIjLb0EEEEE10hipError_tT1_PNSt15iterator_traitsISG_E10value_typeET2_T3_PNSH_ISM_E10value_typeET4_T5_PSR_SS_PNS1_23onesweep_lookback_stateEbbT6_jjT7_P12ihipStream_tbENKUlT_T0_SG_SL_E_clISA_SA_SB_SB_EEDaSZ_S10_SG_SL_EUlSZ_E_NS1_11comp_targetILNS1_3genE2ELNS1_11target_archE906ELNS1_3gpuE6ELNS1_3repE0EEENS1_47radix_sort_onesweep_sort_config_static_selectorELNS0_4arch9wavefront6targetE0EEEvSG_
	.globl	_ZN7rocprim17ROCPRIM_400000_NS6detail17trampoline_kernelINS0_14default_configENS1_35radix_sort_onesweep_config_selectorItNS0_10empty_typeEEEZZNS1_29radix_sort_onesweep_iterationIS3_Lb1EPKtPtPS5_SB_mNS0_19identity_decomposerENS1_16block_id_wrapperIjLb0EEEEE10hipError_tT1_PNSt15iterator_traitsISG_E10value_typeET2_T3_PNSH_ISM_E10value_typeET4_T5_PSR_SS_PNS1_23onesweep_lookback_stateEbbT6_jjT7_P12ihipStream_tbENKUlT_T0_SG_SL_E_clISA_SA_SB_SB_EEDaSZ_S10_SG_SL_EUlSZ_E_NS1_11comp_targetILNS1_3genE2ELNS1_11target_archE906ELNS1_3gpuE6ELNS1_3repE0EEENS1_47radix_sort_onesweep_sort_config_static_selectorELNS0_4arch9wavefront6targetE0EEEvSG_
	.p2align	8
	.type	_ZN7rocprim17ROCPRIM_400000_NS6detail17trampoline_kernelINS0_14default_configENS1_35radix_sort_onesweep_config_selectorItNS0_10empty_typeEEEZZNS1_29radix_sort_onesweep_iterationIS3_Lb1EPKtPtPS5_SB_mNS0_19identity_decomposerENS1_16block_id_wrapperIjLb0EEEEE10hipError_tT1_PNSt15iterator_traitsISG_E10value_typeET2_T3_PNSH_ISM_E10value_typeET4_T5_PSR_SS_PNS1_23onesweep_lookback_stateEbbT6_jjT7_P12ihipStream_tbENKUlT_T0_SG_SL_E_clISA_SA_SB_SB_EEDaSZ_S10_SG_SL_EUlSZ_E_NS1_11comp_targetILNS1_3genE2ELNS1_11target_archE906ELNS1_3gpuE6ELNS1_3repE0EEENS1_47radix_sort_onesweep_sort_config_static_selectorELNS0_4arch9wavefront6targetE0EEEvSG_,@function
_ZN7rocprim17ROCPRIM_400000_NS6detail17trampoline_kernelINS0_14default_configENS1_35radix_sort_onesweep_config_selectorItNS0_10empty_typeEEEZZNS1_29radix_sort_onesweep_iterationIS3_Lb1EPKtPtPS5_SB_mNS0_19identity_decomposerENS1_16block_id_wrapperIjLb0EEEEE10hipError_tT1_PNSt15iterator_traitsISG_E10value_typeET2_T3_PNSH_ISM_E10value_typeET4_T5_PSR_SS_PNS1_23onesweep_lookback_stateEbbT6_jjT7_P12ihipStream_tbENKUlT_T0_SG_SL_E_clISA_SA_SB_SB_EEDaSZ_S10_SG_SL_EUlSZ_E_NS1_11comp_targetILNS1_3genE2ELNS1_11target_archE906ELNS1_3gpuE6ELNS1_3repE0EEENS1_47radix_sort_onesweep_sort_config_static_selectorELNS0_4arch9wavefront6targetE0EEEvSG_: ; @_ZN7rocprim17ROCPRIM_400000_NS6detail17trampoline_kernelINS0_14default_configENS1_35radix_sort_onesweep_config_selectorItNS0_10empty_typeEEEZZNS1_29radix_sort_onesweep_iterationIS3_Lb1EPKtPtPS5_SB_mNS0_19identity_decomposerENS1_16block_id_wrapperIjLb0EEEEE10hipError_tT1_PNSt15iterator_traitsISG_E10value_typeET2_T3_PNSH_ISM_E10value_typeET4_T5_PSR_SS_PNS1_23onesweep_lookback_stateEbbT6_jjT7_P12ihipStream_tbENKUlT_T0_SG_SL_E_clISA_SA_SB_SB_EEDaSZ_S10_SG_SL_EUlSZ_E_NS1_11comp_targetILNS1_3genE2ELNS1_11target_archE906ELNS1_3gpuE6ELNS1_3repE0EEENS1_47radix_sort_onesweep_sort_config_static_selectorELNS0_4arch9wavefront6targetE0EEEvSG_
; %bb.0:
	.section	.rodata,"a",@progbits
	.p2align	6, 0x0
	.amdhsa_kernel _ZN7rocprim17ROCPRIM_400000_NS6detail17trampoline_kernelINS0_14default_configENS1_35radix_sort_onesweep_config_selectorItNS0_10empty_typeEEEZZNS1_29radix_sort_onesweep_iterationIS3_Lb1EPKtPtPS5_SB_mNS0_19identity_decomposerENS1_16block_id_wrapperIjLb0EEEEE10hipError_tT1_PNSt15iterator_traitsISG_E10value_typeET2_T3_PNSH_ISM_E10value_typeET4_T5_PSR_SS_PNS1_23onesweep_lookback_stateEbbT6_jjT7_P12ihipStream_tbENKUlT_T0_SG_SL_E_clISA_SA_SB_SB_EEDaSZ_S10_SG_SL_EUlSZ_E_NS1_11comp_targetILNS1_3genE2ELNS1_11target_archE906ELNS1_3gpuE6ELNS1_3repE0EEENS1_47radix_sort_onesweep_sort_config_static_selectorELNS0_4arch9wavefront6targetE0EEEvSG_
		.amdhsa_group_segment_fixed_size 0
		.amdhsa_private_segment_fixed_size 0
		.amdhsa_kernarg_size 88
		.amdhsa_user_sgpr_count 2
		.amdhsa_user_sgpr_dispatch_ptr 0
		.amdhsa_user_sgpr_queue_ptr 0
		.amdhsa_user_sgpr_kernarg_segment_ptr 1
		.amdhsa_user_sgpr_dispatch_id 0
		.amdhsa_user_sgpr_kernarg_preload_length 0
		.amdhsa_user_sgpr_kernarg_preload_offset 0
		.amdhsa_user_sgpr_private_segment_size 0
		.amdhsa_wavefront_size32 1
		.amdhsa_uses_dynamic_stack 0
		.amdhsa_enable_private_segment 0
		.amdhsa_system_sgpr_workgroup_id_x 1
		.amdhsa_system_sgpr_workgroup_id_y 0
		.amdhsa_system_sgpr_workgroup_id_z 0
		.amdhsa_system_sgpr_workgroup_info 0
		.amdhsa_system_vgpr_workitem_id 0
		.amdhsa_next_free_vgpr 1
		.amdhsa_next_free_sgpr 1
		.amdhsa_named_barrier_count 0
		.amdhsa_reserve_vcc 0
		.amdhsa_float_round_mode_32 0
		.amdhsa_float_round_mode_16_64 0
		.amdhsa_float_denorm_mode_32 3
		.amdhsa_float_denorm_mode_16_64 3
		.amdhsa_fp16_overflow 0
		.amdhsa_memory_ordered 1
		.amdhsa_forward_progress 1
		.amdhsa_inst_pref_size 0
		.amdhsa_round_robin_scheduling 0
		.amdhsa_exception_fp_ieee_invalid_op 0
		.amdhsa_exception_fp_denorm_src 0
		.amdhsa_exception_fp_ieee_div_zero 0
		.amdhsa_exception_fp_ieee_overflow 0
		.amdhsa_exception_fp_ieee_underflow 0
		.amdhsa_exception_fp_ieee_inexact 0
		.amdhsa_exception_int_div_zero 0
	.end_amdhsa_kernel
	.section	.text._ZN7rocprim17ROCPRIM_400000_NS6detail17trampoline_kernelINS0_14default_configENS1_35radix_sort_onesweep_config_selectorItNS0_10empty_typeEEEZZNS1_29radix_sort_onesweep_iterationIS3_Lb1EPKtPtPS5_SB_mNS0_19identity_decomposerENS1_16block_id_wrapperIjLb0EEEEE10hipError_tT1_PNSt15iterator_traitsISG_E10value_typeET2_T3_PNSH_ISM_E10value_typeET4_T5_PSR_SS_PNS1_23onesweep_lookback_stateEbbT6_jjT7_P12ihipStream_tbENKUlT_T0_SG_SL_E_clISA_SA_SB_SB_EEDaSZ_S10_SG_SL_EUlSZ_E_NS1_11comp_targetILNS1_3genE2ELNS1_11target_archE906ELNS1_3gpuE6ELNS1_3repE0EEENS1_47radix_sort_onesweep_sort_config_static_selectorELNS0_4arch9wavefront6targetE0EEEvSG_,"axG",@progbits,_ZN7rocprim17ROCPRIM_400000_NS6detail17trampoline_kernelINS0_14default_configENS1_35radix_sort_onesweep_config_selectorItNS0_10empty_typeEEEZZNS1_29radix_sort_onesweep_iterationIS3_Lb1EPKtPtPS5_SB_mNS0_19identity_decomposerENS1_16block_id_wrapperIjLb0EEEEE10hipError_tT1_PNSt15iterator_traitsISG_E10value_typeET2_T3_PNSH_ISM_E10value_typeET4_T5_PSR_SS_PNS1_23onesweep_lookback_stateEbbT6_jjT7_P12ihipStream_tbENKUlT_T0_SG_SL_E_clISA_SA_SB_SB_EEDaSZ_S10_SG_SL_EUlSZ_E_NS1_11comp_targetILNS1_3genE2ELNS1_11target_archE906ELNS1_3gpuE6ELNS1_3repE0EEENS1_47radix_sort_onesweep_sort_config_static_selectorELNS0_4arch9wavefront6targetE0EEEvSG_,comdat
.Lfunc_end2416:
	.size	_ZN7rocprim17ROCPRIM_400000_NS6detail17trampoline_kernelINS0_14default_configENS1_35radix_sort_onesweep_config_selectorItNS0_10empty_typeEEEZZNS1_29radix_sort_onesweep_iterationIS3_Lb1EPKtPtPS5_SB_mNS0_19identity_decomposerENS1_16block_id_wrapperIjLb0EEEEE10hipError_tT1_PNSt15iterator_traitsISG_E10value_typeET2_T3_PNSH_ISM_E10value_typeET4_T5_PSR_SS_PNS1_23onesweep_lookback_stateEbbT6_jjT7_P12ihipStream_tbENKUlT_T0_SG_SL_E_clISA_SA_SB_SB_EEDaSZ_S10_SG_SL_EUlSZ_E_NS1_11comp_targetILNS1_3genE2ELNS1_11target_archE906ELNS1_3gpuE6ELNS1_3repE0EEENS1_47radix_sort_onesweep_sort_config_static_selectorELNS0_4arch9wavefront6targetE0EEEvSG_, .Lfunc_end2416-_ZN7rocprim17ROCPRIM_400000_NS6detail17trampoline_kernelINS0_14default_configENS1_35radix_sort_onesweep_config_selectorItNS0_10empty_typeEEEZZNS1_29radix_sort_onesweep_iterationIS3_Lb1EPKtPtPS5_SB_mNS0_19identity_decomposerENS1_16block_id_wrapperIjLb0EEEEE10hipError_tT1_PNSt15iterator_traitsISG_E10value_typeET2_T3_PNSH_ISM_E10value_typeET4_T5_PSR_SS_PNS1_23onesweep_lookback_stateEbbT6_jjT7_P12ihipStream_tbENKUlT_T0_SG_SL_E_clISA_SA_SB_SB_EEDaSZ_S10_SG_SL_EUlSZ_E_NS1_11comp_targetILNS1_3genE2ELNS1_11target_archE906ELNS1_3gpuE6ELNS1_3repE0EEENS1_47radix_sort_onesweep_sort_config_static_selectorELNS0_4arch9wavefront6targetE0EEEvSG_
                                        ; -- End function
	.set _ZN7rocprim17ROCPRIM_400000_NS6detail17trampoline_kernelINS0_14default_configENS1_35radix_sort_onesweep_config_selectorItNS0_10empty_typeEEEZZNS1_29radix_sort_onesweep_iterationIS3_Lb1EPKtPtPS5_SB_mNS0_19identity_decomposerENS1_16block_id_wrapperIjLb0EEEEE10hipError_tT1_PNSt15iterator_traitsISG_E10value_typeET2_T3_PNSH_ISM_E10value_typeET4_T5_PSR_SS_PNS1_23onesweep_lookback_stateEbbT6_jjT7_P12ihipStream_tbENKUlT_T0_SG_SL_E_clISA_SA_SB_SB_EEDaSZ_S10_SG_SL_EUlSZ_E_NS1_11comp_targetILNS1_3genE2ELNS1_11target_archE906ELNS1_3gpuE6ELNS1_3repE0EEENS1_47radix_sort_onesweep_sort_config_static_selectorELNS0_4arch9wavefront6targetE0EEEvSG_.num_vgpr, 0
	.set _ZN7rocprim17ROCPRIM_400000_NS6detail17trampoline_kernelINS0_14default_configENS1_35radix_sort_onesweep_config_selectorItNS0_10empty_typeEEEZZNS1_29radix_sort_onesweep_iterationIS3_Lb1EPKtPtPS5_SB_mNS0_19identity_decomposerENS1_16block_id_wrapperIjLb0EEEEE10hipError_tT1_PNSt15iterator_traitsISG_E10value_typeET2_T3_PNSH_ISM_E10value_typeET4_T5_PSR_SS_PNS1_23onesweep_lookback_stateEbbT6_jjT7_P12ihipStream_tbENKUlT_T0_SG_SL_E_clISA_SA_SB_SB_EEDaSZ_S10_SG_SL_EUlSZ_E_NS1_11comp_targetILNS1_3genE2ELNS1_11target_archE906ELNS1_3gpuE6ELNS1_3repE0EEENS1_47radix_sort_onesweep_sort_config_static_selectorELNS0_4arch9wavefront6targetE0EEEvSG_.num_agpr, 0
	.set _ZN7rocprim17ROCPRIM_400000_NS6detail17trampoline_kernelINS0_14default_configENS1_35radix_sort_onesweep_config_selectorItNS0_10empty_typeEEEZZNS1_29radix_sort_onesweep_iterationIS3_Lb1EPKtPtPS5_SB_mNS0_19identity_decomposerENS1_16block_id_wrapperIjLb0EEEEE10hipError_tT1_PNSt15iterator_traitsISG_E10value_typeET2_T3_PNSH_ISM_E10value_typeET4_T5_PSR_SS_PNS1_23onesweep_lookback_stateEbbT6_jjT7_P12ihipStream_tbENKUlT_T0_SG_SL_E_clISA_SA_SB_SB_EEDaSZ_S10_SG_SL_EUlSZ_E_NS1_11comp_targetILNS1_3genE2ELNS1_11target_archE906ELNS1_3gpuE6ELNS1_3repE0EEENS1_47radix_sort_onesweep_sort_config_static_selectorELNS0_4arch9wavefront6targetE0EEEvSG_.numbered_sgpr, 0
	.set _ZN7rocprim17ROCPRIM_400000_NS6detail17trampoline_kernelINS0_14default_configENS1_35radix_sort_onesweep_config_selectorItNS0_10empty_typeEEEZZNS1_29radix_sort_onesweep_iterationIS3_Lb1EPKtPtPS5_SB_mNS0_19identity_decomposerENS1_16block_id_wrapperIjLb0EEEEE10hipError_tT1_PNSt15iterator_traitsISG_E10value_typeET2_T3_PNSH_ISM_E10value_typeET4_T5_PSR_SS_PNS1_23onesweep_lookback_stateEbbT6_jjT7_P12ihipStream_tbENKUlT_T0_SG_SL_E_clISA_SA_SB_SB_EEDaSZ_S10_SG_SL_EUlSZ_E_NS1_11comp_targetILNS1_3genE2ELNS1_11target_archE906ELNS1_3gpuE6ELNS1_3repE0EEENS1_47radix_sort_onesweep_sort_config_static_selectorELNS0_4arch9wavefront6targetE0EEEvSG_.num_named_barrier, 0
	.set _ZN7rocprim17ROCPRIM_400000_NS6detail17trampoline_kernelINS0_14default_configENS1_35radix_sort_onesweep_config_selectorItNS0_10empty_typeEEEZZNS1_29radix_sort_onesweep_iterationIS3_Lb1EPKtPtPS5_SB_mNS0_19identity_decomposerENS1_16block_id_wrapperIjLb0EEEEE10hipError_tT1_PNSt15iterator_traitsISG_E10value_typeET2_T3_PNSH_ISM_E10value_typeET4_T5_PSR_SS_PNS1_23onesweep_lookback_stateEbbT6_jjT7_P12ihipStream_tbENKUlT_T0_SG_SL_E_clISA_SA_SB_SB_EEDaSZ_S10_SG_SL_EUlSZ_E_NS1_11comp_targetILNS1_3genE2ELNS1_11target_archE906ELNS1_3gpuE6ELNS1_3repE0EEENS1_47radix_sort_onesweep_sort_config_static_selectorELNS0_4arch9wavefront6targetE0EEEvSG_.private_seg_size, 0
	.set _ZN7rocprim17ROCPRIM_400000_NS6detail17trampoline_kernelINS0_14default_configENS1_35radix_sort_onesweep_config_selectorItNS0_10empty_typeEEEZZNS1_29radix_sort_onesweep_iterationIS3_Lb1EPKtPtPS5_SB_mNS0_19identity_decomposerENS1_16block_id_wrapperIjLb0EEEEE10hipError_tT1_PNSt15iterator_traitsISG_E10value_typeET2_T3_PNSH_ISM_E10value_typeET4_T5_PSR_SS_PNS1_23onesweep_lookback_stateEbbT6_jjT7_P12ihipStream_tbENKUlT_T0_SG_SL_E_clISA_SA_SB_SB_EEDaSZ_S10_SG_SL_EUlSZ_E_NS1_11comp_targetILNS1_3genE2ELNS1_11target_archE906ELNS1_3gpuE6ELNS1_3repE0EEENS1_47radix_sort_onesweep_sort_config_static_selectorELNS0_4arch9wavefront6targetE0EEEvSG_.uses_vcc, 0
	.set _ZN7rocprim17ROCPRIM_400000_NS6detail17trampoline_kernelINS0_14default_configENS1_35radix_sort_onesweep_config_selectorItNS0_10empty_typeEEEZZNS1_29radix_sort_onesweep_iterationIS3_Lb1EPKtPtPS5_SB_mNS0_19identity_decomposerENS1_16block_id_wrapperIjLb0EEEEE10hipError_tT1_PNSt15iterator_traitsISG_E10value_typeET2_T3_PNSH_ISM_E10value_typeET4_T5_PSR_SS_PNS1_23onesweep_lookback_stateEbbT6_jjT7_P12ihipStream_tbENKUlT_T0_SG_SL_E_clISA_SA_SB_SB_EEDaSZ_S10_SG_SL_EUlSZ_E_NS1_11comp_targetILNS1_3genE2ELNS1_11target_archE906ELNS1_3gpuE6ELNS1_3repE0EEENS1_47radix_sort_onesweep_sort_config_static_selectorELNS0_4arch9wavefront6targetE0EEEvSG_.uses_flat_scratch, 0
	.set _ZN7rocprim17ROCPRIM_400000_NS6detail17trampoline_kernelINS0_14default_configENS1_35radix_sort_onesweep_config_selectorItNS0_10empty_typeEEEZZNS1_29radix_sort_onesweep_iterationIS3_Lb1EPKtPtPS5_SB_mNS0_19identity_decomposerENS1_16block_id_wrapperIjLb0EEEEE10hipError_tT1_PNSt15iterator_traitsISG_E10value_typeET2_T3_PNSH_ISM_E10value_typeET4_T5_PSR_SS_PNS1_23onesweep_lookback_stateEbbT6_jjT7_P12ihipStream_tbENKUlT_T0_SG_SL_E_clISA_SA_SB_SB_EEDaSZ_S10_SG_SL_EUlSZ_E_NS1_11comp_targetILNS1_3genE2ELNS1_11target_archE906ELNS1_3gpuE6ELNS1_3repE0EEENS1_47radix_sort_onesweep_sort_config_static_selectorELNS0_4arch9wavefront6targetE0EEEvSG_.has_dyn_sized_stack, 0
	.set _ZN7rocprim17ROCPRIM_400000_NS6detail17trampoline_kernelINS0_14default_configENS1_35radix_sort_onesweep_config_selectorItNS0_10empty_typeEEEZZNS1_29radix_sort_onesweep_iterationIS3_Lb1EPKtPtPS5_SB_mNS0_19identity_decomposerENS1_16block_id_wrapperIjLb0EEEEE10hipError_tT1_PNSt15iterator_traitsISG_E10value_typeET2_T3_PNSH_ISM_E10value_typeET4_T5_PSR_SS_PNS1_23onesweep_lookback_stateEbbT6_jjT7_P12ihipStream_tbENKUlT_T0_SG_SL_E_clISA_SA_SB_SB_EEDaSZ_S10_SG_SL_EUlSZ_E_NS1_11comp_targetILNS1_3genE2ELNS1_11target_archE906ELNS1_3gpuE6ELNS1_3repE0EEENS1_47radix_sort_onesweep_sort_config_static_selectorELNS0_4arch9wavefront6targetE0EEEvSG_.has_recursion, 0
	.set _ZN7rocprim17ROCPRIM_400000_NS6detail17trampoline_kernelINS0_14default_configENS1_35radix_sort_onesweep_config_selectorItNS0_10empty_typeEEEZZNS1_29radix_sort_onesweep_iterationIS3_Lb1EPKtPtPS5_SB_mNS0_19identity_decomposerENS1_16block_id_wrapperIjLb0EEEEE10hipError_tT1_PNSt15iterator_traitsISG_E10value_typeET2_T3_PNSH_ISM_E10value_typeET4_T5_PSR_SS_PNS1_23onesweep_lookback_stateEbbT6_jjT7_P12ihipStream_tbENKUlT_T0_SG_SL_E_clISA_SA_SB_SB_EEDaSZ_S10_SG_SL_EUlSZ_E_NS1_11comp_targetILNS1_3genE2ELNS1_11target_archE906ELNS1_3gpuE6ELNS1_3repE0EEENS1_47radix_sort_onesweep_sort_config_static_selectorELNS0_4arch9wavefront6targetE0EEEvSG_.has_indirect_call, 0
	.section	.AMDGPU.csdata,"",@progbits
; Kernel info:
; codeLenInByte = 0
; TotalNumSgprs: 0
; NumVgprs: 0
; ScratchSize: 0
; MemoryBound: 0
; FloatMode: 240
; IeeeMode: 1
; LDSByteSize: 0 bytes/workgroup (compile time only)
; SGPRBlocks: 0
; VGPRBlocks: 0
; NumSGPRsForWavesPerEU: 1
; NumVGPRsForWavesPerEU: 1
; NamedBarCnt: 0
; Occupancy: 16
; WaveLimiterHint : 0
; COMPUTE_PGM_RSRC2:SCRATCH_EN: 0
; COMPUTE_PGM_RSRC2:USER_SGPR: 2
; COMPUTE_PGM_RSRC2:TRAP_HANDLER: 0
; COMPUTE_PGM_RSRC2:TGID_X_EN: 1
; COMPUTE_PGM_RSRC2:TGID_Y_EN: 0
; COMPUTE_PGM_RSRC2:TGID_Z_EN: 0
; COMPUTE_PGM_RSRC2:TIDIG_COMP_CNT: 0
	.section	.text._ZN7rocprim17ROCPRIM_400000_NS6detail17trampoline_kernelINS0_14default_configENS1_35radix_sort_onesweep_config_selectorItNS0_10empty_typeEEEZZNS1_29radix_sort_onesweep_iterationIS3_Lb1EPKtPtPS5_SB_mNS0_19identity_decomposerENS1_16block_id_wrapperIjLb0EEEEE10hipError_tT1_PNSt15iterator_traitsISG_E10value_typeET2_T3_PNSH_ISM_E10value_typeET4_T5_PSR_SS_PNS1_23onesweep_lookback_stateEbbT6_jjT7_P12ihipStream_tbENKUlT_T0_SG_SL_E_clISA_SA_SB_SB_EEDaSZ_S10_SG_SL_EUlSZ_E_NS1_11comp_targetILNS1_3genE4ELNS1_11target_archE910ELNS1_3gpuE8ELNS1_3repE0EEENS1_47radix_sort_onesweep_sort_config_static_selectorELNS0_4arch9wavefront6targetE0EEEvSG_,"axG",@progbits,_ZN7rocprim17ROCPRIM_400000_NS6detail17trampoline_kernelINS0_14default_configENS1_35radix_sort_onesweep_config_selectorItNS0_10empty_typeEEEZZNS1_29radix_sort_onesweep_iterationIS3_Lb1EPKtPtPS5_SB_mNS0_19identity_decomposerENS1_16block_id_wrapperIjLb0EEEEE10hipError_tT1_PNSt15iterator_traitsISG_E10value_typeET2_T3_PNSH_ISM_E10value_typeET4_T5_PSR_SS_PNS1_23onesweep_lookback_stateEbbT6_jjT7_P12ihipStream_tbENKUlT_T0_SG_SL_E_clISA_SA_SB_SB_EEDaSZ_S10_SG_SL_EUlSZ_E_NS1_11comp_targetILNS1_3genE4ELNS1_11target_archE910ELNS1_3gpuE8ELNS1_3repE0EEENS1_47radix_sort_onesweep_sort_config_static_selectorELNS0_4arch9wavefront6targetE0EEEvSG_,comdat
	.protected	_ZN7rocprim17ROCPRIM_400000_NS6detail17trampoline_kernelINS0_14default_configENS1_35radix_sort_onesweep_config_selectorItNS0_10empty_typeEEEZZNS1_29radix_sort_onesweep_iterationIS3_Lb1EPKtPtPS5_SB_mNS0_19identity_decomposerENS1_16block_id_wrapperIjLb0EEEEE10hipError_tT1_PNSt15iterator_traitsISG_E10value_typeET2_T3_PNSH_ISM_E10value_typeET4_T5_PSR_SS_PNS1_23onesweep_lookback_stateEbbT6_jjT7_P12ihipStream_tbENKUlT_T0_SG_SL_E_clISA_SA_SB_SB_EEDaSZ_S10_SG_SL_EUlSZ_E_NS1_11comp_targetILNS1_3genE4ELNS1_11target_archE910ELNS1_3gpuE8ELNS1_3repE0EEENS1_47radix_sort_onesweep_sort_config_static_selectorELNS0_4arch9wavefront6targetE0EEEvSG_ ; -- Begin function _ZN7rocprim17ROCPRIM_400000_NS6detail17trampoline_kernelINS0_14default_configENS1_35radix_sort_onesweep_config_selectorItNS0_10empty_typeEEEZZNS1_29radix_sort_onesweep_iterationIS3_Lb1EPKtPtPS5_SB_mNS0_19identity_decomposerENS1_16block_id_wrapperIjLb0EEEEE10hipError_tT1_PNSt15iterator_traitsISG_E10value_typeET2_T3_PNSH_ISM_E10value_typeET4_T5_PSR_SS_PNS1_23onesweep_lookback_stateEbbT6_jjT7_P12ihipStream_tbENKUlT_T0_SG_SL_E_clISA_SA_SB_SB_EEDaSZ_S10_SG_SL_EUlSZ_E_NS1_11comp_targetILNS1_3genE4ELNS1_11target_archE910ELNS1_3gpuE8ELNS1_3repE0EEENS1_47radix_sort_onesweep_sort_config_static_selectorELNS0_4arch9wavefront6targetE0EEEvSG_
	.globl	_ZN7rocprim17ROCPRIM_400000_NS6detail17trampoline_kernelINS0_14default_configENS1_35radix_sort_onesweep_config_selectorItNS0_10empty_typeEEEZZNS1_29radix_sort_onesweep_iterationIS3_Lb1EPKtPtPS5_SB_mNS0_19identity_decomposerENS1_16block_id_wrapperIjLb0EEEEE10hipError_tT1_PNSt15iterator_traitsISG_E10value_typeET2_T3_PNSH_ISM_E10value_typeET4_T5_PSR_SS_PNS1_23onesweep_lookback_stateEbbT6_jjT7_P12ihipStream_tbENKUlT_T0_SG_SL_E_clISA_SA_SB_SB_EEDaSZ_S10_SG_SL_EUlSZ_E_NS1_11comp_targetILNS1_3genE4ELNS1_11target_archE910ELNS1_3gpuE8ELNS1_3repE0EEENS1_47radix_sort_onesweep_sort_config_static_selectorELNS0_4arch9wavefront6targetE0EEEvSG_
	.p2align	8
	.type	_ZN7rocprim17ROCPRIM_400000_NS6detail17trampoline_kernelINS0_14default_configENS1_35radix_sort_onesweep_config_selectorItNS0_10empty_typeEEEZZNS1_29radix_sort_onesweep_iterationIS3_Lb1EPKtPtPS5_SB_mNS0_19identity_decomposerENS1_16block_id_wrapperIjLb0EEEEE10hipError_tT1_PNSt15iterator_traitsISG_E10value_typeET2_T3_PNSH_ISM_E10value_typeET4_T5_PSR_SS_PNS1_23onesweep_lookback_stateEbbT6_jjT7_P12ihipStream_tbENKUlT_T0_SG_SL_E_clISA_SA_SB_SB_EEDaSZ_S10_SG_SL_EUlSZ_E_NS1_11comp_targetILNS1_3genE4ELNS1_11target_archE910ELNS1_3gpuE8ELNS1_3repE0EEENS1_47radix_sort_onesweep_sort_config_static_selectorELNS0_4arch9wavefront6targetE0EEEvSG_,@function
_ZN7rocprim17ROCPRIM_400000_NS6detail17trampoline_kernelINS0_14default_configENS1_35radix_sort_onesweep_config_selectorItNS0_10empty_typeEEEZZNS1_29radix_sort_onesweep_iterationIS3_Lb1EPKtPtPS5_SB_mNS0_19identity_decomposerENS1_16block_id_wrapperIjLb0EEEEE10hipError_tT1_PNSt15iterator_traitsISG_E10value_typeET2_T3_PNSH_ISM_E10value_typeET4_T5_PSR_SS_PNS1_23onesweep_lookback_stateEbbT6_jjT7_P12ihipStream_tbENKUlT_T0_SG_SL_E_clISA_SA_SB_SB_EEDaSZ_S10_SG_SL_EUlSZ_E_NS1_11comp_targetILNS1_3genE4ELNS1_11target_archE910ELNS1_3gpuE8ELNS1_3repE0EEENS1_47radix_sort_onesweep_sort_config_static_selectorELNS0_4arch9wavefront6targetE0EEEvSG_: ; @_ZN7rocprim17ROCPRIM_400000_NS6detail17trampoline_kernelINS0_14default_configENS1_35radix_sort_onesweep_config_selectorItNS0_10empty_typeEEEZZNS1_29radix_sort_onesweep_iterationIS3_Lb1EPKtPtPS5_SB_mNS0_19identity_decomposerENS1_16block_id_wrapperIjLb0EEEEE10hipError_tT1_PNSt15iterator_traitsISG_E10value_typeET2_T3_PNSH_ISM_E10value_typeET4_T5_PSR_SS_PNS1_23onesweep_lookback_stateEbbT6_jjT7_P12ihipStream_tbENKUlT_T0_SG_SL_E_clISA_SA_SB_SB_EEDaSZ_S10_SG_SL_EUlSZ_E_NS1_11comp_targetILNS1_3genE4ELNS1_11target_archE910ELNS1_3gpuE8ELNS1_3repE0EEENS1_47radix_sort_onesweep_sort_config_static_selectorELNS0_4arch9wavefront6targetE0EEEvSG_
; %bb.0:
	.section	.rodata,"a",@progbits
	.p2align	6, 0x0
	.amdhsa_kernel _ZN7rocprim17ROCPRIM_400000_NS6detail17trampoline_kernelINS0_14default_configENS1_35radix_sort_onesweep_config_selectorItNS0_10empty_typeEEEZZNS1_29radix_sort_onesweep_iterationIS3_Lb1EPKtPtPS5_SB_mNS0_19identity_decomposerENS1_16block_id_wrapperIjLb0EEEEE10hipError_tT1_PNSt15iterator_traitsISG_E10value_typeET2_T3_PNSH_ISM_E10value_typeET4_T5_PSR_SS_PNS1_23onesweep_lookback_stateEbbT6_jjT7_P12ihipStream_tbENKUlT_T0_SG_SL_E_clISA_SA_SB_SB_EEDaSZ_S10_SG_SL_EUlSZ_E_NS1_11comp_targetILNS1_3genE4ELNS1_11target_archE910ELNS1_3gpuE8ELNS1_3repE0EEENS1_47radix_sort_onesweep_sort_config_static_selectorELNS0_4arch9wavefront6targetE0EEEvSG_
		.amdhsa_group_segment_fixed_size 0
		.amdhsa_private_segment_fixed_size 0
		.amdhsa_kernarg_size 88
		.amdhsa_user_sgpr_count 2
		.amdhsa_user_sgpr_dispatch_ptr 0
		.amdhsa_user_sgpr_queue_ptr 0
		.amdhsa_user_sgpr_kernarg_segment_ptr 1
		.amdhsa_user_sgpr_dispatch_id 0
		.amdhsa_user_sgpr_kernarg_preload_length 0
		.amdhsa_user_sgpr_kernarg_preload_offset 0
		.amdhsa_user_sgpr_private_segment_size 0
		.amdhsa_wavefront_size32 1
		.amdhsa_uses_dynamic_stack 0
		.amdhsa_enable_private_segment 0
		.amdhsa_system_sgpr_workgroup_id_x 1
		.amdhsa_system_sgpr_workgroup_id_y 0
		.amdhsa_system_sgpr_workgroup_id_z 0
		.amdhsa_system_sgpr_workgroup_info 0
		.amdhsa_system_vgpr_workitem_id 0
		.amdhsa_next_free_vgpr 1
		.amdhsa_next_free_sgpr 1
		.amdhsa_named_barrier_count 0
		.amdhsa_reserve_vcc 0
		.amdhsa_float_round_mode_32 0
		.amdhsa_float_round_mode_16_64 0
		.amdhsa_float_denorm_mode_32 3
		.amdhsa_float_denorm_mode_16_64 3
		.amdhsa_fp16_overflow 0
		.amdhsa_memory_ordered 1
		.amdhsa_forward_progress 1
		.amdhsa_inst_pref_size 0
		.amdhsa_round_robin_scheduling 0
		.amdhsa_exception_fp_ieee_invalid_op 0
		.amdhsa_exception_fp_denorm_src 0
		.amdhsa_exception_fp_ieee_div_zero 0
		.amdhsa_exception_fp_ieee_overflow 0
		.amdhsa_exception_fp_ieee_underflow 0
		.amdhsa_exception_fp_ieee_inexact 0
		.amdhsa_exception_int_div_zero 0
	.end_amdhsa_kernel
	.section	.text._ZN7rocprim17ROCPRIM_400000_NS6detail17trampoline_kernelINS0_14default_configENS1_35radix_sort_onesweep_config_selectorItNS0_10empty_typeEEEZZNS1_29radix_sort_onesweep_iterationIS3_Lb1EPKtPtPS5_SB_mNS0_19identity_decomposerENS1_16block_id_wrapperIjLb0EEEEE10hipError_tT1_PNSt15iterator_traitsISG_E10value_typeET2_T3_PNSH_ISM_E10value_typeET4_T5_PSR_SS_PNS1_23onesweep_lookback_stateEbbT6_jjT7_P12ihipStream_tbENKUlT_T0_SG_SL_E_clISA_SA_SB_SB_EEDaSZ_S10_SG_SL_EUlSZ_E_NS1_11comp_targetILNS1_3genE4ELNS1_11target_archE910ELNS1_3gpuE8ELNS1_3repE0EEENS1_47radix_sort_onesweep_sort_config_static_selectorELNS0_4arch9wavefront6targetE0EEEvSG_,"axG",@progbits,_ZN7rocprim17ROCPRIM_400000_NS6detail17trampoline_kernelINS0_14default_configENS1_35radix_sort_onesweep_config_selectorItNS0_10empty_typeEEEZZNS1_29radix_sort_onesweep_iterationIS3_Lb1EPKtPtPS5_SB_mNS0_19identity_decomposerENS1_16block_id_wrapperIjLb0EEEEE10hipError_tT1_PNSt15iterator_traitsISG_E10value_typeET2_T3_PNSH_ISM_E10value_typeET4_T5_PSR_SS_PNS1_23onesweep_lookback_stateEbbT6_jjT7_P12ihipStream_tbENKUlT_T0_SG_SL_E_clISA_SA_SB_SB_EEDaSZ_S10_SG_SL_EUlSZ_E_NS1_11comp_targetILNS1_3genE4ELNS1_11target_archE910ELNS1_3gpuE8ELNS1_3repE0EEENS1_47radix_sort_onesweep_sort_config_static_selectorELNS0_4arch9wavefront6targetE0EEEvSG_,comdat
.Lfunc_end2417:
	.size	_ZN7rocprim17ROCPRIM_400000_NS6detail17trampoline_kernelINS0_14default_configENS1_35radix_sort_onesweep_config_selectorItNS0_10empty_typeEEEZZNS1_29radix_sort_onesweep_iterationIS3_Lb1EPKtPtPS5_SB_mNS0_19identity_decomposerENS1_16block_id_wrapperIjLb0EEEEE10hipError_tT1_PNSt15iterator_traitsISG_E10value_typeET2_T3_PNSH_ISM_E10value_typeET4_T5_PSR_SS_PNS1_23onesweep_lookback_stateEbbT6_jjT7_P12ihipStream_tbENKUlT_T0_SG_SL_E_clISA_SA_SB_SB_EEDaSZ_S10_SG_SL_EUlSZ_E_NS1_11comp_targetILNS1_3genE4ELNS1_11target_archE910ELNS1_3gpuE8ELNS1_3repE0EEENS1_47radix_sort_onesweep_sort_config_static_selectorELNS0_4arch9wavefront6targetE0EEEvSG_, .Lfunc_end2417-_ZN7rocprim17ROCPRIM_400000_NS6detail17trampoline_kernelINS0_14default_configENS1_35radix_sort_onesweep_config_selectorItNS0_10empty_typeEEEZZNS1_29radix_sort_onesweep_iterationIS3_Lb1EPKtPtPS5_SB_mNS0_19identity_decomposerENS1_16block_id_wrapperIjLb0EEEEE10hipError_tT1_PNSt15iterator_traitsISG_E10value_typeET2_T3_PNSH_ISM_E10value_typeET4_T5_PSR_SS_PNS1_23onesweep_lookback_stateEbbT6_jjT7_P12ihipStream_tbENKUlT_T0_SG_SL_E_clISA_SA_SB_SB_EEDaSZ_S10_SG_SL_EUlSZ_E_NS1_11comp_targetILNS1_3genE4ELNS1_11target_archE910ELNS1_3gpuE8ELNS1_3repE0EEENS1_47radix_sort_onesweep_sort_config_static_selectorELNS0_4arch9wavefront6targetE0EEEvSG_
                                        ; -- End function
	.set _ZN7rocprim17ROCPRIM_400000_NS6detail17trampoline_kernelINS0_14default_configENS1_35radix_sort_onesweep_config_selectorItNS0_10empty_typeEEEZZNS1_29radix_sort_onesweep_iterationIS3_Lb1EPKtPtPS5_SB_mNS0_19identity_decomposerENS1_16block_id_wrapperIjLb0EEEEE10hipError_tT1_PNSt15iterator_traitsISG_E10value_typeET2_T3_PNSH_ISM_E10value_typeET4_T5_PSR_SS_PNS1_23onesweep_lookback_stateEbbT6_jjT7_P12ihipStream_tbENKUlT_T0_SG_SL_E_clISA_SA_SB_SB_EEDaSZ_S10_SG_SL_EUlSZ_E_NS1_11comp_targetILNS1_3genE4ELNS1_11target_archE910ELNS1_3gpuE8ELNS1_3repE0EEENS1_47radix_sort_onesweep_sort_config_static_selectorELNS0_4arch9wavefront6targetE0EEEvSG_.num_vgpr, 0
	.set _ZN7rocprim17ROCPRIM_400000_NS6detail17trampoline_kernelINS0_14default_configENS1_35radix_sort_onesweep_config_selectorItNS0_10empty_typeEEEZZNS1_29radix_sort_onesweep_iterationIS3_Lb1EPKtPtPS5_SB_mNS0_19identity_decomposerENS1_16block_id_wrapperIjLb0EEEEE10hipError_tT1_PNSt15iterator_traitsISG_E10value_typeET2_T3_PNSH_ISM_E10value_typeET4_T5_PSR_SS_PNS1_23onesweep_lookback_stateEbbT6_jjT7_P12ihipStream_tbENKUlT_T0_SG_SL_E_clISA_SA_SB_SB_EEDaSZ_S10_SG_SL_EUlSZ_E_NS1_11comp_targetILNS1_3genE4ELNS1_11target_archE910ELNS1_3gpuE8ELNS1_3repE0EEENS1_47radix_sort_onesweep_sort_config_static_selectorELNS0_4arch9wavefront6targetE0EEEvSG_.num_agpr, 0
	.set _ZN7rocprim17ROCPRIM_400000_NS6detail17trampoline_kernelINS0_14default_configENS1_35radix_sort_onesweep_config_selectorItNS0_10empty_typeEEEZZNS1_29radix_sort_onesweep_iterationIS3_Lb1EPKtPtPS5_SB_mNS0_19identity_decomposerENS1_16block_id_wrapperIjLb0EEEEE10hipError_tT1_PNSt15iterator_traitsISG_E10value_typeET2_T3_PNSH_ISM_E10value_typeET4_T5_PSR_SS_PNS1_23onesweep_lookback_stateEbbT6_jjT7_P12ihipStream_tbENKUlT_T0_SG_SL_E_clISA_SA_SB_SB_EEDaSZ_S10_SG_SL_EUlSZ_E_NS1_11comp_targetILNS1_3genE4ELNS1_11target_archE910ELNS1_3gpuE8ELNS1_3repE0EEENS1_47radix_sort_onesweep_sort_config_static_selectorELNS0_4arch9wavefront6targetE0EEEvSG_.numbered_sgpr, 0
	.set _ZN7rocprim17ROCPRIM_400000_NS6detail17trampoline_kernelINS0_14default_configENS1_35radix_sort_onesweep_config_selectorItNS0_10empty_typeEEEZZNS1_29radix_sort_onesweep_iterationIS3_Lb1EPKtPtPS5_SB_mNS0_19identity_decomposerENS1_16block_id_wrapperIjLb0EEEEE10hipError_tT1_PNSt15iterator_traitsISG_E10value_typeET2_T3_PNSH_ISM_E10value_typeET4_T5_PSR_SS_PNS1_23onesweep_lookback_stateEbbT6_jjT7_P12ihipStream_tbENKUlT_T0_SG_SL_E_clISA_SA_SB_SB_EEDaSZ_S10_SG_SL_EUlSZ_E_NS1_11comp_targetILNS1_3genE4ELNS1_11target_archE910ELNS1_3gpuE8ELNS1_3repE0EEENS1_47radix_sort_onesweep_sort_config_static_selectorELNS0_4arch9wavefront6targetE0EEEvSG_.num_named_barrier, 0
	.set _ZN7rocprim17ROCPRIM_400000_NS6detail17trampoline_kernelINS0_14default_configENS1_35radix_sort_onesweep_config_selectorItNS0_10empty_typeEEEZZNS1_29radix_sort_onesweep_iterationIS3_Lb1EPKtPtPS5_SB_mNS0_19identity_decomposerENS1_16block_id_wrapperIjLb0EEEEE10hipError_tT1_PNSt15iterator_traitsISG_E10value_typeET2_T3_PNSH_ISM_E10value_typeET4_T5_PSR_SS_PNS1_23onesweep_lookback_stateEbbT6_jjT7_P12ihipStream_tbENKUlT_T0_SG_SL_E_clISA_SA_SB_SB_EEDaSZ_S10_SG_SL_EUlSZ_E_NS1_11comp_targetILNS1_3genE4ELNS1_11target_archE910ELNS1_3gpuE8ELNS1_3repE0EEENS1_47radix_sort_onesweep_sort_config_static_selectorELNS0_4arch9wavefront6targetE0EEEvSG_.private_seg_size, 0
	.set _ZN7rocprim17ROCPRIM_400000_NS6detail17trampoline_kernelINS0_14default_configENS1_35radix_sort_onesweep_config_selectorItNS0_10empty_typeEEEZZNS1_29radix_sort_onesweep_iterationIS3_Lb1EPKtPtPS5_SB_mNS0_19identity_decomposerENS1_16block_id_wrapperIjLb0EEEEE10hipError_tT1_PNSt15iterator_traitsISG_E10value_typeET2_T3_PNSH_ISM_E10value_typeET4_T5_PSR_SS_PNS1_23onesweep_lookback_stateEbbT6_jjT7_P12ihipStream_tbENKUlT_T0_SG_SL_E_clISA_SA_SB_SB_EEDaSZ_S10_SG_SL_EUlSZ_E_NS1_11comp_targetILNS1_3genE4ELNS1_11target_archE910ELNS1_3gpuE8ELNS1_3repE0EEENS1_47radix_sort_onesweep_sort_config_static_selectorELNS0_4arch9wavefront6targetE0EEEvSG_.uses_vcc, 0
	.set _ZN7rocprim17ROCPRIM_400000_NS6detail17trampoline_kernelINS0_14default_configENS1_35radix_sort_onesweep_config_selectorItNS0_10empty_typeEEEZZNS1_29radix_sort_onesweep_iterationIS3_Lb1EPKtPtPS5_SB_mNS0_19identity_decomposerENS1_16block_id_wrapperIjLb0EEEEE10hipError_tT1_PNSt15iterator_traitsISG_E10value_typeET2_T3_PNSH_ISM_E10value_typeET4_T5_PSR_SS_PNS1_23onesweep_lookback_stateEbbT6_jjT7_P12ihipStream_tbENKUlT_T0_SG_SL_E_clISA_SA_SB_SB_EEDaSZ_S10_SG_SL_EUlSZ_E_NS1_11comp_targetILNS1_3genE4ELNS1_11target_archE910ELNS1_3gpuE8ELNS1_3repE0EEENS1_47radix_sort_onesweep_sort_config_static_selectorELNS0_4arch9wavefront6targetE0EEEvSG_.uses_flat_scratch, 0
	.set _ZN7rocprim17ROCPRIM_400000_NS6detail17trampoline_kernelINS0_14default_configENS1_35radix_sort_onesweep_config_selectorItNS0_10empty_typeEEEZZNS1_29radix_sort_onesweep_iterationIS3_Lb1EPKtPtPS5_SB_mNS0_19identity_decomposerENS1_16block_id_wrapperIjLb0EEEEE10hipError_tT1_PNSt15iterator_traitsISG_E10value_typeET2_T3_PNSH_ISM_E10value_typeET4_T5_PSR_SS_PNS1_23onesweep_lookback_stateEbbT6_jjT7_P12ihipStream_tbENKUlT_T0_SG_SL_E_clISA_SA_SB_SB_EEDaSZ_S10_SG_SL_EUlSZ_E_NS1_11comp_targetILNS1_3genE4ELNS1_11target_archE910ELNS1_3gpuE8ELNS1_3repE0EEENS1_47radix_sort_onesweep_sort_config_static_selectorELNS0_4arch9wavefront6targetE0EEEvSG_.has_dyn_sized_stack, 0
	.set _ZN7rocprim17ROCPRIM_400000_NS6detail17trampoline_kernelINS0_14default_configENS1_35radix_sort_onesweep_config_selectorItNS0_10empty_typeEEEZZNS1_29radix_sort_onesweep_iterationIS3_Lb1EPKtPtPS5_SB_mNS0_19identity_decomposerENS1_16block_id_wrapperIjLb0EEEEE10hipError_tT1_PNSt15iterator_traitsISG_E10value_typeET2_T3_PNSH_ISM_E10value_typeET4_T5_PSR_SS_PNS1_23onesweep_lookback_stateEbbT6_jjT7_P12ihipStream_tbENKUlT_T0_SG_SL_E_clISA_SA_SB_SB_EEDaSZ_S10_SG_SL_EUlSZ_E_NS1_11comp_targetILNS1_3genE4ELNS1_11target_archE910ELNS1_3gpuE8ELNS1_3repE0EEENS1_47radix_sort_onesweep_sort_config_static_selectorELNS0_4arch9wavefront6targetE0EEEvSG_.has_recursion, 0
	.set _ZN7rocprim17ROCPRIM_400000_NS6detail17trampoline_kernelINS0_14default_configENS1_35radix_sort_onesweep_config_selectorItNS0_10empty_typeEEEZZNS1_29radix_sort_onesweep_iterationIS3_Lb1EPKtPtPS5_SB_mNS0_19identity_decomposerENS1_16block_id_wrapperIjLb0EEEEE10hipError_tT1_PNSt15iterator_traitsISG_E10value_typeET2_T3_PNSH_ISM_E10value_typeET4_T5_PSR_SS_PNS1_23onesweep_lookback_stateEbbT6_jjT7_P12ihipStream_tbENKUlT_T0_SG_SL_E_clISA_SA_SB_SB_EEDaSZ_S10_SG_SL_EUlSZ_E_NS1_11comp_targetILNS1_3genE4ELNS1_11target_archE910ELNS1_3gpuE8ELNS1_3repE0EEENS1_47radix_sort_onesweep_sort_config_static_selectorELNS0_4arch9wavefront6targetE0EEEvSG_.has_indirect_call, 0
	.section	.AMDGPU.csdata,"",@progbits
; Kernel info:
; codeLenInByte = 0
; TotalNumSgprs: 0
; NumVgprs: 0
; ScratchSize: 0
; MemoryBound: 0
; FloatMode: 240
; IeeeMode: 1
; LDSByteSize: 0 bytes/workgroup (compile time only)
; SGPRBlocks: 0
; VGPRBlocks: 0
; NumSGPRsForWavesPerEU: 1
; NumVGPRsForWavesPerEU: 1
; NamedBarCnt: 0
; Occupancy: 16
; WaveLimiterHint : 0
; COMPUTE_PGM_RSRC2:SCRATCH_EN: 0
; COMPUTE_PGM_RSRC2:USER_SGPR: 2
; COMPUTE_PGM_RSRC2:TRAP_HANDLER: 0
; COMPUTE_PGM_RSRC2:TGID_X_EN: 1
; COMPUTE_PGM_RSRC2:TGID_Y_EN: 0
; COMPUTE_PGM_RSRC2:TGID_Z_EN: 0
; COMPUTE_PGM_RSRC2:TIDIG_COMP_CNT: 0
	.section	.text._ZN7rocprim17ROCPRIM_400000_NS6detail17trampoline_kernelINS0_14default_configENS1_35radix_sort_onesweep_config_selectorItNS0_10empty_typeEEEZZNS1_29radix_sort_onesweep_iterationIS3_Lb1EPKtPtPS5_SB_mNS0_19identity_decomposerENS1_16block_id_wrapperIjLb0EEEEE10hipError_tT1_PNSt15iterator_traitsISG_E10value_typeET2_T3_PNSH_ISM_E10value_typeET4_T5_PSR_SS_PNS1_23onesweep_lookback_stateEbbT6_jjT7_P12ihipStream_tbENKUlT_T0_SG_SL_E_clISA_SA_SB_SB_EEDaSZ_S10_SG_SL_EUlSZ_E_NS1_11comp_targetILNS1_3genE3ELNS1_11target_archE908ELNS1_3gpuE7ELNS1_3repE0EEENS1_47radix_sort_onesweep_sort_config_static_selectorELNS0_4arch9wavefront6targetE0EEEvSG_,"axG",@progbits,_ZN7rocprim17ROCPRIM_400000_NS6detail17trampoline_kernelINS0_14default_configENS1_35radix_sort_onesweep_config_selectorItNS0_10empty_typeEEEZZNS1_29radix_sort_onesweep_iterationIS3_Lb1EPKtPtPS5_SB_mNS0_19identity_decomposerENS1_16block_id_wrapperIjLb0EEEEE10hipError_tT1_PNSt15iterator_traitsISG_E10value_typeET2_T3_PNSH_ISM_E10value_typeET4_T5_PSR_SS_PNS1_23onesweep_lookback_stateEbbT6_jjT7_P12ihipStream_tbENKUlT_T0_SG_SL_E_clISA_SA_SB_SB_EEDaSZ_S10_SG_SL_EUlSZ_E_NS1_11comp_targetILNS1_3genE3ELNS1_11target_archE908ELNS1_3gpuE7ELNS1_3repE0EEENS1_47radix_sort_onesweep_sort_config_static_selectorELNS0_4arch9wavefront6targetE0EEEvSG_,comdat
	.protected	_ZN7rocprim17ROCPRIM_400000_NS6detail17trampoline_kernelINS0_14default_configENS1_35radix_sort_onesweep_config_selectorItNS0_10empty_typeEEEZZNS1_29radix_sort_onesweep_iterationIS3_Lb1EPKtPtPS5_SB_mNS0_19identity_decomposerENS1_16block_id_wrapperIjLb0EEEEE10hipError_tT1_PNSt15iterator_traitsISG_E10value_typeET2_T3_PNSH_ISM_E10value_typeET4_T5_PSR_SS_PNS1_23onesweep_lookback_stateEbbT6_jjT7_P12ihipStream_tbENKUlT_T0_SG_SL_E_clISA_SA_SB_SB_EEDaSZ_S10_SG_SL_EUlSZ_E_NS1_11comp_targetILNS1_3genE3ELNS1_11target_archE908ELNS1_3gpuE7ELNS1_3repE0EEENS1_47radix_sort_onesweep_sort_config_static_selectorELNS0_4arch9wavefront6targetE0EEEvSG_ ; -- Begin function _ZN7rocprim17ROCPRIM_400000_NS6detail17trampoline_kernelINS0_14default_configENS1_35radix_sort_onesweep_config_selectorItNS0_10empty_typeEEEZZNS1_29radix_sort_onesweep_iterationIS3_Lb1EPKtPtPS5_SB_mNS0_19identity_decomposerENS1_16block_id_wrapperIjLb0EEEEE10hipError_tT1_PNSt15iterator_traitsISG_E10value_typeET2_T3_PNSH_ISM_E10value_typeET4_T5_PSR_SS_PNS1_23onesweep_lookback_stateEbbT6_jjT7_P12ihipStream_tbENKUlT_T0_SG_SL_E_clISA_SA_SB_SB_EEDaSZ_S10_SG_SL_EUlSZ_E_NS1_11comp_targetILNS1_3genE3ELNS1_11target_archE908ELNS1_3gpuE7ELNS1_3repE0EEENS1_47radix_sort_onesweep_sort_config_static_selectorELNS0_4arch9wavefront6targetE0EEEvSG_
	.globl	_ZN7rocprim17ROCPRIM_400000_NS6detail17trampoline_kernelINS0_14default_configENS1_35radix_sort_onesweep_config_selectorItNS0_10empty_typeEEEZZNS1_29radix_sort_onesweep_iterationIS3_Lb1EPKtPtPS5_SB_mNS0_19identity_decomposerENS1_16block_id_wrapperIjLb0EEEEE10hipError_tT1_PNSt15iterator_traitsISG_E10value_typeET2_T3_PNSH_ISM_E10value_typeET4_T5_PSR_SS_PNS1_23onesweep_lookback_stateEbbT6_jjT7_P12ihipStream_tbENKUlT_T0_SG_SL_E_clISA_SA_SB_SB_EEDaSZ_S10_SG_SL_EUlSZ_E_NS1_11comp_targetILNS1_3genE3ELNS1_11target_archE908ELNS1_3gpuE7ELNS1_3repE0EEENS1_47radix_sort_onesweep_sort_config_static_selectorELNS0_4arch9wavefront6targetE0EEEvSG_
	.p2align	8
	.type	_ZN7rocprim17ROCPRIM_400000_NS6detail17trampoline_kernelINS0_14default_configENS1_35radix_sort_onesweep_config_selectorItNS0_10empty_typeEEEZZNS1_29radix_sort_onesweep_iterationIS3_Lb1EPKtPtPS5_SB_mNS0_19identity_decomposerENS1_16block_id_wrapperIjLb0EEEEE10hipError_tT1_PNSt15iterator_traitsISG_E10value_typeET2_T3_PNSH_ISM_E10value_typeET4_T5_PSR_SS_PNS1_23onesweep_lookback_stateEbbT6_jjT7_P12ihipStream_tbENKUlT_T0_SG_SL_E_clISA_SA_SB_SB_EEDaSZ_S10_SG_SL_EUlSZ_E_NS1_11comp_targetILNS1_3genE3ELNS1_11target_archE908ELNS1_3gpuE7ELNS1_3repE0EEENS1_47radix_sort_onesweep_sort_config_static_selectorELNS0_4arch9wavefront6targetE0EEEvSG_,@function
_ZN7rocprim17ROCPRIM_400000_NS6detail17trampoline_kernelINS0_14default_configENS1_35radix_sort_onesweep_config_selectorItNS0_10empty_typeEEEZZNS1_29radix_sort_onesweep_iterationIS3_Lb1EPKtPtPS5_SB_mNS0_19identity_decomposerENS1_16block_id_wrapperIjLb0EEEEE10hipError_tT1_PNSt15iterator_traitsISG_E10value_typeET2_T3_PNSH_ISM_E10value_typeET4_T5_PSR_SS_PNS1_23onesweep_lookback_stateEbbT6_jjT7_P12ihipStream_tbENKUlT_T0_SG_SL_E_clISA_SA_SB_SB_EEDaSZ_S10_SG_SL_EUlSZ_E_NS1_11comp_targetILNS1_3genE3ELNS1_11target_archE908ELNS1_3gpuE7ELNS1_3repE0EEENS1_47radix_sort_onesweep_sort_config_static_selectorELNS0_4arch9wavefront6targetE0EEEvSG_: ; @_ZN7rocprim17ROCPRIM_400000_NS6detail17trampoline_kernelINS0_14default_configENS1_35radix_sort_onesweep_config_selectorItNS0_10empty_typeEEEZZNS1_29radix_sort_onesweep_iterationIS3_Lb1EPKtPtPS5_SB_mNS0_19identity_decomposerENS1_16block_id_wrapperIjLb0EEEEE10hipError_tT1_PNSt15iterator_traitsISG_E10value_typeET2_T3_PNSH_ISM_E10value_typeET4_T5_PSR_SS_PNS1_23onesweep_lookback_stateEbbT6_jjT7_P12ihipStream_tbENKUlT_T0_SG_SL_E_clISA_SA_SB_SB_EEDaSZ_S10_SG_SL_EUlSZ_E_NS1_11comp_targetILNS1_3genE3ELNS1_11target_archE908ELNS1_3gpuE7ELNS1_3repE0EEENS1_47radix_sort_onesweep_sort_config_static_selectorELNS0_4arch9wavefront6targetE0EEEvSG_
; %bb.0:
	.section	.rodata,"a",@progbits
	.p2align	6, 0x0
	.amdhsa_kernel _ZN7rocprim17ROCPRIM_400000_NS6detail17trampoline_kernelINS0_14default_configENS1_35radix_sort_onesweep_config_selectorItNS0_10empty_typeEEEZZNS1_29radix_sort_onesweep_iterationIS3_Lb1EPKtPtPS5_SB_mNS0_19identity_decomposerENS1_16block_id_wrapperIjLb0EEEEE10hipError_tT1_PNSt15iterator_traitsISG_E10value_typeET2_T3_PNSH_ISM_E10value_typeET4_T5_PSR_SS_PNS1_23onesweep_lookback_stateEbbT6_jjT7_P12ihipStream_tbENKUlT_T0_SG_SL_E_clISA_SA_SB_SB_EEDaSZ_S10_SG_SL_EUlSZ_E_NS1_11comp_targetILNS1_3genE3ELNS1_11target_archE908ELNS1_3gpuE7ELNS1_3repE0EEENS1_47radix_sort_onesweep_sort_config_static_selectorELNS0_4arch9wavefront6targetE0EEEvSG_
		.amdhsa_group_segment_fixed_size 0
		.amdhsa_private_segment_fixed_size 0
		.amdhsa_kernarg_size 88
		.amdhsa_user_sgpr_count 2
		.amdhsa_user_sgpr_dispatch_ptr 0
		.amdhsa_user_sgpr_queue_ptr 0
		.amdhsa_user_sgpr_kernarg_segment_ptr 1
		.amdhsa_user_sgpr_dispatch_id 0
		.amdhsa_user_sgpr_kernarg_preload_length 0
		.amdhsa_user_sgpr_kernarg_preload_offset 0
		.amdhsa_user_sgpr_private_segment_size 0
		.amdhsa_wavefront_size32 1
		.amdhsa_uses_dynamic_stack 0
		.amdhsa_enable_private_segment 0
		.amdhsa_system_sgpr_workgroup_id_x 1
		.amdhsa_system_sgpr_workgroup_id_y 0
		.amdhsa_system_sgpr_workgroup_id_z 0
		.amdhsa_system_sgpr_workgroup_info 0
		.amdhsa_system_vgpr_workitem_id 0
		.amdhsa_next_free_vgpr 1
		.amdhsa_next_free_sgpr 1
		.amdhsa_named_barrier_count 0
		.amdhsa_reserve_vcc 0
		.amdhsa_float_round_mode_32 0
		.amdhsa_float_round_mode_16_64 0
		.amdhsa_float_denorm_mode_32 3
		.amdhsa_float_denorm_mode_16_64 3
		.amdhsa_fp16_overflow 0
		.amdhsa_memory_ordered 1
		.amdhsa_forward_progress 1
		.amdhsa_inst_pref_size 0
		.amdhsa_round_robin_scheduling 0
		.amdhsa_exception_fp_ieee_invalid_op 0
		.amdhsa_exception_fp_denorm_src 0
		.amdhsa_exception_fp_ieee_div_zero 0
		.amdhsa_exception_fp_ieee_overflow 0
		.amdhsa_exception_fp_ieee_underflow 0
		.amdhsa_exception_fp_ieee_inexact 0
		.amdhsa_exception_int_div_zero 0
	.end_amdhsa_kernel
	.section	.text._ZN7rocprim17ROCPRIM_400000_NS6detail17trampoline_kernelINS0_14default_configENS1_35radix_sort_onesweep_config_selectorItNS0_10empty_typeEEEZZNS1_29radix_sort_onesweep_iterationIS3_Lb1EPKtPtPS5_SB_mNS0_19identity_decomposerENS1_16block_id_wrapperIjLb0EEEEE10hipError_tT1_PNSt15iterator_traitsISG_E10value_typeET2_T3_PNSH_ISM_E10value_typeET4_T5_PSR_SS_PNS1_23onesweep_lookback_stateEbbT6_jjT7_P12ihipStream_tbENKUlT_T0_SG_SL_E_clISA_SA_SB_SB_EEDaSZ_S10_SG_SL_EUlSZ_E_NS1_11comp_targetILNS1_3genE3ELNS1_11target_archE908ELNS1_3gpuE7ELNS1_3repE0EEENS1_47radix_sort_onesweep_sort_config_static_selectorELNS0_4arch9wavefront6targetE0EEEvSG_,"axG",@progbits,_ZN7rocprim17ROCPRIM_400000_NS6detail17trampoline_kernelINS0_14default_configENS1_35radix_sort_onesweep_config_selectorItNS0_10empty_typeEEEZZNS1_29radix_sort_onesweep_iterationIS3_Lb1EPKtPtPS5_SB_mNS0_19identity_decomposerENS1_16block_id_wrapperIjLb0EEEEE10hipError_tT1_PNSt15iterator_traitsISG_E10value_typeET2_T3_PNSH_ISM_E10value_typeET4_T5_PSR_SS_PNS1_23onesweep_lookback_stateEbbT6_jjT7_P12ihipStream_tbENKUlT_T0_SG_SL_E_clISA_SA_SB_SB_EEDaSZ_S10_SG_SL_EUlSZ_E_NS1_11comp_targetILNS1_3genE3ELNS1_11target_archE908ELNS1_3gpuE7ELNS1_3repE0EEENS1_47radix_sort_onesweep_sort_config_static_selectorELNS0_4arch9wavefront6targetE0EEEvSG_,comdat
.Lfunc_end2418:
	.size	_ZN7rocprim17ROCPRIM_400000_NS6detail17trampoline_kernelINS0_14default_configENS1_35radix_sort_onesweep_config_selectorItNS0_10empty_typeEEEZZNS1_29radix_sort_onesweep_iterationIS3_Lb1EPKtPtPS5_SB_mNS0_19identity_decomposerENS1_16block_id_wrapperIjLb0EEEEE10hipError_tT1_PNSt15iterator_traitsISG_E10value_typeET2_T3_PNSH_ISM_E10value_typeET4_T5_PSR_SS_PNS1_23onesweep_lookback_stateEbbT6_jjT7_P12ihipStream_tbENKUlT_T0_SG_SL_E_clISA_SA_SB_SB_EEDaSZ_S10_SG_SL_EUlSZ_E_NS1_11comp_targetILNS1_3genE3ELNS1_11target_archE908ELNS1_3gpuE7ELNS1_3repE0EEENS1_47radix_sort_onesweep_sort_config_static_selectorELNS0_4arch9wavefront6targetE0EEEvSG_, .Lfunc_end2418-_ZN7rocprim17ROCPRIM_400000_NS6detail17trampoline_kernelINS0_14default_configENS1_35radix_sort_onesweep_config_selectorItNS0_10empty_typeEEEZZNS1_29radix_sort_onesweep_iterationIS3_Lb1EPKtPtPS5_SB_mNS0_19identity_decomposerENS1_16block_id_wrapperIjLb0EEEEE10hipError_tT1_PNSt15iterator_traitsISG_E10value_typeET2_T3_PNSH_ISM_E10value_typeET4_T5_PSR_SS_PNS1_23onesweep_lookback_stateEbbT6_jjT7_P12ihipStream_tbENKUlT_T0_SG_SL_E_clISA_SA_SB_SB_EEDaSZ_S10_SG_SL_EUlSZ_E_NS1_11comp_targetILNS1_3genE3ELNS1_11target_archE908ELNS1_3gpuE7ELNS1_3repE0EEENS1_47radix_sort_onesweep_sort_config_static_selectorELNS0_4arch9wavefront6targetE0EEEvSG_
                                        ; -- End function
	.set _ZN7rocprim17ROCPRIM_400000_NS6detail17trampoline_kernelINS0_14default_configENS1_35radix_sort_onesweep_config_selectorItNS0_10empty_typeEEEZZNS1_29radix_sort_onesweep_iterationIS3_Lb1EPKtPtPS5_SB_mNS0_19identity_decomposerENS1_16block_id_wrapperIjLb0EEEEE10hipError_tT1_PNSt15iterator_traitsISG_E10value_typeET2_T3_PNSH_ISM_E10value_typeET4_T5_PSR_SS_PNS1_23onesweep_lookback_stateEbbT6_jjT7_P12ihipStream_tbENKUlT_T0_SG_SL_E_clISA_SA_SB_SB_EEDaSZ_S10_SG_SL_EUlSZ_E_NS1_11comp_targetILNS1_3genE3ELNS1_11target_archE908ELNS1_3gpuE7ELNS1_3repE0EEENS1_47radix_sort_onesweep_sort_config_static_selectorELNS0_4arch9wavefront6targetE0EEEvSG_.num_vgpr, 0
	.set _ZN7rocprim17ROCPRIM_400000_NS6detail17trampoline_kernelINS0_14default_configENS1_35radix_sort_onesweep_config_selectorItNS0_10empty_typeEEEZZNS1_29radix_sort_onesweep_iterationIS3_Lb1EPKtPtPS5_SB_mNS0_19identity_decomposerENS1_16block_id_wrapperIjLb0EEEEE10hipError_tT1_PNSt15iterator_traitsISG_E10value_typeET2_T3_PNSH_ISM_E10value_typeET4_T5_PSR_SS_PNS1_23onesweep_lookback_stateEbbT6_jjT7_P12ihipStream_tbENKUlT_T0_SG_SL_E_clISA_SA_SB_SB_EEDaSZ_S10_SG_SL_EUlSZ_E_NS1_11comp_targetILNS1_3genE3ELNS1_11target_archE908ELNS1_3gpuE7ELNS1_3repE0EEENS1_47radix_sort_onesweep_sort_config_static_selectorELNS0_4arch9wavefront6targetE0EEEvSG_.num_agpr, 0
	.set _ZN7rocprim17ROCPRIM_400000_NS6detail17trampoline_kernelINS0_14default_configENS1_35radix_sort_onesweep_config_selectorItNS0_10empty_typeEEEZZNS1_29radix_sort_onesweep_iterationIS3_Lb1EPKtPtPS5_SB_mNS0_19identity_decomposerENS1_16block_id_wrapperIjLb0EEEEE10hipError_tT1_PNSt15iterator_traitsISG_E10value_typeET2_T3_PNSH_ISM_E10value_typeET4_T5_PSR_SS_PNS1_23onesweep_lookback_stateEbbT6_jjT7_P12ihipStream_tbENKUlT_T0_SG_SL_E_clISA_SA_SB_SB_EEDaSZ_S10_SG_SL_EUlSZ_E_NS1_11comp_targetILNS1_3genE3ELNS1_11target_archE908ELNS1_3gpuE7ELNS1_3repE0EEENS1_47radix_sort_onesweep_sort_config_static_selectorELNS0_4arch9wavefront6targetE0EEEvSG_.numbered_sgpr, 0
	.set _ZN7rocprim17ROCPRIM_400000_NS6detail17trampoline_kernelINS0_14default_configENS1_35radix_sort_onesweep_config_selectorItNS0_10empty_typeEEEZZNS1_29radix_sort_onesweep_iterationIS3_Lb1EPKtPtPS5_SB_mNS0_19identity_decomposerENS1_16block_id_wrapperIjLb0EEEEE10hipError_tT1_PNSt15iterator_traitsISG_E10value_typeET2_T3_PNSH_ISM_E10value_typeET4_T5_PSR_SS_PNS1_23onesweep_lookback_stateEbbT6_jjT7_P12ihipStream_tbENKUlT_T0_SG_SL_E_clISA_SA_SB_SB_EEDaSZ_S10_SG_SL_EUlSZ_E_NS1_11comp_targetILNS1_3genE3ELNS1_11target_archE908ELNS1_3gpuE7ELNS1_3repE0EEENS1_47radix_sort_onesweep_sort_config_static_selectorELNS0_4arch9wavefront6targetE0EEEvSG_.num_named_barrier, 0
	.set _ZN7rocprim17ROCPRIM_400000_NS6detail17trampoline_kernelINS0_14default_configENS1_35radix_sort_onesweep_config_selectorItNS0_10empty_typeEEEZZNS1_29radix_sort_onesweep_iterationIS3_Lb1EPKtPtPS5_SB_mNS0_19identity_decomposerENS1_16block_id_wrapperIjLb0EEEEE10hipError_tT1_PNSt15iterator_traitsISG_E10value_typeET2_T3_PNSH_ISM_E10value_typeET4_T5_PSR_SS_PNS1_23onesweep_lookback_stateEbbT6_jjT7_P12ihipStream_tbENKUlT_T0_SG_SL_E_clISA_SA_SB_SB_EEDaSZ_S10_SG_SL_EUlSZ_E_NS1_11comp_targetILNS1_3genE3ELNS1_11target_archE908ELNS1_3gpuE7ELNS1_3repE0EEENS1_47radix_sort_onesweep_sort_config_static_selectorELNS0_4arch9wavefront6targetE0EEEvSG_.private_seg_size, 0
	.set _ZN7rocprim17ROCPRIM_400000_NS6detail17trampoline_kernelINS0_14default_configENS1_35radix_sort_onesweep_config_selectorItNS0_10empty_typeEEEZZNS1_29radix_sort_onesweep_iterationIS3_Lb1EPKtPtPS5_SB_mNS0_19identity_decomposerENS1_16block_id_wrapperIjLb0EEEEE10hipError_tT1_PNSt15iterator_traitsISG_E10value_typeET2_T3_PNSH_ISM_E10value_typeET4_T5_PSR_SS_PNS1_23onesweep_lookback_stateEbbT6_jjT7_P12ihipStream_tbENKUlT_T0_SG_SL_E_clISA_SA_SB_SB_EEDaSZ_S10_SG_SL_EUlSZ_E_NS1_11comp_targetILNS1_3genE3ELNS1_11target_archE908ELNS1_3gpuE7ELNS1_3repE0EEENS1_47radix_sort_onesweep_sort_config_static_selectorELNS0_4arch9wavefront6targetE0EEEvSG_.uses_vcc, 0
	.set _ZN7rocprim17ROCPRIM_400000_NS6detail17trampoline_kernelINS0_14default_configENS1_35radix_sort_onesweep_config_selectorItNS0_10empty_typeEEEZZNS1_29radix_sort_onesweep_iterationIS3_Lb1EPKtPtPS5_SB_mNS0_19identity_decomposerENS1_16block_id_wrapperIjLb0EEEEE10hipError_tT1_PNSt15iterator_traitsISG_E10value_typeET2_T3_PNSH_ISM_E10value_typeET4_T5_PSR_SS_PNS1_23onesweep_lookback_stateEbbT6_jjT7_P12ihipStream_tbENKUlT_T0_SG_SL_E_clISA_SA_SB_SB_EEDaSZ_S10_SG_SL_EUlSZ_E_NS1_11comp_targetILNS1_3genE3ELNS1_11target_archE908ELNS1_3gpuE7ELNS1_3repE0EEENS1_47radix_sort_onesweep_sort_config_static_selectorELNS0_4arch9wavefront6targetE0EEEvSG_.uses_flat_scratch, 0
	.set _ZN7rocprim17ROCPRIM_400000_NS6detail17trampoline_kernelINS0_14default_configENS1_35radix_sort_onesweep_config_selectorItNS0_10empty_typeEEEZZNS1_29radix_sort_onesweep_iterationIS3_Lb1EPKtPtPS5_SB_mNS0_19identity_decomposerENS1_16block_id_wrapperIjLb0EEEEE10hipError_tT1_PNSt15iterator_traitsISG_E10value_typeET2_T3_PNSH_ISM_E10value_typeET4_T5_PSR_SS_PNS1_23onesweep_lookback_stateEbbT6_jjT7_P12ihipStream_tbENKUlT_T0_SG_SL_E_clISA_SA_SB_SB_EEDaSZ_S10_SG_SL_EUlSZ_E_NS1_11comp_targetILNS1_3genE3ELNS1_11target_archE908ELNS1_3gpuE7ELNS1_3repE0EEENS1_47radix_sort_onesweep_sort_config_static_selectorELNS0_4arch9wavefront6targetE0EEEvSG_.has_dyn_sized_stack, 0
	.set _ZN7rocprim17ROCPRIM_400000_NS6detail17trampoline_kernelINS0_14default_configENS1_35radix_sort_onesweep_config_selectorItNS0_10empty_typeEEEZZNS1_29radix_sort_onesweep_iterationIS3_Lb1EPKtPtPS5_SB_mNS0_19identity_decomposerENS1_16block_id_wrapperIjLb0EEEEE10hipError_tT1_PNSt15iterator_traitsISG_E10value_typeET2_T3_PNSH_ISM_E10value_typeET4_T5_PSR_SS_PNS1_23onesweep_lookback_stateEbbT6_jjT7_P12ihipStream_tbENKUlT_T0_SG_SL_E_clISA_SA_SB_SB_EEDaSZ_S10_SG_SL_EUlSZ_E_NS1_11comp_targetILNS1_3genE3ELNS1_11target_archE908ELNS1_3gpuE7ELNS1_3repE0EEENS1_47radix_sort_onesweep_sort_config_static_selectorELNS0_4arch9wavefront6targetE0EEEvSG_.has_recursion, 0
	.set _ZN7rocprim17ROCPRIM_400000_NS6detail17trampoline_kernelINS0_14default_configENS1_35radix_sort_onesweep_config_selectorItNS0_10empty_typeEEEZZNS1_29radix_sort_onesweep_iterationIS3_Lb1EPKtPtPS5_SB_mNS0_19identity_decomposerENS1_16block_id_wrapperIjLb0EEEEE10hipError_tT1_PNSt15iterator_traitsISG_E10value_typeET2_T3_PNSH_ISM_E10value_typeET4_T5_PSR_SS_PNS1_23onesweep_lookback_stateEbbT6_jjT7_P12ihipStream_tbENKUlT_T0_SG_SL_E_clISA_SA_SB_SB_EEDaSZ_S10_SG_SL_EUlSZ_E_NS1_11comp_targetILNS1_3genE3ELNS1_11target_archE908ELNS1_3gpuE7ELNS1_3repE0EEENS1_47radix_sort_onesweep_sort_config_static_selectorELNS0_4arch9wavefront6targetE0EEEvSG_.has_indirect_call, 0
	.section	.AMDGPU.csdata,"",@progbits
; Kernel info:
; codeLenInByte = 0
; TotalNumSgprs: 0
; NumVgprs: 0
; ScratchSize: 0
; MemoryBound: 0
; FloatMode: 240
; IeeeMode: 1
; LDSByteSize: 0 bytes/workgroup (compile time only)
; SGPRBlocks: 0
; VGPRBlocks: 0
; NumSGPRsForWavesPerEU: 1
; NumVGPRsForWavesPerEU: 1
; NamedBarCnt: 0
; Occupancy: 16
; WaveLimiterHint : 0
; COMPUTE_PGM_RSRC2:SCRATCH_EN: 0
; COMPUTE_PGM_RSRC2:USER_SGPR: 2
; COMPUTE_PGM_RSRC2:TRAP_HANDLER: 0
; COMPUTE_PGM_RSRC2:TGID_X_EN: 1
; COMPUTE_PGM_RSRC2:TGID_Y_EN: 0
; COMPUTE_PGM_RSRC2:TGID_Z_EN: 0
; COMPUTE_PGM_RSRC2:TIDIG_COMP_CNT: 0
	.section	.text._ZN7rocprim17ROCPRIM_400000_NS6detail17trampoline_kernelINS0_14default_configENS1_35radix_sort_onesweep_config_selectorItNS0_10empty_typeEEEZZNS1_29radix_sort_onesweep_iterationIS3_Lb1EPKtPtPS5_SB_mNS0_19identity_decomposerENS1_16block_id_wrapperIjLb0EEEEE10hipError_tT1_PNSt15iterator_traitsISG_E10value_typeET2_T3_PNSH_ISM_E10value_typeET4_T5_PSR_SS_PNS1_23onesweep_lookback_stateEbbT6_jjT7_P12ihipStream_tbENKUlT_T0_SG_SL_E_clISA_SA_SB_SB_EEDaSZ_S10_SG_SL_EUlSZ_E_NS1_11comp_targetILNS1_3genE10ELNS1_11target_archE1201ELNS1_3gpuE5ELNS1_3repE0EEENS1_47radix_sort_onesweep_sort_config_static_selectorELNS0_4arch9wavefront6targetE0EEEvSG_,"axG",@progbits,_ZN7rocprim17ROCPRIM_400000_NS6detail17trampoline_kernelINS0_14default_configENS1_35radix_sort_onesweep_config_selectorItNS0_10empty_typeEEEZZNS1_29radix_sort_onesweep_iterationIS3_Lb1EPKtPtPS5_SB_mNS0_19identity_decomposerENS1_16block_id_wrapperIjLb0EEEEE10hipError_tT1_PNSt15iterator_traitsISG_E10value_typeET2_T3_PNSH_ISM_E10value_typeET4_T5_PSR_SS_PNS1_23onesweep_lookback_stateEbbT6_jjT7_P12ihipStream_tbENKUlT_T0_SG_SL_E_clISA_SA_SB_SB_EEDaSZ_S10_SG_SL_EUlSZ_E_NS1_11comp_targetILNS1_3genE10ELNS1_11target_archE1201ELNS1_3gpuE5ELNS1_3repE0EEENS1_47radix_sort_onesweep_sort_config_static_selectorELNS0_4arch9wavefront6targetE0EEEvSG_,comdat
	.protected	_ZN7rocprim17ROCPRIM_400000_NS6detail17trampoline_kernelINS0_14default_configENS1_35radix_sort_onesweep_config_selectorItNS0_10empty_typeEEEZZNS1_29radix_sort_onesweep_iterationIS3_Lb1EPKtPtPS5_SB_mNS0_19identity_decomposerENS1_16block_id_wrapperIjLb0EEEEE10hipError_tT1_PNSt15iterator_traitsISG_E10value_typeET2_T3_PNSH_ISM_E10value_typeET4_T5_PSR_SS_PNS1_23onesweep_lookback_stateEbbT6_jjT7_P12ihipStream_tbENKUlT_T0_SG_SL_E_clISA_SA_SB_SB_EEDaSZ_S10_SG_SL_EUlSZ_E_NS1_11comp_targetILNS1_3genE10ELNS1_11target_archE1201ELNS1_3gpuE5ELNS1_3repE0EEENS1_47radix_sort_onesweep_sort_config_static_selectorELNS0_4arch9wavefront6targetE0EEEvSG_ ; -- Begin function _ZN7rocprim17ROCPRIM_400000_NS6detail17trampoline_kernelINS0_14default_configENS1_35radix_sort_onesweep_config_selectorItNS0_10empty_typeEEEZZNS1_29radix_sort_onesweep_iterationIS3_Lb1EPKtPtPS5_SB_mNS0_19identity_decomposerENS1_16block_id_wrapperIjLb0EEEEE10hipError_tT1_PNSt15iterator_traitsISG_E10value_typeET2_T3_PNSH_ISM_E10value_typeET4_T5_PSR_SS_PNS1_23onesweep_lookback_stateEbbT6_jjT7_P12ihipStream_tbENKUlT_T0_SG_SL_E_clISA_SA_SB_SB_EEDaSZ_S10_SG_SL_EUlSZ_E_NS1_11comp_targetILNS1_3genE10ELNS1_11target_archE1201ELNS1_3gpuE5ELNS1_3repE0EEENS1_47radix_sort_onesweep_sort_config_static_selectorELNS0_4arch9wavefront6targetE0EEEvSG_
	.globl	_ZN7rocprim17ROCPRIM_400000_NS6detail17trampoline_kernelINS0_14default_configENS1_35radix_sort_onesweep_config_selectorItNS0_10empty_typeEEEZZNS1_29radix_sort_onesweep_iterationIS3_Lb1EPKtPtPS5_SB_mNS0_19identity_decomposerENS1_16block_id_wrapperIjLb0EEEEE10hipError_tT1_PNSt15iterator_traitsISG_E10value_typeET2_T3_PNSH_ISM_E10value_typeET4_T5_PSR_SS_PNS1_23onesweep_lookback_stateEbbT6_jjT7_P12ihipStream_tbENKUlT_T0_SG_SL_E_clISA_SA_SB_SB_EEDaSZ_S10_SG_SL_EUlSZ_E_NS1_11comp_targetILNS1_3genE10ELNS1_11target_archE1201ELNS1_3gpuE5ELNS1_3repE0EEENS1_47radix_sort_onesweep_sort_config_static_selectorELNS0_4arch9wavefront6targetE0EEEvSG_
	.p2align	8
	.type	_ZN7rocprim17ROCPRIM_400000_NS6detail17trampoline_kernelINS0_14default_configENS1_35radix_sort_onesweep_config_selectorItNS0_10empty_typeEEEZZNS1_29radix_sort_onesweep_iterationIS3_Lb1EPKtPtPS5_SB_mNS0_19identity_decomposerENS1_16block_id_wrapperIjLb0EEEEE10hipError_tT1_PNSt15iterator_traitsISG_E10value_typeET2_T3_PNSH_ISM_E10value_typeET4_T5_PSR_SS_PNS1_23onesweep_lookback_stateEbbT6_jjT7_P12ihipStream_tbENKUlT_T0_SG_SL_E_clISA_SA_SB_SB_EEDaSZ_S10_SG_SL_EUlSZ_E_NS1_11comp_targetILNS1_3genE10ELNS1_11target_archE1201ELNS1_3gpuE5ELNS1_3repE0EEENS1_47radix_sort_onesweep_sort_config_static_selectorELNS0_4arch9wavefront6targetE0EEEvSG_,@function
_ZN7rocprim17ROCPRIM_400000_NS6detail17trampoline_kernelINS0_14default_configENS1_35radix_sort_onesweep_config_selectorItNS0_10empty_typeEEEZZNS1_29radix_sort_onesweep_iterationIS3_Lb1EPKtPtPS5_SB_mNS0_19identity_decomposerENS1_16block_id_wrapperIjLb0EEEEE10hipError_tT1_PNSt15iterator_traitsISG_E10value_typeET2_T3_PNSH_ISM_E10value_typeET4_T5_PSR_SS_PNS1_23onesweep_lookback_stateEbbT6_jjT7_P12ihipStream_tbENKUlT_T0_SG_SL_E_clISA_SA_SB_SB_EEDaSZ_S10_SG_SL_EUlSZ_E_NS1_11comp_targetILNS1_3genE10ELNS1_11target_archE1201ELNS1_3gpuE5ELNS1_3repE0EEENS1_47radix_sort_onesweep_sort_config_static_selectorELNS0_4arch9wavefront6targetE0EEEvSG_: ; @_ZN7rocprim17ROCPRIM_400000_NS6detail17trampoline_kernelINS0_14default_configENS1_35radix_sort_onesweep_config_selectorItNS0_10empty_typeEEEZZNS1_29radix_sort_onesweep_iterationIS3_Lb1EPKtPtPS5_SB_mNS0_19identity_decomposerENS1_16block_id_wrapperIjLb0EEEEE10hipError_tT1_PNSt15iterator_traitsISG_E10value_typeET2_T3_PNSH_ISM_E10value_typeET4_T5_PSR_SS_PNS1_23onesweep_lookback_stateEbbT6_jjT7_P12ihipStream_tbENKUlT_T0_SG_SL_E_clISA_SA_SB_SB_EEDaSZ_S10_SG_SL_EUlSZ_E_NS1_11comp_targetILNS1_3genE10ELNS1_11target_archE1201ELNS1_3gpuE5ELNS1_3repE0EEENS1_47radix_sort_onesweep_sort_config_static_selectorELNS0_4arch9wavefront6targetE0EEEvSG_
; %bb.0:
	.section	.rodata,"a",@progbits
	.p2align	6, 0x0
	.amdhsa_kernel _ZN7rocprim17ROCPRIM_400000_NS6detail17trampoline_kernelINS0_14default_configENS1_35radix_sort_onesweep_config_selectorItNS0_10empty_typeEEEZZNS1_29radix_sort_onesweep_iterationIS3_Lb1EPKtPtPS5_SB_mNS0_19identity_decomposerENS1_16block_id_wrapperIjLb0EEEEE10hipError_tT1_PNSt15iterator_traitsISG_E10value_typeET2_T3_PNSH_ISM_E10value_typeET4_T5_PSR_SS_PNS1_23onesweep_lookback_stateEbbT6_jjT7_P12ihipStream_tbENKUlT_T0_SG_SL_E_clISA_SA_SB_SB_EEDaSZ_S10_SG_SL_EUlSZ_E_NS1_11comp_targetILNS1_3genE10ELNS1_11target_archE1201ELNS1_3gpuE5ELNS1_3repE0EEENS1_47radix_sort_onesweep_sort_config_static_selectorELNS0_4arch9wavefront6targetE0EEEvSG_
		.amdhsa_group_segment_fixed_size 0
		.amdhsa_private_segment_fixed_size 0
		.amdhsa_kernarg_size 88
		.amdhsa_user_sgpr_count 2
		.amdhsa_user_sgpr_dispatch_ptr 0
		.amdhsa_user_sgpr_queue_ptr 0
		.amdhsa_user_sgpr_kernarg_segment_ptr 1
		.amdhsa_user_sgpr_dispatch_id 0
		.amdhsa_user_sgpr_kernarg_preload_length 0
		.amdhsa_user_sgpr_kernarg_preload_offset 0
		.amdhsa_user_sgpr_private_segment_size 0
		.amdhsa_wavefront_size32 1
		.amdhsa_uses_dynamic_stack 0
		.amdhsa_enable_private_segment 0
		.amdhsa_system_sgpr_workgroup_id_x 1
		.amdhsa_system_sgpr_workgroup_id_y 0
		.amdhsa_system_sgpr_workgroup_id_z 0
		.amdhsa_system_sgpr_workgroup_info 0
		.amdhsa_system_vgpr_workitem_id 0
		.amdhsa_next_free_vgpr 1
		.amdhsa_next_free_sgpr 1
		.amdhsa_named_barrier_count 0
		.amdhsa_reserve_vcc 0
		.amdhsa_float_round_mode_32 0
		.amdhsa_float_round_mode_16_64 0
		.amdhsa_float_denorm_mode_32 3
		.amdhsa_float_denorm_mode_16_64 3
		.amdhsa_fp16_overflow 0
		.amdhsa_memory_ordered 1
		.amdhsa_forward_progress 1
		.amdhsa_inst_pref_size 0
		.amdhsa_round_robin_scheduling 0
		.amdhsa_exception_fp_ieee_invalid_op 0
		.amdhsa_exception_fp_denorm_src 0
		.amdhsa_exception_fp_ieee_div_zero 0
		.amdhsa_exception_fp_ieee_overflow 0
		.amdhsa_exception_fp_ieee_underflow 0
		.amdhsa_exception_fp_ieee_inexact 0
		.amdhsa_exception_int_div_zero 0
	.end_amdhsa_kernel
	.section	.text._ZN7rocprim17ROCPRIM_400000_NS6detail17trampoline_kernelINS0_14default_configENS1_35radix_sort_onesweep_config_selectorItNS0_10empty_typeEEEZZNS1_29radix_sort_onesweep_iterationIS3_Lb1EPKtPtPS5_SB_mNS0_19identity_decomposerENS1_16block_id_wrapperIjLb0EEEEE10hipError_tT1_PNSt15iterator_traitsISG_E10value_typeET2_T3_PNSH_ISM_E10value_typeET4_T5_PSR_SS_PNS1_23onesweep_lookback_stateEbbT6_jjT7_P12ihipStream_tbENKUlT_T0_SG_SL_E_clISA_SA_SB_SB_EEDaSZ_S10_SG_SL_EUlSZ_E_NS1_11comp_targetILNS1_3genE10ELNS1_11target_archE1201ELNS1_3gpuE5ELNS1_3repE0EEENS1_47radix_sort_onesweep_sort_config_static_selectorELNS0_4arch9wavefront6targetE0EEEvSG_,"axG",@progbits,_ZN7rocprim17ROCPRIM_400000_NS6detail17trampoline_kernelINS0_14default_configENS1_35radix_sort_onesweep_config_selectorItNS0_10empty_typeEEEZZNS1_29radix_sort_onesweep_iterationIS3_Lb1EPKtPtPS5_SB_mNS0_19identity_decomposerENS1_16block_id_wrapperIjLb0EEEEE10hipError_tT1_PNSt15iterator_traitsISG_E10value_typeET2_T3_PNSH_ISM_E10value_typeET4_T5_PSR_SS_PNS1_23onesweep_lookback_stateEbbT6_jjT7_P12ihipStream_tbENKUlT_T0_SG_SL_E_clISA_SA_SB_SB_EEDaSZ_S10_SG_SL_EUlSZ_E_NS1_11comp_targetILNS1_3genE10ELNS1_11target_archE1201ELNS1_3gpuE5ELNS1_3repE0EEENS1_47radix_sort_onesweep_sort_config_static_selectorELNS0_4arch9wavefront6targetE0EEEvSG_,comdat
.Lfunc_end2419:
	.size	_ZN7rocprim17ROCPRIM_400000_NS6detail17trampoline_kernelINS0_14default_configENS1_35radix_sort_onesweep_config_selectorItNS0_10empty_typeEEEZZNS1_29radix_sort_onesweep_iterationIS3_Lb1EPKtPtPS5_SB_mNS0_19identity_decomposerENS1_16block_id_wrapperIjLb0EEEEE10hipError_tT1_PNSt15iterator_traitsISG_E10value_typeET2_T3_PNSH_ISM_E10value_typeET4_T5_PSR_SS_PNS1_23onesweep_lookback_stateEbbT6_jjT7_P12ihipStream_tbENKUlT_T0_SG_SL_E_clISA_SA_SB_SB_EEDaSZ_S10_SG_SL_EUlSZ_E_NS1_11comp_targetILNS1_3genE10ELNS1_11target_archE1201ELNS1_3gpuE5ELNS1_3repE0EEENS1_47radix_sort_onesweep_sort_config_static_selectorELNS0_4arch9wavefront6targetE0EEEvSG_, .Lfunc_end2419-_ZN7rocprim17ROCPRIM_400000_NS6detail17trampoline_kernelINS0_14default_configENS1_35radix_sort_onesweep_config_selectorItNS0_10empty_typeEEEZZNS1_29radix_sort_onesweep_iterationIS3_Lb1EPKtPtPS5_SB_mNS0_19identity_decomposerENS1_16block_id_wrapperIjLb0EEEEE10hipError_tT1_PNSt15iterator_traitsISG_E10value_typeET2_T3_PNSH_ISM_E10value_typeET4_T5_PSR_SS_PNS1_23onesweep_lookback_stateEbbT6_jjT7_P12ihipStream_tbENKUlT_T0_SG_SL_E_clISA_SA_SB_SB_EEDaSZ_S10_SG_SL_EUlSZ_E_NS1_11comp_targetILNS1_3genE10ELNS1_11target_archE1201ELNS1_3gpuE5ELNS1_3repE0EEENS1_47radix_sort_onesweep_sort_config_static_selectorELNS0_4arch9wavefront6targetE0EEEvSG_
                                        ; -- End function
	.set _ZN7rocprim17ROCPRIM_400000_NS6detail17trampoline_kernelINS0_14default_configENS1_35radix_sort_onesweep_config_selectorItNS0_10empty_typeEEEZZNS1_29radix_sort_onesweep_iterationIS3_Lb1EPKtPtPS5_SB_mNS0_19identity_decomposerENS1_16block_id_wrapperIjLb0EEEEE10hipError_tT1_PNSt15iterator_traitsISG_E10value_typeET2_T3_PNSH_ISM_E10value_typeET4_T5_PSR_SS_PNS1_23onesweep_lookback_stateEbbT6_jjT7_P12ihipStream_tbENKUlT_T0_SG_SL_E_clISA_SA_SB_SB_EEDaSZ_S10_SG_SL_EUlSZ_E_NS1_11comp_targetILNS1_3genE10ELNS1_11target_archE1201ELNS1_3gpuE5ELNS1_3repE0EEENS1_47radix_sort_onesweep_sort_config_static_selectorELNS0_4arch9wavefront6targetE0EEEvSG_.num_vgpr, 0
	.set _ZN7rocprim17ROCPRIM_400000_NS6detail17trampoline_kernelINS0_14default_configENS1_35radix_sort_onesweep_config_selectorItNS0_10empty_typeEEEZZNS1_29radix_sort_onesweep_iterationIS3_Lb1EPKtPtPS5_SB_mNS0_19identity_decomposerENS1_16block_id_wrapperIjLb0EEEEE10hipError_tT1_PNSt15iterator_traitsISG_E10value_typeET2_T3_PNSH_ISM_E10value_typeET4_T5_PSR_SS_PNS1_23onesweep_lookback_stateEbbT6_jjT7_P12ihipStream_tbENKUlT_T0_SG_SL_E_clISA_SA_SB_SB_EEDaSZ_S10_SG_SL_EUlSZ_E_NS1_11comp_targetILNS1_3genE10ELNS1_11target_archE1201ELNS1_3gpuE5ELNS1_3repE0EEENS1_47radix_sort_onesweep_sort_config_static_selectorELNS0_4arch9wavefront6targetE0EEEvSG_.num_agpr, 0
	.set _ZN7rocprim17ROCPRIM_400000_NS6detail17trampoline_kernelINS0_14default_configENS1_35radix_sort_onesweep_config_selectorItNS0_10empty_typeEEEZZNS1_29radix_sort_onesweep_iterationIS3_Lb1EPKtPtPS5_SB_mNS0_19identity_decomposerENS1_16block_id_wrapperIjLb0EEEEE10hipError_tT1_PNSt15iterator_traitsISG_E10value_typeET2_T3_PNSH_ISM_E10value_typeET4_T5_PSR_SS_PNS1_23onesweep_lookback_stateEbbT6_jjT7_P12ihipStream_tbENKUlT_T0_SG_SL_E_clISA_SA_SB_SB_EEDaSZ_S10_SG_SL_EUlSZ_E_NS1_11comp_targetILNS1_3genE10ELNS1_11target_archE1201ELNS1_3gpuE5ELNS1_3repE0EEENS1_47radix_sort_onesweep_sort_config_static_selectorELNS0_4arch9wavefront6targetE0EEEvSG_.numbered_sgpr, 0
	.set _ZN7rocprim17ROCPRIM_400000_NS6detail17trampoline_kernelINS0_14default_configENS1_35radix_sort_onesweep_config_selectorItNS0_10empty_typeEEEZZNS1_29radix_sort_onesweep_iterationIS3_Lb1EPKtPtPS5_SB_mNS0_19identity_decomposerENS1_16block_id_wrapperIjLb0EEEEE10hipError_tT1_PNSt15iterator_traitsISG_E10value_typeET2_T3_PNSH_ISM_E10value_typeET4_T5_PSR_SS_PNS1_23onesweep_lookback_stateEbbT6_jjT7_P12ihipStream_tbENKUlT_T0_SG_SL_E_clISA_SA_SB_SB_EEDaSZ_S10_SG_SL_EUlSZ_E_NS1_11comp_targetILNS1_3genE10ELNS1_11target_archE1201ELNS1_3gpuE5ELNS1_3repE0EEENS1_47radix_sort_onesweep_sort_config_static_selectorELNS0_4arch9wavefront6targetE0EEEvSG_.num_named_barrier, 0
	.set _ZN7rocprim17ROCPRIM_400000_NS6detail17trampoline_kernelINS0_14default_configENS1_35radix_sort_onesweep_config_selectorItNS0_10empty_typeEEEZZNS1_29radix_sort_onesweep_iterationIS3_Lb1EPKtPtPS5_SB_mNS0_19identity_decomposerENS1_16block_id_wrapperIjLb0EEEEE10hipError_tT1_PNSt15iterator_traitsISG_E10value_typeET2_T3_PNSH_ISM_E10value_typeET4_T5_PSR_SS_PNS1_23onesweep_lookback_stateEbbT6_jjT7_P12ihipStream_tbENKUlT_T0_SG_SL_E_clISA_SA_SB_SB_EEDaSZ_S10_SG_SL_EUlSZ_E_NS1_11comp_targetILNS1_3genE10ELNS1_11target_archE1201ELNS1_3gpuE5ELNS1_3repE0EEENS1_47radix_sort_onesweep_sort_config_static_selectorELNS0_4arch9wavefront6targetE0EEEvSG_.private_seg_size, 0
	.set _ZN7rocprim17ROCPRIM_400000_NS6detail17trampoline_kernelINS0_14default_configENS1_35radix_sort_onesweep_config_selectorItNS0_10empty_typeEEEZZNS1_29radix_sort_onesweep_iterationIS3_Lb1EPKtPtPS5_SB_mNS0_19identity_decomposerENS1_16block_id_wrapperIjLb0EEEEE10hipError_tT1_PNSt15iterator_traitsISG_E10value_typeET2_T3_PNSH_ISM_E10value_typeET4_T5_PSR_SS_PNS1_23onesweep_lookback_stateEbbT6_jjT7_P12ihipStream_tbENKUlT_T0_SG_SL_E_clISA_SA_SB_SB_EEDaSZ_S10_SG_SL_EUlSZ_E_NS1_11comp_targetILNS1_3genE10ELNS1_11target_archE1201ELNS1_3gpuE5ELNS1_3repE0EEENS1_47radix_sort_onesweep_sort_config_static_selectorELNS0_4arch9wavefront6targetE0EEEvSG_.uses_vcc, 0
	.set _ZN7rocprim17ROCPRIM_400000_NS6detail17trampoline_kernelINS0_14default_configENS1_35radix_sort_onesweep_config_selectorItNS0_10empty_typeEEEZZNS1_29radix_sort_onesweep_iterationIS3_Lb1EPKtPtPS5_SB_mNS0_19identity_decomposerENS1_16block_id_wrapperIjLb0EEEEE10hipError_tT1_PNSt15iterator_traitsISG_E10value_typeET2_T3_PNSH_ISM_E10value_typeET4_T5_PSR_SS_PNS1_23onesweep_lookback_stateEbbT6_jjT7_P12ihipStream_tbENKUlT_T0_SG_SL_E_clISA_SA_SB_SB_EEDaSZ_S10_SG_SL_EUlSZ_E_NS1_11comp_targetILNS1_3genE10ELNS1_11target_archE1201ELNS1_3gpuE5ELNS1_3repE0EEENS1_47radix_sort_onesweep_sort_config_static_selectorELNS0_4arch9wavefront6targetE0EEEvSG_.uses_flat_scratch, 0
	.set _ZN7rocprim17ROCPRIM_400000_NS6detail17trampoline_kernelINS0_14default_configENS1_35radix_sort_onesweep_config_selectorItNS0_10empty_typeEEEZZNS1_29radix_sort_onesweep_iterationIS3_Lb1EPKtPtPS5_SB_mNS0_19identity_decomposerENS1_16block_id_wrapperIjLb0EEEEE10hipError_tT1_PNSt15iterator_traitsISG_E10value_typeET2_T3_PNSH_ISM_E10value_typeET4_T5_PSR_SS_PNS1_23onesweep_lookback_stateEbbT6_jjT7_P12ihipStream_tbENKUlT_T0_SG_SL_E_clISA_SA_SB_SB_EEDaSZ_S10_SG_SL_EUlSZ_E_NS1_11comp_targetILNS1_3genE10ELNS1_11target_archE1201ELNS1_3gpuE5ELNS1_3repE0EEENS1_47radix_sort_onesweep_sort_config_static_selectorELNS0_4arch9wavefront6targetE0EEEvSG_.has_dyn_sized_stack, 0
	.set _ZN7rocprim17ROCPRIM_400000_NS6detail17trampoline_kernelINS0_14default_configENS1_35radix_sort_onesweep_config_selectorItNS0_10empty_typeEEEZZNS1_29radix_sort_onesweep_iterationIS3_Lb1EPKtPtPS5_SB_mNS0_19identity_decomposerENS1_16block_id_wrapperIjLb0EEEEE10hipError_tT1_PNSt15iterator_traitsISG_E10value_typeET2_T3_PNSH_ISM_E10value_typeET4_T5_PSR_SS_PNS1_23onesweep_lookback_stateEbbT6_jjT7_P12ihipStream_tbENKUlT_T0_SG_SL_E_clISA_SA_SB_SB_EEDaSZ_S10_SG_SL_EUlSZ_E_NS1_11comp_targetILNS1_3genE10ELNS1_11target_archE1201ELNS1_3gpuE5ELNS1_3repE0EEENS1_47radix_sort_onesweep_sort_config_static_selectorELNS0_4arch9wavefront6targetE0EEEvSG_.has_recursion, 0
	.set _ZN7rocprim17ROCPRIM_400000_NS6detail17trampoline_kernelINS0_14default_configENS1_35radix_sort_onesweep_config_selectorItNS0_10empty_typeEEEZZNS1_29radix_sort_onesweep_iterationIS3_Lb1EPKtPtPS5_SB_mNS0_19identity_decomposerENS1_16block_id_wrapperIjLb0EEEEE10hipError_tT1_PNSt15iterator_traitsISG_E10value_typeET2_T3_PNSH_ISM_E10value_typeET4_T5_PSR_SS_PNS1_23onesweep_lookback_stateEbbT6_jjT7_P12ihipStream_tbENKUlT_T0_SG_SL_E_clISA_SA_SB_SB_EEDaSZ_S10_SG_SL_EUlSZ_E_NS1_11comp_targetILNS1_3genE10ELNS1_11target_archE1201ELNS1_3gpuE5ELNS1_3repE0EEENS1_47radix_sort_onesweep_sort_config_static_selectorELNS0_4arch9wavefront6targetE0EEEvSG_.has_indirect_call, 0
	.section	.AMDGPU.csdata,"",@progbits
; Kernel info:
; codeLenInByte = 0
; TotalNumSgprs: 0
; NumVgprs: 0
; ScratchSize: 0
; MemoryBound: 0
; FloatMode: 240
; IeeeMode: 1
; LDSByteSize: 0 bytes/workgroup (compile time only)
; SGPRBlocks: 0
; VGPRBlocks: 0
; NumSGPRsForWavesPerEU: 1
; NumVGPRsForWavesPerEU: 1
; NamedBarCnt: 0
; Occupancy: 16
; WaveLimiterHint : 0
; COMPUTE_PGM_RSRC2:SCRATCH_EN: 0
; COMPUTE_PGM_RSRC2:USER_SGPR: 2
; COMPUTE_PGM_RSRC2:TRAP_HANDLER: 0
; COMPUTE_PGM_RSRC2:TGID_X_EN: 1
; COMPUTE_PGM_RSRC2:TGID_Y_EN: 0
; COMPUTE_PGM_RSRC2:TGID_Z_EN: 0
; COMPUTE_PGM_RSRC2:TIDIG_COMP_CNT: 0
	.section	.text._ZN7rocprim17ROCPRIM_400000_NS6detail17trampoline_kernelINS0_14default_configENS1_35radix_sort_onesweep_config_selectorItNS0_10empty_typeEEEZZNS1_29radix_sort_onesweep_iterationIS3_Lb1EPKtPtPS5_SB_mNS0_19identity_decomposerENS1_16block_id_wrapperIjLb0EEEEE10hipError_tT1_PNSt15iterator_traitsISG_E10value_typeET2_T3_PNSH_ISM_E10value_typeET4_T5_PSR_SS_PNS1_23onesweep_lookback_stateEbbT6_jjT7_P12ihipStream_tbENKUlT_T0_SG_SL_E_clISA_SA_SB_SB_EEDaSZ_S10_SG_SL_EUlSZ_E_NS1_11comp_targetILNS1_3genE9ELNS1_11target_archE1100ELNS1_3gpuE3ELNS1_3repE0EEENS1_47radix_sort_onesweep_sort_config_static_selectorELNS0_4arch9wavefront6targetE0EEEvSG_,"axG",@progbits,_ZN7rocprim17ROCPRIM_400000_NS6detail17trampoline_kernelINS0_14default_configENS1_35radix_sort_onesweep_config_selectorItNS0_10empty_typeEEEZZNS1_29radix_sort_onesweep_iterationIS3_Lb1EPKtPtPS5_SB_mNS0_19identity_decomposerENS1_16block_id_wrapperIjLb0EEEEE10hipError_tT1_PNSt15iterator_traitsISG_E10value_typeET2_T3_PNSH_ISM_E10value_typeET4_T5_PSR_SS_PNS1_23onesweep_lookback_stateEbbT6_jjT7_P12ihipStream_tbENKUlT_T0_SG_SL_E_clISA_SA_SB_SB_EEDaSZ_S10_SG_SL_EUlSZ_E_NS1_11comp_targetILNS1_3genE9ELNS1_11target_archE1100ELNS1_3gpuE3ELNS1_3repE0EEENS1_47radix_sort_onesweep_sort_config_static_selectorELNS0_4arch9wavefront6targetE0EEEvSG_,comdat
	.protected	_ZN7rocprim17ROCPRIM_400000_NS6detail17trampoline_kernelINS0_14default_configENS1_35radix_sort_onesweep_config_selectorItNS0_10empty_typeEEEZZNS1_29radix_sort_onesweep_iterationIS3_Lb1EPKtPtPS5_SB_mNS0_19identity_decomposerENS1_16block_id_wrapperIjLb0EEEEE10hipError_tT1_PNSt15iterator_traitsISG_E10value_typeET2_T3_PNSH_ISM_E10value_typeET4_T5_PSR_SS_PNS1_23onesweep_lookback_stateEbbT6_jjT7_P12ihipStream_tbENKUlT_T0_SG_SL_E_clISA_SA_SB_SB_EEDaSZ_S10_SG_SL_EUlSZ_E_NS1_11comp_targetILNS1_3genE9ELNS1_11target_archE1100ELNS1_3gpuE3ELNS1_3repE0EEENS1_47radix_sort_onesweep_sort_config_static_selectorELNS0_4arch9wavefront6targetE0EEEvSG_ ; -- Begin function _ZN7rocprim17ROCPRIM_400000_NS6detail17trampoline_kernelINS0_14default_configENS1_35radix_sort_onesweep_config_selectorItNS0_10empty_typeEEEZZNS1_29radix_sort_onesweep_iterationIS3_Lb1EPKtPtPS5_SB_mNS0_19identity_decomposerENS1_16block_id_wrapperIjLb0EEEEE10hipError_tT1_PNSt15iterator_traitsISG_E10value_typeET2_T3_PNSH_ISM_E10value_typeET4_T5_PSR_SS_PNS1_23onesweep_lookback_stateEbbT6_jjT7_P12ihipStream_tbENKUlT_T0_SG_SL_E_clISA_SA_SB_SB_EEDaSZ_S10_SG_SL_EUlSZ_E_NS1_11comp_targetILNS1_3genE9ELNS1_11target_archE1100ELNS1_3gpuE3ELNS1_3repE0EEENS1_47radix_sort_onesweep_sort_config_static_selectorELNS0_4arch9wavefront6targetE0EEEvSG_
	.globl	_ZN7rocprim17ROCPRIM_400000_NS6detail17trampoline_kernelINS0_14default_configENS1_35radix_sort_onesweep_config_selectorItNS0_10empty_typeEEEZZNS1_29radix_sort_onesweep_iterationIS3_Lb1EPKtPtPS5_SB_mNS0_19identity_decomposerENS1_16block_id_wrapperIjLb0EEEEE10hipError_tT1_PNSt15iterator_traitsISG_E10value_typeET2_T3_PNSH_ISM_E10value_typeET4_T5_PSR_SS_PNS1_23onesweep_lookback_stateEbbT6_jjT7_P12ihipStream_tbENKUlT_T0_SG_SL_E_clISA_SA_SB_SB_EEDaSZ_S10_SG_SL_EUlSZ_E_NS1_11comp_targetILNS1_3genE9ELNS1_11target_archE1100ELNS1_3gpuE3ELNS1_3repE0EEENS1_47radix_sort_onesweep_sort_config_static_selectorELNS0_4arch9wavefront6targetE0EEEvSG_
	.p2align	8
	.type	_ZN7rocprim17ROCPRIM_400000_NS6detail17trampoline_kernelINS0_14default_configENS1_35radix_sort_onesweep_config_selectorItNS0_10empty_typeEEEZZNS1_29radix_sort_onesweep_iterationIS3_Lb1EPKtPtPS5_SB_mNS0_19identity_decomposerENS1_16block_id_wrapperIjLb0EEEEE10hipError_tT1_PNSt15iterator_traitsISG_E10value_typeET2_T3_PNSH_ISM_E10value_typeET4_T5_PSR_SS_PNS1_23onesweep_lookback_stateEbbT6_jjT7_P12ihipStream_tbENKUlT_T0_SG_SL_E_clISA_SA_SB_SB_EEDaSZ_S10_SG_SL_EUlSZ_E_NS1_11comp_targetILNS1_3genE9ELNS1_11target_archE1100ELNS1_3gpuE3ELNS1_3repE0EEENS1_47radix_sort_onesweep_sort_config_static_selectorELNS0_4arch9wavefront6targetE0EEEvSG_,@function
_ZN7rocprim17ROCPRIM_400000_NS6detail17trampoline_kernelINS0_14default_configENS1_35radix_sort_onesweep_config_selectorItNS0_10empty_typeEEEZZNS1_29radix_sort_onesweep_iterationIS3_Lb1EPKtPtPS5_SB_mNS0_19identity_decomposerENS1_16block_id_wrapperIjLb0EEEEE10hipError_tT1_PNSt15iterator_traitsISG_E10value_typeET2_T3_PNSH_ISM_E10value_typeET4_T5_PSR_SS_PNS1_23onesweep_lookback_stateEbbT6_jjT7_P12ihipStream_tbENKUlT_T0_SG_SL_E_clISA_SA_SB_SB_EEDaSZ_S10_SG_SL_EUlSZ_E_NS1_11comp_targetILNS1_3genE9ELNS1_11target_archE1100ELNS1_3gpuE3ELNS1_3repE0EEENS1_47radix_sort_onesweep_sort_config_static_selectorELNS0_4arch9wavefront6targetE0EEEvSG_: ; @_ZN7rocprim17ROCPRIM_400000_NS6detail17trampoline_kernelINS0_14default_configENS1_35radix_sort_onesweep_config_selectorItNS0_10empty_typeEEEZZNS1_29radix_sort_onesweep_iterationIS3_Lb1EPKtPtPS5_SB_mNS0_19identity_decomposerENS1_16block_id_wrapperIjLb0EEEEE10hipError_tT1_PNSt15iterator_traitsISG_E10value_typeET2_T3_PNSH_ISM_E10value_typeET4_T5_PSR_SS_PNS1_23onesweep_lookback_stateEbbT6_jjT7_P12ihipStream_tbENKUlT_T0_SG_SL_E_clISA_SA_SB_SB_EEDaSZ_S10_SG_SL_EUlSZ_E_NS1_11comp_targetILNS1_3genE9ELNS1_11target_archE1100ELNS1_3gpuE3ELNS1_3repE0EEENS1_47radix_sort_onesweep_sort_config_static_selectorELNS0_4arch9wavefront6targetE0EEEvSG_
; %bb.0:
	.section	.rodata,"a",@progbits
	.p2align	6, 0x0
	.amdhsa_kernel _ZN7rocprim17ROCPRIM_400000_NS6detail17trampoline_kernelINS0_14default_configENS1_35radix_sort_onesweep_config_selectorItNS0_10empty_typeEEEZZNS1_29radix_sort_onesweep_iterationIS3_Lb1EPKtPtPS5_SB_mNS0_19identity_decomposerENS1_16block_id_wrapperIjLb0EEEEE10hipError_tT1_PNSt15iterator_traitsISG_E10value_typeET2_T3_PNSH_ISM_E10value_typeET4_T5_PSR_SS_PNS1_23onesweep_lookback_stateEbbT6_jjT7_P12ihipStream_tbENKUlT_T0_SG_SL_E_clISA_SA_SB_SB_EEDaSZ_S10_SG_SL_EUlSZ_E_NS1_11comp_targetILNS1_3genE9ELNS1_11target_archE1100ELNS1_3gpuE3ELNS1_3repE0EEENS1_47radix_sort_onesweep_sort_config_static_selectorELNS0_4arch9wavefront6targetE0EEEvSG_
		.amdhsa_group_segment_fixed_size 0
		.amdhsa_private_segment_fixed_size 0
		.amdhsa_kernarg_size 88
		.amdhsa_user_sgpr_count 2
		.amdhsa_user_sgpr_dispatch_ptr 0
		.amdhsa_user_sgpr_queue_ptr 0
		.amdhsa_user_sgpr_kernarg_segment_ptr 1
		.amdhsa_user_sgpr_dispatch_id 0
		.amdhsa_user_sgpr_kernarg_preload_length 0
		.amdhsa_user_sgpr_kernarg_preload_offset 0
		.amdhsa_user_sgpr_private_segment_size 0
		.amdhsa_wavefront_size32 1
		.amdhsa_uses_dynamic_stack 0
		.amdhsa_enable_private_segment 0
		.amdhsa_system_sgpr_workgroup_id_x 1
		.amdhsa_system_sgpr_workgroup_id_y 0
		.amdhsa_system_sgpr_workgroup_id_z 0
		.amdhsa_system_sgpr_workgroup_info 0
		.amdhsa_system_vgpr_workitem_id 0
		.amdhsa_next_free_vgpr 1
		.amdhsa_next_free_sgpr 1
		.amdhsa_named_barrier_count 0
		.amdhsa_reserve_vcc 0
		.amdhsa_float_round_mode_32 0
		.amdhsa_float_round_mode_16_64 0
		.amdhsa_float_denorm_mode_32 3
		.amdhsa_float_denorm_mode_16_64 3
		.amdhsa_fp16_overflow 0
		.amdhsa_memory_ordered 1
		.amdhsa_forward_progress 1
		.amdhsa_inst_pref_size 0
		.amdhsa_round_robin_scheduling 0
		.amdhsa_exception_fp_ieee_invalid_op 0
		.amdhsa_exception_fp_denorm_src 0
		.amdhsa_exception_fp_ieee_div_zero 0
		.amdhsa_exception_fp_ieee_overflow 0
		.amdhsa_exception_fp_ieee_underflow 0
		.amdhsa_exception_fp_ieee_inexact 0
		.amdhsa_exception_int_div_zero 0
	.end_amdhsa_kernel
	.section	.text._ZN7rocprim17ROCPRIM_400000_NS6detail17trampoline_kernelINS0_14default_configENS1_35radix_sort_onesweep_config_selectorItNS0_10empty_typeEEEZZNS1_29radix_sort_onesweep_iterationIS3_Lb1EPKtPtPS5_SB_mNS0_19identity_decomposerENS1_16block_id_wrapperIjLb0EEEEE10hipError_tT1_PNSt15iterator_traitsISG_E10value_typeET2_T3_PNSH_ISM_E10value_typeET4_T5_PSR_SS_PNS1_23onesweep_lookback_stateEbbT6_jjT7_P12ihipStream_tbENKUlT_T0_SG_SL_E_clISA_SA_SB_SB_EEDaSZ_S10_SG_SL_EUlSZ_E_NS1_11comp_targetILNS1_3genE9ELNS1_11target_archE1100ELNS1_3gpuE3ELNS1_3repE0EEENS1_47radix_sort_onesweep_sort_config_static_selectorELNS0_4arch9wavefront6targetE0EEEvSG_,"axG",@progbits,_ZN7rocprim17ROCPRIM_400000_NS6detail17trampoline_kernelINS0_14default_configENS1_35radix_sort_onesweep_config_selectorItNS0_10empty_typeEEEZZNS1_29radix_sort_onesweep_iterationIS3_Lb1EPKtPtPS5_SB_mNS0_19identity_decomposerENS1_16block_id_wrapperIjLb0EEEEE10hipError_tT1_PNSt15iterator_traitsISG_E10value_typeET2_T3_PNSH_ISM_E10value_typeET4_T5_PSR_SS_PNS1_23onesweep_lookback_stateEbbT6_jjT7_P12ihipStream_tbENKUlT_T0_SG_SL_E_clISA_SA_SB_SB_EEDaSZ_S10_SG_SL_EUlSZ_E_NS1_11comp_targetILNS1_3genE9ELNS1_11target_archE1100ELNS1_3gpuE3ELNS1_3repE0EEENS1_47radix_sort_onesweep_sort_config_static_selectorELNS0_4arch9wavefront6targetE0EEEvSG_,comdat
.Lfunc_end2420:
	.size	_ZN7rocprim17ROCPRIM_400000_NS6detail17trampoline_kernelINS0_14default_configENS1_35radix_sort_onesweep_config_selectorItNS0_10empty_typeEEEZZNS1_29radix_sort_onesweep_iterationIS3_Lb1EPKtPtPS5_SB_mNS0_19identity_decomposerENS1_16block_id_wrapperIjLb0EEEEE10hipError_tT1_PNSt15iterator_traitsISG_E10value_typeET2_T3_PNSH_ISM_E10value_typeET4_T5_PSR_SS_PNS1_23onesweep_lookback_stateEbbT6_jjT7_P12ihipStream_tbENKUlT_T0_SG_SL_E_clISA_SA_SB_SB_EEDaSZ_S10_SG_SL_EUlSZ_E_NS1_11comp_targetILNS1_3genE9ELNS1_11target_archE1100ELNS1_3gpuE3ELNS1_3repE0EEENS1_47radix_sort_onesweep_sort_config_static_selectorELNS0_4arch9wavefront6targetE0EEEvSG_, .Lfunc_end2420-_ZN7rocprim17ROCPRIM_400000_NS6detail17trampoline_kernelINS0_14default_configENS1_35radix_sort_onesweep_config_selectorItNS0_10empty_typeEEEZZNS1_29radix_sort_onesweep_iterationIS3_Lb1EPKtPtPS5_SB_mNS0_19identity_decomposerENS1_16block_id_wrapperIjLb0EEEEE10hipError_tT1_PNSt15iterator_traitsISG_E10value_typeET2_T3_PNSH_ISM_E10value_typeET4_T5_PSR_SS_PNS1_23onesweep_lookback_stateEbbT6_jjT7_P12ihipStream_tbENKUlT_T0_SG_SL_E_clISA_SA_SB_SB_EEDaSZ_S10_SG_SL_EUlSZ_E_NS1_11comp_targetILNS1_3genE9ELNS1_11target_archE1100ELNS1_3gpuE3ELNS1_3repE0EEENS1_47radix_sort_onesweep_sort_config_static_selectorELNS0_4arch9wavefront6targetE0EEEvSG_
                                        ; -- End function
	.set _ZN7rocprim17ROCPRIM_400000_NS6detail17trampoline_kernelINS0_14default_configENS1_35radix_sort_onesweep_config_selectorItNS0_10empty_typeEEEZZNS1_29radix_sort_onesweep_iterationIS3_Lb1EPKtPtPS5_SB_mNS0_19identity_decomposerENS1_16block_id_wrapperIjLb0EEEEE10hipError_tT1_PNSt15iterator_traitsISG_E10value_typeET2_T3_PNSH_ISM_E10value_typeET4_T5_PSR_SS_PNS1_23onesweep_lookback_stateEbbT6_jjT7_P12ihipStream_tbENKUlT_T0_SG_SL_E_clISA_SA_SB_SB_EEDaSZ_S10_SG_SL_EUlSZ_E_NS1_11comp_targetILNS1_3genE9ELNS1_11target_archE1100ELNS1_3gpuE3ELNS1_3repE0EEENS1_47radix_sort_onesweep_sort_config_static_selectorELNS0_4arch9wavefront6targetE0EEEvSG_.num_vgpr, 0
	.set _ZN7rocprim17ROCPRIM_400000_NS6detail17trampoline_kernelINS0_14default_configENS1_35radix_sort_onesweep_config_selectorItNS0_10empty_typeEEEZZNS1_29radix_sort_onesweep_iterationIS3_Lb1EPKtPtPS5_SB_mNS0_19identity_decomposerENS1_16block_id_wrapperIjLb0EEEEE10hipError_tT1_PNSt15iterator_traitsISG_E10value_typeET2_T3_PNSH_ISM_E10value_typeET4_T5_PSR_SS_PNS1_23onesweep_lookback_stateEbbT6_jjT7_P12ihipStream_tbENKUlT_T0_SG_SL_E_clISA_SA_SB_SB_EEDaSZ_S10_SG_SL_EUlSZ_E_NS1_11comp_targetILNS1_3genE9ELNS1_11target_archE1100ELNS1_3gpuE3ELNS1_3repE0EEENS1_47radix_sort_onesweep_sort_config_static_selectorELNS0_4arch9wavefront6targetE0EEEvSG_.num_agpr, 0
	.set _ZN7rocprim17ROCPRIM_400000_NS6detail17trampoline_kernelINS0_14default_configENS1_35radix_sort_onesweep_config_selectorItNS0_10empty_typeEEEZZNS1_29radix_sort_onesweep_iterationIS3_Lb1EPKtPtPS5_SB_mNS0_19identity_decomposerENS1_16block_id_wrapperIjLb0EEEEE10hipError_tT1_PNSt15iterator_traitsISG_E10value_typeET2_T3_PNSH_ISM_E10value_typeET4_T5_PSR_SS_PNS1_23onesweep_lookback_stateEbbT6_jjT7_P12ihipStream_tbENKUlT_T0_SG_SL_E_clISA_SA_SB_SB_EEDaSZ_S10_SG_SL_EUlSZ_E_NS1_11comp_targetILNS1_3genE9ELNS1_11target_archE1100ELNS1_3gpuE3ELNS1_3repE0EEENS1_47radix_sort_onesweep_sort_config_static_selectorELNS0_4arch9wavefront6targetE0EEEvSG_.numbered_sgpr, 0
	.set _ZN7rocprim17ROCPRIM_400000_NS6detail17trampoline_kernelINS0_14default_configENS1_35radix_sort_onesweep_config_selectorItNS0_10empty_typeEEEZZNS1_29radix_sort_onesweep_iterationIS3_Lb1EPKtPtPS5_SB_mNS0_19identity_decomposerENS1_16block_id_wrapperIjLb0EEEEE10hipError_tT1_PNSt15iterator_traitsISG_E10value_typeET2_T3_PNSH_ISM_E10value_typeET4_T5_PSR_SS_PNS1_23onesweep_lookback_stateEbbT6_jjT7_P12ihipStream_tbENKUlT_T0_SG_SL_E_clISA_SA_SB_SB_EEDaSZ_S10_SG_SL_EUlSZ_E_NS1_11comp_targetILNS1_3genE9ELNS1_11target_archE1100ELNS1_3gpuE3ELNS1_3repE0EEENS1_47radix_sort_onesweep_sort_config_static_selectorELNS0_4arch9wavefront6targetE0EEEvSG_.num_named_barrier, 0
	.set _ZN7rocprim17ROCPRIM_400000_NS6detail17trampoline_kernelINS0_14default_configENS1_35radix_sort_onesweep_config_selectorItNS0_10empty_typeEEEZZNS1_29radix_sort_onesweep_iterationIS3_Lb1EPKtPtPS5_SB_mNS0_19identity_decomposerENS1_16block_id_wrapperIjLb0EEEEE10hipError_tT1_PNSt15iterator_traitsISG_E10value_typeET2_T3_PNSH_ISM_E10value_typeET4_T5_PSR_SS_PNS1_23onesweep_lookback_stateEbbT6_jjT7_P12ihipStream_tbENKUlT_T0_SG_SL_E_clISA_SA_SB_SB_EEDaSZ_S10_SG_SL_EUlSZ_E_NS1_11comp_targetILNS1_3genE9ELNS1_11target_archE1100ELNS1_3gpuE3ELNS1_3repE0EEENS1_47radix_sort_onesweep_sort_config_static_selectorELNS0_4arch9wavefront6targetE0EEEvSG_.private_seg_size, 0
	.set _ZN7rocprim17ROCPRIM_400000_NS6detail17trampoline_kernelINS0_14default_configENS1_35radix_sort_onesweep_config_selectorItNS0_10empty_typeEEEZZNS1_29radix_sort_onesweep_iterationIS3_Lb1EPKtPtPS5_SB_mNS0_19identity_decomposerENS1_16block_id_wrapperIjLb0EEEEE10hipError_tT1_PNSt15iterator_traitsISG_E10value_typeET2_T3_PNSH_ISM_E10value_typeET4_T5_PSR_SS_PNS1_23onesweep_lookback_stateEbbT6_jjT7_P12ihipStream_tbENKUlT_T0_SG_SL_E_clISA_SA_SB_SB_EEDaSZ_S10_SG_SL_EUlSZ_E_NS1_11comp_targetILNS1_3genE9ELNS1_11target_archE1100ELNS1_3gpuE3ELNS1_3repE0EEENS1_47radix_sort_onesweep_sort_config_static_selectorELNS0_4arch9wavefront6targetE0EEEvSG_.uses_vcc, 0
	.set _ZN7rocprim17ROCPRIM_400000_NS6detail17trampoline_kernelINS0_14default_configENS1_35radix_sort_onesweep_config_selectorItNS0_10empty_typeEEEZZNS1_29radix_sort_onesweep_iterationIS3_Lb1EPKtPtPS5_SB_mNS0_19identity_decomposerENS1_16block_id_wrapperIjLb0EEEEE10hipError_tT1_PNSt15iterator_traitsISG_E10value_typeET2_T3_PNSH_ISM_E10value_typeET4_T5_PSR_SS_PNS1_23onesweep_lookback_stateEbbT6_jjT7_P12ihipStream_tbENKUlT_T0_SG_SL_E_clISA_SA_SB_SB_EEDaSZ_S10_SG_SL_EUlSZ_E_NS1_11comp_targetILNS1_3genE9ELNS1_11target_archE1100ELNS1_3gpuE3ELNS1_3repE0EEENS1_47radix_sort_onesweep_sort_config_static_selectorELNS0_4arch9wavefront6targetE0EEEvSG_.uses_flat_scratch, 0
	.set _ZN7rocprim17ROCPRIM_400000_NS6detail17trampoline_kernelINS0_14default_configENS1_35radix_sort_onesweep_config_selectorItNS0_10empty_typeEEEZZNS1_29radix_sort_onesweep_iterationIS3_Lb1EPKtPtPS5_SB_mNS0_19identity_decomposerENS1_16block_id_wrapperIjLb0EEEEE10hipError_tT1_PNSt15iterator_traitsISG_E10value_typeET2_T3_PNSH_ISM_E10value_typeET4_T5_PSR_SS_PNS1_23onesweep_lookback_stateEbbT6_jjT7_P12ihipStream_tbENKUlT_T0_SG_SL_E_clISA_SA_SB_SB_EEDaSZ_S10_SG_SL_EUlSZ_E_NS1_11comp_targetILNS1_3genE9ELNS1_11target_archE1100ELNS1_3gpuE3ELNS1_3repE0EEENS1_47radix_sort_onesweep_sort_config_static_selectorELNS0_4arch9wavefront6targetE0EEEvSG_.has_dyn_sized_stack, 0
	.set _ZN7rocprim17ROCPRIM_400000_NS6detail17trampoline_kernelINS0_14default_configENS1_35radix_sort_onesweep_config_selectorItNS0_10empty_typeEEEZZNS1_29radix_sort_onesweep_iterationIS3_Lb1EPKtPtPS5_SB_mNS0_19identity_decomposerENS1_16block_id_wrapperIjLb0EEEEE10hipError_tT1_PNSt15iterator_traitsISG_E10value_typeET2_T3_PNSH_ISM_E10value_typeET4_T5_PSR_SS_PNS1_23onesweep_lookback_stateEbbT6_jjT7_P12ihipStream_tbENKUlT_T0_SG_SL_E_clISA_SA_SB_SB_EEDaSZ_S10_SG_SL_EUlSZ_E_NS1_11comp_targetILNS1_3genE9ELNS1_11target_archE1100ELNS1_3gpuE3ELNS1_3repE0EEENS1_47radix_sort_onesweep_sort_config_static_selectorELNS0_4arch9wavefront6targetE0EEEvSG_.has_recursion, 0
	.set _ZN7rocprim17ROCPRIM_400000_NS6detail17trampoline_kernelINS0_14default_configENS1_35radix_sort_onesweep_config_selectorItNS0_10empty_typeEEEZZNS1_29radix_sort_onesweep_iterationIS3_Lb1EPKtPtPS5_SB_mNS0_19identity_decomposerENS1_16block_id_wrapperIjLb0EEEEE10hipError_tT1_PNSt15iterator_traitsISG_E10value_typeET2_T3_PNSH_ISM_E10value_typeET4_T5_PSR_SS_PNS1_23onesweep_lookback_stateEbbT6_jjT7_P12ihipStream_tbENKUlT_T0_SG_SL_E_clISA_SA_SB_SB_EEDaSZ_S10_SG_SL_EUlSZ_E_NS1_11comp_targetILNS1_3genE9ELNS1_11target_archE1100ELNS1_3gpuE3ELNS1_3repE0EEENS1_47radix_sort_onesweep_sort_config_static_selectorELNS0_4arch9wavefront6targetE0EEEvSG_.has_indirect_call, 0
	.section	.AMDGPU.csdata,"",@progbits
; Kernel info:
; codeLenInByte = 0
; TotalNumSgprs: 0
; NumVgprs: 0
; ScratchSize: 0
; MemoryBound: 0
; FloatMode: 240
; IeeeMode: 1
; LDSByteSize: 0 bytes/workgroup (compile time only)
; SGPRBlocks: 0
; VGPRBlocks: 0
; NumSGPRsForWavesPerEU: 1
; NumVGPRsForWavesPerEU: 1
; NamedBarCnt: 0
; Occupancy: 16
; WaveLimiterHint : 0
; COMPUTE_PGM_RSRC2:SCRATCH_EN: 0
; COMPUTE_PGM_RSRC2:USER_SGPR: 2
; COMPUTE_PGM_RSRC2:TRAP_HANDLER: 0
; COMPUTE_PGM_RSRC2:TGID_X_EN: 1
; COMPUTE_PGM_RSRC2:TGID_Y_EN: 0
; COMPUTE_PGM_RSRC2:TGID_Z_EN: 0
; COMPUTE_PGM_RSRC2:TIDIG_COMP_CNT: 0
	.section	.text._ZN7rocprim17ROCPRIM_400000_NS6detail17trampoline_kernelINS0_14default_configENS1_35radix_sort_onesweep_config_selectorItNS0_10empty_typeEEEZZNS1_29radix_sort_onesweep_iterationIS3_Lb1EPKtPtPS5_SB_mNS0_19identity_decomposerENS1_16block_id_wrapperIjLb0EEEEE10hipError_tT1_PNSt15iterator_traitsISG_E10value_typeET2_T3_PNSH_ISM_E10value_typeET4_T5_PSR_SS_PNS1_23onesweep_lookback_stateEbbT6_jjT7_P12ihipStream_tbENKUlT_T0_SG_SL_E_clISA_SA_SB_SB_EEDaSZ_S10_SG_SL_EUlSZ_E_NS1_11comp_targetILNS1_3genE8ELNS1_11target_archE1030ELNS1_3gpuE2ELNS1_3repE0EEENS1_47radix_sort_onesweep_sort_config_static_selectorELNS0_4arch9wavefront6targetE0EEEvSG_,"axG",@progbits,_ZN7rocprim17ROCPRIM_400000_NS6detail17trampoline_kernelINS0_14default_configENS1_35radix_sort_onesweep_config_selectorItNS0_10empty_typeEEEZZNS1_29radix_sort_onesweep_iterationIS3_Lb1EPKtPtPS5_SB_mNS0_19identity_decomposerENS1_16block_id_wrapperIjLb0EEEEE10hipError_tT1_PNSt15iterator_traitsISG_E10value_typeET2_T3_PNSH_ISM_E10value_typeET4_T5_PSR_SS_PNS1_23onesweep_lookback_stateEbbT6_jjT7_P12ihipStream_tbENKUlT_T0_SG_SL_E_clISA_SA_SB_SB_EEDaSZ_S10_SG_SL_EUlSZ_E_NS1_11comp_targetILNS1_3genE8ELNS1_11target_archE1030ELNS1_3gpuE2ELNS1_3repE0EEENS1_47radix_sort_onesweep_sort_config_static_selectorELNS0_4arch9wavefront6targetE0EEEvSG_,comdat
	.protected	_ZN7rocprim17ROCPRIM_400000_NS6detail17trampoline_kernelINS0_14default_configENS1_35radix_sort_onesweep_config_selectorItNS0_10empty_typeEEEZZNS1_29radix_sort_onesweep_iterationIS3_Lb1EPKtPtPS5_SB_mNS0_19identity_decomposerENS1_16block_id_wrapperIjLb0EEEEE10hipError_tT1_PNSt15iterator_traitsISG_E10value_typeET2_T3_PNSH_ISM_E10value_typeET4_T5_PSR_SS_PNS1_23onesweep_lookback_stateEbbT6_jjT7_P12ihipStream_tbENKUlT_T0_SG_SL_E_clISA_SA_SB_SB_EEDaSZ_S10_SG_SL_EUlSZ_E_NS1_11comp_targetILNS1_3genE8ELNS1_11target_archE1030ELNS1_3gpuE2ELNS1_3repE0EEENS1_47radix_sort_onesweep_sort_config_static_selectorELNS0_4arch9wavefront6targetE0EEEvSG_ ; -- Begin function _ZN7rocprim17ROCPRIM_400000_NS6detail17trampoline_kernelINS0_14default_configENS1_35radix_sort_onesweep_config_selectorItNS0_10empty_typeEEEZZNS1_29radix_sort_onesweep_iterationIS3_Lb1EPKtPtPS5_SB_mNS0_19identity_decomposerENS1_16block_id_wrapperIjLb0EEEEE10hipError_tT1_PNSt15iterator_traitsISG_E10value_typeET2_T3_PNSH_ISM_E10value_typeET4_T5_PSR_SS_PNS1_23onesweep_lookback_stateEbbT6_jjT7_P12ihipStream_tbENKUlT_T0_SG_SL_E_clISA_SA_SB_SB_EEDaSZ_S10_SG_SL_EUlSZ_E_NS1_11comp_targetILNS1_3genE8ELNS1_11target_archE1030ELNS1_3gpuE2ELNS1_3repE0EEENS1_47radix_sort_onesweep_sort_config_static_selectorELNS0_4arch9wavefront6targetE0EEEvSG_
	.globl	_ZN7rocprim17ROCPRIM_400000_NS6detail17trampoline_kernelINS0_14default_configENS1_35radix_sort_onesweep_config_selectorItNS0_10empty_typeEEEZZNS1_29radix_sort_onesweep_iterationIS3_Lb1EPKtPtPS5_SB_mNS0_19identity_decomposerENS1_16block_id_wrapperIjLb0EEEEE10hipError_tT1_PNSt15iterator_traitsISG_E10value_typeET2_T3_PNSH_ISM_E10value_typeET4_T5_PSR_SS_PNS1_23onesweep_lookback_stateEbbT6_jjT7_P12ihipStream_tbENKUlT_T0_SG_SL_E_clISA_SA_SB_SB_EEDaSZ_S10_SG_SL_EUlSZ_E_NS1_11comp_targetILNS1_3genE8ELNS1_11target_archE1030ELNS1_3gpuE2ELNS1_3repE0EEENS1_47radix_sort_onesweep_sort_config_static_selectorELNS0_4arch9wavefront6targetE0EEEvSG_
	.p2align	8
	.type	_ZN7rocprim17ROCPRIM_400000_NS6detail17trampoline_kernelINS0_14default_configENS1_35radix_sort_onesweep_config_selectorItNS0_10empty_typeEEEZZNS1_29radix_sort_onesweep_iterationIS3_Lb1EPKtPtPS5_SB_mNS0_19identity_decomposerENS1_16block_id_wrapperIjLb0EEEEE10hipError_tT1_PNSt15iterator_traitsISG_E10value_typeET2_T3_PNSH_ISM_E10value_typeET4_T5_PSR_SS_PNS1_23onesweep_lookback_stateEbbT6_jjT7_P12ihipStream_tbENKUlT_T0_SG_SL_E_clISA_SA_SB_SB_EEDaSZ_S10_SG_SL_EUlSZ_E_NS1_11comp_targetILNS1_3genE8ELNS1_11target_archE1030ELNS1_3gpuE2ELNS1_3repE0EEENS1_47radix_sort_onesweep_sort_config_static_selectorELNS0_4arch9wavefront6targetE0EEEvSG_,@function
_ZN7rocprim17ROCPRIM_400000_NS6detail17trampoline_kernelINS0_14default_configENS1_35radix_sort_onesweep_config_selectorItNS0_10empty_typeEEEZZNS1_29radix_sort_onesweep_iterationIS3_Lb1EPKtPtPS5_SB_mNS0_19identity_decomposerENS1_16block_id_wrapperIjLb0EEEEE10hipError_tT1_PNSt15iterator_traitsISG_E10value_typeET2_T3_PNSH_ISM_E10value_typeET4_T5_PSR_SS_PNS1_23onesweep_lookback_stateEbbT6_jjT7_P12ihipStream_tbENKUlT_T0_SG_SL_E_clISA_SA_SB_SB_EEDaSZ_S10_SG_SL_EUlSZ_E_NS1_11comp_targetILNS1_3genE8ELNS1_11target_archE1030ELNS1_3gpuE2ELNS1_3repE0EEENS1_47radix_sort_onesweep_sort_config_static_selectorELNS0_4arch9wavefront6targetE0EEEvSG_: ; @_ZN7rocprim17ROCPRIM_400000_NS6detail17trampoline_kernelINS0_14default_configENS1_35radix_sort_onesweep_config_selectorItNS0_10empty_typeEEEZZNS1_29radix_sort_onesweep_iterationIS3_Lb1EPKtPtPS5_SB_mNS0_19identity_decomposerENS1_16block_id_wrapperIjLb0EEEEE10hipError_tT1_PNSt15iterator_traitsISG_E10value_typeET2_T3_PNSH_ISM_E10value_typeET4_T5_PSR_SS_PNS1_23onesweep_lookback_stateEbbT6_jjT7_P12ihipStream_tbENKUlT_T0_SG_SL_E_clISA_SA_SB_SB_EEDaSZ_S10_SG_SL_EUlSZ_E_NS1_11comp_targetILNS1_3genE8ELNS1_11target_archE1030ELNS1_3gpuE2ELNS1_3repE0EEENS1_47radix_sort_onesweep_sort_config_static_selectorELNS0_4arch9wavefront6targetE0EEEvSG_
; %bb.0:
	.section	.rodata,"a",@progbits
	.p2align	6, 0x0
	.amdhsa_kernel _ZN7rocprim17ROCPRIM_400000_NS6detail17trampoline_kernelINS0_14default_configENS1_35radix_sort_onesweep_config_selectorItNS0_10empty_typeEEEZZNS1_29radix_sort_onesweep_iterationIS3_Lb1EPKtPtPS5_SB_mNS0_19identity_decomposerENS1_16block_id_wrapperIjLb0EEEEE10hipError_tT1_PNSt15iterator_traitsISG_E10value_typeET2_T3_PNSH_ISM_E10value_typeET4_T5_PSR_SS_PNS1_23onesweep_lookback_stateEbbT6_jjT7_P12ihipStream_tbENKUlT_T0_SG_SL_E_clISA_SA_SB_SB_EEDaSZ_S10_SG_SL_EUlSZ_E_NS1_11comp_targetILNS1_3genE8ELNS1_11target_archE1030ELNS1_3gpuE2ELNS1_3repE0EEENS1_47radix_sort_onesweep_sort_config_static_selectorELNS0_4arch9wavefront6targetE0EEEvSG_
		.amdhsa_group_segment_fixed_size 0
		.amdhsa_private_segment_fixed_size 0
		.amdhsa_kernarg_size 88
		.amdhsa_user_sgpr_count 2
		.amdhsa_user_sgpr_dispatch_ptr 0
		.amdhsa_user_sgpr_queue_ptr 0
		.amdhsa_user_sgpr_kernarg_segment_ptr 1
		.amdhsa_user_sgpr_dispatch_id 0
		.amdhsa_user_sgpr_kernarg_preload_length 0
		.amdhsa_user_sgpr_kernarg_preload_offset 0
		.amdhsa_user_sgpr_private_segment_size 0
		.amdhsa_wavefront_size32 1
		.amdhsa_uses_dynamic_stack 0
		.amdhsa_enable_private_segment 0
		.amdhsa_system_sgpr_workgroup_id_x 1
		.amdhsa_system_sgpr_workgroup_id_y 0
		.amdhsa_system_sgpr_workgroup_id_z 0
		.amdhsa_system_sgpr_workgroup_info 0
		.amdhsa_system_vgpr_workitem_id 0
		.amdhsa_next_free_vgpr 1
		.amdhsa_next_free_sgpr 1
		.amdhsa_named_barrier_count 0
		.amdhsa_reserve_vcc 0
		.amdhsa_float_round_mode_32 0
		.amdhsa_float_round_mode_16_64 0
		.amdhsa_float_denorm_mode_32 3
		.amdhsa_float_denorm_mode_16_64 3
		.amdhsa_fp16_overflow 0
		.amdhsa_memory_ordered 1
		.amdhsa_forward_progress 1
		.amdhsa_inst_pref_size 0
		.amdhsa_round_robin_scheduling 0
		.amdhsa_exception_fp_ieee_invalid_op 0
		.amdhsa_exception_fp_denorm_src 0
		.amdhsa_exception_fp_ieee_div_zero 0
		.amdhsa_exception_fp_ieee_overflow 0
		.amdhsa_exception_fp_ieee_underflow 0
		.amdhsa_exception_fp_ieee_inexact 0
		.amdhsa_exception_int_div_zero 0
	.end_amdhsa_kernel
	.section	.text._ZN7rocprim17ROCPRIM_400000_NS6detail17trampoline_kernelINS0_14default_configENS1_35radix_sort_onesweep_config_selectorItNS0_10empty_typeEEEZZNS1_29radix_sort_onesweep_iterationIS3_Lb1EPKtPtPS5_SB_mNS0_19identity_decomposerENS1_16block_id_wrapperIjLb0EEEEE10hipError_tT1_PNSt15iterator_traitsISG_E10value_typeET2_T3_PNSH_ISM_E10value_typeET4_T5_PSR_SS_PNS1_23onesweep_lookback_stateEbbT6_jjT7_P12ihipStream_tbENKUlT_T0_SG_SL_E_clISA_SA_SB_SB_EEDaSZ_S10_SG_SL_EUlSZ_E_NS1_11comp_targetILNS1_3genE8ELNS1_11target_archE1030ELNS1_3gpuE2ELNS1_3repE0EEENS1_47radix_sort_onesweep_sort_config_static_selectorELNS0_4arch9wavefront6targetE0EEEvSG_,"axG",@progbits,_ZN7rocprim17ROCPRIM_400000_NS6detail17trampoline_kernelINS0_14default_configENS1_35radix_sort_onesweep_config_selectorItNS0_10empty_typeEEEZZNS1_29radix_sort_onesweep_iterationIS3_Lb1EPKtPtPS5_SB_mNS0_19identity_decomposerENS1_16block_id_wrapperIjLb0EEEEE10hipError_tT1_PNSt15iterator_traitsISG_E10value_typeET2_T3_PNSH_ISM_E10value_typeET4_T5_PSR_SS_PNS1_23onesweep_lookback_stateEbbT6_jjT7_P12ihipStream_tbENKUlT_T0_SG_SL_E_clISA_SA_SB_SB_EEDaSZ_S10_SG_SL_EUlSZ_E_NS1_11comp_targetILNS1_3genE8ELNS1_11target_archE1030ELNS1_3gpuE2ELNS1_3repE0EEENS1_47radix_sort_onesweep_sort_config_static_selectorELNS0_4arch9wavefront6targetE0EEEvSG_,comdat
.Lfunc_end2421:
	.size	_ZN7rocprim17ROCPRIM_400000_NS6detail17trampoline_kernelINS0_14default_configENS1_35radix_sort_onesweep_config_selectorItNS0_10empty_typeEEEZZNS1_29radix_sort_onesweep_iterationIS3_Lb1EPKtPtPS5_SB_mNS0_19identity_decomposerENS1_16block_id_wrapperIjLb0EEEEE10hipError_tT1_PNSt15iterator_traitsISG_E10value_typeET2_T3_PNSH_ISM_E10value_typeET4_T5_PSR_SS_PNS1_23onesweep_lookback_stateEbbT6_jjT7_P12ihipStream_tbENKUlT_T0_SG_SL_E_clISA_SA_SB_SB_EEDaSZ_S10_SG_SL_EUlSZ_E_NS1_11comp_targetILNS1_3genE8ELNS1_11target_archE1030ELNS1_3gpuE2ELNS1_3repE0EEENS1_47radix_sort_onesweep_sort_config_static_selectorELNS0_4arch9wavefront6targetE0EEEvSG_, .Lfunc_end2421-_ZN7rocprim17ROCPRIM_400000_NS6detail17trampoline_kernelINS0_14default_configENS1_35radix_sort_onesweep_config_selectorItNS0_10empty_typeEEEZZNS1_29radix_sort_onesweep_iterationIS3_Lb1EPKtPtPS5_SB_mNS0_19identity_decomposerENS1_16block_id_wrapperIjLb0EEEEE10hipError_tT1_PNSt15iterator_traitsISG_E10value_typeET2_T3_PNSH_ISM_E10value_typeET4_T5_PSR_SS_PNS1_23onesweep_lookback_stateEbbT6_jjT7_P12ihipStream_tbENKUlT_T0_SG_SL_E_clISA_SA_SB_SB_EEDaSZ_S10_SG_SL_EUlSZ_E_NS1_11comp_targetILNS1_3genE8ELNS1_11target_archE1030ELNS1_3gpuE2ELNS1_3repE0EEENS1_47radix_sort_onesweep_sort_config_static_selectorELNS0_4arch9wavefront6targetE0EEEvSG_
                                        ; -- End function
	.set _ZN7rocprim17ROCPRIM_400000_NS6detail17trampoline_kernelINS0_14default_configENS1_35radix_sort_onesweep_config_selectorItNS0_10empty_typeEEEZZNS1_29radix_sort_onesweep_iterationIS3_Lb1EPKtPtPS5_SB_mNS0_19identity_decomposerENS1_16block_id_wrapperIjLb0EEEEE10hipError_tT1_PNSt15iterator_traitsISG_E10value_typeET2_T3_PNSH_ISM_E10value_typeET4_T5_PSR_SS_PNS1_23onesweep_lookback_stateEbbT6_jjT7_P12ihipStream_tbENKUlT_T0_SG_SL_E_clISA_SA_SB_SB_EEDaSZ_S10_SG_SL_EUlSZ_E_NS1_11comp_targetILNS1_3genE8ELNS1_11target_archE1030ELNS1_3gpuE2ELNS1_3repE0EEENS1_47radix_sort_onesweep_sort_config_static_selectorELNS0_4arch9wavefront6targetE0EEEvSG_.num_vgpr, 0
	.set _ZN7rocprim17ROCPRIM_400000_NS6detail17trampoline_kernelINS0_14default_configENS1_35radix_sort_onesweep_config_selectorItNS0_10empty_typeEEEZZNS1_29radix_sort_onesweep_iterationIS3_Lb1EPKtPtPS5_SB_mNS0_19identity_decomposerENS1_16block_id_wrapperIjLb0EEEEE10hipError_tT1_PNSt15iterator_traitsISG_E10value_typeET2_T3_PNSH_ISM_E10value_typeET4_T5_PSR_SS_PNS1_23onesweep_lookback_stateEbbT6_jjT7_P12ihipStream_tbENKUlT_T0_SG_SL_E_clISA_SA_SB_SB_EEDaSZ_S10_SG_SL_EUlSZ_E_NS1_11comp_targetILNS1_3genE8ELNS1_11target_archE1030ELNS1_3gpuE2ELNS1_3repE0EEENS1_47radix_sort_onesweep_sort_config_static_selectorELNS0_4arch9wavefront6targetE0EEEvSG_.num_agpr, 0
	.set _ZN7rocprim17ROCPRIM_400000_NS6detail17trampoline_kernelINS0_14default_configENS1_35radix_sort_onesweep_config_selectorItNS0_10empty_typeEEEZZNS1_29radix_sort_onesweep_iterationIS3_Lb1EPKtPtPS5_SB_mNS0_19identity_decomposerENS1_16block_id_wrapperIjLb0EEEEE10hipError_tT1_PNSt15iterator_traitsISG_E10value_typeET2_T3_PNSH_ISM_E10value_typeET4_T5_PSR_SS_PNS1_23onesweep_lookback_stateEbbT6_jjT7_P12ihipStream_tbENKUlT_T0_SG_SL_E_clISA_SA_SB_SB_EEDaSZ_S10_SG_SL_EUlSZ_E_NS1_11comp_targetILNS1_3genE8ELNS1_11target_archE1030ELNS1_3gpuE2ELNS1_3repE0EEENS1_47radix_sort_onesweep_sort_config_static_selectorELNS0_4arch9wavefront6targetE0EEEvSG_.numbered_sgpr, 0
	.set _ZN7rocprim17ROCPRIM_400000_NS6detail17trampoline_kernelINS0_14default_configENS1_35radix_sort_onesweep_config_selectorItNS0_10empty_typeEEEZZNS1_29radix_sort_onesweep_iterationIS3_Lb1EPKtPtPS5_SB_mNS0_19identity_decomposerENS1_16block_id_wrapperIjLb0EEEEE10hipError_tT1_PNSt15iterator_traitsISG_E10value_typeET2_T3_PNSH_ISM_E10value_typeET4_T5_PSR_SS_PNS1_23onesweep_lookback_stateEbbT6_jjT7_P12ihipStream_tbENKUlT_T0_SG_SL_E_clISA_SA_SB_SB_EEDaSZ_S10_SG_SL_EUlSZ_E_NS1_11comp_targetILNS1_3genE8ELNS1_11target_archE1030ELNS1_3gpuE2ELNS1_3repE0EEENS1_47radix_sort_onesweep_sort_config_static_selectorELNS0_4arch9wavefront6targetE0EEEvSG_.num_named_barrier, 0
	.set _ZN7rocprim17ROCPRIM_400000_NS6detail17trampoline_kernelINS0_14default_configENS1_35radix_sort_onesweep_config_selectorItNS0_10empty_typeEEEZZNS1_29radix_sort_onesweep_iterationIS3_Lb1EPKtPtPS5_SB_mNS0_19identity_decomposerENS1_16block_id_wrapperIjLb0EEEEE10hipError_tT1_PNSt15iterator_traitsISG_E10value_typeET2_T3_PNSH_ISM_E10value_typeET4_T5_PSR_SS_PNS1_23onesweep_lookback_stateEbbT6_jjT7_P12ihipStream_tbENKUlT_T0_SG_SL_E_clISA_SA_SB_SB_EEDaSZ_S10_SG_SL_EUlSZ_E_NS1_11comp_targetILNS1_3genE8ELNS1_11target_archE1030ELNS1_3gpuE2ELNS1_3repE0EEENS1_47radix_sort_onesweep_sort_config_static_selectorELNS0_4arch9wavefront6targetE0EEEvSG_.private_seg_size, 0
	.set _ZN7rocprim17ROCPRIM_400000_NS6detail17trampoline_kernelINS0_14default_configENS1_35radix_sort_onesweep_config_selectorItNS0_10empty_typeEEEZZNS1_29radix_sort_onesweep_iterationIS3_Lb1EPKtPtPS5_SB_mNS0_19identity_decomposerENS1_16block_id_wrapperIjLb0EEEEE10hipError_tT1_PNSt15iterator_traitsISG_E10value_typeET2_T3_PNSH_ISM_E10value_typeET4_T5_PSR_SS_PNS1_23onesweep_lookback_stateEbbT6_jjT7_P12ihipStream_tbENKUlT_T0_SG_SL_E_clISA_SA_SB_SB_EEDaSZ_S10_SG_SL_EUlSZ_E_NS1_11comp_targetILNS1_3genE8ELNS1_11target_archE1030ELNS1_3gpuE2ELNS1_3repE0EEENS1_47radix_sort_onesweep_sort_config_static_selectorELNS0_4arch9wavefront6targetE0EEEvSG_.uses_vcc, 0
	.set _ZN7rocprim17ROCPRIM_400000_NS6detail17trampoline_kernelINS0_14default_configENS1_35radix_sort_onesweep_config_selectorItNS0_10empty_typeEEEZZNS1_29radix_sort_onesweep_iterationIS3_Lb1EPKtPtPS5_SB_mNS0_19identity_decomposerENS1_16block_id_wrapperIjLb0EEEEE10hipError_tT1_PNSt15iterator_traitsISG_E10value_typeET2_T3_PNSH_ISM_E10value_typeET4_T5_PSR_SS_PNS1_23onesweep_lookback_stateEbbT6_jjT7_P12ihipStream_tbENKUlT_T0_SG_SL_E_clISA_SA_SB_SB_EEDaSZ_S10_SG_SL_EUlSZ_E_NS1_11comp_targetILNS1_3genE8ELNS1_11target_archE1030ELNS1_3gpuE2ELNS1_3repE0EEENS1_47radix_sort_onesweep_sort_config_static_selectorELNS0_4arch9wavefront6targetE0EEEvSG_.uses_flat_scratch, 0
	.set _ZN7rocprim17ROCPRIM_400000_NS6detail17trampoline_kernelINS0_14default_configENS1_35radix_sort_onesweep_config_selectorItNS0_10empty_typeEEEZZNS1_29radix_sort_onesweep_iterationIS3_Lb1EPKtPtPS5_SB_mNS0_19identity_decomposerENS1_16block_id_wrapperIjLb0EEEEE10hipError_tT1_PNSt15iterator_traitsISG_E10value_typeET2_T3_PNSH_ISM_E10value_typeET4_T5_PSR_SS_PNS1_23onesweep_lookback_stateEbbT6_jjT7_P12ihipStream_tbENKUlT_T0_SG_SL_E_clISA_SA_SB_SB_EEDaSZ_S10_SG_SL_EUlSZ_E_NS1_11comp_targetILNS1_3genE8ELNS1_11target_archE1030ELNS1_3gpuE2ELNS1_3repE0EEENS1_47radix_sort_onesweep_sort_config_static_selectorELNS0_4arch9wavefront6targetE0EEEvSG_.has_dyn_sized_stack, 0
	.set _ZN7rocprim17ROCPRIM_400000_NS6detail17trampoline_kernelINS0_14default_configENS1_35radix_sort_onesweep_config_selectorItNS0_10empty_typeEEEZZNS1_29radix_sort_onesweep_iterationIS3_Lb1EPKtPtPS5_SB_mNS0_19identity_decomposerENS1_16block_id_wrapperIjLb0EEEEE10hipError_tT1_PNSt15iterator_traitsISG_E10value_typeET2_T3_PNSH_ISM_E10value_typeET4_T5_PSR_SS_PNS1_23onesweep_lookback_stateEbbT6_jjT7_P12ihipStream_tbENKUlT_T0_SG_SL_E_clISA_SA_SB_SB_EEDaSZ_S10_SG_SL_EUlSZ_E_NS1_11comp_targetILNS1_3genE8ELNS1_11target_archE1030ELNS1_3gpuE2ELNS1_3repE0EEENS1_47radix_sort_onesweep_sort_config_static_selectorELNS0_4arch9wavefront6targetE0EEEvSG_.has_recursion, 0
	.set _ZN7rocprim17ROCPRIM_400000_NS6detail17trampoline_kernelINS0_14default_configENS1_35radix_sort_onesweep_config_selectorItNS0_10empty_typeEEEZZNS1_29radix_sort_onesweep_iterationIS3_Lb1EPKtPtPS5_SB_mNS0_19identity_decomposerENS1_16block_id_wrapperIjLb0EEEEE10hipError_tT1_PNSt15iterator_traitsISG_E10value_typeET2_T3_PNSH_ISM_E10value_typeET4_T5_PSR_SS_PNS1_23onesweep_lookback_stateEbbT6_jjT7_P12ihipStream_tbENKUlT_T0_SG_SL_E_clISA_SA_SB_SB_EEDaSZ_S10_SG_SL_EUlSZ_E_NS1_11comp_targetILNS1_3genE8ELNS1_11target_archE1030ELNS1_3gpuE2ELNS1_3repE0EEENS1_47radix_sort_onesweep_sort_config_static_selectorELNS0_4arch9wavefront6targetE0EEEvSG_.has_indirect_call, 0
	.section	.AMDGPU.csdata,"",@progbits
; Kernel info:
; codeLenInByte = 0
; TotalNumSgprs: 0
; NumVgprs: 0
; ScratchSize: 0
; MemoryBound: 0
; FloatMode: 240
; IeeeMode: 1
; LDSByteSize: 0 bytes/workgroup (compile time only)
; SGPRBlocks: 0
; VGPRBlocks: 0
; NumSGPRsForWavesPerEU: 1
; NumVGPRsForWavesPerEU: 1
; NamedBarCnt: 0
; Occupancy: 16
; WaveLimiterHint : 0
; COMPUTE_PGM_RSRC2:SCRATCH_EN: 0
; COMPUTE_PGM_RSRC2:USER_SGPR: 2
; COMPUTE_PGM_RSRC2:TRAP_HANDLER: 0
; COMPUTE_PGM_RSRC2:TGID_X_EN: 1
; COMPUTE_PGM_RSRC2:TGID_Y_EN: 0
; COMPUTE_PGM_RSRC2:TGID_Z_EN: 0
; COMPUTE_PGM_RSRC2:TIDIG_COMP_CNT: 0
	.section	.text._ZN7rocprim17ROCPRIM_400000_NS6detail17trampoline_kernelINS0_13kernel_configILj256ELj4ELj4294967295EEENS1_37radix_sort_block_sort_config_selectorItNS0_10empty_typeEEEZNS1_21radix_sort_block_sortIS4_Lb0EPKtPtPS6_SC_NS0_19identity_decomposerEEE10hipError_tT1_T2_T3_T4_jRjT5_jjP12ihipStream_tbEUlT_E_NS1_11comp_targetILNS1_3genE0ELNS1_11target_archE4294967295ELNS1_3gpuE0ELNS1_3repE0EEENS1_44radix_sort_block_sort_config_static_selectorELNS0_4arch9wavefront6targetE0EEEvSF_,"axG",@progbits,_ZN7rocprim17ROCPRIM_400000_NS6detail17trampoline_kernelINS0_13kernel_configILj256ELj4ELj4294967295EEENS1_37radix_sort_block_sort_config_selectorItNS0_10empty_typeEEEZNS1_21radix_sort_block_sortIS4_Lb0EPKtPtPS6_SC_NS0_19identity_decomposerEEE10hipError_tT1_T2_T3_T4_jRjT5_jjP12ihipStream_tbEUlT_E_NS1_11comp_targetILNS1_3genE0ELNS1_11target_archE4294967295ELNS1_3gpuE0ELNS1_3repE0EEENS1_44radix_sort_block_sort_config_static_selectorELNS0_4arch9wavefront6targetE0EEEvSF_,comdat
	.protected	_ZN7rocprim17ROCPRIM_400000_NS6detail17trampoline_kernelINS0_13kernel_configILj256ELj4ELj4294967295EEENS1_37radix_sort_block_sort_config_selectorItNS0_10empty_typeEEEZNS1_21radix_sort_block_sortIS4_Lb0EPKtPtPS6_SC_NS0_19identity_decomposerEEE10hipError_tT1_T2_T3_T4_jRjT5_jjP12ihipStream_tbEUlT_E_NS1_11comp_targetILNS1_3genE0ELNS1_11target_archE4294967295ELNS1_3gpuE0ELNS1_3repE0EEENS1_44radix_sort_block_sort_config_static_selectorELNS0_4arch9wavefront6targetE0EEEvSF_ ; -- Begin function _ZN7rocprim17ROCPRIM_400000_NS6detail17trampoline_kernelINS0_13kernel_configILj256ELj4ELj4294967295EEENS1_37radix_sort_block_sort_config_selectorItNS0_10empty_typeEEEZNS1_21radix_sort_block_sortIS4_Lb0EPKtPtPS6_SC_NS0_19identity_decomposerEEE10hipError_tT1_T2_T3_T4_jRjT5_jjP12ihipStream_tbEUlT_E_NS1_11comp_targetILNS1_3genE0ELNS1_11target_archE4294967295ELNS1_3gpuE0ELNS1_3repE0EEENS1_44radix_sort_block_sort_config_static_selectorELNS0_4arch9wavefront6targetE0EEEvSF_
	.globl	_ZN7rocprim17ROCPRIM_400000_NS6detail17trampoline_kernelINS0_13kernel_configILj256ELj4ELj4294967295EEENS1_37radix_sort_block_sort_config_selectorItNS0_10empty_typeEEEZNS1_21radix_sort_block_sortIS4_Lb0EPKtPtPS6_SC_NS0_19identity_decomposerEEE10hipError_tT1_T2_T3_T4_jRjT5_jjP12ihipStream_tbEUlT_E_NS1_11comp_targetILNS1_3genE0ELNS1_11target_archE4294967295ELNS1_3gpuE0ELNS1_3repE0EEENS1_44radix_sort_block_sort_config_static_selectorELNS0_4arch9wavefront6targetE0EEEvSF_
	.p2align	8
	.type	_ZN7rocprim17ROCPRIM_400000_NS6detail17trampoline_kernelINS0_13kernel_configILj256ELj4ELj4294967295EEENS1_37radix_sort_block_sort_config_selectorItNS0_10empty_typeEEEZNS1_21radix_sort_block_sortIS4_Lb0EPKtPtPS6_SC_NS0_19identity_decomposerEEE10hipError_tT1_T2_T3_T4_jRjT5_jjP12ihipStream_tbEUlT_E_NS1_11comp_targetILNS1_3genE0ELNS1_11target_archE4294967295ELNS1_3gpuE0ELNS1_3repE0EEENS1_44radix_sort_block_sort_config_static_selectorELNS0_4arch9wavefront6targetE0EEEvSF_,@function
_ZN7rocprim17ROCPRIM_400000_NS6detail17trampoline_kernelINS0_13kernel_configILj256ELj4ELj4294967295EEENS1_37radix_sort_block_sort_config_selectorItNS0_10empty_typeEEEZNS1_21radix_sort_block_sortIS4_Lb0EPKtPtPS6_SC_NS0_19identity_decomposerEEE10hipError_tT1_T2_T3_T4_jRjT5_jjP12ihipStream_tbEUlT_E_NS1_11comp_targetILNS1_3genE0ELNS1_11target_archE4294967295ELNS1_3gpuE0ELNS1_3repE0EEENS1_44radix_sort_block_sort_config_static_selectorELNS0_4arch9wavefront6targetE0EEEvSF_: ; @_ZN7rocprim17ROCPRIM_400000_NS6detail17trampoline_kernelINS0_13kernel_configILj256ELj4ELj4294967295EEENS1_37radix_sort_block_sort_config_selectorItNS0_10empty_typeEEEZNS1_21radix_sort_block_sortIS4_Lb0EPKtPtPS6_SC_NS0_19identity_decomposerEEE10hipError_tT1_T2_T3_T4_jRjT5_jjP12ihipStream_tbEUlT_E_NS1_11comp_targetILNS1_3genE0ELNS1_11target_archE4294967295ELNS1_3gpuE0ELNS1_3repE0EEENS1_44radix_sort_block_sort_config_static_selectorELNS0_4arch9wavefront6targetE0EEEvSF_
; %bb.0:
	s_clause 0x1
	s_load_b32 s4, s[0:1], 0x20
	s_load_b128 s[16:19], s[0:1], 0x0
	s_bfe_u32 s5, ttmp6, 0x4000c
	s_and_b32 s2, ttmp6, 15
	s_add_co_i32 s5, s5, 1
	s_getreg_b32 s6, hwreg(HW_REG_IB_STS2, 6, 4)
	s_mul_i32 s5, ttmp9, s5
	v_and_b32_e32 v14, 0x3ff, v0
	s_add_co_i32 s2, s2, s5
	s_cmp_eq_u32 s6, 0
	v_mbcnt_lo_u32_b32 v1, -1, 0
	s_cselect_b32 s5, ttmp9, s2
	v_dual_mov_b32 v5, 0 :: v_dual_lshlrev_b32 v2, 2, v14
	s_lshl_b32 s2, s5, 10
	s_mov_b32 s3, 0
	v_lshlrev_b32_e32 v4, 1, v1
	s_delay_alu instid0(VALU_DEP_2) | instskip(SKIP_2) | instid1(SALU_CYCLE_1)
	v_and_b32_e32 v8, 0x380, v2
	s_wait_kmcnt 0x0
	s_lshr_b32 s8, s4, 10
	s_cmp_lg_u32 s5, s8
	s_cselect_b32 s25, -1, 0
	s_lshl_b64 s[20:21], s[2:3], 1
	s_cmp_eq_u32 s5, s8
	s_add_nc_u64 s[6:7], s[16:17], s[20:21]
	s_mov_b32 s5, -1
	v_add_nc_u64_e32 v[2:3], s[6:7], v[4:5]
	v_lshlrev_b32_e32 v4, 1, v8
	s_delay_alu instid0(VALU_DEP_1)
	v_add_nc_u64_e32 v[6:7], v[2:3], v[4:5]
                                        ; implicit-def: $vgpr2_vgpr3
	s_cbranch_scc0 .LBB2422_24
; %bb.1:
	s_load_b64 s[22:23], s[0:1], 0x28
	s_and_not1_b32 vcc_lo, exec_lo, s5
	s_sub_co_i32 s24, s4, s2
	s_cbranch_vccz .LBB2422_25
.LBB2422_2:
	s_and_saveexec_b32 s2, s3
	s_cbranch_execz .LBB2422_4
.LBB2422_3:
	global_load_u16 v5, v[6:7], off offset:192
	s_wait_loadcnt 0x0
	v_perm_b32 v3, v5, v3, 0x5040100
.LBB2422_4:
	s_or_b32 exec_lo, exec_lo, s2
	s_load_b32 s6, s[0:1], 0x3c
	v_bfe_u32 v5, v0, 10, 10
	v_bfe_u32 v0, v0, 20, 10
	s_get_pc_i64 s[4:5]
	s_add_nc_u64 s[4:5], s[4:5], _ZN7rocprim17ROCPRIM_400000_NS16block_radix_sortItLj256ELj4ENS0_10empty_typeELj1ELj1ELj0ELNS0_26block_radix_rank_algorithmE1ELNS0_18block_padding_hintE2ELNS0_4arch9wavefront6targetE0EE19radix_bits_per_passE@rel64+4
	v_and_b32_e32 v8, 0x3e0, v14
	v_sub_co_u32 v9, s2, v1, 1
	s_load_b32 s26, s[4:5], 0x0
	v_dual_lshrrev_b32 v10, 3, v14 :: v_dual_bitop2_b32 v7, 16, v1 bitop3:0x40
	v_lshl_add_u32 v16, v1, 1, v4
	v_min_u32_e32 v4, 0xe0, v8
	v_cmp_gt_i32_e32 vcc_lo, 0, v9
	v_and_b32_e32 v11, 7, v1
	s_mov_b32 s14, 0
	v_dual_lshlrev_b32 v15, 5, v14 :: v_dual_bitop2_b32 v6, 15, v1 bitop3:0x40
	v_mul_i32_i24_e32 v21, 0xffffffe4, v14
	v_cndmask_b32_e32 v1, v9, v1, vcc_lo
	v_and_b32_e32 v17, 0x7c, v10
	s_wait_kmcnt 0x0
	s_lshr_b32 s7, s6, 16
	s_and_b32 s6, s6, 0xffff
	v_mad_u32_u24 v0, v0, s7, v5
	v_dual_lshlrev_b32 v18, 2, v1 :: v_dual_bitop2_b32 v4, 31, v4 bitop3:0x54
	s_mov_b32 s15, s14
	s_mov_b32 s16, s14
	s_delay_alu instid0(VALU_DEP_2)
	v_mad_u32 v0, v0, s6, v14
	s_mov_b32 s17, s14
	v_cmp_eq_u32_e64 s9, 0, v11
	v_cmp_lt_u32_e64 s10, 1, v11
	v_cmp_lt_u32_e64 s11, 3, v11
	v_mov_b64_e32 v[10:11], s[14:15]
	v_mov_b64_e32 v[12:13], s[16:17]
	v_cmp_gt_u32_e64 s0, 8, v14
	v_cmp_lt_u32_e64 s1, 31, v14
	v_cmp_eq_u32_e64 s3, 0, v14
	v_cmp_eq_u32_e64 s4, 0, v6
	v_dual_lshrrev_b32 v0, 3, v0 :: v_dual_add_nc_u32 v19, -4, v17
	v_cmp_lt_u32_e64 s5, 1, v6
	v_cmp_lt_u32_e64 s6, 3, v6
	;; [unrolled: 1-line block ×3, first 2 shown]
	v_cmp_eq_u32_e64 s8, 0, v7
	v_cmp_eq_u32_e64 s12, v14, v4
	v_and_b32_e32 v20, 0x1ffffffc, v0
	v_add_nc_u32_e32 v21, v15, v21
	s_add_co_i32 s27, s23, s22
	s_branch .LBB2422_6
.LBB2422_5:                             ;   in Loop: Header=BB2422_6 Depth=1
	s_and_not1_b32 vcc_lo, exec_lo, s13
	s_cbranch_vccz .LBB2422_22
.LBB2422_6:                             ; =>This Inner Loop Header: Depth=1
	s_wait_loadcnt 0x0
	v_mov_b64_e32 v[8:9], v[2:3]
	s_min_u32 s13, s26, s23
	ds_store_2addr_b64 v15, v[10:11], v[12:13] offset0:4 offset1:5
	ds_store_2addr_b64 v15, v[10:11], v[12:13] offset0:6 offset1:7
	s_lshl_b32 s28, -1, s13
	s_wait_dscnt 0x0
	s_barrier_signal -1
	s_barrier_wait -1
	v_and_b32_e32 v0, 0xffff, v8
	; wave barrier
	s_delay_alu instid0(VALU_DEP_1) | instskip(NEXT) | instid1(VALU_DEP_1)
	v_lshrrev_b32_e32 v0, s22, v0
	v_bitop3_b32 v2, v0, s28, v0 bitop3:0x30
	s_delay_alu instid0(VALU_DEP_1) | instskip(SKIP_3) | instid1(VALU_DEP_3)
	v_lshlrev_b32_e32 v3, 30, v2
	v_bitop3_b32 v1, v0, 1, s28 bitop3:0x40
	v_dual_lshlrev_b32 v4, 29, v2 :: v_dual_lshlrev_b32 v5, 28, v2
	v_dual_lshlrev_b32 v6, 27, v2 :: v_dual_lshlrev_b32 v7, 26, v2
	v_add_co_u32 v0, s13, v1, -1
	s_delay_alu instid0(VALU_DEP_1) | instskip(SKIP_3) | instid1(VALU_DEP_4)
	v_cndmask_b32_e64 v1, 0, 1, s13
	v_dual_lshlrev_b32 v22, 25, v2 :: v_dual_lshlrev_b32 v23, 24, v2
	v_cmp_gt_i32_e64 s13, 0, v3
	v_cmp_gt_i32_e64 s14, 0, v4
	v_cmp_ne_u32_e32 vcc_lo, 0, v1
	v_not_b32_e32 v1, v3
	v_not_b32_e32 v3, v4
	;; [unrolled: 1-line block ×3, first 2 shown]
	v_cmp_gt_i32_e64 s15, 0, v5
	v_cmp_gt_i32_e64 s16, 0, v6
	v_dual_ashrrev_i32 v1, 31, v1 :: v_dual_bitop2_b32 v0, vcc_lo, v0 bitop3:0x14
	v_not_b32_e32 v5, v6
	v_cmp_gt_i32_e64 s17, 0, v7
	v_not_b32_e32 v6, v7
	v_not_b32_e32 v7, v22
	v_dual_ashrrev_i32 v3, 31, v3 :: v_dual_ashrrev_i32 v4, 31, v4
	v_xor_b32_e32 v1, s13, v1
	v_not_b32_e32 v24, v23
	v_dual_ashrrev_i32 v5, 31, v5 :: v_dual_ashrrev_i32 v6, 31, v6
	s_delay_alu instid0(VALU_DEP_4) | instskip(SKIP_2) | instid1(VALU_DEP_4)
	v_xor_b32_e32 v3, s14, v3
	v_xor_b32_e32 v4, s15, v4
	v_bitop3_b32 v0, v0, v1, exec_lo bitop3:0x80
	v_xor_b32_e32 v5, s16, v5
	v_xor_b32_e32 v1, s17, v6
	v_cmp_gt_i32_e32 vcc_lo, 0, v22
	v_ashrrev_i32_e32 v6, 31, v7
	v_cmp_gt_i32_e64 s13, 0, v23
	v_ashrrev_i32_e32 v7, 31, v24
	v_bitop3_b32 v0, v0, v4, v3 bitop3:0x80
	s_delay_alu instid0(VALU_DEP_2) | instskip(NEXT) | instid1(VALU_DEP_2)
	v_xor_b32_e32 v4, s13, v7
	v_bitop3_b32 v0, v0, v1, v5 bitop3:0x80
	v_lshlrev_b32_e32 v1, 5, v2
	s_delay_alu instid0(VALU_DEP_1) | instskip(NEXT) | instid1(VALU_DEP_1)
	v_dual_add_nc_u32 v24, v20, v1 :: v_dual_bitop2_b32 v3, vcc_lo, v6 bitop3:0x14
	v_bitop3_b32 v0, v0, v4, v3 bitop3:0x80
	s_delay_alu instid0(VALU_DEP_1) | instskip(SKIP_1) | instid1(VALU_DEP_2)
	v_mbcnt_lo_u32_b32 v23, v0, 0
	v_cmp_ne_u32_e64 s13, 0, v0
	v_cmp_eq_u32_e32 vcc_lo, 0, v23
	s_and_b32 s14, s13, vcc_lo
	s_delay_alu instid0(SALU_CYCLE_1)
	s_and_saveexec_b32 s13, s14
; %bb.7:                                ;   in Loop: Header=BB2422_6 Depth=1
	v_bcnt_u32_b32 v0, v0, 0
	ds_store_b32 v24, v0 offset:32
; %bb.8:                                ;   in Loop: Header=BB2422_6 Depth=1
	s_or_b32 exec_lo, exec_lo, s13
	v_lshrrev_b32_e32 v22, 16, v8
	s_not_b32 s28, s28
	; wave barrier
	s_delay_alu instid0(VALU_DEP_1) | instskip(NEXT) | instid1(VALU_DEP_1)
	v_lshrrev_b32_e32 v0, s22, v22
	v_and_b32_e32 v1, s28, v0
	s_delay_alu instid0(VALU_DEP_1) | instskip(SKIP_1) | instid1(VALU_DEP_1)
	v_lshlrev_b32_e32 v4, 30, v1
	v_bitop3_b32 v0, v0, 1, s28 bitop3:0x80
	v_add_co_u32 v0, s13, v0, -1
	s_delay_alu instid0(VALU_DEP_1) | instskip(NEXT) | instid1(VALU_DEP_4)
	v_cndmask_b32_e64 v3, 0, 1, s13
	v_cmp_gt_i32_e64 s13, 0, v4
	s_delay_alu instid0(VALU_DEP_2) | instskip(SKIP_1) | instid1(VALU_DEP_1)
	v_cmp_ne_u32_e32 vcc_lo, 0, v3
	v_not_b32_e32 v3, v4
	v_dual_ashrrev_i32 v3, 31, v3 :: v_dual_lshlrev_b32 v5, 29, v1
	v_dual_lshlrev_b32 v6, 28, v1 :: v_dual_lshlrev_b32 v7, 27, v1
	v_dual_lshlrev_b32 v25, 26, v1 :: v_dual_lshlrev_b32 v2, 5, v1
	s_delay_alu instid0(VALU_DEP_3) | instskip(SKIP_1) | instid1(VALU_DEP_4)
	v_cmp_gt_i32_e64 s14, 0, v5
	v_not_b32_e32 v4, v5
	v_not_b32_e32 v5, v6
	v_dual_lshlrev_b32 v26, 25, v1 :: v_dual_lshlrev_b32 v1, 24, v1
	v_cmp_gt_i32_e64 s15, 0, v6
	v_cmp_gt_i32_e64 s16, 0, v7
	v_not_b32_e32 v6, v7
	v_dual_ashrrev_i32 v5, 31, v5 :: v_dual_bitop2_b32 v0, vcc_lo, v0 bitop3:0x14
	v_dual_ashrrev_i32 v4, 31, v4 :: v_dual_bitop2_b32 v3, s13, v3 bitop3:0x14
	v_not_b32_e32 v7, v25
	v_cmp_gt_i32_e64 s17, 0, v25
	s_delay_alu instid0(VALU_DEP_3)
	v_dual_ashrrev_i32 v6, 31, v6 :: v_dual_bitop2_b32 v4, s14, v4 bitop3:0x14
	v_xor_b32_e32 v5, s15, v5
	v_bitop3_b32 v0, v0, v3, exec_lo bitop3:0x80
	v_ashrrev_i32_e32 v3, 31, v7
	v_not_b32_e32 v7, v26
	v_not_b32_e32 v25, v1
	v_xor_b32_e32 v6, s16, v6
	v_bitop3_b32 v0, v0, v5, v4 bitop3:0x80
	v_xor_b32_e32 v3, s17, v3
	v_cmp_gt_i32_e32 vcc_lo, 0, v26
	v_ashrrev_i32_e32 v4, 31, v7
	v_cmp_gt_i32_e64 s13, 0, v1
	v_dual_ashrrev_i32 v1, 31, v25 :: v_dual_add_nc_u32 v26, v20, v2
	v_bitop3_b32 v0, v0, v3, v6 bitop3:0x80
	s_delay_alu instid0(VALU_DEP_4) | instskip(NEXT) | instid1(VALU_DEP_3)
	v_xor_b32_e32 v2, vcc_lo, v4
	v_xor_b32_e32 v1, s13, v1
	ds_load_b32 v25, v26 offset:32
	; wave barrier
	v_bitop3_b32 v0, v0, v1, v2 bitop3:0x80
	s_delay_alu instid0(VALU_DEP_1) | instskip(SKIP_1) | instid1(VALU_DEP_2)
	v_mbcnt_lo_u32_b32 v27, v0, 0
	v_cmp_ne_u32_e64 s13, 0, v0
	v_cmp_eq_u32_e32 vcc_lo, 0, v27
	s_and_b32 s14, s13, vcc_lo
	s_delay_alu instid0(SALU_CYCLE_1)
	s_and_saveexec_b32 s13, s14
	s_cbranch_execz .LBB2422_10
; %bb.9:                                ;   in Loop: Header=BB2422_6 Depth=1
	s_wait_dscnt 0x0
	v_bcnt_u32_b32 v0, v0, v25
	ds_store_b32 v26, v0 offset:32
.LBB2422_10:                            ;   in Loop: Header=BB2422_6 Depth=1
	s_or_b32 exec_lo, exec_lo, s13
	v_and_b32_e32 v0, 0xffff, v9
	; wave barrier
	s_delay_alu instid0(VALU_DEP_1) | instskip(NEXT) | instid1(VALU_DEP_1)
	v_lshrrev_b32_e32 v0, s22, v0
	v_and_b32_e32 v1, s28, v0
	s_delay_alu instid0(VALU_DEP_1) | instskip(SKIP_1) | instid1(VALU_DEP_2)
	v_lshlrev_b32_e32 v2, 5, v1
	v_bitop3_b32 v0, v0, 1, s28 bitop3:0x80
	v_dual_lshlrev_b32 v4, 30, v1 :: v_dual_add_nc_u32 v31, v20, v2
	s_delay_alu instid0(VALU_DEP_2) | instskip(NEXT) | instid1(VALU_DEP_1)
	v_add_co_u32 v0, s13, v0, -1
	v_cndmask_b32_e64 v3, 0, 1, s13
	s_delay_alu instid0(VALU_DEP_1) | instskip(NEXT) | instid1(VALU_DEP_4)
	v_cmp_ne_u32_e32 vcc_lo, 0, v3
	v_not_b32_e32 v3, v4
	s_delay_alu instid0(VALU_DEP_1) | instskip(SKIP_4) | instid1(VALU_DEP_4)
	v_dual_ashrrev_i32 v3, 31, v3 :: v_dual_bitop2_b32 v0, vcc_lo, v0 bitop3:0x14
	v_dual_lshlrev_b32 v5, 29, v1 :: v_dual_lshlrev_b32 v6, 28, v1
	v_dual_lshlrev_b32 v7, 27, v1 :: v_dual_lshlrev_b32 v28, 26, v1
	v_lshlrev_b32_e32 v29, 25, v1
	v_cmp_gt_i32_e64 s13, 0, v4
	v_cmp_gt_i32_e64 s14, 0, v5
	v_not_b32_e32 v4, v5
	v_not_b32_e32 v5, v6
	v_lshlrev_b32_e32 v1, 24, v1
	v_cmp_gt_i32_e64 s15, 0, v6
	v_cmp_gt_i32_e64 s16, 0, v7
	v_not_b32_e32 v6, v7
	v_not_b32_e32 v7, v28
	v_dual_ashrrev_i32 v4, 31, v4 :: v_dual_ashrrev_i32 v5, 31, v5
	s_delay_alu instid0(VALU_DEP_3) | instskip(SKIP_1) | instid1(VALU_DEP_3)
	v_dual_ashrrev_i32 v6, 31, v6 :: v_dual_bitop2_b32 v3, s13, v3 bitop3:0x14
	v_cmp_gt_i32_e64 s17, 0, v28
	v_dual_ashrrev_i32 v7, 31, v7 :: v_dual_bitop2_b32 v4, s14, v4 bitop3:0x14
	s_delay_alu instid0(VALU_DEP_3)
	v_bitop3_b32 v0, v0, v3, exec_lo bitop3:0x80
	v_not_b32_e32 v3, v29
	v_xor_b32_e32 v5, s15, v5
	v_not_b32_e32 v28, v1
	v_xor_b32_e32 v6, s16, v6
	v_xor_b32_e32 v7, s17, v7
	v_cmp_gt_i32_e32 vcc_lo, 0, v29
	v_ashrrev_i32_e32 v3, 31, v3
	v_bitop3_b32 v0, v0, v5, v4 bitop3:0x80
	v_cmp_gt_i32_e64 s13, 0, v1
	v_ashrrev_i32_e32 v1, 31, v28
	ds_load_b32 v29, v31 offset:32
	v_xor_b32_e32 v2, vcc_lo, v3
	v_bitop3_b32 v0, v0, v7, v6 bitop3:0x80
	v_xor_b32_e32 v1, s13, v1
	; wave barrier
	s_delay_alu instid0(VALU_DEP_1) | instskip(NEXT) | instid1(VALU_DEP_1)
	v_bitop3_b32 v0, v0, v1, v2 bitop3:0x80
	v_mbcnt_lo_u32_b32 v30, v0, 0
	v_cmp_ne_u32_e64 s13, 0, v0
	s_delay_alu instid0(VALU_DEP_2) | instskip(SKIP_1) | instid1(SALU_CYCLE_1)
	v_cmp_eq_u32_e32 vcc_lo, 0, v30
	s_and_b32 s14, s13, vcc_lo
	s_and_saveexec_b32 s13, s14
	s_cbranch_execz .LBB2422_12
; %bb.11:                               ;   in Loop: Header=BB2422_6 Depth=1
	s_wait_dscnt 0x0
	v_bcnt_u32_b32 v0, v0, v29
	ds_store_b32 v31, v0 offset:32
.LBB2422_12:                            ;   in Loop: Header=BB2422_6 Depth=1
	s_or_b32 exec_lo, exec_lo, s13
	v_lshrrev_b32_e32 v28, 16, v9
	; wave barrier
	s_delay_alu instid0(VALU_DEP_1) | instskip(NEXT) | instid1(VALU_DEP_1)
	v_lshrrev_b32_e32 v0, s22, v28
	v_and_b32_e32 v1, s28, v0
	s_delay_alu instid0(VALU_DEP_1) | instskip(SKIP_3) | instid1(VALU_DEP_3)
	v_lshlrev_b32_e32 v2, 5, v1
	v_bitop3_b32 v0, v0, 1, s28 bitop3:0x80
	v_dual_lshlrev_b32 v4, 30, v1 :: v_dual_lshlrev_b32 v5, 29, v1
	v_dual_lshlrev_b32 v6, 28, v1 :: v_dual_lshlrev_b32 v7, 27, v1
	v_add_co_u32 v0, s13, v0, -1
	s_delay_alu instid0(VALU_DEP_1) | instskip(SKIP_3) | instid1(VALU_DEP_4)
	v_cndmask_b32_e64 v3, 0, 1, s13
	v_dual_lshlrev_b32 v32, 26, v1 :: v_dual_lshlrev_b32 v33, 25, v1
	v_cmp_gt_i32_e64 s13, 0, v4
	v_cmp_gt_i32_e64 s14, 0, v5
	v_cmp_ne_u32_e32 vcc_lo, 0, v3
	v_not_b32_e32 v3, v4
	v_lshlrev_b32_e32 v1, 24, v1
	v_not_b32_e32 v4, v5
	v_not_b32_e32 v5, v6
	v_cmp_gt_i32_e64 s15, 0, v6
	v_ashrrev_i32_e32 v3, 31, v3
	v_cmp_gt_i32_e64 s16, 0, v7
	v_not_b32_e32 v6, v7
	v_not_b32_e32 v7, v32
	v_dual_ashrrev_i32 v5, 31, v5 :: v_dual_bitop2_b32 v0, vcc_lo, v0 bitop3:0x14
	v_dual_ashrrev_i32 v4, 31, v4 :: v_dual_bitop2_b32 v3, s13, v3 bitop3:0x14
	v_cmp_gt_i32_e64 s17, 0, v32
	s_delay_alu instid0(VALU_DEP_4)
	v_dual_ashrrev_i32 v6, 31, v6 :: v_dual_ashrrev_i32 v7, 31, v7
	v_not_b32_e32 v32, v1
	v_xor_b32_e32 v5, s15, v5
	v_bitop3_b32 v0, v0, v3, exec_lo bitop3:0x80
	v_not_b32_e32 v3, v33
	v_xor_b32_e32 v4, s14, v4
	v_xor_b32_e32 v6, s16, v6
	v_dual_add_nc_u32 v34, v20, v2 :: v_dual_bitop2_b32 v7, s17, v7 bitop3:0x14
	v_cmp_gt_i32_e32 vcc_lo, 0, v33
	v_ashrrev_i32_e32 v3, 31, v3
	v_cmp_gt_i32_e64 s13, 0, v1
	v_ashrrev_i32_e32 v1, 31, v32
	v_bitop3_b32 v0, v0, v5, v4 bitop3:0x80
	ds_load_b32 v32, v34 offset:32
	v_xor_b32_e32 v2, vcc_lo, v3
	v_xor_b32_e32 v1, s13, v1
	v_bitop3_b32 v0, v0, v7, v6 bitop3:0x80
	; wave barrier
	s_delay_alu instid0(VALU_DEP_1) | instskip(NEXT) | instid1(VALU_DEP_1)
	v_bitop3_b32 v0, v0, v1, v2 bitop3:0x80
	v_mbcnt_lo_u32_b32 v33, v0, 0
	v_cmp_ne_u32_e64 s13, 0, v0
	s_delay_alu instid0(VALU_DEP_2) | instskip(SKIP_1) | instid1(SALU_CYCLE_1)
	v_cmp_eq_u32_e32 vcc_lo, 0, v33
	s_and_b32 s14, s13, vcc_lo
	s_and_saveexec_b32 s13, s14
	s_cbranch_execz .LBB2422_14
; %bb.13:                               ;   in Loop: Header=BB2422_6 Depth=1
	s_wait_dscnt 0x0
	v_bcnt_u32_b32 v0, v0, v32
	ds_store_b32 v34, v0 offset:32
.LBB2422_14:                            ;   in Loop: Header=BB2422_6 Depth=1
	s_or_b32 exec_lo, exec_lo, s13
	; wave barrier
	s_wait_dscnt 0x0
	s_barrier_signal -1
	s_barrier_wait -1
	ds_load_2addr_b64 v[4:7], v15 offset0:4 offset1:5
	ds_load_2addr_b64 v[0:3], v15 offset0:6 offset1:7
	s_wait_dscnt 0x1
	v_add_nc_u32_e32 v35, v5, v4
	s_delay_alu instid0(VALU_DEP_1) | instskip(SKIP_1) | instid1(VALU_DEP_1)
	v_add3_u32 v35, v35, v6, v7
	s_wait_dscnt 0x0
	v_add3_u32 v35, v35, v0, v1
	s_delay_alu instid0(VALU_DEP_1) | instskip(NEXT) | instid1(VALU_DEP_1)
	v_add3_u32 v3, v35, v2, v3
	v_mov_b32_dpp v35, v3 row_shr:1 row_mask:0xf bank_mask:0xf
	s_delay_alu instid0(VALU_DEP_1) | instskip(NEXT) | instid1(VALU_DEP_1)
	v_cndmask_b32_e64 v35, v35, 0, s4
	v_add_nc_u32_e32 v3, v35, v3
	s_delay_alu instid0(VALU_DEP_1) | instskip(NEXT) | instid1(VALU_DEP_1)
	v_mov_b32_dpp v35, v3 row_shr:2 row_mask:0xf bank_mask:0xf
	v_cndmask_b32_e64 v35, 0, v35, s5
	s_delay_alu instid0(VALU_DEP_1) | instskip(NEXT) | instid1(VALU_DEP_1)
	v_add_nc_u32_e32 v3, v3, v35
	v_mov_b32_dpp v35, v3 row_shr:4 row_mask:0xf bank_mask:0xf
	s_delay_alu instid0(VALU_DEP_1) | instskip(NEXT) | instid1(VALU_DEP_1)
	v_cndmask_b32_e64 v35, 0, v35, s6
	v_add_nc_u32_e32 v3, v3, v35
	s_delay_alu instid0(VALU_DEP_1) | instskip(NEXT) | instid1(VALU_DEP_1)
	v_mov_b32_dpp v35, v3 row_shr:8 row_mask:0xf bank_mask:0xf
	v_cndmask_b32_e64 v35, 0, v35, s7
	s_delay_alu instid0(VALU_DEP_1) | instskip(SKIP_3) | instid1(VALU_DEP_1)
	v_add_nc_u32_e32 v3, v3, v35
	ds_swizzle_b32 v35, v3 offset:swizzle(BROADCAST,32,15)
	s_wait_dscnt 0x0
	v_cndmask_b32_e64 v35, v35, 0, s8
	v_add_nc_u32_e32 v3, v3, v35
	s_and_saveexec_b32 s13, s12
; %bb.15:                               ;   in Loop: Header=BB2422_6 Depth=1
	ds_store_b32 v17, v3
; %bb.16:                               ;   in Loop: Header=BB2422_6 Depth=1
	s_or_b32 exec_lo, exec_lo, s13
	s_wait_dscnt 0x0
	s_barrier_signal -1
	s_barrier_wait -1
	s_and_saveexec_b32 s13, s0
	s_cbranch_execz .LBB2422_18
; %bb.17:                               ;   in Loop: Header=BB2422_6 Depth=1
	ds_load_b32 v35, v21
	s_wait_dscnt 0x0
	v_mov_b32_dpp v36, v35 row_shr:1 row_mask:0xf bank_mask:0xf
	s_delay_alu instid0(VALU_DEP_1) | instskip(NEXT) | instid1(VALU_DEP_1)
	v_cndmask_b32_e64 v36, v36, 0, s9
	v_add_nc_u32_e32 v35, v36, v35
	s_delay_alu instid0(VALU_DEP_1) | instskip(NEXT) | instid1(VALU_DEP_1)
	v_mov_b32_dpp v36, v35 row_shr:2 row_mask:0xf bank_mask:0xf
	v_cndmask_b32_e64 v36, 0, v36, s10
	s_delay_alu instid0(VALU_DEP_1) | instskip(NEXT) | instid1(VALU_DEP_1)
	v_add_nc_u32_e32 v35, v35, v36
	v_mov_b32_dpp v36, v35 row_shr:4 row_mask:0xf bank_mask:0xf
	s_delay_alu instid0(VALU_DEP_1) | instskip(NEXT) | instid1(VALU_DEP_1)
	v_cndmask_b32_e64 v36, 0, v36, s11
	v_add_nc_u32_e32 v35, v35, v36
	ds_store_b32 v21, v35
.LBB2422_18:                            ;   in Loop: Header=BB2422_6 Depth=1
	s_or_b32 exec_lo, exec_lo, s13
	v_mov_b32_e32 v35, 0
	s_wait_dscnt 0x0
	s_barrier_signal -1
	s_barrier_wait -1
	s_and_saveexec_b32 s13, s1
; %bb.19:                               ;   in Loop: Header=BB2422_6 Depth=1
	ds_load_b32 v35, v19
; %bb.20:                               ;   in Loop: Header=BB2422_6 Depth=1
	s_or_b32 exec_lo, exec_lo, s13
	s_wait_dscnt 0x0
	v_add_nc_u32_e32 v3, v35, v3
	s_add_co_i32 s22, s22, 8
	s_mov_b32 s13, -1
	s_cmp_ge_u32 s22, s27
	ds_bpermute_b32 v3, v18, v3
	s_wait_dscnt 0x0
	v_cndmask_b32_e64 v3, v3, v35, s2
	s_delay_alu instid0(VALU_DEP_1) | instskip(NEXT) | instid1(VALU_DEP_1)
	v_cndmask_b32_e64 v36, v3, 0, s3
	v_add_nc_u32_e32 v37, v36, v4
	s_delay_alu instid0(VALU_DEP_1) | instskip(NEXT) | instid1(VALU_DEP_1)
	v_add_nc_u32_e32 v4, v37, v5
	v_add_nc_u32_e32 v5, v4, v6
	s_delay_alu instid0(VALU_DEP_1) | instskip(NEXT) | instid1(VALU_DEP_1)
	v_add_nc_u32_e32 v6, v5, v7
	;; [unrolled: 3-line block ×3, first 2 shown]
	v_add_nc_u32_e32 v1, v0, v2
	ds_store_2addr_b64 v15, v[36:37], v[4:5] offset0:4 offset1:5
	ds_store_2addr_b64 v15, v[6:7], v[0:1] offset0:6 offset1:7
	s_wait_dscnt 0x0
	s_barrier_signal -1
	s_barrier_wait -1
	ds_load_b32 v0, v26 offset:32
	ds_load_b32 v1, v31 offset:32
	;; [unrolled: 1-line block ×4, first 2 shown]
	v_lshlrev_b32_e32 v4, 1, v23
	v_dual_lshlrev_b32 v5, 1, v27 :: v_dual_lshlrev_b32 v6, 1, v25
	v_dual_lshlrev_b32 v7, 1, v30 :: v_dual_lshlrev_b32 v23, 1, v29
	;; [unrolled: 1-line block ×3, first 2 shown]
	s_wait_dscnt 0x0
	v_dual_lshlrev_b32 v26, 1, v0 :: v_dual_lshlrev_b32 v27, 1, v1
	v_lshlrev_b32_e32 v2, 1, v2
	v_lshl_add_u32 v0, v3, 1, v4
	s_delay_alu instid0(VALU_DEP_3) | instskip(NEXT) | instid1(VALU_DEP_4)
	v_add3_u32 v1, v5, v6, v26
	v_add3_u32 v4, v7, v23, v27
	s_delay_alu instid0(VALU_DEP_4)
	v_add3_u32 v5, v24, v25, v2
                                        ; implicit-def: $vgpr2_vgpr3
	s_cbranch_scc1 .LBB2422_5
; %bb.21:                               ;   in Loop: Header=BB2422_6 Depth=1
	s_barrier_signal -1
	s_barrier_wait -1
	ds_store_b16 v0, v8
	ds_store_b16 v1, v22
	;; [unrolled: 1-line block ×4, first 2 shown]
	s_wait_dscnt 0x0
	s_barrier_signal -1
	s_barrier_wait -1
	ds_load_u16 v2, v16
	ds_load_u16 v3, v16 offset:128
	ds_load_u16 v6, v16 offset:192
	;; [unrolled: 1-line block ×3, first 2 shown]
	s_add_co_i32 s23, s23, -8
	s_mov_b32 s13, 0
	s_wait_dscnt 0x0
	s_barrier_signal -1
	s_barrier_wait -1
	v_perm_b32 v3, v6, v3, 0x5040100
	v_perm_b32 v2, v7, v2, 0x5040100
	s_branch .LBB2422_5
.LBB2422_22:
	s_barrier_signal -1
	s_barrier_wait -1
	ds_store_b16 v0, v8
	ds_store_b16 v1, v22
	;; [unrolled: 1-line block ×4, first 2 shown]
	v_dual_mov_b32 v1, 0 :: v_dual_lshlrev_b32 v0, 1, v14
	s_wait_dscnt 0x0
	s_barrier_signal -1
	s_barrier_wait -1
	ds_load_u16 v5, v0
	ds_load_u16 v4, v0 offset:512
	ds_load_u16 v3, v0 offset:1024
	;; [unrolled: 1-line block ×3, first 2 shown]
	s_add_nc_u64 s[0:1], s[18:19], s[20:21]
	s_and_not1_b32 vcc_lo, exec_lo, s25
	v_add_nc_u64_e32 v[0:1], s[0:1], v[0:1]
	s_cbranch_vccnz .LBB2422_32
; %bb.23:
	s_mov_b32 s0, -1
	s_wait_dscnt 0x3
	global_store_b16 v[0:1], v5, off
	s_wait_dscnt 0x2
	global_store_b16 v[0:1], v4, off offset:512
	s_wait_dscnt 0x1
	global_store_b16 v[0:1], v3, off offset:1024
	s_cbranch_execz .LBB2422_33
	s_branch .LBB2422_40
.LBB2422_24:
	s_clause 0x2
	global_load_u16 v2, v[6:7], off
	global_load_u16 v5, v[6:7], off offset:64
	global_load_u16 v3, v[6:7], off offset:128
	s_mov_b32 s3, -1
	s_wait_loadcnt 0x1
	v_perm_b32 v2, v5, v2, 0x5040100
	s_load_b64 s[22:23], s[0:1], 0x28
	s_sub_co_i32 s24, s4, s2
	s_cbranch_execnz .LBB2422_2
.LBB2422_25:
	v_dual_mov_b32 v2, -1 :: v_dual_bitop2_b32 v5, v1, v8 bitop3:0x54
	s_mov_b32 s2, exec_lo
	s_wait_loadcnt 0x0
	s_delay_alu instid0(VALU_DEP_1) | instskip(NEXT) | instid1(VALU_DEP_2)
	v_mov_b32_e32 v3, v2
	v_cmpx_gt_u32_e64 s24, v5
	s_cbranch_execz .LBB2422_27
; %bb.26:
	global_load_u16 v3, v[6:7], off
	v_mov_b32_e32 v9, v2
	s_wait_loadcnt 0x0
	v_perm_b32 v8, -1, v3, 0x5040100
	s_delay_alu instid0(VALU_DEP_1)
	v_mov_b64_e32 v[2:3], v[8:9]
.LBB2422_27:
	s_or_b32 exec_lo, exec_lo, s2
	v_or_b32_e32 v8, 32, v5
	s_mov_b32 s2, exec_lo
	s_delay_alu instid0(VALU_DEP_1)
	v_cmpx_gt_u32_e64 s24, v8
	s_cbranch_execz .LBB2422_29
; %bb.28:
	global_load_u16 v8, v[6:7], off offset:64
	s_wait_loadcnt 0x0
	v_perm_b32 v2, v8, v2, 0x5040100
.LBB2422_29:
	s_or_b32 exec_lo, exec_lo, s2
	v_or_b32_e32 v8, 64, v5
	s_mov_b32 s2, exec_lo
	s_delay_alu instid0(VALU_DEP_1)
	v_cmpx_gt_u32_e64 s24, v8
	s_cbranch_execz .LBB2422_31
; %bb.30:
	global_load_u16 v8, v[6:7], off offset:128
	s_wait_loadcnt 0x0
	v_bfi_b32 v3, 0xffff, v8, v3
.LBB2422_31:
	s_or_b32 exec_lo, exec_lo, s2
	v_or_b32_e32 v5, 0x60, v5
	s_delay_alu instid0(VALU_DEP_1)
	v_cmp_gt_u32_e64 s3, s24, v5
	s_and_saveexec_b32 s2, s3
	s_cbranch_execnz .LBB2422_3
	s_branch .LBB2422_4
.LBB2422_32:
	s_mov_b32 s0, 0
.LBB2422_33:
	s_mov_b32 s0, exec_lo
	s_wait_xcnt 0x0
	v_cmpx_gt_u32_e64 s24, v14
	s_cbranch_execz .LBB2422_35
; %bb.34:
	s_wait_dscnt 0x3
	global_store_b16 v[0:1], v5, off
.LBB2422_35:
	s_wait_xcnt 0x0
	s_or_b32 exec_lo, exec_lo, s0
	s_wait_dscnt 0x3
	v_add_nc_u32_e32 v5, 0x100, v14
	s_mov_b32 s0, exec_lo
	s_delay_alu instid0(VALU_DEP_1)
	v_cmpx_gt_u32_e64 s24, v5
	s_cbranch_execz .LBB2422_37
; %bb.36:
	s_wait_dscnt 0x2
	global_store_b16 v[0:1], v4, off offset:512
.LBB2422_37:
	s_wait_xcnt 0x0
	s_or_b32 exec_lo, exec_lo, s0
	s_wait_dscnt 0x2
	v_add_nc_u32_e32 v4, 0x200, v14
	s_mov_b32 s0, exec_lo
	s_delay_alu instid0(VALU_DEP_1)
	v_cmpx_gt_u32_e64 s24, v4
	s_cbranch_execz .LBB2422_39
; %bb.38:
	s_wait_dscnt 0x1
	global_store_b16 v[0:1], v3, off offset:1024
.LBB2422_39:
	s_wait_xcnt 0x0
	s_or_b32 exec_lo, exec_lo, s0
	s_wait_dscnt 0x1
	v_add_nc_u32_e32 v3, 0x300, v14
	s_delay_alu instid0(VALU_DEP_1)
	v_cmp_gt_u32_e64 s0, s24, v3
.LBB2422_40:
	s_wait_xcnt 0x0
	s_delay_alu instid0(VALU_DEP_1)
	s_and_saveexec_b32 s1, s0
	s_cbranch_execnz .LBB2422_42
; %bb.41:
	s_endpgm
.LBB2422_42:
	s_wait_dscnt 0x0
	global_store_b16 v[0:1], v2, off offset:1536
	s_endpgm
	.section	.rodata,"a",@progbits
	.p2align	6, 0x0
	.amdhsa_kernel _ZN7rocprim17ROCPRIM_400000_NS6detail17trampoline_kernelINS0_13kernel_configILj256ELj4ELj4294967295EEENS1_37radix_sort_block_sort_config_selectorItNS0_10empty_typeEEEZNS1_21radix_sort_block_sortIS4_Lb0EPKtPtPS6_SC_NS0_19identity_decomposerEEE10hipError_tT1_T2_T3_T4_jRjT5_jjP12ihipStream_tbEUlT_E_NS1_11comp_targetILNS1_3genE0ELNS1_11target_archE4294967295ELNS1_3gpuE0ELNS1_3repE0EEENS1_44radix_sort_block_sort_config_static_selectorELNS0_4arch9wavefront6targetE0EEEvSF_
		.amdhsa_group_segment_fixed_size 8224
		.amdhsa_private_segment_fixed_size 0
		.amdhsa_kernarg_size 304
		.amdhsa_user_sgpr_count 2
		.amdhsa_user_sgpr_dispatch_ptr 0
		.amdhsa_user_sgpr_queue_ptr 0
		.amdhsa_user_sgpr_kernarg_segment_ptr 1
		.amdhsa_user_sgpr_dispatch_id 0
		.amdhsa_user_sgpr_kernarg_preload_length 0
		.amdhsa_user_sgpr_kernarg_preload_offset 0
		.amdhsa_user_sgpr_private_segment_size 0
		.amdhsa_wavefront_size32 1
		.amdhsa_uses_dynamic_stack 0
		.amdhsa_enable_private_segment 0
		.amdhsa_system_sgpr_workgroup_id_x 1
		.amdhsa_system_sgpr_workgroup_id_y 0
		.amdhsa_system_sgpr_workgroup_id_z 0
		.amdhsa_system_sgpr_workgroup_info 0
		.amdhsa_system_vgpr_workitem_id 2
		.amdhsa_next_free_vgpr 38
		.amdhsa_next_free_sgpr 29
		.amdhsa_named_barrier_count 0
		.amdhsa_reserve_vcc 1
		.amdhsa_float_round_mode_32 0
		.amdhsa_float_round_mode_16_64 0
		.amdhsa_float_denorm_mode_32 3
		.amdhsa_float_denorm_mode_16_64 3
		.amdhsa_fp16_overflow 0
		.amdhsa_memory_ordered 1
		.amdhsa_forward_progress 1
		.amdhsa_inst_pref_size 28
		.amdhsa_round_robin_scheduling 0
		.amdhsa_exception_fp_ieee_invalid_op 0
		.amdhsa_exception_fp_denorm_src 0
		.amdhsa_exception_fp_ieee_div_zero 0
		.amdhsa_exception_fp_ieee_overflow 0
		.amdhsa_exception_fp_ieee_underflow 0
		.amdhsa_exception_fp_ieee_inexact 0
		.amdhsa_exception_int_div_zero 0
	.end_amdhsa_kernel
	.section	.text._ZN7rocprim17ROCPRIM_400000_NS6detail17trampoline_kernelINS0_13kernel_configILj256ELj4ELj4294967295EEENS1_37radix_sort_block_sort_config_selectorItNS0_10empty_typeEEEZNS1_21radix_sort_block_sortIS4_Lb0EPKtPtPS6_SC_NS0_19identity_decomposerEEE10hipError_tT1_T2_T3_T4_jRjT5_jjP12ihipStream_tbEUlT_E_NS1_11comp_targetILNS1_3genE0ELNS1_11target_archE4294967295ELNS1_3gpuE0ELNS1_3repE0EEENS1_44radix_sort_block_sort_config_static_selectorELNS0_4arch9wavefront6targetE0EEEvSF_,"axG",@progbits,_ZN7rocprim17ROCPRIM_400000_NS6detail17trampoline_kernelINS0_13kernel_configILj256ELj4ELj4294967295EEENS1_37radix_sort_block_sort_config_selectorItNS0_10empty_typeEEEZNS1_21radix_sort_block_sortIS4_Lb0EPKtPtPS6_SC_NS0_19identity_decomposerEEE10hipError_tT1_T2_T3_T4_jRjT5_jjP12ihipStream_tbEUlT_E_NS1_11comp_targetILNS1_3genE0ELNS1_11target_archE4294967295ELNS1_3gpuE0ELNS1_3repE0EEENS1_44radix_sort_block_sort_config_static_selectorELNS0_4arch9wavefront6targetE0EEEvSF_,comdat
.Lfunc_end2422:
	.size	_ZN7rocprim17ROCPRIM_400000_NS6detail17trampoline_kernelINS0_13kernel_configILj256ELj4ELj4294967295EEENS1_37radix_sort_block_sort_config_selectorItNS0_10empty_typeEEEZNS1_21radix_sort_block_sortIS4_Lb0EPKtPtPS6_SC_NS0_19identity_decomposerEEE10hipError_tT1_T2_T3_T4_jRjT5_jjP12ihipStream_tbEUlT_E_NS1_11comp_targetILNS1_3genE0ELNS1_11target_archE4294967295ELNS1_3gpuE0ELNS1_3repE0EEENS1_44radix_sort_block_sort_config_static_selectorELNS0_4arch9wavefront6targetE0EEEvSF_, .Lfunc_end2422-_ZN7rocprim17ROCPRIM_400000_NS6detail17trampoline_kernelINS0_13kernel_configILj256ELj4ELj4294967295EEENS1_37radix_sort_block_sort_config_selectorItNS0_10empty_typeEEEZNS1_21radix_sort_block_sortIS4_Lb0EPKtPtPS6_SC_NS0_19identity_decomposerEEE10hipError_tT1_T2_T3_T4_jRjT5_jjP12ihipStream_tbEUlT_E_NS1_11comp_targetILNS1_3genE0ELNS1_11target_archE4294967295ELNS1_3gpuE0ELNS1_3repE0EEENS1_44radix_sort_block_sort_config_static_selectorELNS0_4arch9wavefront6targetE0EEEvSF_
                                        ; -- End function
	.set _ZN7rocprim17ROCPRIM_400000_NS6detail17trampoline_kernelINS0_13kernel_configILj256ELj4ELj4294967295EEENS1_37radix_sort_block_sort_config_selectorItNS0_10empty_typeEEEZNS1_21radix_sort_block_sortIS4_Lb0EPKtPtPS6_SC_NS0_19identity_decomposerEEE10hipError_tT1_T2_T3_T4_jRjT5_jjP12ihipStream_tbEUlT_E_NS1_11comp_targetILNS1_3genE0ELNS1_11target_archE4294967295ELNS1_3gpuE0ELNS1_3repE0EEENS1_44radix_sort_block_sort_config_static_selectorELNS0_4arch9wavefront6targetE0EEEvSF_.num_vgpr, 38
	.set _ZN7rocprim17ROCPRIM_400000_NS6detail17trampoline_kernelINS0_13kernel_configILj256ELj4ELj4294967295EEENS1_37radix_sort_block_sort_config_selectorItNS0_10empty_typeEEEZNS1_21radix_sort_block_sortIS4_Lb0EPKtPtPS6_SC_NS0_19identity_decomposerEEE10hipError_tT1_T2_T3_T4_jRjT5_jjP12ihipStream_tbEUlT_E_NS1_11comp_targetILNS1_3genE0ELNS1_11target_archE4294967295ELNS1_3gpuE0ELNS1_3repE0EEENS1_44radix_sort_block_sort_config_static_selectorELNS0_4arch9wavefront6targetE0EEEvSF_.num_agpr, 0
	.set _ZN7rocprim17ROCPRIM_400000_NS6detail17trampoline_kernelINS0_13kernel_configILj256ELj4ELj4294967295EEENS1_37radix_sort_block_sort_config_selectorItNS0_10empty_typeEEEZNS1_21radix_sort_block_sortIS4_Lb0EPKtPtPS6_SC_NS0_19identity_decomposerEEE10hipError_tT1_T2_T3_T4_jRjT5_jjP12ihipStream_tbEUlT_E_NS1_11comp_targetILNS1_3genE0ELNS1_11target_archE4294967295ELNS1_3gpuE0ELNS1_3repE0EEENS1_44radix_sort_block_sort_config_static_selectorELNS0_4arch9wavefront6targetE0EEEvSF_.numbered_sgpr, 29
	.set _ZN7rocprim17ROCPRIM_400000_NS6detail17trampoline_kernelINS0_13kernel_configILj256ELj4ELj4294967295EEENS1_37radix_sort_block_sort_config_selectorItNS0_10empty_typeEEEZNS1_21radix_sort_block_sortIS4_Lb0EPKtPtPS6_SC_NS0_19identity_decomposerEEE10hipError_tT1_T2_T3_T4_jRjT5_jjP12ihipStream_tbEUlT_E_NS1_11comp_targetILNS1_3genE0ELNS1_11target_archE4294967295ELNS1_3gpuE0ELNS1_3repE0EEENS1_44radix_sort_block_sort_config_static_selectorELNS0_4arch9wavefront6targetE0EEEvSF_.num_named_barrier, 0
	.set _ZN7rocprim17ROCPRIM_400000_NS6detail17trampoline_kernelINS0_13kernel_configILj256ELj4ELj4294967295EEENS1_37radix_sort_block_sort_config_selectorItNS0_10empty_typeEEEZNS1_21radix_sort_block_sortIS4_Lb0EPKtPtPS6_SC_NS0_19identity_decomposerEEE10hipError_tT1_T2_T3_T4_jRjT5_jjP12ihipStream_tbEUlT_E_NS1_11comp_targetILNS1_3genE0ELNS1_11target_archE4294967295ELNS1_3gpuE0ELNS1_3repE0EEENS1_44radix_sort_block_sort_config_static_selectorELNS0_4arch9wavefront6targetE0EEEvSF_.private_seg_size, 0
	.set _ZN7rocprim17ROCPRIM_400000_NS6detail17trampoline_kernelINS0_13kernel_configILj256ELj4ELj4294967295EEENS1_37radix_sort_block_sort_config_selectorItNS0_10empty_typeEEEZNS1_21radix_sort_block_sortIS4_Lb0EPKtPtPS6_SC_NS0_19identity_decomposerEEE10hipError_tT1_T2_T3_T4_jRjT5_jjP12ihipStream_tbEUlT_E_NS1_11comp_targetILNS1_3genE0ELNS1_11target_archE4294967295ELNS1_3gpuE0ELNS1_3repE0EEENS1_44radix_sort_block_sort_config_static_selectorELNS0_4arch9wavefront6targetE0EEEvSF_.uses_vcc, 1
	.set _ZN7rocprim17ROCPRIM_400000_NS6detail17trampoline_kernelINS0_13kernel_configILj256ELj4ELj4294967295EEENS1_37radix_sort_block_sort_config_selectorItNS0_10empty_typeEEEZNS1_21radix_sort_block_sortIS4_Lb0EPKtPtPS6_SC_NS0_19identity_decomposerEEE10hipError_tT1_T2_T3_T4_jRjT5_jjP12ihipStream_tbEUlT_E_NS1_11comp_targetILNS1_3genE0ELNS1_11target_archE4294967295ELNS1_3gpuE0ELNS1_3repE0EEENS1_44radix_sort_block_sort_config_static_selectorELNS0_4arch9wavefront6targetE0EEEvSF_.uses_flat_scratch, 0
	.set _ZN7rocprim17ROCPRIM_400000_NS6detail17trampoline_kernelINS0_13kernel_configILj256ELj4ELj4294967295EEENS1_37radix_sort_block_sort_config_selectorItNS0_10empty_typeEEEZNS1_21radix_sort_block_sortIS4_Lb0EPKtPtPS6_SC_NS0_19identity_decomposerEEE10hipError_tT1_T2_T3_T4_jRjT5_jjP12ihipStream_tbEUlT_E_NS1_11comp_targetILNS1_3genE0ELNS1_11target_archE4294967295ELNS1_3gpuE0ELNS1_3repE0EEENS1_44radix_sort_block_sort_config_static_selectorELNS0_4arch9wavefront6targetE0EEEvSF_.has_dyn_sized_stack, 0
	.set _ZN7rocprim17ROCPRIM_400000_NS6detail17trampoline_kernelINS0_13kernel_configILj256ELj4ELj4294967295EEENS1_37radix_sort_block_sort_config_selectorItNS0_10empty_typeEEEZNS1_21radix_sort_block_sortIS4_Lb0EPKtPtPS6_SC_NS0_19identity_decomposerEEE10hipError_tT1_T2_T3_T4_jRjT5_jjP12ihipStream_tbEUlT_E_NS1_11comp_targetILNS1_3genE0ELNS1_11target_archE4294967295ELNS1_3gpuE0ELNS1_3repE0EEENS1_44radix_sort_block_sort_config_static_selectorELNS0_4arch9wavefront6targetE0EEEvSF_.has_recursion, 0
	.set _ZN7rocprim17ROCPRIM_400000_NS6detail17trampoline_kernelINS0_13kernel_configILj256ELj4ELj4294967295EEENS1_37radix_sort_block_sort_config_selectorItNS0_10empty_typeEEEZNS1_21radix_sort_block_sortIS4_Lb0EPKtPtPS6_SC_NS0_19identity_decomposerEEE10hipError_tT1_T2_T3_T4_jRjT5_jjP12ihipStream_tbEUlT_E_NS1_11comp_targetILNS1_3genE0ELNS1_11target_archE4294967295ELNS1_3gpuE0ELNS1_3repE0EEENS1_44radix_sort_block_sort_config_static_selectorELNS0_4arch9wavefront6targetE0EEEvSF_.has_indirect_call, 0
	.section	.AMDGPU.csdata,"",@progbits
; Kernel info:
; codeLenInByte = 3544
; TotalNumSgprs: 31
; NumVgprs: 38
; ScratchSize: 0
; MemoryBound: 0
; FloatMode: 240
; IeeeMode: 1
; LDSByteSize: 8224 bytes/workgroup (compile time only)
; SGPRBlocks: 0
; VGPRBlocks: 2
; NumSGPRsForWavesPerEU: 31
; NumVGPRsForWavesPerEU: 38
; NamedBarCnt: 0
; Occupancy: 16
; WaveLimiterHint : 1
; COMPUTE_PGM_RSRC2:SCRATCH_EN: 0
; COMPUTE_PGM_RSRC2:USER_SGPR: 2
; COMPUTE_PGM_RSRC2:TRAP_HANDLER: 0
; COMPUTE_PGM_RSRC2:TGID_X_EN: 1
; COMPUTE_PGM_RSRC2:TGID_Y_EN: 0
; COMPUTE_PGM_RSRC2:TGID_Z_EN: 0
; COMPUTE_PGM_RSRC2:TIDIG_COMP_CNT: 2
	.section	.text._ZN7rocprim17ROCPRIM_400000_NS6detail17trampoline_kernelINS0_13kernel_configILj256ELj4ELj4294967295EEENS1_37radix_sort_block_sort_config_selectorItNS0_10empty_typeEEEZNS1_21radix_sort_block_sortIS4_Lb0EPKtPtPS6_SC_NS0_19identity_decomposerEEE10hipError_tT1_T2_T3_T4_jRjT5_jjP12ihipStream_tbEUlT_E_NS1_11comp_targetILNS1_3genE5ELNS1_11target_archE942ELNS1_3gpuE9ELNS1_3repE0EEENS1_44radix_sort_block_sort_config_static_selectorELNS0_4arch9wavefront6targetE0EEEvSF_,"axG",@progbits,_ZN7rocprim17ROCPRIM_400000_NS6detail17trampoline_kernelINS0_13kernel_configILj256ELj4ELj4294967295EEENS1_37radix_sort_block_sort_config_selectorItNS0_10empty_typeEEEZNS1_21radix_sort_block_sortIS4_Lb0EPKtPtPS6_SC_NS0_19identity_decomposerEEE10hipError_tT1_T2_T3_T4_jRjT5_jjP12ihipStream_tbEUlT_E_NS1_11comp_targetILNS1_3genE5ELNS1_11target_archE942ELNS1_3gpuE9ELNS1_3repE0EEENS1_44radix_sort_block_sort_config_static_selectorELNS0_4arch9wavefront6targetE0EEEvSF_,comdat
	.protected	_ZN7rocprim17ROCPRIM_400000_NS6detail17trampoline_kernelINS0_13kernel_configILj256ELj4ELj4294967295EEENS1_37radix_sort_block_sort_config_selectorItNS0_10empty_typeEEEZNS1_21radix_sort_block_sortIS4_Lb0EPKtPtPS6_SC_NS0_19identity_decomposerEEE10hipError_tT1_T2_T3_T4_jRjT5_jjP12ihipStream_tbEUlT_E_NS1_11comp_targetILNS1_3genE5ELNS1_11target_archE942ELNS1_3gpuE9ELNS1_3repE0EEENS1_44radix_sort_block_sort_config_static_selectorELNS0_4arch9wavefront6targetE0EEEvSF_ ; -- Begin function _ZN7rocprim17ROCPRIM_400000_NS6detail17trampoline_kernelINS0_13kernel_configILj256ELj4ELj4294967295EEENS1_37radix_sort_block_sort_config_selectorItNS0_10empty_typeEEEZNS1_21radix_sort_block_sortIS4_Lb0EPKtPtPS6_SC_NS0_19identity_decomposerEEE10hipError_tT1_T2_T3_T4_jRjT5_jjP12ihipStream_tbEUlT_E_NS1_11comp_targetILNS1_3genE5ELNS1_11target_archE942ELNS1_3gpuE9ELNS1_3repE0EEENS1_44radix_sort_block_sort_config_static_selectorELNS0_4arch9wavefront6targetE0EEEvSF_
	.globl	_ZN7rocprim17ROCPRIM_400000_NS6detail17trampoline_kernelINS0_13kernel_configILj256ELj4ELj4294967295EEENS1_37radix_sort_block_sort_config_selectorItNS0_10empty_typeEEEZNS1_21radix_sort_block_sortIS4_Lb0EPKtPtPS6_SC_NS0_19identity_decomposerEEE10hipError_tT1_T2_T3_T4_jRjT5_jjP12ihipStream_tbEUlT_E_NS1_11comp_targetILNS1_3genE5ELNS1_11target_archE942ELNS1_3gpuE9ELNS1_3repE0EEENS1_44radix_sort_block_sort_config_static_selectorELNS0_4arch9wavefront6targetE0EEEvSF_
	.p2align	8
	.type	_ZN7rocprim17ROCPRIM_400000_NS6detail17trampoline_kernelINS0_13kernel_configILj256ELj4ELj4294967295EEENS1_37radix_sort_block_sort_config_selectorItNS0_10empty_typeEEEZNS1_21radix_sort_block_sortIS4_Lb0EPKtPtPS6_SC_NS0_19identity_decomposerEEE10hipError_tT1_T2_T3_T4_jRjT5_jjP12ihipStream_tbEUlT_E_NS1_11comp_targetILNS1_3genE5ELNS1_11target_archE942ELNS1_3gpuE9ELNS1_3repE0EEENS1_44radix_sort_block_sort_config_static_selectorELNS0_4arch9wavefront6targetE0EEEvSF_,@function
_ZN7rocprim17ROCPRIM_400000_NS6detail17trampoline_kernelINS0_13kernel_configILj256ELj4ELj4294967295EEENS1_37radix_sort_block_sort_config_selectorItNS0_10empty_typeEEEZNS1_21radix_sort_block_sortIS4_Lb0EPKtPtPS6_SC_NS0_19identity_decomposerEEE10hipError_tT1_T2_T3_T4_jRjT5_jjP12ihipStream_tbEUlT_E_NS1_11comp_targetILNS1_3genE5ELNS1_11target_archE942ELNS1_3gpuE9ELNS1_3repE0EEENS1_44radix_sort_block_sort_config_static_selectorELNS0_4arch9wavefront6targetE0EEEvSF_: ; @_ZN7rocprim17ROCPRIM_400000_NS6detail17trampoline_kernelINS0_13kernel_configILj256ELj4ELj4294967295EEENS1_37radix_sort_block_sort_config_selectorItNS0_10empty_typeEEEZNS1_21radix_sort_block_sortIS4_Lb0EPKtPtPS6_SC_NS0_19identity_decomposerEEE10hipError_tT1_T2_T3_T4_jRjT5_jjP12ihipStream_tbEUlT_E_NS1_11comp_targetILNS1_3genE5ELNS1_11target_archE942ELNS1_3gpuE9ELNS1_3repE0EEENS1_44radix_sort_block_sort_config_static_selectorELNS0_4arch9wavefront6targetE0EEEvSF_
; %bb.0:
	.section	.rodata,"a",@progbits
	.p2align	6, 0x0
	.amdhsa_kernel _ZN7rocprim17ROCPRIM_400000_NS6detail17trampoline_kernelINS0_13kernel_configILj256ELj4ELj4294967295EEENS1_37radix_sort_block_sort_config_selectorItNS0_10empty_typeEEEZNS1_21radix_sort_block_sortIS4_Lb0EPKtPtPS6_SC_NS0_19identity_decomposerEEE10hipError_tT1_T2_T3_T4_jRjT5_jjP12ihipStream_tbEUlT_E_NS1_11comp_targetILNS1_3genE5ELNS1_11target_archE942ELNS1_3gpuE9ELNS1_3repE0EEENS1_44radix_sort_block_sort_config_static_selectorELNS0_4arch9wavefront6targetE0EEEvSF_
		.amdhsa_group_segment_fixed_size 0
		.amdhsa_private_segment_fixed_size 0
		.amdhsa_kernarg_size 48
		.amdhsa_user_sgpr_count 2
		.amdhsa_user_sgpr_dispatch_ptr 0
		.amdhsa_user_sgpr_queue_ptr 0
		.amdhsa_user_sgpr_kernarg_segment_ptr 1
		.amdhsa_user_sgpr_dispatch_id 0
		.amdhsa_user_sgpr_kernarg_preload_length 0
		.amdhsa_user_sgpr_kernarg_preload_offset 0
		.amdhsa_user_sgpr_private_segment_size 0
		.amdhsa_wavefront_size32 1
		.amdhsa_uses_dynamic_stack 0
		.amdhsa_enable_private_segment 0
		.amdhsa_system_sgpr_workgroup_id_x 1
		.amdhsa_system_sgpr_workgroup_id_y 0
		.amdhsa_system_sgpr_workgroup_id_z 0
		.amdhsa_system_sgpr_workgroup_info 0
		.amdhsa_system_vgpr_workitem_id 0
		.amdhsa_next_free_vgpr 1
		.amdhsa_next_free_sgpr 1
		.amdhsa_named_barrier_count 0
		.amdhsa_reserve_vcc 0
		.amdhsa_float_round_mode_32 0
		.amdhsa_float_round_mode_16_64 0
		.amdhsa_float_denorm_mode_32 3
		.amdhsa_float_denorm_mode_16_64 3
		.amdhsa_fp16_overflow 0
		.amdhsa_memory_ordered 1
		.amdhsa_forward_progress 1
		.amdhsa_inst_pref_size 0
		.amdhsa_round_robin_scheduling 0
		.amdhsa_exception_fp_ieee_invalid_op 0
		.amdhsa_exception_fp_denorm_src 0
		.amdhsa_exception_fp_ieee_div_zero 0
		.amdhsa_exception_fp_ieee_overflow 0
		.amdhsa_exception_fp_ieee_underflow 0
		.amdhsa_exception_fp_ieee_inexact 0
		.amdhsa_exception_int_div_zero 0
	.end_amdhsa_kernel
	.section	.text._ZN7rocprim17ROCPRIM_400000_NS6detail17trampoline_kernelINS0_13kernel_configILj256ELj4ELj4294967295EEENS1_37radix_sort_block_sort_config_selectorItNS0_10empty_typeEEEZNS1_21radix_sort_block_sortIS4_Lb0EPKtPtPS6_SC_NS0_19identity_decomposerEEE10hipError_tT1_T2_T3_T4_jRjT5_jjP12ihipStream_tbEUlT_E_NS1_11comp_targetILNS1_3genE5ELNS1_11target_archE942ELNS1_3gpuE9ELNS1_3repE0EEENS1_44radix_sort_block_sort_config_static_selectorELNS0_4arch9wavefront6targetE0EEEvSF_,"axG",@progbits,_ZN7rocprim17ROCPRIM_400000_NS6detail17trampoline_kernelINS0_13kernel_configILj256ELj4ELj4294967295EEENS1_37radix_sort_block_sort_config_selectorItNS0_10empty_typeEEEZNS1_21radix_sort_block_sortIS4_Lb0EPKtPtPS6_SC_NS0_19identity_decomposerEEE10hipError_tT1_T2_T3_T4_jRjT5_jjP12ihipStream_tbEUlT_E_NS1_11comp_targetILNS1_3genE5ELNS1_11target_archE942ELNS1_3gpuE9ELNS1_3repE0EEENS1_44radix_sort_block_sort_config_static_selectorELNS0_4arch9wavefront6targetE0EEEvSF_,comdat
.Lfunc_end2423:
	.size	_ZN7rocprim17ROCPRIM_400000_NS6detail17trampoline_kernelINS0_13kernel_configILj256ELj4ELj4294967295EEENS1_37radix_sort_block_sort_config_selectorItNS0_10empty_typeEEEZNS1_21radix_sort_block_sortIS4_Lb0EPKtPtPS6_SC_NS0_19identity_decomposerEEE10hipError_tT1_T2_T3_T4_jRjT5_jjP12ihipStream_tbEUlT_E_NS1_11comp_targetILNS1_3genE5ELNS1_11target_archE942ELNS1_3gpuE9ELNS1_3repE0EEENS1_44radix_sort_block_sort_config_static_selectorELNS0_4arch9wavefront6targetE0EEEvSF_, .Lfunc_end2423-_ZN7rocprim17ROCPRIM_400000_NS6detail17trampoline_kernelINS0_13kernel_configILj256ELj4ELj4294967295EEENS1_37radix_sort_block_sort_config_selectorItNS0_10empty_typeEEEZNS1_21radix_sort_block_sortIS4_Lb0EPKtPtPS6_SC_NS0_19identity_decomposerEEE10hipError_tT1_T2_T3_T4_jRjT5_jjP12ihipStream_tbEUlT_E_NS1_11comp_targetILNS1_3genE5ELNS1_11target_archE942ELNS1_3gpuE9ELNS1_3repE0EEENS1_44radix_sort_block_sort_config_static_selectorELNS0_4arch9wavefront6targetE0EEEvSF_
                                        ; -- End function
	.set _ZN7rocprim17ROCPRIM_400000_NS6detail17trampoline_kernelINS0_13kernel_configILj256ELj4ELj4294967295EEENS1_37radix_sort_block_sort_config_selectorItNS0_10empty_typeEEEZNS1_21radix_sort_block_sortIS4_Lb0EPKtPtPS6_SC_NS0_19identity_decomposerEEE10hipError_tT1_T2_T3_T4_jRjT5_jjP12ihipStream_tbEUlT_E_NS1_11comp_targetILNS1_3genE5ELNS1_11target_archE942ELNS1_3gpuE9ELNS1_3repE0EEENS1_44radix_sort_block_sort_config_static_selectorELNS0_4arch9wavefront6targetE0EEEvSF_.num_vgpr, 0
	.set _ZN7rocprim17ROCPRIM_400000_NS6detail17trampoline_kernelINS0_13kernel_configILj256ELj4ELj4294967295EEENS1_37radix_sort_block_sort_config_selectorItNS0_10empty_typeEEEZNS1_21radix_sort_block_sortIS4_Lb0EPKtPtPS6_SC_NS0_19identity_decomposerEEE10hipError_tT1_T2_T3_T4_jRjT5_jjP12ihipStream_tbEUlT_E_NS1_11comp_targetILNS1_3genE5ELNS1_11target_archE942ELNS1_3gpuE9ELNS1_3repE0EEENS1_44radix_sort_block_sort_config_static_selectorELNS0_4arch9wavefront6targetE0EEEvSF_.num_agpr, 0
	.set _ZN7rocprim17ROCPRIM_400000_NS6detail17trampoline_kernelINS0_13kernel_configILj256ELj4ELj4294967295EEENS1_37radix_sort_block_sort_config_selectorItNS0_10empty_typeEEEZNS1_21radix_sort_block_sortIS4_Lb0EPKtPtPS6_SC_NS0_19identity_decomposerEEE10hipError_tT1_T2_T3_T4_jRjT5_jjP12ihipStream_tbEUlT_E_NS1_11comp_targetILNS1_3genE5ELNS1_11target_archE942ELNS1_3gpuE9ELNS1_3repE0EEENS1_44radix_sort_block_sort_config_static_selectorELNS0_4arch9wavefront6targetE0EEEvSF_.numbered_sgpr, 0
	.set _ZN7rocprim17ROCPRIM_400000_NS6detail17trampoline_kernelINS0_13kernel_configILj256ELj4ELj4294967295EEENS1_37radix_sort_block_sort_config_selectorItNS0_10empty_typeEEEZNS1_21radix_sort_block_sortIS4_Lb0EPKtPtPS6_SC_NS0_19identity_decomposerEEE10hipError_tT1_T2_T3_T4_jRjT5_jjP12ihipStream_tbEUlT_E_NS1_11comp_targetILNS1_3genE5ELNS1_11target_archE942ELNS1_3gpuE9ELNS1_3repE0EEENS1_44radix_sort_block_sort_config_static_selectorELNS0_4arch9wavefront6targetE0EEEvSF_.num_named_barrier, 0
	.set _ZN7rocprim17ROCPRIM_400000_NS6detail17trampoline_kernelINS0_13kernel_configILj256ELj4ELj4294967295EEENS1_37radix_sort_block_sort_config_selectorItNS0_10empty_typeEEEZNS1_21radix_sort_block_sortIS4_Lb0EPKtPtPS6_SC_NS0_19identity_decomposerEEE10hipError_tT1_T2_T3_T4_jRjT5_jjP12ihipStream_tbEUlT_E_NS1_11comp_targetILNS1_3genE5ELNS1_11target_archE942ELNS1_3gpuE9ELNS1_3repE0EEENS1_44radix_sort_block_sort_config_static_selectorELNS0_4arch9wavefront6targetE0EEEvSF_.private_seg_size, 0
	.set _ZN7rocprim17ROCPRIM_400000_NS6detail17trampoline_kernelINS0_13kernel_configILj256ELj4ELj4294967295EEENS1_37radix_sort_block_sort_config_selectorItNS0_10empty_typeEEEZNS1_21radix_sort_block_sortIS4_Lb0EPKtPtPS6_SC_NS0_19identity_decomposerEEE10hipError_tT1_T2_T3_T4_jRjT5_jjP12ihipStream_tbEUlT_E_NS1_11comp_targetILNS1_3genE5ELNS1_11target_archE942ELNS1_3gpuE9ELNS1_3repE0EEENS1_44radix_sort_block_sort_config_static_selectorELNS0_4arch9wavefront6targetE0EEEvSF_.uses_vcc, 0
	.set _ZN7rocprim17ROCPRIM_400000_NS6detail17trampoline_kernelINS0_13kernel_configILj256ELj4ELj4294967295EEENS1_37radix_sort_block_sort_config_selectorItNS0_10empty_typeEEEZNS1_21radix_sort_block_sortIS4_Lb0EPKtPtPS6_SC_NS0_19identity_decomposerEEE10hipError_tT1_T2_T3_T4_jRjT5_jjP12ihipStream_tbEUlT_E_NS1_11comp_targetILNS1_3genE5ELNS1_11target_archE942ELNS1_3gpuE9ELNS1_3repE0EEENS1_44radix_sort_block_sort_config_static_selectorELNS0_4arch9wavefront6targetE0EEEvSF_.uses_flat_scratch, 0
	.set _ZN7rocprim17ROCPRIM_400000_NS6detail17trampoline_kernelINS0_13kernel_configILj256ELj4ELj4294967295EEENS1_37radix_sort_block_sort_config_selectorItNS0_10empty_typeEEEZNS1_21radix_sort_block_sortIS4_Lb0EPKtPtPS6_SC_NS0_19identity_decomposerEEE10hipError_tT1_T2_T3_T4_jRjT5_jjP12ihipStream_tbEUlT_E_NS1_11comp_targetILNS1_3genE5ELNS1_11target_archE942ELNS1_3gpuE9ELNS1_3repE0EEENS1_44radix_sort_block_sort_config_static_selectorELNS0_4arch9wavefront6targetE0EEEvSF_.has_dyn_sized_stack, 0
	.set _ZN7rocprim17ROCPRIM_400000_NS6detail17trampoline_kernelINS0_13kernel_configILj256ELj4ELj4294967295EEENS1_37radix_sort_block_sort_config_selectorItNS0_10empty_typeEEEZNS1_21radix_sort_block_sortIS4_Lb0EPKtPtPS6_SC_NS0_19identity_decomposerEEE10hipError_tT1_T2_T3_T4_jRjT5_jjP12ihipStream_tbEUlT_E_NS1_11comp_targetILNS1_3genE5ELNS1_11target_archE942ELNS1_3gpuE9ELNS1_3repE0EEENS1_44radix_sort_block_sort_config_static_selectorELNS0_4arch9wavefront6targetE0EEEvSF_.has_recursion, 0
	.set _ZN7rocprim17ROCPRIM_400000_NS6detail17trampoline_kernelINS0_13kernel_configILj256ELj4ELj4294967295EEENS1_37radix_sort_block_sort_config_selectorItNS0_10empty_typeEEEZNS1_21radix_sort_block_sortIS4_Lb0EPKtPtPS6_SC_NS0_19identity_decomposerEEE10hipError_tT1_T2_T3_T4_jRjT5_jjP12ihipStream_tbEUlT_E_NS1_11comp_targetILNS1_3genE5ELNS1_11target_archE942ELNS1_3gpuE9ELNS1_3repE0EEENS1_44radix_sort_block_sort_config_static_selectorELNS0_4arch9wavefront6targetE0EEEvSF_.has_indirect_call, 0
	.section	.AMDGPU.csdata,"",@progbits
; Kernel info:
; codeLenInByte = 0
; TotalNumSgprs: 0
; NumVgprs: 0
; ScratchSize: 0
; MemoryBound: 0
; FloatMode: 240
; IeeeMode: 1
; LDSByteSize: 0 bytes/workgroup (compile time only)
; SGPRBlocks: 0
; VGPRBlocks: 0
; NumSGPRsForWavesPerEU: 1
; NumVGPRsForWavesPerEU: 1
; NamedBarCnt: 0
; Occupancy: 16
; WaveLimiterHint : 0
; COMPUTE_PGM_RSRC2:SCRATCH_EN: 0
; COMPUTE_PGM_RSRC2:USER_SGPR: 2
; COMPUTE_PGM_RSRC2:TRAP_HANDLER: 0
; COMPUTE_PGM_RSRC2:TGID_X_EN: 1
; COMPUTE_PGM_RSRC2:TGID_Y_EN: 0
; COMPUTE_PGM_RSRC2:TGID_Z_EN: 0
; COMPUTE_PGM_RSRC2:TIDIG_COMP_CNT: 0
	.section	.text._ZN7rocprim17ROCPRIM_400000_NS6detail17trampoline_kernelINS0_13kernel_configILj256ELj4ELj4294967295EEENS1_37radix_sort_block_sort_config_selectorItNS0_10empty_typeEEEZNS1_21radix_sort_block_sortIS4_Lb0EPKtPtPS6_SC_NS0_19identity_decomposerEEE10hipError_tT1_T2_T3_T4_jRjT5_jjP12ihipStream_tbEUlT_E_NS1_11comp_targetILNS1_3genE4ELNS1_11target_archE910ELNS1_3gpuE8ELNS1_3repE0EEENS1_44radix_sort_block_sort_config_static_selectorELNS0_4arch9wavefront6targetE0EEEvSF_,"axG",@progbits,_ZN7rocprim17ROCPRIM_400000_NS6detail17trampoline_kernelINS0_13kernel_configILj256ELj4ELj4294967295EEENS1_37radix_sort_block_sort_config_selectorItNS0_10empty_typeEEEZNS1_21radix_sort_block_sortIS4_Lb0EPKtPtPS6_SC_NS0_19identity_decomposerEEE10hipError_tT1_T2_T3_T4_jRjT5_jjP12ihipStream_tbEUlT_E_NS1_11comp_targetILNS1_3genE4ELNS1_11target_archE910ELNS1_3gpuE8ELNS1_3repE0EEENS1_44radix_sort_block_sort_config_static_selectorELNS0_4arch9wavefront6targetE0EEEvSF_,comdat
	.protected	_ZN7rocprim17ROCPRIM_400000_NS6detail17trampoline_kernelINS0_13kernel_configILj256ELj4ELj4294967295EEENS1_37radix_sort_block_sort_config_selectorItNS0_10empty_typeEEEZNS1_21radix_sort_block_sortIS4_Lb0EPKtPtPS6_SC_NS0_19identity_decomposerEEE10hipError_tT1_T2_T3_T4_jRjT5_jjP12ihipStream_tbEUlT_E_NS1_11comp_targetILNS1_3genE4ELNS1_11target_archE910ELNS1_3gpuE8ELNS1_3repE0EEENS1_44radix_sort_block_sort_config_static_selectorELNS0_4arch9wavefront6targetE0EEEvSF_ ; -- Begin function _ZN7rocprim17ROCPRIM_400000_NS6detail17trampoline_kernelINS0_13kernel_configILj256ELj4ELj4294967295EEENS1_37radix_sort_block_sort_config_selectorItNS0_10empty_typeEEEZNS1_21radix_sort_block_sortIS4_Lb0EPKtPtPS6_SC_NS0_19identity_decomposerEEE10hipError_tT1_T2_T3_T4_jRjT5_jjP12ihipStream_tbEUlT_E_NS1_11comp_targetILNS1_3genE4ELNS1_11target_archE910ELNS1_3gpuE8ELNS1_3repE0EEENS1_44radix_sort_block_sort_config_static_selectorELNS0_4arch9wavefront6targetE0EEEvSF_
	.globl	_ZN7rocprim17ROCPRIM_400000_NS6detail17trampoline_kernelINS0_13kernel_configILj256ELj4ELj4294967295EEENS1_37radix_sort_block_sort_config_selectorItNS0_10empty_typeEEEZNS1_21radix_sort_block_sortIS4_Lb0EPKtPtPS6_SC_NS0_19identity_decomposerEEE10hipError_tT1_T2_T3_T4_jRjT5_jjP12ihipStream_tbEUlT_E_NS1_11comp_targetILNS1_3genE4ELNS1_11target_archE910ELNS1_3gpuE8ELNS1_3repE0EEENS1_44radix_sort_block_sort_config_static_selectorELNS0_4arch9wavefront6targetE0EEEvSF_
	.p2align	8
	.type	_ZN7rocprim17ROCPRIM_400000_NS6detail17trampoline_kernelINS0_13kernel_configILj256ELj4ELj4294967295EEENS1_37radix_sort_block_sort_config_selectorItNS0_10empty_typeEEEZNS1_21radix_sort_block_sortIS4_Lb0EPKtPtPS6_SC_NS0_19identity_decomposerEEE10hipError_tT1_T2_T3_T4_jRjT5_jjP12ihipStream_tbEUlT_E_NS1_11comp_targetILNS1_3genE4ELNS1_11target_archE910ELNS1_3gpuE8ELNS1_3repE0EEENS1_44radix_sort_block_sort_config_static_selectorELNS0_4arch9wavefront6targetE0EEEvSF_,@function
_ZN7rocprim17ROCPRIM_400000_NS6detail17trampoline_kernelINS0_13kernel_configILj256ELj4ELj4294967295EEENS1_37radix_sort_block_sort_config_selectorItNS0_10empty_typeEEEZNS1_21radix_sort_block_sortIS4_Lb0EPKtPtPS6_SC_NS0_19identity_decomposerEEE10hipError_tT1_T2_T3_T4_jRjT5_jjP12ihipStream_tbEUlT_E_NS1_11comp_targetILNS1_3genE4ELNS1_11target_archE910ELNS1_3gpuE8ELNS1_3repE0EEENS1_44radix_sort_block_sort_config_static_selectorELNS0_4arch9wavefront6targetE0EEEvSF_: ; @_ZN7rocprim17ROCPRIM_400000_NS6detail17trampoline_kernelINS0_13kernel_configILj256ELj4ELj4294967295EEENS1_37radix_sort_block_sort_config_selectorItNS0_10empty_typeEEEZNS1_21radix_sort_block_sortIS4_Lb0EPKtPtPS6_SC_NS0_19identity_decomposerEEE10hipError_tT1_T2_T3_T4_jRjT5_jjP12ihipStream_tbEUlT_E_NS1_11comp_targetILNS1_3genE4ELNS1_11target_archE910ELNS1_3gpuE8ELNS1_3repE0EEENS1_44radix_sort_block_sort_config_static_selectorELNS0_4arch9wavefront6targetE0EEEvSF_
; %bb.0:
	.section	.rodata,"a",@progbits
	.p2align	6, 0x0
	.amdhsa_kernel _ZN7rocprim17ROCPRIM_400000_NS6detail17trampoline_kernelINS0_13kernel_configILj256ELj4ELj4294967295EEENS1_37radix_sort_block_sort_config_selectorItNS0_10empty_typeEEEZNS1_21radix_sort_block_sortIS4_Lb0EPKtPtPS6_SC_NS0_19identity_decomposerEEE10hipError_tT1_T2_T3_T4_jRjT5_jjP12ihipStream_tbEUlT_E_NS1_11comp_targetILNS1_3genE4ELNS1_11target_archE910ELNS1_3gpuE8ELNS1_3repE0EEENS1_44radix_sort_block_sort_config_static_selectorELNS0_4arch9wavefront6targetE0EEEvSF_
		.amdhsa_group_segment_fixed_size 0
		.amdhsa_private_segment_fixed_size 0
		.amdhsa_kernarg_size 48
		.amdhsa_user_sgpr_count 2
		.amdhsa_user_sgpr_dispatch_ptr 0
		.amdhsa_user_sgpr_queue_ptr 0
		.amdhsa_user_sgpr_kernarg_segment_ptr 1
		.amdhsa_user_sgpr_dispatch_id 0
		.amdhsa_user_sgpr_kernarg_preload_length 0
		.amdhsa_user_sgpr_kernarg_preload_offset 0
		.amdhsa_user_sgpr_private_segment_size 0
		.amdhsa_wavefront_size32 1
		.amdhsa_uses_dynamic_stack 0
		.amdhsa_enable_private_segment 0
		.amdhsa_system_sgpr_workgroup_id_x 1
		.amdhsa_system_sgpr_workgroup_id_y 0
		.amdhsa_system_sgpr_workgroup_id_z 0
		.amdhsa_system_sgpr_workgroup_info 0
		.amdhsa_system_vgpr_workitem_id 0
		.amdhsa_next_free_vgpr 1
		.amdhsa_next_free_sgpr 1
		.amdhsa_named_barrier_count 0
		.amdhsa_reserve_vcc 0
		.amdhsa_float_round_mode_32 0
		.amdhsa_float_round_mode_16_64 0
		.amdhsa_float_denorm_mode_32 3
		.amdhsa_float_denorm_mode_16_64 3
		.amdhsa_fp16_overflow 0
		.amdhsa_memory_ordered 1
		.amdhsa_forward_progress 1
		.amdhsa_inst_pref_size 0
		.amdhsa_round_robin_scheduling 0
		.amdhsa_exception_fp_ieee_invalid_op 0
		.amdhsa_exception_fp_denorm_src 0
		.amdhsa_exception_fp_ieee_div_zero 0
		.amdhsa_exception_fp_ieee_overflow 0
		.amdhsa_exception_fp_ieee_underflow 0
		.amdhsa_exception_fp_ieee_inexact 0
		.amdhsa_exception_int_div_zero 0
	.end_amdhsa_kernel
	.section	.text._ZN7rocprim17ROCPRIM_400000_NS6detail17trampoline_kernelINS0_13kernel_configILj256ELj4ELj4294967295EEENS1_37radix_sort_block_sort_config_selectorItNS0_10empty_typeEEEZNS1_21radix_sort_block_sortIS4_Lb0EPKtPtPS6_SC_NS0_19identity_decomposerEEE10hipError_tT1_T2_T3_T4_jRjT5_jjP12ihipStream_tbEUlT_E_NS1_11comp_targetILNS1_3genE4ELNS1_11target_archE910ELNS1_3gpuE8ELNS1_3repE0EEENS1_44radix_sort_block_sort_config_static_selectorELNS0_4arch9wavefront6targetE0EEEvSF_,"axG",@progbits,_ZN7rocprim17ROCPRIM_400000_NS6detail17trampoline_kernelINS0_13kernel_configILj256ELj4ELj4294967295EEENS1_37radix_sort_block_sort_config_selectorItNS0_10empty_typeEEEZNS1_21radix_sort_block_sortIS4_Lb0EPKtPtPS6_SC_NS0_19identity_decomposerEEE10hipError_tT1_T2_T3_T4_jRjT5_jjP12ihipStream_tbEUlT_E_NS1_11comp_targetILNS1_3genE4ELNS1_11target_archE910ELNS1_3gpuE8ELNS1_3repE0EEENS1_44radix_sort_block_sort_config_static_selectorELNS0_4arch9wavefront6targetE0EEEvSF_,comdat
.Lfunc_end2424:
	.size	_ZN7rocprim17ROCPRIM_400000_NS6detail17trampoline_kernelINS0_13kernel_configILj256ELj4ELj4294967295EEENS1_37radix_sort_block_sort_config_selectorItNS0_10empty_typeEEEZNS1_21radix_sort_block_sortIS4_Lb0EPKtPtPS6_SC_NS0_19identity_decomposerEEE10hipError_tT1_T2_T3_T4_jRjT5_jjP12ihipStream_tbEUlT_E_NS1_11comp_targetILNS1_3genE4ELNS1_11target_archE910ELNS1_3gpuE8ELNS1_3repE0EEENS1_44radix_sort_block_sort_config_static_selectorELNS0_4arch9wavefront6targetE0EEEvSF_, .Lfunc_end2424-_ZN7rocprim17ROCPRIM_400000_NS6detail17trampoline_kernelINS0_13kernel_configILj256ELj4ELj4294967295EEENS1_37radix_sort_block_sort_config_selectorItNS0_10empty_typeEEEZNS1_21radix_sort_block_sortIS4_Lb0EPKtPtPS6_SC_NS0_19identity_decomposerEEE10hipError_tT1_T2_T3_T4_jRjT5_jjP12ihipStream_tbEUlT_E_NS1_11comp_targetILNS1_3genE4ELNS1_11target_archE910ELNS1_3gpuE8ELNS1_3repE0EEENS1_44radix_sort_block_sort_config_static_selectorELNS0_4arch9wavefront6targetE0EEEvSF_
                                        ; -- End function
	.set _ZN7rocprim17ROCPRIM_400000_NS6detail17trampoline_kernelINS0_13kernel_configILj256ELj4ELj4294967295EEENS1_37radix_sort_block_sort_config_selectorItNS0_10empty_typeEEEZNS1_21radix_sort_block_sortIS4_Lb0EPKtPtPS6_SC_NS0_19identity_decomposerEEE10hipError_tT1_T2_T3_T4_jRjT5_jjP12ihipStream_tbEUlT_E_NS1_11comp_targetILNS1_3genE4ELNS1_11target_archE910ELNS1_3gpuE8ELNS1_3repE0EEENS1_44radix_sort_block_sort_config_static_selectorELNS0_4arch9wavefront6targetE0EEEvSF_.num_vgpr, 0
	.set _ZN7rocprim17ROCPRIM_400000_NS6detail17trampoline_kernelINS0_13kernel_configILj256ELj4ELj4294967295EEENS1_37radix_sort_block_sort_config_selectorItNS0_10empty_typeEEEZNS1_21radix_sort_block_sortIS4_Lb0EPKtPtPS6_SC_NS0_19identity_decomposerEEE10hipError_tT1_T2_T3_T4_jRjT5_jjP12ihipStream_tbEUlT_E_NS1_11comp_targetILNS1_3genE4ELNS1_11target_archE910ELNS1_3gpuE8ELNS1_3repE0EEENS1_44radix_sort_block_sort_config_static_selectorELNS0_4arch9wavefront6targetE0EEEvSF_.num_agpr, 0
	.set _ZN7rocprim17ROCPRIM_400000_NS6detail17trampoline_kernelINS0_13kernel_configILj256ELj4ELj4294967295EEENS1_37radix_sort_block_sort_config_selectorItNS0_10empty_typeEEEZNS1_21radix_sort_block_sortIS4_Lb0EPKtPtPS6_SC_NS0_19identity_decomposerEEE10hipError_tT1_T2_T3_T4_jRjT5_jjP12ihipStream_tbEUlT_E_NS1_11comp_targetILNS1_3genE4ELNS1_11target_archE910ELNS1_3gpuE8ELNS1_3repE0EEENS1_44radix_sort_block_sort_config_static_selectorELNS0_4arch9wavefront6targetE0EEEvSF_.numbered_sgpr, 0
	.set _ZN7rocprim17ROCPRIM_400000_NS6detail17trampoline_kernelINS0_13kernel_configILj256ELj4ELj4294967295EEENS1_37radix_sort_block_sort_config_selectorItNS0_10empty_typeEEEZNS1_21radix_sort_block_sortIS4_Lb0EPKtPtPS6_SC_NS0_19identity_decomposerEEE10hipError_tT1_T2_T3_T4_jRjT5_jjP12ihipStream_tbEUlT_E_NS1_11comp_targetILNS1_3genE4ELNS1_11target_archE910ELNS1_3gpuE8ELNS1_3repE0EEENS1_44radix_sort_block_sort_config_static_selectorELNS0_4arch9wavefront6targetE0EEEvSF_.num_named_barrier, 0
	.set _ZN7rocprim17ROCPRIM_400000_NS6detail17trampoline_kernelINS0_13kernel_configILj256ELj4ELj4294967295EEENS1_37radix_sort_block_sort_config_selectorItNS0_10empty_typeEEEZNS1_21radix_sort_block_sortIS4_Lb0EPKtPtPS6_SC_NS0_19identity_decomposerEEE10hipError_tT1_T2_T3_T4_jRjT5_jjP12ihipStream_tbEUlT_E_NS1_11comp_targetILNS1_3genE4ELNS1_11target_archE910ELNS1_3gpuE8ELNS1_3repE0EEENS1_44radix_sort_block_sort_config_static_selectorELNS0_4arch9wavefront6targetE0EEEvSF_.private_seg_size, 0
	.set _ZN7rocprim17ROCPRIM_400000_NS6detail17trampoline_kernelINS0_13kernel_configILj256ELj4ELj4294967295EEENS1_37radix_sort_block_sort_config_selectorItNS0_10empty_typeEEEZNS1_21radix_sort_block_sortIS4_Lb0EPKtPtPS6_SC_NS0_19identity_decomposerEEE10hipError_tT1_T2_T3_T4_jRjT5_jjP12ihipStream_tbEUlT_E_NS1_11comp_targetILNS1_3genE4ELNS1_11target_archE910ELNS1_3gpuE8ELNS1_3repE0EEENS1_44radix_sort_block_sort_config_static_selectorELNS0_4arch9wavefront6targetE0EEEvSF_.uses_vcc, 0
	.set _ZN7rocprim17ROCPRIM_400000_NS6detail17trampoline_kernelINS0_13kernel_configILj256ELj4ELj4294967295EEENS1_37radix_sort_block_sort_config_selectorItNS0_10empty_typeEEEZNS1_21radix_sort_block_sortIS4_Lb0EPKtPtPS6_SC_NS0_19identity_decomposerEEE10hipError_tT1_T2_T3_T4_jRjT5_jjP12ihipStream_tbEUlT_E_NS1_11comp_targetILNS1_3genE4ELNS1_11target_archE910ELNS1_3gpuE8ELNS1_3repE0EEENS1_44radix_sort_block_sort_config_static_selectorELNS0_4arch9wavefront6targetE0EEEvSF_.uses_flat_scratch, 0
	.set _ZN7rocprim17ROCPRIM_400000_NS6detail17trampoline_kernelINS0_13kernel_configILj256ELj4ELj4294967295EEENS1_37radix_sort_block_sort_config_selectorItNS0_10empty_typeEEEZNS1_21radix_sort_block_sortIS4_Lb0EPKtPtPS6_SC_NS0_19identity_decomposerEEE10hipError_tT1_T2_T3_T4_jRjT5_jjP12ihipStream_tbEUlT_E_NS1_11comp_targetILNS1_3genE4ELNS1_11target_archE910ELNS1_3gpuE8ELNS1_3repE0EEENS1_44radix_sort_block_sort_config_static_selectorELNS0_4arch9wavefront6targetE0EEEvSF_.has_dyn_sized_stack, 0
	.set _ZN7rocprim17ROCPRIM_400000_NS6detail17trampoline_kernelINS0_13kernel_configILj256ELj4ELj4294967295EEENS1_37radix_sort_block_sort_config_selectorItNS0_10empty_typeEEEZNS1_21radix_sort_block_sortIS4_Lb0EPKtPtPS6_SC_NS0_19identity_decomposerEEE10hipError_tT1_T2_T3_T4_jRjT5_jjP12ihipStream_tbEUlT_E_NS1_11comp_targetILNS1_3genE4ELNS1_11target_archE910ELNS1_3gpuE8ELNS1_3repE0EEENS1_44radix_sort_block_sort_config_static_selectorELNS0_4arch9wavefront6targetE0EEEvSF_.has_recursion, 0
	.set _ZN7rocprim17ROCPRIM_400000_NS6detail17trampoline_kernelINS0_13kernel_configILj256ELj4ELj4294967295EEENS1_37radix_sort_block_sort_config_selectorItNS0_10empty_typeEEEZNS1_21radix_sort_block_sortIS4_Lb0EPKtPtPS6_SC_NS0_19identity_decomposerEEE10hipError_tT1_T2_T3_T4_jRjT5_jjP12ihipStream_tbEUlT_E_NS1_11comp_targetILNS1_3genE4ELNS1_11target_archE910ELNS1_3gpuE8ELNS1_3repE0EEENS1_44radix_sort_block_sort_config_static_selectorELNS0_4arch9wavefront6targetE0EEEvSF_.has_indirect_call, 0
	.section	.AMDGPU.csdata,"",@progbits
; Kernel info:
; codeLenInByte = 0
; TotalNumSgprs: 0
; NumVgprs: 0
; ScratchSize: 0
; MemoryBound: 0
; FloatMode: 240
; IeeeMode: 1
; LDSByteSize: 0 bytes/workgroup (compile time only)
; SGPRBlocks: 0
; VGPRBlocks: 0
; NumSGPRsForWavesPerEU: 1
; NumVGPRsForWavesPerEU: 1
; NamedBarCnt: 0
; Occupancy: 16
; WaveLimiterHint : 0
; COMPUTE_PGM_RSRC2:SCRATCH_EN: 0
; COMPUTE_PGM_RSRC2:USER_SGPR: 2
; COMPUTE_PGM_RSRC2:TRAP_HANDLER: 0
; COMPUTE_PGM_RSRC2:TGID_X_EN: 1
; COMPUTE_PGM_RSRC2:TGID_Y_EN: 0
; COMPUTE_PGM_RSRC2:TGID_Z_EN: 0
; COMPUTE_PGM_RSRC2:TIDIG_COMP_CNT: 0
	.section	.text._ZN7rocprim17ROCPRIM_400000_NS6detail17trampoline_kernelINS0_13kernel_configILj256ELj4ELj4294967295EEENS1_37radix_sort_block_sort_config_selectorItNS0_10empty_typeEEEZNS1_21radix_sort_block_sortIS4_Lb0EPKtPtPS6_SC_NS0_19identity_decomposerEEE10hipError_tT1_T2_T3_T4_jRjT5_jjP12ihipStream_tbEUlT_E_NS1_11comp_targetILNS1_3genE3ELNS1_11target_archE908ELNS1_3gpuE7ELNS1_3repE0EEENS1_44radix_sort_block_sort_config_static_selectorELNS0_4arch9wavefront6targetE0EEEvSF_,"axG",@progbits,_ZN7rocprim17ROCPRIM_400000_NS6detail17trampoline_kernelINS0_13kernel_configILj256ELj4ELj4294967295EEENS1_37radix_sort_block_sort_config_selectorItNS0_10empty_typeEEEZNS1_21radix_sort_block_sortIS4_Lb0EPKtPtPS6_SC_NS0_19identity_decomposerEEE10hipError_tT1_T2_T3_T4_jRjT5_jjP12ihipStream_tbEUlT_E_NS1_11comp_targetILNS1_3genE3ELNS1_11target_archE908ELNS1_3gpuE7ELNS1_3repE0EEENS1_44radix_sort_block_sort_config_static_selectorELNS0_4arch9wavefront6targetE0EEEvSF_,comdat
	.protected	_ZN7rocprim17ROCPRIM_400000_NS6detail17trampoline_kernelINS0_13kernel_configILj256ELj4ELj4294967295EEENS1_37radix_sort_block_sort_config_selectorItNS0_10empty_typeEEEZNS1_21radix_sort_block_sortIS4_Lb0EPKtPtPS6_SC_NS0_19identity_decomposerEEE10hipError_tT1_T2_T3_T4_jRjT5_jjP12ihipStream_tbEUlT_E_NS1_11comp_targetILNS1_3genE3ELNS1_11target_archE908ELNS1_3gpuE7ELNS1_3repE0EEENS1_44radix_sort_block_sort_config_static_selectorELNS0_4arch9wavefront6targetE0EEEvSF_ ; -- Begin function _ZN7rocprim17ROCPRIM_400000_NS6detail17trampoline_kernelINS0_13kernel_configILj256ELj4ELj4294967295EEENS1_37radix_sort_block_sort_config_selectorItNS0_10empty_typeEEEZNS1_21radix_sort_block_sortIS4_Lb0EPKtPtPS6_SC_NS0_19identity_decomposerEEE10hipError_tT1_T2_T3_T4_jRjT5_jjP12ihipStream_tbEUlT_E_NS1_11comp_targetILNS1_3genE3ELNS1_11target_archE908ELNS1_3gpuE7ELNS1_3repE0EEENS1_44radix_sort_block_sort_config_static_selectorELNS0_4arch9wavefront6targetE0EEEvSF_
	.globl	_ZN7rocprim17ROCPRIM_400000_NS6detail17trampoline_kernelINS0_13kernel_configILj256ELj4ELj4294967295EEENS1_37radix_sort_block_sort_config_selectorItNS0_10empty_typeEEEZNS1_21radix_sort_block_sortIS4_Lb0EPKtPtPS6_SC_NS0_19identity_decomposerEEE10hipError_tT1_T2_T3_T4_jRjT5_jjP12ihipStream_tbEUlT_E_NS1_11comp_targetILNS1_3genE3ELNS1_11target_archE908ELNS1_3gpuE7ELNS1_3repE0EEENS1_44radix_sort_block_sort_config_static_selectorELNS0_4arch9wavefront6targetE0EEEvSF_
	.p2align	8
	.type	_ZN7rocprim17ROCPRIM_400000_NS6detail17trampoline_kernelINS0_13kernel_configILj256ELj4ELj4294967295EEENS1_37radix_sort_block_sort_config_selectorItNS0_10empty_typeEEEZNS1_21radix_sort_block_sortIS4_Lb0EPKtPtPS6_SC_NS0_19identity_decomposerEEE10hipError_tT1_T2_T3_T4_jRjT5_jjP12ihipStream_tbEUlT_E_NS1_11comp_targetILNS1_3genE3ELNS1_11target_archE908ELNS1_3gpuE7ELNS1_3repE0EEENS1_44radix_sort_block_sort_config_static_selectorELNS0_4arch9wavefront6targetE0EEEvSF_,@function
_ZN7rocprim17ROCPRIM_400000_NS6detail17trampoline_kernelINS0_13kernel_configILj256ELj4ELj4294967295EEENS1_37radix_sort_block_sort_config_selectorItNS0_10empty_typeEEEZNS1_21radix_sort_block_sortIS4_Lb0EPKtPtPS6_SC_NS0_19identity_decomposerEEE10hipError_tT1_T2_T3_T4_jRjT5_jjP12ihipStream_tbEUlT_E_NS1_11comp_targetILNS1_3genE3ELNS1_11target_archE908ELNS1_3gpuE7ELNS1_3repE0EEENS1_44radix_sort_block_sort_config_static_selectorELNS0_4arch9wavefront6targetE0EEEvSF_: ; @_ZN7rocprim17ROCPRIM_400000_NS6detail17trampoline_kernelINS0_13kernel_configILj256ELj4ELj4294967295EEENS1_37radix_sort_block_sort_config_selectorItNS0_10empty_typeEEEZNS1_21radix_sort_block_sortIS4_Lb0EPKtPtPS6_SC_NS0_19identity_decomposerEEE10hipError_tT1_T2_T3_T4_jRjT5_jjP12ihipStream_tbEUlT_E_NS1_11comp_targetILNS1_3genE3ELNS1_11target_archE908ELNS1_3gpuE7ELNS1_3repE0EEENS1_44radix_sort_block_sort_config_static_selectorELNS0_4arch9wavefront6targetE0EEEvSF_
; %bb.0:
	.section	.rodata,"a",@progbits
	.p2align	6, 0x0
	.amdhsa_kernel _ZN7rocprim17ROCPRIM_400000_NS6detail17trampoline_kernelINS0_13kernel_configILj256ELj4ELj4294967295EEENS1_37radix_sort_block_sort_config_selectorItNS0_10empty_typeEEEZNS1_21radix_sort_block_sortIS4_Lb0EPKtPtPS6_SC_NS0_19identity_decomposerEEE10hipError_tT1_T2_T3_T4_jRjT5_jjP12ihipStream_tbEUlT_E_NS1_11comp_targetILNS1_3genE3ELNS1_11target_archE908ELNS1_3gpuE7ELNS1_3repE0EEENS1_44radix_sort_block_sort_config_static_selectorELNS0_4arch9wavefront6targetE0EEEvSF_
		.amdhsa_group_segment_fixed_size 0
		.amdhsa_private_segment_fixed_size 0
		.amdhsa_kernarg_size 48
		.amdhsa_user_sgpr_count 2
		.amdhsa_user_sgpr_dispatch_ptr 0
		.amdhsa_user_sgpr_queue_ptr 0
		.amdhsa_user_sgpr_kernarg_segment_ptr 1
		.amdhsa_user_sgpr_dispatch_id 0
		.amdhsa_user_sgpr_kernarg_preload_length 0
		.amdhsa_user_sgpr_kernarg_preload_offset 0
		.amdhsa_user_sgpr_private_segment_size 0
		.amdhsa_wavefront_size32 1
		.amdhsa_uses_dynamic_stack 0
		.amdhsa_enable_private_segment 0
		.amdhsa_system_sgpr_workgroup_id_x 1
		.amdhsa_system_sgpr_workgroup_id_y 0
		.amdhsa_system_sgpr_workgroup_id_z 0
		.amdhsa_system_sgpr_workgroup_info 0
		.amdhsa_system_vgpr_workitem_id 0
		.amdhsa_next_free_vgpr 1
		.amdhsa_next_free_sgpr 1
		.amdhsa_named_barrier_count 0
		.amdhsa_reserve_vcc 0
		.amdhsa_float_round_mode_32 0
		.amdhsa_float_round_mode_16_64 0
		.amdhsa_float_denorm_mode_32 3
		.amdhsa_float_denorm_mode_16_64 3
		.amdhsa_fp16_overflow 0
		.amdhsa_memory_ordered 1
		.amdhsa_forward_progress 1
		.amdhsa_inst_pref_size 0
		.amdhsa_round_robin_scheduling 0
		.amdhsa_exception_fp_ieee_invalid_op 0
		.amdhsa_exception_fp_denorm_src 0
		.amdhsa_exception_fp_ieee_div_zero 0
		.amdhsa_exception_fp_ieee_overflow 0
		.amdhsa_exception_fp_ieee_underflow 0
		.amdhsa_exception_fp_ieee_inexact 0
		.amdhsa_exception_int_div_zero 0
	.end_amdhsa_kernel
	.section	.text._ZN7rocprim17ROCPRIM_400000_NS6detail17trampoline_kernelINS0_13kernel_configILj256ELj4ELj4294967295EEENS1_37radix_sort_block_sort_config_selectorItNS0_10empty_typeEEEZNS1_21radix_sort_block_sortIS4_Lb0EPKtPtPS6_SC_NS0_19identity_decomposerEEE10hipError_tT1_T2_T3_T4_jRjT5_jjP12ihipStream_tbEUlT_E_NS1_11comp_targetILNS1_3genE3ELNS1_11target_archE908ELNS1_3gpuE7ELNS1_3repE0EEENS1_44radix_sort_block_sort_config_static_selectorELNS0_4arch9wavefront6targetE0EEEvSF_,"axG",@progbits,_ZN7rocprim17ROCPRIM_400000_NS6detail17trampoline_kernelINS0_13kernel_configILj256ELj4ELj4294967295EEENS1_37radix_sort_block_sort_config_selectorItNS0_10empty_typeEEEZNS1_21radix_sort_block_sortIS4_Lb0EPKtPtPS6_SC_NS0_19identity_decomposerEEE10hipError_tT1_T2_T3_T4_jRjT5_jjP12ihipStream_tbEUlT_E_NS1_11comp_targetILNS1_3genE3ELNS1_11target_archE908ELNS1_3gpuE7ELNS1_3repE0EEENS1_44radix_sort_block_sort_config_static_selectorELNS0_4arch9wavefront6targetE0EEEvSF_,comdat
.Lfunc_end2425:
	.size	_ZN7rocprim17ROCPRIM_400000_NS6detail17trampoline_kernelINS0_13kernel_configILj256ELj4ELj4294967295EEENS1_37radix_sort_block_sort_config_selectorItNS0_10empty_typeEEEZNS1_21radix_sort_block_sortIS4_Lb0EPKtPtPS6_SC_NS0_19identity_decomposerEEE10hipError_tT1_T2_T3_T4_jRjT5_jjP12ihipStream_tbEUlT_E_NS1_11comp_targetILNS1_3genE3ELNS1_11target_archE908ELNS1_3gpuE7ELNS1_3repE0EEENS1_44radix_sort_block_sort_config_static_selectorELNS0_4arch9wavefront6targetE0EEEvSF_, .Lfunc_end2425-_ZN7rocprim17ROCPRIM_400000_NS6detail17trampoline_kernelINS0_13kernel_configILj256ELj4ELj4294967295EEENS1_37radix_sort_block_sort_config_selectorItNS0_10empty_typeEEEZNS1_21radix_sort_block_sortIS4_Lb0EPKtPtPS6_SC_NS0_19identity_decomposerEEE10hipError_tT1_T2_T3_T4_jRjT5_jjP12ihipStream_tbEUlT_E_NS1_11comp_targetILNS1_3genE3ELNS1_11target_archE908ELNS1_3gpuE7ELNS1_3repE0EEENS1_44radix_sort_block_sort_config_static_selectorELNS0_4arch9wavefront6targetE0EEEvSF_
                                        ; -- End function
	.set _ZN7rocprim17ROCPRIM_400000_NS6detail17trampoline_kernelINS0_13kernel_configILj256ELj4ELj4294967295EEENS1_37radix_sort_block_sort_config_selectorItNS0_10empty_typeEEEZNS1_21radix_sort_block_sortIS4_Lb0EPKtPtPS6_SC_NS0_19identity_decomposerEEE10hipError_tT1_T2_T3_T4_jRjT5_jjP12ihipStream_tbEUlT_E_NS1_11comp_targetILNS1_3genE3ELNS1_11target_archE908ELNS1_3gpuE7ELNS1_3repE0EEENS1_44radix_sort_block_sort_config_static_selectorELNS0_4arch9wavefront6targetE0EEEvSF_.num_vgpr, 0
	.set _ZN7rocprim17ROCPRIM_400000_NS6detail17trampoline_kernelINS0_13kernel_configILj256ELj4ELj4294967295EEENS1_37radix_sort_block_sort_config_selectorItNS0_10empty_typeEEEZNS1_21radix_sort_block_sortIS4_Lb0EPKtPtPS6_SC_NS0_19identity_decomposerEEE10hipError_tT1_T2_T3_T4_jRjT5_jjP12ihipStream_tbEUlT_E_NS1_11comp_targetILNS1_3genE3ELNS1_11target_archE908ELNS1_3gpuE7ELNS1_3repE0EEENS1_44radix_sort_block_sort_config_static_selectorELNS0_4arch9wavefront6targetE0EEEvSF_.num_agpr, 0
	.set _ZN7rocprim17ROCPRIM_400000_NS6detail17trampoline_kernelINS0_13kernel_configILj256ELj4ELj4294967295EEENS1_37radix_sort_block_sort_config_selectorItNS0_10empty_typeEEEZNS1_21radix_sort_block_sortIS4_Lb0EPKtPtPS6_SC_NS0_19identity_decomposerEEE10hipError_tT1_T2_T3_T4_jRjT5_jjP12ihipStream_tbEUlT_E_NS1_11comp_targetILNS1_3genE3ELNS1_11target_archE908ELNS1_3gpuE7ELNS1_3repE0EEENS1_44radix_sort_block_sort_config_static_selectorELNS0_4arch9wavefront6targetE0EEEvSF_.numbered_sgpr, 0
	.set _ZN7rocprim17ROCPRIM_400000_NS6detail17trampoline_kernelINS0_13kernel_configILj256ELj4ELj4294967295EEENS1_37radix_sort_block_sort_config_selectorItNS0_10empty_typeEEEZNS1_21radix_sort_block_sortIS4_Lb0EPKtPtPS6_SC_NS0_19identity_decomposerEEE10hipError_tT1_T2_T3_T4_jRjT5_jjP12ihipStream_tbEUlT_E_NS1_11comp_targetILNS1_3genE3ELNS1_11target_archE908ELNS1_3gpuE7ELNS1_3repE0EEENS1_44radix_sort_block_sort_config_static_selectorELNS0_4arch9wavefront6targetE0EEEvSF_.num_named_barrier, 0
	.set _ZN7rocprim17ROCPRIM_400000_NS6detail17trampoline_kernelINS0_13kernel_configILj256ELj4ELj4294967295EEENS1_37radix_sort_block_sort_config_selectorItNS0_10empty_typeEEEZNS1_21radix_sort_block_sortIS4_Lb0EPKtPtPS6_SC_NS0_19identity_decomposerEEE10hipError_tT1_T2_T3_T4_jRjT5_jjP12ihipStream_tbEUlT_E_NS1_11comp_targetILNS1_3genE3ELNS1_11target_archE908ELNS1_3gpuE7ELNS1_3repE0EEENS1_44radix_sort_block_sort_config_static_selectorELNS0_4arch9wavefront6targetE0EEEvSF_.private_seg_size, 0
	.set _ZN7rocprim17ROCPRIM_400000_NS6detail17trampoline_kernelINS0_13kernel_configILj256ELj4ELj4294967295EEENS1_37radix_sort_block_sort_config_selectorItNS0_10empty_typeEEEZNS1_21radix_sort_block_sortIS4_Lb0EPKtPtPS6_SC_NS0_19identity_decomposerEEE10hipError_tT1_T2_T3_T4_jRjT5_jjP12ihipStream_tbEUlT_E_NS1_11comp_targetILNS1_3genE3ELNS1_11target_archE908ELNS1_3gpuE7ELNS1_3repE0EEENS1_44radix_sort_block_sort_config_static_selectorELNS0_4arch9wavefront6targetE0EEEvSF_.uses_vcc, 0
	.set _ZN7rocprim17ROCPRIM_400000_NS6detail17trampoline_kernelINS0_13kernel_configILj256ELj4ELj4294967295EEENS1_37radix_sort_block_sort_config_selectorItNS0_10empty_typeEEEZNS1_21radix_sort_block_sortIS4_Lb0EPKtPtPS6_SC_NS0_19identity_decomposerEEE10hipError_tT1_T2_T3_T4_jRjT5_jjP12ihipStream_tbEUlT_E_NS1_11comp_targetILNS1_3genE3ELNS1_11target_archE908ELNS1_3gpuE7ELNS1_3repE0EEENS1_44radix_sort_block_sort_config_static_selectorELNS0_4arch9wavefront6targetE0EEEvSF_.uses_flat_scratch, 0
	.set _ZN7rocprim17ROCPRIM_400000_NS6detail17trampoline_kernelINS0_13kernel_configILj256ELj4ELj4294967295EEENS1_37radix_sort_block_sort_config_selectorItNS0_10empty_typeEEEZNS1_21radix_sort_block_sortIS4_Lb0EPKtPtPS6_SC_NS0_19identity_decomposerEEE10hipError_tT1_T2_T3_T4_jRjT5_jjP12ihipStream_tbEUlT_E_NS1_11comp_targetILNS1_3genE3ELNS1_11target_archE908ELNS1_3gpuE7ELNS1_3repE0EEENS1_44radix_sort_block_sort_config_static_selectorELNS0_4arch9wavefront6targetE0EEEvSF_.has_dyn_sized_stack, 0
	.set _ZN7rocprim17ROCPRIM_400000_NS6detail17trampoline_kernelINS0_13kernel_configILj256ELj4ELj4294967295EEENS1_37radix_sort_block_sort_config_selectorItNS0_10empty_typeEEEZNS1_21radix_sort_block_sortIS4_Lb0EPKtPtPS6_SC_NS0_19identity_decomposerEEE10hipError_tT1_T2_T3_T4_jRjT5_jjP12ihipStream_tbEUlT_E_NS1_11comp_targetILNS1_3genE3ELNS1_11target_archE908ELNS1_3gpuE7ELNS1_3repE0EEENS1_44radix_sort_block_sort_config_static_selectorELNS0_4arch9wavefront6targetE0EEEvSF_.has_recursion, 0
	.set _ZN7rocprim17ROCPRIM_400000_NS6detail17trampoline_kernelINS0_13kernel_configILj256ELj4ELj4294967295EEENS1_37radix_sort_block_sort_config_selectorItNS0_10empty_typeEEEZNS1_21radix_sort_block_sortIS4_Lb0EPKtPtPS6_SC_NS0_19identity_decomposerEEE10hipError_tT1_T2_T3_T4_jRjT5_jjP12ihipStream_tbEUlT_E_NS1_11comp_targetILNS1_3genE3ELNS1_11target_archE908ELNS1_3gpuE7ELNS1_3repE0EEENS1_44radix_sort_block_sort_config_static_selectorELNS0_4arch9wavefront6targetE0EEEvSF_.has_indirect_call, 0
	.section	.AMDGPU.csdata,"",@progbits
; Kernel info:
; codeLenInByte = 0
; TotalNumSgprs: 0
; NumVgprs: 0
; ScratchSize: 0
; MemoryBound: 0
; FloatMode: 240
; IeeeMode: 1
; LDSByteSize: 0 bytes/workgroup (compile time only)
; SGPRBlocks: 0
; VGPRBlocks: 0
; NumSGPRsForWavesPerEU: 1
; NumVGPRsForWavesPerEU: 1
; NamedBarCnt: 0
; Occupancy: 16
; WaveLimiterHint : 0
; COMPUTE_PGM_RSRC2:SCRATCH_EN: 0
; COMPUTE_PGM_RSRC2:USER_SGPR: 2
; COMPUTE_PGM_RSRC2:TRAP_HANDLER: 0
; COMPUTE_PGM_RSRC2:TGID_X_EN: 1
; COMPUTE_PGM_RSRC2:TGID_Y_EN: 0
; COMPUTE_PGM_RSRC2:TGID_Z_EN: 0
; COMPUTE_PGM_RSRC2:TIDIG_COMP_CNT: 0
	.section	.text._ZN7rocprim17ROCPRIM_400000_NS6detail17trampoline_kernelINS0_13kernel_configILj256ELj4ELj4294967295EEENS1_37radix_sort_block_sort_config_selectorItNS0_10empty_typeEEEZNS1_21radix_sort_block_sortIS4_Lb0EPKtPtPS6_SC_NS0_19identity_decomposerEEE10hipError_tT1_T2_T3_T4_jRjT5_jjP12ihipStream_tbEUlT_E_NS1_11comp_targetILNS1_3genE2ELNS1_11target_archE906ELNS1_3gpuE6ELNS1_3repE0EEENS1_44radix_sort_block_sort_config_static_selectorELNS0_4arch9wavefront6targetE0EEEvSF_,"axG",@progbits,_ZN7rocprim17ROCPRIM_400000_NS6detail17trampoline_kernelINS0_13kernel_configILj256ELj4ELj4294967295EEENS1_37radix_sort_block_sort_config_selectorItNS0_10empty_typeEEEZNS1_21radix_sort_block_sortIS4_Lb0EPKtPtPS6_SC_NS0_19identity_decomposerEEE10hipError_tT1_T2_T3_T4_jRjT5_jjP12ihipStream_tbEUlT_E_NS1_11comp_targetILNS1_3genE2ELNS1_11target_archE906ELNS1_3gpuE6ELNS1_3repE0EEENS1_44radix_sort_block_sort_config_static_selectorELNS0_4arch9wavefront6targetE0EEEvSF_,comdat
	.protected	_ZN7rocprim17ROCPRIM_400000_NS6detail17trampoline_kernelINS0_13kernel_configILj256ELj4ELj4294967295EEENS1_37radix_sort_block_sort_config_selectorItNS0_10empty_typeEEEZNS1_21radix_sort_block_sortIS4_Lb0EPKtPtPS6_SC_NS0_19identity_decomposerEEE10hipError_tT1_T2_T3_T4_jRjT5_jjP12ihipStream_tbEUlT_E_NS1_11comp_targetILNS1_3genE2ELNS1_11target_archE906ELNS1_3gpuE6ELNS1_3repE0EEENS1_44radix_sort_block_sort_config_static_selectorELNS0_4arch9wavefront6targetE0EEEvSF_ ; -- Begin function _ZN7rocprim17ROCPRIM_400000_NS6detail17trampoline_kernelINS0_13kernel_configILj256ELj4ELj4294967295EEENS1_37radix_sort_block_sort_config_selectorItNS0_10empty_typeEEEZNS1_21radix_sort_block_sortIS4_Lb0EPKtPtPS6_SC_NS0_19identity_decomposerEEE10hipError_tT1_T2_T3_T4_jRjT5_jjP12ihipStream_tbEUlT_E_NS1_11comp_targetILNS1_3genE2ELNS1_11target_archE906ELNS1_3gpuE6ELNS1_3repE0EEENS1_44radix_sort_block_sort_config_static_selectorELNS0_4arch9wavefront6targetE0EEEvSF_
	.globl	_ZN7rocprim17ROCPRIM_400000_NS6detail17trampoline_kernelINS0_13kernel_configILj256ELj4ELj4294967295EEENS1_37radix_sort_block_sort_config_selectorItNS0_10empty_typeEEEZNS1_21radix_sort_block_sortIS4_Lb0EPKtPtPS6_SC_NS0_19identity_decomposerEEE10hipError_tT1_T2_T3_T4_jRjT5_jjP12ihipStream_tbEUlT_E_NS1_11comp_targetILNS1_3genE2ELNS1_11target_archE906ELNS1_3gpuE6ELNS1_3repE0EEENS1_44radix_sort_block_sort_config_static_selectorELNS0_4arch9wavefront6targetE0EEEvSF_
	.p2align	8
	.type	_ZN7rocprim17ROCPRIM_400000_NS6detail17trampoline_kernelINS0_13kernel_configILj256ELj4ELj4294967295EEENS1_37radix_sort_block_sort_config_selectorItNS0_10empty_typeEEEZNS1_21radix_sort_block_sortIS4_Lb0EPKtPtPS6_SC_NS0_19identity_decomposerEEE10hipError_tT1_T2_T3_T4_jRjT5_jjP12ihipStream_tbEUlT_E_NS1_11comp_targetILNS1_3genE2ELNS1_11target_archE906ELNS1_3gpuE6ELNS1_3repE0EEENS1_44radix_sort_block_sort_config_static_selectorELNS0_4arch9wavefront6targetE0EEEvSF_,@function
_ZN7rocprim17ROCPRIM_400000_NS6detail17trampoline_kernelINS0_13kernel_configILj256ELj4ELj4294967295EEENS1_37radix_sort_block_sort_config_selectorItNS0_10empty_typeEEEZNS1_21radix_sort_block_sortIS4_Lb0EPKtPtPS6_SC_NS0_19identity_decomposerEEE10hipError_tT1_T2_T3_T4_jRjT5_jjP12ihipStream_tbEUlT_E_NS1_11comp_targetILNS1_3genE2ELNS1_11target_archE906ELNS1_3gpuE6ELNS1_3repE0EEENS1_44radix_sort_block_sort_config_static_selectorELNS0_4arch9wavefront6targetE0EEEvSF_: ; @_ZN7rocprim17ROCPRIM_400000_NS6detail17trampoline_kernelINS0_13kernel_configILj256ELj4ELj4294967295EEENS1_37radix_sort_block_sort_config_selectorItNS0_10empty_typeEEEZNS1_21radix_sort_block_sortIS4_Lb0EPKtPtPS6_SC_NS0_19identity_decomposerEEE10hipError_tT1_T2_T3_T4_jRjT5_jjP12ihipStream_tbEUlT_E_NS1_11comp_targetILNS1_3genE2ELNS1_11target_archE906ELNS1_3gpuE6ELNS1_3repE0EEENS1_44radix_sort_block_sort_config_static_selectorELNS0_4arch9wavefront6targetE0EEEvSF_
; %bb.0:
	.section	.rodata,"a",@progbits
	.p2align	6, 0x0
	.amdhsa_kernel _ZN7rocprim17ROCPRIM_400000_NS6detail17trampoline_kernelINS0_13kernel_configILj256ELj4ELj4294967295EEENS1_37radix_sort_block_sort_config_selectorItNS0_10empty_typeEEEZNS1_21radix_sort_block_sortIS4_Lb0EPKtPtPS6_SC_NS0_19identity_decomposerEEE10hipError_tT1_T2_T3_T4_jRjT5_jjP12ihipStream_tbEUlT_E_NS1_11comp_targetILNS1_3genE2ELNS1_11target_archE906ELNS1_3gpuE6ELNS1_3repE0EEENS1_44radix_sort_block_sort_config_static_selectorELNS0_4arch9wavefront6targetE0EEEvSF_
		.amdhsa_group_segment_fixed_size 0
		.amdhsa_private_segment_fixed_size 0
		.amdhsa_kernarg_size 48
		.amdhsa_user_sgpr_count 2
		.amdhsa_user_sgpr_dispatch_ptr 0
		.amdhsa_user_sgpr_queue_ptr 0
		.amdhsa_user_sgpr_kernarg_segment_ptr 1
		.amdhsa_user_sgpr_dispatch_id 0
		.amdhsa_user_sgpr_kernarg_preload_length 0
		.amdhsa_user_sgpr_kernarg_preload_offset 0
		.amdhsa_user_sgpr_private_segment_size 0
		.amdhsa_wavefront_size32 1
		.amdhsa_uses_dynamic_stack 0
		.amdhsa_enable_private_segment 0
		.amdhsa_system_sgpr_workgroup_id_x 1
		.amdhsa_system_sgpr_workgroup_id_y 0
		.amdhsa_system_sgpr_workgroup_id_z 0
		.amdhsa_system_sgpr_workgroup_info 0
		.amdhsa_system_vgpr_workitem_id 0
		.amdhsa_next_free_vgpr 1
		.amdhsa_next_free_sgpr 1
		.amdhsa_named_barrier_count 0
		.amdhsa_reserve_vcc 0
		.amdhsa_float_round_mode_32 0
		.amdhsa_float_round_mode_16_64 0
		.amdhsa_float_denorm_mode_32 3
		.amdhsa_float_denorm_mode_16_64 3
		.amdhsa_fp16_overflow 0
		.amdhsa_memory_ordered 1
		.amdhsa_forward_progress 1
		.amdhsa_inst_pref_size 0
		.amdhsa_round_robin_scheduling 0
		.amdhsa_exception_fp_ieee_invalid_op 0
		.amdhsa_exception_fp_denorm_src 0
		.amdhsa_exception_fp_ieee_div_zero 0
		.amdhsa_exception_fp_ieee_overflow 0
		.amdhsa_exception_fp_ieee_underflow 0
		.amdhsa_exception_fp_ieee_inexact 0
		.amdhsa_exception_int_div_zero 0
	.end_amdhsa_kernel
	.section	.text._ZN7rocprim17ROCPRIM_400000_NS6detail17trampoline_kernelINS0_13kernel_configILj256ELj4ELj4294967295EEENS1_37radix_sort_block_sort_config_selectorItNS0_10empty_typeEEEZNS1_21radix_sort_block_sortIS4_Lb0EPKtPtPS6_SC_NS0_19identity_decomposerEEE10hipError_tT1_T2_T3_T4_jRjT5_jjP12ihipStream_tbEUlT_E_NS1_11comp_targetILNS1_3genE2ELNS1_11target_archE906ELNS1_3gpuE6ELNS1_3repE0EEENS1_44radix_sort_block_sort_config_static_selectorELNS0_4arch9wavefront6targetE0EEEvSF_,"axG",@progbits,_ZN7rocprim17ROCPRIM_400000_NS6detail17trampoline_kernelINS0_13kernel_configILj256ELj4ELj4294967295EEENS1_37radix_sort_block_sort_config_selectorItNS0_10empty_typeEEEZNS1_21radix_sort_block_sortIS4_Lb0EPKtPtPS6_SC_NS0_19identity_decomposerEEE10hipError_tT1_T2_T3_T4_jRjT5_jjP12ihipStream_tbEUlT_E_NS1_11comp_targetILNS1_3genE2ELNS1_11target_archE906ELNS1_3gpuE6ELNS1_3repE0EEENS1_44radix_sort_block_sort_config_static_selectorELNS0_4arch9wavefront6targetE0EEEvSF_,comdat
.Lfunc_end2426:
	.size	_ZN7rocprim17ROCPRIM_400000_NS6detail17trampoline_kernelINS0_13kernel_configILj256ELj4ELj4294967295EEENS1_37radix_sort_block_sort_config_selectorItNS0_10empty_typeEEEZNS1_21radix_sort_block_sortIS4_Lb0EPKtPtPS6_SC_NS0_19identity_decomposerEEE10hipError_tT1_T2_T3_T4_jRjT5_jjP12ihipStream_tbEUlT_E_NS1_11comp_targetILNS1_3genE2ELNS1_11target_archE906ELNS1_3gpuE6ELNS1_3repE0EEENS1_44radix_sort_block_sort_config_static_selectorELNS0_4arch9wavefront6targetE0EEEvSF_, .Lfunc_end2426-_ZN7rocprim17ROCPRIM_400000_NS6detail17trampoline_kernelINS0_13kernel_configILj256ELj4ELj4294967295EEENS1_37radix_sort_block_sort_config_selectorItNS0_10empty_typeEEEZNS1_21radix_sort_block_sortIS4_Lb0EPKtPtPS6_SC_NS0_19identity_decomposerEEE10hipError_tT1_T2_T3_T4_jRjT5_jjP12ihipStream_tbEUlT_E_NS1_11comp_targetILNS1_3genE2ELNS1_11target_archE906ELNS1_3gpuE6ELNS1_3repE0EEENS1_44radix_sort_block_sort_config_static_selectorELNS0_4arch9wavefront6targetE0EEEvSF_
                                        ; -- End function
	.set _ZN7rocprim17ROCPRIM_400000_NS6detail17trampoline_kernelINS0_13kernel_configILj256ELj4ELj4294967295EEENS1_37radix_sort_block_sort_config_selectorItNS0_10empty_typeEEEZNS1_21radix_sort_block_sortIS4_Lb0EPKtPtPS6_SC_NS0_19identity_decomposerEEE10hipError_tT1_T2_T3_T4_jRjT5_jjP12ihipStream_tbEUlT_E_NS1_11comp_targetILNS1_3genE2ELNS1_11target_archE906ELNS1_3gpuE6ELNS1_3repE0EEENS1_44radix_sort_block_sort_config_static_selectorELNS0_4arch9wavefront6targetE0EEEvSF_.num_vgpr, 0
	.set _ZN7rocprim17ROCPRIM_400000_NS6detail17trampoline_kernelINS0_13kernel_configILj256ELj4ELj4294967295EEENS1_37radix_sort_block_sort_config_selectorItNS0_10empty_typeEEEZNS1_21radix_sort_block_sortIS4_Lb0EPKtPtPS6_SC_NS0_19identity_decomposerEEE10hipError_tT1_T2_T3_T4_jRjT5_jjP12ihipStream_tbEUlT_E_NS1_11comp_targetILNS1_3genE2ELNS1_11target_archE906ELNS1_3gpuE6ELNS1_3repE0EEENS1_44radix_sort_block_sort_config_static_selectorELNS0_4arch9wavefront6targetE0EEEvSF_.num_agpr, 0
	.set _ZN7rocprim17ROCPRIM_400000_NS6detail17trampoline_kernelINS0_13kernel_configILj256ELj4ELj4294967295EEENS1_37radix_sort_block_sort_config_selectorItNS0_10empty_typeEEEZNS1_21radix_sort_block_sortIS4_Lb0EPKtPtPS6_SC_NS0_19identity_decomposerEEE10hipError_tT1_T2_T3_T4_jRjT5_jjP12ihipStream_tbEUlT_E_NS1_11comp_targetILNS1_3genE2ELNS1_11target_archE906ELNS1_3gpuE6ELNS1_3repE0EEENS1_44radix_sort_block_sort_config_static_selectorELNS0_4arch9wavefront6targetE0EEEvSF_.numbered_sgpr, 0
	.set _ZN7rocprim17ROCPRIM_400000_NS6detail17trampoline_kernelINS0_13kernel_configILj256ELj4ELj4294967295EEENS1_37radix_sort_block_sort_config_selectorItNS0_10empty_typeEEEZNS1_21radix_sort_block_sortIS4_Lb0EPKtPtPS6_SC_NS0_19identity_decomposerEEE10hipError_tT1_T2_T3_T4_jRjT5_jjP12ihipStream_tbEUlT_E_NS1_11comp_targetILNS1_3genE2ELNS1_11target_archE906ELNS1_3gpuE6ELNS1_3repE0EEENS1_44radix_sort_block_sort_config_static_selectorELNS0_4arch9wavefront6targetE0EEEvSF_.num_named_barrier, 0
	.set _ZN7rocprim17ROCPRIM_400000_NS6detail17trampoline_kernelINS0_13kernel_configILj256ELj4ELj4294967295EEENS1_37radix_sort_block_sort_config_selectorItNS0_10empty_typeEEEZNS1_21radix_sort_block_sortIS4_Lb0EPKtPtPS6_SC_NS0_19identity_decomposerEEE10hipError_tT1_T2_T3_T4_jRjT5_jjP12ihipStream_tbEUlT_E_NS1_11comp_targetILNS1_3genE2ELNS1_11target_archE906ELNS1_3gpuE6ELNS1_3repE0EEENS1_44radix_sort_block_sort_config_static_selectorELNS0_4arch9wavefront6targetE0EEEvSF_.private_seg_size, 0
	.set _ZN7rocprim17ROCPRIM_400000_NS6detail17trampoline_kernelINS0_13kernel_configILj256ELj4ELj4294967295EEENS1_37radix_sort_block_sort_config_selectorItNS0_10empty_typeEEEZNS1_21radix_sort_block_sortIS4_Lb0EPKtPtPS6_SC_NS0_19identity_decomposerEEE10hipError_tT1_T2_T3_T4_jRjT5_jjP12ihipStream_tbEUlT_E_NS1_11comp_targetILNS1_3genE2ELNS1_11target_archE906ELNS1_3gpuE6ELNS1_3repE0EEENS1_44radix_sort_block_sort_config_static_selectorELNS0_4arch9wavefront6targetE0EEEvSF_.uses_vcc, 0
	.set _ZN7rocprim17ROCPRIM_400000_NS6detail17trampoline_kernelINS0_13kernel_configILj256ELj4ELj4294967295EEENS1_37radix_sort_block_sort_config_selectorItNS0_10empty_typeEEEZNS1_21radix_sort_block_sortIS4_Lb0EPKtPtPS6_SC_NS0_19identity_decomposerEEE10hipError_tT1_T2_T3_T4_jRjT5_jjP12ihipStream_tbEUlT_E_NS1_11comp_targetILNS1_3genE2ELNS1_11target_archE906ELNS1_3gpuE6ELNS1_3repE0EEENS1_44radix_sort_block_sort_config_static_selectorELNS0_4arch9wavefront6targetE0EEEvSF_.uses_flat_scratch, 0
	.set _ZN7rocprim17ROCPRIM_400000_NS6detail17trampoline_kernelINS0_13kernel_configILj256ELj4ELj4294967295EEENS1_37radix_sort_block_sort_config_selectorItNS0_10empty_typeEEEZNS1_21radix_sort_block_sortIS4_Lb0EPKtPtPS6_SC_NS0_19identity_decomposerEEE10hipError_tT1_T2_T3_T4_jRjT5_jjP12ihipStream_tbEUlT_E_NS1_11comp_targetILNS1_3genE2ELNS1_11target_archE906ELNS1_3gpuE6ELNS1_3repE0EEENS1_44radix_sort_block_sort_config_static_selectorELNS0_4arch9wavefront6targetE0EEEvSF_.has_dyn_sized_stack, 0
	.set _ZN7rocprim17ROCPRIM_400000_NS6detail17trampoline_kernelINS0_13kernel_configILj256ELj4ELj4294967295EEENS1_37radix_sort_block_sort_config_selectorItNS0_10empty_typeEEEZNS1_21radix_sort_block_sortIS4_Lb0EPKtPtPS6_SC_NS0_19identity_decomposerEEE10hipError_tT1_T2_T3_T4_jRjT5_jjP12ihipStream_tbEUlT_E_NS1_11comp_targetILNS1_3genE2ELNS1_11target_archE906ELNS1_3gpuE6ELNS1_3repE0EEENS1_44radix_sort_block_sort_config_static_selectorELNS0_4arch9wavefront6targetE0EEEvSF_.has_recursion, 0
	.set _ZN7rocprim17ROCPRIM_400000_NS6detail17trampoline_kernelINS0_13kernel_configILj256ELj4ELj4294967295EEENS1_37radix_sort_block_sort_config_selectorItNS0_10empty_typeEEEZNS1_21radix_sort_block_sortIS4_Lb0EPKtPtPS6_SC_NS0_19identity_decomposerEEE10hipError_tT1_T2_T3_T4_jRjT5_jjP12ihipStream_tbEUlT_E_NS1_11comp_targetILNS1_3genE2ELNS1_11target_archE906ELNS1_3gpuE6ELNS1_3repE0EEENS1_44radix_sort_block_sort_config_static_selectorELNS0_4arch9wavefront6targetE0EEEvSF_.has_indirect_call, 0
	.section	.AMDGPU.csdata,"",@progbits
; Kernel info:
; codeLenInByte = 0
; TotalNumSgprs: 0
; NumVgprs: 0
; ScratchSize: 0
; MemoryBound: 0
; FloatMode: 240
; IeeeMode: 1
; LDSByteSize: 0 bytes/workgroup (compile time only)
; SGPRBlocks: 0
; VGPRBlocks: 0
; NumSGPRsForWavesPerEU: 1
; NumVGPRsForWavesPerEU: 1
; NamedBarCnt: 0
; Occupancy: 16
; WaveLimiterHint : 0
; COMPUTE_PGM_RSRC2:SCRATCH_EN: 0
; COMPUTE_PGM_RSRC2:USER_SGPR: 2
; COMPUTE_PGM_RSRC2:TRAP_HANDLER: 0
; COMPUTE_PGM_RSRC2:TGID_X_EN: 1
; COMPUTE_PGM_RSRC2:TGID_Y_EN: 0
; COMPUTE_PGM_RSRC2:TGID_Z_EN: 0
; COMPUTE_PGM_RSRC2:TIDIG_COMP_CNT: 0
	.section	.text._ZN7rocprim17ROCPRIM_400000_NS6detail17trampoline_kernelINS0_13kernel_configILj256ELj4ELj4294967295EEENS1_37radix_sort_block_sort_config_selectorItNS0_10empty_typeEEEZNS1_21radix_sort_block_sortIS4_Lb0EPKtPtPS6_SC_NS0_19identity_decomposerEEE10hipError_tT1_T2_T3_T4_jRjT5_jjP12ihipStream_tbEUlT_E_NS1_11comp_targetILNS1_3genE10ELNS1_11target_archE1201ELNS1_3gpuE5ELNS1_3repE0EEENS1_44radix_sort_block_sort_config_static_selectorELNS0_4arch9wavefront6targetE0EEEvSF_,"axG",@progbits,_ZN7rocprim17ROCPRIM_400000_NS6detail17trampoline_kernelINS0_13kernel_configILj256ELj4ELj4294967295EEENS1_37radix_sort_block_sort_config_selectorItNS0_10empty_typeEEEZNS1_21radix_sort_block_sortIS4_Lb0EPKtPtPS6_SC_NS0_19identity_decomposerEEE10hipError_tT1_T2_T3_T4_jRjT5_jjP12ihipStream_tbEUlT_E_NS1_11comp_targetILNS1_3genE10ELNS1_11target_archE1201ELNS1_3gpuE5ELNS1_3repE0EEENS1_44radix_sort_block_sort_config_static_selectorELNS0_4arch9wavefront6targetE0EEEvSF_,comdat
	.protected	_ZN7rocprim17ROCPRIM_400000_NS6detail17trampoline_kernelINS0_13kernel_configILj256ELj4ELj4294967295EEENS1_37radix_sort_block_sort_config_selectorItNS0_10empty_typeEEEZNS1_21radix_sort_block_sortIS4_Lb0EPKtPtPS6_SC_NS0_19identity_decomposerEEE10hipError_tT1_T2_T3_T4_jRjT5_jjP12ihipStream_tbEUlT_E_NS1_11comp_targetILNS1_3genE10ELNS1_11target_archE1201ELNS1_3gpuE5ELNS1_3repE0EEENS1_44radix_sort_block_sort_config_static_selectorELNS0_4arch9wavefront6targetE0EEEvSF_ ; -- Begin function _ZN7rocprim17ROCPRIM_400000_NS6detail17trampoline_kernelINS0_13kernel_configILj256ELj4ELj4294967295EEENS1_37radix_sort_block_sort_config_selectorItNS0_10empty_typeEEEZNS1_21radix_sort_block_sortIS4_Lb0EPKtPtPS6_SC_NS0_19identity_decomposerEEE10hipError_tT1_T2_T3_T4_jRjT5_jjP12ihipStream_tbEUlT_E_NS1_11comp_targetILNS1_3genE10ELNS1_11target_archE1201ELNS1_3gpuE5ELNS1_3repE0EEENS1_44radix_sort_block_sort_config_static_selectorELNS0_4arch9wavefront6targetE0EEEvSF_
	.globl	_ZN7rocprim17ROCPRIM_400000_NS6detail17trampoline_kernelINS0_13kernel_configILj256ELj4ELj4294967295EEENS1_37radix_sort_block_sort_config_selectorItNS0_10empty_typeEEEZNS1_21radix_sort_block_sortIS4_Lb0EPKtPtPS6_SC_NS0_19identity_decomposerEEE10hipError_tT1_T2_T3_T4_jRjT5_jjP12ihipStream_tbEUlT_E_NS1_11comp_targetILNS1_3genE10ELNS1_11target_archE1201ELNS1_3gpuE5ELNS1_3repE0EEENS1_44radix_sort_block_sort_config_static_selectorELNS0_4arch9wavefront6targetE0EEEvSF_
	.p2align	8
	.type	_ZN7rocprim17ROCPRIM_400000_NS6detail17trampoline_kernelINS0_13kernel_configILj256ELj4ELj4294967295EEENS1_37radix_sort_block_sort_config_selectorItNS0_10empty_typeEEEZNS1_21radix_sort_block_sortIS4_Lb0EPKtPtPS6_SC_NS0_19identity_decomposerEEE10hipError_tT1_T2_T3_T4_jRjT5_jjP12ihipStream_tbEUlT_E_NS1_11comp_targetILNS1_3genE10ELNS1_11target_archE1201ELNS1_3gpuE5ELNS1_3repE0EEENS1_44radix_sort_block_sort_config_static_selectorELNS0_4arch9wavefront6targetE0EEEvSF_,@function
_ZN7rocprim17ROCPRIM_400000_NS6detail17trampoline_kernelINS0_13kernel_configILj256ELj4ELj4294967295EEENS1_37radix_sort_block_sort_config_selectorItNS0_10empty_typeEEEZNS1_21radix_sort_block_sortIS4_Lb0EPKtPtPS6_SC_NS0_19identity_decomposerEEE10hipError_tT1_T2_T3_T4_jRjT5_jjP12ihipStream_tbEUlT_E_NS1_11comp_targetILNS1_3genE10ELNS1_11target_archE1201ELNS1_3gpuE5ELNS1_3repE0EEENS1_44radix_sort_block_sort_config_static_selectorELNS0_4arch9wavefront6targetE0EEEvSF_: ; @_ZN7rocprim17ROCPRIM_400000_NS6detail17trampoline_kernelINS0_13kernel_configILj256ELj4ELj4294967295EEENS1_37radix_sort_block_sort_config_selectorItNS0_10empty_typeEEEZNS1_21radix_sort_block_sortIS4_Lb0EPKtPtPS6_SC_NS0_19identity_decomposerEEE10hipError_tT1_T2_T3_T4_jRjT5_jjP12ihipStream_tbEUlT_E_NS1_11comp_targetILNS1_3genE10ELNS1_11target_archE1201ELNS1_3gpuE5ELNS1_3repE0EEENS1_44radix_sort_block_sort_config_static_selectorELNS0_4arch9wavefront6targetE0EEEvSF_
; %bb.0:
	.section	.rodata,"a",@progbits
	.p2align	6, 0x0
	.amdhsa_kernel _ZN7rocprim17ROCPRIM_400000_NS6detail17trampoline_kernelINS0_13kernel_configILj256ELj4ELj4294967295EEENS1_37radix_sort_block_sort_config_selectorItNS0_10empty_typeEEEZNS1_21radix_sort_block_sortIS4_Lb0EPKtPtPS6_SC_NS0_19identity_decomposerEEE10hipError_tT1_T2_T3_T4_jRjT5_jjP12ihipStream_tbEUlT_E_NS1_11comp_targetILNS1_3genE10ELNS1_11target_archE1201ELNS1_3gpuE5ELNS1_3repE0EEENS1_44radix_sort_block_sort_config_static_selectorELNS0_4arch9wavefront6targetE0EEEvSF_
		.amdhsa_group_segment_fixed_size 0
		.amdhsa_private_segment_fixed_size 0
		.amdhsa_kernarg_size 48
		.amdhsa_user_sgpr_count 2
		.amdhsa_user_sgpr_dispatch_ptr 0
		.amdhsa_user_sgpr_queue_ptr 0
		.amdhsa_user_sgpr_kernarg_segment_ptr 1
		.amdhsa_user_sgpr_dispatch_id 0
		.amdhsa_user_sgpr_kernarg_preload_length 0
		.amdhsa_user_sgpr_kernarg_preload_offset 0
		.amdhsa_user_sgpr_private_segment_size 0
		.amdhsa_wavefront_size32 1
		.amdhsa_uses_dynamic_stack 0
		.amdhsa_enable_private_segment 0
		.amdhsa_system_sgpr_workgroup_id_x 1
		.amdhsa_system_sgpr_workgroup_id_y 0
		.amdhsa_system_sgpr_workgroup_id_z 0
		.amdhsa_system_sgpr_workgroup_info 0
		.amdhsa_system_vgpr_workitem_id 0
		.amdhsa_next_free_vgpr 1
		.amdhsa_next_free_sgpr 1
		.amdhsa_named_barrier_count 0
		.amdhsa_reserve_vcc 0
		.amdhsa_float_round_mode_32 0
		.amdhsa_float_round_mode_16_64 0
		.amdhsa_float_denorm_mode_32 3
		.amdhsa_float_denorm_mode_16_64 3
		.amdhsa_fp16_overflow 0
		.amdhsa_memory_ordered 1
		.amdhsa_forward_progress 1
		.amdhsa_inst_pref_size 0
		.amdhsa_round_robin_scheduling 0
		.amdhsa_exception_fp_ieee_invalid_op 0
		.amdhsa_exception_fp_denorm_src 0
		.amdhsa_exception_fp_ieee_div_zero 0
		.amdhsa_exception_fp_ieee_overflow 0
		.amdhsa_exception_fp_ieee_underflow 0
		.amdhsa_exception_fp_ieee_inexact 0
		.amdhsa_exception_int_div_zero 0
	.end_amdhsa_kernel
	.section	.text._ZN7rocprim17ROCPRIM_400000_NS6detail17trampoline_kernelINS0_13kernel_configILj256ELj4ELj4294967295EEENS1_37radix_sort_block_sort_config_selectorItNS0_10empty_typeEEEZNS1_21radix_sort_block_sortIS4_Lb0EPKtPtPS6_SC_NS0_19identity_decomposerEEE10hipError_tT1_T2_T3_T4_jRjT5_jjP12ihipStream_tbEUlT_E_NS1_11comp_targetILNS1_3genE10ELNS1_11target_archE1201ELNS1_3gpuE5ELNS1_3repE0EEENS1_44radix_sort_block_sort_config_static_selectorELNS0_4arch9wavefront6targetE0EEEvSF_,"axG",@progbits,_ZN7rocprim17ROCPRIM_400000_NS6detail17trampoline_kernelINS0_13kernel_configILj256ELj4ELj4294967295EEENS1_37radix_sort_block_sort_config_selectorItNS0_10empty_typeEEEZNS1_21radix_sort_block_sortIS4_Lb0EPKtPtPS6_SC_NS0_19identity_decomposerEEE10hipError_tT1_T2_T3_T4_jRjT5_jjP12ihipStream_tbEUlT_E_NS1_11comp_targetILNS1_3genE10ELNS1_11target_archE1201ELNS1_3gpuE5ELNS1_3repE0EEENS1_44radix_sort_block_sort_config_static_selectorELNS0_4arch9wavefront6targetE0EEEvSF_,comdat
.Lfunc_end2427:
	.size	_ZN7rocprim17ROCPRIM_400000_NS6detail17trampoline_kernelINS0_13kernel_configILj256ELj4ELj4294967295EEENS1_37radix_sort_block_sort_config_selectorItNS0_10empty_typeEEEZNS1_21radix_sort_block_sortIS4_Lb0EPKtPtPS6_SC_NS0_19identity_decomposerEEE10hipError_tT1_T2_T3_T4_jRjT5_jjP12ihipStream_tbEUlT_E_NS1_11comp_targetILNS1_3genE10ELNS1_11target_archE1201ELNS1_3gpuE5ELNS1_3repE0EEENS1_44radix_sort_block_sort_config_static_selectorELNS0_4arch9wavefront6targetE0EEEvSF_, .Lfunc_end2427-_ZN7rocprim17ROCPRIM_400000_NS6detail17trampoline_kernelINS0_13kernel_configILj256ELj4ELj4294967295EEENS1_37radix_sort_block_sort_config_selectorItNS0_10empty_typeEEEZNS1_21radix_sort_block_sortIS4_Lb0EPKtPtPS6_SC_NS0_19identity_decomposerEEE10hipError_tT1_T2_T3_T4_jRjT5_jjP12ihipStream_tbEUlT_E_NS1_11comp_targetILNS1_3genE10ELNS1_11target_archE1201ELNS1_3gpuE5ELNS1_3repE0EEENS1_44radix_sort_block_sort_config_static_selectorELNS0_4arch9wavefront6targetE0EEEvSF_
                                        ; -- End function
	.set _ZN7rocprim17ROCPRIM_400000_NS6detail17trampoline_kernelINS0_13kernel_configILj256ELj4ELj4294967295EEENS1_37radix_sort_block_sort_config_selectorItNS0_10empty_typeEEEZNS1_21radix_sort_block_sortIS4_Lb0EPKtPtPS6_SC_NS0_19identity_decomposerEEE10hipError_tT1_T2_T3_T4_jRjT5_jjP12ihipStream_tbEUlT_E_NS1_11comp_targetILNS1_3genE10ELNS1_11target_archE1201ELNS1_3gpuE5ELNS1_3repE0EEENS1_44radix_sort_block_sort_config_static_selectorELNS0_4arch9wavefront6targetE0EEEvSF_.num_vgpr, 0
	.set _ZN7rocprim17ROCPRIM_400000_NS6detail17trampoline_kernelINS0_13kernel_configILj256ELj4ELj4294967295EEENS1_37radix_sort_block_sort_config_selectorItNS0_10empty_typeEEEZNS1_21radix_sort_block_sortIS4_Lb0EPKtPtPS6_SC_NS0_19identity_decomposerEEE10hipError_tT1_T2_T3_T4_jRjT5_jjP12ihipStream_tbEUlT_E_NS1_11comp_targetILNS1_3genE10ELNS1_11target_archE1201ELNS1_3gpuE5ELNS1_3repE0EEENS1_44radix_sort_block_sort_config_static_selectorELNS0_4arch9wavefront6targetE0EEEvSF_.num_agpr, 0
	.set _ZN7rocprim17ROCPRIM_400000_NS6detail17trampoline_kernelINS0_13kernel_configILj256ELj4ELj4294967295EEENS1_37radix_sort_block_sort_config_selectorItNS0_10empty_typeEEEZNS1_21radix_sort_block_sortIS4_Lb0EPKtPtPS6_SC_NS0_19identity_decomposerEEE10hipError_tT1_T2_T3_T4_jRjT5_jjP12ihipStream_tbEUlT_E_NS1_11comp_targetILNS1_3genE10ELNS1_11target_archE1201ELNS1_3gpuE5ELNS1_3repE0EEENS1_44radix_sort_block_sort_config_static_selectorELNS0_4arch9wavefront6targetE0EEEvSF_.numbered_sgpr, 0
	.set _ZN7rocprim17ROCPRIM_400000_NS6detail17trampoline_kernelINS0_13kernel_configILj256ELj4ELj4294967295EEENS1_37radix_sort_block_sort_config_selectorItNS0_10empty_typeEEEZNS1_21radix_sort_block_sortIS4_Lb0EPKtPtPS6_SC_NS0_19identity_decomposerEEE10hipError_tT1_T2_T3_T4_jRjT5_jjP12ihipStream_tbEUlT_E_NS1_11comp_targetILNS1_3genE10ELNS1_11target_archE1201ELNS1_3gpuE5ELNS1_3repE0EEENS1_44radix_sort_block_sort_config_static_selectorELNS0_4arch9wavefront6targetE0EEEvSF_.num_named_barrier, 0
	.set _ZN7rocprim17ROCPRIM_400000_NS6detail17trampoline_kernelINS0_13kernel_configILj256ELj4ELj4294967295EEENS1_37radix_sort_block_sort_config_selectorItNS0_10empty_typeEEEZNS1_21radix_sort_block_sortIS4_Lb0EPKtPtPS6_SC_NS0_19identity_decomposerEEE10hipError_tT1_T2_T3_T4_jRjT5_jjP12ihipStream_tbEUlT_E_NS1_11comp_targetILNS1_3genE10ELNS1_11target_archE1201ELNS1_3gpuE5ELNS1_3repE0EEENS1_44radix_sort_block_sort_config_static_selectorELNS0_4arch9wavefront6targetE0EEEvSF_.private_seg_size, 0
	.set _ZN7rocprim17ROCPRIM_400000_NS6detail17trampoline_kernelINS0_13kernel_configILj256ELj4ELj4294967295EEENS1_37radix_sort_block_sort_config_selectorItNS0_10empty_typeEEEZNS1_21radix_sort_block_sortIS4_Lb0EPKtPtPS6_SC_NS0_19identity_decomposerEEE10hipError_tT1_T2_T3_T4_jRjT5_jjP12ihipStream_tbEUlT_E_NS1_11comp_targetILNS1_3genE10ELNS1_11target_archE1201ELNS1_3gpuE5ELNS1_3repE0EEENS1_44radix_sort_block_sort_config_static_selectorELNS0_4arch9wavefront6targetE0EEEvSF_.uses_vcc, 0
	.set _ZN7rocprim17ROCPRIM_400000_NS6detail17trampoline_kernelINS0_13kernel_configILj256ELj4ELj4294967295EEENS1_37radix_sort_block_sort_config_selectorItNS0_10empty_typeEEEZNS1_21radix_sort_block_sortIS4_Lb0EPKtPtPS6_SC_NS0_19identity_decomposerEEE10hipError_tT1_T2_T3_T4_jRjT5_jjP12ihipStream_tbEUlT_E_NS1_11comp_targetILNS1_3genE10ELNS1_11target_archE1201ELNS1_3gpuE5ELNS1_3repE0EEENS1_44radix_sort_block_sort_config_static_selectorELNS0_4arch9wavefront6targetE0EEEvSF_.uses_flat_scratch, 0
	.set _ZN7rocprim17ROCPRIM_400000_NS6detail17trampoline_kernelINS0_13kernel_configILj256ELj4ELj4294967295EEENS1_37radix_sort_block_sort_config_selectorItNS0_10empty_typeEEEZNS1_21radix_sort_block_sortIS4_Lb0EPKtPtPS6_SC_NS0_19identity_decomposerEEE10hipError_tT1_T2_T3_T4_jRjT5_jjP12ihipStream_tbEUlT_E_NS1_11comp_targetILNS1_3genE10ELNS1_11target_archE1201ELNS1_3gpuE5ELNS1_3repE0EEENS1_44radix_sort_block_sort_config_static_selectorELNS0_4arch9wavefront6targetE0EEEvSF_.has_dyn_sized_stack, 0
	.set _ZN7rocprim17ROCPRIM_400000_NS6detail17trampoline_kernelINS0_13kernel_configILj256ELj4ELj4294967295EEENS1_37radix_sort_block_sort_config_selectorItNS0_10empty_typeEEEZNS1_21radix_sort_block_sortIS4_Lb0EPKtPtPS6_SC_NS0_19identity_decomposerEEE10hipError_tT1_T2_T3_T4_jRjT5_jjP12ihipStream_tbEUlT_E_NS1_11comp_targetILNS1_3genE10ELNS1_11target_archE1201ELNS1_3gpuE5ELNS1_3repE0EEENS1_44radix_sort_block_sort_config_static_selectorELNS0_4arch9wavefront6targetE0EEEvSF_.has_recursion, 0
	.set _ZN7rocprim17ROCPRIM_400000_NS6detail17trampoline_kernelINS0_13kernel_configILj256ELj4ELj4294967295EEENS1_37radix_sort_block_sort_config_selectorItNS0_10empty_typeEEEZNS1_21radix_sort_block_sortIS4_Lb0EPKtPtPS6_SC_NS0_19identity_decomposerEEE10hipError_tT1_T2_T3_T4_jRjT5_jjP12ihipStream_tbEUlT_E_NS1_11comp_targetILNS1_3genE10ELNS1_11target_archE1201ELNS1_3gpuE5ELNS1_3repE0EEENS1_44radix_sort_block_sort_config_static_selectorELNS0_4arch9wavefront6targetE0EEEvSF_.has_indirect_call, 0
	.section	.AMDGPU.csdata,"",@progbits
; Kernel info:
; codeLenInByte = 0
; TotalNumSgprs: 0
; NumVgprs: 0
; ScratchSize: 0
; MemoryBound: 0
; FloatMode: 240
; IeeeMode: 1
; LDSByteSize: 0 bytes/workgroup (compile time only)
; SGPRBlocks: 0
; VGPRBlocks: 0
; NumSGPRsForWavesPerEU: 1
; NumVGPRsForWavesPerEU: 1
; NamedBarCnt: 0
; Occupancy: 16
; WaveLimiterHint : 0
; COMPUTE_PGM_RSRC2:SCRATCH_EN: 0
; COMPUTE_PGM_RSRC2:USER_SGPR: 2
; COMPUTE_PGM_RSRC2:TRAP_HANDLER: 0
; COMPUTE_PGM_RSRC2:TGID_X_EN: 1
; COMPUTE_PGM_RSRC2:TGID_Y_EN: 0
; COMPUTE_PGM_RSRC2:TGID_Z_EN: 0
; COMPUTE_PGM_RSRC2:TIDIG_COMP_CNT: 0
	.section	.text._ZN7rocprim17ROCPRIM_400000_NS6detail17trampoline_kernelINS0_13kernel_configILj256ELj4ELj4294967295EEENS1_37radix_sort_block_sort_config_selectorItNS0_10empty_typeEEEZNS1_21radix_sort_block_sortIS4_Lb0EPKtPtPS6_SC_NS0_19identity_decomposerEEE10hipError_tT1_T2_T3_T4_jRjT5_jjP12ihipStream_tbEUlT_E_NS1_11comp_targetILNS1_3genE10ELNS1_11target_archE1200ELNS1_3gpuE4ELNS1_3repE0EEENS1_44radix_sort_block_sort_config_static_selectorELNS0_4arch9wavefront6targetE0EEEvSF_,"axG",@progbits,_ZN7rocprim17ROCPRIM_400000_NS6detail17trampoline_kernelINS0_13kernel_configILj256ELj4ELj4294967295EEENS1_37radix_sort_block_sort_config_selectorItNS0_10empty_typeEEEZNS1_21radix_sort_block_sortIS4_Lb0EPKtPtPS6_SC_NS0_19identity_decomposerEEE10hipError_tT1_T2_T3_T4_jRjT5_jjP12ihipStream_tbEUlT_E_NS1_11comp_targetILNS1_3genE10ELNS1_11target_archE1200ELNS1_3gpuE4ELNS1_3repE0EEENS1_44radix_sort_block_sort_config_static_selectorELNS0_4arch9wavefront6targetE0EEEvSF_,comdat
	.protected	_ZN7rocprim17ROCPRIM_400000_NS6detail17trampoline_kernelINS0_13kernel_configILj256ELj4ELj4294967295EEENS1_37radix_sort_block_sort_config_selectorItNS0_10empty_typeEEEZNS1_21radix_sort_block_sortIS4_Lb0EPKtPtPS6_SC_NS0_19identity_decomposerEEE10hipError_tT1_T2_T3_T4_jRjT5_jjP12ihipStream_tbEUlT_E_NS1_11comp_targetILNS1_3genE10ELNS1_11target_archE1200ELNS1_3gpuE4ELNS1_3repE0EEENS1_44radix_sort_block_sort_config_static_selectorELNS0_4arch9wavefront6targetE0EEEvSF_ ; -- Begin function _ZN7rocprim17ROCPRIM_400000_NS6detail17trampoline_kernelINS0_13kernel_configILj256ELj4ELj4294967295EEENS1_37radix_sort_block_sort_config_selectorItNS0_10empty_typeEEEZNS1_21radix_sort_block_sortIS4_Lb0EPKtPtPS6_SC_NS0_19identity_decomposerEEE10hipError_tT1_T2_T3_T4_jRjT5_jjP12ihipStream_tbEUlT_E_NS1_11comp_targetILNS1_3genE10ELNS1_11target_archE1200ELNS1_3gpuE4ELNS1_3repE0EEENS1_44radix_sort_block_sort_config_static_selectorELNS0_4arch9wavefront6targetE0EEEvSF_
	.globl	_ZN7rocprim17ROCPRIM_400000_NS6detail17trampoline_kernelINS0_13kernel_configILj256ELj4ELj4294967295EEENS1_37radix_sort_block_sort_config_selectorItNS0_10empty_typeEEEZNS1_21radix_sort_block_sortIS4_Lb0EPKtPtPS6_SC_NS0_19identity_decomposerEEE10hipError_tT1_T2_T3_T4_jRjT5_jjP12ihipStream_tbEUlT_E_NS1_11comp_targetILNS1_3genE10ELNS1_11target_archE1200ELNS1_3gpuE4ELNS1_3repE0EEENS1_44radix_sort_block_sort_config_static_selectorELNS0_4arch9wavefront6targetE0EEEvSF_
	.p2align	8
	.type	_ZN7rocprim17ROCPRIM_400000_NS6detail17trampoline_kernelINS0_13kernel_configILj256ELj4ELj4294967295EEENS1_37radix_sort_block_sort_config_selectorItNS0_10empty_typeEEEZNS1_21radix_sort_block_sortIS4_Lb0EPKtPtPS6_SC_NS0_19identity_decomposerEEE10hipError_tT1_T2_T3_T4_jRjT5_jjP12ihipStream_tbEUlT_E_NS1_11comp_targetILNS1_3genE10ELNS1_11target_archE1200ELNS1_3gpuE4ELNS1_3repE0EEENS1_44radix_sort_block_sort_config_static_selectorELNS0_4arch9wavefront6targetE0EEEvSF_,@function
_ZN7rocprim17ROCPRIM_400000_NS6detail17trampoline_kernelINS0_13kernel_configILj256ELj4ELj4294967295EEENS1_37radix_sort_block_sort_config_selectorItNS0_10empty_typeEEEZNS1_21radix_sort_block_sortIS4_Lb0EPKtPtPS6_SC_NS0_19identity_decomposerEEE10hipError_tT1_T2_T3_T4_jRjT5_jjP12ihipStream_tbEUlT_E_NS1_11comp_targetILNS1_3genE10ELNS1_11target_archE1200ELNS1_3gpuE4ELNS1_3repE0EEENS1_44radix_sort_block_sort_config_static_selectorELNS0_4arch9wavefront6targetE0EEEvSF_: ; @_ZN7rocprim17ROCPRIM_400000_NS6detail17trampoline_kernelINS0_13kernel_configILj256ELj4ELj4294967295EEENS1_37radix_sort_block_sort_config_selectorItNS0_10empty_typeEEEZNS1_21radix_sort_block_sortIS4_Lb0EPKtPtPS6_SC_NS0_19identity_decomposerEEE10hipError_tT1_T2_T3_T4_jRjT5_jjP12ihipStream_tbEUlT_E_NS1_11comp_targetILNS1_3genE10ELNS1_11target_archE1200ELNS1_3gpuE4ELNS1_3repE0EEENS1_44radix_sort_block_sort_config_static_selectorELNS0_4arch9wavefront6targetE0EEEvSF_
; %bb.0:
	.section	.rodata,"a",@progbits
	.p2align	6, 0x0
	.amdhsa_kernel _ZN7rocprim17ROCPRIM_400000_NS6detail17trampoline_kernelINS0_13kernel_configILj256ELj4ELj4294967295EEENS1_37radix_sort_block_sort_config_selectorItNS0_10empty_typeEEEZNS1_21radix_sort_block_sortIS4_Lb0EPKtPtPS6_SC_NS0_19identity_decomposerEEE10hipError_tT1_T2_T3_T4_jRjT5_jjP12ihipStream_tbEUlT_E_NS1_11comp_targetILNS1_3genE10ELNS1_11target_archE1200ELNS1_3gpuE4ELNS1_3repE0EEENS1_44radix_sort_block_sort_config_static_selectorELNS0_4arch9wavefront6targetE0EEEvSF_
		.amdhsa_group_segment_fixed_size 0
		.amdhsa_private_segment_fixed_size 0
		.amdhsa_kernarg_size 48
		.amdhsa_user_sgpr_count 2
		.amdhsa_user_sgpr_dispatch_ptr 0
		.amdhsa_user_sgpr_queue_ptr 0
		.amdhsa_user_sgpr_kernarg_segment_ptr 1
		.amdhsa_user_sgpr_dispatch_id 0
		.amdhsa_user_sgpr_kernarg_preload_length 0
		.amdhsa_user_sgpr_kernarg_preload_offset 0
		.amdhsa_user_sgpr_private_segment_size 0
		.amdhsa_wavefront_size32 1
		.amdhsa_uses_dynamic_stack 0
		.amdhsa_enable_private_segment 0
		.amdhsa_system_sgpr_workgroup_id_x 1
		.amdhsa_system_sgpr_workgroup_id_y 0
		.amdhsa_system_sgpr_workgroup_id_z 0
		.amdhsa_system_sgpr_workgroup_info 0
		.amdhsa_system_vgpr_workitem_id 0
		.amdhsa_next_free_vgpr 1
		.amdhsa_next_free_sgpr 1
		.amdhsa_named_barrier_count 0
		.amdhsa_reserve_vcc 0
		.amdhsa_float_round_mode_32 0
		.amdhsa_float_round_mode_16_64 0
		.amdhsa_float_denorm_mode_32 3
		.amdhsa_float_denorm_mode_16_64 3
		.amdhsa_fp16_overflow 0
		.amdhsa_memory_ordered 1
		.amdhsa_forward_progress 1
		.amdhsa_inst_pref_size 0
		.amdhsa_round_robin_scheduling 0
		.amdhsa_exception_fp_ieee_invalid_op 0
		.amdhsa_exception_fp_denorm_src 0
		.amdhsa_exception_fp_ieee_div_zero 0
		.amdhsa_exception_fp_ieee_overflow 0
		.amdhsa_exception_fp_ieee_underflow 0
		.amdhsa_exception_fp_ieee_inexact 0
		.amdhsa_exception_int_div_zero 0
	.end_amdhsa_kernel
	.section	.text._ZN7rocprim17ROCPRIM_400000_NS6detail17trampoline_kernelINS0_13kernel_configILj256ELj4ELj4294967295EEENS1_37radix_sort_block_sort_config_selectorItNS0_10empty_typeEEEZNS1_21radix_sort_block_sortIS4_Lb0EPKtPtPS6_SC_NS0_19identity_decomposerEEE10hipError_tT1_T2_T3_T4_jRjT5_jjP12ihipStream_tbEUlT_E_NS1_11comp_targetILNS1_3genE10ELNS1_11target_archE1200ELNS1_3gpuE4ELNS1_3repE0EEENS1_44radix_sort_block_sort_config_static_selectorELNS0_4arch9wavefront6targetE0EEEvSF_,"axG",@progbits,_ZN7rocprim17ROCPRIM_400000_NS6detail17trampoline_kernelINS0_13kernel_configILj256ELj4ELj4294967295EEENS1_37radix_sort_block_sort_config_selectorItNS0_10empty_typeEEEZNS1_21radix_sort_block_sortIS4_Lb0EPKtPtPS6_SC_NS0_19identity_decomposerEEE10hipError_tT1_T2_T3_T4_jRjT5_jjP12ihipStream_tbEUlT_E_NS1_11comp_targetILNS1_3genE10ELNS1_11target_archE1200ELNS1_3gpuE4ELNS1_3repE0EEENS1_44radix_sort_block_sort_config_static_selectorELNS0_4arch9wavefront6targetE0EEEvSF_,comdat
.Lfunc_end2428:
	.size	_ZN7rocprim17ROCPRIM_400000_NS6detail17trampoline_kernelINS0_13kernel_configILj256ELj4ELj4294967295EEENS1_37radix_sort_block_sort_config_selectorItNS0_10empty_typeEEEZNS1_21radix_sort_block_sortIS4_Lb0EPKtPtPS6_SC_NS0_19identity_decomposerEEE10hipError_tT1_T2_T3_T4_jRjT5_jjP12ihipStream_tbEUlT_E_NS1_11comp_targetILNS1_3genE10ELNS1_11target_archE1200ELNS1_3gpuE4ELNS1_3repE0EEENS1_44radix_sort_block_sort_config_static_selectorELNS0_4arch9wavefront6targetE0EEEvSF_, .Lfunc_end2428-_ZN7rocprim17ROCPRIM_400000_NS6detail17trampoline_kernelINS0_13kernel_configILj256ELj4ELj4294967295EEENS1_37radix_sort_block_sort_config_selectorItNS0_10empty_typeEEEZNS1_21radix_sort_block_sortIS4_Lb0EPKtPtPS6_SC_NS0_19identity_decomposerEEE10hipError_tT1_T2_T3_T4_jRjT5_jjP12ihipStream_tbEUlT_E_NS1_11comp_targetILNS1_3genE10ELNS1_11target_archE1200ELNS1_3gpuE4ELNS1_3repE0EEENS1_44radix_sort_block_sort_config_static_selectorELNS0_4arch9wavefront6targetE0EEEvSF_
                                        ; -- End function
	.set _ZN7rocprim17ROCPRIM_400000_NS6detail17trampoline_kernelINS0_13kernel_configILj256ELj4ELj4294967295EEENS1_37radix_sort_block_sort_config_selectorItNS0_10empty_typeEEEZNS1_21radix_sort_block_sortIS4_Lb0EPKtPtPS6_SC_NS0_19identity_decomposerEEE10hipError_tT1_T2_T3_T4_jRjT5_jjP12ihipStream_tbEUlT_E_NS1_11comp_targetILNS1_3genE10ELNS1_11target_archE1200ELNS1_3gpuE4ELNS1_3repE0EEENS1_44radix_sort_block_sort_config_static_selectorELNS0_4arch9wavefront6targetE0EEEvSF_.num_vgpr, 0
	.set _ZN7rocprim17ROCPRIM_400000_NS6detail17trampoline_kernelINS0_13kernel_configILj256ELj4ELj4294967295EEENS1_37radix_sort_block_sort_config_selectorItNS0_10empty_typeEEEZNS1_21radix_sort_block_sortIS4_Lb0EPKtPtPS6_SC_NS0_19identity_decomposerEEE10hipError_tT1_T2_T3_T4_jRjT5_jjP12ihipStream_tbEUlT_E_NS1_11comp_targetILNS1_3genE10ELNS1_11target_archE1200ELNS1_3gpuE4ELNS1_3repE0EEENS1_44radix_sort_block_sort_config_static_selectorELNS0_4arch9wavefront6targetE0EEEvSF_.num_agpr, 0
	.set _ZN7rocprim17ROCPRIM_400000_NS6detail17trampoline_kernelINS0_13kernel_configILj256ELj4ELj4294967295EEENS1_37radix_sort_block_sort_config_selectorItNS0_10empty_typeEEEZNS1_21radix_sort_block_sortIS4_Lb0EPKtPtPS6_SC_NS0_19identity_decomposerEEE10hipError_tT1_T2_T3_T4_jRjT5_jjP12ihipStream_tbEUlT_E_NS1_11comp_targetILNS1_3genE10ELNS1_11target_archE1200ELNS1_3gpuE4ELNS1_3repE0EEENS1_44radix_sort_block_sort_config_static_selectorELNS0_4arch9wavefront6targetE0EEEvSF_.numbered_sgpr, 0
	.set _ZN7rocprim17ROCPRIM_400000_NS6detail17trampoline_kernelINS0_13kernel_configILj256ELj4ELj4294967295EEENS1_37radix_sort_block_sort_config_selectorItNS0_10empty_typeEEEZNS1_21radix_sort_block_sortIS4_Lb0EPKtPtPS6_SC_NS0_19identity_decomposerEEE10hipError_tT1_T2_T3_T4_jRjT5_jjP12ihipStream_tbEUlT_E_NS1_11comp_targetILNS1_3genE10ELNS1_11target_archE1200ELNS1_3gpuE4ELNS1_3repE0EEENS1_44radix_sort_block_sort_config_static_selectorELNS0_4arch9wavefront6targetE0EEEvSF_.num_named_barrier, 0
	.set _ZN7rocprim17ROCPRIM_400000_NS6detail17trampoline_kernelINS0_13kernel_configILj256ELj4ELj4294967295EEENS1_37radix_sort_block_sort_config_selectorItNS0_10empty_typeEEEZNS1_21radix_sort_block_sortIS4_Lb0EPKtPtPS6_SC_NS0_19identity_decomposerEEE10hipError_tT1_T2_T3_T4_jRjT5_jjP12ihipStream_tbEUlT_E_NS1_11comp_targetILNS1_3genE10ELNS1_11target_archE1200ELNS1_3gpuE4ELNS1_3repE0EEENS1_44radix_sort_block_sort_config_static_selectorELNS0_4arch9wavefront6targetE0EEEvSF_.private_seg_size, 0
	.set _ZN7rocprim17ROCPRIM_400000_NS6detail17trampoline_kernelINS0_13kernel_configILj256ELj4ELj4294967295EEENS1_37radix_sort_block_sort_config_selectorItNS0_10empty_typeEEEZNS1_21radix_sort_block_sortIS4_Lb0EPKtPtPS6_SC_NS0_19identity_decomposerEEE10hipError_tT1_T2_T3_T4_jRjT5_jjP12ihipStream_tbEUlT_E_NS1_11comp_targetILNS1_3genE10ELNS1_11target_archE1200ELNS1_3gpuE4ELNS1_3repE0EEENS1_44radix_sort_block_sort_config_static_selectorELNS0_4arch9wavefront6targetE0EEEvSF_.uses_vcc, 0
	.set _ZN7rocprim17ROCPRIM_400000_NS6detail17trampoline_kernelINS0_13kernel_configILj256ELj4ELj4294967295EEENS1_37radix_sort_block_sort_config_selectorItNS0_10empty_typeEEEZNS1_21radix_sort_block_sortIS4_Lb0EPKtPtPS6_SC_NS0_19identity_decomposerEEE10hipError_tT1_T2_T3_T4_jRjT5_jjP12ihipStream_tbEUlT_E_NS1_11comp_targetILNS1_3genE10ELNS1_11target_archE1200ELNS1_3gpuE4ELNS1_3repE0EEENS1_44radix_sort_block_sort_config_static_selectorELNS0_4arch9wavefront6targetE0EEEvSF_.uses_flat_scratch, 0
	.set _ZN7rocprim17ROCPRIM_400000_NS6detail17trampoline_kernelINS0_13kernel_configILj256ELj4ELj4294967295EEENS1_37radix_sort_block_sort_config_selectorItNS0_10empty_typeEEEZNS1_21radix_sort_block_sortIS4_Lb0EPKtPtPS6_SC_NS0_19identity_decomposerEEE10hipError_tT1_T2_T3_T4_jRjT5_jjP12ihipStream_tbEUlT_E_NS1_11comp_targetILNS1_3genE10ELNS1_11target_archE1200ELNS1_3gpuE4ELNS1_3repE0EEENS1_44radix_sort_block_sort_config_static_selectorELNS0_4arch9wavefront6targetE0EEEvSF_.has_dyn_sized_stack, 0
	.set _ZN7rocprim17ROCPRIM_400000_NS6detail17trampoline_kernelINS0_13kernel_configILj256ELj4ELj4294967295EEENS1_37radix_sort_block_sort_config_selectorItNS0_10empty_typeEEEZNS1_21radix_sort_block_sortIS4_Lb0EPKtPtPS6_SC_NS0_19identity_decomposerEEE10hipError_tT1_T2_T3_T4_jRjT5_jjP12ihipStream_tbEUlT_E_NS1_11comp_targetILNS1_3genE10ELNS1_11target_archE1200ELNS1_3gpuE4ELNS1_3repE0EEENS1_44radix_sort_block_sort_config_static_selectorELNS0_4arch9wavefront6targetE0EEEvSF_.has_recursion, 0
	.set _ZN7rocprim17ROCPRIM_400000_NS6detail17trampoline_kernelINS0_13kernel_configILj256ELj4ELj4294967295EEENS1_37radix_sort_block_sort_config_selectorItNS0_10empty_typeEEEZNS1_21radix_sort_block_sortIS4_Lb0EPKtPtPS6_SC_NS0_19identity_decomposerEEE10hipError_tT1_T2_T3_T4_jRjT5_jjP12ihipStream_tbEUlT_E_NS1_11comp_targetILNS1_3genE10ELNS1_11target_archE1200ELNS1_3gpuE4ELNS1_3repE0EEENS1_44radix_sort_block_sort_config_static_selectorELNS0_4arch9wavefront6targetE0EEEvSF_.has_indirect_call, 0
	.section	.AMDGPU.csdata,"",@progbits
; Kernel info:
; codeLenInByte = 0
; TotalNumSgprs: 0
; NumVgprs: 0
; ScratchSize: 0
; MemoryBound: 0
; FloatMode: 240
; IeeeMode: 1
; LDSByteSize: 0 bytes/workgroup (compile time only)
; SGPRBlocks: 0
; VGPRBlocks: 0
; NumSGPRsForWavesPerEU: 1
; NumVGPRsForWavesPerEU: 1
; NamedBarCnt: 0
; Occupancy: 16
; WaveLimiterHint : 0
; COMPUTE_PGM_RSRC2:SCRATCH_EN: 0
; COMPUTE_PGM_RSRC2:USER_SGPR: 2
; COMPUTE_PGM_RSRC2:TRAP_HANDLER: 0
; COMPUTE_PGM_RSRC2:TGID_X_EN: 1
; COMPUTE_PGM_RSRC2:TGID_Y_EN: 0
; COMPUTE_PGM_RSRC2:TGID_Z_EN: 0
; COMPUTE_PGM_RSRC2:TIDIG_COMP_CNT: 0
	.section	.text._ZN7rocprim17ROCPRIM_400000_NS6detail17trampoline_kernelINS0_13kernel_configILj256ELj4ELj4294967295EEENS1_37radix_sort_block_sort_config_selectorItNS0_10empty_typeEEEZNS1_21radix_sort_block_sortIS4_Lb0EPKtPtPS6_SC_NS0_19identity_decomposerEEE10hipError_tT1_T2_T3_T4_jRjT5_jjP12ihipStream_tbEUlT_E_NS1_11comp_targetILNS1_3genE9ELNS1_11target_archE1100ELNS1_3gpuE3ELNS1_3repE0EEENS1_44radix_sort_block_sort_config_static_selectorELNS0_4arch9wavefront6targetE0EEEvSF_,"axG",@progbits,_ZN7rocprim17ROCPRIM_400000_NS6detail17trampoline_kernelINS0_13kernel_configILj256ELj4ELj4294967295EEENS1_37radix_sort_block_sort_config_selectorItNS0_10empty_typeEEEZNS1_21radix_sort_block_sortIS4_Lb0EPKtPtPS6_SC_NS0_19identity_decomposerEEE10hipError_tT1_T2_T3_T4_jRjT5_jjP12ihipStream_tbEUlT_E_NS1_11comp_targetILNS1_3genE9ELNS1_11target_archE1100ELNS1_3gpuE3ELNS1_3repE0EEENS1_44radix_sort_block_sort_config_static_selectorELNS0_4arch9wavefront6targetE0EEEvSF_,comdat
	.protected	_ZN7rocprim17ROCPRIM_400000_NS6detail17trampoline_kernelINS0_13kernel_configILj256ELj4ELj4294967295EEENS1_37radix_sort_block_sort_config_selectorItNS0_10empty_typeEEEZNS1_21radix_sort_block_sortIS4_Lb0EPKtPtPS6_SC_NS0_19identity_decomposerEEE10hipError_tT1_T2_T3_T4_jRjT5_jjP12ihipStream_tbEUlT_E_NS1_11comp_targetILNS1_3genE9ELNS1_11target_archE1100ELNS1_3gpuE3ELNS1_3repE0EEENS1_44radix_sort_block_sort_config_static_selectorELNS0_4arch9wavefront6targetE0EEEvSF_ ; -- Begin function _ZN7rocprim17ROCPRIM_400000_NS6detail17trampoline_kernelINS0_13kernel_configILj256ELj4ELj4294967295EEENS1_37radix_sort_block_sort_config_selectorItNS0_10empty_typeEEEZNS1_21radix_sort_block_sortIS4_Lb0EPKtPtPS6_SC_NS0_19identity_decomposerEEE10hipError_tT1_T2_T3_T4_jRjT5_jjP12ihipStream_tbEUlT_E_NS1_11comp_targetILNS1_3genE9ELNS1_11target_archE1100ELNS1_3gpuE3ELNS1_3repE0EEENS1_44radix_sort_block_sort_config_static_selectorELNS0_4arch9wavefront6targetE0EEEvSF_
	.globl	_ZN7rocprim17ROCPRIM_400000_NS6detail17trampoline_kernelINS0_13kernel_configILj256ELj4ELj4294967295EEENS1_37radix_sort_block_sort_config_selectorItNS0_10empty_typeEEEZNS1_21radix_sort_block_sortIS4_Lb0EPKtPtPS6_SC_NS0_19identity_decomposerEEE10hipError_tT1_T2_T3_T4_jRjT5_jjP12ihipStream_tbEUlT_E_NS1_11comp_targetILNS1_3genE9ELNS1_11target_archE1100ELNS1_3gpuE3ELNS1_3repE0EEENS1_44radix_sort_block_sort_config_static_selectorELNS0_4arch9wavefront6targetE0EEEvSF_
	.p2align	8
	.type	_ZN7rocprim17ROCPRIM_400000_NS6detail17trampoline_kernelINS0_13kernel_configILj256ELj4ELj4294967295EEENS1_37radix_sort_block_sort_config_selectorItNS0_10empty_typeEEEZNS1_21radix_sort_block_sortIS4_Lb0EPKtPtPS6_SC_NS0_19identity_decomposerEEE10hipError_tT1_T2_T3_T4_jRjT5_jjP12ihipStream_tbEUlT_E_NS1_11comp_targetILNS1_3genE9ELNS1_11target_archE1100ELNS1_3gpuE3ELNS1_3repE0EEENS1_44radix_sort_block_sort_config_static_selectorELNS0_4arch9wavefront6targetE0EEEvSF_,@function
_ZN7rocprim17ROCPRIM_400000_NS6detail17trampoline_kernelINS0_13kernel_configILj256ELj4ELj4294967295EEENS1_37radix_sort_block_sort_config_selectorItNS0_10empty_typeEEEZNS1_21radix_sort_block_sortIS4_Lb0EPKtPtPS6_SC_NS0_19identity_decomposerEEE10hipError_tT1_T2_T3_T4_jRjT5_jjP12ihipStream_tbEUlT_E_NS1_11comp_targetILNS1_3genE9ELNS1_11target_archE1100ELNS1_3gpuE3ELNS1_3repE0EEENS1_44radix_sort_block_sort_config_static_selectorELNS0_4arch9wavefront6targetE0EEEvSF_: ; @_ZN7rocprim17ROCPRIM_400000_NS6detail17trampoline_kernelINS0_13kernel_configILj256ELj4ELj4294967295EEENS1_37radix_sort_block_sort_config_selectorItNS0_10empty_typeEEEZNS1_21radix_sort_block_sortIS4_Lb0EPKtPtPS6_SC_NS0_19identity_decomposerEEE10hipError_tT1_T2_T3_T4_jRjT5_jjP12ihipStream_tbEUlT_E_NS1_11comp_targetILNS1_3genE9ELNS1_11target_archE1100ELNS1_3gpuE3ELNS1_3repE0EEENS1_44radix_sort_block_sort_config_static_selectorELNS0_4arch9wavefront6targetE0EEEvSF_
; %bb.0:
	.section	.rodata,"a",@progbits
	.p2align	6, 0x0
	.amdhsa_kernel _ZN7rocprim17ROCPRIM_400000_NS6detail17trampoline_kernelINS0_13kernel_configILj256ELj4ELj4294967295EEENS1_37radix_sort_block_sort_config_selectorItNS0_10empty_typeEEEZNS1_21radix_sort_block_sortIS4_Lb0EPKtPtPS6_SC_NS0_19identity_decomposerEEE10hipError_tT1_T2_T3_T4_jRjT5_jjP12ihipStream_tbEUlT_E_NS1_11comp_targetILNS1_3genE9ELNS1_11target_archE1100ELNS1_3gpuE3ELNS1_3repE0EEENS1_44radix_sort_block_sort_config_static_selectorELNS0_4arch9wavefront6targetE0EEEvSF_
		.amdhsa_group_segment_fixed_size 0
		.amdhsa_private_segment_fixed_size 0
		.amdhsa_kernarg_size 48
		.amdhsa_user_sgpr_count 2
		.amdhsa_user_sgpr_dispatch_ptr 0
		.amdhsa_user_sgpr_queue_ptr 0
		.amdhsa_user_sgpr_kernarg_segment_ptr 1
		.amdhsa_user_sgpr_dispatch_id 0
		.amdhsa_user_sgpr_kernarg_preload_length 0
		.amdhsa_user_sgpr_kernarg_preload_offset 0
		.amdhsa_user_sgpr_private_segment_size 0
		.amdhsa_wavefront_size32 1
		.amdhsa_uses_dynamic_stack 0
		.amdhsa_enable_private_segment 0
		.amdhsa_system_sgpr_workgroup_id_x 1
		.amdhsa_system_sgpr_workgroup_id_y 0
		.amdhsa_system_sgpr_workgroup_id_z 0
		.amdhsa_system_sgpr_workgroup_info 0
		.amdhsa_system_vgpr_workitem_id 0
		.amdhsa_next_free_vgpr 1
		.amdhsa_next_free_sgpr 1
		.amdhsa_named_barrier_count 0
		.amdhsa_reserve_vcc 0
		.amdhsa_float_round_mode_32 0
		.amdhsa_float_round_mode_16_64 0
		.amdhsa_float_denorm_mode_32 3
		.amdhsa_float_denorm_mode_16_64 3
		.amdhsa_fp16_overflow 0
		.amdhsa_memory_ordered 1
		.amdhsa_forward_progress 1
		.amdhsa_inst_pref_size 0
		.amdhsa_round_robin_scheduling 0
		.amdhsa_exception_fp_ieee_invalid_op 0
		.amdhsa_exception_fp_denorm_src 0
		.amdhsa_exception_fp_ieee_div_zero 0
		.amdhsa_exception_fp_ieee_overflow 0
		.amdhsa_exception_fp_ieee_underflow 0
		.amdhsa_exception_fp_ieee_inexact 0
		.amdhsa_exception_int_div_zero 0
	.end_amdhsa_kernel
	.section	.text._ZN7rocprim17ROCPRIM_400000_NS6detail17trampoline_kernelINS0_13kernel_configILj256ELj4ELj4294967295EEENS1_37radix_sort_block_sort_config_selectorItNS0_10empty_typeEEEZNS1_21radix_sort_block_sortIS4_Lb0EPKtPtPS6_SC_NS0_19identity_decomposerEEE10hipError_tT1_T2_T3_T4_jRjT5_jjP12ihipStream_tbEUlT_E_NS1_11comp_targetILNS1_3genE9ELNS1_11target_archE1100ELNS1_3gpuE3ELNS1_3repE0EEENS1_44radix_sort_block_sort_config_static_selectorELNS0_4arch9wavefront6targetE0EEEvSF_,"axG",@progbits,_ZN7rocprim17ROCPRIM_400000_NS6detail17trampoline_kernelINS0_13kernel_configILj256ELj4ELj4294967295EEENS1_37radix_sort_block_sort_config_selectorItNS0_10empty_typeEEEZNS1_21radix_sort_block_sortIS4_Lb0EPKtPtPS6_SC_NS0_19identity_decomposerEEE10hipError_tT1_T2_T3_T4_jRjT5_jjP12ihipStream_tbEUlT_E_NS1_11comp_targetILNS1_3genE9ELNS1_11target_archE1100ELNS1_3gpuE3ELNS1_3repE0EEENS1_44radix_sort_block_sort_config_static_selectorELNS0_4arch9wavefront6targetE0EEEvSF_,comdat
.Lfunc_end2429:
	.size	_ZN7rocprim17ROCPRIM_400000_NS6detail17trampoline_kernelINS0_13kernel_configILj256ELj4ELj4294967295EEENS1_37radix_sort_block_sort_config_selectorItNS0_10empty_typeEEEZNS1_21radix_sort_block_sortIS4_Lb0EPKtPtPS6_SC_NS0_19identity_decomposerEEE10hipError_tT1_T2_T3_T4_jRjT5_jjP12ihipStream_tbEUlT_E_NS1_11comp_targetILNS1_3genE9ELNS1_11target_archE1100ELNS1_3gpuE3ELNS1_3repE0EEENS1_44radix_sort_block_sort_config_static_selectorELNS0_4arch9wavefront6targetE0EEEvSF_, .Lfunc_end2429-_ZN7rocprim17ROCPRIM_400000_NS6detail17trampoline_kernelINS0_13kernel_configILj256ELj4ELj4294967295EEENS1_37radix_sort_block_sort_config_selectorItNS0_10empty_typeEEEZNS1_21radix_sort_block_sortIS4_Lb0EPKtPtPS6_SC_NS0_19identity_decomposerEEE10hipError_tT1_T2_T3_T4_jRjT5_jjP12ihipStream_tbEUlT_E_NS1_11comp_targetILNS1_3genE9ELNS1_11target_archE1100ELNS1_3gpuE3ELNS1_3repE0EEENS1_44radix_sort_block_sort_config_static_selectorELNS0_4arch9wavefront6targetE0EEEvSF_
                                        ; -- End function
	.set _ZN7rocprim17ROCPRIM_400000_NS6detail17trampoline_kernelINS0_13kernel_configILj256ELj4ELj4294967295EEENS1_37radix_sort_block_sort_config_selectorItNS0_10empty_typeEEEZNS1_21radix_sort_block_sortIS4_Lb0EPKtPtPS6_SC_NS0_19identity_decomposerEEE10hipError_tT1_T2_T3_T4_jRjT5_jjP12ihipStream_tbEUlT_E_NS1_11comp_targetILNS1_3genE9ELNS1_11target_archE1100ELNS1_3gpuE3ELNS1_3repE0EEENS1_44radix_sort_block_sort_config_static_selectorELNS0_4arch9wavefront6targetE0EEEvSF_.num_vgpr, 0
	.set _ZN7rocprim17ROCPRIM_400000_NS6detail17trampoline_kernelINS0_13kernel_configILj256ELj4ELj4294967295EEENS1_37radix_sort_block_sort_config_selectorItNS0_10empty_typeEEEZNS1_21radix_sort_block_sortIS4_Lb0EPKtPtPS6_SC_NS0_19identity_decomposerEEE10hipError_tT1_T2_T3_T4_jRjT5_jjP12ihipStream_tbEUlT_E_NS1_11comp_targetILNS1_3genE9ELNS1_11target_archE1100ELNS1_3gpuE3ELNS1_3repE0EEENS1_44radix_sort_block_sort_config_static_selectorELNS0_4arch9wavefront6targetE0EEEvSF_.num_agpr, 0
	.set _ZN7rocprim17ROCPRIM_400000_NS6detail17trampoline_kernelINS0_13kernel_configILj256ELj4ELj4294967295EEENS1_37radix_sort_block_sort_config_selectorItNS0_10empty_typeEEEZNS1_21radix_sort_block_sortIS4_Lb0EPKtPtPS6_SC_NS0_19identity_decomposerEEE10hipError_tT1_T2_T3_T4_jRjT5_jjP12ihipStream_tbEUlT_E_NS1_11comp_targetILNS1_3genE9ELNS1_11target_archE1100ELNS1_3gpuE3ELNS1_3repE0EEENS1_44radix_sort_block_sort_config_static_selectorELNS0_4arch9wavefront6targetE0EEEvSF_.numbered_sgpr, 0
	.set _ZN7rocprim17ROCPRIM_400000_NS6detail17trampoline_kernelINS0_13kernel_configILj256ELj4ELj4294967295EEENS1_37radix_sort_block_sort_config_selectorItNS0_10empty_typeEEEZNS1_21radix_sort_block_sortIS4_Lb0EPKtPtPS6_SC_NS0_19identity_decomposerEEE10hipError_tT1_T2_T3_T4_jRjT5_jjP12ihipStream_tbEUlT_E_NS1_11comp_targetILNS1_3genE9ELNS1_11target_archE1100ELNS1_3gpuE3ELNS1_3repE0EEENS1_44radix_sort_block_sort_config_static_selectorELNS0_4arch9wavefront6targetE0EEEvSF_.num_named_barrier, 0
	.set _ZN7rocprim17ROCPRIM_400000_NS6detail17trampoline_kernelINS0_13kernel_configILj256ELj4ELj4294967295EEENS1_37radix_sort_block_sort_config_selectorItNS0_10empty_typeEEEZNS1_21radix_sort_block_sortIS4_Lb0EPKtPtPS6_SC_NS0_19identity_decomposerEEE10hipError_tT1_T2_T3_T4_jRjT5_jjP12ihipStream_tbEUlT_E_NS1_11comp_targetILNS1_3genE9ELNS1_11target_archE1100ELNS1_3gpuE3ELNS1_3repE0EEENS1_44radix_sort_block_sort_config_static_selectorELNS0_4arch9wavefront6targetE0EEEvSF_.private_seg_size, 0
	.set _ZN7rocprim17ROCPRIM_400000_NS6detail17trampoline_kernelINS0_13kernel_configILj256ELj4ELj4294967295EEENS1_37radix_sort_block_sort_config_selectorItNS0_10empty_typeEEEZNS1_21radix_sort_block_sortIS4_Lb0EPKtPtPS6_SC_NS0_19identity_decomposerEEE10hipError_tT1_T2_T3_T4_jRjT5_jjP12ihipStream_tbEUlT_E_NS1_11comp_targetILNS1_3genE9ELNS1_11target_archE1100ELNS1_3gpuE3ELNS1_3repE0EEENS1_44radix_sort_block_sort_config_static_selectorELNS0_4arch9wavefront6targetE0EEEvSF_.uses_vcc, 0
	.set _ZN7rocprim17ROCPRIM_400000_NS6detail17trampoline_kernelINS0_13kernel_configILj256ELj4ELj4294967295EEENS1_37radix_sort_block_sort_config_selectorItNS0_10empty_typeEEEZNS1_21radix_sort_block_sortIS4_Lb0EPKtPtPS6_SC_NS0_19identity_decomposerEEE10hipError_tT1_T2_T3_T4_jRjT5_jjP12ihipStream_tbEUlT_E_NS1_11comp_targetILNS1_3genE9ELNS1_11target_archE1100ELNS1_3gpuE3ELNS1_3repE0EEENS1_44radix_sort_block_sort_config_static_selectorELNS0_4arch9wavefront6targetE0EEEvSF_.uses_flat_scratch, 0
	.set _ZN7rocprim17ROCPRIM_400000_NS6detail17trampoline_kernelINS0_13kernel_configILj256ELj4ELj4294967295EEENS1_37radix_sort_block_sort_config_selectorItNS0_10empty_typeEEEZNS1_21radix_sort_block_sortIS4_Lb0EPKtPtPS6_SC_NS0_19identity_decomposerEEE10hipError_tT1_T2_T3_T4_jRjT5_jjP12ihipStream_tbEUlT_E_NS1_11comp_targetILNS1_3genE9ELNS1_11target_archE1100ELNS1_3gpuE3ELNS1_3repE0EEENS1_44radix_sort_block_sort_config_static_selectorELNS0_4arch9wavefront6targetE0EEEvSF_.has_dyn_sized_stack, 0
	.set _ZN7rocprim17ROCPRIM_400000_NS6detail17trampoline_kernelINS0_13kernel_configILj256ELj4ELj4294967295EEENS1_37radix_sort_block_sort_config_selectorItNS0_10empty_typeEEEZNS1_21radix_sort_block_sortIS4_Lb0EPKtPtPS6_SC_NS0_19identity_decomposerEEE10hipError_tT1_T2_T3_T4_jRjT5_jjP12ihipStream_tbEUlT_E_NS1_11comp_targetILNS1_3genE9ELNS1_11target_archE1100ELNS1_3gpuE3ELNS1_3repE0EEENS1_44radix_sort_block_sort_config_static_selectorELNS0_4arch9wavefront6targetE0EEEvSF_.has_recursion, 0
	.set _ZN7rocprim17ROCPRIM_400000_NS6detail17trampoline_kernelINS0_13kernel_configILj256ELj4ELj4294967295EEENS1_37radix_sort_block_sort_config_selectorItNS0_10empty_typeEEEZNS1_21radix_sort_block_sortIS4_Lb0EPKtPtPS6_SC_NS0_19identity_decomposerEEE10hipError_tT1_T2_T3_T4_jRjT5_jjP12ihipStream_tbEUlT_E_NS1_11comp_targetILNS1_3genE9ELNS1_11target_archE1100ELNS1_3gpuE3ELNS1_3repE0EEENS1_44radix_sort_block_sort_config_static_selectorELNS0_4arch9wavefront6targetE0EEEvSF_.has_indirect_call, 0
	.section	.AMDGPU.csdata,"",@progbits
; Kernel info:
; codeLenInByte = 0
; TotalNumSgprs: 0
; NumVgprs: 0
; ScratchSize: 0
; MemoryBound: 0
; FloatMode: 240
; IeeeMode: 1
; LDSByteSize: 0 bytes/workgroup (compile time only)
; SGPRBlocks: 0
; VGPRBlocks: 0
; NumSGPRsForWavesPerEU: 1
; NumVGPRsForWavesPerEU: 1
; NamedBarCnt: 0
; Occupancy: 16
; WaveLimiterHint : 0
; COMPUTE_PGM_RSRC2:SCRATCH_EN: 0
; COMPUTE_PGM_RSRC2:USER_SGPR: 2
; COMPUTE_PGM_RSRC2:TRAP_HANDLER: 0
; COMPUTE_PGM_RSRC2:TGID_X_EN: 1
; COMPUTE_PGM_RSRC2:TGID_Y_EN: 0
; COMPUTE_PGM_RSRC2:TGID_Z_EN: 0
; COMPUTE_PGM_RSRC2:TIDIG_COMP_CNT: 0
	.section	.text._ZN7rocprim17ROCPRIM_400000_NS6detail17trampoline_kernelINS0_13kernel_configILj256ELj4ELj4294967295EEENS1_37radix_sort_block_sort_config_selectorItNS0_10empty_typeEEEZNS1_21radix_sort_block_sortIS4_Lb0EPKtPtPS6_SC_NS0_19identity_decomposerEEE10hipError_tT1_T2_T3_T4_jRjT5_jjP12ihipStream_tbEUlT_E_NS1_11comp_targetILNS1_3genE8ELNS1_11target_archE1030ELNS1_3gpuE2ELNS1_3repE0EEENS1_44radix_sort_block_sort_config_static_selectorELNS0_4arch9wavefront6targetE0EEEvSF_,"axG",@progbits,_ZN7rocprim17ROCPRIM_400000_NS6detail17trampoline_kernelINS0_13kernel_configILj256ELj4ELj4294967295EEENS1_37radix_sort_block_sort_config_selectorItNS0_10empty_typeEEEZNS1_21radix_sort_block_sortIS4_Lb0EPKtPtPS6_SC_NS0_19identity_decomposerEEE10hipError_tT1_T2_T3_T4_jRjT5_jjP12ihipStream_tbEUlT_E_NS1_11comp_targetILNS1_3genE8ELNS1_11target_archE1030ELNS1_3gpuE2ELNS1_3repE0EEENS1_44radix_sort_block_sort_config_static_selectorELNS0_4arch9wavefront6targetE0EEEvSF_,comdat
	.protected	_ZN7rocprim17ROCPRIM_400000_NS6detail17trampoline_kernelINS0_13kernel_configILj256ELj4ELj4294967295EEENS1_37radix_sort_block_sort_config_selectorItNS0_10empty_typeEEEZNS1_21radix_sort_block_sortIS4_Lb0EPKtPtPS6_SC_NS0_19identity_decomposerEEE10hipError_tT1_T2_T3_T4_jRjT5_jjP12ihipStream_tbEUlT_E_NS1_11comp_targetILNS1_3genE8ELNS1_11target_archE1030ELNS1_3gpuE2ELNS1_3repE0EEENS1_44radix_sort_block_sort_config_static_selectorELNS0_4arch9wavefront6targetE0EEEvSF_ ; -- Begin function _ZN7rocprim17ROCPRIM_400000_NS6detail17trampoline_kernelINS0_13kernel_configILj256ELj4ELj4294967295EEENS1_37radix_sort_block_sort_config_selectorItNS0_10empty_typeEEEZNS1_21radix_sort_block_sortIS4_Lb0EPKtPtPS6_SC_NS0_19identity_decomposerEEE10hipError_tT1_T2_T3_T4_jRjT5_jjP12ihipStream_tbEUlT_E_NS1_11comp_targetILNS1_3genE8ELNS1_11target_archE1030ELNS1_3gpuE2ELNS1_3repE0EEENS1_44radix_sort_block_sort_config_static_selectorELNS0_4arch9wavefront6targetE0EEEvSF_
	.globl	_ZN7rocprim17ROCPRIM_400000_NS6detail17trampoline_kernelINS0_13kernel_configILj256ELj4ELj4294967295EEENS1_37radix_sort_block_sort_config_selectorItNS0_10empty_typeEEEZNS1_21radix_sort_block_sortIS4_Lb0EPKtPtPS6_SC_NS0_19identity_decomposerEEE10hipError_tT1_T2_T3_T4_jRjT5_jjP12ihipStream_tbEUlT_E_NS1_11comp_targetILNS1_3genE8ELNS1_11target_archE1030ELNS1_3gpuE2ELNS1_3repE0EEENS1_44radix_sort_block_sort_config_static_selectorELNS0_4arch9wavefront6targetE0EEEvSF_
	.p2align	8
	.type	_ZN7rocprim17ROCPRIM_400000_NS6detail17trampoline_kernelINS0_13kernel_configILj256ELj4ELj4294967295EEENS1_37radix_sort_block_sort_config_selectorItNS0_10empty_typeEEEZNS1_21radix_sort_block_sortIS4_Lb0EPKtPtPS6_SC_NS0_19identity_decomposerEEE10hipError_tT1_T2_T3_T4_jRjT5_jjP12ihipStream_tbEUlT_E_NS1_11comp_targetILNS1_3genE8ELNS1_11target_archE1030ELNS1_3gpuE2ELNS1_3repE0EEENS1_44radix_sort_block_sort_config_static_selectorELNS0_4arch9wavefront6targetE0EEEvSF_,@function
_ZN7rocprim17ROCPRIM_400000_NS6detail17trampoline_kernelINS0_13kernel_configILj256ELj4ELj4294967295EEENS1_37radix_sort_block_sort_config_selectorItNS0_10empty_typeEEEZNS1_21radix_sort_block_sortIS4_Lb0EPKtPtPS6_SC_NS0_19identity_decomposerEEE10hipError_tT1_T2_T3_T4_jRjT5_jjP12ihipStream_tbEUlT_E_NS1_11comp_targetILNS1_3genE8ELNS1_11target_archE1030ELNS1_3gpuE2ELNS1_3repE0EEENS1_44radix_sort_block_sort_config_static_selectorELNS0_4arch9wavefront6targetE0EEEvSF_: ; @_ZN7rocprim17ROCPRIM_400000_NS6detail17trampoline_kernelINS0_13kernel_configILj256ELj4ELj4294967295EEENS1_37radix_sort_block_sort_config_selectorItNS0_10empty_typeEEEZNS1_21radix_sort_block_sortIS4_Lb0EPKtPtPS6_SC_NS0_19identity_decomposerEEE10hipError_tT1_T2_T3_T4_jRjT5_jjP12ihipStream_tbEUlT_E_NS1_11comp_targetILNS1_3genE8ELNS1_11target_archE1030ELNS1_3gpuE2ELNS1_3repE0EEENS1_44radix_sort_block_sort_config_static_selectorELNS0_4arch9wavefront6targetE0EEEvSF_
; %bb.0:
	.section	.rodata,"a",@progbits
	.p2align	6, 0x0
	.amdhsa_kernel _ZN7rocprim17ROCPRIM_400000_NS6detail17trampoline_kernelINS0_13kernel_configILj256ELj4ELj4294967295EEENS1_37radix_sort_block_sort_config_selectorItNS0_10empty_typeEEEZNS1_21radix_sort_block_sortIS4_Lb0EPKtPtPS6_SC_NS0_19identity_decomposerEEE10hipError_tT1_T2_T3_T4_jRjT5_jjP12ihipStream_tbEUlT_E_NS1_11comp_targetILNS1_3genE8ELNS1_11target_archE1030ELNS1_3gpuE2ELNS1_3repE0EEENS1_44radix_sort_block_sort_config_static_selectorELNS0_4arch9wavefront6targetE0EEEvSF_
		.amdhsa_group_segment_fixed_size 0
		.amdhsa_private_segment_fixed_size 0
		.amdhsa_kernarg_size 48
		.amdhsa_user_sgpr_count 2
		.amdhsa_user_sgpr_dispatch_ptr 0
		.amdhsa_user_sgpr_queue_ptr 0
		.amdhsa_user_sgpr_kernarg_segment_ptr 1
		.amdhsa_user_sgpr_dispatch_id 0
		.amdhsa_user_sgpr_kernarg_preload_length 0
		.amdhsa_user_sgpr_kernarg_preload_offset 0
		.amdhsa_user_sgpr_private_segment_size 0
		.amdhsa_wavefront_size32 1
		.amdhsa_uses_dynamic_stack 0
		.amdhsa_enable_private_segment 0
		.amdhsa_system_sgpr_workgroup_id_x 1
		.amdhsa_system_sgpr_workgroup_id_y 0
		.amdhsa_system_sgpr_workgroup_id_z 0
		.amdhsa_system_sgpr_workgroup_info 0
		.amdhsa_system_vgpr_workitem_id 0
		.amdhsa_next_free_vgpr 1
		.amdhsa_next_free_sgpr 1
		.amdhsa_named_barrier_count 0
		.amdhsa_reserve_vcc 0
		.amdhsa_float_round_mode_32 0
		.amdhsa_float_round_mode_16_64 0
		.amdhsa_float_denorm_mode_32 3
		.amdhsa_float_denorm_mode_16_64 3
		.amdhsa_fp16_overflow 0
		.amdhsa_memory_ordered 1
		.amdhsa_forward_progress 1
		.amdhsa_inst_pref_size 0
		.amdhsa_round_robin_scheduling 0
		.amdhsa_exception_fp_ieee_invalid_op 0
		.amdhsa_exception_fp_denorm_src 0
		.amdhsa_exception_fp_ieee_div_zero 0
		.amdhsa_exception_fp_ieee_overflow 0
		.amdhsa_exception_fp_ieee_underflow 0
		.amdhsa_exception_fp_ieee_inexact 0
		.amdhsa_exception_int_div_zero 0
	.end_amdhsa_kernel
	.section	.text._ZN7rocprim17ROCPRIM_400000_NS6detail17trampoline_kernelINS0_13kernel_configILj256ELj4ELj4294967295EEENS1_37radix_sort_block_sort_config_selectorItNS0_10empty_typeEEEZNS1_21radix_sort_block_sortIS4_Lb0EPKtPtPS6_SC_NS0_19identity_decomposerEEE10hipError_tT1_T2_T3_T4_jRjT5_jjP12ihipStream_tbEUlT_E_NS1_11comp_targetILNS1_3genE8ELNS1_11target_archE1030ELNS1_3gpuE2ELNS1_3repE0EEENS1_44radix_sort_block_sort_config_static_selectorELNS0_4arch9wavefront6targetE0EEEvSF_,"axG",@progbits,_ZN7rocprim17ROCPRIM_400000_NS6detail17trampoline_kernelINS0_13kernel_configILj256ELj4ELj4294967295EEENS1_37radix_sort_block_sort_config_selectorItNS0_10empty_typeEEEZNS1_21radix_sort_block_sortIS4_Lb0EPKtPtPS6_SC_NS0_19identity_decomposerEEE10hipError_tT1_T2_T3_T4_jRjT5_jjP12ihipStream_tbEUlT_E_NS1_11comp_targetILNS1_3genE8ELNS1_11target_archE1030ELNS1_3gpuE2ELNS1_3repE0EEENS1_44radix_sort_block_sort_config_static_selectorELNS0_4arch9wavefront6targetE0EEEvSF_,comdat
.Lfunc_end2430:
	.size	_ZN7rocprim17ROCPRIM_400000_NS6detail17trampoline_kernelINS0_13kernel_configILj256ELj4ELj4294967295EEENS1_37radix_sort_block_sort_config_selectorItNS0_10empty_typeEEEZNS1_21radix_sort_block_sortIS4_Lb0EPKtPtPS6_SC_NS0_19identity_decomposerEEE10hipError_tT1_T2_T3_T4_jRjT5_jjP12ihipStream_tbEUlT_E_NS1_11comp_targetILNS1_3genE8ELNS1_11target_archE1030ELNS1_3gpuE2ELNS1_3repE0EEENS1_44radix_sort_block_sort_config_static_selectorELNS0_4arch9wavefront6targetE0EEEvSF_, .Lfunc_end2430-_ZN7rocprim17ROCPRIM_400000_NS6detail17trampoline_kernelINS0_13kernel_configILj256ELj4ELj4294967295EEENS1_37radix_sort_block_sort_config_selectorItNS0_10empty_typeEEEZNS1_21radix_sort_block_sortIS4_Lb0EPKtPtPS6_SC_NS0_19identity_decomposerEEE10hipError_tT1_T2_T3_T4_jRjT5_jjP12ihipStream_tbEUlT_E_NS1_11comp_targetILNS1_3genE8ELNS1_11target_archE1030ELNS1_3gpuE2ELNS1_3repE0EEENS1_44radix_sort_block_sort_config_static_selectorELNS0_4arch9wavefront6targetE0EEEvSF_
                                        ; -- End function
	.set _ZN7rocprim17ROCPRIM_400000_NS6detail17trampoline_kernelINS0_13kernel_configILj256ELj4ELj4294967295EEENS1_37radix_sort_block_sort_config_selectorItNS0_10empty_typeEEEZNS1_21radix_sort_block_sortIS4_Lb0EPKtPtPS6_SC_NS0_19identity_decomposerEEE10hipError_tT1_T2_T3_T4_jRjT5_jjP12ihipStream_tbEUlT_E_NS1_11comp_targetILNS1_3genE8ELNS1_11target_archE1030ELNS1_3gpuE2ELNS1_3repE0EEENS1_44radix_sort_block_sort_config_static_selectorELNS0_4arch9wavefront6targetE0EEEvSF_.num_vgpr, 0
	.set _ZN7rocprim17ROCPRIM_400000_NS6detail17trampoline_kernelINS0_13kernel_configILj256ELj4ELj4294967295EEENS1_37radix_sort_block_sort_config_selectorItNS0_10empty_typeEEEZNS1_21radix_sort_block_sortIS4_Lb0EPKtPtPS6_SC_NS0_19identity_decomposerEEE10hipError_tT1_T2_T3_T4_jRjT5_jjP12ihipStream_tbEUlT_E_NS1_11comp_targetILNS1_3genE8ELNS1_11target_archE1030ELNS1_3gpuE2ELNS1_3repE0EEENS1_44radix_sort_block_sort_config_static_selectorELNS0_4arch9wavefront6targetE0EEEvSF_.num_agpr, 0
	.set _ZN7rocprim17ROCPRIM_400000_NS6detail17trampoline_kernelINS0_13kernel_configILj256ELj4ELj4294967295EEENS1_37radix_sort_block_sort_config_selectorItNS0_10empty_typeEEEZNS1_21radix_sort_block_sortIS4_Lb0EPKtPtPS6_SC_NS0_19identity_decomposerEEE10hipError_tT1_T2_T3_T4_jRjT5_jjP12ihipStream_tbEUlT_E_NS1_11comp_targetILNS1_3genE8ELNS1_11target_archE1030ELNS1_3gpuE2ELNS1_3repE0EEENS1_44radix_sort_block_sort_config_static_selectorELNS0_4arch9wavefront6targetE0EEEvSF_.numbered_sgpr, 0
	.set _ZN7rocprim17ROCPRIM_400000_NS6detail17trampoline_kernelINS0_13kernel_configILj256ELj4ELj4294967295EEENS1_37radix_sort_block_sort_config_selectorItNS0_10empty_typeEEEZNS1_21radix_sort_block_sortIS4_Lb0EPKtPtPS6_SC_NS0_19identity_decomposerEEE10hipError_tT1_T2_T3_T4_jRjT5_jjP12ihipStream_tbEUlT_E_NS1_11comp_targetILNS1_3genE8ELNS1_11target_archE1030ELNS1_3gpuE2ELNS1_3repE0EEENS1_44radix_sort_block_sort_config_static_selectorELNS0_4arch9wavefront6targetE0EEEvSF_.num_named_barrier, 0
	.set _ZN7rocprim17ROCPRIM_400000_NS6detail17trampoline_kernelINS0_13kernel_configILj256ELj4ELj4294967295EEENS1_37radix_sort_block_sort_config_selectorItNS0_10empty_typeEEEZNS1_21radix_sort_block_sortIS4_Lb0EPKtPtPS6_SC_NS0_19identity_decomposerEEE10hipError_tT1_T2_T3_T4_jRjT5_jjP12ihipStream_tbEUlT_E_NS1_11comp_targetILNS1_3genE8ELNS1_11target_archE1030ELNS1_3gpuE2ELNS1_3repE0EEENS1_44radix_sort_block_sort_config_static_selectorELNS0_4arch9wavefront6targetE0EEEvSF_.private_seg_size, 0
	.set _ZN7rocprim17ROCPRIM_400000_NS6detail17trampoline_kernelINS0_13kernel_configILj256ELj4ELj4294967295EEENS1_37radix_sort_block_sort_config_selectorItNS0_10empty_typeEEEZNS1_21radix_sort_block_sortIS4_Lb0EPKtPtPS6_SC_NS0_19identity_decomposerEEE10hipError_tT1_T2_T3_T4_jRjT5_jjP12ihipStream_tbEUlT_E_NS1_11comp_targetILNS1_3genE8ELNS1_11target_archE1030ELNS1_3gpuE2ELNS1_3repE0EEENS1_44radix_sort_block_sort_config_static_selectorELNS0_4arch9wavefront6targetE0EEEvSF_.uses_vcc, 0
	.set _ZN7rocprim17ROCPRIM_400000_NS6detail17trampoline_kernelINS0_13kernel_configILj256ELj4ELj4294967295EEENS1_37radix_sort_block_sort_config_selectorItNS0_10empty_typeEEEZNS1_21radix_sort_block_sortIS4_Lb0EPKtPtPS6_SC_NS0_19identity_decomposerEEE10hipError_tT1_T2_T3_T4_jRjT5_jjP12ihipStream_tbEUlT_E_NS1_11comp_targetILNS1_3genE8ELNS1_11target_archE1030ELNS1_3gpuE2ELNS1_3repE0EEENS1_44radix_sort_block_sort_config_static_selectorELNS0_4arch9wavefront6targetE0EEEvSF_.uses_flat_scratch, 0
	.set _ZN7rocprim17ROCPRIM_400000_NS6detail17trampoline_kernelINS0_13kernel_configILj256ELj4ELj4294967295EEENS1_37radix_sort_block_sort_config_selectorItNS0_10empty_typeEEEZNS1_21radix_sort_block_sortIS4_Lb0EPKtPtPS6_SC_NS0_19identity_decomposerEEE10hipError_tT1_T2_T3_T4_jRjT5_jjP12ihipStream_tbEUlT_E_NS1_11comp_targetILNS1_3genE8ELNS1_11target_archE1030ELNS1_3gpuE2ELNS1_3repE0EEENS1_44radix_sort_block_sort_config_static_selectorELNS0_4arch9wavefront6targetE0EEEvSF_.has_dyn_sized_stack, 0
	.set _ZN7rocprim17ROCPRIM_400000_NS6detail17trampoline_kernelINS0_13kernel_configILj256ELj4ELj4294967295EEENS1_37radix_sort_block_sort_config_selectorItNS0_10empty_typeEEEZNS1_21radix_sort_block_sortIS4_Lb0EPKtPtPS6_SC_NS0_19identity_decomposerEEE10hipError_tT1_T2_T3_T4_jRjT5_jjP12ihipStream_tbEUlT_E_NS1_11comp_targetILNS1_3genE8ELNS1_11target_archE1030ELNS1_3gpuE2ELNS1_3repE0EEENS1_44radix_sort_block_sort_config_static_selectorELNS0_4arch9wavefront6targetE0EEEvSF_.has_recursion, 0
	.set _ZN7rocprim17ROCPRIM_400000_NS6detail17trampoline_kernelINS0_13kernel_configILj256ELj4ELj4294967295EEENS1_37radix_sort_block_sort_config_selectorItNS0_10empty_typeEEEZNS1_21radix_sort_block_sortIS4_Lb0EPKtPtPS6_SC_NS0_19identity_decomposerEEE10hipError_tT1_T2_T3_T4_jRjT5_jjP12ihipStream_tbEUlT_E_NS1_11comp_targetILNS1_3genE8ELNS1_11target_archE1030ELNS1_3gpuE2ELNS1_3repE0EEENS1_44radix_sort_block_sort_config_static_selectorELNS0_4arch9wavefront6targetE0EEEvSF_.has_indirect_call, 0
	.section	.AMDGPU.csdata,"",@progbits
; Kernel info:
; codeLenInByte = 0
; TotalNumSgprs: 0
; NumVgprs: 0
; ScratchSize: 0
; MemoryBound: 0
; FloatMode: 240
; IeeeMode: 1
; LDSByteSize: 0 bytes/workgroup (compile time only)
; SGPRBlocks: 0
; VGPRBlocks: 0
; NumSGPRsForWavesPerEU: 1
; NumVGPRsForWavesPerEU: 1
; NamedBarCnt: 0
; Occupancy: 16
; WaveLimiterHint : 0
; COMPUTE_PGM_RSRC2:SCRATCH_EN: 0
; COMPUTE_PGM_RSRC2:USER_SGPR: 2
; COMPUTE_PGM_RSRC2:TRAP_HANDLER: 0
; COMPUTE_PGM_RSRC2:TGID_X_EN: 1
; COMPUTE_PGM_RSRC2:TGID_Y_EN: 0
; COMPUTE_PGM_RSRC2:TGID_Z_EN: 0
; COMPUTE_PGM_RSRC2:TIDIG_COMP_CNT: 0
	.section	.text._ZN7rocprim17ROCPRIM_400000_NS6detail17trampoline_kernelINS0_14default_configENS1_38merge_sort_block_merge_config_selectorItNS0_10empty_typeEEEZZNS1_27merge_sort_block_merge_implIS3_PtPS5_jNS1_19radix_merge_compareILb0ELb0EtNS0_19identity_decomposerEEEEE10hipError_tT0_T1_T2_jT3_P12ihipStream_tbPNSt15iterator_traitsISE_E10value_typeEPNSK_ISF_E10value_typeEPSG_NS1_7vsmem_tEENKUlT_SE_SF_SG_E_clIS8_S8_S9_S9_EESD_ST_SE_SF_SG_EUlST_E_NS1_11comp_targetILNS1_3genE0ELNS1_11target_archE4294967295ELNS1_3gpuE0ELNS1_3repE0EEENS1_48merge_mergepath_partition_config_static_selectorELNS0_4arch9wavefront6targetE0EEEvSF_,"axG",@progbits,_ZN7rocprim17ROCPRIM_400000_NS6detail17trampoline_kernelINS0_14default_configENS1_38merge_sort_block_merge_config_selectorItNS0_10empty_typeEEEZZNS1_27merge_sort_block_merge_implIS3_PtPS5_jNS1_19radix_merge_compareILb0ELb0EtNS0_19identity_decomposerEEEEE10hipError_tT0_T1_T2_jT3_P12ihipStream_tbPNSt15iterator_traitsISE_E10value_typeEPNSK_ISF_E10value_typeEPSG_NS1_7vsmem_tEENKUlT_SE_SF_SG_E_clIS8_S8_S9_S9_EESD_ST_SE_SF_SG_EUlST_E_NS1_11comp_targetILNS1_3genE0ELNS1_11target_archE4294967295ELNS1_3gpuE0ELNS1_3repE0EEENS1_48merge_mergepath_partition_config_static_selectorELNS0_4arch9wavefront6targetE0EEEvSF_,comdat
	.protected	_ZN7rocprim17ROCPRIM_400000_NS6detail17trampoline_kernelINS0_14default_configENS1_38merge_sort_block_merge_config_selectorItNS0_10empty_typeEEEZZNS1_27merge_sort_block_merge_implIS3_PtPS5_jNS1_19radix_merge_compareILb0ELb0EtNS0_19identity_decomposerEEEEE10hipError_tT0_T1_T2_jT3_P12ihipStream_tbPNSt15iterator_traitsISE_E10value_typeEPNSK_ISF_E10value_typeEPSG_NS1_7vsmem_tEENKUlT_SE_SF_SG_E_clIS8_S8_S9_S9_EESD_ST_SE_SF_SG_EUlST_E_NS1_11comp_targetILNS1_3genE0ELNS1_11target_archE4294967295ELNS1_3gpuE0ELNS1_3repE0EEENS1_48merge_mergepath_partition_config_static_selectorELNS0_4arch9wavefront6targetE0EEEvSF_ ; -- Begin function _ZN7rocprim17ROCPRIM_400000_NS6detail17trampoline_kernelINS0_14default_configENS1_38merge_sort_block_merge_config_selectorItNS0_10empty_typeEEEZZNS1_27merge_sort_block_merge_implIS3_PtPS5_jNS1_19radix_merge_compareILb0ELb0EtNS0_19identity_decomposerEEEEE10hipError_tT0_T1_T2_jT3_P12ihipStream_tbPNSt15iterator_traitsISE_E10value_typeEPNSK_ISF_E10value_typeEPSG_NS1_7vsmem_tEENKUlT_SE_SF_SG_E_clIS8_S8_S9_S9_EESD_ST_SE_SF_SG_EUlST_E_NS1_11comp_targetILNS1_3genE0ELNS1_11target_archE4294967295ELNS1_3gpuE0ELNS1_3repE0EEENS1_48merge_mergepath_partition_config_static_selectorELNS0_4arch9wavefront6targetE0EEEvSF_
	.globl	_ZN7rocprim17ROCPRIM_400000_NS6detail17trampoline_kernelINS0_14default_configENS1_38merge_sort_block_merge_config_selectorItNS0_10empty_typeEEEZZNS1_27merge_sort_block_merge_implIS3_PtPS5_jNS1_19radix_merge_compareILb0ELb0EtNS0_19identity_decomposerEEEEE10hipError_tT0_T1_T2_jT3_P12ihipStream_tbPNSt15iterator_traitsISE_E10value_typeEPNSK_ISF_E10value_typeEPSG_NS1_7vsmem_tEENKUlT_SE_SF_SG_E_clIS8_S8_S9_S9_EESD_ST_SE_SF_SG_EUlST_E_NS1_11comp_targetILNS1_3genE0ELNS1_11target_archE4294967295ELNS1_3gpuE0ELNS1_3repE0EEENS1_48merge_mergepath_partition_config_static_selectorELNS0_4arch9wavefront6targetE0EEEvSF_
	.p2align	8
	.type	_ZN7rocprim17ROCPRIM_400000_NS6detail17trampoline_kernelINS0_14default_configENS1_38merge_sort_block_merge_config_selectorItNS0_10empty_typeEEEZZNS1_27merge_sort_block_merge_implIS3_PtPS5_jNS1_19radix_merge_compareILb0ELb0EtNS0_19identity_decomposerEEEEE10hipError_tT0_T1_T2_jT3_P12ihipStream_tbPNSt15iterator_traitsISE_E10value_typeEPNSK_ISF_E10value_typeEPSG_NS1_7vsmem_tEENKUlT_SE_SF_SG_E_clIS8_S8_S9_S9_EESD_ST_SE_SF_SG_EUlST_E_NS1_11comp_targetILNS1_3genE0ELNS1_11target_archE4294967295ELNS1_3gpuE0ELNS1_3repE0EEENS1_48merge_mergepath_partition_config_static_selectorELNS0_4arch9wavefront6targetE0EEEvSF_,@function
_ZN7rocprim17ROCPRIM_400000_NS6detail17trampoline_kernelINS0_14default_configENS1_38merge_sort_block_merge_config_selectorItNS0_10empty_typeEEEZZNS1_27merge_sort_block_merge_implIS3_PtPS5_jNS1_19radix_merge_compareILb0ELb0EtNS0_19identity_decomposerEEEEE10hipError_tT0_T1_T2_jT3_P12ihipStream_tbPNSt15iterator_traitsISE_E10value_typeEPNSK_ISF_E10value_typeEPSG_NS1_7vsmem_tEENKUlT_SE_SF_SG_E_clIS8_S8_S9_S9_EESD_ST_SE_SF_SG_EUlST_E_NS1_11comp_targetILNS1_3genE0ELNS1_11target_archE4294967295ELNS1_3gpuE0ELNS1_3repE0EEENS1_48merge_mergepath_partition_config_static_selectorELNS0_4arch9wavefront6targetE0EEEvSF_: ; @_ZN7rocprim17ROCPRIM_400000_NS6detail17trampoline_kernelINS0_14default_configENS1_38merge_sort_block_merge_config_selectorItNS0_10empty_typeEEEZZNS1_27merge_sort_block_merge_implIS3_PtPS5_jNS1_19radix_merge_compareILb0ELb0EtNS0_19identity_decomposerEEEEE10hipError_tT0_T1_T2_jT3_P12ihipStream_tbPNSt15iterator_traitsISE_E10value_typeEPNSK_ISF_E10value_typeEPSG_NS1_7vsmem_tEENKUlT_SE_SF_SG_E_clIS8_S8_S9_S9_EESD_ST_SE_SF_SG_EUlST_E_NS1_11comp_targetILNS1_3genE0ELNS1_11target_archE4294967295ELNS1_3gpuE0ELNS1_3repE0EEENS1_48merge_mergepath_partition_config_static_selectorELNS0_4arch9wavefront6targetE0EEEvSF_
; %bb.0:
	s_load_b32 s2, s[0:1], 0x0
	s_bfe_u32 s3, ttmp6, 0x4000c
	s_and_b32 s4, ttmp6, 15
	s_add_co_i32 s3, s3, 1
	s_getreg_b32 s5, hwreg(HW_REG_IB_STS2, 6, 4)
	s_mul_i32 s3, ttmp9, s3
	s_delay_alu instid0(SALU_CYCLE_1) | instskip(SKIP_2) | instid1(SALU_CYCLE_1)
	s_add_co_i32 s4, s4, s3
	s_cmp_eq_u32 s5, 0
	s_cselect_b32 s3, ttmp9, s4
	v_lshl_or_b32 v8, s3, 7, v0
	s_wait_kmcnt 0x0
	s_delay_alu instid0(VALU_DEP_1)
	v_cmp_gt_u32_e32 vcc_lo, s2, v8
	s_and_saveexec_b32 s2, vcc_lo
	s_cbranch_execz .LBB2431_6
; %bb.1:
	s_load_b64 s[2:3], s[0:1], 0x4
	s_wait_kmcnt 0x0
	s_lshr_b32 s4, s2, 9
	s_delay_alu instid0(SALU_CYCLE_1) | instskip(NEXT) | instid1(SALU_CYCLE_1)
	s_and_b32 s4, s4, 0x7ffffe
	s_sub_co_i32 s5, 0, s4
	s_add_co_i32 s4, s4, -1
	s_delay_alu instid0(SALU_CYCLE_1) | instskip(SKIP_2) | instid1(VALU_DEP_1)
	v_and_b32_e32 v1, s4, v8
	v_and_b32_e32 v0, s5, v8
	s_mov_b32 s4, exec_lo
	v_dual_lshlrev_b32 v1, 10, v1 :: v_dual_lshlrev_b32 v0, 10, v0
	s_delay_alu instid0(VALU_DEP_1) | instskip(SKIP_1) | instid1(VALU_DEP_2)
	v_add_min_u32_e64 v2, v0, s2, s3
	v_min_u32_e32 v0, s3, v0
	v_add_min_u32_e64 v3, v2, s2, s3
	s_load_b64 s[2:3], s[0:1], 0x20
	s_delay_alu instid0(VALU_DEP_1) | instskip(NEXT) | instid1(VALU_DEP_1)
	v_dual_sub_nc_u32 v4, v3, v0 :: v_dual_sub_nc_u32 v3, v3, v2
	v_min_u32_e32 v10, v4, v1
	v_sub_nc_u32_e32 v1, v2, v0
	s_delay_alu instid0(VALU_DEP_2) | instskip(NEXT) | instid1(VALU_DEP_2)
	v_sub_nc_u32_e64 v9, v10, v3 clamp
	v_min_u32_e32 v11, v10, v1
	s_delay_alu instid0(VALU_DEP_1)
	v_cmpx_lt_u32_e64 v9, v11
	s_cbranch_execz .LBB2431_5
; %bb.2:
	s_wait_xcnt 0x0
	s_load_b64 s[0:1], s[0:1], 0x10
	v_mov_b32_e32 v3, 0
	s_delay_alu instid0(VALU_DEP_1) | instskip(SKIP_1) | instid1(VALU_DEP_1)
	v_mov_b32_e32 v1, v3
	s_wait_kmcnt 0x0
	v_lshl_add_u64 v[4:5], v[0:1], 1, s[0:1]
	v_lshl_add_u64 v[6:7], v[2:3], 1, s[0:1]
	s_mov_b32 s0, 0
.LBB2431_3:                             ; =>This Inner Loop Header: Depth=1
	v_add_nc_u32_e32 v1, v11, v9
	s_delay_alu instid0(VALU_DEP_1) | instskip(SKIP_1) | instid1(VALU_DEP_2)
	v_dual_mov_b32 v13, v3 :: v_dual_lshrrev_b32 v16, 1, v1
	v_and_b32_e32 v2, -2, v1
	v_xad_u32 v12, v16, -1, v10
	s_delay_alu instid0(VALU_DEP_2) | instskip(NEXT) | instid1(VALU_DEP_2)
	v_add_nc_u64_e32 v[14:15], v[4:5], v[2:3]
	v_lshl_add_u64 v[12:13], v[12:13], 1, v[6:7]
	s_clause 0x1
	global_load_u16 v1, v[14:15], off
	global_load_u16 v2, v[12:13], off
	s_wait_xcnt 0x0
	v_add_nc_u32_e32 v12, 1, v16
	s_wait_loadcnt 0x0
	v_cmp_gt_u16_e32 vcc_lo, v1, v2
	s_delay_alu instid0(VALU_DEP_2) | instskip(NEXT) | instid1(VALU_DEP_1)
	v_dual_cndmask_b32 v11, v11, v16, vcc_lo :: v_dual_cndmask_b32 v9, v12, v9, vcc_lo
	v_cmp_ge_u32_e32 vcc_lo, v9, v11
	s_or_b32 s0, vcc_lo, s0
	s_delay_alu instid0(SALU_CYCLE_1)
	s_and_not1_b32 exec_lo, exec_lo, s0
	s_cbranch_execnz .LBB2431_3
; %bb.4:
	s_or_b32 exec_lo, exec_lo, s0
.LBB2431_5:
	s_delay_alu instid0(SALU_CYCLE_1)
	s_or_b32 exec_lo, exec_lo, s4
	v_add_nc_u32_e32 v0, v9, v0
	s_wait_kmcnt 0x0
	global_store_b32 v8, v0, s[2:3] scale_offset
.LBB2431_6:
	s_endpgm
	.section	.rodata,"a",@progbits
	.p2align	6, 0x0
	.amdhsa_kernel _ZN7rocprim17ROCPRIM_400000_NS6detail17trampoline_kernelINS0_14default_configENS1_38merge_sort_block_merge_config_selectorItNS0_10empty_typeEEEZZNS1_27merge_sort_block_merge_implIS3_PtPS5_jNS1_19radix_merge_compareILb0ELb0EtNS0_19identity_decomposerEEEEE10hipError_tT0_T1_T2_jT3_P12ihipStream_tbPNSt15iterator_traitsISE_E10value_typeEPNSK_ISF_E10value_typeEPSG_NS1_7vsmem_tEENKUlT_SE_SF_SG_E_clIS8_S8_S9_S9_EESD_ST_SE_SF_SG_EUlST_E_NS1_11comp_targetILNS1_3genE0ELNS1_11target_archE4294967295ELNS1_3gpuE0ELNS1_3repE0EEENS1_48merge_mergepath_partition_config_static_selectorELNS0_4arch9wavefront6targetE0EEEvSF_
		.amdhsa_group_segment_fixed_size 0
		.amdhsa_private_segment_fixed_size 0
		.amdhsa_kernarg_size 40
		.amdhsa_user_sgpr_count 2
		.amdhsa_user_sgpr_dispatch_ptr 0
		.amdhsa_user_sgpr_queue_ptr 0
		.amdhsa_user_sgpr_kernarg_segment_ptr 1
		.amdhsa_user_sgpr_dispatch_id 0
		.amdhsa_user_sgpr_kernarg_preload_length 0
		.amdhsa_user_sgpr_kernarg_preload_offset 0
		.amdhsa_user_sgpr_private_segment_size 0
		.amdhsa_wavefront_size32 1
		.amdhsa_uses_dynamic_stack 0
		.amdhsa_enable_private_segment 0
		.amdhsa_system_sgpr_workgroup_id_x 1
		.amdhsa_system_sgpr_workgroup_id_y 0
		.amdhsa_system_sgpr_workgroup_id_z 0
		.amdhsa_system_sgpr_workgroup_info 0
		.amdhsa_system_vgpr_workitem_id 0
		.amdhsa_next_free_vgpr 17
		.amdhsa_next_free_sgpr 6
		.amdhsa_named_barrier_count 0
		.amdhsa_reserve_vcc 1
		.amdhsa_float_round_mode_32 0
		.amdhsa_float_round_mode_16_64 0
		.amdhsa_float_denorm_mode_32 3
		.amdhsa_float_denorm_mode_16_64 3
		.amdhsa_fp16_overflow 0
		.amdhsa_memory_ordered 1
		.amdhsa_forward_progress 1
		.amdhsa_inst_pref_size 4
		.amdhsa_round_robin_scheduling 0
		.amdhsa_exception_fp_ieee_invalid_op 0
		.amdhsa_exception_fp_denorm_src 0
		.amdhsa_exception_fp_ieee_div_zero 0
		.amdhsa_exception_fp_ieee_overflow 0
		.amdhsa_exception_fp_ieee_underflow 0
		.amdhsa_exception_fp_ieee_inexact 0
		.amdhsa_exception_int_div_zero 0
	.end_amdhsa_kernel
	.section	.text._ZN7rocprim17ROCPRIM_400000_NS6detail17trampoline_kernelINS0_14default_configENS1_38merge_sort_block_merge_config_selectorItNS0_10empty_typeEEEZZNS1_27merge_sort_block_merge_implIS3_PtPS5_jNS1_19radix_merge_compareILb0ELb0EtNS0_19identity_decomposerEEEEE10hipError_tT0_T1_T2_jT3_P12ihipStream_tbPNSt15iterator_traitsISE_E10value_typeEPNSK_ISF_E10value_typeEPSG_NS1_7vsmem_tEENKUlT_SE_SF_SG_E_clIS8_S8_S9_S9_EESD_ST_SE_SF_SG_EUlST_E_NS1_11comp_targetILNS1_3genE0ELNS1_11target_archE4294967295ELNS1_3gpuE0ELNS1_3repE0EEENS1_48merge_mergepath_partition_config_static_selectorELNS0_4arch9wavefront6targetE0EEEvSF_,"axG",@progbits,_ZN7rocprim17ROCPRIM_400000_NS6detail17trampoline_kernelINS0_14default_configENS1_38merge_sort_block_merge_config_selectorItNS0_10empty_typeEEEZZNS1_27merge_sort_block_merge_implIS3_PtPS5_jNS1_19radix_merge_compareILb0ELb0EtNS0_19identity_decomposerEEEEE10hipError_tT0_T1_T2_jT3_P12ihipStream_tbPNSt15iterator_traitsISE_E10value_typeEPNSK_ISF_E10value_typeEPSG_NS1_7vsmem_tEENKUlT_SE_SF_SG_E_clIS8_S8_S9_S9_EESD_ST_SE_SF_SG_EUlST_E_NS1_11comp_targetILNS1_3genE0ELNS1_11target_archE4294967295ELNS1_3gpuE0ELNS1_3repE0EEENS1_48merge_mergepath_partition_config_static_selectorELNS0_4arch9wavefront6targetE0EEEvSF_,comdat
.Lfunc_end2431:
	.size	_ZN7rocprim17ROCPRIM_400000_NS6detail17trampoline_kernelINS0_14default_configENS1_38merge_sort_block_merge_config_selectorItNS0_10empty_typeEEEZZNS1_27merge_sort_block_merge_implIS3_PtPS5_jNS1_19radix_merge_compareILb0ELb0EtNS0_19identity_decomposerEEEEE10hipError_tT0_T1_T2_jT3_P12ihipStream_tbPNSt15iterator_traitsISE_E10value_typeEPNSK_ISF_E10value_typeEPSG_NS1_7vsmem_tEENKUlT_SE_SF_SG_E_clIS8_S8_S9_S9_EESD_ST_SE_SF_SG_EUlST_E_NS1_11comp_targetILNS1_3genE0ELNS1_11target_archE4294967295ELNS1_3gpuE0ELNS1_3repE0EEENS1_48merge_mergepath_partition_config_static_selectorELNS0_4arch9wavefront6targetE0EEEvSF_, .Lfunc_end2431-_ZN7rocprim17ROCPRIM_400000_NS6detail17trampoline_kernelINS0_14default_configENS1_38merge_sort_block_merge_config_selectorItNS0_10empty_typeEEEZZNS1_27merge_sort_block_merge_implIS3_PtPS5_jNS1_19radix_merge_compareILb0ELb0EtNS0_19identity_decomposerEEEEE10hipError_tT0_T1_T2_jT3_P12ihipStream_tbPNSt15iterator_traitsISE_E10value_typeEPNSK_ISF_E10value_typeEPSG_NS1_7vsmem_tEENKUlT_SE_SF_SG_E_clIS8_S8_S9_S9_EESD_ST_SE_SF_SG_EUlST_E_NS1_11comp_targetILNS1_3genE0ELNS1_11target_archE4294967295ELNS1_3gpuE0ELNS1_3repE0EEENS1_48merge_mergepath_partition_config_static_selectorELNS0_4arch9wavefront6targetE0EEEvSF_
                                        ; -- End function
	.set _ZN7rocprim17ROCPRIM_400000_NS6detail17trampoline_kernelINS0_14default_configENS1_38merge_sort_block_merge_config_selectorItNS0_10empty_typeEEEZZNS1_27merge_sort_block_merge_implIS3_PtPS5_jNS1_19radix_merge_compareILb0ELb0EtNS0_19identity_decomposerEEEEE10hipError_tT0_T1_T2_jT3_P12ihipStream_tbPNSt15iterator_traitsISE_E10value_typeEPNSK_ISF_E10value_typeEPSG_NS1_7vsmem_tEENKUlT_SE_SF_SG_E_clIS8_S8_S9_S9_EESD_ST_SE_SF_SG_EUlST_E_NS1_11comp_targetILNS1_3genE0ELNS1_11target_archE4294967295ELNS1_3gpuE0ELNS1_3repE0EEENS1_48merge_mergepath_partition_config_static_selectorELNS0_4arch9wavefront6targetE0EEEvSF_.num_vgpr, 17
	.set _ZN7rocprim17ROCPRIM_400000_NS6detail17trampoline_kernelINS0_14default_configENS1_38merge_sort_block_merge_config_selectorItNS0_10empty_typeEEEZZNS1_27merge_sort_block_merge_implIS3_PtPS5_jNS1_19radix_merge_compareILb0ELb0EtNS0_19identity_decomposerEEEEE10hipError_tT0_T1_T2_jT3_P12ihipStream_tbPNSt15iterator_traitsISE_E10value_typeEPNSK_ISF_E10value_typeEPSG_NS1_7vsmem_tEENKUlT_SE_SF_SG_E_clIS8_S8_S9_S9_EESD_ST_SE_SF_SG_EUlST_E_NS1_11comp_targetILNS1_3genE0ELNS1_11target_archE4294967295ELNS1_3gpuE0ELNS1_3repE0EEENS1_48merge_mergepath_partition_config_static_selectorELNS0_4arch9wavefront6targetE0EEEvSF_.num_agpr, 0
	.set _ZN7rocprim17ROCPRIM_400000_NS6detail17trampoline_kernelINS0_14default_configENS1_38merge_sort_block_merge_config_selectorItNS0_10empty_typeEEEZZNS1_27merge_sort_block_merge_implIS3_PtPS5_jNS1_19radix_merge_compareILb0ELb0EtNS0_19identity_decomposerEEEEE10hipError_tT0_T1_T2_jT3_P12ihipStream_tbPNSt15iterator_traitsISE_E10value_typeEPNSK_ISF_E10value_typeEPSG_NS1_7vsmem_tEENKUlT_SE_SF_SG_E_clIS8_S8_S9_S9_EESD_ST_SE_SF_SG_EUlST_E_NS1_11comp_targetILNS1_3genE0ELNS1_11target_archE4294967295ELNS1_3gpuE0ELNS1_3repE0EEENS1_48merge_mergepath_partition_config_static_selectorELNS0_4arch9wavefront6targetE0EEEvSF_.numbered_sgpr, 6
	.set _ZN7rocprim17ROCPRIM_400000_NS6detail17trampoline_kernelINS0_14default_configENS1_38merge_sort_block_merge_config_selectorItNS0_10empty_typeEEEZZNS1_27merge_sort_block_merge_implIS3_PtPS5_jNS1_19radix_merge_compareILb0ELb0EtNS0_19identity_decomposerEEEEE10hipError_tT0_T1_T2_jT3_P12ihipStream_tbPNSt15iterator_traitsISE_E10value_typeEPNSK_ISF_E10value_typeEPSG_NS1_7vsmem_tEENKUlT_SE_SF_SG_E_clIS8_S8_S9_S9_EESD_ST_SE_SF_SG_EUlST_E_NS1_11comp_targetILNS1_3genE0ELNS1_11target_archE4294967295ELNS1_3gpuE0ELNS1_3repE0EEENS1_48merge_mergepath_partition_config_static_selectorELNS0_4arch9wavefront6targetE0EEEvSF_.num_named_barrier, 0
	.set _ZN7rocprim17ROCPRIM_400000_NS6detail17trampoline_kernelINS0_14default_configENS1_38merge_sort_block_merge_config_selectorItNS0_10empty_typeEEEZZNS1_27merge_sort_block_merge_implIS3_PtPS5_jNS1_19radix_merge_compareILb0ELb0EtNS0_19identity_decomposerEEEEE10hipError_tT0_T1_T2_jT3_P12ihipStream_tbPNSt15iterator_traitsISE_E10value_typeEPNSK_ISF_E10value_typeEPSG_NS1_7vsmem_tEENKUlT_SE_SF_SG_E_clIS8_S8_S9_S9_EESD_ST_SE_SF_SG_EUlST_E_NS1_11comp_targetILNS1_3genE0ELNS1_11target_archE4294967295ELNS1_3gpuE0ELNS1_3repE0EEENS1_48merge_mergepath_partition_config_static_selectorELNS0_4arch9wavefront6targetE0EEEvSF_.private_seg_size, 0
	.set _ZN7rocprim17ROCPRIM_400000_NS6detail17trampoline_kernelINS0_14default_configENS1_38merge_sort_block_merge_config_selectorItNS0_10empty_typeEEEZZNS1_27merge_sort_block_merge_implIS3_PtPS5_jNS1_19radix_merge_compareILb0ELb0EtNS0_19identity_decomposerEEEEE10hipError_tT0_T1_T2_jT3_P12ihipStream_tbPNSt15iterator_traitsISE_E10value_typeEPNSK_ISF_E10value_typeEPSG_NS1_7vsmem_tEENKUlT_SE_SF_SG_E_clIS8_S8_S9_S9_EESD_ST_SE_SF_SG_EUlST_E_NS1_11comp_targetILNS1_3genE0ELNS1_11target_archE4294967295ELNS1_3gpuE0ELNS1_3repE0EEENS1_48merge_mergepath_partition_config_static_selectorELNS0_4arch9wavefront6targetE0EEEvSF_.uses_vcc, 1
	.set _ZN7rocprim17ROCPRIM_400000_NS6detail17trampoline_kernelINS0_14default_configENS1_38merge_sort_block_merge_config_selectorItNS0_10empty_typeEEEZZNS1_27merge_sort_block_merge_implIS3_PtPS5_jNS1_19radix_merge_compareILb0ELb0EtNS0_19identity_decomposerEEEEE10hipError_tT0_T1_T2_jT3_P12ihipStream_tbPNSt15iterator_traitsISE_E10value_typeEPNSK_ISF_E10value_typeEPSG_NS1_7vsmem_tEENKUlT_SE_SF_SG_E_clIS8_S8_S9_S9_EESD_ST_SE_SF_SG_EUlST_E_NS1_11comp_targetILNS1_3genE0ELNS1_11target_archE4294967295ELNS1_3gpuE0ELNS1_3repE0EEENS1_48merge_mergepath_partition_config_static_selectorELNS0_4arch9wavefront6targetE0EEEvSF_.uses_flat_scratch, 0
	.set _ZN7rocprim17ROCPRIM_400000_NS6detail17trampoline_kernelINS0_14default_configENS1_38merge_sort_block_merge_config_selectorItNS0_10empty_typeEEEZZNS1_27merge_sort_block_merge_implIS3_PtPS5_jNS1_19radix_merge_compareILb0ELb0EtNS0_19identity_decomposerEEEEE10hipError_tT0_T1_T2_jT3_P12ihipStream_tbPNSt15iterator_traitsISE_E10value_typeEPNSK_ISF_E10value_typeEPSG_NS1_7vsmem_tEENKUlT_SE_SF_SG_E_clIS8_S8_S9_S9_EESD_ST_SE_SF_SG_EUlST_E_NS1_11comp_targetILNS1_3genE0ELNS1_11target_archE4294967295ELNS1_3gpuE0ELNS1_3repE0EEENS1_48merge_mergepath_partition_config_static_selectorELNS0_4arch9wavefront6targetE0EEEvSF_.has_dyn_sized_stack, 0
	.set _ZN7rocprim17ROCPRIM_400000_NS6detail17trampoline_kernelINS0_14default_configENS1_38merge_sort_block_merge_config_selectorItNS0_10empty_typeEEEZZNS1_27merge_sort_block_merge_implIS3_PtPS5_jNS1_19radix_merge_compareILb0ELb0EtNS0_19identity_decomposerEEEEE10hipError_tT0_T1_T2_jT3_P12ihipStream_tbPNSt15iterator_traitsISE_E10value_typeEPNSK_ISF_E10value_typeEPSG_NS1_7vsmem_tEENKUlT_SE_SF_SG_E_clIS8_S8_S9_S9_EESD_ST_SE_SF_SG_EUlST_E_NS1_11comp_targetILNS1_3genE0ELNS1_11target_archE4294967295ELNS1_3gpuE0ELNS1_3repE0EEENS1_48merge_mergepath_partition_config_static_selectorELNS0_4arch9wavefront6targetE0EEEvSF_.has_recursion, 0
	.set _ZN7rocprim17ROCPRIM_400000_NS6detail17trampoline_kernelINS0_14default_configENS1_38merge_sort_block_merge_config_selectorItNS0_10empty_typeEEEZZNS1_27merge_sort_block_merge_implIS3_PtPS5_jNS1_19radix_merge_compareILb0ELb0EtNS0_19identity_decomposerEEEEE10hipError_tT0_T1_T2_jT3_P12ihipStream_tbPNSt15iterator_traitsISE_E10value_typeEPNSK_ISF_E10value_typeEPSG_NS1_7vsmem_tEENKUlT_SE_SF_SG_E_clIS8_S8_S9_S9_EESD_ST_SE_SF_SG_EUlST_E_NS1_11comp_targetILNS1_3genE0ELNS1_11target_archE4294967295ELNS1_3gpuE0ELNS1_3repE0EEENS1_48merge_mergepath_partition_config_static_selectorELNS0_4arch9wavefront6targetE0EEEvSF_.has_indirect_call, 0
	.section	.AMDGPU.csdata,"",@progbits
; Kernel info:
; codeLenInByte = 436
; TotalNumSgprs: 8
; NumVgprs: 17
; ScratchSize: 0
; MemoryBound: 0
; FloatMode: 240
; IeeeMode: 1
; LDSByteSize: 0 bytes/workgroup (compile time only)
; SGPRBlocks: 0
; VGPRBlocks: 1
; NumSGPRsForWavesPerEU: 8
; NumVGPRsForWavesPerEU: 17
; NamedBarCnt: 0
; Occupancy: 16
; WaveLimiterHint : 0
; COMPUTE_PGM_RSRC2:SCRATCH_EN: 0
; COMPUTE_PGM_RSRC2:USER_SGPR: 2
; COMPUTE_PGM_RSRC2:TRAP_HANDLER: 0
; COMPUTE_PGM_RSRC2:TGID_X_EN: 1
; COMPUTE_PGM_RSRC2:TGID_Y_EN: 0
; COMPUTE_PGM_RSRC2:TGID_Z_EN: 0
; COMPUTE_PGM_RSRC2:TIDIG_COMP_CNT: 0
	.section	.text._ZN7rocprim17ROCPRIM_400000_NS6detail17trampoline_kernelINS0_14default_configENS1_38merge_sort_block_merge_config_selectorItNS0_10empty_typeEEEZZNS1_27merge_sort_block_merge_implIS3_PtPS5_jNS1_19radix_merge_compareILb0ELb0EtNS0_19identity_decomposerEEEEE10hipError_tT0_T1_T2_jT3_P12ihipStream_tbPNSt15iterator_traitsISE_E10value_typeEPNSK_ISF_E10value_typeEPSG_NS1_7vsmem_tEENKUlT_SE_SF_SG_E_clIS8_S8_S9_S9_EESD_ST_SE_SF_SG_EUlST_E_NS1_11comp_targetILNS1_3genE10ELNS1_11target_archE1201ELNS1_3gpuE5ELNS1_3repE0EEENS1_48merge_mergepath_partition_config_static_selectorELNS0_4arch9wavefront6targetE0EEEvSF_,"axG",@progbits,_ZN7rocprim17ROCPRIM_400000_NS6detail17trampoline_kernelINS0_14default_configENS1_38merge_sort_block_merge_config_selectorItNS0_10empty_typeEEEZZNS1_27merge_sort_block_merge_implIS3_PtPS5_jNS1_19radix_merge_compareILb0ELb0EtNS0_19identity_decomposerEEEEE10hipError_tT0_T1_T2_jT3_P12ihipStream_tbPNSt15iterator_traitsISE_E10value_typeEPNSK_ISF_E10value_typeEPSG_NS1_7vsmem_tEENKUlT_SE_SF_SG_E_clIS8_S8_S9_S9_EESD_ST_SE_SF_SG_EUlST_E_NS1_11comp_targetILNS1_3genE10ELNS1_11target_archE1201ELNS1_3gpuE5ELNS1_3repE0EEENS1_48merge_mergepath_partition_config_static_selectorELNS0_4arch9wavefront6targetE0EEEvSF_,comdat
	.protected	_ZN7rocprim17ROCPRIM_400000_NS6detail17trampoline_kernelINS0_14default_configENS1_38merge_sort_block_merge_config_selectorItNS0_10empty_typeEEEZZNS1_27merge_sort_block_merge_implIS3_PtPS5_jNS1_19radix_merge_compareILb0ELb0EtNS0_19identity_decomposerEEEEE10hipError_tT0_T1_T2_jT3_P12ihipStream_tbPNSt15iterator_traitsISE_E10value_typeEPNSK_ISF_E10value_typeEPSG_NS1_7vsmem_tEENKUlT_SE_SF_SG_E_clIS8_S8_S9_S9_EESD_ST_SE_SF_SG_EUlST_E_NS1_11comp_targetILNS1_3genE10ELNS1_11target_archE1201ELNS1_3gpuE5ELNS1_3repE0EEENS1_48merge_mergepath_partition_config_static_selectorELNS0_4arch9wavefront6targetE0EEEvSF_ ; -- Begin function _ZN7rocprim17ROCPRIM_400000_NS6detail17trampoline_kernelINS0_14default_configENS1_38merge_sort_block_merge_config_selectorItNS0_10empty_typeEEEZZNS1_27merge_sort_block_merge_implIS3_PtPS5_jNS1_19radix_merge_compareILb0ELb0EtNS0_19identity_decomposerEEEEE10hipError_tT0_T1_T2_jT3_P12ihipStream_tbPNSt15iterator_traitsISE_E10value_typeEPNSK_ISF_E10value_typeEPSG_NS1_7vsmem_tEENKUlT_SE_SF_SG_E_clIS8_S8_S9_S9_EESD_ST_SE_SF_SG_EUlST_E_NS1_11comp_targetILNS1_3genE10ELNS1_11target_archE1201ELNS1_3gpuE5ELNS1_3repE0EEENS1_48merge_mergepath_partition_config_static_selectorELNS0_4arch9wavefront6targetE0EEEvSF_
	.globl	_ZN7rocprim17ROCPRIM_400000_NS6detail17trampoline_kernelINS0_14default_configENS1_38merge_sort_block_merge_config_selectorItNS0_10empty_typeEEEZZNS1_27merge_sort_block_merge_implIS3_PtPS5_jNS1_19radix_merge_compareILb0ELb0EtNS0_19identity_decomposerEEEEE10hipError_tT0_T1_T2_jT3_P12ihipStream_tbPNSt15iterator_traitsISE_E10value_typeEPNSK_ISF_E10value_typeEPSG_NS1_7vsmem_tEENKUlT_SE_SF_SG_E_clIS8_S8_S9_S9_EESD_ST_SE_SF_SG_EUlST_E_NS1_11comp_targetILNS1_3genE10ELNS1_11target_archE1201ELNS1_3gpuE5ELNS1_3repE0EEENS1_48merge_mergepath_partition_config_static_selectorELNS0_4arch9wavefront6targetE0EEEvSF_
	.p2align	8
	.type	_ZN7rocprim17ROCPRIM_400000_NS6detail17trampoline_kernelINS0_14default_configENS1_38merge_sort_block_merge_config_selectorItNS0_10empty_typeEEEZZNS1_27merge_sort_block_merge_implIS3_PtPS5_jNS1_19radix_merge_compareILb0ELb0EtNS0_19identity_decomposerEEEEE10hipError_tT0_T1_T2_jT3_P12ihipStream_tbPNSt15iterator_traitsISE_E10value_typeEPNSK_ISF_E10value_typeEPSG_NS1_7vsmem_tEENKUlT_SE_SF_SG_E_clIS8_S8_S9_S9_EESD_ST_SE_SF_SG_EUlST_E_NS1_11comp_targetILNS1_3genE10ELNS1_11target_archE1201ELNS1_3gpuE5ELNS1_3repE0EEENS1_48merge_mergepath_partition_config_static_selectorELNS0_4arch9wavefront6targetE0EEEvSF_,@function
_ZN7rocprim17ROCPRIM_400000_NS6detail17trampoline_kernelINS0_14default_configENS1_38merge_sort_block_merge_config_selectorItNS0_10empty_typeEEEZZNS1_27merge_sort_block_merge_implIS3_PtPS5_jNS1_19radix_merge_compareILb0ELb0EtNS0_19identity_decomposerEEEEE10hipError_tT0_T1_T2_jT3_P12ihipStream_tbPNSt15iterator_traitsISE_E10value_typeEPNSK_ISF_E10value_typeEPSG_NS1_7vsmem_tEENKUlT_SE_SF_SG_E_clIS8_S8_S9_S9_EESD_ST_SE_SF_SG_EUlST_E_NS1_11comp_targetILNS1_3genE10ELNS1_11target_archE1201ELNS1_3gpuE5ELNS1_3repE0EEENS1_48merge_mergepath_partition_config_static_selectorELNS0_4arch9wavefront6targetE0EEEvSF_: ; @_ZN7rocprim17ROCPRIM_400000_NS6detail17trampoline_kernelINS0_14default_configENS1_38merge_sort_block_merge_config_selectorItNS0_10empty_typeEEEZZNS1_27merge_sort_block_merge_implIS3_PtPS5_jNS1_19radix_merge_compareILb0ELb0EtNS0_19identity_decomposerEEEEE10hipError_tT0_T1_T2_jT3_P12ihipStream_tbPNSt15iterator_traitsISE_E10value_typeEPNSK_ISF_E10value_typeEPSG_NS1_7vsmem_tEENKUlT_SE_SF_SG_E_clIS8_S8_S9_S9_EESD_ST_SE_SF_SG_EUlST_E_NS1_11comp_targetILNS1_3genE10ELNS1_11target_archE1201ELNS1_3gpuE5ELNS1_3repE0EEENS1_48merge_mergepath_partition_config_static_selectorELNS0_4arch9wavefront6targetE0EEEvSF_
; %bb.0:
	.section	.rodata,"a",@progbits
	.p2align	6, 0x0
	.amdhsa_kernel _ZN7rocprim17ROCPRIM_400000_NS6detail17trampoline_kernelINS0_14default_configENS1_38merge_sort_block_merge_config_selectorItNS0_10empty_typeEEEZZNS1_27merge_sort_block_merge_implIS3_PtPS5_jNS1_19radix_merge_compareILb0ELb0EtNS0_19identity_decomposerEEEEE10hipError_tT0_T1_T2_jT3_P12ihipStream_tbPNSt15iterator_traitsISE_E10value_typeEPNSK_ISF_E10value_typeEPSG_NS1_7vsmem_tEENKUlT_SE_SF_SG_E_clIS8_S8_S9_S9_EESD_ST_SE_SF_SG_EUlST_E_NS1_11comp_targetILNS1_3genE10ELNS1_11target_archE1201ELNS1_3gpuE5ELNS1_3repE0EEENS1_48merge_mergepath_partition_config_static_selectorELNS0_4arch9wavefront6targetE0EEEvSF_
		.amdhsa_group_segment_fixed_size 0
		.amdhsa_private_segment_fixed_size 0
		.amdhsa_kernarg_size 40
		.amdhsa_user_sgpr_count 2
		.amdhsa_user_sgpr_dispatch_ptr 0
		.amdhsa_user_sgpr_queue_ptr 0
		.amdhsa_user_sgpr_kernarg_segment_ptr 1
		.amdhsa_user_sgpr_dispatch_id 0
		.amdhsa_user_sgpr_kernarg_preload_length 0
		.amdhsa_user_sgpr_kernarg_preload_offset 0
		.amdhsa_user_sgpr_private_segment_size 0
		.amdhsa_wavefront_size32 1
		.amdhsa_uses_dynamic_stack 0
		.amdhsa_enable_private_segment 0
		.amdhsa_system_sgpr_workgroup_id_x 1
		.amdhsa_system_sgpr_workgroup_id_y 0
		.amdhsa_system_sgpr_workgroup_id_z 0
		.amdhsa_system_sgpr_workgroup_info 0
		.amdhsa_system_vgpr_workitem_id 0
		.amdhsa_next_free_vgpr 1
		.amdhsa_next_free_sgpr 1
		.amdhsa_named_barrier_count 0
		.amdhsa_reserve_vcc 0
		.amdhsa_float_round_mode_32 0
		.amdhsa_float_round_mode_16_64 0
		.amdhsa_float_denorm_mode_32 3
		.amdhsa_float_denorm_mode_16_64 3
		.amdhsa_fp16_overflow 0
		.amdhsa_memory_ordered 1
		.amdhsa_forward_progress 1
		.amdhsa_inst_pref_size 0
		.amdhsa_round_robin_scheduling 0
		.amdhsa_exception_fp_ieee_invalid_op 0
		.amdhsa_exception_fp_denorm_src 0
		.amdhsa_exception_fp_ieee_div_zero 0
		.amdhsa_exception_fp_ieee_overflow 0
		.amdhsa_exception_fp_ieee_underflow 0
		.amdhsa_exception_fp_ieee_inexact 0
		.amdhsa_exception_int_div_zero 0
	.end_amdhsa_kernel
	.section	.text._ZN7rocprim17ROCPRIM_400000_NS6detail17trampoline_kernelINS0_14default_configENS1_38merge_sort_block_merge_config_selectorItNS0_10empty_typeEEEZZNS1_27merge_sort_block_merge_implIS3_PtPS5_jNS1_19radix_merge_compareILb0ELb0EtNS0_19identity_decomposerEEEEE10hipError_tT0_T1_T2_jT3_P12ihipStream_tbPNSt15iterator_traitsISE_E10value_typeEPNSK_ISF_E10value_typeEPSG_NS1_7vsmem_tEENKUlT_SE_SF_SG_E_clIS8_S8_S9_S9_EESD_ST_SE_SF_SG_EUlST_E_NS1_11comp_targetILNS1_3genE10ELNS1_11target_archE1201ELNS1_3gpuE5ELNS1_3repE0EEENS1_48merge_mergepath_partition_config_static_selectorELNS0_4arch9wavefront6targetE0EEEvSF_,"axG",@progbits,_ZN7rocprim17ROCPRIM_400000_NS6detail17trampoline_kernelINS0_14default_configENS1_38merge_sort_block_merge_config_selectorItNS0_10empty_typeEEEZZNS1_27merge_sort_block_merge_implIS3_PtPS5_jNS1_19radix_merge_compareILb0ELb0EtNS0_19identity_decomposerEEEEE10hipError_tT0_T1_T2_jT3_P12ihipStream_tbPNSt15iterator_traitsISE_E10value_typeEPNSK_ISF_E10value_typeEPSG_NS1_7vsmem_tEENKUlT_SE_SF_SG_E_clIS8_S8_S9_S9_EESD_ST_SE_SF_SG_EUlST_E_NS1_11comp_targetILNS1_3genE10ELNS1_11target_archE1201ELNS1_3gpuE5ELNS1_3repE0EEENS1_48merge_mergepath_partition_config_static_selectorELNS0_4arch9wavefront6targetE0EEEvSF_,comdat
.Lfunc_end2432:
	.size	_ZN7rocprim17ROCPRIM_400000_NS6detail17trampoline_kernelINS0_14default_configENS1_38merge_sort_block_merge_config_selectorItNS0_10empty_typeEEEZZNS1_27merge_sort_block_merge_implIS3_PtPS5_jNS1_19radix_merge_compareILb0ELb0EtNS0_19identity_decomposerEEEEE10hipError_tT0_T1_T2_jT3_P12ihipStream_tbPNSt15iterator_traitsISE_E10value_typeEPNSK_ISF_E10value_typeEPSG_NS1_7vsmem_tEENKUlT_SE_SF_SG_E_clIS8_S8_S9_S9_EESD_ST_SE_SF_SG_EUlST_E_NS1_11comp_targetILNS1_3genE10ELNS1_11target_archE1201ELNS1_3gpuE5ELNS1_3repE0EEENS1_48merge_mergepath_partition_config_static_selectorELNS0_4arch9wavefront6targetE0EEEvSF_, .Lfunc_end2432-_ZN7rocprim17ROCPRIM_400000_NS6detail17trampoline_kernelINS0_14default_configENS1_38merge_sort_block_merge_config_selectorItNS0_10empty_typeEEEZZNS1_27merge_sort_block_merge_implIS3_PtPS5_jNS1_19radix_merge_compareILb0ELb0EtNS0_19identity_decomposerEEEEE10hipError_tT0_T1_T2_jT3_P12ihipStream_tbPNSt15iterator_traitsISE_E10value_typeEPNSK_ISF_E10value_typeEPSG_NS1_7vsmem_tEENKUlT_SE_SF_SG_E_clIS8_S8_S9_S9_EESD_ST_SE_SF_SG_EUlST_E_NS1_11comp_targetILNS1_3genE10ELNS1_11target_archE1201ELNS1_3gpuE5ELNS1_3repE0EEENS1_48merge_mergepath_partition_config_static_selectorELNS0_4arch9wavefront6targetE0EEEvSF_
                                        ; -- End function
	.set _ZN7rocprim17ROCPRIM_400000_NS6detail17trampoline_kernelINS0_14default_configENS1_38merge_sort_block_merge_config_selectorItNS0_10empty_typeEEEZZNS1_27merge_sort_block_merge_implIS3_PtPS5_jNS1_19radix_merge_compareILb0ELb0EtNS0_19identity_decomposerEEEEE10hipError_tT0_T1_T2_jT3_P12ihipStream_tbPNSt15iterator_traitsISE_E10value_typeEPNSK_ISF_E10value_typeEPSG_NS1_7vsmem_tEENKUlT_SE_SF_SG_E_clIS8_S8_S9_S9_EESD_ST_SE_SF_SG_EUlST_E_NS1_11comp_targetILNS1_3genE10ELNS1_11target_archE1201ELNS1_3gpuE5ELNS1_3repE0EEENS1_48merge_mergepath_partition_config_static_selectorELNS0_4arch9wavefront6targetE0EEEvSF_.num_vgpr, 0
	.set _ZN7rocprim17ROCPRIM_400000_NS6detail17trampoline_kernelINS0_14default_configENS1_38merge_sort_block_merge_config_selectorItNS0_10empty_typeEEEZZNS1_27merge_sort_block_merge_implIS3_PtPS5_jNS1_19radix_merge_compareILb0ELb0EtNS0_19identity_decomposerEEEEE10hipError_tT0_T1_T2_jT3_P12ihipStream_tbPNSt15iterator_traitsISE_E10value_typeEPNSK_ISF_E10value_typeEPSG_NS1_7vsmem_tEENKUlT_SE_SF_SG_E_clIS8_S8_S9_S9_EESD_ST_SE_SF_SG_EUlST_E_NS1_11comp_targetILNS1_3genE10ELNS1_11target_archE1201ELNS1_3gpuE5ELNS1_3repE0EEENS1_48merge_mergepath_partition_config_static_selectorELNS0_4arch9wavefront6targetE0EEEvSF_.num_agpr, 0
	.set _ZN7rocprim17ROCPRIM_400000_NS6detail17trampoline_kernelINS0_14default_configENS1_38merge_sort_block_merge_config_selectorItNS0_10empty_typeEEEZZNS1_27merge_sort_block_merge_implIS3_PtPS5_jNS1_19radix_merge_compareILb0ELb0EtNS0_19identity_decomposerEEEEE10hipError_tT0_T1_T2_jT3_P12ihipStream_tbPNSt15iterator_traitsISE_E10value_typeEPNSK_ISF_E10value_typeEPSG_NS1_7vsmem_tEENKUlT_SE_SF_SG_E_clIS8_S8_S9_S9_EESD_ST_SE_SF_SG_EUlST_E_NS1_11comp_targetILNS1_3genE10ELNS1_11target_archE1201ELNS1_3gpuE5ELNS1_3repE0EEENS1_48merge_mergepath_partition_config_static_selectorELNS0_4arch9wavefront6targetE0EEEvSF_.numbered_sgpr, 0
	.set _ZN7rocprim17ROCPRIM_400000_NS6detail17trampoline_kernelINS0_14default_configENS1_38merge_sort_block_merge_config_selectorItNS0_10empty_typeEEEZZNS1_27merge_sort_block_merge_implIS3_PtPS5_jNS1_19radix_merge_compareILb0ELb0EtNS0_19identity_decomposerEEEEE10hipError_tT0_T1_T2_jT3_P12ihipStream_tbPNSt15iterator_traitsISE_E10value_typeEPNSK_ISF_E10value_typeEPSG_NS1_7vsmem_tEENKUlT_SE_SF_SG_E_clIS8_S8_S9_S9_EESD_ST_SE_SF_SG_EUlST_E_NS1_11comp_targetILNS1_3genE10ELNS1_11target_archE1201ELNS1_3gpuE5ELNS1_3repE0EEENS1_48merge_mergepath_partition_config_static_selectorELNS0_4arch9wavefront6targetE0EEEvSF_.num_named_barrier, 0
	.set _ZN7rocprim17ROCPRIM_400000_NS6detail17trampoline_kernelINS0_14default_configENS1_38merge_sort_block_merge_config_selectorItNS0_10empty_typeEEEZZNS1_27merge_sort_block_merge_implIS3_PtPS5_jNS1_19radix_merge_compareILb0ELb0EtNS0_19identity_decomposerEEEEE10hipError_tT0_T1_T2_jT3_P12ihipStream_tbPNSt15iterator_traitsISE_E10value_typeEPNSK_ISF_E10value_typeEPSG_NS1_7vsmem_tEENKUlT_SE_SF_SG_E_clIS8_S8_S9_S9_EESD_ST_SE_SF_SG_EUlST_E_NS1_11comp_targetILNS1_3genE10ELNS1_11target_archE1201ELNS1_3gpuE5ELNS1_3repE0EEENS1_48merge_mergepath_partition_config_static_selectorELNS0_4arch9wavefront6targetE0EEEvSF_.private_seg_size, 0
	.set _ZN7rocprim17ROCPRIM_400000_NS6detail17trampoline_kernelINS0_14default_configENS1_38merge_sort_block_merge_config_selectorItNS0_10empty_typeEEEZZNS1_27merge_sort_block_merge_implIS3_PtPS5_jNS1_19radix_merge_compareILb0ELb0EtNS0_19identity_decomposerEEEEE10hipError_tT0_T1_T2_jT3_P12ihipStream_tbPNSt15iterator_traitsISE_E10value_typeEPNSK_ISF_E10value_typeEPSG_NS1_7vsmem_tEENKUlT_SE_SF_SG_E_clIS8_S8_S9_S9_EESD_ST_SE_SF_SG_EUlST_E_NS1_11comp_targetILNS1_3genE10ELNS1_11target_archE1201ELNS1_3gpuE5ELNS1_3repE0EEENS1_48merge_mergepath_partition_config_static_selectorELNS0_4arch9wavefront6targetE0EEEvSF_.uses_vcc, 0
	.set _ZN7rocprim17ROCPRIM_400000_NS6detail17trampoline_kernelINS0_14default_configENS1_38merge_sort_block_merge_config_selectorItNS0_10empty_typeEEEZZNS1_27merge_sort_block_merge_implIS3_PtPS5_jNS1_19radix_merge_compareILb0ELb0EtNS0_19identity_decomposerEEEEE10hipError_tT0_T1_T2_jT3_P12ihipStream_tbPNSt15iterator_traitsISE_E10value_typeEPNSK_ISF_E10value_typeEPSG_NS1_7vsmem_tEENKUlT_SE_SF_SG_E_clIS8_S8_S9_S9_EESD_ST_SE_SF_SG_EUlST_E_NS1_11comp_targetILNS1_3genE10ELNS1_11target_archE1201ELNS1_3gpuE5ELNS1_3repE0EEENS1_48merge_mergepath_partition_config_static_selectorELNS0_4arch9wavefront6targetE0EEEvSF_.uses_flat_scratch, 0
	.set _ZN7rocprim17ROCPRIM_400000_NS6detail17trampoline_kernelINS0_14default_configENS1_38merge_sort_block_merge_config_selectorItNS0_10empty_typeEEEZZNS1_27merge_sort_block_merge_implIS3_PtPS5_jNS1_19radix_merge_compareILb0ELb0EtNS0_19identity_decomposerEEEEE10hipError_tT0_T1_T2_jT3_P12ihipStream_tbPNSt15iterator_traitsISE_E10value_typeEPNSK_ISF_E10value_typeEPSG_NS1_7vsmem_tEENKUlT_SE_SF_SG_E_clIS8_S8_S9_S9_EESD_ST_SE_SF_SG_EUlST_E_NS1_11comp_targetILNS1_3genE10ELNS1_11target_archE1201ELNS1_3gpuE5ELNS1_3repE0EEENS1_48merge_mergepath_partition_config_static_selectorELNS0_4arch9wavefront6targetE0EEEvSF_.has_dyn_sized_stack, 0
	.set _ZN7rocprim17ROCPRIM_400000_NS6detail17trampoline_kernelINS0_14default_configENS1_38merge_sort_block_merge_config_selectorItNS0_10empty_typeEEEZZNS1_27merge_sort_block_merge_implIS3_PtPS5_jNS1_19radix_merge_compareILb0ELb0EtNS0_19identity_decomposerEEEEE10hipError_tT0_T1_T2_jT3_P12ihipStream_tbPNSt15iterator_traitsISE_E10value_typeEPNSK_ISF_E10value_typeEPSG_NS1_7vsmem_tEENKUlT_SE_SF_SG_E_clIS8_S8_S9_S9_EESD_ST_SE_SF_SG_EUlST_E_NS1_11comp_targetILNS1_3genE10ELNS1_11target_archE1201ELNS1_3gpuE5ELNS1_3repE0EEENS1_48merge_mergepath_partition_config_static_selectorELNS0_4arch9wavefront6targetE0EEEvSF_.has_recursion, 0
	.set _ZN7rocprim17ROCPRIM_400000_NS6detail17trampoline_kernelINS0_14default_configENS1_38merge_sort_block_merge_config_selectorItNS0_10empty_typeEEEZZNS1_27merge_sort_block_merge_implIS3_PtPS5_jNS1_19radix_merge_compareILb0ELb0EtNS0_19identity_decomposerEEEEE10hipError_tT0_T1_T2_jT3_P12ihipStream_tbPNSt15iterator_traitsISE_E10value_typeEPNSK_ISF_E10value_typeEPSG_NS1_7vsmem_tEENKUlT_SE_SF_SG_E_clIS8_S8_S9_S9_EESD_ST_SE_SF_SG_EUlST_E_NS1_11comp_targetILNS1_3genE10ELNS1_11target_archE1201ELNS1_3gpuE5ELNS1_3repE0EEENS1_48merge_mergepath_partition_config_static_selectorELNS0_4arch9wavefront6targetE0EEEvSF_.has_indirect_call, 0
	.section	.AMDGPU.csdata,"",@progbits
; Kernel info:
; codeLenInByte = 0
; TotalNumSgprs: 0
; NumVgprs: 0
; ScratchSize: 0
; MemoryBound: 0
; FloatMode: 240
; IeeeMode: 1
; LDSByteSize: 0 bytes/workgroup (compile time only)
; SGPRBlocks: 0
; VGPRBlocks: 0
; NumSGPRsForWavesPerEU: 1
; NumVGPRsForWavesPerEU: 1
; NamedBarCnt: 0
; Occupancy: 16
; WaveLimiterHint : 0
; COMPUTE_PGM_RSRC2:SCRATCH_EN: 0
; COMPUTE_PGM_RSRC2:USER_SGPR: 2
; COMPUTE_PGM_RSRC2:TRAP_HANDLER: 0
; COMPUTE_PGM_RSRC2:TGID_X_EN: 1
; COMPUTE_PGM_RSRC2:TGID_Y_EN: 0
; COMPUTE_PGM_RSRC2:TGID_Z_EN: 0
; COMPUTE_PGM_RSRC2:TIDIG_COMP_CNT: 0
	.section	.text._ZN7rocprim17ROCPRIM_400000_NS6detail17trampoline_kernelINS0_14default_configENS1_38merge_sort_block_merge_config_selectorItNS0_10empty_typeEEEZZNS1_27merge_sort_block_merge_implIS3_PtPS5_jNS1_19radix_merge_compareILb0ELb0EtNS0_19identity_decomposerEEEEE10hipError_tT0_T1_T2_jT3_P12ihipStream_tbPNSt15iterator_traitsISE_E10value_typeEPNSK_ISF_E10value_typeEPSG_NS1_7vsmem_tEENKUlT_SE_SF_SG_E_clIS8_S8_S9_S9_EESD_ST_SE_SF_SG_EUlST_E_NS1_11comp_targetILNS1_3genE5ELNS1_11target_archE942ELNS1_3gpuE9ELNS1_3repE0EEENS1_48merge_mergepath_partition_config_static_selectorELNS0_4arch9wavefront6targetE0EEEvSF_,"axG",@progbits,_ZN7rocprim17ROCPRIM_400000_NS6detail17trampoline_kernelINS0_14default_configENS1_38merge_sort_block_merge_config_selectorItNS0_10empty_typeEEEZZNS1_27merge_sort_block_merge_implIS3_PtPS5_jNS1_19radix_merge_compareILb0ELb0EtNS0_19identity_decomposerEEEEE10hipError_tT0_T1_T2_jT3_P12ihipStream_tbPNSt15iterator_traitsISE_E10value_typeEPNSK_ISF_E10value_typeEPSG_NS1_7vsmem_tEENKUlT_SE_SF_SG_E_clIS8_S8_S9_S9_EESD_ST_SE_SF_SG_EUlST_E_NS1_11comp_targetILNS1_3genE5ELNS1_11target_archE942ELNS1_3gpuE9ELNS1_3repE0EEENS1_48merge_mergepath_partition_config_static_selectorELNS0_4arch9wavefront6targetE0EEEvSF_,comdat
	.protected	_ZN7rocprim17ROCPRIM_400000_NS6detail17trampoline_kernelINS0_14default_configENS1_38merge_sort_block_merge_config_selectorItNS0_10empty_typeEEEZZNS1_27merge_sort_block_merge_implIS3_PtPS5_jNS1_19radix_merge_compareILb0ELb0EtNS0_19identity_decomposerEEEEE10hipError_tT0_T1_T2_jT3_P12ihipStream_tbPNSt15iterator_traitsISE_E10value_typeEPNSK_ISF_E10value_typeEPSG_NS1_7vsmem_tEENKUlT_SE_SF_SG_E_clIS8_S8_S9_S9_EESD_ST_SE_SF_SG_EUlST_E_NS1_11comp_targetILNS1_3genE5ELNS1_11target_archE942ELNS1_3gpuE9ELNS1_3repE0EEENS1_48merge_mergepath_partition_config_static_selectorELNS0_4arch9wavefront6targetE0EEEvSF_ ; -- Begin function _ZN7rocprim17ROCPRIM_400000_NS6detail17trampoline_kernelINS0_14default_configENS1_38merge_sort_block_merge_config_selectorItNS0_10empty_typeEEEZZNS1_27merge_sort_block_merge_implIS3_PtPS5_jNS1_19radix_merge_compareILb0ELb0EtNS0_19identity_decomposerEEEEE10hipError_tT0_T1_T2_jT3_P12ihipStream_tbPNSt15iterator_traitsISE_E10value_typeEPNSK_ISF_E10value_typeEPSG_NS1_7vsmem_tEENKUlT_SE_SF_SG_E_clIS8_S8_S9_S9_EESD_ST_SE_SF_SG_EUlST_E_NS1_11comp_targetILNS1_3genE5ELNS1_11target_archE942ELNS1_3gpuE9ELNS1_3repE0EEENS1_48merge_mergepath_partition_config_static_selectorELNS0_4arch9wavefront6targetE0EEEvSF_
	.globl	_ZN7rocprim17ROCPRIM_400000_NS6detail17trampoline_kernelINS0_14default_configENS1_38merge_sort_block_merge_config_selectorItNS0_10empty_typeEEEZZNS1_27merge_sort_block_merge_implIS3_PtPS5_jNS1_19radix_merge_compareILb0ELb0EtNS0_19identity_decomposerEEEEE10hipError_tT0_T1_T2_jT3_P12ihipStream_tbPNSt15iterator_traitsISE_E10value_typeEPNSK_ISF_E10value_typeEPSG_NS1_7vsmem_tEENKUlT_SE_SF_SG_E_clIS8_S8_S9_S9_EESD_ST_SE_SF_SG_EUlST_E_NS1_11comp_targetILNS1_3genE5ELNS1_11target_archE942ELNS1_3gpuE9ELNS1_3repE0EEENS1_48merge_mergepath_partition_config_static_selectorELNS0_4arch9wavefront6targetE0EEEvSF_
	.p2align	8
	.type	_ZN7rocprim17ROCPRIM_400000_NS6detail17trampoline_kernelINS0_14default_configENS1_38merge_sort_block_merge_config_selectorItNS0_10empty_typeEEEZZNS1_27merge_sort_block_merge_implIS3_PtPS5_jNS1_19radix_merge_compareILb0ELb0EtNS0_19identity_decomposerEEEEE10hipError_tT0_T1_T2_jT3_P12ihipStream_tbPNSt15iterator_traitsISE_E10value_typeEPNSK_ISF_E10value_typeEPSG_NS1_7vsmem_tEENKUlT_SE_SF_SG_E_clIS8_S8_S9_S9_EESD_ST_SE_SF_SG_EUlST_E_NS1_11comp_targetILNS1_3genE5ELNS1_11target_archE942ELNS1_3gpuE9ELNS1_3repE0EEENS1_48merge_mergepath_partition_config_static_selectorELNS0_4arch9wavefront6targetE0EEEvSF_,@function
_ZN7rocprim17ROCPRIM_400000_NS6detail17trampoline_kernelINS0_14default_configENS1_38merge_sort_block_merge_config_selectorItNS0_10empty_typeEEEZZNS1_27merge_sort_block_merge_implIS3_PtPS5_jNS1_19radix_merge_compareILb0ELb0EtNS0_19identity_decomposerEEEEE10hipError_tT0_T1_T2_jT3_P12ihipStream_tbPNSt15iterator_traitsISE_E10value_typeEPNSK_ISF_E10value_typeEPSG_NS1_7vsmem_tEENKUlT_SE_SF_SG_E_clIS8_S8_S9_S9_EESD_ST_SE_SF_SG_EUlST_E_NS1_11comp_targetILNS1_3genE5ELNS1_11target_archE942ELNS1_3gpuE9ELNS1_3repE0EEENS1_48merge_mergepath_partition_config_static_selectorELNS0_4arch9wavefront6targetE0EEEvSF_: ; @_ZN7rocprim17ROCPRIM_400000_NS6detail17trampoline_kernelINS0_14default_configENS1_38merge_sort_block_merge_config_selectorItNS0_10empty_typeEEEZZNS1_27merge_sort_block_merge_implIS3_PtPS5_jNS1_19radix_merge_compareILb0ELb0EtNS0_19identity_decomposerEEEEE10hipError_tT0_T1_T2_jT3_P12ihipStream_tbPNSt15iterator_traitsISE_E10value_typeEPNSK_ISF_E10value_typeEPSG_NS1_7vsmem_tEENKUlT_SE_SF_SG_E_clIS8_S8_S9_S9_EESD_ST_SE_SF_SG_EUlST_E_NS1_11comp_targetILNS1_3genE5ELNS1_11target_archE942ELNS1_3gpuE9ELNS1_3repE0EEENS1_48merge_mergepath_partition_config_static_selectorELNS0_4arch9wavefront6targetE0EEEvSF_
; %bb.0:
	.section	.rodata,"a",@progbits
	.p2align	6, 0x0
	.amdhsa_kernel _ZN7rocprim17ROCPRIM_400000_NS6detail17trampoline_kernelINS0_14default_configENS1_38merge_sort_block_merge_config_selectorItNS0_10empty_typeEEEZZNS1_27merge_sort_block_merge_implIS3_PtPS5_jNS1_19radix_merge_compareILb0ELb0EtNS0_19identity_decomposerEEEEE10hipError_tT0_T1_T2_jT3_P12ihipStream_tbPNSt15iterator_traitsISE_E10value_typeEPNSK_ISF_E10value_typeEPSG_NS1_7vsmem_tEENKUlT_SE_SF_SG_E_clIS8_S8_S9_S9_EESD_ST_SE_SF_SG_EUlST_E_NS1_11comp_targetILNS1_3genE5ELNS1_11target_archE942ELNS1_3gpuE9ELNS1_3repE0EEENS1_48merge_mergepath_partition_config_static_selectorELNS0_4arch9wavefront6targetE0EEEvSF_
		.amdhsa_group_segment_fixed_size 0
		.amdhsa_private_segment_fixed_size 0
		.amdhsa_kernarg_size 40
		.amdhsa_user_sgpr_count 2
		.amdhsa_user_sgpr_dispatch_ptr 0
		.amdhsa_user_sgpr_queue_ptr 0
		.amdhsa_user_sgpr_kernarg_segment_ptr 1
		.amdhsa_user_sgpr_dispatch_id 0
		.amdhsa_user_sgpr_kernarg_preload_length 0
		.amdhsa_user_sgpr_kernarg_preload_offset 0
		.amdhsa_user_sgpr_private_segment_size 0
		.amdhsa_wavefront_size32 1
		.amdhsa_uses_dynamic_stack 0
		.amdhsa_enable_private_segment 0
		.amdhsa_system_sgpr_workgroup_id_x 1
		.amdhsa_system_sgpr_workgroup_id_y 0
		.amdhsa_system_sgpr_workgroup_id_z 0
		.amdhsa_system_sgpr_workgroup_info 0
		.amdhsa_system_vgpr_workitem_id 0
		.amdhsa_next_free_vgpr 1
		.amdhsa_next_free_sgpr 1
		.amdhsa_named_barrier_count 0
		.amdhsa_reserve_vcc 0
		.amdhsa_float_round_mode_32 0
		.amdhsa_float_round_mode_16_64 0
		.amdhsa_float_denorm_mode_32 3
		.amdhsa_float_denorm_mode_16_64 3
		.amdhsa_fp16_overflow 0
		.amdhsa_memory_ordered 1
		.amdhsa_forward_progress 1
		.amdhsa_inst_pref_size 0
		.amdhsa_round_robin_scheduling 0
		.amdhsa_exception_fp_ieee_invalid_op 0
		.amdhsa_exception_fp_denorm_src 0
		.amdhsa_exception_fp_ieee_div_zero 0
		.amdhsa_exception_fp_ieee_overflow 0
		.amdhsa_exception_fp_ieee_underflow 0
		.amdhsa_exception_fp_ieee_inexact 0
		.amdhsa_exception_int_div_zero 0
	.end_amdhsa_kernel
	.section	.text._ZN7rocprim17ROCPRIM_400000_NS6detail17trampoline_kernelINS0_14default_configENS1_38merge_sort_block_merge_config_selectorItNS0_10empty_typeEEEZZNS1_27merge_sort_block_merge_implIS3_PtPS5_jNS1_19radix_merge_compareILb0ELb0EtNS0_19identity_decomposerEEEEE10hipError_tT0_T1_T2_jT3_P12ihipStream_tbPNSt15iterator_traitsISE_E10value_typeEPNSK_ISF_E10value_typeEPSG_NS1_7vsmem_tEENKUlT_SE_SF_SG_E_clIS8_S8_S9_S9_EESD_ST_SE_SF_SG_EUlST_E_NS1_11comp_targetILNS1_3genE5ELNS1_11target_archE942ELNS1_3gpuE9ELNS1_3repE0EEENS1_48merge_mergepath_partition_config_static_selectorELNS0_4arch9wavefront6targetE0EEEvSF_,"axG",@progbits,_ZN7rocprim17ROCPRIM_400000_NS6detail17trampoline_kernelINS0_14default_configENS1_38merge_sort_block_merge_config_selectorItNS0_10empty_typeEEEZZNS1_27merge_sort_block_merge_implIS3_PtPS5_jNS1_19radix_merge_compareILb0ELb0EtNS0_19identity_decomposerEEEEE10hipError_tT0_T1_T2_jT3_P12ihipStream_tbPNSt15iterator_traitsISE_E10value_typeEPNSK_ISF_E10value_typeEPSG_NS1_7vsmem_tEENKUlT_SE_SF_SG_E_clIS8_S8_S9_S9_EESD_ST_SE_SF_SG_EUlST_E_NS1_11comp_targetILNS1_3genE5ELNS1_11target_archE942ELNS1_3gpuE9ELNS1_3repE0EEENS1_48merge_mergepath_partition_config_static_selectorELNS0_4arch9wavefront6targetE0EEEvSF_,comdat
.Lfunc_end2433:
	.size	_ZN7rocprim17ROCPRIM_400000_NS6detail17trampoline_kernelINS0_14default_configENS1_38merge_sort_block_merge_config_selectorItNS0_10empty_typeEEEZZNS1_27merge_sort_block_merge_implIS3_PtPS5_jNS1_19radix_merge_compareILb0ELb0EtNS0_19identity_decomposerEEEEE10hipError_tT0_T1_T2_jT3_P12ihipStream_tbPNSt15iterator_traitsISE_E10value_typeEPNSK_ISF_E10value_typeEPSG_NS1_7vsmem_tEENKUlT_SE_SF_SG_E_clIS8_S8_S9_S9_EESD_ST_SE_SF_SG_EUlST_E_NS1_11comp_targetILNS1_3genE5ELNS1_11target_archE942ELNS1_3gpuE9ELNS1_3repE0EEENS1_48merge_mergepath_partition_config_static_selectorELNS0_4arch9wavefront6targetE0EEEvSF_, .Lfunc_end2433-_ZN7rocprim17ROCPRIM_400000_NS6detail17trampoline_kernelINS0_14default_configENS1_38merge_sort_block_merge_config_selectorItNS0_10empty_typeEEEZZNS1_27merge_sort_block_merge_implIS3_PtPS5_jNS1_19radix_merge_compareILb0ELb0EtNS0_19identity_decomposerEEEEE10hipError_tT0_T1_T2_jT3_P12ihipStream_tbPNSt15iterator_traitsISE_E10value_typeEPNSK_ISF_E10value_typeEPSG_NS1_7vsmem_tEENKUlT_SE_SF_SG_E_clIS8_S8_S9_S9_EESD_ST_SE_SF_SG_EUlST_E_NS1_11comp_targetILNS1_3genE5ELNS1_11target_archE942ELNS1_3gpuE9ELNS1_3repE0EEENS1_48merge_mergepath_partition_config_static_selectorELNS0_4arch9wavefront6targetE0EEEvSF_
                                        ; -- End function
	.set _ZN7rocprim17ROCPRIM_400000_NS6detail17trampoline_kernelINS0_14default_configENS1_38merge_sort_block_merge_config_selectorItNS0_10empty_typeEEEZZNS1_27merge_sort_block_merge_implIS3_PtPS5_jNS1_19radix_merge_compareILb0ELb0EtNS0_19identity_decomposerEEEEE10hipError_tT0_T1_T2_jT3_P12ihipStream_tbPNSt15iterator_traitsISE_E10value_typeEPNSK_ISF_E10value_typeEPSG_NS1_7vsmem_tEENKUlT_SE_SF_SG_E_clIS8_S8_S9_S9_EESD_ST_SE_SF_SG_EUlST_E_NS1_11comp_targetILNS1_3genE5ELNS1_11target_archE942ELNS1_3gpuE9ELNS1_3repE0EEENS1_48merge_mergepath_partition_config_static_selectorELNS0_4arch9wavefront6targetE0EEEvSF_.num_vgpr, 0
	.set _ZN7rocprim17ROCPRIM_400000_NS6detail17trampoline_kernelINS0_14default_configENS1_38merge_sort_block_merge_config_selectorItNS0_10empty_typeEEEZZNS1_27merge_sort_block_merge_implIS3_PtPS5_jNS1_19radix_merge_compareILb0ELb0EtNS0_19identity_decomposerEEEEE10hipError_tT0_T1_T2_jT3_P12ihipStream_tbPNSt15iterator_traitsISE_E10value_typeEPNSK_ISF_E10value_typeEPSG_NS1_7vsmem_tEENKUlT_SE_SF_SG_E_clIS8_S8_S9_S9_EESD_ST_SE_SF_SG_EUlST_E_NS1_11comp_targetILNS1_3genE5ELNS1_11target_archE942ELNS1_3gpuE9ELNS1_3repE0EEENS1_48merge_mergepath_partition_config_static_selectorELNS0_4arch9wavefront6targetE0EEEvSF_.num_agpr, 0
	.set _ZN7rocprim17ROCPRIM_400000_NS6detail17trampoline_kernelINS0_14default_configENS1_38merge_sort_block_merge_config_selectorItNS0_10empty_typeEEEZZNS1_27merge_sort_block_merge_implIS3_PtPS5_jNS1_19radix_merge_compareILb0ELb0EtNS0_19identity_decomposerEEEEE10hipError_tT0_T1_T2_jT3_P12ihipStream_tbPNSt15iterator_traitsISE_E10value_typeEPNSK_ISF_E10value_typeEPSG_NS1_7vsmem_tEENKUlT_SE_SF_SG_E_clIS8_S8_S9_S9_EESD_ST_SE_SF_SG_EUlST_E_NS1_11comp_targetILNS1_3genE5ELNS1_11target_archE942ELNS1_3gpuE9ELNS1_3repE0EEENS1_48merge_mergepath_partition_config_static_selectorELNS0_4arch9wavefront6targetE0EEEvSF_.numbered_sgpr, 0
	.set _ZN7rocprim17ROCPRIM_400000_NS6detail17trampoline_kernelINS0_14default_configENS1_38merge_sort_block_merge_config_selectorItNS0_10empty_typeEEEZZNS1_27merge_sort_block_merge_implIS3_PtPS5_jNS1_19radix_merge_compareILb0ELb0EtNS0_19identity_decomposerEEEEE10hipError_tT0_T1_T2_jT3_P12ihipStream_tbPNSt15iterator_traitsISE_E10value_typeEPNSK_ISF_E10value_typeEPSG_NS1_7vsmem_tEENKUlT_SE_SF_SG_E_clIS8_S8_S9_S9_EESD_ST_SE_SF_SG_EUlST_E_NS1_11comp_targetILNS1_3genE5ELNS1_11target_archE942ELNS1_3gpuE9ELNS1_3repE0EEENS1_48merge_mergepath_partition_config_static_selectorELNS0_4arch9wavefront6targetE0EEEvSF_.num_named_barrier, 0
	.set _ZN7rocprim17ROCPRIM_400000_NS6detail17trampoline_kernelINS0_14default_configENS1_38merge_sort_block_merge_config_selectorItNS0_10empty_typeEEEZZNS1_27merge_sort_block_merge_implIS3_PtPS5_jNS1_19radix_merge_compareILb0ELb0EtNS0_19identity_decomposerEEEEE10hipError_tT0_T1_T2_jT3_P12ihipStream_tbPNSt15iterator_traitsISE_E10value_typeEPNSK_ISF_E10value_typeEPSG_NS1_7vsmem_tEENKUlT_SE_SF_SG_E_clIS8_S8_S9_S9_EESD_ST_SE_SF_SG_EUlST_E_NS1_11comp_targetILNS1_3genE5ELNS1_11target_archE942ELNS1_3gpuE9ELNS1_3repE0EEENS1_48merge_mergepath_partition_config_static_selectorELNS0_4arch9wavefront6targetE0EEEvSF_.private_seg_size, 0
	.set _ZN7rocprim17ROCPRIM_400000_NS6detail17trampoline_kernelINS0_14default_configENS1_38merge_sort_block_merge_config_selectorItNS0_10empty_typeEEEZZNS1_27merge_sort_block_merge_implIS3_PtPS5_jNS1_19radix_merge_compareILb0ELb0EtNS0_19identity_decomposerEEEEE10hipError_tT0_T1_T2_jT3_P12ihipStream_tbPNSt15iterator_traitsISE_E10value_typeEPNSK_ISF_E10value_typeEPSG_NS1_7vsmem_tEENKUlT_SE_SF_SG_E_clIS8_S8_S9_S9_EESD_ST_SE_SF_SG_EUlST_E_NS1_11comp_targetILNS1_3genE5ELNS1_11target_archE942ELNS1_3gpuE9ELNS1_3repE0EEENS1_48merge_mergepath_partition_config_static_selectorELNS0_4arch9wavefront6targetE0EEEvSF_.uses_vcc, 0
	.set _ZN7rocprim17ROCPRIM_400000_NS6detail17trampoline_kernelINS0_14default_configENS1_38merge_sort_block_merge_config_selectorItNS0_10empty_typeEEEZZNS1_27merge_sort_block_merge_implIS3_PtPS5_jNS1_19radix_merge_compareILb0ELb0EtNS0_19identity_decomposerEEEEE10hipError_tT0_T1_T2_jT3_P12ihipStream_tbPNSt15iterator_traitsISE_E10value_typeEPNSK_ISF_E10value_typeEPSG_NS1_7vsmem_tEENKUlT_SE_SF_SG_E_clIS8_S8_S9_S9_EESD_ST_SE_SF_SG_EUlST_E_NS1_11comp_targetILNS1_3genE5ELNS1_11target_archE942ELNS1_3gpuE9ELNS1_3repE0EEENS1_48merge_mergepath_partition_config_static_selectorELNS0_4arch9wavefront6targetE0EEEvSF_.uses_flat_scratch, 0
	.set _ZN7rocprim17ROCPRIM_400000_NS6detail17trampoline_kernelINS0_14default_configENS1_38merge_sort_block_merge_config_selectorItNS0_10empty_typeEEEZZNS1_27merge_sort_block_merge_implIS3_PtPS5_jNS1_19radix_merge_compareILb0ELb0EtNS0_19identity_decomposerEEEEE10hipError_tT0_T1_T2_jT3_P12ihipStream_tbPNSt15iterator_traitsISE_E10value_typeEPNSK_ISF_E10value_typeEPSG_NS1_7vsmem_tEENKUlT_SE_SF_SG_E_clIS8_S8_S9_S9_EESD_ST_SE_SF_SG_EUlST_E_NS1_11comp_targetILNS1_3genE5ELNS1_11target_archE942ELNS1_3gpuE9ELNS1_3repE0EEENS1_48merge_mergepath_partition_config_static_selectorELNS0_4arch9wavefront6targetE0EEEvSF_.has_dyn_sized_stack, 0
	.set _ZN7rocprim17ROCPRIM_400000_NS6detail17trampoline_kernelINS0_14default_configENS1_38merge_sort_block_merge_config_selectorItNS0_10empty_typeEEEZZNS1_27merge_sort_block_merge_implIS3_PtPS5_jNS1_19radix_merge_compareILb0ELb0EtNS0_19identity_decomposerEEEEE10hipError_tT0_T1_T2_jT3_P12ihipStream_tbPNSt15iterator_traitsISE_E10value_typeEPNSK_ISF_E10value_typeEPSG_NS1_7vsmem_tEENKUlT_SE_SF_SG_E_clIS8_S8_S9_S9_EESD_ST_SE_SF_SG_EUlST_E_NS1_11comp_targetILNS1_3genE5ELNS1_11target_archE942ELNS1_3gpuE9ELNS1_3repE0EEENS1_48merge_mergepath_partition_config_static_selectorELNS0_4arch9wavefront6targetE0EEEvSF_.has_recursion, 0
	.set _ZN7rocprim17ROCPRIM_400000_NS6detail17trampoline_kernelINS0_14default_configENS1_38merge_sort_block_merge_config_selectorItNS0_10empty_typeEEEZZNS1_27merge_sort_block_merge_implIS3_PtPS5_jNS1_19radix_merge_compareILb0ELb0EtNS0_19identity_decomposerEEEEE10hipError_tT0_T1_T2_jT3_P12ihipStream_tbPNSt15iterator_traitsISE_E10value_typeEPNSK_ISF_E10value_typeEPSG_NS1_7vsmem_tEENKUlT_SE_SF_SG_E_clIS8_S8_S9_S9_EESD_ST_SE_SF_SG_EUlST_E_NS1_11comp_targetILNS1_3genE5ELNS1_11target_archE942ELNS1_3gpuE9ELNS1_3repE0EEENS1_48merge_mergepath_partition_config_static_selectorELNS0_4arch9wavefront6targetE0EEEvSF_.has_indirect_call, 0
	.section	.AMDGPU.csdata,"",@progbits
; Kernel info:
; codeLenInByte = 0
; TotalNumSgprs: 0
; NumVgprs: 0
; ScratchSize: 0
; MemoryBound: 0
; FloatMode: 240
; IeeeMode: 1
; LDSByteSize: 0 bytes/workgroup (compile time only)
; SGPRBlocks: 0
; VGPRBlocks: 0
; NumSGPRsForWavesPerEU: 1
; NumVGPRsForWavesPerEU: 1
; NamedBarCnt: 0
; Occupancy: 16
; WaveLimiterHint : 0
; COMPUTE_PGM_RSRC2:SCRATCH_EN: 0
; COMPUTE_PGM_RSRC2:USER_SGPR: 2
; COMPUTE_PGM_RSRC2:TRAP_HANDLER: 0
; COMPUTE_PGM_RSRC2:TGID_X_EN: 1
; COMPUTE_PGM_RSRC2:TGID_Y_EN: 0
; COMPUTE_PGM_RSRC2:TGID_Z_EN: 0
; COMPUTE_PGM_RSRC2:TIDIG_COMP_CNT: 0
	.section	.text._ZN7rocprim17ROCPRIM_400000_NS6detail17trampoline_kernelINS0_14default_configENS1_38merge_sort_block_merge_config_selectorItNS0_10empty_typeEEEZZNS1_27merge_sort_block_merge_implIS3_PtPS5_jNS1_19radix_merge_compareILb0ELb0EtNS0_19identity_decomposerEEEEE10hipError_tT0_T1_T2_jT3_P12ihipStream_tbPNSt15iterator_traitsISE_E10value_typeEPNSK_ISF_E10value_typeEPSG_NS1_7vsmem_tEENKUlT_SE_SF_SG_E_clIS8_S8_S9_S9_EESD_ST_SE_SF_SG_EUlST_E_NS1_11comp_targetILNS1_3genE4ELNS1_11target_archE910ELNS1_3gpuE8ELNS1_3repE0EEENS1_48merge_mergepath_partition_config_static_selectorELNS0_4arch9wavefront6targetE0EEEvSF_,"axG",@progbits,_ZN7rocprim17ROCPRIM_400000_NS6detail17trampoline_kernelINS0_14default_configENS1_38merge_sort_block_merge_config_selectorItNS0_10empty_typeEEEZZNS1_27merge_sort_block_merge_implIS3_PtPS5_jNS1_19radix_merge_compareILb0ELb0EtNS0_19identity_decomposerEEEEE10hipError_tT0_T1_T2_jT3_P12ihipStream_tbPNSt15iterator_traitsISE_E10value_typeEPNSK_ISF_E10value_typeEPSG_NS1_7vsmem_tEENKUlT_SE_SF_SG_E_clIS8_S8_S9_S9_EESD_ST_SE_SF_SG_EUlST_E_NS1_11comp_targetILNS1_3genE4ELNS1_11target_archE910ELNS1_3gpuE8ELNS1_3repE0EEENS1_48merge_mergepath_partition_config_static_selectorELNS0_4arch9wavefront6targetE0EEEvSF_,comdat
	.protected	_ZN7rocprim17ROCPRIM_400000_NS6detail17trampoline_kernelINS0_14default_configENS1_38merge_sort_block_merge_config_selectorItNS0_10empty_typeEEEZZNS1_27merge_sort_block_merge_implIS3_PtPS5_jNS1_19radix_merge_compareILb0ELb0EtNS0_19identity_decomposerEEEEE10hipError_tT0_T1_T2_jT3_P12ihipStream_tbPNSt15iterator_traitsISE_E10value_typeEPNSK_ISF_E10value_typeEPSG_NS1_7vsmem_tEENKUlT_SE_SF_SG_E_clIS8_S8_S9_S9_EESD_ST_SE_SF_SG_EUlST_E_NS1_11comp_targetILNS1_3genE4ELNS1_11target_archE910ELNS1_3gpuE8ELNS1_3repE0EEENS1_48merge_mergepath_partition_config_static_selectorELNS0_4arch9wavefront6targetE0EEEvSF_ ; -- Begin function _ZN7rocprim17ROCPRIM_400000_NS6detail17trampoline_kernelINS0_14default_configENS1_38merge_sort_block_merge_config_selectorItNS0_10empty_typeEEEZZNS1_27merge_sort_block_merge_implIS3_PtPS5_jNS1_19radix_merge_compareILb0ELb0EtNS0_19identity_decomposerEEEEE10hipError_tT0_T1_T2_jT3_P12ihipStream_tbPNSt15iterator_traitsISE_E10value_typeEPNSK_ISF_E10value_typeEPSG_NS1_7vsmem_tEENKUlT_SE_SF_SG_E_clIS8_S8_S9_S9_EESD_ST_SE_SF_SG_EUlST_E_NS1_11comp_targetILNS1_3genE4ELNS1_11target_archE910ELNS1_3gpuE8ELNS1_3repE0EEENS1_48merge_mergepath_partition_config_static_selectorELNS0_4arch9wavefront6targetE0EEEvSF_
	.globl	_ZN7rocprim17ROCPRIM_400000_NS6detail17trampoline_kernelINS0_14default_configENS1_38merge_sort_block_merge_config_selectorItNS0_10empty_typeEEEZZNS1_27merge_sort_block_merge_implIS3_PtPS5_jNS1_19radix_merge_compareILb0ELb0EtNS0_19identity_decomposerEEEEE10hipError_tT0_T1_T2_jT3_P12ihipStream_tbPNSt15iterator_traitsISE_E10value_typeEPNSK_ISF_E10value_typeEPSG_NS1_7vsmem_tEENKUlT_SE_SF_SG_E_clIS8_S8_S9_S9_EESD_ST_SE_SF_SG_EUlST_E_NS1_11comp_targetILNS1_3genE4ELNS1_11target_archE910ELNS1_3gpuE8ELNS1_3repE0EEENS1_48merge_mergepath_partition_config_static_selectorELNS0_4arch9wavefront6targetE0EEEvSF_
	.p2align	8
	.type	_ZN7rocprim17ROCPRIM_400000_NS6detail17trampoline_kernelINS0_14default_configENS1_38merge_sort_block_merge_config_selectorItNS0_10empty_typeEEEZZNS1_27merge_sort_block_merge_implIS3_PtPS5_jNS1_19radix_merge_compareILb0ELb0EtNS0_19identity_decomposerEEEEE10hipError_tT0_T1_T2_jT3_P12ihipStream_tbPNSt15iterator_traitsISE_E10value_typeEPNSK_ISF_E10value_typeEPSG_NS1_7vsmem_tEENKUlT_SE_SF_SG_E_clIS8_S8_S9_S9_EESD_ST_SE_SF_SG_EUlST_E_NS1_11comp_targetILNS1_3genE4ELNS1_11target_archE910ELNS1_3gpuE8ELNS1_3repE0EEENS1_48merge_mergepath_partition_config_static_selectorELNS0_4arch9wavefront6targetE0EEEvSF_,@function
_ZN7rocprim17ROCPRIM_400000_NS6detail17trampoline_kernelINS0_14default_configENS1_38merge_sort_block_merge_config_selectorItNS0_10empty_typeEEEZZNS1_27merge_sort_block_merge_implIS3_PtPS5_jNS1_19radix_merge_compareILb0ELb0EtNS0_19identity_decomposerEEEEE10hipError_tT0_T1_T2_jT3_P12ihipStream_tbPNSt15iterator_traitsISE_E10value_typeEPNSK_ISF_E10value_typeEPSG_NS1_7vsmem_tEENKUlT_SE_SF_SG_E_clIS8_S8_S9_S9_EESD_ST_SE_SF_SG_EUlST_E_NS1_11comp_targetILNS1_3genE4ELNS1_11target_archE910ELNS1_3gpuE8ELNS1_3repE0EEENS1_48merge_mergepath_partition_config_static_selectorELNS0_4arch9wavefront6targetE0EEEvSF_: ; @_ZN7rocprim17ROCPRIM_400000_NS6detail17trampoline_kernelINS0_14default_configENS1_38merge_sort_block_merge_config_selectorItNS0_10empty_typeEEEZZNS1_27merge_sort_block_merge_implIS3_PtPS5_jNS1_19radix_merge_compareILb0ELb0EtNS0_19identity_decomposerEEEEE10hipError_tT0_T1_T2_jT3_P12ihipStream_tbPNSt15iterator_traitsISE_E10value_typeEPNSK_ISF_E10value_typeEPSG_NS1_7vsmem_tEENKUlT_SE_SF_SG_E_clIS8_S8_S9_S9_EESD_ST_SE_SF_SG_EUlST_E_NS1_11comp_targetILNS1_3genE4ELNS1_11target_archE910ELNS1_3gpuE8ELNS1_3repE0EEENS1_48merge_mergepath_partition_config_static_selectorELNS0_4arch9wavefront6targetE0EEEvSF_
; %bb.0:
	.section	.rodata,"a",@progbits
	.p2align	6, 0x0
	.amdhsa_kernel _ZN7rocprim17ROCPRIM_400000_NS6detail17trampoline_kernelINS0_14default_configENS1_38merge_sort_block_merge_config_selectorItNS0_10empty_typeEEEZZNS1_27merge_sort_block_merge_implIS3_PtPS5_jNS1_19radix_merge_compareILb0ELb0EtNS0_19identity_decomposerEEEEE10hipError_tT0_T1_T2_jT3_P12ihipStream_tbPNSt15iterator_traitsISE_E10value_typeEPNSK_ISF_E10value_typeEPSG_NS1_7vsmem_tEENKUlT_SE_SF_SG_E_clIS8_S8_S9_S9_EESD_ST_SE_SF_SG_EUlST_E_NS1_11comp_targetILNS1_3genE4ELNS1_11target_archE910ELNS1_3gpuE8ELNS1_3repE0EEENS1_48merge_mergepath_partition_config_static_selectorELNS0_4arch9wavefront6targetE0EEEvSF_
		.amdhsa_group_segment_fixed_size 0
		.amdhsa_private_segment_fixed_size 0
		.amdhsa_kernarg_size 40
		.amdhsa_user_sgpr_count 2
		.amdhsa_user_sgpr_dispatch_ptr 0
		.amdhsa_user_sgpr_queue_ptr 0
		.amdhsa_user_sgpr_kernarg_segment_ptr 1
		.amdhsa_user_sgpr_dispatch_id 0
		.amdhsa_user_sgpr_kernarg_preload_length 0
		.amdhsa_user_sgpr_kernarg_preload_offset 0
		.amdhsa_user_sgpr_private_segment_size 0
		.amdhsa_wavefront_size32 1
		.amdhsa_uses_dynamic_stack 0
		.amdhsa_enable_private_segment 0
		.amdhsa_system_sgpr_workgroup_id_x 1
		.amdhsa_system_sgpr_workgroup_id_y 0
		.amdhsa_system_sgpr_workgroup_id_z 0
		.amdhsa_system_sgpr_workgroup_info 0
		.amdhsa_system_vgpr_workitem_id 0
		.amdhsa_next_free_vgpr 1
		.amdhsa_next_free_sgpr 1
		.amdhsa_named_barrier_count 0
		.amdhsa_reserve_vcc 0
		.amdhsa_float_round_mode_32 0
		.amdhsa_float_round_mode_16_64 0
		.amdhsa_float_denorm_mode_32 3
		.amdhsa_float_denorm_mode_16_64 3
		.amdhsa_fp16_overflow 0
		.amdhsa_memory_ordered 1
		.amdhsa_forward_progress 1
		.amdhsa_inst_pref_size 0
		.amdhsa_round_robin_scheduling 0
		.amdhsa_exception_fp_ieee_invalid_op 0
		.amdhsa_exception_fp_denorm_src 0
		.amdhsa_exception_fp_ieee_div_zero 0
		.amdhsa_exception_fp_ieee_overflow 0
		.amdhsa_exception_fp_ieee_underflow 0
		.amdhsa_exception_fp_ieee_inexact 0
		.amdhsa_exception_int_div_zero 0
	.end_amdhsa_kernel
	.section	.text._ZN7rocprim17ROCPRIM_400000_NS6detail17trampoline_kernelINS0_14default_configENS1_38merge_sort_block_merge_config_selectorItNS0_10empty_typeEEEZZNS1_27merge_sort_block_merge_implIS3_PtPS5_jNS1_19radix_merge_compareILb0ELb0EtNS0_19identity_decomposerEEEEE10hipError_tT0_T1_T2_jT3_P12ihipStream_tbPNSt15iterator_traitsISE_E10value_typeEPNSK_ISF_E10value_typeEPSG_NS1_7vsmem_tEENKUlT_SE_SF_SG_E_clIS8_S8_S9_S9_EESD_ST_SE_SF_SG_EUlST_E_NS1_11comp_targetILNS1_3genE4ELNS1_11target_archE910ELNS1_3gpuE8ELNS1_3repE0EEENS1_48merge_mergepath_partition_config_static_selectorELNS0_4arch9wavefront6targetE0EEEvSF_,"axG",@progbits,_ZN7rocprim17ROCPRIM_400000_NS6detail17trampoline_kernelINS0_14default_configENS1_38merge_sort_block_merge_config_selectorItNS0_10empty_typeEEEZZNS1_27merge_sort_block_merge_implIS3_PtPS5_jNS1_19radix_merge_compareILb0ELb0EtNS0_19identity_decomposerEEEEE10hipError_tT0_T1_T2_jT3_P12ihipStream_tbPNSt15iterator_traitsISE_E10value_typeEPNSK_ISF_E10value_typeEPSG_NS1_7vsmem_tEENKUlT_SE_SF_SG_E_clIS8_S8_S9_S9_EESD_ST_SE_SF_SG_EUlST_E_NS1_11comp_targetILNS1_3genE4ELNS1_11target_archE910ELNS1_3gpuE8ELNS1_3repE0EEENS1_48merge_mergepath_partition_config_static_selectorELNS0_4arch9wavefront6targetE0EEEvSF_,comdat
.Lfunc_end2434:
	.size	_ZN7rocprim17ROCPRIM_400000_NS6detail17trampoline_kernelINS0_14default_configENS1_38merge_sort_block_merge_config_selectorItNS0_10empty_typeEEEZZNS1_27merge_sort_block_merge_implIS3_PtPS5_jNS1_19radix_merge_compareILb0ELb0EtNS0_19identity_decomposerEEEEE10hipError_tT0_T1_T2_jT3_P12ihipStream_tbPNSt15iterator_traitsISE_E10value_typeEPNSK_ISF_E10value_typeEPSG_NS1_7vsmem_tEENKUlT_SE_SF_SG_E_clIS8_S8_S9_S9_EESD_ST_SE_SF_SG_EUlST_E_NS1_11comp_targetILNS1_3genE4ELNS1_11target_archE910ELNS1_3gpuE8ELNS1_3repE0EEENS1_48merge_mergepath_partition_config_static_selectorELNS0_4arch9wavefront6targetE0EEEvSF_, .Lfunc_end2434-_ZN7rocprim17ROCPRIM_400000_NS6detail17trampoline_kernelINS0_14default_configENS1_38merge_sort_block_merge_config_selectorItNS0_10empty_typeEEEZZNS1_27merge_sort_block_merge_implIS3_PtPS5_jNS1_19radix_merge_compareILb0ELb0EtNS0_19identity_decomposerEEEEE10hipError_tT0_T1_T2_jT3_P12ihipStream_tbPNSt15iterator_traitsISE_E10value_typeEPNSK_ISF_E10value_typeEPSG_NS1_7vsmem_tEENKUlT_SE_SF_SG_E_clIS8_S8_S9_S9_EESD_ST_SE_SF_SG_EUlST_E_NS1_11comp_targetILNS1_3genE4ELNS1_11target_archE910ELNS1_3gpuE8ELNS1_3repE0EEENS1_48merge_mergepath_partition_config_static_selectorELNS0_4arch9wavefront6targetE0EEEvSF_
                                        ; -- End function
	.set _ZN7rocprim17ROCPRIM_400000_NS6detail17trampoline_kernelINS0_14default_configENS1_38merge_sort_block_merge_config_selectorItNS0_10empty_typeEEEZZNS1_27merge_sort_block_merge_implIS3_PtPS5_jNS1_19radix_merge_compareILb0ELb0EtNS0_19identity_decomposerEEEEE10hipError_tT0_T1_T2_jT3_P12ihipStream_tbPNSt15iterator_traitsISE_E10value_typeEPNSK_ISF_E10value_typeEPSG_NS1_7vsmem_tEENKUlT_SE_SF_SG_E_clIS8_S8_S9_S9_EESD_ST_SE_SF_SG_EUlST_E_NS1_11comp_targetILNS1_3genE4ELNS1_11target_archE910ELNS1_3gpuE8ELNS1_3repE0EEENS1_48merge_mergepath_partition_config_static_selectorELNS0_4arch9wavefront6targetE0EEEvSF_.num_vgpr, 0
	.set _ZN7rocprim17ROCPRIM_400000_NS6detail17trampoline_kernelINS0_14default_configENS1_38merge_sort_block_merge_config_selectorItNS0_10empty_typeEEEZZNS1_27merge_sort_block_merge_implIS3_PtPS5_jNS1_19radix_merge_compareILb0ELb0EtNS0_19identity_decomposerEEEEE10hipError_tT0_T1_T2_jT3_P12ihipStream_tbPNSt15iterator_traitsISE_E10value_typeEPNSK_ISF_E10value_typeEPSG_NS1_7vsmem_tEENKUlT_SE_SF_SG_E_clIS8_S8_S9_S9_EESD_ST_SE_SF_SG_EUlST_E_NS1_11comp_targetILNS1_3genE4ELNS1_11target_archE910ELNS1_3gpuE8ELNS1_3repE0EEENS1_48merge_mergepath_partition_config_static_selectorELNS0_4arch9wavefront6targetE0EEEvSF_.num_agpr, 0
	.set _ZN7rocprim17ROCPRIM_400000_NS6detail17trampoline_kernelINS0_14default_configENS1_38merge_sort_block_merge_config_selectorItNS0_10empty_typeEEEZZNS1_27merge_sort_block_merge_implIS3_PtPS5_jNS1_19radix_merge_compareILb0ELb0EtNS0_19identity_decomposerEEEEE10hipError_tT0_T1_T2_jT3_P12ihipStream_tbPNSt15iterator_traitsISE_E10value_typeEPNSK_ISF_E10value_typeEPSG_NS1_7vsmem_tEENKUlT_SE_SF_SG_E_clIS8_S8_S9_S9_EESD_ST_SE_SF_SG_EUlST_E_NS1_11comp_targetILNS1_3genE4ELNS1_11target_archE910ELNS1_3gpuE8ELNS1_3repE0EEENS1_48merge_mergepath_partition_config_static_selectorELNS0_4arch9wavefront6targetE0EEEvSF_.numbered_sgpr, 0
	.set _ZN7rocprim17ROCPRIM_400000_NS6detail17trampoline_kernelINS0_14default_configENS1_38merge_sort_block_merge_config_selectorItNS0_10empty_typeEEEZZNS1_27merge_sort_block_merge_implIS3_PtPS5_jNS1_19radix_merge_compareILb0ELb0EtNS0_19identity_decomposerEEEEE10hipError_tT0_T1_T2_jT3_P12ihipStream_tbPNSt15iterator_traitsISE_E10value_typeEPNSK_ISF_E10value_typeEPSG_NS1_7vsmem_tEENKUlT_SE_SF_SG_E_clIS8_S8_S9_S9_EESD_ST_SE_SF_SG_EUlST_E_NS1_11comp_targetILNS1_3genE4ELNS1_11target_archE910ELNS1_3gpuE8ELNS1_3repE0EEENS1_48merge_mergepath_partition_config_static_selectorELNS0_4arch9wavefront6targetE0EEEvSF_.num_named_barrier, 0
	.set _ZN7rocprim17ROCPRIM_400000_NS6detail17trampoline_kernelINS0_14default_configENS1_38merge_sort_block_merge_config_selectorItNS0_10empty_typeEEEZZNS1_27merge_sort_block_merge_implIS3_PtPS5_jNS1_19radix_merge_compareILb0ELb0EtNS0_19identity_decomposerEEEEE10hipError_tT0_T1_T2_jT3_P12ihipStream_tbPNSt15iterator_traitsISE_E10value_typeEPNSK_ISF_E10value_typeEPSG_NS1_7vsmem_tEENKUlT_SE_SF_SG_E_clIS8_S8_S9_S9_EESD_ST_SE_SF_SG_EUlST_E_NS1_11comp_targetILNS1_3genE4ELNS1_11target_archE910ELNS1_3gpuE8ELNS1_3repE0EEENS1_48merge_mergepath_partition_config_static_selectorELNS0_4arch9wavefront6targetE0EEEvSF_.private_seg_size, 0
	.set _ZN7rocprim17ROCPRIM_400000_NS6detail17trampoline_kernelINS0_14default_configENS1_38merge_sort_block_merge_config_selectorItNS0_10empty_typeEEEZZNS1_27merge_sort_block_merge_implIS3_PtPS5_jNS1_19radix_merge_compareILb0ELb0EtNS0_19identity_decomposerEEEEE10hipError_tT0_T1_T2_jT3_P12ihipStream_tbPNSt15iterator_traitsISE_E10value_typeEPNSK_ISF_E10value_typeEPSG_NS1_7vsmem_tEENKUlT_SE_SF_SG_E_clIS8_S8_S9_S9_EESD_ST_SE_SF_SG_EUlST_E_NS1_11comp_targetILNS1_3genE4ELNS1_11target_archE910ELNS1_3gpuE8ELNS1_3repE0EEENS1_48merge_mergepath_partition_config_static_selectorELNS0_4arch9wavefront6targetE0EEEvSF_.uses_vcc, 0
	.set _ZN7rocprim17ROCPRIM_400000_NS6detail17trampoline_kernelINS0_14default_configENS1_38merge_sort_block_merge_config_selectorItNS0_10empty_typeEEEZZNS1_27merge_sort_block_merge_implIS3_PtPS5_jNS1_19radix_merge_compareILb0ELb0EtNS0_19identity_decomposerEEEEE10hipError_tT0_T1_T2_jT3_P12ihipStream_tbPNSt15iterator_traitsISE_E10value_typeEPNSK_ISF_E10value_typeEPSG_NS1_7vsmem_tEENKUlT_SE_SF_SG_E_clIS8_S8_S9_S9_EESD_ST_SE_SF_SG_EUlST_E_NS1_11comp_targetILNS1_3genE4ELNS1_11target_archE910ELNS1_3gpuE8ELNS1_3repE0EEENS1_48merge_mergepath_partition_config_static_selectorELNS0_4arch9wavefront6targetE0EEEvSF_.uses_flat_scratch, 0
	.set _ZN7rocprim17ROCPRIM_400000_NS6detail17trampoline_kernelINS0_14default_configENS1_38merge_sort_block_merge_config_selectorItNS0_10empty_typeEEEZZNS1_27merge_sort_block_merge_implIS3_PtPS5_jNS1_19radix_merge_compareILb0ELb0EtNS0_19identity_decomposerEEEEE10hipError_tT0_T1_T2_jT3_P12ihipStream_tbPNSt15iterator_traitsISE_E10value_typeEPNSK_ISF_E10value_typeEPSG_NS1_7vsmem_tEENKUlT_SE_SF_SG_E_clIS8_S8_S9_S9_EESD_ST_SE_SF_SG_EUlST_E_NS1_11comp_targetILNS1_3genE4ELNS1_11target_archE910ELNS1_3gpuE8ELNS1_3repE0EEENS1_48merge_mergepath_partition_config_static_selectorELNS0_4arch9wavefront6targetE0EEEvSF_.has_dyn_sized_stack, 0
	.set _ZN7rocprim17ROCPRIM_400000_NS6detail17trampoline_kernelINS0_14default_configENS1_38merge_sort_block_merge_config_selectorItNS0_10empty_typeEEEZZNS1_27merge_sort_block_merge_implIS3_PtPS5_jNS1_19radix_merge_compareILb0ELb0EtNS0_19identity_decomposerEEEEE10hipError_tT0_T1_T2_jT3_P12ihipStream_tbPNSt15iterator_traitsISE_E10value_typeEPNSK_ISF_E10value_typeEPSG_NS1_7vsmem_tEENKUlT_SE_SF_SG_E_clIS8_S8_S9_S9_EESD_ST_SE_SF_SG_EUlST_E_NS1_11comp_targetILNS1_3genE4ELNS1_11target_archE910ELNS1_3gpuE8ELNS1_3repE0EEENS1_48merge_mergepath_partition_config_static_selectorELNS0_4arch9wavefront6targetE0EEEvSF_.has_recursion, 0
	.set _ZN7rocprim17ROCPRIM_400000_NS6detail17trampoline_kernelINS0_14default_configENS1_38merge_sort_block_merge_config_selectorItNS0_10empty_typeEEEZZNS1_27merge_sort_block_merge_implIS3_PtPS5_jNS1_19radix_merge_compareILb0ELb0EtNS0_19identity_decomposerEEEEE10hipError_tT0_T1_T2_jT3_P12ihipStream_tbPNSt15iterator_traitsISE_E10value_typeEPNSK_ISF_E10value_typeEPSG_NS1_7vsmem_tEENKUlT_SE_SF_SG_E_clIS8_S8_S9_S9_EESD_ST_SE_SF_SG_EUlST_E_NS1_11comp_targetILNS1_3genE4ELNS1_11target_archE910ELNS1_3gpuE8ELNS1_3repE0EEENS1_48merge_mergepath_partition_config_static_selectorELNS0_4arch9wavefront6targetE0EEEvSF_.has_indirect_call, 0
	.section	.AMDGPU.csdata,"",@progbits
; Kernel info:
; codeLenInByte = 0
; TotalNumSgprs: 0
; NumVgprs: 0
; ScratchSize: 0
; MemoryBound: 0
; FloatMode: 240
; IeeeMode: 1
; LDSByteSize: 0 bytes/workgroup (compile time only)
; SGPRBlocks: 0
; VGPRBlocks: 0
; NumSGPRsForWavesPerEU: 1
; NumVGPRsForWavesPerEU: 1
; NamedBarCnt: 0
; Occupancy: 16
; WaveLimiterHint : 0
; COMPUTE_PGM_RSRC2:SCRATCH_EN: 0
; COMPUTE_PGM_RSRC2:USER_SGPR: 2
; COMPUTE_PGM_RSRC2:TRAP_HANDLER: 0
; COMPUTE_PGM_RSRC2:TGID_X_EN: 1
; COMPUTE_PGM_RSRC2:TGID_Y_EN: 0
; COMPUTE_PGM_RSRC2:TGID_Z_EN: 0
; COMPUTE_PGM_RSRC2:TIDIG_COMP_CNT: 0
	.section	.text._ZN7rocprim17ROCPRIM_400000_NS6detail17trampoline_kernelINS0_14default_configENS1_38merge_sort_block_merge_config_selectorItNS0_10empty_typeEEEZZNS1_27merge_sort_block_merge_implIS3_PtPS5_jNS1_19radix_merge_compareILb0ELb0EtNS0_19identity_decomposerEEEEE10hipError_tT0_T1_T2_jT3_P12ihipStream_tbPNSt15iterator_traitsISE_E10value_typeEPNSK_ISF_E10value_typeEPSG_NS1_7vsmem_tEENKUlT_SE_SF_SG_E_clIS8_S8_S9_S9_EESD_ST_SE_SF_SG_EUlST_E_NS1_11comp_targetILNS1_3genE3ELNS1_11target_archE908ELNS1_3gpuE7ELNS1_3repE0EEENS1_48merge_mergepath_partition_config_static_selectorELNS0_4arch9wavefront6targetE0EEEvSF_,"axG",@progbits,_ZN7rocprim17ROCPRIM_400000_NS6detail17trampoline_kernelINS0_14default_configENS1_38merge_sort_block_merge_config_selectorItNS0_10empty_typeEEEZZNS1_27merge_sort_block_merge_implIS3_PtPS5_jNS1_19radix_merge_compareILb0ELb0EtNS0_19identity_decomposerEEEEE10hipError_tT0_T1_T2_jT3_P12ihipStream_tbPNSt15iterator_traitsISE_E10value_typeEPNSK_ISF_E10value_typeEPSG_NS1_7vsmem_tEENKUlT_SE_SF_SG_E_clIS8_S8_S9_S9_EESD_ST_SE_SF_SG_EUlST_E_NS1_11comp_targetILNS1_3genE3ELNS1_11target_archE908ELNS1_3gpuE7ELNS1_3repE0EEENS1_48merge_mergepath_partition_config_static_selectorELNS0_4arch9wavefront6targetE0EEEvSF_,comdat
	.protected	_ZN7rocprim17ROCPRIM_400000_NS6detail17trampoline_kernelINS0_14default_configENS1_38merge_sort_block_merge_config_selectorItNS0_10empty_typeEEEZZNS1_27merge_sort_block_merge_implIS3_PtPS5_jNS1_19radix_merge_compareILb0ELb0EtNS0_19identity_decomposerEEEEE10hipError_tT0_T1_T2_jT3_P12ihipStream_tbPNSt15iterator_traitsISE_E10value_typeEPNSK_ISF_E10value_typeEPSG_NS1_7vsmem_tEENKUlT_SE_SF_SG_E_clIS8_S8_S9_S9_EESD_ST_SE_SF_SG_EUlST_E_NS1_11comp_targetILNS1_3genE3ELNS1_11target_archE908ELNS1_3gpuE7ELNS1_3repE0EEENS1_48merge_mergepath_partition_config_static_selectorELNS0_4arch9wavefront6targetE0EEEvSF_ ; -- Begin function _ZN7rocprim17ROCPRIM_400000_NS6detail17trampoline_kernelINS0_14default_configENS1_38merge_sort_block_merge_config_selectorItNS0_10empty_typeEEEZZNS1_27merge_sort_block_merge_implIS3_PtPS5_jNS1_19radix_merge_compareILb0ELb0EtNS0_19identity_decomposerEEEEE10hipError_tT0_T1_T2_jT3_P12ihipStream_tbPNSt15iterator_traitsISE_E10value_typeEPNSK_ISF_E10value_typeEPSG_NS1_7vsmem_tEENKUlT_SE_SF_SG_E_clIS8_S8_S9_S9_EESD_ST_SE_SF_SG_EUlST_E_NS1_11comp_targetILNS1_3genE3ELNS1_11target_archE908ELNS1_3gpuE7ELNS1_3repE0EEENS1_48merge_mergepath_partition_config_static_selectorELNS0_4arch9wavefront6targetE0EEEvSF_
	.globl	_ZN7rocprim17ROCPRIM_400000_NS6detail17trampoline_kernelINS0_14default_configENS1_38merge_sort_block_merge_config_selectorItNS0_10empty_typeEEEZZNS1_27merge_sort_block_merge_implIS3_PtPS5_jNS1_19radix_merge_compareILb0ELb0EtNS0_19identity_decomposerEEEEE10hipError_tT0_T1_T2_jT3_P12ihipStream_tbPNSt15iterator_traitsISE_E10value_typeEPNSK_ISF_E10value_typeEPSG_NS1_7vsmem_tEENKUlT_SE_SF_SG_E_clIS8_S8_S9_S9_EESD_ST_SE_SF_SG_EUlST_E_NS1_11comp_targetILNS1_3genE3ELNS1_11target_archE908ELNS1_3gpuE7ELNS1_3repE0EEENS1_48merge_mergepath_partition_config_static_selectorELNS0_4arch9wavefront6targetE0EEEvSF_
	.p2align	8
	.type	_ZN7rocprim17ROCPRIM_400000_NS6detail17trampoline_kernelINS0_14default_configENS1_38merge_sort_block_merge_config_selectorItNS0_10empty_typeEEEZZNS1_27merge_sort_block_merge_implIS3_PtPS5_jNS1_19radix_merge_compareILb0ELb0EtNS0_19identity_decomposerEEEEE10hipError_tT0_T1_T2_jT3_P12ihipStream_tbPNSt15iterator_traitsISE_E10value_typeEPNSK_ISF_E10value_typeEPSG_NS1_7vsmem_tEENKUlT_SE_SF_SG_E_clIS8_S8_S9_S9_EESD_ST_SE_SF_SG_EUlST_E_NS1_11comp_targetILNS1_3genE3ELNS1_11target_archE908ELNS1_3gpuE7ELNS1_3repE0EEENS1_48merge_mergepath_partition_config_static_selectorELNS0_4arch9wavefront6targetE0EEEvSF_,@function
_ZN7rocprim17ROCPRIM_400000_NS6detail17trampoline_kernelINS0_14default_configENS1_38merge_sort_block_merge_config_selectorItNS0_10empty_typeEEEZZNS1_27merge_sort_block_merge_implIS3_PtPS5_jNS1_19radix_merge_compareILb0ELb0EtNS0_19identity_decomposerEEEEE10hipError_tT0_T1_T2_jT3_P12ihipStream_tbPNSt15iterator_traitsISE_E10value_typeEPNSK_ISF_E10value_typeEPSG_NS1_7vsmem_tEENKUlT_SE_SF_SG_E_clIS8_S8_S9_S9_EESD_ST_SE_SF_SG_EUlST_E_NS1_11comp_targetILNS1_3genE3ELNS1_11target_archE908ELNS1_3gpuE7ELNS1_3repE0EEENS1_48merge_mergepath_partition_config_static_selectorELNS0_4arch9wavefront6targetE0EEEvSF_: ; @_ZN7rocprim17ROCPRIM_400000_NS6detail17trampoline_kernelINS0_14default_configENS1_38merge_sort_block_merge_config_selectorItNS0_10empty_typeEEEZZNS1_27merge_sort_block_merge_implIS3_PtPS5_jNS1_19radix_merge_compareILb0ELb0EtNS0_19identity_decomposerEEEEE10hipError_tT0_T1_T2_jT3_P12ihipStream_tbPNSt15iterator_traitsISE_E10value_typeEPNSK_ISF_E10value_typeEPSG_NS1_7vsmem_tEENKUlT_SE_SF_SG_E_clIS8_S8_S9_S9_EESD_ST_SE_SF_SG_EUlST_E_NS1_11comp_targetILNS1_3genE3ELNS1_11target_archE908ELNS1_3gpuE7ELNS1_3repE0EEENS1_48merge_mergepath_partition_config_static_selectorELNS0_4arch9wavefront6targetE0EEEvSF_
; %bb.0:
	.section	.rodata,"a",@progbits
	.p2align	6, 0x0
	.amdhsa_kernel _ZN7rocprim17ROCPRIM_400000_NS6detail17trampoline_kernelINS0_14default_configENS1_38merge_sort_block_merge_config_selectorItNS0_10empty_typeEEEZZNS1_27merge_sort_block_merge_implIS3_PtPS5_jNS1_19radix_merge_compareILb0ELb0EtNS0_19identity_decomposerEEEEE10hipError_tT0_T1_T2_jT3_P12ihipStream_tbPNSt15iterator_traitsISE_E10value_typeEPNSK_ISF_E10value_typeEPSG_NS1_7vsmem_tEENKUlT_SE_SF_SG_E_clIS8_S8_S9_S9_EESD_ST_SE_SF_SG_EUlST_E_NS1_11comp_targetILNS1_3genE3ELNS1_11target_archE908ELNS1_3gpuE7ELNS1_3repE0EEENS1_48merge_mergepath_partition_config_static_selectorELNS0_4arch9wavefront6targetE0EEEvSF_
		.amdhsa_group_segment_fixed_size 0
		.amdhsa_private_segment_fixed_size 0
		.amdhsa_kernarg_size 40
		.amdhsa_user_sgpr_count 2
		.amdhsa_user_sgpr_dispatch_ptr 0
		.amdhsa_user_sgpr_queue_ptr 0
		.amdhsa_user_sgpr_kernarg_segment_ptr 1
		.amdhsa_user_sgpr_dispatch_id 0
		.amdhsa_user_sgpr_kernarg_preload_length 0
		.amdhsa_user_sgpr_kernarg_preload_offset 0
		.amdhsa_user_sgpr_private_segment_size 0
		.amdhsa_wavefront_size32 1
		.amdhsa_uses_dynamic_stack 0
		.amdhsa_enable_private_segment 0
		.amdhsa_system_sgpr_workgroup_id_x 1
		.amdhsa_system_sgpr_workgroup_id_y 0
		.amdhsa_system_sgpr_workgroup_id_z 0
		.amdhsa_system_sgpr_workgroup_info 0
		.amdhsa_system_vgpr_workitem_id 0
		.amdhsa_next_free_vgpr 1
		.amdhsa_next_free_sgpr 1
		.amdhsa_named_barrier_count 0
		.amdhsa_reserve_vcc 0
		.amdhsa_float_round_mode_32 0
		.amdhsa_float_round_mode_16_64 0
		.amdhsa_float_denorm_mode_32 3
		.amdhsa_float_denorm_mode_16_64 3
		.amdhsa_fp16_overflow 0
		.amdhsa_memory_ordered 1
		.amdhsa_forward_progress 1
		.amdhsa_inst_pref_size 0
		.amdhsa_round_robin_scheduling 0
		.amdhsa_exception_fp_ieee_invalid_op 0
		.amdhsa_exception_fp_denorm_src 0
		.amdhsa_exception_fp_ieee_div_zero 0
		.amdhsa_exception_fp_ieee_overflow 0
		.amdhsa_exception_fp_ieee_underflow 0
		.amdhsa_exception_fp_ieee_inexact 0
		.amdhsa_exception_int_div_zero 0
	.end_amdhsa_kernel
	.section	.text._ZN7rocprim17ROCPRIM_400000_NS6detail17trampoline_kernelINS0_14default_configENS1_38merge_sort_block_merge_config_selectorItNS0_10empty_typeEEEZZNS1_27merge_sort_block_merge_implIS3_PtPS5_jNS1_19radix_merge_compareILb0ELb0EtNS0_19identity_decomposerEEEEE10hipError_tT0_T1_T2_jT3_P12ihipStream_tbPNSt15iterator_traitsISE_E10value_typeEPNSK_ISF_E10value_typeEPSG_NS1_7vsmem_tEENKUlT_SE_SF_SG_E_clIS8_S8_S9_S9_EESD_ST_SE_SF_SG_EUlST_E_NS1_11comp_targetILNS1_3genE3ELNS1_11target_archE908ELNS1_3gpuE7ELNS1_3repE0EEENS1_48merge_mergepath_partition_config_static_selectorELNS0_4arch9wavefront6targetE0EEEvSF_,"axG",@progbits,_ZN7rocprim17ROCPRIM_400000_NS6detail17trampoline_kernelINS0_14default_configENS1_38merge_sort_block_merge_config_selectorItNS0_10empty_typeEEEZZNS1_27merge_sort_block_merge_implIS3_PtPS5_jNS1_19radix_merge_compareILb0ELb0EtNS0_19identity_decomposerEEEEE10hipError_tT0_T1_T2_jT3_P12ihipStream_tbPNSt15iterator_traitsISE_E10value_typeEPNSK_ISF_E10value_typeEPSG_NS1_7vsmem_tEENKUlT_SE_SF_SG_E_clIS8_S8_S9_S9_EESD_ST_SE_SF_SG_EUlST_E_NS1_11comp_targetILNS1_3genE3ELNS1_11target_archE908ELNS1_3gpuE7ELNS1_3repE0EEENS1_48merge_mergepath_partition_config_static_selectorELNS0_4arch9wavefront6targetE0EEEvSF_,comdat
.Lfunc_end2435:
	.size	_ZN7rocprim17ROCPRIM_400000_NS6detail17trampoline_kernelINS0_14default_configENS1_38merge_sort_block_merge_config_selectorItNS0_10empty_typeEEEZZNS1_27merge_sort_block_merge_implIS3_PtPS5_jNS1_19radix_merge_compareILb0ELb0EtNS0_19identity_decomposerEEEEE10hipError_tT0_T1_T2_jT3_P12ihipStream_tbPNSt15iterator_traitsISE_E10value_typeEPNSK_ISF_E10value_typeEPSG_NS1_7vsmem_tEENKUlT_SE_SF_SG_E_clIS8_S8_S9_S9_EESD_ST_SE_SF_SG_EUlST_E_NS1_11comp_targetILNS1_3genE3ELNS1_11target_archE908ELNS1_3gpuE7ELNS1_3repE0EEENS1_48merge_mergepath_partition_config_static_selectorELNS0_4arch9wavefront6targetE0EEEvSF_, .Lfunc_end2435-_ZN7rocprim17ROCPRIM_400000_NS6detail17trampoline_kernelINS0_14default_configENS1_38merge_sort_block_merge_config_selectorItNS0_10empty_typeEEEZZNS1_27merge_sort_block_merge_implIS3_PtPS5_jNS1_19radix_merge_compareILb0ELb0EtNS0_19identity_decomposerEEEEE10hipError_tT0_T1_T2_jT3_P12ihipStream_tbPNSt15iterator_traitsISE_E10value_typeEPNSK_ISF_E10value_typeEPSG_NS1_7vsmem_tEENKUlT_SE_SF_SG_E_clIS8_S8_S9_S9_EESD_ST_SE_SF_SG_EUlST_E_NS1_11comp_targetILNS1_3genE3ELNS1_11target_archE908ELNS1_3gpuE7ELNS1_3repE0EEENS1_48merge_mergepath_partition_config_static_selectorELNS0_4arch9wavefront6targetE0EEEvSF_
                                        ; -- End function
	.set _ZN7rocprim17ROCPRIM_400000_NS6detail17trampoline_kernelINS0_14default_configENS1_38merge_sort_block_merge_config_selectorItNS0_10empty_typeEEEZZNS1_27merge_sort_block_merge_implIS3_PtPS5_jNS1_19radix_merge_compareILb0ELb0EtNS0_19identity_decomposerEEEEE10hipError_tT0_T1_T2_jT3_P12ihipStream_tbPNSt15iterator_traitsISE_E10value_typeEPNSK_ISF_E10value_typeEPSG_NS1_7vsmem_tEENKUlT_SE_SF_SG_E_clIS8_S8_S9_S9_EESD_ST_SE_SF_SG_EUlST_E_NS1_11comp_targetILNS1_3genE3ELNS1_11target_archE908ELNS1_3gpuE7ELNS1_3repE0EEENS1_48merge_mergepath_partition_config_static_selectorELNS0_4arch9wavefront6targetE0EEEvSF_.num_vgpr, 0
	.set _ZN7rocprim17ROCPRIM_400000_NS6detail17trampoline_kernelINS0_14default_configENS1_38merge_sort_block_merge_config_selectorItNS0_10empty_typeEEEZZNS1_27merge_sort_block_merge_implIS3_PtPS5_jNS1_19radix_merge_compareILb0ELb0EtNS0_19identity_decomposerEEEEE10hipError_tT0_T1_T2_jT3_P12ihipStream_tbPNSt15iterator_traitsISE_E10value_typeEPNSK_ISF_E10value_typeEPSG_NS1_7vsmem_tEENKUlT_SE_SF_SG_E_clIS8_S8_S9_S9_EESD_ST_SE_SF_SG_EUlST_E_NS1_11comp_targetILNS1_3genE3ELNS1_11target_archE908ELNS1_3gpuE7ELNS1_3repE0EEENS1_48merge_mergepath_partition_config_static_selectorELNS0_4arch9wavefront6targetE0EEEvSF_.num_agpr, 0
	.set _ZN7rocprim17ROCPRIM_400000_NS6detail17trampoline_kernelINS0_14default_configENS1_38merge_sort_block_merge_config_selectorItNS0_10empty_typeEEEZZNS1_27merge_sort_block_merge_implIS3_PtPS5_jNS1_19radix_merge_compareILb0ELb0EtNS0_19identity_decomposerEEEEE10hipError_tT0_T1_T2_jT3_P12ihipStream_tbPNSt15iterator_traitsISE_E10value_typeEPNSK_ISF_E10value_typeEPSG_NS1_7vsmem_tEENKUlT_SE_SF_SG_E_clIS8_S8_S9_S9_EESD_ST_SE_SF_SG_EUlST_E_NS1_11comp_targetILNS1_3genE3ELNS1_11target_archE908ELNS1_3gpuE7ELNS1_3repE0EEENS1_48merge_mergepath_partition_config_static_selectorELNS0_4arch9wavefront6targetE0EEEvSF_.numbered_sgpr, 0
	.set _ZN7rocprim17ROCPRIM_400000_NS6detail17trampoline_kernelINS0_14default_configENS1_38merge_sort_block_merge_config_selectorItNS0_10empty_typeEEEZZNS1_27merge_sort_block_merge_implIS3_PtPS5_jNS1_19radix_merge_compareILb0ELb0EtNS0_19identity_decomposerEEEEE10hipError_tT0_T1_T2_jT3_P12ihipStream_tbPNSt15iterator_traitsISE_E10value_typeEPNSK_ISF_E10value_typeEPSG_NS1_7vsmem_tEENKUlT_SE_SF_SG_E_clIS8_S8_S9_S9_EESD_ST_SE_SF_SG_EUlST_E_NS1_11comp_targetILNS1_3genE3ELNS1_11target_archE908ELNS1_3gpuE7ELNS1_3repE0EEENS1_48merge_mergepath_partition_config_static_selectorELNS0_4arch9wavefront6targetE0EEEvSF_.num_named_barrier, 0
	.set _ZN7rocprim17ROCPRIM_400000_NS6detail17trampoline_kernelINS0_14default_configENS1_38merge_sort_block_merge_config_selectorItNS0_10empty_typeEEEZZNS1_27merge_sort_block_merge_implIS3_PtPS5_jNS1_19radix_merge_compareILb0ELb0EtNS0_19identity_decomposerEEEEE10hipError_tT0_T1_T2_jT3_P12ihipStream_tbPNSt15iterator_traitsISE_E10value_typeEPNSK_ISF_E10value_typeEPSG_NS1_7vsmem_tEENKUlT_SE_SF_SG_E_clIS8_S8_S9_S9_EESD_ST_SE_SF_SG_EUlST_E_NS1_11comp_targetILNS1_3genE3ELNS1_11target_archE908ELNS1_3gpuE7ELNS1_3repE0EEENS1_48merge_mergepath_partition_config_static_selectorELNS0_4arch9wavefront6targetE0EEEvSF_.private_seg_size, 0
	.set _ZN7rocprim17ROCPRIM_400000_NS6detail17trampoline_kernelINS0_14default_configENS1_38merge_sort_block_merge_config_selectorItNS0_10empty_typeEEEZZNS1_27merge_sort_block_merge_implIS3_PtPS5_jNS1_19radix_merge_compareILb0ELb0EtNS0_19identity_decomposerEEEEE10hipError_tT0_T1_T2_jT3_P12ihipStream_tbPNSt15iterator_traitsISE_E10value_typeEPNSK_ISF_E10value_typeEPSG_NS1_7vsmem_tEENKUlT_SE_SF_SG_E_clIS8_S8_S9_S9_EESD_ST_SE_SF_SG_EUlST_E_NS1_11comp_targetILNS1_3genE3ELNS1_11target_archE908ELNS1_3gpuE7ELNS1_3repE0EEENS1_48merge_mergepath_partition_config_static_selectorELNS0_4arch9wavefront6targetE0EEEvSF_.uses_vcc, 0
	.set _ZN7rocprim17ROCPRIM_400000_NS6detail17trampoline_kernelINS0_14default_configENS1_38merge_sort_block_merge_config_selectorItNS0_10empty_typeEEEZZNS1_27merge_sort_block_merge_implIS3_PtPS5_jNS1_19radix_merge_compareILb0ELb0EtNS0_19identity_decomposerEEEEE10hipError_tT0_T1_T2_jT3_P12ihipStream_tbPNSt15iterator_traitsISE_E10value_typeEPNSK_ISF_E10value_typeEPSG_NS1_7vsmem_tEENKUlT_SE_SF_SG_E_clIS8_S8_S9_S9_EESD_ST_SE_SF_SG_EUlST_E_NS1_11comp_targetILNS1_3genE3ELNS1_11target_archE908ELNS1_3gpuE7ELNS1_3repE0EEENS1_48merge_mergepath_partition_config_static_selectorELNS0_4arch9wavefront6targetE0EEEvSF_.uses_flat_scratch, 0
	.set _ZN7rocprim17ROCPRIM_400000_NS6detail17trampoline_kernelINS0_14default_configENS1_38merge_sort_block_merge_config_selectorItNS0_10empty_typeEEEZZNS1_27merge_sort_block_merge_implIS3_PtPS5_jNS1_19radix_merge_compareILb0ELb0EtNS0_19identity_decomposerEEEEE10hipError_tT0_T1_T2_jT3_P12ihipStream_tbPNSt15iterator_traitsISE_E10value_typeEPNSK_ISF_E10value_typeEPSG_NS1_7vsmem_tEENKUlT_SE_SF_SG_E_clIS8_S8_S9_S9_EESD_ST_SE_SF_SG_EUlST_E_NS1_11comp_targetILNS1_3genE3ELNS1_11target_archE908ELNS1_3gpuE7ELNS1_3repE0EEENS1_48merge_mergepath_partition_config_static_selectorELNS0_4arch9wavefront6targetE0EEEvSF_.has_dyn_sized_stack, 0
	.set _ZN7rocprim17ROCPRIM_400000_NS6detail17trampoline_kernelINS0_14default_configENS1_38merge_sort_block_merge_config_selectorItNS0_10empty_typeEEEZZNS1_27merge_sort_block_merge_implIS3_PtPS5_jNS1_19radix_merge_compareILb0ELb0EtNS0_19identity_decomposerEEEEE10hipError_tT0_T1_T2_jT3_P12ihipStream_tbPNSt15iterator_traitsISE_E10value_typeEPNSK_ISF_E10value_typeEPSG_NS1_7vsmem_tEENKUlT_SE_SF_SG_E_clIS8_S8_S9_S9_EESD_ST_SE_SF_SG_EUlST_E_NS1_11comp_targetILNS1_3genE3ELNS1_11target_archE908ELNS1_3gpuE7ELNS1_3repE0EEENS1_48merge_mergepath_partition_config_static_selectorELNS0_4arch9wavefront6targetE0EEEvSF_.has_recursion, 0
	.set _ZN7rocprim17ROCPRIM_400000_NS6detail17trampoline_kernelINS0_14default_configENS1_38merge_sort_block_merge_config_selectorItNS0_10empty_typeEEEZZNS1_27merge_sort_block_merge_implIS3_PtPS5_jNS1_19radix_merge_compareILb0ELb0EtNS0_19identity_decomposerEEEEE10hipError_tT0_T1_T2_jT3_P12ihipStream_tbPNSt15iterator_traitsISE_E10value_typeEPNSK_ISF_E10value_typeEPSG_NS1_7vsmem_tEENKUlT_SE_SF_SG_E_clIS8_S8_S9_S9_EESD_ST_SE_SF_SG_EUlST_E_NS1_11comp_targetILNS1_3genE3ELNS1_11target_archE908ELNS1_3gpuE7ELNS1_3repE0EEENS1_48merge_mergepath_partition_config_static_selectorELNS0_4arch9wavefront6targetE0EEEvSF_.has_indirect_call, 0
	.section	.AMDGPU.csdata,"",@progbits
; Kernel info:
; codeLenInByte = 0
; TotalNumSgprs: 0
; NumVgprs: 0
; ScratchSize: 0
; MemoryBound: 0
; FloatMode: 240
; IeeeMode: 1
; LDSByteSize: 0 bytes/workgroup (compile time only)
; SGPRBlocks: 0
; VGPRBlocks: 0
; NumSGPRsForWavesPerEU: 1
; NumVGPRsForWavesPerEU: 1
; NamedBarCnt: 0
; Occupancy: 16
; WaveLimiterHint : 0
; COMPUTE_PGM_RSRC2:SCRATCH_EN: 0
; COMPUTE_PGM_RSRC2:USER_SGPR: 2
; COMPUTE_PGM_RSRC2:TRAP_HANDLER: 0
; COMPUTE_PGM_RSRC2:TGID_X_EN: 1
; COMPUTE_PGM_RSRC2:TGID_Y_EN: 0
; COMPUTE_PGM_RSRC2:TGID_Z_EN: 0
; COMPUTE_PGM_RSRC2:TIDIG_COMP_CNT: 0
	.section	.text._ZN7rocprim17ROCPRIM_400000_NS6detail17trampoline_kernelINS0_14default_configENS1_38merge_sort_block_merge_config_selectorItNS0_10empty_typeEEEZZNS1_27merge_sort_block_merge_implIS3_PtPS5_jNS1_19radix_merge_compareILb0ELb0EtNS0_19identity_decomposerEEEEE10hipError_tT0_T1_T2_jT3_P12ihipStream_tbPNSt15iterator_traitsISE_E10value_typeEPNSK_ISF_E10value_typeEPSG_NS1_7vsmem_tEENKUlT_SE_SF_SG_E_clIS8_S8_S9_S9_EESD_ST_SE_SF_SG_EUlST_E_NS1_11comp_targetILNS1_3genE2ELNS1_11target_archE906ELNS1_3gpuE6ELNS1_3repE0EEENS1_48merge_mergepath_partition_config_static_selectorELNS0_4arch9wavefront6targetE0EEEvSF_,"axG",@progbits,_ZN7rocprim17ROCPRIM_400000_NS6detail17trampoline_kernelINS0_14default_configENS1_38merge_sort_block_merge_config_selectorItNS0_10empty_typeEEEZZNS1_27merge_sort_block_merge_implIS3_PtPS5_jNS1_19radix_merge_compareILb0ELb0EtNS0_19identity_decomposerEEEEE10hipError_tT0_T1_T2_jT3_P12ihipStream_tbPNSt15iterator_traitsISE_E10value_typeEPNSK_ISF_E10value_typeEPSG_NS1_7vsmem_tEENKUlT_SE_SF_SG_E_clIS8_S8_S9_S9_EESD_ST_SE_SF_SG_EUlST_E_NS1_11comp_targetILNS1_3genE2ELNS1_11target_archE906ELNS1_3gpuE6ELNS1_3repE0EEENS1_48merge_mergepath_partition_config_static_selectorELNS0_4arch9wavefront6targetE0EEEvSF_,comdat
	.protected	_ZN7rocprim17ROCPRIM_400000_NS6detail17trampoline_kernelINS0_14default_configENS1_38merge_sort_block_merge_config_selectorItNS0_10empty_typeEEEZZNS1_27merge_sort_block_merge_implIS3_PtPS5_jNS1_19radix_merge_compareILb0ELb0EtNS0_19identity_decomposerEEEEE10hipError_tT0_T1_T2_jT3_P12ihipStream_tbPNSt15iterator_traitsISE_E10value_typeEPNSK_ISF_E10value_typeEPSG_NS1_7vsmem_tEENKUlT_SE_SF_SG_E_clIS8_S8_S9_S9_EESD_ST_SE_SF_SG_EUlST_E_NS1_11comp_targetILNS1_3genE2ELNS1_11target_archE906ELNS1_3gpuE6ELNS1_3repE0EEENS1_48merge_mergepath_partition_config_static_selectorELNS0_4arch9wavefront6targetE0EEEvSF_ ; -- Begin function _ZN7rocprim17ROCPRIM_400000_NS6detail17trampoline_kernelINS0_14default_configENS1_38merge_sort_block_merge_config_selectorItNS0_10empty_typeEEEZZNS1_27merge_sort_block_merge_implIS3_PtPS5_jNS1_19radix_merge_compareILb0ELb0EtNS0_19identity_decomposerEEEEE10hipError_tT0_T1_T2_jT3_P12ihipStream_tbPNSt15iterator_traitsISE_E10value_typeEPNSK_ISF_E10value_typeEPSG_NS1_7vsmem_tEENKUlT_SE_SF_SG_E_clIS8_S8_S9_S9_EESD_ST_SE_SF_SG_EUlST_E_NS1_11comp_targetILNS1_3genE2ELNS1_11target_archE906ELNS1_3gpuE6ELNS1_3repE0EEENS1_48merge_mergepath_partition_config_static_selectorELNS0_4arch9wavefront6targetE0EEEvSF_
	.globl	_ZN7rocprim17ROCPRIM_400000_NS6detail17trampoline_kernelINS0_14default_configENS1_38merge_sort_block_merge_config_selectorItNS0_10empty_typeEEEZZNS1_27merge_sort_block_merge_implIS3_PtPS5_jNS1_19radix_merge_compareILb0ELb0EtNS0_19identity_decomposerEEEEE10hipError_tT0_T1_T2_jT3_P12ihipStream_tbPNSt15iterator_traitsISE_E10value_typeEPNSK_ISF_E10value_typeEPSG_NS1_7vsmem_tEENKUlT_SE_SF_SG_E_clIS8_S8_S9_S9_EESD_ST_SE_SF_SG_EUlST_E_NS1_11comp_targetILNS1_3genE2ELNS1_11target_archE906ELNS1_3gpuE6ELNS1_3repE0EEENS1_48merge_mergepath_partition_config_static_selectorELNS0_4arch9wavefront6targetE0EEEvSF_
	.p2align	8
	.type	_ZN7rocprim17ROCPRIM_400000_NS6detail17trampoline_kernelINS0_14default_configENS1_38merge_sort_block_merge_config_selectorItNS0_10empty_typeEEEZZNS1_27merge_sort_block_merge_implIS3_PtPS5_jNS1_19radix_merge_compareILb0ELb0EtNS0_19identity_decomposerEEEEE10hipError_tT0_T1_T2_jT3_P12ihipStream_tbPNSt15iterator_traitsISE_E10value_typeEPNSK_ISF_E10value_typeEPSG_NS1_7vsmem_tEENKUlT_SE_SF_SG_E_clIS8_S8_S9_S9_EESD_ST_SE_SF_SG_EUlST_E_NS1_11comp_targetILNS1_3genE2ELNS1_11target_archE906ELNS1_3gpuE6ELNS1_3repE0EEENS1_48merge_mergepath_partition_config_static_selectorELNS0_4arch9wavefront6targetE0EEEvSF_,@function
_ZN7rocprim17ROCPRIM_400000_NS6detail17trampoline_kernelINS0_14default_configENS1_38merge_sort_block_merge_config_selectorItNS0_10empty_typeEEEZZNS1_27merge_sort_block_merge_implIS3_PtPS5_jNS1_19radix_merge_compareILb0ELb0EtNS0_19identity_decomposerEEEEE10hipError_tT0_T1_T2_jT3_P12ihipStream_tbPNSt15iterator_traitsISE_E10value_typeEPNSK_ISF_E10value_typeEPSG_NS1_7vsmem_tEENKUlT_SE_SF_SG_E_clIS8_S8_S9_S9_EESD_ST_SE_SF_SG_EUlST_E_NS1_11comp_targetILNS1_3genE2ELNS1_11target_archE906ELNS1_3gpuE6ELNS1_3repE0EEENS1_48merge_mergepath_partition_config_static_selectorELNS0_4arch9wavefront6targetE0EEEvSF_: ; @_ZN7rocprim17ROCPRIM_400000_NS6detail17trampoline_kernelINS0_14default_configENS1_38merge_sort_block_merge_config_selectorItNS0_10empty_typeEEEZZNS1_27merge_sort_block_merge_implIS3_PtPS5_jNS1_19radix_merge_compareILb0ELb0EtNS0_19identity_decomposerEEEEE10hipError_tT0_T1_T2_jT3_P12ihipStream_tbPNSt15iterator_traitsISE_E10value_typeEPNSK_ISF_E10value_typeEPSG_NS1_7vsmem_tEENKUlT_SE_SF_SG_E_clIS8_S8_S9_S9_EESD_ST_SE_SF_SG_EUlST_E_NS1_11comp_targetILNS1_3genE2ELNS1_11target_archE906ELNS1_3gpuE6ELNS1_3repE0EEENS1_48merge_mergepath_partition_config_static_selectorELNS0_4arch9wavefront6targetE0EEEvSF_
; %bb.0:
	.section	.rodata,"a",@progbits
	.p2align	6, 0x0
	.amdhsa_kernel _ZN7rocprim17ROCPRIM_400000_NS6detail17trampoline_kernelINS0_14default_configENS1_38merge_sort_block_merge_config_selectorItNS0_10empty_typeEEEZZNS1_27merge_sort_block_merge_implIS3_PtPS5_jNS1_19radix_merge_compareILb0ELb0EtNS0_19identity_decomposerEEEEE10hipError_tT0_T1_T2_jT3_P12ihipStream_tbPNSt15iterator_traitsISE_E10value_typeEPNSK_ISF_E10value_typeEPSG_NS1_7vsmem_tEENKUlT_SE_SF_SG_E_clIS8_S8_S9_S9_EESD_ST_SE_SF_SG_EUlST_E_NS1_11comp_targetILNS1_3genE2ELNS1_11target_archE906ELNS1_3gpuE6ELNS1_3repE0EEENS1_48merge_mergepath_partition_config_static_selectorELNS0_4arch9wavefront6targetE0EEEvSF_
		.amdhsa_group_segment_fixed_size 0
		.amdhsa_private_segment_fixed_size 0
		.amdhsa_kernarg_size 40
		.amdhsa_user_sgpr_count 2
		.amdhsa_user_sgpr_dispatch_ptr 0
		.amdhsa_user_sgpr_queue_ptr 0
		.amdhsa_user_sgpr_kernarg_segment_ptr 1
		.amdhsa_user_sgpr_dispatch_id 0
		.amdhsa_user_sgpr_kernarg_preload_length 0
		.amdhsa_user_sgpr_kernarg_preload_offset 0
		.amdhsa_user_sgpr_private_segment_size 0
		.amdhsa_wavefront_size32 1
		.amdhsa_uses_dynamic_stack 0
		.amdhsa_enable_private_segment 0
		.amdhsa_system_sgpr_workgroup_id_x 1
		.amdhsa_system_sgpr_workgroup_id_y 0
		.amdhsa_system_sgpr_workgroup_id_z 0
		.amdhsa_system_sgpr_workgroup_info 0
		.amdhsa_system_vgpr_workitem_id 0
		.amdhsa_next_free_vgpr 1
		.amdhsa_next_free_sgpr 1
		.amdhsa_named_barrier_count 0
		.amdhsa_reserve_vcc 0
		.amdhsa_float_round_mode_32 0
		.amdhsa_float_round_mode_16_64 0
		.amdhsa_float_denorm_mode_32 3
		.amdhsa_float_denorm_mode_16_64 3
		.amdhsa_fp16_overflow 0
		.amdhsa_memory_ordered 1
		.amdhsa_forward_progress 1
		.amdhsa_inst_pref_size 0
		.amdhsa_round_robin_scheduling 0
		.amdhsa_exception_fp_ieee_invalid_op 0
		.amdhsa_exception_fp_denorm_src 0
		.amdhsa_exception_fp_ieee_div_zero 0
		.amdhsa_exception_fp_ieee_overflow 0
		.amdhsa_exception_fp_ieee_underflow 0
		.amdhsa_exception_fp_ieee_inexact 0
		.amdhsa_exception_int_div_zero 0
	.end_amdhsa_kernel
	.section	.text._ZN7rocprim17ROCPRIM_400000_NS6detail17trampoline_kernelINS0_14default_configENS1_38merge_sort_block_merge_config_selectorItNS0_10empty_typeEEEZZNS1_27merge_sort_block_merge_implIS3_PtPS5_jNS1_19radix_merge_compareILb0ELb0EtNS0_19identity_decomposerEEEEE10hipError_tT0_T1_T2_jT3_P12ihipStream_tbPNSt15iterator_traitsISE_E10value_typeEPNSK_ISF_E10value_typeEPSG_NS1_7vsmem_tEENKUlT_SE_SF_SG_E_clIS8_S8_S9_S9_EESD_ST_SE_SF_SG_EUlST_E_NS1_11comp_targetILNS1_3genE2ELNS1_11target_archE906ELNS1_3gpuE6ELNS1_3repE0EEENS1_48merge_mergepath_partition_config_static_selectorELNS0_4arch9wavefront6targetE0EEEvSF_,"axG",@progbits,_ZN7rocprim17ROCPRIM_400000_NS6detail17trampoline_kernelINS0_14default_configENS1_38merge_sort_block_merge_config_selectorItNS0_10empty_typeEEEZZNS1_27merge_sort_block_merge_implIS3_PtPS5_jNS1_19radix_merge_compareILb0ELb0EtNS0_19identity_decomposerEEEEE10hipError_tT0_T1_T2_jT3_P12ihipStream_tbPNSt15iterator_traitsISE_E10value_typeEPNSK_ISF_E10value_typeEPSG_NS1_7vsmem_tEENKUlT_SE_SF_SG_E_clIS8_S8_S9_S9_EESD_ST_SE_SF_SG_EUlST_E_NS1_11comp_targetILNS1_3genE2ELNS1_11target_archE906ELNS1_3gpuE6ELNS1_3repE0EEENS1_48merge_mergepath_partition_config_static_selectorELNS0_4arch9wavefront6targetE0EEEvSF_,comdat
.Lfunc_end2436:
	.size	_ZN7rocprim17ROCPRIM_400000_NS6detail17trampoline_kernelINS0_14default_configENS1_38merge_sort_block_merge_config_selectorItNS0_10empty_typeEEEZZNS1_27merge_sort_block_merge_implIS3_PtPS5_jNS1_19radix_merge_compareILb0ELb0EtNS0_19identity_decomposerEEEEE10hipError_tT0_T1_T2_jT3_P12ihipStream_tbPNSt15iterator_traitsISE_E10value_typeEPNSK_ISF_E10value_typeEPSG_NS1_7vsmem_tEENKUlT_SE_SF_SG_E_clIS8_S8_S9_S9_EESD_ST_SE_SF_SG_EUlST_E_NS1_11comp_targetILNS1_3genE2ELNS1_11target_archE906ELNS1_3gpuE6ELNS1_3repE0EEENS1_48merge_mergepath_partition_config_static_selectorELNS0_4arch9wavefront6targetE0EEEvSF_, .Lfunc_end2436-_ZN7rocprim17ROCPRIM_400000_NS6detail17trampoline_kernelINS0_14default_configENS1_38merge_sort_block_merge_config_selectorItNS0_10empty_typeEEEZZNS1_27merge_sort_block_merge_implIS3_PtPS5_jNS1_19radix_merge_compareILb0ELb0EtNS0_19identity_decomposerEEEEE10hipError_tT0_T1_T2_jT3_P12ihipStream_tbPNSt15iterator_traitsISE_E10value_typeEPNSK_ISF_E10value_typeEPSG_NS1_7vsmem_tEENKUlT_SE_SF_SG_E_clIS8_S8_S9_S9_EESD_ST_SE_SF_SG_EUlST_E_NS1_11comp_targetILNS1_3genE2ELNS1_11target_archE906ELNS1_3gpuE6ELNS1_3repE0EEENS1_48merge_mergepath_partition_config_static_selectorELNS0_4arch9wavefront6targetE0EEEvSF_
                                        ; -- End function
	.set _ZN7rocprim17ROCPRIM_400000_NS6detail17trampoline_kernelINS0_14default_configENS1_38merge_sort_block_merge_config_selectorItNS0_10empty_typeEEEZZNS1_27merge_sort_block_merge_implIS3_PtPS5_jNS1_19radix_merge_compareILb0ELb0EtNS0_19identity_decomposerEEEEE10hipError_tT0_T1_T2_jT3_P12ihipStream_tbPNSt15iterator_traitsISE_E10value_typeEPNSK_ISF_E10value_typeEPSG_NS1_7vsmem_tEENKUlT_SE_SF_SG_E_clIS8_S8_S9_S9_EESD_ST_SE_SF_SG_EUlST_E_NS1_11comp_targetILNS1_3genE2ELNS1_11target_archE906ELNS1_3gpuE6ELNS1_3repE0EEENS1_48merge_mergepath_partition_config_static_selectorELNS0_4arch9wavefront6targetE0EEEvSF_.num_vgpr, 0
	.set _ZN7rocprim17ROCPRIM_400000_NS6detail17trampoline_kernelINS0_14default_configENS1_38merge_sort_block_merge_config_selectorItNS0_10empty_typeEEEZZNS1_27merge_sort_block_merge_implIS3_PtPS5_jNS1_19radix_merge_compareILb0ELb0EtNS0_19identity_decomposerEEEEE10hipError_tT0_T1_T2_jT3_P12ihipStream_tbPNSt15iterator_traitsISE_E10value_typeEPNSK_ISF_E10value_typeEPSG_NS1_7vsmem_tEENKUlT_SE_SF_SG_E_clIS8_S8_S9_S9_EESD_ST_SE_SF_SG_EUlST_E_NS1_11comp_targetILNS1_3genE2ELNS1_11target_archE906ELNS1_3gpuE6ELNS1_3repE0EEENS1_48merge_mergepath_partition_config_static_selectorELNS0_4arch9wavefront6targetE0EEEvSF_.num_agpr, 0
	.set _ZN7rocprim17ROCPRIM_400000_NS6detail17trampoline_kernelINS0_14default_configENS1_38merge_sort_block_merge_config_selectorItNS0_10empty_typeEEEZZNS1_27merge_sort_block_merge_implIS3_PtPS5_jNS1_19radix_merge_compareILb0ELb0EtNS0_19identity_decomposerEEEEE10hipError_tT0_T1_T2_jT3_P12ihipStream_tbPNSt15iterator_traitsISE_E10value_typeEPNSK_ISF_E10value_typeEPSG_NS1_7vsmem_tEENKUlT_SE_SF_SG_E_clIS8_S8_S9_S9_EESD_ST_SE_SF_SG_EUlST_E_NS1_11comp_targetILNS1_3genE2ELNS1_11target_archE906ELNS1_3gpuE6ELNS1_3repE0EEENS1_48merge_mergepath_partition_config_static_selectorELNS0_4arch9wavefront6targetE0EEEvSF_.numbered_sgpr, 0
	.set _ZN7rocprim17ROCPRIM_400000_NS6detail17trampoline_kernelINS0_14default_configENS1_38merge_sort_block_merge_config_selectorItNS0_10empty_typeEEEZZNS1_27merge_sort_block_merge_implIS3_PtPS5_jNS1_19radix_merge_compareILb0ELb0EtNS0_19identity_decomposerEEEEE10hipError_tT0_T1_T2_jT3_P12ihipStream_tbPNSt15iterator_traitsISE_E10value_typeEPNSK_ISF_E10value_typeEPSG_NS1_7vsmem_tEENKUlT_SE_SF_SG_E_clIS8_S8_S9_S9_EESD_ST_SE_SF_SG_EUlST_E_NS1_11comp_targetILNS1_3genE2ELNS1_11target_archE906ELNS1_3gpuE6ELNS1_3repE0EEENS1_48merge_mergepath_partition_config_static_selectorELNS0_4arch9wavefront6targetE0EEEvSF_.num_named_barrier, 0
	.set _ZN7rocprim17ROCPRIM_400000_NS6detail17trampoline_kernelINS0_14default_configENS1_38merge_sort_block_merge_config_selectorItNS0_10empty_typeEEEZZNS1_27merge_sort_block_merge_implIS3_PtPS5_jNS1_19radix_merge_compareILb0ELb0EtNS0_19identity_decomposerEEEEE10hipError_tT0_T1_T2_jT3_P12ihipStream_tbPNSt15iterator_traitsISE_E10value_typeEPNSK_ISF_E10value_typeEPSG_NS1_7vsmem_tEENKUlT_SE_SF_SG_E_clIS8_S8_S9_S9_EESD_ST_SE_SF_SG_EUlST_E_NS1_11comp_targetILNS1_3genE2ELNS1_11target_archE906ELNS1_3gpuE6ELNS1_3repE0EEENS1_48merge_mergepath_partition_config_static_selectorELNS0_4arch9wavefront6targetE0EEEvSF_.private_seg_size, 0
	.set _ZN7rocprim17ROCPRIM_400000_NS6detail17trampoline_kernelINS0_14default_configENS1_38merge_sort_block_merge_config_selectorItNS0_10empty_typeEEEZZNS1_27merge_sort_block_merge_implIS3_PtPS5_jNS1_19radix_merge_compareILb0ELb0EtNS0_19identity_decomposerEEEEE10hipError_tT0_T1_T2_jT3_P12ihipStream_tbPNSt15iterator_traitsISE_E10value_typeEPNSK_ISF_E10value_typeEPSG_NS1_7vsmem_tEENKUlT_SE_SF_SG_E_clIS8_S8_S9_S9_EESD_ST_SE_SF_SG_EUlST_E_NS1_11comp_targetILNS1_3genE2ELNS1_11target_archE906ELNS1_3gpuE6ELNS1_3repE0EEENS1_48merge_mergepath_partition_config_static_selectorELNS0_4arch9wavefront6targetE0EEEvSF_.uses_vcc, 0
	.set _ZN7rocprim17ROCPRIM_400000_NS6detail17trampoline_kernelINS0_14default_configENS1_38merge_sort_block_merge_config_selectorItNS0_10empty_typeEEEZZNS1_27merge_sort_block_merge_implIS3_PtPS5_jNS1_19radix_merge_compareILb0ELb0EtNS0_19identity_decomposerEEEEE10hipError_tT0_T1_T2_jT3_P12ihipStream_tbPNSt15iterator_traitsISE_E10value_typeEPNSK_ISF_E10value_typeEPSG_NS1_7vsmem_tEENKUlT_SE_SF_SG_E_clIS8_S8_S9_S9_EESD_ST_SE_SF_SG_EUlST_E_NS1_11comp_targetILNS1_3genE2ELNS1_11target_archE906ELNS1_3gpuE6ELNS1_3repE0EEENS1_48merge_mergepath_partition_config_static_selectorELNS0_4arch9wavefront6targetE0EEEvSF_.uses_flat_scratch, 0
	.set _ZN7rocprim17ROCPRIM_400000_NS6detail17trampoline_kernelINS0_14default_configENS1_38merge_sort_block_merge_config_selectorItNS0_10empty_typeEEEZZNS1_27merge_sort_block_merge_implIS3_PtPS5_jNS1_19radix_merge_compareILb0ELb0EtNS0_19identity_decomposerEEEEE10hipError_tT0_T1_T2_jT3_P12ihipStream_tbPNSt15iterator_traitsISE_E10value_typeEPNSK_ISF_E10value_typeEPSG_NS1_7vsmem_tEENKUlT_SE_SF_SG_E_clIS8_S8_S9_S9_EESD_ST_SE_SF_SG_EUlST_E_NS1_11comp_targetILNS1_3genE2ELNS1_11target_archE906ELNS1_3gpuE6ELNS1_3repE0EEENS1_48merge_mergepath_partition_config_static_selectorELNS0_4arch9wavefront6targetE0EEEvSF_.has_dyn_sized_stack, 0
	.set _ZN7rocprim17ROCPRIM_400000_NS6detail17trampoline_kernelINS0_14default_configENS1_38merge_sort_block_merge_config_selectorItNS0_10empty_typeEEEZZNS1_27merge_sort_block_merge_implIS3_PtPS5_jNS1_19radix_merge_compareILb0ELb0EtNS0_19identity_decomposerEEEEE10hipError_tT0_T1_T2_jT3_P12ihipStream_tbPNSt15iterator_traitsISE_E10value_typeEPNSK_ISF_E10value_typeEPSG_NS1_7vsmem_tEENKUlT_SE_SF_SG_E_clIS8_S8_S9_S9_EESD_ST_SE_SF_SG_EUlST_E_NS1_11comp_targetILNS1_3genE2ELNS1_11target_archE906ELNS1_3gpuE6ELNS1_3repE0EEENS1_48merge_mergepath_partition_config_static_selectorELNS0_4arch9wavefront6targetE0EEEvSF_.has_recursion, 0
	.set _ZN7rocprim17ROCPRIM_400000_NS6detail17trampoline_kernelINS0_14default_configENS1_38merge_sort_block_merge_config_selectorItNS0_10empty_typeEEEZZNS1_27merge_sort_block_merge_implIS3_PtPS5_jNS1_19radix_merge_compareILb0ELb0EtNS0_19identity_decomposerEEEEE10hipError_tT0_T1_T2_jT3_P12ihipStream_tbPNSt15iterator_traitsISE_E10value_typeEPNSK_ISF_E10value_typeEPSG_NS1_7vsmem_tEENKUlT_SE_SF_SG_E_clIS8_S8_S9_S9_EESD_ST_SE_SF_SG_EUlST_E_NS1_11comp_targetILNS1_3genE2ELNS1_11target_archE906ELNS1_3gpuE6ELNS1_3repE0EEENS1_48merge_mergepath_partition_config_static_selectorELNS0_4arch9wavefront6targetE0EEEvSF_.has_indirect_call, 0
	.section	.AMDGPU.csdata,"",@progbits
; Kernel info:
; codeLenInByte = 0
; TotalNumSgprs: 0
; NumVgprs: 0
; ScratchSize: 0
; MemoryBound: 0
; FloatMode: 240
; IeeeMode: 1
; LDSByteSize: 0 bytes/workgroup (compile time only)
; SGPRBlocks: 0
; VGPRBlocks: 0
; NumSGPRsForWavesPerEU: 1
; NumVGPRsForWavesPerEU: 1
; NamedBarCnt: 0
; Occupancy: 16
; WaveLimiterHint : 0
; COMPUTE_PGM_RSRC2:SCRATCH_EN: 0
; COMPUTE_PGM_RSRC2:USER_SGPR: 2
; COMPUTE_PGM_RSRC2:TRAP_HANDLER: 0
; COMPUTE_PGM_RSRC2:TGID_X_EN: 1
; COMPUTE_PGM_RSRC2:TGID_Y_EN: 0
; COMPUTE_PGM_RSRC2:TGID_Z_EN: 0
; COMPUTE_PGM_RSRC2:TIDIG_COMP_CNT: 0
	.section	.text._ZN7rocprim17ROCPRIM_400000_NS6detail17trampoline_kernelINS0_14default_configENS1_38merge_sort_block_merge_config_selectorItNS0_10empty_typeEEEZZNS1_27merge_sort_block_merge_implIS3_PtPS5_jNS1_19radix_merge_compareILb0ELb0EtNS0_19identity_decomposerEEEEE10hipError_tT0_T1_T2_jT3_P12ihipStream_tbPNSt15iterator_traitsISE_E10value_typeEPNSK_ISF_E10value_typeEPSG_NS1_7vsmem_tEENKUlT_SE_SF_SG_E_clIS8_S8_S9_S9_EESD_ST_SE_SF_SG_EUlST_E_NS1_11comp_targetILNS1_3genE9ELNS1_11target_archE1100ELNS1_3gpuE3ELNS1_3repE0EEENS1_48merge_mergepath_partition_config_static_selectorELNS0_4arch9wavefront6targetE0EEEvSF_,"axG",@progbits,_ZN7rocprim17ROCPRIM_400000_NS6detail17trampoline_kernelINS0_14default_configENS1_38merge_sort_block_merge_config_selectorItNS0_10empty_typeEEEZZNS1_27merge_sort_block_merge_implIS3_PtPS5_jNS1_19radix_merge_compareILb0ELb0EtNS0_19identity_decomposerEEEEE10hipError_tT0_T1_T2_jT3_P12ihipStream_tbPNSt15iterator_traitsISE_E10value_typeEPNSK_ISF_E10value_typeEPSG_NS1_7vsmem_tEENKUlT_SE_SF_SG_E_clIS8_S8_S9_S9_EESD_ST_SE_SF_SG_EUlST_E_NS1_11comp_targetILNS1_3genE9ELNS1_11target_archE1100ELNS1_3gpuE3ELNS1_3repE0EEENS1_48merge_mergepath_partition_config_static_selectorELNS0_4arch9wavefront6targetE0EEEvSF_,comdat
	.protected	_ZN7rocprim17ROCPRIM_400000_NS6detail17trampoline_kernelINS0_14default_configENS1_38merge_sort_block_merge_config_selectorItNS0_10empty_typeEEEZZNS1_27merge_sort_block_merge_implIS3_PtPS5_jNS1_19radix_merge_compareILb0ELb0EtNS0_19identity_decomposerEEEEE10hipError_tT0_T1_T2_jT3_P12ihipStream_tbPNSt15iterator_traitsISE_E10value_typeEPNSK_ISF_E10value_typeEPSG_NS1_7vsmem_tEENKUlT_SE_SF_SG_E_clIS8_S8_S9_S9_EESD_ST_SE_SF_SG_EUlST_E_NS1_11comp_targetILNS1_3genE9ELNS1_11target_archE1100ELNS1_3gpuE3ELNS1_3repE0EEENS1_48merge_mergepath_partition_config_static_selectorELNS0_4arch9wavefront6targetE0EEEvSF_ ; -- Begin function _ZN7rocprim17ROCPRIM_400000_NS6detail17trampoline_kernelINS0_14default_configENS1_38merge_sort_block_merge_config_selectorItNS0_10empty_typeEEEZZNS1_27merge_sort_block_merge_implIS3_PtPS5_jNS1_19radix_merge_compareILb0ELb0EtNS0_19identity_decomposerEEEEE10hipError_tT0_T1_T2_jT3_P12ihipStream_tbPNSt15iterator_traitsISE_E10value_typeEPNSK_ISF_E10value_typeEPSG_NS1_7vsmem_tEENKUlT_SE_SF_SG_E_clIS8_S8_S9_S9_EESD_ST_SE_SF_SG_EUlST_E_NS1_11comp_targetILNS1_3genE9ELNS1_11target_archE1100ELNS1_3gpuE3ELNS1_3repE0EEENS1_48merge_mergepath_partition_config_static_selectorELNS0_4arch9wavefront6targetE0EEEvSF_
	.globl	_ZN7rocprim17ROCPRIM_400000_NS6detail17trampoline_kernelINS0_14default_configENS1_38merge_sort_block_merge_config_selectorItNS0_10empty_typeEEEZZNS1_27merge_sort_block_merge_implIS3_PtPS5_jNS1_19radix_merge_compareILb0ELb0EtNS0_19identity_decomposerEEEEE10hipError_tT0_T1_T2_jT3_P12ihipStream_tbPNSt15iterator_traitsISE_E10value_typeEPNSK_ISF_E10value_typeEPSG_NS1_7vsmem_tEENKUlT_SE_SF_SG_E_clIS8_S8_S9_S9_EESD_ST_SE_SF_SG_EUlST_E_NS1_11comp_targetILNS1_3genE9ELNS1_11target_archE1100ELNS1_3gpuE3ELNS1_3repE0EEENS1_48merge_mergepath_partition_config_static_selectorELNS0_4arch9wavefront6targetE0EEEvSF_
	.p2align	8
	.type	_ZN7rocprim17ROCPRIM_400000_NS6detail17trampoline_kernelINS0_14default_configENS1_38merge_sort_block_merge_config_selectorItNS0_10empty_typeEEEZZNS1_27merge_sort_block_merge_implIS3_PtPS5_jNS1_19radix_merge_compareILb0ELb0EtNS0_19identity_decomposerEEEEE10hipError_tT0_T1_T2_jT3_P12ihipStream_tbPNSt15iterator_traitsISE_E10value_typeEPNSK_ISF_E10value_typeEPSG_NS1_7vsmem_tEENKUlT_SE_SF_SG_E_clIS8_S8_S9_S9_EESD_ST_SE_SF_SG_EUlST_E_NS1_11comp_targetILNS1_3genE9ELNS1_11target_archE1100ELNS1_3gpuE3ELNS1_3repE0EEENS1_48merge_mergepath_partition_config_static_selectorELNS0_4arch9wavefront6targetE0EEEvSF_,@function
_ZN7rocprim17ROCPRIM_400000_NS6detail17trampoline_kernelINS0_14default_configENS1_38merge_sort_block_merge_config_selectorItNS0_10empty_typeEEEZZNS1_27merge_sort_block_merge_implIS3_PtPS5_jNS1_19radix_merge_compareILb0ELb0EtNS0_19identity_decomposerEEEEE10hipError_tT0_T1_T2_jT3_P12ihipStream_tbPNSt15iterator_traitsISE_E10value_typeEPNSK_ISF_E10value_typeEPSG_NS1_7vsmem_tEENKUlT_SE_SF_SG_E_clIS8_S8_S9_S9_EESD_ST_SE_SF_SG_EUlST_E_NS1_11comp_targetILNS1_3genE9ELNS1_11target_archE1100ELNS1_3gpuE3ELNS1_3repE0EEENS1_48merge_mergepath_partition_config_static_selectorELNS0_4arch9wavefront6targetE0EEEvSF_: ; @_ZN7rocprim17ROCPRIM_400000_NS6detail17trampoline_kernelINS0_14default_configENS1_38merge_sort_block_merge_config_selectorItNS0_10empty_typeEEEZZNS1_27merge_sort_block_merge_implIS3_PtPS5_jNS1_19radix_merge_compareILb0ELb0EtNS0_19identity_decomposerEEEEE10hipError_tT0_T1_T2_jT3_P12ihipStream_tbPNSt15iterator_traitsISE_E10value_typeEPNSK_ISF_E10value_typeEPSG_NS1_7vsmem_tEENKUlT_SE_SF_SG_E_clIS8_S8_S9_S9_EESD_ST_SE_SF_SG_EUlST_E_NS1_11comp_targetILNS1_3genE9ELNS1_11target_archE1100ELNS1_3gpuE3ELNS1_3repE0EEENS1_48merge_mergepath_partition_config_static_selectorELNS0_4arch9wavefront6targetE0EEEvSF_
; %bb.0:
	.section	.rodata,"a",@progbits
	.p2align	6, 0x0
	.amdhsa_kernel _ZN7rocprim17ROCPRIM_400000_NS6detail17trampoline_kernelINS0_14default_configENS1_38merge_sort_block_merge_config_selectorItNS0_10empty_typeEEEZZNS1_27merge_sort_block_merge_implIS3_PtPS5_jNS1_19radix_merge_compareILb0ELb0EtNS0_19identity_decomposerEEEEE10hipError_tT0_T1_T2_jT3_P12ihipStream_tbPNSt15iterator_traitsISE_E10value_typeEPNSK_ISF_E10value_typeEPSG_NS1_7vsmem_tEENKUlT_SE_SF_SG_E_clIS8_S8_S9_S9_EESD_ST_SE_SF_SG_EUlST_E_NS1_11comp_targetILNS1_3genE9ELNS1_11target_archE1100ELNS1_3gpuE3ELNS1_3repE0EEENS1_48merge_mergepath_partition_config_static_selectorELNS0_4arch9wavefront6targetE0EEEvSF_
		.amdhsa_group_segment_fixed_size 0
		.amdhsa_private_segment_fixed_size 0
		.amdhsa_kernarg_size 40
		.amdhsa_user_sgpr_count 2
		.amdhsa_user_sgpr_dispatch_ptr 0
		.amdhsa_user_sgpr_queue_ptr 0
		.amdhsa_user_sgpr_kernarg_segment_ptr 1
		.amdhsa_user_sgpr_dispatch_id 0
		.amdhsa_user_sgpr_kernarg_preload_length 0
		.amdhsa_user_sgpr_kernarg_preload_offset 0
		.amdhsa_user_sgpr_private_segment_size 0
		.amdhsa_wavefront_size32 1
		.amdhsa_uses_dynamic_stack 0
		.amdhsa_enable_private_segment 0
		.amdhsa_system_sgpr_workgroup_id_x 1
		.amdhsa_system_sgpr_workgroup_id_y 0
		.amdhsa_system_sgpr_workgroup_id_z 0
		.amdhsa_system_sgpr_workgroup_info 0
		.amdhsa_system_vgpr_workitem_id 0
		.amdhsa_next_free_vgpr 1
		.amdhsa_next_free_sgpr 1
		.amdhsa_named_barrier_count 0
		.amdhsa_reserve_vcc 0
		.amdhsa_float_round_mode_32 0
		.amdhsa_float_round_mode_16_64 0
		.amdhsa_float_denorm_mode_32 3
		.amdhsa_float_denorm_mode_16_64 3
		.amdhsa_fp16_overflow 0
		.amdhsa_memory_ordered 1
		.amdhsa_forward_progress 1
		.amdhsa_inst_pref_size 0
		.amdhsa_round_robin_scheduling 0
		.amdhsa_exception_fp_ieee_invalid_op 0
		.amdhsa_exception_fp_denorm_src 0
		.amdhsa_exception_fp_ieee_div_zero 0
		.amdhsa_exception_fp_ieee_overflow 0
		.amdhsa_exception_fp_ieee_underflow 0
		.amdhsa_exception_fp_ieee_inexact 0
		.amdhsa_exception_int_div_zero 0
	.end_amdhsa_kernel
	.section	.text._ZN7rocprim17ROCPRIM_400000_NS6detail17trampoline_kernelINS0_14default_configENS1_38merge_sort_block_merge_config_selectorItNS0_10empty_typeEEEZZNS1_27merge_sort_block_merge_implIS3_PtPS5_jNS1_19radix_merge_compareILb0ELb0EtNS0_19identity_decomposerEEEEE10hipError_tT0_T1_T2_jT3_P12ihipStream_tbPNSt15iterator_traitsISE_E10value_typeEPNSK_ISF_E10value_typeEPSG_NS1_7vsmem_tEENKUlT_SE_SF_SG_E_clIS8_S8_S9_S9_EESD_ST_SE_SF_SG_EUlST_E_NS1_11comp_targetILNS1_3genE9ELNS1_11target_archE1100ELNS1_3gpuE3ELNS1_3repE0EEENS1_48merge_mergepath_partition_config_static_selectorELNS0_4arch9wavefront6targetE0EEEvSF_,"axG",@progbits,_ZN7rocprim17ROCPRIM_400000_NS6detail17trampoline_kernelINS0_14default_configENS1_38merge_sort_block_merge_config_selectorItNS0_10empty_typeEEEZZNS1_27merge_sort_block_merge_implIS3_PtPS5_jNS1_19radix_merge_compareILb0ELb0EtNS0_19identity_decomposerEEEEE10hipError_tT0_T1_T2_jT3_P12ihipStream_tbPNSt15iterator_traitsISE_E10value_typeEPNSK_ISF_E10value_typeEPSG_NS1_7vsmem_tEENKUlT_SE_SF_SG_E_clIS8_S8_S9_S9_EESD_ST_SE_SF_SG_EUlST_E_NS1_11comp_targetILNS1_3genE9ELNS1_11target_archE1100ELNS1_3gpuE3ELNS1_3repE0EEENS1_48merge_mergepath_partition_config_static_selectorELNS0_4arch9wavefront6targetE0EEEvSF_,comdat
.Lfunc_end2437:
	.size	_ZN7rocprim17ROCPRIM_400000_NS6detail17trampoline_kernelINS0_14default_configENS1_38merge_sort_block_merge_config_selectorItNS0_10empty_typeEEEZZNS1_27merge_sort_block_merge_implIS3_PtPS5_jNS1_19radix_merge_compareILb0ELb0EtNS0_19identity_decomposerEEEEE10hipError_tT0_T1_T2_jT3_P12ihipStream_tbPNSt15iterator_traitsISE_E10value_typeEPNSK_ISF_E10value_typeEPSG_NS1_7vsmem_tEENKUlT_SE_SF_SG_E_clIS8_S8_S9_S9_EESD_ST_SE_SF_SG_EUlST_E_NS1_11comp_targetILNS1_3genE9ELNS1_11target_archE1100ELNS1_3gpuE3ELNS1_3repE0EEENS1_48merge_mergepath_partition_config_static_selectorELNS0_4arch9wavefront6targetE0EEEvSF_, .Lfunc_end2437-_ZN7rocprim17ROCPRIM_400000_NS6detail17trampoline_kernelINS0_14default_configENS1_38merge_sort_block_merge_config_selectorItNS0_10empty_typeEEEZZNS1_27merge_sort_block_merge_implIS3_PtPS5_jNS1_19radix_merge_compareILb0ELb0EtNS0_19identity_decomposerEEEEE10hipError_tT0_T1_T2_jT3_P12ihipStream_tbPNSt15iterator_traitsISE_E10value_typeEPNSK_ISF_E10value_typeEPSG_NS1_7vsmem_tEENKUlT_SE_SF_SG_E_clIS8_S8_S9_S9_EESD_ST_SE_SF_SG_EUlST_E_NS1_11comp_targetILNS1_3genE9ELNS1_11target_archE1100ELNS1_3gpuE3ELNS1_3repE0EEENS1_48merge_mergepath_partition_config_static_selectorELNS0_4arch9wavefront6targetE0EEEvSF_
                                        ; -- End function
	.set _ZN7rocprim17ROCPRIM_400000_NS6detail17trampoline_kernelINS0_14default_configENS1_38merge_sort_block_merge_config_selectorItNS0_10empty_typeEEEZZNS1_27merge_sort_block_merge_implIS3_PtPS5_jNS1_19radix_merge_compareILb0ELb0EtNS0_19identity_decomposerEEEEE10hipError_tT0_T1_T2_jT3_P12ihipStream_tbPNSt15iterator_traitsISE_E10value_typeEPNSK_ISF_E10value_typeEPSG_NS1_7vsmem_tEENKUlT_SE_SF_SG_E_clIS8_S8_S9_S9_EESD_ST_SE_SF_SG_EUlST_E_NS1_11comp_targetILNS1_3genE9ELNS1_11target_archE1100ELNS1_3gpuE3ELNS1_3repE0EEENS1_48merge_mergepath_partition_config_static_selectorELNS0_4arch9wavefront6targetE0EEEvSF_.num_vgpr, 0
	.set _ZN7rocprim17ROCPRIM_400000_NS6detail17trampoline_kernelINS0_14default_configENS1_38merge_sort_block_merge_config_selectorItNS0_10empty_typeEEEZZNS1_27merge_sort_block_merge_implIS3_PtPS5_jNS1_19radix_merge_compareILb0ELb0EtNS0_19identity_decomposerEEEEE10hipError_tT0_T1_T2_jT3_P12ihipStream_tbPNSt15iterator_traitsISE_E10value_typeEPNSK_ISF_E10value_typeEPSG_NS1_7vsmem_tEENKUlT_SE_SF_SG_E_clIS8_S8_S9_S9_EESD_ST_SE_SF_SG_EUlST_E_NS1_11comp_targetILNS1_3genE9ELNS1_11target_archE1100ELNS1_3gpuE3ELNS1_3repE0EEENS1_48merge_mergepath_partition_config_static_selectorELNS0_4arch9wavefront6targetE0EEEvSF_.num_agpr, 0
	.set _ZN7rocprim17ROCPRIM_400000_NS6detail17trampoline_kernelINS0_14default_configENS1_38merge_sort_block_merge_config_selectorItNS0_10empty_typeEEEZZNS1_27merge_sort_block_merge_implIS3_PtPS5_jNS1_19radix_merge_compareILb0ELb0EtNS0_19identity_decomposerEEEEE10hipError_tT0_T1_T2_jT3_P12ihipStream_tbPNSt15iterator_traitsISE_E10value_typeEPNSK_ISF_E10value_typeEPSG_NS1_7vsmem_tEENKUlT_SE_SF_SG_E_clIS8_S8_S9_S9_EESD_ST_SE_SF_SG_EUlST_E_NS1_11comp_targetILNS1_3genE9ELNS1_11target_archE1100ELNS1_3gpuE3ELNS1_3repE0EEENS1_48merge_mergepath_partition_config_static_selectorELNS0_4arch9wavefront6targetE0EEEvSF_.numbered_sgpr, 0
	.set _ZN7rocprim17ROCPRIM_400000_NS6detail17trampoline_kernelINS0_14default_configENS1_38merge_sort_block_merge_config_selectorItNS0_10empty_typeEEEZZNS1_27merge_sort_block_merge_implIS3_PtPS5_jNS1_19radix_merge_compareILb0ELb0EtNS0_19identity_decomposerEEEEE10hipError_tT0_T1_T2_jT3_P12ihipStream_tbPNSt15iterator_traitsISE_E10value_typeEPNSK_ISF_E10value_typeEPSG_NS1_7vsmem_tEENKUlT_SE_SF_SG_E_clIS8_S8_S9_S9_EESD_ST_SE_SF_SG_EUlST_E_NS1_11comp_targetILNS1_3genE9ELNS1_11target_archE1100ELNS1_3gpuE3ELNS1_3repE0EEENS1_48merge_mergepath_partition_config_static_selectorELNS0_4arch9wavefront6targetE0EEEvSF_.num_named_barrier, 0
	.set _ZN7rocprim17ROCPRIM_400000_NS6detail17trampoline_kernelINS0_14default_configENS1_38merge_sort_block_merge_config_selectorItNS0_10empty_typeEEEZZNS1_27merge_sort_block_merge_implIS3_PtPS5_jNS1_19radix_merge_compareILb0ELb0EtNS0_19identity_decomposerEEEEE10hipError_tT0_T1_T2_jT3_P12ihipStream_tbPNSt15iterator_traitsISE_E10value_typeEPNSK_ISF_E10value_typeEPSG_NS1_7vsmem_tEENKUlT_SE_SF_SG_E_clIS8_S8_S9_S9_EESD_ST_SE_SF_SG_EUlST_E_NS1_11comp_targetILNS1_3genE9ELNS1_11target_archE1100ELNS1_3gpuE3ELNS1_3repE0EEENS1_48merge_mergepath_partition_config_static_selectorELNS0_4arch9wavefront6targetE0EEEvSF_.private_seg_size, 0
	.set _ZN7rocprim17ROCPRIM_400000_NS6detail17trampoline_kernelINS0_14default_configENS1_38merge_sort_block_merge_config_selectorItNS0_10empty_typeEEEZZNS1_27merge_sort_block_merge_implIS3_PtPS5_jNS1_19radix_merge_compareILb0ELb0EtNS0_19identity_decomposerEEEEE10hipError_tT0_T1_T2_jT3_P12ihipStream_tbPNSt15iterator_traitsISE_E10value_typeEPNSK_ISF_E10value_typeEPSG_NS1_7vsmem_tEENKUlT_SE_SF_SG_E_clIS8_S8_S9_S9_EESD_ST_SE_SF_SG_EUlST_E_NS1_11comp_targetILNS1_3genE9ELNS1_11target_archE1100ELNS1_3gpuE3ELNS1_3repE0EEENS1_48merge_mergepath_partition_config_static_selectorELNS0_4arch9wavefront6targetE0EEEvSF_.uses_vcc, 0
	.set _ZN7rocprim17ROCPRIM_400000_NS6detail17trampoline_kernelINS0_14default_configENS1_38merge_sort_block_merge_config_selectorItNS0_10empty_typeEEEZZNS1_27merge_sort_block_merge_implIS3_PtPS5_jNS1_19radix_merge_compareILb0ELb0EtNS0_19identity_decomposerEEEEE10hipError_tT0_T1_T2_jT3_P12ihipStream_tbPNSt15iterator_traitsISE_E10value_typeEPNSK_ISF_E10value_typeEPSG_NS1_7vsmem_tEENKUlT_SE_SF_SG_E_clIS8_S8_S9_S9_EESD_ST_SE_SF_SG_EUlST_E_NS1_11comp_targetILNS1_3genE9ELNS1_11target_archE1100ELNS1_3gpuE3ELNS1_3repE0EEENS1_48merge_mergepath_partition_config_static_selectorELNS0_4arch9wavefront6targetE0EEEvSF_.uses_flat_scratch, 0
	.set _ZN7rocprim17ROCPRIM_400000_NS6detail17trampoline_kernelINS0_14default_configENS1_38merge_sort_block_merge_config_selectorItNS0_10empty_typeEEEZZNS1_27merge_sort_block_merge_implIS3_PtPS5_jNS1_19radix_merge_compareILb0ELb0EtNS0_19identity_decomposerEEEEE10hipError_tT0_T1_T2_jT3_P12ihipStream_tbPNSt15iterator_traitsISE_E10value_typeEPNSK_ISF_E10value_typeEPSG_NS1_7vsmem_tEENKUlT_SE_SF_SG_E_clIS8_S8_S9_S9_EESD_ST_SE_SF_SG_EUlST_E_NS1_11comp_targetILNS1_3genE9ELNS1_11target_archE1100ELNS1_3gpuE3ELNS1_3repE0EEENS1_48merge_mergepath_partition_config_static_selectorELNS0_4arch9wavefront6targetE0EEEvSF_.has_dyn_sized_stack, 0
	.set _ZN7rocprim17ROCPRIM_400000_NS6detail17trampoline_kernelINS0_14default_configENS1_38merge_sort_block_merge_config_selectorItNS0_10empty_typeEEEZZNS1_27merge_sort_block_merge_implIS3_PtPS5_jNS1_19radix_merge_compareILb0ELb0EtNS0_19identity_decomposerEEEEE10hipError_tT0_T1_T2_jT3_P12ihipStream_tbPNSt15iterator_traitsISE_E10value_typeEPNSK_ISF_E10value_typeEPSG_NS1_7vsmem_tEENKUlT_SE_SF_SG_E_clIS8_S8_S9_S9_EESD_ST_SE_SF_SG_EUlST_E_NS1_11comp_targetILNS1_3genE9ELNS1_11target_archE1100ELNS1_3gpuE3ELNS1_3repE0EEENS1_48merge_mergepath_partition_config_static_selectorELNS0_4arch9wavefront6targetE0EEEvSF_.has_recursion, 0
	.set _ZN7rocprim17ROCPRIM_400000_NS6detail17trampoline_kernelINS0_14default_configENS1_38merge_sort_block_merge_config_selectorItNS0_10empty_typeEEEZZNS1_27merge_sort_block_merge_implIS3_PtPS5_jNS1_19radix_merge_compareILb0ELb0EtNS0_19identity_decomposerEEEEE10hipError_tT0_T1_T2_jT3_P12ihipStream_tbPNSt15iterator_traitsISE_E10value_typeEPNSK_ISF_E10value_typeEPSG_NS1_7vsmem_tEENKUlT_SE_SF_SG_E_clIS8_S8_S9_S9_EESD_ST_SE_SF_SG_EUlST_E_NS1_11comp_targetILNS1_3genE9ELNS1_11target_archE1100ELNS1_3gpuE3ELNS1_3repE0EEENS1_48merge_mergepath_partition_config_static_selectorELNS0_4arch9wavefront6targetE0EEEvSF_.has_indirect_call, 0
	.section	.AMDGPU.csdata,"",@progbits
; Kernel info:
; codeLenInByte = 0
; TotalNumSgprs: 0
; NumVgprs: 0
; ScratchSize: 0
; MemoryBound: 0
; FloatMode: 240
; IeeeMode: 1
; LDSByteSize: 0 bytes/workgroup (compile time only)
; SGPRBlocks: 0
; VGPRBlocks: 0
; NumSGPRsForWavesPerEU: 1
; NumVGPRsForWavesPerEU: 1
; NamedBarCnt: 0
; Occupancy: 16
; WaveLimiterHint : 0
; COMPUTE_PGM_RSRC2:SCRATCH_EN: 0
; COMPUTE_PGM_RSRC2:USER_SGPR: 2
; COMPUTE_PGM_RSRC2:TRAP_HANDLER: 0
; COMPUTE_PGM_RSRC2:TGID_X_EN: 1
; COMPUTE_PGM_RSRC2:TGID_Y_EN: 0
; COMPUTE_PGM_RSRC2:TGID_Z_EN: 0
; COMPUTE_PGM_RSRC2:TIDIG_COMP_CNT: 0
	.section	.text._ZN7rocprim17ROCPRIM_400000_NS6detail17trampoline_kernelINS0_14default_configENS1_38merge_sort_block_merge_config_selectorItNS0_10empty_typeEEEZZNS1_27merge_sort_block_merge_implIS3_PtPS5_jNS1_19radix_merge_compareILb0ELb0EtNS0_19identity_decomposerEEEEE10hipError_tT0_T1_T2_jT3_P12ihipStream_tbPNSt15iterator_traitsISE_E10value_typeEPNSK_ISF_E10value_typeEPSG_NS1_7vsmem_tEENKUlT_SE_SF_SG_E_clIS8_S8_S9_S9_EESD_ST_SE_SF_SG_EUlST_E_NS1_11comp_targetILNS1_3genE8ELNS1_11target_archE1030ELNS1_3gpuE2ELNS1_3repE0EEENS1_48merge_mergepath_partition_config_static_selectorELNS0_4arch9wavefront6targetE0EEEvSF_,"axG",@progbits,_ZN7rocprim17ROCPRIM_400000_NS6detail17trampoline_kernelINS0_14default_configENS1_38merge_sort_block_merge_config_selectorItNS0_10empty_typeEEEZZNS1_27merge_sort_block_merge_implIS3_PtPS5_jNS1_19radix_merge_compareILb0ELb0EtNS0_19identity_decomposerEEEEE10hipError_tT0_T1_T2_jT3_P12ihipStream_tbPNSt15iterator_traitsISE_E10value_typeEPNSK_ISF_E10value_typeEPSG_NS1_7vsmem_tEENKUlT_SE_SF_SG_E_clIS8_S8_S9_S9_EESD_ST_SE_SF_SG_EUlST_E_NS1_11comp_targetILNS1_3genE8ELNS1_11target_archE1030ELNS1_3gpuE2ELNS1_3repE0EEENS1_48merge_mergepath_partition_config_static_selectorELNS0_4arch9wavefront6targetE0EEEvSF_,comdat
	.protected	_ZN7rocprim17ROCPRIM_400000_NS6detail17trampoline_kernelINS0_14default_configENS1_38merge_sort_block_merge_config_selectorItNS0_10empty_typeEEEZZNS1_27merge_sort_block_merge_implIS3_PtPS5_jNS1_19radix_merge_compareILb0ELb0EtNS0_19identity_decomposerEEEEE10hipError_tT0_T1_T2_jT3_P12ihipStream_tbPNSt15iterator_traitsISE_E10value_typeEPNSK_ISF_E10value_typeEPSG_NS1_7vsmem_tEENKUlT_SE_SF_SG_E_clIS8_S8_S9_S9_EESD_ST_SE_SF_SG_EUlST_E_NS1_11comp_targetILNS1_3genE8ELNS1_11target_archE1030ELNS1_3gpuE2ELNS1_3repE0EEENS1_48merge_mergepath_partition_config_static_selectorELNS0_4arch9wavefront6targetE0EEEvSF_ ; -- Begin function _ZN7rocprim17ROCPRIM_400000_NS6detail17trampoline_kernelINS0_14default_configENS1_38merge_sort_block_merge_config_selectorItNS0_10empty_typeEEEZZNS1_27merge_sort_block_merge_implIS3_PtPS5_jNS1_19radix_merge_compareILb0ELb0EtNS0_19identity_decomposerEEEEE10hipError_tT0_T1_T2_jT3_P12ihipStream_tbPNSt15iterator_traitsISE_E10value_typeEPNSK_ISF_E10value_typeEPSG_NS1_7vsmem_tEENKUlT_SE_SF_SG_E_clIS8_S8_S9_S9_EESD_ST_SE_SF_SG_EUlST_E_NS1_11comp_targetILNS1_3genE8ELNS1_11target_archE1030ELNS1_3gpuE2ELNS1_3repE0EEENS1_48merge_mergepath_partition_config_static_selectorELNS0_4arch9wavefront6targetE0EEEvSF_
	.globl	_ZN7rocprim17ROCPRIM_400000_NS6detail17trampoline_kernelINS0_14default_configENS1_38merge_sort_block_merge_config_selectorItNS0_10empty_typeEEEZZNS1_27merge_sort_block_merge_implIS3_PtPS5_jNS1_19radix_merge_compareILb0ELb0EtNS0_19identity_decomposerEEEEE10hipError_tT0_T1_T2_jT3_P12ihipStream_tbPNSt15iterator_traitsISE_E10value_typeEPNSK_ISF_E10value_typeEPSG_NS1_7vsmem_tEENKUlT_SE_SF_SG_E_clIS8_S8_S9_S9_EESD_ST_SE_SF_SG_EUlST_E_NS1_11comp_targetILNS1_3genE8ELNS1_11target_archE1030ELNS1_3gpuE2ELNS1_3repE0EEENS1_48merge_mergepath_partition_config_static_selectorELNS0_4arch9wavefront6targetE0EEEvSF_
	.p2align	8
	.type	_ZN7rocprim17ROCPRIM_400000_NS6detail17trampoline_kernelINS0_14default_configENS1_38merge_sort_block_merge_config_selectorItNS0_10empty_typeEEEZZNS1_27merge_sort_block_merge_implIS3_PtPS5_jNS1_19radix_merge_compareILb0ELb0EtNS0_19identity_decomposerEEEEE10hipError_tT0_T1_T2_jT3_P12ihipStream_tbPNSt15iterator_traitsISE_E10value_typeEPNSK_ISF_E10value_typeEPSG_NS1_7vsmem_tEENKUlT_SE_SF_SG_E_clIS8_S8_S9_S9_EESD_ST_SE_SF_SG_EUlST_E_NS1_11comp_targetILNS1_3genE8ELNS1_11target_archE1030ELNS1_3gpuE2ELNS1_3repE0EEENS1_48merge_mergepath_partition_config_static_selectorELNS0_4arch9wavefront6targetE0EEEvSF_,@function
_ZN7rocprim17ROCPRIM_400000_NS6detail17trampoline_kernelINS0_14default_configENS1_38merge_sort_block_merge_config_selectorItNS0_10empty_typeEEEZZNS1_27merge_sort_block_merge_implIS3_PtPS5_jNS1_19radix_merge_compareILb0ELb0EtNS0_19identity_decomposerEEEEE10hipError_tT0_T1_T2_jT3_P12ihipStream_tbPNSt15iterator_traitsISE_E10value_typeEPNSK_ISF_E10value_typeEPSG_NS1_7vsmem_tEENKUlT_SE_SF_SG_E_clIS8_S8_S9_S9_EESD_ST_SE_SF_SG_EUlST_E_NS1_11comp_targetILNS1_3genE8ELNS1_11target_archE1030ELNS1_3gpuE2ELNS1_3repE0EEENS1_48merge_mergepath_partition_config_static_selectorELNS0_4arch9wavefront6targetE0EEEvSF_: ; @_ZN7rocprim17ROCPRIM_400000_NS6detail17trampoline_kernelINS0_14default_configENS1_38merge_sort_block_merge_config_selectorItNS0_10empty_typeEEEZZNS1_27merge_sort_block_merge_implIS3_PtPS5_jNS1_19radix_merge_compareILb0ELb0EtNS0_19identity_decomposerEEEEE10hipError_tT0_T1_T2_jT3_P12ihipStream_tbPNSt15iterator_traitsISE_E10value_typeEPNSK_ISF_E10value_typeEPSG_NS1_7vsmem_tEENKUlT_SE_SF_SG_E_clIS8_S8_S9_S9_EESD_ST_SE_SF_SG_EUlST_E_NS1_11comp_targetILNS1_3genE8ELNS1_11target_archE1030ELNS1_3gpuE2ELNS1_3repE0EEENS1_48merge_mergepath_partition_config_static_selectorELNS0_4arch9wavefront6targetE0EEEvSF_
; %bb.0:
	.section	.rodata,"a",@progbits
	.p2align	6, 0x0
	.amdhsa_kernel _ZN7rocprim17ROCPRIM_400000_NS6detail17trampoline_kernelINS0_14default_configENS1_38merge_sort_block_merge_config_selectorItNS0_10empty_typeEEEZZNS1_27merge_sort_block_merge_implIS3_PtPS5_jNS1_19radix_merge_compareILb0ELb0EtNS0_19identity_decomposerEEEEE10hipError_tT0_T1_T2_jT3_P12ihipStream_tbPNSt15iterator_traitsISE_E10value_typeEPNSK_ISF_E10value_typeEPSG_NS1_7vsmem_tEENKUlT_SE_SF_SG_E_clIS8_S8_S9_S9_EESD_ST_SE_SF_SG_EUlST_E_NS1_11comp_targetILNS1_3genE8ELNS1_11target_archE1030ELNS1_3gpuE2ELNS1_3repE0EEENS1_48merge_mergepath_partition_config_static_selectorELNS0_4arch9wavefront6targetE0EEEvSF_
		.amdhsa_group_segment_fixed_size 0
		.amdhsa_private_segment_fixed_size 0
		.amdhsa_kernarg_size 40
		.amdhsa_user_sgpr_count 2
		.amdhsa_user_sgpr_dispatch_ptr 0
		.amdhsa_user_sgpr_queue_ptr 0
		.amdhsa_user_sgpr_kernarg_segment_ptr 1
		.amdhsa_user_sgpr_dispatch_id 0
		.amdhsa_user_sgpr_kernarg_preload_length 0
		.amdhsa_user_sgpr_kernarg_preload_offset 0
		.amdhsa_user_sgpr_private_segment_size 0
		.amdhsa_wavefront_size32 1
		.amdhsa_uses_dynamic_stack 0
		.amdhsa_enable_private_segment 0
		.amdhsa_system_sgpr_workgroup_id_x 1
		.amdhsa_system_sgpr_workgroup_id_y 0
		.amdhsa_system_sgpr_workgroup_id_z 0
		.amdhsa_system_sgpr_workgroup_info 0
		.amdhsa_system_vgpr_workitem_id 0
		.amdhsa_next_free_vgpr 1
		.amdhsa_next_free_sgpr 1
		.amdhsa_named_barrier_count 0
		.amdhsa_reserve_vcc 0
		.amdhsa_float_round_mode_32 0
		.amdhsa_float_round_mode_16_64 0
		.amdhsa_float_denorm_mode_32 3
		.amdhsa_float_denorm_mode_16_64 3
		.amdhsa_fp16_overflow 0
		.amdhsa_memory_ordered 1
		.amdhsa_forward_progress 1
		.amdhsa_inst_pref_size 0
		.amdhsa_round_robin_scheduling 0
		.amdhsa_exception_fp_ieee_invalid_op 0
		.amdhsa_exception_fp_denorm_src 0
		.amdhsa_exception_fp_ieee_div_zero 0
		.amdhsa_exception_fp_ieee_overflow 0
		.amdhsa_exception_fp_ieee_underflow 0
		.amdhsa_exception_fp_ieee_inexact 0
		.amdhsa_exception_int_div_zero 0
	.end_amdhsa_kernel
	.section	.text._ZN7rocprim17ROCPRIM_400000_NS6detail17trampoline_kernelINS0_14default_configENS1_38merge_sort_block_merge_config_selectorItNS0_10empty_typeEEEZZNS1_27merge_sort_block_merge_implIS3_PtPS5_jNS1_19radix_merge_compareILb0ELb0EtNS0_19identity_decomposerEEEEE10hipError_tT0_T1_T2_jT3_P12ihipStream_tbPNSt15iterator_traitsISE_E10value_typeEPNSK_ISF_E10value_typeEPSG_NS1_7vsmem_tEENKUlT_SE_SF_SG_E_clIS8_S8_S9_S9_EESD_ST_SE_SF_SG_EUlST_E_NS1_11comp_targetILNS1_3genE8ELNS1_11target_archE1030ELNS1_3gpuE2ELNS1_3repE0EEENS1_48merge_mergepath_partition_config_static_selectorELNS0_4arch9wavefront6targetE0EEEvSF_,"axG",@progbits,_ZN7rocprim17ROCPRIM_400000_NS6detail17trampoline_kernelINS0_14default_configENS1_38merge_sort_block_merge_config_selectorItNS0_10empty_typeEEEZZNS1_27merge_sort_block_merge_implIS3_PtPS5_jNS1_19radix_merge_compareILb0ELb0EtNS0_19identity_decomposerEEEEE10hipError_tT0_T1_T2_jT3_P12ihipStream_tbPNSt15iterator_traitsISE_E10value_typeEPNSK_ISF_E10value_typeEPSG_NS1_7vsmem_tEENKUlT_SE_SF_SG_E_clIS8_S8_S9_S9_EESD_ST_SE_SF_SG_EUlST_E_NS1_11comp_targetILNS1_3genE8ELNS1_11target_archE1030ELNS1_3gpuE2ELNS1_3repE0EEENS1_48merge_mergepath_partition_config_static_selectorELNS0_4arch9wavefront6targetE0EEEvSF_,comdat
.Lfunc_end2438:
	.size	_ZN7rocprim17ROCPRIM_400000_NS6detail17trampoline_kernelINS0_14default_configENS1_38merge_sort_block_merge_config_selectorItNS0_10empty_typeEEEZZNS1_27merge_sort_block_merge_implIS3_PtPS5_jNS1_19radix_merge_compareILb0ELb0EtNS0_19identity_decomposerEEEEE10hipError_tT0_T1_T2_jT3_P12ihipStream_tbPNSt15iterator_traitsISE_E10value_typeEPNSK_ISF_E10value_typeEPSG_NS1_7vsmem_tEENKUlT_SE_SF_SG_E_clIS8_S8_S9_S9_EESD_ST_SE_SF_SG_EUlST_E_NS1_11comp_targetILNS1_3genE8ELNS1_11target_archE1030ELNS1_3gpuE2ELNS1_3repE0EEENS1_48merge_mergepath_partition_config_static_selectorELNS0_4arch9wavefront6targetE0EEEvSF_, .Lfunc_end2438-_ZN7rocprim17ROCPRIM_400000_NS6detail17trampoline_kernelINS0_14default_configENS1_38merge_sort_block_merge_config_selectorItNS0_10empty_typeEEEZZNS1_27merge_sort_block_merge_implIS3_PtPS5_jNS1_19radix_merge_compareILb0ELb0EtNS0_19identity_decomposerEEEEE10hipError_tT0_T1_T2_jT3_P12ihipStream_tbPNSt15iterator_traitsISE_E10value_typeEPNSK_ISF_E10value_typeEPSG_NS1_7vsmem_tEENKUlT_SE_SF_SG_E_clIS8_S8_S9_S9_EESD_ST_SE_SF_SG_EUlST_E_NS1_11comp_targetILNS1_3genE8ELNS1_11target_archE1030ELNS1_3gpuE2ELNS1_3repE0EEENS1_48merge_mergepath_partition_config_static_selectorELNS0_4arch9wavefront6targetE0EEEvSF_
                                        ; -- End function
	.set _ZN7rocprim17ROCPRIM_400000_NS6detail17trampoline_kernelINS0_14default_configENS1_38merge_sort_block_merge_config_selectorItNS0_10empty_typeEEEZZNS1_27merge_sort_block_merge_implIS3_PtPS5_jNS1_19radix_merge_compareILb0ELb0EtNS0_19identity_decomposerEEEEE10hipError_tT0_T1_T2_jT3_P12ihipStream_tbPNSt15iterator_traitsISE_E10value_typeEPNSK_ISF_E10value_typeEPSG_NS1_7vsmem_tEENKUlT_SE_SF_SG_E_clIS8_S8_S9_S9_EESD_ST_SE_SF_SG_EUlST_E_NS1_11comp_targetILNS1_3genE8ELNS1_11target_archE1030ELNS1_3gpuE2ELNS1_3repE0EEENS1_48merge_mergepath_partition_config_static_selectorELNS0_4arch9wavefront6targetE0EEEvSF_.num_vgpr, 0
	.set _ZN7rocprim17ROCPRIM_400000_NS6detail17trampoline_kernelINS0_14default_configENS1_38merge_sort_block_merge_config_selectorItNS0_10empty_typeEEEZZNS1_27merge_sort_block_merge_implIS3_PtPS5_jNS1_19radix_merge_compareILb0ELb0EtNS0_19identity_decomposerEEEEE10hipError_tT0_T1_T2_jT3_P12ihipStream_tbPNSt15iterator_traitsISE_E10value_typeEPNSK_ISF_E10value_typeEPSG_NS1_7vsmem_tEENKUlT_SE_SF_SG_E_clIS8_S8_S9_S9_EESD_ST_SE_SF_SG_EUlST_E_NS1_11comp_targetILNS1_3genE8ELNS1_11target_archE1030ELNS1_3gpuE2ELNS1_3repE0EEENS1_48merge_mergepath_partition_config_static_selectorELNS0_4arch9wavefront6targetE0EEEvSF_.num_agpr, 0
	.set _ZN7rocprim17ROCPRIM_400000_NS6detail17trampoline_kernelINS0_14default_configENS1_38merge_sort_block_merge_config_selectorItNS0_10empty_typeEEEZZNS1_27merge_sort_block_merge_implIS3_PtPS5_jNS1_19radix_merge_compareILb0ELb0EtNS0_19identity_decomposerEEEEE10hipError_tT0_T1_T2_jT3_P12ihipStream_tbPNSt15iterator_traitsISE_E10value_typeEPNSK_ISF_E10value_typeEPSG_NS1_7vsmem_tEENKUlT_SE_SF_SG_E_clIS8_S8_S9_S9_EESD_ST_SE_SF_SG_EUlST_E_NS1_11comp_targetILNS1_3genE8ELNS1_11target_archE1030ELNS1_3gpuE2ELNS1_3repE0EEENS1_48merge_mergepath_partition_config_static_selectorELNS0_4arch9wavefront6targetE0EEEvSF_.numbered_sgpr, 0
	.set _ZN7rocprim17ROCPRIM_400000_NS6detail17trampoline_kernelINS0_14default_configENS1_38merge_sort_block_merge_config_selectorItNS0_10empty_typeEEEZZNS1_27merge_sort_block_merge_implIS3_PtPS5_jNS1_19radix_merge_compareILb0ELb0EtNS0_19identity_decomposerEEEEE10hipError_tT0_T1_T2_jT3_P12ihipStream_tbPNSt15iterator_traitsISE_E10value_typeEPNSK_ISF_E10value_typeEPSG_NS1_7vsmem_tEENKUlT_SE_SF_SG_E_clIS8_S8_S9_S9_EESD_ST_SE_SF_SG_EUlST_E_NS1_11comp_targetILNS1_3genE8ELNS1_11target_archE1030ELNS1_3gpuE2ELNS1_3repE0EEENS1_48merge_mergepath_partition_config_static_selectorELNS0_4arch9wavefront6targetE0EEEvSF_.num_named_barrier, 0
	.set _ZN7rocprim17ROCPRIM_400000_NS6detail17trampoline_kernelINS0_14default_configENS1_38merge_sort_block_merge_config_selectorItNS0_10empty_typeEEEZZNS1_27merge_sort_block_merge_implIS3_PtPS5_jNS1_19radix_merge_compareILb0ELb0EtNS0_19identity_decomposerEEEEE10hipError_tT0_T1_T2_jT3_P12ihipStream_tbPNSt15iterator_traitsISE_E10value_typeEPNSK_ISF_E10value_typeEPSG_NS1_7vsmem_tEENKUlT_SE_SF_SG_E_clIS8_S8_S9_S9_EESD_ST_SE_SF_SG_EUlST_E_NS1_11comp_targetILNS1_3genE8ELNS1_11target_archE1030ELNS1_3gpuE2ELNS1_3repE0EEENS1_48merge_mergepath_partition_config_static_selectorELNS0_4arch9wavefront6targetE0EEEvSF_.private_seg_size, 0
	.set _ZN7rocprim17ROCPRIM_400000_NS6detail17trampoline_kernelINS0_14default_configENS1_38merge_sort_block_merge_config_selectorItNS0_10empty_typeEEEZZNS1_27merge_sort_block_merge_implIS3_PtPS5_jNS1_19radix_merge_compareILb0ELb0EtNS0_19identity_decomposerEEEEE10hipError_tT0_T1_T2_jT3_P12ihipStream_tbPNSt15iterator_traitsISE_E10value_typeEPNSK_ISF_E10value_typeEPSG_NS1_7vsmem_tEENKUlT_SE_SF_SG_E_clIS8_S8_S9_S9_EESD_ST_SE_SF_SG_EUlST_E_NS1_11comp_targetILNS1_3genE8ELNS1_11target_archE1030ELNS1_3gpuE2ELNS1_3repE0EEENS1_48merge_mergepath_partition_config_static_selectorELNS0_4arch9wavefront6targetE0EEEvSF_.uses_vcc, 0
	.set _ZN7rocprim17ROCPRIM_400000_NS6detail17trampoline_kernelINS0_14default_configENS1_38merge_sort_block_merge_config_selectorItNS0_10empty_typeEEEZZNS1_27merge_sort_block_merge_implIS3_PtPS5_jNS1_19radix_merge_compareILb0ELb0EtNS0_19identity_decomposerEEEEE10hipError_tT0_T1_T2_jT3_P12ihipStream_tbPNSt15iterator_traitsISE_E10value_typeEPNSK_ISF_E10value_typeEPSG_NS1_7vsmem_tEENKUlT_SE_SF_SG_E_clIS8_S8_S9_S9_EESD_ST_SE_SF_SG_EUlST_E_NS1_11comp_targetILNS1_3genE8ELNS1_11target_archE1030ELNS1_3gpuE2ELNS1_3repE0EEENS1_48merge_mergepath_partition_config_static_selectorELNS0_4arch9wavefront6targetE0EEEvSF_.uses_flat_scratch, 0
	.set _ZN7rocprim17ROCPRIM_400000_NS6detail17trampoline_kernelINS0_14default_configENS1_38merge_sort_block_merge_config_selectorItNS0_10empty_typeEEEZZNS1_27merge_sort_block_merge_implIS3_PtPS5_jNS1_19radix_merge_compareILb0ELb0EtNS0_19identity_decomposerEEEEE10hipError_tT0_T1_T2_jT3_P12ihipStream_tbPNSt15iterator_traitsISE_E10value_typeEPNSK_ISF_E10value_typeEPSG_NS1_7vsmem_tEENKUlT_SE_SF_SG_E_clIS8_S8_S9_S9_EESD_ST_SE_SF_SG_EUlST_E_NS1_11comp_targetILNS1_3genE8ELNS1_11target_archE1030ELNS1_3gpuE2ELNS1_3repE0EEENS1_48merge_mergepath_partition_config_static_selectorELNS0_4arch9wavefront6targetE0EEEvSF_.has_dyn_sized_stack, 0
	.set _ZN7rocprim17ROCPRIM_400000_NS6detail17trampoline_kernelINS0_14default_configENS1_38merge_sort_block_merge_config_selectorItNS0_10empty_typeEEEZZNS1_27merge_sort_block_merge_implIS3_PtPS5_jNS1_19radix_merge_compareILb0ELb0EtNS0_19identity_decomposerEEEEE10hipError_tT0_T1_T2_jT3_P12ihipStream_tbPNSt15iterator_traitsISE_E10value_typeEPNSK_ISF_E10value_typeEPSG_NS1_7vsmem_tEENKUlT_SE_SF_SG_E_clIS8_S8_S9_S9_EESD_ST_SE_SF_SG_EUlST_E_NS1_11comp_targetILNS1_3genE8ELNS1_11target_archE1030ELNS1_3gpuE2ELNS1_3repE0EEENS1_48merge_mergepath_partition_config_static_selectorELNS0_4arch9wavefront6targetE0EEEvSF_.has_recursion, 0
	.set _ZN7rocprim17ROCPRIM_400000_NS6detail17trampoline_kernelINS0_14default_configENS1_38merge_sort_block_merge_config_selectorItNS0_10empty_typeEEEZZNS1_27merge_sort_block_merge_implIS3_PtPS5_jNS1_19radix_merge_compareILb0ELb0EtNS0_19identity_decomposerEEEEE10hipError_tT0_T1_T2_jT3_P12ihipStream_tbPNSt15iterator_traitsISE_E10value_typeEPNSK_ISF_E10value_typeEPSG_NS1_7vsmem_tEENKUlT_SE_SF_SG_E_clIS8_S8_S9_S9_EESD_ST_SE_SF_SG_EUlST_E_NS1_11comp_targetILNS1_3genE8ELNS1_11target_archE1030ELNS1_3gpuE2ELNS1_3repE0EEENS1_48merge_mergepath_partition_config_static_selectorELNS0_4arch9wavefront6targetE0EEEvSF_.has_indirect_call, 0
	.section	.AMDGPU.csdata,"",@progbits
; Kernel info:
; codeLenInByte = 0
; TotalNumSgprs: 0
; NumVgprs: 0
; ScratchSize: 0
; MemoryBound: 0
; FloatMode: 240
; IeeeMode: 1
; LDSByteSize: 0 bytes/workgroup (compile time only)
; SGPRBlocks: 0
; VGPRBlocks: 0
; NumSGPRsForWavesPerEU: 1
; NumVGPRsForWavesPerEU: 1
; NamedBarCnt: 0
; Occupancy: 16
; WaveLimiterHint : 0
; COMPUTE_PGM_RSRC2:SCRATCH_EN: 0
; COMPUTE_PGM_RSRC2:USER_SGPR: 2
; COMPUTE_PGM_RSRC2:TRAP_HANDLER: 0
; COMPUTE_PGM_RSRC2:TGID_X_EN: 1
; COMPUTE_PGM_RSRC2:TGID_Y_EN: 0
; COMPUTE_PGM_RSRC2:TGID_Z_EN: 0
; COMPUTE_PGM_RSRC2:TIDIG_COMP_CNT: 0
	.section	.text._ZN7rocprim17ROCPRIM_400000_NS6detail17trampoline_kernelINS0_14default_configENS1_38merge_sort_block_merge_config_selectorItNS0_10empty_typeEEEZZNS1_27merge_sort_block_merge_implIS3_PtPS5_jNS1_19radix_merge_compareILb0ELb0EtNS0_19identity_decomposerEEEEE10hipError_tT0_T1_T2_jT3_P12ihipStream_tbPNSt15iterator_traitsISE_E10value_typeEPNSK_ISF_E10value_typeEPSG_NS1_7vsmem_tEENKUlT_SE_SF_SG_E_clIS8_S8_S9_S9_EESD_ST_SE_SF_SG_EUlST_E0_NS1_11comp_targetILNS1_3genE0ELNS1_11target_archE4294967295ELNS1_3gpuE0ELNS1_3repE0EEENS1_38merge_mergepath_config_static_selectorELNS0_4arch9wavefront6targetE0EEEvSF_,"axG",@progbits,_ZN7rocprim17ROCPRIM_400000_NS6detail17trampoline_kernelINS0_14default_configENS1_38merge_sort_block_merge_config_selectorItNS0_10empty_typeEEEZZNS1_27merge_sort_block_merge_implIS3_PtPS5_jNS1_19radix_merge_compareILb0ELb0EtNS0_19identity_decomposerEEEEE10hipError_tT0_T1_T2_jT3_P12ihipStream_tbPNSt15iterator_traitsISE_E10value_typeEPNSK_ISF_E10value_typeEPSG_NS1_7vsmem_tEENKUlT_SE_SF_SG_E_clIS8_S8_S9_S9_EESD_ST_SE_SF_SG_EUlST_E0_NS1_11comp_targetILNS1_3genE0ELNS1_11target_archE4294967295ELNS1_3gpuE0ELNS1_3repE0EEENS1_38merge_mergepath_config_static_selectorELNS0_4arch9wavefront6targetE0EEEvSF_,comdat
	.protected	_ZN7rocprim17ROCPRIM_400000_NS6detail17trampoline_kernelINS0_14default_configENS1_38merge_sort_block_merge_config_selectorItNS0_10empty_typeEEEZZNS1_27merge_sort_block_merge_implIS3_PtPS5_jNS1_19radix_merge_compareILb0ELb0EtNS0_19identity_decomposerEEEEE10hipError_tT0_T1_T2_jT3_P12ihipStream_tbPNSt15iterator_traitsISE_E10value_typeEPNSK_ISF_E10value_typeEPSG_NS1_7vsmem_tEENKUlT_SE_SF_SG_E_clIS8_S8_S9_S9_EESD_ST_SE_SF_SG_EUlST_E0_NS1_11comp_targetILNS1_3genE0ELNS1_11target_archE4294967295ELNS1_3gpuE0ELNS1_3repE0EEENS1_38merge_mergepath_config_static_selectorELNS0_4arch9wavefront6targetE0EEEvSF_ ; -- Begin function _ZN7rocprim17ROCPRIM_400000_NS6detail17trampoline_kernelINS0_14default_configENS1_38merge_sort_block_merge_config_selectorItNS0_10empty_typeEEEZZNS1_27merge_sort_block_merge_implIS3_PtPS5_jNS1_19radix_merge_compareILb0ELb0EtNS0_19identity_decomposerEEEEE10hipError_tT0_T1_T2_jT3_P12ihipStream_tbPNSt15iterator_traitsISE_E10value_typeEPNSK_ISF_E10value_typeEPSG_NS1_7vsmem_tEENKUlT_SE_SF_SG_E_clIS8_S8_S9_S9_EESD_ST_SE_SF_SG_EUlST_E0_NS1_11comp_targetILNS1_3genE0ELNS1_11target_archE4294967295ELNS1_3gpuE0ELNS1_3repE0EEENS1_38merge_mergepath_config_static_selectorELNS0_4arch9wavefront6targetE0EEEvSF_
	.globl	_ZN7rocprim17ROCPRIM_400000_NS6detail17trampoline_kernelINS0_14default_configENS1_38merge_sort_block_merge_config_selectorItNS0_10empty_typeEEEZZNS1_27merge_sort_block_merge_implIS3_PtPS5_jNS1_19radix_merge_compareILb0ELb0EtNS0_19identity_decomposerEEEEE10hipError_tT0_T1_T2_jT3_P12ihipStream_tbPNSt15iterator_traitsISE_E10value_typeEPNSK_ISF_E10value_typeEPSG_NS1_7vsmem_tEENKUlT_SE_SF_SG_E_clIS8_S8_S9_S9_EESD_ST_SE_SF_SG_EUlST_E0_NS1_11comp_targetILNS1_3genE0ELNS1_11target_archE4294967295ELNS1_3gpuE0ELNS1_3repE0EEENS1_38merge_mergepath_config_static_selectorELNS0_4arch9wavefront6targetE0EEEvSF_
	.p2align	8
	.type	_ZN7rocprim17ROCPRIM_400000_NS6detail17trampoline_kernelINS0_14default_configENS1_38merge_sort_block_merge_config_selectorItNS0_10empty_typeEEEZZNS1_27merge_sort_block_merge_implIS3_PtPS5_jNS1_19radix_merge_compareILb0ELb0EtNS0_19identity_decomposerEEEEE10hipError_tT0_T1_T2_jT3_P12ihipStream_tbPNSt15iterator_traitsISE_E10value_typeEPNSK_ISF_E10value_typeEPSG_NS1_7vsmem_tEENKUlT_SE_SF_SG_E_clIS8_S8_S9_S9_EESD_ST_SE_SF_SG_EUlST_E0_NS1_11comp_targetILNS1_3genE0ELNS1_11target_archE4294967295ELNS1_3gpuE0ELNS1_3repE0EEENS1_38merge_mergepath_config_static_selectorELNS0_4arch9wavefront6targetE0EEEvSF_,@function
_ZN7rocprim17ROCPRIM_400000_NS6detail17trampoline_kernelINS0_14default_configENS1_38merge_sort_block_merge_config_selectorItNS0_10empty_typeEEEZZNS1_27merge_sort_block_merge_implIS3_PtPS5_jNS1_19radix_merge_compareILb0ELb0EtNS0_19identity_decomposerEEEEE10hipError_tT0_T1_T2_jT3_P12ihipStream_tbPNSt15iterator_traitsISE_E10value_typeEPNSK_ISF_E10value_typeEPSG_NS1_7vsmem_tEENKUlT_SE_SF_SG_E_clIS8_S8_S9_S9_EESD_ST_SE_SF_SG_EUlST_E0_NS1_11comp_targetILNS1_3genE0ELNS1_11target_archE4294967295ELNS1_3gpuE0ELNS1_3repE0EEENS1_38merge_mergepath_config_static_selectorELNS0_4arch9wavefront6targetE0EEEvSF_: ; @_ZN7rocprim17ROCPRIM_400000_NS6detail17trampoline_kernelINS0_14default_configENS1_38merge_sort_block_merge_config_selectorItNS0_10empty_typeEEEZZNS1_27merge_sort_block_merge_implIS3_PtPS5_jNS1_19radix_merge_compareILb0ELb0EtNS0_19identity_decomposerEEEEE10hipError_tT0_T1_T2_jT3_P12ihipStream_tbPNSt15iterator_traitsISE_E10value_typeEPNSK_ISF_E10value_typeEPSG_NS1_7vsmem_tEENKUlT_SE_SF_SG_E_clIS8_S8_S9_S9_EESD_ST_SE_SF_SG_EUlST_E0_NS1_11comp_targetILNS1_3genE0ELNS1_11target_archE4294967295ELNS1_3gpuE0ELNS1_3repE0EEENS1_38merge_mergepath_config_static_selectorELNS0_4arch9wavefront6targetE0EEEvSF_
; %bb.0:
	s_bfe_u32 s2, ttmp6, 0x40010
	s_and_b32 s4, ttmp7, 0xffff
	s_add_co_i32 s5, s2, 1
	s_clause 0x1
	s_load_b32 s6, s[0:1], 0x30
	s_load_b64 s[2:3], s[0:1], 0x40
	s_bfe_u32 s8, ttmp6, 0x4000c
	s_mul_i32 s5, s4, s5
	s_bfe_u32 s7, ttmp6, 0x40004
	s_add_co_i32 s8, s8, 1
	s_bfe_u32 s9, ttmp6, 0x40014
	s_add_co_i32 s7, s7, s5
	s_and_b32 s5, ttmp6, 15
	s_mul_i32 s8, ttmp9, s8
	s_lshr_b32 s10, ttmp7, 16
	s_add_co_i32 s9, s9, 1
	s_add_co_i32 s5, s5, s8
	s_mul_i32 s8, s10, s9
	s_bfe_u32 s9, ttmp6, 0x40008
	s_getreg_b32 s11, hwreg(HW_REG_IB_STS2, 6, 4)
	s_add_co_i32 s9, s9, s8
	s_cmp_eq_u32 s11, 0
	s_cselect_b32 s8, s10, s9
	s_cselect_b32 s4, s4, s7
	s_wait_kmcnt 0x0
	s_mul_i32 s8, s3, s8
	s_cselect_b32 s3, ttmp9, s5
	s_add_co_i32 s4, s8, s4
	s_mov_b32 s5, 0
	s_mul_i32 s4, s4, s2
	s_delay_alu instid0(SALU_CYCLE_1) | instskip(NEXT) | instid1(SALU_CYCLE_1)
	s_add_co_i32 s4, s4, s3
	s_cmp_ge_u32 s4, s6
	s_cbranch_scc1 .LBB2439_43
; %bb.1:
	v_mov_b32_e32 v7, 0
	s_add_nc_u64 s[6:7], s[0:1], 64
	v_lshlrev_b32_e32 v6, 1, v0
	global_load_b32 v1, v7, s[6:7] offset:14
	s_clause 0x2
	s_load_b64 s[8:9], s[0:1], 0x28
	s_load_b64 s[10:11], s[0:1], 0x38
	;; [unrolled: 1-line block ×3, first 2 shown]
	s_wait_kmcnt 0x0
	s_lshr_b32 s22, s8, 10
	s_delay_alu instid0(SALU_CYCLE_1) | instskip(SKIP_2) | instid1(SALU_CYCLE_1)
	s_cmp_lg_u32 s4, s22
	s_cselect_b32 s14, -1, 0
	s_lshl_b64 s[12:13], s[4:5], 2
	s_add_nc_u64 s[10:11], s[10:11], s[12:13]
	s_load_b64 s[12:13], s[10:11], 0x0
	s_wait_xcnt 0x0
	s_lshr_b32 s10, s9, 9
	s_delay_alu instid0(SALU_CYCLE_1) | instskip(NEXT) | instid1(SALU_CYCLE_1)
	s_and_b32 s10, s10, 0x7ffffe
	s_sub_co_i32 s11, 0, s10
	s_lshl_b32 s10, s4, 10
	s_and_b32 s15, s4, s11
	s_or_b32 s11, s4, s11
	s_lshl_b32 s18, s15, 11
	s_lshl_b32 s15, s15, 10
	s_add_co_i32 s18, s18, s9
	s_sub_co_i32 s19, s10, s15
	s_sub_co_i32 s15, s18, s15
	s_add_co_i32 s18, s18, s19
	s_min_u32 s20, s8, s15
	s_add_co_i32 s15, s15, s9
	s_wait_kmcnt 0x0
	s_sub_co_i32 s9, s18, s12
	s_sub_co_i32 s19, s18, s13
	s_min_u32 s18, s8, s9
	s_add_co_i32 s9, s19, 0x400
	s_cmp_eq_u32 s11, -1
	s_mov_b32 s19, s5
	s_cselect_b32 s9, s15, s9
	s_cselect_b32 s11, s20, s13
	s_mov_b32 s13, s5
	s_min_u32 s15, s9, s8
	s_lshl_b64 s[20:21], s[18:19], 1
	s_sub_co_i32 s9, s11, s12
	s_lshl_b64 s[12:13], s[12:13], 1
	s_sub_co_i32 s15, s15, s18
	s_cmp_lt_u32 s3, s2
	s_mov_b32 s3, s5
	s_cselect_b32 s2, 12, 18
	s_add_nc_u64 s[12:13], s[16:17], s[12:13]
	s_add_nc_u64 s[2:3], s[6:7], s[2:3]
	s_cmp_eq_u32 s4, s22
	s_load_u16 s2, s[2:3], 0x0
	s_add_nc_u64 s[6:7], s[16:17], s[20:21]
	s_wait_loadcnt 0x0
	v_lshrrev_b32_e32 v2, 16, v1
	v_and_b32_e32 v1, 0xffff, v1
	s_delay_alu instid0(VALU_DEP_1) | instskip(SKIP_1) | instid1(VALU_DEP_1)
	v_mul_lo_u32 v1, v1, v2
	s_wait_kmcnt 0x0
	v_mul_lo_u32 v1, v1, s2
	s_mov_b32 s2, -1
	s_delay_alu instid0(VALU_DEP_1) | instskip(NEXT) | instid1(VALU_DEP_1)
	v_add_nc_u32_e32 v10, v1, v0
	v_add_nc_u32_e32 v8, v10, v1
	s_cbranch_scc1 .LBB2439_3
; %bb.2:
	v_sub_co_u32 v4, vcc_lo, v0, s9
	v_dual_mov_b32 v5, v7 :: v_dual_mov_b32 v11, v7
	v_add_nc_u64_e32 v[2:3], s[12:13], v[6:7]
	v_sub_co_u32 v14, s2, v10, s9
	s_delay_alu instid0(VALU_DEP_3) | instskip(SKIP_3) | instid1(VALU_DEP_4)
	v_lshl_add_u64 v[4:5], v[4:5], 1, s[6:7]
	v_dual_mov_b32 v15, v7 :: v_dual_mov_b32 v9, v7
	v_lshl_add_u64 v[12:13], v[10:11], 1, s[12:13]
	v_dual_mov_b32 v17, v7 :: v_dual_add_nc_u32 v18, v8, v1
	v_dual_cndmask_b32 v3, v5, v3 :: v_dual_cndmask_b32 v2, v4, v2
	s_delay_alu instid0(VALU_DEP_4)
	v_lshl_add_u64 v[4:5], v[14:15], 1, s[6:7]
	v_sub_co_u32 v16, vcc_lo, v8, s9
	v_mov_b32_e32 v19, v7
	v_lshl_add_u64 v[14:15], v[8:9], 1, s[12:13]
	global_load_u16 v9, v[2:3], off
	s_wait_xcnt 0x0
	v_dual_cndmask_b32 v3, v5, v13, s2 :: v_dual_cndmask_b32 v2, v4, v12, s2
	v_lshl_add_u64 v[4:5], v[16:17], 1, s[6:7]
	v_lshl_add_u64 v[12:13], v[18:19], 1, s[12:13]
	v_sub_co_u32 v16, s2, v18, s9
	v_add_nc_u32_e32 v18, v18, v1
	global_load_u16 v11, v[2:3], off
	s_wait_xcnt 0x0
	v_dual_cndmask_b32 v3, v5, v15 :: v_dual_cndmask_b32 v2, v4, v14
	v_lshl_add_u64 v[4:5], v[16:17], 1, s[6:7]
	v_lshl_add_u64 v[14:15], v[18:19], 1, s[12:13]
	v_sub_co_u32 v16, vcc_lo, v18, s9
	v_add_nc_u32_e32 v18, v18, v1
	global_load_u16 v26, v[2:3], off
	s_wait_xcnt 0x0
	v_dual_cndmask_b32 v3, v5, v13, s2 :: v_dual_mov_b32 v21, v7
	v_cndmask_b32_e64 v2, v4, v12, s2
	v_lshl_add_u64 v[4:5], v[16:17], 1, s[6:7]
	v_lshl_add_u64 v[12:13], v[18:19], 1, s[12:13]
	v_add_nc_u32_e32 v16, v18, v1
	v_sub_co_u32 v18, s2, v18, s9
	s_delay_alu instid0(VALU_DEP_4) | instskip(SKIP_1) | instid1(VALU_DEP_3)
	v_cndmask_b32_e32 v5, v5, v15, vcc_lo
	s_add_co_i32 s11, s15, s9
	v_lshl_add_u64 v[22:23], v[16:17], 1, s[12:13]
	s_delay_alu instid0(VALU_DEP_3) | instskip(SKIP_2) | instid1(VALU_DEP_3)
	v_lshl_add_u64 v[18:19], v[18:19], 1, s[6:7]
	v_add_nc_u32_e32 v20, v16, v1
	v_sub_co_u32 v16, s3, v16, s9
	v_dual_cndmask_b32 v4, v4, v14, vcc_lo :: v_dual_cndmask_b32 v13, v19, v13, s2
	s_delay_alu instid0(VALU_DEP_4) | instskip(NEXT) | instid1(VALU_DEP_4)
	v_cndmask_b32_e64 v12, v18, v12, s2
	v_lshl_add_u64 v[24:25], v[20:21], 1, s[12:13]
	v_sub_co_u32 v20, s4, v20, s9
	v_lshl_add_u64 v[16:17], v[16:17], 1, s[6:7]
	s_delay_alu instid0(VALU_DEP_2) | instskip(NEXT) | instid1(VALU_DEP_2)
	v_lshl_add_u64 v[14:15], v[20:21], 1, s[6:7]
	v_dual_cndmask_b32 v17, v17, v23, s3 :: v_dual_cndmask_b32 v16, v16, v22, s3
	s_delay_alu instid0(VALU_DEP_2)
	v_dual_cndmask_b32 v15, v15, v25, s4 :: v_dual_cndmask_b32 v14, v14, v24, s4
	global_load_u16 v7, v[2:3], off
	global_load_u16 v18, v[4:5], off
	;; [unrolled: 1-line block ×5, first 2 shown]
	s_wait_loadcnt 0x6
	s_wait_xcnt 0x4
	v_perm_b32 v2, v11, v9, 0x5040100
	s_wait_loadcnt 0x4
	v_perm_b32 v3, v7, v26, 0x5040100
	s_wait_loadcnt 0x2
	s_wait_xcnt 0x3
	v_perm_b32 v4, v19, v18, 0x5040100
	s_wait_loadcnt 0x0
	v_perm_b32 v5, v21, v20, 0x5040100
	s_cbranch_execz .LBB2439_4
	s_branch .LBB2439_19
.LBB2439_3:
                                        ; implicit-def: $vgpr2_vgpr3_vgpr4_vgpr5
                                        ; implicit-def: $sgpr11
	s_and_not1_b32 vcc_lo, exec_lo, s2
	s_cbranch_vccnz .LBB2439_19
.LBB2439_4:
	v_mov_b32_e32 v2, 0
	s_add_co_i32 s11, s15, s9
	s_mov_b32 s2, exec_lo
	s_delay_alu instid0(VALU_DEP_1)
	v_dual_mov_b32 v3, v2 :: v_dual_mov_b32 v4, v2
	v_mov_b32_e32 v5, v2
	v_cmpx_gt_u32_e64 s11, v0
	s_cbranch_execnz .LBB2439_44
; %bb.5:
	s_or_b32 exec_lo, exec_lo, s2
	s_delay_alu instid0(SALU_CYCLE_1)
	s_mov_b32 s2, exec_lo
	v_cmpx_gt_u32_e64 s11, v10
	s_cbranch_execnz .LBB2439_45
.LBB2439_6:
	s_or_b32 exec_lo, exec_lo, s2
	s_delay_alu instid0(SALU_CYCLE_1)
	s_mov_b32 s2, exec_lo
	v_cmpx_gt_u32_e64 s11, v8
	s_cbranch_execz .LBB2439_8
.LBB2439_7:
	v_sub_co_u32 v12, vcc_lo, v8, s9
	v_mov_b32_e32 v9, 0
	s_delay_alu instid0(VALU_DEP_1) | instskip(SKIP_1) | instid1(VALU_DEP_1)
	v_lshl_add_u64 v[10:11], v[8:9], 1, s[12:13]
	v_mov_b32_e32 v13, v9
	v_lshl_add_u64 v[12:13], v[12:13], 1, s[6:7]
	s_delay_alu instid0(VALU_DEP_1)
	v_dual_cndmask_b32 v11, v13, v11 :: v_dual_cndmask_b32 v10, v12, v10
	global_load_u16 v7, v[10:11], off
	s_wait_loadcnt 0x0
	v_bfi_b32 v3, 0xffff, v7, v3
.LBB2439_8:
	s_or_b32 exec_lo, exec_lo, s2
	v_add_nc_u32_e32 v8, v8, v1
	s_mov_b32 s2, exec_lo
	s_delay_alu instid0(VALU_DEP_1)
	v_cmpx_gt_u32_e64 s11, v8
	s_cbranch_execz .LBB2439_10
; %bb.9:
	v_sub_co_u32 v12, vcc_lo, v8, s9
	v_mov_b32_e32 v9, 0
	s_delay_alu instid0(VALU_DEP_1) | instskip(SKIP_1) | instid1(VALU_DEP_1)
	v_lshl_add_u64 v[10:11], v[8:9], 1, s[12:13]
	v_mov_b32_e32 v13, v9
	v_lshl_add_u64 v[12:13], v[12:13], 1, s[6:7]
	s_delay_alu instid0(VALU_DEP_1)
	v_dual_cndmask_b32 v11, v13, v11 :: v_dual_cndmask_b32 v10, v12, v10
	global_load_u16 v7, v[10:11], off
	s_wait_loadcnt 0x0
	v_perm_b32 v3, v7, v3, 0x5040100
.LBB2439_10:
	s_or_b32 exec_lo, exec_lo, s2
	v_add_nc_u32_e32 v8, v8, v1
	s_mov_b32 s2, exec_lo
	s_delay_alu instid0(VALU_DEP_1)
	v_cmpx_gt_u32_e64 s11, v8
	s_cbranch_execz .LBB2439_12
; %bb.11:
	v_sub_co_u32 v12, vcc_lo, v8, s9
	v_mov_b32_e32 v9, 0
	s_delay_alu instid0(VALU_DEP_1) | instskip(SKIP_1) | instid1(VALU_DEP_1)
	v_lshl_add_u64 v[10:11], v[8:9], 1, s[12:13]
	v_mov_b32_e32 v13, v9
	v_lshl_add_u64 v[12:13], v[12:13], 1, s[6:7]
	s_delay_alu instid0(VALU_DEP_1)
	v_dual_cndmask_b32 v11, v13, v11 :: v_dual_cndmask_b32 v10, v12, v10
	global_load_u16 v7, v[10:11], off
	s_wait_loadcnt 0x0
	v_bfi_b32 v4, 0xffff, v7, v4
.LBB2439_12:
	s_or_b32 exec_lo, exec_lo, s2
	v_add_nc_u32_e32 v8, v8, v1
	s_mov_b32 s2, exec_lo
	s_delay_alu instid0(VALU_DEP_1)
	v_cmpx_gt_u32_e64 s11, v8
	s_cbranch_execz .LBB2439_14
; %bb.13:
	v_sub_co_u32 v12, vcc_lo, v8, s9
	v_mov_b32_e32 v9, 0
	s_delay_alu instid0(VALU_DEP_1) | instskip(SKIP_1) | instid1(VALU_DEP_1)
	v_lshl_add_u64 v[10:11], v[8:9], 1, s[12:13]
	v_mov_b32_e32 v13, v9
	v_lshl_add_u64 v[12:13], v[12:13], 1, s[6:7]
	s_delay_alu instid0(VALU_DEP_1)
	v_dual_cndmask_b32 v11, v13, v11 :: v_dual_cndmask_b32 v10, v12, v10
	global_load_u16 v7, v[10:11], off
	s_wait_loadcnt 0x0
	v_perm_b32 v4, v7, v4, 0x5040100
.LBB2439_14:
	s_or_b32 exec_lo, exec_lo, s2
	v_add_nc_u32_e32 v8, v8, v1
	s_mov_b32 s2, exec_lo
	s_delay_alu instid0(VALU_DEP_1)
	v_cmpx_gt_u32_e64 s11, v8
	s_cbranch_execz .LBB2439_16
; %bb.15:
	v_sub_co_u32 v12, vcc_lo, v8, s9
	v_mov_b32_e32 v9, 0
	s_delay_alu instid0(VALU_DEP_1) | instskip(SKIP_1) | instid1(VALU_DEP_1)
	v_lshl_add_u64 v[10:11], v[8:9], 1, s[12:13]
	v_mov_b32_e32 v13, v9
	v_lshl_add_u64 v[12:13], v[12:13], 1, s[6:7]
	s_delay_alu instid0(VALU_DEP_1)
	v_dual_cndmask_b32 v11, v13, v11 :: v_dual_cndmask_b32 v10, v12, v10
	global_load_u16 v7, v[10:11], off
	s_wait_loadcnt 0x0
	v_bfi_b32 v5, 0xffff, v7, v5
.LBB2439_16:
	s_or_b32 exec_lo, exec_lo, s2
	v_add_nc_u32_e32 v8, v8, v1
	s_mov_b32 s2, exec_lo
	s_delay_alu instid0(VALU_DEP_1)
	v_cmpx_gt_u32_e64 s11, v8
	s_cbranch_execz .LBB2439_18
; %bb.17:
	v_mov_b32_e32 v9, 0
	s_delay_alu instid0(VALU_DEP_1) | instskip(SKIP_1) | instid1(VALU_DEP_1)
	v_lshl_add_u64 v[10:11], v[8:9], 1, s[12:13]
	v_sub_co_u32 v8, vcc_lo, v8, s9
	v_lshl_add_u64 v[8:9], v[8:9], 1, s[6:7]
	s_delay_alu instid0(VALU_DEP_1)
	v_dual_cndmask_b32 v9, v9, v11 :: v_dual_cndmask_b32 v8, v8, v10
	global_load_u16 v1, v[8:9], off
	s_wait_loadcnt 0x0
	v_perm_b32 v5, v1, v5, 0x5040100
.LBB2439_18:
	s_or_b32 exec_lo, exec_lo, s2
.LBB2439_19:
	s_load_b64 s[12:13], s[0:1], 0x10
	v_dual_lshlrev_b32 v1, 3, v0 :: v_dual_lshrrev_b32 v7, 16, v2
	v_dual_lshrrev_b32 v9, 16, v3 :: v_dual_lshrrev_b32 v8, 16, v4
	v_lshrrev_b32_e32 v10, 16, v5
	s_delay_alu instid0(VALU_DEP_3)
	v_min_u32_e32 v12, s11, v1
	s_wait_xcnt 0x0
	s_mov_b32 s0, exec_lo
	ds_store_b16 v6, v2
	ds_store_b16 v6, v7 offset:256
	ds_store_b16 v6, v3 offset:512
	;; [unrolled: 1-line block ×7, first 2 shown]
	s_wait_dscnt 0x0
	s_barrier_signal -1
	v_sub_nc_u32_e64 v11, v12, s15 clamp
	v_min_u32_e32 v13, s9, v12
	s_barrier_wait -1
	s_delay_alu instid0(VALU_DEP_1)
	v_cmpx_lt_u32_e64 v11, v13
	s_cbranch_execz .LBB2439_23
; %bb.20:
	v_lshlrev_b32_e32 v14, 1, v12
	s_mov_b32 s1, 0
	s_delay_alu instid0(VALU_DEP_1)
	v_lshl_add_u32 v14, s9, 1, v14
.LBB2439_21:                            ; =>This Inner Loop Header: Depth=1
	v_add_nc_u32_e32 v15, v13, v11
	s_delay_alu instid0(VALU_DEP_1) | instskip(NEXT) | instid1(VALU_DEP_1)
	v_lshrrev_b32_e32 v16, 1, v15
	v_dual_add_nc_u32 v18, 1, v16 :: v_dual_bitop2_b32 v15, -2, v15 bitop3:0x40
	v_not_b32_e32 v17, v16
	s_delay_alu instid0(VALU_DEP_1)
	v_lshl_add_u32 v17, v17, 1, v14
	ds_load_u16 v15, v15
	ds_load_u16 v17, v17
	s_wait_dscnt 0x0
	v_cmp_gt_u16_e32 vcc_lo, v15, v17
	v_dual_cndmask_b32 v13, v13, v16, vcc_lo :: v_dual_cndmask_b32 v11, v18, v11, vcc_lo
	s_delay_alu instid0(VALU_DEP_1) | instskip(SKIP_1) | instid1(SALU_CYCLE_1)
	v_cmp_ge_u32_e32 vcc_lo, v11, v13
	s_or_b32 s1, vcc_lo, s1
	s_and_not1_b32 exec_lo, exec_lo, s1
	s_cbranch_execnz .LBB2439_21
; %bb.22:
	s_or_b32 exec_lo, exec_lo, s1
.LBB2439_23:
	s_delay_alu instid0(SALU_CYCLE_1) | instskip(SKIP_2) | instid1(VALU_DEP_2)
	s_or_b32 exec_lo, exec_lo, s0
	v_sub_nc_u32_e32 v12, v12, v11
	v_cmp_ge_u32_e32 vcc_lo, s9, v11
	v_add_nc_u32_e32 v12, s9, v12
	s_delay_alu instid0(VALU_DEP_1) | instskip(SKIP_1) | instid1(SALU_CYCLE_1)
	v_cmp_ge_u32_e64 s0, s11, v12
	s_or_b32 s0, vcc_lo, s0
	s_and_saveexec_b32 s15, s0
	s_cbranch_execz .LBB2439_29
; %bb.24:
	v_cmp_gt_u32_e32 vcc_lo, s9, v11
                                        ; implicit-def: $vgpr2
	s_and_saveexec_b32 s0, vcc_lo
; %bb.25:
	v_lshlrev_b32_e32 v2, 1, v11
	ds_load_u16 v2, v2
; %bb.26:
	s_or_b32 exec_lo, exec_lo, s0
	v_cmp_le_u32_e64 s0, s11, v12
	s_mov_b32 s2, exec_lo
                                        ; implicit-def: $vgpr3
	v_cmpx_gt_u32_e64 s11, v12
; %bb.27:
	v_lshlrev_b32_e32 v3, 1, v12
	ds_load_u16 v3, v3
; %bb.28:
	s_or_b32 exec_lo, exec_lo, s2
	s_wait_dscnt 0x0
	v_cmp_le_u16_e64 s1, v2, v3
	s_and_b32 s1, vcc_lo, s1
	s_delay_alu instid0(SALU_CYCLE_1) | instskip(SKIP_1) | instid1(VALU_DEP_1)
	s_or_b32 vcc_lo, s0, s1
	v_dual_mov_b32 v4, s9 :: v_dual_cndmask_b32 v5, v12, v11
	v_dual_cndmask_b32 v7, s11, v4, vcc_lo :: v_dual_add_nc_u32 v5, 1, v5
	s_delay_alu instid0(VALU_DEP_1) | instskip(SKIP_1) | instid1(VALU_DEP_2)
	v_add_min_u32_e64 v7, v7, -1, v5
	v_dual_cndmask_b32 v8, v11, v5 :: v_dual_cndmask_b32 v5, v5, v12
	v_lshlrev_b32_e32 v7, 1, v7
	s_delay_alu instid0(VALU_DEP_2) | instskip(NEXT) | instid1(VALU_DEP_3)
	v_cmp_gt_u32_e64 s0, s9, v8
	v_cmp_le_u32_e64 s2, s11, v5
	ds_load_u16 v7, v7
	s_wait_dscnt 0x0
	v_cndmask_b32_e32 v9, v7, v3, vcc_lo
	v_dual_cndmask_b32 v7, v2, v7 :: v_dual_cndmask_b32 v2, v3, v2
	s_delay_alu instid0(VALU_DEP_1) | instskip(SKIP_1) | instid1(SALU_CYCLE_1)
	v_cmp_le_u16_e64 s1, v7, v9
	s_and_b32 s0, s0, s1
	s_or_b32 s0, s2, s0
	s_delay_alu instid0(SALU_CYCLE_1) | instskip(NEXT) | instid1(VALU_DEP_1)
	v_cndmask_b32_e64 v10, v5, v8, s0
	v_dual_cndmask_b32 v11, s11, v4, s0 :: v_dual_add_nc_u32 v10, 1, v10
	s_delay_alu instid0(VALU_DEP_1) | instskip(SKIP_1) | instid1(VALU_DEP_2)
	v_add_min_u32_e64 v11, v11, -1, v10
	v_dual_cndmask_b32 v8, v8, v10, s0 :: v_dual_cndmask_b32 v5, v10, v5, s0
	v_lshlrev_b32_e32 v11, 1, v11
	s_delay_alu instid0(VALU_DEP_2) | instskip(NEXT) | instid1(VALU_DEP_3)
	v_cmp_gt_u32_e64 s1, s9, v8
	v_cmp_le_u32_e64 s3, s11, v5
	ds_load_u16 v11, v11
	s_wait_dscnt 0x0
	v_cndmask_b32_e64 v12, v11, v9, s0
	v_cndmask_b32_e64 v11, v7, v11, s0
	;; [unrolled: 1-line block ×3, first 2 shown]
	s_delay_alu instid0(VALU_DEP_2) | instskip(SKIP_1) | instid1(SALU_CYCLE_1)
	v_cmp_le_u16_e64 s2, v11, v12
	s_and_b32 s1, s1, s2
	s_or_b32 s1, s3, s1
	s_delay_alu instid0(SALU_CYCLE_1) | instskip(NEXT) | instid1(VALU_DEP_1)
	v_cndmask_b32_e64 v10, v5, v8, s1
	v_dual_cndmask_b32 v13, s11, v4, s1 :: v_dual_add_nc_u32 v10, 1, v10
	s_delay_alu instid0(VALU_DEP_1) | instskip(SKIP_1) | instid1(VALU_DEP_2)
	v_add_min_u32_e64 v13, v13, -1, v10
	v_dual_cndmask_b32 v8, v8, v10, s1 :: v_dual_cndmask_b32 v5, v10, v5, s1
	v_lshlrev_b32_e32 v13, 1, v13
	s_delay_alu instid0(VALU_DEP_2) | instskip(NEXT) | instid1(VALU_DEP_3)
	v_cmp_gt_u32_e64 s2, s9, v8
	v_cmp_le_u32_e64 s4, s11, v5
	ds_load_u16 v13, v13
	s_wait_dscnt 0x0
	v_dual_cndmask_b32 v14, v13, v12, s1 :: v_dual_cndmask_b32 v13, v11, v13, s1
	s_delay_alu instid0(VALU_DEP_1) | instskip(SKIP_1) | instid1(SALU_CYCLE_1)
	v_cmp_le_u16_e64 s3, v13, v14
	s_and_b32 s2, s2, s3
	s_or_b32 s2, s4, s2
	s_delay_alu instid0(SALU_CYCLE_1) | instskip(SKIP_1) | instid1(VALU_DEP_1)
	v_dual_cndmask_b32 v3, v12, v11, s1 :: v_dual_cndmask_b32 v9, v14, v13, s2
	v_cndmask_b32_e64 v10, v5, v8, s2
	v_dual_cndmask_b32 v15, s11, v4, s2 :: v_dual_add_nc_u32 v10, 1, v10
	s_delay_alu instid0(VALU_DEP_1) | instskip(NEXT) | instid1(VALU_DEP_1)
	v_add_min_u32_e64 v15, v15, -1, v10
	v_dual_lshlrev_b32 v15, 1, v15 :: v_dual_cndmask_b32 v5, v10, v5, s2
	ds_load_u16 v15, v15
	v_cndmask_b32_e64 v8, v8, v10, s2
	v_cmp_le_u32_e64 s5, s11, v5
	s_wait_dscnt 0x0
	v_dual_cndmask_b32 v16, v15, v14, s2 :: v_dual_cndmask_b32 v15, v13, v15, s2
	s_delay_alu instid0(VALU_DEP_3) | instskip(NEXT) | instid1(VALU_DEP_2)
	v_cmp_gt_u32_e64 s3, s9, v8
	v_cmp_le_u16_e64 s4, v15, v16
	s_and_b32 s3, s3, s4
	s_delay_alu instid0(SALU_CYCLE_1) | instskip(NEXT) | instid1(SALU_CYCLE_1)
	s_or_b32 s3, s5, s3
	v_cndmask_b32_e64 v10, v5, v8, s3
	s_delay_alu instid0(VALU_DEP_1) | instskip(NEXT) | instid1(VALU_DEP_1)
	v_dual_cndmask_b32 v17, s11, v4, s3 :: v_dual_add_nc_u32 v10, 1, v10
	v_add_min_u32_e64 v17, v17, -1, v10
	v_cndmask_b32_e64 v5, v10, v5, s3
	s_delay_alu instid0(VALU_DEP_2) | instskip(NEXT) | instid1(VALU_DEP_2)
	v_lshlrev_b32_e32 v17, 1, v17
	v_cmp_le_u32_e64 s6, s11, v5
	ds_load_u16 v17, v17
	s_wait_dscnt 0x0
	v_dual_cndmask_b32 v8, v8, v10, s3 :: v_dual_cndmask_b32 v18, v17, v16, s3
	v_cndmask_b32_e64 v17, v15, v17, s3
	s_delay_alu instid0(VALU_DEP_2) | instskip(NEXT) | instid1(VALU_DEP_2)
	v_cmp_gt_u32_e64 s4, s9, v8
	v_cmp_le_u16_e64 s5, v17, v18
	s_and_b32 s4, s4, s5
	s_delay_alu instid0(SALU_CYCLE_1) | instskip(NEXT) | instid1(SALU_CYCLE_1)
	s_or_b32 s4, s6, s4
	v_cndmask_b32_e64 v10, v5, v8, s4
	s_delay_alu instid0(VALU_DEP_1) | instskip(NEXT) | instid1(VALU_DEP_1)
	v_dual_cndmask_b32 v19, s11, v4, s4 :: v_dual_add_nc_u32 v10, 1, v10
	v_add_min_u32_e64 v19, v19, -1, v10
	s_delay_alu instid0(VALU_DEP_1)
	v_dual_lshlrev_b32 v19, 1, v19 :: v_dual_cndmask_b32 v5, v10, v5, s4
	ds_load_u16 v19, v19
	v_cndmask_b32_e64 v8, v8, v10, s4
	v_cmp_le_u32_e64 s7, s11, v5
	s_wait_dscnt 0x0
	v_dual_cndmask_b32 v20, v19, v18, s4 :: v_dual_cndmask_b32 v19, v17, v19, s4
	s_delay_alu instid0(VALU_DEP_3) | instskip(NEXT) | instid1(VALU_DEP_2)
	v_cmp_gt_u32_e64 s5, s9, v8
	v_cmp_le_u16_e64 s6, v19, v20
	s_and_b32 s5, s5, s6
	s_delay_alu instid0(SALU_CYCLE_1) | instskip(NEXT) | instid1(SALU_CYCLE_1)
	s_or_b32 s5, s7, s5
	v_cndmask_b32_e64 v10, v5, v8, s5
	s_delay_alu instid0(VALU_DEP_1) | instskip(NEXT) | instid1(VALU_DEP_1)
	v_dual_cndmask_b32 v4, s11, v4, s5 :: v_dual_add_nc_u32 v10, 1, v10
	v_add_min_u32_e64 v4, v4, -1, v10
	s_delay_alu instid0(VALU_DEP_1) | instskip(NEXT) | instid1(VALU_DEP_1)
	v_dual_cndmask_b32 v8, v8, v10, s5 :: v_dual_lshlrev_b32 v4, 1, v4
	v_cmp_gt_u32_e32 vcc_lo, s9, v8
	v_cndmask_b32_e64 v8, v18, v17, s4
	ds_load_u16 v4, v4
	s_wait_dscnt 0x0
	v_cndmask_b32_e64 v21, v4, v20, s5
	v_dual_cndmask_b32 v22, v19, v4, s5 :: v_dual_cndmask_b32 v4, v10, v5, s5
	s_delay_alu instid0(VALU_DEP_1) | instskip(NEXT) | instid1(VALU_DEP_2)
	v_cmp_le_u16_e64 s0, v22, v21
	v_cmp_le_u32_e64 s1, s11, v4
	v_cndmask_b32_e64 v4, v16, v15, s3
	s_and_b32 s0, vcc_lo, s0
	s_delay_alu instid0(SALU_CYCLE_1) | instskip(NEXT) | instid1(SALU_CYCLE_1)
	s_or_b32 vcc_lo, s1, s0
	v_dual_cndmask_b32 v5, v20, v19, s5 :: v_dual_cndmask_b32 v10, v21, v22, vcc_lo
.LBB2439_29:
	s_or_b32 exec_lo, exec_lo, s15
	v_lshrrev_b32_e32 v11, 1, v0
	v_or_b32_e32 v12, 0x80, v0
	v_perm_b32 v2, v7, v2, 0x5040100
	v_lshrrev_b32_e32 v7, 4, v0
	v_perm_b32 v3, v9, v3, 0x5040100
	s_delay_alu instid0(VALU_DEP_4) | instskip(SKIP_2) | instid1(VALU_DEP_3)
	v_dual_lshrrev_b32 v9, 4, v12 :: v_dual_bitop2_b32 v11, 60, v11 bitop3:0x40
	v_perm_b32 v4, v8, v4, 0x5040100
	v_perm_b32 v5, v10, v5, 0x5040100
	v_lshl_add_u32 v1, v1, 1, v11
	v_or_b32_e32 v11, 0x100, v0
	s_barrier_signal -1
	s_barrier_wait -1
	s_delay_alu instid0(VALU_DEP_1)
	v_dual_lshrrev_b32 v13, 4, v11 :: v_dual_bitop2_b32 v8, 12, v9 bitop3:0x40
	v_and_b32_e32 v7, 4, v7
	v_or_b32_e32 v9, 0x180, v0
	s_barrier_signal -1
	s_barrier_wait -1
	v_and_b32_e32 v14, 20, v13
	ds_store_2addr_b32 v1, v2, v3 offset1:1
	ds_store_2addr_b32 v1, v4, v5 offset0:2 offset1:3
	v_dual_add_nc_u32 v13, v8, v6 :: v_dual_add_nc_u32 v10, v7, v6
	v_dual_lshrrev_b32 v1, 4, v9 :: v_dual_add_nc_u32 v14, v14, v6
	v_or_b32_e32 v8, 0x200, v0
	v_or_b32_e32 v5, 0x280, v0
	;; [unrolled: 1-line block ×3, first 2 shown]
	s_delay_alu instid0(VALU_DEP_4) | instskip(SKIP_1) | instid1(VALU_DEP_4)
	v_and_b32_e32 v2, 28, v1
	v_or_b32_e32 v1, 0x380, v0
	v_dual_lshrrev_b32 v3, 4, v8 :: v_dual_lshrrev_b32 v7, 4, v5
	s_delay_alu instid0(VALU_DEP_3) | instskip(NEXT) | instid1(VALU_DEP_3)
	v_dual_lshrrev_b32 v16, 4, v4 :: v_dual_add_nc_u32 v15, v2, v6
	v_lshrrev_b32_e32 v2, 4, v1
	s_mov_b32 s11, 0
	s_delay_alu instid0(VALU_DEP_3)
	v_and_b32_e32 v3, 36, v3
	v_dual_mov_b32 v7, 0 :: v_dual_bitop2_b32 v17, 44, v7 bitop3:0x40
	s_lshl_b64 s[0:1], s[10:11], 1
	v_and_b32_e32 v18, 52, v16
	v_and_b32_e32 v19, 60, v2
	s_wait_kmcnt 0x0
	s_add_nc_u64 s[0:1], s[12:13], s[0:1]
	v_add_nc_u32_e32 v16, v3, v6
	v_add_nc_u64_e32 v[2:3], s[0:1], v[6:7]
	v_dual_add_nc_u32 v17, v17, v6 :: v_dual_add_nc_u32 v18, v18, v6
	v_add_nc_u32_e32 v19, v19, v6
	s_and_b32 vcc_lo, exec_lo, s14
	s_wait_dscnt 0x0
	s_cbranch_vccz .LBB2439_31
; %bb.30:
	s_barrier_signal -1
	s_barrier_wait -1
	ds_load_u16 v7, v10
	ds_load_u16 v20, v13 offset:256
	ds_load_u16 v21, v14 offset:512
	;; [unrolled: 1-line block ×7, first 2 shown]
	s_mov_b32 s11, -1
	s_wait_dscnt 0x7
	global_store_b16 v[2:3], v7, off
	s_wait_dscnt 0x6
	global_store_b16 v[2:3], v20, off offset:256
	s_wait_dscnt 0x5
	global_store_b16 v[2:3], v21, off offset:512
	;; [unrolled: 2-line block ×6, first 2 shown]
	s_cbranch_execz .LBB2439_32
	s_branch .LBB2439_41
.LBB2439_31:
                                        ; implicit-def: $vgpr6
.LBB2439_32:
	s_barrier_signal -1
	s_barrier_wait -1
	s_wait_storecnt_dscnt 0x0
	s_wait_xcnt 0x4
	ds_load_u16 v21, v13 offset:256
	ds_load_u16 v20, v14 offset:512
	;; [unrolled: 1-line block ×7, first 2 shown]
	s_sub_co_i32 s0, s8, s10
	s_mov_b32 s1, exec_lo
	s_wait_xcnt 0x0
	v_cmpx_gt_u32_e64 s0, v0
	s_cbranch_execnz .LBB2439_46
; %bb.33:
	s_or_b32 exec_lo, exec_lo, s1
	s_delay_alu instid0(SALU_CYCLE_1)
	s_mov_b32 s1, exec_lo
	v_cmpx_gt_u32_e64 s0, v12
	s_cbranch_execnz .LBB2439_47
.LBB2439_34:
	s_or_b32 exec_lo, exec_lo, s1
	s_delay_alu instid0(SALU_CYCLE_1)
	s_mov_b32 s1, exec_lo
	v_cmpx_gt_u32_e64 s0, v11
	s_cbranch_execnz .LBB2439_48
.LBB2439_35:
	s_or_b32 exec_lo, exec_lo, s1
	s_delay_alu instid0(SALU_CYCLE_1)
	s_mov_b32 s1, exec_lo
	v_cmpx_gt_u32_e64 s0, v9
	s_cbranch_execnz .LBB2439_49
.LBB2439_36:
	s_or_b32 exec_lo, exec_lo, s1
	s_delay_alu instid0(SALU_CYCLE_1)
	s_mov_b32 s1, exec_lo
	v_cmpx_gt_u32_e64 s0, v8
	s_cbranch_execnz .LBB2439_50
.LBB2439_37:
	s_or_b32 exec_lo, exec_lo, s1
	s_delay_alu instid0(SALU_CYCLE_1)
	s_mov_b32 s1, exec_lo
	v_cmpx_gt_u32_e64 s0, v5
	s_cbranch_execnz .LBB2439_51
.LBB2439_38:
	s_or_b32 exec_lo, exec_lo, s1
	s_delay_alu instid0(SALU_CYCLE_1)
	s_mov_b32 s1, exec_lo
	v_cmpx_gt_u32_e64 s0, v4
	s_cbranch_execz .LBB2439_40
.LBB2439_39:
	s_wait_dscnt 0x1
	global_store_b16 v[2:3], v7, off offset:1536
.LBB2439_40:
	s_wait_xcnt 0x0
	s_or_b32 exec_lo, exec_lo, s1
	v_cmp_gt_u32_e64 s11, s0, v1
.LBB2439_41:
	s_wait_xcnt 0x0
	s_delay_alu instid0(VALU_DEP_1)
	s_and_saveexec_b32 s0, s11
	s_cbranch_execz .LBB2439_43
; %bb.42:
	s_wait_dscnt 0x0
	global_store_b16 v[2:3], v6, off offset:1792
.LBB2439_43:
	s_endpgm
.LBB2439_44:
	v_dual_mov_b32 v7, v2 :: v_dual_mov_b32 v5, v2
	v_sub_co_u32 v4, vcc_lo, v0, s9
	v_mov_b32_e32 v15, v2
	s_delay_alu instid0(VALU_DEP_3) | instskip(SKIP_1) | instid1(VALU_DEP_4)
	v_add_nc_u64_e32 v[12:13], s[12:13], v[6:7]
	v_mov_b32_e32 v14, v2
	v_lshl_add_u64 v[4:5], v[4:5], 1, s[6:7]
	s_delay_alu instid0(VALU_DEP_1) | instskip(SKIP_4) | instid1(VALU_DEP_1)
	v_dual_cndmask_b32 v5, v5, v13 :: v_dual_cndmask_b32 v4, v4, v12
	v_mov_b32_e32 v13, v2
	global_load_u16 v3, v[4:5], off
	s_wait_loadcnt 0x0
	v_and_b32_e32 v12, 0xffff, v3
	v_mov_b64_e32 v[2:3], v[12:13]
	v_mov_b64_e32 v[4:5], v[14:15]
	s_or_b32 exec_lo, exec_lo, s2
	s_delay_alu instid0(SALU_CYCLE_1)
	s_mov_b32 s2, exec_lo
	v_cmpx_gt_u32_e64 s11, v10
	s_cbranch_execz .LBB2439_6
.LBB2439_45:
	v_mov_b32_e32 v11, 0
	s_delay_alu instid0(VALU_DEP_1) | instskip(SKIP_1) | instid1(VALU_DEP_1)
	v_lshl_add_u64 v[12:13], v[10:11], 1, s[12:13]
	v_sub_co_u32 v10, vcc_lo, v10, s9
	v_lshl_add_u64 v[10:11], v[10:11], 1, s[6:7]
	s_delay_alu instid0(VALU_DEP_1) | instskip(SKIP_4) | instid1(SALU_CYCLE_1)
	v_dual_cndmask_b32 v11, v11, v13 :: v_dual_cndmask_b32 v10, v10, v12
	global_load_u16 v7, v[10:11], off
	s_wait_loadcnt 0x0
	v_perm_b32 v2, v7, v2, 0x5040100
	s_or_b32 exec_lo, exec_lo, s2
	s_mov_b32 s2, exec_lo
	v_cmpx_gt_u32_e64 s11, v8
	s_cbranch_execnz .LBB2439_7
	s_branch .LBB2439_8
.LBB2439_46:
	ds_load_u16 v0, v10
	s_wait_dscnt 0x0
	global_store_b16 v[2:3], v0, off
	s_wait_xcnt 0x0
	s_or_b32 exec_lo, exec_lo, s1
	s_delay_alu instid0(SALU_CYCLE_1)
	s_mov_b32 s1, exec_lo
	v_cmpx_gt_u32_e64 s0, v12
	s_cbranch_execz .LBB2439_34
.LBB2439_47:
	s_wait_dscnt 0x6
	global_store_b16 v[2:3], v21, off offset:256
	s_wait_xcnt 0x0
	s_or_b32 exec_lo, exec_lo, s1
	s_delay_alu instid0(SALU_CYCLE_1)
	s_mov_b32 s1, exec_lo
	v_cmpx_gt_u32_e64 s0, v11
	s_cbranch_execz .LBB2439_35
.LBB2439_48:
	s_wait_dscnt 0x5
	global_store_b16 v[2:3], v20, off offset:512
	s_wait_xcnt 0x0
	s_or_b32 exec_lo, exec_lo, s1
	s_delay_alu instid0(SALU_CYCLE_1)
	s_mov_b32 s1, exec_lo
	v_cmpx_gt_u32_e64 s0, v9
	s_cbranch_execz .LBB2439_36
.LBB2439_49:
	s_wait_dscnt 0x4
	global_store_b16 v[2:3], v15, off offset:768
	s_wait_xcnt 0x0
	s_or_b32 exec_lo, exec_lo, s1
	s_delay_alu instid0(SALU_CYCLE_1)
	s_mov_b32 s1, exec_lo
	v_cmpx_gt_u32_e64 s0, v8
	s_cbranch_execz .LBB2439_37
.LBB2439_50:
	s_wait_dscnt 0x3
	global_store_b16 v[2:3], v14, off offset:1024
	s_wait_xcnt 0x0
	s_or_b32 exec_lo, exec_lo, s1
	s_delay_alu instid0(SALU_CYCLE_1)
	s_mov_b32 s1, exec_lo
	v_cmpx_gt_u32_e64 s0, v5
	s_cbranch_execz .LBB2439_38
.LBB2439_51:
	s_wait_dscnt 0x2
	global_store_b16 v[2:3], v13, off offset:1280
	s_wait_xcnt 0x0
	s_or_b32 exec_lo, exec_lo, s1
	s_delay_alu instid0(SALU_CYCLE_1)
	s_mov_b32 s1, exec_lo
	v_cmpx_gt_u32_e64 s0, v4
	s_cbranch_execnz .LBB2439_39
	s_branch .LBB2439_40
	.section	.rodata,"a",@progbits
	.p2align	6, 0x0
	.amdhsa_kernel _ZN7rocprim17ROCPRIM_400000_NS6detail17trampoline_kernelINS0_14default_configENS1_38merge_sort_block_merge_config_selectorItNS0_10empty_typeEEEZZNS1_27merge_sort_block_merge_implIS3_PtPS5_jNS1_19radix_merge_compareILb0ELb0EtNS0_19identity_decomposerEEEEE10hipError_tT0_T1_T2_jT3_P12ihipStream_tbPNSt15iterator_traitsISE_E10value_typeEPNSK_ISF_E10value_typeEPSG_NS1_7vsmem_tEENKUlT_SE_SF_SG_E_clIS8_S8_S9_S9_EESD_ST_SE_SF_SG_EUlST_E0_NS1_11comp_targetILNS1_3genE0ELNS1_11target_archE4294967295ELNS1_3gpuE0ELNS1_3repE0EEENS1_38merge_mergepath_config_static_selectorELNS0_4arch9wavefront6targetE0EEEvSF_
		.amdhsa_group_segment_fixed_size 2112
		.amdhsa_private_segment_fixed_size 0
		.amdhsa_kernarg_size 320
		.amdhsa_user_sgpr_count 2
		.amdhsa_user_sgpr_dispatch_ptr 0
		.amdhsa_user_sgpr_queue_ptr 0
		.amdhsa_user_sgpr_kernarg_segment_ptr 1
		.amdhsa_user_sgpr_dispatch_id 0
		.amdhsa_user_sgpr_kernarg_preload_length 0
		.amdhsa_user_sgpr_kernarg_preload_offset 0
		.amdhsa_user_sgpr_private_segment_size 0
		.amdhsa_wavefront_size32 1
		.amdhsa_uses_dynamic_stack 0
		.amdhsa_enable_private_segment 0
		.amdhsa_system_sgpr_workgroup_id_x 1
		.amdhsa_system_sgpr_workgroup_id_y 1
		.amdhsa_system_sgpr_workgroup_id_z 1
		.amdhsa_system_sgpr_workgroup_info 0
		.amdhsa_system_vgpr_workitem_id 0
		.amdhsa_next_free_vgpr 27
		.amdhsa_next_free_sgpr 23
		.amdhsa_named_barrier_count 0
		.amdhsa_reserve_vcc 1
		.amdhsa_float_round_mode_32 0
		.amdhsa_float_round_mode_16_64 0
		.amdhsa_float_denorm_mode_32 3
		.amdhsa_float_denorm_mode_16_64 3
		.amdhsa_fp16_overflow 0
		.amdhsa_memory_ordered 1
		.amdhsa_forward_progress 1
		.amdhsa_inst_pref_size 34
		.amdhsa_round_robin_scheduling 0
		.amdhsa_exception_fp_ieee_invalid_op 0
		.amdhsa_exception_fp_denorm_src 0
		.amdhsa_exception_fp_ieee_div_zero 0
		.amdhsa_exception_fp_ieee_overflow 0
		.amdhsa_exception_fp_ieee_underflow 0
		.amdhsa_exception_fp_ieee_inexact 0
		.amdhsa_exception_int_div_zero 0
	.end_amdhsa_kernel
	.section	.text._ZN7rocprim17ROCPRIM_400000_NS6detail17trampoline_kernelINS0_14default_configENS1_38merge_sort_block_merge_config_selectorItNS0_10empty_typeEEEZZNS1_27merge_sort_block_merge_implIS3_PtPS5_jNS1_19radix_merge_compareILb0ELb0EtNS0_19identity_decomposerEEEEE10hipError_tT0_T1_T2_jT3_P12ihipStream_tbPNSt15iterator_traitsISE_E10value_typeEPNSK_ISF_E10value_typeEPSG_NS1_7vsmem_tEENKUlT_SE_SF_SG_E_clIS8_S8_S9_S9_EESD_ST_SE_SF_SG_EUlST_E0_NS1_11comp_targetILNS1_3genE0ELNS1_11target_archE4294967295ELNS1_3gpuE0ELNS1_3repE0EEENS1_38merge_mergepath_config_static_selectorELNS0_4arch9wavefront6targetE0EEEvSF_,"axG",@progbits,_ZN7rocprim17ROCPRIM_400000_NS6detail17trampoline_kernelINS0_14default_configENS1_38merge_sort_block_merge_config_selectorItNS0_10empty_typeEEEZZNS1_27merge_sort_block_merge_implIS3_PtPS5_jNS1_19radix_merge_compareILb0ELb0EtNS0_19identity_decomposerEEEEE10hipError_tT0_T1_T2_jT3_P12ihipStream_tbPNSt15iterator_traitsISE_E10value_typeEPNSK_ISF_E10value_typeEPSG_NS1_7vsmem_tEENKUlT_SE_SF_SG_E_clIS8_S8_S9_S9_EESD_ST_SE_SF_SG_EUlST_E0_NS1_11comp_targetILNS1_3genE0ELNS1_11target_archE4294967295ELNS1_3gpuE0ELNS1_3repE0EEENS1_38merge_mergepath_config_static_selectorELNS0_4arch9wavefront6targetE0EEEvSF_,comdat
.Lfunc_end2439:
	.size	_ZN7rocprim17ROCPRIM_400000_NS6detail17trampoline_kernelINS0_14default_configENS1_38merge_sort_block_merge_config_selectorItNS0_10empty_typeEEEZZNS1_27merge_sort_block_merge_implIS3_PtPS5_jNS1_19radix_merge_compareILb0ELb0EtNS0_19identity_decomposerEEEEE10hipError_tT0_T1_T2_jT3_P12ihipStream_tbPNSt15iterator_traitsISE_E10value_typeEPNSK_ISF_E10value_typeEPSG_NS1_7vsmem_tEENKUlT_SE_SF_SG_E_clIS8_S8_S9_S9_EESD_ST_SE_SF_SG_EUlST_E0_NS1_11comp_targetILNS1_3genE0ELNS1_11target_archE4294967295ELNS1_3gpuE0ELNS1_3repE0EEENS1_38merge_mergepath_config_static_selectorELNS0_4arch9wavefront6targetE0EEEvSF_, .Lfunc_end2439-_ZN7rocprim17ROCPRIM_400000_NS6detail17trampoline_kernelINS0_14default_configENS1_38merge_sort_block_merge_config_selectorItNS0_10empty_typeEEEZZNS1_27merge_sort_block_merge_implIS3_PtPS5_jNS1_19radix_merge_compareILb0ELb0EtNS0_19identity_decomposerEEEEE10hipError_tT0_T1_T2_jT3_P12ihipStream_tbPNSt15iterator_traitsISE_E10value_typeEPNSK_ISF_E10value_typeEPSG_NS1_7vsmem_tEENKUlT_SE_SF_SG_E_clIS8_S8_S9_S9_EESD_ST_SE_SF_SG_EUlST_E0_NS1_11comp_targetILNS1_3genE0ELNS1_11target_archE4294967295ELNS1_3gpuE0ELNS1_3repE0EEENS1_38merge_mergepath_config_static_selectorELNS0_4arch9wavefront6targetE0EEEvSF_
                                        ; -- End function
	.set _ZN7rocprim17ROCPRIM_400000_NS6detail17trampoline_kernelINS0_14default_configENS1_38merge_sort_block_merge_config_selectorItNS0_10empty_typeEEEZZNS1_27merge_sort_block_merge_implIS3_PtPS5_jNS1_19radix_merge_compareILb0ELb0EtNS0_19identity_decomposerEEEEE10hipError_tT0_T1_T2_jT3_P12ihipStream_tbPNSt15iterator_traitsISE_E10value_typeEPNSK_ISF_E10value_typeEPSG_NS1_7vsmem_tEENKUlT_SE_SF_SG_E_clIS8_S8_S9_S9_EESD_ST_SE_SF_SG_EUlST_E0_NS1_11comp_targetILNS1_3genE0ELNS1_11target_archE4294967295ELNS1_3gpuE0ELNS1_3repE0EEENS1_38merge_mergepath_config_static_selectorELNS0_4arch9wavefront6targetE0EEEvSF_.num_vgpr, 27
	.set _ZN7rocprim17ROCPRIM_400000_NS6detail17trampoline_kernelINS0_14default_configENS1_38merge_sort_block_merge_config_selectorItNS0_10empty_typeEEEZZNS1_27merge_sort_block_merge_implIS3_PtPS5_jNS1_19radix_merge_compareILb0ELb0EtNS0_19identity_decomposerEEEEE10hipError_tT0_T1_T2_jT3_P12ihipStream_tbPNSt15iterator_traitsISE_E10value_typeEPNSK_ISF_E10value_typeEPSG_NS1_7vsmem_tEENKUlT_SE_SF_SG_E_clIS8_S8_S9_S9_EESD_ST_SE_SF_SG_EUlST_E0_NS1_11comp_targetILNS1_3genE0ELNS1_11target_archE4294967295ELNS1_3gpuE0ELNS1_3repE0EEENS1_38merge_mergepath_config_static_selectorELNS0_4arch9wavefront6targetE0EEEvSF_.num_agpr, 0
	.set _ZN7rocprim17ROCPRIM_400000_NS6detail17trampoline_kernelINS0_14default_configENS1_38merge_sort_block_merge_config_selectorItNS0_10empty_typeEEEZZNS1_27merge_sort_block_merge_implIS3_PtPS5_jNS1_19radix_merge_compareILb0ELb0EtNS0_19identity_decomposerEEEEE10hipError_tT0_T1_T2_jT3_P12ihipStream_tbPNSt15iterator_traitsISE_E10value_typeEPNSK_ISF_E10value_typeEPSG_NS1_7vsmem_tEENKUlT_SE_SF_SG_E_clIS8_S8_S9_S9_EESD_ST_SE_SF_SG_EUlST_E0_NS1_11comp_targetILNS1_3genE0ELNS1_11target_archE4294967295ELNS1_3gpuE0ELNS1_3repE0EEENS1_38merge_mergepath_config_static_selectorELNS0_4arch9wavefront6targetE0EEEvSF_.numbered_sgpr, 23
	.set _ZN7rocprim17ROCPRIM_400000_NS6detail17trampoline_kernelINS0_14default_configENS1_38merge_sort_block_merge_config_selectorItNS0_10empty_typeEEEZZNS1_27merge_sort_block_merge_implIS3_PtPS5_jNS1_19radix_merge_compareILb0ELb0EtNS0_19identity_decomposerEEEEE10hipError_tT0_T1_T2_jT3_P12ihipStream_tbPNSt15iterator_traitsISE_E10value_typeEPNSK_ISF_E10value_typeEPSG_NS1_7vsmem_tEENKUlT_SE_SF_SG_E_clIS8_S8_S9_S9_EESD_ST_SE_SF_SG_EUlST_E0_NS1_11comp_targetILNS1_3genE0ELNS1_11target_archE4294967295ELNS1_3gpuE0ELNS1_3repE0EEENS1_38merge_mergepath_config_static_selectorELNS0_4arch9wavefront6targetE0EEEvSF_.num_named_barrier, 0
	.set _ZN7rocprim17ROCPRIM_400000_NS6detail17trampoline_kernelINS0_14default_configENS1_38merge_sort_block_merge_config_selectorItNS0_10empty_typeEEEZZNS1_27merge_sort_block_merge_implIS3_PtPS5_jNS1_19radix_merge_compareILb0ELb0EtNS0_19identity_decomposerEEEEE10hipError_tT0_T1_T2_jT3_P12ihipStream_tbPNSt15iterator_traitsISE_E10value_typeEPNSK_ISF_E10value_typeEPSG_NS1_7vsmem_tEENKUlT_SE_SF_SG_E_clIS8_S8_S9_S9_EESD_ST_SE_SF_SG_EUlST_E0_NS1_11comp_targetILNS1_3genE0ELNS1_11target_archE4294967295ELNS1_3gpuE0ELNS1_3repE0EEENS1_38merge_mergepath_config_static_selectorELNS0_4arch9wavefront6targetE0EEEvSF_.private_seg_size, 0
	.set _ZN7rocprim17ROCPRIM_400000_NS6detail17trampoline_kernelINS0_14default_configENS1_38merge_sort_block_merge_config_selectorItNS0_10empty_typeEEEZZNS1_27merge_sort_block_merge_implIS3_PtPS5_jNS1_19radix_merge_compareILb0ELb0EtNS0_19identity_decomposerEEEEE10hipError_tT0_T1_T2_jT3_P12ihipStream_tbPNSt15iterator_traitsISE_E10value_typeEPNSK_ISF_E10value_typeEPSG_NS1_7vsmem_tEENKUlT_SE_SF_SG_E_clIS8_S8_S9_S9_EESD_ST_SE_SF_SG_EUlST_E0_NS1_11comp_targetILNS1_3genE0ELNS1_11target_archE4294967295ELNS1_3gpuE0ELNS1_3repE0EEENS1_38merge_mergepath_config_static_selectorELNS0_4arch9wavefront6targetE0EEEvSF_.uses_vcc, 1
	.set _ZN7rocprim17ROCPRIM_400000_NS6detail17trampoline_kernelINS0_14default_configENS1_38merge_sort_block_merge_config_selectorItNS0_10empty_typeEEEZZNS1_27merge_sort_block_merge_implIS3_PtPS5_jNS1_19radix_merge_compareILb0ELb0EtNS0_19identity_decomposerEEEEE10hipError_tT0_T1_T2_jT3_P12ihipStream_tbPNSt15iterator_traitsISE_E10value_typeEPNSK_ISF_E10value_typeEPSG_NS1_7vsmem_tEENKUlT_SE_SF_SG_E_clIS8_S8_S9_S9_EESD_ST_SE_SF_SG_EUlST_E0_NS1_11comp_targetILNS1_3genE0ELNS1_11target_archE4294967295ELNS1_3gpuE0ELNS1_3repE0EEENS1_38merge_mergepath_config_static_selectorELNS0_4arch9wavefront6targetE0EEEvSF_.uses_flat_scratch, 0
	.set _ZN7rocprim17ROCPRIM_400000_NS6detail17trampoline_kernelINS0_14default_configENS1_38merge_sort_block_merge_config_selectorItNS0_10empty_typeEEEZZNS1_27merge_sort_block_merge_implIS3_PtPS5_jNS1_19radix_merge_compareILb0ELb0EtNS0_19identity_decomposerEEEEE10hipError_tT0_T1_T2_jT3_P12ihipStream_tbPNSt15iterator_traitsISE_E10value_typeEPNSK_ISF_E10value_typeEPSG_NS1_7vsmem_tEENKUlT_SE_SF_SG_E_clIS8_S8_S9_S9_EESD_ST_SE_SF_SG_EUlST_E0_NS1_11comp_targetILNS1_3genE0ELNS1_11target_archE4294967295ELNS1_3gpuE0ELNS1_3repE0EEENS1_38merge_mergepath_config_static_selectorELNS0_4arch9wavefront6targetE0EEEvSF_.has_dyn_sized_stack, 0
	.set _ZN7rocprim17ROCPRIM_400000_NS6detail17trampoline_kernelINS0_14default_configENS1_38merge_sort_block_merge_config_selectorItNS0_10empty_typeEEEZZNS1_27merge_sort_block_merge_implIS3_PtPS5_jNS1_19radix_merge_compareILb0ELb0EtNS0_19identity_decomposerEEEEE10hipError_tT0_T1_T2_jT3_P12ihipStream_tbPNSt15iterator_traitsISE_E10value_typeEPNSK_ISF_E10value_typeEPSG_NS1_7vsmem_tEENKUlT_SE_SF_SG_E_clIS8_S8_S9_S9_EESD_ST_SE_SF_SG_EUlST_E0_NS1_11comp_targetILNS1_3genE0ELNS1_11target_archE4294967295ELNS1_3gpuE0ELNS1_3repE0EEENS1_38merge_mergepath_config_static_selectorELNS0_4arch9wavefront6targetE0EEEvSF_.has_recursion, 0
	.set _ZN7rocprim17ROCPRIM_400000_NS6detail17trampoline_kernelINS0_14default_configENS1_38merge_sort_block_merge_config_selectorItNS0_10empty_typeEEEZZNS1_27merge_sort_block_merge_implIS3_PtPS5_jNS1_19radix_merge_compareILb0ELb0EtNS0_19identity_decomposerEEEEE10hipError_tT0_T1_T2_jT3_P12ihipStream_tbPNSt15iterator_traitsISE_E10value_typeEPNSK_ISF_E10value_typeEPSG_NS1_7vsmem_tEENKUlT_SE_SF_SG_E_clIS8_S8_S9_S9_EESD_ST_SE_SF_SG_EUlST_E0_NS1_11comp_targetILNS1_3genE0ELNS1_11target_archE4294967295ELNS1_3gpuE0ELNS1_3repE0EEENS1_38merge_mergepath_config_static_selectorELNS0_4arch9wavefront6targetE0EEEvSF_.has_indirect_call, 0
	.section	.AMDGPU.csdata,"",@progbits
; Kernel info:
; codeLenInByte = 4336
; TotalNumSgprs: 25
; NumVgprs: 27
; ScratchSize: 0
; MemoryBound: 0
; FloatMode: 240
; IeeeMode: 1
; LDSByteSize: 2112 bytes/workgroup (compile time only)
; SGPRBlocks: 0
; VGPRBlocks: 1
; NumSGPRsForWavesPerEU: 25
; NumVGPRsForWavesPerEU: 27
; NamedBarCnt: 0
; Occupancy: 16
; WaveLimiterHint : 1
; COMPUTE_PGM_RSRC2:SCRATCH_EN: 0
; COMPUTE_PGM_RSRC2:USER_SGPR: 2
; COMPUTE_PGM_RSRC2:TRAP_HANDLER: 0
; COMPUTE_PGM_RSRC2:TGID_X_EN: 1
; COMPUTE_PGM_RSRC2:TGID_Y_EN: 1
; COMPUTE_PGM_RSRC2:TGID_Z_EN: 1
; COMPUTE_PGM_RSRC2:TIDIG_COMP_CNT: 0
	.section	.text._ZN7rocprim17ROCPRIM_400000_NS6detail17trampoline_kernelINS0_14default_configENS1_38merge_sort_block_merge_config_selectorItNS0_10empty_typeEEEZZNS1_27merge_sort_block_merge_implIS3_PtPS5_jNS1_19radix_merge_compareILb0ELb0EtNS0_19identity_decomposerEEEEE10hipError_tT0_T1_T2_jT3_P12ihipStream_tbPNSt15iterator_traitsISE_E10value_typeEPNSK_ISF_E10value_typeEPSG_NS1_7vsmem_tEENKUlT_SE_SF_SG_E_clIS8_S8_S9_S9_EESD_ST_SE_SF_SG_EUlST_E0_NS1_11comp_targetILNS1_3genE10ELNS1_11target_archE1201ELNS1_3gpuE5ELNS1_3repE0EEENS1_38merge_mergepath_config_static_selectorELNS0_4arch9wavefront6targetE0EEEvSF_,"axG",@progbits,_ZN7rocprim17ROCPRIM_400000_NS6detail17trampoline_kernelINS0_14default_configENS1_38merge_sort_block_merge_config_selectorItNS0_10empty_typeEEEZZNS1_27merge_sort_block_merge_implIS3_PtPS5_jNS1_19radix_merge_compareILb0ELb0EtNS0_19identity_decomposerEEEEE10hipError_tT0_T1_T2_jT3_P12ihipStream_tbPNSt15iterator_traitsISE_E10value_typeEPNSK_ISF_E10value_typeEPSG_NS1_7vsmem_tEENKUlT_SE_SF_SG_E_clIS8_S8_S9_S9_EESD_ST_SE_SF_SG_EUlST_E0_NS1_11comp_targetILNS1_3genE10ELNS1_11target_archE1201ELNS1_3gpuE5ELNS1_3repE0EEENS1_38merge_mergepath_config_static_selectorELNS0_4arch9wavefront6targetE0EEEvSF_,comdat
	.protected	_ZN7rocprim17ROCPRIM_400000_NS6detail17trampoline_kernelINS0_14default_configENS1_38merge_sort_block_merge_config_selectorItNS0_10empty_typeEEEZZNS1_27merge_sort_block_merge_implIS3_PtPS5_jNS1_19radix_merge_compareILb0ELb0EtNS0_19identity_decomposerEEEEE10hipError_tT0_T1_T2_jT3_P12ihipStream_tbPNSt15iterator_traitsISE_E10value_typeEPNSK_ISF_E10value_typeEPSG_NS1_7vsmem_tEENKUlT_SE_SF_SG_E_clIS8_S8_S9_S9_EESD_ST_SE_SF_SG_EUlST_E0_NS1_11comp_targetILNS1_3genE10ELNS1_11target_archE1201ELNS1_3gpuE5ELNS1_3repE0EEENS1_38merge_mergepath_config_static_selectorELNS0_4arch9wavefront6targetE0EEEvSF_ ; -- Begin function _ZN7rocprim17ROCPRIM_400000_NS6detail17trampoline_kernelINS0_14default_configENS1_38merge_sort_block_merge_config_selectorItNS0_10empty_typeEEEZZNS1_27merge_sort_block_merge_implIS3_PtPS5_jNS1_19radix_merge_compareILb0ELb0EtNS0_19identity_decomposerEEEEE10hipError_tT0_T1_T2_jT3_P12ihipStream_tbPNSt15iterator_traitsISE_E10value_typeEPNSK_ISF_E10value_typeEPSG_NS1_7vsmem_tEENKUlT_SE_SF_SG_E_clIS8_S8_S9_S9_EESD_ST_SE_SF_SG_EUlST_E0_NS1_11comp_targetILNS1_3genE10ELNS1_11target_archE1201ELNS1_3gpuE5ELNS1_3repE0EEENS1_38merge_mergepath_config_static_selectorELNS0_4arch9wavefront6targetE0EEEvSF_
	.globl	_ZN7rocprim17ROCPRIM_400000_NS6detail17trampoline_kernelINS0_14default_configENS1_38merge_sort_block_merge_config_selectorItNS0_10empty_typeEEEZZNS1_27merge_sort_block_merge_implIS3_PtPS5_jNS1_19radix_merge_compareILb0ELb0EtNS0_19identity_decomposerEEEEE10hipError_tT0_T1_T2_jT3_P12ihipStream_tbPNSt15iterator_traitsISE_E10value_typeEPNSK_ISF_E10value_typeEPSG_NS1_7vsmem_tEENKUlT_SE_SF_SG_E_clIS8_S8_S9_S9_EESD_ST_SE_SF_SG_EUlST_E0_NS1_11comp_targetILNS1_3genE10ELNS1_11target_archE1201ELNS1_3gpuE5ELNS1_3repE0EEENS1_38merge_mergepath_config_static_selectorELNS0_4arch9wavefront6targetE0EEEvSF_
	.p2align	8
	.type	_ZN7rocprim17ROCPRIM_400000_NS6detail17trampoline_kernelINS0_14default_configENS1_38merge_sort_block_merge_config_selectorItNS0_10empty_typeEEEZZNS1_27merge_sort_block_merge_implIS3_PtPS5_jNS1_19radix_merge_compareILb0ELb0EtNS0_19identity_decomposerEEEEE10hipError_tT0_T1_T2_jT3_P12ihipStream_tbPNSt15iterator_traitsISE_E10value_typeEPNSK_ISF_E10value_typeEPSG_NS1_7vsmem_tEENKUlT_SE_SF_SG_E_clIS8_S8_S9_S9_EESD_ST_SE_SF_SG_EUlST_E0_NS1_11comp_targetILNS1_3genE10ELNS1_11target_archE1201ELNS1_3gpuE5ELNS1_3repE0EEENS1_38merge_mergepath_config_static_selectorELNS0_4arch9wavefront6targetE0EEEvSF_,@function
_ZN7rocprim17ROCPRIM_400000_NS6detail17trampoline_kernelINS0_14default_configENS1_38merge_sort_block_merge_config_selectorItNS0_10empty_typeEEEZZNS1_27merge_sort_block_merge_implIS3_PtPS5_jNS1_19radix_merge_compareILb0ELb0EtNS0_19identity_decomposerEEEEE10hipError_tT0_T1_T2_jT3_P12ihipStream_tbPNSt15iterator_traitsISE_E10value_typeEPNSK_ISF_E10value_typeEPSG_NS1_7vsmem_tEENKUlT_SE_SF_SG_E_clIS8_S8_S9_S9_EESD_ST_SE_SF_SG_EUlST_E0_NS1_11comp_targetILNS1_3genE10ELNS1_11target_archE1201ELNS1_3gpuE5ELNS1_3repE0EEENS1_38merge_mergepath_config_static_selectorELNS0_4arch9wavefront6targetE0EEEvSF_: ; @_ZN7rocprim17ROCPRIM_400000_NS6detail17trampoline_kernelINS0_14default_configENS1_38merge_sort_block_merge_config_selectorItNS0_10empty_typeEEEZZNS1_27merge_sort_block_merge_implIS3_PtPS5_jNS1_19radix_merge_compareILb0ELb0EtNS0_19identity_decomposerEEEEE10hipError_tT0_T1_T2_jT3_P12ihipStream_tbPNSt15iterator_traitsISE_E10value_typeEPNSK_ISF_E10value_typeEPSG_NS1_7vsmem_tEENKUlT_SE_SF_SG_E_clIS8_S8_S9_S9_EESD_ST_SE_SF_SG_EUlST_E0_NS1_11comp_targetILNS1_3genE10ELNS1_11target_archE1201ELNS1_3gpuE5ELNS1_3repE0EEENS1_38merge_mergepath_config_static_selectorELNS0_4arch9wavefront6targetE0EEEvSF_
; %bb.0:
	.section	.rodata,"a",@progbits
	.p2align	6, 0x0
	.amdhsa_kernel _ZN7rocprim17ROCPRIM_400000_NS6detail17trampoline_kernelINS0_14default_configENS1_38merge_sort_block_merge_config_selectorItNS0_10empty_typeEEEZZNS1_27merge_sort_block_merge_implIS3_PtPS5_jNS1_19radix_merge_compareILb0ELb0EtNS0_19identity_decomposerEEEEE10hipError_tT0_T1_T2_jT3_P12ihipStream_tbPNSt15iterator_traitsISE_E10value_typeEPNSK_ISF_E10value_typeEPSG_NS1_7vsmem_tEENKUlT_SE_SF_SG_E_clIS8_S8_S9_S9_EESD_ST_SE_SF_SG_EUlST_E0_NS1_11comp_targetILNS1_3genE10ELNS1_11target_archE1201ELNS1_3gpuE5ELNS1_3repE0EEENS1_38merge_mergepath_config_static_selectorELNS0_4arch9wavefront6targetE0EEEvSF_
		.amdhsa_group_segment_fixed_size 0
		.amdhsa_private_segment_fixed_size 0
		.amdhsa_kernarg_size 64
		.amdhsa_user_sgpr_count 2
		.amdhsa_user_sgpr_dispatch_ptr 0
		.amdhsa_user_sgpr_queue_ptr 0
		.amdhsa_user_sgpr_kernarg_segment_ptr 1
		.amdhsa_user_sgpr_dispatch_id 0
		.amdhsa_user_sgpr_kernarg_preload_length 0
		.amdhsa_user_sgpr_kernarg_preload_offset 0
		.amdhsa_user_sgpr_private_segment_size 0
		.amdhsa_wavefront_size32 1
		.amdhsa_uses_dynamic_stack 0
		.amdhsa_enable_private_segment 0
		.amdhsa_system_sgpr_workgroup_id_x 1
		.amdhsa_system_sgpr_workgroup_id_y 0
		.amdhsa_system_sgpr_workgroup_id_z 0
		.amdhsa_system_sgpr_workgroup_info 0
		.amdhsa_system_vgpr_workitem_id 0
		.amdhsa_next_free_vgpr 1
		.amdhsa_next_free_sgpr 1
		.amdhsa_named_barrier_count 0
		.amdhsa_reserve_vcc 0
		.amdhsa_float_round_mode_32 0
		.amdhsa_float_round_mode_16_64 0
		.amdhsa_float_denorm_mode_32 3
		.amdhsa_float_denorm_mode_16_64 3
		.amdhsa_fp16_overflow 0
		.amdhsa_memory_ordered 1
		.amdhsa_forward_progress 1
		.amdhsa_inst_pref_size 0
		.amdhsa_round_robin_scheduling 0
		.amdhsa_exception_fp_ieee_invalid_op 0
		.amdhsa_exception_fp_denorm_src 0
		.amdhsa_exception_fp_ieee_div_zero 0
		.amdhsa_exception_fp_ieee_overflow 0
		.amdhsa_exception_fp_ieee_underflow 0
		.amdhsa_exception_fp_ieee_inexact 0
		.amdhsa_exception_int_div_zero 0
	.end_amdhsa_kernel
	.section	.text._ZN7rocprim17ROCPRIM_400000_NS6detail17trampoline_kernelINS0_14default_configENS1_38merge_sort_block_merge_config_selectorItNS0_10empty_typeEEEZZNS1_27merge_sort_block_merge_implIS3_PtPS5_jNS1_19radix_merge_compareILb0ELb0EtNS0_19identity_decomposerEEEEE10hipError_tT0_T1_T2_jT3_P12ihipStream_tbPNSt15iterator_traitsISE_E10value_typeEPNSK_ISF_E10value_typeEPSG_NS1_7vsmem_tEENKUlT_SE_SF_SG_E_clIS8_S8_S9_S9_EESD_ST_SE_SF_SG_EUlST_E0_NS1_11comp_targetILNS1_3genE10ELNS1_11target_archE1201ELNS1_3gpuE5ELNS1_3repE0EEENS1_38merge_mergepath_config_static_selectorELNS0_4arch9wavefront6targetE0EEEvSF_,"axG",@progbits,_ZN7rocprim17ROCPRIM_400000_NS6detail17trampoline_kernelINS0_14default_configENS1_38merge_sort_block_merge_config_selectorItNS0_10empty_typeEEEZZNS1_27merge_sort_block_merge_implIS3_PtPS5_jNS1_19radix_merge_compareILb0ELb0EtNS0_19identity_decomposerEEEEE10hipError_tT0_T1_T2_jT3_P12ihipStream_tbPNSt15iterator_traitsISE_E10value_typeEPNSK_ISF_E10value_typeEPSG_NS1_7vsmem_tEENKUlT_SE_SF_SG_E_clIS8_S8_S9_S9_EESD_ST_SE_SF_SG_EUlST_E0_NS1_11comp_targetILNS1_3genE10ELNS1_11target_archE1201ELNS1_3gpuE5ELNS1_3repE0EEENS1_38merge_mergepath_config_static_selectorELNS0_4arch9wavefront6targetE0EEEvSF_,comdat
.Lfunc_end2440:
	.size	_ZN7rocprim17ROCPRIM_400000_NS6detail17trampoline_kernelINS0_14default_configENS1_38merge_sort_block_merge_config_selectorItNS0_10empty_typeEEEZZNS1_27merge_sort_block_merge_implIS3_PtPS5_jNS1_19radix_merge_compareILb0ELb0EtNS0_19identity_decomposerEEEEE10hipError_tT0_T1_T2_jT3_P12ihipStream_tbPNSt15iterator_traitsISE_E10value_typeEPNSK_ISF_E10value_typeEPSG_NS1_7vsmem_tEENKUlT_SE_SF_SG_E_clIS8_S8_S9_S9_EESD_ST_SE_SF_SG_EUlST_E0_NS1_11comp_targetILNS1_3genE10ELNS1_11target_archE1201ELNS1_3gpuE5ELNS1_3repE0EEENS1_38merge_mergepath_config_static_selectorELNS0_4arch9wavefront6targetE0EEEvSF_, .Lfunc_end2440-_ZN7rocprim17ROCPRIM_400000_NS6detail17trampoline_kernelINS0_14default_configENS1_38merge_sort_block_merge_config_selectorItNS0_10empty_typeEEEZZNS1_27merge_sort_block_merge_implIS3_PtPS5_jNS1_19radix_merge_compareILb0ELb0EtNS0_19identity_decomposerEEEEE10hipError_tT0_T1_T2_jT3_P12ihipStream_tbPNSt15iterator_traitsISE_E10value_typeEPNSK_ISF_E10value_typeEPSG_NS1_7vsmem_tEENKUlT_SE_SF_SG_E_clIS8_S8_S9_S9_EESD_ST_SE_SF_SG_EUlST_E0_NS1_11comp_targetILNS1_3genE10ELNS1_11target_archE1201ELNS1_3gpuE5ELNS1_3repE0EEENS1_38merge_mergepath_config_static_selectorELNS0_4arch9wavefront6targetE0EEEvSF_
                                        ; -- End function
	.set _ZN7rocprim17ROCPRIM_400000_NS6detail17trampoline_kernelINS0_14default_configENS1_38merge_sort_block_merge_config_selectorItNS0_10empty_typeEEEZZNS1_27merge_sort_block_merge_implIS3_PtPS5_jNS1_19radix_merge_compareILb0ELb0EtNS0_19identity_decomposerEEEEE10hipError_tT0_T1_T2_jT3_P12ihipStream_tbPNSt15iterator_traitsISE_E10value_typeEPNSK_ISF_E10value_typeEPSG_NS1_7vsmem_tEENKUlT_SE_SF_SG_E_clIS8_S8_S9_S9_EESD_ST_SE_SF_SG_EUlST_E0_NS1_11comp_targetILNS1_3genE10ELNS1_11target_archE1201ELNS1_3gpuE5ELNS1_3repE0EEENS1_38merge_mergepath_config_static_selectorELNS0_4arch9wavefront6targetE0EEEvSF_.num_vgpr, 0
	.set _ZN7rocprim17ROCPRIM_400000_NS6detail17trampoline_kernelINS0_14default_configENS1_38merge_sort_block_merge_config_selectorItNS0_10empty_typeEEEZZNS1_27merge_sort_block_merge_implIS3_PtPS5_jNS1_19radix_merge_compareILb0ELb0EtNS0_19identity_decomposerEEEEE10hipError_tT0_T1_T2_jT3_P12ihipStream_tbPNSt15iterator_traitsISE_E10value_typeEPNSK_ISF_E10value_typeEPSG_NS1_7vsmem_tEENKUlT_SE_SF_SG_E_clIS8_S8_S9_S9_EESD_ST_SE_SF_SG_EUlST_E0_NS1_11comp_targetILNS1_3genE10ELNS1_11target_archE1201ELNS1_3gpuE5ELNS1_3repE0EEENS1_38merge_mergepath_config_static_selectorELNS0_4arch9wavefront6targetE0EEEvSF_.num_agpr, 0
	.set _ZN7rocprim17ROCPRIM_400000_NS6detail17trampoline_kernelINS0_14default_configENS1_38merge_sort_block_merge_config_selectorItNS0_10empty_typeEEEZZNS1_27merge_sort_block_merge_implIS3_PtPS5_jNS1_19radix_merge_compareILb0ELb0EtNS0_19identity_decomposerEEEEE10hipError_tT0_T1_T2_jT3_P12ihipStream_tbPNSt15iterator_traitsISE_E10value_typeEPNSK_ISF_E10value_typeEPSG_NS1_7vsmem_tEENKUlT_SE_SF_SG_E_clIS8_S8_S9_S9_EESD_ST_SE_SF_SG_EUlST_E0_NS1_11comp_targetILNS1_3genE10ELNS1_11target_archE1201ELNS1_3gpuE5ELNS1_3repE0EEENS1_38merge_mergepath_config_static_selectorELNS0_4arch9wavefront6targetE0EEEvSF_.numbered_sgpr, 0
	.set _ZN7rocprim17ROCPRIM_400000_NS6detail17trampoline_kernelINS0_14default_configENS1_38merge_sort_block_merge_config_selectorItNS0_10empty_typeEEEZZNS1_27merge_sort_block_merge_implIS3_PtPS5_jNS1_19radix_merge_compareILb0ELb0EtNS0_19identity_decomposerEEEEE10hipError_tT0_T1_T2_jT3_P12ihipStream_tbPNSt15iterator_traitsISE_E10value_typeEPNSK_ISF_E10value_typeEPSG_NS1_7vsmem_tEENKUlT_SE_SF_SG_E_clIS8_S8_S9_S9_EESD_ST_SE_SF_SG_EUlST_E0_NS1_11comp_targetILNS1_3genE10ELNS1_11target_archE1201ELNS1_3gpuE5ELNS1_3repE0EEENS1_38merge_mergepath_config_static_selectorELNS0_4arch9wavefront6targetE0EEEvSF_.num_named_barrier, 0
	.set _ZN7rocprim17ROCPRIM_400000_NS6detail17trampoline_kernelINS0_14default_configENS1_38merge_sort_block_merge_config_selectorItNS0_10empty_typeEEEZZNS1_27merge_sort_block_merge_implIS3_PtPS5_jNS1_19radix_merge_compareILb0ELb0EtNS0_19identity_decomposerEEEEE10hipError_tT0_T1_T2_jT3_P12ihipStream_tbPNSt15iterator_traitsISE_E10value_typeEPNSK_ISF_E10value_typeEPSG_NS1_7vsmem_tEENKUlT_SE_SF_SG_E_clIS8_S8_S9_S9_EESD_ST_SE_SF_SG_EUlST_E0_NS1_11comp_targetILNS1_3genE10ELNS1_11target_archE1201ELNS1_3gpuE5ELNS1_3repE0EEENS1_38merge_mergepath_config_static_selectorELNS0_4arch9wavefront6targetE0EEEvSF_.private_seg_size, 0
	.set _ZN7rocprim17ROCPRIM_400000_NS6detail17trampoline_kernelINS0_14default_configENS1_38merge_sort_block_merge_config_selectorItNS0_10empty_typeEEEZZNS1_27merge_sort_block_merge_implIS3_PtPS5_jNS1_19radix_merge_compareILb0ELb0EtNS0_19identity_decomposerEEEEE10hipError_tT0_T1_T2_jT3_P12ihipStream_tbPNSt15iterator_traitsISE_E10value_typeEPNSK_ISF_E10value_typeEPSG_NS1_7vsmem_tEENKUlT_SE_SF_SG_E_clIS8_S8_S9_S9_EESD_ST_SE_SF_SG_EUlST_E0_NS1_11comp_targetILNS1_3genE10ELNS1_11target_archE1201ELNS1_3gpuE5ELNS1_3repE0EEENS1_38merge_mergepath_config_static_selectorELNS0_4arch9wavefront6targetE0EEEvSF_.uses_vcc, 0
	.set _ZN7rocprim17ROCPRIM_400000_NS6detail17trampoline_kernelINS0_14default_configENS1_38merge_sort_block_merge_config_selectorItNS0_10empty_typeEEEZZNS1_27merge_sort_block_merge_implIS3_PtPS5_jNS1_19radix_merge_compareILb0ELb0EtNS0_19identity_decomposerEEEEE10hipError_tT0_T1_T2_jT3_P12ihipStream_tbPNSt15iterator_traitsISE_E10value_typeEPNSK_ISF_E10value_typeEPSG_NS1_7vsmem_tEENKUlT_SE_SF_SG_E_clIS8_S8_S9_S9_EESD_ST_SE_SF_SG_EUlST_E0_NS1_11comp_targetILNS1_3genE10ELNS1_11target_archE1201ELNS1_3gpuE5ELNS1_3repE0EEENS1_38merge_mergepath_config_static_selectorELNS0_4arch9wavefront6targetE0EEEvSF_.uses_flat_scratch, 0
	.set _ZN7rocprim17ROCPRIM_400000_NS6detail17trampoline_kernelINS0_14default_configENS1_38merge_sort_block_merge_config_selectorItNS0_10empty_typeEEEZZNS1_27merge_sort_block_merge_implIS3_PtPS5_jNS1_19radix_merge_compareILb0ELb0EtNS0_19identity_decomposerEEEEE10hipError_tT0_T1_T2_jT3_P12ihipStream_tbPNSt15iterator_traitsISE_E10value_typeEPNSK_ISF_E10value_typeEPSG_NS1_7vsmem_tEENKUlT_SE_SF_SG_E_clIS8_S8_S9_S9_EESD_ST_SE_SF_SG_EUlST_E0_NS1_11comp_targetILNS1_3genE10ELNS1_11target_archE1201ELNS1_3gpuE5ELNS1_3repE0EEENS1_38merge_mergepath_config_static_selectorELNS0_4arch9wavefront6targetE0EEEvSF_.has_dyn_sized_stack, 0
	.set _ZN7rocprim17ROCPRIM_400000_NS6detail17trampoline_kernelINS0_14default_configENS1_38merge_sort_block_merge_config_selectorItNS0_10empty_typeEEEZZNS1_27merge_sort_block_merge_implIS3_PtPS5_jNS1_19radix_merge_compareILb0ELb0EtNS0_19identity_decomposerEEEEE10hipError_tT0_T1_T2_jT3_P12ihipStream_tbPNSt15iterator_traitsISE_E10value_typeEPNSK_ISF_E10value_typeEPSG_NS1_7vsmem_tEENKUlT_SE_SF_SG_E_clIS8_S8_S9_S9_EESD_ST_SE_SF_SG_EUlST_E0_NS1_11comp_targetILNS1_3genE10ELNS1_11target_archE1201ELNS1_3gpuE5ELNS1_3repE0EEENS1_38merge_mergepath_config_static_selectorELNS0_4arch9wavefront6targetE0EEEvSF_.has_recursion, 0
	.set _ZN7rocprim17ROCPRIM_400000_NS6detail17trampoline_kernelINS0_14default_configENS1_38merge_sort_block_merge_config_selectorItNS0_10empty_typeEEEZZNS1_27merge_sort_block_merge_implIS3_PtPS5_jNS1_19radix_merge_compareILb0ELb0EtNS0_19identity_decomposerEEEEE10hipError_tT0_T1_T2_jT3_P12ihipStream_tbPNSt15iterator_traitsISE_E10value_typeEPNSK_ISF_E10value_typeEPSG_NS1_7vsmem_tEENKUlT_SE_SF_SG_E_clIS8_S8_S9_S9_EESD_ST_SE_SF_SG_EUlST_E0_NS1_11comp_targetILNS1_3genE10ELNS1_11target_archE1201ELNS1_3gpuE5ELNS1_3repE0EEENS1_38merge_mergepath_config_static_selectorELNS0_4arch9wavefront6targetE0EEEvSF_.has_indirect_call, 0
	.section	.AMDGPU.csdata,"",@progbits
; Kernel info:
; codeLenInByte = 0
; TotalNumSgprs: 0
; NumVgprs: 0
; ScratchSize: 0
; MemoryBound: 0
; FloatMode: 240
; IeeeMode: 1
; LDSByteSize: 0 bytes/workgroup (compile time only)
; SGPRBlocks: 0
; VGPRBlocks: 0
; NumSGPRsForWavesPerEU: 1
; NumVGPRsForWavesPerEU: 1
; NamedBarCnt: 0
; Occupancy: 16
; WaveLimiterHint : 0
; COMPUTE_PGM_RSRC2:SCRATCH_EN: 0
; COMPUTE_PGM_RSRC2:USER_SGPR: 2
; COMPUTE_PGM_RSRC2:TRAP_HANDLER: 0
; COMPUTE_PGM_RSRC2:TGID_X_EN: 1
; COMPUTE_PGM_RSRC2:TGID_Y_EN: 0
; COMPUTE_PGM_RSRC2:TGID_Z_EN: 0
; COMPUTE_PGM_RSRC2:TIDIG_COMP_CNT: 0
	.section	.text._ZN7rocprim17ROCPRIM_400000_NS6detail17trampoline_kernelINS0_14default_configENS1_38merge_sort_block_merge_config_selectorItNS0_10empty_typeEEEZZNS1_27merge_sort_block_merge_implIS3_PtPS5_jNS1_19radix_merge_compareILb0ELb0EtNS0_19identity_decomposerEEEEE10hipError_tT0_T1_T2_jT3_P12ihipStream_tbPNSt15iterator_traitsISE_E10value_typeEPNSK_ISF_E10value_typeEPSG_NS1_7vsmem_tEENKUlT_SE_SF_SG_E_clIS8_S8_S9_S9_EESD_ST_SE_SF_SG_EUlST_E0_NS1_11comp_targetILNS1_3genE5ELNS1_11target_archE942ELNS1_3gpuE9ELNS1_3repE0EEENS1_38merge_mergepath_config_static_selectorELNS0_4arch9wavefront6targetE0EEEvSF_,"axG",@progbits,_ZN7rocprim17ROCPRIM_400000_NS6detail17trampoline_kernelINS0_14default_configENS1_38merge_sort_block_merge_config_selectorItNS0_10empty_typeEEEZZNS1_27merge_sort_block_merge_implIS3_PtPS5_jNS1_19radix_merge_compareILb0ELb0EtNS0_19identity_decomposerEEEEE10hipError_tT0_T1_T2_jT3_P12ihipStream_tbPNSt15iterator_traitsISE_E10value_typeEPNSK_ISF_E10value_typeEPSG_NS1_7vsmem_tEENKUlT_SE_SF_SG_E_clIS8_S8_S9_S9_EESD_ST_SE_SF_SG_EUlST_E0_NS1_11comp_targetILNS1_3genE5ELNS1_11target_archE942ELNS1_3gpuE9ELNS1_3repE0EEENS1_38merge_mergepath_config_static_selectorELNS0_4arch9wavefront6targetE0EEEvSF_,comdat
	.protected	_ZN7rocprim17ROCPRIM_400000_NS6detail17trampoline_kernelINS0_14default_configENS1_38merge_sort_block_merge_config_selectorItNS0_10empty_typeEEEZZNS1_27merge_sort_block_merge_implIS3_PtPS5_jNS1_19radix_merge_compareILb0ELb0EtNS0_19identity_decomposerEEEEE10hipError_tT0_T1_T2_jT3_P12ihipStream_tbPNSt15iterator_traitsISE_E10value_typeEPNSK_ISF_E10value_typeEPSG_NS1_7vsmem_tEENKUlT_SE_SF_SG_E_clIS8_S8_S9_S9_EESD_ST_SE_SF_SG_EUlST_E0_NS1_11comp_targetILNS1_3genE5ELNS1_11target_archE942ELNS1_3gpuE9ELNS1_3repE0EEENS1_38merge_mergepath_config_static_selectorELNS0_4arch9wavefront6targetE0EEEvSF_ ; -- Begin function _ZN7rocprim17ROCPRIM_400000_NS6detail17trampoline_kernelINS0_14default_configENS1_38merge_sort_block_merge_config_selectorItNS0_10empty_typeEEEZZNS1_27merge_sort_block_merge_implIS3_PtPS5_jNS1_19radix_merge_compareILb0ELb0EtNS0_19identity_decomposerEEEEE10hipError_tT0_T1_T2_jT3_P12ihipStream_tbPNSt15iterator_traitsISE_E10value_typeEPNSK_ISF_E10value_typeEPSG_NS1_7vsmem_tEENKUlT_SE_SF_SG_E_clIS8_S8_S9_S9_EESD_ST_SE_SF_SG_EUlST_E0_NS1_11comp_targetILNS1_3genE5ELNS1_11target_archE942ELNS1_3gpuE9ELNS1_3repE0EEENS1_38merge_mergepath_config_static_selectorELNS0_4arch9wavefront6targetE0EEEvSF_
	.globl	_ZN7rocprim17ROCPRIM_400000_NS6detail17trampoline_kernelINS0_14default_configENS1_38merge_sort_block_merge_config_selectorItNS0_10empty_typeEEEZZNS1_27merge_sort_block_merge_implIS3_PtPS5_jNS1_19radix_merge_compareILb0ELb0EtNS0_19identity_decomposerEEEEE10hipError_tT0_T1_T2_jT3_P12ihipStream_tbPNSt15iterator_traitsISE_E10value_typeEPNSK_ISF_E10value_typeEPSG_NS1_7vsmem_tEENKUlT_SE_SF_SG_E_clIS8_S8_S9_S9_EESD_ST_SE_SF_SG_EUlST_E0_NS1_11comp_targetILNS1_3genE5ELNS1_11target_archE942ELNS1_3gpuE9ELNS1_3repE0EEENS1_38merge_mergepath_config_static_selectorELNS0_4arch9wavefront6targetE0EEEvSF_
	.p2align	8
	.type	_ZN7rocprim17ROCPRIM_400000_NS6detail17trampoline_kernelINS0_14default_configENS1_38merge_sort_block_merge_config_selectorItNS0_10empty_typeEEEZZNS1_27merge_sort_block_merge_implIS3_PtPS5_jNS1_19radix_merge_compareILb0ELb0EtNS0_19identity_decomposerEEEEE10hipError_tT0_T1_T2_jT3_P12ihipStream_tbPNSt15iterator_traitsISE_E10value_typeEPNSK_ISF_E10value_typeEPSG_NS1_7vsmem_tEENKUlT_SE_SF_SG_E_clIS8_S8_S9_S9_EESD_ST_SE_SF_SG_EUlST_E0_NS1_11comp_targetILNS1_3genE5ELNS1_11target_archE942ELNS1_3gpuE9ELNS1_3repE0EEENS1_38merge_mergepath_config_static_selectorELNS0_4arch9wavefront6targetE0EEEvSF_,@function
_ZN7rocprim17ROCPRIM_400000_NS6detail17trampoline_kernelINS0_14default_configENS1_38merge_sort_block_merge_config_selectorItNS0_10empty_typeEEEZZNS1_27merge_sort_block_merge_implIS3_PtPS5_jNS1_19radix_merge_compareILb0ELb0EtNS0_19identity_decomposerEEEEE10hipError_tT0_T1_T2_jT3_P12ihipStream_tbPNSt15iterator_traitsISE_E10value_typeEPNSK_ISF_E10value_typeEPSG_NS1_7vsmem_tEENKUlT_SE_SF_SG_E_clIS8_S8_S9_S9_EESD_ST_SE_SF_SG_EUlST_E0_NS1_11comp_targetILNS1_3genE5ELNS1_11target_archE942ELNS1_3gpuE9ELNS1_3repE0EEENS1_38merge_mergepath_config_static_selectorELNS0_4arch9wavefront6targetE0EEEvSF_: ; @_ZN7rocprim17ROCPRIM_400000_NS6detail17trampoline_kernelINS0_14default_configENS1_38merge_sort_block_merge_config_selectorItNS0_10empty_typeEEEZZNS1_27merge_sort_block_merge_implIS3_PtPS5_jNS1_19radix_merge_compareILb0ELb0EtNS0_19identity_decomposerEEEEE10hipError_tT0_T1_T2_jT3_P12ihipStream_tbPNSt15iterator_traitsISE_E10value_typeEPNSK_ISF_E10value_typeEPSG_NS1_7vsmem_tEENKUlT_SE_SF_SG_E_clIS8_S8_S9_S9_EESD_ST_SE_SF_SG_EUlST_E0_NS1_11comp_targetILNS1_3genE5ELNS1_11target_archE942ELNS1_3gpuE9ELNS1_3repE0EEENS1_38merge_mergepath_config_static_selectorELNS0_4arch9wavefront6targetE0EEEvSF_
; %bb.0:
	.section	.rodata,"a",@progbits
	.p2align	6, 0x0
	.amdhsa_kernel _ZN7rocprim17ROCPRIM_400000_NS6detail17trampoline_kernelINS0_14default_configENS1_38merge_sort_block_merge_config_selectorItNS0_10empty_typeEEEZZNS1_27merge_sort_block_merge_implIS3_PtPS5_jNS1_19radix_merge_compareILb0ELb0EtNS0_19identity_decomposerEEEEE10hipError_tT0_T1_T2_jT3_P12ihipStream_tbPNSt15iterator_traitsISE_E10value_typeEPNSK_ISF_E10value_typeEPSG_NS1_7vsmem_tEENKUlT_SE_SF_SG_E_clIS8_S8_S9_S9_EESD_ST_SE_SF_SG_EUlST_E0_NS1_11comp_targetILNS1_3genE5ELNS1_11target_archE942ELNS1_3gpuE9ELNS1_3repE0EEENS1_38merge_mergepath_config_static_selectorELNS0_4arch9wavefront6targetE0EEEvSF_
		.amdhsa_group_segment_fixed_size 0
		.amdhsa_private_segment_fixed_size 0
		.amdhsa_kernarg_size 64
		.amdhsa_user_sgpr_count 2
		.amdhsa_user_sgpr_dispatch_ptr 0
		.amdhsa_user_sgpr_queue_ptr 0
		.amdhsa_user_sgpr_kernarg_segment_ptr 1
		.amdhsa_user_sgpr_dispatch_id 0
		.amdhsa_user_sgpr_kernarg_preload_length 0
		.amdhsa_user_sgpr_kernarg_preload_offset 0
		.amdhsa_user_sgpr_private_segment_size 0
		.amdhsa_wavefront_size32 1
		.amdhsa_uses_dynamic_stack 0
		.amdhsa_enable_private_segment 0
		.amdhsa_system_sgpr_workgroup_id_x 1
		.amdhsa_system_sgpr_workgroup_id_y 0
		.amdhsa_system_sgpr_workgroup_id_z 0
		.amdhsa_system_sgpr_workgroup_info 0
		.amdhsa_system_vgpr_workitem_id 0
		.amdhsa_next_free_vgpr 1
		.amdhsa_next_free_sgpr 1
		.amdhsa_named_barrier_count 0
		.amdhsa_reserve_vcc 0
		.amdhsa_float_round_mode_32 0
		.amdhsa_float_round_mode_16_64 0
		.amdhsa_float_denorm_mode_32 3
		.amdhsa_float_denorm_mode_16_64 3
		.amdhsa_fp16_overflow 0
		.amdhsa_memory_ordered 1
		.amdhsa_forward_progress 1
		.amdhsa_inst_pref_size 0
		.amdhsa_round_robin_scheduling 0
		.amdhsa_exception_fp_ieee_invalid_op 0
		.amdhsa_exception_fp_denorm_src 0
		.amdhsa_exception_fp_ieee_div_zero 0
		.amdhsa_exception_fp_ieee_overflow 0
		.amdhsa_exception_fp_ieee_underflow 0
		.amdhsa_exception_fp_ieee_inexact 0
		.amdhsa_exception_int_div_zero 0
	.end_amdhsa_kernel
	.section	.text._ZN7rocprim17ROCPRIM_400000_NS6detail17trampoline_kernelINS0_14default_configENS1_38merge_sort_block_merge_config_selectorItNS0_10empty_typeEEEZZNS1_27merge_sort_block_merge_implIS3_PtPS5_jNS1_19radix_merge_compareILb0ELb0EtNS0_19identity_decomposerEEEEE10hipError_tT0_T1_T2_jT3_P12ihipStream_tbPNSt15iterator_traitsISE_E10value_typeEPNSK_ISF_E10value_typeEPSG_NS1_7vsmem_tEENKUlT_SE_SF_SG_E_clIS8_S8_S9_S9_EESD_ST_SE_SF_SG_EUlST_E0_NS1_11comp_targetILNS1_3genE5ELNS1_11target_archE942ELNS1_3gpuE9ELNS1_3repE0EEENS1_38merge_mergepath_config_static_selectorELNS0_4arch9wavefront6targetE0EEEvSF_,"axG",@progbits,_ZN7rocprim17ROCPRIM_400000_NS6detail17trampoline_kernelINS0_14default_configENS1_38merge_sort_block_merge_config_selectorItNS0_10empty_typeEEEZZNS1_27merge_sort_block_merge_implIS3_PtPS5_jNS1_19radix_merge_compareILb0ELb0EtNS0_19identity_decomposerEEEEE10hipError_tT0_T1_T2_jT3_P12ihipStream_tbPNSt15iterator_traitsISE_E10value_typeEPNSK_ISF_E10value_typeEPSG_NS1_7vsmem_tEENKUlT_SE_SF_SG_E_clIS8_S8_S9_S9_EESD_ST_SE_SF_SG_EUlST_E0_NS1_11comp_targetILNS1_3genE5ELNS1_11target_archE942ELNS1_3gpuE9ELNS1_3repE0EEENS1_38merge_mergepath_config_static_selectorELNS0_4arch9wavefront6targetE0EEEvSF_,comdat
.Lfunc_end2441:
	.size	_ZN7rocprim17ROCPRIM_400000_NS6detail17trampoline_kernelINS0_14default_configENS1_38merge_sort_block_merge_config_selectorItNS0_10empty_typeEEEZZNS1_27merge_sort_block_merge_implIS3_PtPS5_jNS1_19radix_merge_compareILb0ELb0EtNS0_19identity_decomposerEEEEE10hipError_tT0_T1_T2_jT3_P12ihipStream_tbPNSt15iterator_traitsISE_E10value_typeEPNSK_ISF_E10value_typeEPSG_NS1_7vsmem_tEENKUlT_SE_SF_SG_E_clIS8_S8_S9_S9_EESD_ST_SE_SF_SG_EUlST_E0_NS1_11comp_targetILNS1_3genE5ELNS1_11target_archE942ELNS1_3gpuE9ELNS1_3repE0EEENS1_38merge_mergepath_config_static_selectorELNS0_4arch9wavefront6targetE0EEEvSF_, .Lfunc_end2441-_ZN7rocprim17ROCPRIM_400000_NS6detail17trampoline_kernelINS0_14default_configENS1_38merge_sort_block_merge_config_selectorItNS0_10empty_typeEEEZZNS1_27merge_sort_block_merge_implIS3_PtPS5_jNS1_19radix_merge_compareILb0ELb0EtNS0_19identity_decomposerEEEEE10hipError_tT0_T1_T2_jT3_P12ihipStream_tbPNSt15iterator_traitsISE_E10value_typeEPNSK_ISF_E10value_typeEPSG_NS1_7vsmem_tEENKUlT_SE_SF_SG_E_clIS8_S8_S9_S9_EESD_ST_SE_SF_SG_EUlST_E0_NS1_11comp_targetILNS1_3genE5ELNS1_11target_archE942ELNS1_3gpuE9ELNS1_3repE0EEENS1_38merge_mergepath_config_static_selectorELNS0_4arch9wavefront6targetE0EEEvSF_
                                        ; -- End function
	.set _ZN7rocprim17ROCPRIM_400000_NS6detail17trampoline_kernelINS0_14default_configENS1_38merge_sort_block_merge_config_selectorItNS0_10empty_typeEEEZZNS1_27merge_sort_block_merge_implIS3_PtPS5_jNS1_19radix_merge_compareILb0ELb0EtNS0_19identity_decomposerEEEEE10hipError_tT0_T1_T2_jT3_P12ihipStream_tbPNSt15iterator_traitsISE_E10value_typeEPNSK_ISF_E10value_typeEPSG_NS1_7vsmem_tEENKUlT_SE_SF_SG_E_clIS8_S8_S9_S9_EESD_ST_SE_SF_SG_EUlST_E0_NS1_11comp_targetILNS1_3genE5ELNS1_11target_archE942ELNS1_3gpuE9ELNS1_3repE0EEENS1_38merge_mergepath_config_static_selectorELNS0_4arch9wavefront6targetE0EEEvSF_.num_vgpr, 0
	.set _ZN7rocprim17ROCPRIM_400000_NS6detail17trampoline_kernelINS0_14default_configENS1_38merge_sort_block_merge_config_selectorItNS0_10empty_typeEEEZZNS1_27merge_sort_block_merge_implIS3_PtPS5_jNS1_19radix_merge_compareILb0ELb0EtNS0_19identity_decomposerEEEEE10hipError_tT0_T1_T2_jT3_P12ihipStream_tbPNSt15iterator_traitsISE_E10value_typeEPNSK_ISF_E10value_typeEPSG_NS1_7vsmem_tEENKUlT_SE_SF_SG_E_clIS8_S8_S9_S9_EESD_ST_SE_SF_SG_EUlST_E0_NS1_11comp_targetILNS1_3genE5ELNS1_11target_archE942ELNS1_3gpuE9ELNS1_3repE0EEENS1_38merge_mergepath_config_static_selectorELNS0_4arch9wavefront6targetE0EEEvSF_.num_agpr, 0
	.set _ZN7rocprim17ROCPRIM_400000_NS6detail17trampoline_kernelINS0_14default_configENS1_38merge_sort_block_merge_config_selectorItNS0_10empty_typeEEEZZNS1_27merge_sort_block_merge_implIS3_PtPS5_jNS1_19radix_merge_compareILb0ELb0EtNS0_19identity_decomposerEEEEE10hipError_tT0_T1_T2_jT3_P12ihipStream_tbPNSt15iterator_traitsISE_E10value_typeEPNSK_ISF_E10value_typeEPSG_NS1_7vsmem_tEENKUlT_SE_SF_SG_E_clIS8_S8_S9_S9_EESD_ST_SE_SF_SG_EUlST_E0_NS1_11comp_targetILNS1_3genE5ELNS1_11target_archE942ELNS1_3gpuE9ELNS1_3repE0EEENS1_38merge_mergepath_config_static_selectorELNS0_4arch9wavefront6targetE0EEEvSF_.numbered_sgpr, 0
	.set _ZN7rocprim17ROCPRIM_400000_NS6detail17trampoline_kernelINS0_14default_configENS1_38merge_sort_block_merge_config_selectorItNS0_10empty_typeEEEZZNS1_27merge_sort_block_merge_implIS3_PtPS5_jNS1_19radix_merge_compareILb0ELb0EtNS0_19identity_decomposerEEEEE10hipError_tT0_T1_T2_jT3_P12ihipStream_tbPNSt15iterator_traitsISE_E10value_typeEPNSK_ISF_E10value_typeEPSG_NS1_7vsmem_tEENKUlT_SE_SF_SG_E_clIS8_S8_S9_S9_EESD_ST_SE_SF_SG_EUlST_E0_NS1_11comp_targetILNS1_3genE5ELNS1_11target_archE942ELNS1_3gpuE9ELNS1_3repE0EEENS1_38merge_mergepath_config_static_selectorELNS0_4arch9wavefront6targetE0EEEvSF_.num_named_barrier, 0
	.set _ZN7rocprim17ROCPRIM_400000_NS6detail17trampoline_kernelINS0_14default_configENS1_38merge_sort_block_merge_config_selectorItNS0_10empty_typeEEEZZNS1_27merge_sort_block_merge_implIS3_PtPS5_jNS1_19radix_merge_compareILb0ELb0EtNS0_19identity_decomposerEEEEE10hipError_tT0_T1_T2_jT3_P12ihipStream_tbPNSt15iterator_traitsISE_E10value_typeEPNSK_ISF_E10value_typeEPSG_NS1_7vsmem_tEENKUlT_SE_SF_SG_E_clIS8_S8_S9_S9_EESD_ST_SE_SF_SG_EUlST_E0_NS1_11comp_targetILNS1_3genE5ELNS1_11target_archE942ELNS1_3gpuE9ELNS1_3repE0EEENS1_38merge_mergepath_config_static_selectorELNS0_4arch9wavefront6targetE0EEEvSF_.private_seg_size, 0
	.set _ZN7rocprim17ROCPRIM_400000_NS6detail17trampoline_kernelINS0_14default_configENS1_38merge_sort_block_merge_config_selectorItNS0_10empty_typeEEEZZNS1_27merge_sort_block_merge_implIS3_PtPS5_jNS1_19radix_merge_compareILb0ELb0EtNS0_19identity_decomposerEEEEE10hipError_tT0_T1_T2_jT3_P12ihipStream_tbPNSt15iterator_traitsISE_E10value_typeEPNSK_ISF_E10value_typeEPSG_NS1_7vsmem_tEENKUlT_SE_SF_SG_E_clIS8_S8_S9_S9_EESD_ST_SE_SF_SG_EUlST_E0_NS1_11comp_targetILNS1_3genE5ELNS1_11target_archE942ELNS1_3gpuE9ELNS1_3repE0EEENS1_38merge_mergepath_config_static_selectorELNS0_4arch9wavefront6targetE0EEEvSF_.uses_vcc, 0
	.set _ZN7rocprim17ROCPRIM_400000_NS6detail17trampoline_kernelINS0_14default_configENS1_38merge_sort_block_merge_config_selectorItNS0_10empty_typeEEEZZNS1_27merge_sort_block_merge_implIS3_PtPS5_jNS1_19radix_merge_compareILb0ELb0EtNS0_19identity_decomposerEEEEE10hipError_tT0_T1_T2_jT3_P12ihipStream_tbPNSt15iterator_traitsISE_E10value_typeEPNSK_ISF_E10value_typeEPSG_NS1_7vsmem_tEENKUlT_SE_SF_SG_E_clIS8_S8_S9_S9_EESD_ST_SE_SF_SG_EUlST_E0_NS1_11comp_targetILNS1_3genE5ELNS1_11target_archE942ELNS1_3gpuE9ELNS1_3repE0EEENS1_38merge_mergepath_config_static_selectorELNS0_4arch9wavefront6targetE0EEEvSF_.uses_flat_scratch, 0
	.set _ZN7rocprim17ROCPRIM_400000_NS6detail17trampoline_kernelINS0_14default_configENS1_38merge_sort_block_merge_config_selectorItNS0_10empty_typeEEEZZNS1_27merge_sort_block_merge_implIS3_PtPS5_jNS1_19radix_merge_compareILb0ELb0EtNS0_19identity_decomposerEEEEE10hipError_tT0_T1_T2_jT3_P12ihipStream_tbPNSt15iterator_traitsISE_E10value_typeEPNSK_ISF_E10value_typeEPSG_NS1_7vsmem_tEENKUlT_SE_SF_SG_E_clIS8_S8_S9_S9_EESD_ST_SE_SF_SG_EUlST_E0_NS1_11comp_targetILNS1_3genE5ELNS1_11target_archE942ELNS1_3gpuE9ELNS1_3repE0EEENS1_38merge_mergepath_config_static_selectorELNS0_4arch9wavefront6targetE0EEEvSF_.has_dyn_sized_stack, 0
	.set _ZN7rocprim17ROCPRIM_400000_NS6detail17trampoline_kernelINS0_14default_configENS1_38merge_sort_block_merge_config_selectorItNS0_10empty_typeEEEZZNS1_27merge_sort_block_merge_implIS3_PtPS5_jNS1_19radix_merge_compareILb0ELb0EtNS0_19identity_decomposerEEEEE10hipError_tT0_T1_T2_jT3_P12ihipStream_tbPNSt15iterator_traitsISE_E10value_typeEPNSK_ISF_E10value_typeEPSG_NS1_7vsmem_tEENKUlT_SE_SF_SG_E_clIS8_S8_S9_S9_EESD_ST_SE_SF_SG_EUlST_E0_NS1_11comp_targetILNS1_3genE5ELNS1_11target_archE942ELNS1_3gpuE9ELNS1_3repE0EEENS1_38merge_mergepath_config_static_selectorELNS0_4arch9wavefront6targetE0EEEvSF_.has_recursion, 0
	.set _ZN7rocprim17ROCPRIM_400000_NS6detail17trampoline_kernelINS0_14default_configENS1_38merge_sort_block_merge_config_selectorItNS0_10empty_typeEEEZZNS1_27merge_sort_block_merge_implIS3_PtPS5_jNS1_19radix_merge_compareILb0ELb0EtNS0_19identity_decomposerEEEEE10hipError_tT0_T1_T2_jT3_P12ihipStream_tbPNSt15iterator_traitsISE_E10value_typeEPNSK_ISF_E10value_typeEPSG_NS1_7vsmem_tEENKUlT_SE_SF_SG_E_clIS8_S8_S9_S9_EESD_ST_SE_SF_SG_EUlST_E0_NS1_11comp_targetILNS1_3genE5ELNS1_11target_archE942ELNS1_3gpuE9ELNS1_3repE0EEENS1_38merge_mergepath_config_static_selectorELNS0_4arch9wavefront6targetE0EEEvSF_.has_indirect_call, 0
	.section	.AMDGPU.csdata,"",@progbits
; Kernel info:
; codeLenInByte = 0
; TotalNumSgprs: 0
; NumVgprs: 0
; ScratchSize: 0
; MemoryBound: 0
; FloatMode: 240
; IeeeMode: 1
; LDSByteSize: 0 bytes/workgroup (compile time only)
; SGPRBlocks: 0
; VGPRBlocks: 0
; NumSGPRsForWavesPerEU: 1
; NumVGPRsForWavesPerEU: 1
; NamedBarCnt: 0
; Occupancy: 16
; WaveLimiterHint : 0
; COMPUTE_PGM_RSRC2:SCRATCH_EN: 0
; COMPUTE_PGM_RSRC2:USER_SGPR: 2
; COMPUTE_PGM_RSRC2:TRAP_HANDLER: 0
; COMPUTE_PGM_RSRC2:TGID_X_EN: 1
; COMPUTE_PGM_RSRC2:TGID_Y_EN: 0
; COMPUTE_PGM_RSRC2:TGID_Z_EN: 0
; COMPUTE_PGM_RSRC2:TIDIG_COMP_CNT: 0
	.section	.text._ZN7rocprim17ROCPRIM_400000_NS6detail17trampoline_kernelINS0_14default_configENS1_38merge_sort_block_merge_config_selectorItNS0_10empty_typeEEEZZNS1_27merge_sort_block_merge_implIS3_PtPS5_jNS1_19radix_merge_compareILb0ELb0EtNS0_19identity_decomposerEEEEE10hipError_tT0_T1_T2_jT3_P12ihipStream_tbPNSt15iterator_traitsISE_E10value_typeEPNSK_ISF_E10value_typeEPSG_NS1_7vsmem_tEENKUlT_SE_SF_SG_E_clIS8_S8_S9_S9_EESD_ST_SE_SF_SG_EUlST_E0_NS1_11comp_targetILNS1_3genE4ELNS1_11target_archE910ELNS1_3gpuE8ELNS1_3repE0EEENS1_38merge_mergepath_config_static_selectorELNS0_4arch9wavefront6targetE0EEEvSF_,"axG",@progbits,_ZN7rocprim17ROCPRIM_400000_NS6detail17trampoline_kernelINS0_14default_configENS1_38merge_sort_block_merge_config_selectorItNS0_10empty_typeEEEZZNS1_27merge_sort_block_merge_implIS3_PtPS5_jNS1_19radix_merge_compareILb0ELb0EtNS0_19identity_decomposerEEEEE10hipError_tT0_T1_T2_jT3_P12ihipStream_tbPNSt15iterator_traitsISE_E10value_typeEPNSK_ISF_E10value_typeEPSG_NS1_7vsmem_tEENKUlT_SE_SF_SG_E_clIS8_S8_S9_S9_EESD_ST_SE_SF_SG_EUlST_E0_NS1_11comp_targetILNS1_3genE4ELNS1_11target_archE910ELNS1_3gpuE8ELNS1_3repE0EEENS1_38merge_mergepath_config_static_selectorELNS0_4arch9wavefront6targetE0EEEvSF_,comdat
	.protected	_ZN7rocprim17ROCPRIM_400000_NS6detail17trampoline_kernelINS0_14default_configENS1_38merge_sort_block_merge_config_selectorItNS0_10empty_typeEEEZZNS1_27merge_sort_block_merge_implIS3_PtPS5_jNS1_19radix_merge_compareILb0ELb0EtNS0_19identity_decomposerEEEEE10hipError_tT0_T1_T2_jT3_P12ihipStream_tbPNSt15iterator_traitsISE_E10value_typeEPNSK_ISF_E10value_typeEPSG_NS1_7vsmem_tEENKUlT_SE_SF_SG_E_clIS8_S8_S9_S9_EESD_ST_SE_SF_SG_EUlST_E0_NS1_11comp_targetILNS1_3genE4ELNS1_11target_archE910ELNS1_3gpuE8ELNS1_3repE0EEENS1_38merge_mergepath_config_static_selectorELNS0_4arch9wavefront6targetE0EEEvSF_ ; -- Begin function _ZN7rocprim17ROCPRIM_400000_NS6detail17trampoline_kernelINS0_14default_configENS1_38merge_sort_block_merge_config_selectorItNS0_10empty_typeEEEZZNS1_27merge_sort_block_merge_implIS3_PtPS5_jNS1_19radix_merge_compareILb0ELb0EtNS0_19identity_decomposerEEEEE10hipError_tT0_T1_T2_jT3_P12ihipStream_tbPNSt15iterator_traitsISE_E10value_typeEPNSK_ISF_E10value_typeEPSG_NS1_7vsmem_tEENKUlT_SE_SF_SG_E_clIS8_S8_S9_S9_EESD_ST_SE_SF_SG_EUlST_E0_NS1_11comp_targetILNS1_3genE4ELNS1_11target_archE910ELNS1_3gpuE8ELNS1_3repE0EEENS1_38merge_mergepath_config_static_selectorELNS0_4arch9wavefront6targetE0EEEvSF_
	.globl	_ZN7rocprim17ROCPRIM_400000_NS6detail17trampoline_kernelINS0_14default_configENS1_38merge_sort_block_merge_config_selectorItNS0_10empty_typeEEEZZNS1_27merge_sort_block_merge_implIS3_PtPS5_jNS1_19radix_merge_compareILb0ELb0EtNS0_19identity_decomposerEEEEE10hipError_tT0_T1_T2_jT3_P12ihipStream_tbPNSt15iterator_traitsISE_E10value_typeEPNSK_ISF_E10value_typeEPSG_NS1_7vsmem_tEENKUlT_SE_SF_SG_E_clIS8_S8_S9_S9_EESD_ST_SE_SF_SG_EUlST_E0_NS1_11comp_targetILNS1_3genE4ELNS1_11target_archE910ELNS1_3gpuE8ELNS1_3repE0EEENS1_38merge_mergepath_config_static_selectorELNS0_4arch9wavefront6targetE0EEEvSF_
	.p2align	8
	.type	_ZN7rocprim17ROCPRIM_400000_NS6detail17trampoline_kernelINS0_14default_configENS1_38merge_sort_block_merge_config_selectorItNS0_10empty_typeEEEZZNS1_27merge_sort_block_merge_implIS3_PtPS5_jNS1_19radix_merge_compareILb0ELb0EtNS0_19identity_decomposerEEEEE10hipError_tT0_T1_T2_jT3_P12ihipStream_tbPNSt15iterator_traitsISE_E10value_typeEPNSK_ISF_E10value_typeEPSG_NS1_7vsmem_tEENKUlT_SE_SF_SG_E_clIS8_S8_S9_S9_EESD_ST_SE_SF_SG_EUlST_E0_NS1_11comp_targetILNS1_3genE4ELNS1_11target_archE910ELNS1_3gpuE8ELNS1_3repE0EEENS1_38merge_mergepath_config_static_selectorELNS0_4arch9wavefront6targetE0EEEvSF_,@function
_ZN7rocprim17ROCPRIM_400000_NS6detail17trampoline_kernelINS0_14default_configENS1_38merge_sort_block_merge_config_selectorItNS0_10empty_typeEEEZZNS1_27merge_sort_block_merge_implIS3_PtPS5_jNS1_19radix_merge_compareILb0ELb0EtNS0_19identity_decomposerEEEEE10hipError_tT0_T1_T2_jT3_P12ihipStream_tbPNSt15iterator_traitsISE_E10value_typeEPNSK_ISF_E10value_typeEPSG_NS1_7vsmem_tEENKUlT_SE_SF_SG_E_clIS8_S8_S9_S9_EESD_ST_SE_SF_SG_EUlST_E0_NS1_11comp_targetILNS1_3genE4ELNS1_11target_archE910ELNS1_3gpuE8ELNS1_3repE0EEENS1_38merge_mergepath_config_static_selectorELNS0_4arch9wavefront6targetE0EEEvSF_: ; @_ZN7rocprim17ROCPRIM_400000_NS6detail17trampoline_kernelINS0_14default_configENS1_38merge_sort_block_merge_config_selectorItNS0_10empty_typeEEEZZNS1_27merge_sort_block_merge_implIS3_PtPS5_jNS1_19radix_merge_compareILb0ELb0EtNS0_19identity_decomposerEEEEE10hipError_tT0_T1_T2_jT3_P12ihipStream_tbPNSt15iterator_traitsISE_E10value_typeEPNSK_ISF_E10value_typeEPSG_NS1_7vsmem_tEENKUlT_SE_SF_SG_E_clIS8_S8_S9_S9_EESD_ST_SE_SF_SG_EUlST_E0_NS1_11comp_targetILNS1_3genE4ELNS1_11target_archE910ELNS1_3gpuE8ELNS1_3repE0EEENS1_38merge_mergepath_config_static_selectorELNS0_4arch9wavefront6targetE0EEEvSF_
; %bb.0:
	.section	.rodata,"a",@progbits
	.p2align	6, 0x0
	.amdhsa_kernel _ZN7rocprim17ROCPRIM_400000_NS6detail17trampoline_kernelINS0_14default_configENS1_38merge_sort_block_merge_config_selectorItNS0_10empty_typeEEEZZNS1_27merge_sort_block_merge_implIS3_PtPS5_jNS1_19radix_merge_compareILb0ELb0EtNS0_19identity_decomposerEEEEE10hipError_tT0_T1_T2_jT3_P12ihipStream_tbPNSt15iterator_traitsISE_E10value_typeEPNSK_ISF_E10value_typeEPSG_NS1_7vsmem_tEENKUlT_SE_SF_SG_E_clIS8_S8_S9_S9_EESD_ST_SE_SF_SG_EUlST_E0_NS1_11comp_targetILNS1_3genE4ELNS1_11target_archE910ELNS1_3gpuE8ELNS1_3repE0EEENS1_38merge_mergepath_config_static_selectorELNS0_4arch9wavefront6targetE0EEEvSF_
		.amdhsa_group_segment_fixed_size 0
		.amdhsa_private_segment_fixed_size 0
		.amdhsa_kernarg_size 64
		.amdhsa_user_sgpr_count 2
		.amdhsa_user_sgpr_dispatch_ptr 0
		.amdhsa_user_sgpr_queue_ptr 0
		.amdhsa_user_sgpr_kernarg_segment_ptr 1
		.amdhsa_user_sgpr_dispatch_id 0
		.amdhsa_user_sgpr_kernarg_preload_length 0
		.amdhsa_user_sgpr_kernarg_preload_offset 0
		.amdhsa_user_sgpr_private_segment_size 0
		.amdhsa_wavefront_size32 1
		.amdhsa_uses_dynamic_stack 0
		.amdhsa_enable_private_segment 0
		.amdhsa_system_sgpr_workgroup_id_x 1
		.amdhsa_system_sgpr_workgroup_id_y 0
		.amdhsa_system_sgpr_workgroup_id_z 0
		.amdhsa_system_sgpr_workgroup_info 0
		.amdhsa_system_vgpr_workitem_id 0
		.amdhsa_next_free_vgpr 1
		.amdhsa_next_free_sgpr 1
		.amdhsa_named_barrier_count 0
		.amdhsa_reserve_vcc 0
		.amdhsa_float_round_mode_32 0
		.amdhsa_float_round_mode_16_64 0
		.amdhsa_float_denorm_mode_32 3
		.amdhsa_float_denorm_mode_16_64 3
		.amdhsa_fp16_overflow 0
		.amdhsa_memory_ordered 1
		.amdhsa_forward_progress 1
		.amdhsa_inst_pref_size 0
		.amdhsa_round_robin_scheduling 0
		.amdhsa_exception_fp_ieee_invalid_op 0
		.amdhsa_exception_fp_denorm_src 0
		.amdhsa_exception_fp_ieee_div_zero 0
		.amdhsa_exception_fp_ieee_overflow 0
		.amdhsa_exception_fp_ieee_underflow 0
		.amdhsa_exception_fp_ieee_inexact 0
		.amdhsa_exception_int_div_zero 0
	.end_amdhsa_kernel
	.section	.text._ZN7rocprim17ROCPRIM_400000_NS6detail17trampoline_kernelINS0_14default_configENS1_38merge_sort_block_merge_config_selectorItNS0_10empty_typeEEEZZNS1_27merge_sort_block_merge_implIS3_PtPS5_jNS1_19radix_merge_compareILb0ELb0EtNS0_19identity_decomposerEEEEE10hipError_tT0_T1_T2_jT3_P12ihipStream_tbPNSt15iterator_traitsISE_E10value_typeEPNSK_ISF_E10value_typeEPSG_NS1_7vsmem_tEENKUlT_SE_SF_SG_E_clIS8_S8_S9_S9_EESD_ST_SE_SF_SG_EUlST_E0_NS1_11comp_targetILNS1_3genE4ELNS1_11target_archE910ELNS1_3gpuE8ELNS1_3repE0EEENS1_38merge_mergepath_config_static_selectorELNS0_4arch9wavefront6targetE0EEEvSF_,"axG",@progbits,_ZN7rocprim17ROCPRIM_400000_NS6detail17trampoline_kernelINS0_14default_configENS1_38merge_sort_block_merge_config_selectorItNS0_10empty_typeEEEZZNS1_27merge_sort_block_merge_implIS3_PtPS5_jNS1_19radix_merge_compareILb0ELb0EtNS0_19identity_decomposerEEEEE10hipError_tT0_T1_T2_jT3_P12ihipStream_tbPNSt15iterator_traitsISE_E10value_typeEPNSK_ISF_E10value_typeEPSG_NS1_7vsmem_tEENKUlT_SE_SF_SG_E_clIS8_S8_S9_S9_EESD_ST_SE_SF_SG_EUlST_E0_NS1_11comp_targetILNS1_3genE4ELNS1_11target_archE910ELNS1_3gpuE8ELNS1_3repE0EEENS1_38merge_mergepath_config_static_selectorELNS0_4arch9wavefront6targetE0EEEvSF_,comdat
.Lfunc_end2442:
	.size	_ZN7rocprim17ROCPRIM_400000_NS6detail17trampoline_kernelINS0_14default_configENS1_38merge_sort_block_merge_config_selectorItNS0_10empty_typeEEEZZNS1_27merge_sort_block_merge_implIS3_PtPS5_jNS1_19radix_merge_compareILb0ELb0EtNS0_19identity_decomposerEEEEE10hipError_tT0_T1_T2_jT3_P12ihipStream_tbPNSt15iterator_traitsISE_E10value_typeEPNSK_ISF_E10value_typeEPSG_NS1_7vsmem_tEENKUlT_SE_SF_SG_E_clIS8_S8_S9_S9_EESD_ST_SE_SF_SG_EUlST_E0_NS1_11comp_targetILNS1_3genE4ELNS1_11target_archE910ELNS1_3gpuE8ELNS1_3repE0EEENS1_38merge_mergepath_config_static_selectorELNS0_4arch9wavefront6targetE0EEEvSF_, .Lfunc_end2442-_ZN7rocprim17ROCPRIM_400000_NS6detail17trampoline_kernelINS0_14default_configENS1_38merge_sort_block_merge_config_selectorItNS0_10empty_typeEEEZZNS1_27merge_sort_block_merge_implIS3_PtPS5_jNS1_19radix_merge_compareILb0ELb0EtNS0_19identity_decomposerEEEEE10hipError_tT0_T1_T2_jT3_P12ihipStream_tbPNSt15iterator_traitsISE_E10value_typeEPNSK_ISF_E10value_typeEPSG_NS1_7vsmem_tEENKUlT_SE_SF_SG_E_clIS8_S8_S9_S9_EESD_ST_SE_SF_SG_EUlST_E0_NS1_11comp_targetILNS1_3genE4ELNS1_11target_archE910ELNS1_3gpuE8ELNS1_3repE0EEENS1_38merge_mergepath_config_static_selectorELNS0_4arch9wavefront6targetE0EEEvSF_
                                        ; -- End function
	.set _ZN7rocprim17ROCPRIM_400000_NS6detail17trampoline_kernelINS0_14default_configENS1_38merge_sort_block_merge_config_selectorItNS0_10empty_typeEEEZZNS1_27merge_sort_block_merge_implIS3_PtPS5_jNS1_19radix_merge_compareILb0ELb0EtNS0_19identity_decomposerEEEEE10hipError_tT0_T1_T2_jT3_P12ihipStream_tbPNSt15iterator_traitsISE_E10value_typeEPNSK_ISF_E10value_typeEPSG_NS1_7vsmem_tEENKUlT_SE_SF_SG_E_clIS8_S8_S9_S9_EESD_ST_SE_SF_SG_EUlST_E0_NS1_11comp_targetILNS1_3genE4ELNS1_11target_archE910ELNS1_3gpuE8ELNS1_3repE0EEENS1_38merge_mergepath_config_static_selectorELNS0_4arch9wavefront6targetE0EEEvSF_.num_vgpr, 0
	.set _ZN7rocprim17ROCPRIM_400000_NS6detail17trampoline_kernelINS0_14default_configENS1_38merge_sort_block_merge_config_selectorItNS0_10empty_typeEEEZZNS1_27merge_sort_block_merge_implIS3_PtPS5_jNS1_19radix_merge_compareILb0ELb0EtNS0_19identity_decomposerEEEEE10hipError_tT0_T1_T2_jT3_P12ihipStream_tbPNSt15iterator_traitsISE_E10value_typeEPNSK_ISF_E10value_typeEPSG_NS1_7vsmem_tEENKUlT_SE_SF_SG_E_clIS8_S8_S9_S9_EESD_ST_SE_SF_SG_EUlST_E0_NS1_11comp_targetILNS1_3genE4ELNS1_11target_archE910ELNS1_3gpuE8ELNS1_3repE0EEENS1_38merge_mergepath_config_static_selectorELNS0_4arch9wavefront6targetE0EEEvSF_.num_agpr, 0
	.set _ZN7rocprim17ROCPRIM_400000_NS6detail17trampoline_kernelINS0_14default_configENS1_38merge_sort_block_merge_config_selectorItNS0_10empty_typeEEEZZNS1_27merge_sort_block_merge_implIS3_PtPS5_jNS1_19radix_merge_compareILb0ELb0EtNS0_19identity_decomposerEEEEE10hipError_tT0_T1_T2_jT3_P12ihipStream_tbPNSt15iterator_traitsISE_E10value_typeEPNSK_ISF_E10value_typeEPSG_NS1_7vsmem_tEENKUlT_SE_SF_SG_E_clIS8_S8_S9_S9_EESD_ST_SE_SF_SG_EUlST_E0_NS1_11comp_targetILNS1_3genE4ELNS1_11target_archE910ELNS1_3gpuE8ELNS1_3repE0EEENS1_38merge_mergepath_config_static_selectorELNS0_4arch9wavefront6targetE0EEEvSF_.numbered_sgpr, 0
	.set _ZN7rocprim17ROCPRIM_400000_NS6detail17trampoline_kernelINS0_14default_configENS1_38merge_sort_block_merge_config_selectorItNS0_10empty_typeEEEZZNS1_27merge_sort_block_merge_implIS3_PtPS5_jNS1_19radix_merge_compareILb0ELb0EtNS0_19identity_decomposerEEEEE10hipError_tT0_T1_T2_jT3_P12ihipStream_tbPNSt15iterator_traitsISE_E10value_typeEPNSK_ISF_E10value_typeEPSG_NS1_7vsmem_tEENKUlT_SE_SF_SG_E_clIS8_S8_S9_S9_EESD_ST_SE_SF_SG_EUlST_E0_NS1_11comp_targetILNS1_3genE4ELNS1_11target_archE910ELNS1_3gpuE8ELNS1_3repE0EEENS1_38merge_mergepath_config_static_selectorELNS0_4arch9wavefront6targetE0EEEvSF_.num_named_barrier, 0
	.set _ZN7rocprim17ROCPRIM_400000_NS6detail17trampoline_kernelINS0_14default_configENS1_38merge_sort_block_merge_config_selectorItNS0_10empty_typeEEEZZNS1_27merge_sort_block_merge_implIS3_PtPS5_jNS1_19radix_merge_compareILb0ELb0EtNS0_19identity_decomposerEEEEE10hipError_tT0_T1_T2_jT3_P12ihipStream_tbPNSt15iterator_traitsISE_E10value_typeEPNSK_ISF_E10value_typeEPSG_NS1_7vsmem_tEENKUlT_SE_SF_SG_E_clIS8_S8_S9_S9_EESD_ST_SE_SF_SG_EUlST_E0_NS1_11comp_targetILNS1_3genE4ELNS1_11target_archE910ELNS1_3gpuE8ELNS1_3repE0EEENS1_38merge_mergepath_config_static_selectorELNS0_4arch9wavefront6targetE0EEEvSF_.private_seg_size, 0
	.set _ZN7rocprim17ROCPRIM_400000_NS6detail17trampoline_kernelINS0_14default_configENS1_38merge_sort_block_merge_config_selectorItNS0_10empty_typeEEEZZNS1_27merge_sort_block_merge_implIS3_PtPS5_jNS1_19radix_merge_compareILb0ELb0EtNS0_19identity_decomposerEEEEE10hipError_tT0_T1_T2_jT3_P12ihipStream_tbPNSt15iterator_traitsISE_E10value_typeEPNSK_ISF_E10value_typeEPSG_NS1_7vsmem_tEENKUlT_SE_SF_SG_E_clIS8_S8_S9_S9_EESD_ST_SE_SF_SG_EUlST_E0_NS1_11comp_targetILNS1_3genE4ELNS1_11target_archE910ELNS1_3gpuE8ELNS1_3repE0EEENS1_38merge_mergepath_config_static_selectorELNS0_4arch9wavefront6targetE0EEEvSF_.uses_vcc, 0
	.set _ZN7rocprim17ROCPRIM_400000_NS6detail17trampoline_kernelINS0_14default_configENS1_38merge_sort_block_merge_config_selectorItNS0_10empty_typeEEEZZNS1_27merge_sort_block_merge_implIS3_PtPS5_jNS1_19radix_merge_compareILb0ELb0EtNS0_19identity_decomposerEEEEE10hipError_tT0_T1_T2_jT3_P12ihipStream_tbPNSt15iterator_traitsISE_E10value_typeEPNSK_ISF_E10value_typeEPSG_NS1_7vsmem_tEENKUlT_SE_SF_SG_E_clIS8_S8_S9_S9_EESD_ST_SE_SF_SG_EUlST_E0_NS1_11comp_targetILNS1_3genE4ELNS1_11target_archE910ELNS1_3gpuE8ELNS1_3repE0EEENS1_38merge_mergepath_config_static_selectorELNS0_4arch9wavefront6targetE0EEEvSF_.uses_flat_scratch, 0
	.set _ZN7rocprim17ROCPRIM_400000_NS6detail17trampoline_kernelINS0_14default_configENS1_38merge_sort_block_merge_config_selectorItNS0_10empty_typeEEEZZNS1_27merge_sort_block_merge_implIS3_PtPS5_jNS1_19radix_merge_compareILb0ELb0EtNS0_19identity_decomposerEEEEE10hipError_tT0_T1_T2_jT3_P12ihipStream_tbPNSt15iterator_traitsISE_E10value_typeEPNSK_ISF_E10value_typeEPSG_NS1_7vsmem_tEENKUlT_SE_SF_SG_E_clIS8_S8_S9_S9_EESD_ST_SE_SF_SG_EUlST_E0_NS1_11comp_targetILNS1_3genE4ELNS1_11target_archE910ELNS1_3gpuE8ELNS1_3repE0EEENS1_38merge_mergepath_config_static_selectorELNS0_4arch9wavefront6targetE0EEEvSF_.has_dyn_sized_stack, 0
	.set _ZN7rocprim17ROCPRIM_400000_NS6detail17trampoline_kernelINS0_14default_configENS1_38merge_sort_block_merge_config_selectorItNS0_10empty_typeEEEZZNS1_27merge_sort_block_merge_implIS3_PtPS5_jNS1_19radix_merge_compareILb0ELb0EtNS0_19identity_decomposerEEEEE10hipError_tT0_T1_T2_jT3_P12ihipStream_tbPNSt15iterator_traitsISE_E10value_typeEPNSK_ISF_E10value_typeEPSG_NS1_7vsmem_tEENKUlT_SE_SF_SG_E_clIS8_S8_S9_S9_EESD_ST_SE_SF_SG_EUlST_E0_NS1_11comp_targetILNS1_3genE4ELNS1_11target_archE910ELNS1_3gpuE8ELNS1_3repE0EEENS1_38merge_mergepath_config_static_selectorELNS0_4arch9wavefront6targetE0EEEvSF_.has_recursion, 0
	.set _ZN7rocprim17ROCPRIM_400000_NS6detail17trampoline_kernelINS0_14default_configENS1_38merge_sort_block_merge_config_selectorItNS0_10empty_typeEEEZZNS1_27merge_sort_block_merge_implIS3_PtPS5_jNS1_19radix_merge_compareILb0ELb0EtNS0_19identity_decomposerEEEEE10hipError_tT0_T1_T2_jT3_P12ihipStream_tbPNSt15iterator_traitsISE_E10value_typeEPNSK_ISF_E10value_typeEPSG_NS1_7vsmem_tEENKUlT_SE_SF_SG_E_clIS8_S8_S9_S9_EESD_ST_SE_SF_SG_EUlST_E0_NS1_11comp_targetILNS1_3genE4ELNS1_11target_archE910ELNS1_3gpuE8ELNS1_3repE0EEENS1_38merge_mergepath_config_static_selectorELNS0_4arch9wavefront6targetE0EEEvSF_.has_indirect_call, 0
	.section	.AMDGPU.csdata,"",@progbits
; Kernel info:
; codeLenInByte = 0
; TotalNumSgprs: 0
; NumVgprs: 0
; ScratchSize: 0
; MemoryBound: 0
; FloatMode: 240
; IeeeMode: 1
; LDSByteSize: 0 bytes/workgroup (compile time only)
; SGPRBlocks: 0
; VGPRBlocks: 0
; NumSGPRsForWavesPerEU: 1
; NumVGPRsForWavesPerEU: 1
; NamedBarCnt: 0
; Occupancy: 16
; WaveLimiterHint : 0
; COMPUTE_PGM_RSRC2:SCRATCH_EN: 0
; COMPUTE_PGM_RSRC2:USER_SGPR: 2
; COMPUTE_PGM_RSRC2:TRAP_HANDLER: 0
; COMPUTE_PGM_RSRC2:TGID_X_EN: 1
; COMPUTE_PGM_RSRC2:TGID_Y_EN: 0
; COMPUTE_PGM_RSRC2:TGID_Z_EN: 0
; COMPUTE_PGM_RSRC2:TIDIG_COMP_CNT: 0
	.section	.text._ZN7rocprim17ROCPRIM_400000_NS6detail17trampoline_kernelINS0_14default_configENS1_38merge_sort_block_merge_config_selectorItNS0_10empty_typeEEEZZNS1_27merge_sort_block_merge_implIS3_PtPS5_jNS1_19radix_merge_compareILb0ELb0EtNS0_19identity_decomposerEEEEE10hipError_tT0_T1_T2_jT3_P12ihipStream_tbPNSt15iterator_traitsISE_E10value_typeEPNSK_ISF_E10value_typeEPSG_NS1_7vsmem_tEENKUlT_SE_SF_SG_E_clIS8_S8_S9_S9_EESD_ST_SE_SF_SG_EUlST_E0_NS1_11comp_targetILNS1_3genE3ELNS1_11target_archE908ELNS1_3gpuE7ELNS1_3repE0EEENS1_38merge_mergepath_config_static_selectorELNS0_4arch9wavefront6targetE0EEEvSF_,"axG",@progbits,_ZN7rocprim17ROCPRIM_400000_NS6detail17trampoline_kernelINS0_14default_configENS1_38merge_sort_block_merge_config_selectorItNS0_10empty_typeEEEZZNS1_27merge_sort_block_merge_implIS3_PtPS5_jNS1_19radix_merge_compareILb0ELb0EtNS0_19identity_decomposerEEEEE10hipError_tT0_T1_T2_jT3_P12ihipStream_tbPNSt15iterator_traitsISE_E10value_typeEPNSK_ISF_E10value_typeEPSG_NS1_7vsmem_tEENKUlT_SE_SF_SG_E_clIS8_S8_S9_S9_EESD_ST_SE_SF_SG_EUlST_E0_NS1_11comp_targetILNS1_3genE3ELNS1_11target_archE908ELNS1_3gpuE7ELNS1_3repE0EEENS1_38merge_mergepath_config_static_selectorELNS0_4arch9wavefront6targetE0EEEvSF_,comdat
	.protected	_ZN7rocprim17ROCPRIM_400000_NS6detail17trampoline_kernelINS0_14default_configENS1_38merge_sort_block_merge_config_selectorItNS0_10empty_typeEEEZZNS1_27merge_sort_block_merge_implIS3_PtPS5_jNS1_19radix_merge_compareILb0ELb0EtNS0_19identity_decomposerEEEEE10hipError_tT0_T1_T2_jT3_P12ihipStream_tbPNSt15iterator_traitsISE_E10value_typeEPNSK_ISF_E10value_typeEPSG_NS1_7vsmem_tEENKUlT_SE_SF_SG_E_clIS8_S8_S9_S9_EESD_ST_SE_SF_SG_EUlST_E0_NS1_11comp_targetILNS1_3genE3ELNS1_11target_archE908ELNS1_3gpuE7ELNS1_3repE0EEENS1_38merge_mergepath_config_static_selectorELNS0_4arch9wavefront6targetE0EEEvSF_ ; -- Begin function _ZN7rocprim17ROCPRIM_400000_NS6detail17trampoline_kernelINS0_14default_configENS1_38merge_sort_block_merge_config_selectorItNS0_10empty_typeEEEZZNS1_27merge_sort_block_merge_implIS3_PtPS5_jNS1_19radix_merge_compareILb0ELb0EtNS0_19identity_decomposerEEEEE10hipError_tT0_T1_T2_jT3_P12ihipStream_tbPNSt15iterator_traitsISE_E10value_typeEPNSK_ISF_E10value_typeEPSG_NS1_7vsmem_tEENKUlT_SE_SF_SG_E_clIS8_S8_S9_S9_EESD_ST_SE_SF_SG_EUlST_E0_NS1_11comp_targetILNS1_3genE3ELNS1_11target_archE908ELNS1_3gpuE7ELNS1_3repE0EEENS1_38merge_mergepath_config_static_selectorELNS0_4arch9wavefront6targetE0EEEvSF_
	.globl	_ZN7rocprim17ROCPRIM_400000_NS6detail17trampoline_kernelINS0_14default_configENS1_38merge_sort_block_merge_config_selectorItNS0_10empty_typeEEEZZNS1_27merge_sort_block_merge_implIS3_PtPS5_jNS1_19radix_merge_compareILb0ELb0EtNS0_19identity_decomposerEEEEE10hipError_tT0_T1_T2_jT3_P12ihipStream_tbPNSt15iterator_traitsISE_E10value_typeEPNSK_ISF_E10value_typeEPSG_NS1_7vsmem_tEENKUlT_SE_SF_SG_E_clIS8_S8_S9_S9_EESD_ST_SE_SF_SG_EUlST_E0_NS1_11comp_targetILNS1_3genE3ELNS1_11target_archE908ELNS1_3gpuE7ELNS1_3repE0EEENS1_38merge_mergepath_config_static_selectorELNS0_4arch9wavefront6targetE0EEEvSF_
	.p2align	8
	.type	_ZN7rocprim17ROCPRIM_400000_NS6detail17trampoline_kernelINS0_14default_configENS1_38merge_sort_block_merge_config_selectorItNS0_10empty_typeEEEZZNS1_27merge_sort_block_merge_implIS3_PtPS5_jNS1_19radix_merge_compareILb0ELb0EtNS0_19identity_decomposerEEEEE10hipError_tT0_T1_T2_jT3_P12ihipStream_tbPNSt15iterator_traitsISE_E10value_typeEPNSK_ISF_E10value_typeEPSG_NS1_7vsmem_tEENKUlT_SE_SF_SG_E_clIS8_S8_S9_S9_EESD_ST_SE_SF_SG_EUlST_E0_NS1_11comp_targetILNS1_3genE3ELNS1_11target_archE908ELNS1_3gpuE7ELNS1_3repE0EEENS1_38merge_mergepath_config_static_selectorELNS0_4arch9wavefront6targetE0EEEvSF_,@function
_ZN7rocprim17ROCPRIM_400000_NS6detail17trampoline_kernelINS0_14default_configENS1_38merge_sort_block_merge_config_selectorItNS0_10empty_typeEEEZZNS1_27merge_sort_block_merge_implIS3_PtPS5_jNS1_19radix_merge_compareILb0ELb0EtNS0_19identity_decomposerEEEEE10hipError_tT0_T1_T2_jT3_P12ihipStream_tbPNSt15iterator_traitsISE_E10value_typeEPNSK_ISF_E10value_typeEPSG_NS1_7vsmem_tEENKUlT_SE_SF_SG_E_clIS8_S8_S9_S9_EESD_ST_SE_SF_SG_EUlST_E0_NS1_11comp_targetILNS1_3genE3ELNS1_11target_archE908ELNS1_3gpuE7ELNS1_3repE0EEENS1_38merge_mergepath_config_static_selectorELNS0_4arch9wavefront6targetE0EEEvSF_: ; @_ZN7rocprim17ROCPRIM_400000_NS6detail17trampoline_kernelINS0_14default_configENS1_38merge_sort_block_merge_config_selectorItNS0_10empty_typeEEEZZNS1_27merge_sort_block_merge_implIS3_PtPS5_jNS1_19radix_merge_compareILb0ELb0EtNS0_19identity_decomposerEEEEE10hipError_tT0_T1_T2_jT3_P12ihipStream_tbPNSt15iterator_traitsISE_E10value_typeEPNSK_ISF_E10value_typeEPSG_NS1_7vsmem_tEENKUlT_SE_SF_SG_E_clIS8_S8_S9_S9_EESD_ST_SE_SF_SG_EUlST_E0_NS1_11comp_targetILNS1_3genE3ELNS1_11target_archE908ELNS1_3gpuE7ELNS1_3repE0EEENS1_38merge_mergepath_config_static_selectorELNS0_4arch9wavefront6targetE0EEEvSF_
; %bb.0:
	.section	.rodata,"a",@progbits
	.p2align	6, 0x0
	.amdhsa_kernel _ZN7rocprim17ROCPRIM_400000_NS6detail17trampoline_kernelINS0_14default_configENS1_38merge_sort_block_merge_config_selectorItNS0_10empty_typeEEEZZNS1_27merge_sort_block_merge_implIS3_PtPS5_jNS1_19radix_merge_compareILb0ELb0EtNS0_19identity_decomposerEEEEE10hipError_tT0_T1_T2_jT3_P12ihipStream_tbPNSt15iterator_traitsISE_E10value_typeEPNSK_ISF_E10value_typeEPSG_NS1_7vsmem_tEENKUlT_SE_SF_SG_E_clIS8_S8_S9_S9_EESD_ST_SE_SF_SG_EUlST_E0_NS1_11comp_targetILNS1_3genE3ELNS1_11target_archE908ELNS1_3gpuE7ELNS1_3repE0EEENS1_38merge_mergepath_config_static_selectorELNS0_4arch9wavefront6targetE0EEEvSF_
		.amdhsa_group_segment_fixed_size 0
		.amdhsa_private_segment_fixed_size 0
		.amdhsa_kernarg_size 64
		.amdhsa_user_sgpr_count 2
		.amdhsa_user_sgpr_dispatch_ptr 0
		.amdhsa_user_sgpr_queue_ptr 0
		.amdhsa_user_sgpr_kernarg_segment_ptr 1
		.amdhsa_user_sgpr_dispatch_id 0
		.amdhsa_user_sgpr_kernarg_preload_length 0
		.amdhsa_user_sgpr_kernarg_preload_offset 0
		.amdhsa_user_sgpr_private_segment_size 0
		.amdhsa_wavefront_size32 1
		.amdhsa_uses_dynamic_stack 0
		.amdhsa_enable_private_segment 0
		.amdhsa_system_sgpr_workgroup_id_x 1
		.amdhsa_system_sgpr_workgroup_id_y 0
		.amdhsa_system_sgpr_workgroup_id_z 0
		.amdhsa_system_sgpr_workgroup_info 0
		.amdhsa_system_vgpr_workitem_id 0
		.amdhsa_next_free_vgpr 1
		.amdhsa_next_free_sgpr 1
		.amdhsa_named_barrier_count 0
		.amdhsa_reserve_vcc 0
		.amdhsa_float_round_mode_32 0
		.amdhsa_float_round_mode_16_64 0
		.amdhsa_float_denorm_mode_32 3
		.amdhsa_float_denorm_mode_16_64 3
		.amdhsa_fp16_overflow 0
		.amdhsa_memory_ordered 1
		.amdhsa_forward_progress 1
		.amdhsa_inst_pref_size 0
		.amdhsa_round_robin_scheduling 0
		.amdhsa_exception_fp_ieee_invalid_op 0
		.amdhsa_exception_fp_denorm_src 0
		.amdhsa_exception_fp_ieee_div_zero 0
		.amdhsa_exception_fp_ieee_overflow 0
		.amdhsa_exception_fp_ieee_underflow 0
		.amdhsa_exception_fp_ieee_inexact 0
		.amdhsa_exception_int_div_zero 0
	.end_amdhsa_kernel
	.section	.text._ZN7rocprim17ROCPRIM_400000_NS6detail17trampoline_kernelINS0_14default_configENS1_38merge_sort_block_merge_config_selectorItNS0_10empty_typeEEEZZNS1_27merge_sort_block_merge_implIS3_PtPS5_jNS1_19radix_merge_compareILb0ELb0EtNS0_19identity_decomposerEEEEE10hipError_tT0_T1_T2_jT3_P12ihipStream_tbPNSt15iterator_traitsISE_E10value_typeEPNSK_ISF_E10value_typeEPSG_NS1_7vsmem_tEENKUlT_SE_SF_SG_E_clIS8_S8_S9_S9_EESD_ST_SE_SF_SG_EUlST_E0_NS1_11comp_targetILNS1_3genE3ELNS1_11target_archE908ELNS1_3gpuE7ELNS1_3repE0EEENS1_38merge_mergepath_config_static_selectorELNS0_4arch9wavefront6targetE0EEEvSF_,"axG",@progbits,_ZN7rocprim17ROCPRIM_400000_NS6detail17trampoline_kernelINS0_14default_configENS1_38merge_sort_block_merge_config_selectorItNS0_10empty_typeEEEZZNS1_27merge_sort_block_merge_implIS3_PtPS5_jNS1_19radix_merge_compareILb0ELb0EtNS0_19identity_decomposerEEEEE10hipError_tT0_T1_T2_jT3_P12ihipStream_tbPNSt15iterator_traitsISE_E10value_typeEPNSK_ISF_E10value_typeEPSG_NS1_7vsmem_tEENKUlT_SE_SF_SG_E_clIS8_S8_S9_S9_EESD_ST_SE_SF_SG_EUlST_E0_NS1_11comp_targetILNS1_3genE3ELNS1_11target_archE908ELNS1_3gpuE7ELNS1_3repE0EEENS1_38merge_mergepath_config_static_selectorELNS0_4arch9wavefront6targetE0EEEvSF_,comdat
.Lfunc_end2443:
	.size	_ZN7rocprim17ROCPRIM_400000_NS6detail17trampoline_kernelINS0_14default_configENS1_38merge_sort_block_merge_config_selectorItNS0_10empty_typeEEEZZNS1_27merge_sort_block_merge_implIS3_PtPS5_jNS1_19radix_merge_compareILb0ELb0EtNS0_19identity_decomposerEEEEE10hipError_tT0_T1_T2_jT3_P12ihipStream_tbPNSt15iterator_traitsISE_E10value_typeEPNSK_ISF_E10value_typeEPSG_NS1_7vsmem_tEENKUlT_SE_SF_SG_E_clIS8_S8_S9_S9_EESD_ST_SE_SF_SG_EUlST_E0_NS1_11comp_targetILNS1_3genE3ELNS1_11target_archE908ELNS1_3gpuE7ELNS1_3repE0EEENS1_38merge_mergepath_config_static_selectorELNS0_4arch9wavefront6targetE0EEEvSF_, .Lfunc_end2443-_ZN7rocprim17ROCPRIM_400000_NS6detail17trampoline_kernelINS0_14default_configENS1_38merge_sort_block_merge_config_selectorItNS0_10empty_typeEEEZZNS1_27merge_sort_block_merge_implIS3_PtPS5_jNS1_19radix_merge_compareILb0ELb0EtNS0_19identity_decomposerEEEEE10hipError_tT0_T1_T2_jT3_P12ihipStream_tbPNSt15iterator_traitsISE_E10value_typeEPNSK_ISF_E10value_typeEPSG_NS1_7vsmem_tEENKUlT_SE_SF_SG_E_clIS8_S8_S9_S9_EESD_ST_SE_SF_SG_EUlST_E0_NS1_11comp_targetILNS1_3genE3ELNS1_11target_archE908ELNS1_3gpuE7ELNS1_3repE0EEENS1_38merge_mergepath_config_static_selectorELNS0_4arch9wavefront6targetE0EEEvSF_
                                        ; -- End function
	.set _ZN7rocprim17ROCPRIM_400000_NS6detail17trampoline_kernelINS0_14default_configENS1_38merge_sort_block_merge_config_selectorItNS0_10empty_typeEEEZZNS1_27merge_sort_block_merge_implIS3_PtPS5_jNS1_19radix_merge_compareILb0ELb0EtNS0_19identity_decomposerEEEEE10hipError_tT0_T1_T2_jT3_P12ihipStream_tbPNSt15iterator_traitsISE_E10value_typeEPNSK_ISF_E10value_typeEPSG_NS1_7vsmem_tEENKUlT_SE_SF_SG_E_clIS8_S8_S9_S9_EESD_ST_SE_SF_SG_EUlST_E0_NS1_11comp_targetILNS1_3genE3ELNS1_11target_archE908ELNS1_3gpuE7ELNS1_3repE0EEENS1_38merge_mergepath_config_static_selectorELNS0_4arch9wavefront6targetE0EEEvSF_.num_vgpr, 0
	.set _ZN7rocprim17ROCPRIM_400000_NS6detail17trampoline_kernelINS0_14default_configENS1_38merge_sort_block_merge_config_selectorItNS0_10empty_typeEEEZZNS1_27merge_sort_block_merge_implIS3_PtPS5_jNS1_19radix_merge_compareILb0ELb0EtNS0_19identity_decomposerEEEEE10hipError_tT0_T1_T2_jT3_P12ihipStream_tbPNSt15iterator_traitsISE_E10value_typeEPNSK_ISF_E10value_typeEPSG_NS1_7vsmem_tEENKUlT_SE_SF_SG_E_clIS8_S8_S9_S9_EESD_ST_SE_SF_SG_EUlST_E0_NS1_11comp_targetILNS1_3genE3ELNS1_11target_archE908ELNS1_3gpuE7ELNS1_3repE0EEENS1_38merge_mergepath_config_static_selectorELNS0_4arch9wavefront6targetE0EEEvSF_.num_agpr, 0
	.set _ZN7rocprim17ROCPRIM_400000_NS6detail17trampoline_kernelINS0_14default_configENS1_38merge_sort_block_merge_config_selectorItNS0_10empty_typeEEEZZNS1_27merge_sort_block_merge_implIS3_PtPS5_jNS1_19radix_merge_compareILb0ELb0EtNS0_19identity_decomposerEEEEE10hipError_tT0_T1_T2_jT3_P12ihipStream_tbPNSt15iterator_traitsISE_E10value_typeEPNSK_ISF_E10value_typeEPSG_NS1_7vsmem_tEENKUlT_SE_SF_SG_E_clIS8_S8_S9_S9_EESD_ST_SE_SF_SG_EUlST_E0_NS1_11comp_targetILNS1_3genE3ELNS1_11target_archE908ELNS1_3gpuE7ELNS1_3repE0EEENS1_38merge_mergepath_config_static_selectorELNS0_4arch9wavefront6targetE0EEEvSF_.numbered_sgpr, 0
	.set _ZN7rocprim17ROCPRIM_400000_NS6detail17trampoline_kernelINS0_14default_configENS1_38merge_sort_block_merge_config_selectorItNS0_10empty_typeEEEZZNS1_27merge_sort_block_merge_implIS3_PtPS5_jNS1_19radix_merge_compareILb0ELb0EtNS0_19identity_decomposerEEEEE10hipError_tT0_T1_T2_jT3_P12ihipStream_tbPNSt15iterator_traitsISE_E10value_typeEPNSK_ISF_E10value_typeEPSG_NS1_7vsmem_tEENKUlT_SE_SF_SG_E_clIS8_S8_S9_S9_EESD_ST_SE_SF_SG_EUlST_E0_NS1_11comp_targetILNS1_3genE3ELNS1_11target_archE908ELNS1_3gpuE7ELNS1_3repE0EEENS1_38merge_mergepath_config_static_selectorELNS0_4arch9wavefront6targetE0EEEvSF_.num_named_barrier, 0
	.set _ZN7rocprim17ROCPRIM_400000_NS6detail17trampoline_kernelINS0_14default_configENS1_38merge_sort_block_merge_config_selectorItNS0_10empty_typeEEEZZNS1_27merge_sort_block_merge_implIS3_PtPS5_jNS1_19radix_merge_compareILb0ELb0EtNS0_19identity_decomposerEEEEE10hipError_tT0_T1_T2_jT3_P12ihipStream_tbPNSt15iterator_traitsISE_E10value_typeEPNSK_ISF_E10value_typeEPSG_NS1_7vsmem_tEENKUlT_SE_SF_SG_E_clIS8_S8_S9_S9_EESD_ST_SE_SF_SG_EUlST_E0_NS1_11comp_targetILNS1_3genE3ELNS1_11target_archE908ELNS1_3gpuE7ELNS1_3repE0EEENS1_38merge_mergepath_config_static_selectorELNS0_4arch9wavefront6targetE0EEEvSF_.private_seg_size, 0
	.set _ZN7rocprim17ROCPRIM_400000_NS6detail17trampoline_kernelINS0_14default_configENS1_38merge_sort_block_merge_config_selectorItNS0_10empty_typeEEEZZNS1_27merge_sort_block_merge_implIS3_PtPS5_jNS1_19radix_merge_compareILb0ELb0EtNS0_19identity_decomposerEEEEE10hipError_tT0_T1_T2_jT3_P12ihipStream_tbPNSt15iterator_traitsISE_E10value_typeEPNSK_ISF_E10value_typeEPSG_NS1_7vsmem_tEENKUlT_SE_SF_SG_E_clIS8_S8_S9_S9_EESD_ST_SE_SF_SG_EUlST_E0_NS1_11comp_targetILNS1_3genE3ELNS1_11target_archE908ELNS1_3gpuE7ELNS1_3repE0EEENS1_38merge_mergepath_config_static_selectorELNS0_4arch9wavefront6targetE0EEEvSF_.uses_vcc, 0
	.set _ZN7rocprim17ROCPRIM_400000_NS6detail17trampoline_kernelINS0_14default_configENS1_38merge_sort_block_merge_config_selectorItNS0_10empty_typeEEEZZNS1_27merge_sort_block_merge_implIS3_PtPS5_jNS1_19radix_merge_compareILb0ELb0EtNS0_19identity_decomposerEEEEE10hipError_tT0_T1_T2_jT3_P12ihipStream_tbPNSt15iterator_traitsISE_E10value_typeEPNSK_ISF_E10value_typeEPSG_NS1_7vsmem_tEENKUlT_SE_SF_SG_E_clIS8_S8_S9_S9_EESD_ST_SE_SF_SG_EUlST_E0_NS1_11comp_targetILNS1_3genE3ELNS1_11target_archE908ELNS1_3gpuE7ELNS1_3repE0EEENS1_38merge_mergepath_config_static_selectorELNS0_4arch9wavefront6targetE0EEEvSF_.uses_flat_scratch, 0
	.set _ZN7rocprim17ROCPRIM_400000_NS6detail17trampoline_kernelINS0_14default_configENS1_38merge_sort_block_merge_config_selectorItNS0_10empty_typeEEEZZNS1_27merge_sort_block_merge_implIS3_PtPS5_jNS1_19radix_merge_compareILb0ELb0EtNS0_19identity_decomposerEEEEE10hipError_tT0_T1_T2_jT3_P12ihipStream_tbPNSt15iterator_traitsISE_E10value_typeEPNSK_ISF_E10value_typeEPSG_NS1_7vsmem_tEENKUlT_SE_SF_SG_E_clIS8_S8_S9_S9_EESD_ST_SE_SF_SG_EUlST_E0_NS1_11comp_targetILNS1_3genE3ELNS1_11target_archE908ELNS1_3gpuE7ELNS1_3repE0EEENS1_38merge_mergepath_config_static_selectorELNS0_4arch9wavefront6targetE0EEEvSF_.has_dyn_sized_stack, 0
	.set _ZN7rocprim17ROCPRIM_400000_NS6detail17trampoline_kernelINS0_14default_configENS1_38merge_sort_block_merge_config_selectorItNS0_10empty_typeEEEZZNS1_27merge_sort_block_merge_implIS3_PtPS5_jNS1_19radix_merge_compareILb0ELb0EtNS0_19identity_decomposerEEEEE10hipError_tT0_T1_T2_jT3_P12ihipStream_tbPNSt15iterator_traitsISE_E10value_typeEPNSK_ISF_E10value_typeEPSG_NS1_7vsmem_tEENKUlT_SE_SF_SG_E_clIS8_S8_S9_S9_EESD_ST_SE_SF_SG_EUlST_E0_NS1_11comp_targetILNS1_3genE3ELNS1_11target_archE908ELNS1_3gpuE7ELNS1_3repE0EEENS1_38merge_mergepath_config_static_selectorELNS0_4arch9wavefront6targetE0EEEvSF_.has_recursion, 0
	.set _ZN7rocprim17ROCPRIM_400000_NS6detail17trampoline_kernelINS0_14default_configENS1_38merge_sort_block_merge_config_selectorItNS0_10empty_typeEEEZZNS1_27merge_sort_block_merge_implIS3_PtPS5_jNS1_19radix_merge_compareILb0ELb0EtNS0_19identity_decomposerEEEEE10hipError_tT0_T1_T2_jT3_P12ihipStream_tbPNSt15iterator_traitsISE_E10value_typeEPNSK_ISF_E10value_typeEPSG_NS1_7vsmem_tEENKUlT_SE_SF_SG_E_clIS8_S8_S9_S9_EESD_ST_SE_SF_SG_EUlST_E0_NS1_11comp_targetILNS1_3genE3ELNS1_11target_archE908ELNS1_3gpuE7ELNS1_3repE0EEENS1_38merge_mergepath_config_static_selectorELNS0_4arch9wavefront6targetE0EEEvSF_.has_indirect_call, 0
	.section	.AMDGPU.csdata,"",@progbits
; Kernel info:
; codeLenInByte = 0
; TotalNumSgprs: 0
; NumVgprs: 0
; ScratchSize: 0
; MemoryBound: 0
; FloatMode: 240
; IeeeMode: 1
; LDSByteSize: 0 bytes/workgroup (compile time only)
; SGPRBlocks: 0
; VGPRBlocks: 0
; NumSGPRsForWavesPerEU: 1
; NumVGPRsForWavesPerEU: 1
; NamedBarCnt: 0
; Occupancy: 16
; WaveLimiterHint : 0
; COMPUTE_PGM_RSRC2:SCRATCH_EN: 0
; COMPUTE_PGM_RSRC2:USER_SGPR: 2
; COMPUTE_PGM_RSRC2:TRAP_HANDLER: 0
; COMPUTE_PGM_RSRC2:TGID_X_EN: 1
; COMPUTE_PGM_RSRC2:TGID_Y_EN: 0
; COMPUTE_PGM_RSRC2:TGID_Z_EN: 0
; COMPUTE_PGM_RSRC2:TIDIG_COMP_CNT: 0
	.section	.text._ZN7rocprim17ROCPRIM_400000_NS6detail17trampoline_kernelINS0_14default_configENS1_38merge_sort_block_merge_config_selectorItNS0_10empty_typeEEEZZNS1_27merge_sort_block_merge_implIS3_PtPS5_jNS1_19radix_merge_compareILb0ELb0EtNS0_19identity_decomposerEEEEE10hipError_tT0_T1_T2_jT3_P12ihipStream_tbPNSt15iterator_traitsISE_E10value_typeEPNSK_ISF_E10value_typeEPSG_NS1_7vsmem_tEENKUlT_SE_SF_SG_E_clIS8_S8_S9_S9_EESD_ST_SE_SF_SG_EUlST_E0_NS1_11comp_targetILNS1_3genE2ELNS1_11target_archE906ELNS1_3gpuE6ELNS1_3repE0EEENS1_38merge_mergepath_config_static_selectorELNS0_4arch9wavefront6targetE0EEEvSF_,"axG",@progbits,_ZN7rocprim17ROCPRIM_400000_NS6detail17trampoline_kernelINS0_14default_configENS1_38merge_sort_block_merge_config_selectorItNS0_10empty_typeEEEZZNS1_27merge_sort_block_merge_implIS3_PtPS5_jNS1_19radix_merge_compareILb0ELb0EtNS0_19identity_decomposerEEEEE10hipError_tT0_T1_T2_jT3_P12ihipStream_tbPNSt15iterator_traitsISE_E10value_typeEPNSK_ISF_E10value_typeEPSG_NS1_7vsmem_tEENKUlT_SE_SF_SG_E_clIS8_S8_S9_S9_EESD_ST_SE_SF_SG_EUlST_E0_NS1_11comp_targetILNS1_3genE2ELNS1_11target_archE906ELNS1_3gpuE6ELNS1_3repE0EEENS1_38merge_mergepath_config_static_selectorELNS0_4arch9wavefront6targetE0EEEvSF_,comdat
	.protected	_ZN7rocprim17ROCPRIM_400000_NS6detail17trampoline_kernelINS0_14default_configENS1_38merge_sort_block_merge_config_selectorItNS0_10empty_typeEEEZZNS1_27merge_sort_block_merge_implIS3_PtPS5_jNS1_19radix_merge_compareILb0ELb0EtNS0_19identity_decomposerEEEEE10hipError_tT0_T1_T2_jT3_P12ihipStream_tbPNSt15iterator_traitsISE_E10value_typeEPNSK_ISF_E10value_typeEPSG_NS1_7vsmem_tEENKUlT_SE_SF_SG_E_clIS8_S8_S9_S9_EESD_ST_SE_SF_SG_EUlST_E0_NS1_11comp_targetILNS1_3genE2ELNS1_11target_archE906ELNS1_3gpuE6ELNS1_3repE0EEENS1_38merge_mergepath_config_static_selectorELNS0_4arch9wavefront6targetE0EEEvSF_ ; -- Begin function _ZN7rocprim17ROCPRIM_400000_NS6detail17trampoline_kernelINS0_14default_configENS1_38merge_sort_block_merge_config_selectorItNS0_10empty_typeEEEZZNS1_27merge_sort_block_merge_implIS3_PtPS5_jNS1_19radix_merge_compareILb0ELb0EtNS0_19identity_decomposerEEEEE10hipError_tT0_T1_T2_jT3_P12ihipStream_tbPNSt15iterator_traitsISE_E10value_typeEPNSK_ISF_E10value_typeEPSG_NS1_7vsmem_tEENKUlT_SE_SF_SG_E_clIS8_S8_S9_S9_EESD_ST_SE_SF_SG_EUlST_E0_NS1_11comp_targetILNS1_3genE2ELNS1_11target_archE906ELNS1_3gpuE6ELNS1_3repE0EEENS1_38merge_mergepath_config_static_selectorELNS0_4arch9wavefront6targetE0EEEvSF_
	.globl	_ZN7rocprim17ROCPRIM_400000_NS6detail17trampoline_kernelINS0_14default_configENS1_38merge_sort_block_merge_config_selectorItNS0_10empty_typeEEEZZNS1_27merge_sort_block_merge_implIS3_PtPS5_jNS1_19radix_merge_compareILb0ELb0EtNS0_19identity_decomposerEEEEE10hipError_tT0_T1_T2_jT3_P12ihipStream_tbPNSt15iterator_traitsISE_E10value_typeEPNSK_ISF_E10value_typeEPSG_NS1_7vsmem_tEENKUlT_SE_SF_SG_E_clIS8_S8_S9_S9_EESD_ST_SE_SF_SG_EUlST_E0_NS1_11comp_targetILNS1_3genE2ELNS1_11target_archE906ELNS1_3gpuE6ELNS1_3repE0EEENS1_38merge_mergepath_config_static_selectorELNS0_4arch9wavefront6targetE0EEEvSF_
	.p2align	8
	.type	_ZN7rocprim17ROCPRIM_400000_NS6detail17trampoline_kernelINS0_14default_configENS1_38merge_sort_block_merge_config_selectorItNS0_10empty_typeEEEZZNS1_27merge_sort_block_merge_implIS3_PtPS5_jNS1_19radix_merge_compareILb0ELb0EtNS0_19identity_decomposerEEEEE10hipError_tT0_T1_T2_jT3_P12ihipStream_tbPNSt15iterator_traitsISE_E10value_typeEPNSK_ISF_E10value_typeEPSG_NS1_7vsmem_tEENKUlT_SE_SF_SG_E_clIS8_S8_S9_S9_EESD_ST_SE_SF_SG_EUlST_E0_NS1_11comp_targetILNS1_3genE2ELNS1_11target_archE906ELNS1_3gpuE6ELNS1_3repE0EEENS1_38merge_mergepath_config_static_selectorELNS0_4arch9wavefront6targetE0EEEvSF_,@function
_ZN7rocprim17ROCPRIM_400000_NS6detail17trampoline_kernelINS0_14default_configENS1_38merge_sort_block_merge_config_selectorItNS0_10empty_typeEEEZZNS1_27merge_sort_block_merge_implIS3_PtPS5_jNS1_19radix_merge_compareILb0ELb0EtNS0_19identity_decomposerEEEEE10hipError_tT0_T1_T2_jT3_P12ihipStream_tbPNSt15iterator_traitsISE_E10value_typeEPNSK_ISF_E10value_typeEPSG_NS1_7vsmem_tEENKUlT_SE_SF_SG_E_clIS8_S8_S9_S9_EESD_ST_SE_SF_SG_EUlST_E0_NS1_11comp_targetILNS1_3genE2ELNS1_11target_archE906ELNS1_3gpuE6ELNS1_3repE0EEENS1_38merge_mergepath_config_static_selectorELNS0_4arch9wavefront6targetE0EEEvSF_: ; @_ZN7rocprim17ROCPRIM_400000_NS6detail17trampoline_kernelINS0_14default_configENS1_38merge_sort_block_merge_config_selectorItNS0_10empty_typeEEEZZNS1_27merge_sort_block_merge_implIS3_PtPS5_jNS1_19radix_merge_compareILb0ELb0EtNS0_19identity_decomposerEEEEE10hipError_tT0_T1_T2_jT3_P12ihipStream_tbPNSt15iterator_traitsISE_E10value_typeEPNSK_ISF_E10value_typeEPSG_NS1_7vsmem_tEENKUlT_SE_SF_SG_E_clIS8_S8_S9_S9_EESD_ST_SE_SF_SG_EUlST_E0_NS1_11comp_targetILNS1_3genE2ELNS1_11target_archE906ELNS1_3gpuE6ELNS1_3repE0EEENS1_38merge_mergepath_config_static_selectorELNS0_4arch9wavefront6targetE0EEEvSF_
; %bb.0:
	.section	.rodata,"a",@progbits
	.p2align	6, 0x0
	.amdhsa_kernel _ZN7rocprim17ROCPRIM_400000_NS6detail17trampoline_kernelINS0_14default_configENS1_38merge_sort_block_merge_config_selectorItNS0_10empty_typeEEEZZNS1_27merge_sort_block_merge_implIS3_PtPS5_jNS1_19radix_merge_compareILb0ELb0EtNS0_19identity_decomposerEEEEE10hipError_tT0_T1_T2_jT3_P12ihipStream_tbPNSt15iterator_traitsISE_E10value_typeEPNSK_ISF_E10value_typeEPSG_NS1_7vsmem_tEENKUlT_SE_SF_SG_E_clIS8_S8_S9_S9_EESD_ST_SE_SF_SG_EUlST_E0_NS1_11comp_targetILNS1_3genE2ELNS1_11target_archE906ELNS1_3gpuE6ELNS1_3repE0EEENS1_38merge_mergepath_config_static_selectorELNS0_4arch9wavefront6targetE0EEEvSF_
		.amdhsa_group_segment_fixed_size 0
		.amdhsa_private_segment_fixed_size 0
		.amdhsa_kernarg_size 64
		.amdhsa_user_sgpr_count 2
		.amdhsa_user_sgpr_dispatch_ptr 0
		.amdhsa_user_sgpr_queue_ptr 0
		.amdhsa_user_sgpr_kernarg_segment_ptr 1
		.amdhsa_user_sgpr_dispatch_id 0
		.amdhsa_user_sgpr_kernarg_preload_length 0
		.amdhsa_user_sgpr_kernarg_preload_offset 0
		.amdhsa_user_sgpr_private_segment_size 0
		.amdhsa_wavefront_size32 1
		.amdhsa_uses_dynamic_stack 0
		.amdhsa_enable_private_segment 0
		.amdhsa_system_sgpr_workgroup_id_x 1
		.amdhsa_system_sgpr_workgroup_id_y 0
		.amdhsa_system_sgpr_workgroup_id_z 0
		.amdhsa_system_sgpr_workgroup_info 0
		.amdhsa_system_vgpr_workitem_id 0
		.amdhsa_next_free_vgpr 1
		.amdhsa_next_free_sgpr 1
		.amdhsa_named_barrier_count 0
		.amdhsa_reserve_vcc 0
		.amdhsa_float_round_mode_32 0
		.amdhsa_float_round_mode_16_64 0
		.amdhsa_float_denorm_mode_32 3
		.amdhsa_float_denorm_mode_16_64 3
		.amdhsa_fp16_overflow 0
		.amdhsa_memory_ordered 1
		.amdhsa_forward_progress 1
		.amdhsa_inst_pref_size 0
		.amdhsa_round_robin_scheduling 0
		.amdhsa_exception_fp_ieee_invalid_op 0
		.amdhsa_exception_fp_denorm_src 0
		.amdhsa_exception_fp_ieee_div_zero 0
		.amdhsa_exception_fp_ieee_overflow 0
		.amdhsa_exception_fp_ieee_underflow 0
		.amdhsa_exception_fp_ieee_inexact 0
		.amdhsa_exception_int_div_zero 0
	.end_amdhsa_kernel
	.section	.text._ZN7rocprim17ROCPRIM_400000_NS6detail17trampoline_kernelINS0_14default_configENS1_38merge_sort_block_merge_config_selectorItNS0_10empty_typeEEEZZNS1_27merge_sort_block_merge_implIS3_PtPS5_jNS1_19radix_merge_compareILb0ELb0EtNS0_19identity_decomposerEEEEE10hipError_tT0_T1_T2_jT3_P12ihipStream_tbPNSt15iterator_traitsISE_E10value_typeEPNSK_ISF_E10value_typeEPSG_NS1_7vsmem_tEENKUlT_SE_SF_SG_E_clIS8_S8_S9_S9_EESD_ST_SE_SF_SG_EUlST_E0_NS1_11comp_targetILNS1_3genE2ELNS1_11target_archE906ELNS1_3gpuE6ELNS1_3repE0EEENS1_38merge_mergepath_config_static_selectorELNS0_4arch9wavefront6targetE0EEEvSF_,"axG",@progbits,_ZN7rocprim17ROCPRIM_400000_NS6detail17trampoline_kernelINS0_14default_configENS1_38merge_sort_block_merge_config_selectorItNS0_10empty_typeEEEZZNS1_27merge_sort_block_merge_implIS3_PtPS5_jNS1_19radix_merge_compareILb0ELb0EtNS0_19identity_decomposerEEEEE10hipError_tT0_T1_T2_jT3_P12ihipStream_tbPNSt15iterator_traitsISE_E10value_typeEPNSK_ISF_E10value_typeEPSG_NS1_7vsmem_tEENKUlT_SE_SF_SG_E_clIS8_S8_S9_S9_EESD_ST_SE_SF_SG_EUlST_E0_NS1_11comp_targetILNS1_3genE2ELNS1_11target_archE906ELNS1_3gpuE6ELNS1_3repE0EEENS1_38merge_mergepath_config_static_selectorELNS0_4arch9wavefront6targetE0EEEvSF_,comdat
.Lfunc_end2444:
	.size	_ZN7rocprim17ROCPRIM_400000_NS6detail17trampoline_kernelINS0_14default_configENS1_38merge_sort_block_merge_config_selectorItNS0_10empty_typeEEEZZNS1_27merge_sort_block_merge_implIS3_PtPS5_jNS1_19radix_merge_compareILb0ELb0EtNS0_19identity_decomposerEEEEE10hipError_tT0_T1_T2_jT3_P12ihipStream_tbPNSt15iterator_traitsISE_E10value_typeEPNSK_ISF_E10value_typeEPSG_NS1_7vsmem_tEENKUlT_SE_SF_SG_E_clIS8_S8_S9_S9_EESD_ST_SE_SF_SG_EUlST_E0_NS1_11comp_targetILNS1_3genE2ELNS1_11target_archE906ELNS1_3gpuE6ELNS1_3repE0EEENS1_38merge_mergepath_config_static_selectorELNS0_4arch9wavefront6targetE0EEEvSF_, .Lfunc_end2444-_ZN7rocprim17ROCPRIM_400000_NS6detail17trampoline_kernelINS0_14default_configENS1_38merge_sort_block_merge_config_selectorItNS0_10empty_typeEEEZZNS1_27merge_sort_block_merge_implIS3_PtPS5_jNS1_19radix_merge_compareILb0ELb0EtNS0_19identity_decomposerEEEEE10hipError_tT0_T1_T2_jT3_P12ihipStream_tbPNSt15iterator_traitsISE_E10value_typeEPNSK_ISF_E10value_typeEPSG_NS1_7vsmem_tEENKUlT_SE_SF_SG_E_clIS8_S8_S9_S9_EESD_ST_SE_SF_SG_EUlST_E0_NS1_11comp_targetILNS1_3genE2ELNS1_11target_archE906ELNS1_3gpuE6ELNS1_3repE0EEENS1_38merge_mergepath_config_static_selectorELNS0_4arch9wavefront6targetE0EEEvSF_
                                        ; -- End function
	.set _ZN7rocprim17ROCPRIM_400000_NS6detail17trampoline_kernelINS0_14default_configENS1_38merge_sort_block_merge_config_selectorItNS0_10empty_typeEEEZZNS1_27merge_sort_block_merge_implIS3_PtPS5_jNS1_19radix_merge_compareILb0ELb0EtNS0_19identity_decomposerEEEEE10hipError_tT0_T1_T2_jT3_P12ihipStream_tbPNSt15iterator_traitsISE_E10value_typeEPNSK_ISF_E10value_typeEPSG_NS1_7vsmem_tEENKUlT_SE_SF_SG_E_clIS8_S8_S9_S9_EESD_ST_SE_SF_SG_EUlST_E0_NS1_11comp_targetILNS1_3genE2ELNS1_11target_archE906ELNS1_3gpuE6ELNS1_3repE0EEENS1_38merge_mergepath_config_static_selectorELNS0_4arch9wavefront6targetE0EEEvSF_.num_vgpr, 0
	.set _ZN7rocprim17ROCPRIM_400000_NS6detail17trampoline_kernelINS0_14default_configENS1_38merge_sort_block_merge_config_selectorItNS0_10empty_typeEEEZZNS1_27merge_sort_block_merge_implIS3_PtPS5_jNS1_19radix_merge_compareILb0ELb0EtNS0_19identity_decomposerEEEEE10hipError_tT0_T1_T2_jT3_P12ihipStream_tbPNSt15iterator_traitsISE_E10value_typeEPNSK_ISF_E10value_typeEPSG_NS1_7vsmem_tEENKUlT_SE_SF_SG_E_clIS8_S8_S9_S9_EESD_ST_SE_SF_SG_EUlST_E0_NS1_11comp_targetILNS1_3genE2ELNS1_11target_archE906ELNS1_3gpuE6ELNS1_3repE0EEENS1_38merge_mergepath_config_static_selectorELNS0_4arch9wavefront6targetE0EEEvSF_.num_agpr, 0
	.set _ZN7rocprim17ROCPRIM_400000_NS6detail17trampoline_kernelINS0_14default_configENS1_38merge_sort_block_merge_config_selectorItNS0_10empty_typeEEEZZNS1_27merge_sort_block_merge_implIS3_PtPS5_jNS1_19radix_merge_compareILb0ELb0EtNS0_19identity_decomposerEEEEE10hipError_tT0_T1_T2_jT3_P12ihipStream_tbPNSt15iterator_traitsISE_E10value_typeEPNSK_ISF_E10value_typeEPSG_NS1_7vsmem_tEENKUlT_SE_SF_SG_E_clIS8_S8_S9_S9_EESD_ST_SE_SF_SG_EUlST_E0_NS1_11comp_targetILNS1_3genE2ELNS1_11target_archE906ELNS1_3gpuE6ELNS1_3repE0EEENS1_38merge_mergepath_config_static_selectorELNS0_4arch9wavefront6targetE0EEEvSF_.numbered_sgpr, 0
	.set _ZN7rocprim17ROCPRIM_400000_NS6detail17trampoline_kernelINS0_14default_configENS1_38merge_sort_block_merge_config_selectorItNS0_10empty_typeEEEZZNS1_27merge_sort_block_merge_implIS3_PtPS5_jNS1_19radix_merge_compareILb0ELb0EtNS0_19identity_decomposerEEEEE10hipError_tT0_T1_T2_jT3_P12ihipStream_tbPNSt15iterator_traitsISE_E10value_typeEPNSK_ISF_E10value_typeEPSG_NS1_7vsmem_tEENKUlT_SE_SF_SG_E_clIS8_S8_S9_S9_EESD_ST_SE_SF_SG_EUlST_E0_NS1_11comp_targetILNS1_3genE2ELNS1_11target_archE906ELNS1_3gpuE6ELNS1_3repE0EEENS1_38merge_mergepath_config_static_selectorELNS0_4arch9wavefront6targetE0EEEvSF_.num_named_barrier, 0
	.set _ZN7rocprim17ROCPRIM_400000_NS6detail17trampoline_kernelINS0_14default_configENS1_38merge_sort_block_merge_config_selectorItNS0_10empty_typeEEEZZNS1_27merge_sort_block_merge_implIS3_PtPS5_jNS1_19radix_merge_compareILb0ELb0EtNS0_19identity_decomposerEEEEE10hipError_tT0_T1_T2_jT3_P12ihipStream_tbPNSt15iterator_traitsISE_E10value_typeEPNSK_ISF_E10value_typeEPSG_NS1_7vsmem_tEENKUlT_SE_SF_SG_E_clIS8_S8_S9_S9_EESD_ST_SE_SF_SG_EUlST_E0_NS1_11comp_targetILNS1_3genE2ELNS1_11target_archE906ELNS1_3gpuE6ELNS1_3repE0EEENS1_38merge_mergepath_config_static_selectorELNS0_4arch9wavefront6targetE0EEEvSF_.private_seg_size, 0
	.set _ZN7rocprim17ROCPRIM_400000_NS6detail17trampoline_kernelINS0_14default_configENS1_38merge_sort_block_merge_config_selectorItNS0_10empty_typeEEEZZNS1_27merge_sort_block_merge_implIS3_PtPS5_jNS1_19radix_merge_compareILb0ELb0EtNS0_19identity_decomposerEEEEE10hipError_tT0_T1_T2_jT3_P12ihipStream_tbPNSt15iterator_traitsISE_E10value_typeEPNSK_ISF_E10value_typeEPSG_NS1_7vsmem_tEENKUlT_SE_SF_SG_E_clIS8_S8_S9_S9_EESD_ST_SE_SF_SG_EUlST_E0_NS1_11comp_targetILNS1_3genE2ELNS1_11target_archE906ELNS1_3gpuE6ELNS1_3repE0EEENS1_38merge_mergepath_config_static_selectorELNS0_4arch9wavefront6targetE0EEEvSF_.uses_vcc, 0
	.set _ZN7rocprim17ROCPRIM_400000_NS6detail17trampoline_kernelINS0_14default_configENS1_38merge_sort_block_merge_config_selectorItNS0_10empty_typeEEEZZNS1_27merge_sort_block_merge_implIS3_PtPS5_jNS1_19radix_merge_compareILb0ELb0EtNS0_19identity_decomposerEEEEE10hipError_tT0_T1_T2_jT3_P12ihipStream_tbPNSt15iterator_traitsISE_E10value_typeEPNSK_ISF_E10value_typeEPSG_NS1_7vsmem_tEENKUlT_SE_SF_SG_E_clIS8_S8_S9_S9_EESD_ST_SE_SF_SG_EUlST_E0_NS1_11comp_targetILNS1_3genE2ELNS1_11target_archE906ELNS1_3gpuE6ELNS1_3repE0EEENS1_38merge_mergepath_config_static_selectorELNS0_4arch9wavefront6targetE0EEEvSF_.uses_flat_scratch, 0
	.set _ZN7rocprim17ROCPRIM_400000_NS6detail17trampoline_kernelINS0_14default_configENS1_38merge_sort_block_merge_config_selectorItNS0_10empty_typeEEEZZNS1_27merge_sort_block_merge_implIS3_PtPS5_jNS1_19radix_merge_compareILb0ELb0EtNS0_19identity_decomposerEEEEE10hipError_tT0_T1_T2_jT3_P12ihipStream_tbPNSt15iterator_traitsISE_E10value_typeEPNSK_ISF_E10value_typeEPSG_NS1_7vsmem_tEENKUlT_SE_SF_SG_E_clIS8_S8_S9_S9_EESD_ST_SE_SF_SG_EUlST_E0_NS1_11comp_targetILNS1_3genE2ELNS1_11target_archE906ELNS1_3gpuE6ELNS1_3repE0EEENS1_38merge_mergepath_config_static_selectorELNS0_4arch9wavefront6targetE0EEEvSF_.has_dyn_sized_stack, 0
	.set _ZN7rocprim17ROCPRIM_400000_NS6detail17trampoline_kernelINS0_14default_configENS1_38merge_sort_block_merge_config_selectorItNS0_10empty_typeEEEZZNS1_27merge_sort_block_merge_implIS3_PtPS5_jNS1_19radix_merge_compareILb0ELb0EtNS0_19identity_decomposerEEEEE10hipError_tT0_T1_T2_jT3_P12ihipStream_tbPNSt15iterator_traitsISE_E10value_typeEPNSK_ISF_E10value_typeEPSG_NS1_7vsmem_tEENKUlT_SE_SF_SG_E_clIS8_S8_S9_S9_EESD_ST_SE_SF_SG_EUlST_E0_NS1_11comp_targetILNS1_3genE2ELNS1_11target_archE906ELNS1_3gpuE6ELNS1_3repE0EEENS1_38merge_mergepath_config_static_selectorELNS0_4arch9wavefront6targetE0EEEvSF_.has_recursion, 0
	.set _ZN7rocprim17ROCPRIM_400000_NS6detail17trampoline_kernelINS0_14default_configENS1_38merge_sort_block_merge_config_selectorItNS0_10empty_typeEEEZZNS1_27merge_sort_block_merge_implIS3_PtPS5_jNS1_19radix_merge_compareILb0ELb0EtNS0_19identity_decomposerEEEEE10hipError_tT0_T1_T2_jT3_P12ihipStream_tbPNSt15iterator_traitsISE_E10value_typeEPNSK_ISF_E10value_typeEPSG_NS1_7vsmem_tEENKUlT_SE_SF_SG_E_clIS8_S8_S9_S9_EESD_ST_SE_SF_SG_EUlST_E0_NS1_11comp_targetILNS1_3genE2ELNS1_11target_archE906ELNS1_3gpuE6ELNS1_3repE0EEENS1_38merge_mergepath_config_static_selectorELNS0_4arch9wavefront6targetE0EEEvSF_.has_indirect_call, 0
	.section	.AMDGPU.csdata,"",@progbits
; Kernel info:
; codeLenInByte = 0
; TotalNumSgprs: 0
; NumVgprs: 0
; ScratchSize: 0
; MemoryBound: 0
; FloatMode: 240
; IeeeMode: 1
; LDSByteSize: 0 bytes/workgroup (compile time only)
; SGPRBlocks: 0
; VGPRBlocks: 0
; NumSGPRsForWavesPerEU: 1
; NumVGPRsForWavesPerEU: 1
; NamedBarCnt: 0
; Occupancy: 16
; WaveLimiterHint : 0
; COMPUTE_PGM_RSRC2:SCRATCH_EN: 0
; COMPUTE_PGM_RSRC2:USER_SGPR: 2
; COMPUTE_PGM_RSRC2:TRAP_HANDLER: 0
; COMPUTE_PGM_RSRC2:TGID_X_EN: 1
; COMPUTE_PGM_RSRC2:TGID_Y_EN: 0
; COMPUTE_PGM_RSRC2:TGID_Z_EN: 0
; COMPUTE_PGM_RSRC2:TIDIG_COMP_CNT: 0
	.section	.text._ZN7rocprim17ROCPRIM_400000_NS6detail17trampoline_kernelINS0_14default_configENS1_38merge_sort_block_merge_config_selectorItNS0_10empty_typeEEEZZNS1_27merge_sort_block_merge_implIS3_PtPS5_jNS1_19radix_merge_compareILb0ELb0EtNS0_19identity_decomposerEEEEE10hipError_tT0_T1_T2_jT3_P12ihipStream_tbPNSt15iterator_traitsISE_E10value_typeEPNSK_ISF_E10value_typeEPSG_NS1_7vsmem_tEENKUlT_SE_SF_SG_E_clIS8_S8_S9_S9_EESD_ST_SE_SF_SG_EUlST_E0_NS1_11comp_targetILNS1_3genE9ELNS1_11target_archE1100ELNS1_3gpuE3ELNS1_3repE0EEENS1_38merge_mergepath_config_static_selectorELNS0_4arch9wavefront6targetE0EEEvSF_,"axG",@progbits,_ZN7rocprim17ROCPRIM_400000_NS6detail17trampoline_kernelINS0_14default_configENS1_38merge_sort_block_merge_config_selectorItNS0_10empty_typeEEEZZNS1_27merge_sort_block_merge_implIS3_PtPS5_jNS1_19radix_merge_compareILb0ELb0EtNS0_19identity_decomposerEEEEE10hipError_tT0_T1_T2_jT3_P12ihipStream_tbPNSt15iterator_traitsISE_E10value_typeEPNSK_ISF_E10value_typeEPSG_NS1_7vsmem_tEENKUlT_SE_SF_SG_E_clIS8_S8_S9_S9_EESD_ST_SE_SF_SG_EUlST_E0_NS1_11comp_targetILNS1_3genE9ELNS1_11target_archE1100ELNS1_3gpuE3ELNS1_3repE0EEENS1_38merge_mergepath_config_static_selectorELNS0_4arch9wavefront6targetE0EEEvSF_,comdat
	.protected	_ZN7rocprim17ROCPRIM_400000_NS6detail17trampoline_kernelINS0_14default_configENS1_38merge_sort_block_merge_config_selectorItNS0_10empty_typeEEEZZNS1_27merge_sort_block_merge_implIS3_PtPS5_jNS1_19radix_merge_compareILb0ELb0EtNS0_19identity_decomposerEEEEE10hipError_tT0_T1_T2_jT3_P12ihipStream_tbPNSt15iterator_traitsISE_E10value_typeEPNSK_ISF_E10value_typeEPSG_NS1_7vsmem_tEENKUlT_SE_SF_SG_E_clIS8_S8_S9_S9_EESD_ST_SE_SF_SG_EUlST_E0_NS1_11comp_targetILNS1_3genE9ELNS1_11target_archE1100ELNS1_3gpuE3ELNS1_3repE0EEENS1_38merge_mergepath_config_static_selectorELNS0_4arch9wavefront6targetE0EEEvSF_ ; -- Begin function _ZN7rocprim17ROCPRIM_400000_NS6detail17trampoline_kernelINS0_14default_configENS1_38merge_sort_block_merge_config_selectorItNS0_10empty_typeEEEZZNS1_27merge_sort_block_merge_implIS3_PtPS5_jNS1_19radix_merge_compareILb0ELb0EtNS0_19identity_decomposerEEEEE10hipError_tT0_T1_T2_jT3_P12ihipStream_tbPNSt15iterator_traitsISE_E10value_typeEPNSK_ISF_E10value_typeEPSG_NS1_7vsmem_tEENKUlT_SE_SF_SG_E_clIS8_S8_S9_S9_EESD_ST_SE_SF_SG_EUlST_E0_NS1_11comp_targetILNS1_3genE9ELNS1_11target_archE1100ELNS1_3gpuE3ELNS1_3repE0EEENS1_38merge_mergepath_config_static_selectorELNS0_4arch9wavefront6targetE0EEEvSF_
	.globl	_ZN7rocprim17ROCPRIM_400000_NS6detail17trampoline_kernelINS0_14default_configENS1_38merge_sort_block_merge_config_selectorItNS0_10empty_typeEEEZZNS1_27merge_sort_block_merge_implIS3_PtPS5_jNS1_19radix_merge_compareILb0ELb0EtNS0_19identity_decomposerEEEEE10hipError_tT0_T1_T2_jT3_P12ihipStream_tbPNSt15iterator_traitsISE_E10value_typeEPNSK_ISF_E10value_typeEPSG_NS1_7vsmem_tEENKUlT_SE_SF_SG_E_clIS8_S8_S9_S9_EESD_ST_SE_SF_SG_EUlST_E0_NS1_11comp_targetILNS1_3genE9ELNS1_11target_archE1100ELNS1_3gpuE3ELNS1_3repE0EEENS1_38merge_mergepath_config_static_selectorELNS0_4arch9wavefront6targetE0EEEvSF_
	.p2align	8
	.type	_ZN7rocprim17ROCPRIM_400000_NS6detail17trampoline_kernelINS0_14default_configENS1_38merge_sort_block_merge_config_selectorItNS0_10empty_typeEEEZZNS1_27merge_sort_block_merge_implIS3_PtPS5_jNS1_19radix_merge_compareILb0ELb0EtNS0_19identity_decomposerEEEEE10hipError_tT0_T1_T2_jT3_P12ihipStream_tbPNSt15iterator_traitsISE_E10value_typeEPNSK_ISF_E10value_typeEPSG_NS1_7vsmem_tEENKUlT_SE_SF_SG_E_clIS8_S8_S9_S9_EESD_ST_SE_SF_SG_EUlST_E0_NS1_11comp_targetILNS1_3genE9ELNS1_11target_archE1100ELNS1_3gpuE3ELNS1_3repE0EEENS1_38merge_mergepath_config_static_selectorELNS0_4arch9wavefront6targetE0EEEvSF_,@function
_ZN7rocprim17ROCPRIM_400000_NS6detail17trampoline_kernelINS0_14default_configENS1_38merge_sort_block_merge_config_selectorItNS0_10empty_typeEEEZZNS1_27merge_sort_block_merge_implIS3_PtPS5_jNS1_19radix_merge_compareILb0ELb0EtNS0_19identity_decomposerEEEEE10hipError_tT0_T1_T2_jT3_P12ihipStream_tbPNSt15iterator_traitsISE_E10value_typeEPNSK_ISF_E10value_typeEPSG_NS1_7vsmem_tEENKUlT_SE_SF_SG_E_clIS8_S8_S9_S9_EESD_ST_SE_SF_SG_EUlST_E0_NS1_11comp_targetILNS1_3genE9ELNS1_11target_archE1100ELNS1_3gpuE3ELNS1_3repE0EEENS1_38merge_mergepath_config_static_selectorELNS0_4arch9wavefront6targetE0EEEvSF_: ; @_ZN7rocprim17ROCPRIM_400000_NS6detail17trampoline_kernelINS0_14default_configENS1_38merge_sort_block_merge_config_selectorItNS0_10empty_typeEEEZZNS1_27merge_sort_block_merge_implIS3_PtPS5_jNS1_19radix_merge_compareILb0ELb0EtNS0_19identity_decomposerEEEEE10hipError_tT0_T1_T2_jT3_P12ihipStream_tbPNSt15iterator_traitsISE_E10value_typeEPNSK_ISF_E10value_typeEPSG_NS1_7vsmem_tEENKUlT_SE_SF_SG_E_clIS8_S8_S9_S9_EESD_ST_SE_SF_SG_EUlST_E0_NS1_11comp_targetILNS1_3genE9ELNS1_11target_archE1100ELNS1_3gpuE3ELNS1_3repE0EEENS1_38merge_mergepath_config_static_selectorELNS0_4arch9wavefront6targetE0EEEvSF_
; %bb.0:
	.section	.rodata,"a",@progbits
	.p2align	6, 0x0
	.amdhsa_kernel _ZN7rocprim17ROCPRIM_400000_NS6detail17trampoline_kernelINS0_14default_configENS1_38merge_sort_block_merge_config_selectorItNS0_10empty_typeEEEZZNS1_27merge_sort_block_merge_implIS3_PtPS5_jNS1_19radix_merge_compareILb0ELb0EtNS0_19identity_decomposerEEEEE10hipError_tT0_T1_T2_jT3_P12ihipStream_tbPNSt15iterator_traitsISE_E10value_typeEPNSK_ISF_E10value_typeEPSG_NS1_7vsmem_tEENKUlT_SE_SF_SG_E_clIS8_S8_S9_S9_EESD_ST_SE_SF_SG_EUlST_E0_NS1_11comp_targetILNS1_3genE9ELNS1_11target_archE1100ELNS1_3gpuE3ELNS1_3repE0EEENS1_38merge_mergepath_config_static_selectorELNS0_4arch9wavefront6targetE0EEEvSF_
		.amdhsa_group_segment_fixed_size 0
		.amdhsa_private_segment_fixed_size 0
		.amdhsa_kernarg_size 64
		.amdhsa_user_sgpr_count 2
		.amdhsa_user_sgpr_dispatch_ptr 0
		.amdhsa_user_sgpr_queue_ptr 0
		.amdhsa_user_sgpr_kernarg_segment_ptr 1
		.amdhsa_user_sgpr_dispatch_id 0
		.amdhsa_user_sgpr_kernarg_preload_length 0
		.amdhsa_user_sgpr_kernarg_preload_offset 0
		.amdhsa_user_sgpr_private_segment_size 0
		.amdhsa_wavefront_size32 1
		.amdhsa_uses_dynamic_stack 0
		.amdhsa_enable_private_segment 0
		.amdhsa_system_sgpr_workgroup_id_x 1
		.amdhsa_system_sgpr_workgroup_id_y 0
		.amdhsa_system_sgpr_workgroup_id_z 0
		.amdhsa_system_sgpr_workgroup_info 0
		.amdhsa_system_vgpr_workitem_id 0
		.amdhsa_next_free_vgpr 1
		.amdhsa_next_free_sgpr 1
		.amdhsa_named_barrier_count 0
		.amdhsa_reserve_vcc 0
		.amdhsa_float_round_mode_32 0
		.amdhsa_float_round_mode_16_64 0
		.amdhsa_float_denorm_mode_32 3
		.amdhsa_float_denorm_mode_16_64 3
		.amdhsa_fp16_overflow 0
		.amdhsa_memory_ordered 1
		.amdhsa_forward_progress 1
		.amdhsa_inst_pref_size 0
		.amdhsa_round_robin_scheduling 0
		.amdhsa_exception_fp_ieee_invalid_op 0
		.amdhsa_exception_fp_denorm_src 0
		.amdhsa_exception_fp_ieee_div_zero 0
		.amdhsa_exception_fp_ieee_overflow 0
		.amdhsa_exception_fp_ieee_underflow 0
		.amdhsa_exception_fp_ieee_inexact 0
		.amdhsa_exception_int_div_zero 0
	.end_amdhsa_kernel
	.section	.text._ZN7rocprim17ROCPRIM_400000_NS6detail17trampoline_kernelINS0_14default_configENS1_38merge_sort_block_merge_config_selectorItNS0_10empty_typeEEEZZNS1_27merge_sort_block_merge_implIS3_PtPS5_jNS1_19radix_merge_compareILb0ELb0EtNS0_19identity_decomposerEEEEE10hipError_tT0_T1_T2_jT3_P12ihipStream_tbPNSt15iterator_traitsISE_E10value_typeEPNSK_ISF_E10value_typeEPSG_NS1_7vsmem_tEENKUlT_SE_SF_SG_E_clIS8_S8_S9_S9_EESD_ST_SE_SF_SG_EUlST_E0_NS1_11comp_targetILNS1_3genE9ELNS1_11target_archE1100ELNS1_3gpuE3ELNS1_3repE0EEENS1_38merge_mergepath_config_static_selectorELNS0_4arch9wavefront6targetE0EEEvSF_,"axG",@progbits,_ZN7rocprim17ROCPRIM_400000_NS6detail17trampoline_kernelINS0_14default_configENS1_38merge_sort_block_merge_config_selectorItNS0_10empty_typeEEEZZNS1_27merge_sort_block_merge_implIS3_PtPS5_jNS1_19radix_merge_compareILb0ELb0EtNS0_19identity_decomposerEEEEE10hipError_tT0_T1_T2_jT3_P12ihipStream_tbPNSt15iterator_traitsISE_E10value_typeEPNSK_ISF_E10value_typeEPSG_NS1_7vsmem_tEENKUlT_SE_SF_SG_E_clIS8_S8_S9_S9_EESD_ST_SE_SF_SG_EUlST_E0_NS1_11comp_targetILNS1_3genE9ELNS1_11target_archE1100ELNS1_3gpuE3ELNS1_3repE0EEENS1_38merge_mergepath_config_static_selectorELNS0_4arch9wavefront6targetE0EEEvSF_,comdat
.Lfunc_end2445:
	.size	_ZN7rocprim17ROCPRIM_400000_NS6detail17trampoline_kernelINS0_14default_configENS1_38merge_sort_block_merge_config_selectorItNS0_10empty_typeEEEZZNS1_27merge_sort_block_merge_implIS3_PtPS5_jNS1_19radix_merge_compareILb0ELb0EtNS0_19identity_decomposerEEEEE10hipError_tT0_T1_T2_jT3_P12ihipStream_tbPNSt15iterator_traitsISE_E10value_typeEPNSK_ISF_E10value_typeEPSG_NS1_7vsmem_tEENKUlT_SE_SF_SG_E_clIS8_S8_S9_S9_EESD_ST_SE_SF_SG_EUlST_E0_NS1_11comp_targetILNS1_3genE9ELNS1_11target_archE1100ELNS1_3gpuE3ELNS1_3repE0EEENS1_38merge_mergepath_config_static_selectorELNS0_4arch9wavefront6targetE0EEEvSF_, .Lfunc_end2445-_ZN7rocprim17ROCPRIM_400000_NS6detail17trampoline_kernelINS0_14default_configENS1_38merge_sort_block_merge_config_selectorItNS0_10empty_typeEEEZZNS1_27merge_sort_block_merge_implIS3_PtPS5_jNS1_19radix_merge_compareILb0ELb0EtNS0_19identity_decomposerEEEEE10hipError_tT0_T1_T2_jT3_P12ihipStream_tbPNSt15iterator_traitsISE_E10value_typeEPNSK_ISF_E10value_typeEPSG_NS1_7vsmem_tEENKUlT_SE_SF_SG_E_clIS8_S8_S9_S9_EESD_ST_SE_SF_SG_EUlST_E0_NS1_11comp_targetILNS1_3genE9ELNS1_11target_archE1100ELNS1_3gpuE3ELNS1_3repE0EEENS1_38merge_mergepath_config_static_selectorELNS0_4arch9wavefront6targetE0EEEvSF_
                                        ; -- End function
	.set _ZN7rocprim17ROCPRIM_400000_NS6detail17trampoline_kernelINS0_14default_configENS1_38merge_sort_block_merge_config_selectorItNS0_10empty_typeEEEZZNS1_27merge_sort_block_merge_implIS3_PtPS5_jNS1_19radix_merge_compareILb0ELb0EtNS0_19identity_decomposerEEEEE10hipError_tT0_T1_T2_jT3_P12ihipStream_tbPNSt15iterator_traitsISE_E10value_typeEPNSK_ISF_E10value_typeEPSG_NS1_7vsmem_tEENKUlT_SE_SF_SG_E_clIS8_S8_S9_S9_EESD_ST_SE_SF_SG_EUlST_E0_NS1_11comp_targetILNS1_3genE9ELNS1_11target_archE1100ELNS1_3gpuE3ELNS1_3repE0EEENS1_38merge_mergepath_config_static_selectorELNS0_4arch9wavefront6targetE0EEEvSF_.num_vgpr, 0
	.set _ZN7rocprim17ROCPRIM_400000_NS6detail17trampoline_kernelINS0_14default_configENS1_38merge_sort_block_merge_config_selectorItNS0_10empty_typeEEEZZNS1_27merge_sort_block_merge_implIS3_PtPS5_jNS1_19radix_merge_compareILb0ELb0EtNS0_19identity_decomposerEEEEE10hipError_tT0_T1_T2_jT3_P12ihipStream_tbPNSt15iterator_traitsISE_E10value_typeEPNSK_ISF_E10value_typeEPSG_NS1_7vsmem_tEENKUlT_SE_SF_SG_E_clIS8_S8_S9_S9_EESD_ST_SE_SF_SG_EUlST_E0_NS1_11comp_targetILNS1_3genE9ELNS1_11target_archE1100ELNS1_3gpuE3ELNS1_3repE0EEENS1_38merge_mergepath_config_static_selectorELNS0_4arch9wavefront6targetE0EEEvSF_.num_agpr, 0
	.set _ZN7rocprim17ROCPRIM_400000_NS6detail17trampoline_kernelINS0_14default_configENS1_38merge_sort_block_merge_config_selectorItNS0_10empty_typeEEEZZNS1_27merge_sort_block_merge_implIS3_PtPS5_jNS1_19radix_merge_compareILb0ELb0EtNS0_19identity_decomposerEEEEE10hipError_tT0_T1_T2_jT3_P12ihipStream_tbPNSt15iterator_traitsISE_E10value_typeEPNSK_ISF_E10value_typeEPSG_NS1_7vsmem_tEENKUlT_SE_SF_SG_E_clIS8_S8_S9_S9_EESD_ST_SE_SF_SG_EUlST_E0_NS1_11comp_targetILNS1_3genE9ELNS1_11target_archE1100ELNS1_3gpuE3ELNS1_3repE0EEENS1_38merge_mergepath_config_static_selectorELNS0_4arch9wavefront6targetE0EEEvSF_.numbered_sgpr, 0
	.set _ZN7rocprim17ROCPRIM_400000_NS6detail17trampoline_kernelINS0_14default_configENS1_38merge_sort_block_merge_config_selectorItNS0_10empty_typeEEEZZNS1_27merge_sort_block_merge_implIS3_PtPS5_jNS1_19radix_merge_compareILb0ELb0EtNS0_19identity_decomposerEEEEE10hipError_tT0_T1_T2_jT3_P12ihipStream_tbPNSt15iterator_traitsISE_E10value_typeEPNSK_ISF_E10value_typeEPSG_NS1_7vsmem_tEENKUlT_SE_SF_SG_E_clIS8_S8_S9_S9_EESD_ST_SE_SF_SG_EUlST_E0_NS1_11comp_targetILNS1_3genE9ELNS1_11target_archE1100ELNS1_3gpuE3ELNS1_3repE0EEENS1_38merge_mergepath_config_static_selectorELNS0_4arch9wavefront6targetE0EEEvSF_.num_named_barrier, 0
	.set _ZN7rocprim17ROCPRIM_400000_NS6detail17trampoline_kernelINS0_14default_configENS1_38merge_sort_block_merge_config_selectorItNS0_10empty_typeEEEZZNS1_27merge_sort_block_merge_implIS3_PtPS5_jNS1_19radix_merge_compareILb0ELb0EtNS0_19identity_decomposerEEEEE10hipError_tT0_T1_T2_jT3_P12ihipStream_tbPNSt15iterator_traitsISE_E10value_typeEPNSK_ISF_E10value_typeEPSG_NS1_7vsmem_tEENKUlT_SE_SF_SG_E_clIS8_S8_S9_S9_EESD_ST_SE_SF_SG_EUlST_E0_NS1_11comp_targetILNS1_3genE9ELNS1_11target_archE1100ELNS1_3gpuE3ELNS1_3repE0EEENS1_38merge_mergepath_config_static_selectorELNS0_4arch9wavefront6targetE0EEEvSF_.private_seg_size, 0
	.set _ZN7rocprim17ROCPRIM_400000_NS6detail17trampoline_kernelINS0_14default_configENS1_38merge_sort_block_merge_config_selectorItNS0_10empty_typeEEEZZNS1_27merge_sort_block_merge_implIS3_PtPS5_jNS1_19radix_merge_compareILb0ELb0EtNS0_19identity_decomposerEEEEE10hipError_tT0_T1_T2_jT3_P12ihipStream_tbPNSt15iterator_traitsISE_E10value_typeEPNSK_ISF_E10value_typeEPSG_NS1_7vsmem_tEENKUlT_SE_SF_SG_E_clIS8_S8_S9_S9_EESD_ST_SE_SF_SG_EUlST_E0_NS1_11comp_targetILNS1_3genE9ELNS1_11target_archE1100ELNS1_3gpuE3ELNS1_3repE0EEENS1_38merge_mergepath_config_static_selectorELNS0_4arch9wavefront6targetE0EEEvSF_.uses_vcc, 0
	.set _ZN7rocprim17ROCPRIM_400000_NS6detail17trampoline_kernelINS0_14default_configENS1_38merge_sort_block_merge_config_selectorItNS0_10empty_typeEEEZZNS1_27merge_sort_block_merge_implIS3_PtPS5_jNS1_19radix_merge_compareILb0ELb0EtNS0_19identity_decomposerEEEEE10hipError_tT0_T1_T2_jT3_P12ihipStream_tbPNSt15iterator_traitsISE_E10value_typeEPNSK_ISF_E10value_typeEPSG_NS1_7vsmem_tEENKUlT_SE_SF_SG_E_clIS8_S8_S9_S9_EESD_ST_SE_SF_SG_EUlST_E0_NS1_11comp_targetILNS1_3genE9ELNS1_11target_archE1100ELNS1_3gpuE3ELNS1_3repE0EEENS1_38merge_mergepath_config_static_selectorELNS0_4arch9wavefront6targetE0EEEvSF_.uses_flat_scratch, 0
	.set _ZN7rocprim17ROCPRIM_400000_NS6detail17trampoline_kernelINS0_14default_configENS1_38merge_sort_block_merge_config_selectorItNS0_10empty_typeEEEZZNS1_27merge_sort_block_merge_implIS3_PtPS5_jNS1_19radix_merge_compareILb0ELb0EtNS0_19identity_decomposerEEEEE10hipError_tT0_T1_T2_jT3_P12ihipStream_tbPNSt15iterator_traitsISE_E10value_typeEPNSK_ISF_E10value_typeEPSG_NS1_7vsmem_tEENKUlT_SE_SF_SG_E_clIS8_S8_S9_S9_EESD_ST_SE_SF_SG_EUlST_E0_NS1_11comp_targetILNS1_3genE9ELNS1_11target_archE1100ELNS1_3gpuE3ELNS1_3repE0EEENS1_38merge_mergepath_config_static_selectorELNS0_4arch9wavefront6targetE0EEEvSF_.has_dyn_sized_stack, 0
	.set _ZN7rocprim17ROCPRIM_400000_NS6detail17trampoline_kernelINS0_14default_configENS1_38merge_sort_block_merge_config_selectorItNS0_10empty_typeEEEZZNS1_27merge_sort_block_merge_implIS3_PtPS5_jNS1_19radix_merge_compareILb0ELb0EtNS0_19identity_decomposerEEEEE10hipError_tT0_T1_T2_jT3_P12ihipStream_tbPNSt15iterator_traitsISE_E10value_typeEPNSK_ISF_E10value_typeEPSG_NS1_7vsmem_tEENKUlT_SE_SF_SG_E_clIS8_S8_S9_S9_EESD_ST_SE_SF_SG_EUlST_E0_NS1_11comp_targetILNS1_3genE9ELNS1_11target_archE1100ELNS1_3gpuE3ELNS1_3repE0EEENS1_38merge_mergepath_config_static_selectorELNS0_4arch9wavefront6targetE0EEEvSF_.has_recursion, 0
	.set _ZN7rocprim17ROCPRIM_400000_NS6detail17trampoline_kernelINS0_14default_configENS1_38merge_sort_block_merge_config_selectorItNS0_10empty_typeEEEZZNS1_27merge_sort_block_merge_implIS3_PtPS5_jNS1_19radix_merge_compareILb0ELb0EtNS0_19identity_decomposerEEEEE10hipError_tT0_T1_T2_jT3_P12ihipStream_tbPNSt15iterator_traitsISE_E10value_typeEPNSK_ISF_E10value_typeEPSG_NS1_7vsmem_tEENKUlT_SE_SF_SG_E_clIS8_S8_S9_S9_EESD_ST_SE_SF_SG_EUlST_E0_NS1_11comp_targetILNS1_3genE9ELNS1_11target_archE1100ELNS1_3gpuE3ELNS1_3repE0EEENS1_38merge_mergepath_config_static_selectorELNS0_4arch9wavefront6targetE0EEEvSF_.has_indirect_call, 0
	.section	.AMDGPU.csdata,"",@progbits
; Kernel info:
; codeLenInByte = 0
; TotalNumSgprs: 0
; NumVgprs: 0
; ScratchSize: 0
; MemoryBound: 0
; FloatMode: 240
; IeeeMode: 1
; LDSByteSize: 0 bytes/workgroup (compile time only)
; SGPRBlocks: 0
; VGPRBlocks: 0
; NumSGPRsForWavesPerEU: 1
; NumVGPRsForWavesPerEU: 1
; NamedBarCnt: 0
; Occupancy: 16
; WaveLimiterHint : 0
; COMPUTE_PGM_RSRC2:SCRATCH_EN: 0
; COMPUTE_PGM_RSRC2:USER_SGPR: 2
; COMPUTE_PGM_RSRC2:TRAP_HANDLER: 0
; COMPUTE_PGM_RSRC2:TGID_X_EN: 1
; COMPUTE_PGM_RSRC2:TGID_Y_EN: 0
; COMPUTE_PGM_RSRC2:TGID_Z_EN: 0
; COMPUTE_PGM_RSRC2:TIDIG_COMP_CNT: 0
	.section	.text._ZN7rocprim17ROCPRIM_400000_NS6detail17trampoline_kernelINS0_14default_configENS1_38merge_sort_block_merge_config_selectorItNS0_10empty_typeEEEZZNS1_27merge_sort_block_merge_implIS3_PtPS5_jNS1_19radix_merge_compareILb0ELb0EtNS0_19identity_decomposerEEEEE10hipError_tT0_T1_T2_jT3_P12ihipStream_tbPNSt15iterator_traitsISE_E10value_typeEPNSK_ISF_E10value_typeEPSG_NS1_7vsmem_tEENKUlT_SE_SF_SG_E_clIS8_S8_S9_S9_EESD_ST_SE_SF_SG_EUlST_E0_NS1_11comp_targetILNS1_3genE8ELNS1_11target_archE1030ELNS1_3gpuE2ELNS1_3repE0EEENS1_38merge_mergepath_config_static_selectorELNS0_4arch9wavefront6targetE0EEEvSF_,"axG",@progbits,_ZN7rocprim17ROCPRIM_400000_NS6detail17trampoline_kernelINS0_14default_configENS1_38merge_sort_block_merge_config_selectorItNS0_10empty_typeEEEZZNS1_27merge_sort_block_merge_implIS3_PtPS5_jNS1_19radix_merge_compareILb0ELb0EtNS0_19identity_decomposerEEEEE10hipError_tT0_T1_T2_jT3_P12ihipStream_tbPNSt15iterator_traitsISE_E10value_typeEPNSK_ISF_E10value_typeEPSG_NS1_7vsmem_tEENKUlT_SE_SF_SG_E_clIS8_S8_S9_S9_EESD_ST_SE_SF_SG_EUlST_E0_NS1_11comp_targetILNS1_3genE8ELNS1_11target_archE1030ELNS1_3gpuE2ELNS1_3repE0EEENS1_38merge_mergepath_config_static_selectorELNS0_4arch9wavefront6targetE0EEEvSF_,comdat
	.protected	_ZN7rocprim17ROCPRIM_400000_NS6detail17trampoline_kernelINS0_14default_configENS1_38merge_sort_block_merge_config_selectorItNS0_10empty_typeEEEZZNS1_27merge_sort_block_merge_implIS3_PtPS5_jNS1_19radix_merge_compareILb0ELb0EtNS0_19identity_decomposerEEEEE10hipError_tT0_T1_T2_jT3_P12ihipStream_tbPNSt15iterator_traitsISE_E10value_typeEPNSK_ISF_E10value_typeEPSG_NS1_7vsmem_tEENKUlT_SE_SF_SG_E_clIS8_S8_S9_S9_EESD_ST_SE_SF_SG_EUlST_E0_NS1_11comp_targetILNS1_3genE8ELNS1_11target_archE1030ELNS1_3gpuE2ELNS1_3repE0EEENS1_38merge_mergepath_config_static_selectorELNS0_4arch9wavefront6targetE0EEEvSF_ ; -- Begin function _ZN7rocprim17ROCPRIM_400000_NS6detail17trampoline_kernelINS0_14default_configENS1_38merge_sort_block_merge_config_selectorItNS0_10empty_typeEEEZZNS1_27merge_sort_block_merge_implIS3_PtPS5_jNS1_19radix_merge_compareILb0ELb0EtNS0_19identity_decomposerEEEEE10hipError_tT0_T1_T2_jT3_P12ihipStream_tbPNSt15iterator_traitsISE_E10value_typeEPNSK_ISF_E10value_typeEPSG_NS1_7vsmem_tEENKUlT_SE_SF_SG_E_clIS8_S8_S9_S9_EESD_ST_SE_SF_SG_EUlST_E0_NS1_11comp_targetILNS1_3genE8ELNS1_11target_archE1030ELNS1_3gpuE2ELNS1_3repE0EEENS1_38merge_mergepath_config_static_selectorELNS0_4arch9wavefront6targetE0EEEvSF_
	.globl	_ZN7rocprim17ROCPRIM_400000_NS6detail17trampoline_kernelINS0_14default_configENS1_38merge_sort_block_merge_config_selectorItNS0_10empty_typeEEEZZNS1_27merge_sort_block_merge_implIS3_PtPS5_jNS1_19radix_merge_compareILb0ELb0EtNS0_19identity_decomposerEEEEE10hipError_tT0_T1_T2_jT3_P12ihipStream_tbPNSt15iterator_traitsISE_E10value_typeEPNSK_ISF_E10value_typeEPSG_NS1_7vsmem_tEENKUlT_SE_SF_SG_E_clIS8_S8_S9_S9_EESD_ST_SE_SF_SG_EUlST_E0_NS1_11comp_targetILNS1_3genE8ELNS1_11target_archE1030ELNS1_3gpuE2ELNS1_3repE0EEENS1_38merge_mergepath_config_static_selectorELNS0_4arch9wavefront6targetE0EEEvSF_
	.p2align	8
	.type	_ZN7rocprim17ROCPRIM_400000_NS6detail17trampoline_kernelINS0_14default_configENS1_38merge_sort_block_merge_config_selectorItNS0_10empty_typeEEEZZNS1_27merge_sort_block_merge_implIS3_PtPS5_jNS1_19radix_merge_compareILb0ELb0EtNS0_19identity_decomposerEEEEE10hipError_tT0_T1_T2_jT3_P12ihipStream_tbPNSt15iterator_traitsISE_E10value_typeEPNSK_ISF_E10value_typeEPSG_NS1_7vsmem_tEENKUlT_SE_SF_SG_E_clIS8_S8_S9_S9_EESD_ST_SE_SF_SG_EUlST_E0_NS1_11comp_targetILNS1_3genE8ELNS1_11target_archE1030ELNS1_3gpuE2ELNS1_3repE0EEENS1_38merge_mergepath_config_static_selectorELNS0_4arch9wavefront6targetE0EEEvSF_,@function
_ZN7rocprim17ROCPRIM_400000_NS6detail17trampoline_kernelINS0_14default_configENS1_38merge_sort_block_merge_config_selectorItNS0_10empty_typeEEEZZNS1_27merge_sort_block_merge_implIS3_PtPS5_jNS1_19radix_merge_compareILb0ELb0EtNS0_19identity_decomposerEEEEE10hipError_tT0_T1_T2_jT3_P12ihipStream_tbPNSt15iterator_traitsISE_E10value_typeEPNSK_ISF_E10value_typeEPSG_NS1_7vsmem_tEENKUlT_SE_SF_SG_E_clIS8_S8_S9_S9_EESD_ST_SE_SF_SG_EUlST_E0_NS1_11comp_targetILNS1_3genE8ELNS1_11target_archE1030ELNS1_3gpuE2ELNS1_3repE0EEENS1_38merge_mergepath_config_static_selectorELNS0_4arch9wavefront6targetE0EEEvSF_: ; @_ZN7rocprim17ROCPRIM_400000_NS6detail17trampoline_kernelINS0_14default_configENS1_38merge_sort_block_merge_config_selectorItNS0_10empty_typeEEEZZNS1_27merge_sort_block_merge_implIS3_PtPS5_jNS1_19radix_merge_compareILb0ELb0EtNS0_19identity_decomposerEEEEE10hipError_tT0_T1_T2_jT3_P12ihipStream_tbPNSt15iterator_traitsISE_E10value_typeEPNSK_ISF_E10value_typeEPSG_NS1_7vsmem_tEENKUlT_SE_SF_SG_E_clIS8_S8_S9_S9_EESD_ST_SE_SF_SG_EUlST_E0_NS1_11comp_targetILNS1_3genE8ELNS1_11target_archE1030ELNS1_3gpuE2ELNS1_3repE0EEENS1_38merge_mergepath_config_static_selectorELNS0_4arch9wavefront6targetE0EEEvSF_
; %bb.0:
	.section	.rodata,"a",@progbits
	.p2align	6, 0x0
	.amdhsa_kernel _ZN7rocprim17ROCPRIM_400000_NS6detail17trampoline_kernelINS0_14default_configENS1_38merge_sort_block_merge_config_selectorItNS0_10empty_typeEEEZZNS1_27merge_sort_block_merge_implIS3_PtPS5_jNS1_19radix_merge_compareILb0ELb0EtNS0_19identity_decomposerEEEEE10hipError_tT0_T1_T2_jT3_P12ihipStream_tbPNSt15iterator_traitsISE_E10value_typeEPNSK_ISF_E10value_typeEPSG_NS1_7vsmem_tEENKUlT_SE_SF_SG_E_clIS8_S8_S9_S9_EESD_ST_SE_SF_SG_EUlST_E0_NS1_11comp_targetILNS1_3genE8ELNS1_11target_archE1030ELNS1_3gpuE2ELNS1_3repE0EEENS1_38merge_mergepath_config_static_selectorELNS0_4arch9wavefront6targetE0EEEvSF_
		.amdhsa_group_segment_fixed_size 0
		.amdhsa_private_segment_fixed_size 0
		.amdhsa_kernarg_size 64
		.amdhsa_user_sgpr_count 2
		.amdhsa_user_sgpr_dispatch_ptr 0
		.amdhsa_user_sgpr_queue_ptr 0
		.amdhsa_user_sgpr_kernarg_segment_ptr 1
		.amdhsa_user_sgpr_dispatch_id 0
		.amdhsa_user_sgpr_kernarg_preload_length 0
		.amdhsa_user_sgpr_kernarg_preload_offset 0
		.amdhsa_user_sgpr_private_segment_size 0
		.amdhsa_wavefront_size32 1
		.amdhsa_uses_dynamic_stack 0
		.amdhsa_enable_private_segment 0
		.amdhsa_system_sgpr_workgroup_id_x 1
		.amdhsa_system_sgpr_workgroup_id_y 0
		.amdhsa_system_sgpr_workgroup_id_z 0
		.amdhsa_system_sgpr_workgroup_info 0
		.amdhsa_system_vgpr_workitem_id 0
		.amdhsa_next_free_vgpr 1
		.amdhsa_next_free_sgpr 1
		.amdhsa_named_barrier_count 0
		.amdhsa_reserve_vcc 0
		.amdhsa_float_round_mode_32 0
		.amdhsa_float_round_mode_16_64 0
		.amdhsa_float_denorm_mode_32 3
		.amdhsa_float_denorm_mode_16_64 3
		.amdhsa_fp16_overflow 0
		.amdhsa_memory_ordered 1
		.amdhsa_forward_progress 1
		.amdhsa_inst_pref_size 0
		.amdhsa_round_robin_scheduling 0
		.amdhsa_exception_fp_ieee_invalid_op 0
		.amdhsa_exception_fp_denorm_src 0
		.amdhsa_exception_fp_ieee_div_zero 0
		.amdhsa_exception_fp_ieee_overflow 0
		.amdhsa_exception_fp_ieee_underflow 0
		.amdhsa_exception_fp_ieee_inexact 0
		.amdhsa_exception_int_div_zero 0
	.end_amdhsa_kernel
	.section	.text._ZN7rocprim17ROCPRIM_400000_NS6detail17trampoline_kernelINS0_14default_configENS1_38merge_sort_block_merge_config_selectorItNS0_10empty_typeEEEZZNS1_27merge_sort_block_merge_implIS3_PtPS5_jNS1_19radix_merge_compareILb0ELb0EtNS0_19identity_decomposerEEEEE10hipError_tT0_T1_T2_jT3_P12ihipStream_tbPNSt15iterator_traitsISE_E10value_typeEPNSK_ISF_E10value_typeEPSG_NS1_7vsmem_tEENKUlT_SE_SF_SG_E_clIS8_S8_S9_S9_EESD_ST_SE_SF_SG_EUlST_E0_NS1_11comp_targetILNS1_3genE8ELNS1_11target_archE1030ELNS1_3gpuE2ELNS1_3repE0EEENS1_38merge_mergepath_config_static_selectorELNS0_4arch9wavefront6targetE0EEEvSF_,"axG",@progbits,_ZN7rocprim17ROCPRIM_400000_NS6detail17trampoline_kernelINS0_14default_configENS1_38merge_sort_block_merge_config_selectorItNS0_10empty_typeEEEZZNS1_27merge_sort_block_merge_implIS3_PtPS5_jNS1_19radix_merge_compareILb0ELb0EtNS0_19identity_decomposerEEEEE10hipError_tT0_T1_T2_jT3_P12ihipStream_tbPNSt15iterator_traitsISE_E10value_typeEPNSK_ISF_E10value_typeEPSG_NS1_7vsmem_tEENKUlT_SE_SF_SG_E_clIS8_S8_S9_S9_EESD_ST_SE_SF_SG_EUlST_E0_NS1_11comp_targetILNS1_3genE8ELNS1_11target_archE1030ELNS1_3gpuE2ELNS1_3repE0EEENS1_38merge_mergepath_config_static_selectorELNS0_4arch9wavefront6targetE0EEEvSF_,comdat
.Lfunc_end2446:
	.size	_ZN7rocprim17ROCPRIM_400000_NS6detail17trampoline_kernelINS0_14default_configENS1_38merge_sort_block_merge_config_selectorItNS0_10empty_typeEEEZZNS1_27merge_sort_block_merge_implIS3_PtPS5_jNS1_19radix_merge_compareILb0ELb0EtNS0_19identity_decomposerEEEEE10hipError_tT0_T1_T2_jT3_P12ihipStream_tbPNSt15iterator_traitsISE_E10value_typeEPNSK_ISF_E10value_typeEPSG_NS1_7vsmem_tEENKUlT_SE_SF_SG_E_clIS8_S8_S9_S9_EESD_ST_SE_SF_SG_EUlST_E0_NS1_11comp_targetILNS1_3genE8ELNS1_11target_archE1030ELNS1_3gpuE2ELNS1_3repE0EEENS1_38merge_mergepath_config_static_selectorELNS0_4arch9wavefront6targetE0EEEvSF_, .Lfunc_end2446-_ZN7rocprim17ROCPRIM_400000_NS6detail17trampoline_kernelINS0_14default_configENS1_38merge_sort_block_merge_config_selectorItNS0_10empty_typeEEEZZNS1_27merge_sort_block_merge_implIS3_PtPS5_jNS1_19radix_merge_compareILb0ELb0EtNS0_19identity_decomposerEEEEE10hipError_tT0_T1_T2_jT3_P12ihipStream_tbPNSt15iterator_traitsISE_E10value_typeEPNSK_ISF_E10value_typeEPSG_NS1_7vsmem_tEENKUlT_SE_SF_SG_E_clIS8_S8_S9_S9_EESD_ST_SE_SF_SG_EUlST_E0_NS1_11comp_targetILNS1_3genE8ELNS1_11target_archE1030ELNS1_3gpuE2ELNS1_3repE0EEENS1_38merge_mergepath_config_static_selectorELNS0_4arch9wavefront6targetE0EEEvSF_
                                        ; -- End function
	.set _ZN7rocprim17ROCPRIM_400000_NS6detail17trampoline_kernelINS0_14default_configENS1_38merge_sort_block_merge_config_selectorItNS0_10empty_typeEEEZZNS1_27merge_sort_block_merge_implIS3_PtPS5_jNS1_19radix_merge_compareILb0ELb0EtNS0_19identity_decomposerEEEEE10hipError_tT0_T1_T2_jT3_P12ihipStream_tbPNSt15iterator_traitsISE_E10value_typeEPNSK_ISF_E10value_typeEPSG_NS1_7vsmem_tEENKUlT_SE_SF_SG_E_clIS8_S8_S9_S9_EESD_ST_SE_SF_SG_EUlST_E0_NS1_11comp_targetILNS1_3genE8ELNS1_11target_archE1030ELNS1_3gpuE2ELNS1_3repE0EEENS1_38merge_mergepath_config_static_selectorELNS0_4arch9wavefront6targetE0EEEvSF_.num_vgpr, 0
	.set _ZN7rocprim17ROCPRIM_400000_NS6detail17trampoline_kernelINS0_14default_configENS1_38merge_sort_block_merge_config_selectorItNS0_10empty_typeEEEZZNS1_27merge_sort_block_merge_implIS3_PtPS5_jNS1_19radix_merge_compareILb0ELb0EtNS0_19identity_decomposerEEEEE10hipError_tT0_T1_T2_jT3_P12ihipStream_tbPNSt15iterator_traitsISE_E10value_typeEPNSK_ISF_E10value_typeEPSG_NS1_7vsmem_tEENKUlT_SE_SF_SG_E_clIS8_S8_S9_S9_EESD_ST_SE_SF_SG_EUlST_E0_NS1_11comp_targetILNS1_3genE8ELNS1_11target_archE1030ELNS1_3gpuE2ELNS1_3repE0EEENS1_38merge_mergepath_config_static_selectorELNS0_4arch9wavefront6targetE0EEEvSF_.num_agpr, 0
	.set _ZN7rocprim17ROCPRIM_400000_NS6detail17trampoline_kernelINS0_14default_configENS1_38merge_sort_block_merge_config_selectorItNS0_10empty_typeEEEZZNS1_27merge_sort_block_merge_implIS3_PtPS5_jNS1_19radix_merge_compareILb0ELb0EtNS0_19identity_decomposerEEEEE10hipError_tT0_T1_T2_jT3_P12ihipStream_tbPNSt15iterator_traitsISE_E10value_typeEPNSK_ISF_E10value_typeEPSG_NS1_7vsmem_tEENKUlT_SE_SF_SG_E_clIS8_S8_S9_S9_EESD_ST_SE_SF_SG_EUlST_E0_NS1_11comp_targetILNS1_3genE8ELNS1_11target_archE1030ELNS1_3gpuE2ELNS1_3repE0EEENS1_38merge_mergepath_config_static_selectorELNS0_4arch9wavefront6targetE0EEEvSF_.numbered_sgpr, 0
	.set _ZN7rocprim17ROCPRIM_400000_NS6detail17trampoline_kernelINS0_14default_configENS1_38merge_sort_block_merge_config_selectorItNS0_10empty_typeEEEZZNS1_27merge_sort_block_merge_implIS3_PtPS5_jNS1_19radix_merge_compareILb0ELb0EtNS0_19identity_decomposerEEEEE10hipError_tT0_T1_T2_jT3_P12ihipStream_tbPNSt15iterator_traitsISE_E10value_typeEPNSK_ISF_E10value_typeEPSG_NS1_7vsmem_tEENKUlT_SE_SF_SG_E_clIS8_S8_S9_S9_EESD_ST_SE_SF_SG_EUlST_E0_NS1_11comp_targetILNS1_3genE8ELNS1_11target_archE1030ELNS1_3gpuE2ELNS1_3repE0EEENS1_38merge_mergepath_config_static_selectorELNS0_4arch9wavefront6targetE0EEEvSF_.num_named_barrier, 0
	.set _ZN7rocprim17ROCPRIM_400000_NS6detail17trampoline_kernelINS0_14default_configENS1_38merge_sort_block_merge_config_selectorItNS0_10empty_typeEEEZZNS1_27merge_sort_block_merge_implIS3_PtPS5_jNS1_19radix_merge_compareILb0ELb0EtNS0_19identity_decomposerEEEEE10hipError_tT0_T1_T2_jT3_P12ihipStream_tbPNSt15iterator_traitsISE_E10value_typeEPNSK_ISF_E10value_typeEPSG_NS1_7vsmem_tEENKUlT_SE_SF_SG_E_clIS8_S8_S9_S9_EESD_ST_SE_SF_SG_EUlST_E0_NS1_11comp_targetILNS1_3genE8ELNS1_11target_archE1030ELNS1_3gpuE2ELNS1_3repE0EEENS1_38merge_mergepath_config_static_selectorELNS0_4arch9wavefront6targetE0EEEvSF_.private_seg_size, 0
	.set _ZN7rocprim17ROCPRIM_400000_NS6detail17trampoline_kernelINS0_14default_configENS1_38merge_sort_block_merge_config_selectorItNS0_10empty_typeEEEZZNS1_27merge_sort_block_merge_implIS3_PtPS5_jNS1_19radix_merge_compareILb0ELb0EtNS0_19identity_decomposerEEEEE10hipError_tT0_T1_T2_jT3_P12ihipStream_tbPNSt15iterator_traitsISE_E10value_typeEPNSK_ISF_E10value_typeEPSG_NS1_7vsmem_tEENKUlT_SE_SF_SG_E_clIS8_S8_S9_S9_EESD_ST_SE_SF_SG_EUlST_E0_NS1_11comp_targetILNS1_3genE8ELNS1_11target_archE1030ELNS1_3gpuE2ELNS1_3repE0EEENS1_38merge_mergepath_config_static_selectorELNS0_4arch9wavefront6targetE0EEEvSF_.uses_vcc, 0
	.set _ZN7rocprim17ROCPRIM_400000_NS6detail17trampoline_kernelINS0_14default_configENS1_38merge_sort_block_merge_config_selectorItNS0_10empty_typeEEEZZNS1_27merge_sort_block_merge_implIS3_PtPS5_jNS1_19radix_merge_compareILb0ELb0EtNS0_19identity_decomposerEEEEE10hipError_tT0_T1_T2_jT3_P12ihipStream_tbPNSt15iterator_traitsISE_E10value_typeEPNSK_ISF_E10value_typeEPSG_NS1_7vsmem_tEENKUlT_SE_SF_SG_E_clIS8_S8_S9_S9_EESD_ST_SE_SF_SG_EUlST_E0_NS1_11comp_targetILNS1_3genE8ELNS1_11target_archE1030ELNS1_3gpuE2ELNS1_3repE0EEENS1_38merge_mergepath_config_static_selectorELNS0_4arch9wavefront6targetE0EEEvSF_.uses_flat_scratch, 0
	.set _ZN7rocprim17ROCPRIM_400000_NS6detail17trampoline_kernelINS0_14default_configENS1_38merge_sort_block_merge_config_selectorItNS0_10empty_typeEEEZZNS1_27merge_sort_block_merge_implIS3_PtPS5_jNS1_19radix_merge_compareILb0ELb0EtNS0_19identity_decomposerEEEEE10hipError_tT0_T1_T2_jT3_P12ihipStream_tbPNSt15iterator_traitsISE_E10value_typeEPNSK_ISF_E10value_typeEPSG_NS1_7vsmem_tEENKUlT_SE_SF_SG_E_clIS8_S8_S9_S9_EESD_ST_SE_SF_SG_EUlST_E0_NS1_11comp_targetILNS1_3genE8ELNS1_11target_archE1030ELNS1_3gpuE2ELNS1_3repE0EEENS1_38merge_mergepath_config_static_selectorELNS0_4arch9wavefront6targetE0EEEvSF_.has_dyn_sized_stack, 0
	.set _ZN7rocprim17ROCPRIM_400000_NS6detail17trampoline_kernelINS0_14default_configENS1_38merge_sort_block_merge_config_selectorItNS0_10empty_typeEEEZZNS1_27merge_sort_block_merge_implIS3_PtPS5_jNS1_19radix_merge_compareILb0ELb0EtNS0_19identity_decomposerEEEEE10hipError_tT0_T1_T2_jT3_P12ihipStream_tbPNSt15iterator_traitsISE_E10value_typeEPNSK_ISF_E10value_typeEPSG_NS1_7vsmem_tEENKUlT_SE_SF_SG_E_clIS8_S8_S9_S9_EESD_ST_SE_SF_SG_EUlST_E0_NS1_11comp_targetILNS1_3genE8ELNS1_11target_archE1030ELNS1_3gpuE2ELNS1_3repE0EEENS1_38merge_mergepath_config_static_selectorELNS0_4arch9wavefront6targetE0EEEvSF_.has_recursion, 0
	.set _ZN7rocprim17ROCPRIM_400000_NS6detail17trampoline_kernelINS0_14default_configENS1_38merge_sort_block_merge_config_selectorItNS0_10empty_typeEEEZZNS1_27merge_sort_block_merge_implIS3_PtPS5_jNS1_19radix_merge_compareILb0ELb0EtNS0_19identity_decomposerEEEEE10hipError_tT0_T1_T2_jT3_P12ihipStream_tbPNSt15iterator_traitsISE_E10value_typeEPNSK_ISF_E10value_typeEPSG_NS1_7vsmem_tEENKUlT_SE_SF_SG_E_clIS8_S8_S9_S9_EESD_ST_SE_SF_SG_EUlST_E0_NS1_11comp_targetILNS1_3genE8ELNS1_11target_archE1030ELNS1_3gpuE2ELNS1_3repE0EEENS1_38merge_mergepath_config_static_selectorELNS0_4arch9wavefront6targetE0EEEvSF_.has_indirect_call, 0
	.section	.AMDGPU.csdata,"",@progbits
; Kernel info:
; codeLenInByte = 0
; TotalNumSgprs: 0
; NumVgprs: 0
; ScratchSize: 0
; MemoryBound: 0
; FloatMode: 240
; IeeeMode: 1
; LDSByteSize: 0 bytes/workgroup (compile time only)
; SGPRBlocks: 0
; VGPRBlocks: 0
; NumSGPRsForWavesPerEU: 1
; NumVGPRsForWavesPerEU: 1
; NamedBarCnt: 0
; Occupancy: 16
; WaveLimiterHint : 0
; COMPUTE_PGM_RSRC2:SCRATCH_EN: 0
; COMPUTE_PGM_RSRC2:USER_SGPR: 2
; COMPUTE_PGM_RSRC2:TRAP_HANDLER: 0
; COMPUTE_PGM_RSRC2:TGID_X_EN: 1
; COMPUTE_PGM_RSRC2:TGID_Y_EN: 0
; COMPUTE_PGM_RSRC2:TGID_Z_EN: 0
; COMPUTE_PGM_RSRC2:TIDIG_COMP_CNT: 0
	.section	.text._ZN7rocprim17ROCPRIM_400000_NS6detail17trampoline_kernelINS0_14default_configENS1_38merge_sort_block_merge_config_selectorItNS0_10empty_typeEEEZZNS1_27merge_sort_block_merge_implIS3_PtPS5_jNS1_19radix_merge_compareILb0ELb0EtNS0_19identity_decomposerEEEEE10hipError_tT0_T1_T2_jT3_P12ihipStream_tbPNSt15iterator_traitsISE_E10value_typeEPNSK_ISF_E10value_typeEPSG_NS1_7vsmem_tEENKUlT_SE_SF_SG_E_clIS8_S8_S9_S9_EESD_ST_SE_SF_SG_EUlST_E1_NS1_11comp_targetILNS1_3genE0ELNS1_11target_archE4294967295ELNS1_3gpuE0ELNS1_3repE0EEENS1_36merge_oddeven_config_static_selectorELNS0_4arch9wavefront6targetE0EEEvSF_,"axG",@progbits,_ZN7rocprim17ROCPRIM_400000_NS6detail17trampoline_kernelINS0_14default_configENS1_38merge_sort_block_merge_config_selectorItNS0_10empty_typeEEEZZNS1_27merge_sort_block_merge_implIS3_PtPS5_jNS1_19radix_merge_compareILb0ELb0EtNS0_19identity_decomposerEEEEE10hipError_tT0_T1_T2_jT3_P12ihipStream_tbPNSt15iterator_traitsISE_E10value_typeEPNSK_ISF_E10value_typeEPSG_NS1_7vsmem_tEENKUlT_SE_SF_SG_E_clIS8_S8_S9_S9_EESD_ST_SE_SF_SG_EUlST_E1_NS1_11comp_targetILNS1_3genE0ELNS1_11target_archE4294967295ELNS1_3gpuE0ELNS1_3repE0EEENS1_36merge_oddeven_config_static_selectorELNS0_4arch9wavefront6targetE0EEEvSF_,comdat
	.protected	_ZN7rocprim17ROCPRIM_400000_NS6detail17trampoline_kernelINS0_14default_configENS1_38merge_sort_block_merge_config_selectorItNS0_10empty_typeEEEZZNS1_27merge_sort_block_merge_implIS3_PtPS5_jNS1_19radix_merge_compareILb0ELb0EtNS0_19identity_decomposerEEEEE10hipError_tT0_T1_T2_jT3_P12ihipStream_tbPNSt15iterator_traitsISE_E10value_typeEPNSK_ISF_E10value_typeEPSG_NS1_7vsmem_tEENKUlT_SE_SF_SG_E_clIS8_S8_S9_S9_EESD_ST_SE_SF_SG_EUlST_E1_NS1_11comp_targetILNS1_3genE0ELNS1_11target_archE4294967295ELNS1_3gpuE0ELNS1_3repE0EEENS1_36merge_oddeven_config_static_selectorELNS0_4arch9wavefront6targetE0EEEvSF_ ; -- Begin function _ZN7rocprim17ROCPRIM_400000_NS6detail17trampoline_kernelINS0_14default_configENS1_38merge_sort_block_merge_config_selectorItNS0_10empty_typeEEEZZNS1_27merge_sort_block_merge_implIS3_PtPS5_jNS1_19radix_merge_compareILb0ELb0EtNS0_19identity_decomposerEEEEE10hipError_tT0_T1_T2_jT3_P12ihipStream_tbPNSt15iterator_traitsISE_E10value_typeEPNSK_ISF_E10value_typeEPSG_NS1_7vsmem_tEENKUlT_SE_SF_SG_E_clIS8_S8_S9_S9_EESD_ST_SE_SF_SG_EUlST_E1_NS1_11comp_targetILNS1_3genE0ELNS1_11target_archE4294967295ELNS1_3gpuE0ELNS1_3repE0EEENS1_36merge_oddeven_config_static_selectorELNS0_4arch9wavefront6targetE0EEEvSF_
	.globl	_ZN7rocprim17ROCPRIM_400000_NS6detail17trampoline_kernelINS0_14default_configENS1_38merge_sort_block_merge_config_selectorItNS0_10empty_typeEEEZZNS1_27merge_sort_block_merge_implIS3_PtPS5_jNS1_19radix_merge_compareILb0ELb0EtNS0_19identity_decomposerEEEEE10hipError_tT0_T1_T2_jT3_P12ihipStream_tbPNSt15iterator_traitsISE_E10value_typeEPNSK_ISF_E10value_typeEPSG_NS1_7vsmem_tEENKUlT_SE_SF_SG_E_clIS8_S8_S9_S9_EESD_ST_SE_SF_SG_EUlST_E1_NS1_11comp_targetILNS1_3genE0ELNS1_11target_archE4294967295ELNS1_3gpuE0ELNS1_3repE0EEENS1_36merge_oddeven_config_static_selectorELNS0_4arch9wavefront6targetE0EEEvSF_
	.p2align	8
	.type	_ZN7rocprim17ROCPRIM_400000_NS6detail17trampoline_kernelINS0_14default_configENS1_38merge_sort_block_merge_config_selectorItNS0_10empty_typeEEEZZNS1_27merge_sort_block_merge_implIS3_PtPS5_jNS1_19radix_merge_compareILb0ELb0EtNS0_19identity_decomposerEEEEE10hipError_tT0_T1_T2_jT3_P12ihipStream_tbPNSt15iterator_traitsISE_E10value_typeEPNSK_ISF_E10value_typeEPSG_NS1_7vsmem_tEENKUlT_SE_SF_SG_E_clIS8_S8_S9_S9_EESD_ST_SE_SF_SG_EUlST_E1_NS1_11comp_targetILNS1_3genE0ELNS1_11target_archE4294967295ELNS1_3gpuE0ELNS1_3repE0EEENS1_36merge_oddeven_config_static_selectorELNS0_4arch9wavefront6targetE0EEEvSF_,@function
_ZN7rocprim17ROCPRIM_400000_NS6detail17trampoline_kernelINS0_14default_configENS1_38merge_sort_block_merge_config_selectorItNS0_10empty_typeEEEZZNS1_27merge_sort_block_merge_implIS3_PtPS5_jNS1_19radix_merge_compareILb0ELb0EtNS0_19identity_decomposerEEEEE10hipError_tT0_T1_T2_jT3_P12ihipStream_tbPNSt15iterator_traitsISE_E10value_typeEPNSK_ISF_E10value_typeEPSG_NS1_7vsmem_tEENKUlT_SE_SF_SG_E_clIS8_S8_S9_S9_EESD_ST_SE_SF_SG_EUlST_E1_NS1_11comp_targetILNS1_3genE0ELNS1_11target_archE4294967295ELNS1_3gpuE0ELNS1_3repE0EEENS1_36merge_oddeven_config_static_selectorELNS0_4arch9wavefront6targetE0EEEvSF_: ; @_ZN7rocprim17ROCPRIM_400000_NS6detail17trampoline_kernelINS0_14default_configENS1_38merge_sort_block_merge_config_selectorItNS0_10empty_typeEEEZZNS1_27merge_sort_block_merge_implIS3_PtPS5_jNS1_19radix_merge_compareILb0ELb0EtNS0_19identity_decomposerEEEEE10hipError_tT0_T1_T2_jT3_P12ihipStream_tbPNSt15iterator_traitsISE_E10value_typeEPNSK_ISF_E10value_typeEPSG_NS1_7vsmem_tEENKUlT_SE_SF_SG_E_clIS8_S8_S9_S9_EESD_ST_SE_SF_SG_EUlST_E1_NS1_11comp_targetILNS1_3genE0ELNS1_11target_archE4294967295ELNS1_3gpuE0ELNS1_3repE0EEENS1_36merge_oddeven_config_static_selectorELNS0_4arch9wavefront6targetE0EEEvSF_
; %bb.0:
	s_load_b32 s10, s[0:1], 0x20
	s_bfe_u32 s2, ttmp6, 0x4000c
	s_and_b32 s3, ttmp6, 15
	s_add_co_i32 s2, s2, 1
	s_getreg_b32 s4, hwreg(HW_REG_IB_STS2, 6, 4)
	s_mul_i32 s2, ttmp9, s2
	s_mov_b32 s9, 0
	s_add_co_i32 s3, s3, s2
	s_cmp_eq_u32 s4, 0
	s_cselect_b32 s13, ttmp9, s3
	s_wait_kmcnt 0x0
	s_lshr_b32 s2, s10, 8
	s_delay_alu instid0(SALU_CYCLE_1) | instskip(SKIP_4) | instid1(SALU_CYCLE_1)
	s_cmp_lg_u32 s13, s2
	s_cselect_b32 s3, -1, 0
	s_cmp_eq_u32 s13, s2
	s_cselect_b32 s11, -1, 0
	s_lshl_b32 s8, s13, 8
	s_sub_co_i32 s2, s10, s8
	s_delay_alu instid0(SALU_CYCLE_1) | instskip(SKIP_1) | instid1(SALU_CYCLE_1)
	v_cmp_gt_u32_e64 s2, s2, v0
	s_or_b32 s4, s3, s2
	s_and_saveexec_b32 s5, s4
	s_cbranch_execz .LBB2447_20
; %bb.1:
	s_clause 0x1
	s_load_b128 s[4:7], s[0:1], 0x0
	s_load_b32 s12, s[0:1], 0x24
	s_lshl_b64 s[14:15], s[8:9], 1
	v_add_nc_u32_e32 v2, s8, v0
	s_wait_kmcnt 0x0
	s_add_nc_u64 s[0:1], s[4:5], s[14:15]
	global_load_u16 v1, v0, s[0:1] scale_offset
	s_wait_xcnt 0x0
	s_lshr_b32 s0, s12, 8
	s_delay_alu instid0(SALU_CYCLE_1) | instskip(NEXT) | instid1(SALU_CYCLE_1)
	s_sub_co_i32 s1, 0, s0
	s_and_b32 s1, s13, s1
	s_delay_alu instid0(SALU_CYCLE_1) | instskip(SKIP_4) | instid1(SALU_CYCLE_1)
	s_and_b32 s0, s1, s0
	s_lshl_b32 s13, s1, 8
	s_sub_co_i32 s1, 0, s12
	s_cmp_eq_u32 s0, 0
	s_cselect_b32 s0, -1, 0
	s_and_b32 s14, s0, exec_lo
	s_cselect_b32 s1, s12, s1
	s_delay_alu instid0(SALU_CYCLE_1) | instskip(NEXT) | instid1(SALU_CYCLE_1)
	s_add_co_i32 s1, s1, s13
	s_cmp_gt_u32 s10, s1
	s_cbranch_scc1 .LBB2447_3
; %bb.2:
	v_cmp_gt_u32_e32 vcc_lo, s10, v2
	s_or_b32 s8, vcc_lo, s3
	s_delay_alu instid0(SALU_CYCLE_1)
	s_and_b32 s9, s8, exec_lo
	s_cbranch_execz .LBB2447_4
	s_branch .LBB2447_18
.LBB2447_3:
.LBB2447_4:
	s_min_u32 s3, s1, s10
	s_and_b32 vcc_lo, exec_lo, s11
	s_add_co_i32 s8, s13, s3
	s_add_co_i32 s12, s3, s12
	v_subrev_nc_u32_e32 v0, s8, v2
	s_min_u32 s8, s13, s3
	s_delay_alu instid0(VALU_DEP_1) | instid1(SALU_CYCLE_1)
	v_add_nc_u32_e32 v0, s8, v0
	s_min_u32 s8, s12, s10
	s_cbranch_vccz .LBB2447_12
; %bb.5:
                                        ; implicit-def: $vgpr2
	s_and_saveexec_b32 s10, s2
	s_cbranch_execz .LBB2447_11
; %bb.6:
	v_mov_b32_e32 v2, s3
	s_cmp_ge_u32 s1, s8
	s_cbranch_scc1 .LBB2447_10
; %bb.7:
	v_dual_mov_b32 v3, s8 :: v_dual_mov_b32 v2, s3
	s_mov_b32 s2, 0
.LBB2447_8:                             ; =>This Inner Loop Header: Depth=1
	s_delay_alu instid0(VALU_DEP_1) | instskip(NEXT) | instid1(VALU_DEP_1)
	v_add_nc_u32_e32 v4, v2, v3
	v_and_b32_e32 v5, -2, v4
	global_load_u16 v5, v5, s[4:5]
	s_wait_loadcnt 0x0
	v_cmp_gt_u16_e32 vcc_lo, v1, v5
	v_cndmask_b32_e64 v6, 0, 1, vcc_lo
	v_cmp_le_u16_e32 vcc_lo, v5, v1
	v_cndmask_b32_e64 v5, 0, 1, vcc_lo
	s_delay_alu instid0(VALU_DEP_1) | instskip(NEXT) | instid1(VALU_DEP_1)
	v_dual_cndmask_b32 v5, v5, v6, s0 :: v_dual_lshrrev_b32 v4, 1, v4
	v_dual_add_nc_u32 v6, 1, v4 :: v_dual_bitop2_b32 v5, 1, v5 bitop3:0x40
	s_delay_alu instid0(VALU_DEP_1) | instskip(NEXT) | instid1(VALU_DEP_2)
	v_cmp_eq_u32_e32 vcc_lo, 1, v5
	v_dual_cndmask_b32 v3, v4, v3 :: v_dual_cndmask_b32 v2, v2, v6
	s_delay_alu instid0(VALU_DEP_1) | instskip(SKIP_1) | instid1(SALU_CYCLE_1)
	v_cmp_ge_u32_e32 vcc_lo, v2, v3
	s_or_b32 s2, vcc_lo, s2
	s_and_not1_b32 exec_lo, exec_lo, s2
	s_cbranch_execnz .LBB2447_8
; %bb.9:
	s_or_b32 exec_lo, exec_lo, s2
.LBB2447_10:
	s_delay_alu instid0(VALU_DEP_1)
	v_add_nc_u32_e32 v2, v2, v0
	s_or_b32 s9, s9, exec_lo
.LBB2447_11:
	s_or_b32 exec_lo, exec_lo, s10
	s_branch .LBB2447_18
.LBB2447_12:
                                        ; implicit-def: $vgpr2
	s_cbranch_execz .LBB2447_18
; %bb.13:
	v_mov_b32_e32 v2, s3
	s_cmp_ge_u32 s1, s8
	s_cbranch_scc1 .LBB2447_17
; %bb.14:
	v_dual_mov_b32 v3, s8 :: v_dual_mov_b32 v2, s3
	s_mov_b32 s1, 0
.LBB2447_15:                            ; =>This Inner Loop Header: Depth=1
	s_delay_alu instid0(VALU_DEP_1) | instskip(NEXT) | instid1(VALU_DEP_1)
	v_add_nc_u32_e32 v4, v2, v3
	v_and_b32_e32 v5, -2, v4
	global_load_u16 v5, v5, s[4:5]
	s_wait_loadcnt 0x0
	v_cmp_gt_u16_e32 vcc_lo, v1, v5
	v_cndmask_b32_e64 v6, 0, 1, vcc_lo
	v_cmp_le_u16_e32 vcc_lo, v5, v1
	v_cndmask_b32_e64 v5, 0, 1, vcc_lo
	s_delay_alu instid0(VALU_DEP_1) | instskip(NEXT) | instid1(VALU_DEP_1)
	v_dual_cndmask_b32 v5, v5, v6, s0 :: v_dual_lshrrev_b32 v4, 1, v4
	v_dual_add_nc_u32 v6, 1, v4 :: v_dual_bitop2_b32 v5, 1, v5 bitop3:0x40
	s_delay_alu instid0(VALU_DEP_1) | instskip(NEXT) | instid1(VALU_DEP_2)
	v_cmp_eq_u32_e32 vcc_lo, 1, v5
	v_dual_cndmask_b32 v3, v4, v3 :: v_dual_cndmask_b32 v2, v2, v6
	s_delay_alu instid0(VALU_DEP_1) | instskip(SKIP_1) | instid1(SALU_CYCLE_1)
	v_cmp_ge_u32_e32 vcc_lo, v2, v3
	s_or_b32 s1, vcc_lo, s1
	s_and_not1_b32 exec_lo, exec_lo, s1
	s_cbranch_execnz .LBB2447_15
; %bb.16:
	s_or_b32 exec_lo, exec_lo, s1
.LBB2447_17:
	s_delay_alu instid0(VALU_DEP_1)
	v_add_nc_u32_e32 v2, v2, v0
	s_mov_b32 s9, -1
.LBB2447_18:
	s_delay_alu instid0(SALU_CYCLE_1)
	s_and_b32 exec_lo, exec_lo, s9
	s_cbranch_execz .LBB2447_20
; %bb.19:
	s_wait_loadcnt 0x0
	global_store_b16 v2, v1, s[6:7] scale_offset
.LBB2447_20:
	s_endpgm
	.section	.rodata,"a",@progbits
	.p2align	6, 0x0
	.amdhsa_kernel _ZN7rocprim17ROCPRIM_400000_NS6detail17trampoline_kernelINS0_14default_configENS1_38merge_sort_block_merge_config_selectorItNS0_10empty_typeEEEZZNS1_27merge_sort_block_merge_implIS3_PtPS5_jNS1_19radix_merge_compareILb0ELb0EtNS0_19identity_decomposerEEEEE10hipError_tT0_T1_T2_jT3_P12ihipStream_tbPNSt15iterator_traitsISE_E10value_typeEPNSK_ISF_E10value_typeEPSG_NS1_7vsmem_tEENKUlT_SE_SF_SG_E_clIS8_S8_S9_S9_EESD_ST_SE_SF_SG_EUlST_E1_NS1_11comp_targetILNS1_3genE0ELNS1_11target_archE4294967295ELNS1_3gpuE0ELNS1_3repE0EEENS1_36merge_oddeven_config_static_selectorELNS0_4arch9wavefront6targetE0EEEvSF_
		.amdhsa_group_segment_fixed_size 0
		.amdhsa_private_segment_fixed_size 0
		.amdhsa_kernarg_size 48
		.amdhsa_user_sgpr_count 2
		.amdhsa_user_sgpr_dispatch_ptr 0
		.amdhsa_user_sgpr_queue_ptr 0
		.amdhsa_user_sgpr_kernarg_segment_ptr 1
		.amdhsa_user_sgpr_dispatch_id 0
		.amdhsa_user_sgpr_kernarg_preload_length 0
		.amdhsa_user_sgpr_kernarg_preload_offset 0
		.amdhsa_user_sgpr_private_segment_size 0
		.amdhsa_wavefront_size32 1
		.amdhsa_uses_dynamic_stack 0
		.amdhsa_enable_private_segment 0
		.amdhsa_system_sgpr_workgroup_id_x 1
		.amdhsa_system_sgpr_workgroup_id_y 0
		.amdhsa_system_sgpr_workgroup_id_z 0
		.amdhsa_system_sgpr_workgroup_info 0
		.amdhsa_system_vgpr_workitem_id 0
		.amdhsa_next_free_vgpr 7
		.amdhsa_next_free_sgpr 16
		.amdhsa_named_barrier_count 0
		.amdhsa_reserve_vcc 1
		.amdhsa_float_round_mode_32 0
		.amdhsa_float_round_mode_16_64 0
		.amdhsa_float_denorm_mode_32 3
		.amdhsa_float_denorm_mode_16_64 3
		.amdhsa_fp16_overflow 0
		.amdhsa_memory_ordered 1
		.amdhsa_forward_progress 1
		.amdhsa_inst_pref_size 6
		.amdhsa_round_robin_scheduling 0
		.amdhsa_exception_fp_ieee_invalid_op 0
		.amdhsa_exception_fp_denorm_src 0
		.amdhsa_exception_fp_ieee_div_zero 0
		.amdhsa_exception_fp_ieee_overflow 0
		.amdhsa_exception_fp_ieee_underflow 0
		.amdhsa_exception_fp_ieee_inexact 0
		.amdhsa_exception_int_div_zero 0
	.end_amdhsa_kernel
	.section	.text._ZN7rocprim17ROCPRIM_400000_NS6detail17trampoline_kernelINS0_14default_configENS1_38merge_sort_block_merge_config_selectorItNS0_10empty_typeEEEZZNS1_27merge_sort_block_merge_implIS3_PtPS5_jNS1_19radix_merge_compareILb0ELb0EtNS0_19identity_decomposerEEEEE10hipError_tT0_T1_T2_jT3_P12ihipStream_tbPNSt15iterator_traitsISE_E10value_typeEPNSK_ISF_E10value_typeEPSG_NS1_7vsmem_tEENKUlT_SE_SF_SG_E_clIS8_S8_S9_S9_EESD_ST_SE_SF_SG_EUlST_E1_NS1_11comp_targetILNS1_3genE0ELNS1_11target_archE4294967295ELNS1_3gpuE0ELNS1_3repE0EEENS1_36merge_oddeven_config_static_selectorELNS0_4arch9wavefront6targetE0EEEvSF_,"axG",@progbits,_ZN7rocprim17ROCPRIM_400000_NS6detail17trampoline_kernelINS0_14default_configENS1_38merge_sort_block_merge_config_selectorItNS0_10empty_typeEEEZZNS1_27merge_sort_block_merge_implIS3_PtPS5_jNS1_19radix_merge_compareILb0ELb0EtNS0_19identity_decomposerEEEEE10hipError_tT0_T1_T2_jT3_P12ihipStream_tbPNSt15iterator_traitsISE_E10value_typeEPNSK_ISF_E10value_typeEPSG_NS1_7vsmem_tEENKUlT_SE_SF_SG_E_clIS8_S8_S9_S9_EESD_ST_SE_SF_SG_EUlST_E1_NS1_11comp_targetILNS1_3genE0ELNS1_11target_archE4294967295ELNS1_3gpuE0ELNS1_3repE0EEENS1_36merge_oddeven_config_static_selectorELNS0_4arch9wavefront6targetE0EEEvSF_,comdat
.Lfunc_end2447:
	.size	_ZN7rocprim17ROCPRIM_400000_NS6detail17trampoline_kernelINS0_14default_configENS1_38merge_sort_block_merge_config_selectorItNS0_10empty_typeEEEZZNS1_27merge_sort_block_merge_implIS3_PtPS5_jNS1_19radix_merge_compareILb0ELb0EtNS0_19identity_decomposerEEEEE10hipError_tT0_T1_T2_jT3_P12ihipStream_tbPNSt15iterator_traitsISE_E10value_typeEPNSK_ISF_E10value_typeEPSG_NS1_7vsmem_tEENKUlT_SE_SF_SG_E_clIS8_S8_S9_S9_EESD_ST_SE_SF_SG_EUlST_E1_NS1_11comp_targetILNS1_3genE0ELNS1_11target_archE4294967295ELNS1_3gpuE0ELNS1_3repE0EEENS1_36merge_oddeven_config_static_selectorELNS0_4arch9wavefront6targetE0EEEvSF_, .Lfunc_end2447-_ZN7rocprim17ROCPRIM_400000_NS6detail17trampoline_kernelINS0_14default_configENS1_38merge_sort_block_merge_config_selectorItNS0_10empty_typeEEEZZNS1_27merge_sort_block_merge_implIS3_PtPS5_jNS1_19radix_merge_compareILb0ELb0EtNS0_19identity_decomposerEEEEE10hipError_tT0_T1_T2_jT3_P12ihipStream_tbPNSt15iterator_traitsISE_E10value_typeEPNSK_ISF_E10value_typeEPSG_NS1_7vsmem_tEENKUlT_SE_SF_SG_E_clIS8_S8_S9_S9_EESD_ST_SE_SF_SG_EUlST_E1_NS1_11comp_targetILNS1_3genE0ELNS1_11target_archE4294967295ELNS1_3gpuE0ELNS1_3repE0EEENS1_36merge_oddeven_config_static_selectorELNS0_4arch9wavefront6targetE0EEEvSF_
                                        ; -- End function
	.set _ZN7rocprim17ROCPRIM_400000_NS6detail17trampoline_kernelINS0_14default_configENS1_38merge_sort_block_merge_config_selectorItNS0_10empty_typeEEEZZNS1_27merge_sort_block_merge_implIS3_PtPS5_jNS1_19radix_merge_compareILb0ELb0EtNS0_19identity_decomposerEEEEE10hipError_tT0_T1_T2_jT3_P12ihipStream_tbPNSt15iterator_traitsISE_E10value_typeEPNSK_ISF_E10value_typeEPSG_NS1_7vsmem_tEENKUlT_SE_SF_SG_E_clIS8_S8_S9_S9_EESD_ST_SE_SF_SG_EUlST_E1_NS1_11comp_targetILNS1_3genE0ELNS1_11target_archE4294967295ELNS1_3gpuE0ELNS1_3repE0EEENS1_36merge_oddeven_config_static_selectorELNS0_4arch9wavefront6targetE0EEEvSF_.num_vgpr, 7
	.set _ZN7rocprim17ROCPRIM_400000_NS6detail17trampoline_kernelINS0_14default_configENS1_38merge_sort_block_merge_config_selectorItNS0_10empty_typeEEEZZNS1_27merge_sort_block_merge_implIS3_PtPS5_jNS1_19radix_merge_compareILb0ELb0EtNS0_19identity_decomposerEEEEE10hipError_tT0_T1_T2_jT3_P12ihipStream_tbPNSt15iterator_traitsISE_E10value_typeEPNSK_ISF_E10value_typeEPSG_NS1_7vsmem_tEENKUlT_SE_SF_SG_E_clIS8_S8_S9_S9_EESD_ST_SE_SF_SG_EUlST_E1_NS1_11comp_targetILNS1_3genE0ELNS1_11target_archE4294967295ELNS1_3gpuE0ELNS1_3repE0EEENS1_36merge_oddeven_config_static_selectorELNS0_4arch9wavefront6targetE0EEEvSF_.num_agpr, 0
	.set _ZN7rocprim17ROCPRIM_400000_NS6detail17trampoline_kernelINS0_14default_configENS1_38merge_sort_block_merge_config_selectorItNS0_10empty_typeEEEZZNS1_27merge_sort_block_merge_implIS3_PtPS5_jNS1_19radix_merge_compareILb0ELb0EtNS0_19identity_decomposerEEEEE10hipError_tT0_T1_T2_jT3_P12ihipStream_tbPNSt15iterator_traitsISE_E10value_typeEPNSK_ISF_E10value_typeEPSG_NS1_7vsmem_tEENKUlT_SE_SF_SG_E_clIS8_S8_S9_S9_EESD_ST_SE_SF_SG_EUlST_E1_NS1_11comp_targetILNS1_3genE0ELNS1_11target_archE4294967295ELNS1_3gpuE0ELNS1_3repE0EEENS1_36merge_oddeven_config_static_selectorELNS0_4arch9wavefront6targetE0EEEvSF_.numbered_sgpr, 16
	.set _ZN7rocprim17ROCPRIM_400000_NS6detail17trampoline_kernelINS0_14default_configENS1_38merge_sort_block_merge_config_selectorItNS0_10empty_typeEEEZZNS1_27merge_sort_block_merge_implIS3_PtPS5_jNS1_19radix_merge_compareILb0ELb0EtNS0_19identity_decomposerEEEEE10hipError_tT0_T1_T2_jT3_P12ihipStream_tbPNSt15iterator_traitsISE_E10value_typeEPNSK_ISF_E10value_typeEPSG_NS1_7vsmem_tEENKUlT_SE_SF_SG_E_clIS8_S8_S9_S9_EESD_ST_SE_SF_SG_EUlST_E1_NS1_11comp_targetILNS1_3genE0ELNS1_11target_archE4294967295ELNS1_3gpuE0ELNS1_3repE0EEENS1_36merge_oddeven_config_static_selectorELNS0_4arch9wavefront6targetE0EEEvSF_.num_named_barrier, 0
	.set _ZN7rocprim17ROCPRIM_400000_NS6detail17trampoline_kernelINS0_14default_configENS1_38merge_sort_block_merge_config_selectorItNS0_10empty_typeEEEZZNS1_27merge_sort_block_merge_implIS3_PtPS5_jNS1_19radix_merge_compareILb0ELb0EtNS0_19identity_decomposerEEEEE10hipError_tT0_T1_T2_jT3_P12ihipStream_tbPNSt15iterator_traitsISE_E10value_typeEPNSK_ISF_E10value_typeEPSG_NS1_7vsmem_tEENKUlT_SE_SF_SG_E_clIS8_S8_S9_S9_EESD_ST_SE_SF_SG_EUlST_E1_NS1_11comp_targetILNS1_3genE0ELNS1_11target_archE4294967295ELNS1_3gpuE0ELNS1_3repE0EEENS1_36merge_oddeven_config_static_selectorELNS0_4arch9wavefront6targetE0EEEvSF_.private_seg_size, 0
	.set _ZN7rocprim17ROCPRIM_400000_NS6detail17trampoline_kernelINS0_14default_configENS1_38merge_sort_block_merge_config_selectorItNS0_10empty_typeEEEZZNS1_27merge_sort_block_merge_implIS3_PtPS5_jNS1_19radix_merge_compareILb0ELb0EtNS0_19identity_decomposerEEEEE10hipError_tT0_T1_T2_jT3_P12ihipStream_tbPNSt15iterator_traitsISE_E10value_typeEPNSK_ISF_E10value_typeEPSG_NS1_7vsmem_tEENKUlT_SE_SF_SG_E_clIS8_S8_S9_S9_EESD_ST_SE_SF_SG_EUlST_E1_NS1_11comp_targetILNS1_3genE0ELNS1_11target_archE4294967295ELNS1_3gpuE0ELNS1_3repE0EEENS1_36merge_oddeven_config_static_selectorELNS0_4arch9wavefront6targetE0EEEvSF_.uses_vcc, 1
	.set _ZN7rocprim17ROCPRIM_400000_NS6detail17trampoline_kernelINS0_14default_configENS1_38merge_sort_block_merge_config_selectorItNS0_10empty_typeEEEZZNS1_27merge_sort_block_merge_implIS3_PtPS5_jNS1_19radix_merge_compareILb0ELb0EtNS0_19identity_decomposerEEEEE10hipError_tT0_T1_T2_jT3_P12ihipStream_tbPNSt15iterator_traitsISE_E10value_typeEPNSK_ISF_E10value_typeEPSG_NS1_7vsmem_tEENKUlT_SE_SF_SG_E_clIS8_S8_S9_S9_EESD_ST_SE_SF_SG_EUlST_E1_NS1_11comp_targetILNS1_3genE0ELNS1_11target_archE4294967295ELNS1_3gpuE0ELNS1_3repE0EEENS1_36merge_oddeven_config_static_selectorELNS0_4arch9wavefront6targetE0EEEvSF_.uses_flat_scratch, 0
	.set _ZN7rocprim17ROCPRIM_400000_NS6detail17trampoline_kernelINS0_14default_configENS1_38merge_sort_block_merge_config_selectorItNS0_10empty_typeEEEZZNS1_27merge_sort_block_merge_implIS3_PtPS5_jNS1_19radix_merge_compareILb0ELb0EtNS0_19identity_decomposerEEEEE10hipError_tT0_T1_T2_jT3_P12ihipStream_tbPNSt15iterator_traitsISE_E10value_typeEPNSK_ISF_E10value_typeEPSG_NS1_7vsmem_tEENKUlT_SE_SF_SG_E_clIS8_S8_S9_S9_EESD_ST_SE_SF_SG_EUlST_E1_NS1_11comp_targetILNS1_3genE0ELNS1_11target_archE4294967295ELNS1_3gpuE0ELNS1_3repE0EEENS1_36merge_oddeven_config_static_selectorELNS0_4arch9wavefront6targetE0EEEvSF_.has_dyn_sized_stack, 0
	.set _ZN7rocprim17ROCPRIM_400000_NS6detail17trampoline_kernelINS0_14default_configENS1_38merge_sort_block_merge_config_selectorItNS0_10empty_typeEEEZZNS1_27merge_sort_block_merge_implIS3_PtPS5_jNS1_19radix_merge_compareILb0ELb0EtNS0_19identity_decomposerEEEEE10hipError_tT0_T1_T2_jT3_P12ihipStream_tbPNSt15iterator_traitsISE_E10value_typeEPNSK_ISF_E10value_typeEPSG_NS1_7vsmem_tEENKUlT_SE_SF_SG_E_clIS8_S8_S9_S9_EESD_ST_SE_SF_SG_EUlST_E1_NS1_11comp_targetILNS1_3genE0ELNS1_11target_archE4294967295ELNS1_3gpuE0ELNS1_3repE0EEENS1_36merge_oddeven_config_static_selectorELNS0_4arch9wavefront6targetE0EEEvSF_.has_recursion, 0
	.set _ZN7rocprim17ROCPRIM_400000_NS6detail17trampoline_kernelINS0_14default_configENS1_38merge_sort_block_merge_config_selectorItNS0_10empty_typeEEEZZNS1_27merge_sort_block_merge_implIS3_PtPS5_jNS1_19radix_merge_compareILb0ELb0EtNS0_19identity_decomposerEEEEE10hipError_tT0_T1_T2_jT3_P12ihipStream_tbPNSt15iterator_traitsISE_E10value_typeEPNSK_ISF_E10value_typeEPSG_NS1_7vsmem_tEENKUlT_SE_SF_SG_E_clIS8_S8_S9_S9_EESD_ST_SE_SF_SG_EUlST_E1_NS1_11comp_targetILNS1_3genE0ELNS1_11target_archE4294967295ELNS1_3gpuE0ELNS1_3repE0EEENS1_36merge_oddeven_config_static_selectorELNS0_4arch9wavefront6targetE0EEEvSF_.has_indirect_call, 0
	.section	.AMDGPU.csdata,"",@progbits
; Kernel info:
; codeLenInByte = 652
; TotalNumSgprs: 18
; NumVgprs: 7
; ScratchSize: 0
; MemoryBound: 0
; FloatMode: 240
; IeeeMode: 1
; LDSByteSize: 0 bytes/workgroup (compile time only)
; SGPRBlocks: 0
; VGPRBlocks: 0
; NumSGPRsForWavesPerEU: 18
; NumVGPRsForWavesPerEU: 7
; NamedBarCnt: 0
; Occupancy: 16
; WaveLimiterHint : 0
; COMPUTE_PGM_RSRC2:SCRATCH_EN: 0
; COMPUTE_PGM_RSRC2:USER_SGPR: 2
; COMPUTE_PGM_RSRC2:TRAP_HANDLER: 0
; COMPUTE_PGM_RSRC2:TGID_X_EN: 1
; COMPUTE_PGM_RSRC2:TGID_Y_EN: 0
; COMPUTE_PGM_RSRC2:TGID_Z_EN: 0
; COMPUTE_PGM_RSRC2:TIDIG_COMP_CNT: 0
	.section	.text._ZN7rocprim17ROCPRIM_400000_NS6detail17trampoline_kernelINS0_14default_configENS1_38merge_sort_block_merge_config_selectorItNS0_10empty_typeEEEZZNS1_27merge_sort_block_merge_implIS3_PtPS5_jNS1_19radix_merge_compareILb0ELb0EtNS0_19identity_decomposerEEEEE10hipError_tT0_T1_T2_jT3_P12ihipStream_tbPNSt15iterator_traitsISE_E10value_typeEPNSK_ISF_E10value_typeEPSG_NS1_7vsmem_tEENKUlT_SE_SF_SG_E_clIS8_S8_S9_S9_EESD_ST_SE_SF_SG_EUlST_E1_NS1_11comp_targetILNS1_3genE10ELNS1_11target_archE1201ELNS1_3gpuE5ELNS1_3repE0EEENS1_36merge_oddeven_config_static_selectorELNS0_4arch9wavefront6targetE0EEEvSF_,"axG",@progbits,_ZN7rocprim17ROCPRIM_400000_NS6detail17trampoline_kernelINS0_14default_configENS1_38merge_sort_block_merge_config_selectorItNS0_10empty_typeEEEZZNS1_27merge_sort_block_merge_implIS3_PtPS5_jNS1_19radix_merge_compareILb0ELb0EtNS0_19identity_decomposerEEEEE10hipError_tT0_T1_T2_jT3_P12ihipStream_tbPNSt15iterator_traitsISE_E10value_typeEPNSK_ISF_E10value_typeEPSG_NS1_7vsmem_tEENKUlT_SE_SF_SG_E_clIS8_S8_S9_S9_EESD_ST_SE_SF_SG_EUlST_E1_NS1_11comp_targetILNS1_3genE10ELNS1_11target_archE1201ELNS1_3gpuE5ELNS1_3repE0EEENS1_36merge_oddeven_config_static_selectorELNS0_4arch9wavefront6targetE0EEEvSF_,comdat
	.protected	_ZN7rocprim17ROCPRIM_400000_NS6detail17trampoline_kernelINS0_14default_configENS1_38merge_sort_block_merge_config_selectorItNS0_10empty_typeEEEZZNS1_27merge_sort_block_merge_implIS3_PtPS5_jNS1_19radix_merge_compareILb0ELb0EtNS0_19identity_decomposerEEEEE10hipError_tT0_T1_T2_jT3_P12ihipStream_tbPNSt15iterator_traitsISE_E10value_typeEPNSK_ISF_E10value_typeEPSG_NS1_7vsmem_tEENKUlT_SE_SF_SG_E_clIS8_S8_S9_S9_EESD_ST_SE_SF_SG_EUlST_E1_NS1_11comp_targetILNS1_3genE10ELNS1_11target_archE1201ELNS1_3gpuE5ELNS1_3repE0EEENS1_36merge_oddeven_config_static_selectorELNS0_4arch9wavefront6targetE0EEEvSF_ ; -- Begin function _ZN7rocprim17ROCPRIM_400000_NS6detail17trampoline_kernelINS0_14default_configENS1_38merge_sort_block_merge_config_selectorItNS0_10empty_typeEEEZZNS1_27merge_sort_block_merge_implIS3_PtPS5_jNS1_19radix_merge_compareILb0ELb0EtNS0_19identity_decomposerEEEEE10hipError_tT0_T1_T2_jT3_P12ihipStream_tbPNSt15iterator_traitsISE_E10value_typeEPNSK_ISF_E10value_typeEPSG_NS1_7vsmem_tEENKUlT_SE_SF_SG_E_clIS8_S8_S9_S9_EESD_ST_SE_SF_SG_EUlST_E1_NS1_11comp_targetILNS1_3genE10ELNS1_11target_archE1201ELNS1_3gpuE5ELNS1_3repE0EEENS1_36merge_oddeven_config_static_selectorELNS0_4arch9wavefront6targetE0EEEvSF_
	.globl	_ZN7rocprim17ROCPRIM_400000_NS6detail17trampoline_kernelINS0_14default_configENS1_38merge_sort_block_merge_config_selectorItNS0_10empty_typeEEEZZNS1_27merge_sort_block_merge_implIS3_PtPS5_jNS1_19radix_merge_compareILb0ELb0EtNS0_19identity_decomposerEEEEE10hipError_tT0_T1_T2_jT3_P12ihipStream_tbPNSt15iterator_traitsISE_E10value_typeEPNSK_ISF_E10value_typeEPSG_NS1_7vsmem_tEENKUlT_SE_SF_SG_E_clIS8_S8_S9_S9_EESD_ST_SE_SF_SG_EUlST_E1_NS1_11comp_targetILNS1_3genE10ELNS1_11target_archE1201ELNS1_3gpuE5ELNS1_3repE0EEENS1_36merge_oddeven_config_static_selectorELNS0_4arch9wavefront6targetE0EEEvSF_
	.p2align	8
	.type	_ZN7rocprim17ROCPRIM_400000_NS6detail17trampoline_kernelINS0_14default_configENS1_38merge_sort_block_merge_config_selectorItNS0_10empty_typeEEEZZNS1_27merge_sort_block_merge_implIS3_PtPS5_jNS1_19radix_merge_compareILb0ELb0EtNS0_19identity_decomposerEEEEE10hipError_tT0_T1_T2_jT3_P12ihipStream_tbPNSt15iterator_traitsISE_E10value_typeEPNSK_ISF_E10value_typeEPSG_NS1_7vsmem_tEENKUlT_SE_SF_SG_E_clIS8_S8_S9_S9_EESD_ST_SE_SF_SG_EUlST_E1_NS1_11comp_targetILNS1_3genE10ELNS1_11target_archE1201ELNS1_3gpuE5ELNS1_3repE0EEENS1_36merge_oddeven_config_static_selectorELNS0_4arch9wavefront6targetE0EEEvSF_,@function
_ZN7rocprim17ROCPRIM_400000_NS6detail17trampoline_kernelINS0_14default_configENS1_38merge_sort_block_merge_config_selectorItNS0_10empty_typeEEEZZNS1_27merge_sort_block_merge_implIS3_PtPS5_jNS1_19radix_merge_compareILb0ELb0EtNS0_19identity_decomposerEEEEE10hipError_tT0_T1_T2_jT3_P12ihipStream_tbPNSt15iterator_traitsISE_E10value_typeEPNSK_ISF_E10value_typeEPSG_NS1_7vsmem_tEENKUlT_SE_SF_SG_E_clIS8_S8_S9_S9_EESD_ST_SE_SF_SG_EUlST_E1_NS1_11comp_targetILNS1_3genE10ELNS1_11target_archE1201ELNS1_3gpuE5ELNS1_3repE0EEENS1_36merge_oddeven_config_static_selectorELNS0_4arch9wavefront6targetE0EEEvSF_: ; @_ZN7rocprim17ROCPRIM_400000_NS6detail17trampoline_kernelINS0_14default_configENS1_38merge_sort_block_merge_config_selectorItNS0_10empty_typeEEEZZNS1_27merge_sort_block_merge_implIS3_PtPS5_jNS1_19radix_merge_compareILb0ELb0EtNS0_19identity_decomposerEEEEE10hipError_tT0_T1_T2_jT3_P12ihipStream_tbPNSt15iterator_traitsISE_E10value_typeEPNSK_ISF_E10value_typeEPSG_NS1_7vsmem_tEENKUlT_SE_SF_SG_E_clIS8_S8_S9_S9_EESD_ST_SE_SF_SG_EUlST_E1_NS1_11comp_targetILNS1_3genE10ELNS1_11target_archE1201ELNS1_3gpuE5ELNS1_3repE0EEENS1_36merge_oddeven_config_static_selectorELNS0_4arch9wavefront6targetE0EEEvSF_
; %bb.0:
	.section	.rodata,"a",@progbits
	.p2align	6, 0x0
	.amdhsa_kernel _ZN7rocprim17ROCPRIM_400000_NS6detail17trampoline_kernelINS0_14default_configENS1_38merge_sort_block_merge_config_selectorItNS0_10empty_typeEEEZZNS1_27merge_sort_block_merge_implIS3_PtPS5_jNS1_19radix_merge_compareILb0ELb0EtNS0_19identity_decomposerEEEEE10hipError_tT0_T1_T2_jT3_P12ihipStream_tbPNSt15iterator_traitsISE_E10value_typeEPNSK_ISF_E10value_typeEPSG_NS1_7vsmem_tEENKUlT_SE_SF_SG_E_clIS8_S8_S9_S9_EESD_ST_SE_SF_SG_EUlST_E1_NS1_11comp_targetILNS1_3genE10ELNS1_11target_archE1201ELNS1_3gpuE5ELNS1_3repE0EEENS1_36merge_oddeven_config_static_selectorELNS0_4arch9wavefront6targetE0EEEvSF_
		.amdhsa_group_segment_fixed_size 0
		.amdhsa_private_segment_fixed_size 0
		.amdhsa_kernarg_size 48
		.amdhsa_user_sgpr_count 2
		.amdhsa_user_sgpr_dispatch_ptr 0
		.amdhsa_user_sgpr_queue_ptr 0
		.amdhsa_user_sgpr_kernarg_segment_ptr 1
		.amdhsa_user_sgpr_dispatch_id 0
		.amdhsa_user_sgpr_kernarg_preload_length 0
		.amdhsa_user_sgpr_kernarg_preload_offset 0
		.amdhsa_user_sgpr_private_segment_size 0
		.amdhsa_wavefront_size32 1
		.amdhsa_uses_dynamic_stack 0
		.amdhsa_enable_private_segment 0
		.amdhsa_system_sgpr_workgroup_id_x 1
		.amdhsa_system_sgpr_workgroup_id_y 0
		.amdhsa_system_sgpr_workgroup_id_z 0
		.amdhsa_system_sgpr_workgroup_info 0
		.amdhsa_system_vgpr_workitem_id 0
		.amdhsa_next_free_vgpr 1
		.amdhsa_next_free_sgpr 1
		.amdhsa_named_barrier_count 0
		.amdhsa_reserve_vcc 0
		.amdhsa_float_round_mode_32 0
		.amdhsa_float_round_mode_16_64 0
		.amdhsa_float_denorm_mode_32 3
		.amdhsa_float_denorm_mode_16_64 3
		.amdhsa_fp16_overflow 0
		.amdhsa_memory_ordered 1
		.amdhsa_forward_progress 1
		.amdhsa_inst_pref_size 0
		.amdhsa_round_robin_scheduling 0
		.amdhsa_exception_fp_ieee_invalid_op 0
		.amdhsa_exception_fp_denorm_src 0
		.amdhsa_exception_fp_ieee_div_zero 0
		.amdhsa_exception_fp_ieee_overflow 0
		.amdhsa_exception_fp_ieee_underflow 0
		.amdhsa_exception_fp_ieee_inexact 0
		.amdhsa_exception_int_div_zero 0
	.end_amdhsa_kernel
	.section	.text._ZN7rocprim17ROCPRIM_400000_NS6detail17trampoline_kernelINS0_14default_configENS1_38merge_sort_block_merge_config_selectorItNS0_10empty_typeEEEZZNS1_27merge_sort_block_merge_implIS3_PtPS5_jNS1_19radix_merge_compareILb0ELb0EtNS0_19identity_decomposerEEEEE10hipError_tT0_T1_T2_jT3_P12ihipStream_tbPNSt15iterator_traitsISE_E10value_typeEPNSK_ISF_E10value_typeEPSG_NS1_7vsmem_tEENKUlT_SE_SF_SG_E_clIS8_S8_S9_S9_EESD_ST_SE_SF_SG_EUlST_E1_NS1_11comp_targetILNS1_3genE10ELNS1_11target_archE1201ELNS1_3gpuE5ELNS1_3repE0EEENS1_36merge_oddeven_config_static_selectorELNS0_4arch9wavefront6targetE0EEEvSF_,"axG",@progbits,_ZN7rocprim17ROCPRIM_400000_NS6detail17trampoline_kernelINS0_14default_configENS1_38merge_sort_block_merge_config_selectorItNS0_10empty_typeEEEZZNS1_27merge_sort_block_merge_implIS3_PtPS5_jNS1_19radix_merge_compareILb0ELb0EtNS0_19identity_decomposerEEEEE10hipError_tT0_T1_T2_jT3_P12ihipStream_tbPNSt15iterator_traitsISE_E10value_typeEPNSK_ISF_E10value_typeEPSG_NS1_7vsmem_tEENKUlT_SE_SF_SG_E_clIS8_S8_S9_S9_EESD_ST_SE_SF_SG_EUlST_E1_NS1_11comp_targetILNS1_3genE10ELNS1_11target_archE1201ELNS1_3gpuE5ELNS1_3repE0EEENS1_36merge_oddeven_config_static_selectorELNS0_4arch9wavefront6targetE0EEEvSF_,comdat
.Lfunc_end2448:
	.size	_ZN7rocprim17ROCPRIM_400000_NS6detail17trampoline_kernelINS0_14default_configENS1_38merge_sort_block_merge_config_selectorItNS0_10empty_typeEEEZZNS1_27merge_sort_block_merge_implIS3_PtPS5_jNS1_19radix_merge_compareILb0ELb0EtNS0_19identity_decomposerEEEEE10hipError_tT0_T1_T2_jT3_P12ihipStream_tbPNSt15iterator_traitsISE_E10value_typeEPNSK_ISF_E10value_typeEPSG_NS1_7vsmem_tEENKUlT_SE_SF_SG_E_clIS8_S8_S9_S9_EESD_ST_SE_SF_SG_EUlST_E1_NS1_11comp_targetILNS1_3genE10ELNS1_11target_archE1201ELNS1_3gpuE5ELNS1_3repE0EEENS1_36merge_oddeven_config_static_selectorELNS0_4arch9wavefront6targetE0EEEvSF_, .Lfunc_end2448-_ZN7rocprim17ROCPRIM_400000_NS6detail17trampoline_kernelINS0_14default_configENS1_38merge_sort_block_merge_config_selectorItNS0_10empty_typeEEEZZNS1_27merge_sort_block_merge_implIS3_PtPS5_jNS1_19radix_merge_compareILb0ELb0EtNS0_19identity_decomposerEEEEE10hipError_tT0_T1_T2_jT3_P12ihipStream_tbPNSt15iterator_traitsISE_E10value_typeEPNSK_ISF_E10value_typeEPSG_NS1_7vsmem_tEENKUlT_SE_SF_SG_E_clIS8_S8_S9_S9_EESD_ST_SE_SF_SG_EUlST_E1_NS1_11comp_targetILNS1_3genE10ELNS1_11target_archE1201ELNS1_3gpuE5ELNS1_3repE0EEENS1_36merge_oddeven_config_static_selectorELNS0_4arch9wavefront6targetE0EEEvSF_
                                        ; -- End function
	.set _ZN7rocprim17ROCPRIM_400000_NS6detail17trampoline_kernelINS0_14default_configENS1_38merge_sort_block_merge_config_selectorItNS0_10empty_typeEEEZZNS1_27merge_sort_block_merge_implIS3_PtPS5_jNS1_19radix_merge_compareILb0ELb0EtNS0_19identity_decomposerEEEEE10hipError_tT0_T1_T2_jT3_P12ihipStream_tbPNSt15iterator_traitsISE_E10value_typeEPNSK_ISF_E10value_typeEPSG_NS1_7vsmem_tEENKUlT_SE_SF_SG_E_clIS8_S8_S9_S9_EESD_ST_SE_SF_SG_EUlST_E1_NS1_11comp_targetILNS1_3genE10ELNS1_11target_archE1201ELNS1_3gpuE5ELNS1_3repE0EEENS1_36merge_oddeven_config_static_selectorELNS0_4arch9wavefront6targetE0EEEvSF_.num_vgpr, 0
	.set _ZN7rocprim17ROCPRIM_400000_NS6detail17trampoline_kernelINS0_14default_configENS1_38merge_sort_block_merge_config_selectorItNS0_10empty_typeEEEZZNS1_27merge_sort_block_merge_implIS3_PtPS5_jNS1_19radix_merge_compareILb0ELb0EtNS0_19identity_decomposerEEEEE10hipError_tT0_T1_T2_jT3_P12ihipStream_tbPNSt15iterator_traitsISE_E10value_typeEPNSK_ISF_E10value_typeEPSG_NS1_7vsmem_tEENKUlT_SE_SF_SG_E_clIS8_S8_S9_S9_EESD_ST_SE_SF_SG_EUlST_E1_NS1_11comp_targetILNS1_3genE10ELNS1_11target_archE1201ELNS1_3gpuE5ELNS1_3repE0EEENS1_36merge_oddeven_config_static_selectorELNS0_4arch9wavefront6targetE0EEEvSF_.num_agpr, 0
	.set _ZN7rocprim17ROCPRIM_400000_NS6detail17trampoline_kernelINS0_14default_configENS1_38merge_sort_block_merge_config_selectorItNS0_10empty_typeEEEZZNS1_27merge_sort_block_merge_implIS3_PtPS5_jNS1_19radix_merge_compareILb0ELb0EtNS0_19identity_decomposerEEEEE10hipError_tT0_T1_T2_jT3_P12ihipStream_tbPNSt15iterator_traitsISE_E10value_typeEPNSK_ISF_E10value_typeEPSG_NS1_7vsmem_tEENKUlT_SE_SF_SG_E_clIS8_S8_S9_S9_EESD_ST_SE_SF_SG_EUlST_E1_NS1_11comp_targetILNS1_3genE10ELNS1_11target_archE1201ELNS1_3gpuE5ELNS1_3repE0EEENS1_36merge_oddeven_config_static_selectorELNS0_4arch9wavefront6targetE0EEEvSF_.numbered_sgpr, 0
	.set _ZN7rocprim17ROCPRIM_400000_NS6detail17trampoline_kernelINS0_14default_configENS1_38merge_sort_block_merge_config_selectorItNS0_10empty_typeEEEZZNS1_27merge_sort_block_merge_implIS3_PtPS5_jNS1_19radix_merge_compareILb0ELb0EtNS0_19identity_decomposerEEEEE10hipError_tT0_T1_T2_jT3_P12ihipStream_tbPNSt15iterator_traitsISE_E10value_typeEPNSK_ISF_E10value_typeEPSG_NS1_7vsmem_tEENKUlT_SE_SF_SG_E_clIS8_S8_S9_S9_EESD_ST_SE_SF_SG_EUlST_E1_NS1_11comp_targetILNS1_3genE10ELNS1_11target_archE1201ELNS1_3gpuE5ELNS1_3repE0EEENS1_36merge_oddeven_config_static_selectorELNS0_4arch9wavefront6targetE0EEEvSF_.num_named_barrier, 0
	.set _ZN7rocprim17ROCPRIM_400000_NS6detail17trampoline_kernelINS0_14default_configENS1_38merge_sort_block_merge_config_selectorItNS0_10empty_typeEEEZZNS1_27merge_sort_block_merge_implIS3_PtPS5_jNS1_19radix_merge_compareILb0ELb0EtNS0_19identity_decomposerEEEEE10hipError_tT0_T1_T2_jT3_P12ihipStream_tbPNSt15iterator_traitsISE_E10value_typeEPNSK_ISF_E10value_typeEPSG_NS1_7vsmem_tEENKUlT_SE_SF_SG_E_clIS8_S8_S9_S9_EESD_ST_SE_SF_SG_EUlST_E1_NS1_11comp_targetILNS1_3genE10ELNS1_11target_archE1201ELNS1_3gpuE5ELNS1_3repE0EEENS1_36merge_oddeven_config_static_selectorELNS0_4arch9wavefront6targetE0EEEvSF_.private_seg_size, 0
	.set _ZN7rocprim17ROCPRIM_400000_NS6detail17trampoline_kernelINS0_14default_configENS1_38merge_sort_block_merge_config_selectorItNS0_10empty_typeEEEZZNS1_27merge_sort_block_merge_implIS3_PtPS5_jNS1_19radix_merge_compareILb0ELb0EtNS0_19identity_decomposerEEEEE10hipError_tT0_T1_T2_jT3_P12ihipStream_tbPNSt15iterator_traitsISE_E10value_typeEPNSK_ISF_E10value_typeEPSG_NS1_7vsmem_tEENKUlT_SE_SF_SG_E_clIS8_S8_S9_S9_EESD_ST_SE_SF_SG_EUlST_E1_NS1_11comp_targetILNS1_3genE10ELNS1_11target_archE1201ELNS1_3gpuE5ELNS1_3repE0EEENS1_36merge_oddeven_config_static_selectorELNS0_4arch9wavefront6targetE0EEEvSF_.uses_vcc, 0
	.set _ZN7rocprim17ROCPRIM_400000_NS6detail17trampoline_kernelINS0_14default_configENS1_38merge_sort_block_merge_config_selectorItNS0_10empty_typeEEEZZNS1_27merge_sort_block_merge_implIS3_PtPS5_jNS1_19radix_merge_compareILb0ELb0EtNS0_19identity_decomposerEEEEE10hipError_tT0_T1_T2_jT3_P12ihipStream_tbPNSt15iterator_traitsISE_E10value_typeEPNSK_ISF_E10value_typeEPSG_NS1_7vsmem_tEENKUlT_SE_SF_SG_E_clIS8_S8_S9_S9_EESD_ST_SE_SF_SG_EUlST_E1_NS1_11comp_targetILNS1_3genE10ELNS1_11target_archE1201ELNS1_3gpuE5ELNS1_3repE0EEENS1_36merge_oddeven_config_static_selectorELNS0_4arch9wavefront6targetE0EEEvSF_.uses_flat_scratch, 0
	.set _ZN7rocprim17ROCPRIM_400000_NS6detail17trampoline_kernelINS0_14default_configENS1_38merge_sort_block_merge_config_selectorItNS0_10empty_typeEEEZZNS1_27merge_sort_block_merge_implIS3_PtPS5_jNS1_19radix_merge_compareILb0ELb0EtNS0_19identity_decomposerEEEEE10hipError_tT0_T1_T2_jT3_P12ihipStream_tbPNSt15iterator_traitsISE_E10value_typeEPNSK_ISF_E10value_typeEPSG_NS1_7vsmem_tEENKUlT_SE_SF_SG_E_clIS8_S8_S9_S9_EESD_ST_SE_SF_SG_EUlST_E1_NS1_11comp_targetILNS1_3genE10ELNS1_11target_archE1201ELNS1_3gpuE5ELNS1_3repE0EEENS1_36merge_oddeven_config_static_selectorELNS0_4arch9wavefront6targetE0EEEvSF_.has_dyn_sized_stack, 0
	.set _ZN7rocprim17ROCPRIM_400000_NS6detail17trampoline_kernelINS0_14default_configENS1_38merge_sort_block_merge_config_selectorItNS0_10empty_typeEEEZZNS1_27merge_sort_block_merge_implIS3_PtPS5_jNS1_19radix_merge_compareILb0ELb0EtNS0_19identity_decomposerEEEEE10hipError_tT0_T1_T2_jT3_P12ihipStream_tbPNSt15iterator_traitsISE_E10value_typeEPNSK_ISF_E10value_typeEPSG_NS1_7vsmem_tEENKUlT_SE_SF_SG_E_clIS8_S8_S9_S9_EESD_ST_SE_SF_SG_EUlST_E1_NS1_11comp_targetILNS1_3genE10ELNS1_11target_archE1201ELNS1_3gpuE5ELNS1_3repE0EEENS1_36merge_oddeven_config_static_selectorELNS0_4arch9wavefront6targetE0EEEvSF_.has_recursion, 0
	.set _ZN7rocprim17ROCPRIM_400000_NS6detail17trampoline_kernelINS0_14default_configENS1_38merge_sort_block_merge_config_selectorItNS0_10empty_typeEEEZZNS1_27merge_sort_block_merge_implIS3_PtPS5_jNS1_19radix_merge_compareILb0ELb0EtNS0_19identity_decomposerEEEEE10hipError_tT0_T1_T2_jT3_P12ihipStream_tbPNSt15iterator_traitsISE_E10value_typeEPNSK_ISF_E10value_typeEPSG_NS1_7vsmem_tEENKUlT_SE_SF_SG_E_clIS8_S8_S9_S9_EESD_ST_SE_SF_SG_EUlST_E1_NS1_11comp_targetILNS1_3genE10ELNS1_11target_archE1201ELNS1_3gpuE5ELNS1_3repE0EEENS1_36merge_oddeven_config_static_selectorELNS0_4arch9wavefront6targetE0EEEvSF_.has_indirect_call, 0
	.section	.AMDGPU.csdata,"",@progbits
; Kernel info:
; codeLenInByte = 0
; TotalNumSgprs: 0
; NumVgprs: 0
; ScratchSize: 0
; MemoryBound: 0
; FloatMode: 240
; IeeeMode: 1
; LDSByteSize: 0 bytes/workgroup (compile time only)
; SGPRBlocks: 0
; VGPRBlocks: 0
; NumSGPRsForWavesPerEU: 1
; NumVGPRsForWavesPerEU: 1
; NamedBarCnt: 0
; Occupancy: 16
; WaveLimiterHint : 0
; COMPUTE_PGM_RSRC2:SCRATCH_EN: 0
; COMPUTE_PGM_RSRC2:USER_SGPR: 2
; COMPUTE_PGM_RSRC2:TRAP_HANDLER: 0
; COMPUTE_PGM_RSRC2:TGID_X_EN: 1
; COMPUTE_PGM_RSRC2:TGID_Y_EN: 0
; COMPUTE_PGM_RSRC2:TGID_Z_EN: 0
; COMPUTE_PGM_RSRC2:TIDIG_COMP_CNT: 0
	.section	.text._ZN7rocprim17ROCPRIM_400000_NS6detail17trampoline_kernelINS0_14default_configENS1_38merge_sort_block_merge_config_selectorItNS0_10empty_typeEEEZZNS1_27merge_sort_block_merge_implIS3_PtPS5_jNS1_19radix_merge_compareILb0ELb0EtNS0_19identity_decomposerEEEEE10hipError_tT0_T1_T2_jT3_P12ihipStream_tbPNSt15iterator_traitsISE_E10value_typeEPNSK_ISF_E10value_typeEPSG_NS1_7vsmem_tEENKUlT_SE_SF_SG_E_clIS8_S8_S9_S9_EESD_ST_SE_SF_SG_EUlST_E1_NS1_11comp_targetILNS1_3genE5ELNS1_11target_archE942ELNS1_3gpuE9ELNS1_3repE0EEENS1_36merge_oddeven_config_static_selectorELNS0_4arch9wavefront6targetE0EEEvSF_,"axG",@progbits,_ZN7rocprim17ROCPRIM_400000_NS6detail17trampoline_kernelINS0_14default_configENS1_38merge_sort_block_merge_config_selectorItNS0_10empty_typeEEEZZNS1_27merge_sort_block_merge_implIS3_PtPS5_jNS1_19radix_merge_compareILb0ELb0EtNS0_19identity_decomposerEEEEE10hipError_tT0_T1_T2_jT3_P12ihipStream_tbPNSt15iterator_traitsISE_E10value_typeEPNSK_ISF_E10value_typeEPSG_NS1_7vsmem_tEENKUlT_SE_SF_SG_E_clIS8_S8_S9_S9_EESD_ST_SE_SF_SG_EUlST_E1_NS1_11comp_targetILNS1_3genE5ELNS1_11target_archE942ELNS1_3gpuE9ELNS1_3repE0EEENS1_36merge_oddeven_config_static_selectorELNS0_4arch9wavefront6targetE0EEEvSF_,comdat
	.protected	_ZN7rocprim17ROCPRIM_400000_NS6detail17trampoline_kernelINS0_14default_configENS1_38merge_sort_block_merge_config_selectorItNS0_10empty_typeEEEZZNS1_27merge_sort_block_merge_implIS3_PtPS5_jNS1_19radix_merge_compareILb0ELb0EtNS0_19identity_decomposerEEEEE10hipError_tT0_T1_T2_jT3_P12ihipStream_tbPNSt15iterator_traitsISE_E10value_typeEPNSK_ISF_E10value_typeEPSG_NS1_7vsmem_tEENKUlT_SE_SF_SG_E_clIS8_S8_S9_S9_EESD_ST_SE_SF_SG_EUlST_E1_NS1_11comp_targetILNS1_3genE5ELNS1_11target_archE942ELNS1_3gpuE9ELNS1_3repE0EEENS1_36merge_oddeven_config_static_selectorELNS0_4arch9wavefront6targetE0EEEvSF_ ; -- Begin function _ZN7rocprim17ROCPRIM_400000_NS6detail17trampoline_kernelINS0_14default_configENS1_38merge_sort_block_merge_config_selectorItNS0_10empty_typeEEEZZNS1_27merge_sort_block_merge_implIS3_PtPS5_jNS1_19radix_merge_compareILb0ELb0EtNS0_19identity_decomposerEEEEE10hipError_tT0_T1_T2_jT3_P12ihipStream_tbPNSt15iterator_traitsISE_E10value_typeEPNSK_ISF_E10value_typeEPSG_NS1_7vsmem_tEENKUlT_SE_SF_SG_E_clIS8_S8_S9_S9_EESD_ST_SE_SF_SG_EUlST_E1_NS1_11comp_targetILNS1_3genE5ELNS1_11target_archE942ELNS1_3gpuE9ELNS1_3repE0EEENS1_36merge_oddeven_config_static_selectorELNS0_4arch9wavefront6targetE0EEEvSF_
	.globl	_ZN7rocprim17ROCPRIM_400000_NS6detail17trampoline_kernelINS0_14default_configENS1_38merge_sort_block_merge_config_selectorItNS0_10empty_typeEEEZZNS1_27merge_sort_block_merge_implIS3_PtPS5_jNS1_19radix_merge_compareILb0ELb0EtNS0_19identity_decomposerEEEEE10hipError_tT0_T1_T2_jT3_P12ihipStream_tbPNSt15iterator_traitsISE_E10value_typeEPNSK_ISF_E10value_typeEPSG_NS1_7vsmem_tEENKUlT_SE_SF_SG_E_clIS8_S8_S9_S9_EESD_ST_SE_SF_SG_EUlST_E1_NS1_11comp_targetILNS1_3genE5ELNS1_11target_archE942ELNS1_3gpuE9ELNS1_3repE0EEENS1_36merge_oddeven_config_static_selectorELNS0_4arch9wavefront6targetE0EEEvSF_
	.p2align	8
	.type	_ZN7rocprim17ROCPRIM_400000_NS6detail17trampoline_kernelINS0_14default_configENS1_38merge_sort_block_merge_config_selectorItNS0_10empty_typeEEEZZNS1_27merge_sort_block_merge_implIS3_PtPS5_jNS1_19radix_merge_compareILb0ELb0EtNS0_19identity_decomposerEEEEE10hipError_tT0_T1_T2_jT3_P12ihipStream_tbPNSt15iterator_traitsISE_E10value_typeEPNSK_ISF_E10value_typeEPSG_NS1_7vsmem_tEENKUlT_SE_SF_SG_E_clIS8_S8_S9_S9_EESD_ST_SE_SF_SG_EUlST_E1_NS1_11comp_targetILNS1_3genE5ELNS1_11target_archE942ELNS1_3gpuE9ELNS1_3repE0EEENS1_36merge_oddeven_config_static_selectorELNS0_4arch9wavefront6targetE0EEEvSF_,@function
_ZN7rocprim17ROCPRIM_400000_NS6detail17trampoline_kernelINS0_14default_configENS1_38merge_sort_block_merge_config_selectorItNS0_10empty_typeEEEZZNS1_27merge_sort_block_merge_implIS3_PtPS5_jNS1_19radix_merge_compareILb0ELb0EtNS0_19identity_decomposerEEEEE10hipError_tT0_T1_T2_jT3_P12ihipStream_tbPNSt15iterator_traitsISE_E10value_typeEPNSK_ISF_E10value_typeEPSG_NS1_7vsmem_tEENKUlT_SE_SF_SG_E_clIS8_S8_S9_S9_EESD_ST_SE_SF_SG_EUlST_E1_NS1_11comp_targetILNS1_3genE5ELNS1_11target_archE942ELNS1_3gpuE9ELNS1_3repE0EEENS1_36merge_oddeven_config_static_selectorELNS0_4arch9wavefront6targetE0EEEvSF_: ; @_ZN7rocprim17ROCPRIM_400000_NS6detail17trampoline_kernelINS0_14default_configENS1_38merge_sort_block_merge_config_selectorItNS0_10empty_typeEEEZZNS1_27merge_sort_block_merge_implIS3_PtPS5_jNS1_19radix_merge_compareILb0ELb0EtNS0_19identity_decomposerEEEEE10hipError_tT0_T1_T2_jT3_P12ihipStream_tbPNSt15iterator_traitsISE_E10value_typeEPNSK_ISF_E10value_typeEPSG_NS1_7vsmem_tEENKUlT_SE_SF_SG_E_clIS8_S8_S9_S9_EESD_ST_SE_SF_SG_EUlST_E1_NS1_11comp_targetILNS1_3genE5ELNS1_11target_archE942ELNS1_3gpuE9ELNS1_3repE0EEENS1_36merge_oddeven_config_static_selectorELNS0_4arch9wavefront6targetE0EEEvSF_
; %bb.0:
	.section	.rodata,"a",@progbits
	.p2align	6, 0x0
	.amdhsa_kernel _ZN7rocprim17ROCPRIM_400000_NS6detail17trampoline_kernelINS0_14default_configENS1_38merge_sort_block_merge_config_selectorItNS0_10empty_typeEEEZZNS1_27merge_sort_block_merge_implIS3_PtPS5_jNS1_19radix_merge_compareILb0ELb0EtNS0_19identity_decomposerEEEEE10hipError_tT0_T1_T2_jT3_P12ihipStream_tbPNSt15iterator_traitsISE_E10value_typeEPNSK_ISF_E10value_typeEPSG_NS1_7vsmem_tEENKUlT_SE_SF_SG_E_clIS8_S8_S9_S9_EESD_ST_SE_SF_SG_EUlST_E1_NS1_11comp_targetILNS1_3genE5ELNS1_11target_archE942ELNS1_3gpuE9ELNS1_3repE0EEENS1_36merge_oddeven_config_static_selectorELNS0_4arch9wavefront6targetE0EEEvSF_
		.amdhsa_group_segment_fixed_size 0
		.amdhsa_private_segment_fixed_size 0
		.amdhsa_kernarg_size 48
		.amdhsa_user_sgpr_count 2
		.amdhsa_user_sgpr_dispatch_ptr 0
		.amdhsa_user_sgpr_queue_ptr 0
		.amdhsa_user_sgpr_kernarg_segment_ptr 1
		.amdhsa_user_sgpr_dispatch_id 0
		.amdhsa_user_sgpr_kernarg_preload_length 0
		.amdhsa_user_sgpr_kernarg_preload_offset 0
		.amdhsa_user_sgpr_private_segment_size 0
		.amdhsa_wavefront_size32 1
		.amdhsa_uses_dynamic_stack 0
		.amdhsa_enable_private_segment 0
		.amdhsa_system_sgpr_workgroup_id_x 1
		.amdhsa_system_sgpr_workgroup_id_y 0
		.amdhsa_system_sgpr_workgroup_id_z 0
		.amdhsa_system_sgpr_workgroup_info 0
		.amdhsa_system_vgpr_workitem_id 0
		.amdhsa_next_free_vgpr 1
		.amdhsa_next_free_sgpr 1
		.amdhsa_named_barrier_count 0
		.amdhsa_reserve_vcc 0
		.amdhsa_float_round_mode_32 0
		.amdhsa_float_round_mode_16_64 0
		.amdhsa_float_denorm_mode_32 3
		.amdhsa_float_denorm_mode_16_64 3
		.amdhsa_fp16_overflow 0
		.amdhsa_memory_ordered 1
		.amdhsa_forward_progress 1
		.amdhsa_inst_pref_size 0
		.amdhsa_round_robin_scheduling 0
		.amdhsa_exception_fp_ieee_invalid_op 0
		.amdhsa_exception_fp_denorm_src 0
		.amdhsa_exception_fp_ieee_div_zero 0
		.amdhsa_exception_fp_ieee_overflow 0
		.amdhsa_exception_fp_ieee_underflow 0
		.amdhsa_exception_fp_ieee_inexact 0
		.amdhsa_exception_int_div_zero 0
	.end_amdhsa_kernel
	.section	.text._ZN7rocprim17ROCPRIM_400000_NS6detail17trampoline_kernelINS0_14default_configENS1_38merge_sort_block_merge_config_selectorItNS0_10empty_typeEEEZZNS1_27merge_sort_block_merge_implIS3_PtPS5_jNS1_19radix_merge_compareILb0ELb0EtNS0_19identity_decomposerEEEEE10hipError_tT0_T1_T2_jT3_P12ihipStream_tbPNSt15iterator_traitsISE_E10value_typeEPNSK_ISF_E10value_typeEPSG_NS1_7vsmem_tEENKUlT_SE_SF_SG_E_clIS8_S8_S9_S9_EESD_ST_SE_SF_SG_EUlST_E1_NS1_11comp_targetILNS1_3genE5ELNS1_11target_archE942ELNS1_3gpuE9ELNS1_3repE0EEENS1_36merge_oddeven_config_static_selectorELNS0_4arch9wavefront6targetE0EEEvSF_,"axG",@progbits,_ZN7rocprim17ROCPRIM_400000_NS6detail17trampoline_kernelINS0_14default_configENS1_38merge_sort_block_merge_config_selectorItNS0_10empty_typeEEEZZNS1_27merge_sort_block_merge_implIS3_PtPS5_jNS1_19radix_merge_compareILb0ELb0EtNS0_19identity_decomposerEEEEE10hipError_tT0_T1_T2_jT3_P12ihipStream_tbPNSt15iterator_traitsISE_E10value_typeEPNSK_ISF_E10value_typeEPSG_NS1_7vsmem_tEENKUlT_SE_SF_SG_E_clIS8_S8_S9_S9_EESD_ST_SE_SF_SG_EUlST_E1_NS1_11comp_targetILNS1_3genE5ELNS1_11target_archE942ELNS1_3gpuE9ELNS1_3repE0EEENS1_36merge_oddeven_config_static_selectorELNS0_4arch9wavefront6targetE0EEEvSF_,comdat
.Lfunc_end2449:
	.size	_ZN7rocprim17ROCPRIM_400000_NS6detail17trampoline_kernelINS0_14default_configENS1_38merge_sort_block_merge_config_selectorItNS0_10empty_typeEEEZZNS1_27merge_sort_block_merge_implIS3_PtPS5_jNS1_19radix_merge_compareILb0ELb0EtNS0_19identity_decomposerEEEEE10hipError_tT0_T1_T2_jT3_P12ihipStream_tbPNSt15iterator_traitsISE_E10value_typeEPNSK_ISF_E10value_typeEPSG_NS1_7vsmem_tEENKUlT_SE_SF_SG_E_clIS8_S8_S9_S9_EESD_ST_SE_SF_SG_EUlST_E1_NS1_11comp_targetILNS1_3genE5ELNS1_11target_archE942ELNS1_3gpuE9ELNS1_3repE0EEENS1_36merge_oddeven_config_static_selectorELNS0_4arch9wavefront6targetE0EEEvSF_, .Lfunc_end2449-_ZN7rocprim17ROCPRIM_400000_NS6detail17trampoline_kernelINS0_14default_configENS1_38merge_sort_block_merge_config_selectorItNS0_10empty_typeEEEZZNS1_27merge_sort_block_merge_implIS3_PtPS5_jNS1_19radix_merge_compareILb0ELb0EtNS0_19identity_decomposerEEEEE10hipError_tT0_T1_T2_jT3_P12ihipStream_tbPNSt15iterator_traitsISE_E10value_typeEPNSK_ISF_E10value_typeEPSG_NS1_7vsmem_tEENKUlT_SE_SF_SG_E_clIS8_S8_S9_S9_EESD_ST_SE_SF_SG_EUlST_E1_NS1_11comp_targetILNS1_3genE5ELNS1_11target_archE942ELNS1_3gpuE9ELNS1_3repE0EEENS1_36merge_oddeven_config_static_selectorELNS0_4arch9wavefront6targetE0EEEvSF_
                                        ; -- End function
	.set _ZN7rocprim17ROCPRIM_400000_NS6detail17trampoline_kernelINS0_14default_configENS1_38merge_sort_block_merge_config_selectorItNS0_10empty_typeEEEZZNS1_27merge_sort_block_merge_implIS3_PtPS5_jNS1_19radix_merge_compareILb0ELb0EtNS0_19identity_decomposerEEEEE10hipError_tT0_T1_T2_jT3_P12ihipStream_tbPNSt15iterator_traitsISE_E10value_typeEPNSK_ISF_E10value_typeEPSG_NS1_7vsmem_tEENKUlT_SE_SF_SG_E_clIS8_S8_S9_S9_EESD_ST_SE_SF_SG_EUlST_E1_NS1_11comp_targetILNS1_3genE5ELNS1_11target_archE942ELNS1_3gpuE9ELNS1_3repE0EEENS1_36merge_oddeven_config_static_selectorELNS0_4arch9wavefront6targetE0EEEvSF_.num_vgpr, 0
	.set _ZN7rocprim17ROCPRIM_400000_NS6detail17trampoline_kernelINS0_14default_configENS1_38merge_sort_block_merge_config_selectorItNS0_10empty_typeEEEZZNS1_27merge_sort_block_merge_implIS3_PtPS5_jNS1_19radix_merge_compareILb0ELb0EtNS0_19identity_decomposerEEEEE10hipError_tT0_T1_T2_jT3_P12ihipStream_tbPNSt15iterator_traitsISE_E10value_typeEPNSK_ISF_E10value_typeEPSG_NS1_7vsmem_tEENKUlT_SE_SF_SG_E_clIS8_S8_S9_S9_EESD_ST_SE_SF_SG_EUlST_E1_NS1_11comp_targetILNS1_3genE5ELNS1_11target_archE942ELNS1_3gpuE9ELNS1_3repE0EEENS1_36merge_oddeven_config_static_selectorELNS0_4arch9wavefront6targetE0EEEvSF_.num_agpr, 0
	.set _ZN7rocprim17ROCPRIM_400000_NS6detail17trampoline_kernelINS0_14default_configENS1_38merge_sort_block_merge_config_selectorItNS0_10empty_typeEEEZZNS1_27merge_sort_block_merge_implIS3_PtPS5_jNS1_19radix_merge_compareILb0ELb0EtNS0_19identity_decomposerEEEEE10hipError_tT0_T1_T2_jT3_P12ihipStream_tbPNSt15iterator_traitsISE_E10value_typeEPNSK_ISF_E10value_typeEPSG_NS1_7vsmem_tEENKUlT_SE_SF_SG_E_clIS8_S8_S9_S9_EESD_ST_SE_SF_SG_EUlST_E1_NS1_11comp_targetILNS1_3genE5ELNS1_11target_archE942ELNS1_3gpuE9ELNS1_3repE0EEENS1_36merge_oddeven_config_static_selectorELNS0_4arch9wavefront6targetE0EEEvSF_.numbered_sgpr, 0
	.set _ZN7rocprim17ROCPRIM_400000_NS6detail17trampoline_kernelINS0_14default_configENS1_38merge_sort_block_merge_config_selectorItNS0_10empty_typeEEEZZNS1_27merge_sort_block_merge_implIS3_PtPS5_jNS1_19radix_merge_compareILb0ELb0EtNS0_19identity_decomposerEEEEE10hipError_tT0_T1_T2_jT3_P12ihipStream_tbPNSt15iterator_traitsISE_E10value_typeEPNSK_ISF_E10value_typeEPSG_NS1_7vsmem_tEENKUlT_SE_SF_SG_E_clIS8_S8_S9_S9_EESD_ST_SE_SF_SG_EUlST_E1_NS1_11comp_targetILNS1_3genE5ELNS1_11target_archE942ELNS1_3gpuE9ELNS1_3repE0EEENS1_36merge_oddeven_config_static_selectorELNS0_4arch9wavefront6targetE0EEEvSF_.num_named_barrier, 0
	.set _ZN7rocprim17ROCPRIM_400000_NS6detail17trampoline_kernelINS0_14default_configENS1_38merge_sort_block_merge_config_selectorItNS0_10empty_typeEEEZZNS1_27merge_sort_block_merge_implIS3_PtPS5_jNS1_19radix_merge_compareILb0ELb0EtNS0_19identity_decomposerEEEEE10hipError_tT0_T1_T2_jT3_P12ihipStream_tbPNSt15iterator_traitsISE_E10value_typeEPNSK_ISF_E10value_typeEPSG_NS1_7vsmem_tEENKUlT_SE_SF_SG_E_clIS8_S8_S9_S9_EESD_ST_SE_SF_SG_EUlST_E1_NS1_11comp_targetILNS1_3genE5ELNS1_11target_archE942ELNS1_3gpuE9ELNS1_3repE0EEENS1_36merge_oddeven_config_static_selectorELNS0_4arch9wavefront6targetE0EEEvSF_.private_seg_size, 0
	.set _ZN7rocprim17ROCPRIM_400000_NS6detail17trampoline_kernelINS0_14default_configENS1_38merge_sort_block_merge_config_selectorItNS0_10empty_typeEEEZZNS1_27merge_sort_block_merge_implIS3_PtPS5_jNS1_19radix_merge_compareILb0ELb0EtNS0_19identity_decomposerEEEEE10hipError_tT0_T1_T2_jT3_P12ihipStream_tbPNSt15iterator_traitsISE_E10value_typeEPNSK_ISF_E10value_typeEPSG_NS1_7vsmem_tEENKUlT_SE_SF_SG_E_clIS8_S8_S9_S9_EESD_ST_SE_SF_SG_EUlST_E1_NS1_11comp_targetILNS1_3genE5ELNS1_11target_archE942ELNS1_3gpuE9ELNS1_3repE0EEENS1_36merge_oddeven_config_static_selectorELNS0_4arch9wavefront6targetE0EEEvSF_.uses_vcc, 0
	.set _ZN7rocprim17ROCPRIM_400000_NS6detail17trampoline_kernelINS0_14default_configENS1_38merge_sort_block_merge_config_selectorItNS0_10empty_typeEEEZZNS1_27merge_sort_block_merge_implIS3_PtPS5_jNS1_19radix_merge_compareILb0ELb0EtNS0_19identity_decomposerEEEEE10hipError_tT0_T1_T2_jT3_P12ihipStream_tbPNSt15iterator_traitsISE_E10value_typeEPNSK_ISF_E10value_typeEPSG_NS1_7vsmem_tEENKUlT_SE_SF_SG_E_clIS8_S8_S9_S9_EESD_ST_SE_SF_SG_EUlST_E1_NS1_11comp_targetILNS1_3genE5ELNS1_11target_archE942ELNS1_3gpuE9ELNS1_3repE0EEENS1_36merge_oddeven_config_static_selectorELNS0_4arch9wavefront6targetE0EEEvSF_.uses_flat_scratch, 0
	.set _ZN7rocprim17ROCPRIM_400000_NS6detail17trampoline_kernelINS0_14default_configENS1_38merge_sort_block_merge_config_selectorItNS0_10empty_typeEEEZZNS1_27merge_sort_block_merge_implIS3_PtPS5_jNS1_19radix_merge_compareILb0ELb0EtNS0_19identity_decomposerEEEEE10hipError_tT0_T1_T2_jT3_P12ihipStream_tbPNSt15iterator_traitsISE_E10value_typeEPNSK_ISF_E10value_typeEPSG_NS1_7vsmem_tEENKUlT_SE_SF_SG_E_clIS8_S8_S9_S9_EESD_ST_SE_SF_SG_EUlST_E1_NS1_11comp_targetILNS1_3genE5ELNS1_11target_archE942ELNS1_3gpuE9ELNS1_3repE0EEENS1_36merge_oddeven_config_static_selectorELNS0_4arch9wavefront6targetE0EEEvSF_.has_dyn_sized_stack, 0
	.set _ZN7rocprim17ROCPRIM_400000_NS6detail17trampoline_kernelINS0_14default_configENS1_38merge_sort_block_merge_config_selectorItNS0_10empty_typeEEEZZNS1_27merge_sort_block_merge_implIS3_PtPS5_jNS1_19radix_merge_compareILb0ELb0EtNS0_19identity_decomposerEEEEE10hipError_tT0_T1_T2_jT3_P12ihipStream_tbPNSt15iterator_traitsISE_E10value_typeEPNSK_ISF_E10value_typeEPSG_NS1_7vsmem_tEENKUlT_SE_SF_SG_E_clIS8_S8_S9_S9_EESD_ST_SE_SF_SG_EUlST_E1_NS1_11comp_targetILNS1_3genE5ELNS1_11target_archE942ELNS1_3gpuE9ELNS1_3repE0EEENS1_36merge_oddeven_config_static_selectorELNS0_4arch9wavefront6targetE0EEEvSF_.has_recursion, 0
	.set _ZN7rocprim17ROCPRIM_400000_NS6detail17trampoline_kernelINS0_14default_configENS1_38merge_sort_block_merge_config_selectorItNS0_10empty_typeEEEZZNS1_27merge_sort_block_merge_implIS3_PtPS5_jNS1_19radix_merge_compareILb0ELb0EtNS0_19identity_decomposerEEEEE10hipError_tT0_T1_T2_jT3_P12ihipStream_tbPNSt15iterator_traitsISE_E10value_typeEPNSK_ISF_E10value_typeEPSG_NS1_7vsmem_tEENKUlT_SE_SF_SG_E_clIS8_S8_S9_S9_EESD_ST_SE_SF_SG_EUlST_E1_NS1_11comp_targetILNS1_3genE5ELNS1_11target_archE942ELNS1_3gpuE9ELNS1_3repE0EEENS1_36merge_oddeven_config_static_selectorELNS0_4arch9wavefront6targetE0EEEvSF_.has_indirect_call, 0
	.section	.AMDGPU.csdata,"",@progbits
; Kernel info:
; codeLenInByte = 0
; TotalNumSgprs: 0
; NumVgprs: 0
; ScratchSize: 0
; MemoryBound: 0
; FloatMode: 240
; IeeeMode: 1
; LDSByteSize: 0 bytes/workgroup (compile time only)
; SGPRBlocks: 0
; VGPRBlocks: 0
; NumSGPRsForWavesPerEU: 1
; NumVGPRsForWavesPerEU: 1
; NamedBarCnt: 0
; Occupancy: 16
; WaveLimiterHint : 0
; COMPUTE_PGM_RSRC2:SCRATCH_EN: 0
; COMPUTE_PGM_RSRC2:USER_SGPR: 2
; COMPUTE_PGM_RSRC2:TRAP_HANDLER: 0
; COMPUTE_PGM_RSRC2:TGID_X_EN: 1
; COMPUTE_PGM_RSRC2:TGID_Y_EN: 0
; COMPUTE_PGM_RSRC2:TGID_Z_EN: 0
; COMPUTE_PGM_RSRC2:TIDIG_COMP_CNT: 0
	.section	.text._ZN7rocprim17ROCPRIM_400000_NS6detail17trampoline_kernelINS0_14default_configENS1_38merge_sort_block_merge_config_selectorItNS0_10empty_typeEEEZZNS1_27merge_sort_block_merge_implIS3_PtPS5_jNS1_19radix_merge_compareILb0ELb0EtNS0_19identity_decomposerEEEEE10hipError_tT0_T1_T2_jT3_P12ihipStream_tbPNSt15iterator_traitsISE_E10value_typeEPNSK_ISF_E10value_typeEPSG_NS1_7vsmem_tEENKUlT_SE_SF_SG_E_clIS8_S8_S9_S9_EESD_ST_SE_SF_SG_EUlST_E1_NS1_11comp_targetILNS1_3genE4ELNS1_11target_archE910ELNS1_3gpuE8ELNS1_3repE0EEENS1_36merge_oddeven_config_static_selectorELNS0_4arch9wavefront6targetE0EEEvSF_,"axG",@progbits,_ZN7rocprim17ROCPRIM_400000_NS6detail17trampoline_kernelINS0_14default_configENS1_38merge_sort_block_merge_config_selectorItNS0_10empty_typeEEEZZNS1_27merge_sort_block_merge_implIS3_PtPS5_jNS1_19radix_merge_compareILb0ELb0EtNS0_19identity_decomposerEEEEE10hipError_tT0_T1_T2_jT3_P12ihipStream_tbPNSt15iterator_traitsISE_E10value_typeEPNSK_ISF_E10value_typeEPSG_NS1_7vsmem_tEENKUlT_SE_SF_SG_E_clIS8_S8_S9_S9_EESD_ST_SE_SF_SG_EUlST_E1_NS1_11comp_targetILNS1_3genE4ELNS1_11target_archE910ELNS1_3gpuE8ELNS1_3repE0EEENS1_36merge_oddeven_config_static_selectorELNS0_4arch9wavefront6targetE0EEEvSF_,comdat
	.protected	_ZN7rocprim17ROCPRIM_400000_NS6detail17trampoline_kernelINS0_14default_configENS1_38merge_sort_block_merge_config_selectorItNS0_10empty_typeEEEZZNS1_27merge_sort_block_merge_implIS3_PtPS5_jNS1_19radix_merge_compareILb0ELb0EtNS0_19identity_decomposerEEEEE10hipError_tT0_T1_T2_jT3_P12ihipStream_tbPNSt15iterator_traitsISE_E10value_typeEPNSK_ISF_E10value_typeEPSG_NS1_7vsmem_tEENKUlT_SE_SF_SG_E_clIS8_S8_S9_S9_EESD_ST_SE_SF_SG_EUlST_E1_NS1_11comp_targetILNS1_3genE4ELNS1_11target_archE910ELNS1_3gpuE8ELNS1_3repE0EEENS1_36merge_oddeven_config_static_selectorELNS0_4arch9wavefront6targetE0EEEvSF_ ; -- Begin function _ZN7rocprim17ROCPRIM_400000_NS6detail17trampoline_kernelINS0_14default_configENS1_38merge_sort_block_merge_config_selectorItNS0_10empty_typeEEEZZNS1_27merge_sort_block_merge_implIS3_PtPS5_jNS1_19radix_merge_compareILb0ELb0EtNS0_19identity_decomposerEEEEE10hipError_tT0_T1_T2_jT3_P12ihipStream_tbPNSt15iterator_traitsISE_E10value_typeEPNSK_ISF_E10value_typeEPSG_NS1_7vsmem_tEENKUlT_SE_SF_SG_E_clIS8_S8_S9_S9_EESD_ST_SE_SF_SG_EUlST_E1_NS1_11comp_targetILNS1_3genE4ELNS1_11target_archE910ELNS1_3gpuE8ELNS1_3repE0EEENS1_36merge_oddeven_config_static_selectorELNS0_4arch9wavefront6targetE0EEEvSF_
	.globl	_ZN7rocprim17ROCPRIM_400000_NS6detail17trampoline_kernelINS0_14default_configENS1_38merge_sort_block_merge_config_selectorItNS0_10empty_typeEEEZZNS1_27merge_sort_block_merge_implIS3_PtPS5_jNS1_19radix_merge_compareILb0ELb0EtNS0_19identity_decomposerEEEEE10hipError_tT0_T1_T2_jT3_P12ihipStream_tbPNSt15iterator_traitsISE_E10value_typeEPNSK_ISF_E10value_typeEPSG_NS1_7vsmem_tEENKUlT_SE_SF_SG_E_clIS8_S8_S9_S9_EESD_ST_SE_SF_SG_EUlST_E1_NS1_11comp_targetILNS1_3genE4ELNS1_11target_archE910ELNS1_3gpuE8ELNS1_3repE0EEENS1_36merge_oddeven_config_static_selectorELNS0_4arch9wavefront6targetE0EEEvSF_
	.p2align	8
	.type	_ZN7rocprim17ROCPRIM_400000_NS6detail17trampoline_kernelINS0_14default_configENS1_38merge_sort_block_merge_config_selectorItNS0_10empty_typeEEEZZNS1_27merge_sort_block_merge_implIS3_PtPS5_jNS1_19radix_merge_compareILb0ELb0EtNS0_19identity_decomposerEEEEE10hipError_tT0_T1_T2_jT3_P12ihipStream_tbPNSt15iterator_traitsISE_E10value_typeEPNSK_ISF_E10value_typeEPSG_NS1_7vsmem_tEENKUlT_SE_SF_SG_E_clIS8_S8_S9_S9_EESD_ST_SE_SF_SG_EUlST_E1_NS1_11comp_targetILNS1_3genE4ELNS1_11target_archE910ELNS1_3gpuE8ELNS1_3repE0EEENS1_36merge_oddeven_config_static_selectorELNS0_4arch9wavefront6targetE0EEEvSF_,@function
_ZN7rocprim17ROCPRIM_400000_NS6detail17trampoline_kernelINS0_14default_configENS1_38merge_sort_block_merge_config_selectorItNS0_10empty_typeEEEZZNS1_27merge_sort_block_merge_implIS3_PtPS5_jNS1_19radix_merge_compareILb0ELb0EtNS0_19identity_decomposerEEEEE10hipError_tT0_T1_T2_jT3_P12ihipStream_tbPNSt15iterator_traitsISE_E10value_typeEPNSK_ISF_E10value_typeEPSG_NS1_7vsmem_tEENKUlT_SE_SF_SG_E_clIS8_S8_S9_S9_EESD_ST_SE_SF_SG_EUlST_E1_NS1_11comp_targetILNS1_3genE4ELNS1_11target_archE910ELNS1_3gpuE8ELNS1_3repE0EEENS1_36merge_oddeven_config_static_selectorELNS0_4arch9wavefront6targetE0EEEvSF_: ; @_ZN7rocprim17ROCPRIM_400000_NS6detail17trampoline_kernelINS0_14default_configENS1_38merge_sort_block_merge_config_selectorItNS0_10empty_typeEEEZZNS1_27merge_sort_block_merge_implIS3_PtPS5_jNS1_19radix_merge_compareILb0ELb0EtNS0_19identity_decomposerEEEEE10hipError_tT0_T1_T2_jT3_P12ihipStream_tbPNSt15iterator_traitsISE_E10value_typeEPNSK_ISF_E10value_typeEPSG_NS1_7vsmem_tEENKUlT_SE_SF_SG_E_clIS8_S8_S9_S9_EESD_ST_SE_SF_SG_EUlST_E1_NS1_11comp_targetILNS1_3genE4ELNS1_11target_archE910ELNS1_3gpuE8ELNS1_3repE0EEENS1_36merge_oddeven_config_static_selectorELNS0_4arch9wavefront6targetE0EEEvSF_
; %bb.0:
	.section	.rodata,"a",@progbits
	.p2align	6, 0x0
	.amdhsa_kernel _ZN7rocprim17ROCPRIM_400000_NS6detail17trampoline_kernelINS0_14default_configENS1_38merge_sort_block_merge_config_selectorItNS0_10empty_typeEEEZZNS1_27merge_sort_block_merge_implIS3_PtPS5_jNS1_19radix_merge_compareILb0ELb0EtNS0_19identity_decomposerEEEEE10hipError_tT0_T1_T2_jT3_P12ihipStream_tbPNSt15iterator_traitsISE_E10value_typeEPNSK_ISF_E10value_typeEPSG_NS1_7vsmem_tEENKUlT_SE_SF_SG_E_clIS8_S8_S9_S9_EESD_ST_SE_SF_SG_EUlST_E1_NS1_11comp_targetILNS1_3genE4ELNS1_11target_archE910ELNS1_3gpuE8ELNS1_3repE0EEENS1_36merge_oddeven_config_static_selectorELNS0_4arch9wavefront6targetE0EEEvSF_
		.amdhsa_group_segment_fixed_size 0
		.amdhsa_private_segment_fixed_size 0
		.amdhsa_kernarg_size 48
		.amdhsa_user_sgpr_count 2
		.amdhsa_user_sgpr_dispatch_ptr 0
		.amdhsa_user_sgpr_queue_ptr 0
		.amdhsa_user_sgpr_kernarg_segment_ptr 1
		.amdhsa_user_sgpr_dispatch_id 0
		.amdhsa_user_sgpr_kernarg_preload_length 0
		.amdhsa_user_sgpr_kernarg_preload_offset 0
		.amdhsa_user_sgpr_private_segment_size 0
		.amdhsa_wavefront_size32 1
		.amdhsa_uses_dynamic_stack 0
		.amdhsa_enable_private_segment 0
		.amdhsa_system_sgpr_workgroup_id_x 1
		.amdhsa_system_sgpr_workgroup_id_y 0
		.amdhsa_system_sgpr_workgroup_id_z 0
		.amdhsa_system_sgpr_workgroup_info 0
		.amdhsa_system_vgpr_workitem_id 0
		.amdhsa_next_free_vgpr 1
		.amdhsa_next_free_sgpr 1
		.amdhsa_named_barrier_count 0
		.amdhsa_reserve_vcc 0
		.amdhsa_float_round_mode_32 0
		.amdhsa_float_round_mode_16_64 0
		.amdhsa_float_denorm_mode_32 3
		.amdhsa_float_denorm_mode_16_64 3
		.amdhsa_fp16_overflow 0
		.amdhsa_memory_ordered 1
		.amdhsa_forward_progress 1
		.amdhsa_inst_pref_size 0
		.amdhsa_round_robin_scheduling 0
		.amdhsa_exception_fp_ieee_invalid_op 0
		.amdhsa_exception_fp_denorm_src 0
		.amdhsa_exception_fp_ieee_div_zero 0
		.amdhsa_exception_fp_ieee_overflow 0
		.amdhsa_exception_fp_ieee_underflow 0
		.amdhsa_exception_fp_ieee_inexact 0
		.amdhsa_exception_int_div_zero 0
	.end_amdhsa_kernel
	.section	.text._ZN7rocprim17ROCPRIM_400000_NS6detail17trampoline_kernelINS0_14default_configENS1_38merge_sort_block_merge_config_selectorItNS0_10empty_typeEEEZZNS1_27merge_sort_block_merge_implIS3_PtPS5_jNS1_19radix_merge_compareILb0ELb0EtNS0_19identity_decomposerEEEEE10hipError_tT0_T1_T2_jT3_P12ihipStream_tbPNSt15iterator_traitsISE_E10value_typeEPNSK_ISF_E10value_typeEPSG_NS1_7vsmem_tEENKUlT_SE_SF_SG_E_clIS8_S8_S9_S9_EESD_ST_SE_SF_SG_EUlST_E1_NS1_11comp_targetILNS1_3genE4ELNS1_11target_archE910ELNS1_3gpuE8ELNS1_3repE0EEENS1_36merge_oddeven_config_static_selectorELNS0_4arch9wavefront6targetE0EEEvSF_,"axG",@progbits,_ZN7rocprim17ROCPRIM_400000_NS6detail17trampoline_kernelINS0_14default_configENS1_38merge_sort_block_merge_config_selectorItNS0_10empty_typeEEEZZNS1_27merge_sort_block_merge_implIS3_PtPS5_jNS1_19radix_merge_compareILb0ELb0EtNS0_19identity_decomposerEEEEE10hipError_tT0_T1_T2_jT3_P12ihipStream_tbPNSt15iterator_traitsISE_E10value_typeEPNSK_ISF_E10value_typeEPSG_NS1_7vsmem_tEENKUlT_SE_SF_SG_E_clIS8_S8_S9_S9_EESD_ST_SE_SF_SG_EUlST_E1_NS1_11comp_targetILNS1_3genE4ELNS1_11target_archE910ELNS1_3gpuE8ELNS1_3repE0EEENS1_36merge_oddeven_config_static_selectorELNS0_4arch9wavefront6targetE0EEEvSF_,comdat
.Lfunc_end2450:
	.size	_ZN7rocprim17ROCPRIM_400000_NS6detail17trampoline_kernelINS0_14default_configENS1_38merge_sort_block_merge_config_selectorItNS0_10empty_typeEEEZZNS1_27merge_sort_block_merge_implIS3_PtPS5_jNS1_19radix_merge_compareILb0ELb0EtNS0_19identity_decomposerEEEEE10hipError_tT0_T1_T2_jT3_P12ihipStream_tbPNSt15iterator_traitsISE_E10value_typeEPNSK_ISF_E10value_typeEPSG_NS1_7vsmem_tEENKUlT_SE_SF_SG_E_clIS8_S8_S9_S9_EESD_ST_SE_SF_SG_EUlST_E1_NS1_11comp_targetILNS1_3genE4ELNS1_11target_archE910ELNS1_3gpuE8ELNS1_3repE0EEENS1_36merge_oddeven_config_static_selectorELNS0_4arch9wavefront6targetE0EEEvSF_, .Lfunc_end2450-_ZN7rocprim17ROCPRIM_400000_NS6detail17trampoline_kernelINS0_14default_configENS1_38merge_sort_block_merge_config_selectorItNS0_10empty_typeEEEZZNS1_27merge_sort_block_merge_implIS3_PtPS5_jNS1_19radix_merge_compareILb0ELb0EtNS0_19identity_decomposerEEEEE10hipError_tT0_T1_T2_jT3_P12ihipStream_tbPNSt15iterator_traitsISE_E10value_typeEPNSK_ISF_E10value_typeEPSG_NS1_7vsmem_tEENKUlT_SE_SF_SG_E_clIS8_S8_S9_S9_EESD_ST_SE_SF_SG_EUlST_E1_NS1_11comp_targetILNS1_3genE4ELNS1_11target_archE910ELNS1_3gpuE8ELNS1_3repE0EEENS1_36merge_oddeven_config_static_selectorELNS0_4arch9wavefront6targetE0EEEvSF_
                                        ; -- End function
	.set _ZN7rocprim17ROCPRIM_400000_NS6detail17trampoline_kernelINS0_14default_configENS1_38merge_sort_block_merge_config_selectorItNS0_10empty_typeEEEZZNS1_27merge_sort_block_merge_implIS3_PtPS5_jNS1_19radix_merge_compareILb0ELb0EtNS0_19identity_decomposerEEEEE10hipError_tT0_T1_T2_jT3_P12ihipStream_tbPNSt15iterator_traitsISE_E10value_typeEPNSK_ISF_E10value_typeEPSG_NS1_7vsmem_tEENKUlT_SE_SF_SG_E_clIS8_S8_S9_S9_EESD_ST_SE_SF_SG_EUlST_E1_NS1_11comp_targetILNS1_3genE4ELNS1_11target_archE910ELNS1_3gpuE8ELNS1_3repE0EEENS1_36merge_oddeven_config_static_selectorELNS0_4arch9wavefront6targetE0EEEvSF_.num_vgpr, 0
	.set _ZN7rocprim17ROCPRIM_400000_NS6detail17trampoline_kernelINS0_14default_configENS1_38merge_sort_block_merge_config_selectorItNS0_10empty_typeEEEZZNS1_27merge_sort_block_merge_implIS3_PtPS5_jNS1_19radix_merge_compareILb0ELb0EtNS0_19identity_decomposerEEEEE10hipError_tT0_T1_T2_jT3_P12ihipStream_tbPNSt15iterator_traitsISE_E10value_typeEPNSK_ISF_E10value_typeEPSG_NS1_7vsmem_tEENKUlT_SE_SF_SG_E_clIS8_S8_S9_S9_EESD_ST_SE_SF_SG_EUlST_E1_NS1_11comp_targetILNS1_3genE4ELNS1_11target_archE910ELNS1_3gpuE8ELNS1_3repE0EEENS1_36merge_oddeven_config_static_selectorELNS0_4arch9wavefront6targetE0EEEvSF_.num_agpr, 0
	.set _ZN7rocprim17ROCPRIM_400000_NS6detail17trampoline_kernelINS0_14default_configENS1_38merge_sort_block_merge_config_selectorItNS0_10empty_typeEEEZZNS1_27merge_sort_block_merge_implIS3_PtPS5_jNS1_19radix_merge_compareILb0ELb0EtNS0_19identity_decomposerEEEEE10hipError_tT0_T1_T2_jT3_P12ihipStream_tbPNSt15iterator_traitsISE_E10value_typeEPNSK_ISF_E10value_typeEPSG_NS1_7vsmem_tEENKUlT_SE_SF_SG_E_clIS8_S8_S9_S9_EESD_ST_SE_SF_SG_EUlST_E1_NS1_11comp_targetILNS1_3genE4ELNS1_11target_archE910ELNS1_3gpuE8ELNS1_3repE0EEENS1_36merge_oddeven_config_static_selectorELNS0_4arch9wavefront6targetE0EEEvSF_.numbered_sgpr, 0
	.set _ZN7rocprim17ROCPRIM_400000_NS6detail17trampoline_kernelINS0_14default_configENS1_38merge_sort_block_merge_config_selectorItNS0_10empty_typeEEEZZNS1_27merge_sort_block_merge_implIS3_PtPS5_jNS1_19radix_merge_compareILb0ELb0EtNS0_19identity_decomposerEEEEE10hipError_tT0_T1_T2_jT3_P12ihipStream_tbPNSt15iterator_traitsISE_E10value_typeEPNSK_ISF_E10value_typeEPSG_NS1_7vsmem_tEENKUlT_SE_SF_SG_E_clIS8_S8_S9_S9_EESD_ST_SE_SF_SG_EUlST_E1_NS1_11comp_targetILNS1_3genE4ELNS1_11target_archE910ELNS1_3gpuE8ELNS1_3repE0EEENS1_36merge_oddeven_config_static_selectorELNS0_4arch9wavefront6targetE0EEEvSF_.num_named_barrier, 0
	.set _ZN7rocprim17ROCPRIM_400000_NS6detail17trampoline_kernelINS0_14default_configENS1_38merge_sort_block_merge_config_selectorItNS0_10empty_typeEEEZZNS1_27merge_sort_block_merge_implIS3_PtPS5_jNS1_19radix_merge_compareILb0ELb0EtNS0_19identity_decomposerEEEEE10hipError_tT0_T1_T2_jT3_P12ihipStream_tbPNSt15iterator_traitsISE_E10value_typeEPNSK_ISF_E10value_typeEPSG_NS1_7vsmem_tEENKUlT_SE_SF_SG_E_clIS8_S8_S9_S9_EESD_ST_SE_SF_SG_EUlST_E1_NS1_11comp_targetILNS1_3genE4ELNS1_11target_archE910ELNS1_3gpuE8ELNS1_3repE0EEENS1_36merge_oddeven_config_static_selectorELNS0_4arch9wavefront6targetE0EEEvSF_.private_seg_size, 0
	.set _ZN7rocprim17ROCPRIM_400000_NS6detail17trampoline_kernelINS0_14default_configENS1_38merge_sort_block_merge_config_selectorItNS0_10empty_typeEEEZZNS1_27merge_sort_block_merge_implIS3_PtPS5_jNS1_19radix_merge_compareILb0ELb0EtNS0_19identity_decomposerEEEEE10hipError_tT0_T1_T2_jT3_P12ihipStream_tbPNSt15iterator_traitsISE_E10value_typeEPNSK_ISF_E10value_typeEPSG_NS1_7vsmem_tEENKUlT_SE_SF_SG_E_clIS8_S8_S9_S9_EESD_ST_SE_SF_SG_EUlST_E1_NS1_11comp_targetILNS1_3genE4ELNS1_11target_archE910ELNS1_3gpuE8ELNS1_3repE0EEENS1_36merge_oddeven_config_static_selectorELNS0_4arch9wavefront6targetE0EEEvSF_.uses_vcc, 0
	.set _ZN7rocprim17ROCPRIM_400000_NS6detail17trampoline_kernelINS0_14default_configENS1_38merge_sort_block_merge_config_selectorItNS0_10empty_typeEEEZZNS1_27merge_sort_block_merge_implIS3_PtPS5_jNS1_19radix_merge_compareILb0ELb0EtNS0_19identity_decomposerEEEEE10hipError_tT0_T1_T2_jT3_P12ihipStream_tbPNSt15iterator_traitsISE_E10value_typeEPNSK_ISF_E10value_typeEPSG_NS1_7vsmem_tEENKUlT_SE_SF_SG_E_clIS8_S8_S9_S9_EESD_ST_SE_SF_SG_EUlST_E1_NS1_11comp_targetILNS1_3genE4ELNS1_11target_archE910ELNS1_3gpuE8ELNS1_3repE0EEENS1_36merge_oddeven_config_static_selectorELNS0_4arch9wavefront6targetE0EEEvSF_.uses_flat_scratch, 0
	.set _ZN7rocprim17ROCPRIM_400000_NS6detail17trampoline_kernelINS0_14default_configENS1_38merge_sort_block_merge_config_selectorItNS0_10empty_typeEEEZZNS1_27merge_sort_block_merge_implIS3_PtPS5_jNS1_19radix_merge_compareILb0ELb0EtNS0_19identity_decomposerEEEEE10hipError_tT0_T1_T2_jT3_P12ihipStream_tbPNSt15iterator_traitsISE_E10value_typeEPNSK_ISF_E10value_typeEPSG_NS1_7vsmem_tEENKUlT_SE_SF_SG_E_clIS8_S8_S9_S9_EESD_ST_SE_SF_SG_EUlST_E1_NS1_11comp_targetILNS1_3genE4ELNS1_11target_archE910ELNS1_3gpuE8ELNS1_3repE0EEENS1_36merge_oddeven_config_static_selectorELNS0_4arch9wavefront6targetE0EEEvSF_.has_dyn_sized_stack, 0
	.set _ZN7rocprim17ROCPRIM_400000_NS6detail17trampoline_kernelINS0_14default_configENS1_38merge_sort_block_merge_config_selectorItNS0_10empty_typeEEEZZNS1_27merge_sort_block_merge_implIS3_PtPS5_jNS1_19radix_merge_compareILb0ELb0EtNS0_19identity_decomposerEEEEE10hipError_tT0_T1_T2_jT3_P12ihipStream_tbPNSt15iterator_traitsISE_E10value_typeEPNSK_ISF_E10value_typeEPSG_NS1_7vsmem_tEENKUlT_SE_SF_SG_E_clIS8_S8_S9_S9_EESD_ST_SE_SF_SG_EUlST_E1_NS1_11comp_targetILNS1_3genE4ELNS1_11target_archE910ELNS1_3gpuE8ELNS1_3repE0EEENS1_36merge_oddeven_config_static_selectorELNS0_4arch9wavefront6targetE0EEEvSF_.has_recursion, 0
	.set _ZN7rocprim17ROCPRIM_400000_NS6detail17trampoline_kernelINS0_14default_configENS1_38merge_sort_block_merge_config_selectorItNS0_10empty_typeEEEZZNS1_27merge_sort_block_merge_implIS3_PtPS5_jNS1_19radix_merge_compareILb0ELb0EtNS0_19identity_decomposerEEEEE10hipError_tT0_T1_T2_jT3_P12ihipStream_tbPNSt15iterator_traitsISE_E10value_typeEPNSK_ISF_E10value_typeEPSG_NS1_7vsmem_tEENKUlT_SE_SF_SG_E_clIS8_S8_S9_S9_EESD_ST_SE_SF_SG_EUlST_E1_NS1_11comp_targetILNS1_3genE4ELNS1_11target_archE910ELNS1_3gpuE8ELNS1_3repE0EEENS1_36merge_oddeven_config_static_selectorELNS0_4arch9wavefront6targetE0EEEvSF_.has_indirect_call, 0
	.section	.AMDGPU.csdata,"",@progbits
; Kernel info:
; codeLenInByte = 0
; TotalNumSgprs: 0
; NumVgprs: 0
; ScratchSize: 0
; MemoryBound: 0
; FloatMode: 240
; IeeeMode: 1
; LDSByteSize: 0 bytes/workgroup (compile time only)
; SGPRBlocks: 0
; VGPRBlocks: 0
; NumSGPRsForWavesPerEU: 1
; NumVGPRsForWavesPerEU: 1
; NamedBarCnt: 0
; Occupancy: 16
; WaveLimiterHint : 0
; COMPUTE_PGM_RSRC2:SCRATCH_EN: 0
; COMPUTE_PGM_RSRC2:USER_SGPR: 2
; COMPUTE_PGM_RSRC2:TRAP_HANDLER: 0
; COMPUTE_PGM_RSRC2:TGID_X_EN: 1
; COMPUTE_PGM_RSRC2:TGID_Y_EN: 0
; COMPUTE_PGM_RSRC2:TGID_Z_EN: 0
; COMPUTE_PGM_RSRC2:TIDIG_COMP_CNT: 0
	.section	.text._ZN7rocprim17ROCPRIM_400000_NS6detail17trampoline_kernelINS0_14default_configENS1_38merge_sort_block_merge_config_selectorItNS0_10empty_typeEEEZZNS1_27merge_sort_block_merge_implIS3_PtPS5_jNS1_19radix_merge_compareILb0ELb0EtNS0_19identity_decomposerEEEEE10hipError_tT0_T1_T2_jT3_P12ihipStream_tbPNSt15iterator_traitsISE_E10value_typeEPNSK_ISF_E10value_typeEPSG_NS1_7vsmem_tEENKUlT_SE_SF_SG_E_clIS8_S8_S9_S9_EESD_ST_SE_SF_SG_EUlST_E1_NS1_11comp_targetILNS1_3genE3ELNS1_11target_archE908ELNS1_3gpuE7ELNS1_3repE0EEENS1_36merge_oddeven_config_static_selectorELNS0_4arch9wavefront6targetE0EEEvSF_,"axG",@progbits,_ZN7rocprim17ROCPRIM_400000_NS6detail17trampoline_kernelINS0_14default_configENS1_38merge_sort_block_merge_config_selectorItNS0_10empty_typeEEEZZNS1_27merge_sort_block_merge_implIS3_PtPS5_jNS1_19radix_merge_compareILb0ELb0EtNS0_19identity_decomposerEEEEE10hipError_tT0_T1_T2_jT3_P12ihipStream_tbPNSt15iterator_traitsISE_E10value_typeEPNSK_ISF_E10value_typeEPSG_NS1_7vsmem_tEENKUlT_SE_SF_SG_E_clIS8_S8_S9_S9_EESD_ST_SE_SF_SG_EUlST_E1_NS1_11comp_targetILNS1_3genE3ELNS1_11target_archE908ELNS1_3gpuE7ELNS1_3repE0EEENS1_36merge_oddeven_config_static_selectorELNS0_4arch9wavefront6targetE0EEEvSF_,comdat
	.protected	_ZN7rocprim17ROCPRIM_400000_NS6detail17trampoline_kernelINS0_14default_configENS1_38merge_sort_block_merge_config_selectorItNS0_10empty_typeEEEZZNS1_27merge_sort_block_merge_implIS3_PtPS5_jNS1_19radix_merge_compareILb0ELb0EtNS0_19identity_decomposerEEEEE10hipError_tT0_T1_T2_jT3_P12ihipStream_tbPNSt15iterator_traitsISE_E10value_typeEPNSK_ISF_E10value_typeEPSG_NS1_7vsmem_tEENKUlT_SE_SF_SG_E_clIS8_S8_S9_S9_EESD_ST_SE_SF_SG_EUlST_E1_NS1_11comp_targetILNS1_3genE3ELNS1_11target_archE908ELNS1_3gpuE7ELNS1_3repE0EEENS1_36merge_oddeven_config_static_selectorELNS0_4arch9wavefront6targetE0EEEvSF_ ; -- Begin function _ZN7rocprim17ROCPRIM_400000_NS6detail17trampoline_kernelINS0_14default_configENS1_38merge_sort_block_merge_config_selectorItNS0_10empty_typeEEEZZNS1_27merge_sort_block_merge_implIS3_PtPS5_jNS1_19radix_merge_compareILb0ELb0EtNS0_19identity_decomposerEEEEE10hipError_tT0_T1_T2_jT3_P12ihipStream_tbPNSt15iterator_traitsISE_E10value_typeEPNSK_ISF_E10value_typeEPSG_NS1_7vsmem_tEENKUlT_SE_SF_SG_E_clIS8_S8_S9_S9_EESD_ST_SE_SF_SG_EUlST_E1_NS1_11comp_targetILNS1_3genE3ELNS1_11target_archE908ELNS1_3gpuE7ELNS1_3repE0EEENS1_36merge_oddeven_config_static_selectorELNS0_4arch9wavefront6targetE0EEEvSF_
	.globl	_ZN7rocprim17ROCPRIM_400000_NS6detail17trampoline_kernelINS0_14default_configENS1_38merge_sort_block_merge_config_selectorItNS0_10empty_typeEEEZZNS1_27merge_sort_block_merge_implIS3_PtPS5_jNS1_19radix_merge_compareILb0ELb0EtNS0_19identity_decomposerEEEEE10hipError_tT0_T1_T2_jT3_P12ihipStream_tbPNSt15iterator_traitsISE_E10value_typeEPNSK_ISF_E10value_typeEPSG_NS1_7vsmem_tEENKUlT_SE_SF_SG_E_clIS8_S8_S9_S9_EESD_ST_SE_SF_SG_EUlST_E1_NS1_11comp_targetILNS1_3genE3ELNS1_11target_archE908ELNS1_3gpuE7ELNS1_3repE0EEENS1_36merge_oddeven_config_static_selectorELNS0_4arch9wavefront6targetE0EEEvSF_
	.p2align	8
	.type	_ZN7rocprim17ROCPRIM_400000_NS6detail17trampoline_kernelINS0_14default_configENS1_38merge_sort_block_merge_config_selectorItNS0_10empty_typeEEEZZNS1_27merge_sort_block_merge_implIS3_PtPS5_jNS1_19radix_merge_compareILb0ELb0EtNS0_19identity_decomposerEEEEE10hipError_tT0_T1_T2_jT3_P12ihipStream_tbPNSt15iterator_traitsISE_E10value_typeEPNSK_ISF_E10value_typeEPSG_NS1_7vsmem_tEENKUlT_SE_SF_SG_E_clIS8_S8_S9_S9_EESD_ST_SE_SF_SG_EUlST_E1_NS1_11comp_targetILNS1_3genE3ELNS1_11target_archE908ELNS1_3gpuE7ELNS1_3repE0EEENS1_36merge_oddeven_config_static_selectorELNS0_4arch9wavefront6targetE0EEEvSF_,@function
_ZN7rocprim17ROCPRIM_400000_NS6detail17trampoline_kernelINS0_14default_configENS1_38merge_sort_block_merge_config_selectorItNS0_10empty_typeEEEZZNS1_27merge_sort_block_merge_implIS3_PtPS5_jNS1_19radix_merge_compareILb0ELb0EtNS0_19identity_decomposerEEEEE10hipError_tT0_T1_T2_jT3_P12ihipStream_tbPNSt15iterator_traitsISE_E10value_typeEPNSK_ISF_E10value_typeEPSG_NS1_7vsmem_tEENKUlT_SE_SF_SG_E_clIS8_S8_S9_S9_EESD_ST_SE_SF_SG_EUlST_E1_NS1_11comp_targetILNS1_3genE3ELNS1_11target_archE908ELNS1_3gpuE7ELNS1_3repE0EEENS1_36merge_oddeven_config_static_selectorELNS0_4arch9wavefront6targetE0EEEvSF_: ; @_ZN7rocprim17ROCPRIM_400000_NS6detail17trampoline_kernelINS0_14default_configENS1_38merge_sort_block_merge_config_selectorItNS0_10empty_typeEEEZZNS1_27merge_sort_block_merge_implIS3_PtPS5_jNS1_19radix_merge_compareILb0ELb0EtNS0_19identity_decomposerEEEEE10hipError_tT0_T1_T2_jT3_P12ihipStream_tbPNSt15iterator_traitsISE_E10value_typeEPNSK_ISF_E10value_typeEPSG_NS1_7vsmem_tEENKUlT_SE_SF_SG_E_clIS8_S8_S9_S9_EESD_ST_SE_SF_SG_EUlST_E1_NS1_11comp_targetILNS1_3genE3ELNS1_11target_archE908ELNS1_3gpuE7ELNS1_3repE0EEENS1_36merge_oddeven_config_static_selectorELNS0_4arch9wavefront6targetE0EEEvSF_
; %bb.0:
	.section	.rodata,"a",@progbits
	.p2align	6, 0x0
	.amdhsa_kernel _ZN7rocprim17ROCPRIM_400000_NS6detail17trampoline_kernelINS0_14default_configENS1_38merge_sort_block_merge_config_selectorItNS0_10empty_typeEEEZZNS1_27merge_sort_block_merge_implIS3_PtPS5_jNS1_19radix_merge_compareILb0ELb0EtNS0_19identity_decomposerEEEEE10hipError_tT0_T1_T2_jT3_P12ihipStream_tbPNSt15iterator_traitsISE_E10value_typeEPNSK_ISF_E10value_typeEPSG_NS1_7vsmem_tEENKUlT_SE_SF_SG_E_clIS8_S8_S9_S9_EESD_ST_SE_SF_SG_EUlST_E1_NS1_11comp_targetILNS1_3genE3ELNS1_11target_archE908ELNS1_3gpuE7ELNS1_3repE0EEENS1_36merge_oddeven_config_static_selectorELNS0_4arch9wavefront6targetE0EEEvSF_
		.amdhsa_group_segment_fixed_size 0
		.amdhsa_private_segment_fixed_size 0
		.amdhsa_kernarg_size 48
		.amdhsa_user_sgpr_count 2
		.amdhsa_user_sgpr_dispatch_ptr 0
		.amdhsa_user_sgpr_queue_ptr 0
		.amdhsa_user_sgpr_kernarg_segment_ptr 1
		.amdhsa_user_sgpr_dispatch_id 0
		.amdhsa_user_sgpr_kernarg_preload_length 0
		.amdhsa_user_sgpr_kernarg_preload_offset 0
		.amdhsa_user_sgpr_private_segment_size 0
		.amdhsa_wavefront_size32 1
		.amdhsa_uses_dynamic_stack 0
		.amdhsa_enable_private_segment 0
		.amdhsa_system_sgpr_workgroup_id_x 1
		.amdhsa_system_sgpr_workgroup_id_y 0
		.amdhsa_system_sgpr_workgroup_id_z 0
		.amdhsa_system_sgpr_workgroup_info 0
		.amdhsa_system_vgpr_workitem_id 0
		.amdhsa_next_free_vgpr 1
		.amdhsa_next_free_sgpr 1
		.amdhsa_named_barrier_count 0
		.amdhsa_reserve_vcc 0
		.amdhsa_float_round_mode_32 0
		.amdhsa_float_round_mode_16_64 0
		.amdhsa_float_denorm_mode_32 3
		.amdhsa_float_denorm_mode_16_64 3
		.amdhsa_fp16_overflow 0
		.amdhsa_memory_ordered 1
		.amdhsa_forward_progress 1
		.amdhsa_inst_pref_size 0
		.amdhsa_round_robin_scheduling 0
		.amdhsa_exception_fp_ieee_invalid_op 0
		.amdhsa_exception_fp_denorm_src 0
		.amdhsa_exception_fp_ieee_div_zero 0
		.amdhsa_exception_fp_ieee_overflow 0
		.amdhsa_exception_fp_ieee_underflow 0
		.amdhsa_exception_fp_ieee_inexact 0
		.amdhsa_exception_int_div_zero 0
	.end_amdhsa_kernel
	.section	.text._ZN7rocprim17ROCPRIM_400000_NS6detail17trampoline_kernelINS0_14default_configENS1_38merge_sort_block_merge_config_selectorItNS0_10empty_typeEEEZZNS1_27merge_sort_block_merge_implIS3_PtPS5_jNS1_19radix_merge_compareILb0ELb0EtNS0_19identity_decomposerEEEEE10hipError_tT0_T1_T2_jT3_P12ihipStream_tbPNSt15iterator_traitsISE_E10value_typeEPNSK_ISF_E10value_typeEPSG_NS1_7vsmem_tEENKUlT_SE_SF_SG_E_clIS8_S8_S9_S9_EESD_ST_SE_SF_SG_EUlST_E1_NS1_11comp_targetILNS1_3genE3ELNS1_11target_archE908ELNS1_3gpuE7ELNS1_3repE0EEENS1_36merge_oddeven_config_static_selectorELNS0_4arch9wavefront6targetE0EEEvSF_,"axG",@progbits,_ZN7rocprim17ROCPRIM_400000_NS6detail17trampoline_kernelINS0_14default_configENS1_38merge_sort_block_merge_config_selectorItNS0_10empty_typeEEEZZNS1_27merge_sort_block_merge_implIS3_PtPS5_jNS1_19radix_merge_compareILb0ELb0EtNS0_19identity_decomposerEEEEE10hipError_tT0_T1_T2_jT3_P12ihipStream_tbPNSt15iterator_traitsISE_E10value_typeEPNSK_ISF_E10value_typeEPSG_NS1_7vsmem_tEENKUlT_SE_SF_SG_E_clIS8_S8_S9_S9_EESD_ST_SE_SF_SG_EUlST_E1_NS1_11comp_targetILNS1_3genE3ELNS1_11target_archE908ELNS1_3gpuE7ELNS1_3repE0EEENS1_36merge_oddeven_config_static_selectorELNS0_4arch9wavefront6targetE0EEEvSF_,comdat
.Lfunc_end2451:
	.size	_ZN7rocprim17ROCPRIM_400000_NS6detail17trampoline_kernelINS0_14default_configENS1_38merge_sort_block_merge_config_selectorItNS0_10empty_typeEEEZZNS1_27merge_sort_block_merge_implIS3_PtPS5_jNS1_19radix_merge_compareILb0ELb0EtNS0_19identity_decomposerEEEEE10hipError_tT0_T1_T2_jT3_P12ihipStream_tbPNSt15iterator_traitsISE_E10value_typeEPNSK_ISF_E10value_typeEPSG_NS1_7vsmem_tEENKUlT_SE_SF_SG_E_clIS8_S8_S9_S9_EESD_ST_SE_SF_SG_EUlST_E1_NS1_11comp_targetILNS1_3genE3ELNS1_11target_archE908ELNS1_3gpuE7ELNS1_3repE0EEENS1_36merge_oddeven_config_static_selectorELNS0_4arch9wavefront6targetE0EEEvSF_, .Lfunc_end2451-_ZN7rocprim17ROCPRIM_400000_NS6detail17trampoline_kernelINS0_14default_configENS1_38merge_sort_block_merge_config_selectorItNS0_10empty_typeEEEZZNS1_27merge_sort_block_merge_implIS3_PtPS5_jNS1_19radix_merge_compareILb0ELb0EtNS0_19identity_decomposerEEEEE10hipError_tT0_T1_T2_jT3_P12ihipStream_tbPNSt15iterator_traitsISE_E10value_typeEPNSK_ISF_E10value_typeEPSG_NS1_7vsmem_tEENKUlT_SE_SF_SG_E_clIS8_S8_S9_S9_EESD_ST_SE_SF_SG_EUlST_E1_NS1_11comp_targetILNS1_3genE3ELNS1_11target_archE908ELNS1_3gpuE7ELNS1_3repE0EEENS1_36merge_oddeven_config_static_selectorELNS0_4arch9wavefront6targetE0EEEvSF_
                                        ; -- End function
	.set _ZN7rocprim17ROCPRIM_400000_NS6detail17trampoline_kernelINS0_14default_configENS1_38merge_sort_block_merge_config_selectorItNS0_10empty_typeEEEZZNS1_27merge_sort_block_merge_implIS3_PtPS5_jNS1_19radix_merge_compareILb0ELb0EtNS0_19identity_decomposerEEEEE10hipError_tT0_T1_T2_jT3_P12ihipStream_tbPNSt15iterator_traitsISE_E10value_typeEPNSK_ISF_E10value_typeEPSG_NS1_7vsmem_tEENKUlT_SE_SF_SG_E_clIS8_S8_S9_S9_EESD_ST_SE_SF_SG_EUlST_E1_NS1_11comp_targetILNS1_3genE3ELNS1_11target_archE908ELNS1_3gpuE7ELNS1_3repE0EEENS1_36merge_oddeven_config_static_selectorELNS0_4arch9wavefront6targetE0EEEvSF_.num_vgpr, 0
	.set _ZN7rocprim17ROCPRIM_400000_NS6detail17trampoline_kernelINS0_14default_configENS1_38merge_sort_block_merge_config_selectorItNS0_10empty_typeEEEZZNS1_27merge_sort_block_merge_implIS3_PtPS5_jNS1_19radix_merge_compareILb0ELb0EtNS0_19identity_decomposerEEEEE10hipError_tT0_T1_T2_jT3_P12ihipStream_tbPNSt15iterator_traitsISE_E10value_typeEPNSK_ISF_E10value_typeEPSG_NS1_7vsmem_tEENKUlT_SE_SF_SG_E_clIS8_S8_S9_S9_EESD_ST_SE_SF_SG_EUlST_E1_NS1_11comp_targetILNS1_3genE3ELNS1_11target_archE908ELNS1_3gpuE7ELNS1_3repE0EEENS1_36merge_oddeven_config_static_selectorELNS0_4arch9wavefront6targetE0EEEvSF_.num_agpr, 0
	.set _ZN7rocprim17ROCPRIM_400000_NS6detail17trampoline_kernelINS0_14default_configENS1_38merge_sort_block_merge_config_selectorItNS0_10empty_typeEEEZZNS1_27merge_sort_block_merge_implIS3_PtPS5_jNS1_19radix_merge_compareILb0ELb0EtNS0_19identity_decomposerEEEEE10hipError_tT0_T1_T2_jT3_P12ihipStream_tbPNSt15iterator_traitsISE_E10value_typeEPNSK_ISF_E10value_typeEPSG_NS1_7vsmem_tEENKUlT_SE_SF_SG_E_clIS8_S8_S9_S9_EESD_ST_SE_SF_SG_EUlST_E1_NS1_11comp_targetILNS1_3genE3ELNS1_11target_archE908ELNS1_3gpuE7ELNS1_3repE0EEENS1_36merge_oddeven_config_static_selectorELNS0_4arch9wavefront6targetE0EEEvSF_.numbered_sgpr, 0
	.set _ZN7rocprim17ROCPRIM_400000_NS6detail17trampoline_kernelINS0_14default_configENS1_38merge_sort_block_merge_config_selectorItNS0_10empty_typeEEEZZNS1_27merge_sort_block_merge_implIS3_PtPS5_jNS1_19radix_merge_compareILb0ELb0EtNS0_19identity_decomposerEEEEE10hipError_tT0_T1_T2_jT3_P12ihipStream_tbPNSt15iterator_traitsISE_E10value_typeEPNSK_ISF_E10value_typeEPSG_NS1_7vsmem_tEENKUlT_SE_SF_SG_E_clIS8_S8_S9_S9_EESD_ST_SE_SF_SG_EUlST_E1_NS1_11comp_targetILNS1_3genE3ELNS1_11target_archE908ELNS1_3gpuE7ELNS1_3repE0EEENS1_36merge_oddeven_config_static_selectorELNS0_4arch9wavefront6targetE0EEEvSF_.num_named_barrier, 0
	.set _ZN7rocprim17ROCPRIM_400000_NS6detail17trampoline_kernelINS0_14default_configENS1_38merge_sort_block_merge_config_selectorItNS0_10empty_typeEEEZZNS1_27merge_sort_block_merge_implIS3_PtPS5_jNS1_19radix_merge_compareILb0ELb0EtNS0_19identity_decomposerEEEEE10hipError_tT0_T1_T2_jT3_P12ihipStream_tbPNSt15iterator_traitsISE_E10value_typeEPNSK_ISF_E10value_typeEPSG_NS1_7vsmem_tEENKUlT_SE_SF_SG_E_clIS8_S8_S9_S9_EESD_ST_SE_SF_SG_EUlST_E1_NS1_11comp_targetILNS1_3genE3ELNS1_11target_archE908ELNS1_3gpuE7ELNS1_3repE0EEENS1_36merge_oddeven_config_static_selectorELNS0_4arch9wavefront6targetE0EEEvSF_.private_seg_size, 0
	.set _ZN7rocprim17ROCPRIM_400000_NS6detail17trampoline_kernelINS0_14default_configENS1_38merge_sort_block_merge_config_selectorItNS0_10empty_typeEEEZZNS1_27merge_sort_block_merge_implIS3_PtPS5_jNS1_19radix_merge_compareILb0ELb0EtNS0_19identity_decomposerEEEEE10hipError_tT0_T1_T2_jT3_P12ihipStream_tbPNSt15iterator_traitsISE_E10value_typeEPNSK_ISF_E10value_typeEPSG_NS1_7vsmem_tEENKUlT_SE_SF_SG_E_clIS8_S8_S9_S9_EESD_ST_SE_SF_SG_EUlST_E1_NS1_11comp_targetILNS1_3genE3ELNS1_11target_archE908ELNS1_3gpuE7ELNS1_3repE0EEENS1_36merge_oddeven_config_static_selectorELNS0_4arch9wavefront6targetE0EEEvSF_.uses_vcc, 0
	.set _ZN7rocprim17ROCPRIM_400000_NS6detail17trampoline_kernelINS0_14default_configENS1_38merge_sort_block_merge_config_selectorItNS0_10empty_typeEEEZZNS1_27merge_sort_block_merge_implIS3_PtPS5_jNS1_19radix_merge_compareILb0ELb0EtNS0_19identity_decomposerEEEEE10hipError_tT0_T1_T2_jT3_P12ihipStream_tbPNSt15iterator_traitsISE_E10value_typeEPNSK_ISF_E10value_typeEPSG_NS1_7vsmem_tEENKUlT_SE_SF_SG_E_clIS8_S8_S9_S9_EESD_ST_SE_SF_SG_EUlST_E1_NS1_11comp_targetILNS1_3genE3ELNS1_11target_archE908ELNS1_3gpuE7ELNS1_3repE0EEENS1_36merge_oddeven_config_static_selectorELNS0_4arch9wavefront6targetE0EEEvSF_.uses_flat_scratch, 0
	.set _ZN7rocprim17ROCPRIM_400000_NS6detail17trampoline_kernelINS0_14default_configENS1_38merge_sort_block_merge_config_selectorItNS0_10empty_typeEEEZZNS1_27merge_sort_block_merge_implIS3_PtPS5_jNS1_19radix_merge_compareILb0ELb0EtNS0_19identity_decomposerEEEEE10hipError_tT0_T1_T2_jT3_P12ihipStream_tbPNSt15iterator_traitsISE_E10value_typeEPNSK_ISF_E10value_typeEPSG_NS1_7vsmem_tEENKUlT_SE_SF_SG_E_clIS8_S8_S9_S9_EESD_ST_SE_SF_SG_EUlST_E1_NS1_11comp_targetILNS1_3genE3ELNS1_11target_archE908ELNS1_3gpuE7ELNS1_3repE0EEENS1_36merge_oddeven_config_static_selectorELNS0_4arch9wavefront6targetE0EEEvSF_.has_dyn_sized_stack, 0
	.set _ZN7rocprim17ROCPRIM_400000_NS6detail17trampoline_kernelINS0_14default_configENS1_38merge_sort_block_merge_config_selectorItNS0_10empty_typeEEEZZNS1_27merge_sort_block_merge_implIS3_PtPS5_jNS1_19radix_merge_compareILb0ELb0EtNS0_19identity_decomposerEEEEE10hipError_tT0_T1_T2_jT3_P12ihipStream_tbPNSt15iterator_traitsISE_E10value_typeEPNSK_ISF_E10value_typeEPSG_NS1_7vsmem_tEENKUlT_SE_SF_SG_E_clIS8_S8_S9_S9_EESD_ST_SE_SF_SG_EUlST_E1_NS1_11comp_targetILNS1_3genE3ELNS1_11target_archE908ELNS1_3gpuE7ELNS1_3repE0EEENS1_36merge_oddeven_config_static_selectorELNS0_4arch9wavefront6targetE0EEEvSF_.has_recursion, 0
	.set _ZN7rocprim17ROCPRIM_400000_NS6detail17trampoline_kernelINS0_14default_configENS1_38merge_sort_block_merge_config_selectorItNS0_10empty_typeEEEZZNS1_27merge_sort_block_merge_implIS3_PtPS5_jNS1_19radix_merge_compareILb0ELb0EtNS0_19identity_decomposerEEEEE10hipError_tT0_T1_T2_jT3_P12ihipStream_tbPNSt15iterator_traitsISE_E10value_typeEPNSK_ISF_E10value_typeEPSG_NS1_7vsmem_tEENKUlT_SE_SF_SG_E_clIS8_S8_S9_S9_EESD_ST_SE_SF_SG_EUlST_E1_NS1_11comp_targetILNS1_3genE3ELNS1_11target_archE908ELNS1_3gpuE7ELNS1_3repE0EEENS1_36merge_oddeven_config_static_selectorELNS0_4arch9wavefront6targetE0EEEvSF_.has_indirect_call, 0
	.section	.AMDGPU.csdata,"",@progbits
; Kernel info:
; codeLenInByte = 0
; TotalNumSgprs: 0
; NumVgprs: 0
; ScratchSize: 0
; MemoryBound: 0
; FloatMode: 240
; IeeeMode: 1
; LDSByteSize: 0 bytes/workgroup (compile time only)
; SGPRBlocks: 0
; VGPRBlocks: 0
; NumSGPRsForWavesPerEU: 1
; NumVGPRsForWavesPerEU: 1
; NamedBarCnt: 0
; Occupancy: 16
; WaveLimiterHint : 0
; COMPUTE_PGM_RSRC2:SCRATCH_EN: 0
; COMPUTE_PGM_RSRC2:USER_SGPR: 2
; COMPUTE_PGM_RSRC2:TRAP_HANDLER: 0
; COMPUTE_PGM_RSRC2:TGID_X_EN: 1
; COMPUTE_PGM_RSRC2:TGID_Y_EN: 0
; COMPUTE_PGM_RSRC2:TGID_Z_EN: 0
; COMPUTE_PGM_RSRC2:TIDIG_COMP_CNT: 0
	.section	.text._ZN7rocprim17ROCPRIM_400000_NS6detail17trampoline_kernelINS0_14default_configENS1_38merge_sort_block_merge_config_selectorItNS0_10empty_typeEEEZZNS1_27merge_sort_block_merge_implIS3_PtPS5_jNS1_19radix_merge_compareILb0ELb0EtNS0_19identity_decomposerEEEEE10hipError_tT0_T1_T2_jT3_P12ihipStream_tbPNSt15iterator_traitsISE_E10value_typeEPNSK_ISF_E10value_typeEPSG_NS1_7vsmem_tEENKUlT_SE_SF_SG_E_clIS8_S8_S9_S9_EESD_ST_SE_SF_SG_EUlST_E1_NS1_11comp_targetILNS1_3genE2ELNS1_11target_archE906ELNS1_3gpuE6ELNS1_3repE0EEENS1_36merge_oddeven_config_static_selectorELNS0_4arch9wavefront6targetE0EEEvSF_,"axG",@progbits,_ZN7rocprim17ROCPRIM_400000_NS6detail17trampoline_kernelINS0_14default_configENS1_38merge_sort_block_merge_config_selectorItNS0_10empty_typeEEEZZNS1_27merge_sort_block_merge_implIS3_PtPS5_jNS1_19radix_merge_compareILb0ELb0EtNS0_19identity_decomposerEEEEE10hipError_tT0_T1_T2_jT3_P12ihipStream_tbPNSt15iterator_traitsISE_E10value_typeEPNSK_ISF_E10value_typeEPSG_NS1_7vsmem_tEENKUlT_SE_SF_SG_E_clIS8_S8_S9_S9_EESD_ST_SE_SF_SG_EUlST_E1_NS1_11comp_targetILNS1_3genE2ELNS1_11target_archE906ELNS1_3gpuE6ELNS1_3repE0EEENS1_36merge_oddeven_config_static_selectorELNS0_4arch9wavefront6targetE0EEEvSF_,comdat
	.protected	_ZN7rocprim17ROCPRIM_400000_NS6detail17trampoline_kernelINS0_14default_configENS1_38merge_sort_block_merge_config_selectorItNS0_10empty_typeEEEZZNS1_27merge_sort_block_merge_implIS3_PtPS5_jNS1_19radix_merge_compareILb0ELb0EtNS0_19identity_decomposerEEEEE10hipError_tT0_T1_T2_jT3_P12ihipStream_tbPNSt15iterator_traitsISE_E10value_typeEPNSK_ISF_E10value_typeEPSG_NS1_7vsmem_tEENKUlT_SE_SF_SG_E_clIS8_S8_S9_S9_EESD_ST_SE_SF_SG_EUlST_E1_NS1_11comp_targetILNS1_3genE2ELNS1_11target_archE906ELNS1_3gpuE6ELNS1_3repE0EEENS1_36merge_oddeven_config_static_selectorELNS0_4arch9wavefront6targetE0EEEvSF_ ; -- Begin function _ZN7rocprim17ROCPRIM_400000_NS6detail17trampoline_kernelINS0_14default_configENS1_38merge_sort_block_merge_config_selectorItNS0_10empty_typeEEEZZNS1_27merge_sort_block_merge_implIS3_PtPS5_jNS1_19radix_merge_compareILb0ELb0EtNS0_19identity_decomposerEEEEE10hipError_tT0_T1_T2_jT3_P12ihipStream_tbPNSt15iterator_traitsISE_E10value_typeEPNSK_ISF_E10value_typeEPSG_NS1_7vsmem_tEENKUlT_SE_SF_SG_E_clIS8_S8_S9_S9_EESD_ST_SE_SF_SG_EUlST_E1_NS1_11comp_targetILNS1_3genE2ELNS1_11target_archE906ELNS1_3gpuE6ELNS1_3repE0EEENS1_36merge_oddeven_config_static_selectorELNS0_4arch9wavefront6targetE0EEEvSF_
	.globl	_ZN7rocprim17ROCPRIM_400000_NS6detail17trampoline_kernelINS0_14default_configENS1_38merge_sort_block_merge_config_selectorItNS0_10empty_typeEEEZZNS1_27merge_sort_block_merge_implIS3_PtPS5_jNS1_19radix_merge_compareILb0ELb0EtNS0_19identity_decomposerEEEEE10hipError_tT0_T1_T2_jT3_P12ihipStream_tbPNSt15iterator_traitsISE_E10value_typeEPNSK_ISF_E10value_typeEPSG_NS1_7vsmem_tEENKUlT_SE_SF_SG_E_clIS8_S8_S9_S9_EESD_ST_SE_SF_SG_EUlST_E1_NS1_11comp_targetILNS1_3genE2ELNS1_11target_archE906ELNS1_3gpuE6ELNS1_3repE0EEENS1_36merge_oddeven_config_static_selectorELNS0_4arch9wavefront6targetE0EEEvSF_
	.p2align	8
	.type	_ZN7rocprim17ROCPRIM_400000_NS6detail17trampoline_kernelINS0_14default_configENS1_38merge_sort_block_merge_config_selectorItNS0_10empty_typeEEEZZNS1_27merge_sort_block_merge_implIS3_PtPS5_jNS1_19radix_merge_compareILb0ELb0EtNS0_19identity_decomposerEEEEE10hipError_tT0_T1_T2_jT3_P12ihipStream_tbPNSt15iterator_traitsISE_E10value_typeEPNSK_ISF_E10value_typeEPSG_NS1_7vsmem_tEENKUlT_SE_SF_SG_E_clIS8_S8_S9_S9_EESD_ST_SE_SF_SG_EUlST_E1_NS1_11comp_targetILNS1_3genE2ELNS1_11target_archE906ELNS1_3gpuE6ELNS1_3repE0EEENS1_36merge_oddeven_config_static_selectorELNS0_4arch9wavefront6targetE0EEEvSF_,@function
_ZN7rocprim17ROCPRIM_400000_NS6detail17trampoline_kernelINS0_14default_configENS1_38merge_sort_block_merge_config_selectorItNS0_10empty_typeEEEZZNS1_27merge_sort_block_merge_implIS3_PtPS5_jNS1_19radix_merge_compareILb0ELb0EtNS0_19identity_decomposerEEEEE10hipError_tT0_T1_T2_jT3_P12ihipStream_tbPNSt15iterator_traitsISE_E10value_typeEPNSK_ISF_E10value_typeEPSG_NS1_7vsmem_tEENKUlT_SE_SF_SG_E_clIS8_S8_S9_S9_EESD_ST_SE_SF_SG_EUlST_E1_NS1_11comp_targetILNS1_3genE2ELNS1_11target_archE906ELNS1_3gpuE6ELNS1_3repE0EEENS1_36merge_oddeven_config_static_selectorELNS0_4arch9wavefront6targetE0EEEvSF_: ; @_ZN7rocprim17ROCPRIM_400000_NS6detail17trampoline_kernelINS0_14default_configENS1_38merge_sort_block_merge_config_selectorItNS0_10empty_typeEEEZZNS1_27merge_sort_block_merge_implIS3_PtPS5_jNS1_19radix_merge_compareILb0ELb0EtNS0_19identity_decomposerEEEEE10hipError_tT0_T1_T2_jT3_P12ihipStream_tbPNSt15iterator_traitsISE_E10value_typeEPNSK_ISF_E10value_typeEPSG_NS1_7vsmem_tEENKUlT_SE_SF_SG_E_clIS8_S8_S9_S9_EESD_ST_SE_SF_SG_EUlST_E1_NS1_11comp_targetILNS1_3genE2ELNS1_11target_archE906ELNS1_3gpuE6ELNS1_3repE0EEENS1_36merge_oddeven_config_static_selectorELNS0_4arch9wavefront6targetE0EEEvSF_
; %bb.0:
	.section	.rodata,"a",@progbits
	.p2align	6, 0x0
	.amdhsa_kernel _ZN7rocprim17ROCPRIM_400000_NS6detail17trampoline_kernelINS0_14default_configENS1_38merge_sort_block_merge_config_selectorItNS0_10empty_typeEEEZZNS1_27merge_sort_block_merge_implIS3_PtPS5_jNS1_19radix_merge_compareILb0ELb0EtNS0_19identity_decomposerEEEEE10hipError_tT0_T1_T2_jT3_P12ihipStream_tbPNSt15iterator_traitsISE_E10value_typeEPNSK_ISF_E10value_typeEPSG_NS1_7vsmem_tEENKUlT_SE_SF_SG_E_clIS8_S8_S9_S9_EESD_ST_SE_SF_SG_EUlST_E1_NS1_11comp_targetILNS1_3genE2ELNS1_11target_archE906ELNS1_3gpuE6ELNS1_3repE0EEENS1_36merge_oddeven_config_static_selectorELNS0_4arch9wavefront6targetE0EEEvSF_
		.amdhsa_group_segment_fixed_size 0
		.amdhsa_private_segment_fixed_size 0
		.amdhsa_kernarg_size 48
		.amdhsa_user_sgpr_count 2
		.amdhsa_user_sgpr_dispatch_ptr 0
		.amdhsa_user_sgpr_queue_ptr 0
		.amdhsa_user_sgpr_kernarg_segment_ptr 1
		.amdhsa_user_sgpr_dispatch_id 0
		.amdhsa_user_sgpr_kernarg_preload_length 0
		.amdhsa_user_sgpr_kernarg_preload_offset 0
		.amdhsa_user_sgpr_private_segment_size 0
		.amdhsa_wavefront_size32 1
		.amdhsa_uses_dynamic_stack 0
		.amdhsa_enable_private_segment 0
		.amdhsa_system_sgpr_workgroup_id_x 1
		.amdhsa_system_sgpr_workgroup_id_y 0
		.amdhsa_system_sgpr_workgroup_id_z 0
		.amdhsa_system_sgpr_workgroup_info 0
		.amdhsa_system_vgpr_workitem_id 0
		.amdhsa_next_free_vgpr 1
		.amdhsa_next_free_sgpr 1
		.amdhsa_named_barrier_count 0
		.amdhsa_reserve_vcc 0
		.amdhsa_float_round_mode_32 0
		.amdhsa_float_round_mode_16_64 0
		.amdhsa_float_denorm_mode_32 3
		.amdhsa_float_denorm_mode_16_64 3
		.amdhsa_fp16_overflow 0
		.amdhsa_memory_ordered 1
		.amdhsa_forward_progress 1
		.amdhsa_inst_pref_size 0
		.amdhsa_round_robin_scheduling 0
		.amdhsa_exception_fp_ieee_invalid_op 0
		.amdhsa_exception_fp_denorm_src 0
		.amdhsa_exception_fp_ieee_div_zero 0
		.amdhsa_exception_fp_ieee_overflow 0
		.amdhsa_exception_fp_ieee_underflow 0
		.amdhsa_exception_fp_ieee_inexact 0
		.amdhsa_exception_int_div_zero 0
	.end_amdhsa_kernel
	.section	.text._ZN7rocprim17ROCPRIM_400000_NS6detail17trampoline_kernelINS0_14default_configENS1_38merge_sort_block_merge_config_selectorItNS0_10empty_typeEEEZZNS1_27merge_sort_block_merge_implIS3_PtPS5_jNS1_19radix_merge_compareILb0ELb0EtNS0_19identity_decomposerEEEEE10hipError_tT0_T1_T2_jT3_P12ihipStream_tbPNSt15iterator_traitsISE_E10value_typeEPNSK_ISF_E10value_typeEPSG_NS1_7vsmem_tEENKUlT_SE_SF_SG_E_clIS8_S8_S9_S9_EESD_ST_SE_SF_SG_EUlST_E1_NS1_11comp_targetILNS1_3genE2ELNS1_11target_archE906ELNS1_3gpuE6ELNS1_3repE0EEENS1_36merge_oddeven_config_static_selectorELNS0_4arch9wavefront6targetE0EEEvSF_,"axG",@progbits,_ZN7rocprim17ROCPRIM_400000_NS6detail17trampoline_kernelINS0_14default_configENS1_38merge_sort_block_merge_config_selectorItNS0_10empty_typeEEEZZNS1_27merge_sort_block_merge_implIS3_PtPS5_jNS1_19radix_merge_compareILb0ELb0EtNS0_19identity_decomposerEEEEE10hipError_tT0_T1_T2_jT3_P12ihipStream_tbPNSt15iterator_traitsISE_E10value_typeEPNSK_ISF_E10value_typeEPSG_NS1_7vsmem_tEENKUlT_SE_SF_SG_E_clIS8_S8_S9_S9_EESD_ST_SE_SF_SG_EUlST_E1_NS1_11comp_targetILNS1_3genE2ELNS1_11target_archE906ELNS1_3gpuE6ELNS1_3repE0EEENS1_36merge_oddeven_config_static_selectorELNS0_4arch9wavefront6targetE0EEEvSF_,comdat
.Lfunc_end2452:
	.size	_ZN7rocprim17ROCPRIM_400000_NS6detail17trampoline_kernelINS0_14default_configENS1_38merge_sort_block_merge_config_selectorItNS0_10empty_typeEEEZZNS1_27merge_sort_block_merge_implIS3_PtPS5_jNS1_19radix_merge_compareILb0ELb0EtNS0_19identity_decomposerEEEEE10hipError_tT0_T1_T2_jT3_P12ihipStream_tbPNSt15iterator_traitsISE_E10value_typeEPNSK_ISF_E10value_typeEPSG_NS1_7vsmem_tEENKUlT_SE_SF_SG_E_clIS8_S8_S9_S9_EESD_ST_SE_SF_SG_EUlST_E1_NS1_11comp_targetILNS1_3genE2ELNS1_11target_archE906ELNS1_3gpuE6ELNS1_3repE0EEENS1_36merge_oddeven_config_static_selectorELNS0_4arch9wavefront6targetE0EEEvSF_, .Lfunc_end2452-_ZN7rocprim17ROCPRIM_400000_NS6detail17trampoline_kernelINS0_14default_configENS1_38merge_sort_block_merge_config_selectorItNS0_10empty_typeEEEZZNS1_27merge_sort_block_merge_implIS3_PtPS5_jNS1_19radix_merge_compareILb0ELb0EtNS0_19identity_decomposerEEEEE10hipError_tT0_T1_T2_jT3_P12ihipStream_tbPNSt15iterator_traitsISE_E10value_typeEPNSK_ISF_E10value_typeEPSG_NS1_7vsmem_tEENKUlT_SE_SF_SG_E_clIS8_S8_S9_S9_EESD_ST_SE_SF_SG_EUlST_E1_NS1_11comp_targetILNS1_3genE2ELNS1_11target_archE906ELNS1_3gpuE6ELNS1_3repE0EEENS1_36merge_oddeven_config_static_selectorELNS0_4arch9wavefront6targetE0EEEvSF_
                                        ; -- End function
	.set _ZN7rocprim17ROCPRIM_400000_NS6detail17trampoline_kernelINS0_14default_configENS1_38merge_sort_block_merge_config_selectorItNS0_10empty_typeEEEZZNS1_27merge_sort_block_merge_implIS3_PtPS5_jNS1_19radix_merge_compareILb0ELb0EtNS0_19identity_decomposerEEEEE10hipError_tT0_T1_T2_jT3_P12ihipStream_tbPNSt15iterator_traitsISE_E10value_typeEPNSK_ISF_E10value_typeEPSG_NS1_7vsmem_tEENKUlT_SE_SF_SG_E_clIS8_S8_S9_S9_EESD_ST_SE_SF_SG_EUlST_E1_NS1_11comp_targetILNS1_3genE2ELNS1_11target_archE906ELNS1_3gpuE6ELNS1_3repE0EEENS1_36merge_oddeven_config_static_selectorELNS0_4arch9wavefront6targetE0EEEvSF_.num_vgpr, 0
	.set _ZN7rocprim17ROCPRIM_400000_NS6detail17trampoline_kernelINS0_14default_configENS1_38merge_sort_block_merge_config_selectorItNS0_10empty_typeEEEZZNS1_27merge_sort_block_merge_implIS3_PtPS5_jNS1_19radix_merge_compareILb0ELb0EtNS0_19identity_decomposerEEEEE10hipError_tT0_T1_T2_jT3_P12ihipStream_tbPNSt15iterator_traitsISE_E10value_typeEPNSK_ISF_E10value_typeEPSG_NS1_7vsmem_tEENKUlT_SE_SF_SG_E_clIS8_S8_S9_S9_EESD_ST_SE_SF_SG_EUlST_E1_NS1_11comp_targetILNS1_3genE2ELNS1_11target_archE906ELNS1_3gpuE6ELNS1_3repE0EEENS1_36merge_oddeven_config_static_selectorELNS0_4arch9wavefront6targetE0EEEvSF_.num_agpr, 0
	.set _ZN7rocprim17ROCPRIM_400000_NS6detail17trampoline_kernelINS0_14default_configENS1_38merge_sort_block_merge_config_selectorItNS0_10empty_typeEEEZZNS1_27merge_sort_block_merge_implIS3_PtPS5_jNS1_19radix_merge_compareILb0ELb0EtNS0_19identity_decomposerEEEEE10hipError_tT0_T1_T2_jT3_P12ihipStream_tbPNSt15iterator_traitsISE_E10value_typeEPNSK_ISF_E10value_typeEPSG_NS1_7vsmem_tEENKUlT_SE_SF_SG_E_clIS8_S8_S9_S9_EESD_ST_SE_SF_SG_EUlST_E1_NS1_11comp_targetILNS1_3genE2ELNS1_11target_archE906ELNS1_3gpuE6ELNS1_3repE0EEENS1_36merge_oddeven_config_static_selectorELNS0_4arch9wavefront6targetE0EEEvSF_.numbered_sgpr, 0
	.set _ZN7rocprim17ROCPRIM_400000_NS6detail17trampoline_kernelINS0_14default_configENS1_38merge_sort_block_merge_config_selectorItNS0_10empty_typeEEEZZNS1_27merge_sort_block_merge_implIS3_PtPS5_jNS1_19radix_merge_compareILb0ELb0EtNS0_19identity_decomposerEEEEE10hipError_tT0_T1_T2_jT3_P12ihipStream_tbPNSt15iterator_traitsISE_E10value_typeEPNSK_ISF_E10value_typeEPSG_NS1_7vsmem_tEENKUlT_SE_SF_SG_E_clIS8_S8_S9_S9_EESD_ST_SE_SF_SG_EUlST_E1_NS1_11comp_targetILNS1_3genE2ELNS1_11target_archE906ELNS1_3gpuE6ELNS1_3repE0EEENS1_36merge_oddeven_config_static_selectorELNS0_4arch9wavefront6targetE0EEEvSF_.num_named_barrier, 0
	.set _ZN7rocprim17ROCPRIM_400000_NS6detail17trampoline_kernelINS0_14default_configENS1_38merge_sort_block_merge_config_selectorItNS0_10empty_typeEEEZZNS1_27merge_sort_block_merge_implIS3_PtPS5_jNS1_19radix_merge_compareILb0ELb0EtNS0_19identity_decomposerEEEEE10hipError_tT0_T1_T2_jT3_P12ihipStream_tbPNSt15iterator_traitsISE_E10value_typeEPNSK_ISF_E10value_typeEPSG_NS1_7vsmem_tEENKUlT_SE_SF_SG_E_clIS8_S8_S9_S9_EESD_ST_SE_SF_SG_EUlST_E1_NS1_11comp_targetILNS1_3genE2ELNS1_11target_archE906ELNS1_3gpuE6ELNS1_3repE0EEENS1_36merge_oddeven_config_static_selectorELNS0_4arch9wavefront6targetE0EEEvSF_.private_seg_size, 0
	.set _ZN7rocprim17ROCPRIM_400000_NS6detail17trampoline_kernelINS0_14default_configENS1_38merge_sort_block_merge_config_selectorItNS0_10empty_typeEEEZZNS1_27merge_sort_block_merge_implIS3_PtPS5_jNS1_19radix_merge_compareILb0ELb0EtNS0_19identity_decomposerEEEEE10hipError_tT0_T1_T2_jT3_P12ihipStream_tbPNSt15iterator_traitsISE_E10value_typeEPNSK_ISF_E10value_typeEPSG_NS1_7vsmem_tEENKUlT_SE_SF_SG_E_clIS8_S8_S9_S9_EESD_ST_SE_SF_SG_EUlST_E1_NS1_11comp_targetILNS1_3genE2ELNS1_11target_archE906ELNS1_3gpuE6ELNS1_3repE0EEENS1_36merge_oddeven_config_static_selectorELNS0_4arch9wavefront6targetE0EEEvSF_.uses_vcc, 0
	.set _ZN7rocprim17ROCPRIM_400000_NS6detail17trampoline_kernelINS0_14default_configENS1_38merge_sort_block_merge_config_selectorItNS0_10empty_typeEEEZZNS1_27merge_sort_block_merge_implIS3_PtPS5_jNS1_19radix_merge_compareILb0ELb0EtNS0_19identity_decomposerEEEEE10hipError_tT0_T1_T2_jT3_P12ihipStream_tbPNSt15iterator_traitsISE_E10value_typeEPNSK_ISF_E10value_typeEPSG_NS1_7vsmem_tEENKUlT_SE_SF_SG_E_clIS8_S8_S9_S9_EESD_ST_SE_SF_SG_EUlST_E1_NS1_11comp_targetILNS1_3genE2ELNS1_11target_archE906ELNS1_3gpuE6ELNS1_3repE0EEENS1_36merge_oddeven_config_static_selectorELNS0_4arch9wavefront6targetE0EEEvSF_.uses_flat_scratch, 0
	.set _ZN7rocprim17ROCPRIM_400000_NS6detail17trampoline_kernelINS0_14default_configENS1_38merge_sort_block_merge_config_selectorItNS0_10empty_typeEEEZZNS1_27merge_sort_block_merge_implIS3_PtPS5_jNS1_19radix_merge_compareILb0ELb0EtNS0_19identity_decomposerEEEEE10hipError_tT0_T1_T2_jT3_P12ihipStream_tbPNSt15iterator_traitsISE_E10value_typeEPNSK_ISF_E10value_typeEPSG_NS1_7vsmem_tEENKUlT_SE_SF_SG_E_clIS8_S8_S9_S9_EESD_ST_SE_SF_SG_EUlST_E1_NS1_11comp_targetILNS1_3genE2ELNS1_11target_archE906ELNS1_3gpuE6ELNS1_3repE0EEENS1_36merge_oddeven_config_static_selectorELNS0_4arch9wavefront6targetE0EEEvSF_.has_dyn_sized_stack, 0
	.set _ZN7rocprim17ROCPRIM_400000_NS6detail17trampoline_kernelINS0_14default_configENS1_38merge_sort_block_merge_config_selectorItNS0_10empty_typeEEEZZNS1_27merge_sort_block_merge_implIS3_PtPS5_jNS1_19radix_merge_compareILb0ELb0EtNS0_19identity_decomposerEEEEE10hipError_tT0_T1_T2_jT3_P12ihipStream_tbPNSt15iterator_traitsISE_E10value_typeEPNSK_ISF_E10value_typeEPSG_NS1_7vsmem_tEENKUlT_SE_SF_SG_E_clIS8_S8_S9_S9_EESD_ST_SE_SF_SG_EUlST_E1_NS1_11comp_targetILNS1_3genE2ELNS1_11target_archE906ELNS1_3gpuE6ELNS1_3repE0EEENS1_36merge_oddeven_config_static_selectorELNS0_4arch9wavefront6targetE0EEEvSF_.has_recursion, 0
	.set _ZN7rocprim17ROCPRIM_400000_NS6detail17trampoline_kernelINS0_14default_configENS1_38merge_sort_block_merge_config_selectorItNS0_10empty_typeEEEZZNS1_27merge_sort_block_merge_implIS3_PtPS5_jNS1_19radix_merge_compareILb0ELb0EtNS0_19identity_decomposerEEEEE10hipError_tT0_T1_T2_jT3_P12ihipStream_tbPNSt15iterator_traitsISE_E10value_typeEPNSK_ISF_E10value_typeEPSG_NS1_7vsmem_tEENKUlT_SE_SF_SG_E_clIS8_S8_S9_S9_EESD_ST_SE_SF_SG_EUlST_E1_NS1_11comp_targetILNS1_3genE2ELNS1_11target_archE906ELNS1_3gpuE6ELNS1_3repE0EEENS1_36merge_oddeven_config_static_selectorELNS0_4arch9wavefront6targetE0EEEvSF_.has_indirect_call, 0
	.section	.AMDGPU.csdata,"",@progbits
; Kernel info:
; codeLenInByte = 0
; TotalNumSgprs: 0
; NumVgprs: 0
; ScratchSize: 0
; MemoryBound: 0
; FloatMode: 240
; IeeeMode: 1
; LDSByteSize: 0 bytes/workgroup (compile time only)
; SGPRBlocks: 0
; VGPRBlocks: 0
; NumSGPRsForWavesPerEU: 1
; NumVGPRsForWavesPerEU: 1
; NamedBarCnt: 0
; Occupancy: 16
; WaveLimiterHint : 0
; COMPUTE_PGM_RSRC2:SCRATCH_EN: 0
; COMPUTE_PGM_RSRC2:USER_SGPR: 2
; COMPUTE_PGM_RSRC2:TRAP_HANDLER: 0
; COMPUTE_PGM_RSRC2:TGID_X_EN: 1
; COMPUTE_PGM_RSRC2:TGID_Y_EN: 0
; COMPUTE_PGM_RSRC2:TGID_Z_EN: 0
; COMPUTE_PGM_RSRC2:TIDIG_COMP_CNT: 0
	.section	.text._ZN7rocprim17ROCPRIM_400000_NS6detail17trampoline_kernelINS0_14default_configENS1_38merge_sort_block_merge_config_selectorItNS0_10empty_typeEEEZZNS1_27merge_sort_block_merge_implIS3_PtPS5_jNS1_19radix_merge_compareILb0ELb0EtNS0_19identity_decomposerEEEEE10hipError_tT0_T1_T2_jT3_P12ihipStream_tbPNSt15iterator_traitsISE_E10value_typeEPNSK_ISF_E10value_typeEPSG_NS1_7vsmem_tEENKUlT_SE_SF_SG_E_clIS8_S8_S9_S9_EESD_ST_SE_SF_SG_EUlST_E1_NS1_11comp_targetILNS1_3genE9ELNS1_11target_archE1100ELNS1_3gpuE3ELNS1_3repE0EEENS1_36merge_oddeven_config_static_selectorELNS0_4arch9wavefront6targetE0EEEvSF_,"axG",@progbits,_ZN7rocprim17ROCPRIM_400000_NS6detail17trampoline_kernelINS0_14default_configENS1_38merge_sort_block_merge_config_selectorItNS0_10empty_typeEEEZZNS1_27merge_sort_block_merge_implIS3_PtPS5_jNS1_19radix_merge_compareILb0ELb0EtNS0_19identity_decomposerEEEEE10hipError_tT0_T1_T2_jT3_P12ihipStream_tbPNSt15iterator_traitsISE_E10value_typeEPNSK_ISF_E10value_typeEPSG_NS1_7vsmem_tEENKUlT_SE_SF_SG_E_clIS8_S8_S9_S9_EESD_ST_SE_SF_SG_EUlST_E1_NS1_11comp_targetILNS1_3genE9ELNS1_11target_archE1100ELNS1_3gpuE3ELNS1_3repE0EEENS1_36merge_oddeven_config_static_selectorELNS0_4arch9wavefront6targetE0EEEvSF_,comdat
	.protected	_ZN7rocprim17ROCPRIM_400000_NS6detail17trampoline_kernelINS0_14default_configENS1_38merge_sort_block_merge_config_selectorItNS0_10empty_typeEEEZZNS1_27merge_sort_block_merge_implIS3_PtPS5_jNS1_19radix_merge_compareILb0ELb0EtNS0_19identity_decomposerEEEEE10hipError_tT0_T1_T2_jT3_P12ihipStream_tbPNSt15iterator_traitsISE_E10value_typeEPNSK_ISF_E10value_typeEPSG_NS1_7vsmem_tEENKUlT_SE_SF_SG_E_clIS8_S8_S9_S9_EESD_ST_SE_SF_SG_EUlST_E1_NS1_11comp_targetILNS1_3genE9ELNS1_11target_archE1100ELNS1_3gpuE3ELNS1_3repE0EEENS1_36merge_oddeven_config_static_selectorELNS0_4arch9wavefront6targetE0EEEvSF_ ; -- Begin function _ZN7rocprim17ROCPRIM_400000_NS6detail17trampoline_kernelINS0_14default_configENS1_38merge_sort_block_merge_config_selectorItNS0_10empty_typeEEEZZNS1_27merge_sort_block_merge_implIS3_PtPS5_jNS1_19radix_merge_compareILb0ELb0EtNS0_19identity_decomposerEEEEE10hipError_tT0_T1_T2_jT3_P12ihipStream_tbPNSt15iterator_traitsISE_E10value_typeEPNSK_ISF_E10value_typeEPSG_NS1_7vsmem_tEENKUlT_SE_SF_SG_E_clIS8_S8_S9_S9_EESD_ST_SE_SF_SG_EUlST_E1_NS1_11comp_targetILNS1_3genE9ELNS1_11target_archE1100ELNS1_3gpuE3ELNS1_3repE0EEENS1_36merge_oddeven_config_static_selectorELNS0_4arch9wavefront6targetE0EEEvSF_
	.globl	_ZN7rocprim17ROCPRIM_400000_NS6detail17trampoline_kernelINS0_14default_configENS1_38merge_sort_block_merge_config_selectorItNS0_10empty_typeEEEZZNS1_27merge_sort_block_merge_implIS3_PtPS5_jNS1_19radix_merge_compareILb0ELb0EtNS0_19identity_decomposerEEEEE10hipError_tT0_T1_T2_jT3_P12ihipStream_tbPNSt15iterator_traitsISE_E10value_typeEPNSK_ISF_E10value_typeEPSG_NS1_7vsmem_tEENKUlT_SE_SF_SG_E_clIS8_S8_S9_S9_EESD_ST_SE_SF_SG_EUlST_E1_NS1_11comp_targetILNS1_3genE9ELNS1_11target_archE1100ELNS1_3gpuE3ELNS1_3repE0EEENS1_36merge_oddeven_config_static_selectorELNS0_4arch9wavefront6targetE0EEEvSF_
	.p2align	8
	.type	_ZN7rocprim17ROCPRIM_400000_NS6detail17trampoline_kernelINS0_14default_configENS1_38merge_sort_block_merge_config_selectorItNS0_10empty_typeEEEZZNS1_27merge_sort_block_merge_implIS3_PtPS5_jNS1_19radix_merge_compareILb0ELb0EtNS0_19identity_decomposerEEEEE10hipError_tT0_T1_T2_jT3_P12ihipStream_tbPNSt15iterator_traitsISE_E10value_typeEPNSK_ISF_E10value_typeEPSG_NS1_7vsmem_tEENKUlT_SE_SF_SG_E_clIS8_S8_S9_S9_EESD_ST_SE_SF_SG_EUlST_E1_NS1_11comp_targetILNS1_3genE9ELNS1_11target_archE1100ELNS1_3gpuE3ELNS1_3repE0EEENS1_36merge_oddeven_config_static_selectorELNS0_4arch9wavefront6targetE0EEEvSF_,@function
_ZN7rocprim17ROCPRIM_400000_NS6detail17trampoline_kernelINS0_14default_configENS1_38merge_sort_block_merge_config_selectorItNS0_10empty_typeEEEZZNS1_27merge_sort_block_merge_implIS3_PtPS5_jNS1_19radix_merge_compareILb0ELb0EtNS0_19identity_decomposerEEEEE10hipError_tT0_T1_T2_jT3_P12ihipStream_tbPNSt15iterator_traitsISE_E10value_typeEPNSK_ISF_E10value_typeEPSG_NS1_7vsmem_tEENKUlT_SE_SF_SG_E_clIS8_S8_S9_S9_EESD_ST_SE_SF_SG_EUlST_E1_NS1_11comp_targetILNS1_3genE9ELNS1_11target_archE1100ELNS1_3gpuE3ELNS1_3repE0EEENS1_36merge_oddeven_config_static_selectorELNS0_4arch9wavefront6targetE0EEEvSF_: ; @_ZN7rocprim17ROCPRIM_400000_NS6detail17trampoline_kernelINS0_14default_configENS1_38merge_sort_block_merge_config_selectorItNS0_10empty_typeEEEZZNS1_27merge_sort_block_merge_implIS3_PtPS5_jNS1_19radix_merge_compareILb0ELb0EtNS0_19identity_decomposerEEEEE10hipError_tT0_T1_T2_jT3_P12ihipStream_tbPNSt15iterator_traitsISE_E10value_typeEPNSK_ISF_E10value_typeEPSG_NS1_7vsmem_tEENKUlT_SE_SF_SG_E_clIS8_S8_S9_S9_EESD_ST_SE_SF_SG_EUlST_E1_NS1_11comp_targetILNS1_3genE9ELNS1_11target_archE1100ELNS1_3gpuE3ELNS1_3repE0EEENS1_36merge_oddeven_config_static_selectorELNS0_4arch9wavefront6targetE0EEEvSF_
; %bb.0:
	.section	.rodata,"a",@progbits
	.p2align	6, 0x0
	.amdhsa_kernel _ZN7rocprim17ROCPRIM_400000_NS6detail17trampoline_kernelINS0_14default_configENS1_38merge_sort_block_merge_config_selectorItNS0_10empty_typeEEEZZNS1_27merge_sort_block_merge_implIS3_PtPS5_jNS1_19radix_merge_compareILb0ELb0EtNS0_19identity_decomposerEEEEE10hipError_tT0_T1_T2_jT3_P12ihipStream_tbPNSt15iterator_traitsISE_E10value_typeEPNSK_ISF_E10value_typeEPSG_NS1_7vsmem_tEENKUlT_SE_SF_SG_E_clIS8_S8_S9_S9_EESD_ST_SE_SF_SG_EUlST_E1_NS1_11comp_targetILNS1_3genE9ELNS1_11target_archE1100ELNS1_3gpuE3ELNS1_3repE0EEENS1_36merge_oddeven_config_static_selectorELNS0_4arch9wavefront6targetE0EEEvSF_
		.amdhsa_group_segment_fixed_size 0
		.amdhsa_private_segment_fixed_size 0
		.amdhsa_kernarg_size 48
		.amdhsa_user_sgpr_count 2
		.amdhsa_user_sgpr_dispatch_ptr 0
		.amdhsa_user_sgpr_queue_ptr 0
		.amdhsa_user_sgpr_kernarg_segment_ptr 1
		.amdhsa_user_sgpr_dispatch_id 0
		.amdhsa_user_sgpr_kernarg_preload_length 0
		.amdhsa_user_sgpr_kernarg_preload_offset 0
		.amdhsa_user_sgpr_private_segment_size 0
		.amdhsa_wavefront_size32 1
		.amdhsa_uses_dynamic_stack 0
		.amdhsa_enable_private_segment 0
		.amdhsa_system_sgpr_workgroup_id_x 1
		.amdhsa_system_sgpr_workgroup_id_y 0
		.amdhsa_system_sgpr_workgroup_id_z 0
		.amdhsa_system_sgpr_workgroup_info 0
		.amdhsa_system_vgpr_workitem_id 0
		.amdhsa_next_free_vgpr 1
		.amdhsa_next_free_sgpr 1
		.amdhsa_named_barrier_count 0
		.amdhsa_reserve_vcc 0
		.amdhsa_float_round_mode_32 0
		.amdhsa_float_round_mode_16_64 0
		.amdhsa_float_denorm_mode_32 3
		.amdhsa_float_denorm_mode_16_64 3
		.amdhsa_fp16_overflow 0
		.amdhsa_memory_ordered 1
		.amdhsa_forward_progress 1
		.amdhsa_inst_pref_size 0
		.amdhsa_round_robin_scheduling 0
		.amdhsa_exception_fp_ieee_invalid_op 0
		.amdhsa_exception_fp_denorm_src 0
		.amdhsa_exception_fp_ieee_div_zero 0
		.amdhsa_exception_fp_ieee_overflow 0
		.amdhsa_exception_fp_ieee_underflow 0
		.amdhsa_exception_fp_ieee_inexact 0
		.amdhsa_exception_int_div_zero 0
	.end_amdhsa_kernel
	.section	.text._ZN7rocprim17ROCPRIM_400000_NS6detail17trampoline_kernelINS0_14default_configENS1_38merge_sort_block_merge_config_selectorItNS0_10empty_typeEEEZZNS1_27merge_sort_block_merge_implIS3_PtPS5_jNS1_19radix_merge_compareILb0ELb0EtNS0_19identity_decomposerEEEEE10hipError_tT0_T1_T2_jT3_P12ihipStream_tbPNSt15iterator_traitsISE_E10value_typeEPNSK_ISF_E10value_typeEPSG_NS1_7vsmem_tEENKUlT_SE_SF_SG_E_clIS8_S8_S9_S9_EESD_ST_SE_SF_SG_EUlST_E1_NS1_11comp_targetILNS1_3genE9ELNS1_11target_archE1100ELNS1_3gpuE3ELNS1_3repE0EEENS1_36merge_oddeven_config_static_selectorELNS0_4arch9wavefront6targetE0EEEvSF_,"axG",@progbits,_ZN7rocprim17ROCPRIM_400000_NS6detail17trampoline_kernelINS0_14default_configENS1_38merge_sort_block_merge_config_selectorItNS0_10empty_typeEEEZZNS1_27merge_sort_block_merge_implIS3_PtPS5_jNS1_19radix_merge_compareILb0ELb0EtNS0_19identity_decomposerEEEEE10hipError_tT0_T1_T2_jT3_P12ihipStream_tbPNSt15iterator_traitsISE_E10value_typeEPNSK_ISF_E10value_typeEPSG_NS1_7vsmem_tEENKUlT_SE_SF_SG_E_clIS8_S8_S9_S9_EESD_ST_SE_SF_SG_EUlST_E1_NS1_11comp_targetILNS1_3genE9ELNS1_11target_archE1100ELNS1_3gpuE3ELNS1_3repE0EEENS1_36merge_oddeven_config_static_selectorELNS0_4arch9wavefront6targetE0EEEvSF_,comdat
.Lfunc_end2453:
	.size	_ZN7rocprim17ROCPRIM_400000_NS6detail17trampoline_kernelINS0_14default_configENS1_38merge_sort_block_merge_config_selectorItNS0_10empty_typeEEEZZNS1_27merge_sort_block_merge_implIS3_PtPS5_jNS1_19radix_merge_compareILb0ELb0EtNS0_19identity_decomposerEEEEE10hipError_tT0_T1_T2_jT3_P12ihipStream_tbPNSt15iterator_traitsISE_E10value_typeEPNSK_ISF_E10value_typeEPSG_NS1_7vsmem_tEENKUlT_SE_SF_SG_E_clIS8_S8_S9_S9_EESD_ST_SE_SF_SG_EUlST_E1_NS1_11comp_targetILNS1_3genE9ELNS1_11target_archE1100ELNS1_3gpuE3ELNS1_3repE0EEENS1_36merge_oddeven_config_static_selectorELNS0_4arch9wavefront6targetE0EEEvSF_, .Lfunc_end2453-_ZN7rocprim17ROCPRIM_400000_NS6detail17trampoline_kernelINS0_14default_configENS1_38merge_sort_block_merge_config_selectorItNS0_10empty_typeEEEZZNS1_27merge_sort_block_merge_implIS3_PtPS5_jNS1_19radix_merge_compareILb0ELb0EtNS0_19identity_decomposerEEEEE10hipError_tT0_T1_T2_jT3_P12ihipStream_tbPNSt15iterator_traitsISE_E10value_typeEPNSK_ISF_E10value_typeEPSG_NS1_7vsmem_tEENKUlT_SE_SF_SG_E_clIS8_S8_S9_S9_EESD_ST_SE_SF_SG_EUlST_E1_NS1_11comp_targetILNS1_3genE9ELNS1_11target_archE1100ELNS1_3gpuE3ELNS1_3repE0EEENS1_36merge_oddeven_config_static_selectorELNS0_4arch9wavefront6targetE0EEEvSF_
                                        ; -- End function
	.set _ZN7rocprim17ROCPRIM_400000_NS6detail17trampoline_kernelINS0_14default_configENS1_38merge_sort_block_merge_config_selectorItNS0_10empty_typeEEEZZNS1_27merge_sort_block_merge_implIS3_PtPS5_jNS1_19radix_merge_compareILb0ELb0EtNS0_19identity_decomposerEEEEE10hipError_tT0_T1_T2_jT3_P12ihipStream_tbPNSt15iterator_traitsISE_E10value_typeEPNSK_ISF_E10value_typeEPSG_NS1_7vsmem_tEENKUlT_SE_SF_SG_E_clIS8_S8_S9_S9_EESD_ST_SE_SF_SG_EUlST_E1_NS1_11comp_targetILNS1_3genE9ELNS1_11target_archE1100ELNS1_3gpuE3ELNS1_3repE0EEENS1_36merge_oddeven_config_static_selectorELNS0_4arch9wavefront6targetE0EEEvSF_.num_vgpr, 0
	.set _ZN7rocprim17ROCPRIM_400000_NS6detail17trampoline_kernelINS0_14default_configENS1_38merge_sort_block_merge_config_selectorItNS0_10empty_typeEEEZZNS1_27merge_sort_block_merge_implIS3_PtPS5_jNS1_19radix_merge_compareILb0ELb0EtNS0_19identity_decomposerEEEEE10hipError_tT0_T1_T2_jT3_P12ihipStream_tbPNSt15iterator_traitsISE_E10value_typeEPNSK_ISF_E10value_typeEPSG_NS1_7vsmem_tEENKUlT_SE_SF_SG_E_clIS8_S8_S9_S9_EESD_ST_SE_SF_SG_EUlST_E1_NS1_11comp_targetILNS1_3genE9ELNS1_11target_archE1100ELNS1_3gpuE3ELNS1_3repE0EEENS1_36merge_oddeven_config_static_selectorELNS0_4arch9wavefront6targetE0EEEvSF_.num_agpr, 0
	.set _ZN7rocprim17ROCPRIM_400000_NS6detail17trampoline_kernelINS0_14default_configENS1_38merge_sort_block_merge_config_selectorItNS0_10empty_typeEEEZZNS1_27merge_sort_block_merge_implIS3_PtPS5_jNS1_19radix_merge_compareILb0ELb0EtNS0_19identity_decomposerEEEEE10hipError_tT0_T1_T2_jT3_P12ihipStream_tbPNSt15iterator_traitsISE_E10value_typeEPNSK_ISF_E10value_typeEPSG_NS1_7vsmem_tEENKUlT_SE_SF_SG_E_clIS8_S8_S9_S9_EESD_ST_SE_SF_SG_EUlST_E1_NS1_11comp_targetILNS1_3genE9ELNS1_11target_archE1100ELNS1_3gpuE3ELNS1_3repE0EEENS1_36merge_oddeven_config_static_selectorELNS0_4arch9wavefront6targetE0EEEvSF_.numbered_sgpr, 0
	.set _ZN7rocprim17ROCPRIM_400000_NS6detail17trampoline_kernelINS0_14default_configENS1_38merge_sort_block_merge_config_selectorItNS0_10empty_typeEEEZZNS1_27merge_sort_block_merge_implIS3_PtPS5_jNS1_19radix_merge_compareILb0ELb0EtNS0_19identity_decomposerEEEEE10hipError_tT0_T1_T2_jT3_P12ihipStream_tbPNSt15iterator_traitsISE_E10value_typeEPNSK_ISF_E10value_typeEPSG_NS1_7vsmem_tEENKUlT_SE_SF_SG_E_clIS8_S8_S9_S9_EESD_ST_SE_SF_SG_EUlST_E1_NS1_11comp_targetILNS1_3genE9ELNS1_11target_archE1100ELNS1_3gpuE3ELNS1_3repE0EEENS1_36merge_oddeven_config_static_selectorELNS0_4arch9wavefront6targetE0EEEvSF_.num_named_barrier, 0
	.set _ZN7rocprim17ROCPRIM_400000_NS6detail17trampoline_kernelINS0_14default_configENS1_38merge_sort_block_merge_config_selectorItNS0_10empty_typeEEEZZNS1_27merge_sort_block_merge_implIS3_PtPS5_jNS1_19radix_merge_compareILb0ELb0EtNS0_19identity_decomposerEEEEE10hipError_tT0_T1_T2_jT3_P12ihipStream_tbPNSt15iterator_traitsISE_E10value_typeEPNSK_ISF_E10value_typeEPSG_NS1_7vsmem_tEENKUlT_SE_SF_SG_E_clIS8_S8_S9_S9_EESD_ST_SE_SF_SG_EUlST_E1_NS1_11comp_targetILNS1_3genE9ELNS1_11target_archE1100ELNS1_3gpuE3ELNS1_3repE0EEENS1_36merge_oddeven_config_static_selectorELNS0_4arch9wavefront6targetE0EEEvSF_.private_seg_size, 0
	.set _ZN7rocprim17ROCPRIM_400000_NS6detail17trampoline_kernelINS0_14default_configENS1_38merge_sort_block_merge_config_selectorItNS0_10empty_typeEEEZZNS1_27merge_sort_block_merge_implIS3_PtPS5_jNS1_19radix_merge_compareILb0ELb0EtNS0_19identity_decomposerEEEEE10hipError_tT0_T1_T2_jT3_P12ihipStream_tbPNSt15iterator_traitsISE_E10value_typeEPNSK_ISF_E10value_typeEPSG_NS1_7vsmem_tEENKUlT_SE_SF_SG_E_clIS8_S8_S9_S9_EESD_ST_SE_SF_SG_EUlST_E1_NS1_11comp_targetILNS1_3genE9ELNS1_11target_archE1100ELNS1_3gpuE3ELNS1_3repE0EEENS1_36merge_oddeven_config_static_selectorELNS0_4arch9wavefront6targetE0EEEvSF_.uses_vcc, 0
	.set _ZN7rocprim17ROCPRIM_400000_NS6detail17trampoline_kernelINS0_14default_configENS1_38merge_sort_block_merge_config_selectorItNS0_10empty_typeEEEZZNS1_27merge_sort_block_merge_implIS3_PtPS5_jNS1_19radix_merge_compareILb0ELb0EtNS0_19identity_decomposerEEEEE10hipError_tT0_T1_T2_jT3_P12ihipStream_tbPNSt15iterator_traitsISE_E10value_typeEPNSK_ISF_E10value_typeEPSG_NS1_7vsmem_tEENKUlT_SE_SF_SG_E_clIS8_S8_S9_S9_EESD_ST_SE_SF_SG_EUlST_E1_NS1_11comp_targetILNS1_3genE9ELNS1_11target_archE1100ELNS1_3gpuE3ELNS1_3repE0EEENS1_36merge_oddeven_config_static_selectorELNS0_4arch9wavefront6targetE0EEEvSF_.uses_flat_scratch, 0
	.set _ZN7rocprim17ROCPRIM_400000_NS6detail17trampoline_kernelINS0_14default_configENS1_38merge_sort_block_merge_config_selectorItNS0_10empty_typeEEEZZNS1_27merge_sort_block_merge_implIS3_PtPS5_jNS1_19radix_merge_compareILb0ELb0EtNS0_19identity_decomposerEEEEE10hipError_tT0_T1_T2_jT3_P12ihipStream_tbPNSt15iterator_traitsISE_E10value_typeEPNSK_ISF_E10value_typeEPSG_NS1_7vsmem_tEENKUlT_SE_SF_SG_E_clIS8_S8_S9_S9_EESD_ST_SE_SF_SG_EUlST_E1_NS1_11comp_targetILNS1_3genE9ELNS1_11target_archE1100ELNS1_3gpuE3ELNS1_3repE0EEENS1_36merge_oddeven_config_static_selectorELNS0_4arch9wavefront6targetE0EEEvSF_.has_dyn_sized_stack, 0
	.set _ZN7rocprim17ROCPRIM_400000_NS6detail17trampoline_kernelINS0_14default_configENS1_38merge_sort_block_merge_config_selectorItNS0_10empty_typeEEEZZNS1_27merge_sort_block_merge_implIS3_PtPS5_jNS1_19radix_merge_compareILb0ELb0EtNS0_19identity_decomposerEEEEE10hipError_tT0_T1_T2_jT3_P12ihipStream_tbPNSt15iterator_traitsISE_E10value_typeEPNSK_ISF_E10value_typeEPSG_NS1_7vsmem_tEENKUlT_SE_SF_SG_E_clIS8_S8_S9_S9_EESD_ST_SE_SF_SG_EUlST_E1_NS1_11comp_targetILNS1_3genE9ELNS1_11target_archE1100ELNS1_3gpuE3ELNS1_3repE0EEENS1_36merge_oddeven_config_static_selectorELNS0_4arch9wavefront6targetE0EEEvSF_.has_recursion, 0
	.set _ZN7rocprim17ROCPRIM_400000_NS6detail17trampoline_kernelINS0_14default_configENS1_38merge_sort_block_merge_config_selectorItNS0_10empty_typeEEEZZNS1_27merge_sort_block_merge_implIS3_PtPS5_jNS1_19radix_merge_compareILb0ELb0EtNS0_19identity_decomposerEEEEE10hipError_tT0_T1_T2_jT3_P12ihipStream_tbPNSt15iterator_traitsISE_E10value_typeEPNSK_ISF_E10value_typeEPSG_NS1_7vsmem_tEENKUlT_SE_SF_SG_E_clIS8_S8_S9_S9_EESD_ST_SE_SF_SG_EUlST_E1_NS1_11comp_targetILNS1_3genE9ELNS1_11target_archE1100ELNS1_3gpuE3ELNS1_3repE0EEENS1_36merge_oddeven_config_static_selectorELNS0_4arch9wavefront6targetE0EEEvSF_.has_indirect_call, 0
	.section	.AMDGPU.csdata,"",@progbits
; Kernel info:
; codeLenInByte = 0
; TotalNumSgprs: 0
; NumVgprs: 0
; ScratchSize: 0
; MemoryBound: 0
; FloatMode: 240
; IeeeMode: 1
; LDSByteSize: 0 bytes/workgroup (compile time only)
; SGPRBlocks: 0
; VGPRBlocks: 0
; NumSGPRsForWavesPerEU: 1
; NumVGPRsForWavesPerEU: 1
; NamedBarCnt: 0
; Occupancy: 16
; WaveLimiterHint : 0
; COMPUTE_PGM_RSRC2:SCRATCH_EN: 0
; COMPUTE_PGM_RSRC2:USER_SGPR: 2
; COMPUTE_PGM_RSRC2:TRAP_HANDLER: 0
; COMPUTE_PGM_RSRC2:TGID_X_EN: 1
; COMPUTE_PGM_RSRC2:TGID_Y_EN: 0
; COMPUTE_PGM_RSRC2:TGID_Z_EN: 0
; COMPUTE_PGM_RSRC2:TIDIG_COMP_CNT: 0
	.section	.text._ZN7rocprim17ROCPRIM_400000_NS6detail17trampoline_kernelINS0_14default_configENS1_38merge_sort_block_merge_config_selectorItNS0_10empty_typeEEEZZNS1_27merge_sort_block_merge_implIS3_PtPS5_jNS1_19radix_merge_compareILb0ELb0EtNS0_19identity_decomposerEEEEE10hipError_tT0_T1_T2_jT3_P12ihipStream_tbPNSt15iterator_traitsISE_E10value_typeEPNSK_ISF_E10value_typeEPSG_NS1_7vsmem_tEENKUlT_SE_SF_SG_E_clIS8_S8_S9_S9_EESD_ST_SE_SF_SG_EUlST_E1_NS1_11comp_targetILNS1_3genE8ELNS1_11target_archE1030ELNS1_3gpuE2ELNS1_3repE0EEENS1_36merge_oddeven_config_static_selectorELNS0_4arch9wavefront6targetE0EEEvSF_,"axG",@progbits,_ZN7rocprim17ROCPRIM_400000_NS6detail17trampoline_kernelINS0_14default_configENS1_38merge_sort_block_merge_config_selectorItNS0_10empty_typeEEEZZNS1_27merge_sort_block_merge_implIS3_PtPS5_jNS1_19radix_merge_compareILb0ELb0EtNS0_19identity_decomposerEEEEE10hipError_tT0_T1_T2_jT3_P12ihipStream_tbPNSt15iterator_traitsISE_E10value_typeEPNSK_ISF_E10value_typeEPSG_NS1_7vsmem_tEENKUlT_SE_SF_SG_E_clIS8_S8_S9_S9_EESD_ST_SE_SF_SG_EUlST_E1_NS1_11comp_targetILNS1_3genE8ELNS1_11target_archE1030ELNS1_3gpuE2ELNS1_3repE0EEENS1_36merge_oddeven_config_static_selectorELNS0_4arch9wavefront6targetE0EEEvSF_,comdat
	.protected	_ZN7rocprim17ROCPRIM_400000_NS6detail17trampoline_kernelINS0_14default_configENS1_38merge_sort_block_merge_config_selectorItNS0_10empty_typeEEEZZNS1_27merge_sort_block_merge_implIS3_PtPS5_jNS1_19radix_merge_compareILb0ELb0EtNS0_19identity_decomposerEEEEE10hipError_tT0_T1_T2_jT3_P12ihipStream_tbPNSt15iterator_traitsISE_E10value_typeEPNSK_ISF_E10value_typeEPSG_NS1_7vsmem_tEENKUlT_SE_SF_SG_E_clIS8_S8_S9_S9_EESD_ST_SE_SF_SG_EUlST_E1_NS1_11comp_targetILNS1_3genE8ELNS1_11target_archE1030ELNS1_3gpuE2ELNS1_3repE0EEENS1_36merge_oddeven_config_static_selectorELNS0_4arch9wavefront6targetE0EEEvSF_ ; -- Begin function _ZN7rocprim17ROCPRIM_400000_NS6detail17trampoline_kernelINS0_14default_configENS1_38merge_sort_block_merge_config_selectorItNS0_10empty_typeEEEZZNS1_27merge_sort_block_merge_implIS3_PtPS5_jNS1_19radix_merge_compareILb0ELb0EtNS0_19identity_decomposerEEEEE10hipError_tT0_T1_T2_jT3_P12ihipStream_tbPNSt15iterator_traitsISE_E10value_typeEPNSK_ISF_E10value_typeEPSG_NS1_7vsmem_tEENKUlT_SE_SF_SG_E_clIS8_S8_S9_S9_EESD_ST_SE_SF_SG_EUlST_E1_NS1_11comp_targetILNS1_3genE8ELNS1_11target_archE1030ELNS1_3gpuE2ELNS1_3repE0EEENS1_36merge_oddeven_config_static_selectorELNS0_4arch9wavefront6targetE0EEEvSF_
	.globl	_ZN7rocprim17ROCPRIM_400000_NS6detail17trampoline_kernelINS0_14default_configENS1_38merge_sort_block_merge_config_selectorItNS0_10empty_typeEEEZZNS1_27merge_sort_block_merge_implIS3_PtPS5_jNS1_19radix_merge_compareILb0ELb0EtNS0_19identity_decomposerEEEEE10hipError_tT0_T1_T2_jT3_P12ihipStream_tbPNSt15iterator_traitsISE_E10value_typeEPNSK_ISF_E10value_typeEPSG_NS1_7vsmem_tEENKUlT_SE_SF_SG_E_clIS8_S8_S9_S9_EESD_ST_SE_SF_SG_EUlST_E1_NS1_11comp_targetILNS1_3genE8ELNS1_11target_archE1030ELNS1_3gpuE2ELNS1_3repE0EEENS1_36merge_oddeven_config_static_selectorELNS0_4arch9wavefront6targetE0EEEvSF_
	.p2align	8
	.type	_ZN7rocprim17ROCPRIM_400000_NS6detail17trampoline_kernelINS0_14default_configENS1_38merge_sort_block_merge_config_selectorItNS0_10empty_typeEEEZZNS1_27merge_sort_block_merge_implIS3_PtPS5_jNS1_19radix_merge_compareILb0ELb0EtNS0_19identity_decomposerEEEEE10hipError_tT0_T1_T2_jT3_P12ihipStream_tbPNSt15iterator_traitsISE_E10value_typeEPNSK_ISF_E10value_typeEPSG_NS1_7vsmem_tEENKUlT_SE_SF_SG_E_clIS8_S8_S9_S9_EESD_ST_SE_SF_SG_EUlST_E1_NS1_11comp_targetILNS1_3genE8ELNS1_11target_archE1030ELNS1_3gpuE2ELNS1_3repE0EEENS1_36merge_oddeven_config_static_selectorELNS0_4arch9wavefront6targetE0EEEvSF_,@function
_ZN7rocprim17ROCPRIM_400000_NS6detail17trampoline_kernelINS0_14default_configENS1_38merge_sort_block_merge_config_selectorItNS0_10empty_typeEEEZZNS1_27merge_sort_block_merge_implIS3_PtPS5_jNS1_19radix_merge_compareILb0ELb0EtNS0_19identity_decomposerEEEEE10hipError_tT0_T1_T2_jT3_P12ihipStream_tbPNSt15iterator_traitsISE_E10value_typeEPNSK_ISF_E10value_typeEPSG_NS1_7vsmem_tEENKUlT_SE_SF_SG_E_clIS8_S8_S9_S9_EESD_ST_SE_SF_SG_EUlST_E1_NS1_11comp_targetILNS1_3genE8ELNS1_11target_archE1030ELNS1_3gpuE2ELNS1_3repE0EEENS1_36merge_oddeven_config_static_selectorELNS0_4arch9wavefront6targetE0EEEvSF_: ; @_ZN7rocprim17ROCPRIM_400000_NS6detail17trampoline_kernelINS0_14default_configENS1_38merge_sort_block_merge_config_selectorItNS0_10empty_typeEEEZZNS1_27merge_sort_block_merge_implIS3_PtPS5_jNS1_19radix_merge_compareILb0ELb0EtNS0_19identity_decomposerEEEEE10hipError_tT0_T1_T2_jT3_P12ihipStream_tbPNSt15iterator_traitsISE_E10value_typeEPNSK_ISF_E10value_typeEPSG_NS1_7vsmem_tEENKUlT_SE_SF_SG_E_clIS8_S8_S9_S9_EESD_ST_SE_SF_SG_EUlST_E1_NS1_11comp_targetILNS1_3genE8ELNS1_11target_archE1030ELNS1_3gpuE2ELNS1_3repE0EEENS1_36merge_oddeven_config_static_selectorELNS0_4arch9wavefront6targetE0EEEvSF_
; %bb.0:
	.section	.rodata,"a",@progbits
	.p2align	6, 0x0
	.amdhsa_kernel _ZN7rocprim17ROCPRIM_400000_NS6detail17trampoline_kernelINS0_14default_configENS1_38merge_sort_block_merge_config_selectorItNS0_10empty_typeEEEZZNS1_27merge_sort_block_merge_implIS3_PtPS5_jNS1_19radix_merge_compareILb0ELb0EtNS0_19identity_decomposerEEEEE10hipError_tT0_T1_T2_jT3_P12ihipStream_tbPNSt15iterator_traitsISE_E10value_typeEPNSK_ISF_E10value_typeEPSG_NS1_7vsmem_tEENKUlT_SE_SF_SG_E_clIS8_S8_S9_S9_EESD_ST_SE_SF_SG_EUlST_E1_NS1_11comp_targetILNS1_3genE8ELNS1_11target_archE1030ELNS1_3gpuE2ELNS1_3repE0EEENS1_36merge_oddeven_config_static_selectorELNS0_4arch9wavefront6targetE0EEEvSF_
		.amdhsa_group_segment_fixed_size 0
		.amdhsa_private_segment_fixed_size 0
		.amdhsa_kernarg_size 48
		.amdhsa_user_sgpr_count 2
		.amdhsa_user_sgpr_dispatch_ptr 0
		.amdhsa_user_sgpr_queue_ptr 0
		.amdhsa_user_sgpr_kernarg_segment_ptr 1
		.amdhsa_user_sgpr_dispatch_id 0
		.amdhsa_user_sgpr_kernarg_preload_length 0
		.amdhsa_user_sgpr_kernarg_preload_offset 0
		.amdhsa_user_sgpr_private_segment_size 0
		.amdhsa_wavefront_size32 1
		.amdhsa_uses_dynamic_stack 0
		.amdhsa_enable_private_segment 0
		.amdhsa_system_sgpr_workgroup_id_x 1
		.amdhsa_system_sgpr_workgroup_id_y 0
		.amdhsa_system_sgpr_workgroup_id_z 0
		.amdhsa_system_sgpr_workgroup_info 0
		.amdhsa_system_vgpr_workitem_id 0
		.amdhsa_next_free_vgpr 1
		.amdhsa_next_free_sgpr 1
		.amdhsa_named_barrier_count 0
		.amdhsa_reserve_vcc 0
		.amdhsa_float_round_mode_32 0
		.amdhsa_float_round_mode_16_64 0
		.amdhsa_float_denorm_mode_32 3
		.amdhsa_float_denorm_mode_16_64 3
		.amdhsa_fp16_overflow 0
		.amdhsa_memory_ordered 1
		.amdhsa_forward_progress 1
		.amdhsa_inst_pref_size 0
		.amdhsa_round_robin_scheduling 0
		.amdhsa_exception_fp_ieee_invalid_op 0
		.amdhsa_exception_fp_denorm_src 0
		.amdhsa_exception_fp_ieee_div_zero 0
		.amdhsa_exception_fp_ieee_overflow 0
		.amdhsa_exception_fp_ieee_underflow 0
		.amdhsa_exception_fp_ieee_inexact 0
		.amdhsa_exception_int_div_zero 0
	.end_amdhsa_kernel
	.section	.text._ZN7rocprim17ROCPRIM_400000_NS6detail17trampoline_kernelINS0_14default_configENS1_38merge_sort_block_merge_config_selectorItNS0_10empty_typeEEEZZNS1_27merge_sort_block_merge_implIS3_PtPS5_jNS1_19radix_merge_compareILb0ELb0EtNS0_19identity_decomposerEEEEE10hipError_tT0_T1_T2_jT3_P12ihipStream_tbPNSt15iterator_traitsISE_E10value_typeEPNSK_ISF_E10value_typeEPSG_NS1_7vsmem_tEENKUlT_SE_SF_SG_E_clIS8_S8_S9_S9_EESD_ST_SE_SF_SG_EUlST_E1_NS1_11comp_targetILNS1_3genE8ELNS1_11target_archE1030ELNS1_3gpuE2ELNS1_3repE0EEENS1_36merge_oddeven_config_static_selectorELNS0_4arch9wavefront6targetE0EEEvSF_,"axG",@progbits,_ZN7rocprim17ROCPRIM_400000_NS6detail17trampoline_kernelINS0_14default_configENS1_38merge_sort_block_merge_config_selectorItNS0_10empty_typeEEEZZNS1_27merge_sort_block_merge_implIS3_PtPS5_jNS1_19radix_merge_compareILb0ELb0EtNS0_19identity_decomposerEEEEE10hipError_tT0_T1_T2_jT3_P12ihipStream_tbPNSt15iterator_traitsISE_E10value_typeEPNSK_ISF_E10value_typeEPSG_NS1_7vsmem_tEENKUlT_SE_SF_SG_E_clIS8_S8_S9_S9_EESD_ST_SE_SF_SG_EUlST_E1_NS1_11comp_targetILNS1_3genE8ELNS1_11target_archE1030ELNS1_3gpuE2ELNS1_3repE0EEENS1_36merge_oddeven_config_static_selectorELNS0_4arch9wavefront6targetE0EEEvSF_,comdat
.Lfunc_end2454:
	.size	_ZN7rocprim17ROCPRIM_400000_NS6detail17trampoline_kernelINS0_14default_configENS1_38merge_sort_block_merge_config_selectorItNS0_10empty_typeEEEZZNS1_27merge_sort_block_merge_implIS3_PtPS5_jNS1_19radix_merge_compareILb0ELb0EtNS0_19identity_decomposerEEEEE10hipError_tT0_T1_T2_jT3_P12ihipStream_tbPNSt15iterator_traitsISE_E10value_typeEPNSK_ISF_E10value_typeEPSG_NS1_7vsmem_tEENKUlT_SE_SF_SG_E_clIS8_S8_S9_S9_EESD_ST_SE_SF_SG_EUlST_E1_NS1_11comp_targetILNS1_3genE8ELNS1_11target_archE1030ELNS1_3gpuE2ELNS1_3repE0EEENS1_36merge_oddeven_config_static_selectorELNS0_4arch9wavefront6targetE0EEEvSF_, .Lfunc_end2454-_ZN7rocprim17ROCPRIM_400000_NS6detail17trampoline_kernelINS0_14default_configENS1_38merge_sort_block_merge_config_selectorItNS0_10empty_typeEEEZZNS1_27merge_sort_block_merge_implIS3_PtPS5_jNS1_19radix_merge_compareILb0ELb0EtNS0_19identity_decomposerEEEEE10hipError_tT0_T1_T2_jT3_P12ihipStream_tbPNSt15iterator_traitsISE_E10value_typeEPNSK_ISF_E10value_typeEPSG_NS1_7vsmem_tEENKUlT_SE_SF_SG_E_clIS8_S8_S9_S9_EESD_ST_SE_SF_SG_EUlST_E1_NS1_11comp_targetILNS1_3genE8ELNS1_11target_archE1030ELNS1_3gpuE2ELNS1_3repE0EEENS1_36merge_oddeven_config_static_selectorELNS0_4arch9wavefront6targetE0EEEvSF_
                                        ; -- End function
	.set _ZN7rocprim17ROCPRIM_400000_NS6detail17trampoline_kernelINS0_14default_configENS1_38merge_sort_block_merge_config_selectorItNS0_10empty_typeEEEZZNS1_27merge_sort_block_merge_implIS3_PtPS5_jNS1_19radix_merge_compareILb0ELb0EtNS0_19identity_decomposerEEEEE10hipError_tT0_T1_T2_jT3_P12ihipStream_tbPNSt15iterator_traitsISE_E10value_typeEPNSK_ISF_E10value_typeEPSG_NS1_7vsmem_tEENKUlT_SE_SF_SG_E_clIS8_S8_S9_S9_EESD_ST_SE_SF_SG_EUlST_E1_NS1_11comp_targetILNS1_3genE8ELNS1_11target_archE1030ELNS1_3gpuE2ELNS1_3repE0EEENS1_36merge_oddeven_config_static_selectorELNS0_4arch9wavefront6targetE0EEEvSF_.num_vgpr, 0
	.set _ZN7rocprim17ROCPRIM_400000_NS6detail17trampoline_kernelINS0_14default_configENS1_38merge_sort_block_merge_config_selectorItNS0_10empty_typeEEEZZNS1_27merge_sort_block_merge_implIS3_PtPS5_jNS1_19radix_merge_compareILb0ELb0EtNS0_19identity_decomposerEEEEE10hipError_tT0_T1_T2_jT3_P12ihipStream_tbPNSt15iterator_traitsISE_E10value_typeEPNSK_ISF_E10value_typeEPSG_NS1_7vsmem_tEENKUlT_SE_SF_SG_E_clIS8_S8_S9_S9_EESD_ST_SE_SF_SG_EUlST_E1_NS1_11comp_targetILNS1_3genE8ELNS1_11target_archE1030ELNS1_3gpuE2ELNS1_3repE0EEENS1_36merge_oddeven_config_static_selectorELNS0_4arch9wavefront6targetE0EEEvSF_.num_agpr, 0
	.set _ZN7rocprim17ROCPRIM_400000_NS6detail17trampoline_kernelINS0_14default_configENS1_38merge_sort_block_merge_config_selectorItNS0_10empty_typeEEEZZNS1_27merge_sort_block_merge_implIS3_PtPS5_jNS1_19radix_merge_compareILb0ELb0EtNS0_19identity_decomposerEEEEE10hipError_tT0_T1_T2_jT3_P12ihipStream_tbPNSt15iterator_traitsISE_E10value_typeEPNSK_ISF_E10value_typeEPSG_NS1_7vsmem_tEENKUlT_SE_SF_SG_E_clIS8_S8_S9_S9_EESD_ST_SE_SF_SG_EUlST_E1_NS1_11comp_targetILNS1_3genE8ELNS1_11target_archE1030ELNS1_3gpuE2ELNS1_3repE0EEENS1_36merge_oddeven_config_static_selectorELNS0_4arch9wavefront6targetE0EEEvSF_.numbered_sgpr, 0
	.set _ZN7rocprim17ROCPRIM_400000_NS6detail17trampoline_kernelINS0_14default_configENS1_38merge_sort_block_merge_config_selectorItNS0_10empty_typeEEEZZNS1_27merge_sort_block_merge_implIS3_PtPS5_jNS1_19radix_merge_compareILb0ELb0EtNS0_19identity_decomposerEEEEE10hipError_tT0_T1_T2_jT3_P12ihipStream_tbPNSt15iterator_traitsISE_E10value_typeEPNSK_ISF_E10value_typeEPSG_NS1_7vsmem_tEENKUlT_SE_SF_SG_E_clIS8_S8_S9_S9_EESD_ST_SE_SF_SG_EUlST_E1_NS1_11comp_targetILNS1_3genE8ELNS1_11target_archE1030ELNS1_3gpuE2ELNS1_3repE0EEENS1_36merge_oddeven_config_static_selectorELNS0_4arch9wavefront6targetE0EEEvSF_.num_named_barrier, 0
	.set _ZN7rocprim17ROCPRIM_400000_NS6detail17trampoline_kernelINS0_14default_configENS1_38merge_sort_block_merge_config_selectorItNS0_10empty_typeEEEZZNS1_27merge_sort_block_merge_implIS3_PtPS5_jNS1_19radix_merge_compareILb0ELb0EtNS0_19identity_decomposerEEEEE10hipError_tT0_T1_T2_jT3_P12ihipStream_tbPNSt15iterator_traitsISE_E10value_typeEPNSK_ISF_E10value_typeEPSG_NS1_7vsmem_tEENKUlT_SE_SF_SG_E_clIS8_S8_S9_S9_EESD_ST_SE_SF_SG_EUlST_E1_NS1_11comp_targetILNS1_3genE8ELNS1_11target_archE1030ELNS1_3gpuE2ELNS1_3repE0EEENS1_36merge_oddeven_config_static_selectorELNS0_4arch9wavefront6targetE0EEEvSF_.private_seg_size, 0
	.set _ZN7rocprim17ROCPRIM_400000_NS6detail17trampoline_kernelINS0_14default_configENS1_38merge_sort_block_merge_config_selectorItNS0_10empty_typeEEEZZNS1_27merge_sort_block_merge_implIS3_PtPS5_jNS1_19radix_merge_compareILb0ELb0EtNS0_19identity_decomposerEEEEE10hipError_tT0_T1_T2_jT3_P12ihipStream_tbPNSt15iterator_traitsISE_E10value_typeEPNSK_ISF_E10value_typeEPSG_NS1_7vsmem_tEENKUlT_SE_SF_SG_E_clIS8_S8_S9_S9_EESD_ST_SE_SF_SG_EUlST_E1_NS1_11comp_targetILNS1_3genE8ELNS1_11target_archE1030ELNS1_3gpuE2ELNS1_3repE0EEENS1_36merge_oddeven_config_static_selectorELNS0_4arch9wavefront6targetE0EEEvSF_.uses_vcc, 0
	.set _ZN7rocprim17ROCPRIM_400000_NS6detail17trampoline_kernelINS0_14default_configENS1_38merge_sort_block_merge_config_selectorItNS0_10empty_typeEEEZZNS1_27merge_sort_block_merge_implIS3_PtPS5_jNS1_19radix_merge_compareILb0ELb0EtNS0_19identity_decomposerEEEEE10hipError_tT0_T1_T2_jT3_P12ihipStream_tbPNSt15iterator_traitsISE_E10value_typeEPNSK_ISF_E10value_typeEPSG_NS1_7vsmem_tEENKUlT_SE_SF_SG_E_clIS8_S8_S9_S9_EESD_ST_SE_SF_SG_EUlST_E1_NS1_11comp_targetILNS1_3genE8ELNS1_11target_archE1030ELNS1_3gpuE2ELNS1_3repE0EEENS1_36merge_oddeven_config_static_selectorELNS0_4arch9wavefront6targetE0EEEvSF_.uses_flat_scratch, 0
	.set _ZN7rocprim17ROCPRIM_400000_NS6detail17trampoline_kernelINS0_14default_configENS1_38merge_sort_block_merge_config_selectorItNS0_10empty_typeEEEZZNS1_27merge_sort_block_merge_implIS3_PtPS5_jNS1_19radix_merge_compareILb0ELb0EtNS0_19identity_decomposerEEEEE10hipError_tT0_T1_T2_jT3_P12ihipStream_tbPNSt15iterator_traitsISE_E10value_typeEPNSK_ISF_E10value_typeEPSG_NS1_7vsmem_tEENKUlT_SE_SF_SG_E_clIS8_S8_S9_S9_EESD_ST_SE_SF_SG_EUlST_E1_NS1_11comp_targetILNS1_3genE8ELNS1_11target_archE1030ELNS1_3gpuE2ELNS1_3repE0EEENS1_36merge_oddeven_config_static_selectorELNS0_4arch9wavefront6targetE0EEEvSF_.has_dyn_sized_stack, 0
	.set _ZN7rocprim17ROCPRIM_400000_NS6detail17trampoline_kernelINS0_14default_configENS1_38merge_sort_block_merge_config_selectorItNS0_10empty_typeEEEZZNS1_27merge_sort_block_merge_implIS3_PtPS5_jNS1_19radix_merge_compareILb0ELb0EtNS0_19identity_decomposerEEEEE10hipError_tT0_T1_T2_jT3_P12ihipStream_tbPNSt15iterator_traitsISE_E10value_typeEPNSK_ISF_E10value_typeEPSG_NS1_7vsmem_tEENKUlT_SE_SF_SG_E_clIS8_S8_S9_S9_EESD_ST_SE_SF_SG_EUlST_E1_NS1_11comp_targetILNS1_3genE8ELNS1_11target_archE1030ELNS1_3gpuE2ELNS1_3repE0EEENS1_36merge_oddeven_config_static_selectorELNS0_4arch9wavefront6targetE0EEEvSF_.has_recursion, 0
	.set _ZN7rocprim17ROCPRIM_400000_NS6detail17trampoline_kernelINS0_14default_configENS1_38merge_sort_block_merge_config_selectorItNS0_10empty_typeEEEZZNS1_27merge_sort_block_merge_implIS3_PtPS5_jNS1_19radix_merge_compareILb0ELb0EtNS0_19identity_decomposerEEEEE10hipError_tT0_T1_T2_jT3_P12ihipStream_tbPNSt15iterator_traitsISE_E10value_typeEPNSK_ISF_E10value_typeEPSG_NS1_7vsmem_tEENKUlT_SE_SF_SG_E_clIS8_S8_S9_S9_EESD_ST_SE_SF_SG_EUlST_E1_NS1_11comp_targetILNS1_3genE8ELNS1_11target_archE1030ELNS1_3gpuE2ELNS1_3repE0EEENS1_36merge_oddeven_config_static_selectorELNS0_4arch9wavefront6targetE0EEEvSF_.has_indirect_call, 0
	.section	.AMDGPU.csdata,"",@progbits
; Kernel info:
; codeLenInByte = 0
; TotalNumSgprs: 0
; NumVgprs: 0
; ScratchSize: 0
; MemoryBound: 0
; FloatMode: 240
; IeeeMode: 1
; LDSByteSize: 0 bytes/workgroup (compile time only)
; SGPRBlocks: 0
; VGPRBlocks: 0
; NumSGPRsForWavesPerEU: 1
; NumVGPRsForWavesPerEU: 1
; NamedBarCnt: 0
; Occupancy: 16
; WaveLimiterHint : 0
; COMPUTE_PGM_RSRC2:SCRATCH_EN: 0
; COMPUTE_PGM_RSRC2:USER_SGPR: 2
; COMPUTE_PGM_RSRC2:TRAP_HANDLER: 0
; COMPUTE_PGM_RSRC2:TGID_X_EN: 1
; COMPUTE_PGM_RSRC2:TGID_Y_EN: 0
; COMPUTE_PGM_RSRC2:TGID_Z_EN: 0
; COMPUTE_PGM_RSRC2:TIDIG_COMP_CNT: 0
	.section	.text._ZN7rocprim17ROCPRIM_400000_NS6detail17trampoline_kernelINS0_14default_configENS1_38merge_sort_block_merge_config_selectorItNS0_10empty_typeEEEZZNS1_27merge_sort_block_merge_implIS3_PtPS5_jNS1_19radix_merge_compareILb0ELb1EtNS0_19identity_decomposerEEEEE10hipError_tT0_T1_T2_jT3_P12ihipStream_tbPNSt15iterator_traitsISE_E10value_typeEPNSK_ISF_E10value_typeEPSG_NS1_7vsmem_tEENKUlT_SE_SF_SG_E_clIS8_S8_S9_S9_EESD_ST_SE_SF_SG_EUlST_E_NS1_11comp_targetILNS1_3genE0ELNS1_11target_archE4294967295ELNS1_3gpuE0ELNS1_3repE0EEENS1_48merge_mergepath_partition_config_static_selectorELNS0_4arch9wavefront6targetE0EEEvSF_,"axG",@progbits,_ZN7rocprim17ROCPRIM_400000_NS6detail17trampoline_kernelINS0_14default_configENS1_38merge_sort_block_merge_config_selectorItNS0_10empty_typeEEEZZNS1_27merge_sort_block_merge_implIS3_PtPS5_jNS1_19radix_merge_compareILb0ELb1EtNS0_19identity_decomposerEEEEE10hipError_tT0_T1_T2_jT3_P12ihipStream_tbPNSt15iterator_traitsISE_E10value_typeEPNSK_ISF_E10value_typeEPSG_NS1_7vsmem_tEENKUlT_SE_SF_SG_E_clIS8_S8_S9_S9_EESD_ST_SE_SF_SG_EUlST_E_NS1_11comp_targetILNS1_3genE0ELNS1_11target_archE4294967295ELNS1_3gpuE0ELNS1_3repE0EEENS1_48merge_mergepath_partition_config_static_selectorELNS0_4arch9wavefront6targetE0EEEvSF_,comdat
	.protected	_ZN7rocprim17ROCPRIM_400000_NS6detail17trampoline_kernelINS0_14default_configENS1_38merge_sort_block_merge_config_selectorItNS0_10empty_typeEEEZZNS1_27merge_sort_block_merge_implIS3_PtPS5_jNS1_19radix_merge_compareILb0ELb1EtNS0_19identity_decomposerEEEEE10hipError_tT0_T1_T2_jT3_P12ihipStream_tbPNSt15iterator_traitsISE_E10value_typeEPNSK_ISF_E10value_typeEPSG_NS1_7vsmem_tEENKUlT_SE_SF_SG_E_clIS8_S8_S9_S9_EESD_ST_SE_SF_SG_EUlST_E_NS1_11comp_targetILNS1_3genE0ELNS1_11target_archE4294967295ELNS1_3gpuE0ELNS1_3repE0EEENS1_48merge_mergepath_partition_config_static_selectorELNS0_4arch9wavefront6targetE0EEEvSF_ ; -- Begin function _ZN7rocprim17ROCPRIM_400000_NS6detail17trampoline_kernelINS0_14default_configENS1_38merge_sort_block_merge_config_selectorItNS0_10empty_typeEEEZZNS1_27merge_sort_block_merge_implIS3_PtPS5_jNS1_19radix_merge_compareILb0ELb1EtNS0_19identity_decomposerEEEEE10hipError_tT0_T1_T2_jT3_P12ihipStream_tbPNSt15iterator_traitsISE_E10value_typeEPNSK_ISF_E10value_typeEPSG_NS1_7vsmem_tEENKUlT_SE_SF_SG_E_clIS8_S8_S9_S9_EESD_ST_SE_SF_SG_EUlST_E_NS1_11comp_targetILNS1_3genE0ELNS1_11target_archE4294967295ELNS1_3gpuE0ELNS1_3repE0EEENS1_48merge_mergepath_partition_config_static_selectorELNS0_4arch9wavefront6targetE0EEEvSF_
	.globl	_ZN7rocprim17ROCPRIM_400000_NS6detail17trampoline_kernelINS0_14default_configENS1_38merge_sort_block_merge_config_selectorItNS0_10empty_typeEEEZZNS1_27merge_sort_block_merge_implIS3_PtPS5_jNS1_19radix_merge_compareILb0ELb1EtNS0_19identity_decomposerEEEEE10hipError_tT0_T1_T2_jT3_P12ihipStream_tbPNSt15iterator_traitsISE_E10value_typeEPNSK_ISF_E10value_typeEPSG_NS1_7vsmem_tEENKUlT_SE_SF_SG_E_clIS8_S8_S9_S9_EESD_ST_SE_SF_SG_EUlST_E_NS1_11comp_targetILNS1_3genE0ELNS1_11target_archE4294967295ELNS1_3gpuE0ELNS1_3repE0EEENS1_48merge_mergepath_partition_config_static_selectorELNS0_4arch9wavefront6targetE0EEEvSF_
	.p2align	8
	.type	_ZN7rocprim17ROCPRIM_400000_NS6detail17trampoline_kernelINS0_14default_configENS1_38merge_sort_block_merge_config_selectorItNS0_10empty_typeEEEZZNS1_27merge_sort_block_merge_implIS3_PtPS5_jNS1_19radix_merge_compareILb0ELb1EtNS0_19identity_decomposerEEEEE10hipError_tT0_T1_T2_jT3_P12ihipStream_tbPNSt15iterator_traitsISE_E10value_typeEPNSK_ISF_E10value_typeEPSG_NS1_7vsmem_tEENKUlT_SE_SF_SG_E_clIS8_S8_S9_S9_EESD_ST_SE_SF_SG_EUlST_E_NS1_11comp_targetILNS1_3genE0ELNS1_11target_archE4294967295ELNS1_3gpuE0ELNS1_3repE0EEENS1_48merge_mergepath_partition_config_static_selectorELNS0_4arch9wavefront6targetE0EEEvSF_,@function
_ZN7rocprim17ROCPRIM_400000_NS6detail17trampoline_kernelINS0_14default_configENS1_38merge_sort_block_merge_config_selectorItNS0_10empty_typeEEEZZNS1_27merge_sort_block_merge_implIS3_PtPS5_jNS1_19radix_merge_compareILb0ELb1EtNS0_19identity_decomposerEEEEE10hipError_tT0_T1_T2_jT3_P12ihipStream_tbPNSt15iterator_traitsISE_E10value_typeEPNSK_ISF_E10value_typeEPSG_NS1_7vsmem_tEENKUlT_SE_SF_SG_E_clIS8_S8_S9_S9_EESD_ST_SE_SF_SG_EUlST_E_NS1_11comp_targetILNS1_3genE0ELNS1_11target_archE4294967295ELNS1_3gpuE0ELNS1_3repE0EEENS1_48merge_mergepath_partition_config_static_selectorELNS0_4arch9wavefront6targetE0EEEvSF_: ; @_ZN7rocprim17ROCPRIM_400000_NS6detail17trampoline_kernelINS0_14default_configENS1_38merge_sort_block_merge_config_selectorItNS0_10empty_typeEEEZZNS1_27merge_sort_block_merge_implIS3_PtPS5_jNS1_19radix_merge_compareILb0ELb1EtNS0_19identity_decomposerEEEEE10hipError_tT0_T1_T2_jT3_P12ihipStream_tbPNSt15iterator_traitsISE_E10value_typeEPNSK_ISF_E10value_typeEPSG_NS1_7vsmem_tEENKUlT_SE_SF_SG_E_clIS8_S8_S9_S9_EESD_ST_SE_SF_SG_EUlST_E_NS1_11comp_targetILNS1_3genE0ELNS1_11target_archE4294967295ELNS1_3gpuE0ELNS1_3repE0EEENS1_48merge_mergepath_partition_config_static_selectorELNS0_4arch9wavefront6targetE0EEEvSF_
; %bb.0:
	s_load_b32 s2, s[0:1], 0x0
	s_bfe_u32 s3, ttmp6, 0x4000c
	s_and_b32 s4, ttmp6, 15
	s_add_co_i32 s3, s3, 1
	s_getreg_b32 s5, hwreg(HW_REG_IB_STS2, 6, 4)
	s_mul_i32 s3, ttmp9, s3
	s_delay_alu instid0(SALU_CYCLE_1) | instskip(SKIP_2) | instid1(SALU_CYCLE_1)
	s_add_co_i32 s4, s4, s3
	s_cmp_eq_u32 s5, 0
	s_cselect_b32 s3, ttmp9, s4
	v_lshl_or_b32 v8, s3, 7, v0
	s_wait_kmcnt 0x0
	s_delay_alu instid0(VALU_DEP_1)
	v_cmp_gt_u32_e32 vcc_lo, s2, v8
	s_and_saveexec_b32 s2, vcc_lo
	s_cbranch_execz .LBB2455_6
; %bb.1:
	s_load_b64 s[2:3], s[0:1], 0x4
	s_mov_b32 s7, exec_lo
	s_wait_kmcnt 0x0
	s_lshr_b32 s4, s2, 9
	s_delay_alu instid0(SALU_CYCLE_1) | instskip(NEXT) | instid1(SALU_CYCLE_1)
	s_and_b32 s4, s4, 0x7ffffe
	s_sub_co_i32 s5, 0, s4
	s_add_co_i32 s4, s4, -1
	s_delay_alu instid0(SALU_CYCLE_1) | instskip(NEXT) | instid1(VALU_DEP_1)
	v_and_b32_e32 v1, s4, v8
	v_dual_lshlrev_b32 v1, 10, v1 :: v_dual_bitop2_b32 v0, s5, v8 bitop3:0x40
	s_delay_alu instid0(VALU_DEP_1) | instskip(NEXT) | instid1(VALU_DEP_1)
	v_lshlrev_b32_e32 v0, 10, v0
	v_add_min_u32_e64 v2, v0, s2, s3
	v_min_u32_e32 v0, s3, v0
	s_delay_alu instid0(VALU_DEP_2) | instskip(SKIP_1) | instid1(VALU_DEP_1)
	v_add_min_u32_e64 v3, v2, s2, s3
	s_load_b64 s[2:3], s[0:1], 0x20
	v_dual_sub_nc_u32 v4, v3, v0 :: v_dual_sub_nc_u32 v3, v3, v2
	s_delay_alu instid0(VALU_DEP_1) | instskip(SKIP_1) | instid1(VALU_DEP_2)
	v_min_u32_e32 v10, v4, v1
	v_sub_nc_u32_e32 v1, v2, v0
	v_sub_nc_u32_e64 v9, v10, v3 clamp
	s_delay_alu instid0(VALU_DEP_2) | instskip(NEXT) | instid1(VALU_DEP_1)
	v_min_u32_e32 v11, v10, v1
	v_cmpx_lt_u32_e64 v9, v11
	s_cbranch_execz .LBB2455_5
; %bb.2:
	s_load_b96 s[4:6], s[0:1], 0x10
	v_mov_b32_e32 v3, 0
	s_wait_xcnt 0x0
	s_mov_b32 s0, 0
	s_delay_alu instid0(VALU_DEP_1) | instskip(SKIP_1) | instid1(VALU_DEP_1)
	v_mov_b32_e32 v1, v3
	s_wait_kmcnt 0x0
	v_lshl_add_u64 v[4:5], v[0:1], 1, s[4:5]
	v_lshl_add_u64 v[6:7], v[2:3], 1, s[4:5]
.LBB2455_3:                             ; =>This Inner Loop Header: Depth=1
	v_add_nc_u32_e32 v1, v11, v9
	s_delay_alu instid0(VALU_DEP_1) | instskip(SKIP_1) | instid1(VALU_DEP_2)
	v_dual_mov_b32 v13, v3 :: v_dual_lshrrev_b32 v16, 1, v1
	v_and_b32_e32 v2, -2, v1
	v_xad_u32 v12, v16, -1, v10
	s_delay_alu instid0(VALU_DEP_2) | instskip(NEXT) | instid1(VALU_DEP_2)
	v_add_nc_u64_e32 v[14:15], v[4:5], v[2:3]
	v_lshl_add_u64 v[12:13], v[12:13], 1, v[6:7]
	s_clause 0x1
	global_load_u16 v1, v[14:15], off
	global_load_u16 v2, v[12:13], off
	s_wait_loadcnt 0x1
	v_and_b32_e32 v1, s6, v1
	s_wait_loadcnt 0x0
	v_and_b32_e32 v2, s6, v2
	s_delay_alu instid0(VALU_DEP_1) | instskip(SKIP_1) | instid1(VALU_DEP_1)
	v_cmp_gt_u16_e32 vcc_lo, v1, v2
	v_dual_cndmask_b32 v11, v11, v16 :: v_dual_add_nc_u32 v12, 1, v16
	v_cndmask_b32_e32 v9, v12, v9, vcc_lo
	s_delay_alu instid0(VALU_DEP_1) | instskip(SKIP_1) | instid1(SALU_CYCLE_1)
	v_cmp_ge_u32_e32 vcc_lo, v9, v11
	s_or_b32 s0, vcc_lo, s0
	s_and_not1_b32 exec_lo, exec_lo, s0
	s_cbranch_execnz .LBB2455_3
; %bb.4:
	s_or_b32 exec_lo, exec_lo, s0
.LBB2455_5:
	s_delay_alu instid0(SALU_CYCLE_1)
	s_or_b32 exec_lo, exec_lo, s7
	v_add_nc_u32_e32 v0, v9, v0
	s_wait_kmcnt 0x0
	global_store_b32 v8, v0, s[2:3] scale_offset
.LBB2455_6:
	s_endpgm
	.section	.rodata,"a",@progbits
	.p2align	6, 0x0
	.amdhsa_kernel _ZN7rocprim17ROCPRIM_400000_NS6detail17trampoline_kernelINS0_14default_configENS1_38merge_sort_block_merge_config_selectorItNS0_10empty_typeEEEZZNS1_27merge_sort_block_merge_implIS3_PtPS5_jNS1_19radix_merge_compareILb0ELb1EtNS0_19identity_decomposerEEEEE10hipError_tT0_T1_T2_jT3_P12ihipStream_tbPNSt15iterator_traitsISE_E10value_typeEPNSK_ISF_E10value_typeEPSG_NS1_7vsmem_tEENKUlT_SE_SF_SG_E_clIS8_S8_S9_S9_EESD_ST_SE_SF_SG_EUlST_E_NS1_11comp_targetILNS1_3genE0ELNS1_11target_archE4294967295ELNS1_3gpuE0ELNS1_3repE0EEENS1_48merge_mergepath_partition_config_static_selectorELNS0_4arch9wavefront6targetE0EEEvSF_
		.amdhsa_group_segment_fixed_size 0
		.amdhsa_private_segment_fixed_size 0
		.amdhsa_kernarg_size 40
		.amdhsa_user_sgpr_count 2
		.amdhsa_user_sgpr_dispatch_ptr 0
		.amdhsa_user_sgpr_queue_ptr 0
		.amdhsa_user_sgpr_kernarg_segment_ptr 1
		.amdhsa_user_sgpr_dispatch_id 0
		.amdhsa_user_sgpr_kernarg_preload_length 0
		.amdhsa_user_sgpr_kernarg_preload_offset 0
		.amdhsa_user_sgpr_private_segment_size 0
		.amdhsa_wavefront_size32 1
		.amdhsa_uses_dynamic_stack 0
		.amdhsa_enable_private_segment 0
		.amdhsa_system_sgpr_workgroup_id_x 1
		.amdhsa_system_sgpr_workgroup_id_y 0
		.amdhsa_system_sgpr_workgroup_id_z 0
		.amdhsa_system_sgpr_workgroup_info 0
		.amdhsa_system_vgpr_workitem_id 0
		.amdhsa_next_free_vgpr 17
		.amdhsa_next_free_sgpr 8
		.amdhsa_named_barrier_count 0
		.amdhsa_reserve_vcc 1
		.amdhsa_float_round_mode_32 0
		.amdhsa_float_round_mode_16_64 0
		.amdhsa_float_denorm_mode_32 3
		.amdhsa_float_denorm_mode_16_64 3
		.amdhsa_fp16_overflow 0
		.amdhsa_memory_ordered 1
		.amdhsa_forward_progress 1
		.amdhsa_inst_pref_size 4
		.amdhsa_round_robin_scheduling 0
		.amdhsa_exception_fp_ieee_invalid_op 0
		.amdhsa_exception_fp_denorm_src 0
		.amdhsa_exception_fp_ieee_div_zero 0
		.amdhsa_exception_fp_ieee_overflow 0
		.amdhsa_exception_fp_ieee_underflow 0
		.amdhsa_exception_fp_ieee_inexact 0
		.amdhsa_exception_int_div_zero 0
	.end_amdhsa_kernel
	.section	.text._ZN7rocprim17ROCPRIM_400000_NS6detail17trampoline_kernelINS0_14default_configENS1_38merge_sort_block_merge_config_selectorItNS0_10empty_typeEEEZZNS1_27merge_sort_block_merge_implIS3_PtPS5_jNS1_19radix_merge_compareILb0ELb1EtNS0_19identity_decomposerEEEEE10hipError_tT0_T1_T2_jT3_P12ihipStream_tbPNSt15iterator_traitsISE_E10value_typeEPNSK_ISF_E10value_typeEPSG_NS1_7vsmem_tEENKUlT_SE_SF_SG_E_clIS8_S8_S9_S9_EESD_ST_SE_SF_SG_EUlST_E_NS1_11comp_targetILNS1_3genE0ELNS1_11target_archE4294967295ELNS1_3gpuE0ELNS1_3repE0EEENS1_48merge_mergepath_partition_config_static_selectorELNS0_4arch9wavefront6targetE0EEEvSF_,"axG",@progbits,_ZN7rocprim17ROCPRIM_400000_NS6detail17trampoline_kernelINS0_14default_configENS1_38merge_sort_block_merge_config_selectorItNS0_10empty_typeEEEZZNS1_27merge_sort_block_merge_implIS3_PtPS5_jNS1_19radix_merge_compareILb0ELb1EtNS0_19identity_decomposerEEEEE10hipError_tT0_T1_T2_jT3_P12ihipStream_tbPNSt15iterator_traitsISE_E10value_typeEPNSK_ISF_E10value_typeEPSG_NS1_7vsmem_tEENKUlT_SE_SF_SG_E_clIS8_S8_S9_S9_EESD_ST_SE_SF_SG_EUlST_E_NS1_11comp_targetILNS1_3genE0ELNS1_11target_archE4294967295ELNS1_3gpuE0ELNS1_3repE0EEENS1_48merge_mergepath_partition_config_static_selectorELNS0_4arch9wavefront6targetE0EEEvSF_,comdat
.Lfunc_end2455:
	.size	_ZN7rocprim17ROCPRIM_400000_NS6detail17trampoline_kernelINS0_14default_configENS1_38merge_sort_block_merge_config_selectorItNS0_10empty_typeEEEZZNS1_27merge_sort_block_merge_implIS3_PtPS5_jNS1_19radix_merge_compareILb0ELb1EtNS0_19identity_decomposerEEEEE10hipError_tT0_T1_T2_jT3_P12ihipStream_tbPNSt15iterator_traitsISE_E10value_typeEPNSK_ISF_E10value_typeEPSG_NS1_7vsmem_tEENKUlT_SE_SF_SG_E_clIS8_S8_S9_S9_EESD_ST_SE_SF_SG_EUlST_E_NS1_11comp_targetILNS1_3genE0ELNS1_11target_archE4294967295ELNS1_3gpuE0ELNS1_3repE0EEENS1_48merge_mergepath_partition_config_static_selectorELNS0_4arch9wavefront6targetE0EEEvSF_, .Lfunc_end2455-_ZN7rocprim17ROCPRIM_400000_NS6detail17trampoline_kernelINS0_14default_configENS1_38merge_sort_block_merge_config_selectorItNS0_10empty_typeEEEZZNS1_27merge_sort_block_merge_implIS3_PtPS5_jNS1_19radix_merge_compareILb0ELb1EtNS0_19identity_decomposerEEEEE10hipError_tT0_T1_T2_jT3_P12ihipStream_tbPNSt15iterator_traitsISE_E10value_typeEPNSK_ISF_E10value_typeEPSG_NS1_7vsmem_tEENKUlT_SE_SF_SG_E_clIS8_S8_S9_S9_EESD_ST_SE_SF_SG_EUlST_E_NS1_11comp_targetILNS1_3genE0ELNS1_11target_archE4294967295ELNS1_3gpuE0ELNS1_3repE0EEENS1_48merge_mergepath_partition_config_static_selectorELNS0_4arch9wavefront6targetE0EEEvSF_
                                        ; -- End function
	.set _ZN7rocprim17ROCPRIM_400000_NS6detail17trampoline_kernelINS0_14default_configENS1_38merge_sort_block_merge_config_selectorItNS0_10empty_typeEEEZZNS1_27merge_sort_block_merge_implIS3_PtPS5_jNS1_19radix_merge_compareILb0ELb1EtNS0_19identity_decomposerEEEEE10hipError_tT0_T1_T2_jT3_P12ihipStream_tbPNSt15iterator_traitsISE_E10value_typeEPNSK_ISF_E10value_typeEPSG_NS1_7vsmem_tEENKUlT_SE_SF_SG_E_clIS8_S8_S9_S9_EESD_ST_SE_SF_SG_EUlST_E_NS1_11comp_targetILNS1_3genE0ELNS1_11target_archE4294967295ELNS1_3gpuE0ELNS1_3repE0EEENS1_48merge_mergepath_partition_config_static_selectorELNS0_4arch9wavefront6targetE0EEEvSF_.num_vgpr, 17
	.set _ZN7rocprim17ROCPRIM_400000_NS6detail17trampoline_kernelINS0_14default_configENS1_38merge_sort_block_merge_config_selectorItNS0_10empty_typeEEEZZNS1_27merge_sort_block_merge_implIS3_PtPS5_jNS1_19radix_merge_compareILb0ELb1EtNS0_19identity_decomposerEEEEE10hipError_tT0_T1_T2_jT3_P12ihipStream_tbPNSt15iterator_traitsISE_E10value_typeEPNSK_ISF_E10value_typeEPSG_NS1_7vsmem_tEENKUlT_SE_SF_SG_E_clIS8_S8_S9_S9_EESD_ST_SE_SF_SG_EUlST_E_NS1_11comp_targetILNS1_3genE0ELNS1_11target_archE4294967295ELNS1_3gpuE0ELNS1_3repE0EEENS1_48merge_mergepath_partition_config_static_selectorELNS0_4arch9wavefront6targetE0EEEvSF_.num_agpr, 0
	.set _ZN7rocprim17ROCPRIM_400000_NS6detail17trampoline_kernelINS0_14default_configENS1_38merge_sort_block_merge_config_selectorItNS0_10empty_typeEEEZZNS1_27merge_sort_block_merge_implIS3_PtPS5_jNS1_19radix_merge_compareILb0ELb1EtNS0_19identity_decomposerEEEEE10hipError_tT0_T1_T2_jT3_P12ihipStream_tbPNSt15iterator_traitsISE_E10value_typeEPNSK_ISF_E10value_typeEPSG_NS1_7vsmem_tEENKUlT_SE_SF_SG_E_clIS8_S8_S9_S9_EESD_ST_SE_SF_SG_EUlST_E_NS1_11comp_targetILNS1_3genE0ELNS1_11target_archE4294967295ELNS1_3gpuE0ELNS1_3repE0EEENS1_48merge_mergepath_partition_config_static_selectorELNS0_4arch9wavefront6targetE0EEEvSF_.numbered_sgpr, 8
	.set _ZN7rocprim17ROCPRIM_400000_NS6detail17trampoline_kernelINS0_14default_configENS1_38merge_sort_block_merge_config_selectorItNS0_10empty_typeEEEZZNS1_27merge_sort_block_merge_implIS3_PtPS5_jNS1_19radix_merge_compareILb0ELb1EtNS0_19identity_decomposerEEEEE10hipError_tT0_T1_T2_jT3_P12ihipStream_tbPNSt15iterator_traitsISE_E10value_typeEPNSK_ISF_E10value_typeEPSG_NS1_7vsmem_tEENKUlT_SE_SF_SG_E_clIS8_S8_S9_S9_EESD_ST_SE_SF_SG_EUlST_E_NS1_11comp_targetILNS1_3genE0ELNS1_11target_archE4294967295ELNS1_3gpuE0ELNS1_3repE0EEENS1_48merge_mergepath_partition_config_static_selectorELNS0_4arch9wavefront6targetE0EEEvSF_.num_named_barrier, 0
	.set _ZN7rocprim17ROCPRIM_400000_NS6detail17trampoline_kernelINS0_14default_configENS1_38merge_sort_block_merge_config_selectorItNS0_10empty_typeEEEZZNS1_27merge_sort_block_merge_implIS3_PtPS5_jNS1_19radix_merge_compareILb0ELb1EtNS0_19identity_decomposerEEEEE10hipError_tT0_T1_T2_jT3_P12ihipStream_tbPNSt15iterator_traitsISE_E10value_typeEPNSK_ISF_E10value_typeEPSG_NS1_7vsmem_tEENKUlT_SE_SF_SG_E_clIS8_S8_S9_S9_EESD_ST_SE_SF_SG_EUlST_E_NS1_11comp_targetILNS1_3genE0ELNS1_11target_archE4294967295ELNS1_3gpuE0ELNS1_3repE0EEENS1_48merge_mergepath_partition_config_static_selectorELNS0_4arch9wavefront6targetE0EEEvSF_.private_seg_size, 0
	.set _ZN7rocprim17ROCPRIM_400000_NS6detail17trampoline_kernelINS0_14default_configENS1_38merge_sort_block_merge_config_selectorItNS0_10empty_typeEEEZZNS1_27merge_sort_block_merge_implIS3_PtPS5_jNS1_19radix_merge_compareILb0ELb1EtNS0_19identity_decomposerEEEEE10hipError_tT0_T1_T2_jT3_P12ihipStream_tbPNSt15iterator_traitsISE_E10value_typeEPNSK_ISF_E10value_typeEPSG_NS1_7vsmem_tEENKUlT_SE_SF_SG_E_clIS8_S8_S9_S9_EESD_ST_SE_SF_SG_EUlST_E_NS1_11comp_targetILNS1_3genE0ELNS1_11target_archE4294967295ELNS1_3gpuE0ELNS1_3repE0EEENS1_48merge_mergepath_partition_config_static_selectorELNS0_4arch9wavefront6targetE0EEEvSF_.uses_vcc, 1
	.set _ZN7rocprim17ROCPRIM_400000_NS6detail17trampoline_kernelINS0_14default_configENS1_38merge_sort_block_merge_config_selectorItNS0_10empty_typeEEEZZNS1_27merge_sort_block_merge_implIS3_PtPS5_jNS1_19radix_merge_compareILb0ELb1EtNS0_19identity_decomposerEEEEE10hipError_tT0_T1_T2_jT3_P12ihipStream_tbPNSt15iterator_traitsISE_E10value_typeEPNSK_ISF_E10value_typeEPSG_NS1_7vsmem_tEENKUlT_SE_SF_SG_E_clIS8_S8_S9_S9_EESD_ST_SE_SF_SG_EUlST_E_NS1_11comp_targetILNS1_3genE0ELNS1_11target_archE4294967295ELNS1_3gpuE0ELNS1_3repE0EEENS1_48merge_mergepath_partition_config_static_selectorELNS0_4arch9wavefront6targetE0EEEvSF_.uses_flat_scratch, 0
	.set _ZN7rocprim17ROCPRIM_400000_NS6detail17trampoline_kernelINS0_14default_configENS1_38merge_sort_block_merge_config_selectorItNS0_10empty_typeEEEZZNS1_27merge_sort_block_merge_implIS3_PtPS5_jNS1_19radix_merge_compareILb0ELb1EtNS0_19identity_decomposerEEEEE10hipError_tT0_T1_T2_jT3_P12ihipStream_tbPNSt15iterator_traitsISE_E10value_typeEPNSK_ISF_E10value_typeEPSG_NS1_7vsmem_tEENKUlT_SE_SF_SG_E_clIS8_S8_S9_S9_EESD_ST_SE_SF_SG_EUlST_E_NS1_11comp_targetILNS1_3genE0ELNS1_11target_archE4294967295ELNS1_3gpuE0ELNS1_3repE0EEENS1_48merge_mergepath_partition_config_static_selectorELNS0_4arch9wavefront6targetE0EEEvSF_.has_dyn_sized_stack, 0
	.set _ZN7rocprim17ROCPRIM_400000_NS6detail17trampoline_kernelINS0_14default_configENS1_38merge_sort_block_merge_config_selectorItNS0_10empty_typeEEEZZNS1_27merge_sort_block_merge_implIS3_PtPS5_jNS1_19radix_merge_compareILb0ELb1EtNS0_19identity_decomposerEEEEE10hipError_tT0_T1_T2_jT3_P12ihipStream_tbPNSt15iterator_traitsISE_E10value_typeEPNSK_ISF_E10value_typeEPSG_NS1_7vsmem_tEENKUlT_SE_SF_SG_E_clIS8_S8_S9_S9_EESD_ST_SE_SF_SG_EUlST_E_NS1_11comp_targetILNS1_3genE0ELNS1_11target_archE4294967295ELNS1_3gpuE0ELNS1_3repE0EEENS1_48merge_mergepath_partition_config_static_selectorELNS0_4arch9wavefront6targetE0EEEvSF_.has_recursion, 0
	.set _ZN7rocprim17ROCPRIM_400000_NS6detail17trampoline_kernelINS0_14default_configENS1_38merge_sort_block_merge_config_selectorItNS0_10empty_typeEEEZZNS1_27merge_sort_block_merge_implIS3_PtPS5_jNS1_19radix_merge_compareILb0ELb1EtNS0_19identity_decomposerEEEEE10hipError_tT0_T1_T2_jT3_P12ihipStream_tbPNSt15iterator_traitsISE_E10value_typeEPNSK_ISF_E10value_typeEPSG_NS1_7vsmem_tEENKUlT_SE_SF_SG_E_clIS8_S8_S9_S9_EESD_ST_SE_SF_SG_EUlST_E_NS1_11comp_targetILNS1_3genE0ELNS1_11target_archE4294967295ELNS1_3gpuE0ELNS1_3repE0EEENS1_48merge_mergepath_partition_config_static_selectorELNS0_4arch9wavefront6targetE0EEEvSF_.has_indirect_call, 0
	.section	.AMDGPU.csdata,"",@progbits
; Kernel info:
; codeLenInByte = 440
; TotalNumSgprs: 10
; NumVgprs: 17
; ScratchSize: 0
; MemoryBound: 0
; FloatMode: 240
; IeeeMode: 1
; LDSByteSize: 0 bytes/workgroup (compile time only)
; SGPRBlocks: 0
; VGPRBlocks: 1
; NumSGPRsForWavesPerEU: 10
; NumVGPRsForWavesPerEU: 17
; NamedBarCnt: 0
; Occupancy: 16
; WaveLimiterHint : 0
; COMPUTE_PGM_RSRC2:SCRATCH_EN: 0
; COMPUTE_PGM_RSRC2:USER_SGPR: 2
; COMPUTE_PGM_RSRC2:TRAP_HANDLER: 0
; COMPUTE_PGM_RSRC2:TGID_X_EN: 1
; COMPUTE_PGM_RSRC2:TGID_Y_EN: 0
; COMPUTE_PGM_RSRC2:TGID_Z_EN: 0
; COMPUTE_PGM_RSRC2:TIDIG_COMP_CNT: 0
	.section	.text._ZN7rocprim17ROCPRIM_400000_NS6detail17trampoline_kernelINS0_14default_configENS1_38merge_sort_block_merge_config_selectorItNS0_10empty_typeEEEZZNS1_27merge_sort_block_merge_implIS3_PtPS5_jNS1_19radix_merge_compareILb0ELb1EtNS0_19identity_decomposerEEEEE10hipError_tT0_T1_T2_jT3_P12ihipStream_tbPNSt15iterator_traitsISE_E10value_typeEPNSK_ISF_E10value_typeEPSG_NS1_7vsmem_tEENKUlT_SE_SF_SG_E_clIS8_S8_S9_S9_EESD_ST_SE_SF_SG_EUlST_E_NS1_11comp_targetILNS1_3genE10ELNS1_11target_archE1201ELNS1_3gpuE5ELNS1_3repE0EEENS1_48merge_mergepath_partition_config_static_selectorELNS0_4arch9wavefront6targetE0EEEvSF_,"axG",@progbits,_ZN7rocprim17ROCPRIM_400000_NS6detail17trampoline_kernelINS0_14default_configENS1_38merge_sort_block_merge_config_selectorItNS0_10empty_typeEEEZZNS1_27merge_sort_block_merge_implIS3_PtPS5_jNS1_19radix_merge_compareILb0ELb1EtNS0_19identity_decomposerEEEEE10hipError_tT0_T1_T2_jT3_P12ihipStream_tbPNSt15iterator_traitsISE_E10value_typeEPNSK_ISF_E10value_typeEPSG_NS1_7vsmem_tEENKUlT_SE_SF_SG_E_clIS8_S8_S9_S9_EESD_ST_SE_SF_SG_EUlST_E_NS1_11comp_targetILNS1_3genE10ELNS1_11target_archE1201ELNS1_3gpuE5ELNS1_3repE0EEENS1_48merge_mergepath_partition_config_static_selectorELNS0_4arch9wavefront6targetE0EEEvSF_,comdat
	.protected	_ZN7rocprim17ROCPRIM_400000_NS6detail17trampoline_kernelINS0_14default_configENS1_38merge_sort_block_merge_config_selectorItNS0_10empty_typeEEEZZNS1_27merge_sort_block_merge_implIS3_PtPS5_jNS1_19radix_merge_compareILb0ELb1EtNS0_19identity_decomposerEEEEE10hipError_tT0_T1_T2_jT3_P12ihipStream_tbPNSt15iterator_traitsISE_E10value_typeEPNSK_ISF_E10value_typeEPSG_NS1_7vsmem_tEENKUlT_SE_SF_SG_E_clIS8_S8_S9_S9_EESD_ST_SE_SF_SG_EUlST_E_NS1_11comp_targetILNS1_3genE10ELNS1_11target_archE1201ELNS1_3gpuE5ELNS1_3repE0EEENS1_48merge_mergepath_partition_config_static_selectorELNS0_4arch9wavefront6targetE0EEEvSF_ ; -- Begin function _ZN7rocprim17ROCPRIM_400000_NS6detail17trampoline_kernelINS0_14default_configENS1_38merge_sort_block_merge_config_selectorItNS0_10empty_typeEEEZZNS1_27merge_sort_block_merge_implIS3_PtPS5_jNS1_19radix_merge_compareILb0ELb1EtNS0_19identity_decomposerEEEEE10hipError_tT0_T1_T2_jT3_P12ihipStream_tbPNSt15iterator_traitsISE_E10value_typeEPNSK_ISF_E10value_typeEPSG_NS1_7vsmem_tEENKUlT_SE_SF_SG_E_clIS8_S8_S9_S9_EESD_ST_SE_SF_SG_EUlST_E_NS1_11comp_targetILNS1_3genE10ELNS1_11target_archE1201ELNS1_3gpuE5ELNS1_3repE0EEENS1_48merge_mergepath_partition_config_static_selectorELNS0_4arch9wavefront6targetE0EEEvSF_
	.globl	_ZN7rocprim17ROCPRIM_400000_NS6detail17trampoline_kernelINS0_14default_configENS1_38merge_sort_block_merge_config_selectorItNS0_10empty_typeEEEZZNS1_27merge_sort_block_merge_implIS3_PtPS5_jNS1_19radix_merge_compareILb0ELb1EtNS0_19identity_decomposerEEEEE10hipError_tT0_T1_T2_jT3_P12ihipStream_tbPNSt15iterator_traitsISE_E10value_typeEPNSK_ISF_E10value_typeEPSG_NS1_7vsmem_tEENKUlT_SE_SF_SG_E_clIS8_S8_S9_S9_EESD_ST_SE_SF_SG_EUlST_E_NS1_11comp_targetILNS1_3genE10ELNS1_11target_archE1201ELNS1_3gpuE5ELNS1_3repE0EEENS1_48merge_mergepath_partition_config_static_selectorELNS0_4arch9wavefront6targetE0EEEvSF_
	.p2align	8
	.type	_ZN7rocprim17ROCPRIM_400000_NS6detail17trampoline_kernelINS0_14default_configENS1_38merge_sort_block_merge_config_selectorItNS0_10empty_typeEEEZZNS1_27merge_sort_block_merge_implIS3_PtPS5_jNS1_19radix_merge_compareILb0ELb1EtNS0_19identity_decomposerEEEEE10hipError_tT0_T1_T2_jT3_P12ihipStream_tbPNSt15iterator_traitsISE_E10value_typeEPNSK_ISF_E10value_typeEPSG_NS1_7vsmem_tEENKUlT_SE_SF_SG_E_clIS8_S8_S9_S9_EESD_ST_SE_SF_SG_EUlST_E_NS1_11comp_targetILNS1_3genE10ELNS1_11target_archE1201ELNS1_3gpuE5ELNS1_3repE0EEENS1_48merge_mergepath_partition_config_static_selectorELNS0_4arch9wavefront6targetE0EEEvSF_,@function
_ZN7rocprim17ROCPRIM_400000_NS6detail17trampoline_kernelINS0_14default_configENS1_38merge_sort_block_merge_config_selectorItNS0_10empty_typeEEEZZNS1_27merge_sort_block_merge_implIS3_PtPS5_jNS1_19radix_merge_compareILb0ELb1EtNS0_19identity_decomposerEEEEE10hipError_tT0_T1_T2_jT3_P12ihipStream_tbPNSt15iterator_traitsISE_E10value_typeEPNSK_ISF_E10value_typeEPSG_NS1_7vsmem_tEENKUlT_SE_SF_SG_E_clIS8_S8_S9_S9_EESD_ST_SE_SF_SG_EUlST_E_NS1_11comp_targetILNS1_3genE10ELNS1_11target_archE1201ELNS1_3gpuE5ELNS1_3repE0EEENS1_48merge_mergepath_partition_config_static_selectorELNS0_4arch9wavefront6targetE0EEEvSF_: ; @_ZN7rocprim17ROCPRIM_400000_NS6detail17trampoline_kernelINS0_14default_configENS1_38merge_sort_block_merge_config_selectorItNS0_10empty_typeEEEZZNS1_27merge_sort_block_merge_implIS3_PtPS5_jNS1_19radix_merge_compareILb0ELb1EtNS0_19identity_decomposerEEEEE10hipError_tT0_T1_T2_jT3_P12ihipStream_tbPNSt15iterator_traitsISE_E10value_typeEPNSK_ISF_E10value_typeEPSG_NS1_7vsmem_tEENKUlT_SE_SF_SG_E_clIS8_S8_S9_S9_EESD_ST_SE_SF_SG_EUlST_E_NS1_11comp_targetILNS1_3genE10ELNS1_11target_archE1201ELNS1_3gpuE5ELNS1_3repE0EEENS1_48merge_mergepath_partition_config_static_selectorELNS0_4arch9wavefront6targetE0EEEvSF_
; %bb.0:
	.section	.rodata,"a",@progbits
	.p2align	6, 0x0
	.amdhsa_kernel _ZN7rocprim17ROCPRIM_400000_NS6detail17trampoline_kernelINS0_14default_configENS1_38merge_sort_block_merge_config_selectorItNS0_10empty_typeEEEZZNS1_27merge_sort_block_merge_implIS3_PtPS5_jNS1_19radix_merge_compareILb0ELb1EtNS0_19identity_decomposerEEEEE10hipError_tT0_T1_T2_jT3_P12ihipStream_tbPNSt15iterator_traitsISE_E10value_typeEPNSK_ISF_E10value_typeEPSG_NS1_7vsmem_tEENKUlT_SE_SF_SG_E_clIS8_S8_S9_S9_EESD_ST_SE_SF_SG_EUlST_E_NS1_11comp_targetILNS1_3genE10ELNS1_11target_archE1201ELNS1_3gpuE5ELNS1_3repE0EEENS1_48merge_mergepath_partition_config_static_selectorELNS0_4arch9wavefront6targetE0EEEvSF_
		.amdhsa_group_segment_fixed_size 0
		.amdhsa_private_segment_fixed_size 0
		.amdhsa_kernarg_size 40
		.amdhsa_user_sgpr_count 2
		.amdhsa_user_sgpr_dispatch_ptr 0
		.amdhsa_user_sgpr_queue_ptr 0
		.amdhsa_user_sgpr_kernarg_segment_ptr 1
		.amdhsa_user_sgpr_dispatch_id 0
		.amdhsa_user_sgpr_kernarg_preload_length 0
		.amdhsa_user_sgpr_kernarg_preload_offset 0
		.amdhsa_user_sgpr_private_segment_size 0
		.amdhsa_wavefront_size32 1
		.amdhsa_uses_dynamic_stack 0
		.amdhsa_enable_private_segment 0
		.amdhsa_system_sgpr_workgroup_id_x 1
		.amdhsa_system_sgpr_workgroup_id_y 0
		.amdhsa_system_sgpr_workgroup_id_z 0
		.amdhsa_system_sgpr_workgroup_info 0
		.amdhsa_system_vgpr_workitem_id 0
		.amdhsa_next_free_vgpr 1
		.amdhsa_next_free_sgpr 1
		.amdhsa_named_barrier_count 0
		.amdhsa_reserve_vcc 0
		.amdhsa_float_round_mode_32 0
		.amdhsa_float_round_mode_16_64 0
		.amdhsa_float_denorm_mode_32 3
		.amdhsa_float_denorm_mode_16_64 3
		.amdhsa_fp16_overflow 0
		.amdhsa_memory_ordered 1
		.amdhsa_forward_progress 1
		.amdhsa_inst_pref_size 0
		.amdhsa_round_robin_scheduling 0
		.amdhsa_exception_fp_ieee_invalid_op 0
		.amdhsa_exception_fp_denorm_src 0
		.amdhsa_exception_fp_ieee_div_zero 0
		.amdhsa_exception_fp_ieee_overflow 0
		.amdhsa_exception_fp_ieee_underflow 0
		.amdhsa_exception_fp_ieee_inexact 0
		.amdhsa_exception_int_div_zero 0
	.end_amdhsa_kernel
	.section	.text._ZN7rocprim17ROCPRIM_400000_NS6detail17trampoline_kernelINS0_14default_configENS1_38merge_sort_block_merge_config_selectorItNS0_10empty_typeEEEZZNS1_27merge_sort_block_merge_implIS3_PtPS5_jNS1_19radix_merge_compareILb0ELb1EtNS0_19identity_decomposerEEEEE10hipError_tT0_T1_T2_jT3_P12ihipStream_tbPNSt15iterator_traitsISE_E10value_typeEPNSK_ISF_E10value_typeEPSG_NS1_7vsmem_tEENKUlT_SE_SF_SG_E_clIS8_S8_S9_S9_EESD_ST_SE_SF_SG_EUlST_E_NS1_11comp_targetILNS1_3genE10ELNS1_11target_archE1201ELNS1_3gpuE5ELNS1_3repE0EEENS1_48merge_mergepath_partition_config_static_selectorELNS0_4arch9wavefront6targetE0EEEvSF_,"axG",@progbits,_ZN7rocprim17ROCPRIM_400000_NS6detail17trampoline_kernelINS0_14default_configENS1_38merge_sort_block_merge_config_selectorItNS0_10empty_typeEEEZZNS1_27merge_sort_block_merge_implIS3_PtPS5_jNS1_19radix_merge_compareILb0ELb1EtNS0_19identity_decomposerEEEEE10hipError_tT0_T1_T2_jT3_P12ihipStream_tbPNSt15iterator_traitsISE_E10value_typeEPNSK_ISF_E10value_typeEPSG_NS1_7vsmem_tEENKUlT_SE_SF_SG_E_clIS8_S8_S9_S9_EESD_ST_SE_SF_SG_EUlST_E_NS1_11comp_targetILNS1_3genE10ELNS1_11target_archE1201ELNS1_3gpuE5ELNS1_3repE0EEENS1_48merge_mergepath_partition_config_static_selectorELNS0_4arch9wavefront6targetE0EEEvSF_,comdat
.Lfunc_end2456:
	.size	_ZN7rocprim17ROCPRIM_400000_NS6detail17trampoline_kernelINS0_14default_configENS1_38merge_sort_block_merge_config_selectorItNS0_10empty_typeEEEZZNS1_27merge_sort_block_merge_implIS3_PtPS5_jNS1_19radix_merge_compareILb0ELb1EtNS0_19identity_decomposerEEEEE10hipError_tT0_T1_T2_jT3_P12ihipStream_tbPNSt15iterator_traitsISE_E10value_typeEPNSK_ISF_E10value_typeEPSG_NS1_7vsmem_tEENKUlT_SE_SF_SG_E_clIS8_S8_S9_S9_EESD_ST_SE_SF_SG_EUlST_E_NS1_11comp_targetILNS1_3genE10ELNS1_11target_archE1201ELNS1_3gpuE5ELNS1_3repE0EEENS1_48merge_mergepath_partition_config_static_selectorELNS0_4arch9wavefront6targetE0EEEvSF_, .Lfunc_end2456-_ZN7rocprim17ROCPRIM_400000_NS6detail17trampoline_kernelINS0_14default_configENS1_38merge_sort_block_merge_config_selectorItNS0_10empty_typeEEEZZNS1_27merge_sort_block_merge_implIS3_PtPS5_jNS1_19radix_merge_compareILb0ELb1EtNS0_19identity_decomposerEEEEE10hipError_tT0_T1_T2_jT3_P12ihipStream_tbPNSt15iterator_traitsISE_E10value_typeEPNSK_ISF_E10value_typeEPSG_NS1_7vsmem_tEENKUlT_SE_SF_SG_E_clIS8_S8_S9_S9_EESD_ST_SE_SF_SG_EUlST_E_NS1_11comp_targetILNS1_3genE10ELNS1_11target_archE1201ELNS1_3gpuE5ELNS1_3repE0EEENS1_48merge_mergepath_partition_config_static_selectorELNS0_4arch9wavefront6targetE0EEEvSF_
                                        ; -- End function
	.set _ZN7rocprim17ROCPRIM_400000_NS6detail17trampoline_kernelINS0_14default_configENS1_38merge_sort_block_merge_config_selectorItNS0_10empty_typeEEEZZNS1_27merge_sort_block_merge_implIS3_PtPS5_jNS1_19radix_merge_compareILb0ELb1EtNS0_19identity_decomposerEEEEE10hipError_tT0_T1_T2_jT3_P12ihipStream_tbPNSt15iterator_traitsISE_E10value_typeEPNSK_ISF_E10value_typeEPSG_NS1_7vsmem_tEENKUlT_SE_SF_SG_E_clIS8_S8_S9_S9_EESD_ST_SE_SF_SG_EUlST_E_NS1_11comp_targetILNS1_3genE10ELNS1_11target_archE1201ELNS1_3gpuE5ELNS1_3repE0EEENS1_48merge_mergepath_partition_config_static_selectorELNS0_4arch9wavefront6targetE0EEEvSF_.num_vgpr, 0
	.set _ZN7rocprim17ROCPRIM_400000_NS6detail17trampoline_kernelINS0_14default_configENS1_38merge_sort_block_merge_config_selectorItNS0_10empty_typeEEEZZNS1_27merge_sort_block_merge_implIS3_PtPS5_jNS1_19radix_merge_compareILb0ELb1EtNS0_19identity_decomposerEEEEE10hipError_tT0_T1_T2_jT3_P12ihipStream_tbPNSt15iterator_traitsISE_E10value_typeEPNSK_ISF_E10value_typeEPSG_NS1_7vsmem_tEENKUlT_SE_SF_SG_E_clIS8_S8_S9_S9_EESD_ST_SE_SF_SG_EUlST_E_NS1_11comp_targetILNS1_3genE10ELNS1_11target_archE1201ELNS1_3gpuE5ELNS1_3repE0EEENS1_48merge_mergepath_partition_config_static_selectorELNS0_4arch9wavefront6targetE0EEEvSF_.num_agpr, 0
	.set _ZN7rocprim17ROCPRIM_400000_NS6detail17trampoline_kernelINS0_14default_configENS1_38merge_sort_block_merge_config_selectorItNS0_10empty_typeEEEZZNS1_27merge_sort_block_merge_implIS3_PtPS5_jNS1_19radix_merge_compareILb0ELb1EtNS0_19identity_decomposerEEEEE10hipError_tT0_T1_T2_jT3_P12ihipStream_tbPNSt15iterator_traitsISE_E10value_typeEPNSK_ISF_E10value_typeEPSG_NS1_7vsmem_tEENKUlT_SE_SF_SG_E_clIS8_S8_S9_S9_EESD_ST_SE_SF_SG_EUlST_E_NS1_11comp_targetILNS1_3genE10ELNS1_11target_archE1201ELNS1_3gpuE5ELNS1_3repE0EEENS1_48merge_mergepath_partition_config_static_selectorELNS0_4arch9wavefront6targetE0EEEvSF_.numbered_sgpr, 0
	.set _ZN7rocprim17ROCPRIM_400000_NS6detail17trampoline_kernelINS0_14default_configENS1_38merge_sort_block_merge_config_selectorItNS0_10empty_typeEEEZZNS1_27merge_sort_block_merge_implIS3_PtPS5_jNS1_19radix_merge_compareILb0ELb1EtNS0_19identity_decomposerEEEEE10hipError_tT0_T1_T2_jT3_P12ihipStream_tbPNSt15iterator_traitsISE_E10value_typeEPNSK_ISF_E10value_typeEPSG_NS1_7vsmem_tEENKUlT_SE_SF_SG_E_clIS8_S8_S9_S9_EESD_ST_SE_SF_SG_EUlST_E_NS1_11comp_targetILNS1_3genE10ELNS1_11target_archE1201ELNS1_3gpuE5ELNS1_3repE0EEENS1_48merge_mergepath_partition_config_static_selectorELNS0_4arch9wavefront6targetE0EEEvSF_.num_named_barrier, 0
	.set _ZN7rocprim17ROCPRIM_400000_NS6detail17trampoline_kernelINS0_14default_configENS1_38merge_sort_block_merge_config_selectorItNS0_10empty_typeEEEZZNS1_27merge_sort_block_merge_implIS3_PtPS5_jNS1_19radix_merge_compareILb0ELb1EtNS0_19identity_decomposerEEEEE10hipError_tT0_T1_T2_jT3_P12ihipStream_tbPNSt15iterator_traitsISE_E10value_typeEPNSK_ISF_E10value_typeEPSG_NS1_7vsmem_tEENKUlT_SE_SF_SG_E_clIS8_S8_S9_S9_EESD_ST_SE_SF_SG_EUlST_E_NS1_11comp_targetILNS1_3genE10ELNS1_11target_archE1201ELNS1_3gpuE5ELNS1_3repE0EEENS1_48merge_mergepath_partition_config_static_selectorELNS0_4arch9wavefront6targetE0EEEvSF_.private_seg_size, 0
	.set _ZN7rocprim17ROCPRIM_400000_NS6detail17trampoline_kernelINS0_14default_configENS1_38merge_sort_block_merge_config_selectorItNS0_10empty_typeEEEZZNS1_27merge_sort_block_merge_implIS3_PtPS5_jNS1_19radix_merge_compareILb0ELb1EtNS0_19identity_decomposerEEEEE10hipError_tT0_T1_T2_jT3_P12ihipStream_tbPNSt15iterator_traitsISE_E10value_typeEPNSK_ISF_E10value_typeEPSG_NS1_7vsmem_tEENKUlT_SE_SF_SG_E_clIS8_S8_S9_S9_EESD_ST_SE_SF_SG_EUlST_E_NS1_11comp_targetILNS1_3genE10ELNS1_11target_archE1201ELNS1_3gpuE5ELNS1_3repE0EEENS1_48merge_mergepath_partition_config_static_selectorELNS0_4arch9wavefront6targetE0EEEvSF_.uses_vcc, 0
	.set _ZN7rocprim17ROCPRIM_400000_NS6detail17trampoline_kernelINS0_14default_configENS1_38merge_sort_block_merge_config_selectorItNS0_10empty_typeEEEZZNS1_27merge_sort_block_merge_implIS3_PtPS5_jNS1_19radix_merge_compareILb0ELb1EtNS0_19identity_decomposerEEEEE10hipError_tT0_T1_T2_jT3_P12ihipStream_tbPNSt15iterator_traitsISE_E10value_typeEPNSK_ISF_E10value_typeEPSG_NS1_7vsmem_tEENKUlT_SE_SF_SG_E_clIS8_S8_S9_S9_EESD_ST_SE_SF_SG_EUlST_E_NS1_11comp_targetILNS1_3genE10ELNS1_11target_archE1201ELNS1_3gpuE5ELNS1_3repE0EEENS1_48merge_mergepath_partition_config_static_selectorELNS0_4arch9wavefront6targetE0EEEvSF_.uses_flat_scratch, 0
	.set _ZN7rocprim17ROCPRIM_400000_NS6detail17trampoline_kernelINS0_14default_configENS1_38merge_sort_block_merge_config_selectorItNS0_10empty_typeEEEZZNS1_27merge_sort_block_merge_implIS3_PtPS5_jNS1_19radix_merge_compareILb0ELb1EtNS0_19identity_decomposerEEEEE10hipError_tT0_T1_T2_jT3_P12ihipStream_tbPNSt15iterator_traitsISE_E10value_typeEPNSK_ISF_E10value_typeEPSG_NS1_7vsmem_tEENKUlT_SE_SF_SG_E_clIS8_S8_S9_S9_EESD_ST_SE_SF_SG_EUlST_E_NS1_11comp_targetILNS1_3genE10ELNS1_11target_archE1201ELNS1_3gpuE5ELNS1_3repE0EEENS1_48merge_mergepath_partition_config_static_selectorELNS0_4arch9wavefront6targetE0EEEvSF_.has_dyn_sized_stack, 0
	.set _ZN7rocprim17ROCPRIM_400000_NS6detail17trampoline_kernelINS0_14default_configENS1_38merge_sort_block_merge_config_selectorItNS0_10empty_typeEEEZZNS1_27merge_sort_block_merge_implIS3_PtPS5_jNS1_19radix_merge_compareILb0ELb1EtNS0_19identity_decomposerEEEEE10hipError_tT0_T1_T2_jT3_P12ihipStream_tbPNSt15iterator_traitsISE_E10value_typeEPNSK_ISF_E10value_typeEPSG_NS1_7vsmem_tEENKUlT_SE_SF_SG_E_clIS8_S8_S9_S9_EESD_ST_SE_SF_SG_EUlST_E_NS1_11comp_targetILNS1_3genE10ELNS1_11target_archE1201ELNS1_3gpuE5ELNS1_3repE0EEENS1_48merge_mergepath_partition_config_static_selectorELNS0_4arch9wavefront6targetE0EEEvSF_.has_recursion, 0
	.set _ZN7rocprim17ROCPRIM_400000_NS6detail17trampoline_kernelINS0_14default_configENS1_38merge_sort_block_merge_config_selectorItNS0_10empty_typeEEEZZNS1_27merge_sort_block_merge_implIS3_PtPS5_jNS1_19radix_merge_compareILb0ELb1EtNS0_19identity_decomposerEEEEE10hipError_tT0_T1_T2_jT3_P12ihipStream_tbPNSt15iterator_traitsISE_E10value_typeEPNSK_ISF_E10value_typeEPSG_NS1_7vsmem_tEENKUlT_SE_SF_SG_E_clIS8_S8_S9_S9_EESD_ST_SE_SF_SG_EUlST_E_NS1_11comp_targetILNS1_3genE10ELNS1_11target_archE1201ELNS1_3gpuE5ELNS1_3repE0EEENS1_48merge_mergepath_partition_config_static_selectorELNS0_4arch9wavefront6targetE0EEEvSF_.has_indirect_call, 0
	.section	.AMDGPU.csdata,"",@progbits
; Kernel info:
; codeLenInByte = 0
; TotalNumSgprs: 0
; NumVgprs: 0
; ScratchSize: 0
; MemoryBound: 0
; FloatMode: 240
; IeeeMode: 1
; LDSByteSize: 0 bytes/workgroup (compile time only)
; SGPRBlocks: 0
; VGPRBlocks: 0
; NumSGPRsForWavesPerEU: 1
; NumVGPRsForWavesPerEU: 1
; NamedBarCnt: 0
; Occupancy: 16
; WaveLimiterHint : 0
; COMPUTE_PGM_RSRC2:SCRATCH_EN: 0
; COMPUTE_PGM_RSRC2:USER_SGPR: 2
; COMPUTE_PGM_RSRC2:TRAP_HANDLER: 0
; COMPUTE_PGM_RSRC2:TGID_X_EN: 1
; COMPUTE_PGM_RSRC2:TGID_Y_EN: 0
; COMPUTE_PGM_RSRC2:TGID_Z_EN: 0
; COMPUTE_PGM_RSRC2:TIDIG_COMP_CNT: 0
	.section	.text._ZN7rocprim17ROCPRIM_400000_NS6detail17trampoline_kernelINS0_14default_configENS1_38merge_sort_block_merge_config_selectorItNS0_10empty_typeEEEZZNS1_27merge_sort_block_merge_implIS3_PtPS5_jNS1_19radix_merge_compareILb0ELb1EtNS0_19identity_decomposerEEEEE10hipError_tT0_T1_T2_jT3_P12ihipStream_tbPNSt15iterator_traitsISE_E10value_typeEPNSK_ISF_E10value_typeEPSG_NS1_7vsmem_tEENKUlT_SE_SF_SG_E_clIS8_S8_S9_S9_EESD_ST_SE_SF_SG_EUlST_E_NS1_11comp_targetILNS1_3genE5ELNS1_11target_archE942ELNS1_3gpuE9ELNS1_3repE0EEENS1_48merge_mergepath_partition_config_static_selectorELNS0_4arch9wavefront6targetE0EEEvSF_,"axG",@progbits,_ZN7rocprim17ROCPRIM_400000_NS6detail17trampoline_kernelINS0_14default_configENS1_38merge_sort_block_merge_config_selectorItNS0_10empty_typeEEEZZNS1_27merge_sort_block_merge_implIS3_PtPS5_jNS1_19radix_merge_compareILb0ELb1EtNS0_19identity_decomposerEEEEE10hipError_tT0_T1_T2_jT3_P12ihipStream_tbPNSt15iterator_traitsISE_E10value_typeEPNSK_ISF_E10value_typeEPSG_NS1_7vsmem_tEENKUlT_SE_SF_SG_E_clIS8_S8_S9_S9_EESD_ST_SE_SF_SG_EUlST_E_NS1_11comp_targetILNS1_3genE5ELNS1_11target_archE942ELNS1_3gpuE9ELNS1_3repE0EEENS1_48merge_mergepath_partition_config_static_selectorELNS0_4arch9wavefront6targetE0EEEvSF_,comdat
	.protected	_ZN7rocprim17ROCPRIM_400000_NS6detail17trampoline_kernelINS0_14default_configENS1_38merge_sort_block_merge_config_selectorItNS0_10empty_typeEEEZZNS1_27merge_sort_block_merge_implIS3_PtPS5_jNS1_19radix_merge_compareILb0ELb1EtNS0_19identity_decomposerEEEEE10hipError_tT0_T1_T2_jT3_P12ihipStream_tbPNSt15iterator_traitsISE_E10value_typeEPNSK_ISF_E10value_typeEPSG_NS1_7vsmem_tEENKUlT_SE_SF_SG_E_clIS8_S8_S9_S9_EESD_ST_SE_SF_SG_EUlST_E_NS1_11comp_targetILNS1_3genE5ELNS1_11target_archE942ELNS1_3gpuE9ELNS1_3repE0EEENS1_48merge_mergepath_partition_config_static_selectorELNS0_4arch9wavefront6targetE0EEEvSF_ ; -- Begin function _ZN7rocprim17ROCPRIM_400000_NS6detail17trampoline_kernelINS0_14default_configENS1_38merge_sort_block_merge_config_selectorItNS0_10empty_typeEEEZZNS1_27merge_sort_block_merge_implIS3_PtPS5_jNS1_19radix_merge_compareILb0ELb1EtNS0_19identity_decomposerEEEEE10hipError_tT0_T1_T2_jT3_P12ihipStream_tbPNSt15iterator_traitsISE_E10value_typeEPNSK_ISF_E10value_typeEPSG_NS1_7vsmem_tEENKUlT_SE_SF_SG_E_clIS8_S8_S9_S9_EESD_ST_SE_SF_SG_EUlST_E_NS1_11comp_targetILNS1_3genE5ELNS1_11target_archE942ELNS1_3gpuE9ELNS1_3repE0EEENS1_48merge_mergepath_partition_config_static_selectorELNS0_4arch9wavefront6targetE0EEEvSF_
	.globl	_ZN7rocprim17ROCPRIM_400000_NS6detail17trampoline_kernelINS0_14default_configENS1_38merge_sort_block_merge_config_selectorItNS0_10empty_typeEEEZZNS1_27merge_sort_block_merge_implIS3_PtPS5_jNS1_19radix_merge_compareILb0ELb1EtNS0_19identity_decomposerEEEEE10hipError_tT0_T1_T2_jT3_P12ihipStream_tbPNSt15iterator_traitsISE_E10value_typeEPNSK_ISF_E10value_typeEPSG_NS1_7vsmem_tEENKUlT_SE_SF_SG_E_clIS8_S8_S9_S9_EESD_ST_SE_SF_SG_EUlST_E_NS1_11comp_targetILNS1_3genE5ELNS1_11target_archE942ELNS1_3gpuE9ELNS1_3repE0EEENS1_48merge_mergepath_partition_config_static_selectorELNS0_4arch9wavefront6targetE0EEEvSF_
	.p2align	8
	.type	_ZN7rocprim17ROCPRIM_400000_NS6detail17trampoline_kernelINS0_14default_configENS1_38merge_sort_block_merge_config_selectorItNS0_10empty_typeEEEZZNS1_27merge_sort_block_merge_implIS3_PtPS5_jNS1_19radix_merge_compareILb0ELb1EtNS0_19identity_decomposerEEEEE10hipError_tT0_T1_T2_jT3_P12ihipStream_tbPNSt15iterator_traitsISE_E10value_typeEPNSK_ISF_E10value_typeEPSG_NS1_7vsmem_tEENKUlT_SE_SF_SG_E_clIS8_S8_S9_S9_EESD_ST_SE_SF_SG_EUlST_E_NS1_11comp_targetILNS1_3genE5ELNS1_11target_archE942ELNS1_3gpuE9ELNS1_3repE0EEENS1_48merge_mergepath_partition_config_static_selectorELNS0_4arch9wavefront6targetE0EEEvSF_,@function
_ZN7rocprim17ROCPRIM_400000_NS6detail17trampoline_kernelINS0_14default_configENS1_38merge_sort_block_merge_config_selectorItNS0_10empty_typeEEEZZNS1_27merge_sort_block_merge_implIS3_PtPS5_jNS1_19radix_merge_compareILb0ELb1EtNS0_19identity_decomposerEEEEE10hipError_tT0_T1_T2_jT3_P12ihipStream_tbPNSt15iterator_traitsISE_E10value_typeEPNSK_ISF_E10value_typeEPSG_NS1_7vsmem_tEENKUlT_SE_SF_SG_E_clIS8_S8_S9_S9_EESD_ST_SE_SF_SG_EUlST_E_NS1_11comp_targetILNS1_3genE5ELNS1_11target_archE942ELNS1_3gpuE9ELNS1_3repE0EEENS1_48merge_mergepath_partition_config_static_selectorELNS0_4arch9wavefront6targetE0EEEvSF_: ; @_ZN7rocprim17ROCPRIM_400000_NS6detail17trampoline_kernelINS0_14default_configENS1_38merge_sort_block_merge_config_selectorItNS0_10empty_typeEEEZZNS1_27merge_sort_block_merge_implIS3_PtPS5_jNS1_19radix_merge_compareILb0ELb1EtNS0_19identity_decomposerEEEEE10hipError_tT0_T1_T2_jT3_P12ihipStream_tbPNSt15iterator_traitsISE_E10value_typeEPNSK_ISF_E10value_typeEPSG_NS1_7vsmem_tEENKUlT_SE_SF_SG_E_clIS8_S8_S9_S9_EESD_ST_SE_SF_SG_EUlST_E_NS1_11comp_targetILNS1_3genE5ELNS1_11target_archE942ELNS1_3gpuE9ELNS1_3repE0EEENS1_48merge_mergepath_partition_config_static_selectorELNS0_4arch9wavefront6targetE0EEEvSF_
; %bb.0:
	.section	.rodata,"a",@progbits
	.p2align	6, 0x0
	.amdhsa_kernel _ZN7rocprim17ROCPRIM_400000_NS6detail17trampoline_kernelINS0_14default_configENS1_38merge_sort_block_merge_config_selectorItNS0_10empty_typeEEEZZNS1_27merge_sort_block_merge_implIS3_PtPS5_jNS1_19radix_merge_compareILb0ELb1EtNS0_19identity_decomposerEEEEE10hipError_tT0_T1_T2_jT3_P12ihipStream_tbPNSt15iterator_traitsISE_E10value_typeEPNSK_ISF_E10value_typeEPSG_NS1_7vsmem_tEENKUlT_SE_SF_SG_E_clIS8_S8_S9_S9_EESD_ST_SE_SF_SG_EUlST_E_NS1_11comp_targetILNS1_3genE5ELNS1_11target_archE942ELNS1_3gpuE9ELNS1_3repE0EEENS1_48merge_mergepath_partition_config_static_selectorELNS0_4arch9wavefront6targetE0EEEvSF_
		.amdhsa_group_segment_fixed_size 0
		.amdhsa_private_segment_fixed_size 0
		.amdhsa_kernarg_size 40
		.amdhsa_user_sgpr_count 2
		.amdhsa_user_sgpr_dispatch_ptr 0
		.amdhsa_user_sgpr_queue_ptr 0
		.amdhsa_user_sgpr_kernarg_segment_ptr 1
		.amdhsa_user_sgpr_dispatch_id 0
		.amdhsa_user_sgpr_kernarg_preload_length 0
		.amdhsa_user_sgpr_kernarg_preload_offset 0
		.amdhsa_user_sgpr_private_segment_size 0
		.amdhsa_wavefront_size32 1
		.amdhsa_uses_dynamic_stack 0
		.amdhsa_enable_private_segment 0
		.amdhsa_system_sgpr_workgroup_id_x 1
		.amdhsa_system_sgpr_workgroup_id_y 0
		.amdhsa_system_sgpr_workgroup_id_z 0
		.amdhsa_system_sgpr_workgroup_info 0
		.amdhsa_system_vgpr_workitem_id 0
		.amdhsa_next_free_vgpr 1
		.amdhsa_next_free_sgpr 1
		.amdhsa_named_barrier_count 0
		.amdhsa_reserve_vcc 0
		.amdhsa_float_round_mode_32 0
		.amdhsa_float_round_mode_16_64 0
		.amdhsa_float_denorm_mode_32 3
		.amdhsa_float_denorm_mode_16_64 3
		.amdhsa_fp16_overflow 0
		.amdhsa_memory_ordered 1
		.amdhsa_forward_progress 1
		.amdhsa_inst_pref_size 0
		.amdhsa_round_robin_scheduling 0
		.amdhsa_exception_fp_ieee_invalid_op 0
		.amdhsa_exception_fp_denorm_src 0
		.amdhsa_exception_fp_ieee_div_zero 0
		.amdhsa_exception_fp_ieee_overflow 0
		.amdhsa_exception_fp_ieee_underflow 0
		.amdhsa_exception_fp_ieee_inexact 0
		.amdhsa_exception_int_div_zero 0
	.end_amdhsa_kernel
	.section	.text._ZN7rocprim17ROCPRIM_400000_NS6detail17trampoline_kernelINS0_14default_configENS1_38merge_sort_block_merge_config_selectorItNS0_10empty_typeEEEZZNS1_27merge_sort_block_merge_implIS3_PtPS5_jNS1_19radix_merge_compareILb0ELb1EtNS0_19identity_decomposerEEEEE10hipError_tT0_T1_T2_jT3_P12ihipStream_tbPNSt15iterator_traitsISE_E10value_typeEPNSK_ISF_E10value_typeEPSG_NS1_7vsmem_tEENKUlT_SE_SF_SG_E_clIS8_S8_S9_S9_EESD_ST_SE_SF_SG_EUlST_E_NS1_11comp_targetILNS1_3genE5ELNS1_11target_archE942ELNS1_3gpuE9ELNS1_3repE0EEENS1_48merge_mergepath_partition_config_static_selectorELNS0_4arch9wavefront6targetE0EEEvSF_,"axG",@progbits,_ZN7rocprim17ROCPRIM_400000_NS6detail17trampoline_kernelINS0_14default_configENS1_38merge_sort_block_merge_config_selectorItNS0_10empty_typeEEEZZNS1_27merge_sort_block_merge_implIS3_PtPS5_jNS1_19radix_merge_compareILb0ELb1EtNS0_19identity_decomposerEEEEE10hipError_tT0_T1_T2_jT3_P12ihipStream_tbPNSt15iterator_traitsISE_E10value_typeEPNSK_ISF_E10value_typeEPSG_NS1_7vsmem_tEENKUlT_SE_SF_SG_E_clIS8_S8_S9_S9_EESD_ST_SE_SF_SG_EUlST_E_NS1_11comp_targetILNS1_3genE5ELNS1_11target_archE942ELNS1_3gpuE9ELNS1_3repE0EEENS1_48merge_mergepath_partition_config_static_selectorELNS0_4arch9wavefront6targetE0EEEvSF_,comdat
.Lfunc_end2457:
	.size	_ZN7rocprim17ROCPRIM_400000_NS6detail17trampoline_kernelINS0_14default_configENS1_38merge_sort_block_merge_config_selectorItNS0_10empty_typeEEEZZNS1_27merge_sort_block_merge_implIS3_PtPS5_jNS1_19radix_merge_compareILb0ELb1EtNS0_19identity_decomposerEEEEE10hipError_tT0_T1_T2_jT3_P12ihipStream_tbPNSt15iterator_traitsISE_E10value_typeEPNSK_ISF_E10value_typeEPSG_NS1_7vsmem_tEENKUlT_SE_SF_SG_E_clIS8_S8_S9_S9_EESD_ST_SE_SF_SG_EUlST_E_NS1_11comp_targetILNS1_3genE5ELNS1_11target_archE942ELNS1_3gpuE9ELNS1_3repE0EEENS1_48merge_mergepath_partition_config_static_selectorELNS0_4arch9wavefront6targetE0EEEvSF_, .Lfunc_end2457-_ZN7rocprim17ROCPRIM_400000_NS6detail17trampoline_kernelINS0_14default_configENS1_38merge_sort_block_merge_config_selectorItNS0_10empty_typeEEEZZNS1_27merge_sort_block_merge_implIS3_PtPS5_jNS1_19radix_merge_compareILb0ELb1EtNS0_19identity_decomposerEEEEE10hipError_tT0_T1_T2_jT3_P12ihipStream_tbPNSt15iterator_traitsISE_E10value_typeEPNSK_ISF_E10value_typeEPSG_NS1_7vsmem_tEENKUlT_SE_SF_SG_E_clIS8_S8_S9_S9_EESD_ST_SE_SF_SG_EUlST_E_NS1_11comp_targetILNS1_3genE5ELNS1_11target_archE942ELNS1_3gpuE9ELNS1_3repE0EEENS1_48merge_mergepath_partition_config_static_selectorELNS0_4arch9wavefront6targetE0EEEvSF_
                                        ; -- End function
	.set _ZN7rocprim17ROCPRIM_400000_NS6detail17trampoline_kernelINS0_14default_configENS1_38merge_sort_block_merge_config_selectorItNS0_10empty_typeEEEZZNS1_27merge_sort_block_merge_implIS3_PtPS5_jNS1_19radix_merge_compareILb0ELb1EtNS0_19identity_decomposerEEEEE10hipError_tT0_T1_T2_jT3_P12ihipStream_tbPNSt15iterator_traitsISE_E10value_typeEPNSK_ISF_E10value_typeEPSG_NS1_7vsmem_tEENKUlT_SE_SF_SG_E_clIS8_S8_S9_S9_EESD_ST_SE_SF_SG_EUlST_E_NS1_11comp_targetILNS1_3genE5ELNS1_11target_archE942ELNS1_3gpuE9ELNS1_3repE0EEENS1_48merge_mergepath_partition_config_static_selectorELNS0_4arch9wavefront6targetE0EEEvSF_.num_vgpr, 0
	.set _ZN7rocprim17ROCPRIM_400000_NS6detail17trampoline_kernelINS0_14default_configENS1_38merge_sort_block_merge_config_selectorItNS0_10empty_typeEEEZZNS1_27merge_sort_block_merge_implIS3_PtPS5_jNS1_19radix_merge_compareILb0ELb1EtNS0_19identity_decomposerEEEEE10hipError_tT0_T1_T2_jT3_P12ihipStream_tbPNSt15iterator_traitsISE_E10value_typeEPNSK_ISF_E10value_typeEPSG_NS1_7vsmem_tEENKUlT_SE_SF_SG_E_clIS8_S8_S9_S9_EESD_ST_SE_SF_SG_EUlST_E_NS1_11comp_targetILNS1_3genE5ELNS1_11target_archE942ELNS1_3gpuE9ELNS1_3repE0EEENS1_48merge_mergepath_partition_config_static_selectorELNS0_4arch9wavefront6targetE0EEEvSF_.num_agpr, 0
	.set _ZN7rocprim17ROCPRIM_400000_NS6detail17trampoline_kernelINS0_14default_configENS1_38merge_sort_block_merge_config_selectorItNS0_10empty_typeEEEZZNS1_27merge_sort_block_merge_implIS3_PtPS5_jNS1_19radix_merge_compareILb0ELb1EtNS0_19identity_decomposerEEEEE10hipError_tT0_T1_T2_jT3_P12ihipStream_tbPNSt15iterator_traitsISE_E10value_typeEPNSK_ISF_E10value_typeEPSG_NS1_7vsmem_tEENKUlT_SE_SF_SG_E_clIS8_S8_S9_S9_EESD_ST_SE_SF_SG_EUlST_E_NS1_11comp_targetILNS1_3genE5ELNS1_11target_archE942ELNS1_3gpuE9ELNS1_3repE0EEENS1_48merge_mergepath_partition_config_static_selectorELNS0_4arch9wavefront6targetE0EEEvSF_.numbered_sgpr, 0
	.set _ZN7rocprim17ROCPRIM_400000_NS6detail17trampoline_kernelINS0_14default_configENS1_38merge_sort_block_merge_config_selectorItNS0_10empty_typeEEEZZNS1_27merge_sort_block_merge_implIS3_PtPS5_jNS1_19radix_merge_compareILb0ELb1EtNS0_19identity_decomposerEEEEE10hipError_tT0_T1_T2_jT3_P12ihipStream_tbPNSt15iterator_traitsISE_E10value_typeEPNSK_ISF_E10value_typeEPSG_NS1_7vsmem_tEENKUlT_SE_SF_SG_E_clIS8_S8_S9_S9_EESD_ST_SE_SF_SG_EUlST_E_NS1_11comp_targetILNS1_3genE5ELNS1_11target_archE942ELNS1_3gpuE9ELNS1_3repE0EEENS1_48merge_mergepath_partition_config_static_selectorELNS0_4arch9wavefront6targetE0EEEvSF_.num_named_barrier, 0
	.set _ZN7rocprim17ROCPRIM_400000_NS6detail17trampoline_kernelINS0_14default_configENS1_38merge_sort_block_merge_config_selectorItNS0_10empty_typeEEEZZNS1_27merge_sort_block_merge_implIS3_PtPS5_jNS1_19radix_merge_compareILb0ELb1EtNS0_19identity_decomposerEEEEE10hipError_tT0_T1_T2_jT3_P12ihipStream_tbPNSt15iterator_traitsISE_E10value_typeEPNSK_ISF_E10value_typeEPSG_NS1_7vsmem_tEENKUlT_SE_SF_SG_E_clIS8_S8_S9_S9_EESD_ST_SE_SF_SG_EUlST_E_NS1_11comp_targetILNS1_3genE5ELNS1_11target_archE942ELNS1_3gpuE9ELNS1_3repE0EEENS1_48merge_mergepath_partition_config_static_selectorELNS0_4arch9wavefront6targetE0EEEvSF_.private_seg_size, 0
	.set _ZN7rocprim17ROCPRIM_400000_NS6detail17trampoline_kernelINS0_14default_configENS1_38merge_sort_block_merge_config_selectorItNS0_10empty_typeEEEZZNS1_27merge_sort_block_merge_implIS3_PtPS5_jNS1_19radix_merge_compareILb0ELb1EtNS0_19identity_decomposerEEEEE10hipError_tT0_T1_T2_jT3_P12ihipStream_tbPNSt15iterator_traitsISE_E10value_typeEPNSK_ISF_E10value_typeEPSG_NS1_7vsmem_tEENKUlT_SE_SF_SG_E_clIS8_S8_S9_S9_EESD_ST_SE_SF_SG_EUlST_E_NS1_11comp_targetILNS1_3genE5ELNS1_11target_archE942ELNS1_3gpuE9ELNS1_3repE0EEENS1_48merge_mergepath_partition_config_static_selectorELNS0_4arch9wavefront6targetE0EEEvSF_.uses_vcc, 0
	.set _ZN7rocprim17ROCPRIM_400000_NS6detail17trampoline_kernelINS0_14default_configENS1_38merge_sort_block_merge_config_selectorItNS0_10empty_typeEEEZZNS1_27merge_sort_block_merge_implIS3_PtPS5_jNS1_19radix_merge_compareILb0ELb1EtNS0_19identity_decomposerEEEEE10hipError_tT0_T1_T2_jT3_P12ihipStream_tbPNSt15iterator_traitsISE_E10value_typeEPNSK_ISF_E10value_typeEPSG_NS1_7vsmem_tEENKUlT_SE_SF_SG_E_clIS8_S8_S9_S9_EESD_ST_SE_SF_SG_EUlST_E_NS1_11comp_targetILNS1_3genE5ELNS1_11target_archE942ELNS1_3gpuE9ELNS1_3repE0EEENS1_48merge_mergepath_partition_config_static_selectorELNS0_4arch9wavefront6targetE0EEEvSF_.uses_flat_scratch, 0
	.set _ZN7rocprim17ROCPRIM_400000_NS6detail17trampoline_kernelINS0_14default_configENS1_38merge_sort_block_merge_config_selectorItNS0_10empty_typeEEEZZNS1_27merge_sort_block_merge_implIS3_PtPS5_jNS1_19radix_merge_compareILb0ELb1EtNS0_19identity_decomposerEEEEE10hipError_tT0_T1_T2_jT3_P12ihipStream_tbPNSt15iterator_traitsISE_E10value_typeEPNSK_ISF_E10value_typeEPSG_NS1_7vsmem_tEENKUlT_SE_SF_SG_E_clIS8_S8_S9_S9_EESD_ST_SE_SF_SG_EUlST_E_NS1_11comp_targetILNS1_3genE5ELNS1_11target_archE942ELNS1_3gpuE9ELNS1_3repE0EEENS1_48merge_mergepath_partition_config_static_selectorELNS0_4arch9wavefront6targetE0EEEvSF_.has_dyn_sized_stack, 0
	.set _ZN7rocprim17ROCPRIM_400000_NS6detail17trampoline_kernelINS0_14default_configENS1_38merge_sort_block_merge_config_selectorItNS0_10empty_typeEEEZZNS1_27merge_sort_block_merge_implIS3_PtPS5_jNS1_19radix_merge_compareILb0ELb1EtNS0_19identity_decomposerEEEEE10hipError_tT0_T1_T2_jT3_P12ihipStream_tbPNSt15iterator_traitsISE_E10value_typeEPNSK_ISF_E10value_typeEPSG_NS1_7vsmem_tEENKUlT_SE_SF_SG_E_clIS8_S8_S9_S9_EESD_ST_SE_SF_SG_EUlST_E_NS1_11comp_targetILNS1_3genE5ELNS1_11target_archE942ELNS1_3gpuE9ELNS1_3repE0EEENS1_48merge_mergepath_partition_config_static_selectorELNS0_4arch9wavefront6targetE0EEEvSF_.has_recursion, 0
	.set _ZN7rocprim17ROCPRIM_400000_NS6detail17trampoline_kernelINS0_14default_configENS1_38merge_sort_block_merge_config_selectorItNS0_10empty_typeEEEZZNS1_27merge_sort_block_merge_implIS3_PtPS5_jNS1_19radix_merge_compareILb0ELb1EtNS0_19identity_decomposerEEEEE10hipError_tT0_T1_T2_jT3_P12ihipStream_tbPNSt15iterator_traitsISE_E10value_typeEPNSK_ISF_E10value_typeEPSG_NS1_7vsmem_tEENKUlT_SE_SF_SG_E_clIS8_S8_S9_S9_EESD_ST_SE_SF_SG_EUlST_E_NS1_11comp_targetILNS1_3genE5ELNS1_11target_archE942ELNS1_3gpuE9ELNS1_3repE0EEENS1_48merge_mergepath_partition_config_static_selectorELNS0_4arch9wavefront6targetE0EEEvSF_.has_indirect_call, 0
	.section	.AMDGPU.csdata,"",@progbits
; Kernel info:
; codeLenInByte = 0
; TotalNumSgprs: 0
; NumVgprs: 0
; ScratchSize: 0
; MemoryBound: 0
; FloatMode: 240
; IeeeMode: 1
; LDSByteSize: 0 bytes/workgroup (compile time only)
; SGPRBlocks: 0
; VGPRBlocks: 0
; NumSGPRsForWavesPerEU: 1
; NumVGPRsForWavesPerEU: 1
; NamedBarCnt: 0
; Occupancy: 16
; WaveLimiterHint : 0
; COMPUTE_PGM_RSRC2:SCRATCH_EN: 0
; COMPUTE_PGM_RSRC2:USER_SGPR: 2
; COMPUTE_PGM_RSRC2:TRAP_HANDLER: 0
; COMPUTE_PGM_RSRC2:TGID_X_EN: 1
; COMPUTE_PGM_RSRC2:TGID_Y_EN: 0
; COMPUTE_PGM_RSRC2:TGID_Z_EN: 0
; COMPUTE_PGM_RSRC2:TIDIG_COMP_CNT: 0
	.section	.text._ZN7rocprim17ROCPRIM_400000_NS6detail17trampoline_kernelINS0_14default_configENS1_38merge_sort_block_merge_config_selectorItNS0_10empty_typeEEEZZNS1_27merge_sort_block_merge_implIS3_PtPS5_jNS1_19radix_merge_compareILb0ELb1EtNS0_19identity_decomposerEEEEE10hipError_tT0_T1_T2_jT3_P12ihipStream_tbPNSt15iterator_traitsISE_E10value_typeEPNSK_ISF_E10value_typeEPSG_NS1_7vsmem_tEENKUlT_SE_SF_SG_E_clIS8_S8_S9_S9_EESD_ST_SE_SF_SG_EUlST_E_NS1_11comp_targetILNS1_3genE4ELNS1_11target_archE910ELNS1_3gpuE8ELNS1_3repE0EEENS1_48merge_mergepath_partition_config_static_selectorELNS0_4arch9wavefront6targetE0EEEvSF_,"axG",@progbits,_ZN7rocprim17ROCPRIM_400000_NS6detail17trampoline_kernelINS0_14default_configENS1_38merge_sort_block_merge_config_selectorItNS0_10empty_typeEEEZZNS1_27merge_sort_block_merge_implIS3_PtPS5_jNS1_19radix_merge_compareILb0ELb1EtNS0_19identity_decomposerEEEEE10hipError_tT0_T1_T2_jT3_P12ihipStream_tbPNSt15iterator_traitsISE_E10value_typeEPNSK_ISF_E10value_typeEPSG_NS1_7vsmem_tEENKUlT_SE_SF_SG_E_clIS8_S8_S9_S9_EESD_ST_SE_SF_SG_EUlST_E_NS1_11comp_targetILNS1_3genE4ELNS1_11target_archE910ELNS1_3gpuE8ELNS1_3repE0EEENS1_48merge_mergepath_partition_config_static_selectorELNS0_4arch9wavefront6targetE0EEEvSF_,comdat
	.protected	_ZN7rocprim17ROCPRIM_400000_NS6detail17trampoline_kernelINS0_14default_configENS1_38merge_sort_block_merge_config_selectorItNS0_10empty_typeEEEZZNS1_27merge_sort_block_merge_implIS3_PtPS5_jNS1_19radix_merge_compareILb0ELb1EtNS0_19identity_decomposerEEEEE10hipError_tT0_T1_T2_jT3_P12ihipStream_tbPNSt15iterator_traitsISE_E10value_typeEPNSK_ISF_E10value_typeEPSG_NS1_7vsmem_tEENKUlT_SE_SF_SG_E_clIS8_S8_S9_S9_EESD_ST_SE_SF_SG_EUlST_E_NS1_11comp_targetILNS1_3genE4ELNS1_11target_archE910ELNS1_3gpuE8ELNS1_3repE0EEENS1_48merge_mergepath_partition_config_static_selectorELNS0_4arch9wavefront6targetE0EEEvSF_ ; -- Begin function _ZN7rocprim17ROCPRIM_400000_NS6detail17trampoline_kernelINS0_14default_configENS1_38merge_sort_block_merge_config_selectorItNS0_10empty_typeEEEZZNS1_27merge_sort_block_merge_implIS3_PtPS5_jNS1_19radix_merge_compareILb0ELb1EtNS0_19identity_decomposerEEEEE10hipError_tT0_T1_T2_jT3_P12ihipStream_tbPNSt15iterator_traitsISE_E10value_typeEPNSK_ISF_E10value_typeEPSG_NS1_7vsmem_tEENKUlT_SE_SF_SG_E_clIS8_S8_S9_S9_EESD_ST_SE_SF_SG_EUlST_E_NS1_11comp_targetILNS1_3genE4ELNS1_11target_archE910ELNS1_3gpuE8ELNS1_3repE0EEENS1_48merge_mergepath_partition_config_static_selectorELNS0_4arch9wavefront6targetE0EEEvSF_
	.globl	_ZN7rocprim17ROCPRIM_400000_NS6detail17trampoline_kernelINS0_14default_configENS1_38merge_sort_block_merge_config_selectorItNS0_10empty_typeEEEZZNS1_27merge_sort_block_merge_implIS3_PtPS5_jNS1_19radix_merge_compareILb0ELb1EtNS0_19identity_decomposerEEEEE10hipError_tT0_T1_T2_jT3_P12ihipStream_tbPNSt15iterator_traitsISE_E10value_typeEPNSK_ISF_E10value_typeEPSG_NS1_7vsmem_tEENKUlT_SE_SF_SG_E_clIS8_S8_S9_S9_EESD_ST_SE_SF_SG_EUlST_E_NS1_11comp_targetILNS1_3genE4ELNS1_11target_archE910ELNS1_3gpuE8ELNS1_3repE0EEENS1_48merge_mergepath_partition_config_static_selectorELNS0_4arch9wavefront6targetE0EEEvSF_
	.p2align	8
	.type	_ZN7rocprim17ROCPRIM_400000_NS6detail17trampoline_kernelINS0_14default_configENS1_38merge_sort_block_merge_config_selectorItNS0_10empty_typeEEEZZNS1_27merge_sort_block_merge_implIS3_PtPS5_jNS1_19radix_merge_compareILb0ELb1EtNS0_19identity_decomposerEEEEE10hipError_tT0_T1_T2_jT3_P12ihipStream_tbPNSt15iterator_traitsISE_E10value_typeEPNSK_ISF_E10value_typeEPSG_NS1_7vsmem_tEENKUlT_SE_SF_SG_E_clIS8_S8_S9_S9_EESD_ST_SE_SF_SG_EUlST_E_NS1_11comp_targetILNS1_3genE4ELNS1_11target_archE910ELNS1_3gpuE8ELNS1_3repE0EEENS1_48merge_mergepath_partition_config_static_selectorELNS0_4arch9wavefront6targetE0EEEvSF_,@function
_ZN7rocprim17ROCPRIM_400000_NS6detail17trampoline_kernelINS0_14default_configENS1_38merge_sort_block_merge_config_selectorItNS0_10empty_typeEEEZZNS1_27merge_sort_block_merge_implIS3_PtPS5_jNS1_19radix_merge_compareILb0ELb1EtNS0_19identity_decomposerEEEEE10hipError_tT0_T1_T2_jT3_P12ihipStream_tbPNSt15iterator_traitsISE_E10value_typeEPNSK_ISF_E10value_typeEPSG_NS1_7vsmem_tEENKUlT_SE_SF_SG_E_clIS8_S8_S9_S9_EESD_ST_SE_SF_SG_EUlST_E_NS1_11comp_targetILNS1_3genE4ELNS1_11target_archE910ELNS1_3gpuE8ELNS1_3repE0EEENS1_48merge_mergepath_partition_config_static_selectorELNS0_4arch9wavefront6targetE0EEEvSF_: ; @_ZN7rocprim17ROCPRIM_400000_NS6detail17trampoline_kernelINS0_14default_configENS1_38merge_sort_block_merge_config_selectorItNS0_10empty_typeEEEZZNS1_27merge_sort_block_merge_implIS3_PtPS5_jNS1_19radix_merge_compareILb0ELb1EtNS0_19identity_decomposerEEEEE10hipError_tT0_T1_T2_jT3_P12ihipStream_tbPNSt15iterator_traitsISE_E10value_typeEPNSK_ISF_E10value_typeEPSG_NS1_7vsmem_tEENKUlT_SE_SF_SG_E_clIS8_S8_S9_S9_EESD_ST_SE_SF_SG_EUlST_E_NS1_11comp_targetILNS1_3genE4ELNS1_11target_archE910ELNS1_3gpuE8ELNS1_3repE0EEENS1_48merge_mergepath_partition_config_static_selectorELNS0_4arch9wavefront6targetE0EEEvSF_
; %bb.0:
	.section	.rodata,"a",@progbits
	.p2align	6, 0x0
	.amdhsa_kernel _ZN7rocprim17ROCPRIM_400000_NS6detail17trampoline_kernelINS0_14default_configENS1_38merge_sort_block_merge_config_selectorItNS0_10empty_typeEEEZZNS1_27merge_sort_block_merge_implIS3_PtPS5_jNS1_19radix_merge_compareILb0ELb1EtNS0_19identity_decomposerEEEEE10hipError_tT0_T1_T2_jT3_P12ihipStream_tbPNSt15iterator_traitsISE_E10value_typeEPNSK_ISF_E10value_typeEPSG_NS1_7vsmem_tEENKUlT_SE_SF_SG_E_clIS8_S8_S9_S9_EESD_ST_SE_SF_SG_EUlST_E_NS1_11comp_targetILNS1_3genE4ELNS1_11target_archE910ELNS1_3gpuE8ELNS1_3repE0EEENS1_48merge_mergepath_partition_config_static_selectorELNS0_4arch9wavefront6targetE0EEEvSF_
		.amdhsa_group_segment_fixed_size 0
		.amdhsa_private_segment_fixed_size 0
		.amdhsa_kernarg_size 40
		.amdhsa_user_sgpr_count 2
		.amdhsa_user_sgpr_dispatch_ptr 0
		.amdhsa_user_sgpr_queue_ptr 0
		.amdhsa_user_sgpr_kernarg_segment_ptr 1
		.amdhsa_user_sgpr_dispatch_id 0
		.amdhsa_user_sgpr_kernarg_preload_length 0
		.amdhsa_user_sgpr_kernarg_preload_offset 0
		.amdhsa_user_sgpr_private_segment_size 0
		.amdhsa_wavefront_size32 1
		.amdhsa_uses_dynamic_stack 0
		.amdhsa_enable_private_segment 0
		.amdhsa_system_sgpr_workgroup_id_x 1
		.amdhsa_system_sgpr_workgroup_id_y 0
		.amdhsa_system_sgpr_workgroup_id_z 0
		.amdhsa_system_sgpr_workgroup_info 0
		.amdhsa_system_vgpr_workitem_id 0
		.amdhsa_next_free_vgpr 1
		.amdhsa_next_free_sgpr 1
		.amdhsa_named_barrier_count 0
		.amdhsa_reserve_vcc 0
		.amdhsa_float_round_mode_32 0
		.amdhsa_float_round_mode_16_64 0
		.amdhsa_float_denorm_mode_32 3
		.amdhsa_float_denorm_mode_16_64 3
		.amdhsa_fp16_overflow 0
		.amdhsa_memory_ordered 1
		.amdhsa_forward_progress 1
		.amdhsa_inst_pref_size 0
		.amdhsa_round_robin_scheduling 0
		.amdhsa_exception_fp_ieee_invalid_op 0
		.amdhsa_exception_fp_denorm_src 0
		.amdhsa_exception_fp_ieee_div_zero 0
		.amdhsa_exception_fp_ieee_overflow 0
		.amdhsa_exception_fp_ieee_underflow 0
		.amdhsa_exception_fp_ieee_inexact 0
		.amdhsa_exception_int_div_zero 0
	.end_amdhsa_kernel
	.section	.text._ZN7rocprim17ROCPRIM_400000_NS6detail17trampoline_kernelINS0_14default_configENS1_38merge_sort_block_merge_config_selectorItNS0_10empty_typeEEEZZNS1_27merge_sort_block_merge_implIS3_PtPS5_jNS1_19radix_merge_compareILb0ELb1EtNS0_19identity_decomposerEEEEE10hipError_tT0_T1_T2_jT3_P12ihipStream_tbPNSt15iterator_traitsISE_E10value_typeEPNSK_ISF_E10value_typeEPSG_NS1_7vsmem_tEENKUlT_SE_SF_SG_E_clIS8_S8_S9_S9_EESD_ST_SE_SF_SG_EUlST_E_NS1_11comp_targetILNS1_3genE4ELNS1_11target_archE910ELNS1_3gpuE8ELNS1_3repE0EEENS1_48merge_mergepath_partition_config_static_selectorELNS0_4arch9wavefront6targetE0EEEvSF_,"axG",@progbits,_ZN7rocprim17ROCPRIM_400000_NS6detail17trampoline_kernelINS0_14default_configENS1_38merge_sort_block_merge_config_selectorItNS0_10empty_typeEEEZZNS1_27merge_sort_block_merge_implIS3_PtPS5_jNS1_19radix_merge_compareILb0ELb1EtNS0_19identity_decomposerEEEEE10hipError_tT0_T1_T2_jT3_P12ihipStream_tbPNSt15iterator_traitsISE_E10value_typeEPNSK_ISF_E10value_typeEPSG_NS1_7vsmem_tEENKUlT_SE_SF_SG_E_clIS8_S8_S9_S9_EESD_ST_SE_SF_SG_EUlST_E_NS1_11comp_targetILNS1_3genE4ELNS1_11target_archE910ELNS1_3gpuE8ELNS1_3repE0EEENS1_48merge_mergepath_partition_config_static_selectorELNS0_4arch9wavefront6targetE0EEEvSF_,comdat
.Lfunc_end2458:
	.size	_ZN7rocprim17ROCPRIM_400000_NS6detail17trampoline_kernelINS0_14default_configENS1_38merge_sort_block_merge_config_selectorItNS0_10empty_typeEEEZZNS1_27merge_sort_block_merge_implIS3_PtPS5_jNS1_19radix_merge_compareILb0ELb1EtNS0_19identity_decomposerEEEEE10hipError_tT0_T1_T2_jT3_P12ihipStream_tbPNSt15iterator_traitsISE_E10value_typeEPNSK_ISF_E10value_typeEPSG_NS1_7vsmem_tEENKUlT_SE_SF_SG_E_clIS8_S8_S9_S9_EESD_ST_SE_SF_SG_EUlST_E_NS1_11comp_targetILNS1_3genE4ELNS1_11target_archE910ELNS1_3gpuE8ELNS1_3repE0EEENS1_48merge_mergepath_partition_config_static_selectorELNS0_4arch9wavefront6targetE0EEEvSF_, .Lfunc_end2458-_ZN7rocprim17ROCPRIM_400000_NS6detail17trampoline_kernelINS0_14default_configENS1_38merge_sort_block_merge_config_selectorItNS0_10empty_typeEEEZZNS1_27merge_sort_block_merge_implIS3_PtPS5_jNS1_19radix_merge_compareILb0ELb1EtNS0_19identity_decomposerEEEEE10hipError_tT0_T1_T2_jT3_P12ihipStream_tbPNSt15iterator_traitsISE_E10value_typeEPNSK_ISF_E10value_typeEPSG_NS1_7vsmem_tEENKUlT_SE_SF_SG_E_clIS8_S8_S9_S9_EESD_ST_SE_SF_SG_EUlST_E_NS1_11comp_targetILNS1_3genE4ELNS1_11target_archE910ELNS1_3gpuE8ELNS1_3repE0EEENS1_48merge_mergepath_partition_config_static_selectorELNS0_4arch9wavefront6targetE0EEEvSF_
                                        ; -- End function
	.set _ZN7rocprim17ROCPRIM_400000_NS6detail17trampoline_kernelINS0_14default_configENS1_38merge_sort_block_merge_config_selectorItNS0_10empty_typeEEEZZNS1_27merge_sort_block_merge_implIS3_PtPS5_jNS1_19radix_merge_compareILb0ELb1EtNS0_19identity_decomposerEEEEE10hipError_tT0_T1_T2_jT3_P12ihipStream_tbPNSt15iterator_traitsISE_E10value_typeEPNSK_ISF_E10value_typeEPSG_NS1_7vsmem_tEENKUlT_SE_SF_SG_E_clIS8_S8_S9_S9_EESD_ST_SE_SF_SG_EUlST_E_NS1_11comp_targetILNS1_3genE4ELNS1_11target_archE910ELNS1_3gpuE8ELNS1_3repE0EEENS1_48merge_mergepath_partition_config_static_selectorELNS0_4arch9wavefront6targetE0EEEvSF_.num_vgpr, 0
	.set _ZN7rocprim17ROCPRIM_400000_NS6detail17trampoline_kernelINS0_14default_configENS1_38merge_sort_block_merge_config_selectorItNS0_10empty_typeEEEZZNS1_27merge_sort_block_merge_implIS3_PtPS5_jNS1_19radix_merge_compareILb0ELb1EtNS0_19identity_decomposerEEEEE10hipError_tT0_T1_T2_jT3_P12ihipStream_tbPNSt15iterator_traitsISE_E10value_typeEPNSK_ISF_E10value_typeEPSG_NS1_7vsmem_tEENKUlT_SE_SF_SG_E_clIS8_S8_S9_S9_EESD_ST_SE_SF_SG_EUlST_E_NS1_11comp_targetILNS1_3genE4ELNS1_11target_archE910ELNS1_3gpuE8ELNS1_3repE0EEENS1_48merge_mergepath_partition_config_static_selectorELNS0_4arch9wavefront6targetE0EEEvSF_.num_agpr, 0
	.set _ZN7rocprim17ROCPRIM_400000_NS6detail17trampoline_kernelINS0_14default_configENS1_38merge_sort_block_merge_config_selectorItNS0_10empty_typeEEEZZNS1_27merge_sort_block_merge_implIS3_PtPS5_jNS1_19radix_merge_compareILb0ELb1EtNS0_19identity_decomposerEEEEE10hipError_tT0_T1_T2_jT3_P12ihipStream_tbPNSt15iterator_traitsISE_E10value_typeEPNSK_ISF_E10value_typeEPSG_NS1_7vsmem_tEENKUlT_SE_SF_SG_E_clIS8_S8_S9_S9_EESD_ST_SE_SF_SG_EUlST_E_NS1_11comp_targetILNS1_3genE4ELNS1_11target_archE910ELNS1_3gpuE8ELNS1_3repE0EEENS1_48merge_mergepath_partition_config_static_selectorELNS0_4arch9wavefront6targetE0EEEvSF_.numbered_sgpr, 0
	.set _ZN7rocprim17ROCPRIM_400000_NS6detail17trampoline_kernelINS0_14default_configENS1_38merge_sort_block_merge_config_selectorItNS0_10empty_typeEEEZZNS1_27merge_sort_block_merge_implIS3_PtPS5_jNS1_19radix_merge_compareILb0ELb1EtNS0_19identity_decomposerEEEEE10hipError_tT0_T1_T2_jT3_P12ihipStream_tbPNSt15iterator_traitsISE_E10value_typeEPNSK_ISF_E10value_typeEPSG_NS1_7vsmem_tEENKUlT_SE_SF_SG_E_clIS8_S8_S9_S9_EESD_ST_SE_SF_SG_EUlST_E_NS1_11comp_targetILNS1_3genE4ELNS1_11target_archE910ELNS1_3gpuE8ELNS1_3repE0EEENS1_48merge_mergepath_partition_config_static_selectorELNS0_4arch9wavefront6targetE0EEEvSF_.num_named_barrier, 0
	.set _ZN7rocprim17ROCPRIM_400000_NS6detail17trampoline_kernelINS0_14default_configENS1_38merge_sort_block_merge_config_selectorItNS0_10empty_typeEEEZZNS1_27merge_sort_block_merge_implIS3_PtPS5_jNS1_19radix_merge_compareILb0ELb1EtNS0_19identity_decomposerEEEEE10hipError_tT0_T1_T2_jT3_P12ihipStream_tbPNSt15iterator_traitsISE_E10value_typeEPNSK_ISF_E10value_typeEPSG_NS1_7vsmem_tEENKUlT_SE_SF_SG_E_clIS8_S8_S9_S9_EESD_ST_SE_SF_SG_EUlST_E_NS1_11comp_targetILNS1_3genE4ELNS1_11target_archE910ELNS1_3gpuE8ELNS1_3repE0EEENS1_48merge_mergepath_partition_config_static_selectorELNS0_4arch9wavefront6targetE0EEEvSF_.private_seg_size, 0
	.set _ZN7rocprim17ROCPRIM_400000_NS6detail17trampoline_kernelINS0_14default_configENS1_38merge_sort_block_merge_config_selectorItNS0_10empty_typeEEEZZNS1_27merge_sort_block_merge_implIS3_PtPS5_jNS1_19radix_merge_compareILb0ELb1EtNS0_19identity_decomposerEEEEE10hipError_tT0_T1_T2_jT3_P12ihipStream_tbPNSt15iterator_traitsISE_E10value_typeEPNSK_ISF_E10value_typeEPSG_NS1_7vsmem_tEENKUlT_SE_SF_SG_E_clIS8_S8_S9_S9_EESD_ST_SE_SF_SG_EUlST_E_NS1_11comp_targetILNS1_3genE4ELNS1_11target_archE910ELNS1_3gpuE8ELNS1_3repE0EEENS1_48merge_mergepath_partition_config_static_selectorELNS0_4arch9wavefront6targetE0EEEvSF_.uses_vcc, 0
	.set _ZN7rocprim17ROCPRIM_400000_NS6detail17trampoline_kernelINS0_14default_configENS1_38merge_sort_block_merge_config_selectorItNS0_10empty_typeEEEZZNS1_27merge_sort_block_merge_implIS3_PtPS5_jNS1_19radix_merge_compareILb0ELb1EtNS0_19identity_decomposerEEEEE10hipError_tT0_T1_T2_jT3_P12ihipStream_tbPNSt15iterator_traitsISE_E10value_typeEPNSK_ISF_E10value_typeEPSG_NS1_7vsmem_tEENKUlT_SE_SF_SG_E_clIS8_S8_S9_S9_EESD_ST_SE_SF_SG_EUlST_E_NS1_11comp_targetILNS1_3genE4ELNS1_11target_archE910ELNS1_3gpuE8ELNS1_3repE0EEENS1_48merge_mergepath_partition_config_static_selectorELNS0_4arch9wavefront6targetE0EEEvSF_.uses_flat_scratch, 0
	.set _ZN7rocprim17ROCPRIM_400000_NS6detail17trampoline_kernelINS0_14default_configENS1_38merge_sort_block_merge_config_selectorItNS0_10empty_typeEEEZZNS1_27merge_sort_block_merge_implIS3_PtPS5_jNS1_19radix_merge_compareILb0ELb1EtNS0_19identity_decomposerEEEEE10hipError_tT0_T1_T2_jT3_P12ihipStream_tbPNSt15iterator_traitsISE_E10value_typeEPNSK_ISF_E10value_typeEPSG_NS1_7vsmem_tEENKUlT_SE_SF_SG_E_clIS8_S8_S9_S9_EESD_ST_SE_SF_SG_EUlST_E_NS1_11comp_targetILNS1_3genE4ELNS1_11target_archE910ELNS1_3gpuE8ELNS1_3repE0EEENS1_48merge_mergepath_partition_config_static_selectorELNS0_4arch9wavefront6targetE0EEEvSF_.has_dyn_sized_stack, 0
	.set _ZN7rocprim17ROCPRIM_400000_NS6detail17trampoline_kernelINS0_14default_configENS1_38merge_sort_block_merge_config_selectorItNS0_10empty_typeEEEZZNS1_27merge_sort_block_merge_implIS3_PtPS5_jNS1_19radix_merge_compareILb0ELb1EtNS0_19identity_decomposerEEEEE10hipError_tT0_T1_T2_jT3_P12ihipStream_tbPNSt15iterator_traitsISE_E10value_typeEPNSK_ISF_E10value_typeEPSG_NS1_7vsmem_tEENKUlT_SE_SF_SG_E_clIS8_S8_S9_S9_EESD_ST_SE_SF_SG_EUlST_E_NS1_11comp_targetILNS1_3genE4ELNS1_11target_archE910ELNS1_3gpuE8ELNS1_3repE0EEENS1_48merge_mergepath_partition_config_static_selectorELNS0_4arch9wavefront6targetE0EEEvSF_.has_recursion, 0
	.set _ZN7rocprim17ROCPRIM_400000_NS6detail17trampoline_kernelINS0_14default_configENS1_38merge_sort_block_merge_config_selectorItNS0_10empty_typeEEEZZNS1_27merge_sort_block_merge_implIS3_PtPS5_jNS1_19radix_merge_compareILb0ELb1EtNS0_19identity_decomposerEEEEE10hipError_tT0_T1_T2_jT3_P12ihipStream_tbPNSt15iterator_traitsISE_E10value_typeEPNSK_ISF_E10value_typeEPSG_NS1_7vsmem_tEENKUlT_SE_SF_SG_E_clIS8_S8_S9_S9_EESD_ST_SE_SF_SG_EUlST_E_NS1_11comp_targetILNS1_3genE4ELNS1_11target_archE910ELNS1_3gpuE8ELNS1_3repE0EEENS1_48merge_mergepath_partition_config_static_selectorELNS0_4arch9wavefront6targetE0EEEvSF_.has_indirect_call, 0
	.section	.AMDGPU.csdata,"",@progbits
; Kernel info:
; codeLenInByte = 0
; TotalNumSgprs: 0
; NumVgprs: 0
; ScratchSize: 0
; MemoryBound: 0
; FloatMode: 240
; IeeeMode: 1
; LDSByteSize: 0 bytes/workgroup (compile time only)
; SGPRBlocks: 0
; VGPRBlocks: 0
; NumSGPRsForWavesPerEU: 1
; NumVGPRsForWavesPerEU: 1
; NamedBarCnt: 0
; Occupancy: 16
; WaveLimiterHint : 0
; COMPUTE_PGM_RSRC2:SCRATCH_EN: 0
; COMPUTE_PGM_RSRC2:USER_SGPR: 2
; COMPUTE_PGM_RSRC2:TRAP_HANDLER: 0
; COMPUTE_PGM_RSRC2:TGID_X_EN: 1
; COMPUTE_PGM_RSRC2:TGID_Y_EN: 0
; COMPUTE_PGM_RSRC2:TGID_Z_EN: 0
; COMPUTE_PGM_RSRC2:TIDIG_COMP_CNT: 0
	.section	.text._ZN7rocprim17ROCPRIM_400000_NS6detail17trampoline_kernelINS0_14default_configENS1_38merge_sort_block_merge_config_selectorItNS0_10empty_typeEEEZZNS1_27merge_sort_block_merge_implIS3_PtPS5_jNS1_19radix_merge_compareILb0ELb1EtNS0_19identity_decomposerEEEEE10hipError_tT0_T1_T2_jT3_P12ihipStream_tbPNSt15iterator_traitsISE_E10value_typeEPNSK_ISF_E10value_typeEPSG_NS1_7vsmem_tEENKUlT_SE_SF_SG_E_clIS8_S8_S9_S9_EESD_ST_SE_SF_SG_EUlST_E_NS1_11comp_targetILNS1_3genE3ELNS1_11target_archE908ELNS1_3gpuE7ELNS1_3repE0EEENS1_48merge_mergepath_partition_config_static_selectorELNS0_4arch9wavefront6targetE0EEEvSF_,"axG",@progbits,_ZN7rocprim17ROCPRIM_400000_NS6detail17trampoline_kernelINS0_14default_configENS1_38merge_sort_block_merge_config_selectorItNS0_10empty_typeEEEZZNS1_27merge_sort_block_merge_implIS3_PtPS5_jNS1_19radix_merge_compareILb0ELb1EtNS0_19identity_decomposerEEEEE10hipError_tT0_T1_T2_jT3_P12ihipStream_tbPNSt15iterator_traitsISE_E10value_typeEPNSK_ISF_E10value_typeEPSG_NS1_7vsmem_tEENKUlT_SE_SF_SG_E_clIS8_S8_S9_S9_EESD_ST_SE_SF_SG_EUlST_E_NS1_11comp_targetILNS1_3genE3ELNS1_11target_archE908ELNS1_3gpuE7ELNS1_3repE0EEENS1_48merge_mergepath_partition_config_static_selectorELNS0_4arch9wavefront6targetE0EEEvSF_,comdat
	.protected	_ZN7rocprim17ROCPRIM_400000_NS6detail17trampoline_kernelINS0_14default_configENS1_38merge_sort_block_merge_config_selectorItNS0_10empty_typeEEEZZNS1_27merge_sort_block_merge_implIS3_PtPS5_jNS1_19radix_merge_compareILb0ELb1EtNS0_19identity_decomposerEEEEE10hipError_tT0_T1_T2_jT3_P12ihipStream_tbPNSt15iterator_traitsISE_E10value_typeEPNSK_ISF_E10value_typeEPSG_NS1_7vsmem_tEENKUlT_SE_SF_SG_E_clIS8_S8_S9_S9_EESD_ST_SE_SF_SG_EUlST_E_NS1_11comp_targetILNS1_3genE3ELNS1_11target_archE908ELNS1_3gpuE7ELNS1_3repE0EEENS1_48merge_mergepath_partition_config_static_selectorELNS0_4arch9wavefront6targetE0EEEvSF_ ; -- Begin function _ZN7rocprim17ROCPRIM_400000_NS6detail17trampoline_kernelINS0_14default_configENS1_38merge_sort_block_merge_config_selectorItNS0_10empty_typeEEEZZNS1_27merge_sort_block_merge_implIS3_PtPS5_jNS1_19radix_merge_compareILb0ELb1EtNS0_19identity_decomposerEEEEE10hipError_tT0_T1_T2_jT3_P12ihipStream_tbPNSt15iterator_traitsISE_E10value_typeEPNSK_ISF_E10value_typeEPSG_NS1_7vsmem_tEENKUlT_SE_SF_SG_E_clIS8_S8_S9_S9_EESD_ST_SE_SF_SG_EUlST_E_NS1_11comp_targetILNS1_3genE3ELNS1_11target_archE908ELNS1_3gpuE7ELNS1_3repE0EEENS1_48merge_mergepath_partition_config_static_selectorELNS0_4arch9wavefront6targetE0EEEvSF_
	.globl	_ZN7rocprim17ROCPRIM_400000_NS6detail17trampoline_kernelINS0_14default_configENS1_38merge_sort_block_merge_config_selectorItNS0_10empty_typeEEEZZNS1_27merge_sort_block_merge_implIS3_PtPS5_jNS1_19radix_merge_compareILb0ELb1EtNS0_19identity_decomposerEEEEE10hipError_tT0_T1_T2_jT3_P12ihipStream_tbPNSt15iterator_traitsISE_E10value_typeEPNSK_ISF_E10value_typeEPSG_NS1_7vsmem_tEENKUlT_SE_SF_SG_E_clIS8_S8_S9_S9_EESD_ST_SE_SF_SG_EUlST_E_NS1_11comp_targetILNS1_3genE3ELNS1_11target_archE908ELNS1_3gpuE7ELNS1_3repE0EEENS1_48merge_mergepath_partition_config_static_selectorELNS0_4arch9wavefront6targetE0EEEvSF_
	.p2align	8
	.type	_ZN7rocprim17ROCPRIM_400000_NS6detail17trampoline_kernelINS0_14default_configENS1_38merge_sort_block_merge_config_selectorItNS0_10empty_typeEEEZZNS1_27merge_sort_block_merge_implIS3_PtPS5_jNS1_19radix_merge_compareILb0ELb1EtNS0_19identity_decomposerEEEEE10hipError_tT0_T1_T2_jT3_P12ihipStream_tbPNSt15iterator_traitsISE_E10value_typeEPNSK_ISF_E10value_typeEPSG_NS1_7vsmem_tEENKUlT_SE_SF_SG_E_clIS8_S8_S9_S9_EESD_ST_SE_SF_SG_EUlST_E_NS1_11comp_targetILNS1_3genE3ELNS1_11target_archE908ELNS1_3gpuE7ELNS1_3repE0EEENS1_48merge_mergepath_partition_config_static_selectorELNS0_4arch9wavefront6targetE0EEEvSF_,@function
_ZN7rocprim17ROCPRIM_400000_NS6detail17trampoline_kernelINS0_14default_configENS1_38merge_sort_block_merge_config_selectorItNS0_10empty_typeEEEZZNS1_27merge_sort_block_merge_implIS3_PtPS5_jNS1_19radix_merge_compareILb0ELb1EtNS0_19identity_decomposerEEEEE10hipError_tT0_T1_T2_jT3_P12ihipStream_tbPNSt15iterator_traitsISE_E10value_typeEPNSK_ISF_E10value_typeEPSG_NS1_7vsmem_tEENKUlT_SE_SF_SG_E_clIS8_S8_S9_S9_EESD_ST_SE_SF_SG_EUlST_E_NS1_11comp_targetILNS1_3genE3ELNS1_11target_archE908ELNS1_3gpuE7ELNS1_3repE0EEENS1_48merge_mergepath_partition_config_static_selectorELNS0_4arch9wavefront6targetE0EEEvSF_: ; @_ZN7rocprim17ROCPRIM_400000_NS6detail17trampoline_kernelINS0_14default_configENS1_38merge_sort_block_merge_config_selectorItNS0_10empty_typeEEEZZNS1_27merge_sort_block_merge_implIS3_PtPS5_jNS1_19radix_merge_compareILb0ELb1EtNS0_19identity_decomposerEEEEE10hipError_tT0_T1_T2_jT3_P12ihipStream_tbPNSt15iterator_traitsISE_E10value_typeEPNSK_ISF_E10value_typeEPSG_NS1_7vsmem_tEENKUlT_SE_SF_SG_E_clIS8_S8_S9_S9_EESD_ST_SE_SF_SG_EUlST_E_NS1_11comp_targetILNS1_3genE3ELNS1_11target_archE908ELNS1_3gpuE7ELNS1_3repE0EEENS1_48merge_mergepath_partition_config_static_selectorELNS0_4arch9wavefront6targetE0EEEvSF_
; %bb.0:
	.section	.rodata,"a",@progbits
	.p2align	6, 0x0
	.amdhsa_kernel _ZN7rocprim17ROCPRIM_400000_NS6detail17trampoline_kernelINS0_14default_configENS1_38merge_sort_block_merge_config_selectorItNS0_10empty_typeEEEZZNS1_27merge_sort_block_merge_implIS3_PtPS5_jNS1_19radix_merge_compareILb0ELb1EtNS0_19identity_decomposerEEEEE10hipError_tT0_T1_T2_jT3_P12ihipStream_tbPNSt15iterator_traitsISE_E10value_typeEPNSK_ISF_E10value_typeEPSG_NS1_7vsmem_tEENKUlT_SE_SF_SG_E_clIS8_S8_S9_S9_EESD_ST_SE_SF_SG_EUlST_E_NS1_11comp_targetILNS1_3genE3ELNS1_11target_archE908ELNS1_3gpuE7ELNS1_3repE0EEENS1_48merge_mergepath_partition_config_static_selectorELNS0_4arch9wavefront6targetE0EEEvSF_
		.amdhsa_group_segment_fixed_size 0
		.amdhsa_private_segment_fixed_size 0
		.amdhsa_kernarg_size 40
		.amdhsa_user_sgpr_count 2
		.amdhsa_user_sgpr_dispatch_ptr 0
		.amdhsa_user_sgpr_queue_ptr 0
		.amdhsa_user_sgpr_kernarg_segment_ptr 1
		.amdhsa_user_sgpr_dispatch_id 0
		.amdhsa_user_sgpr_kernarg_preload_length 0
		.amdhsa_user_sgpr_kernarg_preload_offset 0
		.amdhsa_user_sgpr_private_segment_size 0
		.amdhsa_wavefront_size32 1
		.amdhsa_uses_dynamic_stack 0
		.amdhsa_enable_private_segment 0
		.amdhsa_system_sgpr_workgroup_id_x 1
		.amdhsa_system_sgpr_workgroup_id_y 0
		.amdhsa_system_sgpr_workgroup_id_z 0
		.amdhsa_system_sgpr_workgroup_info 0
		.amdhsa_system_vgpr_workitem_id 0
		.amdhsa_next_free_vgpr 1
		.amdhsa_next_free_sgpr 1
		.amdhsa_named_barrier_count 0
		.amdhsa_reserve_vcc 0
		.amdhsa_float_round_mode_32 0
		.amdhsa_float_round_mode_16_64 0
		.amdhsa_float_denorm_mode_32 3
		.amdhsa_float_denorm_mode_16_64 3
		.amdhsa_fp16_overflow 0
		.amdhsa_memory_ordered 1
		.amdhsa_forward_progress 1
		.amdhsa_inst_pref_size 0
		.amdhsa_round_robin_scheduling 0
		.amdhsa_exception_fp_ieee_invalid_op 0
		.amdhsa_exception_fp_denorm_src 0
		.amdhsa_exception_fp_ieee_div_zero 0
		.amdhsa_exception_fp_ieee_overflow 0
		.amdhsa_exception_fp_ieee_underflow 0
		.amdhsa_exception_fp_ieee_inexact 0
		.amdhsa_exception_int_div_zero 0
	.end_amdhsa_kernel
	.section	.text._ZN7rocprim17ROCPRIM_400000_NS6detail17trampoline_kernelINS0_14default_configENS1_38merge_sort_block_merge_config_selectorItNS0_10empty_typeEEEZZNS1_27merge_sort_block_merge_implIS3_PtPS5_jNS1_19radix_merge_compareILb0ELb1EtNS0_19identity_decomposerEEEEE10hipError_tT0_T1_T2_jT3_P12ihipStream_tbPNSt15iterator_traitsISE_E10value_typeEPNSK_ISF_E10value_typeEPSG_NS1_7vsmem_tEENKUlT_SE_SF_SG_E_clIS8_S8_S9_S9_EESD_ST_SE_SF_SG_EUlST_E_NS1_11comp_targetILNS1_3genE3ELNS1_11target_archE908ELNS1_3gpuE7ELNS1_3repE0EEENS1_48merge_mergepath_partition_config_static_selectorELNS0_4arch9wavefront6targetE0EEEvSF_,"axG",@progbits,_ZN7rocprim17ROCPRIM_400000_NS6detail17trampoline_kernelINS0_14default_configENS1_38merge_sort_block_merge_config_selectorItNS0_10empty_typeEEEZZNS1_27merge_sort_block_merge_implIS3_PtPS5_jNS1_19radix_merge_compareILb0ELb1EtNS0_19identity_decomposerEEEEE10hipError_tT0_T1_T2_jT3_P12ihipStream_tbPNSt15iterator_traitsISE_E10value_typeEPNSK_ISF_E10value_typeEPSG_NS1_7vsmem_tEENKUlT_SE_SF_SG_E_clIS8_S8_S9_S9_EESD_ST_SE_SF_SG_EUlST_E_NS1_11comp_targetILNS1_3genE3ELNS1_11target_archE908ELNS1_3gpuE7ELNS1_3repE0EEENS1_48merge_mergepath_partition_config_static_selectorELNS0_4arch9wavefront6targetE0EEEvSF_,comdat
.Lfunc_end2459:
	.size	_ZN7rocprim17ROCPRIM_400000_NS6detail17trampoline_kernelINS0_14default_configENS1_38merge_sort_block_merge_config_selectorItNS0_10empty_typeEEEZZNS1_27merge_sort_block_merge_implIS3_PtPS5_jNS1_19radix_merge_compareILb0ELb1EtNS0_19identity_decomposerEEEEE10hipError_tT0_T1_T2_jT3_P12ihipStream_tbPNSt15iterator_traitsISE_E10value_typeEPNSK_ISF_E10value_typeEPSG_NS1_7vsmem_tEENKUlT_SE_SF_SG_E_clIS8_S8_S9_S9_EESD_ST_SE_SF_SG_EUlST_E_NS1_11comp_targetILNS1_3genE3ELNS1_11target_archE908ELNS1_3gpuE7ELNS1_3repE0EEENS1_48merge_mergepath_partition_config_static_selectorELNS0_4arch9wavefront6targetE0EEEvSF_, .Lfunc_end2459-_ZN7rocprim17ROCPRIM_400000_NS6detail17trampoline_kernelINS0_14default_configENS1_38merge_sort_block_merge_config_selectorItNS0_10empty_typeEEEZZNS1_27merge_sort_block_merge_implIS3_PtPS5_jNS1_19radix_merge_compareILb0ELb1EtNS0_19identity_decomposerEEEEE10hipError_tT0_T1_T2_jT3_P12ihipStream_tbPNSt15iterator_traitsISE_E10value_typeEPNSK_ISF_E10value_typeEPSG_NS1_7vsmem_tEENKUlT_SE_SF_SG_E_clIS8_S8_S9_S9_EESD_ST_SE_SF_SG_EUlST_E_NS1_11comp_targetILNS1_3genE3ELNS1_11target_archE908ELNS1_3gpuE7ELNS1_3repE0EEENS1_48merge_mergepath_partition_config_static_selectorELNS0_4arch9wavefront6targetE0EEEvSF_
                                        ; -- End function
	.set _ZN7rocprim17ROCPRIM_400000_NS6detail17trampoline_kernelINS0_14default_configENS1_38merge_sort_block_merge_config_selectorItNS0_10empty_typeEEEZZNS1_27merge_sort_block_merge_implIS3_PtPS5_jNS1_19radix_merge_compareILb0ELb1EtNS0_19identity_decomposerEEEEE10hipError_tT0_T1_T2_jT3_P12ihipStream_tbPNSt15iterator_traitsISE_E10value_typeEPNSK_ISF_E10value_typeEPSG_NS1_7vsmem_tEENKUlT_SE_SF_SG_E_clIS8_S8_S9_S9_EESD_ST_SE_SF_SG_EUlST_E_NS1_11comp_targetILNS1_3genE3ELNS1_11target_archE908ELNS1_3gpuE7ELNS1_3repE0EEENS1_48merge_mergepath_partition_config_static_selectorELNS0_4arch9wavefront6targetE0EEEvSF_.num_vgpr, 0
	.set _ZN7rocprim17ROCPRIM_400000_NS6detail17trampoline_kernelINS0_14default_configENS1_38merge_sort_block_merge_config_selectorItNS0_10empty_typeEEEZZNS1_27merge_sort_block_merge_implIS3_PtPS5_jNS1_19radix_merge_compareILb0ELb1EtNS0_19identity_decomposerEEEEE10hipError_tT0_T1_T2_jT3_P12ihipStream_tbPNSt15iterator_traitsISE_E10value_typeEPNSK_ISF_E10value_typeEPSG_NS1_7vsmem_tEENKUlT_SE_SF_SG_E_clIS8_S8_S9_S9_EESD_ST_SE_SF_SG_EUlST_E_NS1_11comp_targetILNS1_3genE3ELNS1_11target_archE908ELNS1_3gpuE7ELNS1_3repE0EEENS1_48merge_mergepath_partition_config_static_selectorELNS0_4arch9wavefront6targetE0EEEvSF_.num_agpr, 0
	.set _ZN7rocprim17ROCPRIM_400000_NS6detail17trampoline_kernelINS0_14default_configENS1_38merge_sort_block_merge_config_selectorItNS0_10empty_typeEEEZZNS1_27merge_sort_block_merge_implIS3_PtPS5_jNS1_19radix_merge_compareILb0ELb1EtNS0_19identity_decomposerEEEEE10hipError_tT0_T1_T2_jT3_P12ihipStream_tbPNSt15iterator_traitsISE_E10value_typeEPNSK_ISF_E10value_typeEPSG_NS1_7vsmem_tEENKUlT_SE_SF_SG_E_clIS8_S8_S9_S9_EESD_ST_SE_SF_SG_EUlST_E_NS1_11comp_targetILNS1_3genE3ELNS1_11target_archE908ELNS1_3gpuE7ELNS1_3repE0EEENS1_48merge_mergepath_partition_config_static_selectorELNS0_4arch9wavefront6targetE0EEEvSF_.numbered_sgpr, 0
	.set _ZN7rocprim17ROCPRIM_400000_NS6detail17trampoline_kernelINS0_14default_configENS1_38merge_sort_block_merge_config_selectorItNS0_10empty_typeEEEZZNS1_27merge_sort_block_merge_implIS3_PtPS5_jNS1_19radix_merge_compareILb0ELb1EtNS0_19identity_decomposerEEEEE10hipError_tT0_T1_T2_jT3_P12ihipStream_tbPNSt15iterator_traitsISE_E10value_typeEPNSK_ISF_E10value_typeEPSG_NS1_7vsmem_tEENKUlT_SE_SF_SG_E_clIS8_S8_S9_S9_EESD_ST_SE_SF_SG_EUlST_E_NS1_11comp_targetILNS1_3genE3ELNS1_11target_archE908ELNS1_3gpuE7ELNS1_3repE0EEENS1_48merge_mergepath_partition_config_static_selectorELNS0_4arch9wavefront6targetE0EEEvSF_.num_named_barrier, 0
	.set _ZN7rocprim17ROCPRIM_400000_NS6detail17trampoline_kernelINS0_14default_configENS1_38merge_sort_block_merge_config_selectorItNS0_10empty_typeEEEZZNS1_27merge_sort_block_merge_implIS3_PtPS5_jNS1_19radix_merge_compareILb0ELb1EtNS0_19identity_decomposerEEEEE10hipError_tT0_T1_T2_jT3_P12ihipStream_tbPNSt15iterator_traitsISE_E10value_typeEPNSK_ISF_E10value_typeEPSG_NS1_7vsmem_tEENKUlT_SE_SF_SG_E_clIS8_S8_S9_S9_EESD_ST_SE_SF_SG_EUlST_E_NS1_11comp_targetILNS1_3genE3ELNS1_11target_archE908ELNS1_3gpuE7ELNS1_3repE0EEENS1_48merge_mergepath_partition_config_static_selectorELNS0_4arch9wavefront6targetE0EEEvSF_.private_seg_size, 0
	.set _ZN7rocprim17ROCPRIM_400000_NS6detail17trampoline_kernelINS0_14default_configENS1_38merge_sort_block_merge_config_selectorItNS0_10empty_typeEEEZZNS1_27merge_sort_block_merge_implIS3_PtPS5_jNS1_19radix_merge_compareILb0ELb1EtNS0_19identity_decomposerEEEEE10hipError_tT0_T1_T2_jT3_P12ihipStream_tbPNSt15iterator_traitsISE_E10value_typeEPNSK_ISF_E10value_typeEPSG_NS1_7vsmem_tEENKUlT_SE_SF_SG_E_clIS8_S8_S9_S9_EESD_ST_SE_SF_SG_EUlST_E_NS1_11comp_targetILNS1_3genE3ELNS1_11target_archE908ELNS1_3gpuE7ELNS1_3repE0EEENS1_48merge_mergepath_partition_config_static_selectorELNS0_4arch9wavefront6targetE0EEEvSF_.uses_vcc, 0
	.set _ZN7rocprim17ROCPRIM_400000_NS6detail17trampoline_kernelINS0_14default_configENS1_38merge_sort_block_merge_config_selectorItNS0_10empty_typeEEEZZNS1_27merge_sort_block_merge_implIS3_PtPS5_jNS1_19radix_merge_compareILb0ELb1EtNS0_19identity_decomposerEEEEE10hipError_tT0_T1_T2_jT3_P12ihipStream_tbPNSt15iterator_traitsISE_E10value_typeEPNSK_ISF_E10value_typeEPSG_NS1_7vsmem_tEENKUlT_SE_SF_SG_E_clIS8_S8_S9_S9_EESD_ST_SE_SF_SG_EUlST_E_NS1_11comp_targetILNS1_3genE3ELNS1_11target_archE908ELNS1_3gpuE7ELNS1_3repE0EEENS1_48merge_mergepath_partition_config_static_selectorELNS0_4arch9wavefront6targetE0EEEvSF_.uses_flat_scratch, 0
	.set _ZN7rocprim17ROCPRIM_400000_NS6detail17trampoline_kernelINS0_14default_configENS1_38merge_sort_block_merge_config_selectorItNS0_10empty_typeEEEZZNS1_27merge_sort_block_merge_implIS3_PtPS5_jNS1_19radix_merge_compareILb0ELb1EtNS0_19identity_decomposerEEEEE10hipError_tT0_T1_T2_jT3_P12ihipStream_tbPNSt15iterator_traitsISE_E10value_typeEPNSK_ISF_E10value_typeEPSG_NS1_7vsmem_tEENKUlT_SE_SF_SG_E_clIS8_S8_S9_S9_EESD_ST_SE_SF_SG_EUlST_E_NS1_11comp_targetILNS1_3genE3ELNS1_11target_archE908ELNS1_3gpuE7ELNS1_3repE0EEENS1_48merge_mergepath_partition_config_static_selectorELNS0_4arch9wavefront6targetE0EEEvSF_.has_dyn_sized_stack, 0
	.set _ZN7rocprim17ROCPRIM_400000_NS6detail17trampoline_kernelINS0_14default_configENS1_38merge_sort_block_merge_config_selectorItNS0_10empty_typeEEEZZNS1_27merge_sort_block_merge_implIS3_PtPS5_jNS1_19radix_merge_compareILb0ELb1EtNS0_19identity_decomposerEEEEE10hipError_tT0_T1_T2_jT3_P12ihipStream_tbPNSt15iterator_traitsISE_E10value_typeEPNSK_ISF_E10value_typeEPSG_NS1_7vsmem_tEENKUlT_SE_SF_SG_E_clIS8_S8_S9_S9_EESD_ST_SE_SF_SG_EUlST_E_NS1_11comp_targetILNS1_3genE3ELNS1_11target_archE908ELNS1_3gpuE7ELNS1_3repE0EEENS1_48merge_mergepath_partition_config_static_selectorELNS0_4arch9wavefront6targetE0EEEvSF_.has_recursion, 0
	.set _ZN7rocprim17ROCPRIM_400000_NS6detail17trampoline_kernelINS0_14default_configENS1_38merge_sort_block_merge_config_selectorItNS0_10empty_typeEEEZZNS1_27merge_sort_block_merge_implIS3_PtPS5_jNS1_19radix_merge_compareILb0ELb1EtNS0_19identity_decomposerEEEEE10hipError_tT0_T1_T2_jT3_P12ihipStream_tbPNSt15iterator_traitsISE_E10value_typeEPNSK_ISF_E10value_typeEPSG_NS1_7vsmem_tEENKUlT_SE_SF_SG_E_clIS8_S8_S9_S9_EESD_ST_SE_SF_SG_EUlST_E_NS1_11comp_targetILNS1_3genE3ELNS1_11target_archE908ELNS1_3gpuE7ELNS1_3repE0EEENS1_48merge_mergepath_partition_config_static_selectorELNS0_4arch9wavefront6targetE0EEEvSF_.has_indirect_call, 0
	.section	.AMDGPU.csdata,"",@progbits
; Kernel info:
; codeLenInByte = 0
; TotalNumSgprs: 0
; NumVgprs: 0
; ScratchSize: 0
; MemoryBound: 0
; FloatMode: 240
; IeeeMode: 1
; LDSByteSize: 0 bytes/workgroup (compile time only)
; SGPRBlocks: 0
; VGPRBlocks: 0
; NumSGPRsForWavesPerEU: 1
; NumVGPRsForWavesPerEU: 1
; NamedBarCnt: 0
; Occupancy: 16
; WaveLimiterHint : 0
; COMPUTE_PGM_RSRC2:SCRATCH_EN: 0
; COMPUTE_PGM_RSRC2:USER_SGPR: 2
; COMPUTE_PGM_RSRC2:TRAP_HANDLER: 0
; COMPUTE_PGM_RSRC2:TGID_X_EN: 1
; COMPUTE_PGM_RSRC2:TGID_Y_EN: 0
; COMPUTE_PGM_RSRC2:TGID_Z_EN: 0
; COMPUTE_PGM_RSRC2:TIDIG_COMP_CNT: 0
	.section	.text._ZN7rocprim17ROCPRIM_400000_NS6detail17trampoline_kernelINS0_14default_configENS1_38merge_sort_block_merge_config_selectorItNS0_10empty_typeEEEZZNS1_27merge_sort_block_merge_implIS3_PtPS5_jNS1_19radix_merge_compareILb0ELb1EtNS0_19identity_decomposerEEEEE10hipError_tT0_T1_T2_jT3_P12ihipStream_tbPNSt15iterator_traitsISE_E10value_typeEPNSK_ISF_E10value_typeEPSG_NS1_7vsmem_tEENKUlT_SE_SF_SG_E_clIS8_S8_S9_S9_EESD_ST_SE_SF_SG_EUlST_E_NS1_11comp_targetILNS1_3genE2ELNS1_11target_archE906ELNS1_3gpuE6ELNS1_3repE0EEENS1_48merge_mergepath_partition_config_static_selectorELNS0_4arch9wavefront6targetE0EEEvSF_,"axG",@progbits,_ZN7rocprim17ROCPRIM_400000_NS6detail17trampoline_kernelINS0_14default_configENS1_38merge_sort_block_merge_config_selectorItNS0_10empty_typeEEEZZNS1_27merge_sort_block_merge_implIS3_PtPS5_jNS1_19radix_merge_compareILb0ELb1EtNS0_19identity_decomposerEEEEE10hipError_tT0_T1_T2_jT3_P12ihipStream_tbPNSt15iterator_traitsISE_E10value_typeEPNSK_ISF_E10value_typeEPSG_NS1_7vsmem_tEENKUlT_SE_SF_SG_E_clIS8_S8_S9_S9_EESD_ST_SE_SF_SG_EUlST_E_NS1_11comp_targetILNS1_3genE2ELNS1_11target_archE906ELNS1_3gpuE6ELNS1_3repE0EEENS1_48merge_mergepath_partition_config_static_selectorELNS0_4arch9wavefront6targetE0EEEvSF_,comdat
	.protected	_ZN7rocprim17ROCPRIM_400000_NS6detail17trampoline_kernelINS0_14default_configENS1_38merge_sort_block_merge_config_selectorItNS0_10empty_typeEEEZZNS1_27merge_sort_block_merge_implIS3_PtPS5_jNS1_19radix_merge_compareILb0ELb1EtNS0_19identity_decomposerEEEEE10hipError_tT0_T1_T2_jT3_P12ihipStream_tbPNSt15iterator_traitsISE_E10value_typeEPNSK_ISF_E10value_typeEPSG_NS1_7vsmem_tEENKUlT_SE_SF_SG_E_clIS8_S8_S9_S9_EESD_ST_SE_SF_SG_EUlST_E_NS1_11comp_targetILNS1_3genE2ELNS1_11target_archE906ELNS1_3gpuE6ELNS1_3repE0EEENS1_48merge_mergepath_partition_config_static_selectorELNS0_4arch9wavefront6targetE0EEEvSF_ ; -- Begin function _ZN7rocprim17ROCPRIM_400000_NS6detail17trampoline_kernelINS0_14default_configENS1_38merge_sort_block_merge_config_selectorItNS0_10empty_typeEEEZZNS1_27merge_sort_block_merge_implIS3_PtPS5_jNS1_19radix_merge_compareILb0ELb1EtNS0_19identity_decomposerEEEEE10hipError_tT0_T1_T2_jT3_P12ihipStream_tbPNSt15iterator_traitsISE_E10value_typeEPNSK_ISF_E10value_typeEPSG_NS1_7vsmem_tEENKUlT_SE_SF_SG_E_clIS8_S8_S9_S9_EESD_ST_SE_SF_SG_EUlST_E_NS1_11comp_targetILNS1_3genE2ELNS1_11target_archE906ELNS1_3gpuE6ELNS1_3repE0EEENS1_48merge_mergepath_partition_config_static_selectorELNS0_4arch9wavefront6targetE0EEEvSF_
	.globl	_ZN7rocprim17ROCPRIM_400000_NS6detail17trampoline_kernelINS0_14default_configENS1_38merge_sort_block_merge_config_selectorItNS0_10empty_typeEEEZZNS1_27merge_sort_block_merge_implIS3_PtPS5_jNS1_19radix_merge_compareILb0ELb1EtNS0_19identity_decomposerEEEEE10hipError_tT0_T1_T2_jT3_P12ihipStream_tbPNSt15iterator_traitsISE_E10value_typeEPNSK_ISF_E10value_typeEPSG_NS1_7vsmem_tEENKUlT_SE_SF_SG_E_clIS8_S8_S9_S9_EESD_ST_SE_SF_SG_EUlST_E_NS1_11comp_targetILNS1_3genE2ELNS1_11target_archE906ELNS1_3gpuE6ELNS1_3repE0EEENS1_48merge_mergepath_partition_config_static_selectorELNS0_4arch9wavefront6targetE0EEEvSF_
	.p2align	8
	.type	_ZN7rocprim17ROCPRIM_400000_NS6detail17trampoline_kernelINS0_14default_configENS1_38merge_sort_block_merge_config_selectorItNS0_10empty_typeEEEZZNS1_27merge_sort_block_merge_implIS3_PtPS5_jNS1_19radix_merge_compareILb0ELb1EtNS0_19identity_decomposerEEEEE10hipError_tT0_T1_T2_jT3_P12ihipStream_tbPNSt15iterator_traitsISE_E10value_typeEPNSK_ISF_E10value_typeEPSG_NS1_7vsmem_tEENKUlT_SE_SF_SG_E_clIS8_S8_S9_S9_EESD_ST_SE_SF_SG_EUlST_E_NS1_11comp_targetILNS1_3genE2ELNS1_11target_archE906ELNS1_3gpuE6ELNS1_3repE0EEENS1_48merge_mergepath_partition_config_static_selectorELNS0_4arch9wavefront6targetE0EEEvSF_,@function
_ZN7rocprim17ROCPRIM_400000_NS6detail17trampoline_kernelINS0_14default_configENS1_38merge_sort_block_merge_config_selectorItNS0_10empty_typeEEEZZNS1_27merge_sort_block_merge_implIS3_PtPS5_jNS1_19radix_merge_compareILb0ELb1EtNS0_19identity_decomposerEEEEE10hipError_tT0_T1_T2_jT3_P12ihipStream_tbPNSt15iterator_traitsISE_E10value_typeEPNSK_ISF_E10value_typeEPSG_NS1_7vsmem_tEENKUlT_SE_SF_SG_E_clIS8_S8_S9_S9_EESD_ST_SE_SF_SG_EUlST_E_NS1_11comp_targetILNS1_3genE2ELNS1_11target_archE906ELNS1_3gpuE6ELNS1_3repE0EEENS1_48merge_mergepath_partition_config_static_selectorELNS0_4arch9wavefront6targetE0EEEvSF_: ; @_ZN7rocprim17ROCPRIM_400000_NS6detail17trampoline_kernelINS0_14default_configENS1_38merge_sort_block_merge_config_selectorItNS0_10empty_typeEEEZZNS1_27merge_sort_block_merge_implIS3_PtPS5_jNS1_19radix_merge_compareILb0ELb1EtNS0_19identity_decomposerEEEEE10hipError_tT0_T1_T2_jT3_P12ihipStream_tbPNSt15iterator_traitsISE_E10value_typeEPNSK_ISF_E10value_typeEPSG_NS1_7vsmem_tEENKUlT_SE_SF_SG_E_clIS8_S8_S9_S9_EESD_ST_SE_SF_SG_EUlST_E_NS1_11comp_targetILNS1_3genE2ELNS1_11target_archE906ELNS1_3gpuE6ELNS1_3repE0EEENS1_48merge_mergepath_partition_config_static_selectorELNS0_4arch9wavefront6targetE0EEEvSF_
; %bb.0:
	.section	.rodata,"a",@progbits
	.p2align	6, 0x0
	.amdhsa_kernel _ZN7rocprim17ROCPRIM_400000_NS6detail17trampoline_kernelINS0_14default_configENS1_38merge_sort_block_merge_config_selectorItNS0_10empty_typeEEEZZNS1_27merge_sort_block_merge_implIS3_PtPS5_jNS1_19radix_merge_compareILb0ELb1EtNS0_19identity_decomposerEEEEE10hipError_tT0_T1_T2_jT3_P12ihipStream_tbPNSt15iterator_traitsISE_E10value_typeEPNSK_ISF_E10value_typeEPSG_NS1_7vsmem_tEENKUlT_SE_SF_SG_E_clIS8_S8_S9_S9_EESD_ST_SE_SF_SG_EUlST_E_NS1_11comp_targetILNS1_3genE2ELNS1_11target_archE906ELNS1_3gpuE6ELNS1_3repE0EEENS1_48merge_mergepath_partition_config_static_selectorELNS0_4arch9wavefront6targetE0EEEvSF_
		.amdhsa_group_segment_fixed_size 0
		.amdhsa_private_segment_fixed_size 0
		.amdhsa_kernarg_size 40
		.amdhsa_user_sgpr_count 2
		.amdhsa_user_sgpr_dispatch_ptr 0
		.amdhsa_user_sgpr_queue_ptr 0
		.amdhsa_user_sgpr_kernarg_segment_ptr 1
		.amdhsa_user_sgpr_dispatch_id 0
		.amdhsa_user_sgpr_kernarg_preload_length 0
		.amdhsa_user_sgpr_kernarg_preload_offset 0
		.amdhsa_user_sgpr_private_segment_size 0
		.amdhsa_wavefront_size32 1
		.amdhsa_uses_dynamic_stack 0
		.amdhsa_enable_private_segment 0
		.amdhsa_system_sgpr_workgroup_id_x 1
		.amdhsa_system_sgpr_workgroup_id_y 0
		.amdhsa_system_sgpr_workgroup_id_z 0
		.amdhsa_system_sgpr_workgroup_info 0
		.amdhsa_system_vgpr_workitem_id 0
		.amdhsa_next_free_vgpr 1
		.amdhsa_next_free_sgpr 1
		.amdhsa_named_barrier_count 0
		.amdhsa_reserve_vcc 0
		.amdhsa_float_round_mode_32 0
		.amdhsa_float_round_mode_16_64 0
		.amdhsa_float_denorm_mode_32 3
		.amdhsa_float_denorm_mode_16_64 3
		.amdhsa_fp16_overflow 0
		.amdhsa_memory_ordered 1
		.amdhsa_forward_progress 1
		.amdhsa_inst_pref_size 0
		.amdhsa_round_robin_scheduling 0
		.amdhsa_exception_fp_ieee_invalid_op 0
		.amdhsa_exception_fp_denorm_src 0
		.amdhsa_exception_fp_ieee_div_zero 0
		.amdhsa_exception_fp_ieee_overflow 0
		.amdhsa_exception_fp_ieee_underflow 0
		.amdhsa_exception_fp_ieee_inexact 0
		.amdhsa_exception_int_div_zero 0
	.end_amdhsa_kernel
	.section	.text._ZN7rocprim17ROCPRIM_400000_NS6detail17trampoline_kernelINS0_14default_configENS1_38merge_sort_block_merge_config_selectorItNS0_10empty_typeEEEZZNS1_27merge_sort_block_merge_implIS3_PtPS5_jNS1_19radix_merge_compareILb0ELb1EtNS0_19identity_decomposerEEEEE10hipError_tT0_T1_T2_jT3_P12ihipStream_tbPNSt15iterator_traitsISE_E10value_typeEPNSK_ISF_E10value_typeEPSG_NS1_7vsmem_tEENKUlT_SE_SF_SG_E_clIS8_S8_S9_S9_EESD_ST_SE_SF_SG_EUlST_E_NS1_11comp_targetILNS1_3genE2ELNS1_11target_archE906ELNS1_3gpuE6ELNS1_3repE0EEENS1_48merge_mergepath_partition_config_static_selectorELNS0_4arch9wavefront6targetE0EEEvSF_,"axG",@progbits,_ZN7rocprim17ROCPRIM_400000_NS6detail17trampoline_kernelINS0_14default_configENS1_38merge_sort_block_merge_config_selectorItNS0_10empty_typeEEEZZNS1_27merge_sort_block_merge_implIS3_PtPS5_jNS1_19radix_merge_compareILb0ELb1EtNS0_19identity_decomposerEEEEE10hipError_tT0_T1_T2_jT3_P12ihipStream_tbPNSt15iterator_traitsISE_E10value_typeEPNSK_ISF_E10value_typeEPSG_NS1_7vsmem_tEENKUlT_SE_SF_SG_E_clIS8_S8_S9_S9_EESD_ST_SE_SF_SG_EUlST_E_NS1_11comp_targetILNS1_3genE2ELNS1_11target_archE906ELNS1_3gpuE6ELNS1_3repE0EEENS1_48merge_mergepath_partition_config_static_selectorELNS0_4arch9wavefront6targetE0EEEvSF_,comdat
.Lfunc_end2460:
	.size	_ZN7rocprim17ROCPRIM_400000_NS6detail17trampoline_kernelINS0_14default_configENS1_38merge_sort_block_merge_config_selectorItNS0_10empty_typeEEEZZNS1_27merge_sort_block_merge_implIS3_PtPS5_jNS1_19radix_merge_compareILb0ELb1EtNS0_19identity_decomposerEEEEE10hipError_tT0_T1_T2_jT3_P12ihipStream_tbPNSt15iterator_traitsISE_E10value_typeEPNSK_ISF_E10value_typeEPSG_NS1_7vsmem_tEENKUlT_SE_SF_SG_E_clIS8_S8_S9_S9_EESD_ST_SE_SF_SG_EUlST_E_NS1_11comp_targetILNS1_3genE2ELNS1_11target_archE906ELNS1_3gpuE6ELNS1_3repE0EEENS1_48merge_mergepath_partition_config_static_selectorELNS0_4arch9wavefront6targetE0EEEvSF_, .Lfunc_end2460-_ZN7rocprim17ROCPRIM_400000_NS6detail17trampoline_kernelINS0_14default_configENS1_38merge_sort_block_merge_config_selectorItNS0_10empty_typeEEEZZNS1_27merge_sort_block_merge_implIS3_PtPS5_jNS1_19radix_merge_compareILb0ELb1EtNS0_19identity_decomposerEEEEE10hipError_tT0_T1_T2_jT3_P12ihipStream_tbPNSt15iterator_traitsISE_E10value_typeEPNSK_ISF_E10value_typeEPSG_NS1_7vsmem_tEENKUlT_SE_SF_SG_E_clIS8_S8_S9_S9_EESD_ST_SE_SF_SG_EUlST_E_NS1_11comp_targetILNS1_3genE2ELNS1_11target_archE906ELNS1_3gpuE6ELNS1_3repE0EEENS1_48merge_mergepath_partition_config_static_selectorELNS0_4arch9wavefront6targetE0EEEvSF_
                                        ; -- End function
	.set _ZN7rocprim17ROCPRIM_400000_NS6detail17trampoline_kernelINS0_14default_configENS1_38merge_sort_block_merge_config_selectorItNS0_10empty_typeEEEZZNS1_27merge_sort_block_merge_implIS3_PtPS5_jNS1_19radix_merge_compareILb0ELb1EtNS0_19identity_decomposerEEEEE10hipError_tT0_T1_T2_jT3_P12ihipStream_tbPNSt15iterator_traitsISE_E10value_typeEPNSK_ISF_E10value_typeEPSG_NS1_7vsmem_tEENKUlT_SE_SF_SG_E_clIS8_S8_S9_S9_EESD_ST_SE_SF_SG_EUlST_E_NS1_11comp_targetILNS1_3genE2ELNS1_11target_archE906ELNS1_3gpuE6ELNS1_3repE0EEENS1_48merge_mergepath_partition_config_static_selectorELNS0_4arch9wavefront6targetE0EEEvSF_.num_vgpr, 0
	.set _ZN7rocprim17ROCPRIM_400000_NS6detail17trampoline_kernelINS0_14default_configENS1_38merge_sort_block_merge_config_selectorItNS0_10empty_typeEEEZZNS1_27merge_sort_block_merge_implIS3_PtPS5_jNS1_19radix_merge_compareILb0ELb1EtNS0_19identity_decomposerEEEEE10hipError_tT0_T1_T2_jT3_P12ihipStream_tbPNSt15iterator_traitsISE_E10value_typeEPNSK_ISF_E10value_typeEPSG_NS1_7vsmem_tEENKUlT_SE_SF_SG_E_clIS8_S8_S9_S9_EESD_ST_SE_SF_SG_EUlST_E_NS1_11comp_targetILNS1_3genE2ELNS1_11target_archE906ELNS1_3gpuE6ELNS1_3repE0EEENS1_48merge_mergepath_partition_config_static_selectorELNS0_4arch9wavefront6targetE0EEEvSF_.num_agpr, 0
	.set _ZN7rocprim17ROCPRIM_400000_NS6detail17trampoline_kernelINS0_14default_configENS1_38merge_sort_block_merge_config_selectorItNS0_10empty_typeEEEZZNS1_27merge_sort_block_merge_implIS3_PtPS5_jNS1_19radix_merge_compareILb0ELb1EtNS0_19identity_decomposerEEEEE10hipError_tT0_T1_T2_jT3_P12ihipStream_tbPNSt15iterator_traitsISE_E10value_typeEPNSK_ISF_E10value_typeEPSG_NS1_7vsmem_tEENKUlT_SE_SF_SG_E_clIS8_S8_S9_S9_EESD_ST_SE_SF_SG_EUlST_E_NS1_11comp_targetILNS1_3genE2ELNS1_11target_archE906ELNS1_3gpuE6ELNS1_3repE0EEENS1_48merge_mergepath_partition_config_static_selectorELNS0_4arch9wavefront6targetE0EEEvSF_.numbered_sgpr, 0
	.set _ZN7rocprim17ROCPRIM_400000_NS6detail17trampoline_kernelINS0_14default_configENS1_38merge_sort_block_merge_config_selectorItNS0_10empty_typeEEEZZNS1_27merge_sort_block_merge_implIS3_PtPS5_jNS1_19radix_merge_compareILb0ELb1EtNS0_19identity_decomposerEEEEE10hipError_tT0_T1_T2_jT3_P12ihipStream_tbPNSt15iterator_traitsISE_E10value_typeEPNSK_ISF_E10value_typeEPSG_NS1_7vsmem_tEENKUlT_SE_SF_SG_E_clIS8_S8_S9_S9_EESD_ST_SE_SF_SG_EUlST_E_NS1_11comp_targetILNS1_3genE2ELNS1_11target_archE906ELNS1_3gpuE6ELNS1_3repE0EEENS1_48merge_mergepath_partition_config_static_selectorELNS0_4arch9wavefront6targetE0EEEvSF_.num_named_barrier, 0
	.set _ZN7rocprim17ROCPRIM_400000_NS6detail17trampoline_kernelINS0_14default_configENS1_38merge_sort_block_merge_config_selectorItNS0_10empty_typeEEEZZNS1_27merge_sort_block_merge_implIS3_PtPS5_jNS1_19radix_merge_compareILb0ELb1EtNS0_19identity_decomposerEEEEE10hipError_tT0_T1_T2_jT3_P12ihipStream_tbPNSt15iterator_traitsISE_E10value_typeEPNSK_ISF_E10value_typeEPSG_NS1_7vsmem_tEENKUlT_SE_SF_SG_E_clIS8_S8_S9_S9_EESD_ST_SE_SF_SG_EUlST_E_NS1_11comp_targetILNS1_3genE2ELNS1_11target_archE906ELNS1_3gpuE6ELNS1_3repE0EEENS1_48merge_mergepath_partition_config_static_selectorELNS0_4arch9wavefront6targetE0EEEvSF_.private_seg_size, 0
	.set _ZN7rocprim17ROCPRIM_400000_NS6detail17trampoline_kernelINS0_14default_configENS1_38merge_sort_block_merge_config_selectorItNS0_10empty_typeEEEZZNS1_27merge_sort_block_merge_implIS3_PtPS5_jNS1_19radix_merge_compareILb0ELb1EtNS0_19identity_decomposerEEEEE10hipError_tT0_T1_T2_jT3_P12ihipStream_tbPNSt15iterator_traitsISE_E10value_typeEPNSK_ISF_E10value_typeEPSG_NS1_7vsmem_tEENKUlT_SE_SF_SG_E_clIS8_S8_S9_S9_EESD_ST_SE_SF_SG_EUlST_E_NS1_11comp_targetILNS1_3genE2ELNS1_11target_archE906ELNS1_3gpuE6ELNS1_3repE0EEENS1_48merge_mergepath_partition_config_static_selectorELNS0_4arch9wavefront6targetE0EEEvSF_.uses_vcc, 0
	.set _ZN7rocprim17ROCPRIM_400000_NS6detail17trampoline_kernelINS0_14default_configENS1_38merge_sort_block_merge_config_selectorItNS0_10empty_typeEEEZZNS1_27merge_sort_block_merge_implIS3_PtPS5_jNS1_19radix_merge_compareILb0ELb1EtNS0_19identity_decomposerEEEEE10hipError_tT0_T1_T2_jT3_P12ihipStream_tbPNSt15iterator_traitsISE_E10value_typeEPNSK_ISF_E10value_typeEPSG_NS1_7vsmem_tEENKUlT_SE_SF_SG_E_clIS8_S8_S9_S9_EESD_ST_SE_SF_SG_EUlST_E_NS1_11comp_targetILNS1_3genE2ELNS1_11target_archE906ELNS1_3gpuE6ELNS1_3repE0EEENS1_48merge_mergepath_partition_config_static_selectorELNS0_4arch9wavefront6targetE0EEEvSF_.uses_flat_scratch, 0
	.set _ZN7rocprim17ROCPRIM_400000_NS6detail17trampoline_kernelINS0_14default_configENS1_38merge_sort_block_merge_config_selectorItNS0_10empty_typeEEEZZNS1_27merge_sort_block_merge_implIS3_PtPS5_jNS1_19radix_merge_compareILb0ELb1EtNS0_19identity_decomposerEEEEE10hipError_tT0_T1_T2_jT3_P12ihipStream_tbPNSt15iterator_traitsISE_E10value_typeEPNSK_ISF_E10value_typeEPSG_NS1_7vsmem_tEENKUlT_SE_SF_SG_E_clIS8_S8_S9_S9_EESD_ST_SE_SF_SG_EUlST_E_NS1_11comp_targetILNS1_3genE2ELNS1_11target_archE906ELNS1_3gpuE6ELNS1_3repE0EEENS1_48merge_mergepath_partition_config_static_selectorELNS0_4arch9wavefront6targetE0EEEvSF_.has_dyn_sized_stack, 0
	.set _ZN7rocprim17ROCPRIM_400000_NS6detail17trampoline_kernelINS0_14default_configENS1_38merge_sort_block_merge_config_selectorItNS0_10empty_typeEEEZZNS1_27merge_sort_block_merge_implIS3_PtPS5_jNS1_19radix_merge_compareILb0ELb1EtNS0_19identity_decomposerEEEEE10hipError_tT0_T1_T2_jT3_P12ihipStream_tbPNSt15iterator_traitsISE_E10value_typeEPNSK_ISF_E10value_typeEPSG_NS1_7vsmem_tEENKUlT_SE_SF_SG_E_clIS8_S8_S9_S9_EESD_ST_SE_SF_SG_EUlST_E_NS1_11comp_targetILNS1_3genE2ELNS1_11target_archE906ELNS1_3gpuE6ELNS1_3repE0EEENS1_48merge_mergepath_partition_config_static_selectorELNS0_4arch9wavefront6targetE0EEEvSF_.has_recursion, 0
	.set _ZN7rocprim17ROCPRIM_400000_NS6detail17trampoline_kernelINS0_14default_configENS1_38merge_sort_block_merge_config_selectorItNS0_10empty_typeEEEZZNS1_27merge_sort_block_merge_implIS3_PtPS5_jNS1_19radix_merge_compareILb0ELb1EtNS0_19identity_decomposerEEEEE10hipError_tT0_T1_T2_jT3_P12ihipStream_tbPNSt15iterator_traitsISE_E10value_typeEPNSK_ISF_E10value_typeEPSG_NS1_7vsmem_tEENKUlT_SE_SF_SG_E_clIS8_S8_S9_S9_EESD_ST_SE_SF_SG_EUlST_E_NS1_11comp_targetILNS1_3genE2ELNS1_11target_archE906ELNS1_3gpuE6ELNS1_3repE0EEENS1_48merge_mergepath_partition_config_static_selectorELNS0_4arch9wavefront6targetE0EEEvSF_.has_indirect_call, 0
	.section	.AMDGPU.csdata,"",@progbits
; Kernel info:
; codeLenInByte = 0
; TotalNumSgprs: 0
; NumVgprs: 0
; ScratchSize: 0
; MemoryBound: 0
; FloatMode: 240
; IeeeMode: 1
; LDSByteSize: 0 bytes/workgroup (compile time only)
; SGPRBlocks: 0
; VGPRBlocks: 0
; NumSGPRsForWavesPerEU: 1
; NumVGPRsForWavesPerEU: 1
; NamedBarCnt: 0
; Occupancy: 16
; WaveLimiterHint : 0
; COMPUTE_PGM_RSRC2:SCRATCH_EN: 0
; COMPUTE_PGM_RSRC2:USER_SGPR: 2
; COMPUTE_PGM_RSRC2:TRAP_HANDLER: 0
; COMPUTE_PGM_RSRC2:TGID_X_EN: 1
; COMPUTE_PGM_RSRC2:TGID_Y_EN: 0
; COMPUTE_PGM_RSRC2:TGID_Z_EN: 0
; COMPUTE_PGM_RSRC2:TIDIG_COMP_CNT: 0
	.section	.text._ZN7rocprim17ROCPRIM_400000_NS6detail17trampoline_kernelINS0_14default_configENS1_38merge_sort_block_merge_config_selectorItNS0_10empty_typeEEEZZNS1_27merge_sort_block_merge_implIS3_PtPS5_jNS1_19radix_merge_compareILb0ELb1EtNS0_19identity_decomposerEEEEE10hipError_tT0_T1_T2_jT3_P12ihipStream_tbPNSt15iterator_traitsISE_E10value_typeEPNSK_ISF_E10value_typeEPSG_NS1_7vsmem_tEENKUlT_SE_SF_SG_E_clIS8_S8_S9_S9_EESD_ST_SE_SF_SG_EUlST_E_NS1_11comp_targetILNS1_3genE9ELNS1_11target_archE1100ELNS1_3gpuE3ELNS1_3repE0EEENS1_48merge_mergepath_partition_config_static_selectorELNS0_4arch9wavefront6targetE0EEEvSF_,"axG",@progbits,_ZN7rocprim17ROCPRIM_400000_NS6detail17trampoline_kernelINS0_14default_configENS1_38merge_sort_block_merge_config_selectorItNS0_10empty_typeEEEZZNS1_27merge_sort_block_merge_implIS3_PtPS5_jNS1_19radix_merge_compareILb0ELb1EtNS0_19identity_decomposerEEEEE10hipError_tT0_T1_T2_jT3_P12ihipStream_tbPNSt15iterator_traitsISE_E10value_typeEPNSK_ISF_E10value_typeEPSG_NS1_7vsmem_tEENKUlT_SE_SF_SG_E_clIS8_S8_S9_S9_EESD_ST_SE_SF_SG_EUlST_E_NS1_11comp_targetILNS1_3genE9ELNS1_11target_archE1100ELNS1_3gpuE3ELNS1_3repE0EEENS1_48merge_mergepath_partition_config_static_selectorELNS0_4arch9wavefront6targetE0EEEvSF_,comdat
	.protected	_ZN7rocprim17ROCPRIM_400000_NS6detail17trampoline_kernelINS0_14default_configENS1_38merge_sort_block_merge_config_selectorItNS0_10empty_typeEEEZZNS1_27merge_sort_block_merge_implIS3_PtPS5_jNS1_19radix_merge_compareILb0ELb1EtNS0_19identity_decomposerEEEEE10hipError_tT0_T1_T2_jT3_P12ihipStream_tbPNSt15iterator_traitsISE_E10value_typeEPNSK_ISF_E10value_typeEPSG_NS1_7vsmem_tEENKUlT_SE_SF_SG_E_clIS8_S8_S9_S9_EESD_ST_SE_SF_SG_EUlST_E_NS1_11comp_targetILNS1_3genE9ELNS1_11target_archE1100ELNS1_3gpuE3ELNS1_3repE0EEENS1_48merge_mergepath_partition_config_static_selectorELNS0_4arch9wavefront6targetE0EEEvSF_ ; -- Begin function _ZN7rocprim17ROCPRIM_400000_NS6detail17trampoline_kernelINS0_14default_configENS1_38merge_sort_block_merge_config_selectorItNS0_10empty_typeEEEZZNS1_27merge_sort_block_merge_implIS3_PtPS5_jNS1_19radix_merge_compareILb0ELb1EtNS0_19identity_decomposerEEEEE10hipError_tT0_T1_T2_jT3_P12ihipStream_tbPNSt15iterator_traitsISE_E10value_typeEPNSK_ISF_E10value_typeEPSG_NS1_7vsmem_tEENKUlT_SE_SF_SG_E_clIS8_S8_S9_S9_EESD_ST_SE_SF_SG_EUlST_E_NS1_11comp_targetILNS1_3genE9ELNS1_11target_archE1100ELNS1_3gpuE3ELNS1_3repE0EEENS1_48merge_mergepath_partition_config_static_selectorELNS0_4arch9wavefront6targetE0EEEvSF_
	.globl	_ZN7rocprim17ROCPRIM_400000_NS6detail17trampoline_kernelINS0_14default_configENS1_38merge_sort_block_merge_config_selectorItNS0_10empty_typeEEEZZNS1_27merge_sort_block_merge_implIS3_PtPS5_jNS1_19radix_merge_compareILb0ELb1EtNS0_19identity_decomposerEEEEE10hipError_tT0_T1_T2_jT3_P12ihipStream_tbPNSt15iterator_traitsISE_E10value_typeEPNSK_ISF_E10value_typeEPSG_NS1_7vsmem_tEENKUlT_SE_SF_SG_E_clIS8_S8_S9_S9_EESD_ST_SE_SF_SG_EUlST_E_NS1_11comp_targetILNS1_3genE9ELNS1_11target_archE1100ELNS1_3gpuE3ELNS1_3repE0EEENS1_48merge_mergepath_partition_config_static_selectorELNS0_4arch9wavefront6targetE0EEEvSF_
	.p2align	8
	.type	_ZN7rocprim17ROCPRIM_400000_NS6detail17trampoline_kernelINS0_14default_configENS1_38merge_sort_block_merge_config_selectorItNS0_10empty_typeEEEZZNS1_27merge_sort_block_merge_implIS3_PtPS5_jNS1_19radix_merge_compareILb0ELb1EtNS0_19identity_decomposerEEEEE10hipError_tT0_T1_T2_jT3_P12ihipStream_tbPNSt15iterator_traitsISE_E10value_typeEPNSK_ISF_E10value_typeEPSG_NS1_7vsmem_tEENKUlT_SE_SF_SG_E_clIS8_S8_S9_S9_EESD_ST_SE_SF_SG_EUlST_E_NS1_11comp_targetILNS1_3genE9ELNS1_11target_archE1100ELNS1_3gpuE3ELNS1_3repE0EEENS1_48merge_mergepath_partition_config_static_selectorELNS0_4arch9wavefront6targetE0EEEvSF_,@function
_ZN7rocprim17ROCPRIM_400000_NS6detail17trampoline_kernelINS0_14default_configENS1_38merge_sort_block_merge_config_selectorItNS0_10empty_typeEEEZZNS1_27merge_sort_block_merge_implIS3_PtPS5_jNS1_19radix_merge_compareILb0ELb1EtNS0_19identity_decomposerEEEEE10hipError_tT0_T1_T2_jT3_P12ihipStream_tbPNSt15iterator_traitsISE_E10value_typeEPNSK_ISF_E10value_typeEPSG_NS1_7vsmem_tEENKUlT_SE_SF_SG_E_clIS8_S8_S9_S9_EESD_ST_SE_SF_SG_EUlST_E_NS1_11comp_targetILNS1_3genE9ELNS1_11target_archE1100ELNS1_3gpuE3ELNS1_3repE0EEENS1_48merge_mergepath_partition_config_static_selectorELNS0_4arch9wavefront6targetE0EEEvSF_: ; @_ZN7rocprim17ROCPRIM_400000_NS6detail17trampoline_kernelINS0_14default_configENS1_38merge_sort_block_merge_config_selectorItNS0_10empty_typeEEEZZNS1_27merge_sort_block_merge_implIS3_PtPS5_jNS1_19radix_merge_compareILb0ELb1EtNS0_19identity_decomposerEEEEE10hipError_tT0_T1_T2_jT3_P12ihipStream_tbPNSt15iterator_traitsISE_E10value_typeEPNSK_ISF_E10value_typeEPSG_NS1_7vsmem_tEENKUlT_SE_SF_SG_E_clIS8_S8_S9_S9_EESD_ST_SE_SF_SG_EUlST_E_NS1_11comp_targetILNS1_3genE9ELNS1_11target_archE1100ELNS1_3gpuE3ELNS1_3repE0EEENS1_48merge_mergepath_partition_config_static_selectorELNS0_4arch9wavefront6targetE0EEEvSF_
; %bb.0:
	.section	.rodata,"a",@progbits
	.p2align	6, 0x0
	.amdhsa_kernel _ZN7rocprim17ROCPRIM_400000_NS6detail17trampoline_kernelINS0_14default_configENS1_38merge_sort_block_merge_config_selectorItNS0_10empty_typeEEEZZNS1_27merge_sort_block_merge_implIS3_PtPS5_jNS1_19radix_merge_compareILb0ELb1EtNS0_19identity_decomposerEEEEE10hipError_tT0_T1_T2_jT3_P12ihipStream_tbPNSt15iterator_traitsISE_E10value_typeEPNSK_ISF_E10value_typeEPSG_NS1_7vsmem_tEENKUlT_SE_SF_SG_E_clIS8_S8_S9_S9_EESD_ST_SE_SF_SG_EUlST_E_NS1_11comp_targetILNS1_3genE9ELNS1_11target_archE1100ELNS1_3gpuE3ELNS1_3repE0EEENS1_48merge_mergepath_partition_config_static_selectorELNS0_4arch9wavefront6targetE0EEEvSF_
		.amdhsa_group_segment_fixed_size 0
		.amdhsa_private_segment_fixed_size 0
		.amdhsa_kernarg_size 40
		.amdhsa_user_sgpr_count 2
		.amdhsa_user_sgpr_dispatch_ptr 0
		.amdhsa_user_sgpr_queue_ptr 0
		.amdhsa_user_sgpr_kernarg_segment_ptr 1
		.amdhsa_user_sgpr_dispatch_id 0
		.amdhsa_user_sgpr_kernarg_preload_length 0
		.amdhsa_user_sgpr_kernarg_preload_offset 0
		.amdhsa_user_sgpr_private_segment_size 0
		.amdhsa_wavefront_size32 1
		.amdhsa_uses_dynamic_stack 0
		.amdhsa_enable_private_segment 0
		.amdhsa_system_sgpr_workgroup_id_x 1
		.amdhsa_system_sgpr_workgroup_id_y 0
		.amdhsa_system_sgpr_workgroup_id_z 0
		.amdhsa_system_sgpr_workgroup_info 0
		.amdhsa_system_vgpr_workitem_id 0
		.amdhsa_next_free_vgpr 1
		.amdhsa_next_free_sgpr 1
		.amdhsa_named_barrier_count 0
		.amdhsa_reserve_vcc 0
		.amdhsa_float_round_mode_32 0
		.amdhsa_float_round_mode_16_64 0
		.amdhsa_float_denorm_mode_32 3
		.amdhsa_float_denorm_mode_16_64 3
		.amdhsa_fp16_overflow 0
		.amdhsa_memory_ordered 1
		.amdhsa_forward_progress 1
		.amdhsa_inst_pref_size 0
		.amdhsa_round_robin_scheduling 0
		.amdhsa_exception_fp_ieee_invalid_op 0
		.amdhsa_exception_fp_denorm_src 0
		.amdhsa_exception_fp_ieee_div_zero 0
		.amdhsa_exception_fp_ieee_overflow 0
		.amdhsa_exception_fp_ieee_underflow 0
		.amdhsa_exception_fp_ieee_inexact 0
		.amdhsa_exception_int_div_zero 0
	.end_amdhsa_kernel
	.section	.text._ZN7rocprim17ROCPRIM_400000_NS6detail17trampoline_kernelINS0_14default_configENS1_38merge_sort_block_merge_config_selectorItNS0_10empty_typeEEEZZNS1_27merge_sort_block_merge_implIS3_PtPS5_jNS1_19radix_merge_compareILb0ELb1EtNS0_19identity_decomposerEEEEE10hipError_tT0_T1_T2_jT3_P12ihipStream_tbPNSt15iterator_traitsISE_E10value_typeEPNSK_ISF_E10value_typeEPSG_NS1_7vsmem_tEENKUlT_SE_SF_SG_E_clIS8_S8_S9_S9_EESD_ST_SE_SF_SG_EUlST_E_NS1_11comp_targetILNS1_3genE9ELNS1_11target_archE1100ELNS1_3gpuE3ELNS1_3repE0EEENS1_48merge_mergepath_partition_config_static_selectorELNS0_4arch9wavefront6targetE0EEEvSF_,"axG",@progbits,_ZN7rocprim17ROCPRIM_400000_NS6detail17trampoline_kernelINS0_14default_configENS1_38merge_sort_block_merge_config_selectorItNS0_10empty_typeEEEZZNS1_27merge_sort_block_merge_implIS3_PtPS5_jNS1_19radix_merge_compareILb0ELb1EtNS0_19identity_decomposerEEEEE10hipError_tT0_T1_T2_jT3_P12ihipStream_tbPNSt15iterator_traitsISE_E10value_typeEPNSK_ISF_E10value_typeEPSG_NS1_7vsmem_tEENKUlT_SE_SF_SG_E_clIS8_S8_S9_S9_EESD_ST_SE_SF_SG_EUlST_E_NS1_11comp_targetILNS1_3genE9ELNS1_11target_archE1100ELNS1_3gpuE3ELNS1_3repE0EEENS1_48merge_mergepath_partition_config_static_selectorELNS0_4arch9wavefront6targetE0EEEvSF_,comdat
.Lfunc_end2461:
	.size	_ZN7rocprim17ROCPRIM_400000_NS6detail17trampoline_kernelINS0_14default_configENS1_38merge_sort_block_merge_config_selectorItNS0_10empty_typeEEEZZNS1_27merge_sort_block_merge_implIS3_PtPS5_jNS1_19radix_merge_compareILb0ELb1EtNS0_19identity_decomposerEEEEE10hipError_tT0_T1_T2_jT3_P12ihipStream_tbPNSt15iterator_traitsISE_E10value_typeEPNSK_ISF_E10value_typeEPSG_NS1_7vsmem_tEENKUlT_SE_SF_SG_E_clIS8_S8_S9_S9_EESD_ST_SE_SF_SG_EUlST_E_NS1_11comp_targetILNS1_3genE9ELNS1_11target_archE1100ELNS1_3gpuE3ELNS1_3repE0EEENS1_48merge_mergepath_partition_config_static_selectorELNS0_4arch9wavefront6targetE0EEEvSF_, .Lfunc_end2461-_ZN7rocprim17ROCPRIM_400000_NS6detail17trampoline_kernelINS0_14default_configENS1_38merge_sort_block_merge_config_selectorItNS0_10empty_typeEEEZZNS1_27merge_sort_block_merge_implIS3_PtPS5_jNS1_19radix_merge_compareILb0ELb1EtNS0_19identity_decomposerEEEEE10hipError_tT0_T1_T2_jT3_P12ihipStream_tbPNSt15iterator_traitsISE_E10value_typeEPNSK_ISF_E10value_typeEPSG_NS1_7vsmem_tEENKUlT_SE_SF_SG_E_clIS8_S8_S9_S9_EESD_ST_SE_SF_SG_EUlST_E_NS1_11comp_targetILNS1_3genE9ELNS1_11target_archE1100ELNS1_3gpuE3ELNS1_3repE0EEENS1_48merge_mergepath_partition_config_static_selectorELNS0_4arch9wavefront6targetE0EEEvSF_
                                        ; -- End function
	.set _ZN7rocprim17ROCPRIM_400000_NS6detail17trampoline_kernelINS0_14default_configENS1_38merge_sort_block_merge_config_selectorItNS0_10empty_typeEEEZZNS1_27merge_sort_block_merge_implIS3_PtPS5_jNS1_19radix_merge_compareILb0ELb1EtNS0_19identity_decomposerEEEEE10hipError_tT0_T1_T2_jT3_P12ihipStream_tbPNSt15iterator_traitsISE_E10value_typeEPNSK_ISF_E10value_typeEPSG_NS1_7vsmem_tEENKUlT_SE_SF_SG_E_clIS8_S8_S9_S9_EESD_ST_SE_SF_SG_EUlST_E_NS1_11comp_targetILNS1_3genE9ELNS1_11target_archE1100ELNS1_3gpuE3ELNS1_3repE0EEENS1_48merge_mergepath_partition_config_static_selectorELNS0_4arch9wavefront6targetE0EEEvSF_.num_vgpr, 0
	.set _ZN7rocprim17ROCPRIM_400000_NS6detail17trampoline_kernelINS0_14default_configENS1_38merge_sort_block_merge_config_selectorItNS0_10empty_typeEEEZZNS1_27merge_sort_block_merge_implIS3_PtPS5_jNS1_19radix_merge_compareILb0ELb1EtNS0_19identity_decomposerEEEEE10hipError_tT0_T1_T2_jT3_P12ihipStream_tbPNSt15iterator_traitsISE_E10value_typeEPNSK_ISF_E10value_typeEPSG_NS1_7vsmem_tEENKUlT_SE_SF_SG_E_clIS8_S8_S9_S9_EESD_ST_SE_SF_SG_EUlST_E_NS1_11comp_targetILNS1_3genE9ELNS1_11target_archE1100ELNS1_3gpuE3ELNS1_3repE0EEENS1_48merge_mergepath_partition_config_static_selectorELNS0_4arch9wavefront6targetE0EEEvSF_.num_agpr, 0
	.set _ZN7rocprim17ROCPRIM_400000_NS6detail17trampoline_kernelINS0_14default_configENS1_38merge_sort_block_merge_config_selectorItNS0_10empty_typeEEEZZNS1_27merge_sort_block_merge_implIS3_PtPS5_jNS1_19radix_merge_compareILb0ELb1EtNS0_19identity_decomposerEEEEE10hipError_tT0_T1_T2_jT3_P12ihipStream_tbPNSt15iterator_traitsISE_E10value_typeEPNSK_ISF_E10value_typeEPSG_NS1_7vsmem_tEENKUlT_SE_SF_SG_E_clIS8_S8_S9_S9_EESD_ST_SE_SF_SG_EUlST_E_NS1_11comp_targetILNS1_3genE9ELNS1_11target_archE1100ELNS1_3gpuE3ELNS1_3repE0EEENS1_48merge_mergepath_partition_config_static_selectorELNS0_4arch9wavefront6targetE0EEEvSF_.numbered_sgpr, 0
	.set _ZN7rocprim17ROCPRIM_400000_NS6detail17trampoline_kernelINS0_14default_configENS1_38merge_sort_block_merge_config_selectorItNS0_10empty_typeEEEZZNS1_27merge_sort_block_merge_implIS3_PtPS5_jNS1_19radix_merge_compareILb0ELb1EtNS0_19identity_decomposerEEEEE10hipError_tT0_T1_T2_jT3_P12ihipStream_tbPNSt15iterator_traitsISE_E10value_typeEPNSK_ISF_E10value_typeEPSG_NS1_7vsmem_tEENKUlT_SE_SF_SG_E_clIS8_S8_S9_S9_EESD_ST_SE_SF_SG_EUlST_E_NS1_11comp_targetILNS1_3genE9ELNS1_11target_archE1100ELNS1_3gpuE3ELNS1_3repE0EEENS1_48merge_mergepath_partition_config_static_selectorELNS0_4arch9wavefront6targetE0EEEvSF_.num_named_barrier, 0
	.set _ZN7rocprim17ROCPRIM_400000_NS6detail17trampoline_kernelINS0_14default_configENS1_38merge_sort_block_merge_config_selectorItNS0_10empty_typeEEEZZNS1_27merge_sort_block_merge_implIS3_PtPS5_jNS1_19radix_merge_compareILb0ELb1EtNS0_19identity_decomposerEEEEE10hipError_tT0_T1_T2_jT3_P12ihipStream_tbPNSt15iterator_traitsISE_E10value_typeEPNSK_ISF_E10value_typeEPSG_NS1_7vsmem_tEENKUlT_SE_SF_SG_E_clIS8_S8_S9_S9_EESD_ST_SE_SF_SG_EUlST_E_NS1_11comp_targetILNS1_3genE9ELNS1_11target_archE1100ELNS1_3gpuE3ELNS1_3repE0EEENS1_48merge_mergepath_partition_config_static_selectorELNS0_4arch9wavefront6targetE0EEEvSF_.private_seg_size, 0
	.set _ZN7rocprim17ROCPRIM_400000_NS6detail17trampoline_kernelINS0_14default_configENS1_38merge_sort_block_merge_config_selectorItNS0_10empty_typeEEEZZNS1_27merge_sort_block_merge_implIS3_PtPS5_jNS1_19radix_merge_compareILb0ELb1EtNS0_19identity_decomposerEEEEE10hipError_tT0_T1_T2_jT3_P12ihipStream_tbPNSt15iterator_traitsISE_E10value_typeEPNSK_ISF_E10value_typeEPSG_NS1_7vsmem_tEENKUlT_SE_SF_SG_E_clIS8_S8_S9_S9_EESD_ST_SE_SF_SG_EUlST_E_NS1_11comp_targetILNS1_3genE9ELNS1_11target_archE1100ELNS1_3gpuE3ELNS1_3repE0EEENS1_48merge_mergepath_partition_config_static_selectorELNS0_4arch9wavefront6targetE0EEEvSF_.uses_vcc, 0
	.set _ZN7rocprim17ROCPRIM_400000_NS6detail17trampoline_kernelINS0_14default_configENS1_38merge_sort_block_merge_config_selectorItNS0_10empty_typeEEEZZNS1_27merge_sort_block_merge_implIS3_PtPS5_jNS1_19radix_merge_compareILb0ELb1EtNS0_19identity_decomposerEEEEE10hipError_tT0_T1_T2_jT3_P12ihipStream_tbPNSt15iterator_traitsISE_E10value_typeEPNSK_ISF_E10value_typeEPSG_NS1_7vsmem_tEENKUlT_SE_SF_SG_E_clIS8_S8_S9_S9_EESD_ST_SE_SF_SG_EUlST_E_NS1_11comp_targetILNS1_3genE9ELNS1_11target_archE1100ELNS1_3gpuE3ELNS1_3repE0EEENS1_48merge_mergepath_partition_config_static_selectorELNS0_4arch9wavefront6targetE0EEEvSF_.uses_flat_scratch, 0
	.set _ZN7rocprim17ROCPRIM_400000_NS6detail17trampoline_kernelINS0_14default_configENS1_38merge_sort_block_merge_config_selectorItNS0_10empty_typeEEEZZNS1_27merge_sort_block_merge_implIS3_PtPS5_jNS1_19radix_merge_compareILb0ELb1EtNS0_19identity_decomposerEEEEE10hipError_tT0_T1_T2_jT3_P12ihipStream_tbPNSt15iterator_traitsISE_E10value_typeEPNSK_ISF_E10value_typeEPSG_NS1_7vsmem_tEENKUlT_SE_SF_SG_E_clIS8_S8_S9_S9_EESD_ST_SE_SF_SG_EUlST_E_NS1_11comp_targetILNS1_3genE9ELNS1_11target_archE1100ELNS1_3gpuE3ELNS1_3repE0EEENS1_48merge_mergepath_partition_config_static_selectorELNS0_4arch9wavefront6targetE0EEEvSF_.has_dyn_sized_stack, 0
	.set _ZN7rocprim17ROCPRIM_400000_NS6detail17trampoline_kernelINS0_14default_configENS1_38merge_sort_block_merge_config_selectorItNS0_10empty_typeEEEZZNS1_27merge_sort_block_merge_implIS3_PtPS5_jNS1_19radix_merge_compareILb0ELb1EtNS0_19identity_decomposerEEEEE10hipError_tT0_T1_T2_jT3_P12ihipStream_tbPNSt15iterator_traitsISE_E10value_typeEPNSK_ISF_E10value_typeEPSG_NS1_7vsmem_tEENKUlT_SE_SF_SG_E_clIS8_S8_S9_S9_EESD_ST_SE_SF_SG_EUlST_E_NS1_11comp_targetILNS1_3genE9ELNS1_11target_archE1100ELNS1_3gpuE3ELNS1_3repE0EEENS1_48merge_mergepath_partition_config_static_selectorELNS0_4arch9wavefront6targetE0EEEvSF_.has_recursion, 0
	.set _ZN7rocprim17ROCPRIM_400000_NS6detail17trampoline_kernelINS0_14default_configENS1_38merge_sort_block_merge_config_selectorItNS0_10empty_typeEEEZZNS1_27merge_sort_block_merge_implIS3_PtPS5_jNS1_19radix_merge_compareILb0ELb1EtNS0_19identity_decomposerEEEEE10hipError_tT0_T1_T2_jT3_P12ihipStream_tbPNSt15iterator_traitsISE_E10value_typeEPNSK_ISF_E10value_typeEPSG_NS1_7vsmem_tEENKUlT_SE_SF_SG_E_clIS8_S8_S9_S9_EESD_ST_SE_SF_SG_EUlST_E_NS1_11comp_targetILNS1_3genE9ELNS1_11target_archE1100ELNS1_3gpuE3ELNS1_3repE0EEENS1_48merge_mergepath_partition_config_static_selectorELNS0_4arch9wavefront6targetE0EEEvSF_.has_indirect_call, 0
	.section	.AMDGPU.csdata,"",@progbits
; Kernel info:
; codeLenInByte = 0
; TotalNumSgprs: 0
; NumVgprs: 0
; ScratchSize: 0
; MemoryBound: 0
; FloatMode: 240
; IeeeMode: 1
; LDSByteSize: 0 bytes/workgroup (compile time only)
; SGPRBlocks: 0
; VGPRBlocks: 0
; NumSGPRsForWavesPerEU: 1
; NumVGPRsForWavesPerEU: 1
; NamedBarCnt: 0
; Occupancy: 16
; WaveLimiterHint : 0
; COMPUTE_PGM_RSRC2:SCRATCH_EN: 0
; COMPUTE_PGM_RSRC2:USER_SGPR: 2
; COMPUTE_PGM_RSRC2:TRAP_HANDLER: 0
; COMPUTE_PGM_RSRC2:TGID_X_EN: 1
; COMPUTE_PGM_RSRC2:TGID_Y_EN: 0
; COMPUTE_PGM_RSRC2:TGID_Z_EN: 0
; COMPUTE_PGM_RSRC2:TIDIG_COMP_CNT: 0
	.section	.text._ZN7rocprim17ROCPRIM_400000_NS6detail17trampoline_kernelINS0_14default_configENS1_38merge_sort_block_merge_config_selectorItNS0_10empty_typeEEEZZNS1_27merge_sort_block_merge_implIS3_PtPS5_jNS1_19radix_merge_compareILb0ELb1EtNS0_19identity_decomposerEEEEE10hipError_tT0_T1_T2_jT3_P12ihipStream_tbPNSt15iterator_traitsISE_E10value_typeEPNSK_ISF_E10value_typeEPSG_NS1_7vsmem_tEENKUlT_SE_SF_SG_E_clIS8_S8_S9_S9_EESD_ST_SE_SF_SG_EUlST_E_NS1_11comp_targetILNS1_3genE8ELNS1_11target_archE1030ELNS1_3gpuE2ELNS1_3repE0EEENS1_48merge_mergepath_partition_config_static_selectorELNS0_4arch9wavefront6targetE0EEEvSF_,"axG",@progbits,_ZN7rocprim17ROCPRIM_400000_NS6detail17trampoline_kernelINS0_14default_configENS1_38merge_sort_block_merge_config_selectorItNS0_10empty_typeEEEZZNS1_27merge_sort_block_merge_implIS3_PtPS5_jNS1_19radix_merge_compareILb0ELb1EtNS0_19identity_decomposerEEEEE10hipError_tT0_T1_T2_jT3_P12ihipStream_tbPNSt15iterator_traitsISE_E10value_typeEPNSK_ISF_E10value_typeEPSG_NS1_7vsmem_tEENKUlT_SE_SF_SG_E_clIS8_S8_S9_S9_EESD_ST_SE_SF_SG_EUlST_E_NS1_11comp_targetILNS1_3genE8ELNS1_11target_archE1030ELNS1_3gpuE2ELNS1_3repE0EEENS1_48merge_mergepath_partition_config_static_selectorELNS0_4arch9wavefront6targetE0EEEvSF_,comdat
	.protected	_ZN7rocprim17ROCPRIM_400000_NS6detail17trampoline_kernelINS0_14default_configENS1_38merge_sort_block_merge_config_selectorItNS0_10empty_typeEEEZZNS1_27merge_sort_block_merge_implIS3_PtPS5_jNS1_19radix_merge_compareILb0ELb1EtNS0_19identity_decomposerEEEEE10hipError_tT0_T1_T2_jT3_P12ihipStream_tbPNSt15iterator_traitsISE_E10value_typeEPNSK_ISF_E10value_typeEPSG_NS1_7vsmem_tEENKUlT_SE_SF_SG_E_clIS8_S8_S9_S9_EESD_ST_SE_SF_SG_EUlST_E_NS1_11comp_targetILNS1_3genE8ELNS1_11target_archE1030ELNS1_3gpuE2ELNS1_3repE0EEENS1_48merge_mergepath_partition_config_static_selectorELNS0_4arch9wavefront6targetE0EEEvSF_ ; -- Begin function _ZN7rocprim17ROCPRIM_400000_NS6detail17trampoline_kernelINS0_14default_configENS1_38merge_sort_block_merge_config_selectorItNS0_10empty_typeEEEZZNS1_27merge_sort_block_merge_implIS3_PtPS5_jNS1_19radix_merge_compareILb0ELb1EtNS0_19identity_decomposerEEEEE10hipError_tT0_T1_T2_jT3_P12ihipStream_tbPNSt15iterator_traitsISE_E10value_typeEPNSK_ISF_E10value_typeEPSG_NS1_7vsmem_tEENKUlT_SE_SF_SG_E_clIS8_S8_S9_S9_EESD_ST_SE_SF_SG_EUlST_E_NS1_11comp_targetILNS1_3genE8ELNS1_11target_archE1030ELNS1_3gpuE2ELNS1_3repE0EEENS1_48merge_mergepath_partition_config_static_selectorELNS0_4arch9wavefront6targetE0EEEvSF_
	.globl	_ZN7rocprim17ROCPRIM_400000_NS6detail17trampoline_kernelINS0_14default_configENS1_38merge_sort_block_merge_config_selectorItNS0_10empty_typeEEEZZNS1_27merge_sort_block_merge_implIS3_PtPS5_jNS1_19radix_merge_compareILb0ELb1EtNS0_19identity_decomposerEEEEE10hipError_tT0_T1_T2_jT3_P12ihipStream_tbPNSt15iterator_traitsISE_E10value_typeEPNSK_ISF_E10value_typeEPSG_NS1_7vsmem_tEENKUlT_SE_SF_SG_E_clIS8_S8_S9_S9_EESD_ST_SE_SF_SG_EUlST_E_NS1_11comp_targetILNS1_3genE8ELNS1_11target_archE1030ELNS1_3gpuE2ELNS1_3repE0EEENS1_48merge_mergepath_partition_config_static_selectorELNS0_4arch9wavefront6targetE0EEEvSF_
	.p2align	8
	.type	_ZN7rocprim17ROCPRIM_400000_NS6detail17trampoline_kernelINS0_14default_configENS1_38merge_sort_block_merge_config_selectorItNS0_10empty_typeEEEZZNS1_27merge_sort_block_merge_implIS3_PtPS5_jNS1_19radix_merge_compareILb0ELb1EtNS0_19identity_decomposerEEEEE10hipError_tT0_T1_T2_jT3_P12ihipStream_tbPNSt15iterator_traitsISE_E10value_typeEPNSK_ISF_E10value_typeEPSG_NS1_7vsmem_tEENKUlT_SE_SF_SG_E_clIS8_S8_S9_S9_EESD_ST_SE_SF_SG_EUlST_E_NS1_11comp_targetILNS1_3genE8ELNS1_11target_archE1030ELNS1_3gpuE2ELNS1_3repE0EEENS1_48merge_mergepath_partition_config_static_selectorELNS0_4arch9wavefront6targetE0EEEvSF_,@function
_ZN7rocprim17ROCPRIM_400000_NS6detail17trampoline_kernelINS0_14default_configENS1_38merge_sort_block_merge_config_selectorItNS0_10empty_typeEEEZZNS1_27merge_sort_block_merge_implIS3_PtPS5_jNS1_19radix_merge_compareILb0ELb1EtNS0_19identity_decomposerEEEEE10hipError_tT0_T1_T2_jT3_P12ihipStream_tbPNSt15iterator_traitsISE_E10value_typeEPNSK_ISF_E10value_typeEPSG_NS1_7vsmem_tEENKUlT_SE_SF_SG_E_clIS8_S8_S9_S9_EESD_ST_SE_SF_SG_EUlST_E_NS1_11comp_targetILNS1_3genE8ELNS1_11target_archE1030ELNS1_3gpuE2ELNS1_3repE0EEENS1_48merge_mergepath_partition_config_static_selectorELNS0_4arch9wavefront6targetE0EEEvSF_: ; @_ZN7rocprim17ROCPRIM_400000_NS6detail17trampoline_kernelINS0_14default_configENS1_38merge_sort_block_merge_config_selectorItNS0_10empty_typeEEEZZNS1_27merge_sort_block_merge_implIS3_PtPS5_jNS1_19radix_merge_compareILb0ELb1EtNS0_19identity_decomposerEEEEE10hipError_tT0_T1_T2_jT3_P12ihipStream_tbPNSt15iterator_traitsISE_E10value_typeEPNSK_ISF_E10value_typeEPSG_NS1_7vsmem_tEENKUlT_SE_SF_SG_E_clIS8_S8_S9_S9_EESD_ST_SE_SF_SG_EUlST_E_NS1_11comp_targetILNS1_3genE8ELNS1_11target_archE1030ELNS1_3gpuE2ELNS1_3repE0EEENS1_48merge_mergepath_partition_config_static_selectorELNS0_4arch9wavefront6targetE0EEEvSF_
; %bb.0:
	.section	.rodata,"a",@progbits
	.p2align	6, 0x0
	.amdhsa_kernel _ZN7rocprim17ROCPRIM_400000_NS6detail17trampoline_kernelINS0_14default_configENS1_38merge_sort_block_merge_config_selectorItNS0_10empty_typeEEEZZNS1_27merge_sort_block_merge_implIS3_PtPS5_jNS1_19radix_merge_compareILb0ELb1EtNS0_19identity_decomposerEEEEE10hipError_tT0_T1_T2_jT3_P12ihipStream_tbPNSt15iterator_traitsISE_E10value_typeEPNSK_ISF_E10value_typeEPSG_NS1_7vsmem_tEENKUlT_SE_SF_SG_E_clIS8_S8_S9_S9_EESD_ST_SE_SF_SG_EUlST_E_NS1_11comp_targetILNS1_3genE8ELNS1_11target_archE1030ELNS1_3gpuE2ELNS1_3repE0EEENS1_48merge_mergepath_partition_config_static_selectorELNS0_4arch9wavefront6targetE0EEEvSF_
		.amdhsa_group_segment_fixed_size 0
		.amdhsa_private_segment_fixed_size 0
		.amdhsa_kernarg_size 40
		.amdhsa_user_sgpr_count 2
		.amdhsa_user_sgpr_dispatch_ptr 0
		.amdhsa_user_sgpr_queue_ptr 0
		.amdhsa_user_sgpr_kernarg_segment_ptr 1
		.amdhsa_user_sgpr_dispatch_id 0
		.amdhsa_user_sgpr_kernarg_preload_length 0
		.amdhsa_user_sgpr_kernarg_preload_offset 0
		.amdhsa_user_sgpr_private_segment_size 0
		.amdhsa_wavefront_size32 1
		.amdhsa_uses_dynamic_stack 0
		.amdhsa_enable_private_segment 0
		.amdhsa_system_sgpr_workgroup_id_x 1
		.amdhsa_system_sgpr_workgroup_id_y 0
		.amdhsa_system_sgpr_workgroup_id_z 0
		.amdhsa_system_sgpr_workgroup_info 0
		.amdhsa_system_vgpr_workitem_id 0
		.amdhsa_next_free_vgpr 1
		.amdhsa_next_free_sgpr 1
		.amdhsa_named_barrier_count 0
		.amdhsa_reserve_vcc 0
		.amdhsa_float_round_mode_32 0
		.amdhsa_float_round_mode_16_64 0
		.amdhsa_float_denorm_mode_32 3
		.amdhsa_float_denorm_mode_16_64 3
		.amdhsa_fp16_overflow 0
		.amdhsa_memory_ordered 1
		.amdhsa_forward_progress 1
		.amdhsa_inst_pref_size 0
		.amdhsa_round_robin_scheduling 0
		.amdhsa_exception_fp_ieee_invalid_op 0
		.amdhsa_exception_fp_denorm_src 0
		.amdhsa_exception_fp_ieee_div_zero 0
		.amdhsa_exception_fp_ieee_overflow 0
		.amdhsa_exception_fp_ieee_underflow 0
		.amdhsa_exception_fp_ieee_inexact 0
		.amdhsa_exception_int_div_zero 0
	.end_amdhsa_kernel
	.section	.text._ZN7rocprim17ROCPRIM_400000_NS6detail17trampoline_kernelINS0_14default_configENS1_38merge_sort_block_merge_config_selectorItNS0_10empty_typeEEEZZNS1_27merge_sort_block_merge_implIS3_PtPS5_jNS1_19radix_merge_compareILb0ELb1EtNS0_19identity_decomposerEEEEE10hipError_tT0_T1_T2_jT3_P12ihipStream_tbPNSt15iterator_traitsISE_E10value_typeEPNSK_ISF_E10value_typeEPSG_NS1_7vsmem_tEENKUlT_SE_SF_SG_E_clIS8_S8_S9_S9_EESD_ST_SE_SF_SG_EUlST_E_NS1_11comp_targetILNS1_3genE8ELNS1_11target_archE1030ELNS1_3gpuE2ELNS1_3repE0EEENS1_48merge_mergepath_partition_config_static_selectorELNS0_4arch9wavefront6targetE0EEEvSF_,"axG",@progbits,_ZN7rocprim17ROCPRIM_400000_NS6detail17trampoline_kernelINS0_14default_configENS1_38merge_sort_block_merge_config_selectorItNS0_10empty_typeEEEZZNS1_27merge_sort_block_merge_implIS3_PtPS5_jNS1_19radix_merge_compareILb0ELb1EtNS0_19identity_decomposerEEEEE10hipError_tT0_T1_T2_jT3_P12ihipStream_tbPNSt15iterator_traitsISE_E10value_typeEPNSK_ISF_E10value_typeEPSG_NS1_7vsmem_tEENKUlT_SE_SF_SG_E_clIS8_S8_S9_S9_EESD_ST_SE_SF_SG_EUlST_E_NS1_11comp_targetILNS1_3genE8ELNS1_11target_archE1030ELNS1_3gpuE2ELNS1_3repE0EEENS1_48merge_mergepath_partition_config_static_selectorELNS0_4arch9wavefront6targetE0EEEvSF_,comdat
.Lfunc_end2462:
	.size	_ZN7rocprim17ROCPRIM_400000_NS6detail17trampoline_kernelINS0_14default_configENS1_38merge_sort_block_merge_config_selectorItNS0_10empty_typeEEEZZNS1_27merge_sort_block_merge_implIS3_PtPS5_jNS1_19radix_merge_compareILb0ELb1EtNS0_19identity_decomposerEEEEE10hipError_tT0_T1_T2_jT3_P12ihipStream_tbPNSt15iterator_traitsISE_E10value_typeEPNSK_ISF_E10value_typeEPSG_NS1_7vsmem_tEENKUlT_SE_SF_SG_E_clIS8_S8_S9_S9_EESD_ST_SE_SF_SG_EUlST_E_NS1_11comp_targetILNS1_3genE8ELNS1_11target_archE1030ELNS1_3gpuE2ELNS1_3repE0EEENS1_48merge_mergepath_partition_config_static_selectorELNS0_4arch9wavefront6targetE0EEEvSF_, .Lfunc_end2462-_ZN7rocprim17ROCPRIM_400000_NS6detail17trampoline_kernelINS0_14default_configENS1_38merge_sort_block_merge_config_selectorItNS0_10empty_typeEEEZZNS1_27merge_sort_block_merge_implIS3_PtPS5_jNS1_19radix_merge_compareILb0ELb1EtNS0_19identity_decomposerEEEEE10hipError_tT0_T1_T2_jT3_P12ihipStream_tbPNSt15iterator_traitsISE_E10value_typeEPNSK_ISF_E10value_typeEPSG_NS1_7vsmem_tEENKUlT_SE_SF_SG_E_clIS8_S8_S9_S9_EESD_ST_SE_SF_SG_EUlST_E_NS1_11comp_targetILNS1_3genE8ELNS1_11target_archE1030ELNS1_3gpuE2ELNS1_3repE0EEENS1_48merge_mergepath_partition_config_static_selectorELNS0_4arch9wavefront6targetE0EEEvSF_
                                        ; -- End function
	.set _ZN7rocprim17ROCPRIM_400000_NS6detail17trampoline_kernelINS0_14default_configENS1_38merge_sort_block_merge_config_selectorItNS0_10empty_typeEEEZZNS1_27merge_sort_block_merge_implIS3_PtPS5_jNS1_19radix_merge_compareILb0ELb1EtNS0_19identity_decomposerEEEEE10hipError_tT0_T1_T2_jT3_P12ihipStream_tbPNSt15iterator_traitsISE_E10value_typeEPNSK_ISF_E10value_typeEPSG_NS1_7vsmem_tEENKUlT_SE_SF_SG_E_clIS8_S8_S9_S9_EESD_ST_SE_SF_SG_EUlST_E_NS1_11comp_targetILNS1_3genE8ELNS1_11target_archE1030ELNS1_3gpuE2ELNS1_3repE0EEENS1_48merge_mergepath_partition_config_static_selectorELNS0_4arch9wavefront6targetE0EEEvSF_.num_vgpr, 0
	.set _ZN7rocprim17ROCPRIM_400000_NS6detail17trampoline_kernelINS0_14default_configENS1_38merge_sort_block_merge_config_selectorItNS0_10empty_typeEEEZZNS1_27merge_sort_block_merge_implIS3_PtPS5_jNS1_19radix_merge_compareILb0ELb1EtNS0_19identity_decomposerEEEEE10hipError_tT0_T1_T2_jT3_P12ihipStream_tbPNSt15iterator_traitsISE_E10value_typeEPNSK_ISF_E10value_typeEPSG_NS1_7vsmem_tEENKUlT_SE_SF_SG_E_clIS8_S8_S9_S9_EESD_ST_SE_SF_SG_EUlST_E_NS1_11comp_targetILNS1_3genE8ELNS1_11target_archE1030ELNS1_3gpuE2ELNS1_3repE0EEENS1_48merge_mergepath_partition_config_static_selectorELNS0_4arch9wavefront6targetE0EEEvSF_.num_agpr, 0
	.set _ZN7rocprim17ROCPRIM_400000_NS6detail17trampoline_kernelINS0_14default_configENS1_38merge_sort_block_merge_config_selectorItNS0_10empty_typeEEEZZNS1_27merge_sort_block_merge_implIS3_PtPS5_jNS1_19radix_merge_compareILb0ELb1EtNS0_19identity_decomposerEEEEE10hipError_tT0_T1_T2_jT3_P12ihipStream_tbPNSt15iterator_traitsISE_E10value_typeEPNSK_ISF_E10value_typeEPSG_NS1_7vsmem_tEENKUlT_SE_SF_SG_E_clIS8_S8_S9_S9_EESD_ST_SE_SF_SG_EUlST_E_NS1_11comp_targetILNS1_3genE8ELNS1_11target_archE1030ELNS1_3gpuE2ELNS1_3repE0EEENS1_48merge_mergepath_partition_config_static_selectorELNS0_4arch9wavefront6targetE0EEEvSF_.numbered_sgpr, 0
	.set _ZN7rocprim17ROCPRIM_400000_NS6detail17trampoline_kernelINS0_14default_configENS1_38merge_sort_block_merge_config_selectorItNS0_10empty_typeEEEZZNS1_27merge_sort_block_merge_implIS3_PtPS5_jNS1_19radix_merge_compareILb0ELb1EtNS0_19identity_decomposerEEEEE10hipError_tT0_T1_T2_jT3_P12ihipStream_tbPNSt15iterator_traitsISE_E10value_typeEPNSK_ISF_E10value_typeEPSG_NS1_7vsmem_tEENKUlT_SE_SF_SG_E_clIS8_S8_S9_S9_EESD_ST_SE_SF_SG_EUlST_E_NS1_11comp_targetILNS1_3genE8ELNS1_11target_archE1030ELNS1_3gpuE2ELNS1_3repE0EEENS1_48merge_mergepath_partition_config_static_selectorELNS0_4arch9wavefront6targetE0EEEvSF_.num_named_barrier, 0
	.set _ZN7rocprim17ROCPRIM_400000_NS6detail17trampoline_kernelINS0_14default_configENS1_38merge_sort_block_merge_config_selectorItNS0_10empty_typeEEEZZNS1_27merge_sort_block_merge_implIS3_PtPS5_jNS1_19radix_merge_compareILb0ELb1EtNS0_19identity_decomposerEEEEE10hipError_tT0_T1_T2_jT3_P12ihipStream_tbPNSt15iterator_traitsISE_E10value_typeEPNSK_ISF_E10value_typeEPSG_NS1_7vsmem_tEENKUlT_SE_SF_SG_E_clIS8_S8_S9_S9_EESD_ST_SE_SF_SG_EUlST_E_NS1_11comp_targetILNS1_3genE8ELNS1_11target_archE1030ELNS1_3gpuE2ELNS1_3repE0EEENS1_48merge_mergepath_partition_config_static_selectorELNS0_4arch9wavefront6targetE0EEEvSF_.private_seg_size, 0
	.set _ZN7rocprim17ROCPRIM_400000_NS6detail17trampoline_kernelINS0_14default_configENS1_38merge_sort_block_merge_config_selectorItNS0_10empty_typeEEEZZNS1_27merge_sort_block_merge_implIS3_PtPS5_jNS1_19radix_merge_compareILb0ELb1EtNS0_19identity_decomposerEEEEE10hipError_tT0_T1_T2_jT3_P12ihipStream_tbPNSt15iterator_traitsISE_E10value_typeEPNSK_ISF_E10value_typeEPSG_NS1_7vsmem_tEENKUlT_SE_SF_SG_E_clIS8_S8_S9_S9_EESD_ST_SE_SF_SG_EUlST_E_NS1_11comp_targetILNS1_3genE8ELNS1_11target_archE1030ELNS1_3gpuE2ELNS1_3repE0EEENS1_48merge_mergepath_partition_config_static_selectorELNS0_4arch9wavefront6targetE0EEEvSF_.uses_vcc, 0
	.set _ZN7rocprim17ROCPRIM_400000_NS6detail17trampoline_kernelINS0_14default_configENS1_38merge_sort_block_merge_config_selectorItNS0_10empty_typeEEEZZNS1_27merge_sort_block_merge_implIS3_PtPS5_jNS1_19radix_merge_compareILb0ELb1EtNS0_19identity_decomposerEEEEE10hipError_tT0_T1_T2_jT3_P12ihipStream_tbPNSt15iterator_traitsISE_E10value_typeEPNSK_ISF_E10value_typeEPSG_NS1_7vsmem_tEENKUlT_SE_SF_SG_E_clIS8_S8_S9_S9_EESD_ST_SE_SF_SG_EUlST_E_NS1_11comp_targetILNS1_3genE8ELNS1_11target_archE1030ELNS1_3gpuE2ELNS1_3repE0EEENS1_48merge_mergepath_partition_config_static_selectorELNS0_4arch9wavefront6targetE0EEEvSF_.uses_flat_scratch, 0
	.set _ZN7rocprim17ROCPRIM_400000_NS6detail17trampoline_kernelINS0_14default_configENS1_38merge_sort_block_merge_config_selectorItNS0_10empty_typeEEEZZNS1_27merge_sort_block_merge_implIS3_PtPS5_jNS1_19radix_merge_compareILb0ELb1EtNS0_19identity_decomposerEEEEE10hipError_tT0_T1_T2_jT3_P12ihipStream_tbPNSt15iterator_traitsISE_E10value_typeEPNSK_ISF_E10value_typeEPSG_NS1_7vsmem_tEENKUlT_SE_SF_SG_E_clIS8_S8_S9_S9_EESD_ST_SE_SF_SG_EUlST_E_NS1_11comp_targetILNS1_3genE8ELNS1_11target_archE1030ELNS1_3gpuE2ELNS1_3repE0EEENS1_48merge_mergepath_partition_config_static_selectorELNS0_4arch9wavefront6targetE0EEEvSF_.has_dyn_sized_stack, 0
	.set _ZN7rocprim17ROCPRIM_400000_NS6detail17trampoline_kernelINS0_14default_configENS1_38merge_sort_block_merge_config_selectorItNS0_10empty_typeEEEZZNS1_27merge_sort_block_merge_implIS3_PtPS5_jNS1_19radix_merge_compareILb0ELb1EtNS0_19identity_decomposerEEEEE10hipError_tT0_T1_T2_jT3_P12ihipStream_tbPNSt15iterator_traitsISE_E10value_typeEPNSK_ISF_E10value_typeEPSG_NS1_7vsmem_tEENKUlT_SE_SF_SG_E_clIS8_S8_S9_S9_EESD_ST_SE_SF_SG_EUlST_E_NS1_11comp_targetILNS1_3genE8ELNS1_11target_archE1030ELNS1_3gpuE2ELNS1_3repE0EEENS1_48merge_mergepath_partition_config_static_selectorELNS0_4arch9wavefront6targetE0EEEvSF_.has_recursion, 0
	.set _ZN7rocprim17ROCPRIM_400000_NS6detail17trampoline_kernelINS0_14default_configENS1_38merge_sort_block_merge_config_selectorItNS0_10empty_typeEEEZZNS1_27merge_sort_block_merge_implIS3_PtPS5_jNS1_19radix_merge_compareILb0ELb1EtNS0_19identity_decomposerEEEEE10hipError_tT0_T1_T2_jT3_P12ihipStream_tbPNSt15iterator_traitsISE_E10value_typeEPNSK_ISF_E10value_typeEPSG_NS1_7vsmem_tEENKUlT_SE_SF_SG_E_clIS8_S8_S9_S9_EESD_ST_SE_SF_SG_EUlST_E_NS1_11comp_targetILNS1_3genE8ELNS1_11target_archE1030ELNS1_3gpuE2ELNS1_3repE0EEENS1_48merge_mergepath_partition_config_static_selectorELNS0_4arch9wavefront6targetE0EEEvSF_.has_indirect_call, 0
	.section	.AMDGPU.csdata,"",@progbits
; Kernel info:
; codeLenInByte = 0
; TotalNumSgprs: 0
; NumVgprs: 0
; ScratchSize: 0
; MemoryBound: 0
; FloatMode: 240
; IeeeMode: 1
; LDSByteSize: 0 bytes/workgroup (compile time only)
; SGPRBlocks: 0
; VGPRBlocks: 0
; NumSGPRsForWavesPerEU: 1
; NumVGPRsForWavesPerEU: 1
; NamedBarCnt: 0
; Occupancy: 16
; WaveLimiterHint : 0
; COMPUTE_PGM_RSRC2:SCRATCH_EN: 0
; COMPUTE_PGM_RSRC2:USER_SGPR: 2
; COMPUTE_PGM_RSRC2:TRAP_HANDLER: 0
; COMPUTE_PGM_RSRC2:TGID_X_EN: 1
; COMPUTE_PGM_RSRC2:TGID_Y_EN: 0
; COMPUTE_PGM_RSRC2:TGID_Z_EN: 0
; COMPUTE_PGM_RSRC2:TIDIG_COMP_CNT: 0
	.section	.text._ZN7rocprim17ROCPRIM_400000_NS6detail17trampoline_kernelINS0_14default_configENS1_38merge_sort_block_merge_config_selectorItNS0_10empty_typeEEEZZNS1_27merge_sort_block_merge_implIS3_PtPS5_jNS1_19radix_merge_compareILb0ELb1EtNS0_19identity_decomposerEEEEE10hipError_tT0_T1_T2_jT3_P12ihipStream_tbPNSt15iterator_traitsISE_E10value_typeEPNSK_ISF_E10value_typeEPSG_NS1_7vsmem_tEENKUlT_SE_SF_SG_E_clIS8_S8_S9_S9_EESD_ST_SE_SF_SG_EUlST_E0_NS1_11comp_targetILNS1_3genE0ELNS1_11target_archE4294967295ELNS1_3gpuE0ELNS1_3repE0EEENS1_38merge_mergepath_config_static_selectorELNS0_4arch9wavefront6targetE0EEEvSF_,"axG",@progbits,_ZN7rocprim17ROCPRIM_400000_NS6detail17trampoline_kernelINS0_14default_configENS1_38merge_sort_block_merge_config_selectorItNS0_10empty_typeEEEZZNS1_27merge_sort_block_merge_implIS3_PtPS5_jNS1_19radix_merge_compareILb0ELb1EtNS0_19identity_decomposerEEEEE10hipError_tT0_T1_T2_jT3_P12ihipStream_tbPNSt15iterator_traitsISE_E10value_typeEPNSK_ISF_E10value_typeEPSG_NS1_7vsmem_tEENKUlT_SE_SF_SG_E_clIS8_S8_S9_S9_EESD_ST_SE_SF_SG_EUlST_E0_NS1_11comp_targetILNS1_3genE0ELNS1_11target_archE4294967295ELNS1_3gpuE0ELNS1_3repE0EEENS1_38merge_mergepath_config_static_selectorELNS0_4arch9wavefront6targetE0EEEvSF_,comdat
	.protected	_ZN7rocprim17ROCPRIM_400000_NS6detail17trampoline_kernelINS0_14default_configENS1_38merge_sort_block_merge_config_selectorItNS0_10empty_typeEEEZZNS1_27merge_sort_block_merge_implIS3_PtPS5_jNS1_19radix_merge_compareILb0ELb1EtNS0_19identity_decomposerEEEEE10hipError_tT0_T1_T2_jT3_P12ihipStream_tbPNSt15iterator_traitsISE_E10value_typeEPNSK_ISF_E10value_typeEPSG_NS1_7vsmem_tEENKUlT_SE_SF_SG_E_clIS8_S8_S9_S9_EESD_ST_SE_SF_SG_EUlST_E0_NS1_11comp_targetILNS1_3genE0ELNS1_11target_archE4294967295ELNS1_3gpuE0ELNS1_3repE0EEENS1_38merge_mergepath_config_static_selectorELNS0_4arch9wavefront6targetE0EEEvSF_ ; -- Begin function _ZN7rocprim17ROCPRIM_400000_NS6detail17trampoline_kernelINS0_14default_configENS1_38merge_sort_block_merge_config_selectorItNS0_10empty_typeEEEZZNS1_27merge_sort_block_merge_implIS3_PtPS5_jNS1_19radix_merge_compareILb0ELb1EtNS0_19identity_decomposerEEEEE10hipError_tT0_T1_T2_jT3_P12ihipStream_tbPNSt15iterator_traitsISE_E10value_typeEPNSK_ISF_E10value_typeEPSG_NS1_7vsmem_tEENKUlT_SE_SF_SG_E_clIS8_S8_S9_S9_EESD_ST_SE_SF_SG_EUlST_E0_NS1_11comp_targetILNS1_3genE0ELNS1_11target_archE4294967295ELNS1_3gpuE0ELNS1_3repE0EEENS1_38merge_mergepath_config_static_selectorELNS0_4arch9wavefront6targetE0EEEvSF_
	.globl	_ZN7rocprim17ROCPRIM_400000_NS6detail17trampoline_kernelINS0_14default_configENS1_38merge_sort_block_merge_config_selectorItNS0_10empty_typeEEEZZNS1_27merge_sort_block_merge_implIS3_PtPS5_jNS1_19radix_merge_compareILb0ELb1EtNS0_19identity_decomposerEEEEE10hipError_tT0_T1_T2_jT3_P12ihipStream_tbPNSt15iterator_traitsISE_E10value_typeEPNSK_ISF_E10value_typeEPSG_NS1_7vsmem_tEENKUlT_SE_SF_SG_E_clIS8_S8_S9_S9_EESD_ST_SE_SF_SG_EUlST_E0_NS1_11comp_targetILNS1_3genE0ELNS1_11target_archE4294967295ELNS1_3gpuE0ELNS1_3repE0EEENS1_38merge_mergepath_config_static_selectorELNS0_4arch9wavefront6targetE0EEEvSF_
	.p2align	8
	.type	_ZN7rocprim17ROCPRIM_400000_NS6detail17trampoline_kernelINS0_14default_configENS1_38merge_sort_block_merge_config_selectorItNS0_10empty_typeEEEZZNS1_27merge_sort_block_merge_implIS3_PtPS5_jNS1_19radix_merge_compareILb0ELb1EtNS0_19identity_decomposerEEEEE10hipError_tT0_T1_T2_jT3_P12ihipStream_tbPNSt15iterator_traitsISE_E10value_typeEPNSK_ISF_E10value_typeEPSG_NS1_7vsmem_tEENKUlT_SE_SF_SG_E_clIS8_S8_S9_S9_EESD_ST_SE_SF_SG_EUlST_E0_NS1_11comp_targetILNS1_3genE0ELNS1_11target_archE4294967295ELNS1_3gpuE0ELNS1_3repE0EEENS1_38merge_mergepath_config_static_selectorELNS0_4arch9wavefront6targetE0EEEvSF_,@function
_ZN7rocprim17ROCPRIM_400000_NS6detail17trampoline_kernelINS0_14default_configENS1_38merge_sort_block_merge_config_selectorItNS0_10empty_typeEEEZZNS1_27merge_sort_block_merge_implIS3_PtPS5_jNS1_19radix_merge_compareILb0ELb1EtNS0_19identity_decomposerEEEEE10hipError_tT0_T1_T2_jT3_P12ihipStream_tbPNSt15iterator_traitsISE_E10value_typeEPNSK_ISF_E10value_typeEPSG_NS1_7vsmem_tEENKUlT_SE_SF_SG_E_clIS8_S8_S9_S9_EESD_ST_SE_SF_SG_EUlST_E0_NS1_11comp_targetILNS1_3genE0ELNS1_11target_archE4294967295ELNS1_3gpuE0ELNS1_3repE0EEENS1_38merge_mergepath_config_static_selectorELNS0_4arch9wavefront6targetE0EEEvSF_: ; @_ZN7rocprim17ROCPRIM_400000_NS6detail17trampoline_kernelINS0_14default_configENS1_38merge_sort_block_merge_config_selectorItNS0_10empty_typeEEEZZNS1_27merge_sort_block_merge_implIS3_PtPS5_jNS1_19radix_merge_compareILb0ELb1EtNS0_19identity_decomposerEEEEE10hipError_tT0_T1_T2_jT3_P12ihipStream_tbPNSt15iterator_traitsISE_E10value_typeEPNSK_ISF_E10value_typeEPSG_NS1_7vsmem_tEENKUlT_SE_SF_SG_E_clIS8_S8_S9_S9_EESD_ST_SE_SF_SG_EUlST_E0_NS1_11comp_targetILNS1_3genE0ELNS1_11target_archE4294967295ELNS1_3gpuE0ELNS1_3repE0EEENS1_38merge_mergepath_config_static_selectorELNS0_4arch9wavefront6targetE0EEEvSF_
; %bb.0:
	s_bfe_u32 s2, ttmp6, 0x40010
	s_and_b32 s4, ttmp7, 0xffff
	s_add_co_i32 s5, s2, 1
	s_clause 0x1
	s_load_b32 s6, s[0:1], 0x30
	s_load_b64 s[2:3], s[0:1], 0x40
	s_bfe_u32 s8, ttmp6, 0x4000c
	s_mul_i32 s5, s4, s5
	s_bfe_u32 s7, ttmp6, 0x40004
	s_add_co_i32 s8, s8, 1
	s_bfe_u32 s9, ttmp6, 0x40014
	s_add_co_i32 s7, s7, s5
	s_and_b32 s5, ttmp6, 15
	s_mul_i32 s8, ttmp9, s8
	s_lshr_b32 s10, ttmp7, 16
	s_add_co_i32 s9, s9, 1
	s_add_co_i32 s5, s5, s8
	s_mul_i32 s8, s10, s9
	s_bfe_u32 s9, ttmp6, 0x40008
	s_getreg_b32 s11, hwreg(HW_REG_IB_STS2, 6, 4)
	s_add_co_i32 s9, s9, s8
	s_cmp_eq_u32 s11, 0
	s_cselect_b32 s8, s10, s9
	s_cselect_b32 s4, s4, s7
	s_wait_kmcnt 0x0
	s_mul_i32 s8, s3, s8
	s_cselect_b32 s3, ttmp9, s5
	s_add_co_i32 s4, s8, s4
	s_mov_b32 s5, 0
	s_mul_i32 s4, s4, s2
	s_delay_alu instid0(SALU_CYCLE_1) | instskip(NEXT) | instid1(SALU_CYCLE_1)
	s_add_co_i32 s4, s4, s3
	s_cmp_ge_u32 s4, s6
	s_cbranch_scc1 .LBB2463_43
; %bb.1:
	v_mov_b32_e32 v7, 0
	s_add_nc_u64 s[6:7], s[0:1], 64
	v_lshlrev_b32_e32 v6, 1, v0
	global_load_b32 v1, v7, s[6:7] offset:14
	s_clause 0x2
	s_load_b64 s[8:9], s[0:1], 0x28
	s_load_b64 s[10:11], s[0:1], 0x38
	;; [unrolled: 1-line block ×3, first 2 shown]
	s_wait_kmcnt 0x0
	s_lshr_b32 s22, s8, 10
	s_delay_alu instid0(SALU_CYCLE_1) | instskip(SKIP_2) | instid1(SALU_CYCLE_1)
	s_cmp_lg_u32 s4, s22
	s_cselect_b32 s14, -1, 0
	s_lshl_b64 s[12:13], s[4:5], 2
	s_add_nc_u64 s[10:11], s[10:11], s[12:13]
	s_load_b64 s[12:13], s[10:11], 0x0
	s_wait_xcnt 0x0
	s_lshr_b32 s10, s9, 9
	s_delay_alu instid0(SALU_CYCLE_1) | instskip(NEXT) | instid1(SALU_CYCLE_1)
	s_and_b32 s10, s10, 0x7ffffe
	s_sub_co_i32 s11, 0, s10
	s_lshl_b32 s10, s4, 10
	s_and_b32 s15, s4, s11
	s_or_b32 s11, s4, s11
	s_lshl_b32 s18, s15, 11
	s_lshl_b32 s15, s15, 10
	s_add_co_i32 s18, s18, s9
	s_sub_co_i32 s19, s10, s15
	s_sub_co_i32 s15, s18, s15
	s_add_co_i32 s18, s18, s19
	s_min_u32 s20, s8, s15
	s_add_co_i32 s15, s15, s9
	s_wait_kmcnt 0x0
	s_sub_co_i32 s9, s18, s12
	s_sub_co_i32 s19, s18, s13
	s_min_u32 s18, s8, s9
	s_add_co_i32 s9, s19, 0x400
	s_cmp_eq_u32 s11, -1
	s_mov_b32 s19, s5
	s_cselect_b32 s9, s15, s9
	s_cselect_b32 s11, s20, s13
	s_mov_b32 s13, s5
	s_min_u32 s15, s9, s8
	s_lshl_b64 s[20:21], s[18:19], 1
	s_sub_co_i32 s9, s11, s12
	s_lshl_b64 s[12:13], s[12:13], 1
	s_sub_co_i32 s15, s15, s18
	s_cmp_lt_u32 s3, s2
	s_mov_b32 s3, s5
	s_cselect_b32 s2, 12, 18
	s_add_nc_u64 s[12:13], s[16:17], s[12:13]
	s_add_nc_u64 s[2:3], s[6:7], s[2:3]
	s_cmp_eq_u32 s4, s22
	s_load_u16 s2, s[2:3], 0x0
	s_add_nc_u64 s[6:7], s[16:17], s[20:21]
	s_wait_loadcnt 0x0
	v_lshrrev_b32_e32 v2, 16, v1
	v_and_b32_e32 v1, 0xffff, v1
	s_delay_alu instid0(VALU_DEP_1) | instskip(SKIP_1) | instid1(VALU_DEP_1)
	v_mul_lo_u32 v1, v1, v2
	s_wait_kmcnt 0x0
	v_mul_lo_u32 v1, v1, s2
	s_mov_b32 s2, -1
	s_delay_alu instid0(VALU_DEP_1) | instskip(NEXT) | instid1(VALU_DEP_1)
	v_add_nc_u32_e32 v10, v1, v0
	v_add_nc_u32_e32 v8, v10, v1
	s_cbranch_scc1 .LBB2463_3
; %bb.2:
	v_sub_co_u32 v4, vcc_lo, v0, s9
	v_dual_mov_b32 v5, v7 :: v_dual_mov_b32 v11, v7
	v_add_nc_u64_e32 v[2:3], s[12:13], v[6:7]
	v_sub_co_u32 v14, s2, v10, s9
	s_delay_alu instid0(VALU_DEP_3) | instskip(SKIP_3) | instid1(VALU_DEP_4)
	v_lshl_add_u64 v[4:5], v[4:5], 1, s[6:7]
	v_dual_mov_b32 v15, v7 :: v_dual_mov_b32 v9, v7
	v_lshl_add_u64 v[12:13], v[10:11], 1, s[12:13]
	v_dual_mov_b32 v17, v7 :: v_dual_add_nc_u32 v18, v8, v1
	v_dual_cndmask_b32 v3, v5, v3 :: v_dual_cndmask_b32 v2, v4, v2
	s_delay_alu instid0(VALU_DEP_4)
	v_lshl_add_u64 v[4:5], v[14:15], 1, s[6:7]
	v_sub_co_u32 v16, vcc_lo, v8, s9
	v_mov_b32_e32 v19, v7
	v_lshl_add_u64 v[14:15], v[8:9], 1, s[12:13]
	global_load_u16 v9, v[2:3], off
	s_wait_xcnt 0x0
	v_dual_cndmask_b32 v3, v5, v13, s2 :: v_dual_cndmask_b32 v2, v4, v12, s2
	v_lshl_add_u64 v[4:5], v[16:17], 1, s[6:7]
	v_lshl_add_u64 v[12:13], v[18:19], 1, s[12:13]
	v_sub_co_u32 v16, s2, v18, s9
	v_add_nc_u32_e32 v18, v18, v1
	global_load_u16 v11, v[2:3], off
	s_wait_xcnt 0x0
	v_dual_cndmask_b32 v3, v5, v15 :: v_dual_cndmask_b32 v2, v4, v14
	v_lshl_add_u64 v[4:5], v[16:17], 1, s[6:7]
	v_lshl_add_u64 v[14:15], v[18:19], 1, s[12:13]
	v_sub_co_u32 v16, vcc_lo, v18, s9
	v_add_nc_u32_e32 v18, v18, v1
	global_load_u16 v26, v[2:3], off
	s_wait_xcnt 0x0
	v_dual_cndmask_b32 v3, v5, v13, s2 :: v_dual_mov_b32 v21, v7
	v_cndmask_b32_e64 v2, v4, v12, s2
	v_lshl_add_u64 v[4:5], v[16:17], 1, s[6:7]
	v_lshl_add_u64 v[12:13], v[18:19], 1, s[12:13]
	v_add_nc_u32_e32 v16, v18, v1
	v_sub_co_u32 v18, s2, v18, s9
	s_delay_alu instid0(VALU_DEP_4) | instskip(SKIP_1) | instid1(VALU_DEP_3)
	v_cndmask_b32_e32 v5, v5, v15, vcc_lo
	s_add_co_i32 s11, s15, s9
	v_lshl_add_u64 v[22:23], v[16:17], 1, s[12:13]
	s_delay_alu instid0(VALU_DEP_3) | instskip(SKIP_2) | instid1(VALU_DEP_3)
	v_lshl_add_u64 v[18:19], v[18:19], 1, s[6:7]
	v_add_nc_u32_e32 v20, v16, v1
	v_sub_co_u32 v16, s3, v16, s9
	v_dual_cndmask_b32 v4, v4, v14, vcc_lo :: v_dual_cndmask_b32 v13, v19, v13, s2
	s_delay_alu instid0(VALU_DEP_4) | instskip(NEXT) | instid1(VALU_DEP_4)
	v_cndmask_b32_e64 v12, v18, v12, s2
	v_lshl_add_u64 v[24:25], v[20:21], 1, s[12:13]
	v_sub_co_u32 v20, s4, v20, s9
	v_lshl_add_u64 v[16:17], v[16:17], 1, s[6:7]
	s_delay_alu instid0(VALU_DEP_2) | instskip(NEXT) | instid1(VALU_DEP_2)
	v_lshl_add_u64 v[14:15], v[20:21], 1, s[6:7]
	v_dual_cndmask_b32 v17, v17, v23, s3 :: v_dual_cndmask_b32 v16, v16, v22, s3
	s_delay_alu instid0(VALU_DEP_2)
	v_dual_cndmask_b32 v15, v15, v25, s4 :: v_dual_cndmask_b32 v14, v14, v24, s4
	global_load_u16 v7, v[2:3], off
	global_load_u16 v18, v[4:5], off
	global_load_u16 v19, v[12:13], off
	global_load_u16 v20, v[16:17], off
	global_load_u16 v21, v[14:15], off
	s_wait_loadcnt 0x6
	s_wait_xcnt 0x4
	v_perm_b32 v2, v11, v9, 0x5040100
	s_wait_loadcnt 0x4
	v_perm_b32 v3, v7, v26, 0x5040100
	s_wait_loadcnt 0x2
	s_wait_xcnt 0x3
	v_perm_b32 v4, v19, v18, 0x5040100
	s_wait_loadcnt 0x0
	v_perm_b32 v5, v21, v20, 0x5040100
	s_cbranch_execz .LBB2463_4
	s_branch .LBB2463_19
.LBB2463_3:
                                        ; implicit-def: $vgpr2_vgpr3_vgpr4_vgpr5
                                        ; implicit-def: $sgpr11
	s_and_not1_b32 vcc_lo, exec_lo, s2
	s_cbranch_vccnz .LBB2463_19
.LBB2463_4:
	v_mov_b32_e32 v2, 0
	s_add_co_i32 s11, s15, s9
	s_mov_b32 s2, exec_lo
	s_delay_alu instid0(VALU_DEP_1)
	v_dual_mov_b32 v3, v2 :: v_dual_mov_b32 v4, v2
	v_mov_b32_e32 v5, v2
	v_cmpx_gt_u32_e64 s11, v0
	s_cbranch_execnz .LBB2463_44
; %bb.5:
	s_or_b32 exec_lo, exec_lo, s2
	s_delay_alu instid0(SALU_CYCLE_1)
	s_mov_b32 s2, exec_lo
	v_cmpx_gt_u32_e64 s11, v10
	s_cbranch_execnz .LBB2463_45
.LBB2463_6:
	s_or_b32 exec_lo, exec_lo, s2
	s_delay_alu instid0(SALU_CYCLE_1)
	s_mov_b32 s2, exec_lo
	v_cmpx_gt_u32_e64 s11, v8
	s_cbranch_execz .LBB2463_8
.LBB2463_7:
	v_sub_co_u32 v12, vcc_lo, v8, s9
	v_mov_b32_e32 v9, 0
	s_delay_alu instid0(VALU_DEP_1) | instskip(SKIP_1) | instid1(VALU_DEP_1)
	v_lshl_add_u64 v[10:11], v[8:9], 1, s[12:13]
	v_mov_b32_e32 v13, v9
	v_lshl_add_u64 v[12:13], v[12:13], 1, s[6:7]
	s_delay_alu instid0(VALU_DEP_1)
	v_dual_cndmask_b32 v11, v13, v11 :: v_dual_cndmask_b32 v10, v12, v10
	global_load_u16 v7, v[10:11], off
	s_wait_loadcnt 0x0
	v_bfi_b32 v3, 0xffff, v7, v3
.LBB2463_8:
	s_or_b32 exec_lo, exec_lo, s2
	v_add_nc_u32_e32 v8, v8, v1
	s_mov_b32 s2, exec_lo
	s_delay_alu instid0(VALU_DEP_1)
	v_cmpx_gt_u32_e64 s11, v8
	s_cbranch_execz .LBB2463_10
; %bb.9:
	v_sub_co_u32 v12, vcc_lo, v8, s9
	v_mov_b32_e32 v9, 0
	s_delay_alu instid0(VALU_DEP_1) | instskip(SKIP_1) | instid1(VALU_DEP_1)
	v_lshl_add_u64 v[10:11], v[8:9], 1, s[12:13]
	v_mov_b32_e32 v13, v9
	v_lshl_add_u64 v[12:13], v[12:13], 1, s[6:7]
	s_delay_alu instid0(VALU_DEP_1)
	v_dual_cndmask_b32 v11, v13, v11 :: v_dual_cndmask_b32 v10, v12, v10
	global_load_u16 v7, v[10:11], off
	s_wait_loadcnt 0x0
	v_perm_b32 v3, v7, v3, 0x5040100
.LBB2463_10:
	s_or_b32 exec_lo, exec_lo, s2
	v_add_nc_u32_e32 v8, v8, v1
	s_mov_b32 s2, exec_lo
	s_delay_alu instid0(VALU_DEP_1)
	v_cmpx_gt_u32_e64 s11, v8
	s_cbranch_execz .LBB2463_12
; %bb.11:
	v_sub_co_u32 v12, vcc_lo, v8, s9
	v_mov_b32_e32 v9, 0
	s_delay_alu instid0(VALU_DEP_1) | instskip(SKIP_1) | instid1(VALU_DEP_1)
	v_lshl_add_u64 v[10:11], v[8:9], 1, s[12:13]
	v_mov_b32_e32 v13, v9
	v_lshl_add_u64 v[12:13], v[12:13], 1, s[6:7]
	s_delay_alu instid0(VALU_DEP_1)
	v_dual_cndmask_b32 v11, v13, v11 :: v_dual_cndmask_b32 v10, v12, v10
	global_load_u16 v7, v[10:11], off
	s_wait_loadcnt 0x0
	v_bfi_b32 v4, 0xffff, v7, v4
.LBB2463_12:
	s_or_b32 exec_lo, exec_lo, s2
	v_add_nc_u32_e32 v8, v8, v1
	s_mov_b32 s2, exec_lo
	s_delay_alu instid0(VALU_DEP_1)
	v_cmpx_gt_u32_e64 s11, v8
	s_cbranch_execz .LBB2463_14
; %bb.13:
	v_sub_co_u32 v12, vcc_lo, v8, s9
	v_mov_b32_e32 v9, 0
	s_delay_alu instid0(VALU_DEP_1) | instskip(SKIP_1) | instid1(VALU_DEP_1)
	v_lshl_add_u64 v[10:11], v[8:9], 1, s[12:13]
	v_mov_b32_e32 v13, v9
	v_lshl_add_u64 v[12:13], v[12:13], 1, s[6:7]
	s_delay_alu instid0(VALU_DEP_1)
	v_dual_cndmask_b32 v11, v13, v11 :: v_dual_cndmask_b32 v10, v12, v10
	global_load_u16 v7, v[10:11], off
	s_wait_loadcnt 0x0
	v_perm_b32 v4, v7, v4, 0x5040100
.LBB2463_14:
	s_or_b32 exec_lo, exec_lo, s2
	v_add_nc_u32_e32 v8, v8, v1
	s_mov_b32 s2, exec_lo
	s_delay_alu instid0(VALU_DEP_1)
	v_cmpx_gt_u32_e64 s11, v8
	s_cbranch_execz .LBB2463_16
; %bb.15:
	v_sub_co_u32 v12, vcc_lo, v8, s9
	v_mov_b32_e32 v9, 0
	s_delay_alu instid0(VALU_DEP_1) | instskip(SKIP_1) | instid1(VALU_DEP_1)
	v_lshl_add_u64 v[10:11], v[8:9], 1, s[12:13]
	v_mov_b32_e32 v13, v9
	v_lshl_add_u64 v[12:13], v[12:13], 1, s[6:7]
	s_delay_alu instid0(VALU_DEP_1)
	v_dual_cndmask_b32 v11, v13, v11 :: v_dual_cndmask_b32 v10, v12, v10
	global_load_u16 v7, v[10:11], off
	s_wait_loadcnt 0x0
	v_bfi_b32 v5, 0xffff, v7, v5
.LBB2463_16:
	s_or_b32 exec_lo, exec_lo, s2
	v_add_nc_u32_e32 v8, v8, v1
	s_mov_b32 s2, exec_lo
	s_delay_alu instid0(VALU_DEP_1)
	v_cmpx_gt_u32_e64 s11, v8
	s_cbranch_execz .LBB2463_18
; %bb.17:
	v_mov_b32_e32 v9, 0
	s_delay_alu instid0(VALU_DEP_1) | instskip(SKIP_1) | instid1(VALU_DEP_1)
	v_lshl_add_u64 v[10:11], v[8:9], 1, s[12:13]
	v_sub_co_u32 v8, vcc_lo, v8, s9
	v_lshl_add_u64 v[8:9], v[8:9], 1, s[6:7]
	s_delay_alu instid0(VALU_DEP_1)
	v_dual_cndmask_b32 v9, v9, v11 :: v_dual_cndmask_b32 v8, v8, v10
	global_load_u16 v1, v[8:9], off
	s_wait_loadcnt 0x0
	v_perm_b32 v5, v1, v5, 0x5040100
.LBB2463_18:
	s_or_b32 exec_lo, exec_lo, s2
.LBB2463_19:
	s_clause 0x1
	s_load_b64 s[12:13], s[0:1], 0x10
	s_load_b32 s16, s[0:1], 0x34
	v_dual_lshlrev_b32 v1, 3, v0 :: v_dual_lshrrev_b32 v7, 16, v2
	v_dual_lshrrev_b32 v9, 16, v3 :: v_dual_lshrrev_b32 v8, 16, v4
	v_lshrrev_b32_e32 v10, 16, v5
	s_delay_alu instid0(VALU_DEP_3)
	v_min_u32_e32 v12, s11, v1
	s_wait_xcnt 0x0
	s_mov_b32 s0, exec_lo
	ds_store_b16 v6, v2
	ds_store_b16 v6, v7 offset:256
	ds_store_b16 v6, v3 offset:512
	;; [unrolled: 1-line block ×7, first 2 shown]
	s_wait_dscnt 0x0
	s_barrier_signal -1
	v_sub_nc_u32_e64 v11, v12, s15 clamp
	v_min_u32_e32 v13, s9, v12
	s_barrier_wait -1
	s_delay_alu instid0(VALU_DEP_1)
	v_cmpx_lt_u32_e64 v11, v13
	s_cbranch_execz .LBB2463_23
; %bb.20:
	v_lshlrev_b32_e32 v14, 1, v12
	s_mov_b32 s1, 0
	s_delay_alu instid0(VALU_DEP_1)
	v_lshl_add_u32 v14, s9, 1, v14
.LBB2463_21:                            ; =>This Inner Loop Header: Depth=1
	v_add_nc_u32_e32 v15, v13, v11
	s_delay_alu instid0(VALU_DEP_1) | instskip(NEXT) | instid1(VALU_DEP_1)
	v_dual_lshrrev_b32 v16, 1, v15 :: v_dual_bitop2_b32 v15, -2, v15 bitop3:0x40
	v_not_b32_e32 v17, v16
	v_add_nc_u32_e32 v18, 1, v16
	s_delay_alu instid0(VALU_DEP_2)
	v_lshl_add_u32 v17, v17, 1, v14
	ds_load_u16 v15, v15
	ds_load_u16 v17, v17
	s_wait_dscnt 0x1
	s_wait_kmcnt 0x0
	v_and_b32_e32 v15, s16, v15
	s_wait_dscnt 0x0
	v_and_b32_e32 v17, s16, v17
	s_delay_alu instid0(VALU_DEP_1) | instskip(SKIP_1) | instid1(VALU_DEP_1)
	v_cmp_gt_u16_e32 vcc_lo, v15, v17
	v_dual_cndmask_b32 v13, v13, v16, vcc_lo :: v_dual_cndmask_b32 v11, v18, v11, vcc_lo
	v_cmp_ge_u32_e32 vcc_lo, v11, v13
	s_or_b32 s1, vcc_lo, s1
	s_delay_alu instid0(SALU_CYCLE_1)
	s_and_not1_b32 exec_lo, exec_lo, s1
	s_cbranch_execnz .LBB2463_21
; %bb.22:
	s_or_b32 exec_lo, exec_lo, s1
.LBB2463_23:
	s_delay_alu instid0(SALU_CYCLE_1) | instskip(SKIP_2) | instid1(VALU_DEP_2)
	s_or_b32 exec_lo, exec_lo, s0
	v_sub_nc_u32_e32 v12, v12, v11
	v_cmp_ge_u32_e32 vcc_lo, s9, v11
	v_add_nc_u32_e32 v12, s9, v12
	s_delay_alu instid0(VALU_DEP_1) | instskip(SKIP_1) | instid1(SALU_CYCLE_1)
	v_cmp_ge_u32_e64 s0, s11, v12
	s_or_b32 s0, vcc_lo, s0
	s_and_saveexec_b32 s15, s0
	s_cbranch_execz .LBB2463_29
; %bb.24:
	v_cmp_gt_u32_e32 vcc_lo, s9, v11
                                        ; implicit-def: $vgpr2
	s_and_saveexec_b32 s0, vcc_lo
; %bb.25:
	v_lshlrev_b32_e32 v2, 1, v11
	ds_load_u16 v2, v2
; %bb.26:
	s_or_b32 exec_lo, exec_lo, s0
	v_cmp_le_u32_e64 s0, s11, v12
	s_mov_b32 s2, exec_lo
                                        ; implicit-def: $vgpr3
	v_cmpx_gt_u32_e64 s11, v12
; %bb.27:
	v_lshlrev_b32_e32 v3, 1, v12
	ds_load_u16 v3, v3
; %bb.28:
	s_or_b32 exec_lo, exec_lo, s2
	s_wait_dscnt 0x0
	s_wait_kmcnt 0x0
	v_and_b32_e32 v4, s16, v3
	v_and_b32_e32 v5, s16, v2
	s_delay_alu instid0(VALU_DEP_1) | instskip(SKIP_2) | instid1(SALU_CYCLE_1)
	v_cmp_le_u16_e64 s1, v5, v4
	v_mov_b32_e32 v4, s9
	s_and_b32 s1, vcc_lo, s1
	s_or_b32 vcc_lo, s0, s1
	v_cndmask_b32_e32 v5, v12, v11, vcc_lo
	s_delay_alu instid0(VALU_DEP_1) | instskip(NEXT) | instid1(VALU_DEP_1)
	v_dual_cndmask_b32 v7, s11, v4, vcc_lo :: v_dual_add_nc_u32 v5, 1, v5
	v_add_min_u32_e64 v7, v7, -1, v5
	v_dual_cndmask_b32 v9, v11, v5, vcc_lo :: v_dual_cndmask_b32 v5, v5, v12, vcc_lo
	s_delay_alu instid0(VALU_DEP_2) | instskip(NEXT) | instid1(VALU_DEP_2)
	v_lshlrev_b32_e32 v7, 1, v7
	v_cmp_gt_u32_e64 s0, s9, v9
	s_delay_alu instid0(VALU_DEP_3) | instskip(SKIP_4) | instid1(VALU_DEP_2)
	v_cmp_le_u32_e64 s2, s11, v5
	ds_load_u16 v7, v7
	s_wait_dscnt 0x0
	v_cndmask_b32_e32 v8, v7, v3, vcc_lo
	v_dual_cndmask_b32 v7, v2, v7 :: v_dual_cndmask_b32 v2, v3, v2
	v_and_b32_e32 v10, s16, v8
	s_delay_alu instid0(VALU_DEP_2) | instskip(NEXT) | instid1(VALU_DEP_1)
	v_and_b32_e32 v11, s16, v7
	v_cmp_le_u16_e64 s1, v11, v10
	s_and_b32 s0, s0, s1
	s_delay_alu instid0(SALU_CYCLE_1) | instskip(NEXT) | instid1(SALU_CYCLE_1)
	s_or_b32 s0, s2, s0
	v_cndmask_b32_e64 v10, v5, v9, s0
	s_delay_alu instid0(VALU_DEP_1) | instskip(NEXT) | instid1(VALU_DEP_1)
	v_dual_cndmask_b32 v11, s11, v4, s0 :: v_dual_add_nc_u32 v10, 1, v10
	v_add_min_u32_e64 v11, v11, -1, v10
	v_dual_cndmask_b32 v9, v9, v10, s0 :: v_dual_cndmask_b32 v5, v10, v5, s0
	s_delay_alu instid0(VALU_DEP_2) | instskip(NEXT) | instid1(VALU_DEP_2)
	v_lshlrev_b32_e32 v11, 1, v11
	v_cmp_gt_u32_e64 s1, s9, v9
	s_delay_alu instid0(VALU_DEP_3)
	v_cmp_le_u32_e64 s3, s11, v5
	ds_load_u16 v11, v11
	s_wait_dscnt 0x0
	v_cndmask_b32_e64 v12, v11, v8, s0
	v_cndmask_b32_e64 v11, v7, v11, s0
	;; [unrolled: 1-line block ×3, first 2 shown]
	s_delay_alu instid0(VALU_DEP_2) | instskip(NEXT) | instid1(VALU_DEP_4)
	v_and_b32_e32 v14, s16, v11
	v_and_b32_e32 v13, s16, v12
	s_delay_alu instid0(VALU_DEP_1) | instskip(SKIP_1) | instid1(SALU_CYCLE_1)
	v_cmp_le_u16_e64 s2, v14, v13
	s_and_b32 s1, s1, s2
	s_or_b32 s1, s3, s1
	s_delay_alu instid0(SALU_CYCLE_1) | instskip(NEXT) | instid1(VALU_DEP_1)
	v_cndmask_b32_e64 v10, v5, v9, s1
	v_dual_cndmask_b32 v13, s11, v4, s1 :: v_dual_add_nc_u32 v10, 1, v10
	s_delay_alu instid0(VALU_DEP_1) | instskip(NEXT) | instid1(VALU_DEP_1)
	v_add_min_u32_e64 v13, v13, -1, v10
	v_dual_cndmask_b32 v9, v9, v10, s1 :: v_dual_lshlrev_b32 v13, 1, v13
	s_delay_alu instid0(VALU_DEP_1) | instskip(SKIP_3) | instid1(VALU_DEP_1)
	v_cmp_gt_u32_e64 s2, s9, v9
	ds_load_u16 v13, v13
	s_wait_dscnt 0x0
	v_dual_cndmask_b32 v14, v13, v12, s1 :: v_dual_cndmask_b32 v13, v11, v13, s1
	v_dual_cndmask_b32 v5, v10, v5, s1 :: v_dual_bitop2_b32 v15, s16, v14 bitop3:0x40
	s_delay_alu instid0(VALU_DEP_2) | instskip(NEXT) | instid1(VALU_DEP_2)
	v_and_b32_e32 v16, s16, v13
	v_cmp_le_u32_e64 s4, s11, v5
	s_delay_alu instid0(VALU_DEP_2) | instskip(SKIP_1) | instid1(SALU_CYCLE_1)
	v_cmp_le_u16_e64 s3, v16, v15
	s_and_b32 s2, s2, s3
	s_or_b32 s2, s4, s2
	s_delay_alu instid0(SALU_CYCLE_1) | instskip(NEXT) | instid1(VALU_DEP_1)
	v_dual_cndmask_b32 v3, v12, v11, s1 :: v_dual_cndmask_b32 v10, v5, v9, s2
	v_dual_cndmask_b32 v15, s11, v4, s2 :: v_dual_add_nc_u32 v10, 1, v10
	s_delay_alu instid0(VALU_DEP_1) | instskip(NEXT) | instid1(VALU_DEP_1)
	v_add_min_u32_e64 v15, v15, -1, v10
	v_lshlrev_b32_e32 v15, 1, v15
	ds_load_u16 v15, v15
	s_wait_dscnt 0x0
	v_dual_cndmask_b32 v16, v15, v14, s2 :: v_dual_cndmask_b32 v15, v13, v15, s2
	v_dual_cndmask_b32 v5, v10, v5, s2 :: v_dual_cndmask_b32 v9, v9, v10, s2
	s_delay_alu instid0(VALU_DEP_2) | instskip(NEXT) | instid1(VALU_DEP_3)
	v_and_b32_e32 v17, s16, v16
	v_and_b32_e32 v18, s16, v15
	s_delay_alu instid0(VALU_DEP_3) | instskip(NEXT) | instid1(VALU_DEP_4)
	v_cmp_le_u32_e64 s5, s11, v5
	v_cmp_gt_u32_e64 s3, s9, v9
	s_delay_alu instid0(VALU_DEP_3) | instskip(SKIP_1) | instid1(SALU_CYCLE_1)
	v_cmp_le_u16_e64 s4, v18, v17
	s_and_b32 s3, s3, s4
	s_or_b32 s3, s5, s3
	s_delay_alu instid0(SALU_CYCLE_1) | instskip(NEXT) | instid1(VALU_DEP_1)
	v_cndmask_b32_e64 v10, v5, v9, s3
	v_dual_cndmask_b32 v17, s11, v4, s3 :: v_dual_add_nc_u32 v10, 1, v10
	s_delay_alu instid0(VALU_DEP_1) | instskip(NEXT) | instid1(VALU_DEP_1)
	v_add_min_u32_e64 v17, v17, -1, v10
	v_dual_cndmask_b32 v9, v9, v10, s3 :: v_dual_lshlrev_b32 v17, 1, v17
	s_delay_alu instid0(VALU_DEP_1) | instskip(SKIP_3) | instid1(VALU_DEP_1)
	v_cmp_gt_u32_e64 s4, s9, v9
	ds_load_u16 v17, v17
	s_wait_dscnt 0x0
	v_dual_cndmask_b32 v18, v17, v16, s3 :: v_dual_cndmask_b32 v17, v15, v17, s3
	v_dual_cndmask_b32 v5, v10, v5, s3 :: v_dual_bitop2_b32 v19, s16, v18 bitop3:0x40
	s_delay_alu instid0(VALU_DEP_2) | instskip(NEXT) | instid1(VALU_DEP_2)
	v_and_b32_e32 v20, s16, v17
	v_cmp_le_u32_e64 s6, s11, v5
	s_delay_alu instid0(VALU_DEP_2) | instskip(SKIP_1) | instid1(SALU_CYCLE_1)
	v_cmp_le_u16_e64 s5, v20, v19
	s_and_b32 s4, s4, s5
	s_or_b32 s4, s6, s4
	s_delay_alu instid0(SALU_CYCLE_1) | instskip(SKIP_1) | instid1(VALU_DEP_2)
	v_cndmask_b32_e64 v10, v5, v9, s4
	v_cndmask_b32_e64 v19, s11, v4, s4
	v_dual_cndmask_b32 v8, v18, v17, s4 :: v_dual_add_nc_u32 v10, 1, v10
	s_delay_alu instid0(VALU_DEP_1) | instskip(NEXT) | instid1(VALU_DEP_1)
	v_add_min_u32_e64 v19, v19, -1, v10
	v_lshlrev_b32_e32 v19, 1, v19
	ds_load_u16 v19, v19
	s_wait_dscnt 0x0
	v_dual_cndmask_b32 v20, v19, v18, s4 :: v_dual_cndmask_b32 v19, v17, v19, s4
	v_dual_cndmask_b32 v5, v10, v5, s4 :: v_dual_cndmask_b32 v9, v9, v10, s4
	s_delay_alu instid0(VALU_DEP_2) | instskip(NEXT) | instid1(VALU_DEP_3)
	v_and_b32_e32 v21, s16, v20
	v_and_b32_e32 v22, s16, v19
	s_delay_alu instid0(VALU_DEP_3) | instskip(NEXT) | instid1(VALU_DEP_4)
	v_cmp_le_u32_e64 s7, s11, v5
	v_cmp_gt_u32_e64 s5, s9, v9
	s_delay_alu instid0(VALU_DEP_3) | instskip(SKIP_1) | instid1(SALU_CYCLE_1)
	v_cmp_le_u16_e64 s6, v22, v21
	s_and_b32 s5, s5, s6
	s_or_b32 s5, s7, s5
	s_delay_alu instid0(SALU_CYCLE_1) | instskip(NEXT) | instid1(VALU_DEP_1)
	v_cndmask_b32_e64 v10, v5, v9, s5
	v_dual_cndmask_b32 v4, s11, v4, s5 :: v_dual_add_nc_u32 v10, 1, v10
	s_delay_alu instid0(VALU_DEP_1) | instskip(NEXT) | instid1(VALU_DEP_1)
	v_add_min_u32_e64 v4, v4, -1, v10
	v_dual_cndmask_b32 v5, v10, v5, s5 :: v_dual_lshlrev_b32 v4, 1, v4
	s_delay_alu instid0(VALU_DEP_1) | instskip(SKIP_4) | instid1(VALU_DEP_2)
	v_cmp_le_u32_e64 s1, s11, v5
	ds_load_u16 v4, v4
	s_wait_dscnt 0x0
	v_cndmask_b32_e64 v21, v4, v20, s5
	v_dual_cndmask_b32 v22, v19, v4, s5 :: v_dual_cndmask_b32 v4, v9, v10, s5
	v_and_b32_e32 v9, s16, v21
	s_delay_alu instid0(VALU_DEP_2) | instskip(NEXT) | instid1(VALU_DEP_3)
	v_and_b32_e32 v23, s16, v22
	v_cmp_gt_u32_e32 vcc_lo, s9, v4
	v_cndmask_b32_e64 v4, v16, v15, s3
	s_delay_alu instid0(VALU_DEP_3) | instskip(SKIP_2) | instid1(SALU_CYCLE_1)
	v_cmp_le_u16_e64 s0, v23, v9
	v_cndmask_b32_e64 v9, v14, v13, s2
	s_and_b32 s0, vcc_lo, s0
	s_or_b32 vcc_lo, s1, s0
	s_delay_alu instid0(SALU_CYCLE_1)
	v_dual_cndmask_b32 v5, v20, v19, s5 :: v_dual_cndmask_b32 v10, v21, v22, vcc_lo
.LBB2463_29:
	s_or_b32 exec_lo, exec_lo, s15
	v_lshrrev_b32_e32 v11, 1, v0
	v_or_b32_e32 v12, 0x80, v0
	v_perm_b32 v2, v7, v2, 0x5040100
	v_lshrrev_b32_e32 v7, 4, v0
	v_perm_b32 v3, v9, v3, 0x5040100
	s_delay_alu instid0(VALU_DEP_4) | instskip(SKIP_2) | instid1(VALU_DEP_3)
	v_dual_lshrrev_b32 v9, 4, v12 :: v_dual_bitop2_b32 v11, 60, v11 bitop3:0x40
	v_perm_b32 v4, v8, v4, 0x5040100
	v_perm_b32 v5, v10, v5, 0x5040100
	v_lshl_add_u32 v1, v1, 1, v11
	v_or_b32_e32 v11, 0x100, v0
	s_barrier_signal -1
	s_barrier_wait -1
	s_delay_alu instid0(VALU_DEP_1)
	v_dual_lshrrev_b32 v13, 4, v11 :: v_dual_bitop2_b32 v8, 12, v9 bitop3:0x40
	v_and_b32_e32 v7, 4, v7
	v_or_b32_e32 v9, 0x180, v0
	s_barrier_signal -1
	s_barrier_wait -1
	v_and_b32_e32 v14, 20, v13
	ds_store_2addr_b32 v1, v2, v3 offset1:1
	ds_store_2addr_b32 v1, v4, v5 offset0:2 offset1:3
	v_dual_add_nc_u32 v13, v8, v6 :: v_dual_add_nc_u32 v10, v7, v6
	v_dual_lshrrev_b32 v1, 4, v9 :: v_dual_add_nc_u32 v14, v14, v6
	v_or_b32_e32 v8, 0x200, v0
	v_or_b32_e32 v5, 0x280, v0
	;; [unrolled: 1-line block ×3, first 2 shown]
	s_delay_alu instid0(VALU_DEP_4) | instskip(SKIP_1) | instid1(VALU_DEP_4)
	v_and_b32_e32 v2, 28, v1
	v_or_b32_e32 v1, 0x380, v0
	v_dual_lshrrev_b32 v3, 4, v8 :: v_dual_lshrrev_b32 v7, 4, v5
	s_delay_alu instid0(VALU_DEP_3) | instskip(NEXT) | instid1(VALU_DEP_3)
	v_dual_lshrrev_b32 v16, 4, v4 :: v_dual_add_nc_u32 v15, v2, v6
	v_lshrrev_b32_e32 v2, 4, v1
	s_mov_b32 s11, 0
	s_delay_alu instid0(VALU_DEP_3)
	v_and_b32_e32 v3, 36, v3
	v_dual_mov_b32 v7, 0 :: v_dual_bitop2_b32 v17, 44, v7 bitop3:0x40
	s_lshl_b64 s[0:1], s[10:11], 1
	v_and_b32_e32 v18, 52, v16
	v_and_b32_e32 v19, 60, v2
	s_wait_kmcnt 0x0
	s_add_nc_u64 s[0:1], s[12:13], s[0:1]
	v_add_nc_u32_e32 v16, v3, v6
	v_add_nc_u64_e32 v[2:3], s[0:1], v[6:7]
	v_dual_add_nc_u32 v17, v17, v6 :: v_dual_add_nc_u32 v18, v18, v6
	v_add_nc_u32_e32 v19, v19, v6
	s_and_b32 vcc_lo, exec_lo, s14
	s_wait_dscnt 0x0
	s_cbranch_vccz .LBB2463_31
; %bb.30:
	s_barrier_signal -1
	s_barrier_wait -1
	ds_load_u16 v7, v10
	ds_load_u16 v20, v13 offset:256
	ds_load_u16 v21, v14 offset:512
	;; [unrolled: 1-line block ×7, first 2 shown]
	s_mov_b32 s11, -1
	s_wait_dscnt 0x7
	global_store_b16 v[2:3], v7, off
	s_wait_dscnt 0x6
	global_store_b16 v[2:3], v20, off offset:256
	s_wait_dscnt 0x5
	global_store_b16 v[2:3], v21, off offset:512
	s_wait_dscnt 0x4
	global_store_b16 v[2:3], v22, off offset:768
	s_wait_dscnt 0x3
	global_store_b16 v[2:3], v23, off offset:1024
	s_wait_dscnt 0x2
	global_store_b16 v[2:3], v24, off offset:1280
	s_wait_dscnt 0x1
	global_store_b16 v[2:3], v25, off offset:1536
	s_cbranch_execz .LBB2463_32
	s_branch .LBB2463_41
.LBB2463_31:
                                        ; implicit-def: $vgpr6
.LBB2463_32:
	s_barrier_signal -1
	s_barrier_wait -1
	s_wait_storecnt_dscnt 0x0
	s_wait_xcnt 0x4
	ds_load_u16 v21, v13 offset:256
	ds_load_u16 v20, v14 offset:512
	;; [unrolled: 1-line block ×7, first 2 shown]
	s_sub_co_i32 s0, s8, s10
	s_mov_b32 s1, exec_lo
	s_wait_xcnt 0x0
	v_cmpx_gt_u32_e64 s0, v0
	s_cbranch_execnz .LBB2463_46
; %bb.33:
	s_or_b32 exec_lo, exec_lo, s1
	s_delay_alu instid0(SALU_CYCLE_1)
	s_mov_b32 s1, exec_lo
	v_cmpx_gt_u32_e64 s0, v12
	s_cbranch_execnz .LBB2463_47
.LBB2463_34:
	s_or_b32 exec_lo, exec_lo, s1
	s_delay_alu instid0(SALU_CYCLE_1)
	s_mov_b32 s1, exec_lo
	v_cmpx_gt_u32_e64 s0, v11
	s_cbranch_execnz .LBB2463_48
.LBB2463_35:
	s_or_b32 exec_lo, exec_lo, s1
	s_delay_alu instid0(SALU_CYCLE_1)
	s_mov_b32 s1, exec_lo
	v_cmpx_gt_u32_e64 s0, v9
	s_cbranch_execnz .LBB2463_49
.LBB2463_36:
	s_or_b32 exec_lo, exec_lo, s1
	s_delay_alu instid0(SALU_CYCLE_1)
	s_mov_b32 s1, exec_lo
	v_cmpx_gt_u32_e64 s0, v8
	s_cbranch_execnz .LBB2463_50
.LBB2463_37:
	s_or_b32 exec_lo, exec_lo, s1
	s_delay_alu instid0(SALU_CYCLE_1)
	s_mov_b32 s1, exec_lo
	v_cmpx_gt_u32_e64 s0, v5
	s_cbranch_execnz .LBB2463_51
.LBB2463_38:
	s_or_b32 exec_lo, exec_lo, s1
	s_delay_alu instid0(SALU_CYCLE_1)
	s_mov_b32 s1, exec_lo
	v_cmpx_gt_u32_e64 s0, v4
	s_cbranch_execz .LBB2463_40
.LBB2463_39:
	s_wait_dscnt 0x1
	global_store_b16 v[2:3], v7, off offset:1536
.LBB2463_40:
	s_wait_xcnt 0x0
	s_or_b32 exec_lo, exec_lo, s1
	v_cmp_gt_u32_e64 s11, s0, v1
.LBB2463_41:
	s_wait_xcnt 0x0
	s_delay_alu instid0(VALU_DEP_1)
	s_and_saveexec_b32 s0, s11
	s_cbranch_execz .LBB2463_43
; %bb.42:
	s_wait_dscnt 0x0
	global_store_b16 v[2:3], v6, off offset:1792
.LBB2463_43:
	s_endpgm
.LBB2463_44:
	v_dual_mov_b32 v7, v2 :: v_dual_mov_b32 v5, v2
	v_sub_co_u32 v4, vcc_lo, v0, s9
	v_mov_b32_e32 v15, v2
	s_delay_alu instid0(VALU_DEP_3) | instskip(SKIP_1) | instid1(VALU_DEP_4)
	v_add_nc_u64_e32 v[12:13], s[12:13], v[6:7]
	v_mov_b32_e32 v14, v2
	v_lshl_add_u64 v[4:5], v[4:5], 1, s[6:7]
	s_delay_alu instid0(VALU_DEP_1) | instskip(SKIP_4) | instid1(VALU_DEP_1)
	v_dual_cndmask_b32 v5, v5, v13 :: v_dual_cndmask_b32 v4, v4, v12
	v_mov_b32_e32 v13, v2
	global_load_u16 v3, v[4:5], off
	s_wait_loadcnt 0x0
	v_and_b32_e32 v12, 0xffff, v3
	v_mov_b64_e32 v[2:3], v[12:13]
	v_mov_b64_e32 v[4:5], v[14:15]
	s_or_b32 exec_lo, exec_lo, s2
	s_delay_alu instid0(SALU_CYCLE_1)
	s_mov_b32 s2, exec_lo
	v_cmpx_gt_u32_e64 s11, v10
	s_cbranch_execz .LBB2463_6
.LBB2463_45:
	v_mov_b32_e32 v11, 0
	s_delay_alu instid0(VALU_DEP_1) | instskip(SKIP_1) | instid1(VALU_DEP_1)
	v_lshl_add_u64 v[12:13], v[10:11], 1, s[12:13]
	v_sub_co_u32 v10, vcc_lo, v10, s9
	v_lshl_add_u64 v[10:11], v[10:11], 1, s[6:7]
	s_delay_alu instid0(VALU_DEP_1) | instskip(SKIP_4) | instid1(SALU_CYCLE_1)
	v_dual_cndmask_b32 v11, v11, v13 :: v_dual_cndmask_b32 v10, v10, v12
	global_load_u16 v7, v[10:11], off
	s_wait_loadcnt 0x0
	v_perm_b32 v2, v7, v2, 0x5040100
	s_or_b32 exec_lo, exec_lo, s2
	s_mov_b32 s2, exec_lo
	v_cmpx_gt_u32_e64 s11, v8
	s_cbranch_execnz .LBB2463_7
	s_branch .LBB2463_8
.LBB2463_46:
	ds_load_u16 v0, v10
	s_wait_dscnt 0x0
	global_store_b16 v[2:3], v0, off
	s_wait_xcnt 0x0
	s_or_b32 exec_lo, exec_lo, s1
	s_delay_alu instid0(SALU_CYCLE_1)
	s_mov_b32 s1, exec_lo
	v_cmpx_gt_u32_e64 s0, v12
	s_cbranch_execz .LBB2463_34
.LBB2463_47:
	s_wait_dscnt 0x6
	global_store_b16 v[2:3], v21, off offset:256
	s_wait_xcnt 0x0
	s_or_b32 exec_lo, exec_lo, s1
	s_delay_alu instid0(SALU_CYCLE_1)
	s_mov_b32 s1, exec_lo
	v_cmpx_gt_u32_e64 s0, v11
	s_cbranch_execz .LBB2463_35
.LBB2463_48:
	s_wait_dscnt 0x5
	global_store_b16 v[2:3], v20, off offset:512
	s_wait_xcnt 0x0
	s_or_b32 exec_lo, exec_lo, s1
	s_delay_alu instid0(SALU_CYCLE_1)
	s_mov_b32 s1, exec_lo
	v_cmpx_gt_u32_e64 s0, v9
	s_cbranch_execz .LBB2463_36
.LBB2463_49:
	s_wait_dscnt 0x4
	global_store_b16 v[2:3], v15, off offset:768
	s_wait_xcnt 0x0
	s_or_b32 exec_lo, exec_lo, s1
	s_delay_alu instid0(SALU_CYCLE_1)
	s_mov_b32 s1, exec_lo
	v_cmpx_gt_u32_e64 s0, v8
	s_cbranch_execz .LBB2463_37
.LBB2463_50:
	s_wait_dscnt 0x3
	global_store_b16 v[2:3], v14, off offset:1024
	s_wait_xcnt 0x0
	s_or_b32 exec_lo, exec_lo, s1
	s_delay_alu instid0(SALU_CYCLE_1)
	s_mov_b32 s1, exec_lo
	v_cmpx_gt_u32_e64 s0, v5
	s_cbranch_execz .LBB2463_38
.LBB2463_51:
	s_wait_dscnt 0x2
	global_store_b16 v[2:3], v13, off offset:1280
	s_wait_xcnt 0x0
	s_or_b32 exec_lo, exec_lo, s1
	s_delay_alu instid0(SALU_CYCLE_1)
	s_mov_b32 s1, exec_lo
	v_cmpx_gt_u32_e64 s0, v4
	s_cbranch_execnz .LBB2463_39
	s_branch .LBB2463_40
	.section	.rodata,"a",@progbits
	.p2align	6, 0x0
	.amdhsa_kernel _ZN7rocprim17ROCPRIM_400000_NS6detail17trampoline_kernelINS0_14default_configENS1_38merge_sort_block_merge_config_selectorItNS0_10empty_typeEEEZZNS1_27merge_sort_block_merge_implIS3_PtPS5_jNS1_19radix_merge_compareILb0ELb1EtNS0_19identity_decomposerEEEEE10hipError_tT0_T1_T2_jT3_P12ihipStream_tbPNSt15iterator_traitsISE_E10value_typeEPNSK_ISF_E10value_typeEPSG_NS1_7vsmem_tEENKUlT_SE_SF_SG_E_clIS8_S8_S9_S9_EESD_ST_SE_SF_SG_EUlST_E0_NS1_11comp_targetILNS1_3genE0ELNS1_11target_archE4294967295ELNS1_3gpuE0ELNS1_3repE0EEENS1_38merge_mergepath_config_static_selectorELNS0_4arch9wavefront6targetE0EEEvSF_
		.amdhsa_group_segment_fixed_size 2112
		.amdhsa_private_segment_fixed_size 0
		.amdhsa_kernarg_size 320
		.amdhsa_user_sgpr_count 2
		.amdhsa_user_sgpr_dispatch_ptr 0
		.amdhsa_user_sgpr_queue_ptr 0
		.amdhsa_user_sgpr_kernarg_segment_ptr 1
		.amdhsa_user_sgpr_dispatch_id 0
		.amdhsa_user_sgpr_kernarg_preload_length 0
		.amdhsa_user_sgpr_kernarg_preload_offset 0
		.amdhsa_user_sgpr_private_segment_size 0
		.amdhsa_wavefront_size32 1
		.amdhsa_uses_dynamic_stack 0
		.amdhsa_enable_private_segment 0
		.amdhsa_system_sgpr_workgroup_id_x 1
		.amdhsa_system_sgpr_workgroup_id_y 1
		.amdhsa_system_sgpr_workgroup_id_z 1
		.amdhsa_system_sgpr_workgroup_info 0
		.amdhsa_system_vgpr_workitem_id 0
		.amdhsa_next_free_vgpr 27
		.amdhsa_next_free_sgpr 23
		.amdhsa_named_barrier_count 0
		.amdhsa_reserve_vcc 1
		.amdhsa_float_round_mode_32 0
		.amdhsa_float_round_mode_16_64 0
		.amdhsa_float_denorm_mode_32 3
		.amdhsa_float_denorm_mode_16_64 3
		.amdhsa_fp16_overflow 0
		.amdhsa_memory_ordered 1
		.amdhsa_forward_progress 1
		.amdhsa_inst_pref_size 35
		.amdhsa_round_robin_scheduling 0
		.amdhsa_exception_fp_ieee_invalid_op 0
		.amdhsa_exception_fp_denorm_src 0
		.amdhsa_exception_fp_ieee_div_zero 0
		.amdhsa_exception_fp_ieee_overflow 0
		.amdhsa_exception_fp_ieee_underflow 0
		.amdhsa_exception_fp_ieee_inexact 0
		.amdhsa_exception_int_div_zero 0
	.end_amdhsa_kernel
	.section	.text._ZN7rocprim17ROCPRIM_400000_NS6detail17trampoline_kernelINS0_14default_configENS1_38merge_sort_block_merge_config_selectorItNS0_10empty_typeEEEZZNS1_27merge_sort_block_merge_implIS3_PtPS5_jNS1_19radix_merge_compareILb0ELb1EtNS0_19identity_decomposerEEEEE10hipError_tT0_T1_T2_jT3_P12ihipStream_tbPNSt15iterator_traitsISE_E10value_typeEPNSK_ISF_E10value_typeEPSG_NS1_7vsmem_tEENKUlT_SE_SF_SG_E_clIS8_S8_S9_S9_EESD_ST_SE_SF_SG_EUlST_E0_NS1_11comp_targetILNS1_3genE0ELNS1_11target_archE4294967295ELNS1_3gpuE0ELNS1_3repE0EEENS1_38merge_mergepath_config_static_selectorELNS0_4arch9wavefront6targetE0EEEvSF_,"axG",@progbits,_ZN7rocprim17ROCPRIM_400000_NS6detail17trampoline_kernelINS0_14default_configENS1_38merge_sort_block_merge_config_selectorItNS0_10empty_typeEEEZZNS1_27merge_sort_block_merge_implIS3_PtPS5_jNS1_19radix_merge_compareILb0ELb1EtNS0_19identity_decomposerEEEEE10hipError_tT0_T1_T2_jT3_P12ihipStream_tbPNSt15iterator_traitsISE_E10value_typeEPNSK_ISF_E10value_typeEPSG_NS1_7vsmem_tEENKUlT_SE_SF_SG_E_clIS8_S8_S9_S9_EESD_ST_SE_SF_SG_EUlST_E0_NS1_11comp_targetILNS1_3genE0ELNS1_11target_archE4294967295ELNS1_3gpuE0ELNS1_3repE0EEENS1_38merge_mergepath_config_static_selectorELNS0_4arch9wavefront6targetE0EEEvSF_,comdat
.Lfunc_end2463:
	.size	_ZN7rocprim17ROCPRIM_400000_NS6detail17trampoline_kernelINS0_14default_configENS1_38merge_sort_block_merge_config_selectorItNS0_10empty_typeEEEZZNS1_27merge_sort_block_merge_implIS3_PtPS5_jNS1_19radix_merge_compareILb0ELb1EtNS0_19identity_decomposerEEEEE10hipError_tT0_T1_T2_jT3_P12ihipStream_tbPNSt15iterator_traitsISE_E10value_typeEPNSK_ISF_E10value_typeEPSG_NS1_7vsmem_tEENKUlT_SE_SF_SG_E_clIS8_S8_S9_S9_EESD_ST_SE_SF_SG_EUlST_E0_NS1_11comp_targetILNS1_3genE0ELNS1_11target_archE4294967295ELNS1_3gpuE0ELNS1_3repE0EEENS1_38merge_mergepath_config_static_selectorELNS0_4arch9wavefront6targetE0EEEvSF_, .Lfunc_end2463-_ZN7rocprim17ROCPRIM_400000_NS6detail17trampoline_kernelINS0_14default_configENS1_38merge_sort_block_merge_config_selectorItNS0_10empty_typeEEEZZNS1_27merge_sort_block_merge_implIS3_PtPS5_jNS1_19radix_merge_compareILb0ELb1EtNS0_19identity_decomposerEEEEE10hipError_tT0_T1_T2_jT3_P12ihipStream_tbPNSt15iterator_traitsISE_E10value_typeEPNSK_ISF_E10value_typeEPSG_NS1_7vsmem_tEENKUlT_SE_SF_SG_E_clIS8_S8_S9_S9_EESD_ST_SE_SF_SG_EUlST_E0_NS1_11comp_targetILNS1_3genE0ELNS1_11target_archE4294967295ELNS1_3gpuE0ELNS1_3repE0EEENS1_38merge_mergepath_config_static_selectorELNS0_4arch9wavefront6targetE0EEEvSF_
                                        ; -- End function
	.set _ZN7rocprim17ROCPRIM_400000_NS6detail17trampoline_kernelINS0_14default_configENS1_38merge_sort_block_merge_config_selectorItNS0_10empty_typeEEEZZNS1_27merge_sort_block_merge_implIS3_PtPS5_jNS1_19radix_merge_compareILb0ELb1EtNS0_19identity_decomposerEEEEE10hipError_tT0_T1_T2_jT3_P12ihipStream_tbPNSt15iterator_traitsISE_E10value_typeEPNSK_ISF_E10value_typeEPSG_NS1_7vsmem_tEENKUlT_SE_SF_SG_E_clIS8_S8_S9_S9_EESD_ST_SE_SF_SG_EUlST_E0_NS1_11comp_targetILNS1_3genE0ELNS1_11target_archE4294967295ELNS1_3gpuE0ELNS1_3repE0EEENS1_38merge_mergepath_config_static_selectorELNS0_4arch9wavefront6targetE0EEEvSF_.num_vgpr, 27
	.set _ZN7rocprim17ROCPRIM_400000_NS6detail17trampoline_kernelINS0_14default_configENS1_38merge_sort_block_merge_config_selectorItNS0_10empty_typeEEEZZNS1_27merge_sort_block_merge_implIS3_PtPS5_jNS1_19radix_merge_compareILb0ELb1EtNS0_19identity_decomposerEEEEE10hipError_tT0_T1_T2_jT3_P12ihipStream_tbPNSt15iterator_traitsISE_E10value_typeEPNSK_ISF_E10value_typeEPSG_NS1_7vsmem_tEENKUlT_SE_SF_SG_E_clIS8_S8_S9_S9_EESD_ST_SE_SF_SG_EUlST_E0_NS1_11comp_targetILNS1_3genE0ELNS1_11target_archE4294967295ELNS1_3gpuE0ELNS1_3repE0EEENS1_38merge_mergepath_config_static_selectorELNS0_4arch9wavefront6targetE0EEEvSF_.num_agpr, 0
	.set _ZN7rocprim17ROCPRIM_400000_NS6detail17trampoline_kernelINS0_14default_configENS1_38merge_sort_block_merge_config_selectorItNS0_10empty_typeEEEZZNS1_27merge_sort_block_merge_implIS3_PtPS5_jNS1_19radix_merge_compareILb0ELb1EtNS0_19identity_decomposerEEEEE10hipError_tT0_T1_T2_jT3_P12ihipStream_tbPNSt15iterator_traitsISE_E10value_typeEPNSK_ISF_E10value_typeEPSG_NS1_7vsmem_tEENKUlT_SE_SF_SG_E_clIS8_S8_S9_S9_EESD_ST_SE_SF_SG_EUlST_E0_NS1_11comp_targetILNS1_3genE0ELNS1_11target_archE4294967295ELNS1_3gpuE0ELNS1_3repE0EEENS1_38merge_mergepath_config_static_selectorELNS0_4arch9wavefront6targetE0EEEvSF_.numbered_sgpr, 23
	.set _ZN7rocprim17ROCPRIM_400000_NS6detail17trampoline_kernelINS0_14default_configENS1_38merge_sort_block_merge_config_selectorItNS0_10empty_typeEEEZZNS1_27merge_sort_block_merge_implIS3_PtPS5_jNS1_19radix_merge_compareILb0ELb1EtNS0_19identity_decomposerEEEEE10hipError_tT0_T1_T2_jT3_P12ihipStream_tbPNSt15iterator_traitsISE_E10value_typeEPNSK_ISF_E10value_typeEPSG_NS1_7vsmem_tEENKUlT_SE_SF_SG_E_clIS8_S8_S9_S9_EESD_ST_SE_SF_SG_EUlST_E0_NS1_11comp_targetILNS1_3genE0ELNS1_11target_archE4294967295ELNS1_3gpuE0ELNS1_3repE0EEENS1_38merge_mergepath_config_static_selectorELNS0_4arch9wavefront6targetE0EEEvSF_.num_named_barrier, 0
	.set _ZN7rocprim17ROCPRIM_400000_NS6detail17trampoline_kernelINS0_14default_configENS1_38merge_sort_block_merge_config_selectorItNS0_10empty_typeEEEZZNS1_27merge_sort_block_merge_implIS3_PtPS5_jNS1_19radix_merge_compareILb0ELb1EtNS0_19identity_decomposerEEEEE10hipError_tT0_T1_T2_jT3_P12ihipStream_tbPNSt15iterator_traitsISE_E10value_typeEPNSK_ISF_E10value_typeEPSG_NS1_7vsmem_tEENKUlT_SE_SF_SG_E_clIS8_S8_S9_S9_EESD_ST_SE_SF_SG_EUlST_E0_NS1_11comp_targetILNS1_3genE0ELNS1_11target_archE4294967295ELNS1_3gpuE0ELNS1_3repE0EEENS1_38merge_mergepath_config_static_selectorELNS0_4arch9wavefront6targetE0EEEvSF_.private_seg_size, 0
	.set _ZN7rocprim17ROCPRIM_400000_NS6detail17trampoline_kernelINS0_14default_configENS1_38merge_sort_block_merge_config_selectorItNS0_10empty_typeEEEZZNS1_27merge_sort_block_merge_implIS3_PtPS5_jNS1_19radix_merge_compareILb0ELb1EtNS0_19identity_decomposerEEEEE10hipError_tT0_T1_T2_jT3_P12ihipStream_tbPNSt15iterator_traitsISE_E10value_typeEPNSK_ISF_E10value_typeEPSG_NS1_7vsmem_tEENKUlT_SE_SF_SG_E_clIS8_S8_S9_S9_EESD_ST_SE_SF_SG_EUlST_E0_NS1_11comp_targetILNS1_3genE0ELNS1_11target_archE4294967295ELNS1_3gpuE0ELNS1_3repE0EEENS1_38merge_mergepath_config_static_selectorELNS0_4arch9wavefront6targetE0EEEvSF_.uses_vcc, 1
	.set _ZN7rocprim17ROCPRIM_400000_NS6detail17trampoline_kernelINS0_14default_configENS1_38merge_sort_block_merge_config_selectorItNS0_10empty_typeEEEZZNS1_27merge_sort_block_merge_implIS3_PtPS5_jNS1_19radix_merge_compareILb0ELb1EtNS0_19identity_decomposerEEEEE10hipError_tT0_T1_T2_jT3_P12ihipStream_tbPNSt15iterator_traitsISE_E10value_typeEPNSK_ISF_E10value_typeEPSG_NS1_7vsmem_tEENKUlT_SE_SF_SG_E_clIS8_S8_S9_S9_EESD_ST_SE_SF_SG_EUlST_E0_NS1_11comp_targetILNS1_3genE0ELNS1_11target_archE4294967295ELNS1_3gpuE0ELNS1_3repE0EEENS1_38merge_mergepath_config_static_selectorELNS0_4arch9wavefront6targetE0EEEvSF_.uses_flat_scratch, 0
	.set _ZN7rocprim17ROCPRIM_400000_NS6detail17trampoline_kernelINS0_14default_configENS1_38merge_sort_block_merge_config_selectorItNS0_10empty_typeEEEZZNS1_27merge_sort_block_merge_implIS3_PtPS5_jNS1_19radix_merge_compareILb0ELb1EtNS0_19identity_decomposerEEEEE10hipError_tT0_T1_T2_jT3_P12ihipStream_tbPNSt15iterator_traitsISE_E10value_typeEPNSK_ISF_E10value_typeEPSG_NS1_7vsmem_tEENKUlT_SE_SF_SG_E_clIS8_S8_S9_S9_EESD_ST_SE_SF_SG_EUlST_E0_NS1_11comp_targetILNS1_3genE0ELNS1_11target_archE4294967295ELNS1_3gpuE0ELNS1_3repE0EEENS1_38merge_mergepath_config_static_selectorELNS0_4arch9wavefront6targetE0EEEvSF_.has_dyn_sized_stack, 0
	.set _ZN7rocprim17ROCPRIM_400000_NS6detail17trampoline_kernelINS0_14default_configENS1_38merge_sort_block_merge_config_selectorItNS0_10empty_typeEEEZZNS1_27merge_sort_block_merge_implIS3_PtPS5_jNS1_19radix_merge_compareILb0ELb1EtNS0_19identity_decomposerEEEEE10hipError_tT0_T1_T2_jT3_P12ihipStream_tbPNSt15iterator_traitsISE_E10value_typeEPNSK_ISF_E10value_typeEPSG_NS1_7vsmem_tEENKUlT_SE_SF_SG_E_clIS8_S8_S9_S9_EESD_ST_SE_SF_SG_EUlST_E0_NS1_11comp_targetILNS1_3genE0ELNS1_11target_archE4294967295ELNS1_3gpuE0ELNS1_3repE0EEENS1_38merge_mergepath_config_static_selectorELNS0_4arch9wavefront6targetE0EEEvSF_.has_recursion, 0
	.set _ZN7rocprim17ROCPRIM_400000_NS6detail17trampoline_kernelINS0_14default_configENS1_38merge_sort_block_merge_config_selectorItNS0_10empty_typeEEEZZNS1_27merge_sort_block_merge_implIS3_PtPS5_jNS1_19radix_merge_compareILb0ELb1EtNS0_19identity_decomposerEEEEE10hipError_tT0_T1_T2_jT3_P12ihipStream_tbPNSt15iterator_traitsISE_E10value_typeEPNSK_ISF_E10value_typeEPSG_NS1_7vsmem_tEENKUlT_SE_SF_SG_E_clIS8_S8_S9_S9_EESD_ST_SE_SF_SG_EUlST_E0_NS1_11comp_targetILNS1_3genE0ELNS1_11target_archE4294967295ELNS1_3gpuE0ELNS1_3repE0EEENS1_38merge_mergepath_config_static_selectorELNS0_4arch9wavefront6targetE0EEEvSF_.has_indirect_call, 0
	.section	.AMDGPU.csdata,"",@progbits
; Kernel info:
; codeLenInByte = 4472
; TotalNumSgprs: 25
; NumVgprs: 27
; ScratchSize: 0
; MemoryBound: 0
; FloatMode: 240
; IeeeMode: 1
; LDSByteSize: 2112 bytes/workgroup (compile time only)
; SGPRBlocks: 0
; VGPRBlocks: 1
; NumSGPRsForWavesPerEU: 25
; NumVGPRsForWavesPerEU: 27
; NamedBarCnt: 0
; Occupancy: 16
; WaveLimiterHint : 1
; COMPUTE_PGM_RSRC2:SCRATCH_EN: 0
; COMPUTE_PGM_RSRC2:USER_SGPR: 2
; COMPUTE_PGM_RSRC2:TRAP_HANDLER: 0
; COMPUTE_PGM_RSRC2:TGID_X_EN: 1
; COMPUTE_PGM_RSRC2:TGID_Y_EN: 1
; COMPUTE_PGM_RSRC2:TGID_Z_EN: 1
; COMPUTE_PGM_RSRC2:TIDIG_COMP_CNT: 0
	.section	.text._ZN7rocprim17ROCPRIM_400000_NS6detail17trampoline_kernelINS0_14default_configENS1_38merge_sort_block_merge_config_selectorItNS0_10empty_typeEEEZZNS1_27merge_sort_block_merge_implIS3_PtPS5_jNS1_19radix_merge_compareILb0ELb1EtNS0_19identity_decomposerEEEEE10hipError_tT0_T1_T2_jT3_P12ihipStream_tbPNSt15iterator_traitsISE_E10value_typeEPNSK_ISF_E10value_typeEPSG_NS1_7vsmem_tEENKUlT_SE_SF_SG_E_clIS8_S8_S9_S9_EESD_ST_SE_SF_SG_EUlST_E0_NS1_11comp_targetILNS1_3genE10ELNS1_11target_archE1201ELNS1_3gpuE5ELNS1_3repE0EEENS1_38merge_mergepath_config_static_selectorELNS0_4arch9wavefront6targetE0EEEvSF_,"axG",@progbits,_ZN7rocprim17ROCPRIM_400000_NS6detail17trampoline_kernelINS0_14default_configENS1_38merge_sort_block_merge_config_selectorItNS0_10empty_typeEEEZZNS1_27merge_sort_block_merge_implIS3_PtPS5_jNS1_19radix_merge_compareILb0ELb1EtNS0_19identity_decomposerEEEEE10hipError_tT0_T1_T2_jT3_P12ihipStream_tbPNSt15iterator_traitsISE_E10value_typeEPNSK_ISF_E10value_typeEPSG_NS1_7vsmem_tEENKUlT_SE_SF_SG_E_clIS8_S8_S9_S9_EESD_ST_SE_SF_SG_EUlST_E0_NS1_11comp_targetILNS1_3genE10ELNS1_11target_archE1201ELNS1_3gpuE5ELNS1_3repE0EEENS1_38merge_mergepath_config_static_selectorELNS0_4arch9wavefront6targetE0EEEvSF_,comdat
	.protected	_ZN7rocprim17ROCPRIM_400000_NS6detail17trampoline_kernelINS0_14default_configENS1_38merge_sort_block_merge_config_selectorItNS0_10empty_typeEEEZZNS1_27merge_sort_block_merge_implIS3_PtPS5_jNS1_19radix_merge_compareILb0ELb1EtNS0_19identity_decomposerEEEEE10hipError_tT0_T1_T2_jT3_P12ihipStream_tbPNSt15iterator_traitsISE_E10value_typeEPNSK_ISF_E10value_typeEPSG_NS1_7vsmem_tEENKUlT_SE_SF_SG_E_clIS8_S8_S9_S9_EESD_ST_SE_SF_SG_EUlST_E0_NS1_11comp_targetILNS1_3genE10ELNS1_11target_archE1201ELNS1_3gpuE5ELNS1_3repE0EEENS1_38merge_mergepath_config_static_selectorELNS0_4arch9wavefront6targetE0EEEvSF_ ; -- Begin function _ZN7rocprim17ROCPRIM_400000_NS6detail17trampoline_kernelINS0_14default_configENS1_38merge_sort_block_merge_config_selectorItNS0_10empty_typeEEEZZNS1_27merge_sort_block_merge_implIS3_PtPS5_jNS1_19radix_merge_compareILb0ELb1EtNS0_19identity_decomposerEEEEE10hipError_tT0_T1_T2_jT3_P12ihipStream_tbPNSt15iterator_traitsISE_E10value_typeEPNSK_ISF_E10value_typeEPSG_NS1_7vsmem_tEENKUlT_SE_SF_SG_E_clIS8_S8_S9_S9_EESD_ST_SE_SF_SG_EUlST_E0_NS1_11comp_targetILNS1_3genE10ELNS1_11target_archE1201ELNS1_3gpuE5ELNS1_3repE0EEENS1_38merge_mergepath_config_static_selectorELNS0_4arch9wavefront6targetE0EEEvSF_
	.globl	_ZN7rocprim17ROCPRIM_400000_NS6detail17trampoline_kernelINS0_14default_configENS1_38merge_sort_block_merge_config_selectorItNS0_10empty_typeEEEZZNS1_27merge_sort_block_merge_implIS3_PtPS5_jNS1_19radix_merge_compareILb0ELb1EtNS0_19identity_decomposerEEEEE10hipError_tT0_T1_T2_jT3_P12ihipStream_tbPNSt15iterator_traitsISE_E10value_typeEPNSK_ISF_E10value_typeEPSG_NS1_7vsmem_tEENKUlT_SE_SF_SG_E_clIS8_S8_S9_S9_EESD_ST_SE_SF_SG_EUlST_E0_NS1_11comp_targetILNS1_3genE10ELNS1_11target_archE1201ELNS1_3gpuE5ELNS1_3repE0EEENS1_38merge_mergepath_config_static_selectorELNS0_4arch9wavefront6targetE0EEEvSF_
	.p2align	8
	.type	_ZN7rocprim17ROCPRIM_400000_NS6detail17trampoline_kernelINS0_14default_configENS1_38merge_sort_block_merge_config_selectorItNS0_10empty_typeEEEZZNS1_27merge_sort_block_merge_implIS3_PtPS5_jNS1_19radix_merge_compareILb0ELb1EtNS0_19identity_decomposerEEEEE10hipError_tT0_T1_T2_jT3_P12ihipStream_tbPNSt15iterator_traitsISE_E10value_typeEPNSK_ISF_E10value_typeEPSG_NS1_7vsmem_tEENKUlT_SE_SF_SG_E_clIS8_S8_S9_S9_EESD_ST_SE_SF_SG_EUlST_E0_NS1_11comp_targetILNS1_3genE10ELNS1_11target_archE1201ELNS1_3gpuE5ELNS1_3repE0EEENS1_38merge_mergepath_config_static_selectorELNS0_4arch9wavefront6targetE0EEEvSF_,@function
_ZN7rocprim17ROCPRIM_400000_NS6detail17trampoline_kernelINS0_14default_configENS1_38merge_sort_block_merge_config_selectorItNS0_10empty_typeEEEZZNS1_27merge_sort_block_merge_implIS3_PtPS5_jNS1_19radix_merge_compareILb0ELb1EtNS0_19identity_decomposerEEEEE10hipError_tT0_T1_T2_jT3_P12ihipStream_tbPNSt15iterator_traitsISE_E10value_typeEPNSK_ISF_E10value_typeEPSG_NS1_7vsmem_tEENKUlT_SE_SF_SG_E_clIS8_S8_S9_S9_EESD_ST_SE_SF_SG_EUlST_E0_NS1_11comp_targetILNS1_3genE10ELNS1_11target_archE1201ELNS1_3gpuE5ELNS1_3repE0EEENS1_38merge_mergepath_config_static_selectorELNS0_4arch9wavefront6targetE0EEEvSF_: ; @_ZN7rocprim17ROCPRIM_400000_NS6detail17trampoline_kernelINS0_14default_configENS1_38merge_sort_block_merge_config_selectorItNS0_10empty_typeEEEZZNS1_27merge_sort_block_merge_implIS3_PtPS5_jNS1_19radix_merge_compareILb0ELb1EtNS0_19identity_decomposerEEEEE10hipError_tT0_T1_T2_jT3_P12ihipStream_tbPNSt15iterator_traitsISE_E10value_typeEPNSK_ISF_E10value_typeEPSG_NS1_7vsmem_tEENKUlT_SE_SF_SG_E_clIS8_S8_S9_S9_EESD_ST_SE_SF_SG_EUlST_E0_NS1_11comp_targetILNS1_3genE10ELNS1_11target_archE1201ELNS1_3gpuE5ELNS1_3repE0EEENS1_38merge_mergepath_config_static_selectorELNS0_4arch9wavefront6targetE0EEEvSF_
; %bb.0:
	.section	.rodata,"a",@progbits
	.p2align	6, 0x0
	.amdhsa_kernel _ZN7rocprim17ROCPRIM_400000_NS6detail17trampoline_kernelINS0_14default_configENS1_38merge_sort_block_merge_config_selectorItNS0_10empty_typeEEEZZNS1_27merge_sort_block_merge_implIS3_PtPS5_jNS1_19radix_merge_compareILb0ELb1EtNS0_19identity_decomposerEEEEE10hipError_tT0_T1_T2_jT3_P12ihipStream_tbPNSt15iterator_traitsISE_E10value_typeEPNSK_ISF_E10value_typeEPSG_NS1_7vsmem_tEENKUlT_SE_SF_SG_E_clIS8_S8_S9_S9_EESD_ST_SE_SF_SG_EUlST_E0_NS1_11comp_targetILNS1_3genE10ELNS1_11target_archE1201ELNS1_3gpuE5ELNS1_3repE0EEENS1_38merge_mergepath_config_static_selectorELNS0_4arch9wavefront6targetE0EEEvSF_
		.amdhsa_group_segment_fixed_size 0
		.amdhsa_private_segment_fixed_size 0
		.amdhsa_kernarg_size 64
		.amdhsa_user_sgpr_count 2
		.amdhsa_user_sgpr_dispatch_ptr 0
		.amdhsa_user_sgpr_queue_ptr 0
		.amdhsa_user_sgpr_kernarg_segment_ptr 1
		.amdhsa_user_sgpr_dispatch_id 0
		.amdhsa_user_sgpr_kernarg_preload_length 0
		.amdhsa_user_sgpr_kernarg_preload_offset 0
		.amdhsa_user_sgpr_private_segment_size 0
		.amdhsa_wavefront_size32 1
		.amdhsa_uses_dynamic_stack 0
		.amdhsa_enable_private_segment 0
		.amdhsa_system_sgpr_workgroup_id_x 1
		.amdhsa_system_sgpr_workgroup_id_y 0
		.amdhsa_system_sgpr_workgroup_id_z 0
		.amdhsa_system_sgpr_workgroup_info 0
		.amdhsa_system_vgpr_workitem_id 0
		.amdhsa_next_free_vgpr 1
		.amdhsa_next_free_sgpr 1
		.amdhsa_named_barrier_count 0
		.amdhsa_reserve_vcc 0
		.amdhsa_float_round_mode_32 0
		.amdhsa_float_round_mode_16_64 0
		.amdhsa_float_denorm_mode_32 3
		.amdhsa_float_denorm_mode_16_64 3
		.amdhsa_fp16_overflow 0
		.amdhsa_memory_ordered 1
		.amdhsa_forward_progress 1
		.amdhsa_inst_pref_size 0
		.amdhsa_round_robin_scheduling 0
		.amdhsa_exception_fp_ieee_invalid_op 0
		.amdhsa_exception_fp_denorm_src 0
		.amdhsa_exception_fp_ieee_div_zero 0
		.amdhsa_exception_fp_ieee_overflow 0
		.amdhsa_exception_fp_ieee_underflow 0
		.amdhsa_exception_fp_ieee_inexact 0
		.amdhsa_exception_int_div_zero 0
	.end_amdhsa_kernel
	.section	.text._ZN7rocprim17ROCPRIM_400000_NS6detail17trampoline_kernelINS0_14default_configENS1_38merge_sort_block_merge_config_selectorItNS0_10empty_typeEEEZZNS1_27merge_sort_block_merge_implIS3_PtPS5_jNS1_19radix_merge_compareILb0ELb1EtNS0_19identity_decomposerEEEEE10hipError_tT0_T1_T2_jT3_P12ihipStream_tbPNSt15iterator_traitsISE_E10value_typeEPNSK_ISF_E10value_typeEPSG_NS1_7vsmem_tEENKUlT_SE_SF_SG_E_clIS8_S8_S9_S9_EESD_ST_SE_SF_SG_EUlST_E0_NS1_11comp_targetILNS1_3genE10ELNS1_11target_archE1201ELNS1_3gpuE5ELNS1_3repE0EEENS1_38merge_mergepath_config_static_selectorELNS0_4arch9wavefront6targetE0EEEvSF_,"axG",@progbits,_ZN7rocprim17ROCPRIM_400000_NS6detail17trampoline_kernelINS0_14default_configENS1_38merge_sort_block_merge_config_selectorItNS0_10empty_typeEEEZZNS1_27merge_sort_block_merge_implIS3_PtPS5_jNS1_19radix_merge_compareILb0ELb1EtNS0_19identity_decomposerEEEEE10hipError_tT0_T1_T2_jT3_P12ihipStream_tbPNSt15iterator_traitsISE_E10value_typeEPNSK_ISF_E10value_typeEPSG_NS1_7vsmem_tEENKUlT_SE_SF_SG_E_clIS8_S8_S9_S9_EESD_ST_SE_SF_SG_EUlST_E0_NS1_11comp_targetILNS1_3genE10ELNS1_11target_archE1201ELNS1_3gpuE5ELNS1_3repE0EEENS1_38merge_mergepath_config_static_selectorELNS0_4arch9wavefront6targetE0EEEvSF_,comdat
.Lfunc_end2464:
	.size	_ZN7rocprim17ROCPRIM_400000_NS6detail17trampoline_kernelINS0_14default_configENS1_38merge_sort_block_merge_config_selectorItNS0_10empty_typeEEEZZNS1_27merge_sort_block_merge_implIS3_PtPS5_jNS1_19radix_merge_compareILb0ELb1EtNS0_19identity_decomposerEEEEE10hipError_tT0_T1_T2_jT3_P12ihipStream_tbPNSt15iterator_traitsISE_E10value_typeEPNSK_ISF_E10value_typeEPSG_NS1_7vsmem_tEENKUlT_SE_SF_SG_E_clIS8_S8_S9_S9_EESD_ST_SE_SF_SG_EUlST_E0_NS1_11comp_targetILNS1_3genE10ELNS1_11target_archE1201ELNS1_3gpuE5ELNS1_3repE0EEENS1_38merge_mergepath_config_static_selectorELNS0_4arch9wavefront6targetE0EEEvSF_, .Lfunc_end2464-_ZN7rocprim17ROCPRIM_400000_NS6detail17trampoline_kernelINS0_14default_configENS1_38merge_sort_block_merge_config_selectorItNS0_10empty_typeEEEZZNS1_27merge_sort_block_merge_implIS3_PtPS5_jNS1_19radix_merge_compareILb0ELb1EtNS0_19identity_decomposerEEEEE10hipError_tT0_T1_T2_jT3_P12ihipStream_tbPNSt15iterator_traitsISE_E10value_typeEPNSK_ISF_E10value_typeEPSG_NS1_7vsmem_tEENKUlT_SE_SF_SG_E_clIS8_S8_S9_S9_EESD_ST_SE_SF_SG_EUlST_E0_NS1_11comp_targetILNS1_3genE10ELNS1_11target_archE1201ELNS1_3gpuE5ELNS1_3repE0EEENS1_38merge_mergepath_config_static_selectorELNS0_4arch9wavefront6targetE0EEEvSF_
                                        ; -- End function
	.set _ZN7rocprim17ROCPRIM_400000_NS6detail17trampoline_kernelINS0_14default_configENS1_38merge_sort_block_merge_config_selectorItNS0_10empty_typeEEEZZNS1_27merge_sort_block_merge_implIS3_PtPS5_jNS1_19radix_merge_compareILb0ELb1EtNS0_19identity_decomposerEEEEE10hipError_tT0_T1_T2_jT3_P12ihipStream_tbPNSt15iterator_traitsISE_E10value_typeEPNSK_ISF_E10value_typeEPSG_NS1_7vsmem_tEENKUlT_SE_SF_SG_E_clIS8_S8_S9_S9_EESD_ST_SE_SF_SG_EUlST_E0_NS1_11comp_targetILNS1_3genE10ELNS1_11target_archE1201ELNS1_3gpuE5ELNS1_3repE0EEENS1_38merge_mergepath_config_static_selectorELNS0_4arch9wavefront6targetE0EEEvSF_.num_vgpr, 0
	.set _ZN7rocprim17ROCPRIM_400000_NS6detail17trampoline_kernelINS0_14default_configENS1_38merge_sort_block_merge_config_selectorItNS0_10empty_typeEEEZZNS1_27merge_sort_block_merge_implIS3_PtPS5_jNS1_19radix_merge_compareILb0ELb1EtNS0_19identity_decomposerEEEEE10hipError_tT0_T1_T2_jT3_P12ihipStream_tbPNSt15iterator_traitsISE_E10value_typeEPNSK_ISF_E10value_typeEPSG_NS1_7vsmem_tEENKUlT_SE_SF_SG_E_clIS8_S8_S9_S9_EESD_ST_SE_SF_SG_EUlST_E0_NS1_11comp_targetILNS1_3genE10ELNS1_11target_archE1201ELNS1_3gpuE5ELNS1_3repE0EEENS1_38merge_mergepath_config_static_selectorELNS0_4arch9wavefront6targetE0EEEvSF_.num_agpr, 0
	.set _ZN7rocprim17ROCPRIM_400000_NS6detail17trampoline_kernelINS0_14default_configENS1_38merge_sort_block_merge_config_selectorItNS0_10empty_typeEEEZZNS1_27merge_sort_block_merge_implIS3_PtPS5_jNS1_19radix_merge_compareILb0ELb1EtNS0_19identity_decomposerEEEEE10hipError_tT0_T1_T2_jT3_P12ihipStream_tbPNSt15iterator_traitsISE_E10value_typeEPNSK_ISF_E10value_typeEPSG_NS1_7vsmem_tEENKUlT_SE_SF_SG_E_clIS8_S8_S9_S9_EESD_ST_SE_SF_SG_EUlST_E0_NS1_11comp_targetILNS1_3genE10ELNS1_11target_archE1201ELNS1_3gpuE5ELNS1_3repE0EEENS1_38merge_mergepath_config_static_selectorELNS0_4arch9wavefront6targetE0EEEvSF_.numbered_sgpr, 0
	.set _ZN7rocprim17ROCPRIM_400000_NS6detail17trampoline_kernelINS0_14default_configENS1_38merge_sort_block_merge_config_selectorItNS0_10empty_typeEEEZZNS1_27merge_sort_block_merge_implIS3_PtPS5_jNS1_19radix_merge_compareILb0ELb1EtNS0_19identity_decomposerEEEEE10hipError_tT0_T1_T2_jT3_P12ihipStream_tbPNSt15iterator_traitsISE_E10value_typeEPNSK_ISF_E10value_typeEPSG_NS1_7vsmem_tEENKUlT_SE_SF_SG_E_clIS8_S8_S9_S9_EESD_ST_SE_SF_SG_EUlST_E0_NS1_11comp_targetILNS1_3genE10ELNS1_11target_archE1201ELNS1_3gpuE5ELNS1_3repE0EEENS1_38merge_mergepath_config_static_selectorELNS0_4arch9wavefront6targetE0EEEvSF_.num_named_barrier, 0
	.set _ZN7rocprim17ROCPRIM_400000_NS6detail17trampoline_kernelINS0_14default_configENS1_38merge_sort_block_merge_config_selectorItNS0_10empty_typeEEEZZNS1_27merge_sort_block_merge_implIS3_PtPS5_jNS1_19radix_merge_compareILb0ELb1EtNS0_19identity_decomposerEEEEE10hipError_tT0_T1_T2_jT3_P12ihipStream_tbPNSt15iterator_traitsISE_E10value_typeEPNSK_ISF_E10value_typeEPSG_NS1_7vsmem_tEENKUlT_SE_SF_SG_E_clIS8_S8_S9_S9_EESD_ST_SE_SF_SG_EUlST_E0_NS1_11comp_targetILNS1_3genE10ELNS1_11target_archE1201ELNS1_3gpuE5ELNS1_3repE0EEENS1_38merge_mergepath_config_static_selectorELNS0_4arch9wavefront6targetE0EEEvSF_.private_seg_size, 0
	.set _ZN7rocprim17ROCPRIM_400000_NS6detail17trampoline_kernelINS0_14default_configENS1_38merge_sort_block_merge_config_selectorItNS0_10empty_typeEEEZZNS1_27merge_sort_block_merge_implIS3_PtPS5_jNS1_19radix_merge_compareILb0ELb1EtNS0_19identity_decomposerEEEEE10hipError_tT0_T1_T2_jT3_P12ihipStream_tbPNSt15iterator_traitsISE_E10value_typeEPNSK_ISF_E10value_typeEPSG_NS1_7vsmem_tEENKUlT_SE_SF_SG_E_clIS8_S8_S9_S9_EESD_ST_SE_SF_SG_EUlST_E0_NS1_11comp_targetILNS1_3genE10ELNS1_11target_archE1201ELNS1_3gpuE5ELNS1_3repE0EEENS1_38merge_mergepath_config_static_selectorELNS0_4arch9wavefront6targetE0EEEvSF_.uses_vcc, 0
	.set _ZN7rocprim17ROCPRIM_400000_NS6detail17trampoline_kernelINS0_14default_configENS1_38merge_sort_block_merge_config_selectorItNS0_10empty_typeEEEZZNS1_27merge_sort_block_merge_implIS3_PtPS5_jNS1_19radix_merge_compareILb0ELb1EtNS0_19identity_decomposerEEEEE10hipError_tT0_T1_T2_jT3_P12ihipStream_tbPNSt15iterator_traitsISE_E10value_typeEPNSK_ISF_E10value_typeEPSG_NS1_7vsmem_tEENKUlT_SE_SF_SG_E_clIS8_S8_S9_S9_EESD_ST_SE_SF_SG_EUlST_E0_NS1_11comp_targetILNS1_3genE10ELNS1_11target_archE1201ELNS1_3gpuE5ELNS1_3repE0EEENS1_38merge_mergepath_config_static_selectorELNS0_4arch9wavefront6targetE0EEEvSF_.uses_flat_scratch, 0
	.set _ZN7rocprim17ROCPRIM_400000_NS6detail17trampoline_kernelINS0_14default_configENS1_38merge_sort_block_merge_config_selectorItNS0_10empty_typeEEEZZNS1_27merge_sort_block_merge_implIS3_PtPS5_jNS1_19radix_merge_compareILb0ELb1EtNS0_19identity_decomposerEEEEE10hipError_tT0_T1_T2_jT3_P12ihipStream_tbPNSt15iterator_traitsISE_E10value_typeEPNSK_ISF_E10value_typeEPSG_NS1_7vsmem_tEENKUlT_SE_SF_SG_E_clIS8_S8_S9_S9_EESD_ST_SE_SF_SG_EUlST_E0_NS1_11comp_targetILNS1_3genE10ELNS1_11target_archE1201ELNS1_3gpuE5ELNS1_3repE0EEENS1_38merge_mergepath_config_static_selectorELNS0_4arch9wavefront6targetE0EEEvSF_.has_dyn_sized_stack, 0
	.set _ZN7rocprim17ROCPRIM_400000_NS6detail17trampoline_kernelINS0_14default_configENS1_38merge_sort_block_merge_config_selectorItNS0_10empty_typeEEEZZNS1_27merge_sort_block_merge_implIS3_PtPS5_jNS1_19radix_merge_compareILb0ELb1EtNS0_19identity_decomposerEEEEE10hipError_tT0_T1_T2_jT3_P12ihipStream_tbPNSt15iterator_traitsISE_E10value_typeEPNSK_ISF_E10value_typeEPSG_NS1_7vsmem_tEENKUlT_SE_SF_SG_E_clIS8_S8_S9_S9_EESD_ST_SE_SF_SG_EUlST_E0_NS1_11comp_targetILNS1_3genE10ELNS1_11target_archE1201ELNS1_3gpuE5ELNS1_3repE0EEENS1_38merge_mergepath_config_static_selectorELNS0_4arch9wavefront6targetE0EEEvSF_.has_recursion, 0
	.set _ZN7rocprim17ROCPRIM_400000_NS6detail17trampoline_kernelINS0_14default_configENS1_38merge_sort_block_merge_config_selectorItNS0_10empty_typeEEEZZNS1_27merge_sort_block_merge_implIS3_PtPS5_jNS1_19radix_merge_compareILb0ELb1EtNS0_19identity_decomposerEEEEE10hipError_tT0_T1_T2_jT3_P12ihipStream_tbPNSt15iterator_traitsISE_E10value_typeEPNSK_ISF_E10value_typeEPSG_NS1_7vsmem_tEENKUlT_SE_SF_SG_E_clIS8_S8_S9_S9_EESD_ST_SE_SF_SG_EUlST_E0_NS1_11comp_targetILNS1_3genE10ELNS1_11target_archE1201ELNS1_3gpuE5ELNS1_3repE0EEENS1_38merge_mergepath_config_static_selectorELNS0_4arch9wavefront6targetE0EEEvSF_.has_indirect_call, 0
	.section	.AMDGPU.csdata,"",@progbits
; Kernel info:
; codeLenInByte = 0
; TotalNumSgprs: 0
; NumVgprs: 0
; ScratchSize: 0
; MemoryBound: 0
; FloatMode: 240
; IeeeMode: 1
; LDSByteSize: 0 bytes/workgroup (compile time only)
; SGPRBlocks: 0
; VGPRBlocks: 0
; NumSGPRsForWavesPerEU: 1
; NumVGPRsForWavesPerEU: 1
; NamedBarCnt: 0
; Occupancy: 16
; WaveLimiterHint : 0
; COMPUTE_PGM_RSRC2:SCRATCH_EN: 0
; COMPUTE_PGM_RSRC2:USER_SGPR: 2
; COMPUTE_PGM_RSRC2:TRAP_HANDLER: 0
; COMPUTE_PGM_RSRC2:TGID_X_EN: 1
; COMPUTE_PGM_RSRC2:TGID_Y_EN: 0
; COMPUTE_PGM_RSRC2:TGID_Z_EN: 0
; COMPUTE_PGM_RSRC2:TIDIG_COMP_CNT: 0
	.section	.text._ZN7rocprim17ROCPRIM_400000_NS6detail17trampoline_kernelINS0_14default_configENS1_38merge_sort_block_merge_config_selectorItNS0_10empty_typeEEEZZNS1_27merge_sort_block_merge_implIS3_PtPS5_jNS1_19radix_merge_compareILb0ELb1EtNS0_19identity_decomposerEEEEE10hipError_tT0_T1_T2_jT3_P12ihipStream_tbPNSt15iterator_traitsISE_E10value_typeEPNSK_ISF_E10value_typeEPSG_NS1_7vsmem_tEENKUlT_SE_SF_SG_E_clIS8_S8_S9_S9_EESD_ST_SE_SF_SG_EUlST_E0_NS1_11comp_targetILNS1_3genE5ELNS1_11target_archE942ELNS1_3gpuE9ELNS1_3repE0EEENS1_38merge_mergepath_config_static_selectorELNS0_4arch9wavefront6targetE0EEEvSF_,"axG",@progbits,_ZN7rocprim17ROCPRIM_400000_NS6detail17trampoline_kernelINS0_14default_configENS1_38merge_sort_block_merge_config_selectorItNS0_10empty_typeEEEZZNS1_27merge_sort_block_merge_implIS3_PtPS5_jNS1_19radix_merge_compareILb0ELb1EtNS0_19identity_decomposerEEEEE10hipError_tT0_T1_T2_jT3_P12ihipStream_tbPNSt15iterator_traitsISE_E10value_typeEPNSK_ISF_E10value_typeEPSG_NS1_7vsmem_tEENKUlT_SE_SF_SG_E_clIS8_S8_S9_S9_EESD_ST_SE_SF_SG_EUlST_E0_NS1_11comp_targetILNS1_3genE5ELNS1_11target_archE942ELNS1_3gpuE9ELNS1_3repE0EEENS1_38merge_mergepath_config_static_selectorELNS0_4arch9wavefront6targetE0EEEvSF_,comdat
	.protected	_ZN7rocprim17ROCPRIM_400000_NS6detail17trampoline_kernelINS0_14default_configENS1_38merge_sort_block_merge_config_selectorItNS0_10empty_typeEEEZZNS1_27merge_sort_block_merge_implIS3_PtPS5_jNS1_19radix_merge_compareILb0ELb1EtNS0_19identity_decomposerEEEEE10hipError_tT0_T1_T2_jT3_P12ihipStream_tbPNSt15iterator_traitsISE_E10value_typeEPNSK_ISF_E10value_typeEPSG_NS1_7vsmem_tEENKUlT_SE_SF_SG_E_clIS8_S8_S9_S9_EESD_ST_SE_SF_SG_EUlST_E0_NS1_11comp_targetILNS1_3genE5ELNS1_11target_archE942ELNS1_3gpuE9ELNS1_3repE0EEENS1_38merge_mergepath_config_static_selectorELNS0_4arch9wavefront6targetE0EEEvSF_ ; -- Begin function _ZN7rocprim17ROCPRIM_400000_NS6detail17trampoline_kernelINS0_14default_configENS1_38merge_sort_block_merge_config_selectorItNS0_10empty_typeEEEZZNS1_27merge_sort_block_merge_implIS3_PtPS5_jNS1_19radix_merge_compareILb0ELb1EtNS0_19identity_decomposerEEEEE10hipError_tT0_T1_T2_jT3_P12ihipStream_tbPNSt15iterator_traitsISE_E10value_typeEPNSK_ISF_E10value_typeEPSG_NS1_7vsmem_tEENKUlT_SE_SF_SG_E_clIS8_S8_S9_S9_EESD_ST_SE_SF_SG_EUlST_E0_NS1_11comp_targetILNS1_3genE5ELNS1_11target_archE942ELNS1_3gpuE9ELNS1_3repE0EEENS1_38merge_mergepath_config_static_selectorELNS0_4arch9wavefront6targetE0EEEvSF_
	.globl	_ZN7rocprim17ROCPRIM_400000_NS6detail17trampoline_kernelINS0_14default_configENS1_38merge_sort_block_merge_config_selectorItNS0_10empty_typeEEEZZNS1_27merge_sort_block_merge_implIS3_PtPS5_jNS1_19radix_merge_compareILb0ELb1EtNS0_19identity_decomposerEEEEE10hipError_tT0_T1_T2_jT3_P12ihipStream_tbPNSt15iterator_traitsISE_E10value_typeEPNSK_ISF_E10value_typeEPSG_NS1_7vsmem_tEENKUlT_SE_SF_SG_E_clIS8_S8_S9_S9_EESD_ST_SE_SF_SG_EUlST_E0_NS1_11comp_targetILNS1_3genE5ELNS1_11target_archE942ELNS1_3gpuE9ELNS1_3repE0EEENS1_38merge_mergepath_config_static_selectorELNS0_4arch9wavefront6targetE0EEEvSF_
	.p2align	8
	.type	_ZN7rocprim17ROCPRIM_400000_NS6detail17trampoline_kernelINS0_14default_configENS1_38merge_sort_block_merge_config_selectorItNS0_10empty_typeEEEZZNS1_27merge_sort_block_merge_implIS3_PtPS5_jNS1_19radix_merge_compareILb0ELb1EtNS0_19identity_decomposerEEEEE10hipError_tT0_T1_T2_jT3_P12ihipStream_tbPNSt15iterator_traitsISE_E10value_typeEPNSK_ISF_E10value_typeEPSG_NS1_7vsmem_tEENKUlT_SE_SF_SG_E_clIS8_S8_S9_S9_EESD_ST_SE_SF_SG_EUlST_E0_NS1_11comp_targetILNS1_3genE5ELNS1_11target_archE942ELNS1_3gpuE9ELNS1_3repE0EEENS1_38merge_mergepath_config_static_selectorELNS0_4arch9wavefront6targetE0EEEvSF_,@function
_ZN7rocprim17ROCPRIM_400000_NS6detail17trampoline_kernelINS0_14default_configENS1_38merge_sort_block_merge_config_selectorItNS0_10empty_typeEEEZZNS1_27merge_sort_block_merge_implIS3_PtPS5_jNS1_19radix_merge_compareILb0ELb1EtNS0_19identity_decomposerEEEEE10hipError_tT0_T1_T2_jT3_P12ihipStream_tbPNSt15iterator_traitsISE_E10value_typeEPNSK_ISF_E10value_typeEPSG_NS1_7vsmem_tEENKUlT_SE_SF_SG_E_clIS8_S8_S9_S9_EESD_ST_SE_SF_SG_EUlST_E0_NS1_11comp_targetILNS1_3genE5ELNS1_11target_archE942ELNS1_3gpuE9ELNS1_3repE0EEENS1_38merge_mergepath_config_static_selectorELNS0_4arch9wavefront6targetE0EEEvSF_: ; @_ZN7rocprim17ROCPRIM_400000_NS6detail17trampoline_kernelINS0_14default_configENS1_38merge_sort_block_merge_config_selectorItNS0_10empty_typeEEEZZNS1_27merge_sort_block_merge_implIS3_PtPS5_jNS1_19radix_merge_compareILb0ELb1EtNS0_19identity_decomposerEEEEE10hipError_tT0_T1_T2_jT3_P12ihipStream_tbPNSt15iterator_traitsISE_E10value_typeEPNSK_ISF_E10value_typeEPSG_NS1_7vsmem_tEENKUlT_SE_SF_SG_E_clIS8_S8_S9_S9_EESD_ST_SE_SF_SG_EUlST_E0_NS1_11comp_targetILNS1_3genE5ELNS1_11target_archE942ELNS1_3gpuE9ELNS1_3repE0EEENS1_38merge_mergepath_config_static_selectorELNS0_4arch9wavefront6targetE0EEEvSF_
; %bb.0:
	.section	.rodata,"a",@progbits
	.p2align	6, 0x0
	.amdhsa_kernel _ZN7rocprim17ROCPRIM_400000_NS6detail17trampoline_kernelINS0_14default_configENS1_38merge_sort_block_merge_config_selectorItNS0_10empty_typeEEEZZNS1_27merge_sort_block_merge_implIS3_PtPS5_jNS1_19radix_merge_compareILb0ELb1EtNS0_19identity_decomposerEEEEE10hipError_tT0_T1_T2_jT3_P12ihipStream_tbPNSt15iterator_traitsISE_E10value_typeEPNSK_ISF_E10value_typeEPSG_NS1_7vsmem_tEENKUlT_SE_SF_SG_E_clIS8_S8_S9_S9_EESD_ST_SE_SF_SG_EUlST_E0_NS1_11comp_targetILNS1_3genE5ELNS1_11target_archE942ELNS1_3gpuE9ELNS1_3repE0EEENS1_38merge_mergepath_config_static_selectorELNS0_4arch9wavefront6targetE0EEEvSF_
		.amdhsa_group_segment_fixed_size 0
		.amdhsa_private_segment_fixed_size 0
		.amdhsa_kernarg_size 64
		.amdhsa_user_sgpr_count 2
		.amdhsa_user_sgpr_dispatch_ptr 0
		.amdhsa_user_sgpr_queue_ptr 0
		.amdhsa_user_sgpr_kernarg_segment_ptr 1
		.amdhsa_user_sgpr_dispatch_id 0
		.amdhsa_user_sgpr_kernarg_preload_length 0
		.amdhsa_user_sgpr_kernarg_preload_offset 0
		.amdhsa_user_sgpr_private_segment_size 0
		.amdhsa_wavefront_size32 1
		.amdhsa_uses_dynamic_stack 0
		.amdhsa_enable_private_segment 0
		.amdhsa_system_sgpr_workgroup_id_x 1
		.amdhsa_system_sgpr_workgroup_id_y 0
		.amdhsa_system_sgpr_workgroup_id_z 0
		.amdhsa_system_sgpr_workgroup_info 0
		.amdhsa_system_vgpr_workitem_id 0
		.amdhsa_next_free_vgpr 1
		.amdhsa_next_free_sgpr 1
		.amdhsa_named_barrier_count 0
		.amdhsa_reserve_vcc 0
		.amdhsa_float_round_mode_32 0
		.amdhsa_float_round_mode_16_64 0
		.amdhsa_float_denorm_mode_32 3
		.amdhsa_float_denorm_mode_16_64 3
		.amdhsa_fp16_overflow 0
		.amdhsa_memory_ordered 1
		.amdhsa_forward_progress 1
		.amdhsa_inst_pref_size 0
		.amdhsa_round_robin_scheduling 0
		.amdhsa_exception_fp_ieee_invalid_op 0
		.amdhsa_exception_fp_denorm_src 0
		.amdhsa_exception_fp_ieee_div_zero 0
		.amdhsa_exception_fp_ieee_overflow 0
		.amdhsa_exception_fp_ieee_underflow 0
		.amdhsa_exception_fp_ieee_inexact 0
		.amdhsa_exception_int_div_zero 0
	.end_amdhsa_kernel
	.section	.text._ZN7rocprim17ROCPRIM_400000_NS6detail17trampoline_kernelINS0_14default_configENS1_38merge_sort_block_merge_config_selectorItNS0_10empty_typeEEEZZNS1_27merge_sort_block_merge_implIS3_PtPS5_jNS1_19radix_merge_compareILb0ELb1EtNS0_19identity_decomposerEEEEE10hipError_tT0_T1_T2_jT3_P12ihipStream_tbPNSt15iterator_traitsISE_E10value_typeEPNSK_ISF_E10value_typeEPSG_NS1_7vsmem_tEENKUlT_SE_SF_SG_E_clIS8_S8_S9_S9_EESD_ST_SE_SF_SG_EUlST_E0_NS1_11comp_targetILNS1_3genE5ELNS1_11target_archE942ELNS1_3gpuE9ELNS1_3repE0EEENS1_38merge_mergepath_config_static_selectorELNS0_4arch9wavefront6targetE0EEEvSF_,"axG",@progbits,_ZN7rocprim17ROCPRIM_400000_NS6detail17trampoline_kernelINS0_14default_configENS1_38merge_sort_block_merge_config_selectorItNS0_10empty_typeEEEZZNS1_27merge_sort_block_merge_implIS3_PtPS5_jNS1_19radix_merge_compareILb0ELb1EtNS0_19identity_decomposerEEEEE10hipError_tT0_T1_T2_jT3_P12ihipStream_tbPNSt15iterator_traitsISE_E10value_typeEPNSK_ISF_E10value_typeEPSG_NS1_7vsmem_tEENKUlT_SE_SF_SG_E_clIS8_S8_S9_S9_EESD_ST_SE_SF_SG_EUlST_E0_NS1_11comp_targetILNS1_3genE5ELNS1_11target_archE942ELNS1_3gpuE9ELNS1_3repE0EEENS1_38merge_mergepath_config_static_selectorELNS0_4arch9wavefront6targetE0EEEvSF_,comdat
.Lfunc_end2465:
	.size	_ZN7rocprim17ROCPRIM_400000_NS6detail17trampoline_kernelINS0_14default_configENS1_38merge_sort_block_merge_config_selectorItNS0_10empty_typeEEEZZNS1_27merge_sort_block_merge_implIS3_PtPS5_jNS1_19radix_merge_compareILb0ELb1EtNS0_19identity_decomposerEEEEE10hipError_tT0_T1_T2_jT3_P12ihipStream_tbPNSt15iterator_traitsISE_E10value_typeEPNSK_ISF_E10value_typeEPSG_NS1_7vsmem_tEENKUlT_SE_SF_SG_E_clIS8_S8_S9_S9_EESD_ST_SE_SF_SG_EUlST_E0_NS1_11comp_targetILNS1_3genE5ELNS1_11target_archE942ELNS1_3gpuE9ELNS1_3repE0EEENS1_38merge_mergepath_config_static_selectorELNS0_4arch9wavefront6targetE0EEEvSF_, .Lfunc_end2465-_ZN7rocprim17ROCPRIM_400000_NS6detail17trampoline_kernelINS0_14default_configENS1_38merge_sort_block_merge_config_selectorItNS0_10empty_typeEEEZZNS1_27merge_sort_block_merge_implIS3_PtPS5_jNS1_19radix_merge_compareILb0ELb1EtNS0_19identity_decomposerEEEEE10hipError_tT0_T1_T2_jT3_P12ihipStream_tbPNSt15iterator_traitsISE_E10value_typeEPNSK_ISF_E10value_typeEPSG_NS1_7vsmem_tEENKUlT_SE_SF_SG_E_clIS8_S8_S9_S9_EESD_ST_SE_SF_SG_EUlST_E0_NS1_11comp_targetILNS1_3genE5ELNS1_11target_archE942ELNS1_3gpuE9ELNS1_3repE0EEENS1_38merge_mergepath_config_static_selectorELNS0_4arch9wavefront6targetE0EEEvSF_
                                        ; -- End function
	.set _ZN7rocprim17ROCPRIM_400000_NS6detail17trampoline_kernelINS0_14default_configENS1_38merge_sort_block_merge_config_selectorItNS0_10empty_typeEEEZZNS1_27merge_sort_block_merge_implIS3_PtPS5_jNS1_19radix_merge_compareILb0ELb1EtNS0_19identity_decomposerEEEEE10hipError_tT0_T1_T2_jT3_P12ihipStream_tbPNSt15iterator_traitsISE_E10value_typeEPNSK_ISF_E10value_typeEPSG_NS1_7vsmem_tEENKUlT_SE_SF_SG_E_clIS8_S8_S9_S9_EESD_ST_SE_SF_SG_EUlST_E0_NS1_11comp_targetILNS1_3genE5ELNS1_11target_archE942ELNS1_3gpuE9ELNS1_3repE0EEENS1_38merge_mergepath_config_static_selectorELNS0_4arch9wavefront6targetE0EEEvSF_.num_vgpr, 0
	.set _ZN7rocprim17ROCPRIM_400000_NS6detail17trampoline_kernelINS0_14default_configENS1_38merge_sort_block_merge_config_selectorItNS0_10empty_typeEEEZZNS1_27merge_sort_block_merge_implIS3_PtPS5_jNS1_19radix_merge_compareILb0ELb1EtNS0_19identity_decomposerEEEEE10hipError_tT0_T1_T2_jT3_P12ihipStream_tbPNSt15iterator_traitsISE_E10value_typeEPNSK_ISF_E10value_typeEPSG_NS1_7vsmem_tEENKUlT_SE_SF_SG_E_clIS8_S8_S9_S9_EESD_ST_SE_SF_SG_EUlST_E0_NS1_11comp_targetILNS1_3genE5ELNS1_11target_archE942ELNS1_3gpuE9ELNS1_3repE0EEENS1_38merge_mergepath_config_static_selectorELNS0_4arch9wavefront6targetE0EEEvSF_.num_agpr, 0
	.set _ZN7rocprim17ROCPRIM_400000_NS6detail17trampoline_kernelINS0_14default_configENS1_38merge_sort_block_merge_config_selectorItNS0_10empty_typeEEEZZNS1_27merge_sort_block_merge_implIS3_PtPS5_jNS1_19radix_merge_compareILb0ELb1EtNS0_19identity_decomposerEEEEE10hipError_tT0_T1_T2_jT3_P12ihipStream_tbPNSt15iterator_traitsISE_E10value_typeEPNSK_ISF_E10value_typeEPSG_NS1_7vsmem_tEENKUlT_SE_SF_SG_E_clIS8_S8_S9_S9_EESD_ST_SE_SF_SG_EUlST_E0_NS1_11comp_targetILNS1_3genE5ELNS1_11target_archE942ELNS1_3gpuE9ELNS1_3repE0EEENS1_38merge_mergepath_config_static_selectorELNS0_4arch9wavefront6targetE0EEEvSF_.numbered_sgpr, 0
	.set _ZN7rocprim17ROCPRIM_400000_NS6detail17trampoline_kernelINS0_14default_configENS1_38merge_sort_block_merge_config_selectorItNS0_10empty_typeEEEZZNS1_27merge_sort_block_merge_implIS3_PtPS5_jNS1_19radix_merge_compareILb0ELb1EtNS0_19identity_decomposerEEEEE10hipError_tT0_T1_T2_jT3_P12ihipStream_tbPNSt15iterator_traitsISE_E10value_typeEPNSK_ISF_E10value_typeEPSG_NS1_7vsmem_tEENKUlT_SE_SF_SG_E_clIS8_S8_S9_S9_EESD_ST_SE_SF_SG_EUlST_E0_NS1_11comp_targetILNS1_3genE5ELNS1_11target_archE942ELNS1_3gpuE9ELNS1_3repE0EEENS1_38merge_mergepath_config_static_selectorELNS0_4arch9wavefront6targetE0EEEvSF_.num_named_barrier, 0
	.set _ZN7rocprim17ROCPRIM_400000_NS6detail17trampoline_kernelINS0_14default_configENS1_38merge_sort_block_merge_config_selectorItNS0_10empty_typeEEEZZNS1_27merge_sort_block_merge_implIS3_PtPS5_jNS1_19radix_merge_compareILb0ELb1EtNS0_19identity_decomposerEEEEE10hipError_tT0_T1_T2_jT3_P12ihipStream_tbPNSt15iterator_traitsISE_E10value_typeEPNSK_ISF_E10value_typeEPSG_NS1_7vsmem_tEENKUlT_SE_SF_SG_E_clIS8_S8_S9_S9_EESD_ST_SE_SF_SG_EUlST_E0_NS1_11comp_targetILNS1_3genE5ELNS1_11target_archE942ELNS1_3gpuE9ELNS1_3repE0EEENS1_38merge_mergepath_config_static_selectorELNS0_4arch9wavefront6targetE0EEEvSF_.private_seg_size, 0
	.set _ZN7rocprim17ROCPRIM_400000_NS6detail17trampoline_kernelINS0_14default_configENS1_38merge_sort_block_merge_config_selectorItNS0_10empty_typeEEEZZNS1_27merge_sort_block_merge_implIS3_PtPS5_jNS1_19radix_merge_compareILb0ELb1EtNS0_19identity_decomposerEEEEE10hipError_tT0_T1_T2_jT3_P12ihipStream_tbPNSt15iterator_traitsISE_E10value_typeEPNSK_ISF_E10value_typeEPSG_NS1_7vsmem_tEENKUlT_SE_SF_SG_E_clIS8_S8_S9_S9_EESD_ST_SE_SF_SG_EUlST_E0_NS1_11comp_targetILNS1_3genE5ELNS1_11target_archE942ELNS1_3gpuE9ELNS1_3repE0EEENS1_38merge_mergepath_config_static_selectorELNS0_4arch9wavefront6targetE0EEEvSF_.uses_vcc, 0
	.set _ZN7rocprim17ROCPRIM_400000_NS6detail17trampoline_kernelINS0_14default_configENS1_38merge_sort_block_merge_config_selectorItNS0_10empty_typeEEEZZNS1_27merge_sort_block_merge_implIS3_PtPS5_jNS1_19radix_merge_compareILb0ELb1EtNS0_19identity_decomposerEEEEE10hipError_tT0_T1_T2_jT3_P12ihipStream_tbPNSt15iterator_traitsISE_E10value_typeEPNSK_ISF_E10value_typeEPSG_NS1_7vsmem_tEENKUlT_SE_SF_SG_E_clIS8_S8_S9_S9_EESD_ST_SE_SF_SG_EUlST_E0_NS1_11comp_targetILNS1_3genE5ELNS1_11target_archE942ELNS1_3gpuE9ELNS1_3repE0EEENS1_38merge_mergepath_config_static_selectorELNS0_4arch9wavefront6targetE0EEEvSF_.uses_flat_scratch, 0
	.set _ZN7rocprim17ROCPRIM_400000_NS6detail17trampoline_kernelINS0_14default_configENS1_38merge_sort_block_merge_config_selectorItNS0_10empty_typeEEEZZNS1_27merge_sort_block_merge_implIS3_PtPS5_jNS1_19radix_merge_compareILb0ELb1EtNS0_19identity_decomposerEEEEE10hipError_tT0_T1_T2_jT3_P12ihipStream_tbPNSt15iterator_traitsISE_E10value_typeEPNSK_ISF_E10value_typeEPSG_NS1_7vsmem_tEENKUlT_SE_SF_SG_E_clIS8_S8_S9_S9_EESD_ST_SE_SF_SG_EUlST_E0_NS1_11comp_targetILNS1_3genE5ELNS1_11target_archE942ELNS1_3gpuE9ELNS1_3repE0EEENS1_38merge_mergepath_config_static_selectorELNS0_4arch9wavefront6targetE0EEEvSF_.has_dyn_sized_stack, 0
	.set _ZN7rocprim17ROCPRIM_400000_NS6detail17trampoline_kernelINS0_14default_configENS1_38merge_sort_block_merge_config_selectorItNS0_10empty_typeEEEZZNS1_27merge_sort_block_merge_implIS3_PtPS5_jNS1_19radix_merge_compareILb0ELb1EtNS0_19identity_decomposerEEEEE10hipError_tT0_T1_T2_jT3_P12ihipStream_tbPNSt15iterator_traitsISE_E10value_typeEPNSK_ISF_E10value_typeEPSG_NS1_7vsmem_tEENKUlT_SE_SF_SG_E_clIS8_S8_S9_S9_EESD_ST_SE_SF_SG_EUlST_E0_NS1_11comp_targetILNS1_3genE5ELNS1_11target_archE942ELNS1_3gpuE9ELNS1_3repE0EEENS1_38merge_mergepath_config_static_selectorELNS0_4arch9wavefront6targetE0EEEvSF_.has_recursion, 0
	.set _ZN7rocprim17ROCPRIM_400000_NS6detail17trampoline_kernelINS0_14default_configENS1_38merge_sort_block_merge_config_selectorItNS0_10empty_typeEEEZZNS1_27merge_sort_block_merge_implIS3_PtPS5_jNS1_19radix_merge_compareILb0ELb1EtNS0_19identity_decomposerEEEEE10hipError_tT0_T1_T2_jT3_P12ihipStream_tbPNSt15iterator_traitsISE_E10value_typeEPNSK_ISF_E10value_typeEPSG_NS1_7vsmem_tEENKUlT_SE_SF_SG_E_clIS8_S8_S9_S9_EESD_ST_SE_SF_SG_EUlST_E0_NS1_11comp_targetILNS1_3genE5ELNS1_11target_archE942ELNS1_3gpuE9ELNS1_3repE0EEENS1_38merge_mergepath_config_static_selectorELNS0_4arch9wavefront6targetE0EEEvSF_.has_indirect_call, 0
	.section	.AMDGPU.csdata,"",@progbits
; Kernel info:
; codeLenInByte = 0
; TotalNumSgprs: 0
; NumVgprs: 0
; ScratchSize: 0
; MemoryBound: 0
; FloatMode: 240
; IeeeMode: 1
; LDSByteSize: 0 bytes/workgroup (compile time only)
; SGPRBlocks: 0
; VGPRBlocks: 0
; NumSGPRsForWavesPerEU: 1
; NumVGPRsForWavesPerEU: 1
; NamedBarCnt: 0
; Occupancy: 16
; WaveLimiterHint : 0
; COMPUTE_PGM_RSRC2:SCRATCH_EN: 0
; COMPUTE_PGM_RSRC2:USER_SGPR: 2
; COMPUTE_PGM_RSRC2:TRAP_HANDLER: 0
; COMPUTE_PGM_RSRC2:TGID_X_EN: 1
; COMPUTE_PGM_RSRC2:TGID_Y_EN: 0
; COMPUTE_PGM_RSRC2:TGID_Z_EN: 0
; COMPUTE_PGM_RSRC2:TIDIG_COMP_CNT: 0
	.section	.text._ZN7rocprim17ROCPRIM_400000_NS6detail17trampoline_kernelINS0_14default_configENS1_38merge_sort_block_merge_config_selectorItNS0_10empty_typeEEEZZNS1_27merge_sort_block_merge_implIS3_PtPS5_jNS1_19radix_merge_compareILb0ELb1EtNS0_19identity_decomposerEEEEE10hipError_tT0_T1_T2_jT3_P12ihipStream_tbPNSt15iterator_traitsISE_E10value_typeEPNSK_ISF_E10value_typeEPSG_NS1_7vsmem_tEENKUlT_SE_SF_SG_E_clIS8_S8_S9_S9_EESD_ST_SE_SF_SG_EUlST_E0_NS1_11comp_targetILNS1_3genE4ELNS1_11target_archE910ELNS1_3gpuE8ELNS1_3repE0EEENS1_38merge_mergepath_config_static_selectorELNS0_4arch9wavefront6targetE0EEEvSF_,"axG",@progbits,_ZN7rocprim17ROCPRIM_400000_NS6detail17trampoline_kernelINS0_14default_configENS1_38merge_sort_block_merge_config_selectorItNS0_10empty_typeEEEZZNS1_27merge_sort_block_merge_implIS3_PtPS5_jNS1_19radix_merge_compareILb0ELb1EtNS0_19identity_decomposerEEEEE10hipError_tT0_T1_T2_jT3_P12ihipStream_tbPNSt15iterator_traitsISE_E10value_typeEPNSK_ISF_E10value_typeEPSG_NS1_7vsmem_tEENKUlT_SE_SF_SG_E_clIS8_S8_S9_S9_EESD_ST_SE_SF_SG_EUlST_E0_NS1_11comp_targetILNS1_3genE4ELNS1_11target_archE910ELNS1_3gpuE8ELNS1_3repE0EEENS1_38merge_mergepath_config_static_selectorELNS0_4arch9wavefront6targetE0EEEvSF_,comdat
	.protected	_ZN7rocprim17ROCPRIM_400000_NS6detail17trampoline_kernelINS0_14default_configENS1_38merge_sort_block_merge_config_selectorItNS0_10empty_typeEEEZZNS1_27merge_sort_block_merge_implIS3_PtPS5_jNS1_19radix_merge_compareILb0ELb1EtNS0_19identity_decomposerEEEEE10hipError_tT0_T1_T2_jT3_P12ihipStream_tbPNSt15iterator_traitsISE_E10value_typeEPNSK_ISF_E10value_typeEPSG_NS1_7vsmem_tEENKUlT_SE_SF_SG_E_clIS8_S8_S9_S9_EESD_ST_SE_SF_SG_EUlST_E0_NS1_11comp_targetILNS1_3genE4ELNS1_11target_archE910ELNS1_3gpuE8ELNS1_3repE0EEENS1_38merge_mergepath_config_static_selectorELNS0_4arch9wavefront6targetE0EEEvSF_ ; -- Begin function _ZN7rocprim17ROCPRIM_400000_NS6detail17trampoline_kernelINS0_14default_configENS1_38merge_sort_block_merge_config_selectorItNS0_10empty_typeEEEZZNS1_27merge_sort_block_merge_implIS3_PtPS5_jNS1_19radix_merge_compareILb0ELb1EtNS0_19identity_decomposerEEEEE10hipError_tT0_T1_T2_jT3_P12ihipStream_tbPNSt15iterator_traitsISE_E10value_typeEPNSK_ISF_E10value_typeEPSG_NS1_7vsmem_tEENKUlT_SE_SF_SG_E_clIS8_S8_S9_S9_EESD_ST_SE_SF_SG_EUlST_E0_NS1_11comp_targetILNS1_3genE4ELNS1_11target_archE910ELNS1_3gpuE8ELNS1_3repE0EEENS1_38merge_mergepath_config_static_selectorELNS0_4arch9wavefront6targetE0EEEvSF_
	.globl	_ZN7rocprim17ROCPRIM_400000_NS6detail17trampoline_kernelINS0_14default_configENS1_38merge_sort_block_merge_config_selectorItNS0_10empty_typeEEEZZNS1_27merge_sort_block_merge_implIS3_PtPS5_jNS1_19radix_merge_compareILb0ELb1EtNS0_19identity_decomposerEEEEE10hipError_tT0_T1_T2_jT3_P12ihipStream_tbPNSt15iterator_traitsISE_E10value_typeEPNSK_ISF_E10value_typeEPSG_NS1_7vsmem_tEENKUlT_SE_SF_SG_E_clIS8_S8_S9_S9_EESD_ST_SE_SF_SG_EUlST_E0_NS1_11comp_targetILNS1_3genE4ELNS1_11target_archE910ELNS1_3gpuE8ELNS1_3repE0EEENS1_38merge_mergepath_config_static_selectorELNS0_4arch9wavefront6targetE0EEEvSF_
	.p2align	8
	.type	_ZN7rocprim17ROCPRIM_400000_NS6detail17trampoline_kernelINS0_14default_configENS1_38merge_sort_block_merge_config_selectorItNS0_10empty_typeEEEZZNS1_27merge_sort_block_merge_implIS3_PtPS5_jNS1_19radix_merge_compareILb0ELb1EtNS0_19identity_decomposerEEEEE10hipError_tT0_T1_T2_jT3_P12ihipStream_tbPNSt15iterator_traitsISE_E10value_typeEPNSK_ISF_E10value_typeEPSG_NS1_7vsmem_tEENKUlT_SE_SF_SG_E_clIS8_S8_S9_S9_EESD_ST_SE_SF_SG_EUlST_E0_NS1_11comp_targetILNS1_3genE4ELNS1_11target_archE910ELNS1_3gpuE8ELNS1_3repE0EEENS1_38merge_mergepath_config_static_selectorELNS0_4arch9wavefront6targetE0EEEvSF_,@function
_ZN7rocprim17ROCPRIM_400000_NS6detail17trampoline_kernelINS0_14default_configENS1_38merge_sort_block_merge_config_selectorItNS0_10empty_typeEEEZZNS1_27merge_sort_block_merge_implIS3_PtPS5_jNS1_19radix_merge_compareILb0ELb1EtNS0_19identity_decomposerEEEEE10hipError_tT0_T1_T2_jT3_P12ihipStream_tbPNSt15iterator_traitsISE_E10value_typeEPNSK_ISF_E10value_typeEPSG_NS1_7vsmem_tEENKUlT_SE_SF_SG_E_clIS8_S8_S9_S9_EESD_ST_SE_SF_SG_EUlST_E0_NS1_11comp_targetILNS1_3genE4ELNS1_11target_archE910ELNS1_3gpuE8ELNS1_3repE0EEENS1_38merge_mergepath_config_static_selectorELNS0_4arch9wavefront6targetE0EEEvSF_: ; @_ZN7rocprim17ROCPRIM_400000_NS6detail17trampoline_kernelINS0_14default_configENS1_38merge_sort_block_merge_config_selectorItNS0_10empty_typeEEEZZNS1_27merge_sort_block_merge_implIS3_PtPS5_jNS1_19radix_merge_compareILb0ELb1EtNS0_19identity_decomposerEEEEE10hipError_tT0_T1_T2_jT3_P12ihipStream_tbPNSt15iterator_traitsISE_E10value_typeEPNSK_ISF_E10value_typeEPSG_NS1_7vsmem_tEENKUlT_SE_SF_SG_E_clIS8_S8_S9_S9_EESD_ST_SE_SF_SG_EUlST_E0_NS1_11comp_targetILNS1_3genE4ELNS1_11target_archE910ELNS1_3gpuE8ELNS1_3repE0EEENS1_38merge_mergepath_config_static_selectorELNS0_4arch9wavefront6targetE0EEEvSF_
; %bb.0:
	.section	.rodata,"a",@progbits
	.p2align	6, 0x0
	.amdhsa_kernel _ZN7rocprim17ROCPRIM_400000_NS6detail17trampoline_kernelINS0_14default_configENS1_38merge_sort_block_merge_config_selectorItNS0_10empty_typeEEEZZNS1_27merge_sort_block_merge_implIS3_PtPS5_jNS1_19radix_merge_compareILb0ELb1EtNS0_19identity_decomposerEEEEE10hipError_tT0_T1_T2_jT3_P12ihipStream_tbPNSt15iterator_traitsISE_E10value_typeEPNSK_ISF_E10value_typeEPSG_NS1_7vsmem_tEENKUlT_SE_SF_SG_E_clIS8_S8_S9_S9_EESD_ST_SE_SF_SG_EUlST_E0_NS1_11comp_targetILNS1_3genE4ELNS1_11target_archE910ELNS1_3gpuE8ELNS1_3repE0EEENS1_38merge_mergepath_config_static_selectorELNS0_4arch9wavefront6targetE0EEEvSF_
		.amdhsa_group_segment_fixed_size 0
		.amdhsa_private_segment_fixed_size 0
		.amdhsa_kernarg_size 64
		.amdhsa_user_sgpr_count 2
		.amdhsa_user_sgpr_dispatch_ptr 0
		.amdhsa_user_sgpr_queue_ptr 0
		.amdhsa_user_sgpr_kernarg_segment_ptr 1
		.amdhsa_user_sgpr_dispatch_id 0
		.amdhsa_user_sgpr_kernarg_preload_length 0
		.amdhsa_user_sgpr_kernarg_preload_offset 0
		.amdhsa_user_sgpr_private_segment_size 0
		.amdhsa_wavefront_size32 1
		.amdhsa_uses_dynamic_stack 0
		.amdhsa_enable_private_segment 0
		.amdhsa_system_sgpr_workgroup_id_x 1
		.amdhsa_system_sgpr_workgroup_id_y 0
		.amdhsa_system_sgpr_workgroup_id_z 0
		.amdhsa_system_sgpr_workgroup_info 0
		.amdhsa_system_vgpr_workitem_id 0
		.amdhsa_next_free_vgpr 1
		.amdhsa_next_free_sgpr 1
		.amdhsa_named_barrier_count 0
		.amdhsa_reserve_vcc 0
		.amdhsa_float_round_mode_32 0
		.amdhsa_float_round_mode_16_64 0
		.amdhsa_float_denorm_mode_32 3
		.amdhsa_float_denorm_mode_16_64 3
		.amdhsa_fp16_overflow 0
		.amdhsa_memory_ordered 1
		.amdhsa_forward_progress 1
		.amdhsa_inst_pref_size 0
		.amdhsa_round_robin_scheduling 0
		.amdhsa_exception_fp_ieee_invalid_op 0
		.amdhsa_exception_fp_denorm_src 0
		.amdhsa_exception_fp_ieee_div_zero 0
		.amdhsa_exception_fp_ieee_overflow 0
		.amdhsa_exception_fp_ieee_underflow 0
		.amdhsa_exception_fp_ieee_inexact 0
		.amdhsa_exception_int_div_zero 0
	.end_amdhsa_kernel
	.section	.text._ZN7rocprim17ROCPRIM_400000_NS6detail17trampoline_kernelINS0_14default_configENS1_38merge_sort_block_merge_config_selectorItNS0_10empty_typeEEEZZNS1_27merge_sort_block_merge_implIS3_PtPS5_jNS1_19radix_merge_compareILb0ELb1EtNS0_19identity_decomposerEEEEE10hipError_tT0_T1_T2_jT3_P12ihipStream_tbPNSt15iterator_traitsISE_E10value_typeEPNSK_ISF_E10value_typeEPSG_NS1_7vsmem_tEENKUlT_SE_SF_SG_E_clIS8_S8_S9_S9_EESD_ST_SE_SF_SG_EUlST_E0_NS1_11comp_targetILNS1_3genE4ELNS1_11target_archE910ELNS1_3gpuE8ELNS1_3repE0EEENS1_38merge_mergepath_config_static_selectorELNS0_4arch9wavefront6targetE0EEEvSF_,"axG",@progbits,_ZN7rocprim17ROCPRIM_400000_NS6detail17trampoline_kernelINS0_14default_configENS1_38merge_sort_block_merge_config_selectorItNS0_10empty_typeEEEZZNS1_27merge_sort_block_merge_implIS3_PtPS5_jNS1_19radix_merge_compareILb0ELb1EtNS0_19identity_decomposerEEEEE10hipError_tT0_T1_T2_jT3_P12ihipStream_tbPNSt15iterator_traitsISE_E10value_typeEPNSK_ISF_E10value_typeEPSG_NS1_7vsmem_tEENKUlT_SE_SF_SG_E_clIS8_S8_S9_S9_EESD_ST_SE_SF_SG_EUlST_E0_NS1_11comp_targetILNS1_3genE4ELNS1_11target_archE910ELNS1_3gpuE8ELNS1_3repE0EEENS1_38merge_mergepath_config_static_selectorELNS0_4arch9wavefront6targetE0EEEvSF_,comdat
.Lfunc_end2466:
	.size	_ZN7rocprim17ROCPRIM_400000_NS6detail17trampoline_kernelINS0_14default_configENS1_38merge_sort_block_merge_config_selectorItNS0_10empty_typeEEEZZNS1_27merge_sort_block_merge_implIS3_PtPS5_jNS1_19radix_merge_compareILb0ELb1EtNS0_19identity_decomposerEEEEE10hipError_tT0_T1_T2_jT3_P12ihipStream_tbPNSt15iterator_traitsISE_E10value_typeEPNSK_ISF_E10value_typeEPSG_NS1_7vsmem_tEENKUlT_SE_SF_SG_E_clIS8_S8_S9_S9_EESD_ST_SE_SF_SG_EUlST_E0_NS1_11comp_targetILNS1_3genE4ELNS1_11target_archE910ELNS1_3gpuE8ELNS1_3repE0EEENS1_38merge_mergepath_config_static_selectorELNS0_4arch9wavefront6targetE0EEEvSF_, .Lfunc_end2466-_ZN7rocprim17ROCPRIM_400000_NS6detail17trampoline_kernelINS0_14default_configENS1_38merge_sort_block_merge_config_selectorItNS0_10empty_typeEEEZZNS1_27merge_sort_block_merge_implIS3_PtPS5_jNS1_19radix_merge_compareILb0ELb1EtNS0_19identity_decomposerEEEEE10hipError_tT0_T1_T2_jT3_P12ihipStream_tbPNSt15iterator_traitsISE_E10value_typeEPNSK_ISF_E10value_typeEPSG_NS1_7vsmem_tEENKUlT_SE_SF_SG_E_clIS8_S8_S9_S9_EESD_ST_SE_SF_SG_EUlST_E0_NS1_11comp_targetILNS1_3genE4ELNS1_11target_archE910ELNS1_3gpuE8ELNS1_3repE0EEENS1_38merge_mergepath_config_static_selectorELNS0_4arch9wavefront6targetE0EEEvSF_
                                        ; -- End function
	.set _ZN7rocprim17ROCPRIM_400000_NS6detail17trampoline_kernelINS0_14default_configENS1_38merge_sort_block_merge_config_selectorItNS0_10empty_typeEEEZZNS1_27merge_sort_block_merge_implIS3_PtPS5_jNS1_19radix_merge_compareILb0ELb1EtNS0_19identity_decomposerEEEEE10hipError_tT0_T1_T2_jT3_P12ihipStream_tbPNSt15iterator_traitsISE_E10value_typeEPNSK_ISF_E10value_typeEPSG_NS1_7vsmem_tEENKUlT_SE_SF_SG_E_clIS8_S8_S9_S9_EESD_ST_SE_SF_SG_EUlST_E0_NS1_11comp_targetILNS1_3genE4ELNS1_11target_archE910ELNS1_3gpuE8ELNS1_3repE0EEENS1_38merge_mergepath_config_static_selectorELNS0_4arch9wavefront6targetE0EEEvSF_.num_vgpr, 0
	.set _ZN7rocprim17ROCPRIM_400000_NS6detail17trampoline_kernelINS0_14default_configENS1_38merge_sort_block_merge_config_selectorItNS0_10empty_typeEEEZZNS1_27merge_sort_block_merge_implIS3_PtPS5_jNS1_19radix_merge_compareILb0ELb1EtNS0_19identity_decomposerEEEEE10hipError_tT0_T1_T2_jT3_P12ihipStream_tbPNSt15iterator_traitsISE_E10value_typeEPNSK_ISF_E10value_typeEPSG_NS1_7vsmem_tEENKUlT_SE_SF_SG_E_clIS8_S8_S9_S9_EESD_ST_SE_SF_SG_EUlST_E0_NS1_11comp_targetILNS1_3genE4ELNS1_11target_archE910ELNS1_3gpuE8ELNS1_3repE0EEENS1_38merge_mergepath_config_static_selectorELNS0_4arch9wavefront6targetE0EEEvSF_.num_agpr, 0
	.set _ZN7rocprim17ROCPRIM_400000_NS6detail17trampoline_kernelINS0_14default_configENS1_38merge_sort_block_merge_config_selectorItNS0_10empty_typeEEEZZNS1_27merge_sort_block_merge_implIS3_PtPS5_jNS1_19radix_merge_compareILb0ELb1EtNS0_19identity_decomposerEEEEE10hipError_tT0_T1_T2_jT3_P12ihipStream_tbPNSt15iterator_traitsISE_E10value_typeEPNSK_ISF_E10value_typeEPSG_NS1_7vsmem_tEENKUlT_SE_SF_SG_E_clIS8_S8_S9_S9_EESD_ST_SE_SF_SG_EUlST_E0_NS1_11comp_targetILNS1_3genE4ELNS1_11target_archE910ELNS1_3gpuE8ELNS1_3repE0EEENS1_38merge_mergepath_config_static_selectorELNS0_4arch9wavefront6targetE0EEEvSF_.numbered_sgpr, 0
	.set _ZN7rocprim17ROCPRIM_400000_NS6detail17trampoline_kernelINS0_14default_configENS1_38merge_sort_block_merge_config_selectorItNS0_10empty_typeEEEZZNS1_27merge_sort_block_merge_implIS3_PtPS5_jNS1_19radix_merge_compareILb0ELb1EtNS0_19identity_decomposerEEEEE10hipError_tT0_T1_T2_jT3_P12ihipStream_tbPNSt15iterator_traitsISE_E10value_typeEPNSK_ISF_E10value_typeEPSG_NS1_7vsmem_tEENKUlT_SE_SF_SG_E_clIS8_S8_S9_S9_EESD_ST_SE_SF_SG_EUlST_E0_NS1_11comp_targetILNS1_3genE4ELNS1_11target_archE910ELNS1_3gpuE8ELNS1_3repE0EEENS1_38merge_mergepath_config_static_selectorELNS0_4arch9wavefront6targetE0EEEvSF_.num_named_barrier, 0
	.set _ZN7rocprim17ROCPRIM_400000_NS6detail17trampoline_kernelINS0_14default_configENS1_38merge_sort_block_merge_config_selectorItNS0_10empty_typeEEEZZNS1_27merge_sort_block_merge_implIS3_PtPS5_jNS1_19radix_merge_compareILb0ELb1EtNS0_19identity_decomposerEEEEE10hipError_tT0_T1_T2_jT3_P12ihipStream_tbPNSt15iterator_traitsISE_E10value_typeEPNSK_ISF_E10value_typeEPSG_NS1_7vsmem_tEENKUlT_SE_SF_SG_E_clIS8_S8_S9_S9_EESD_ST_SE_SF_SG_EUlST_E0_NS1_11comp_targetILNS1_3genE4ELNS1_11target_archE910ELNS1_3gpuE8ELNS1_3repE0EEENS1_38merge_mergepath_config_static_selectorELNS0_4arch9wavefront6targetE0EEEvSF_.private_seg_size, 0
	.set _ZN7rocprim17ROCPRIM_400000_NS6detail17trampoline_kernelINS0_14default_configENS1_38merge_sort_block_merge_config_selectorItNS0_10empty_typeEEEZZNS1_27merge_sort_block_merge_implIS3_PtPS5_jNS1_19radix_merge_compareILb0ELb1EtNS0_19identity_decomposerEEEEE10hipError_tT0_T1_T2_jT3_P12ihipStream_tbPNSt15iterator_traitsISE_E10value_typeEPNSK_ISF_E10value_typeEPSG_NS1_7vsmem_tEENKUlT_SE_SF_SG_E_clIS8_S8_S9_S9_EESD_ST_SE_SF_SG_EUlST_E0_NS1_11comp_targetILNS1_3genE4ELNS1_11target_archE910ELNS1_3gpuE8ELNS1_3repE0EEENS1_38merge_mergepath_config_static_selectorELNS0_4arch9wavefront6targetE0EEEvSF_.uses_vcc, 0
	.set _ZN7rocprim17ROCPRIM_400000_NS6detail17trampoline_kernelINS0_14default_configENS1_38merge_sort_block_merge_config_selectorItNS0_10empty_typeEEEZZNS1_27merge_sort_block_merge_implIS3_PtPS5_jNS1_19radix_merge_compareILb0ELb1EtNS0_19identity_decomposerEEEEE10hipError_tT0_T1_T2_jT3_P12ihipStream_tbPNSt15iterator_traitsISE_E10value_typeEPNSK_ISF_E10value_typeEPSG_NS1_7vsmem_tEENKUlT_SE_SF_SG_E_clIS8_S8_S9_S9_EESD_ST_SE_SF_SG_EUlST_E0_NS1_11comp_targetILNS1_3genE4ELNS1_11target_archE910ELNS1_3gpuE8ELNS1_3repE0EEENS1_38merge_mergepath_config_static_selectorELNS0_4arch9wavefront6targetE0EEEvSF_.uses_flat_scratch, 0
	.set _ZN7rocprim17ROCPRIM_400000_NS6detail17trampoline_kernelINS0_14default_configENS1_38merge_sort_block_merge_config_selectorItNS0_10empty_typeEEEZZNS1_27merge_sort_block_merge_implIS3_PtPS5_jNS1_19radix_merge_compareILb0ELb1EtNS0_19identity_decomposerEEEEE10hipError_tT0_T1_T2_jT3_P12ihipStream_tbPNSt15iterator_traitsISE_E10value_typeEPNSK_ISF_E10value_typeEPSG_NS1_7vsmem_tEENKUlT_SE_SF_SG_E_clIS8_S8_S9_S9_EESD_ST_SE_SF_SG_EUlST_E0_NS1_11comp_targetILNS1_3genE4ELNS1_11target_archE910ELNS1_3gpuE8ELNS1_3repE0EEENS1_38merge_mergepath_config_static_selectorELNS0_4arch9wavefront6targetE0EEEvSF_.has_dyn_sized_stack, 0
	.set _ZN7rocprim17ROCPRIM_400000_NS6detail17trampoline_kernelINS0_14default_configENS1_38merge_sort_block_merge_config_selectorItNS0_10empty_typeEEEZZNS1_27merge_sort_block_merge_implIS3_PtPS5_jNS1_19radix_merge_compareILb0ELb1EtNS0_19identity_decomposerEEEEE10hipError_tT0_T1_T2_jT3_P12ihipStream_tbPNSt15iterator_traitsISE_E10value_typeEPNSK_ISF_E10value_typeEPSG_NS1_7vsmem_tEENKUlT_SE_SF_SG_E_clIS8_S8_S9_S9_EESD_ST_SE_SF_SG_EUlST_E0_NS1_11comp_targetILNS1_3genE4ELNS1_11target_archE910ELNS1_3gpuE8ELNS1_3repE0EEENS1_38merge_mergepath_config_static_selectorELNS0_4arch9wavefront6targetE0EEEvSF_.has_recursion, 0
	.set _ZN7rocprim17ROCPRIM_400000_NS6detail17trampoline_kernelINS0_14default_configENS1_38merge_sort_block_merge_config_selectorItNS0_10empty_typeEEEZZNS1_27merge_sort_block_merge_implIS3_PtPS5_jNS1_19radix_merge_compareILb0ELb1EtNS0_19identity_decomposerEEEEE10hipError_tT0_T1_T2_jT3_P12ihipStream_tbPNSt15iterator_traitsISE_E10value_typeEPNSK_ISF_E10value_typeEPSG_NS1_7vsmem_tEENKUlT_SE_SF_SG_E_clIS8_S8_S9_S9_EESD_ST_SE_SF_SG_EUlST_E0_NS1_11comp_targetILNS1_3genE4ELNS1_11target_archE910ELNS1_3gpuE8ELNS1_3repE0EEENS1_38merge_mergepath_config_static_selectorELNS0_4arch9wavefront6targetE0EEEvSF_.has_indirect_call, 0
	.section	.AMDGPU.csdata,"",@progbits
; Kernel info:
; codeLenInByte = 0
; TotalNumSgprs: 0
; NumVgprs: 0
; ScratchSize: 0
; MemoryBound: 0
; FloatMode: 240
; IeeeMode: 1
; LDSByteSize: 0 bytes/workgroup (compile time only)
; SGPRBlocks: 0
; VGPRBlocks: 0
; NumSGPRsForWavesPerEU: 1
; NumVGPRsForWavesPerEU: 1
; NamedBarCnt: 0
; Occupancy: 16
; WaveLimiterHint : 0
; COMPUTE_PGM_RSRC2:SCRATCH_EN: 0
; COMPUTE_PGM_RSRC2:USER_SGPR: 2
; COMPUTE_PGM_RSRC2:TRAP_HANDLER: 0
; COMPUTE_PGM_RSRC2:TGID_X_EN: 1
; COMPUTE_PGM_RSRC2:TGID_Y_EN: 0
; COMPUTE_PGM_RSRC2:TGID_Z_EN: 0
; COMPUTE_PGM_RSRC2:TIDIG_COMP_CNT: 0
	.section	.text._ZN7rocprim17ROCPRIM_400000_NS6detail17trampoline_kernelINS0_14default_configENS1_38merge_sort_block_merge_config_selectorItNS0_10empty_typeEEEZZNS1_27merge_sort_block_merge_implIS3_PtPS5_jNS1_19radix_merge_compareILb0ELb1EtNS0_19identity_decomposerEEEEE10hipError_tT0_T1_T2_jT3_P12ihipStream_tbPNSt15iterator_traitsISE_E10value_typeEPNSK_ISF_E10value_typeEPSG_NS1_7vsmem_tEENKUlT_SE_SF_SG_E_clIS8_S8_S9_S9_EESD_ST_SE_SF_SG_EUlST_E0_NS1_11comp_targetILNS1_3genE3ELNS1_11target_archE908ELNS1_3gpuE7ELNS1_3repE0EEENS1_38merge_mergepath_config_static_selectorELNS0_4arch9wavefront6targetE0EEEvSF_,"axG",@progbits,_ZN7rocprim17ROCPRIM_400000_NS6detail17trampoline_kernelINS0_14default_configENS1_38merge_sort_block_merge_config_selectorItNS0_10empty_typeEEEZZNS1_27merge_sort_block_merge_implIS3_PtPS5_jNS1_19radix_merge_compareILb0ELb1EtNS0_19identity_decomposerEEEEE10hipError_tT0_T1_T2_jT3_P12ihipStream_tbPNSt15iterator_traitsISE_E10value_typeEPNSK_ISF_E10value_typeEPSG_NS1_7vsmem_tEENKUlT_SE_SF_SG_E_clIS8_S8_S9_S9_EESD_ST_SE_SF_SG_EUlST_E0_NS1_11comp_targetILNS1_3genE3ELNS1_11target_archE908ELNS1_3gpuE7ELNS1_3repE0EEENS1_38merge_mergepath_config_static_selectorELNS0_4arch9wavefront6targetE0EEEvSF_,comdat
	.protected	_ZN7rocprim17ROCPRIM_400000_NS6detail17trampoline_kernelINS0_14default_configENS1_38merge_sort_block_merge_config_selectorItNS0_10empty_typeEEEZZNS1_27merge_sort_block_merge_implIS3_PtPS5_jNS1_19radix_merge_compareILb0ELb1EtNS0_19identity_decomposerEEEEE10hipError_tT0_T1_T2_jT3_P12ihipStream_tbPNSt15iterator_traitsISE_E10value_typeEPNSK_ISF_E10value_typeEPSG_NS1_7vsmem_tEENKUlT_SE_SF_SG_E_clIS8_S8_S9_S9_EESD_ST_SE_SF_SG_EUlST_E0_NS1_11comp_targetILNS1_3genE3ELNS1_11target_archE908ELNS1_3gpuE7ELNS1_3repE0EEENS1_38merge_mergepath_config_static_selectorELNS0_4arch9wavefront6targetE0EEEvSF_ ; -- Begin function _ZN7rocprim17ROCPRIM_400000_NS6detail17trampoline_kernelINS0_14default_configENS1_38merge_sort_block_merge_config_selectorItNS0_10empty_typeEEEZZNS1_27merge_sort_block_merge_implIS3_PtPS5_jNS1_19radix_merge_compareILb0ELb1EtNS0_19identity_decomposerEEEEE10hipError_tT0_T1_T2_jT3_P12ihipStream_tbPNSt15iterator_traitsISE_E10value_typeEPNSK_ISF_E10value_typeEPSG_NS1_7vsmem_tEENKUlT_SE_SF_SG_E_clIS8_S8_S9_S9_EESD_ST_SE_SF_SG_EUlST_E0_NS1_11comp_targetILNS1_3genE3ELNS1_11target_archE908ELNS1_3gpuE7ELNS1_3repE0EEENS1_38merge_mergepath_config_static_selectorELNS0_4arch9wavefront6targetE0EEEvSF_
	.globl	_ZN7rocprim17ROCPRIM_400000_NS6detail17trampoline_kernelINS0_14default_configENS1_38merge_sort_block_merge_config_selectorItNS0_10empty_typeEEEZZNS1_27merge_sort_block_merge_implIS3_PtPS5_jNS1_19radix_merge_compareILb0ELb1EtNS0_19identity_decomposerEEEEE10hipError_tT0_T1_T2_jT3_P12ihipStream_tbPNSt15iterator_traitsISE_E10value_typeEPNSK_ISF_E10value_typeEPSG_NS1_7vsmem_tEENKUlT_SE_SF_SG_E_clIS8_S8_S9_S9_EESD_ST_SE_SF_SG_EUlST_E0_NS1_11comp_targetILNS1_3genE3ELNS1_11target_archE908ELNS1_3gpuE7ELNS1_3repE0EEENS1_38merge_mergepath_config_static_selectorELNS0_4arch9wavefront6targetE0EEEvSF_
	.p2align	8
	.type	_ZN7rocprim17ROCPRIM_400000_NS6detail17trampoline_kernelINS0_14default_configENS1_38merge_sort_block_merge_config_selectorItNS0_10empty_typeEEEZZNS1_27merge_sort_block_merge_implIS3_PtPS5_jNS1_19radix_merge_compareILb0ELb1EtNS0_19identity_decomposerEEEEE10hipError_tT0_T1_T2_jT3_P12ihipStream_tbPNSt15iterator_traitsISE_E10value_typeEPNSK_ISF_E10value_typeEPSG_NS1_7vsmem_tEENKUlT_SE_SF_SG_E_clIS8_S8_S9_S9_EESD_ST_SE_SF_SG_EUlST_E0_NS1_11comp_targetILNS1_3genE3ELNS1_11target_archE908ELNS1_3gpuE7ELNS1_3repE0EEENS1_38merge_mergepath_config_static_selectorELNS0_4arch9wavefront6targetE0EEEvSF_,@function
_ZN7rocprim17ROCPRIM_400000_NS6detail17trampoline_kernelINS0_14default_configENS1_38merge_sort_block_merge_config_selectorItNS0_10empty_typeEEEZZNS1_27merge_sort_block_merge_implIS3_PtPS5_jNS1_19radix_merge_compareILb0ELb1EtNS0_19identity_decomposerEEEEE10hipError_tT0_T1_T2_jT3_P12ihipStream_tbPNSt15iterator_traitsISE_E10value_typeEPNSK_ISF_E10value_typeEPSG_NS1_7vsmem_tEENKUlT_SE_SF_SG_E_clIS8_S8_S9_S9_EESD_ST_SE_SF_SG_EUlST_E0_NS1_11comp_targetILNS1_3genE3ELNS1_11target_archE908ELNS1_3gpuE7ELNS1_3repE0EEENS1_38merge_mergepath_config_static_selectorELNS0_4arch9wavefront6targetE0EEEvSF_: ; @_ZN7rocprim17ROCPRIM_400000_NS6detail17trampoline_kernelINS0_14default_configENS1_38merge_sort_block_merge_config_selectorItNS0_10empty_typeEEEZZNS1_27merge_sort_block_merge_implIS3_PtPS5_jNS1_19radix_merge_compareILb0ELb1EtNS0_19identity_decomposerEEEEE10hipError_tT0_T1_T2_jT3_P12ihipStream_tbPNSt15iterator_traitsISE_E10value_typeEPNSK_ISF_E10value_typeEPSG_NS1_7vsmem_tEENKUlT_SE_SF_SG_E_clIS8_S8_S9_S9_EESD_ST_SE_SF_SG_EUlST_E0_NS1_11comp_targetILNS1_3genE3ELNS1_11target_archE908ELNS1_3gpuE7ELNS1_3repE0EEENS1_38merge_mergepath_config_static_selectorELNS0_4arch9wavefront6targetE0EEEvSF_
; %bb.0:
	.section	.rodata,"a",@progbits
	.p2align	6, 0x0
	.amdhsa_kernel _ZN7rocprim17ROCPRIM_400000_NS6detail17trampoline_kernelINS0_14default_configENS1_38merge_sort_block_merge_config_selectorItNS0_10empty_typeEEEZZNS1_27merge_sort_block_merge_implIS3_PtPS5_jNS1_19radix_merge_compareILb0ELb1EtNS0_19identity_decomposerEEEEE10hipError_tT0_T1_T2_jT3_P12ihipStream_tbPNSt15iterator_traitsISE_E10value_typeEPNSK_ISF_E10value_typeEPSG_NS1_7vsmem_tEENKUlT_SE_SF_SG_E_clIS8_S8_S9_S9_EESD_ST_SE_SF_SG_EUlST_E0_NS1_11comp_targetILNS1_3genE3ELNS1_11target_archE908ELNS1_3gpuE7ELNS1_3repE0EEENS1_38merge_mergepath_config_static_selectorELNS0_4arch9wavefront6targetE0EEEvSF_
		.amdhsa_group_segment_fixed_size 0
		.amdhsa_private_segment_fixed_size 0
		.amdhsa_kernarg_size 64
		.amdhsa_user_sgpr_count 2
		.amdhsa_user_sgpr_dispatch_ptr 0
		.amdhsa_user_sgpr_queue_ptr 0
		.amdhsa_user_sgpr_kernarg_segment_ptr 1
		.amdhsa_user_sgpr_dispatch_id 0
		.amdhsa_user_sgpr_kernarg_preload_length 0
		.amdhsa_user_sgpr_kernarg_preload_offset 0
		.amdhsa_user_sgpr_private_segment_size 0
		.amdhsa_wavefront_size32 1
		.amdhsa_uses_dynamic_stack 0
		.amdhsa_enable_private_segment 0
		.amdhsa_system_sgpr_workgroup_id_x 1
		.amdhsa_system_sgpr_workgroup_id_y 0
		.amdhsa_system_sgpr_workgroup_id_z 0
		.amdhsa_system_sgpr_workgroup_info 0
		.amdhsa_system_vgpr_workitem_id 0
		.amdhsa_next_free_vgpr 1
		.amdhsa_next_free_sgpr 1
		.amdhsa_named_barrier_count 0
		.amdhsa_reserve_vcc 0
		.amdhsa_float_round_mode_32 0
		.amdhsa_float_round_mode_16_64 0
		.amdhsa_float_denorm_mode_32 3
		.amdhsa_float_denorm_mode_16_64 3
		.amdhsa_fp16_overflow 0
		.amdhsa_memory_ordered 1
		.amdhsa_forward_progress 1
		.amdhsa_inst_pref_size 0
		.amdhsa_round_robin_scheduling 0
		.amdhsa_exception_fp_ieee_invalid_op 0
		.amdhsa_exception_fp_denorm_src 0
		.amdhsa_exception_fp_ieee_div_zero 0
		.amdhsa_exception_fp_ieee_overflow 0
		.amdhsa_exception_fp_ieee_underflow 0
		.amdhsa_exception_fp_ieee_inexact 0
		.amdhsa_exception_int_div_zero 0
	.end_amdhsa_kernel
	.section	.text._ZN7rocprim17ROCPRIM_400000_NS6detail17trampoline_kernelINS0_14default_configENS1_38merge_sort_block_merge_config_selectorItNS0_10empty_typeEEEZZNS1_27merge_sort_block_merge_implIS3_PtPS5_jNS1_19radix_merge_compareILb0ELb1EtNS0_19identity_decomposerEEEEE10hipError_tT0_T1_T2_jT3_P12ihipStream_tbPNSt15iterator_traitsISE_E10value_typeEPNSK_ISF_E10value_typeEPSG_NS1_7vsmem_tEENKUlT_SE_SF_SG_E_clIS8_S8_S9_S9_EESD_ST_SE_SF_SG_EUlST_E0_NS1_11comp_targetILNS1_3genE3ELNS1_11target_archE908ELNS1_3gpuE7ELNS1_3repE0EEENS1_38merge_mergepath_config_static_selectorELNS0_4arch9wavefront6targetE0EEEvSF_,"axG",@progbits,_ZN7rocprim17ROCPRIM_400000_NS6detail17trampoline_kernelINS0_14default_configENS1_38merge_sort_block_merge_config_selectorItNS0_10empty_typeEEEZZNS1_27merge_sort_block_merge_implIS3_PtPS5_jNS1_19radix_merge_compareILb0ELb1EtNS0_19identity_decomposerEEEEE10hipError_tT0_T1_T2_jT3_P12ihipStream_tbPNSt15iterator_traitsISE_E10value_typeEPNSK_ISF_E10value_typeEPSG_NS1_7vsmem_tEENKUlT_SE_SF_SG_E_clIS8_S8_S9_S9_EESD_ST_SE_SF_SG_EUlST_E0_NS1_11comp_targetILNS1_3genE3ELNS1_11target_archE908ELNS1_3gpuE7ELNS1_3repE0EEENS1_38merge_mergepath_config_static_selectorELNS0_4arch9wavefront6targetE0EEEvSF_,comdat
.Lfunc_end2467:
	.size	_ZN7rocprim17ROCPRIM_400000_NS6detail17trampoline_kernelINS0_14default_configENS1_38merge_sort_block_merge_config_selectorItNS0_10empty_typeEEEZZNS1_27merge_sort_block_merge_implIS3_PtPS5_jNS1_19radix_merge_compareILb0ELb1EtNS0_19identity_decomposerEEEEE10hipError_tT0_T1_T2_jT3_P12ihipStream_tbPNSt15iterator_traitsISE_E10value_typeEPNSK_ISF_E10value_typeEPSG_NS1_7vsmem_tEENKUlT_SE_SF_SG_E_clIS8_S8_S9_S9_EESD_ST_SE_SF_SG_EUlST_E0_NS1_11comp_targetILNS1_3genE3ELNS1_11target_archE908ELNS1_3gpuE7ELNS1_3repE0EEENS1_38merge_mergepath_config_static_selectorELNS0_4arch9wavefront6targetE0EEEvSF_, .Lfunc_end2467-_ZN7rocprim17ROCPRIM_400000_NS6detail17trampoline_kernelINS0_14default_configENS1_38merge_sort_block_merge_config_selectorItNS0_10empty_typeEEEZZNS1_27merge_sort_block_merge_implIS3_PtPS5_jNS1_19radix_merge_compareILb0ELb1EtNS0_19identity_decomposerEEEEE10hipError_tT0_T1_T2_jT3_P12ihipStream_tbPNSt15iterator_traitsISE_E10value_typeEPNSK_ISF_E10value_typeEPSG_NS1_7vsmem_tEENKUlT_SE_SF_SG_E_clIS8_S8_S9_S9_EESD_ST_SE_SF_SG_EUlST_E0_NS1_11comp_targetILNS1_3genE3ELNS1_11target_archE908ELNS1_3gpuE7ELNS1_3repE0EEENS1_38merge_mergepath_config_static_selectorELNS0_4arch9wavefront6targetE0EEEvSF_
                                        ; -- End function
	.set _ZN7rocprim17ROCPRIM_400000_NS6detail17trampoline_kernelINS0_14default_configENS1_38merge_sort_block_merge_config_selectorItNS0_10empty_typeEEEZZNS1_27merge_sort_block_merge_implIS3_PtPS5_jNS1_19radix_merge_compareILb0ELb1EtNS0_19identity_decomposerEEEEE10hipError_tT0_T1_T2_jT3_P12ihipStream_tbPNSt15iterator_traitsISE_E10value_typeEPNSK_ISF_E10value_typeEPSG_NS1_7vsmem_tEENKUlT_SE_SF_SG_E_clIS8_S8_S9_S9_EESD_ST_SE_SF_SG_EUlST_E0_NS1_11comp_targetILNS1_3genE3ELNS1_11target_archE908ELNS1_3gpuE7ELNS1_3repE0EEENS1_38merge_mergepath_config_static_selectorELNS0_4arch9wavefront6targetE0EEEvSF_.num_vgpr, 0
	.set _ZN7rocprim17ROCPRIM_400000_NS6detail17trampoline_kernelINS0_14default_configENS1_38merge_sort_block_merge_config_selectorItNS0_10empty_typeEEEZZNS1_27merge_sort_block_merge_implIS3_PtPS5_jNS1_19radix_merge_compareILb0ELb1EtNS0_19identity_decomposerEEEEE10hipError_tT0_T1_T2_jT3_P12ihipStream_tbPNSt15iterator_traitsISE_E10value_typeEPNSK_ISF_E10value_typeEPSG_NS1_7vsmem_tEENKUlT_SE_SF_SG_E_clIS8_S8_S9_S9_EESD_ST_SE_SF_SG_EUlST_E0_NS1_11comp_targetILNS1_3genE3ELNS1_11target_archE908ELNS1_3gpuE7ELNS1_3repE0EEENS1_38merge_mergepath_config_static_selectorELNS0_4arch9wavefront6targetE0EEEvSF_.num_agpr, 0
	.set _ZN7rocprim17ROCPRIM_400000_NS6detail17trampoline_kernelINS0_14default_configENS1_38merge_sort_block_merge_config_selectorItNS0_10empty_typeEEEZZNS1_27merge_sort_block_merge_implIS3_PtPS5_jNS1_19radix_merge_compareILb0ELb1EtNS0_19identity_decomposerEEEEE10hipError_tT0_T1_T2_jT3_P12ihipStream_tbPNSt15iterator_traitsISE_E10value_typeEPNSK_ISF_E10value_typeEPSG_NS1_7vsmem_tEENKUlT_SE_SF_SG_E_clIS8_S8_S9_S9_EESD_ST_SE_SF_SG_EUlST_E0_NS1_11comp_targetILNS1_3genE3ELNS1_11target_archE908ELNS1_3gpuE7ELNS1_3repE0EEENS1_38merge_mergepath_config_static_selectorELNS0_4arch9wavefront6targetE0EEEvSF_.numbered_sgpr, 0
	.set _ZN7rocprim17ROCPRIM_400000_NS6detail17trampoline_kernelINS0_14default_configENS1_38merge_sort_block_merge_config_selectorItNS0_10empty_typeEEEZZNS1_27merge_sort_block_merge_implIS3_PtPS5_jNS1_19radix_merge_compareILb0ELb1EtNS0_19identity_decomposerEEEEE10hipError_tT0_T1_T2_jT3_P12ihipStream_tbPNSt15iterator_traitsISE_E10value_typeEPNSK_ISF_E10value_typeEPSG_NS1_7vsmem_tEENKUlT_SE_SF_SG_E_clIS8_S8_S9_S9_EESD_ST_SE_SF_SG_EUlST_E0_NS1_11comp_targetILNS1_3genE3ELNS1_11target_archE908ELNS1_3gpuE7ELNS1_3repE0EEENS1_38merge_mergepath_config_static_selectorELNS0_4arch9wavefront6targetE0EEEvSF_.num_named_barrier, 0
	.set _ZN7rocprim17ROCPRIM_400000_NS6detail17trampoline_kernelINS0_14default_configENS1_38merge_sort_block_merge_config_selectorItNS0_10empty_typeEEEZZNS1_27merge_sort_block_merge_implIS3_PtPS5_jNS1_19radix_merge_compareILb0ELb1EtNS0_19identity_decomposerEEEEE10hipError_tT0_T1_T2_jT3_P12ihipStream_tbPNSt15iterator_traitsISE_E10value_typeEPNSK_ISF_E10value_typeEPSG_NS1_7vsmem_tEENKUlT_SE_SF_SG_E_clIS8_S8_S9_S9_EESD_ST_SE_SF_SG_EUlST_E0_NS1_11comp_targetILNS1_3genE3ELNS1_11target_archE908ELNS1_3gpuE7ELNS1_3repE0EEENS1_38merge_mergepath_config_static_selectorELNS0_4arch9wavefront6targetE0EEEvSF_.private_seg_size, 0
	.set _ZN7rocprim17ROCPRIM_400000_NS6detail17trampoline_kernelINS0_14default_configENS1_38merge_sort_block_merge_config_selectorItNS0_10empty_typeEEEZZNS1_27merge_sort_block_merge_implIS3_PtPS5_jNS1_19radix_merge_compareILb0ELb1EtNS0_19identity_decomposerEEEEE10hipError_tT0_T1_T2_jT3_P12ihipStream_tbPNSt15iterator_traitsISE_E10value_typeEPNSK_ISF_E10value_typeEPSG_NS1_7vsmem_tEENKUlT_SE_SF_SG_E_clIS8_S8_S9_S9_EESD_ST_SE_SF_SG_EUlST_E0_NS1_11comp_targetILNS1_3genE3ELNS1_11target_archE908ELNS1_3gpuE7ELNS1_3repE0EEENS1_38merge_mergepath_config_static_selectorELNS0_4arch9wavefront6targetE0EEEvSF_.uses_vcc, 0
	.set _ZN7rocprim17ROCPRIM_400000_NS6detail17trampoline_kernelINS0_14default_configENS1_38merge_sort_block_merge_config_selectorItNS0_10empty_typeEEEZZNS1_27merge_sort_block_merge_implIS3_PtPS5_jNS1_19radix_merge_compareILb0ELb1EtNS0_19identity_decomposerEEEEE10hipError_tT0_T1_T2_jT3_P12ihipStream_tbPNSt15iterator_traitsISE_E10value_typeEPNSK_ISF_E10value_typeEPSG_NS1_7vsmem_tEENKUlT_SE_SF_SG_E_clIS8_S8_S9_S9_EESD_ST_SE_SF_SG_EUlST_E0_NS1_11comp_targetILNS1_3genE3ELNS1_11target_archE908ELNS1_3gpuE7ELNS1_3repE0EEENS1_38merge_mergepath_config_static_selectorELNS0_4arch9wavefront6targetE0EEEvSF_.uses_flat_scratch, 0
	.set _ZN7rocprim17ROCPRIM_400000_NS6detail17trampoline_kernelINS0_14default_configENS1_38merge_sort_block_merge_config_selectorItNS0_10empty_typeEEEZZNS1_27merge_sort_block_merge_implIS3_PtPS5_jNS1_19radix_merge_compareILb0ELb1EtNS0_19identity_decomposerEEEEE10hipError_tT0_T1_T2_jT3_P12ihipStream_tbPNSt15iterator_traitsISE_E10value_typeEPNSK_ISF_E10value_typeEPSG_NS1_7vsmem_tEENKUlT_SE_SF_SG_E_clIS8_S8_S9_S9_EESD_ST_SE_SF_SG_EUlST_E0_NS1_11comp_targetILNS1_3genE3ELNS1_11target_archE908ELNS1_3gpuE7ELNS1_3repE0EEENS1_38merge_mergepath_config_static_selectorELNS0_4arch9wavefront6targetE0EEEvSF_.has_dyn_sized_stack, 0
	.set _ZN7rocprim17ROCPRIM_400000_NS6detail17trampoline_kernelINS0_14default_configENS1_38merge_sort_block_merge_config_selectorItNS0_10empty_typeEEEZZNS1_27merge_sort_block_merge_implIS3_PtPS5_jNS1_19radix_merge_compareILb0ELb1EtNS0_19identity_decomposerEEEEE10hipError_tT0_T1_T2_jT3_P12ihipStream_tbPNSt15iterator_traitsISE_E10value_typeEPNSK_ISF_E10value_typeEPSG_NS1_7vsmem_tEENKUlT_SE_SF_SG_E_clIS8_S8_S9_S9_EESD_ST_SE_SF_SG_EUlST_E0_NS1_11comp_targetILNS1_3genE3ELNS1_11target_archE908ELNS1_3gpuE7ELNS1_3repE0EEENS1_38merge_mergepath_config_static_selectorELNS0_4arch9wavefront6targetE0EEEvSF_.has_recursion, 0
	.set _ZN7rocprim17ROCPRIM_400000_NS6detail17trampoline_kernelINS0_14default_configENS1_38merge_sort_block_merge_config_selectorItNS0_10empty_typeEEEZZNS1_27merge_sort_block_merge_implIS3_PtPS5_jNS1_19radix_merge_compareILb0ELb1EtNS0_19identity_decomposerEEEEE10hipError_tT0_T1_T2_jT3_P12ihipStream_tbPNSt15iterator_traitsISE_E10value_typeEPNSK_ISF_E10value_typeEPSG_NS1_7vsmem_tEENKUlT_SE_SF_SG_E_clIS8_S8_S9_S9_EESD_ST_SE_SF_SG_EUlST_E0_NS1_11comp_targetILNS1_3genE3ELNS1_11target_archE908ELNS1_3gpuE7ELNS1_3repE0EEENS1_38merge_mergepath_config_static_selectorELNS0_4arch9wavefront6targetE0EEEvSF_.has_indirect_call, 0
	.section	.AMDGPU.csdata,"",@progbits
; Kernel info:
; codeLenInByte = 0
; TotalNumSgprs: 0
; NumVgprs: 0
; ScratchSize: 0
; MemoryBound: 0
; FloatMode: 240
; IeeeMode: 1
; LDSByteSize: 0 bytes/workgroup (compile time only)
; SGPRBlocks: 0
; VGPRBlocks: 0
; NumSGPRsForWavesPerEU: 1
; NumVGPRsForWavesPerEU: 1
; NamedBarCnt: 0
; Occupancy: 16
; WaveLimiterHint : 0
; COMPUTE_PGM_RSRC2:SCRATCH_EN: 0
; COMPUTE_PGM_RSRC2:USER_SGPR: 2
; COMPUTE_PGM_RSRC2:TRAP_HANDLER: 0
; COMPUTE_PGM_RSRC2:TGID_X_EN: 1
; COMPUTE_PGM_RSRC2:TGID_Y_EN: 0
; COMPUTE_PGM_RSRC2:TGID_Z_EN: 0
; COMPUTE_PGM_RSRC2:TIDIG_COMP_CNT: 0
	.section	.text._ZN7rocprim17ROCPRIM_400000_NS6detail17trampoline_kernelINS0_14default_configENS1_38merge_sort_block_merge_config_selectorItNS0_10empty_typeEEEZZNS1_27merge_sort_block_merge_implIS3_PtPS5_jNS1_19radix_merge_compareILb0ELb1EtNS0_19identity_decomposerEEEEE10hipError_tT0_T1_T2_jT3_P12ihipStream_tbPNSt15iterator_traitsISE_E10value_typeEPNSK_ISF_E10value_typeEPSG_NS1_7vsmem_tEENKUlT_SE_SF_SG_E_clIS8_S8_S9_S9_EESD_ST_SE_SF_SG_EUlST_E0_NS1_11comp_targetILNS1_3genE2ELNS1_11target_archE906ELNS1_3gpuE6ELNS1_3repE0EEENS1_38merge_mergepath_config_static_selectorELNS0_4arch9wavefront6targetE0EEEvSF_,"axG",@progbits,_ZN7rocprim17ROCPRIM_400000_NS6detail17trampoline_kernelINS0_14default_configENS1_38merge_sort_block_merge_config_selectorItNS0_10empty_typeEEEZZNS1_27merge_sort_block_merge_implIS3_PtPS5_jNS1_19radix_merge_compareILb0ELb1EtNS0_19identity_decomposerEEEEE10hipError_tT0_T1_T2_jT3_P12ihipStream_tbPNSt15iterator_traitsISE_E10value_typeEPNSK_ISF_E10value_typeEPSG_NS1_7vsmem_tEENKUlT_SE_SF_SG_E_clIS8_S8_S9_S9_EESD_ST_SE_SF_SG_EUlST_E0_NS1_11comp_targetILNS1_3genE2ELNS1_11target_archE906ELNS1_3gpuE6ELNS1_3repE0EEENS1_38merge_mergepath_config_static_selectorELNS0_4arch9wavefront6targetE0EEEvSF_,comdat
	.protected	_ZN7rocprim17ROCPRIM_400000_NS6detail17trampoline_kernelINS0_14default_configENS1_38merge_sort_block_merge_config_selectorItNS0_10empty_typeEEEZZNS1_27merge_sort_block_merge_implIS3_PtPS5_jNS1_19radix_merge_compareILb0ELb1EtNS0_19identity_decomposerEEEEE10hipError_tT0_T1_T2_jT3_P12ihipStream_tbPNSt15iterator_traitsISE_E10value_typeEPNSK_ISF_E10value_typeEPSG_NS1_7vsmem_tEENKUlT_SE_SF_SG_E_clIS8_S8_S9_S9_EESD_ST_SE_SF_SG_EUlST_E0_NS1_11comp_targetILNS1_3genE2ELNS1_11target_archE906ELNS1_3gpuE6ELNS1_3repE0EEENS1_38merge_mergepath_config_static_selectorELNS0_4arch9wavefront6targetE0EEEvSF_ ; -- Begin function _ZN7rocprim17ROCPRIM_400000_NS6detail17trampoline_kernelINS0_14default_configENS1_38merge_sort_block_merge_config_selectorItNS0_10empty_typeEEEZZNS1_27merge_sort_block_merge_implIS3_PtPS5_jNS1_19radix_merge_compareILb0ELb1EtNS0_19identity_decomposerEEEEE10hipError_tT0_T1_T2_jT3_P12ihipStream_tbPNSt15iterator_traitsISE_E10value_typeEPNSK_ISF_E10value_typeEPSG_NS1_7vsmem_tEENKUlT_SE_SF_SG_E_clIS8_S8_S9_S9_EESD_ST_SE_SF_SG_EUlST_E0_NS1_11comp_targetILNS1_3genE2ELNS1_11target_archE906ELNS1_3gpuE6ELNS1_3repE0EEENS1_38merge_mergepath_config_static_selectorELNS0_4arch9wavefront6targetE0EEEvSF_
	.globl	_ZN7rocprim17ROCPRIM_400000_NS6detail17trampoline_kernelINS0_14default_configENS1_38merge_sort_block_merge_config_selectorItNS0_10empty_typeEEEZZNS1_27merge_sort_block_merge_implIS3_PtPS5_jNS1_19radix_merge_compareILb0ELb1EtNS0_19identity_decomposerEEEEE10hipError_tT0_T1_T2_jT3_P12ihipStream_tbPNSt15iterator_traitsISE_E10value_typeEPNSK_ISF_E10value_typeEPSG_NS1_7vsmem_tEENKUlT_SE_SF_SG_E_clIS8_S8_S9_S9_EESD_ST_SE_SF_SG_EUlST_E0_NS1_11comp_targetILNS1_3genE2ELNS1_11target_archE906ELNS1_3gpuE6ELNS1_3repE0EEENS1_38merge_mergepath_config_static_selectorELNS0_4arch9wavefront6targetE0EEEvSF_
	.p2align	8
	.type	_ZN7rocprim17ROCPRIM_400000_NS6detail17trampoline_kernelINS0_14default_configENS1_38merge_sort_block_merge_config_selectorItNS0_10empty_typeEEEZZNS1_27merge_sort_block_merge_implIS3_PtPS5_jNS1_19radix_merge_compareILb0ELb1EtNS0_19identity_decomposerEEEEE10hipError_tT0_T1_T2_jT3_P12ihipStream_tbPNSt15iterator_traitsISE_E10value_typeEPNSK_ISF_E10value_typeEPSG_NS1_7vsmem_tEENKUlT_SE_SF_SG_E_clIS8_S8_S9_S9_EESD_ST_SE_SF_SG_EUlST_E0_NS1_11comp_targetILNS1_3genE2ELNS1_11target_archE906ELNS1_3gpuE6ELNS1_3repE0EEENS1_38merge_mergepath_config_static_selectorELNS0_4arch9wavefront6targetE0EEEvSF_,@function
_ZN7rocprim17ROCPRIM_400000_NS6detail17trampoline_kernelINS0_14default_configENS1_38merge_sort_block_merge_config_selectorItNS0_10empty_typeEEEZZNS1_27merge_sort_block_merge_implIS3_PtPS5_jNS1_19radix_merge_compareILb0ELb1EtNS0_19identity_decomposerEEEEE10hipError_tT0_T1_T2_jT3_P12ihipStream_tbPNSt15iterator_traitsISE_E10value_typeEPNSK_ISF_E10value_typeEPSG_NS1_7vsmem_tEENKUlT_SE_SF_SG_E_clIS8_S8_S9_S9_EESD_ST_SE_SF_SG_EUlST_E0_NS1_11comp_targetILNS1_3genE2ELNS1_11target_archE906ELNS1_3gpuE6ELNS1_3repE0EEENS1_38merge_mergepath_config_static_selectorELNS0_4arch9wavefront6targetE0EEEvSF_: ; @_ZN7rocprim17ROCPRIM_400000_NS6detail17trampoline_kernelINS0_14default_configENS1_38merge_sort_block_merge_config_selectorItNS0_10empty_typeEEEZZNS1_27merge_sort_block_merge_implIS3_PtPS5_jNS1_19radix_merge_compareILb0ELb1EtNS0_19identity_decomposerEEEEE10hipError_tT0_T1_T2_jT3_P12ihipStream_tbPNSt15iterator_traitsISE_E10value_typeEPNSK_ISF_E10value_typeEPSG_NS1_7vsmem_tEENKUlT_SE_SF_SG_E_clIS8_S8_S9_S9_EESD_ST_SE_SF_SG_EUlST_E0_NS1_11comp_targetILNS1_3genE2ELNS1_11target_archE906ELNS1_3gpuE6ELNS1_3repE0EEENS1_38merge_mergepath_config_static_selectorELNS0_4arch9wavefront6targetE0EEEvSF_
; %bb.0:
	.section	.rodata,"a",@progbits
	.p2align	6, 0x0
	.amdhsa_kernel _ZN7rocprim17ROCPRIM_400000_NS6detail17trampoline_kernelINS0_14default_configENS1_38merge_sort_block_merge_config_selectorItNS0_10empty_typeEEEZZNS1_27merge_sort_block_merge_implIS3_PtPS5_jNS1_19radix_merge_compareILb0ELb1EtNS0_19identity_decomposerEEEEE10hipError_tT0_T1_T2_jT3_P12ihipStream_tbPNSt15iterator_traitsISE_E10value_typeEPNSK_ISF_E10value_typeEPSG_NS1_7vsmem_tEENKUlT_SE_SF_SG_E_clIS8_S8_S9_S9_EESD_ST_SE_SF_SG_EUlST_E0_NS1_11comp_targetILNS1_3genE2ELNS1_11target_archE906ELNS1_3gpuE6ELNS1_3repE0EEENS1_38merge_mergepath_config_static_selectorELNS0_4arch9wavefront6targetE0EEEvSF_
		.amdhsa_group_segment_fixed_size 0
		.amdhsa_private_segment_fixed_size 0
		.amdhsa_kernarg_size 64
		.amdhsa_user_sgpr_count 2
		.amdhsa_user_sgpr_dispatch_ptr 0
		.amdhsa_user_sgpr_queue_ptr 0
		.amdhsa_user_sgpr_kernarg_segment_ptr 1
		.amdhsa_user_sgpr_dispatch_id 0
		.amdhsa_user_sgpr_kernarg_preload_length 0
		.amdhsa_user_sgpr_kernarg_preload_offset 0
		.amdhsa_user_sgpr_private_segment_size 0
		.amdhsa_wavefront_size32 1
		.amdhsa_uses_dynamic_stack 0
		.amdhsa_enable_private_segment 0
		.amdhsa_system_sgpr_workgroup_id_x 1
		.amdhsa_system_sgpr_workgroup_id_y 0
		.amdhsa_system_sgpr_workgroup_id_z 0
		.amdhsa_system_sgpr_workgroup_info 0
		.amdhsa_system_vgpr_workitem_id 0
		.amdhsa_next_free_vgpr 1
		.amdhsa_next_free_sgpr 1
		.amdhsa_named_barrier_count 0
		.amdhsa_reserve_vcc 0
		.amdhsa_float_round_mode_32 0
		.amdhsa_float_round_mode_16_64 0
		.amdhsa_float_denorm_mode_32 3
		.amdhsa_float_denorm_mode_16_64 3
		.amdhsa_fp16_overflow 0
		.amdhsa_memory_ordered 1
		.amdhsa_forward_progress 1
		.amdhsa_inst_pref_size 0
		.amdhsa_round_robin_scheduling 0
		.amdhsa_exception_fp_ieee_invalid_op 0
		.amdhsa_exception_fp_denorm_src 0
		.amdhsa_exception_fp_ieee_div_zero 0
		.amdhsa_exception_fp_ieee_overflow 0
		.amdhsa_exception_fp_ieee_underflow 0
		.amdhsa_exception_fp_ieee_inexact 0
		.amdhsa_exception_int_div_zero 0
	.end_amdhsa_kernel
	.section	.text._ZN7rocprim17ROCPRIM_400000_NS6detail17trampoline_kernelINS0_14default_configENS1_38merge_sort_block_merge_config_selectorItNS0_10empty_typeEEEZZNS1_27merge_sort_block_merge_implIS3_PtPS5_jNS1_19radix_merge_compareILb0ELb1EtNS0_19identity_decomposerEEEEE10hipError_tT0_T1_T2_jT3_P12ihipStream_tbPNSt15iterator_traitsISE_E10value_typeEPNSK_ISF_E10value_typeEPSG_NS1_7vsmem_tEENKUlT_SE_SF_SG_E_clIS8_S8_S9_S9_EESD_ST_SE_SF_SG_EUlST_E0_NS1_11comp_targetILNS1_3genE2ELNS1_11target_archE906ELNS1_3gpuE6ELNS1_3repE0EEENS1_38merge_mergepath_config_static_selectorELNS0_4arch9wavefront6targetE0EEEvSF_,"axG",@progbits,_ZN7rocprim17ROCPRIM_400000_NS6detail17trampoline_kernelINS0_14default_configENS1_38merge_sort_block_merge_config_selectorItNS0_10empty_typeEEEZZNS1_27merge_sort_block_merge_implIS3_PtPS5_jNS1_19radix_merge_compareILb0ELb1EtNS0_19identity_decomposerEEEEE10hipError_tT0_T1_T2_jT3_P12ihipStream_tbPNSt15iterator_traitsISE_E10value_typeEPNSK_ISF_E10value_typeEPSG_NS1_7vsmem_tEENKUlT_SE_SF_SG_E_clIS8_S8_S9_S9_EESD_ST_SE_SF_SG_EUlST_E0_NS1_11comp_targetILNS1_3genE2ELNS1_11target_archE906ELNS1_3gpuE6ELNS1_3repE0EEENS1_38merge_mergepath_config_static_selectorELNS0_4arch9wavefront6targetE0EEEvSF_,comdat
.Lfunc_end2468:
	.size	_ZN7rocprim17ROCPRIM_400000_NS6detail17trampoline_kernelINS0_14default_configENS1_38merge_sort_block_merge_config_selectorItNS0_10empty_typeEEEZZNS1_27merge_sort_block_merge_implIS3_PtPS5_jNS1_19radix_merge_compareILb0ELb1EtNS0_19identity_decomposerEEEEE10hipError_tT0_T1_T2_jT3_P12ihipStream_tbPNSt15iterator_traitsISE_E10value_typeEPNSK_ISF_E10value_typeEPSG_NS1_7vsmem_tEENKUlT_SE_SF_SG_E_clIS8_S8_S9_S9_EESD_ST_SE_SF_SG_EUlST_E0_NS1_11comp_targetILNS1_3genE2ELNS1_11target_archE906ELNS1_3gpuE6ELNS1_3repE0EEENS1_38merge_mergepath_config_static_selectorELNS0_4arch9wavefront6targetE0EEEvSF_, .Lfunc_end2468-_ZN7rocprim17ROCPRIM_400000_NS6detail17trampoline_kernelINS0_14default_configENS1_38merge_sort_block_merge_config_selectorItNS0_10empty_typeEEEZZNS1_27merge_sort_block_merge_implIS3_PtPS5_jNS1_19radix_merge_compareILb0ELb1EtNS0_19identity_decomposerEEEEE10hipError_tT0_T1_T2_jT3_P12ihipStream_tbPNSt15iterator_traitsISE_E10value_typeEPNSK_ISF_E10value_typeEPSG_NS1_7vsmem_tEENKUlT_SE_SF_SG_E_clIS8_S8_S9_S9_EESD_ST_SE_SF_SG_EUlST_E0_NS1_11comp_targetILNS1_3genE2ELNS1_11target_archE906ELNS1_3gpuE6ELNS1_3repE0EEENS1_38merge_mergepath_config_static_selectorELNS0_4arch9wavefront6targetE0EEEvSF_
                                        ; -- End function
	.set _ZN7rocprim17ROCPRIM_400000_NS6detail17trampoline_kernelINS0_14default_configENS1_38merge_sort_block_merge_config_selectorItNS0_10empty_typeEEEZZNS1_27merge_sort_block_merge_implIS3_PtPS5_jNS1_19radix_merge_compareILb0ELb1EtNS0_19identity_decomposerEEEEE10hipError_tT0_T1_T2_jT3_P12ihipStream_tbPNSt15iterator_traitsISE_E10value_typeEPNSK_ISF_E10value_typeEPSG_NS1_7vsmem_tEENKUlT_SE_SF_SG_E_clIS8_S8_S9_S9_EESD_ST_SE_SF_SG_EUlST_E0_NS1_11comp_targetILNS1_3genE2ELNS1_11target_archE906ELNS1_3gpuE6ELNS1_3repE0EEENS1_38merge_mergepath_config_static_selectorELNS0_4arch9wavefront6targetE0EEEvSF_.num_vgpr, 0
	.set _ZN7rocprim17ROCPRIM_400000_NS6detail17trampoline_kernelINS0_14default_configENS1_38merge_sort_block_merge_config_selectorItNS0_10empty_typeEEEZZNS1_27merge_sort_block_merge_implIS3_PtPS5_jNS1_19radix_merge_compareILb0ELb1EtNS0_19identity_decomposerEEEEE10hipError_tT0_T1_T2_jT3_P12ihipStream_tbPNSt15iterator_traitsISE_E10value_typeEPNSK_ISF_E10value_typeEPSG_NS1_7vsmem_tEENKUlT_SE_SF_SG_E_clIS8_S8_S9_S9_EESD_ST_SE_SF_SG_EUlST_E0_NS1_11comp_targetILNS1_3genE2ELNS1_11target_archE906ELNS1_3gpuE6ELNS1_3repE0EEENS1_38merge_mergepath_config_static_selectorELNS0_4arch9wavefront6targetE0EEEvSF_.num_agpr, 0
	.set _ZN7rocprim17ROCPRIM_400000_NS6detail17trampoline_kernelINS0_14default_configENS1_38merge_sort_block_merge_config_selectorItNS0_10empty_typeEEEZZNS1_27merge_sort_block_merge_implIS3_PtPS5_jNS1_19radix_merge_compareILb0ELb1EtNS0_19identity_decomposerEEEEE10hipError_tT0_T1_T2_jT3_P12ihipStream_tbPNSt15iterator_traitsISE_E10value_typeEPNSK_ISF_E10value_typeEPSG_NS1_7vsmem_tEENKUlT_SE_SF_SG_E_clIS8_S8_S9_S9_EESD_ST_SE_SF_SG_EUlST_E0_NS1_11comp_targetILNS1_3genE2ELNS1_11target_archE906ELNS1_3gpuE6ELNS1_3repE0EEENS1_38merge_mergepath_config_static_selectorELNS0_4arch9wavefront6targetE0EEEvSF_.numbered_sgpr, 0
	.set _ZN7rocprim17ROCPRIM_400000_NS6detail17trampoline_kernelINS0_14default_configENS1_38merge_sort_block_merge_config_selectorItNS0_10empty_typeEEEZZNS1_27merge_sort_block_merge_implIS3_PtPS5_jNS1_19radix_merge_compareILb0ELb1EtNS0_19identity_decomposerEEEEE10hipError_tT0_T1_T2_jT3_P12ihipStream_tbPNSt15iterator_traitsISE_E10value_typeEPNSK_ISF_E10value_typeEPSG_NS1_7vsmem_tEENKUlT_SE_SF_SG_E_clIS8_S8_S9_S9_EESD_ST_SE_SF_SG_EUlST_E0_NS1_11comp_targetILNS1_3genE2ELNS1_11target_archE906ELNS1_3gpuE6ELNS1_3repE0EEENS1_38merge_mergepath_config_static_selectorELNS0_4arch9wavefront6targetE0EEEvSF_.num_named_barrier, 0
	.set _ZN7rocprim17ROCPRIM_400000_NS6detail17trampoline_kernelINS0_14default_configENS1_38merge_sort_block_merge_config_selectorItNS0_10empty_typeEEEZZNS1_27merge_sort_block_merge_implIS3_PtPS5_jNS1_19radix_merge_compareILb0ELb1EtNS0_19identity_decomposerEEEEE10hipError_tT0_T1_T2_jT3_P12ihipStream_tbPNSt15iterator_traitsISE_E10value_typeEPNSK_ISF_E10value_typeEPSG_NS1_7vsmem_tEENKUlT_SE_SF_SG_E_clIS8_S8_S9_S9_EESD_ST_SE_SF_SG_EUlST_E0_NS1_11comp_targetILNS1_3genE2ELNS1_11target_archE906ELNS1_3gpuE6ELNS1_3repE0EEENS1_38merge_mergepath_config_static_selectorELNS0_4arch9wavefront6targetE0EEEvSF_.private_seg_size, 0
	.set _ZN7rocprim17ROCPRIM_400000_NS6detail17trampoline_kernelINS0_14default_configENS1_38merge_sort_block_merge_config_selectorItNS0_10empty_typeEEEZZNS1_27merge_sort_block_merge_implIS3_PtPS5_jNS1_19radix_merge_compareILb0ELb1EtNS0_19identity_decomposerEEEEE10hipError_tT0_T1_T2_jT3_P12ihipStream_tbPNSt15iterator_traitsISE_E10value_typeEPNSK_ISF_E10value_typeEPSG_NS1_7vsmem_tEENKUlT_SE_SF_SG_E_clIS8_S8_S9_S9_EESD_ST_SE_SF_SG_EUlST_E0_NS1_11comp_targetILNS1_3genE2ELNS1_11target_archE906ELNS1_3gpuE6ELNS1_3repE0EEENS1_38merge_mergepath_config_static_selectorELNS0_4arch9wavefront6targetE0EEEvSF_.uses_vcc, 0
	.set _ZN7rocprim17ROCPRIM_400000_NS6detail17trampoline_kernelINS0_14default_configENS1_38merge_sort_block_merge_config_selectorItNS0_10empty_typeEEEZZNS1_27merge_sort_block_merge_implIS3_PtPS5_jNS1_19radix_merge_compareILb0ELb1EtNS0_19identity_decomposerEEEEE10hipError_tT0_T1_T2_jT3_P12ihipStream_tbPNSt15iterator_traitsISE_E10value_typeEPNSK_ISF_E10value_typeEPSG_NS1_7vsmem_tEENKUlT_SE_SF_SG_E_clIS8_S8_S9_S9_EESD_ST_SE_SF_SG_EUlST_E0_NS1_11comp_targetILNS1_3genE2ELNS1_11target_archE906ELNS1_3gpuE6ELNS1_3repE0EEENS1_38merge_mergepath_config_static_selectorELNS0_4arch9wavefront6targetE0EEEvSF_.uses_flat_scratch, 0
	.set _ZN7rocprim17ROCPRIM_400000_NS6detail17trampoline_kernelINS0_14default_configENS1_38merge_sort_block_merge_config_selectorItNS0_10empty_typeEEEZZNS1_27merge_sort_block_merge_implIS3_PtPS5_jNS1_19radix_merge_compareILb0ELb1EtNS0_19identity_decomposerEEEEE10hipError_tT0_T1_T2_jT3_P12ihipStream_tbPNSt15iterator_traitsISE_E10value_typeEPNSK_ISF_E10value_typeEPSG_NS1_7vsmem_tEENKUlT_SE_SF_SG_E_clIS8_S8_S9_S9_EESD_ST_SE_SF_SG_EUlST_E0_NS1_11comp_targetILNS1_3genE2ELNS1_11target_archE906ELNS1_3gpuE6ELNS1_3repE0EEENS1_38merge_mergepath_config_static_selectorELNS0_4arch9wavefront6targetE0EEEvSF_.has_dyn_sized_stack, 0
	.set _ZN7rocprim17ROCPRIM_400000_NS6detail17trampoline_kernelINS0_14default_configENS1_38merge_sort_block_merge_config_selectorItNS0_10empty_typeEEEZZNS1_27merge_sort_block_merge_implIS3_PtPS5_jNS1_19radix_merge_compareILb0ELb1EtNS0_19identity_decomposerEEEEE10hipError_tT0_T1_T2_jT3_P12ihipStream_tbPNSt15iterator_traitsISE_E10value_typeEPNSK_ISF_E10value_typeEPSG_NS1_7vsmem_tEENKUlT_SE_SF_SG_E_clIS8_S8_S9_S9_EESD_ST_SE_SF_SG_EUlST_E0_NS1_11comp_targetILNS1_3genE2ELNS1_11target_archE906ELNS1_3gpuE6ELNS1_3repE0EEENS1_38merge_mergepath_config_static_selectorELNS0_4arch9wavefront6targetE0EEEvSF_.has_recursion, 0
	.set _ZN7rocprim17ROCPRIM_400000_NS6detail17trampoline_kernelINS0_14default_configENS1_38merge_sort_block_merge_config_selectorItNS0_10empty_typeEEEZZNS1_27merge_sort_block_merge_implIS3_PtPS5_jNS1_19radix_merge_compareILb0ELb1EtNS0_19identity_decomposerEEEEE10hipError_tT0_T1_T2_jT3_P12ihipStream_tbPNSt15iterator_traitsISE_E10value_typeEPNSK_ISF_E10value_typeEPSG_NS1_7vsmem_tEENKUlT_SE_SF_SG_E_clIS8_S8_S9_S9_EESD_ST_SE_SF_SG_EUlST_E0_NS1_11comp_targetILNS1_3genE2ELNS1_11target_archE906ELNS1_3gpuE6ELNS1_3repE0EEENS1_38merge_mergepath_config_static_selectorELNS0_4arch9wavefront6targetE0EEEvSF_.has_indirect_call, 0
	.section	.AMDGPU.csdata,"",@progbits
; Kernel info:
; codeLenInByte = 0
; TotalNumSgprs: 0
; NumVgprs: 0
; ScratchSize: 0
; MemoryBound: 0
; FloatMode: 240
; IeeeMode: 1
; LDSByteSize: 0 bytes/workgroup (compile time only)
; SGPRBlocks: 0
; VGPRBlocks: 0
; NumSGPRsForWavesPerEU: 1
; NumVGPRsForWavesPerEU: 1
; NamedBarCnt: 0
; Occupancy: 16
; WaveLimiterHint : 0
; COMPUTE_PGM_RSRC2:SCRATCH_EN: 0
; COMPUTE_PGM_RSRC2:USER_SGPR: 2
; COMPUTE_PGM_RSRC2:TRAP_HANDLER: 0
; COMPUTE_PGM_RSRC2:TGID_X_EN: 1
; COMPUTE_PGM_RSRC2:TGID_Y_EN: 0
; COMPUTE_PGM_RSRC2:TGID_Z_EN: 0
; COMPUTE_PGM_RSRC2:TIDIG_COMP_CNT: 0
	.section	.text._ZN7rocprim17ROCPRIM_400000_NS6detail17trampoline_kernelINS0_14default_configENS1_38merge_sort_block_merge_config_selectorItNS0_10empty_typeEEEZZNS1_27merge_sort_block_merge_implIS3_PtPS5_jNS1_19radix_merge_compareILb0ELb1EtNS0_19identity_decomposerEEEEE10hipError_tT0_T1_T2_jT3_P12ihipStream_tbPNSt15iterator_traitsISE_E10value_typeEPNSK_ISF_E10value_typeEPSG_NS1_7vsmem_tEENKUlT_SE_SF_SG_E_clIS8_S8_S9_S9_EESD_ST_SE_SF_SG_EUlST_E0_NS1_11comp_targetILNS1_3genE9ELNS1_11target_archE1100ELNS1_3gpuE3ELNS1_3repE0EEENS1_38merge_mergepath_config_static_selectorELNS0_4arch9wavefront6targetE0EEEvSF_,"axG",@progbits,_ZN7rocprim17ROCPRIM_400000_NS6detail17trampoline_kernelINS0_14default_configENS1_38merge_sort_block_merge_config_selectorItNS0_10empty_typeEEEZZNS1_27merge_sort_block_merge_implIS3_PtPS5_jNS1_19radix_merge_compareILb0ELb1EtNS0_19identity_decomposerEEEEE10hipError_tT0_T1_T2_jT3_P12ihipStream_tbPNSt15iterator_traitsISE_E10value_typeEPNSK_ISF_E10value_typeEPSG_NS1_7vsmem_tEENKUlT_SE_SF_SG_E_clIS8_S8_S9_S9_EESD_ST_SE_SF_SG_EUlST_E0_NS1_11comp_targetILNS1_3genE9ELNS1_11target_archE1100ELNS1_3gpuE3ELNS1_3repE0EEENS1_38merge_mergepath_config_static_selectorELNS0_4arch9wavefront6targetE0EEEvSF_,comdat
	.protected	_ZN7rocprim17ROCPRIM_400000_NS6detail17trampoline_kernelINS0_14default_configENS1_38merge_sort_block_merge_config_selectorItNS0_10empty_typeEEEZZNS1_27merge_sort_block_merge_implIS3_PtPS5_jNS1_19radix_merge_compareILb0ELb1EtNS0_19identity_decomposerEEEEE10hipError_tT0_T1_T2_jT3_P12ihipStream_tbPNSt15iterator_traitsISE_E10value_typeEPNSK_ISF_E10value_typeEPSG_NS1_7vsmem_tEENKUlT_SE_SF_SG_E_clIS8_S8_S9_S9_EESD_ST_SE_SF_SG_EUlST_E0_NS1_11comp_targetILNS1_3genE9ELNS1_11target_archE1100ELNS1_3gpuE3ELNS1_3repE0EEENS1_38merge_mergepath_config_static_selectorELNS0_4arch9wavefront6targetE0EEEvSF_ ; -- Begin function _ZN7rocprim17ROCPRIM_400000_NS6detail17trampoline_kernelINS0_14default_configENS1_38merge_sort_block_merge_config_selectorItNS0_10empty_typeEEEZZNS1_27merge_sort_block_merge_implIS3_PtPS5_jNS1_19radix_merge_compareILb0ELb1EtNS0_19identity_decomposerEEEEE10hipError_tT0_T1_T2_jT3_P12ihipStream_tbPNSt15iterator_traitsISE_E10value_typeEPNSK_ISF_E10value_typeEPSG_NS1_7vsmem_tEENKUlT_SE_SF_SG_E_clIS8_S8_S9_S9_EESD_ST_SE_SF_SG_EUlST_E0_NS1_11comp_targetILNS1_3genE9ELNS1_11target_archE1100ELNS1_3gpuE3ELNS1_3repE0EEENS1_38merge_mergepath_config_static_selectorELNS0_4arch9wavefront6targetE0EEEvSF_
	.globl	_ZN7rocprim17ROCPRIM_400000_NS6detail17trampoline_kernelINS0_14default_configENS1_38merge_sort_block_merge_config_selectorItNS0_10empty_typeEEEZZNS1_27merge_sort_block_merge_implIS3_PtPS5_jNS1_19radix_merge_compareILb0ELb1EtNS0_19identity_decomposerEEEEE10hipError_tT0_T1_T2_jT3_P12ihipStream_tbPNSt15iterator_traitsISE_E10value_typeEPNSK_ISF_E10value_typeEPSG_NS1_7vsmem_tEENKUlT_SE_SF_SG_E_clIS8_S8_S9_S9_EESD_ST_SE_SF_SG_EUlST_E0_NS1_11comp_targetILNS1_3genE9ELNS1_11target_archE1100ELNS1_3gpuE3ELNS1_3repE0EEENS1_38merge_mergepath_config_static_selectorELNS0_4arch9wavefront6targetE0EEEvSF_
	.p2align	8
	.type	_ZN7rocprim17ROCPRIM_400000_NS6detail17trampoline_kernelINS0_14default_configENS1_38merge_sort_block_merge_config_selectorItNS0_10empty_typeEEEZZNS1_27merge_sort_block_merge_implIS3_PtPS5_jNS1_19radix_merge_compareILb0ELb1EtNS0_19identity_decomposerEEEEE10hipError_tT0_T1_T2_jT3_P12ihipStream_tbPNSt15iterator_traitsISE_E10value_typeEPNSK_ISF_E10value_typeEPSG_NS1_7vsmem_tEENKUlT_SE_SF_SG_E_clIS8_S8_S9_S9_EESD_ST_SE_SF_SG_EUlST_E0_NS1_11comp_targetILNS1_3genE9ELNS1_11target_archE1100ELNS1_3gpuE3ELNS1_3repE0EEENS1_38merge_mergepath_config_static_selectorELNS0_4arch9wavefront6targetE0EEEvSF_,@function
_ZN7rocprim17ROCPRIM_400000_NS6detail17trampoline_kernelINS0_14default_configENS1_38merge_sort_block_merge_config_selectorItNS0_10empty_typeEEEZZNS1_27merge_sort_block_merge_implIS3_PtPS5_jNS1_19radix_merge_compareILb0ELb1EtNS0_19identity_decomposerEEEEE10hipError_tT0_T1_T2_jT3_P12ihipStream_tbPNSt15iterator_traitsISE_E10value_typeEPNSK_ISF_E10value_typeEPSG_NS1_7vsmem_tEENKUlT_SE_SF_SG_E_clIS8_S8_S9_S9_EESD_ST_SE_SF_SG_EUlST_E0_NS1_11comp_targetILNS1_3genE9ELNS1_11target_archE1100ELNS1_3gpuE3ELNS1_3repE0EEENS1_38merge_mergepath_config_static_selectorELNS0_4arch9wavefront6targetE0EEEvSF_: ; @_ZN7rocprim17ROCPRIM_400000_NS6detail17trampoline_kernelINS0_14default_configENS1_38merge_sort_block_merge_config_selectorItNS0_10empty_typeEEEZZNS1_27merge_sort_block_merge_implIS3_PtPS5_jNS1_19radix_merge_compareILb0ELb1EtNS0_19identity_decomposerEEEEE10hipError_tT0_T1_T2_jT3_P12ihipStream_tbPNSt15iterator_traitsISE_E10value_typeEPNSK_ISF_E10value_typeEPSG_NS1_7vsmem_tEENKUlT_SE_SF_SG_E_clIS8_S8_S9_S9_EESD_ST_SE_SF_SG_EUlST_E0_NS1_11comp_targetILNS1_3genE9ELNS1_11target_archE1100ELNS1_3gpuE3ELNS1_3repE0EEENS1_38merge_mergepath_config_static_selectorELNS0_4arch9wavefront6targetE0EEEvSF_
; %bb.0:
	.section	.rodata,"a",@progbits
	.p2align	6, 0x0
	.amdhsa_kernel _ZN7rocprim17ROCPRIM_400000_NS6detail17trampoline_kernelINS0_14default_configENS1_38merge_sort_block_merge_config_selectorItNS0_10empty_typeEEEZZNS1_27merge_sort_block_merge_implIS3_PtPS5_jNS1_19radix_merge_compareILb0ELb1EtNS0_19identity_decomposerEEEEE10hipError_tT0_T1_T2_jT3_P12ihipStream_tbPNSt15iterator_traitsISE_E10value_typeEPNSK_ISF_E10value_typeEPSG_NS1_7vsmem_tEENKUlT_SE_SF_SG_E_clIS8_S8_S9_S9_EESD_ST_SE_SF_SG_EUlST_E0_NS1_11comp_targetILNS1_3genE9ELNS1_11target_archE1100ELNS1_3gpuE3ELNS1_3repE0EEENS1_38merge_mergepath_config_static_selectorELNS0_4arch9wavefront6targetE0EEEvSF_
		.amdhsa_group_segment_fixed_size 0
		.amdhsa_private_segment_fixed_size 0
		.amdhsa_kernarg_size 64
		.amdhsa_user_sgpr_count 2
		.amdhsa_user_sgpr_dispatch_ptr 0
		.amdhsa_user_sgpr_queue_ptr 0
		.amdhsa_user_sgpr_kernarg_segment_ptr 1
		.amdhsa_user_sgpr_dispatch_id 0
		.amdhsa_user_sgpr_kernarg_preload_length 0
		.amdhsa_user_sgpr_kernarg_preload_offset 0
		.amdhsa_user_sgpr_private_segment_size 0
		.amdhsa_wavefront_size32 1
		.amdhsa_uses_dynamic_stack 0
		.amdhsa_enable_private_segment 0
		.amdhsa_system_sgpr_workgroup_id_x 1
		.amdhsa_system_sgpr_workgroup_id_y 0
		.amdhsa_system_sgpr_workgroup_id_z 0
		.amdhsa_system_sgpr_workgroup_info 0
		.amdhsa_system_vgpr_workitem_id 0
		.amdhsa_next_free_vgpr 1
		.amdhsa_next_free_sgpr 1
		.amdhsa_named_barrier_count 0
		.amdhsa_reserve_vcc 0
		.amdhsa_float_round_mode_32 0
		.amdhsa_float_round_mode_16_64 0
		.amdhsa_float_denorm_mode_32 3
		.amdhsa_float_denorm_mode_16_64 3
		.amdhsa_fp16_overflow 0
		.amdhsa_memory_ordered 1
		.amdhsa_forward_progress 1
		.amdhsa_inst_pref_size 0
		.amdhsa_round_robin_scheduling 0
		.amdhsa_exception_fp_ieee_invalid_op 0
		.amdhsa_exception_fp_denorm_src 0
		.amdhsa_exception_fp_ieee_div_zero 0
		.amdhsa_exception_fp_ieee_overflow 0
		.amdhsa_exception_fp_ieee_underflow 0
		.amdhsa_exception_fp_ieee_inexact 0
		.amdhsa_exception_int_div_zero 0
	.end_amdhsa_kernel
	.section	.text._ZN7rocprim17ROCPRIM_400000_NS6detail17trampoline_kernelINS0_14default_configENS1_38merge_sort_block_merge_config_selectorItNS0_10empty_typeEEEZZNS1_27merge_sort_block_merge_implIS3_PtPS5_jNS1_19radix_merge_compareILb0ELb1EtNS0_19identity_decomposerEEEEE10hipError_tT0_T1_T2_jT3_P12ihipStream_tbPNSt15iterator_traitsISE_E10value_typeEPNSK_ISF_E10value_typeEPSG_NS1_7vsmem_tEENKUlT_SE_SF_SG_E_clIS8_S8_S9_S9_EESD_ST_SE_SF_SG_EUlST_E0_NS1_11comp_targetILNS1_3genE9ELNS1_11target_archE1100ELNS1_3gpuE3ELNS1_3repE0EEENS1_38merge_mergepath_config_static_selectorELNS0_4arch9wavefront6targetE0EEEvSF_,"axG",@progbits,_ZN7rocprim17ROCPRIM_400000_NS6detail17trampoline_kernelINS0_14default_configENS1_38merge_sort_block_merge_config_selectorItNS0_10empty_typeEEEZZNS1_27merge_sort_block_merge_implIS3_PtPS5_jNS1_19radix_merge_compareILb0ELb1EtNS0_19identity_decomposerEEEEE10hipError_tT0_T1_T2_jT3_P12ihipStream_tbPNSt15iterator_traitsISE_E10value_typeEPNSK_ISF_E10value_typeEPSG_NS1_7vsmem_tEENKUlT_SE_SF_SG_E_clIS8_S8_S9_S9_EESD_ST_SE_SF_SG_EUlST_E0_NS1_11comp_targetILNS1_3genE9ELNS1_11target_archE1100ELNS1_3gpuE3ELNS1_3repE0EEENS1_38merge_mergepath_config_static_selectorELNS0_4arch9wavefront6targetE0EEEvSF_,comdat
.Lfunc_end2469:
	.size	_ZN7rocprim17ROCPRIM_400000_NS6detail17trampoline_kernelINS0_14default_configENS1_38merge_sort_block_merge_config_selectorItNS0_10empty_typeEEEZZNS1_27merge_sort_block_merge_implIS3_PtPS5_jNS1_19radix_merge_compareILb0ELb1EtNS0_19identity_decomposerEEEEE10hipError_tT0_T1_T2_jT3_P12ihipStream_tbPNSt15iterator_traitsISE_E10value_typeEPNSK_ISF_E10value_typeEPSG_NS1_7vsmem_tEENKUlT_SE_SF_SG_E_clIS8_S8_S9_S9_EESD_ST_SE_SF_SG_EUlST_E0_NS1_11comp_targetILNS1_3genE9ELNS1_11target_archE1100ELNS1_3gpuE3ELNS1_3repE0EEENS1_38merge_mergepath_config_static_selectorELNS0_4arch9wavefront6targetE0EEEvSF_, .Lfunc_end2469-_ZN7rocprim17ROCPRIM_400000_NS6detail17trampoline_kernelINS0_14default_configENS1_38merge_sort_block_merge_config_selectorItNS0_10empty_typeEEEZZNS1_27merge_sort_block_merge_implIS3_PtPS5_jNS1_19radix_merge_compareILb0ELb1EtNS0_19identity_decomposerEEEEE10hipError_tT0_T1_T2_jT3_P12ihipStream_tbPNSt15iterator_traitsISE_E10value_typeEPNSK_ISF_E10value_typeEPSG_NS1_7vsmem_tEENKUlT_SE_SF_SG_E_clIS8_S8_S9_S9_EESD_ST_SE_SF_SG_EUlST_E0_NS1_11comp_targetILNS1_3genE9ELNS1_11target_archE1100ELNS1_3gpuE3ELNS1_3repE0EEENS1_38merge_mergepath_config_static_selectorELNS0_4arch9wavefront6targetE0EEEvSF_
                                        ; -- End function
	.set _ZN7rocprim17ROCPRIM_400000_NS6detail17trampoline_kernelINS0_14default_configENS1_38merge_sort_block_merge_config_selectorItNS0_10empty_typeEEEZZNS1_27merge_sort_block_merge_implIS3_PtPS5_jNS1_19radix_merge_compareILb0ELb1EtNS0_19identity_decomposerEEEEE10hipError_tT0_T1_T2_jT3_P12ihipStream_tbPNSt15iterator_traitsISE_E10value_typeEPNSK_ISF_E10value_typeEPSG_NS1_7vsmem_tEENKUlT_SE_SF_SG_E_clIS8_S8_S9_S9_EESD_ST_SE_SF_SG_EUlST_E0_NS1_11comp_targetILNS1_3genE9ELNS1_11target_archE1100ELNS1_3gpuE3ELNS1_3repE0EEENS1_38merge_mergepath_config_static_selectorELNS0_4arch9wavefront6targetE0EEEvSF_.num_vgpr, 0
	.set _ZN7rocprim17ROCPRIM_400000_NS6detail17trampoline_kernelINS0_14default_configENS1_38merge_sort_block_merge_config_selectorItNS0_10empty_typeEEEZZNS1_27merge_sort_block_merge_implIS3_PtPS5_jNS1_19radix_merge_compareILb0ELb1EtNS0_19identity_decomposerEEEEE10hipError_tT0_T1_T2_jT3_P12ihipStream_tbPNSt15iterator_traitsISE_E10value_typeEPNSK_ISF_E10value_typeEPSG_NS1_7vsmem_tEENKUlT_SE_SF_SG_E_clIS8_S8_S9_S9_EESD_ST_SE_SF_SG_EUlST_E0_NS1_11comp_targetILNS1_3genE9ELNS1_11target_archE1100ELNS1_3gpuE3ELNS1_3repE0EEENS1_38merge_mergepath_config_static_selectorELNS0_4arch9wavefront6targetE0EEEvSF_.num_agpr, 0
	.set _ZN7rocprim17ROCPRIM_400000_NS6detail17trampoline_kernelINS0_14default_configENS1_38merge_sort_block_merge_config_selectorItNS0_10empty_typeEEEZZNS1_27merge_sort_block_merge_implIS3_PtPS5_jNS1_19radix_merge_compareILb0ELb1EtNS0_19identity_decomposerEEEEE10hipError_tT0_T1_T2_jT3_P12ihipStream_tbPNSt15iterator_traitsISE_E10value_typeEPNSK_ISF_E10value_typeEPSG_NS1_7vsmem_tEENKUlT_SE_SF_SG_E_clIS8_S8_S9_S9_EESD_ST_SE_SF_SG_EUlST_E0_NS1_11comp_targetILNS1_3genE9ELNS1_11target_archE1100ELNS1_3gpuE3ELNS1_3repE0EEENS1_38merge_mergepath_config_static_selectorELNS0_4arch9wavefront6targetE0EEEvSF_.numbered_sgpr, 0
	.set _ZN7rocprim17ROCPRIM_400000_NS6detail17trampoline_kernelINS0_14default_configENS1_38merge_sort_block_merge_config_selectorItNS0_10empty_typeEEEZZNS1_27merge_sort_block_merge_implIS3_PtPS5_jNS1_19radix_merge_compareILb0ELb1EtNS0_19identity_decomposerEEEEE10hipError_tT0_T1_T2_jT3_P12ihipStream_tbPNSt15iterator_traitsISE_E10value_typeEPNSK_ISF_E10value_typeEPSG_NS1_7vsmem_tEENKUlT_SE_SF_SG_E_clIS8_S8_S9_S9_EESD_ST_SE_SF_SG_EUlST_E0_NS1_11comp_targetILNS1_3genE9ELNS1_11target_archE1100ELNS1_3gpuE3ELNS1_3repE0EEENS1_38merge_mergepath_config_static_selectorELNS0_4arch9wavefront6targetE0EEEvSF_.num_named_barrier, 0
	.set _ZN7rocprim17ROCPRIM_400000_NS6detail17trampoline_kernelINS0_14default_configENS1_38merge_sort_block_merge_config_selectorItNS0_10empty_typeEEEZZNS1_27merge_sort_block_merge_implIS3_PtPS5_jNS1_19radix_merge_compareILb0ELb1EtNS0_19identity_decomposerEEEEE10hipError_tT0_T1_T2_jT3_P12ihipStream_tbPNSt15iterator_traitsISE_E10value_typeEPNSK_ISF_E10value_typeEPSG_NS1_7vsmem_tEENKUlT_SE_SF_SG_E_clIS8_S8_S9_S9_EESD_ST_SE_SF_SG_EUlST_E0_NS1_11comp_targetILNS1_3genE9ELNS1_11target_archE1100ELNS1_3gpuE3ELNS1_3repE0EEENS1_38merge_mergepath_config_static_selectorELNS0_4arch9wavefront6targetE0EEEvSF_.private_seg_size, 0
	.set _ZN7rocprim17ROCPRIM_400000_NS6detail17trampoline_kernelINS0_14default_configENS1_38merge_sort_block_merge_config_selectorItNS0_10empty_typeEEEZZNS1_27merge_sort_block_merge_implIS3_PtPS5_jNS1_19radix_merge_compareILb0ELb1EtNS0_19identity_decomposerEEEEE10hipError_tT0_T1_T2_jT3_P12ihipStream_tbPNSt15iterator_traitsISE_E10value_typeEPNSK_ISF_E10value_typeEPSG_NS1_7vsmem_tEENKUlT_SE_SF_SG_E_clIS8_S8_S9_S9_EESD_ST_SE_SF_SG_EUlST_E0_NS1_11comp_targetILNS1_3genE9ELNS1_11target_archE1100ELNS1_3gpuE3ELNS1_3repE0EEENS1_38merge_mergepath_config_static_selectorELNS0_4arch9wavefront6targetE0EEEvSF_.uses_vcc, 0
	.set _ZN7rocprim17ROCPRIM_400000_NS6detail17trampoline_kernelINS0_14default_configENS1_38merge_sort_block_merge_config_selectorItNS0_10empty_typeEEEZZNS1_27merge_sort_block_merge_implIS3_PtPS5_jNS1_19radix_merge_compareILb0ELb1EtNS0_19identity_decomposerEEEEE10hipError_tT0_T1_T2_jT3_P12ihipStream_tbPNSt15iterator_traitsISE_E10value_typeEPNSK_ISF_E10value_typeEPSG_NS1_7vsmem_tEENKUlT_SE_SF_SG_E_clIS8_S8_S9_S9_EESD_ST_SE_SF_SG_EUlST_E0_NS1_11comp_targetILNS1_3genE9ELNS1_11target_archE1100ELNS1_3gpuE3ELNS1_3repE0EEENS1_38merge_mergepath_config_static_selectorELNS0_4arch9wavefront6targetE0EEEvSF_.uses_flat_scratch, 0
	.set _ZN7rocprim17ROCPRIM_400000_NS6detail17trampoline_kernelINS0_14default_configENS1_38merge_sort_block_merge_config_selectorItNS0_10empty_typeEEEZZNS1_27merge_sort_block_merge_implIS3_PtPS5_jNS1_19radix_merge_compareILb0ELb1EtNS0_19identity_decomposerEEEEE10hipError_tT0_T1_T2_jT3_P12ihipStream_tbPNSt15iterator_traitsISE_E10value_typeEPNSK_ISF_E10value_typeEPSG_NS1_7vsmem_tEENKUlT_SE_SF_SG_E_clIS8_S8_S9_S9_EESD_ST_SE_SF_SG_EUlST_E0_NS1_11comp_targetILNS1_3genE9ELNS1_11target_archE1100ELNS1_3gpuE3ELNS1_3repE0EEENS1_38merge_mergepath_config_static_selectorELNS0_4arch9wavefront6targetE0EEEvSF_.has_dyn_sized_stack, 0
	.set _ZN7rocprim17ROCPRIM_400000_NS6detail17trampoline_kernelINS0_14default_configENS1_38merge_sort_block_merge_config_selectorItNS0_10empty_typeEEEZZNS1_27merge_sort_block_merge_implIS3_PtPS5_jNS1_19radix_merge_compareILb0ELb1EtNS0_19identity_decomposerEEEEE10hipError_tT0_T1_T2_jT3_P12ihipStream_tbPNSt15iterator_traitsISE_E10value_typeEPNSK_ISF_E10value_typeEPSG_NS1_7vsmem_tEENKUlT_SE_SF_SG_E_clIS8_S8_S9_S9_EESD_ST_SE_SF_SG_EUlST_E0_NS1_11comp_targetILNS1_3genE9ELNS1_11target_archE1100ELNS1_3gpuE3ELNS1_3repE0EEENS1_38merge_mergepath_config_static_selectorELNS0_4arch9wavefront6targetE0EEEvSF_.has_recursion, 0
	.set _ZN7rocprim17ROCPRIM_400000_NS6detail17trampoline_kernelINS0_14default_configENS1_38merge_sort_block_merge_config_selectorItNS0_10empty_typeEEEZZNS1_27merge_sort_block_merge_implIS3_PtPS5_jNS1_19radix_merge_compareILb0ELb1EtNS0_19identity_decomposerEEEEE10hipError_tT0_T1_T2_jT3_P12ihipStream_tbPNSt15iterator_traitsISE_E10value_typeEPNSK_ISF_E10value_typeEPSG_NS1_7vsmem_tEENKUlT_SE_SF_SG_E_clIS8_S8_S9_S9_EESD_ST_SE_SF_SG_EUlST_E0_NS1_11comp_targetILNS1_3genE9ELNS1_11target_archE1100ELNS1_3gpuE3ELNS1_3repE0EEENS1_38merge_mergepath_config_static_selectorELNS0_4arch9wavefront6targetE0EEEvSF_.has_indirect_call, 0
	.section	.AMDGPU.csdata,"",@progbits
; Kernel info:
; codeLenInByte = 0
; TotalNumSgprs: 0
; NumVgprs: 0
; ScratchSize: 0
; MemoryBound: 0
; FloatMode: 240
; IeeeMode: 1
; LDSByteSize: 0 bytes/workgroup (compile time only)
; SGPRBlocks: 0
; VGPRBlocks: 0
; NumSGPRsForWavesPerEU: 1
; NumVGPRsForWavesPerEU: 1
; NamedBarCnt: 0
; Occupancy: 16
; WaveLimiterHint : 0
; COMPUTE_PGM_RSRC2:SCRATCH_EN: 0
; COMPUTE_PGM_RSRC2:USER_SGPR: 2
; COMPUTE_PGM_RSRC2:TRAP_HANDLER: 0
; COMPUTE_PGM_RSRC2:TGID_X_EN: 1
; COMPUTE_PGM_RSRC2:TGID_Y_EN: 0
; COMPUTE_PGM_RSRC2:TGID_Z_EN: 0
; COMPUTE_PGM_RSRC2:TIDIG_COMP_CNT: 0
	.section	.text._ZN7rocprim17ROCPRIM_400000_NS6detail17trampoline_kernelINS0_14default_configENS1_38merge_sort_block_merge_config_selectorItNS0_10empty_typeEEEZZNS1_27merge_sort_block_merge_implIS3_PtPS5_jNS1_19radix_merge_compareILb0ELb1EtNS0_19identity_decomposerEEEEE10hipError_tT0_T1_T2_jT3_P12ihipStream_tbPNSt15iterator_traitsISE_E10value_typeEPNSK_ISF_E10value_typeEPSG_NS1_7vsmem_tEENKUlT_SE_SF_SG_E_clIS8_S8_S9_S9_EESD_ST_SE_SF_SG_EUlST_E0_NS1_11comp_targetILNS1_3genE8ELNS1_11target_archE1030ELNS1_3gpuE2ELNS1_3repE0EEENS1_38merge_mergepath_config_static_selectorELNS0_4arch9wavefront6targetE0EEEvSF_,"axG",@progbits,_ZN7rocprim17ROCPRIM_400000_NS6detail17trampoline_kernelINS0_14default_configENS1_38merge_sort_block_merge_config_selectorItNS0_10empty_typeEEEZZNS1_27merge_sort_block_merge_implIS3_PtPS5_jNS1_19radix_merge_compareILb0ELb1EtNS0_19identity_decomposerEEEEE10hipError_tT0_T1_T2_jT3_P12ihipStream_tbPNSt15iterator_traitsISE_E10value_typeEPNSK_ISF_E10value_typeEPSG_NS1_7vsmem_tEENKUlT_SE_SF_SG_E_clIS8_S8_S9_S9_EESD_ST_SE_SF_SG_EUlST_E0_NS1_11comp_targetILNS1_3genE8ELNS1_11target_archE1030ELNS1_3gpuE2ELNS1_3repE0EEENS1_38merge_mergepath_config_static_selectorELNS0_4arch9wavefront6targetE0EEEvSF_,comdat
	.protected	_ZN7rocprim17ROCPRIM_400000_NS6detail17trampoline_kernelINS0_14default_configENS1_38merge_sort_block_merge_config_selectorItNS0_10empty_typeEEEZZNS1_27merge_sort_block_merge_implIS3_PtPS5_jNS1_19radix_merge_compareILb0ELb1EtNS0_19identity_decomposerEEEEE10hipError_tT0_T1_T2_jT3_P12ihipStream_tbPNSt15iterator_traitsISE_E10value_typeEPNSK_ISF_E10value_typeEPSG_NS1_7vsmem_tEENKUlT_SE_SF_SG_E_clIS8_S8_S9_S9_EESD_ST_SE_SF_SG_EUlST_E0_NS1_11comp_targetILNS1_3genE8ELNS1_11target_archE1030ELNS1_3gpuE2ELNS1_3repE0EEENS1_38merge_mergepath_config_static_selectorELNS0_4arch9wavefront6targetE0EEEvSF_ ; -- Begin function _ZN7rocprim17ROCPRIM_400000_NS6detail17trampoline_kernelINS0_14default_configENS1_38merge_sort_block_merge_config_selectorItNS0_10empty_typeEEEZZNS1_27merge_sort_block_merge_implIS3_PtPS5_jNS1_19radix_merge_compareILb0ELb1EtNS0_19identity_decomposerEEEEE10hipError_tT0_T1_T2_jT3_P12ihipStream_tbPNSt15iterator_traitsISE_E10value_typeEPNSK_ISF_E10value_typeEPSG_NS1_7vsmem_tEENKUlT_SE_SF_SG_E_clIS8_S8_S9_S9_EESD_ST_SE_SF_SG_EUlST_E0_NS1_11comp_targetILNS1_3genE8ELNS1_11target_archE1030ELNS1_3gpuE2ELNS1_3repE0EEENS1_38merge_mergepath_config_static_selectorELNS0_4arch9wavefront6targetE0EEEvSF_
	.globl	_ZN7rocprim17ROCPRIM_400000_NS6detail17trampoline_kernelINS0_14default_configENS1_38merge_sort_block_merge_config_selectorItNS0_10empty_typeEEEZZNS1_27merge_sort_block_merge_implIS3_PtPS5_jNS1_19radix_merge_compareILb0ELb1EtNS0_19identity_decomposerEEEEE10hipError_tT0_T1_T2_jT3_P12ihipStream_tbPNSt15iterator_traitsISE_E10value_typeEPNSK_ISF_E10value_typeEPSG_NS1_7vsmem_tEENKUlT_SE_SF_SG_E_clIS8_S8_S9_S9_EESD_ST_SE_SF_SG_EUlST_E0_NS1_11comp_targetILNS1_3genE8ELNS1_11target_archE1030ELNS1_3gpuE2ELNS1_3repE0EEENS1_38merge_mergepath_config_static_selectorELNS0_4arch9wavefront6targetE0EEEvSF_
	.p2align	8
	.type	_ZN7rocprim17ROCPRIM_400000_NS6detail17trampoline_kernelINS0_14default_configENS1_38merge_sort_block_merge_config_selectorItNS0_10empty_typeEEEZZNS1_27merge_sort_block_merge_implIS3_PtPS5_jNS1_19radix_merge_compareILb0ELb1EtNS0_19identity_decomposerEEEEE10hipError_tT0_T1_T2_jT3_P12ihipStream_tbPNSt15iterator_traitsISE_E10value_typeEPNSK_ISF_E10value_typeEPSG_NS1_7vsmem_tEENKUlT_SE_SF_SG_E_clIS8_S8_S9_S9_EESD_ST_SE_SF_SG_EUlST_E0_NS1_11comp_targetILNS1_3genE8ELNS1_11target_archE1030ELNS1_3gpuE2ELNS1_3repE0EEENS1_38merge_mergepath_config_static_selectorELNS0_4arch9wavefront6targetE0EEEvSF_,@function
_ZN7rocprim17ROCPRIM_400000_NS6detail17trampoline_kernelINS0_14default_configENS1_38merge_sort_block_merge_config_selectorItNS0_10empty_typeEEEZZNS1_27merge_sort_block_merge_implIS3_PtPS5_jNS1_19radix_merge_compareILb0ELb1EtNS0_19identity_decomposerEEEEE10hipError_tT0_T1_T2_jT3_P12ihipStream_tbPNSt15iterator_traitsISE_E10value_typeEPNSK_ISF_E10value_typeEPSG_NS1_7vsmem_tEENKUlT_SE_SF_SG_E_clIS8_S8_S9_S9_EESD_ST_SE_SF_SG_EUlST_E0_NS1_11comp_targetILNS1_3genE8ELNS1_11target_archE1030ELNS1_3gpuE2ELNS1_3repE0EEENS1_38merge_mergepath_config_static_selectorELNS0_4arch9wavefront6targetE0EEEvSF_: ; @_ZN7rocprim17ROCPRIM_400000_NS6detail17trampoline_kernelINS0_14default_configENS1_38merge_sort_block_merge_config_selectorItNS0_10empty_typeEEEZZNS1_27merge_sort_block_merge_implIS3_PtPS5_jNS1_19radix_merge_compareILb0ELb1EtNS0_19identity_decomposerEEEEE10hipError_tT0_T1_T2_jT3_P12ihipStream_tbPNSt15iterator_traitsISE_E10value_typeEPNSK_ISF_E10value_typeEPSG_NS1_7vsmem_tEENKUlT_SE_SF_SG_E_clIS8_S8_S9_S9_EESD_ST_SE_SF_SG_EUlST_E0_NS1_11comp_targetILNS1_3genE8ELNS1_11target_archE1030ELNS1_3gpuE2ELNS1_3repE0EEENS1_38merge_mergepath_config_static_selectorELNS0_4arch9wavefront6targetE0EEEvSF_
; %bb.0:
	.section	.rodata,"a",@progbits
	.p2align	6, 0x0
	.amdhsa_kernel _ZN7rocprim17ROCPRIM_400000_NS6detail17trampoline_kernelINS0_14default_configENS1_38merge_sort_block_merge_config_selectorItNS0_10empty_typeEEEZZNS1_27merge_sort_block_merge_implIS3_PtPS5_jNS1_19radix_merge_compareILb0ELb1EtNS0_19identity_decomposerEEEEE10hipError_tT0_T1_T2_jT3_P12ihipStream_tbPNSt15iterator_traitsISE_E10value_typeEPNSK_ISF_E10value_typeEPSG_NS1_7vsmem_tEENKUlT_SE_SF_SG_E_clIS8_S8_S9_S9_EESD_ST_SE_SF_SG_EUlST_E0_NS1_11comp_targetILNS1_3genE8ELNS1_11target_archE1030ELNS1_3gpuE2ELNS1_3repE0EEENS1_38merge_mergepath_config_static_selectorELNS0_4arch9wavefront6targetE0EEEvSF_
		.amdhsa_group_segment_fixed_size 0
		.amdhsa_private_segment_fixed_size 0
		.amdhsa_kernarg_size 64
		.amdhsa_user_sgpr_count 2
		.amdhsa_user_sgpr_dispatch_ptr 0
		.amdhsa_user_sgpr_queue_ptr 0
		.amdhsa_user_sgpr_kernarg_segment_ptr 1
		.amdhsa_user_sgpr_dispatch_id 0
		.amdhsa_user_sgpr_kernarg_preload_length 0
		.amdhsa_user_sgpr_kernarg_preload_offset 0
		.amdhsa_user_sgpr_private_segment_size 0
		.amdhsa_wavefront_size32 1
		.amdhsa_uses_dynamic_stack 0
		.amdhsa_enable_private_segment 0
		.amdhsa_system_sgpr_workgroup_id_x 1
		.amdhsa_system_sgpr_workgroup_id_y 0
		.amdhsa_system_sgpr_workgroup_id_z 0
		.amdhsa_system_sgpr_workgroup_info 0
		.amdhsa_system_vgpr_workitem_id 0
		.amdhsa_next_free_vgpr 1
		.amdhsa_next_free_sgpr 1
		.amdhsa_named_barrier_count 0
		.amdhsa_reserve_vcc 0
		.amdhsa_float_round_mode_32 0
		.amdhsa_float_round_mode_16_64 0
		.amdhsa_float_denorm_mode_32 3
		.amdhsa_float_denorm_mode_16_64 3
		.amdhsa_fp16_overflow 0
		.amdhsa_memory_ordered 1
		.amdhsa_forward_progress 1
		.amdhsa_inst_pref_size 0
		.amdhsa_round_robin_scheduling 0
		.amdhsa_exception_fp_ieee_invalid_op 0
		.amdhsa_exception_fp_denorm_src 0
		.amdhsa_exception_fp_ieee_div_zero 0
		.amdhsa_exception_fp_ieee_overflow 0
		.amdhsa_exception_fp_ieee_underflow 0
		.amdhsa_exception_fp_ieee_inexact 0
		.amdhsa_exception_int_div_zero 0
	.end_amdhsa_kernel
	.section	.text._ZN7rocprim17ROCPRIM_400000_NS6detail17trampoline_kernelINS0_14default_configENS1_38merge_sort_block_merge_config_selectorItNS0_10empty_typeEEEZZNS1_27merge_sort_block_merge_implIS3_PtPS5_jNS1_19radix_merge_compareILb0ELb1EtNS0_19identity_decomposerEEEEE10hipError_tT0_T1_T2_jT3_P12ihipStream_tbPNSt15iterator_traitsISE_E10value_typeEPNSK_ISF_E10value_typeEPSG_NS1_7vsmem_tEENKUlT_SE_SF_SG_E_clIS8_S8_S9_S9_EESD_ST_SE_SF_SG_EUlST_E0_NS1_11comp_targetILNS1_3genE8ELNS1_11target_archE1030ELNS1_3gpuE2ELNS1_3repE0EEENS1_38merge_mergepath_config_static_selectorELNS0_4arch9wavefront6targetE0EEEvSF_,"axG",@progbits,_ZN7rocprim17ROCPRIM_400000_NS6detail17trampoline_kernelINS0_14default_configENS1_38merge_sort_block_merge_config_selectorItNS0_10empty_typeEEEZZNS1_27merge_sort_block_merge_implIS3_PtPS5_jNS1_19radix_merge_compareILb0ELb1EtNS0_19identity_decomposerEEEEE10hipError_tT0_T1_T2_jT3_P12ihipStream_tbPNSt15iterator_traitsISE_E10value_typeEPNSK_ISF_E10value_typeEPSG_NS1_7vsmem_tEENKUlT_SE_SF_SG_E_clIS8_S8_S9_S9_EESD_ST_SE_SF_SG_EUlST_E0_NS1_11comp_targetILNS1_3genE8ELNS1_11target_archE1030ELNS1_3gpuE2ELNS1_3repE0EEENS1_38merge_mergepath_config_static_selectorELNS0_4arch9wavefront6targetE0EEEvSF_,comdat
.Lfunc_end2470:
	.size	_ZN7rocprim17ROCPRIM_400000_NS6detail17trampoline_kernelINS0_14default_configENS1_38merge_sort_block_merge_config_selectorItNS0_10empty_typeEEEZZNS1_27merge_sort_block_merge_implIS3_PtPS5_jNS1_19radix_merge_compareILb0ELb1EtNS0_19identity_decomposerEEEEE10hipError_tT0_T1_T2_jT3_P12ihipStream_tbPNSt15iterator_traitsISE_E10value_typeEPNSK_ISF_E10value_typeEPSG_NS1_7vsmem_tEENKUlT_SE_SF_SG_E_clIS8_S8_S9_S9_EESD_ST_SE_SF_SG_EUlST_E0_NS1_11comp_targetILNS1_3genE8ELNS1_11target_archE1030ELNS1_3gpuE2ELNS1_3repE0EEENS1_38merge_mergepath_config_static_selectorELNS0_4arch9wavefront6targetE0EEEvSF_, .Lfunc_end2470-_ZN7rocprim17ROCPRIM_400000_NS6detail17trampoline_kernelINS0_14default_configENS1_38merge_sort_block_merge_config_selectorItNS0_10empty_typeEEEZZNS1_27merge_sort_block_merge_implIS3_PtPS5_jNS1_19radix_merge_compareILb0ELb1EtNS0_19identity_decomposerEEEEE10hipError_tT0_T1_T2_jT3_P12ihipStream_tbPNSt15iterator_traitsISE_E10value_typeEPNSK_ISF_E10value_typeEPSG_NS1_7vsmem_tEENKUlT_SE_SF_SG_E_clIS8_S8_S9_S9_EESD_ST_SE_SF_SG_EUlST_E0_NS1_11comp_targetILNS1_3genE8ELNS1_11target_archE1030ELNS1_3gpuE2ELNS1_3repE0EEENS1_38merge_mergepath_config_static_selectorELNS0_4arch9wavefront6targetE0EEEvSF_
                                        ; -- End function
	.set _ZN7rocprim17ROCPRIM_400000_NS6detail17trampoline_kernelINS0_14default_configENS1_38merge_sort_block_merge_config_selectorItNS0_10empty_typeEEEZZNS1_27merge_sort_block_merge_implIS3_PtPS5_jNS1_19radix_merge_compareILb0ELb1EtNS0_19identity_decomposerEEEEE10hipError_tT0_T1_T2_jT3_P12ihipStream_tbPNSt15iterator_traitsISE_E10value_typeEPNSK_ISF_E10value_typeEPSG_NS1_7vsmem_tEENKUlT_SE_SF_SG_E_clIS8_S8_S9_S9_EESD_ST_SE_SF_SG_EUlST_E0_NS1_11comp_targetILNS1_3genE8ELNS1_11target_archE1030ELNS1_3gpuE2ELNS1_3repE0EEENS1_38merge_mergepath_config_static_selectorELNS0_4arch9wavefront6targetE0EEEvSF_.num_vgpr, 0
	.set _ZN7rocprim17ROCPRIM_400000_NS6detail17trampoline_kernelINS0_14default_configENS1_38merge_sort_block_merge_config_selectorItNS0_10empty_typeEEEZZNS1_27merge_sort_block_merge_implIS3_PtPS5_jNS1_19radix_merge_compareILb0ELb1EtNS0_19identity_decomposerEEEEE10hipError_tT0_T1_T2_jT3_P12ihipStream_tbPNSt15iterator_traitsISE_E10value_typeEPNSK_ISF_E10value_typeEPSG_NS1_7vsmem_tEENKUlT_SE_SF_SG_E_clIS8_S8_S9_S9_EESD_ST_SE_SF_SG_EUlST_E0_NS1_11comp_targetILNS1_3genE8ELNS1_11target_archE1030ELNS1_3gpuE2ELNS1_3repE0EEENS1_38merge_mergepath_config_static_selectorELNS0_4arch9wavefront6targetE0EEEvSF_.num_agpr, 0
	.set _ZN7rocprim17ROCPRIM_400000_NS6detail17trampoline_kernelINS0_14default_configENS1_38merge_sort_block_merge_config_selectorItNS0_10empty_typeEEEZZNS1_27merge_sort_block_merge_implIS3_PtPS5_jNS1_19radix_merge_compareILb0ELb1EtNS0_19identity_decomposerEEEEE10hipError_tT0_T1_T2_jT3_P12ihipStream_tbPNSt15iterator_traitsISE_E10value_typeEPNSK_ISF_E10value_typeEPSG_NS1_7vsmem_tEENKUlT_SE_SF_SG_E_clIS8_S8_S9_S9_EESD_ST_SE_SF_SG_EUlST_E0_NS1_11comp_targetILNS1_3genE8ELNS1_11target_archE1030ELNS1_3gpuE2ELNS1_3repE0EEENS1_38merge_mergepath_config_static_selectorELNS0_4arch9wavefront6targetE0EEEvSF_.numbered_sgpr, 0
	.set _ZN7rocprim17ROCPRIM_400000_NS6detail17trampoline_kernelINS0_14default_configENS1_38merge_sort_block_merge_config_selectorItNS0_10empty_typeEEEZZNS1_27merge_sort_block_merge_implIS3_PtPS5_jNS1_19radix_merge_compareILb0ELb1EtNS0_19identity_decomposerEEEEE10hipError_tT0_T1_T2_jT3_P12ihipStream_tbPNSt15iterator_traitsISE_E10value_typeEPNSK_ISF_E10value_typeEPSG_NS1_7vsmem_tEENKUlT_SE_SF_SG_E_clIS8_S8_S9_S9_EESD_ST_SE_SF_SG_EUlST_E0_NS1_11comp_targetILNS1_3genE8ELNS1_11target_archE1030ELNS1_3gpuE2ELNS1_3repE0EEENS1_38merge_mergepath_config_static_selectorELNS0_4arch9wavefront6targetE0EEEvSF_.num_named_barrier, 0
	.set _ZN7rocprim17ROCPRIM_400000_NS6detail17trampoline_kernelINS0_14default_configENS1_38merge_sort_block_merge_config_selectorItNS0_10empty_typeEEEZZNS1_27merge_sort_block_merge_implIS3_PtPS5_jNS1_19radix_merge_compareILb0ELb1EtNS0_19identity_decomposerEEEEE10hipError_tT0_T1_T2_jT3_P12ihipStream_tbPNSt15iterator_traitsISE_E10value_typeEPNSK_ISF_E10value_typeEPSG_NS1_7vsmem_tEENKUlT_SE_SF_SG_E_clIS8_S8_S9_S9_EESD_ST_SE_SF_SG_EUlST_E0_NS1_11comp_targetILNS1_3genE8ELNS1_11target_archE1030ELNS1_3gpuE2ELNS1_3repE0EEENS1_38merge_mergepath_config_static_selectorELNS0_4arch9wavefront6targetE0EEEvSF_.private_seg_size, 0
	.set _ZN7rocprim17ROCPRIM_400000_NS6detail17trampoline_kernelINS0_14default_configENS1_38merge_sort_block_merge_config_selectorItNS0_10empty_typeEEEZZNS1_27merge_sort_block_merge_implIS3_PtPS5_jNS1_19radix_merge_compareILb0ELb1EtNS0_19identity_decomposerEEEEE10hipError_tT0_T1_T2_jT3_P12ihipStream_tbPNSt15iterator_traitsISE_E10value_typeEPNSK_ISF_E10value_typeEPSG_NS1_7vsmem_tEENKUlT_SE_SF_SG_E_clIS8_S8_S9_S9_EESD_ST_SE_SF_SG_EUlST_E0_NS1_11comp_targetILNS1_3genE8ELNS1_11target_archE1030ELNS1_3gpuE2ELNS1_3repE0EEENS1_38merge_mergepath_config_static_selectorELNS0_4arch9wavefront6targetE0EEEvSF_.uses_vcc, 0
	.set _ZN7rocprim17ROCPRIM_400000_NS6detail17trampoline_kernelINS0_14default_configENS1_38merge_sort_block_merge_config_selectorItNS0_10empty_typeEEEZZNS1_27merge_sort_block_merge_implIS3_PtPS5_jNS1_19radix_merge_compareILb0ELb1EtNS0_19identity_decomposerEEEEE10hipError_tT0_T1_T2_jT3_P12ihipStream_tbPNSt15iterator_traitsISE_E10value_typeEPNSK_ISF_E10value_typeEPSG_NS1_7vsmem_tEENKUlT_SE_SF_SG_E_clIS8_S8_S9_S9_EESD_ST_SE_SF_SG_EUlST_E0_NS1_11comp_targetILNS1_3genE8ELNS1_11target_archE1030ELNS1_3gpuE2ELNS1_3repE0EEENS1_38merge_mergepath_config_static_selectorELNS0_4arch9wavefront6targetE0EEEvSF_.uses_flat_scratch, 0
	.set _ZN7rocprim17ROCPRIM_400000_NS6detail17trampoline_kernelINS0_14default_configENS1_38merge_sort_block_merge_config_selectorItNS0_10empty_typeEEEZZNS1_27merge_sort_block_merge_implIS3_PtPS5_jNS1_19radix_merge_compareILb0ELb1EtNS0_19identity_decomposerEEEEE10hipError_tT0_T1_T2_jT3_P12ihipStream_tbPNSt15iterator_traitsISE_E10value_typeEPNSK_ISF_E10value_typeEPSG_NS1_7vsmem_tEENKUlT_SE_SF_SG_E_clIS8_S8_S9_S9_EESD_ST_SE_SF_SG_EUlST_E0_NS1_11comp_targetILNS1_3genE8ELNS1_11target_archE1030ELNS1_3gpuE2ELNS1_3repE0EEENS1_38merge_mergepath_config_static_selectorELNS0_4arch9wavefront6targetE0EEEvSF_.has_dyn_sized_stack, 0
	.set _ZN7rocprim17ROCPRIM_400000_NS6detail17trampoline_kernelINS0_14default_configENS1_38merge_sort_block_merge_config_selectorItNS0_10empty_typeEEEZZNS1_27merge_sort_block_merge_implIS3_PtPS5_jNS1_19radix_merge_compareILb0ELb1EtNS0_19identity_decomposerEEEEE10hipError_tT0_T1_T2_jT3_P12ihipStream_tbPNSt15iterator_traitsISE_E10value_typeEPNSK_ISF_E10value_typeEPSG_NS1_7vsmem_tEENKUlT_SE_SF_SG_E_clIS8_S8_S9_S9_EESD_ST_SE_SF_SG_EUlST_E0_NS1_11comp_targetILNS1_3genE8ELNS1_11target_archE1030ELNS1_3gpuE2ELNS1_3repE0EEENS1_38merge_mergepath_config_static_selectorELNS0_4arch9wavefront6targetE0EEEvSF_.has_recursion, 0
	.set _ZN7rocprim17ROCPRIM_400000_NS6detail17trampoline_kernelINS0_14default_configENS1_38merge_sort_block_merge_config_selectorItNS0_10empty_typeEEEZZNS1_27merge_sort_block_merge_implIS3_PtPS5_jNS1_19radix_merge_compareILb0ELb1EtNS0_19identity_decomposerEEEEE10hipError_tT0_T1_T2_jT3_P12ihipStream_tbPNSt15iterator_traitsISE_E10value_typeEPNSK_ISF_E10value_typeEPSG_NS1_7vsmem_tEENKUlT_SE_SF_SG_E_clIS8_S8_S9_S9_EESD_ST_SE_SF_SG_EUlST_E0_NS1_11comp_targetILNS1_3genE8ELNS1_11target_archE1030ELNS1_3gpuE2ELNS1_3repE0EEENS1_38merge_mergepath_config_static_selectorELNS0_4arch9wavefront6targetE0EEEvSF_.has_indirect_call, 0
	.section	.AMDGPU.csdata,"",@progbits
; Kernel info:
; codeLenInByte = 0
; TotalNumSgprs: 0
; NumVgprs: 0
; ScratchSize: 0
; MemoryBound: 0
; FloatMode: 240
; IeeeMode: 1
; LDSByteSize: 0 bytes/workgroup (compile time only)
; SGPRBlocks: 0
; VGPRBlocks: 0
; NumSGPRsForWavesPerEU: 1
; NumVGPRsForWavesPerEU: 1
; NamedBarCnt: 0
; Occupancy: 16
; WaveLimiterHint : 0
; COMPUTE_PGM_RSRC2:SCRATCH_EN: 0
; COMPUTE_PGM_RSRC2:USER_SGPR: 2
; COMPUTE_PGM_RSRC2:TRAP_HANDLER: 0
; COMPUTE_PGM_RSRC2:TGID_X_EN: 1
; COMPUTE_PGM_RSRC2:TGID_Y_EN: 0
; COMPUTE_PGM_RSRC2:TGID_Z_EN: 0
; COMPUTE_PGM_RSRC2:TIDIG_COMP_CNT: 0
	.section	.text._ZN7rocprim17ROCPRIM_400000_NS6detail17trampoline_kernelINS0_14default_configENS1_38merge_sort_block_merge_config_selectorItNS0_10empty_typeEEEZZNS1_27merge_sort_block_merge_implIS3_PtPS5_jNS1_19radix_merge_compareILb0ELb1EtNS0_19identity_decomposerEEEEE10hipError_tT0_T1_T2_jT3_P12ihipStream_tbPNSt15iterator_traitsISE_E10value_typeEPNSK_ISF_E10value_typeEPSG_NS1_7vsmem_tEENKUlT_SE_SF_SG_E_clIS8_S8_S9_S9_EESD_ST_SE_SF_SG_EUlST_E1_NS1_11comp_targetILNS1_3genE0ELNS1_11target_archE4294967295ELNS1_3gpuE0ELNS1_3repE0EEENS1_36merge_oddeven_config_static_selectorELNS0_4arch9wavefront6targetE0EEEvSF_,"axG",@progbits,_ZN7rocprim17ROCPRIM_400000_NS6detail17trampoline_kernelINS0_14default_configENS1_38merge_sort_block_merge_config_selectorItNS0_10empty_typeEEEZZNS1_27merge_sort_block_merge_implIS3_PtPS5_jNS1_19radix_merge_compareILb0ELb1EtNS0_19identity_decomposerEEEEE10hipError_tT0_T1_T2_jT3_P12ihipStream_tbPNSt15iterator_traitsISE_E10value_typeEPNSK_ISF_E10value_typeEPSG_NS1_7vsmem_tEENKUlT_SE_SF_SG_E_clIS8_S8_S9_S9_EESD_ST_SE_SF_SG_EUlST_E1_NS1_11comp_targetILNS1_3genE0ELNS1_11target_archE4294967295ELNS1_3gpuE0ELNS1_3repE0EEENS1_36merge_oddeven_config_static_selectorELNS0_4arch9wavefront6targetE0EEEvSF_,comdat
	.protected	_ZN7rocprim17ROCPRIM_400000_NS6detail17trampoline_kernelINS0_14default_configENS1_38merge_sort_block_merge_config_selectorItNS0_10empty_typeEEEZZNS1_27merge_sort_block_merge_implIS3_PtPS5_jNS1_19radix_merge_compareILb0ELb1EtNS0_19identity_decomposerEEEEE10hipError_tT0_T1_T2_jT3_P12ihipStream_tbPNSt15iterator_traitsISE_E10value_typeEPNSK_ISF_E10value_typeEPSG_NS1_7vsmem_tEENKUlT_SE_SF_SG_E_clIS8_S8_S9_S9_EESD_ST_SE_SF_SG_EUlST_E1_NS1_11comp_targetILNS1_3genE0ELNS1_11target_archE4294967295ELNS1_3gpuE0ELNS1_3repE0EEENS1_36merge_oddeven_config_static_selectorELNS0_4arch9wavefront6targetE0EEEvSF_ ; -- Begin function _ZN7rocprim17ROCPRIM_400000_NS6detail17trampoline_kernelINS0_14default_configENS1_38merge_sort_block_merge_config_selectorItNS0_10empty_typeEEEZZNS1_27merge_sort_block_merge_implIS3_PtPS5_jNS1_19radix_merge_compareILb0ELb1EtNS0_19identity_decomposerEEEEE10hipError_tT0_T1_T2_jT3_P12ihipStream_tbPNSt15iterator_traitsISE_E10value_typeEPNSK_ISF_E10value_typeEPSG_NS1_7vsmem_tEENKUlT_SE_SF_SG_E_clIS8_S8_S9_S9_EESD_ST_SE_SF_SG_EUlST_E1_NS1_11comp_targetILNS1_3genE0ELNS1_11target_archE4294967295ELNS1_3gpuE0ELNS1_3repE0EEENS1_36merge_oddeven_config_static_selectorELNS0_4arch9wavefront6targetE0EEEvSF_
	.globl	_ZN7rocprim17ROCPRIM_400000_NS6detail17trampoline_kernelINS0_14default_configENS1_38merge_sort_block_merge_config_selectorItNS0_10empty_typeEEEZZNS1_27merge_sort_block_merge_implIS3_PtPS5_jNS1_19radix_merge_compareILb0ELb1EtNS0_19identity_decomposerEEEEE10hipError_tT0_T1_T2_jT3_P12ihipStream_tbPNSt15iterator_traitsISE_E10value_typeEPNSK_ISF_E10value_typeEPSG_NS1_7vsmem_tEENKUlT_SE_SF_SG_E_clIS8_S8_S9_S9_EESD_ST_SE_SF_SG_EUlST_E1_NS1_11comp_targetILNS1_3genE0ELNS1_11target_archE4294967295ELNS1_3gpuE0ELNS1_3repE0EEENS1_36merge_oddeven_config_static_selectorELNS0_4arch9wavefront6targetE0EEEvSF_
	.p2align	8
	.type	_ZN7rocprim17ROCPRIM_400000_NS6detail17trampoline_kernelINS0_14default_configENS1_38merge_sort_block_merge_config_selectorItNS0_10empty_typeEEEZZNS1_27merge_sort_block_merge_implIS3_PtPS5_jNS1_19radix_merge_compareILb0ELb1EtNS0_19identity_decomposerEEEEE10hipError_tT0_T1_T2_jT3_P12ihipStream_tbPNSt15iterator_traitsISE_E10value_typeEPNSK_ISF_E10value_typeEPSG_NS1_7vsmem_tEENKUlT_SE_SF_SG_E_clIS8_S8_S9_S9_EESD_ST_SE_SF_SG_EUlST_E1_NS1_11comp_targetILNS1_3genE0ELNS1_11target_archE4294967295ELNS1_3gpuE0ELNS1_3repE0EEENS1_36merge_oddeven_config_static_selectorELNS0_4arch9wavefront6targetE0EEEvSF_,@function
_ZN7rocprim17ROCPRIM_400000_NS6detail17trampoline_kernelINS0_14default_configENS1_38merge_sort_block_merge_config_selectorItNS0_10empty_typeEEEZZNS1_27merge_sort_block_merge_implIS3_PtPS5_jNS1_19radix_merge_compareILb0ELb1EtNS0_19identity_decomposerEEEEE10hipError_tT0_T1_T2_jT3_P12ihipStream_tbPNSt15iterator_traitsISE_E10value_typeEPNSK_ISF_E10value_typeEPSG_NS1_7vsmem_tEENKUlT_SE_SF_SG_E_clIS8_S8_S9_S9_EESD_ST_SE_SF_SG_EUlST_E1_NS1_11comp_targetILNS1_3genE0ELNS1_11target_archE4294967295ELNS1_3gpuE0ELNS1_3repE0EEENS1_36merge_oddeven_config_static_selectorELNS0_4arch9wavefront6targetE0EEEvSF_: ; @_ZN7rocprim17ROCPRIM_400000_NS6detail17trampoline_kernelINS0_14default_configENS1_38merge_sort_block_merge_config_selectorItNS0_10empty_typeEEEZZNS1_27merge_sort_block_merge_implIS3_PtPS5_jNS1_19radix_merge_compareILb0ELb1EtNS0_19identity_decomposerEEEEE10hipError_tT0_T1_T2_jT3_P12ihipStream_tbPNSt15iterator_traitsISE_E10value_typeEPNSK_ISF_E10value_typeEPSG_NS1_7vsmem_tEENKUlT_SE_SF_SG_E_clIS8_S8_S9_S9_EESD_ST_SE_SF_SG_EUlST_E1_NS1_11comp_targetILNS1_3genE0ELNS1_11target_archE4294967295ELNS1_3gpuE0ELNS1_3repE0EEENS1_36merge_oddeven_config_static_selectorELNS0_4arch9wavefront6targetE0EEEvSF_
; %bb.0:
	s_load_b32 s11, s[0:1], 0x20
	s_bfe_u32 s2, ttmp6, 0x4000c
	s_and_b32 s3, ttmp6, 15
	s_add_co_i32 s2, s2, 1
	s_getreg_b32 s4, hwreg(HW_REG_IB_STS2, 6, 4)
	s_mul_i32 s2, ttmp9, s2
	s_mov_b32 s9, 0
	s_add_co_i32 s3, s3, s2
	s_cmp_eq_u32 s4, 0
	s_cselect_b32 s2, ttmp9, s3
	s_wait_kmcnt 0x0
	s_lshr_b32 s3, s11, 8
	s_delay_alu instid0(SALU_CYCLE_1) | instskip(SKIP_4) | instid1(SALU_CYCLE_1)
	s_cmp_lg_u32 s2, s3
	s_cselect_b32 s15, -1, 0
	s_cmp_eq_u32 s2, s3
	s_cselect_b32 s12, -1, 0
	s_lshl_b32 s8, s2, 8
	s_sub_co_i32 s3, s11, s8
	s_delay_alu instid0(SALU_CYCLE_1) | instskip(SKIP_1) | instid1(SALU_CYCLE_1)
	v_cmp_gt_u32_e64 s3, s3, v0
	s_or_b32 s4, s15, s3
	s_and_saveexec_b32 s5, s4
	s_cbranch_execz .LBB2471_20
; %bb.1:
	s_clause 0x1
	s_load_b128 s[4:7], s[0:1], 0x0
	s_load_b32 s13, s[0:1], 0x24
	s_lshl_b64 s[16:17], s[8:9], 1
	v_add_nc_u32_e32 v3, s8, v0
	s_wait_kmcnt 0x0
	s_add_nc_u64 s[16:17], s[4:5], s[16:17]
	s_lshr_b32 s10, s13, 8
	global_load_u16 v1, v0, s[16:17] scale_offset
	s_sub_co_i32 s14, 0, s10
	s_wait_xcnt 0x0
	s_sub_co_i32 s16, 0, s13
	s_and_b32 s2, s2, s14
	s_delay_alu instid0(SALU_CYCLE_1) | instskip(SKIP_3) | instid1(SALU_CYCLE_1)
	s_and_b32 s10, s2, s10
	s_lshl_b32 s14, s2, 8
	s_cmp_eq_u32 s10, 0
	s_cselect_b32 s2, -1, 0
	s_and_b32 s10, s2, exec_lo
	s_cselect_b32 s10, s13, s16
	s_delay_alu instid0(SALU_CYCLE_1) | instskip(NEXT) | instid1(SALU_CYCLE_1)
	s_add_co_i32 s10, s10, s14
	s_cmp_gt_u32 s11, s10
	s_cbranch_scc1 .LBB2471_3
; %bb.2:
	v_cmp_gt_u32_e32 vcc_lo, s11, v3
	s_or_b32 s9, vcc_lo, s15
	s_delay_alu instid0(SALU_CYCLE_1)
	s_and_b32 s9, s9, exec_lo
	s_cbranch_execz .LBB2471_4
	s_branch .LBB2471_18
.LBB2471_3:
.LBB2471_4:
	s_load_b32 s0, s[0:1], 0x28
	s_wait_xcnt 0x0
	s_min_u32 s1, s10, s11
	s_and_b32 vcc_lo, exec_lo, s12
	s_add_co_i32 s8, s14, s1
	s_add_co_i32 s13, s1, s13
	v_subrev_nc_u32_e32 v0, s8, v3
	s_min_u32 s8, s14, s1
	s_delay_alu instid0(VALU_DEP_1) | instid1(SALU_CYCLE_1)
	v_add_nc_u32_e32 v0, s8, v0
	s_min_u32 s8, s13, s11
	s_wait_loadcnt 0x0
	s_wait_kmcnt 0x0
	v_and_b32_e32 v2, s0, v1
	s_cbranch_vccz .LBB2471_12
; %bb.5:
                                        ; implicit-def: $vgpr3
	s_and_saveexec_b32 s11, s3
	s_cbranch_execz .LBB2471_11
; %bb.6:
	v_mov_b32_e32 v3, s1
	s_cmp_ge_u32 s10, s8
	s_cbranch_scc1 .LBB2471_10
; %bb.7:
	v_dual_mov_b32 v4, s8 :: v_dual_mov_b32 v3, s1
	s_mov_b32 s3, 0
.LBB2471_8:                             ; =>This Inner Loop Header: Depth=1
	s_delay_alu instid0(VALU_DEP_1) | instskip(NEXT) | instid1(VALU_DEP_1)
	v_add_nc_u32_e32 v5, v3, v4
	v_and_b32_e32 v6, -2, v5
	global_load_u16 v6, v6, s[4:5]
	s_wait_loadcnt 0x0
	v_dual_lshrrev_b32 v5, 1, v5 :: v_dual_bitop2_b32 v6, s0, v6 bitop3:0x40
	s_delay_alu instid0(VALU_DEP_1) | instskip(SKIP_3) | instid1(VALU_DEP_1)
	v_cmp_gt_u16_e32 vcc_lo, v2, v6
	v_cndmask_b32_e64 v7, 0, 1, vcc_lo
	v_cmp_le_u16_e32 vcc_lo, v6, v2
	v_cndmask_b32_e64 v6, 0, 1, vcc_lo
	v_dual_cndmask_b32 v6, v6, v7, s2 :: v_dual_add_nc_u32 v7, 1, v5
	s_delay_alu instid0(VALU_DEP_1) | instskip(NEXT) | instid1(VALU_DEP_1)
	v_and_b32_e32 v6, 1, v6
	v_cmp_eq_u32_e32 vcc_lo, 1, v6
	s_delay_alu instid0(VALU_DEP_3) | instskip(NEXT) | instid1(VALU_DEP_1)
	v_dual_cndmask_b32 v4, v5, v4 :: v_dual_cndmask_b32 v3, v3, v7
	v_cmp_ge_u32_e32 vcc_lo, v3, v4
	s_or_b32 s3, vcc_lo, s3
	s_delay_alu instid0(SALU_CYCLE_1)
	s_and_not1_b32 exec_lo, exec_lo, s3
	s_cbranch_execnz .LBB2471_8
; %bb.9:
	s_or_b32 exec_lo, exec_lo, s3
.LBB2471_10:
	s_delay_alu instid0(VALU_DEP_1)
	v_add_nc_u32_e32 v3, v3, v0
	s_or_b32 s9, s9, exec_lo
.LBB2471_11:
	s_or_b32 exec_lo, exec_lo, s11
	s_branch .LBB2471_18
.LBB2471_12:
                                        ; implicit-def: $vgpr3
	s_cbranch_execz .LBB2471_18
; %bb.13:
	v_mov_b32_e32 v3, s1
	s_cmp_ge_u32 s10, s8
	s_cbranch_scc1 .LBB2471_17
; %bb.14:
	v_dual_mov_b32 v4, s8 :: v_dual_mov_b32 v3, s1
	s_mov_b32 s1, 0
.LBB2471_15:                            ; =>This Inner Loop Header: Depth=1
	s_delay_alu instid0(VALU_DEP_1) | instskip(NEXT) | instid1(VALU_DEP_1)
	v_add_nc_u32_e32 v5, v3, v4
	v_and_b32_e32 v6, -2, v5
	global_load_u16 v6, v6, s[4:5]
	s_wait_loadcnt 0x0
	v_dual_lshrrev_b32 v5, 1, v5 :: v_dual_bitop2_b32 v6, s0, v6 bitop3:0x40
	s_delay_alu instid0(VALU_DEP_1) | instskip(SKIP_3) | instid1(VALU_DEP_1)
	v_cmp_gt_u16_e32 vcc_lo, v2, v6
	v_cndmask_b32_e64 v7, 0, 1, vcc_lo
	v_cmp_le_u16_e32 vcc_lo, v6, v2
	v_cndmask_b32_e64 v6, 0, 1, vcc_lo
	v_dual_cndmask_b32 v6, v6, v7, s2 :: v_dual_add_nc_u32 v7, 1, v5
	s_delay_alu instid0(VALU_DEP_1) | instskip(NEXT) | instid1(VALU_DEP_1)
	v_and_b32_e32 v6, 1, v6
	v_cmp_eq_u32_e32 vcc_lo, 1, v6
	s_delay_alu instid0(VALU_DEP_3) | instskip(NEXT) | instid1(VALU_DEP_1)
	v_dual_cndmask_b32 v4, v5, v4 :: v_dual_cndmask_b32 v3, v3, v7
	v_cmp_ge_u32_e32 vcc_lo, v3, v4
	s_or_b32 s1, vcc_lo, s1
	s_delay_alu instid0(SALU_CYCLE_1)
	s_and_not1_b32 exec_lo, exec_lo, s1
	s_cbranch_execnz .LBB2471_15
; %bb.16:
	s_or_b32 exec_lo, exec_lo, s1
.LBB2471_17:
	s_delay_alu instid0(VALU_DEP_1)
	v_add_nc_u32_e32 v3, v3, v0
	s_mov_b32 s9, -1
.LBB2471_18:
	s_delay_alu instid0(SALU_CYCLE_1)
	s_and_b32 exec_lo, exec_lo, s9
	s_cbranch_execz .LBB2471_20
; %bb.19:
	s_wait_loadcnt 0x0
	global_store_b16 v3, v1, s[6:7] scale_offset
.LBB2471_20:
	s_endpgm
	.section	.rodata,"a",@progbits
	.p2align	6, 0x0
	.amdhsa_kernel _ZN7rocprim17ROCPRIM_400000_NS6detail17trampoline_kernelINS0_14default_configENS1_38merge_sort_block_merge_config_selectorItNS0_10empty_typeEEEZZNS1_27merge_sort_block_merge_implIS3_PtPS5_jNS1_19radix_merge_compareILb0ELb1EtNS0_19identity_decomposerEEEEE10hipError_tT0_T1_T2_jT3_P12ihipStream_tbPNSt15iterator_traitsISE_E10value_typeEPNSK_ISF_E10value_typeEPSG_NS1_7vsmem_tEENKUlT_SE_SF_SG_E_clIS8_S8_S9_S9_EESD_ST_SE_SF_SG_EUlST_E1_NS1_11comp_targetILNS1_3genE0ELNS1_11target_archE4294967295ELNS1_3gpuE0ELNS1_3repE0EEENS1_36merge_oddeven_config_static_selectorELNS0_4arch9wavefront6targetE0EEEvSF_
		.amdhsa_group_segment_fixed_size 0
		.amdhsa_private_segment_fixed_size 0
		.amdhsa_kernarg_size 48
		.amdhsa_user_sgpr_count 2
		.amdhsa_user_sgpr_dispatch_ptr 0
		.amdhsa_user_sgpr_queue_ptr 0
		.amdhsa_user_sgpr_kernarg_segment_ptr 1
		.amdhsa_user_sgpr_dispatch_id 0
		.amdhsa_user_sgpr_kernarg_preload_length 0
		.amdhsa_user_sgpr_kernarg_preload_offset 0
		.amdhsa_user_sgpr_private_segment_size 0
		.amdhsa_wavefront_size32 1
		.amdhsa_uses_dynamic_stack 0
		.amdhsa_enable_private_segment 0
		.amdhsa_system_sgpr_workgroup_id_x 1
		.amdhsa_system_sgpr_workgroup_id_y 0
		.amdhsa_system_sgpr_workgroup_id_z 0
		.amdhsa_system_sgpr_workgroup_info 0
		.amdhsa_system_vgpr_workitem_id 0
		.amdhsa_next_free_vgpr 8
		.amdhsa_next_free_sgpr 18
		.amdhsa_named_barrier_count 0
		.amdhsa_reserve_vcc 1
		.amdhsa_float_round_mode_32 0
		.amdhsa_float_round_mode_16_64 0
		.amdhsa_float_denorm_mode_32 3
		.amdhsa_float_denorm_mode_16_64 3
		.amdhsa_fp16_overflow 0
		.amdhsa_memory_ordered 1
		.amdhsa_forward_progress 1
		.amdhsa_inst_pref_size 6
		.amdhsa_round_robin_scheduling 0
		.amdhsa_exception_fp_ieee_invalid_op 0
		.amdhsa_exception_fp_denorm_src 0
		.amdhsa_exception_fp_ieee_div_zero 0
		.amdhsa_exception_fp_ieee_overflow 0
		.amdhsa_exception_fp_ieee_underflow 0
		.amdhsa_exception_fp_ieee_inexact 0
		.amdhsa_exception_int_div_zero 0
	.end_amdhsa_kernel
	.section	.text._ZN7rocprim17ROCPRIM_400000_NS6detail17trampoline_kernelINS0_14default_configENS1_38merge_sort_block_merge_config_selectorItNS0_10empty_typeEEEZZNS1_27merge_sort_block_merge_implIS3_PtPS5_jNS1_19radix_merge_compareILb0ELb1EtNS0_19identity_decomposerEEEEE10hipError_tT0_T1_T2_jT3_P12ihipStream_tbPNSt15iterator_traitsISE_E10value_typeEPNSK_ISF_E10value_typeEPSG_NS1_7vsmem_tEENKUlT_SE_SF_SG_E_clIS8_S8_S9_S9_EESD_ST_SE_SF_SG_EUlST_E1_NS1_11comp_targetILNS1_3genE0ELNS1_11target_archE4294967295ELNS1_3gpuE0ELNS1_3repE0EEENS1_36merge_oddeven_config_static_selectorELNS0_4arch9wavefront6targetE0EEEvSF_,"axG",@progbits,_ZN7rocprim17ROCPRIM_400000_NS6detail17trampoline_kernelINS0_14default_configENS1_38merge_sort_block_merge_config_selectorItNS0_10empty_typeEEEZZNS1_27merge_sort_block_merge_implIS3_PtPS5_jNS1_19radix_merge_compareILb0ELb1EtNS0_19identity_decomposerEEEEE10hipError_tT0_T1_T2_jT3_P12ihipStream_tbPNSt15iterator_traitsISE_E10value_typeEPNSK_ISF_E10value_typeEPSG_NS1_7vsmem_tEENKUlT_SE_SF_SG_E_clIS8_S8_S9_S9_EESD_ST_SE_SF_SG_EUlST_E1_NS1_11comp_targetILNS1_3genE0ELNS1_11target_archE4294967295ELNS1_3gpuE0ELNS1_3repE0EEENS1_36merge_oddeven_config_static_selectorELNS0_4arch9wavefront6targetE0EEEvSF_,comdat
.Lfunc_end2471:
	.size	_ZN7rocprim17ROCPRIM_400000_NS6detail17trampoline_kernelINS0_14default_configENS1_38merge_sort_block_merge_config_selectorItNS0_10empty_typeEEEZZNS1_27merge_sort_block_merge_implIS3_PtPS5_jNS1_19radix_merge_compareILb0ELb1EtNS0_19identity_decomposerEEEEE10hipError_tT0_T1_T2_jT3_P12ihipStream_tbPNSt15iterator_traitsISE_E10value_typeEPNSK_ISF_E10value_typeEPSG_NS1_7vsmem_tEENKUlT_SE_SF_SG_E_clIS8_S8_S9_S9_EESD_ST_SE_SF_SG_EUlST_E1_NS1_11comp_targetILNS1_3genE0ELNS1_11target_archE4294967295ELNS1_3gpuE0ELNS1_3repE0EEENS1_36merge_oddeven_config_static_selectorELNS0_4arch9wavefront6targetE0EEEvSF_, .Lfunc_end2471-_ZN7rocprim17ROCPRIM_400000_NS6detail17trampoline_kernelINS0_14default_configENS1_38merge_sort_block_merge_config_selectorItNS0_10empty_typeEEEZZNS1_27merge_sort_block_merge_implIS3_PtPS5_jNS1_19radix_merge_compareILb0ELb1EtNS0_19identity_decomposerEEEEE10hipError_tT0_T1_T2_jT3_P12ihipStream_tbPNSt15iterator_traitsISE_E10value_typeEPNSK_ISF_E10value_typeEPSG_NS1_7vsmem_tEENKUlT_SE_SF_SG_E_clIS8_S8_S9_S9_EESD_ST_SE_SF_SG_EUlST_E1_NS1_11comp_targetILNS1_3genE0ELNS1_11target_archE4294967295ELNS1_3gpuE0ELNS1_3repE0EEENS1_36merge_oddeven_config_static_selectorELNS0_4arch9wavefront6targetE0EEEvSF_
                                        ; -- End function
	.set _ZN7rocprim17ROCPRIM_400000_NS6detail17trampoline_kernelINS0_14default_configENS1_38merge_sort_block_merge_config_selectorItNS0_10empty_typeEEEZZNS1_27merge_sort_block_merge_implIS3_PtPS5_jNS1_19radix_merge_compareILb0ELb1EtNS0_19identity_decomposerEEEEE10hipError_tT0_T1_T2_jT3_P12ihipStream_tbPNSt15iterator_traitsISE_E10value_typeEPNSK_ISF_E10value_typeEPSG_NS1_7vsmem_tEENKUlT_SE_SF_SG_E_clIS8_S8_S9_S9_EESD_ST_SE_SF_SG_EUlST_E1_NS1_11comp_targetILNS1_3genE0ELNS1_11target_archE4294967295ELNS1_3gpuE0ELNS1_3repE0EEENS1_36merge_oddeven_config_static_selectorELNS0_4arch9wavefront6targetE0EEEvSF_.num_vgpr, 8
	.set _ZN7rocprim17ROCPRIM_400000_NS6detail17trampoline_kernelINS0_14default_configENS1_38merge_sort_block_merge_config_selectorItNS0_10empty_typeEEEZZNS1_27merge_sort_block_merge_implIS3_PtPS5_jNS1_19radix_merge_compareILb0ELb1EtNS0_19identity_decomposerEEEEE10hipError_tT0_T1_T2_jT3_P12ihipStream_tbPNSt15iterator_traitsISE_E10value_typeEPNSK_ISF_E10value_typeEPSG_NS1_7vsmem_tEENKUlT_SE_SF_SG_E_clIS8_S8_S9_S9_EESD_ST_SE_SF_SG_EUlST_E1_NS1_11comp_targetILNS1_3genE0ELNS1_11target_archE4294967295ELNS1_3gpuE0ELNS1_3repE0EEENS1_36merge_oddeven_config_static_selectorELNS0_4arch9wavefront6targetE0EEEvSF_.num_agpr, 0
	.set _ZN7rocprim17ROCPRIM_400000_NS6detail17trampoline_kernelINS0_14default_configENS1_38merge_sort_block_merge_config_selectorItNS0_10empty_typeEEEZZNS1_27merge_sort_block_merge_implIS3_PtPS5_jNS1_19radix_merge_compareILb0ELb1EtNS0_19identity_decomposerEEEEE10hipError_tT0_T1_T2_jT3_P12ihipStream_tbPNSt15iterator_traitsISE_E10value_typeEPNSK_ISF_E10value_typeEPSG_NS1_7vsmem_tEENKUlT_SE_SF_SG_E_clIS8_S8_S9_S9_EESD_ST_SE_SF_SG_EUlST_E1_NS1_11comp_targetILNS1_3genE0ELNS1_11target_archE4294967295ELNS1_3gpuE0ELNS1_3repE0EEENS1_36merge_oddeven_config_static_selectorELNS0_4arch9wavefront6targetE0EEEvSF_.numbered_sgpr, 18
	.set _ZN7rocprim17ROCPRIM_400000_NS6detail17trampoline_kernelINS0_14default_configENS1_38merge_sort_block_merge_config_selectorItNS0_10empty_typeEEEZZNS1_27merge_sort_block_merge_implIS3_PtPS5_jNS1_19radix_merge_compareILb0ELb1EtNS0_19identity_decomposerEEEEE10hipError_tT0_T1_T2_jT3_P12ihipStream_tbPNSt15iterator_traitsISE_E10value_typeEPNSK_ISF_E10value_typeEPSG_NS1_7vsmem_tEENKUlT_SE_SF_SG_E_clIS8_S8_S9_S9_EESD_ST_SE_SF_SG_EUlST_E1_NS1_11comp_targetILNS1_3genE0ELNS1_11target_archE4294967295ELNS1_3gpuE0ELNS1_3repE0EEENS1_36merge_oddeven_config_static_selectorELNS0_4arch9wavefront6targetE0EEEvSF_.num_named_barrier, 0
	.set _ZN7rocprim17ROCPRIM_400000_NS6detail17trampoline_kernelINS0_14default_configENS1_38merge_sort_block_merge_config_selectorItNS0_10empty_typeEEEZZNS1_27merge_sort_block_merge_implIS3_PtPS5_jNS1_19radix_merge_compareILb0ELb1EtNS0_19identity_decomposerEEEEE10hipError_tT0_T1_T2_jT3_P12ihipStream_tbPNSt15iterator_traitsISE_E10value_typeEPNSK_ISF_E10value_typeEPSG_NS1_7vsmem_tEENKUlT_SE_SF_SG_E_clIS8_S8_S9_S9_EESD_ST_SE_SF_SG_EUlST_E1_NS1_11comp_targetILNS1_3genE0ELNS1_11target_archE4294967295ELNS1_3gpuE0ELNS1_3repE0EEENS1_36merge_oddeven_config_static_selectorELNS0_4arch9wavefront6targetE0EEEvSF_.private_seg_size, 0
	.set _ZN7rocprim17ROCPRIM_400000_NS6detail17trampoline_kernelINS0_14default_configENS1_38merge_sort_block_merge_config_selectorItNS0_10empty_typeEEEZZNS1_27merge_sort_block_merge_implIS3_PtPS5_jNS1_19radix_merge_compareILb0ELb1EtNS0_19identity_decomposerEEEEE10hipError_tT0_T1_T2_jT3_P12ihipStream_tbPNSt15iterator_traitsISE_E10value_typeEPNSK_ISF_E10value_typeEPSG_NS1_7vsmem_tEENKUlT_SE_SF_SG_E_clIS8_S8_S9_S9_EESD_ST_SE_SF_SG_EUlST_E1_NS1_11comp_targetILNS1_3genE0ELNS1_11target_archE4294967295ELNS1_3gpuE0ELNS1_3repE0EEENS1_36merge_oddeven_config_static_selectorELNS0_4arch9wavefront6targetE0EEEvSF_.uses_vcc, 1
	.set _ZN7rocprim17ROCPRIM_400000_NS6detail17trampoline_kernelINS0_14default_configENS1_38merge_sort_block_merge_config_selectorItNS0_10empty_typeEEEZZNS1_27merge_sort_block_merge_implIS3_PtPS5_jNS1_19radix_merge_compareILb0ELb1EtNS0_19identity_decomposerEEEEE10hipError_tT0_T1_T2_jT3_P12ihipStream_tbPNSt15iterator_traitsISE_E10value_typeEPNSK_ISF_E10value_typeEPSG_NS1_7vsmem_tEENKUlT_SE_SF_SG_E_clIS8_S8_S9_S9_EESD_ST_SE_SF_SG_EUlST_E1_NS1_11comp_targetILNS1_3genE0ELNS1_11target_archE4294967295ELNS1_3gpuE0ELNS1_3repE0EEENS1_36merge_oddeven_config_static_selectorELNS0_4arch9wavefront6targetE0EEEvSF_.uses_flat_scratch, 0
	.set _ZN7rocprim17ROCPRIM_400000_NS6detail17trampoline_kernelINS0_14default_configENS1_38merge_sort_block_merge_config_selectorItNS0_10empty_typeEEEZZNS1_27merge_sort_block_merge_implIS3_PtPS5_jNS1_19radix_merge_compareILb0ELb1EtNS0_19identity_decomposerEEEEE10hipError_tT0_T1_T2_jT3_P12ihipStream_tbPNSt15iterator_traitsISE_E10value_typeEPNSK_ISF_E10value_typeEPSG_NS1_7vsmem_tEENKUlT_SE_SF_SG_E_clIS8_S8_S9_S9_EESD_ST_SE_SF_SG_EUlST_E1_NS1_11comp_targetILNS1_3genE0ELNS1_11target_archE4294967295ELNS1_3gpuE0ELNS1_3repE0EEENS1_36merge_oddeven_config_static_selectorELNS0_4arch9wavefront6targetE0EEEvSF_.has_dyn_sized_stack, 0
	.set _ZN7rocprim17ROCPRIM_400000_NS6detail17trampoline_kernelINS0_14default_configENS1_38merge_sort_block_merge_config_selectorItNS0_10empty_typeEEEZZNS1_27merge_sort_block_merge_implIS3_PtPS5_jNS1_19radix_merge_compareILb0ELb1EtNS0_19identity_decomposerEEEEE10hipError_tT0_T1_T2_jT3_P12ihipStream_tbPNSt15iterator_traitsISE_E10value_typeEPNSK_ISF_E10value_typeEPSG_NS1_7vsmem_tEENKUlT_SE_SF_SG_E_clIS8_S8_S9_S9_EESD_ST_SE_SF_SG_EUlST_E1_NS1_11comp_targetILNS1_3genE0ELNS1_11target_archE4294967295ELNS1_3gpuE0ELNS1_3repE0EEENS1_36merge_oddeven_config_static_selectorELNS0_4arch9wavefront6targetE0EEEvSF_.has_recursion, 0
	.set _ZN7rocprim17ROCPRIM_400000_NS6detail17trampoline_kernelINS0_14default_configENS1_38merge_sort_block_merge_config_selectorItNS0_10empty_typeEEEZZNS1_27merge_sort_block_merge_implIS3_PtPS5_jNS1_19radix_merge_compareILb0ELb1EtNS0_19identity_decomposerEEEEE10hipError_tT0_T1_T2_jT3_P12ihipStream_tbPNSt15iterator_traitsISE_E10value_typeEPNSK_ISF_E10value_typeEPSG_NS1_7vsmem_tEENKUlT_SE_SF_SG_E_clIS8_S8_S9_S9_EESD_ST_SE_SF_SG_EUlST_E1_NS1_11comp_targetILNS1_3genE0ELNS1_11target_archE4294967295ELNS1_3gpuE0ELNS1_3repE0EEENS1_36merge_oddeven_config_static_selectorELNS0_4arch9wavefront6targetE0EEEvSF_.has_indirect_call, 0
	.section	.AMDGPU.csdata,"",@progbits
; Kernel info:
; codeLenInByte = 688
; TotalNumSgprs: 20
; NumVgprs: 8
; ScratchSize: 0
; MemoryBound: 0
; FloatMode: 240
; IeeeMode: 1
; LDSByteSize: 0 bytes/workgroup (compile time only)
; SGPRBlocks: 0
; VGPRBlocks: 0
; NumSGPRsForWavesPerEU: 20
; NumVGPRsForWavesPerEU: 8
; NamedBarCnt: 0
; Occupancy: 16
; WaveLimiterHint : 0
; COMPUTE_PGM_RSRC2:SCRATCH_EN: 0
; COMPUTE_PGM_RSRC2:USER_SGPR: 2
; COMPUTE_PGM_RSRC2:TRAP_HANDLER: 0
; COMPUTE_PGM_RSRC2:TGID_X_EN: 1
; COMPUTE_PGM_RSRC2:TGID_Y_EN: 0
; COMPUTE_PGM_RSRC2:TGID_Z_EN: 0
; COMPUTE_PGM_RSRC2:TIDIG_COMP_CNT: 0
	.section	.text._ZN7rocprim17ROCPRIM_400000_NS6detail17trampoline_kernelINS0_14default_configENS1_38merge_sort_block_merge_config_selectorItNS0_10empty_typeEEEZZNS1_27merge_sort_block_merge_implIS3_PtPS5_jNS1_19radix_merge_compareILb0ELb1EtNS0_19identity_decomposerEEEEE10hipError_tT0_T1_T2_jT3_P12ihipStream_tbPNSt15iterator_traitsISE_E10value_typeEPNSK_ISF_E10value_typeEPSG_NS1_7vsmem_tEENKUlT_SE_SF_SG_E_clIS8_S8_S9_S9_EESD_ST_SE_SF_SG_EUlST_E1_NS1_11comp_targetILNS1_3genE10ELNS1_11target_archE1201ELNS1_3gpuE5ELNS1_3repE0EEENS1_36merge_oddeven_config_static_selectorELNS0_4arch9wavefront6targetE0EEEvSF_,"axG",@progbits,_ZN7rocprim17ROCPRIM_400000_NS6detail17trampoline_kernelINS0_14default_configENS1_38merge_sort_block_merge_config_selectorItNS0_10empty_typeEEEZZNS1_27merge_sort_block_merge_implIS3_PtPS5_jNS1_19radix_merge_compareILb0ELb1EtNS0_19identity_decomposerEEEEE10hipError_tT0_T1_T2_jT3_P12ihipStream_tbPNSt15iterator_traitsISE_E10value_typeEPNSK_ISF_E10value_typeEPSG_NS1_7vsmem_tEENKUlT_SE_SF_SG_E_clIS8_S8_S9_S9_EESD_ST_SE_SF_SG_EUlST_E1_NS1_11comp_targetILNS1_3genE10ELNS1_11target_archE1201ELNS1_3gpuE5ELNS1_3repE0EEENS1_36merge_oddeven_config_static_selectorELNS0_4arch9wavefront6targetE0EEEvSF_,comdat
	.protected	_ZN7rocprim17ROCPRIM_400000_NS6detail17trampoline_kernelINS0_14default_configENS1_38merge_sort_block_merge_config_selectorItNS0_10empty_typeEEEZZNS1_27merge_sort_block_merge_implIS3_PtPS5_jNS1_19radix_merge_compareILb0ELb1EtNS0_19identity_decomposerEEEEE10hipError_tT0_T1_T2_jT3_P12ihipStream_tbPNSt15iterator_traitsISE_E10value_typeEPNSK_ISF_E10value_typeEPSG_NS1_7vsmem_tEENKUlT_SE_SF_SG_E_clIS8_S8_S9_S9_EESD_ST_SE_SF_SG_EUlST_E1_NS1_11comp_targetILNS1_3genE10ELNS1_11target_archE1201ELNS1_3gpuE5ELNS1_3repE0EEENS1_36merge_oddeven_config_static_selectorELNS0_4arch9wavefront6targetE0EEEvSF_ ; -- Begin function _ZN7rocprim17ROCPRIM_400000_NS6detail17trampoline_kernelINS0_14default_configENS1_38merge_sort_block_merge_config_selectorItNS0_10empty_typeEEEZZNS1_27merge_sort_block_merge_implIS3_PtPS5_jNS1_19radix_merge_compareILb0ELb1EtNS0_19identity_decomposerEEEEE10hipError_tT0_T1_T2_jT3_P12ihipStream_tbPNSt15iterator_traitsISE_E10value_typeEPNSK_ISF_E10value_typeEPSG_NS1_7vsmem_tEENKUlT_SE_SF_SG_E_clIS8_S8_S9_S9_EESD_ST_SE_SF_SG_EUlST_E1_NS1_11comp_targetILNS1_3genE10ELNS1_11target_archE1201ELNS1_3gpuE5ELNS1_3repE0EEENS1_36merge_oddeven_config_static_selectorELNS0_4arch9wavefront6targetE0EEEvSF_
	.globl	_ZN7rocprim17ROCPRIM_400000_NS6detail17trampoline_kernelINS0_14default_configENS1_38merge_sort_block_merge_config_selectorItNS0_10empty_typeEEEZZNS1_27merge_sort_block_merge_implIS3_PtPS5_jNS1_19radix_merge_compareILb0ELb1EtNS0_19identity_decomposerEEEEE10hipError_tT0_T1_T2_jT3_P12ihipStream_tbPNSt15iterator_traitsISE_E10value_typeEPNSK_ISF_E10value_typeEPSG_NS1_7vsmem_tEENKUlT_SE_SF_SG_E_clIS8_S8_S9_S9_EESD_ST_SE_SF_SG_EUlST_E1_NS1_11comp_targetILNS1_3genE10ELNS1_11target_archE1201ELNS1_3gpuE5ELNS1_3repE0EEENS1_36merge_oddeven_config_static_selectorELNS0_4arch9wavefront6targetE0EEEvSF_
	.p2align	8
	.type	_ZN7rocprim17ROCPRIM_400000_NS6detail17trampoline_kernelINS0_14default_configENS1_38merge_sort_block_merge_config_selectorItNS0_10empty_typeEEEZZNS1_27merge_sort_block_merge_implIS3_PtPS5_jNS1_19radix_merge_compareILb0ELb1EtNS0_19identity_decomposerEEEEE10hipError_tT0_T1_T2_jT3_P12ihipStream_tbPNSt15iterator_traitsISE_E10value_typeEPNSK_ISF_E10value_typeEPSG_NS1_7vsmem_tEENKUlT_SE_SF_SG_E_clIS8_S8_S9_S9_EESD_ST_SE_SF_SG_EUlST_E1_NS1_11comp_targetILNS1_3genE10ELNS1_11target_archE1201ELNS1_3gpuE5ELNS1_3repE0EEENS1_36merge_oddeven_config_static_selectorELNS0_4arch9wavefront6targetE0EEEvSF_,@function
_ZN7rocprim17ROCPRIM_400000_NS6detail17trampoline_kernelINS0_14default_configENS1_38merge_sort_block_merge_config_selectorItNS0_10empty_typeEEEZZNS1_27merge_sort_block_merge_implIS3_PtPS5_jNS1_19radix_merge_compareILb0ELb1EtNS0_19identity_decomposerEEEEE10hipError_tT0_T1_T2_jT3_P12ihipStream_tbPNSt15iterator_traitsISE_E10value_typeEPNSK_ISF_E10value_typeEPSG_NS1_7vsmem_tEENKUlT_SE_SF_SG_E_clIS8_S8_S9_S9_EESD_ST_SE_SF_SG_EUlST_E1_NS1_11comp_targetILNS1_3genE10ELNS1_11target_archE1201ELNS1_3gpuE5ELNS1_3repE0EEENS1_36merge_oddeven_config_static_selectorELNS0_4arch9wavefront6targetE0EEEvSF_: ; @_ZN7rocprim17ROCPRIM_400000_NS6detail17trampoline_kernelINS0_14default_configENS1_38merge_sort_block_merge_config_selectorItNS0_10empty_typeEEEZZNS1_27merge_sort_block_merge_implIS3_PtPS5_jNS1_19radix_merge_compareILb0ELb1EtNS0_19identity_decomposerEEEEE10hipError_tT0_T1_T2_jT3_P12ihipStream_tbPNSt15iterator_traitsISE_E10value_typeEPNSK_ISF_E10value_typeEPSG_NS1_7vsmem_tEENKUlT_SE_SF_SG_E_clIS8_S8_S9_S9_EESD_ST_SE_SF_SG_EUlST_E1_NS1_11comp_targetILNS1_3genE10ELNS1_11target_archE1201ELNS1_3gpuE5ELNS1_3repE0EEENS1_36merge_oddeven_config_static_selectorELNS0_4arch9wavefront6targetE0EEEvSF_
; %bb.0:
	.section	.rodata,"a",@progbits
	.p2align	6, 0x0
	.amdhsa_kernel _ZN7rocprim17ROCPRIM_400000_NS6detail17trampoline_kernelINS0_14default_configENS1_38merge_sort_block_merge_config_selectorItNS0_10empty_typeEEEZZNS1_27merge_sort_block_merge_implIS3_PtPS5_jNS1_19radix_merge_compareILb0ELb1EtNS0_19identity_decomposerEEEEE10hipError_tT0_T1_T2_jT3_P12ihipStream_tbPNSt15iterator_traitsISE_E10value_typeEPNSK_ISF_E10value_typeEPSG_NS1_7vsmem_tEENKUlT_SE_SF_SG_E_clIS8_S8_S9_S9_EESD_ST_SE_SF_SG_EUlST_E1_NS1_11comp_targetILNS1_3genE10ELNS1_11target_archE1201ELNS1_3gpuE5ELNS1_3repE0EEENS1_36merge_oddeven_config_static_selectorELNS0_4arch9wavefront6targetE0EEEvSF_
		.amdhsa_group_segment_fixed_size 0
		.amdhsa_private_segment_fixed_size 0
		.amdhsa_kernarg_size 48
		.amdhsa_user_sgpr_count 2
		.amdhsa_user_sgpr_dispatch_ptr 0
		.amdhsa_user_sgpr_queue_ptr 0
		.amdhsa_user_sgpr_kernarg_segment_ptr 1
		.amdhsa_user_sgpr_dispatch_id 0
		.amdhsa_user_sgpr_kernarg_preload_length 0
		.amdhsa_user_sgpr_kernarg_preload_offset 0
		.amdhsa_user_sgpr_private_segment_size 0
		.amdhsa_wavefront_size32 1
		.amdhsa_uses_dynamic_stack 0
		.amdhsa_enable_private_segment 0
		.amdhsa_system_sgpr_workgroup_id_x 1
		.amdhsa_system_sgpr_workgroup_id_y 0
		.amdhsa_system_sgpr_workgroup_id_z 0
		.amdhsa_system_sgpr_workgroup_info 0
		.amdhsa_system_vgpr_workitem_id 0
		.amdhsa_next_free_vgpr 1
		.amdhsa_next_free_sgpr 1
		.amdhsa_named_barrier_count 0
		.amdhsa_reserve_vcc 0
		.amdhsa_float_round_mode_32 0
		.amdhsa_float_round_mode_16_64 0
		.amdhsa_float_denorm_mode_32 3
		.amdhsa_float_denorm_mode_16_64 3
		.amdhsa_fp16_overflow 0
		.amdhsa_memory_ordered 1
		.amdhsa_forward_progress 1
		.amdhsa_inst_pref_size 0
		.amdhsa_round_robin_scheduling 0
		.amdhsa_exception_fp_ieee_invalid_op 0
		.amdhsa_exception_fp_denorm_src 0
		.amdhsa_exception_fp_ieee_div_zero 0
		.amdhsa_exception_fp_ieee_overflow 0
		.amdhsa_exception_fp_ieee_underflow 0
		.amdhsa_exception_fp_ieee_inexact 0
		.amdhsa_exception_int_div_zero 0
	.end_amdhsa_kernel
	.section	.text._ZN7rocprim17ROCPRIM_400000_NS6detail17trampoline_kernelINS0_14default_configENS1_38merge_sort_block_merge_config_selectorItNS0_10empty_typeEEEZZNS1_27merge_sort_block_merge_implIS3_PtPS5_jNS1_19radix_merge_compareILb0ELb1EtNS0_19identity_decomposerEEEEE10hipError_tT0_T1_T2_jT3_P12ihipStream_tbPNSt15iterator_traitsISE_E10value_typeEPNSK_ISF_E10value_typeEPSG_NS1_7vsmem_tEENKUlT_SE_SF_SG_E_clIS8_S8_S9_S9_EESD_ST_SE_SF_SG_EUlST_E1_NS1_11comp_targetILNS1_3genE10ELNS1_11target_archE1201ELNS1_3gpuE5ELNS1_3repE0EEENS1_36merge_oddeven_config_static_selectorELNS0_4arch9wavefront6targetE0EEEvSF_,"axG",@progbits,_ZN7rocprim17ROCPRIM_400000_NS6detail17trampoline_kernelINS0_14default_configENS1_38merge_sort_block_merge_config_selectorItNS0_10empty_typeEEEZZNS1_27merge_sort_block_merge_implIS3_PtPS5_jNS1_19radix_merge_compareILb0ELb1EtNS0_19identity_decomposerEEEEE10hipError_tT0_T1_T2_jT3_P12ihipStream_tbPNSt15iterator_traitsISE_E10value_typeEPNSK_ISF_E10value_typeEPSG_NS1_7vsmem_tEENKUlT_SE_SF_SG_E_clIS8_S8_S9_S9_EESD_ST_SE_SF_SG_EUlST_E1_NS1_11comp_targetILNS1_3genE10ELNS1_11target_archE1201ELNS1_3gpuE5ELNS1_3repE0EEENS1_36merge_oddeven_config_static_selectorELNS0_4arch9wavefront6targetE0EEEvSF_,comdat
.Lfunc_end2472:
	.size	_ZN7rocprim17ROCPRIM_400000_NS6detail17trampoline_kernelINS0_14default_configENS1_38merge_sort_block_merge_config_selectorItNS0_10empty_typeEEEZZNS1_27merge_sort_block_merge_implIS3_PtPS5_jNS1_19radix_merge_compareILb0ELb1EtNS0_19identity_decomposerEEEEE10hipError_tT0_T1_T2_jT3_P12ihipStream_tbPNSt15iterator_traitsISE_E10value_typeEPNSK_ISF_E10value_typeEPSG_NS1_7vsmem_tEENKUlT_SE_SF_SG_E_clIS8_S8_S9_S9_EESD_ST_SE_SF_SG_EUlST_E1_NS1_11comp_targetILNS1_3genE10ELNS1_11target_archE1201ELNS1_3gpuE5ELNS1_3repE0EEENS1_36merge_oddeven_config_static_selectorELNS0_4arch9wavefront6targetE0EEEvSF_, .Lfunc_end2472-_ZN7rocprim17ROCPRIM_400000_NS6detail17trampoline_kernelINS0_14default_configENS1_38merge_sort_block_merge_config_selectorItNS0_10empty_typeEEEZZNS1_27merge_sort_block_merge_implIS3_PtPS5_jNS1_19radix_merge_compareILb0ELb1EtNS0_19identity_decomposerEEEEE10hipError_tT0_T1_T2_jT3_P12ihipStream_tbPNSt15iterator_traitsISE_E10value_typeEPNSK_ISF_E10value_typeEPSG_NS1_7vsmem_tEENKUlT_SE_SF_SG_E_clIS8_S8_S9_S9_EESD_ST_SE_SF_SG_EUlST_E1_NS1_11comp_targetILNS1_3genE10ELNS1_11target_archE1201ELNS1_3gpuE5ELNS1_3repE0EEENS1_36merge_oddeven_config_static_selectorELNS0_4arch9wavefront6targetE0EEEvSF_
                                        ; -- End function
	.set _ZN7rocprim17ROCPRIM_400000_NS6detail17trampoline_kernelINS0_14default_configENS1_38merge_sort_block_merge_config_selectorItNS0_10empty_typeEEEZZNS1_27merge_sort_block_merge_implIS3_PtPS5_jNS1_19radix_merge_compareILb0ELb1EtNS0_19identity_decomposerEEEEE10hipError_tT0_T1_T2_jT3_P12ihipStream_tbPNSt15iterator_traitsISE_E10value_typeEPNSK_ISF_E10value_typeEPSG_NS1_7vsmem_tEENKUlT_SE_SF_SG_E_clIS8_S8_S9_S9_EESD_ST_SE_SF_SG_EUlST_E1_NS1_11comp_targetILNS1_3genE10ELNS1_11target_archE1201ELNS1_3gpuE5ELNS1_3repE0EEENS1_36merge_oddeven_config_static_selectorELNS0_4arch9wavefront6targetE0EEEvSF_.num_vgpr, 0
	.set _ZN7rocprim17ROCPRIM_400000_NS6detail17trampoline_kernelINS0_14default_configENS1_38merge_sort_block_merge_config_selectorItNS0_10empty_typeEEEZZNS1_27merge_sort_block_merge_implIS3_PtPS5_jNS1_19radix_merge_compareILb0ELb1EtNS0_19identity_decomposerEEEEE10hipError_tT0_T1_T2_jT3_P12ihipStream_tbPNSt15iterator_traitsISE_E10value_typeEPNSK_ISF_E10value_typeEPSG_NS1_7vsmem_tEENKUlT_SE_SF_SG_E_clIS8_S8_S9_S9_EESD_ST_SE_SF_SG_EUlST_E1_NS1_11comp_targetILNS1_3genE10ELNS1_11target_archE1201ELNS1_3gpuE5ELNS1_3repE0EEENS1_36merge_oddeven_config_static_selectorELNS0_4arch9wavefront6targetE0EEEvSF_.num_agpr, 0
	.set _ZN7rocprim17ROCPRIM_400000_NS6detail17trampoline_kernelINS0_14default_configENS1_38merge_sort_block_merge_config_selectorItNS0_10empty_typeEEEZZNS1_27merge_sort_block_merge_implIS3_PtPS5_jNS1_19radix_merge_compareILb0ELb1EtNS0_19identity_decomposerEEEEE10hipError_tT0_T1_T2_jT3_P12ihipStream_tbPNSt15iterator_traitsISE_E10value_typeEPNSK_ISF_E10value_typeEPSG_NS1_7vsmem_tEENKUlT_SE_SF_SG_E_clIS8_S8_S9_S9_EESD_ST_SE_SF_SG_EUlST_E1_NS1_11comp_targetILNS1_3genE10ELNS1_11target_archE1201ELNS1_3gpuE5ELNS1_3repE0EEENS1_36merge_oddeven_config_static_selectorELNS0_4arch9wavefront6targetE0EEEvSF_.numbered_sgpr, 0
	.set _ZN7rocprim17ROCPRIM_400000_NS6detail17trampoline_kernelINS0_14default_configENS1_38merge_sort_block_merge_config_selectorItNS0_10empty_typeEEEZZNS1_27merge_sort_block_merge_implIS3_PtPS5_jNS1_19radix_merge_compareILb0ELb1EtNS0_19identity_decomposerEEEEE10hipError_tT0_T1_T2_jT3_P12ihipStream_tbPNSt15iterator_traitsISE_E10value_typeEPNSK_ISF_E10value_typeEPSG_NS1_7vsmem_tEENKUlT_SE_SF_SG_E_clIS8_S8_S9_S9_EESD_ST_SE_SF_SG_EUlST_E1_NS1_11comp_targetILNS1_3genE10ELNS1_11target_archE1201ELNS1_3gpuE5ELNS1_3repE0EEENS1_36merge_oddeven_config_static_selectorELNS0_4arch9wavefront6targetE0EEEvSF_.num_named_barrier, 0
	.set _ZN7rocprim17ROCPRIM_400000_NS6detail17trampoline_kernelINS0_14default_configENS1_38merge_sort_block_merge_config_selectorItNS0_10empty_typeEEEZZNS1_27merge_sort_block_merge_implIS3_PtPS5_jNS1_19radix_merge_compareILb0ELb1EtNS0_19identity_decomposerEEEEE10hipError_tT0_T1_T2_jT3_P12ihipStream_tbPNSt15iterator_traitsISE_E10value_typeEPNSK_ISF_E10value_typeEPSG_NS1_7vsmem_tEENKUlT_SE_SF_SG_E_clIS8_S8_S9_S9_EESD_ST_SE_SF_SG_EUlST_E1_NS1_11comp_targetILNS1_3genE10ELNS1_11target_archE1201ELNS1_3gpuE5ELNS1_3repE0EEENS1_36merge_oddeven_config_static_selectorELNS0_4arch9wavefront6targetE0EEEvSF_.private_seg_size, 0
	.set _ZN7rocprim17ROCPRIM_400000_NS6detail17trampoline_kernelINS0_14default_configENS1_38merge_sort_block_merge_config_selectorItNS0_10empty_typeEEEZZNS1_27merge_sort_block_merge_implIS3_PtPS5_jNS1_19radix_merge_compareILb0ELb1EtNS0_19identity_decomposerEEEEE10hipError_tT0_T1_T2_jT3_P12ihipStream_tbPNSt15iterator_traitsISE_E10value_typeEPNSK_ISF_E10value_typeEPSG_NS1_7vsmem_tEENKUlT_SE_SF_SG_E_clIS8_S8_S9_S9_EESD_ST_SE_SF_SG_EUlST_E1_NS1_11comp_targetILNS1_3genE10ELNS1_11target_archE1201ELNS1_3gpuE5ELNS1_3repE0EEENS1_36merge_oddeven_config_static_selectorELNS0_4arch9wavefront6targetE0EEEvSF_.uses_vcc, 0
	.set _ZN7rocprim17ROCPRIM_400000_NS6detail17trampoline_kernelINS0_14default_configENS1_38merge_sort_block_merge_config_selectorItNS0_10empty_typeEEEZZNS1_27merge_sort_block_merge_implIS3_PtPS5_jNS1_19radix_merge_compareILb0ELb1EtNS0_19identity_decomposerEEEEE10hipError_tT0_T1_T2_jT3_P12ihipStream_tbPNSt15iterator_traitsISE_E10value_typeEPNSK_ISF_E10value_typeEPSG_NS1_7vsmem_tEENKUlT_SE_SF_SG_E_clIS8_S8_S9_S9_EESD_ST_SE_SF_SG_EUlST_E1_NS1_11comp_targetILNS1_3genE10ELNS1_11target_archE1201ELNS1_3gpuE5ELNS1_3repE0EEENS1_36merge_oddeven_config_static_selectorELNS0_4arch9wavefront6targetE0EEEvSF_.uses_flat_scratch, 0
	.set _ZN7rocprim17ROCPRIM_400000_NS6detail17trampoline_kernelINS0_14default_configENS1_38merge_sort_block_merge_config_selectorItNS0_10empty_typeEEEZZNS1_27merge_sort_block_merge_implIS3_PtPS5_jNS1_19radix_merge_compareILb0ELb1EtNS0_19identity_decomposerEEEEE10hipError_tT0_T1_T2_jT3_P12ihipStream_tbPNSt15iterator_traitsISE_E10value_typeEPNSK_ISF_E10value_typeEPSG_NS1_7vsmem_tEENKUlT_SE_SF_SG_E_clIS8_S8_S9_S9_EESD_ST_SE_SF_SG_EUlST_E1_NS1_11comp_targetILNS1_3genE10ELNS1_11target_archE1201ELNS1_3gpuE5ELNS1_3repE0EEENS1_36merge_oddeven_config_static_selectorELNS0_4arch9wavefront6targetE0EEEvSF_.has_dyn_sized_stack, 0
	.set _ZN7rocprim17ROCPRIM_400000_NS6detail17trampoline_kernelINS0_14default_configENS1_38merge_sort_block_merge_config_selectorItNS0_10empty_typeEEEZZNS1_27merge_sort_block_merge_implIS3_PtPS5_jNS1_19radix_merge_compareILb0ELb1EtNS0_19identity_decomposerEEEEE10hipError_tT0_T1_T2_jT3_P12ihipStream_tbPNSt15iterator_traitsISE_E10value_typeEPNSK_ISF_E10value_typeEPSG_NS1_7vsmem_tEENKUlT_SE_SF_SG_E_clIS8_S8_S9_S9_EESD_ST_SE_SF_SG_EUlST_E1_NS1_11comp_targetILNS1_3genE10ELNS1_11target_archE1201ELNS1_3gpuE5ELNS1_3repE0EEENS1_36merge_oddeven_config_static_selectorELNS0_4arch9wavefront6targetE0EEEvSF_.has_recursion, 0
	.set _ZN7rocprim17ROCPRIM_400000_NS6detail17trampoline_kernelINS0_14default_configENS1_38merge_sort_block_merge_config_selectorItNS0_10empty_typeEEEZZNS1_27merge_sort_block_merge_implIS3_PtPS5_jNS1_19radix_merge_compareILb0ELb1EtNS0_19identity_decomposerEEEEE10hipError_tT0_T1_T2_jT3_P12ihipStream_tbPNSt15iterator_traitsISE_E10value_typeEPNSK_ISF_E10value_typeEPSG_NS1_7vsmem_tEENKUlT_SE_SF_SG_E_clIS8_S8_S9_S9_EESD_ST_SE_SF_SG_EUlST_E1_NS1_11comp_targetILNS1_3genE10ELNS1_11target_archE1201ELNS1_3gpuE5ELNS1_3repE0EEENS1_36merge_oddeven_config_static_selectorELNS0_4arch9wavefront6targetE0EEEvSF_.has_indirect_call, 0
	.section	.AMDGPU.csdata,"",@progbits
; Kernel info:
; codeLenInByte = 0
; TotalNumSgprs: 0
; NumVgprs: 0
; ScratchSize: 0
; MemoryBound: 0
; FloatMode: 240
; IeeeMode: 1
; LDSByteSize: 0 bytes/workgroup (compile time only)
; SGPRBlocks: 0
; VGPRBlocks: 0
; NumSGPRsForWavesPerEU: 1
; NumVGPRsForWavesPerEU: 1
; NamedBarCnt: 0
; Occupancy: 16
; WaveLimiterHint : 0
; COMPUTE_PGM_RSRC2:SCRATCH_EN: 0
; COMPUTE_PGM_RSRC2:USER_SGPR: 2
; COMPUTE_PGM_RSRC2:TRAP_HANDLER: 0
; COMPUTE_PGM_RSRC2:TGID_X_EN: 1
; COMPUTE_PGM_RSRC2:TGID_Y_EN: 0
; COMPUTE_PGM_RSRC2:TGID_Z_EN: 0
; COMPUTE_PGM_RSRC2:TIDIG_COMP_CNT: 0
	.section	.text._ZN7rocprim17ROCPRIM_400000_NS6detail17trampoline_kernelINS0_14default_configENS1_38merge_sort_block_merge_config_selectorItNS0_10empty_typeEEEZZNS1_27merge_sort_block_merge_implIS3_PtPS5_jNS1_19radix_merge_compareILb0ELb1EtNS0_19identity_decomposerEEEEE10hipError_tT0_T1_T2_jT3_P12ihipStream_tbPNSt15iterator_traitsISE_E10value_typeEPNSK_ISF_E10value_typeEPSG_NS1_7vsmem_tEENKUlT_SE_SF_SG_E_clIS8_S8_S9_S9_EESD_ST_SE_SF_SG_EUlST_E1_NS1_11comp_targetILNS1_3genE5ELNS1_11target_archE942ELNS1_3gpuE9ELNS1_3repE0EEENS1_36merge_oddeven_config_static_selectorELNS0_4arch9wavefront6targetE0EEEvSF_,"axG",@progbits,_ZN7rocprim17ROCPRIM_400000_NS6detail17trampoline_kernelINS0_14default_configENS1_38merge_sort_block_merge_config_selectorItNS0_10empty_typeEEEZZNS1_27merge_sort_block_merge_implIS3_PtPS5_jNS1_19radix_merge_compareILb0ELb1EtNS0_19identity_decomposerEEEEE10hipError_tT0_T1_T2_jT3_P12ihipStream_tbPNSt15iterator_traitsISE_E10value_typeEPNSK_ISF_E10value_typeEPSG_NS1_7vsmem_tEENKUlT_SE_SF_SG_E_clIS8_S8_S9_S9_EESD_ST_SE_SF_SG_EUlST_E1_NS1_11comp_targetILNS1_3genE5ELNS1_11target_archE942ELNS1_3gpuE9ELNS1_3repE0EEENS1_36merge_oddeven_config_static_selectorELNS0_4arch9wavefront6targetE0EEEvSF_,comdat
	.protected	_ZN7rocprim17ROCPRIM_400000_NS6detail17trampoline_kernelINS0_14default_configENS1_38merge_sort_block_merge_config_selectorItNS0_10empty_typeEEEZZNS1_27merge_sort_block_merge_implIS3_PtPS5_jNS1_19radix_merge_compareILb0ELb1EtNS0_19identity_decomposerEEEEE10hipError_tT0_T1_T2_jT3_P12ihipStream_tbPNSt15iterator_traitsISE_E10value_typeEPNSK_ISF_E10value_typeEPSG_NS1_7vsmem_tEENKUlT_SE_SF_SG_E_clIS8_S8_S9_S9_EESD_ST_SE_SF_SG_EUlST_E1_NS1_11comp_targetILNS1_3genE5ELNS1_11target_archE942ELNS1_3gpuE9ELNS1_3repE0EEENS1_36merge_oddeven_config_static_selectorELNS0_4arch9wavefront6targetE0EEEvSF_ ; -- Begin function _ZN7rocprim17ROCPRIM_400000_NS6detail17trampoline_kernelINS0_14default_configENS1_38merge_sort_block_merge_config_selectorItNS0_10empty_typeEEEZZNS1_27merge_sort_block_merge_implIS3_PtPS5_jNS1_19radix_merge_compareILb0ELb1EtNS0_19identity_decomposerEEEEE10hipError_tT0_T1_T2_jT3_P12ihipStream_tbPNSt15iterator_traitsISE_E10value_typeEPNSK_ISF_E10value_typeEPSG_NS1_7vsmem_tEENKUlT_SE_SF_SG_E_clIS8_S8_S9_S9_EESD_ST_SE_SF_SG_EUlST_E1_NS1_11comp_targetILNS1_3genE5ELNS1_11target_archE942ELNS1_3gpuE9ELNS1_3repE0EEENS1_36merge_oddeven_config_static_selectorELNS0_4arch9wavefront6targetE0EEEvSF_
	.globl	_ZN7rocprim17ROCPRIM_400000_NS6detail17trampoline_kernelINS0_14default_configENS1_38merge_sort_block_merge_config_selectorItNS0_10empty_typeEEEZZNS1_27merge_sort_block_merge_implIS3_PtPS5_jNS1_19radix_merge_compareILb0ELb1EtNS0_19identity_decomposerEEEEE10hipError_tT0_T1_T2_jT3_P12ihipStream_tbPNSt15iterator_traitsISE_E10value_typeEPNSK_ISF_E10value_typeEPSG_NS1_7vsmem_tEENKUlT_SE_SF_SG_E_clIS8_S8_S9_S9_EESD_ST_SE_SF_SG_EUlST_E1_NS1_11comp_targetILNS1_3genE5ELNS1_11target_archE942ELNS1_3gpuE9ELNS1_3repE0EEENS1_36merge_oddeven_config_static_selectorELNS0_4arch9wavefront6targetE0EEEvSF_
	.p2align	8
	.type	_ZN7rocprim17ROCPRIM_400000_NS6detail17trampoline_kernelINS0_14default_configENS1_38merge_sort_block_merge_config_selectorItNS0_10empty_typeEEEZZNS1_27merge_sort_block_merge_implIS3_PtPS5_jNS1_19radix_merge_compareILb0ELb1EtNS0_19identity_decomposerEEEEE10hipError_tT0_T1_T2_jT3_P12ihipStream_tbPNSt15iterator_traitsISE_E10value_typeEPNSK_ISF_E10value_typeEPSG_NS1_7vsmem_tEENKUlT_SE_SF_SG_E_clIS8_S8_S9_S9_EESD_ST_SE_SF_SG_EUlST_E1_NS1_11comp_targetILNS1_3genE5ELNS1_11target_archE942ELNS1_3gpuE9ELNS1_3repE0EEENS1_36merge_oddeven_config_static_selectorELNS0_4arch9wavefront6targetE0EEEvSF_,@function
_ZN7rocprim17ROCPRIM_400000_NS6detail17trampoline_kernelINS0_14default_configENS1_38merge_sort_block_merge_config_selectorItNS0_10empty_typeEEEZZNS1_27merge_sort_block_merge_implIS3_PtPS5_jNS1_19radix_merge_compareILb0ELb1EtNS0_19identity_decomposerEEEEE10hipError_tT0_T1_T2_jT3_P12ihipStream_tbPNSt15iterator_traitsISE_E10value_typeEPNSK_ISF_E10value_typeEPSG_NS1_7vsmem_tEENKUlT_SE_SF_SG_E_clIS8_S8_S9_S9_EESD_ST_SE_SF_SG_EUlST_E1_NS1_11comp_targetILNS1_3genE5ELNS1_11target_archE942ELNS1_3gpuE9ELNS1_3repE0EEENS1_36merge_oddeven_config_static_selectorELNS0_4arch9wavefront6targetE0EEEvSF_: ; @_ZN7rocprim17ROCPRIM_400000_NS6detail17trampoline_kernelINS0_14default_configENS1_38merge_sort_block_merge_config_selectorItNS0_10empty_typeEEEZZNS1_27merge_sort_block_merge_implIS3_PtPS5_jNS1_19radix_merge_compareILb0ELb1EtNS0_19identity_decomposerEEEEE10hipError_tT0_T1_T2_jT3_P12ihipStream_tbPNSt15iterator_traitsISE_E10value_typeEPNSK_ISF_E10value_typeEPSG_NS1_7vsmem_tEENKUlT_SE_SF_SG_E_clIS8_S8_S9_S9_EESD_ST_SE_SF_SG_EUlST_E1_NS1_11comp_targetILNS1_3genE5ELNS1_11target_archE942ELNS1_3gpuE9ELNS1_3repE0EEENS1_36merge_oddeven_config_static_selectorELNS0_4arch9wavefront6targetE0EEEvSF_
; %bb.0:
	.section	.rodata,"a",@progbits
	.p2align	6, 0x0
	.amdhsa_kernel _ZN7rocprim17ROCPRIM_400000_NS6detail17trampoline_kernelINS0_14default_configENS1_38merge_sort_block_merge_config_selectorItNS0_10empty_typeEEEZZNS1_27merge_sort_block_merge_implIS3_PtPS5_jNS1_19radix_merge_compareILb0ELb1EtNS0_19identity_decomposerEEEEE10hipError_tT0_T1_T2_jT3_P12ihipStream_tbPNSt15iterator_traitsISE_E10value_typeEPNSK_ISF_E10value_typeEPSG_NS1_7vsmem_tEENKUlT_SE_SF_SG_E_clIS8_S8_S9_S9_EESD_ST_SE_SF_SG_EUlST_E1_NS1_11comp_targetILNS1_3genE5ELNS1_11target_archE942ELNS1_3gpuE9ELNS1_3repE0EEENS1_36merge_oddeven_config_static_selectorELNS0_4arch9wavefront6targetE0EEEvSF_
		.amdhsa_group_segment_fixed_size 0
		.amdhsa_private_segment_fixed_size 0
		.amdhsa_kernarg_size 48
		.amdhsa_user_sgpr_count 2
		.amdhsa_user_sgpr_dispatch_ptr 0
		.amdhsa_user_sgpr_queue_ptr 0
		.amdhsa_user_sgpr_kernarg_segment_ptr 1
		.amdhsa_user_sgpr_dispatch_id 0
		.amdhsa_user_sgpr_kernarg_preload_length 0
		.amdhsa_user_sgpr_kernarg_preload_offset 0
		.amdhsa_user_sgpr_private_segment_size 0
		.amdhsa_wavefront_size32 1
		.amdhsa_uses_dynamic_stack 0
		.amdhsa_enable_private_segment 0
		.amdhsa_system_sgpr_workgroup_id_x 1
		.amdhsa_system_sgpr_workgroup_id_y 0
		.amdhsa_system_sgpr_workgroup_id_z 0
		.amdhsa_system_sgpr_workgroup_info 0
		.amdhsa_system_vgpr_workitem_id 0
		.amdhsa_next_free_vgpr 1
		.amdhsa_next_free_sgpr 1
		.amdhsa_named_barrier_count 0
		.amdhsa_reserve_vcc 0
		.amdhsa_float_round_mode_32 0
		.amdhsa_float_round_mode_16_64 0
		.amdhsa_float_denorm_mode_32 3
		.amdhsa_float_denorm_mode_16_64 3
		.amdhsa_fp16_overflow 0
		.amdhsa_memory_ordered 1
		.amdhsa_forward_progress 1
		.amdhsa_inst_pref_size 0
		.amdhsa_round_robin_scheduling 0
		.amdhsa_exception_fp_ieee_invalid_op 0
		.amdhsa_exception_fp_denorm_src 0
		.amdhsa_exception_fp_ieee_div_zero 0
		.amdhsa_exception_fp_ieee_overflow 0
		.amdhsa_exception_fp_ieee_underflow 0
		.amdhsa_exception_fp_ieee_inexact 0
		.amdhsa_exception_int_div_zero 0
	.end_amdhsa_kernel
	.section	.text._ZN7rocprim17ROCPRIM_400000_NS6detail17trampoline_kernelINS0_14default_configENS1_38merge_sort_block_merge_config_selectorItNS0_10empty_typeEEEZZNS1_27merge_sort_block_merge_implIS3_PtPS5_jNS1_19radix_merge_compareILb0ELb1EtNS0_19identity_decomposerEEEEE10hipError_tT0_T1_T2_jT3_P12ihipStream_tbPNSt15iterator_traitsISE_E10value_typeEPNSK_ISF_E10value_typeEPSG_NS1_7vsmem_tEENKUlT_SE_SF_SG_E_clIS8_S8_S9_S9_EESD_ST_SE_SF_SG_EUlST_E1_NS1_11comp_targetILNS1_3genE5ELNS1_11target_archE942ELNS1_3gpuE9ELNS1_3repE0EEENS1_36merge_oddeven_config_static_selectorELNS0_4arch9wavefront6targetE0EEEvSF_,"axG",@progbits,_ZN7rocprim17ROCPRIM_400000_NS6detail17trampoline_kernelINS0_14default_configENS1_38merge_sort_block_merge_config_selectorItNS0_10empty_typeEEEZZNS1_27merge_sort_block_merge_implIS3_PtPS5_jNS1_19radix_merge_compareILb0ELb1EtNS0_19identity_decomposerEEEEE10hipError_tT0_T1_T2_jT3_P12ihipStream_tbPNSt15iterator_traitsISE_E10value_typeEPNSK_ISF_E10value_typeEPSG_NS1_7vsmem_tEENKUlT_SE_SF_SG_E_clIS8_S8_S9_S9_EESD_ST_SE_SF_SG_EUlST_E1_NS1_11comp_targetILNS1_3genE5ELNS1_11target_archE942ELNS1_3gpuE9ELNS1_3repE0EEENS1_36merge_oddeven_config_static_selectorELNS0_4arch9wavefront6targetE0EEEvSF_,comdat
.Lfunc_end2473:
	.size	_ZN7rocprim17ROCPRIM_400000_NS6detail17trampoline_kernelINS0_14default_configENS1_38merge_sort_block_merge_config_selectorItNS0_10empty_typeEEEZZNS1_27merge_sort_block_merge_implIS3_PtPS5_jNS1_19radix_merge_compareILb0ELb1EtNS0_19identity_decomposerEEEEE10hipError_tT0_T1_T2_jT3_P12ihipStream_tbPNSt15iterator_traitsISE_E10value_typeEPNSK_ISF_E10value_typeEPSG_NS1_7vsmem_tEENKUlT_SE_SF_SG_E_clIS8_S8_S9_S9_EESD_ST_SE_SF_SG_EUlST_E1_NS1_11comp_targetILNS1_3genE5ELNS1_11target_archE942ELNS1_3gpuE9ELNS1_3repE0EEENS1_36merge_oddeven_config_static_selectorELNS0_4arch9wavefront6targetE0EEEvSF_, .Lfunc_end2473-_ZN7rocprim17ROCPRIM_400000_NS6detail17trampoline_kernelINS0_14default_configENS1_38merge_sort_block_merge_config_selectorItNS0_10empty_typeEEEZZNS1_27merge_sort_block_merge_implIS3_PtPS5_jNS1_19radix_merge_compareILb0ELb1EtNS0_19identity_decomposerEEEEE10hipError_tT0_T1_T2_jT3_P12ihipStream_tbPNSt15iterator_traitsISE_E10value_typeEPNSK_ISF_E10value_typeEPSG_NS1_7vsmem_tEENKUlT_SE_SF_SG_E_clIS8_S8_S9_S9_EESD_ST_SE_SF_SG_EUlST_E1_NS1_11comp_targetILNS1_3genE5ELNS1_11target_archE942ELNS1_3gpuE9ELNS1_3repE0EEENS1_36merge_oddeven_config_static_selectorELNS0_4arch9wavefront6targetE0EEEvSF_
                                        ; -- End function
	.set _ZN7rocprim17ROCPRIM_400000_NS6detail17trampoline_kernelINS0_14default_configENS1_38merge_sort_block_merge_config_selectorItNS0_10empty_typeEEEZZNS1_27merge_sort_block_merge_implIS3_PtPS5_jNS1_19radix_merge_compareILb0ELb1EtNS0_19identity_decomposerEEEEE10hipError_tT0_T1_T2_jT3_P12ihipStream_tbPNSt15iterator_traitsISE_E10value_typeEPNSK_ISF_E10value_typeEPSG_NS1_7vsmem_tEENKUlT_SE_SF_SG_E_clIS8_S8_S9_S9_EESD_ST_SE_SF_SG_EUlST_E1_NS1_11comp_targetILNS1_3genE5ELNS1_11target_archE942ELNS1_3gpuE9ELNS1_3repE0EEENS1_36merge_oddeven_config_static_selectorELNS0_4arch9wavefront6targetE0EEEvSF_.num_vgpr, 0
	.set _ZN7rocprim17ROCPRIM_400000_NS6detail17trampoline_kernelINS0_14default_configENS1_38merge_sort_block_merge_config_selectorItNS0_10empty_typeEEEZZNS1_27merge_sort_block_merge_implIS3_PtPS5_jNS1_19radix_merge_compareILb0ELb1EtNS0_19identity_decomposerEEEEE10hipError_tT0_T1_T2_jT3_P12ihipStream_tbPNSt15iterator_traitsISE_E10value_typeEPNSK_ISF_E10value_typeEPSG_NS1_7vsmem_tEENKUlT_SE_SF_SG_E_clIS8_S8_S9_S9_EESD_ST_SE_SF_SG_EUlST_E1_NS1_11comp_targetILNS1_3genE5ELNS1_11target_archE942ELNS1_3gpuE9ELNS1_3repE0EEENS1_36merge_oddeven_config_static_selectorELNS0_4arch9wavefront6targetE0EEEvSF_.num_agpr, 0
	.set _ZN7rocprim17ROCPRIM_400000_NS6detail17trampoline_kernelINS0_14default_configENS1_38merge_sort_block_merge_config_selectorItNS0_10empty_typeEEEZZNS1_27merge_sort_block_merge_implIS3_PtPS5_jNS1_19radix_merge_compareILb0ELb1EtNS0_19identity_decomposerEEEEE10hipError_tT0_T1_T2_jT3_P12ihipStream_tbPNSt15iterator_traitsISE_E10value_typeEPNSK_ISF_E10value_typeEPSG_NS1_7vsmem_tEENKUlT_SE_SF_SG_E_clIS8_S8_S9_S9_EESD_ST_SE_SF_SG_EUlST_E1_NS1_11comp_targetILNS1_3genE5ELNS1_11target_archE942ELNS1_3gpuE9ELNS1_3repE0EEENS1_36merge_oddeven_config_static_selectorELNS0_4arch9wavefront6targetE0EEEvSF_.numbered_sgpr, 0
	.set _ZN7rocprim17ROCPRIM_400000_NS6detail17trampoline_kernelINS0_14default_configENS1_38merge_sort_block_merge_config_selectorItNS0_10empty_typeEEEZZNS1_27merge_sort_block_merge_implIS3_PtPS5_jNS1_19radix_merge_compareILb0ELb1EtNS0_19identity_decomposerEEEEE10hipError_tT0_T1_T2_jT3_P12ihipStream_tbPNSt15iterator_traitsISE_E10value_typeEPNSK_ISF_E10value_typeEPSG_NS1_7vsmem_tEENKUlT_SE_SF_SG_E_clIS8_S8_S9_S9_EESD_ST_SE_SF_SG_EUlST_E1_NS1_11comp_targetILNS1_3genE5ELNS1_11target_archE942ELNS1_3gpuE9ELNS1_3repE0EEENS1_36merge_oddeven_config_static_selectorELNS0_4arch9wavefront6targetE0EEEvSF_.num_named_barrier, 0
	.set _ZN7rocprim17ROCPRIM_400000_NS6detail17trampoline_kernelINS0_14default_configENS1_38merge_sort_block_merge_config_selectorItNS0_10empty_typeEEEZZNS1_27merge_sort_block_merge_implIS3_PtPS5_jNS1_19radix_merge_compareILb0ELb1EtNS0_19identity_decomposerEEEEE10hipError_tT0_T1_T2_jT3_P12ihipStream_tbPNSt15iterator_traitsISE_E10value_typeEPNSK_ISF_E10value_typeEPSG_NS1_7vsmem_tEENKUlT_SE_SF_SG_E_clIS8_S8_S9_S9_EESD_ST_SE_SF_SG_EUlST_E1_NS1_11comp_targetILNS1_3genE5ELNS1_11target_archE942ELNS1_3gpuE9ELNS1_3repE0EEENS1_36merge_oddeven_config_static_selectorELNS0_4arch9wavefront6targetE0EEEvSF_.private_seg_size, 0
	.set _ZN7rocprim17ROCPRIM_400000_NS6detail17trampoline_kernelINS0_14default_configENS1_38merge_sort_block_merge_config_selectorItNS0_10empty_typeEEEZZNS1_27merge_sort_block_merge_implIS3_PtPS5_jNS1_19radix_merge_compareILb0ELb1EtNS0_19identity_decomposerEEEEE10hipError_tT0_T1_T2_jT3_P12ihipStream_tbPNSt15iterator_traitsISE_E10value_typeEPNSK_ISF_E10value_typeEPSG_NS1_7vsmem_tEENKUlT_SE_SF_SG_E_clIS8_S8_S9_S9_EESD_ST_SE_SF_SG_EUlST_E1_NS1_11comp_targetILNS1_3genE5ELNS1_11target_archE942ELNS1_3gpuE9ELNS1_3repE0EEENS1_36merge_oddeven_config_static_selectorELNS0_4arch9wavefront6targetE0EEEvSF_.uses_vcc, 0
	.set _ZN7rocprim17ROCPRIM_400000_NS6detail17trampoline_kernelINS0_14default_configENS1_38merge_sort_block_merge_config_selectorItNS0_10empty_typeEEEZZNS1_27merge_sort_block_merge_implIS3_PtPS5_jNS1_19radix_merge_compareILb0ELb1EtNS0_19identity_decomposerEEEEE10hipError_tT0_T1_T2_jT3_P12ihipStream_tbPNSt15iterator_traitsISE_E10value_typeEPNSK_ISF_E10value_typeEPSG_NS1_7vsmem_tEENKUlT_SE_SF_SG_E_clIS8_S8_S9_S9_EESD_ST_SE_SF_SG_EUlST_E1_NS1_11comp_targetILNS1_3genE5ELNS1_11target_archE942ELNS1_3gpuE9ELNS1_3repE0EEENS1_36merge_oddeven_config_static_selectorELNS0_4arch9wavefront6targetE0EEEvSF_.uses_flat_scratch, 0
	.set _ZN7rocprim17ROCPRIM_400000_NS6detail17trampoline_kernelINS0_14default_configENS1_38merge_sort_block_merge_config_selectorItNS0_10empty_typeEEEZZNS1_27merge_sort_block_merge_implIS3_PtPS5_jNS1_19radix_merge_compareILb0ELb1EtNS0_19identity_decomposerEEEEE10hipError_tT0_T1_T2_jT3_P12ihipStream_tbPNSt15iterator_traitsISE_E10value_typeEPNSK_ISF_E10value_typeEPSG_NS1_7vsmem_tEENKUlT_SE_SF_SG_E_clIS8_S8_S9_S9_EESD_ST_SE_SF_SG_EUlST_E1_NS1_11comp_targetILNS1_3genE5ELNS1_11target_archE942ELNS1_3gpuE9ELNS1_3repE0EEENS1_36merge_oddeven_config_static_selectorELNS0_4arch9wavefront6targetE0EEEvSF_.has_dyn_sized_stack, 0
	.set _ZN7rocprim17ROCPRIM_400000_NS6detail17trampoline_kernelINS0_14default_configENS1_38merge_sort_block_merge_config_selectorItNS0_10empty_typeEEEZZNS1_27merge_sort_block_merge_implIS3_PtPS5_jNS1_19radix_merge_compareILb0ELb1EtNS0_19identity_decomposerEEEEE10hipError_tT0_T1_T2_jT3_P12ihipStream_tbPNSt15iterator_traitsISE_E10value_typeEPNSK_ISF_E10value_typeEPSG_NS1_7vsmem_tEENKUlT_SE_SF_SG_E_clIS8_S8_S9_S9_EESD_ST_SE_SF_SG_EUlST_E1_NS1_11comp_targetILNS1_3genE5ELNS1_11target_archE942ELNS1_3gpuE9ELNS1_3repE0EEENS1_36merge_oddeven_config_static_selectorELNS0_4arch9wavefront6targetE0EEEvSF_.has_recursion, 0
	.set _ZN7rocprim17ROCPRIM_400000_NS6detail17trampoline_kernelINS0_14default_configENS1_38merge_sort_block_merge_config_selectorItNS0_10empty_typeEEEZZNS1_27merge_sort_block_merge_implIS3_PtPS5_jNS1_19radix_merge_compareILb0ELb1EtNS0_19identity_decomposerEEEEE10hipError_tT0_T1_T2_jT3_P12ihipStream_tbPNSt15iterator_traitsISE_E10value_typeEPNSK_ISF_E10value_typeEPSG_NS1_7vsmem_tEENKUlT_SE_SF_SG_E_clIS8_S8_S9_S9_EESD_ST_SE_SF_SG_EUlST_E1_NS1_11comp_targetILNS1_3genE5ELNS1_11target_archE942ELNS1_3gpuE9ELNS1_3repE0EEENS1_36merge_oddeven_config_static_selectorELNS0_4arch9wavefront6targetE0EEEvSF_.has_indirect_call, 0
	.section	.AMDGPU.csdata,"",@progbits
; Kernel info:
; codeLenInByte = 0
; TotalNumSgprs: 0
; NumVgprs: 0
; ScratchSize: 0
; MemoryBound: 0
; FloatMode: 240
; IeeeMode: 1
; LDSByteSize: 0 bytes/workgroup (compile time only)
; SGPRBlocks: 0
; VGPRBlocks: 0
; NumSGPRsForWavesPerEU: 1
; NumVGPRsForWavesPerEU: 1
; NamedBarCnt: 0
; Occupancy: 16
; WaveLimiterHint : 0
; COMPUTE_PGM_RSRC2:SCRATCH_EN: 0
; COMPUTE_PGM_RSRC2:USER_SGPR: 2
; COMPUTE_PGM_RSRC2:TRAP_HANDLER: 0
; COMPUTE_PGM_RSRC2:TGID_X_EN: 1
; COMPUTE_PGM_RSRC2:TGID_Y_EN: 0
; COMPUTE_PGM_RSRC2:TGID_Z_EN: 0
; COMPUTE_PGM_RSRC2:TIDIG_COMP_CNT: 0
	.section	.text._ZN7rocprim17ROCPRIM_400000_NS6detail17trampoline_kernelINS0_14default_configENS1_38merge_sort_block_merge_config_selectorItNS0_10empty_typeEEEZZNS1_27merge_sort_block_merge_implIS3_PtPS5_jNS1_19radix_merge_compareILb0ELb1EtNS0_19identity_decomposerEEEEE10hipError_tT0_T1_T2_jT3_P12ihipStream_tbPNSt15iterator_traitsISE_E10value_typeEPNSK_ISF_E10value_typeEPSG_NS1_7vsmem_tEENKUlT_SE_SF_SG_E_clIS8_S8_S9_S9_EESD_ST_SE_SF_SG_EUlST_E1_NS1_11comp_targetILNS1_3genE4ELNS1_11target_archE910ELNS1_3gpuE8ELNS1_3repE0EEENS1_36merge_oddeven_config_static_selectorELNS0_4arch9wavefront6targetE0EEEvSF_,"axG",@progbits,_ZN7rocprim17ROCPRIM_400000_NS6detail17trampoline_kernelINS0_14default_configENS1_38merge_sort_block_merge_config_selectorItNS0_10empty_typeEEEZZNS1_27merge_sort_block_merge_implIS3_PtPS5_jNS1_19radix_merge_compareILb0ELb1EtNS0_19identity_decomposerEEEEE10hipError_tT0_T1_T2_jT3_P12ihipStream_tbPNSt15iterator_traitsISE_E10value_typeEPNSK_ISF_E10value_typeEPSG_NS1_7vsmem_tEENKUlT_SE_SF_SG_E_clIS8_S8_S9_S9_EESD_ST_SE_SF_SG_EUlST_E1_NS1_11comp_targetILNS1_3genE4ELNS1_11target_archE910ELNS1_3gpuE8ELNS1_3repE0EEENS1_36merge_oddeven_config_static_selectorELNS0_4arch9wavefront6targetE0EEEvSF_,comdat
	.protected	_ZN7rocprim17ROCPRIM_400000_NS6detail17trampoline_kernelINS0_14default_configENS1_38merge_sort_block_merge_config_selectorItNS0_10empty_typeEEEZZNS1_27merge_sort_block_merge_implIS3_PtPS5_jNS1_19radix_merge_compareILb0ELb1EtNS0_19identity_decomposerEEEEE10hipError_tT0_T1_T2_jT3_P12ihipStream_tbPNSt15iterator_traitsISE_E10value_typeEPNSK_ISF_E10value_typeEPSG_NS1_7vsmem_tEENKUlT_SE_SF_SG_E_clIS8_S8_S9_S9_EESD_ST_SE_SF_SG_EUlST_E1_NS1_11comp_targetILNS1_3genE4ELNS1_11target_archE910ELNS1_3gpuE8ELNS1_3repE0EEENS1_36merge_oddeven_config_static_selectorELNS0_4arch9wavefront6targetE0EEEvSF_ ; -- Begin function _ZN7rocprim17ROCPRIM_400000_NS6detail17trampoline_kernelINS0_14default_configENS1_38merge_sort_block_merge_config_selectorItNS0_10empty_typeEEEZZNS1_27merge_sort_block_merge_implIS3_PtPS5_jNS1_19radix_merge_compareILb0ELb1EtNS0_19identity_decomposerEEEEE10hipError_tT0_T1_T2_jT3_P12ihipStream_tbPNSt15iterator_traitsISE_E10value_typeEPNSK_ISF_E10value_typeEPSG_NS1_7vsmem_tEENKUlT_SE_SF_SG_E_clIS8_S8_S9_S9_EESD_ST_SE_SF_SG_EUlST_E1_NS1_11comp_targetILNS1_3genE4ELNS1_11target_archE910ELNS1_3gpuE8ELNS1_3repE0EEENS1_36merge_oddeven_config_static_selectorELNS0_4arch9wavefront6targetE0EEEvSF_
	.globl	_ZN7rocprim17ROCPRIM_400000_NS6detail17trampoline_kernelINS0_14default_configENS1_38merge_sort_block_merge_config_selectorItNS0_10empty_typeEEEZZNS1_27merge_sort_block_merge_implIS3_PtPS5_jNS1_19radix_merge_compareILb0ELb1EtNS0_19identity_decomposerEEEEE10hipError_tT0_T1_T2_jT3_P12ihipStream_tbPNSt15iterator_traitsISE_E10value_typeEPNSK_ISF_E10value_typeEPSG_NS1_7vsmem_tEENKUlT_SE_SF_SG_E_clIS8_S8_S9_S9_EESD_ST_SE_SF_SG_EUlST_E1_NS1_11comp_targetILNS1_3genE4ELNS1_11target_archE910ELNS1_3gpuE8ELNS1_3repE0EEENS1_36merge_oddeven_config_static_selectorELNS0_4arch9wavefront6targetE0EEEvSF_
	.p2align	8
	.type	_ZN7rocprim17ROCPRIM_400000_NS6detail17trampoline_kernelINS0_14default_configENS1_38merge_sort_block_merge_config_selectorItNS0_10empty_typeEEEZZNS1_27merge_sort_block_merge_implIS3_PtPS5_jNS1_19radix_merge_compareILb0ELb1EtNS0_19identity_decomposerEEEEE10hipError_tT0_T1_T2_jT3_P12ihipStream_tbPNSt15iterator_traitsISE_E10value_typeEPNSK_ISF_E10value_typeEPSG_NS1_7vsmem_tEENKUlT_SE_SF_SG_E_clIS8_S8_S9_S9_EESD_ST_SE_SF_SG_EUlST_E1_NS1_11comp_targetILNS1_3genE4ELNS1_11target_archE910ELNS1_3gpuE8ELNS1_3repE0EEENS1_36merge_oddeven_config_static_selectorELNS0_4arch9wavefront6targetE0EEEvSF_,@function
_ZN7rocprim17ROCPRIM_400000_NS6detail17trampoline_kernelINS0_14default_configENS1_38merge_sort_block_merge_config_selectorItNS0_10empty_typeEEEZZNS1_27merge_sort_block_merge_implIS3_PtPS5_jNS1_19radix_merge_compareILb0ELb1EtNS0_19identity_decomposerEEEEE10hipError_tT0_T1_T2_jT3_P12ihipStream_tbPNSt15iterator_traitsISE_E10value_typeEPNSK_ISF_E10value_typeEPSG_NS1_7vsmem_tEENKUlT_SE_SF_SG_E_clIS8_S8_S9_S9_EESD_ST_SE_SF_SG_EUlST_E1_NS1_11comp_targetILNS1_3genE4ELNS1_11target_archE910ELNS1_3gpuE8ELNS1_3repE0EEENS1_36merge_oddeven_config_static_selectorELNS0_4arch9wavefront6targetE0EEEvSF_: ; @_ZN7rocprim17ROCPRIM_400000_NS6detail17trampoline_kernelINS0_14default_configENS1_38merge_sort_block_merge_config_selectorItNS0_10empty_typeEEEZZNS1_27merge_sort_block_merge_implIS3_PtPS5_jNS1_19radix_merge_compareILb0ELb1EtNS0_19identity_decomposerEEEEE10hipError_tT0_T1_T2_jT3_P12ihipStream_tbPNSt15iterator_traitsISE_E10value_typeEPNSK_ISF_E10value_typeEPSG_NS1_7vsmem_tEENKUlT_SE_SF_SG_E_clIS8_S8_S9_S9_EESD_ST_SE_SF_SG_EUlST_E1_NS1_11comp_targetILNS1_3genE4ELNS1_11target_archE910ELNS1_3gpuE8ELNS1_3repE0EEENS1_36merge_oddeven_config_static_selectorELNS0_4arch9wavefront6targetE0EEEvSF_
; %bb.0:
	.section	.rodata,"a",@progbits
	.p2align	6, 0x0
	.amdhsa_kernel _ZN7rocprim17ROCPRIM_400000_NS6detail17trampoline_kernelINS0_14default_configENS1_38merge_sort_block_merge_config_selectorItNS0_10empty_typeEEEZZNS1_27merge_sort_block_merge_implIS3_PtPS5_jNS1_19radix_merge_compareILb0ELb1EtNS0_19identity_decomposerEEEEE10hipError_tT0_T1_T2_jT3_P12ihipStream_tbPNSt15iterator_traitsISE_E10value_typeEPNSK_ISF_E10value_typeEPSG_NS1_7vsmem_tEENKUlT_SE_SF_SG_E_clIS8_S8_S9_S9_EESD_ST_SE_SF_SG_EUlST_E1_NS1_11comp_targetILNS1_3genE4ELNS1_11target_archE910ELNS1_3gpuE8ELNS1_3repE0EEENS1_36merge_oddeven_config_static_selectorELNS0_4arch9wavefront6targetE0EEEvSF_
		.amdhsa_group_segment_fixed_size 0
		.amdhsa_private_segment_fixed_size 0
		.amdhsa_kernarg_size 48
		.amdhsa_user_sgpr_count 2
		.amdhsa_user_sgpr_dispatch_ptr 0
		.amdhsa_user_sgpr_queue_ptr 0
		.amdhsa_user_sgpr_kernarg_segment_ptr 1
		.amdhsa_user_sgpr_dispatch_id 0
		.amdhsa_user_sgpr_kernarg_preload_length 0
		.amdhsa_user_sgpr_kernarg_preload_offset 0
		.amdhsa_user_sgpr_private_segment_size 0
		.amdhsa_wavefront_size32 1
		.amdhsa_uses_dynamic_stack 0
		.amdhsa_enable_private_segment 0
		.amdhsa_system_sgpr_workgroup_id_x 1
		.amdhsa_system_sgpr_workgroup_id_y 0
		.amdhsa_system_sgpr_workgroup_id_z 0
		.amdhsa_system_sgpr_workgroup_info 0
		.amdhsa_system_vgpr_workitem_id 0
		.amdhsa_next_free_vgpr 1
		.amdhsa_next_free_sgpr 1
		.amdhsa_named_barrier_count 0
		.amdhsa_reserve_vcc 0
		.amdhsa_float_round_mode_32 0
		.amdhsa_float_round_mode_16_64 0
		.amdhsa_float_denorm_mode_32 3
		.amdhsa_float_denorm_mode_16_64 3
		.amdhsa_fp16_overflow 0
		.amdhsa_memory_ordered 1
		.amdhsa_forward_progress 1
		.amdhsa_inst_pref_size 0
		.amdhsa_round_robin_scheduling 0
		.amdhsa_exception_fp_ieee_invalid_op 0
		.amdhsa_exception_fp_denorm_src 0
		.amdhsa_exception_fp_ieee_div_zero 0
		.amdhsa_exception_fp_ieee_overflow 0
		.amdhsa_exception_fp_ieee_underflow 0
		.amdhsa_exception_fp_ieee_inexact 0
		.amdhsa_exception_int_div_zero 0
	.end_amdhsa_kernel
	.section	.text._ZN7rocprim17ROCPRIM_400000_NS6detail17trampoline_kernelINS0_14default_configENS1_38merge_sort_block_merge_config_selectorItNS0_10empty_typeEEEZZNS1_27merge_sort_block_merge_implIS3_PtPS5_jNS1_19radix_merge_compareILb0ELb1EtNS0_19identity_decomposerEEEEE10hipError_tT0_T1_T2_jT3_P12ihipStream_tbPNSt15iterator_traitsISE_E10value_typeEPNSK_ISF_E10value_typeEPSG_NS1_7vsmem_tEENKUlT_SE_SF_SG_E_clIS8_S8_S9_S9_EESD_ST_SE_SF_SG_EUlST_E1_NS1_11comp_targetILNS1_3genE4ELNS1_11target_archE910ELNS1_3gpuE8ELNS1_3repE0EEENS1_36merge_oddeven_config_static_selectorELNS0_4arch9wavefront6targetE0EEEvSF_,"axG",@progbits,_ZN7rocprim17ROCPRIM_400000_NS6detail17trampoline_kernelINS0_14default_configENS1_38merge_sort_block_merge_config_selectorItNS0_10empty_typeEEEZZNS1_27merge_sort_block_merge_implIS3_PtPS5_jNS1_19radix_merge_compareILb0ELb1EtNS0_19identity_decomposerEEEEE10hipError_tT0_T1_T2_jT3_P12ihipStream_tbPNSt15iterator_traitsISE_E10value_typeEPNSK_ISF_E10value_typeEPSG_NS1_7vsmem_tEENKUlT_SE_SF_SG_E_clIS8_S8_S9_S9_EESD_ST_SE_SF_SG_EUlST_E1_NS1_11comp_targetILNS1_3genE4ELNS1_11target_archE910ELNS1_3gpuE8ELNS1_3repE0EEENS1_36merge_oddeven_config_static_selectorELNS0_4arch9wavefront6targetE0EEEvSF_,comdat
.Lfunc_end2474:
	.size	_ZN7rocprim17ROCPRIM_400000_NS6detail17trampoline_kernelINS0_14default_configENS1_38merge_sort_block_merge_config_selectorItNS0_10empty_typeEEEZZNS1_27merge_sort_block_merge_implIS3_PtPS5_jNS1_19radix_merge_compareILb0ELb1EtNS0_19identity_decomposerEEEEE10hipError_tT0_T1_T2_jT3_P12ihipStream_tbPNSt15iterator_traitsISE_E10value_typeEPNSK_ISF_E10value_typeEPSG_NS1_7vsmem_tEENKUlT_SE_SF_SG_E_clIS8_S8_S9_S9_EESD_ST_SE_SF_SG_EUlST_E1_NS1_11comp_targetILNS1_3genE4ELNS1_11target_archE910ELNS1_3gpuE8ELNS1_3repE0EEENS1_36merge_oddeven_config_static_selectorELNS0_4arch9wavefront6targetE0EEEvSF_, .Lfunc_end2474-_ZN7rocprim17ROCPRIM_400000_NS6detail17trampoline_kernelINS0_14default_configENS1_38merge_sort_block_merge_config_selectorItNS0_10empty_typeEEEZZNS1_27merge_sort_block_merge_implIS3_PtPS5_jNS1_19radix_merge_compareILb0ELb1EtNS0_19identity_decomposerEEEEE10hipError_tT0_T1_T2_jT3_P12ihipStream_tbPNSt15iterator_traitsISE_E10value_typeEPNSK_ISF_E10value_typeEPSG_NS1_7vsmem_tEENKUlT_SE_SF_SG_E_clIS8_S8_S9_S9_EESD_ST_SE_SF_SG_EUlST_E1_NS1_11comp_targetILNS1_3genE4ELNS1_11target_archE910ELNS1_3gpuE8ELNS1_3repE0EEENS1_36merge_oddeven_config_static_selectorELNS0_4arch9wavefront6targetE0EEEvSF_
                                        ; -- End function
	.set _ZN7rocprim17ROCPRIM_400000_NS6detail17trampoline_kernelINS0_14default_configENS1_38merge_sort_block_merge_config_selectorItNS0_10empty_typeEEEZZNS1_27merge_sort_block_merge_implIS3_PtPS5_jNS1_19radix_merge_compareILb0ELb1EtNS0_19identity_decomposerEEEEE10hipError_tT0_T1_T2_jT3_P12ihipStream_tbPNSt15iterator_traitsISE_E10value_typeEPNSK_ISF_E10value_typeEPSG_NS1_7vsmem_tEENKUlT_SE_SF_SG_E_clIS8_S8_S9_S9_EESD_ST_SE_SF_SG_EUlST_E1_NS1_11comp_targetILNS1_3genE4ELNS1_11target_archE910ELNS1_3gpuE8ELNS1_3repE0EEENS1_36merge_oddeven_config_static_selectorELNS0_4arch9wavefront6targetE0EEEvSF_.num_vgpr, 0
	.set _ZN7rocprim17ROCPRIM_400000_NS6detail17trampoline_kernelINS0_14default_configENS1_38merge_sort_block_merge_config_selectorItNS0_10empty_typeEEEZZNS1_27merge_sort_block_merge_implIS3_PtPS5_jNS1_19radix_merge_compareILb0ELb1EtNS0_19identity_decomposerEEEEE10hipError_tT0_T1_T2_jT3_P12ihipStream_tbPNSt15iterator_traitsISE_E10value_typeEPNSK_ISF_E10value_typeEPSG_NS1_7vsmem_tEENKUlT_SE_SF_SG_E_clIS8_S8_S9_S9_EESD_ST_SE_SF_SG_EUlST_E1_NS1_11comp_targetILNS1_3genE4ELNS1_11target_archE910ELNS1_3gpuE8ELNS1_3repE0EEENS1_36merge_oddeven_config_static_selectorELNS0_4arch9wavefront6targetE0EEEvSF_.num_agpr, 0
	.set _ZN7rocprim17ROCPRIM_400000_NS6detail17trampoline_kernelINS0_14default_configENS1_38merge_sort_block_merge_config_selectorItNS0_10empty_typeEEEZZNS1_27merge_sort_block_merge_implIS3_PtPS5_jNS1_19radix_merge_compareILb0ELb1EtNS0_19identity_decomposerEEEEE10hipError_tT0_T1_T2_jT3_P12ihipStream_tbPNSt15iterator_traitsISE_E10value_typeEPNSK_ISF_E10value_typeEPSG_NS1_7vsmem_tEENKUlT_SE_SF_SG_E_clIS8_S8_S9_S9_EESD_ST_SE_SF_SG_EUlST_E1_NS1_11comp_targetILNS1_3genE4ELNS1_11target_archE910ELNS1_3gpuE8ELNS1_3repE0EEENS1_36merge_oddeven_config_static_selectorELNS0_4arch9wavefront6targetE0EEEvSF_.numbered_sgpr, 0
	.set _ZN7rocprim17ROCPRIM_400000_NS6detail17trampoline_kernelINS0_14default_configENS1_38merge_sort_block_merge_config_selectorItNS0_10empty_typeEEEZZNS1_27merge_sort_block_merge_implIS3_PtPS5_jNS1_19radix_merge_compareILb0ELb1EtNS0_19identity_decomposerEEEEE10hipError_tT0_T1_T2_jT3_P12ihipStream_tbPNSt15iterator_traitsISE_E10value_typeEPNSK_ISF_E10value_typeEPSG_NS1_7vsmem_tEENKUlT_SE_SF_SG_E_clIS8_S8_S9_S9_EESD_ST_SE_SF_SG_EUlST_E1_NS1_11comp_targetILNS1_3genE4ELNS1_11target_archE910ELNS1_3gpuE8ELNS1_3repE0EEENS1_36merge_oddeven_config_static_selectorELNS0_4arch9wavefront6targetE0EEEvSF_.num_named_barrier, 0
	.set _ZN7rocprim17ROCPRIM_400000_NS6detail17trampoline_kernelINS0_14default_configENS1_38merge_sort_block_merge_config_selectorItNS0_10empty_typeEEEZZNS1_27merge_sort_block_merge_implIS3_PtPS5_jNS1_19radix_merge_compareILb0ELb1EtNS0_19identity_decomposerEEEEE10hipError_tT0_T1_T2_jT3_P12ihipStream_tbPNSt15iterator_traitsISE_E10value_typeEPNSK_ISF_E10value_typeEPSG_NS1_7vsmem_tEENKUlT_SE_SF_SG_E_clIS8_S8_S9_S9_EESD_ST_SE_SF_SG_EUlST_E1_NS1_11comp_targetILNS1_3genE4ELNS1_11target_archE910ELNS1_3gpuE8ELNS1_3repE0EEENS1_36merge_oddeven_config_static_selectorELNS0_4arch9wavefront6targetE0EEEvSF_.private_seg_size, 0
	.set _ZN7rocprim17ROCPRIM_400000_NS6detail17trampoline_kernelINS0_14default_configENS1_38merge_sort_block_merge_config_selectorItNS0_10empty_typeEEEZZNS1_27merge_sort_block_merge_implIS3_PtPS5_jNS1_19radix_merge_compareILb0ELb1EtNS0_19identity_decomposerEEEEE10hipError_tT0_T1_T2_jT3_P12ihipStream_tbPNSt15iterator_traitsISE_E10value_typeEPNSK_ISF_E10value_typeEPSG_NS1_7vsmem_tEENKUlT_SE_SF_SG_E_clIS8_S8_S9_S9_EESD_ST_SE_SF_SG_EUlST_E1_NS1_11comp_targetILNS1_3genE4ELNS1_11target_archE910ELNS1_3gpuE8ELNS1_3repE0EEENS1_36merge_oddeven_config_static_selectorELNS0_4arch9wavefront6targetE0EEEvSF_.uses_vcc, 0
	.set _ZN7rocprim17ROCPRIM_400000_NS6detail17trampoline_kernelINS0_14default_configENS1_38merge_sort_block_merge_config_selectorItNS0_10empty_typeEEEZZNS1_27merge_sort_block_merge_implIS3_PtPS5_jNS1_19radix_merge_compareILb0ELb1EtNS0_19identity_decomposerEEEEE10hipError_tT0_T1_T2_jT3_P12ihipStream_tbPNSt15iterator_traitsISE_E10value_typeEPNSK_ISF_E10value_typeEPSG_NS1_7vsmem_tEENKUlT_SE_SF_SG_E_clIS8_S8_S9_S9_EESD_ST_SE_SF_SG_EUlST_E1_NS1_11comp_targetILNS1_3genE4ELNS1_11target_archE910ELNS1_3gpuE8ELNS1_3repE0EEENS1_36merge_oddeven_config_static_selectorELNS0_4arch9wavefront6targetE0EEEvSF_.uses_flat_scratch, 0
	.set _ZN7rocprim17ROCPRIM_400000_NS6detail17trampoline_kernelINS0_14default_configENS1_38merge_sort_block_merge_config_selectorItNS0_10empty_typeEEEZZNS1_27merge_sort_block_merge_implIS3_PtPS5_jNS1_19radix_merge_compareILb0ELb1EtNS0_19identity_decomposerEEEEE10hipError_tT0_T1_T2_jT3_P12ihipStream_tbPNSt15iterator_traitsISE_E10value_typeEPNSK_ISF_E10value_typeEPSG_NS1_7vsmem_tEENKUlT_SE_SF_SG_E_clIS8_S8_S9_S9_EESD_ST_SE_SF_SG_EUlST_E1_NS1_11comp_targetILNS1_3genE4ELNS1_11target_archE910ELNS1_3gpuE8ELNS1_3repE0EEENS1_36merge_oddeven_config_static_selectorELNS0_4arch9wavefront6targetE0EEEvSF_.has_dyn_sized_stack, 0
	.set _ZN7rocprim17ROCPRIM_400000_NS6detail17trampoline_kernelINS0_14default_configENS1_38merge_sort_block_merge_config_selectorItNS0_10empty_typeEEEZZNS1_27merge_sort_block_merge_implIS3_PtPS5_jNS1_19radix_merge_compareILb0ELb1EtNS0_19identity_decomposerEEEEE10hipError_tT0_T1_T2_jT3_P12ihipStream_tbPNSt15iterator_traitsISE_E10value_typeEPNSK_ISF_E10value_typeEPSG_NS1_7vsmem_tEENKUlT_SE_SF_SG_E_clIS8_S8_S9_S9_EESD_ST_SE_SF_SG_EUlST_E1_NS1_11comp_targetILNS1_3genE4ELNS1_11target_archE910ELNS1_3gpuE8ELNS1_3repE0EEENS1_36merge_oddeven_config_static_selectorELNS0_4arch9wavefront6targetE0EEEvSF_.has_recursion, 0
	.set _ZN7rocprim17ROCPRIM_400000_NS6detail17trampoline_kernelINS0_14default_configENS1_38merge_sort_block_merge_config_selectorItNS0_10empty_typeEEEZZNS1_27merge_sort_block_merge_implIS3_PtPS5_jNS1_19radix_merge_compareILb0ELb1EtNS0_19identity_decomposerEEEEE10hipError_tT0_T1_T2_jT3_P12ihipStream_tbPNSt15iterator_traitsISE_E10value_typeEPNSK_ISF_E10value_typeEPSG_NS1_7vsmem_tEENKUlT_SE_SF_SG_E_clIS8_S8_S9_S9_EESD_ST_SE_SF_SG_EUlST_E1_NS1_11comp_targetILNS1_3genE4ELNS1_11target_archE910ELNS1_3gpuE8ELNS1_3repE0EEENS1_36merge_oddeven_config_static_selectorELNS0_4arch9wavefront6targetE0EEEvSF_.has_indirect_call, 0
	.section	.AMDGPU.csdata,"",@progbits
; Kernel info:
; codeLenInByte = 0
; TotalNumSgprs: 0
; NumVgprs: 0
; ScratchSize: 0
; MemoryBound: 0
; FloatMode: 240
; IeeeMode: 1
; LDSByteSize: 0 bytes/workgroup (compile time only)
; SGPRBlocks: 0
; VGPRBlocks: 0
; NumSGPRsForWavesPerEU: 1
; NumVGPRsForWavesPerEU: 1
; NamedBarCnt: 0
; Occupancy: 16
; WaveLimiterHint : 0
; COMPUTE_PGM_RSRC2:SCRATCH_EN: 0
; COMPUTE_PGM_RSRC2:USER_SGPR: 2
; COMPUTE_PGM_RSRC2:TRAP_HANDLER: 0
; COMPUTE_PGM_RSRC2:TGID_X_EN: 1
; COMPUTE_PGM_RSRC2:TGID_Y_EN: 0
; COMPUTE_PGM_RSRC2:TGID_Z_EN: 0
; COMPUTE_PGM_RSRC2:TIDIG_COMP_CNT: 0
	.section	.text._ZN7rocprim17ROCPRIM_400000_NS6detail17trampoline_kernelINS0_14default_configENS1_38merge_sort_block_merge_config_selectorItNS0_10empty_typeEEEZZNS1_27merge_sort_block_merge_implIS3_PtPS5_jNS1_19radix_merge_compareILb0ELb1EtNS0_19identity_decomposerEEEEE10hipError_tT0_T1_T2_jT3_P12ihipStream_tbPNSt15iterator_traitsISE_E10value_typeEPNSK_ISF_E10value_typeEPSG_NS1_7vsmem_tEENKUlT_SE_SF_SG_E_clIS8_S8_S9_S9_EESD_ST_SE_SF_SG_EUlST_E1_NS1_11comp_targetILNS1_3genE3ELNS1_11target_archE908ELNS1_3gpuE7ELNS1_3repE0EEENS1_36merge_oddeven_config_static_selectorELNS0_4arch9wavefront6targetE0EEEvSF_,"axG",@progbits,_ZN7rocprim17ROCPRIM_400000_NS6detail17trampoline_kernelINS0_14default_configENS1_38merge_sort_block_merge_config_selectorItNS0_10empty_typeEEEZZNS1_27merge_sort_block_merge_implIS3_PtPS5_jNS1_19radix_merge_compareILb0ELb1EtNS0_19identity_decomposerEEEEE10hipError_tT0_T1_T2_jT3_P12ihipStream_tbPNSt15iterator_traitsISE_E10value_typeEPNSK_ISF_E10value_typeEPSG_NS1_7vsmem_tEENKUlT_SE_SF_SG_E_clIS8_S8_S9_S9_EESD_ST_SE_SF_SG_EUlST_E1_NS1_11comp_targetILNS1_3genE3ELNS1_11target_archE908ELNS1_3gpuE7ELNS1_3repE0EEENS1_36merge_oddeven_config_static_selectorELNS0_4arch9wavefront6targetE0EEEvSF_,comdat
	.protected	_ZN7rocprim17ROCPRIM_400000_NS6detail17trampoline_kernelINS0_14default_configENS1_38merge_sort_block_merge_config_selectorItNS0_10empty_typeEEEZZNS1_27merge_sort_block_merge_implIS3_PtPS5_jNS1_19radix_merge_compareILb0ELb1EtNS0_19identity_decomposerEEEEE10hipError_tT0_T1_T2_jT3_P12ihipStream_tbPNSt15iterator_traitsISE_E10value_typeEPNSK_ISF_E10value_typeEPSG_NS1_7vsmem_tEENKUlT_SE_SF_SG_E_clIS8_S8_S9_S9_EESD_ST_SE_SF_SG_EUlST_E1_NS1_11comp_targetILNS1_3genE3ELNS1_11target_archE908ELNS1_3gpuE7ELNS1_3repE0EEENS1_36merge_oddeven_config_static_selectorELNS0_4arch9wavefront6targetE0EEEvSF_ ; -- Begin function _ZN7rocprim17ROCPRIM_400000_NS6detail17trampoline_kernelINS0_14default_configENS1_38merge_sort_block_merge_config_selectorItNS0_10empty_typeEEEZZNS1_27merge_sort_block_merge_implIS3_PtPS5_jNS1_19radix_merge_compareILb0ELb1EtNS0_19identity_decomposerEEEEE10hipError_tT0_T1_T2_jT3_P12ihipStream_tbPNSt15iterator_traitsISE_E10value_typeEPNSK_ISF_E10value_typeEPSG_NS1_7vsmem_tEENKUlT_SE_SF_SG_E_clIS8_S8_S9_S9_EESD_ST_SE_SF_SG_EUlST_E1_NS1_11comp_targetILNS1_3genE3ELNS1_11target_archE908ELNS1_3gpuE7ELNS1_3repE0EEENS1_36merge_oddeven_config_static_selectorELNS0_4arch9wavefront6targetE0EEEvSF_
	.globl	_ZN7rocprim17ROCPRIM_400000_NS6detail17trampoline_kernelINS0_14default_configENS1_38merge_sort_block_merge_config_selectorItNS0_10empty_typeEEEZZNS1_27merge_sort_block_merge_implIS3_PtPS5_jNS1_19radix_merge_compareILb0ELb1EtNS0_19identity_decomposerEEEEE10hipError_tT0_T1_T2_jT3_P12ihipStream_tbPNSt15iterator_traitsISE_E10value_typeEPNSK_ISF_E10value_typeEPSG_NS1_7vsmem_tEENKUlT_SE_SF_SG_E_clIS8_S8_S9_S9_EESD_ST_SE_SF_SG_EUlST_E1_NS1_11comp_targetILNS1_3genE3ELNS1_11target_archE908ELNS1_3gpuE7ELNS1_3repE0EEENS1_36merge_oddeven_config_static_selectorELNS0_4arch9wavefront6targetE0EEEvSF_
	.p2align	8
	.type	_ZN7rocprim17ROCPRIM_400000_NS6detail17trampoline_kernelINS0_14default_configENS1_38merge_sort_block_merge_config_selectorItNS0_10empty_typeEEEZZNS1_27merge_sort_block_merge_implIS3_PtPS5_jNS1_19radix_merge_compareILb0ELb1EtNS0_19identity_decomposerEEEEE10hipError_tT0_T1_T2_jT3_P12ihipStream_tbPNSt15iterator_traitsISE_E10value_typeEPNSK_ISF_E10value_typeEPSG_NS1_7vsmem_tEENKUlT_SE_SF_SG_E_clIS8_S8_S9_S9_EESD_ST_SE_SF_SG_EUlST_E1_NS1_11comp_targetILNS1_3genE3ELNS1_11target_archE908ELNS1_3gpuE7ELNS1_3repE0EEENS1_36merge_oddeven_config_static_selectorELNS0_4arch9wavefront6targetE0EEEvSF_,@function
_ZN7rocprim17ROCPRIM_400000_NS6detail17trampoline_kernelINS0_14default_configENS1_38merge_sort_block_merge_config_selectorItNS0_10empty_typeEEEZZNS1_27merge_sort_block_merge_implIS3_PtPS5_jNS1_19radix_merge_compareILb0ELb1EtNS0_19identity_decomposerEEEEE10hipError_tT0_T1_T2_jT3_P12ihipStream_tbPNSt15iterator_traitsISE_E10value_typeEPNSK_ISF_E10value_typeEPSG_NS1_7vsmem_tEENKUlT_SE_SF_SG_E_clIS8_S8_S9_S9_EESD_ST_SE_SF_SG_EUlST_E1_NS1_11comp_targetILNS1_3genE3ELNS1_11target_archE908ELNS1_3gpuE7ELNS1_3repE0EEENS1_36merge_oddeven_config_static_selectorELNS0_4arch9wavefront6targetE0EEEvSF_: ; @_ZN7rocprim17ROCPRIM_400000_NS6detail17trampoline_kernelINS0_14default_configENS1_38merge_sort_block_merge_config_selectorItNS0_10empty_typeEEEZZNS1_27merge_sort_block_merge_implIS3_PtPS5_jNS1_19radix_merge_compareILb0ELb1EtNS0_19identity_decomposerEEEEE10hipError_tT0_T1_T2_jT3_P12ihipStream_tbPNSt15iterator_traitsISE_E10value_typeEPNSK_ISF_E10value_typeEPSG_NS1_7vsmem_tEENKUlT_SE_SF_SG_E_clIS8_S8_S9_S9_EESD_ST_SE_SF_SG_EUlST_E1_NS1_11comp_targetILNS1_3genE3ELNS1_11target_archE908ELNS1_3gpuE7ELNS1_3repE0EEENS1_36merge_oddeven_config_static_selectorELNS0_4arch9wavefront6targetE0EEEvSF_
; %bb.0:
	.section	.rodata,"a",@progbits
	.p2align	6, 0x0
	.amdhsa_kernel _ZN7rocprim17ROCPRIM_400000_NS6detail17trampoline_kernelINS0_14default_configENS1_38merge_sort_block_merge_config_selectorItNS0_10empty_typeEEEZZNS1_27merge_sort_block_merge_implIS3_PtPS5_jNS1_19radix_merge_compareILb0ELb1EtNS0_19identity_decomposerEEEEE10hipError_tT0_T1_T2_jT3_P12ihipStream_tbPNSt15iterator_traitsISE_E10value_typeEPNSK_ISF_E10value_typeEPSG_NS1_7vsmem_tEENKUlT_SE_SF_SG_E_clIS8_S8_S9_S9_EESD_ST_SE_SF_SG_EUlST_E1_NS1_11comp_targetILNS1_3genE3ELNS1_11target_archE908ELNS1_3gpuE7ELNS1_3repE0EEENS1_36merge_oddeven_config_static_selectorELNS0_4arch9wavefront6targetE0EEEvSF_
		.amdhsa_group_segment_fixed_size 0
		.amdhsa_private_segment_fixed_size 0
		.amdhsa_kernarg_size 48
		.amdhsa_user_sgpr_count 2
		.amdhsa_user_sgpr_dispatch_ptr 0
		.amdhsa_user_sgpr_queue_ptr 0
		.amdhsa_user_sgpr_kernarg_segment_ptr 1
		.amdhsa_user_sgpr_dispatch_id 0
		.amdhsa_user_sgpr_kernarg_preload_length 0
		.amdhsa_user_sgpr_kernarg_preload_offset 0
		.amdhsa_user_sgpr_private_segment_size 0
		.amdhsa_wavefront_size32 1
		.amdhsa_uses_dynamic_stack 0
		.amdhsa_enable_private_segment 0
		.amdhsa_system_sgpr_workgroup_id_x 1
		.amdhsa_system_sgpr_workgroup_id_y 0
		.amdhsa_system_sgpr_workgroup_id_z 0
		.amdhsa_system_sgpr_workgroup_info 0
		.amdhsa_system_vgpr_workitem_id 0
		.amdhsa_next_free_vgpr 1
		.amdhsa_next_free_sgpr 1
		.amdhsa_named_barrier_count 0
		.amdhsa_reserve_vcc 0
		.amdhsa_float_round_mode_32 0
		.amdhsa_float_round_mode_16_64 0
		.amdhsa_float_denorm_mode_32 3
		.amdhsa_float_denorm_mode_16_64 3
		.amdhsa_fp16_overflow 0
		.amdhsa_memory_ordered 1
		.amdhsa_forward_progress 1
		.amdhsa_inst_pref_size 0
		.amdhsa_round_robin_scheduling 0
		.amdhsa_exception_fp_ieee_invalid_op 0
		.amdhsa_exception_fp_denorm_src 0
		.amdhsa_exception_fp_ieee_div_zero 0
		.amdhsa_exception_fp_ieee_overflow 0
		.amdhsa_exception_fp_ieee_underflow 0
		.amdhsa_exception_fp_ieee_inexact 0
		.amdhsa_exception_int_div_zero 0
	.end_amdhsa_kernel
	.section	.text._ZN7rocprim17ROCPRIM_400000_NS6detail17trampoline_kernelINS0_14default_configENS1_38merge_sort_block_merge_config_selectorItNS0_10empty_typeEEEZZNS1_27merge_sort_block_merge_implIS3_PtPS5_jNS1_19radix_merge_compareILb0ELb1EtNS0_19identity_decomposerEEEEE10hipError_tT0_T1_T2_jT3_P12ihipStream_tbPNSt15iterator_traitsISE_E10value_typeEPNSK_ISF_E10value_typeEPSG_NS1_7vsmem_tEENKUlT_SE_SF_SG_E_clIS8_S8_S9_S9_EESD_ST_SE_SF_SG_EUlST_E1_NS1_11comp_targetILNS1_3genE3ELNS1_11target_archE908ELNS1_3gpuE7ELNS1_3repE0EEENS1_36merge_oddeven_config_static_selectorELNS0_4arch9wavefront6targetE0EEEvSF_,"axG",@progbits,_ZN7rocprim17ROCPRIM_400000_NS6detail17trampoline_kernelINS0_14default_configENS1_38merge_sort_block_merge_config_selectorItNS0_10empty_typeEEEZZNS1_27merge_sort_block_merge_implIS3_PtPS5_jNS1_19radix_merge_compareILb0ELb1EtNS0_19identity_decomposerEEEEE10hipError_tT0_T1_T2_jT3_P12ihipStream_tbPNSt15iterator_traitsISE_E10value_typeEPNSK_ISF_E10value_typeEPSG_NS1_7vsmem_tEENKUlT_SE_SF_SG_E_clIS8_S8_S9_S9_EESD_ST_SE_SF_SG_EUlST_E1_NS1_11comp_targetILNS1_3genE3ELNS1_11target_archE908ELNS1_3gpuE7ELNS1_3repE0EEENS1_36merge_oddeven_config_static_selectorELNS0_4arch9wavefront6targetE0EEEvSF_,comdat
.Lfunc_end2475:
	.size	_ZN7rocprim17ROCPRIM_400000_NS6detail17trampoline_kernelINS0_14default_configENS1_38merge_sort_block_merge_config_selectorItNS0_10empty_typeEEEZZNS1_27merge_sort_block_merge_implIS3_PtPS5_jNS1_19radix_merge_compareILb0ELb1EtNS0_19identity_decomposerEEEEE10hipError_tT0_T1_T2_jT3_P12ihipStream_tbPNSt15iterator_traitsISE_E10value_typeEPNSK_ISF_E10value_typeEPSG_NS1_7vsmem_tEENKUlT_SE_SF_SG_E_clIS8_S8_S9_S9_EESD_ST_SE_SF_SG_EUlST_E1_NS1_11comp_targetILNS1_3genE3ELNS1_11target_archE908ELNS1_3gpuE7ELNS1_3repE0EEENS1_36merge_oddeven_config_static_selectorELNS0_4arch9wavefront6targetE0EEEvSF_, .Lfunc_end2475-_ZN7rocprim17ROCPRIM_400000_NS6detail17trampoline_kernelINS0_14default_configENS1_38merge_sort_block_merge_config_selectorItNS0_10empty_typeEEEZZNS1_27merge_sort_block_merge_implIS3_PtPS5_jNS1_19radix_merge_compareILb0ELb1EtNS0_19identity_decomposerEEEEE10hipError_tT0_T1_T2_jT3_P12ihipStream_tbPNSt15iterator_traitsISE_E10value_typeEPNSK_ISF_E10value_typeEPSG_NS1_7vsmem_tEENKUlT_SE_SF_SG_E_clIS8_S8_S9_S9_EESD_ST_SE_SF_SG_EUlST_E1_NS1_11comp_targetILNS1_3genE3ELNS1_11target_archE908ELNS1_3gpuE7ELNS1_3repE0EEENS1_36merge_oddeven_config_static_selectorELNS0_4arch9wavefront6targetE0EEEvSF_
                                        ; -- End function
	.set _ZN7rocprim17ROCPRIM_400000_NS6detail17trampoline_kernelINS0_14default_configENS1_38merge_sort_block_merge_config_selectorItNS0_10empty_typeEEEZZNS1_27merge_sort_block_merge_implIS3_PtPS5_jNS1_19radix_merge_compareILb0ELb1EtNS0_19identity_decomposerEEEEE10hipError_tT0_T1_T2_jT3_P12ihipStream_tbPNSt15iterator_traitsISE_E10value_typeEPNSK_ISF_E10value_typeEPSG_NS1_7vsmem_tEENKUlT_SE_SF_SG_E_clIS8_S8_S9_S9_EESD_ST_SE_SF_SG_EUlST_E1_NS1_11comp_targetILNS1_3genE3ELNS1_11target_archE908ELNS1_3gpuE7ELNS1_3repE0EEENS1_36merge_oddeven_config_static_selectorELNS0_4arch9wavefront6targetE0EEEvSF_.num_vgpr, 0
	.set _ZN7rocprim17ROCPRIM_400000_NS6detail17trampoline_kernelINS0_14default_configENS1_38merge_sort_block_merge_config_selectorItNS0_10empty_typeEEEZZNS1_27merge_sort_block_merge_implIS3_PtPS5_jNS1_19radix_merge_compareILb0ELb1EtNS0_19identity_decomposerEEEEE10hipError_tT0_T1_T2_jT3_P12ihipStream_tbPNSt15iterator_traitsISE_E10value_typeEPNSK_ISF_E10value_typeEPSG_NS1_7vsmem_tEENKUlT_SE_SF_SG_E_clIS8_S8_S9_S9_EESD_ST_SE_SF_SG_EUlST_E1_NS1_11comp_targetILNS1_3genE3ELNS1_11target_archE908ELNS1_3gpuE7ELNS1_3repE0EEENS1_36merge_oddeven_config_static_selectorELNS0_4arch9wavefront6targetE0EEEvSF_.num_agpr, 0
	.set _ZN7rocprim17ROCPRIM_400000_NS6detail17trampoline_kernelINS0_14default_configENS1_38merge_sort_block_merge_config_selectorItNS0_10empty_typeEEEZZNS1_27merge_sort_block_merge_implIS3_PtPS5_jNS1_19radix_merge_compareILb0ELb1EtNS0_19identity_decomposerEEEEE10hipError_tT0_T1_T2_jT3_P12ihipStream_tbPNSt15iterator_traitsISE_E10value_typeEPNSK_ISF_E10value_typeEPSG_NS1_7vsmem_tEENKUlT_SE_SF_SG_E_clIS8_S8_S9_S9_EESD_ST_SE_SF_SG_EUlST_E1_NS1_11comp_targetILNS1_3genE3ELNS1_11target_archE908ELNS1_3gpuE7ELNS1_3repE0EEENS1_36merge_oddeven_config_static_selectorELNS0_4arch9wavefront6targetE0EEEvSF_.numbered_sgpr, 0
	.set _ZN7rocprim17ROCPRIM_400000_NS6detail17trampoline_kernelINS0_14default_configENS1_38merge_sort_block_merge_config_selectorItNS0_10empty_typeEEEZZNS1_27merge_sort_block_merge_implIS3_PtPS5_jNS1_19radix_merge_compareILb0ELb1EtNS0_19identity_decomposerEEEEE10hipError_tT0_T1_T2_jT3_P12ihipStream_tbPNSt15iterator_traitsISE_E10value_typeEPNSK_ISF_E10value_typeEPSG_NS1_7vsmem_tEENKUlT_SE_SF_SG_E_clIS8_S8_S9_S9_EESD_ST_SE_SF_SG_EUlST_E1_NS1_11comp_targetILNS1_3genE3ELNS1_11target_archE908ELNS1_3gpuE7ELNS1_3repE0EEENS1_36merge_oddeven_config_static_selectorELNS0_4arch9wavefront6targetE0EEEvSF_.num_named_barrier, 0
	.set _ZN7rocprim17ROCPRIM_400000_NS6detail17trampoline_kernelINS0_14default_configENS1_38merge_sort_block_merge_config_selectorItNS0_10empty_typeEEEZZNS1_27merge_sort_block_merge_implIS3_PtPS5_jNS1_19radix_merge_compareILb0ELb1EtNS0_19identity_decomposerEEEEE10hipError_tT0_T1_T2_jT3_P12ihipStream_tbPNSt15iterator_traitsISE_E10value_typeEPNSK_ISF_E10value_typeEPSG_NS1_7vsmem_tEENKUlT_SE_SF_SG_E_clIS8_S8_S9_S9_EESD_ST_SE_SF_SG_EUlST_E1_NS1_11comp_targetILNS1_3genE3ELNS1_11target_archE908ELNS1_3gpuE7ELNS1_3repE0EEENS1_36merge_oddeven_config_static_selectorELNS0_4arch9wavefront6targetE0EEEvSF_.private_seg_size, 0
	.set _ZN7rocprim17ROCPRIM_400000_NS6detail17trampoline_kernelINS0_14default_configENS1_38merge_sort_block_merge_config_selectorItNS0_10empty_typeEEEZZNS1_27merge_sort_block_merge_implIS3_PtPS5_jNS1_19radix_merge_compareILb0ELb1EtNS0_19identity_decomposerEEEEE10hipError_tT0_T1_T2_jT3_P12ihipStream_tbPNSt15iterator_traitsISE_E10value_typeEPNSK_ISF_E10value_typeEPSG_NS1_7vsmem_tEENKUlT_SE_SF_SG_E_clIS8_S8_S9_S9_EESD_ST_SE_SF_SG_EUlST_E1_NS1_11comp_targetILNS1_3genE3ELNS1_11target_archE908ELNS1_3gpuE7ELNS1_3repE0EEENS1_36merge_oddeven_config_static_selectorELNS0_4arch9wavefront6targetE0EEEvSF_.uses_vcc, 0
	.set _ZN7rocprim17ROCPRIM_400000_NS6detail17trampoline_kernelINS0_14default_configENS1_38merge_sort_block_merge_config_selectorItNS0_10empty_typeEEEZZNS1_27merge_sort_block_merge_implIS3_PtPS5_jNS1_19radix_merge_compareILb0ELb1EtNS0_19identity_decomposerEEEEE10hipError_tT0_T1_T2_jT3_P12ihipStream_tbPNSt15iterator_traitsISE_E10value_typeEPNSK_ISF_E10value_typeEPSG_NS1_7vsmem_tEENKUlT_SE_SF_SG_E_clIS8_S8_S9_S9_EESD_ST_SE_SF_SG_EUlST_E1_NS1_11comp_targetILNS1_3genE3ELNS1_11target_archE908ELNS1_3gpuE7ELNS1_3repE0EEENS1_36merge_oddeven_config_static_selectorELNS0_4arch9wavefront6targetE0EEEvSF_.uses_flat_scratch, 0
	.set _ZN7rocprim17ROCPRIM_400000_NS6detail17trampoline_kernelINS0_14default_configENS1_38merge_sort_block_merge_config_selectorItNS0_10empty_typeEEEZZNS1_27merge_sort_block_merge_implIS3_PtPS5_jNS1_19radix_merge_compareILb0ELb1EtNS0_19identity_decomposerEEEEE10hipError_tT0_T1_T2_jT3_P12ihipStream_tbPNSt15iterator_traitsISE_E10value_typeEPNSK_ISF_E10value_typeEPSG_NS1_7vsmem_tEENKUlT_SE_SF_SG_E_clIS8_S8_S9_S9_EESD_ST_SE_SF_SG_EUlST_E1_NS1_11comp_targetILNS1_3genE3ELNS1_11target_archE908ELNS1_3gpuE7ELNS1_3repE0EEENS1_36merge_oddeven_config_static_selectorELNS0_4arch9wavefront6targetE0EEEvSF_.has_dyn_sized_stack, 0
	.set _ZN7rocprim17ROCPRIM_400000_NS6detail17trampoline_kernelINS0_14default_configENS1_38merge_sort_block_merge_config_selectorItNS0_10empty_typeEEEZZNS1_27merge_sort_block_merge_implIS3_PtPS5_jNS1_19radix_merge_compareILb0ELb1EtNS0_19identity_decomposerEEEEE10hipError_tT0_T1_T2_jT3_P12ihipStream_tbPNSt15iterator_traitsISE_E10value_typeEPNSK_ISF_E10value_typeEPSG_NS1_7vsmem_tEENKUlT_SE_SF_SG_E_clIS8_S8_S9_S9_EESD_ST_SE_SF_SG_EUlST_E1_NS1_11comp_targetILNS1_3genE3ELNS1_11target_archE908ELNS1_3gpuE7ELNS1_3repE0EEENS1_36merge_oddeven_config_static_selectorELNS0_4arch9wavefront6targetE0EEEvSF_.has_recursion, 0
	.set _ZN7rocprim17ROCPRIM_400000_NS6detail17trampoline_kernelINS0_14default_configENS1_38merge_sort_block_merge_config_selectorItNS0_10empty_typeEEEZZNS1_27merge_sort_block_merge_implIS3_PtPS5_jNS1_19radix_merge_compareILb0ELb1EtNS0_19identity_decomposerEEEEE10hipError_tT0_T1_T2_jT3_P12ihipStream_tbPNSt15iterator_traitsISE_E10value_typeEPNSK_ISF_E10value_typeEPSG_NS1_7vsmem_tEENKUlT_SE_SF_SG_E_clIS8_S8_S9_S9_EESD_ST_SE_SF_SG_EUlST_E1_NS1_11comp_targetILNS1_3genE3ELNS1_11target_archE908ELNS1_3gpuE7ELNS1_3repE0EEENS1_36merge_oddeven_config_static_selectorELNS0_4arch9wavefront6targetE0EEEvSF_.has_indirect_call, 0
	.section	.AMDGPU.csdata,"",@progbits
; Kernel info:
; codeLenInByte = 0
; TotalNumSgprs: 0
; NumVgprs: 0
; ScratchSize: 0
; MemoryBound: 0
; FloatMode: 240
; IeeeMode: 1
; LDSByteSize: 0 bytes/workgroup (compile time only)
; SGPRBlocks: 0
; VGPRBlocks: 0
; NumSGPRsForWavesPerEU: 1
; NumVGPRsForWavesPerEU: 1
; NamedBarCnt: 0
; Occupancy: 16
; WaveLimiterHint : 0
; COMPUTE_PGM_RSRC2:SCRATCH_EN: 0
; COMPUTE_PGM_RSRC2:USER_SGPR: 2
; COMPUTE_PGM_RSRC2:TRAP_HANDLER: 0
; COMPUTE_PGM_RSRC2:TGID_X_EN: 1
; COMPUTE_PGM_RSRC2:TGID_Y_EN: 0
; COMPUTE_PGM_RSRC2:TGID_Z_EN: 0
; COMPUTE_PGM_RSRC2:TIDIG_COMP_CNT: 0
	.section	.text._ZN7rocprim17ROCPRIM_400000_NS6detail17trampoline_kernelINS0_14default_configENS1_38merge_sort_block_merge_config_selectorItNS0_10empty_typeEEEZZNS1_27merge_sort_block_merge_implIS3_PtPS5_jNS1_19radix_merge_compareILb0ELb1EtNS0_19identity_decomposerEEEEE10hipError_tT0_T1_T2_jT3_P12ihipStream_tbPNSt15iterator_traitsISE_E10value_typeEPNSK_ISF_E10value_typeEPSG_NS1_7vsmem_tEENKUlT_SE_SF_SG_E_clIS8_S8_S9_S9_EESD_ST_SE_SF_SG_EUlST_E1_NS1_11comp_targetILNS1_3genE2ELNS1_11target_archE906ELNS1_3gpuE6ELNS1_3repE0EEENS1_36merge_oddeven_config_static_selectorELNS0_4arch9wavefront6targetE0EEEvSF_,"axG",@progbits,_ZN7rocprim17ROCPRIM_400000_NS6detail17trampoline_kernelINS0_14default_configENS1_38merge_sort_block_merge_config_selectorItNS0_10empty_typeEEEZZNS1_27merge_sort_block_merge_implIS3_PtPS5_jNS1_19radix_merge_compareILb0ELb1EtNS0_19identity_decomposerEEEEE10hipError_tT0_T1_T2_jT3_P12ihipStream_tbPNSt15iterator_traitsISE_E10value_typeEPNSK_ISF_E10value_typeEPSG_NS1_7vsmem_tEENKUlT_SE_SF_SG_E_clIS8_S8_S9_S9_EESD_ST_SE_SF_SG_EUlST_E1_NS1_11comp_targetILNS1_3genE2ELNS1_11target_archE906ELNS1_3gpuE6ELNS1_3repE0EEENS1_36merge_oddeven_config_static_selectorELNS0_4arch9wavefront6targetE0EEEvSF_,comdat
	.protected	_ZN7rocprim17ROCPRIM_400000_NS6detail17trampoline_kernelINS0_14default_configENS1_38merge_sort_block_merge_config_selectorItNS0_10empty_typeEEEZZNS1_27merge_sort_block_merge_implIS3_PtPS5_jNS1_19radix_merge_compareILb0ELb1EtNS0_19identity_decomposerEEEEE10hipError_tT0_T1_T2_jT3_P12ihipStream_tbPNSt15iterator_traitsISE_E10value_typeEPNSK_ISF_E10value_typeEPSG_NS1_7vsmem_tEENKUlT_SE_SF_SG_E_clIS8_S8_S9_S9_EESD_ST_SE_SF_SG_EUlST_E1_NS1_11comp_targetILNS1_3genE2ELNS1_11target_archE906ELNS1_3gpuE6ELNS1_3repE0EEENS1_36merge_oddeven_config_static_selectorELNS0_4arch9wavefront6targetE0EEEvSF_ ; -- Begin function _ZN7rocprim17ROCPRIM_400000_NS6detail17trampoline_kernelINS0_14default_configENS1_38merge_sort_block_merge_config_selectorItNS0_10empty_typeEEEZZNS1_27merge_sort_block_merge_implIS3_PtPS5_jNS1_19radix_merge_compareILb0ELb1EtNS0_19identity_decomposerEEEEE10hipError_tT0_T1_T2_jT3_P12ihipStream_tbPNSt15iterator_traitsISE_E10value_typeEPNSK_ISF_E10value_typeEPSG_NS1_7vsmem_tEENKUlT_SE_SF_SG_E_clIS8_S8_S9_S9_EESD_ST_SE_SF_SG_EUlST_E1_NS1_11comp_targetILNS1_3genE2ELNS1_11target_archE906ELNS1_3gpuE6ELNS1_3repE0EEENS1_36merge_oddeven_config_static_selectorELNS0_4arch9wavefront6targetE0EEEvSF_
	.globl	_ZN7rocprim17ROCPRIM_400000_NS6detail17trampoline_kernelINS0_14default_configENS1_38merge_sort_block_merge_config_selectorItNS0_10empty_typeEEEZZNS1_27merge_sort_block_merge_implIS3_PtPS5_jNS1_19radix_merge_compareILb0ELb1EtNS0_19identity_decomposerEEEEE10hipError_tT0_T1_T2_jT3_P12ihipStream_tbPNSt15iterator_traitsISE_E10value_typeEPNSK_ISF_E10value_typeEPSG_NS1_7vsmem_tEENKUlT_SE_SF_SG_E_clIS8_S8_S9_S9_EESD_ST_SE_SF_SG_EUlST_E1_NS1_11comp_targetILNS1_3genE2ELNS1_11target_archE906ELNS1_3gpuE6ELNS1_3repE0EEENS1_36merge_oddeven_config_static_selectorELNS0_4arch9wavefront6targetE0EEEvSF_
	.p2align	8
	.type	_ZN7rocprim17ROCPRIM_400000_NS6detail17trampoline_kernelINS0_14default_configENS1_38merge_sort_block_merge_config_selectorItNS0_10empty_typeEEEZZNS1_27merge_sort_block_merge_implIS3_PtPS5_jNS1_19radix_merge_compareILb0ELb1EtNS0_19identity_decomposerEEEEE10hipError_tT0_T1_T2_jT3_P12ihipStream_tbPNSt15iterator_traitsISE_E10value_typeEPNSK_ISF_E10value_typeEPSG_NS1_7vsmem_tEENKUlT_SE_SF_SG_E_clIS8_S8_S9_S9_EESD_ST_SE_SF_SG_EUlST_E1_NS1_11comp_targetILNS1_3genE2ELNS1_11target_archE906ELNS1_3gpuE6ELNS1_3repE0EEENS1_36merge_oddeven_config_static_selectorELNS0_4arch9wavefront6targetE0EEEvSF_,@function
_ZN7rocprim17ROCPRIM_400000_NS6detail17trampoline_kernelINS0_14default_configENS1_38merge_sort_block_merge_config_selectorItNS0_10empty_typeEEEZZNS1_27merge_sort_block_merge_implIS3_PtPS5_jNS1_19radix_merge_compareILb0ELb1EtNS0_19identity_decomposerEEEEE10hipError_tT0_T1_T2_jT3_P12ihipStream_tbPNSt15iterator_traitsISE_E10value_typeEPNSK_ISF_E10value_typeEPSG_NS1_7vsmem_tEENKUlT_SE_SF_SG_E_clIS8_S8_S9_S9_EESD_ST_SE_SF_SG_EUlST_E1_NS1_11comp_targetILNS1_3genE2ELNS1_11target_archE906ELNS1_3gpuE6ELNS1_3repE0EEENS1_36merge_oddeven_config_static_selectorELNS0_4arch9wavefront6targetE0EEEvSF_: ; @_ZN7rocprim17ROCPRIM_400000_NS6detail17trampoline_kernelINS0_14default_configENS1_38merge_sort_block_merge_config_selectorItNS0_10empty_typeEEEZZNS1_27merge_sort_block_merge_implIS3_PtPS5_jNS1_19radix_merge_compareILb0ELb1EtNS0_19identity_decomposerEEEEE10hipError_tT0_T1_T2_jT3_P12ihipStream_tbPNSt15iterator_traitsISE_E10value_typeEPNSK_ISF_E10value_typeEPSG_NS1_7vsmem_tEENKUlT_SE_SF_SG_E_clIS8_S8_S9_S9_EESD_ST_SE_SF_SG_EUlST_E1_NS1_11comp_targetILNS1_3genE2ELNS1_11target_archE906ELNS1_3gpuE6ELNS1_3repE0EEENS1_36merge_oddeven_config_static_selectorELNS0_4arch9wavefront6targetE0EEEvSF_
; %bb.0:
	.section	.rodata,"a",@progbits
	.p2align	6, 0x0
	.amdhsa_kernel _ZN7rocprim17ROCPRIM_400000_NS6detail17trampoline_kernelINS0_14default_configENS1_38merge_sort_block_merge_config_selectorItNS0_10empty_typeEEEZZNS1_27merge_sort_block_merge_implIS3_PtPS5_jNS1_19radix_merge_compareILb0ELb1EtNS0_19identity_decomposerEEEEE10hipError_tT0_T1_T2_jT3_P12ihipStream_tbPNSt15iterator_traitsISE_E10value_typeEPNSK_ISF_E10value_typeEPSG_NS1_7vsmem_tEENKUlT_SE_SF_SG_E_clIS8_S8_S9_S9_EESD_ST_SE_SF_SG_EUlST_E1_NS1_11comp_targetILNS1_3genE2ELNS1_11target_archE906ELNS1_3gpuE6ELNS1_3repE0EEENS1_36merge_oddeven_config_static_selectorELNS0_4arch9wavefront6targetE0EEEvSF_
		.amdhsa_group_segment_fixed_size 0
		.amdhsa_private_segment_fixed_size 0
		.amdhsa_kernarg_size 48
		.amdhsa_user_sgpr_count 2
		.amdhsa_user_sgpr_dispatch_ptr 0
		.amdhsa_user_sgpr_queue_ptr 0
		.amdhsa_user_sgpr_kernarg_segment_ptr 1
		.amdhsa_user_sgpr_dispatch_id 0
		.amdhsa_user_sgpr_kernarg_preload_length 0
		.amdhsa_user_sgpr_kernarg_preload_offset 0
		.amdhsa_user_sgpr_private_segment_size 0
		.amdhsa_wavefront_size32 1
		.amdhsa_uses_dynamic_stack 0
		.amdhsa_enable_private_segment 0
		.amdhsa_system_sgpr_workgroup_id_x 1
		.amdhsa_system_sgpr_workgroup_id_y 0
		.amdhsa_system_sgpr_workgroup_id_z 0
		.amdhsa_system_sgpr_workgroup_info 0
		.amdhsa_system_vgpr_workitem_id 0
		.amdhsa_next_free_vgpr 1
		.amdhsa_next_free_sgpr 1
		.amdhsa_named_barrier_count 0
		.amdhsa_reserve_vcc 0
		.amdhsa_float_round_mode_32 0
		.amdhsa_float_round_mode_16_64 0
		.amdhsa_float_denorm_mode_32 3
		.amdhsa_float_denorm_mode_16_64 3
		.amdhsa_fp16_overflow 0
		.amdhsa_memory_ordered 1
		.amdhsa_forward_progress 1
		.amdhsa_inst_pref_size 0
		.amdhsa_round_robin_scheduling 0
		.amdhsa_exception_fp_ieee_invalid_op 0
		.amdhsa_exception_fp_denorm_src 0
		.amdhsa_exception_fp_ieee_div_zero 0
		.amdhsa_exception_fp_ieee_overflow 0
		.amdhsa_exception_fp_ieee_underflow 0
		.amdhsa_exception_fp_ieee_inexact 0
		.amdhsa_exception_int_div_zero 0
	.end_amdhsa_kernel
	.section	.text._ZN7rocprim17ROCPRIM_400000_NS6detail17trampoline_kernelINS0_14default_configENS1_38merge_sort_block_merge_config_selectorItNS0_10empty_typeEEEZZNS1_27merge_sort_block_merge_implIS3_PtPS5_jNS1_19radix_merge_compareILb0ELb1EtNS0_19identity_decomposerEEEEE10hipError_tT0_T1_T2_jT3_P12ihipStream_tbPNSt15iterator_traitsISE_E10value_typeEPNSK_ISF_E10value_typeEPSG_NS1_7vsmem_tEENKUlT_SE_SF_SG_E_clIS8_S8_S9_S9_EESD_ST_SE_SF_SG_EUlST_E1_NS1_11comp_targetILNS1_3genE2ELNS1_11target_archE906ELNS1_3gpuE6ELNS1_3repE0EEENS1_36merge_oddeven_config_static_selectorELNS0_4arch9wavefront6targetE0EEEvSF_,"axG",@progbits,_ZN7rocprim17ROCPRIM_400000_NS6detail17trampoline_kernelINS0_14default_configENS1_38merge_sort_block_merge_config_selectorItNS0_10empty_typeEEEZZNS1_27merge_sort_block_merge_implIS3_PtPS5_jNS1_19radix_merge_compareILb0ELb1EtNS0_19identity_decomposerEEEEE10hipError_tT0_T1_T2_jT3_P12ihipStream_tbPNSt15iterator_traitsISE_E10value_typeEPNSK_ISF_E10value_typeEPSG_NS1_7vsmem_tEENKUlT_SE_SF_SG_E_clIS8_S8_S9_S9_EESD_ST_SE_SF_SG_EUlST_E1_NS1_11comp_targetILNS1_3genE2ELNS1_11target_archE906ELNS1_3gpuE6ELNS1_3repE0EEENS1_36merge_oddeven_config_static_selectorELNS0_4arch9wavefront6targetE0EEEvSF_,comdat
.Lfunc_end2476:
	.size	_ZN7rocprim17ROCPRIM_400000_NS6detail17trampoline_kernelINS0_14default_configENS1_38merge_sort_block_merge_config_selectorItNS0_10empty_typeEEEZZNS1_27merge_sort_block_merge_implIS3_PtPS5_jNS1_19radix_merge_compareILb0ELb1EtNS0_19identity_decomposerEEEEE10hipError_tT0_T1_T2_jT3_P12ihipStream_tbPNSt15iterator_traitsISE_E10value_typeEPNSK_ISF_E10value_typeEPSG_NS1_7vsmem_tEENKUlT_SE_SF_SG_E_clIS8_S8_S9_S9_EESD_ST_SE_SF_SG_EUlST_E1_NS1_11comp_targetILNS1_3genE2ELNS1_11target_archE906ELNS1_3gpuE6ELNS1_3repE0EEENS1_36merge_oddeven_config_static_selectorELNS0_4arch9wavefront6targetE0EEEvSF_, .Lfunc_end2476-_ZN7rocprim17ROCPRIM_400000_NS6detail17trampoline_kernelINS0_14default_configENS1_38merge_sort_block_merge_config_selectorItNS0_10empty_typeEEEZZNS1_27merge_sort_block_merge_implIS3_PtPS5_jNS1_19radix_merge_compareILb0ELb1EtNS0_19identity_decomposerEEEEE10hipError_tT0_T1_T2_jT3_P12ihipStream_tbPNSt15iterator_traitsISE_E10value_typeEPNSK_ISF_E10value_typeEPSG_NS1_7vsmem_tEENKUlT_SE_SF_SG_E_clIS8_S8_S9_S9_EESD_ST_SE_SF_SG_EUlST_E1_NS1_11comp_targetILNS1_3genE2ELNS1_11target_archE906ELNS1_3gpuE6ELNS1_3repE0EEENS1_36merge_oddeven_config_static_selectorELNS0_4arch9wavefront6targetE0EEEvSF_
                                        ; -- End function
	.set _ZN7rocprim17ROCPRIM_400000_NS6detail17trampoline_kernelINS0_14default_configENS1_38merge_sort_block_merge_config_selectorItNS0_10empty_typeEEEZZNS1_27merge_sort_block_merge_implIS3_PtPS5_jNS1_19radix_merge_compareILb0ELb1EtNS0_19identity_decomposerEEEEE10hipError_tT0_T1_T2_jT3_P12ihipStream_tbPNSt15iterator_traitsISE_E10value_typeEPNSK_ISF_E10value_typeEPSG_NS1_7vsmem_tEENKUlT_SE_SF_SG_E_clIS8_S8_S9_S9_EESD_ST_SE_SF_SG_EUlST_E1_NS1_11comp_targetILNS1_3genE2ELNS1_11target_archE906ELNS1_3gpuE6ELNS1_3repE0EEENS1_36merge_oddeven_config_static_selectorELNS0_4arch9wavefront6targetE0EEEvSF_.num_vgpr, 0
	.set _ZN7rocprim17ROCPRIM_400000_NS6detail17trampoline_kernelINS0_14default_configENS1_38merge_sort_block_merge_config_selectorItNS0_10empty_typeEEEZZNS1_27merge_sort_block_merge_implIS3_PtPS5_jNS1_19radix_merge_compareILb0ELb1EtNS0_19identity_decomposerEEEEE10hipError_tT0_T1_T2_jT3_P12ihipStream_tbPNSt15iterator_traitsISE_E10value_typeEPNSK_ISF_E10value_typeEPSG_NS1_7vsmem_tEENKUlT_SE_SF_SG_E_clIS8_S8_S9_S9_EESD_ST_SE_SF_SG_EUlST_E1_NS1_11comp_targetILNS1_3genE2ELNS1_11target_archE906ELNS1_3gpuE6ELNS1_3repE0EEENS1_36merge_oddeven_config_static_selectorELNS0_4arch9wavefront6targetE0EEEvSF_.num_agpr, 0
	.set _ZN7rocprim17ROCPRIM_400000_NS6detail17trampoline_kernelINS0_14default_configENS1_38merge_sort_block_merge_config_selectorItNS0_10empty_typeEEEZZNS1_27merge_sort_block_merge_implIS3_PtPS5_jNS1_19radix_merge_compareILb0ELb1EtNS0_19identity_decomposerEEEEE10hipError_tT0_T1_T2_jT3_P12ihipStream_tbPNSt15iterator_traitsISE_E10value_typeEPNSK_ISF_E10value_typeEPSG_NS1_7vsmem_tEENKUlT_SE_SF_SG_E_clIS8_S8_S9_S9_EESD_ST_SE_SF_SG_EUlST_E1_NS1_11comp_targetILNS1_3genE2ELNS1_11target_archE906ELNS1_3gpuE6ELNS1_3repE0EEENS1_36merge_oddeven_config_static_selectorELNS0_4arch9wavefront6targetE0EEEvSF_.numbered_sgpr, 0
	.set _ZN7rocprim17ROCPRIM_400000_NS6detail17trampoline_kernelINS0_14default_configENS1_38merge_sort_block_merge_config_selectorItNS0_10empty_typeEEEZZNS1_27merge_sort_block_merge_implIS3_PtPS5_jNS1_19radix_merge_compareILb0ELb1EtNS0_19identity_decomposerEEEEE10hipError_tT0_T1_T2_jT3_P12ihipStream_tbPNSt15iterator_traitsISE_E10value_typeEPNSK_ISF_E10value_typeEPSG_NS1_7vsmem_tEENKUlT_SE_SF_SG_E_clIS8_S8_S9_S9_EESD_ST_SE_SF_SG_EUlST_E1_NS1_11comp_targetILNS1_3genE2ELNS1_11target_archE906ELNS1_3gpuE6ELNS1_3repE0EEENS1_36merge_oddeven_config_static_selectorELNS0_4arch9wavefront6targetE0EEEvSF_.num_named_barrier, 0
	.set _ZN7rocprim17ROCPRIM_400000_NS6detail17trampoline_kernelINS0_14default_configENS1_38merge_sort_block_merge_config_selectorItNS0_10empty_typeEEEZZNS1_27merge_sort_block_merge_implIS3_PtPS5_jNS1_19radix_merge_compareILb0ELb1EtNS0_19identity_decomposerEEEEE10hipError_tT0_T1_T2_jT3_P12ihipStream_tbPNSt15iterator_traitsISE_E10value_typeEPNSK_ISF_E10value_typeEPSG_NS1_7vsmem_tEENKUlT_SE_SF_SG_E_clIS8_S8_S9_S9_EESD_ST_SE_SF_SG_EUlST_E1_NS1_11comp_targetILNS1_3genE2ELNS1_11target_archE906ELNS1_3gpuE6ELNS1_3repE0EEENS1_36merge_oddeven_config_static_selectorELNS0_4arch9wavefront6targetE0EEEvSF_.private_seg_size, 0
	.set _ZN7rocprim17ROCPRIM_400000_NS6detail17trampoline_kernelINS0_14default_configENS1_38merge_sort_block_merge_config_selectorItNS0_10empty_typeEEEZZNS1_27merge_sort_block_merge_implIS3_PtPS5_jNS1_19radix_merge_compareILb0ELb1EtNS0_19identity_decomposerEEEEE10hipError_tT0_T1_T2_jT3_P12ihipStream_tbPNSt15iterator_traitsISE_E10value_typeEPNSK_ISF_E10value_typeEPSG_NS1_7vsmem_tEENKUlT_SE_SF_SG_E_clIS8_S8_S9_S9_EESD_ST_SE_SF_SG_EUlST_E1_NS1_11comp_targetILNS1_3genE2ELNS1_11target_archE906ELNS1_3gpuE6ELNS1_3repE0EEENS1_36merge_oddeven_config_static_selectorELNS0_4arch9wavefront6targetE0EEEvSF_.uses_vcc, 0
	.set _ZN7rocprim17ROCPRIM_400000_NS6detail17trampoline_kernelINS0_14default_configENS1_38merge_sort_block_merge_config_selectorItNS0_10empty_typeEEEZZNS1_27merge_sort_block_merge_implIS3_PtPS5_jNS1_19radix_merge_compareILb0ELb1EtNS0_19identity_decomposerEEEEE10hipError_tT0_T1_T2_jT3_P12ihipStream_tbPNSt15iterator_traitsISE_E10value_typeEPNSK_ISF_E10value_typeEPSG_NS1_7vsmem_tEENKUlT_SE_SF_SG_E_clIS8_S8_S9_S9_EESD_ST_SE_SF_SG_EUlST_E1_NS1_11comp_targetILNS1_3genE2ELNS1_11target_archE906ELNS1_3gpuE6ELNS1_3repE0EEENS1_36merge_oddeven_config_static_selectorELNS0_4arch9wavefront6targetE0EEEvSF_.uses_flat_scratch, 0
	.set _ZN7rocprim17ROCPRIM_400000_NS6detail17trampoline_kernelINS0_14default_configENS1_38merge_sort_block_merge_config_selectorItNS0_10empty_typeEEEZZNS1_27merge_sort_block_merge_implIS3_PtPS5_jNS1_19radix_merge_compareILb0ELb1EtNS0_19identity_decomposerEEEEE10hipError_tT0_T1_T2_jT3_P12ihipStream_tbPNSt15iterator_traitsISE_E10value_typeEPNSK_ISF_E10value_typeEPSG_NS1_7vsmem_tEENKUlT_SE_SF_SG_E_clIS8_S8_S9_S9_EESD_ST_SE_SF_SG_EUlST_E1_NS1_11comp_targetILNS1_3genE2ELNS1_11target_archE906ELNS1_3gpuE6ELNS1_3repE0EEENS1_36merge_oddeven_config_static_selectorELNS0_4arch9wavefront6targetE0EEEvSF_.has_dyn_sized_stack, 0
	.set _ZN7rocprim17ROCPRIM_400000_NS6detail17trampoline_kernelINS0_14default_configENS1_38merge_sort_block_merge_config_selectorItNS0_10empty_typeEEEZZNS1_27merge_sort_block_merge_implIS3_PtPS5_jNS1_19radix_merge_compareILb0ELb1EtNS0_19identity_decomposerEEEEE10hipError_tT0_T1_T2_jT3_P12ihipStream_tbPNSt15iterator_traitsISE_E10value_typeEPNSK_ISF_E10value_typeEPSG_NS1_7vsmem_tEENKUlT_SE_SF_SG_E_clIS8_S8_S9_S9_EESD_ST_SE_SF_SG_EUlST_E1_NS1_11comp_targetILNS1_3genE2ELNS1_11target_archE906ELNS1_3gpuE6ELNS1_3repE0EEENS1_36merge_oddeven_config_static_selectorELNS0_4arch9wavefront6targetE0EEEvSF_.has_recursion, 0
	.set _ZN7rocprim17ROCPRIM_400000_NS6detail17trampoline_kernelINS0_14default_configENS1_38merge_sort_block_merge_config_selectorItNS0_10empty_typeEEEZZNS1_27merge_sort_block_merge_implIS3_PtPS5_jNS1_19radix_merge_compareILb0ELb1EtNS0_19identity_decomposerEEEEE10hipError_tT0_T1_T2_jT3_P12ihipStream_tbPNSt15iterator_traitsISE_E10value_typeEPNSK_ISF_E10value_typeEPSG_NS1_7vsmem_tEENKUlT_SE_SF_SG_E_clIS8_S8_S9_S9_EESD_ST_SE_SF_SG_EUlST_E1_NS1_11comp_targetILNS1_3genE2ELNS1_11target_archE906ELNS1_3gpuE6ELNS1_3repE0EEENS1_36merge_oddeven_config_static_selectorELNS0_4arch9wavefront6targetE0EEEvSF_.has_indirect_call, 0
	.section	.AMDGPU.csdata,"",@progbits
; Kernel info:
; codeLenInByte = 0
; TotalNumSgprs: 0
; NumVgprs: 0
; ScratchSize: 0
; MemoryBound: 0
; FloatMode: 240
; IeeeMode: 1
; LDSByteSize: 0 bytes/workgroup (compile time only)
; SGPRBlocks: 0
; VGPRBlocks: 0
; NumSGPRsForWavesPerEU: 1
; NumVGPRsForWavesPerEU: 1
; NamedBarCnt: 0
; Occupancy: 16
; WaveLimiterHint : 0
; COMPUTE_PGM_RSRC2:SCRATCH_EN: 0
; COMPUTE_PGM_RSRC2:USER_SGPR: 2
; COMPUTE_PGM_RSRC2:TRAP_HANDLER: 0
; COMPUTE_PGM_RSRC2:TGID_X_EN: 1
; COMPUTE_PGM_RSRC2:TGID_Y_EN: 0
; COMPUTE_PGM_RSRC2:TGID_Z_EN: 0
; COMPUTE_PGM_RSRC2:TIDIG_COMP_CNT: 0
	.section	.text._ZN7rocprim17ROCPRIM_400000_NS6detail17trampoline_kernelINS0_14default_configENS1_38merge_sort_block_merge_config_selectorItNS0_10empty_typeEEEZZNS1_27merge_sort_block_merge_implIS3_PtPS5_jNS1_19radix_merge_compareILb0ELb1EtNS0_19identity_decomposerEEEEE10hipError_tT0_T1_T2_jT3_P12ihipStream_tbPNSt15iterator_traitsISE_E10value_typeEPNSK_ISF_E10value_typeEPSG_NS1_7vsmem_tEENKUlT_SE_SF_SG_E_clIS8_S8_S9_S9_EESD_ST_SE_SF_SG_EUlST_E1_NS1_11comp_targetILNS1_3genE9ELNS1_11target_archE1100ELNS1_3gpuE3ELNS1_3repE0EEENS1_36merge_oddeven_config_static_selectorELNS0_4arch9wavefront6targetE0EEEvSF_,"axG",@progbits,_ZN7rocprim17ROCPRIM_400000_NS6detail17trampoline_kernelINS0_14default_configENS1_38merge_sort_block_merge_config_selectorItNS0_10empty_typeEEEZZNS1_27merge_sort_block_merge_implIS3_PtPS5_jNS1_19radix_merge_compareILb0ELb1EtNS0_19identity_decomposerEEEEE10hipError_tT0_T1_T2_jT3_P12ihipStream_tbPNSt15iterator_traitsISE_E10value_typeEPNSK_ISF_E10value_typeEPSG_NS1_7vsmem_tEENKUlT_SE_SF_SG_E_clIS8_S8_S9_S9_EESD_ST_SE_SF_SG_EUlST_E1_NS1_11comp_targetILNS1_3genE9ELNS1_11target_archE1100ELNS1_3gpuE3ELNS1_3repE0EEENS1_36merge_oddeven_config_static_selectorELNS0_4arch9wavefront6targetE0EEEvSF_,comdat
	.protected	_ZN7rocprim17ROCPRIM_400000_NS6detail17trampoline_kernelINS0_14default_configENS1_38merge_sort_block_merge_config_selectorItNS0_10empty_typeEEEZZNS1_27merge_sort_block_merge_implIS3_PtPS5_jNS1_19radix_merge_compareILb0ELb1EtNS0_19identity_decomposerEEEEE10hipError_tT0_T1_T2_jT3_P12ihipStream_tbPNSt15iterator_traitsISE_E10value_typeEPNSK_ISF_E10value_typeEPSG_NS1_7vsmem_tEENKUlT_SE_SF_SG_E_clIS8_S8_S9_S9_EESD_ST_SE_SF_SG_EUlST_E1_NS1_11comp_targetILNS1_3genE9ELNS1_11target_archE1100ELNS1_3gpuE3ELNS1_3repE0EEENS1_36merge_oddeven_config_static_selectorELNS0_4arch9wavefront6targetE0EEEvSF_ ; -- Begin function _ZN7rocprim17ROCPRIM_400000_NS6detail17trampoline_kernelINS0_14default_configENS1_38merge_sort_block_merge_config_selectorItNS0_10empty_typeEEEZZNS1_27merge_sort_block_merge_implIS3_PtPS5_jNS1_19radix_merge_compareILb0ELb1EtNS0_19identity_decomposerEEEEE10hipError_tT0_T1_T2_jT3_P12ihipStream_tbPNSt15iterator_traitsISE_E10value_typeEPNSK_ISF_E10value_typeEPSG_NS1_7vsmem_tEENKUlT_SE_SF_SG_E_clIS8_S8_S9_S9_EESD_ST_SE_SF_SG_EUlST_E1_NS1_11comp_targetILNS1_3genE9ELNS1_11target_archE1100ELNS1_3gpuE3ELNS1_3repE0EEENS1_36merge_oddeven_config_static_selectorELNS0_4arch9wavefront6targetE0EEEvSF_
	.globl	_ZN7rocprim17ROCPRIM_400000_NS6detail17trampoline_kernelINS0_14default_configENS1_38merge_sort_block_merge_config_selectorItNS0_10empty_typeEEEZZNS1_27merge_sort_block_merge_implIS3_PtPS5_jNS1_19radix_merge_compareILb0ELb1EtNS0_19identity_decomposerEEEEE10hipError_tT0_T1_T2_jT3_P12ihipStream_tbPNSt15iterator_traitsISE_E10value_typeEPNSK_ISF_E10value_typeEPSG_NS1_7vsmem_tEENKUlT_SE_SF_SG_E_clIS8_S8_S9_S9_EESD_ST_SE_SF_SG_EUlST_E1_NS1_11comp_targetILNS1_3genE9ELNS1_11target_archE1100ELNS1_3gpuE3ELNS1_3repE0EEENS1_36merge_oddeven_config_static_selectorELNS0_4arch9wavefront6targetE0EEEvSF_
	.p2align	8
	.type	_ZN7rocprim17ROCPRIM_400000_NS6detail17trampoline_kernelINS0_14default_configENS1_38merge_sort_block_merge_config_selectorItNS0_10empty_typeEEEZZNS1_27merge_sort_block_merge_implIS3_PtPS5_jNS1_19radix_merge_compareILb0ELb1EtNS0_19identity_decomposerEEEEE10hipError_tT0_T1_T2_jT3_P12ihipStream_tbPNSt15iterator_traitsISE_E10value_typeEPNSK_ISF_E10value_typeEPSG_NS1_7vsmem_tEENKUlT_SE_SF_SG_E_clIS8_S8_S9_S9_EESD_ST_SE_SF_SG_EUlST_E1_NS1_11comp_targetILNS1_3genE9ELNS1_11target_archE1100ELNS1_3gpuE3ELNS1_3repE0EEENS1_36merge_oddeven_config_static_selectorELNS0_4arch9wavefront6targetE0EEEvSF_,@function
_ZN7rocprim17ROCPRIM_400000_NS6detail17trampoline_kernelINS0_14default_configENS1_38merge_sort_block_merge_config_selectorItNS0_10empty_typeEEEZZNS1_27merge_sort_block_merge_implIS3_PtPS5_jNS1_19radix_merge_compareILb0ELb1EtNS0_19identity_decomposerEEEEE10hipError_tT0_T1_T2_jT3_P12ihipStream_tbPNSt15iterator_traitsISE_E10value_typeEPNSK_ISF_E10value_typeEPSG_NS1_7vsmem_tEENKUlT_SE_SF_SG_E_clIS8_S8_S9_S9_EESD_ST_SE_SF_SG_EUlST_E1_NS1_11comp_targetILNS1_3genE9ELNS1_11target_archE1100ELNS1_3gpuE3ELNS1_3repE0EEENS1_36merge_oddeven_config_static_selectorELNS0_4arch9wavefront6targetE0EEEvSF_: ; @_ZN7rocprim17ROCPRIM_400000_NS6detail17trampoline_kernelINS0_14default_configENS1_38merge_sort_block_merge_config_selectorItNS0_10empty_typeEEEZZNS1_27merge_sort_block_merge_implIS3_PtPS5_jNS1_19radix_merge_compareILb0ELb1EtNS0_19identity_decomposerEEEEE10hipError_tT0_T1_T2_jT3_P12ihipStream_tbPNSt15iterator_traitsISE_E10value_typeEPNSK_ISF_E10value_typeEPSG_NS1_7vsmem_tEENKUlT_SE_SF_SG_E_clIS8_S8_S9_S9_EESD_ST_SE_SF_SG_EUlST_E1_NS1_11comp_targetILNS1_3genE9ELNS1_11target_archE1100ELNS1_3gpuE3ELNS1_3repE0EEENS1_36merge_oddeven_config_static_selectorELNS0_4arch9wavefront6targetE0EEEvSF_
; %bb.0:
	.section	.rodata,"a",@progbits
	.p2align	6, 0x0
	.amdhsa_kernel _ZN7rocprim17ROCPRIM_400000_NS6detail17trampoline_kernelINS0_14default_configENS1_38merge_sort_block_merge_config_selectorItNS0_10empty_typeEEEZZNS1_27merge_sort_block_merge_implIS3_PtPS5_jNS1_19radix_merge_compareILb0ELb1EtNS0_19identity_decomposerEEEEE10hipError_tT0_T1_T2_jT3_P12ihipStream_tbPNSt15iterator_traitsISE_E10value_typeEPNSK_ISF_E10value_typeEPSG_NS1_7vsmem_tEENKUlT_SE_SF_SG_E_clIS8_S8_S9_S9_EESD_ST_SE_SF_SG_EUlST_E1_NS1_11comp_targetILNS1_3genE9ELNS1_11target_archE1100ELNS1_3gpuE3ELNS1_3repE0EEENS1_36merge_oddeven_config_static_selectorELNS0_4arch9wavefront6targetE0EEEvSF_
		.amdhsa_group_segment_fixed_size 0
		.amdhsa_private_segment_fixed_size 0
		.amdhsa_kernarg_size 48
		.amdhsa_user_sgpr_count 2
		.amdhsa_user_sgpr_dispatch_ptr 0
		.amdhsa_user_sgpr_queue_ptr 0
		.amdhsa_user_sgpr_kernarg_segment_ptr 1
		.amdhsa_user_sgpr_dispatch_id 0
		.amdhsa_user_sgpr_kernarg_preload_length 0
		.amdhsa_user_sgpr_kernarg_preload_offset 0
		.amdhsa_user_sgpr_private_segment_size 0
		.amdhsa_wavefront_size32 1
		.amdhsa_uses_dynamic_stack 0
		.amdhsa_enable_private_segment 0
		.amdhsa_system_sgpr_workgroup_id_x 1
		.amdhsa_system_sgpr_workgroup_id_y 0
		.amdhsa_system_sgpr_workgroup_id_z 0
		.amdhsa_system_sgpr_workgroup_info 0
		.amdhsa_system_vgpr_workitem_id 0
		.amdhsa_next_free_vgpr 1
		.amdhsa_next_free_sgpr 1
		.amdhsa_named_barrier_count 0
		.amdhsa_reserve_vcc 0
		.amdhsa_float_round_mode_32 0
		.amdhsa_float_round_mode_16_64 0
		.amdhsa_float_denorm_mode_32 3
		.amdhsa_float_denorm_mode_16_64 3
		.amdhsa_fp16_overflow 0
		.amdhsa_memory_ordered 1
		.amdhsa_forward_progress 1
		.amdhsa_inst_pref_size 0
		.amdhsa_round_robin_scheduling 0
		.amdhsa_exception_fp_ieee_invalid_op 0
		.amdhsa_exception_fp_denorm_src 0
		.amdhsa_exception_fp_ieee_div_zero 0
		.amdhsa_exception_fp_ieee_overflow 0
		.amdhsa_exception_fp_ieee_underflow 0
		.amdhsa_exception_fp_ieee_inexact 0
		.amdhsa_exception_int_div_zero 0
	.end_amdhsa_kernel
	.section	.text._ZN7rocprim17ROCPRIM_400000_NS6detail17trampoline_kernelINS0_14default_configENS1_38merge_sort_block_merge_config_selectorItNS0_10empty_typeEEEZZNS1_27merge_sort_block_merge_implIS3_PtPS5_jNS1_19radix_merge_compareILb0ELb1EtNS0_19identity_decomposerEEEEE10hipError_tT0_T1_T2_jT3_P12ihipStream_tbPNSt15iterator_traitsISE_E10value_typeEPNSK_ISF_E10value_typeEPSG_NS1_7vsmem_tEENKUlT_SE_SF_SG_E_clIS8_S8_S9_S9_EESD_ST_SE_SF_SG_EUlST_E1_NS1_11comp_targetILNS1_3genE9ELNS1_11target_archE1100ELNS1_3gpuE3ELNS1_3repE0EEENS1_36merge_oddeven_config_static_selectorELNS0_4arch9wavefront6targetE0EEEvSF_,"axG",@progbits,_ZN7rocprim17ROCPRIM_400000_NS6detail17trampoline_kernelINS0_14default_configENS1_38merge_sort_block_merge_config_selectorItNS0_10empty_typeEEEZZNS1_27merge_sort_block_merge_implIS3_PtPS5_jNS1_19radix_merge_compareILb0ELb1EtNS0_19identity_decomposerEEEEE10hipError_tT0_T1_T2_jT3_P12ihipStream_tbPNSt15iterator_traitsISE_E10value_typeEPNSK_ISF_E10value_typeEPSG_NS1_7vsmem_tEENKUlT_SE_SF_SG_E_clIS8_S8_S9_S9_EESD_ST_SE_SF_SG_EUlST_E1_NS1_11comp_targetILNS1_3genE9ELNS1_11target_archE1100ELNS1_3gpuE3ELNS1_3repE0EEENS1_36merge_oddeven_config_static_selectorELNS0_4arch9wavefront6targetE0EEEvSF_,comdat
.Lfunc_end2477:
	.size	_ZN7rocprim17ROCPRIM_400000_NS6detail17trampoline_kernelINS0_14default_configENS1_38merge_sort_block_merge_config_selectorItNS0_10empty_typeEEEZZNS1_27merge_sort_block_merge_implIS3_PtPS5_jNS1_19radix_merge_compareILb0ELb1EtNS0_19identity_decomposerEEEEE10hipError_tT0_T1_T2_jT3_P12ihipStream_tbPNSt15iterator_traitsISE_E10value_typeEPNSK_ISF_E10value_typeEPSG_NS1_7vsmem_tEENKUlT_SE_SF_SG_E_clIS8_S8_S9_S9_EESD_ST_SE_SF_SG_EUlST_E1_NS1_11comp_targetILNS1_3genE9ELNS1_11target_archE1100ELNS1_3gpuE3ELNS1_3repE0EEENS1_36merge_oddeven_config_static_selectorELNS0_4arch9wavefront6targetE0EEEvSF_, .Lfunc_end2477-_ZN7rocprim17ROCPRIM_400000_NS6detail17trampoline_kernelINS0_14default_configENS1_38merge_sort_block_merge_config_selectorItNS0_10empty_typeEEEZZNS1_27merge_sort_block_merge_implIS3_PtPS5_jNS1_19radix_merge_compareILb0ELb1EtNS0_19identity_decomposerEEEEE10hipError_tT0_T1_T2_jT3_P12ihipStream_tbPNSt15iterator_traitsISE_E10value_typeEPNSK_ISF_E10value_typeEPSG_NS1_7vsmem_tEENKUlT_SE_SF_SG_E_clIS8_S8_S9_S9_EESD_ST_SE_SF_SG_EUlST_E1_NS1_11comp_targetILNS1_3genE9ELNS1_11target_archE1100ELNS1_3gpuE3ELNS1_3repE0EEENS1_36merge_oddeven_config_static_selectorELNS0_4arch9wavefront6targetE0EEEvSF_
                                        ; -- End function
	.set _ZN7rocprim17ROCPRIM_400000_NS6detail17trampoline_kernelINS0_14default_configENS1_38merge_sort_block_merge_config_selectorItNS0_10empty_typeEEEZZNS1_27merge_sort_block_merge_implIS3_PtPS5_jNS1_19radix_merge_compareILb0ELb1EtNS0_19identity_decomposerEEEEE10hipError_tT0_T1_T2_jT3_P12ihipStream_tbPNSt15iterator_traitsISE_E10value_typeEPNSK_ISF_E10value_typeEPSG_NS1_7vsmem_tEENKUlT_SE_SF_SG_E_clIS8_S8_S9_S9_EESD_ST_SE_SF_SG_EUlST_E1_NS1_11comp_targetILNS1_3genE9ELNS1_11target_archE1100ELNS1_3gpuE3ELNS1_3repE0EEENS1_36merge_oddeven_config_static_selectorELNS0_4arch9wavefront6targetE0EEEvSF_.num_vgpr, 0
	.set _ZN7rocprim17ROCPRIM_400000_NS6detail17trampoline_kernelINS0_14default_configENS1_38merge_sort_block_merge_config_selectorItNS0_10empty_typeEEEZZNS1_27merge_sort_block_merge_implIS3_PtPS5_jNS1_19radix_merge_compareILb0ELb1EtNS0_19identity_decomposerEEEEE10hipError_tT0_T1_T2_jT3_P12ihipStream_tbPNSt15iterator_traitsISE_E10value_typeEPNSK_ISF_E10value_typeEPSG_NS1_7vsmem_tEENKUlT_SE_SF_SG_E_clIS8_S8_S9_S9_EESD_ST_SE_SF_SG_EUlST_E1_NS1_11comp_targetILNS1_3genE9ELNS1_11target_archE1100ELNS1_3gpuE3ELNS1_3repE0EEENS1_36merge_oddeven_config_static_selectorELNS0_4arch9wavefront6targetE0EEEvSF_.num_agpr, 0
	.set _ZN7rocprim17ROCPRIM_400000_NS6detail17trampoline_kernelINS0_14default_configENS1_38merge_sort_block_merge_config_selectorItNS0_10empty_typeEEEZZNS1_27merge_sort_block_merge_implIS3_PtPS5_jNS1_19radix_merge_compareILb0ELb1EtNS0_19identity_decomposerEEEEE10hipError_tT0_T1_T2_jT3_P12ihipStream_tbPNSt15iterator_traitsISE_E10value_typeEPNSK_ISF_E10value_typeEPSG_NS1_7vsmem_tEENKUlT_SE_SF_SG_E_clIS8_S8_S9_S9_EESD_ST_SE_SF_SG_EUlST_E1_NS1_11comp_targetILNS1_3genE9ELNS1_11target_archE1100ELNS1_3gpuE3ELNS1_3repE0EEENS1_36merge_oddeven_config_static_selectorELNS0_4arch9wavefront6targetE0EEEvSF_.numbered_sgpr, 0
	.set _ZN7rocprim17ROCPRIM_400000_NS6detail17trampoline_kernelINS0_14default_configENS1_38merge_sort_block_merge_config_selectorItNS0_10empty_typeEEEZZNS1_27merge_sort_block_merge_implIS3_PtPS5_jNS1_19radix_merge_compareILb0ELb1EtNS0_19identity_decomposerEEEEE10hipError_tT0_T1_T2_jT3_P12ihipStream_tbPNSt15iterator_traitsISE_E10value_typeEPNSK_ISF_E10value_typeEPSG_NS1_7vsmem_tEENKUlT_SE_SF_SG_E_clIS8_S8_S9_S9_EESD_ST_SE_SF_SG_EUlST_E1_NS1_11comp_targetILNS1_3genE9ELNS1_11target_archE1100ELNS1_3gpuE3ELNS1_3repE0EEENS1_36merge_oddeven_config_static_selectorELNS0_4arch9wavefront6targetE0EEEvSF_.num_named_barrier, 0
	.set _ZN7rocprim17ROCPRIM_400000_NS6detail17trampoline_kernelINS0_14default_configENS1_38merge_sort_block_merge_config_selectorItNS0_10empty_typeEEEZZNS1_27merge_sort_block_merge_implIS3_PtPS5_jNS1_19radix_merge_compareILb0ELb1EtNS0_19identity_decomposerEEEEE10hipError_tT0_T1_T2_jT3_P12ihipStream_tbPNSt15iterator_traitsISE_E10value_typeEPNSK_ISF_E10value_typeEPSG_NS1_7vsmem_tEENKUlT_SE_SF_SG_E_clIS8_S8_S9_S9_EESD_ST_SE_SF_SG_EUlST_E1_NS1_11comp_targetILNS1_3genE9ELNS1_11target_archE1100ELNS1_3gpuE3ELNS1_3repE0EEENS1_36merge_oddeven_config_static_selectorELNS0_4arch9wavefront6targetE0EEEvSF_.private_seg_size, 0
	.set _ZN7rocprim17ROCPRIM_400000_NS6detail17trampoline_kernelINS0_14default_configENS1_38merge_sort_block_merge_config_selectorItNS0_10empty_typeEEEZZNS1_27merge_sort_block_merge_implIS3_PtPS5_jNS1_19radix_merge_compareILb0ELb1EtNS0_19identity_decomposerEEEEE10hipError_tT0_T1_T2_jT3_P12ihipStream_tbPNSt15iterator_traitsISE_E10value_typeEPNSK_ISF_E10value_typeEPSG_NS1_7vsmem_tEENKUlT_SE_SF_SG_E_clIS8_S8_S9_S9_EESD_ST_SE_SF_SG_EUlST_E1_NS1_11comp_targetILNS1_3genE9ELNS1_11target_archE1100ELNS1_3gpuE3ELNS1_3repE0EEENS1_36merge_oddeven_config_static_selectorELNS0_4arch9wavefront6targetE0EEEvSF_.uses_vcc, 0
	.set _ZN7rocprim17ROCPRIM_400000_NS6detail17trampoline_kernelINS0_14default_configENS1_38merge_sort_block_merge_config_selectorItNS0_10empty_typeEEEZZNS1_27merge_sort_block_merge_implIS3_PtPS5_jNS1_19radix_merge_compareILb0ELb1EtNS0_19identity_decomposerEEEEE10hipError_tT0_T1_T2_jT3_P12ihipStream_tbPNSt15iterator_traitsISE_E10value_typeEPNSK_ISF_E10value_typeEPSG_NS1_7vsmem_tEENKUlT_SE_SF_SG_E_clIS8_S8_S9_S9_EESD_ST_SE_SF_SG_EUlST_E1_NS1_11comp_targetILNS1_3genE9ELNS1_11target_archE1100ELNS1_3gpuE3ELNS1_3repE0EEENS1_36merge_oddeven_config_static_selectorELNS0_4arch9wavefront6targetE0EEEvSF_.uses_flat_scratch, 0
	.set _ZN7rocprim17ROCPRIM_400000_NS6detail17trampoline_kernelINS0_14default_configENS1_38merge_sort_block_merge_config_selectorItNS0_10empty_typeEEEZZNS1_27merge_sort_block_merge_implIS3_PtPS5_jNS1_19radix_merge_compareILb0ELb1EtNS0_19identity_decomposerEEEEE10hipError_tT0_T1_T2_jT3_P12ihipStream_tbPNSt15iterator_traitsISE_E10value_typeEPNSK_ISF_E10value_typeEPSG_NS1_7vsmem_tEENKUlT_SE_SF_SG_E_clIS8_S8_S9_S9_EESD_ST_SE_SF_SG_EUlST_E1_NS1_11comp_targetILNS1_3genE9ELNS1_11target_archE1100ELNS1_3gpuE3ELNS1_3repE0EEENS1_36merge_oddeven_config_static_selectorELNS0_4arch9wavefront6targetE0EEEvSF_.has_dyn_sized_stack, 0
	.set _ZN7rocprim17ROCPRIM_400000_NS6detail17trampoline_kernelINS0_14default_configENS1_38merge_sort_block_merge_config_selectorItNS0_10empty_typeEEEZZNS1_27merge_sort_block_merge_implIS3_PtPS5_jNS1_19radix_merge_compareILb0ELb1EtNS0_19identity_decomposerEEEEE10hipError_tT0_T1_T2_jT3_P12ihipStream_tbPNSt15iterator_traitsISE_E10value_typeEPNSK_ISF_E10value_typeEPSG_NS1_7vsmem_tEENKUlT_SE_SF_SG_E_clIS8_S8_S9_S9_EESD_ST_SE_SF_SG_EUlST_E1_NS1_11comp_targetILNS1_3genE9ELNS1_11target_archE1100ELNS1_3gpuE3ELNS1_3repE0EEENS1_36merge_oddeven_config_static_selectorELNS0_4arch9wavefront6targetE0EEEvSF_.has_recursion, 0
	.set _ZN7rocprim17ROCPRIM_400000_NS6detail17trampoline_kernelINS0_14default_configENS1_38merge_sort_block_merge_config_selectorItNS0_10empty_typeEEEZZNS1_27merge_sort_block_merge_implIS3_PtPS5_jNS1_19radix_merge_compareILb0ELb1EtNS0_19identity_decomposerEEEEE10hipError_tT0_T1_T2_jT3_P12ihipStream_tbPNSt15iterator_traitsISE_E10value_typeEPNSK_ISF_E10value_typeEPSG_NS1_7vsmem_tEENKUlT_SE_SF_SG_E_clIS8_S8_S9_S9_EESD_ST_SE_SF_SG_EUlST_E1_NS1_11comp_targetILNS1_3genE9ELNS1_11target_archE1100ELNS1_3gpuE3ELNS1_3repE0EEENS1_36merge_oddeven_config_static_selectorELNS0_4arch9wavefront6targetE0EEEvSF_.has_indirect_call, 0
	.section	.AMDGPU.csdata,"",@progbits
; Kernel info:
; codeLenInByte = 0
; TotalNumSgprs: 0
; NumVgprs: 0
; ScratchSize: 0
; MemoryBound: 0
; FloatMode: 240
; IeeeMode: 1
; LDSByteSize: 0 bytes/workgroup (compile time only)
; SGPRBlocks: 0
; VGPRBlocks: 0
; NumSGPRsForWavesPerEU: 1
; NumVGPRsForWavesPerEU: 1
; NamedBarCnt: 0
; Occupancy: 16
; WaveLimiterHint : 0
; COMPUTE_PGM_RSRC2:SCRATCH_EN: 0
; COMPUTE_PGM_RSRC2:USER_SGPR: 2
; COMPUTE_PGM_RSRC2:TRAP_HANDLER: 0
; COMPUTE_PGM_RSRC2:TGID_X_EN: 1
; COMPUTE_PGM_RSRC2:TGID_Y_EN: 0
; COMPUTE_PGM_RSRC2:TGID_Z_EN: 0
; COMPUTE_PGM_RSRC2:TIDIG_COMP_CNT: 0
	.section	.text._ZN7rocprim17ROCPRIM_400000_NS6detail17trampoline_kernelINS0_14default_configENS1_38merge_sort_block_merge_config_selectorItNS0_10empty_typeEEEZZNS1_27merge_sort_block_merge_implIS3_PtPS5_jNS1_19radix_merge_compareILb0ELb1EtNS0_19identity_decomposerEEEEE10hipError_tT0_T1_T2_jT3_P12ihipStream_tbPNSt15iterator_traitsISE_E10value_typeEPNSK_ISF_E10value_typeEPSG_NS1_7vsmem_tEENKUlT_SE_SF_SG_E_clIS8_S8_S9_S9_EESD_ST_SE_SF_SG_EUlST_E1_NS1_11comp_targetILNS1_3genE8ELNS1_11target_archE1030ELNS1_3gpuE2ELNS1_3repE0EEENS1_36merge_oddeven_config_static_selectorELNS0_4arch9wavefront6targetE0EEEvSF_,"axG",@progbits,_ZN7rocprim17ROCPRIM_400000_NS6detail17trampoline_kernelINS0_14default_configENS1_38merge_sort_block_merge_config_selectorItNS0_10empty_typeEEEZZNS1_27merge_sort_block_merge_implIS3_PtPS5_jNS1_19radix_merge_compareILb0ELb1EtNS0_19identity_decomposerEEEEE10hipError_tT0_T1_T2_jT3_P12ihipStream_tbPNSt15iterator_traitsISE_E10value_typeEPNSK_ISF_E10value_typeEPSG_NS1_7vsmem_tEENKUlT_SE_SF_SG_E_clIS8_S8_S9_S9_EESD_ST_SE_SF_SG_EUlST_E1_NS1_11comp_targetILNS1_3genE8ELNS1_11target_archE1030ELNS1_3gpuE2ELNS1_3repE0EEENS1_36merge_oddeven_config_static_selectorELNS0_4arch9wavefront6targetE0EEEvSF_,comdat
	.protected	_ZN7rocprim17ROCPRIM_400000_NS6detail17trampoline_kernelINS0_14default_configENS1_38merge_sort_block_merge_config_selectorItNS0_10empty_typeEEEZZNS1_27merge_sort_block_merge_implIS3_PtPS5_jNS1_19radix_merge_compareILb0ELb1EtNS0_19identity_decomposerEEEEE10hipError_tT0_T1_T2_jT3_P12ihipStream_tbPNSt15iterator_traitsISE_E10value_typeEPNSK_ISF_E10value_typeEPSG_NS1_7vsmem_tEENKUlT_SE_SF_SG_E_clIS8_S8_S9_S9_EESD_ST_SE_SF_SG_EUlST_E1_NS1_11comp_targetILNS1_3genE8ELNS1_11target_archE1030ELNS1_3gpuE2ELNS1_3repE0EEENS1_36merge_oddeven_config_static_selectorELNS0_4arch9wavefront6targetE0EEEvSF_ ; -- Begin function _ZN7rocprim17ROCPRIM_400000_NS6detail17trampoline_kernelINS0_14default_configENS1_38merge_sort_block_merge_config_selectorItNS0_10empty_typeEEEZZNS1_27merge_sort_block_merge_implIS3_PtPS5_jNS1_19radix_merge_compareILb0ELb1EtNS0_19identity_decomposerEEEEE10hipError_tT0_T1_T2_jT3_P12ihipStream_tbPNSt15iterator_traitsISE_E10value_typeEPNSK_ISF_E10value_typeEPSG_NS1_7vsmem_tEENKUlT_SE_SF_SG_E_clIS8_S8_S9_S9_EESD_ST_SE_SF_SG_EUlST_E1_NS1_11comp_targetILNS1_3genE8ELNS1_11target_archE1030ELNS1_3gpuE2ELNS1_3repE0EEENS1_36merge_oddeven_config_static_selectorELNS0_4arch9wavefront6targetE0EEEvSF_
	.globl	_ZN7rocprim17ROCPRIM_400000_NS6detail17trampoline_kernelINS0_14default_configENS1_38merge_sort_block_merge_config_selectorItNS0_10empty_typeEEEZZNS1_27merge_sort_block_merge_implIS3_PtPS5_jNS1_19radix_merge_compareILb0ELb1EtNS0_19identity_decomposerEEEEE10hipError_tT0_T1_T2_jT3_P12ihipStream_tbPNSt15iterator_traitsISE_E10value_typeEPNSK_ISF_E10value_typeEPSG_NS1_7vsmem_tEENKUlT_SE_SF_SG_E_clIS8_S8_S9_S9_EESD_ST_SE_SF_SG_EUlST_E1_NS1_11comp_targetILNS1_3genE8ELNS1_11target_archE1030ELNS1_3gpuE2ELNS1_3repE0EEENS1_36merge_oddeven_config_static_selectorELNS0_4arch9wavefront6targetE0EEEvSF_
	.p2align	8
	.type	_ZN7rocprim17ROCPRIM_400000_NS6detail17trampoline_kernelINS0_14default_configENS1_38merge_sort_block_merge_config_selectorItNS0_10empty_typeEEEZZNS1_27merge_sort_block_merge_implIS3_PtPS5_jNS1_19radix_merge_compareILb0ELb1EtNS0_19identity_decomposerEEEEE10hipError_tT0_T1_T2_jT3_P12ihipStream_tbPNSt15iterator_traitsISE_E10value_typeEPNSK_ISF_E10value_typeEPSG_NS1_7vsmem_tEENKUlT_SE_SF_SG_E_clIS8_S8_S9_S9_EESD_ST_SE_SF_SG_EUlST_E1_NS1_11comp_targetILNS1_3genE8ELNS1_11target_archE1030ELNS1_3gpuE2ELNS1_3repE0EEENS1_36merge_oddeven_config_static_selectorELNS0_4arch9wavefront6targetE0EEEvSF_,@function
_ZN7rocprim17ROCPRIM_400000_NS6detail17trampoline_kernelINS0_14default_configENS1_38merge_sort_block_merge_config_selectorItNS0_10empty_typeEEEZZNS1_27merge_sort_block_merge_implIS3_PtPS5_jNS1_19radix_merge_compareILb0ELb1EtNS0_19identity_decomposerEEEEE10hipError_tT0_T1_T2_jT3_P12ihipStream_tbPNSt15iterator_traitsISE_E10value_typeEPNSK_ISF_E10value_typeEPSG_NS1_7vsmem_tEENKUlT_SE_SF_SG_E_clIS8_S8_S9_S9_EESD_ST_SE_SF_SG_EUlST_E1_NS1_11comp_targetILNS1_3genE8ELNS1_11target_archE1030ELNS1_3gpuE2ELNS1_3repE0EEENS1_36merge_oddeven_config_static_selectorELNS0_4arch9wavefront6targetE0EEEvSF_: ; @_ZN7rocprim17ROCPRIM_400000_NS6detail17trampoline_kernelINS0_14default_configENS1_38merge_sort_block_merge_config_selectorItNS0_10empty_typeEEEZZNS1_27merge_sort_block_merge_implIS3_PtPS5_jNS1_19radix_merge_compareILb0ELb1EtNS0_19identity_decomposerEEEEE10hipError_tT0_T1_T2_jT3_P12ihipStream_tbPNSt15iterator_traitsISE_E10value_typeEPNSK_ISF_E10value_typeEPSG_NS1_7vsmem_tEENKUlT_SE_SF_SG_E_clIS8_S8_S9_S9_EESD_ST_SE_SF_SG_EUlST_E1_NS1_11comp_targetILNS1_3genE8ELNS1_11target_archE1030ELNS1_3gpuE2ELNS1_3repE0EEENS1_36merge_oddeven_config_static_selectorELNS0_4arch9wavefront6targetE0EEEvSF_
; %bb.0:
	.section	.rodata,"a",@progbits
	.p2align	6, 0x0
	.amdhsa_kernel _ZN7rocprim17ROCPRIM_400000_NS6detail17trampoline_kernelINS0_14default_configENS1_38merge_sort_block_merge_config_selectorItNS0_10empty_typeEEEZZNS1_27merge_sort_block_merge_implIS3_PtPS5_jNS1_19radix_merge_compareILb0ELb1EtNS0_19identity_decomposerEEEEE10hipError_tT0_T1_T2_jT3_P12ihipStream_tbPNSt15iterator_traitsISE_E10value_typeEPNSK_ISF_E10value_typeEPSG_NS1_7vsmem_tEENKUlT_SE_SF_SG_E_clIS8_S8_S9_S9_EESD_ST_SE_SF_SG_EUlST_E1_NS1_11comp_targetILNS1_3genE8ELNS1_11target_archE1030ELNS1_3gpuE2ELNS1_3repE0EEENS1_36merge_oddeven_config_static_selectorELNS0_4arch9wavefront6targetE0EEEvSF_
		.amdhsa_group_segment_fixed_size 0
		.amdhsa_private_segment_fixed_size 0
		.amdhsa_kernarg_size 48
		.amdhsa_user_sgpr_count 2
		.amdhsa_user_sgpr_dispatch_ptr 0
		.amdhsa_user_sgpr_queue_ptr 0
		.amdhsa_user_sgpr_kernarg_segment_ptr 1
		.amdhsa_user_sgpr_dispatch_id 0
		.amdhsa_user_sgpr_kernarg_preload_length 0
		.amdhsa_user_sgpr_kernarg_preload_offset 0
		.amdhsa_user_sgpr_private_segment_size 0
		.amdhsa_wavefront_size32 1
		.amdhsa_uses_dynamic_stack 0
		.amdhsa_enable_private_segment 0
		.amdhsa_system_sgpr_workgroup_id_x 1
		.amdhsa_system_sgpr_workgroup_id_y 0
		.amdhsa_system_sgpr_workgroup_id_z 0
		.amdhsa_system_sgpr_workgroup_info 0
		.amdhsa_system_vgpr_workitem_id 0
		.amdhsa_next_free_vgpr 1
		.amdhsa_next_free_sgpr 1
		.amdhsa_named_barrier_count 0
		.amdhsa_reserve_vcc 0
		.amdhsa_float_round_mode_32 0
		.amdhsa_float_round_mode_16_64 0
		.amdhsa_float_denorm_mode_32 3
		.amdhsa_float_denorm_mode_16_64 3
		.amdhsa_fp16_overflow 0
		.amdhsa_memory_ordered 1
		.amdhsa_forward_progress 1
		.amdhsa_inst_pref_size 0
		.amdhsa_round_robin_scheduling 0
		.amdhsa_exception_fp_ieee_invalid_op 0
		.amdhsa_exception_fp_denorm_src 0
		.amdhsa_exception_fp_ieee_div_zero 0
		.amdhsa_exception_fp_ieee_overflow 0
		.amdhsa_exception_fp_ieee_underflow 0
		.amdhsa_exception_fp_ieee_inexact 0
		.amdhsa_exception_int_div_zero 0
	.end_amdhsa_kernel
	.section	.text._ZN7rocprim17ROCPRIM_400000_NS6detail17trampoline_kernelINS0_14default_configENS1_38merge_sort_block_merge_config_selectorItNS0_10empty_typeEEEZZNS1_27merge_sort_block_merge_implIS3_PtPS5_jNS1_19radix_merge_compareILb0ELb1EtNS0_19identity_decomposerEEEEE10hipError_tT0_T1_T2_jT3_P12ihipStream_tbPNSt15iterator_traitsISE_E10value_typeEPNSK_ISF_E10value_typeEPSG_NS1_7vsmem_tEENKUlT_SE_SF_SG_E_clIS8_S8_S9_S9_EESD_ST_SE_SF_SG_EUlST_E1_NS1_11comp_targetILNS1_3genE8ELNS1_11target_archE1030ELNS1_3gpuE2ELNS1_3repE0EEENS1_36merge_oddeven_config_static_selectorELNS0_4arch9wavefront6targetE0EEEvSF_,"axG",@progbits,_ZN7rocprim17ROCPRIM_400000_NS6detail17trampoline_kernelINS0_14default_configENS1_38merge_sort_block_merge_config_selectorItNS0_10empty_typeEEEZZNS1_27merge_sort_block_merge_implIS3_PtPS5_jNS1_19radix_merge_compareILb0ELb1EtNS0_19identity_decomposerEEEEE10hipError_tT0_T1_T2_jT3_P12ihipStream_tbPNSt15iterator_traitsISE_E10value_typeEPNSK_ISF_E10value_typeEPSG_NS1_7vsmem_tEENKUlT_SE_SF_SG_E_clIS8_S8_S9_S9_EESD_ST_SE_SF_SG_EUlST_E1_NS1_11comp_targetILNS1_3genE8ELNS1_11target_archE1030ELNS1_3gpuE2ELNS1_3repE0EEENS1_36merge_oddeven_config_static_selectorELNS0_4arch9wavefront6targetE0EEEvSF_,comdat
.Lfunc_end2478:
	.size	_ZN7rocprim17ROCPRIM_400000_NS6detail17trampoline_kernelINS0_14default_configENS1_38merge_sort_block_merge_config_selectorItNS0_10empty_typeEEEZZNS1_27merge_sort_block_merge_implIS3_PtPS5_jNS1_19radix_merge_compareILb0ELb1EtNS0_19identity_decomposerEEEEE10hipError_tT0_T1_T2_jT3_P12ihipStream_tbPNSt15iterator_traitsISE_E10value_typeEPNSK_ISF_E10value_typeEPSG_NS1_7vsmem_tEENKUlT_SE_SF_SG_E_clIS8_S8_S9_S9_EESD_ST_SE_SF_SG_EUlST_E1_NS1_11comp_targetILNS1_3genE8ELNS1_11target_archE1030ELNS1_3gpuE2ELNS1_3repE0EEENS1_36merge_oddeven_config_static_selectorELNS0_4arch9wavefront6targetE0EEEvSF_, .Lfunc_end2478-_ZN7rocprim17ROCPRIM_400000_NS6detail17trampoline_kernelINS0_14default_configENS1_38merge_sort_block_merge_config_selectorItNS0_10empty_typeEEEZZNS1_27merge_sort_block_merge_implIS3_PtPS5_jNS1_19radix_merge_compareILb0ELb1EtNS0_19identity_decomposerEEEEE10hipError_tT0_T1_T2_jT3_P12ihipStream_tbPNSt15iterator_traitsISE_E10value_typeEPNSK_ISF_E10value_typeEPSG_NS1_7vsmem_tEENKUlT_SE_SF_SG_E_clIS8_S8_S9_S9_EESD_ST_SE_SF_SG_EUlST_E1_NS1_11comp_targetILNS1_3genE8ELNS1_11target_archE1030ELNS1_3gpuE2ELNS1_3repE0EEENS1_36merge_oddeven_config_static_selectorELNS0_4arch9wavefront6targetE0EEEvSF_
                                        ; -- End function
	.set _ZN7rocprim17ROCPRIM_400000_NS6detail17trampoline_kernelINS0_14default_configENS1_38merge_sort_block_merge_config_selectorItNS0_10empty_typeEEEZZNS1_27merge_sort_block_merge_implIS3_PtPS5_jNS1_19radix_merge_compareILb0ELb1EtNS0_19identity_decomposerEEEEE10hipError_tT0_T1_T2_jT3_P12ihipStream_tbPNSt15iterator_traitsISE_E10value_typeEPNSK_ISF_E10value_typeEPSG_NS1_7vsmem_tEENKUlT_SE_SF_SG_E_clIS8_S8_S9_S9_EESD_ST_SE_SF_SG_EUlST_E1_NS1_11comp_targetILNS1_3genE8ELNS1_11target_archE1030ELNS1_3gpuE2ELNS1_3repE0EEENS1_36merge_oddeven_config_static_selectorELNS0_4arch9wavefront6targetE0EEEvSF_.num_vgpr, 0
	.set _ZN7rocprim17ROCPRIM_400000_NS6detail17trampoline_kernelINS0_14default_configENS1_38merge_sort_block_merge_config_selectorItNS0_10empty_typeEEEZZNS1_27merge_sort_block_merge_implIS3_PtPS5_jNS1_19radix_merge_compareILb0ELb1EtNS0_19identity_decomposerEEEEE10hipError_tT0_T1_T2_jT3_P12ihipStream_tbPNSt15iterator_traitsISE_E10value_typeEPNSK_ISF_E10value_typeEPSG_NS1_7vsmem_tEENKUlT_SE_SF_SG_E_clIS8_S8_S9_S9_EESD_ST_SE_SF_SG_EUlST_E1_NS1_11comp_targetILNS1_3genE8ELNS1_11target_archE1030ELNS1_3gpuE2ELNS1_3repE0EEENS1_36merge_oddeven_config_static_selectorELNS0_4arch9wavefront6targetE0EEEvSF_.num_agpr, 0
	.set _ZN7rocprim17ROCPRIM_400000_NS6detail17trampoline_kernelINS0_14default_configENS1_38merge_sort_block_merge_config_selectorItNS0_10empty_typeEEEZZNS1_27merge_sort_block_merge_implIS3_PtPS5_jNS1_19radix_merge_compareILb0ELb1EtNS0_19identity_decomposerEEEEE10hipError_tT0_T1_T2_jT3_P12ihipStream_tbPNSt15iterator_traitsISE_E10value_typeEPNSK_ISF_E10value_typeEPSG_NS1_7vsmem_tEENKUlT_SE_SF_SG_E_clIS8_S8_S9_S9_EESD_ST_SE_SF_SG_EUlST_E1_NS1_11comp_targetILNS1_3genE8ELNS1_11target_archE1030ELNS1_3gpuE2ELNS1_3repE0EEENS1_36merge_oddeven_config_static_selectorELNS0_4arch9wavefront6targetE0EEEvSF_.numbered_sgpr, 0
	.set _ZN7rocprim17ROCPRIM_400000_NS6detail17trampoline_kernelINS0_14default_configENS1_38merge_sort_block_merge_config_selectorItNS0_10empty_typeEEEZZNS1_27merge_sort_block_merge_implIS3_PtPS5_jNS1_19radix_merge_compareILb0ELb1EtNS0_19identity_decomposerEEEEE10hipError_tT0_T1_T2_jT3_P12ihipStream_tbPNSt15iterator_traitsISE_E10value_typeEPNSK_ISF_E10value_typeEPSG_NS1_7vsmem_tEENKUlT_SE_SF_SG_E_clIS8_S8_S9_S9_EESD_ST_SE_SF_SG_EUlST_E1_NS1_11comp_targetILNS1_3genE8ELNS1_11target_archE1030ELNS1_3gpuE2ELNS1_3repE0EEENS1_36merge_oddeven_config_static_selectorELNS0_4arch9wavefront6targetE0EEEvSF_.num_named_barrier, 0
	.set _ZN7rocprim17ROCPRIM_400000_NS6detail17trampoline_kernelINS0_14default_configENS1_38merge_sort_block_merge_config_selectorItNS0_10empty_typeEEEZZNS1_27merge_sort_block_merge_implIS3_PtPS5_jNS1_19radix_merge_compareILb0ELb1EtNS0_19identity_decomposerEEEEE10hipError_tT0_T1_T2_jT3_P12ihipStream_tbPNSt15iterator_traitsISE_E10value_typeEPNSK_ISF_E10value_typeEPSG_NS1_7vsmem_tEENKUlT_SE_SF_SG_E_clIS8_S8_S9_S9_EESD_ST_SE_SF_SG_EUlST_E1_NS1_11comp_targetILNS1_3genE8ELNS1_11target_archE1030ELNS1_3gpuE2ELNS1_3repE0EEENS1_36merge_oddeven_config_static_selectorELNS0_4arch9wavefront6targetE0EEEvSF_.private_seg_size, 0
	.set _ZN7rocprim17ROCPRIM_400000_NS6detail17trampoline_kernelINS0_14default_configENS1_38merge_sort_block_merge_config_selectorItNS0_10empty_typeEEEZZNS1_27merge_sort_block_merge_implIS3_PtPS5_jNS1_19radix_merge_compareILb0ELb1EtNS0_19identity_decomposerEEEEE10hipError_tT0_T1_T2_jT3_P12ihipStream_tbPNSt15iterator_traitsISE_E10value_typeEPNSK_ISF_E10value_typeEPSG_NS1_7vsmem_tEENKUlT_SE_SF_SG_E_clIS8_S8_S9_S9_EESD_ST_SE_SF_SG_EUlST_E1_NS1_11comp_targetILNS1_3genE8ELNS1_11target_archE1030ELNS1_3gpuE2ELNS1_3repE0EEENS1_36merge_oddeven_config_static_selectorELNS0_4arch9wavefront6targetE0EEEvSF_.uses_vcc, 0
	.set _ZN7rocprim17ROCPRIM_400000_NS6detail17trampoline_kernelINS0_14default_configENS1_38merge_sort_block_merge_config_selectorItNS0_10empty_typeEEEZZNS1_27merge_sort_block_merge_implIS3_PtPS5_jNS1_19radix_merge_compareILb0ELb1EtNS0_19identity_decomposerEEEEE10hipError_tT0_T1_T2_jT3_P12ihipStream_tbPNSt15iterator_traitsISE_E10value_typeEPNSK_ISF_E10value_typeEPSG_NS1_7vsmem_tEENKUlT_SE_SF_SG_E_clIS8_S8_S9_S9_EESD_ST_SE_SF_SG_EUlST_E1_NS1_11comp_targetILNS1_3genE8ELNS1_11target_archE1030ELNS1_3gpuE2ELNS1_3repE0EEENS1_36merge_oddeven_config_static_selectorELNS0_4arch9wavefront6targetE0EEEvSF_.uses_flat_scratch, 0
	.set _ZN7rocprim17ROCPRIM_400000_NS6detail17trampoline_kernelINS0_14default_configENS1_38merge_sort_block_merge_config_selectorItNS0_10empty_typeEEEZZNS1_27merge_sort_block_merge_implIS3_PtPS5_jNS1_19radix_merge_compareILb0ELb1EtNS0_19identity_decomposerEEEEE10hipError_tT0_T1_T2_jT3_P12ihipStream_tbPNSt15iterator_traitsISE_E10value_typeEPNSK_ISF_E10value_typeEPSG_NS1_7vsmem_tEENKUlT_SE_SF_SG_E_clIS8_S8_S9_S9_EESD_ST_SE_SF_SG_EUlST_E1_NS1_11comp_targetILNS1_3genE8ELNS1_11target_archE1030ELNS1_3gpuE2ELNS1_3repE0EEENS1_36merge_oddeven_config_static_selectorELNS0_4arch9wavefront6targetE0EEEvSF_.has_dyn_sized_stack, 0
	.set _ZN7rocprim17ROCPRIM_400000_NS6detail17trampoline_kernelINS0_14default_configENS1_38merge_sort_block_merge_config_selectorItNS0_10empty_typeEEEZZNS1_27merge_sort_block_merge_implIS3_PtPS5_jNS1_19radix_merge_compareILb0ELb1EtNS0_19identity_decomposerEEEEE10hipError_tT0_T1_T2_jT3_P12ihipStream_tbPNSt15iterator_traitsISE_E10value_typeEPNSK_ISF_E10value_typeEPSG_NS1_7vsmem_tEENKUlT_SE_SF_SG_E_clIS8_S8_S9_S9_EESD_ST_SE_SF_SG_EUlST_E1_NS1_11comp_targetILNS1_3genE8ELNS1_11target_archE1030ELNS1_3gpuE2ELNS1_3repE0EEENS1_36merge_oddeven_config_static_selectorELNS0_4arch9wavefront6targetE0EEEvSF_.has_recursion, 0
	.set _ZN7rocprim17ROCPRIM_400000_NS6detail17trampoline_kernelINS0_14default_configENS1_38merge_sort_block_merge_config_selectorItNS0_10empty_typeEEEZZNS1_27merge_sort_block_merge_implIS3_PtPS5_jNS1_19radix_merge_compareILb0ELb1EtNS0_19identity_decomposerEEEEE10hipError_tT0_T1_T2_jT3_P12ihipStream_tbPNSt15iterator_traitsISE_E10value_typeEPNSK_ISF_E10value_typeEPSG_NS1_7vsmem_tEENKUlT_SE_SF_SG_E_clIS8_S8_S9_S9_EESD_ST_SE_SF_SG_EUlST_E1_NS1_11comp_targetILNS1_3genE8ELNS1_11target_archE1030ELNS1_3gpuE2ELNS1_3repE0EEENS1_36merge_oddeven_config_static_selectorELNS0_4arch9wavefront6targetE0EEEvSF_.has_indirect_call, 0
	.section	.AMDGPU.csdata,"",@progbits
; Kernel info:
; codeLenInByte = 0
; TotalNumSgprs: 0
; NumVgprs: 0
; ScratchSize: 0
; MemoryBound: 0
; FloatMode: 240
; IeeeMode: 1
; LDSByteSize: 0 bytes/workgroup (compile time only)
; SGPRBlocks: 0
; VGPRBlocks: 0
; NumSGPRsForWavesPerEU: 1
; NumVGPRsForWavesPerEU: 1
; NamedBarCnt: 0
; Occupancy: 16
; WaveLimiterHint : 0
; COMPUTE_PGM_RSRC2:SCRATCH_EN: 0
; COMPUTE_PGM_RSRC2:USER_SGPR: 2
; COMPUTE_PGM_RSRC2:TRAP_HANDLER: 0
; COMPUTE_PGM_RSRC2:TGID_X_EN: 1
; COMPUTE_PGM_RSRC2:TGID_Y_EN: 0
; COMPUTE_PGM_RSRC2:TGID_Z_EN: 0
; COMPUTE_PGM_RSRC2:TIDIG_COMP_CNT: 0
	.section	.text._ZN7rocprim17ROCPRIM_400000_NS6detail17trampoline_kernelINS0_14default_configENS1_35radix_sort_onesweep_config_selectorItNS0_10empty_typeEEEZNS1_34radix_sort_onesweep_global_offsetsIS3_Lb0EPKtPS5_mNS0_19identity_decomposerEEE10hipError_tT1_T2_PT3_SF_jT4_jjP12ihipStream_tbEUlT_E_NS1_11comp_targetILNS1_3genE0ELNS1_11target_archE4294967295ELNS1_3gpuE0ELNS1_3repE0EEENS1_52radix_sort_onesweep_histogram_config_static_selectorELNS0_4arch9wavefront6targetE0EEEvSD_,"axG",@progbits,_ZN7rocprim17ROCPRIM_400000_NS6detail17trampoline_kernelINS0_14default_configENS1_35radix_sort_onesweep_config_selectorItNS0_10empty_typeEEEZNS1_34radix_sort_onesweep_global_offsetsIS3_Lb0EPKtPS5_mNS0_19identity_decomposerEEE10hipError_tT1_T2_PT3_SF_jT4_jjP12ihipStream_tbEUlT_E_NS1_11comp_targetILNS1_3genE0ELNS1_11target_archE4294967295ELNS1_3gpuE0ELNS1_3repE0EEENS1_52radix_sort_onesweep_histogram_config_static_selectorELNS0_4arch9wavefront6targetE0EEEvSD_,comdat
	.protected	_ZN7rocprim17ROCPRIM_400000_NS6detail17trampoline_kernelINS0_14default_configENS1_35radix_sort_onesweep_config_selectorItNS0_10empty_typeEEEZNS1_34radix_sort_onesweep_global_offsetsIS3_Lb0EPKtPS5_mNS0_19identity_decomposerEEE10hipError_tT1_T2_PT3_SF_jT4_jjP12ihipStream_tbEUlT_E_NS1_11comp_targetILNS1_3genE0ELNS1_11target_archE4294967295ELNS1_3gpuE0ELNS1_3repE0EEENS1_52radix_sort_onesweep_histogram_config_static_selectorELNS0_4arch9wavefront6targetE0EEEvSD_ ; -- Begin function _ZN7rocprim17ROCPRIM_400000_NS6detail17trampoline_kernelINS0_14default_configENS1_35radix_sort_onesweep_config_selectorItNS0_10empty_typeEEEZNS1_34radix_sort_onesweep_global_offsetsIS3_Lb0EPKtPS5_mNS0_19identity_decomposerEEE10hipError_tT1_T2_PT3_SF_jT4_jjP12ihipStream_tbEUlT_E_NS1_11comp_targetILNS1_3genE0ELNS1_11target_archE4294967295ELNS1_3gpuE0ELNS1_3repE0EEENS1_52radix_sort_onesweep_histogram_config_static_selectorELNS0_4arch9wavefront6targetE0EEEvSD_
	.globl	_ZN7rocprim17ROCPRIM_400000_NS6detail17trampoline_kernelINS0_14default_configENS1_35radix_sort_onesweep_config_selectorItNS0_10empty_typeEEEZNS1_34radix_sort_onesweep_global_offsetsIS3_Lb0EPKtPS5_mNS0_19identity_decomposerEEE10hipError_tT1_T2_PT3_SF_jT4_jjP12ihipStream_tbEUlT_E_NS1_11comp_targetILNS1_3genE0ELNS1_11target_archE4294967295ELNS1_3gpuE0ELNS1_3repE0EEENS1_52radix_sort_onesweep_histogram_config_static_selectorELNS0_4arch9wavefront6targetE0EEEvSD_
	.p2align	8
	.type	_ZN7rocprim17ROCPRIM_400000_NS6detail17trampoline_kernelINS0_14default_configENS1_35radix_sort_onesweep_config_selectorItNS0_10empty_typeEEEZNS1_34radix_sort_onesweep_global_offsetsIS3_Lb0EPKtPS5_mNS0_19identity_decomposerEEE10hipError_tT1_T2_PT3_SF_jT4_jjP12ihipStream_tbEUlT_E_NS1_11comp_targetILNS1_3genE0ELNS1_11target_archE4294967295ELNS1_3gpuE0ELNS1_3repE0EEENS1_52radix_sort_onesweep_histogram_config_static_selectorELNS0_4arch9wavefront6targetE0EEEvSD_,@function
_ZN7rocprim17ROCPRIM_400000_NS6detail17trampoline_kernelINS0_14default_configENS1_35radix_sort_onesweep_config_selectorItNS0_10empty_typeEEEZNS1_34radix_sort_onesweep_global_offsetsIS3_Lb0EPKtPS5_mNS0_19identity_decomposerEEE10hipError_tT1_T2_PT3_SF_jT4_jjP12ihipStream_tbEUlT_E_NS1_11comp_targetILNS1_3genE0ELNS1_11target_archE4294967295ELNS1_3gpuE0ELNS1_3repE0EEENS1_52radix_sort_onesweep_histogram_config_static_selectorELNS0_4arch9wavefront6targetE0EEEvSD_: ; @_ZN7rocprim17ROCPRIM_400000_NS6detail17trampoline_kernelINS0_14default_configENS1_35radix_sort_onesweep_config_selectorItNS0_10empty_typeEEEZNS1_34radix_sort_onesweep_global_offsetsIS3_Lb0EPKtPS5_mNS0_19identity_decomposerEEE10hipError_tT1_T2_PT3_SF_jT4_jjP12ihipStream_tbEUlT_E_NS1_11comp_targetILNS1_3genE0ELNS1_11target_archE4294967295ELNS1_3gpuE0ELNS1_3repE0EEENS1_52radix_sort_onesweep_histogram_config_static_selectorELNS0_4arch9wavefront6targetE0EEEvSD_
; %bb.0:
	s_clause 0x1
	s_load_b64 s[8:9], s[0:1], 0x18
	s_load_b128 s[4:7], s[0:1], 0x0
	s_bfe_u32 s10, ttmp6, 0x4000c
	s_load_b64 s[2:3], s[0:1], 0x24
	s_add_co_i32 s10, s10, 1
	s_and_b32 s11, ttmp6, 15
	s_mul_i32 s10, ttmp9, s10
	s_getreg_b32 s12, hwreg(HW_REG_IB_STS2, 6, 4)
	s_add_co_i32 s10, s11, s10
	s_cmp_eq_u32 s12, 0
	s_mov_b32 s11, 0
	s_cselect_b32 s10, ttmp9, s10
	s_wait_kmcnt 0x0
	v_cmp_le_u64_e64 s9, s[8:9], s[10:11]
	s_mul_u64 s[10:11], s[10:11], 0x3000
	s_delay_alu instid0(SALU_CYCLE_1)
	s_add_nc_u64 s[4:5], s[4:5], s[10:11]
	s_and_b32 vcc_lo, exec_lo, s9
	s_mov_b32 s9, -1
	s_cbranch_vccz .LBB2479_119
; %bb.1:
	s_load_b32 s1, s[0:1], 0x10
	v_dual_mov_b32 v22, 0 :: v_dual_mov_b32 v24, 0
	s_wait_xcnt 0x0
	s_mul_i32 s0, s8, 0xffffe800
	s_wait_kmcnt 0x0
	s_add_co_i32 s1, s1, s0
	s_mov_b32 s0, exec_lo
	v_cmpx_gt_u32_e64 s1, v0
	s_cbranch_execz .LBB2479_3
; %bb.2:
	global_load_u16 v24, v0, s[4:5] scale_offset
.LBB2479_3:
	s_wait_xcnt 0x0
	s_or_b32 exec_lo, exec_lo, s0
	v_or_b32_e32 v25, 0x200, v0
	s_mov_b32 s0, exec_lo
	s_delay_alu instid0(VALU_DEP_1)
	v_cmpx_gt_u32_e64 s1, v25
	s_cbranch_execz .LBB2479_5
; %bb.4:
	global_load_u16 v22, v0, s[4:5] offset:1024 scale_offset
.LBB2479_5:
	s_wait_xcnt 0x0
	s_or_b32 exec_lo, exec_lo, s0
	v_or_b32_e32 v23, 0x400, v0
	v_dual_mov_b32 v18, 0 :: v_dual_mov_b32 v21, 0
	s_mov_b32 s0, exec_lo
	s_delay_alu instid0(VALU_DEP_2)
	v_cmpx_gt_u32_e64 s1, v23
	s_cbranch_execz .LBB2479_7
; %bb.6:
	global_load_u16 v21, v0, s[4:5] offset:2048 scale_offset
.LBB2479_7:
	s_wait_xcnt 0x0
	s_or_b32 exec_lo, exec_lo, s0
	v_or_b32_e32 v20, 0x600, v0
	s_mov_b32 s0, exec_lo
	s_delay_alu instid0(VALU_DEP_1)
	v_cmpx_gt_u32_e64 s1, v20
	s_cbranch_execz .LBB2479_9
; %bb.8:
	global_load_u16 v18, v0, s[4:5] offset:3072 scale_offset
.LBB2479_9:
	s_wait_xcnt 0x0
	s_or_b32 exec_lo, exec_lo, s0
	v_or_b32_e32 v19, 0x800, v0
	v_dual_mov_b32 v14, 0 :: v_dual_mov_b32 v17, 0
	s_mov_b32 s0, exec_lo
	s_delay_alu instid0(VALU_DEP_2)
	v_cmpx_gt_u32_e64 s1, v19
	s_cbranch_execz .LBB2479_11
; %bb.10:
	global_load_u16 v17, v0, s[4:5] offset:4096 scale_offset
.LBB2479_11:
	;; [unrolled: 21-line block ×5, first 2 shown]
	s_wait_xcnt 0x0
	s_or_b32 exec_lo, exec_lo, s0
	v_or_b32_e32 v4, 0x1600, v0
	s_mov_b32 s0, exec_lo
	s_delay_alu instid0(VALU_DEP_1)
	v_cmpx_gt_u32_e64 s1, v4
	s_cbranch_execz .LBB2479_25
; %bb.24:
	global_load_u16 v1, v0, s[4:5] offset:11264 scale_offset
.LBB2479_25:
	s_wait_xcnt 0x0
	s_or_b32 exec_lo, exec_lo, s0
	v_dual_mov_b32 v3, 0 :: v_dual_lshlrev_b32 v2, 2, v0
	s_mov_b32 s0, -1
	ds_store_2addr_stride64_b32 v2, v3, v3 offset1:8
	s_and_saveexec_b32 s8, s0
; %bb.26:
	ds_store_b32 v2, v3 offset:4096
; %bb.27:
	s_or_b32 exec_lo, exec_lo, s8
	s_and_saveexec_b32 s8, s0
; %bb.28:
	v_mov_b32_e32 v3, 0
	ds_store_b32 v2, v3 offset:6144
; %bb.29:
	s_or_b32 exec_lo, exec_lo, s8
	s_cmp_le_u32 s3, s2
	v_cmp_le_u32_e32 vcc_lo, s1, v0
	s_cselect_b32 s8, -1, 0
	s_wait_loadcnt_dscnt 0x0
	s_and_b32 s0, s8, exec_lo
	s_cselect_b32 s9, 8, 10
	s_delay_alu instid0(SALU_CYCLE_1)
	v_dual_mov_b32 v26, s9 :: v_dual_bitop2_b32 v3, 3, v0 bitop3:0x40
	s_nor_b32 s10, s8, vcc_lo
	s_barrier_signal -1
	s_barrier_wait -1
	s_and_saveexec_b32 s0, s10
	s_cbranch_execz .LBB2479_31
; %bb.30:
	v_dual_lshrrev_b32 v26, s2, v24 :: v_dual_lshlrev_b32 v27, 2, v3
	s_sub_co_i32 s10, s3, s2
	s_delay_alu instid0(SALU_CYCLE_1)
	s_min_u32 s10, s10, 8
	s_delay_alu instid0(VALU_DEP_1) | instid1(SALU_CYCLE_1)
	v_bfe_u32 v26, v26, 0, s10
	s_delay_alu instid0(VALU_DEP_1)
	v_lshl_or_b32 v26, v26, 4, v27
	v_mov_b32_e32 v27, 1
	ds_add_u32 v26, v27
	v_mov_b32_e32 v26, 0
.LBB2479_31:
	s_or_b32 exec_lo, exec_lo, s0
	s_mov_b32 s10, -1
	s_mov_b32 s11, exec_lo
	s_delay_alu instid0(VALU_DEP_1)
	v_cmpx_gt_i32_e32 10, v26
; %bb.32:
	v_cmp_eq_u32_e64 s0, 0, v26
	s_or_not1_b32 s10, s0, exec_lo
; %bb.33:
	s_or_b32 exec_lo, exec_lo, s11
	s_and_saveexec_b32 s0, s10
	s_cbranch_execz .LBB2479_36
; %bb.34:
	s_add_co_i32 s10, s2, 8
	s_delay_alu instid0(SALU_CYCLE_1) | instskip(SKIP_2) | instid1(SALU_CYCLE_1)
	s_cmp_gt_u32 s3, s10
	s_cselect_b32 s11, -1, 0
	s_xor_b32 s12, vcc_lo, -1
	s_and_b32 s11, s11, s12
	s_delay_alu instid0(SALU_CYCLE_1)
	s_and_b32 exec_lo, exec_lo, s11
	s_cbranch_execz .LBB2479_36
; %bb.35:
	v_dual_lshrrev_b32 v24, s10, v24 :: v_dual_lshlrev_b32 v26, 2, v3
	s_sub_co_i32 s10, s3, s10
	s_delay_alu instid0(SALU_CYCLE_1)
	s_min_u32 s10, s10, 8
	s_delay_alu instid0(VALU_DEP_1) | instid1(SALU_CYCLE_1)
	v_bfe_u32 v24, v24, 0, s10
	s_delay_alu instid0(VALU_DEP_1)
	v_lshl_or_b32 v24, v24, 4, v26
	v_mov_b32_e32 v26, 1
	ds_add_u32 v24, v26 offset:4096
.LBB2479_36:
	s_or_b32 exec_lo, exec_lo, s0
	v_cmp_le_u32_e32 vcc_lo, s1, v25
	v_mov_b32_e32 v24, s9
	s_nor_b32 s10, s8, vcc_lo
	s_delay_alu instid0(SALU_CYCLE_1)
	s_and_saveexec_b32 s0, s10
	s_cbranch_execz .LBB2479_38
; %bb.37:
	v_dual_lshrrev_b32 v24, s2, v22 :: v_dual_lshlrev_b32 v25, 2, v3
	s_sub_co_i32 s10, s3, s2
	s_delay_alu instid0(SALU_CYCLE_1)
	s_min_u32 s10, s10, 8
	s_delay_alu instid0(VALU_DEP_1) | instid1(SALU_CYCLE_1)
	v_bfe_u32 v24, v24, 0, s10
	s_delay_alu instid0(VALU_DEP_1)
	v_lshl_or_b32 v24, v24, 4, v25
	v_mov_b32_e32 v25, 1
	ds_add_u32 v24, v25
	v_mov_b32_e32 v24, 0
.LBB2479_38:
	s_or_b32 exec_lo, exec_lo, s0
	s_mov_b32 s10, -1
	s_mov_b32 s11, exec_lo
	s_delay_alu instid0(VALU_DEP_1)
	v_cmpx_gt_i32_e32 10, v24
; %bb.39:
	v_cmp_eq_u32_e64 s0, 0, v24
	s_or_not1_b32 s10, s0, exec_lo
; %bb.40:
	s_or_b32 exec_lo, exec_lo, s11
	s_and_saveexec_b32 s0, s10
	s_cbranch_execz .LBB2479_43
; %bb.41:
	s_add_co_i32 s10, s2, 8
	s_delay_alu instid0(SALU_CYCLE_1) | instskip(SKIP_2) | instid1(SALU_CYCLE_1)
	s_cmp_gt_u32 s3, s10
	s_cselect_b32 s11, -1, 0
	s_xor_b32 s12, vcc_lo, -1
	s_and_b32 s11, s11, s12
	s_delay_alu instid0(SALU_CYCLE_1)
	s_and_b32 exec_lo, exec_lo, s11
	s_cbranch_execz .LBB2479_43
; %bb.42:
	v_dual_lshrrev_b32 v22, s10, v22 :: v_dual_lshlrev_b32 v24, 2, v3
	s_sub_co_i32 s10, s3, s10
	s_delay_alu instid0(SALU_CYCLE_1)
	s_min_u32 s10, s10, 8
	s_delay_alu instid0(VALU_DEP_1) | instid1(SALU_CYCLE_1)
	v_bfe_u32 v22, v22, 0, s10
	s_delay_alu instid0(VALU_DEP_1)
	v_lshl_or_b32 v22, v22, 4, v24
	v_mov_b32_e32 v24, 1
	ds_add_u32 v22, v24 offset:4096
.LBB2479_43:
	s_or_b32 exec_lo, exec_lo, s0
	v_cmp_le_u32_e32 vcc_lo, s1, v23
	v_mov_b32_e32 v22, s9
	s_nor_b32 s10, s8, vcc_lo
	s_delay_alu instid0(SALU_CYCLE_1)
	;; [unrolled: 54-line block ×11, first 2 shown]
	s_and_saveexec_b32 s0, s1
	s_cbranch_execz .LBB2479_108
; %bb.107:
	v_dual_lshrrev_b32 v4, s2, v1 :: v_dual_lshlrev_b32 v5, 2, v3
	s_sub_co_i32 s1, s3, s2
	s_delay_alu instid0(SALU_CYCLE_1)
	s_min_u32 s1, s1, 8
	s_delay_alu instid0(VALU_DEP_1) | instid1(SALU_CYCLE_1)
	v_bfe_u32 v4, v4, 0, s1
	s_delay_alu instid0(VALU_DEP_1)
	v_lshl_or_b32 v4, v4, 4, v5
	v_mov_b32_e32 v5, 1
	ds_add_u32 v4, v5
	v_mov_b32_e32 v4, 0
.LBB2479_108:
	s_or_b32 exec_lo, exec_lo, s0
	s_mov_b32 s1, -1
	s_mov_b32 s8, exec_lo
	s_delay_alu instid0(VALU_DEP_1)
	v_cmpx_gt_i32_e32 10, v4
; %bb.109:
	v_cmp_eq_u32_e64 s0, 0, v4
	s_or_not1_b32 s1, s0, exec_lo
; %bb.110:
	s_or_b32 exec_lo, exec_lo, s8
	s_and_saveexec_b32 s0, s1
	s_cbranch_execz .LBB2479_113
; %bb.111:
	s_add_co_i32 s1, s2, 8
	s_delay_alu instid0(SALU_CYCLE_1) | instskip(SKIP_2) | instid1(SALU_CYCLE_1)
	s_cmp_gt_u32 s3, s1
	s_cselect_b32 s8, -1, 0
	s_xor_b32 s9, vcc_lo, -1
	s_and_b32 s8, s8, s9
	s_delay_alu instid0(SALU_CYCLE_1)
	s_and_b32 exec_lo, exec_lo, s8
	s_cbranch_execz .LBB2479_113
; %bb.112:
	v_dual_lshrrev_b32 v1, s1, v1 :: v_dual_lshlrev_b32 v3, 2, v3
	s_sub_co_i32 s1, s3, s1
	s_delay_alu instid0(SALU_CYCLE_1)
	s_min_u32 s1, s1, 8
	s_delay_alu instid0(VALU_DEP_1) | instid1(SALU_CYCLE_1)
	v_bfe_u32 v1, v1, 0, s1
	s_delay_alu instid0(VALU_DEP_1)
	v_lshl_or_b32 v1, v1, 4, v3
	v_mov_b32_e32 v3, 1
	ds_add_u32 v1, v3 offset:4096
.LBB2479_113:
	s_or_b32 exec_lo, exec_lo, s0
	s_cmp_gt_u32 s3, s2
	s_wait_dscnt 0x0
	s_barrier_signal -1
	s_barrier_wait -1
	s_cbranch_scc0 .LBB2479_118
; %bb.114:
	v_mad_u32_u24 v1, v0, 12, v2
	v_dual_mov_b32 v3, 0 :: v_dual_mov_b32 v4, v0
	s_mov_b32 s0, s2
	v_cmp_gt_u32_e32 vcc_lo, 0x100, v0
	s_branch .LBB2479_116
.LBB2479_115:                           ;   in Loop: Header=BB2479_116 Depth=1
	s_wait_xcnt 0x0
	s_or_b32 exec_lo, exec_lo, s1
	v_add_nc_u32_e32 v4, 0x100, v4
	v_add_nc_u32_e32 v1, 0x1000, v1
	s_add_co_i32 s0, s0, 8
	s_delay_alu instid0(SALU_CYCLE_1)
	s_cmp_lt_u32 s0, s3
	s_cbranch_scc0 .LBB2479_118
.LBB2479_116:                           ; =>This Inner Loop Header: Depth=1
	s_and_saveexec_b32 s1, vcc_lo
	s_cbranch_execz .LBB2479_115
; %bb.117:                              ;   in Loop: Header=BB2479_116 Depth=1
	ds_load_2addr_b32 v[6:7], v1 offset1:1
	ds_load_2addr_b32 v[8:9], v1 offset0:2 offset1:3
	s_wait_dscnt 0x1
	v_add_nc_u32_e32 v2, v7, v6
	s_wait_dscnt 0x0
	s_delay_alu instid0(VALU_DEP_1)
	v_add3_u32 v2, v2, v8, v9
	global_atomic_add_u64 v4, v[2:3], s[6:7] scale_offset scope:SCOPE_DEV
	s_branch .LBB2479_115
.LBB2479_118:
	s_mov_b32 s9, 0
.LBB2479_119:
	s_delay_alu instid0(SALU_CYCLE_1)
	s_and_b32 vcc_lo, exec_lo, s9
	s_cbranch_vccz .LBB2479_164
; %bb.120:
	s_clause 0xb
	global_load_u16 v3, v0, s[4:5] offset:1024 scale_offset
	global_load_u16 v4, v0, s[4:5] offset:3072 scale_offset
	;; [unrolled: 1-line block ×6, first 2 shown]
	global_load_u16 v13, v0, s[4:5] scale_offset
	global_load_u16 v11, v0, s[4:5] offset:2048 scale_offset
	global_load_u16 v9, v0, s[4:5] offset:4096 scale_offset
	;; [unrolled: 1-line block ×5, first 2 shown]
	s_cmp_eq_u32 s2, 0
	v_dual_mov_b32 v2, 0 :: v_dual_lshlrev_b32 v15, 2, v0
	s_cselect_b32 s0, -1, 0
	s_cmp_eq_u32 s3, 16
	s_wait_xcnt 0x0
	v_cmp_gt_u32_e64 s4, 3, 1
	s_cselect_b32 s1, -1, 0
	s_delay_alu instid0(SALU_CYCLE_1)
	s_and_b32 s1, s0, s1
	v_cmp_gt_u32_e64 s0, 3, 2
	s_and_b32 vcc_lo, exec_lo, s1
	s_mov_b32 s1, -1
	s_wait_loadcnt 0xb
	v_and_b32_e32 v14, 0xffff, v3
	s_wait_loadcnt 0xa
	v_and_b32_e32 v12, 0xffff, v4
	;; [unrolled: 2-line block ×6, first 2 shown]
	s_cbranch_vccnz .LBB2479_157
; %bb.121:
	ds_store_2addr_stride64_b32 v15, v2, v2 offset1:8
	s_and_saveexec_b32 s1, s4
; %bb.122:
	v_mov_b32_e32 v2, 0
	ds_store_b32 v15, v2 offset:4096
; %bb.123:
	s_or_b32 exec_lo, exec_lo, s1
	s_and_saveexec_b32 s1, s0
; %bb.124:
	v_mov_b32_e32 v2, 0
	ds_store_b32 v15, v2 offset:6144
; %bb.125:
	s_or_b32 exec_lo, exec_lo, s1
	s_cmp_gt_u32 s3, s2
	s_wait_storecnt 0x0
	s_wait_loadcnt_dscnt 0x0
	s_cselect_b32 s0, -1, 0
	s_barrier_signal -1
	s_and_b32 vcc_lo, exec_lo, s0
	s_barrier_wait -1
	s_cbranch_vccz .LBB2479_151
; %bb.126:
	s_sub_co_i32 s1, s3, s2
	v_dual_lshrrev_b32 v16, s2, v13 :: v_dual_bitop2_b32 v2, 3, v0 bitop3:0x40
	s_min_u32 s1, s1, 8
	s_mov_b32 s8, -1
	s_lshl_b32 s4, -1, s1
	s_delay_alu instid0(VALU_DEP_1) | instskip(SKIP_4) | instid1(VALU_DEP_1)
	v_dual_lshlrev_b32 v3, 2, v2 :: v_dual_mov_b32 v17, 1
	v_bitop3_b32 v16, v16, s4, v16 bitop3:0x30
	s_add_co_i32 s1, s2, 8
	s_not_b32 s4, s4
	s_cmp_le_u32 s3, s1
	v_lshl_or_b32 v16, v16, 4, v3
	s_cselect_b32 s5, -1, 0
	s_delay_alu instid0(SALU_CYCLE_1)
	s_and_b32 vcc_lo, exec_lo, s5
	ds_add_u32 v16, v17
                                        ; implicit-def: $vgpr16
	s_cbranch_vccz .LBB2479_128
; %bb.127:
	v_lshrrev_b32_e32 v16, s2, v14
	s_mov_b32 s8, 0
	s_delay_alu instid0(VALU_DEP_1) | instskip(NEXT) | instid1(VALU_DEP_1)
	v_and_b32_e32 v16, s4, v16
	v_lshlrev_b32_e32 v16, 4, v16
.LBB2479_128:
	s_and_not1_b32 vcc_lo, exec_lo, s8
	s_cbranch_vccnz .LBB2479_130
; %bb.129:
	s_sub_co_i32 s8, s3, s1
	v_dual_lshrrev_b32 v16, s1, v13 :: v_dual_lshrrev_b32 v17, s2, v14
	s_min_u32 s8, s8, 8
	v_mov_b32_e32 v18, 1
	s_lshl_b32 s8, -1, s8
	s_delay_alu instid0(VALU_DEP_2) | instid1(SALU_CYCLE_1)
	v_bitop3_b32 v16, v16, s8, v16 bitop3:0x30
	v_and_b32_e32 v17, s4, v17
	s_delay_alu instid0(VALU_DEP_2) | instskip(NEXT) | instid1(VALU_DEP_2)
	v_lshl_or_b32 v16, v16, 4, v3
	v_lshl_or_b32 v17, v17, 4, v3
	ds_add_u32 v16, v18 offset:4096
	ds_add_u32 v17, v18
	v_lshrrev_b32_e32 v16, s1, v14
	s_delay_alu instid0(VALU_DEP_1) | instskip(NEXT) | instid1(VALU_DEP_1)
	v_bitop3_b32 v16, v16, s8, v16 bitop3:0x30
	v_lshl_add_u32 v16, v16, 4, 0x1000
.LBB2479_130:
	v_dual_mov_b32 v18, 1 :: v_dual_lshrrev_b32 v17, s2, v11
	s_and_b32 vcc_lo, exec_lo, s5
	s_delay_alu instid0(VALU_DEP_1) | instskip(NEXT) | instid1(VALU_DEP_1)
	v_dual_add_nc_u32 v16, v16, v3 :: v_dual_bitop2_b32 v17, s4, v17 bitop3:0x40
	v_lshl_or_b32 v17, v17, 4, v3
	ds_add_u32 v16, v18
	ds_add_u32 v17, v18
	s_cbranch_vccz .LBB2479_132
; %bb.131:
	v_lshrrev_b32_e32 v16, s2, v12
	s_delay_alu instid0(VALU_DEP_1) | instskip(NEXT) | instid1(VALU_DEP_1)
	v_and_b32_e32 v16, s4, v16
	v_lshlrev_b32_e32 v16, 4, v16
	s_cbranch_execz .LBB2479_133
	s_branch .LBB2479_134
.LBB2479_132:
                                        ; implicit-def: $vgpr16
.LBB2479_133:
	s_sub_co_i32 s8, s3, s1
	v_dual_lshrrev_b32 v16, s1, v11 :: v_dual_lshrrev_b32 v17, s2, v12
	s_min_u32 s8, s8, 8
	v_mov_b32_e32 v18, 1
	s_lshl_b32 s8, -1, s8
	s_delay_alu instid0(VALU_DEP_2) | instid1(SALU_CYCLE_1)
	v_bitop3_b32 v16, v16, s8, v16 bitop3:0x30
	v_and_b32_e32 v17, s4, v17
	s_delay_alu instid0(VALU_DEP_2) | instskip(NEXT) | instid1(VALU_DEP_2)
	v_lshl_or_b32 v16, v16, 4, v3
	v_lshl_or_b32 v17, v17, 4, v3
	ds_add_u32 v16, v18 offset:4096
	ds_add_u32 v17, v18
	v_lshrrev_b32_e32 v16, s1, v12
	s_delay_alu instid0(VALU_DEP_1) | instskip(NEXT) | instid1(VALU_DEP_1)
	v_bitop3_b32 v16, v16, s8, v16 bitop3:0x30
	v_lshl_add_u32 v16, v16, 4, 0x1000
.LBB2479_134:
	s_delay_alu instid0(VALU_DEP_1) | instskip(SKIP_1) | instid1(VALU_DEP_1)
	v_dual_lshrrev_b32 v17, s2, v9 :: v_dual_add_nc_u32 v16, v16, v3
	s_and_b32 vcc_lo, exec_lo, s5
	v_dual_mov_b32 v18, 1 :: v_dual_bitop2_b32 v17, s4, v17 bitop3:0x40
	s_delay_alu instid0(VALU_DEP_1)
	v_lshl_or_b32 v17, v17, 4, v3
	ds_add_u32 v16, v18
	ds_add_u32 v17, v18
	s_cbranch_vccz .LBB2479_136
; %bb.135:
	v_lshrrev_b32_e32 v16, s2, v10
	s_delay_alu instid0(VALU_DEP_1) | instskip(NEXT) | instid1(VALU_DEP_1)
	v_and_b32_e32 v16, s4, v16
	v_lshlrev_b32_e32 v16, 4, v16
	s_cbranch_execz .LBB2479_137
	s_branch .LBB2479_138
.LBB2479_136:
                                        ; implicit-def: $vgpr16
.LBB2479_137:
	s_sub_co_i32 s8, s3, s1
	v_dual_lshrrev_b32 v16, s1, v9 :: v_dual_lshrrev_b32 v17, s2, v10
	s_min_u32 s8, s8, 8
	v_mov_b32_e32 v18, 1
	s_lshl_b32 s8, -1, s8
	s_delay_alu instid0(VALU_DEP_2) | instid1(SALU_CYCLE_1)
	v_bitop3_b32 v16, v16, s8, v16 bitop3:0x30
	v_and_b32_e32 v17, s4, v17
	s_delay_alu instid0(VALU_DEP_2) | instskip(NEXT) | instid1(VALU_DEP_2)
	v_lshl_or_b32 v16, v16, 4, v3
	v_lshl_or_b32 v17, v17, 4, v3
	ds_add_u32 v16, v18 offset:4096
	ds_add_u32 v17, v18
	v_lshrrev_b32_e32 v16, s1, v10
	s_delay_alu instid0(VALU_DEP_1) | instskip(NEXT) | instid1(VALU_DEP_1)
	v_bitop3_b32 v16, v16, s8, v16 bitop3:0x30
	v_lshl_add_u32 v16, v16, 4, 0x1000
.LBB2479_138:
	v_dual_mov_b32 v18, 1 :: v_dual_lshrrev_b32 v17, s2, v7
	s_and_b32 vcc_lo, exec_lo, s5
	s_delay_alu instid0(VALU_DEP_1) | instskip(NEXT) | instid1(VALU_DEP_1)
	v_dual_add_nc_u32 v16, v16, v3 :: v_dual_bitop2_b32 v17, s4, v17 bitop3:0x40
	v_lshl_or_b32 v17, v17, 4, v3
	ds_add_u32 v16, v18
	ds_add_u32 v17, v18
	s_cbranch_vccz .LBB2479_140
; %bb.139:
	v_lshrrev_b32_e32 v16, s2, v8
	s_delay_alu instid0(VALU_DEP_1) | instskip(NEXT) | instid1(VALU_DEP_1)
	v_and_b32_e32 v16, s4, v16
	v_lshlrev_b32_e32 v16, 4, v16
	s_cbranch_execz .LBB2479_141
	s_branch .LBB2479_142
.LBB2479_140:
                                        ; implicit-def: $vgpr16
.LBB2479_141:
	s_sub_co_i32 s8, s3, s1
	v_dual_lshrrev_b32 v16, s1, v7 :: v_dual_lshrrev_b32 v17, s2, v8
	s_min_u32 s8, s8, 8
	v_mov_b32_e32 v18, 1
	s_lshl_b32 s8, -1, s8
	s_delay_alu instid0(VALU_DEP_2) | instid1(SALU_CYCLE_1)
	v_bitop3_b32 v16, v16, s8, v16 bitop3:0x30
	v_and_b32_e32 v17, s4, v17
	s_delay_alu instid0(VALU_DEP_2) | instskip(NEXT) | instid1(VALU_DEP_2)
	v_lshl_or_b32 v16, v16, 4, v3
	v_lshl_or_b32 v17, v17, 4, v3
	ds_add_u32 v16, v18 offset:4096
	ds_add_u32 v17, v18
	v_lshrrev_b32_e32 v16, s1, v8
	s_delay_alu instid0(VALU_DEP_1) | instskip(NEXT) | instid1(VALU_DEP_1)
	v_bitop3_b32 v16, v16, s8, v16 bitop3:0x30
	v_lshl_add_u32 v16, v16, 4, 0x1000
.LBB2479_142:
	s_delay_alu instid0(VALU_DEP_1) | instskip(SKIP_1) | instid1(VALU_DEP_1)
	v_dual_lshrrev_b32 v17, s2, v5 :: v_dual_add_nc_u32 v16, v16, v3
	s_and_b32 vcc_lo, exec_lo, s5
	v_dual_mov_b32 v18, 1 :: v_dual_bitop2_b32 v17, s4, v17 bitop3:0x40
	s_delay_alu instid0(VALU_DEP_1)
	v_lshl_or_b32 v17, v17, 4, v3
	ds_add_u32 v16, v18
	ds_add_u32 v17, v18
	s_cbranch_vccz .LBB2479_144
; %bb.143:
	v_lshrrev_b32_e32 v16, s2, v6
	s_delay_alu instid0(VALU_DEP_1) | instskip(NEXT) | instid1(VALU_DEP_1)
	v_and_b32_e32 v16, s4, v16
	v_lshlrev_b32_e32 v16, 4, v16
	s_cbranch_execz .LBB2479_145
	s_branch .LBB2479_146
.LBB2479_144:
                                        ; implicit-def: $vgpr16
.LBB2479_145:
	s_sub_co_i32 s8, s3, s1
	v_dual_lshrrev_b32 v16, s1, v5 :: v_dual_lshrrev_b32 v17, s2, v6
	s_min_u32 s8, s8, 8
	v_mov_b32_e32 v18, 1
	s_lshl_b32 s8, -1, s8
	s_delay_alu instid0(VALU_DEP_2) | instid1(SALU_CYCLE_1)
	v_bitop3_b32 v16, v16, s8, v16 bitop3:0x30
	v_and_b32_e32 v17, s4, v17
	s_delay_alu instid0(VALU_DEP_2) | instskip(NEXT) | instid1(VALU_DEP_2)
	v_lshl_or_b32 v16, v16, 4, v3
	v_lshl_or_b32 v17, v17, 4, v3
	ds_add_u32 v16, v18 offset:4096
	ds_add_u32 v17, v18
	v_lshrrev_b32_e32 v16, s1, v6
	s_delay_alu instid0(VALU_DEP_1) | instskip(NEXT) | instid1(VALU_DEP_1)
	v_bitop3_b32 v16, v16, s8, v16 bitop3:0x30
	v_lshl_add_u32 v16, v16, 4, 0x1000
.LBB2479_146:
	s_delay_alu instid0(VALU_DEP_1) | instskip(SKIP_1) | instid1(VALU_DEP_1)
	v_dual_lshrrev_b32 v17, s2, v1 :: v_dual_add_nc_u32 v16, v16, v3
	s_and_b32 vcc_lo, exec_lo, s5
	v_dual_mov_b32 v18, 1 :: v_dual_bitop2_b32 v17, s4, v17 bitop3:0x40
	s_delay_alu instid0(VALU_DEP_1)
	v_lshl_or_b32 v17, v17, 4, v3
	ds_add_u32 v16, v18
	ds_add_u32 v17, v18
	s_cbranch_vccz .LBB2479_148
; %bb.147:
	v_lshrrev_b32_e32 v16, s2, v4
	s_delay_alu instid0(VALU_DEP_1) | instskip(NEXT) | instid1(VALU_DEP_1)
	v_and_b32_e32 v16, s4, v16
	v_lshlrev_b32_e32 v16, 4, v16
	s_cbranch_execz .LBB2479_149
	s_branch .LBB2479_150
.LBB2479_148:
                                        ; implicit-def: $vgpr16
.LBB2479_149:
	s_sub_co_i32 s5, s3, s1
	v_dual_lshrrev_b32 v16, s1, v1 :: v_dual_lshrrev_b32 v17, s2, v4
	s_min_u32 s5, s5, 8
	v_mov_b32_e32 v18, 1
	s_lshl_b32 s5, -1, s5
	s_delay_alu instid0(VALU_DEP_2) | instid1(SALU_CYCLE_1)
	v_bitop3_b32 v16, v16, s5, v16 bitop3:0x30
	v_and_b32_e32 v17, s4, v17
	s_delay_alu instid0(VALU_DEP_2) | instskip(NEXT) | instid1(VALU_DEP_2)
	v_lshl_or_b32 v16, v16, 4, v3
	v_lshl_or_b32 v3, v17, 4, v3
	ds_add_u32 v16, v18 offset:4096
	ds_add_u32 v3, v18
	v_lshrrev_b32_e32 v3, s1, v4
	s_delay_alu instid0(VALU_DEP_1) | instskip(NEXT) | instid1(VALU_DEP_1)
	v_bitop3_b32 v3, v3, s5, v3 bitop3:0x30
	v_lshl_add_u32 v16, v3, 4, 0x1000
.LBB2479_150:
	s_delay_alu instid0(VALU_DEP_1)
	v_lshl_add_u32 v2, v2, 2, v16
	v_mov_b32_e32 v3, 1
	ds_add_u32 v2, v3
.LBB2479_151:
	s_and_b32 vcc_lo, exec_lo, s0
	s_wait_dscnt 0x0
	s_barrier_signal -1
	s_barrier_wait -1
	s_cbranch_vccz .LBB2479_156
; %bb.152:
	v_dual_mov_b32 v3, 0 :: v_dual_lshlrev_b32 v16, 4, v0
	v_mov_b32_e32 v17, v0
	v_cmp_gt_u32_e32 vcc_lo, 0x100, v0
	s_branch .LBB2479_154
.LBB2479_153:                           ;   in Loop: Header=BB2479_154 Depth=1
	s_wait_xcnt 0x0
	s_or_b32 exec_lo, exec_lo, s0
	v_add_nc_u32_e32 v17, 0x100, v17
	v_add_nc_u32_e32 v16, 0x1000, v16
	s_add_co_i32 s2, s2, 8
	s_delay_alu instid0(SALU_CYCLE_1)
	s_cmp_ge_u32 s2, s3
	s_cbranch_scc1 .LBB2479_156
.LBB2479_154:                           ; =>This Inner Loop Header: Depth=1
	s_and_saveexec_b32 s0, vcc_lo
	s_cbranch_execz .LBB2479_153
; %bb.155:                              ;   in Loop: Header=BB2479_154 Depth=1
	ds_load_2addr_b32 v[18:19], v16 offset1:1
	ds_load_2addr_b32 v[20:21], v16 offset0:2 offset1:3
	s_wait_dscnt 0x1
	v_add_nc_u32_e32 v2, v19, v18
	s_wait_dscnt 0x0
	s_delay_alu instid0(VALU_DEP_1)
	v_add3_u32 v2, v2, v20, v21
	global_atomic_add_u64 v17, v[2:3], s[6:7] scale_offset scope:SCOPE_DEV
	s_branch .LBB2479_153
.LBB2479_156:
	s_mov_b32 s1, 0
.LBB2479_157:
	s_delay_alu instid0(SALU_CYCLE_1)
	s_and_b32 vcc_lo, exec_lo, s1
	s_cbranch_vccz .LBB2479_164
; %bb.158:
	v_mov_b32_e32 v2, 0
	v_cmp_gt_u32_e64 s0, 3, 2
	s_mov_b32 s1, exec_lo
	ds_store_2addr_stride64_b32 v15, v2, v2 offset1:8
	v_cmpx_gt_u32_e64 3, 1
; %bb.159:
	ds_store_b32 v15, v2 offset:4096
; %bb.160:
	s_or_b32 exec_lo, exec_lo, s1
	s_and_saveexec_b32 s1, s0
; %bb.161:
	v_mov_b32_e32 v2, 0
	ds_store_b32 v15, v2 offset:6144
; %bb.162:
	s_or_b32 exec_lo, exec_lo, s1
	s_wait_loadcnt 0x5
	v_dual_lshlrev_b32 v3, 4, v13 :: v_dual_bitop2_b32 v2, 3, v0 bitop3:0x40
	v_dual_lshlrev_b32 v15, 4, v14 :: v_dual_lshrrev_b32 v14, 4, v14
	s_delay_alu instid0(VALU_DEP_2)
	v_dual_mov_b32 v16, 1 :: v_dual_lshlrev_b32 v2, 2, v2
	v_lshrrev_b32_e32 v13, 4, v13
	s_wait_storecnt 0x0
	s_wait_loadcnt_dscnt 0x0
	s_barrier_signal -1
	s_barrier_wait -1
	v_and_or_b32 v3, 0xff0, v3, v2
	v_and_or_b32 v13, 0xff0, v13, v2
	;; [unrolled: 1-line block ×4, first 2 shown]
	ds_add_u32 v3, v16
	ds_add_u32 v13, v16 offset:4096
	ds_add_u32 v15, v16
	ds_add_u32 v14, v16 offset:4096
	v_dual_lshlrev_b32 v3, 4, v11 :: v_dual_lshrrev_b32 v11, 4, v11
	v_dual_lshlrev_b32 v13, 4, v12 :: v_dual_lshrrev_b32 v12, 4, v12
	v_lshlrev_b32_e32 v14, 4, v9
	s_delay_alu instid0(VALU_DEP_3) | instskip(NEXT) | instid1(VALU_DEP_4)
	v_and_or_b32 v3, 0xff0, v3, v2
	v_and_or_b32 v11, 0xff0, v11, v2
	s_delay_alu instid0(VALU_DEP_4)
	v_and_or_b32 v13, 0xff0, v13, v2
	v_and_or_b32 v12, 0xff0, v12, v2
	v_and_or_b32 v14, 0xff0, v14, v2
	ds_add_u32 v3, v16
	ds_add_u32 v11, v16 offset:4096
	ds_add_u32 v13, v16
	ds_add_u32 v12, v16 offset:4096
	ds_add_u32 v14, v16
	v_dual_lshrrev_b32 v3, 4, v9 :: v_dual_lshlrev_b32 v9, 4, v10
	v_dual_lshrrev_b32 v10, 4, v10 :: v_dual_lshlrev_b32 v11, 4, v7
	v_lshrrev_b32_e32 v7, 4, v7
	s_delay_alu instid0(VALU_DEP_3) | instskip(NEXT) | instid1(VALU_DEP_4)
	v_and_or_b32 v3, 0xff0, v3, v2
	v_and_or_b32 v9, 0xff0, v9, v2
	s_delay_alu instid0(VALU_DEP_4)
	v_and_or_b32 v10, 0xff0, v10, v2
	v_and_or_b32 v11, 0xff0, v11, v2
	;; [unrolled: 1-line block ×3, first 2 shown]
	ds_add_u32 v3, v16 offset:4096
	ds_add_u32 v9, v16
	ds_add_u32 v10, v16 offset:4096
	ds_add_u32 v11, v16
	ds_add_u32 v7, v16 offset:4096
	v_dual_lshlrev_b32 v3, 4, v8 :: v_dual_lshrrev_b32 v7, 4, v8
	v_dual_lshlrev_b32 v8, 4, v5 :: v_dual_lshrrev_b32 v5, 4, v5
	v_lshlrev_b32_e32 v9, 4, v6
	s_delay_alu instid0(VALU_DEP_3) | instskip(NEXT) | instid1(VALU_DEP_4)
	v_and_or_b32 v3, 0xff0, v3, v2
	v_and_or_b32 v7, 0xff0, v7, v2
	s_delay_alu instid0(VALU_DEP_4)
	v_and_or_b32 v8, 0xff0, v8, v2
	v_and_or_b32 v5, 0xff0, v5, v2
	v_and_or_b32 v9, 0xff0, v9, v2
	ds_add_u32 v3, v16
	ds_add_u32 v7, v16 offset:4096
	ds_add_u32 v8, v16
	ds_add_u32 v5, v16 offset:4096
	ds_add_u32 v9, v16
	v_dual_lshrrev_b32 v3, 4, v6 :: v_dual_lshlrev_b32 v5, 4, v1
	v_dual_lshrrev_b32 v1, 4, v1 :: v_dual_lshlrev_b32 v6, 4, v4
	v_lshrrev_b32_e32 v4, 4, v4
	s_delay_alu instid0(VALU_DEP_3) | instskip(NEXT) | instid1(VALU_DEP_4)
	v_and_or_b32 v3, 0xff0, v3, v2
	v_and_or_b32 v5, 0xff0, v5, v2
	s_delay_alu instid0(VALU_DEP_4)
	v_and_or_b32 v1, 0xff0, v1, v2
	v_and_or_b32 v6, 0xff0, v6, v2
	;; [unrolled: 1-line block ×3, first 2 shown]
	ds_add_u32 v3, v16 offset:4096
	ds_add_u32 v5, v16
	ds_add_u32 v1, v16 offset:4096
	ds_add_u32 v6, v16
	ds_add_u32 v2, v16 offset:4096
	s_wait_dscnt 0x0
	s_barrier_signal -1
	s_barrier_wait -1
	s_mov_b32 s0, exec_lo
	v_cmpx_gt_u32_e32 0x100, v0
	s_cbranch_execz .LBB2479_164
; %bb.163:
	v_lshlrev_b32_e32 v1, 4, v0
	ds_load_2addr_b32 v[2:3], v1 offset1:1
	ds_load_2addr_b32 v[4:5], v1 offset0:2 offset1:3
	s_wait_dscnt 0x1
	v_dual_mov_b32 v3, 0 :: v_dual_add_nc_u32 v2, v3, v2
	s_wait_dscnt 0x0
	s_delay_alu instid0(VALU_DEP_1)
	v_add3_u32 v2, v2, v4, v5
	v_add_nc_u32_e32 v4, 0x1000, v1
	v_add_nc_u32_e32 v1, 0x1008, v1
	global_atomic_add_u64 v0, v[2:3], s[6:7] scale_offset scope:SCOPE_DEV
	ds_load_2addr_b32 v[4:5], v4 offset1:1
	ds_load_2addr_b32 v[6:7], v1 offset1:1
	s_wait_dscnt 0x1
	v_add_nc_u32_e32 v1, v5, v4
	s_wait_dscnt 0x0
	s_wait_xcnt 0x0
	s_delay_alu instid0(VALU_DEP_1)
	v_add3_u32 v2, v1, v6, v7
	global_atomic_add_u64 v0, v[2:3], s[6:7] offset:2048 scale_offset scope:SCOPE_DEV
.LBB2479_164:
	s_endpgm
	.section	.rodata,"a",@progbits
	.p2align	6, 0x0
	.amdhsa_kernel _ZN7rocprim17ROCPRIM_400000_NS6detail17trampoline_kernelINS0_14default_configENS1_35radix_sort_onesweep_config_selectorItNS0_10empty_typeEEEZNS1_34radix_sort_onesweep_global_offsetsIS3_Lb0EPKtPS5_mNS0_19identity_decomposerEEE10hipError_tT1_T2_PT3_SF_jT4_jjP12ihipStream_tbEUlT_E_NS1_11comp_targetILNS1_3genE0ELNS1_11target_archE4294967295ELNS1_3gpuE0ELNS1_3repE0EEENS1_52radix_sort_onesweep_histogram_config_static_selectorELNS0_4arch9wavefront6targetE0EEEvSD_
		.amdhsa_group_segment_fixed_size 8192
		.amdhsa_private_segment_fixed_size 0
		.amdhsa_kernarg_size 48
		.amdhsa_user_sgpr_count 2
		.amdhsa_user_sgpr_dispatch_ptr 0
		.amdhsa_user_sgpr_queue_ptr 0
		.amdhsa_user_sgpr_kernarg_segment_ptr 1
		.amdhsa_user_sgpr_dispatch_id 0
		.amdhsa_user_sgpr_kernarg_preload_length 0
		.amdhsa_user_sgpr_kernarg_preload_offset 0
		.amdhsa_user_sgpr_private_segment_size 0
		.amdhsa_wavefront_size32 1
		.amdhsa_uses_dynamic_stack 0
		.amdhsa_enable_private_segment 0
		.amdhsa_system_sgpr_workgroup_id_x 1
		.amdhsa_system_sgpr_workgroup_id_y 0
		.amdhsa_system_sgpr_workgroup_id_z 0
		.amdhsa_system_sgpr_workgroup_info 0
		.amdhsa_system_vgpr_workitem_id 0
		.amdhsa_next_free_vgpr 28
		.amdhsa_next_free_sgpr 13
		.amdhsa_named_barrier_count 0
		.amdhsa_reserve_vcc 1
		.amdhsa_float_round_mode_32 0
		.amdhsa_float_round_mode_16_64 0
		.amdhsa_float_denorm_mode_32 3
		.amdhsa_float_denorm_mode_16_64 3
		.amdhsa_fp16_overflow 0
		.amdhsa_memory_ordered 1
		.amdhsa_forward_progress 1
		.amdhsa_inst_pref_size 51
		.amdhsa_round_robin_scheduling 0
		.amdhsa_exception_fp_ieee_invalid_op 0
		.amdhsa_exception_fp_denorm_src 0
		.amdhsa_exception_fp_ieee_div_zero 0
		.amdhsa_exception_fp_ieee_overflow 0
		.amdhsa_exception_fp_ieee_underflow 0
		.amdhsa_exception_fp_ieee_inexact 0
		.amdhsa_exception_int_div_zero 0
	.end_amdhsa_kernel
	.section	.text._ZN7rocprim17ROCPRIM_400000_NS6detail17trampoline_kernelINS0_14default_configENS1_35radix_sort_onesweep_config_selectorItNS0_10empty_typeEEEZNS1_34radix_sort_onesweep_global_offsetsIS3_Lb0EPKtPS5_mNS0_19identity_decomposerEEE10hipError_tT1_T2_PT3_SF_jT4_jjP12ihipStream_tbEUlT_E_NS1_11comp_targetILNS1_3genE0ELNS1_11target_archE4294967295ELNS1_3gpuE0ELNS1_3repE0EEENS1_52radix_sort_onesweep_histogram_config_static_selectorELNS0_4arch9wavefront6targetE0EEEvSD_,"axG",@progbits,_ZN7rocprim17ROCPRIM_400000_NS6detail17trampoline_kernelINS0_14default_configENS1_35radix_sort_onesweep_config_selectorItNS0_10empty_typeEEEZNS1_34radix_sort_onesweep_global_offsetsIS3_Lb0EPKtPS5_mNS0_19identity_decomposerEEE10hipError_tT1_T2_PT3_SF_jT4_jjP12ihipStream_tbEUlT_E_NS1_11comp_targetILNS1_3genE0ELNS1_11target_archE4294967295ELNS1_3gpuE0ELNS1_3repE0EEENS1_52radix_sort_onesweep_histogram_config_static_selectorELNS0_4arch9wavefront6targetE0EEEvSD_,comdat
.Lfunc_end2479:
	.size	_ZN7rocprim17ROCPRIM_400000_NS6detail17trampoline_kernelINS0_14default_configENS1_35radix_sort_onesweep_config_selectorItNS0_10empty_typeEEEZNS1_34radix_sort_onesweep_global_offsetsIS3_Lb0EPKtPS5_mNS0_19identity_decomposerEEE10hipError_tT1_T2_PT3_SF_jT4_jjP12ihipStream_tbEUlT_E_NS1_11comp_targetILNS1_3genE0ELNS1_11target_archE4294967295ELNS1_3gpuE0ELNS1_3repE0EEENS1_52radix_sort_onesweep_histogram_config_static_selectorELNS0_4arch9wavefront6targetE0EEEvSD_, .Lfunc_end2479-_ZN7rocprim17ROCPRIM_400000_NS6detail17trampoline_kernelINS0_14default_configENS1_35radix_sort_onesweep_config_selectorItNS0_10empty_typeEEEZNS1_34radix_sort_onesweep_global_offsetsIS3_Lb0EPKtPS5_mNS0_19identity_decomposerEEE10hipError_tT1_T2_PT3_SF_jT4_jjP12ihipStream_tbEUlT_E_NS1_11comp_targetILNS1_3genE0ELNS1_11target_archE4294967295ELNS1_3gpuE0ELNS1_3repE0EEENS1_52radix_sort_onesweep_histogram_config_static_selectorELNS0_4arch9wavefront6targetE0EEEvSD_
                                        ; -- End function
	.set _ZN7rocprim17ROCPRIM_400000_NS6detail17trampoline_kernelINS0_14default_configENS1_35radix_sort_onesweep_config_selectorItNS0_10empty_typeEEEZNS1_34radix_sort_onesweep_global_offsetsIS3_Lb0EPKtPS5_mNS0_19identity_decomposerEEE10hipError_tT1_T2_PT3_SF_jT4_jjP12ihipStream_tbEUlT_E_NS1_11comp_targetILNS1_3genE0ELNS1_11target_archE4294967295ELNS1_3gpuE0ELNS1_3repE0EEENS1_52radix_sort_onesweep_histogram_config_static_selectorELNS0_4arch9wavefront6targetE0EEEvSD_.num_vgpr, 28
	.set _ZN7rocprim17ROCPRIM_400000_NS6detail17trampoline_kernelINS0_14default_configENS1_35radix_sort_onesweep_config_selectorItNS0_10empty_typeEEEZNS1_34radix_sort_onesweep_global_offsetsIS3_Lb0EPKtPS5_mNS0_19identity_decomposerEEE10hipError_tT1_T2_PT3_SF_jT4_jjP12ihipStream_tbEUlT_E_NS1_11comp_targetILNS1_3genE0ELNS1_11target_archE4294967295ELNS1_3gpuE0ELNS1_3repE0EEENS1_52radix_sort_onesweep_histogram_config_static_selectorELNS0_4arch9wavefront6targetE0EEEvSD_.num_agpr, 0
	.set _ZN7rocprim17ROCPRIM_400000_NS6detail17trampoline_kernelINS0_14default_configENS1_35radix_sort_onesweep_config_selectorItNS0_10empty_typeEEEZNS1_34radix_sort_onesweep_global_offsetsIS3_Lb0EPKtPS5_mNS0_19identity_decomposerEEE10hipError_tT1_T2_PT3_SF_jT4_jjP12ihipStream_tbEUlT_E_NS1_11comp_targetILNS1_3genE0ELNS1_11target_archE4294967295ELNS1_3gpuE0ELNS1_3repE0EEENS1_52radix_sort_onesweep_histogram_config_static_selectorELNS0_4arch9wavefront6targetE0EEEvSD_.numbered_sgpr, 13
	.set _ZN7rocprim17ROCPRIM_400000_NS6detail17trampoline_kernelINS0_14default_configENS1_35radix_sort_onesweep_config_selectorItNS0_10empty_typeEEEZNS1_34radix_sort_onesweep_global_offsetsIS3_Lb0EPKtPS5_mNS0_19identity_decomposerEEE10hipError_tT1_T2_PT3_SF_jT4_jjP12ihipStream_tbEUlT_E_NS1_11comp_targetILNS1_3genE0ELNS1_11target_archE4294967295ELNS1_3gpuE0ELNS1_3repE0EEENS1_52radix_sort_onesweep_histogram_config_static_selectorELNS0_4arch9wavefront6targetE0EEEvSD_.num_named_barrier, 0
	.set _ZN7rocprim17ROCPRIM_400000_NS6detail17trampoline_kernelINS0_14default_configENS1_35radix_sort_onesweep_config_selectorItNS0_10empty_typeEEEZNS1_34radix_sort_onesweep_global_offsetsIS3_Lb0EPKtPS5_mNS0_19identity_decomposerEEE10hipError_tT1_T2_PT3_SF_jT4_jjP12ihipStream_tbEUlT_E_NS1_11comp_targetILNS1_3genE0ELNS1_11target_archE4294967295ELNS1_3gpuE0ELNS1_3repE0EEENS1_52radix_sort_onesweep_histogram_config_static_selectorELNS0_4arch9wavefront6targetE0EEEvSD_.private_seg_size, 0
	.set _ZN7rocprim17ROCPRIM_400000_NS6detail17trampoline_kernelINS0_14default_configENS1_35radix_sort_onesweep_config_selectorItNS0_10empty_typeEEEZNS1_34radix_sort_onesweep_global_offsetsIS3_Lb0EPKtPS5_mNS0_19identity_decomposerEEE10hipError_tT1_T2_PT3_SF_jT4_jjP12ihipStream_tbEUlT_E_NS1_11comp_targetILNS1_3genE0ELNS1_11target_archE4294967295ELNS1_3gpuE0ELNS1_3repE0EEENS1_52radix_sort_onesweep_histogram_config_static_selectorELNS0_4arch9wavefront6targetE0EEEvSD_.uses_vcc, 1
	.set _ZN7rocprim17ROCPRIM_400000_NS6detail17trampoline_kernelINS0_14default_configENS1_35radix_sort_onesweep_config_selectorItNS0_10empty_typeEEEZNS1_34radix_sort_onesweep_global_offsetsIS3_Lb0EPKtPS5_mNS0_19identity_decomposerEEE10hipError_tT1_T2_PT3_SF_jT4_jjP12ihipStream_tbEUlT_E_NS1_11comp_targetILNS1_3genE0ELNS1_11target_archE4294967295ELNS1_3gpuE0ELNS1_3repE0EEENS1_52radix_sort_onesweep_histogram_config_static_selectorELNS0_4arch9wavefront6targetE0EEEvSD_.uses_flat_scratch, 0
	.set _ZN7rocprim17ROCPRIM_400000_NS6detail17trampoline_kernelINS0_14default_configENS1_35radix_sort_onesweep_config_selectorItNS0_10empty_typeEEEZNS1_34radix_sort_onesweep_global_offsetsIS3_Lb0EPKtPS5_mNS0_19identity_decomposerEEE10hipError_tT1_T2_PT3_SF_jT4_jjP12ihipStream_tbEUlT_E_NS1_11comp_targetILNS1_3genE0ELNS1_11target_archE4294967295ELNS1_3gpuE0ELNS1_3repE0EEENS1_52radix_sort_onesweep_histogram_config_static_selectorELNS0_4arch9wavefront6targetE0EEEvSD_.has_dyn_sized_stack, 0
	.set _ZN7rocprim17ROCPRIM_400000_NS6detail17trampoline_kernelINS0_14default_configENS1_35radix_sort_onesweep_config_selectorItNS0_10empty_typeEEEZNS1_34radix_sort_onesweep_global_offsetsIS3_Lb0EPKtPS5_mNS0_19identity_decomposerEEE10hipError_tT1_T2_PT3_SF_jT4_jjP12ihipStream_tbEUlT_E_NS1_11comp_targetILNS1_3genE0ELNS1_11target_archE4294967295ELNS1_3gpuE0ELNS1_3repE0EEENS1_52radix_sort_onesweep_histogram_config_static_selectorELNS0_4arch9wavefront6targetE0EEEvSD_.has_recursion, 0
	.set _ZN7rocprim17ROCPRIM_400000_NS6detail17trampoline_kernelINS0_14default_configENS1_35radix_sort_onesweep_config_selectorItNS0_10empty_typeEEEZNS1_34radix_sort_onesweep_global_offsetsIS3_Lb0EPKtPS5_mNS0_19identity_decomposerEEE10hipError_tT1_T2_PT3_SF_jT4_jjP12ihipStream_tbEUlT_E_NS1_11comp_targetILNS1_3genE0ELNS1_11target_archE4294967295ELNS1_3gpuE0ELNS1_3repE0EEENS1_52radix_sort_onesweep_histogram_config_static_selectorELNS0_4arch9wavefront6targetE0EEEvSD_.has_indirect_call, 0
	.section	.AMDGPU.csdata,"",@progbits
; Kernel info:
; codeLenInByte = 6468
; TotalNumSgprs: 15
; NumVgprs: 28
; ScratchSize: 0
; MemoryBound: 0
; FloatMode: 240
; IeeeMode: 1
; LDSByteSize: 8192 bytes/workgroup (compile time only)
; SGPRBlocks: 0
; VGPRBlocks: 1
; NumSGPRsForWavesPerEU: 15
; NumVGPRsForWavesPerEU: 28
; NamedBarCnt: 0
; Occupancy: 16
; WaveLimiterHint : 1
; COMPUTE_PGM_RSRC2:SCRATCH_EN: 0
; COMPUTE_PGM_RSRC2:USER_SGPR: 2
; COMPUTE_PGM_RSRC2:TRAP_HANDLER: 0
; COMPUTE_PGM_RSRC2:TGID_X_EN: 1
; COMPUTE_PGM_RSRC2:TGID_Y_EN: 0
; COMPUTE_PGM_RSRC2:TGID_Z_EN: 0
; COMPUTE_PGM_RSRC2:TIDIG_COMP_CNT: 0
	.section	.text._ZN7rocprim17ROCPRIM_400000_NS6detail17trampoline_kernelINS0_14default_configENS1_35radix_sort_onesweep_config_selectorItNS0_10empty_typeEEEZNS1_34radix_sort_onesweep_global_offsetsIS3_Lb0EPKtPS5_mNS0_19identity_decomposerEEE10hipError_tT1_T2_PT3_SF_jT4_jjP12ihipStream_tbEUlT_E_NS1_11comp_targetILNS1_3genE6ELNS1_11target_archE950ELNS1_3gpuE13ELNS1_3repE0EEENS1_52radix_sort_onesweep_histogram_config_static_selectorELNS0_4arch9wavefront6targetE0EEEvSD_,"axG",@progbits,_ZN7rocprim17ROCPRIM_400000_NS6detail17trampoline_kernelINS0_14default_configENS1_35radix_sort_onesweep_config_selectorItNS0_10empty_typeEEEZNS1_34radix_sort_onesweep_global_offsetsIS3_Lb0EPKtPS5_mNS0_19identity_decomposerEEE10hipError_tT1_T2_PT3_SF_jT4_jjP12ihipStream_tbEUlT_E_NS1_11comp_targetILNS1_3genE6ELNS1_11target_archE950ELNS1_3gpuE13ELNS1_3repE0EEENS1_52radix_sort_onesweep_histogram_config_static_selectorELNS0_4arch9wavefront6targetE0EEEvSD_,comdat
	.protected	_ZN7rocprim17ROCPRIM_400000_NS6detail17trampoline_kernelINS0_14default_configENS1_35radix_sort_onesweep_config_selectorItNS0_10empty_typeEEEZNS1_34radix_sort_onesweep_global_offsetsIS3_Lb0EPKtPS5_mNS0_19identity_decomposerEEE10hipError_tT1_T2_PT3_SF_jT4_jjP12ihipStream_tbEUlT_E_NS1_11comp_targetILNS1_3genE6ELNS1_11target_archE950ELNS1_3gpuE13ELNS1_3repE0EEENS1_52radix_sort_onesweep_histogram_config_static_selectorELNS0_4arch9wavefront6targetE0EEEvSD_ ; -- Begin function _ZN7rocprim17ROCPRIM_400000_NS6detail17trampoline_kernelINS0_14default_configENS1_35radix_sort_onesweep_config_selectorItNS0_10empty_typeEEEZNS1_34radix_sort_onesweep_global_offsetsIS3_Lb0EPKtPS5_mNS0_19identity_decomposerEEE10hipError_tT1_T2_PT3_SF_jT4_jjP12ihipStream_tbEUlT_E_NS1_11comp_targetILNS1_3genE6ELNS1_11target_archE950ELNS1_3gpuE13ELNS1_3repE0EEENS1_52radix_sort_onesweep_histogram_config_static_selectorELNS0_4arch9wavefront6targetE0EEEvSD_
	.globl	_ZN7rocprim17ROCPRIM_400000_NS6detail17trampoline_kernelINS0_14default_configENS1_35radix_sort_onesweep_config_selectorItNS0_10empty_typeEEEZNS1_34radix_sort_onesweep_global_offsetsIS3_Lb0EPKtPS5_mNS0_19identity_decomposerEEE10hipError_tT1_T2_PT3_SF_jT4_jjP12ihipStream_tbEUlT_E_NS1_11comp_targetILNS1_3genE6ELNS1_11target_archE950ELNS1_3gpuE13ELNS1_3repE0EEENS1_52radix_sort_onesweep_histogram_config_static_selectorELNS0_4arch9wavefront6targetE0EEEvSD_
	.p2align	8
	.type	_ZN7rocprim17ROCPRIM_400000_NS6detail17trampoline_kernelINS0_14default_configENS1_35radix_sort_onesweep_config_selectorItNS0_10empty_typeEEEZNS1_34radix_sort_onesweep_global_offsetsIS3_Lb0EPKtPS5_mNS0_19identity_decomposerEEE10hipError_tT1_T2_PT3_SF_jT4_jjP12ihipStream_tbEUlT_E_NS1_11comp_targetILNS1_3genE6ELNS1_11target_archE950ELNS1_3gpuE13ELNS1_3repE0EEENS1_52radix_sort_onesweep_histogram_config_static_selectorELNS0_4arch9wavefront6targetE0EEEvSD_,@function
_ZN7rocprim17ROCPRIM_400000_NS6detail17trampoline_kernelINS0_14default_configENS1_35radix_sort_onesweep_config_selectorItNS0_10empty_typeEEEZNS1_34radix_sort_onesweep_global_offsetsIS3_Lb0EPKtPS5_mNS0_19identity_decomposerEEE10hipError_tT1_T2_PT3_SF_jT4_jjP12ihipStream_tbEUlT_E_NS1_11comp_targetILNS1_3genE6ELNS1_11target_archE950ELNS1_3gpuE13ELNS1_3repE0EEENS1_52radix_sort_onesweep_histogram_config_static_selectorELNS0_4arch9wavefront6targetE0EEEvSD_: ; @_ZN7rocprim17ROCPRIM_400000_NS6detail17trampoline_kernelINS0_14default_configENS1_35radix_sort_onesweep_config_selectorItNS0_10empty_typeEEEZNS1_34radix_sort_onesweep_global_offsetsIS3_Lb0EPKtPS5_mNS0_19identity_decomposerEEE10hipError_tT1_T2_PT3_SF_jT4_jjP12ihipStream_tbEUlT_E_NS1_11comp_targetILNS1_3genE6ELNS1_11target_archE950ELNS1_3gpuE13ELNS1_3repE0EEENS1_52radix_sort_onesweep_histogram_config_static_selectorELNS0_4arch9wavefront6targetE0EEEvSD_
; %bb.0:
	.section	.rodata,"a",@progbits
	.p2align	6, 0x0
	.amdhsa_kernel _ZN7rocprim17ROCPRIM_400000_NS6detail17trampoline_kernelINS0_14default_configENS1_35radix_sort_onesweep_config_selectorItNS0_10empty_typeEEEZNS1_34radix_sort_onesweep_global_offsetsIS3_Lb0EPKtPS5_mNS0_19identity_decomposerEEE10hipError_tT1_T2_PT3_SF_jT4_jjP12ihipStream_tbEUlT_E_NS1_11comp_targetILNS1_3genE6ELNS1_11target_archE950ELNS1_3gpuE13ELNS1_3repE0EEENS1_52radix_sort_onesweep_histogram_config_static_selectorELNS0_4arch9wavefront6targetE0EEEvSD_
		.amdhsa_group_segment_fixed_size 0
		.amdhsa_private_segment_fixed_size 0
		.amdhsa_kernarg_size 48
		.amdhsa_user_sgpr_count 2
		.amdhsa_user_sgpr_dispatch_ptr 0
		.amdhsa_user_sgpr_queue_ptr 0
		.amdhsa_user_sgpr_kernarg_segment_ptr 1
		.amdhsa_user_sgpr_dispatch_id 0
		.amdhsa_user_sgpr_kernarg_preload_length 0
		.amdhsa_user_sgpr_kernarg_preload_offset 0
		.amdhsa_user_sgpr_private_segment_size 0
		.amdhsa_wavefront_size32 1
		.amdhsa_uses_dynamic_stack 0
		.amdhsa_enable_private_segment 0
		.amdhsa_system_sgpr_workgroup_id_x 1
		.amdhsa_system_sgpr_workgroup_id_y 0
		.amdhsa_system_sgpr_workgroup_id_z 0
		.amdhsa_system_sgpr_workgroup_info 0
		.amdhsa_system_vgpr_workitem_id 0
		.amdhsa_next_free_vgpr 1
		.amdhsa_next_free_sgpr 1
		.amdhsa_named_barrier_count 0
		.amdhsa_reserve_vcc 0
		.amdhsa_float_round_mode_32 0
		.amdhsa_float_round_mode_16_64 0
		.amdhsa_float_denorm_mode_32 3
		.amdhsa_float_denorm_mode_16_64 3
		.amdhsa_fp16_overflow 0
		.amdhsa_memory_ordered 1
		.amdhsa_forward_progress 1
		.amdhsa_inst_pref_size 0
		.amdhsa_round_robin_scheduling 0
		.amdhsa_exception_fp_ieee_invalid_op 0
		.amdhsa_exception_fp_denorm_src 0
		.amdhsa_exception_fp_ieee_div_zero 0
		.amdhsa_exception_fp_ieee_overflow 0
		.amdhsa_exception_fp_ieee_underflow 0
		.amdhsa_exception_fp_ieee_inexact 0
		.amdhsa_exception_int_div_zero 0
	.end_amdhsa_kernel
	.section	.text._ZN7rocprim17ROCPRIM_400000_NS6detail17trampoline_kernelINS0_14default_configENS1_35radix_sort_onesweep_config_selectorItNS0_10empty_typeEEEZNS1_34radix_sort_onesweep_global_offsetsIS3_Lb0EPKtPS5_mNS0_19identity_decomposerEEE10hipError_tT1_T2_PT3_SF_jT4_jjP12ihipStream_tbEUlT_E_NS1_11comp_targetILNS1_3genE6ELNS1_11target_archE950ELNS1_3gpuE13ELNS1_3repE0EEENS1_52radix_sort_onesweep_histogram_config_static_selectorELNS0_4arch9wavefront6targetE0EEEvSD_,"axG",@progbits,_ZN7rocprim17ROCPRIM_400000_NS6detail17trampoline_kernelINS0_14default_configENS1_35radix_sort_onesweep_config_selectorItNS0_10empty_typeEEEZNS1_34radix_sort_onesweep_global_offsetsIS3_Lb0EPKtPS5_mNS0_19identity_decomposerEEE10hipError_tT1_T2_PT3_SF_jT4_jjP12ihipStream_tbEUlT_E_NS1_11comp_targetILNS1_3genE6ELNS1_11target_archE950ELNS1_3gpuE13ELNS1_3repE0EEENS1_52radix_sort_onesweep_histogram_config_static_selectorELNS0_4arch9wavefront6targetE0EEEvSD_,comdat
.Lfunc_end2480:
	.size	_ZN7rocprim17ROCPRIM_400000_NS6detail17trampoline_kernelINS0_14default_configENS1_35radix_sort_onesweep_config_selectorItNS0_10empty_typeEEEZNS1_34radix_sort_onesweep_global_offsetsIS3_Lb0EPKtPS5_mNS0_19identity_decomposerEEE10hipError_tT1_T2_PT3_SF_jT4_jjP12ihipStream_tbEUlT_E_NS1_11comp_targetILNS1_3genE6ELNS1_11target_archE950ELNS1_3gpuE13ELNS1_3repE0EEENS1_52radix_sort_onesweep_histogram_config_static_selectorELNS0_4arch9wavefront6targetE0EEEvSD_, .Lfunc_end2480-_ZN7rocprim17ROCPRIM_400000_NS6detail17trampoline_kernelINS0_14default_configENS1_35radix_sort_onesweep_config_selectorItNS0_10empty_typeEEEZNS1_34radix_sort_onesweep_global_offsetsIS3_Lb0EPKtPS5_mNS0_19identity_decomposerEEE10hipError_tT1_T2_PT3_SF_jT4_jjP12ihipStream_tbEUlT_E_NS1_11comp_targetILNS1_3genE6ELNS1_11target_archE950ELNS1_3gpuE13ELNS1_3repE0EEENS1_52radix_sort_onesweep_histogram_config_static_selectorELNS0_4arch9wavefront6targetE0EEEvSD_
                                        ; -- End function
	.set _ZN7rocprim17ROCPRIM_400000_NS6detail17trampoline_kernelINS0_14default_configENS1_35radix_sort_onesweep_config_selectorItNS0_10empty_typeEEEZNS1_34radix_sort_onesweep_global_offsetsIS3_Lb0EPKtPS5_mNS0_19identity_decomposerEEE10hipError_tT1_T2_PT3_SF_jT4_jjP12ihipStream_tbEUlT_E_NS1_11comp_targetILNS1_3genE6ELNS1_11target_archE950ELNS1_3gpuE13ELNS1_3repE0EEENS1_52radix_sort_onesweep_histogram_config_static_selectorELNS0_4arch9wavefront6targetE0EEEvSD_.num_vgpr, 0
	.set _ZN7rocprim17ROCPRIM_400000_NS6detail17trampoline_kernelINS0_14default_configENS1_35radix_sort_onesweep_config_selectorItNS0_10empty_typeEEEZNS1_34radix_sort_onesweep_global_offsetsIS3_Lb0EPKtPS5_mNS0_19identity_decomposerEEE10hipError_tT1_T2_PT3_SF_jT4_jjP12ihipStream_tbEUlT_E_NS1_11comp_targetILNS1_3genE6ELNS1_11target_archE950ELNS1_3gpuE13ELNS1_3repE0EEENS1_52radix_sort_onesweep_histogram_config_static_selectorELNS0_4arch9wavefront6targetE0EEEvSD_.num_agpr, 0
	.set _ZN7rocprim17ROCPRIM_400000_NS6detail17trampoline_kernelINS0_14default_configENS1_35radix_sort_onesweep_config_selectorItNS0_10empty_typeEEEZNS1_34radix_sort_onesweep_global_offsetsIS3_Lb0EPKtPS5_mNS0_19identity_decomposerEEE10hipError_tT1_T2_PT3_SF_jT4_jjP12ihipStream_tbEUlT_E_NS1_11comp_targetILNS1_3genE6ELNS1_11target_archE950ELNS1_3gpuE13ELNS1_3repE0EEENS1_52radix_sort_onesweep_histogram_config_static_selectorELNS0_4arch9wavefront6targetE0EEEvSD_.numbered_sgpr, 0
	.set _ZN7rocprim17ROCPRIM_400000_NS6detail17trampoline_kernelINS0_14default_configENS1_35radix_sort_onesweep_config_selectorItNS0_10empty_typeEEEZNS1_34radix_sort_onesweep_global_offsetsIS3_Lb0EPKtPS5_mNS0_19identity_decomposerEEE10hipError_tT1_T2_PT3_SF_jT4_jjP12ihipStream_tbEUlT_E_NS1_11comp_targetILNS1_3genE6ELNS1_11target_archE950ELNS1_3gpuE13ELNS1_3repE0EEENS1_52radix_sort_onesweep_histogram_config_static_selectorELNS0_4arch9wavefront6targetE0EEEvSD_.num_named_barrier, 0
	.set _ZN7rocprim17ROCPRIM_400000_NS6detail17trampoline_kernelINS0_14default_configENS1_35radix_sort_onesweep_config_selectorItNS0_10empty_typeEEEZNS1_34radix_sort_onesweep_global_offsetsIS3_Lb0EPKtPS5_mNS0_19identity_decomposerEEE10hipError_tT1_T2_PT3_SF_jT4_jjP12ihipStream_tbEUlT_E_NS1_11comp_targetILNS1_3genE6ELNS1_11target_archE950ELNS1_3gpuE13ELNS1_3repE0EEENS1_52radix_sort_onesweep_histogram_config_static_selectorELNS0_4arch9wavefront6targetE0EEEvSD_.private_seg_size, 0
	.set _ZN7rocprim17ROCPRIM_400000_NS6detail17trampoline_kernelINS0_14default_configENS1_35radix_sort_onesweep_config_selectorItNS0_10empty_typeEEEZNS1_34radix_sort_onesweep_global_offsetsIS3_Lb0EPKtPS5_mNS0_19identity_decomposerEEE10hipError_tT1_T2_PT3_SF_jT4_jjP12ihipStream_tbEUlT_E_NS1_11comp_targetILNS1_3genE6ELNS1_11target_archE950ELNS1_3gpuE13ELNS1_3repE0EEENS1_52radix_sort_onesweep_histogram_config_static_selectorELNS0_4arch9wavefront6targetE0EEEvSD_.uses_vcc, 0
	.set _ZN7rocprim17ROCPRIM_400000_NS6detail17trampoline_kernelINS0_14default_configENS1_35radix_sort_onesweep_config_selectorItNS0_10empty_typeEEEZNS1_34radix_sort_onesweep_global_offsetsIS3_Lb0EPKtPS5_mNS0_19identity_decomposerEEE10hipError_tT1_T2_PT3_SF_jT4_jjP12ihipStream_tbEUlT_E_NS1_11comp_targetILNS1_3genE6ELNS1_11target_archE950ELNS1_3gpuE13ELNS1_3repE0EEENS1_52radix_sort_onesweep_histogram_config_static_selectorELNS0_4arch9wavefront6targetE0EEEvSD_.uses_flat_scratch, 0
	.set _ZN7rocprim17ROCPRIM_400000_NS6detail17trampoline_kernelINS0_14default_configENS1_35radix_sort_onesweep_config_selectorItNS0_10empty_typeEEEZNS1_34radix_sort_onesweep_global_offsetsIS3_Lb0EPKtPS5_mNS0_19identity_decomposerEEE10hipError_tT1_T2_PT3_SF_jT4_jjP12ihipStream_tbEUlT_E_NS1_11comp_targetILNS1_3genE6ELNS1_11target_archE950ELNS1_3gpuE13ELNS1_3repE0EEENS1_52radix_sort_onesweep_histogram_config_static_selectorELNS0_4arch9wavefront6targetE0EEEvSD_.has_dyn_sized_stack, 0
	.set _ZN7rocprim17ROCPRIM_400000_NS6detail17trampoline_kernelINS0_14default_configENS1_35radix_sort_onesweep_config_selectorItNS0_10empty_typeEEEZNS1_34radix_sort_onesweep_global_offsetsIS3_Lb0EPKtPS5_mNS0_19identity_decomposerEEE10hipError_tT1_T2_PT3_SF_jT4_jjP12ihipStream_tbEUlT_E_NS1_11comp_targetILNS1_3genE6ELNS1_11target_archE950ELNS1_3gpuE13ELNS1_3repE0EEENS1_52radix_sort_onesweep_histogram_config_static_selectorELNS0_4arch9wavefront6targetE0EEEvSD_.has_recursion, 0
	.set _ZN7rocprim17ROCPRIM_400000_NS6detail17trampoline_kernelINS0_14default_configENS1_35radix_sort_onesweep_config_selectorItNS0_10empty_typeEEEZNS1_34radix_sort_onesweep_global_offsetsIS3_Lb0EPKtPS5_mNS0_19identity_decomposerEEE10hipError_tT1_T2_PT3_SF_jT4_jjP12ihipStream_tbEUlT_E_NS1_11comp_targetILNS1_3genE6ELNS1_11target_archE950ELNS1_3gpuE13ELNS1_3repE0EEENS1_52radix_sort_onesweep_histogram_config_static_selectorELNS0_4arch9wavefront6targetE0EEEvSD_.has_indirect_call, 0
	.section	.AMDGPU.csdata,"",@progbits
; Kernel info:
; codeLenInByte = 0
; TotalNumSgprs: 0
; NumVgprs: 0
; ScratchSize: 0
; MemoryBound: 0
; FloatMode: 240
; IeeeMode: 1
; LDSByteSize: 0 bytes/workgroup (compile time only)
; SGPRBlocks: 0
; VGPRBlocks: 0
; NumSGPRsForWavesPerEU: 1
; NumVGPRsForWavesPerEU: 1
; NamedBarCnt: 0
; Occupancy: 16
; WaveLimiterHint : 0
; COMPUTE_PGM_RSRC2:SCRATCH_EN: 0
; COMPUTE_PGM_RSRC2:USER_SGPR: 2
; COMPUTE_PGM_RSRC2:TRAP_HANDLER: 0
; COMPUTE_PGM_RSRC2:TGID_X_EN: 1
; COMPUTE_PGM_RSRC2:TGID_Y_EN: 0
; COMPUTE_PGM_RSRC2:TGID_Z_EN: 0
; COMPUTE_PGM_RSRC2:TIDIG_COMP_CNT: 0
	.section	.text._ZN7rocprim17ROCPRIM_400000_NS6detail17trampoline_kernelINS0_14default_configENS1_35radix_sort_onesweep_config_selectorItNS0_10empty_typeEEEZNS1_34radix_sort_onesweep_global_offsetsIS3_Lb0EPKtPS5_mNS0_19identity_decomposerEEE10hipError_tT1_T2_PT3_SF_jT4_jjP12ihipStream_tbEUlT_E_NS1_11comp_targetILNS1_3genE5ELNS1_11target_archE942ELNS1_3gpuE9ELNS1_3repE0EEENS1_52radix_sort_onesweep_histogram_config_static_selectorELNS0_4arch9wavefront6targetE0EEEvSD_,"axG",@progbits,_ZN7rocprim17ROCPRIM_400000_NS6detail17trampoline_kernelINS0_14default_configENS1_35radix_sort_onesweep_config_selectorItNS0_10empty_typeEEEZNS1_34radix_sort_onesweep_global_offsetsIS3_Lb0EPKtPS5_mNS0_19identity_decomposerEEE10hipError_tT1_T2_PT3_SF_jT4_jjP12ihipStream_tbEUlT_E_NS1_11comp_targetILNS1_3genE5ELNS1_11target_archE942ELNS1_3gpuE9ELNS1_3repE0EEENS1_52radix_sort_onesweep_histogram_config_static_selectorELNS0_4arch9wavefront6targetE0EEEvSD_,comdat
	.protected	_ZN7rocprim17ROCPRIM_400000_NS6detail17trampoline_kernelINS0_14default_configENS1_35radix_sort_onesweep_config_selectorItNS0_10empty_typeEEEZNS1_34radix_sort_onesweep_global_offsetsIS3_Lb0EPKtPS5_mNS0_19identity_decomposerEEE10hipError_tT1_T2_PT3_SF_jT4_jjP12ihipStream_tbEUlT_E_NS1_11comp_targetILNS1_3genE5ELNS1_11target_archE942ELNS1_3gpuE9ELNS1_3repE0EEENS1_52radix_sort_onesweep_histogram_config_static_selectorELNS0_4arch9wavefront6targetE0EEEvSD_ ; -- Begin function _ZN7rocprim17ROCPRIM_400000_NS6detail17trampoline_kernelINS0_14default_configENS1_35radix_sort_onesweep_config_selectorItNS0_10empty_typeEEEZNS1_34radix_sort_onesweep_global_offsetsIS3_Lb0EPKtPS5_mNS0_19identity_decomposerEEE10hipError_tT1_T2_PT3_SF_jT4_jjP12ihipStream_tbEUlT_E_NS1_11comp_targetILNS1_3genE5ELNS1_11target_archE942ELNS1_3gpuE9ELNS1_3repE0EEENS1_52radix_sort_onesweep_histogram_config_static_selectorELNS0_4arch9wavefront6targetE0EEEvSD_
	.globl	_ZN7rocprim17ROCPRIM_400000_NS6detail17trampoline_kernelINS0_14default_configENS1_35radix_sort_onesweep_config_selectorItNS0_10empty_typeEEEZNS1_34radix_sort_onesweep_global_offsetsIS3_Lb0EPKtPS5_mNS0_19identity_decomposerEEE10hipError_tT1_T2_PT3_SF_jT4_jjP12ihipStream_tbEUlT_E_NS1_11comp_targetILNS1_3genE5ELNS1_11target_archE942ELNS1_3gpuE9ELNS1_3repE0EEENS1_52radix_sort_onesweep_histogram_config_static_selectorELNS0_4arch9wavefront6targetE0EEEvSD_
	.p2align	8
	.type	_ZN7rocprim17ROCPRIM_400000_NS6detail17trampoline_kernelINS0_14default_configENS1_35radix_sort_onesweep_config_selectorItNS0_10empty_typeEEEZNS1_34radix_sort_onesweep_global_offsetsIS3_Lb0EPKtPS5_mNS0_19identity_decomposerEEE10hipError_tT1_T2_PT3_SF_jT4_jjP12ihipStream_tbEUlT_E_NS1_11comp_targetILNS1_3genE5ELNS1_11target_archE942ELNS1_3gpuE9ELNS1_3repE0EEENS1_52radix_sort_onesweep_histogram_config_static_selectorELNS0_4arch9wavefront6targetE0EEEvSD_,@function
_ZN7rocprim17ROCPRIM_400000_NS6detail17trampoline_kernelINS0_14default_configENS1_35radix_sort_onesweep_config_selectorItNS0_10empty_typeEEEZNS1_34radix_sort_onesweep_global_offsetsIS3_Lb0EPKtPS5_mNS0_19identity_decomposerEEE10hipError_tT1_T2_PT3_SF_jT4_jjP12ihipStream_tbEUlT_E_NS1_11comp_targetILNS1_3genE5ELNS1_11target_archE942ELNS1_3gpuE9ELNS1_3repE0EEENS1_52radix_sort_onesweep_histogram_config_static_selectorELNS0_4arch9wavefront6targetE0EEEvSD_: ; @_ZN7rocprim17ROCPRIM_400000_NS6detail17trampoline_kernelINS0_14default_configENS1_35radix_sort_onesweep_config_selectorItNS0_10empty_typeEEEZNS1_34radix_sort_onesweep_global_offsetsIS3_Lb0EPKtPS5_mNS0_19identity_decomposerEEE10hipError_tT1_T2_PT3_SF_jT4_jjP12ihipStream_tbEUlT_E_NS1_11comp_targetILNS1_3genE5ELNS1_11target_archE942ELNS1_3gpuE9ELNS1_3repE0EEENS1_52radix_sort_onesweep_histogram_config_static_selectorELNS0_4arch9wavefront6targetE0EEEvSD_
; %bb.0:
	.section	.rodata,"a",@progbits
	.p2align	6, 0x0
	.amdhsa_kernel _ZN7rocprim17ROCPRIM_400000_NS6detail17trampoline_kernelINS0_14default_configENS1_35radix_sort_onesweep_config_selectorItNS0_10empty_typeEEEZNS1_34radix_sort_onesweep_global_offsetsIS3_Lb0EPKtPS5_mNS0_19identity_decomposerEEE10hipError_tT1_T2_PT3_SF_jT4_jjP12ihipStream_tbEUlT_E_NS1_11comp_targetILNS1_3genE5ELNS1_11target_archE942ELNS1_3gpuE9ELNS1_3repE0EEENS1_52radix_sort_onesweep_histogram_config_static_selectorELNS0_4arch9wavefront6targetE0EEEvSD_
		.amdhsa_group_segment_fixed_size 0
		.amdhsa_private_segment_fixed_size 0
		.amdhsa_kernarg_size 48
		.amdhsa_user_sgpr_count 2
		.amdhsa_user_sgpr_dispatch_ptr 0
		.amdhsa_user_sgpr_queue_ptr 0
		.amdhsa_user_sgpr_kernarg_segment_ptr 1
		.amdhsa_user_sgpr_dispatch_id 0
		.amdhsa_user_sgpr_kernarg_preload_length 0
		.amdhsa_user_sgpr_kernarg_preload_offset 0
		.amdhsa_user_sgpr_private_segment_size 0
		.amdhsa_wavefront_size32 1
		.amdhsa_uses_dynamic_stack 0
		.amdhsa_enable_private_segment 0
		.amdhsa_system_sgpr_workgroup_id_x 1
		.amdhsa_system_sgpr_workgroup_id_y 0
		.amdhsa_system_sgpr_workgroup_id_z 0
		.amdhsa_system_sgpr_workgroup_info 0
		.amdhsa_system_vgpr_workitem_id 0
		.amdhsa_next_free_vgpr 1
		.amdhsa_next_free_sgpr 1
		.amdhsa_named_barrier_count 0
		.amdhsa_reserve_vcc 0
		.amdhsa_float_round_mode_32 0
		.amdhsa_float_round_mode_16_64 0
		.amdhsa_float_denorm_mode_32 3
		.amdhsa_float_denorm_mode_16_64 3
		.amdhsa_fp16_overflow 0
		.amdhsa_memory_ordered 1
		.amdhsa_forward_progress 1
		.amdhsa_inst_pref_size 0
		.amdhsa_round_robin_scheduling 0
		.amdhsa_exception_fp_ieee_invalid_op 0
		.amdhsa_exception_fp_denorm_src 0
		.amdhsa_exception_fp_ieee_div_zero 0
		.amdhsa_exception_fp_ieee_overflow 0
		.amdhsa_exception_fp_ieee_underflow 0
		.amdhsa_exception_fp_ieee_inexact 0
		.amdhsa_exception_int_div_zero 0
	.end_amdhsa_kernel
	.section	.text._ZN7rocprim17ROCPRIM_400000_NS6detail17trampoline_kernelINS0_14default_configENS1_35radix_sort_onesweep_config_selectorItNS0_10empty_typeEEEZNS1_34radix_sort_onesweep_global_offsetsIS3_Lb0EPKtPS5_mNS0_19identity_decomposerEEE10hipError_tT1_T2_PT3_SF_jT4_jjP12ihipStream_tbEUlT_E_NS1_11comp_targetILNS1_3genE5ELNS1_11target_archE942ELNS1_3gpuE9ELNS1_3repE0EEENS1_52radix_sort_onesweep_histogram_config_static_selectorELNS0_4arch9wavefront6targetE0EEEvSD_,"axG",@progbits,_ZN7rocprim17ROCPRIM_400000_NS6detail17trampoline_kernelINS0_14default_configENS1_35radix_sort_onesweep_config_selectorItNS0_10empty_typeEEEZNS1_34radix_sort_onesweep_global_offsetsIS3_Lb0EPKtPS5_mNS0_19identity_decomposerEEE10hipError_tT1_T2_PT3_SF_jT4_jjP12ihipStream_tbEUlT_E_NS1_11comp_targetILNS1_3genE5ELNS1_11target_archE942ELNS1_3gpuE9ELNS1_3repE0EEENS1_52radix_sort_onesweep_histogram_config_static_selectorELNS0_4arch9wavefront6targetE0EEEvSD_,comdat
.Lfunc_end2481:
	.size	_ZN7rocprim17ROCPRIM_400000_NS6detail17trampoline_kernelINS0_14default_configENS1_35radix_sort_onesweep_config_selectorItNS0_10empty_typeEEEZNS1_34radix_sort_onesweep_global_offsetsIS3_Lb0EPKtPS5_mNS0_19identity_decomposerEEE10hipError_tT1_T2_PT3_SF_jT4_jjP12ihipStream_tbEUlT_E_NS1_11comp_targetILNS1_3genE5ELNS1_11target_archE942ELNS1_3gpuE9ELNS1_3repE0EEENS1_52radix_sort_onesweep_histogram_config_static_selectorELNS0_4arch9wavefront6targetE0EEEvSD_, .Lfunc_end2481-_ZN7rocprim17ROCPRIM_400000_NS6detail17trampoline_kernelINS0_14default_configENS1_35radix_sort_onesweep_config_selectorItNS0_10empty_typeEEEZNS1_34radix_sort_onesweep_global_offsetsIS3_Lb0EPKtPS5_mNS0_19identity_decomposerEEE10hipError_tT1_T2_PT3_SF_jT4_jjP12ihipStream_tbEUlT_E_NS1_11comp_targetILNS1_3genE5ELNS1_11target_archE942ELNS1_3gpuE9ELNS1_3repE0EEENS1_52radix_sort_onesweep_histogram_config_static_selectorELNS0_4arch9wavefront6targetE0EEEvSD_
                                        ; -- End function
	.set _ZN7rocprim17ROCPRIM_400000_NS6detail17trampoline_kernelINS0_14default_configENS1_35radix_sort_onesweep_config_selectorItNS0_10empty_typeEEEZNS1_34radix_sort_onesweep_global_offsetsIS3_Lb0EPKtPS5_mNS0_19identity_decomposerEEE10hipError_tT1_T2_PT3_SF_jT4_jjP12ihipStream_tbEUlT_E_NS1_11comp_targetILNS1_3genE5ELNS1_11target_archE942ELNS1_3gpuE9ELNS1_3repE0EEENS1_52radix_sort_onesweep_histogram_config_static_selectorELNS0_4arch9wavefront6targetE0EEEvSD_.num_vgpr, 0
	.set _ZN7rocprim17ROCPRIM_400000_NS6detail17trampoline_kernelINS0_14default_configENS1_35radix_sort_onesweep_config_selectorItNS0_10empty_typeEEEZNS1_34radix_sort_onesweep_global_offsetsIS3_Lb0EPKtPS5_mNS0_19identity_decomposerEEE10hipError_tT1_T2_PT3_SF_jT4_jjP12ihipStream_tbEUlT_E_NS1_11comp_targetILNS1_3genE5ELNS1_11target_archE942ELNS1_3gpuE9ELNS1_3repE0EEENS1_52radix_sort_onesweep_histogram_config_static_selectorELNS0_4arch9wavefront6targetE0EEEvSD_.num_agpr, 0
	.set _ZN7rocprim17ROCPRIM_400000_NS6detail17trampoline_kernelINS0_14default_configENS1_35radix_sort_onesweep_config_selectorItNS0_10empty_typeEEEZNS1_34radix_sort_onesweep_global_offsetsIS3_Lb0EPKtPS5_mNS0_19identity_decomposerEEE10hipError_tT1_T2_PT3_SF_jT4_jjP12ihipStream_tbEUlT_E_NS1_11comp_targetILNS1_3genE5ELNS1_11target_archE942ELNS1_3gpuE9ELNS1_3repE0EEENS1_52radix_sort_onesweep_histogram_config_static_selectorELNS0_4arch9wavefront6targetE0EEEvSD_.numbered_sgpr, 0
	.set _ZN7rocprim17ROCPRIM_400000_NS6detail17trampoline_kernelINS0_14default_configENS1_35radix_sort_onesweep_config_selectorItNS0_10empty_typeEEEZNS1_34radix_sort_onesweep_global_offsetsIS3_Lb0EPKtPS5_mNS0_19identity_decomposerEEE10hipError_tT1_T2_PT3_SF_jT4_jjP12ihipStream_tbEUlT_E_NS1_11comp_targetILNS1_3genE5ELNS1_11target_archE942ELNS1_3gpuE9ELNS1_3repE0EEENS1_52radix_sort_onesweep_histogram_config_static_selectorELNS0_4arch9wavefront6targetE0EEEvSD_.num_named_barrier, 0
	.set _ZN7rocprim17ROCPRIM_400000_NS6detail17trampoline_kernelINS0_14default_configENS1_35radix_sort_onesweep_config_selectorItNS0_10empty_typeEEEZNS1_34radix_sort_onesweep_global_offsetsIS3_Lb0EPKtPS5_mNS0_19identity_decomposerEEE10hipError_tT1_T2_PT3_SF_jT4_jjP12ihipStream_tbEUlT_E_NS1_11comp_targetILNS1_3genE5ELNS1_11target_archE942ELNS1_3gpuE9ELNS1_3repE0EEENS1_52radix_sort_onesweep_histogram_config_static_selectorELNS0_4arch9wavefront6targetE0EEEvSD_.private_seg_size, 0
	.set _ZN7rocprim17ROCPRIM_400000_NS6detail17trampoline_kernelINS0_14default_configENS1_35radix_sort_onesweep_config_selectorItNS0_10empty_typeEEEZNS1_34radix_sort_onesweep_global_offsetsIS3_Lb0EPKtPS5_mNS0_19identity_decomposerEEE10hipError_tT1_T2_PT3_SF_jT4_jjP12ihipStream_tbEUlT_E_NS1_11comp_targetILNS1_3genE5ELNS1_11target_archE942ELNS1_3gpuE9ELNS1_3repE0EEENS1_52radix_sort_onesweep_histogram_config_static_selectorELNS0_4arch9wavefront6targetE0EEEvSD_.uses_vcc, 0
	.set _ZN7rocprim17ROCPRIM_400000_NS6detail17trampoline_kernelINS0_14default_configENS1_35radix_sort_onesweep_config_selectorItNS0_10empty_typeEEEZNS1_34radix_sort_onesweep_global_offsetsIS3_Lb0EPKtPS5_mNS0_19identity_decomposerEEE10hipError_tT1_T2_PT3_SF_jT4_jjP12ihipStream_tbEUlT_E_NS1_11comp_targetILNS1_3genE5ELNS1_11target_archE942ELNS1_3gpuE9ELNS1_3repE0EEENS1_52radix_sort_onesweep_histogram_config_static_selectorELNS0_4arch9wavefront6targetE0EEEvSD_.uses_flat_scratch, 0
	.set _ZN7rocprim17ROCPRIM_400000_NS6detail17trampoline_kernelINS0_14default_configENS1_35radix_sort_onesweep_config_selectorItNS0_10empty_typeEEEZNS1_34radix_sort_onesweep_global_offsetsIS3_Lb0EPKtPS5_mNS0_19identity_decomposerEEE10hipError_tT1_T2_PT3_SF_jT4_jjP12ihipStream_tbEUlT_E_NS1_11comp_targetILNS1_3genE5ELNS1_11target_archE942ELNS1_3gpuE9ELNS1_3repE0EEENS1_52radix_sort_onesweep_histogram_config_static_selectorELNS0_4arch9wavefront6targetE0EEEvSD_.has_dyn_sized_stack, 0
	.set _ZN7rocprim17ROCPRIM_400000_NS6detail17trampoline_kernelINS0_14default_configENS1_35radix_sort_onesweep_config_selectorItNS0_10empty_typeEEEZNS1_34radix_sort_onesweep_global_offsetsIS3_Lb0EPKtPS5_mNS0_19identity_decomposerEEE10hipError_tT1_T2_PT3_SF_jT4_jjP12ihipStream_tbEUlT_E_NS1_11comp_targetILNS1_3genE5ELNS1_11target_archE942ELNS1_3gpuE9ELNS1_3repE0EEENS1_52radix_sort_onesweep_histogram_config_static_selectorELNS0_4arch9wavefront6targetE0EEEvSD_.has_recursion, 0
	.set _ZN7rocprim17ROCPRIM_400000_NS6detail17trampoline_kernelINS0_14default_configENS1_35radix_sort_onesweep_config_selectorItNS0_10empty_typeEEEZNS1_34radix_sort_onesweep_global_offsetsIS3_Lb0EPKtPS5_mNS0_19identity_decomposerEEE10hipError_tT1_T2_PT3_SF_jT4_jjP12ihipStream_tbEUlT_E_NS1_11comp_targetILNS1_3genE5ELNS1_11target_archE942ELNS1_3gpuE9ELNS1_3repE0EEENS1_52radix_sort_onesweep_histogram_config_static_selectorELNS0_4arch9wavefront6targetE0EEEvSD_.has_indirect_call, 0
	.section	.AMDGPU.csdata,"",@progbits
; Kernel info:
; codeLenInByte = 0
; TotalNumSgprs: 0
; NumVgprs: 0
; ScratchSize: 0
; MemoryBound: 0
; FloatMode: 240
; IeeeMode: 1
; LDSByteSize: 0 bytes/workgroup (compile time only)
; SGPRBlocks: 0
; VGPRBlocks: 0
; NumSGPRsForWavesPerEU: 1
; NumVGPRsForWavesPerEU: 1
; NamedBarCnt: 0
; Occupancy: 16
; WaveLimiterHint : 0
; COMPUTE_PGM_RSRC2:SCRATCH_EN: 0
; COMPUTE_PGM_RSRC2:USER_SGPR: 2
; COMPUTE_PGM_RSRC2:TRAP_HANDLER: 0
; COMPUTE_PGM_RSRC2:TGID_X_EN: 1
; COMPUTE_PGM_RSRC2:TGID_Y_EN: 0
; COMPUTE_PGM_RSRC2:TGID_Z_EN: 0
; COMPUTE_PGM_RSRC2:TIDIG_COMP_CNT: 0
	.section	.text._ZN7rocprim17ROCPRIM_400000_NS6detail17trampoline_kernelINS0_14default_configENS1_35radix_sort_onesweep_config_selectorItNS0_10empty_typeEEEZNS1_34radix_sort_onesweep_global_offsetsIS3_Lb0EPKtPS5_mNS0_19identity_decomposerEEE10hipError_tT1_T2_PT3_SF_jT4_jjP12ihipStream_tbEUlT_E_NS1_11comp_targetILNS1_3genE2ELNS1_11target_archE906ELNS1_3gpuE6ELNS1_3repE0EEENS1_52radix_sort_onesweep_histogram_config_static_selectorELNS0_4arch9wavefront6targetE0EEEvSD_,"axG",@progbits,_ZN7rocprim17ROCPRIM_400000_NS6detail17trampoline_kernelINS0_14default_configENS1_35radix_sort_onesweep_config_selectorItNS0_10empty_typeEEEZNS1_34radix_sort_onesweep_global_offsetsIS3_Lb0EPKtPS5_mNS0_19identity_decomposerEEE10hipError_tT1_T2_PT3_SF_jT4_jjP12ihipStream_tbEUlT_E_NS1_11comp_targetILNS1_3genE2ELNS1_11target_archE906ELNS1_3gpuE6ELNS1_3repE0EEENS1_52radix_sort_onesweep_histogram_config_static_selectorELNS0_4arch9wavefront6targetE0EEEvSD_,comdat
	.protected	_ZN7rocprim17ROCPRIM_400000_NS6detail17trampoline_kernelINS0_14default_configENS1_35radix_sort_onesweep_config_selectorItNS0_10empty_typeEEEZNS1_34radix_sort_onesweep_global_offsetsIS3_Lb0EPKtPS5_mNS0_19identity_decomposerEEE10hipError_tT1_T2_PT3_SF_jT4_jjP12ihipStream_tbEUlT_E_NS1_11comp_targetILNS1_3genE2ELNS1_11target_archE906ELNS1_3gpuE6ELNS1_3repE0EEENS1_52radix_sort_onesweep_histogram_config_static_selectorELNS0_4arch9wavefront6targetE0EEEvSD_ ; -- Begin function _ZN7rocprim17ROCPRIM_400000_NS6detail17trampoline_kernelINS0_14default_configENS1_35radix_sort_onesweep_config_selectorItNS0_10empty_typeEEEZNS1_34radix_sort_onesweep_global_offsetsIS3_Lb0EPKtPS5_mNS0_19identity_decomposerEEE10hipError_tT1_T2_PT3_SF_jT4_jjP12ihipStream_tbEUlT_E_NS1_11comp_targetILNS1_3genE2ELNS1_11target_archE906ELNS1_3gpuE6ELNS1_3repE0EEENS1_52radix_sort_onesweep_histogram_config_static_selectorELNS0_4arch9wavefront6targetE0EEEvSD_
	.globl	_ZN7rocprim17ROCPRIM_400000_NS6detail17trampoline_kernelINS0_14default_configENS1_35radix_sort_onesweep_config_selectorItNS0_10empty_typeEEEZNS1_34radix_sort_onesweep_global_offsetsIS3_Lb0EPKtPS5_mNS0_19identity_decomposerEEE10hipError_tT1_T2_PT3_SF_jT4_jjP12ihipStream_tbEUlT_E_NS1_11comp_targetILNS1_3genE2ELNS1_11target_archE906ELNS1_3gpuE6ELNS1_3repE0EEENS1_52radix_sort_onesweep_histogram_config_static_selectorELNS0_4arch9wavefront6targetE0EEEvSD_
	.p2align	8
	.type	_ZN7rocprim17ROCPRIM_400000_NS6detail17trampoline_kernelINS0_14default_configENS1_35radix_sort_onesweep_config_selectorItNS0_10empty_typeEEEZNS1_34radix_sort_onesweep_global_offsetsIS3_Lb0EPKtPS5_mNS0_19identity_decomposerEEE10hipError_tT1_T2_PT3_SF_jT4_jjP12ihipStream_tbEUlT_E_NS1_11comp_targetILNS1_3genE2ELNS1_11target_archE906ELNS1_3gpuE6ELNS1_3repE0EEENS1_52radix_sort_onesweep_histogram_config_static_selectorELNS0_4arch9wavefront6targetE0EEEvSD_,@function
_ZN7rocprim17ROCPRIM_400000_NS6detail17trampoline_kernelINS0_14default_configENS1_35radix_sort_onesweep_config_selectorItNS0_10empty_typeEEEZNS1_34radix_sort_onesweep_global_offsetsIS3_Lb0EPKtPS5_mNS0_19identity_decomposerEEE10hipError_tT1_T2_PT3_SF_jT4_jjP12ihipStream_tbEUlT_E_NS1_11comp_targetILNS1_3genE2ELNS1_11target_archE906ELNS1_3gpuE6ELNS1_3repE0EEENS1_52radix_sort_onesweep_histogram_config_static_selectorELNS0_4arch9wavefront6targetE0EEEvSD_: ; @_ZN7rocprim17ROCPRIM_400000_NS6detail17trampoline_kernelINS0_14default_configENS1_35radix_sort_onesweep_config_selectorItNS0_10empty_typeEEEZNS1_34radix_sort_onesweep_global_offsetsIS3_Lb0EPKtPS5_mNS0_19identity_decomposerEEE10hipError_tT1_T2_PT3_SF_jT4_jjP12ihipStream_tbEUlT_E_NS1_11comp_targetILNS1_3genE2ELNS1_11target_archE906ELNS1_3gpuE6ELNS1_3repE0EEENS1_52radix_sort_onesweep_histogram_config_static_selectorELNS0_4arch9wavefront6targetE0EEEvSD_
; %bb.0:
	.section	.rodata,"a",@progbits
	.p2align	6, 0x0
	.amdhsa_kernel _ZN7rocprim17ROCPRIM_400000_NS6detail17trampoline_kernelINS0_14default_configENS1_35radix_sort_onesweep_config_selectorItNS0_10empty_typeEEEZNS1_34radix_sort_onesweep_global_offsetsIS3_Lb0EPKtPS5_mNS0_19identity_decomposerEEE10hipError_tT1_T2_PT3_SF_jT4_jjP12ihipStream_tbEUlT_E_NS1_11comp_targetILNS1_3genE2ELNS1_11target_archE906ELNS1_3gpuE6ELNS1_3repE0EEENS1_52radix_sort_onesweep_histogram_config_static_selectorELNS0_4arch9wavefront6targetE0EEEvSD_
		.amdhsa_group_segment_fixed_size 0
		.amdhsa_private_segment_fixed_size 0
		.amdhsa_kernarg_size 48
		.amdhsa_user_sgpr_count 2
		.amdhsa_user_sgpr_dispatch_ptr 0
		.amdhsa_user_sgpr_queue_ptr 0
		.amdhsa_user_sgpr_kernarg_segment_ptr 1
		.amdhsa_user_sgpr_dispatch_id 0
		.amdhsa_user_sgpr_kernarg_preload_length 0
		.amdhsa_user_sgpr_kernarg_preload_offset 0
		.amdhsa_user_sgpr_private_segment_size 0
		.amdhsa_wavefront_size32 1
		.amdhsa_uses_dynamic_stack 0
		.amdhsa_enable_private_segment 0
		.amdhsa_system_sgpr_workgroup_id_x 1
		.amdhsa_system_sgpr_workgroup_id_y 0
		.amdhsa_system_sgpr_workgroup_id_z 0
		.amdhsa_system_sgpr_workgroup_info 0
		.amdhsa_system_vgpr_workitem_id 0
		.amdhsa_next_free_vgpr 1
		.amdhsa_next_free_sgpr 1
		.amdhsa_named_barrier_count 0
		.amdhsa_reserve_vcc 0
		.amdhsa_float_round_mode_32 0
		.amdhsa_float_round_mode_16_64 0
		.amdhsa_float_denorm_mode_32 3
		.amdhsa_float_denorm_mode_16_64 3
		.amdhsa_fp16_overflow 0
		.amdhsa_memory_ordered 1
		.amdhsa_forward_progress 1
		.amdhsa_inst_pref_size 0
		.amdhsa_round_robin_scheduling 0
		.amdhsa_exception_fp_ieee_invalid_op 0
		.amdhsa_exception_fp_denorm_src 0
		.amdhsa_exception_fp_ieee_div_zero 0
		.amdhsa_exception_fp_ieee_overflow 0
		.amdhsa_exception_fp_ieee_underflow 0
		.amdhsa_exception_fp_ieee_inexact 0
		.amdhsa_exception_int_div_zero 0
	.end_amdhsa_kernel
	.section	.text._ZN7rocprim17ROCPRIM_400000_NS6detail17trampoline_kernelINS0_14default_configENS1_35radix_sort_onesweep_config_selectorItNS0_10empty_typeEEEZNS1_34radix_sort_onesweep_global_offsetsIS3_Lb0EPKtPS5_mNS0_19identity_decomposerEEE10hipError_tT1_T2_PT3_SF_jT4_jjP12ihipStream_tbEUlT_E_NS1_11comp_targetILNS1_3genE2ELNS1_11target_archE906ELNS1_3gpuE6ELNS1_3repE0EEENS1_52radix_sort_onesweep_histogram_config_static_selectorELNS0_4arch9wavefront6targetE0EEEvSD_,"axG",@progbits,_ZN7rocprim17ROCPRIM_400000_NS6detail17trampoline_kernelINS0_14default_configENS1_35radix_sort_onesweep_config_selectorItNS0_10empty_typeEEEZNS1_34radix_sort_onesweep_global_offsetsIS3_Lb0EPKtPS5_mNS0_19identity_decomposerEEE10hipError_tT1_T2_PT3_SF_jT4_jjP12ihipStream_tbEUlT_E_NS1_11comp_targetILNS1_3genE2ELNS1_11target_archE906ELNS1_3gpuE6ELNS1_3repE0EEENS1_52radix_sort_onesweep_histogram_config_static_selectorELNS0_4arch9wavefront6targetE0EEEvSD_,comdat
.Lfunc_end2482:
	.size	_ZN7rocprim17ROCPRIM_400000_NS6detail17trampoline_kernelINS0_14default_configENS1_35radix_sort_onesweep_config_selectorItNS0_10empty_typeEEEZNS1_34radix_sort_onesweep_global_offsetsIS3_Lb0EPKtPS5_mNS0_19identity_decomposerEEE10hipError_tT1_T2_PT3_SF_jT4_jjP12ihipStream_tbEUlT_E_NS1_11comp_targetILNS1_3genE2ELNS1_11target_archE906ELNS1_3gpuE6ELNS1_3repE0EEENS1_52radix_sort_onesweep_histogram_config_static_selectorELNS0_4arch9wavefront6targetE0EEEvSD_, .Lfunc_end2482-_ZN7rocprim17ROCPRIM_400000_NS6detail17trampoline_kernelINS0_14default_configENS1_35radix_sort_onesweep_config_selectorItNS0_10empty_typeEEEZNS1_34radix_sort_onesweep_global_offsetsIS3_Lb0EPKtPS5_mNS0_19identity_decomposerEEE10hipError_tT1_T2_PT3_SF_jT4_jjP12ihipStream_tbEUlT_E_NS1_11comp_targetILNS1_3genE2ELNS1_11target_archE906ELNS1_3gpuE6ELNS1_3repE0EEENS1_52radix_sort_onesweep_histogram_config_static_selectorELNS0_4arch9wavefront6targetE0EEEvSD_
                                        ; -- End function
	.set _ZN7rocprim17ROCPRIM_400000_NS6detail17trampoline_kernelINS0_14default_configENS1_35radix_sort_onesweep_config_selectorItNS0_10empty_typeEEEZNS1_34radix_sort_onesweep_global_offsetsIS3_Lb0EPKtPS5_mNS0_19identity_decomposerEEE10hipError_tT1_T2_PT3_SF_jT4_jjP12ihipStream_tbEUlT_E_NS1_11comp_targetILNS1_3genE2ELNS1_11target_archE906ELNS1_3gpuE6ELNS1_3repE0EEENS1_52radix_sort_onesweep_histogram_config_static_selectorELNS0_4arch9wavefront6targetE0EEEvSD_.num_vgpr, 0
	.set _ZN7rocprim17ROCPRIM_400000_NS6detail17trampoline_kernelINS0_14default_configENS1_35radix_sort_onesweep_config_selectorItNS0_10empty_typeEEEZNS1_34radix_sort_onesweep_global_offsetsIS3_Lb0EPKtPS5_mNS0_19identity_decomposerEEE10hipError_tT1_T2_PT3_SF_jT4_jjP12ihipStream_tbEUlT_E_NS1_11comp_targetILNS1_3genE2ELNS1_11target_archE906ELNS1_3gpuE6ELNS1_3repE0EEENS1_52radix_sort_onesweep_histogram_config_static_selectorELNS0_4arch9wavefront6targetE0EEEvSD_.num_agpr, 0
	.set _ZN7rocprim17ROCPRIM_400000_NS6detail17trampoline_kernelINS0_14default_configENS1_35radix_sort_onesweep_config_selectorItNS0_10empty_typeEEEZNS1_34radix_sort_onesweep_global_offsetsIS3_Lb0EPKtPS5_mNS0_19identity_decomposerEEE10hipError_tT1_T2_PT3_SF_jT4_jjP12ihipStream_tbEUlT_E_NS1_11comp_targetILNS1_3genE2ELNS1_11target_archE906ELNS1_3gpuE6ELNS1_3repE0EEENS1_52radix_sort_onesweep_histogram_config_static_selectorELNS0_4arch9wavefront6targetE0EEEvSD_.numbered_sgpr, 0
	.set _ZN7rocprim17ROCPRIM_400000_NS6detail17trampoline_kernelINS0_14default_configENS1_35radix_sort_onesweep_config_selectorItNS0_10empty_typeEEEZNS1_34radix_sort_onesweep_global_offsetsIS3_Lb0EPKtPS5_mNS0_19identity_decomposerEEE10hipError_tT1_T2_PT3_SF_jT4_jjP12ihipStream_tbEUlT_E_NS1_11comp_targetILNS1_3genE2ELNS1_11target_archE906ELNS1_3gpuE6ELNS1_3repE0EEENS1_52radix_sort_onesweep_histogram_config_static_selectorELNS0_4arch9wavefront6targetE0EEEvSD_.num_named_barrier, 0
	.set _ZN7rocprim17ROCPRIM_400000_NS6detail17trampoline_kernelINS0_14default_configENS1_35radix_sort_onesweep_config_selectorItNS0_10empty_typeEEEZNS1_34radix_sort_onesweep_global_offsetsIS3_Lb0EPKtPS5_mNS0_19identity_decomposerEEE10hipError_tT1_T2_PT3_SF_jT4_jjP12ihipStream_tbEUlT_E_NS1_11comp_targetILNS1_3genE2ELNS1_11target_archE906ELNS1_3gpuE6ELNS1_3repE0EEENS1_52radix_sort_onesweep_histogram_config_static_selectorELNS0_4arch9wavefront6targetE0EEEvSD_.private_seg_size, 0
	.set _ZN7rocprim17ROCPRIM_400000_NS6detail17trampoline_kernelINS0_14default_configENS1_35radix_sort_onesweep_config_selectorItNS0_10empty_typeEEEZNS1_34radix_sort_onesweep_global_offsetsIS3_Lb0EPKtPS5_mNS0_19identity_decomposerEEE10hipError_tT1_T2_PT3_SF_jT4_jjP12ihipStream_tbEUlT_E_NS1_11comp_targetILNS1_3genE2ELNS1_11target_archE906ELNS1_3gpuE6ELNS1_3repE0EEENS1_52radix_sort_onesweep_histogram_config_static_selectorELNS0_4arch9wavefront6targetE0EEEvSD_.uses_vcc, 0
	.set _ZN7rocprim17ROCPRIM_400000_NS6detail17trampoline_kernelINS0_14default_configENS1_35radix_sort_onesweep_config_selectorItNS0_10empty_typeEEEZNS1_34radix_sort_onesweep_global_offsetsIS3_Lb0EPKtPS5_mNS0_19identity_decomposerEEE10hipError_tT1_T2_PT3_SF_jT4_jjP12ihipStream_tbEUlT_E_NS1_11comp_targetILNS1_3genE2ELNS1_11target_archE906ELNS1_3gpuE6ELNS1_3repE0EEENS1_52radix_sort_onesweep_histogram_config_static_selectorELNS0_4arch9wavefront6targetE0EEEvSD_.uses_flat_scratch, 0
	.set _ZN7rocprim17ROCPRIM_400000_NS6detail17trampoline_kernelINS0_14default_configENS1_35radix_sort_onesweep_config_selectorItNS0_10empty_typeEEEZNS1_34radix_sort_onesweep_global_offsetsIS3_Lb0EPKtPS5_mNS0_19identity_decomposerEEE10hipError_tT1_T2_PT3_SF_jT4_jjP12ihipStream_tbEUlT_E_NS1_11comp_targetILNS1_3genE2ELNS1_11target_archE906ELNS1_3gpuE6ELNS1_3repE0EEENS1_52radix_sort_onesweep_histogram_config_static_selectorELNS0_4arch9wavefront6targetE0EEEvSD_.has_dyn_sized_stack, 0
	.set _ZN7rocprim17ROCPRIM_400000_NS6detail17trampoline_kernelINS0_14default_configENS1_35radix_sort_onesweep_config_selectorItNS0_10empty_typeEEEZNS1_34radix_sort_onesweep_global_offsetsIS3_Lb0EPKtPS5_mNS0_19identity_decomposerEEE10hipError_tT1_T2_PT3_SF_jT4_jjP12ihipStream_tbEUlT_E_NS1_11comp_targetILNS1_3genE2ELNS1_11target_archE906ELNS1_3gpuE6ELNS1_3repE0EEENS1_52radix_sort_onesweep_histogram_config_static_selectorELNS0_4arch9wavefront6targetE0EEEvSD_.has_recursion, 0
	.set _ZN7rocprim17ROCPRIM_400000_NS6detail17trampoline_kernelINS0_14default_configENS1_35radix_sort_onesweep_config_selectorItNS0_10empty_typeEEEZNS1_34radix_sort_onesweep_global_offsetsIS3_Lb0EPKtPS5_mNS0_19identity_decomposerEEE10hipError_tT1_T2_PT3_SF_jT4_jjP12ihipStream_tbEUlT_E_NS1_11comp_targetILNS1_3genE2ELNS1_11target_archE906ELNS1_3gpuE6ELNS1_3repE0EEENS1_52radix_sort_onesweep_histogram_config_static_selectorELNS0_4arch9wavefront6targetE0EEEvSD_.has_indirect_call, 0
	.section	.AMDGPU.csdata,"",@progbits
; Kernel info:
; codeLenInByte = 0
; TotalNumSgprs: 0
; NumVgprs: 0
; ScratchSize: 0
; MemoryBound: 0
; FloatMode: 240
; IeeeMode: 1
; LDSByteSize: 0 bytes/workgroup (compile time only)
; SGPRBlocks: 0
; VGPRBlocks: 0
; NumSGPRsForWavesPerEU: 1
; NumVGPRsForWavesPerEU: 1
; NamedBarCnt: 0
; Occupancy: 16
; WaveLimiterHint : 0
; COMPUTE_PGM_RSRC2:SCRATCH_EN: 0
; COMPUTE_PGM_RSRC2:USER_SGPR: 2
; COMPUTE_PGM_RSRC2:TRAP_HANDLER: 0
; COMPUTE_PGM_RSRC2:TGID_X_EN: 1
; COMPUTE_PGM_RSRC2:TGID_Y_EN: 0
; COMPUTE_PGM_RSRC2:TGID_Z_EN: 0
; COMPUTE_PGM_RSRC2:TIDIG_COMP_CNT: 0
	.section	.text._ZN7rocprim17ROCPRIM_400000_NS6detail17trampoline_kernelINS0_14default_configENS1_35radix_sort_onesweep_config_selectorItNS0_10empty_typeEEEZNS1_34radix_sort_onesweep_global_offsetsIS3_Lb0EPKtPS5_mNS0_19identity_decomposerEEE10hipError_tT1_T2_PT3_SF_jT4_jjP12ihipStream_tbEUlT_E_NS1_11comp_targetILNS1_3genE4ELNS1_11target_archE910ELNS1_3gpuE8ELNS1_3repE0EEENS1_52radix_sort_onesweep_histogram_config_static_selectorELNS0_4arch9wavefront6targetE0EEEvSD_,"axG",@progbits,_ZN7rocprim17ROCPRIM_400000_NS6detail17trampoline_kernelINS0_14default_configENS1_35radix_sort_onesweep_config_selectorItNS0_10empty_typeEEEZNS1_34radix_sort_onesweep_global_offsetsIS3_Lb0EPKtPS5_mNS0_19identity_decomposerEEE10hipError_tT1_T2_PT3_SF_jT4_jjP12ihipStream_tbEUlT_E_NS1_11comp_targetILNS1_3genE4ELNS1_11target_archE910ELNS1_3gpuE8ELNS1_3repE0EEENS1_52radix_sort_onesweep_histogram_config_static_selectorELNS0_4arch9wavefront6targetE0EEEvSD_,comdat
	.protected	_ZN7rocprim17ROCPRIM_400000_NS6detail17trampoline_kernelINS0_14default_configENS1_35radix_sort_onesweep_config_selectorItNS0_10empty_typeEEEZNS1_34radix_sort_onesweep_global_offsetsIS3_Lb0EPKtPS5_mNS0_19identity_decomposerEEE10hipError_tT1_T2_PT3_SF_jT4_jjP12ihipStream_tbEUlT_E_NS1_11comp_targetILNS1_3genE4ELNS1_11target_archE910ELNS1_3gpuE8ELNS1_3repE0EEENS1_52radix_sort_onesweep_histogram_config_static_selectorELNS0_4arch9wavefront6targetE0EEEvSD_ ; -- Begin function _ZN7rocprim17ROCPRIM_400000_NS6detail17trampoline_kernelINS0_14default_configENS1_35radix_sort_onesweep_config_selectorItNS0_10empty_typeEEEZNS1_34radix_sort_onesweep_global_offsetsIS3_Lb0EPKtPS5_mNS0_19identity_decomposerEEE10hipError_tT1_T2_PT3_SF_jT4_jjP12ihipStream_tbEUlT_E_NS1_11comp_targetILNS1_3genE4ELNS1_11target_archE910ELNS1_3gpuE8ELNS1_3repE0EEENS1_52radix_sort_onesweep_histogram_config_static_selectorELNS0_4arch9wavefront6targetE0EEEvSD_
	.globl	_ZN7rocprim17ROCPRIM_400000_NS6detail17trampoline_kernelINS0_14default_configENS1_35radix_sort_onesweep_config_selectorItNS0_10empty_typeEEEZNS1_34radix_sort_onesweep_global_offsetsIS3_Lb0EPKtPS5_mNS0_19identity_decomposerEEE10hipError_tT1_T2_PT3_SF_jT4_jjP12ihipStream_tbEUlT_E_NS1_11comp_targetILNS1_3genE4ELNS1_11target_archE910ELNS1_3gpuE8ELNS1_3repE0EEENS1_52radix_sort_onesweep_histogram_config_static_selectorELNS0_4arch9wavefront6targetE0EEEvSD_
	.p2align	8
	.type	_ZN7rocprim17ROCPRIM_400000_NS6detail17trampoline_kernelINS0_14default_configENS1_35radix_sort_onesweep_config_selectorItNS0_10empty_typeEEEZNS1_34radix_sort_onesweep_global_offsetsIS3_Lb0EPKtPS5_mNS0_19identity_decomposerEEE10hipError_tT1_T2_PT3_SF_jT4_jjP12ihipStream_tbEUlT_E_NS1_11comp_targetILNS1_3genE4ELNS1_11target_archE910ELNS1_3gpuE8ELNS1_3repE0EEENS1_52radix_sort_onesweep_histogram_config_static_selectorELNS0_4arch9wavefront6targetE0EEEvSD_,@function
_ZN7rocprim17ROCPRIM_400000_NS6detail17trampoline_kernelINS0_14default_configENS1_35radix_sort_onesweep_config_selectorItNS0_10empty_typeEEEZNS1_34radix_sort_onesweep_global_offsetsIS3_Lb0EPKtPS5_mNS0_19identity_decomposerEEE10hipError_tT1_T2_PT3_SF_jT4_jjP12ihipStream_tbEUlT_E_NS1_11comp_targetILNS1_3genE4ELNS1_11target_archE910ELNS1_3gpuE8ELNS1_3repE0EEENS1_52radix_sort_onesweep_histogram_config_static_selectorELNS0_4arch9wavefront6targetE0EEEvSD_: ; @_ZN7rocprim17ROCPRIM_400000_NS6detail17trampoline_kernelINS0_14default_configENS1_35radix_sort_onesweep_config_selectorItNS0_10empty_typeEEEZNS1_34radix_sort_onesweep_global_offsetsIS3_Lb0EPKtPS5_mNS0_19identity_decomposerEEE10hipError_tT1_T2_PT3_SF_jT4_jjP12ihipStream_tbEUlT_E_NS1_11comp_targetILNS1_3genE4ELNS1_11target_archE910ELNS1_3gpuE8ELNS1_3repE0EEENS1_52radix_sort_onesweep_histogram_config_static_selectorELNS0_4arch9wavefront6targetE0EEEvSD_
; %bb.0:
	.section	.rodata,"a",@progbits
	.p2align	6, 0x0
	.amdhsa_kernel _ZN7rocprim17ROCPRIM_400000_NS6detail17trampoline_kernelINS0_14default_configENS1_35radix_sort_onesweep_config_selectorItNS0_10empty_typeEEEZNS1_34radix_sort_onesweep_global_offsetsIS3_Lb0EPKtPS5_mNS0_19identity_decomposerEEE10hipError_tT1_T2_PT3_SF_jT4_jjP12ihipStream_tbEUlT_E_NS1_11comp_targetILNS1_3genE4ELNS1_11target_archE910ELNS1_3gpuE8ELNS1_3repE0EEENS1_52radix_sort_onesweep_histogram_config_static_selectorELNS0_4arch9wavefront6targetE0EEEvSD_
		.amdhsa_group_segment_fixed_size 0
		.amdhsa_private_segment_fixed_size 0
		.amdhsa_kernarg_size 48
		.amdhsa_user_sgpr_count 2
		.amdhsa_user_sgpr_dispatch_ptr 0
		.amdhsa_user_sgpr_queue_ptr 0
		.amdhsa_user_sgpr_kernarg_segment_ptr 1
		.amdhsa_user_sgpr_dispatch_id 0
		.amdhsa_user_sgpr_kernarg_preload_length 0
		.amdhsa_user_sgpr_kernarg_preload_offset 0
		.amdhsa_user_sgpr_private_segment_size 0
		.amdhsa_wavefront_size32 1
		.amdhsa_uses_dynamic_stack 0
		.amdhsa_enable_private_segment 0
		.amdhsa_system_sgpr_workgroup_id_x 1
		.amdhsa_system_sgpr_workgroup_id_y 0
		.amdhsa_system_sgpr_workgroup_id_z 0
		.amdhsa_system_sgpr_workgroup_info 0
		.amdhsa_system_vgpr_workitem_id 0
		.amdhsa_next_free_vgpr 1
		.amdhsa_next_free_sgpr 1
		.amdhsa_named_barrier_count 0
		.amdhsa_reserve_vcc 0
		.amdhsa_float_round_mode_32 0
		.amdhsa_float_round_mode_16_64 0
		.amdhsa_float_denorm_mode_32 3
		.amdhsa_float_denorm_mode_16_64 3
		.amdhsa_fp16_overflow 0
		.amdhsa_memory_ordered 1
		.amdhsa_forward_progress 1
		.amdhsa_inst_pref_size 0
		.amdhsa_round_robin_scheduling 0
		.amdhsa_exception_fp_ieee_invalid_op 0
		.amdhsa_exception_fp_denorm_src 0
		.amdhsa_exception_fp_ieee_div_zero 0
		.amdhsa_exception_fp_ieee_overflow 0
		.amdhsa_exception_fp_ieee_underflow 0
		.amdhsa_exception_fp_ieee_inexact 0
		.amdhsa_exception_int_div_zero 0
	.end_amdhsa_kernel
	.section	.text._ZN7rocprim17ROCPRIM_400000_NS6detail17trampoline_kernelINS0_14default_configENS1_35radix_sort_onesweep_config_selectorItNS0_10empty_typeEEEZNS1_34radix_sort_onesweep_global_offsetsIS3_Lb0EPKtPS5_mNS0_19identity_decomposerEEE10hipError_tT1_T2_PT3_SF_jT4_jjP12ihipStream_tbEUlT_E_NS1_11comp_targetILNS1_3genE4ELNS1_11target_archE910ELNS1_3gpuE8ELNS1_3repE0EEENS1_52radix_sort_onesweep_histogram_config_static_selectorELNS0_4arch9wavefront6targetE0EEEvSD_,"axG",@progbits,_ZN7rocprim17ROCPRIM_400000_NS6detail17trampoline_kernelINS0_14default_configENS1_35radix_sort_onesweep_config_selectorItNS0_10empty_typeEEEZNS1_34radix_sort_onesweep_global_offsetsIS3_Lb0EPKtPS5_mNS0_19identity_decomposerEEE10hipError_tT1_T2_PT3_SF_jT4_jjP12ihipStream_tbEUlT_E_NS1_11comp_targetILNS1_3genE4ELNS1_11target_archE910ELNS1_3gpuE8ELNS1_3repE0EEENS1_52radix_sort_onesweep_histogram_config_static_selectorELNS0_4arch9wavefront6targetE0EEEvSD_,comdat
.Lfunc_end2483:
	.size	_ZN7rocprim17ROCPRIM_400000_NS6detail17trampoline_kernelINS0_14default_configENS1_35radix_sort_onesweep_config_selectorItNS0_10empty_typeEEEZNS1_34radix_sort_onesweep_global_offsetsIS3_Lb0EPKtPS5_mNS0_19identity_decomposerEEE10hipError_tT1_T2_PT3_SF_jT4_jjP12ihipStream_tbEUlT_E_NS1_11comp_targetILNS1_3genE4ELNS1_11target_archE910ELNS1_3gpuE8ELNS1_3repE0EEENS1_52radix_sort_onesweep_histogram_config_static_selectorELNS0_4arch9wavefront6targetE0EEEvSD_, .Lfunc_end2483-_ZN7rocprim17ROCPRIM_400000_NS6detail17trampoline_kernelINS0_14default_configENS1_35radix_sort_onesweep_config_selectorItNS0_10empty_typeEEEZNS1_34radix_sort_onesweep_global_offsetsIS3_Lb0EPKtPS5_mNS0_19identity_decomposerEEE10hipError_tT1_T2_PT3_SF_jT4_jjP12ihipStream_tbEUlT_E_NS1_11comp_targetILNS1_3genE4ELNS1_11target_archE910ELNS1_3gpuE8ELNS1_3repE0EEENS1_52radix_sort_onesweep_histogram_config_static_selectorELNS0_4arch9wavefront6targetE0EEEvSD_
                                        ; -- End function
	.set _ZN7rocprim17ROCPRIM_400000_NS6detail17trampoline_kernelINS0_14default_configENS1_35radix_sort_onesweep_config_selectorItNS0_10empty_typeEEEZNS1_34radix_sort_onesweep_global_offsetsIS3_Lb0EPKtPS5_mNS0_19identity_decomposerEEE10hipError_tT1_T2_PT3_SF_jT4_jjP12ihipStream_tbEUlT_E_NS1_11comp_targetILNS1_3genE4ELNS1_11target_archE910ELNS1_3gpuE8ELNS1_3repE0EEENS1_52radix_sort_onesweep_histogram_config_static_selectorELNS0_4arch9wavefront6targetE0EEEvSD_.num_vgpr, 0
	.set _ZN7rocprim17ROCPRIM_400000_NS6detail17trampoline_kernelINS0_14default_configENS1_35radix_sort_onesweep_config_selectorItNS0_10empty_typeEEEZNS1_34radix_sort_onesweep_global_offsetsIS3_Lb0EPKtPS5_mNS0_19identity_decomposerEEE10hipError_tT1_T2_PT3_SF_jT4_jjP12ihipStream_tbEUlT_E_NS1_11comp_targetILNS1_3genE4ELNS1_11target_archE910ELNS1_3gpuE8ELNS1_3repE0EEENS1_52radix_sort_onesweep_histogram_config_static_selectorELNS0_4arch9wavefront6targetE0EEEvSD_.num_agpr, 0
	.set _ZN7rocprim17ROCPRIM_400000_NS6detail17trampoline_kernelINS0_14default_configENS1_35radix_sort_onesweep_config_selectorItNS0_10empty_typeEEEZNS1_34radix_sort_onesweep_global_offsetsIS3_Lb0EPKtPS5_mNS0_19identity_decomposerEEE10hipError_tT1_T2_PT3_SF_jT4_jjP12ihipStream_tbEUlT_E_NS1_11comp_targetILNS1_3genE4ELNS1_11target_archE910ELNS1_3gpuE8ELNS1_3repE0EEENS1_52radix_sort_onesweep_histogram_config_static_selectorELNS0_4arch9wavefront6targetE0EEEvSD_.numbered_sgpr, 0
	.set _ZN7rocprim17ROCPRIM_400000_NS6detail17trampoline_kernelINS0_14default_configENS1_35radix_sort_onesweep_config_selectorItNS0_10empty_typeEEEZNS1_34radix_sort_onesweep_global_offsetsIS3_Lb0EPKtPS5_mNS0_19identity_decomposerEEE10hipError_tT1_T2_PT3_SF_jT4_jjP12ihipStream_tbEUlT_E_NS1_11comp_targetILNS1_3genE4ELNS1_11target_archE910ELNS1_3gpuE8ELNS1_3repE0EEENS1_52radix_sort_onesweep_histogram_config_static_selectorELNS0_4arch9wavefront6targetE0EEEvSD_.num_named_barrier, 0
	.set _ZN7rocprim17ROCPRIM_400000_NS6detail17trampoline_kernelINS0_14default_configENS1_35radix_sort_onesweep_config_selectorItNS0_10empty_typeEEEZNS1_34radix_sort_onesweep_global_offsetsIS3_Lb0EPKtPS5_mNS0_19identity_decomposerEEE10hipError_tT1_T2_PT3_SF_jT4_jjP12ihipStream_tbEUlT_E_NS1_11comp_targetILNS1_3genE4ELNS1_11target_archE910ELNS1_3gpuE8ELNS1_3repE0EEENS1_52radix_sort_onesweep_histogram_config_static_selectorELNS0_4arch9wavefront6targetE0EEEvSD_.private_seg_size, 0
	.set _ZN7rocprim17ROCPRIM_400000_NS6detail17trampoline_kernelINS0_14default_configENS1_35radix_sort_onesweep_config_selectorItNS0_10empty_typeEEEZNS1_34radix_sort_onesweep_global_offsetsIS3_Lb0EPKtPS5_mNS0_19identity_decomposerEEE10hipError_tT1_T2_PT3_SF_jT4_jjP12ihipStream_tbEUlT_E_NS1_11comp_targetILNS1_3genE4ELNS1_11target_archE910ELNS1_3gpuE8ELNS1_3repE0EEENS1_52radix_sort_onesweep_histogram_config_static_selectorELNS0_4arch9wavefront6targetE0EEEvSD_.uses_vcc, 0
	.set _ZN7rocprim17ROCPRIM_400000_NS6detail17trampoline_kernelINS0_14default_configENS1_35radix_sort_onesweep_config_selectorItNS0_10empty_typeEEEZNS1_34radix_sort_onesweep_global_offsetsIS3_Lb0EPKtPS5_mNS0_19identity_decomposerEEE10hipError_tT1_T2_PT3_SF_jT4_jjP12ihipStream_tbEUlT_E_NS1_11comp_targetILNS1_3genE4ELNS1_11target_archE910ELNS1_3gpuE8ELNS1_3repE0EEENS1_52radix_sort_onesweep_histogram_config_static_selectorELNS0_4arch9wavefront6targetE0EEEvSD_.uses_flat_scratch, 0
	.set _ZN7rocprim17ROCPRIM_400000_NS6detail17trampoline_kernelINS0_14default_configENS1_35radix_sort_onesweep_config_selectorItNS0_10empty_typeEEEZNS1_34radix_sort_onesweep_global_offsetsIS3_Lb0EPKtPS5_mNS0_19identity_decomposerEEE10hipError_tT1_T2_PT3_SF_jT4_jjP12ihipStream_tbEUlT_E_NS1_11comp_targetILNS1_3genE4ELNS1_11target_archE910ELNS1_3gpuE8ELNS1_3repE0EEENS1_52radix_sort_onesweep_histogram_config_static_selectorELNS0_4arch9wavefront6targetE0EEEvSD_.has_dyn_sized_stack, 0
	.set _ZN7rocprim17ROCPRIM_400000_NS6detail17trampoline_kernelINS0_14default_configENS1_35radix_sort_onesweep_config_selectorItNS0_10empty_typeEEEZNS1_34radix_sort_onesweep_global_offsetsIS3_Lb0EPKtPS5_mNS0_19identity_decomposerEEE10hipError_tT1_T2_PT3_SF_jT4_jjP12ihipStream_tbEUlT_E_NS1_11comp_targetILNS1_3genE4ELNS1_11target_archE910ELNS1_3gpuE8ELNS1_3repE0EEENS1_52radix_sort_onesweep_histogram_config_static_selectorELNS0_4arch9wavefront6targetE0EEEvSD_.has_recursion, 0
	.set _ZN7rocprim17ROCPRIM_400000_NS6detail17trampoline_kernelINS0_14default_configENS1_35radix_sort_onesweep_config_selectorItNS0_10empty_typeEEEZNS1_34radix_sort_onesweep_global_offsetsIS3_Lb0EPKtPS5_mNS0_19identity_decomposerEEE10hipError_tT1_T2_PT3_SF_jT4_jjP12ihipStream_tbEUlT_E_NS1_11comp_targetILNS1_3genE4ELNS1_11target_archE910ELNS1_3gpuE8ELNS1_3repE0EEENS1_52radix_sort_onesweep_histogram_config_static_selectorELNS0_4arch9wavefront6targetE0EEEvSD_.has_indirect_call, 0
	.section	.AMDGPU.csdata,"",@progbits
; Kernel info:
; codeLenInByte = 0
; TotalNumSgprs: 0
; NumVgprs: 0
; ScratchSize: 0
; MemoryBound: 0
; FloatMode: 240
; IeeeMode: 1
; LDSByteSize: 0 bytes/workgroup (compile time only)
; SGPRBlocks: 0
; VGPRBlocks: 0
; NumSGPRsForWavesPerEU: 1
; NumVGPRsForWavesPerEU: 1
; NamedBarCnt: 0
; Occupancy: 16
; WaveLimiterHint : 0
; COMPUTE_PGM_RSRC2:SCRATCH_EN: 0
; COMPUTE_PGM_RSRC2:USER_SGPR: 2
; COMPUTE_PGM_RSRC2:TRAP_HANDLER: 0
; COMPUTE_PGM_RSRC2:TGID_X_EN: 1
; COMPUTE_PGM_RSRC2:TGID_Y_EN: 0
; COMPUTE_PGM_RSRC2:TGID_Z_EN: 0
; COMPUTE_PGM_RSRC2:TIDIG_COMP_CNT: 0
	.section	.text._ZN7rocprim17ROCPRIM_400000_NS6detail17trampoline_kernelINS0_14default_configENS1_35radix_sort_onesweep_config_selectorItNS0_10empty_typeEEEZNS1_34radix_sort_onesweep_global_offsetsIS3_Lb0EPKtPS5_mNS0_19identity_decomposerEEE10hipError_tT1_T2_PT3_SF_jT4_jjP12ihipStream_tbEUlT_E_NS1_11comp_targetILNS1_3genE3ELNS1_11target_archE908ELNS1_3gpuE7ELNS1_3repE0EEENS1_52radix_sort_onesweep_histogram_config_static_selectorELNS0_4arch9wavefront6targetE0EEEvSD_,"axG",@progbits,_ZN7rocprim17ROCPRIM_400000_NS6detail17trampoline_kernelINS0_14default_configENS1_35radix_sort_onesweep_config_selectorItNS0_10empty_typeEEEZNS1_34radix_sort_onesweep_global_offsetsIS3_Lb0EPKtPS5_mNS0_19identity_decomposerEEE10hipError_tT1_T2_PT3_SF_jT4_jjP12ihipStream_tbEUlT_E_NS1_11comp_targetILNS1_3genE3ELNS1_11target_archE908ELNS1_3gpuE7ELNS1_3repE0EEENS1_52radix_sort_onesweep_histogram_config_static_selectorELNS0_4arch9wavefront6targetE0EEEvSD_,comdat
	.protected	_ZN7rocprim17ROCPRIM_400000_NS6detail17trampoline_kernelINS0_14default_configENS1_35radix_sort_onesweep_config_selectorItNS0_10empty_typeEEEZNS1_34radix_sort_onesweep_global_offsetsIS3_Lb0EPKtPS5_mNS0_19identity_decomposerEEE10hipError_tT1_T2_PT3_SF_jT4_jjP12ihipStream_tbEUlT_E_NS1_11comp_targetILNS1_3genE3ELNS1_11target_archE908ELNS1_3gpuE7ELNS1_3repE0EEENS1_52radix_sort_onesweep_histogram_config_static_selectorELNS0_4arch9wavefront6targetE0EEEvSD_ ; -- Begin function _ZN7rocprim17ROCPRIM_400000_NS6detail17trampoline_kernelINS0_14default_configENS1_35radix_sort_onesweep_config_selectorItNS0_10empty_typeEEEZNS1_34radix_sort_onesweep_global_offsetsIS3_Lb0EPKtPS5_mNS0_19identity_decomposerEEE10hipError_tT1_T2_PT3_SF_jT4_jjP12ihipStream_tbEUlT_E_NS1_11comp_targetILNS1_3genE3ELNS1_11target_archE908ELNS1_3gpuE7ELNS1_3repE0EEENS1_52radix_sort_onesweep_histogram_config_static_selectorELNS0_4arch9wavefront6targetE0EEEvSD_
	.globl	_ZN7rocprim17ROCPRIM_400000_NS6detail17trampoline_kernelINS0_14default_configENS1_35radix_sort_onesweep_config_selectorItNS0_10empty_typeEEEZNS1_34radix_sort_onesweep_global_offsetsIS3_Lb0EPKtPS5_mNS0_19identity_decomposerEEE10hipError_tT1_T2_PT3_SF_jT4_jjP12ihipStream_tbEUlT_E_NS1_11comp_targetILNS1_3genE3ELNS1_11target_archE908ELNS1_3gpuE7ELNS1_3repE0EEENS1_52radix_sort_onesweep_histogram_config_static_selectorELNS0_4arch9wavefront6targetE0EEEvSD_
	.p2align	8
	.type	_ZN7rocprim17ROCPRIM_400000_NS6detail17trampoline_kernelINS0_14default_configENS1_35radix_sort_onesweep_config_selectorItNS0_10empty_typeEEEZNS1_34radix_sort_onesweep_global_offsetsIS3_Lb0EPKtPS5_mNS0_19identity_decomposerEEE10hipError_tT1_T2_PT3_SF_jT4_jjP12ihipStream_tbEUlT_E_NS1_11comp_targetILNS1_3genE3ELNS1_11target_archE908ELNS1_3gpuE7ELNS1_3repE0EEENS1_52radix_sort_onesweep_histogram_config_static_selectorELNS0_4arch9wavefront6targetE0EEEvSD_,@function
_ZN7rocprim17ROCPRIM_400000_NS6detail17trampoline_kernelINS0_14default_configENS1_35radix_sort_onesweep_config_selectorItNS0_10empty_typeEEEZNS1_34radix_sort_onesweep_global_offsetsIS3_Lb0EPKtPS5_mNS0_19identity_decomposerEEE10hipError_tT1_T2_PT3_SF_jT4_jjP12ihipStream_tbEUlT_E_NS1_11comp_targetILNS1_3genE3ELNS1_11target_archE908ELNS1_3gpuE7ELNS1_3repE0EEENS1_52radix_sort_onesweep_histogram_config_static_selectorELNS0_4arch9wavefront6targetE0EEEvSD_: ; @_ZN7rocprim17ROCPRIM_400000_NS6detail17trampoline_kernelINS0_14default_configENS1_35radix_sort_onesweep_config_selectorItNS0_10empty_typeEEEZNS1_34radix_sort_onesweep_global_offsetsIS3_Lb0EPKtPS5_mNS0_19identity_decomposerEEE10hipError_tT1_T2_PT3_SF_jT4_jjP12ihipStream_tbEUlT_E_NS1_11comp_targetILNS1_3genE3ELNS1_11target_archE908ELNS1_3gpuE7ELNS1_3repE0EEENS1_52radix_sort_onesweep_histogram_config_static_selectorELNS0_4arch9wavefront6targetE0EEEvSD_
; %bb.0:
	.section	.rodata,"a",@progbits
	.p2align	6, 0x0
	.amdhsa_kernel _ZN7rocprim17ROCPRIM_400000_NS6detail17trampoline_kernelINS0_14default_configENS1_35radix_sort_onesweep_config_selectorItNS0_10empty_typeEEEZNS1_34radix_sort_onesweep_global_offsetsIS3_Lb0EPKtPS5_mNS0_19identity_decomposerEEE10hipError_tT1_T2_PT3_SF_jT4_jjP12ihipStream_tbEUlT_E_NS1_11comp_targetILNS1_3genE3ELNS1_11target_archE908ELNS1_3gpuE7ELNS1_3repE0EEENS1_52radix_sort_onesweep_histogram_config_static_selectorELNS0_4arch9wavefront6targetE0EEEvSD_
		.amdhsa_group_segment_fixed_size 0
		.amdhsa_private_segment_fixed_size 0
		.amdhsa_kernarg_size 48
		.amdhsa_user_sgpr_count 2
		.amdhsa_user_sgpr_dispatch_ptr 0
		.amdhsa_user_sgpr_queue_ptr 0
		.amdhsa_user_sgpr_kernarg_segment_ptr 1
		.amdhsa_user_sgpr_dispatch_id 0
		.amdhsa_user_sgpr_kernarg_preload_length 0
		.amdhsa_user_sgpr_kernarg_preload_offset 0
		.amdhsa_user_sgpr_private_segment_size 0
		.amdhsa_wavefront_size32 1
		.amdhsa_uses_dynamic_stack 0
		.amdhsa_enable_private_segment 0
		.amdhsa_system_sgpr_workgroup_id_x 1
		.amdhsa_system_sgpr_workgroup_id_y 0
		.amdhsa_system_sgpr_workgroup_id_z 0
		.amdhsa_system_sgpr_workgroup_info 0
		.amdhsa_system_vgpr_workitem_id 0
		.amdhsa_next_free_vgpr 1
		.amdhsa_next_free_sgpr 1
		.amdhsa_named_barrier_count 0
		.amdhsa_reserve_vcc 0
		.amdhsa_float_round_mode_32 0
		.amdhsa_float_round_mode_16_64 0
		.amdhsa_float_denorm_mode_32 3
		.amdhsa_float_denorm_mode_16_64 3
		.amdhsa_fp16_overflow 0
		.amdhsa_memory_ordered 1
		.amdhsa_forward_progress 1
		.amdhsa_inst_pref_size 0
		.amdhsa_round_robin_scheduling 0
		.amdhsa_exception_fp_ieee_invalid_op 0
		.amdhsa_exception_fp_denorm_src 0
		.amdhsa_exception_fp_ieee_div_zero 0
		.amdhsa_exception_fp_ieee_overflow 0
		.amdhsa_exception_fp_ieee_underflow 0
		.amdhsa_exception_fp_ieee_inexact 0
		.amdhsa_exception_int_div_zero 0
	.end_amdhsa_kernel
	.section	.text._ZN7rocprim17ROCPRIM_400000_NS6detail17trampoline_kernelINS0_14default_configENS1_35radix_sort_onesweep_config_selectorItNS0_10empty_typeEEEZNS1_34radix_sort_onesweep_global_offsetsIS3_Lb0EPKtPS5_mNS0_19identity_decomposerEEE10hipError_tT1_T2_PT3_SF_jT4_jjP12ihipStream_tbEUlT_E_NS1_11comp_targetILNS1_3genE3ELNS1_11target_archE908ELNS1_3gpuE7ELNS1_3repE0EEENS1_52radix_sort_onesweep_histogram_config_static_selectorELNS0_4arch9wavefront6targetE0EEEvSD_,"axG",@progbits,_ZN7rocprim17ROCPRIM_400000_NS6detail17trampoline_kernelINS0_14default_configENS1_35radix_sort_onesweep_config_selectorItNS0_10empty_typeEEEZNS1_34radix_sort_onesweep_global_offsetsIS3_Lb0EPKtPS5_mNS0_19identity_decomposerEEE10hipError_tT1_T2_PT3_SF_jT4_jjP12ihipStream_tbEUlT_E_NS1_11comp_targetILNS1_3genE3ELNS1_11target_archE908ELNS1_3gpuE7ELNS1_3repE0EEENS1_52radix_sort_onesweep_histogram_config_static_selectorELNS0_4arch9wavefront6targetE0EEEvSD_,comdat
.Lfunc_end2484:
	.size	_ZN7rocprim17ROCPRIM_400000_NS6detail17trampoline_kernelINS0_14default_configENS1_35radix_sort_onesweep_config_selectorItNS0_10empty_typeEEEZNS1_34radix_sort_onesweep_global_offsetsIS3_Lb0EPKtPS5_mNS0_19identity_decomposerEEE10hipError_tT1_T2_PT3_SF_jT4_jjP12ihipStream_tbEUlT_E_NS1_11comp_targetILNS1_3genE3ELNS1_11target_archE908ELNS1_3gpuE7ELNS1_3repE0EEENS1_52radix_sort_onesweep_histogram_config_static_selectorELNS0_4arch9wavefront6targetE0EEEvSD_, .Lfunc_end2484-_ZN7rocprim17ROCPRIM_400000_NS6detail17trampoline_kernelINS0_14default_configENS1_35radix_sort_onesweep_config_selectorItNS0_10empty_typeEEEZNS1_34radix_sort_onesweep_global_offsetsIS3_Lb0EPKtPS5_mNS0_19identity_decomposerEEE10hipError_tT1_T2_PT3_SF_jT4_jjP12ihipStream_tbEUlT_E_NS1_11comp_targetILNS1_3genE3ELNS1_11target_archE908ELNS1_3gpuE7ELNS1_3repE0EEENS1_52radix_sort_onesweep_histogram_config_static_selectorELNS0_4arch9wavefront6targetE0EEEvSD_
                                        ; -- End function
	.set _ZN7rocprim17ROCPRIM_400000_NS6detail17trampoline_kernelINS0_14default_configENS1_35radix_sort_onesweep_config_selectorItNS0_10empty_typeEEEZNS1_34radix_sort_onesweep_global_offsetsIS3_Lb0EPKtPS5_mNS0_19identity_decomposerEEE10hipError_tT1_T2_PT3_SF_jT4_jjP12ihipStream_tbEUlT_E_NS1_11comp_targetILNS1_3genE3ELNS1_11target_archE908ELNS1_3gpuE7ELNS1_3repE0EEENS1_52radix_sort_onesweep_histogram_config_static_selectorELNS0_4arch9wavefront6targetE0EEEvSD_.num_vgpr, 0
	.set _ZN7rocprim17ROCPRIM_400000_NS6detail17trampoline_kernelINS0_14default_configENS1_35radix_sort_onesweep_config_selectorItNS0_10empty_typeEEEZNS1_34radix_sort_onesweep_global_offsetsIS3_Lb0EPKtPS5_mNS0_19identity_decomposerEEE10hipError_tT1_T2_PT3_SF_jT4_jjP12ihipStream_tbEUlT_E_NS1_11comp_targetILNS1_3genE3ELNS1_11target_archE908ELNS1_3gpuE7ELNS1_3repE0EEENS1_52radix_sort_onesweep_histogram_config_static_selectorELNS0_4arch9wavefront6targetE0EEEvSD_.num_agpr, 0
	.set _ZN7rocprim17ROCPRIM_400000_NS6detail17trampoline_kernelINS0_14default_configENS1_35radix_sort_onesweep_config_selectorItNS0_10empty_typeEEEZNS1_34radix_sort_onesweep_global_offsetsIS3_Lb0EPKtPS5_mNS0_19identity_decomposerEEE10hipError_tT1_T2_PT3_SF_jT4_jjP12ihipStream_tbEUlT_E_NS1_11comp_targetILNS1_3genE3ELNS1_11target_archE908ELNS1_3gpuE7ELNS1_3repE0EEENS1_52radix_sort_onesweep_histogram_config_static_selectorELNS0_4arch9wavefront6targetE0EEEvSD_.numbered_sgpr, 0
	.set _ZN7rocprim17ROCPRIM_400000_NS6detail17trampoline_kernelINS0_14default_configENS1_35radix_sort_onesweep_config_selectorItNS0_10empty_typeEEEZNS1_34radix_sort_onesweep_global_offsetsIS3_Lb0EPKtPS5_mNS0_19identity_decomposerEEE10hipError_tT1_T2_PT3_SF_jT4_jjP12ihipStream_tbEUlT_E_NS1_11comp_targetILNS1_3genE3ELNS1_11target_archE908ELNS1_3gpuE7ELNS1_3repE0EEENS1_52radix_sort_onesweep_histogram_config_static_selectorELNS0_4arch9wavefront6targetE0EEEvSD_.num_named_barrier, 0
	.set _ZN7rocprim17ROCPRIM_400000_NS6detail17trampoline_kernelINS0_14default_configENS1_35radix_sort_onesweep_config_selectorItNS0_10empty_typeEEEZNS1_34radix_sort_onesweep_global_offsetsIS3_Lb0EPKtPS5_mNS0_19identity_decomposerEEE10hipError_tT1_T2_PT3_SF_jT4_jjP12ihipStream_tbEUlT_E_NS1_11comp_targetILNS1_3genE3ELNS1_11target_archE908ELNS1_3gpuE7ELNS1_3repE0EEENS1_52radix_sort_onesweep_histogram_config_static_selectorELNS0_4arch9wavefront6targetE0EEEvSD_.private_seg_size, 0
	.set _ZN7rocprim17ROCPRIM_400000_NS6detail17trampoline_kernelINS0_14default_configENS1_35radix_sort_onesweep_config_selectorItNS0_10empty_typeEEEZNS1_34radix_sort_onesweep_global_offsetsIS3_Lb0EPKtPS5_mNS0_19identity_decomposerEEE10hipError_tT1_T2_PT3_SF_jT4_jjP12ihipStream_tbEUlT_E_NS1_11comp_targetILNS1_3genE3ELNS1_11target_archE908ELNS1_3gpuE7ELNS1_3repE0EEENS1_52radix_sort_onesweep_histogram_config_static_selectorELNS0_4arch9wavefront6targetE0EEEvSD_.uses_vcc, 0
	.set _ZN7rocprim17ROCPRIM_400000_NS6detail17trampoline_kernelINS0_14default_configENS1_35radix_sort_onesweep_config_selectorItNS0_10empty_typeEEEZNS1_34radix_sort_onesweep_global_offsetsIS3_Lb0EPKtPS5_mNS0_19identity_decomposerEEE10hipError_tT1_T2_PT3_SF_jT4_jjP12ihipStream_tbEUlT_E_NS1_11comp_targetILNS1_3genE3ELNS1_11target_archE908ELNS1_3gpuE7ELNS1_3repE0EEENS1_52radix_sort_onesweep_histogram_config_static_selectorELNS0_4arch9wavefront6targetE0EEEvSD_.uses_flat_scratch, 0
	.set _ZN7rocprim17ROCPRIM_400000_NS6detail17trampoline_kernelINS0_14default_configENS1_35radix_sort_onesweep_config_selectorItNS0_10empty_typeEEEZNS1_34radix_sort_onesweep_global_offsetsIS3_Lb0EPKtPS5_mNS0_19identity_decomposerEEE10hipError_tT1_T2_PT3_SF_jT4_jjP12ihipStream_tbEUlT_E_NS1_11comp_targetILNS1_3genE3ELNS1_11target_archE908ELNS1_3gpuE7ELNS1_3repE0EEENS1_52radix_sort_onesweep_histogram_config_static_selectorELNS0_4arch9wavefront6targetE0EEEvSD_.has_dyn_sized_stack, 0
	.set _ZN7rocprim17ROCPRIM_400000_NS6detail17trampoline_kernelINS0_14default_configENS1_35radix_sort_onesweep_config_selectorItNS0_10empty_typeEEEZNS1_34radix_sort_onesweep_global_offsetsIS3_Lb0EPKtPS5_mNS0_19identity_decomposerEEE10hipError_tT1_T2_PT3_SF_jT4_jjP12ihipStream_tbEUlT_E_NS1_11comp_targetILNS1_3genE3ELNS1_11target_archE908ELNS1_3gpuE7ELNS1_3repE0EEENS1_52radix_sort_onesweep_histogram_config_static_selectorELNS0_4arch9wavefront6targetE0EEEvSD_.has_recursion, 0
	.set _ZN7rocprim17ROCPRIM_400000_NS6detail17trampoline_kernelINS0_14default_configENS1_35radix_sort_onesweep_config_selectorItNS0_10empty_typeEEEZNS1_34radix_sort_onesweep_global_offsetsIS3_Lb0EPKtPS5_mNS0_19identity_decomposerEEE10hipError_tT1_T2_PT3_SF_jT4_jjP12ihipStream_tbEUlT_E_NS1_11comp_targetILNS1_3genE3ELNS1_11target_archE908ELNS1_3gpuE7ELNS1_3repE0EEENS1_52radix_sort_onesweep_histogram_config_static_selectorELNS0_4arch9wavefront6targetE0EEEvSD_.has_indirect_call, 0
	.section	.AMDGPU.csdata,"",@progbits
; Kernel info:
; codeLenInByte = 0
; TotalNumSgprs: 0
; NumVgprs: 0
; ScratchSize: 0
; MemoryBound: 0
; FloatMode: 240
; IeeeMode: 1
; LDSByteSize: 0 bytes/workgroup (compile time only)
; SGPRBlocks: 0
; VGPRBlocks: 0
; NumSGPRsForWavesPerEU: 1
; NumVGPRsForWavesPerEU: 1
; NamedBarCnt: 0
; Occupancy: 16
; WaveLimiterHint : 0
; COMPUTE_PGM_RSRC2:SCRATCH_EN: 0
; COMPUTE_PGM_RSRC2:USER_SGPR: 2
; COMPUTE_PGM_RSRC2:TRAP_HANDLER: 0
; COMPUTE_PGM_RSRC2:TGID_X_EN: 1
; COMPUTE_PGM_RSRC2:TGID_Y_EN: 0
; COMPUTE_PGM_RSRC2:TGID_Z_EN: 0
; COMPUTE_PGM_RSRC2:TIDIG_COMP_CNT: 0
	.section	.text._ZN7rocprim17ROCPRIM_400000_NS6detail17trampoline_kernelINS0_14default_configENS1_35radix_sort_onesweep_config_selectorItNS0_10empty_typeEEEZNS1_34radix_sort_onesweep_global_offsetsIS3_Lb0EPKtPS5_mNS0_19identity_decomposerEEE10hipError_tT1_T2_PT3_SF_jT4_jjP12ihipStream_tbEUlT_E_NS1_11comp_targetILNS1_3genE10ELNS1_11target_archE1201ELNS1_3gpuE5ELNS1_3repE0EEENS1_52radix_sort_onesweep_histogram_config_static_selectorELNS0_4arch9wavefront6targetE0EEEvSD_,"axG",@progbits,_ZN7rocprim17ROCPRIM_400000_NS6detail17trampoline_kernelINS0_14default_configENS1_35radix_sort_onesweep_config_selectorItNS0_10empty_typeEEEZNS1_34radix_sort_onesweep_global_offsetsIS3_Lb0EPKtPS5_mNS0_19identity_decomposerEEE10hipError_tT1_T2_PT3_SF_jT4_jjP12ihipStream_tbEUlT_E_NS1_11comp_targetILNS1_3genE10ELNS1_11target_archE1201ELNS1_3gpuE5ELNS1_3repE0EEENS1_52radix_sort_onesweep_histogram_config_static_selectorELNS0_4arch9wavefront6targetE0EEEvSD_,comdat
	.protected	_ZN7rocprim17ROCPRIM_400000_NS6detail17trampoline_kernelINS0_14default_configENS1_35radix_sort_onesweep_config_selectorItNS0_10empty_typeEEEZNS1_34radix_sort_onesweep_global_offsetsIS3_Lb0EPKtPS5_mNS0_19identity_decomposerEEE10hipError_tT1_T2_PT3_SF_jT4_jjP12ihipStream_tbEUlT_E_NS1_11comp_targetILNS1_3genE10ELNS1_11target_archE1201ELNS1_3gpuE5ELNS1_3repE0EEENS1_52radix_sort_onesweep_histogram_config_static_selectorELNS0_4arch9wavefront6targetE0EEEvSD_ ; -- Begin function _ZN7rocprim17ROCPRIM_400000_NS6detail17trampoline_kernelINS0_14default_configENS1_35radix_sort_onesweep_config_selectorItNS0_10empty_typeEEEZNS1_34radix_sort_onesweep_global_offsetsIS3_Lb0EPKtPS5_mNS0_19identity_decomposerEEE10hipError_tT1_T2_PT3_SF_jT4_jjP12ihipStream_tbEUlT_E_NS1_11comp_targetILNS1_3genE10ELNS1_11target_archE1201ELNS1_3gpuE5ELNS1_3repE0EEENS1_52radix_sort_onesweep_histogram_config_static_selectorELNS0_4arch9wavefront6targetE0EEEvSD_
	.globl	_ZN7rocprim17ROCPRIM_400000_NS6detail17trampoline_kernelINS0_14default_configENS1_35radix_sort_onesweep_config_selectorItNS0_10empty_typeEEEZNS1_34radix_sort_onesweep_global_offsetsIS3_Lb0EPKtPS5_mNS0_19identity_decomposerEEE10hipError_tT1_T2_PT3_SF_jT4_jjP12ihipStream_tbEUlT_E_NS1_11comp_targetILNS1_3genE10ELNS1_11target_archE1201ELNS1_3gpuE5ELNS1_3repE0EEENS1_52radix_sort_onesweep_histogram_config_static_selectorELNS0_4arch9wavefront6targetE0EEEvSD_
	.p2align	8
	.type	_ZN7rocprim17ROCPRIM_400000_NS6detail17trampoline_kernelINS0_14default_configENS1_35radix_sort_onesweep_config_selectorItNS0_10empty_typeEEEZNS1_34radix_sort_onesweep_global_offsetsIS3_Lb0EPKtPS5_mNS0_19identity_decomposerEEE10hipError_tT1_T2_PT3_SF_jT4_jjP12ihipStream_tbEUlT_E_NS1_11comp_targetILNS1_3genE10ELNS1_11target_archE1201ELNS1_3gpuE5ELNS1_3repE0EEENS1_52radix_sort_onesweep_histogram_config_static_selectorELNS0_4arch9wavefront6targetE0EEEvSD_,@function
_ZN7rocprim17ROCPRIM_400000_NS6detail17trampoline_kernelINS0_14default_configENS1_35radix_sort_onesweep_config_selectorItNS0_10empty_typeEEEZNS1_34radix_sort_onesweep_global_offsetsIS3_Lb0EPKtPS5_mNS0_19identity_decomposerEEE10hipError_tT1_T2_PT3_SF_jT4_jjP12ihipStream_tbEUlT_E_NS1_11comp_targetILNS1_3genE10ELNS1_11target_archE1201ELNS1_3gpuE5ELNS1_3repE0EEENS1_52radix_sort_onesweep_histogram_config_static_selectorELNS0_4arch9wavefront6targetE0EEEvSD_: ; @_ZN7rocprim17ROCPRIM_400000_NS6detail17trampoline_kernelINS0_14default_configENS1_35radix_sort_onesweep_config_selectorItNS0_10empty_typeEEEZNS1_34radix_sort_onesweep_global_offsetsIS3_Lb0EPKtPS5_mNS0_19identity_decomposerEEE10hipError_tT1_T2_PT3_SF_jT4_jjP12ihipStream_tbEUlT_E_NS1_11comp_targetILNS1_3genE10ELNS1_11target_archE1201ELNS1_3gpuE5ELNS1_3repE0EEENS1_52radix_sort_onesweep_histogram_config_static_selectorELNS0_4arch9wavefront6targetE0EEEvSD_
; %bb.0:
	.section	.rodata,"a",@progbits
	.p2align	6, 0x0
	.amdhsa_kernel _ZN7rocprim17ROCPRIM_400000_NS6detail17trampoline_kernelINS0_14default_configENS1_35radix_sort_onesweep_config_selectorItNS0_10empty_typeEEEZNS1_34radix_sort_onesweep_global_offsetsIS3_Lb0EPKtPS5_mNS0_19identity_decomposerEEE10hipError_tT1_T2_PT3_SF_jT4_jjP12ihipStream_tbEUlT_E_NS1_11comp_targetILNS1_3genE10ELNS1_11target_archE1201ELNS1_3gpuE5ELNS1_3repE0EEENS1_52radix_sort_onesweep_histogram_config_static_selectorELNS0_4arch9wavefront6targetE0EEEvSD_
		.amdhsa_group_segment_fixed_size 0
		.amdhsa_private_segment_fixed_size 0
		.amdhsa_kernarg_size 48
		.amdhsa_user_sgpr_count 2
		.amdhsa_user_sgpr_dispatch_ptr 0
		.amdhsa_user_sgpr_queue_ptr 0
		.amdhsa_user_sgpr_kernarg_segment_ptr 1
		.amdhsa_user_sgpr_dispatch_id 0
		.amdhsa_user_sgpr_kernarg_preload_length 0
		.amdhsa_user_sgpr_kernarg_preload_offset 0
		.amdhsa_user_sgpr_private_segment_size 0
		.amdhsa_wavefront_size32 1
		.amdhsa_uses_dynamic_stack 0
		.amdhsa_enable_private_segment 0
		.amdhsa_system_sgpr_workgroup_id_x 1
		.amdhsa_system_sgpr_workgroup_id_y 0
		.amdhsa_system_sgpr_workgroup_id_z 0
		.amdhsa_system_sgpr_workgroup_info 0
		.amdhsa_system_vgpr_workitem_id 0
		.amdhsa_next_free_vgpr 1
		.amdhsa_next_free_sgpr 1
		.amdhsa_named_barrier_count 0
		.amdhsa_reserve_vcc 0
		.amdhsa_float_round_mode_32 0
		.amdhsa_float_round_mode_16_64 0
		.amdhsa_float_denorm_mode_32 3
		.amdhsa_float_denorm_mode_16_64 3
		.amdhsa_fp16_overflow 0
		.amdhsa_memory_ordered 1
		.amdhsa_forward_progress 1
		.amdhsa_inst_pref_size 0
		.amdhsa_round_robin_scheduling 0
		.amdhsa_exception_fp_ieee_invalid_op 0
		.amdhsa_exception_fp_denorm_src 0
		.amdhsa_exception_fp_ieee_div_zero 0
		.amdhsa_exception_fp_ieee_overflow 0
		.amdhsa_exception_fp_ieee_underflow 0
		.amdhsa_exception_fp_ieee_inexact 0
		.amdhsa_exception_int_div_zero 0
	.end_amdhsa_kernel
	.section	.text._ZN7rocprim17ROCPRIM_400000_NS6detail17trampoline_kernelINS0_14default_configENS1_35radix_sort_onesweep_config_selectorItNS0_10empty_typeEEEZNS1_34radix_sort_onesweep_global_offsetsIS3_Lb0EPKtPS5_mNS0_19identity_decomposerEEE10hipError_tT1_T2_PT3_SF_jT4_jjP12ihipStream_tbEUlT_E_NS1_11comp_targetILNS1_3genE10ELNS1_11target_archE1201ELNS1_3gpuE5ELNS1_3repE0EEENS1_52radix_sort_onesweep_histogram_config_static_selectorELNS0_4arch9wavefront6targetE0EEEvSD_,"axG",@progbits,_ZN7rocprim17ROCPRIM_400000_NS6detail17trampoline_kernelINS0_14default_configENS1_35radix_sort_onesweep_config_selectorItNS0_10empty_typeEEEZNS1_34radix_sort_onesweep_global_offsetsIS3_Lb0EPKtPS5_mNS0_19identity_decomposerEEE10hipError_tT1_T2_PT3_SF_jT4_jjP12ihipStream_tbEUlT_E_NS1_11comp_targetILNS1_3genE10ELNS1_11target_archE1201ELNS1_3gpuE5ELNS1_3repE0EEENS1_52radix_sort_onesweep_histogram_config_static_selectorELNS0_4arch9wavefront6targetE0EEEvSD_,comdat
.Lfunc_end2485:
	.size	_ZN7rocprim17ROCPRIM_400000_NS6detail17trampoline_kernelINS0_14default_configENS1_35radix_sort_onesweep_config_selectorItNS0_10empty_typeEEEZNS1_34radix_sort_onesweep_global_offsetsIS3_Lb0EPKtPS5_mNS0_19identity_decomposerEEE10hipError_tT1_T2_PT3_SF_jT4_jjP12ihipStream_tbEUlT_E_NS1_11comp_targetILNS1_3genE10ELNS1_11target_archE1201ELNS1_3gpuE5ELNS1_3repE0EEENS1_52radix_sort_onesweep_histogram_config_static_selectorELNS0_4arch9wavefront6targetE0EEEvSD_, .Lfunc_end2485-_ZN7rocprim17ROCPRIM_400000_NS6detail17trampoline_kernelINS0_14default_configENS1_35radix_sort_onesweep_config_selectorItNS0_10empty_typeEEEZNS1_34radix_sort_onesweep_global_offsetsIS3_Lb0EPKtPS5_mNS0_19identity_decomposerEEE10hipError_tT1_T2_PT3_SF_jT4_jjP12ihipStream_tbEUlT_E_NS1_11comp_targetILNS1_3genE10ELNS1_11target_archE1201ELNS1_3gpuE5ELNS1_3repE0EEENS1_52radix_sort_onesweep_histogram_config_static_selectorELNS0_4arch9wavefront6targetE0EEEvSD_
                                        ; -- End function
	.set _ZN7rocprim17ROCPRIM_400000_NS6detail17trampoline_kernelINS0_14default_configENS1_35radix_sort_onesweep_config_selectorItNS0_10empty_typeEEEZNS1_34radix_sort_onesweep_global_offsetsIS3_Lb0EPKtPS5_mNS0_19identity_decomposerEEE10hipError_tT1_T2_PT3_SF_jT4_jjP12ihipStream_tbEUlT_E_NS1_11comp_targetILNS1_3genE10ELNS1_11target_archE1201ELNS1_3gpuE5ELNS1_3repE0EEENS1_52radix_sort_onesweep_histogram_config_static_selectorELNS0_4arch9wavefront6targetE0EEEvSD_.num_vgpr, 0
	.set _ZN7rocprim17ROCPRIM_400000_NS6detail17trampoline_kernelINS0_14default_configENS1_35radix_sort_onesweep_config_selectorItNS0_10empty_typeEEEZNS1_34radix_sort_onesweep_global_offsetsIS3_Lb0EPKtPS5_mNS0_19identity_decomposerEEE10hipError_tT1_T2_PT3_SF_jT4_jjP12ihipStream_tbEUlT_E_NS1_11comp_targetILNS1_3genE10ELNS1_11target_archE1201ELNS1_3gpuE5ELNS1_3repE0EEENS1_52radix_sort_onesweep_histogram_config_static_selectorELNS0_4arch9wavefront6targetE0EEEvSD_.num_agpr, 0
	.set _ZN7rocprim17ROCPRIM_400000_NS6detail17trampoline_kernelINS0_14default_configENS1_35radix_sort_onesweep_config_selectorItNS0_10empty_typeEEEZNS1_34radix_sort_onesweep_global_offsetsIS3_Lb0EPKtPS5_mNS0_19identity_decomposerEEE10hipError_tT1_T2_PT3_SF_jT4_jjP12ihipStream_tbEUlT_E_NS1_11comp_targetILNS1_3genE10ELNS1_11target_archE1201ELNS1_3gpuE5ELNS1_3repE0EEENS1_52radix_sort_onesweep_histogram_config_static_selectorELNS0_4arch9wavefront6targetE0EEEvSD_.numbered_sgpr, 0
	.set _ZN7rocprim17ROCPRIM_400000_NS6detail17trampoline_kernelINS0_14default_configENS1_35radix_sort_onesweep_config_selectorItNS0_10empty_typeEEEZNS1_34radix_sort_onesweep_global_offsetsIS3_Lb0EPKtPS5_mNS0_19identity_decomposerEEE10hipError_tT1_T2_PT3_SF_jT4_jjP12ihipStream_tbEUlT_E_NS1_11comp_targetILNS1_3genE10ELNS1_11target_archE1201ELNS1_3gpuE5ELNS1_3repE0EEENS1_52radix_sort_onesweep_histogram_config_static_selectorELNS0_4arch9wavefront6targetE0EEEvSD_.num_named_barrier, 0
	.set _ZN7rocprim17ROCPRIM_400000_NS6detail17trampoline_kernelINS0_14default_configENS1_35radix_sort_onesweep_config_selectorItNS0_10empty_typeEEEZNS1_34radix_sort_onesweep_global_offsetsIS3_Lb0EPKtPS5_mNS0_19identity_decomposerEEE10hipError_tT1_T2_PT3_SF_jT4_jjP12ihipStream_tbEUlT_E_NS1_11comp_targetILNS1_3genE10ELNS1_11target_archE1201ELNS1_3gpuE5ELNS1_3repE0EEENS1_52radix_sort_onesweep_histogram_config_static_selectorELNS0_4arch9wavefront6targetE0EEEvSD_.private_seg_size, 0
	.set _ZN7rocprim17ROCPRIM_400000_NS6detail17trampoline_kernelINS0_14default_configENS1_35radix_sort_onesweep_config_selectorItNS0_10empty_typeEEEZNS1_34radix_sort_onesweep_global_offsetsIS3_Lb0EPKtPS5_mNS0_19identity_decomposerEEE10hipError_tT1_T2_PT3_SF_jT4_jjP12ihipStream_tbEUlT_E_NS1_11comp_targetILNS1_3genE10ELNS1_11target_archE1201ELNS1_3gpuE5ELNS1_3repE0EEENS1_52radix_sort_onesweep_histogram_config_static_selectorELNS0_4arch9wavefront6targetE0EEEvSD_.uses_vcc, 0
	.set _ZN7rocprim17ROCPRIM_400000_NS6detail17trampoline_kernelINS0_14default_configENS1_35radix_sort_onesweep_config_selectorItNS0_10empty_typeEEEZNS1_34radix_sort_onesweep_global_offsetsIS3_Lb0EPKtPS5_mNS0_19identity_decomposerEEE10hipError_tT1_T2_PT3_SF_jT4_jjP12ihipStream_tbEUlT_E_NS1_11comp_targetILNS1_3genE10ELNS1_11target_archE1201ELNS1_3gpuE5ELNS1_3repE0EEENS1_52radix_sort_onesweep_histogram_config_static_selectorELNS0_4arch9wavefront6targetE0EEEvSD_.uses_flat_scratch, 0
	.set _ZN7rocprim17ROCPRIM_400000_NS6detail17trampoline_kernelINS0_14default_configENS1_35radix_sort_onesweep_config_selectorItNS0_10empty_typeEEEZNS1_34radix_sort_onesweep_global_offsetsIS3_Lb0EPKtPS5_mNS0_19identity_decomposerEEE10hipError_tT1_T2_PT3_SF_jT4_jjP12ihipStream_tbEUlT_E_NS1_11comp_targetILNS1_3genE10ELNS1_11target_archE1201ELNS1_3gpuE5ELNS1_3repE0EEENS1_52radix_sort_onesweep_histogram_config_static_selectorELNS0_4arch9wavefront6targetE0EEEvSD_.has_dyn_sized_stack, 0
	.set _ZN7rocprim17ROCPRIM_400000_NS6detail17trampoline_kernelINS0_14default_configENS1_35radix_sort_onesweep_config_selectorItNS0_10empty_typeEEEZNS1_34radix_sort_onesweep_global_offsetsIS3_Lb0EPKtPS5_mNS0_19identity_decomposerEEE10hipError_tT1_T2_PT3_SF_jT4_jjP12ihipStream_tbEUlT_E_NS1_11comp_targetILNS1_3genE10ELNS1_11target_archE1201ELNS1_3gpuE5ELNS1_3repE0EEENS1_52radix_sort_onesweep_histogram_config_static_selectorELNS0_4arch9wavefront6targetE0EEEvSD_.has_recursion, 0
	.set _ZN7rocprim17ROCPRIM_400000_NS6detail17trampoline_kernelINS0_14default_configENS1_35radix_sort_onesweep_config_selectorItNS0_10empty_typeEEEZNS1_34radix_sort_onesweep_global_offsetsIS3_Lb0EPKtPS5_mNS0_19identity_decomposerEEE10hipError_tT1_T2_PT3_SF_jT4_jjP12ihipStream_tbEUlT_E_NS1_11comp_targetILNS1_3genE10ELNS1_11target_archE1201ELNS1_3gpuE5ELNS1_3repE0EEENS1_52radix_sort_onesweep_histogram_config_static_selectorELNS0_4arch9wavefront6targetE0EEEvSD_.has_indirect_call, 0
	.section	.AMDGPU.csdata,"",@progbits
; Kernel info:
; codeLenInByte = 0
; TotalNumSgprs: 0
; NumVgprs: 0
; ScratchSize: 0
; MemoryBound: 0
; FloatMode: 240
; IeeeMode: 1
; LDSByteSize: 0 bytes/workgroup (compile time only)
; SGPRBlocks: 0
; VGPRBlocks: 0
; NumSGPRsForWavesPerEU: 1
; NumVGPRsForWavesPerEU: 1
; NamedBarCnt: 0
; Occupancy: 16
; WaveLimiterHint : 0
; COMPUTE_PGM_RSRC2:SCRATCH_EN: 0
; COMPUTE_PGM_RSRC2:USER_SGPR: 2
; COMPUTE_PGM_RSRC2:TRAP_HANDLER: 0
; COMPUTE_PGM_RSRC2:TGID_X_EN: 1
; COMPUTE_PGM_RSRC2:TGID_Y_EN: 0
; COMPUTE_PGM_RSRC2:TGID_Z_EN: 0
; COMPUTE_PGM_RSRC2:TIDIG_COMP_CNT: 0
	.section	.text._ZN7rocprim17ROCPRIM_400000_NS6detail17trampoline_kernelINS0_14default_configENS1_35radix_sort_onesweep_config_selectorItNS0_10empty_typeEEEZNS1_34radix_sort_onesweep_global_offsetsIS3_Lb0EPKtPS5_mNS0_19identity_decomposerEEE10hipError_tT1_T2_PT3_SF_jT4_jjP12ihipStream_tbEUlT_E_NS1_11comp_targetILNS1_3genE9ELNS1_11target_archE1100ELNS1_3gpuE3ELNS1_3repE0EEENS1_52radix_sort_onesweep_histogram_config_static_selectorELNS0_4arch9wavefront6targetE0EEEvSD_,"axG",@progbits,_ZN7rocprim17ROCPRIM_400000_NS6detail17trampoline_kernelINS0_14default_configENS1_35radix_sort_onesweep_config_selectorItNS0_10empty_typeEEEZNS1_34radix_sort_onesweep_global_offsetsIS3_Lb0EPKtPS5_mNS0_19identity_decomposerEEE10hipError_tT1_T2_PT3_SF_jT4_jjP12ihipStream_tbEUlT_E_NS1_11comp_targetILNS1_3genE9ELNS1_11target_archE1100ELNS1_3gpuE3ELNS1_3repE0EEENS1_52radix_sort_onesweep_histogram_config_static_selectorELNS0_4arch9wavefront6targetE0EEEvSD_,comdat
	.protected	_ZN7rocprim17ROCPRIM_400000_NS6detail17trampoline_kernelINS0_14default_configENS1_35radix_sort_onesweep_config_selectorItNS0_10empty_typeEEEZNS1_34radix_sort_onesweep_global_offsetsIS3_Lb0EPKtPS5_mNS0_19identity_decomposerEEE10hipError_tT1_T2_PT3_SF_jT4_jjP12ihipStream_tbEUlT_E_NS1_11comp_targetILNS1_3genE9ELNS1_11target_archE1100ELNS1_3gpuE3ELNS1_3repE0EEENS1_52radix_sort_onesweep_histogram_config_static_selectorELNS0_4arch9wavefront6targetE0EEEvSD_ ; -- Begin function _ZN7rocprim17ROCPRIM_400000_NS6detail17trampoline_kernelINS0_14default_configENS1_35radix_sort_onesweep_config_selectorItNS0_10empty_typeEEEZNS1_34radix_sort_onesweep_global_offsetsIS3_Lb0EPKtPS5_mNS0_19identity_decomposerEEE10hipError_tT1_T2_PT3_SF_jT4_jjP12ihipStream_tbEUlT_E_NS1_11comp_targetILNS1_3genE9ELNS1_11target_archE1100ELNS1_3gpuE3ELNS1_3repE0EEENS1_52radix_sort_onesweep_histogram_config_static_selectorELNS0_4arch9wavefront6targetE0EEEvSD_
	.globl	_ZN7rocprim17ROCPRIM_400000_NS6detail17trampoline_kernelINS0_14default_configENS1_35radix_sort_onesweep_config_selectorItNS0_10empty_typeEEEZNS1_34radix_sort_onesweep_global_offsetsIS3_Lb0EPKtPS5_mNS0_19identity_decomposerEEE10hipError_tT1_T2_PT3_SF_jT4_jjP12ihipStream_tbEUlT_E_NS1_11comp_targetILNS1_3genE9ELNS1_11target_archE1100ELNS1_3gpuE3ELNS1_3repE0EEENS1_52radix_sort_onesweep_histogram_config_static_selectorELNS0_4arch9wavefront6targetE0EEEvSD_
	.p2align	8
	.type	_ZN7rocprim17ROCPRIM_400000_NS6detail17trampoline_kernelINS0_14default_configENS1_35radix_sort_onesweep_config_selectorItNS0_10empty_typeEEEZNS1_34radix_sort_onesweep_global_offsetsIS3_Lb0EPKtPS5_mNS0_19identity_decomposerEEE10hipError_tT1_T2_PT3_SF_jT4_jjP12ihipStream_tbEUlT_E_NS1_11comp_targetILNS1_3genE9ELNS1_11target_archE1100ELNS1_3gpuE3ELNS1_3repE0EEENS1_52radix_sort_onesweep_histogram_config_static_selectorELNS0_4arch9wavefront6targetE0EEEvSD_,@function
_ZN7rocprim17ROCPRIM_400000_NS6detail17trampoline_kernelINS0_14default_configENS1_35radix_sort_onesweep_config_selectorItNS0_10empty_typeEEEZNS1_34radix_sort_onesweep_global_offsetsIS3_Lb0EPKtPS5_mNS0_19identity_decomposerEEE10hipError_tT1_T2_PT3_SF_jT4_jjP12ihipStream_tbEUlT_E_NS1_11comp_targetILNS1_3genE9ELNS1_11target_archE1100ELNS1_3gpuE3ELNS1_3repE0EEENS1_52radix_sort_onesweep_histogram_config_static_selectorELNS0_4arch9wavefront6targetE0EEEvSD_: ; @_ZN7rocprim17ROCPRIM_400000_NS6detail17trampoline_kernelINS0_14default_configENS1_35radix_sort_onesweep_config_selectorItNS0_10empty_typeEEEZNS1_34radix_sort_onesweep_global_offsetsIS3_Lb0EPKtPS5_mNS0_19identity_decomposerEEE10hipError_tT1_T2_PT3_SF_jT4_jjP12ihipStream_tbEUlT_E_NS1_11comp_targetILNS1_3genE9ELNS1_11target_archE1100ELNS1_3gpuE3ELNS1_3repE0EEENS1_52radix_sort_onesweep_histogram_config_static_selectorELNS0_4arch9wavefront6targetE0EEEvSD_
; %bb.0:
	.section	.rodata,"a",@progbits
	.p2align	6, 0x0
	.amdhsa_kernel _ZN7rocprim17ROCPRIM_400000_NS6detail17trampoline_kernelINS0_14default_configENS1_35radix_sort_onesweep_config_selectorItNS0_10empty_typeEEEZNS1_34radix_sort_onesweep_global_offsetsIS3_Lb0EPKtPS5_mNS0_19identity_decomposerEEE10hipError_tT1_T2_PT3_SF_jT4_jjP12ihipStream_tbEUlT_E_NS1_11comp_targetILNS1_3genE9ELNS1_11target_archE1100ELNS1_3gpuE3ELNS1_3repE0EEENS1_52radix_sort_onesweep_histogram_config_static_selectorELNS0_4arch9wavefront6targetE0EEEvSD_
		.amdhsa_group_segment_fixed_size 0
		.amdhsa_private_segment_fixed_size 0
		.amdhsa_kernarg_size 48
		.amdhsa_user_sgpr_count 2
		.amdhsa_user_sgpr_dispatch_ptr 0
		.amdhsa_user_sgpr_queue_ptr 0
		.amdhsa_user_sgpr_kernarg_segment_ptr 1
		.amdhsa_user_sgpr_dispatch_id 0
		.amdhsa_user_sgpr_kernarg_preload_length 0
		.amdhsa_user_sgpr_kernarg_preload_offset 0
		.amdhsa_user_sgpr_private_segment_size 0
		.amdhsa_wavefront_size32 1
		.amdhsa_uses_dynamic_stack 0
		.amdhsa_enable_private_segment 0
		.amdhsa_system_sgpr_workgroup_id_x 1
		.amdhsa_system_sgpr_workgroup_id_y 0
		.amdhsa_system_sgpr_workgroup_id_z 0
		.amdhsa_system_sgpr_workgroup_info 0
		.amdhsa_system_vgpr_workitem_id 0
		.amdhsa_next_free_vgpr 1
		.amdhsa_next_free_sgpr 1
		.amdhsa_named_barrier_count 0
		.amdhsa_reserve_vcc 0
		.amdhsa_float_round_mode_32 0
		.amdhsa_float_round_mode_16_64 0
		.amdhsa_float_denorm_mode_32 3
		.amdhsa_float_denorm_mode_16_64 3
		.amdhsa_fp16_overflow 0
		.amdhsa_memory_ordered 1
		.amdhsa_forward_progress 1
		.amdhsa_inst_pref_size 0
		.amdhsa_round_robin_scheduling 0
		.amdhsa_exception_fp_ieee_invalid_op 0
		.amdhsa_exception_fp_denorm_src 0
		.amdhsa_exception_fp_ieee_div_zero 0
		.amdhsa_exception_fp_ieee_overflow 0
		.amdhsa_exception_fp_ieee_underflow 0
		.amdhsa_exception_fp_ieee_inexact 0
		.amdhsa_exception_int_div_zero 0
	.end_amdhsa_kernel
	.section	.text._ZN7rocprim17ROCPRIM_400000_NS6detail17trampoline_kernelINS0_14default_configENS1_35radix_sort_onesweep_config_selectorItNS0_10empty_typeEEEZNS1_34radix_sort_onesweep_global_offsetsIS3_Lb0EPKtPS5_mNS0_19identity_decomposerEEE10hipError_tT1_T2_PT3_SF_jT4_jjP12ihipStream_tbEUlT_E_NS1_11comp_targetILNS1_3genE9ELNS1_11target_archE1100ELNS1_3gpuE3ELNS1_3repE0EEENS1_52radix_sort_onesweep_histogram_config_static_selectorELNS0_4arch9wavefront6targetE0EEEvSD_,"axG",@progbits,_ZN7rocprim17ROCPRIM_400000_NS6detail17trampoline_kernelINS0_14default_configENS1_35radix_sort_onesweep_config_selectorItNS0_10empty_typeEEEZNS1_34radix_sort_onesweep_global_offsetsIS3_Lb0EPKtPS5_mNS0_19identity_decomposerEEE10hipError_tT1_T2_PT3_SF_jT4_jjP12ihipStream_tbEUlT_E_NS1_11comp_targetILNS1_3genE9ELNS1_11target_archE1100ELNS1_3gpuE3ELNS1_3repE0EEENS1_52radix_sort_onesweep_histogram_config_static_selectorELNS0_4arch9wavefront6targetE0EEEvSD_,comdat
.Lfunc_end2486:
	.size	_ZN7rocprim17ROCPRIM_400000_NS6detail17trampoline_kernelINS0_14default_configENS1_35radix_sort_onesweep_config_selectorItNS0_10empty_typeEEEZNS1_34radix_sort_onesweep_global_offsetsIS3_Lb0EPKtPS5_mNS0_19identity_decomposerEEE10hipError_tT1_T2_PT3_SF_jT4_jjP12ihipStream_tbEUlT_E_NS1_11comp_targetILNS1_3genE9ELNS1_11target_archE1100ELNS1_3gpuE3ELNS1_3repE0EEENS1_52radix_sort_onesweep_histogram_config_static_selectorELNS0_4arch9wavefront6targetE0EEEvSD_, .Lfunc_end2486-_ZN7rocprim17ROCPRIM_400000_NS6detail17trampoline_kernelINS0_14default_configENS1_35radix_sort_onesweep_config_selectorItNS0_10empty_typeEEEZNS1_34radix_sort_onesweep_global_offsetsIS3_Lb0EPKtPS5_mNS0_19identity_decomposerEEE10hipError_tT1_T2_PT3_SF_jT4_jjP12ihipStream_tbEUlT_E_NS1_11comp_targetILNS1_3genE9ELNS1_11target_archE1100ELNS1_3gpuE3ELNS1_3repE0EEENS1_52radix_sort_onesweep_histogram_config_static_selectorELNS0_4arch9wavefront6targetE0EEEvSD_
                                        ; -- End function
	.set _ZN7rocprim17ROCPRIM_400000_NS6detail17trampoline_kernelINS0_14default_configENS1_35radix_sort_onesweep_config_selectorItNS0_10empty_typeEEEZNS1_34radix_sort_onesweep_global_offsetsIS3_Lb0EPKtPS5_mNS0_19identity_decomposerEEE10hipError_tT1_T2_PT3_SF_jT4_jjP12ihipStream_tbEUlT_E_NS1_11comp_targetILNS1_3genE9ELNS1_11target_archE1100ELNS1_3gpuE3ELNS1_3repE0EEENS1_52radix_sort_onesweep_histogram_config_static_selectorELNS0_4arch9wavefront6targetE0EEEvSD_.num_vgpr, 0
	.set _ZN7rocprim17ROCPRIM_400000_NS6detail17trampoline_kernelINS0_14default_configENS1_35radix_sort_onesweep_config_selectorItNS0_10empty_typeEEEZNS1_34radix_sort_onesweep_global_offsetsIS3_Lb0EPKtPS5_mNS0_19identity_decomposerEEE10hipError_tT1_T2_PT3_SF_jT4_jjP12ihipStream_tbEUlT_E_NS1_11comp_targetILNS1_3genE9ELNS1_11target_archE1100ELNS1_3gpuE3ELNS1_3repE0EEENS1_52radix_sort_onesweep_histogram_config_static_selectorELNS0_4arch9wavefront6targetE0EEEvSD_.num_agpr, 0
	.set _ZN7rocprim17ROCPRIM_400000_NS6detail17trampoline_kernelINS0_14default_configENS1_35radix_sort_onesweep_config_selectorItNS0_10empty_typeEEEZNS1_34radix_sort_onesweep_global_offsetsIS3_Lb0EPKtPS5_mNS0_19identity_decomposerEEE10hipError_tT1_T2_PT3_SF_jT4_jjP12ihipStream_tbEUlT_E_NS1_11comp_targetILNS1_3genE9ELNS1_11target_archE1100ELNS1_3gpuE3ELNS1_3repE0EEENS1_52radix_sort_onesweep_histogram_config_static_selectorELNS0_4arch9wavefront6targetE0EEEvSD_.numbered_sgpr, 0
	.set _ZN7rocprim17ROCPRIM_400000_NS6detail17trampoline_kernelINS0_14default_configENS1_35radix_sort_onesweep_config_selectorItNS0_10empty_typeEEEZNS1_34radix_sort_onesweep_global_offsetsIS3_Lb0EPKtPS5_mNS0_19identity_decomposerEEE10hipError_tT1_T2_PT3_SF_jT4_jjP12ihipStream_tbEUlT_E_NS1_11comp_targetILNS1_3genE9ELNS1_11target_archE1100ELNS1_3gpuE3ELNS1_3repE0EEENS1_52radix_sort_onesweep_histogram_config_static_selectorELNS0_4arch9wavefront6targetE0EEEvSD_.num_named_barrier, 0
	.set _ZN7rocprim17ROCPRIM_400000_NS6detail17trampoline_kernelINS0_14default_configENS1_35radix_sort_onesweep_config_selectorItNS0_10empty_typeEEEZNS1_34radix_sort_onesweep_global_offsetsIS3_Lb0EPKtPS5_mNS0_19identity_decomposerEEE10hipError_tT1_T2_PT3_SF_jT4_jjP12ihipStream_tbEUlT_E_NS1_11comp_targetILNS1_3genE9ELNS1_11target_archE1100ELNS1_3gpuE3ELNS1_3repE0EEENS1_52radix_sort_onesweep_histogram_config_static_selectorELNS0_4arch9wavefront6targetE0EEEvSD_.private_seg_size, 0
	.set _ZN7rocprim17ROCPRIM_400000_NS6detail17trampoline_kernelINS0_14default_configENS1_35radix_sort_onesweep_config_selectorItNS0_10empty_typeEEEZNS1_34radix_sort_onesweep_global_offsetsIS3_Lb0EPKtPS5_mNS0_19identity_decomposerEEE10hipError_tT1_T2_PT3_SF_jT4_jjP12ihipStream_tbEUlT_E_NS1_11comp_targetILNS1_3genE9ELNS1_11target_archE1100ELNS1_3gpuE3ELNS1_3repE0EEENS1_52radix_sort_onesweep_histogram_config_static_selectorELNS0_4arch9wavefront6targetE0EEEvSD_.uses_vcc, 0
	.set _ZN7rocprim17ROCPRIM_400000_NS6detail17trampoline_kernelINS0_14default_configENS1_35radix_sort_onesweep_config_selectorItNS0_10empty_typeEEEZNS1_34radix_sort_onesweep_global_offsetsIS3_Lb0EPKtPS5_mNS0_19identity_decomposerEEE10hipError_tT1_T2_PT3_SF_jT4_jjP12ihipStream_tbEUlT_E_NS1_11comp_targetILNS1_3genE9ELNS1_11target_archE1100ELNS1_3gpuE3ELNS1_3repE0EEENS1_52radix_sort_onesweep_histogram_config_static_selectorELNS0_4arch9wavefront6targetE0EEEvSD_.uses_flat_scratch, 0
	.set _ZN7rocprim17ROCPRIM_400000_NS6detail17trampoline_kernelINS0_14default_configENS1_35radix_sort_onesweep_config_selectorItNS0_10empty_typeEEEZNS1_34radix_sort_onesweep_global_offsetsIS3_Lb0EPKtPS5_mNS0_19identity_decomposerEEE10hipError_tT1_T2_PT3_SF_jT4_jjP12ihipStream_tbEUlT_E_NS1_11comp_targetILNS1_3genE9ELNS1_11target_archE1100ELNS1_3gpuE3ELNS1_3repE0EEENS1_52radix_sort_onesweep_histogram_config_static_selectorELNS0_4arch9wavefront6targetE0EEEvSD_.has_dyn_sized_stack, 0
	.set _ZN7rocprim17ROCPRIM_400000_NS6detail17trampoline_kernelINS0_14default_configENS1_35radix_sort_onesweep_config_selectorItNS0_10empty_typeEEEZNS1_34radix_sort_onesweep_global_offsetsIS3_Lb0EPKtPS5_mNS0_19identity_decomposerEEE10hipError_tT1_T2_PT3_SF_jT4_jjP12ihipStream_tbEUlT_E_NS1_11comp_targetILNS1_3genE9ELNS1_11target_archE1100ELNS1_3gpuE3ELNS1_3repE0EEENS1_52radix_sort_onesweep_histogram_config_static_selectorELNS0_4arch9wavefront6targetE0EEEvSD_.has_recursion, 0
	.set _ZN7rocprim17ROCPRIM_400000_NS6detail17trampoline_kernelINS0_14default_configENS1_35radix_sort_onesweep_config_selectorItNS0_10empty_typeEEEZNS1_34radix_sort_onesweep_global_offsetsIS3_Lb0EPKtPS5_mNS0_19identity_decomposerEEE10hipError_tT1_T2_PT3_SF_jT4_jjP12ihipStream_tbEUlT_E_NS1_11comp_targetILNS1_3genE9ELNS1_11target_archE1100ELNS1_3gpuE3ELNS1_3repE0EEENS1_52radix_sort_onesweep_histogram_config_static_selectorELNS0_4arch9wavefront6targetE0EEEvSD_.has_indirect_call, 0
	.section	.AMDGPU.csdata,"",@progbits
; Kernel info:
; codeLenInByte = 0
; TotalNumSgprs: 0
; NumVgprs: 0
; ScratchSize: 0
; MemoryBound: 0
; FloatMode: 240
; IeeeMode: 1
; LDSByteSize: 0 bytes/workgroup (compile time only)
; SGPRBlocks: 0
; VGPRBlocks: 0
; NumSGPRsForWavesPerEU: 1
; NumVGPRsForWavesPerEU: 1
; NamedBarCnt: 0
; Occupancy: 16
; WaveLimiterHint : 0
; COMPUTE_PGM_RSRC2:SCRATCH_EN: 0
; COMPUTE_PGM_RSRC2:USER_SGPR: 2
; COMPUTE_PGM_RSRC2:TRAP_HANDLER: 0
; COMPUTE_PGM_RSRC2:TGID_X_EN: 1
; COMPUTE_PGM_RSRC2:TGID_Y_EN: 0
; COMPUTE_PGM_RSRC2:TGID_Z_EN: 0
; COMPUTE_PGM_RSRC2:TIDIG_COMP_CNT: 0
	.section	.text._ZN7rocprim17ROCPRIM_400000_NS6detail17trampoline_kernelINS0_14default_configENS1_35radix_sort_onesweep_config_selectorItNS0_10empty_typeEEEZNS1_34radix_sort_onesweep_global_offsetsIS3_Lb0EPKtPS5_mNS0_19identity_decomposerEEE10hipError_tT1_T2_PT3_SF_jT4_jjP12ihipStream_tbEUlT_E_NS1_11comp_targetILNS1_3genE8ELNS1_11target_archE1030ELNS1_3gpuE2ELNS1_3repE0EEENS1_52radix_sort_onesweep_histogram_config_static_selectorELNS0_4arch9wavefront6targetE0EEEvSD_,"axG",@progbits,_ZN7rocprim17ROCPRIM_400000_NS6detail17trampoline_kernelINS0_14default_configENS1_35radix_sort_onesweep_config_selectorItNS0_10empty_typeEEEZNS1_34radix_sort_onesweep_global_offsetsIS3_Lb0EPKtPS5_mNS0_19identity_decomposerEEE10hipError_tT1_T2_PT3_SF_jT4_jjP12ihipStream_tbEUlT_E_NS1_11comp_targetILNS1_3genE8ELNS1_11target_archE1030ELNS1_3gpuE2ELNS1_3repE0EEENS1_52radix_sort_onesweep_histogram_config_static_selectorELNS0_4arch9wavefront6targetE0EEEvSD_,comdat
	.protected	_ZN7rocprim17ROCPRIM_400000_NS6detail17trampoline_kernelINS0_14default_configENS1_35radix_sort_onesweep_config_selectorItNS0_10empty_typeEEEZNS1_34radix_sort_onesweep_global_offsetsIS3_Lb0EPKtPS5_mNS0_19identity_decomposerEEE10hipError_tT1_T2_PT3_SF_jT4_jjP12ihipStream_tbEUlT_E_NS1_11comp_targetILNS1_3genE8ELNS1_11target_archE1030ELNS1_3gpuE2ELNS1_3repE0EEENS1_52radix_sort_onesweep_histogram_config_static_selectorELNS0_4arch9wavefront6targetE0EEEvSD_ ; -- Begin function _ZN7rocprim17ROCPRIM_400000_NS6detail17trampoline_kernelINS0_14default_configENS1_35radix_sort_onesweep_config_selectorItNS0_10empty_typeEEEZNS1_34radix_sort_onesweep_global_offsetsIS3_Lb0EPKtPS5_mNS0_19identity_decomposerEEE10hipError_tT1_T2_PT3_SF_jT4_jjP12ihipStream_tbEUlT_E_NS1_11comp_targetILNS1_3genE8ELNS1_11target_archE1030ELNS1_3gpuE2ELNS1_3repE0EEENS1_52radix_sort_onesweep_histogram_config_static_selectorELNS0_4arch9wavefront6targetE0EEEvSD_
	.globl	_ZN7rocprim17ROCPRIM_400000_NS6detail17trampoline_kernelINS0_14default_configENS1_35radix_sort_onesweep_config_selectorItNS0_10empty_typeEEEZNS1_34radix_sort_onesweep_global_offsetsIS3_Lb0EPKtPS5_mNS0_19identity_decomposerEEE10hipError_tT1_T2_PT3_SF_jT4_jjP12ihipStream_tbEUlT_E_NS1_11comp_targetILNS1_3genE8ELNS1_11target_archE1030ELNS1_3gpuE2ELNS1_3repE0EEENS1_52radix_sort_onesweep_histogram_config_static_selectorELNS0_4arch9wavefront6targetE0EEEvSD_
	.p2align	8
	.type	_ZN7rocprim17ROCPRIM_400000_NS6detail17trampoline_kernelINS0_14default_configENS1_35radix_sort_onesweep_config_selectorItNS0_10empty_typeEEEZNS1_34radix_sort_onesweep_global_offsetsIS3_Lb0EPKtPS5_mNS0_19identity_decomposerEEE10hipError_tT1_T2_PT3_SF_jT4_jjP12ihipStream_tbEUlT_E_NS1_11comp_targetILNS1_3genE8ELNS1_11target_archE1030ELNS1_3gpuE2ELNS1_3repE0EEENS1_52radix_sort_onesweep_histogram_config_static_selectorELNS0_4arch9wavefront6targetE0EEEvSD_,@function
_ZN7rocprim17ROCPRIM_400000_NS6detail17trampoline_kernelINS0_14default_configENS1_35radix_sort_onesweep_config_selectorItNS0_10empty_typeEEEZNS1_34radix_sort_onesweep_global_offsetsIS3_Lb0EPKtPS5_mNS0_19identity_decomposerEEE10hipError_tT1_T2_PT3_SF_jT4_jjP12ihipStream_tbEUlT_E_NS1_11comp_targetILNS1_3genE8ELNS1_11target_archE1030ELNS1_3gpuE2ELNS1_3repE0EEENS1_52radix_sort_onesweep_histogram_config_static_selectorELNS0_4arch9wavefront6targetE0EEEvSD_: ; @_ZN7rocprim17ROCPRIM_400000_NS6detail17trampoline_kernelINS0_14default_configENS1_35radix_sort_onesweep_config_selectorItNS0_10empty_typeEEEZNS1_34radix_sort_onesweep_global_offsetsIS3_Lb0EPKtPS5_mNS0_19identity_decomposerEEE10hipError_tT1_T2_PT3_SF_jT4_jjP12ihipStream_tbEUlT_E_NS1_11comp_targetILNS1_3genE8ELNS1_11target_archE1030ELNS1_3gpuE2ELNS1_3repE0EEENS1_52radix_sort_onesweep_histogram_config_static_selectorELNS0_4arch9wavefront6targetE0EEEvSD_
; %bb.0:
	.section	.rodata,"a",@progbits
	.p2align	6, 0x0
	.amdhsa_kernel _ZN7rocprim17ROCPRIM_400000_NS6detail17trampoline_kernelINS0_14default_configENS1_35radix_sort_onesweep_config_selectorItNS0_10empty_typeEEEZNS1_34radix_sort_onesweep_global_offsetsIS3_Lb0EPKtPS5_mNS0_19identity_decomposerEEE10hipError_tT1_T2_PT3_SF_jT4_jjP12ihipStream_tbEUlT_E_NS1_11comp_targetILNS1_3genE8ELNS1_11target_archE1030ELNS1_3gpuE2ELNS1_3repE0EEENS1_52radix_sort_onesweep_histogram_config_static_selectorELNS0_4arch9wavefront6targetE0EEEvSD_
		.amdhsa_group_segment_fixed_size 0
		.amdhsa_private_segment_fixed_size 0
		.amdhsa_kernarg_size 48
		.amdhsa_user_sgpr_count 2
		.amdhsa_user_sgpr_dispatch_ptr 0
		.amdhsa_user_sgpr_queue_ptr 0
		.amdhsa_user_sgpr_kernarg_segment_ptr 1
		.amdhsa_user_sgpr_dispatch_id 0
		.amdhsa_user_sgpr_kernarg_preload_length 0
		.amdhsa_user_sgpr_kernarg_preload_offset 0
		.amdhsa_user_sgpr_private_segment_size 0
		.amdhsa_wavefront_size32 1
		.amdhsa_uses_dynamic_stack 0
		.amdhsa_enable_private_segment 0
		.amdhsa_system_sgpr_workgroup_id_x 1
		.amdhsa_system_sgpr_workgroup_id_y 0
		.amdhsa_system_sgpr_workgroup_id_z 0
		.amdhsa_system_sgpr_workgroup_info 0
		.amdhsa_system_vgpr_workitem_id 0
		.amdhsa_next_free_vgpr 1
		.amdhsa_next_free_sgpr 1
		.amdhsa_named_barrier_count 0
		.amdhsa_reserve_vcc 0
		.amdhsa_float_round_mode_32 0
		.amdhsa_float_round_mode_16_64 0
		.amdhsa_float_denorm_mode_32 3
		.amdhsa_float_denorm_mode_16_64 3
		.amdhsa_fp16_overflow 0
		.amdhsa_memory_ordered 1
		.amdhsa_forward_progress 1
		.amdhsa_inst_pref_size 0
		.amdhsa_round_robin_scheduling 0
		.amdhsa_exception_fp_ieee_invalid_op 0
		.amdhsa_exception_fp_denorm_src 0
		.amdhsa_exception_fp_ieee_div_zero 0
		.amdhsa_exception_fp_ieee_overflow 0
		.amdhsa_exception_fp_ieee_underflow 0
		.amdhsa_exception_fp_ieee_inexact 0
		.amdhsa_exception_int_div_zero 0
	.end_amdhsa_kernel
	.section	.text._ZN7rocprim17ROCPRIM_400000_NS6detail17trampoline_kernelINS0_14default_configENS1_35radix_sort_onesweep_config_selectorItNS0_10empty_typeEEEZNS1_34radix_sort_onesweep_global_offsetsIS3_Lb0EPKtPS5_mNS0_19identity_decomposerEEE10hipError_tT1_T2_PT3_SF_jT4_jjP12ihipStream_tbEUlT_E_NS1_11comp_targetILNS1_3genE8ELNS1_11target_archE1030ELNS1_3gpuE2ELNS1_3repE0EEENS1_52radix_sort_onesweep_histogram_config_static_selectorELNS0_4arch9wavefront6targetE0EEEvSD_,"axG",@progbits,_ZN7rocprim17ROCPRIM_400000_NS6detail17trampoline_kernelINS0_14default_configENS1_35radix_sort_onesweep_config_selectorItNS0_10empty_typeEEEZNS1_34radix_sort_onesweep_global_offsetsIS3_Lb0EPKtPS5_mNS0_19identity_decomposerEEE10hipError_tT1_T2_PT3_SF_jT4_jjP12ihipStream_tbEUlT_E_NS1_11comp_targetILNS1_3genE8ELNS1_11target_archE1030ELNS1_3gpuE2ELNS1_3repE0EEENS1_52radix_sort_onesweep_histogram_config_static_selectorELNS0_4arch9wavefront6targetE0EEEvSD_,comdat
.Lfunc_end2487:
	.size	_ZN7rocprim17ROCPRIM_400000_NS6detail17trampoline_kernelINS0_14default_configENS1_35radix_sort_onesweep_config_selectorItNS0_10empty_typeEEEZNS1_34radix_sort_onesweep_global_offsetsIS3_Lb0EPKtPS5_mNS0_19identity_decomposerEEE10hipError_tT1_T2_PT3_SF_jT4_jjP12ihipStream_tbEUlT_E_NS1_11comp_targetILNS1_3genE8ELNS1_11target_archE1030ELNS1_3gpuE2ELNS1_3repE0EEENS1_52radix_sort_onesweep_histogram_config_static_selectorELNS0_4arch9wavefront6targetE0EEEvSD_, .Lfunc_end2487-_ZN7rocprim17ROCPRIM_400000_NS6detail17trampoline_kernelINS0_14default_configENS1_35radix_sort_onesweep_config_selectorItNS0_10empty_typeEEEZNS1_34radix_sort_onesweep_global_offsetsIS3_Lb0EPKtPS5_mNS0_19identity_decomposerEEE10hipError_tT1_T2_PT3_SF_jT4_jjP12ihipStream_tbEUlT_E_NS1_11comp_targetILNS1_3genE8ELNS1_11target_archE1030ELNS1_3gpuE2ELNS1_3repE0EEENS1_52radix_sort_onesweep_histogram_config_static_selectorELNS0_4arch9wavefront6targetE0EEEvSD_
                                        ; -- End function
	.set _ZN7rocprim17ROCPRIM_400000_NS6detail17trampoline_kernelINS0_14default_configENS1_35radix_sort_onesweep_config_selectorItNS0_10empty_typeEEEZNS1_34radix_sort_onesweep_global_offsetsIS3_Lb0EPKtPS5_mNS0_19identity_decomposerEEE10hipError_tT1_T2_PT3_SF_jT4_jjP12ihipStream_tbEUlT_E_NS1_11comp_targetILNS1_3genE8ELNS1_11target_archE1030ELNS1_3gpuE2ELNS1_3repE0EEENS1_52radix_sort_onesweep_histogram_config_static_selectorELNS0_4arch9wavefront6targetE0EEEvSD_.num_vgpr, 0
	.set _ZN7rocprim17ROCPRIM_400000_NS6detail17trampoline_kernelINS0_14default_configENS1_35radix_sort_onesweep_config_selectorItNS0_10empty_typeEEEZNS1_34radix_sort_onesweep_global_offsetsIS3_Lb0EPKtPS5_mNS0_19identity_decomposerEEE10hipError_tT1_T2_PT3_SF_jT4_jjP12ihipStream_tbEUlT_E_NS1_11comp_targetILNS1_3genE8ELNS1_11target_archE1030ELNS1_3gpuE2ELNS1_3repE0EEENS1_52radix_sort_onesweep_histogram_config_static_selectorELNS0_4arch9wavefront6targetE0EEEvSD_.num_agpr, 0
	.set _ZN7rocprim17ROCPRIM_400000_NS6detail17trampoline_kernelINS0_14default_configENS1_35radix_sort_onesweep_config_selectorItNS0_10empty_typeEEEZNS1_34radix_sort_onesweep_global_offsetsIS3_Lb0EPKtPS5_mNS0_19identity_decomposerEEE10hipError_tT1_T2_PT3_SF_jT4_jjP12ihipStream_tbEUlT_E_NS1_11comp_targetILNS1_3genE8ELNS1_11target_archE1030ELNS1_3gpuE2ELNS1_3repE0EEENS1_52radix_sort_onesweep_histogram_config_static_selectorELNS0_4arch9wavefront6targetE0EEEvSD_.numbered_sgpr, 0
	.set _ZN7rocprim17ROCPRIM_400000_NS6detail17trampoline_kernelINS0_14default_configENS1_35radix_sort_onesweep_config_selectorItNS0_10empty_typeEEEZNS1_34radix_sort_onesweep_global_offsetsIS3_Lb0EPKtPS5_mNS0_19identity_decomposerEEE10hipError_tT1_T2_PT3_SF_jT4_jjP12ihipStream_tbEUlT_E_NS1_11comp_targetILNS1_3genE8ELNS1_11target_archE1030ELNS1_3gpuE2ELNS1_3repE0EEENS1_52radix_sort_onesweep_histogram_config_static_selectorELNS0_4arch9wavefront6targetE0EEEvSD_.num_named_barrier, 0
	.set _ZN7rocprim17ROCPRIM_400000_NS6detail17trampoline_kernelINS0_14default_configENS1_35radix_sort_onesweep_config_selectorItNS0_10empty_typeEEEZNS1_34radix_sort_onesweep_global_offsetsIS3_Lb0EPKtPS5_mNS0_19identity_decomposerEEE10hipError_tT1_T2_PT3_SF_jT4_jjP12ihipStream_tbEUlT_E_NS1_11comp_targetILNS1_3genE8ELNS1_11target_archE1030ELNS1_3gpuE2ELNS1_3repE0EEENS1_52radix_sort_onesweep_histogram_config_static_selectorELNS0_4arch9wavefront6targetE0EEEvSD_.private_seg_size, 0
	.set _ZN7rocprim17ROCPRIM_400000_NS6detail17trampoline_kernelINS0_14default_configENS1_35radix_sort_onesweep_config_selectorItNS0_10empty_typeEEEZNS1_34radix_sort_onesweep_global_offsetsIS3_Lb0EPKtPS5_mNS0_19identity_decomposerEEE10hipError_tT1_T2_PT3_SF_jT4_jjP12ihipStream_tbEUlT_E_NS1_11comp_targetILNS1_3genE8ELNS1_11target_archE1030ELNS1_3gpuE2ELNS1_3repE0EEENS1_52radix_sort_onesweep_histogram_config_static_selectorELNS0_4arch9wavefront6targetE0EEEvSD_.uses_vcc, 0
	.set _ZN7rocprim17ROCPRIM_400000_NS6detail17trampoline_kernelINS0_14default_configENS1_35radix_sort_onesweep_config_selectorItNS0_10empty_typeEEEZNS1_34radix_sort_onesweep_global_offsetsIS3_Lb0EPKtPS5_mNS0_19identity_decomposerEEE10hipError_tT1_T2_PT3_SF_jT4_jjP12ihipStream_tbEUlT_E_NS1_11comp_targetILNS1_3genE8ELNS1_11target_archE1030ELNS1_3gpuE2ELNS1_3repE0EEENS1_52radix_sort_onesweep_histogram_config_static_selectorELNS0_4arch9wavefront6targetE0EEEvSD_.uses_flat_scratch, 0
	.set _ZN7rocprim17ROCPRIM_400000_NS6detail17trampoline_kernelINS0_14default_configENS1_35radix_sort_onesweep_config_selectorItNS0_10empty_typeEEEZNS1_34radix_sort_onesweep_global_offsetsIS3_Lb0EPKtPS5_mNS0_19identity_decomposerEEE10hipError_tT1_T2_PT3_SF_jT4_jjP12ihipStream_tbEUlT_E_NS1_11comp_targetILNS1_3genE8ELNS1_11target_archE1030ELNS1_3gpuE2ELNS1_3repE0EEENS1_52radix_sort_onesweep_histogram_config_static_selectorELNS0_4arch9wavefront6targetE0EEEvSD_.has_dyn_sized_stack, 0
	.set _ZN7rocprim17ROCPRIM_400000_NS6detail17trampoline_kernelINS0_14default_configENS1_35radix_sort_onesweep_config_selectorItNS0_10empty_typeEEEZNS1_34radix_sort_onesweep_global_offsetsIS3_Lb0EPKtPS5_mNS0_19identity_decomposerEEE10hipError_tT1_T2_PT3_SF_jT4_jjP12ihipStream_tbEUlT_E_NS1_11comp_targetILNS1_3genE8ELNS1_11target_archE1030ELNS1_3gpuE2ELNS1_3repE0EEENS1_52radix_sort_onesweep_histogram_config_static_selectorELNS0_4arch9wavefront6targetE0EEEvSD_.has_recursion, 0
	.set _ZN7rocprim17ROCPRIM_400000_NS6detail17trampoline_kernelINS0_14default_configENS1_35radix_sort_onesweep_config_selectorItNS0_10empty_typeEEEZNS1_34radix_sort_onesweep_global_offsetsIS3_Lb0EPKtPS5_mNS0_19identity_decomposerEEE10hipError_tT1_T2_PT3_SF_jT4_jjP12ihipStream_tbEUlT_E_NS1_11comp_targetILNS1_3genE8ELNS1_11target_archE1030ELNS1_3gpuE2ELNS1_3repE0EEENS1_52radix_sort_onesweep_histogram_config_static_selectorELNS0_4arch9wavefront6targetE0EEEvSD_.has_indirect_call, 0
	.section	.AMDGPU.csdata,"",@progbits
; Kernel info:
; codeLenInByte = 0
; TotalNumSgprs: 0
; NumVgprs: 0
; ScratchSize: 0
; MemoryBound: 0
; FloatMode: 240
; IeeeMode: 1
; LDSByteSize: 0 bytes/workgroup (compile time only)
; SGPRBlocks: 0
; VGPRBlocks: 0
; NumSGPRsForWavesPerEU: 1
; NumVGPRsForWavesPerEU: 1
; NamedBarCnt: 0
; Occupancy: 16
; WaveLimiterHint : 0
; COMPUTE_PGM_RSRC2:SCRATCH_EN: 0
; COMPUTE_PGM_RSRC2:USER_SGPR: 2
; COMPUTE_PGM_RSRC2:TRAP_HANDLER: 0
; COMPUTE_PGM_RSRC2:TGID_X_EN: 1
; COMPUTE_PGM_RSRC2:TGID_Y_EN: 0
; COMPUTE_PGM_RSRC2:TGID_Z_EN: 0
; COMPUTE_PGM_RSRC2:TIDIG_COMP_CNT: 0
	.section	.text._ZN7rocprim17ROCPRIM_400000_NS6detail17trampoline_kernelINS0_14default_configENS1_35radix_sort_onesweep_config_selectorItNS0_10empty_typeEEEZNS1_34radix_sort_onesweep_global_offsetsIS3_Lb0EPKtPS5_mNS0_19identity_decomposerEEE10hipError_tT1_T2_PT3_SF_jT4_jjP12ihipStream_tbEUlT_E0_NS1_11comp_targetILNS1_3genE0ELNS1_11target_archE4294967295ELNS1_3gpuE0ELNS1_3repE0EEENS1_52radix_sort_onesweep_histogram_config_static_selectorELNS0_4arch9wavefront6targetE0EEEvSD_,"axG",@progbits,_ZN7rocprim17ROCPRIM_400000_NS6detail17trampoline_kernelINS0_14default_configENS1_35radix_sort_onesweep_config_selectorItNS0_10empty_typeEEEZNS1_34radix_sort_onesweep_global_offsetsIS3_Lb0EPKtPS5_mNS0_19identity_decomposerEEE10hipError_tT1_T2_PT3_SF_jT4_jjP12ihipStream_tbEUlT_E0_NS1_11comp_targetILNS1_3genE0ELNS1_11target_archE4294967295ELNS1_3gpuE0ELNS1_3repE0EEENS1_52radix_sort_onesweep_histogram_config_static_selectorELNS0_4arch9wavefront6targetE0EEEvSD_,comdat
	.protected	_ZN7rocprim17ROCPRIM_400000_NS6detail17trampoline_kernelINS0_14default_configENS1_35radix_sort_onesweep_config_selectorItNS0_10empty_typeEEEZNS1_34radix_sort_onesweep_global_offsetsIS3_Lb0EPKtPS5_mNS0_19identity_decomposerEEE10hipError_tT1_T2_PT3_SF_jT4_jjP12ihipStream_tbEUlT_E0_NS1_11comp_targetILNS1_3genE0ELNS1_11target_archE4294967295ELNS1_3gpuE0ELNS1_3repE0EEENS1_52radix_sort_onesweep_histogram_config_static_selectorELNS0_4arch9wavefront6targetE0EEEvSD_ ; -- Begin function _ZN7rocprim17ROCPRIM_400000_NS6detail17trampoline_kernelINS0_14default_configENS1_35radix_sort_onesweep_config_selectorItNS0_10empty_typeEEEZNS1_34radix_sort_onesweep_global_offsetsIS3_Lb0EPKtPS5_mNS0_19identity_decomposerEEE10hipError_tT1_T2_PT3_SF_jT4_jjP12ihipStream_tbEUlT_E0_NS1_11comp_targetILNS1_3genE0ELNS1_11target_archE4294967295ELNS1_3gpuE0ELNS1_3repE0EEENS1_52radix_sort_onesweep_histogram_config_static_selectorELNS0_4arch9wavefront6targetE0EEEvSD_
	.globl	_ZN7rocprim17ROCPRIM_400000_NS6detail17trampoline_kernelINS0_14default_configENS1_35radix_sort_onesweep_config_selectorItNS0_10empty_typeEEEZNS1_34radix_sort_onesweep_global_offsetsIS3_Lb0EPKtPS5_mNS0_19identity_decomposerEEE10hipError_tT1_T2_PT3_SF_jT4_jjP12ihipStream_tbEUlT_E0_NS1_11comp_targetILNS1_3genE0ELNS1_11target_archE4294967295ELNS1_3gpuE0ELNS1_3repE0EEENS1_52radix_sort_onesweep_histogram_config_static_selectorELNS0_4arch9wavefront6targetE0EEEvSD_
	.p2align	8
	.type	_ZN7rocprim17ROCPRIM_400000_NS6detail17trampoline_kernelINS0_14default_configENS1_35radix_sort_onesweep_config_selectorItNS0_10empty_typeEEEZNS1_34radix_sort_onesweep_global_offsetsIS3_Lb0EPKtPS5_mNS0_19identity_decomposerEEE10hipError_tT1_T2_PT3_SF_jT4_jjP12ihipStream_tbEUlT_E0_NS1_11comp_targetILNS1_3genE0ELNS1_11target_archE4294967295ELNS1_3gpuE0ELNS1_3repE0EEENS1_52radix_sort_onesweep_histogram_config_static_selectorELNS0_4arch9wavefront6targetE0EEEvSD_,@function
_ZN7rocprim17ROCPRIM_400000_NS6detail17trampoline_kernelINS0_14default_configENS1_35radix_sort_onesweep_config_selectorItNS0_10empty_typeEEEZNS1_34radix_sort_onesweep_global_offsetsIS3_Lb0EPKtPS5_mNS0_19identity_decomposerEEE10hipError_tT1_T2_PT3_SF_jT4_jjP12ihipStream_tbEUlT_E0_NS1_11comp_targetILNS1_3genE0ELNS1_11target_archE4294967295ELNS1_3gpuE0ELNS1_3repE0EEENS1_52radix_sort_onesweep_histogram_config_static_selectorELNS0_4arch9wavefront6targetE0EEEvSD_: ; @_ZN7rocprim17ROCPRIM_400000_NS6detail17trampoline_kernelINS0_14default_configENS1_35radix_sort_onesweep_config_selectorItNS0_10empty_typeEEEZNS1_34radix_sort_onesweep_global_offsetsIS3_Lb0EPKtPS5_mNS0_19identity_decomposerEEE10hipError_tT1_T2_PT3_SF_jT4_jjP12ihipStream_tbEUlT_E0_NS1_11comp_targetILNS1_3genE0ELNS1_11target_archE4294967295ELNS1_3gpuE0ELNS1_3repE0EEENS1_52radix_sort_onesweep_histogram_config_static_selectorELNS0_4arch9wavefront6targetE0EEEvSD_
; %bb.0:
	s_load_b64 s[0:1], s[0:1], 0x0
	s_bfe_u32 s2, ttmp6, 0x4000c
	s_and_b32 s3, ttmp6, 15
	s_add_co_i32 s2, s2, 1
	s_getreg_b32 s4, hwreg(HW_REG_IB_STS2, 6, 4)
	s_mul_i32 s2, ttmp9, s2
	v_cmp_gt_u32_e32 vcc_lo, 0x100, v0
	s_add_co_i32 s3, s3, s2
	s_cmp_eq_u32 s4, 0
                                        ; implicit-def: $vgpr2_vgpr3
	s_cselect_b32 s2, ttmp9, s3
	s_mov_b32 s3, 0
	s_lshl_b32 s2, s2, 8
	s_delay_alu instid0(SALU_CYCLE_1)
	s_lshl_b64 s[2:3], s[2:3], 3
	s_wait_kmcnt 0x0
	s_add_nc_u64 s[6:7], s[0:1], s[2:3]
	s_and_saveexec_b32 s0, vcc_lo
	s_cbranch_execz .LBB2488_2
; %bb.1:
	global_load_b64 v[2:3], v0, s[6:7] scale_offset
.LBB2488_2:
	s_wait_xcnt 0x0
	s_or_b32 exec_lo, exec_lo, s0
	v_mbcnt_lo_u32_b32 v1, -1, 0
	s_wait_loadcnt 0x0
	v_mov_b32_dpp v6, v2 row_shr:1 row_mask:0xf bank_mask:0xf
	v_mov_b32_dpp v9, v3 row_shr:1 row_mask:0xf bank_mask:0xf
	s_delay_alu instid0(VALU_DEP_3) | instskip(NEXT) | instid1(VALU_DEP_1)
	v_dual_mov_b32 v4, v2 :: v_dual_bitop2_b32 v10, 15, v1 bitop3:0x40
	v_cmp_ne_u32_e64 s0, 0, v10
	s_and_saveexec_b32 s1, s0
; %bb.3:
	v_mov_b32_e32 v8, 0
	s_delay_alu instid0(VALU_DEP_1) | instskip(NEXT) | instid1(VALU_DEP_1)
	v_mov_b32_e32 v7, v8
	v_add_nc_u64_e32 v[4:5], v[2:3], v[6:7]
	s_delay_alu instid0(VALU_DEP_1)
	v_add_nc_u64_e32 v[2:3], v[8:9], v[4:5]
; %bb.4:
	s_or_b32 exec_lo, exec_lo, s1
	v_mov_b32_dpp v6, v4 row_shr:2 row_mask:0xf bank_mask:0xf
	s_delay_alu instid0(VALU_DEP_2)
	v_mov_b32_dpp v9, v3 row_shr:2 row_mask:0xf bank_mask:0xf
	v_cmp_lt_u32_e64 s1, 1, v10
	s_and_saveexec_b32 s2, s1
; %bb.5:
	v_mov_b32_e32 v8, 0
	s_delay_alu instid0(VALU_DEP_1) | instskip(NEXT) | instid1(VALU_DEP_1)
	v_mov_b32_e32 v7, v8
	v_add_nc_u64_e32 v[4:5], v[2:3], v[6:7]
	s_delay_alu instid0(VALU_DEP_1)
	v_add_nc_u64_e32 v[2:3], v[8:9], v[4:5]
; %bb.6:
	s_or_b32 exec_lo, exec_lo, s2
	v_mov_b32_dpp v6, v4 row_shr:4 row_mask:0xf bank_mask:0xf
	s_delay_alu instid0(VALU_DEP_2)
	v_mov_b32_dpp v9, v3 row_shr:4 row_mask:0xf bank_mask:0xf
	v_cmp_lt_u32_e64 s2, 3, v10
	;; [unrolled: 14-line block ×3, first 2 shown]
	s_and_saveexec_b32 s4, s3
; %bb.9:
	v_mov_b32_e32 v8, 0
	s_delay_alu instid0(VALU_DEP_1) | instskip(NEXT) | instid1(VALU_DEP_1)
	v_mov_b32_e32 v7, v8
	v_add_nc_u64_e32 v[4:5], v[2:3], v[6:7]
	s_delay_alu instid0(VALU_DEP_1)
	v_add_nc_u64_e32 v[2:3], v[8:9], v[4:5]
; %bb.10:
	s_or_b32 exec_lo, exec_lo, s4
	ds_swizzle_b32 v4, v4 offset:swizzle(BROADCAST,32,15)
	ds_swizzle_b32 v7, v3 offset:swizzle(BROADCAST,32,15)
	v_and_b32_e32 v5, 16, v1
	s_mov_b32 s5, exec_lo
	s_delay_alu instid0(VALU_DEP_1)
	v_cmpx_ne_u32_e32 0, v5
	s_cbranch_execz .LBB2488_12
; %bb.11:
	v_mov_b32_e32 v6, 0
	s_delay_alu instid0(VALU_DEP_1) | instskip(SKIP_1) | instid1(VALU_DEP_1)
	v_mov_b32_e32 v5, v6
	s_wait_dscnt 0x1
	v_add_nc_u64_e32 v[2:3], v[2:3], v[4:5]
	s_wait_dscnt 0x0
	s_delay_alu instid0(VALU_DEP_1)
	v_add_nc_u64_e32 v[2:3], v[2:3], v[6:7]
.LBB2488_12:
	s_or_b32 exec_lo, exec_lo, s5
	s_wait_dscnt 0x1
	v_dual_lshrrev_b32 v12, 5, v0 :: v_dual_bitop2_b32 v4, 31, v0 bitop3:0x54
	s_mov_b32 s5, exec_lo
	s_delay_alu instid0(VALU_DEP_1)
	v_cmpx_eq_u32_e64 v0, v4
; %bb.13:
	s_delay_alu instid0(VALU_DEP_2)
	v_lshlrev_b32_e32 v4, 3, v12
	ds_store_b64 v4, v[2:3]
; %bb.14:
	s_or_b32 exec_lo, exec_lo, s5
	s_delay_alu instid0(SALU_CYCLE_1)
	s_mov_b32 s5, exec_lo
	s_wait_dscnt 0x0
	s_barrier_signal -1
	s_barrier_wait -1
	v_cmpx_gt_u32_e32 16, v0
	s_cbranch_execz .LBB2488_24
; %bb.15:
	v_lshlrev_b32_e32 v13, 3, v0
	ds_load_b64 v[4:5], v13
	s_wait_dscnt 0x0
	v_mov_b32_dpp v8, v4 row_shr:1 row_mask:0xf bank_mask:0xf
	v_mov_b32_dpp v11, v5 row_shr:1 row_mask:0xf bank_mask:0xf
	v_mov_b32_e32 v6, v4
	s_and_saveexec_b32 s4, s0
; %bb.16:
	v_mov_b32_e32 v10, 0
	s_delay_alu instid0(VALU_DEP_1) | instskip(NEXT) | instid1(VALU_DEP_1)
	v_mov_b32_e32 v9, v10
	v_add_nc_u64_e32 v[6:7], v[4:5], v[8:9]
	s_delay_alu instid0(VALU_DEP_1)
	v_add_nc_u64_e32 v[4:5], v[10:11], v[6:7]
; %bb.17:
	s_or_b32 exec_lo, exec_lo, s4
	v_mov_b32_dpp v8, v6 row_shr:2 row_mask:0xf bank_mask:0xf
	s_delay_alu instid0(VALU_DEP_2)
	v_mov_b32_dpp v11, v5 row_shr:2 row_mask:0xf bank_mask:0xf
	s_and_saveexec_b32 s0, s1
; %bb.18:
	v_mov_b32_e32 v10, 0
	s_delay_alu instid0(VALU_DEP_1) | instskip(NEXT) | instid1(VALU_DEP_1)
	v_mov_b32_e32 v9, v10
	v_add_nc_u64_e32 v[6:7], v[4:5], v[8:9]
	s_delay_alu instid0(VALU_DEP_1)
	v_add_nc_u64_e32 v[4:5], v[10:11], v[6:7]
; %bb.19:
	s_or_b32 exec_lo, exec_lo, s0
	v_mov_b32_dpp v8, v6 row_shr:4 row_mask:0xf bank_mask:0xf
	s_delay_alu instid0(VALU_DEP_2)
	v_mov_b32_dpp v11, v5 row_shr:4 row_mask:0xf bank_mask:0xf
	;; [unrolled: 13-line block ×3, first 2 shown]
	s_and_saveexec_b32 s0, s3
; %bb.22:
	v_mov_b32_e32 v8, 0
	s_delay_alu instid0(VALU_DEP_1) | instskip(NEXT) | instid1(VALU_DEP_1)
	v_mov_b32_e32 v7, v8
	v_add_nc_u64_e32 v[4:5], v[4:5], v[6:7]
	s_delay_alu instid0(VALU_DEP_1)
	v_add_nc_u64_e32 v[4:5], v[4:5], v[8:9]
; %bb.23:
	s_or_b32 exec_lo, exec_lo, s0
	ds_store_b64 v13, v[4:5]
.LBB2488_24:
	s_or_b32 exec_lo, exec_lo, s5
	v_mov_b64_e32 v[4:5], 0
	s_mov_b32 s1, exec_lo
	s_wait_dscnt 0x0
	s_barrier_signal -1
	s_barrier_wait -1
	v_cmpx_lt_u32_e32 31, v0
; %bb.25:
	v_lshl_add_u32 v4, v12, 3, -8
	ds_load_b64 v[4:5], v4
; %bb.26:
	s_or_b32 exec_lo, exec_lo, s1
	v_add_nc_u32_e32 v6, -1, v1
	s_wait_dscnt 0x0
	v_add_nc_u64_e32 v[2:3], v[4:5], v[2:3]
	s_delay_alu instid0(VALU_DEP_2) | instskip(NEXT) | instid1(VALU_DEP_1)
	v_cmp_gt_i32_e64 s0, 0, v6
	v_cndmask_b32_e64 v6, v6, v1, s0
	s_delay_alu instid0(VALU_DEP_1)
	v_lshlrev_b32_e32 v6, 2, v6
	ds_bpermute_b32 v2, v6, v2
	ds_bpermute_b32 v3, v6, v3
	s_and_saveexec_b32 s0, vcc_lo
	s_cbranch_execz .LBB2488_28
; %bb.27:
	v_cmp_eq_u32_e32 vcc_lo, 0, v1
	s_wait_dscnt 0x0
	v_dual_cndmask_b32 v3, v3, v5 :: v_dual_cndmask_b32 v2, v2, v4
	global_store_b64 v0, v[2:3], s[6:7] scale_offset
.LBB2488_28:
	s_endpgm
	.section	.rodata,"a",@progbits
	.p2align	6, 0x0
	.amdhsa_kernel _ZN7rocprim17ROCPRIM_400000_NS6detail17trampoline_kernelINS0_14default_configENS1_35radix_sort_onesweep_config_selectorItNS0_10empty_typeEEEZNS1_34radix_sort_onesweep_global_offsetsIS3_Lb0EPKtPS5_mNS0_19identity_decomposerEEE10hipError_tT1_T2_PT3_SF_jT4_jjP12ihipStream_tbEUlT_E0_NS1_11comp_targetILNS1_3genE0ELNS1_11target_archE4294967295ELNS1_3gpuE0ELNS1_3repE0EEENS1_52radix_sort_onesweep_histogram_config_static_selectorELNS0_4arch9wavefront6targetE0EEEvSD_
		.amdhsa_group_segment_fixed_size 128
		.amdhsa_private_segment_fixed_size 0
		.amdhsa_kernarg_size 8
		.amdhsa_user_sgpr_count 2
		.amdhsa_user_sgpr_dispatch_ptr 0
		.amdhsa_user_sgpr_queue_ptr 0
		.amdhsa_user_sgpr_kernarg_segment_ptr 1
		.amdhsa_user_sgpr_dispatch_id 0
		.amdhsa_user_sgpr_kernarg_preload_length 0
		.amdhsa_user_sgpr_kernarg_preload_offset 0
		.amdhsa_user_sgpr_private_segment_size 0
		.amdhsa_wavefront_size32 1
		.amdhsa_uses_dynamic_stack 0
		.amdhsa_enable_private_segment 0
		.amdhsa_system_sgpr_workgroup_id_x 1
		.amdhsa_system_sgpr_workgroup_id_y 0
		.amdhsa_system_sgpr_workgroup_id_z 0
		.amdhsa_system_sgpr_workgroup_info 0
		.amdhsa_system_vgpr_workitem_id 0
		.amdhsa_next_free_vgpr 14
		.amdhsa_next_free_sgpr 8
		.amdhsa_named_barrier_count 0
		.amdhsa_reserve_vcc 1
		.amdhsa_float_round_mode_32 0
		.amdhsa_float_round_mode_16_64 0
		.amdhsa_float_denorm_mode_32 3
		.amdhsa_float_denorm_mode_16_64 3
		.amdhsa_fp16_overflow 0
		.amdhsa_memory_ordered 1
		.amdhsa_forward_progress 1
		.amdhsa_inst_pref_size 7
		.amdhsa_round_robin_scheduling 0
		.amdhsa_exception_fp_ieee_invalid_op 0
		.amdhsa_exception_fp_denorm_src 0
		.amdhsa_exception_fp_ieee_div_zero 0
		.amdhsa_exception_fp_ieee_overflow 0
		.amdhsa_exception_fp_ieee_underflow 0
		.amdhsa_exception_fp_ieee_inexact 0
		.amdhsa_exception_int_div_zero 0
	.end_amdhsa_kernel
	.section	.text._ZN7rocprim17ROCPRIM_400000_NS6detail17trampoline_kernelINS0_14default_configENS1_35radix_sort_onesweep_config_selectorItNS0_10empty_typeEEEZNS1_34radix_sort_onesweep_global_offsetsIS3_Lb0EPKtPS5_mNS0_19identity_decomposerEEE10hipError_tT1_T2_PT3_SF_jT4_jjP12ihipStream_tbEUlT_E0_NS1_11comp_targetILNS1_3genE0ELNS1_11target_archE4294967295ELNS1_3gpuE0ELNS1_3repE0EEENS1_52radix_sort_onesweep_histogram_config_static_selectorELNS0_4arch9wavefront6targetE0EEEvSD_,"axG",@progbits,_ZN7rocprim17ROCPRIM_400000_NS6detail17trampoline_kernelINS0_14default_configENS1_35radix_sort_onesweep_config_selectorItNS0_10empty_typeEEEZNS1_34radix_sort_onesweep_global_offsetsIS3_Lb0EPKtPS5_mNS0_19identity_decomposerEEE10hipError_tT1_T2_PT3_SF_jT4_jjP12ihipStream_tbEUlT_E0_NS1_11comp_targetILNS1_3genE0ELNS1_11target_archE4294967295ELNS1_3gpuE0ELNS1_3repE0EEENS1_52radix_sort_onesweep_histogram_config_static_selectorELNS0_4arch9wavefront6targetE0EEEvSD_,comdat
.Lfunc_end2488:
	.size	_ZN7rocprim17ROCPRIM_400000_NS6detail17trampoline_kernelINS0_14default_configENS1_35radix_sort_onesweep_config_selectorItNS0_10empty_typeEEEZNS1_34radix_sort_onesweep_global_offsetsIS3_Lb0EPKtPS5_mNS0_19identity_decomposerEEE10hipError_tT1_T2_PT3_SF_jT4_jjP12ihipStream_tbEUlT_E0_NS1_11comp_targetILNS1_3genE0ELNS1_11target_archE4294967295ELNS1_3gpuE0ELNS1_3repE0EEENS1_52radix_sort_onesweep_histogram_config_static_selectorELNS0_4arch9wavefront6targetE0EEEvSD_, .Lfunc_end2488-_ZN7rocprim17ROCPRIM_400000_NS6detail17trampoline_kernelINS0_14default_configENS1_35radix_sort_onesweep_config_selectorItNS0_10empty_typeEEEZNS1_34radix_sort_onesweep_global_offsetsIS3_Lb0EPKtPS5_mNS0_19identity_decomposerEEE10hipError_tT1_T2_PT3_SF_jT4_jjP12ihipStream_tbEUlT_E0_NS1_11comp_targetILNS1_3genE0ELNS1_11target_archE4294967295ELNS1_3gpuE0ELNS1_3repE0EEENS1_52radix_sort_onesweep_histogram_config_static_selectorELNS0_4arch9wavefront6targetE0EEEvSD_
                                        ; -- End function
	.set _ZN7rocprim17ROCPRIM_400000_NS6detail17trampoline_kernelINS0_14default_configENS1_35radix_sort_onesweep_config_selectorItNS0_10empty_typeEEEZNS1_34radix_sort_onesweep_global_offsetsIS3_Lb0EPKtPS5_mNS0_19identity_decomposerEEE10hipError_tT1_T2_PT3_SF_jT4_jjP12ihipStream_tbEUlT_E0_NS1_11comp_targetILNS1_3genE0ELNS1_11target_archE4294967295ELNS1_3gpuE0ELNS1_3repE0EEENS1_52radix_sort_onesweep_histogram_config_static_selectorELNS0_4arch9wavefront6targetE0EEEvSD_.num_vgpr, 14
	.set _ZN7rocprim17ROCPRIM_400000_NS6detail17trampoline_kernelINS0_14default_configENS1_35radix_sort_onesweep_config_selectorItNS0_10empty_typeEEEZNS1_34radix_sort_onesweep_global_offsetsIS3_Lb0EPKtPS5_mNS0_19identity_decomposerEEE10hipError_tT1_T2_PT3_SF_jT4_jjP12ihipStream_tbEUlT_E0_NS1_11comp_targetILNS1_3genE0ELNS1_11target_archE4294967295ELNS1_3gpuE0ELNS1_3repE0EEENS1_52radix_sort_onesweep_histogram_config_static_selectorELNS0_4arch9wavefront6targetE0EEEvSD_.num_agpr, 0
	.set _ZN7rocprim17ROCPRIM_400000_NS6detail17trampoline_kernelINS0_14default_configENS1_35radix_sort_onesweep_config_selectorItNS0_10empty_typeEEEZNS1_34radix_sort_onesweep_global_offsetsIS3_Lb0EPKtPS5_mNS0_19identity_decomposerEEE10hipError_tT1_T2_PT3_SF_jT4_jjP12ihipStream_tbEUlT_E0_NS1_11comp_targetILNS1_3genE0ELNS1_11target_archE4294967295ELNS1_3gpuE0ELNS1_3repE0EEENS1_52radix_sort_onesweep_histogram_config_static_selectorELNS0_4arch9wavefront6targetE0EEEvSD_.numbered_sgpr, 8
	.set _ZN7rocprim17ROCPRIM_400000_NS6detail17trampoline_kernelINS0_14default_configENS1_35radix_sort_onesweep_config_selectorItNS0_10empty_typeEEEZNS1_34radix_sort_onesweep_global_offsetsIS3_Lb0EPKtPS5_mNS0_19identity_decomposerEEE10hipError_tT1_T2_PT3_SF_jT4_jjP12ihipStream_tbEUlT_E0_NS1_11comp_targetILNS1_3genE0ELNS1_11target_archE4294967295ELNS1_3gpuE0ELNS1_3repE0EEENS1_52radix_sort_onesweep_histogram_config_static_selectorELNS0_4arch9wavefront6targetE0EEEvSD_.num_named_barrier, 0
	.set _ZN7rocprim17ROCPRIM_400000_NS6detail17trampoline_kernelINS0_14default_configENS1_35radix_sort_onesweep_config_selectorItNS0_10empty_typeEEEZNS1_34radix_sort_onesweep_global_offsetsIS3_Lb0EPKtPS5_mNS0_19identity_decomposerEEE10hipError_tT1_T2_PT3_SF_jT4_jjP12ihipStream_tbEUlT_E0_NS1_11comp_targetILNS1_3genE0ELNS1_11target_archE4294967295ELNS1_3gpuE0ELNS1_3repE0EEENS1_52radix_sort_onesweep_histogram_config_static_selectorELNS0_4arch9wavefront6targetE0EEEvSD_.private_seg_size, 0
	.set _ZN7rocprim17ROCPRIM_400000_NS6detail17trampoline_kernelINS0_14default_configENS1_35radix_sort_onesweep_config_selectorItNS0_10empty_typeEEEZNS1_34radix_sort_onesweep_global_offsetsIS3_Lb0EPKtPS5_mNS0_19identity_decomposerEEE10hipError_tT1_T2_PT3_SF_jT4_jjP12ihipStream_tbEUlT_E0_NS1_11comp_targetILNS1_3genE0ELNS1_11target_archE4294967295ELNS1_3gpuE0ELNS1_3repE0EEENS1_52radix_sort_onesweep_histogram_config_static_selectorELNS0_4arch9wavefront6targetE0EEEvSD_.uses_vcc, 1
	.set _ZN7rocprim17ROCPRIM_400000_NS6detail17trampoline_kernelINS0_14default_configENS1_35radix_sort_onesweep_config_selectorItNS0_10empty_typeEEEZNS1_34radix_sort_onesweep_global_offsetsIS3_Lb0EPKtPS5_mNS0_19identity_decomposerEEE10hipError_tT1_T2_PT3_SF_jT4_jjP12ihipStream_tbEUlT_E0_NS1_11comp_targetILNS1_3genE0ELNS1_11target_archE4294967295ELNS1_3gpuE0ELNS1_3repE0EEENS1_52radix_sort_onesweep_histogram_config_static_selectorELNS0_4arch9wavefront6targetE0EEEvSD_.uses_flat_scratch, 0
	.set _ZN7rocprim17ROCPRIM_400000_NS6detail17trampoline_kernelINS0_14default_configENS1_35radix_sort_onesweep_config_selectorItNS0_10empty_typeEEEZNS1_34radix_sort_onesweep_global_offsetsIS3_Lb0EPKtPS5_mNS0_19identity_decomposerEEE10hipError_tT1_T2_PT3_SF_jT4_jjP12ihipStream_tbEUlT_E0_NS1_11comp_targetILNS1_3genE0ELNS1_11target_archE4294967295ELNS1_3gpuE0ELNS1_3repE0EEENS1_52radix_sort_onesweep_histogram_config_static_selectorELNS0_4arch9wavefront6targetE0EEEvSD_.has_dyn_sized_stack, 0
	.set _ZN7rocprim17ROCPRIM_400000_NS6detail17trampoline_kernelINS0_14default_configENS1_35radix_sort_onesweep_config_selectorItNS0_10empty_typeEEEZNS1_34radix_sort_onesweep_global_offsetsIS3_Lb0EPKtPS5_mNS0_19identity_decomposerEEE10hipError_tT1_T2_PT3_SF_jT4_jjP12ihipStream_tbEUlT_E0_NS1_11comp_targetILNS1_3genE0ELNS1_11target_archE4294967295ELNS1_3gpuE0ELNS1_3repE0EEENS1_52radix_sort_onesweep_histogram_config_static_selectorELNS0_4arch9wavefront6targetE0EEEvSD_.has_recursion, 0
	.set _ZN7rocprim17ROCPRIM_400000_NS6detail17trampoline_kernelINS0_14default_configENS1_35radix_sort_onesweep_config_selectorItNS0_10empty_typeEEEZNS1_34radix_sort_onesweep_global_offsetsIS3_Lb0EPKtPS5_mNS0_19identity_decomposerEEE10hipError_tT1_T2_PT3_SF_jT4_jjP12ihipStream_tbEUlT_E0_NS1_11comp_targetILNS1_3genE0ELNS1_11target_archE4294967295ELNS1_3gpuE0ELNS1_3repE0EEENS1_52radix_sort_onesweep_histogram_config_static_selectorELNS0_4arch9wavefront6targetE0EEEvSD_.has_indirect_call, 0
	.section	.AMDGPU.csdata,"",@progbits
; Kernel info:
; codeLenInByte = 896
; TotalNumSgprs: 10
; NumVgprs: 14
; ScratchSize: 0
; MemoryBound: 0
; FloatMode: 240
; IeeeMode: 1
; LDSByteSize: 128 bytes/workgroup (compile time only)
; SGPRBlocks: 0
; VGPRBlocks: 0
; NumSGPRsForWavesPerEU: 10
; NumVGPRsForWavesPerEU: 14
; NamedBarCnt: 0
; Occupancy: 16
; WaveLimiterHint : 0
; COMPUTE_PGM_RSRC2:SCRATCH_EN: 0
; COMPUTE_PGM_RSRC2:USER_SGPR: 2
; COMPUTE_PGM_RSRC2:TRAP_HANDLER: 0
; COMPUTE_PGM_RSRC2:TGID_X_EN: 1
; COMPUTE_PGM_RSRC2:TGID_Y_EN: 0
; COMPUTE_PGM_RSRC2:TGID_Z_EN: 0
; COMPUTE_PGM_RSRC2:TIDIG_COMP_CNT: 0
	.section	.text._ZN7rocprim17ROCPRIM_400000_NS6detail17trampoline_kernelINS0_14default_configENS1_35radix_sort_onesweep_config_selectorItNS0_10empty_typeEEEZNS1_34radix_sort_onesweep_global_offsetsIS3_Lb0EPKtPS5_mNS0_19identity_decomposerEEE10hipError_tT1_T2_PT3_SF_jT4_jjP12ihipStream_tbEUlT_E0_NS1_11comp_targetILNS1_3genE6ELNS1_11target_archE950ELNS1_3gpuE13ELNS1_3repE0EEENS1_52radix_sort_onesweep_histogram_config_static_selectorELNS0_4arch9wavefront6targetE0EEEvSD_,"axG",@progbits,_ZN7rocprim17ROCPRIM_400000_NS6detail17trampoline_kernelINS0_14default_configENS1_35radix_sort_onesweep_config_selectorItNS0_10empty_typeEEEZNS1_34radix_sort_onesweep_global_offsetsIS3_Lb0EPKtPS5_mNS0_19identity_decomposerEEE10hipError_tT1_T2_PT3_SF_jT4_jjP12ihipStream_tbEUlT_E0_NS1_11comp_targetILNS1_3genE6ELNS1_11target_archE950ELNS1_3gpuE13ELNS1_3repE0EEENS1_52radix_sort_onesweep_histogram_config_static_selectorELNS0_4arch9wavefront6targetE0EEEvSD_,comdat
	.protected	_ZN7rocprim17ROCPRIM_400000_NS6detail17trampoline_kernelINS0_14default_configENS1_35radix_sort_onesweep_config_selectorItNS0_10empty_typeEEEZNS1_34radix_sort_onesweep_global_offsetsIS3_Lb0EPKtPS5_mNS0_19identity_decomposerEEE10hipError_tT1_T2_PT3_SF_jT4_jjP12ihipStream_tbEUlT_E0_NS1_11comp_targetILNS1_3genE6ELNS1_11target_archE950ELNS1_3gpuE13ELNS1_3repE0EEENS1_52radix_sort_onesweep_histogram_config_static_selectorELNS0_4arch9wavefront6targetE0EEEvSD_ ; -- Begin function _ZN7rocprim17ROCPRIM_400000_NS6detail17trampoline_kernelINS0_14default_configENS1_35radix_sort_onesweep_config_selectorItNS0_10empty_typeEEEZNS1_34radix_sort_onesweep_global_offsetsIS3_Lb0EPKtPS5_mNS0_19identity_decomposerEEE10hipError_tT1_T2_PT3_SF_jT4_jjP12ihipStream_tbEUlT_E0_NS1_11comp_targetILNS1_3genE6ELNS1_11target_archE950ELNS1_3gpuE13ELNS1_3repE0EEENS1_52radix_sort_onesweep_histogram_config_static_selectorELNS0_4arch9wavefront6targetE0EEEvSD_
	.globl	_ZN7rocprim17ROCPRIM_400000_NS6detail17trampoline_kernelINS0_14default_configENS1_35radix_sort_onesweep_config_selectorItNS0_10empty_typeEEEZNS1_34radix_sort_onesweep_global_offsetsIS3_Lb0EPKtPS5_mNS0_19identity_decomposerEEE10hipError_tT1_T2_PT3_SF_jT4_jjP12ihipStream_tbEUlT_E0_NS1_11comp_targetILNS1_3genE6ELNS1_11target_archE950ELNS1_3gpuE13ELNS1_3repE0EEENS1_52radix_sort_onesweep_histogram_config_static_selectorELNS0_4arch9wavefront6targetE0EEEvSD_
	.p2align	8
	.type	_ZN7rocprim17ROCPRIM_400000_NS6detail17trampoline_kernelINS0_14default_configENS1_35radix_sort_onesweep_config_selectorItNS0_10empty_typeEEEZNS1_34radix_sort_onesweep_global_offsetsIS3_Lb0EPKtPS5_mNS0_19identity_decomposerEEE10hipError_tT1_T2_PT3_SF_jT4_jjP12ihipStream_tbEUlT_E0_NS1_11comp_targetILNS1_3genE6ELNS1_11target_archE950ELNS1_3gpuE13ELNS1_3repE0EEENS1_52radix_sort_onesweep_histogram_config_static_selectorELNS0_4arch9wavefront6targetE0EEEvSD_,@function
_ZN7rocprim17ROCPRIM_400000_NS6detail17trampoline_kernelINS0_14default_configENS1_35radix_sort_onesweep_config_selectorItNS0_10empty_typeEEEZNS1_34radix_sort_onesweep_global_offsetsIS3_Lb0EPKtPS5_mNS0_19identity_decomposerEEE10hipError_tT1_T2_PT3_SF_jT4_jjP12ihipStream_tbEUlT_E0_NS1_11comp_targetILNS1_3genE6ELNS1_11target_archE950ELNS1_3gpuE13ELNS1_3repE0EEENS1_52radix_sort_onesweep_histogram_config_static_selectorELNS0_4arch9wavefront6targetE0EEEvSD_: ; @_ZN7rocprim17ROCPRIM_400000_NS6detail17trampoline_kernelINS0_14default_configENS1_35radix_sort_onesweep_config_selectorItNS0_10empty_typeEEEZNS1_34radix_sort_onesweep_global_offsetsIS3_Lb0EPKtPS5_mNS0_19identity_decomposerEEE10hipError_tT1_T2_PT3_SF_jT4_jjP12ihipStream_tbEUlT_E0_NS1_11comp_targetILNS1_3genE6ELNS1_11target_archE950ELNS1_3gpuE13ELNS1_3repE0EEENS1_52radix_sort_onesweep_histogram_config_static_selectorELNS0_4arch9wavefront6targetE0EEEvSD_
; %bb.0:
	.section	.rodata,"a",@progbits
	.p2align	6, 0x0
	.amdhsa_kernel _ZN7rocprim17ROCPRIM_400000_NS6detail17trampoline_kernelINS0_14default_configENS1_35radix_sort_onesweep_config_selectorItNS0_10empty_typeEEEZNS1_34radix_sort_onesweep_global_offsetsIS3_Lb0EPKtPS5_mNS0_19identity_decomposerEEE10hipError_tT1_T2_PT3_SF_jT4_jjP12ihipStream_tbEUlT_E0_NS1_11comp_targetILNS1_3genE6ELNS1_11target_archE950ELNS1_3gpuE13ELNS1_3repE0EEENS1_52radix_sort_onesweep_histogram_config_static_selectorELNS0_4arch9wavefront6targetE0EEEvSD_
		.amdhsa_group_segment_fixed_size 0
		.amdhsa_private_segment_fixed_size 0
		.amdhsa_kernarg_size 8
		.amdhsa_user_sgpr_count 2
		.amdhsa_user_sgpr_dispatch_ptr 0
		.amdhsa_user_sgpr_queue_ptr 0
		.amdhsa_user_sgpr_kernarg_segment_ptr 1
		.amdhsa_user_sgpr_dispatch_id 0
		.amdhsa_user_sgpr_kernarg_preload_length 0
		.amdhsa_user_sgpr_kernarg_preload_offset 0
		.amdhsa_user_sgpr_private_segment_size 0
		.amdhsa_wavefront_size32 1
		.amdhsa_uses_dynamic_stack 0
		.amdhsa_enable_private_segment 0
		.amdhsa_system_sgpr_workgroup_id_x 1
		.amdhsa_system_sgpr_workgroup_id_y 0
		.amdhsa_system_sgpr_workgroup_id_z 0
		.amdhsa_system_sgpr_workgroup_info 0
		.amdhsa_system_vgpr_workitem_id 0
		.amdhsa_next_free_vgpr 1
		.amdhsa_next_free_sgpr 1
		.amdhsa_named_barrier_count 0
		.amdhsa_reserve_vcc 0
		.amdhsa_float_round_mode_32 0
		.amdhsa_float_round_mode_16_64 0
		.amdhsa_float_denorm_mode_32 3
		.amdhsa_float_denorm_mode_16_64 3
		.amdhsa_fp16_overflow 0
		.amdhsa_memory_ordered 1
		.amdhsa_forward_progress 1
		.amdhsa_inst_pref_size 0
		.amdhsa_round_robin_scheduling 0
		.amdhsa_exception_fp_ieee_invalid_op 0
		.amdhsa_exception_fp_denorm_src 0
		.amdhsa_exception_fp_ieee_div_zero 0
		.amdhsa_exception_fp_ieee_overflow 0
		.amdhsa_exception_fp_ieee_underflow 0
		.amdhsa_exception_fp_ieee_inexact 0
		.amdhsa_exception_int_div_zero 0
	.end_amdhsa_kernel
	.section	.text._ZN7rocprim17ROCPRIM_400000_NS6detail17trampoline_kernelINS0_14default_configENS1_35radix_sort_onesweep_config_selectorItNS0_10empty_typeEEEZNS1_34radix_sort_onesweep_global_offsetsIS3_Lb0EPKtPS5_mNS0_19identity_decomposerEEE10hipError_tT1_T2_PT3_SF_jT4_jjP12ihipStream_tbEUlT_E0_NS1_11comp_targetILNS1_3genE6ELNS1_11target_archE950ELNS1_3gpuE13ELNS1_3repE0EEENS1_52radix_sort_onesweep_histogram_config_static_selectorELNS0_4arch9wavefront6targetE0EEEvSD_,"axG",@progbits,_ZN7rocprim17ROCPRIM_400000_NS6detail17trampoline_kernelINS0_14default_configENS1_35radix_sort_onesweep_config_selectorItNS0_10empty_typeEEEZNS1_34radix_sort_onesweep_global_offsetsIS3_Lb0EPKtPS5_mNS0_19identity_decomposerEEE10hipError_tT1_T2_PT3_SF_jT4_jjP12ihipStream_tbEUlT_E0_NS1_11comp_targetILNS1_3genE6ELNS1_11target_archE950ELNS1_3gpuE13ELNS1_3repE0EEENS1_52radix_sort_onesweep_histogram_config_static_selectorELNS0_4arch9wavefront6targetE0EEEvSD_,comdat
.Lfunc_end2489:
	.size	_ZN7rocprim17ROCPRIM_400000_NS6detail17trampoline_kernelINS0_14default_configENS1_35radix_sort_onesweep_config_selectorItNS0_10empty_typeEEEZNS1_34radix_sort_onesweep_global_offsetsIS3_Lb0EPKtPS5_mNS0_19identity_decomposerEEE10hipError_tT1_T2_PT3_SF_jT4_jjP12ihipStream_tbEUlT_E0_NS1_11comp_targetILNS1_3genE6ELNS1_11target_archE950ELNS1_3gpuE13ELNS1_3repE0EEENS1_52radix_sort_onesweep_histogram_config_static_selectorELNS0_4arch9wavefront6targetE0EEEvSD_, .Lfunc_end2489-_ZN7rocprim17ROCPRIM_400000_NS6detail17trampoline_kernelINS0_14default_configENS1_35radix_sort_onesweep_config_selectorItNS0_10empty_typeEEEZNS1_34radix_sort_onesweep_global_offsetsIS3_Lb0EPKtPS5_mNS0_19identity_decomposerEEE10hipError_tT1_T2_PT3_SF_jT4_jjP12ihipStream_tbEUlT_E0_NS1_11comp_targetILNS1_3genE6ELNS1_11target_archE950ELNS1_3gpuE13ELNS1_3repE0EEENS1_52radix_sort_onesweep_histogram_config_static_selectorELNS0_4arch9wavefront6targetE0EEEvSD_
                                        ; -- End function
	.set _ZN7rocprim17ROCPRIM_400000_NS6detail17trampoline_kernelINS0_14default_configENS1_35radix_sort_onesweep_config_selectorItNS0_10empty_typeEEEZNS1_34radix_sort_onesweep_global_offsetsIS3_Lb0EPKtPS5_mNS0_19identity_decomposerEEE10hipError_tT1_T2_PT3_SF_jT4_jjP12ihipStream_tbEUlT_E0_NS1_11comp_targetILNS1_3genE6ELNS1_11target_archE950ELNS1_3gpuE13ELNS1_3repE0EEENS1_52radix_sort_onesweep_histogram_config_static_selectorELNS0_4arch9wavefront6targetE0EEEvSD_.num_vgpr, 0
	.set _ZN7rocprim17ROCPRIM_400000_NS6detail17trampoline_kernelINS0_14default_configENS1_35radix_sort_onesweep_config_selectorItNS0_10empty_typeEEEZNS1_34radix_sort_onesweep_global_offsetsIS3_Lb0EPKtPS5_mNS0_19identity_decomposerEEE10hipError_tT1_T2_PT3_SF_jT4_jjP12ihipStream_tbEUlT_E0_NS1_11comp_targetILNS1_3genE6ELNS1_11target_archE950ELNS1_3gpuE13ELNS1_3repE0EEENS1_52radix_sort_onesweep_histogram_config_static_selectorELNS0_4arch9wavefront6targetE0EEEvSD_.num_agpr, 0
	.set _ZN7rocprim17ROCPRIM_400000_NS6detail17trampoline_kernelINS0_14default_configENS1_35radix_sort_onesweep_config_selectorItNS0_10empty_typeEEEZNS1_34radix_sort_onesweep_global_offsetsIS3_Lb0EPKtPS5_mNS0_19identity_decomposerEEE10hipError_tT1_T2_PT3_SF_jT4_jjP12ihipStream_tbEUlT_E0_NS1_11comp_targetILNS1_3genE6ELNS1_11target_archE950ELNS1_3gpuE13ELNS1_3repE0EEENS1_52radix_sort_onesweep_histogram_config_static_selectorELNS0_4arch9wavefront6targetE0EEEvSD_.numbered_sgpr, 0
	.set _ZN7rocprim17ROCPRIM_400000_NS6detail17trampoline_kernelINS0_14default_configENS1_35radix_sort_onesweep_config_selectorItNS0_10empty_typeEEEZNS1_34radix_sort_onesweep_global_offsetsIS3_Lb0EPKtPS5_mNS0_19identity_decomposerEEE10hipError_tT1_T2_PT3_SF_jT4_jjP12ihipStream_tbEUlT_E0_NS1_11comp_targetILNS1_3genE6ELNS1_11target_archE950ELNS1_3gpuE13ELNS1_3repE0EEENS1_52radix_sort_onesweep_histogram_config_static_selectorELNS0_4arch9wavefront6targetE0EEEvSD_.num_named_barrier, 0
	.set _ZN7rocprim17ROCPRIM_400000_NS6detail17trampoline_kernelINS0_14default_configENS1_35radix_sort_onesweep_config_selectorItNS0_10empty_typeEEEZNS1_34radix_sort_onesweep_global_offsetsIS3_Lb0EPKtPS5_mNS0_19identity_decomposerEEE10hipError_tT1_T2_PT3_SF_jT4_jjP12ihipStream_tbEUlT_E0_NS1_11comp_targetILNS1_3genE6ELNS1_11target_archE950ELNS1_3gpuE13ELNS1_3repE0EEENS1_52radix_sort_onesweep_histogram_config_static_selectorELNS0_4arch9wavefront6targetE0EEEvSD_.private_seg_size, 0
	.set _ZN7rocprim17ROCPRIM_400000_NS6detail17trampoline_kernelINS0_14default_configENS1_35radix_sort_onesweep_config_selectorItNS0_10empty_typeEEEZNS1_34radix_sort_onesweep_global_offsetsIS3_Lb0EPKtPS5_mNS0_19identity_decomposerEEE10hipError_tT1_T2_PT3_SF_jT4_jjP12ihipStream_tbEUlT_E0_NS1_11comp_targetILNS1_3genE6ELNS1_11target_archE950ELNS1_3gpuE13ELNS1_3repE0EEENS1_52radix_sort_onesweep_histogram_config_static_selectorELNS0_4arch9wavefront6targetE0EEEvSD_.uses_vcc, 0
	.set _ZN7rocprim17ROCPRIM_400000_NS6detail17trampoline_kernelINS0_14default_configENS1_35radix_sort_onesweep_config_selectorItNS0_10empty_typeEEEZNS1_34radix_sort_onesweep_global_offsetsIS3_Lb0EPKtPS5_mNS0_19identity_decomposerEEE10hipError_tT1_T2_PT3_SF_jT4_jjP12ihipStream_tbEUlT_E0_NS1_11comp_targetILNS1_3genE6ELNS1_11target_archE950ELNS1_3gpuE13ELNS1_3repE0EEENS1_52radix_sort_onesweep_histogram_config_static_selectorELNS0_4arch9wavefront6targetE0EEEvSD_.uses_flat_scratch, 0
	.set _ZN7rocprim17ROCPRIM_400000_NS6detail17trampoline_kernelINS0_14default_configENS1_35radix_sort_onesweep_config_selectorItNS0_10empty_typeEEEZNS1_34radix_sort_onesweep_global_offsetsIS3_Lb0EPKtPS5_mNS0_19identity_decomposerEEE10hipError_tT1_T2_PT3_SF_jT4_jjP12ihipStream_tbEUlT_E0_NS1_11comp_targetILNS1_3genE6ELNS1_11target_archE950ELNS1_3gpuE13ELNS1_3repE0EEENS1_52radix_sort_onesweep_histogram_config_static_selectorELNS0_4arch9wavefront6targetE0EEEvSD_.has_dyn_sized_stack, 0
	.set _ZN7rocprim17ROCPRIM_400000_NS6detail17trampoline_kernelINS0_14default_configENS1_35radix_sort_onesweep_config_selectorItNS0_10empty_typeEEEZNS1_34radix_sort_onesweep_global_offsetsIS3_Lb0EPKtPS5_mNS0_19identity_decomposerEEE10hipError_tT1_T2_PT3_SF_jT4_jjP12ihipStream_tbEUlT_E0_NS1_11comp_targetILNS1_3genE6ELNS1_11target_archE950ELNS1_3gpuE13ELNS1_3repE0EEENS1_52radix_sort_onesweep_histogram_config_static_selectorELNS0_4arch9wavefront6targetE0EEEvSD_.has_recursion, 0
	.set _ZN7rocprim17ROCPRIM_400000_NS6detail17trampoline_kernelINS0_14default_configENS1_35radix_sort_onesweep_config_selectorItNS0_10empty_typeEEEZNS1_34radix_sort_onesweep_global_offsetsIS3_Lb0EPKtPS5_mNS0_19identity_decomposerEEE10hipError_tT1_T2_PT3_SF_jT4_jjP12ihipStream_tbEUlT_E0_NS1_11comp_targetILNS1_3genE6ELNS1_11target_archE950ELNS1_3gpuE13ELNS1_3repE0EEENS1_52radix_sort_onesweep_histogram_config_static_selectorELNS0_4arch9wavefront6targetE0EEEvSD_.has_indirect_call, 0
	.section	.AMDGPU.csdata,"",@progbits
; Kernel info:
; codeLenInByte = 0
; TotalNumSgprs: 0
; NumVgprs: 0
; ScratchSize: 0
; MemoryBound: 0
; FloatMode: 240
; IeeeMode: 1
; LDSByteSize: 0 bytes/workgroup (compile time only)
; SGPRBlocks: 0
; VGPRBlocks: 0
; NumSGPRsForWavesPerEU: 1
; NumVGPRsForWavesPerEU: 1
; NamedBarCnt: 0
; Occupancy: 16
; WaveLimiterHint : 0
; COMPUTE_PGM_RSRC2:SCRATCH_EN: 0
; COMPUTE_PGM_RSRC2:USER_SGPR: 2
; COMPUTE_PGM_RSRC2:TRAP_HANDLER: 0
; COMPUTE_PGM_RSRC2:TGID_X_EN: 1
; COMPUTE_PGM_RSRC2:TGID_Y_EN: 0
; COMPUTE_PGM_RSRC2:TGID_Z_EN: 0
; COMPUTE_PGM_RSRC2:TIDIG_COMP_CNT: 0
	.section	.text._ZN7rocprim17ROCPRIM_400000_NS6detail17trampoline_kernelINS0_14default_configENS1_35radix_sort_onesweep_config_selectorItNS0_10empty_typeEEEZNS1_34radix_sort_onesweep_global_offsetsIS3_Lb0EPKtPS5_mNS0_19identity_decomposerEEE10hipError_tT1_T2_PT3_SF_jT4_jjP12ihipStream_tbEUlT_E0_NS1_11comp_targetILNS1_3genE5ELNS1_11target_archE942ELNS1_3gpuE9ELNS1_3repE0EEENS1_52radix_sort_onesweep_histogram_config_static_selectorELNS0_4arch9wavefront6targetE0EEEvSD_,"axG",@progbits,_ZN7rocprim17ROCPRIM_400000_NS6detail17trampoline_kernelINS0_14default_configENS1_35radix_sort_onesweep_config_selectorItNS0_10empty_typeEEEZNS1_34radix_sort_onesweep_global_offsetsIS3_Lb0EPKtPS5_mNS0_19identity_decomposerEEE10hipError_tT1_T2_PT3_SF_jT4_jjP12ihipStream_tbEUlT_E0_NS1_11comp_targetILNS1_3genE5ELNS1_11target_archE942ELNS1_3gpuE9ELNS1_3repE0EEENS1_52radix_sort_onesweep_histogram_config_static_selectorELNS0_4arch9wavefront6targetE0EEEvSD_,comdat
	.protected	_ZN7rocprim17ROCPRIM_400000_NS6detail17trampoline_kernelINS0_14default_configENS1_35radix_sort_onesweep_config_selectorItNS0_10empty_typeEEEZNS1_34radix_sort_onesweep_global_offsetsIS3_Lb0EPKtPS5_mNS0_19identity_decomposerEEE10hipError_tT1_T2_PT3_SF_jT4_jjP12ihipStream_tbEUlT_E0_NS1_11comp_targetILNS1_3genE5ELNS1_11target_archE942ELNS1_3gpuE9ELNS1_3repE0EEENS1_52radix_sort_onesweep_histogram_config_static_selectorELNS0_4arch9wavefront6targetE0EEEvSD_ ; -- Begin function _ZN7rocprim17ROCPRIM_400000_NS6detail17trampoline_kernelINS0_14default_configENS1_35radix_sort_onesweep_config_selectorItNS0_10empty_typeEEEZNS1_34radix_sort_onesweep_global_offsetsIS3_Lb0EPKtPS5_mNS0_19identity_decomposerEEE10hipError_tT1_T2_PT3_SF_jT4_jjP12ihipStream_tbEUlT_E0_NS1_11comp_targetILNS1_3genE5ELNS1_11target_archE942ELNS1_3gpuE9ELNS1_3repE0EEENS1_52radix_sort_onesweep_histogram_config_static_selectorELNS0_4arch9wavefront6targetE0EEEvSD_
	.globl	_ZN7rocprim17ROCPRIM_400000_NS6detail17trampoline_kernelINS0_14default_configENS1_35radix_sort_onesweep_config_selectorItNS0_10empty_typeEEEZNS1_34radix_sort_onesweep_global_offsetsIS3_Lb0EPKtPS5_mNS0_19identity_decomposerEEE10hipError_tT1_T2_PT3_SF_jT4_jjP12ihipStream_tbEUlT_E0_NS1_11comp_targetILNS1_3genE5ELNS1_11target_archE942ELNS1_3gpuE9ELNS1_3repE0EEENS1_52radix_sort_onesweep_histogram_config_static_selectorELNS0_4arch9wavefront6targetE0EEEvSD_
	.p2align	8
	.type	_ZN7rocprim17ROCPRIM_400000_NS6detail17trampoline_kernelINS0_14default_configENS1_35radix_sort_onesweep_config_selectorItNS0_10empty_typeEEEZNS1_34radix_sort_onesweep_global_offsetsIS3_Lb0EPKtPS5_mNS0_19identity_decomposerEEE10hipError_tT1_T2_PT3_SF_jT4_jjP12ihipStream_tbEUlT_E0_NS1_11comp_targetILNS1_3genE5ELNS1_11target_archE942ELNS1_3gpuE9ELNS1_3repE0EEENS1_52radix_sort_onesweep_histogram_config_static_selectorELNS0_4arch9wavefront6targetE0EEEvSD_,@function
_ZN7rocprim17ROCPRIM_400000_NS6detail17trampoline_kernelINS0_14default_configENS1_35radix_sort_onesweep_config_selectorItNS0_10empty_typeEEEZNS1_34radix_sort_onesweep_global_offsetsIS3_Lb0EPKtPS5_mNS0_19identity_decomposerEEE10hipError_tT1_T2_PT3_SF_jT4_jjP12ihipStream_tbEUlT_E0_NS1_11comp_targetILNS1_3genE5ELNS1_11target_archE942ELNS1_3gpuE9ELNS1_3repE0EEENS1_52radix_sort_onesweep_histogram_config_static_selectorELNS0_4arch9wavefront6targetE0EEEvSD_: ; @_ZN7rocprim17ROCPRIM_400000_NS6detail17trampoline_kernelINS0_14default_configENS1_35radix_sort_onesweep_config_selectorItNS0_10empty_typeEEEZNS1_34radix_sort_onesweep_global_offsetsIS3_Lb0EPKtPS5_mNS0_19identity_decomposerEEE10hipError_tT1_T2_PT3_SF_jT4_jjP12ihipStream_tbEUlT_E0_NS1_11comp_targetILNS1_3genE5ELNS1_11target_archE942ELNS1_3gpuE9ELNS1_3repE0EEENS1_52radix_sort_onesweep_histogram_config_static_selectorELNS0_4arch9wavefront6targetE0EEEvSD_
; %bb.0:
	.section	.rodata,"a",@progbits
	.p2align	6, 0x0
	.amdhsa_kernel _ZN7rocprim17ROCPRIM_400000_NS6detail17trampoline_kernelINS0_14default_configENS1_35radix_sort_onesweep_config_selectorItNS0_10empty_typeEEEZNS1_34radix_sort_onesweep_global_offsetsIS3_Lb0EPKtPS5_mNS0_19identity_decomposerEEE10hipError_tT1_T2_PT3_SF_jT4_jjP12ihipStream_tbEUlT_E0_NS1_11comp_targetILNS1_3genE5ELNS1_11target_archE942ELNS1_3gpuE9ELNS1_3repE0EEENS1_52radix_sort_onesweep_histogram_config_static_selectorELNS0_4arch9wavefront6targetE0EEEvSD_
		.amdhsa_group_segment_fixed_size 0
		.amdhsa_private_segment_fixed_size 0
		.amdhsa_kernarg_size 8
		.amdhsa_user_sgpr_count 2
		.amdhsa_user_sgpr_dispatch_ptr 0
		.amdhsa_user_sgpr_queue_ptr 0
		.amdhsa_user_sgpr_kernarg_segment_ptr 1
		.amdhsa_user_sgpr_dispatch_id 0
		.amdhsa_user_sgpr_kernarg_preload_length 0
		.amdhsa_user_sgpr_kernarg_preload_offset 0
		.amdhsa_user_sgpr_private_segment_size 0
		.amdhsa_wavefront_size32 1
		.amdhsa_uses_dynamic_stack 0
		.amdhsa_enable_private_segment 0
		.amdhsa_system_sgpr_workgroup_id_x 1
		.amdhsa_system_sgpr_workgroup_id_y 0
		.amdhsa_system_sgpr_workgroup_id_z 0
		.amdhsa_system_sgpr_workgroup_info 0
		.amdhsa_system_vgpr_workitem_id 0
		.amdhsa_next_free_vgpr 1
		.amdhsa_next_free_sgpr 1
		.amdhsa_named_barrier_count 0
		.amdhsa_reserve_vcc 0
		.amdhsa_float_round_mode_32 0
		.amdhsa_float_round_mode_16_64 0
		.amdhsa_float_denorm_mode_32 3
		.amdhsa_float_denorm_mode_16_64 3
		.amdhsa_fp16_overflow 0
		.amdhsa_memory_ordered 1
		.amdhsa_forward_progress 1
		.amdhsa_inst_pref_size 0
		.amdhsa_round_robin_scheduling 0
		.amdhsa_exception_fp_ieee_invalid_op 0
		.amdhsa_exception_fp_denorm_src 0
		.amdhsa_exception_fp_ieee_div_zero 0
		.amdhsa_exception_fp_ieee_overflow 0
		.amdhsa_exception_fp_ieee_underflow 0
		.amdhsa_exception_fp_ieee_inexact 0
		.amdhsa_exception_int_div_zero 0
	.end_amdhsa_kernel
	.section	.text._ZN7rocprim17ROCPRIM_400000_NS6detail17trampoline_kernelINS0_14default_configENS1_35radix_sort_onesweep_config_selectorItNS0_10empty_typeEEEZNS1_34radix_sort_onesweep_global_offsetsIS3_Lb0EPKtPS5_mNS0_19identity_decomposerEEE10hipError_tT1_T2_PT3_SF_jT4_jjP12ihipStream_tbEUlT_E0_NS1_11comp_targetILNS1_3genE5ELNS1_11target_archE942ELNS1_3gpuE9ELNS1_3repE0EEENS1_52radix_sort_onesweep_histogram_config_static_selectorELNS0_4arch9wavefront6targetE0EEEvSD_,"axG",@progbits,_ZN7rocprim17ROCPRIM_400000_NS6detail17trampoline_kernelINS0_14default_configENS1_35radix_sort_onesweep_config_selectorItNS0_10empty_typeEEEZNS1_34radix_sort_onesweep_global_offsetsIS3_Lb0EPKtPS5_mNS0_19identity_decomposerEEE10hipError_tT1_T2_PT3_SF_jT4_jjP12ihipStream_tbEUlT_E0_NS1_11comp_targetILNS1_3genE5ELNS1_11target_archE942ELNS1_3gpuE9ELNS1_3repE0EEENS1_52radix_sort_onesweep_histogram_config_static_selectorELNS0_4arch9wavefront6targetE0EEEvSD_,comdat
.Lfunc_end2490:
	.size	_ZN7rocprim17ROCPRIM_400000_NS6detail17trampoline_kernelINS0_14default_configENS1_35radix_sort_onesweep_config_selectorItNS0_10empty_typeEEEZNS1_34radix_sort_onesweep_global_offsetsIS3_Lb0EPKtPS5_mNS0_19identity_decomposerEEE10hipError_tT1_T2_PT3_SF_jT4_jjP12ihipStream_tbEUlT_E0_NS1_11comp_targetILNS1_3genE5ELNS1_11target_archE942ELNS1_3gpuE9ELNS1_3repE0EEENS1_52radix_sort_onesweep_histogram_config_static_selectorELNS0_4arch9wavefront6targetE0EEEvSD_, .Lfunc_end2490-_ZN7rocprim17ROCPRIM_400000_NS6detail17trampoline_kernelINS0_14default_configENS1_35radix_sort_onesweep_config_selectorItNS0_10empty_typeEEEZNS1_34radix_sort_onesweep_global_offsetsIS3_Lb0EPKtPS5_mNS0_19identity_decomposerEEE10hipError_tT1_T2_PT3_SF_jT4_jjP12ihipStream_tbEUlT_E0_NS1_11comp_targetILNS1_3genE5ELNS1_11target_archE942ELNS1_3gpuE9ELNS1_3repE0EEENS1_52radix_sort_onesweep_histogram_config_static_selectorELNS0_4arch9wavefront6targetE0EEEvSD_
                                        ; -- End function
	.set _ZN7rocprim17ROCPRIM_400000_NS6detail17trampoline_kernelINS0_14default_configENS1_35radix_sort_onesweep_config_selectorItNS0_10empty_typeEEEZNS1_34radix_sort_onesweep_global_offsetsIS3_Lb0EPKtPS5_mNS0_19identity_decomposerEEE10hipError_tT1_T2_PT3_SF_jT4_jjP12ihipStream_tbEUlT_E0_NS1_11comp_targetILNS1_3genE5ELNS1_11target_archE942ELNS1_3gpuE9ELNS1_3repE0EEENS1_52radix_sort_onesweep_histogram_config_static_selectorELNS0_4arch9wavefront6targetE0EEEvSD_.num_vgpr, 0
	.set _ZN7rocprim17ROCPRIM_400000_NS6detail17trampoline_kernelINS0_14default_configENS1_35radix_sort_onesweep_config_selectorItNS0_10empty_typeEEEZNS1_34radix_sort_onesweep_global_offsetsIS3_Lb0EPKtPS5_mNS0_19identity_decomposerEEE10hipError_tT1_T2_PT3_SF_jT4_jjP12ihipStream_tbEUlT_E0_NS1_11comp_targetILNS1_3genE5ELNS1_11target_archE942ELNS1_3gpuE9ELNS1_3repE0EEENS1_52radix_sort_onesweep_histogram_config_static_selectorELNS0_4arch9wavefront6targetE0EEEvSD_.num_agpr, 0
	.set _ZN7rocprim17ROCPRIM_400000_NS6detail17trampoline_kernelINS0_14default_configENS1_35radix_sort_onesweep_config_selectorItNS0_10empty_typeEEEZNS1_34radix_sort_onesweep_global_offsetsIS3_Lb0EPKtPS5_mNS0_19identity_decomposerEEE10hipError_tT1_T2_PT3_SF_jT4_jjP12ihipStream_tbEUlT_E0_NS1_11comp_targetILNS1_3genE5ELNS1_11target_archE942ELNS1_3gpuE9ELNS1_3repE0EEENS1_52radix_sort_onesweep_histogram_config_static_selectorELNS0_4arch9wavefront6targetE0EEEvSD_.numbered_sgpr, 0
	.set _ZN7rocprim17ROCPRIM_400000_NS6detail17trampoline_kernelINS0_14default_configENS1_35radix_sort_onesweep_config_selectorItNS0_10empty_typeEEEZNS1_34radix_sort_onesweep_global_offsetsIS3_Lb0EPKtPS5_mNS0_19identity_decomposerEEE10hipError_tT1_T2_PT3_SF_jT4_jjP12ihipStream_tbEUlT_E0_NS1_11comp_targetILNS1_3genE5ELNS1_11target_archE942ELNS1_3gpuE9ELNS1_3repE0EEENS1_52radix_sort_onesweep_histogram_config_static_selectorELNS0_4arch9wavefront6targetE0EEEvSD_.num_named_barrier, 0
	.set _ZN7rocprim17ROCPRIM_400000_NS6detail17trampoline_kernelINS0_14default_configENS1_35radix_sort_onesweep_config_selectorItNS0_10empty_typeEEEZNS1_34radix_sort_onesweep_global_offsetsIS3_Lb0EPKtPS5_mNS0_19identity_decomposerEEE10hipError_tT1_T2_PT3_SF_jT4_jjP12ihipStream_tbEUlT_E0_NS1_11comp_targetILNS1_3genE5ELNS1_11target_archE942ELNS1_3gpuE9ELNS1_3repE0EEENS1_52radix_sort_onesweep_histogram_config_static_selectorELNS0_4arch9wavefront6targetE0EEEvSD_.private_seg_size, 0
	.set _ZN7rocprim17ROCPRIM_400000_NS6detail17trampoline_kernelINS0_14default_configENS1_35radix_sort_onesweep_config_selectorItNS0_10empty_typeEEEZNS1_34radix_sort_onesweep_global_offsetsIS3_Lb0EPKtPS5_mNS0_19identity_decomposerEEE10hipError_tT1_T2_PT3_SF_jT4_jjP12ihipStream_tbEUlT_E0_NS1_11comp_targetILNS1_3genE5ELNS1_11target_archE942ELNS1_3gpuE9ELNS1_3repE0EEENS1_52radix_sort_onesweep_histogram_config_static_selectorELNS0_4arch9wavefront6targetE0EEEvSD_.uses_vcc, 0
	.set _ZN7rocprim17ROCPRIM_400000_NS6detail17trampoline_kernelINS0_14default_configENS1_35radix_sort_onesweep_config_selectorItNS0_10empty_typeEEEZNS1_34radix_sort_onesweep_global_offsetsIS3_Lb0EPKtPS5_mNS0_19identity_decomposerEEE10hipError_tT1_T2_PT3_SF_jT4_jjP12ihipStream_tbEUlT_E0_NS1_11comp_targetILNS1_3genE5ELNS1_11target_archE942ELNS1_3gpuE9ELNS1_3repE0EEENS1_52radix_sort_onesweep_histogram_config_static_selectorELNS0_4arch9wavefront6targetE0EEEvSD_.uses_flat_scratch, 0
	.set _ZN7rocprim17ROCPRIM_400000_NS6detail17trampoline_kernelINS0_14default_configENS1_35radix_sort_onesweep_config_selectorItNS0_10empty_typeEEEZNS1_34radix_sort_onesweep_global_offsetsIS3_Lb0EPKtPS5_mNS0_19identity_decomposerEEE10hipError_tT1_T2_PT3_SF_jT4_jjP12ihipStream_tbEUlT_E0_NS1_11comp_targetILNS1_3genE5ELNS1_11target_archE942ELNS1_3gpuE9ELNS1_3repE0EEENS1_52radix_sort_onesweep_histogram_config_static_selectorELNS0_4arch9wavefront6targetE0EEEvSD_.has_dyn_sized_stack, 0
	.set _ZN7rocprim17ROCPRIM_400000_NS6detail17trampoline_kernelINS0_14default_configENS1_35radix_sort_onesweep_config_selectorItNS0_10empty_typeEEEZNS1_34radix_sort_onesweep_global_offsetsIS3_Lb0EPKtPS5_mNS0_19identity_decomposerEEE10hipError_tT1_T2_PT3_SF_jT4_jjP12ihipStream_tbEUlT_E0_NS1_11comp_targetILNS1_3genE5ELNS1_11target_archE942ELNS1_3gpuE9ELNS1_3repE0EEENS1_52radix_sort_onesweep_histogram_config_static_selectorELNS0_4arch9wavefront6targetE0EEEvSD_.has_recursion, 0
	.set _ZN7rocprim17ROCPRIM_400000_NS6detail17trampoline_kernelINS0_14default_configENS1_35radix_sort_onesweep_config_selectorItNS0_10empty_typeEEEZNS1_34radix_sort_onesweep_global_offsetsIS3_Lb0EPKtPS5_mNS0_19identity_decomposerEEE10hipError_tT1_T2_PT3_SF_jT4_jjP12ihipStream_tbEUlT_E0_NS1_11comp_targetILNS1_3genE5ELNS1_11target_archE942ELNS1_3gpuE9ELNS1_3repE0EEENS1_52radix_sort_onesweep_histogram_config_static_selectorELNS0_4arch9wavefront6targetE0EEEvSD_.has_indirect_call, 0
	.section	.AMDGPU.csdata,"",@progbits
; Kernel info:
; codeLenInByte = 0
; TotalNumSgprs: 0
; NumVgprs: 0
; ScratchSize: 0
; MemoryBound: 0
; FloatMode: 240
; IeeeMode: 1
; LDSByteSize: 0 bytes/workgroup (compile time only)
; SGPRBlocks: 0
; VGPRBlocks: 0
; NumSGPRsForWavesPerEU: 1
; NumVGPRsForWavesPerEU: 1
; NamedBarCnt: 0
; Occupancy: 16
; WaveLimiterHint : 0
; COMPUTE_PGM_RSRC2:SCRATCH_EN: 0
; COMPUTE_PGM_RSRC2:USER_SGPR: 2
; COMPUTE_PGM_RSRC2:TRAP_HANDLER: 0
; COMPUTE_PGM_RSRC2:TGID_X_EN: 1
; COMPUTE_PGM_RSRC2:TGID_Y_EN: 0
; COMPUTE_PGM_RSRC2:TGID_Z_EN: 0
; COMPUTE_PGM_RSRC2:TIDIG_COMP_CNT: 0
	.section	.text._ZN7rocprim17ROCPRIM_400000_NS6detail17trampoline_kernelINS0_14default_configENS1_35radix_sort_onesweep_config_selectorItNS0_10empty_typeEEEZNS1_34radix_sort_onesweep_global_offsetsIS3_Lb0EPKtPS5_mNS0_19identity_decomposerEEE10hipError_tT1_T2_PT3_SF_jT4_jjP12ihipStream_tbEUlT_E0_NS1_11comp_targetILNS1_3genE2ELNS1_11target_archE906ELNS1_3gpuE6ELNS1_3repE0EEENS1_52radix_sort_onesweep_histogram_config_static_selectorELNS0_4arch9wavefront6targetE0EEEvSD_,"axG",@progbits,_ZN7rocprim17ROCPRIM_400000_NS6detail17trampoline_kernelINS0_14default_configENS1_35radix_sort_onesweep_config_selectorItNS0_10empty_typeEEEZNS1_34radix_sort_onesweep_global_offsetsIS3_Lb0EPKtPS5_mNS0_19identity_decomposerEEE10hipError_tT1_T2_PT3_SF_jT4_jjP12ihipStream_tbEUlT_E0_NS1_11comp_targetILNS1_3genE2ELNS1_11target_archE906ELNS1_3gpuE6ELNS1_3repE0EEENS1_52radix_sort_onesweep_histogram_config_static_selectorELNS0_4arch9wavefront6targetE0EEEvSD_,comdat
	.protected	_ZN7rocprim17ROCPRIM_400000_NS6detail17trampoline_kernelINS0_14default_configENS1_35radix_sort_onesweep_config_selectorItNS0_10empty_typeEEEZNS1_34radix_sort_onesweep_global_offsetsIS3_Lb0EPKtPS5_mNS0_19identity_decomposerEEE10hipError_tT1_T2_PT3_SF_jT4_jjP12ihipStream_tbEUlT_E0_NS1_11comp_targetILNS1_3genE2ELNS1_11target_archE906ELNS1_3gpuE6ELNS1_3repE0EEENS1_52radix_sort_onesweep_histogram_config_static_selectorELNS0_4arch9wavefront6targetE0EEEvSD_ ; -- Begin function _ZN7rocprim17ROCPRIM_400000_NS6detail17trampoline_kernelINS0_14default_configENS1_35radix_sort_onesweep_config_selectorItNS0_10empty_typeEEEZNS1_34radix_sort_onesweep_global_offsetsIS3_Lb0EPKtPS5_mNS0_19identity_decomposerEEE10hipError_tT1_T2_PT3_SF_jT4_jjP12ihipStream_tbEUlT_E0_NS1_11comp_targetILNS1_3genE2ELNS1_11target_archE906ELNS1_3gpuE6ELNS1_3repE0EEENS1_52radix_sort_onesweep_histogram_config_static_selectorELNS0_4arch9wavefront6targetE0EEEvSD_
	.globl	_ZN7rocprim17ROCPRIM_400000_NS6detail17trampoline_kernelINS0_14default_configENS1_35radix_sort_onesweep_config_selectorItNS0_10empty_typeEEEZNS1_34radix_sort_onesweep_global_offsetsIS3_Lb0EPKtPS5_mNS0_19identity_decomposerEEE10hipError_tT1_T2_PT3_SF_jT4_jjP12ihipStream_tbEUlT_E0_NS1_11comp_targetILNS1_3genE2ELNS1_11target_archE906ELNS1_3gpuE6ELNS1_3repE0EEENS1_52radix_sort_onesweep_histogram_config_static_selectorELNS0_4arch9wavefront6targetE0EEEvSD_
	.p2align	8
	.type	_ZN7rocprim17ROCPRIM_400000_NS6detail17trampoline_kernelINS0_14default_configENS1_35radix_sort_onesweep_config_selectorItNS0_10empty_typeEEEZNS1_34radix_sort_onesweep_global_offsetsIS3_Lb0EPKtPS5_mNS0_19identity_decomposerEEE10hipError_tT1_T2_PT3_SF_jT4_jjP12ihipStream_tbEUlT_E0_NS1_11comp_targetILNS1_3genE2ELNS1_11target_archE906ELNS1_3gpuE6ELNS1_3repE0EEENS1_52radix_sort_onesweep_histogram_config_static_selectorELNS0_4arch9wavefront6targetE0EEEvSD_,@function
_ZN7rocprim17ROCPRIM_400000_NS6detail17trampoline_kernelINS0_14default_configENS1_35radix_sort_onesweep_config_selectorItNS0_10empty_typeEEEZNS1_34radix_sort_onesweep_global_offsetsIS3_Lb0EPKtPS5_mNS0_19identity_decomposerEEE10hipError_tT1_T2_PT3_SF_jT4_jjP12ihipStream_tbEUlT_E0_NS1_11comp_targetILNS1_3genE2ELNS1_11target_archE906ELNS1_3gpuE6ELNS1_3repE0EEENS1_52radix_sort_onesweep_histogram_config_static_selectorELNS0_4arch9wavefront6targetE0EEEvSD_: ; @_ZN7rocprim17ROCPRIM_400000_NS6detail17trampoline_kernelINS0_14default_configENS1_35radix_sort_onesweep_config_selectorItNS0_10empty_typeEEEZNS1_34radix_sort_onesweep_global_offsetsIS3_Lb0EPKtPS5_mNS0_19identity_decomposerEEE10hipError_tT1_T2_PT3_SF_jT4_jjP12ihipStream_tbEUlT_E0_NS1_11comp_targetILNS1_3genE2ELNS1_11target_archE906ELNS1_3gpuE6ELNS1_3repE0EEENS1_52radix_sort_onesweep_histogram_config_static_selectorELNS0_4arch9wavefront6targetE0EEEvSD_
; %bb.0:
	.section	.rodata,"a",@progbits
	.p2align	6, 0x0
	.amdhsa_kernel _ZN7rocprim17ROCPRIM_400000_NS6detail17trampoline_kernelINS0_14default_configENS1_35radix_sort_onesweep_config_selectorItNS0_10empty_typeEEEZNS1_34radix_sort_onesweep_global_offsetsIS3_Lb0EPKtPS5_mNS0_19identity_decomposerEEE10hipError_tT1_T2_PT3_SF_jT4_jjP12ihipStream_tbEUlT_E0_NS1_11comp_targetILNS1_3genE2ELNS1_11target_archE906ELNS1_3gpuE6ELNS1_3repE0EEENS1_52radix_sort_onesweep_histogram_config_static_selectorELNS0_4arch9wavefront6targetE0EEEvSD_
		.amdhsa_group_segment_fixed_size 0
		.amdhsa_private_segment_fixed_size 0
		.amdhsa_kernarg_size 8
		.amdhsa_user_sgpr_count 2
		.amdhsa_user_sgpr_dispatch_ptr 0
		.amdhsa_user_sgpr_queue_ptr 0
		.amdhsa_user_sgpr_kernarg_segment_ptr 1
		.amdhsa_user_sgpr_dispatch_id 0
		.amdhsa_user_sgpr_kernarg_preload_length 0
		.amdhsa_user_sgpr_kernarg_preload_offset 0
		.amdhsa_user_sgpr_private_segment_size 0
		.amdhsa_wavefront_size32 1
		.amdhsa_uses_dynamic_stack 0
		.amdhsa_enable_private_segment 0
		.amdhsa_system_sgpr_workgroup_id_x 1
		.amdhsa_system_sgpr_workgroup_id_y 0
		.amdhsa_system_sgpr_workgroup_id_z 0
		.amdhsa_system_sgpr_workgroup_info 0
		.amdhsa_system_vgpr_workitem_id 0
		.amdhsa_next_free_vgpr 1
		.amdhsa_next_free_sgpr 1
		.amdhsa_named_barrier_count 0
		.amdhsa_reserve_vcc 0
		.amdhsa_float_round_mode_32 0
		.amdhsa_float_round_mode_16_64 0
		.amdhsa_float_denorm_mode_32 3
		.amdhsa_float_denorm_mode_16_64 3
		.amdhsa_fp16_overflow 0
		.amdhsa_memory_ordered 1
		.amdhsa_forward_progress 1
		.amdhsa_inst_pref_size 0
		.amdhsa_round_robin_scheduling 0
		.amdhsa_exception_fp_ieee_invalid_op 0
		.amdhsa_exception_fp_denorm_src 0
		.amdhsa_exception_fp_ieee_div_zero 0
		.amdhsa_exception_fp_ieee_overflow 0
		.amdhsa_exception_fp_ieee_underflow 0
		.amdhsa_exception_fp_ieee_inexact 0
		.amdhsa_exception_int_div_zero 0
	.end_amdhsa_kernel
	.section	.text._ZN7rocprim17ROCPRIM_400000_NS6detail17trampoline_kernelINS0_14default_configENS1_35radix_sort_onesweep_config_selectorItNS0_10empty_typeEEEZNS1_34radix_sort_onesweep_global_offsetsIS3_Lb0EPKtPS5_mNS0_19identity_decomposerEEE10hipError_tT1_T2_PT3_SF_jT4_jjP12ihipStream_tbEUlT_E0_NS1_11comp_targetILNS1_3genE2ELNS1_11target_archE906ELNS1_3gpuE6ELNS1_3repE0EEENS1_52radix_sort_onesweep_histogram_config_static_selectorELNS0_4arch9wavefront6targetE0EEEvSD_,"axG",@progbits,_ZN7rocprim17ROCPRIM_400000_NS6detail17trampoline_kernelINS0_14default_configENS1_35radix_sort_onesweep_config_selectorItNS0_10empty_typeEEEZNS1_34radix_sort_onesweep_global_offsetsIS3_Lb0EPKtPS5_mNS0_19identity_decomposerEEE10hipError_tT1_T2_PT3_SF_jT4_jjP12ihipStream_tbEUlT_E0_NS1_11comp_targetILNS1_3genE2ELNS1_11target_archE906ELNS1_3gpuE6ELNS1_3repE0EEENS1_52radix_sort_onesweep_histogram_config_static_selectorELNS0_4arch9wavefront6targetE0EEEvSD_,comdat
.Lfunc_end2491:
	.size	_ZN7rocprim17ROCPRIM_400000_NS6detail17trampoline_kernelINS0_14default_configENS1_35radix_sort_onesweep_config_selectorItNS0_10empty_typeEEEZNS1_34radix_sort_onesweep_global_offsetsIS3_Lb0EPKtPS5_mNS0_19identity_decomposerEEE10hipError_tT1_T2_PT3_SF_jT4_jjP12ihipStream_tbEUlT_E0_NS1_11comp_targetILNS1_3genE2ELNS1_11target_archE906ELNS1_3gpuE6ELNS1_3repE0EEENS1_52radix_sort_onesweep_histogram_config_static_selectorELNS0_4arch9wavefront6targetE0EEEvSD_, .Lfunc_end2491-_ZN7rocprim17ROCPRIM_400000_NS6detail17trampoline_kernelINS0_14default_configENS1_35radix_sort_onesweep_config_selectorItNS0_10empty_typeEEEZNS1_34radix_sort_onesweep_global_offsetsIS3_Lb0EPKtPS5_mNS0_19identity_decomposerEEE10hipError_tT1_T2_PT3_SF_jT4_jjP12ihipStream_tbEUlT_E0_NS1_11comp_targetILNS1_3genE2ELNS1_11target_archE906ELNS1_3gpuE6ELNS1_3repE0EEENS1_52radix_sort_onesweep_histogram_config_static_selectorELNS0_4arch9wavefront6targetE0EEEvSD_
                                        ; -- End function
	.set _ZN7rocprim17ROCPRIM_400000_NS6detail17trampoline_kernelINS0_14default_configENS1_35radix_sort_onesweep_config_selectorItNS0_10empty_typeEEEZNS1_34radix_sort_onesweep_global_offsetsIS3_Lb0EPKtPS5_mNS0_19identity_decomposerEEE10hipError_tT1_T2_PT3_SF_jT4_jjP12ihipStream_tbEUlT_E0_NS1_11comp_targetILNS1_3genE2ELNS1_11target_archE906ELNS1_3gpuE6ELNS1_3repE0EEENS1_52radix_sort_onesweep_histogram_config_static_selectorELNS0_4arch9wavefront6targetE0EEEvSD_.num_vgpr, 0
	.set _ZN7rocprim17ROCPRIM_400000_NS6detail17trampoline_kernelINS0_14default_configENS1_35radix_sort_onesweep_config_selectorItNS0_10empty_typeEEEZNS1_34radix_sort_onesweep_global_offsetsIS3_Lb0EPKtPS5_mNS0_19identity_decomposerEEE10hipError_tT1_T2_PT3_SF_jT4_jjP12ihipStream_tbEUlT_E0_NS1_11comp_targetILNS1_3genE2ELNS1_11target_archE906ELNS1_3gpuE6ELNS1_3repE0EEENS1_52radix_sort_onesweep_histogram_config_static_selectorELNS0_4arch9wavefront6targetE0EEEvSD_.num_agpr, 0
	.set _ZN7rocprim17ROCPRIM_400000_NS6detail17trampoline_kernelINS0_14default_configENS1_35radix_sort_onesweep_config_selectorItNS0_10empty_typeEEEZNS1_34radix_sort_onesweep_global_offsetsIS3_Lb0EPKtPS5_mNS0_19identity_decomposerEEE10hipError_tT1_T2_PT3_SF_jT4_jjP12ihipStream_tbEUlT_E0_NS1_11comp_targetILNS1_3genE2ELNS1_11target_archE906ELNS1_3gpuE6ELNS1_3repE0EEENS1_52radix_sort_onesweep_histogram_config_static_selectorELNS0_4arch9wavefront6targetE0EEEvSD_.numbered_sgpr, 0
	.set _ZN7rocprim17ROCPRIM_400000_NS6detail17trampoline_kernelINS0_14default_configENS1_35radix_sort_onesweep_config_selectorItNS0_10empty_typeEEEZNS1_34radix_sort_onesweep_global_offsetsIS3_Lb0EPKtPS5_mNS0_19identity_decomposerEEE10hipError_tT1_T2_PT3_SF_jT4_jjP12ihipStream_tbEUlT_E0_NS1_11comp_targetILNS1_3genE2ELNS1_11target_archE906ELNS1_3gpuE6ELNS1_3repE0EEENS1_52radix_sort_onesweep_histogram_config_static_selectorELNS0_4arch9wavefront6targetE0EEEvSD_.num_named_barrier, 0
	.set _ZN7rocprim17ROCPRIM_400000_NS6detail17trampoline_kernelINS0_14default_configENS1_35radix_sort_onesweep_config_selectorItNS0_10empty_typeEEEZNS1_34radix_sort_onesweep_global_offsetsIS3_Lb0EPKtPS5_mNS0_19identity_decomposerEEE10hipError_tT1_T2_PT3_SF_jT4_jjP12ihipStream_tbEUlT_E0_NS1_11comp_targetILNS1_3genE2ELNS1_11target_archE906ELNS1_3gpuE6ELNS1_3repE0EEENS1_52radix_sort_onesweep_histogram_config_static_selectorELNS0_4arch9wavefront6targetE0EEEvSD_.private_seg_size, 0
	.set _ZN7rocprim17ROCPRIM_400000_NS6detail17trampoline_kernelINS0_14default_configENS1_35radix_sort_onesweep_config_selectorItNS0_10empty_typeEEEZNS1_34radix_sort_onesweep_global_offsetsIS3_Lb0EPKtPS5_mNS0_19identity_decomposerEEE10hipError_tT1_T2_PT3_SF_jT4_jjP12ihipStream_tbEUlT_E0_NS1_11comp_targetILNS1_3genE2ELNS1_11target_archE906ELNS1_3gpuE6ELNS1_3repE0EEENS1_52radix_sort_onesweep_histogram_config_static_selectorELNS0_4arch9wavefront6targetE0EEEvSD_.uses_vcc, 0
	.set _ZN7rocprim17ROCPRIM_400000_NS6detail17trampoline_kernelINS0_14default_configENS1_35radix_sort_onesweep_config_selectorItNS0_10empty_typeEEEZNS1_34radix_sort_onesweep_global_offsetsIS3_Lb0EPKtPS5_mNS0_19identity_decomposerEEE10hipError_tT1_T2_PT3_SF_jT4_jjP12ihipStream_tbEUlT_E0_NS1_11comp_targetILNS1_3genE2ELNS1_11target_archE906ELNS1_3gpuE6ELNS1_3repE0EEENS1_52radix_sort_onesweep_histogram_config_static_selectorELNS0_4arch9wavefront6targetE0EEEvSD_.uses_flat_scratch, 0
	.set _ZN7rocprim17ROCPRIM_400000_NS6detail17trampoline_kernelINS0_14default_configENS1_35radix_sort_onesweep_config_selectorItNS0_10empty_typeEEEZNS1_34radix_sort_onesweep_global_offsetsIS3_Lb0EPKtPS5_mNS0_19identity_decomposerEEE10hipError_tT1_T2_PT3_SF_jT4_jjP12ihipStream_tbEUlT_E0_NS1_11comp_targetILNS1_3genE2ELNS1_11target_archE906ELNS1_3gpuE6ELNS1_3repE0EEENS1_52radix_sort_onesweep_histogram_config_static_selectorELNS0_4arch9wavefront6targetE0EEEvSD_.has_dyn_sized_stack, 0
	.set _ZN7rocprim17ROCPRIM_400000_NS6detail17trampoline_kernelINS0_14default_configENS1_35radix_sort_onesweep_config_selectorItNS0_10empty_typeEEEZNS1_34radix_sort_onesweep_global_offsetsIS3_Lb0EPKtPS5_mNS0_19identity_decomposerEEE10hipError_tT1_T2_PT3_SF_jT4_jjP12ihipStream_tbEUlT_E0_NS1_11comp_targetILNS1_3genE2ELNS1_11target_archE906ELNS1_3gpuE6ELNS1_3repE0EEENS1_52radix_sort_onesweep_histogram_config_static_selectorELNS0_4arch9wavefront6targetE0EEEvSD_.has_recursion, 0
	.set _ZN7rocprim17ROCPRIM_400000_NS6detail17trampoline_kernelINS0_14default_configENS1_35radix_sort_onesweep_config_selectorItNS0_10empty_typeEEEZNS1_34radix_sort_onesweep_global_offsetsIS3_Lb0EPKtPS5_mNS0_19identity_decomposerEEE10hipError_tT1_T2_PT3_SF_jT4_jjP12ihipStream_tbEUlT_E0_NS1_11comp_targetILNS1_3genE2ELNS1_11target_archE906ELNS1_3gpuE6ELNS1_3repE0EEENS1_52radix_sort_onesweep_histogram_config_static_selectorELNS0_4arch9wavefront6targetE0EEEvSD_.has_indirect_call, 0
	.section	.AMDGPU.csdata,"",@progbits
; Kernel info:
; codeLenInByte = 0
; TotalNumSgprs: 0
; NumVgprs: 0
; ScratchSize: 0
; MemoryBound: 0
; FloatMode: 240
; IeeeMode: 1
; LDSByteSize: 0 bytes/workgroup (compile time only)
; SGPRBlocks: 0
; VGPRBlocks: 0
; NumSGPRsForWavesPerEU: 1
; NumVGPRsForWavesPerEU: 1
; NamedBarCnt: 0
; Occupancy: 16
; WaveLimiterHint : 0
; COMPUTE_PGM_RSRC2:SCRATCH_EN: 0
; COMPUTE_PGM_RSRC2:USER_SGPR: 2
; COMPUTE_PGM_RSRC2:TRAP_HANDLER: 0
; COMPUTE_PGM_RSRC2:TGID_X_EN: 1
; COMPUTE_PGM_RSRC2:TGID_Y_EN: 0
; COMPUTE_PGM_RSRC2:TGID_Z_EN: 0
; COMPUTE_PGM_RSRC2:TIDIG_COMP_CNT: 0
	.section	.text._ZN7rocprim17ROCPRIM_400000_NS6detail17trampoline_kernelINS0_14default_configENS1_35radix_sort_onesweep_config_selectorItNS0_10empty_typeEEEZNS1_34radix_sort_onesweep_global_offsetsIS3_Lb0EPKtPS5_mNS0_19identity_decomposerEEE10hipError_tT1_T2_PT3_SF_jT4_jjP12ihipStream_tbEUlT_E0_NS1_11comp_targetILNS1_3genE4ELNS1_11target_archE910ELNS1_3gpuE8ELNS1_3repE0EEENS1_52radix_sort_onesweep_histogram_config_static_selectorELNS0_4arch9wavefront6targetE0EEEvSD_,"axG",@progbits,_ZN7rocprim17ROCPRIM_400000_NS6detail17trampoline_kernelINS0_14default_configENS1_35radix_sort_onesweep_config_selectorItNS0_10empty_typeEEEZNS1_34radix_sort_onesweep_global_offsetsIS3_Lb0EPKtPS5_mNS0_19identity_decomposerEEE10hipError_tT1_T2_PT3_SF_jT4_jjP12ihipStream_tbEUlT_E0_NS1_11comp_targetILNS1_3genE4ELNS1_11target_archE910ELNS1_3gpuE8ELNS1_3repE0EEENS1_52radix_sort_onesweep_histogram_config_static_selectorELNS0_4arch9wavefront6targetE0EEEvSD_,comdat
	.protected	_ZN7rocprim17ROCPRIM_400000_NS6detail17trampoline_kernelINS0_14default_configENS1_35radix_sort_onesweep_config_selectorItNS0_10empty_typeEEEZNS1_34radix_sort_onesweep_global_offsetsIS3_Lb0EPKtPS5_mNS0_19identity_decomposerEEE10hipError_tT1_T2_PT3_SF_jT4_jjP12ihipStream_tbEUlT_E0_NS1_11comp_targetILNS1_3genE4ELNS1_11target_archE910ELNS1_3gpuE8ELNS1_3repE0EEENS1_52radix_sort_onesweep_histogram_config_static_selectorELNS0_4arch9wavefront6targetE0EEEvSD_ ; -- Begin function _ZN7rocprim17ROCPRIM_400000_NS6detail17trampoline_kernelINS0_14default_configENS1_35radix_sort_onesweep_config_selectorItNS0_10empty_typeEEEZNS1_34radix_sort_onesweep_global_offsetsIS3_Lb0EPKtPS5_mNS0_19identity_decomposerEEE10hipError_tT1_T2_PT3_SF_jT4_jjP12ihipStream_tbEUlT_E0_NS1_11comp_targetILNS1_3genE4ELNS1_11target_archE910ELNS1_3gpuE8ELNS1_3repE0EEENS1_52radix_sort_onesweep_histogram_config_static_selectorELNS0_4arch9wavefront6targetE0EEEvSD_
	.globl	_ZN7rocprim17ROCPRIM_400000_NS6detail17trampoline_kernelINS0_14default_configENS1_35radix_sort_onesweep_config_selectorItNS0_10empty_typeEEEZNS1_34radix_sort_onesweep_global_offsetsIS3_Lb0EPKtPS5_mNS0_19identity_decomposerEEE10hipError_tT1_T2_PT3_SF_jT4_jjP12ihipStream_tbEUlT_E0_NS1_11comp_targetILNS1_3genE4ELNS1_11target_archE910ELNS1_3gpuE8ELNS1_3repE0EEENS1_52radix_sort_onesweep_histogram_config_static_selectorELNS0_4arch9wavefront6targetE0EEEvSD_
	.p2align	8
	.type	_ZN7rocprim17ROCPRIM_400000_NS6detail17trampoline_kernelINS0_14default_configENS1_35radix_sort_onesweep_config_selectorItNS0_10empty_typeEEEZNS1_34radix_sort_onesweep_global_offsetsIS3_Lb0EPKtPS5_mNS0_19identity_decomposerEEE10hipError_tT1_T2_PT3_SF_jT4_jjP12ihipStream_tbEUlT_E0_NS1_11comp_targetILNS1_3genE4ELNS1_11target_archE910ELNS1_3gpuE8ELNS1_3repE0EEENS1_52radix_sort_onesweep_histogram_config_static_selectorELNS0_4arch9wavefront6targetE0EEEvSD_,@function
_ZN7rocprim17ROCPRIM_400000_NS6detail17trampoline_kernelINS0_14default_configENS1_35radix_sort_onesweep_config_selectorItNS0_10empty_typeEEEZNS1_34radix_sort_onesweep_global_offsetsIS3_Lb0EPKtPS5_mNS0_19identity_decomposerEEE10hipError_tT1_T2_PT3_SF_jT4_jjP12ihipStream_tbEUlT_E0_NS1_11comp_targetILNS1_3genE4ELNS1_11target_archE910ELNS1_3gpuE8ELNS1_3repE0EEENS1_52radix_sort_onesweep_histogram_config_static_selectorELNS0_4arch9wavefront6targetE0EEEvSD_: ; @_ZN7rocprim17ROCPRIM_400000_NS6detail17trampoline_kernelINS0_14default_configENS1_35radix_sort_onesweep_config_selectorItNS0_10empty_typeEEEZNS1_34radix_sort_onesweep_global_offsetsIS3_Lb0EPKtPS5_mNS0_19identity_decomposerEEE10hipError_tT1_T2_PT3_SF_jT4_jjP12ihipStream_tbEUlT_E0_NS1_11comp_targetILNS1_3genE4ELNS1_11target_archE910ELNS1_3gpuE8ELNS1_3repE0EEENS1_52radix_sort_onesweep_histogram_config_static_selectorELNS0_4arch9wavefront6targetE0EEEvSD_
; %bb.0:
	.section	.rodata,"a",@progbits
	.p2align	6, 0x0
	.amdhsa_kernel _ZN7rocprim17ROCPRIM_400000_NS6detail17trampoline_kernelINS0_14default_configENS1_35radix_sort_onesweep_config_selectorItNS0_10empty_typeEEEZNS1_34radix_sort_onesweep_global_offsetsIS3_Lb0EPKtPS5_mNS0_19identity_decomposerEEE10hipError_tT1_T2_PT3_SF_jT4_jjP12ihipStream_tbEUlT_E0_NS1_11comp_targetILNS1_3genE4ELNS1_11target_archE910ELNS1_3gpuE8ELNS1_3repE0EEENS1_52radix_sort_onesweep_histogram_config_static_selectorELNS0_4arch9wavefront6targetE0EEEvSD_
		.amdhsa_group_segment_fixed_size 0
		.amdhsa_private_segment_fixed_size 0
		.amdhsa_kernarg_size 8
		.amdhsa_user_sgpr_count 2
		.amdhsa_user_sgpr_dispatch_ptr 0
		.amdhsa_user_sgpr_queue_ptr 0
		.amdhsa_user_sgpr_kernarg_segment_ptr 1
		.amdhsa_user_sgpr_dispatch_id 0
		.amdhsa_user_sgpr_kernarg_preload_length 0
		.amdhsa_user_sgpr_kernarg_preload_offset 0
		.amdhsa_user_sgpr_private_segment_size 0
		.amdhsa_wavefront_size32 1
		.amdhsa_uses_dynamic_stack 0
		.amdhsa_enable_private_segment 0
		.amdhsa_system_sgpr_workgroup_id_x 1
		.amdhsa_system_sgpr_workgroup_id_y 0
		.amdhsa_system_sgpr_workgroup_id_z 0
		.amdhsa_system_sgpr_workgroup_info 0
		.amdhsa_system_vgpr_workitem_id 0
		.amdhsa_next_free_vgpr 1
		.amdhsa_next_free_sgpr 1
		.amdhsa_named_barrier_count 0
		.amdhsa_reserve_vcc 0
		.amdhsa_float_round_mode_32 0
		.amdhsa_float_round_mode_16_64 0
		.amdhsa_float_denorm_mode_32 3
		.amdhsa_float_denorm_mode_16_64 3
		.amdhsa_fp16_overflow 0
		.amdhsa_memory_ordered 1
		.amdhsa_forward_progress 1
		.amdhsa_inst_pref_size 0
		.amdhsa_round_robin_scheduling 0
		.amdhsa_exception_fp_ieee_invalid_op 0
		.amdhsa_exception_fp_denorm_src 0
		.amdhsa_exception_fp_ieee_div_zero 0
		.amdhsa_exception_fp_ieee_overflow 0
		.amdhsa_exception_fp_ieee_underflow 0
		.amdhsa_exception_fp_ieee_inexact 0
		.amdhsa_exception_int_div_zero 0
	.end_amdhsa_kernel
	.section	.text._ZN7rocprim17ROCPRIM_400000_NS6detail17trampoline_kernelINS0_14default_configENS1_35radix_sort_onesweep_config_selectorItNS0_10empty_typeEEEZNS1_34radix_sort_onesweep_global_offsetsIS3_Lb0EPKtPS5_mNS0_19identity_decomposerEEE10hipError_tT1_T2_PT3_SF_jT4_jjP12ihipStream_tbEUlT_E0_NS1_11comp_targetILNS1_3genE4ELNS1_11target_archE910ELNS1_3gpuE8ELNS1_3repE0EEENS1_52radix_sort_onesweep_histogram_config_static_selectorELNS0_4arch9wavefront6targetE0EEEvSD_,"axG",@progbits,_ZN7rocprim17ROCPRIM_400000_NS6detail17trampoline_kernelINS0_14default_configENS1_35radix_sort_onesweep_config_selectorItNS0_10empty_typeEEEZNS1_34radix_sort_onesweep_global_offsetsIS3_Lb0EPKtPS5_mNS0_19identity_decomposerEEE10hipError_tT1_T2_PT3_SF_jT4_jjP12ihipStream_tbEUlT_E0_NS1_11comp_targetILNS1_3genE4ELNS1_11target_archE910ELNS1_3gpuE8ELNS1_3repE0EEENS1_52radix_sort_onesweep_histogram_config_static_selectorELNS0_4arch9wavefront6targetE0EEEvSD_,comdat
.Lfunc_end2492:
	.size	_ZN7rocprim17ROCPRIM_400000_NS6detail17trampoline_kernelINS0_14default_configENS1_35radix_sort_onesweep_config_selectorItNS0_10empty_typeEEEZNS1_34radix_sort_onesweep_global_offsetsIS3_Lb0EPKtPS5_mNS0_19identity_decomposerEEE10hipError_tT1_T2_PT3_SF_jT4_jjP12ihipStream_tbEUlT_E0_NS1_11comp_targetILNS1_3genE4ELNS1_11target_archE910ELNS1_3gpuE8ELNS1_3repE0EEENS1_52radix_sort_onesweep_histogram_config_static_selectorELNS0_4arch9wavefront6targetE0EEEvSD_, .Lfunc_end2492-_ZN7rocprim17ROCPRIM_400000_NS6detail17trampoline_kernelINS0_14default_configENS1_35radix_sort_onesweep_config_selectorItNS0_10empty_typeEEEZNS1_34radix_sort_onesweep_global_offsetsIS3_Lb0EPKtPS5_mNS0_19identity_decomposerEEE10hipError_tT1_T2_PT3_SF_jT4_jjP12ihipStream_tbEUlT_E0_NS1_11comp_targetILNS1_3genE4ELNS1_11target_archE910ELNS1_3gpuE8ELNS1_3repE0EEENS1_52radix_sort_onesweep_histogram_config_static_selectorELNS0_4arch9wavefront6targetE0EEEvSD_
                                        ; -- End function
	.set _ZN7rocprim17ROCPRIM_400000_NS6detail17trampoline_kernelINS0_14default_configENS1_35radix_sort_onesweep_config_selectorItNS0_10empty_typeEEEZNS1_34radix_sort_onesweep_global_offsetsIS3_Lb0EPKtPS5_mNS0_19identity_decomposerEEE10hipError_tT1_T2_PT3_SF_jT4_jjP12ihipStream_tbEUlT_E0_NS1_11comp_targetILNS1_3genE4ELNS1_11target_archE910ELNS1_3gpuE8ELNS1_3repE0EEENS1_52radix_sort_onesweep_histogram_config_static_selectorELNS0_4arch9wavefront6targetE0EEEvSD_.num_vgpr, 0
	.set _ZN7rocprim17ROCPRIM_400000_NS6detail17trampoline_kernelINS0_14default_configENS1_35radix_sort_onesweep_config_selectorItNS0_10empty_typeEEEZNS1_34radix_sort_onesweep_global_offsetsIS3_Lb0EPKtPS5_mNS0_19identity_decomposerEEE10hipError_tT1_T2_PT3_SF_jT4_jjP12ihipStream_tbEUlT_E0_NS1_11comp_targetILNS1_3genE4ELNS1_11target_archE910ELNS1_3gpuE8ELNS1_3repE0EEENS1_52radix_sort_onesweep_histogram_config_static_selectorELNS0_4arch9wavefront6targetE0EEEvSD_.num_agpr, 0
	.set _ZN7rocprim17ROCPRIM_400000_NS6detail17trampoline_kernelINS0_14default_configENS1_35radix_sort_onesweep_config_selectorItNS0_10empty_typeEEEZNS1_34radix_sort_onesweep_global_offsetsIS3_Lb0EPKtPS5_mNS0_19identity_decomposerEEE10hipError_tT1_T2_PT3_SF_jT4_jjP12ihipStream_tbEUlT_E0_NS1_11comp_targetILNS1_3genE4ELNS1_11target_archE910ELNS1_3gpuE8ELNS1_3repE0EEENS1_52radix_sort_onesweep_histogram_config_static_selectorELNS0_4arch9wavefront6targetE0EEEvSD_.numbered_sgpr, 0
	.set _ZN7rocprim17ROCPRIM_400000_NS6detail17trampoline_kernelINS0_14default_configENS1_35radix_sort_onesweep_config_selectorItNS0_10empty_typeEEEZNS1_34radix_sort_onesweep_global_offsetsIS3_Lb0EPKtPS5_mNS0_19identity_decomposerEEE10hipError_tT1_T2_PT3_SF_jT4_jjP12ihipStream_tbEUlT_E0_NS1_11comp_targetILNS1_3genE4ELNS1_11target_archE910ELNS1_3gpuE8ELNS1_3repE0EEENS1_52radix_sort_onesweep_histogram_config_static_selectorELNS0_4arch9wavefront6targetE0EEEvSD_.num_named_barrier, 0
	.set _ZN7rocprim17ROCPRIM_400000_NS6detail17trampoline_kernelINS0_14default_configENS1_35radix_sort_onesweep_config_selectorItNS0_10empty_typeEEEZNS1_34radix_sort_onesweep_global_offsetsIS3_Lb0EPKtPS5_mNS0_19identity_decomposerEEE10hipError_tT1_T2_PT3_SF_jT4_jjP12ihipStream_tbEUlT_E0_NS1_11comp_targetILNS1_3genE4ELNS1_11target_archE910ELNS1_3gpuE8ELNS1_3repE0EEENS1_52radix_sort_onesweep_histogram_config_static_selectorELNS0_4arch9wavefront6targetE0EEEvSD_.private_seg_size, 0
	.set _ZN7rocprim17ROCPRIM_400000_NS6detail17trampoline_kernelINS0_14default_configENS1_35radix_sort_onesweep_config_selectorItNS0_10empty_typeEEEZNS1_34radix_sort_onesweep_global_offsetsIS3_Lb0EPKtPS5_mNS0_19identity_decomposerEEE10hipError_tT1_T2_PT3_SF_jT4_jjP12ihipStream_tbEUlT_E0_NS1_11comp_targetILNS1_3genE4ELNS1_11target_archE910ELNS1_3gpuE8ELNS1_3repE0EEENS1_52radix_sort_onesweep_histogram_config_static_selectorELNS0_4arch9wavefront6targetE0EEEvSD_.uses_vcc, 0
	.set _ZN7rocprim17ROCPRIM_400000_NS6detail17trampoline_kernelINS0_14default_configENS1_35radix_sort_onesweep_config_selectorItNS0_10empty_typeEEEZNS1_34radix_sort_onesweep_global_offsetsIS3_Lb0EPKtPS5_mNS0_19identity_decomposerEEE10hipError_tT1_T2_PT3_SF_jT4_jjP12ihipStream_tbEUlT_E0_NS1_11comp_targetILNS1_3genE4ELNS1_11target_archE910ELNS1_3gpuE8ELNS1_3repE0EEENS1_52radix_sort_onesweep_histogram_config_static_selectorELNS0_4arch9wavefront6targetE0EEEvSD_.uses_flat_scratch, 0
	.set _ZN7rocprim17ROCPRIM_400000_NS6detail17trampoline_kernelINS0_14default_configENS1_35radix_sort_onesweep_config_selectorItNS0_10empty_typeEEEZNS1_34radix_sort_onesweep_global_offsetsIS3_Lb0EPKtPS5_mNS0_19identity_decomposerEEE10hipError_tT1_T2_PT3_SF_jT4_jjP12ihipStream_tbEUlT_E0_NS1_11comp_targetILNS1_3genE4ELNS1_11target_archE910ELNS1_3gpuE8ELNS1_3repE0EEENS1_52radix_sort_onesweep_histogram_config_static_selectorELNS0_4arch9wavefront6targetE0EEEvSD_.has_dyn_sized_stack, 0
	.set _ZN7rocprim17ROCPRIM_400000_NS6detail17trampoline_kernelINS0_14default_configENS1_35radix_sort_onesweep_config_selectorItNS0_10empty_typeEEEZNS1_34radix_sort_onesweep_global_offsetsIS3_Lb0EPKtPS5_mNS0_19identity_decomposerEEE10hipError_tT1_T2_PT3_SF_jT4_jjP12ihipStream_tbEUlT_E0_NS1_11comp_targetILNS1_3genE4ELNS1_11target_archE910ELNS1_3gpuE8ELNS1_3repE0EEENS1_52radix_sort_onesweep_histogram_config_static_selectorELNS0_4arch9wavefront6targetE0EEEvSD_.has_recursion, 0
	.set _ZN7rocprim17ROCPRIM_400000_NS6detail17trampoline_kernelINS0_14default_configENS1_35radix_sort_onesweep_config_selectorItNS0_10empty_typeEEEZNS1_34radix_sort_onesweep_global_offsetsIS3_Lb0EPKtPS5_mNS0_19identity_decomposerEEE10hipError_tT1_T2_PT3_SF_jT4_jjP12ihipStream_tbEUlT_E0_NS1_11comp_targetILNS1_3genE4ELNS1_11target_archE910ELNS1_3gpuE8ELNS1_3repE0EEENS1_52radix_sort_onesweep_histogram_config_static_selectorELNS0_4arch9wavefront6targetE0EEEvSD_.has_indirect_call, 0
	.section	.AMDGPU.csdata,"",@progbits
; Kernel info:
; codeLenInByte = 0
; TotalNumSgprs: 0
; NumVgprs: 0
; ScratchSize: 0
; MemoryBound: 0
; FloatMode: 240
; IeeeMode: 1
; LDSByteSize: 0 bytes/workgroup (compile time only)
; SGPRBlocks: 0
; VGPRBlocks: 0
; NumSGPRsForWavesPerEU: 1
; NumVGPRsForWavesPerEU: 1
; NamedBarCnt: 0
; Occupancy: 16
; WaveLimiterHint : 0
; COMPUTE_PGM_RSRC2:SCRATCH_EN: 0
; COMPUTE_PGM_RSRC2:USER_SGPR: 2
; COMPUTE_PGM_RSRC2:TRAP_HANDLER: 0
; COMPUTE_PGM_RSRC2:TGID_X_EN: 1
; COMPUTE_PGM_RSRC2:TGID_Y_EN: 0
; COMPUTE_PGM_RSRC2:TGID_Z_EN: 0
; COMPUTE_PGM_RSRC2:TIDIG_COMP_CNT: 0
	.section	.text._ZN7rocprim17ROCPRIM_400000_NS6detail17trampoline_kernelINS0_14default_configENS1_35radix_sort_onesweep_config_selectorItNS0_10empty_typeEEEZNS1_34radix_sort_onesweep_global_offsetsIS3_Lb0EPKtPS5_mNS0_19identity_decomposerEEE10hipError_tT1_T2_PT3_SF_jT4_jjP12ihipStream_tbEUlT_E0_NS1_11comp_targetILNS1_3genE3ELNS1_11target_archE908ELNS1_3gpuE7ELNS1_3repE0EEENS1_52radix_sort_onesweep_histogram_config_static_selectorELNS0_4arch9wavefront6targetE0EEEvSD_,"axG",@progbits,_ZN7rocprim17ROCPRIM_400000_NS6detail17trampoline_kernelINS0_14default_configENS1_35radix_sort_onesweep_config_selectorItNS0_10empty_typeEEEZNS1_34radix_sort_onesweep_global_offsetsIS3_Lb0EPKtPS5_mNS0_19identity_decomposerEEE10hipError_tT1_T2_PT3_SF_jT4_jjP12ihipStream_tbEUlT_E0_NS1_11comp_targetILNS1_3genE3ELNS1_11target_archE908ELNS1_3gpuE7ELNS1_3repE0EEENS1_52radix_sort_onesweep_histogram_config_static_selectorELNS0_4arch9wavefront6targetE0EEEvSD_,comdat
	.protected	_ZN7rocprim17ROCPRIM_400000_NS6detail17trampoline_kernelINS0_14default_configENS1_35radix_sort_onesweep_config_selectorItNS0_10empty_typeEEEZNS1_34radix_sort_onesweep_global_offsetsIS3_Lb0EPKtPS5_mNS0_19identity_decomposerEEE10hipError_tT1_T2_PT3_SF_jT4_jjP12ihipStream_tbEUlT_E0_NS1_11comp_targetILNS1_3genE3ELNS1_11target_archE908ELNS1_3gpuE7ELNS1_3repE0EEENS1_52radix_sort_onesweep_histogram_config_static_selectorELNS0_4arch9wavefront6targetE0EEEvSD_ ; -- Begin function _ZN7rocprim17ROCPRIM_400000_NS6detail17trampoline_kernelINS0_14default_configENS1_35radix_sort_onesweep_config_selectorItNS0_10empty_typeEEEZNS1_34radix_sort_onesweep_global_offsetsIS3_Lb0EPKtPS5_mNS0_19identity_decomposerEEE10hipError_tT1_T2_PT3_SF_jT4_jjP12ihipStream_tbEUlT_E0_NS1_11comp_targetILNS1_3genE3ELNS1_11target_archE908ELNS1_3gpuE7ELNS1_3repE0EEENS1_52radix_sort_onesweep_histogram_config_static_selectorELNS0_4arch9wavefront6targetE0EEEvSD_
	.globl	_ZN7rocprim17ROCPRIM_400000_NS6detail17trampoline_kernelINS0_14default_configENS1_35radix_sort_onesweep_config_selectorItNS0_10empty_typeEEEZNS1_34radix_sort_onesweep_global_offsetsIS3_Lb0EPKtPS5_mNS0_19identity_decomposerEEE10hipError_tT1_T2_PT3_SF_jT4_jjP12ihipStream_tbEUlT_E0_NS1_11comp_targetILNS1_3genE3ELNS1_11target_archE908ELNS1_3gpuE7ELNS1_3repE0EEENS1_52radix_sort_onesweep_histogram_config_static_selectorELNS0_4arch9wavefront6targetE0EEEvSD_
	.p2align	8
	.type	_ZN7rocprim17ROCPRIM_400000_NS6detail17trampoline_kernelINS0_14default_configENS1_35radix_sort_onesweep_config_selectorItNS0_10empty_typeEEEZNS1_34radix_sort_onesweep_global_offsetsIS3_Lb0EPKtPS5_mNS0_19identity_decomposerEEE10hipError_tT1_T2_PT3_SF_jT4_jjP12ihipStream_tbEUlT_E0_NS1_11comp_targetILNS1_3genE3ELNS1_11target_archE908ELNS1_3gpuE7ELNS1_3repE0EEENS1_52radix_sort_onesweep_histogram_config_static_selectorELNS0_4arch9wavefront6targetE0EEEvSD_,@function
_ZN7rocprim17ROCPRIM_400000_NS6detail17trampoline_kernelINS0_14default_configENS1_35radix_sort_onesweep_config_selectorItNS0_10empty_typeEEEZNS1_34radix_sort_onesweep_global_offsetsIS3_Lb0EPKtPS5_mNS0_19identity_decomposerEEE10hipError_tT1_T2_PT3_SF_jT4_jjP12ihipStream_tbEUlT_E0_NS1_11comp_targetILNS1_3genE3ELNS1_11target_archE908ELNS1_3gpuE7ELNS1_3repE0EEENS1_52radix_sort_onesweep_histogram_config_static_selectorELNS0_4arch9wavefront6targetE0EEEvSD_: ; @_ZN7rocprim17ROCPRIM_400000_NS6detail17trampoline_kernelINS0_14default_configENS1_35radix_sort_onesweep_config_selectorItNS0_10empty_typeEEEZNS1_34radix_sort_onesweep_global_offsetsIS3_Lb0EPKtPS5_mNS0_19identity_decomposerEEE10hipError_tT1_T2_PT3_SF_jT4_jjP12ihipStream_tbEUlT_E0_NS1_11comp_targetILNS1_3genE3ELNS1_11target_archE908ELNS1_3gpuE7ELNS1_3repE0EEENS1_52radix_sort_onesweep_histogram_config_static_selectorELNS0_4arch9wavefront6targetE0EEEvSD_
; %bb.0:
	.section	.rodata,"a",@progbits
	.p2align	6, 0x0
	.amdhsa_kernel _ZN7rocprim17ROCPRIM_400000_NS6detail17trampoline_kernelINS0_14default_configENS1_35radix_sort_onesweep_config_selectorItNS0_10empty_typeEEEZNS1_34radix_sort_onesweep_global_offsetsIS3_Lb0EPKtPS5_mNS0_19identity_decomposerEEE10hipError_tT1_T2_PT3_SF_jT4_jjP12ihipStream_tbEUlT_E0_NS1_11comp_targetILNS1_3genE3ELNS1_11target_archE908ELNS1_3gpuE7ELNS1_3repE0EEENS1_52radix_sort_onesweep_histogram_config_static_selectorELNS0_4arch9wavefront6targetE0EEEvSD_
		.amdhsa_group_segment_fixed_size 0
		.amdhsa_private_segment_fixed_size 0
		.amdhsa_kernarg_size 8
		.amdhsa_user_sgpr_count 2
		.amdhsa_user_sgpr_dispatch_ptr 0
		.amdhsa_user_sgpr_queue_ptr 0
		.amdhsa_user_sgpr_kernarg_segment_ptr 1
		.amdhsa_user_sgpr_dispatch_id 0
		.amdhsa_user_sgpr_kernarg_preload_length 0
		.amdhsa_user_sgpr_kernarg_preload_offset 0
		.amdhsa_user_sgpr_private_segment_size 0
		.amdhsa_wavefront_size32 1
		.amdhsa_uses_dynamic_stack 0
		.amdhsa_enable_private_segment 0
		.amdhsa_system_sgpr_workgroup_id_x 1
		.amdhsa_system_sgpr_workgroup_id_y 0
		.amdhsa_system_sgpr_workgroup_id_z 0
		.amdhsa_system_sgpr_workgroup_info 0
		.amdhsa_system_vgpr_workitem_id 0
		.amdhsa_next_free_vgpr 1
		.amdhsa_next_free_sgpr 1
		.amdhsa_named_barrier_count 0
		.amdhsa_reserve_vcc 0
		.amdhsa_float_round_mode_32 0
		.amdhsa_float_round_mode_16_64 0
		.amdhsa_float_denorm_mode_32 3
		.amdhsa_float_denorm_mode_16_64 3
		.amdhsa_fp16_overflow 0
		.amdhsa_memory_ordered 1
		.amdhsa_forward_progress 1
		.amdhsa_inst_pref_size 0
		.amdhsa_round_robin_scheduling 0
		.amdhsa_exception_fp_ieee_invalid_op 0
		.amdhsa_exception_fp_denorm_src 0
		.amdhsa_exception_fp_ieee_div_zero 0
		.amdhsa_exception_fp_ieee_overflow 0
		.amdhsa_exception_fp_ieee_underflow 0
		.amdhsa_exception_fp_ieee_inexact 0
		.amdhsa_exception_int_div_zero 0
	.end_amdhsa_kernel
	.section	.text._ZN7rocprim17ROCPRIM_400000_NS6detail17trampoline_kernelINS0_14default_configENS1_35radix_sort_onesweep_config_selectorItNS0_10empty_typeEEEZNS1_34radix_sort_onesweep_global_offsetsIS3_Lb0EPKtPS5_mNS0_19identity_decomposerEEE10hipError_tT1_T2_PT3_SF_jT4_jjP12ihipStream_tbEUlT_E0_NS1_11comp_targetILNS1_3genE3ELNS1_11target_archE908ELNS1_3gpuE7ELNS1_3repE0EEENS1_52radix_sort_onesweep_histogram_config_static_selectorELNS0_4arch9wavefront6targetE0EEEvSD_,"axG",@progbits,_ZN7rocprim17ROCPRIM_400000_NS6detail17trampoline_kernelINS0_14default_configENS1_35radix_sort_onesweep_config_selectorItNS0_10empty_typeEEEZNS1_34radix_sort_onesweep_global_offsetsIS3_Lb0EPKtPS5_mNS0_19identity_decomposerEEE10hipError_tT1_T2_PT3_SF_jT4_jjP12ihipStream_tbEUlT_E0_NS1_11comp_targetILNS1_3genE3ELNS1_11target_archE908ELNS1_3gpuE7ELNS1_3repE0EEENS1_52radix_sort_onesweep_histogram_config_static_selectorELNS0_4arch9wavefront6targetE0EEEvSD_,comdat
.Lfunc_end2493:
	.size	_ZN7rocprim17ROCPRIM_400000_NS6detail17trampoline_kernelINS0_14default_configENS1_35radix_sort_onesweep_config_selectorItNS0_10empty_typeEEEZNS1_34radix_sort_onesweep_global_offsetsIS3_Lb0EPKtPS5_mNS0_19identity_decomposerEEE10hipError_tT1_T2_PT3_SF_jT4_jjP12ihipStream_tbEUlT_E0_NS1_11comp_targetILNS1_3genE3ELNS1_11target_archE908ELNS1_3gpuE7ELNS1_3repE0EEENS1_52radix_sort_onesweep_histogram_config_static_selectorELNS0_4arch9wavefront6targetE0EEEvSD_, .Lfunc_end2493-_ZN7rocprim17ROCPRIM_400000_NS6detail17trampoline_kernelINS0_14default_configENS1_35radix_sort_onesweep_config_selectorItNS0_10empty_typeEEEZNS1_34radix_sort_onesweep_global_offsetsIS3_Lb0EPKtPS5_mNS0_19identity_decomposerEEE10hipError_tT1_T2_PT3_SF_jT4_jjP12ihipStream_tbEUlT_E0_NS1_11comp_targetILNS1_3genE3ELNS1_11target_archE908ELNS1_3gpuE7ELNS1_3repE0EEENS1_52radix_sort_onesweep_histogram_config_static_selectorELNS0_4arch9wavefront6targetE0EEEvSD_
                                        ; -- End function
	.set _ZN7rocprim17ROCPRIM_400000_NS6detail17trampoline_kernelINS0_14default_configENS1_35radix_sort_onesweep_config_selectorItNS0_10empty_typeEEEZNS1_34radix_sort_onesweep_global_offsetsIS3_Lb0EPKtPS5_mNS0_19identity_decomposerEEE10hipError_tT1_T2_PT3_SF_jT4_jjP12ihipStream_tbEUlT_E0_NS1_11comp_targetILNS1_3genE3ELNS1_11target_archE908ELNS1_3gpuE7ELNS1_3repE0EEENS1_52radix_sort_onesweep_histogram_config_static_selectorELNS0_4arch9wavefront6targetE0EEEvSD_.num_vgpr, 0
	.set _ZN7rocprim17ROCPRIM_400000_NS6detail17trampoline_kernelINS0_14default_configENS1_35radix_sort_onesweep_config_selectorItNS0_10empty_typeEEEZNS1_34radix_sort_onesweep_global_offsetsIS3_Lb0EPKtPS5_mNS0_19identity_decomposerEEE10hipError_tT1_T2_PT3_SF_jT4_jjP12ihipStream_tbEUlT_E0_NS1_11comp_targetILNS1_3genE3ELNS1_11target_archE908ELNS1_3gpuE7ELNS1_3repE0EEENS1_52radix_sort_onesweep_histogram_config_static_selectorELNS0_4arch9wavefront6targetE0EEEvSD_.num_agpr, 0
	.set _ZN7rocprim17ROCPRIM_400000_NS6detail17trampoline_kernelINS0_14default_configENS1_35radix_sort_onesweep_config_selectorItNS0_10empty_typeEEEZNS1_34radix_sort_onesweep_global_offsetsIS3_Lb0EPKtPS5_mNS0_19identity_decomposerEEE10hipError_tT1_T2_PT3_SF_jT4_jjP12ihipStream_tbEUlT_E0_NS1_11comp_targetILNS1_3genE3ELNS1_11target_archE908ELNS1_3gpuE7ELNS1_3repE0EEENS1_52radix_sort_onesweep_histogram_config_static_selectorELNS0_4arch9wavefront6targetE0EEEvSD_.numbered_sgpr, 0
	.set _ZN7rocprim17ROCPRIM_400000_NS6detail17trampoline_kernelINS0_14default_configENS1_35radix_sort_onesweep_config_selectorItNS0_10empty_typeEEEZNS1_34radix_sort_onesweep_global_offsetsIS3_Lb0EPKtPS5_mNS0_19identity_decomposerEEE10hipError_tT1_T2_PT3_SF_jT4_jjP12ihipStream_tbEUlT_E0_NS1_11comp_targetILNS1_3genE3ELNS1_11target_archE908ELNS1_3gpuE7ELNS1_3repE0EEENS1_52radix_sort_onesweep_histogram_config_static_selectorELNS0_4arch9wavefront6targetE0EEEvSD_.num_named_barrier, 0
	.set _ZN7rocprim17ROCPRIM_400000_NS6detail17trampoline_kernelINS0_14default_configENS1_35radix_sort_onesweep_config_selectorItNS0_10empty_typeEEEZNS1_34radix_sort_onesweep_global_offsetsIS3_Lb0EPKtPS5_mNS0_19identity_decomposerEEE10hipError_tT1_T2_PT3_SF_jT4_jjP12ihipStream_tbEUlT_E0_NS1_11comp_targetILNS1_3genE3ELNS1_11target_archE908ELNS1_3gpuE7ELNS1_3repE0EEENS1_52radix_sort_onesweep_histogram_config_static_selectorELNS0_4arch9wavefront6targetE0EEEvSD_.private_seg_size, 0
	.set _ZN7rocprim17ROCPRIM_400000_NS6detail17trampoline_kernelINS0_14default_configENS1_35radix_sort_onesweep_config_selectorItNS0_10empty_typeEEEZNS1_34radix_sort_onesweep_global_offsetsIS3_Lb0EPKtPS5_mNS0_19identity_decomposerEEE10hipError_tT1_T2_PT3_SF_jT4_jjP12ihipStream_tbEUlT_E0_NS1_11comp_targetILNS1_3genE3ELNS1_11target_archE908ELNS1_3gpuE7ELNS1_3repE0EEENS1_52radix_sort_onesweep_histogram_config_static_selectorELNS0_4arch9wavefront6targetE0EEEvSD_.uses_vcc, 0
	.set _ZN7rocprim17ROCPRIM_400000_NS6detail17trampoline_kernelINS0_14default_configENS1_35radix_sort_onesweep_config_selectorItNS0_10empty_typeEEEZNS1_34radix_sort_onesweep_global_offsetsIS3_Lb0EPKtPS5_mNS0_19identity_decomposerEEE10hipError_tT1_T2_PT3_SF_jT4_jjP12ihipStream_tbEUlT_E0_NS1_11comp_targetILNS1_3genE3ELNS1_11target_archE908ELNS1_3gpuE7ELNS1_3repE0EEENS1_52radix_sort_onesweep_histogram_config_static_selectorELNS0_4arch9wavefront6targetE0EEEvSD_.uses_flat_scratch, 0
	.set _ZN7rocprim17ROCPRIM_400000_NS6detail17trampoline_kernelINS0_14default_configENS1_35radix_sort_onesweep_config_selectorItNS0_10empty_typeEEEZNS1_34radix_sort_onesweep_global_offsetsIS3_Lb0EPKtPS5_mNS0_19identity_decomposerEEE10hipError_tT1_T2_PT3_SF_jT4_jjP12ihipStream_tbEUlT_E0_NS1_11comp_targetILNS1_3genE3ELNS1_11target_archE908ELNS1_3gpuE7ELNS1_3repE0EEENS1_52radix_sort_onesweep_histogram_config_static_selectorELNS0_4arch9wavefront6targetE0EEEvSD_.has_dyn_sized_stack, 0
	.set _ZN7rocprim17ROCPRIM_400000_NS6detail17trampoline_kernelINS0_14default_configENS1_35radix_sort_onesweep_config_selectorItNS0_10empty_typeEEEZNS1_34radix_sort_onesweep_global_offsetsIS3_Lb0EPKtPS5_mNS0_19identity_decomposerEEE10hipError_tT1_T2_PT3_SF_jT4_jjP12ihipStream_tbEUlT_E0_NS1_11comp_targetILNS1_3genE3ELNS1_11target_archE908ELNS1_3gpuE7ELNS1_3repE0EEENS1_52radix_sort_onesweep_histogram_config_static_selectorELNS0_4arch9wavefront6targetE0EEEvSD_.has_recursion, 0
	.set _ZN7rocprim17ROCPRIM_400000_NS6detail17trampoline_kernelINS0_14default_configENS1_35radix_sort_onesweep_config_selectorItNS0_10empty_typeEEEZNS1_34radix_sort_onesweep_global_offsetsIS3_Lb0EPKtPS5_mNS0_19identity_decomposerEEE10hipError_tT1_T2_PT3_SF_jT4_jjP12ihipStream_tbEUlT_E0_NS1_11comp_targetILNS1_3genE3ELNS1_11target_archE908ELNS1_3gpuE7ELNS1_3repE0EEENS1_52radix_sort_onesweep_histogram_config_static_selectorELNS0_4arch9wavefront6targetE0EEEvSD_.has_indirect_call, 0
	.section	.AMDGPU.csdata,"",@progbits
; Kernel info:
; codeLenInByte = 0
; TotalNumSgprs: 0
; NumVgprs: 0
; ScratchSize: 0
; MemoryBound: 0
; FloatMode: 240
; IeeeMode: 1
; LDSByteSize: 0 bytes/workgroup (compile time only)
; SGPRBlocks: 0
; VGPRBlocks: 0
; NumSGPRsForWavesPerEU: 1
; NumVGPRsForWavesPerEU: 1
; NamedBarCnt: 0
; Occupancy: 16
; WaveLimiterHint : 0
; COMPUTE_PGM_RSRC2:SCRATCH_EN: 0
; COMPUTE_PGM_RSRC2:USER_SGPR: 2
; COMPUTE_PGM_RSRC2:TRAP_HANDLER: 0
; COMPUTE_PGM_RSRC2:TGID_X_EN: 1
; COMPUTE_PGM_RSRC2:TGID_Y_EN: 0
; COMPUTE_PGM_RSRC2:TGID_Z_EN: 0
; COMPUTE_PGM_RSRC2:TIDIG_COMP_CNT: 0
	.section	.text._ZN7rocprim17ROCPRIM_400000_NS6detail17trampoline_kernelINS0_14default_configENS1_35radix_sort_onesweep_config_selectorItNS0_10empty_typeEEEZNS1_34radix_sort_onesweep_global_offsetsIS3_Lb0EPKtPS5_mNS0_19identity_decomposerEEE10hipError_tT1_T2_PT3_SF_jT4_jjP12ihipStream_tbEUlT_E0_NS1_11comp_targetILNS1_3genE10ELNS1_11target_archE1201ELNS1_3gpuE5ELNS1_3repE0EEENS1_52radix_sort_onesweep_histogram_config_static_selectorELNS0_4arch9wavefront6targetE0EEEvSD_,"axG",@progbits,_ZN7rocprim17ROCPRIM_400000_NS6detail17trampoline_kernelINS0_14default_configENS1_35radix_sort_onesweep_config_selectorItNS0_10empty_typeEEEZNS1_34radix_sort_onesweep_global_offsetsIS3_Lb0EPKtPS5_mNS0_19identity_decomposerEEE10hipError_tT1_T2_PT3_SF_jT4_jjP12ihipStream_tbEUlT_E0_NS1_11comp_targetILNS1_3genE10ELNS1_11target_archE1201ELNS1_3gpuE5ELNS1_3repE0EEENS1_52radix_sort_onesweep_histogram_config_static_selectorELNS0_4arch9wavefront6targetE0EEEvSD_,comdat
	.protected	_ZN7rocprim17ROCPRIM_400000_NS6detail17trampoline_kernelINS0_14default_configENS1_35radix_sort_onesweep_config_selectorItNS0_10empty_typeEEEZNS1_34radix_sort_onesweep_global_offsetsIS3_Lb0EPKtPS5_mNS0_19identity_decomposerEEE10hipError_tT1_T2_PT3_SF_jT4_jjP12ihipStream_tbEUlT_E0_NS1_11comp_targetILNS1_3genE10ELNS1_11target_archE1201ELNS1_3gpuE5ELNS1_3repE0EEENS1_52radix_sort_onesweep_histogram_config_static_selectorELNS0_4arch9wavefront6targetE0EEEvSD_ ; -- Begin function _ZN7rocprim17ROCPRIM_400000_NS6detail17trampoline_kernelINS0_14default_configENS1_35radix_sort_onesweep_config_selectorItNS0_10empty_typeEEEZNS1_34radix_sort_onesweep_global_offsetsIS3_Lb0EPKtPS5_mNS0_19identity_decomposerEEE10hipError_tT1_T2_PT3_SF_jT4_jjP12ihipStream_tbEUlT_E0_NS1_11comp_targetILNS1_3genE10ELNS1_11target_archE1201ELNS1_3gpuE5ELNS1_3repE0EEENS1_52radix_sort_onesweep_histogram_config_static_selectorELNS0_4arch9wavefront6targetE0EEEvSD_
	.globl	_ZN7rocprim17ROCPRIM_400000_NS6detail17trampoline_kernelINS0_14default_configENS1_35radix_sort_onesweep_config_selectorItNS0_10empty_typeEEEZNS1_34radix_sort_onesweep_global_offsetsIS3_Lb0EPKtPS5_mNS0_19identity_decomposerEEE10hipError_tT1_T2_PT3_SF_jT4_jjP12ihipStream_tbEUlT_E0_NS1_11comp_targetILNS1_3genE10ELNS1_11target_archE1201ELNS1_3gpuE5ELNS1_3repE0EEENS1_52radix_sort_onesweep_histogram_config_static_selectorELNS0_4arch9wavefront6targetE0EEEvSD_
	.p2align	8
	.type	_ZN7rocprim17ROCPRIM_400000_NS6detail17trampoline_kernelINS0_14default_configENS1_35radix_sort_onesweep_config_selectorItNS0_10empty_typeEEEZNS1_34radix_sort_onesweep_global_offsetsIS3_Lb0EPKtPS5_mNS0_19identity_decomposerEEE10hipError_tT1_T2_PT3_SF_jT4_jjP12ihipStream_tbEUlT_E0_NS1_11comp_targetILNS1_3genE10ELNS1_11target_archE1201ELNS1_3gpuE5ELNS1_3repE0EEENS1_52radix_sort_onesweep_histogram_config_static_selectorELNS0_4arch9wavefront6targetE0EEEvSD_,@function
_ZN7rocprim17ROCPRIM_400000_NS6detail17trampoline_kernelINS0_14default_configENS1_35radix_sort_onesweep_config_selectorItNS0_10empty_typeEEEZNS1_34radix_sort_onesweep_global_offsetsIS3_Lb0EPKtPS5_mNS0_19identity_decomposerEEE10hipError_tT1_T2_PT3_SF_jT4_jjP12ihipStream_tbEUlT_E0_NS1_11comp_targetILNS1_3genE10ELNS1_11target_archE1201ELNS1_3gpuE5ELNS1_3repE0EEENS1_52radix_sort_onesweep_histogram_config_static_selectorELNS0_4arch9wavefront6targetE0EEEvSD_: ; @_ZN7rocprim17ROCPRIM_400000_NS6detail17trampoline_kernelINS0_14default_configENS1_35radix_sort_onesweep_config_selectorItNS0_10empty_typeEEEZNS1_34radix_sort_onesweep_global_offsetsIS3_Lb0EPKtPS5_mNS0_19identity_decomposerEEE10hipError_tT1_T2_PT3_SF_jT4_jjP12ihipStream_tbEUlT_E0_NS1_11comp_targetILNS1_3genE10ELNS1_11target_archE1201ELNS1_3gpuE5ELNS1_3repE0EEENS1_52radix_sort_onesweep_histogram_config_static_selectorELNS0_4arch9wavefront6targetE0EEEvSD_
; %bb.0:
	.section	.rodata,"a",@progbits
	.p2align	6, 0x0
	.amdhsa_kernel _ZN7rocprim17ROCPRIM_400000_NS6detail17trampoline_kernelINS0_14default_configENS1_35radix_sort_onesweep_config_selectorItNS0_10empty_typeEEEZNS1_34radix_sort_onesweep_global_offsetsIS3_Lb0EPKtPS5_mNS0_19identity_decomposerEEE10hipError_tT1_T2_PT3_SF_jT4_jjP12ihipStream_tbEUlT_E0_NS1_11comp_targetILNS1_3genE10ELNS1_11target_archE1201ELNS1_3gpuE5ELNS1_3repE0EEENS1_52radix_sort_onesweep_histogram_config_static_selectorELNS0_4arch9wavefront6targetE0EEEvSD_
		.amdhsa_group_segment_fixed_size 0
		.amdhsa_private_segment_fixed_size 0
		.amdhsa_kernarg_size 8
		.amdhsa_user_sgpr_count 2
		.amdhsa_user_sgpr_dispatch_ptr 0
		.amdhsa_user_sgpr_queue_ptr 0
		.amdhsa_user_sgpr_kernarg_segment_ptr 1
		.amdhsa_user_sgpr_dispatch_id 0
		.amdhsa_user_sgpr_kernarg_preload_length 0
		.amdhsa_user_sgpr_kernarg_preload_offset 0
		.amdhsa_user_sgpr_private_segment_size 0
		.amdhsa_wavefront_size32 1
		.amdhsa_uses_dynamic_stack 0
		.amdhsa_enable_private_segment 0
		.amdhsa_system_sgpr_workgroup_id_x 1
		.amdhsa_system_sgpr_workgroup_id_y 0
		.amdhsa_system_sgpr_workgroup_id_z 0
		.amdhsa_system_sgpr_workgroup_info 0
		.amdhsa_system_vgpr_workitem_id 0
		.amdhsa_next_free_vgpr 1
		.amdhsa_next_free_sgpr 1
		.amdhsa_named_barrier_count 0
		.amdhsa_reserve_vcc 0
		.amdhsa_float_round_mode_32 0
		.amdhsa_float_round_mode_16_64 0
		.amdhsa_float_denorm_mode_32 3
		.amdhsa_float_denorm_mode_16_64 3
		.amdhsa_fp16_overflow 0
		.amdhsa_memory_ordered 1
		.amdhsa_forward_progress 1
		.amdhsa_inst_pref_size 0
		.amdhsa_round_robin_scheduling 0
		.amdhsa_exception_fp_ieee_invalid_op 0
		.amdhsa_exception_fp_denorm_src 0
		.amdhsa_exception_fp_ieee_div_zero 0
		.amdhsa_exception_fp_ieee_overflow 0
		.amdhsa_exception_fp_ieee_underflow 0
		.amdhsa_exception_fp_ieee_inexact 0
		.amdhsa_exception_int_div_zero 0
	.end_amdhsa_kernel
	.section	.text._ZN7rocprim17ROCPRIM_400000_NS6detail17trampoline_kernelINS0_14default_configENS1_35radix_sort_onesweep_config_selectorItNS0_10empty_typeEEEZNS1_34radix_sort_onesweep_global_offsetsIS3_Lb0EPKtPS5_mNS0_19identity_decomposerEEE10hipError_tT1_T2_PT3_SF_jT4_jjP12ihipStream_tbEUlT_E0_NS1_11comp_targetILNS1_3genE10ELNS1_11target_archE1201ELNS1_3gpuE5ELNS1_3repE0EEENS1_52radix_sort_onesweep_histogram_config_static_selectorELNS0_4arch9wavefront6targetE0EEEvSD_,"axG",@progbits,_ZN7rocprim17ROCPRIM_400000_NS6detail17trampoline_kernelINS0_14default_configENS1_35radix_sort_onesweep_config_selectorItNS0_10empty_typeEEEZNS1_34radix_sort_onesweep_global_offsetsIS3_Lb0EPKtPS5_mNS0_19identity_decomposerEEE10hipError_tT1_T2_PT3_SF_jT4_jjP12ihipStream_tbEUlT_E0_NS1_11comp_targetILNS1_3genE10ELNS1_11target_archE1201ELNS1_3gpuE5ELNS1_3repE0EEENS1_52radix_sort_onesweep_histogram_config_static_selectorELNS0_4arch9wavefront6targetE0EEEvSD_,comdat
.Lfunc_end2494:
	.size	_ZN7rocprim17ROCPRIM_400000_NS6detail17trampoline_kernelINS0_14default_configENS1_35radix_sort_onesweep_config_selectorItNS0_10empty_typeEEEZNS1_34radix_sort_onesweep_global_offsetsIS3_Lb0EPKtPS5_mNS0_19identity_decomposerEEE10hipError_tT1_T2_PT3_SF_jT4_jjP12ihipStream_tbEUlT_E0_NS1_11comp_targetILNS1_3genE10ELNS1_11target_archE1201ELNS1_3gpuE5ELNS1_3repE0EEENS1_52radix_sort_onesweep_histogram_config_static_selectorELNS0_4arch9wavefront6targetE0EEEvSD_, .Lfunc_end2494-_ZN7rocprim17ROCPRIM_400000_NS6detail17trampoline_kernelINS0_14default_configENS1_35radix_sort_onesweep_config_selectorItNS0_10empty_typeEEEZNS1_34radix_sort_onesweep_global_offsetsIS3_Lb0EPKtPS5_mNS0_19identity_decomposerEEE10hipError_tT1_T2_PT3_SF_jT4_jjP12ihipStream_tbEUlT_E0_NS1_11comp_targetILNS1_3genE10ELNS1_11target_archE1201ELNS1_3gpuE5ELNS1_3repE0EEENS1_52radix_sort_onesweep_histogram_config_static_selectorELNS0_4arch9wavefront6targetE0EEEvSD_
                                        ; -- End function
	.set _ZN7rocprim17ROCPRIM_400000_NS6detail17trampoline_kernelINS0_14default_configENS1_35radix_sort_onesweep_config_selectorItNS0_10empty_typeEEEZNS1_34radix_sort_onesweep_global_offsetsIS3_Lb0EPKtPS5_mNS0_19identity_decomposerEEE10hipError_tT1_T2_PT3_SF_jT4_jjP12ihipStream_tbEUlT_E0_NS1_11comp_targetILNS1_3genE10ELNS1_11target_archE1201ELNS1_3gpuE5ELNS1_3repE0EEENS1_52radix_sort_onesweep_histogram_config_static_selectorELNS0_4arch9wavefront6targetE0EEEvSD_.num_vgpr, 0
	.set _ZN7rocprim17ROCPRIM_400000_NS6detail17trampoline_kernelINS0_14default_configENS1_35radix_sort_onesweep_config_selectorItNS0_10empty_typeEEEZNS1_34radix_sort_onesweep_global_offsetsIS3_Lb0EPKtPS5_mNS0_19identity_decomposerEEE10hipError_tT1_T2_PT3_SF_jT4_jjP12ihipStream_tbEUlT_E0_NS1_11comp_targetILNS1_3genE10ELNS1_11target_archE1201ELNS1_3gpuE5ELNS1_3repE0EEENS1_52radix_sort_onesweep_histogram_config_static_selectorELNS0_4arch9wavefront6targetE0EEEvSD_.num_agpr, 0
	.set _ZN7rocprim17ROCPRIM_400000_NS6detail17trampoline_kernelINS0_14default_configENS1_35radix_sort_onesweep_config_selectorItNS0_10empty_typeEEEZNS1_34radix_sort_onesweep_global_offsetsIS3_Lb0EPKtPS5_mNS0_19identity_decomposerEEE10hipError_tT1_T2_PT3_SF_jT4_jjP12ihipStream_tbEUlT_E0_NS1_11comp_targetILNS1_3genE10ELNS1_11target_archE1201ELNS1_3gpuE5ELNS1_3repE0EEENS1_52radix_sort_onesweep_histogram_config_static_selectorELNS0_4arch9wavefront6targetE0EEEvSD_.numbered_sgpr, 0
	.set _ZN7rocprim17ROCPRIM_400000_NS6detail17trampoline_kernelINS0_14default_configENS1_35radix_sort_onesweep_config_selectorItNS0_10empty_typeEEEZNS1_34radix_sort_onesweep_global_offsetsIS3_Lb0EPKtPS5_mNS0_19identity_decomposerEEE10hipError_tT1_T2_PT3_SF_jT4_jjP12ihipStream_tbEUlT_E0_NS1_11comp_targetILNS1_3genE10ELNS1_11target_archE1201ELNS1_3gpuE5ELNS1_3repE0EEENS1_52radix_sort_onesweep_histogram_config_static_selectorELNS0_4arch9wavefront6targetE0EEEvSD_.num_named_barrier, 0
	.set _ZN7rocprim17ROCPRIM_400000_NS6detail17trampoline_kernelINS0_14default_configENS1_35radix_sort_onesweep_config_selectorItNS0_10empty_typeEEEZNS1_34radix_sort_onesweep_global_offsetsIS3_Lb0EPKtPS5_mNS0_19identity_decomposerEEE10hipError_tT1_T2_PT3_SF_jT4_jjP12ihipStream_tbEUlT_E0_NS1_11comp_targetILNS1_3genE10ELNS1_11target_archE1201ELNS1_3gpuE5ELNS1_3repE0EEENS1_52radix_sort_onesweep_histogram_config_static_selectorELNS0_4arch9wavefront6targetE0EEEvSD_.private_seg_size, 0
	.set _ZN7rocprim17ROCPRIM_400000_NS6detail17trampoline_kernelINS0_14default_configENS1_35radix_sort_onesweep_config_selectorItNS0_10empty_typeEEEZNS1_34radix_sort_onesweep_global_offsetsIS3_Lb0EPKtPS5_mNS0_19identity_decomposerEEE10hipError_tT1_T2_PT3_SF_jT4_jjP12ihipStream_tbEUlT_E0_NS1_11comp_targetILNS1_3genE10ELNS1_11target_archE1201ELNS1_3gpuE5ELNS1_3repE0EEENS1_52radix_sort_onesweep_histogram_config_static_selectorELNS0_4arch9wavefront6targetE0EEEvSD_.uses_vcc, 0
	.set _ZN7rocprim17ROCPRIM_400000_NS6detail17trampoline_kernelINS0_14default_configENS1_35radix_sort_onesweep_config_selectorItNS0_10empty_typeEEEZNS1_34radix_sort_onesweep_global_offsetsIS3_Lb0EPKtPS5_mNS0_19identity_decomposerEEE10hipError_tT1_T2_PT3_SF_jT4_jjP12ihipStream_tbEUlT_E0_NS1_11comp_targetILNS1_3genE10ELNS1_11target_archE1201ELNS1_3gpuE5ELNS1_3repE0EEENS1_52radix_sort_onesweep_histogram_config_static_selectorELNS0_4arch9wavefront6targetE0EEEvSD_.uses_flat_scratch, 0
	.set _ZN7rocprim17ROCPRIM_400000_NS6detail17trampoline_kernelINS0_14default_configENS1_35radix_sort_onesweep_config_selectorItNS0_10empty_typeEEEZNS1_34radix_sort_onesweep_global_offsetsIS3_Lb0EPKtPS5_mNS0_19identity_decomposerEEE10hipError_tT1_T2_PT3_SF_jT4_jjP12ihipStream_tbEUlT_E0_NS1_11comp_targetILNS1_3genE10ELNS1_11target_archE1201ELNS1_3gpuE5ELNS1_3repE0EEENS1_52radix_sort_onesweep_histogram_config_static_selectorELNS0_4arch9wavefront6targetE0EEEvSD_.has_dyn_sized_stack, 0
	.set _ZN7rocprim17ROCPRIM_400000_NS6detail17trampoline_kernelINS0_14default_configENS1_35radix_sort_onesweep_config_selectorItNS0_10empty_typeEEEZNS1_34radix_sort_onesweep_global_offsetsIS3_Lb0EPKtPS5_mNS0_19identity_decomposerEEE10hipError_tT1_T2_PT3_SF_jT4_jjP12ihipStream_tbEUlT_E0_NS1_11comp_targetILNS1_3genE10ELNS1_11target_archE1201ELNS1_3gpuE5ELNS1_3repE0EEENS1_52radix_sort_onesweep_histogram_config_static_selectorELNS0_4arch9wavefront6targetE0EEEvSD_.has_recursion, 0
	.set _ZN7rocprim17ROCPRIM_400000_NS6detail17trampoline_kernelINS0_14default_configENS1_35radix_sort_onesweep_config_selectorItNS0_10empty_typeEEEZNS1_34radix_sort_onesweep_global_offsetsIS3_Lb0EPKtPS5_mNS0_19identity_decomposerEEE10hipError_tT1_T2_PT3_SF_jT4_jjP12ihipStream_tbEUlT_E0_NS1_11comp_targetILNS1_3genE10ELNS1_11target_archE1201ELNS1_3gpuE5ELNS1_3repE0EEENS1_52radix_sort_onesweep_histogram_config_static_selectorELNS0_4arch9wavefront6targetE0EEEvSD_.has_indirect_call, 0
	.section	.AMDGPU.csdata,"",@progbits
; Kernel info:
; codeLenInByte = 0
; TotalNumSgprs: 0
; NumVgprs: 0
; ScratchSize: 0
; MemoryBound: 0
; FloatMode: 240
; IeeeMode: 1
; LDSByteSize: 0 bytes/workgroup (compile time only)
; SGPRBlocks: 0
; VGPRBlocks: 0
; NumSGPRsForWavesPerEU: 1
; NumVGPRsForWavesPerEU: 1
; NamedBarCnt: 0
; Occupancy: 16
; WaveLimiterHint : 0
; COMPUTE_PGM_RSRC2:SCRATCH_EN: 0
; COMPUTE_PGM_RSRC2:USER_SGPR: 2
; COMPUTE_PGM_RSRC2:TRAP_HANDLER: 0
; COMPUTE_PGM_RSRC2:TGID_X_EN: 1
; COMPUTE_PGM_RSRC2:TGID_Y_EN: 0
; COMPUTE_PGM_RSRC2:TGID_Z_EN: 0
; COMPUTE_PGM_RSRC2:TIDIG_COMP_CNT: 0
	.section	.text._ZN7rocprim17ROCPRIM_400000_NS6detail17trampoline_kernelINS0_14default_configENS1_35radix_sort_onesweep_config_selectorItNS0_10empty_typeEEEZNS1_34radix_sort_onesweep_global_offsetsIS3_Lb0EPKtPS5_mNS0_19identity_decomposerEEE10hipError_tT1_T2_PT3_SF_jT4_jjP12ihipStream_tbEUlT_E0_NS1_11comp_targetILNS1_3genE9ELNS1_11target_archE1100ELNS1_3gpuE3ELNS1_3repE0EEENS1_52radix_sort_onesweep_histogram_config_static_selectorELNS0_4arch9wavefront6targetE0EEEvSD_,"axG",@progbits,_ZN7rocprim17ROCPRIM_400000_NS6detail17trampoline_kernelINS0_14default_configENS1_35radix_sort_onesweep_config_selectorItNS0_10empty_typeEEEZNS1_34radix_sort_onesweep_global_offsetsIS3_Lb0EPKtPS5_mNS0_19identity_decomposerEEE10hipError_tT1_T2_PT3_SF_jT4_jjP12ihipStream_tbEUlT_E0_NS1_11comp_targetILNS1_3genE9ELNS1_11target_archE1100ELNS1_3gpuE3ELNS1_3repE0EEENS1_52radix_sort_onesweep_histogram_config_static_selectorELNS0_4arch9wavefront6targetE0EEEvSD_,comdat
	.protected	_ZN7rocprim17ROCPRIM_400000_NS6detail17trampoline_kernelINS0_14default_configENS1_35radix_sort_onesweep_config_selectorItNS0_10empty_typeEEEZNS1_34radix_sort_onesweep_global_offsetsIS3_Lb0EPKtPS5_mNS0_19identity_decomposerEEE10hipError_tT1_T2_PT3_SF_jT4_jjP12ihipStream_tbEUlT_E0_NS1_11comp_targetILNS1_3genE9ELNS1_11target_archE1100ELNS1_3gpuE3ELNS1_3repE0EEENS1_52radix_sort_onesweep_histogram_config_static_selectorELNS0_4arch9wavefront6targetE0EEEvSD_ ; -- Begin function _ZN7rocprim17ROCPRIM_400000_NS6detail17trampoline_kernelINS0_14default_configENS1_35radix_sort_onesweep_config_selectorItNS0_10empty_typeEEEZNS1_34radix_sort_onesweep_global_offsetsIS3_Lb0EPKtPS5_mNS0_19identity_decomposerEEE10hipError_tT1_T2_PT3_SF_jT4_jjP12ihipStream_tbEUlT_E0_NS1_11comp_targetILNS1_3genE9ELNS1_11target_archE1100ELNS1_3gpuE3ELNS1_3repE0EEENS1_52radix_sort_onesweep_histogram_config_static_selectorELNS0_4arch9wavefront6targetE0EEEvSD_
	.globl	_ZN7rocprim17ROCPRIM_400000_NS6detail17trampoline_kernelINS0_14default_configENS1_35radix_sort_onesweep_config_selectorItNS0_10empty_typeEEEZNS1_34radix_sort_onesweep_global_offsetsIS3_Lb0EPKtPS5_mNS0_19identity_decomposerEEE10hipError_tT1_T2_PT3_SF_jT4_jjP12ihipStream_tbEUlT_E0_NS1_11comp_targetILNS1_3genE9ELNS1_11target_archE1100ELNS1_3gpuE3ELNS1_3repE0EEENS1_52radix_sort_onesweep_histogram_config_static_selectorELNS0_4arch9wavefront6targetE0EEEvSD_
	.p2align	8
	.type	_ZN7rocprim17ROCPRIM_400000_NS6detail17trampoline_kernelINS0_14default_configENS1_35radix_sort_onesweep_config_selectorItNS0_10empty_typeEEEZNS1_34radix_sort_onesweep_global_offsetsIS3_Lb0EPKtPS5_mNS0_19identity_decomposerEEE10hipError_tT1_T2_PT3_SF_jT4_jjP12ihipStream_tbEUlT_E0_NS1_11comp_targetILNS1_3genE9ELNS1_11target_archE1100ELNS1_3gpuE3ELNS1_3repE0EEENS1_52radix_sort_onesweep_histogram_config_static_selectorELNS0_4arch9wavefront6targetE0EEEvSD_,@function
_ZN7rocprim17ROCPRIM_400000_NS6detail17trampoline_kernelINS0_14default_configENS1_35radix_sort_onesweep_config_selectorItNS0_10empty_typeEEEZNS1_34radix_sort_onesweep_global_offsetsIS3_Lb0EPKtPS5_mNS0_19identity_decomposerEEE10hipError_tT1_T2_PT3_SF_jT4_jjP12ihipStream_tbEUlT_E0_NS1_11comp_targetILNS1_3genE9ELNS1_11target_archE1100ELNS1_3gpuE3ELNS1_3repE0EEENS1_52radix_sort_onesweep_histogram_config_static_selectorELNS0_4arch9wavefront6targetE0EEEvSD_: ; @_ZN7rocprim17ROCPRIM_400000_NS6detail17trampoline_kernelINS0_14default_configENS1_35radix_sort_onesweep_config_selectorItNS0_10empty_typeEEEZNS1_34radix_sort_onesweep_global_offsetsIS3_Lb0EPKtPS5_mNS0_19identity_decomposerEEE10hipError_tT1_T2_PT3_SF_jT4_jjP12ihipStream_tbEUlT_E0_NS1_11comp_targetILNS1_3genE9ELNS1_11target_archE1100ELNS1_3gpuE3ELNS1_3repE0EEENS1_52radix_sort_onesweep_histogram_config_static_selectorELNS0_4arch9wavefront6targetE0EEEvSD_
; %bb.0:
	.section	.rodata,"a",@progbits
	.p2align	6, 0x0
	.amdhsa_kernel _ZN7rocprim17ROCPRIM_400000_NS6detail17trampoline_kernelINS0_14default_configENS1_35radix_sort_onesweep_config_selectorItNS0_10empty_typeEEEZNS1_34radix_sort_onesweep_global_offsetsIS3_Lb0EPKtPS5_mNS0_19identity_decomposerEEE10hipError_tT1_T2_PT3_SF_jT4_jjP12ihipStream_tbEUlT_E0_NS1_11comp_targetILNS1_3genE9ELNS1_11target_archE1100ELNS1_3gpuE3ELNS1_3repE0EEENS1_52radix_sort_onesweep_histogram_config_static_selectorELNS0_4arch9wavefront6targetE0EEEvSD_
		.amdhsa_group_segment_fixed_size 0
		.amdhsa_private_segment_fixed_size 0
		.amdhsa_kernarg_size 8
		.amdhsa_user_sgpr_count 2
		.amdhsa_user_sgpr_dispatch_ptr 0
		.amdhsa_user_sgpr_queue_ptr 0
		.amdhsa_user_sgpr_kernarg_segment_ptr 1
		.amdhsa_user_sgpr_dispatch_id 0
		.amdhsa_user_sgpr_kernarg_preload_length 0
		.amdhsa_user_sgpr_kernarg_preload_offset 0
		.amdhsa_user_sgpr_private_segment_size 0
		.amdhsa_wavefront_size32 1
		.amdhsa_uses_dynamic_stack 0
		.amdhsa_enable_private_segment 0
		.amdhsa_system_sgpr_workgroup_id_x 1
		.amdhsa_system_sgpr_workgroup_id_y 0
		.amdhsa_system_sgpr_workgroup_id_z 0
		.amdhsa_system_sgpr_workgroup_info 0
		.amdhsa_system_vgpr_workitem_id 0
		.amdhsa_next_free_vgpr 1
		.amdhsa_next_free_sgpr 1
		.amdhsa_named_barrier_count 0
		.amdhsa_reserve_vcc 0
		.amdhsa_float_round_mode_32 0
		.amdhsa_float_round_mode_16_64 0
		.amdhsa_float_denorm_mode_32 3
		.amdhsa_float_denorm_mode_16_64 3
		.amdhsa_fp16_overflow 0
		.amdhsa_memory_ordered 1
		.amdhsa_forward_progress 1
		.amdhsa_inst_pref_size 0
		.amdhsa_round_robin_scheduling 0
		.amdhsa_exception_fp_ieee_invalid_op 0
		.amdhsa_exception_fp_denorm_src 0
		.amdhsa_exception_fp_ieee_div_zero 0
		.amdhsa_exception_fp_ieee_overflow 0
		.amdhsa_exception_fp_ieee_underflow 0
		.amdhsa_exception_fp_ieee_inexact 0
		.amdhsa_exception_int_div_zero 0
	.end_amdhsa_kernel
	.section	.text._ZN7rocprim17ROCPRIM_400000_NS6detail17trampoline_kernelINS0_14default_configENS1_35radix_sort_onesweep_config_selectorItNS0_10empty_typeEEEZNS1_34radix_sort_onesweep_global_offsetsIS3_Lb0EPKtPS5_mNS0_19identity_decomposerEEE10hipError_tT1_T2_PT3_SF_jT4_jjP12ihipStream_tbEUlT_E0_NS1_11comp_targetILNS1_3genE9ELNS1_11target_archE1100ELNS1_3gpuE3ELNS1_3repE0EEENS1_52radix_sort_onesweep_histogram_config_static_selectorELNS0_4arch9wavefront6targetE0EEEvSD_,"axG",@progbits,_ZN7rocprim17ROCPRIM_400000_NS6detail17trampoline_kernelINS0_14default_configENS1_35radix_sort_onesweep_config_selectorItNS0_10empty_typeEEEZNS1_34radix_sort_onesweep_global_offsetsIS3_Lb0EPKtPS5_mNS0_19identity_decomposerEEE10hipError_tT1_T2_PT3_SF_jT4_jjP12ihipStream_tbEUlT_E0_NS1_11comp_targetILNS1_3genE9ELNS1_11target_archE1100ELNS1_3gpuE3ELNS1_3repE0EEENS1_52radix_sort_onesweep_histogram_config_static_selectorELNS0_4arch9wavefront6targetE0EEEvSD_,comdat
.Lfunc_end2495:
	.size	_ZN7rocprim17ROCPRIM_400000_NS6detail17trampoline_kernelINS0_14default_configENS1_35radix_sort_onesweep_config_selectorItNS0_10empty_typeEEEZNS1_34radix_sort_onesweep_global_offsetsIS3_Lb0EPKtPS5_mNS0_19identity_decomposerEEE10hipError_tT1_T2_PT3_SF_jT4_jjP12ihipStream_tbEUlT_E0_NS1_11comp_targetILNS1_3genE9ELNS1_11target_archE1100ELNS1_3gpuE3ELNS1_3repE0EEENS1_52radix_sort_onesweep_histogram_config_static_selectorELNS0_4arch9wavefront6targetE0EEEvSD_, .Lfunc_end2495-_ZN7rocprim17ROCPRIM_400000_NS6detail17trampoline_kernelINS0_14default_configENS1_35radix_sort_onesweep_config_selectorItNS0_10empty_typeEEEZNS1_34radix_sort_onesweep_global_offsetsIS3_Lb0EPKtPS5_mNS0_19identity_decomposerEEE10hipError_tT1_T2_PT3_SF_jT4_jjP12ihipStream_tbEUlT_E0_NS1_11comp_targetILNS1_3genE9ELNS1_11target_archE1100ELNS1_3gpuE3ELNS1_3repE0EEENS1_52radix_sort_onesweep_histogram_config_static_selectorELNS0_4arch9wavefront6targetE0EEEvSD_
                                        ; -- End function
	.set _ZN7rocprim17ROCPRIM_400000_NS6detail17trampoline_kernelINS0_14default_configENS1_35radix_sort_onesweep_config_selectorItNS0_10empty_typeEEEZNS1_34radix_sort_onesweep_global_offsetsIS3_Lb0EPKtPS5_mNS0_19identity_decomposerEEE10hipError_tT1_T2_PT3_SF_jT4_jjP12ihipStream_tbEUlT_E0_NS1_11comp_targetILNS1_3genE9ELNS1_11target_archE1100ELNS1_3gpuE3ELNS1_3repE0EEENS1_52radix_sort_onesweep_histogram_config_static_selectorELNS0_4arch9wavefront6targetE0EEEvSD_.num_vgpr, 0
	.set _ZN7rocprim17ROCPRIM_400000_NS6detail17trampoline_kernelINS0_14default_configENS1_35radix_sort_onesweep_config_selectorItNS0_10empty_typeEEEZNS1_34radix_sort_onesweep_global_offsetsIS3_Lb0EPKtPS5_mNS0_19identity_decomposerEEE10hipError_tT1_T2_PT3_SF_jT4_jjP12ihipStream_tbEUlT_E0_NS1_11comp_targetILNS1_3genE9ELNS1_11target_archE1100ELNS1_3gpuE3ELNS1_3repE0EEENS1_52radix_sort_onesweep_histogram_config_static_selectorELNS0_4arch9wavefront6targetE0EEEvSD_.num_agpr, 0
	.set _ZN7rocprim17ROCPRIM_400000_NS6detail17trampoline_kernelINS0_14default_configENS1_35radix_sort_onesweep_config_selectorItNS0_10empty_typeEEEZNS1_34radix_sort_onesweep_global_offsetsIS3_Lb0EPKtPS5_mNS0_19identity_decomposerEEE10hipError_tT1_T2_PT3_SF_jT4_jjP12ihipStream_tbEUlT_E0_NS1_11comp_targetILNS1_3genE9ELNS1_11target_archE1100ELNS1_3gpuE3ELNS1_3repE0EEENS1_52radix_sort_onesweep_histogram_config_static_selectorELNS0_4arch9wavefront6targetE0EEEvSD_.numbered_sgpr, 0
	.set _ZN7rocprim17ROCPRIM_400000_NS6detail17trampoline_kernelINS0_14default_configENS1_35radix_sort_onesweep_config_selectorItNS0_10empty_typeEEEZNS1_34radix_sort_onesweep_global_offsetsIS3_Lb0EPKtPS5_mNS0_19identity_decomposerEEE10hipError_tT1_T2_PT3_SF_jT4_jjP12ihipStream_tbEUlT_E0_NS1_11comp_targetILNS1_3genE9ELNS1_11target_archE1100ELNS1_3gpuE3ELNS1_3repE0EEENS1_52radix_sort_onesweep_histogram_config_static_selectorELNS0_4arch9wavefront6targetE0EEEvSD_.num_named_barrier, 0
	.set _ZN7rocprim17ROCPRIM_400000_NS6detail17trampoline_kernelINS0_14default_configENS1_35radix_sort_onesweep_config_selectorItNS0_10empty_typeEEEZNS1_34radix_sort_onesweep_global_offsetsIS3_Lb0EPKtPS5_mNS0_19identity_decomposerEEE10hipError_tT1_T2_PT3_SF_jT4_jjP12ihipStream_tbEUlT_E0_NS1_11comp_targetILNS1_3genE9ELNS1_11target_archE1100ELNS1_3gpuE3ELNS1_3repE0EEENS1_52radix_sort_onesweep_histogram_config_static_selectorELNS0_4arch9wavefront6targetE0EEEvSD_.private_seg_size, 0
	.set _ZN7rocprim17ROCPRIM_400000_NS6detail17trampoline_kernelINS0_14default_configENS1_35radix_sort_onesweep_config_selectorItNS0_10empty_typeEEEZNS1_34radix_sort_onesweep_global_offsetsIS3_Lb0EPKtPS5_mNS0_19identity_decomposerEEE10hipError_tT1_T2_PT3_SF_jT4_jjP12ihipStream_tbEUlT_E0_NS1_11comp_targetILNS1_3genE9ELNS1_11target_archE1100ELNS1_3gpuE3ELNS1_3repE0EEENS1_52radix_sort_onesweep_histogram_config_static_selectorELNS0_4arch9wavefront6targetE0EEEvSD_.uses_vcc, 0
	.set _ZN7rocprim17ROCPRIM_400000_NS6detail17trampoline_kernelINS0_14default_configENS1_35radix_sort_onesweep_config_selectorItNS0_10empty_typeEEEZNS1_34radix_sort_onesweep_global_offsetsIS3_Lb0EPKtPS5_mNS0_19identity_decomposerEEE10hipError_tT1_T2_PT3_SF_jT4_jjP12ihipStream_tbEUlT_E0_NS1_11comp_targetILNS1_3genE9ELNS1_11target_archE1100ELNS1_3gpuE3ELNS1_3repE0EEENS1_52radix_sort_onesweep_histogram_config_static_selectorELNS0_4arch9wavefront6targetE0EEEvSD_.uses_flat_scratch, 0
	.set _ZN7rocprim17ROCPRIM_400000_NS6detail17trampoline_kernelINS0_14default_configENS1_35radix_sort_onesweep_config_selectorItNS0_10empty_typeEEEZNS1_34radix_sort_onesweep_global_offsetsIS3_Lb0EPKtPS5_mNS0_19identity_decomposerEEE10hipError_tT1_T2_PT3_SF_jT4_jjP12ihipStream_tbEUlT_E0_NS1_11comp_targetILNS1_3genE9ELNS1_11target_archE1100ELNS1_3gpuE3ELNS1_3repE0EEENS1_52radix_sort_onesweep_histogram_config_static_selectorELNS0_4arch9wavefront6targetE0EEEvSD_.has_dyn_sized_stack, 0
	.set _ZN7rocprim17ROCPRIM_400000_NS6detail17trampoline_kernelINS0_14default_configENS1_35radix_sort_onesweep_config_selectorItNS0_10empty_typeEEEZNS1_34radix_sort_onesweep_global_offsetsIS3_Lb0EPKtPS5_mNS0_19identity_decomposerEEE10hipError_tT1_T2_PT3_SF_jT4_jjP12ihipStream_tbEUlT_E0_NS1_11comp_targetILNS1_3genE9ELNS1_11target_archE1100ELNS1_3gpuE3ELNS1_3repE0EEENS1_52radix_sort_onesweep_histogram_config_static_selectorELNS0_4arch9wavefront6targetE0EEEvSD_.has_recursion, 0
	.set _ZN7rocprim17ROCPRIM_400000_NS6detail17trampoline_kernelINS0_14default_configENS1_35radix_sort_onesweep_config_selectorItNS0_10empty_typeEEEZNS1_34radix_sort_onesweep_global_offsetsIS3_Lb0EPKtPS5_mNS0_19identity_decomposerEEE10hipError_tT1_T2_PT3_SF_jT4_jjP12ihipStream_tbEUlT_E0_NS1_11comp_targetILNS1_3genE9ELNS1_11target_archE1100ELNS1_3gpuE3ELNS1_3repE0EEENS1_52radix_sort_onesweep_histogram_config_static_selectorELNS0_4arch9wavefront6targetE0EEEvSD_.has_indirect_call, 0
	.section	.AMDGPU.csdata,"",@progbits
; Kernel info:
; codeLenInByte = 0
; TotalNumSgprs: 0
; NumVgprs: 0
; ScratchSize: 0
; MemoryBound: 0
; FloatMode: 240
; IeeeMode: 1
; LDSByteSize: 0 bytes/workgroup (compile time only)
; SGPRBlocks: 0
; VGPRBlocks: 0
; NumSGPRsForWavesPerEU: 1
; NumVGPRsForWavesPerEU: 1
; NamedBarCnt: 0
; Occupancy: 16
; WaveLimiterHint : 0
; COMPUTE_PGM_RSRC2:SCRATCH_EN: 0
; COMPUTE_PGM_RSRC2:USER_SGPR: 2
; COMPUTE_PGM_RSRC2:TRAP_HANDLER: 0
; COMPUTE_PGM_RSRC2:TGID_X_EN: 1
; COMPUTE_PGM_RSRC2:TGID_Y_EN: 0
; COMPUTE_PGM_RSRC2:TGID_Z_EN: 0
; COMPUTE_PGM_RSRC2:TIDIG_COMP_CNT: 0
	.section	.text._ZN7rocprim17ROCPRIM_400000_NS6detail17trampoline_kernelINS0_14default_configENS1_35radix_sort_onesweep_config_selectorItNS0_10empty_typeEEEZNS1_34radix_sort_onesweep_global_offsetsIS3_Lb0EPKtPS5_mNS0_19identity_decomposerEEE10hipError_tT1_T2_PT3_SF_jT4_jjP12ihipStream_tbEUlT_E0_NS1_11comp_targetILNS1_3genE8ELNS1_11target_archE1030ELNS1_3gpuE2ELNS1_3repE0EEENS1_52radix_sort_onesweep_histogram_config_static_selectorELNS0_4arch9wavefront6targetE0EEEvSD_,"axG",@progbits,_ZN7rocprim17ROCPRIM_400000_NS6detail17trampoline_kernelINS0_14default_configENS1_35radix_sort_onesweep_config_selectorItNS0_10empty_typeEEEZNS1_34radix_sort_onesweep_global_offsetsIS3_Lb0EPKtPS5_mNS0_19identity_decomposerEEE10hipError_tT1_T2_PT3_SF_jT4_jjP12ihipStream_tbEUlT_E0_NS1_11comp_targetILNS1_3genE8ELNS1_11target_archE1030ELNS1_3gpuE2ELNS1_3repE0EEENS1_52radix_sort_onesweep_histogram_config_static_selectorELNS0_4arch9wavefront6targetE0EEEvSD_,comdat
	.protected	_ZN7rocprim17ROCPRIM_400000_NS6detail17trampoline_kernelINS0_14default_configENS1_35radix_sort_onesweep_config_selectorItNS0_10empty_typeEEEZNS1_34radix_sort_onesweep_global_offsetsIS3_Lb0EPKtPS5_mNS0_19identity_decomposerEEE10hipError_tT1_T2_PT3_SF_jT4_jjP12ihipStream_tbEUlT_E0_NS1_11comp_targetILNS1_3genE8ELNS1_11target_archE1030ELNS1_3gpuE2ELNS1_3repE0EEENS1_52radix_sort_onesweep_histogram_config_static_selectorELNS0_4arch9wavefront6targetE0EEEvSD_ ; -- Begin function _ZN7rocprim17ROCPRIM_400000_NS6detail17trampoline_kernelINS0_14default_configENS1_35radix_sort_onesweep_config_selectorItNS0_10empty_typeEEEZNS1_34radix_sort_onesweep_global_offsetsIS3_Lb0EPKtPS5_mNS0_19identity_decomposerEEE10hipError_tT1_T2_PT3_SF_jT4_jjP12ihipStream_tbEUlT_E0_NS1_11comp_targetILNS1_3genE8ELNS1_11target_archE1030ELNS1_3gpuE2ELNS1_3repE0EEENS1_52radix_sort_onesweep_histogram_config_static_selectorELNS0_4arch9wavefront6targetE0EEEvSD_
	.globl	_ZN7rocprim17ROCPRIM_400000_NS6detail17trampoline_kernelINS0_14default_configENS1_35radix_sort_onesweep_config_selectorItNS0_10empty_typeEEEZNS1_34radix_sort_onesweep_global_offsetsIS3_Lb0EPKtPS5_mNS0_19identity_decomposerEEE10hipError_tT1_T2_PT3_SF_jT4_jjP12ihipStream_tbEUlT_E0_NS1_11comp_targetILNS1_3genE8ELNS1_11target_archE1030ELNS1_3gpuE2ELNS1_3repE0EEENS1_52radix_sort_onesweep_histogram_config_static_selectorELNS0_4arch9wavefront6targetE0EEEvSD_
	.p2align	8
	.type	_ZN7rocprim17ROCPRIM_400000_NS6detail17trampoline_kernelINS0_14default_configENS1_35radix_sort_onesweep_config_selectorItNS0_10empty_typeEEEZNS1_34radix_sort_onesweep_global_offsetsIS3_Lb0EPKtPS5_mNS0_19identity_decomposerEEE10hipError_tT1_T2_PT3_SF_jT4_jjP12ihipStream_tbEUlT_E0_NS1_11comp_targetILNS1_3genE8ELNS1_11target_archE1030ELNS1_3gpuE2ELNS1_3repE0EEENS1_52radix_sort_onesweep_histogram_config_static_selectorELNS0_4arch9wavefront6targetE0EEEvSD_,@function
_ZN7rocprim17ROCPRIM_400000_NS6detail17trampoline_kernelINS0_14default_configENS1_35radix_sort_onesweep_config_selectorItNS0_10empty_typeEEEZNS1_34radix_sort_onesweep_global_offsetsIS3_Lb0EPKtPS5_mNS0_19identity_decomposerEEE10hipError_tT1_T2_PT3_SF_jT4_jjP12ihipStream_tbEUlT_E0_NS1_11comp_targetILNS1_3genE8ELNS1_11target_archE1030ELNS1_3gpuE2ELNS1_3repE0EEENS1_52radix_sort_onesweep_histogram_config_static_selectorELNS0_4arch9wavefront6targetE0EEEvSD_: ; @_ZN7rocprim17ROCPRIM_400000_NS6detail17trampoline_kernelINS0_14default_configENS1_35radix_sort_onesweep_config_selectorItNS0_10empty_typeEEEZNS1_34radix_sort_onesweep_global_offsetsIS3_Lb0EPKtPS5_mNS0_19identity_decomposerEEE10hipError_tT1_T2_PT3_SF_jT4_jjP12ihipStream_tbEUlT_E0_NS1_11comp_targetILNS1_3genE8ELNS1_11target_archE1030ELNS1_3gpuE2ELNS1_3repE0EEENS1_52radix_sort_onesweep_histogram_config_static_selectorELNS0_4arch9wavefront6targetE0EEEvSD_
; %bb.0:
	.section	.rodata,"a",@progbits
	.p2align	6, 0x0
	.amdhsa_kernel _ZN7rocprim17ROCPRIM_400000_NS6detail17trampoline_kernelINS0_14default_configENS1_35radix_sort_onesweep_config_selectorItNS0_10empty_typeEEEZNS1_34radix_sort_onesweep_global_offsetsIS3_Lb0EPKtPS5_mNS0_19identity_decomposerEEE10hipError_tT1_T2_PT3_SF_jT4_jjP12ihipStream_tbEUlT_E0_NS1_11comp_targetILNS1_3genE8ELNS1_11target_archE1030ELNS1_3gpuE2ELNS1_3repE0EEENS1_52radix_sort_onesweep_histogram_config_static_selectorELNS0_4arch9wavefront6targetE0EEEvSD_
		.amdhsa_group_segment_fixed_size 0
		.amdhsa_private_segment_fixed_size 0
		.amdhsa_kernarg_size 8
		.amdhsa_user_sgpr_count 2
		.amdhsa_user_sgpr_dispatch_ptr 0
		.amdhsa_user_sgpr_queue_ptr 0
		.amdhsa_user_sgpr_kernarg_segment_ptr 1
		.amdhsa_user_sgpr_dispatch_id 0
		.amdhsa_user_sgpr_kernarg_preload_length 0
		.amdhsa_user_sgpr_kernarg_preload_offset 0
		.amdhsa_user_sgpr_private_segment_size 0
		.amdhsa_wavefront_size32 1
		.amdhsa_uses_dynamic_stack 0
		.amdhsa_enable_private_segment 0
		.amdhsa_system_sgpr_workgroup_id_x 1
		.amdhsa_system_sgpr_workgroup_id_y 0
		.amdhsa_system_sgpr_workgroup_id_z 0
		.amdhsa_system_sgpr_workgroup_info 0
		.amdhsa_system_vgpr_workitem_id 0
		.amdhsa_next_free_vgpr 1
		.amdhsa_next_free_sgpr 1
		.amdhsa_named_barrier_count 0
		.amdhsa_reserve_vcc 0
		.amdhsa_float_round_mode_32 0
		.amdhsa_float_round_mode_16_64 0
		.amdhsa_float_denorm_mode_32 3
		.amdhsa_float_denorm_mode_16_64 3
		.amdhsa_fp16_overflow 0
		.amdhsa_memory_ordered 1
		.amdhsa_forward_progress 1
		.amdhsa_inst_pref_size 0
		.amdhsa_round_robin_scheduling 0
		.amdhsa_exception_fp_ieee_invalid_op 0
		.amdhsa_exception_fp_denorm_src 0
		.amdhsa_exception_fp_ieee_div_zero 0
		.amdhsa_exception_fp_ieee_overflow 0
		.amdhsa_exception_fp_ieee_underflow 0
		.amdhsa_exception_fp_ieee_inexact 0
		.amdhsa_exception_int_div_zero 0
	.end_amdhsa_kernel
	.section	.text._ZN7rocprim17ROCPRIM_400000_NS6detail17trampoline_kernelINS0_14default_configENS1_35radix_sort_onesweep_config_selectorItNS0_10empty_typeEEEZNS1_34radix_sort_onesweep_global_offsetsIS3_Lb0EPKtPS5_mNS0_19identity_decomposerEEE10hipError_tT1_T2_PT3_SF_jT4_jjP12ihipStream_tbEUlT_E0_NS1_11comp_targetILNS1_3genE8ELNS1_11target_archE1030ELNS1_3gpuE2ELNS1_3repE0EEENS1_52radix_sort_onesweep_histogram_config_static_selectorELNS0_4arch9wavefront6targetE0EEEvSD_,"axG",@progbits,_ZN7rocprim17ROCPRIM_400000_NS6detail17trampoline_kernelINS0_14default_configENS1_35radix_sort_onesweep_config_selectorItNS0_10empty_typeEEEZNS1_34radix_sort_onesweep_global_offsetsIS3_Lb0EPKtPS5_mNS0_19identity_decomposerEEE10hipError_tT1_T2_PT3_SF_jT4_jjP12ihipStream_tbEUlT_E0_NS1_11comp_targetILNS1_3genE8ELNS1_11target_archE1030ELNS1_3gpuE2ELNS1_3repE0EEENS1_52radix_sort_onesweep_histogram_config_static_selectorELNS0_4arch9wavefront6targetE0EEEvSD_,comdat
.Lfunc_end2496:
	.size	_ZN7rocprim17ROCPRIM_400000_NS6detail17trampoline_kernelINS0_14default_configENS1_35radix_sort_onesweep_config_selectorItNS0_10empty_typeEEEZNS1_34radix_sort_onesweep_global_offsetsIS3_Lb0EPKtPS5_mNS0_19identity_decomposerEEE10hipError_tT1_T2_PT3_SF_jT4_jjP12ihipStream_tbEUlT_E0_NS1_11comp_targetILNS1_3genE8ELNS1_11target_archE1030ELNS1_3gpuE2ELNS1_3repE0EEENS1_52radix_sort_onesweep_histogram_config_static_selectorELNS0_4arch9wavefront6targetE0EEEvSD_, .Lfunc_end2496-_ZN7rocprim17ROCPRIM_400000_NS6detail17trampoline_kernelINS0_14default_configENS1_35radix_sort_onesweep_config_selectorItNS0_10empty_typeEEEZNS1_34radix_sort_onesweep_global_offsetsIS3_Lb0EPKtPS5_mNS0_19identity_decomposerEEE10hipError_tT1_T2_PT3_SF_jT4_jjP12ihipStream_tbEUlT_E0_NS1_11comp_targetILNS1_3genE8ELNS1_11target_archE1030ELNS1_3gpuE2ELNS1_3repE0EEENS1_52radix_sort_onesweep_histogram_config_static_selectorELNS0_4arch9wavefront6targetE0EEEvSD_
                                        ; -- End function
	.set _ZN7rocprim17ROCPRIM_400000_NS6detail17trampoline_kernelINS0_14default_configENS1_35radix_sort_onesweep_config_selectorItNS0_10empty_typeEEEZNS1_34radix_sort_onesweep_global_offsetsIS3_Lb0EPKtPS5_mNS0_19identity_decomposerEEE10hipError_tT1_T2_PT3_SF_jT4_jjP12ihipStream_tbEUlT_E0_NS1_11comp_targetILNS1_3genE8ELNS1_11target_archE1030ELNS1_3gpuE2ELNS1_3repE0EEENS1_52radix_sort_onesweep_histogram_config_static_selectorELNS0_4arch9wavefront6targetE0EEEvSD_.num_vgpr, 0
	.set _ZN7rocprim17ROCPRIM_400000_NS6detail17trampoline_kernelINS0_14default_configENS1_35radix_sort_onesweep_config_selectorItNS0_10empty_typeEEEZNS1_34radix_sort_onesweep_global_offsetsIS3_Lb0EPKtPS5_mNS0_19identity_decomposerEEE10hipError_tT1_T2_PT3_SF_jT4_jjP12ihipStream_tbEUlT_E0_NS1_11comp_targetILNS1_3genE8ELNS1_11target_archE1030ELNS1_3gpuE2ELNS1_3repE0EEENS1_52radix_sort_onesweep_histogram_config_static_selectorELNS0_4arch9wavefront6targetE0EEEvSD_.num_agpr, 0
	.set _ZN7rocprim17ROCPRIM_400000_NS6detail17trampoline_kernelINS0_14default_configENS1_35radix_sort_onesweep_config_selectorItNS0_10empty_typeEEEZNS1_34radix_sort_onesweep_global_offsetsIS3_Lb0EPKtPS5_mNS0_19identity_decomposerEEE10hipError_tT1_T2_PT3_SF_jT4_jjP12ihipStream_tbEUlT_E0_NS1_11comp_targetILNS1_3genE8ELNS1_11target_archE1030ELNS1_3gpuE2ELNS1_3repE0EEENS1_52radix_sort_onesweep_histogram_config_static_selectorELNS0_4arch9wavefront6targetE0EEEvSD_.numbered_sgpr, 0
	.set _ZN7rocprim17ROCPRIM_400000_NS6detail17trampoline_kernelINS0_14default_configENS1_35radix_sort_onesweep_config_selectorItNS0_10empty_typeEEEZNS1_34radix_sort_onesweep_global_offsetsIS3_Lb0EPKtPS5_mNS0_19identity_decomposerEEE10hipError_tT1_T2_PT3_SF_jT4_jjP12ihipStream_tbEUlT_E0_NS1_11comp_targetILNS1_3genE8ELNS1_11target_archE1030ELNS1_3gpuE2ELNS1_3repE0EEENS1_52radix_sort_onesweep_histogram_config_static_selectorELNS0_4arch9wavefront6targetE0EEEvSD_.num_named_barrier, 0
	.set _ZN7rocprim17ROCPRIM_400000_NS6detail17trampoline_kernelINS0_14default_configENS1_35radix_sort_onesweep_config_selectorItNS0_10empty_typeEEEZNS1_34radix_sort_onesweep_global_offsetsIS3_Lb0EPKtPS5_mNS0_19identity_decomposerEEE10hipError_tT1_T2_PT3_SF_jT4_jjP12ihipStream_tbEUlT_E0_NS1_11comp_targetILNS1_3genE8ELNS1_11target_archE1030ELNS1_3gpuE2ELNS1_3repE0EEENS1_52radix_sort_onesweep_histogram_config_static_selectorELNS0_4arch9wavefront6targetE0EEEvSD_.private_seg_size, 0
	.set _ZN7rocprim17ROCPRIM_400000_NS6detail17trampoline_kernelINS0_14default_configENS1_35radix_sort_onesweep_config_selectorItNS0_10empty_typeEEEZNS1_34radix_sort_onesweep_global_offsetsIS3_Lb0EPKtPS5_mNS0_19identity_decomposerEEE10hipError_tT1_T2_PT3_SF_jT4_jjP12ihipStream_tbEUlT_E0_NS1_11comp_targetILNS1_3genE8ELNS1_11target_archE1030ELNS1_3gpuE2ELNS1_3repE0EEENS1_52radix_sort_onesweep_histogram_config_static_selectorELNS0_4arch9wavefront6targetE0EEEvSD_.uses_vcc, 0
	.set _ZN7rocprim17ROCPRIM_400000_NS6detail17trampoline_kernelINS0_14default_configENS1_35radix_sort_onesweep_config_selectorItNS0_10empty_typeEEEZNS1_34radix_sort_onesweep_global_offsetsIS3_Lb0EPKtPS5_mNS0_19identity_decomposerEEE10hipError_tT1_T2_PT3_SF_jT4_jjP12ihipStream_tbEUlT_E0_NS1_11comp_targetILNS1_3genE8ELNS1_11target_archE1030ELNS1_3gpuE2ELNS1_3repE0EEENS1_52radix_sort_onesweep_histogram_config_static_selectorELNS0_4arch9wavefront6targetE0EEEvSD_.uses_flat_scratch, 0
	.set _ZN7rocprim17ROCPRIM_400000_NS6detail17trampoline_kernelINS0_14default_configENS1_35radix_sort_onesweep_config_selectorItNS0_10empty_typeEEEZNS1_34radix_sort_onesweep_global_offsetsIS3_Lb0EPKtPS5_mNS0_19identity_decomposerEEE10hipError_tT1_T2_PT3_SF_jT4_jjP12ihipStream_tbEUlT_E0_NS1_11comp_targetILNS1_3genE8ELNS1_11target_archE1030ELNS1_3gpuE2ELNS1_3repE0EEENS1_52radix_sort_onesweep_histogram_config_static_selectorELNS0_4arch9wavefront6targetE0EEEvSD_.has_dyn_sized_stack, 0
	.set _ZN7rocprim17ROCPRIM_400000_NS6detail17trampoline_kernelINS0_14default_configENS1_35radix_sort_onesweep_config_selectorItNS0_10empty_typeEEEZNS1_34radix_sort_onesweep_global_offsetsIS3_Lb0EPKtPS5_mNS0_19identity_decomposerEEE10hipError_tT1_T2_PT3_SF_jT4_jjP12ihipStream_tbEUlT_E0_NS1_11comp_targetILNS1_3genE8ELNS1_11target_archE1030ELNS1_3gpuE2ELNS1_3repE0EEENS1_52radix_sort_onesweep_histogram_config_static_selectorELNS0_4arch9wavefront6targetE0EEEvSD_.has_recursion, 0
	.set _ZN7rocprim17ROCPRIM_400000_NS6detail17trampoline_kernelINS0_14default_configENS1_35radix_sort_onesweep_config_selectorItNS0_10empty_typeEEEZNS1_34radix_sort_onesweep_global_offsetsIS3_Lb0EPKtPS5_mNS0_19identity_decomposerEEE10hipError_tT1_T2_PT3_SF_jT4_jjP12ihipStream_tbEUlT_E0_NS1_11comp_targetILNS1_3genE8ELNS1_11target_archE1030ELNS1_3gpuE2ELNS1_3repE0EEENS1_52radix_sort_onesweep_histogram_config_static_selectorELNS0_4arch9wavefront6targetE0EEEvSD_.has_indirect_call, 0
	.section	.AMDGPU.csdata,"",@progbits
; Kernel info:
; codeLenInByte = 0
; TotalNumSgprs: 0
; NumVgprs: 0
; ScratchSize: 0
; MemoryBound: 0
; FloatMode: 240
; IeeeMode: 1
; LDSByteSize: 0 bytes/workgroup (compile time only)
; SGPRBlocks: 0
; VGPRBlocks: 0
; NumSGPRsForWavesPerEU: 1
; NumVGPRsForWavesPerEU: 1
; NamedBarCnt: 0
; Occupancy: 16
; WaveLimiterHint : 0
; COMPUTE_PGM_RSRC2:SCRATCH_EN: 0
; COMPUTE_PGM_RSRC2:USER_SGPR: 2
; COMPUTE_PGM_RSRC2:TRAP_HANDLER: 0
; COMPUTE_PGM_RSRC2:TGID_X_EN: 1
; COMPUTE_PGM_RSRC2:TGID_Y_EN: 0
; COMPUTE_PGM_RSRC2:TGID_Z_EN: 0
; COMPUTE_PGM_RSRC2:TIDIG_COMP_CNT: 0
	.section	.text._ZN7rocprim17ROCPRIM_400000_NS6detail17trampoline_kernelINS0_14default_configENS1_35radix_sort_onesweep_config_selectorItNS0_10empty_typeEEEZZNS1_29radix_sort_onesweep_iterationIS3_Lb0EPKtPtPS5_SB_mNS0_19identity_decomposerENS1_16block_id_wrapperIjLb1EEEEE10hipError_tT1_PNSt15iterator_traitsISG_E10value_typeET2_T3_PNSH_ISM_E10value_typeET4_T5_PSR_SS_PNS1_23onesweep_lookback_stateEbbT6_jjT7_P12ihipStream_tbENKUlT_T0_SG_SL_E_clIS9_SA_SB_SB_EEDaSZ_S10_SG_SL_EUlSZ_E_NS1_11comp_targetILNS1_3genE0ELNS1_11target_archE4294967295ELNS1_3gpuE0ELNS1_3repE0EEENS1_47radix_sort_onesweep_sort_config_static_selectorELNS0_4arch9wavefront6targetE0EEEvSG_,"axG",@progbits,_ZN7rocprim17ROCPRIM_400000_NS6detail17trampoline_kernelINS0_14default_configENS1_35radix_sort_onesweep_config_selectorItNS0_10empty_typeEEEZZNS1_29radix_sort_onesweep_iterationIS3_Lb0EPKtPtPS5_SB_mNS0_19identity_decomposerENS1_16block_id_wrapperIjLb1EEEEE10hipError_tT1_PNSt15iterator_traitsISG_E10value_typeET2_T3_PNSH_ISM_E10value_typeET4_T5_PSR_SS_PNS1_23onesweep_lookback_stateEbbT6_jjT7_P12ihipStream_tbENKUlT_T0_SG_SL_E_clIS9_SA_SB_SB_EEDaSZ_S10_SG_SL_EUlSZ_E_NS1_11comp_targetILNS1_3genE0ELNS1_11target_archE4294967295ELNS1_3gpuE0ELNS1_3repE0EEENS1_47radix_sort_onesweep_sort_config_static_selectorELNS0_4arch9wavefront6targetE0EEEvSG_,comdat
	.protected	_ZN7rocprim17ROCPRIM_400000_NS6detail17trampoline_kernelINS0_14default_configENS1_35radix_sort_onesweep_config_selectorItNS0_10empty_typeEEEZZNS1_29radix_sort_onesweep_iterationIS3_Lb0EPKtPtPS5_SB_mNS0_19identity_decomposerENS1_16block_id_wrapperIjLb1EEEEE10hipError_tT1_PNSt15iterator_traitsISG_E10value_typeET2_T3_PNSH_ISM_E10value_typeET4_T5_PSR_SS_PNS1_23onesweep_lookback_stateEbbT6_jjT7_P12ihipStream_tbENKUlT_T0_SG_SL_E_clIS9_SA_SB_SB_EEDaSZ_S10_SG_SL_EUlSZ_E_NS1_11comp_targetILNS1_3genE0ELNS1_11target_archE4294967295ELNS1_3gpuE0ELNS1_3repE0EEENS1_47radix_sort_onesweep_sort_config_static_selectorELNS0_4arch9wavefront6targetE0EEEvSG_ ; -- Begin function _ZN7rocprim17ROCPRIM_400000_NS6detail17trampoline_kernelINS0_14default_configENS1_35radix_sort_onesweep_config_selectorItNS0_10empty_typeEEEZZNS1_29radix_sort_onesweep_iterationIS3_Lb0EPKtPtPS5_SB_mNS0_19identity_decomposerENS1_16block_id_wrapperIjLb1EEEEE10hipError_tT1_PNSt15iterator_traitsISG_E10value_typeET2_T3_PNSH_ISM_E10value_typeET4_T5_PSR_SS_PNS1_23onesweep_lookback_stateEbbT6_jjT7_P12ihipStream_tbENKUlT_T0_SG_SL_E_clIS9_SA_SB_SB_EEDaSZ_S10_SG_SL_EUlSZ_E_NS1_11comp_targetILNS1_3genE0ELNS1_11target_archE4294967295ELNS1_3gpuE0ELNS1_3repE0EEENS1_47radix_sort_onesweep_sort_config_static_selectorELNS0_4arch9wavefront6targetE0EEEvSG_
	.globl	_ZN7rocprim17ROCPRIM_400000_NS6detail17trampoline_kernelINS0_14default_configENS1_35radix_sort_onesweep_config_selectorItNS0_10empty_typeEEEZZNS1_29radix_sort_onesweep_iterationIS3_Lb0EPKtPtPS5_SB_mNS0_19identity_decomposerENS1_16block_id_wrapperIjLb1EEEEE10hipError_tT1_PNSt15iterator_traitsISG_E10value_typeET2_T3_PNSH_ISM_E10value_typeET4_T5_PSR_SS_PNS1_23onesweep_lookback_stateEbbT6_jjT7_P12ihipStream_tbENKUlT_T0_SG_SL_E_clIS9_SA_SB_SB_EEDaSZ_S10_SG_SL_EUlSZ_E_NS1_11comp_targetILNS1_3genE0ELNS1_11target_archE4294967295ELNS1_3gpuE0ELNS1_3repE0EEENS1_47radix_sort_onesweep_sort_config_static_selectorELNS0_4arch9wavefront6targetE0EEEvSG_
	.p2align	8
	.type	_ZN7rocprim17ROCPRIM_400000_NS6detail17trampoline_kernelINS0_14default_configENS1_35radix_sort_onesweep_config_selectorItNS0_10empty_typeEEEZZNS1_29radix_sort_onesweep_iterationIS3_Lb0EPKtPtPS5_SB_mNS0_19identity_decomposerENS1_16block_id_wrapperIjLb1EEEEE10hipError_tT1_PNSt15iterator_traitsISG_E10value_typeET2_T3_PNSH_ISM_E10value_typeET4_T5_PSR_SS_PNS1_23onesweep_lookback_stateEbbT6_jjT7_P12ihipStream_tbENKUlT_T0_SG_SL_E_clIS9_SA_SB_SB_EEDaSZ_S10_SG_SL_EUlSZ_E_NS1_11comp_targetILNS1_3genE0ELNS1_11target_archE4294967295ELNS1_3gpuE0ELNS1_3repE0EEENS1_47radix_sort_onesweep_sort_config_static_selectorELNS0_4arch9wavefront6targetE0EEEvSG_,@function
_ZN7rocprim17ROCPRIM_400000_NS6detail17trampoline_kernelINS0_14default_configENS1_35radix_sort_onesweep_config_selectorItNS0_10empty_typeEEEZZNS1_29radix_sort_onesweep_iterationIS3_Lb0EPKtPtPS5_SB_mNS0_19identity_decomposerENS1_16block_id_wrapperIjLb1EEEEE10hipError_tT1_PNSt15iterator_traitsISG_E10value_typeET2_T3_PNSH_ISM_E10value_typeET4_T5_PSR_SS_PNS1_23onesweep_lookback_stateEbbT6_jjT7_P12ihipStream_tbENKUlT_T0_SG_SL_E_clIS9_SA_SB_SB_EEDaSZ_S10_SG_SL_EUlSZ_E_NS1_11comp_targetILNS1_3genE0ELNS1_11target_archE4294967295ELNS1_3gpuE0ELNS1_3repE0EEENS1_47radix_sort_onesweep_sort_config_static_selectorELNS0_4arch9wavefront6targetE0EEEvSG_: ; @_ZN7rocprim17ROCPRIM_400000_NS6detail17trampoline_kernelINS0_14default_configENS1_35radix_sort_onesweep_config_selectorItNS0_10empty_typeEEEZZNS1_29radix_sort_onesweep_iterationIS3_Lb0EPKtPtPS5_SB_mNS0_19identity_decomposerENS1_16block_id_wrapperIjLb1EEEEE10hipError_tT1_PNSt15iterator_traitsISG_E10value_typeET2_T3_PNSH_ISM_E10value_typeET4_T5_PSR_SS_PNS1_23onesweep_lookback_stateEbbT6_jjT7_P12ihipStream_tbENKUlT_T0_SG_SL_E_clIS9_SA_SB_SB_EEDaSZ_S10_SG_SL_EUlSZ_E_NS1_11comp_targetILNS1_3genE0ELNS1_11target_archE4294967295ELNS1_3gpuE0ELNS1_3repE0EEENS1_47radix_sort_onesweep_sort_config_static_selectorELNS0_4arch9wavefront6targetE0EEEvSG_
; %bb.0:
	s_clause 0x1
	s_load_b128 s[8:11], s[0:1], 0x28
	s_load_b64 s[20:21], s[0:1], 0x38
	v_and_b32_e32 v14, 0x3ff, v0
	s_delay_alu instid0(VALU_DEP_1)
	v_cmp_eq_u32_e64 s2, 0, v14
	s_and_saveexec_b32 s3, s2
	s_cbranch_execz .LBB2497_4
; %bb.1:
	s_mov_b32 s5, exec_lo
	s_mov_b32 s4, exec_lo
	v_mbcnt_lo_u32_b32 v1, s5, 0
                                        ; implicit-def: $vgpr2
	s_delay_alu instid0(VALU_DEP_1)
	v_cmpx_eq_u32_e32 0, v1
	s_cbranch_execz .LBB2497_3
; %bb.2:
	s_load_b64 s[6:7], s[0:1], 0x50
	s_bcnt1_i32_b32 s5, s5
	s_delay_alu instid0(SALU_CYCLE_1)
	v_dual_mov_b32 v2, 0 :: v_dual_mov_b32 v3, s5
	s_wait_xcnt 0x0
	s_wait_kmcnt 0x0
	global_atomic_add_u32 v2, v2, v3, s[6:7] th:TH_ATOMIC_RETURN scope:SCOPE_DEV
.LBB2497_3:
	s_wait_xcnt 0x0
	s_or_b32 exec_lo, exec_lo, s4
	s_wait_loadcnt 0x0
	v_readfirstlane_b32 s4, v2
	s_delay_alu instid0(VALU_DEP_1)
	v_dual_mov_b32 v2, 0 :: v_dual_add_nc_u32 v1, s4, v1
	ds_store_b32 v2, v1 offset:18496
.LBB2497_4:
	s_or_b32 exec_lo, exec_lo, s3
	v_mov_b32_e32 v3, 0
	s_clause 0x2
	s_load_b128 s[12:15], s[0:1], 0x0
	s_load_b32 s3, s[0:1], 0x20
	s_load_b96 s[16:18], s[0:1], 0x44
	s_wait_dscnt 0x0
	s_barrier_signal -1
	s_barrier_wait -1
	ds_load_b32 v1, v3 offset:18496
	v_mbcnt_lo_u32_b32 v15, -1, 0
	v_and_b32_e32 v16, 0x3e0, v14
	s_mov_b32 s4, -1
	s_add_nc_u64 s[24:25], s[0:1], 0x58
	s_getreg_b32 s7, hwreg(HW_REG_IB_STS2, 6, 4)
	s_wait_dscnt 0x0
	s_barrier_signal -1
	s_barrier_wait -1
	s_wait_kmcnt 0x0
	v_cmp_le_u32_e32 vcc_lo, s18, v1
	v_readfirstlane_b32 s19, v1
	s_mul_i32 s22, s19, 0x1800
	s_cbranch_vccz .LBB2497_100
; %bb.5:
	s_mov_b32 s23, 0
	v_mul_u32_u24_e32 v1, 12, v16
	v_lshlrev_b32_e32 v2, 1, v15
	s_lshl_b64 s[4:5], s[22:23], 1
	v_mov_b32_e32 v24, 0xffff
	s_add_nc_u64 s[4:5], s[12:13], s[4:5]
	v_or_b32_e32 v25, v15, v1
	v_add_nc_u64_e32 v[4:5], s[4:5], v[2:3]
	v_dual_mov_b32 v27, 0xffff :: v_dual_lshlrev_b32 v2, 1, v1
	v_dual_mov_b32 v1, -1 :: v_dual_mov_b32 v10, -1
	s_mulk_i32 s18, 0xe800
	s_delay_alu instid0(VALU_DEP_2)
	v_add_nc_u64_e32 v[2:3], v[4:5], v[2:3]
	s_add_co_i32 s18, s18, s3
	s_mov_b32 s3, exec_lo
	v_cmpx_gt_u32_e64 s18, v25
	s_cbranch_execz .LBB2497_7
; %bb.6:
	global_load_u16 v10, v[2:3], off
	s_wait_loadcnt 0x0
	v_and_b32_e32 v24, 0xffff, v10
.LBB2497_7:
	s_or_b32 exec_lo, exec_lo, s3
	v_or_b32_e32 v4, 32, v25
	s_mov_b32 s3, exec_lo
	s_delay_alu instid0(VALU_DEP_1)
	v_cmpx_gt_u32_e64 s18, v4
	s_cbranch_execz .LBB2497_9
; %bb.8:
	global_load_u16 v1, v[2:3], off offset:64
	s_wait_loadcnt 0x0
	v_and_b32_e32 v27, 0xffff, v1
.LBB2497_9:
	s_or_b32 exec_lo, exec_lo, s3
	v_dual_mov_b32 v11, -1 :: v_dual_bitop2_b32 v4, 64, v25 bitop3:0x54
	v_dual_mov_b32 v33, 0xffff :: v_dual_mov_b32 v12, -1
	v_mov_b32_e32 v30, 0xffff
	s_mov_b32 s3, exec_lo
	s_delay_alu instid0(VALU_DEP_3)
	v_cmpx_gt_u32_e64 s18, v4
	s_cbranch_execz .LBB2497_11
; %bb.10:
	global_load_u16 v12, v[2:3], off offset:128
	s_wait_loadcnt 0x0
	v_and_b32_e32 v30, 0xffff, v12
.LBB2497_11:
	s_or_b32 exec_lo, exec_lo, s3
	v_or_b32_e32 v4, 0x60, v25
	s_mov_b32 s3, exec_lo
	s_delay_alu instid0(VALU_DEP_1)
	v_cmpx_gt_u32_e64 s18, v4
	s_cbranch_execz .LBB2497_13
; %bb.12:
	global_load_u16 v11, v[2:3], off offset:192
	s_wait_loadcnt 0x0
	v_and_b32_e32 v33, 0xffff, v11
.LBB2497_13:
	s_or_b32 exec_lo, exec_lo, s3
	v_dual_mov_b32 v13, -1 :: v_dual_add_nc_u32 v4, 0x80, v25
	v_dual_mov_b32 v39, 0xffff :: v_dual_mov_b32 v36, 0xffff
	v_mov_b32_e32 v17, -1
	s_mov_b32 s3, exec_lo
	s_delay_alu instid0(VALU_DEP_3)
	v_cmpx_gt_u32_e64 s18, v4
	s_cbranch_execz .LBB2497_15
; %bb.14:
	global_load_u16 v17, v[2:3], off offset:256
	s_wait_loadcnt 0x0
	v_and_b32_e32 v36, 0xffff, v17
.LBB2497_15:
	s_or_b32 exec_lo, exec_lo, s3
	v_add_nc_u32_e32 v4, 0xa0, v25
	s_mov_b32 s3, exec_lo
	s_delay_alu instid0(VALU_DEP_1)
	v_cmpx_gt_u32_e64 s18, v4
	s_cbranch_execz .LBB2497_17
; %bb.16:
	global_load_u16 v13, v[2:3], off offset:320
	s_wait_loadcnt 0x0
	v_and_b32_e32 v39, 0xffff, v13
.LBB2497_17:
	s_or_b32 exec_lo, exec_lo, s3
	v_dual_mov_b32 v19, -1 :: v_dual_add_nc_u32 v4, 0xc0, v25
	v_dual_mov_b32 v8, 0xffff :: v_dual_mov_b32 v9, 0xffff
	v_mov_b32_e32 v18, -1
	s_mov_b32 s3, exec_lo
	s_delay_alu instid0(VALU_DEP_3)
	v_cmpx_gt_u32_e64 s18, v4
	s_cbranch_execz .LBB2497_19
; %bb.18:
	global_load_u16 v19, v[2:3], off offset:384
	s_wait_loadcnt 0x0
	v_and_b32_e32 v9, 0xffff, v19
.LBB2497_19:
	s_or_b32 exec_lo, exec_lo, s3
	v_add_nc_u32_e32 v4, 0xe0, v25
	;; [unrolled: 24-line block ×3, first 2 shown]
	s_mov_b32 s3, exec_lo
	s_delay_alu instid0(VALU_DEP_1)
	v_cmpx_gt_u32_e64 s18, v4
	s_cbranch_execz .LBB2497_25
; %bb.24:
	global_load_u16 v20, v[2:3], off offset:576
	s_wait_loadcnt 0x0
	v_and_b32_e32 v6, 0xffff, v20
.LBB2497_25:
	s_or_b32 exec_lo, exec_lo, s3
	v_dual_mov_b32 v22, -1 :: v_dual_add_nc_u32 v5, 0x140, v25
	v_dual_mov_b32 v4, 0xffff :: v_dual_mov_b32 v23, -1
	s_delay_alu instid0(VALU_DEP_2)
	v_cmp_gt_u32_e32 vcc_lo, s18, v5
	v_mov_b32_e32 v5, 0xffff
	s_and_saveexec_b32 s3, vcc_lo
	s_cbranch_execz .LBB2497_27
; %bb.26:
	global_load_u16 v23, v[2:3], off offset:640
	s_wait_loadcnt 0x0
	v_and_b32_e32 v5, 0xffff, v23
.LBB2497_27:
	s_or_b32 exec_lo, exec_lo, s3
	v_add_nc_u32_e32 v25, 0x160, v25
	s_mov_b32 s3, exec_lo
	s_delay_alu instid0(VALU_DEP_1)
	v_cmpx_gt_u32_e64 s18, v25
	s_cbranch_execz .LBB2497_29
; %bb.28:
	global_load_u16 v22, v[2:3], off offset:704
	s_wait_loadcnt 0x0
	v_and_b32_e32 v4, 0xffff, v22
.LBB2497_29:
	s_or_b32 exec_lo, exec_lo, s3
	s_clause 0x1
	s_load_b32 s23, s[0:1], 0x58
	s_load_u16 s3, s[0:1], 0x66
	s_bfe_u32 s4, ttmp6, 0x4000c
	s_and_b32 s5, ttmp6, 15
	s_add_co_i32 s4, s4, 1
	v_lshrrev_b32_e32 v24, s16, v24
	s_mul_i32 s4, ttmp9, s4
	v_bfe_u32 v2, v0, 10, 10
	s_add_co_i32 s5, s5, s4
	s_cmp_eq_u32 s7, 0
	v_bfe_u32 v3, v0, 20, 10
	s_cselect_b32 s4, ttmp9, s5
	s_mov_b32 s5, 0
	s_wait_kmcnt 0x0
	s_cmp_lt_u32 s4, s23
	v_mad_u32_u24 v2, v3, s3, v2
	s_cselect_b32 s4, 12, 18
	s_lshl_b32 s26, -1, s17
	s_add_nc_u64 s[4:5], s[24:25], s[4:5]
	v_bitop3_b32 v26, v24, s26, v24 bitop3:0x30
	s_load_u16 s27, s[4:5], 0x0
	s_delay_alu instid0(VALU_DEP_1) | instskip(SKIP_3) | instid1(VALU_DEP_3)
	v_lshlrev_b32_e32 v25, 30, v26
	v_bitop3_b32 v3, v24, 1, s26 bitop3:0x40
	v_dual_lshlrev_b32 v28, 29, v26 :: v_dual_lshlrev_b32 v29, 28, v26
	v_dual_lshlrev_b32 v31, 27, v26 :: v_dual_lshlrev_b32 v32, 26, v26
	v_add_co_u32 v3, s3, v3, -1
	s_delay_alu instid0(VALU_DEP_1)
	v_cndmask_b32_e64 v24, 0, 1, s3
	v_cmp_gt_i32_e64 s3, 0, v25
	s_wait_xcnt 0x0
	v_cmp_gt_i32_e64 s4, 0, v28
	v_dual_lshlrev_b32 v34, 25, v26 :: v_dual_lshlrev_b32 v35, 24, v26
	v_cmp_ne_u32_e32 vcc_lo, 0, v24
	v_not_b32_e32 v24, v25
	v_not_b32_e32 v25, v28
	;; [unrolled: 1-line block ×3, first 2 shown]
	v_cmp_gt_i32_e64 s5, 0, v29
	v_cmp_gt_i32_e64 s6, 0, v31
	v_dual_ashrrev_i32 v24, 31, v24 :: v_dual_bitop2_b32 v3, vcc_lo, v3 bitop3:0x14
	v_not_b32_e32 v29, v31
	v_dual_ashrrev_i32 v25, 31, v25 :: v_dual_ashrrev_i32 v28, 31, v28
	s_delay_alu instid0(VALU_DEP_3)
	v_xor_b32_e32 v24, s3, v24
	v_not_b32_e32 v31, v32
	s_wait_kmcnt 0x0
	v_mad_u32 v2, v2, s27, v14
	v_ashrrev_i32_e32 v29, 31, v29
	v_xor_b32_e32 v25, s4, v25
	v_xor_b32_e32 v28, s5, v28
	v_bitop3_b32 v3, v3, v24, exec_lo bitop3:0x80
	v_cmp_gt_i32_e32 vcc_lo, 0, v32
	v_ashrrev_i32_e32 v24, 31, v31
	v_not_b32_e32 v31, v34
	v_xor_b32_e32 v29, s6, v29
	v_bitop3_b32 v3, v3, v28, v25 bitop3:0x80
	v_not_b32_e32 v25, v35
	v_xor_b32_e32 v24, vcc_lo, v24
	v_cmp_gt_i32_e32 vcc_lo, 0, v34
	v_ashrrev_i32_e32 v28, 31, v31
	v_cmp_gt_i32_e64 s3, 0, v35
	v_ashrrev_i32_e32 v31, 31, v25
	v_bitop3_b32 v3, v3, v24, v29 bitop3:0x80
	s_delay_alu instid0(VALU_DEP_4) | instskip(SKIP_3) | instid1(VALU_DEP_4)
	v_dual_lshrrev_b32 v2, 3, v2 :: v_dual_bitop2_b32 v24, vcc_lo, v28 bitop3:0x14
	v_mul_u32_u24_e32 v26, 0x44, v26
	v_mul_u32_u24_e32 v25, 36, v14
	v_mov_b32_e32 v29, 0
	v_and_b32_e32 v2, 0x1ffffffc, v2
	v_xor_b32_e32 v28, s3, v31
	s_not_b32 s26, s26
	ds_store_2addr_b32 v25, v29, v29 offset0:16 offset1:17
	ds_store_2addr_b32 v25, v29, v29 offset0:18 offset1:19
	;; [unrolled: 1-line block ×4, first 2 shown]
	v_add_nc_u32_e32 v26, v2, v26
	v_bitop3_b32 v3, v3, v28, v24 bitop3:0x80
	ds_store_b32 v25, v29 offset:96
	s_wait_dscnt 0x0
	s_barrier_signal -1
	s_barrier_wait -1
	v_mbcnt_lo_u32_b32 v24, v3, 0
	v_cmp_ne_u32_e64 s3, 0, v3
	; wave barrier
	s_delay_alu instid0(VALU_DEP_2) | instskip(SKIP_1) | instid1(SALU_CYCLE_1)
	v_cmp_eq_u32_e32 vcc_lo, 0, v24
	s_and_b32 s4, s3, vcc_lo
	s_and_saveexec_b32 s3, s4
; %bb.30:
	v_bcnt_u32_b32 v3, v3, 0
	ds_store_b32 v26, v3 offset:64
; %bb.31:
	s_or_b32 exec_lo, exec_lo, s3
	v_lshrrev_b32_e32 v3, s16, v27
	; wave barrier
	s_delay_alu instid0(VALU_DEP_1) | instskip(NEXT) | instid1(VALU_DEP_1)
	v_and_b32_e32 v29, s26, v3
	v_lshlrev_b32_e32 v28, 30, v29
	v_bitop3_b32 v27, v3, 1, s26 bitop3:0x80
	v_lshlrev_b32_e32 v31, 29, v29
	s_delay_alu instid0(VALU_DEP_2) | instskip(NEXT) | instid1(VALU_DEP_1)
	v_add_co_u32 v3, s3, v27, -1
	v_cndmask_b32_e64 v27, 0, 1, s3
	v_cmp_gt_i32_e64 s3, 0, v28
	s_delay_alu instid0(VALU_DEP_2) | instskip(SKIP_2) | instid1(VALU_DEP_1)
	v_cmp_ne_u32_e32 vcc_lo, 0, v27
	v_not_b32_e32 v27, v28
	v_not_b32_e32 v28, v31
	v_dual_ashrrev_i32 v28, 31, v28 :: v_dual_lshlrev_b32 v32, 28, v29
	v_dual_lshlrev_b32 v34, 27, v29 :: v_dual_lshlrev_b32 v35, 26, v29
	v_cmp_gt_i32_e64 s4, 0, v31
	v_ashrrev_i32_e32 v27, 31, v27
	s_delay_alu instid0(VALU_DEP_4)
	v_not_b32_e32 v31, v32
	v_cmp_gt_i32_e64 s5, 0, v32
	v_cmp_gt_i32_e64 s6, 0, v34
	v_not_b32_e32 v32, v34
	v_xor_b32_e32 v3, vcc_lo, v3
	v_not_b32_e32 v34, v35
	v_dual_ashrrev_i32 v31, 31, v31 :: v_dual_bitop2_b32 v28, s4, v28 bitop3:0x14
	v_dual_lshlrev_b32 v37, 25, v29 :: v_dual_bitop2_b32 v27, s3, v27 bitop3:0x14
	v_lshlrev_b32_e32 v38, 24, v29
	v_cmp_gt_i32_e32 vcc_lo, 0, v35
	s_delay_alu instid0(VALU_DEP_3) | instskip(SKIP_4) | instid1(VALU_DEP_3)
	v_bitop3_b32 v3, v3, v27, exec_lo bitop3:0x80
	v_dual_ashrrev_i32 v27, 31, v32 :: v_dual_ashrrev_i32 v32, 31, v34
	v_xor_b32_e32 v31, s5, v31
	v_not_b32_e32 v34, v37
	v_cmp_gt_i32_e64 s3, 0, v38
	v_bitop3_b32 v3, v3, v31, v28 bitop3:0x80
	v_not_b32_e32 v28, v38
	v_xor_b32_e32 v31, vcc_lo, v32
	v_cmp_gt_i32_e32 vcc_lo, 0, v37
	v_ashrrev_i32_e32 v32, 31, v34
	v_mad_u32_u24 v34, 0x44, v29, v2
	v_ashrrev_i32_e32 v28, 31, v28
	v_mul_u32_u24_e32 v29, 0x44, v29
	v_xor_b32_e32 v27, s6, v27
	s_delay_alu instid0(VALU_DEP_2) | instskip(NEXT) | instid1(VALU_DEP_2)
	v_dual_add_nc_u32 v29, v2, v29 :: v_dual_bitop2_b32 v28, s3, v28 bitop3:0x14
	v_bitop3_b32 v3, v3, v31, v27 bitop3:0x80
	v_xor_b32_e32 v31, vcc_lo, v32
	ds_load_b32 v27, v34 offset:64
	; wave barrier
	v_bitop3_b32 v3, v3, v28, v31 bitop3:0x80
	s_delay_alu instid0(VALU_DEP_1) | instskip(SKIP_1) | instid1(VALU_DEP_2)
	v_mbcnt_lo_u32_b32 v28, v3, 0
	v_cmp_ne_u32_e64 s3, 0, v3
	v_cmp_eq_u32_e32 vcc_lo, 0, v28
	s_and_b32 s4, s3, vcc_lo
	s_delay_alu instid0(SALU_CYCLE_1)
	s_and_saveexec_b32 s3, s4
	s_cbranch_execz .LBB2497_33
; %bb.32:
	s_wait_dscnt 0x0
	v_bcnt_u32_b32 v3, v3, v27
	ds_store_b32 v29, v3 offset:64
.LBB2497_33:
	s_or_b32 exec_lo, exec_lo, s3
	v_lshrrev_b32_e32 v3, s16, v30
	; wave barrier
	s_delay_alu instid0(VALU_DEP_1) | instskip(NEXT) | instid1(VALU_DEP_1)
	v_and_b32_e32 v32, s26, v3
	v_lshlrev_b32_e32 v31, 30, v32
	v_bitop3_b32 v30, v3, 1, s26 bitop3:0x80
	s_delay_alu instid0(VALU_DEP_1) | instskip(NEXT) | instid1(VALU_DEP_1)
	v_add_co_u32 v3, s3, v30, -1
	v_cndmask_b32_e64 v30, 0, 1, s3
	s_delay_alu instid0(VALU_DEP_4) | instskip(NEXT) | instid1(VALU_DEP_2)
	v_cmp_gt_i32_e64 s3, 0, v31
	v_cmp_ne_u32_e32 vcc_lo, 0, v30
	v_not_b32_e32 v30, v31
	s_delay_alu instid0(VALU_DEP_1) | instskip(SKIP_3) | instid1(VALU_DEP_4)
	v_dual_ashrrev_i32 v30, 31, v30 :: v_dual_lshlrev_b32 v34, 29, v32
	v_dual_lshlrev_b32 v35, 28, v32 :: v_dual_lshlrev_b32 v37, 27, v32
	v_dual_lshlrev_b32 v38, 26, v32 :: v_dual_lshlrev_b32 v40, 25, v32
	v_lshlrev_b32_e32 v41, 24, v32
	v_cmp_gt_i32_e64 s4, 0, v34
	v_not_b32_e32 v31, v34
	v_not_b32_e32 v34, v35
	v_cmp_gt_i32_e64 s5, 0, v35
	v_xor_b32_e32 v3, vcc_lo, v3
	s_delay_alu instid0(VALU_DEP_4) | instskip(NEXT) | instid1(VALU_DEP_4)
	v_dual_ashrrev_i32 v31, 31, v31 :: v_dual_bitop2_b32 v30, s3, v30 bitop3:0x14
	v_ashrrev_i32_e32 v34, 31, v34
	v_cmp_gt_i32_e64 s6, 0, v37
	v_not_b32_e32 v35, v37
	v_not_b32_e32 v37, v38
	v_xor_b32_e32 v31, s4, v31
	v_xor_b32_e32 v34, s5, v34
	v_bitop3_b32 v3, v3, v30, exec_lo bitop3:0x80
	v_ashrrev_i32_e32 v30, 31, v35
	v_cmp_gt_i32_e32 vcc_lo, 0, v38
	v_ashrrev_i32_e32 v35, 31, v37
	v_not_b32_e32 v37, v40
	v_bitop3_b32 v3, v3, v34, v31 bitop3:0x80
	v_not_b32_e32 v31, v41
	v_xor_b32_e32 v30, s6, v30
	v_xor_b32_e32 v34, vcc_lo, v35
	v_cmp_gt_i32_e32 vcc_lo, 0, v40
	v_ashrrev_i32_e32 v35, 31, v37
	v_cmp_gt_i32_e64 s3, 0, v41
	v_ashrrev_i32_e32 v31, 31, v31
	v_mad_u32_u24 v37, 0x44, v32, v2
	v_mul_u32_u24_e32 v32, 0x44, v32
	s_delay_alu instid0(VALU_DEP_1) | instskip(SKIP_4) | instid1(VALU_DEP_1)
	v_dual_add_nc_u32 v32, v2, v32 :: v_dual_bitop2_b32 v31, s3, v31 bitop3:0x14
	v_bitop3_b32 v3, v3, v34, v30 bitop3:0x80
	v_xor_b32_e32 v34, vcc_lo, v35
	ds_load_b32 v30, v37 offset:64
	; wave barrier
	v_bitop3_b32 v3, v3, v31, v34 bitop3:0x80
	v_mbcnt_lo_u32_b32 v31, v3, 0
	v_cmp_ne_u32_e64 s3, 0, v3
	s_delay_alu instid0(VALU_DEP_2) | instskip(SKIP_1) | instid1(SALU_CYCLE_1)
	v_cmp_eq_u32_e32 vcc_lo, 0, v31
	s_and_b32 s4, s3, vcc_lo
	s_and_saveexec_b32 s3, s4
	s_cbranch_execz .LBB2497_35
; %bb.34:
	s_wait_dscnt 0x0
	v_bcnt_u32_b32 v3, v3, v30
	ds_store_b32 v32, v3 offset:64
.LBB2497_35:
	s_or_b32 exec_lo, exec_lo, s3
	v_lshrrev_b32_e32 v3, s16, v33
	; wave barrier
	s_delay_alu instid0(VALU_DEP_1) | instskip(NEXT) | instid1(VALU_DEP_1)
	v_and_b32_e32 v35, s26, v3
	v_lshlrev_b32_e32 v34, 30, v35
	v_bitop3_b32 v33, v3, 1, s26 bitop3:0x80
	s_delay_alu instid0(VALU_DEP_1) | instskip(NEXT) | instid1(VALU_DEP_1)
	v_add_co_u32 v3, s3, v33, -1
	v_cndmask_b32_e64 v33, 0, 1, s3
	s_delay_alu instid0(VALU_DEP_4) | instskip(NEXT) | instid1(VALU_DEP_2)
	v_cmp_gt_i32_e64 s3, 0, v34
	v_cmp_ne_u32_e32 vcc_lo, 0, v33
	v_not_b32_e32 v33, v34
	s_delay_alu instid0(VALU_DEP_1) | instskip(SKIP_3) | instid1(VALU_DEP_4)
	v_dual_ashrrev_i32 v33, 31, v33 :: v_dual_lshlrev_b32 v37, 29, v35
	v_dual_lshlrev_b32 v38, 28, v35 :: v_dual_lshlrev_b32 v40, 27, v35
	v_dual_lshlrev_b32 v41, 26, v35 :: v_dual_lshlrev_b32 v42, 25, v35
	v_lshlrev_b32_e32 v43, 24, v35
	v_cmp_gt_i32_e64 s4, 0, v37
	v_not_b32_e32 v34, v37
	v_not_b32_e32 v37, v38
	v_cmp_gt_i32_e64 s5, 0, v38
	v_cmp_gt_i32_e64 s6, 0, v40
	s_delay_alu instid0(VALU_DEP_4) | instskip(NEXT) | instid1(VALU_DEP_4)
	v_dual_ashrrev_i32 v34, 31, v34 :: v_dual_bitop2_b32 v3, vcc_lo, v3 bitop3:0x14
	v_ashrrev_i32_e32 v37, 31, v37
	v_not_b32_e32 v38, v40
	v_not_b32_e32 v40, v41
	v_xor_b32_e32 v33, s3, v33
	v_xor_b32_e32 v34, s4, v34
	;; [unrolled: 1-line block ×3, first 2 shown]
	v_cmp_gt_i32_e32 vcc_lo, 0, v41
	v_cmp_gt_i32_e64 s3, 0, v43
	v_bitop3_b32 v3, v3, v33, exec_lo bitop3:0x80
	v_dual_ashrrev_i32 v33, 31, v38 :: v_dual_ashrrev_i32 v38, 31, v40
	v_not_b32_e32 v40, v42
	s_delay_alu instid0(VALU_DEP_3) | instskip(SKIP_1) | instid1(VALU_DEP_4)
	v_bitop3_b32 v3, v3, v37, v34 bitop3:0x80
	v_not_b32_e32 v34, v43
	v_xor_b32_e32 v33, s6, v33
	v_xor_b32_e32 v37, vcc_lo, v38
	v_cmp_gt_i32_e32 vcc_lo, 0, v42
	s_delay_alu instid0(VALU_DEP_4) | instskip(SKIP_2) | instid1(VALU_DEP_1)
	v_dual_ashrrev_i32 v38, 31, v40 :: v_dual_ashrrev_i32 v34, 31, v34
	v_mad_u32_u24 v40, 0x44, v35, v2
	v_mul_u32_u24_e32 v35, 0x44, v35
	v_dual_add_nc_u32 v35, v2, v35 :: v_dual_bitop2_b32 v34, s3, v34 bitop3:0x14
	v_bitop3_b32 v3, v3, v37, v33 bitop3:0x80
	v_xor_b32_e32 v37, vcc_lo, v38
	ds_load_b32 v33, v40 offset:64
	; wave barrier
	v_bitop3_b32 v3, v3, v34, v37 bitop3:0x80
	s_delay_alu instid0(VALU_DEP_1) | instskip(SKIP_1) | instid1(VALU_DEP_2)
	v_mbcnt_lo_u32_b32 v34, v3, 0
	v_cmp_ne_u32_e64 s3, 0, v3
	v_cmp_eq_u32_e32 vcc_lo, 0, v34
	s_and_b32 s4, s3, vcc_lo
	s_delay_alu instid0(SALU_CYCLE_1)
	s_and_saveexec_b32 s3, s4
	s_cbranch_execz .LBB2497_37
; %bb.36:
	s_wait_dscnt 0x0
	v_bcnt_u32_b32 v3, v3, v33
	ds_store_b32 v35, v3 offset:64
.LBB2497_37:
	s_or_b32 exec_lo, exec_lo, s3
	v_lshrrev_b32_e32 v3, s16, v36
	; wave barrier
	s_delay_alu instid0(VALU_DEP_1) | instskip(NEXT) | instid1(VALU_DEP_1)
	v_and_b32_e32 v38, s26, v3
	v_lshlrev_b32_e32 v37, 30, v38
	v_bitop3_b32 v36, v3, 1, s26 bitop3:0x80
	s_delay_alu instid0(VALU_DEP_1) | instskip(NEXT) | instid1(VALU_DEP_1)
	v_add_co_u32 v3, s3, v36, -1
	v_cndmask_b32_e64 v36, 0, 1, s3
	s_delay_alu instid0(VALU_DEP_4) | instskip(NEXT) | instid1(VALU_DEP_2)
	v_cmp_gt_i32_e64 s3, 0, v37
	v_cmp_ne_u32_e32 vcc_lo, 0, v36
	v_not_b32_e32 v36, v37
	s_delay_alu instid0(VALU_DEP_1) | instskip(SKIP_3) | instid1(VALU_DEP_4)
	v_dual_ashrrev_i32 v36, 31, v36 :: v_dual_lshlrev_b32 v40, 29, v38
	v_dual_lshlrev_b32 v41, 28, v38 :: v_dual_lshlrev_b32 v42, 27, v38
	v_dual_lshlrev_b32 v43, 26, v38 :: v_dual_lshlrev_b32 v44, 25, v38
	v_lshlrev_b32_e32 v45, 24, v38
	v_cmp_gt_i32_e64 s4, 0, v40
	v_not_b32_e32 v37, v40
	v_not_b32_e32 v40, v41
	v_cmp_gt_i32_e64 s5, 0, v41
	v_cmp_gt_i32_e64 s6, 0, v42
	s_delay_alu instid0(VALU_DEP_4) | instskip(NEXT) | instid1(VALU_DEP_4)
	v_dual_ashrrev_i32 v37, 31, v37 :: v_dual_bitop2_b32 v3, vcc_lo, v3 bitop3:0x14
	v_ashrrev_i32_e32 v40, 31, v40
	v_not_b32_e32 v41, v42
	v_not_b32_e32 v42, v43
	v_xor_b32_e32 v36, s3, v36
	v_xor_b32_e32 v37, s4, v37
	;; [unrolled: 1-line block ×3, first 2 shown]
	v_cmp_gt_i32_e32 vcc_lo, 0, v43
	v_cmp_gt_i32_e64 s3, 0, v45
	v_bitop3_b32 v3, v3, v36, exec_lo bitop3:0x80
	v_dual_ashrrev_i32 v36, 31, v41 :: v_dual_ashrrev_i32 v41, 31, v42
	v_not_b32_e32 v42, v44
	s_delay_alu instid0(VALU_DEP_3) | instskip(SKIP_1) | instid1(VALU_DEP_4)
	v_bitop3_b32 v3, v3, v40, v37 bitop3:0x80
	v_not_b32_e32 v37, v45
	v_xor_b32_e32 v36, s6, v36
	v_xor_b32_e32 v40, vcc_lo, v41
	v_cmp_gt_i32_e32 vcc_lo, 0, v44
	s_delay_alu instid0(VALU_DEP_4) | instskip(SKIP_2) | instid1(VALU_DEP_1)
	v_dual_ashrrev_i32 v41, 31, v42 :: v_dual_ashrrev_i32 v37, 31, v37
	v_mad_u32_u24 v42, 0x44, v38, v2
	v_mul_u32_u24_e32 v38, 0x44, v38
	v_dual_add_nc_u32 v38, v2, v38 :: v_dual_bitop2_b32 v37, s3, v37 bitop3:0x14
	v_bitop3_b32 v3, v3, v40, v36 bitop3:0x80
	v_xor_b32_e32 v40, vcc_lo, v41
	ds_load_b32 v36, v42 offset:64
	; wave barrier
	v_bitop3_b32 v3, v3, v37, v40 bitop3:0x80
	s_delay_alu instid0(VALU_DEP_1) | instskip(SKIP_1) | instid1(VALU_DEP_2)
	v_mbcnt_lo_u32_b32 v37, v3, 0
	v_cmp_ne_u32_e64 s3, 0, v3
	v_cmp_eq_u32_e32 vcc_lo, 0, v37
	s_and_b32 s4, s3, vcc_lo
	s_delay_alu instid0(SALU_CYCLE_1)
	s_and_saveexec_b32 s3, s4
	s_cbranch_execz .LBB2497_39
; %bb.38:
	s_wait_dscnt 0x0
	v_bcnt_u32_b32 v3, v3, v36
	ds_store_b32 v38, v3 offset:64
.LBB2497_39:
	s_or_b32 exec_lo, exec_lo, s3
	v_lshrrev_b32_e32 v3, s16, v39
	; wave barrier
	s_delay_alu instid0(VALU_DEP_1) | instskip(NEXT) | instid1(VALU_DEP_1)
	v_and_b32_e32 v41, s26, v3
	v_lshlrev_b32_e32 v40, 30, v41
	v_bitop3_b32 v39, v3, 1, s26 bitop3:0x80
	v_lshlrev_b32_e32 v42, 29, v41
	s_delay_alu instid0(VALU_DEP_2) | instskip(NEXT) | instid1(VALU_DEP_1)
	v_add_co_u32 v3, s3, v39, -1
	v_cndmask_b32_e64 v39, 0, 1, s3
	v_cmp_gt_i32_e64 s3, 0, v40
	s_delay_alu instid0(VALU_DEP_2) | instskip(SKIP_2) | instid1(VALU_DEP_1)
	v_cmp_ne_u32_e32 vcc_lo, 0, v39
	v_not_b32_e32 v39, v40
	v_not_b32_e32 v40, v42
	v_dual_ashrrev_i32 v40, 31, v40 :: v_dual_lshlrev_b32 v43, 28, v41
	v_dual_lshlrev_b32 v44, 27, v41 :: v_dual_lshlrev_b32 v45, 26, v41
	v_cmp_gt_i32_e64 s4, 0, v42
	v_dual_lshlrev_b32 v46, 25, v41 :: v_dual_lshlrev_b32 v47, 24, v41
	s_delay_alu instid0(VALU_DEP_4) | instskip(SKIP_4) | instid1(VALU_DEP_4)
	v_not_b32_e32 v42, v43
	v_ashrrev_i32_e32 v39, 31, v39
	v_cmp_gt_i32_e64 s5, 0, v43
	v_cmp_gt_i32_e64 s6, 0, v44
	v_not_b32_e32 v43, v44
	v_dual_ashrrev_i32 v42, 31, v42 :: v_dual_bitop2_b32 v39, s3, v39 bitop3:0x14
	v_not_b32_e32 v44, v45
	v_xor_b32_e32 v3, vcc_lo, v3
	v_xor_b32_e32 v40, s4, v40
	s_delay_alu instid0(VALU_DEP_4)
	v_xor_b32_e32 v42, s5, v42
	v_cmp_gt_i32_e32 vcc_lo, 0, v45
	v_cmp_gt_i32_e64 s3, 0, v47
	v_bitop3_b32 v3, v3, v39, exec_lo bitop3:0x80
	v_dual_ashrrev_i32 v39, 31, v43 :: v_dual_ashrrev_i32 v43, 31, v44
	v_not_b32_e32 v44, v46
	s_delay_alu instid0(VALU_DEP_3) | instskip(SKIP_1) | instid1(VALU_DEP_4)
	v_bitop3_b32 v3, v3, v42, v40 bitop3:0x80
	v_not_b32_e32 v40, v47
	v_xor_b32_e32 v42, vcc_lo, v43
	v_cmp_gt_i32_e32 vcc_lo, 0, v46
	v_ashrrev_i32_e32 v43, 31, v44
	v_mad_u32_u24 v44, 0x44, v41, v2
	v_ashrrev_i32_e32 v40, 31, v40
	v_mul_u32_u24_e32 v41, 0x44, v41
	v_xor_b32_e32 v39, s6, v39
	s_delay_alu instid0(VALU_DEP_2) | instskip(NEXT) | instid1(VALU_DEP_2)
	v_dual_add_nc_u32 v41, v2, v41 :: v_dual_bitop2_b32 v40, s3, v40 bitop3:0x14
	v_bitop3_b32 v3, v3, v42, v39 bitop3:0x80
	v_xor_b32_e32 v42, vcc_lo, v43
	ds_load_b32 v39, v44 offset:64
	; wave barrier
	v_bitop3_b32 v3, v3, v40, v42 bitop3:0x80
	s_delay_alu instid0(VALU_DEP_1) | instskip(SKIP_1) | instid1(VALU_DEP_2)
	v_mbcnt_lo_u32_b32 v40, v3, 0
	v_cmp_ne_u32_e64 s3, 0, v3
	v_cmp_eq_u32_e32 vcc_lo, 0, v40
	s_and_b32 s4, s3, vcc_lo
	s_delay_alu instid0(SALU_CYCLE_1)
	s_and_saveexec_b32 s3, s4
	s_cbranch_execz .LBB2497_41
; %bb.40:
	s_wait_dscnt 0x0
	v_bcnt_u32_b32 v3, v3, v39
	ds_store_b32 v41, v3 offset:64
.LBB2497_41:
	s_or_b32 exec_lo, exec_lo, s3
	v_lshrrev_b32_e32 v3, s16, v9
	; wave barrier
	s_delay_alu instid0(VALU_DEP_1) | instskip(NEXT) | instid1(VALU_DEP_1)
	v_and_b32_e32 v44, s26, v3
	v_lshlrev_b32_e32 v42, 30, v44
	v_bitop3_b32 v9, v3, 1, s26 bitop3:0x80
	s_delay_alu instid0(VALU_DEP_1) | instskip(NEXT) | instid1(VALU_DEP_1)
	v_add_co_u32 v3, s3, v9, -1
	v_cndmask_b32_e64 v9, 0, 1, s3
	s_delay_alu instid0(VALU_DEP_4) | instskip(NEXT) | instid1(VALU_DEP_2)
	v_cmp_gt_i32_e64 s3, 0, v42
	v_cmp_ne_u32_e32 vcc_lo, 0, v9
	v_not_b32_e32 v9, v42
	s_delay_alu instid0(VALU_DEP_1) | instskip(SKIP_3) | instid1(VALU_DEP_4)
	v_dual_ashrrev_i32 v9, 31, v9 :: v_dual_lshlrev_b32 v43, 29, v44
	v_dual_lshlrev_b32 v45, 28, v44 :: v_dual_lshlrev_b32 v46, 27, v44
	v_dual_lshlrev_b32 v47, 26, v44 :: v_dual_lshlrev_b32 v48, 25, v44
	v_lshlrev_b32_e32 v49, 24, v44
	v_cmp_gt_i32_e64 s4, 0, v43
	v_not_b32_e32 v42, v43
	v_not_b32_e32 v43, v45
	v_cmp_gt_i32_e64 s5, 0, v45
	v_xor_b32_e32 v3, vcc_lo, v3
	s_delay_alu instid0(VALU_DEP_4) | instskip(NEXT) | instid1(VALU_DEP_4)
	v_dual_ashrrev_i32 v42, 31, v42 :: v_dual_bitop2_b32 v9, s3, v9 bitop3:0x14
	v_ashrrev_i32_e32 v43, 31, v43
	v_cmp_gt_i32_e64 s6, 0, v46
	v_not_b32_e32 v45, v46
	v_not_b32_e32 v46, v47
	v_xor_b32_e32 v42, s4, v42
	v_xor_b32_e32 v43, s5, v43
	v_bitop3_b32 v3, v3, v9, exec_lo bitop3:0x80
	v_ashrrev_i32_e32 v9, 31, v45
	v_cmp_gt_i32_e32 vcc_lo, 0, v47
	v_ashrrev_i32_e32 v45, 31, v46
	v_not_b32_e32 v46, v48
	v_bitop3_b32 v3, v3, v43, v42 bitop3:0x80
	v_not_b32_e32 v42, v49
	v_xor_b32_e32 v9, s6, v9
	v_xor_b32_e32 v43, vcc_lo, v45
	v_cmp_gt_i32_e32 vcc_lo, 0, v48
	v_ashrrev_i32_e32 v45, 31, v46
	v_cmp_gt_i32_e64 s3, 0, v49
	v_ashrrev_i32_e32 v42, 31, v42
	v_mad_u32_u24 v46, 0x44, v44, v2
	v_bitop3_b32 v3, v3, v43, v9 bitop3:0x80
	v_xor_b32_e32 v9, vcc_lo, v45
	s_delay_alu instid0(VALU_DEP_4) | instskip(SKIP_3) | instid1(VALU_DEP_2)
	v_xor_b32_e32 v43, s3, v42
	ds_load_b32 v42, v46 offset:64
	; wave barrier
	v_bitop3_b32 v3, v3, v43, v9 bitop3:0x80
	v_mul_u32_u24_e32 v9, 0x44, v44
	v_mbcnt_lo_u32_b32 v43, v3, 0
	v_cmp_ne_u32_e64 s3, 0, v3
	s_delay_alu instid0(VALU_DEP_3) | instskip(NEXT) | instid1(VALU_DEP_3)
	v_add_nc_u32_e32 v45, v2, v9
	v_cmp_eq_u32_e32 vcc_lo, 0, v43
	s_and_b32 s4, s3, vcc_lo
	s_delay_alu instid0(SALU_CYCLE_1)
	s_and_saveexec_b32 s3, s4
	s_cbranch_execz .LBB2497_43
; %bb.42:
	s_wait_dscnt 0x0
	v_bcnt_u32_b32 v3, v3, v42
	ds_store_b32 v45, v3 offset:64
.LBB2497_43:
	s_or_b32 exec_lo, exec_lo, s3
	v_lshrrev_b32_e32 v3, s16, v8
	; wave barrier
	s_delay_alu instid0(VALU_DEP_1) | instskip(NEXT) | instid1(VALU_DEP_1)
	v_and_b32_e32 v9, s26, v3
	v_lshlrev_b32_e32 v44, 30, v9
	v_bitop3_b32 v8, v3, 1, s26 bitop3:0x80
	s_delay_alu instid0(VALU_DEP_1) | instskip(NEXT) | instid1(VALU_DEP_1)
	v_add_co_u32 v3, s3, v8, -1
	v_cndmask_b32_e64 v8, 0, 1, s3
	s_delay_alu instid0(VALU_DEP_4) | instskip(NEXT) | instid1(VALU_DEP_2)
	v_cmp_gt_i32_e64 s3, 0, v44
	v_cmp_ne_u32_e32 vcc_lo, 0, v8
	v_not_b32_e32 v8, v44
	s_delay_alu instid0(VALU_DEP_1) | instskip(SKIP_3) | instid1(VALU_DEP_4)
	v_dual_ashrrev_i32 v8, 31, v8 :: v_dual_lshlrev_b32 v46, 29, v9
	v_dual_lshlrev_b32 v47, 28, v9 :: v_dual_lshlrev_b32 v48, 27, v9
	v_dual_lshlrev_b32 v49, 26, v9 :: v_dual_lshlrev_b32 v50, 25, v9
	v_lshlrev_b32_e32 v51, 24, v9
	v_cmp_gt_i32_e64 s4, 0, v46
	v_not_b32_e32 v44, v46
	v_not_b32_e32 v46, v47
	v_cmp_gt_i32_e64 s5, 0, v47
	v_xor_b32_e32 v3, vcc_lo, v3
	v_xor_b32_e32 v8, s3, v8
	s_delay_alu instid0(VALU_DEP_4) | instskip(SKIP_3) | instid1(VALU_DEP_4)
	v_dual_ashrrev_i32 v44, 31, v44 :: v_dual_ashrrev_i32 v46, 31, v46
	v_cmp_gt_i32_e64 s6, 0, v48
	v_not_b32_e32 v47, v48
	v_not_b32_e32 v48, v49
	v_xor_b32_e32 v44, s4, v44
	v_xor_b32_e32 v46, s5, v46
	v_bitop3_b32 v3, v3, v8, exec_lo bitop3:0x80
	v_ashrrev_i32_e32 v8, 31, v47
	v_cmp_gt_i32_e32 vcc_lo, 0, v49
	v_ashrrev_i32_e32 v47, 31, v48
	v_not_b32_e32 v48, v50
	v_bitop3_b32 v3, v3, v46, v44 bitop3:0x80
	v_not_b32_e32 v44, v51
	v_xor_b32_e32 v8, s6, v8
	s_delay_alu instid0(VALU_DEP_4)
	v_dual_ashrrev_i32 v47, 31, v48 :: v_dual_bitop2_b32 v46, vcc_lo, v47 bitop3:0x14
	v_cmp_gt_i32_e32 vcc_lo, 0, v50
	v_cmp_gt_i32_e64 s3, 0, v51
	v_ashrrev_i32_e32 v44, 31, v44
	v_mad_u32_u24 v48, 0x44, v9, v2
	v_bitop3_b32 v3, v3, v46, v8 bitop3:0x80
	v_xor_b32_e32 v8, vcc_lo, v47
	s_delay_alu instid0(VALU_DEP_4) | instskip(SKIP_3) | instid1(VALU_DEP_2)
	v_xor_b32_e32 v46, s3, v44
	ds_load_b32 v44, v48 offset:64
	; wave barrier
	v_bitop3_b32 v3, v3, v46, v8 bitop3:0x80
	v_mul_u32_u24_e32 v8, 0x44, v9
	v_mbcnt_lo_u32_b32 v46, v3, 0
	v_cmp_ne_u32_e64 s3, 0, v3
	s_delay_alu instid0(VALU_DEP_3) | instskip(NEXT) | instid1(VALU_DEP_3)
	v_add_nc_u32_e32 v49, v2, v8
	v_cmp_eq_u32_e32 vcc_lo, 0, v46
	s_and_b32 s4, s3, vcc_lo
	s_delay_alu instid0(SALU_CYCLE_1)
	s_and_saveexec_b32 s3, s4
	s_cbranch_execz .LBB2497_45
; %bb.44:
	s_wait_dscnt 0x0
	v_bcnt_u32_b32 v3, v3, v44
	ds_store_b32 v49, v3 offset:64
.LBB2497_45:
	s_or_b32 exec_lo, exec_lo, s3
	v_lshrrev_b32_e32 v3, s16, v7
	; wave barrier
	s_delay_alu instid0(VALU_DEP_1) | instskip(NEXT) | instid1(VALU_DEP_1)
	v_and_b32_e32 v8, s26, v3
	v_lshlrev_b32_e32 v9, 30, v8
	v_bitop3_b32 v7, v3, 1, s26 bitop3:0x80
	v_lshlrev_b32_e32 v47, 29, v8
	s_delay_alu instid0(VALU_DEP_2) | instskip(NEXT) | instid1(VALU_DEP_1)
	v_add_co_u32 v3, s3, v7, -1
	v_cndmask_b32_e64 v7, 0, 1, s3
	v_cmp_gt_i32_e64 s3, 0, v9
	s_delay_alu instid0(VALU_DEP_2) | instskip(SKIP_2) | instid1(VALU_DEP_1)
	v_cmp_ne_u32_e32 vcc_lo, 0, v7
	v_not_b32_e32 v7, v9
	v_not_b32_e32 v9, v47
	v_dual_ashrrev_i32 v9, 31, v9 :: v_dual_lshlrev_b32 v48, 28, v8
	v_dual_lshlrev_b32 v50, 27, v8 :: v_dual_lshlrev_b32 v51, 26, v8
	v_cmp_gt_i32_e64 s4, 0, v47
	v_ashrrev_i32_e32 v7, 31, v7
	s_delay_alu instid0(VALU_DEP_4)
	v_not_b32_e32 v47, v48
	v_cmp_gt_i32_e64 s5, 0, v48
	v_cmp_gt_i32_e64 s6, 0, v50
	v_not_b32_e32 v48, v50
	v_xor_b32_e32 v3, vcc_lo, v3
	v_not_b32_e32 v50, v51
	v_dual_ashrrev_i32 v47, 31, v47 :: v_dual_bitop2_b32 v9, s4, v9 bitop3:0x14
	v_dual_lshlrev_b32 v52, 25, v8 :: v_dual_bitop2_b32 v7, s3, v7 bitop3:0x14
	v_lshlrev_b32_e32 v53, 24, v8
	v_cmp_gt_i32_e32 vcc_lo, 0, v51
	s_delay_alu instid0(VALU_DEP_3) | instskip(SKIP_4) | instid1(VALU_DEP_4)
	v_bitop3_b32 v3, v3, v7, exec_lo bitop3:0x80
	v_dual_ashrrev_i32 v7, 31, v48 :: v_dual_ashrrev_i32 v48, 31, v50
	v_xor_b32_e32 v47, s5, v47
	v_not_b32_e32 v50, v52
	v_cmp_gt_i32_e64 s3, 0, v53
	v_xor_b32_e32 v7, s6, v7
	s_delay_alu instid0(VALU_DEP_4)
	v_bitop3_b32 v3, v3, v47, v9 bitop3:0x80
	v_not_b32_e32 v9, v53
	v_xor_b32_e32 v47, vcc_lo, v48
	v_cmp_gt_i32_e32 vcc_lo, 0, v52
	v_ashrrev_i32_e32 v48, 31, v50
	v_mad_u32_u24 v50, 0x44, v8, v2
	v_ashrrev_i32_e32 v9, 31, v9
	v_bitop3_b32 v3, v3, v47, v7 bitop3:0x80
	s_delay_alu instid0(VALU_DEP_4) | instskip(SKIP_2) | instid1(VALU_DEP_1)
	v_xor_b32_e32 v7, vcc_lo, v48
	ds_load_b32 v47, v50 offset:64
	v_xor_b32_e32 v9, s3, v9
	; wave barrier
	v_bitop3_b32 v3, v3, v9, v7 bitop3:0x80
	v_mul_u32_u24_e32 v7, 0x44, v8
	s_delay_alu instid0(VALU_DEP_2) | instskip(SKIP_1) | instid1(VALU_DEP_3)
	v_mbcnt_lo_u32_b32 v48, v3, 0
	v_cmp_ne_u32_e64 s3, 0, v3
	v_add_nc_u32_e32 v52, v2, v7
	s_delay_alu instid0(VALU_DEP_3) | instskip(SKIP_1) | instid1(SALU_CYCLE_1)
	v_cmp_eq_u32_e32 vcc_lo, 0, v48
	s_and_b32 s4, s3, vcc_lo
	s_and_saveexec_b32 s3, s4
	s_cbranch_execz .LBB2497_47
; %bb.46:
	s_wait_dscnt 0x0
	v_bcnt_u32_b32 v3, v3, v47
	ds_store_b32 v52, v3 offset:64
.LBB2497_47:
	s_or_b32 exec_lo, exec_lo, s3
	v_lshrrev_b32_e32 v3, s16, v6
	; wave barrier
	s_delay_alu instid0(VALU_DEP_1) | instskip(NEXT) | instid1(VALU_DEP_1)
	v_and_b32_e32 v7, s26, v3
	v_lshlrev_b32_e32 v8, 30, v7
	v_bitop3_b32 v6, v3, 1, s26 bitop3:0x80
	s_delay_alu instid0(VALU_DEP_1) | instskip(NEXT) | instid1(VALU_DEP_1)
	v_add_co_u32 v3, s3, v6, -1
	v_cndmask_b32_e64 v6, 0, 1, s3
	s_delay_alu instid0(VALU_DEP_4) | instskip(NEXT) | instid1(VALU_DEP_2)
	v_cmp_gt_i32_e64 s3, 0, v8
	v_cmp_ne_u32_e32 vcc_lo, 0, v6
	v_not_b32_e32 v6, v8
	s_delay_alu instid0(VALU_DEP_1) | instskip(SKIP_3) | instid1(VALU_DEP_4)
	v_dual_ashrrev_i32 v6, 31, v6 :: v_dual_lshlrev_b32 v9, 29, v7
	v_dual_lshlrev_b32 v50, 28, v7 :: v_dual_lshlrev_b32 v51, 27, v7
	v_dual_lshlrev_b32 v53, 26, v7 :: v_dual_lshlrev_b32 v54, 25, v7
	v_lshlrev_b32_e32 v55, 24, v7
	v_cmp_gt_i32_e64 s4, 0, v9
	v_not_b32_e32 v8, v9
	v_not_b32_e32 v9, v50
	v_cmp_gt_i32_e64 s5, 0, v50
	v_xor_b32_e32 v3, vcc_lo, v3
	s_delay_alu instid0(VALU_DEP_4) | instskip(NEXT) | instid1(VALU_DEP_4)
	v_dual_ashrrev_i32 v8, 31, v8 :: v_dual_bitop2_b32 v6, s3, v6 bitop3:0x14
	v_ashrrev_i32_e32 v9, 31, v9
	v_cmp_gt_i32_e64 s6, 0, v51
	v_not_b32_e32 v50, v51
	v_not_b32_e32 v51, v53
	v_xor_b32_e32 v8, s4, v8
	v_xor_b32_e32 v9, s5, v9
	v_bitop3_b32 v3, v3, v6, exec_lo bitop3:0x80
	v_ashrrev_i32_e32 v6, 31, v50
	v_cmp_gt_i32_e32 vcc_lo, 0, v53
	v_ashrrev_i32_e32 v50, 31, v51
	v_not_b32_e32 v51, v54
	v_bitop3_b32 v3, v3, v9, v8 bitop3:0x80
	v_not_b32_e32 v8, v55
	v_xor_b32_e32 v6, s6, v6
	v_xor_b32_e32 v9, vcc_lo, v50
	v_cmp_gt_i32_e32 vcc_lo, 0, v54
	v_ashrrev_i32_e32 v50, 31, v51
	v_cmp_gt_i32_e64 s3, 0, v55
	v_ashrrev_i32_e32 v8, 31, v8
	v_mad_u32_u24 v51, 0x44, v7, v2
	v_bitop3_b32 v3, v3, v9, v6 bitop3:0x80
	v_xor_b32_e32 v6, vcc_lo, v50
	s_delay_alu instid0(VALU_DEP_4) | instskip(SKIP_3) | instid1(VALU_DEP_2)
	v_xor_b32_e32 v8, s3, v8
	ds_load_b32 v50, v51 offset:64
	; wave barrier
	v_bitop3_b32 v3, v3, v8, v6 bitop3:0x80
	v_mul_u32_u24_e32 v6, 0x44, v7
	v_mbcnt_lo_u32_b32 v51, v3, 0
	v_cmp_ne_u32_e64 s3, 0, v3
	s_delay_alu instid0(VALU_DEP_3) | instskip(NEXT) | instid1(VALU_DEP_3)
	v_add_nc_u32_e32 v55, v2, v6
	v_cmp_eq_u32_e32 vcc_lo, 0, v51
	s_and_b32 s4, s3, vcc_lo
	s_delay_alu instid0(SALU_CYCLE_1)
	s_and_saveexec_b32 s3, s4
	s_cbranch_execz .LBB2497_49
; %bb.48:
	s_wait_dscnt 0x0
	v_bcnt_u32_b32 v3, v3, v50
	ds_store_b32 v55, v3 offset:64
.LBB2497_49:
	s_or_b32 exec_lo, exec_lo, s3
	v_lshrrev_b32_e32 v3, s16, v5
	; wave barrier
	s_delay_alu instid0(VALU_DEP_1) | instskip(NEXT) | instid1(VALU_DEP_1)
	v_and_b32_e32 v6, s26, v3
	v_lshlrev_b32_e32 v7, 30, v6
	v_bitop3_b32 v5, v3, 1, s26 bitop3:0x80
	s_delay_alu instid0(VALU_DEP_1) | instskip(NEXT) | instid1(VALU_DEP_1)
	v_add_co_u32 v3, s3, v5, -1
	v_cndmask_b32_e64 v5, 0, 1, s3
	s_delay_alu instid0(VALU_DEP_4) | instskip(NEXT) | instid1(VALU_DEP_2)
	v_cmp_gt_i32_e64 s3, 0, v7
	v_cmp_ne_u32_e32 vcc_lo, 0, v5
	v_not_b32_e32 v5, v7
	s_delay_alu instid0(VALU_DEP_1) | instskip(SKIP_3) | instid1(VALU_DEP_4)
	v_dual_ashrrev_i32 v5, 31, v5 :: v_dual_lshlrev_b32 v8, 29, v6
	v_dual_lshlrev_b32 v9, 28, v6 :: v_dual_lshlrev_b32 v53, 27, v6
	v_dual_lshlrev_b32 v54, 26, v6 :: v_dual_lshlrev_b32 v56, 25, v6
	v_lshlrev_b32_e32 v57, 24, v6
	v_cmp_gt_i32_e64 s4, 0, v8
	v_not_b32_e32 v7, v8
	v_not_b32_e32 v8, v9
	v_cmp_gt_i32_e64 s5, 0, v9
	v_xor_b32_e32 v3, vcc_lo, v3
	s_delay_alu instid0(VALU_DEP_4) | instskip(NEXT) | instid1(VALU_DEP_4)
	v_dual_ashrrev_i32 v7, 31, v7 :: v_dual_bitop2_b32 v5, s3, v5 bitop3:0x14
	v_ashrrev_i32_e32 v8, 31, v8
	v_cmp_gt_i32_e64 s6, 0, v53
	v_not_b32_e32 v9, v53
	v_not_b32_e32 v53, v54
	v_xor_b32_e32 v7, s4, v7
	v_xor_b32_e32 v8, s5, v8
	v_bitop3_b32 v3, v3, v5, exec_lo bitop3:0x80
	v_ashrrev_i32_e32 v5, 31, v9
	v_cmp_gt_i32_e32 vcc_lo, 0, v54
	v_ashrrev_i32_e32 v9, 31, v53
	v_not_b32_e32 v53, v56
	v_bitop3_b32 v3, v3, v8, v7 bitop3:0x80
	v_not_b32_e32 v7, v57
	v_xor_b32_e32 v5, s6, v5
	v_xor_b32_e32 v8, vcc_lo, v9
	v_cmp_gt_i32_e32 vcc_lo, 0, v56
	v_cmp_gt_i32_e64 s3, 0, v57
	v_dual_ashrrev_i32 v7, 31, v7 :: v_dual_ashrrev_i32 v9, 31, v53
	v_mad_u32_u24 v53, 0x44, v6, v2
	v_bitop3_b32 v3, v3, v8, v5 bitop3:0x80
	s_delay_alu instid0(VALU_DEP_3) | instskip(NEXT) | instid1(VALU_DEP_4)
	v_xor_b32_e32 v7, s3, v7
	v_xor_b32_e32 v5, vcc_lo, v9
	ds_load_b32 v53, v53 offset:64
	; wave barrier
	v_bitop3_b32 v3, v3, v7, v5 bitop3:0x80
	v_mul_u32_u24_e32 v5, 0x44, v6
	s_delay_alu instid0(VALU_DEP_2) | instskip(SKIP_1) | instid1(VALU_DEP_3)
	v_mbcnt_lo_u32_b32 v54, v3, 0
	v_cmp_ne_u32_e64 s3, 0, v3
	v_add_nc_u32_e32 v58, v2, v5
	s_delay_alu instid0(VALU_DEP_3) | instskip(SKIP_1) | instid1(SALU_CYCLE_1)
	v_cmp_eq_u32_e32 vcc_lo, 0, v54
	s_and_b32 s4, s3, vcc_lo
	s_and_saveexec_b32 s3, s4
	s_cbranch_execz .LBB2497_51
; %bb.50:
	s_wait_dscnt 0x0
	v_bcnt_u32_b32 v3, v3, v53
	ds_store_b32 v58, v3 offset:64
.LBB2497_51:
	s_or_b32 exec_lo, exec_lo, s3
	v_lshrrev_b32_e32 v3, s16, v4
	; wave barrier
	s_delay_alu instid0(VALU_DEP_1) | instskip(NEXT) | instid1(VALU_DEP_1)
	v_and_b32_e32 v5, s26, v3
	v_lshlrev_b32_e32 v6, 30, v5
	v_bitop3_b32 v4, v3, 1, s26 bitop3:0x80
	s_delay_alu instid0(VALU_DEP_1) | instskip(NEXT) | instid1(VALU_DEP_1)
	v_add_co_u32 v3, s3, v4, -1
	v_cndmask_b32_e64 v4, 0, 1, s3
	s_delay_alu instid0(VALU_DEP_4) | instskip(NEXT) | instid1(VALU_DEP_2)
	v_cmp_gt_i32_e64 s3, 0, v6
	v_cmp_ne_u32_e32 vcc_lo, 0, v4
	v_not_b32_e32 v4, v6
	s_delay_alu instid0(VALU_DEP_1) | instskip(SKIP_3) | instid1(VALU_DEP_4)
	v_dual_ashrrev_i32 v4, 31, v4 :: v_dual_lshlrev_b32 v7, 29, v5
	v_dual_lshlrev_b32 v8, 28, v5 :: v_dual_lshlrev_b32 v9, 27, v5
	v_dual_lshlrev_b32 v56, 26, v5 :: v_dual_lshlrev_b32 v57, 25, v5
	v_lshlrev_b32_e32 v59, 24, v5
	v_cmp_gt_i32_e64 s4, 0, v7
	v_not_b32_e32 v6, v7
	v_not_b32_e32 v7, v8
	v_cmp_gt_i32_e64 s5, 0, v8
	v_xor_b32_e32 v3, vcc_lo, v3
	s_delay_alu instid0(VALU_DEP_4) | instskip(NEXT) | instid1(VALU_DEP_4)
	v_dual_ashrrev_i32 v6, 31, v6 :: v_dual_bitop2_b32 v4, s3, v4 bitop3:0x14
	v_ashrrev_i32_e32 v7, 31, v7
	v_cmp_gt_i32_e64 s6, 0, v9
	v_not_b32_e32 v8, v9
	v_not_b32_e32 v9, v56
	v_xor_b32_e32 v6, s4, v6
	v_xor_b32_e32 v7, s5, v7
	v_bitop3_b32 v3, v3, v4, exec_lo bitop3:0x80
	v_ashrrev_i32_e32 v4, 31, v8
	v_cmp_gt_i32_e32 vcc_lo, 0, v56
	v_ashrrev_i32_e32 v8, 31, v9
	v_not_b32_e32 v9, v57
	v_bitop3_b32 v3, v3, v7, v6 bitop3:0x80
	v_not_b32_e32 v6, v59
	v_xor_b32_e32 v4, s6, v4
	v_xor_b32_e32 v7, vcc_lo, v8
	v_cmp_gt_i32_e32 vcc_lo, 0, v57
	v_ashrrev_i32_e32 v8, 31, v9
	v_cmp_gt_i32_e64 s3, 0, v59
	v_ashrrev_i32_e32 v6, 31, v6
	v_mad_u32_u24 v9, 0x44, v5, v2
	v_bitop3_b32 v3, v3, v7, v4 bitop3:0x80
	v_xor_b32_e32 v4, vcc_lo, v8
	s_delay_alu instid0(VALU_DEP_4) | instskip(SKIP_3) | instid1(VALU_DEP_2)
	v_xor_b32_e32 v6, s3, v6
	ds_load_b32 v56, v9 offset:64
	; wave barrier
	v_bitop3_b32 v3, v3, v6, v4 bitop3:0x80
	v_mul_u32_u24_e32 v4, 0x44, v5
	v_mbcnt_lo_u32_b32 v57, v3, 0
	v_cmp_ne_u32_e64 s3, 0, v3
	s_delay_alu instid0(VALU_DEP_3) | instskip(NEXT) | instid1(VALU_DEP_3)
	v_add_nc_u32_e32 v59, v2, v4
	v_cmp_eq_u32_e32 vcc_lo, 0, v57
	s_and_b32 s4, s3, vcc_lo
	s_delay_alu instid0(SALU_CYCLE_1)
	s_and_saveexec_b32 s3, s4
	s_cbranch_execz .LBB2497_53
; %bb.52:
	s_wait_dscnt 0x0
	v_bcnt_u32_b32 v2, v3, v56
	ds_store_b32 v59, v2 offset:64
.LBB2497_53:
	s_or_b32 exec_lo, exec_lo, s3
	; wave barrier
	s_wait_dscnt 0x0
	s_barrier_signal -1
	s_barrier_wait -1
	ds_load_2addr_b32 v[8:9], v25 offset0:16 offset1:17
	ds_load_2addr_b32 v[6:7], v25 offset0:18 offset1:19
	;; [unrolled: 1-line block ×4, first 2 shown]
	ds_load_b32 v60, v25 offset:96
	s_mov_b32 s27, exec_lo
	s_wait_dscnt 0x3
	v_add3_u32 v61, v9, v8, v6
	s_wait_dscnt 0x2
	s_delay_alu instid0(VALU_DEP_1) | instskip(SKIP_1) | instid1(VALU_DEP_1)
	v_add3_u32 v61, v61, v7, v4
	s_wait_dscnt 0x1
	v_add3_u32 v61, v61, v5, v2
	s_wait_dscnt 0x0
	s_delay_alu instid0(VALU_DEP_1) | instskip(SKIP_1) | instid1(VALU_DEP_2)
	v_add3_u32 v60, v61, v3, v60
	v_and_b32_e32 v61, 15, v15
	v_mov_b32_dpp v62, v60 row_shr:1 row_mask:0xf bank_mask:0xf
	s_delay_alu instid0(VALU_DEP_2) | instskip(NEXT) | instid1(VALU_DEP_2)
	v_cmp_eq_u32_e32 vcc_lo, 0, v61
	v_cndmask_b32_e64 v62, v62, 0, vcc_lo
	s_delay_alu instid0(VALU_DEP_1) | instskip(SKIP_3) | instid1(VALU_DEP_4)
	v_add_nc_u32_e32 v60, v62, v60
	v_cmp_lt_u32_e64 s3, 1, v61
	v_cmp_lt_u32_e64 s4, 3, v61
	;; [unrolled: 1-line block ×3, first 2 shown]
	v_mov_b32_dpp v62, v60 row_shr:2 row_mask:0xf bank_mask:0xf
	s_delay_alu instid0(VALU_DEP_1) | instskip(NEXT) | instid1(VALU_DEP_1)
	v_cndmask_b32_e64 v62, 0, v62, s3
	v_add_nc_u32_e32 v60, v60, v62
	s_delay_alu instid0(VALU_DEP_1) | instskip(NEXT) | instid1(VALU_DEP_1)
	v_mov_b32_dpp v62, v60 row_shr:4 row_mask:0xf bank_mask:0xf
	v_cndmask_b32_e64 v62, 0, v62, s4
	s_delay_alu instid0(VALU_DEP_1) | instskip(NEXT) | instid1(VALU_DEP_1)
	v_add_nc_u32_e32 v60, v60, v62
	v_mov_b32_dpp v62, v60 row_shr:8 row_mask:0xf bank_mask:0xf
	s_delay_alu instid0(VALU_DEP_1) | instskip(SKIP_1) | instid1(VALU_DEP_2)
	v_cndmask_b32_e64 v61, 0, v62, s5
	v_bfe_i32 v62, v15, 4, 1
	v_add_nc_u32_e32 v60, v60, v61
	ds_swizzle_b32 v61, v60 offset:swizzle(BROADCAST,32,15)
	s_wait_dscnt 0x0
	v_and_b32_e32 v61, v62, v61
	v_min_u32_e32 v62, 0x1e0, v16
	s_delay_alu instid0(VALU_DEP_2) | instskip(NEXT) | instid1(VALU_DEP_2)
	v_dual_add_nc_u32 v60, v60, v61 :: v_dual_lshrrev_b32 v61, 5, v14
	v_or_b32_e32 v62, 31, v62
	s_delay_alu instid0(VALU_DEP_1)
	v_cmpx_eq_u32_e64 v14, v62
; %bb.54:
	s_delay_alu instid0(VALU_DEP_3)
	v_lshlrev_b32_e32 v62, 2, v61
	ds_store_b32 v62, v60
; %bb.55:
	s_or_b32 exec_lo, exec_lo, s27
	s_delay_alu instid0(SALU_CYCLE_1)
	s_mov_b32 s27, exec_lo
	s_wait_dscnt 0x0
	s_barrier_signal -1
	s_barrier_wait -1
	v_cmpx_gt_u32_e32 16, v14
	s_cbranch_execz .LBB2497_57
; %bb.56:
	v_lshlrev_b32_e32 v62, 2, v14
	ds_load_b32 v63, v62
	s_wait_dscnt 0x0
	v_mov_b32_dpp v64, v63 row_shr:1 row_mask:0xf bank_mask:0xf
	s_delay_alu instid0(VALU_DEP_1) | instskip(NEXT) | instid1(VALU_DEP_1)
	v_cndmask_b32_e64 v64, v64, 0, vcc_lo
	v_add_nc_u32_e32 v63, v64, v63
	s_delay_alu instid0(VALU_DEP_1) | instskip(NEXT) | instid1(VALU_DEP_1)
	v_mov_b32_dpp v64, v63 row_shr:2 row_mask:0xf bank_mask:0xf
	v_cndmask_b32_e64 v64, 0, v64, s3
	s_delay_alu instid0(VALU_DEP_1) | instskip(NEXT) | instid1(VALU_DEP_1)
	v_add_nc_u32_e32 v63, v63, v64
	v_mov_b32_dpp v64, v63 row_shr:4 row_mask:0xf bank_mask:0xf
	s_delay_alu instid0(VALU_DEP_1) | instskip(NEXT) | instid1(VALU_DEP_1)
	v_cndmask_b32_e64 v64, 0, v64, s4
	v_add_nc_u32_e32 v63, v63, v64
	s_delay_alu instid0(VALU_DEP_1) | instskip(NEXT) | instid1(VALU_DEP_1)
	v_mov_b32_dpp v64, v63 row_shr:8 row_mask:0xf bank_mask:0xf
	v_cndmask_b32_e64 v64, 0, v64, s5
	s_delay_alu instid0(VALU_DEP_1)
	v_add_nc_u32_e32 v63, v63, v64
	ds_store_b32 v62, v63
.LBB2497_57:
	s_or_b32 exec_lo, exec_lo, s27
	v_mov_b32_e32 v62, 0
	s_mov_b32 s3, exec_lo
	s_wait_dscnt 0x0
	s_barrier_signal -1
	s_barrier_wait -1
	v_cmpx_lt_u32_e32 31, v14
; %bb.58:
	v_lshl_add_u32 v61, v61, 2, -4
	ds_load_b32 v62, v61
; %bb.59:
	s_or_b32 exec_lo, exec_lo, s3
	v_sub_co_u32 v61, vcc_lo, v15, 1
	s_wait_dscnt 0x0
	v_add_nc_u32_e32 v60, v62, v60
	s_delay_alu instid0(VALU_DEP_2) | instskip(NEXT) | instid1(VALU_DEP_1)
	v_cmp_gt_i32_e64 s3, 0, v61
	v_cndmask_b32_e64 v61, v61, v15, s3
	v_cmp_gt_u32_e64 s3, 0x100, v14
	s_delay_alu instid0(VALU_DEP_2) | instskip(SKIP_4) | instid1(VALU_DEP_2)
	v_lshlrev_b32_e32 v61, 2, v61
	ds_bpermute_b32 v60, v61, v60
	s_wait_dscnt 0x0
	v_cndmask_b32_e32 v60, v60, v62, vcc_lo
	v_cmp_lt_u32_e32 vcc_lo, 0xff, v14
	v_cndmask_b32_e64 v60, v60, 0, s2
	s_delay_alu instid0(VALU_DEP_1) | instskip(NEXT) | instid1(VALU_DEP_1)
	v_add_nc_u32_e32 v8, v60, v8
	v_add_nc_u32_e32 v9, v8, v9
	s_delay_alu instid0(VALU_DEP_1) | instskip(NEXT) | instid1(VALU_DEP_1)
	v_add_nc_u32_e32 v6, v9, v6
	v_add_nc_u32_e32 v7, v6, v7
	s_delay_alu instid0(VALU_DEP_1) | instskip(NEXT) | instid1(VALU_DEP_1)
	v_add_nc_u32_e32 v4, v7, v4
	v_add_nc_u32_e32 v5, v4, v5
	s_delay_alu instid0(VALU_DEP_1) | instskip(NEXT) | instid1(VALU_DEP_1)
	v_add_nc_u32_e32 v2, v5, v2
	v_add_nc_u32_e32 v3, v2, v3
	ds_store_2addr_b32 v25, v60, v8 offset0:16 offset1:17
	ds_store_2addr_b32 v25, v9, v6 offset0:18 offset1:19
	;; [unrolled: 1-line block ×4, first 2 shown]
	ds_store_b32 v25, v3 offset:96
	s_wait_dscnt 0x0
	s_barrier_signal -1
	s_barrier_wait -1
	ds_load_b32 v61, v26 offset:64
	ds_load_b32 v62, v29 offset:64
	ds_load_b32 v60, v32 offset:64
	ds_load_b32 v32, v35 offset:64
	ds_load_b32 v29, v38 offset:64
	ds_load_b32 v26, v41 offset:64
	ds_load_b32 v25, v45 offset:64
	ds_load_b32 v9, v49 offset:64
	ds_load_b32 v8, v52 offset:64
	ds_load_b32 v7, v55 offset:64
	ds_load_b32 v6, v58 offset:64
	ds_load_b32 v5, v59 offset:64
	v_mov_b64_e32 v[2:3], 0
                                        ; implicit-def: $vgpr4
	s_and_saveexec_b32 s5, s3
	s_cbranch_execz .LBB2497_63
; %bb.60:
	v_mul_u32_u24_e32 v2, 0x44, v14
	v_dual_mov_b32 v3, 0x1800 :: v_dual_add_nc_u32 v4, 1, v14
	s_mov_b32 s6, exec_lo
	ds_load_b32 v2, v2 offset:64
	v_cmpx_ne_u32_e32 0x100, v4
; %bb.61:
	v_mul_u32_u24_e32 v3, 0x44, v4
	ds_load_b32 v3, v3 offset:64
; %bb.62:
	s_or_b32 exec_lo, exec_lo, s6
	s_wait_dscnt 0x0
	v_dual_mov_b32 v3, 0 :: v_dual_sub_nc_u32 v4, v3, v2
.LBB2497_63:
	s_or_b32 exec_lo, exec_lo, s5
	s_wait_dscnt 0xa
	v_dual_lshlrev_b32 v24, 1, v24 :: v_dual_lshlrev_b32 v35, 1, v62
	v_dual_lshlrev_b32 v28, 1, v28 :: v_dual_lshlrev_b32 v27, 1, v27
	v_lshlrev_b32_e32 v30, 1, v30
	s_delay_alu instid0(VALU_DEP_3)
	v_lshl_add_u32 v24, v61, 1, v24
	v_lshlrev_b32_e32 v31, 1, v31
	s_wait_dscnt 0x0
	v_add3_u32 v27, v35, v28, v27
	v_lshlrev_b32_e32 v28, 1, v60
	s_barrier_signal -1
	s_barrier_wait -1
	ds_store_b16 v24, v10 offset:2048
	ds_store_b16 v27, v1 offset:2048
	v_lshlrev_b32_e32 v10, 1, v32
	v_add3_u32 v1, v28, v31, v30
	v_dual_lshlrev_b32 v24, 1, v34 :: v_dual_lshlrev_b32 v27, 1, v33
	v_dual_lshlrev_b32 v28, 1, v29 :: v_dual_lshlrev_b32 v30, 1, v36
	;; [unrolled: 1-line block ×6, first 2 shown]
	ds_store_b16 v1, v12 offset:2048
	v_add3_u32 v1, v10, v24, v27
	v_add3_u32 v12, v26, v31, v32
	;; [unrolled: 1-line block ×3, first 2 shown]
	v_dual_lshlrev_b32 v25, 1, v46 :: v_dual_lshlrev_b32 v26, 1, v44
	v_add3_u32 v10, v28, v29, v30
	ds_store_b16 v1, v11 offset:2048
	ds_store_b16 v10, v17 offset:2048
	;; [unrolled: 1-line block ×4, first 2 shown]
	v_add3_u32 v1, v9, v25, v26
	v_dual_lshlrev_b32 v8, 1, v8 :: v_dual_lshlrev_b32 v10, 1, v47
	v_dual_lshlrev_b32 v9, 1, v48 :: v_dual_lshlrev_b32 v7, 1, v7
	;; [unrolled: 1-line block ×6, first 2 shown]
	ds_store_b16 v1, v18 offset:2048
	v_add3_u32 v8, v8, v9, v10
	v_add3_u32 v9, v7, v11, v12
	v_dual_mov_b32 v7, 0 :: v_dual_lshlrev_b32 v1, 3, v14
	v_add3_u32 v6, v6, v13, v17
	v_add3_u32 v5, v5, v19, v24
	ds_store_b16 v8, v21 offset:2048
	ds_store_b16 v9, v20 offset:2048
	ds_store_b16 v6, v23 offset:2048
	ds_store_b16 v5, v22 offset:2048
	s_and_saveexec_b32 s4, s3
	s_cbranch_execz .LBB2497_73
; %bb.64:
	v_lshl_add_u32 v6, s19, 8, v14
	v_dual_mov_b32 v10, 0 :: v_dual_bitop2_b32 v5, 2.0, v4 bitop3:0x54
	s_mov_b32 s5, 0
	s_mov_b32 s6, s19
	s_delay_alu instid0(VALU_DEP_2)
	v_lshl_add_u64 v[8:9], v[6:7], 2, s[20:21]
	global_store_b32 v6, v5, s[20:21] scale_offset scope:SCOPE_DEV
                                        ; implicit-def: $sgpr3
	s_branch .LBB2497_67
.LBB2497_65:                            ;   in Loop: Header=BB2497_67 Depth=1
	s_or_b32 exec_lo, exec_lo, s28
.LBB2497_66:                            ;   in Loop: Header=BB2497_67 Depth=1
	s_delay_alu instid0(SALU_CYCLE_1) | instskip(SKIP_2) | instid1(VALU_DEP_2)
	s_or_b32 exec_lo, exec_lo, s27
	v_and_b32_e32 v6, 0x3fffffff, v5
	v_cmp_gt_i32_e64 s3, -2.0, v5
	v_add_nc_u32_e32 v10, v6, v10
	s_and_b32 s27, exec_lo, s3
	s_delay_alu instid0(SALU_CYCLE_1) | instskip(NEXT) | instid1(SALU_CYCLE_1)
	s_or_b32 s5, s27, s5
	s_and_not1_b32 exec_lo, exec_lo, s5
	s_cbranch_execz .LBB2497_72
.LBB2497_67:                            ; =>This Loop Header: Depth=1
                                        ;     Child Loop BB2497_70 Depth 2
	s_or_b32 s3, s3, exec_lo
	s_cmp_eq_u32 s6, 0
	s_cbranch_scc1 .LBB2497_71
; %bb.68:                               ;   in Loop: Header=BB2497_67 Depth=1
	s_add_co_i32 s6, s6, -1
	s_mov_b32 s27, exec_lo
	s_wait_xcnt 0x0
	v_lshl_or_b32 v6, s6, 8, v14
	global_load_b32 v5, v6, s[20:21] scale_offset scope:SCOPE_DEV
	s_wait_loadcnt 0x0
	v_cmpx_gt_u32_e32 2.0, v5
	s_cbranch_execz .LBB2497_66
; %bb.69:                               ;   in Loop: Header=BB2497_67 Depth=1
	v_lshl_add_u64 v[12:13], v[6:7], 2, s[20:21]
	s_mov_b32 s28, 0
.LBB2497_70:                            ;   Parent Loop BB2497_67 Depth=1
                                        ; =>  This Inner Loop Header: Depth=2
	global_load_b32 v5, v[12:13], off scope:SCOPE_DEV
	s_wait_loadcnt 0x0
	v_cmp_lt_u32_e64 s3, 0x3fffffff, v5
	s_or_b32 s28, s3, s28
	s_wait_xcnt 0x0
	s_and_not1_b32 exec_lo, exec_lo, s28
	s_cbranch_execnz .LBB2497_70
	s_branch .LBB2497_65
.LBB2497_71:                            ;   in Loop: Header=BB2497_67 Depth=1
                                        ; implicit-def: $sgpr6
	s_and_b32 s27, exec_lo, s3
	s_delay_alu instid0(SALU_CYCLE_1)
	s_or_b32 s5, s27, s5
	s_wait_xcnt 0x0
	s_and_not1_b32 exec_lo, exec_lo, s5
	s_cbranch_execnz .LBB2497_67
.LBB2497_72:
	s_or_b32 exec_lo, exec_lo, s5
	v_dual_add_nc_u32 v5, v10, v4 :: v_dual_mov_b32 v11, 0
	s_delay_alu instid0(VALU_DEP_1)
	v_or_b32_e32 v5, 0x80000000, v5
	global_store_b32 v[8:9], v5, off scope:SCOPE_DEV
	global_load_b64 v[6:7], v14, s[8:9] scale_offset
	s_wait_xcnt 0x1
	v_sub_nc_u64_e32 v[8:9], v[10:11], v[2:3]
	s_wait_loadcnt 0x0
	s_delay_alu instid0(VALU_DEP_1)
	v_add_nc_u64_e32 v[6:7], v[8:9], v[6:7]
	ds_store_b64 v1, v[6:7]
.LBB2497_73:
	s_wait_xcnt 0x0
	s_or_b32 exec_lo, exec_lo, s4
	v_mad_i32_i24 v5, v14, -6, v1
	s_mov_b32 s4, exec_lo
	s_wait_storecnt_dscnt 0x0
	s_barrier_signal -1
	s_barrier_wait -1
	v_cmpx_gt_u32_e64 s18, v14
	s_cbranch_execz .LBB2497_75
; %bb.74:
	ds_load_u16 v10, v5 offset:2048
	v_dual_mov_b32 v9, 0 :: v_dual_lshlrev_b32 v8, 1, v14
	s_wait_dscnt 0x0
	v_and_b32_e32 v6, 0xffff, v10
	s_delay_alu instid0(VALU_DEP_1) | instskip(NEXT) | instid1(VALU_DEP_1)
	v_lshrrev_b32_e32 v6, s16, v6
	v_and_b32_e32 v6, s26, v6
	s_delay_alu instid0(VALU_DEP_1) | instskip(SKIP_3) | instid1(VALU_DEP_1)
	v_lshlrev_b32_e32 v6, 3, v6
	ds_load_b64 v[6:7], v6
	s_wait_dscnt 0x0
	v_lshl_add_u64 v[6:7], v[6:7], 1, s[14:15]
	v_add_nc_u64_e32 v[6:7], v[6:7], v[8:9]
	global_store_b16 v[6:7], v10, off
.LBB2497_75:
	s_wait_xcnt 0x0
	s_or_b32 exec_lo, exec_lo, s4
	v_add_nc_u32_e32 v6, 0x200, v14
	s_mov_b32 s4, exec_lo
	s_delay_alu instid0(VALU_DEP_1)
	v_cmpx_gt_u32_e64 s18, v6
	s_cbranch_execz .LBB2497_77
; %bb.76:
	ds_load_u16 v10, v5 offset:3072
	v_dual_mov_b32 v9, 0 :: v_dual_lshlrev_b32 v8, 1, v14
	s_wait_dscnt 0x0
	v_and_b32_e32 v6, 0xffff, v10
	s_delay_alu instid0(VALU_DEP_1) | instskip(NEXT) | instid1(VALU_DEP_1)
	v_lshrrev_b32_e32 v6, s16, v6
	v_and_b32_e32 v6, s26, v6
	s_delay_alu instid0(VALU_DEP_1) | instskip(SKIP_3) | instid1(VALU_DEP_1)
	v_lshlrev_b32_e32 v6, 3, v6
	ds_load_b64 v[6:7], v6
	s_wait_dscnt 0x0
	v_lshl_add_u64 v[6:7], v[6:7], 1, s[14:15]
	v_add_nc_u64_e32 v[6:7], v[6:7], v[8:9]
	global_store_b16 v[6:7], v10, off offset:1024
.LBB2497_77:
	s_wait_xcnt 0x0
	s_or_b32 exec_lo, exec_lo, s4
	v_or_b32_e32 v6, 0x400, v14
	s_mov_b32 s4, exec_lo
	s_delay_alu instid0(VALU_DEP_1)
	v_cmpx_gt_u32_e64 s18, v6
	s_cbranch_execz .LBB2497_79
; %bb.78:
	ds_load_u16 v10, v5 offset:4096
	v_dual_mov_b32 v9, 0 :: v_dual_lshlrev_b32 v8, 1, v14
	s_wait_dscnt 0x0
	v_and_b32_e32 v6, 0xffff, v10
	s_delay_alu instid0(VALU_DEP_1) | instskip(NEXT) | instid1(VALU_DEP_1)
	v_lshrrev_b32_e32 v6, s16, v6
	v_and_b32_e32 v6, s26, v6
	s_delay_alu instid0(VALU_DEP_1) | instskip(SKIP_3) | instid1(VALU_DEP_1)
	v_lshlrev_b32_e32 v6, 3, v6
	ds_load_b64 v[6:7], v6
	s_wait_dscnt 0x0
	v_lshl_add_u64 v[6:7], v[6:7], 1, s[14:15]
	v_add_nc_u64_e32 v[6:7], v[6:7], v[8:9]
	global_store_b16 v[6:7], v10, off offset:2048
.LBB2497_79:
	s_wait_xcnt 0x0
	s_or_b32 exec_lo, exec_lo, s4
	v_add_nc_u32_e32 v6, 0x600, v14
	s_mov_b32 s4, exec_lo
	s_delay_alu instid0(VALU_DEP_1)
	v_cmpx_gt_u32_e64 s18, v6
	s_cbranch_execz .LBB2497_81
; %bb.80:
	ds_load_u16 v10, v5 offset:5120
	v_dual_mov_b32 v9, 0 :: v_dual_lshlrev_b32 v8, 1, v14
	s_wait_dscnt 0x0
	v_and_b32_e32 v6, 0xffff, v10
	s_delay_alu instid0(VALU_DEP_1) | instskip(NEXT) | instid1(VALU_DEP_1)
	v_lshrrev_b32_e32 v6, s16, v6
	v_and_b32_e32 v6, s26, v6
	s_delay_alu instid0(VALU_DEP_1) | instskip(SKIP_3) | instid1(VALU_DEP_1)
	v_lshlrev_b32_e32 v6, 3, v6
	ds_load_b64 v[6:7], v6
	s_wait_dscnt 0x0
	v_lshl_add_u64 v[6:7], v[6:7], 1, s[14:15]
	v_add_nc_u64_e32 v[6:7], v[6:7], v[8:9]
	global_store_b16 v[6:7], v10, off offset:3072
.LBB2497_81:
	s_wait_xcnt 0x0
	s_or_b32 exec_lo, exec_lo, s4
	v_or_b32_e32 v6, 0x800, v14
	s_mov_b32 s4, exec_lo
	s_delay_alu instid0(VALU_DEP_1)
	v_cmpx_gt_u32_e64 s18, v6
	s_cbranch_execz .LBB2497_83
; %bb.82:
	ds_load_u16 v10, v5 offset:6144
	v_dual_mov_b32 v9, 0 :: v_dual_lshlrev_b32 v8, 1, v14
	s_wait_dscnt 0x0
	v_and_b32_e32 v6, 0xffff, v10
	s_delay_alu instid0(VALU_DEP_1) | instskip(NEXT) | instid1(VALU_DEP_1)
	v_lshrrev_b32_e32 v6, s16, v6
	v_and_b32_e32 v6, s26, v6
	s_delay_alu instid0(VALU_DEP_1) | instskip(SKIP_3) | instid1(VALU_DEP_1)
	v_lshlrev_b32_e32 v6, 3, v6
	ds_load_b64 v[6:7], v6
	s_wait_dscnt 0x0
	v_lshl_add_u64 v[6:7], v[6:7], 1, s[14:15]
	v_add_nc_u64_e32 v[6:7], v[6:7], v[8:9]
	global_store_b16 v[6:7], v10, off offset:4096
.LBB2497_83:
	;; [unrolled: 46-line block ×3, first 2 shown]
	s_wait_xcnt 0x0
	s_or_b32 exec_lo, exec_lo, s4
	v_add_nc_u32_e32 v6, 0xe00, v14
	s_mov_b32 s4, exec_lo
	s_delay_alu instid0(VALU_DEP_1)
	v_cmpx_gt_u32_e64 s18, v6
	s_cbranch_execz .LBB2497_89
; %bb.88:
	ds_load_u16 v5, v5 offset:9216
	v_dual_mov_b32 v9, 0 :: v_dual_lshlrev_b32 v8, 1, v14
	s_wait_dscnt 0x0
	v_and_b32_e32 v6, 0xffff, v5
	s_delay_alu instid0(VALU_DEP_1) | instskip(NEXT) | instid1(VALU_DEP_1)
	v_lshrrev_b32_e32 v6, s16, v6
	v_and_b32_e32 v6, s26, v6
	s_delay_alu instid0(VALU_DEP_1) | instskip(SKIP_3) | instid1(VALU_DEP_1)
	v_lshlrev_b32_e32 v6, 3, v6
	ds_load_b64 v[6:7], v6
	s_wait_dscnt 0x0
	v_lshl_add_u64 v[6:7], v[6:7], 1, s[14:15]
	v_add_nc_u64_e32 v[6:7], v[6:7], v[8:9]
	global_store_b16 v[6:7], v5, off offset:7168
.LBB2497_89:
	s_wait_xcnt 0x0
	s_or_b32 exec_lo, exec_lo, s4
	v_or_b32_e32 v5, 0x1000, v14
	s_mov_b32 s4, exec_lo
	s_delay_alu instid0(VALU_DEP_1)
	v_cmpx_gt_u32_e64 s18, v5
	s_cbranch_execz .LBB2497_91
; %bb.90:
	v_lshlrev_b32_e32 v6, 1, v14
	ds_load_u16 v5, v6 offset:10240
	s_wait_dscnt 0x0
	v_and_b32_e32 v7, 0xffff, v5
	s_delay_alu instid0(VALU_DEP_1) | instskip(NEXT) | instid1(VALU_DEP_1)
	v_lshrrev_b32_e32 v7, s16, v7
	v_and_b32_e32 v7, s26, v7
	s_delay_alu instid0(VALU_DEP_1) | instskip(SKIP_4) | instid1(VALU_DEP_1)
	v_lshlrev_b32_e32 v7, 3, v7
	ds_load_b64 v[8:9], v7
	v_mov_b32_e32 v7, 0
	s_wait_dscnt 0x0
	v_lshl_add_u64 v[8:9], v[8:9], 1, s[14:15]
	v_add_nc_u64_e32 v[6:7], v[8:9], v[6:7]
	global_store_b16 v[6:7], v5, off offset:8192
.LBB2497_91:
	s_wait_xcnt 0x0
	s_or_b32 exec_lo, exec_lo, s4
	v_add_nc_u32_e32 v5, 0x1200, v14
	s_mov_b32 s4, exec_lo
	s_delay_alu instid0(VALU_DEP_1)
	v_cmpx_gt_u32_e64 s18, v5
	s_cbranch_execz .LBB2497_93
; %bb.92:
	v_lshlrev_b32_e32 v6, 1, v14
	ds_load_u16 v5, v6 offset:11264
	s_wait_dscnt 0x0
	v_and_b32_e32 v7, 0xffff, v5
	s_delay_alu instid0(VALU_DEP_1) | instskip(NEXT) | instid1(VALU_DEP_1)
	v_lshrrev_b32_e32 v7, s16, v7
	v_and_b32_e32 v7, s26, v7
	s_delay_alu instid0(VALU_DEP_1) | instskip(SKIP_4) | instid1(VALU_DEP_1)
	v_lshlrev_b32_e32 v7, 3, v7
	ds_load_b64 v[8:9], v7
	v_mov_b32_e32 v7, 0
	s_wait_dscnt 0x0
	v_lshl_add_u64 v[8:9], v[8:9], 1, s[14:15]
	v_add_nc_u64_e32 v[6:7], v[8:9], v[6:7]
	global_store_b16 v[6:7], v5, off offset:9216
.LBB2497_93:
	s_wait_xcnt 0x0
	s_or_b32 exec_lo, exec_lo, s4
	v_or_b32_e32 v5, 0x1400, v14
	s_mov_b32 s4, exec_lo
	s_delay_alu instid0(VALU_DEP_1)
	v_cmpx_gt_u32_e64 s18, v5
	s_cbranch_execz .LBB2497_95
; %bb.94:
	v_lshlrev_b32_e32 v6, 1, v14
	ds_load_u16 v5, v6 offset:12288
	s_wait_dscnt 0x0
	v_and_b32_e32 v7, 0xffff, v5
	s_delay_alu instid0(VALU_DEP_1) | instskip(NEXT) | instid1(VALU_DEP_1)
	v_lshrrev_b32_e32 v7, s16, v7
	v_and_b32_e32 v7, s26, v7
	s_delay_alu instid0(VALU_DEP_1) | instskip(SKIP_4) | instid1(VALU_DEP_1)
	v_lshlrev_b32_e32 v7, 3, v7
	ds_load_b64 v[8:9], v7
	v_mov_b32_e32 v7, 0
	s_wait_dscnt 0x0
	v_lshl_add_u64 v[8:9], v[8:9], 1, s[14:15]
	v_add_nc_u64_e32 v[6:7], v[8:9], v[6:7]
	global_store_b16 v[6:7], v5, off offset:10240
.LBB2497_95:
	s_wait_xcnt 0x0
	s_or_b32 exec_lo, exec_lo, s4
	v_add_nc_u32_e32 v5, 0x1600, v14
	s_mov_b32 s4, exec_lo
	s_delay_alu instid0(VALU_DEP_1)
	v_cmpx_gt_u32_e64 s18, v5
	s_cbranch_execz .LBB2497_97
; %bb.96:
	v_lshlrev_b32_e32 v6, 1, v14
	ds_load_u16 v5, v6 offset:13312
	s_wait_dscnt 0x0
	v_and_b32_e32 v7, 0xffff, v5
	s_delay_alu instid0(VALU_DEP_1) | instskip(NEXT) | instid1(VALU_DEP_1)
	v_lshrrev_b32_e32 v7, s16, v7
	v_and_b32_e32 v7, s26, v7
	s_delay_alu instid0(VALU_DEP_1) | instskip(SKIP_4) | instid1(VALU_DEP_1)
	v_lshlrev_b32_e32 v7, 3, v7
	ds_load_b64 v[8:9], v7
	v_mov_b32_e32 v7, 0
	s_wait_dscnt 0x0
	v_lshl_add_u64 v[8:9], v[8:9], 1, s[14:15]
	v_add_nc_u64_e32 v[6:7], v[8:9], v[6:7]
	global_store_b16 v[6:7], v5, off offset:11264
.LBB2497_97:
	s_wait_xcnt 0x0
	s_or_b32 exec_lo, exec_lo, s4
	s_add_co_i32 s23, s23, -1
	s_delay_alu instid0(SALU_CYCLE_1) | instskip(SKIP_2) | instid1(SALU_CYCLE_1)
	s_cmp_eq_u32 s19, s23
	s_cselect_b32 s3, -1, 0
	s_xor_b32 s4, vcc_lo, -1
	s_and_b32 s4, s4, s3
	s_delay_alu instid0(SALU_CYCLE_1)
	s_and_saveexec_b32 s3, s4
	s_cbranch_execz .LBB2497_99
; %bb.98:
	ds_load_b64 v[6:7], v1
	v_mov_b32_e32 v5, 0
	s_delay_alu instid0(VALU_DEP_1) | instskip(SKIP_1) | instid1(VALU_DEP_1)
	v_add_nc_u64_e32 v[2:3], v[2:3], v[4:5]
	s_wait_dscnt 0x0
	v_add_nc_u64_e32 v[2:3], v[2:3], v[6:7]
	global_store_b64 v14, v[2:3], s[10:11] scale_offset
.LBB2497_99:
	s_wait_xcnt 0x0
	s_or_b32 exec_lo, exec_lo, s3
	s_mov_b32 s4, 0
.LBB2497_100:
	s_delay_alu instid0(SALU_CYCLE_1)
	s_and_b32 vcc_lo, exec_lo, s4
	s_cbranch_vccz .LBB2497_147
; %bb.101:
	s_mov_b32 s23, 0
	v_dual_mov_b32 v3, 0 :: v_dual_lshlrev_b32 v2, 1, v15
	s_lshl_b64 s[4:5], s[22:23], 1
	v_mul_u32_u24_e32 v1, 12, v16
	s_add_nc_u64 s[4:5], s[12:13], s[4:5]
	s_delay_alu instid0(VALU_DEP_2) | instid1(SALU_CYCLE_1)
	v_add_nc_u64_e32 v[4:5], s[4:5], v[2:3]
	s_delay_alu instid0(VALU_DEP_2) | instskip(NEXT) | instid1(VALU_DEP_1)
	v_lshlrev_b32_e32 v2, 1, v1
	v_add_nc_u64_e32 v[4:5], v[4:5], v[2:3]
	v_bfe_u32 v2, v0, 10, 10
	v_bfe_u32 v0, v0, 20, 10
	s_clause 0xb
	global_load_u16 v21, v[4:5], off
	global_load_u16 v22, v[4:5], off offset:64
	global_load_u16 v20, v[4:5], off offset:128
	;; [unrolled: 1-line block ×11, first 2 shown]
	s_clause 0x1
	s_load_b32 s12, s[0:1], 0x58
	s_load_u16 s3, s[0:1], 0x66
	s_wait_xcnt 0x0
	s_bfe_u32 s0, ttmp6, 0x4000c
	s_and_b32 s1, ttmp6, 15
	s_add_co_i32 s0, s0, 1
	s_delay_alu instid0(SALU_CYCLE_1) | instskip(NEXT) | instid1(SALU_CYCLE_1)
	s_mul_i32 s0, ttmp9, s0
	s_add_co_i32 s1, s1, s0
	s_cmp_eq_u32 s7, 0
	s_cselect_b32 s0, ttmp9, s1
	s_wait_kmcnt 0x0
	s_cmp_lt_u32 s0, s12
	v_mad_u32_u24 v0, v0, s3, v2
	s_cselect_b32 s22, 12, 18
	s_lshl_b32 s13, -1, s17
	s_add_nc_u64 s[0:1], s[24:25], s[22:23]
	s_load_u16 s17, s[0:1], 0x0
	s_wait_kmcnt 0x0
	v_mad_u32 v0, v0, s17, v14
	s_delay_alu instid0(VALU_DEP_1) | instskip(NEXT) | instid1(VALU_DEP_1)
	v_lshrrev_b32_e32 v0, 3, v0
	v_and_b32_e32 v0, 0x1ffffffc, v0
	s_wait_loadcnt 0xb
	v_and_b32_e32 v1, 0xffff, v21
	s_delay_alu instid0(VALU_DEP_1) | instskip(NEXT) | instid1(VALU_DEP_1)
	v_lshrrev_b32_e32 v1, s16, v1
	v_bitop3_b32 v2, v1, 1, s13 bitop3:0x40
	v_bitop3_b32 v4, v1, s13, v1 bitop3:0x30
	s_delay_alu instid0(VALU_DEP_2) | instskip(NEXT) | instid1(VALU_DEP_1)
	v_add_co_u32 v1, s0, v2, -1
	v_cndmask_b32_e64 v2, 0, 1, s0
	s_delay_alu instid0(VALU_DEP_3) | instskip(SKIP_1) | instid1(VALU_DEP_3)
	v_dual_lshlrev_b32 v5, 30, v4 :: v_dual_lshlrev_b32 v6, 29, v4
	v_dual_lshlrev_b32 v7, 28, v4 :: v_dual_lshlrev_b32 v23, 27, v4
	v_cmp_ne_u32_e32 vcc_lo, 0, v2
	s_delay_alu instid0(VALU_DEP_3)
	v_not_b32_e32 v2, v5
	v_dual_lshlrev_b32 v24, 26, v4 :: v_dual_lshlrev_b32 v25, 25, v4
	v_lshlrev_b32_e32 v26, 24, v4
	v_cmp_gt_i32_e64 s0, 0, v5
	v_cmp_gt_i32_e64 s1, 0, v6
	v_not_b32_e32 v5, v6
	v_cmp_gt_i32_e64 s3, 0, v7
	v_not_b32_e32 v6, v7
	v_not_b32_e32 v7, v23
	v_ashrrev_i32_e32 v2, 31, v2
	v_cmp_gt_i32_e64 s4, 0, v23
	v_not_b32_e32 v23, v24
	v_dual_ashrrev_i32 v6, 31, v6 :: v_dual_bitop2_b32 v1, vcc_lo, v1 bitop3:0x14
	s_delay_alu instid0(VALU_DEP_4)
	v_dual_ashrrev_i32 v5, 31, v5 :: v_dual_bitop2_b32 v2, s0, v2 bitop3:0x14
	v_ashrrev_i32_e32 v7, 31, v7
	v_cmp_gt_i32_e64 s5, 0, v24
	v_cmp_gt_i32_e64 s6, 0, v25
	v_not_b32_e32 v24, v25
	v_not_b32_e32 v25, v26
	v_dual_ashrrev_i32 v23, 31, v23 :: v_dual_bitop2_b32 v6, s3, v6 bitop3:0x14
	v_xor_b32_e32 v5, s1, v5
	v_bitop3_b32 v1, v1, v2, exec_lo bitop3:0x80
	v_xor_b32_e32 v7, s4, v7
	v_cmp_gt_i32_e64 s7, 0, v26
	v_dual_ashrrev_i32 v2, 31, v24 :: v_dual_ashrrev_i32 v24, 31, v25
	v_xor_b32_e32 v23, s5, v23
	v_bitop3_b32 v1, v1, v6, v5 bitop3:0x80
	s_delay_alu instid0(VALU_DEP_3) | instskip(NEXT) | instid1(VALU_DEP_4)
	v_xor_b32_e32 v2, s6, v2
	v_xor_b32_e32 v5, s7, v24
	v_mul_u32_u24_e32 v24, 36, v14
	s_delay_alu instid0(VALU_DEP_4)
	v_bitop3_b32 v1, v1, v23, v7 bitop3:0x80
	s_not_b32 s7, s13
	ds_store_2addr_b32 v24, v3, v3 offset0:16 offset1:17
	ds_store_2addr_b32 v24, v3, v3 offset0:18 offset1:19
	;; [unrolled: 1-line block ×4, first 2 shown]
	v_bitop3_b32 v1, v1, v5, v2 bitop3:0x80
	v_mul_u32_u24_e32 v2, 0x44, v4
	ds_store_b32 v24, v3 offset:96
	s_wait_storecnt 0x0
	s_wait_loadcnt_dscnt 0x0
	s_barrier_signal -1
	v_mbcnt_lo_u32_b32 v23, v1, 0
	v_cmp_ne_u32_e64 s0, 0, v1
	v_add_nc_u32_e32 v25, v0, v2
	s_barrier_wait -1
	s_delay_alu instid0(VALU_DEP_3) | instskip(SKIP_1) | instid1(SALU_CYCLE_1)
	v_cmp_eq_u32_e32 vcc_lo, 0, v23
	; wave barrier
	s_and_b32 s1, s0, vcc_lo
	s_and_saveexec_b32 s0, s1
; %bb.102:
	v_bcnt_u32_b32 v1, v1, 0
	ds_store_b32 v25, v1 offset:64
; %bb.103:
	s_or_b32 exec_lo, exec_lo, s0
	v_and_b32_e32 v1, 0xffff, v22
	; wave barrier
	s_delay_alu instid0(VALU_DEP_1) | instskip(NEXT) | instid1(VALU_DEP_1)
	v_lshrrev_b32_e32 v1, s16, v1
	v_and_b32_e32 v3, s7, v1
	s_delay_alu instid0(VALU_DEP_1) | instskip(SKIP_1) | instid1(VALU_DEP_1)
	v_lshlrev_b32_e32 v4, 30, v3
	v_bitop3_b32 v2, v1, 1, s7 bitop3:0x80
	v_add_co_u32 v1, s0, v2, -1
	s_delay_alu instid0(VALU_DEP_1) | instskip(NEXT) | instid1(VALU_DEP_4)
	v_cndmask_b32_e64 v2, 0, 1, s0
	v_cmp_gt_i32_e64 s0, 0, v4
	s_delay_alu instid0(VALU_DEP_2) | instskip(SKIP_1) | instid1(VALU_DEP_1)
	v_cmp_ne_u32_e32 vcc_lo, 0, v2
	v_not_b32_e32 v2, v4
	v_dual_ashrrev_i32 v2, 31, v2 :: v_dual_lshlrev_b32 v5, 29, v3
	v_dual_lshlrev_b32 v6, 28, v3 :: v_dual_lshlrev_b32 v7, 27, v3
	v_dual_lshlrev_b32 v26, 26, v3 :: v_dual_lshlrev_b32 v27, 25, v3
	v_lshlrev_b32_e32 v28, 24, v3
	s_delay_alu instid0(VALU_DEP_4)
	v_cmp_gt_i32_e64 s1, 0, v5
	v_not_b32_e32 v4, v5
	v_not_b32_e32 v5, v6
	v_cmp_gt_i32_e64 s3, 0, v6
	v_cmp_gt_i32_e64 s4, 0, v7
	v_not_b32_e32 v6, v7
	v_not_b32_e32 v7, v26
	v_dual_ashrrev_i32 v4, 31, v4 :: v_dual_bitop2_b32 v1, vcc_lo, v1 bitop3:0x14
	v_dual_ashrrev_i32 v5, 31, v5 :: v_dual_bitop2_b32 v2, s0, v2 bitop3:0x14
	v_cmp_gt_i32_e64 s5, 0, v26
	s_delay_alu instid0(VALU_DEP_4) | instskip(SKIP_1) | instid1(VALU_DEP_4)
	v_dual_ashrrev_i32 v6, 31, v6 :: v_dual_ashrrev_i32 v7, 31, v7
	v_not_b32_e32 v26, v28
	v_xor_b32_e32 v5, s3, v5
	v_bitop3_b32 v1, v1, v2, exec_lo bitop3:0x80
	v_not_b32_e32 v2, v27
	v_xor_b32_e32 v4, s1, v4
	v_cmp_gt_i32_e64 s6, 0, v27
	v_xor_b32_e32 v6, s4, v6
	s_delay_alu instid0(VALU_DEP_4) | instskip(NEXT) | instid1(VALU_DEP_4)
	v_dual_ashrrev_i32 v2, 31, v2 :: v_dual_bitop2_b32 v7, s5, v7 bitop3:0x14
	v_bitop3_b32 v1, v1, v5, v4 bitop3:0x80
	v_cmp_gt_i32_e32 vcc_lo, 0, v28
	v_ashrrev_i32_e32 v4, 31, v26
	v_mad_u32_u24 v5, 0x44, v3, v0
	v_xor_b32_e32 v2, s6, v2
	v_bitop3_b32 v1, v1, v7, v6 bitop3:0x80
	s_delay_alu instid0(VALU_DEP_4) | instskip(SKIP_3) | instid1(VALU_DEP_2)
	v_xor_b32_e32 v4, vcc_lo, v4
	ds_load_b32 v26, v5 offset:64
	; wave barrier
	v_bitop3_b32 v1, v1, v4, v2 bitop3:0x80
	v_mul_u32_u24_e32 v2, 0x44, v3
	v_mbcnt_lo_u32_b32 v27, v1, 0
	v_cmp_ne_u32_e64 s0, 0, v1
	s_delay_alu instid0(VALU_DEP_3) | instskip(NEXT) | instid1(VALU_DEP_3)
	v_add_nc_u32_e32 v28, v0, v2
	v_cmp_eq_u32_e32 vcc_lo, 0, v27
	s_and_b32 s1, s0, vcc_lo
	s_delay_alu instid0(SALU_CYCLE_1)
	s_and_saveexec_b32 s0, s1
	s_cbranch_execz .LBB2497_105
; %bb.104:
	s_wait_dscnt 0x0
	v_bcnt_u32_b32 v1, v1, v26
	ds_store_b32 v28, v1 offset:64
.LBB2497_105:
	s_or_b32 exec_lo, exec_lo, s0
	v_and_b32_e32 v1, 0xffff, v20
	; wave barrier
	s_delay_alu instid0(VALU_DEP_1) | instskip(NEXT) | instid1(VALU_DEP_1)
	v_lshrrev_b32_e32 v1, s16, v1
	v_and_b32_e32 v3, s7, v1
	s_delay_alu instid0(VALU_DEP_1) | instskip(SKIP_1) | instid1(VALU_DEP_1)
	v_lshlrev_b32_e32 v4, 30, v3
	v_bitop3_b32 v2, v1, 1, s7 bitop3:0x80
	v_add_co_u32 v1, s0, v2, -1
	s_delay_alu instid0(VALU_DEP_1) | instskip(NEXT) | instid1(VALU_DEP_4)
	v_cndmask_b32_e64 v2, 0, 1, s0
	v_cmp_gt_i32_e64 s0, 0, v4
	s_delay_alu instid0(VALU_DEP_2) | instskip(SKIP_1) | instid1(VALU_DEP_1)
	v_cmp_ne_u32_e32 vcc_lo, 0, v2
	v_not_b32_e32 v2, v4
	v_dual_ashrrev_i32 v2, 31, v2 :: v_dual_lshlrev_b32 v5, 29, v3
	v_dual_lshlrev_b32 v6, 28, v3 :: v_dual_lshlrev_b32 v7, 27, v3
	v_dual_lshlrev_b32 v29, 26, v3 :: v_dual_lshlrev_b32 v30, 25, v3
	v_lshlrev_b32_e32 v31, 24, v3
	s_delay_alu instid0(VALU_DEP_4)
	v_cmp_gt_i32_e64 s1, 0, v5
	v_not_b32_e32 v4, v5
	v_not_b32_e32 v5, v6
	v_cmp_gt_i32_e64 s3, 0, v6
	v_cmp_gt_i32_e64 s4, 0, v7
	v_not_b32_e32 v6, v7
	v_not_b32_e32 v7, v29
	v_dual_ashrrev_i32 v4, 31, v4 :: v_dual_bitop2_b32 v1, vcc_lo, v1 bitop3:0x14
	v_dual_ashrrev_i32 v5, 31, v5 :: v_dual_bitop2_b32 v2, s0, v2 bitop3:0x14
	v_cmp_gt_i32_e64 s5, 0, v29
	s_delay_alu instid0(VALU_DEP_4) | instskip(NEXT) | instid1(VALU_DEP_3)
	v_dual_ashrrev_i32 v6, 31, v6 :: v_dual_ashrrev_i32 v7, 31, v7
	v_xor_b32_e32 v5, s3, v5
	s_delay_alu instid0(VALU_DEP_4)
	v_bitop3_b32 v1, v1, v2, exec_lo bitop3:0x80
	v_not_b32_e32 v2, v30
	v_xor_b32_e32 v4, s1, v4
	v_not_b32_e32 v29, v31
	v_cmp_gt_i32_e64 s6, 0, v30
	v_xor_b32_e32 v6, s4, v6
	v_dual_ashrrev_i32 v2, 31, v2 :: v_dual_bitop2_b32 v7, s5, v7 bitop3:0x14
	v_bitop3_b32 v1, v1, v5, v4 bitop3:0x80
	v_cmp_gt_i32_e32 vcc_lo, 0, v31
	v_ashrrev_i32_e32 v4, 31, v29
	v_mad_u32_u24 v5, 0x44, v3, v0
	v_xor_b32_e32 v2, s6, v2
	v_bitop3_b32 v1, v1, v7, v6 bitop3:0x80
	s_delay_alu instid0(VALU_DEP_4) | instskip(SKIP_3) | instid1(VALU_DEP_2)
	v_xor_b32_e32 v4, vcc_lo, v4
	ds_load_b32 v29, v5 offset:64
	; wave barrier
	v_bitop3_b32 v1, v1, v4, v2 bitop3:0x80
	v_mul_u32_u24_e32 v2, 0x44, v3
	v_mbcnt_lo_u32_b32 v30, v1, 0
	v_cmp_ne_u32_e64 s0, 0, v1
	s_delay_alu instid0(VALU_DEP_3) | instskip(NEXT) | instid1(VALU_DEP_3)
	v_add_nc_u32_e32 v31, v0, v2
	v_cmp_eq_u32_e32 vcc_lo, 0, v30
	s_and_b32 s1, s0, vcc_lo
	s_delay_alu instid0(SALU_CYCLE_1)
	s_and_saveexec_b32 s0, s1
	s_cbranch_execz .LBB2497_107
; %bb.106:
	s_wait_dscnt 0x0
	v_bcnt_u32_b32 v1, v1, v29
	ds_store_b32 v31, v1 offset:64
.LBB2497_107:
	s_or_b32 exec_lo, exec_lo, s0
	v_and_b32_e32 v1, 0xffff, v13
	; wave barrier
	s_delay_alu instid0(VALU_DEP_1) | instskip(NEXT) | instid1(VALU_DEP_1)
	v_lshrrev_b32_e32 v1, s16, v1
	v_and_b32_e32 v3, s7, v1
	s_delay_alu instid0(VALU_DEP_1) | instskip(SKIP_1) | instid1(VALU_DEP_1)
	v_lshlrev_b32_e32 v4, 30, v3
	v_bitop3_b32 v2, v1, 1, s7 bitop3:0x80
	v_add_co_u32 v1, s0, v2, -1
	s_delay_alu instid0(VALU_DEP_1) | instskip(NEXT) | instid1(VALU_DEP_4)
	v_cndmask_b32_e64 v2, 0, 1, s0
	v_cmp_gt_i32_e64 s0, 0, v4
	s_delay_alu instid0(VALU_DEP_2) | instskip(SKIP_1) | instid1(VALU_DEP_1)
	v_cmp_ne_u32_e32 vcc_lo, 0, v2
	v_not_b32_e32 v2, v4
	v_dual_ashrrev_i32 v2, 31, v2 :: v_dual_lshlrev_b32 v5, 29, v3
	v_dual_lshlrev_b32 v6, 28, v3 :: v_dual_lshlrev_b32 v7, 27, v3
	v_dual_lshlrev_b32 v32, 26, v3 :: v_dual_lshlrev_b32 v33, 25, v3
	v_lshlrev_b32_e32 v34, 24, v3
	s_delay_alu instid0(VALU_DEP_4)
	v_cmp_gt_i32_e64 s1, 0, v5
	v_not_b32_e32 v4, v5
	v_not_b32_e32 v5, v6
	v_cmp_gt_i32_e64 s3, 0, v6
	v_cmp_gt_i32_e64 s4, 0, v7
	v_not_b32_e32 v6, v7
	v_not_b32_e32 v7, v32
	v_dual_ashrrev_i32 v4, 31, v4 :: v_dual_bitop2_b32 v1, vcc_lo, v1 bitop3:0x14
	v_dual_ashrrev_i32 v5, 31, v5 :: v_dual_bitop2_b32 v2, s0, v2 bitop3:0x14
	v_cmp_gt_i32_e64 s5, 0, v32
	s_delay_alu instid0(VALU_DEP_4) | instskip(SKIP_1) | instid1(VALU_DEP_4)
	v_dual_ashrrev_i32 v6, 31, v6 :: v_dual_ashrrev_i32 v7, 31, v7
	v_not_b32_e32 v32, v34
	v_xor_b32_e32 v5, s3, v5
	v_bitop3_b32 v1, v1, v2, exec_lo bitop3:0x80
	v_not_b32_e32 v2, v33
	v_xor_b32_e32 v4, s1, v4
	v_cmp_gt_i32_e64 s6, 0, v33
	v_xor_b32_e32 v6, s4, v6
	s_delay_alu instid0(VALU_DEP_4) | instskip(NEXT) | instid1(VALU_DEP_4)
	v_dual_ashrrev_i32 v2, 31, v2 :: v_dual_bitop2_b32 v7, s5, v7 bitop3:0x14
	v_bitop3_b32 v1, v1, v5, v4 bitop3:0x80
	v_cmp_gt_i32_e32 vcc_lo, 0, v34
	v_ashrrev_i32_e32 v4, 31, v32
	v_mad_u32_u24 v5, 0x44, v3, v0
	v_xor_b32_e32 v2, s6, v2
	v_bitop3_b32 v1, v1, v7, v6 bitop3:0x80
	s_delay_alu instid0(VALU_DEP_4) | instskip(SKIP_3) | instid1(VALU_DEP_2)
	v_xor_b32_e32 v4, vcc_lo, v4
	ds_load_b32 v32, v5 offset:64
	; wave barrier
	v_bitop3_b32 v1, v1, v4, v2 bitop3:0x80
	v_mul_u32_u24_e32 v2, 0x44, v3
	v_mbcnt_lo_u32_b32 v33, v1, 0
	v_cmp_ne_u32_e64 s0, 0, v1
	s_delay_alu instid0(VALU_DEP_3) | instskip(NEXT) | instid1(VALU_DEP_3)
	v_add_nc_u32_e32 v34, v0, v2
	v_cmp_eq_u32_e32 vcc_lo, 0, v33
	s_and_b32 s1, s0, vcc_lo
	s_delay_alu instid0(SALU_CYCLE_1)
	s_and_saveexec_b32 s0, s1
	s_cbranch_execz .LBB2497_109
; %bb.108:
	s_wait_dscnt 0x0
	v_bcnt_u32_b32 v1, v1, v32
	ds_store_b32 v34, v1 offset:64
.LBB2497_109:
	s_or_b32 exec_lo, exec_lo, s0
	v_and_b32_e32 v1, 0xffff, v17
	; wave barrier
	s_delay_alu instid0(VALU_DEP_1) | instskip(NEXT) | instid1(VALU_DEP_1)
	v_lshrrev_b32_e32 v1, s16, v1
	v_and_b32_e32 v3, s7, v1
	s_delay_alu instid0(VALU_DEP_1) | instskip(SKIP_1) | instid1(VALU_DEP_1)
	v_lshlrev_b32_e32 v4, 30, v3
	v_bitop3_b32 v2, v1, 1, s7 bitop3:0x80
	v_add_co_u32 v1, s0, v2, -1
	s_delay_alu instid0(VALU_DEP_1) | instskip(NEXT) | instid1(VALU_DEP_4)
	v_cndmask_b32_e64 v2, 0, 1, s0
	v_cmp_gt_i32_e64 s0, 0, v4
	s_delay_alu instid0(VALU_DEP_2) | instskip(SKIP_1) | instid1(VALU_DEP_1)
	v_cmp_ne_u32_e32 vcc_lo, 0, v2
	v_not_b32_e32 v2, v4
	v_dual_ashrrev_i32 v2, 31, v2 :: v_dual_lshlrev_b32 v5, 29, v3
	v_dual_lshlrev_b32 v6, 28, v3 :: v_dual_lshlrev_b32 v7, 27, v3
	v_dual_lshlrev_b32 v35, 26, v3 :: v_dual_lshlrev_b32 v36, 25, v3
	v_lshlrev_b32_e32 v37, 24, v3
	s_delay_alu instid0(VALU_DEP_4)
	v_cmp_gt_i32_e64 s1, 0, v5
	v_not_b32_e32 v4, v5
	v_not_b32_e32 v5, v6
	v_cmp_gt_i32_e64 s3, 0, v6
	v_cmp_gt_i32_e64 s4, 0, v7
	v_not_b32_e32 v6, v7
	v_not_b32_e32 v7, v35
	v_dual_ashrrev_i32 v4, 31, v4 :: v_dual_bitop2_b32 v1, vcc_lo, v1 bitop3:0x14
	v_dual_ashrrev_i32 v5, 31, v5 :: v_dual_bitop2_b32 v2, s0, v2 bitop3:0x14
	v_cmp_gt_i32_e64 s5, 0, v35
	s_delay_alu instid0(VALU_DEP_4) | instskip(SKIP_1) | instid1(VALU_DEP_4)
	v_dual_ashrrev_i32 v6, 31, v6 :: v_dual_ashrrev_i32 v7, 31, v7
	v_not_b32_e32 v35, v37
	v_xor_b32_e32 v5, s3, v5
	v_bitop3_b32 v1, v1, v2, exec_lo bitop3:0x80
	v_not_b32_e32 v2, v36
	v_xor_b32_e32 v4, s1, v4
	v_cmp_gt_i32_e64 s6, 0, v36
	v_xor_b32_e32 v6, s4, v6
	s_delay_alu instid0(VALU_DEP_4) | instskip(NEXT) | instid1(VALU_DEP_4)
	v_dual_ashrrev_i32 v2, 31, v2 :: v_dual_bitop2_b32 v7, s5, v7 bitop3:0x14
	v_bitop3_b32 v1, v1, v5, v4 bitop3:0x80
	v_cmp_gt_i32_e32 vcc_lo, 0, v37
	v_ashrrev_i32_e32 v4, 31, v35
	v_mad_u32_u24 v5, 0x44, v3, v0
	v_xor_b32_e32 v2, s6, v2
	v_bitop3_b32 v1, v1, v7, v6 bitop3:0x80
	s_delay_alu instid0(VALU_DEP_4) | instskip(SKIP_3) | instid1(VALU_DEP_2)
	v_xor_b32_e32 v4, vcc_lo, v4
	ds_load_b32 v35, v5 offset:64
	; wave barrier
	v_bitop3_b32 v1, v1, v4, v2 bitop3:0x80
	v_mul_u32_u24_e32 v2, 0x44, v3
	v_mbcnt_lo_u32_b32 v36, v1, 0
	v_cmp_ne_u32_e64 s0, 0, v1
	s_delay_alu instid0(VALU_DEP_3) | instskip(NEXT) | instid1(VALU_DEP_3)
	v_add_nc_u32_e32 v37, v0, v2
	v_cmp_eq_u32_e32 vcc_lo, 0, v36
	s_and_b32 s1, s0, vcc_lo
	s_delay_alu instid0(SALU_CYCLE_1)
	s_and_saveexec_b32 s0, s1
	s_cbranch_execz .LBB2497_111
; %bb.110:
	s_wait_dscnt 0x0
	v_bcnt_u32_b32 v1, v1, v35
	ds_store_b32 v37, v1 offset:64
.LBB2497_111:
	s_or_b32 exec_lo, exec_lo, s0
	v_and_b32_e32 v1, 0xffff, v18
	; wave barrier
	s_delay_alu instid0(VALU_DEP_1) | instskip(NEXT) | instid1(VALU_DEP_1)
	v_lshrrev_b32_e32 v1, s16, v1
	v_and_b32_e32 v3, s7, v1
	s_delay_alu instid0(VALU_DEP_1) | instskip(SKIP_1) | instid1(VALU_DEP_1)
	v_lshlrev_b32_e32 v4, 30, v3
	v_bitop3_b32 v2, v1, 1, s7 bitop3:0x80
	v_add_co_u32 v1, s0, v2, -1
	s_delay_alu instid0(VALU_DEP_1) | instskip(NEXT) | instid1(VALU_DEP_4)
	v_cndmask_b32_e64 v2, 0, 1, s0
	v_cmp_gt_i32_e64 s0, 0, v4
	s_delay_alu instid0(VALU_DEP_2) | instskip(SKIP_1) | instid1(VALU_DEP_1)
	v_cmp_ne_u32_e32 vcc_lo, 0, v2
	v_not_b32_e32 v2, v4
	v_dual_ashrrev_i32 v2, 31, v2 :: v_dual_lshlrev_b32 v5, 29, v3
	v_dual_lshlrev_b32 v6, 28, v3 :: v_dual_lshlrev_b32 v7, 27, v3
	v_dual_lshlrev_b32 v38, 26, v3 :: v_dual_lshlrev_b32 v39, 25, v3
	v_lshlrev_b32_e32 v40, 24, v3
	s_delay_alu instid0(VALU_DEP_4)
	v_cmp_gt_i32_e64 s1, 0, v5
	v_not_b32_e32 v4, v5
	v_not_b32_e32 v5, v6
	v_cmp_gt_i32_e64 s3, 0, v6
	v_cmp_gt_i32_e64 s4, 0, v7
	v_not_b32_e32 v6, v7
	v_not_b32_e32 v7, v38
	v_dual_ashrrev_i32 v4, 31, v4 :: v_dual_bitop2_b32 v1, vcc_lo, v1 bitop3:0x14
	v_dual_ashrrev_i32 v5, 31, v5 :: v_dual_bitop2_b32 v2, s0, v2 bitop3:0x14
	v_cmp_gt_i32_e64 s5, 0, v38
	s_delay_alu instid0(VALU_DEP_4) | instskip(SKIP_1) | instid1(VALU_DEP_4)
	v_dual_ashrrev_i32 v6, 31, v6 :: v_dual_ashrrev_i32 v7, 31, v7
	v_not_b32_e32 v38, v40
	v_xor_b32_e32 v5, s3, v5
	v_bitop3_b32 v1, v1, v2, exec_lo bitop3:0x80
	v_not_b32_e32 v2, v39
	v_xor_b32_e32 v4, s1, v4
	v_cmp_gt_i32_e64 s6, 0, v39
	v_xor_b32_e32 v6, s4, v6
	s_delay_alu instid0(VALU_DEP_4) | instskip(NEXT) | instid1(VALU_DEP_4)
	v_dual_ashrrev_i32 v2, 31, v2 :: v_dual_bitop2_b32 v7, s5, v7 bitop3:0x14
	v_bitop3_b32 v1, v1, v5, v4 bitop3:0x80
	v_cmp_gt_i32_e32 vcc_lo, 0, v40
	v_ashrrev_i32_e32 v4, 31, v38
	v_mad_u32_u24 v5, 0x44, v3, v0
	v_xor_b32_e32 v2, s6, v2
	v_bitop3_b32 v1, v1, v7, v6 bitop3:0x80
	s_delay_alu instid0(VALU_DEP_4) | instskip(SKIP_3) | instid1(VALU_DEP_2)
	v_xor_b32_e32 v4, vcc_lo, v4
	ds_load_b32 v38, v5 offset:64
	; wave barrier
	v_bitop3_b32 v1, v1, v4, v2 bitop3:0x80
	v_mul_u32_u24_e32 v2, 0x44, v3
	v_mbcnt_lo_u32_b32 v39, v1, 0
	v_cmp_ne_u32_e64 s0, 0, v1
	s_delay_alu instid0(VALU_DEP_3) | instskip(NEXT) | instid1(VALU_DEP_3)
	v_add_nc_u32_e32 v40, v0, v2
	v_cmp_eq_u32_e32 vcc_lo, 0, v39
	s_and_b32 s1, s0, vcc_lo
	s_delay_alu instid0(SALU_CYCLE_1)
	s_and_saveexec_b32 s0, s1
	s_cbranch_execz .LBB2497_113
; %bb.112:
	s_wait_dscnt 0x0
	v_bcnt_u32_b32 v1, v1, v38
	ds_store_b32 v40, v1 offset:64
.LBB2497_113:
	s_or_b32 exec_lo, exec_lo, s0
	v_and_b32_e32 v1, 0xffff, v19
	; wave barrier
	s_delay_alu instid0(VALU_DEP_1) | instskip(NEXT) | instid1(VALU_DEP_1)
	v_lshrrev_b32_e32 v1, s16, v1
	v_and_b32_e32 v3, s7, v1
	s_delay_alu instid0(VALU_DEP_1) | instskip(SKIP_1) | instid1(VALU_DEP_1)
	v_lshlrev_b32_e32 v4, 30, v3
	v_bitop3_b32 v2, v1, 1, s7 bitop3:0x80
	v_add_co_u32 v1, s0, v2, -1
	s_delay_alu instid0(VALU_DEP_1) | instskip(NEXT) | instid1(VALU_DEP_4)
	v_cndmask_b32_e64 v2, 0, 1, s0
	v_cmp_gt_i32_e64 s0, 0, v4
	s_delay_alu instid0(VALU_DEP_2) | instskip(SKIP_1) | instid1(VALU_DEP_1)
	v_cmp_ne_u32_e32 vcc_lo, 0, v2
	v_not_b32_e32 v2, v4
	v_dual_ashrrev_i32 v2, 31, v2 :: v_dual_lshlrev_b32 v5, 29, v3
	v_dual_lshlrev_b32 v6, 28, v3 :: v_dual_lshlrev_b32 v7, 27, v3
	v_dual_lshlrev_b32 v41, 26, v3 :: v_dual_lshlrev_b32 v42, 25, v3
	v_lshlrev_b32_e32 v43, 24, v3
	s_delay_alu instid0(VALU_DEP_4)
	v_cmp_gt_i32_e64 s1, 0, v5
	v_not_b32_e32 v4, v5
	v_not_b32_e32 v5, v6
	v_cmp_gt_i32_e64 s3, 0, v6
	v_cmp_gt_i32_e64 s4, 0, v7
	v_not_b32_e32 v6, v7
	v_not_b32_e32 v7, v41
	v_dual_ashrrev_i32 v4, 31, v4 :: v_dual_bitop2_b32 v1, vcc_lo, v1 bitop3:0x14
	v_dual_ashrrev_i32 v5, 31, v5 :: v_dual_bitop2_b32 v2, s0, v2 bitop3:0x14
	v_cmp_gt_i32_e64 s5, 0, v41
	s_delay_alu instid0(VALU_DEP_4) | instskip(NEXT) | instid1(VALU_DEP_3)
	v_dual_ashrrev_i32 v6, 31, v6 :: v_dual_ashrrev_i32 v7, 31, v7
	v_xor_b32_e32 v5, s3, v5
	s_delay_alu instid0(VALU_DEP_4)
	v_bitop3_b32 v1, v1, v2, exec_lo bitop3:0x80
	v_not_b32_e32 v2, v42
	v_xor_b32_e32 v4, s1, v4
	v_not_b32_e32 v41, v43
	v_cmp_gt_i32_e64 s6, 0, v42
	v_xor_b32_e32 v6, s4, v6
	v_dual_ashrrev_i32 v2, 31, v2 :: v_dual_bitop2_b32 v7, s5, v7 bitop3:0x14
	v_bitop3_b32 v1, v1, v5, v4 bitop3:0x80
	v_cmp_gt_i32_e32 vcc_lo, 0, v43
	v_ashrrev_i32_e32 v4, 31, v41
	v_mad_u32_u24 v5, 0x44, v3, v0
	v_xor_b32_e32 v2, s6, v2
	v_bitop3_b32 v1, v1, v7, v6 bitop3:0x80
	s_delay_alu instid0(VALU_DEP_4) | instskip(SKIP_3) | instid1(VALU_DEP_2)
	v_xor_b32_e32 v4, vcc_lo, v4
	ds_load_b32 v41, v5 offset:64
	; wave barrier
	v_bitop3_b32 v1, v1, v4, v2 bitop3:0x80
	v_mul_u32_u24_e32 v2, 0x44, v3
	v_mbcnt_lo_u32_b32 v42, v1, 0
	v_cmp_ne_u32_e64 s0, 0, v1
	s_delay_alu instid0(VALU_DEP_3) | instskip(NEXT) | instid1(VALU_DEP_3)
	v_add_nc_u32_e32 v44, v0, v2
	v_cmp_eq_u32_e32 vcc_lo, 0, v42
	s_and_b32 s1, s0, vcc_lo
	s_delay_alu instid0(SALU_CYCLE_1)
	s_and_saveexec_b32 s0, s1
	s_cbranch_execz .LBB2497_115
; %bb.114:
	s_wait_dscnt 0x0
	v_bcnt_u32_b32 v1, v1, v41
	ds_store_b32 v44, v1 offset:64
.LBB2497_115:
	s_or_b32 exec_lo, exec_lo, s0
	v_and_b32_e32 v1, 0xffff, v12
	; wave barrier
	s_delay_alu instid0(VALU_DEP_1) | instskip(NEXT) | instid1(VALU_DEP_1)
	v_lshrrev_b32_e32 v1, s16, v1
	v_and_b32_e32 v3, s7, v1
	s_delay_alu instid0(VALU_DEP_1) | instskip(SKIP_1) | instid1(VALU_DEP_1)
	v_lshlrev_b32_e32 v4, 30, v3
	v_bitop3_b32 v2, v1, 1, s7 bitop3:0x80
	v_add_co_u32 v1, s0, v2, -1
	s_delay_alu instid0(VALU_DEP_1) | instskip(NEXT) | instid1(VALU_DEP_4)
	v_cndmask_b32_e64 v2, 0, 1, s0
	v_cmp_gt_i32_e64 s0, 0, v4
	s_delay_alu instid0(VALU_DEP_2) | instskip(SKIP_1) | instid1(VALU_DEP_1)
	v_cmp_ne_u32_e32 vcc_lo, 0, v2
	v_not_b32_e32 v2, v4
	v_dual_ashrrev_i32 v2, 31, v2 :: v_dual_lshlrev_b32 v5, 29, v3
	v_dual_lshlrev_b32 v6, 28, v3 :: v_dual_lshlrev_b32 v7, 27, v3
	v_dual_lshlrev_b32 v43, 26, v3 :: v_dual_lshlrev_b32 v45, 25, v3
	v_lshlrev_b32_e32 v46, 24, v3
	s_delay_alu instid0(VALU_DEP_4)
	v_cmp_gt_i32_e64 s1, 0, v5
	v_not_b32_e32 v4, v5
	v_not_b32_e32 v5, v6
	v_cmp_gt_i32_e64 s3, 0, v6
	v_cmp_gt_i32_e64 s4, 0, v7
	v_not_b32_e32 v6, v7
	v_not_b32_e32 v7, v43
	v_dual_ashrrev_i32 v4, 31, v4 :: v_dual_bitop2_b32 v1, vcc_lo, v1 bitop3:0x14
	v_dual_ashrrev_i32 v5, 31, v5 :: v_dual_bitop2_b32 v2, s0, v2 bitop3:0x14
	v_cmp_gt_i32_e64 s5, 0, v43
	s_delay_alu instid0(VALU_DEP_4) | instskip(SKIP_1) | instid1(VALU_DEP_4)
	v_dual_ashrrev_i32 v6, 31, v6 :: v_dual_ashrrev_i32 v7, 31, v7
	v_not_b32_e32 v43, v46
	v_xor_b32_e32 v5, s3, v5
	v_bitop3_b32 v1, v1, v2, exec_lo bitop3:0x80
	v_not_b32_e32 v2, v45
	v_xor_b32_e32 v4, s1, v4
	v_cmp_gt_i32_e64 s6, 0, v45
	v_xor_b32_e32 v6, s4, v6
	s_delay_alu instid0(VALU_DEP_4) | instskip(NEXT) | instid1(VALU_DEP_4)
	v_dual_ashrrev_i32 v2, 31, v2 :: v_dual_bitop2_b32 v7, s5, v7 bitop3:0x14
	v_bitop3_b32 v1, v1, v5, v4 bitop3:0x80
	v_cmp_gt_i32_e32 vcc_lo, 0, v46
	v_ashrrev_i32_e32 v4, 31, v43
	v_mad_u32_u24 v5, 0x44, v3, v0
	v_xor_b32_e32 v2, s6, v2
	v_bitop3_b32 v1, v1, v7, v6 bitop3:0x80
	s_delay_alu instid0(VALU_DEP_4) | instskip(SKIP_3) | instid1(VALU_DEP_2)
	v_xor_b32_e32 v4, vcc_lo, v4
	ds_load_b32 v43, v5 offset:64
	; wave barrier
	v_bitop3_b32 v1, v1, v4, v2 bitop3:0x80
	v_mul_u32_u24_e32 v2, 0x44, v3
	v_mbcnt_lo_u32_b32 v45, v1, 0
	v_cmp_ne_u32_e64 s0, 0, v1
	s_delay_alu instid0(VALU_DEP_3) | instskip(NEXT) | instid1(VALU_DEP_3)
	v_add_nc_u32_e32 v48, v0, v2
	v_cmp_eq_u32_e32 vcc_lo, 0, v45
	s_and_b32 s1, s0, vcc_lo
	s_delay_alu instid0(SALU_CYCLE_1)
	s_and_saveexec_b32 s0, s1
	s_cbranch_execz .LBB2497_117
; %bb.116:
	s_wait_dscnt 0x0
	v_bcnt_u32_b32 v1, v1, v43
	ds_store_b32 v48, v1 offset:64
.LBB2497_117:
	s_or_b32 exec_lo, exec_lo, s0
	v_and_b32_e32 v1, 0xffff, v8
	; wave barrier
	s_delay_alu instid0(VALU_DEP_1) | instskip(NEXT) | instid1(VALU_DEP_1)
	v_lshrrev_b32_e32 v1, s16, v1
	v_and_b32_e32 v3, s7, v1
	s_delay_alu instid0(VALU_DEP_1) | instskip(SKIP_1) | instid1(VALU_DEP_1)
	v_lshlrev_b32_e32 v4, 30, v3
	v_bitop3_b32 v2, v1, 1, s7 bitop3:0x80
	v_add_co_u32 v1, s0, v2, -1
	s_delay_alu instid0(VALU_DEP_1) | instskip(NEXT) | instid1(VALU_DEP_4)
	v_cndmask_b32_e64 v2, 0, 1, s0
	v_cmp_gt_i32_e64 s0, 0, v4
	s_delay_alu instid0(VALU_DEP_2) | instskip(SKIP_1) | instid1(VALU_DEP_1)
	v_cmp_ne_u32_e32 vcc_lo, 0, v2
	v_not_b32_e32 v2, v4
	v_dual_ashrrev_i32 v2, 31, v2 :: v_dual_lshlrev_b32 v5, 29, v3
	v_dual_lshlrev_b32 v6, 28, v3 :: v_dual_lshlrev_b32 v7, 27, v3
	v_dual_lshlrev_b32 v46, 26, v3 :: v_dual_lshlrev_b32 v47, 25, v3
	v_lshlrev_b32_e32 v49, 24, v3
	s_delay_alu instid0(VALU_DEP_4)
	v_cmp_gt_i32_e64 s1, 0, v5
	v_not_b32_e32 v4, v5
	v_not_b32_e32 v5, v6
	v_cmp_gt_i32_e64 s3, 0, v6
	v_cmp_gt_i32_e64 s4, 0, v7
	v_not_b32_e32 v6, v7
	v_not_b32_e32 v7, v46
	v_dual_ashrrev_i32 v4, 31, v4 :: v_dual_bitop2_b32 v1, vcc_lo, v1 bitop3:0x14
	v_dual_ashrrev_i32 v5, 31, v5 :: v_dual_bitop2_b32 v2, s0, v2 bitop3:0x14
	v_cmp_gt_i32_e64 s5, 0, v46
	s_delay_alu instid0(VALU_DEP_4) | instskip(SKIP_1) | instid1(VALU_DEP_4)
	v_dual_ashrrev_i32 v6, 31, v6 :: v_dual_ashrrev_i32 v7, 31, v7
	v_not_b32_e32 v46, v49
	v_xor_b32_e32 v5, s3, v5
	v_bitop3_b32 v1, v1, v2, exec_lo bitop3:0x80
	v_not_b32_e32 v2, v47
	v_xor_b32_e32 v4, s1, v4
	v_cmp_gt_i32_e64 s6, 0, v47
	v_xor_b32_e32 v6, s4, v6
	s_delay_alu instid0(VALU_DEP_4) | instskip(NEXT) | instid1(VALU_DEP_4)
	v_dual_ashrrev_i32 v2, 31, v2 :: v_dual_bitop2_b32 v7, s5, v7 bitop3:0x14
	v_bitop3_b32 v1, v1, v5, v4 bitop3:0x80
	v_cmp_gt_i32_e32 vcc_lo, 0, v49
	v_ashrrev_i32_e32 v4, 31, v46
	v_mad_u32_u24 v5, 0x44, v3, v0
	v_xor_b32_e32 v2, s6, v2
	v_bitop3_b32 v1, v1, v7, v6 bitop3:0x80
	s_delay_alu instid0(VALU_DEP_4) | instskip(SKIP_3) | instid1(VALU_DEP_2)
	v_xor_b32_e32 v4, vcc_lo, v4
	ds_load_b32 v46, v5 offset:64
	; wave barrier
	v_bitop3_b32 v1, v1, v4, v2 bitop3:0x80
	v_mul_u32_u24_e32 v2, 0x44, v3
	v_mbcnt_lo_u32_b32 v47, v1, 0
	v_cmp_ne_u32_e64 s0, 0, v1
	s_delay_alu instid0(VALU_DEP_3) | instskip(NEXT) | instid1(VALU_DEP_3)
	v_add_nc_u32_e32 v51, v0, v2
	v_cmp_eq_u32_e32 vcc_lo, 0, v47
	s_and_b32 s1, s0, vcc_lo
	s_delay_alu instid0(SALU_CYCLE_1)
	s_and_saveexec_b32 s0, s1
	s_cbranch_execz .LBB2497_119
; %bb.118:
	s_wait_dscnt 0x0
	v_bcnt_u32_b32 v1, v1, v46
	ds_store_b32 v51, v1 offset:64
.LBB2497_119:
	s_or_b32 exec_lo, exec_lo, s0
	v_and_b32_e32 v1, 0xffff, v9
	; wave barrier
	s_delay_alu instid0(VALU_DEP_1) | instskip(NEXT) | instid1(VALU_DEP_1)
	v_lshrrev_b32_e32 v1, s16, v1
	v_and_b32_e32 v3, s7, v1
	s_delay_alu instid0(VALU_DEP_1) | instskip(SKIP_1) | instid1(VALU_DEP_1)
	v_lshlrev_b32_e32 v4, 30, v3
	v_bitop3_b32 v2, v1, 1, s7 bitop3:0x80
	v_add_co_u32 v1, s0, v2, -1
	s_delay_alu instid0(VALU_DEP_1) | instskip(NEXT) | instid1(VALU_DEP_4)
	v_cndmask_b32_e64 v2, 0, 1, s0
	v_cmp_gt_i32_e64 s0, 0, v4
	s_delay_alu instid0(VALU_DEP_2) | instskip(SKIP_1) | instid1(VALU_DEP_1)
	v_cmp_ne_u32_e32 vcc_lo, 0, v2
	v_not_b32_e32 v2, v4
	v_dual_ashrrev_i32 v2, 31, v2 :: v_dual_lshlrev_b32 v5, 29, v3
	v_dual_lshlrev_b32 v6, 28, v3 :: v_dual_lshlrev_b32 v7, 27, v3
	v_dual_lshlrev_b32 v49, 26, v3 :: v_dual_lshlrev_b32 v50, 25, v3
	v_lshlrev_b32_e32 v52, 24, v3
	s_delay_alu instid0(VALU_DEP_4)
	v_cmp_gt_i32_e64 s1, 0, v5
	v_not_b32_e32 v4, v5
	v_not_b32_e32 v5, v6
	v_cmp_gt_i32_e64 s3, 0, v6
	v_cmp_gt_i32_e64 s4, 0, v7
	v_not_b32_e32 v6, v7
	v_not_b32_e32 v7, v49
	v_dual_ashrrev_i32 v4, 31, v4 :: v_dual_bitop2_b32 v1, vcc_lo, v1 bitop3:0x14
	v_dual_ashrrev_i32 v5, 31, v5 :: v_dual_bitop2_b32 v2, s0, v2 bitop3:0x14
	v_cmp_gt_i32_e64 s5, 0, v49
	s_delay_alu instid0(VALU_DEP_4) | instskip(NEXT) | instid1(VALU_DEP_3)
	v_dual_ashrrev_i32 v6, 31, v6 :: v_dual_ashrrev_i32 v7, 31, v7
	v_xor_b32_e32 v5, s3, v5
	s_delay_alu instid0(VALU_DEP_4)
	v_bitop3_b32 v1, v1, v2, exec_lo bitop3:0x80
	v_not_b32_e32 v2, v50
	v_xor_b32_e32 v4, s1, v4
	v_not_b32_e32 v49, v52
	v_cmp_gt_i32_e64 s6, 0, v50
	v_xor_b32_e32 v6, s4, v6
	v_dual_ashrrev_i32 v2, 31, v2 :: v_dual_bitop2_b32 v7, s5, v7 bitop3:0x14
	v_bitop3_b32 v1, v1, v5, v4 bitop3:0x80
	v_cmp_gt_i32_e32 vcc_lo, 0, v52
	v_ashrrev_i32_e32 v4, 31, v49
	v_mad_u32_u24 v5, 0x44, v3, v0
	v_xor_b32_e32 v2, s6, v2
	v_bitop3_b32 v1, v1, v7, v6 bitop3:0x80
	s_delay_alu instid0(VALU_DEP_4) | instskip(SKIP_3) | instid1(VALU_DEP_2)
	v_xor_b32_e32 v4, vcc_lo, v4
	ds_load_b32 v49, v5 offset:64
	; wave barrier
	v_bitop3_b32 v1, v1, v4, v2 bitop3:0x80
	v_mul_u32_u24_e32 v2, 0x44, v3
	v_mbcnt_lo_u32_b32 v50, v1, 0
	v_cmp_ne_u32_e64 s0, 0, v1
	s_delay_alu instid0(VALU_DEP_3) | instskip(NEXT) | instid1(VALU_DEP_3)
	v_add_nc_u32_e32 v54, v0, v2
	v_cmp_eq_u32_e32 vcc_lo, 0, v50
	s_and_b32 s1, s0, vcc_lo
	s_delay_alu instid0(SALU_CYCLE_1)
	s_and_saveexec_b32 s0, s1
	s_cbranch_execz .LBB2497_121
; %bb.120:
	s_wait_dscnt 0x0
	v_bcnt_u32_b32 v1, v1, v49
	ds_store_b32 v54, v1 offset:64
.LBB2497_121:
	s_or_b32 exec_lo, exec_lo, s0
	v_and_b32_e32 v1, 0xffff, v10
	; wave barrier
	s_delay_alu instid0(VALU_DEP_1) | instskip(NEXT) | instid1(VALU_DEP_1)
	v_lshrrev_b32_e32 v1, s16, v1
	v_and_b32_e32 v3, s7, v1
	s_delay_alu instid0(VALU_DEP_1) | instskip(SKIP_1) | instid1(VALU_DEP_1)
	v_lshlrev_b32_e32 v4, 30, v3
	v_bitop3_b32 v2, v1, 1, s7 bitop3:0x80
	v_add_co_u32 v1, s0, v2, -1
	s_delay_alu instid0(VALU_DEP_1) | instskip(NEXT) | instid1(VALU_DEP_4)
	v_cndmask_b32_e64 v2, 0, 1, s0
	v_cmp_gt_i32_e64 s0, 0, v4
	s_delay_alu instid0(VALU_DEP_2) | instskip(SKIP_1) | instid1(VALU_DEP_1)
	v_cmp_ne_u32_e32 vcc_lo, 0, v2
	v_not_b32_e32 v2, v4
	v_dual_ashrrev_i32 v2, 31, v2 :: v_dual_lshlrev_b32 v5, 29, v3
	v_dual_lshlrev_b32 v6, 28, v3 :: v_dual_lshlrev_b32 v7, 27, v3
	v_dual_lshlrev_b32 v52, 26, v3 :: v_dual_lshlrev_b32 v53, 25, v3
	v_lshlrev_b32_e32 v55, 24, v3
	s_delay_alu instid0(VALU_DEP_4)
	v_cmp_gt_i32_e64 s1, 0, v5
	v_not_b32_e32 v4, v5
	v_not_b32_e32 v5, v6
	v_cmp_gt_i32_e64 s3, 0, v6
	v_cmp_gt_i32_e64 s4, 0, v7
	v_not_b32_e32 v6, v7
	v_not_b32_e32 v7, v52
	v_dual_ashrrev_i32 v4, 31, v4 :: v_dual_bitop2_b32 v1, vcc_lo, v1 bitop3:0x14
	v_dual_ashrrev_i32 v5, 31, v5 :: v_dual_bitop2_b32 v2, s0, v2 bitop3:0x14
	v_cmp_gt_i32_e64 s5, 0, v52
	s_delay_alu instid0(VALU_DEP_4) | instskip(SKIP_1) | instid1(VALU_DEP_4)
	v_dual_ashrrev_i32 v6, 31, v6 :: v_dual_ashrrev_i32 v7, 31, v7
	v_not_b32_e32 v52, v55
	v_xor_b32_e32 v5, s3, v5
	v_bitop3_b32 v1, v1, v2, exec_lo bitop3:0x80
	v_not_b32_e32 v2, v53
	v_xor_b32_e32 v4, s1, v4
	v_cmp_gt_i32_e64 s6, 0, v53
	v_xor_b32_e32 v6, s4, v6
	s_delay_alu instid0(VALU_DEP_4) | instskip(NEXT) | instid1(VALU_DEP_4)
	v_dual_ashrrev_i32 v2, 31, v2 :: v_dual_bitop2_b32 v7, s5, v7 bitop3:0x14
	v_bitop3_b32 v1, v1, v5, v4 bitop3:0x80
	v_cmp_gt_i32_e32 vcc_lo, 0, v55
	v_ashrrev_i32_e32 v4, 31, v52
	v_mad_u32_u24 v5, 0x44, v3, v0
	v_xor_b32_e32 v2, s6, v2
	v_bitop3_b32 v1, v1, v7, v6 bitop3:0x80
	s_delay_alu instid0(VALU_DEP_4) | instskip(SKIP_3) | instid1(VALU_DEP_2)
	v_xor_b32_e32 v4, vcc_lo, v4
	ds_load_b32 v52, v5 offset:64
	; wave barrier
	v_bitop3_b32 v1, v1, v4, v2 bitop3:0x80
	v_mul_u32_u24_e32 v2, 0x44, v3
	v_mbcnt_lo_u32_b32 v53, v1, 0
	v_cmp_ne_u32_e64 s0, 0, v1
	s_delay_alu instid0(VALU_DEP_3) | instskip(NEXT) | instid1(VALU_DEP_3)
	v_add_nc_u32_e32 v57, v0, v2
	v_cmp_eq_u32_e32 vcc_lo, 0, v53
	s_and_b32 s1, s0, vcc_lo
	s_delay_alu instid0(SALU_CYCLE_1)
	s_and_saveexec_b32 s0, s1
	s_cbranch_execz .LBB2497_123
; %bb.122:
	s_wait_dscnt 0x0
	v_bcnt_u32_b32 v1, v1, v52
	ds_store_b32 v57, v1 offset:64
.LBB2497_123:
	s_or_b32 exec_lo, exec_lo, s0
	v_and_b32_e32 v1, 0xffff, v11
	; wave barrier
	s_delay_alu instid0(VALU_DEP_1) | instskip(NEXT) | instid1(VALU_DEP_1)
	v_lshrrev_b32_e32 v1, s16, v1
	v_and_b32_e32 v3, s7, v1
	s_delay_alu instid0(VALU_DEP_1) | instskip(SKIP_1) | instid1(VALU_DEP_1)
	v_lshlrev_b32_e32 v4, 30, v3
	v_bitop3_b32 v2, v1, 1, s7 bitop3:0x80
	v_add_co_u32 v1, s0, v2, -1
	s_delay_alu instid0(VALU_DEP_1) | instskip(NEXT) | instid1(VALU_DEP_4)
	v_cndmask_b32_e64 v2, 0, 1, s0
	v_cmp_gt_i32_e64 s0, 0, v4
	s_delay_alu instid0(VALU_DEP_2) | instskip(SKIP_1) | instid1(VALU_DEP_1)
	v_cmp_ne_u32_e32 vcc_lo, 0, v2
	v_not_b32_e32 v2, v4
	v_dual_ashrrev_i32 v2, 31, v2 :: v_dual_lshlrev_b32 v5, 29, v3
	v_dual_lshlrev_b32 v6, 28, v3 :: v_dual_lshlrev_b32 v7, 27, v3
	v_dual_lshlrev_b32 v55, 26, v3 :: v_dual_lshlrev_b32 v56, 25, v3
	v_lshlrev_b32_e32 v58, 24, v3
	s_delay_alu instid0(VALU_DEP_4)
	v_cmp_gt_i32_e64 s1, 0, v5
	v_not_b32_e32 v4, v5
	v_not_b32_e32 v5, v6
	v_cmp_gt_i32_e64 s3, 0, v6
	v_cmp_gt_i32_e64 s4, 0, v7
	v_not_b32_e32 v6, v7
	v_not_b32_e32 v7, v55
	v_dual_ashrrev_i32 v4, 31, v4 :: v_dual_bitop2_b32 v1, vcc_lo, v1 bitop3:0x14
	v_dual_ashrrev_i32 v5, 31, v5 :: v_dual_bitop2_b32 v2, s0, v2 bitop3:0x14
	v_cmp_gt_i32_e64 s5, 0, v55
	s_delay_alu instid0(VALU_DEP_4) | instskip(SKIP_1) | instid1(VALU_DEP_4)
	v_dual_ashrrev_i32 v6, 31, v6 :: v_dual_ashrrev_i32 v7, 31, v7
	v_not_b32_e32 v55, v58
	v_xor_b32_e32 v5, s3, v5
	v_bitop3_b32 v1, v1, v2, exec_lo bitop3:0x80
	v_not_b32_e32 v2, v56
	v_xor_b32_e32 v4, s1, v4
	v_cmp_gt_i32_e64 s6, 0, v56
	v_xor_b32_e32 v6, s4, v6
	s_delay_alu instid0(VALU_DEP_4) | instskip(NEXT) | instid1(VALU_DEP_4)
	v_dual_ashrrev_i32 v2, 31, v2 :: v_dual_bitop2_b32 v7, s5, v7 bitop3:0x14
	v_bitop3_b32 v1, v1, v5, v4 bitop3:0x80
	v_cmp_gt_i32_e32 vcc_lo, 0, v58
	v_ashrrev_i32_e32 v4, 31, v55
	v_mad_u32_u24 v5, 0x44, v3, v0
	v_xor_b32_e32 v2, s6, v2
	v_bitop3_b32 v1, v1, v7, v6 bitop3:0x80
	s_delay_alu instid0(VALU_DEP_4) | instskip(SKIP_3) | instid1(VALU_DEP_2)
	v_xor_b32_e32 v4, vcc_lo, v4
	ds_load_b32 v55, v5 offset:64
	; wave barrier
	v_bitop3_b32 v1, v1, v4, v2 bitop3:0x80
	v_mul_u32_u24_e32 v2, 0x44, v3
	v_mbcnt_lo_u32_b32 v56, v1, 0
	v_cmp_ne_u32_e64 s0, 0, v1
	s_delay_alu instid0(VALU_DEP_3) | instskip(NEXT) | instid1(VALU_DEP_3)
	v_add_nc_u32_e32 v58, v0, v2
	v_cmp_eq_u32_e32 vcc_lo, 0, v56
	s_and_b32 s1, s0, vcc_lo
	s_delay_alu instid0(SALU_CYCLE_1)
	s_and_saveexec_b32 s0, s1
	s_cbranch_execz .LBB2497_125
; %bb.124:
	s_wait_dscnt 0x0
	v_bcnt_u32_b32 v0, v1, v55
	ds_store_b32 v58, v0 offset:64
.LBB2497_125:
	s_or_b32 exec_lo, exec_lo, s0
	; wave barrier
	s_wait_dscnt 0x0
	s_barrier_signal -1
	s_barrier_wait -1
	ds_load_2addr_b32 v[6:7], v24 offset0:16 offset1:17
	ds_load_2addr_b32 v[4:5], v24 offset0:18 offset1:19
	;; [unrolled: 1-line block ×4, first 2 shown]
	ds_load_b32 v59, v24 offset:96
	v_min_u32_e32 v16, 0x1e0, v16
	s_mov_b32 s5, exec_lo
	s_delay_alu instid0(VALU_DEP_1) | instskip(SKIP_3) | instid1(VALU_DEP_1)
	v_or_b32_e32 v62, 31, v16
	s_wait_dscnt 0x3
	v_add3_u32 v60, v7, v6, v4
	s_wait_dscnt 0x2
	v_add3_u32 v60, v60, v5, v2
	s_wait_dscnt 0x1
	s_delay_alu instid0(VALU_DEP_1) | instskip(SKIP_1) | instid1(VALU_DEP_1)
	v_add3_u32 v60, v60, v3, v0
	s_wait_dscnt 0x0
	v_add3_u32 v59, v60, v1, v59
	v_and_b32_e32 v60, 15, v15
	s_delay_alu instid0(VALU_DEP_2) | instskip(NEXT) | instid1(VALU_DEP_2)
	v_mov_b32_dpp v61, v59 row_shr:1 row_mask:0xf bank_mask:0xf
	v_cmp_eq_u32_e32 vcc_lo, 0, v60
	v_cmp_lt_u32_e64 s0, 1, v60
	s_delay_alu instid0(VALU_DEP_3) | instskip(NEXT) | instid1(VALU_DEP_1)
	v_cndmask_b32_e64 v61, v61, 0, vcc_lo
	v_add_nc_u32_e32 v59, v61, v59
	s_delay_alu instid0(VALU_DEP_1) | instskip(NEXT) | instid1(VALU_DEP_1)
	v_mov_b32_dpp v61, v59 row_shr:2 row_mask:0xf bank_mask:0xf
	v_cndmask_b32_e64 v61, 0, v61, s0
	v_cmp_lt_u32_e64 s3, 7, v60
	v_cmp_lt_u32_e64 s1, 3, v60
	s_delay_alu instid0(VALU_DEP_3) | instskip(NEXT) | instid1(VALU_DEP_1)
	v_add_nc_u32_e32 v59, v59, v61
	v_mov_b32_dpp v61, v59 row_shr:4 row_mask:0xf bank_mask:0xf
	s_delay_alu instid0(VALU_DEP_1) | instskip(NEXT) | instid1(VALU_DEP_1)
	v_cndmask_b32_e64 v61, 0, v61, s1
	v_add_nc_u32_e32 v59, v59, v61
	s_delay_alu instid0(VALU_DEP_1) | instskip(NEXT) | instid1(VALU_DEP_1)
	v_mov_b32_dpp v61, v59 row_shr:8 row_mask:0xf bank_mask:0xf
	v_cndmask_b32_e64 v60, 0, v61, s3
	v_bfe_i32 v61, v15, 4, 1
	s_delay_alu instid0(VALU_DEP_2) | instskip(SKIP_3) | instid1(VALU_DEP_1)
	v_add_nc_u32_e32 v60, v59, v60
	ds_swizzle_b32 v59, v60 offset:swizzle(BROADCAST,32,15)
	s_wait_dscnt 0x0
	v_dual_lshrrev_b32 v59, 5, v14 :: v_dual_bitop2_b32 v61, v61, v59 bitop3:0x40
	v_add_nc_u32_e32 v16, v60, v61
	v_cmpx_eq_u32_e64 v14, v62
; %bb.126:
	s_delay_alu instid0(VALU_DEP_3)
	v_lshlrev_b32_e32 v60, 2, v59
	ds_store_b32 v60, v16
; %bb.127:
	s_or_b32 exec_lo, exec_lo, s5
	s_delay_alu instid0(SALU_CYCLE_1)
	s_mov_b32 s5, exec_lo
	s_wait_dscnt 0x0
	s_barrier_signal -1
	s_barrier_wait -1
	v_cmpx_gt_u32_e32 16, v14
	s_cbranch_execz .LBB2497_129
; %bb.128:
	v_lshlrev_b32_e32 v60, 2, v14
	ds_load_b32 v61, v60
	s_wait_dscnt 0x0
	v_mov_b32_dpp v62, v61 row_shr:1 row_mask:0xf bank_mask:0xf
	s_delay_alu instid0(VALU_DEP_1) | instskip(NEXT) | instid1(VALU_DEP_1)
	v_cndmask_b32_e64 v62, v62, 0, vcc_lo
	v_add_nc_u32_e32 v61, v62, v61
	s_delay_alu instid0(VALU_DEP_1) | instskip(NEXT) | instid1(VALU_DEP_1)
	v_mov_b32_dpp v62, v61 row_shr:2 row_mask:0xf bank_mask:0xf
	v_cndmask_b32_e64 v62, 0, v62, s0
	s_delay_alu instid0(VALU_DEP_1) | instskip(NEXT) | instid1(VALU_DEP_1)
	v_add_nc_u32_e32 v61, v61, v62
	v_mov_b32_dpp v62, v61 row_shr:4 row_mask:0xf bank_mask:0xf
	s_delay_alu instid0(VALU_DEP_1) | instskip(NEXT) | instid1(VALU_DEP_1)
	v_cndmask_b32_e64 v62, 0, v62, s1
	v_add_nc_u32_e32 v61, v61, v62
	s_delay_alu instid0(VALU_DEP_1) | instskip(NEXT) | instid1(VALU_DEP_1)
	v_mov_b32_dpp v62, v61 row_shr:8 row_mask:0xf bank_mask:0xf
	v_cndmask_b32_e64 v62, 0, v62, s3
	s_delay_alu instid0(VALU_DEP_1)
	v_add_nc_u32_e32 v61, v61, v62
	ds_store_b32 v60, v61
.LBB2497_129:
	s_or_b32 exec_lo, exec_lo, s5
	v_mov_b32_e32 v60, 0
	s_mov_b32 s0, exec_lo
	s_wait_dscnt 0x0
	s_barrier_signal -1
	s_barrier_wait -1
	v_cmpx_lt_u32_e32 31, v14
; %bb.130:
	v_lshl_add_u32 v59, v59, 2, -4
	ds_load_b32 v60, v59
; %bb.131:
	s_or_b32 exec_lo, exec_lo, s0
	v_sub_co_u32 v59, vcc_lo, v15, 1
	s_wait_dscnt 0x0
	v_add_nc_u32_e32 v16, v60, v16
	s_delay_alu instid0(VALU_DEP_2) | instskip(NEXT) | instid1(VALU_DEP_1)
	v_cmp_gt_i32_e64 s0, 0, v59
	v_cndmask_b32_e64 v15, v59, v15, s0
	v_cmp_gt_u32_e64 s0, 0x100, v14
	s_delay_alu instid0(VALU_DEP_2) | instskip(SKIP_4) | instid1(VALU_DEP_2)
	v_lshlrev_b32_e32 v15, 2, v15
	ds_bpermute_b32 v15, v15, v16
	s_wait_dscnt 0x0
	v_cndmask_b32_e32 v15, v15, v60, vcc_lo
	v_cmp_lt_u32_e32 vcc_lo, 0xff, v14
	v_cndmask_b32_e64 v15, v15, 0, s2
	s_delay_alu instid0(VALU_DEP_1) | instskip(NEXT) | instid1(VALU_DEP_1)
	v_add_nc_u32_e32 v6, v15, v6
	v_add_nc_u32_e32 v7, v6, v7
	s_delay_alu instid0(VALU_DEP_1) | instskip(NEXT) | instid1(VALU_DEP_1)
	v_add_nc_u32_e32 v4, v7, v4
	v_add_nc_u32_e32 v5, v4, v5
	;; [unrolled: 3-line block ×4, first 2 shown]
	ds_store_2addr_b32 v24, v15, v6 offset0:16 offset1:17
	ds_store_2addr_b32 v24, v7, v4 offset0:18 offset1:19
	;; [unrolled: 1-line block ×4, first 2 shown]
	ds_store_b32 v24, v1 offset:96
	s_wait_dscnt 0x0
	s_barrier_signal -1
	s_barrier_wait -1
	ds_load_b32 v59, v25 offset:64
	ds_load_b32 v60, v28 offset:64
	;; [unrolled: 1-line block ×12, first 2 shown]
	v_mov_b64_e32 v[0:1], 0
                                        ; implicit-def: $vgpr2
	s_and_saveexec_b32 s2, s0
	s_cbranch_execz .LBB2497_135
; %bb.132:
	v_mul_u32_u24_e32 v0, 0x44, v14
	v_dual_mov_b32 v1, 0x1800 :: v_dual_add_nc_u32 v2, 1, v14
	s_mov_b32 s3, exec_lo
	ds_load_b32 v0, v0 offset:64
	v_cmpx_ne_u32_e32 0x100, v2
; %bb.133:
	v_mul_u32_u24_e32 v1, 0x44, v2
	ds_load_b32 v1, v1 offset:64
; %bb.134:
	s_or_b32 exec_lo, exec_lo, s3
	s_wait_dscnt 0x0
	v_dual_mov_b32 v1, 0 :: v_dual_sub_nc_u32 v2, v1, v0
.LBB2497_135:
	s_or_b32 exec_lo, exec_lo, s2
	s_wait_dscnt 0xa
	v_dual_lshlrev_b32 v23, 1, v23 :: v_dual_lshlrev_b32 v31, 1, v60
	v_dual_lshlrev_b32 v27, 1, v27 :: v_dual_lshlrev_b32 v26, 1, v26
	v_lshlrev_b32_e32 v29, 1, v29
	s_delay_alu instid0(VALU_DEP_3)
	v_lshl_add_u32 v23, v59, 1, v23
	s_wait_dscnt 0x0
	s_barrier_signal -1
	v_add3_u32 v26, v31, v27, v26
	v_dual_lshlrev_b32 v27, 1, v28 :: v_dual_lshlrev_b32 v28, 1, v30
	s_barrier_wait -1
	ds_store_b16 v23, v21 offset:2048
	ds_store_b16 v26, v22 offset:2048
	v_dual_lshlrev_b32 v22, 1, v25 :: v_dual_lshlrev_b32 v24, 1, v24
	v_dual_lshlrev_b32 v23, 1, v33 :: v_dual_lshlrev_b32 v26, 1, v36
	v_lshlrev_b32_e32 v25, 1, v32
	v_add3_u32 v21, v27, v28, v29
	v_dual_lshlrev_b32 v27, 1, v35 :: v_dual_lshlrev_b32 v16, 1, v16
	v_dual_lshlrev_b32 v28, 1, v39 :: v_dual_lshlrev_b32 v29, 1, v38
	;; [unrolled: 1-line block ×4, first 2 shown]
	ds_store_b16 v21, v20 offset:2048
	v_add3_u32 v20, v22, v23, v25
	v_dual_lshlrev_b32 v22, 1, v45 :: v_dual_lshlrev_b32 v23, 1, v43
	v_add3_u32 v21, v24, v26, v27
	v_add3_u32 v16, v16, v28, v29
	;; [unrolled: 1-line block ×3, first 2 shown]
	ds_store_b16 v20, v13 offset:2048
	ds_store_b16 v21, v17 offset:2048
	;; [unrolled: 1-line block ×4, first 2 shown]
	v_add3_u32 v7, v7, v22, v23
	v_dual_lshlrev_b32 v6, 1, v6 :: v_dual_lshlrev_b32 v13, 1, v47
	v_dual_lshlrev_b32 v15, 1, v46 :: v_dual_lshlrev_b32 v5, 1, v5
	;; [unrolled: 1-line block ×6, first 2 shown]
	ds_store_b16 v7, v12 offset:2048
	v_add3_u32 v6, v6, v13, v15
	v_add3_u32 v7, v5, v16, v17
	;; [unrolled: 1-line block ×3, first 2 shown]
	v_dual_mov_b32 v5, 0 :: v_dual_lshlrev_b32 v3, 3, v14
	v_add3_u32 v4, v4, v18, v19
	ds_store_b16 v6, v8 offset:2048
	ds_store_b16 v7, v9 offset:2048
	;; [unrolled: 1-line block ×4, first 2 shown]
	s_and_saveexec_b32 s1, s0
	s_cbranch_execz .LBB2497_145
; %bb.136:
	v_lshl_add_u32 v4, s19, 8, v14
	v_dual_mov_b32 v8, 0 :: v_dual_bitop2_b32 v9, 2.0, v2 bitop3:0x54
	s_mov_b32 s2, 0
	s_mov_b32 s3, s19
	s_delay_alu instid0(VALU_DEP_2)
	v_lshl_add_u64 v[6:7], v[4:5], 2, s[20:21]
	global_store_b32 v4, v9, s[20:21] scale_offset scope:SCOPE_DEV
                                        ; implicit-def: $sgpr0
	s_branch .LBB2497_139
.LBB2497_137:                           ;   in Loop: Header=BB2497_139 Depth=1
	s_or_b32 exec_lo, exec_lo, s5
.LBB2497_138:                           ;   in Loop: Header=BB2497_139 Depth=1
	s_delay_alu instid0(SALU_CYCLE_1) | instskip(SKIP_2) | instid1(VALU_DEP_2)
	s_or_b32 exec_lo, exec_lo, s4
	v_and_b32_e32 v4, 0x3fffffff, v9
	v_cmp_gt_i32_e64 s0, -2.0, v9
	v_add_nc_u32_e32 v8, v4, v8
	s_and_b32 s4, exec_lo, s0
	s_delay_alu instid0(SALU_CYCLE_1) | instskip(NEXT) | instid1(SALU_CYCLE_1)
	s_or_b32 s2, s4, s2
	s_and_not1_b32 exec_lo, exec_lo, s2
	s_cbranch_execz .LBB2497_144
.LBB2497_139:                           ; =>This Loop Header: Depth=1
                                        ;     Child Loop BB2497_142 Depth 2
	s_or_b32 s0, s0, exec_lo
	s_cmp_eq_u32 s3, 0
	s_cbranch_scc1 .LBB2497_143
; %bb.140:                              ;   in Loop: Header=BB2497_139 Depth=1
	s_add_co_i32 s3, s3, -1
	s_mov_b32 s4, exec_lo
	s_wait_xcnt 0x0
	v_lshl_or_b32 v4, s3, 8, v14
	global_load_b32 v9, v4, s[20:21] scale_offset scope:SCOPE_DEV
	s_wait_loadcnt 0x0
	v_cmpx_gt_u32_e32 2.0, v9
	s_cbranch_execz .LBB2497_138
; %bb.141:                              ;   in Loop: Header=BB2497_139 Depth=1
	v_lshl_add_u64 v[10:11], v[4:5], 2, s[20:21]
	s_mov_b32 s5, 0
.LBB2497_142:                           ;   Parent Loop BB2497_139 Depth=1
                                        ; =>  This Inner Loop Header: Depth=2
	global_load_b32 v9, v[10:11], off scope:SCOPE_DEV
	s_wait_loadcnt 0x0
	v_cmp_lt_u32_e64 s0, 0x3fffffff, v9
	s_or_b32 s5, s0, s5
	s_wait_xcnt 0x0
	s_and_not1_b32 exec_lo, exec_lo, s5
	s_cbranch_execnz .LBB2497_142
	s_branch .LBB2497_137
.LBB2497_143:                           ;   in Loop: Header=BB2497_139 Depth=1
                                        ; implicit-def: $sgpr3
	s_and_b32 s4, exec_lo, s0
	s_delay_alu instid0(SALU_CYCLE_1)
	s_or_b32 s2, s4, s2
	s_wait_xcnt 0x0
	s_and_not1_b32 exec_lo, exec_lo, s2
	s_cbranch_execnz .LBB2497_139
.LBB2497_144:
	s_or_b32 exec_lo, exec_lo, s2
	v_dual_mov_b32 v9, 0 :: v_dual_add_nc_u32 v4, v8, v2
	s_delay_alu instid0(VALU_DEP_1) | instskip(SKIP_4) | instid1(VALU_DEP_1)
	v_or_b32_e32 v4, 0x80000000, v4
	global_store_b32 v[6:7], v4, off scope:SCOPE_DEV
	global_load_b64 v[4:5], v14, s[8:9] scale_offset
	v_sub_nc_u64_e32 v[6:7], v[8:9], v[0:1]
	s_wait_loadcnt 0x0
	v_add_nc_u64_e32 v[4:5], v[6:7], v[4:5]
	ds_store_b64 v3, v[4:5]
.LBB2497_145:
	s_wait_xcnt 0x0
	s_or_b32 exec_lo, exec_lo, s1
	v_mad_i32_i24 v8, v14, -6, v3
	s_wait_storecnt_dscnt 0x0
	s_barrier_signal -1
	s_barrier_wait -1
	ds_load_u16 v15, v8 offset:2048
	ds_load_u16 v30, v8 offset:3072
	;; [unrolled: 1-line block ×11, first 2 shown]
	v_dual_mov_b32 v5, 0 :: v_dual_lshlrev_b32 v4, 1, v14
	s_add_co_i32 s12, s12, -1
	s_delay_alu instid0(SALU_CYCLE_1) | instskip(SKIP_2) | instid1(SALU_CYCLE_1)
	s_cmp_eq_u32 s19, s12
	s_cselect_b32 s0, -1, 0
	s_xor_b32 s1, vcc_lo, -1
	s_and_b32 s0, s1, s0
	s_wait_dscnt 0xa
	v_and_b32_e32 v6, 0xffff, v15
	s_wait_dscnt 0x9
	v_and_b32_e32 v7, 0xffff, v30
	;; [unrolled: 2-line block ×5, first 2 shown]
	v_dual_lshrrev_b32 v6, s16, v6 :: v_dual_lshrrev_b32 v7, s16, v7
	s_wait_dscnt 0x5
	v_and_b32_e32 v12, 0xffff, v34
	s_wait_dscnt 0x4
	v_and_b32_e32 v13, 0xffff, v35
	;; [unrolled: 2-line block ×3, first 2 shown]
	v_dual_lshrrev_b32 v9, s16, v9 :: v_dual_lshrrev_b32 v10, s16, v10
	v_and_b32_e32 v7, s7, v7
	v_dual_lshrrev_b32 v11, s16, v11 :: v_dual_bitop2_b32 v6, s7, v6 bitop3:0x40
	v_dual_lshrrev_b32 v12, s16, v12 :: v_dual_lshrrev_b32 v13, s16, v13
	s_delay_alu instid0(VALU_DEP_3) | instskip(NEXT) | instid1(VALU_DEP_3)
	v_dual_lshrrev_b32 v16, s16, v16 :: v_dual_lshlrev_b32 v17, 3, v7
	v_lshlrev_b32_e32 v6, 3, v6
	v_and_b32_e32 v10, s7, v10
	ds_load_b64 v[6:7], v6
	ds_load_u16 v40, v8 offset:13312
	v_dual_lshlrev_b32 v19, 3, v10 :: v_dual_bitop2_b32 v9, s7, v9 bitop3:0x40
	v_and_b32_e32 v12, s7, v12
	v_and_b32_e32 v11, s7, v11
	;; [unrolled: 1-line block ×4, first 2 shown]
	s_delay_alu instid0(VALU_DEP_4) | instskip(NEXT) | instid1(VALU_DEP_4)
	v_dual_lshlrev_b32 v18, 3, v9 :: v_dual_lshlrev_b32 v21, 3, v12
	v_lshlrev_b32_e32 v20, 3, v11
	s_wait_dscnt 0x4
	v_and_b32_e32 v24, 0xffff, v37
	s_wait_dscnt 0x3
	v_and_b32_e32 v25, 0xffff, v38
	;; [unrolled: 2-line block ×3, first 2 shown]
	v_dual_lshlrev_b32 v23, 3, v16 :: v_dual_lshlrev_b32 v22, 3, v13
	ds_load_b64 v[8:9], v17
	ds_load_b64 v[10:11], v18
	ds_load_b64 v[12:13], v19
	ds_load_b64 v[16:17], v20
	v_lshrrev_b32_e32 v24, s16, v24
	ds_load_b64 v[18:19], v21
	ds_load_b64 v[20:21], v22
	v_dual_lshrrev_b32 v22, s16, v25 :: v_dual_lshrrev_b32 v25, s16, v26
	v_and_b32_e32 v24, s7, v24
	s_wait_dscnt 0x6
	v_and_b32_e32 v26, 0xffff, v40
	v_lshl_add_u64 v[6:7], v[6:7], 1, s[14:15]
	v_and_b32_e32 v22, s7, v22
	v_dual_lshlrev_b32 v24, 3, v24 :: v_dual_bitop2_b32 v27, s7, v25 bitop3:0x40
	s_delay_alu instid0(VALU_DEP_4) | instskip(NEXT) | instid1(VALU_DEP_4)
	v_lshrrev_b32_e32 v26, s16, v26
	v_add_nc_u64_e32 v[6:7], v[6:7], v[4:5]
	s_delay_alu instid0(VALU_DEP_4)
	v_lshlrev_b32_e32 v28, 3, v22
	ds_load_b64 v[22:23], v23
	ds_load_b64 v[24:25], v24
	v_and_b32_e32 v26, s7, v26
	s_wait_dscnt 0x7
	v_lshl_add_u64 v[8:9], v[8:9], 1, s[14:15]
	s_wait_dscnt 0x5
	v_lshl_add_u64 v[12:13], v[12:13], 1, s[14:15]
	global_store_b16 v[6:7], v15, off
	s_wait_xcnt 0x0
	v_lshl_add_u64 v[6:7], v[10:11], 1, s[14:15]
	v_lshlrev_b32_e32 v15, 3, v27
	ds_load_b64 v[10:11], v28
	v_lshlrev_b32_e32 v28, 3, v26
	v_add_nc_u64_e32 v[8:9], v[8:9], v[4:5]
	v_add_nc_u64_e32 v[6:7], v[6:7], v[4:5]
	ds_load_b64 v[26:27], v15
	s_wait_dscnt 0x6
	v_lshl_add_u64 v[16:17], v[16:17], 1, s[14:15]
	ds_load_b64 v[28:29], v28
	v_add_nc_u64_e32 v[12:13], v[12:13], v[4:5]
	global_store_b16 v[8:9], v30, off offset:1024
	s_wait_dscnt 0x6
	s_wait_xcnt 0x0
	v_lshl_add_u64 v[8:9], v[18:19], 1, s[14:15]
	s_wait_dscnt 0x5
	v_lshl_add_u64 v[18:19], v[20:21], 1, s[14:15]
	v_add_nc_u64_e32 v[16:17], v[16:17], v[4:5]
	global_store_b16 v[6:7], v31, off offset:2048
	s_wait_dscnt 0x3
	v_lshl_add_u64 v[20:21], v[24:25], 1, s[14:15]
	s_wait_xcnt 0x0
	v_add_nc_u64_e32 v[6:7], v[8:9], v[4:5]
	v_lshl_add_u64 v[8:9], v[22:23], 1, s[14:15]
	v_add_nc_u64_e32 v[18:19], v[18:19], v[4:5]
	s_clause 0x1
	global_store_b16 v[12:13], v32, off offset:3072
	global_store_b16 v[16:17], v33, off offset:4096
	s_wait_xcnt 0x1
	v_add_nc_u64_e32 v[12:13], v[20:21], v[4:5]
	s_wait_dscnt 0x2
	v_lshl_add_u64 v[10:11], v[10:11], 1, s[14:15]
	v_add_nc_u64_e32 v[8:9], v[8:9], v[4:5]
	s_clause 0x1
	global_store_b16 v[6:7], v34, off offset:5120
	global_store_b16 v[18:19], v35, off offset:6144
	s_wait_dscnt 0x1
	s_wait_xcnt 0x1
	v_lshl_add_u64 v[6:7], v[26:27], 1, s[14:15]
	v_add_nc_u64_e32 v[10:11], v[10:11], v[4:5]
	s_wait_dscnt 0x0
	v_lshl_add_u64 v[16:17], v[28:29], 1, s[14:15]
	s_clause 0x1
	global_store_b16 v[8:9], v36, off offset:7168
	global_store_b16 v[12:13], v37, off offset:8192
	v_add_nc_u64_e32 v[6:7], v[6:7], v[4:5]
	s_wait_xcnt 0x1
	v_add_nc_u64_e32 v[8:9], v[16:17], v[4:5]
	s_clause 0x2
	global_store_b16 v[10:11], v38, off offset:9216
	global_store_b16 v[6:7], v39, off offset:10240
	;; [unrolled: 1-line block ×3, first 2 shown]
	s_wait_xcnt 0x0
	s_and_saveexec_b32 s1, s0
	s_cbranch_execz .LBB2497_147
; %bb.146:
	ds_load_b64 v[6:7], v3
	v_mov_b32_e32 v3, v5
	s_delay_alu instid0(VALU_DEP_1) | instskip(SKIP_1) | instid1(VALU_DEP_1)
	v_add_nc_u64_e32 v[0:1], v[0:1], v[2:3]
	s_wait_dscnt 0x0
	v_add_nc_u64_e32 v[0:1], v[0:1], v[6:7]
	global_store_b64 v14, v[0:1], s[10:11] scale_offset
.LBB2497_147:
	s_sendmsg sendmsg(MSG_DEALLOC_VGPRS)
	s_endpgm
	.section	.rodata,"a",@progbits
	.p2align	6, 0x0
	.amdhsa_kernel _ZN7rocprim17ROCPRIM_400000_NS6detail17trampoline_kernelINS0_14default_configENS1_35radix_sort_onesweep_config_selectorItNS0_10empty_typeEEEZZNS1_29radix_sort_onesweep_iterationIS3_Lb0EPKtPtPS5_SB_mNS0_19identity_decomposerENS1_16block_id_wrapperIjLb1EEEEE10hipError_tT1_PNSt15iterator_traitsISG_E10value_typeET2_T3_PNSH_ISM_E10value_typeET4_T5_PSR_SS_PNS1_23onesweep_lookback_stateEbbT6_jjT7_P12ihipStream_tbENKUlT_T0_SG_SL_E_clIS9_SA_SB_SB_EEDaSZ_S10_SG_SL_EUlSZ_E_NS1_11comp_targetILNS1_3genE0ELNS1_11target_archE4294967295ELNS1_3gpuE0ELNS1_3repE0EEENS1_47radix_sort_onesweep_sort_config_static_selectorELNS0_4arch9wavefront6targetE0EEEvSG_
		.amdhsa_group_segment_fixed_size 18504
		.amdhsa_private_segment_fixed_size 0
		.amdhsa_kernarg_size 344
		.amdhsa_user_sgpr_count 2
		.amdhsa_user_sgpr_dispatch_ptr 0
		.amdhsa_user_sgpr_queue_ptr 0
		.amdhsa_user_sgpr_kernarg_segment_ptr 1
		.amdhsa_user_sgpr_dispatch_id 0
		.amdhsa_user_sgpr_kernarg_preload_length 0
		.amdhsa_user_sgpr_kernarg_preload_offset 0
		.amdhsa_user_sgpr_private_segment_size 0
		.amdhsa_wavefront_size32 1
		.amdhsa_uses_dynamic_stack 0
		.amdhsa_enable_private_segment 0
		.amdhsa_system_sgpr_workgroup_id_x 1
		.amdhsa_system_sgpr_workgroup_id_y 0
		.amdhsa_system_sgpr_workgroup_id_z 0
		.amdhsa_system_sgpr_workgroup_info 0
		.amdhsa_system_vgpr_workitem_id 2
		.amdhsa_next_free_vgpr 65
		.amdhsa_next_free_sgpr 29
		.amdhsa_named_barrier_count 0
		.amdhsa_reserve_vcc 1
		.amdhsa_float_round_mode_32 0
		.amdhsa_float_round_mode_16_64 0
		.amdhsa_float_denorm_mode_32 3
		.amdhsa_float_denorm_mode_16_64 3
		.amdhsa_fp16_overflow 0
		.amdhsa_memory_ordered 1
		.amdhsa_forward_progress 1
		.amdhsa_inst_pref_size 132
		.amdhsa_round_robin_scheduling 0
		.amdhsa_exception_fp_ieee_invalid_op 0
		.amdhsa_exception_fp_denorm_src 0
		.amdhsa_exception_fp_ieee_div_zero 0
		.amdhsa_exception_fp_ieee_overflow 0
		.amdhsa_exception_fp_ieee_underflow 0
		.amdhsa_exception_fp_ieee_inexact 0
		.amdhsa_exception_int_div_zero 0
	.end_amdhsa_kernel
	.section	.text._ZN7rocprim17ROCPRIM_400000_NS6detail17trampoline_kernelINS0_14default_configENS1_35radix_sort_onesweep_config_selectorItNS0_10empty_typeEEEZZNS1_29radix_sort_onesweep_iterationIS3_Lb0EPKtPtPS5_SB_mNS0_19identity_decomposerENS1_16block_id_wrapperIjLb1EEEEE10hipError_tT1_PNSt15iterator_traitsISG_E10value_typeET2_T3_PNSH_ISM_E10value_typeET4_T5_PSR_SS_PNS1_23onesweep_lookback_stateEbbT6_jjT7_P12ihipStream_tbENKUlT_T0_SG_SL_E_clIS9_SA_SB_SB_EEDaSZ_S10_SG_SL_EUlSZ_E_NS1_11comp_targetILNS1_3genE0ELNS1_11target_archE4294967295ELNS1_3gpuE0ELNS1_3repE0EEENS1_47radix_sort_onesweep_sort_config_static_selectorELNS0_4arch9wavefront6targetE0EEEvSG_,"axG",@progbits,_ZN7rocprim17ROCPRIM_400000_NS6detail17trampoline_kernelINS0_14default_configENS1_35radix_sort_onesweep_config_selectorItNS0_10empty_typeEEEZZNS1_29radix_sort_onesweep_iterationIS3_Lb0EPKtPtPS5_SB_mNS0_19identity_decomposerENS1_16block_id_wrapperIjLb1EEEEE10hipError_tT1_PNSt15iterator_traitsISG_E10value_typeET2_T3_PNSH_ISM_E10value_typeET4_T5_PSR_SS_PNS1_23onesweep_lookback_stateEbbT6_jjT7_P12ihipStream_tbENKUlT_T0_SG_SL_E_clIS9_SA_SB_SB_EEDaSZ_S10_SG_SL_EUlSZ_E_NS1_11comp_targetILNS1_3genE0ELNS1_11target_archE4294967295ELNS1_3gpuE0ELNS1_3repE0EEENS1_47radix_sort_onesweep_sort_config_static_selectorELNS0_4arch9wavefront6targetE0EEEvSG_,comdat
.Lfunc_end2497:
	.size	_ZN7rocprim17ROCPRIM_400000_NS6detail17trampoline_kernelINS0_14default_configENS1_35radix_sort_onesweep_config_selectorItNS0_10empty_typeEEEZZNS1_29radix_sort_onesweep_iterationIS3_Lb0EPKtPtPS5_SB_mNS0_19identity_decomposerENS1_16block_id_wrapperIjLb1EEEEE10hipError_tT1_PNSt15iterator_traitsISG_E10value_typeET2_T3_PNSH_ISM_E10value_typeET4_T5_PSR_SS_PNS1_23onesweep_lookback_stateEbbT6_jjT7_P12ihipStream_tbENKUlT_T0_SG_SL_E_clIS9_SA_SB_SB_EEDaSZ_S10_SG_SL_EUlSZ_E_NS1_11comp_targetILNS1_3genE0ELNS1_11target_archE4294967295ELNS1_3gpuE0ELNS1_3repE0EEENS1_47radix_sort_onesweep_sort_config_static_selectorELNS0_4arch9wavefront6targetE0EEEvSG_, .Lfunc_end2497-_ZN7rocprim17ROCPRIM_400000_NS6detail17trampoline_kernelINS0_14default_configENS1_35radix_sort_onesweep_config_selectorItNS0_10empty_typeEEEZZNS1_29radix_sort_onesweep_iterationIS3_Lb0EPKtPtPS5_SB_mNS0_19identity_decomposerENS1_16block_id_wrapperIjLb1EEEEE10hipError_tT1_PNSt15iterator_traitsISG_E10value_typeET2_T3_PNSH_ISM_E10value_typeET4_T5_PSR_SS_PNS1_23onesweep_lookback_stateEbbT6_jjT7_P12ihipStream_tbENKUlT_T0_SG_SL_E_clIS9_SA_SB_SB_EEDaSZ_S10_SG_SL_EUlSZ_E_NS1_11comp_targetILNS1_3genE0ELNS1_11target_archE4294967295ELNS1_3gpuE0ELNS1_3repE0EEENS1_47radix_sort_onesweep_sort_config_static_selectorELNS0_4arch9wavefront6targetE0EEEvSG_
                                        ; -- End function
	.set _ZN7rocprim17ROCPRIM_400000_NS6detail17trampoline_kernelINS0_14default_configENS1_35radix_sort_onesweep_config_selectorItNS0_10empty_typeEEEZZNS1_29radix_sort_onesweep_iterationIS3_Lb0EPKtPtPS5_SB_mNS0_19identity_decomposerENS1_16block_id_wrapperIjLb1EEEEE10hipError_tT1_PNSt15iterator_traitsISG_E10value_typeET2_T3_PNSH_ISM_E10value_typeET4_T5_PSR_SS_PNS1_23onesweep_lookback_stateEbbT6_jjT7_P12ihipStream_tbENKUlT_T0_SG_SL_E_clIS9_SA_SB_SB_EEDaSZ_S10_SG_SL_EUlSZ_E_NS1_11comp_targetILNS1_3genE0ELNS1_11target_archE4294967295ELNS1_3gpuE0ELNS1_3repE0EEENS1_47radix_sort_onesweep_sort_config_static_selectorELNS0_4arch9wavefront6targetE0EEEvSG_.num_vgpr, 65
	.set _ZN7rocprim17ROCPRIM_400000_NS6detail17trampoline_kernelINS0_14default_configENS1_35radix_sort_onesweep_config_selectorItNS0_10empty_typeEEEZZNS1_29radix_sort_onesweep_iterationIS3_Lb0EPKtPtPS5_SB_mNS0_19identity_decomposerENS1_16block_id_wrapperIjLb1EEEEE10hipError_tT1_PNSt15iterator_traitsISG_E10value_typeET2_T3_PNSH_ISM_E10value_typeET4_T5_PSR_SS_PNS1_23onesweep_lookback_stateEbbT6_jjT7_P12ihipStream_tbENKUlT_T0_SG_SL_E_clIS9_SA_SB_SB_EEDaSZ_S10_SG_SL_EUlSZ_E_NS1_11comp_targetILNS1_3genE0ELNS1_11target_archE4294967295ELNS1_3gpuE0ELNS1_3repE0EEENS1_47radix_sort_onesweep_sort_config_static_selectorELNS0_4arch9wavefront6targetE0EEEvSG_.num_agpr, 0
	.set _ZN7rocprim17ROCPRIM_400000_NS6detail17trampoline_kernelINS0_14default_configENS1_35radix_sort_onesweep_config_selectorItNS0_10empty_typeEEEZZNS1_29radix_sort_onesweep_iterationIS3_Lb0EPKtPtPS5_SB_mNS0_19identity_decomposerENS1_16block_id_wrapperIjLb1EEEEE10hipError_tT1_PNSt15iterator_traitsISG_E10value_typeET2_T3_PNSH_ISM_E10value_typeET4_T5_PSR_SS_PNS1_23onesweep_lookback_stateEbbT6_jjT7_P12ihipStream_tbENKUlT_T0_SG_SL_E_clIS9_SA_SB_SB_EEDaSZ_S10_SG_SL_EUlSZ_E_NS1_11comp_targetILNS1_3genE0ELNS1_11target_archE4294967295ELNS1_3gpuE0ELNS1_3repE0EEENS1_47radix_sort_onesweep_sort_config_static_selectorELNS0_4arch9wavefront6targetE0EEEvSG_.numbered_sgpr, 29
	.set _ZN7rocprim17ROCPRIM_400000_NS6detail17trampoline_kernelINS0_14default_configENS1_35radix_sort_onesweep_config_selectorItNS0_10empty_typeEEEZZNS1_29radix_sort_onesweep_iterationIS3_Lb0EPKtPtPS5_SB_mNS0_19identity_decomposerENS1_16block_id_wrapperIjLb1EEEEE10hipError_tT1_PNSt15iterator_traitsISG_E10value_typeET2_T3_PNSH_ISM_E10value_typeET4_T5_PSR_SS_PNS1_23onesweep_lookback_stateEbbT6_jjT7_P12ihipStream_tbENKUlT_T0_SG_SL_E_clIS9_SA_SB_SB_EEDaSZ_S10_SG_SL_EUlSZ_E_NS1_11comp_targetILNS1_3genE0ELNS1_11target_archE4294967295ELNS1_3gpuE0ELNS1_3repE0EEENS1_47radix_sort_onesweep_sort_config_static_selectorELNS0_4arch9wavefront6targetE0EEEvSG_.num_named_barrier, 0
	.set _ZN7rocprim17ROCPRIM_400000_NS6detail17trampoline_kernelINS0_14default_configENS1_35radix_sort_onesweep_config_selectorItNS0_10empty_typeEEEZZNS1_29radix_sort_onesweep_iterationIS3_Lb0EPKtPtPS5_SB_mNS0_19identity_decomposerENS1_16block_id_wrapperIjLb1EEEEE10hipError_tT1_PNSt15iterator_traitsISG_E10value_typeET2_T3_PNSH_ISM_E10value_typeET4_T5_PSR_SS_PNS1_23onesweep_lookback_stateEbbT6_jjT7_P12ihipStream_tbENKUlT_T0_SG_SL_E_clIS9_SA_SB_SB_EEDaSZ_S10_SG_SL_EUlSZ_E_NS1_11comp_targetILNS1_3genE0ELNS1_11target_archE4294967295ELNS1_3gpuE0ELNS1_3repE0EEENS1_47radix_sort_onesweep_sort_config_static_selectorELNS0_4arch9wavefront6targetE0EEEvSG_.private_seg_size, 0
	.set _ZN7rocprim17ROCPRIM_400000_NS6detail17trampoline_kernelINS0_14default_configENS1_35radix_sort_onesweep_config_selectorItNS0_10empty_typeEEEZZNS1_29radix_sort_onesweep_iterationIS3_Lb0EPKtPtPS5_SB_mNS0_19identity_decomposerENS1_16block_id_wrapperIjLb1EEEEE10hipError_tT1_PNSt15iterator_traitsISG_E10value_typeET2_T3_PNSH_ISM_E10value_typeET4_T5_PSR_SS_PNS1_23onesweep_lookback_stateEbbT6_jjT7_P12ihipStream_tbENKUlT_T0_SG_SL_E_clIS9_SA_SB_SB_EEDaSZ_S10_SG_SL_EUlSZ_E_NS1_11comp_targetILNS1_3genE0ELNS1_11target_archE4294967295ELNS1_3gpuE0ELNS1_3repE0EEENS1_47radix_sort_onesweep_sort_config_static_selectorELNS0_4arch9wavefront6targetE0EEEvSG_.uses_vcc, 1
	.set _ZN7rocprim17ROCPRIM_400000_NS6detail17trampoline_kernelINS0_14default_configENS1_35radix_sort_onesweep_config_selectorItNS0_10empty_typeEEEZZNS1_29radix_sort_onesweep_iterationIS3_Lb0EPKtPtPS5_SB_mNS0_19identity_decomposerENS1_16block_id_wrapperIjLb1EEEEE10hipError_tT1_PNSt15iterator_traitsISG_E10value_typeET2_T3_PNSH_ISM_E10value_typeET4_T5_PSR_SS_PNS1_23onesweep_lookback_stateEbbT6_jjT7_P12ihipStream_tbENKUlT_T0_SG_SL_E_clIS9_SA_SB_SB_EEDaSZ_S10_SG_SL_EUlSZ_E_NS1_11comp_targetILNS1_3genE0ELNS1_11target_archE4294967295ELNS1_3gpuE0ELNS1_3repE0EEENS1_47radix_sort_onesweep_sort_config_static_selectorELNS0_4arch9wavefront6targetE0EEEvSG_.uses_flat_scratch, 0
	.set _ZN7rocprim17ROCPRIM_400000_NS6detail17trampoline_kernelINS0_14default_configENS1_35radix_sort_onesweep_config_selectorItNS0_10empty_typeEEEZZNS1_29radix_sort_onesweep_iterationIS3_Lb0EPKtPtPS5_SB_mNS0_19identity_decomposerENS1_16block_id_wrapperIjLb1EEEEE10hipError_tT1_PNSt15iterator_traitsISG_E10value_typeET2_T3_PNSH_ISM_E10value_typeET4_T5_PSR_SS_PNS1_23onesweep_lookback_stateEbbT6_jjT7_P12ihipStream_tbENKUlT_T0_SG_SL_E_clIS9_SA_SB_SB_EEDaSZ_S10_SG_SL_EUlSZ_E_NS1_11comp_targetILNS1_3genE0ELNS1_11target_archE4294967295ELNS1_3gpuE0ELNS1_3repE0EEENS1_47radix_sort_onesweep_sort_config_static_selectorELNS0_4arch9wavefront6targetE0EEEvSG_.has_dyn_sized_stack, 0
	.set _ZN7rocprim17ROCPRIM_400000_NS6detail17trampoline_kernelINS0_14default_configENS1_35radix_sort_onesweep_config_selectorItNS0_10empty_typeEEEZZNS1_29radix_sort_onesweep_iterationIS3_Lb0EPKtPtPS5_SB_mNS0_19identity_decomposerENS1_16block_id_wrapperIjLb1EEEEE10hipError_tT1_PNSt15iterator_traitsISG_E10value_typeET2_T3_PNSH_ISM_E10value_typeET4_T5_PSR_SS_PNS1_23onesweep_lookback_stateEbbT6_jjT7_P12ihipStream_tbENKUlT_T0_SG_SL_E_clIS9_SA_SB_SB_EEDaSZ_S10_SG_SL_EUlSZ_E_NS1_11comp_targetILNS1_3genE0ELNS1_11target_archE4294967295ELNS1_3gpuE0ELNS1_3repE0EEENS1_47radix_sort_onesweep_sort_config_static_selectorELNS0_4arch9wavefront6targetE0EEEvSG_.has_recursion, 0
	.set _ZN7rocprim17ROCPRIM_400000_NS6detail17trampoline_kernelINS0_14default_configENS1_35radix_sort_onesweep_config_selectorItNS0_10empty_typeEEEZZNS1_29radix_sort_onesweep_iterationIS3_Lb0EPKtPtPS5_SB_mNS0_19identity_decomposerENS1_16block_id_wrapperIjLb1EEEEE10hipError_tT1_PNSt15iterator_traitsISG_E10value_typeET2_T3_PNSH_ISM_E10value_typeET4_T5_PSR_SS_PNS1_23onesweep_lookback_stateEbbT6_jjT7_P12ihipStream_tbENKUlT_T0_SG_SL_E_clIS9_SA_SB_SB_EEDaSZ_S10_SG_SL_EUlSZ_E_NS1_11comp_targetILNS1_3genE0ELNS1_11target_archE4294967295ELNS1_3gpuE0ELNS1_3repE0EEENS1_47radix_sort_onesweep_sort_config_static_selectorELNS0_4arch9wavefront6targetE0EEEvSG_.has_indirect_call, 0
	.section	.AMDGPU.csdata,"",@progbits
; Kernel info:
; codeLenInByte = 16836
; TotalNumSgprs: 31
; NumVgprs: 65
; ScratchSize: 0
; MemoryBound: 0
; FloatMode: 240
; IeeeMode: 1
; LDSByteSize: 18504 bytes/workgroup (compile time only)
; SGPRBlocks: 0
; VGPRBlocks: 4
; NumSGPRsForWavesPerEU: 31
; NumVGPRsForWavesPerEU: 65
; NamedBarCnt: 0
; Occupancy: 12
; WaveLimiterHint : 0
; COMPUTE_PGM_RSRC2:SCRATCH_EN: 0
; COMPUTE_PGM_RSRC2:USER_SGPR: 2
; COMPUTE_PGM_RSRC2:TRAP_HANDLER: 0
; COMPUTE_PGM_RSRC2:TGID_X_EN: 1
; COMPUTE_PGM_RSRC2:TGID_Y_EN: 0
; COMPUTE_PGM_RSRC2:TGID_Z_EN: 0
; COMPUTE_PGM_RSRC2:TIDIG_COMP_CNT: 2
	.section	.text._ZN7rocprim17ROCPRIM_400000_NS6detail17trampoline_kernelINS0_14default_configENS1_35radix_sort_onesweep_config_selectorItNS0_10empty_typeEEEZZNS1_29radix_sort_onesweep_iterationIS3_Lb0EPKtPtPS5_SB_mNS0_19identity_decomposerENS1_16block_id_wrapperIjLb1EEEEE10hipError_tT1_PNSt15iterator_traitsISG_E10value_typeET2_T3_PNSH_ISM_E10value_typeET4_T5_PSR_SS_PNS1_23onesweep_lookback_stateEbbT6_jjT7_P12ihipStream_tbENKUlT_T0_SG_SL_E_clIS9_SA_SB_SB_EEDaSZ_S10_SG_SL_EUlSZ_E_NS1_11comp_targetILNS1_3genE6ELNS1_11target_archE950ELNS1_3gpuE13ELNS1_3repE0EEENS1_47radix_sort_onesweep_sort_config_static_selectorELNS0_4arch9wavefront6targetE0EEEvSG_,"axG",@progbits,_ZN7rocprim17ROCPRIM_400000_NS6detail17trampoline_kernelINS0_14default_configENS1_35radix_sort_onesweep_config_selectorItNS0_10empty_typeEEEZZNS1_29radix_sort_onesweep_iterationIS3_Lb0EPKtPtPS5_SB_mNS0_19identity_decomposerENS1_16block_id_wrapperIjLb1EEEEE10hipError_tT1_PNSt15iterator_traitsISG_E10value_typeET2_T3_PNSH_ISM_E10value_typeET4_T5_PSR_SS_PNS1_23onesweep_lookback_stateEbbT6_jjT7_P12ihipStream_tbENKUlT_T0_SG_SL_E_clIS9_SA_SB_SB_EEDaSZ_S10_SG_SL_EUlSZ_E_NS1_11comp_targetILNS1_3genE6ELNS1_11target_archE950ELNS1_3gpuE13ELNS1_3repE0EEENS1_47radix_sort_onesweep_sort_config_static_selectorELNS0_4arch9wavefront6targetE0EEEvSG_,comdat
	.protected	_ZN7rocprim17ROCPRIM_400000_NS6detail17trampoline_kernelINS0_14default_configENS1_35radix_sort_onesweep_config_selectorItNS0_10empty_typeEEEZZNS1_29radix_sort_onesweep_iterationIS3_Lb0EPKtPtPS5_SB_mNS0_19identity_decomposerENS1_16block_id_wrapperIjLb1EEEEE10hipError_tT1_PNSt15iterator_traitsISG_E10value_typeET2_T3_PNSH_ISM_E10value_typeET4_T5_PSR_SS_PNS1_23onesweep_lookback_stateEbbT6_jjT7_P12ihipStream_tbENKUlT_T0_SG_SL_E_clIS9_SA_SB_SB_EEDaSZ_S10_SG_SL_EUlSZ_E_NS1_11comp_targetILNS1_3genE6ELNS1_11target_archE950ELNS1_3gpuE13ELNS1_3repE0EEENS1_47radix_sort_onesweep_sort_config_static_selectorELNS0_4arch9wavefront6targetE0EEEvSG_ ; -- Begin function _ZN7rocprim17ROCPRIM_400000_NS6detail17trampoline_kernelINS0_14default_configENS1_35radix_sort_onesweep_config_selectorItNS0_10empty_typeEEEZZNS1_29radix_sort_onesweep_iterationIS3_Lb0EPKtPtPS5_SB_mNS0_19identity_decomposerENS1_16block_id_wrapperIjLb1EEEEE10hipError_tT1_PNSt15iterator_traitsISG_E10value_typeET2_T3_PNSH_ISM_E10value_typeET4_T5_PSR_SS_PNS1_23onesweep_lookback_stateEbbT6_jjT7_P12ihipStream_tbENKUlT_T0_SG_SL_E_clIS9_SA_SB_SB_EEDaSZ_S10_SG_SL_EUlSZ_E_NS1_11comp_targetILNS1_3genE6ELNS1_11target_archE950ELNS1_3gpuE13ELNS1_3repE0EEENS1_47radix_sort_onesweep_sort_config_static_selectorELNS0_4arch9wavefront6targetE0EEEvSG_
	.globl	_ZN7rocprim17ROCPRIM_400000_NS6detail17trampoline_kernelINS0_14default_configENS1_35radix_sort_onesweep_config_selectorItNS0_10empty_typeEEEZZNS1_29radix_sort_onesweep_iterationIS3_Lb0EPKtPtPS5_SB_mNS0_19identity_decomposerENS1_16block_id_wrapperIjLb1EEEEE10hipError_tT1_PNSt15iterator_traitsISG_E10value_typeET2_T3_PNSH_ISM_E10value_typeET4_T5_PSR_SS_PNS1_23onesweep_lookback_stateEbbT6_jjT7_P12ihipStream_tbENKUlT_T0_SG_SL_E_clIS9_SA_SB_SB_EEDaSZ_S10_SG_SL_EUlSZ_E_NS1_11comp_targetILNS1_3genE6ELNS1_11target_archE950ELNS1_3gpuE13ELNS1_3repE0EEENS1_47radix_sort_onesweep_sort_config_static_selectorELNS0_4arch9wavefront6targetE0EEEvSG_
	.p2align	8
	.type	_ZN7rocprim17ROCPRIM_400000_NS6detail17trampoline_kernelINS0_14default_configENS1_35radix_sort_onesweep_config_selectorItNS0_10empty_typeEEEZZNS1_29radix_sort_onesweep_iterationIS3_Lb0EPKtPtPS5_SB_mNS0_19identity_decomposerENS1_16block_id_wrapperIjLb1EEEEE10hipError_tT1_PNSt15iterator_traitsISG_E10value_typeET2_T3_PNSH_ISM_E10value_typeET4_T5_PSR_SS_PNS1_23onesweep_lookback_stateEbbT6_jjT7_P12ihipStream_tbENKUlT_T0_SG_SL_E_clIS9_SA_SB_SB_EEDaSZ_S10_SG_SL_EUlSZ_E_NS1_11comp_targetILNS1_3genE6ELNS1_11target_archE950ELNS1_3gpuE13ELNS1_3repE0EEENS1_47radix_sort_onesweep_sort_config_static_selectorELNS0_4arch9wavefront6targetE0EEEvSG_,@function
_ZN7rocprim17ROCPRIM_400000_NS6detail17trampoline_kernelINS0_14default_configENS1_35radix_sort_onesweep_config_selectorItNS0_10empty_typeEEEZZNS1_29radix_sort_onesweep_iterationIS3_Lb0EPKtPtPS5_SB_mNS0_19identity_decomposerENS1_16block_id_wrapperIjLb1EEEEE10hipError_tT1_PNSt15iterator_traitsISG_E10value_typeET2_T3_PNSH_ISM_E10value_typeET4_T5_PSR_SS_PNS1_23onesweep_lookback_stateEbbT6_jjT7_P12ihipStream_tbENKUlT_T0_SG_SL_E_clIS9_SA_SB_SB_EEDaSZ_S10_SG_SL_EUlSZ_E_NS1_11comp_targetILNS1_3genE6ELNS1_11target_archE950ELNS1_3gpuE13ELNS1_3repE0EEENS1_47radix_sort_onesweep_sort_config_static_selectorELNS0_4arch9wavefront6targetE0EEEvSG_: ; @_ZN7rocprim17ROCPRIM_400000_NS6detail17trampoline_kernelINS0_14default_configENS1_35radix_sort_onesweep_config_selectorItNS0_10empty_typeEEEZZNS1_29radix_sort_onesweep_iterationIS3_Lb0EPKtPtPS5_SB_mNS0_19identity_decomposerENS1_16block_id_wrapperIjLb1EEEEE10hipError_tT1_PNSt15iterator_traitsISG_E10value_typeET2_T3_PNSH_ISM_E10value_typeET4_T5_PSR_SS_PNS1_23onesweep_lookback_stateEbbT6_jjT7_P12ihipStream_tbENKUlT_T0_SG_SL_E_clIS9_SA_SB_SB_EEDaSZ_S10_SG_SL_EUlSZ_E_NS1_11comp_targetILNS1_3genE6ELNS1_11target_archE950ELNS1_3gpuE13ELNS1_3repE0EEENS1_47radix_sort_onesweep_sort_config_static_selectorELNS0_4arch9wavefront6targetE0EEEvSG_
; %bb.0:
	.section	.rodata,"a",@progbits
	.p2align	6, 0x0
	.amdhsa_kernel _ZN7rocprim17ROCPRIM_400000_NS6detail17trampoline_kernelINS0_14default_configENS1_35radix_sort_onesweep_config_selectorItNS0_10empty_typeEEEZZNS1_29radix_sort_onesweep_iterationIS3_Lb0EPKtPtPS5_SB_mNS0_19identity_decomposerENS1_16block_id_wrapperIjLb1EEEEE10hipError_tT1_PNSt15iterator_traitsISG_E10value_typeET2_T3_PNSH_ISM_E10value_typeET4_T5_PSR_SS_PNS1_23onesweep_lookback_stateEbbT6_jjT7_P12ihipStream_tbENKUlT_T0_SG_SL_E_clIS9_SA_SB_SB_EEDaSZ_S10_SG_SL_EUlSZ_E_NS1_11comp_targetILNS1_3genE6ELNS1_11target_archE950ELNS1_3gpuE13ELNS1_3repE0EEENS1_47radix_sort_onesweep_sort_config_static_selectorELNS0_4arch9wavefront6targetE0EEEvSG_
		.amdhsa_group_segment_fixed_size 0
		.amdhsa_private_segment_fixed_size 0
		.amdhsa_kernarg_size 88
		.amdhsa_user_sgpr_count 2
		.amdhsa_user_sgpr_dispatch_ptr 0
		.amdhsa_user_sgpr_queue_ptr 0
		.amdhsa_user_sgpr_kernarg_segment_ptr 1
		.amdhsa_user_sgpr_dispatch_id 0
		.amdhsa_user_sgpr_kernarg_preload_length 0
		.amdhsa_user_sgpr_kernarg_preload_offset 0
		.amdhsa_user_sgpr_private_segment_size 0
		.amdhsa_wavefront_size32 1
		.amdhsa_uses_dynamic_stack 0
		.amdhsa_enable_private_segment 0
		.amdhsa_system_sgpr_workgroup_id_x 1
		.amdhsa_system_sgpr_workgroup_id_y 0
		.amdhsa_system_sgpr_workgroup_id_z 0
		.amdhsa_system_sgpr_workgroup_info 0
		.amdhsa_system_vgpr_workitem_id 0
		.amdhsa_next_free_vgpr 1
		.amdhsa_next_free_sgpr 1
		.amdhsa_named_barrier_count 0
		.amdhsa_reserve_vcc 0
		.amdhsa_float_round_mode_32 0
		.amdhsa_float_round_mode_16_64 0
		.amdhsa_float_denorm_mode_32 3
		.amdhsa_float_denorm_mode_16_64 3
		.amdhsa_fp16_overflow 0
		.amdhsa_memory_ordered 1
		.amdhsa_forward_progress 1
		.amdhsa_inst_pref_size 0
		.amdhsa_round_robin_scheduling 0
		.amdhsa_exception_fp_ieee_invalid_op 0
		.amdhsa_exception_fp_denorm_src 0
		.amdhsa_exception_fp_ieee_div_zero 0
		.amdhsa_exception_fp_ieee_overflow 0
		.amdhsa_exception_fp_ieee_underflow 0
		.amdhsa_exception_fp_ieee_inexact 0
		.amdhsa_exception_int_div_zero 0
	.end_amdhsa_kernel
	.section	.text._ZN7rocprim17ROCPRIM_400000_NS6detail17trampoline_kernelINS0_14default_configENS1_35radix_sort_onesweep_config_selectorItNS0_10empty_typeEEEZZNS1_29radix_sort_onesweep_iterationIS3_Lb0EPKtPtPS5_SB_mNS0_19identity_decomposerENS1_16block_id_wrapperIjLb1EEEEE10hipError_tT1_PNSt15iterator_traitsISG_E10value_typeET2_T3_PNSH_ISM_E10value_typeET4_T5_PSR_SS_PNS1_23onesweep_lookback_stateEbbT6_jjT7_P12ihipStream_tbENKUlT_T0_SG_SL_E_clIS9_SA_SB_SB_EEDaSZ_S10_SG_SL_EUlSZ_E_NS1_11comp_targetILNS1_3genE6ELNS1_11target_archE950ELNS1_3gpuE13ELNS1_3repE0EEENS1_47radix_sort_onesweep_sort_config_static_selectorELNS0_4arch9wavefront6targetE0EEEvSG_,"axG",@progbits,_ZN7rocprim17ROCPRIM_400000_NS6detail17trampoline_kernelINS0_14default_configENS1_35radix_sort_onesweep_config_selectorItNS0_10empty_typeEEEZZNS1_29radix_sort_onesweep_iterationIS3_Lb0EPKtPtPS5_SB_mNS0_19identity_decomposerENS1_16block_id_wrapperIjLb1EEEEE10hipError_tT1_PNSt15iterator_traitsISG_E10value_typeET2_T3_PNSH_ISM_E10value_typeET4_T5_PSR_SS_PNS1_23onesweep_lookback_stateEbbT6_jjT7_P12ihipStream_tbENKUlT_T0_SG_SL_E_clIS9_SA_SB_SB_EEDaSZ_S10_SG_SL_EUlSZ_E_NS1_11comp_targetILNS1_3genE6ELNS1_11target_archE950ELNS1_3gpuE13ELNS1_3repE0EEENS1_47radix_sort_onesweep_sort_config_static_selectorELNS0_4arch9wavefront6targetE0EEEvSG_,comdat
.Lfunc_end2498:
	.size	_ZN7rocprim17ROCPRIM_400000_NS6detail17trampoline_kernelINS0_14default_configENS1_35radix_sort_onesweep_config_selectorItNS0_10empty_typeEEEZZNS1_29radix_sort_onesweep_iterationIS3_Lb0EPKtPtPS5_SB_mNS0_19identity_decomposerENS1_16block_id_wrapperIjLb1EEEEE10hipError_tT1_PNSt15iterator_traitsISG_E10value_typeET2_T3_PNSH_ISM_E10value_typeET4_T5_PSR_SS_PNS1_23onesweep_lookback_stateEbbT6_jjT7_P12ihipStream_tbENKUlT_T0_SG_SL_E_clIS9_SA_SB_SB_EEDaSZ_S10_SG_SL_EUlSZ_E_NS1_11comp_targetILNS1_3genE6ELNS1_11target_archE950ELNS1_3gpuE13ELNS1_3repE0EEENS1_47radix_sort_onesweep_sort_config_static_selectorELNS0_4arch9wavefront6targetE0EEEvSG_, .Lfunc_end2498-_ZN7rocprim17ROCPRIM_400000_NS6detail17trampoline_kernelINS0_14default_configENS1_35radix_sort_onesweep_config_selectorItNS0_10empty_typeEEEZZNS1_29radix_sort_onesweep_iterationIS3_Lb0EPKtPtPS5_SB_mNS0_19identity_decomposerENS1_16block_id_wrapperIjLb1EEEEE10hipError_tT1_PNSt15iterator_traitsISG_E10value_typeET2_T3_PNSH_ISM_E10value_typeET4_T5_PSR_SS_PNS1_23onesweep_lookback_stateEbbT6_jjT7_P12ihipStream_tbENKUlT_T0_SG_SL_E_clIS9_SA_SB_SB_EEDaSZ_S10_SG_SL_EUlSZ_E_NS1_11comp_targetILNS1_3genE6ELNS1_11target_archE950ELNS1_3gpuE13ELNS1_3repE0EEENS1_47radix_sort_onesweep_sort_config_static_selectorELNS0_4arch9wavefront6targetE0EEEvSG_
                                        ; -- End function
	.set _ZN7rocprim17ROCPRIM_400000_NS6detail17trampoline_kernelINS0_14default_configENS1_35radix_sort_onesweep_config_selectorItNS0_10empty_typeEEEZZNS1_29radix_sort_onesweep_iterationIS3_Lb0EPKtPtPS5_SB_mNS0_19identity_decomposerENS1_16block_id_wrapperIjLb1EEEEE10hipError_tT1_PNSt15iterator_traitsISG_E10value_typeET2_T3_PNSH_ISM_E10value_typeET4_T5_PSR_SS_PNS1_23onesweep_lookback_stateEbbT6_jjT7_P12ihipStream_tbENKUlT_T0_SG_SL_E_clIS9_SA_SB_SB_EEDaSZ_S10_SG_SL_EUlSZ_E_NS1_11comp_targetILNS1_3genE6ELNS1_11target_archE950ELNS1_3gpuE13ELNS1_3repE0EEENS1_47radix_sort_onesweep_sort_config_static_selectorELNS0_4arch9wavefront6targetE0EEEvSG_.num_vgpr, 0
	.set _ZN7rocprim17ROCPRIM_400000_NS6detail17trampoline_kernelINS0_14default_configENS1_35radix_sort_onesweep_config_selectorItNS0_10empty_typeEEEZZNS1_29radix_sort_onesweep_iterationIS3_Lb0EPKtPtPS5_SB_mNS0_19identity_decomposerENS1_16block_id_wrapperIjLb1EEEEE10hipError_tT1_PNSt15iterator_traitsISG_E10value_typeET2_T3_PNSH_ISM_E10value_typeET4_T5_PSR_SS_PNS1_23onesweep_lookback_stateEbbT6_jjT7_P12ihipStream_tbENKUlT_T0_SG_SL_E_clIS9_SA_SB_SB_EEDaSZ_S10_SG_SL_EUlSZ_E_NS1_11comp_targetILNS1_3genE6ELNS1_11target_archE950ELNS1_3gpuE13ELNS1_3repE0EEENS1_47radix_sort_onesweep_sort_config_static_selectorELNS0_4arch9wavefront6targetE0EEEvSG_.num_agpr, 0
	.set _ZN7rocprim17ROCPRIM_400000_NS6detail17trampoline_kernelINS0_14default_configENS1_35radix_sort_onesweep_config_selectorItNS0_10empty_typeEEEZZNS1_29radix_sort_onesweep_iterationIS3_Lb0EPKtPtPS5_SB_mNS0_19identity_decomposerENS1_16block_id_wrapperIjLb1EEEEE10hipError_tT1_PNSt15iterator_traitsISG_E10value_typeET2_T3_PNSH_ISM_E10value_typeET4_T5_PSR_SS_PNS1_23onesweep_lookback_stateEbbT6_jjT7_P12ihipStream_tbENKUlT_T0_SG_SL_E_clIS9_SA_SB_SB_EEDaSZ_S10_SG_SL_EUlSZ_E_NS1_11comp_targetILNS1_3genE6ELNS1_11target_archE950ELNS1_3gpuE13ELNS1_3repE0EEENS1_47radix_sort_onesweep_sort_config_static_selectorELNS0_4arch9wavefront6targetE0EEEvSG_.numbered_sgpr, 0
	.set _ZN7rocprim17ROCPRIM_400000_NS6detail17trampoline_kernelINS0_14default_configENS1_35radix_sort_onesweep_config_selectorItNS0_10empty_typeEEEZZNS1_29radix_sort_onesweep_iterationIS3_Lb0EPKtPtPS5_SB_mNS0_19identity_decomposerENS1_16block_id_wrapperIjLb1EEEEE10hipError_tT1_PNSt15iterator_traitsISG_E10value_typeET2_T3_PNSH_ISM_E10value_typeET4_T5_PSR_SS_PNS1_23onesweep_lookback_stateEbbT6_jjT7_P12ihipStream_tbENKUlT_T0_SG_SL_E_clIS9_SA_SB_SB_EEDaSZ_S10_SG_SL_EUlSZ_E_NS1_11comp_targetILNS1_3genE6ELNS1_11target_archE950ELNS1_3gpuE13ELNS1_3repE0EEENS1_47radix_sort_onesweep_sort_config_static_selectorELNS0_4arch9wavefront6targetE0EEEvSG_.num_named_barrier, 0
	.set _ZN7rocprim17ROCPRIM_400000_NS6detail17trampoline_kernelINS0_14default_configENS1_35radix_sort_onesweep_config_selectorItNS0_10empty_typeEEEZZNS1_29radix_sort_onesweep_iterationIS3_Lb0EPKtPtPS5_SB_mNS0_19identity_decomposerENS1_16block_id_wrapperIjLb1EEEEE10hipError_tT1_PNSt15iterator_traitsISG_E10value_typeET2_T3_PNSH_ISM_E10value_typeET4_T5_PSR_SS_PNS1_23onesweep_lookback_stateEbbT6_jjT7_P12ihipStream_tbENKUlT_T0_SG_SL_E_clIS9_SA_SB_SB_EEDaSZ_S10_SG_SL_EUlSZ_E_NS1_11comp_targetILNS1_3genE6ELNS1_11target_archE950ELNS1_3gpuE13ELNS1_3repE0EEENS1_47radix_sort_onesweep_sort_config_static_selectorELNS0_4arch9wavefront6targetE0EEEvSG_.private_seg_size, 0
	.set _ZN7rocprim17ROCPRIM_400000_NS6detail17trampoline_kernelINS0_14default_configENS1_35radix_sort_onesweep_config_selectorItNS0_10empty_typeEEEZZNS1_29radix_sort_onesweep_iterationIS3_Lb0EPKtPtPS5_SB_mNS0_19identity_decomposerENS1_16block_id_wrapperIjLb1EEEEE10hipError_tT1_PNSt15iterator_traitsISG_E10value_typeET2_T3_PNSH_ISM_E10value_typeET4_T5_PSR_SS_PNS1_23onesweep_lookback_stateEbbT6_jjT7_P12ihipStream_tbENKUlT_T0_SG_SL_E_clIS9_SA_SB_SB_EEDaSZ_S10_SG_SL_EUlSZ_E_NS1_11comp_targetILNS1_3genE6ELNS1_11target_archE950ELNS1_3gpuE13ELNS1_3repE0EEENS1_47radix_sort_onesweep_sort_config_static_selectorELNS0_4arch9wavefront6targetE0EEEvSG_.uses_vcc, 0
	.set _ZN7rocprim17ROCPRIM_400000_NS6detail17trampoline_kernelINS0_14default_configENS1_35radix_sort_onesweep_config_selectorItNS0_10empty_typeEEEZZNS1_29radix_sort_onesweep_iterationIS3_Lb0EPKtPtPS5_SB_mNS0_19identity_decomposerENS1_16block_id_wrapperIjLb1EEEEE10hipError_tT1_PNSt15iterator_traitsISG_E10value_typeET2_T3_PNSH_ISM_E10value_typeET4_T5_PSR_SS_PNS1_23onesweep_lookback_stateEbbT6_jjT7_P12ihipStream_tbENKUlT_T0_SG_SL_E_clIS9_SA_SB_SB_EEDaSZ_S10_SG_SL_EUlSZ_E_NS1_11comp_targetILNS1_3genE6ELNS1_11target_archE950ELNS1_3gpuE13ELNS1_3repE0EEENS1_47radix_sort_onesweep_sort_config_static_selectorELNS0_4arch9wavefront6targetE0EEEvSG_.uses_flat_scratch, 0
	.set _ZN7rocprim17ROCPRIM_400000_NS6detail17trampoline_kernelINS0_14default_configENS1_35radix_sort_onesweep_config_selectorItNS0_10empty_typeEEEZZNS1_29radix_sort_onesweep_iterationIS3_Lb0EPKtPtPS5_SB_mNS0_19identity_decomposerENS1_16block_id_wrapperIjLb1EEEEE10hipError_tT1_PNSt15iterator_traitsISG_E10value_typeET2_T3_PNSH_ISM_E10value_typeET4_T5_PSR_SS_PNS1_23onesweep_lookback_stateEbbT6_jjT7_P12ihipStream_tbENKUlT_T0_SG_SL_E_clIS9_SA_SB_SB_EEDaSZ_S10_SG_SL_EUlSZ_E_NS1_11comp_targetILNS1_3genE6ELNS1_11target_archE950ELNS1_3gpuE13ELNS1_3repE0EEENS1_47radix_sort_onesweep_sort_config_static_selectorELNS0_4arch9wavefront6targetE0EEEvSG_.has_dyn_sized_stack, 0
	.set _ZN7rocprim17ROCPRIM_400000_NS6detail17trampoline_kernelINS0_14default_configENS1_35radix_sort_onesweep_config_selectorItNS0_10empty_typeEEEZZNS1_29radix_sort_onesweep_iterationIS3_Lb0EPKtPtPS5_SB_mNS0_19identity_decomposerENS1_16block_id_wrapperIjLb1EEEEE10hipError_tT1_PNSt15iterator_traitsISG_E10value_typeET2_T3_PNSH_ISM_E10value_typeET4_T5_PSR_SS_PNS1_23onesweep_lookback_stateEbbT6_jjT7_P12ihipStream_tbENKUlT_T0_SG_SL_E_clIS9_SA_SB_SB_EEDaSZ_S10_SG_SL_EUlSZ_E_NS1_11comp_targetILNS1_3genE6ELNS1_11target_archE950ELNS1_3gpuE13ELNS1_3repE0EEENS1_47radix_sort_onesweep_sort_config_static_selectorELNS0_4arch9wavefront6targetE0EEEvSG_.has_recursion, 0
	.set _ZN7rocprim17ROCPRIM_400000_NS6detail17trampoline_kernelINS0_14default_configENS1_35radix_sort_onesweep_config_selectorItNS0_10empty_typeEEEZZNS1_29radix_sort_onesweep_iterationIS3_Lb0EPKtPtPS5_SB_mNS0_19identity_decomposerENS1_16block_id_wrapperIjLb1EEEEE10hipError_tT1_PNSt15iterator_traitsISG_E10value_typeET2_T3_PNSH_ISM_E10value_typeET4_T5_PSR_SS_PNS1_23onesweep_lookback_stateEbbT6_jjT7_P12ihipStream_tbENKUlT_T0_SG_SL_E_clIS9_SA_SB_SB_EEDaSZ_S10_SG_SL_EUlSZ_E_NS1_11comp_targetILNS1_3genE6ELNS1_11target_archE950ELNS1_3gpuE13ELNS1_3repE0EEENS1_47radix_sort_onesweep_sort_config_static_selectorELNS0_4arch9wavefront6targetE0EEEvSG_.has_indirect_call, 0
	.section	.AMDGPU.csdata,"",@progbits
; Kernel info:
; codeLenInByte = 0
; TotalNumSgprs: 0
; NumVgprs: 0
; ScratchSize: 0
; MemoryBound: 0
; FloatMode: 240
; IeeeMode: 1
; LDSByteSize: 0 bytes/workgroup (compile time only)
; SGPRBlocks: 0
; VGPRBlocks: 0
; NumSGPRsForWavesPerEU: 1
; NumVGPRsForWavesPerEU: 1
; NamedBarCnt: 0
; Occupancy: 16
; WaveLimiterHint : 0
; COMPUTE_PGM_RSRC2:SCRATCH_EN: 0
; COMPUTE_PGM_RSRC2:USER_SGPR: 2
; COMPUTE_PGM_RSRC2:TRAP_HANDLER: 0
; COMPUTE_PGM_RSRC2:TGID_X_EN: 1
; COMPUTE_PGM_RSRC2:TGID_Y_EN: 0
; COMPUTE_PGM_RSRC2:TGID_Z_EN: 0
; COMPUTE_PGM_RSRC2:TIDIG_COMP_CNT: 0
	.section	.text._ZN7rocprim17ROCPRIM_400000_NS6detail17trampoline_kernelINS0_14default_configENS1_35radix_sort_onesweep_config_selectorItNS0_10empty_typeEEEZZNS1_29radix_sort_onesweep_iterationIS3_Lb0EPKtPtPS5_SB_mNS0_19identity_decomposerENS1_16block_id_wrapperIjLb1EEEEE10hipError_tT1_PNSt15iterator_traitsISG_E10value_typeET2_T3_PNSH_ISM_E10value_typeET4_T5_PSR_SS_PNS1_23onesweep_lookback_stateEbbT6_jjT7_P12ihipStream_tbENKUlT_T0_SG_SL_E_clIS9_SA_SB_SB_EEDaSZ_S10_SG_SL_EUlSZ_E_NS1_11comp_targetILNS1_3genE5ELNS1_11target_archE942ELNS1_3gpuE9ELNS1_3repE0EEENS1_47radix_sort_onesweep_sort_config_static_selectorELNS0_4arch9wavefront6targetE0EEEvSG_,"axG",@progbits,_ZN7rocprim17ROCPRIM_400000_NS6detail17trampoline_kernelINS0_14default_configENS1_35radix_sort_onesweep_config_selectorItNS0_10empty_typeEEEZZNS1_29radix_sort_onesweep_iterationIS3_Lb0EPKtPtPS5_SB_mNS0_19identity_decomposerENS1_16block_id_wrapperIjLb1EEEEE10hipError_tT1_PNSt15iterator_traitsISG_E10value_typeET2_T3_PNSH_ISM_E10value_typeET4_T5_PSR_SS_PNS1_23onesweep_lookback_stateEbbT6_jjT7_P12ihipStream_tbENKUlT_T0_SG_SL_E_clIS9_SA_SB_SB_EEDaSZ_S10_SG_SL_EUlSZ_E_NS1_11comp_targetILNS1_3genE5ELNS1_11target_archE942ELNS1_3gpuE9ELNS1_3repE0EEENS1_47radix_sort_onesweep_sort_config_static_selectorELNS0_4arch9wavefront6targetE0EEEvSG_,comdat
	.protected	_ZN7rocprim17ROCPRIM_400000_NS6detail17trampoline_kernelINS0_14default_configENS1_35radix_sort_onesweep_config_selectorItNS0_10empty_typeEEEZZNS1_29radix_sort_onesweep_iterationIS3_Lb0EPKtPtPS5_SB_mNS0_19identity_decomposerENS1_16block_id_wrapperIjLb1EEEEE10hipError_tT1_PNSt15iterator_traitsISG_E10value_typeET2_T3_PNSH_ISM_E10value_typeET4_T5_PSR_SS_PNS1_23onesweep_lookback_stateEbbT6_jjT7_P12ihipStream_tbENKUlT_T0_SG_SL_E_clIS9_SA_SB_SB_EEDaSZ_S10_SG_SL_EUlSZ_E_NS1_11comp_targetILNS1_3genE5ELNS1_11target_archE942ELNS1_3gpuE9ELNS1_3repE0EEENS1_47radix_sort_onesweep_sort_config_static_selectorELNS0_4arch9wavefront6targetE0EEEvSG_ ; -- Begin function _ZN7rocprim17ROCPRIM_400000_NS6detail17trampoline_kernelINS0_14default_configENS1_35radix_sort_onesweep_config_selectorItNS0_10empty_typeEEEZZNS1_29radix_sort_onesweep_iterationIS3_Lb0EPKtPtPS5_SB_mNS0_19identity_decomposerENS1_16block_id_wrapperIjLb1EEEEE10hipError_tT1_PNSt15iterator_traitsISG_E10value_typeET2_T3_PNSH_ISM_E10value_typeET4_T5_PSR_SS_PNS1_23onesweep_lookback_stateEbbT6_jjT7_P12ihipStream_tbENKUlT_T0_SG_SL_E_clIS9_SA_SB_SB_EEDaSZ_S10_SG_SL_EUlSZ_E_NS1_11comp_targetILNS1_3genE5ELNS1_11target_archE942ELNS1_3gpuE9ELNS1_3repE0EEENS1_47radix_sort_onesweep_sort_config_static_selectorELNS0_4arch9wavefront6targetE0EEEvSG_
	.globl	_ZN7rocprim17ROCPRIM_400000_NS6detail17trampoline_kernelINS0_14default_configENS1_35radix_sort_onesweep_config_selectorItNS0_10empty_typeEEEZZNS1_29radix_sort_onesweep_iterationIS3_Lb0EPKtPtPS5_SB_mNS0_19identity_decomposerENS1_16block_id_wrapperIjLb1EEEEE10hipError_tT1_PNSt15iterator_traitsISG_E10value_typeET2_T3_PNSH_ISM_E10value_typeET4_T5_PSR_SS_PNS1_23onesweep_lookback_stateEbbT6_jjT7_P12ihipStream_tbENKUlT_T0_SG_SL_E_clIS9_SA_SB_SB_EEDaSZ_S10_SG_SL_EUlSZ_E_NS1_11comp_targetILNS1_3genE5ELNS1_11target_archE942ELNS1_3gpuE9ELNS1_3repE0EEENS1_47radix_sort_onesweep_sort_config_static_selectorELNS0_4arch9wavefront6targetE0EEEvSG_
	.p2align	8
	.type	_ZN7rocprim17ROCPRIM_400000_NS6detail17trampoline_kernelINS0_14default_configENS1_35radix_sort_onesweep_config_selectorItNS0_10empty_typeEEEZZNS1_29radix_sort_onesweep_iterationIS3_Lb0EPKtPtPS5_SB_mNS0_19identity_decomposerENS1_16block_id_wrapperIjLb1EEEEE10hipError_tT1_PNSt15iterator_traitsISG_E10value_typeET2_T3_PNSH_ISM_E10value_typeET4_T5_PSR_SS_PNS1_23onesweep_lookback_stateEbbT6_jjT7_P12ihipStream_tbENKUlT_T0_SG_SL_E_clIS9_SA_SB_SB_EEDaSZ_S10_SG_SL_EUlSZ_E_NS1_11comp_targetILNS1_3genE5ELNS1_11target_archE942ELNS1_3gpuE9ELNS1_3repE0EEENS1_47radix_sort_onesweep_sort_config_static_selectorELNS0_4arch9wavefront6targetE0EEEvSG_,@function
_ZN7rocprim17ROCPRIM_400000_NS6detail17trampoline_kernelINS0_14default_configENS1_35radix_sort_onesweep_config_selectorItNS0_10empty_typeEEEZZNS1_29radix_sort_onesweep_iterationIS3_Lb0EPKtPtPS5_SB_mNS0_19identity_decomposerENS1_16block_id_wrapperIjLb1EEEEE10hipError_tT1_PNSt15iterator_traitsISG_E10value_typeET2_T3_PNSH_ISM_E10value_typeET4_T5_PSR_SS_PNS1_23onesweep_lookback_stateEbbT6_jjT7_P12ihipStream_tbENKUlT_T0_SG_SL_E_clIS9_SA_SB_SB_EEDaSZ_S10_SG_SL_EUlSZ_E_NS1_11comp_targetILNS1_3genE5ELNS1_11target_archE942ELNS1_3gpuE9ELNS1_3repE0EEENS1_47radix_sort_onesweep_sort_config_static_selectorELNS0_4arch9wavefront6targetE0EEEvSG_: ; @_ZN7rocprim17ROCPRIM_400000_NS6detail17trampoline_kernelINS0_14default_configENS1_35radix_sort_onesweep_config_selectorItNS0_10empty_typeEEEZZNS1_29radix_sort_onesweep_iterationIS3_Lb0EPKtPtPS5_SB_mNS0_19identity_decomposerENS1_16block_id_wrapperIjLb1EEEEE10hipError_tT1_PNSt15iterator_traitsISG_E10value_typeET2_T3_PNSH_ISM_E10value_typeET4_T5_PSR_SS_PNS1_23onesweep_lookback_stateEbbT6_jjT7_P12ihipStream_tbENKUlT_T0_SG_SL_E_clIS9_SA_SB_SB_EEDaSZ_S10_SG_SL_EUlSZ_E_NS1_11comp_targetILNS1_3genE5ELNS1_11target_archE942ELNS1_3gpuE9ELNS1_3repE0EEENS1_47radix_sort_onesweep_sort_config_static_selectorELNS0_4arch9wavefront6targetE0EEEvSG_
; %bb.0:
	.section	.rodata,"a",@progbits
	.p2align	6, 0x0
	.amdhsa_kernel _ZN7rocprim17ROCPRIM_400000_NS6detail17trampoline_kernelINS0_14default_configENS1_35radix_sort_onesweep_config_selectorItNS0_10empty_typeEEEZZNS1_29radix_sort_onesweep_iterationIS3_Lb0EPKtPtPS5_SB_mNS0_19identity_decomposerENS1_16block_id_wrapperIjLb1EEEEE10hipError_tT1_PNSt15iterator_traitsISG_E10value_typeET2_T3_PNSH_ISM_E10value_typeET4_T5_PSR_SS_PNS1_23onesweep_lookback_stateEbbT6_jjT7_P12ihipStream_tbENKUlT_T0_SG_SL_E_clIS9_SA_SB_SB_EEDaSZ_S10_SG_SL_EUlSZ_E_NS1_11comp_targetILNS1_3genE5ELNS1_11target_archE942ELNS1_3gpuE9ELNS1_3repE0EEENS1_47radix_sort_onesweep_sort_config_static_selectorELNS0_4arch9wavefront6targetE0EEEvSG_
		.amdhsa_group_segment_fixed_size 0
		.amdhsa_private_segment_fixed_size 0
		.amdhsa_kernarg_size 88
		.amdhsa_user_sgpr_count 2
		.amdhsa_user_sgpr_dispatch_ptr 0
		.amdhsa_user_sgpr_queue_ptr 0
		.amdhsa_user_sgpr_kernarg_segment_ptr 1
		.amdhsa_user_sgpr_dispatch_id 0
		.amdhsa_user_sgpr_kernarg_preload_length 0
		.amdhsa_user_sgpr_kernarg_preload_offset 0
		.amdhsa_user_sgpr_private_segment_size 0
		.amdhsa_wavefront_size32 1
		.amdhsa_uses_dynamic_stack 0
		.amdhsa_enable_private_segment 0
		.amdhsa_system_sgpr_workgroup_id_x 1
		.amdhsa_system_sgpr_workgroup_id_y 0
		.amdhsa_system_sgpr_workgroup_id_z 0
		.amdhsa_system_sgpr_workgroup_info 0
		.amdhsa_system_vgpr_workitem_id 0
		.amdhsa_next_free_vgpr 1
		.amdhsa_next_free_sgpr 1
		.amdhsa_named_barrier_count 0
		.amdhsa_reserve_vcc 0
		.amdhsa_float_round_mode_32 0
		.amdhsa_float_round_mode_16_64 0
		.amdhsa_float_denorm_mode_32 3
		.amdhsa_float_denorm_mode_16_64 3
		.amdhsa_fp16_overflow 0
		.amdhsa_memory_ordered 1
		.amdhsa_forward_progress 1
		.amdhsa_inst_pref_size 0
		.amdhsa_round_robin_scheduling 0
		.amdhsa_exception_fp_ieee_invalid_op 0
		.amdhsa_exception_fp_denorm_src 0
		.amdhsa_exception_fp_ieee_div_zero 0
		.amdhsa_exception_fp_ieee_overflow 0
		.amdhsa_exception_fp_ieee_underflow 0
		.amdhsa_exception_fp_ieee_inexact 0
		.amdhsa_exception_int_div_zero 0
	.end_amdhsa_kernel
	.section	.text._ZN7rocprim17ROCPRIM_400000_NS6detail17trampoline_kernelINS0_14default_configENS1_35radix_sort_onesweep_config_selectorItNS0_10empty_typeEEEZZNS1_29radix_sort_onesweep_iterationIS3_Lb0EPKtPtPS5_SB_mNS0_19identity_decomposerENS1_16block_id_wrapperIjLb1EEEEE10hipError_tT1_PNSt15iterator_traitsISG_E10value_typeET2_T3_PNSH_ISM_E10value_typeET4_T5_PSR_SS_PNS1_23onesweep_lookback_stateEbbT6_jjT7_P12ihipStream_tbENKUlT_T0_SG_SL_E_clIS9_SA_SB_SB_EEDaSZ_S10_SG_SL_EUlSZ_E_NS1_11comp_targetILNS1_3genE5ELNS1_11target_archE942ELNS1_3gpuE9ELNS1_3repE0EEENS1_47radix_sort_onesweep_sort_config_static_selectorELNS0_4arch9wavefront6targetE0EEEvSG_,"axG",@progbits,_ZN7rocprim17ROCPRIM_400000_NS6detail17trampoline_kernelINS0_14default_configENS1_35radix_sort_onesweep_config_selectorItNS0_10empty_typeEEEZZNS1_29radix_sort_onesweep_iterationIS3_Lb0EPKtPtPS5_SB_mNS0_19identity_decomposerENS1_16block_id_wrapperIjLb1EEEEE10hipError_tT1_PNSt15iterator_traitsISG_E10value_typeET2_T3_PNSH_ISM_E10value_typeET4_T5_PSR_SS_PNS1_23onesweep_lookback_stateEbbT6_jjT7_P12ihipStream_tbENKUlT_T0_SG_SL_E_clIS9_SA_SB_SB_EEDaSZ_S10_SG_SL_EUlSZ_E_NS1_11comp_targetILNS1_3genE5ELNS1_11target_archE942ELNS1_3gpuE9ELNS1_3repE0EEENS1_47radix_sort_onesweep_sort_config_static_selectorELNS0_4arch9wavefront6targetE0EEEvSG_,comdat
.Lfunc_end2499:
	.size	_ZN7rocprim17ROCPRIM_400000_NS6detail17trampoline_kernelINS0_14default_configENS1_35radix_sort_onesweep_config_selectorItNS0_10empty_typeEEEZZNS1_29radix_sort_onesweep_iterationIS3_Lb0EPKtPtPS5_SB_mNS0_19identity_decomposerENS1_16block_id_wrapperIjLb1EEEEE10hipError_tT1_PNSt15iterator_traitsISG_E10value_typeET2_T3_PNSH_ISM_E10value_typeET4_T5_PSR_SS_PNS1_23onesweep_lookback_stateEbbT6_jjT7_P12ihipStream_tbENKUlT_T0_SG_SL_E_clIS9_SA_SB_SB_EEDaSZ_S10_SG_SL_EUlSZ_E_NS1_11comp_targetILNS1_3genE5ELNS1_11target_archE942ELNS1_3gpuE9ELNS1_3repE0EEENS1_47radix_sort_onesweep_sort_config_static_selectorELNS0_4arch9wavefront6targetE0EEEvSG_, .Lfunc_end2499-_ZN7rocprim17ROCPRIM_400000_NS6detail17trampoline_kernelINS0_14default_configENS1_35radix_sort_onesweep_config_selectorItNS0_10empty_typeEEEZZNS1_29radix_sort_onesweep_iterationIS3_Lb0EPKtPtPS5_SB_mNS0_19identity_decomposerENS1_16block_id_wrapperIjLb1EEEEE10hipError_tT1_PNSt15iterator_traitsISG_E10value_typeET2_T3_PNSH_ISM_E10value_typeET4_T5_PSR_SS_PNS1_23onesweep_lookback_stateEbbT6_jjT7_P12ihipStream_tbENKUlT_T0_SG_SL_E_clIS9_SA_SB_SB_EEDaSZ_S10_SG_SL_EUlSZ_E_NS1_11comp_targetILNS1_3genE5ELNS1_11target_archE942ELNS1_3gpuE9ELNS1_3repE0EEENS1_47radix_sort_onesweep_sort_config_static_selectorELNS0_4arch9wavefront6targetE0EEEvSG_
                                        ; -- End function
	.set _ZN7rocprim17ROCPRIM_400000_NS6detail17trampoline_kernelINS0_14default_configENS1_35radix_sort_onesweep_config_selectorItNS0_10empty_typeEEEZZNS1_29radix_sort_onesweep_iterationIS3_Lb0EPKtPtPS5_SB_mNS0_19identity_decomposerENS1_16block_id_wrapperIjLb1EEEEE10hipError_tT1_PNSt15iterator_traitsISG_E10value_typeET2_T3_PNSH_ISM_E10value_typeET4_T5_PSR_SS_PNS1_23onesweep_lookback_stateEbbT6_jjT7_P12ihipStream_tbENKUlT_T0_SG_SL_E_clIS9_SA_SB_SB_EEDaSZ_S10_SG_SL_EUlSZ_E_NS1_11comp_targetILNS1_3genE5ELNS1_11target_archE942ELNS1_3gpuE9ELNS1_3repE0EEENS1_47radix_sort_onesweep_sort_config_static_selectorELNS0_4arch9wavefront6targetE0EEEvSG_.num_vgpr, 0
	.set _ZN7rocprim17ROCPRIM_400000_NS6detail17trampoline_kernelINS0_14default_configENS1_35radix_sort_onesweep_config_selectorItNS0_10empty_typeEEEZZNS1_29radix_sort_onesweep_iterationIS3_Lb0EPKtPtPS5_SB_mNS0_19identity_decomposerENS1_16block_id_wrapperIjLb1EEEEE10hipError_tT1_PNSt15iterator_traitsISG_E10value_typeET2_T3_PNSH_ISM_E10value_typeET4_T5_PSR_SS_PNS1_23onesweep_lookback_stateEbbT6_jjT7_P12ihipStream_tbENKUlT_T0_SG_SL_E_clIS9_SA_SB_SB_EEDaSZ_S10_SG_SL_EUlSZ_E_NS1_11comp_targetILNS1_3genE5ELNS1_11target_archE942ELNS1_3gpuE9ELNS1_3repE0EEENS1_47radix_sort_onesweep_sort_config_static_selectorELNS0_4arch9wavefront6targetE0EEEvSG_.num_agpr, 0
	.set _ZN7rocprim17ROCPRIM_400000_NS6detail17trampoline_kernelINS0_14default_configENS1_35radix_sort_onesweep_config_selectorItNS0_10empty_typeEEEZZNS1_29radix_sort_onesweep_iterationIS3_Lb0EPKtPtPS5_SB_mNS0_19identity_decomposerENS1_16block_id_wrapperIjLb1EEEEE10hipError_tT1_PNSt15iterator_traitsISG_E10value_typeET2_T3_PNSH_ISM_E10value_typeET4_T5_PSR_SS_PNS1_23onesweep_lookback_stateEbbT6_jjT7_P12ihipStream_tbENKUlT_T0_SG_SL_E_clIS9_SA_SB_SB_EEDaSZ_S10_SG_SL_EUlSZ_E_NS1_11comp_targetILNS1_3genE5ELNS1_11target_archE942ELNS1_3gpuE9ELNS1_3repE0EEENS1_47radix_sort_onesweep_sort_config_static_selectorELNS0_4arch9wavefront6targetE0EEEvSG_.numbered_sgpr, 0
	.set _ZN7rocprim17ROCPRIM_400000_NS6detail17trampoline_kernelINS0_14default_configENS1_35radix_sort_onesweep_config_selectorItNS0_10empty_typeEEEZZNS1_29radix_sort_onesweep_iterationIS3_Lb0EPKtPtPS5_SB_mNS0_19identity_decomposerENS1_16block_id_wrapperIjLb1EEEEE10hipError_tT1_PNSt15iterator_traitsISG_E10value_typeET2_T3_PNSH_ISM_E10value_typeET4_T5_PSR_SS_PNS1_23onesweep_lookback_stateEbbT6_jjT7_P12ihipStream_tbENKUlT_T0_SG_SL_E_clIS9_SA_SB_SB_EEDaSZ_S10_SG_SL_EUlSZ_E_NS1_11comp_targetILNS1_3genE5ELNS1_11target_archE942ELNS1_3gpuE9ELNS1_3repE0EEENS1_47radix_sort_onesweep_sort_config_static_selectorELNS0_4arch9wavefront6targetE0EEEvSG_.num_named_barrier, 0
	.set _ZN7rocprim17ROCPRIM_400000_NS6detail17trampoline_kernelINS0_14default_configENS1_35radix_sort_onesweep_config_selectorItNS0_10empty_typeEEEZZNS1_29radix_sort_onesweep_iterationIS3_Lb0EPKtPtPS5_SB_mNS0_19identity_decomposerENS1_16block_id_wrapperIjLb1EEEEE10hipError_tT1_PNSt15iterator_traitsISG_E10value_typeET2_T3_PNSH_ISM_E10value_typeET4_T5_PSR_SS_PNS1_23onesweep_lookback_stateEbbT6_jjT7_P12ihipStream_tbENKUlT_T0_SG_SL_E_clIS9_SA_SB_SB_EEDaSZ_S10_SG_SL_EUlSZ_E_NS1_11comp_targetILNS1_3genE5ELNS1_11target_archE942ELNS1_3gpuE9ELNS1_3repE0EEENS1_47radix_sort_onesweep_sort_config_static_selectorELNS0_4arch9wavefront6targetE0EEEvSG_.private_seg_size, 0
	.set _ZN7rocprim17ROCPRIM_400000_NS6detail17trampoline_kernelINS0_14default_configENS1_35radix_sort_onesweep_config_selectorItNS0_10empty_typeEEEZZNS1_29radix_sort_onesweep_iterationIS3_Lb0EPKtPtPS5_SB_mNS0_19identity_decomposerENS1_16block_id_wrapperIjLb1EEEEE10hipError_tT1_PNSt15iterator_traitsISG_E10value_typeET2_T3_PNSH_ISM_E10value_typeET4_T5_PSR_SS_PNS1_23onesweep_lookback_stateEbbT6_jjT7_P12ihipStream_tbENKUlT_T0_SG_SL_E_clIS9_SA_SB_SB_EEDaSZ_S10_SG_SL_EUlSZ_E_NS1_11comp_targetILNS1_3genE5ELNS1_11target_archE942ELNS1_3gpuE9ELNS1_3repE0EEENS1_47radix_sort_onesweep_sort_config_static_selectorELNS0_4arch9wavefront6targetE0EEEvSG_.uses_vcc, 0
	.set _ZN7rocprim17ROCPRIM_400000_NS6detail17trampoline_kernelINS0_14default_configENS1_35radix_sort_onesweep_config_selectorItNS0_10empty_typeEEEZZNS1_29radix_sort_onesweep_iterationIS3_Lb0EPKtPtPS5_SB_mNS0_19identity_decomposerENS1_16block_id_wrapperIjLb1EEEEE10hipError_tT1_PNSt15iterator_traitsISG_E10value_typeET2_T3_PNSH_ISM_E10value_typeET4_T5_PSR_SS_PNS1_23onesweep_lookback_stateEbbT6_jjT7_P12ihipStream_tbENKUlT_T0_SG_SL_E_clIS9_SA_SB_SB_EEDaSZ_S10_SG_SL_EUlSZ_E_NS1_11comp_targetILNS1_3genE5ELNS1_11target_archE942ELNS1_3gpuE9ELNS1_3repE0EEENS1_47radix_sort_onesweep_sort_config_static_selectorELNS0_4arch9wavefront6targetE0EEEvSG_.uses_flat_scratch, 0
	.set _ZN7rocprim17ROCPRIM_400000_NS6detail17trampoline_kernelINS0_14default_configENS1_35radix_sort_onesweep_config_selectorItNS0_10empty_typeEEEZZNS1_29radix_sort_onesweep_iterationIS3_Lb0EPKtPtPS5_SB_mNS0_19identity_decomposerENS1_16block_id_wrapperIjLb1EEEEE10hipError_tT1_PNSt15iterator_traitsISG_E10value_typeET2_T3_PNSH_ISM_E10value_typeET4_T5_PSR_SS_PNS1_23onesweep_lookback_stateEbbT6_jjT7_P12ihipStream_tbENKUlT_T0_SG_SL_E_clIS9_SA_SB_SB_EEDaSZ_S10_SG_SL_EUlSZ_E_NS1_11comp_targetILNS1_3genE5ELNS1_11target_archE942ELNS1_3gpuE9ELNS1_3repE0EEENS1_47radix_sort_onesweep_sort_config_static_selectorELNS0_4arch9wavefront6targetE0EEEvSG_.has_dyn_sized_stack, 0
	.set _ZN7rocprim17ROCPRIM_400000_NS6detail17trampoline_kernelINS0_14default_configENS1_35radix_sort_onesweep_config_selectorItNS0_10empty_typeEEEZZNS1_29radix_sort_onesweep_iterationIS3_Lb0EPKtPtPS5_SB_mNS0_19identity_decomposerENS1_16block_id_wrapperIjLb1EEEEE10hipError_tT1_PNSt15iterator_traitsISG_E10value_typeET2_T3_PNSH_ISM_E10value_typeET4_T5_PSR_SS_PNS1_23onesweep_lookback_stateEbbT6_jjT7_P12ihipStream_tbENKUlT_T0_SG_SL_E_clIS9_SA_SB_SB_EEDaSZ_S10_SG_SL_EUlSZ_E_NS1_11comp_targetILNS1_3genE5ELNS1_11target_archE942ELNS1_3gpuE9ELNS1_3repE0EEENS1_47radix_sort_onesweep_sort_config_static_selectorELNS0_4arch9wavefront6targetE0EEEvSG_.has_recursion, 0
	.set _ZN7rocprim17ROCPRIM_400000_NS6detail17trampoline_kernelINS0_14default_configENS1_35radix_sort_onesweep_config_selectorItNS0_10empty_typeEEEZZNS1_29radix_sort_onesweep_iterationIS3_Lb0EPKtPtPS5_SB_mNS0_19identity_decomposerENS1_16block_id_wrapperIjLb1EEEEE10hipError_tT1_PNSt15iterator_traitsISG_E10value_typeET2_T3_PNSH_ISM_E10value_typeET4_T5_PSR_SS_PNS1_23onesweep_lookback_stateEbbT6_jjT7_P12ihipStream_tbENKUlT_T0_SG_SL_E_clIS9_SA_SB_SB_EEDaSZ_S10_SG_SL_EUlSZ_E_NS1_11comp_targetILNS1_3genE5ELNS1_11target_archE942ELNS1_3gpuE9ELNS1_3repE0EEENS1_47radix_sort_onesweep_sort_config_static_selectorELNS0_4arch9wavefront6targetE0EEEvSG_.has_indirect_call, 0
	.section	.AMDGPU.csdata,"",@progbits
; Kernel info:
; codeLenInByte = 0
; TotalNumSgprs: 0
; NumVgprs: 0
; ScratchSize: 0
; MemoryBound: 0
; FloatMode: 240
; IeeeMode: 1
; LDSByteSize: 0 bytes/workgroup (compile time only)
; SGPRBlocks: 0
; VGPRBlocks: 0
; NumSGPRsForWavesPerEU: 1
; NumVGPRsForWavesPerEU: 1
; NamedBarCnt: 0
; Occupancy: 16
; WaveLimiterHint : 0
; COMPUTE_PGM_RSRC2:SCRATCH_EN: 0
; COMPUTE_PGM_RSRC2:USER_SGPR: 2
; COMPUTE_PGM_RSRC2:TRAP_HANDLER: 0
; COMPUTE_PGM_RSRC2:TGID_X_EN: 1
; COMPUTE_PGM_RSRC2:TGID_Y_EN: 0
; COMPUTE_PGM_RSRC2:TGID_Z_EN: 0
; COMPUTE_PGM_RSRC2:TIDIG_COMP_CNT: 0
	.section	.text._ZN7rocprim17ROCPRIM_400000_NS6detail17trampoline_kernelINS0_14default_configENS1_35radix_sort_onesweep_config_selectorItNS0_10empty_typeEEEZZNS1_29radix_sort_onesweep_iterationIS3_Lb0EPKtPtPS5_SB_mNS0_19identity_decomposerENS1_16block_id_wrapperIjLb1EEEEE10hipError_tT1_PNSt15iterator_traitsISG_E10value_typeET2_T3_PNSH_ISM_E10value_typeET4_T5_PSR_SS_PNS1_23onesweep_lookback_stateEbbT6_jjT7_P12ihipStream_tbENKUlT_T0_SG_SL_E_clIS9_SA_SB_SB_EEDaSZ_S10_SG_SL_EUlSZ_E_NS1_11comp_targetILNS1_3genE2ELNS1_11target_archE906ELNS1_3gpuE6ELNS1_3repE0EEENS1_47radix_sort_onesweep_sort_config_static_selectorELNS0_4arch9wavefront6targetE0EEEvSG_,"axG",@progbits,_ZN7rocprim17ROCPRIM_400000_NS6detail17trampoline_kernelINS0_14default_configENS1_35radix_sort_onesweep_config_selectorItNS0_10empty_typeEEEZZNS1_29radix_sort_onesweep_iterationIS3_Lb0EPKtPtPS5_SB_mNS0_19identity_decomposerENS1_16block_id_wrapperIjLb1EEEEE10hipError_tT1_PNSt15iterator_traitsISG_E10value_typeET2_T3_PNSH_ISM_E10value_typeET4_T5_PSR_SS_PNS1_23onesweep_lookback_stateEbbT6_jjT7_P12ihipStream_tbENKUlT_T0_SG_SL_E_clIS9_SA_SB_SB_EEDaSZ_S10_SG_SL_EUlSZ_E_NS1_11comp_targetILNS1_3genE2ELNS1_11target_archE906ELNS1_3gpuE6ELNS1_3repE0EEENS1_47radix_sort_onesweep_sort_config_static_selectorELNS0_4arch9wavefront6targetE0EEEvSG_,comdat
	.protected	_ZN7rocprim17ROCPRIM_400000_NS6detail17trampoline_kernelINS0_14default_configENS1_35radix_sort_onesweep_config_selectorItNS0_10empty_typeEEEZZNS1_29radix_sort_onesweep_iterationIS3_Lb0EPKtPtPS5_SB_mNS0_19identity_decomposerENS1_16block_id_wrapperIjLb1EEEEE10hipError_tT1_PNSt15iterator_traitsISG_E10value_typeET2_T3_PNSH_ISM_E10value_typeET4_T5_PSR_SS_PNS1_23onesweep_lookback_stateEbbT6_jjT7_P12ihipStream_tbENKUlT_T0_SG_SL_E_clIS9_SA_SB_SB_EEDaSZ_S10_SG_SL_EUlSZ_E_NS1_11comp_targetILNS1_3genE2ELNS1_11target_archE906ELNS1_3gpuE6ELNS1_3repE0EEENS1_47radix_sort_onesweep_sort_config_static_selectorELNS0_4arch9wavefront6targetE0EEEvSG_ ; -- Begin function _ZN7rocprim17ROCPRIM_400000_NS6detail17trampoline_kernelINS0_14default_configENS1_35radix_sort_onesweep_config_selectorItNS0_10empty_typeEEEZZNS1_29radix_sort_onesweep_iterationIS3_Lb0EPKtPtPS5_SB_mNS0_19identity_decomposerENS1_16block_id_wrapperIjLb1EEEEE10hipError_tT1_PNSt15iterator_traitsISG_E10value_typeET2_T3_PNSH_ISM_E10value_typeET4_T5_PSR_SS_PNS1_23onesweep_lookback_stateEbbT6_jjT7_P12ihipStream_tbENKUlT_T0_SG_SL_E_clIS9_SA_SB_SB_EEDaSZ_S10_SG_SL_EUlSZ_E_NS1_11comp_targetILNS1_3genE2ELNS1_11target_archE906ELNS1_3gpuE6ELNS1_3repE0EEENS1_47radix_sort_onesweep_sort_config_static_selectorELNS0_4arch9wavefront6targetE0EEEvSG_
	.globl	_ZN7rocprim17ROCPRIM_400000_NS6detail17trampoline_kernelINS0_14default_configENS1_35radix_sort_onesweep_config_selectorItNS0_10empty_typeEEEZZNS1_29radix_sort_onesweep_iterationIS3_Lb0EPKtPtPS5_SB_mNS0_19identity_decomposerENS1_16block_id_wrapperIjLb1EEEEE10hipError_tT1_PNSt15iterator_traitsISG_E10value_typeET2_T3_PNSH_ISM_E10value_typeET4_T5_PSR_SS_PNS1_23onesweep_lookback_stateEbbT6_jjT7_P12ihipStream_tbENKUlT_T0_SG_SL_E_clIS9_SA_SB_SB_EEDaSZ_S10_SG_SL_EUlSZ_E_NS1_11comp_targetILNS1_3genE2ELNS1_11target_archE906ELNS1_3gpuE6ELNS1_3repE0EEENS1_47radix_sort_onesweep_sort_config_static_selectorELNS0_4arch9wavefront6targetE0EEEvSG_
	.p2align	8
	.type	_ZN7rocprim17ROCPRIM_400000_NS6detail17trampoline_kernelINS0_14default_configENS1_35radix_sort_onesweep_config_selectorItNS0_10empty_typeEEEZZNS1_29radix_sort_onesweep_iterationIS3_Lb0EPKtPtPS5_SB_mNS0_19identity_decomposerENS1_16block_id_wrapperIjLb1EEEEE10hipError_tT1_PNSt15iterator_traitsISG_E10value_typeET2_T3_PNSH_ISM_E10value_typeET4_T5_PSR_SS_PNS1_23onesweep_lookback_stateEbbT6_jjT7_P12ihipStream_tbENKUlT_T0_SG_SL_E_clIS9_SA_SB_SB_EEDaSZ_S10_SG_SL_EUlSZ_E_NS1_11comp_targetILNS1_3genE2ELNS1_11target_archE906ELNS1_3gpuE6ELNS1_3repE0EEENS1_47radix_sort_onesweep_sort_config_static_selectorELNS0_4arch9wavefront6targetE0EEEvSG_,@function
_ZN7rocprim17ROCPRIM_400000_NS6detail17trampoline_kernelINS0_14default_configENS1_35radix_sort_onesweep_config_selectorItNS0_10empty_typeEEEZZNS1_29radix_sort_onesweep_iterationIS3_Lb0EPKtPtPS5_SB_mNS0_19identity_decomposerENS1_16block_id_wrapperIjLb1EEEEE10hipError_tT1_PNSt15iterator_traitsISG_E10value_typeET2_T3_PNSH_ISM_E10value_typeET4_T5_PSR_SS_PNS1_23onesweep_lookback_stateEbbT6_jjT7_P12ihipStream_tbENKUlT_T0_SG_SL_E_clIS9_SA_SB_SB_EEDaSZ_S10_SG_SL_EUlSZ_E_NS1_11comp_targetILNS1_3genE2ELNS1_11target_archE906ELNS1_3gpuE6ELNS1_3repE0EEENS1_47radix_sort_onesweep_sort_config_static_selectorELNS0_4arch9wavefront6targetE0EEEvSG_: ; @_ZN7rocprim17ROCPRIM_400000_NS6detail17trampoline_kernelINS0_14default_configENS1_35radix_sort_onesweep_config_selectorItNS0_10empty_typeEEEZZNS1_29radix_sort_onesweep_iterationIS3_Lb0EPKtPtPS5_SB_mNS0_19identity_decomposerENS1_16block_id_wrapperIjLb1EEEEE10hipError_tT1_PNSt15iterator_traitsISG_E10value_typeET2_T3_PNSH_ISM_E10value_typeET4_T5_PSR_SS_PNS1_23onesweep_lookback_stateEbbT6_jjT7_P12ihipStream_tbENKUlT_T0_SG_SL_E_clIS9_SA_SB_SB_EEDaSZ_S10_SG_SL_EUlSZ_E_NS1_11comp_targetILNS1_3genE2ELNS1_11target_archE906ELNS1_3gpuE6ELNS1_3repE0EEENS1_47radix_sort_onesweep_sort_config_static_selectorELNS0_4arch9wavefront6targetE0EEEvSG_
; %bb.0:
	.section	.rodata,"a",@progbits
	.p2align	6, 0x0
	.amdhsa_kernel _ZN7rocprim17ROCPRIM_400000_NS6detail17trampoline_kernelINS0_14default_configENS1_35radix_sort_onesweep_config_selectorItNS0_10empty_typeEEEZZNS1_29radix_sort_onesweep_iterationIS3_Lb0EPKtPtPS5_SB_mNS0_19identity_decomposerENS1_16block_id_wrapperIjLb1EEEEE10hipError_tT1_PNSt15iterator_traitsISG_E10value_typeET2_T3_PNSH_ISM_E10value_typeET4_T5_PSR_SS_PNS1_23onesweep_lookback_stateEbbT6_jjT7_P12ihipStream_tbENKUlT_T0_SG_SL_E_clIS9_SA_SB_SB_EEDaSZ_S10_SG_SL_EUlSZ_E_NS1_11comp_targetILNS1_3genE2ELNS1_11target_archE906ELNS1_3gpuE6ELNS1_3repE0EEENS1_47radix_sort_onesweep_sort_config_static_selectorELNS0_4arch9wavefront6targetE0EEEvSG_
		.amdhsa_group_segment_fixed_size 0
		.amdhsa_private_segment_fixed_size 0
		.amdhsa_kernarg_size 88
		.amdhsa_user_sgpr_count 2
		.amdhsa_user_sgpr_dispatch_ptr 0
		.amdhsa_user_sgpr_queue_ptr 0
		.amdhsa_user_sgpr_kernarg_segment_ptr 1
		.amdhsa_user_sgpr_dispatch_id 0
		.amdhsa_user_sgpr_kernarg_preload_length 0
		.amdhsa_user_sgpr_kernarg_preload_offset 0
		.amdhsa_user_sgpr_private_segment_size 0
		.amdhsa_wavefront_size32 1
		.amdhsa_uses_dynamic_stack 0
		.amdhsa_enable_private_segment 0
		.amdhsa_system_sgpr_workgroup_id_x 1
		.amdhsa_system_sgpr_workgroup_id_y 0
		.amdhsa_system_sgpr_workgroup_id_z 0
		.amdhsa_system_sgpr_workgroup_info 0
		.amdhsa_system_vgpr_workitem_id 0
		.amdhsa_next_free_vgpr 1
		.amdhsa_next_free_sgpr 1
		.amdhsa_named_barrier_count 0
		.amdhsa_reserve_vcc 0
		.amdhsa_float_round_mode_32 0
		.amdhsa_float_round_mode_16_64 0
		.amdhsa_float_denorm_mode_32 3
		.amdhsa_float_denorm_mode_16_64 3
		.amdhsa_fp16_overflow 0
		.amdhsa_memory_ordered 1
		.amdhsa_forward_progress 1
		.amdhsa_inst_pref_size 0
		.amdhsa_round_robin_scheduling 0
		.amdhsa_exception_fp_ieee_invalid_op 0
		.amdhsa_exception_fp_denorm_src 0
		.amdhsa_exception_fp_ieee_div_zero 0
		.amdhsa_exception_fp_ieee_overflow 0
		.amdhsa_exception_fp_ieee_underflow 0
		.amdhsa_exception_fp_ieee_inexact 0
		.amdhsa_exception_int_div_zero 0
	.end_amdhsa_kernel
	.section	.text._ZN7rocprim17ROCPRIM_400000_NS6detail17trampoline_kernelINS0_14default_configENS1_35radix_sort_onesweep_config_selectorItNS0_10empty_typeEEEZZNS1_29radix_sort_onesweep_iterationIS3_Lb0EPKtPtPS5_SB_mNS0_19identity_decomposerENS1_16block_id_wrapperIjLb1EEEEE10hipError_tT1_PNSt15iterator_traitsISG_E10value_typeET2_T3_PNSH_ISM_E10value_typeET4_T5_PSR_SS_PNS1_23onesweep_lookback_stateEbbT6_jjT7_P12ihipStream_tbENKUlT_T0_SG_SL_E_clIS9_SA_SB_SB_EEDaSZ_S10_SG_SL_EUlSZ_E_NS1_11comp_targetILNS1_3genE2ELNS1_11target_archE906ELNS1_3gpuE6ELNS1_3repE0EEENS1_47radix_sort_onesweep_sort_config_static_selectorELNS0_4arch9wavefront6targetE0EEEvSG_,"axG",@progbits,_ZN7rocprim17ROCPRIM_400000_NS6detail17trampoline_kernelINS0_14default_configENS1_35radix_sort_onesweep_config_selectorItNS0_10empty_typeEEEZZNS1_29radix_sort_onesweep_iterationIS3_Lb0EPKtPtPS5_SB_mNS0_19identity_decomposerENS1_16block_id_wrapperIjLb1EEEEE10hipError_tT1_PNSt15iterator_traitsISG_E10value_typeET2_T3_PNSH_ISM_E10value_typeET4_T5_PSR_SS_PNS1_23onesweep_lookback_stateEbbT6_jjT7_P12ihipStream_tbENKUlT_T0_SG_SL_E_clIS9_SA_SB_SB_EEDaSZ_S10_SG_SL_EUlSZ_E_NS1_11comp_targetILNS1_3genE2ELNS1_11target_archE906ELNS1_3gpuE6ELNS1_3repE0EEENS1_47radix_sort_onesweep_sort_config_static_selectorELNS0_4arch9wavefront6targetE0EEEvSG_,comdat
.Lfunc_end2500:
	.size	_ZN7rocprim17ROCPRIM_400000_NS6detail17trampoline_kernelINS0_14default_configENS1_35radix_sort_onesweep_config_selectorItNS0_10empty_typeEEEZZNS1_29radix_sort_onesweep_iterationIS3_Lb0EPKtPtPS5_SB_mNS0_19identity_decomposerENS1_16block_id_wrapperIjLb1EEEEE10hipError_tT1_PNSt15iterator_traitsISG_E10value_typeET2_T3_PNSH_ISM_E10value_typeET4_T5_PSR_SS_PNS1_23onesweep_lookback_stateEbbT6_jjT7_P12ihipStream_tbENKUlT_T0_SG_SL_E_clIS9_SA_SB_SB_EEDaSZ_S10_SG_SL_EUlSZ_E_NS1_11comp_targetILNS1_3genE2ELNS1_11target_archE906ELNS1_3gpuE6ELNS1_3repE0EEENS1_47radix_sort_onesweep_sort_config_static_selectorELNS0_4arch9wavefront6targetE0EEEvSG_, .Lfunc_end2500-_ZN7rocprim17ROCPRIM_400000_NS6detail17trampoline_kernelINS0_14default_configENS1_35radix_sort_onesweep_config_selectorItNS0_10empty_typeEEEZZNS1_29radix_sort_onesweep_iterationIS3_Lb0EPKtPtPS5_SB_mNS0_19identity_decomposerENS1_16block_id_wrapperIjLb1EEEEE10hipError_tT1_PNSt15iterator_traitsISG_E10value_typeET2_T3_PNSH_ISM_E10value_typeET4_T5_PSR_SS_PNS1_23onesweep_lookback_stateEbbT6_jjT7_P12ihipStream_tbENKUlT_T0_SG_SL_E_clIS9_SA_SB_SB_EEDaSZ_S10_SG_SL_EUlSZ_E_NS1_11comp_targetILNS1_3genE2ELNS1_11target_archE906ELNS1_3gpuE6ELNS1_3repE0EEENS1_47radix_sort_onesweep_sort_config_static_selectorELNS0_4arch9wavefront6targetE0EEEvSG_
                                        ; -- End function
	.set _ZN7rocprim17ROCPRIM_400000_NS6detail17trampoline_kernelINS0_14default_configENS1_35radix_sort_onesweep_config_selectorItNS0_10empty_typeEEEZZNS1_29radix_sort_onesweep_iterationIS3_Lb0EPKtPtPS5_SB_mNS0_19identity_decomposerENS1_16block_id_wrapperIjLb1EEEEE10hipError_tT1_PNSt15iterator_traitsISG_E10value_typeET2_T3_PNSH_ISM_E10value_typeET4_T5_PSR_SS_PNS1_23onesweep_lookback_stateEbbT6_jjT7_P12ihipStream_tbENKUlT_T0_SG_SL_E_clIS9_SA_SB_SB_EEDaSZ_S10_SG_SL_EUlSZ_E_NS1_11comp_targetILNS1_3genE2ELNS1_11target_archE906ELNS1_3gpuE6ELNS1_3repE0EEENS1_47radix_sort_onesweep_sort_config_static_selectorELNS0_4arch9wavefront6targetE0EEEvSG_.num_vgpr, 0
	.set _ZN7rocprim17ROCPRIM_400000_NS6detail17trampoline_kernelINS0_14default_configENS1_35radix_sort_onesweep_config_selectorItNS0_10empty_typeEEEZZNS1_29radix_sort_onesweep_iterationIS3_Lb0EPKtPtPS5_SB_mNS0_19identity_decomposerENS1_16block_id_wrapperIjLb1EEEEE10hipError_tT1_PNSt15iterator_traitsISG_E10value_typeET2_T3_PNSH_ISM_E10value_typeET4_T5_PSR_SS_PNS1_23onesweep_lookback_stateEbbT6_jjT7_P12ihipStream_tbENKUlT_T0_SG_SL_E_clIS9_SA_SB_SB_EEDaSZ_S10_SG_SL_EUlSZ_E_NS1_11comp_targetILNS1_3genE2ELNS1_11target_archE906ELNS1_3gpuE6ELNS1_3repE0EEENS1_47radix_sort_onesweep_sort_config_static_selectorELNS0_4arch9wavefront6targetE0EEEvSG_.num_agpr, 0
	.set _ZN7rocprim17ROCPRIM_400000_NS6detail17trampoline_kernelINS0_14default_configENS1_35radix_sort_onesweep_config_selectorItNS0_10empty_typeEEEZZNS1_29radix_sort_onesweep_iterationIS3_Lb0EPKtPtPS5_SB_mNS0_19identity_decomposerENS1_16block_id_wrapperIjLb1EEEEE10hipError_tT1_PNSt15iterator_traitsISG_E10value_typeET2_T3_PNSH_ISM_E10value_typeET4_T5_PSR_SS_PNS1_23onesweep_lookback_stateEbbT6_jjT7_P12ihipStream_tbENKUlT_T0_SG_SL_E_clIS9_SA_SB_SB_EEDaSZ_S10_SG_SL_EUlSZ_E_NS1_11comp_targetILNS1_3genE2ELNS1_11target_archE906ELNS1_3gpuE6ELNS1_3repE0EEENS1_47radix_sort_onesweep_sort_config_static_selectorELNS0_4arch9wavefront6targetE0EEEvSG_.numbered_sgpr, 0
	.set _ZN7rocprim17ROCPRIM_400000_NS6detail17trampoline_kernelINS0_14default_configENS1_35radix_sort_onesweep_config_selectorItNS0_10empty_typeEEEZZNS1_29radix_sort_onesweep_iterationIS3_Lb0EPKtPtPS5_SB_mNS0_19identity_decomposerENS1_16block_id_wrapperIjLb1EEEEE10hipError_tT1_PNSt15iterator_traitsISG_E10value_typeET2_T3_PNSH_ISM_E10value_typeET4_T5_PSR_SS_PNS1_23onesweep_lookback_stateEbbT6_jjT7_P12ihipStream_tbENKUlT_T0_SG_SL_E_clIS9_SA_SB_SB_EEDaSZ_S10_SG_SL_EUlSZ_E_NS1_11comp_targetILNS1_3genE2ELNS1_11target_archE906ELNS1_3gpuE6ELNS1_3repE0EEENS1_47radix_sort_onesweep_sort_config_static_selectorELNS0_4arch9wavefront6targetE0EEEvSG_.num_named_barrier, 0
	.set _ZN7rocprim17ROCPRIM_400000_NS6detail17trampoline_kernelINS0_14default_configENS1_35radix_sort_onesweep_config_selectorItNS0_10empty_typeEEEZZNS1_29radix_sort_onesweep_iterationIS3_Lb0EPKtPtPS5_SB_mNS0_19identity_decomposerENS1_16block_id_wrapperIjLb1EEEEE10hipError_tT1_PNSt15iterator_traitsISG_E10value_typeET2_T3_PNSH_ISM_E10value_typeET4_T5_PSR_SS_PNS1_23onesweep_lookback_stateEbbT6_jjT7_P12ihipStream_tbENKUlT_T0_SG_SL_E_clIS9_SA_SB_SB_EEDaSZ_S10_SG_SL_EUlSZ_E_NS1_11comp_targetILNS1_3genE2ELNS1_11target_archE906ELNS1_3gpuE6ELNS1_3repE0EEENS1_47radix_sort_onesweep_sort_config_static_selectorELNS0_4arch9wavefront6targetE0EEEvSG_.private_seg_size, 0
	.set _ZN7rocprim17ROCPRIM_400000_NS6detail17trampoline_kernelINS0_14default_configENS1_35radix_sort_onesweep_config_selectorItNS0_10empty_typeEEEZZNS1_29radix_sort_onesweep_iterationIS3_Lb0EPKtPtPS5_SB_mNS0_19identity_decomposerENS1_16block_id_wrapperIjLb1EEEEE10hipError_tT1_PNSt15iterator_traitsISG_E10value_typeET2_T3_PNSH_ISM_E10value_typeET4_T5_PSR_SS_PNS1_23onesweep_lookback_stateEbbT6_jjT7_P12ihipStream_tbENKUlT_T0_SG_SL_E_clIS9_SA_SB_SB_EEDaSZ_S10_SG_SL_EUlSZ_E_NS1_11comp_targetILNS1_3genE2ELNS1_11target_archE906ELNS1_3gpuE6ELNS1_3repE0EEENS1_47radix_sort_onesweep_sort_config_static_selectorELNS0_4arch9wavefront6targetE0EEEvSG_.uses_vcc, 0
	.set _ZN7rocprim17ROCPRIM_400000_NS6detail17trampoline_kernelINS0_14default_configENS1_35radix_sort_onesweep_config_selectorItNS0_10empty_typeEEEZZNS1_29radix_sort_onesweep_iterationIS3_Lb0EPKtPtPS5_SB_mNS0_19identity_decomposerENS1_16block_id_wrapperIjLb1EEEEE10hipError_tT1_PNSt15iterator_traitsISG_E10value_typeET2_T3_PNSH_ISM_E10value_typeET4_T5_PSR_SS_PNS1_23onesweep_lookback_stateEbbT6_jjT7_P12ihipStream_tbENKUlT_T0_SG_SL_E_clIS9_SA_SB_SB_EEDaSZ_S10_SG_SL_EUlSZ_E_NS1_11comp_targetILNS1_3genE2ELNS1_11target_archE906ELNS1_3gpuE6ELNS1_3repE0EEENS1_47radix_sort_onesweep_sort_config_static_selectorELNS0_4arch9wavefront6targetE0EEEvSG_.uses_flat_scratch, 0
	.set _ZN7rocprim17ROCPRIM_400000_NS6detail17trampoline_kernelINS0_14default_configENS1_35radix_sort_onesweep_config_selectorItNS0_10empty_typeEEEZZNS1_29radix_sort_onesweep_iterationIS3_Lb0EPKtPtPS5_SB_mNS0_19identity_decomposerENS1_16block_id_wrapperIjLb1EEEEE10hipError_tT1_PNSt15iterator_traitsISG_E10value_typeET2_T3_PNSH_ISM_E10value_typeET4_T5_PSR_SS_PNS1_23onesweep_lookback_stateEbbT6_jjT7_P12ihipStream_tbENKUlT_T0_SG_SL_E_clIS9_SA_SB_SB_EEDaSZ_S10_SG_SL_EUlSZ_E_NS1_11comp_targetILNS1_3genE2ELNS1_11target_archE906ELNS1_3gpuE6ELNS1_3repE0EEENS1_47radix_sort_onesweep_sort_config_static_selectorELNS0_4arch9wavefront6targetE0EEEvSG_.has_dyn_sized_stack, 0
	.set _ZN7rocprim17ROCPRIM_400000_NS6detail17trampoline_kernelINS0_14default_configENS1_35radix_sort_onesweep_config_selectorItNS0_10empty_typeEEEZZNS1_29radix_sort_onesweep_iterationIS3_Lb0EPKtPtPS5_SB_mNS0_19identity_decomposerENS1_16block_id_wrapperIjLb1EEEEE10hipError_tT1_PNSt15iterator_traitsISG_E10value_typeET2_T3_PNSH_ISM_E10value_typeET4_T5_PSR_SS_PNS1_23onesweep_lookback_stateEbbT6_jjT7_P12ihipStream_tbENKUlT_T0_SG_SL_E_clIS9_SA_SB_SB_EEDaSZ_S10_SG_SL_EUlSZ_E_NS1_11comp_targetILNS1_3genE2ELNS1_11target_archE906ELNS1_3gpuE6ELNS1_3repE0EEENS1_47radix_sort_onesweep_sort_config_static_selectorELNS0_4arch9wavefront6targetE0EEEvSG_.has_recursion, 0
	.set _ZN7rocprim17ROCPRIM_400000_NS6detail17trampoline_kernelINS0_14default_configENS1_35radix_sort_onesweep_config_selectorItNS0_10empty_typeEEEZZNS1_29radix_sort_onesweep_iterationIS3_Lb0EPKtPtPS5_SB_mNS0_19identity_decomposerENS1_16block_id_wrapperIjLb1EEEEE10hipError_tT1_PNSt15iterator_traitsISG_E10value_typeET2_T3_PNSH_ISM_E10value_typeET4_T5_PSR_SS_PNS1_23onesweep_lookback_stateEbbT6_jjT7_P12ihipStream_tbENKUlT_T0_SG_SL_E_clIS9_SA_SB_SB_EEDaSZ_S10_SG_SL_EUlSZ_E_NS1_11comp_targetILNS1_3genE2ELNS1_11target_archE906ELNS1_3gpuE6ELNS1_3repE0EEENS1_47radix_sort_onesweep_sort_config_static_selectorELNS0_4arch9wavefront6targetE0EEEvSG_.has_indirect_call, 0
	.section	.AMDGPU.csdata,"",@progbits
; Kernel info:
; codeLenInByte = 0
; TotalNumSgprs: 0
; NumVgprs: 0
; ScratchSize: 0
; MemoryBound: 0
; FloatMode: 240
; IeeeMode: 1
; LDSByteSize: 0 bytes/workgroup (compile time only)
; SGPRBlocks: 0
; VGPRBlocks: 0
; NumSGPRsForWavesPerEU: 1
; NumVGPRsForWavesPerEU: 1
; NamedBarCnt: 0
; Occupancy: 16
; WaveLimiterHint : 0
; COMPUTE_PGM_RSRC2:SCRATCH_EN: 0
; COMPUTE_PGM_RSRC2:USER_SGPR: 2
; COMPUTE_PGM_RSRC2:TRAP_HANDLER: 0
; COMPUTE_PGM_RSRC2:TGID_X_EN: 1
; COMPUTE_PGM_RSRC2:TGID_Y_EN: 0
; COMPUTE_PGM_RSRC2:TGID_Z_EN: 0
; COMPUTE_PGM_RSRC2:TIDIG_COMP_CNT: 0
	.section	.text._ZN7rocprim17ROCPRIM_400000_NS6detail17trampoline_kernelINS0_14default_configENS1_35radix_sort_onesweep_config_selectorItNS0_10empty_typeEEEZZNS1_29radix_sort_onesweep_iterationIS3_Lb0EPKtPtPS5_SB_mNS0_19identity_decomposerENS1_16block_id_wrapperIjLb1EEEEE10hipError_tT1_PNSt15iterator_traitsISG_E10value_typeET2_T3_PNSH_ISM_E10value_typeET4_T5_PSR_SS_PNS1_23onesweep_lookback_stateEbbT6_jjT7_P12ihipStream_tbENKUlT_T0_SG_SL_E_clIS9_SA_SB_SB_EEDaSZ_S10_SG_SL_EUlSZ_E_NS1_11comp_targetILNS1_3genE4ELNS1_11target_archE910ELNS1_3gpuE8ELNS1_3repE0EEENS1_47radix_sort_onesweep_sort_config_static_selectorELNS0_4arch9wavefront6targetE0EEEvSG_,"axG",@progbits,_ZN7rocprim17ROCPRIM_400000_NS6detail17trampoline_kernelINS0_14default_configENS1_35radix_sort_onesweep_config_selectorItNS0_10empty_typeEEEZZNS1_29radix_sort_onesweep_iterationIS3_Lb0EPKtPtPS5_SB_mNS0_19identity_decomposerENS1_16block_id_wrapperIjLb1EEEEE10hipError_tT1_PNSt15iterator_traitsISG_E10value_typeET2_T3_PNSH_ISM_E10value_typeET4_T5_PSR_SS_PNS1_23onesweep_lookback_stateEbbT6_jjT7_P12ihipStream_tbENKUlT_T0_SG_SL_E_clIS9_SA_SB_SB_EEDaSZ_S10_SG_SL_EUlSZ_E_NS1_11comp_targetILNS1_3genE4ELNS1_11target_archE910ELNS1_3gpuE8ELNS1_3repE0EEENS1_47radix_sort_onesweep_sort_config_static_selectorELNS0_4arch9wavefront6targetE0EEEvSG_,comdat
	.protected	_ZN7rocprim17ROCPRIM_400000_NS6detail17trampoline_kernelINS0_14default_configENS1_35radix_sort_onesweep_config_selectorItNS0_10empty_typeEEEZZNS1_29radix_sort_onesweep_iterationIS3_Lb0EPKtPtPS5_SB_mNS0_19identity_decomposerENS1_16block_id_wrapperIjLb1EEEEE10hipError_tT1_PNSt15iterator_traitsISG_E10value_typeET2_T3_PNSH_ISM_E10value_typeET4_T5_PSR_SS_PNS1_23onesweep_lookback_stateEbbT6_jjT7_P12ihipStream_tbENKUlT_T0_SG_SL_E_clIS9_SA_SB_SB_EEDaSZ_S10_SG_SL_EUlSZ_E_NS1_11comp_targetILNS1_3genE4ELNS1_11target_archE910ELNS1_3gpuE8ELNS1_3repE0EEENS1_47radix_sort_onesweep_sort_config_static_selectorELNS0_4arch9wavefront6targetE0EEEvSG_ ; -- Begin function _ZN7rocprim17ROCPRIM_400000_NS6detail17trampoline_kernelINS0_14default_configENS1_35radix_sort_onesweep_config_selectorItNS0_10empty_typeEEEZZNS1_29radix_sort_onesweep_iterationIS3_Lb0EPKtPtPS5_SB_mNS0_19identity_decomposerENS1_16block_id_wrapperIjLb1EEEEE10hipError_tT1_PNSt15iterator_traitsISG_E10value_typeET2_T3_PNSH_ISM_E10value_typeET4_T5_PSR_SS_PNS1_23onesweep_lookback_stateEbbT6_jjT7_P12ihipStream_tbENKUlT_T0_SG_SL_E_clIS9_SA_SB_SB_EEDaSZ_S10_SG_SL_EUlSZ_E_NS1_11comp_targetILNS1_3genE4ELNS1_11target_archE910ELNS1_3gpuE8ELNS1_3repE0EEENS1_47radix_sort_onesweep_sort_config_static_selectorELNS0_4arch9wavefront6targetE0EEEvSG_
	.globl	_ZN7rocprim17ROCPRIM_400000_NS6detail17trampoline_kernelINS0_14default_configENS1_35radix_sort_onesweep_config_selectorItNS0_10empty_typeEEEZZNS1_29radix_sort_onesweep_iterationIS3_Lb0EPKtPtPS5_SB_mNS0_19identity_decomposerENS1_16block_id_wrapperIjLb1EEEEE10hipError_tT1_PNSt15iterator_traitsISG_E10value_typeET2_T3_PNSH_ISM_E10value_typeET4_T5_PSR_SS_PNS1_23onesweep_lookback_stateEbbT6_jjT7_P12ihipStream_tbENKUlT_T0_SG_SL_E_clIS9_SA_SB_SB_EEDaSZ_S10_SG_SL_EUlSZ_E_NS1_11comp_targetILNS1_3genE4ELNS1_11target_archE910ELNS1_3gpuE8ELNS1_3repE0EEENS1_47radix_sort_onesweep_sort_config_static_selectorELNS0_4arch9wavefront6targetE0EEEvSG_
	.p2align	8
	.type	_ZN7rocprim17ROCPRIM_400000_NS6detail17trampoline_kernelINS0_14default_configENS1_35radix_sort_onesweep_config_selectorItNS0_10empty_typeEEEZZNS1_29radix_sort_onesweep_iterationIS3_Lb0EPKtPtPS5_SB_mNS0_19identity_decomposerENS1_16block_id_wrapperIjLb1EEEEE10hipError_tT1_PNSt15iterator_traitsISG_E10value_typeET2_T3_PNSH_ISM_E10value_typeET4_T5_PSR_SS_PNS1_23onesweep_lookback_stateEbbT6_jjT7_P12ihipStream_tbENKUlT_T0_SG_SL_E_clIS9_SA_SB_SB_EEDaSZ_S10_SG_SL_EUlSZ_E_NS1_11comp_targetILNS1_3genE4ELNS1_11target_archE910ELNS1_3gpuE8ELNS1_3repE0EEENS1_47radix_sort_onesweep_sort_config_static_selectorELNS0_4arch9wavefront6targetE0EEEvSG_,@function
_ZN7rocprim17ROCPRIM_400000_NS6detail17trampoline_kernelINS0_14default_configENS1_35radix_sort_onesweep_config_selectorItNS0_10empty_typeEEEZZNS1_29radix_sort_onesweep_iterationIS3_Lb0EPKtPtPS5_SB_mNS0_19identity_decomposerENS1_16block_id_wrapperIjLb1EEEEE10hipError_tT1_PNSt15iterator_traitsISG_E10value_typeET2_T3_PNSH_ISM_E10value_typeET4_T5_PSR_SS_PNS1_23onesweep_lookback_stateEbbT6_jjT7_P12ihipStream_tbENKUlT_T0_SG_SL_E_clIS9_SA_SB_SB_EEDaSZ_S10_SG_SL_EUlSZ_E_NS1_11comp_targetILNS1_3genE4ELNS1_11target_archE910ELNS1_3gpuE8ELNS1_3repE0EEENS1_47radix_sort_onesweep_sort_config_static_selectorELNS0_4arch9wavefront6targetE0EEEvSG_: ; @_ZN7rocprim17ROCPRIM_400000_NS6detail17trampoline_kernelINS0_14default_configENS1_35radix_sort_onesweep_config_selectorItNS0_10empty_typeEEEZZNS1_29radix_sort_onesweep_iterationIS3_Lb0EPKtPtPS5_SB_mNS0_19identity_decomposerENS1_16block_id_wrapperIjLb1EEEEE10hipError_tT1_PNSt15iterator_traitsISG_E10value_typeET2_T3_PNSH_ISM_E10value_typeET4_T5_PSR_SS_PNS1_23onesweep_lookback_stateEbbT6_jjT7_P12ihipStream_tbENKUlT_T0_SG_SL_E_clIS9_SA_SB_SB_EEDaSZ_S10_SG_SL_EUlSZ_E_NS1_11comp_targetILNS1_3genE4ELNS1_11target_archE910ELNS1_3gpuE8ELNS1_3repE0EEENS1_47radix_sort_onesweep_sort_config_static_selectorELNS0_4arch9wavefront6targetE0EEEvSG_
; %bb.0:
	.section	.rodata,"a",@progbits
	.p2align	6, 0x0
	.amdhsa_kernel _ZN7rocprim17ROCPRIM_400000_NS6detail17trampoline_kernelINS0_14default_configENS1_35radix_sort_onesweep_config_selectorItNS0_10empty_typeEEEZZNS1_29radix_sort_onesweep_iterationIS3_Lb0EPKtPtPS5_SB_mNS0_19identity_decomposerENS1_16block_id_wrapperIjLb1EEEEE10hipError_tT1_PNSt15iterator_traitsISG_E10value_typeET2_T3_PNSH_ISM_E10value_typeET4_T5_PSR_SS_PNS1_23onesweep_lookback_stateEbbT6_jjT7_P12ihipStream_tbENKUlT_T0_SG_SL_E_clIS9_SA_SB_SB_EEDaSZ_S10_SG_SL_EUlSZ_E_NS1_11comp_targetILNS1_3genE4ELNS1_11target_archE910ELNS1_3gpuE8ELNS1_3repE0EEENS1_47radix_sort_onesweep_sort_config_static_selectorELNS0_4arch9wavefront6targetE0EEEvSG_
		.amdhsa_group_segment_fixed_size 0
		.amdhsa_private_segment_fixed_size 0
		.amdhsa_kernarg_size 88
		.amdhsa_user_sgpr_count 2
		.amdhsa_user_sgpr_dispatch_ptr 0
		.amdhsa_user_sgpr_queue_ptr 0
		.amdhsa_user_sgpr_kernarg_segment_ptr 1
		.amdhsa_user_sgpr_dispatch_id 0
		.amdhsa_user_sgpr_kernarg_preload_length 0
		.amdhsa_user_sgpr_kernarg_preload_offset 0
		.amdhsa_user_sgpr_private_segment_size 0
		.amdhsa_wavefront_size32 1
		.amdhsa_uses_dynamic_stack 0
		.amdhsa_enable_private_segment 0
		.amdhsa_system_sgpr_workgroup_id_x 1
		.amdhsa_system_sgpr_workgroup_id_y 0
		.amdhsa_system_sgpr_workgroup_id_z 0
		.amdhsa_system_sgpr_workgroup_info 0
		.amdhsa_system_vgpr_workitem_id 0
		.amdhsa_next_free_vgpr 1
		.amdhsa_next_free_sgpr 1
		.amdhsa_named_barrier_count 0
		.amdhsa_reserve_vcc 0
		.amdhsa_float_round_mode_32 0
		.amdhsa_float_round_mode_16_64 0
		.amdhsa_float_denorm_mode_32 3
		.amdhsa_float_denorm_mode_16_64 3
		.amdhsa_fp16_overflow 0
		.amdhsa_memory_ordered 1
		.amdhsa_forward_progress 1
		.amdhsa_inst_pref_size 0
		.amdhsa_round_robin_scheduling 0
		.amdhsa_exception_fp_ieee_invalid_op 0
		.amdhsa_exception_fp_denorm_src 0
		.amdhsa_exception_fp_ieee_div_zero 0
		.amdhsa_exception_fp_ieee_overflow 0
		.amdhsa_exception_fp_ieee_underflow 0
		.amdhsa_exception_fp_ieee_inexact 0
		.amdhsa_exception_int_div_zero 0
	.end_amdhsa_kernel
	.section	.text._ZN7rocprim17ROCPRIM_400000_NS6detail17trampoline_kernelINS0_14default_configENS1_35radix_sort_onesweep_config_selectorItNS0_10empty_typeEEEZZNS1_29radix_sort_onesweep_iterationIS3_Lb0EPKtPtPS5_SB_mNS0_19identity_decomposerENS1_16block_id_wrapperIjLb1EEEEE10hipError_tT1_PNSt15iterator_traitsISG_E10value_typeET2_T3_PNSH_ISM_E10value_typeET4_T5_PSR_SS_PNS1_23onesweep_lookback_stateEbbT6_jjT7_P12ihipStream_tbENKUlT_T0_SG_SL_E_clIS9_SA_SB_SB_EEDaSZ_S10_SG_SL_EUlSZ_E_NS1_11comp_targetILNS1_3genE4ELNS1_11target_archE910ELNS1_3gpuE8ELNS1_3repE0EEENS1_47radix_sort_onesweep_sort_config_static_selectorELNS0_4arch9wavefront6targetE0EEEvSG_,"axG",@progbits,_ZN7rocprim17ROCPRIM_400000_NS6detail17trampoline_kernelINS0_14default_configENS1_35radix_sort_onesweep_config_selectorItNS0_10empty_typeEEEZZNS1_29radix_sort_onesweep_iterationIS3_Lb0EPKtPtPS5_SB_mNS0_19identity_decomposerENS1_16block_id_wrapperIjLb1EEEEE10hipError_tT1_PNSt15iterator_traitsISG_E10value_typeET2_T3_PNSH_ISM_E10value_typeET4_T5_PSR_SS_PNS1_23onesweep_lookback_stateEbbT6_jjT7_P12ihipStream_tbENKUlT_T0_SG_SL_E_clIS9_SA_SB_SB_EEDaSZ_S10_SG_SL_EUlSZ_E_NS1_11comp_targetILNS1_3genE4ELNS1_11target_archE910ELNS1_3gpuE8ELNS1_3repE0EEENS1_47radix_sort_onesweep_sort_config_static_selectorELNS0_4arch9wavefront6targetE0EEEvSG_,comdat
.Lfunc_end2501:
	.size	_ZN7rocprim17ROCPRIM_400000_NS6detail17trampoline_kernelINS0_14default_configENS1_35radix_sort_onesweep_config_selectorItNS0_10empty_typeEEEZZNS1_29radix_sort_onesweep_iterationIS3_Lb0EPKtPtPS5_SB_mNS0_19identity_decomposerENS1_16block_id_wrapperIjLb1EEEEE10hipError_tT1_PNSt15iterator_traitsISG_E10value_typeET2_T3_PNSH_ISM_E10value_typeET4_T5_PSR_SS_PNS1_23onesweep_lookback_stateEbbT6_jjT7_P12ihipStream_tbENKUlT_T0_SG_SL_E_clIS9_SA_SB_SB_EEDaSZ_S10_SG_SL_EUlSZ_E_NS1_11comp_targetILNS1_3genE4ELNS1_11target_archE910ELNS1_3gpuE8ELNS1_3repE0EEENS1_47radix_sort_onesweep_sort_config_static_selectorELNS0_4arch9wavefront6targetE0EEEvSG_, .Lfunc_end2501-_ZN7rocprim17ROCPRIM_400000_NS6detail17trampoline_kernelINS0_14default_configENS1_35radix_sort_onesweep_config_selectorItNS0_10empty_typeEEEZZNS1_29radix_sort_onesweep_iterationIS3_Lb0EPKtPtPS5_SB_mNS0_19identity_decomposerENS1_16block_id_wrapperIjLb1EEEEE10hipError_tT1_PNSt15iterator_traitsISG_E10value_typeET2_T3_PNSH_ISM_E10value_typeET4_T5_PSR_SS_PNS1_23onesweep_lookback_stateEbbT6_jjT7_P12ihipStream_tbENKUlT_T0_SG_SL_E_clIS9_SA_SB_SB_EEDaSZ_S10_SG_SL_EUlSZ_E_NS1_11comp_targetILNS1_3genE4ELNS1_11target_archE910ELNS1_3gpuE8ELNS1_3repE0EEENS1_47radix_sort_onesweep_sort_config_static_selectorELNS0_4arch9wavefront6targetE0EEEvSG_
                                        ; -- End function
	.set _ZN7rocprim17ROCPRIM_400000_NS6detail17trampoline_kernelINS0_14default_configENS1_35radix_sort_onesweep_config_selectorItNS0_10empty_typeEEEZZNS1_29radix_sort_onesweep_iterationIS3_Lb0EPKtPtPS5_SB_mNS0_19identity_decomposerENS1_16block_id_wrapperIjLb1EEEEE10hipError_tT1_PNSt15iterator_traitsISG_E10value_typeET2_T3_PNSH_ISM_E10value_typeET4_T5_PSR_SS_PNS1_23onesweep_lookback_stateEbbT6_jjT7_P12ihipStream_tbENKUlT_T0_SG_SL_E_clIS9_SA_SB_SB_EEDaSZ_S10_SG_SL_EUlSZ_E_NS1_11comp_targetILNS1_3genE4ELNS1_11target_archE910ELNS1_3gpuE8ELNS1_3repE0EEENS1_47radix_sort_onesweep_sort_config_static_selectorELNS0_4arch9wavefront6targetE0EEEvSG_.num_vgpr, 0
	.set _ZN7rocprim17ROCPRIM_400000_NS6detail17trampoline_kernelINS0_14default_configENS1_35radix_sort_onesweep_config_selectorItNS0_10empty_typeEEEZZNS1_29radix_sort_onesweep_iterationIS3_Lb0EPKtPtPS5_SB_mNS0_19identity_decomposerENS1_16block_id_wrapperIjLb1EEEEE10hipError_tT1_PNSt15iterator_traitsISG_E10value_typeET2_T3_PNSH_ISM_E10value_typeET4_T5_PSR_SS_PNS1_23onesweep_lookback_stateEbbT6_jjT7_P12ihipStream_tbENKUlT_T0_SG_SL_E_clIS9_SA_SB_SB_EEDaSZ_S10_SG_SL_EUlSZ_E_NS1_11comp_targetILNS1_3genE4ELNS1_11target_archE910ELNS1_3gpuE8ELNS1_3repE0EEENS1_47radix_sort_onesweep_sort_config_static_selectorELNS0_4arch9wavefront6targetE0EEEvSG_.num_agpr, 0
	.set _ZN7rocprim17ROCPRIM_400000_NS6detail17trampoline_kernelINS0_14default_configENS1_35radix_sort_onesweep_config_selectorItNS0_10empty_typeEEEZZNS1_29radix_sort_onesweep_iterationIS3_Lb0EPKtPtPS5_SB_mNS0_19identity_decomposerENS1_16block_id_wrapperIjLb1EEEEE10hipError_tT1_PNSt15iterator_traitsISG_E10value_typeET2_T3_PNSH_ISM_E10value_typeET4_T5_PSR_SS_PNS1_23onesweep_lookback_stateEbbT6_jjT7_P12ihipStream_tbENKUlT_T0_SG_SL_E_clIS9_SA_SB_SB_EEDaSZ_S10_SG_SL_EUlSZ_E_NS1_11comp_targetILNS1_3genE4ELNS1_11target_archE910ELNS1_3gpuE8ELNS1_3repE0EEENS1_47radix_sort_onesweep_sort_config_static_selectorELNS0_4arch9wavefront6targetE0EEEvSG_.numbered_sgpr, 0
	.set _ZN7rocprim17ROCPRIM_400000_NS6detail17trampoline_kernelINS0_14default_configENS1_35radix_sort_onesweep_config_selectorItNS0_10empty_typeEEEZZNS1_29radix_sort_onesweep_iterationIS3_Lb0EPKtPtPS5_SB_mNS0_19identity_decomposerENS1_16block_id_wrapperIjLb1EEEEE10hipError_tT1_PNSt15iterator_traitsISG_E10value_typeET2_T3_PNSH_ISM_E10value_typeET4_T5_PSR_SS_PNS1_23onesweep_lookback_stateEbbT6_jjT7_P12ihipStream_tbENKUlT_T0_SG_SL_E_clIS9_SA_SB_SB_EEDaSZ_S10_SG_SL_EUlSZ_E_NS1_11comp_targetILNS1_3genE4ELNS1_11target_archE910ELNS1_3gpuE8ELNS1_3repE0EEENS1_47radix_sort_onesweep_sort_config_static_selectorELNS0_4arch9wavefront6targetE0EEEvSG_.num_named_barrier, 0
	.set _ZN7rocprim17ROCPRIM_400000_NS6detail17trampoline_kernelINS0_14default_configENS1_35radix_sort_onesweep_config_selectorItNS0_10empty_typeEEEZZNS1_29radix_sort_onesweep_iterationIS3_Lb0EPKtPtPS5_SB_mNS0_19identity_decomposerENS1_16block_id_wrapperIjLb1EEEEE10hipError_tT1_PNSt15iterator_traitsISG_E10value_typeET2_T3_PNSH_ISM_E10value_typeET4_T5_PSR_SS_PNS1_23onesweep_lookback_stateEbbT6_jjT7_P12ihipStream_tbENKUlT_T0_SG_SL_E_clIS9_SA_SB_SB_EEDaSZ_S10_SG_SL_EUlSZ_E_NS1_11comp_targetILNS1_3genE4ELNS1_11target_archE910ELNS1_3gpuE8ELNS1_3repE0EEENS1_47radix_sort_onesweep_sort_config_static_selectorELNS0_4arch9wavefront6targetE0EEEvSG_.private_seg_size, 0
	.set _ZN7rocprim17ROCPRIM_400000_NS6detail17trampoline_kernelINS0_14default_configENS1_35radix_sort_onesweep_config_selectorItNS0_10empty_typeEEEZZNS1_29radix_sort_onesweep_iterationIS3_Lb0EPKtPtPS5_SB_mNS0_19identity_decomposerENS1_16block_id_wrapperIjLb1EEEEE10hipError_tT1_PNSt15iterator_traitsISG_E10value_typeET2_T3_PNSH_ISM_E10value_typeET4_T5_PSR_SS_PNS1_23onesweep_lookback_stateEbbT6_jjT7_P12ihipStream_tbENKUlT_T0_SG_SL_E_clIS9_SA_SB_SB_EEDaSZ_S10_SG_SL_EUlSZ_E_NS1_11comp_targetILNS1_3genE4ELNS1_11target_archE910ELNS1_3gpuE8ELNS1_3repE0EEENS1_47radix_sort_onesweep_sort_config_static_selectorELNS0_4arch9wavefront6targetE0EEEvSG_.uses_vcc, 0
	.set _ZN7rocprim17ROCPRIM_400000_NS6detail17trampoline_kernelINS0_14default_configENS1_35radix_sort_onesweep_config_selectorItNS0_10empty_typeEEEZZNS1_29radix_sort_onesweep_iterationIS3_Lb0EPKtPtPS5_SB_mNS0_19identity_decomposerENS1_16block_id_wrapperIjLb1EEEEE10hipError_tT1_PNSt15iterator_traitsISG_E10value_typeET2_T3_PNSH_ISM_E10value_typeET4_T5_PSR_SS_PNS1_23onesweep_lookback_stateEbbT6_jjT7_P12ihipStream_tbENKUlT_T0_SG_SL_E_clIS9_SA_SB_SB_EEDaSZ_S10_SG_SL_EUlSZ_E_NS1_11comp_targetILNS1_3genE4ELNS1_11target_archE910ELNS1_3gpuE8ELNS1_3repE0EEENS1_47radix_sort_onesweep_sort_config_static_selectorELNS0_4arch9wavefront6targetE0EEEvSG_.uses_flat_scratch, 0
	.set _ZN7rocprim17ROCPRIM_400000_NS6detail17trampoline_kernelINS0_14default_configENS1_35radix_sort_onesweep_config_selectorItNS0_10empty_typeEEEZZNS1_29radix_sort_onesweep_iterationIS3_Lb0EPKtPtPS5_SB_mNS0_19identity_decomposerENS1_16block_id_wrapperIjLb1EEEEE10hipError_tT1_PNSt15iterator_traitsISG_E10value_typeET2_T3_PNSH_ISM_E10value_typeET4_T5_PSR_SS_PNS1_23onesweep_lookback_stateEbbT6_jjT7_P12ihipStream_tbENKUlT_T0_SG_SL_E_clIS9_SA_SB_SB_EEDaSZ_S10_SG_SL_EUlSZ_E_NS1_11comp_targetILNS1_3genE4ELNS1_11target_archE910ELNS1_3gpuE8ELNS1_3repE0EEENS1_47radix_sort_onesweep_sort_config_static_selectorELNS0_4arch9wavefront6targetE0EEEvSG_.has_dyn_sized_stack, 0
	.set _ZN7rocprim17ROCPRIM_400000_NS6detail17trampoline_kernelINS0_14default_configENS1_35radix_sort_onesweep_config_selectorItNS0_10empty_typeEEEZZNS1_29radix_sort_onesweep_iterationIS3_Lb0EPKtPtPS5_SB_mNS0_19identity_decomposerENS1_16block_id_wrapperIjLb1EEEEE10hipError_tT1_PNSt15iterator_traitsISG_E10value_typeET2_T3_PNSH_ISM_E10value_typeET4_T5_PSR_SS_PNS1_23onesweep_lookback_stateEbbT6_jjT7_P12ihipStream_tbENKUlT_T0_SG_SL_E_clIS9_SA_SB_SB_EEDaSZ_S10_SG_SL_EUlSZ_E_NS1_11comp_targetILNS1_3genE4ELNS1_11target_archE910ELNS1_3gpuE8ELNS1_3repE0EEENS1_47radix_sort_onesweep_sort_config_static_selectorELNS0_4arch9wavefront6targetE0EEEvSG_.has_recursion, 0
	.set _ZN7rocprim17ROCPRIM_400000_NS6detail17trampoline_kernelINS0_14default_configENS1_35radix_sort_onesweep_config_selectorItNS0_10empty_typeEEEZZNS1_29radix_sort_onesweep_iterationIS3_Lb0EPKtPtPS5_SB_mNS0_19identity_decomposerENS1_16block_id_wrapperIjLb1EEEEE10hipError_tT1_PNSt15iterator_traitsISG_E10value_typeET2_T3_PNSH_ISM_E10value_typeET4_T5_PSR_SS_PNS1_23onesweep_lookback_stateEbbT6_jjT7_P12ihipStream_tbENKUlT_T0_SG_SL_E_clIS9_SA_SB_SB_EEDaSZ_S10_SG_SL_EUlSZ_E_NS1_11comp_targetILNS1_3genE4ELNS1_11target_archE910ELNS1_3gpuE8ELNS1_3repE0EEENS1_47radix_sort_onesweep_sort_config_static_selectorELNS0_4arch9wavefront6targetE0EEEvSG_.has_indirect_call, 0
	.section	.AMDGPU.csdata,"",@progbits
; Kernel info:
; codeLenInByte = 0
; TotalNumSgprs: 0
; NumVgprs: 0
; ScratchSize: 0
; MemoryBound: 0
; FloatMode: 240
; IeeeMode: 1
; LDSByteSize: 0 bytes/workgroup (compile time only)
; SGPRBlocks: 0
; VGPRBlocks: 0
; NumSGPRsForWavesPerEU: 1
; NumVGPRsForWavesPerEU: 1
; NamedBarCnt: 0
; Occupancy: 16
; WaveLimiterHint : 0
; COMPUTE_PGM_RSRC2:SCRATCH_EN: 0
; COMPUTE_PGM_RSRC2:USER_SGPR: 2
; COMPUTE_PGM_RSRC2:TRAP_HANDLER: 0
; COMPUTE_PGM_RSRC2:TGID_X_EN: 1
; COMPUTE_PGM_RSRC2:TGID_Y_EN: 0
; COMPUTE_PGM_RSRC2:TGID_Z_EN: 0
; COMPUTE_PGM_RSRC2:TIDIG_COMP_CNT: 0
	.section	.text._ZN7rocprim17ROCPRIM_400000_NS6detail17trampoline_kernelINS0_14default_configENS1_35radix_sort_onesweep_config_selectorItNS0_10empty_typeEEEZZNS1_29radix_sort_onesweep_iterationIS3_Lb0EPKtPtPS5_SB_mNS0_19identity_decomposerENS1_16block_id_wrapperIjLb1EEEEE10hipError_tT1_PNSt15iterator_traitsISG_E10value_typeET2_T3_PNSH_ISM_E10value_typeET4_T5_PSR_SS_PNS1_23onesweep_lookback_stateEbbT6_jjT7_P12ihipStream_tbENKUlT_T0_SG_SL_E_clIS9_SA_SB_SB_EEDaSZ_S10_SG_SL_EUlSZ_E_NS1_11comp_targetILNS1_3genE3ELNS1_11target_archE908ELNS1_3gpuE7ELNS1_3repE0EEENS1_47radix_sort_onesweep_sort_config_static_selectorELNS0_4arch9wavefront6targetE0EEEvSG_,"axG",@progbits,_ZN7rocprim17ROCPRIM_400000_NS6detail17trampoline_kernelINS0_14default_configENS1_35radix_sort_onesweep_config_selectorItNS0_10empty_typeEEEZZNS1_29radix_sort_onesweep_iterationIS3_Lb0EPKtPtPS5_SB_mNS0_19identity_decomposerENS1_16block_id_wrapperIjLb1EEEEE10hipError_tT1_PNSt15iterator_traitsISG_E10value_typeET2_T3_PNSH_ISM_E10value_typeET4_T5_PSR_SS_PNS1_23onesweep_lookback_stateEbbT6_jjT7_P12ihipStream_tbENKUlT_T0_SG_SL_E_clIS9_SA_SB_SB_EEDaSZ_S10_SG_SL_EUlSZ_E_NS1_11comp_targetILNS1_3genE3ELNS1_11target_archE908ELNS1_3gpuE7ELNS1_3repE0EEENS1_47radix_sort_onesweep_sort_config_static_selectorELNS0_4arch9wavefront6targetE0EEEvSG_,comdat
	.protected	_ZN7rocprim17ROCPRIM_400000_NS6detail17trampoline_kernelINS0_14default_configENS1_35radix_sort_onesweep_config_selectorItNS0_10empty_typeEEEZZNS1_29radix_sort_onesweep_iterationIS3_Lb0EPKtPtPS5_SB_mNS0_19identity_decomposerENS1_16block_id_wrapperIjLb1EEEEE10hipError_tT1_PNSt15iterator_traitsISG_E10value_typeET2_T3_PNSH_ISM_E10value_typeET4_T5_PSR_SS_PNS1_23onesweep_lookback_stateEbbT6_jjT7_P12ihipStream_tbENKUlT_T0_SG_SL_E_clIS9_SA_SB_SB_EEDaSZ_S10_SG_SL_EUlSZ_E_NS1_11comp_targetILNS1_3genE3ELNS1_11target_archE908ELNS1_3gpuE7ELNS1_3repE0EEENS1_47radix_sort_onesweep_sort_config_static_selectorELNS0_4arch9wavefront6targetE0EEEvSG_ ; -- Begin function _ZN7rocprim17ROCPRIM_400000_NS6detail17trampoline_kernelINS0_14default_configENS1_35radix_sort_onesweep_config_selectorItNS0_10empty_typeEEEZZNS1_29radix_sort_onesweep_iterationIS3_Lb0EPKtPtPS5_SB_mNS0_19identity_decomposerENS1_16block_id_wrapperIjLb1EEEEE10hipError_tT1_PNSt15iterator_traitsISG_E10value_typeET2_T3_PNSH_ISM_E10value_typeET4_T5_PSR_SS_PNS1_23onesweep_lookback_stateEbbT6_jjT7_P12ihipStream_tbENKUlT_T0_SG_SL_E_clIS9_SA_SB_SB_EEDaSZ_S10_SG_SL_EUlSZ_E_NS1_11comp_targetILNS1_3genE3ELNS1_11target_archE908ELNS1_3gpuE7ELNS1_3repE0EEENS1_47radix_sort_onesweep_sort_config_static_selectorELNS0_4arch9wavefront6targetE0EEEvSG_
	.globl	_ZN7rocprim17ROCPRIM_400000_NS6detail17trampoline_kernelINS0_14default_configENS1_35radix_sort_onesweep_config_selectorItNS0_10empty_typeEEEZZNS1_29radix_sort_onesweep_iterationIS3_Lb0EPKtPtPS5_SB_mNS0_19identity_decomposerENS1_16block_id_wrapperIjLb1EEEEE10hipError_tT1_PNSt15iterator_traitsISG_E10value_typeET2_T3_PNSH_ISM_E10value_typeET4_T5_PSR_SS_PNS1_23onesweep_lookback_stateEbbT6_jjT7_P12ihipStream_tbENKUlT_T0_SG_SL_E_clIS9_SA_SB_SB_EEDaSZ_S10_SG_SL_EUlSZ_E_NS1_11comp_targetILNS1_3genE3ELNS1_11target_archE908ELNS1_3gpuE7ELNS1_3repE0EEENS1_47radix_sort_onesweep_sort_config_static_selectorELNS0_4arch9wavefront6targetE0EEEvSG_
	.p2align	8
	.type	_ZN7rocprim17ROCPRIM_400000_NS6detail17trampoline_kernelINS0_14default_configENS1_35radix_sort_onesweep_config_selectorItNS0_10empty_typeEEEZZNS1_29radix_sort_onesweep_iterationIS3_Lb0EPKtPtPS5_SB_mNS0_19identity_decomposerENS1_16block_id_wrapperIjLb1EEEEE10hipError_tT1_PNSt15iterator_traitsISG_E10value_typeET2_T3_PNSH_ISM_E10value_typeET4_T5_PSR_SS_PNS1_23onesweep_lookback_stateEbbT6_jjT7_P12ihipStream_tbENKUlT_T0_SG_SL_E_clIS9_SA_SB_SB_EEDaSZ_S10_SG_SL_EUlSZ_E_NS1_11comp_targetILNS1_3genE3ELNS1_11target_archE908ELNS1_3gpuE7ELNS1_3repE0EEENS1_47radix_sort_onesweep_sort_config_static_selectorELNS0_4arch9wavefront6targetE0EEEvSG_,@function
_ZN7rocprim17ROCPRIM_400000_NS6detail17trampoline_kernelINS0_14default_configENS1_35radix_sort_onesweep_config_selectorItNS0_10empty_typeEEEZZNS1_29radix_sort_onesweep_iterationIS3_Lb0EPKtPtPS5_SB_mNS0_19identity_decomposerENS1_16block_id_wrapperIjLb1EEEEE10hipError_tT1_PNSt15iterator_traitsISG_E10value_typeET2_T3_PNSH_ISM_E10value_typeET4_T5_PSR_SS_PNS1_23onesweep_lookback_stateEbbT6_jjT7_P12ihipStream_tbENKUlT_T0_SG_SL_E_clIS9_SA_SB_SB_EEDaSZ_S10_SG_SL_EUlSZ_E_NS1_11comp_targetILNS1_3genE3ELNS1_11target_archE908ELNS1_3gpuE7ELNS1_3repE0EEENS1_47radix_sort_onesweep_sort_config_static_selectorELNS0_4arch9wavefront6targetE0EEEvSG_: ; @_ZN7rocprim17ROCPRIM_400000_NS6detail17trampoline_kernelINS0_14default_configENS1_35radix_sort_onesweep_config_selectorItNS0_10empty_typeEEEZZNS1_29radix_sort_onesweep_iterationIS3_Lb0EPKtPtPS5_SB_mNS0_19identity_decomposerENS1_16block_id_wrapperIjLb1EEEEE10hipError_tT1_PNSt15iterator_traitsISG_E10value_typeET2_T3_PNSH_ISM_E10value_typeET4_T5_PSR_SS_PNS1_23onesweep_lookback_stateEbbT6_jjT7_P12ihipStream_tbENKUlT_T0_SG_SL_E_clIS9_SA_SB_SB_EEDaSZ_S10_SG_SL_EUlSZ_E_NS1_11comp_targetILNS1_3genE3ELNS1_11target_archE908ELNS1_3gpuE7ELNS1_3repE0EEENS1_47radix_sort_onesweep_sort_config_static_selectorELNS0_4arch9wavefront6targetE0EEEvSG_
; %bb.0:
	.section	.rodata,"a",@progbits
	.p2align	6, 0x0
	.amdhsa_kernel _ZN7rocprim17ROCPRIM_400000_NS6detail17trampoline_kernelINS0_14default_configENS1_35radix_sort_onesweep_config_selectorItNS0_10empty_typeEEEZZNS1_29radix_sort_onesweep_iterationIS3_Lb0EPKtPtPS5_SB_mNS0_19identity_decomposerENS1_16block_id_wrapperIjLb1EEEEE10hipError_tT1_PNSt15iterator_traitsISG_E10value_typeET2_T3_PNSH_ISM_E10value_typeET4_T5_PSR_SS_PNS1_23onesweep_lookback_stateEbbT6_jjT7_P12ihipStream_tbENKUlT_T0_SG_SL_E_clIS9_SA_SB_SB_EEDaSZ_S10_SG_SL_EUlSZ_E_NS1_11comp_targetILNS1_3genE3ELNS1_11target_archE908ELNS1_3gpuE7ELNS1_3repE0EEENS1_47radix_sort_onesweep_sort_config_static_selectorELNS0_4arch9wavefront6targetE0EEEvSG_
		.amdhsa_group_segment_fixed_size 0
		.amdhsa_private_segment_fixed_size 0
		.amdhsa_kernarg_size 88
		.amdhsa_user_sgpr_count 2
		.amdhsa_user_sgpr_dispatch_ptr 0
		.amdhsa_user_sgpr_queue_ptr 0
		.amdhsa_user_sgpr_kernarg_segment_ptr 1
		.amdhsa_user_sgpr_dispatch_id 0
		.amdhsa_user_sgpr_kernarg_preload_length 0
		.amdhsa_user_sgpr_kernarg_preload_offset 0
		.amdhsa_user_sgpr_private_segment_size 0
		.amdhsa_wavefront_size32 1
		.amdhsa_uses_dynamic_stack 0
		.amdhsa_enable_private_segment 0
		.amdhsa_system_sgpr_workgroup_id_x 1
		.amdhsa_system_sgpr_workgroup_id_y 0
		.amdhsa_system_sgpr_workgroup_id_z 0
		.amdhsa_system_sgpr_workgroup_info 0
		.amdhsa_system_vgpr_workitem_id 0
		.amdhsa_next_free_vgpr 1
		.amdhsa_next_free_sgpr 1
		.amdhsa_named_barrier_count 0
		.amdhsa_reserve_vcc 0
		.amdhsa_float_round_mode_32 0
		.amdhsa_float_round_mode_16_64 0
		.amdhsa_float_denorm_mode_32 3
		.amdhsa_float_denorm_mode_16_64 3
		.amdhsa_fp16_overflow 0
		.amdhsa_memory_ordered 1
		.amdhsa_forward_progress 1
		.amdhsa_inst_pref_size 0
		.amdhsa_round_robin_scheduling 0
		.amdhsa_exception_fp_ieee_invalid_op 0
		.amdhsa_exception_fp_denorm_src 0
		.amdhsa_exception_fp_ieee_div_zero 0
		.amdhsa_exception_fp_ieee_overflow 0
		.amdhsa_exception_fp_ieee_underflow 0
		.amdhsa_exception_fp_ieee_inexact 0
		.amdhsa_exception_int_div_zero 0
	.end_amdhsa_kernel
	.section	.text._ZN7rocprim17ROCPRIM_400000_NS6detail17trampoline_kernelINS0_14default_configENS1_35radix_sort_onesweep_config_selectorItNS0_10empty_typeEEEZZNS1_29radix_sort_onesweep_iterationIS3_Lb0EPKtPtPS5_SB_mNS0_19identity_decomposerENS1_16block_id_wrapperIjLb1EEEEE10hipError_tT1_PNSt15iterator_traitsISG_E10value_typeET2_T3_PNSH_ISM_E10value_typeET4_T5_PSR_SS_PNS1_23onesweep_lookback_stateEbbT6_jjT7_P12ihipStream_tbENKUlT_T0_SG_SL_E_clIS9_SA_SB_SB_EEDaSZ_S10_SG_SL_EUlSZ_E_NS1_11comp_targetILNS1_3genE3ELNS1_11target_archE908ELNS1_3gpuE7ELNS1_3repE0EEENS1_47radix_sort_onesweep_sort_config_static_selectorELNS0_4arch9wavefront6targetE0EEEvSG_,"axG",@progbits,_ZN7rocprim17ROCPRIM_400000_NS6detail17trampoline_kernelINS0_14default_configENS1_35radix_sort_onesweep_config_selectorItNS0_10empty_typeEEEZZNS1_29radix_sort_onesweep_iterationIS3_Lb0EPKtPtPS5_SB_mNS0_19identity_decomposerENS1_16block_id_wrapperIjLb1EEEEE10hipError_tT1_PNSt15iterator_traitsISG_E10value_typeET2_T3_PNSH_ISM_E10value_typeET4_T5_PSR_SS_PNS1_23onesweep_lookback_stateEbbT6_jjT7_P12ihipStream_tbENKUlT_T0_SG_SL_E_clIS9_SA_SB_SB_EEDaSZ_S10_SG_SL_EUlSZ_E_NS1_11comp_targetILNS1_3genE3ELNS1_11target_archE908ELNS1_3gpuE7ELNS1_3repE0EEENS1_47radix_sort_onesweep_sort_config_static_selectorELNS0_4arch9wavefront6targetE0EEEvSG_,comdat
.Lfunc_end2502:
	.size	_ZN7rocprim17ROCPRIM_400000_NS6detail17trampoline_kernelINS0_14default_configENS1_35radix_sort_onesweep_config_selectorItNS0_10empty_typeEEEZZNS1_29radix_sort_onesweep_iterationIS3_Lb0EPKtPtPS5_SB_mNS0_19identity_decomposerENS1_16block_id_wrapperIjLb1EEEEE10hipError_tT1_PNSt15iterator_traitsISG_E10value_typeET2_T3_PNSH_ISM_E10value_typeET4_T5_PSR_SS_PNS1_23onesweep_lookback_stateEbbT6_jjT7_P12ihipStream_tbENKUlT_T0_SG_SL_E_clIS9_SA_SB_SB_EEDaSZ_S10_SG_SL_EUlSZ_E_NS1_11comp_targetILNS1_3genE3ELNS1_11target_archE908ELNS1_3gpuE7ELNS1_3repE0EEENS1_47radix_sort_onesweep_sort_config_static_selectorELNS0_4arch9wavefront6targetE0EEEvSG_, .Lfunc_end2502-_ZN7rocprim17ROCPRIM_400000_NS6detail17trampoline_kernelINS0_14default_configENS1_35radix_sort_onesweep_config_selectorItNS0_10empty_typeEEEZZNS1_29radix_sort_onesweep_iterationIS3_Lb0EPKtPtPS5_SB_mNS0_19identity_decomposerENS1_16block_id_wrapperIjLb1EEEEE10hipError_tT1_PNSt15iterator_traitsISG_E10value_typeET2_T3_PNSH_ISM_E10value_typeET4_T5_PSR_SS_PNS1_23onesweep_lookback_stateEbbT6_jjT7_P12ihipStream_tbENKUlT_T0_SG_SL_E_clIS9_SA_SB_SB_EEDaSZ_S10_SG_SL_EUlSZ_E_NS1_11comp_targetILNS1_3genE3ELNS1_11target_archE908ELNS1_3gpuE7ELNS1_3repE0EEENS1_47radix_sort_onesweep_sort_config_static_selectorELNS0_4arch9wavefront6targetE0EEEvSG_
                                        ; -- End function
	.set _ZN7rocprim17ROCPRIM_400000_NS6detail17trampoline_kernelINS0_14default_configENS1_35radix_sort_onesweep_config_selectorItNS0_10empty_typeEEEZZNS1_29radix_sort_onesweep_iterationIS3_Lb0EPKtPtPS5_SB_mNS0_19identity_decomposerENS1_16block_id_wrapperIjLb1EEEEE10hipError_tT1_PNSt15iterator_traitsISG_E10value_typeET2_T3_PNSH_ISM_E10value_typeET4_T5_PSR_SS_PNS1_23onesweep_lookback_stateEbbT6_jjT7_P12ihipStream_tbENKUlT_T0_SG_SL_E_clIS9_SA_SB_SB_EEDaSZ_S10_SG_SL_EUlSZ_E_NS1_11comp_targetILNS1_3genE3ELNS1_11target_archE908ELNS1_3gpuE7ELNS1_3repE0EEENS1_47radix_sort_onesweep_sort_config_static_selectorELNS0_4arch9wavefront6targetE0EEEvSG_.num_vgpr, 0
	.set _ZN7rocprim17ROCPRIM_400000_NS6detail17trampoline_kernelINS0_14default_configENS1_35radix_sort_onesweep_config_selectorItNS0_10empty_typeEEEZZNS1_29radix_sort_onesweep_iterationIS3_Lb0EPKtPtPS5_SB_mNS0_19identity_decomposerENS1_16block_id_wrapperIjLb1EEEEE10hipError_tT1_PNSt15iterator_traitsISG_E10value_typeET2_T3_PNSH_ISM_E10value_typeET4_T5_PSR_SS_PNS1_23onesweep_lookback_stateEbbT6_jjT7_P12ihipStream_tbENKUlT_T0_SG_SL_E_clIS9_SA_SB_SB_EEDaSZ_S10_SG_SL_EUlSZ_E_NS1_11comp_targetILNS1_3genE3ELNS1_11target_archE908ELNS1_3gpuE7ELNS1_3repE0EEENS1_47radix_sort_onesweep_sort_config_static_selectorELNS0_4arch9wavefront6targetE0EEEvSG_.num_agpr, 0
	.set _ZN7rocprim17ROCPRIM_400000_NS6detail17trampoline_kernelINS0_14default_configENS1_35radix_sort_onesweep_config_selectorItNS0_10empty_typeEEEZZNS1_29radix_sort_onesweep_iterationIS3_Lb0EPKtPtPS5_SB_mNS0_19identity_decomposerENS1_16block_id_wrapperIjLb1EEEEE10hipError_tT1_PNSt15iterator_traitsISG_E10value_typeET2_T3_PNSH_ISM_E10value_typeET4_T5_PSR_SS_PNS1_23onesweep_lookback_stateEbbT6_jjT7_P12ihipStream_tbENKUlT_T0_SG_SL_E_clIS9_SA_SB_SB_EEDaSZ_S10_SG_SL_EUlSZ_E_NS1_11comp_targetILNS1_3genE3ELNS1_11target_archE908ELNS1_3gpuE7ELNS1_3repE0EEENS1_47radix_sort_onesweep_sort_config_static_selectorELNS0_4arch9wavefront6targetE0EEEvSG_.numbered_sgpr, 0
	.set _ZN7rocprim17ROCPRIM_400000_NS6detail17trampoline_kernelINS0_14default_configENS1_35radix_sort_onesweep_config_selectorItNS0_10empty_typeEEEZZNS1_29radix_sort_onesweep_iterationIS3_Lb0EPKtPtPS5_SB_mNS0_19identity_decomposerENS1_16block_id_wrapperIjLb1EEEEE10hipError_tT1_PNSt15iterator_traitsISG_E10value_typeET2_T3_PNSH_ISM_E10value_typeET4_T5_PSR_SS_PNS1_23onesweep_lookback_stateEbbT6_jjT7_P12ihipStream_tbENKUlT_T0_SG_SL_E_clIS9_SA_SB_SB_EEDaSZ_S10_SG_SL_EUlSZ_E_NS1_11comp_targetILNS1_3genE3ELNS1_11target_archE908ELNS1_3gpuE7ELNS1_3repE0EEENS1_47radix_sort_onesweep_sort_config_static_selectorELNS0_4arch9wavefront6targetE0EEEvSG_.num_named_barrier, 0
	.set _ZN7rocprim17ROCPRIM_400000_NS6detail17trampoline_kernelINS0_14default_configENS1_35radix_sort_onesweep_config_selectorItNS0_10empty_typeEEEZZNS1_29radix_sort_onesweep_iterationIS3_Lb0EPKtPtPS5_SB_mNS0_19identity_decomposerENS1_16block_id_wrapperIjLb1EEEEE10hipError_tT1_PNSt15iterator_traitsISG_E10value_typeET2_T3_PNSH_ISM_E10value_typeET4_T5_PSR_SS_PNS1_23onesweep_lookback_stateEbbT6_jjT7_P12ihipStream_tbENKUlT_T0_SG_SL_E_clIS9_SA_SB_SB_EEDaSZ_S10_SG_SL_EUlSZ_E_NS1_11comp_targetILNS1_3genE3ELNS1_11target_archE908ELNS1_3gpuE7ELNS1_3repE0EEENS1_47radix_sort_onesweep_sort_config_static_selectorELNS0_4arch9wavefront6targetE0EEEvSG_.private_seg_size, 0
	.set _ZN7rocprim17ROCPRIM_400000_NS6detail17trampoline_kernelINS0_14default_configENS1_35radix_sort_onesweep_config_selectorItNS0_10empty_typeEEEZZNS1_29radix_sort_onesweep_iterationIS3_Lb0EPKtPtPS5_SB_mNS0_19identity_decomposerENS1_16block_id_wrapperIjLb1EEEEE10hipError_tT1_PNSt15iterator_traitsISG_E10value_typeET2_T3_PNSH_ISM_E10value_typeET4_T5_PSR_SS_PNS1_23onesweep_lookback_stateEbbT6_jjT7_P12ihipStream_tbENKUlT_T0_SG_SL_E_clIS9_SA_SB_SB_EEDaSZ_S10_SG_SL_EUlSZ_E_NS1_11comp_targetILNS1_3genE3ELNS1_11target_archE908ELNS1_3gpuE7ELNS1_3repE0EEENS1_47radix_sort_onesweep_sort_config_static_selectorELNS0_4arch9wavefront6targetE0EEEvSG_.uses_vcc, 0
	.set _ZN7rocprim17ROCPRIM_400000_NS6detail17trampoline_kernelINS0_14default_configENS1_35radix_sort_onesweep_config_selectorItNS0_10empty_typeEEEZZNS1_29radix_sort_onesweep_iterationIS3_Lb0EPKtPtPS5_SB_mNS0_19identity_decomposerENS1_16block_id_wrapperIjLb1EEEEE10hipError_tT1_PNSt15iterator_traitsISG_E10value_typeET2_T3_PNSH_ISM_E10value_typeET4_T5_PSR_SS_PNS1_23onesweep_lookback_stateEbbT6_jjT7_P12ihipStream_tbENKUlT_T0_SG_SL_E_clIS9_SA_SB_SB_EEDaSZ_S10_SG_SL_EUlSZ_E_NS1_11comp_targetILNS1_3genE3ELNS1_11target_archE908ELNS1_3gpuE7ELNS1_3repE0EEENS1_47radix_sort_onesweep_sort_config_static_selectorELNS0_4arch9wavefront6targetE0EEEvSG_.uses_flat_scratch, 0
	.set _ZN7rocprim17ROCPRIM_400000_NS6detail17trampoline_kernelINS0_14default_configENS1_35radix_sort_onesweep_config_selectorItNS0_10empty_typeEEEZZNS1_29radix_sort_onesweep_iterationIS3_Lb0EPKtPtPS5_SB_mNS0_19identity_decomposerENS1_16block_id_wrapperIjLb1EEEEE10hipError_tT1_PNSt15iterator_traitsISG_E10value_typeET2_T3_PNSH_ISM_E10value_typeET4_T5_PSR_SS_PNS1_23onesweep_lookback_stateEbbT6_jjT7_P12ihipStream_tbENKUlT_T0_SG_SL_E_clIS9_SA_SB_SB_EEDaSZ_S10_SG_SL_EUlSZ_E_NS1_11comp_targetILNS1_3genE3ELNS1_11target_archE908ELNS1_3gpuE7ELNS1_3repE0EEENS1_47radix_sort_onesweep_sort_config_static_selectorELNS0_4arch9wavefront6targetE0EEEvSG_.has_dyn_sized_stack, 0
	.set _ZN7rocprim17ROCPRIM_400000_NS6detail17trampoline_kernelINS0_14default_configENS1_35radix_sort_onesweep_config_selectorItNS0_10empty_typeEEEZZNS1_29radix_sort_onesweep_iterationIS3_Lb0EPKtPtPS5_SB_mNS0_19identity_decomposerENS1_16block_id_wrapperIjLb1EEEEE10hipError_tT1_PNSt15iterator_traitsISG_E10value_typeET2_T3_PNSH_ISM_E10value_typeET4_T5_PSR_SS_PNS1_23onesweep_lookback_stateEbbT6_jjT7_P12ihipStream_tbENKUlT_T0_SG_SL_E_clIS9_SA_SB_SB_EEDaSZ_S10_SG_SL_EUlSZ_E_NS1_11comp_targetILNS1_3genE3ELNS1_11target_archE908ELNS1_3gpuE7ELNS1_3repE0EEENS1_47radix_sort_onesweep_sort_config_static_selectorELNS0_4arch9wavefront6targetE0EEEvSG_.has_recursion, 0
	.set _ZN7rocprim17ROCPRIM_400000_NS6detail17trampoline_kernelINS0_14default_configENS1_35radix_sort_onesweep_config_selectorItNS0_10empty_typeEEEZZNS1_29radix_sort_onesweep_iterationIS3_Lb0EPKtPtPS5_SB_mNS0_19identity_decomposerENS1_16block_id_wrapperIjLb1EEEEE10hipError_tT1_PNSt15iterator_traitsISG_E10value_typeET2_T3_PNSH_ISM_E10value_typeET4_T5_PSR_SS_PNS1_23onesweep_lookback_stateEbbT6_jjT7_P12ihipStream_tbENKUlT_T0_SG_SL_E_clIS9_SA_SB_SB_EEDaSZ_S10_SG_SL_EUlSZ_E_NS1_11comp_targetILNS1_3genE3ELNS1_11target_archE908ELNS1_3gpuE7ELNS1_3repE0EEENS1_47radix_sort_onesweep_sort_config_static_selectorELNS0_4arch9wavefront6targetE0EEEvSG_.has_indirect_call, 0
	.section	.AMDGPU.csdata,"",@progbits
; Kernel info:
; codeLenInByte = 0
; TotalNumSgprs: 0
; NumVgprs: 0
; ScratchSize: 0
; MemoryBound: 0
; FloatMode: 240
; IeeeMode: 1
; LDSByteSize: 0 bytes/workgroup (compile time only)
; SGPRBlocks: 0
; VGPRBlocks: 0
; NumSGPRsForWavesPerEU: 1
; NumVGPRsForWavesPerEU: 1
; NamedBarCnt: 0
; Occupancy: 16
; WaveLimiterHint : 0
; COMPUTE_PGM_RSRC2:SCRATCH_EN: 0
; COMPUTE_PGM_RSRC2:USER_SGPR: 2
; COMPUTE_PGM_RSRC2:TRAP_HANDLER: 0
; COMPUTE_PGM_RSRC2:TGID_X_EN: 1
; COMPUTE_PGM_RSRC2:TGID_Y_EN: 0
; COMPUTE_PGM_RSRC2:TGID_Z_EN: 0
; COMPUTE_PGM_RSRC2:TIDIG_COMP_CNT: 0
	.section	.text._ZN7rocprim17ROCPRIM_400000_NS6detail17trampoline_kernelINS0_14default_configENS1_35radix_sort_onesweep_config_selectorItNS0_10empty_typeEEEZZNS1_29radix_sort_onesweep_iterationIS3_Lb0EPKtPtPS5_SB_mNS0_19identity_decomposerENS1_16block_id_wrapperIjLb1EEEEE10hipError_tT1_PNSt15iterator_traitsISG_E10value_typeET2_T3_PNSH_ISM_E10value_typeET4_T5_PSR_SS_PNS1_23onesweep_lookback_stateEbbT6_jjT7_P12ihipStream_tbENKUlT_T0_SG_SL_E_clIS9_SA_SB_SB_EEDaSZ_S10_SG_SL_EUlSZ_E_NS1_11comp_targetILNS1_3genE10ELNS1_11target_archE1201ELNS1_3gpuE5ELNS1_3repE0EEENS1_47radix_sort_onesweep_sort_config_static_selectorELNS0_4arch9wavefront6targetE0EEEvSG_,"axG",@progbits,_ZN7rocprim17ROCPRIM_400000_NS6detail17trampoline_kernelINS0_14default_configENS1_35radix_sort_onesweep_config_selectorItNS0_10empty_typeEEEZZNS1_29radix_sort_onesweep_iterationIS3_Lb0EPKtPtPS5_SB_mNS0_19identity_decomposerENS1_16block_id_wrapperIjLb1EEEEE10hipError_tT1_PNSt15iterator_traitsISG_E10value_typeET2_T3_PNSH_ISM_E10value_typeET4_T5_PSR_SS_PNS1_23onesweep_lookback_stateEbbT6_jjT7_P12ihipStream_tbENKUlT_T0_SG_SL_E_clIS9_SA_SB_SB_EEDaSZ_S10_SG_SL_EUlSZ_E_NS1_11comp_targetILNS1_3genE10ELNS1_11target_archE1201ELNS1_3gpuE5ELNS1_3repE0EEENS1_47radix_sort_onesweep_sort_config_static_selectorELNS0_4arch9wavefront6targetE0EEEvSG_,comdat
	.protected	_ZN7rocprim17ROCPRIM_400000_NS6detail17trampoline_kernelINS0_14default_configENS1_35radix_sort_onesweep_config_selectorItNS0_10empty_typeEEEZZNS1_29radix_sort_onesweep_iterationIS3_Lb0EPKtPtPS5_SB_mNS0_19identity_decomposerENS1_16block_id_wrapperIjLb1EEEEE10hipError_tT1_PNSt15iterator_traitsISG_E10value_typeET2_T3_PNSH_ISM_E10value_typeET4_T5_PSR_SS_PNS1_23onesweep_lookback_stateEbbT6_jjT7_P12ihipStream_tbENKUlT_T0_SG_SL_E_clIS9_SA_SB_SB_EEDaSZ_S10_SG_SL_EUlSZ_E_NS1_11comp_targetILNS1_3genE10ELNS1_11target_archE1201ELNS1_3gpuE5ELNS1_3repE0EEENS1_47radix_sort_onesweep_sort_config_static_selectorELNS0_4arch9wavefront6targetE0EEEvSG_ ; -- Begin function _ZN7rocprim17ROCPRIM_400000_NS6detail17trampoline_kernelINS0_14default_configENS1_35radix_sort_onesweep_config_selectorItNS0_10empty_typeEEEZZNS1_29radix_sort_onesweep_iterationIS3_Lb0EPKtPtPS5_SB_mNS0_19identity_decomposerENS1_16block_id_wrapperIjLb1EEEEE10hipError_tT1_PNSt15iterator_traitsISG_E10value_typeET2_T3_PNSH_ISM_E10value_typeET4_T5_PSR_SS_PNS1_23onesweep_lookback_stateEbbT6_jjT7_P12ihipStream_tbENKUlT_T0_SG_SL_E_clIS9_SA_SB_SB_EEDaSZ_S10_SG_SL_EUlSZ_E_NS1_11comp_targetILNS1_3genE10ELNS1_11target_archE1201ELNS1_3gpuE5ELNS1_3repE0EEENS1_47radix_sort_onesweep_sort_config_static_selectorELNS0_4arch9wavefront6targetE0EEEvSG_
	.globl	_ZN7rocprim17ROCPRIM_400000_NS6detail17trampoline_kernelINS0_14default_configENS1_35radix_sort_onesweep_config_selectorItNS0_10empty_typeEEEZZNS1_29radix_sort_onesweep_iterationIS3_Lb0EPKtPtPS5_SB_mNS0_19identity_decomposerENS1_16block_id_wrapperIjLb1EEEEE10hipError_tT1_PNSt15iterator_traitsISG_E10value_typeET2_T3_PNSH_ISM_E10value_typeET4_T5_PSR_SS_PNS1_23onesweep_lookback_stateEbbT6_jjT7_P12ihipStream_tbENKUlT_T0_SG_SL_E_clIS9_SA_SB_SB_EEDaSZ_S10_SG_SL_EUlSZ_E_NS1_11comp_targetILNS1_3genE10ELNS1_11target_archE1201ELNS1_3gpuE5ELNS1_3repE0EEENS1_47radix_sort_onesweep_sort_config_static_selectorELNS0_4arch9wavefront6targetE0EEEvSG_
	.p2align	8
	.type	_ZN7rocprim17ROCPRIM_400000_NS6detail17trampoline_kernelINS0_14default_configENS1_35radix_sort_onesweep_config_selectorItNS0_10empty_typeEEEZZNS1_29radix_sort_onesweep_iterationIS3_Lb0EPKtPtPS5_SB_mNS0_19identity_decomposerENS1_16block_id_wrapperIjLb1EEEEE10hipError_tT1_PNSt15iterator_traitsISG_E10value_typeET2_T3_PNSH_ISM_E10value_typeET4_T5_PSR_SS_PNS1_23onesweep_lookback_stateEbbT6_jjT7_P12ihipStream_tbENKUlT_T0_SG_SL_E_clIS9_SA_SB_SB_EEDaSZ_S10_SG_SL_EUlSZ_E_NS1_11comp_targetILNS1_3genE10ELNS1_11target_archE1201ELNS1_3gpuE5ELNS1_3repE0EEENS1_47radix_sort_onesweep_sort_config_static_selectorELNS0_4arch9wavefront6targetE0EEEvSG_,@function
_ZN7rocprim17ROCPRIM_400000_NS6detail17trampoline_kernelINS0_14default_configENS1_35radix_sort_onesweep_config_selectorItNS0_10empty_typeEEEZZNS1_29radix_sort_onesweep_iterationIS3_Lb0EPKtPtPS5_SB_mNS0_19identity_decomposerENS1_16block_id_wrapperIjLb1EEEEE10hipError_tT1_PNSt15iterator_traitsISG_E10value_typeET2_T3_PNSH_ISM_E10value_typeET4_T5_PSR_SS_PNS1_23onesweep_lookback_stateEbbT6_jjT7_P12ihipStream_tbENKUlT_T0_SG_SL_E_clIS9_SA_SB_SB_EEDaSZ_S10_SG_SL_EUlSZ_E_NS1_11comp_targetILNS1_3genE10ELNS1_11target_archE1201ELNS1_3gpuE5ELNS1_3repE0EEENS1_47radix_sort_onesweep_sort_config_static_selectorELNS0_4arch9wavefront6targetE0EEEvSG_: ; @_ZN7rocprim17ROCPRIM_400000_NS6detail17trampoline_kernelINS0_14default_configENS1_35radix_sort_onesweep_config_selectorItNS0_10empty_typeEEEZZNS1_29radix_sort_onesweep_iterationIS3_Lb0EPKtPtPS5_SB_mNS0_19identity_decomposerENS1_16block_id_wrapperIjLb1EEEEE10hipError_tT1_PNSt15iterator_traitsISG_E10value_typeET2_T3_PNSH_ISM_E10value_typeET4_T5_PSR_SS_PNS1_23onesweep_lookback_stateEbbT6_jjT7_P12ihipStream_tbENKUlT_T0_SG_SL_E_clIS9_SA_SB_SB_EEDaSZ_S10_SG_SL_EUlSZ_E_NS1_11comp_targetILNS1_3genE10ELNS1_11target_archE1201ELNS1_3gpuE5ELNS1_3repE0EEENS1_47radix_sort_onesweep_sort_config_static_selectorELNS0_4arch9wavefront6targetE0EEEvSG_
; %bb.0:
	.section	.rodata,"a",@progbits
	.p2align	6, 0x0
	.amdhsa_kernel _ZN7rocprim17ROCPRIM_400000_NS6detail17trampoline_kernelINS0_14default_configENS1_35radix_sort_onesweep_config_selectorItNS0_10empty_typeEEEZZNS1_29radix_sort_onesweep_iterationIS3_Lb0EPKtPtPS5_SB_mNS0_19identity_decomposerENS1_16block_id_wrapperIjLb1EEEEE10hipError_tT1_PNSt15iterator_traitsISG_E10value_typeET2_T3_PNSH_ISM_E10value_typeET4_T5_PSR_SS_PNS1_23onesweep_lookback_stateEbbT6_jjT7_P12ihipStream_tbENKUlT_T0_SG_SL_E_clIS9_SA_SB_SB_EEDaSZ_S10_SG_SL_EUlSZ_E_NS1_11comp_targetILNS1_3genE10ELNS1_11target_archE1201ELNS1_3gpuE5ELNS1_3repE0EEENS1_47radix_sort_onesweep_sort_config_static_selectorELNS0_4arch9wavefront6targetE0EEEvSG_
		.amdhsa_group_segment_fixed_size 0
		.amdhsa_private_segment_fixed_size 0
		.amdhsa_kernarg_size 88
		.amdhsa_user_sgpr_count 2
		.amdhsa_user_sgpr_dispatch_ptr 0
		.amdhsa_user_sgpr_queue_ptr 0
		.amdhsa_user_sgpr_kernarg_segment_ptr 1
		.amdhsa_user_sgpr_dispatch_id 0
		.amdhsa_user_sgpr_kernarg_preload_length 0
		.amdhsa_user_sgpr_kernarg_preload_offset 0
		.amdhsa_user_sgpr_private_segment_size 0
		.amdhsa_wavefront_size32 1
		.amdhsa_uses_dynamic_stack 0
		.amdhsa_enable_private_segment 0
		.amdhsa_system_sgpr_workgroup_id_x 1
		.amdhsa_system_sgpr_workgroup_id_y 0
		.amdhsa_system_sgpr_workgroup_id_z 0
		.amdhsa_system_sgpr_workgroup_info 0
		.amdhsa_system_vgpr_workitem_id 0
		.amdhsa_next_free_vgpr 1
		.amdhsa_next_free_sgpr 1
		.amdhsa_named_barrier_count 0
		.amdhsa_reserve_vcc 0
		.amdhsa_float_round_mode_32 0
		.amdhsa_float_round_mode_16_64 0
		.amdhsa_float_denorm_mode_32 3
		.amdhsa_float_denorm_mode_16_64 3
		.amdhsa_fp16_overflow 0
		.amdhsa_memory_ordered 1
		.amdhsa_forward_progress 1
		.amdhsa_inst_pref_size 0
		.amdhsa_round_robin_scheduling 0
		.amdhsa_exception_fp_ieee_invalid_op 0
		.amdhsa_exception_fp_denorm_src 0
		.amdhsa_exception_fp_ieee_div_zero 0
		.amdhsa_exception_fp_ieee_overflow 0
		.amdhsa_exception_fp_ieee_underflow 0
		.amdhsa_exception_fp_ieee_inexact 0
		.amdhsa_exception_int_div_zero 0
	.end_amdhsa_kernel
	.section	.text._ZN7rocprim17ROCPRIM_400000_NS6detail17trampoline_kernelINS0_14default_configENS1_35radix_sort_onesweep_config_selectorItNS0_10empty_typeEEEZZNS1_29radix_sort_onesweep_iterationIS3_Lb0EPKtPtPS5_SB_mNS0_19identity_decomposerENS1_16block_id_wrapperIjLb1EEEEE10hipError_tT1_PNSt15iterator_traitsISG_E10value_typeET2_T3_PNSH_ISM_E10value_typeET4_T5_PSR_SS_PNS1_23onesweep_lookback_stateEbbT6_jjT7_P12ihipStream_tbENKUlT_T0_SG_SL_E_clIS9_SA_SB_SB_EEDaSZ_S10_SG_SL_EUlSZ_E_NS1_11comp_targetILNS1_3genE10ELNS1_11target_archE1201ELNS1_3gpuE5ELNS1_3repE0EEENS1_47radix_sort_onesweep_sort_config_static_selectorELNS0_4arch9wavefront6targetE0EEEvSG_,"axG",@progbits,_ZN7rocprim17ROCPRIM_400000_NS6detail17trampoline_kernelINS0_14default_configENS1_35radix_sort_onesweep_config_selectorItNS0_10empty_typeEEEZZNS1_29radix_sort_onesweep_iterationIS3_Lb0EPKtPtPS5_SB_mNS0_19identity_decomposerENS1_16block_id_wrapperIjLb1EEEEE10hipError_tT1_PNSt15iterator_traitsISG_E10value_typeET2_T3_PNSH_ISM_E10value_typeET4_T5_PSR_SS_PNS1_23onesweep_lookback_stateEbbT6_jjT7_P12ihipStream_tbENKUlT_T0_SG_SL_E_clIS9_SA_SB_SB_EEDaSZ_S10_SG_SL_EUlSZ_E_NS1_11comp_targetILNS1_3genE10ELNS1_11target_archE1201ELNS1_3gpuE5ELNS1_3repE0EEENS1_47radix_sort_onesweep_sort_config_static_selectorELNS0_4arch9wavefront6targetE0EEEvSG_,comdat
.Lfunc_end2503:
	.size	_ZN7rocprim17ROCPRIM_400000_NS6detail17trampoline_kernelINS0_14default_configENS1_35radix_sort_onesweep_config_selectorItNS0_10empty_typeEEEZZNS1_29radix_sort_onesweep_iterationIS3_Lb0EPKtPtPS5_SB_mNS0_19identity_decomposerENS1_16block_id_wrapperIjLb1EEEEE10hipError_tT1_PNSt15iterator_traitsISG_E10value_typeET2_T3_PNSH_ISM_E10value_typeET4_T5_PSR_SS_PNS1_23onesweep_lookback_stateEbbT6_jjT7_P12ihipStream_tbENKUlT_T0_SG_SL_E_clIS9_SA_SB_SB_EEDaSZ_S10_SG_SL_EUlSZ_E_NS1_11comp_targetILNS1_3genE10ELNS1_11target_archE1201ELNS1_3gpuE5ELNS1_3repE0EEENS1_47radix_sort_onesweep_sort_config_static_selectorELNS0_4arch9wavefront6targetE0EEEvSG_, .Lfunc_end2503-_ZN7rocprim17ROCPRIM_400000_NS6detail17trampoline_kernelINS0_14default_configENS1_35radix_sort_onesweep_config_selectorItNS0_10empty_typeEEEZZNS1_29radix_sort_onesweep_iterationIS3_Lb0EPKtPtPS5_SB_mNS0_19identity_decomposerENS1_16block_id_wrapperIjLb1EEEEE10hipError_tT1_PNSt15iterator_traitsISG_E10value_typeET2_T3_PNSH_ISM_E10value_typeET4_T5_PSR_SS_PNS1_23onesweep_lookback_stateEbbT6_jjT7_P12ihipStream_tbENKUlT_T0_SG_SL_E_clIS9_SA_SB_SB_EEDaSZ_S10_SG_SL_EUlSZ_E_NS1_11comp_targetILNS1_3genE10ELNS1_11target_archE1201ELNS1_3gpuE5ELNS1_3repE0EEENS1_47radix_sort_onesweep_sort_config_static_selectorELNS0_4arch9wavefront6targetE0EEEvSG_
                                        ; -- End function
	.set _ZN7rocprim17ROCPRIM_400000_NS6detail17trampoline_kernelINS0_14default_configENS1_35radix_sort_onesweep_config_selectorItNS0_10empty_typeEEEZZNS1_29radix_sort_onesweep_iterationIS3_Lb0EPKtPtPS5_SB_mNS0_19identity_decomposerENS1_16block_id_wrapperIjLb1EEEEE10hipError_tT1_PNSt15iterator_traitsISG_E10value_typeET2_T3_PNSH_ISM_E10value_typeET4_T5_PSR_SS_PNS1_23onesweep_lookback_stateEbbT6_jjT7_P12ihipStream_tbENKUlT_T0_SG_SL_E_clIS9_SA_SB_SB_EEDaSZ_S10_SG_SL_EUlSZ_E_NS1_11comp_targetILNS1_3genE10ELNS1_11target_archE1201ELNS1_3gpuE5ELNS1_3repE0EEENS1_47radix_sort_onesweep_sort_config_static_selectorELNS0_4arch9wavefront6targetE0EEEvSG_.num_vgpr, 0
	.set _ZN7rocprim17ROCPRIM_400000_NS6detail17trampoline_kernelINS0_14default_configENS1_35radix_sort_onesweep_config_selectorItNS0_10empty_typeEEEZZNS1_29radix_sort_onesweep_iterationIS3_Lb0EPKtPtPS5_SB_mNS0_19identity_decomposerENS1_16block_id_wrapperIjLb1EEEEE10hipError_tT1_PNSt15iterator_traitsISG_E10value_typeET2_T3_PNSH_ISM_E10value_typeET4_T5_PSR_SS_PNS1_23onesweep_lookback_stateEbbT6_jjT7_P12ihipStream_tbENKUlT_T0_SG_SL_E_clIS9_SA_SB_SB_EEDaSZ_S10_SG_SL_EUlSZ_E_NS1_11comp_targetILNS1_3genE10ELNS1_11target_archE1201ELNS1_3gpuE5ELNS1_3repE0EEENS1_47radix_sort_onesweep_sort_config_static_selectorELNS0_4arch9wavefront6targetE0EEEvSG_.num_agpr, 0
	.set _ZN7rocprim17ROCPRIM_400000_NS6detail17trampoline_kernelINS0_14default_configENS1_35radix_sort_onesweep_config_selectorItNS0_10empty_typeEEEZZNS1_29radix_sort_onesweep_iterationIS3_Lb0EPKtPtPS5_SB_mNS0_19identity_decomposerENS1_16block_id_wrapperIjLb1EEEEE10hipError_tT1_PNSt15iterator_traitsISG_E10value_typeET2_T3_PNSH_ISM_E10value_typeET4_T5_PSR_SS_PNS1_23onesweep_lookback_stateEbbT6_jjT7_P12ihipStream_tbENKUlT_T0_SG_SL_E_clIS9_SA_SB_SB_EEDaSZ_S10_SG_SL_EUlSZ_E_NS1_11comp_targetILNS1_3genE10ELNS1_11target_archE1201ELNS1_3gpuE5ELNS1_3repE0EEENS1_47radix_sort_onesweep_sort_config_static_selectorELNS0_4arch9wavefront6targetE0EEEvSG_.numbered_sgpr, 0
	.set _ZN7rocprim17ROCPRIM_400000_NS6detail17trampoline_kernelINS0_14default_configENS1_35radix_sort_onesweep_config_selectorItNS0_10empty_typeEEEZZNS1_29radix_sort_onesweep_iterationIS3_Lb0EPKtPtPS5_SB_mNS0_19identity_decomposerENS1_16block_id_wrapperIjLb1EEEEE10hipError_tT1_PNSt15iterator_traitsISG_E10value_typeET2_T3_PNSH_ISM_E10value_typeET4_T5_PSR_SS_PNS1_23onesweep_lookback_stateEbbT6_jjT7_P12ihipStream_tbENKUlT_T0_SG_SL_E_clIS9_SA_SB_SB_EEDaSZ_S10_SG_SL_EUlSZ_E_NS1_11comp_targetILNS1_3genE10ELNS1_11target_archE1201ELNS1_3gpuE5ELNS1_3repE0EEENS1_47radix_sort_onesweep_sort_config_static_selectorELNS0_4arch9wavefront6targetE0EEEvSG_.num_named_barrier, 0
	.set _ZN7rocprim17ROCPRIM_400000_NS6detail17trampoline_kernelINS0_14default_configENS1_35radix_sort_onesweep_config_selectorItNS0_10empty_typeEEEZZNS1_29radix_sort_onesweep_iterationIS3_Lb0EPKtPtPS5_SB_mNS0_19identity_decomposerENS1_16block_id_wrapperIjLb1EEEEE10hipError_tT1_PNSt15iterator_traitsISG_E10value_typeET2_T3_PNSH_ISM_E10value_typeET4_T5_PSR_SS_PNS1_23onesweep_lookback_stateEbbT6_jjT7_P12ihipStream_tbENKUlT_T0_SG_SL_E_clIS9_SA_SB_SB_EEDaSZ_S10_SG_SL_EUlSZ_E_NS1_11comp_targetILNS1_3genE10ELNS1_11target_archE1201ELNS1_3gpuE5ELNS1_3repE0EEENS1_47radix_sort_onesweep_sort_config_static_selectorELNS0_4arch9wavefront6targetE0EEEvSG_.private_seg_size, 0
	.set _ZN7rocprim17ROCPRIM_400000_NS6detail17trampoline_kernelINS0_14default_configENS1_35radix_sort_onesweep_config_selectorItNS0_10empty_typeEEEZZNS1_29radix_sort_onesweep_iterationIS3_Lb0EPKtPtPS5_SB_mNS0_19identity_decomposerENS1_16block_id_wrapperIjLb1EEEEE10hipError_tT1_PNSt15iterator_traitsISG_E10value_typeET2_T3_PNSH_ISM_E10value_typeET4_T5_PSR_SS_PNS1_23onesweep_lookback_stateEbbT6_jjT7_P12ihipStream_tbENKUlT_T0_SG_SL_E_clIS9_SA_SB_SB_EEDaSZ_S10_SG_SL_EUlSZ_E_NS1_11comp_targetILNS1_3genE10ELNS1_11target_archE1201ELNS1_3gpuE5ELNS1_3repE0EEENS1_47radix_sort_onesweep_sort_config_static_selectorELNS0_4arch9wavefront6targetE0EEEvSG_.uses_vcc, 0
	.set _ZN7rocprim17ROCPRIM_400000_NS6detail17trampoline_kernelINS0_14default_configENS1_35radix_sort_onesweep_config_selectorItNS0_10empty_typeEEEZZNS1_29radix_sort_onesweep_iterationIS3_Lb0EPKtPtPS5_SB_mNS0_19identity_decomposerENS1_16block_id_wrapperIjLb1EEEEE10hipError_tT1_PNSt15iterator_traitsISG_E10value_typeET2_T3_PNSH_ISM_E10value_typeET4_T5_PSR_SS_PNS1_23onesweep_lookback_stateEbbT6_jjT7_P12ihipStream_tbENKUlT_T0_SG_SL_E_clIS9_SA_SB_SB_EEDaSZ_S10_SG_SL_EUlSZ_E_NS1_11comp_targetILNS1_3genE10ELNS1_11target_archE1201ELNS1_3gpuE5ELNS1_3repE0EEENS1_47radix_sort_onesweep_sort_config_static_selectorELNS0_4arch9wavefront6targetE0EEEvSG_.uses_flat_scratch, 0
	.set _ZN7rocprim17ROCPRIM_400000_NS6detail17trampoline_kernelINS0_14default_configENS1_35radix_sort_onesweep_config_selectorItNS0_10empty_typeEEEZZNS1_29radix_sort_onesweep_iterationIS3_Lb0EPKtPtPS5_SB_mNS0_19identity_decomposerENS1_16block_id_wrapperIjLb1EEEEE10hipError_tT1_PNSt15iterator_traitsISG_E10value_typeET2_T3_PNSH_ISM_E10value_typeET4_T5_PSR_SS_PNS1_23onesweep_lookback_stateEbbT6_jjT7_P12ihipStream_tbENKUlT_T0_SG_SL_E_clIS9_SA_SB_SB_EEDaSZ_S10_SG_SL_EUlSZ_E_NS1_11comp_targetILNS1_3genE10ELNS1_11target_archE1201ELNS1_3gpuE5ELNS1_3repE0EEENS1_47radix_sort_onesweep_sort_config_static_selectorELNS0_4arch9wavefront6targetE0EEEvSG_.has_dyn_sized_stack, 0
	.set _ZN7rocprim17ROCPRIM_400000_NS6detail17trampoline_kernelINS0_14default_configENS1_35radix_sort_onesweep_config_selectorItNS0_10empty_typeEEEZZNS1_29radix_sort_onesweep_iterationIS3_Lb0EPKtPtPS5_SB_mNS0_19identity_decomposerENS1_16block_id_wrapperIjLb1EEEEE10hipError_tT1_PNSt15iterator_traitsISG_E10value_typeET2_T3_PNSH_ISM_E10value_typeET4_T5_PSR_SS_PNS1_23onesweep_lookback_stateEbbT6_jjT7_P12ihipStream_tbENKUlT_T0_SG_SL_E_clIS9_SA_SB_SB_EEDaSZ_S10_SG_SL_EUlSZ_E_NS1_11comp_targetILNS1_3genE10ELNS1_11target_archE1201ELNS1_3gpuE5ELNS1_3repE0EEENS1_47radix_sort_onesweep_sort_config_static_selectorELNS0_4arch9wavefront6targetE0EEEvSG_.has_recursion, 0
	.set _ZN7rocprim17ROCPRIM_400000_NS6detail17trampoline_kernelINS0_14default_configENS1_35radix_sort_onesweep_config_selectorItNS0_10empty_typeEEEZZNS1_29radix_sort_onesweep_iterationIS3_Lb0EPKtPtPS5_SB_mNS0_19identity_decomposerENS1_16block_id_wrapperIjLb1EEEEE10hipError_tT1_PNSt15iterator_traitsISG_E10value_typeET2_T3_PNSH_ISM_E10value_typeET4_T5_PSR_SS_PNS1_23onesweep_lookback_stateEbbT6_jjT7_P12ihipStream_tbENKUlT_T0_SG_SL_E_clIS9_SA_SB_SB_EEDaSZ_S10_SG_SL_EUlSZ_E_NS1_11comp_targetILNS1_3genE10ELNS1_11target_archE1201ELNS1_3gpuE5ELNS1_3repE0EEENS1_47radix_sort_onesweep_sort_config_static_selectorELNS0_4arch9wavefront6targetE0EEEvSG_.has_indirect_call, 0
	.section	.AMDGPU.csdata,"",@progbits
; Kernel info:
; codeLenInByte = 0
; TotalNumSgprs: 0
; NumVgprs: 0
; ScratchSize: 0
; MemoryBound: 0
; FloatMode: 240
; IeeeMode: 1
; LDSByteSize: 0 bytes/workgroup (compile time only)
; SGPRBlocks: 0
; VGPRBlocks: 0
; NumSGPRsForWavesPerEU: 1
; NumVGPRsForWavesPerEU: 1
; NamedBarCnt: 0
; Occupancy: 16
; WaveLimiterHint : 0
; COMPUTE_PGM_RSRC2:SCRATCH_EN: 0
; COMPUTE_PGM_RSRC2:USER_SGPR: 2
; COMPUTE_PGM_RSRC2:TRAP_HANDLER: 0
; COMPUTE_PGM_RSRC2:TGID_X_EN: 1
; COMPUTE_PGM_RSRC2:TGID_Y_EN: 0
; COMPUTE_PGM_RSRC2:TGID_Z_EN: 0
; COMPUTE_PGM_RSRC2:TIDIG_COMP_CNT: 0
	.section	.text._ZN7rocprim17ROCPRIM_400000_NS6detail17trampoline_kernelINS0_14default_configENS1_35radix_sort_onesweep_config_selectorItNS0_10empty_typeEEEZZNS1_29radix_sort_onesweep_iterationIS3_Lb0EPKtPtPS5_SB_mNS0_19identity_decomposerENS1_16block_id_wrapperIjLb1EEEEE10hipError_tT1_PNSt15iterator_traitsISG_E10value_typeET2_T3_PNSH_ISM_E10value_typeET4_T5_PSR_SS_PNS1_23onesweep_lookback_stateEbbT6_jjT7_P12ihipStream_tbENKUlT_T0_SG_SL_E_clIS9_SA_SB_SB_EEDaSZ_S10_SG_SL_EUlSZ_E_NS1_11comp_targetILNS1_3genE9ELNS1_11target_archE1100ELNS1_3gpuE3ELNS1_3repE0EEENS1_47radix_sort_onesweep_sort_config_static_selectorELNS0_4arch9wavefront6targetE0EEEvSG_,"axG",@progbits,_ZN7rocprim17ROCPRIM_400000_NS6detail17trampoline_kernelINS0_14default_configENS1_35radix_sort_onesweep_config_selectorItNS0_10empty_typeEEEZZNS1_29radix_sort_onesweep_iterationIS3_Lb0EPKtPtPS5_SB_mNS0_19identity_decomposerENS1_16block_id_wrapperIjLb1EEEEE10hipError_tT1_PNSt15iterator_traitsISG_E10value_typeET2_T3_PNSH_ISM_E10value_typeET4_T5_PSR_SS_PNS1_23onesweep_lookback_stateEbbT6_jjT7_P12ihipStream_tbENKUlT_T0_SG_SL_E_clIS9_SA_SB_SB_EEDaSZ_S10_SG_SL_EUlSZ_E_NS1_11comp_targetILNS1_3genE9ELNS1_11target_archE1100ELNS1_3gpuE3ELNS1_3repE0EEENS1_47radix_sort_onesweep_sort_config_static_selectorELNS0_4arch9wavefront6targetE0EEEvSG_,comdat
	.protected	_ZN7rocprim17ROCPRIM_400000_NS6detail17trampoline_kernelINS0_14default_configENS1_35radix_sort_onesweep_config_selectorItNS0_10empty_typeEEEZZNS1_29radix_sort_onesweep_iterationIS3_Lb0EPKtPtPS5_SB_mNS0_19identity_decomposerENS1_16block_id_wrapperIjLb1EEEEE10hipError_tT1_PNSt15iterator_traitsISG_E10value_typeET2_T3_PNSH_ISM_E10value_typeET4_T5_PSR_SS_PNS1_23onesweep_lookback_stateEbbT6_jjT7_P12ihipStream_tbENKUlT_T0_SG_SL_E_clIS9_SA_SB_SB_EEDaSZ_S10_SG_SL_EUlSZ_E_NS1_11comp_targetILNS1_3genE9ELNS1_11target_archE1100ELNS1_3gpuE3ELNS1_3repE0EEENS1_47radix_sort_onesweep_sort_config_static_selectorELNS0_4arch9wavefront6targetE0EEEvSG_ ; -- Begin function _ZN7rocprim17ROCPRIM_400000_NS6detail17trampoline_kernelINS0_14default_configENS1_35radix_sort_onesweep_config_selectorItNS0_10empty_typeEEEZZNS1_29radix_sort_onesweep_iterationIS3_Lb0EPKtPtPS5_SB_mNS0_19identity_decomposerENS1_16block_id_wrapperIjLb1EEEEE10hipError_tT1_PNSt15iterator_traitsISG_E10value_typeET2_T3_PNSH_ISM_E10value_typeET4_T5_PSR_SS_PNS1_23onesweep_lookback_stateEbbT6_jjT7_P12ihipStream_tbENKUlT_T0_SG_SL_E_clIS9_SA_SB_SB_EEDaSZ_S10_SG_SL_EUlSZ_E_NS1_11comp_targetILNS1_3genE9ELNS1_11target_archE1100ELNS1_3gpuE3ELNS1_3repE0EEENS1_47radix_sort_onesweep_sort_config_static_selectorELNS0_4arch9wavefront6targetE0EEEvSG_
	.globl	_ZN7rocprim17ROCPRIM_400000_NS6detail17trampoline_kernelINS0_14default_configENS1_35radix_sort_onesweep_config_selectorItNS0_10empty_typeEEEZZNS1_29radix_sort_onesweep_iterationIS3_Lb0EPKtPtPS5_SB_mNS0_19identity_decomposerENS1_16block_id_wrapperIjLb1EEEEE10hipError_tT1_PNSt15iterator_traitsISG_E10value_typeET2_T3_PNSH_ISM_E10value_typeET4_T5_PSR_SS_PNS1_23onesweep_lookback_stateEbbT6_jjT7_P12ihipStream_tbENKUlT_T0_SG_SL_E_clIS9_SA_SB_SB_EEDaSZ_S10_SG_SL_EUlSZ_E_NS1_11comp_targetILNS1_3genE9ELNS1_11target_archE1100ELNS1_3gpuE3ELNS1_3repE0EEENS1_47radix_sort_onesweep_sort_config_static_selectorELNS0_4arch9wavefront6targetE0EEEvSG_
	.p2align	8
	.type	_ZN7rocprim17ROCPRIM_400000_NS6detail17trampoline_kernelINS0_14default_configENS1_35radix_sort_onesweep_config_selectorItNS0_10empty_typeEEEZZNS1_29radix_sort_onesweep_iterationIS3_Lb0EPKtPtPS5_SB_mNS0_19identity_decomposerENS1_16block_id_wrapperIjLb1EEEEE10hipError_tT1_PNSt15iterator_traitsISG_E10value_typeET2_T3_PNSH_ISM_E10value_typeET4_T5_PSR_SS_PNS1_23onesweep_lookback_stateEbbT6_jjT7_P12ihipStream_tbENKUlT_T0_SG_SL_E_clIS9_SA_SB_SB_EEDaSZ_S10_SG_SL_EUlSZ_E_NS1_11comp_targetILNS1_3genE9ELNS1_11target_archE1100ELNS1_3gpuE3ELNS1_3repE0EEENS1_47radix_sort_onesweep_sort_config_static_selectorELNS0_4arch9wavefront6targetE0EEEvSG_,@function
_ZN7rocprim17ROCPRIM_400000_NS6detail17trampoline_kernelINS0_14default_configENS1_35radix_sort_onesweep_config_selectorItNS0_10empty_typeEEEZZNS1_29radix_sort_onesweep_iterationIS3_Lb0EPKtPtPS5_SB_mNS0_19identity_decomposerENS1_16block_id_wrapperIjLb1EEEEE10hipError_tT1_PNSt15iterator_traitsISG_E10value_typeET2_T3_PNSH_ISM_E10value_typeET4_T5_PSR_SS_PNS1_23onesweep_lookback_stateEbbT6_jjT7_P12ihipStream_tbENKUlT_T0_SG_SL_E_clIS9_SA_SB_SB_EEDaSZ_S10_SG_SL_EUlSZ_E_NS1_11comp_targetILNS1_3genE9ELNS1_11target_archE1100ELNS1_3gpuE3ELNS1_3repE0EEENS1_47radix_sort_onesweep_sort_config_static_selectorELNS0_4arch9wavefront6targetE0EEEvSG_: ; @_ZN7rocprim17ROCPRIM_400000_NS6detail17trampoline_kernelINS0_14default_configENS1_35radix_sort_onesweep_config_selectorItNS0_10empty_typeEEEZZNS1_29radix_sort_onesweep_iterationIS3_Lb0EPKtPtPS5_SB_mNS0_19identity_decomposerENS1_16block_id_wrapperIjLb1EEEEE10hipError_tT1_PNSt15iterator_traitsISG_E10value_typeET2_T3_PNSH_ISM_E10value_typeET4_T5_PSR_SS_PNS1_23onesweep_lookback_stateEbbT6_jjT7_P12ihipStream_tbENKUlT_T0_SG_SL_E_clIS9_SA_SB_SB_EEDaSZ_S10_SG_SL_EUlSZ_E_NS1_11comp_targetILNS1_3genE9ELNS1_11target_archE1100ELNS1_3gpuE3ELNS1_3repE0EEENS1_47radix_sort_onesweep_sort_config_static_selectorELNS0_4arch9wavefront6targetE0EEEvSG_
; %bb.0:
	.section	.rodata,"a",@progbits
	.p2align	6, 0x0
	.amdhsa_kernel _ZN7rocprim17ROCPRIM_400000_NS6detail17trampoline_kernelINS0_14default_configENS1_35radix_sort_onesweep_config_selectorItNS0_10empty_typeEEEZZNS1_29radix_sort_onesweep_iterationIS3_Lb0EPKtPtPS5_SB_mNS0_19identity_decomposerENS1_16block_id_wrapperIjLb1EEEEE10hipError_tT1_PNSt15iterator_traitsISG_E10value_typeET2_T3_PNSH_ISM_E10value_typeET4_T5_PSR_SS_PNS1_23onesweep_lookback_stateEbbT6_jjT7_P12ihipStream_tbENKUlT_T0_SG_SL_E_clIS9_SA_SB_SB_EEDaSZ_S10_SG_SL_EUlSZ_E_NS1_11comp_targetILNS1_3genE9ELNS1_11target_archE1100ELNS1_3gpuE3ELNS1_3repE0EEENS1_47radix_sort_onesweep_sort_config_static_selectorELNS0_4arch9wavefront6targetE0EEEvSG_
		.amdhsa_group_segment_fixed_size 0
		.amdhsa_private_segment_fixed_size 0
		.amdhsa_kernarg_size 88
		.amdhsa_user_sgpr_count 2
		.amdhsa_user_sgpr_dispatch_ptr 0
		.amdhsa_user_sgpr_queue_ptr 0
		.amdhsa_user_sgpr_kernarg_segment_ptr 1
		.amdhsa_user_sgpr_dispatch_id 0
		.amdhsa_user_sgpr_kernarg_preload_length 0
		.amdhsa_user_sgpr_kernarg_preload_offset 0
		.amdhsa_user_sgpr_private_segment_size 0
		.amdhsa_wavefront_size32 1
		.amdhsa_uses_dynamic_stack 0
		.amdhsa_enable_private_segment 0
		.amdhsa_system_sgpr_workgroup_id_x 1
		.amdhsa_system_sgpr_workgroup_id_y 0
		.amdhsa_system_sgpr_workgroup_id_z 0
		.amdhsa_system_sgpr_workgroup_info 0
		.amdhsa_system_vgpr_workitem_id 0
		.amdhsa_next_free_vgpr 1
		.amdhsa_next_free_sgpr 1
		.amdhsa_named_barrier_count 0
		.amdhsa_reserve_vcc 0
		.amdhsa_float_round_mode_32 0
		.amdhsa_float_round_mode_16_64 0
		.amdhsa_float_denorm_mode_32 3
		.amdhsa_float_denorm_mode_16_64 3
		.amdhsa_fp16_overflow 0
		.amdhsa_memory_ordered 1
		.amdhsa_forward_progress 1
		.amdhsa_inst_pref_size 0
		.amdhsa_round_robin_scheduling 0
		.amdhsa_exception_fp_ieee_invalid_op 0
		.amdhsa_exception_fp_denorm_src 0
		.amdhsa_exception_fp_ieee_div_zero 0
		.amdhsa_exception_fp_ieee_overflow 0
		.amdhsa_exception_fp_ieee_underflow 0
		.amdhsa_exception_fp_ieee_inexact 0
		.amdhsa_exception_int_div_zero 0
	.end_amdhsa_kernel
	.section	.text._ZN7rocprim17ROCPRIM_400000_NS6detail17trampoline_kernelINS0_14default_configENS1_35radix_sort_onesweep_config_selectorItNS0_10empty_typeEEEZZNS1_29radix_sort_onesweep_iterationIS3_Lb0EPKtPtPS5_SB_mNS0_19identity_decomposerENS1_16block_id_wrapperIjLb1EEEEE10hipError_tT1_PNSt15iterator_traitsISG_E10value_typeET2_T3_PNSH_ISM_E10value_typeET4_T5_PSR_SS_PNS1_23onesweep_lookback_stateEbbT6_jjT7_P12ihipStream_tbENKUlT_T0_SG_SL_E_clIS9_SA_SB_SB_EEDaSZ_S10_SG_SL_EUlSZ_E_NS1_11comp_targetILNS1_3genE9ELNS1_11target_archE1100ELNS1_3gpuE3ELNS1_3repE0EEENS1_47radix_sort_onesweep_sort_config_static_selectorELNS0_4arch9wavefront6targetE0EEEvSG_,"axG",@progbits,_ZN7rocprim17ROCPRIM_400000_NS6detail17trampoline_kernelINS0_14default_configENS1_35radix_sort_onesweep_config_selectorItNS0_10empty_typeEEEZZNS1_29radix_sort_onesweep_iterationIS3_Lb0EPKtPtPS5_SB_mNS0_19identity_decomposerENS1_16block_id_wrapperIjLb1EEEEE10hipError_tT1_PNSt15iterator_traitsISG_E10value_typeET2_T3_PNSH_ISM_E10value_typeET4_T5_PSR_SS_PNS1_23onesweep_lookback_stateEbbT6_jjT7_P12ihipStream_tbENKUlT_T0_SG_SL_E_clIS9_SA_SB_SB_EEDaSZ_S10_SG_SL_EUlSZ_E_NS1_11comp_targetILNS1_3genE9ELNS1_11target_archE1100ELNS1_3gpuE3ELNS1_3repE0EEENS1_47radix_sort_onesweep_sort_config_static_selectorELNS0_4arch9wavefront6targetE0EEEvSG_,comdat
.Lfunc_end2504:
	.size	_ZN7rocprim17ROCPRIM_400000_NS6detail17trampoline_kernelINS0_14default_configENS1_35radix_sort_onesweep_config_selectorItNS0_10empty_typeEEEZZNS1_29radix_sort_onesweep_iterationIS3_Lb0EPKtPtPS5_SB_mNS0_19identity_decomposerENS1_16block_id_wrapperIjLb1EEEEE10hipError_tT1_PNSt15iterator_traitsISG_E10value_typeET2_T3_PNSH_ISM_E10value_typeET4_T5_PSR_SS_PNS1_23onesweep_lookback_stateEbbT6_jjT7_P12ihipStream_tbENKUlT_T0_SG_SL_E_clIS9_SA_SB_SB_EEDaSZ_S10_SG_SL_EUlSZ_E_NS1_11comp_targetILNS1_3genE9ELNS1_11target_archE1100ELNS1_3gpuE3ELNS1_3repE0EEENS1_47radix_sort_onesweep_sort_config_static_selectorELNS0_4arch9wavefront6targetE0EEEvSG_, .Lfunc_end2504-_ZN7rocprim17ROCPRIM_400000_NS6detail17trampoline_kernelINS0_14default_configENS1_35radix_sort_onesweep_config_selectorItNS0_10empty_typeEEEZZNS1_29radix_sort_onesweep_iterationIS3_Lb0EPKtPtPS5_SB_mNS0_19identity_decomposerENS1_16block_id_wrapperIjLb1EEEEE10hipError_tT1_PNSt15iterator_traitsISG_E10value_typeET2_T3_PNSH_ISM_E10value_typeET4_T5_PSR_SS_PNS1_23onesweep_lookback_stateEbbT6_jjT7_P12ihipStream_tbENKUlT_T0_SG_SL_E_clIS9_SA_SB_SB_EEDaSZ_S10_SG_SL_EUlSZ_E_NS1_11comp_targetILNS1_3genE9ELNS1_11target_archE1100ELNS1_3gpuE3ELNS1_3repE0EEENS1_47radix_sort_onesweep_sort_config_static_selectorELNS0_4arch9wavefront6targetE0EEEvSG_
                                        ; -- End function
	.set _ZN7rocprim17ROCPRIM_400000_NS6detail17trampoline_kernelINS0_14default_configENS1_35radix_sort_onesweep_config_selectorItNS0_10empty_typeEEEZZNS1_29radix_sort_onesweep_iterationIS3_Lb0EPKtPtPS5_SB_mNS0_19identity_decomposerENS1_16block_id_wrapperIjLb1EEEEE10hipError_tT1_PNSt15iterator_traitsISG_E10value_typeET2_T3_PNSH_ISM_E10value_typeET4_T5_PSR_SS_PNS1_23onesweep_lookback_stateEbbT6_jjT7_P12ihipStream_tbENKUlT_T0_SG_SL_E_clIS9_SA_SB_SB_EEDaSZ_S10_SG_SL_EUlSZ_E_NS1_11comp_targetILNS1_3genE9ELNS1_11target_archE1100ELNS1_3gpuE3ELNS1_3repE0EEENS1_47radix_sort_onesweep_sort_config_static_selectorELNS0_4arch9wavefront6targetE0EEEvSG_.num_vgpr, 0
	.set _ZN7rocprim17ROCPRIM_400000_NS6detail17trampoline_kernelINS0_14default_configENS1_35radix_sort_onesweep_config_selectorItNS0_10empty_typeEEEZZNS1_29radix_sort_onesweep_iterationIS3_Lb0EPKtPtPS5_SB_mNS0_19identity_decomposerENS1_16block_id_wrapperIjLb1EEEEE10hipError_tT1_PNSt15iterator_traitsISG_E10value_typeET2_T3_PNSH_ISM_E10value_typeET4_T5_PSR_SS_PNS1_23onesweep_lookback_stateEbbT6_jjT7_P12ihipStream_tbENKUlT_T0_SG_SL_E_clIS9_SA_SB_SB_EEDaSZ_S10_SG_SL_EUlSZ_E_NS1_11comp_targetILNS1_3genE9ELNS1_11target_archE1100ELNS1_3gpuE3ELNS1_3repE0EEENS1_47radix_sort_onesweep_sort_config_static_selectorELNS0_4arch9wavefront6targetE0EEEvSG_.num_agpr, 0
	.set _ZN7rocprim17ROCPRIM_400000_NS6detail17trampoline_kernelINS0_14default_configENS1_35radix_sort_onesweep_config_selectorItNS0_10empty_typeEEEZZNS1_29radix_sort_onesweep_iterationIS3_Lb0EPKtPtPS5_SB_mNS0_19identity_decomposerENS1_16block_id_wrapperIjLb1EEEEE10hipError_tT1_PNSt15iterator_traitsISG_E10value_typeET2_T3_PNSH_ISM_E10value_typeET4_T5_PSR_SS_PNS1_23onesweep_lookback_stateEbbT6_jjT7_P12ihipStream_tbENKUlT_T0_SG_SL_E_clIS9_SA_SB_SB_EEDaSZ_S10_SG_SL_EUlSZ_E_NS1_11comp_targetILNS1_3genE9ELNS1_11target_archE1100ELNS1_3gpuE3ELNS1_3repE0EEENS1_47radix_sort_onesweep_sort_config_static_selectorELNS0_4arch9wavefront6targetE0EEEvSG_.numbered_sgpr, 0
	.set _ZN7rocprim17ROCPRIM_400000_NS6detail17trampoline_kernelINS0_14default_configENS1_35radix_sort_onesweep_config_selectorItNS0_10empty_typeEEEZZNS1_29radix_sort_onesweep_iterationIS3_Lb0EPKtPtPS5_SB_mNS0_19identity_decomposerENS1_16block_id_wrapperIjLb1EEEEE10hipError_tT1_PNSt15iterator_traitsISG_E10value_typeET2_T3_PNSH_ISM_E10value_typeET4_T5_PSR_SS_PNS1_23onesweep_lookback_stateEbbT6_jjT7_P12ihipStream_tbENKUlT_T0_SG_SL_E_clIS9_SA_SB_SB_EEDaSZ_S10_SG_SL_EUlSZ_E_NS1_11comp_targetILNS1_3genE9ELNS1_11target_archE1100ELNS1_3gpuE3ELNS1_3repE0EEENS1_47radix_sort_onesweep_sort_config_static_selectorELNS0_4arch9wavefront6targetE0EEEvSG_.num_named_barrier, 0
	.set _ZN7rocprim17ROCPRIM_400000_NS6detail17trampoline_kernelINS0_14default_configENS1_35radix_sort_onesweep_config_selectorItNS0_10empty_typeEEEZZNS1_29radix_sort_onesweep_iterationIS3_Lb0EPKtPtPS5_SB_mNS0_19identity_decomposerENS1_16block_id_wrapperIjLb1EEEEE10hipError_tT1_PNSt15iterator_traitsISG_E10value_typeET2_T3_PNSH_ISM_E10value_typeET4_T5_PSR_SS_PNS1_23onesweep_lookback_stateEbbT6_jjT7_P12ihipStream_tbENKUlT_T0_SG_SL_E_clIS9_SA_SB_SB_EEDaSZ_S10_SG_SL_EUlSZ_E_NS1_11comp_targetILNS1_3genE9ELNS1_11target_archE1100ELNS1_3gpuE3ELNS1_3repE0EEENS1_47radix_sort_onesweep_sort_config_static_selectorELNS0_4arch9wavefront6targetE0EEEvSG_.private_seg_size, 0
	.set _ZN7rocprim17ROCPRIM_400000_NS6detail17trampoline_kernelINS0_14default_configENS1_35radix_sort_onesweep_config_selectorItNS0_10empty_typeEEEZZNS1_29radix_sort_onesweep_iterationIS3_Lb0EPKtPtPS5_SB_mNS0_19identity_decomposerENS1_16block_id_wrapperIjLb1EEEEE10hipError_tT1_PNSt15iterator_traitsISG_E10value_typeET2_T3_PNSH_ISM_E10value_typeET4_T5_PSR_SS_PNS1_23onesweep_lookback_stateEbbT6_jjT7_P12ihipStream_tbENKUlT_T0_SG_SL_E_clIS9_SA_SB_SB_EEDaSZ_S10_SG_SL_EUlSZ_E_NS1_11comp_targetILNS1_3genE9ELNS1_11target_archE1100ELNS1_3gpuE3ELNS1_3repE0EEENS1_47radix_sort_onesweep_sort_config_static_selectorELNS0_4arch9wavefront6targetE0EEEvSG_.uses_vcc, 0
	.set _ZN7rocprim17ROCPRIM_400000_NS6detail17trampoline_kernelINS0_14default_configENS1_35radix_sort_onesweep_config_selectorItNS0_10empty_typeEEEZZNS1_29radix_sort_onesweep_iterationIS3_Lb0EPKtPtPS5_SB_mNS0_19identity_decomposerENS1_16block_id_wrapperIjLb1EEEEE10hipError_tT1_PNSt15iterator_traitsISG_E10value_typeET2_T3_PNSH_ISM_E10value_typeET4_T5_PSR_SS_PNS1_23onesweep_lookback_stateEbbT6_jjT7_P12ihipStream_tbENKUlT_T0_SG_SL_E_clIS9_SA_SB_SB_EEDaSZ_S10_SG_SL_EUlSZ_E_NS1_11comp_targetILNS1_3genE9ELNS1_11target_archE1100ELNS1_3gpuE3ELNS1_3repE0EEENS1_47radix_sort_onesweep_sort_config_static_selectorELNS0_4arch9wavefront6targetE0EEEvSG_.uses_flat_scratch, 0
	.set _ZN7rocprim17ROCPRIM_400000_NS6detail17trampoline_kernelINS0_14default_configENS1_35radix_sort_onesweep_config_selectorItNS0_10empty_typeEEEZZNS1_29radix_sort_onesweep_iterationIS3_Lb0EPKtPtPS5_SB_mNS0_19identity_decomposerENS1_16block_id_wrapperIjLb1EEEEE10hipError_tT1_PNSt15iterator_traitsISG_E10value_typeET2_T3_PNSH_ISM_E10value_typeET4_T5_PSR_SS_PNS1_23onesweep_lookback_stateEbbT6_jjT7_P12ihipStream_tbENKUlT_T0_SG_SL_E_clIS9_SA_SB_SB_EEDaSZ_S10_SG_SL_EUlSZ_E_NS1_11comp_targetILNS1_3genE9ELNS1_11target_archE1100ELNS1_3gpuE3ELNS1_3repE0EEENS1_47radix_sort_onesweep_sort_config_static_selectorELNS0_4arch9wavefront6targetE0EEEvSG_.has_dyn_sized_stack, 0
	.set _ZN7rocprim17ROCPRIM_400000_NS6detail17trampoline_kernelINS0_14default_configENS1_35radix_sort_onesweep_config_selectorItNS0_10empty_typeEEEZZNS1_29radix_sort_onesweep_iterationIS3_Lb0EPKtPtPS5_SB_mNS0_19identity_decomposerENS1_16block_id_wrapperIjLb1EEEEE10hipError_tT1_PNSt15iterator_traitsISG_E10value_typeET2_T3_PNSH_ISM_E10value_typeET4_T5_PSR_SS_PNS1_23onesweep_lookback_stateEbbT6_jjT7_P12ihipStream_tbENKUlT_T0_SG_SL_E_clIS9_SA_SB_SB_EEDaSZ_S10_SG_SL_EUlSZ_E_NS1_11comp_targetILNS1_3genE9ELNS1_11target_archE1100ELNS1_3gpuE3ELNS1_3repE0EEENS1_47radix_sort_onesweep_sort_config_static_selectorELNS0_4arch9wavefront6targetE0EEEvSG_.has_recursion, 0
	.set _ZN7rocprim17ROCPRIM_400000_NS6detail17trampoline_kernelINS0_14default_configENS1_35radix_sort_onesweep_config_selectorItNS0_10empty_typeEEEZZNS1_29radix_sort_onesweep_iterationIS3_Lb0EPKtPtPS5_SB_mNS0_19identity_decomposerENS1_16block_id_wrapperIjLb1EEEEE10hipError_tT1_PNSt15iterator_traitsISG_E10value_typeET2_T3_PNSH_ISM_E10value_typeET4_T5_PSR_SS_PNS1_23onesweep_lookback_stateEbbT6_jjT7_P12ihipStream_tbENKUlT_T0_SG_SL_E_clIS9_SA_SB_SB_EEDaSZ_S10_SG_SL_EUlSZ_E_NS1_11comp_targetILNS1_3genE9ELNS1_11target_archE1100ELNS1_3gpuE3ELNS1_3repE0EEENS1_47radix_sort_onesweep_sort_config_static_selectorELNS0_4arch9wavefront6targetE0EEEvSG_.has_indirect_call, 0
	.section	.AMDGPU.csdata,"",@progbits
; Kernel info:
; codeLenInByte = 0
; TotalNumSgprs: 0
; NumVgprs: 0
; ScratchSize: 0
; MemoryBound: 0
; FloatMode: 240
; IeeeMode: 1
; LDSByteSize: 0 bytes/workgroup (compile time only)
; SGPRBlocks: 0
; VGPRBlocks: 0
; NumSGPRsForWavesPerEU: 1
; NumVGPRsForWavesPerEU: 1
; NamedBarCnt: 0
; Occupancy: 16
; WaveLimiterHint : 0
; COMPUTE_PGM_RSRC2:SCRATCH_EN: 0
; COMPUTE_PGM_RSRC2:USER_SGPR: 2
; COMPUTE_PGM_RSRC2:TRAP_HANDLER: 0
; COMPUTE_PGM_RSRC2:TGID_X_EN: 1
; COMPUTE_PGM_RSRC2:TGID_Y_EN: 0
; COMPUTE_PGM_RSRC2:TGID_Z_EN: 0
; COMPUTE_PGM_RSRC2:TIDIG_COMP_CNT: 0
	.section	.text._ZN7rocprim17ROCPRIM_400000_NS6detail17trampoline_kernelINS0_14default_configENS1_35radix_sort_onesweep_config_selectorItNS0_10empty_typeEEEZZNS1_29radix_sort_onesweep_iterationIS3_Lb0EPKtPtPS5_SB_mNS0_19identity_decomposerENS1_16block_id_wrapperIjLb1EEEEE10hipError_tT1_PNSt15iterator_traitsISG_E10value_typeET2_T3_PNSH_ISM_E10value_typeET4_T5_PSR_SS_PNS1_23onesweep_lookback_stateEbbT6_jjT7_P12ihipStream_tbENKUlT_T0_SG_SL_E_clIS9_SA_SB_SB_EEDaSZ_S10_SG_SL_EUlSZ_E_NS1_11comp_targetILNS1_3genE8ELNS1_11target_archE1030ELNS1_3gpuE2ELNS1_3repE0EEENS1_47radix_sort_onesweep_sort_config_static_selectorELNS0_4arch9wavefront6targetE0EEEvSG_,"axG",@progbits,_ZN7rocprim17ROCPRIM_400000_NS6detail17trampoline_kernelINS0_14default_configENS1_35radix_sort_onesweep_config_selectorItNS0_10empty_typeEEEZZNS1_29radix_sort_onesweep_iterationIS3_Lb0EPKtPtPS5_SB_mNS0_19identity_decomposerENS1_16block_id_wrapperIjLb1EEEEE10hipError_tT1_PNSt15iterator_traitsISG_E10value_typeET2_T3_PNSH_ISM_E10value_typeET4_T5_PSR_SS_PNS1_23onesweep_lookback_stateEbbT6_jjT7_P12ihipStream_tbENKUlT_T0_SG_SL_E_clIS9_SA_SB_SB_EEDaSZ_S10_SG_SL_EUlSZ_E_NS1_11comp_targetILNS1_3genE8ELNS1_11target_archE1030ELNS1_3gpuE2ELNS1_3repE0EEENS1_47radix_sort_onesweep_sort_config_static_selectorELNS0_4arch9wavefront6targetE0EEEvSG_,comdat
	.protected	_ZN7rocprim17ROCPRIM_400000_NS6detail17trampoline_kernelINS0_14default_configENS1_35radix_sort_onesweep_config_selectorItNS0_10empty_typeEEEZZNS1_29radix_sort_onesweep_iterationIS3_Lb0EPKtPtPS5_SB_mNS0_19identity_decomposerENS1_16block_id_wrapperIjLb1EEEEE10hipError_tT1_PNSt15iterator_traitsISG_E10value_typeET2_T3_PNSH_ISM_E10value_typeET4_T5_PSR_SS_PNS1_23onesweep_lookback_stateEbbT6_jjT7_P12ihipStream_tbENKUlT_T0_SG_SL_E_clIS9_SA_SB_SB_EEDaSZ_S10_SG_SL_EUlSZ_E_NS1_11comp_targetILNS1_3genE8ELNS1_11target_archE1030ELNS1_3gpuE2ELNS1_3repE0EEENS1_47radix_sort_onesweep_sort_config_static_selectorELNS0_4arch9wavefront6targetE0EEEvSG_ ; -- Begin function _ZN7rocprim17ROCPRIM_400000_NS6detail17trampoline_kernelINS0_14default_configENS1_35radix_sort_onesweep_config_selectorItNS0_10empty_typeEEEZZNS1_29radix_sort_onesweep_iterationIS3_Lb0EPKtPtPS5_SB_mNS0_19identity_decomposerENS1_16block_id_wrapperIjLb1EEEEE10hipError_tT1_PNSt15iterator_traitsISG_E10value_typeET2_T3_PNSH_ISM_E10value_typeET4_T5_PSR_SS_PNS1_23onesweep_lookback_stateEbbT6_jjT7_P12ihipStream_tbENKUlT_T0_SG_SL_E_clIS9_SA_SB_SB_EEDaSZ_S10_SG_SL_EUlSZ_E_NS1_11comp_targetILNS1_3genE8ELNS1_11target_archE1030ELNS1_3gpuE2ELNS1_3repE0EEENS1_47radix_sort_onesweep_sort_config_static_selectorELNS0_4arch9wavefront6targetE0EEEvSG_
	.globl	_ZN7rocprim17ROCPRIM_400000_NS6detail17trampoline_kernelINS0_14default_configENS1_35radix_sort_onesweep_config_selectorItNS0_10empty_typeEEEZZNS1_29radix_sort_onesweep_iterationIS3_Lb0EPKtPtPS5_SB_mNS0_19identity_decomposerENS1_16block_id_wrapperIjLb1EEEEE10hipError_tT1_PNSt15iterator_traitsISG_E10value_typeET2_T3_PNSH_ISM_E10value_typeET4_T5_PSR_SS_PNS1_23onesweep_lookback_stateEbbT6_jjT7_P12ihipStream_tbENKUlT_T0_SG_SL_E_clIS9_SA_SB_SB_EEDaSZ_S10_SG_SL_EUlSZ_E_NS1_11comp_targetILNS1_3genE8ELNS1_11target_archE1030ELNS1_3gpuE2ELNS1_3repE0EEENS1_47radix_sort_onesweep_sort_config_static_selectorELNS0_4arch9wavefront6targetE0EEEvSG_
	.p2align	8
	.type	_ZN7rocprim17ROCPRIM_400000_NS6detail17trampoline_kernelINS0_14default_configENS1_35radix_sort_onesweep_config_selectorItNS0_10empty_typeEEEZZNS1_29radix_sort_onesweep_iterationIS3_Lb0EPKtPtPS5_SB_mNS0_19identity_decomposerENS1_16block_id_wrapperIjLb1EEEEE10hipError_tT1_PNSt15iterator_traitsISG_E10value_typeET2_T3_PNSH_ISM_E10value_typeET4_T5_PSR_SS_PNS1_23onesweep_lookback_stateEbbT6_jjT7_P12ihipStream_tbENKUlT_T0_SG_SL_E_clIS9_SA_SB_SB_EEDaSZ_S10_SG_SL_EUlSZ_E_NS1_11comp_targetILNS1_3genE8ELNS1_11target_archE1030ELNS1_3gpuE2ELNS1_3repE0EEENS1_47radix_sort_onesweep_sort_config_static_selectorELNS0_4arch9wavefront6targetE0EEEvSG_,@function
_ZN7rocprim17ROCPRIM_400000_NS6detail17trampoline_kernelINS0_14default_configENS1_35radix_sort_onesweep_config_selectorItNS0_10empty_typeEEEZZNS1_29radix_sort_onesweep_iterationIS3_Lb0EPKtPtPS5_SB_mNS0_19identity_decomposerENS1_16block_id_wrapperIjLb1EEEEE10hipError_tT1_PNSt15iterator_traitsISG_E10value_typeET2_T3_PNSH_ISM_E10value_typeET4_T5_PSR_SS_PNS1_23onesweep_lookback_stateEbbT6_jjT7_P12ihipStream_tbENKUlT_T0_SG_SL_E_clIS9_SA_SB_SB_EEDaSZ_S10_SG_SL_EUlSZ_E_NS1_11comp_targetILNS1_3genE8ELNS1_11target_archE1030ELNS1_3gpuE2ELNS1_3repE0EEENS1_47radix_sort_onesweep_sort_config_static_selectorELNS0_4arch9wavefront6targetE0EEEvSG_: ; @_ZN7rocprim17ROCPRIM_400000_NS6detail17trampoline_kernelINS0_14default_configENS1_35radix_sort_onesweep_config_selectorItNS0_10empty_typeEEEZZNS1_29radix_sort_onesweep_iterationIS3_Lb0EPKtPtPS5_SB_mNS0_19identity_decomposerENS1_16block_id_wrapperIjLb1EEEEE10hipError_tT1_PNSt15iterator_traitsISG_E10value_typeET2_T3_PNSH_ISM_E10value_typeET4_T5_PSR_SS_PNS1_23onesweep_lookback_stateEbbT6_jjT7_P12ihipStream_tbENKUlT_T0_SG_SL_E_clIS9_SA_SB_SB_EEDaSZ_S10_SG_SL_EUlSZ_E_NS1_11comp_targetILNS1_3genE8ELNS1_11target_archE1030ELNS1_3gpuE2ELNS1_3repE0EEENS1_47radix_sort_onesweep_sort_config_static_selectorELNS0_4arch9wavefront6targetE0EEEvSG_
; %bb.0:
	.section	.rodata,"a",@progbits
	.p2align	6, 0x0
	.amdhsa_kernel _ZN7rocprim17ROCPRIM_400000_NS6detail17trampoline_kernelINS0_14default_configENS1_35radix_sort_onesweep_config_selectorItNS0_10empty_typeEEEZZNS1_29radix_sort_onesweep_iterationIS3_Lb0EPKtPtPS5_SB_mNS0_19identity_decomposerENS1_16block_id_wrapperIjLb1EEEEE10hipError_tT1_PNSt15iterator_traitsISG_E10value_typeET2_T3_PNSH_ISM_E10value_typeET4_T5_PSR_SS_PNS1_23onesweep_lookback_stateEbbT6_jjT7_P12ihipStream_tbENKUlT_T0_SG_SL_E_clIS9_SA_SB_SB_EEDaSZ_S10_SG_SL_EUlSZ_E_NS1_11comp_targetILNS1_3genE8ELNS1_11target_archE1030ELNS1_3gpuE2ELNS1_3repE0EEENS1_47radix_sort_onesweep_sort_config_static_selectorELNS0_4arch9wavefront6targetE0EEEvSG_
		.amdhsa_group_segment_fixed_size 0
		.amdhsa_private_segment_fixed_size 0
		.amdhsa_kernarg_size 88
		.amdhsa_user_sgpr_count 2
		.amdhsa_user_sgpr_dispatch_ptr 0
		.amdhsa_user_sgpr_queue_ptr 0
		.amdhsa_user_sgpr_kernarg_segment_ptr 1
		.amdhsa_user_sgpr_dispatch_id 0
		.amdhsa_user_sgpr_kernarg_preload_length 0
		.amdhsa_user_sgpr_kernarg_preload_offset 0
		.amdhsa_user_sgpr_private_segment_size 0
		.amdhsa_wavefront_size32 1
		.amdhsa_uses_dynamic_stack 0
		.amdhsa_enable_private_segment 0
		.amdhsa_system_sgpr_workgroup_id_x 1
		.amdhsa_system_sgpr_workgroup_id_y 0
		.amdhsa_system_sgpr_workgroup_id_z 0
		.amdhsa_system_sgpr_workgroup_info 0
		.amdhsa_system_vgpr_workitem_id 0
		.amdhsa_next_free_vgpr 1
		.amdhsa_next_free_sgpr 1
		.amdhsa_named_barrier_count 0
		.amdhsa_reserve_vcc 0
		.amdhsa_float_round_mode_32 0
		.amdhsa_float_round_mode_16_64 0
		.amdhsa_float_denorm_mode_32 3
		.amdhsa_float_denorm_mode_16_64 3
		.amdhsa_fp16_overflow 0
		.amdhsa_memory_ordered 1
		.amdhsa_forward_progress 1
		.amdhsa_inst_pref_size 0
		.amdhsa_round_robin_scheduling 0
		.amdhsa_exception_fp_ieee_invalid_op 0
		.amdhsa_exception_fp_denorm_src 0
		.amdhsa_exception_fp_ieee_div_zero 0
		.amdhsa_exception_fp_ieee_overflow 0
		.amdhsa_exception_fp_ieee_underflow 0
		.amdhsa_exception_fp_ieee_inexact 0
		.amdhsa_exception_int_div_zero 0
	.end_amdhsa_kernel
	.section	.text._ZN7rocprim17ROCPRIM_400000_NS6detail17trampoline_kernelINS0_14default_configENS1_35radix_sort_onesweep_config_selectorItNS0_10empty_typeEEEZZNS1_29radix_sort_onesweep_iterationIS3_Lb0EPKtPtPS5_SB_mNS0_19identity_decomposerENS1_16block_id_wrapperIjLb1EEEEE10hipError_tT1_PNSt15iterator_traitsISG_E10value_typeET2_T3_PNSH_ISM_E10value_typeET4_T5_PSR_SS_PNS1_23onesweep_lookback_stateEbbT6_jjT7_P12ihipStream_tbENKUlT_T0_SG_SL_E_clIS9_SA_SB_SB_EEDaSZ_S10_SG_SL_EUlSZ_E_NS1_11comp_targetILNS1_3genE8ELNS1_11target_archE1030ELNS1_3gpuE2ELNS1_3repE0EEENS1_47radix_sort_onesweep_sort_config_static_selectorELNS0_4arch9wavefront6targetE0EEEvSG_,"axG",@progbits,_ZN7rocprim17ROCPRIM_400000_NS6detail17trampoline_kernelINS0_14default_configENS1_35radix_sort_onesweep_config_selectorItNS0_10empty_typeEEEZZNS1_29radix_sort_onesweep_iterationIS3_Lb0EPKtPtPS5_SB_mNS0_19identity_decomposerENS1_16block_id_wrapperIjLb1EEEEE10hipError_tT1_PNSt15iterator_traitsISG_E10value_typeET2_T3_PNSH_ISM_E10value_typeET4_T5_PSR_SS_PNS1_23onesweep_lookback_stateEbbT6_jjT7_P12ihipStream_tbENKUlT_T0_SG_SL_E_clIS9_SA_SB_SB_EEDaSZ_S10_SG_SL_EUlSZ_E_NS1_11comp_targetILNS1_3genE8ELNS1_11target_archE1030ELNS1_3gpuE2ELNS1_3repE0EEENS1_47radix_sort_onesweep_sort_config_static_selectorELNS0_4arch9wavefront6targetE0EEEvSG_,comdat
.Lfunc_end2505:
	.size	_ZN7rocprim17ROCPRIM_400000_NS6detail17trampoline_kernelINS0_14default_configENS1_35radix_sort_onesweep_config_selectorItNS0_10empty_typeEEEZZNS1_29radix_sort_onesweep_iterationIS3_Lb0EPKtPtPS5_SB_mNS0_19identity_decomposerENS1_16block_id_wrapperIjLb1EEEEE10hipError_tT1_PNSt15iterator_traitsISG_E10value_typeET2_T3_PNSH_ISM_E10value_typeET4_T5_PSR_SS_PNS1_23onesweep_lookback_stateEbbT6_jjT7_P12ihipStream_tbENKUlT_T0_SG_SL_E_clIS9_SA_SB_SB_EEDaSZ_S10_SG_SL_EUlSZ_E_NS1_11comp_targetILNS1_3genE8ELNS1_11target_archE1030ELNS1_3gpuE2ELNS1_3repE0EEENS1_47radix_sort_onesweep_sort_config_static_selectorELNS0_4arch9wavefront6targetE0EEEvSG_, .Lfunc_end2505-_ZN7rocprim17ROCPRIM_400000_NS6detail17trampoline_kernelINS0_14default_configENS1_35radix_sort_onesweep_config_selectorItNS0_10empty_typeEEEZZNS1_29radix_sort_onesweep_iterationIS3_Lb0EPKtPtPS5_SB_mNS0_19identity_decomposerENS1_16block_id_wrapperIjLb1EEEEE10hipError_tT1_PNSt15iterator_traitsISG_E10value_typeET2_T3_PNSH_ISM_E10value_typeET4_T5_PSR_SS_PNS1_23onesweep_lookback_stateEbbT6_jjT7_P12ihipStream_tbENKUlT_T0_SG_SL_E_clIS9_SA_SB_SB_EEDaSZ_S10_SG_SL_EUlSZ_E_NS1_11comp_targetILNS1_3genE8ELNS1_11target_archE1030ELNS1_3gpuE2ELNS1_3repE0EEENS1_47radix_sort_onesweep_sort_config_static_selectorELNS0_4arch9wavefront6targetE0EEEvSG_
                                        ; -- End function
	.set _ZN7rocprim17ROCPRIM_400000_NS6detail17trampoline_kernelINS0_14default_configENS1_35radix_sort_onesweep_config_selectorItNS0_10empty_typeEEEZZNS1_29radix_sort_onesweep_iterationIS3_Lb0EPKtPtPS5_SB_mNS0_19identity_decomposerENS1_16block_id_wrapperIjLb1EEEEE10hipError_tT1_PNSt15iterator_traitsISG_E10value_typeET2_T3_PNSH_ISM_E10value_typeET4_T5_PSR_SS_PNS1_23onesweep_lookback_stateEbbT6_jjT7_P12ihipStream_tbENKUlT_T0_SG_SL_E_clIS9_SA_SB_SB_EEDaSZ_S10_SG_SL_EUlSZ_E_NS1_11comp_targetILNS1_3genE8ELNS1_11target_archE1030ELNS1_3gpuE2ELNS1_3repE0EEENS1_47radix_sort_onesweep_sort_config_static_selectorELNS0_4arch9wavefront6targetE0EEEvSG_.num_vgpr, 0
	.set _ZN7rocprim17ROCPRIM_400000_NS6detail17trampoline_kernelINS0_14default_configENS1_35radix_sort_onesweep_config_selectorItNS0_10empty_typeEEEZZNS1_29radix_sort_onesweep_iterationIS3_Lb0EPKtPtPS5_SB_mNS0_19identity_decomposerENS1_16block_id_wrapperIjLb1EEEEE10hipError_tT1_PNSt15iterator_traitsISG_E10value_typeET2_T3_PNSH_ISM_E10value_typeET4_T5_PSR_SS_PNS1_23onesweep_lookback_stateEbbT6_jjT7_P12ihipStream_tbENKUlT_T0_SG_SL_E_clIS9_SA_SB_SB_EEDaSZ_S10_SG_SL_EUlSZ_E_NS1_11comp_targetILNS1_3genE8ELNS1_11target_archE1030ELNS1_3gpuE2ELNS1_3repE0EEENS1_47radix_sort_onesweep_sort_config_static_selectorELNS0_4arch9wavefront6targetE0EEEvSG_.num_agpr, 0
	.set _ZN7rocprim17ROCPRIM_400000_NS6detail17trampoline_kernelINS0_14default_configENS1_35radix_sort_onesweep_config_selectorItNS0_10empty_typeEEEZZNS1_29radix_sort_onesweep_iterationIS3_Lb0EPKtPtPS5_SB_mNS0_19identity_decomposerENS1_16block_id_wrapperIjLb1EEEEE10hipError_tT1_PNSt15iterator_traitsISG_E10value_typeET2_T3_PNSH_ISM_E10value_typeET4_T5_PSR_SS_PNS1_23onesweep_lookback_stateEbbT6_jjT7_P12ihipStream_tbENKUlT_T0_SG_SL_E_clIS9_SA_SB_SB_EEDaSZ_S10_SG_SL_EUlSZ_E_NS1_11comp_targetILNS1_3genE8ELNS1_11target_archE1030ELNS1_3gpuE2ELNS1_3repE0EEENS1_47radix_sort_onesweep_sort_config_static_selectorELNS0_4arch9wavefront6targetE0EEEvSG_.numbered_sgpr, 0
	.set _ZN7rocprim17ROCPRIM_400000_NS6detail17trampoline_kernelINS0_14default_configENS1_35radix_sort_onesweep_config_selectorItNS0_10empty_typeEEEZZNS1_29radix_sort_onesweep_iterationIS3_Lb0EPKtPtPS5_SB_mNS0_19identity_decomposerENS1_16block_id_wrapperIjLb1EEEEE10hipError_tT1_PNSt15iterator_traitsISG_E10value_typeET2_T3_PNSH_ISM_E10value_typeET4_T5_PSR_SS_PNS1_23onesweep_lookback_stateEbbT6_jjT7_P12ihipStream_tbENKUlT_T0_SG_SL_E_clIS9_SA_SB_SB_EEDaSZ_S10_SG_SL_EUlSZ_E_NS1_11comp_targetILNS1_3genE8ELNS1_11target_archE1030ELNS1_3gpuE2ELNS1_3repE0EEENS1_47radix_sort_onesweep_sort_config_static_selectorELNS0_4arch9wavefront6targetE0EEEvSG_.num_named_barrier, 0
	.set _ZN7rocprim17ROCPRIM_400000_NS6detail17trampoline_kernelINS0_14default_configENS1_35radix_sort_onesweep_config_selectorItNS0_10empty_typeEEEZZNS1_29radix_sort_onesweep_iterationIS3_Lb0EPKtPtPS5_SB_mNS0_19identity_decomposerENS1_16block_id_wrapperIjLb1EEEEE10hipError_tT1_PNSt15iterator_traitsISG_E10value_typeET2_T3_PNSH_ISM_E10value_typeET4_T5_PSR_SS_PNS1_23onesweep_lookback_stateEbbT6_jjT7_P12ihipStream_tbENKUlT_T0_SG_SL_E_clIS9_SA_SB_SB_EEDaSZ_S10_SG_SL_EUlSZ_E_NS1_11comp_targetILNS1_3genE8ELNS1_11target_archE1030ELNS1_3gpuE2ELNS1_3repE0EEENS1_47radix_sort_onesweep_sort_config_static_selectorELNS0_4arch9wavefront6targetE0EEEvSG_.private_seg_size, 0
	.set _ZN7rocprim17ROCPRIM_400000_NS6detail17trampoline_kernelINS0_14default_configENS1_35radix_sort_onesweep_config_selectorItNS0_10empty_typeEEEZZNS1_29radix_sort_onesweep_iterationIS3_Lb0EPKtPtPS5_SB_mNS0_19identity_decomposerENS1_16block_id_wrapperIjLb1EEEEE10hipError_tT1_PNSt15iterator_traitsISG_E10value_typeET2_T3_PNSH_ISM_E10value_typeET4_T5_PSR_SS_PNS1_23onesweep_lookback_stateEbbT6_jjT7_P12ihipStream_tbENKUlT_T0_SG_SL_E_clIS9_SA_SB_SB_EEDaSZ_S10_SG_SL_EUlSZ_E_NS1_11comp_targetILNS1_3genE8ELNS1_11target_archE1030ELNS1_3gpuE2ELNS1_3repE0EEENS1_47radix_sort_onesweep_sort_config_static_selectorELNS0_4arch9wavefront6targetE0EEEvSG_.uses_vcc, 0
	.set _ZN7rocprim17ROCPRIM_400000_NS6detail17trampoline_kernelINS0_14default_configENS1_35radix_sort_onesweep_config_selectorItNS0_10empty_typeEEEZZNS1_29radix_sort_onesweep_iterationIS3_Lb0EPKtPtPS5_SB_mNS0_19identity_decomposerENS1_16block_id_wrapperIjLb1EEEEE10hipError_tT1_PNSt15iterator_traitsISG_E10value_typeET2_T3_PNSH_ISM_E10value_typeET4_T5_PSR_SS_PNS1_23onesweep_lookback_stateEbbT6_jjT7_P12ihipStream_tbENKUlT_T0_SG_SL_E_clIS9_SA_SB_SB_EEDaSZ_S10_SG_SL_EUlSZ_E_NS1_11comp_targetILNS1_3genE8ELNS1_11target_archE1030ELNS1_3gpuE2ELNS1_3repE0EEENS1_47radix_sort_onesweep_sort_config_static_selectorELNS0_4arch9wavefront6targetE0EEEvSG_.uses_flat_scratch, 0
	.set _ZN7rocprim17ROCPRIM_400000_NS6detail17trampoline_kernelINS0_14default_configENS1_35radix_sort_onesweep_config_selectorItNS0_10empty_typeEEEZZNS1_29radix_sort_onesweep_iterationIS3_Lb0EPKtPtPS5_SB_mNS0_19identity_decomposerENS1_16block_id_wrapperIjLb1EEEEE10hipError_tT1_PNSt15iterator_traitsISG_E10value_typeET2_T3_PNSH_ISM_E10value_typeET4_T5_PSR_SS_PNS1_23onesweep_lookback_stateEbbT6_jjT7_P12ihipStream_tbENKUlT_T0_SG_SL_E_clIS9_SA_SB_SB_EEDaSZ_S10_SG_SL_EUlSZ_E_NS1_11comp_targetILNS1_3genE8ELNS1_11target_archE1030ELNS1_3gpuE2ELNS1_3repE0EEENS1_47radix_sort_onesweep_sort_config_static_selectorELNS0_4arch9wavefront6targetE0EEEvSG_.has_dyn_sized_stack, 0
	.set _ZN7rocprim17ROCPRIM_400000_NS6detail17trampoline_kernelINS0_14default_configENS1_35radix_sort_onesweep_config_selectorItNS0_10empty_typeEEEZZNS1_29radix_sort_onesweep_iterationIS3_Lb0EPKtPtPS5_SB_mNS0_19identity_decomposerENS1_16block_id_wrapperIjLb1EEEEE10hipError_tT1_PNSt15iterator_traitsISG_E10value_typeET2_T3_PNSH_ISM_E10value_typeET4_T5_PSR_SS_PNS1_23onesweep_lookback_stateEbbT6_jjT7_P12ihipStream_tbENKUlT_T0_SG_SL_E_clIS9_SA_SB_SB_EEDaSZ_S10_SG_SL_EUlSZ_E_NS1_11comp_targetILNS1_3genE8ELNS1_11target_archE1030ELNS1_3gpuE2ELNS1_3repE0EEENS1_47radix_sort_onesweep_sort_config_static_selectorELNS0_4arch9wavefront6targetE0EEEvSG_.has_recursion, 0
	.set _ZN7rocprim17ROCPRIM_400000_NS6detail17trampoline_kernelINS0_14default_configENS1_35radix_sort_onesweep_config_selectorItNS0_10empty_typeEEEZZNS1_29radix_sort_onesweep_iterationIS3_Lb0EPKtPtPS5_SB_mNS0_19identity_decomposerENS1_16block_id_wrapperIjLb1EEEEE10hipError_tT1_PNSt15iterator_traitsISG_E10value_typeET2_T3_PNSH_ISM_E10value_typeET4_T5_PSR_SS_PNS1_23onesweep_lookback_stateEbbT6_jjT7_P12ihipStream_tbENKUlT_T0_SG_SL_E_clIS9_SA_SB_SB_EEDaSZ_S10_SG_SL_EUlSZ_E_NS1_11comp_targetILNS1_3genE8ELNS1_11target_archE1030ELNS1_3gpuE2ELNS1_3repE0EEENS1_47radix_sort_onesweep_sort_config_static_selectorELNS0_4arch9wavefront6targetE0EEEvSG_.has_indirect_call, 0
	.section	.AMDGPU.csdata,"",@progbits
; Kernel info:
; codeLenInByte = 0
; TotalNumSgprs: 0
; NumVgprs: 0
; ScratchSize: 0
; MemoryBound: 0
; FloatMode: 240
; IeeeMode: 1
; LDSByteSize: 0 bytes/workgroup (compile time only)
; SGPRBlocks: 0
; VGPRBlocks: 0
; NumSGPRsForWavesPerEU: 1
; NumVGPRsForWavesPerEU: 1
; NamedBarCnt: 0
; Occupancy: 16
; WaveLimiterHint : 0
; COMPUTE_PGM_RSRC2:SCRATCH_EN: 0
; COMPUTE_PGM_RSRC2:USER_SGPR: 2
; COMPUTE_PGM_RSRC2:TRAP_HANDLER: 0
; COMPUTE_PGM_RSRC2:TGID_X_EN: 1
; COMPUTE_PGM_RSRC2:TGID_Y_EN: 0
; COMPUTE_PGM_RSRC2:TGID_Z_EN: 0
; COMPUTE_PGM_RSRC2:TIDIG_COMP_CNT: 0
	.section	.text._ZN7rocprim17ROCPRIM_400000_NS6detail17trampoline_kernelINS0_14default_configENS1_35radix_sort_onesweep_config_selectorItNS0_10empty_typeEEEZZNS1_29radix_sort_onesweep_iterationIS3_Lb0EPKtPtPS5_SB_mNS0_19identity_decomposerENS1_16block_id_wrapperIjLb1EEEEE10hipError_tT1_PNSt15iterator_traitsISG_E10value_typeET2_T3_PNSH_ISM_E10value_typeET4_T5_PSR_SS_PNS1_23onesweep_lookback_stateEbbT6_jjT7_P12ihipStream_tbENKUlT_T0_SG_SL_E_clISA_SA_SB_SB_EEDaSZ_S10_SG_SL_EUlSZ_E_NS1_11comp_targetILNS1_3genE0ELNS1_11target_archE4294967295ELNS1_3gpuE0ELNS1_3repE0EEENS1_47radix_sort_onesweep_sort_config_static_selectorELNS0_4arch9wavefront6targetE0EEEvSG_,"axG",@progbits,_ZN7rocprim17ROCPRIM_400000_NS6detail17trampoline_kernelINS0_14default_configENS1_35radix_sort_onesweep_config_selectorItNS0_10empty_typeEEEZZNS1_29radix_sort_onesweep_iterationIS3_Lb0EPKtPtPS5_SB_mNS0_19identity_decomposerENS1_16block_id_wrapperIjLb1EEEEE10hipError_tT1_PNSt15iterator_traitsISG_E10value_typeET2_T3_PNSH_ISM_E10value_typeET4_T5_PSR_SS_PNS1_23onesweep_lookback_stateEbbT6_jjT7_P12ihipStream_tbENKUlT_T0_SG_SL_E_clISA_SA_SB_SB_EEDaSZ_S10_SG_SL_EUlSZ_E_NS1_11comp_targetILNS1_3genE0ELNS1_11target_archE4294967295ELNS1_3gpuE0ELNS1_3repE0EEENS1_47radix_sort_onesweep_sort_config_static_selectorELNS0_4arch9wavefront6targetE0EEEvSG_,comdat
	.protected	_ZN7rocprim17ROCPRIM_400000_NS6detail17trampoline_kernelINS0_14default_configENS1_35radix_sort_onesweep_config_selectorItNS0_10empty_typeEEEZZNS1_29radix_sort_onesweep_iterationIS3_Lb0EPKtPtPS5_SB_mNS0_19identity_decomposerENS1_16block_id_wrapperIjLb1EEEEE10hipError_tT1_PNSt15iterator_traitsISG_E10value_typeET2_T3_PNSH_ISM_E10value_typeET4_T5_PSR_SS_PNS1_23onesweep_lookback_stateEbbT6_jjT7_P12ihipStream_tbENKUlT_T0_SG_SL_E_clISA_SA_SB_SB_EEDaSZ_S10_SG_SL_EUlSZ_E_NS1_11comp_targetILNS1_3genE0ELNS1_11target_archE4294967295ELNS1_3gpuE0ELNS1_3repE0EEENS1_47radix_sort_onesweep_sort_config_static_selectorELNS0_4arch9wavefront6targetE0EEEvSG_ ; -- Begin function _ZN7rocprim17ROCPRIM_400000_NS6detail17trampoline_kernelINS0_14default_configENS1_35radix_sort_onesweep_config_selectorItNS0_10empty_typeEEEZZNS1_29radix_sort_onesweep_iterationIS3_Lb0EPKtPtPS5_SB_mNS0_19identity_decomposerENS1_16block_id_wrapperIjLb1EEEEE10hipError_tT1_PNSt15iterator_traitsISG_E10value_typeET2_T3_PNSH_ISM_E10value_typeET4_T5_PSR_SS_PNS1_23onesweep_lookback_stateEbbT6_jjT7_P12ihipStream_tbENKUlT_T0_SG_SL_E_clISA_SA_SB_SB_EEDaSZ_S10_SG_SL_EUlSZ_E_NS1_11comp_targetILNS1_3genE0ELNS1_11target_archE4294967295ELNS1_3gpuE0ELNS1_3repE0EEENS1_47radix_sort_onesweep_sort_config_static_selectorELNS0_4arch9wavefront6targetE0EEEvSG_
	.globl	_ZN7rocprim17ROCPRIM_400000_NS6detail17trampoline_kernelINS0_14default_configENS1_35radix_sort_onesweep_config_selectorItNS0_10empty_typeEEEZZNS1_29radix_sort_onesweep_iterationIS3_Lb0EPKtPtPS5_SB_mNS0_19identity_decomposerENS1_16block_id_wrapperIjLb1EEEEE10hipError_tT1_PNSt15iterator_traitsISG_E10value_typeET2_T3_PNSH_ISM_E10value_typeET4_T5_PSR_SS_PNS1_23onesweep_lookback_stateEbbT6_jjT7_P12ihipStream_tbENKUlT_T0_SG_SL_E_clISA_SA_SB_SB_EEDaSZ_S10_SG_SL_EUlSZ_E_NS1_11comp_targetILNS1_3genE0ELNS1_11target_archE4294967295ELNS1_3gpuE0ELNS1_3repE0EEENS1_47radix_sort_onesweep_sort_config_static_selectorELNS0_4arch9wavefront6targetE0EEEvSG_
	.p2align	8
	.type	_ZN7rocprim17ROCPRIM_400000_NS6detail17trampoline_kernelINS0_14default_configENS1_35radix_sort_onesweep_config_selectorItNS0_10empty_typeEEEZZNS1_29radix_sort_onesweep_iterationIS3_Lb0EPKtPtPS5_SB_mNS0_19identity_decomposerENS1_16block_id_wrapperIjLb1EEEEE10hipError_tT1_PNSt15iterator_traitsISG_E10value_typeET2_T3_PNSH_ISM_E10value_typeET4_T5_PSR_SS_PNS1_23onesweep_lookback_stateEbbT6_jjT7_P12ihipStream_tbENKUlT_T0_SG_SL_E_clISA_SA_SB_SB_EEDaSZ_S10_SG_SL_EUlSZ_E_NS1_11comp_targetILNS1_3genE0ELNS1_11target_archE4294967295ELNS1_3gpuE0ELNS1_3repE0EEENS1_47radix_sort_onesweep_sort_config_static_selectorELNS0_4arch9wavefront6targetE0EEEvSG_,@function
_ZN7rocprim17ROCPRIM_400000_NS6detail17trampoline_kernelINS0_14default_configENS1_35radix_sort_onesweep_config_selectorItNS0_10empty_typeEEEZZNS1_29radix_sort_onesweep_iterationIS3_Lb0EPKtPtPS5_SB_mNS0_19identity_decomposerENS1_16block_id_wrapperIjLb1EEEEE10hipError_tT1_PNSt15iterator_traitsISG_E10value_typeET2_T3_PNSH_ISM_E10value_typeET4_T5_PSR_SS_PNS1_23onesweep_lookback_stateEbbT6_jjT7_P12ihipStream_tbENKUlT_T0_SG_SL_E_clISA_SA_SB_SB_EEDaSZ_S10_SG_SL_EUlSZ_E_NS1_11comp_targetILNS1_3genE0ELNS1_11target_archE4294967295ELNS1_3gpuE0ELNS1_3repE0EEENS1_47radix_sort_onesweep_sort_config_static_selectorELNS0_4arch9wavefront6targetE0EEEvSG_: ; @_ZN7rocprim17ROCPRIM_400000_NS6detail17trampoline_kernelINS0_14default_configENS1_35radix_sort_onesweep_config_selectorItNS0_10empty_typeEEEZZNS1_29radix_sort_onesweep_iterationIS3_Lb0EPKtPtPS5_SB_mNS0_19identity_decomposerENS1_16block_id_wrapperIjLb1EEEEE10hipError_tT1_PNSt15iterator_traitsISG_E10value_typeET2_T3_PNSH_ISM_E10value_typeET4_T5_PSR_SS_PNS1_23onesweep_lookback_stateEbbT6_jjT7_P12ihipStream_tbENKUlT_T0_SG_SL_E_clISA_SA_SB_SB_EEDaSZ_S10_SG_SL_EUlSZ_E_NS1_11comp_targetILNS1_3genE0ELNS1_11target_archE4294967295ELNS1_3gpuE0ELNS1_3repE0EEENS1_47radix_sort_onesweep_sort_config_static_selectorELNS0_4arch9wavefront6targetE0EEEvSG_
; %bb.0:
	s_clause 0x1
	s_load_b128 s[8:11], s[0:1], 0x28
	s_load_b64 s[20:21], s[0:1], 0x38
	v_and_b32_e32 v14, 0x3ff, v0
	s_delay_alu instid0(VALU_DEP_1)
	v_cmp_eq_u32_e64 s2, 0, v14
	s_and_saveexec_b32 s3, s2
	s_cbranch_execz .LBB2506_4
; %bb.1:
	s_mov_b32 s5, exec_lo
	s_mov_b32 s4, exec_lo
	v_mbcnt_lo_u32_b32 v1, s5, 0
                                        ; implicit-def: $vgpr2
	s_delay_alu instid0(VALU_DEP_1)
	v_cmpx_eq_u32_e32 0, v1
	s_cbranch_execz .LBB2506_3
; %bb.2:
	s_load_b64 s[6:7], s[0:1], 0x50
	s_bcnt1_i32_b32 s5, s5
	s_delay_alu instid0(SALU_CYCLE_1)
	v_dual_mov_b32 v2, 0 :: v_dual_mov_b32 v3, s5
	s_wait_xcnt 0x0
	s_wait_kmcnt 0x0
	global_atomic_add_u32 v2, v2, v3, s[6:7] th:TH_ATOMIC_RETURN scope:SCOPE_DEV
.LBB2506_3:
	s_wait_xcnt 0x0
	s_or_b32 exec_lo, exec_lo, s4
	s_wait_loadcnt 0x0
	v_readfirstlane_b32 s4, v2
	s_delay_alu instid0(VALU_DEP_1)
	v_dual_mov_b32 v2, 0 :: v_dual_add_nc_u32 v1, s4, v1
	ds_store_b32 v2, v1 offset:18496
.LBB2506_4:
	s_or_b32 exec_lo, exec_lo, s3
	v_mov_b32_e32 v3, 0
	s_clause 0x2
	s_load_b128 s[12:15], s[0:1], 0x0
	s_load_b32 s3, s[0:1], 0x20
	s_load_b96 s[16:18], s[0:1], 0x44
	s_wait_dscnt 0x0
	s_barrier_signal -1
	s_barrier_wait -1
	ds_load_b32 v1, v3 offset:18496
	v_mbcnt_lo_u32_b32 v15, -1, 0
	v_and_b32_e32 v16, 0x3e0, v14
	s_mov_b32 s4, -1
	s_add_nc_u64 s[24:25], s[0:1], 0x58
	s_getreg_b32 s7, hwreg(HW_REG_IB_STS2, 6, 4)
	s_wait_dscnt 0x0
	s_barrier_signal -1
	s_barrier_wait -1
	s_wait_kmcnt 0x0
	v_cmp_le_u32_e32 vcc_lo, s18, v1
	v_readfirstlane_b32 s19, v1
	s_mul_i32 s22, s19, 0x1800
	s_cbranch_vccz .LBB2506_100
; %bb.5:
	s_mov_b32 s23, 0
	v_mul_u32_u24_e32 v1, 12, v16
	v_lshlrev_b32_e32 v2, 1, v15
	s_lshl_b64 s[4:5], s[22:23], 1
	v_mov_b32_e32 v24, 0xffff
	s_add_nc_u64 s[4:5], s[12:13], s[4:5]
	v_or_b32_e32 v25, v15, v1
	v_add_nc_u64_e32 v[4:5], s[4:5], v[2:3]
	v_dual_mov_b32 v27, 0xffff :: v_dual_lshlrev_b32 v2, 1, v1
	v_dual_mov_b32 v1, -1 :: v_dual_mov_b32 v10, -1
	s_mulk_i32 s18, 0xe800
	s_delay_alu instid0(VALU_DEP_2)
	v_add_nc_u64_e32 v[2:3], v[4:5], v[2:3]
	s_add_co_i32 s18, s18, s3
	s_mov_b32 s3, exec_lo
	v_cmpx_gt_u32_e64 s18, v25
	s_cbranch_execz .LBB2506_7
; %bb.6:
	global_load_u16 v10, v[2:3], off
	s_wait_loadcnt 0x0
	v_and_b32_e32 v24, 0xffff, v10
.LBB2506_7:
	s_or_b32 exec_lo, exec_lo, s3
	v_or_b32_e32 v4, 32, v25
	s_mov_b32 s3, exec_lo
	s_delay_alu instid0(VALU_DEP_1)
	v_cmpx_gt_u32_e64 s18, v4
	s_cbranch_execz .LBB2506_9
; %bb.8:
	global_load_u16 v1, v[2:3], off offset:64
	s_wait_loadcnt 0x0
	v_and_b32_e32 v27, 0xffff, v1
.LBB2506_9:
	s_or_b32 exec_lo, exec_lo, s3
	v_dual_mov_b32 v11, -1 :: v_dual_bitop2_b32 v4, 64, v25 bitop3:0x54
	v_dual_mov_b32 v33, 0xffff :: v_dual_mov_b32 v12, -1
	v_mov_b32_e32 v30, 0xffff
	s_mov_b32 s3, exec_lo
	s_delay_alu instid0(VALU_DEP_3)
	v_cmpx_gt_u32_e64 s18, v4
	s_cbranch_execz .LBB2506_11
; %bb.10:
	global_load_u16 v12, v[2:3], off offset:128
	s_wait_loadcnt 0x0
	v_and_b32_e32 v30, 0xffff, v12
.LBB2506_11:
	s_or_b32 exec_lo, exec_lo, s3
	v_or_b32_e32 v4, 0x60, v25
	s_mov_b32 s3, exec_lo
	s_delay_alu instid0(VALU_DEP_1)
	v_cmpx_gt_u32_e64 s18, v4
	s_cbranch_execz .LBB2506_13
; %bb.12:
	global_load_u16 v11, v[2:3], off offset:192
	s_wait_loadcnt 0x0
	v_and_b32_e32 v33, 0xffff, v11
.LBB2506_13:
	s_or_b32 exec_lo, exec_lo, s3
	v_dual_mov_b32 v13, -1 :: v_dual_add_nc_u32 v4, 0x80, v25
	v_dual_mov_b32 v39, 0xffff :: v_dual_mov_b32 v36, 0xffff
	v_mov_b32_e32 v17, -1
	s_mov_b32 s3, exec_lo
	s_delay_alu instid0(VALU_DEP_3)
	v_cmpx_gt_u32_e64 s18, v4
	s_cbranch_execz .LBB2506_15
; %bb.14:
	global_load_u16 v17, v[2:3], off offset:256
	s_wait_loadcnt 0x0
	v_and_b32_e32 v36, 0xffff, v17
.LBB2506_15:
	s_or_b32 exec_lo, exec_lo, s3
	v_add_nc_u32_e32 v4, 0xa0, v25
	s_mov_b32 s3, exec_lo
	s_delay_alu instid0(VALU_DEP_1)
	v_cmpx_gt_u32_e64 s18, v4
	s_cbranch_execz .LBB2506_17
; %bb.16:
	global_load_u16 v13, v[2:3], off offset:320
	s_wait_loadcnt 0x0
	v_and_b32_e32 v39, 0xffff, v13
.LBB2506_17:
	s_or_b32 exec_lo, exec_lo, s3
	v_dual_mov_b32 v19, -1 :: v_dual_add_nc_u32 v4, 0xc0, v25
	v_dual_mov_b32 v8, 0xffff :: v_dual_mov_b32 v9, 0xffff
	v_mov_b32_e32 v18, -1
	s_mov_b32 s3, exec_lo
	s_delay_alu instid0(VALU_DEP_3)
	v_cmpx_gt_u32_e64 s18, v4
	s_cbranch_execz .LBB2506_19
; %bb.18:
	global_load_u16 v19, v[2:3], off offset:384
	s_wait_loadcnt 0x0
	v_and_b32_e32 v9, 0xffff, v19
.LBB2506_19:
	s_or_b32 exec_lo, exec_lo, s3
	v_add_nc_u32_e32 v4, 0xe0, v25
	;; [unrolled: 24-line block ×3, first 2 shown]
	s_mov_b32 s3, exec_lo
	s_delay_alu instid0(VALU_DEP_1)
	v_cmpx_gt_u32_e64 s18, v4
	s_cbranch_execz .LBB2506_25
; %bb.24:
	global_load_u16 v20, v[2:3], off offset:576
	s_wait_loadcnt 0x0
	v_and_b32_e32 v6, 0xffff, v20
.LBB2506_25:
	s_or_b32 exec_lo, exec_lo, s3
	v_dual_mov_b32 v22, -1 :: v_dual_add_nc_u32 v5, 0x140, v25
	v_dual_mov_b32 v4, 0xffff :: v_dual_mov_b32 v23, -1
	s_delay_alu instid0(VALU_DEP_2)
	v_cmp_gt_u32_e32 vcc_lo, s18, v5
	v_mov_b32_e32 v5, 0xffff
	s_and_saveexec_b32 s3, vcc_lo
	s_cbranch_execz .LBB2506_27
; %bb.26:
	global_load_u16 v23, v[2:3], off offset:640
	s_wait_loadcnt 0x0
	v_and_b32_e32 v5, 0xffff, v23
.LBB2506_27:
	s_or_b32 exec_lo, exec_lo, s3
	v_add_nc_u32_e32 v25, 0x160, v25
	s_mov_b32 s3, exec_lo
	s_delay_alu instid0(VALU_DEP_1)
	v_cmpx_gt_u32_e64 s18, v25
	s_cbranch_execz .LBB2506_29
; %bb.28:
	global_load_u16 v22, v[2:3], off offset:704
	s_wait_loadcnt 0x0
	v_and_b32_e32 v4, 0xffff, v22
.LBB2506_29:
	s_or_b32 exec_lo, exec_lo, s3
	s_clause 0x1
	s_load_b32 s23, s[0:1], 0x58
	s_load_u16 s3, s[0:1], 0x66
	s_bfe_u32 s4, ttmp6, 0x4000c
	s_and_b32 s5, ttmp6, 15
	s_add_co_i32 s4, s4, 1
	v_lshrrev_b32_e32 v24, s16, v24
	s_mul_i32 s4, ttmp9, s4
	v_bfe_u32 v2, v0, 10, 10
	s_add_co_i32 s5, s5, s4
	s_cmp_eq_u32 s7, 0
	v_bfe_u32 v3, v0, 20, 10
	s_cselect_b32 s4, ttmp9, s5
	s_mov_b32 s5, 0
	s_wait_kmcnt 0x0
	s_cmp_lt_u32 s4, s23
	v_mad_u32_u24 v2, v3, s3, v2
	s_cselect_b32 s4, 12, 18
	s_lshl_b32 s26, -1, s17
	s_add_nc_u64 s[4:5], s[24:25], s[4:5]
	v_bitop3_b32 v26, v24, s26, v24 bitop3:0x30
	s_load_u16 s27, s[4:5], 0x0
	s_delay_alu instid0(VALU_DEP_1) | instskip(SKIP_3) | instid1(VALU_DEP_3)
	v_lshlrev_b32_e32 v25, 30, v26
	v_bitop3_b32 v3, v24, 1, s26 bitop3:0x40
	v_dual_lshlrev_b32 v28, 29, v26 :: v_dual_lshlrev_b32 v29, 28, v26
	v_dual_lshlrev_b32 v31, 27, v26 :: v_dual_lshlrev_b32 v32, 26, v26
	v_add_co_u32 v3, s3, v3, -1
	s_delay_alu instid0(VALU_DEP_1)
	v_cndmask_b32_e64 v24, 0, 1, s3
	v_cmp_gt_i32_e64 s3, 0, v25
	s_wait_xcnt 0x0
	v_cmp_gt_i32_e64 s4, 0, v28
	v_dual_lshlrev_b32 v34, 25, v26 :: v_dual_lshlrev_b32 v35, 24, v26
	v_cmp_ne_u32_e32 vcc_lo, 0, v24
	v_not_b32_e32 v24, v25
	v_not_b32_e32 v25, v28
	v_not_b32_e32 v28, v29
	v_cmp_gt_i32_e64 s5, 0, v29
	v_cmp_gt_i32_e64 s6, 0, v31
	v_dual_ashrrev_i32 v24, 31, v24 :: v_dual_bitop2_b32 v3, vcc_lo, v3 bitop3:0x14
	v_not_b32_e32 v29, v31
	v_dual_ashrrev_i32 v25, 31, v25 :: v_dual_ashrrev_i32 v28, 31, v28
	s_delay_alu instid0(VALU_DEP_3)
	v_xor_b32_e32 v24, s3, v24
	v_not_b32_e32 v31, v32
	s_wait_kmcnt 0x0
	v_mad_u32 v2, v2, s27, v14
	v_ashrrev_i32_e32 v29, 31, v29
	v_xor_b32_e32 v25, s4, v25
	v_xor_b32_e32 v28, s5, v28
	v_bitop3_b32 v3, v3, v24, exec_lo bitop3:0x80
	v_cmp_gt_i32_e32 vcc_lo, 0, v32
	v_ashrrev_i32_e32 v24, 31, v31
	v_not_b32_e32 v31, v34
	v_xor_b32_e32 v29, s6, v29
	v_bitop3_b32 v3, v3, v28, v25 bitop3:0x80
	v_not_b32_e32 v25, v35
	v_xor_b32_e32 v24, vcc_lo, v24
	v_cmp_gt_i32_e32 vcc_lo, 0, v34
	v_ashrrev_i32_e32 v28, 31, v31
	v_cmp_gt_i32_e64 s3, 0, v35
	v_ashrrev_i32_e32 v31, 31, v25
	v_bitop3_b32 v3, v3, v24, v29 bitop3:0x80
	s_delay_alu instid0(VALU_DEP_4) | instskip(SKIP_3) | instid1(VALU_DEP_4)
	v_dual_lshrrev_b32 v2, 3, v2 :: v_dual_bitop2_b32 v24, vcc_lo, v28 bitop3:0x14
	v_mul_u32_u24_e32 v26, 0x44, v26
	v_mul_u32_u24_e32 v25, 36, v14
	v_mov_b32_e32 v29, 0
	v_and_b32_e32 v2, 0x1ffffffc, v2
	v_xor_b32_e32 v28, s3, v31
	s_not_b32 s26, s26
	ds_store_2addr_b32 v25, v29, v29 offset0:16 offset1:17
	ds_store_2addr_b32 v25, v29, v29 offset0:18 offset1:19
	;; [unrolled: 1-line block ×4, first 2 shown]
	v_add_nc_u32_e32 v26, v2, v26
	v_bitop3_b32 v3, v3, v28, v24 bitop3:0x80
	ds_store_b32 v25, v29 offset:96
	s_wait_dscnt 0x0
	s_barrier_signal -1
	s_barrier_wait -1
	v_mbcnt_lo_u32_b32 v24, v3, 0
	v_cmp_ne_u32_e64 s3, 0, v3
	; wave barrier
	s_delay_alu instid0(VALU_DEP_2) | instskip(SKIP_1) | instid1(SALU_CYCLE_1)
	v_cmp_eq_u32_e32 vcc_lo, 0, v24
	s_and_b32 s4, s3, vcc_lo
	s_and_saveexec_b32 s3, s4
; %bb.30:
	v_bcnt_u32_b32 v3, v3, 0
	ds_store_b32 v26, v3 offset:64
; %bb.31:
	s_or_b32 exec_lo, exec_lo, s3
	v_lshrrev_b32_e32 v3, s16, v27
	; wave barrier
	s_delay_alu instid0(VALU_DEP_1) | instskip(NEXT) | instid1(VALU_DEP_1)
	v_and_b32_e32 v29, s26, v3
	v_lshlrev_b32_e32 v28, 30, v29
	v_bitop3_b32 v27, v3, 1, s26 bitop3:0x80
	v_lshlrev_b32_e32 v31, 29, v29
	s_delay_alu instid0(VALU_DEP_2) | instskip(NEXT) | instid1(VALU_DEP_1)
	v_add_co_u32 v3, s3, v27, -1
	v_cndmask_b32_e64 v27, 0, 1, s3
	v_cmp_gt_i32_e64 s3, 0, v28
	s_delay_alu instid0(VALU_DEP_2) | instskip(SKIP_2) | instid1(VALU_DEP_1)
	v_cmp_ne_u32_e32 vcc_lo, 0, v27
	v_not_b32_e32 v27, v28
	v_not_b32_e32 v28, v31
	v_dual_ashrrev_i32 v28, 31, v28 :: v_dual_lshlrev_b32 v32, 28, v29
	v_dual_lshlrev_b32 v34, 27, v29 :: v_dual_lshlrev_b32 v35, 26, v29
	v_cmp_gt_i32_e64 s4, 0, v31
	v_ashrrev_i32_e32 v27, 31, v27
	s_delay_alu instid0(VALU_DEP_4)
	v_not_b32_e32 v31, v32
	v_cmp_gt_i32_e64 s5, 0, v32
	v_cmp_gt_i32_e64 s6, 0, v34
	v_not_b32_e32 v32, v34
	v_xor_b32_e32 v3, vcc_lo, v3
	v_not_b32_e32 v34, v35
	v_dual_ashrrev_i32 v31, 31, v31 :: v_dual_bitop2_b32 v28, s4, v28 bitop3:0x14
	v_dual_lshlrev_b32 v37, 25, v29 :: v_dual_bitop2_b32 v27, s3, v27 bitop3:0x14
	v_lshlrev_b32_e32 v38, 24, v29
	v_cmp_gt_i32_e32 vcc_lo, 0, v35
	s_delay_alu instid0(VALU_DEP_3) | instskip(SKIP_4) | instid1(VALU_DEP_3)
	v_bitop3_b32 v3, v3, v27, exec_lo bitop3:0x80
	v_dual_ashrrev_i32 v27, 31, v32 :: v_dual_ashrrev_i32 v32, 31, v34
	v_xor_b32_e32 v31, s5, v31
	v_not_b32_e32 v34, v37
	v_cmp_gt_i32_e64 s3, 0, v38
	v_bitop3_b32 v3, v3, v31, v28 bitop3:0x80
	v_not_b32_e32 v28, v38
	v_xor_b32_e32 v31, vcc_lo, v32
	v_cmp_gt_i32_e32 vcc_lo, 0, v37
	v_ashrrev_i32_e32 v32, 31, v34
	v_mad_u32_u24 v34, 0x44, v29, v2
	v_ashrrev_i32_e32 v28, 31, v28
	v_mul_u32_u24_e32 v29, 0x44, v29
	v_xor_b32_e32 v27, s6, v27
	s_delay_alu instid0(VALU_DEP_2) | instskip(NEXT) | instid1(VALU_DEP_2)
	v_dual_add_nc_u32 v29, v2, v29 :: v_dual_bitop2_b32 v28, s3, v28 bitop3:0x14
	v_bitop3_b32 v3, v3, v31, v27 bitop3:0x80
	v_xor_b32_e32 v31, vcc_lo, v32
	ds_load_b32 v27, v34 offset:64
	; wave barrier
	v_bitop3_b32 v3, v3, v28, v31 bitop3:0x80
	s_delay_alu instid0(VALU_DEP_1) | instskip(SKIP_1) | instid1(VALU_DEP_2)
	v_mbcnt_lo_u32_b32 v28, v3, 0
	v_cmp_ne_u32_e64 s3, 0, v3
	v_cmp_eq_u32_e32 vcc_lo, 0, v28
	s_and_b32 s4, s3, vcc_lo
	s_delay_alu instid0(SALU_CYCLE_1)
	s_and_saveexec_b32 s3, s4
	s_cbranch_execz .LBB2506_33
; %bb.32:
	s_wait_dscnt 0x0
	v_bcnt_u32_b32 v3, v3, v27
	ds_store_b32 v29, v3 offset:64
.LBB2506_33:
	s_or_b32 exec_lo, exec_lo, s3
	v_lshrrev_b32_e32 v3, s16, v30
	; wave barrier
	s_delay_alu instid0(VALU_DEP_1) | instskip(NEXT) | instid1(VALU_DEP_1)
	v_and_b32_e32 v32, s26, v3
	v_lshlrev_b32_e32 v31, 30, v32
	v_bitop3_b32 v30, v3, 1, s26 bitop3:0x80
	s_delay_alu instid0(VALU_DEP_1) | instskip(NEXT) | instid1(VALU_DEP_1)
	v_add_co_u32 v3, s3, v30, -1
	v_cndmask_b32_e64 v30, 0, 1, s3
	s_delay_alu instid0(VALU_DEP_4) | instskip(NEXT) | instid1(VALU_DEP_2)
	v_cmp_gt_i32_e64 s3, 0, v31
	v_cmp_ne_u32_e32 vcc_lo, 0, v30
	v_not_b32_e32 v30, v31
	s_delay_alu instid0(VALU_DEP_1) | instskip(SKIP_3) | instid1(VALU_DEP_4)
	v_dual_ashrrev_i32 v30, 31, v30 :: v_dual_lshlrev_b32 v34, 29, v32
	v_dual_lshlrev_b32 v35, 28, v32 :: v_dual_lshlrev_b32 v37, 27, v32
	v_dual_lshlrev_b32 v38, 26, v32 :: v_dual_lshlrev_b32 v40, 25, v32
	v_lshlrev_b32_e32 v41, 24, v32
	v_cmp_gt_i32_e64 s4, 0, v34
	v_not_b32_e32 v31, v34
	v_not_b32_e32 v34, v35
	v_cmp_gt_i32_e64 s5, 0, v35
	v_xor_b32_e32 v3, vcc_lo, v3
	s_delay_alu instid0(VALU_DEP_4) | instskip(NEXT) | instid1(VALU_DEP_4)
	v_dual_ashrrev_i32 v31, 31, v31 :: v_dual_bitop2_b32 v30, s3, v30 bitop3:0x14
	v_ashrrev_i32_e32 v34, 31, v34
	v_cmp_gt_i32_e64 s6, 0, v37
	v_not_b32_e32 v35, v37
	v_not_b32_e32 v37, v38
	v_xor_b32_e32 v31, s4, v31
	v_xor_b32_e32 v34, s5, v34
	v_bitop3_b32 v3, v3, v30, exec_lo bitop3:0x80
	v_ashrrev_i32_e32 v30, 31, v35
	v_cmp_gt_i32_e32 vcc_lo, 0, v38
	v_ashrrev_i32_e32 v35, 31, v37
	v_not_b32_e32 v37, v40
	v_bitop3_b32 v3, v3, v34, v31 bitop3:0x80
	v_not_b32_e32 v31, v41
	v_xor_b32_e32 v30, s6, v30
	v_xor_b32_e32 v34, vcc_lo, v35
	v_cmp_gt_i32_e32 vcc_lo, 0, v40
	v_ashrrev_i32_e32 v35, 31, v37
	v_cmp_gt_i32_e64 s3, 0, v41
	v_ashrrev_i32_e32 v31, 31, v31
	v_mad_u32_u24 v37, 0x44, v32, v2
	v_mul_u32_u24_e32 v32, 0x44, v32
	s_delay_alu instid0(VALU_DEP_1) | instskip(SKIP_4) | instid1(VALU_DEP_1)
	v_dual_add_nc_u32 v32, v2, v32 :: v_dual_bitop2_b32 v31, s3, v31 bitop3:0x14
	v_bitop3_b32 v3, v3, v34, v30 bitop3:0x80
	v_xor_b32_e32 v34, vcc_lo, v35
	ds_load_b32 v30, v37 offset:64
	; wave barrier
	v_bitop3_b32 v3, v3, v31, v34 bitop3:0x80
	v_mbcnt_lo_u32_b32 v31, v3, 0
	v_cmp_ne_u32_e64 s3, 0, v3
	s_delay_alu instid0(VALU_DEP_2) | instskip(SKIP_1) | instid1(SALU_CYCLE_1)
	v_cmp_eq_u32_e32 vcc_lo, 0, v31
	s_and_b32 s4, s3, vcc_lo
	s_and_saveexec_b32 s3, s4
	s_cbranch_execz .LBB2506_35
; %bb.34:
	s_wait_dscnt 0x0
	v_bcnt_u32_b32 v3, v3, v30
	ds_store_b32 v32, v3 offset:64
.LBB2506_35:
	s_or_b32 exec_lo, exec_lo, s3
	v_lshrrev_b32_e32 v3, s16, v33
	; wave barrier
	s_delay_alu instid0(VALU_DEP_1) | instskip(NEXT) | instid1(VALU_DEP_1)
	v_and_b32_e32 v35, s26, v3
	v_lshlrev_b32_e32 v34, 30, v35
	v_bitop3_b32 v33, v3, 1, s26 bitop3:0x80
	s_delay_alu instid0(VALU_DEP_1) | instskip(NEXT) | instid1(VALU_DEP_1)
	v_add_co_u32 v3, s3, v33, -1
	v_cndmask_b32_e64 v33, 0, 1, s3
	s_delay_alu instid0(VALU_DEP_4) | instskip(NEXT) | instid1(VALU_DEP_2)
	v_cmp_gt_i32_e64 s3, 0, v34
	v_cmp_ne_u32_e32 vcc_lo, 0, v33
	v_not_b32_e32 v33, v34
	s_delay_alu instid0(VALU_DEP_1) | instskip(SKIP_3) | instid1(VALU_DEP_4)
	v_dual_ashrrev_i32 v33, 31, v33 :: v_dual_lshlrev_b32 v37, 29, v35
	v_dual_lshlrev_b32 v38, 28, v35 :: v_dual_lshlrev_b32 v40, 27, v35
	v_dual_lshlrev_b32 v41, 26, v35 :: v_dual_lshlrev_b32 v42, 25, v35
	v_lshlrev_b32_e32 v43, 24, v35
	v_cmp_gt_i32_e64 s4, 0, v37
	v_not_b32_e32 v34, v37
	v_not_b32_e32 v37, v38
	v_cmp_gt_i32_e64 s5, 0, v38
	v_cmp_gt_i32_e64 s6, 0, v40
	s_delay_alu instid0(VALU_DEP_4) | instskip(NEXT) | instid1(VALU_DEP_4)
	v_dual_ashrrev_i32 v34, 31, v34 :: v_dual_bitop2_b32 v3, vcc_lo, v3 bitop3:0x14
	v_ashrrev_i32_e32 v37, 31, v37
	v_not_b32_e32 v38, v40
	v_not_b32_e32 v40, v41
	v_xor_b32_e32 v33, s3, v33
	v_xor_b32_e32 v34, s4, v34
	;; [unrolled: 1-line block ×3, first 2 shown]
	v_cmp_gt_i32_e32 vcc_lo, 0, v41
	v_cmp_gt_i32_e64 s3, 0, v43
	v_bitop3_b32 v3, v3, v33, exec_lo bitop3:0x80
	v_dual_ashrrev_i32 v33, 31, v38 :: v_dual_ashrrev_i32 v38, 31, v40
	v_not_b32_e32 v40, v42
	s_delay_alu instid0(VALU_DEP_3) | instskip(SKIP_1) | instid1(VALU_DEP_4)
	v_bitop3_b32 v3, v3, v37, v34 bitop3:0x80
	v_not_b32_e32 v34, v43
	v_xor_b32_e32 v33, s6, v33
	v_xor_b32_e32 v37, vcc_lo, v38
	v_cmp_gt_i32_e32 vcc_lo, 0, v42
	s_delay_alu instid0(VALU_DEP_4) | instskip(SKIP_2) | instid1(VALU_DEP_1)
	v_dual_ashrrev_i32 v38, 31, v40 :: v_dual_ashrrev_i32 v34, 31, v34
	v_mad_u32_u24 v40, 0x44, v35, v2
	v_mul_u32_u24_e32 v35, 0x44, v35
	v_dual_add_nc_u32 v35, v2, v35 :: v_dual_bitop2_b32 v34, s3, v34 bitop3:0x14
	v_bitop3_b32 v3, v3, v37, v33 bitop3:0x80
	v_xor_b32_e32 v37, vcc_lo, v38
	ds_load_b32 v33, v40 offset:64
	; wave barrier
	v_bitop3_b32 v3, v3, v34, v37 bitop3:0x80
	s_delay_alu instid0(VALU_DEP_1) | instskip(SKIP_1) | instid1(VALU_DEP_2)
	v_mbcnt_lo_u32_b32 v34, v3, 0
	v_cmp_ne_u32_e64 s3, 0, v3
	v_cmp_eq_u32_e32 vcc_lo, 0, v34
	s_and_b32 s4, s3, vcc_lo
	s_delay_alu instid0(SALU_CYCLE_1)
	s_and_saveexec_b32 s3, s4
	s_cbranch_execz .LBB2506_37
; %bb.36:
	s_wait_dscnt 0x0
	v_bcnt_u32_b32 v3, v3, v33
	ds_store_b32 v35, v3 offset:64
.LBB2506_37:
	s_or_b32 exec_lo, exec_lo, s3
	v_lshrrev_b32_e32 v3, s16, v36
	; wave barrier
	s_delay_alu instid0(VALU_DEP_1) | instskip(NEXT) | instid1(VALU_DEP_1)
	v_and_b32_e32 v38, s26, v3
	v_lshlrev_b32_e32 v37, 30, v38
	v_bitop3_b32 v36, v3, 1, s26 bitop3:0x80
	s_delay_alu instid0(VALU_DEP_1) | instskip(NEXT) | instid1(VALU_DEP_1)
	v_add_co_u32 v3, s3, v36, -1
	v_cndmask_b32_e64 v36, 0, 1, s3
	s_delay_alu instid0(VALU_DEP_4) | instskip(NEXT) | instid1(VALU_DEP_2)
	v_cmp_gt_i32_e64 s3, 0, v37
	v_cmp_ne_u32_e32 vcc_lo, 0, v36
	v_not_b32_e32 v36, v37
	s_delay_alu instid0(VALU_DEP_1) | instskip(SKIP_3) | instid1(VALU_DEP_4)
	v_dual_ashrrev_i32 v36, 31, v36 :: v_dual_lshlrev_b32 v40, 29, v38
	v_dual_lshlrev_b32 v41, 28, v38 :: v_dual_lshlrev_b32 v42, 27, v38
	v_dual_lshlrev_b32 v43, 26, v38 :: v_dual_lshlrev_b32 v44, 25, v38
	v_lshlrev_b32_e32 v45, 24, v38
	v_cmp_gt_i32_e64 s4, 0, v40
	v_not_b32_e32 v37, v40
	v_not_b32_e32 v40, v41
	v_cmp_gt_i32_e64 s5, 0, v41
	v_cmp_gt_i32_e64 s6, 0, v42
	s_delay_alu instid0(VALU_DEP_4) | instskip(NEXT) | instid1(VALU_DEP_4)
	v_dual_ashrrev_i32 v37, 31, v37 :: v_dual_bitop2_b32 v3, vcc_lo, v3 bitop3:0x14
	v_ashrrev_i32_e32 v40, 31, v40
	v_not_b32_e32 v41, v42
	v_not_b32_e32 v42, v43
	v_xor_b32_e32 v36, s3, v36
	v_xor_b32_e32 v37, s4, v37
	;; [unrolled: 1-line block ×3, first 2 shown]
	v_cmp_gt_i32_e32 vcc_lo, 0, v43
	v_cmp_gt_i32_e64 s3, 0, v45
	v_bitop3_b32 v3, v3, v36, exec_lo bitop3:0x80
	v_dual_ashrrev_i32 v36, 31, v41 :: v_dual_ashrrev_i32 v41, 31, v42
	v_not_b32_e32 v42, v44
	s_delay_alu instid0(VALU_DEP_3) | instskip(SKIP_1) | instid1(VALU_DEP_4)
	v_bitop3_b32 v3, v3, v40, v37 bitop3:0x80
	v_not_b32_e32 v37, v45
	v_xor_b32_e32 v36, s6, v36
	v_xor_b32_e32 v40, vcc_lo, v41
	v_cmp_gt_i32_e32 vcc_lo, 0, v44
	s_delay_alu instid0(VALU_DEP_4) | instskip(SKIP_2) | instid1(VALU_DEP_1)
	v_dual_ashrrev_i32 v41, 31, v42 :: v_dual_ashrrev_i32 v37, 31, v37
	v_mad_u32_u24 v42, 0x44, v38, v2
	v_mul_u32_u24_e32 v38, 0x44, v38
	v_dual_add_nc_u32 v38, v2, v38 :: v_dual_bitop2_b32 v37, s3, v37 bitop3:0x14
	v_bitop3_b32 v3, v3, v40, v36 bitop3:0x80
	v_xor_b32_e32 v40, vcc_lo, v41
	ds_load_b32 v36, v42 offset:64
	; wave barrier
	v_bitop3_b32 v3, v3, v37, v40 bitop3:0x80
	s_delay_alu instid0(VALU_DEP_1) | instskip(SKIP_1) | instid1(VALU_DEP_2)
	v_mbcnt_lo_u32_b32 v37, v3, 0
	v_cmp_ne_u32_e64 s3, 0, v3
	v_cmp_eq_u32_e32 vcc_lo, 0, v37
	s_and_b32 s4, s3, vcc_lo
	s_delay_alu instid0(SALU_CYCLE_1)
	s_and_saveexec_b32 s3, s4
	s_cbranch_execz .LBB2506_39
; %bb.38:
	s_wait_dscnt 0x0
	v_bcnt_u32_b32 v3, v3, v36
	ds_store_b32 v38, v3 offset:64
.LBB2506_39:
	s_or_b32 exec_lo, exec_lo, s3
	v_lshrrev_b32_e32 v3, s16, v39
	; wave barrier
	s_delay_alu instid0(VALU_DEP_1) | instskip(NEXT) | instid1(VALU_DEP_1)
	v_and_b32_e32 v41, s26, v3
	v_lshlrev_b32_e32 v40, 30, v41
	v_bitop3_b32 v39, v3, 1, s26 bitop3:0x80
	v_lshlrev_b32_e32 v42, 29, v41
	s_delay_alu instid0(VALU_DEP_2) | instskip(NEXT) | instid1(VALU_DEP_1)
	v_add_co_u32 v3, s3, v39, -1
	v_cndmask_b32_e64 v39, 0, 1, s3
	v_cmp_gt_i32_e64 s3, 0, v40
	s_delay_alu instid0(VALU_DEP_2) | instskip(SKIP_2) | instid1(VALU_DEP_1)
	v_cmp_ne_u32_e32 vcc_lo, 0, v39
	v_not_b32_e32 v39, v40
	v_not_b32_e32 v40, v42
	v_dual_ashrrev_i32 v40, 31, v40 :: v_dual_lshlrev_b32 v43, 28, v41
	v_dual_lshlrev_b32 v44, 27, v41 :: v_dual_lshlrev_b32 v45, 26, v41
	v_cmp_gt_i32_e64 s4, 0, v42
	v_dual_lshlrev_b32 v46, 25, v41 :: v_dual_lshlrev_b32 v47, 24, v41
	s_delay_alu instid0(VALU_DEP_4) | instskip(SKIP_4) | instid1(VALU_DEP_4)
	v_not_b32_e32 v42, v43
	v_ashrrev_i32_e32 v39, 31, v39
	v_cmp_gt_i32_e64 s5, 0, v43
	v_cmp_gt_i32_e64 s6, 0, v44
	v_not_b32_e32 v43, v44
	v_dual_ashrrev_i32 v42, 31, v42 :: v_dual_bitop2_b32 v39, s3, v39 bitop3:0x14
	v_not_b32_e32 v44, v45
	v_xor_b32_e32 v3, vcc_lo, v3
	v_xor_b32_e32 v40, s4, v40
	s_delay_alu instid0(VALU_DEP_4)
	v_xor_b32_e32 v42, s5, v42
	v_cmp_gt_i32_e32 vcc_lo, 0, v45
	v_cmp_gt_i32_e64 s3, 0, v47
	v_bitop3_b32 v3, v3, v39, exec_lo bitop3:0x80
	v_dual_ashrrev_i32 v39, 31, v43 :: v_dual_ashrrev_i32 v43, 31, v44
	v_not_b32_e32 v44, v46
	s_delay_alu instid0(VALU_DEP_3) | instskip(SKIP_1) | instid1(VALU_DEP_4)
	v_bitop3_b32 v3, v3, v42, v40 bitop3:0x80
	v_not_b32_e32 v40, v47
	v_xor_b32_e32 v42, vcc_lo, v43
	v_cmp_gt_i32_e32 vcc_lo, 0, v46
	v_ashrrev_i32_e32 v43, 31, v44
	v_mad_u32_u24 v44, 0x44, v41, v2
	v_ashrrev_i32_e32 v40, 31, v40
	v_mul_u32_u24_e32 v41, 0x44, v41
	v_xor_b32_e32 v39, s6, v39
	s_delay_alu instid0(VALU_DEP_2) | instskip(NEXT) | instid1(VALU_DEP_2)
	v_dual_add_nc_u32 v41, v2, v41 :: v_dual_bitop2_b32 v40, s3, v40 bitop3:0x14
	v_bitop3_b32 v3, v3, v42, v39 bitop3:0x80
	v_xor_b32_e32 v42, vcc_lo, v43
	ds_load_b32 v39, v44 offset:64
	; wave barrier
	v_bitop3_b32 v3, v3, v40, v42 bitop3:0x80
	s_delay_alu instid0(VALU_DEP_1) | instskip(SKIP_1) | instid1(VALU_DEP_2)
	v_mbcnt_lo_u32_b32 v40, v3, 0
	v_cmp_ne_u32_e64 s3, 0, v3
	v_cmp_eq_u32_e32 vcc_lo, 0, v40
	s_and_b32 s4, s3, vcc_lo
	s_delay_alu instid0(SALU_CYCLE_1)
	s_and_saveexec_b32 s3, s4
	s_cbranch_execz .LBB2506_41
; %bb.40:
	s_wait_dscnt 0x0
	v_bcnt_u32_b32 v3, v3, v39
	ds_store_b32 v41, v3 offset:64
.LBB2506_41:
	s_or_b32 exec_lo, exec_lo, s3
	v_lshrrev_b32_e32 v3, s16, v9
	; wave barrier
	s_delay_alu instid0(VALU_DEP_1) | instskip(NEXT) | instid1(VALU_DEP_1)
	v_and_b32_e32 v44, s26, v3
	v_lshlrev_b32_e32 v42, 30, v44
	v_bitop3_b32 v9, v3, 1, s26 bitop3:0x80
	s_delay_alu instid0(VALU_DEP_1) | instskip(NEXT) | instid1(VALU_DEP_1)
	v_add_co_u32 v3, s3, v9, -1
	v_cndmask_b32_e64 v9, 0, 1, s3
	s_delay_alu instid0(VALU_DEP_4) | instskip(NEXT) | instid1(VALU_DEP_2)
	v_cmp_gt_i32_e64 s3, 0, v42
	v_cmp_ne_u32_e32 vcc_lo, 0, v9
	v_not_b32_e32 v9, v42
	s_delay_alu instid0(VALU_DEP_1) | instskip(SKIP_3) | instid1(VALU_DEP_4)
	v_dual_ashrrev_i32 v9, 31, v9 :: v_dual_lshlrev_b32 v43, 29, v44
	v_dual_lshlrev_b32 v45, 28, v44 :: v_dual_lshlrev_b32 v46, 27, v44
	v_dual_lshlrev_b32 v47, 26, v44 :: v_dual_lshlrev_b32 v48, 25, v44
	v_lshlrev_b32_e32 v49, 24, v44
	v_cmp_gt_i32_e64 s4, 0, v43
	v_not_b32_e32 v42, v43
	v_not_b32_e32 v43, v45
	v_cmp_gt_i32_e64 s5, 0, v45
	v_xor_b32_e32 v3, vcc_lo, v3
	s_delay_alu instid0(VALU_DEP_4) | instskip(NEXT) | instid1(VALU_DEP_4)
	v_dual_ashrrev_i32 v42, 31, v42 :: v_dual_bitop2_b32 v9, s3, v9 bitop3:0x14
	v_ashrrev_i32_e32 v43, 31, v43
	v_cmp_gt_i32_e64 s6, 0, v46
	v_not_b32_e32 v45, v46
	v_not_b32_e32 v46, v47
	v_xor_b32_e32 v42, s4, v42
	v_xor_b32_e32 v43, s5, v43
	v_bitop3_b32 v3, v3, v9, exec_lo bitop3:0x80
	v_ashrrev_i32_e32 v9, 31, v45
	v_cmp_gt_i32_e32 vcc_lo, 0, v47
	v_ashrrev_i32_e32 v45, 31, v46
	v_not_b32_e32 v46, v48
	v_bitop3_b32 v3, v3, v43, v42 bitop3:0x80
	v_not_b32_e32 v42, v49
	v_xor_b32_e32 v9, s6, v9
	v_xor_b32_e32 v43, vcc_lo, v45
	v_cmp_gt_i32_e32 vcc_lo, 0, v48
	v_ashrrev_i32_e32 v45, 31, v46
	v_cmp_gt_i32_e64 s3, 0, v49
	v_ashrrev_i32_e32 v42, 31, v42
	v_mad_u32_u24 v46, 0x44, v44, v2
	v_bitop3_b32 v3, v3, v43, v9 bitop3:0x80
	v_xor_b32_e32 v9, vcc_lo, v45
	s_delay_alu instid0(VALU_DEP_4) | instskip(SKIP_3) | instid1(VALU_DEP_2)
	v_xor_b32_e32 v43, s3, v42
	ds_load_b32 v42, v46 offset:64
	; wave barrier
	v_bitop3_b32 v3, v3, v43, v9 bitop3:0x80
	v_mul_u32_u24_e32 v9, 0x44, v44
	v_mbcnt_lo_u32_b32 v43, v3, 0
	v_cmp_ne_u32_e64 s3, 0, v3
	s_delay_alu instid0(VALU_DEP_3) | instskip(NEXT) | instid1(VALU_DEP_3)
	v_add_nc_u32_e32 v45, v2, v9
	v_cmp_eq_u32_e32 vcc_lo, 0, v43
	s_and_b32 s4, s3, vcc_lo
	s_delay_alu instid0(SALU_CYCLE_1)
	s_and_saveexec_b32 s3, s4
	s_cbranch_execz .LBB2506_43
; %bb.42:
	s_wait_dscnt 0x0
	v_bcnt_u32_b32 v3, v3, v42
	ds_store_b32 v45, v3 offset:64
.LBB2506_43:
	s_or_b32 exec_lo, exec_lo, s3
	v_lshrrev_b32_e32 v3, s16, v8
	; wave barrier
	s_delay_alu instid0(VALU_DEP_1) | instskip(NEXT) | instid1(VALU_DEP_1)
	v_and_b32_e32 v9, s26, v3
	v_lshlrev_b32_e32 v44, 30, v9
	v_bitop3_b32 v8, v3, 1, s26 bitop3:0x80
	s_delay_alu instid0(VALU_DEP_1) | instskip(NEXT) | instid1(VALU_DEP_1)
	v_add_co_u32 v3, s3, v8, -1
	v_cndmask_b32_e64 v8, 0, 1, s3
	s_delay_alu instid0(VALU_DEP_4) | instskip(NEXT) | instid1(VALU_DEP_2)
	v_cmp_gt_i32_e64 s3, 0, v44
	v_cmp_ne_u32_e32 vcc_lo, 0, v8
	v_not_b32_e32 v8, v44
	s_delay_alu instid0(VALU_DEP_1) | instskip(SKIP_3) | instid1(VALU_DEP_4)
	v_dual_ashrrev_i32 v8, 31, v8 :: v_dual_lshlrev_b32 v46, 29, v9
	v_dual_lshlrev_b32 v47, 28, v9 :: v_dual_lshlrev_b32 v48, 27, v9
	v_dual_lshlrev_b32 v49, 26, v9 :: v_dual_lshlrev_b32 v50, 25, v9
	v_lshlrev_b32_e32 v51, 24, v9
	v_cmp_gt_i32_e64 s4, 0, v46
	v_not_b32_e32 v44, v46
	v_not_b32_e32 v46, v47
	v_cmp_gt_i32_e64 s5, 0, v47
	v_xor_b32_e32 v3, vcc_lo, v3
	v_xor_b32_e32 v8, s3, v8
	s_delay_alu instid0(VALU_DEP_4) | instskip(SKIP_3) | instid1(VALU_DEP_4)
	v_dual_ashrrev_i32 v44, 31, v44 :: v_dual_ashrrev_i32 v46, 31, v46
	v_cmp_gt_i32_e64 s6, 0, v48
	v_not_b32_e32 v47, v48
	v_not_b32_e32 v48, v49
	v_xor_b32_e32 v44, s4, v44
	v_xor_b32_e32 v46, s5, v46
	v_bitop3_b32 v3, v3, v8, exec_lo bitop3:0x80
	v_ashrrev_i32_e32 v8, 31, v47
	v_cmp_gt_i32_e32 vcc_lo, 0, v49
	v_ashrrev_i32_e32 v47, 31, v48
	v_not_b32_e32 v48, v50
	v_bitop3_b32 v3, v3, v46, v44 bitop3:0x80
	v_not_b32_e32 v44, v51
	v_xor_b32_e32 v8, s6, v8
	s_delay_alu instid0(VALU_DEP_4)
	v_dual_ashrrev_i32 v47, 31, v48 :: v_dual_bitop2_b32 v46, vcc_lo, v47 bitop3:0x14
	v_cmp_gt_i32_e32 vcc_lo, 0, v50
	v_cmp_gt_i32_e64 s3, 0, v51
	v_ashrrev_i32_e32 v44, 31, v44
	v_mad_u32_u24 v48, 0x44, v9, v2
	v_bitop3_b32 v3, v3, v46, v8 bitop3:0x80
	v_xor_b32_e32 v8, vcc_lo, v47
	s_delay_alu instid0(VALU_DEP_4) | instskip(SKIP_3) | instid1(VALU_DEP_2)
	v_xor_b32_e32 v46, s3, v44
	ds_load_b32 v44, v48 offset:64
	; wave barrier
	v_bitop3_b32 v3, v3, v46, v8 bitop3:0x80
	v_mul_u32_u24_e32 v8, 0x44, v9
	v_mbcnt_lo_u32_b32 v46, v3, 0
	v_cmp_ne_u32_e64 s3, 0, v3
	s_delay_alu instid0(VALU_DEP_3) | instskip(NEXT) | instid1(VALU_DEP_3)
	v_add_nc_u32_e32 v49, v2, v8
	v_cmp_eq_u32_e32 vcc_lo, 0, v46
	s_and_b32 s4, s3, vcc_lo
	s_delay_alu instid0(SALU_CYCLE_1)
	s_and_saveexec_b32 s3, s4
	s_cbranch_execz .LBB2506_45
; %bb.44:
	s_wait_dscnt 0x0
	v_bcnt_u32_b32 v3, v3, v44
	ds_store_b32 v49, v3 offset:64
.LBB2506_45:
	s_or_b32 exec_lo, exec_lo, s3
	v_lshrrev_b32_e32 v3, s16, v7
	; wave barrier
	s_delay_alu instid0(VALU_DEP_1) | instskip(NEXT) | instid1(VALU_DEP_1)
	v_and_b32_e32 v8, s26, v3
	v_lshlrev_b32_e32 v9, 30, v8
	v_bitop3_b32 v7, v3, 1, s26 bitop3:0x80
	v_lshlrev_b32_e32 v47, 29, v8
	s_delay_alu instid0(VALU_DEP_2) | instskip(NEXT) | instid1(VALU_DEP_1)
	v_add_co_u32 v3, s3, v7, -1
	v_cndmask_b32_e64 v7, 0, 1, s3
	v_cmp_gt_i32_e64 s3, 0, v9
	s_delay_alu instid0(VALU_DEP_2) | instskip(SKIP_2) | instid1(VALU_DEP_1)
	v_cmp_ne_u32_e32 vcc_lo, 0, v7
	v_not_b32_e32 v7, v9
	v_not_b32_e32 v9, v47
	v_dual_ashrrev_i32 v9, 31, v9 :: v_dual_lshlrev_b32 v48, 28, v8
	v_dual_lshlrev_b32 v50, 27, v8 :: v_dual_lshlrev_b32 v51, 26, v8
	v_cmp_gt_i32_e64 s4, 0, v47
	v_ashrrev_i32_e32 v7, 31, v7
	s_delay_alu instid0(VALU_DEP_4)
	v_not_b32_e32 v47, v48
	v_cmp_gt_i32_e64 s5, 0, v48
	v_cmp_gt_i32_e64 s6, 0, v50
	v_not_b32_e32 v48, v50
	v_xor_b32_e32 v3, vcc_lo, v3
	v_not_b32_e32 v50, v51
	v_dual_ashrrev_i32 v47, 31, v47 :: v_dual_bitop2_b32 v9, s4, v9 bitop3:0x14
	v_dual_lshlrev_b32 v52, 25, v8 :: v_dual_bitop2_b32 v7, s3, v7 bitop3:0x14
	v_lshlrev_b32_e32 v53, 24, v8
	v_cmp_gt_i32_e32 vcc_lo, 0, v51
	s_delay_alu instid0(VALU_DEP_3) | instskip(SKIP_4) | instid1(VALU_DEP_4)
	v_bitop3_b32 v3, v3, v7, exec_lo bitop3:0x80
	v_dual_ashrrev_i32 v7, 31, v48 :: v_dual_ashrrev_i32 v48, 31, v50
	v_xor_b32_e32 v47, s5, v47
	v_not_b32_e32 v50, v52
	v_cmp_gt_i32_e64 s3, 0, v53
	v_xor_b32_e32 v7, s6, v7
	s_delay_alu instid0(VALU_DEP_4)
	v_bitop3_b32 v3, v3, v47, v9 bitop3:0x80
	v_not_b32_e32 v9, v53
	v_xor_b32_e32 v47, vcc_lo, v48
	v_cmp_gt_i32_e32 vcc_lo, 0, v52
	v_ashrrev_i32_e32 v48, 31, v50
	v_mad_u32_u24 v50, 0x44, v8, v2
	v_ashrrev_i32_e32 v9, 31, v9
	v_bitop3_b32 v3, v3, v47, v7 bitop3:0x80
	s_delay_alu instid0(VALU_DEP_4) | instskip(SKIP_2) | instid1(VALU_DEP_1)
	v_xor_b32_e32 v7, vcc_lo, v48
	ds_load_b32 v47, v50 offset:64
	v_xor_b32_e32 v9, s3, v9
	; wave barrier
	v_bitop3_b32 v3, v3, v9, v7 bitop3:0x80
	v_mul_u32_u24_e32 v7, 0x44, v8
	s_delay_alu instid0(VALU_DEP_2) | instskip(SKIP_1) | instid1(VALU_DEP_3)
	v_mbcnt_lo_u32_b32 v48, v3, 0
	v_cmp_ne_u32_e64 s3, 0, v3
	v_add_nc_u32_e32 v52, v2, v7
	s_delay_alu instid0(VALU_DEP_3) | instskip(SKIP_1) | instid1(SALU_CYCLE_1)
	v_cmp_eq_u32_e32 vcc_lo, 0, v48
	s_and_b32 s4, s3, vcc_lo
	s_and_saveexec_b32 s3, s4
	s_cbranch_execz .LBB2506_47
; %bb.46:
	s_wait_dscnt 0x0
	v_bcnt_u32_b32 v3, v3, v47
	ds_store_b32 v52, v3 offset:64
.LBB2506_47:
	s_or_b32 exec_lo, exec_lo, s3
	v_lshrrev_b32_e32 v3, s16, v6
	; wave barrier
	s_delay_alu instid0(VALU_DEP_1) | instskip(NEXT) | instid1(VALU_DEP_1)
	v_and_b32_e32 v7, s26, v3
	v_lshlrev_b32_e32 v8, 30, v7
	v_bitop3_b32 v6, v3, 1, s26 bitop3:0x80
	s_delay_alu instid0(VALU_DEP_1) | instskip(NEXT) | instid1(VALU_DEP_1)
	v_add_co_u32 v3, s3, v6, -1
	v_cndmask_b32_e64 v6, 0, 1, s3
	s_delay_alu instid0(VALU_DEP_4) | instskip(NEXT) | instid1(VALU_DEP_2)
	v_cmp_gt_i32_e64 s3, 0, v8
	v_cmp_ne_u32_e32 vcc_lo, 0, v6
	v_not_b32_e32 v6, v8
	s_delay_alu instid0(VALU_DEP_1) | instskip(SKIP_3) | instid1(VALU_DEP_4)
	v_dual_ashrrev_i32 v6, 31, v6 :: v_dual_lshlrev_b32 v9, 29, v7
	v_dual_lshlrev_b32 v50, 28, v7 :: v_dual_lshlrev_b32 v51, 27, v7
	v_dual_lshlrev_b32 v53, 26, v7 :: v_dual_lshlrev_b32 v54, 25, v7
	v_lshlrev_b32_e32 v55, 24, v7
	v_cmp_gt_i32_e64 s4, 0, v9
	v_not_b32_e32 v8, v9
	v_not_b32_e32 v9, v50
	v_cmp_gt_i32_e64 s5, 0, v50
	v_xor_b32_e32 v3, vcc_lo, v3
	s_delay_alu instid0(VALU_DEP_4) | instskip(NEXT) | instid1(VALU_DEP_4)
	v_dual_ashrrev_i32 v8, 31, v8 :: v_dual_bitop2_b32 v6, s3, v6 bitop3:0x14
	v_ashrrev_i32_e32 v9, 31, v9
	v_cmp_gt_i32_e64 s6, 0, v51
	v_not_b32_e32 v50, v51
	v_not_b32_e32 v51, v53
	v_xor_b32_e32 v8, s4, v8
	v_xor_b32_e32 v9, s5, v9
	v_bitop3_b32 v3, v3, v6, exec_lo bitop3:0x80
	v_ashrrev_i32_e32 v6, 31, v50
	v_cmp_gt_i32_e32 vcc_lo, 0, v53
	v_ashrrev_i32_e32 v50, 31, v51
	v_not_b32_e32 v51, v54
	v_bitop3_b32 v3, v3, v9, v8 bitop3:0x80
	v_not_b32_e32 v8, v55
	v_xor_b32_e32 v6, s6, v6
	v_xor_b32_e32 v9, vcc_lo, v50
	v_cmp_gt_i32_e32 vcc_lo, 0, v54
	v_ashrrev_i32_e32 v50, 31, v51
	v_cmp_gt_i32_e64 s3, 0, v55
	v_ashrrev_i32_e32 v8, 31, v8
	v_mad_u32_u24 v51, 0x44, v7, v2
	v_bitop3_b32 v3, v3, v9, v6 bitop3:0x80
	v_xor_b32_e32 v6, vcc_lo, v50
	s_delay_alu instid0(VALU_DEP_4) | instskip(SKIP_3) | instid1(VALU_DEP_2)
	v_xor_b32_e32 v8, s3, v8
	ds_load_b32 v50, v51 offset:64
	; wave barrier
	v_bitop3_b32 v3, v3, v8, v6 bitop3:0x80
	v_mul_u32_u24_e32 v6, 0x44, v7
	v_mbcnt_lo_u32_b32 v51, v3, 0
	v_cmp_ne_u32_e64 s3, 0, v3
	s_delay_alu instid0(VALU_DEP_3) | instskip(NEXT) | instid1(VALU_DEP_3)
	v_add_nc_u32_e32 v55, v2, v6
	v_cmp_eq_u32_e32 vcc_lo, 0, v51
	s_and_b32 s4, s3, vcc_lo
	s_delay_alu instid0(SALU_CYCLE_1)
	s_and_saveexec_b32 s3, s4
	s_cbranch_execz .LBB2506_49
; %bb.48:
	s_wait_dscnt 0x0
	v_bcnt_u32_b32 v3, v3, v50
	ds_store_b32 v55, v3 offset:64
.LBB2506_49:
	s_or_b32 exec_lo, exec_lo, s3
	v_lshrrev_b32_e32 v3, s16, v5
	; wave barrier
	s_delay_alu instid0(VALU_DEP_1) | instskip(NEXT) | instid1(VALU_DEP_1)
	v_and_b32_e32 v6, s26, v3
	v_lshlrev_b32_e32 v7, 30, v6
	v_bitop3_b32 v5, v3, 1, s26 bitop3:0x80
	s_delay_alu instid0(VALU_DEP_1) | instskip(NEXT) | instid1(VALU_DEP_1)
	v_add_co_u32 v3, s3, v5, -1
	v_cndmask_b32_e64 v5, 0, 1, s3
	s_delay_alu instid0(VALU_DEP_4) | instskip(NEXT) | instid1(VALU_DEP_2)
	v_cmp_gt_i32_e64 s3, 0, v7
	v_cmp_ne_u32_e32 vcc_lo, 0, v5
	v_not_b32_e32 v5, v7
	s_delay_alu instid0(VALU_DEP_1) | instskip(SKIP_3) | instid1(VALU_DEP_4)
	v_dual_ashrrev_i32 v5, 31, v5 :: v_dual_lshlrev_b32 v8, 29, v6
	v_dual_lshlrev_b32 v9, 28, v6 :: v_dual_lshlrev_b32 v53, 27, v6
	v_dual_lshlrev_b32 v54, 26, v6 :: v_dual_lshlrev_b32 v56, 25, v6
	v_lshlrev_b32_e32 v57, 24, v6
	v_cmp_gt_i32_e64 s4, 0, v8
	v_not_b32_e32 v7, v8
	v_not_b32_e32 v8, v9
	v_cmp_gt_i32_e64 s5, 0, v9
	v_xor_b32_e32 v3, vcc_lo, v3
	s_delay_alu instid0(VALU_DEP_4) | instskip(NEXT) | instid1(VALU_DEP_4)
	v_dual_ashrrev_i32 v7, 31, v7 :: v_dual_bitop2_b32 v5, s3, v5 bitop3:0x14
	v_ashrrev_i32_e32 v8, 31, v8
	v_cmp_gt_i32_e64 s6, 0, v53
	v_not_b32_e32 v9, v53
	v_not_b32_e32 v53, v54
	v_xor_b32_e32 v7, s4, v7
	v_xor_b32_e32 v8, s5, v8
	v_bitop3_b32 v3, v3, v5, exec_lo bitop3:0x80
	v_ashrrev_i32_e32 v5, 31, v9
	v_cmp_gt_i32_e32 vcc_lo, 0, v54
	v_ashrrev_i32_e32 v9, 31, v53
	v_not_b32_e32 v53, v56
	v_bitop3_b32 v3, v3, v8, v7 bitop3:0x80
	v_not_b32_e32 v7, v57
	v_xor_b32_e32 v5, s6, v5
	v_xor_b32_e32 v8, vcc_lo, v9
	v_cmp_gt_i32_e32 vcc_lo, 0, v56
	v_cmp_gt_i32_e64 s3, 0, v57
	v_dual_ashrrev_i32 v7, 31, v7 :: v_dual_ashrrev_i32 v9, 31, v53
	v_mad_u32_u24 v53, 0x44, v6, v2
	v_bitop3_b32 v3, v3, v8, v5 bitop3:0x80
	s_delay_alu instid0(VALU_DEP_3) | instskip(NEXT) | instid1(VALU_DEP_4)
	v_xor_b32_e32 v7, s3, v7
	v_xor_b32_e32 v5, vcc_lo, v9
	ds_load_b32 v53, v53 offset:64
	; wave barrier
	v_bitop3_b32 v3, v3, v7, v5 bitop3:0x80
	v_mul_u32_u24_e32 v5, 0x44, v6
	s_delay_alu instid0(VALU_DEP_2) | instskip(SKIP_1) | instid1(VALU_DEP_3)
	v_mbcnt_lo_u32_b32 v54, v3, 0
	v_cmp_ne_u32_e64 s3, 0, v3
	v_add_nc_u32_e32 v58, v2, v5
	s_delay_alu instid0(VALU_DEP_3) | instskip(SKIP_1) | instid1(SALU_CYCLE_1)
	v_cmp_eq_u32_e32 vcc_lo, 0, v54
	s_and_b32 s4, s3, vcc_lo
	s_and_saveexec_b32 s3, s4
	s_cbranch_execz .LBB2506_51
; %bb.50:
	s_wait_dscnt 0x0
	v_bcnt_u32_b32 v3, v3, v53
	ds_store_b32 v58, v3 offset:64
.LBB2506_51:
	s_or_b32 exec_lo, exec_lo, s3
	v_lshrrev_b32_e32 v3, s16, v4
	; wave barrier
	s_delay_alu instid0(VALU_DEP_1) | instskip(NEXT) | instid1(VALU_DEP_1)
	v_and_b32_e32 v5, s26, v3
	v_lshlrev_b32_e32 v6, 30, v5
	v_bitop3_b32 v4, v3, 1, s26 bitop3:0x80
	s_delay_alu instid0(VALU_DEP_1) | instskip(NEXT) | instid1(VALU_DEP_1)
	v_add_co_u32 v3, s3, v4, -1
	v_cndmask_b32_e64 v4, 0, 1, s3
	s_delay_alu instid0(VALU_DEP_4) | instskip(NEXT) | instid1(VALU_DEP_2)
	v_cmp_gt_i32_e64 s3, 0, v6
	v_cmp_ne_u32_e32 vcc_lo, 0, v4
	v_not_b32_e32 v4, v6
	s_delay_alu instid0(VALU_DEP_1) | instskip(SKIP_3) | instid1(VALU_DEP_4)
	v_dual_ashrrev_i32 v4, 31, v4 :: v_dual_lshlrev_b32 v7, 29, v5
	v_dual_lshlrev_b32 v8, 28, v5 :: v_dual_lshlrev_b32 v9, 27, v5
	v_dual_lshlrev_b32 v56, 26, v5 :: v_dual_lshlrev_b32 v57, 25, v5
	v_lshlrev_b32_e32 v59, 24, v5
	v_cmp_gt_i32_e64 s4, 0, v7
	v_not_b32_e32 v6, v7
	v_not_b32_e32 v7, v8
	v_cmp_gt_i32_e64 s5, 0, v8
	v_xor_b32_e32 v3, vcc_lo, v3
	s_delay_alu instid0(VALU_DEP_4) | instskip(NEXT) | instid1(VALU_DEP_4)
	v_dual_ashrrev_i32 v6, 31, v6 :: v_dual_bitop2_b32 v4, s3, v4 bitop3:0x14
	v_ashrrev_i32_e32 v7, 31, v7
	v_cmp_gt_i32_e64 s6, 0, v9
	v_not_b32_e32 v8, v9
	v_not_b32_e32 v9, v56
	v_xor_b32_e32 v6, s4, v6
	v_xor_b32_e32 v7, s5, v7
	v_bitop3_b32 v3, v3, v4, exec_lo bitop3:0x80
	v_ashrrev_i32_e32 v4, 31, v8
	v_cmp_gt_i32_e32 vcc_lo, 0, v56
	v_ashrrev_i32_e32 v8, 31, v9
	v_not_b32_e32 v9, v57
	v_bitop3_b32 v3, v3, v7, v6 bitop3:0x80
	v_not_b32_e32 v6, v59
	v_xor_b32_e32 v4, s6, v4
	v_xor_b32_e32 v7, vcc_lo, v8
	v_cmp_gt_i32_e32 vcc_lo, 0, v57
	v_ashrrev_i32_e32 v8, 31, v9
	v_cmp_gt_i32_e64 s3, 0, v59
	v_ashrrev_i32_e32 v6, 31, v6
	v_mad_u32_u24 v9, 0x44, v5, v2
	v_bitop3_b32 v3, v3, v7, v4 bitop3:0x80
	v_xor_b32_e32 v4, vcc_lo, v8
	s_delay_alu instid0(VALU_DEP_4) | instskip(SKIP_3) | instid1(VALU_DEP_2)
	v_xor_b32_e32 v6, s3, v6
	ds_load_b32 v56, v9 offset:64
	; wave barrier
	v_bitop3_b32 v3, v3, v6, v4 bitop3:0x80
	v_mul_u32_u24_e32 v4, 0x44, v5
	v_mbcnt_lo_u32_b32 v57, v3, 0
	v_cmp_ne_u32_e64 s3, 0, v3
	s_delay_alu instid0(VALU_DEP_3) | instskip(NEXT) | instid1(VALU_DEP_3)
	v_add_nc_u32_e32 v59, v2, v4
	v_cmp_eq_u32_e32 vcc_lo, 0, v57
	s_and_b32 s4, s3, vcc_lo
	s_delay_alu instid0(SALU_CYCLE_1)
	s_and_saveexec_b32 s3, s4
	s_cbranch_execz .LBB2506_53
; %bb.52:
	s_wait_dscnt 0x0
	v_bcnt_u32_b32 v2, v3, v56
	ds_store_b32 v59, v2 offset:64
.LBB2506_53:
	s_or_b32 exec_lo, exec_lo, s3
	; wave barrier
	s_wait_dscnt 0x0
	s_barrier_signal -1
	s_barrier_wait -1
	ds_load_2addr_b32 v[8:9], v25 offset0:16 offset1:17
	ds_load_2addr_b32 v[6:7], v25 offset0:18 offset1:19
	;; [unrolled: 1-line block ×4, first 2 shown]
	ds_load_b32 v60, v25 offset:96
	s_mov_b32 s27, exec_lo
	s_wait_dscnt 0x3
	v_add3_u32 v61, v9, v8, v6
	s_wait_dscnt 0x2
	s_delay_alu instid0(VALU_DEP_1) | instskip(SKIP_1) | instid1(VALU_DEP_1)
	v_add3_u32 v61, v61, v7, v4
	s_wait_dscnt 0x1
	v_add3_u32 v61, v61, v5, v2
	s_wait_dscnt 0x0
	s_delay_alu instid0(VALU_DEP_1) | instskip(SKIP_1) | instid1(VALU_DEP_2)
	v_add3_u32 v60, v61, v3, v60
	v_and_b32_e32 v61, 15, v15
	v_mov_b32_dpp v62, v60 row_shr:1 row_mask:0xf bank_mask:0xf
	s_delay_alu instid0(VALU_DEP_2) | instskip(NEXT) | instid1(VALU_DEP_2)
	v_cmp_eq_u32_e32 vcc_lo, 0, v61
	v_cndmask_b32_e64 v62, v62, 0, vcc_lo
	s_delay_alu instid0(VALU_DEP_1) | instskip(SKIP_3) | instid1(VALU_DEP_4)
	v_add_nc_u32_e32 v60, v62, v60
	v_cmp_lt_u32_e64 s3, 1, v61
	v_cmp_lt_u32_e64 s4, 3, v61
	v_cmp_lt_u32_e64 s5, 7, v61
	v_mov_b32_dpp v62, v60 row_shr:2 row_mask:0xf bank_mask:0xf
	s_delay_alu instid0(VALU_DEP_1) | instskip(NEXT) | instid1(VALU_DEP_1)
	v_cndmask_b32_e64 v62, 0, v62, s3
	v_add_nc_u32_e32 v60, v60, v62
	s_delay_alu instid0(VALU_DEP_1) | instskip(NEXT) | instid1(VALU_DEP_1)
	v_mov_b32_dpp v62, v60 row_shr:4 row_mask:0xf bank_mask:0xf
	v_cndmask_b32_e64 v62, 0, v62, s4
	s_delay_alu instid0(VALU_DEP_1) | instskip(NEXT) | instid1(VALU_DEP_1)
	v_add_nc_u32_e32 v60, v60, v62
	v_mov_b32_dpp v62, v60 row_shr:8 row_mask:0xf bank_mask:0xf
	s_delay_alu instid0(VALU_DEP_1) | instskip(SKIP_1) | instid1(VALU_DEP_2)
	v_cndmask_b32_e64 v61, 0, v62, s5
	v_bfe_i32 v62, v15, 4, 1
	v_add_nc_u32_e32 v60, v60, v61
	ds_swizzle_b32 v61, v60 offset:swizzle(BROADCAST,32,15)
	s_wait_dscnt 0x0
	v_and_b32_e32 v61, v62, v61
	v_min_u32_e32 v62, 0x1e0, v16
	s_delay_alu instid0(VALU_DEP_2) | instskip(NEXT) | instid1(VALU_DEP_2)
	v_dual_add_nc_u32 v60, v60, v61 :: v_dual_lshrrev_b32 v61, 5, v14
	v_or_b32_e32 v62, 31, v62
	s_delay_alu instid0(VALU_DEP_1)
	v_cmpx_eq_u32_e64 v14, v62
; %bb.54:
	s_delay_alu instid0(VALU_DEP_3)
	v_lshlrev_b32_e32 v62, 2, v61
	ds_store_b32 v62, v60
; %bb.55:
	s_or_b32 exec_lo, exec_lo, s27
	s_delay_alu instid0(SALU_CYCLE_1)
	s_mov_b32 s27, exec_lo
	s_wait_dscnt 0x0
	s_barrier_signal -1
	s_barrier_wait -1
	v_cmpx_gt_u32_e32 16, v14
	s_cbranch_execz .LBB2506_57
; %bb.56:
	v_lshlrev_b32_e32 v62, 2, v14
	ds_load_b32 v63, v62
	s_wait_dscnt 0x0
	v_mov_b32_dpp v64, v63 row_shr:1 row_mask:0xf bank_mask:0xf
	s_delay_alu instid0(VALU_DEP_1) | instskip(NEXT) | instid1(VALU_DEP_1)
	v_cndmask_b32_e64 v64, v64, 0, vcc_lo
	v_add_nc_u32_e32 v63, v64, v63
	s_delay_alu instid0(VALU_DEP_1) | instskip(NEXT) | instid1(VALU_DEP_1)
	v_mov_b32_dpp v64, v63 row_shr:2 row_mask:0xf bank_mask:0xf
	v_cndmask_b32_e64 v64, 0, v64, s3
	s_delay_alu instid0(VALU_DEP_1) | instskip(NEXT) | instid1(VALU_DEP_1)
	v_add_nc_u32_e32 v63, v63, v64
	v_mov_b32_dpp v64, v63 row_shr:4 row_mask:0xf bank_mask:0xf
	s_delay_alu instid0(VALU_DEP_1) | instskip(NEXT) | instid1(VALU_DEP_1)
	v_cndmask_b32_e64 v64, 0, v64, s4
	v_add_nc_u32_e32 v63, v63, v64
	s_delay_alu instid0(VALU_DEP_1) | instskip(NEXT) | instid1(VALU_DEP_1)
	v_mov_b32_dpp v64, v63 row_shr:8 row_mask:0xf bank_mask:0xf
	v_cndmask_b32_e64 v64, 0, v64, s5
	s_delay_alu instid0(VALU_DEP_1)
	v_add_nc_u32_e32 v63, v63, v64
	ds_store_b32 v62, v63
.LBB2506_57:
	s_or_b32 exec_lo, exec_lo, s27
	v_mov_b32_e32 v62, 0
	s_mov_b32 s3, exec_lo
	s_wait_dscnt 0x0
	s_barrier_signal -1
	s_barrier_wait -1
	v_cmpx_lt_u32_e32 31, v14
; %bb.58:
	v_lshl_add_u32 v61, v61, 2, -4
	ds_load_b32 v62, v61
; %bb.59:
	s_or_b32 exec_lo, exec_lo, s3
	v_sub_co_u32 v61, vcc_lo, v15, 1
	s_wait_dscnt 0x0
	v_add_nc_u32_e32 v60, v62, v60
	s_delay_alu instid0(VALU_DEP_2) | instskip(NEXT) | instid1(VALU_DEP_1)
	v_cmp_gt_i32_e64 s3, 0, v61
	v_cndmask_b32_e64 v61, v61, v15, s3
	v_cmp_gt_u32_e64 s3, 0x100, v14
	s_delay_alu instid0(VALU_DEP_2) | instskip(SKIP_4) | instid1(VALU_DEP_2)
	v_lshlrev_b32_e32 v61, 2, v61
	ds_bpermute_b32 v60, v61, v60
	s_wait_dscnt 0x0
	v_cndmask_b32_e32 v60, v60, v62, vcc_lo
	v_cmp_lt_u32_e32 vcc_lo, 0xff, v14
	v_cndmask_b32_e64 v60, v60, 0, s2
	s_delay_alu instid0(VALU_DEP_1) | instskip(NEXT) | instid1(VALU_DEP_1)
	v_add_nc_u32_e32 v8, v60, v8
	v_add_nc_u32_e32 v9, v8, v9
	s_delay_alu instid0(VALU_DEP_1) | instskip(NEXT) | instid1(VALU_DEP_1)
	v_add_nc_u32_e32 v6, v9, v6
	v_add_nc_u32_e32 v7, v6, v7
	;; [unrolled: 3-line block ×4, first 2 shown]
	ds_store_2addr_b32 v25, v60, v8 offset0:16 offset1:17
	ds_store_2addr_b32 v25, v9, v6 offset0:18 offset1:19
	;; [unrolled: 1-line block ×4, first 2 shown]
	ds_store_b32 v25, v3 offset:96
	s_wait_dscnt 0x0
	s_barrier_signal -1
	s_barrier_wait -1
	ds_load_b32 v61, v26 offset:64
	ds_load_b32 v62, v29 offset:64
	;; [unrolled: 1-line block ×12, first 2 shown]
	v_mov_b64_e32 v[2:3], 0
                                        ; implicit-def: $vgpr4
	s_and_saveexec_b32 s5, s3
	s_cbranch_execz .LBB2506_63
; %bb.60:
	v_mul_u32_u24_e32 v2, 0x44, v14
	v_dual_mov_b32 v3, 0x1800 :: v_dual_add_nc_u32 v4, 1, v14
	s_mov_b32 s6, exec_lo
	ds_load_b32 v2, v2 offset:64
	v_cmpx_ne_u32_e32 0x100, v4
; %bb.61:
	v_mul_u32_u24_e32 v3, 0x44, v4
	ds_load_b32 v3, v3 offset:64
; %bb.62:
	s_or_b32 exec_lo, exec_lo, s6
	s_wait_dscnt 0x0
	v_dual_mov_b32 v3, 0 :: v_dual_sub_nc_u32 v4, v3, v2
.LBB2506_63:
	s_or_b32 exec_lo, exec_lo, s5
	s_wait_dscnt 0xa
	v_dual_lshlrev_b32 v24, 1, v24 :: v_dual_lshlrev_b32 v35, 1, v62
	v_dual_lshlrev_b32 v28, 1, v28 :: v_dual_lshlrev_b32 v27, 1, v27
	v_lshlrev_b32_e32 v30, 1, v30
	s_delay_alu instid0(VALU_DEP_3)
	v_lshl_add_u32 v24, v61, 1, v24
	v_lshlrev_b32_e32 v31, 1, v31
	s_wait_dscnt 0x0
	v_add3_u32 v27, v35, v28, v27
	v_lshlrev_b32_e32 v28, 1, v60
	s_barrier_signal -1
	s_barrier_wait -1
	ds_store_b16 v24, v10 offset:2048
	ds_store_b16 v27, v1 offset:2048
	v_lshlrev_b32_e32 v10, 1, v32
	v_add3_u32 v1, v28, v31, v30
	v_dual_lshlrev_b32 v24, 1, v34 :: v_dual_lshlrev_b32 v27, 1, v33
	v_dual_lshlrev_b32 v28, 1, v29 :: v_dual_lshlrev_b32 v30, 1, v36
	;; [unrolled: 1-line block ×6, first 2 shown]
	ds_store_b16 v1, v12 offset:2048
	v_add3_u32 v1, v10, v24, v27
	v_add3_u32 v12, v26, v31, v32
	;; [unrolled: 1-line block ×3, first 2 shown]
	v_dual_lshlrev_b32 v25, 1, v46 :: v_dual_lshlrev_b32 v26, 1, v44
	v_add3_u32 v10, v28, v29, v30
	ds_store_b16 v1, v11 offset:2048
	ds_store_b16 v10, v17 offset:2048
	;; [unrolled: 1-line block ×4, first 2 shown]
	v_add3_u32 v1, v9, v25, v26
	v_dual_lshlrev_b32 v8, 1, v8 :: v_dual_lshlrev_b32 v10, 1, v47
	v_dual_lshlrev_b32 v9, 1, v48 :: v_dual_lshlrev_b32 v7, 1, v7
	;; [unrolled: 1-line block ×6, first 2 shown]
	ds_store_b16 v1, v18 offset:2048
	v_add3_u32 v8, v8, v9, v10
	v_add3_u32 v9, v7, v11, v12
	v_dual_mov_b32 v7, 0 :: v_dual_lshlrev_b32 v1, 3, v14
	v_add3_u32 v6, v6, v13, v17
	v_add3_u32 v5, v5, v19, v24
	ds_store_b16 v8, v21 offset:2048
	ds_store_b16 v9, v20 offset:2048
	;; [unrolled: 1-line block ×4, first 2 shown]
	s_and_saveexec_b32 s4, s3
	s_cbranch_execz .LBB2506_73
; %bb.64:
	v_lshl_add_u32 v6, s19, 8, v14
	v_dual_mov_b32 v10, 0 :: v_dual_bitop2_b32 v5, 2.0, v4 bitop3:0x54
	s_mov_b32 s5, 0
	s_mov_b32 s6, s19
	s_delay_alu instid0(VALU_DEP_2)
	v_lshl_add_u64 v[8:9], v[6:7], 2, s[20:21]
	global_store_b32 v6, v5, s[20:21] scale_offset scope:SCOPE_DEV
                                        ; implicit-def: $sgpr3
	s_branch .LBB2506_67
.LBB2506_65:                            ;   in Loop: Header=BB2506_67 Depth=1
	s_or_b32 exec_lo, exec_lo, s28
.LBB2506_66:                            ;   in Loop: Header=BB2506_67 Depth=1
	s_delay_alu instid0(SALU_CYCLE_1) | instskip(SKIP_2) | instid1(VALU_DEP_2)
	s_or_b32 exec_lo, exec_lo, s27
	v_and_b32_e32 v6, 0x3fffffff, v5
	v_cmp_gt_i32_e64 s3, -2.0, v5
	v_add_nc_u32_e32 v10, v6, v10
	s_and_b32 s27, exec_lo, s3
	s_delay_alu instid0(SALU_CYCLE_1) | instskip(NEXT) | instid1(SALU_CYCLE_1)
	s_or_b32 s5, s27, s5
	s_and_not1_b32 exec_lo, exec_lo, s5
	s_cbranch_execz .LBB2506_72
.LBB2506_67:                            ; =>This Loop Header: Depth=1
                                        ;     Child Loop BB2506_70 Depth 2
	s_or_b32 s3, s3, exec_lo
	s_cmp_eq_u32 s6, 0
	s_cbranch_scc1 .LBB2506_71
; %bb.68:                               ;   in Loop: Header=BB2506_67 Depth=1
	s_add_co_i32 s6, s6, -1
	s_mov_b32 s27, exec_lo
	s_wait_xcnt 0x0
	v_lshl_or_b32 v6, s6, 8, v14
	global_load_b32 v5, v6, s[20:21] scale_offset scope:SCOPE_DEV
	s_wait_loadcnt 0x0
	v_cmpx_gt_u32_e32 2.0, v5
	s_cbranch_execz .LBB2506_66
; %bb.69:                               ;   in Loop: Header=BB2506_67 Depth=1
	v_lshl_add_u64 v[12:13], v[6:7], 2, s[20:21]
	s_mov_b32 s28, 0
.LBB2506_70:                            ;   Parent Loop BB2506_67 Depth=1
                                        ; =>  This Inner Loop Header: Depth=2
	global_load_b32 v5, v[12:13], off scope:SCOPE_DEV
	s_wait_loadcnt 0x0
	v_cmp_lt_u32_e64 s3, 0x3fffffff, v5
	s_or_b32 s28, s3, s28
	s_wait_xcnt 0x0
	s_and_not1_b32 exec_lo, exec_lo, s28
	s_cbranch_execnz .LBB2506_70
	s_branch .LBB2506_65
.LBB2506_71:                            ;   in Loop: Header=BB2506_67 Depth=1
                                        ; implicit-def: $sgpr6
	s_and_b32 s27, exec_lo, s3
	s_delay_alu instid0(SALU_CYCLE_1)
	s_or_b32 s5, s27, s5
	s_wait_xcnt 0x0
	s_and_not1_b32 exec_lo, exec_lo, s5
	s_cbranch_execnz .LBB2506_67
.LBB2506_72:
	s_or_b32 exec_lo, exec_lo, s5
	v_dual_add_nc_u32 v5, v10, v4 :: v_dual_mov_b32 v11, 0
	s_delay_alu instid0(VALU_DEP_1)
	v_or_b32_e32 v5, 0x80000000, v5
	global_store_b32 v[8:9], v5, off scope:SCOPE_DEV
	global_load_b64 v[6:7], v14, s[8:9] scale_offset
	s_wait_xcnt 0x1
	v_sub_nc_u64_e32 v[8:9], v[10:11], v[2:3]
	s_wait_loadcnt 0x0
	s_delay_alu instid0(VALU_DEP_1)
	v_add_nc_u64_e32 v[6:7], v[8:9], v[6:7]
	ds_store_b64 v1, v[6:7]
.LBB2506_73:
	s_wait_xcnt 0x0
	s_or_b32 exec_lo, exec_lo, s4
	v_mad_i32_i24 v5, v14, -6, v1
	s_mov_b32 s4, exec_lo
	s_wait_storecnt_dscnt 0x0
	s_barrier_signal -1
	s_barrier_wait -1
	v_cmpx_gt_u32_e64 s18, v14
	s_cbranch_execz .LBB2506_75
; %bb.74:
	ds_load_u16 v10, v5 offset:2048
	v_dual_mov_b32 v9, 0 :: v_dual_lshlrev_b32 v8, 1, v14
	s_wait_dscnt 0x0
	v_and_b32_e32 v6, 0xffff, v10
	s_delay_alu instid0(VALU_DEP_1) | instskip(NEXT) | instid1(VALU_DEP_1)
	v_lshrrev_b32_e32 v6, s16, v6
	v_and_b32_e32 v6, s26, v6
	s_delay_alu instid0(VALU_DEP_1) | instskip(SKIP_3) | instid1(VALU_DEP_1)
	v_lshlrev_b32_e32 v6, 3, v6
	ds_load_b64 v[6:7], v6
	s_wait_dscnt 0x0
	v_lshl_add_u64 v[6:7], v[6:7], 1, s[14:15]
	v_add_nc_u64_e32 v[6:7], v[6:7], v[8:9]
	global_store_b16 v[6:7], v10, off
.LBB2506_75:
	s_wait_xcnt 0x0
	s_or_b32 exec_lo, exec_lo, s4
	v_add_nc_u32_e32 v6, 0x200, v14
	s_mov_b32 s4, exec_lo
	s_delay_alu instid0(VALU_DEP_1)
	v_cmpx_gt_u32_e64 s18, v6
	s_cbranch_execz .LBB2506_77
; %bb.76:
	ds_load_u16 v10, v5 offset:3072
	v_dual_mov_b32 v9, 0 :: v_dual_lshlrev_b32 v8, 1, v14
	s_wait_dscnt 0x0
	v_and_b32_e32 v6, 0xffff, v10
	s_delay_alu instid0(VALU_DEP_1) | instskip(NEXT) | instid1(VALU_DEP_1)
	v_lshrrev_b32_e32 v6, s16, v6
	v_and_b32_e32 v6, s26, v6
	s_delay_alu instid0(VALU_DEP_1) | instskip(SKIP_3) | instid1(VALU_DEP_1)
	v_lshlrev_b32_e32 v6, 3, v6
	ds_load_b64 v[6:7], v6
	s_wait_dscnt 0x0
	v_lshl_add_u64 v[6:7], v[6:7], 1, s[14:15]
	v_add_nc_u64_e32 v[6:7], v[6:7], v[8:9]
	global_store_b16 v[6:7], v10, off offset:1024
.LBB2506_77:
	s_wait_xcnt 0x0
	s_or_b32 exec_lo, exec_lo, s4
	v_or_b32_e32 v6, 0x400, v14
	s_mov_b32 s4, exec_lo
	s_delay_alu instid0(VALU_DEP_1)
	v_cmpx_gt_u32_e64 s18, v6
	s_cbranch_execz .LBB2506_79
; %bb.78:
	ds_load_u16 v10, v5 offset:4096
	v_dual_mov_b32 v9, 0 :: v_dual_lshlrev_b32 v8, 1, v14
	s_wait_dscnt 0x0
	v_and_b32_e32 v6, 0xffff, v10
	s_delay_alu instid0(VALU_DEP_1) | instskip(NEXT) | instid1(VALU_DEP_1)
	v_lshrrev_b32_e32 v6, s16, v6
	v_and_b32_e32 v6, s26, v6
	s_delay_alu instid0(VALU_DEP_1) | instskip(SKIP_3) | instid1(VALU_DEP_1)
	v_lshlrev_b32_e32 v6, 3, v6
	ds_load_b64 v[6:7], v6
	s_wait_dscnt 0x0
	v_lshl_add_u64 v[6:7], v[6:7], 1, s[14:15]
	v_add_nc_u64_e32 v[6:7], v[6:7], v[8:9]
	global_store_b16 v[6:7], v10, off offset:2048
.LBB2506_79:
	s_wait_xcnt 0x0
	s_or_b32 exec_lo, exec_lo, s4
	v_add_nc_u32_e32 v6, 0x600, v14
	s_mov_b32 s4, exec_lo
	s_delay_alu instid0(VALU_DEP_1)
	v_cmpx_gt_u32_e64 s18, v6
	s_cbranch_execz .LBB2506_81
; %bb.80:
	ds_load_u16 v10, v5 offset:5120
	v_dual_mov_b32 v9, 0 :: v_dual_lshlrev_b32 v8, 1, v14
	s_wait_dscnt 0x0
	v_and_b32_e32 v6, 0xffff, v10
	s_delay_alu instid0(VALU_DEP_1) | instskip(NEXT) | instid1(VALU_DEP_1)
	v_lshrrev_b32_e32 v6, s16, v6
	v_and_b32_e32 v6, s26, v6
	s_delay_alu instid0(VALU_DEP_1) | instskip(SKIP_3) | instid1(VALU_DEP_1)
	v_lshlrev_b32_e32 v6, 3, v6
	ds_load_b64 v[6:7], v6
	s_wait_dscnt 0x0
	v_lshl_add_u64 v[6:7], v[6:7], 1, s[14:15]
	v_add_nc_u64_e32 v[6:7], v[6:7], v[8:9]
	global_store_b16 v[6:7], v10, off offset:3072
.LBB2506_81:
	s_wait_xcnt 0x0
	s_or_b32 exec_lo, exec_lo, s4
	v_or_b32_e32 v6, 0x800, v14
	s_mov_b32 s4, exec_lo
	s_delay_alu instid0(VALU_DEP_1)
	v_cmpx_gt_u32_e64 s18, v6
	s_cbranch_execz .LBB2506_83
; %bb.82:
	ds_load_u16 v10, v5 offset:6144
	v_dual_mov_b32 v9, 0 :: v_dual_lshlrev_b32 v8, 1, v14
	s_wait_dscnt 0x0
	v_and_b32_e32 v6, 0xffff, v10
	s_delay_alu instid0(VALU_DEP_1) | instskip(NEXT) | instid1(VALU_DEP_1)
	v_lshrrev_b32_e32 v6, s16, v6
	v_and_b32_e32 v6, s26, v6
	s_delay_alu instid0(VALU_DEP_1) | instskip(SKIP_3) | instid1(VALU_DEP_1)
	v_lshlrev_b32_e32 v6, 3, v6
	ds_load_b64 v[6:7], v6
	s_wait_dscnt 0x0
	v_lshl_add_u64 v[6:7], v[6:7], 1, s[14:15]
	v_add_nc_u64_e32 v[6:7], v[6:7], v[8:9]
	global_store_b16 v[6:7], v10, off offset:4096
.LBB2506_83:
	;; [unrolled: 46-line block ×3, first 2 shown]
	s_wait_xcnt 0x0
	s_or_b32 exec_lo, exec_lo, s4
	v_add_nc_u32_e32 v6, 0xe00, v14
	s_mov_b32 s4, exec_lo
	s_delay_alu instid0(VALU_DEP_1)
	v_cmpx_gt_u32_e64 s18, v6
	s_cbranch_execz .LBB2506_89
; %bb.88:
	ds_load_u16 v5, v5 offset:9216
	v_dual_mov_b32 v9, 0 :: v_dual_lshlrev_b32 v8, 1, v14
	s_wait_dscnt 0x0
	v_and_b32_e32 v6, 0xffff, v5
	s_delay_alu instid0(VALU_DEP_1) | instskip(NEXT) | instid1(VALU_DEP_1)
	v_lshrrev_b32_e32 v6, s16, v6
	v_and_b32_e32 v6, s26, v6
	s_delay_alu instid0(VALU_DEP_1) | instskip(SKIP_3) | instid1(VALU_DEP_1)
	v_lshlrev_b32_e32 v6, 3, v6
	ds_load_b64 v[6:7], v6
	s_wait_dscnt 0x0
	v_lshl_add_u64 v[6:7], v[6:7], 1, s[14:15]
	v_add_nc_u64_e32 v[6:7], v[6:7], v[8:9]
	global_store_b16 v[6:7], v5, off offset:7168
.LBB2506_89:
	s_wait_xcnt 0x0
	s_or_b32 exec_lo, exec_lo, s4
	v_or_b32_e32 v5, 0x1000, v14
	s_mov_b32 s4, exec_lo
	s_delay_alu instid0(VALU_DEP_1)
	v_cmpx_gt_u32_e64 s18, v5
	s_cbranch_execz .LBB2506_91
; %bb.90:
	v_lshlrev_b32_e32 v6, 1, v14
	ds_load_u16 v5, v6 offset:10240
	s_wait_dscnt 0x0
	v_and_b32_e32 v7, 0xffff, v5
	s_delay_alu instid0(VALU_DEP_1) | instskip(NEXT) | instid1(VALU_DEP_1)
	v_lshrrev_b32_e32 v7, s16, v7
	v_and_b32_e32 v7, s26, v7
	s_delay_alu instid0(VALU_DEP_1) | instskip(SKIP_4) | instid1(VALU_DEP_1)
	v_lshlrev_b32_e32 v7, 3, v7
	ds_load_b64 v[8:9], v7
	v_mov_b32_e32 v7, 0
	s_wait_dscnt 0x0
	v_lshl_add_u64 v[8:9], v[8:9], 1, s[14:15]
	v_add_nc_u64_e32 v[6:7], v[8:9], v[6:7]
	global_store_b16 v[6:7], v5, off offset:8192
.LBB2506_91:
	s_wait_xcnt 0x0
	s_or_b32 exec_lo, exec_lo, s4
	v_add_nc_u32_e32 v5, 0x1200, v14
	s_mov_b32 s4, exec_lo
	s_delay_alu instid0(VALU_DEP_1)
	v_cmpx_gt_u32_e64 s18, v5
	s_cbranch_execz .LBB2506_93
; %bb.92:
	v_lshlrev_b32_e32 v6, 1, v14
	ds_load_u16 v5, v6 offset:11264
	s_wait_dscnt 0x0
	v_and_b32_e32 v7, 0xffff, v5
	s_delay_alu instid0(VALU_DEP_1) | instskip(NEXT) | instid1(VALU_DEP_1)
	v_lshrrev_b32_e32 v7, s16, v7
	v_and_b32_e32 v7, s26, v7
	s_delay_alu instid0(VALU_DEP_1) | instskip(SKIP_4) | instid1(VALU_DEP_1)
	v_lshlrev_b32_e32 v7, 3, v7
	ds_load_b64 v[8:9], v7
	v_mov_b32_e32 v7, 0
	s_wait_dscnt 0x0
	v_lshl_add_u64 v[8:9], v[8:9], 1, s[14:15]
	v_add_nc_u64_e32 v[6:7], v[8:9], v[6:7]
	global_store_b16 v[6:7], v5, off offset:9216
.LBB2506_93:
	s_wait_xcnt 0x0
	s_or_b32 exec_lo, exec_lo, s4
	v_or_b32_e32 v5, 0x1400, v14
	s_mov_b32 s4, exec_lo
	s_delay_alu instid0(VALU_DEP_1)
	v_cmpx_gt_u32_e64 s18, v5
	s_cbranch_execz .LBB2506_95
; %bb.94:
	v_lshlrev_b32_e32 v6, 1, v14
	ds_load_u16 v5, v6 offset:12288
	s_wait_dscnt 0x0
	v_and_b32_e32 v7, 0xffff, v5
	s_delay_alu instid0(VALU_DEP_1) | instskip(NEXT) | instid1(VALU_DEP_1)
	v_lshrrev_b32_e32 v7, s16, v7
	v_and_b32_e32 v7, s26, v7
	s_delay_alu instid0(VALU_DEP_1) | instskip(SKIP_4) | instid1(VALU_DEP_1)
	v_lshlrev_b32_e32 v7, 3, v7
	ds_load_b64 v[8:9], v7
	v_mov_b32_e32 v7, 0
	s_wait_dscnt 0x0
	v_lshl_add_u64 v[8:9], v[8:9], 1, s[14:15]
	v_add_nc_u64_e32 v[6:7], v[8:9], v[6:7]
	global_store_b16 v[6:7], v5, off offset:10240
.LBB2506_95:
	s_wait_xcnt 0x0
	s_or_b32 exec_lo, exec_lo, s4
	v_add_nc_u32_e32 v5, 0x1600, v14
	s_mov_b32 s4, exec_lo
	s_delay_alu instid0(VALU_DEP_1)
	v_cmpx_gt_u32_e64 s18, v5
	s_cbranch_execz .LBB2506_97
; %bb.96:
	v_lshlrev_b32_e32 v6, 1, v14
	ds_load_u16 v5, v6 offset:13312
	s_wait_dscnt 0x0
	v_and_b32_e32 v7, 0xffff, v5
	s_delay_alu instid0(VALU_DEP_1) | instskip(NEXT) | instid1(VALU_DEP_1)
	v_lshrrev_b32_e32 v7, s16, v7
	v_and_b32_e32 v7, s26, v7
	s_delay_alu instid0(VALU_DEP_1) | instskip(SKIP_4) | instid1(VALU_DEP_1)
	v_lshlrev_b32_e32 v7, 3, v7
	ds_load_b64 v[8:9], v7
	v_mov_b32_e32 v7, 0
	s_wait_dscnt 0x0
	v_lshl_add_u64 v[8:9], v[8:9], 1, s[14:15]
	v_add_nc_u64_e32 v[6:7], v[8:9], v[6:7]
	global_store_b16 v[6:7], v5, off offset:11264
.LBB2506_97:
	s_wait_xcnt 0x0
	s_or_b32 exec_lo, exec_lo, s4
	s_add_co_i32 s23, s23, -1
	s_delay_alu instid0(SALU_CYCLE_1) | instskip(SKIP_2) | instid1(SALU_CYCLE_1)
	s_cmp_eq_u32 s19, s23
	s_cselect_b32 s3, -1, 0
	s_xor_b32 s4, vcc_lo, -1
	s_and_b32 s4, s4, s3
	s_delay_alu instid0(SALU_CYCLE_1)
	s_and_saveexec_b32 s3, s4
	s_cbranch_execz .LBB2506_99
; %bb.98:
	ds_load_b64 v[6:7], v1
	v_mov_b32_e32 v5, 0
	s_delay_alu instid0(VALU_DEP_1) | instskip(SKIP_1) | instid1(VALU_DEP_1)
	v_add_nc_u64_e32 v[2:3], v[2:3], v[4:5]
	s_wait_dscnt 0x0
	v_add_nc_u64_e32 v[2:3], v[2:3], v[6:7]
	global_store_b64 v14, v[2:3], s[10:11] scale_offset
.LBB2506_99:
	s_wait_xcnt 0x0
	s_or_b32 exec_lo, exec_lo, s3
	s_mov_b32 s4, 0
.LBB2506_100:
	s_delay_alu instid0(SALU_CYCLE_1)
	s_and_b32 vcc_lo, exec_lo, s4
	s_cbranch_vccz .LBB2506_147
; %bb.101:
	s_mov_b32 s23, 0
	v_dual_mov_b32 v3, 0 :: v_dual_lshlrev_b32 v2, 1, v15
	s_lshl_b64 s[4:5], s[22:23], 1
	v_mul_u32_u24_e32 v1, 12, v16
	s_add_nc_u64 s[4:5], s[12:13], s[4:5]
	s_delay_alu instid0(VALU_DEP_2) | instid1(SALU_CYCLE_1)
	v_add_nc_u64_e32 v[4:5], s[4:5], v[2:3]
	s_delay_alu instid0(VALU_DEP_2) | instskip(NEXT) | instid1(VALU_DEP_1)
	v_lshlrev_b32_e32 v2, 1, v1
	v_add_nc_u64_e32 v[4:5], v[4:5], v[2:3]
	v_bfe_u32 v2, v0, 10, 10
	v_bfe_u32 v0, v0, 20, 10
	s_clause 0xb
	global_load_u16 v21, v[4:5], off
	global_load_u16 v22, v[4:5], off offset:64
	global_load_u16 v20, v[4:5], off offset:128
	;; [unrolled: 1-line block ×11, first 2 shown]
	s_clause 0x1
	s_load_b32 s12, s[0:1], 0x58
	s_load_u16 s3, s[0:1], 0x66
	s_wait_xcnt 0x0
	s_bfe_u32 s0, ttmp6, 0x4000c
	s_and_b32 s1, ttmp6, 15
	s_add_co_i32 s0, s0, 1
	s_delay_alu instid0(SALU_CYCLE_1) | instskip(NEXT) | instid1(SALU_CYCLE_1)
	s_mul_i32 s0, ttmp9, s0
	s_add_co_i32 s1, s1, s0
	s_cmp_eq_u32 s7, 0
	s_cselect_b32 s0, ttmp9, s1
	s_wait_kmcnt 0x0
	s_cmp_lt_u32 s0, s12
	v_mad_u32_u24 v0, v0, s3, v2
	s_cselect_b32 s22, 12, 18
	s_lshl_b32 s13, -1, s17
	s_add_nc_u64 s[0:1], s[24:25], s[22:23]
	s_load_u16 s17, s[0:1], 0x0
	s_wait_kmcnt 0x0
	v_mad_u32 v0, v0, s17, v14
	s_delay_alu instid0(VALU_DEP_1) | instskip(NEXT) | instid1(VALU_DEP_1)
	v_lshrrev_b32_e32 v0, 3, v0
	v_and_b32_e32 v0, 0x1ffffffc, v0
	s_wait_loadcnt 0xb
	v_and_b32_e32 v1, 0xffff, v21
	s_delay_alu instid0(VALU_DEP_1) | instskip(NEXT) | instid1(VALU_DEP_1)
	v_lshrrev_b32_e32 v1, s16, v1
	v_bitop3_b32 v2, v1, 1, s13 bitop3:0x40
	v_bitop3_b32 v4, v1, s13, v1 bitop3:0x30
	s_delay_alu instid0(VALU_DEP_2) | instskip(NEXT) | instid1(VALU_DEP_1)
	v_add_co_u32 v1, s0, v2, -1
	v_cndmask_b32_e64 v2, 0, 1, s0
	s_delay_alu instid0(VALU_DEP_3) | instskip(SKIP_1) | instid1(VALU_DEP_3)
	v_dual_lshlrev_b32 v5, 30, v4 :: v_dual_lshlrev_b32 v6, 29, v4
	v_dual_lshlrev_b32 v7, 28, v4 :: v_dual_lshlrev_b32 v23, 27, v4
	v_cmp_ne_u32_e32 vcc_lo, 0, v2
	s_delay_alu instid0(VALU_DEP_3)
	v_not_b32_e32 v2, v5
	v_dual_lshlrev_b32 v24, 26, v4 :: v_dual_lshlrev_b32 v25, 25, v4
	v_lshlrev_b32_e32 v26, 24, v4
	v_cmp_gt_i32_e64 s0, 0, v5
	v_cmp_gt_i32_e64 s1, 0, v6
	v_not_b32_e32 v5, v6
	v_cmp_gt_i32_e64 s3, 0, v7
	v_not_b32_e32 v6, v7
	v_not_b32_e32 v7, v23
	v_ashrrev_i32_e32 v2, 31, v2
	v_cmp_gt_i32_e64 s4, 0, v23
	v_not_b32_e32 v23, v24
	v_dual_ashrrev_i32 v6, 31, v6 :: v_dual_bitop2_b32 v1, vcc_lo, v1 bitop3:0x14
	s_delay_alu instid0(VALU_DEP_4)
	v_dual_ashrrev_i32 v5, 31, v5 :: v_dual_bitop2_b32 v2, s0, v2 bitop3:0x14
	v_ashrrev_i32_e32 v7, 31, v7
	v_cmp_gt_i32_e64 s5, 0, v24
	v_cmp_gt_i32_e64 s6, 0, v25
	v_not_b32_e32 v24, v25
	v_not_b32_e32 v25, v26
	v_dual_ashrrev_i32 v23, 31, v23 :: v_dual_bitop2_b32 v6, s3, v6 bitop3:0x14
	v_xor_b32_e32 v5, s1, v5
	v_bitop3_b32 v1, v1, v2, exec_lo bitop3:0x80
	v_xor_b32_e32 v7, s4, v7
	v_cmp_gt_i32_e64 s7, 0, v26
	v_dual_ashrrev_i32 v2, 31, v24 :: v_dual_ashrrev_i32 v24, 31, v25
	v_xor_b32_e32 v23, s5, v23
	v_bitop3_b32 v1, v1, v6, v5 bitop3:0x80
	s_delay_alu instid0(VALU_DEP_3) | instskip(NEXT) | instid1(VALU_DEP_4)
	v_xor_b32_e32 v2, s6, v2
	v_xor_b32_e32 v5, s7, v24
	v_mul_u32_u24_e32 v24, 36, v14
	s_delay_alu instid0(VALU_DEP_4)
	v_bitop3_b32 v1, v1, v23, v7 bitop3:0x80
	s_not_b32 s7, s13
	ds_store_2addr_b32 v24, v3, v3 offset0:16 offset1:17
	ds_store_2addr_b32 v24, v3, v3 offset0:18 offset1:19
	;; [unrolled: 1-line block ×4, first 2 shown]
	v_bitop3_b32 v1, v1, v5, v2 bitop3:0x80
	v_mul_u32_u24_e32 v2, 0x44, v4
	ds_store_b32 v24, v3 offset:96
	s_wait_storecnt 0x0
	s_wait_loadcnt_dscnt 0x0
	s_barrier_signal -1
	v_mbcnt_lo_u32_b32 v23, v1, 0
	v_cmp_ne_u32_e64 s0, 0, v1
	v_add_nc_u32_e32 v25, v0, v2
	s_barrier_wait -1
	s_delay_alu instid0(VALU_DEP_3) | instskip(SKIP_1) | instid1(SALU_CYCLE_1)
	v_cmp_eq_u32_e32 vcc_lo, 0, v23
	; wave barrier
	s_and_b32 s1, s0, vcc_lo
	s_and_saveexec_b32 s0, s1
; %bb.102:
	v_bcnt_u32_b32 v1, v1, 0
	ds_store_b32 v25, v1 offset:64
; %bb.103:
	s_or_b32 exec_lo, exec_lo, s0
	v_and_b32_e32 v1, 0xffff, v22
	; wave barrier
	s_delay_alu instid0(VALU_DEP_1) | instskip(NEXT) | instid1(VALU_DEP_1)
	v_lshrrev_b32_e32 v1, s16, v1
	v_and_b32_e32 v3, s7, v1
	s_delay_alu instid0(VALU_DEP_1) | instskip(SKIP_1) | instid1(VALU_DEP_1)
	v_lshlrev_b32_e32 v4, 30, v3
	v_bitop3_b32 v2, v1, 1, s7 bitop3:0x80
	v_add_co_u32 v1, s0, v2, -1
	s_delay_alu instid0(VALU_DEP_1) | instskip(NEXT) | instid1(VALU_DEP_4)
	v_cndmask_b32_e64 v2, 0, 1, s0
	v_cmp_gt_i32_e64 s0, 0, v4
	s_delay_alu instid0(VALU_DEP_2) | instskip(SKIP_1) | instid1(VALU_DEP_1)
	v_cmp_ne_u32_e32 vcc_lo, 0, v2
	v_not_b32_e32 v2, v4
	v_dual_ashrrev_i32 v2, 31, v2 :: v_dual_lshlrev_b32 v5, 29, v3
	v_dual_lshlrev_b32 v6, 28, v3 :: v_dual_lshlrev_b32 v7, 27, v3
	v_dual_lshlrev_b32 v26, 26, v3 :: v_dual_lshlrev_b32 v27, 25, v3
	v_lshlrev_b32_e32 v28, 24, v3
	s_delay_alu instid0(VALU_DEP_4)
	v_cmp_gt_i32_e64 s1, 0, v5
	v_not_b32_e32 v4, v5
	v_not_b32_e32 v5, v6
	v_cmp_gt_i32_e64 s3, 0, v6
	v_cmp_gt_i32_e64 s4, 0, v7
	v_not_b32_e32 v6, v7
	v_not_b32_e32 v7, v26
	v_dual_ashrrev_i32 v4, 31, v4 :: v_dual_bitop2_b32 v1, vcc_lo, v1 bitop3:0x14
	v_dual_ashrrev_i32 v5, 31, v5 :: v_dual_bitop2_b32 v2, s0, v2 bitop3:0x14
	v_cmp_gt_i32_e64 s5, 0, v26
	s_delay_alu instid0(VALU_DEP_4) | instskip(SKIP_1) | instid1(VALU_DEP_4)
	v_dual_ashrrev_i32 v6, 31, v6 :: v_dual_ashrrev_i32 v7, 31, v7
	v_not_b32_e32 v26, v28
	v_xor_b32_e32 v5, s3, v5
	v_bitop3_b32 v1, v1, v2, exec_lo bitop3:0x80
	v_not_b32_e32 v2, v27
	v_xor_b32_e32 v4, s1, v4
	v_cmp_gt_i32_e64 s6, 0, v27
	v_xor_b32_e32 v6, s4, v6
	s_delay_alu instid0(VALU_DEP_4) | instskip(NEXT) | instid1(VALU_DEP_4)
	v_dual_ashrrev_i32 v2, 31, v2 :: v_dual_bitop2_b32 v7, s5, v7 bitop3:0x14
	v_bitop3_b32 v1, v1, v5, v4 bitop3:0x80
	v_cmp_gt_i32_e32 vcc_lo, 0, v28
	v_ashrrev_i32_e32 v4, 31, v26
	v_mad_u32_u24 v5, 0x44, v3, v0
	v_xor_b32_e32 v2, s6, v2
	v_bitop3_b32 v1, v1, v7, v6 bitop3:0x80
	s_delay_alu instid0(VALU_DEP_4) | instskip(SKIP_3) | instid1(VALU_DEP_2)
	v_xor_b32_e32 v4, vcc_lo, v4
	ds_load_b32 v26, v5 offset:64
	; wave barrier
	v_bitop3_b32 v1, v1, v4, v2 bitop3:0x80
	v_mul_u32_u24_e32 v2, 0x44, v3
	v_mbcnt_lo_u32_b32 v27, v1, 0
	v_cmp_ne_u32_e64 s0, 0, v1
	s_delay_alu instid0(VALU_DEP_3) | instskip(NEXT) | instid1(VALU_DEP_3)
	v_add_nc_u32_e32 v28, v0, v2
	v_cmp_eq_u32_e32 vcc_lo, 0, v27
	s_and_b32 s1, s0, vcc_lo
	s_delay_alu instid0(SALU_CYCLE_1)
	s_and_saveexec_b32 s0, s1
	s_cbranch_execz .LBB2506_105
; %bb.104:
	s_wait_dscnt 0x0
	v_bcnt_u32_b32 v1, v1, v26
	ds_store_b32 v28, v1 offset:64
.LBB2506_105:
	s_or_b32 exec_lo, exec_lo, s0
	v_and_b32_e32 v1, 0xffff, v20
	; wave barrier
	s_delay_alu instid0(VALU_DEP_1) | instskip(NEXT) | instid1(VALU_DEP_1)
	v_lshrrev_b32_e32 v1, s16, v1
	v_and_b32_e32 v3, s7, v1
	s_delay_alu instid0(VALU_DEP_1) | instskip(SKIP_1) | instid1(VALU_DEP_1)
	v_lshlrev_b32_e32 v4, 30, v3
	v_bitop3_b32 v2, v1, 1, s7 bitop3:0x80
	v_add_co_u32 v1, s0, v2, -1
	s_delay_alu instid0(VALU_DEP_1) | instskip(NEXT) | instid1(VALU_DEP_4)
	v_cndmask_b32_e64 v2, 0, 1, s0
	v_cmp_gt_i32_e64 s0, 0, v4
	s_delay_alu instid0(VALU_DEP_2) | instskip(SKIP_1) | instid1(VALU_DEP_1)
	v_cmp_ne_u32_e32 vcc_lo, 0, v2
	v_not_b32_e32 v2, v4
	v_dual_ashrrev_i32 v2, 31, v2 :: v_dual_lshlrev_b32 v5, 29, v3
	v_dual_lshlrev_b32 v6, 28, v3 :: v_dual_lshlrev_b32 v7, 27, v3
	v_dual_lshlrev_b32 v29, 26, v3 :: v_dual_lshlrev_b32 v30, 25, v3
	v_lshlrev_b32_e32 v31, 24, v3
	s_delay_alu instid0(VALU_DEP_4)
	v_cmp_gt_i32_e64 s1, 0, v5
	v_not_b32_e32 v4, v5
	v_not_b32_e32 v5, v6
	v_cmp_gt_i32_e64 s3, 0, v6
	v_cmp_gt_i32_e64 s4, 0, v7
	v_not_b32_e32 v6, v7
	v_not_b32_e32 v7, v29
	v_dual_ashrrev_i32 v4, 31, v4 :: v_dual_bitop2_b32 v1, vcc_lo, v1 bitop3:0x14
	v_dual_ashrrev_i32 v5, 31, v5 :: v_dual_bitop2_b32 v2, s0, v2 bitop3:0x14
	v_cmp_gt_i32_e64 s5, 0, v29
	s_delay_alu instid0(VALU_DEP_4) | instskip(NEXT) | instid1(VALU_DEP_3)
	v_dual_ashrrev_i32 v6, 31, v6 :: v_dual_ashrrev_i32 v7, 31, v7
	v_xor_b32_e32 v5, s3, v5
	s_delay_alu instid0(VALU_DEP_4)
	v_bitop3_b32 v1, v1, v2, exec_lo bitop3:0x80
	v_not_b32_e32 v2, v30
	v_xor_b32_e32 v4, s1, v4
	v_not_b32_e32 v29, v31
	v_cmp_gt_i32_e64 s6, 0, v30
	v_xor_b32_e32 v6, s4, v6
	v_dual_ashrrev_i32 v2, 31, v2 :: v_dual_bitop2_b32 v7, s5, v7 bitop3:0x14
	v_bitop3_b32 v1, v1, v5, v4 bitop3:0x80
	v_cmp_gt_i32_e32 vcc_lo, 0, v31
	v_ashrrev_i32_e32 v4, 31, v29
	v_mad_u32_u24 v5, 0x44, v3, v0
	v_xor_b32_e32 v2, s6, v2
	v_bitop3_b32 v1, v1, v7, v6 bitop3:0x80
	s_delay_alu instid0(VALU_DEP_4) | instskip(SKIP_3) | instid1(VALU_DEP_2)
	v_xor_b32_e32 v4, vcc_lo, v4
	ds_load_b32 v29, v5 offset:64
	; wave barrier
	v_bitop3_b32 v1, v1, v4, v2 bitop3:0x80
	v_mul_u32_u24_e32 v2, 0x44, v3
	v_mbcnt_lo_u32_b32 v30, v1, 0
	v_cmp_ne_u32_e64 s0, 0, v1
	s_delay_alu instid0(VALU_DEP_3) | instskip(NEXT) | instid1(VALU_DEP_3)
	v_add_nc_u32_e32 v31, v0, v2
	v_cmp_eq_u32_e32 vcc_lo, 0, v30
	s_and_b32 s1, s0, vcc_lo
	s_delay_alu instid0(SALU_CYCLE_1)
	s_and_saveexec_b32 s0, s1
	s_cbranch_execz .LBB2506_107
; %bb.106:
	s_wait_dscnt 0x0
	v_bcnt_u32_b32 v1, v1, v29
	ds_store_b32 v31, v1 offset:64
.LBB2506_107:
	s_or_b32 exec_lo, exec_lo, s0
	v_and_b32_e32 v1, 0xffff, v13
	; wave barrier
	s_delay_alu instid0(VALU_DEP_1) | instskip(NEXT) | instid1(VALU_DEP_1)
	v_lshrrev_b32_e32 v1, s16, v1
	v_and_b32_e32 v3, s7, v1
	s_delay_alu instid0(VALU_DEP_1) | instskip(SKIP_1) | instid1(VALU_DEP_1)
	v_lshlrev_b32_e32 v4, 30, v3
	v_bitop3_b32 v2, v1, 1, s7 bitop3:0x80
	v_add_co_u32 v1, s0, v2, -1
	s_delay_alu instid0(VALU_DEP_1) | instskip(NEXT) | instid1(VALU_DEP_4)
	v_cndmask_b32_e64 v2, 0, 1, s0
	v_cmp_gt_i32_e64 s0, 0, v4
	s_delay_alu instid0(VALU_DEP_2) | instskip(SKIP_1) | instid1(VALU_DEP_1)
	v_cmp_ne_u32_e32 vcc_lo, 0, v2
	v_not_b32_e32 v2, v4
	v_dual_ashrrev_i32 v2, 31, v2 :: v_dual_lshlrev_b32 v5, 29, v3
	v_dual_lshlrev_b32 v6, 28, v3 :: v_dual_lshlrev_b32 v7, 27, v3
	v_dual_lshlrev_b32 v32, 26, v3 :: v_dual_lshlrev_b32 v33, 25, v3
	v_lshlrev_b32_e32 v34, 24, v3
	s_delay_alu instid0(VALU_DEP_4)
	v_cmp_gt_i32_e64 s1, 0, v5
	v_not_b32_e32 v4, v5
	v_not_b32_e32 v5, v6
	v_cmp_gt_i32_e64 s3, 0, v6
	v_cmp_gt_i32_e64 s4, 0, v7
	v_not_b32_e32 v6, v7
	v_not_b32_e32 v7, v32
	v_dual_ashrrev_i32 v4, 31, v4 :: v_dual_bitop2_b32 v1, vcc_lo, v1 bitop3:0x14
	v_dual_ashrrev_i32 v5, 31, v5 :: v_dual_bitop2_b32 v2, s0, v2 bitop3:0x14
	v_cmp_gt_i32_e64 s5, 0, v32
	s_delay_alu instid0(VALU_DEP_4) | instskip(SKIP_1) | instid1(VALU_DEP_4)
	v_dual_ashrrev_i32 v6, 31, v6 :: v_dual_ashrrev_i32 v7, 31, v7
	v_not_b32_e32 v32, v34
	v_xor_b32_e32 v5, s3, v5
	v_bitop3_b32 v1, v1, v2, exec_lo bitop3:0x80
	v_not_b32_e32 v2, v33
	v_xor_b32_e32 v4, s1, v4
	v_cmp_gt_i32_e64 s6, 0, v33
	v_xor_b32_e32 v6, s4, v6
	s_delay_alu instid0(VALU_DEP_4) | instskip(NEXT) | instid1(VALU_DEP_4)
	v_dual_ashrrev_i32 v2, 31, v2 :: v_dual_bitop2_b32 v7, s5, v7 bitop3:0x14
	v_bitop3_b32 v1, v1, v5, v4 bitop3:0x80
	v_cmp_gt_i32_e32 vcc_lo, 0, v34
	v_ashrrev_i32_e32 v4, 31, v32
	v_mad_u32_u24 v5, 0x44, v3, v0
	v_xor_b32_e32 v2, s6, v2
	v_bitop3_b32 v1, v1, v7, v6 bitop3:0x80
	s_delay_alu instid0(VALU_DEP_4) | instskip(SKIP_3) | instid1(VALU_DEP_2)
	v_xor_b32_e32 v4, vcc_lo, v4
	ds_load_b32 v32, v5 offset:64
	; wave barrier
	v_bitop3_b32 v1, v1, v4, v2 bitop3:0x80
	v_mul_u32_u24_e32 v2, 0x44, v3
	v_mbcnt_lo_u32_b32 v33, v1, 0
	v_cmp_ne_u32_e64 s0, 0, v1
	s_delay_alu instid0(VALU_DEP_3) | instskip(NEXT) | instid1(VALU_DEP_3)
	v_add_nc_u32_e32 v34, v0, v2
	v_cmp_eq_u32_e32 vcc_lo, 0, v33
	s_and_b32 s1, s0, vcc_lo
	s_delay_alu instid0(SALU_CYCLE_1)
	s_and_saveexec_b32 s0, s1
	s_cbranch_execz .LBB2506_109
; %bb.108:
	s_wait_dscnt 0x0
	v_bcnt_u32_b32 v1, v1, v32
	ds_store_b32 v34, v1 offset:64
.LBB2506_109:
	s_or_b32 exec_lo, exec_lo, s0
	v_and_b32_e32 v1, 0xffff, v17
	; wave barrier
	s_delay_alu instid0(VALU_DEP_1) | instskip(NEXT) | instid1(VALU_DEP_1)
	v_lshrrev_b32_e32 v1, s16, v1
	v_and_b32_e32 v3, s7, v1
	s_delay_alu instid0(VALU_DEP_1) | instskip(SKIP_1) | instid1(VALU_DEP_1)
	v_lshlrev_b32_e32 v4, 30, v3
	v_bitop3_b32 v2, v1, 1, s7 bitop3:0x80
	v_add_co_u32 v1, s0, v2, -1
	s_delay_alu instid0(VALU_DEP_1) | instskip(NEXT) | instid1(VALU_DEP_4)
	v_cndmask_b32_e64 v2, 0, 1, s0
	v_cmp_gt_i32_e64 s0, 0, v4
	s_delay_alu instid0(VALU_DEP_2) | instskip(SKIP_1) | instid1(VALU_DEP_1)
	v_cmp_ne_u32_e32 vcc_lo, 0, v2
	v_not_b32_e32 v2, v4
	v_dual_ashrrev_i32 v2, 31, v2 :: v_dual_lshlrev_b32 v5, 29, v3
	v_dual_lshlrev_b32 v6, 28, v3 :: v_dual_lshlrev_b32 v7, 27, v3
	v_dual_lshlrev_b32 v35, 26, v3 :: v_dual_lshlrev_b32 v36, 25, v3
	v_lshlrev_b32_e32 v37, 24, v3
	s_delay_alu instid0(VALU_DEP_4)
	v_cmp_gt_i32_e64 s1, 0, v5
	v_not_b32_e32 v4, v5
	v_not_b32_e32 v5, v6
	v_cmp_gt_i32_e64 s3, 0, v6
	v_cmp_gt_i32_e64 s4, 0, v7
	v_not_b32_e32 v6, v7
	v_not_b32_e32 v7, v35
	v_dual_ashrrev_i32 v4, 31, v4 :: v_dual_bitop2_b32 v1, vcc_lo, v1 bitop3:0x14
	v_dual_ashrrev_i32 v5, 31, v5 :: v_dual_bitop2_b32 v2, s0, v2 bitop3:0x14
	v_cmp_gt_i32_e64 s5, 0, v35
	s_delay_alu instid0(VALU_DEP_4) | instskip(SKIP_1) | instid1(VALU_DEP_4)
	v_dual_ashrrev_i32 v6, 31, v6 :: v_dual_ashrrev_i32 v7, 31, v7
	v_not_b32_e32 v35, v37
	v_xor_b32_e32 v5, s3, v5
	v_bitop3_b32 v1, v1, v2, exec_lo bitop3:0x80
	v_not_b32_e32 v2, v36
	v_xor_b32_e32 v4, s1, v4
	v_cmp_gt_i32_e64 s6, 0, v36
	v_xor_b32_e32 v6, s4, v6
	s_delay_alu instid0(VALU_DEP_4) | instskip(NEXT) | instid1(VALU_DEP_4)
	v_dual_ashrrev_i32 v2, 31, v2 :: v_dual_bitop2_b32 v7, s5, v7 bitop3:0x14
	v_bitop3_b32 v1, v1, v5, v4 bitop3:0x80
	v_cmp_gt_i32_e32 vcc_lo, 0, v37
	v_ashrrev_i32_e32 v4, 31, v35
	v_mad_u32_u24 v5, 0x44, v3, v0
	v_xor_b32_e32 v2, s6, v2
	v_bitop3_b32 v1, v1, v7, v6 bitop3:0x80
	s_delay_alu instid0(VALU_DEP_4) | instskip(SKIP_3) | instid1(VALU_DEP_2)
	v_xor_b32_e32 v4, vcc_lo, v4
	ds_load_b32 v35, v5 offset:64
	; wave barrier
	v_bitop3_b32 v1, v1, v4, v2 bitop3:0x80
	v_mul_u32_u24_e32 v2, 0x44, v3
	v_mbcnt_lo_u32_b32 v36, v1, 0
	v_cmp_ne_u32_e64 s0, 0, v1
	s_delay_alu instid0(VALU_DEP_3) | instskip(NEXT) | instid1(VALU_DEP_3)
	v_add_nc_u32_e32 v37, v0, v2
	v_cmp_eq_u32_e32 vcc_lo, 0, v36
	s_and_b32 s1, s0, vcc_lo
	s_delay_alu instid0(SALU_CYCLE_1)
	s_and_saveexec_b32 s0, s1
	s_cbranch_execz .LBB2506_111
; %bb.110:
	s_wait_dscnt 0x0
	v_bcnt_u32_b32 v1, v1, v35
	ds_store_b32 v37, v1 offset:64
.LBB2506_111:
	s_or_b32 exec_lo, exec_lo, s0
	v_and_b32_e32 v1, 0xffff, v18
	; wave barrier
	s_delay_alu instid0(VALU_DEP_1) | instskip(NEXT) | instid1(VALU_DEP_1)
	v_lshrrev_b32_e32 v1, s16, v1
	v_and_b32_e32 v3, s7, v1
	s_delay_alu instid0(VALU_DEP_1) | instskip(SKIP_1) | instid1(VALU_DEP_1)
	v_lshlrev_b32_e32 v4, 30, v3
	v_bitop3_b32 v2, v1, 1, s7 bitop3:0x80
	v_add_co_u32 v1, s0, v2, -1
	s_delay_alu instid0(VALU_DEP_1) | instskip(NEXT) | instid1(VALU_DEP_4)
	v_cndmask_b32_e64 v2, 0, 1, s0
	v_cmp_gt_i32_e64 s0, 0, v4
	s_delay_alu instid0(VALU_DEP_2) | instskip(SKIP_1) | instid1(VALU_DEP_1)
	v_cmp_ne_u32_e32 vcc_lo, 0, v2
	v_not_b32_e32 v2, v4
	v_dual_ashrrev_i32 v2, 31, v2 :: v_dual_lshlrev_b32 v5, 29, v3
	v_dual_lshlrev_b32 v6, 28, v3 :: v_dual_lshlrev_b32 v7, 27, v3
	v_dual_lshlrev_b32 v38, 26, v3 :: v_dual_lshlrev_b32 v39, 25, v3
	v_lshlrev_b32_e32 v40, 24, v3
	s_delay_alu instid0(VALU_DEP_4)
	v_cmp_gt_i32_e64 s1, 0, v5
	v_not_b32_e32 v4, v5
	v_not_b32_e32 v5, v6
	v_cmp_gt_i32_e64 s3, 0, v6
	v_cmp_gt_i32_e64 s4, 0, v7
	v_not_b32_e32 v6, v7
	v_not_b32_e32 v7, v38
	v_dual_ashrrev_i32 v4, 31, v4 :: v_dual_bitop2_b32 v1, vcc_lo, v1 bitop3:0x14
	v_dual_ashrrev_i32 v5, 31, v5 :: v_dual_bitop2_b32 v2, s0, v2 bitop3:0x14
	v_cmp_gt_i32_e64 s5, 0, v38
	s_delay_alu instid0(VALU_DEP_4) | instskip(SKIP_1) | instid1(VALU_DEP_4)
	v_dual_ashrrev_i32 v6, 31, v6 :: v_dual_ashrrev_i32 v7, 31, v7
	v_not_b32_e32 v38, v40
	v_xor_b32_e32 v5, s3, v5
	v_bitop3_b32 v1, v1, v2, exec_lo bitop3:0x80
	v_not_b32_e32 v2, v39
	v_xor_b32_e32 v4, s1, v4
	v_cmp_gt_i32_e64 s6, 0, v39
	v_xor_b32_e32 v6, s4, v6
	s_delay_alu instid0(VALU_DEP_4) | instskip(NEXT) | instid1(VALU_DEP_4)
	v_dual_ashrrev_i32 v2, 31, v2 :: v_dual_bitop2_b32 v7, s5, v7 bitop3:0x14
	v_bitop3_b32 v1, v1, v5, v4 bitop3:0x80
	v_cmp_gt_i32_e32 vcc_lo, 0, v40
	v_ashrrev_i32_e32 v4, 31, v38
	v_mad_u32_u24 v5, 0x44, v3, v0
	v_xor_b32_e32 v2, s6, v2
	v_bitop3_b32 v1, v1, v7, v6 bitop3:0x80
	s_delay_alu instid0(VALU_DEP_4) | instskip(SKIP_3) | instid1(VALU_DEP_2)
	v_xor_b32_e32 v4, vcc_lo, v4
	ds_load_b32 v38, v5 offset:64
	; wave barrier
	v_bitop3_b32 v1, v1, v4, v2 bitop3:0x80
	v_mul_u32_u24_e32 v2, 0x44, v3
	v_mbcnt_lo_u32_b32 v39, v1, 0
	v_cmp_ne_u32_e64 s0, 0, v1
	s_delay_alu instid0(VALU_DEP_3) | instskip(NEXT) | instid1(VALU_DEP_3)
	v_add_nc_u32_e32 v40, v0, v2
	v_cmp_eq_u32_e32 vcc_lo, 0, v39
	s_and_b32 s1, s0, vcc_lo
	s_delay_alu instid0(SALU_CYCLE_1)
	s_and_saveexec_b32 s0, s1
	s_cbranch_execz .LBB2506_113
; %bb.112:
	s_wait_dscnt 0x0
	v_bcnt_u32_b32 v1, v1, v38
	ds_store_b32 v40, v1 offset:64
.LBB2506_113:
	s_or_b32 exec_lo, exec_lo, s0
	v_and_b32_e32 v1, 0xffff, v19
	; wave barrier
	s_delay_alu instid0(VALU_DEP_1) | instskip(NEXT) | instid1(VALU_DEP_1)
	v_lshrrev_b32_e32 v1, s16, v1
	v_and_b32_e32 v3, s7, v1
	s_delay_alu instid0(VALU_DEP_1) | instskip(SKIP_1) | instid1(VALU_DEP_1)
	v_lshlrev_b32_e32 v4, 30, v3
	v_bitop3_b32 v2, v1, 1, s7 bitop3:0x80
	v_add_co_u32 v1, s0, v2, -1
	s_delay_alu instid0(VALU_DEP_1) | instskip(NEXT) | instid1(VALU_DEP_4)
	v_cndmask_b32_e64 v2, 0, 1, s0
	v_cmp_gt_i32_e64 s0, 0, v4
	s_delay_alu instid0(VALU_DEP_2) | instskip(SKIP_1) | instid1(VALU_DEP_1)
	v_cmp_ne_u32_e32 vcc_lo, 0, v2
	v_not_b32_e32 v2, v4
	v_dual_ashrrev_i32 v2, 31, v2 :: v_dual_lshlrev_b32 v5, 29, v3
	v_dual_lshlrev_b32 v6, 28, v3 :: v_dual_lshlrev_b32 v7, 27, v3
	v_dual_lshlrev_b32 v41, 26, v3 :: v_dual_lshlrev_b32 v42, 25, v3
	v_lshlrev_b32_e32 v43, 24, v3
	s_delay_alu instid0(VALU_DEP_4)
	v_cmp_gt_i32_e64 s1, 0, v5
	v_not_b32_e32 v4, v5
	v_not_b32_e32 v5, v6
	v_cmp_gt_i32_e64 s3, 0, v6
	v_cmp_gt_i32_e64 s4, 0, v7
	v_not_b32_e32 v6, v7
	v_not_b32_e32 v7, v41
	v_dual_ashrrev_i32 v4, 31, v4 :: v_dual_bitop2_b32 v1, vcc_lo, v1 bitop3:0x14
	v_dual_ashrrev_i32 v5, 31, v5 :: v_dual_bitop2_b32 v2, s0, v2 bitop3:0x14
	v_cmp_gt_i32_e64 s5, 0, v41
	s_delay_alu instid0(VALU_DEP_4) | instskip(NEXT) | instid1(VALU_DEP_3)
	v_dual_ashrrev_i32 v6, 31, v6 :: v_dual_ashrrev_i32 v7, 31, v7
	v_xor_b32_e32 v5, s3, v5
	s_delay_alu instid0(VALU_DEP_4)
	v_bitop3_b32 v1, v1, v2, exec_lo bitop3:0x80
	v_not_b32_e32 v2, v42
	v_xor_b32_e32 v4, s1, v4
	v_not_b32_e32 v41, v43
	v_cmp_gt_i32_e64 s6, 0, v42
	v_xor_b32_e32 v6, s4, v6
	v_dual_ashrrev_i32 v2, 31, v2 :: v_dual_bitop2_b32 v7, s5, v7 bitop3:0x14
	v_bitop3_b32 v1, v1, v5, v4 bitop3:0x80
	v_cmp_gt_i32_e32 vcc_lo, 0, v43
	v_ashrrev_i32_e32 v4, 31, v41
	v_mad_u32_u24 v5, 0x44, v3, v0
	v_xor_b32_e32 v2, s6, v2
	v_bitop3_b32 v1, v1, v7, v6 bitop3:0x80
	s_delay_alu instid0(VALU_DEP_4) | instskip(SKIP_3) | instid1(VALU_DEP_2)
	v_xor_b32_e32 v4, vcc_lo, v4
	ds_load_b32 v41, v5 offset:64
	; wave barrier
	v_bitop3_b32 v1, v1, v4, v2 bitop3:0x80
	v_mul_u32_u24_e32 v2, 0x44, v3
	v_mbcnt_lo_u32_b32 v42, v1, 0
	v_cmp_ne_u32_e64 s0, 0, v1
	s_delay_alu instid0(VALU_DEP_3) | instskip(NEXT) | instid1(VALU_DEP_3)
	v_add_nc_u32_e32 v44, v0, v2
	v_cmp_eq_u32_e32 vcc_lo, 0, v42
	s_and_b32 s1, s0, vcc_lo
	s_delay_alu instid0(SALU_CYCLE_1)
	s_and_saveexec_b32 s0, s1
	s_cbranch_execz .LBB2506_115
; %bb.114:
	s_wait_dscnt 0x0
	v_bcnt_u32_b32 v1, v1, v41
	ds_store_b32 v44, v1 offset:64
.LBB2506_115:
	s_or_b32 exec_lo, exec_lo, s0
	v_and_b32_e32 v1, 0xffff, v12
	; wave barrier
	s_delay_alu instid0(VALU_DEP_1) | instskip(NEXT) | instid1(VALU_DEP_1)
	v_lshrrev_b32_e32 v1, s16, v1
	v_and_b32_e32 v3, s7, v1
	s_delay_alu instid0(VALU_DEP_1) | instskip(SKIP_1) | instid1(VALU_DEP_1)
	v_lshlrev_b32_e32 v4, 30, v3
	v_bitop3_b32 v2, v1, 1, s7 bitop3:0x80
	v_add_co_u32 v1, s0, v2, -1
	s_delay_alu instid0(VALU_DEP_1) | instskip(NEXT) | instid1(VALU_DEP_4)
	v_cndmask_b32_e64 v2, 0, 1, s0
	v_cmp_gt_i32_e64 s0, 0, v4
	s_delay_alu instid0(VALU_DEP_2) | instskip(SKIP_1) | instid1(VALU_DEP_1)
	v_cmp_ne_u32_e32 vcc_lo, 0, v2
	v_not_b32_e32 v2, v4
	v_dual_ashrrev_i32 v2, 31, v2 :: v_dual_lshlrev_b32 v5, 29, v3
	v_dual_lshlrev_b32 v6, 28, v3 :: v_dual_lshlrev_b32 v7, 27, v3
	v_dual_lshlrev_b32 v43, 26, v3 :: v_dual_lshlrev_b32 v45, 25, v3
	v_lshlrev_b32_e32 v46, 24, v3
	s_delay_alu instid0(VALU_DEP_4)
	v_cmp_gt_i32_e64 s1, 0, v5
	v_not_b32_e32 v4, v5
	v_not_b32_e32 v5, v6
	v_cmp_gt_i32_e64 s3, 0, v6
	v_cmp_gt_i32_e64 s4, 0, v7
	v_not_b32_e32 v6, v7
	v_not_b32_e32 v7, v43
	v_dual_ashrrev_i32 v4, 31, v4 :: v_dual_bitop2_b32 v1, vcc_lo, v1 bitop3:0x14
	v_dual_ashrrev_i32 v5, 31, v5 :: v_dual_bitop2_b32 v2, s0, v2 bitop3:0x14
	v_cmp_gt_i32_e64 s5, 0, v43
	s_delay_alu instid0(VALU_DEP_4) | instskip(SKIP_1) | instid1(VALU_DEP_4)
	v_dual_ashrrev_i32 v6, 31, v6 :: v_dual_ashrrev_i32 v7, 31, v7
	v_not_b32_e32 v43, v46
	v_xor_b32_e32 v5, s3, v5
	v_bitop3_b32 v1, v1, v2, exec_lo bitop3:0x80
	v_not_b32_e32 v2, v45
	v_xor_b32_e32 v4, s1, v4
	v_cmp_gt_i32_e64 s6, 0, v45
	v_xor_b32_e32 v6, s4, v6
	s_delay_alu instid0(VALU_DEP_4) | instskip(NEXT) | instid1(VALU_DEP_4)
	v_dual_ashrrev_i32 v2, 31, v2 :: v_dual_bitop2_b32 v7, s5, v7 bitop3:0x14
	v_bitop3_b32 v1, v1, v5, v4 bitop3:0x80
	v_cmp_gt_i32_e32 vcc_lo, 0, v46
	v_ashrrev_i32_e32 v4, 31, v43
	v_mad_u32_u24 v5, 0x44, v3, v0
	v_xor_b32_e32 v2, s6, v2
	v_bitop3_b32 v1, v1, v7, v6 bitop3:0x80
	s_delay_alu instid0(VALU_DEP_4) | instskip(SKIP_3) | instid1(VALU_DEP_2)
	v_xor_b32_e32 v4, vcc_lo, v4
	ds_load_b32 v43, v5 offset:64
	; wave barrier
	v_bitop3_b32 v1, v1, v4, v2 bitop3:0x80
	v_mul_u32_u24_e32 v2, 0x44, v3
	v_mbcnt_lo_u32_b32 v45, v1, 0
	v_cmp_ne_u32_e64 s0, 0, v1
	s_delay_alu instid0(VALU_DEP_3) | instskip(NEXT) | instid1(VALU_DEP_3)
	v_add_nc_u32_e32 v48, v0, v2
	v_cmp_eq_u32_e32 vcc_lo, 0, v45
	s_and_b32 s1, s0, vcc_lo
	s_delay_alu instid0(SALU_CYCLE_1)
	s_and_saveexec_b32 s0, s1
	s_cbranch_execz .LBB2506_117
; %bb.116:
	s_wait_dscnt 0x0
	v_bcnt_u32_b32 v1, v1, v43
	ds_store_b32 v48, v1 offset:64
.LBB2506_117:
	s_or_b32 exec_lo, exec_lo, s0
	v_and_b32_e32 v1, 0xffff, v8
	; wave barrier
	s_delay_alu instid0(VALU_DEP_1) | instskip(NEXT) | instid1(VALU_DEP_1)
	v_lshrrev_b32_e32 v1, s16, v1
	v_and_b32_e32 v3, s7, v1
	s_delay_alu instid0(VALU_DEP_1) | instskip(SKIP_1) | instid1(VALU_DEP_1)
	v_lshlrev_b32_e32 v4, 30, v3
	v_bitop3_b32 v2, v1, 1, s7 bitop3:0x80
	v_add_co_u32 v1, s0, v2, -1
	s_delay_alu instid0(VALU_DEP_1) | instskip(NEXT) | instid1(VALU_DEP_4)
	v_cndmask_b32_e64 v2, 0, 1, s0
	v_cmp_gt_i32_e64 s0, 0, v4
	s_delay_alu instid0(VALU_DEP_2) | instskip(SKIP_1) | instid1(VALU_DEP_1)
	v_cmp_ne_u32_e32 vcc_lo, 0, v2
	v_not_b32_e32 v2, v4
	v_dual_ashrrev_i32 v2, 31, v2 :: v_dual_lshlrev_b32 v5, 29, v3
	v_dual_lshlrev_b32 v6, 28, v3 :: v_dual_lshlrev_b32 v7, 27, v3
	v_dual_lshlrev_b32 v46, 26, v3 :: v_dual_lshlrev_b32 v47, 25, v3
	v_lshlrev_b32_e32 v49, 24, v3
	s_delay_alu instid0(VALU_DEP_4)
	v_cmp_gt_i32_e64 s1, 0, v5
	v_not_b32_e32 v4, v5
	v_not_b32_e32 v5, v6
	v_cmp_gt_i32_e64 s3, 0, v6
	v_cmp_gt_i32_e64 s4, 0, v7
	v_not_b32_e32 v6, v7
	v_not_b32_e32 v7, v46
	v_dual_ashrrev_i32 v4, 31, v4 :: v_dual_bitop2_b32 v1, vcc_lo, v1 bitop3:0x14
	v_dual_ashrrev_i32 v5, 31, v5 :: v_dual_bitop2_b32 v2, s0, v2 bitop3:0x14
	v_cmp_gt_i32_e64 s5, 0, v46
	s_delay_alu instid0(VALU_DEP_4) | instskip(SKIP_1) | instid1(VALU_DEP_4)
	v_dual_ashrrev_i32 v6, 31, v6 :: v_dual_ashrrev_i32 v7, 31, v7
	v_not_b32_e32 v46, v49
	v_xor_b32_e32 v5, s3, v5
	v_bitop3_b32 v1, v1, v2, exec_lo bitop3:0x80
	v_not_b32_e32 v2, v47
	v_xor_b32_e32 v4, s1, v4
	v_cmp_gt_i32_e64 s6, 0, v47
	v_xor_b32_e32 v6, s4, v6
	s_delay_alu instid0(VALU_DEP_4) | instskip(NEXT) | instid1(VALU_DEP_4)
	v_dual_ashrrev_i32 v2, 31, v2 :: v_dual_bitop2_b32 v7, s5, v7 bitop3:0x14
	v_bitop3_b32 v1, v1, v5, v4 bitop3:0x80
	v_cmp_gt_i32_e32 vcc_lo, 0, v49
	v_ashrrev_i32_e32 v4, 31, v46
	v_mad_u32_u24 v5, 0x44, v3, v0
	v_xor_b32_e32 v2, s6, v2
	v_bitop3_b32 v1, v1, v7, v6 bitop3:0x80
	s_delay_alu instid0(VALU_DEP_4) | instskip(SKIP_3) | instid1(VALU_DEP_2)
	v_xor_b32_e32 v4, vcc_lo, v4
	ds_load_b32 v46, v5 offset:64
	; wave barrier
	v_bitop3_b32 v1, v1, v4, v2 bitop3:0x80
	v_mul_u32_u24_e32 v2, 0x44, v3
	v_mbcnt_lo_u32_b32 v47, v1, 0
	v_cmp_ne_u32_e64 s0, 0, v1
	s_delay_alu instid0(VALU_DEP_3) | instskip(NEXT) | instid1(VALU_DEP_3)
	v_add_nc_u32_e32 v51, v0, v2
	v_cmp_eq_u32_e32 vcc_lo, 0, v47
	s_and_b32 s1, s0, vcc_lo
	s_delay_alu instid0(SALU_CYCLE_1)
	s_and_saveexec_b32 s0, s1
	s_cbranch_execz .LBB2506_119
; %bb.118:
	s_wait_dscnt 0x0
	v_bcnt_u32_b32 v1, v1, v46
	ds_store_b32 v51, v1 offset:64
.LBB2506_119:
	s_or_b32 exec_lo, exec_lo, s0
	v_and_b32_e32 v1, 0xffff, v9
	; wave barrier
	s_delay_alu instid0(VALU_DEP_1) | instskip(NEXT) | instid1(VALU_DEP_1)
	v_lshrrev_b32_e32 v1, s16, v1
	v_and_b32_e32 v3, s7, v1
	s_delay_alu instid0(VALU_DEP_1) | instskip(SKIP_1) | instid1(VALU_DEP_1)
	v_lshlrev_b32_e32 v4, 30, v3
	v_bitop3_b32 v2, v1, 1, s7 bitop3:0x80
	v_add_co_u32 v1, s0, v2, -1
	s_delay_alu instid0(VALU_DEP_1) | instskip(NEXT) | instid1(VALU_DEP_4)
	v_cndmask_b32_e64 v2, 0, 1, s0
	v_cmp_gt_i32_e64 s0, 0, v4
	s_delay_alu instid0(VALU_DEP_2) | instskip(SKIP_1) | instid1(VALU_DEP_1)
	v_cmp_ne_u32_e32 vcc_lo, 0, v2
	v_not_b32_e32 v2, v4
	v_dual_ashrrev_i32 v2, 31, v2 :: v_dual_lshlrev_b32 v5, 29, v3
	v_dual_lshlrev_b32 v6, 28, v3 :: v_dual_lshlrev_b32 v7, 27, v3
	v_dual_lshlrev_b32 v49, 26, v3 :: v_dual_lshlrev_b32 v50, 25, v3
	v_lshlrev_b32_e32 v52, 24, v3
	s_delay_alu instid0(VALU_DEP_4)
	v_cmp_gt_i32_e64 s1, 0, v5
	v_not_b32_e32 v4, v5
	v_not_b32_e32 v5, v6
	v_cmp_gt_i32_e64 s3, 0, v6
	v_cmp_gt_i32_e64 s4, 0, v7
	v_not_b32_e32 v6, v7
	v_not_b32_e32 v7, v49
	v_dual_ashrrev_i32 v4, 31, v4 :: v_dual_bitop2_b32 v1, vcc_lo, v1 bitop3:0x14
	v_dual_ashrrev_i32 v5, 31, v5 :: v_dual_bitop2_b32 v2, s0, v2 bitop3:0x14
	v_cmp_gt_i32_e64 s5, 0, v49
	s_delay_alu instid0(VALU_DEP_4) | instskip(NEXT) | instid1(VALU_DEP_3)
	v_dual_ashrrev_i32 v6, 31, v6 :: v_dual_ashrrev_i32 v7, 31, v7
	v_xor_b32_e32 v5, s3, v5
	s_delay_alu instid0(VALU_DEP_4)
	v_bitop3_b32 v1, v1, v2, exec_lo bitop3:0x80
	v_not_b32_e32 v2, v50
	v_xor_b32_e32 v4, s1, v4
	v_not_b32_e32 v49, v52
	v_cmp_gt_i32_e64 s6, 0, v50
	v_xor_b32_e32 v6, s4, v6
	v_dual_ashrrev_i32 v2, 31, v2 :: v_dual_bitop2_b32 v7, s5, v7 bitop3:0x14
	v_bitop3_b32 v1, v1, v5, v4 bitop3:0x80
	v_cmp_gt_i32_e32 vcc_lo, 0, v52
	v_ashrrev_i32_e32 v4, 31, v49
	v_mad_u32_u24 v5, 0x44, v3, v0
	v_xor_b32_e32 v2, s6, v2
	v_bitop3_b32 v1, v1, v7, v6 bitop3:0x80
	s_delay_alu instid0(VALU_DEP_4) | instskip(SKIP_3) | instid1(VALU_DEP_2)
	v_xor_b32_e32 v4, vcc_lo, v4
	ds_load_b32 v49, v5 offset:64
	; wave barrier
	v_bitop3_b32 v1, v1, v4, v2 bitop3:0x80
	v_mul_u32_u24_e32 v2, 0x44, v3
	v_mbcnt_lo_u32_b32 v50, v1, 0
	v_cmp_ne_u32_e64 s0, 0, v1
	s_delay_alu instid0(VALU_DEP_3) | instskip(NEXT) | instid1(VALU_DEP_3)
	v_add_nc_u32_e32 v54, v0, v2
	v_cmp_eq_u32_e32 vcc_lo, 0, v50
	s_and_b32 s1, s0, vcc_lo
	s_delay_alu instid0(SALU_CYCLE_1)
	s_and_saveexec_b32 s0, s1
	s_cbranch_execz .LBB2506_121
; %bb.120:
	s_wait_dscnt 0x0
	v_bcnt_u32_b32 v1, v1, v49
	ds_store_b32 v54, v1 offset:64
.LBB2506_121:
	s_or_b32 exec_lo, exec_lo, s0
	v_and_b32_e32 v1, 0xffff, v10
	; wave barrier
	s_delay_alu instid0(VALU_DEP_1) | instskip(NEXT) | instid1(VALU_DEP_1)
	v_lshrrev_b32_e32 v1, s16, v1
	v_and_b32_e32 v3, s7, v1
	s_delay_alu instid0(VALU_DEP_1) | instskip(SKIP_1) | instid1(VALU_DEP_1)
	v_lshlrev_b32_e32 v4, 30, v3
	v_bitop3_b32 v2, v1, 1, s7 bitop3:0x80
	v_add_co_u32 v1, s0, v2, -1
	s_delay_alu instid0(VALU_DEP_1) | instskip(NEXT) | instid1(VALU_DEP_4)
	v_cndmask_b32_e64 v2, 0, 1, s0
	v_cmp_gt_i32_e64 s0, 0, v4
	s_delay_alu instid0(VALU_DEP_2) | instskip(SKIP_1) | instid1(VALU_DEP_1)
	v_cmp_ne_u32_e32 vcc_lo, 0, v2
	v_not_b32_e32 v2, v4
	v_dual_ashrrev_i32 v2, 31, v2 :: v_dual_lshlrev_b32 v5, 29, v3
	v_dual_lshlrev_b32 v6, 28, v3 :: v_dual_lshlrev_b32 v7, 27, v3
	v_dual_lshlrev_b32 v52, 26, v3 :: v_dual_lshlrev_b32 v53, 25, v3
	v_lshlrev_b32_e32 v55, 24, v3
	s_delay_alu instid0(VALU_DEP_4)
	v_cmp_gt_i32_e64 s1, 0, v5
	v_not_b32_e32 v4, v5
	v_not_b32_e32 v5, v6
	v_cmp_gt_i32_e64 s3, 0, v6
	v_cmp_gt_i32_e64 s4, 0, v7
	v_not_b32_e32 v6, v7
	v_not_b32_e32 v7, v52
	v_dual_ashrrev_i32 v4, 31, v4 :: v_dual_bitop2_b32 v1, vcc_lo, v1 bitop3:0x14
	v_dual_ashrrev_i32 v5, 31, v5 :: v_dual_bitop2_b32 v2, s0, v2 bitop3:0x14
	v_cmp_gt_i32_e64 s5, 0, v52
	s_delay_alu instid0(VALU_DEP_4) | instskip(SKIP_1) | instid1(VALU_DEP_4)
	v_dual_ashrrev_i32 v6, 31, v6 :: v_dual_ashrrev_i32 v7, 31, v7
	v_not_b32_e32 v52, v55
	v_xor_b32_e32 v5, s3, v5
	v_bitop3_b32 v1, v1, v2, exec_lo bitop3:0x80
	v_not_b32_e32 v2, v53
	v_xor_b32_e32 v4, s1, v4
	v_cmp_gt_i32_e64 s6, 0, v53
	v_xor_b32_e32 v6, s4, v6
	s_delay_alu instid0(VALU_DEP_4) | instskip(NEXT) | instid1(VALU_DEP_4)
	v_dual_ashrrev_i32 v2, 31, v2 :: v_dual_bitop2_b32 v7, s5, v7 bitop3:0x14
	v_bitop3_b32 v1, v1, v5, v4 bitop3:0x80
	v_cmp_gt_i32_e32 vcc_lo, 0, v55
	v_ashrrev_i32_e32 v4, 31, v52
	v_mad_u32_u24 v5, 0x44, v3, v0
	v_xor_b32_e32 v2, s6, v2
	v_bitop3_b32 v1, v1, v7, v6 bitop3:0x80
	s_delay_alu instid0(VALU_DEP_4) | instskip(SKIP_3) | instid1(VALU_DEP_2)
	v_xor_b32_e32 v4, vcc_lo, v4
	ds_load_b32 v52, v5 offset:64
	; wave barrier
	v_bitop3_b32 v1, v1, v4, v2 bitop3:0x80
	v_mul_u32_u24_e32 v2, 0x44, v3
	v_mbcnt_lo_u32_b32 v53, v1, 0
	v_cmp_ne_u32_e64 s0, 0, v1
	s_delay_alu instid0(VALU_DEP_3) | instskip(NEXT) | instid1(VALU_DEP_3)
	v_add_nc_u32_e32 v57, v0, v2
	v_cmp_eq_u32_e32 vcc_lo, 0, v53
	s_and_b32 s1, s0, vcc_lo
	s_delay_alu instid0(SALU_CYCLE_1)
	s_and_saveexec_b32 s0, s1
	s_cbranch_execz .LBB2506_123
; %bb.122:
	s_wait_dscnt 0x0
	v_bcnt_u32_b32 v1, v1, v52
	ds_store_b32 v57, v1 offset:64
.LBB2506_123:
	s_or_b32 exec_lo, exec_lo, s0
	v_and_b32_e32 v1, 0xffff, v11
	; wave barrier
	s_delay_alu instid0(VALU_DEP_1) | instskip(NEXT) | instid1(VALU_DEP_1)
	v_lshrrev_b32_e32 v1, s16, v1
	v_and_b32_e32 v3, s7, v1
	s_delay_alu instid0(VALU_DEP_1) | instskip(SKIP_1) | instid1(VALU_DEP_1)
	v_lshlrev_b32_e32 v4, 30, v3
	v_bitop3_b32 v2, v1, 1, s7 bitop3:0x80
	v_add_co_u32 v1, s0, v2, -1
	s_delay_alu instid0(VALU_DEP_1) | instskip(NEXT) | instid1(VALU_DEP_4)
	v_cndmask_b32_e64 v2, 0, 1, s0
	v_cmp_gt_i32_e64 s0, 0, v4
	s_delay_alu instid0(VALU_DEP_2) | instskip(SKIP_1) | instid1(VALU_DEP_1)
	v_cmp_ne_u32_e32 vcc_lo, 0, v2
	v_not_b32_e32 v2, v4
	v_dual_ashrrev_i32 v2, 31, v2 :: v_dual_lshlrev_b32 v5, 29, v3
	v_dual_lshlrev_b32 v6, 28, v3 :: v_dual_lshlrev_b32 v7, 27, v3
	v_dual_lshlrev_b32 v55, 26, v3 :: v_dual_lshlrev_b32 v56, 25, v3
	v_lshlrev_b32_e32 v58, 24, v3
	s_delay_alu instid0(VALU_DEP_4)
	v_cmp_gt_i32_e64 s1, 0, v5
	v_not_b32_e32 v4, v5
	v_not_b32_e32 v5, v6
	v_cmp_gt_i32_e64 s3, 0, v6
	v_cmp_gt_i32_e64 s4, 0, v7
	v_not_b32_e32 v6, v7
	v_not_b32_e32 v7, v55
	v_dual_ashrrev_i32 v4, 31, v4 :: v_dual_bitop2_b32 v1, vcc_lo, v1 bitop3:0x14
	v_dual_ashrrev_i32 v5, 31, v5 :: v_dual_bitop2_b32 v2, s0, v2 bitop3:0x14
	v_cmp_gt_i32_e64 s5, 0, v55
	s_delay_alu instid0(VALU_DEP_4) | instskip(SKIP_1) | instid1(VALU_DEP_4)
	v_dual_ashrrev_i32 v6, 31, v6 :: v_dual_ashrrev_i32 v7, 31, v7
	v_not_b32_e32 v55, v58
	v_xor_b32_e32 v5, s3, v5
	v_bitop3_b32 v1, v1, v2, exec_lo bitop3:0x80
	v_not_b32_e32 v2, v56
	v_xor_b32_e32 v4, s1, v4
	v_cmp_gt_i32_e64 s6, 0, v56
	v_xor_b32_e32 v6, s4, v6
	s_delay_alu instid0(VALU_DEP_4) | instskip(NEXT) | instid1(VALU_DEP_4)
	v_dual_ashrrev_i32 v2, 31, v2 :: v_dual_bitop2_b32 v7, s5, v7 bitop3:0x14
	v_bitop3_b32 v1, v1, v5, v4 bitop3:0x80
	v_cmp_gt_i32_e32 vcc_lo, 0, v58
	v_ashrrev_i32_e32 v4, 31, v55
	v_mad_u32_u24 v5, 0x44, v3, v0
	v_xor_b32_e32 v2, s6, v2
	v_bitop3_b32 v1, v1, v7, v6 bitop3:0x80
	s_delay_alu instid0(VALU_DEP_4) | instskip(SKIP_3) | instid1(VALU_DEP_2)
	v_xor_b32_e32 v4, vcc_lo, v4
	ds_load_b32 v55, v5 offset:64
	; wave barrier
	v_bitop3_b32 v1, v1, v4, v2 bitop3:0x80
	v_mul_u32_u24_e32 v2, 0x44, v3
	v_mbcnt_lo_u32_b32 v56, v1, 0
	v_cmp_ne_u32_e64 s0, 0, v1
	s_delay_alu instid0(VALU_DEP_3) | instskip(NEXT) | instid1(VALU_DEP_3)
	v_add_nc_u32_e32 v58, v0, v2
	v_cmp_eq_u32_e32 vcc_lo, 0, v56
	s_and_b32 s1, s0, vcc_lo
	s_delay_alu instid0(SALU_CYCLE_1)
	s_and_saveexec_b32 s0, s1
	s_cbranch_execz .LBB2506_125
; %bb.124:
	s_wait_dscnt 0x0
	v_bcnt_u32_b32 v0, v1, v55
	ds_store_b32 v58, v0 offset:64
.LBB2506_125:
	s_or_b32 exec_lo, exec_lo, s0
	; wave barrier
	s_wait_dscnt 0x0
	s_barrier_signal -1
	s_barrier_wait -1
	ds_load_2addr_b32 v[6:7], v24 offset0:16 offset1:17
	ds_load_2addr_b32 v[4:5], v24 offset0:18 offset1:19
	;; [unrolled: 1-line block ×4, first 2 shown]
	ds_load_b32 v59, v24 offset:96
	v_min_u32_e32 v16, 0x1e0, v16
	s_mov_b32 s5, exec_lo
	s_delay_alu instid0(VALU_DEP_1) | instskip(SKIP_3) | instid1(VALU_DEP_1)
	v_or_b32_e32 v62, 31, v16
	s_wait_dscnt 0x3
	v_add3_u32 v60, v7, v6, v4
	s_wait_dscnt 0x2
	v_add3_u32 v60, v60, v5, v2
	s_wait_dscnt 0x1
	s_delay_alu instid0(VALU_DEP_1) | instskip(SKIP_1) | instid1(VALU_DEP_1)
	v_add3_u32 v60, v60, v3, v0
	s_wait_dscnt 0x0
	v_add3_u32 v59, v60, v1, v59
	v_and_b32_e32 v60, 15, v15
	s_delay_alu instid0(VALU_DEP_2) | instskip(NEXT) | instid1(VALU_DEP_2)
	v_mov_b32_dpp v61, v59 row_shr:1 row_mask:0xf bank_mask:0xf
	v_cmp_eq_u32_e32 vcc_lo, 0, v60
	v_cmp_lt_u32_e64 s0, 1, v60
	s_delay_alu instid0(VALU_DEP_3) | instskip(NEXT) | instid1(VALU_DEP_1)
	v_cndmask_b32_e64 v61, v61, 0, vcc_lo
	v_add_nc_u32_e32 v59, v61, v59
	s_delay_alu instid0(VALU_DEP_1) | instskip(NEXT) | instid1(VALU_DEP_1)
	v_mov_b32_dpp v61, v59 row_shr:2 row_mask:0xf bank_mask:0xf
	v_cndmask_b32_e64 v61, 0, v61, s0
	v_cmp_lt_u32_e64 s3, 7, v60
	v_cmp_lt_u32_e64 s1, 3, v60
	s_delay_alu instid0(VALU_DEP_3) | instskip(NEXT) | instid1(VALU_DEP_1)
	v_add_nc_u32_e32 v59, v59, v61
	v_mov_b32_dpp v61, v59 row_shr:4 row_mask:0xf bank_mask:0xf
	s_delay_alu instid0(VALU_DEP_1) | instskip(NEXT) | instid1(VALU_DEP_1)
	v_cndmask_b32_e64 v61, 0, v61, s1
	v_add_nc_u32_e32 v59, v59, v61
	s_delay_alu instid0(VALU_DEP_1) | instskip(NEXT) | instid1(VALU_DEP_1)
	v_mov_b32_dpp v61, v59 row_shr:8 row_mask:0xf bank_mask:0xf
	v_cndmask_b32_e64 v60, 0, v61, s3
	v_bfe_i32 v61, v15, 4, 1
	s_delay_alu instid0(VALU_DEP_2) | instskip(SKIP_3) | instid1(VALU_DEP_1)
	v_add_nc_u32_e32 v60, v59, v60
	ds_swizzle_b32 v59, v60 offset:swizzle(BROADCAST,32,15)
	s_wait_dscnt 0x0
	v_dual_lshrrev_b32 v59, 5, v14 :: v_dual_bitop2_b32 v61, v61, v59 bitop3:0x40
	v_add_nc_u32_e32 v16, v60, v61
	v_cmpx_eq_u32_e64 v14, v62
; %bb.126:
	s_delay_alu instid0(VALU_DEP_3)
	v_lshlrev_b32_e32 v60, 2, v59
	ds_store_b32 v60, v16
; %bb.127:
	s_or_b32 exec_lo, exec_lo, s5
	s_delay_alu instid0(SALU_CYCLE_1)
	s_mov_b32 s5, exec_lo
	s_wait_dscnt 0x0
	s_barrier_signal -1
	s_barrier_wait -1
	v_cmpx_gt_u32_e32 16, v14
	s_cbranch_execz .LBB2506_129
; %bb.128:
	v_lshlrev_b32_e32 v60, 2, v14
	ds_load_b32 v61, v60
	s_wait_dscnt 0x0
	v_mov_b32_dpp v62, v61 row_shr:1 row_mask:0xf bank_mask:0xf
	s_delay_alu instid0(VALU_DEP_1) | instskip(NEXT) | instid1(VALU_DEP_1)
	v_cndmask_b32_e64 v62, v62, 0, vcc_lo
	v_add_nc_u32_e32 v61, v62, v61
	s_delay_alu instid0(VALU_DEP_1) | instskip(NEXT) | instid1(VALU_DEP_1)
	v_mov_b32_dpp v62, v61 row_shr:2 row_mask:0xf bank_mask:0xf
	v_cndmask_b32_e64 v62, 0, v62, s0
	s_delay_alu instid0(VALU_DEP_1) | instskip(NEXT) | instid1(VALU_DEP_1)
	v_add_nc_u32_e32 v61, v61, v62
	v_mov_b32_dpp v62, v61 row_shr:4 row_mask:0xf bank_mask:0xf
	s_delay_alu instid0(VALU_DEP_1) | instskip(NEXT) | instid1(VALU_DEP_1)
	v_cndmask_b32_e64 v62, 0, v62, s1
	v_add_nc_u32_e32 v61, v61, v62
	s_delay_alu instid0(VALU_DEP_1) | instskip(NEXT) | instid1(VALU_DEP_1)
	v_mov_b32_dpp v62, v61 row_shr:8 row_mask:0xf bank_mask:0xf
	v_cndmask_b32_e64 v62, 0, v62, s3
	s_delay_alu instid0(VALU_DEP_1)
	v_add_nc_u32_e32 v61, v61, v62
	ds_store_b32 v60, v61
.LBB2506_129:
	s_or_b32 exec_lo, exec_lo, s5
	v_mov_b32_e32 v60, 0
	s_mov_b32 s0, exec_lo
	s_wait_dscnt 0x0
	s_barrier_signal -1
	s_barrier_wait -1
	v_cmpx_lt_u32_e32 31, v14
; %bb.130:
	v_lshl_add_u32 v59, v59, 2, -4
	ds_load_b32 v60, v59
; %bb.131:
	s_or_b32 exec_lo, exec_lo, s0
	v_sub_co_u32 v59, vcc_lo, v15, 1
	s_wait_dscnt 0x0
	v_add_nc_u32_e32 v16, v60, v16
	s_delay_alu instid0(VALU_DEP_2) | instskip(NEXT) | instid1(VALU_DEP_1)
	v_cmp_gt_i32_e64 s0, 0, v59
	v_cndmask_b32_e64 v15, v59, v15, s0
	v_cmp_gt_u32_e64 s0, 0x100, v14
	s_delay_alu instid0(VALU_DEP_2) | instskip(SKIP_4) | instid1(VALU_DEP_2)
	v_lshlrev_b32_e32 v15, 2, v15
	ds_bpermute_b32 v15, v15, v16
	s_wait_dscnt 0x0
	v_cndmask_b32_e32 v15, v15, v60, vcc_lo
	v_cmp_lt_u32_e32 vcc_lo, 0xff, v14
	v_cndmask_b32_e64 v15, v15, 0, s2
	s_delay_alu instid0(VALU_DEP_1) | instskip(NEXT) | instid1(VALU_DEP_1)
	v_add_nc_u32_e32 v6, v15, v6
	v_add_nc_u32_e32 v7, v6, v7
	s_delay_alu instid0(VALU_DEP_1) | instskip(NEXT) | instid1(VALU_DEP_1)
	v_add_nc_u32_e32 v4, v7, v4
	v_add_nc_u32_e32 v5, v4, v5
	s_delay_alu instid0(VALU_DEP_1) | instskip(NEXT) | instid1(VALU_DEP_1)
	v_add_nc_u32_e32 v2, v5, v2
	v_add_nc_u32_e32 v3, v2, v3
	s_delay_alu instid0(VALU_DEP_1) | instskip(NEXT) | instid1(VALU_DEP_1)
	v_add_nc_u32_e32 v0, v3, v0
	v_add_nc_u32_e32 v1, v0, v1
	ds_store_2addr_b32 v24, v15, v6 offset0:16 offset1:17
	ds_store_2addr_b32 v24, v7, v4 offset0:18 offset1:19
	;; [unrolled: 1-line block ×4, first 2 shown]
	ds_store_b32 v24, v1 offset:96
	s_wait_dscnt 0x0
	s_barrier_signal -1
	s_barrier_wait -1
	ds_load_b32 v59, v25 offset:64
	ds_load_b32 v60, v28 offset:64
	;; [unrolled: 1-line block ×12, first 2 shown]
	v_mov_b64_e32 v[0:1], 0
                                        ; implicit-def: $vgpr2
	s_and_saveexec_b32 s2, s0
	s_cbranch_execz .LBB2506_135
; %bb.132:
	v_mul_u32_u24_e32 v0, 0x44, v14
	v_dual_mov_b32 v1, 0x1800 :: v_dual_add_nc_u32 v2, 1, v14
	s_mov_b32 s3, exec_lo
	ds_load_b32 v0, v0 offset:64
	v_cmpx_ne_u32_e32 0x100, v2
; %bb.133:
	v_mul_u32_u24_e32 v1, 0x44, v2
	ds_load_b32 v1, v1 offset:64
; %bb.134:
	s_or_b32 exec_lo, exec_lo, s3
	s_wait_dscnt 0x0
	v_dual_mov_b32 v1, 0 :: v_dual_sub_nc_u32 v2, v1, v0
.LBB2506_135:
	s_or_b32 exec_lo, exec_lo, s2
	s_wait_dscnt 0xa
	v_dual_lshlrev_b32 v23, 1, v23 :: v_dual_lshlrev_b32 v31, 1, v60
	v_dual_lshlrev_b32 v27, 1, v27 :: v_dual_lshlrev_b32 v26, 1, v26
	v_lshlrev_b32_e32 v29, 1, v29
	s_delay_alu instid0(VALU_DEP_3)
	v_lshl_add_u32 v23, v59, 1, v23
	s_wait_dscnt 0x0
	s_barrier_signal -1
	v_add3_u32 v26, v31, v27, v26
	v_dual_lshlrev_b32 v27, 1, v28 :: v_dual_lshlrev_b32 v28, 1, v30
	s_barrier_wait -1
	ds_store_b16 v23, v21 offset:2048
	ds_store_b16 v26, v22 offset:2048
	v_dual_lshlrev_b32 v22, 1, v25 :: v_dual_lshlrev_b32 v24, 1, v24
	v_dual_lshlrev_b32 v23, 1, v33 :: v_dual_lshlrev_b32 v26, 1, v36
	v_lshlrev_b32_e32 v25, 1, v32
	v_add3_u32 v21, v27, v28, v29
	v_dual_lshlrev_b32 v27, 1, v35 :: v_dual_lshlrev_b32 v16, 1, v16
	v_dual_lshlrev_b32 v28, 1, v39 :: v_dual_lshlrev_b32 v29, 1, v38
	;; [unrolled: 1-line block ×4, first 2 shown]
	ds_store_b16 v21, v20 offset:2048
	v_add3_u32 v20, v22, v23, v25
	v_dual_lshlrev_b32 v22, 1, v45 :: v_dual_lshlrev_b32 v23, 1, v43
	v_add3_u32 v21, v24, v26, v27
	v_add3_u32 v16, v16, v28, v29
	;; [unrolled: 1-line block ×3, first 2 shown]
	ds_store_b16 v20, v13 offset:2048
	ds_store_b16 v21, v17 offset:2048
	ds_store_b16 v16, v18 offset:2048
	ds_store_b16 v15, v19 offset:2048
	v_add3_u32 v7, v7, v22, v23
	v_dual_lshlrev_b32 v6, 1, v6 :: v_dual_lshlrev_b32 v13, 1, v47
	v_dual_lshlrev_b32 v15, 1, v46 :: v_dual_lshlrev_b32 v5, 1, v5
	;; [unrolled: 1-line block ×6, first 2 shown]
	ds_store_b16 v7, v12 offset:2048
	v_add3_u32 v6, v6, v13, v15
	v_add3_u32 v7, v5, v16, v17
	;; [unrolled: 1-line block ×3, first 2 shown]
	v_dual_mov_b32 v5, 0 :: v_dual_lshlrev_b32 v3, 3, v14
	v_add3_u32 v4, v4, v18, v19
	ds_store_b16 v6, v8 offset:2048
	ds_store_b16 v7, v9 offset:2048
	;; [unrolled: 1-line block ×4, first 2 shown]
	s_and_saveexec_b32 s1, s0
	s_cbranch_execz .LBB2506_145
; %bb.136:
	v_lshl_add_u32 v4, s19, 8, v14
	v_dual_mov_b32 v8, 0 :: v_dual_bitop2_b32 v9, 2.0, v2 bitop3:0x54
	s_mov_b32 s2, 0
	s_mov_b32 s3, s19
	s_delay_alu instid0(VALU_DEP_2)
	v_lshl_add_u64 v[6:7], v[4:5], 2, s[20:21]
	global_store_b32 v4, v9, s[20:21] scale_offset scope:SCOPE_DEV
                                        ; implicit-def: $sgpr0
	s_branch .LBB2506_139
.LBB2506_137:                           ;   in Loop: Header=BB2506_139 Depth=1
	s_or_b32 exec_lo, exec_lo, s5
.LBB2506_138:                           ;   in Loop: Header=BB2506_139 Depth=1
	s_delay_alu instid0(SALU_CYCLE_1) | instskip(SKIP_2) | instid1(VALU_DEP_2)
	s_or_b32 exec_lo, exec_lo, s4
	v_and_b32_e32 v4, 0x3fffffff, v9
	v_cmp_gt_i32_e64 s0, -2.0, v9
	v_add_nc_u32_e32 v8, v4, v8
	s_and_b32 s4, exec_lo, s0
	s_delay_alu instid0(SALU_CYCLE_1) | instskip(NEXT) | instid1(SALU_CYCLE_1)
	s_or_b32 s2, s4, s2
	s_and_not1_b32 exec_lo, exec_lo, s2
	s_cbranch_execz .LBB2506_144
.LBB2506_139:                           ; =>This Loop Header: Depth=1
                                        ;     Child Loop BB2506_142 Depth 2
	s_or_b32 s0, s0, exec_lo
	s_cmp_eq_u32 s3, 0
	s_cbranch_scc1 .LBB2506_143
; %bb.140:                              ;   in Loop: Header=BB2506_139 Depth=1
	s_add_co_i32 s3, s3, -1
	s_mov_b32 s4, exec_lo
	s_wait_xcnt 0x0
	v_lshl_or_b32 v4, s3, 8, v14
	global_load_b32 v9, v4, s[20:21] scale_offset scope:SCOPE_DEV
	s_wait_loadcnt 0x0
	v_cmpx_gt_u32_e32 2.0, v9
	s_cbranch_execz .LBB2506_138
; %bb.141:                              ;   in Loop: Header=BB2506_139 Depth=1
	v_lshl_add_u64 v[10:11], v[4:5], 2, s[20:21]
	s_mov_b32 s5, 0
.LBB2506_142:                           ;   Parent Loop BB2506_139 Depth=1
                                        ; =>  This Inner Loop Header: Depth=2
	global_load_b32 v9, v[10:11], off scope:SCOPE_DEV
	s_wait_loadcnt 0x0
	v_cmp_lt_u32_e64 s0, 0x3fffffff, v9
	s_or_b32 s5, s0, s5
	s_wait_xcnt 0x0
	s_and_not1_b32 exec_lo, exec_lo, s5
	s_cbranch_execnz .LBB2506_142
	s_branch .LBB2506_137
.LBB2506_143:                           ;   in Loop: Header=BB2506_139 Depth=1
                                        ; implicit-def: $sgpr3
	s_and_b32 s4, exec_lo, s0
	s_delay_alu instid0(SALU_CYCLE_1)
	s_or_b32 s2, s4, s2
	s_wait_xcnt 0x0
	s_and_not1_b32 exec_lo, exec_lo, s2
	s_cbranch_execnz .LBB2506_139
.LBB2506_144:
	s_or_b32 exec_lo, exec_lo, s2
	v_dual_mov_b32 v9, 0 :: v_dual_add_nc_u32 v4, v8, v2
	s_delay_alu instid0(VALU_DEP_1) | instskip(SKIP_4) | instid1(VALU_DEP_1)
	v_or_b32_e32 v4, 0x80000000, v4
	global_store_b32 v[6:7], v4, off scope:SCOPE_DEV
	global_load_b64 v[4:5], v14, s[8:9] scale_offset
	v_sub_nc_u64_e32 v[6:7], v[8:9], v[0:1]
	s_wait_loadcnt 0x0
	v_add_nc_u64_e32 v[4:5], v[6:7], v[4:5]
	ds_store_b64 v3, v[4:5]
.LBB2506_145:
	s_wait_xcnt 0x0
	s_or_b32 exec_lo, exec_lo, s1
	v_mad_i32_i24 v8, v14, -6, v3
	s_wait_storecnt_dscnt 0x0
	s_barrier_signal -1
	s_barrier_wait -1
	ds_load_u16 v15, v8 offset:2048
	ds_load_u16 v30, v8 offset:3072
	;; [unrolled: 1-line block ×11, first 2 shown]
	v_dual_mov_b32 v5, 0 :: v_dual_lshlrev_b32 v4, 1, v14
	s_add_co_i32 s12, s12, -1
	s_delay_alu instid0(SALU_CYCLE_1) | instskip(SKIP_2) | instid1(SALU_CYCLE_1)
	s_cmp_eq_u32 s19, s12
	s_cselect_b32 s0, -1, 0
	s_xor_b32 s1, vcc_lo, -1
	s_and_b32 s0, s1, s0
	s_wait_dscnt 0xa
	v_and_b32_e32 v6, 0xffff, v15
	s_wait_dscnt 0x9
	v_and_b32_e32 v7, 0xffff, v30
	;; [unrolled: 2-line block ×5, first 2 shown]
	v_dual_lshrrev_b32 v6, s16, v6 :: v_dual_lshrrev_b32 v7, s16, v7
	s_wait_dscnt 0x5
	v_and_b32_e32 v12, 0xffff, v34
	s_wait_dscnt 0x4
	v_and_b32_e32 v13, 0xffff, v35
	;; [unrolled: 2-line block ×3, first 2 shown]
	v_dual_lshrrev_b32 v9, s16, v9 :: v_dual_lshrrev_b32 v10, s16, v10
	v_and_b32_e32 v7, s7, v7
	v_dual_lshrrev_b32 v11, s16, v11 :: v_dual_bitop2_b32 v6, s7, v6 bitop3:0x40
	v_dual_lshrrev_b32 v12, s16, v12 :: v_dual_lshrrev_b32 v13, s16, v13
	s_delay_alu instid0(VALU_DEP_3) | instskip(NEXT) | instid1(VALU_DEP_3)
	v_dual_lshrrev_b32 v16, s16, v16 :: v_dual_lshlrev_b32 v17, 3, v7
	v_lshlrev_b32_e32 v6, 3, v6
	v_and_b32_e32 v10, s7, v10
	ds_load_b64 v[6:7], v6
	ds_load_u16 v40, v8 offset:13312
	v_dual_lshlrev_b32 v19, 3, v10 :: v_dual_bitop2_b32 v9, s7, v9 bitop3:0x40
	v_and_b32_e32 v12, s7, v12
	v_and_b32_e32 v11, s7, v11
	;; [unrolled: 1-line block ×4, first 2 shown]
	s_delay_alu instid0(VALU_DEP_4) | instskip(NEXT) | instid1(VALU_DEP_4)
	v_dual_lshlrev_b32 v18, 3, v9 :: v_dual_lshlrev_b32 v21, 3, v12
	v_lshlrev_b32_e32 v20, 3, v11
	s_wait_dscnt 0x4
	v_and_b32_e32 v24, 0xffff, v37
	s_wait_dscnt 0x3
	v_and_b32_e32 v25, 0xffff, v38
	;; [unrolled: 2-line block ×3, first 2 shown]
	v_dual_lshlrev_b32 v23, 3, v16 :: v_dual_lshlrev_b32 v22, 3, v13
	ds_load_b64 v[8:9], v17
	ds_load_b64 v[10:11], v18
	;; [unrolled: 1-line block ×4, first 2 shown]
	v_lshrrev_b32_e32 v24, s16, v24
	ds_load_b64 v[18:19], v21
	ds_load_b64 v[20:21], v22
	v_dual_lshrrev_b32 v22, s16, v25 :: v_dual_lshrrev_b32 v25, s16, v26
	v_and_b32_e32 v24, s7, v24
	s_wait_dscnt 0x6
	v_and_b32_e32 v26, 0xffff, v40
	v_lshl_add_u64 v[6:7], v[6:7], 1, s[14:15]
	v_and_b32_e32 v22, s7, v22
	v_dual_lshlrev_b32 v24, 3, v24 :: v_dual_bitop2_b32 v27, s7, v25 bitop3:0x40
	s_delay_alu instid0(VALU_DEP_4) | instskip(NEXT) | instid1(VALU_DEP_4)
	v_lshrrev_b32_e32 v26, s16, v26
	v_add_nc_u64_e32 v[6:7], v[6:7], v[4:5]
	s_delay_alu instid0(VALU_DEP_4)
	v_lshlrev_b32_e32 v28, 3, v22
	ds_load_b64 v[22:23], v23
	ds_load_b64 v[24:25], v24
	v_and_b32_e32 v26, s7, v26
	s_wait_dscnt 0x7
	v_lshl_add_u64 v[8:9], v[8:9], 1, s[14:15]
	s_wait_dscnt 0x5
	v_lshl_add_u64 v[12:13], v[12:13], 1, s[14:15]
	global_store_b16 v[6:7], v15, off
	s_wait_xcnt 0x0
	v_lshl_add_u64 v[6:7], v[10:11], 1, s[14:15]
	v_lshlrev_b32_e32 v15, 3, v27
	ds_load_b64 v[10:11], v28
	v_lshlrev_b32_e32 v28, 3, v26
	v_add_nc_u64_e32 v[8:9], v[8:9], v[4:5]
	v_add_nc_u64_e32 v[6:7], v[6:7], v[4:5]
	ds_load_b64 v[26:27], v15
	s_wait_dscnt 0x6
	v_lshl_add_u64 v[16:17], v[16:17], 1, s[14:15]
	ds_load_b64 v[28:29], v28
	v_add_nc_u64_e32 v[12:13], v[12:13], v[4:5]
	global_store_b16 v[8:9], v30, off offset:1024
	s_wait_dscnt 0x6
	s_wait_xcnt 0x0
	v_lshl_add_u64 v[8:9], v[18:19], 1, s[14:15]
	s_wait_dscnt 0x5
	v_lshl_add_u64 v[18:19], v[20:21], 1, s[14:15]
	v_add_nc_u64_e32 v[16:17], v[16:17], v[4:5]
	global_store_b16 v[6:7], v31, off offset:2048
	s_wait_dscnt 0x3
	v_lshl_add_u64 v[20:21], v[24:25], 1, s[14:15]
	s_wait_xcnt 0x0
	v_add_nc_u64_e32 v[6:7], v[8:9], v[4:5]
	v_lshl_add_u64 v[8:9], v[22:23], 1, s[14:15]
	v_add_nc_u64_e32 v[18:19], v[18:19], v[4:5]
	s_clause 0x1
	global_store_b16 v[12:13], v32, off offset:3072
	global_store_b16 v[16:17], v33, off offset:4096
	s_wait_xcnt 0x1
	v_add_nc_u64_e32 v[12:13], v[20:21], v[4:5]
	s_wait_dscnt 0x2
	v_lshl_add_u64 v[10:11], v[10:11], 1, s[14:15]
	v_add_nc_u64_e32 v[8:9], v[8:9], v[4:5]
	s_clause 0x1
	global_store_b16 v[6:7], v34, off offset:5120
	global_store_b16 v[18:19], v35, off offset:6144
	s_wait_dscnt 0x1
	s_wait_xcnt 0x1
	v_lshl_add_u64 v[6:7], v[26:27], 1, s[14:15]
	v_add_nc_u64_e32 v[10:11], v[10:11], v[4:5]
	s_wait_dscnt 0x0
	v_lshl_add_u64 v[16:17], v[28:29], 1, s[14:15]
	s_clause 0x1
	global_store_b16 v[8:9], v36, off offset:7168
	global_store_b16 v[12:13], v37, off offset:8192
	v_add_nc_u64_e32 v[6:7], v[6:7], v[4:5]
	s_wait_xcnt 0x1
	v_add_nc_u64_e32 v[8:9], v[16:17], v[4:5]
	s_clause 0x2
	global_store_b16 v[10:11], v38, off offset:9216
	global_store_b16 v[6:7], v39, off offset:10240
	;; [unrolled: 1-line block ×3, first 2 shown]
	s_wait_xcnt 0x0
	s_and_saveexec_b32 s1, s0
	s_cbranch_execz .LBB2506_147
; %bb.146:
	ds_load_b64 v[6:7], v3
	v_mov_b32_e32 v3, v5
	s_delay_alu instid0(VALU_DEP_1) | instskip(SKIP_1) | instid1(VALU_DEP_1)
	v_add_nc_u64_e32 v[0:1], v[0:1], v[2:3]
	s_wait_dscnt 0x0
	v_add_nc_u64_e32 v[0:1], v[0:1], v[6:7]
	global_store_b64 v14, v[0:1], s[10:11] scale_offset
.LBB2506_147:
	s_sendmsg sendmsg(MSG_DEALLOC_VGPRS)
	s_endpgm
	.section	.rodata,"a",@progbits
	.p2align	6, 0x0
	.amdhsa_kernel _ZN7rocprim17ROCPRIM_400000_NS6detail17trampoline_kernelINS0_14default_configENS1_35radix_sort_onesweep_config_selectorItNS0_10empty_typeEEEZZNS1_29radix_sort_onesweep_iterationIS3_Lb0EPKtPtPS5_SB_mNS0_19identity_decomposerENS1_16block_id_wrapperIjLb1EEEEE10hipError_tT1_PNSt15iterator_traitsISG_E10value_typeET2_T3_PNSH_ISM_E10value_typeET4_T5_PSR_SS_PNS1_23onesweep_lookback_stateEbbT6_jjT7_P12ihipStream_tbENKUlT_T0_SG_SL_E_clISA_SA_SB_SB_EEDaSZ_S10_SG_SL_EUlSZ_E_NS1_11comp_targetILNS1_3genE0ELNS1_11target_archE4294967295ELNS1_3gpuE0ELNS1_3repE0EEENS1_47radix_sort_onesweep_sort_config_static_selectorELNS0_4arch9wavefront6targetE0EEEvSG_
		.amdhsa_group_segment_fixed_size 18504
		.amdhsa_private_segment_fixed_size 0
		.amdhsa_kernarg_size 344
		.amdhsa_user_sgpr_count 2
		.amdhsa_user_sgpr_dispatch_ptr 0
		.amdhsa_user_sgpr_queue_ptr 0
		.amdhsa_user_sgpr_kernarg_segment_ptr 1
		.amdhsa_user_sgpr_dispatch_id 0
		.amdhsa_user_sgpr_kernarg_preload_length 0
		.amdhsa_user_sgpr_kernarg_preload_offset 0
		.amdhsa_user_sgpr_private_segment_size 0
		.amdhsa_wavefront_size32 1
		.amdhsa_uses_dynamic_stack 0
		.amdhsa_enable_private_segment 0
		.amdhsa_system_sgpr_workgroup_id_x 1
		.amdhsa_system_sgpr_workgroup_id_y 0
		.amdhsa_system_sgpr_workgroup_id_z 0
		.amdhsa_system_sgpr_workgroup_info 0
		.amdhsa_system_vgpr_workitem_id 2
		.amdhsa_next_free_vgpr 65
		.amdhsa_next_free_sgpr 29
		.amdhsa_named_barrier_count 0
		.amdhsa_reserve_vcc 1
		.amdhsa_float_round_mode_32 0
		.amdhsa_float_round_mode_16_64 0
		.amdhsa_float_denorm_mode_32 3
		.amdhsa_float_denorm_mode_16_64 3
		.amdhsa_fp16_overflow 0
		.amdhsa_memory_ordered 1
		.amdhsa_forward_progress 1
		.amdhsa_inst_pref_size 132
		.amdhsa_round_robin_scheduling 0
		.amdhsa_exception_fp_ieee_invalid_op 0
		.amdhsa_exception_fp_denorm_src 0
		.amdhsa_exception_fp_ieee_div_zero 0
		.amdhsa_exception_fp_ieee_overflow 0
		.amdhsa_exception_fp_ieee_underflow 0
		.amdhsa_exception_fp_ieee_inexact 0
		.amdhsa_exception_int_div_zero 0
	.end_amdhsa_kernel
	.section	.text._ZN7rocprim17ROCPRIM_400000_NS6detail17trampoline_kernelINS0_14default_configENS1_35radix_sort_onesweep_config_selectorItNS0_10empty_typeEEEZZNS1_29radix_sort_onesweep_iterationIS3_Lb0EPKtPtPS5_SB_mNS0_19identity_decomposerENS1_16block_id_wrapperIjLb1EEEEE10hipError_tT1_PNSt15iterator_traitsISG_E10value_typeET2_T3_PNSH_ISM_E10value_typeET4_T5_PSR_SS_PNS1_23onesweep_lookback_stateEbbT6_jjT7_P12ihipStream_tbENKUlT_T0_SG_SL_E_clISA_SA_SB_SB_EEDaSZ_S10_SG_SL_EUlSZ_E_NS1_11comp_targetILNS1_3genE0ELNS1_11target_archE4294967295ELNS1_3gpuE0ELNS1_3repE0EEENS1_47radix_sort_onesweep_sort_config_static_selectorELNS0_4arch9wavefront6targetE0EEEvSG_,"axG",@progbits,_ZN7rocprim17ROCPRIM_400000_NS6detail17trampoline_kernelINS0_14default_configENS1_35radix_sort_onesweep_config_selectorItNS0_10empty_typeEEEZZNS1_29radix_sort_onesweep_iterationIS3_Lb0EPKtPtPS5_SB_mNS0_19identity_decomposerENS1_16block_id_wrapperIjLb1EEEEE10hipError_tT1_PNSt15iterator_traitsISG_E10value_typeET2_T3_PNSH_ISM_E10value_typeET4_T5_PSR_SS_PNS1_23onesweep_lookback_stateEbbT6_jjT7_P12ihipStream_tbENKUlT_T0_SG_SL_E_clISA_SA_SB_SB_EEDaSZ_S10_SG_SL_EUlSZ_E_NS1_11comp_targetILNS1_3genE0ELNS1_11target_archE4294967295ELNS1_3gpuE0ELNS1_3repE0EEENS1_47radix_sort_onesweep_sort_config_static_selectorELNS0_4arch9wavefront6targetE0EEEvSG_,comdat
.Lfunc_end2506:
	.size	_ZN7rocprim17ROCPRIM_400000_NS6detail17trampoline_kernelINS0_14default_configENS1_35radix_sort_onesweep_config_selectorItNS0_10empty_typeEEEZZNS1_29radix_sort_onesweep_iterationIS3_Lb0EPKtPtPS5_SB_mNS0_19identity_decomposerENS1_16block_id_wrapperIjLb1EEEEE10hipError_tT1_PNSt15iterator_traitsISG_E10value_typeET2_T3_PNSH_ISM_E10value_typeET4_T5_PSR_SS_PNS1_23onesweep_lookback_stateEbbT6_jjT7_P12ihipStream_tbENKUlT_T0_SG_SL_E_clISA_SA_SB_SB_EEDaSZ_S10_SG_SL_EUlSZ_E_NS1_11comp_targetILNS1_3genE0ELNS1_11target_archE4294967295ELNS1_3gpuE0ELNS1_3repE0EEENS1_47radix_sort_onesweep_sort_config_static_selectorELNS0_4arch9wavefront6targetE0EEEvSG_, .Lfunc_end2506-_ZN7rocprim17ROCPRIM_400000_NS6detail17trampoline_kernelINS0_14default_configENS1_35radix_sort_onesweep_config_selectorItNS0_10empty_typeEEEZZNS1_29radix_sort_onesweep_iterationIS3_Lb0EPKtPtPS5_SB_mNS0_19identity_decomposerENS1_16block_id_wrapperIjLb1EEEEE10hipError_tT1_PNSt15iterator_traitsISG_E10value_typeET2_T3_PNSH_ISM_E10value_typeET4_T5_PSR_SS_PNS1_23onesweep_lookback_stateEbbT6_jjT7_P12ihipStream_tbENKUlT_T0_SG_SL_E_clISA_SA_SB_SB_EEDaSZ_S10_SG_SL_EUlSZ_E_NS1_11comp_targetILNS1_3genE0ELNS1_11target_archE4294967295ELNS1_3gpuE0ELNS1_3repE0EEENS1_47radix_sort_onesweep_sort_config_static_selectorELNS0_4arch9wavefront6targetE0EEEvSG_
                                        ; -- End function
	.set _ZN7rocprim17ROCPRIM_400000_NS6detail17trampoline_kernelINS0_14default_configENS1_35radix_sort_onesweep_config_selectorItNS0_10empty_typeEEEZZNS1_29radix_sort_onesweep_iterationIS3_Lb0EPKtPtPS5_SB_mNS0_19identity_decomposerENS1_16block_id_wrapperIjLb1EEEEE10hipError_tT1_PNSt15iterator_traitsISG_E10value_typeET2_T3_PNSH_ISM_E10value_typeET4_T5_PSR_SS_PNS1_23onesweep_lookback_stateEbbT6_jjT7_P12ihipStream_tbENKUlT_T0_SG_SL_E_clISA_SA_SB_SB_EEDaSZ_S10_SG_SL_EUlSZ_E_NS1_11comp_targetILNS1_3genE0ELNS1_11target_archE4294967295ELNS1_3gpuE0ELNS1_3repE0EEENS1_47radix_sort_onesweep_sort_config_static_selectorELNS0_4arch9wavefront6targetE0EEEvSG_.num_vgpr, 65
	.set _ZN7rocprim17ROCPRIM_400000_NS6detail17trampoline_kernelINS0_14default_configENS1_35radix_sort_onesweep_config_selectorItNS0_10empty_typeEEEZZNS1_29radix_sort_onesweep_iterationIS3_Lb0EPKtPtPS5_SB_mNS0_19identity_decomposerENS1_16block_id_wrapperIjLb1EEEEE10hipError_tT1_PNSt15iterator_traitsISG_E10value_typeET2_T3_PNSH_ISM_E10value_typeET4_T5_PSR_SS_PNS1_23onesweep_lookback_stateEbbT6_jjT7_P12ihipStream_tbENKUlT_T0_SG_SL_E_clISA_SA_SB_SB_EEDaSZ_S10_SG_SL_EUlSZ_E_NS1_11comp_targetILNS1_3genE0ELNS1_11target_archE4294967295ELNS1_3gpuE0ELNS1_3repE0EEENS1_47radix_sort_onesweep_sort_config_static_selectorELNS0_4arch9wavefront6targetE0EEEvSG_.num_agpr, 0
	.set _ZN7rocprim17ROCPRIM_400000_NS6detail17trampoline_kernelINS0_14default_configENS1_35radix_sort_onesweep_config_selectorItNS0_10empty_typeEEEZZNS1_29radix_sort_onesweep_iterationIS3_Lb0EPKtPtPS5_SB_mNS0_19identity_decomposerENS1_16block_id_wrapperIjLb1EEEEE10hipError_tT1_PNSt15iterator_traitsISG_E10value_typeET2_T3_PNSH_ISM_E10value_typeET4_T5_PSR_SS_PNS1_23onesweep_lookback_stateEbbT6_jjT7_P12ihipStream_tbENKUlT_T0_SG_SL_E_clISA_SA_SB_SB_EEDaSZ_S10_SG_SL_EUlSZ_E_NS1_11comp_targetILNS1_3genE0ELNS1_11target_archE4294967295ELNS1_3gpuE0ELNS1_3repE0EEENS1_47radix_sort_onesweep_sort_config_static_selectorELNS0_4arch9wavefront6targetE0EEEvSG_.numbered_sgpr, 29
	.set _ZN7rocprim17ROCPRIM_400000_NS6detail17trampoline_kernelINS0_14default_configENS1_35radix_sort_onesweep_config_selectorItNS0_10empty_typeEEEZZNS1_29radix_sort_onesweep_iterationIS3_Lb0EPKtPtPS5_SB_mNS0_19identity_decomposerENS1_16block_id_wrapperIjLb1EEEEE10hipError_tT1_PNSt15iterator_traitsISG_E10value_typeET2_T3_PNSH_ISM_E10value_typeET4_T5_PSR_SS_PNS1_23onesweep_lookback_stateEbbT6_jjT7_P12ihipStream_tbENKUlT_T0_SG_SL_E_clISA_SA_SB_SB_EEDaSZ_S10_SG_SL_EUlSZ_E_NS1_11comp_targetILNS1_3genE0ELNS1_11target_archE4294967295ELNS1_3gpuE0ELNS1_3repE0EEENS1_47radix_sort_onesweep_sort_config_static_selectorELNS0_4arch9wavefront6targetE0EEEvSG_.num_named_barrier, 0
	.set _ZN7rocprim17ROCPRIM_400000_NS6detail17trampoline_kernelINS0_14default_configENS1_35radix_sort_onesweep_config_selectorItNS0_10empty_typeEEEZZNS1_29radix_sort_onesweep_iterationIS3_Lb0EPKtPtPS5_SB_mNS0_19identity_decomposerENS1_16block_id_wrapperIjLb1EEEEE10hipError_tT1_PNSt15iterator_traitsISG_E10value_typeET2_T3_PNSH_ISM_E10value_typeET4_T5_PSR_SS_PNS1_23onesweep_lookback_stateEbbT6_jjT7_P12ihipStream_tbENKUlT_T0_SG_SL_E_clISA_SA_SB_SB_EEDaSZ_S10_SG_SL_EUlSZ_E_NS1_11comp_targetILNS1_3genE0ELNS1_11target_archE4294967295ELNS1_3gpuE0ELNS1_3repE0EEENS1_47radix_sort_onesweep_sort_config_static_selectorELNS0_4arch9wavefront6targetE0EEEvSG_.private_seg_size, 0
	.set _ZN7rocprim17ROCPRIM_400000_NS6detail17trampoline_kernelINS0_14default_configENS1_35radix_sort_onesweep_config_selectorItNS0_10empty_typeEEEZZNS1_29radix_sort_onesweep_iterationIS3_Lb0EPKtPtPS5_SB_mNS0_19identity_decomposerENS1_16block_id_wrapperIjLb1EEEEE10hipError_tT1_PNSt15iterator_traitsISG_E10value_typeET2_T3_PNSH_ISM_E10value_typeET4_T5_PSR_SS_PNS1_23onesweep_lookback_stateEbbT6_jjT7_P12ihipStream_tbENKUlT_T0_SG_SL_E_clISA_SA_SB_SB_EEDaSZ_S10_SG_SL_EUlSZ_E_NS1_11comp_targetILNS1_3genE0ELNS1_11target_archE4294967295ELNS1_3gpuE0ELNS1_3repE0EEENS1_47radix_sort_onesweep_sort_config_static_selectorELNS0_4arch9wavefront6targetE0EEEvSG_.uses_vcc, 1
	.set _ZN7rocprim17ROCPRIM_400000_NS6detail17trampoline_kernelINS0_14default_configENS1_35radix_sort_onesweep_config_selectorItNS0_10empty_typeEEEZZNS1_29radix_sort_onesweep_iterationIS3_Lb0EPKtPtPS5_SB_mNS0_19identity_decomposerENS1_16block_id_wrapperIjLb1EEEEE10hipError_tT1_PNSt15iterator_traitsISG_E10value_typeET2_T3_PNSH_ISM_E10value_typeET4_T5_PSR_SS_PNS1_23onesweep_lookback_stateEbbT6_jjT7_P12ihipStream_tbENKUlT_T0_SG_SL_E_clISA_SA_SB_SB_EEDaSZ_S10_SG_SL_EUlSZ_E_NS1_11comp_targetILNS1_3genE0ELNS1_11target_archE4294967295ELNS1_3gpuE0ELNS1_3repE0EEENS1_47radix_sort_onesweep_sort_config_static_selectorELNS0_4arch9wavefront6targetE0EEEvSG_.uses_flat_scratch, 0
	.set _ZN7rocprim17ROCPRIM_400000_NS6detail17trampoline_kernelINS0_14default_configENS1_35radix_sort_onesweep_config_selectorItNS0_10empty_typeEEEZZNS1_29radix_sort_onesweep_iterationIS3_Lb0EPKtPtPS5_SB_mNS0_19identity_decomposerENS1_16block_id_wrapperIjLb1EEEEE10hipError_tT1_PNSt15iterator_traitsISG_E10value_typeET2_T3_PNSH_ISM_E10value_typeET4_T5_PSR_SS_PNS1_23onesweep_lookback_stateEbbT6_jjT7_P12ihipStream_tbENKUlT_T0_SG_SL_E_clISA_SA_SB_SB_EEDaSZ_S10_SG_SL_EUlSZ_E_NS1_11comp_targetILNS1_3genE0ELNS1_11target_archE4294967295ELNS1_3gpuE0ELNS1_3repE0EEENS1_47radix_sort_onesweep_sort_config_static_selectorELNS0_4arch9wavefront6targetE0EEEvSG_.has_dyn_sized_stack, 0
	.set _ZN7rocprim17ROCPRIM_400000_NS6detail17trampoline_kernelINS0_14default_configENS1_35radix_sort_onesweep_config_selectorItNS0_10empty_typeEEEZZNS1_29radix_sort_onesweep_iterationIS3_Lb0EPKtPtPS5_SB_mNS0_19identity_decomposerENS1_16block_id_wrapperIjLb1EEEEE10hipError_tT1_PNSt15iterator_traitsISG_E10value_typeET2_T3_PNSH_ISM_E10value_typeET4_T5_PSR_SS_PNS1_23onesweep_lookback_stateEbbT6_jjT7_P12ihipStream_tbENKUlT_T0_SG_SL_E_clISA_SA_SB_SB_EEDaSZ_S10_SG_SL_EUlSZ_E_NS1_11comp_targetILNS1_3genE0ELNS1_11target_archE4294967295ELNS1_3gpuE0ELNS1_3repE0EEENS1_47radix_sort_onesweep_sort_config_static_selectorELNS0_4arch9wavefront6targetE0EEEvSG_.has_recursion, 0
	.set _ZN7rocprim17ROCPRIM_400000_NS6detail17trampoline_kernelINS0_14default_configENS1_35radix_sort_onesweep_config_selectorItNS0_10empty_typeEEEZZNS1_29radix_sort_onesweep_iterationIS3_Lb0EPKtPtPS5_SB_mNS0_19identity_decomposerENS1_16block_id_wrapperIjLb1EEEEE10hipError_tT1_PNSt15iterator_traitsISG_E10value_typeET2_T3_PNSH_ISM_E10value_typeET4_T5_PSR_SS_PNS1_23onesweep_lookback_stateEbbT6_jjT7_P12ihipStream_tbENKUlT_T0_SG_SL_E_clISA_SA_SB_SB_EEDaSZ_S10_SG_SL_EUlSZ_E_NS1_11comp_targetILNS1_3genE0ELNS1_11target_archE4294967295ELNS1_3gpuE0ELNS1_3repE0EEENS1_47radix_sort_onesweep_sort_config_static_selectorELNS0_4arch9wavefront6targetE0EEEvSG_.has_indirect_call, 0
	.section	.AMDGPU.csdata,"",@progbits
; Kernel info:
; codeLenInByte = 16836
; TotalNumSgprs: 31
; NumVgprs: 65
; ScratchSize: 0
; MemoryBound: 0
; FloatMode: 240
; IeeeMode: 1
; LDSByteSize: 18504 bytes/workgroup (compile time only)
; SGPRBlocks: 0
; VGPRBlocks: 4
; NumSGPRsForWavesPerEU: 31
; NumVGPRsForWavesPerEU: 65
; NamedBarCnt: 0
; Occupancy: 12
; WaveLimiterHint : 0
; COMPUTE_PGM_RSRC2:SCRATCH_EN: 0
; COMPUTE_PGM_RSRC2:USER_SGPR: 2
; COMPUTE_PGM_RSRC2:TRAP_HANDLER: 0
; COMPUTE_PGM_RSRC2:TGID_X_EN: 1
; COMPUTE_PGM_RSRC2:TGID_Y_EN: 0
; COMPUTE_PGM_RSRC2:TGID_Z_EN: 0
; COMPUTE_PGM_RSRC2:TIDIG_COMP_CNT: 2
	.section	.text._ZN7rocprim17ROCPRIM_400000_NS6detail17trampoline_kernelINS0_14default_configENS1_35radix_sort_onesweep_config_selectorItNS0_10empty_typeEEEZZNS1_29radix_sort_onesweep_iterationIS3_Lb0EPKtPtPS5_SB_mNS0_19identity_decomposerENS1_16block_id_wrapperIjLb1EEEEE10hipError_tT1_PNSt15iterator_traitsISG_E10value_typeET2_T3_PNSH_ISM_E10value_typeET4_T5_PSR_SS_PNS1_23onesweep_lookback_stateEbbT6_jjT7_P12ihipStream_tbENKUlT_T0_SG_SL_E_clISA_SA_SB_SB_EEDaSZ_S10_SG_SL_EUlSZ_E_NS1_11comp_targetILNS1_3genE6ELNS1_11target_archE950ELNS1_3gpuE13ELNS1_3repE0EEENS1_47radix_sort_onesweep_sort_config_static_selectorELNS0_4arch9wavefront6targetE0EEEvSG_,"axG",@progbits,_ZN7rocprim17ROCPRIM_400000_NS6detail17trampoline_kernelINS0_14default_configENS1_35radix_sort_onesweep_config_selectorItNS0_10empty_typeEEEZZNS1_29radix_sort_onesweep_iterationIS3_Lb0EPKtPtPS5_SB_mNS0_19identity_decomposerENS1_16block_id_wrapperIjLb1EEEEE10hipError_tT1_PNSt15iterator_traitsISG_E10value_typeET2_T3_PNSH_ISM_E10value_typeET4_T5_PSR_SS_PNS1_23onesweep_lookback_stateEbbT6_jjT7_P12ihipStream_tbENKUlT_T0_SG_SL_E_clISA_SA_SB_SB_EEDaSZ_S10_SG_SL_EUlSZ_E_NS1_11comp_targetILNS1_3genE6ELNS1_11target_archE950ELNS1_3gpuE13ELNS1_3repE0EEENS1_47radix_sort_onesweep_sort_config_static_selectorELNS0_4arch9wavefront6targetE0EEEvSG_,comdat
	.protected	_ZN7rocprim17ROCPRIM_400000_NS6detail17trampoline_kernelINS0_14default_configENS1_35radix_sort_onesweep_config_selectorItNS0_10empty_typeEEEZZNS1_29radix_sort_onesweep_iterationIS3_Lb0EPKtPtPS5_SB_mNS0_19identity_decomposerENS1_16block_id_wrapperIjLb1EEEEE10hipError_tT1_PNSt15iterator_traitsISG_E10value_typeET2_T3_PNSH_ISM_E10value_typeET4_T5_PSR_SS_PNS1_23onesweep_lookback_stateEbbT6_jjT7_P12ihipStream_tbENKUlT_T0_SG_SL_E_clISA_SA_SB_SB_EEDaSZ_S10_SG_SL_EUlSZ_E_NS1_11comp_targetILNS1_3genE6ELNS1_11target_archE950ELNS1_3gpuE13ELNS1_3repE0EEENS1_47radix_sort_onesweep_sort_config_static_selectorELNS0_4arch9wavefront6targetE0EEEvSG_ ; -- Begin function _ZN7rocprim17ROCPRIM_400000_NS6detail17trampoline_kernelINS0_14default_configENS1_35radix_sort_onesweep_config_selectorItNS0_10empty_typeEEEZZNS1_29radix_sort_onesweep_iterationIS3_Lb0EPKtPtPS5_SB_mNS0_19identity_decomposerENS1_16block_id_wrapperIjLb1EEEEE10hipError_tT1_PNSt15iterator_traitsISG_E10value_typeET2_T3_PNSH_ISM_E10value_typeET4_T5_PSR_SS_PNS1_23onesweep_lookback_stateEbbT6_jjT7_P12ihipStream_tbENKUlT_T0_SG_SL_E_clISA_SA_SB_SB_EEDaSZ_S10_SG_SL_EUlSZ_E_NS1_11comp_targetILNS1_3genE6ELNS1_11target_archE950ELNS1_3gpuE13ELNS1_3repE0EEENS1_47radix_sort_onesweep_sort_config_static_selectorELNS0_4arch9wavefront6targetE0EEEvSG_
	.globl	_ZN7rocprim17ROCPRIM_400000_NS6detail17trampoline_kernelINS0_14default_configENS1_35radix_sort_onesweep_config_selectorItNS0_10empty_typeEEEZZNS1_29radix_sort_onesweep_iterationIS3_Lb0EPKtPtPS5_SB_mNS0_19identity_decomposerENS1_16block_id_wrapperIjLb1EEEEE10hipError_tT1_PNSt15iterator_traitsISG_E10value_typeET2_T3_PNSH_ISM_E10value_typeET4_T5_PSR_SS_PNS1_23onesweep_lookback_stateEbbT6_jjT7_P12ihipStream_tbENKUlT_T0_SG_SL_E_clISA_SA_SB_SB_EEDaSZ_S10_SG_SL_EUlSZ_E_NS1_11comp_targetILNS1_3genE6ELNS1_11target_archE950ELNS1_3gpuE13ELNS1_3repE0EEENS1_47radix_sort_onesweep_sort_config_static_selectorELNS0_4arch9wavefront6targetE0EEEvSG_
	.p2align	8
	.type	_ZN7rocprim17ROCPRIM_400000_NS6detail17trampoline_kernelINS0_14default_configENS1_35radix_sort_onesweep_config_selectorItNS0_10empty_typeEEEZZNS1_29radix_sort_onesweep_iterationIS3_Lb0EPKtPtPS5_SB_mNS0_19identity_decomposerENS1_16block_id_wrapperIjLb1EEEEE10hipError_tT1_PNSt15iterator_traitsISG_E10value_typeET2_T3_PNSH_ISM_E10value_typeET4_T5_PSR_SS_PNS1_23onesweep_lookback_stateEbbT6_jjT7_P12ihipStream_tbENKUlT_T0_SG_SL_E_clISA_SA_SB_SB_EEDaSZ_S10_SG_SL_EUlSZ_E_NS1_11comp_targetILNS1_3genE6ELNS1_11target_archE950ELNS1_3gpuE13ELNS1_3repE0EEENS1_47radix_sort_onesweep_sort_config_static_selectorELNS0_4arch9wavefront6targetE0EEEvSG_,@function
_ZN7rocprim17ROCPRIM_400000_NS6detail17trampoline_kernelINS0_14default_configENS1_35radix_sort_onesweep_config_selectorItNS0_10empty_typeEEEZZNS1_29radix_sort_onesweep_iterationIS3_Lb0EPKtPtPS5_SB_mNS0_19identity_decomposerENS1_16block_id_wrapperIjLb1EEEEE10hipError_tT1_PNSt15iterator_traitsISG_E10value_typeET2_T3_PNSH_ISM_E10value_typeET4_T5_PSR_SS_PNS1_23onesweep_lookback_stateEbbT6_jjT7_P12ihipStream_tbENKUlT_T0_SG_SL_E_clISA_SA_SB_SB_EEDaSZ_S10_SG_SL_EUlSZ_E_NS1_11comp_targetILNS1_3genE6ELNS1_11target_archE950ELNS1_3gpuE13ELNS1_3repE0EEENS1_47radix_sort_onesweep_sort_config_static_selectorELNS0_4arch9wavefront6targetE0EEEvSG_: ; @_ZN7rocprim17ROCPRIM_400000_NS6detail17trampoline_kernelINS0_14default_configENS1_35radix_sort_onesweep_config_selectorItNS0_10empty_typeEEEZZNS1_29radix_sort_onesweep_iterationIS3_Lb0EPKtPtPS5_SB_mNS0_19identity_decomposerENS1_16block_id_wrapperIjLb1EEEEE10hipError_tT1_PNSt15iterator_traitsISG_E10value_typeET2_T3_PNSH_ISM_E10value_typeET4_T5_PSR_SS_PNS1_23onesweep_lookback_stateEbbT6_jjT7_P12ihipStream_tbENKUlT_T0_SG_SL_E_clISA_SA_SB_SB_EEDaSZ_S10_SG_SL_EUlSZ_E_NS1_11comp_targetILNS1_3genE6ELNS1_11target_archE950ELNS1_3gpuE13ELNS1_3repE0EEENS1_47radix_sort_onesweep_sort_config_static_selectorELNS0_4arch9wavefront6targetE0EEEvSG_
; %bb.0:
	.section	.rodata,"a",@progbits
	.p2align	6, 0x0
	.amdhsa_kernel _ZN7rocprim17ROCPRIM_400000_NS6detail17trampoline_kernelINS0_14default_configENS1_35radix_sort_onesweep_config_selectorItNS0_10empty_typeEEEZZNS1_29radix_sort_onesweep_iterationIS3_Lb0EPKtPtPS5_SB_mNS0_19identity_decomposerENS1_16block_id_wrapperIjLb1EEEEE10hipError_tT1_PNSt15iterator_traitsISG_E10value_typeET2_T3_PNSH_ISM_E10value_typeET4_T5_PSR_SS_PNS1_23onesweep_lookback_stateEbbT6_jjT7_P12ihipStream_tbENKUlT_T0_SG_SL_E_clISA_SA_SB_SB_EEDaSZ_S10_SG_SL_EUlSZ_E_NS1_11comp_targetILNS1_3genE6ELNS1_11target_archE950ELNS1_3gpuE13ELNS1_3repE0EEENS1_47radix_sort_onesweep_sort_config_static_selectorELNS0_4arch9wavefront6targetE0EEEvSG_
		.amdhsa_group_segment_fixed_size 0
		.amdhsa_private_segment_fixed_size 0
		.amdhsa_kernarg_size 88
		.amdhsa_user_sgpr_count 2
		.amdhsa_user_sgpr_dispatch_ptr 0
		.amdhsa_user_sgpr_queue_ptr 0
		.amdhsa_user_sgpr_kernarg_segment_ptr 1
		.amdhsa_user_sgpr_dispatch_id 0
		.amdhsa_user_sgpr_kernarg_preload_length 0
		.amdhsa_user_sgpr_kernarg_preload_offset 0
		.amdhsa_user_sgpr_private_segment_size 0
		.amdhsa_wavefront_size32 1
		.amdhsa_uses_dynamic_stack 0
		.amdhsa_enable_private_segment 0
		.amdhsa_system_sgpr_workgroup_id_x 1
		.amdhsa_system_sgpr_workgroup_id_y 0
		.amdhsa_system_sgpr_workgroup_id_z 0
		.amdhsa_system_sgpr_workgroup_info 0
		.amdhsa_system_vgpr_workitem_id 0
		.amdhsa_next_free_vgpr 1
		.amdhsa_next_free_sgpr 1
		.amdhsa_named_barrier_count 0
		.amdhsa_reserve_vcc 0
		.amdhsa_float_round_mode_32 0
		.amdhsa_float_round_mode_16_64 0
		.amdhsa_float_denorm_mode_32 3
		.amdhsa_float_denorm_mode_16_64 3
		.amdhsa_fp16_overflow 0
		.amdhsa_memory_ordered 1
		.amdhsa_forward_progress 1
		.amdhsa_inst_pref_size 0
		.amdhsa_round_robin_scheduling 0
		.amdhsa_exception_fp_ieee_invalid_op 0
		.amdhsa_exception_fp_denorm_src 0
		.amdhsa_exception_fp_ieee_div_zero 0
		.amdhsa_exception_fp_ieee_overflow 0
		.amdhsa_exception_fp_ieee_underflow 0
		.amdhsa_exception_fp_ieee_inexact 0
		.amdhsa_exception_int_div_zero 0
	.end_amdhsa_kernel
	.section	.text._ZN7rocprim17ROCPRIM_400000_NS6detail17trampoline_kernelINS0_14default_configENS1_35radix_sort_onesweep_config_selectorItNS0_10empty_typeEEEZZNS1_29radix_sort_onesweep_iterationIS3_Lb0EPKtPtPS5_SB_mNS0_19identity_decomposerENS1_16block_id_wrapperIjLb1EEEEE10hipError_tT1_PNSt15iterator_traitsISG_E10value_typeET2_T3_PNSH_ISM_E10value_typeET4_T5_PSR_SS_PNS1_23onesweep_lookback_stateEbbT6_jjT7_P12ihipStream_tbENKUlT_T0_SG_SL_E_clISA_SA_SB_SB_EEDaSZ_S10_SG_SL_EUlSZ_E_NS1_11comp_targetILNS1_3genE6ELNS1_11target_archE950ELNS1_3gpuE13ELNS1_3repE0EEENS1_47radix_sort_onesweep_sort_config_static_selectorELNS0_4arch9wavefront6targetE0EEEvSG_,"axG",@progbits,_ZN7rocprim17ROCPRIM_400000_NS6detail17trampoline_kernelINS0_14default_configENS1_35radix_sort_onesweep_config_selectorItNS0_10empty_typeEEEZZNS1_29radix_sort_onesweep_iterationIS3_Lb0EPKtPtPS5_SB_mNS0_19identity_decomposerENS1_16block_id_wrapperIjLb1EEEEE10hipError_tT1_PNSt15iterator_traitsISG_E10value_typeET2_T3_PNSH_ISM_E10value_typeET4_T5_PSR_SS_PNS1_23onesweep_lookback_stateEbbT6_jjT7_P12ihipStream_tbENKUlT_T0_SG_SL_E_clISA_SA_SB_SB_EEDaSZ_S10_SG_SL_EUlSZ_E_NS1_11comp_targetILNS1_3genE6ELNS1_11target_archE950ELNS1_3gpuE13ELNS1_3repE0EEENS1_47radix_sort_onesweep_sort_config_static_selectorELNS0_4arch9wavefront6targetE0EEEvSG_,comdat
.Lfunc_end2507:
	.size	_ZN7rocprim17ROCPRIM_400000_NS6detail17trampoline_kernelINS0_14default_configENS1_35radix_sort_onesweep_config_selectorItNS0_10empty_typeEEEZZNS1_29radix_sort_onesweep_iterationIS3_Lb0EPKtPtPS5_SB_mNS0_19identity_decomposerENS1_16block_id_wrapperIjLb1EEEEE10hipError_tT1_PNSt15iterator_traitsISG_E10value_typeET2_T3_PNSH_ISM_E10value_typeET4_T5_PSR_SS_PNS1_23onesweep_lookback_stateEbbT6_jjT7_P12ihipStream_tbENKUlT_T0_SG_SL_E_clISA_SA_SB_SB_EEDaSZ_S10_SG_SL_EUlSZ_E_NS1_11comp_targetILNS1_3genE6ELNS1_11target_archE950ELNS1_3gpuE13ELNS1_3repE0EEENS1_47radix_sort_onesweep_sort_config_static_selectorELNS0_4arch9wavefront6targetE0EEEvSG_, .Lfunc_end2507-_ZN7rocprim17ROCPRIM_400000_NS6detail17trampoline_kernelINS0_14default_configENS1_35radix_sort_onesweep_config_selectorItNS0_10empty_typeEEEZZNS1_29radix_sort_onesweep_iterationIS3_Lb0EPKtPtPS5_SB_mNS0_19identity_decomposerENS1_16block_id_wrapperIjLb1EEEEE10hipError_tT1_PNSt15iterator_traitsISG_E10value_typeET2_T3_PNSH_ISM_E10value_typeET4_T5_PSR_SS_PNS1_23onesweep_lookback_stateEbbT6_jjT7_P12ihipStream_tbENKUlT_T0_SG_SL_E_clISA_SA_SB_SB_EEDaSZ_S10_SG_SL_EUlSZ_E_NS1_11comp_targetILNS1_3genE6ELNS1_11target_archE950ELNS1_3gpuE13ELNS1_3repE0EEENS1_47radix_sort_onesweep_sort_config_static_selectorELNS0_4arch9wavefront6targetE0EEEvSG_
                                        ; -- End function
	.set _ZN7rocprim17ROCPRIM_400000_NS6detail17trampoline_kernelINS0_14default_configENS1_35radix_sort_onesweep_config_selectorItNS0_10empty_typeEEEZZNS1_29radix_sort_onesweep_iterationIS3_Lb0EPKtPtPS5_SB_mNS0_19identity_decomposerENS1_16block_id_wrapperIjLb1EEEEE10hipError_tT1_PNSt15iterator_traitsISG_E10value_typeET2_T3_PNSH_ISM_E10value_typeET4_T5_PSR_SS_PNS1_23onesweep_lookback_stateEbbT6_jjT7_P12ihipStream_tbENKUlT_T0_SG_SL_E_clISA_SA_SB_SB_EEDaSZ_S10_SG_SL_EUlSZ_E_NS1_11comp_targetILNS1_3genE6ELNS1_11target_archE950ELNS1_3gpuE13ELNS1_3repE0EEENS1_47radix_sort_onesweep_sort_config_static_selectorELNS0_4arch9wavefront6targetE0EEEvSG_.num_vgpr, 0
	.set _ZN7rocprim17ROCPRIM_400000_NS6detail17trampoline_kernelINS0_14default_configENS1_35radix_sort_onesweep_config_selectorItNS0_10empty_typeEEEZZNS1_29radix_sort_onesweep_iterationIS3_Lb0EPKtPtPS5_SB_mNS0_19identity_decomposerENS1_16block_id_wrapperIjLb1EEEEE10hipError_tT1_PNSt15iterator_traitsISG_E10value_typeET2_T3_PNSH_ISM_E10value_typeET4_T5_PSR_SS_PNS1_23onesweep_lookback_stateEbbT6_jjT7_P12ihipStream_tbENKUlT_T0_SG_SL_E_clISA_SA_SB_SB_EEDaSZ_S10_SG_SL_EUlSZ_E_NS1_11comp_targetILNS1_3genE6ELNS1_11target_archE950ELNS1_3gpuE13ELNS1_3repE0EEENS1_47radix_sort_onesweep_sort_config_static_selectorELNS0_4arch9wavefront6targetE0EEEvSG_.num_agpr, 0
	.set _ZN7rocprim17ROCPRIM_400000_NS6detail17trampoline_kernelINS0_14default_configENS1_35radix_sort_onesweep_config_selectorItNS0_10empty_typeEEEZZNS1_29radix_sort_onesweep_iterationIS3_Lb0EPKtPtPS5_SB_mNS0_19identity_decomposerENS1_16block_id_wrapperIjLb1EEEEE10hipError_tT1_PNSt15iterator_traitsISG_E10value_typeET2_T3_PNSH_ISM_E10value_typeET4_T5_PSR_SS_PNS1_23onesweep_lookback_stateEbbT6_jjT7_P12ihipStream_tbENKUlT_T0_SG_SL_E_clISA_SA_SB_SB_EEDaSZ_S10_SG_SL_EUlSZ_E_NS1_11comp_targetILNS1_3genE6ELNS1_11target_archE950ELNS1_3gpuE13ELNS1_3repE0EEENS1_47radix_sort_onesweep_sort_config_static_selectorELNS0_4arch9wavefront6targetE0EEEvSG_.numbered_sgpr, 0
	.set _ZN7rocprim17ROCPRIM_400000_NS6detail17trampoline_kernelINS0_14default_configENS1_35radix_sort_onesweep_config_selectorItNS0_10empty_typeEEEZZNS1_29radix_sort_onesweep_iterationIS3_Lb0EPKtPtPS5_SB_mNS0_19identity_decomposerENS1_16block_id_wrapperIjLb1EEEEE10hipError_tT1_PNSt15iterator_traitsISG_E10value_typeET2_T3_PNSH_ISM_E10value_typeET4_T5_PSR_SS_PNS1_23onesweep_lookback_stateEbbT6_jjT7_P12ihipStream_tbENKUlT_T0_SG_SL_E_clISA_SA_SB_SB_EEDaSZ_S10_SG_SL_EUlSZ_E_NS1_11comp_targetILNS1_3genE6ELNS1_11target_archE950ELNS1_3gpuE13ELNS1_3repE0EEENS1_47radix_sort_onesweep_sort_config_static_selectorELNS0_4arch9wavefront6targetE0EEEvSG_.num_named_barrier, 0
	.set _ZN7rocprim17ROCPRIM_400000_NS6detail17trampoline_kernelINS0_14default_configENS1_35radix_sort_onesweep_config_selectorItNS0_10empty_typeEEEZZNS1_29radix_sort_onesweep_iterationIS3_Lb0EPKtPtPS5_SB_mNS0_19identity_decomposerENS1_16block_id_wrapperIjLb1EEEEE10hipError_tT1_PNSt15iterator_traitsISG_E10value_typeET2_T3_PNSH_ISM_E10value_typeET4_T5_PSR_SS_PNS1_23onesweep_lookback_stateEbbT6_jjT7_P12ihipStream_tbENKUlT_T0_SG_SL_E_clISA_SA_SB_SB_EEDaSZ_S10_SG_SL_EUlSZ_E_NS1_11comp_targetILNS1_3genE6ELNS1_11target_archE950ELNS1_3gpuE13ELNS1_3repE0EEENS1_47radix_sort_onesweep_sort_config_static_selectorELNS0_4arch9wavefront6targetE0EEEvSG_.private_seg_size, 0
	.set _ZN7rocprim17ROCPRIM_400000_NS6detail17trampoline_kernelINS0_14default_configENS1_35radix_sort_onesweep_config_selectorItNS0_10empty_typeEEEZZNS1_29radix_sort_onesweep_iterationIS3_Lb0EPKtPtPS5_SB_mNS0_19identity_decomposerENS1_16block_id_wrapperIjLb1EEEEE10hipError_tT1_PNSt15iterator_traitsISG_E10value_typeET2_T3_PNSH_ISM_E10value_typeET4_T5_PSR_SS_PNS1_23onesweep_lookback_stateEbbT6_jjT7_P12ihipStream_tbENKUlT_T0_SG_SL_E_clISA_SA_SB_SB_EEDaSZ_S10_SG_SL_EUlSZ_E_NS1_11comp_targetILNS1_3genE6ELNS1_11target_archE950ELNS1_3gpuE13ELNS1_3repE0EEENS1_47radix_sort_onesweep_sort_config_static_selectorELNS0_4arch9wavefront6targetE0EEEvSG_.uses_vcc, 0
	.set _ZN7rocprim17ROCPRIM_400000_NS6detail17trampoline_kernelINS0_14default_configENS1_35radix_sort_onesweep_config_selectorItNS0_10empty_typeEEEZZNS1_29radix_sort_onesweep_iterationIS3_Lb0EPKtPtPS5_SB_mNS0_19identity_decomposerENS1_16block_id_wrapperIjLb1EEEEE10hipError_tT1_PNSt15iterator_traitsISG_E10value_typeET2_T3_PNSH_ISM_E10value_typeET4_T5_PSR_SS_PNS1_23onesweep_lookback_stateEbbT6_jjT7_P12ihipStream_tbENKUlT_T0_SG_SL_E_clISA_SA_SB_SB_EEDaSZ_S10_SG_SL_EUlSZ_E_NS1_11comp_targetILNS1_3genE6ELNS1_11target_archE950ELNS1_3gpuE13ELNS1_3repE0EEENS1_47radix_sort_onesweep_sort_config_static_selectorELNS0_4arch9wavefront6targetE0EEEvSG_.uses_flat_scratch, 0
	.set _ZN7rocprim17ROCPRIM_400000_NS6detail17trampoline_kernelINS0_14default_configENS1_35radix_sort_onesweep_config_selectorItNS0_10empty_typeEEEZZNS1_29radix_sort_onesweep_iterationIS3_Lb0EPKtPtPS5_SB_mNS0_19identity_decomposerENS1_16block_id_wrapperIjLb1EEEEE10hipError_tT1_PNSt15iterator_traitsISG_E10value_typeET2_T3_PNSH_ISM_E10value_typeET4_T5_PSR_SS_PNS1_23onesweep_lookback_stateEbbT6_jjT7_P12ihipStream_tbENKUlT_T0_SG_SL_E_clISA_SA_SB_SB_EEDaSZ_S10_SG_SL_EUlSZ_E_NS1_11comp_targetILNS1_3genE6ELNS1_11target_archE950ELNS1_3gpuE13ELNS1_3repE0EEENS1_47radix_sort_onesweep_sort_config_static_selectorELNS0_4arch9wavefront6targetE0EEEvSG_.has_dyn_sized_stack, 0
	.set _ZN7rocprim17ROCPRIM_400000_NS6detail17trampoline_kernelINS0_14default_configENS1_35radix_sort_onesweep_config_selectorItNS0_10empty_typeEEEZZNS1_29radix_sort_onesweep_iterationIS3_Lb0EPKtPtPS5_SB_mNS0_19identity_decomposerENS1_16block_id_wrapperIjLb1EEEEE10hipError_tT1_PNSt15iterator_traitsISG_E10value_typeET2_T3_PNSH_ISM_E10value_typeET4_T5_PSR_SS_PNS1_23onesweep_lookback_stateEbbT6_jjT7_P12ihipStream_tbENKUlT_T0_SG_SL_E_clISA_SA_SB_SB_EEDaSZ_S10_SG_SL_EUlSZ_E_NS1_11comp_targetILNS1_3genE6ELNS1_11target_archE950ELNS1_3gpuE13ELNS1_3repE0EEENS1_47radix_sort_onesweep_sort_config_static_selectorELNS0_4arch9wavefront6targetE0EEEvSG_.has_recursion, 0
	.set _ZN7rocprim17ROCPRIM_400000_NS6detail17trampoline_kernelINS0_14default_configENS1_35radix_sort_onesweep_config_selectorItNS0_10empty_typeEEEZZNS1_29radix_sort_onesweep_iterationIS3_Lb0EPKtPtPS5_SB_mNS0_19identity_decomposerENS1_16block_id_wrapperIjLb1EEEEE10hipError_tT1_PNSt15iterator_traitsISG_E10value_typeET2_T3_PNSH_ISM_E10value_typeET4_T5_PSR_SS_PNS1_23onesweep_lookback_stateEbbT6_jjT7_P12ihipStream_tbENKUlT_T0_SG_SL_E_clISA_SA_SB_SB_EEDaSZ_S10_SG_SL_EUlSZ_E_NS1_11comp_targetILNS1_3genE6ELNS1_11target_archE950ELNS1_3gpuE13ELNS1_3repE0EEENS1_47radix_sort_onesweep_sort_config_static_selectorELNS0_4arch9wavefront6targetE0EEEvSG_.has_indirect_call, 0
	.section	.AMDGPU.csdata,"",@progbits
; Kernel info:
; codeLenInByte = 0
; TotalNumSgprs: 0
; NumVgprs: 0
; ScratchSize: 0
; MemoryBound: 0
; FloatMode: 240
; IeeeMode: 1
; LDSByteSize: 0 bytes/workgroup (compile time only)
; SGPRBlocks: 0
; VGPRBlocks: 0
; NumSGPRsForWavesPerEU: 1
; NumVGPRsForWavesPerEU: 1
; NamedBarCnt: 0
; Occupancy: 16
; WaveLimiterHint : 0
; COMPUTE_PGM_RSRC2:SCRATCH_EN: 0
; COMPUTE_PGM_RSRC2:USER_SGPR: 2
; COMPUTE_PGM_RSRC2:TRAP_HANDLER: 0
; COMPUTE_PGM_RSRC2:TGID_X_EN: 1
; COMPUTE_PGM_RSRC2:TGID_Y_EN: 0
; COMPUTE_PGM_RSRC2:TGID_Z_EN: 0
; COMPUTE_PGM_RSRC2:TIDIG_COMP_CNT: 0
	.section	.text._ZN7rocprim17ROCPRIM_400000_NS6detail17trampoline_kernelINS0_14default_configENS1_35radix_sort_onesweep_config_selectorItNS0_10empty_typeEEEZZNS1_29radix_sort_onesweep_iterationIS3_Lb0EPKtPtPS5_SB_mNS0_19identity_decomposerENS1_16block_id_wrapperIjLb1EEEEE10hipError_tT1_PNSt15iterator_traitsISG_E10value_typeET2_T3_PNSH_ISM_E10value_typeET4_T5_PSR_SS_PNS1_23onesweep_lookback_stateEbbT6_jjT7_P12ihipStream_tbENKUlT_T0_SG_SL_E_clISA_SA_SB_SB_EEDaSZ_S10_SG_SL_EUlSZ_E_NS1_11comp_targetILNS1_3genE5ELNS1_11target_archE942ELNS1_3gpuE9ELNS1_3repE0EEENS1_47radix_sort_onesweep_sort_config_static_selectorELNS0_4arch9wavefront6targetE0EEEvSG_,"axG",@progbits,_ZN7rocprim17ROCPRIM_400000_NS6detail17trampoline_kernelINS0_14default_configENS1_35radix_sort_onesweep_config_selectorItNS0_10empty_typeEEEZZNS1_29radix_sort_onesweep_iterationIS3_Lb0EPKtPtPS5_SB_mNS0_19identity_decomposerENS1_16block_id_wrapperIjLb1EEEEE10hipError_tT1_PNSt15iterator_traitsISG_E10value_typeET2_T3_PNSH_ISM_E10value_typeET4_T5_PSR_SS_PNS1_23onesweep_lookback_stateEbbT6_jjT7_P12ihipStream_tbENKUlT_T0_SG_SL_E_clISA_SA_SB_SB_EEDaSZ_S10_SG_SL_EUlSZ_E_NS1_11comp_targetILNS1_3genE5ELNS1_11target_archE942ELNS1_3gpuE9ELNS1_3repE0EEENS1_47radix_sort_onesweep_sort_config_static_selectorELNS0_4arch9wavefront6targetE0EEEvSG_,comdat
	.protected	_ZN7rocprim17ROCPRIM_400000_NS6detail17trampoline_kernelINS0_14default_configENS1_35radix_sort_onesweep_config_selectorItNS0_10empty_typeEEEZZNS1_29radix_sort_onesweep_iterationIS3_Lb0EPKtPtPS5_SB_mNS0_19identity_decomposerENS1_16block_id_wrapperIjLb1EEEEE10hipError_tT1_PNSt15iterator_traitsISG_E10value_typeET2_T3_PNSH_ISM_E10value_typeET4_T5_PSR_SS_PNS1_23onesweep_lookback_stateEbbT6_jjT7_P12ihipStream_tbENKUlT_T0_SG_SL_E_clISA_SA_SB_SB_EEDaSZ_S10_SG_SL_EUlSZ_E_NS1_11comp_targetILNS1_3genE5ELNS1_11target_archE942ELNS1_3gpuE9ELNS1_3repE0EEENS1_47radix_sort_onesweep_sort_config_static_selectorELNS0_4arch9wavefront6targetE0EEEvSG_ ; -- Begin function _ZN7rocprim17ROCPRIM_400000_NS6detail17trampoline_kernelINS0_14default_configENS1_35radix_sort_onesweep_config_selectorItNS0_10empty_typeEEEZZNS1_29radix_sort_onesweep_iterationIS3_Lb0EPKtPtPS5_SB_mNS0_19identity_decomposerENS1_16block_id_wrapperIjLb1EEEEE10hipError_tT1_PNSt15iterator_traitsISG_E10value_typeET2_T3_PNSH_ISM_E10value_typeET4_T5_PSR_SS_PNS1_23onesweep_lookback_stateEbbT6_jjT7_P12ihipStream_tbENKUlT_T0_SG_SL_E_clISA_SA_SB_SB_EEDaSZ_S10_SG_SL_EUlSZ_E_NS1_11comp_targetILNS1_3genE5ELNS1_11target_archE942ELNS1_3gpuE9ELNS1_3repE0EEENS1_47radix_sort_onesweep_sort_config_static_selectorELNS0_4arch9wavefront6targetE0EEEvSG_
	.globl	_ZN7rocprim17ROCPRIM_400000_NS6detail17trampoline_kernelINS0_14default_configENS1_35radix_sort_onesweep_config_selectorItNS0_10empty_typeEEEZZNS1_29radix_sort_onesweep_iterationIS3_Lb0EPKtPtPS5_SB_mNS0_19identity_decomposerENS1_16block_id_wrapperIjLb1EEEEE10hipError_tT1_PNSt15iterator_traitsISG_E10value_typeET2_T3_PNSH_ISM_E10value_typeET4_T5_PSR_SS_PNS1_23onesweep_lookback_stateEbbT6_jjT7_P12ihipStream_tbENKUlT_T0_SG_SL_E_clISA_SA_SB_SB_EEDaSZ_S10_SG_SL_EUlSZ_E_NS1_11comp_targetILNS1_3genE5ELNS1_11target_archE942ELNS1_3gpuE9ELNS1_3repE0EEENS1_47radix_sort_onesweep_sort_config_static_selectorELNS0_4arch9wavefront6targetE0EEEvSG_
	.p2align	8
	.type	_ZN7rocprim17ROCPRIM_400000_NS6detail17trampoline_kernelINS0_14default_configENS1_35radix_sort_onesweep_config_selectorItNS0_10empty_typeEEEZZNS1_29radix_sort_onesweep_iterationIS3_Lb0EPKtPtPS5_SB_mNS0_19identity_decomposerENS1_16block_id_wrapperIjLb1EEEEE10hipError_tT1_PNSt15iterator_traitsISG_E10value_typeET2_T3_PNSH_ISM_E10value_typeET4_T5_PSR_SS_PNS1_23onesweep_lookback_stateEbbT6_jjT7_P12ihipStream_tbENKUlT_T0_SG_SL_E_clISA_SA_SB_SB_EEDaSZ_S10_SG_SL_EUlSZ_E_NS1_11comp_targetILNS1_3genE5ELNS1_11target_archE942ELNS1_3gpuE9ELNS1_3repE0EEENS1_47radix_sort_onesweep_sort_config_static_selectorELNS0_4arch9wavefront6targetE0EEEvSG_,@function
_ZN7rocprim17ROCPRIM_400000_NS6detail17trampoline_kernelINS0_14default_configENS1_35radix_sort_onesweep_config_selectorItNS0_10empty_typeEEEZZNS1_29radix_sort_onesweep_iterationIS3_Lb0EPKtPtPS5_SB_mNS0_19identity_decomposerENS1_16block_id_wrapperIjLb1EEEEE10hipError_tT1_PNSt15iterator_traitsISG_E10value_typeET2_T3_PNSH_ISM_E10value_typeET4_T5_PSR_SS_PNS1_23onesweep_lookback_stateEbbT6_jjT7_P12ihipStream_tbENKUlT_T0_SG_SL_E_clISA_SA_SB_SB_EEDaSZ_S10_SG_SL_EUlSZ_E_NS1_11comp_targetILNS1_3genE5ELNS1_11target_archE942ELNS1_3gpuE9ELNS1_3repE0EEENS1_47radix_sort_onesweep_sort_config_static_selectorELNS0_4arch9wavefront6targetE0EEEvSG_: ; @_ZN7rocprim17ROCPRIM_400000_NS6detail17trampoline_kernelINS0_14default_configENS1_35radix_sort_onesweep_config_selectorItNS0_10empty_typeEEEZZNS1_29radix_sort_onesweep_iterationIS3_Lb0EPKtPtPS5_SB_mNS0_19identity_decomposerENS1_16block_id_wrapperIjLb1EEEEE10hipError_tT1_PNSt15iterator_traitsISG_E10value_typeET2_T3_PNSH_ISM_E10value_typeET4_T5_PSR_SS_PNS1_23onesweep_lookback_stateEbbT6_jjT7_P12ihipStream_tbENKUlT_T0_SG_SL_E_clISA_SA_SB_SB_EEDaSZ_S10_SG_SL_EUlSZ_E_NS1_11comp_targetILNS1_3genE5ELNS1_11target_archE942ELNS1_3gpuE9ELNS1_3repE0EEENS1_47radix_sort_onesweep_sort_config_static_selectorELNS0_4arch9wavefront6targetE0EEEvSG_
; %bb.0:
	.section	.rodata,"a",@progbits
	.p2align	6, 0x0
	.amdhsa_kernel _ZN7rocprim17ROCPRIM_400000_NS6detail17trampoline_kernelINS0_14default_configENS1_35radix_sort_onesweep_config_selectorItNS0_10empty_typeEEEZZNS1_29radix_sort_onesweep_iterationIS3_Lb0EPKtPtPS5_SB_mNS0_19identity_decomposerENS1_16block_id_wrapperIjLb1EEEEE10hipError_tT1_PNSt15iterator_traitsISG_E10value_typeET2_T3_PNSH_ISM_E10value_typeET4_T5_PSR_SS_PNS1_23onesweep_lookback_stateEbbT6_jjT7_P12ihipStream_tbENKUlT_T0_SG_SL_E_clISA_SA_SB_SB_EEDaSZ_S10_SG_SL_EUlSZ_E_NS1_11comp_targetILNS1_3genE5ELNS1_11target_archE942ELNS1_3gpuE9ELNS1_3repE0EEENS1_47radix_sort_onesweep_sort_config_static_selectorELNS0_4arch9wavefront6targetE0EEEvSG_
		.amdhsa_group_segment_fixed_size 0
		.amdhsa_private_segment_fixed_size 0
		.amdhsa_kernarg_size 88
		.amdhsa_user_sgpr_count 2
		.amdhsa_user_sgpr_dispatch_ptr 0
		.amdhsa_user_sgpr_queue_ptr 0
		.amdhsa_user_sgpr_kernarg_segment_ptr 1
		.amdhsa_user_sgpr_dispatch_id 0
		.amdhsa_user_sgpr_kernarg_preload_length 0
		.amdhsa_user_sgpr_kernarg_preload_offset 0
		.amdhsa_user_sgpr_private_segment_size 0
		.amdhsa_wavefront_size32 1
		.amdhsa_uses_dynamic_stack 0
		.amdhsa_enable_private_segment 0
		.amdhsa_system_sgpr_workgroup_id_x 1
		.amdhsa_system_sgpr_workgroup_id_y 0
		.amdhsa_system_sgpr_workgroup_id_z 0
		.amdhsa_system_sgpr_workgroup_info 0
		.amdhsa_system_vgpr_workitem_id 0
		.amdhsa_next_free_vgpr 1
		.amdhsa_next_free_sgpr 1
		.amdhsa_named_barrier_count 0
		.amdhsa_reserve_vcc 0
		.amdhsa_float_round_mode_32 0
		.amdhsa_float_round_mode_16_64 0
		.amdhsa_float_denorm_mode_32 3
		.amdhsa_float_denorm_mode_16_64 3
		.amdhsa_fp16_overflow 0
		.amdhsa_memory_ordered 1
		.amdhsa_forward_progress 1
		.amdhsa_inst_pref_size 0
		.amdhsa_round_robin_scheduling 0
		.amdhsa_exception_fp_ieee_invalid_op 0
		.amdhsa_exception_fp_denorm_src 0
		.amdhsa_exception_fp_ieee_div_zero 0
		.amdhsa_exception_fp_ieee_overflow 0
		.amdhsa_exception_fp_ieee_underflow 0
		.amdhsa_exception_fp_ieee_inexact 0
		.amdhsa_exception_int_div_zero 0
	.end_amdhsa_kernel
	.section	.text._ZN7rocprim17ROCPRIM_400000_NS6detail17trampoline_kernelINS0_14default_configENS1_35radix_sort_onesweep_config_selectorItNS0_10empty_typeEEEZZNS1_29radix_sort_onesweep_iterationIS3_Lb0EPKtPtPS5_SB_mNS0_19identity_decomposerENS1_16block_id_wrapperIjLb1EEEEE10hipError_tT1_PNSt15iterator_traitsISG_E10value_typeET2_T3_PNSH_ISM_E10value_typeET4_T5_PSR_SS_PNS1_23onesweep_lookback_stateEbbT6_jjT7_P12ihipStream_tbENKUlT_T0_SG_SL_E_clISA_SA_SB_SB_EEDaSZ_S10_SG_SL_EUlSZ_E_NS1_11comp_targetILNS1_3genE5ELNS1_11target_archE942ELNS1_3gpuE9ELNS1_3repE0EEENS1_47radix_sort_onesweep_sort_config_static_selectorELNS0_4arch9wavefront6targetE0EEEvSG_,"axG",@progbits,_ZN7rocprim17ROCPRIM_400000_NS6detail17trampoline_kernelINS0_14default_configENS1_35radix_sort_onesweep_config_selectorItNS0_10empty_typeEEEZZNS1_29radix_sort_onesweep_iterationIS3_Lb0EPKtPtPS5_SB_mNS0_19identity_decomposerENS1_16block_id_wrapperIjLb1EEEEE10hipError_tT1_PNSt15iterator_traitsISG_E10value_typeET2_T3_PNSH_ISM_E10value_typeET4_T5_PSR_SS_PNS1_23onesweep_lookback_stateEbbT6_jjT7_P12ihipStream_tbENKUlT_T0_SG_SL_E_clISA_SA_SB_SB_EEDaSZ_S10_SG_SL_EUlSZ_E_NS1_11comp_targetILNS1_3genE5ELNS1_11target_archE942ELNS1_3gpuE9ELNS1_3repE0EEENS1_47radix_sort_onesweep_sort_config_static_selectorELNS0_4arch9wavefront6targetE0EEEvSG_,comdat
.Lfunc_end2508:
	.size	_ZN7rocprim17ROCPRIM_400000_NS6detail17trampoline_kernelINS0_14default_configENS1_35radix_sort_onesweep_config_selectorItNS0_10empty_typeEEEZZNS1_29radix_sort_onesweep_iterationIS3_Lb0EPKtPtPS5_SB_mNS0_19identity_decomposerENS1_16block_id_wrapperIjLb1EEEEE10hipError_tT1_PNSt15iterator_traitsISG_E10value_typeET2_T3_PNSH_ISM_E10value_typeET4_T5_PSR_SS_PNS1_23onesweep_lookback_stateEbbT6_jjT7_P12ihipStream_tbENKUlT_T0_SG_SL_E_clISA_SA_SB_SB_EEDaSZ_S10_SG_SL_EUlSZ_E_NS1_11comp_targetILNS1_3genE5ELNS1_11target_archE942ELNS1_3gpuE9ELNS1_3repE0EEENS1_47radix_sort_onesweep_sort_config_static_selectorELNS0_4arch9wavefront6targetE0EEEvSG_, .Lfunc_end2508-_ZN7rocprim17ROCPRIM_400000_NS6detail17trampoline_kernelINS0_14default_configENS1_35radix_sort_onesweep_config_selectorItNS0_10empty_typeEEEZZNS1_29radix_sort_onesweep_iterationIS3_Lb0EPKtPtPS5_SB_mNS0_19identity_decomposerENS1_16block_id_wrapperIjLb1EEEEE10hipError_tT1_PNSt15iterator_traitsISG_E10value_typeET2_T3_PNSH_ISM_E10value_typeET4_T5_PSR_SS_PNS1_23onesweep_lookback_stateEbbT6_jjT7_P12ihipStream_tbENKUlT_T0_SG_SL_E_clISA_SA_SB_SB_EEDaSZ_S10_SG_SL_EUlSZ_E_NS1_11comp_targetILNS1_3genE5ELNS1_11target_archE942ELNS1_3gpuE9ELNS1_3repE0EEENS1_47radix_sort_onesweep_sort_config_static_selectorELNS0_4arch9wavefront6targetE0EEEvSG_
                                        ; -- End function
	.set _ZN7rocprim17ROCPRIM_400000_NS6detail17trampoline_kernelINS0_14default_configENS1_35radix_sort_onesweep_config_selectorItNS0_10empty_typeEEEZZNS1_29radix_sort_onesweep_iterationIS3_Lb0EPKtPtPS5_SB_mNS0_19identity_decomposerENS1_16block_id_wrapperIjLb1EEEEE10hipError_tT1_PNSt15iterator_traitsISG_E10value_typeET2_T3_PNSH_ISM_E10value_typeET4_T5_PSR_SS_PNS1_23onesweep_lookback_stateEbbT6_jjT7_P12ihipStream_tbENKUlT_T0_SG_SL_E_clISA_SA_SB_SB_EEDaSZ_S10_SG_SL_EUlSZ_E_NS1_11comp_targetILNS1_3genE5ELNS1_11target_archE942ELNS1_3gpuE9ELNS1_3repE0EEENS1_47radix_sort_onesweep_sort_config_static_selectorELNS0_4arch9wavefront6targetE0EEEvSG_.num_vgpr, 0
	.set _ZN7rocprim17ROCPRIM_400000_NS6detail17trampoline_kernelINS0_14default_configENS1_35radix_sort_onesweep_config_selectorItNS0_10empty_typeEEEZZNS1_29radix_sort_onesweep_iterationIS3_Lb0EPKtPtPS5_SB_mNS0_19identity_decomposerENS1_16block_id_wrapperIjLb1EEEEE10hipError_tT1_PNSt15iterator_traitsISG_E10value_typeET2_T3_PNSH_ISM_E10value_typeET4_T5_PSR_SS_PNS1_23onesweep_lookback_stateEbbT6_jjT7_P12ihipStream_tbENKUlT_T0_SG_SL_E_clISA_SA_SB_SB_EEDaSZ_S10_SG_SL_EUlSZ_E_NS1_11comp_targetILNS1_3genE5ELNS1_11target_archE942ELNS1_3gpuE9ELNS1_3repE0EEENS1_47radix_sort_onesweep_sort_config_static_selectorELNS0_4arch9wavefront6targetE0EEEvSG_.num_agpr, 0
	.set _ZN7rocprim17ROCPRIM_400000_NS6detail17trampoline_kernelINS0_14default_configENS1_35radix_sort_onesweep_config_selectorItNS0_10empty_typeEEEZZNS1_29radix_sort_onesweep_iterationIS3_Lb0EPKtPtPS5_SB_mNS0_19identity_decomposerENS1_16block_id_wrapperIjLb1EEEEE10hipError_tT1_PNSt15iterator_traitsISG_E10value_typeET2_T3_PNSH_ISM_E10value_typeET4_T5_PSR_SS_PNS1_23onesweep_lookback_stateEbbT6_jjT7_P12ihipStream_tbENKUlT_T0_SG_SL_E_clISA_SA_SB_SB_EEDaSZ_S10_SG_SL_EUlSZ_E_NS1_11comp_targetILNS1_3genE5ELNS1_11target_archE942ELNS1_3gpuE9ELNS1_3repE0EEENS1_47radix_sort_onesweep_sort_config_static_selectorELNS0_4arch9wavefront6targetE0EEEvSG_.numbered_sgpr, 0
	.set _ZN7rocprim17ROCPRIM_400000_NS6detail17trampoline_kernelINS0_14default_configENS1_35radix_sort_onesweep_config_selectorItNS0_10empty_typeEEEZZNS1_29radix_sort_onesweep_iterationIS3_Lb0EPKtPtPS5_SB_mNS0_19identity_decomposerENS1_16block_id_wrapperIjLb1EEEEE10hipError_tT1_PNSt15iterator_traitsISG_E10value_typeET2_T3_PNSH_ISM_E10value_typeET4_T5_PSR_SS_PNS1_23onesweep_lookback_stateEbbT6_jjT7_P12ihipStream_tbENKUlT_T0_SG_SL_E_clISA_SA_SB_SB_EEDaSZ_S10_SG_SL_EUlSZ_E_NS1_11comp_targetILNS1_3genE5ELNS1_11target_archE942ELNS1_3gpuE9ELNS1_3repE0EEENS1_47radix_sort_onesweep_sort_config_static_selectorELNS0_4arch9wavefront6targetE0EEEvSG_.num_named_barrier, 0
	.set _ZN7rocprim17ROCPRIM_400000_NS6detail17trampoline_kernelINS0_14default_configENS1_35radix_sort_onesweep_config_selectorItNS0_10empty_typeEEEZZNS1_29radix_sort_onesweep_iterationIS3_Lb0EPKtPtPS5_SB_mNS0_19identity_decomposerENS1_16block_id_wrapperIjLb1EEEEE10hipError_tT1_PNSt15iterator_traitsISG_E10value_typeET2_T3_PNSH_ISM_E10value_typeET4_T5_PSR_SS_PNS1_23onesweep_lookback_stateEbbT6_jjT7_P12ihipStream_tbENKUlT_T0_SG_SL_E_clISA_SA_SB_SB_EEDaSZ_S10_SG_SL_EUlSZ_E_NS1_11comp_targetILNS1_3genE5ELNS1_11target_archE942ELNS1_3gpuE9ELNS1_3repE0EEENS1_47radix_sort_onesweep_sort_config_static_selectorELNS0_4arch9wavefront6targetE0EEEvSG_.private_seg_size, 0
	.set _ZN7rocprim17ROCPRIM_400000_NS6detail17trampoline_kernelINS0_14default_configENS1_35radix_sort_onesweep_config_selectorItNS0_10empty_typeEEEZZNS1_29radix_sort_onesweep_iterationIS3_Lb0EPKtPtPS5_SB_mNS0_19identity_decomposerENS1_16block_id_wrapperIjLb1EEEEE10hipError_tT1_PNSt15iterator_traitsISG_E10value_typeET2_T3_PNSH_ISM_E10value_typeET4_T5_PSR_SS_PNS1_23onesweep_lookback_stateEbbT6_jjT7_P12ihipStream_tbENKUlT_T0_SG_SL_E_clISA_SA_SB_SB_EEDaSZ_S10_SG_SL_EUlSZ_E_NS1_11comp_targetILNS1_3genE5ELNS1_11target_archE942ELNS1_3gpuE9ELNS1_3repE0EEENS1_47radix_sort_onesweep_sort_config_static_selectorELNS0_4arch9wavefront6targetE0EEEvSG_.uses_vcc, 0
	.set _ZN7rocprim17ROCPRIM_400000_NS6detail17trampoline_kernelINS0_14default_configENS1_35radix_sort_onesweep_config_selectorItNS0_10empty_typeEEEZZNS1_29radix_sort_onesweep_iterationIS3_Lb0EPKtPtPS5_SB_mNS0_19identity_decomposerENS1_16block_id_wrapperIjLb1EEEEE10hipError_tT1_PNSt15iterator_traitsISG_E10value_typeET2_T3_PNSH_ISM_E10value_typeET4_T5_PSR_SS_PNS1_23onesweep_lookback_stateEbbT6_jjT7_P12ihipStream_tbENKUlT_T0_SG_SL_E_clISA_SA_SB_SB_EEDaSZ_S10_SG_SL_EUlSZ_E_NS1_11comp_targetILNS1_3genE5ELNS1_11target_archE942ELNS1_3gpuE9ELNS1_3repE0EEENS1_47radix_sort_onesweep_sort_config_static_selectorELNS0_4arch9wavefront6targetE0EEEvSG_.uses_flat_scratch, 0
	.set _ZN7rocprim17ROCPRIM_400000_NS6detail17trampoline_kernelINS0_14default_configENS1_35radix_sort_onesweep_config_selectorItNS0_10empty_typeEEEZZNS1_29radix_sort_onesweep_iterationIS3_Lb0EPKtPtPS5_SB_mNS0_19identity_decomposerENS1_16block_id_wrapperIjLb1EEEEE10hipError_tT1_PNSt15iterator_traitsISG_E10value_typeET2_T3_PNSH_ISM_E10value_typeET4_T5_PSR_SS_PNS1_23onesweep_lookback_stateEbbT6_jjT7_P12ihipStream_tbENKUlT_T0_SG_SL_E_clISA_SA_SB_SB_EEDaSZ_S10_SG_SL_EUlSZ_E_NS1_11comp_targetILNS1_3genE5ELNS1_11target_archE942ELNS1_3gpuE9ELNS1_3repE0EEENS1_47radix_sort_onesweep_sort_config_static_selectorELNS0_4arch9wavefront6targetE0EEEvSG_.has_dyn_sized_stack, 0
	.set _ZN7rocprim17ROCPRIM_400000_NS6detail17trampoline_kernelINS0_14default_configENS1_35radix_sort_onesweep_config_selectorItNS0_10empty_typeEEEZZNS1_29radix_sort_onesweep_iterationIS3_Lb0EPKtPtPS5_SB_mNS0_19identity_decomposerENS1_16block_id_wrapperIjLb1EEEEE10hipError_tT1_PNSt15iterator_traitsISG_E10value_typeET2_T3_PNSH_ISM_E10value_typeET4_T5_PSR_SS_PNS1_23onesweep_lookback_stateEbbT6_jjT7_P12ihipStream_tbENKUlT_T0_SG_SL_E_clISA_SA_SB_SB_EEDaSZ_S10_SG_SL_EUlSZ_E_NS1_11comp_targetILNS1_3genE5ELNS1_11target_archE942ELNS1_3gpuE9ELNS1_3repE0EEENS1_47radix_sort_onesweep_sort_config_static_selectorELNS0_4arch9wavefront6targetE0EEEvSG_.has_recursion, 0
	.set _ZN7rocprim17ROCPRIM_400000_NS6detail17trampoline_kernelINS0_14default_configENS1_35radix_sort_onesweep_config_selectorItNS0_10empty_typeEEEZZNS1_29radix_sort_onesweep_iterationIS3_Lb0EPKtPtPS5_SB_mNS0_19identity_decomposerENS1_16block_id_wrapperIjLb1EEEEE10hipError_tT1_PNSt15iterator_traitsISG_E10value_typeET2_T3_PNSH_ISM_E10value_typeET4_T5_PSR_SS_PNS1_23onesweep_lookback_stateEbbT6_jjT7_P12ihipStream_tbENKUlT_T0_SG_SL_E_clISA_SA_SB_SB_EEDaSZ_S10_SG_SL_EUlSZ_E_NS1_11comp_targetILNS1_3genE5ELNS1_11target_archE942ELNS1_3gpuE9ELNS1_3repE0EEENS1_47radix_sort_onesweep_sort_config_static_selectorELNS0_4arch9wavefront6targetE0EEEvSG_.has_indirect_call, 0
	.section	.AMDGPU.csdata,"",@progbits
; Kernel info:
; codeLenInByte = 0
; TotalNumSgprs: 0
; NumVgprs: 0
; ScratchSize: 0
; MemoryBound: 0
; FloatMode: 240
; IeeeMode: 1
; LDSByteSize: 0 bytes/workgroup (compile time only)
; SGPRBlocks: 0
; VGPRBlocks: 0
; NumSGPRsForWavesPerEU: 1
; NumVGPRsForWavesPerEU: 1
; NamedBarCnt: 0
; Occupancy: 16
; WaveLimiterHint : 0
; COMPUTE_PGM_RSRC2:SCRATCH_EN: 0
; COMPUTE_PGM_RSRC2:USER_SGPR: 2
; COMPUTE_PGM_RSRC2:TRAP_HANDLER: 0
; COMPUTE_PGM_RSRC2:TGID_X_EN: 1
; COMPUTE_PGM_RSRC2:TGID_Y_EN: 0
; COMPUTE_PGM_RSRC2:TGID_Z_EN: 0
; COMPUTE_PGM_RSRC2:TIDIG_COMP_CNT: 0
	.section	.text._ZN7rocprim17ROCPRIM_400000_NS6detail17trampoline_kernelINS0_14default_configENS1_35radix_sort_onesweep_config_selectorItNS0_10empty_typeEEEZZNS1_29radix_sort_onesweep_iterationIS3_Lb0EPKtPtPS5_SB_mNS0_19identity_decomposerENS1_16block_id_wrapperIjLb1EEEEE10hipError_tT1_PNSt15iterator_traitsISG_E10value_typeET2_T3_PNSH_ISM_E10value_typeET4_T5_PSR_SS_PNS1_23onesweep_lookback_stateEbbT6_jjT7_P12ihipStream_tbENKUlT_T0_SG_SL_E_clISA_SA_SB_SB_EEDaSZ_S10_SG_SL_EUlSZ_E_NS1_11comp_targetILNS1_3genE2ELNS1_11target_archE906ELNS1_3gpuE6ELNS1_3repE0EEENS1_47radix_sort_onesweep_sort_config_static_selectorELNS0_4arch9wavefront6targetE0EEEvSG_,"axG",@progbits,_ZN7rocprim17ROCPRIM_400000_NS6detail17trampoline_kernelINS0_14default_configENS1_35radix_sort_onesweep_config_selectorItNS0_10empty_typeEEEZZNS1_29radix_sort_onesweep_iterationIS3_Lb0EPKtPtPS5_SB_mNS0_19identity_decomposerENS1_16block_id_wrapperIjLb1EEEEE10hipError_tT1_PNSt15iterator_traitsISG_E10value_typeET2_T3_PNSH_ISM_E10value_typeET4_T5_PSR_SS_PNS1_23onesweep_lookback_stateEbbT6_jjT7_P12ihipStream_tbENKUlT_T0_SG_SL_E_clISA_SA_SB_SB_EEDaSZ_S10_SG_SL_EUlSZ_E_NS1_11comp_targetILNS1_3genE2ELNS1_11target_archE906ELNS1_3gpuE6ELNS1_3repE0EEENS1_47radix_sort_onesweep_sort_config_static_selectorELNS0_4arch9wavefront6targetE0EEEvSG_,comdat
	.protected	_ZN7rocprim17ROCPRIM_400000_NS6detail17trampoline_kernelINS0_14default_configENS1_35radix_sort_onesweep_config_selectorItNS0_10empty_typeEEEZZNS1_29radix_sort_onesweep_iterationIS3_Lb0EPKtPtPS5_SB_mNS0_19identity_decomposerENS1_16block_id_wrapperIjLb1EEEEE10hipError_tT1_PNSt15iterator_traitsISG_E10value_typeET2_T3_PNSH_ISM_E10value_typeET4_T5_PSR_SS_PNS1_23onesweep_lookback_stateEbbT6_jjT7_P12ihipStream_tbENKUlT_T0_SG_SL_E_clISA_SA_SB_SB_EEDaSZ_S10_SG_SL_EUlSZ_E_NS1_11comp_targetILNS1_3genE2ELNS1_11target_archE906ELNS1_3gpuE6ELNS1_3repE0EEENS1_47radix_sort_onesweep_sort_config_static_selectorELNS0_4arch9wavefront6targetE0EEEvSG_ ; -- Begin function _ZN7rocprim17ROCPRIM_400000_NS6detail17trampoline_kernelINS0_14default_configENS1_35radix_sort_onesweep_config_selectorItNS0_10empty_typeEEEZZNS1_29radix_sort_onesweep_iterationIS3_Lb0EPKtPtPS5_SB_mNS0_19identity_decomposerENS1_16block_id_wrapperIjLb1EEEEE10hipError_tT1_PNSt15iterator_traitsISG_E10value_typeET2_T3_PNSH_ISM_E10value_typeET4_T5_PSR_SS_PNS1_23onesweep_lookback_stateEbbT6_jjT7_P12ihipStream_tbENKUlT_T0_SG_SL_E_clISA_SA_SB_SB_EEDaSZ_S10_SG_SL_EUlSZ_E_NS1_11comp_targetILNS1_3genE2ELNS1_11target_archE906ELNS1_3gpuE6ELNS1_3repE0EEENS1_47radix_sort_onesweep_sort_config_static_selectorELNS0_4arch9wavefront6targetE0EEEvSG_
	.globl	_ZN7rocprim17ROCPRIM_400000_NS6detail17trampoline_kernelINS0_14default_configENS1_35radix_sort_onesweep_config_selectorItNS0_10empty_typeEEEZZNS1_29radix_sort_onesweep_iterationIS3_Lb0EPKtPtPS5_SB_mNS0_19identity_decomposerENS1_16block_id_wrapperIjLb1EEEEE10hipError_tT1_PNSt15iterator_traitsISG_E10value_typeET2_T3_PNSH_ISM_E10value_typeET4_T5_PSR_SS_PNS1_23onesweep_lookback_stateEbbT6_jjT7_P12ihipStream_tbENKUlT_T0_SG_SL_E_clISA_SA_SB_SB_EEDaSZ_S10_SG_SL_EUlSZ_E_NS1_11comp_targetILNS1_3genE2ELNS1_11target_archE906ELNS1_3gpuE6ELNS1_3repE0EEENS1_47radix_sort_onesweep_sort_config_static_selectorELNS0_4arch9wavefront6targetE0EEEvSG_
	.p2align	8
	.type	_ZN7rocprim17ROCPRIM_400000_NS6detail17trampoline_kernelINS0_14default_configENS1_35radix_sort_onesweep_config_selectorItNS0_10empty_typeEEEZZNS1_29radix_sort_onesweep_iterationIS3_Lb0EPKtPtPS5_SB_mNS0_19identity_decomposerENS1_16block_id_wrapperIjLb1EEEEE10hipError_tT1_PNSt15iterator_traitsISG_E10value_typeET2_T3_PNSH_ISM_E10value_typeET4_T5_PSR_SS_PNS1_23onesweep_lookback_stateEbbT6_jjT7_P12ihipStream_tbENKUlT_T0_SG_SL_E_clISA_SA_SB_SB_EEDaSZ_S10_SG_SL_EUlSZ_E_NS1_11comp_targetILNS1_3genE2ELNS1_11target_archE906ELNS1_3gpuE6ELNS1_3repE0EEENS1_47radix_sort_onesweep_sort_config_static_selectorELNS0_4arch9wavefront6targetE0EEEvSG_,@function
_ZN7rocprim17ROCPRIM_400000_NS6detail17trampoline_kernelINS0_14default_configENS1_35radix_sort_onesweep_config_selectorItNS0_10empty_typeEEEZZNS1_29radix_sort_onesweep_iterationIS3_Lb0EPKtPtPS5_SB_mNS0_19identity_decomposerENS1_16block_id_wrapperIjLb1EEEEE10hipError_tT1_PNSt15iterator_traitsISG_E10value_typeET2_T3_PNSH_ISM_E10value_typeET4_T5_PSR_SS_PNS1_23onesweep_lookback_stateEbbT6_jjT7_P12ihipStream_tbENKUlT_T0_SG_SL_E_clISA_SA_SB_SB_EEDaSZ_S10_SG_SL_EUlSZ_E_NS1_11comp_targetILNS1_3genE2ELNS1_11target_archE906ELNS1_3gpuE6ELNS1_3repE0EEENS1_47radix_sort_onesweep_sort_config_static_selectorELNS0_4arch9wavefront6targetE0EEEvSG_: ; @_ZN7rocprim17ROCPRIM_400000_NS6detail17trampoline_kernelINS0_14default_configENS1_35radix_sort_onesweep_config_selectorItNS0_10empty_typeEEEZZNS1_29radix_sort_onesweep_iterationIS3_Lb0EPKtPtPS5_SB_mNS0_19identity_decomposerENS1_16block_id_wrapperIjLb1EEEEE10hipError_tT1_PNSt15iterator_traitsISG_E10value_typeET2_T3_PNSH_ISM_E10value_typeET4_T5_PSR_SS_PNS1_23onesweep_lookback_stateEbbT6_jjT7_P12ihipStream_tbENKUlT_T0_SG_SL_E_clISA_SA_SB_SB_EEDaSZ_S10_SG_SL_EUlSZ_E_NS1_11comp_targetILNS1_3genE2ELNS1_11target_archE906ELNS1_3gpuE6ELNS1_3repE0EEENS1_47radix_sort_onesweep_sort_config_static_selectorELNS0_4arch9wavefront6targetE0EEEvSG_
; %bb.0:
	.section	.rodata,"a",@progbits
	.p2align	6, 0x0
	.amdhsa_kernel _ZN7rocprim17ROCPRIM_400000_NS6detail17trampoline_kernelINS0_14default_configENS1_35radix_sort_onesweep_config_selectorItNS0_10empty_typeEEEZZNS1_29radix_sort_onesweep_iterationIS3_Lb0EPKtPtPS5_SB_mNS0_19identity_decomposerENS1_16block_id_wrapperIjLb1EEEEE10hipError_tT1_PNSt15iterator_traitsISG_E10value_typeET2_T3_PNSH_ISM_E10value_typeET4_T5_PSR_SS_PNS1_23onesweep_lookback_stateEbbT6_jjT7_P12ihipStream_tbENKUlT_T0_SG_SL_E_clISA_SA_SB_SB_EEDaSZ_S10_SG_SL_EUlSZ_E_NS1_11comp_targetILNS1_3genE2ELNS1_11target_archE906ELNS1_3gpuE6ELNS1_3repE0EEENS1_47radix_sort_onesweep_sort_config_static_selectorELNS0_4arch9wavefront6targetE0EEEvSG_
		.amdhsa_group_segment_fixed_size 0
		.amdhsa_private_segment_fixed_size 0
		.amdhsa_kernarg_size 88
		.amdhsa_user_sgpr_count 2
		.amdhsa_user_sgpr_dispatch_ptr 0
		.amdhsa_user_sgpr_queue_ptr 0
		.amdhsa_user_sgpr_kernarg_segment_ptr 1
		.amdhsa_user_sgpr_dispatch_id 0
		.amdhsa_user_sgpr_kernarg_preload_length 0
		.amdhsa_user_sgpr_kernarg_preload_offset 0
		.amdhsa_user_sgpr_private_segment_size 0
		.amdhsa_wavefront_size32 1
		.amdhsa_uses_dynamic_stack 0
		.amdhsa_enable_private_segment 0
		.amdhsa_system_sgpr_workgroup_id_x 1
		.amdhsa_system_sgpr_workgroup_id_y 0
		.amdhsa_system_sgpr_workgroup_id_z 0
		.amdhsa_system_sgpr_workgroup_info 0
		.amdhsa_system_vgpr_workitem_id 0
		.amdhsa_next_free_vgpr 1
		.amdhsa_next_free_sgpr 1
		.amdhsa_named_barrier_count 0
		.amdhsa_reserve_vcc 0
		.amdhsa_float_round_mode_32 0
		.amdhsa_float_round_mode_16_64 0
		.amdhsa_float_denorm_mode_32 3
		.amdhsa_float_denorm_mode_16_64 3
		.amdhsa_fp16_overflow 0
		.amdhsa_memory_ordered 1
		.amdhsa_forward_progress 1
		.amdhsa_inst_pref_size 0
		.amdhsa_round_robin_scheduling 0
		.amdhsa_exception_fp_ieee_invalid_op 0
		.amdhsa_exception_fp_denorm_src 0
		.amdhsa_exception_fp_ieee_div_zero 0
		.amdhsa_exception_fp_ieee_overflow 0
		.amdhsa_exception_fp_ieee_underflow 0
		.amdhsa_exception_fp_ieee_inexact 0
		.amdhsa_exception_int_div_zero 0
	.end_amdhsa_kernel
	.section	.text._ZN7rocprim17ROCPRIM_400000_NS6detail17trampoline_kernelINS0_14default_configENS1_35radix_sort_onesweep_config_selectorItNS0_10empty_typeEEEZZNS1_29radix_sort_onesweep_iterationIS3_Lb0EPKtPtPS5_SB_mNS0_19identity_decomposerENS1_16block_id_wrapperIjLb1EEEEE10hipError_tT1_PNSt15iterator_traitsISG_E10value_typeET2_T3_PNSH_ISM_E10value_typeET4_T5_PSR_SS_PNS1_23onesweep_lookback_stateEbbT6_jjT7_P12ihipStream_tbENKUlT_T0_SG_SL_E_clISA_SA_SB_SB_EEDaSZ_S10_SG_SL_EUlSZ_E_NS1_11comp_targetILNS1_3genE2ELNS1_11target_archE906ELNS1_3gpuE6ELNS1_3repE0EEENS1_47radix_sort_onesweep_sort_config_static_selectorELNS0_4arch9wavefront6targetE0EEEvSG_,"axG",@progbits,_ZN7rocprim17ROCPRIM_400000_NS6detail17trampoline_kernelINS0_14default_configENS1_35radix_sort_onesweep_config_selectorItNS0_10empty_typeEEEZZNS1_29radix_sort_onesweep_iterationIS3_Lb0EPKtPtPS5_SB_mNS0_19identity_decomposerENS1_16block_id_wrapperIjLb1EEEEE10hipError_tT1_PNSt15iterator_traitsISG_E10value_typeET2_T3_PNSH_ISM_E10value_typeET4_T5_PSR_SS_PNS1_23onesweep_lookback_stateEbbT6_jjT7_P12ihipStream_tbENKUlT_T0_SG_SL_E_clISA_SA_SB_SB_EEDaSZ_S10_SG_SL_EUlSZ_E_NS1_11comp_targetILNS1_3genE2ELNS1_11target_archE906ELNS1_3gpuE6ELNS1_3repE0EEENS1_47radix_sort_onesweep_sort_config_static_selectorELNS0_4arch9wavefront6targetE0EEEvSG_,comdat
.Lfunc_end2509:
	.size	_ZN7rocprim17ROCPRIM_400000_NS6detail17trampoline_kernelINS0_14default_configENS1_35radix_sort_onesweep_config_selectorItNS0_10empty_typeEEEZZNS1_29radix_sort_onesweep_iterationIS3_Lb0EPKtPtPS5_SB_mNS0_19identity_decomposerENS1_16block_id_wrapperIjLb1EEEEE10hipError_tT1_PNSt15iterator_traitsISG_E10value_typeET2_T3_PNSH_ISM_E10value_typeET4_T5_PSR_SS_PNS1_23onesweep_lookback_stateEbbT6_jjT7_P12ihipStream_tbENKUlT_T0_SG_SL_E_clISA_SA_SB_SB_EEDaSZ_S10_SG_SL_EUlSZ_E_NS1_11comp_targetILNS1_3genE2ELNS1_11target_archE906ELNS1_3gpuE6ELNS1_3repE0EEENS1_47radix_sort_onesweep_sort_config_static_selectorELNS0_4arch9wavefront6targetE0EEEvSG_, .Lfunc_end2509-_ZN7rocprim17ROCPRIM_400000_NS6detail17trampoline_kernelINS0_14default_configENS1_35radix_sort_onesweep_config_selectorItNS0_10empty_typeEEEZZNS1_29radix_sort_onesweep_iterationIS3_Lb0EPKtPtPS5_SB_mNS0_19identity_decomposerENS1_16block_id_wrapperIjLb1EEEEE10hipError_tT1_PNSt15iterator_traitsISG_E10value_typeET2_T3_PNSH_ISM_E10value_typeET4_T5_PSR_SS_PNS1_23onesweep_lookback_stateEbbT6_jjT7_P12ihipStream_tbENKUlT_T0_SG_SL_E_clISA_SA_SB_SB_EEDaSZ_S10_SG_SL_EUlSZ_E_NS1_11comp_targetILNS1_3genE2ELNS1_11target_archE906ELNS1_3gpuE6ELNS1_3repE0EEENS1_47radix_sort_onesweep_sort_config_static_selectorELNS0_4arch9wavefront6targetE0EEEvSG_
                                        ; -- End function
	.set _ZN7rocprim17ROCPRIM_400000_NS6detail17trampoline_kernelINS0_14default_configENS1_35radix_sort_onesweep_config_selectorItNS0_10empty_typeEEEZZNS1_29radix_sort_onesweep_iterationIS3_Lb0EPKtPtPS5_SB_mNS0_19identity_decomposerENS1_16block_id_wrapperIjLb1EEEEE10hipError_tT1_PNSt15iterator_traitsISG_E10value_typeET2_T3_PNSH_ISM_E10value_typeET4_T5_PSR_SS_PNS1_23onesweep_lookback_stateEbbT6_jjT7_P12ihipStream_tbENKUlT_T0_SG_SL_E_clISA_SA_SB_SB_EEDaSZ_S10_SG_SL_EUlSZ_E_NS1_11comp_targetILNS1_3genE2ELNS1_11target_archE906ELNS1_3gpuE6ELNS1_3repE0EEENS1_47radix_sort_onesweep_sort_config_static_selectorELNS0_4arch9wavefront6targetE0EEEvSG_.num_vgpr, 0
	.set _ZN7rocprim17ROCPRIM_400000_NS6detail17trampoline_kernelINS0_14default_configENS1_35radix_sort_onesweep_config_selectorItNS0_10empty_typeEEEZZNS1_29radix_sort_onesweep_iterationIS3_Lb0EPKtPtPS5_SB_mNS0_19identity_decomposerENS1_16block_id_wrapperIjLb1EEEEE10hipError_tT1_PNSt15iterator_traitsISG_E10value_typeET2_T3_PNSH_ISM_E10value_typeET4_T5_PSR_SS_PNS1_23onesweep_lookback_stateEbbT6_jjT7_P12ihipStream_tbENKUlT_T0_SG_SL_E_clISA_SA_SB_SB_EEDaSZ_S10_SG_SL_EUlSZ_E_NS1_11comp_targetILNS1_3genE2ELNS1_11target_archE906ELNS1_3gpuE6ELNS1_3repE0EEENS1_47radix_sort_onesweep_sort_config_static_selectorELNS0_4arch9wavefront6targetE0EEEvSG_.num_agpr, 0
	.set _ZN7rocprim17ROCPRIM_400000_NS6detail17trampoline_kernelINS0_14default_configENS1_35radix_sort_onesweep_config_selectorItNS0_10empty_typeEEEZZNS1_29radix_sort_onesweep_iterationIS3_Lb0EPKtPtPS5_SB_mNS0_19identity_decomposerENS1_16block_id_wrapperIjLb1EEEEE10hipError_tT1_PNSt15iterator_traitsISG_E10value_typeET2_T3_PNSH_ISM_E10value_typeET4_T5_PSR_SS_PNS1_23onesweep_lookback_stateEbbT6_jjT7_P12ihipStream_tbENKUlT_T0_SG_SL_E_clISA_SA_SB_SB_EEDaSZ_S10_SG_SL_EUlSZ_E_NS1_11comp_targetILNS1_3genE2ELNS1_11target_archE906ELNS1_3gpuE6ELNS1_3repE0EEENS1_47radix_sort_onesweep_sort_config_static_selectorELNS0_4arch9wavefront6targetE0EEEvSG_.numbered_sgpr, 0
	.set _ZN7rocprim17ROCPRIM_400000_NS6detail17trampoline_kernelINS0_14default_configENS1_35radix_sort_onesweep_config_selectorItNS0_10empty_typeEEEZZNS1_29radix_sort_onesweep_iterationIS3_Lb0EPKtPtPS5_SB_mNS0_19identity_decomposerENS1_16block_id_wrapperIjLb1EEEEE10hipError_tT1_PNSt15iterator_traitsISG_E10value_typeET2_T3_PNSH_ISM_E10value_typeET4_T5_PSR_SS_PNS1_23onesweep_lookback_stateEbbT6_jjT7_P12ihipStream_tbENKUlT_T0_SG_SL_E_clISA_SA_SB_SB_EEDaSZ_S10_SG_SL_EUlSZ_E_NS1_11comp_targetILNS1_3genE2ELNS1_11target_archE906ELNS1_3gpuE6ELNS1_3repE0EEENS1_47radix_sort_onesweep_sort_config_static_selectorELNS0_4arch9wavefront6targetE0EEEvSG_.num_named_barrier, 0
	.set _ZN7rocprim17ROCPRIM_400000_NS6detail17trampoline_kernelINS0_14default_configENS1_35radix_sort_onesweep_config_selectorItNS0_10empty_typeEEEZZNS1_29radix_sort_onesweep_iterationIS3_Lb0EPKtPtPS5_SB_mNS0_19identity_decomposerENS1_16block_id_wrapperIjLb1EEEEE10hipError_tT1_PNSt15iterator_traitsISG_E10value_typeET2_T3_PNSH_ISM_E10value_typeET4_T5_PSR_SS_PNS1_23onesweep_lookback_stateEbbT6_jjT7_P12ihipStream_tbENKUlT_T0_SG_SL_E_clISA_SA_SB_SB_EEDaSZ_S10_SG_SL_EUlSZ_E_NS1_11comp_targetILNS1_3genE2ELNS1_11target_archE906ELNS1_3gpuE6ELNS1_3repE0EEENS1_47radix_sort_onesweep_sort_config_static_selectorELNS0_4arch9wavefront6targetE0EEEvSG_.private_seg_size, 0
	.set _ZN7rocprim17ROCPRIM_400000_NS6detail17trampoline_kernelINS0_14default_configENS1_35radix_sort_onesweep_config_selectorItNS0_10empty_typeEEEZZNS1_29radix_sort_onesweep_iterationIS3_Lb0EPKtPtPS5_SB_mNS0_19identity_decomposerENS1_16block_id_wrapperIjLb1EEEEE10hipError_tT1_PNSt15iterator_traitsISG_E10value_typeET2_T3_PNSH_ISM_E10value_typeET4_T5_PSR_SS_PNS1_23onesweep_lookback_stateEbbT6_jjT7_P12ihipStream_tbENKUlT_T0_SG_SL_E_clISA_SA_SB_SB_EEDaSZ_S10_SG_SL_EUlSZ_E_NS1_11comp_targetILNS1_3genE2ELNS1_11target_archE906ELNS1_3gpuE6ELNS1_3repE0EEENS1_47radix_sort_onesweep_sort_config_static_selectorELNS0_4arch9wavefront6targetE0EEEvSG_.uses_vcc, 0
	.set _ZN7rocprim17ROCPRIM_400000_NS6detail17trampoline_kernelINS0_14default_configENS1_35radix_sort_onesweep_config_selectorItNS0_10empty_typeEEEZZNS1_29radix_sort_onesweep_iterationIS3_Lb0EPKtPtPS5_SB_mNS0_19identity_decomposerENS1_16block_id_wrapperIjLb1EEEEE10hipError_tT1_PNSt15iterator_traitsISG_E10value_typeET2_T3_PNSH_ISM_E10value_typeET4_T5_PSR_SS_PNS1_23onesweep_lookback_stateEbbT6_jjT7_P12ihipStream_tbENKUlT_T0_SG_SL_E_clISA_SA_SB_SB_EEDaSZ_S10_SG_SL_EUlSZ_E_NS1_11comp_targetILNS1_3genE2ELNS1_11target_archE906ELNS1_3gpuE6ELNS1_3repE0EEENS1_47radix_sort_onesweep_sort_config_static_selectorELNS0_4arch9wavefront6targetE0EEEvSG_.uses_flat_scratch, 0
	.set _ZN7rocprim17ROCPRIM_400000_NS6detail17trampoline_kernelINS0_14default_configENS1_35radix_sort_onesweep_config_selectorItNS0_10empty_typeEEEZZNS1_29radix_sort_onesweep_iterationIS3_Lb0EPKtPtPS5_SB_mNS0_19identity_decomposerENS1_16block_id_wrapperIjLb1EEEEE10hipError_tT1_PNSt15iterator_traitsISG_E10value_typeET2_T3_PNSH_ISM_E10value_typeET4_T5_PSR_SS_PNS1_23onesweep_lookback_stateEbbT6_jjT7_P12ihipStream_tbENKUlT_T0_SG_SL_E_clISA_SA_SB_SB_EEDaSZ_S10_SG_SL_EUlSZ_E_NS1_11comp_targetILNS1_3genE2ELNS1_11target_archE906ELNS1_3gpuE6ELNS1_3repE0EEENS1_47radix_sort_onesweep_sort_config_static_selectorELNS0_4arch9wavefront6targetE0EEEvSG_.has_dyn_sized_stack, 0
	.set _ZN7rocprim17ROCPRIM_400000_NS6detail17trampoline_kernelINS0_14default_configENS1_35radix_sort_onesweep_config_selectorItNS0_10empty_typeEEEZZNS1_29radix_sort_onesweep_iterationIS3_Lb0EPKtPtPS5_SB_mNS0_19identity_decomposerENS1_16block_id_wrapperIjLb1EEEEE10hipError_tT1_PNSt15iterator_traitsISG_E10value_typeET2_T3_PNSH_ISM_E10value_typeET4_T5_PSR_SS_PNS1_23onesweep_lookback_stateEbbT6_jjT7_P12ihipStream_tbENKUlT_T0_SG_SL_E_clISA_SA_SB_SB_EEDaSZ_S10_SG_SL_EUlSZ_E_NS1_11comp_targetILNS1_3genE2ELNS1_11target_archE906ELNS1_3gpuE6ELNS1_3repE0EEENS1_47radix_sort_onesweep_sort_config_static_selectorELNS0_4arch9wavefront6targetE0EEEvSG_.has_recursion, 0
	.set _ZN7rocprim17ROCPRIM_400000_NS6detail17trampoline_kernelINS0_14default_configENS1_35radix_sort_onesweep_config_selectorItNS0_10empty_typeEEEZZNS1_29radix_sort_onesweep_iterationIS3_Lb0EPKtPtPS5_SB_mNS0_19identity_decomposerENS1_16block_id_wrapperIjLb1EEEEE10hipError_tT1_PNSt15iterator_traitsISG_E10value_typeET2_T3_PNSH_ISM_E10value_typeET4_T5_PSR_SS_PNS1_23onesweep_lookback_stateEbbT6_jjT7_P12ihipStream_tbENKUlT_T0_SG_SL_E_clISA_SA_SB_SB_EEDaSZ_S10_SG_SL_EUlSZ_E_NS1_11comp_targetILNS1_3genE2ELNS1_11target_archE906ELNS1_3gpuE6ELNS1_3repE0EEENS1_47radix_sort_onesweep_sort_config_static_selectorELNS0_4arch9wavefront6targetE0EEEvSG_.has_indirect_call, 0
	.section	.AMDGPU.csdata,"",@progbits
; Kernel info:
; codeLenInByte = 0
; TotalNumSgprs: 0
; NumVgprs: 0
; ScratchSize: 0
; MemoryBound: 0
; FloatMode: 240
; IeeeMode: 1
; LDSByteSize: 0 bytes/workgroup (compile time only)
; SGPRBlocks: 0
; VGPRBlocks: 0
; NumSGPRsForWavesPerEU: 1
; NumVGPRsForWavesPerEU: 1
; NamedBarCnt: 0
; Occupancy: 16
; WaveLimiterHint : 0
; COMPUTE_PGM_RSRC2:SCRATCH_EN: 0
; COMPUTE_PGM_RSRC2:USER_SGPR: 2
; COMPUTE_PGM_RSRC2:TRAP_HANDLER: 0
; COMPUTE_PGM_RSRC2:TGID_X_EN: 1
; COMPUTE_PGM_RSRC2:TGID_Y_EN: 0
; COMPUTE_PGM_RSRC2:TGID_Z_EN: 0
; COMPUTE_PGM_RSRC2:TIDIG_COMP_CNT: 0
	.section	.text._ZN7rocprim17ROCPRIM_400000_NS6detail17trampoline_kernelINS0_14default_configENS1_35radix_sort_onesweep_config_selectorItNS0_10empty_typeEEEZZNS1_29radix_sort_onesweep_iterationIS3_Lb0EPKtPtPS5_SB_mNS0_19identity_decomposerENS1_16block_id_wrapperIjLb1EEEEE10hipError_tT1_PNSt15iterator_traitsISG_E10value_typeET2_T3_PNSH_ISM_E10value_typeET4_T5_PSR_SS_PNS1_23onesweep_lookback_stateEbbT6_jjT7_P12ihipStream_tbENKUlT_T0_SG_SL_E_clISA_SA_SB_SB_EEDaSZ_S10_SG_SL_EUlSZ_E_NS1_11comp_targetILNS1_3genE4ELNS1_11target_archE910ELNS1_3gpuE8ELNS1_3repE0EEENS1_47radix_sort_onesweep_sort_config_static_selectorELNS0_4arch9wavefront6targetE0EEEvSG_,"axG",@progbits,_ZN7rocprim17ROCPRIM_400000_NS6detail17trampoline_kernelINS0_14default_configENS1_35radix_sort_onesweep_config_selectorItNS0_10empty_typeEEEZZNS1_29radix_sort_onesweep_iterationIS3_Lb0EPKtPtPS5_SB_mNS0_19identity_decomposerENS1_16block_id_wrapperIjLb1EEEEE10hipError_tT1_PNSt15iterator_traitsISG_E10value_typeET2_T3_PNSH_ISM_E10value_typeET4_T5_PSR_SS_PNS1_23onesweep_lookback_stateEbbT6_jjT7_P12ihipStream_tbENKUlT_T0_SG_SL_E_clISA_SA_SB_SB_EEDaSZ_S10_SG_SL_EUlSZ_E_NS1_11comp_targetILNS1_3genE4ELNS1_11target_archE910ELNS1_3gpuE8ELNS1_3repE0EEENS1_47radix_sort_onesweep_sort_config_static_selectorELNS0_4arch9wavefront6targetE0EEEvSG_,comdat
	.protected	_ZN7rocprim17ROCPRIM_400000_NS6detail17trampoline_kernelINS0_14default_configENS1_35radix_sort_onesweep_config_selectorItNS0_10empty_typeEEEZZNS1_29radix_sort_onesweep_iterationIS3_Lb0EPKtPtPS5_SB_mNS0_19identity_decomposerENS1_16block_id_wrapperIjLb1EEEEE10hipError_tT1_PNSt15iterator_traitsISG_E10value_typeET2_T3_PNSH_ISM_E10value_typeET4_T5_PSR_SS_PNS1_23onesweep_lookback_stateEbbT6_jjT7_P12ihipStream_tbENKUlT_T0_SG_SL_E_clISA_SA_SB_SB_EEDaSZ_S10_SG_SL_EUlSZ_E_NS1_11comp_targetILNS1_3genE4ELNS1_11target_archE910ELNS1_3gpuE8ELNS1_3repE0EEENS1_47radix_sort_onesweep_sort_config_static_selectorELNS0_4arch9wavefront6targetE0EEEvSG_ ; -- Begin function _ZN7rocprim17ROCPRIM_400000_NS6detail17trampoline_kernelINS0_14default_configENS1_35radix_sort_onesweep_config_selectorItNS0_10empty_typeEEEZZNS1_29radix_sort_onesweep_iterationIS3_Lb0EPKtPtPS5_SB_mNS0_19identity_decomposerENS1_16block_id_wrapperIjLb1EEEEE10hipError_tT1_PNSt15iterator_traitsISG_E10value_typeET2_T3_PNSH_ISM_E10value_typeET4_T5_PSR_SS_PNS1_23onesweep_lookback_stateEbbT6_jjT7_P12ihipStream_tbENKUlT_T0_SG_SL_E_clISA_SA_SB_SB_EEDaSZ_S10_SG_SL_EUlSZ_E_NS1_11comp_targetILNS1_3genE4ELNS1_11target_archE910ELNS1_3gpuE8ELNS1_3repE0EEENS1_47radix_sort_onesweep_sort_config_static_selectorELNS0_4arch9wavefront6targetE0EEEvSG_
	.globl	_ZN7rocprim17ROCPRIM_400000_NS6detail17trampoline_kernelINS0_14default_configENS1_35radix_sort_onesweep_config_selectorItNS0_10empty_typeEEEZZNS1_29radix_sort_onesweep_iterationIS3_Lb0EPKtPtPS5_SB_mNS0_19identity_decomposerENS1_16block_id_wrapperIjLb1EEEEE10hipError_tT1_PNSt15iterator_traitsISG_E10value_typeET2_T3_PNSH_ISM_E10value_typeET4_T5_PSR_SS_PNS1_23onesweep_lookback_stateEbbT6_jjT7_P12ihipStream_tbENKUlT_T0_SG_SL_E_clISA_SA_SB_SB_EEDaSZ_S10_SG_SL_EUlSZ_E_NS1_11comp_targetILNS1_3genE4ELNS1_11target_archE910ELNS1_3gpuE8ELNS1_3repE0EEENS1_47radix_sort_onesweep_sort_config_static_selectorELNS0_4arch9wavefront6targetE0EEEvSG_
	.p2align	8
	.type	_ZN7rocprim17ROCPRIM_400000_NS6detail17trampoline_kernelINS0_14default_configENS1_35radix_sort_onesweep_config_selectorItNS0_10empty_typeEEEZZNS1_29radix_sort_onesweep_iterationIS3_Lb0EPKtPtPS5_SB_mNS0_19identity_decomposerENS1_16block_id_wrapperIjLb1EEEEE10hipError_tT1_PNSt15iterator_traitsISG_E10value_typeET2_T3_PNSH_ISM_E10value_typeET4_T5_PSR_SS_PNS1_23onesweep_lookback_stateEbbT6_jjT7_P12ihipStream_tbENKUlT_T0_SG_SL_E_clISA_SA_SB_SB_EEDaSZ_S10_SG_SL_EUlSZ_E_NS1_11comp_targetILNS1_3genE4ELNS1_11target_archE910ELNS1_3gpuE8ELNS1_3repE0EEENS1_47radix_sort_onesweep_sort_config_static_selectorELNS0_4arch9wavefront6targetE0EEEvSG_,@function
_ZN7rocprim17ROCPRIM_400000_NS6detail17trampoline_kernelINS0_14default_configENS1_35radix_sort_onesweep_config_selectorItNS0_10empty_typeEEEZZNS1_29radix_sort_onesweep_iterationIS3_Lb0EPKtPtPS5_SB_mNS0_19identity_decomposerENS1_16block_id_wrapperIjLb1EEEEE10hipError_tT1_PNSt15iterator_traitsISG_E10value_typeET2_T3_PNSH_ISM_E10value_typeET4_T5_PSR_SS_PNS1_23onesweep_lookback_stateEbbT6_jjT7_P12ihipStream_tbENKUlT_T0_SG_SL_E_clISA_SA_SB_SB_EEDaSZ_S10_SG_SL_EUlSZ_E_NS1_11comp_targetILNS1_3genE4ELNS1_11target_archE910ELNS1_3gpuE8ELNS1_3repE0EEENS1_47radix_sort_onesweep_sort_config_static_selectorELNS0_4arch9wavefront6targetE0EEEvSG_: ; @_ZN7rocprim17ROCPRIM_400000_NS6detail17trampoline_kernelINS0_14default_configENS1_35radix_sort_onesweep_config_selectorItNS0_10empty_typeEEEZZNS1_29radix_sort_onesweep_iterationIS3_Lb0EPKtPtPS5_SB_mNS0_19identity_decomposerENS1_16block_id_wrapperIjLb1EEEEE10hipError_tT1_PNSt15iterator_traitsISG_E10value_typeET2_T3_PNSH_ISM_E10value_typeET4_T5_PSR_SS_PNS1_23onesweep_lookback_stateEbbT6_jjT7_P12ihipStream_tbENKUlT_T0_SG_SL_E_clISA_SA_SB_SB_EEDaSZ_S10_SG_SL_EUlSZ_E_NS1_11comp_targetILNS1_3genE4ELNS1_11target_archE910ELNS1_3gpuE8ELNS1_3repE0EEENS1_47radix_sort_onesweep_sort_config_static_selectorELNS0_4arch9wavefront6targetE0EEEvSG_
; %bb.0:
	.section	.rodata,"a",@progbits
	.p2align	6, 0x0
	.amdhsa_kernel _ZN7rocprim17ROCPRIM_400000_NS6detail17trampoline_kernelINS0_14default_configENS1_35radix_sort_onesweep_config_selectorItNS0_10empty_typeEEEZZNS1_29radix_sort_onesweep_iterationIS3_Lb0EPKtPtPS5_SB_mNS0_19identity_decomposerENS1_16block_id_wrapperIjLb1EEEEE10hipError_tT1_PNSt15iterator_traitsISG_E10value_typeET2_T3_PNSH_ISM_E10value_typeET4_T5_PSR_SS_PNS1_23onesweep_lookback_stateEbbT6_jjT7_P12ihipStream_tbENKUlT_T0_SG_SL_E_clISA_SA_SB_SB_EEDaSZ_S10_SG_SL_EUlSZ_E_NS1_11comp_targetILNS1_3genE4ELNS1_11target_archE910ELNS1_3gpuE8ELNS1_3repE0EEENS1_47radix_sort_onesweep_sort_config_static_selectorELNS0_4arch9wavefront6targetE0EEEvSG_
		.amdhsa_group_segment_fixed_size 0
		.amdhsa_private_segment_fixed_size 0
		.amdhsa_kernarg_size 88
		.amdhsa_user_sgpr_count 2
		.amdhsa_user_sgpr_dispatch_ptr 0
		.amdhsa_user_sgpr_queue_ptr 0
		.amdhsa_user_sgpr_kernarg_segment_ptr 1
		.amdhsa_user_sgpr_dispatch_id 0
		.amdhsa_user_sgpr_kernarg_preload_length 0
		.amdhsa_user_sgpr_kernarg_preload_offset 0
		.amdhsa_user_sgpr_private_segment_size 0
		.amdhsa_wavefront_size32 1
		.amdhsa_uses_dynamic_stack 0
		.amdhsa_enable_private_segment 0
		.amdhsa_system_sgpr_workgroup_id_x 1
		.amdhsa_system_sgpr_workgroup_id_y 0
		.amdhsa_system_sgpr_workgroup_id_z 0
		.amdhsa_system_sgpr_workgroup_info 0
		.amdhsa_system_vgpr_workitem_id 0
		.amdhsa_next_free_vgpr 1
		.amdhsa_next_free_sgpr 1
		.amdhsa_named_barrier_count 0
		.amdhsa_reserve_vcc 0
		.amdhsa_float_round_mode_32 0
		.amdhsa_float_round_mode_16_64 0
		.amdhsa_float_denorm_mode_32 3
		.amdhsa_float_denorm_mode_16_64 3
		.amdhsa_fp16_overflow 0
		.amdhsa_memory_ordered 1
		.amdhsa_forward_progress 1
		.amdhsa_inst_pref_size 0
		.amdhsa_round_robin_scheduling 0
		.amdhsa_exception_fp_ieee_invalid_op 0
		.amdhsa_exception_fp_denorm_src 0
		.amdhsa_exception_fp_ieee_div_zero 0
		.amdhsa_exception_fp_ieee_overflow 0
		.amdhsa_exception_fp_ieee_underflow 0
		.amdhsa_exception_fp_ieee_inexact 0
		.amdhsa_exception_int_div_zero 0
	.end_amdhsa_kernel
	.section	.text._ZN7rocprim17ROCPRIM_400000_NS6detail17trampoline_kernelINS0_14default_configENS1_35radix_sort_onesweep_config_selectorItNS0_10empty_typeEEEZZNS1_29radix_sort_onesweep_iterationIS3_Lb0EPKtPtPS5_SB_mNS0_19identity_decomposerENS1_16block_id_wrapperIjLb1EEEEE10hipError_tT1_PNSt15iterator_traitsISG_E10value_typeET2_T3_PNSH_ISM_E10value_typeET4_T5_PSR_SS_PNS1_23onesweep_lookback_stateEbbT6_jjT7_P12ihipStream_tbENKUlT_T0_SG_SL_E_clISA_SA_SB_SB_EEDaSZ_S10_SG_SL_EUlSZ_E_NS1_11comp_targetILNS1_3genE4ELNS1_11target_archE910ELNS1_3gpuE8ELNS1_3repE0EEENS1_47radix_sort_onesweep_sort_config_static_selectorELNS0_4arch9wavefront6targetE0EEEvSG_,"axG",@progbits,_ZN7rocprim17ROCPRIM_400000_NS6detail17trampoline_kernelINS0_14default_configENS1_35radix_sort_onesweep_config_selectorItNS0_10empty_typeEEEZZNS1_29radix_sort_onesweep_iterationIS3_Lb0EPKtPtPS5_SB_mNS0_19identity_decomposerENS1_16block_id_wrapperIjLb1EEEEE10hipError_tT1_PNSt15iterator_traitsISG_E10value_typeET2_T3_PNSH_ISM_E10value_typeET4_T5_PSR_SS_PNS1_23onesweep_lookback_stateEbbT6_jjT7_P12ihipStream_tbENKUlT_T0_SG_SL_E_clISA_SA_SB_SB_EEDaSZ_S10_SG_SL_EUlSZ_E_NS1_11comp_targetILNS1_3genE4ELNS1_11target_archE910ELNS1_3gpuE8ELNS1_3repE0EEENS1_47radix_sort_onesweep_sort_config_static_selectorELNS0_4arch9wavefront6targetE0EEEvSG_,comdat
.Lfunc_end2510:
	.size	_ZN7rocprim17ROCPRIM_400000_NS6detail17trampoline_kernelINS0_14default_configENS1_35radix_sort_onesweep_config_selectorItNS0_10empty_typeEEEZZNS1_29radix_sort_onesweep_iterationIS3_Lb0EPKtPtPS5_SB_mNS0_19identity_decomposerENS1_16block_id_wrapperIjLb1EEEEE10hipError_tT1_PNSt15iterator_traitsISG_E10value_typeET2_T3_PNSH_ISM_E10value_typeET4_T5_PSR_SS_PNS1_23onesweep_lookback_stateEbbT6_jjT7_P12ihipStream_tbENKUlT_T0_SG_SL_E_clISA_SA_SB_SB_EEDaSZ_S10_SG_SL_EUlSZ_E_NS1_11comp_targetILNS1_3genE4ELNS1_11target_archE910ELNS1_3gpuE8ELNS1_3repE0EEENS1_47radix_sort_onesweep_sort_config_static_selectorELNS0_4arch9wavefront6targetE0EEEvSG_, .Lfunc_end2510-_ZN7rocprim17ROCPRIM_400000_NS6detail17trampoline_kernelINS0_14default_configENS1_35radix_sort_onesweep_config_selectorItNS0_10empty_typeEEEZZNS1_29radix_sort_onesweep_iterationIS3_Lb0EPKtPtPS5_SB_mNS0_19identity_decomposerENS1_16block_id_wrapperIjLb1EEEEE10hipError_tT1_PNSt15iterator_traitsISG_E10value_typeET2_T3_PNSH_ISM_E10value_typeET4_T5_PSR_SS_PNS1_23onesweep_lookback_stateEbbT6_jjT7_P12ihipStream_tbENKUlT_T0_SG_SL_E_clISA_SA_SB_SB_EEDaSZ_S10_SG_SL_EUlSZ_E_NS1_11comp_targetILNS1_3genE4ELNS1_11target_archE910ELNS1_3gpuE8ELNS1_3repE0EEENS1_47radix_sort_onesweep_sort_config_static_selectorELNS0_4arch9wavefront6targetE0EEEvSG_
                                        ; -- End function
	.set _ZN7rocprim17ROCPRIM_400000_NS6detail17trampoline_kernelINS0_14default_configENS1_35radix_sort_onesweep_config_selectorItNS0_10empty_typeEEEZZNS1_29radix_sort_onesweep_iterationIS3_Lb0EPKtPtPS5_SB_mNS0_19identity_decomposerENS1_16block_id_wrapperIjLb1EEEEE10hipError_tT1_PNSt15iterator_traitsISG_E10value_typeET2_T3_PNSH_ISM_E10value_typeET4_T5_PSR_SS_PNS1_23onesweep_lookback_stateEbbT6_jjT7_P12ihipStream_tbENKUlT_T0_SG_SL_E_clISA_SA_SB_SB_EEDaSZ_S10_SG_SL_EUlSZ_E_NS1_11comp_targetILNS1_3genE4ELNS1_11target_archE910ELNS1_3gpuE8ELNS1_3repE0EEENS1_47radix_sort_onesweep_sort_config_static_selectorELNS0_4arch9wavefront6targetE0EEEvSG_.num_vgpr, 0
	.set _ZN7rocprim17ROCPRIM_400000_NS6detail17trampoline_kernelINS0_14default_configENS1_35radix_sort_onesweep_config_selectorItNS0_10empty_typeEEEZZNS1_29radix_sort_onesweep_iterationIS3_Lb0EPKtPtPS5_SB_mNS0_19identity_decomposerENS1_16block_id_wrapperIjLb1EEEEE10hipError_tT1_PNSt15iterator_traitsISG_E10value_typeET2_T3_PNSH_ISM_E10value_typeET4_T5_PSR_SS_PNS1_23onesweep_lookback_stateEbbT6_jjT7_P12ihipStream_tbENKUlT_T0_SG_SL_E_clISA_SA_SB_SB_EEDaSZ_S10_SG_SL_EUlSZ_E_NS1_11comp_targetILNS1_3genE4ELNS1_11target_archE910ELNS1_3gpuE8ELNS1_3repE0EEENS1_47radix_sort_onesweep_sort_config_static_selectorELNS0_4arch9wavefront6targetE0EEEvSG_.num_agpr, 0
	.set _ZN7rocprim17ROCPRIM_400000_NS6detail17trampoline_kernelINS0_14default_configENS1_35radix_sort_onesweep_config_selectorItNS0_10empty_typeEEEZZNS1_29radix_sort_onesweep_iterationIS3_Lb0EPKtPtPS5_SB_mNS0_19identity_decomposerENS1_16block_id_wrapperIjLb1EEEEE10hipError_tT1_PNSt15iterator_traitsISG_E10value_typeET2_T3_PNSH_ISM_E10value_typeET4_T5_PSR_SS_PNS1_23onesweep_lookback_stateEbbT6_jjT7_P12ihipStream_tbENKUlT_T0_SG_SL_E_clISA_SA_SB_SB_EEDaSZ_S10_SG_SL_EUlSZ_E_NS1_11comp_targetILNS1_3genE4ELNS1_11target_archE910ELNS1_3gpuE8ELNS1_3repE0EEENS1_47radix_sort_onesweep_sort_config_static_selectorELNS0_4arch9wavefront6targetE0EEEvSG_.numbered_sgpr, 0
	.set _ZN7rocprim17ROCPRIM_400000_NS6detail17trampoline_kernelINS0_14default_configENS1_35radix_sort_onesweep_config_selectorItNS0_10empty_typeEEEZZNS1_29radix_sort_onesweep_iterationIS3_Lb0EPKtPtPS5_SB_mNS0_19identity_decomposerENS1_16block_id_wrapperIjLb1EEEEE10hipError_tT1_PNSt15iterator_traitsISG_E10value_typeET2_T3_PNSH_ISM_E10value_typeET4_T5_PSR_SS_PNS1_23onesweep_lookback_stateEbbT6_jjT7_P12ihipStream_tbENKUlT_T0_SG_SL_E_clISA_SA_SB_SB_EEDaSZ_S10_SG_SL_EUlSZ_E_NS1_11comp_targetILNS1_3genE4ELNS1_11target_archE910ELNS1_3gpuE8ELNS1_3repE0EEENS1_47radix_sort_onesweep_sort_config_static_selectorELNS0_4arch9wavefront6targetE0EEEvSG_.num_named_barrier, 0
	.set _ZN7rocprim17ROCPRIM_400000_NS6detail17trampoline_kernelINS0_14default_configENS1_35radix_sort_onesweep_config_selectorItNS0_10empty_typeEEEZZNS1_29radix_sort_onesweep_iterationIS3_Lb0EPKtPtPS5_SB_mNS0_19identity_decomposerENS1_16block_id_wrapperIjLb1EEEEE10hipError_tT1_PNSt15iterator_traitsISG_E10value_typeET2_T3_PNSH_ISM_E10value_typeET4_T5_PSR_SS_PNS1_23onesweep_lookback_stateEbbT6_jjT7_P12ihipStream_tbENKUlT_T0_SG_SL_E_clISA_SA_SB_SB_EEDaSZ_S10_SG_SL_EUlSZ_E_NS1_11comp_targetILNS1_3genE4ELNS1_11target_archE910ELNS1_3gpuE8ELNS1_3repE0EEENS1_47radix_sort_onesweep_sort_config_static_selectorELNS0_4arch9wavefront6targetE0EEEvSG_.private_seg_size, 0
	.set _ZN7rocprim17ROCPRIM_400000_NS6detail17trampoline_kernelINS0_14default_configENS1_35radix_sort_onesweep_config_selectorItNS0_10empty_typeEEEZZNS1_29radix_sort_onesweep_iterationIS3_Lb0EPKtPtPS5_SB_mNS0_19identity_decomposerENS1_16block_id_wrapperIjLb1EEEEE10hipError_tT1_PNSt15iterator_traitsISG_E10value_typeET2_T3_PNSH_ISM_E10value_typeET4_T5_PSR_SS_PNS1_23onesweep_lookback_stateEbbT6_jjT7_P12ihipStream_tbENKUlT_T0_SG_SL_E_clISA_SA_SB_SB_EEDaSZ_S10_SG_SL_EUlSZ_E_NS1_11comp_targetILNS1_3genE4ELNS1_11target_archE910ELNS1_3gpuE8ELNS1_3repE0EEENS1_47radix_sort_onesweep_sort_config_static_selectorELNS0_4arch9wavefront6targetE0EEEvSG_.uses_vcc, 0
	.set _ZN7rocprim17ROCPRIM_400000_NS6detail17trampoline_kernelINS0_14default_configENS1_35radix_sort_onesweep_config_selectorItNS0_10empty_typeEEEZZNS1_29radix_sort_onesweep_iterationIS3_Lb0EPKtPtPS5_SB_mNS0_19identity_decomposerENS1_16block_id_wrapperIjLb1EEEEE10hipError_tT1_PNSt15iterator_traitsISG_E10value_typeET2_T3_PNSH_ISM_E10value_typeET4_T5_PSR_SS_PNS1_23onesweep_lookback_stateEbbT6_jjT7_P12ihipStream_tbENKUlT_T0_SG_SL_E_clISA_SA_SB_SB_EEDaSZ_S10_SG_SL_EUlSZ_E_NS1_11comp_targetILNS1_3genE4ELNS1_11target_archE910ELNS1_3gpuE8ELNS1_3repE0EEENS1_47radix_sort_onesweep_sort_config_static_selectorELNS0_4arch9wavefront6targetE0EEEvSG_.uses_flat_scratch, 0
	.set _ZN7rocprim17ROCPRIM_400000_NS6detail17trampoline_kernelINS0_14default_configENS1_35radix_sort_onesweep_config_selectorItNS0_10empty_typeEEEZZNS1_29radix_sort_onesweep_iterationIS3_Lb0EPKtPtPS5_SB_mNS0_19identity_decomposerENS1_16block_id_wrapperIjLb1EEEEE10hipError_tT1_PNSt15iterator_traitsISG_E10value_typeET2_T3_PNSH_ISM_E10value_typeET4_T5_PSR_SS_PNS1_23onesweep_lookback_stateEbbT6_jjT7_P12ihipStream_tbENKUlT_T0_SG_SL_E_clISA_SA_SB_SB_EEDaSZ_S10_SG_SL_EUlSZ_E_NS1_11comp_targetILNS1_3genE4ELNS1_11target_archE910ELNS1_3gpuE8ELNS1_3repE0EEENS1_47radix_sort_onesweep_sort_config_static_selectorELNS0_4arch9wavefront6targetE0EEEvSG_.has_dyn_sized_stack, 0
	.set _ZN7rocprim17ROCPRIM_400000_NS6detail17trampoline_kernelINS0_14default_configENS1_35radix_sort_onesweep_config_selectorItNS0_10empty_typeEEEZZNS1_29radix_sort_onesweep_iterationIS3_Lb0EPKtPtPS5_SB_mNS0_19identity_decomposerENS1_16block_id_wrapperIjLb1EEEEE10hipError_tT1_PNSt15iterator_traitsISG_E10value_typeET2_T3_PNSH_ISM_E10value_typeET4_T5_PSR_SS_PNS1_23onesweep_lookback_stateEbbT6_jjT7_P12ihipStream_tbENKUlT_T0_SG_SL_E_clISA_SA_SB_SB_EEDaSZ_S10_SG_SL_EUlSZ_E_NS1_11comp_targetILNS1_3genE4ELNS1_11target_archE910ELNS1_3gpuE8ELNS1_3repE0EEENS1_47radix_sort_onesweep_sort_config_static_selectorELNS0_4arch9wavefront6targetE0EEEvSG_.has_recursion, 0
	.set _ZN7rocprim17ROCPRIM_400000_NS6detail17trampoline_kernelINS0_14default_configENS1_35radix_sort_onesweep_config_selectorItNS0_10empty_typeEEEZZNS1_29radix_sort_onesweep_iterationIS3_Lb0EPKtPtPS5_SB_mNS0_19identity_decomposerENS1_16block_id_wrapperIjLb1EEEEE10hipError_tT1_PNSt15iterator_traitsISG_E10value_typeET2_T3_PNSH_ISM_E10value_typeET4_T5_PSR_SS_PNS1_23onesweep_lookback_stateEbbT6_jjT7_P12ihipStream_tbENKUlT_T0_SG_SL_E_clISA_SA_SB_SB_EEDaSZ_S10_SG_SL_EUlSZ_E_NS1_11comp_targetILNS1_3genE4ELNS1_11target_archE910ELNS1_3gpuE8ELNS1_3repE0EEENS1_47radix_sort_onesweep_sort_config_static_selectorELNS0_4arch9wavefront6targetE0EEEvSG_.has_indirect_call, 0
	.section	.AMDGPU.csdata,"",@progbits
; Kernel info:
; codeLenInByte = 0
; TotalNumSgprs: 0
; NumVgprs: 0
; ScratchSize: 0
; MemoryBound: 0
; FloatMode: 240
; IeeeMode: 1
; LDSByteSize: 0 bytes/workgroup (compile time only)
; SGPRBlocks: 0
; VGPRBlocks: 0
; NumSGPRsForWavesPerEU: 1
; NumVGPRsForWavesPerEU: 1
; NamedBarCnt: 0
; Occupancy: 16
; WaveLimiterHint : 0
; COMPUTE_PGM_RSRC2:SCRATCH_EN: 0
; COMPUTE_PGM_RSRC2:USER_SGPR: 2
; COMPUTE_PGM_RSRC2:TRAP_HANDLER: 0
; COMPUTE_PGM_RSRC2:TGID_X_EN: 1
; COMPUTE_PGM_RSRC2:TGID_Y_EN: 0
; COMPUTE_PGM_RSRC2:TGID_Z_EN: 0
; COMPUTE_PGM_RSRC2:TIDIG_COMP_CNT: 0
	.section	.text._ZN7rocprim17ROCPRIM_400000_NS6detail17trampoline_kernelINS0_14default_configENS1_35radix_sort_onesweep_config_selectorItNS0_10empty_typeEEEZZNS1_29radix_sort_onesweep_iterationIS3_Lb0EPKtPtPS5_SB_mNS0_19identity_decomposerENS1_16block_id_wrapperIjLb1EEEEE10hipError_tT1_PNSt15iterator_traitsISG_E10value_typeET2_T3_PNSH_ISM_E10value_typeET4_T5_PSR_SS_PNS1_23onesweep_lookback_stateEbbT6_jjT7_P12ihipStream_tbENKUlT_T0_SG_SL_E_clISA_SA_SB_SB_EEDaSZ_S10_SG_SL_EUlSZ_E_NS1_11comp_targetILNS1_3genE3ELNS1_11target_archE908ELNS1_3gpuE7ELNS1_3repE0EEENS1_47radix_sort_onesweep_sort_config_static_selectorELNS0_4arch9wavefront6targetE0EEEvSG_,"axG",@progbits,_ZN7rocprim17ROCPRIM_400000_NS6detail17trampoline_kernelINS0_14default_configENS1_35radix_sort_onesweep_config_selectorItNS0_10empty_typeEEEZZNS1_29radix_sort_onesweep_iterationIS3_Lb0EPKtPtPS5_SB_mNS0_19identity_decomposerENS1_16block_id_wrapperIjLb1EEEEE10hipError_tT1_PNSt15iterator_traitsISG_E10value_typeET2_T3_PNSH_ISM_E10value_typeET4_T5_PSR_SS_PNS1_23onesweep_lookback_stateEbbT6_jjT7_P12ihipStream_tbENKUlT_T0_SG_SL_E_clISA_SA_SB_SB_EEDaSZ_S10_SG_SL_EUlSZ_E_NS1_11comp_targetILNS1_3genE3ELNS1_11target_archE908ELNS1_3gpuE7ELNS1_3repE0EEENS1_47radix_sort_onesweep_sort_config_static_selectorELNS0_4arch9wavefront6targetE0EEEvSG_,comdat
	.protected	_ZN7rocprim17ROCPRIM_400000_NS6detail17trampoline_kernelINS0_14default_configENS1_35radix_sort_onesweep_config_selectorItNS0_10empty_typeEEEZZNS1_29radix_sort_onesweep_iterationIS3_Lb0EPKtPtPS5_SB_mNS0_19identity_decomposerENS1_16block_id_wrapperIjLb1EEEEE10hipError_tT1_PNSt15iterator_traitsISG_E10value_typeET2_T3_PNSH_ISM_E10value_typeET4_T5_PSR_SS_PNS1_23onesweep_lookback_stateEbbT6_jjT7_P12ihipStream_tbENKUlT_T0_SG_SL_E_clISA_SA_SB_SB_EEDaSZ_S10_SG_SL_EUlSZ_E_NS1_11comp_targetILNS1_3genE3ELNS1_11target_archE908ELNS1_3gpuE7ELNS1_3repE0EEENS1_47radix_sort_onesweep_sort_config_static_selectorELNS0_4arch9wavefront6targetE0EEEvSG_ ; -- Begin function _ZN7rocprim17ROCPRIM_400000_NS6detail17trampoline_kernelINS0_14default_configENS1_35radix_sort_onesweep_config_selectorItNS0_10empty_typeEEEZZNS1_29radix_sort_onesweep_iterationIS3_Lb0EPKtPtPS5_SB_mNS0_19identity_decomposerENS1_16block_id_wrapperIjLb1EEEEE10hipError_tT1_PNSt15iterator_traitsISG_E10value_typeET2_T3_PNSH_ISM_E10value_typeET4_T5_PSR_SS_PNS1_23onesweep_lookback_stateEbbT6_jjT7_P12ihipStream_tbENKUlT_T0_SG_SL_E_clISA_SA_SB_SB_EEDaSZ_S10_SG_SL_EUlSZ_E_NS1_11comp_targetILNS1_3genE3ELNS1_11target_archE908ELNS1_3gpuE7ELNS1_3repE0EEENS1_47radix_sort_onesweep_sort_config_static_selectorELNS0_4arch9wavefront6targetE0EEEvSG_
	.globl	_ZN7rocprim17ROCPRIM_400000_NS6detail17trampoline_kernelINS0_14default_configENS1_35radix_sort_onesweep_config_selectorItNS0_10empty_typeEEEZZNS1_29radix_sort_onesweep_iterationIS3_Lb0EPKtPtPS5_SB_mNS0_19identity_decomposerENS1_16block_id_wrapperIjLb1EEEEE10hipError_tT1_PNSt15iterator_traitsISG_E10value_typeET2_T3_PNSH_ISM_E10value_typeET4_T5_PSR_SS_PNS1_23onesweep_lookback_stateEbbT6_jjT7_P12ihipStream_tbENKUlT_T0_SG_SL_E_clISA_SA_SB_SB_EEDaSZ_S10_SG_SL_EUlSZ_E_NS1_11comp_targetILNS1_3genE3ELNS1_11target_archE908ELNS1_3gpuE7ELNS1_3repE0EEENS1_47radix_sort_onesweep_sort_config_static_selectorELNS0_4arch9wavefront6targetE0EEEvSG_
	.p2align	8
	.type	_ZN7rocprim17ROCPRIM_400000_NS6detail17trampoline_kernelINS0_14default_configENS1_35radix_sort_onesweep_config_selectorItNS0_10empty_typeEEEZZNS1_29radix_sort_onesweep_iterationIS3_Lb0EPKtPtPS5_SB_mNS0_19identity_decomposerENS1_16block_id_wrapperIjLb1EEEEE10hipError_tT1_PNSt15iterator_traitsISG_E10value_typeET2_T3_PNSH_ISM_E10value_typeET4_T5_PSR_SS_PNS1_23onesweep_lookback_stateEbbT6_jjT7_P12ihipStream_tbENKUlT_T0_SG_SL_E_clISA_SA_SB_SB_EEDaSZ_S10_SG_SL_EUlSZ_E_NS1_11comp_targetILNS1_3genE3ELNS1_11target_archE908ELNS1_3gpuE7ELNS1_3repE0EEENS1_47radix_sort_onesweep_sort_config_static_selectorELNS0_4arch9wavefront6targetE0EEEvSG_,@function
_ZN7rocprim17ROCPRIM_400000_NS6detail17trampoline_kernelINS0_14default_configENS1_35radix_sort_onesweep_config_selectorItNS0_10empty_typeEEEZZNS1_29radix_sort_onesweep_iterationIS3_Lb0EPKtPtPS5_SB_mNS0_19identity_decomposerENS1_16block_id_wrapperIjLb1EEEEE10hipError_tT1_PNSt15iterator_traitsISG_E10value_typeET2_T3_PNSH_ISM_E10value_typeET4_T5_PSR_SS_PNS1_23onesweep_lookback_stateEbbT6_jjT7_P12ihipStream_tbENKUlT_T0_SG_SL_E_clISA_SA_SB_SB_EEDaSZ_S10_SG_SL_EUlSZ_E_NS1_11comp_targetILNS1_3genE3ELNS1_11target_archE908ELNS1_3gpuE7ELNS1_3repE0EEENS1_47radix_sort_onesweep_sort_config_static_selectorELNS0_4arch9wavefront6targetE0EEEvSG_: ; @_ZN7rocprim17ROCPRIM_400000_NS6detail17trampoline_kernelINS0_14default_configENS1_35radix_sort_onesweep_config_selectorItNS0_10empty_typeEEEZZNS1_29radix_sort_onesweep_iterationIS3_Lb0EPKtPtPS5_SB_mNS0_19identity_decomposerENS1_16block_id_wrapperIjLb1EEEEE10hipError_tT1_PNSt15iterator_traitsISG_E10value_typeET2_T3_PNSH_ISM_E10value_typeET4_T5_PSR_SS_PNS1_23onesweep_lookback_stateEbbT6_jjT7_P12ihipStream_tbENKUlT_T0_SG_SL_E_clISA_SA_SB_SB_EEDaSZ_S10_SG_SL_EUlSZ_E_NS1_11comp_targetILNS1_3genE3ELNS1_11target_archE908ELNS1_3gpuE7ELNS1_3repE0EEENS1_47radix_sort_onesweep_sort_config_static_selectorELNS0_4arch9wavefront6targetE0EEEvSG_
; %bb.0:
	.section	.rodata,"a",@progbits
	.p2align	6, 0x0
	.amdhsa_kernel _ZN7rocprim17ROCPRIM_400000_NS6detail17trampoline_kernelINS0_14default_configENS1_35radix_sort_onesweep_config_selectorItNS0_10empty_typeEEEZZNS1_29radix_sort_onesweep_iterationIS3_Lb0EPKtPtPS5_SB_mNS0_19identity_decomposerENS1_16block_id_wrapperIjLb1EEEEE10hipError_tT1_PNSt15iterator_traitsISG_E10value_typeET2_T3_PNSH_ISM_E10value_typeET4_T5_PSR_SS_PNS1_23onesweep_lookback_stateEbbT6_jjT7_P12ihipStream_tbENKUlT_T0_SG_SL_E_clISA_SA_SB_SB_EEDaSZ_S10_SG_SL_EUlSZ_E_NS1_11comp_targetILNS1_3genE3ELNS1_11target_archE908ELNS1_3gpuE7ELNS1_3repE0EEENS1_47radix_sort_onesweep_sort_config_static_selectorELNS0_4arch9wavefront6targetE0EEEvSG_
		.amdhsa_group_segment_fixed_size 0
		.amdhsa_private_segment_fixed_size 0
		.amdhsa_kernarg_size 88
		.amdhsa_user_sgpr_count 2
		.amdhsa_user_sgpr_dispatch_ptr 0
		.amdhsa_user_sgpr_queue_ptr 0
		.amdhsa_user_sgpr_kernarg_segment_ptr 1
		.amdhsa_user_sgpr_dispatch_id 0
		.amdhsa_user_sgpr_kernarg_preload_length 0
		.amdhsa_user_sgpr_kernarg_preload_offset 0
		.amdhsa_user_sgpr_private_segment_size 0
		.amdhsa_wavefront_size32 1
		.amdhsa_uses_dynamic_stack 0
		.amdhsa_enable_private_segment 0
		.amdhsa_system_sgpr_workgroup_id_x 1
		.amdhsa_system_sgpr_workgroup_id_y 0
		.amdhsa_system_sgpr_workgroup_id_z 0
		.amdhsa_system_sgpr_workgroup_info 0
		.amdhsa_system_vgpr_workitem_id 0
		.amdhsa_next_free_vgpr 1
		.amdhsa_next_free_sgpr 1
		.amdhsa_named_barrier_count 0
		.amdhsa_reserve_vcc 0
		.amdhsa_float_round_mode_32 0
		.amdhsa_float_round_mode_16_64 0
		.amdhsa_float_denorm_mode_32 3
		.amdhsa_float_denorm_mode_16_64 3
		.amdhsa_fp16_overflow 0
		.amdhsa_memory_ordered 1
		.amdhsa_forward_progress 1
		.amdhsa_inst_pref_size 0
		.amdhsa_round_robin_scheduling 0
		.amdhsa_exception_fp_ieee_invalid_op 0
		.amdhsa_exception_fp_denorm_src 0
		.amdhsa_exception_fp_ieee_div_zero 0
		.amdhsa_exception_fp_ieee_overflow 0
		.amdhsa_exception_fp_ieee_underflow 0
		.amdhsa_exception_fp_ieee_inexact 0
		.amdhsa_exception_int_div_zero 0
	.end_amdhsa_kernel
	.section	.text._ZN7rocprim17ROCPRIM_400000_NS6detail17trampoline_kernelINS0_14default_configENS1_35radix_sort_onesweep_config_selectorItNS0_10empty_typeEEEZZNS1_29radix_sort_onesweep_iterationIS3_Lb0EPKtPtPS5_SB_mNS0_19identity_decomposerENS1_16block_id_wrapperIjLb1EEEEE10hipError_tT1_PNSt15iterator_traitsISG_E10value_typeET2_T3_PNSH_ISM_E10value_typeET4_T5_PSR_SS_PNS1_23onesweep_lookback_stateEbbT6_jjT7_P12ihipStream_tbENKUlT_T0_SG_SL_E_clISA_SA_SB_SB_EEDaSZ_S10_SG_SL_EUlSZ_E_NS1_11comp_targetILNS1_3genE3ELNS1_11target_archE908ELNS1_3gpuE7ELNS1_3repE0EEENS1_47radix_sort_onesweep_sort_config_static_selectorELNS0_4arch9wavefront6targetE0EEEvSG_,"axG",@progbits,_ZN7rocprim17ROCPRIM_400000_NS6detail17trampoline_kernelINS0_14default_configENS1_35radix_sort_onesweep_config_selectorItNS0_10empty_typeEEEZZNS1_29radix_sort_onesweep_iterationIS3_Lb0EPKtPtPS5_SB_mNS0_19identity_decomposerENS1_16block_id_wrapperIjLb1EEEEE10hipError_tT1_PNSt15iterator_traitsISG_E10value_typeET2_T3_PNSH_ISM_E10value_typeET4_T5_PSR_SS_PNS1_23onesweep_lookback_stateEbbT6_jjT7_P12ihipStream_tbENKUlT_T0_SG_SL_E_clISA_SA_SB_SB_EEDaSZ_S10_SG_SL_EUlSZ_E_NS1_11comp_targetILNS1_3genE3ELNS1_11target_archE908ELNS1_3gpuE7ELNS1_3repE0EEENS1_47radix_sort_onesweep_sort_config_static_selectorELNS0_4arch9wavefront6targetE0EEEvSG_,comdat
.Lfunc_end2511:
	.size	_ZN7rocprim17ROCPRIM_400000_NS6detail17trampoline_kernelINS0_14default_configENS1_35radix_sort_onesweep_config_selectorItNS0_10empty_typeEEEZZNS1_29radix_sort_onesweep_iterationIS3_Lb0EPKtPtPS5_SB_mNS0_19identity_decomposerENS1_16block_id_wrapperIjLb1EEEEE10hipError_tT1_PNSt15iterator_traitsISG_E10value_typeET2_T3_PNSH_ISM_E10value_typeET4_T5_PSR_SS_PNS1_23onesweep_lookback_stateEbbT6_jjT7_P12ihipStream_tbENKUlT_T0_SG_SL_E_clISA_SA_SB_SB_EEDaSZ_S10_SG_SL_EUlSZ_E_NS1_11comp_targetILNS1_3genE3ELNS1_11target_archE908ELNS1_3gpuE7ELNS1_3repE0EEENS1_47radix_sort_onesweep_sort_config_static_selectorELNS0_4arch9wavefront6targetE0EEEvSG_, .Lfunc_end2511-_ZN7rocprim17ROCPRIM_400000_NS6detail17trampoline_kernelINS0_14default_configENS1_35radix_sort_onesweep_config_selectorItNS0_10empty_typeEEEZZNS1_29radix_sort_onesweep_iterationIS3_Lb0EPKtPtPS5_SB_mNS0_19identity_decomposerENS1_16block_id_wrapperIjLb1EEEEE10hipError_tT1_PNSt15iterator_traitsISG_E10value_typeET2_T3_PNSH_ISM_E10value_typeET4_T5_PSR_SS_PNS1_23onesweep_lookback_stateEbbT6_jjT7_P12ihipStream_tbENKUlT_T0_SG_SL_E_clISA_SA_SB_SB_EEDaSZ_S10_SG_SL_EUlSZ_E_NS1_11comp_targetILNS1_3genE3ELNS1_11target_archE908ELNS1_3gpuE7ELNS1_3repE0EEENS1_47radix_sort_onesweep_sort_config_static_selectorELNS0_4arch9wavefront6targetE0EEEvSG_
                                        ; -- End function
	.set _ZN7rocprim17ROCPRIM_400000_NS6detail17trampoline_kernelINS0_14default_configENS1_35radix_sort_onesweep_config_selectorItNS0_10empty_typeEEEZZNS1_29radix_sort_onesweep_iterationIS3_Lb0EPKtPtPS5_SB_mNS0_19identity_decomposerENS1_16block_id_wrapperIjLb1EEEEE10hipError_tT1_PNSt15iterator_traitsISG_E10value_typeET2_T3_PNSH_ISM_E10value_typeET4_T5_PSR_SS_PNS1_23onesweep_lookback_stateEbbT6_jjT7_P12ihipStream_tbENKUlT_T0_SG_SL_E_clISA_SA_SB_SB_EEDaSZ_S10_SG_SL_EUlSZ_E_NS1_11comp_targetILNS1_3genE3ELNS1_11target_archE908ELNS1_3gpuE7ELNS1_3repE0EEENS1_47radix_sort_onesweep_sort_config_static_selectorELNS0_4arch9wavefront6targetE0EEEvSG_.num_vgpr, 0
	.set _ZN7rocprim17ROCPRIM_400000_NS6detail17trampoline_kernelINS0_14default_configENS1_35radix_sort_onesweep_config_selectorItNS0_10empty_typeEEEZZNS1_29radix_sort_onesweep_iterationIS3_Lb0EPKtPtPS5_SB_mNS0_19identity_decomposerENS1_16block_id_wrapperIjLb1EEEEE10hipError_tT1_PNSt15iterator_traitsISG_E10value_typeET2_T3_PNSH_ISM_E10value_typeET4_T5_PSR_SS_PNS1_23onesweep_lookback_stateEbbT6_jjT7_P12ihipStream_tbENKUlT_T0_SG_SL_E_clISA_SA_SB_SB_EEDaSZ_S10_SG_SL_EUlSZ_E_NS1_11comp_targetILNS1_3genE3ELNS1_11target_archE908ELNS1_3gpuE7ELNS1_3repE0EEENS1_47radix_sort_onesweep_sort_config_static_selectorELNS0_4arch9wavefront6targetE0EEEvSG_.num_agpr, 0
	.set _ZN7rocprim17ROCPRIM_400000_NS6detail17trampoline_kernelINS0_14default_configENS1_35radix_sort_onesweep_config_selectorItNS0_10empty_typeEEEZZNS1_29radix_sort_onesweep_iterationIS3_Lb0EPKtPtPS5_SB_mNS0_19identity_decomposerENS1_16block_id_wrapperIjLb1EEEEE10hipError_tT1_PNSt15iterator_traitsISG_E10value_typeET2_T3_PNSH_ISM_E10value_typeET4_T5_PSR_SS_PNS1_23onesweep_lookback_stateEbbT6_jjT7_P12ihipStream_tbENKUlT_T0_SG_SL_E_clISA_SA_SB_SB_EEDaSZ_S10_SG_SL_EUlSZ_E_NS1_11comp_targetILNS1_3genE3ELNS1_11target_archE908ELNS1_3gpuE7ELNS1_3repE0EEENS1_47radix_sort_onesweep_sort_config_static_selectorELNS0_4arch9wavefront6targetE0EEEvSG_.numbered_sgpr, 0
	.set _ZN7rocprim17ROCPRIM_400000_NS6detail17trampoline_kernelINS0_14default_configENS1_35radix_sort_onesweep_config_selectorItNS0_10empty_typeEEEZZNS1_29radix_sort_onesweep_iterationIS3_Lb0EPKtPtPS5_SB_mNS0_19identity_decomposerENS1_16block_id_wrapperIjLb1EEEEE10hipError_tT1_PNSt15iterator_traitsISG_E10value_typeET2_T3_PNSH_ISM_E10value_typeET4_T5_PSR_SS_PNS1_23onesweep_lookback_stateEbbT6_jjT7_P12ihipStream_tbENKUlT_T0_SG_SL_E_clISA_SA_SB_SB_EEDaSZ_S10_SG_SL_EUlSZ_E_NS1_11comp_targetILNS1_3genE3ELNS1_11target_archE908ELNS1_3gpuE7ELNS1_3repE0EEENS1_47radix_sort_onesweep_sort_config_static_selectorELNS0_4arch9wavefront6targetE0EEEvSG_.num_named_barrier, 0
	.set _ZN7rocprim17ROCPRIM_400000_NS6detail17trampoline_kernelINS0_14default_configENS1_35radix_sort_onesweep_config_selectorItNS0_10empty_typeEEEZZNS1_29radix_sort_onesweep_iterationIS3_Lb0EPKtPtPS5_SB_mNS0_19identity_decomposerENS1_16block_id_wrapperIjLb1EEEEE10hipError_tT1_PNSt15iterator_traitsISG_E10value_typeET2_T3_PNSH_ISM_E10value_typeET4_T5_PSR_SS_PNS1_23onesweep_lookback_stateEbbT6_jjT7_P12ihipStream_tbENKUlT_T0_SG_SL_E_clISA_SA_SB_SB_EEDaSZ_S10_SG_SL_EUlSZ_E_NS1_11comp_targetILNS1_3genE3ELNS1_11target_archE908ELNS1_3gpuE7ELNS1_3repE0EEENS1_47radix_sort_onesweep_sort_config_static_selectorELNS0_4arch9wavefront6targetE0EEEvSG_.private_seg_size, 0
	.set _ZN7rocprim17ROCPRIM_400000_NS6detail17trampoline_kernelINS0_14default_configENS1_35radix_sort_onesweep_config_selectorItNS0_10empty_typeEEEZZNS1_29radix_sort_onesweep_iterationIS3_Lb0EPKtPtPS5_SB_mNS0_19identity_decomposerENS1_16block_id_wrapperIjLb1EEEEE10hipError_tT1_PNSt15iterator_traitsISG_E10value_typeET2_T3_PNSH_ISM_E10value_typeET4_T5_PSR_SS_PNS1_23onesweep_lookback_stateEbbT6_jjT7_P12ihipStream_tbENKUlT_T0_SG_SL_E_clISA_SA_SB_SB_EEDaSZ_S10_SG_SL_EUlSZ_E_NS1_11comp_targetILNS1_3genE3ELNS1_11target_archE908ELNS1_3gpuE7ELNS1_3repE0EEENS1_47radix_sort_onesweep_sort_config_static_selectorELNS0_4arch9wavefront6targetE0EEEvSG_.uses_vcc, 0
	.set _ZN7rocprim17ROCPRIM_400000_NS6detail17trampoline_kernelINS0_14default_configENS1_35radix_sort_onesweep_config_selectorItNS0_10empty_typeEEEZZNS1_29radix_sort_onesweep_iterationIS3_Lb0EPKtPtPS5_SB_mNS0_19identity_decomposerENS1_16block_id_wrapperIjLb1EEEEE10hipError_tT1_PNSt15iterator_traitsISG_E10value_typeET2_T3_PNSH_ISM_E10value_typeET4_T5_PSR_SS_PNS1_23onesweep_lookback_stateEbbT6_jjT7_P12ihipStream_tbENKUlT_T0_SG_SL_E_clISA_SA_SB_SB_EEDaSZ_S10_SG_SL_EUlSZ_E_NS1_11comp_targetILNS1_3genE3ELNS1_11target_archE908ELNS1_3gpuE7ELNS1_3repE0EEENS1_47radix_sort_onesweep_sort_config_static_selectorELNS0_4arch9wavefront6targetE0EEEvSG_.uses_flat_scratch, 0
	.set _ZN7rocprim17ROCPRIM_400000_NS6detail17trampoline_kernelINS0_14default_configENS1_35radix_sort_onesweep_config_selectorItNS0_10empty_typeEEEZZNS1_29radix_sort_onesweep_iterationIS3_Lb0EPKtPtPS5_SB_mNS0_19identity_decomposerENS1_16block_id_wrapperIjLb1EEEEE10hipError_tT1_PNSt15iterator_traitsISG_E10value_typeET2_T3_PNSH_ISM_E10value_typeET4_T5_PSR_SS_PNS1_23onesweep_lookback_stateEbbT6_jjT7_P12ihipStream_tbENKUlT_T0_SG_SL_E_clISA_SA_SB_SB_EEDaSZ_S10_SG_SL_EUlSZ_E_NS1_11comp_targetILNS1_3genE3ELNS1_11target_archE908ELNS1_3gpuE7ELNS1_3repE0EEENS1_47radix_sort_onesweep_sort_config_static_selectorELNS0_4arch9wavefront6targetE0EEEvSG_.has_dyn_sized_stack, 0
	.set _ZN7rocprim17ROCPRIM_400000_NS6detail17trampoline_kernelINS0_14default_configENS1_35radix_sort_onesweep_config_selectorItNS0_10empty_typeEEEZZNS1_29radix_sort_onesweep_iterationIS3_Lb0EPKtPtPS5_SB_mNS0_19identity_decomposerENS1_16block_id_wrapperIjLb1EEEEE10hipError_tT1_PNSt15iterator_traitsISG_E10value_typeET2_T3_PNSH_ISM_E10value_typeET4_T5_PSR_SS_PNS1_23onesweep_lookback_stateEbbT6_jjT7_P12ihipStream_tbENKUlT_T0_SG_SL_E_clISA_SA_SB_SB_EEDaSZ_S10_SG_SL_EUlSZ_E_NS1_11comp_targetILNS1_3genE3ELNS1_11target_archE908ELNS1_3gpuE7ELNS1_3repE0EEENS1_47radix_sort_onesweep_sort_config_static_selectorELNS0_4arch9wavefront6targetE0EEEvSG_.has_recursion, 0
	.set _ZN7rocprim17ROCPRIM_400000_NS6detail17trampoline_kernelINS0_14default_configENS1_35radix_sort_onesweep_config_selectorItNS0_10empty_typeEEEZZNS1_29radix_sort_onesweep_iterationIS3_Lb0EPKtPtPS5_SB_mNS0_19identity_decomposerENS1_16block_id_wrapperIjLb1EEEEE10hipError_tT1_PNSt15iterator_traitsISG_E10value_typeET2_T3_PNSH_ISM_E10value_typeET4_T5_PSR_SS_PNS1_23onesweep_lookback_stateEbbT6_jjT7_P12ihipStream_tbENKUlT_T0_SG_SL_E_clISA_SA_SB_SB_EEDaSZ_S10_SG_SL_EUlSZ_E_NS1_11comp_targetILNS1_3genE3ELNS1_11target_archE908ELNS1_3gpuE7ELNS1_3repE0EEENS1_47radix_sort_onesweep_sort_config_static_selectorELNS0_4arch9wavefront6targetE0EEEvSG_.has_indirect_call, 0
	.section	.AMDGPU.csdata,"",@progbits
; Kernel info:
; codeLenInByte = 0
; TotalNumSgprs: 0
; NumVgprs: 0
; ScratchSize: 0
; MemoryBound: 0
; FloatMode: 240
; IeeeMode: 1
; LDSByteSize: 0 bytes/workgroup (compile time only)
; SGPRBlocks: 0
; VGPRBlocks: 0
; NumSGPRsForWavesPerEU: 1
; NumVGPRsForWavesPerEU: 1
; NamedBarCnt: 0
; Occupancy: 16
; WaveLimiterHint : 0
; COMPUTE_PGM_RSRC2:SCRATCH_EN: 0
; COMPUTE_PGM_RSRC2:USER_SGPR: 2
; COMPUTE_PGM_RSRC2:TRAP_HANDLER: 0
; COMPUTE_PGM_RSRC2:TGID_X_EN: 1
; COMPUTE_PGM_RSRC2:TGID_Y_EN: 0
; COMPUTE_PGM_RSRC2:TGID_Z_EN: 0
; COMPUTE_PGM_RSRC2:TIDIG_COMP_CNT: 0
	.section	.text._ZN7rocprim17ROCPRIM_400000_NS6detail17trampoline_kernelINS0_14default_configENS1_35radix_sort_onesweep_config_selectorItNS0_10empty_typeEEEZZNS1_29radix_sort_onesweep_iterationIS3_Lb0EPKtPtPS5_SB_mNS0_19identity_decomposerENS1_16block_id_wrapperIjLb1EEEEE10hipError_tT1_PNSt15iterator_traitsISG_E10value_typeET2_T3_PNSH_ISM_E10value_typeET4_T5_PSR_SS_PNS1_23onesweep_lookback_stateEbbT6_jjT7_P12ihipStream_tbENKUlT_T0_SG_SL_E_clISA_SA_SB_SB_EEDaSZ_S10_SG_SL_EUlSZ_E_NS1_11comp_targetILNS1_3genE10ELNS1_11target_archE1201ELNS1_3gpuE5ELNS1_3repE0EEENS1_47radix_sort_onesweep_sort_config_static_selectorELNS0_4arch9wavefront6targetE0EEEvSG_,"axG",@progbits,_ZN7rocprim17ROCPRIM_400000_NS6detail17trampoline_kernelINS0_14default_configENS1_35radix_sort_onesweep_config_selectorItNS0_10empty_typeEEEZZNS1_29radix_sort_onesweep_iterationIS3_Lb0EPKtPtPS5_SB_mNS0_19identity_decomposerENS1_16block_id_wrapperIjLb1EEEEE10hipError_tT1_PNSt15iterator_traitsISG_E10value_typeET2_T3_PNSH_ISM_E10value_typeET4_T5_PSR_SS_PNS1_23onesweep_lookback_stateEbbT6_jjT7_P12ihipStream_tbENKUlT_T0_SG_SL_E_clISA_SA_SB_SB_EEDaSZ_S10_SG_SL_EUlSZ_E_NS1_11comp_targetILNS1_3genE10ELNS1_11target_archE1201ELNS1_3gpuE5ELNS1_3repE0EEENS1_47radix_sort_onesweep_sort_config_static_selectorELNS0_4arch9wavefront6targetE0EEEvSG_,comdat
	.protected	_ZN7rocprim17ROCPRIM_400000_NS6detail17trampoline_kernelINS0_14default_configENS1_35radix_sort_onesweep_config_selectorItNS0_10empty_typeEEEZZNS1_29radix_sort_onesweep_iterationIS3_Lb0EPKtPtPS5_SB_mNS0_19identity_decomposerENS1_16block_id_wrapperIjLb1EEEEE10hipError_tT1_PNSt15iterator_traitsISG_E10value_typeET2_T3_PNSH_ISM_E10value_typeET4_T5_PSR_SS_PNS1_23onesweep_lookback_stateEbbT6_jjT7_P12ihipStream_tbENKUlT_T0_SG_SL_E_clISA_SA_SB_SB_EEDaSZ_S10_SG_SL_EUlSZ_E_NS1_11comp_targetILNS1_3genE10ELNS1_11target_archE1201ELNS1_3gpuE5ELNS1_3repE0EEENS1_47radix_sort_onesweep_sort_config_static_selectorELNS0_4arch9wavefront6targetE0EEEvSG_ ; -- Begin function _ZN7rocprim17ROCPRIM_400000_NS6detail17trampoline_kernelINS0_14default_configENS1_35radix_sort_onesweep_config_selectorItNS0_10empty_typeEEEZZNS1_29radix_sort_onesweep_iterationIS3_Lb0EPKtPtPS5_SB_mNS0_19identity_decomposerENS1_16block_id_wrapperIjLb1EEEEE10hipError_tT1_PNSt15iterator_traitsISG_E10value_typeET2_T3_PNSH_ISM_E10value_typeET4_T5_PSR_SS_PNS1_23onesweep_lookback_stateEbbT6_jjT7_P12ihipStream_tbENKUlT_T0_SG_SL_E_clISA_SA_SB_SB_EEDaSZ_S10_SG_SL_EUlSZ_E_NS1_11comp_targetILNS1_3genE10ELNS1_11target_archE1201ELNS1_3gpuE5ELNS1_3repE0EEENS1_47radix_sort_onesweep_sort_config_static_selectorELNS0_4arch9wavefront6targetE0EEEvSG_
	.globl	_ZN7rocprim17ROCPRIM_400000_NS6detail17trampoline_kernelINS0_14default_configENS1_35radix_sort_onesweep_config_selectorItNS0_10empty_typeEEEZZNS1_29radix_sort_onesweep_iterationIS3_Lb0EPKtPtPS5_SB_mNS0_19identity_decomposerENS1_16block_id_wrapperIjLb1EEEEE10hipError_tT1_PNSt15iterator_traitsISG_E10value_typeET2_T3_PNSH_ISM_E10value_typeET4_T5_PSR_SS_PNS1_23onesweep_lookback_stateEbbT6_jjT7_P12ihipStream_tbENKUlT_T0_SG_SL_E_clISA_SA_SB_SB_EEDaSZ_S10_SG_SL_EUlSZ_E_NS1_11comp_targetILNS1_3genE10ELNS1_11target_archE1201ELNS1_3gpuE5ELNS1_3repE0EEENS1_47radix_sort_onesweep_sort_config_static_selectorELNS0_4arch9wavefront6targetE0EEEvSG_
	.p2align	8
	.type	_ZN7rocprim17ROCPRIM_400000_NS6detail17trampoline_kernelINS0_14default_configENS1_35radix_sort_onesweep_config_selectorItNS0_10empty_typeEEEZZNS1_29radix_sort_onesweep_iterationIS3_Lb0EPKtPtPS5_SB_mNS0_19identity_decomposerENS1_16block_id_wrapperIjLb1EEEEE10hipError_tT1_PNSt15iterator_traitsISG_E10value_typeET2_T3_PNSH_ISM_E10value_typeET4_T5_PSR_SS_PNS1_23onesweep_lookback_stateEbbT6_jjT7_P12ihipStream_tbENKUlT_T0_SG_SL_E_clISA_SA_SB_SB_EEDaSZ_S10_SG_SL_EUlSZ_E_NS1_11comp_targetILNS1_3genE10ELNS1_11target_archE1201ELNS1_3gpuE5ELNS1_3repE0EEENS1_47radix_sort_onesweep_sort_config_static_selectorELNS0_4arch9wavefront6targetE0EEEvSG_,@function
_ZN7rocprim17ROCPRIM_400000_NS6detail17trampoline_kernelINS0_14default_configENS1_35radix_sort_onesweep_config_selectorItNS0_10empty_typeEEEZZNS1_29radix_sort_onesweep_iterationIS3_Lb0EPKtPtPS5_SB_mNS0_19identity_decomposerENS1_16block_id_wrapperIjLb1EEEEE10hipError_tT1_PNSt15iterator_traitsISG_E10value_typeET2_T3_PNSH_ISM_E10value_typeET4_T5_PSR_SS_PNS1_23onesweep_lookback_stateEbbT6_jjT7_P12ihipStream_tbENKUlT_T0_SG_SL_E_clISA_SA_SB_SB_EEDaSZ_S10_SG_SL_EUlSZ_E_NS1_11comp_targetILNS1_3genE10ELNS1_11target_archE1201ELNS1_3gpuE5ELNS1_3repE0EEENS1_47radix_sort_onesweep_sort_config_static_selectorELNS0_4arch9wavefront6targetE0EEEvSG_: ; @_ZN7rocprim17ROCPRIM_400000_NS6detail17trampoline_kernelINS0_14default_configENS1_35radix_sort_onesweep_config_selectorItNS0_10empty_typeEEEZZNS1_29radix_sort_onesweep_iterationIS3_Lb0EPKtPtPS5_SB_mNS0_19identity_decomposerENS1_16block_id_wrapperIjLb1EEEEE10hipError_tT1_PNSt15iterator_traitsISG_E10value_typeET2_T3_PNSH_ISM_E10value_typeET4_T5_PSR_SS_PNS1_23onesweep_lookback_stateEbbT6_jjT7_P12ihipStream_tbENKUlT_T0_SG_SL_E_clISA_SA_SB_SB_EEDaSZ_S10_SG_SL_EUlSZ_E_NS1_11comp_targetILNS1_3genE10ELNS1_11target_archE1201ELNS1_3gpuE5ELNS1_3repE0EEENS1_47radix_sort_onesweep_sort_config_static_selectorELNS0_4arch9wavefront6targetE0EEEvSG_
; %bb.0:
	.section	.rodata,"a",@progbits
	.p2align	6, 0x0
	.amdhsa_kernel _ZN7rocprim17ROCPRIM_400000_NS6detail17trampoline_kernelINS0_14default_configENS1_35radix_sort_onesweep_config_selectorItNS0_10empty_typeEEEZZNS1_29radix_sort_onesweep_iterationIS3_Lb0EPKtPtPS5_SB_mNS0_19identity_decomposerENS1_16block_id_wrapperIjLb1EEEEE10hipError_tT1_PNSt15iterator_traitsISG_E10value_typeET2_T3_PNSH_ISM_E10value_typeET4_T5_PSR_SS_PNS1_23onesweep_lookback_stateEbbT6_jjT7_P12ihipStream_tbENKUlT_T0_SG_SL_E_clISA_SA_SB_SB_EEDaSZ_S10_SG_SL_EUlSZ_E_NS1_11comp_targetILNS1_3genE10ELNS1_11target_archE1201ELNS1_3gpuE5ELNS1_3repE0EEENS1_47radix_sort_onesweep_sort_config_static_selectorELNS0_4arch9wavefront6targetE0EEEvSG_
		.amdhsa_group_segment_fixed_size 0
		.amdhsa_private_segment_fixed_size 0
		.amdhsa_kernarg_size 88
		.amdhsa_user_sgpr_count 2
		.amdhsa_user_sgpr_dispatch_ptr 0
		.amdhsa_user_sgpr_queue_ptr 0
		.amdhsa_user_sgpr_kernarg_segment_ptr 1
		.amdhsa_user_sgpr_dispatch_id 0
		.amdhsa_user_sgpr_kernarg_preload_length 0
		.amdhsa_user_sgpr_kernarg_preload_offset 0
		.amdhsa_user_sgpr_private_segment_size 0
		.amdhsa_wavefront_size32 1
		.amdhsa_uses_dynamic_stack 0
		.amdhsa_enable_private_segment 0
		.amdhsa_system_sgpr_workgroup_id_x 1
		.amdhsa_system_sgpr_workgroup_id_y 0
		.amdhsa_system_sgpr_workgroup_id_z 0
		.amdhsa_system_sgpr_workgroup_info 0
		.amdhsa_system_vgpr_workitem_id 0
		.amdhsa_next_free_vgpr 1
		.amdhsa_next_free_sgpr 1
		.amdhsa_named_barrier_count 0
		.amdhsa_reserve_vcc 0
		.amdhsa_float_round_mode_32 0
		.amdhsa_float_round_mode_16_64 0
		.amdhsa_float_denorm_mode_32 3
		.amdhsa_float_denorm_mode_16_64 3
		.amdhsa_fp16_overflow 0
		.amdhsa_memory_ordered 1
		.amdhsa_forward_progress 1
		.amdhsa_inst_pref_size 0
		.amdhsa_round_robin_scheduling 0
		.amdhsa_exception_fp_ieee_invalid_op 0
		.amdhsa_exception_fp_denorm_src 0
		.amdhsa_exception_fp_ieee_div_zero 0
		.amdhsa_exception_fp_ieee_overflow 0
		.amdhsa_exception_fp_ieee_underflow 0
		.amdhsa_exception_fp_ieee_inexact 0
		.amdhsa_exception_int_div_zero 0
	.end_amdhsa_kernel
	.section	.text._ZN7rocprim17ROCPRIM_400000_NS6detail17trampoline_kernelINS0_14default_configENS1_35radix_sort_onesweep_config_selectorItNS0_10empty_typeEEEZZNS1_29radix_sort_onesweep_iterationIS3_Lb0EPKtPtPS5_SB_mNS0_19identity_decomposerENS1_16block_id_wrapperIjLb1EEEEE10hipError_tT1_PNSt15iterator_traitsISG_E10value_typeET2_T3_PNSH_ISM_E10value_typeET4_T5_PSR_SS_PNS1_23onesweep_lookback_stateEbbT6_jjT7_P12ihipStream_tbENKUlT_T0_SG_SL_E_clISA_SA_SB_SB_EEDaSZ_S10_SG_SL_EUlSZ_E_NS1_11comp_targetILNS1_3genE10ELNS1_11target_archE1201ELNS1_3gpuE5ELNS1_3repE0EEENS1_47radix_sort_onesweep_sort_config_static_selectorELNS0_4arch9wavefront6targetE0EEEvSG_,"axG",@progbits,_ZN7rocprim17ROCPRIM_400000_NS6detail17trampoline_kernelINS0_14default_configENS1_35radix_sort_onesweep_config_selectorItNS0_10empty_typeEEEZZNS1_29radix_sort_onesweep_iterationIS3_Lb0EPKtPtPS5_SB_mNS0_19identity_decomposerENS1_16block_id_wrapperIjLb1EEEEE10hipError_tT1_PNSt15iterator_traitsISG_E10value_typeET2_T3_PNSH_ISM_E10value_typeET4_T5_PSR_SS_PNS1_23onesweep_lookback_stateEbbT6_jjT7_P12ihipStream_tbENKUlT_T0_SG_SL_E_clISA_SA_SB_SB_EEDaSZ_S10_SG_SL_EUlSZ_E_NS1_11comp_targetILNS1_3genE10ELNS1_11target_archE1201ELNS1_3gpuE5ELNS1_3repE0EEENS1_47radix_sort_onesweep_sort_config_static_selectorELNS0_4arch9wavefront6targetE0EEEvSG_,comdat
.Lfunc_end2512:
	.size	_ZN7rocprim17ROCPRIM_400000_NS6detail17trampoline_kernelINS0_14default_configENS1_35radix_sort_onesweep_config_selectorItNS0_10empty_typeEEEZZNS1_29radix_sort_onesweep_iterationIS3_Lb0EPKtPtPS5_SB_mNS0_19identity_decomposerENS1_16block_id_wrapperIjLb1EEEEE10hipError_tT1_PNSt15iterator_traitsISG_E10value_typeET2_T3_PNSH_ISM_E10value_typeET4_T5_PSR_SS_PNS1_23onesweep_lookback_stateEbbT6_jjT7_P12ihipStream_tbENKUlT_T0_SG_SL_E_clISA_SA_SB_SB_EEDaSZ_S10_SG_SL_EUlSZ_E_NS1_11comp_targetILNS1_3genE10ELNS1_11target_archE1201ELNS1_3gpuE5ELNS1_3repE0EEENS1_47radix_sort_onesweep_sort_config_static_selectorELNS0_4arch9wavefront6targetE0EEEvSG_, .Lfunc_end2512-_ZN7rocprim17ROCPRIM_400000_NS6detail17trampoline_kernelINS0_14default_configENS1_35radix_sort_onesweep_config_selectorItNS0_10empty_typeEEEZZNS1_29radix_sort_onesweep_iterationIS3_Lb0EPKtPtPS5_SB_mNS0_19identity_decomposerENS1_16block_id_wrapperIjLb1EEEEE10hipError_tT1_PNSt15iterator_traitsISG_E10value_typeET2_T3_PNSH_ISM_E10value_typeET4_T5_PSR_SS_PNS1_23onesweep_lookback_stateEbbT6_jjT7_P12ihipStream_tbENKUlT_T0_SG_SL_E_clISA_SA_SB_SB_EEDaSZ_S10_SG_SL_EUlSZ_E_NS1_11comp_targetILNS1_3genE10ELNS1_11target_archE1201ELNS1_3gpuE5ELNS1_3repE0EEENS1_47radix_sort_onesweep_sort_config_static_selectorELNS0_4arch9wavefront6targetE0EEEvSG_
                                        ; -- End function
	.set _ZN7rocprim17ROCPRIM_400000_NS6detail17trampoline_kernelINS0_14default_configENS1_35radix_sort_onesweep_config_selectorItNS0_10empty_typeEEEZZNS1_29radix_sort_onesweep_iterationIS3_Lb0EPKtPtPS5_SB_mNS0_19identity_decomposerENS1_16block_id_wrapperIjLb1EEEEE10hipError_tT1_PNSt15iterator_traitsISG_E10value_typeET2_T3_PNSH_ISM_E10value_typeET4_T5_PSR_SS_PNS1_23onesweep_lookback_stateEbbT6_jjT7_P12ihipStream_tbENKUlT_T0_SG_SL_E_clISA_SA_SB_SB_EEDaSZ_S10_SG_SL_EUlSZ_E_NS1_11comp_targetILNS1_3genE10ELNS1_11target_archE1201ELNS1_3gpuE5ELNS1_3repE0EEENS1_47radix_sort_onesweep_sort_config_static_selectorELNS0_4arch9wavefront6targetE0EEEvSG_.num_vgpr, 0
	.set _ZN7rocprim17ROCPRIM_400000_NS6detail17trampoline_kernelINS0_14default_configENS1_35radix_sort_onesweep_config_selectorItNS0_10empty_typeEEEZZNS1_29radix_sort_onesweep_iterationIS3_Lb0EPKtPtPS5_SB_mNS0_19identity_decomposerENS1_16block_id_wrapperIjLb1EEEEE10hipError_tT1_PNSt15iterator_traitsISG_E10value_typeET2_T3_PNSH_ISM_E10value_typeET4_T5_PSR_SS_PNS1_23onesweep_lookback_stateEbbT6_jjT7_P12ihipStream_tbENKUlT_T0_SG_SL_E_clISA_SA_SB_SB_EEDaSZ_S10_SG_SL_EUlSZ_E_NS1_11comp_targetILNS1_3genE10ELNS1_11target_archE1201ELNS1_3gpuE5ELNS1_3repE0EEENS1_47radix_sort_onesweep_sort_config_static_selectorELNS0_4arch9wavefront6targetE0EEEvSG_.num_agpr, 0
	.set _ZN7rocprim17ROCPRIM_400000_NS6detail17trampoline_kernelINS0_14default_configENS1_35radix_sort_onesweep_config_selectorItNS0_10empty_typeEEEZZNS1_29radix_sort_onesweep_iterationIS3_Lb0EPKtPtPS5_SB_mNS0_19identity_decomposerENS1_16block_id_wrapperIjLb1EEEEE10hipError_tT1_PNSt15iterator_traitsISG_E10value_typeET2_T3_PNSH_ISM_E10value_typeET4_T5_PSR_SS_PNS1_23onesweep_lookback_stateEbbT6_jjT7_P12ihipStream_tbENKUlT_T0_SG_SL_E_clISA_SA_SB_SB_EEDaSZ_S10_SG_SL_EUlSZ_E_NS1_11comp_targetILNS1_3genE10ELNS1_11target_archE1201ELNS1_3gpuE5ELNS1_3repE0EEENS1_47radix_sort_onesweep_sort_config_static_selectorELNS0_4arch9wavefront6targetE0EEEvSG_.numbered_sgpr, 0
	.set _ZN7rocprim17ROCPRIM_400000_NS6detail17trampoline_kernelINS0_14default_configENS1_35radix_sort_onesweep_config_selectorItNS0_10empty_typeEEEZZNS1_29radix_sort_onesweep_iterationIS3_Lb0EPKtPtPS5_SB_mNS0_19identity_decomposerENS1_16block_id_wrapperIjLb1EEEEE10hipError_tT1_PNSt15iterator_traitsISG_E10value_typeET2_T3_PNSH_ISM_E10value_typeET4_T5_PSR_SS_PNS1_23onesweep_lookback_stateEbbT6_jjT7_P12ihipStream_tbENKUlT_T0_SG_SL_E_clISA_SA_SB_SB_EEDaSZ_S10_SG_SL_EUlSZ_E_NS1_11comp_targetILNS1_3genE10ELNS1_11target_archE1201ELNS1_3gpuE5ELNS1_3repE0EEENS1_47radix_sort_onesweep_sort_config_static_selectorELNS0_4arch9wavefront6targetE0EEEvSG_.num_named_barrier, 0
	.set _ZN7rocprim17ROCPRIM_400000_NS6detail17trampoline_kernelINS0_14default_configENS1_35radix_sort_onesweep_config_selectorItNS0_10empty_typeEEEZZNS1_29radix_sort_onesweep_iterationIS3_Lb0EPKtPtPS5_SB_mNS0_19identity_decomposerENS1_16block_id_wrapperIjLb1EEEEE10hipError_tT1_PNSt15iterator_traitsISG_E10value_typeET2_T3_PNSH_ISM_E10value_typeET4_T5_PSR_SS_PNS1_23onesweep_lookback_stateEbbT6_jjT7_P12ihipStream_tbENKUlT_T0_SG_SL_E_clISA_SA_SB_SB_EEDaSZ_S10_SG_SL_EUlSZ_E_NS1_11comp_targetILNS1_3genE10ELNS1_11target_archE1201ELNS1_3gpuE5ELNS1_3repE0EEENS1_47radix_sort_onesweep_sort_config_static_selectorELNS0_4arch9wavefront6targetE0EEEvSG_.private_seg_size, 0
	.set _ZN7rocprim17ROCPRIM_400000_NS6detail17trampoline_kernelINS0_14default_configENS1_35radix_sort_onesweep_config_selectorItNS0_10empty_typeEEEZZNS1_29radix_sort_onesweep_iterationIS3_Lb0EPKtPtPS5_SB_mNS0_19identity_decomposerENS1_16block_id_wrapperIjLb1EEEEE10hipError_tT1_PNSt15iterator_traitsISG_E10value_typeET2_T3_PNSH_ISM_E10value_typeET4_T5_PSR_SS_PNS1_23onesweep_lookback_stateEbbT6_jjT7_P12ihipStream_tbENKUlT_T0_SG_SL_E_clISA_SA_SB_SB_EEDaSZ_S10_SG_SL_EUlSZ_E_NS1_11comp_targetILNS1_3genE10ELNS1_11target_archE1201ELNS1_3gpuE5ELNS1_3repE0EEENS1_47radix_sort_onesweep_sort_config_static_selectorELNS0_4arch9wavefront6targetE0EEEvSG_.uses_vcc, 0
	.set _ZN7rocprim17ROCPRIM_400000_NS6detail17trampoline_kernelINS0_14default_configENS1_35radix_sort_onesweep_config_selectorItNS0_10empty_typeEEEZZNS1_29radix_sort_onesweep_iterationIS3_Lb0EPKtPtPS5_SB_mNS0_19identity_decomposerENS1_16block_id_wrapperIjLb1EEEEE10hipError_tT1_PNSt15iterator_traitsISG_E10value_typeET2_T3_PNSH_ISM_E10value_typeET4_T5_PSR_SS_PNS1_23onesweep_lookback_stateEbbT6_jjT7_P12ihipStream_tbENKUlT_T0_SG_SL_E_clISA_SA_SB_SB_EEDaSZ_S10_SG_SL_EUlSZ_E_NS1_11comp_targetILNS1_3genE10ELNS1_11target_archE1201ELNS1_3gpuE5ELNS1_3repE0EEENS1_47radix_sort_onesweep_sort_config_static_selectorELNS0_4arch9wavefront6targetE0EEEvSG_.uses_flat_scratch, 0
	.set _ZN7rocprim17ROCPRIM_400000_NS6detail17trampoline_kernelINS0_14default_configENS1_35radix_sort_onesweep_config_selectorItNS0_10empty_typeEEEZZNS1_29radix_sort_onesweep_iterationIS3_Lb0EPKtPtPS5_SB_mNS0_19identity_decomposerENS1_16block_id_wrapperIjLb1EEEEE10hipError_tT1_PNSt15iterator_traitsISG_E10value_typeET2_T3_PNSH_ISM_E10value_typeET4_T5_PSR_SS_PNS1_23onesweep_lookback_stateEbbT6_jjT7_P12ihipStream_tbENKUlT_T0_SG_SL_E_clISA_SA_SB_SB_EEDaSZ_S10_SG_SL_EUlSZ_E_NS1_11comp_targetILNS1_3genE10ELNS1_11target_archE1201ELNS1_3gpuE5ELNS1_3repE0EEENS1_47radix_sort_onesweep_sort_config_static_selectorELNS0_4arch9wavefront6targetE0EEEvSG_.has_dyn_sized_stack, 0
	.set _ZN7rocprim17ROCPRIM_400000_NS6detail17trampoline_kernelINS0_14default_configENS1_35radix_sort_onesweep_config_selectorItNS0_10empty_typeEEEZZNS1_29radix_sort_onesweep_iterationIS3_Lb0EPKtPtPS5_SB_mNS0_19identity_decomposerENS1_16block_id_wrapperIjLb1EEEEE10hipError_tT1_PNSt15iterator_traitsISG_E10value_typeET2_T3_PNSH_ISM_E10value_typeET4_T5_PSR_SS_PNS1_23onesweep_lookback_stateEbbT6_jjT7_P12ihipStream_tbENKUlT_T0_SG_SL_E_clISA_SA_SB_SB_EEDaSZ_S10_SG_SL_EUlSZ_E_NS1_11comp_targetILNS1_3genE10ELNS1_11target_archE1201ELNS1_3gpuE5ELNS1_3repE0EEENS1_47radix_sort_onesweep_sort_config_static_selectorELNS0_4arch9wavefront6targetE0EEEvSG_.has_recursion, 0
	.set _ZN7rocprim17ROCPRIM_400000_NS6detail17trampoline_kernelINS0_14default_configENS1_35radix_sort_onesweep_config_selectorItNS0_10empty_typeEEEZZNS1_29radix_sort_onesweep_iterationIS3_Lb0EPKtPtPS5_SB_mNS0_19identity_decomposerENS1_16block_id_wrapperIjLb1EEEEE10hipError_tT1_PNSt15iterator_traitsISG_E10value_typeET2_T3_PNSH_ISM_E10value_typeET4_T5_PSR_SS_PNS1_23onesweep_lookback_stateEbbT6_jjT7_P12ihipStream_tbENKUlT_T0_SG_SL_E_clISA_SA_SB_SB_EEDaSZ_S10_SG_SL_EUlSZ_E_NS1_11comp_targetILNS1_3genE10ELNS1_11target_archE1201ELNS1_3gpuE5ELNS1_3repE0EEENS1_47radix_sort_onesweep_sort_config_static_selectorELNS0_4arch9wavefront6targetE0EEEvSG_.has_indirect_call, 0
	.section	.AMDGPU.csdata,"",@progbits
; Kernel info:
; codeLenInByte = 0
; TotalNumSgprs: 0
; NumVgprs: 0
; ScratchSize: 0
; MemoryBound: 0
; FloatMode: 240
; IeeeMode: 1
; LDSByteSize: 0 bytes/workgroup (compile time only)
; SGPRBlocks: 0
; VGPRBlocks: 0
; NumSGPRsForWavesPerEU: 1
; NumVGPRsForWavesPerEU: 1
; NamedBarCnt: 0
; Occupancy: 16
; WaveLimiterHint : 0
; COMPUTE_PGM_RSRC2:SCRATCH_EN: 0
; COMPUTE_PGM_RSRC2:USER_SGPR: 2
; COMPUTE_PGM_RSRC2:TRAP_HANDLER: 0
; COMPUTE_PGM_RSRC2:TGID_X_EN: 1
; COMPUTE_PGM_RSRC2:TGID_Y_EN: 0
; COMPUTE_PGM_RSRC2:TGID_Z_EN: 0
; COMPUTE_PGM_RSRC2:TIDIG_COMP_CNT: 0
	.section	.text._ZN7rocprim17ROCPRIM_400000_NS6detail17trampoline_kernelINS0_14default_configENS1_35radix_sort_onesweep_config_selectorItNS0_10empty_typeEEEZZNS1_29radix_sort_onesweep_iterationIS3_Lb0EPKtPtPS5_SB_mNS0_19identity_decomposerENS1_16block_id_wrapperIjLb1EEEEE10hipError_tT1_PNSt15iterator_traitsISG_E10value_typeET2_T3_PNSH_ISM_E10value_typeET4_T5_PSR_SS_PNS1_23onesweep_lookback_stateEbbT6_jjT7_P12ihipStream_tbENKUlT_T0_SG_SL_E_clISA_SA_SB_SB_EEDaSZ_S10_SG_SL_EUlSZ_E_NS1_11comp_targetILNS1_3genE9ELNS1_11target_archE1100ELNS1_3gpuE3ELNS1_3repE0EEENS1_47radix_sort_onesweep_sort_config_static_selectorELNS0_4arch9wavefront6targetE0EEEvSG_,"axG",@progbits,_ZN7rocprim17ROCPRIM_400000_NS6detail17trampoline_kernelINS0_14default_configENS1_35radix_sort_onesweep_config_selectorItNS0_10empty_typeEEEZZNS1_29radix_sort_onesweep_iterationIS3_Lb0EPKtPtPS5_SB_mNS0_19identity_decomposerENS1_16block_id_wrapperIjLb1EEEEE10hipError_tT1_PNSt15iterator_traitsISG_E10value_typeET2_T3_PNSH_ISM_E10value_typeET4_T5_PSR_SS_PNS1_23onesweep_lookback_stateEbbT6_jjT7_P12ihipStream_tbENKUlT_T0_SG_SL_E_clISA_SA_SB_SB_EEDaSZ_S10_SG_SL_EUlSZ_E_NS1_11comp_targetILNS1_3genE9ELNS1_11target_archE1100ELNS1_3gpuE3ELNS1_3repE0EEENS1_47radix_sort_onesweep_sort_config_static_selectorELNS0_4arch9wavefront6targetE0EEEvSG_,comdat
	.protected	_ZN7rocprim17ROCPRIM_400000_NS6detail17trampoline_kernelINS0_14default_configENS1_35radix_sort_onesweep_config_selectorItNS0_10empty_typeEEEZZNS1_29radix_sort_onesweep_iterationIS3_Lb0EPKtPtPS5_SB_mNS0_19identity_decomposerENS1_16block_id_wrapperIjLb1EEEEE10hipError_tT1_PNSt15iterator_traitsISG_E10value_typeET2_T3_PNSH_ISM_E10value_typeET4_T5_PSR_SS_PNS1_23onesweep_lookback_stateEbbT6_jjT7_P12ihipStream_tbENKUlT_T0_SG_SL_E_clISA_SA_SB_SB_EEDaSZ_S10_SG_SL_EUlSZ_E_NS1_11comp_targetILNS1_3genE9ELNS1_11target_archE1100ELNS1_3gpuE3ELNS1_3repE0EEENS1_47radix_sort_onesweep_sort_config_static_selectorELNS0_4arch9wavefront6targetE0EEEvSG_ ; -- Begin function _ZN7rocprim17ROCPRIM_400000_NS6detail17trampoline_kernelINS0_14default_configENS1_35radix_sort_onesweep_config_selectorItNS0_10empty_typeEEEZZNS1_29radix_sort_onesweep_iterationIS3_Lb0EPKtPtPS5_SB_mNS0_19identity_decomposerENS1_16block_id_wrapperIjLb1EEEEE10hipError_tT1_PNSt15iterator_traitsISG_E10value_typeET2_T3_PNSH_ISM_E10value_typeET4_T5_PSR_SS_PNS1_23onesweep_lookback_stateEbbT6_jjT7_P12ihipStream_tbENKUlT_T0_SG_SL_E_clISA_SA_SB_SB_EEDaSZ_S10_SG_SL_EUlSZ_E_NS1_11comp_targetILNS1_3genE9ELNS1_11target_archE1100ELNS1_3gpuE3ELNS1_3repE0EEENS1_47radix_sort_onesweep_sort_config_static_selectorELNS0_4arch9wavefront6targetE0EEEvSG_
	.globl	_ZN7rocprim17ROCPRIM_400000_NS6detail17trampoline_kernelINS0_14default_configENS1_35radix_sort_onesweep_config_selectorItNS0_10empty_typeEEEZZNS1_29radix_sort_onesweep_iterationIS3_Lb0EPKtPtPS5_SB_mNS0_19identity_decomposerENS1_16block_id_wrapperIjLb1EEEEE10hipError_tT1_PNSt15iterator_traitsISG_E10value_typeET2_T3_PNSH_ISM_E10value_typeET4_T5_PSR_SS_PNS1_23onesweep_lookback_stateEbbT6_jjT7_P12ihipStream_tbENKUlT_T0_SG_SL_E_clISA_SA_SB_SB_EEDaSZ_S10_SG_SL_EUlSZ_E_NS1_11comp_targetILNS1_3genE9ELNS1_11target_archE1100ELNS1_3gpuE3ELNS1_3repE0EEENS1_47radix_sort_onesweep_sort_config_static_selectorELNS0_4arch9wavefront6targetE0EEEvSG_
	.p2align	8
	.type	_ZN7rocprim17ROCPRIM_400000_NS6detail17trampoline_kernelINS0_14default_configENS1_35radix_sort_onesweep_config_selectorItNS0_10empty_typeEEEZZNS1_29radix_sort_onesweep_iterationIS3_Lb0EPKtPtPS5_SB_mNS0_19identity_decomposerENS1_16block_id_wrapperIjLb1EEEEE10hipError_tT1_PNSt15iterator_traitsISG_E10value_typeET2_T3_PNSH_ISM_E10value_typeET4_T5_PSR_SS_PNS1_23onesweep_lookback_stateEbbT6_jjT7_P12ihipStream_tbENKUlT_T0_SG_SL_E_clISA_SA_SB_SB_EEDaSZ_S10_SG_SL_EUlSZ_E_NS1_11comp_targetILNS1_3genE9ELNS1_11target_archE1100ELNS1_3gpuE3ELNS1_3repE0EEENS1_47radix_sort_onesweep_sort_config_static_selectorELNS0_4arch9wavefront6targetE0EEEvSG_,@function
_ZN7rocprim17ROCPRIM_400000_NS6detail17trampoline_kernelINS0_14default_configENS1_35radix_sort_onesweep_config_selectorItNS0_10empty_typeEEEZZNS1_29radix_sort_onesweep_iterationIS3_Lb0EPKtPtPS5_SB_mNS0_19identity_decomposerENS1_16block_id_wrapperIjLb1EEEEE10hipError_tT1_PNSt15iterator_traitsISG_E10value_typeET2_T3_PNSH_ISM_E10value_typeET4_T5_PSR_SS_PNS1_23onesweep_lookback_stateEbbT6_jjT7_P12ihipStream_tbENKUlT_T0_SG_SL_E_clISA_SA_SB_SB_EEDaSZ_S10_SG_SL_EUlSZ_E_NS1_11comp_targetILNS1_3genE9ELNS1_11target_archE1100ELNS1_3gpuE3ELNS1_3repE0EEENS1_47radix_sort_onesweep_sort_config_static_selectorELNS0_4arch9wavefront6targetE0EEEvSG_: ; @_ZN7rocprim17ROCPRIM_400000_NS6detail17trampoline_kernelINS0_14default_configENS1_35radix_sort_onesweep_config_selectorItNS0_10empty_typeEEEZZNS1_29radix_sort_onesweep_iterationIS3_Lb0EPKtPtPS5_SB_mNS0_19identity_decomposerENS1_16block_id_wrapperIjLb1EEEEE10hipError_tT1_PNSt15iterator_traitsISG_E10value_typeET2_T3_PNSH_ISM_E10value_typeET4_T5_PSR_SS_PNS1_23onesweep_lookback_stateEbbT6_jjT7_P12ihipStream_tbENKUlT_T0_SG_SL_E_clISA_SA_SB_SB_EEDaSZ_S10_SG_SL_EUlSZ_E_NS1_11comp_targetILNS1_3genE9ELNS1_11target_archE1100ELNS1_3gpuE3ELNS1_3repE0EEENS1_47radix_sort_onesweep_sort_config_static_selectorELNS0_4arch9wavefront6targetE0EEEvSG_
; %bb.0:
	.section	.rodata,"a",@progbits
	.p2align	6, 0x0
	.amdhsa_kernel _ZN7rocprim17ROCPRIM_400000_NS6detail17trampoline_kernelINS0_14default_configENS1_35radix_sort_onesweep_config_selectorItNS0_10empty_typeEEEZZNS1_29radix_sort_onesweep_iterationIS3_Lb0EPKtPtPS5_SB_mNS0_19identity_decomposerENS1_16block_id_wrapperIjLb1EEEEE10hipError_tT1_PNSt15iterator_traitsISG_E10value_typeET2_T3_PNSH_ISM_E10value_typeET4_T5_PSR_SS_PNS1_23onesweep_lookback_stateEbbT6_jjT7_P12ihipStream_tbENKUlT_T0_SG_SL_E_clISA_SA_SB_SB_EEDaSZ_S10_SG_SL_EUlSZ_E_NS1_11comp_targetILNS1_3genE9ELNS1_11target_archE1100ELNS1_3gpuE3ELNS1_3repE0EEENS1_47radix_sort_onesweep_sort_config_static_selectorELNS0_4arch9wavefront6targetE0EEEvSG_
		.amdhsa_group_segment_fixed_size 0
		.amdhsa_private_segment_fixed_size 0
		.amdhsa_kernarg_size 88
		.amdhsa_user_sgpr_count 2
		.amdhsa_user_sgpr_dispatch_ptr 0
		.amdhsa_user_sgpr_queue_ptr 0
		.amdhsa_user_sgpr_kernarg_segment_ptr 1
		.amdhsa_user_sgpr_dispatch_id 0
		.amdhsa_user_sgpr_kernarg_preload_length 0
		.amdhsa_user_sgpr_kernarg_preload_offset 0
		.amdhsa_user_sgpr_private_segment_size 0
		.amdhsa_wavefront_size32 1
		.amdhsa_uses_dynamic_stack 0
		.amdhsa_enable_private_segment 0
		.amdhsa_system_sgpr_workgroup_id_x 1
		.amdhsa_system_sgpr_workgroup_id_y 0
		.amdhsa_system_sgpr_workgroup_id_z 0
		.amdhsa_system_sgpr_workgroup_info 0
		.amdhsa_system_vgpr_workitem_id 0
		.amdhsa_next_free_vgpr 1
		.amdhsa_next_free_sgpr 1
		.amdhsa_named_barrier_count 0
		.amdhsa_reserve_vcc 0
		.amdhsa_float_round_mode_32 0
		.amdhsa_float_round_mode_16_64 0
		.amdhsa_float_denorm_mode_32 3
		.amdhsa_float_denorm_mode_16_64 3
		.amdhsa_fp16_overflow 0
		.amdhsa_memory_ordered 1
		.amdhsa_forward_progress 1
		.amdhsa_inst_pref_size 0
		.amdhsa_round_robin_scheduling 0
		.amdhsa_exception_fp_ieee_invalid_op 0
		.amdhsa_exception_fp_denorm_src 0
		.amdhsa_exception_fp_ieee_div_zero 0
		.amdhsa_exception_fp_ieee_overflow 0
		.amdhsa_exception_fp_ieee_underflow 0
		.amdhsa_exception_fp_ieee_inexact 0
		.amdhsa_exception_int_div_zero 0
	.end_amdhsa_kernel
	.section	.text._ZN7rocprim17ROCPRIM_400000_NS6detail17trampoline_kernelINS0_14default_configENS1_35radix_sort_onesweep_config_selectorItNS0_10empty_typeEEEZZNS1_29radix_sort_onesweep_iterationIS3_Lb0EPKtPtPS5_SB_mNS0_19identity_decomposerENS1_16block_id_wrapperIjLb1EEEEE10hipError_tT1_PNSt15iterator_traitsISG_E10value_typeET2_T3_PNSH_ISM_E10value_typeET4_T5_PSR_SS_PNS1_23onesweep_lookback_stateEbbT6_jjT7_P12ihipStream_tbENKUlT_T0_SG_SL_E_clISA_SA_SB_SB_EEDaSZ_S10_SG_SL_EUlSZ_E_NS1_11comp_targetILNS1_3genE9ELNS1_11target_archE1100ELNS1_3gpuE3ELNS1_3repE0EEENS1_47radix_sort_onesweep_sort_config_static_selectorELNS0_4arch9wavefront6targetE0EEEvSG_,"axG",@progbits,_ZN7rocprim17ROCPRIM_400000_NS6detail17trampoline_kernelINS0_14default_configENS1_35radix_sort_onesweep_config_selectorItNS0_10empty_typeEEEZZNS1_29radix_sort_onesweep_iterationIS3_Lb0EPKtPtPS5_SB_mNS0_19identity_decomposerENS1_16block_id_wrapperIjLb1EEEEE10hipError_tT1_PNSt15iterator_traitsISG_E10value_typeET2_T3_PNSH_ISM_E10value_typeET4_T5_PSR_SS_PNS1_23onesweep_lookback_stateEbbT6_jjT7_P12ihipStream_tbENKUlT_T0_SG_SL_E_clISA_SA_SB_SB_EEDaSZ_S10_SG_SL_EUlSZ_E_NS1_11comp_targetILNS1_3genE9ELNS1_11target_archE1100ELNS1_3gpuE3ELNS1_3repE0EEENS1_47radix_sort_onesweep_sort_config_static_selectorELNS0_4arch9wavefront6targetE0EEEvSG_,comdat
.Lfunc_end2513:
	.size	_ZN7rocprim17ROCPRIM_400000_NS6detail17trampoline_kernelINS0_14default_configENS1_35radix_sort_onesweep_config_selectorItNS0_10empty_typeEEEZZNS1_29radix_sort_onesweep_iterationIS3_Lb0EPKtPtPS5_SB_mNS0_19identity_decomposerENS1_16block_id_wrapperIjLb1EEEEE10hipError_tT1_PNSt15iterator_traitsISG_E10value_typeET2_T3_PNSH_ISM_E10value_typeET4_T5_PSR_SS_PNS1_23onesweep_lookback_stateEbbT6_jjT7_P12ihipStream_tbENKUlT_T0_SG_SL_E_clISA_SA_SB_SB_EEDaSZ_S10_SG_SL_EUlSZ_E_NS1_11comp_targetILNS1_3genE9ELNS1_11target_archE1100ELNS1_3gpuE3ELNS1_3repE0EEENS1_47radix_sort_onesweep_sort_config_static_selectorELNS0_4arch9wavefront6targetE0EEEvSG_, .Lfunc_end2513-_ZN7rocprim17ROCPRIM_400000_NS6detail17trampoline_kernelINS0_14default_configENS1_35radix_sort_onesweep_config_selectorItNS0_10empty_typeEEEZZNS1_29radix_sort_onesweep_iterationIS3_Lb0EPKtPtPS5_SB_mNS0_19identity_decomposerENS1_16block_id_wrapperIjLb1EEEEE10hipError_tT1_PNSt15iterator_traitsISG_E10value_typeET2_T3_PNSH_ISM_E10value_typeET4_T5_PSR_SS_PNS1_23onesweep_lookback_stateEbbT6_jjT7_P12ihipStream_tbENKUlT_T0_SG_SL_E_clISA_SA_SB_SB_EEDaSZ_S10_SG_SL_EUlSZ_E_NS1_11comp_targetILNS1_3genE9ELNS1_11target_archE1100ELNS1_3gpuE3ELNS1_3repE0EEENS1_47radix_sort_onesweep_sort_config_static_selectorELNS0_4arch9wavefront6targetE0EEEvSG_
                                        ; -- End function
	.set _ZN7rocprim17ROCPRIM_400000_NS6detail17trampoline_kernelINS0_14default_configENS1_35radix_sort_onesweep_config_selectorItNS0_10empty_typeEEEZZNS1_29radix_sort_onesweep_iterationIS3_Lb0EPKtPtPS5_SB_mNS0_19identity_decomposerENS1_16block_id_wrapperIjLb1EEEEE10hipError_tT1_PNSt15iterator_traitsISG_E10value_typeET2_T3_PNSH_ISM_E10value_typeET4_T5_PSR_SS_PNS1_23onesweep_lookback_stateEbbT6_jjT7_P12ihipStream_tbENKUlT_T0_SG_SL_E_clISA_SA_SB_SB_EEDaSZ_S10_SG_SL_EUlSZ_E_NS1_11comp_targetILNS1_3genE9ELNS1_11target_archE1100ELNS1_3gpuE3ELNS1_3repE0EEENS1_47radix_sort_onesweep_sort_config_static_selectorELNS0_4arch9wavefront6targetE0EEEvSG_.num_vgpr, 0
	.set _ZN7rocprim17ROCPRIM_400000_NS6detail17trampoline_kernelINS0_14default_configENS1_35radix_sort_onesweep_config_selectorItNS0_10empty_typeEEEZZNS1_29radix_sort_onesweep_iterationIS3_Lb0EPKtPtPS5_SB_mNS0_19identity_decomposerENS1_16block_id_wrapperIjLb1EEEEE10hipError_tT1_PNSt15iterator_traitsISG_E10value_typeET2_T3_PNSH_ISM_E10value_typeET4_T5_PSR_SS_PNS1_23onesweep_lookback_stateEbbT6_jjT7_P12ihipStream_tbENKUlT_T0_SG_SL_E_clISA_SA_SB_SB_EEDaSZ_S10_SG_SL_EUlSZ_E_NS1_11comp_targetILNS1_3genE9ELNS1_11target_archE1100ELNS1_3gpuE3ELNS1_3repE0EEENS1_47radix_sort_onesweep_sort_config_static_selectorELNS0_4arch9wavefront6targetE0EEEvSG_.num_agpr, 0
	.set _ZN7rocprim17ROCPRIM_400000_NS6detail17trampoline_kernelINS0_14default_configENS1_35radix_sort_onesweep_config_selectorItNS0_10empty_typeEEEZZNS1_29radix_sort_onesweep_iterationIS3_Lb0EPKtPtPS5_SB_mNS0_19identity_decomposerENS1_16block_id_wrapperIjLb1EEEEE10hipError_tT1_PNSt15iterator_traitsISG_E10value_typeET2_T3_PNSH_ISM_E10value_typeET4_T5_PSR_SS_PNS1_23onesweep_lookback_stateEbbT6_jjT7_P12ihipStream_tbENKUlT_T0_SG_SL_E_clISA_SA_SB_SB_EEDaSZ_S10_SG_SL_EUlSZ_E_NS1_11comp_targetILNS1_3genE9ELNS1_11target_archE1100ELNS1_3gpuE3ELNS1_3repE0EEENS1_47radix_sort_onesweep_sort_config_static_selectorELNS0_4arch9wavefront6targetE0EEEvSG_.numbered_sgpr, 0
	.set _ZN7rocprim17ROCPRIM_400000_NS6detail17trampoline_kernelINS0_14default_configENS1_35radix_sort_onesweep_config_selectorItNS0_10empty_typeEEEZZNS1_29radix_sort_onesweep_iterationIS3_Lb0EPKtPtPS5_SB_mNS0_19identity_decomposerENS1_16block_id_wrapperIjLb1EEEEE10hipError_tT1_PNSt15iterator_traitsISG_E10value_typeET2_T3_PNSH_ISM_E10value_typeET4_T5_PSR_SS_PNS1_23onesweep_lookback_stateEbbT6_jjT7_P12ihipStream_tbENKUlT_T0_SG_SL_E_clISA_SA_SB_SB_EEDaSZ_S10_SG_SL_EUlSZ_E_NS1_11comp_targetILNS1_3genE9ELNS1_11target_archE1100ELNS1_3gpuE3ELNS1_3repE0EEENS1_47radix_sort_onesweep_sort_config_static_selectorELNS0_4arch9wavefront6targetE0EEEvSG_.num_named_barrier, 0
	.set _ZN7rocprim17ROCPRIM_400000_NS6detail17trampoline_kernelINS0_14default_configENS1_35radix_sort_onesweep_config_selectorItNS0_10empty_typeEEEZZNS1_29radix_sort_onesweep_iterationIS3_Lb0EPKtPtPS5_SB_mNS0_19identity_decomposerENS1_16block_id_wrapperIjLb1EEEEE10hipError_tT1_PNSt15iterator_traitsISG_E10value_typeET2_T3_PNSH_ISM_E10value_typeET4_T5_PSR_SS_PNS1_23onesweep_lookback_stateEbbT6_jjT7_P12ihipStream_tbENKUlT_T0_SG_SL_E_clISA_SA_SB_SB_EEDaSZ_S10_SG_SL_EUlSZ_E_NS1_11comp_targetILNS1_3genE9ELNS1_11target_archE1100ELNS1_3gpuE3ELNS1_3repE0EEENS1_47radix_sort_onesweep_sort_config_static_selectorELNS0_4arch9wavefront6targetE0EEEvSG_.private_seg_size, 0
	.set _ZN7rocprim17ROCPRIM_400000_NS6detail17trampoline_kernelINS0_14default_configENS1_35radix_sort_onesweep_config_selectorItNS0_10empty_typeEEEZZNS1_29radix_sort_onesweep_iterationIS3_Lb0EPKtPtPS5_SB_mNS0_19identity_decomposerENS1_16block_id_wrapperIjLb1EEEEE10hipError_tT1_PNSt15iterator_traitsISG_E10value_typeET2_T3_PNSH_ISM_E10value_typeET4_T5_PSR_SS_PNS1_23onesweep_lookback_stateEbbT6_jjT7_P12ihipStream_tbENKUlT_T0_SG_SL_E_clISA_SA_SB_SB_EEDaSZ_S10_SG_SL_EUlSZ_E_NS1_11comp_targetILNS1_3genE9ELNS1_11target_archE1100ELNS1_3gpuE3ELNS1_3repE0EEENS1_47radix_sort_onesweep_sort_config_static_selectorELNS0_4arch9wavefront6targetE0EEEvSG_.uses_vcc, 0
	.set _ZN7rocprim17ROCPRIM_400000_NS6detail17trampoline_kernelINS0_14default_configENS1_35radix_sort_onesweep_config_selectorItNS0_10empty_typeEEEZZNS1_29radix_sort_onesweep_iterationIS3_Lb0EPKtPtPS5_SB_mNS0_19identity_decomposerENS1_16block_id_wrapperIjLb1EEEEE10hipError_tT1_PNSt15iterator_traitsISG_E10value_typeET2_T3_PNSH_ISM_E10value_typeET4_T5_PSR_SS_PNS1_23onesweep_lookback_stateEbbT6_jjT7_P12ihipStream_tbENKUlT_T0_SG_SL_E_clISA_SA_SB_SB_EEDaSZ_S10_SG_SL_EUlSZ_E_NS1_11comp_targetILNS1_3genE9ELNS1_11target_archE1100ELNS1_3gpuE3ELNS1_3repE0EEENS1_47radix_sort_onesweep_sort_config_static_selectorELNS0_4arch9wavefront6targetE0EEEvSG_.uses_flat_scratch, 0
	.set _ZN7rocprim17ROCPRIM_400000_NS6detail17trampoline_kernelINS0_14default_configENS1_35radix_sort_onesweep_config_selectorItNS0_10empty_typeEEEZZNS1_29radix_sort_onesweep_iterationIS3_Lb0EPKtPtPS5_SB_mNS0_19identity_decomposerENS1_16block_id_wrapperIjLb1EEEEE10hipError_tT1_PNSt15iterator_traitsISG_E10value_typeET2_T3_PNSH_ISM_E10value_typeET4_T5_PSR_SS_PNS1_23onesweep_lookback_stateEbbT6_jjT7_P12ihipStream_tbENKUlT_T0_SG_SL_E_clISA_SA_SB_SB_EEDaSZ_S10_SG_SL_EUlSZ_E_NS1_11comp_targetILNS1_3genE9ELNS1_11target_archE1100ELNS1_3gpuE3ELNS1_3repE0EEENS1_47radix_sort_onesweep_sort_config_static_selectorELNS0_4arch9wavefront6targetE0EEEvSG_.has_dyn_sized_stack, 0
	.set _ZN7rocprim17ROCPRIM_400000_NS6detail17trampoline_kernelINS0_14default_configENS1_35radix_sort_onesweep_config_selectorItNS0_10empty_typeEEEZZNS1_29radix_sort_onesweep_iterationIS3_Lb0EPKtPtPS5_SB_mNS0_19identity_decomposerENS1_16block_id_wrapperIjLb1EEEEE10hipError_tT1_PNSt15iterator_traitsISG_E10value_typeET2_T3_PNSH_ISM_E10value_typeET4_T5_PSR_SS_PNS1_23onesweep_lookback_stateEbbT6_jjT7_P12ihipStream_tbENKUlT_T0_SG_SL_E_clISA_SA_SB_SB_EEDaSZ_S10_SG_SL_EUlSZ_E_NS1_11comp_targetILNS1_3genE9ELNS1_11target_archE1100ELNS1_3gpuE3ELNS1_3repE0EEENS1_47radix_sort_onesweep_sort_config_static_selectorELNS0_4arch9wavefront6targetE0EEEvSG_.has_recursion, 0
	.set _ZN7rocprim17ROCPRIM_400000_NS6detail17trampoline_kernelINS0_14default_configENS1_35radix_sort_onesweep_config_selectorItNS0_10empty_typeEEEZZNS1_29radix_sort_onesweep_iterationIS3_Lb0EPKtPtPS5_SB_mNS0_19identity_decomposerENS1_16block_id_wrapperIjLb1EEEEE10hipError_tT1_PNSt15iterator_traitsISG_E10value_typeET2_T3_PNSH_ISM_E10value_typeET4_T5_PSR_SS_PNS1_23onesweep_lookback_stateEbbT6_jjT7_P12ihipStream_tbENKUlT_T0_SG_SL_E_clISA_SA_SB_SB_EEDaSZ_S10_SG_SL_EUlSZ_E_NS1_11comp_targetILNS1_3genE9ELNS1_11target_archE1100ELNS1_3gpuE3ELNS1_3repE0EEENS1_47radix_sort_onesweep_sort_config_static_selectorELNS0_4arch9wavefront6targetE0EEEvSG_.has_indirect_call, 0
	.section	.AMDGPU.csdata,"",@progbits
; Kernel info:
; codeLenInByte = 0
; TotalNumSgprs: 0
; NumVgprs: 0
; ScratchSize: 0
; MemoryBound: 0
; FloatMode: 240
; IeeeMode: 1
; LDSByteSize: 0 bytes/workgroup (compile time only)
; SGPRBlocks: 0
; VGPRBlocks: 0
; NumSGPRsForWavesPerEU: 1
; NumVGPRsForWavesPerEU: 1
; NamedBarCnt: 0
; Occupancy: 16
; WaveLimiterHint : 0
; COMPUTE_PGM_RSRC2:SCRATCH_EN: 0
; COMPUTE_PGM_RSRC2:USER_SGPR: 2
; COMPUTE_PGM_RSRC2:TRAP_HANDLER: 0
; COMPUTE_PGM_RSRC2:TGID_X_EN: 1
; COMPUTE_PGM_RSRC2:TGID_Y_EN: 0
; COMPUTE_PGM_RSRC2:TGID_Z_EN: 0
; COMPUTE_PGM_RSRC2:TIDIG_COMP_CNT: 0
	.section	.text._ZN7rocprim17ROCPRIM_400000_NS6detail17trampoline_kernelINS0_14default_configENS1_35radix_sort_onesweep_config_selectorItNS0_10empty_typeEEEZZNS1_29radix_sort_onesweep_iterationIS3_Lb0EPKtPtPS5_SB_mNS0_19identity_decomposerENS1_16block_id_wrapperIjLb1EEEEE10hipError_tT1_PNSt15iterator_traitsISG_E10value_typeET2_T3_PNSH_ISM_E10value_typeET4_T5_PSR_SS_PNS1_23onesweep_lookback_stateEbbT6_jjT7_P12ihipStream_tbENKUlT_T0_SG_SL_E_clISA_SA_SB_SB_EEDaSZ_S10_SG_SL_EUlSZ_E_NS1_11comp_targetILNS1_3genE8ELNS1_11target_archE1030ELNS1_3gpuE2ELNS1_3repE0EEENS1_47radix_sort_onesweep_sort_config_static_selectorELNS0_4arch9wavefront6targetE0EEEvSG_,"axG",@progbits,_ZN7rocprim17ROCPRIM_400000_NS6detail17trampoline_kernelINS0_14default_configENS1_35radix_sort_onesweep_config_selectorItNS0_10empty_typeEEEZZNS1_29radix_sort_onesweep_iterationIS3_Lb0EPKtPtPS5_SB_mNS0_19identity_decomposerENS1_16block_id_wrapperIjLb1EEEEE10hipError_tT1_PNSt15iterator_traitsISG_E10value_typeET2_T3_PNSH_ISM_E10value_typeET4_T5_PSR_SS_PNS1_23onesweep_lookback_stateEbbT6_jjT7_P12ihipStream_tbENKUlT_T0_SG_SL_E_clISA_SA_SB_SB_EEDaSZ_S10_SG_SL_EUlSZ_E_NS1_11comp_targetILNS1_3genE8ELNS1_11target_archE1030ELNS1_3gpuE2ELNS1_3repE0EEENS1_47radix_sort_onesweep_sort_config_static_selectorELNS0_4arch9wavefront6targetE0EEEvSG_,comdat
	.protected	_ZN7rocprim17ROCPRIM_400000_NS6detail17trampoline_kernelINS0_14default_configENS1_35radix_sort_onesweep_config_selectorItNS0_10empty_typeEEEZZNS1_29radix_sort_onesweep_iterationIS3_Lb0EPKtPtPS5_SB_mNS0_19identity_decomposerENS1_16block_id_wrapperIjLb1EEEEE10hipError_tT1_PNSt15iterator_traitsISG_E10value_typeET2_T3_PNSH_ISM_E10value_typeET4_T5_PSR_SS_PNS1_23onesweep_lookback_stateEbbT6_jjT7_P12ihipStream_tbENKUlT_T0_SG_SL_E_clISA_SA_SB_SB_EEDaSZ_S10_SG_SL_EUlSZ_E_NS1_11comp_targetILNS1_3genE8ELNS1_11target_archE1030ELNS1_3gpuE2ELNS1_3repE0EEENS1_47radix_sort_onesweep_sort_config_static_selectorELNS0_4arch9wavefront6targetE0EEEvSG_ ; -- Begin function _ZN7rocprim17ROCPRIM_400000_NS6detail17trampoline_kernelINS0_14default_configENS1_35radix_sort_onesweep_config_selectorItNS0_10empty_typeEEEZZNS1_29radix_sort_onesweep_iterationIS3_Lb0EPKtPtPS5_SB_mNS0_19identity_decomposerENS1_16block_id_wrapperIjLb1EEEEE10hipError_tT1_PNSt15iterator_traitsISG_E10value_typeET2_T3_PNSH_ISM_E10value_typeET4_T5_PSR_SS_PNS1_23onesweep_lookback_stateEbbT6_jjT7_P12ihipStream_tbENKUlT_T0_SG_SL_E_clISA_SA_SB_SB_EEDaSZ_S10_SG_SL_EUlSZ_E_NS1_11comp_targetILNS1_3genE8ELNS1_11target_archE1030ELNS1_3gpuE2ELNS1_3repE0EEENS1_47radix_sort_onesweep_sort_config_static_selectorELNS0_4arch9wavefront6targetE0EEEvSG_
	.globl	_ZN7rocprim17ROCPRIM_400000_NS6detail17trampoline_kernelINS0_14default_configENS1_35radix_sort_onesweep_config_selectorItNS0_10empty_typeEEEZZNS1_29radix_sort_onesweep_iterationIS3_Lb0EPKtPtPS5_SB_mNS0_19identity_decomposerENS1_16block_id_wrapperIjLb1EEEEE10hipError_tT1_PNSt15iterator_traitsISG_E10value_typeET2_T3_PNSH_ISM_E10value_typeET4_T5_PSR_SS_PNS1_23onesweep_lookback_stateEbbT6_jjT7_P12ihipStream_tbENKUlT_T0_SG_SL_E_clISA_SA_SB_SB_EEDaSZ_S10_SG_SL_EUlSZ_E_NS1_11comp_targetILNS1_3genE8ELNS1_11target_archE1030ELNS1_3gpuE2ELNS1_3repE0EEENS1_47radix_sort_onesweep_sort_config_static_selectorELNS0_4arch9wavefront6targetE0EEEvSG_
	.p2align	8
	.type	_ZN7rocprim17ROCPRIM_400000_NS6detail17trampoline_kernelINS0_14default_configENS1_35radix_sort_onesweep_config_selectorItNS0_10empty_typeEEEZZNS1_29radix_sort_onesweep_iterationIS3_Lb0EPKtPtPS5_SB_mNS0_19identity_decomposerENS1_16block_id_wrapperIjLb1EEEEE10hipError_tT1_PNSt15iterator_traitsISG_E10value_typeET2_T3_PNSH_ISM_E10value_typeET4_T5_PSR_SS_PNS1_23onesweep_lookback_stateEbbT6_jjT7_P12ihipStream_tbENKUlT_T0_SG_SL_E_clISA_SA_SB_SB_EEDaSZ_S10_SG_SL_EUlSZ_E_NS1_11comp_targetILNS1_3genE8ELNS1_11target_archE1030ELNS1_3gpuE2ELNS1_3repE0EEENS1_47radix_sort_onesweep_sort_config_static_selectorELNS0_4arch9wavefront6targetE0EEEvSG_,@function
_ZN7rocprim17ROCPRIM_400000_NS6detail17trampoline_kernelINS0_14default_configENS1_35radix_sort_onesweep_config_selectorItNS0_10empty_typeEEEZZNS1_29radix_sort_onesweep_iterationIS3_Lb0EPKtPtPS5_SB_mNS0_19identity_decomposerENS1_16block_id_wrapperIjLb1EEEEE10hipError_tT1_PNSt15iterator_traitsISG_E10value_typeET2_T3_PNSH_ISM_E10value_typeET4_T5_PSR_SS_PNS1_23onesweep_lookback_stateEbbT6_jjT7_P12ihipStream_tbENKUlT_T0_SG_SL_E_clISA_SA_SB_SB_EEDaSZ_S10_SG_SL_EUlSZ_E_NS1_11comp_targetILNS1_3genE8ELNS1_11target_archE1030ELNS1_3gpuE2ELNS1_3repE0EEENS1_47radix_sort_onesweep_sort_config_static_selectorELNS0_4arch9wavefront6targetE0EEEvSG_: ; @_ZN7rocprim17ROCPRIM_400000_NS6detail17trampoline_kernelINS0_14default_configENS1_35radix_sort_onesweep_config_selectorItNS0_10empty_typeEEEZZNS1_29radix_sort_onesweep_iterationIS3_Lb0EPKtPtPS5_SB_mNS0_19identity_decomposerENS1_16block_id_wrapperIjLb1EEEEE10hipError_tT1_PNSt15iterator_traitsISG_E10value_typeET2_T3_PNSH_ISM_E10value_typeET4_T5_PSR_SS_PNS1_23onesweep_lookback_stateEbbT6_jjT7_P12ihipStream_tbENKUlT_T0_SG_SL_E_clISA_SA_SB_SB_EEDaSZ_S10_SG_SL_EUlSZ_E_NS1_11comp_targetILNS1_3genE8ELNS1_11target_archE1030ELNS1_3gpuE2ELNS1_3repE0EEENS1_47radix_sort_onesweep_sort_config_static_selectorELNS0_4arch9wavefront6targetE0EEEvSG_
; %bb.0:
	.section	.rodata,"a",@progbits
	.p2align	6, 0x0
	.amdhsa_kernel _ZN7rocprim17ROCPRIM_400000_NS6detail17trampoline_kernelINS0_14default_configENS1_35radix_sort_onesweep_config_selectorItNS0_10empty_typeEEEZZNS1_29radix_sort_onesweep_iterationIS3_Lb0EPKtPtPS5_SB_mNS0_19identity_decomposerENS1_16block_id_wrapperIjLb1EEEEE10hipError_tT1_PNSt15iterator_traitsISG_E10value_typeET2_T3_PNSH_ISM_E10value_typeET4_T5_PSR_SS_PNS1_23onesweep_lookback_stateEbbT6_jjT7_P12ihipStream_tbENKUlT_T0_SG_SL_E_clISA_SA_SB_SB_EEDaSZ_S10_SG_SL_EUlSZ_E_NS1_11comp_targetILNS1_3genE8ELNS1_11target_archE1030ELNS1_3gpuE2ELNS1_3repE0EEENS1_47radix_sort_onesweep_sort_config_static_selectorELNS0_4arch9wavefront6targetE0EEEvSG_
		.amdhsa_group_segment_fixed_size 0
		.amdhsa_private_segment_fixed_size 0
		.amdhsa_kernarg_size 88
		.amdhsa_user_sgpr_count 2
		.amdhsa_user_sgpr_dispatch_ptr 0
		.amdhsa_user_sgpr_queue_ptr 0
		.amdhsa_user_sgpr_kernarg_segment_ptr 1
		.amdhsa_user_sgpr_dispatch_id 0
		.amdhsa_user_sgpr_kernarg_preload_length 0
		.amdhsa_user_sgpr_kernarg_preload_offset 0
		.amdhsa_user_sgpr_private_segment_size 0
		.amdhsa_wavefront_size32 1
		.amdhsa_uses_dynamic_stack 0
		.amdhsa_enable_private_segment 0
		.amdhsa_system_sgpr_workgroup_id_x 1
		.amdhsa_system_sgpr_workgroup_id_y 0
		.amdhsa_system_sgpr_workgroup_id_z 0
		.amdhsa_system_sgpr_workgroup_info 0
		.amdhsa_system_vgpr_workitem_id 0
		.amdhsa_next_free_vgpr 1
		.amdhsa_next_free_sgpr 1
		.amdhsa_named_barrier_count 0
		.amdhsa_reserve_vcc 0
		.amdhsa_float_round_mode_32 0
		.amdhsa_float_round_mode_16_64 0
		.amdhsa_float_denorm_mode_32 3
		.amdhsa_float_denorm_mode_16_64 3
		.amdhsa_fp16_overflow 0
		.amdhsa_memory_ordered 1
		.amdhsa_forward_progress 1
		.amdhsa_inst_pref_size 0
		.amdhsa_round_robin_scheduling 0
		.amdhsa_exception_fp_ieee_invalid_op 0
		.amdhsa_exception_fp_denorm_src 0
		.amdhsa_exception_fp_ieee_div_zero 0
		.amdhsa_exception_fp_ieee_overflow 0
		.amdhsa_exception_fp_ieee_underflow 0
		.amdhsa_exception_fp_ieee_inexact 0
		.amdhsa_exception_int_div_zero 0
	.end_amdhsa_kernel
	.section	.text._ZN7rocprim17ROCPRIM_400000_NS6detail17trampoline_kernelINS0_14default_configENS1_35radix_sort_onesweep_config_selectorItNS0_10empty_typeEEEZZNS1_29radix_sort_onesweep_iterationIS3_Lb0EPKtPtPS5_SB_mNS0_19identity_decomposerENS1_16block_id_wrapperIjLb1EEEEE10hipError_tT1_PNSt15iterator_traitsISG_E10value_typeET2_T3_PNSH_ISM_E10value_typeET4_T5_PSR_SS_PNS1_23onesweep_lookback_stateEbbT6_jjT7_P12ihipStream_tbENKUlT_T0_SG_SL_E_clISA_SA_SB_SB_EEDaSZ_S10_SG_SL_EUlSZ_E_NS1_11comp_targetILNS1_3genE8ELNS1_11target_archE1030ELNS1_3gpuE2ELNS1_3repE0EEENS1_47radix_sort_onesweep_sort_config_static_selectorELNS0_4arch9wavefront6targetE0EEEvSG_,"axG",@progbits,_ZN7rocprim17ROCPRIM_400000_NS6detail17trampoline_kernelINS0_14default_configENS1_35radix_sort_onesweep_config_selectorItNS0_10empty_typeEEEZZNS1_29radix_sort_onesweep_iterationIS3_Lb0EPKtPtPS5_SB_mNS0_19identity_decomposerENS1_16block_id_wrapperIjLb1EEEEE10hipError_tT1_PNSt15iterator_traitsISG_E10value_typeET2_T3_PNSH_ISM_E10value_typeET4_T5_PSR_SS_PNS1_23onesweep_lookback_stateEbbT6_jjT7_P12ihipStream_tbENKUlT_T0_SG_SL_E_clISA_SA_SB_SB_EEDaSZ_S10_SG_SL_EUlSZ_E_NS1_11comp_targetILNS1_3genE8ELNS1_11target_archE1030ELNS1_3gpuE2ELNS1_3repE0EEENS1_47radix_sort_onesweep_sort_config_static_selectorELNS0_4arch9wavefront6targetE0EEEvSG_,comdat
.Lfunc_end2514:
	.size	_ZN7rocprim17ROCPRIM_400000_NS6detail17trampoline_kernelINS0_14default_configENS1_35radix_sort_onesweep_config_selectorItNS0_10empty_typeEEEZZNS1_29radix_sort_onesweep_iterationIS3_Lb0EPKtPtPS5_SB_mNS0_19identity_decomposerENS1_16block_id_wrapperIjLb1EEEEE10hipError_tT1_PNSt15iterator_traitsISG_E10value_typeET2_T3_PNSH_ISM_E10value_typeET4_T5_PSR_SS_PNS1_23onesweep_lookback_stateEbbT6_jjT7_P12ihipStream_tbENKUlT_T0_SG_SL_E_clISA_SA_SB_SB_EEDaSZ_S10_SG_SL_EUlSZ_E_NS1_11comp_targetILNS1_3genE8ELNS1_11target_archE1030ELNS1_3gpuE2ELNS1_3repE0EEENS1_47radix_sort_onesweep_sort_config_static_selectorELNS0_4arch9wavefront6targetE0EEEvSG_, .Lfunc_end2514-_ZN7rocprim17ROCPRIM_400000_NS6detail17trampoline_kernelINS0_14default_configENS1_35radix_sort_onesweep_config_selectorItNS0_10empty_typeEEEZZNS1_29radix_sort_onesweep_iterationIS3_Lb0EPKtPtPS5_SB_mNS0_19identity_decomposerENS1_16block_id_wrapperIjLb1EEEEE10hipError_tT1_PNSt15iterator_traitsISG_E10value_typeET2_T3_PNSH_ISM_E10value_typeET4_T5_PSR_SS_PNS1_23onesweep_lookback_stateEbbT6_jjT7_P12ihipStream_tbENKUlT_T0_SG_SL_E_clISA_SA_SB_SB_EEDaSZ_S10_SG_SL_EUlSZ_E_NS1_11comp_targetILNS1_3genE8ELNS1_11target_archE1030ELNS1_3gpuE2ELNS1_3repE0EEENS1_47radix_sort_onesweep_sort_config_static_selectorELNS0_4arch9wavefront6targetE0EEEvSG_
                                        ; -- End function
	.set _ZN7rocprim17ROCPRIM_400000_NS6detail17trampoline_kernelINS0_14default_configENS1_35radix_sort_onesweep_config_selectorItNS0_10empty_typeEEEZZNS1_29radix_sort_onesweep_iterationIS3_Lb0EPKtPtPS5_SB_mNS0_19identity_decomposerENS1_16block_id_wrapperIjLb1EEEEE10hipError_tT1_PNSt15iterator_traitsISG_E10value_typeET2_T3_PNSH_ISM_E10value_typeET4_T5_PSR_SS_PNS1_23onesweep_lookback_stateEbbT6_jjT7_P12ihipStream_tbENKUlT_T0_SG_SL_E_clISA_SA_SB_SB_EEDaSZ_S10_SG_SL_EUlSZ_E_NS1_11comp_targetILNS1_3genE8ELNS1_11target_archE1030ELNS1_3gpuE2ELNS1_3repE0EEENS1_47radix_sort_onesweep_sort_config_static_selectorELNS0_4arch9wavefront6targetE0EEEvSG_.num_vgpr, 0
	.set _ZN7rocprim17ROCPRIM_400000_NS6detail17trampoline_kernelINS0_14default_configENS1_35radix_sort_onesweep_config_selectorItNS0_10empty_typeEEEZZNS1_29radix_sort_onesweep_iterationIS3_Lb0EPKtPtPS5_SB_mNS0_19identity_decomposerENS1_16block_id_wrapperIjLb1EEEEE10hipError_tT1_PNSt15iterator_traitsISG_E10value_typeET2_T3_PNSH_ISM_E10value_typeET4_T5_PSR_SS_PNS1_23onesweep_lookback_stateEbbT6_jjT7_P12ihipStream_tbENKUlT_T0_SG_SL_E_clISA_SA_SB_SB_EEDaSZ_S10_SG_SL_EUlSZ_E_NS1_11comp_targetILNS1_3genE8ELNS1_11target_archE1030ELNS1_3gpuE2ELNS1_3repE0EEENS1_47radix_sort_onesweep_sort_config_static_selectorELNS0_4arch9wavefront6targetE0EEEvSG_.num_agpr, 0
	.set _ZN7rocprim17ROCPRIM_400000_NS6detail17trampoline_kernelINS0_14default_configENS1_35radix_sort_onesweep_config_selectorItNS0_10empty_typeEEEZZNS1_29radix_sort_onesweep_iterationIS3_Lb0EPKtPtPS5_SB_mNS0_19identity_decomposerENS1_16block_id_wrapperIjLb1EEEEE10hipError_tT1_PNSt15iterator_traitsISG_E10value_typeET2_T3_PNSH_ISM_E10value_typeET4_T5_PSR_SS_PNS1_23onesweep_lookback_stateEbbT6_jjT7_P12ihipStream_tbENKUlT_T0_SG_SL_E_clISA_SA_SB_SB_EEDaSZ_S10_SG_SL_EUlSZ_E_NS1_11comp_targetILNS1_3genE8ELNS1_11target_archE1030ELNS1_3gpuE2ELNS1_3repE0EEENS1_47radix_sort_onesweep_sort_config_static_selectorELNS0_4arch9wavefront6targetE0EEEvSG_.numbered_sgpr, 0
	.set _ZN7rocprim17ROCPRIM_400000_NS6detail17trampoline_kernelINS0_14default_configENS1_35radix_sort_onesweep_config_selectorItNS0_10empty_typeEEEZZNS1_29radix_sort_onesweep_iterationIS3_Lb0EPKtPtPS5_SB_mNS0_19identity_decomposerENS1_16block_id_wrapperIjLb1EEEEE10hipError_tT1_PNSt15iterator_traitsISG_E10value_typeET2_T3_PNSH_ISM_E10value_typeET4_T5_PSR_SS_PNS1_23onesweep_lookback_stateEbbT6_jjT7_P12ihipStream_tbENKUlT_T0_SG_SL_E_clISA_SA_SB_SB_EEDaSZ_S10_SG_SL_EUlSZ_E_NS1_11comp_targetILNS1_3genE8ELNS1_11target_archE1030ELNS1_3gpuE2ELNS1_3repE0EEENS1_47radix_sort_onesweep_sort_config_static_selectorELNS0_4arch9wavefront6targetE0EEEvSG_.num_named_barrier, 0
	.set _ZN7rocprim17ROCPRIM_400000_NS6detail17trampoline_kernelINS0_14default_configENS1_35radix_sort_onesweep_config_selectorItNS0_10empty_typeEEEZZNS1_29radix_sort_onesweep_iterationIS3_Lb0EPKtPtPS5_SB_mNS0_19identity_decomposerENS1_16block_id_wrapperIjLb1EEEEE10hipError_tT1_PNSt15iterator_traitsISG_E10value_typeET2_T3_PNSH_ISM_E10value_typeET4_T5_PSR_SS_PNS1_23onesweep_lookback_stateEbbT6_jjT7_P12ihipStream_tbENKUlT_T0_SG_SL_E_clISA_SA_SB_SB_EEDaSZ_S10_SG_SL_EUlSZ_E_NS1_11comp_targetILNS1_3genE8ELNS1_11target_archE1030ELNS1_3gpuE2ELNS1_3repE0EEENS1_47radix_sort_onesweep_sort_config_static_selectorELNS0_4arch9wavefront6targetE0EEEvSG_.private_seg_size, 0
	.set _ZN7rocprim17ROCPRIM_400000_NS6detail17trampoline_kernelINS0_14default_configENS1_35radix_sort_onesweep_config_selectorItNS0_10empty_typeEEEZZNS1_29radix_sort_onesweep_iterationIS3_Lb0EPKtPtPS5_SB_mNS0_19identity_decomposerENS1_16block_id_wrapperIjLb1EEEEE10hipError_tT1_PNSt15iterator_traitsISG_E10value_typeET2_T3_PNSH_ISM_E10value_typeET4_T5_PSR_SS_PNS1_23onesweep_lookback_stateEbbT6_jjT7_P12ihipStream_tbENKUlT_T0_SG_SL_E_clISA_SA_SB_SB_EEDaSZ_S10_SG_SL_EUlSZ_E_NS1_11comp_targetILNS1_3genE8ELNS1_11target_archE1030ELNS1_3gpuE2ELNS1_3repE0EEENS1_47radix_sort_onesweep_sort_config_static_selectorELNS0_4arch9wavefront6targetE0EEEvSG_.uses_vcc, 0
	.set _ZN7rocprim17ROCPRIM_400000_NS6detail17trampoline_kernelINS0_14default_configENS1_35radix_sort_onesweep_config_selectorItNS0_10empty_typeEEEZZNS1_29radix_sort_onesweep_iterationIS3_Lb0EPKtPtPS5_SB_mNS0_19identity_decomposerENS1_16block_id_wrapperIjLb1EEEEE10hipError_tT1_PNSt15iterator_traitsISG_E10value_typeET2_T3_PNSH_ISM_E10value_typeET4_T5_PSR_SS_PNS1_23onesweep_lookback_stateEbbT6_jjT7_P12ihipStream_tbENKUlT_T0_SG_SL_E_clISA_SA_SB_SB_EEDaSZ_S10_SG_SL_EUlSZ_E_NS1_11comp_targetILNS1_3genE8ELNS1_11target_archE1030ELNS1_3gpuE2ELNS1_3repE0EEENS1_47radix_sort_onesweep_sort_config_static_selectorELNS0_4arch9wavefront6targetE0EEEvSG_.uses_flat_scratch, 0
	.set _ZN7rocprim17ROCPRIM_400000_NS6detail17trampoline_kernelINS0_14default_configENS1_35radix_sort_onesweep_config_selectorItNS0_10empty_typeEEEZZNS1_29radix_sort_onesweep_iterationIS3_Lb0EPKtPtPS5_SB_mNS0_19identity_decomposerENS1_16block_id_wrapperIjLb1EEEEE10hipError_tT1_PNSt15iterator_traitsISG_E10value_typeET2_T3_PNSH_ISM_E10value_typeET4_T5_PSR_SS_PNS1_23onesweep_lookback_stateEbbT6_jjT7_P12ihipStream_tbENKUlT_T0_SG_SL_E_clISA_SA_SB_SB_EEDaSZ_S10_SG_SL_EUlSZ_E_NS1_11comp_targetILNS1_3genE8ELNS1_11target_archE1030ELNS1_3gpuE2ELNS1_3repE0EEENS1_47radix_sort_onesweep_sort_config_static_selectorELNS0_4arch9wavefront6targetE0EEEvSG_.has_dyn_sized_stack, 0
	.set _ZN7rocprim17ROCPRIM_400000_NS6detail17trampoline_kernelINS0_14default_configENS1_35radix_sort_onesweep_config_selectorItNS0_10empty_typeEEEZZNS1_29radix_sort_onesweep_iterationIS3_Lb0EPKtPtPS5_SB_mNS0_19identity_decomposerENS1_16block_id_wrapperIjLb1EEEEE10hipError_tT1_PNSt15iterator_traitsISG_E10value_typeET2_T3_PNSH_ISM_E10value_typeET4_T5_PSR_SS_PNS1_23onesweep_lookback_stateEbbT6_jjT7_P12ihipStream_tbENKUlT_T0_SG_SL_E_clISA_SA_SB_SB_EEDaSZ_S10_SG_SL_EUlSZ_E_NS1_11comp_targetILNS1_3genE8ELNS1_11target_archE1030ELNS1_3gpuE2ELNS1_3repE0EEENS1_47radix_sort_onesweep_sort_config_static_selectorELNS0_4arch9wavefront6targetE0EEEvSG_.has_recursion, 0
	.set _ZN7rocprim17ROCPRIM_400000_NS6detail17trampoline_kernelINS0_14default_configENS1_35radix_sort_onesweep_config_selectorItNS0_10empty_typeEEEZZNS1_29radix_sort_onesweep_iterationIS3_Lb0EPKtPtPS5_SB_mNS0_19identity_decomposerENS1_16block_id_wrapperIjLb1EEEEE10hipError_tT1_PNSt15iterator_traitsISG_E10value_typeET2_T3_PNSH_ISM_E10value_typeET4_T5_PSR_SS_PNS1_23onesweep_lookback_stateEbbT6_jjT7_P12ihipStream_tbENKUlT_T0_SG_SL_E_clISA_SA_SB_SB_EEDaSZ_S10_SG_SL_EUlSZ_E_NS1_11comp_targetILNS1_3genE8ELNS1_11target_archE1030ELNS1_3gpuE2ELNS1_3repE0EEENS1_47radix_sort_onesweep_sort_config_static_selectorELNS0_4arch9wavefront6targetE0EEEvSG_.has_indirect_call, 0
	.section	.AMDGPU.csdata,"",@progbits
; Kernel info:
; codeLenInByte = 0
; TotalNumSgprs: 0
; NumVgprs: 0
; ScratchSize: 0
; MemoryBound: 0
; FloatMode: 240
; IeeeMode: 1
; LDSByteSize: 0 bytes/workgroup (compile time only)
; SGPRBlocks: 0
; VGPRBlocks: 0
; NumSGPRsForWavesPerEU: 1
; NumVGPRsForWavesPerEU: 1
; NamedBarCnt: 0
; Occupancy: 16
; WaveLimiterHint : 0
; COMPUTE_PGM_RSRC2:SCRATCH_EN: 0
; COMPUTE_PGM_RSRC2:USER_SGPR: 2
; COMPUTE_PGM_RSRC2:TRAP_HANDLER: 0
; COMPUTE_PGM_RSRC2:TGID_X_EN: 1
; COMPUTE_PGM_RSRC2:TGID_Y_EN: 0
; COMPUTE_PGM_RSRC2:TGID_Z_EN: 0
; COMPUTE_PGM_RSRC2:TIDIG_COMP_CNT: 0
	.section	.text._ZN7rocprim17ROCPRIM_400000_NS6detail17trampoline_kernelINS0_14default_configENS1_35radix_sort_onesweep_config_selectorItNS0_10empty_typeEEEZZNS1_29radix_sort_onesweep_iterationIS3_Lb0EPKtPtPS5_SB_mNS0_19identity_decomposerENS1_16block_id_wrapperIjLb0EEEEE10hipError_tT1_PNSt15iterator_traitsISG_E10value_typeET2_T3_PNSH_ISM_E10value_typeET4_T5_PSR_SS_PNS1_23onesweep_lookback_stateEbbT6_jjT7_P12ihipStream_tbENKUlT_T0_SG_SL_E_clIS9_SA_SB_SB_EEDaSZ_S10_SG_SL_EUlSZ_E_NS1_11comp_targetILNS1_3genE0ELNS1_11target_archE4294967295ELNS1_3gpuE0ELNS1_3repE0EEENS1_47radix_sort_onesweep_sort_config_static_selectorELNS0_4arch9wavefront6targetE0EEEvSG_,"axG",@progbits,_ZN7rocprim17ROCPRIM_400000_NS6detail17trampoline_kernelINS0_14default_configENS1_35radix_sort_onesweep_config_selectorItNS0_10empty_typeEEEZZNS1_29radix_sort_onesweep_iterationIS3_Lb0EPKtPtPS5_SB_mNS0_19identity_decomposerENS1_16block_id_wrapperIjLb0EEEEE10hipError_tT1_PNSt15iterator_traitsISG_E10value_typeET2_T3_PNSH_ISM_E10value_typeET4_T5_PSR_SS_PNS1_23onesweep_lookback_stateEbbT6_jjT7_P12ihipStream_tbENKUlT_T0_SG_SL_E_clIS9_SA_SB_SB_EEDaSZ_S10_SG_SL_EUlSZ_E_NS1_11comp_targetILNS1_3genE0ELNS1_11target_archE4294967295ELNS1_3gpuE0ELNS1_3repE0EEENS1_47radix_sort_onesweep_sort_config_static_selectorELNS0_4arch9wavefront6targetE0EEEvSG_,comdat
	.protected	_ZN7rocprim17ROCPRIM_400000_NS6detail17trampoline_kernelINS0_14default_configENS1_35radix_sort_onesweep_config_selectorItNS0_10empty_typeEEEZZNS1_29radix_sort_onesweep_iterationIS3_Lb0EPKtPtPS5_SB_mNS0_19identity_decomposerENS1_16block_id_wrapperIjLb0EEEEE10hipError_tT1_PNSt15iterator_traitsISG_E10value_typeET2_T3_PNSH_ISM_E10value_typeET4_T5_PSR_SS_PNS1_23onesweep_lookback_stateEbbT6_jjT7_P12ihipStream_tbENKUlT_T0_SG_SL_E_clIS9_SA_SB_SB_EEDaSZ_S10_SG_SL_EUlSZ_E_NS1_11comp_targetILNS1_3genE0ELNS1_11target_archE4294967295ELNS1_3gpuE0ELNS1_3repE0EEENS1_47radix_sort_onesweep_sort_config_static_selectorELNS0_4arch9wavefront6targetE0EEEvSG_ ; -- Begin function _ZN7rocprim17ROCPRIM_400000_NS6detail17trampoline_kernelINS0_14default_configENS1_35radix_sort_onesweep_config_selectorItNS0_10empty_typeEEEZZNS1_29radix_sort_onesweep_iterationIS3_Lb0EPKtPtPS5_SB_mNS0_19identity_decomposerENS1_16block_id_wrapperIjLb0EEEEE10hipError_tT1_PNSt15iterator_traitsISG_E10value_typeET2_T3_PNSH_ISM_E10value_typeET4_T5_PSR_SS_PNS1_23onesweep_lookback_stateEbbT6_jjT7_P12ihipStream_tbENKUlT_T0_SG_SL_E_clIS9_SA_SB_SB_EEDaSZ_S10_SG_SL_EUlSZ_E_NS1_11comp_targetILNS1_3genE0ELNS1_11target_archE4294967295ELNS1_3gpuE0ELNS1_3repE0EEENS1_47radix_sort_onesweep_sort_config_static_selectorELNS0_4arch9wavefront6targetE0EEEvSG_
	.globl	_ZN7rocprim17ROCPRIM_400000_NS6detail17trampoline_kernelINS0_14default_configENS1_35radix_sort_onesweep_config_selectorItNS0_10empty_typeEEEZZNS1_29radix_sort_onesweep_iterationIS3_Lb0EPKtPtPS5_SB_mNS0_19identity_decomposerENS1_16block_id_wrapperIjLb0EEEEE10hipError_tT1_PNSt15iterator_traitsISG_E10value_typeET2_T3_PNSH_ISM_E10value_typeET4_T5_PSR_SS_PNS1_23onesweep_lookback_stateEbbT6_jjT7_P12ihipStream_tbENKUlT_T0_SG_SL_E_clIS9_SA_SB_SB_EEDaSZ_S10_SG_SL_EUlSZ_E_NS1_11comp_targetILNS1_3genE0ELNS1_11target_archE4294967295ELNS1_3gpuE0ELNS1_3repE0EEENS1_47radix_sort_onesweep_sort_config_static_selectorELNS0_4arch9wavefront6targetE0EEEvSG_
	.p2align	8
	.type	_ZN7rocprim17ROCPRIM_400000_NS6detail17trampoline_kernelINS0_14default_configENS1_35radix_sort_onesweep_config_selectorItNS0_10empty_typeEEEZZNS1_29radix_sort_onesweep_iterationIS3_Lb0EPKtPtPS5_SB_mNS0_19identity_decomposerENS1_16block_id_wrapperIjLb0EEEEE10hipError_tT1_PNSt15iterator_traitsISG_E10value_typeET2_T3_PNSH_ISM_E10value_typeET4_T5_PSR_SS_PNS1_23onesweep_lookback_stateEbbT6_jjT7_P12ihipStream_tbENKUlT_T0_SG_SL_E_clIS9_SA_SB_SB_EEDaSZ_S10_SG_SL_EUlSZ_E_NS1_11comp_targetILNS1_3genE0ELNS1_11target_archE4294967295ELNS1_3gpuE0ELNS1_3repE0EEENS1_47radix_sort_onesweep_sort_config_static_selectorELNS0_4arch9wavefront6targetE0EEEvSG_,@function
_ZN7rocprim17ROCPRIM_400000_NS6detail17trampoline_kernelINS0_14default_configENS1_35radix_sort_onesweep_config_selectorItNS0_10empty_typeEEEZZNS1_29radix_sort_onesweep_iterationIS3_Lb0EPKtPtPS5_SB_mNS0_19identity_decomposerENS1_16block_id_wrapperIjLb0EEEEE10hipError_tT1_PNSt15iterator_traitsISG_E10value_typeET2_T3_PNSH_ISM_E10value_typeET4_T5_PSR_SS_PNS1_23onesweep_lookback_stateEbbT6_jjT7_P12ihipStream_tbENKUlT_T0_SG_SL_E_clIS9_SA_SB_SB_EEDaSZ_S10_SG_SL_EUlSZ_E_NS1_11comp_targetILNS1_3genE0ELNS1_11target_archE4294967295ELNS1_3gpuE0ELNS1_3repE0EEENS1_47radix_sort_onesweep_sort_config_static_selectorELNS0_4arch9wavefront6targetE0EEEvSG_: ; @_ZN7rocprim17ROCPRIM_400000_NS6detail17trampoline_kernelINS0_14default_configENS1_35radix_sort_onesweep_config_selectorItNS0_10empty_typeEEEZZNS1_29radix_sort_onesweep_iterationIS3_Lb0EPKtPtPS5_SB_mNS0_19identity_decomposerENS1_16block_id_wrapperIjLb0EEEEE10hipError_tT1_PNSt15iterator_traitsISG_E10value_typeET2_T3_PNSH_ISM_E10value_typeET4_T5_PSR_SS_PNS1_23onesweep_lookback_stateEbbT6_jjT7_P12ihipStream_tbENKUlT_T0_SG_SL_E_clIS9_SA_SB_SB_EEDaSZ_S10_SG_SL_EUlSZ_E_NS1_11comp_targetILNS1_3genE0ELNS1_11target_archE4294967295ELNS1_3gpuE0ELNS1_3repE0EEENS1_47radix_sort_onesweep_sort_config_static_selectorELNS0_4arch9wavefront6targetE0EEEvSG_
; %bb.0:
	s_clause 0x3
	s_load_b96 s[20:22], s[0:1], 0x44
	s_load_b64 s[10:11], s[0:1], 0x38
	s_load_b128 s[16:19], s[0:1], 0x0
	s_load_b128 s[12:15], s[0:1], 0x28
	s_bfe_u32 s2, ttmp6, 0x4000c
	s_and_b32 s3, ttmp6, 15
	s_add_co_i32 s2, s2, 1
	s_getreg_b32 s4, hwreg(HW_REG_IB_STS2, 6, 4)
	s_mul_i32 s5, ttmp9, s2
	v_mbcnt_lo_u32_b32 v14, -1, 0
	s_add_co_i32 s3, s3, s5
	s_cmp_eq_u32 s4, 0
	v_and_b32_e32 v15, 0x1e0, v0
	s_cselect_b32 s9, ttmp9, s3
	s_mov_b32 s25, 0
	s_mov_b32 s2, -1
	s_mul_i32 s24, s9, 0x1800
	s_add_nc_u64 s[26:27], s[0:1], 0x58
	s_wait_kmcnt 0x0
	s_cmp_ge_u32 s9, s22
	s_cbranch_scc0 .LBB2515_96
; %bb.1:
	s_load_b32 s4, s[0:1], 0x20
	v_dual_mov_b32 v3, 0 :: v_dual_lshlrev_b32 v2, 1, v14
	s_lshl_b64 s[2:3], s[24:25], 1
	v_mul_u32_u24_e32 v1, 12, v15
	s_add_nc_u64 s[2:3], s[16:17], s[2:3]
	v_mov_b32_e32 v27, 0xffff
	v_add_nc_u64_e32 v[4:5], s[2:3], v[2:3]
	s_delay_alu instid0(VALU_DEP_3) | instskip(SKIP_3) | instid1(VALU_DEP_3)
	v_dual_mov_b32 v10, -1 :: v_dual_lshlrev_b32 v2, 1, v1
	v_dual_mov_b32 v11, -1 :: v_dual_bitop2_b32 v1, v14, v1 bitop3:0x54
	v_mov_b32_e32 v24, 0xffff
	s_mul_i32 s5, s22, 0xffffe800
	v_add_nc_u64_e32 v[2:3], v[4:5], v[2:3]
	s_mov_b32 s2, exec_lo
	s_wait_kmcnt 0x0
	s_add_co_i32 s22, s4, s5
	s_delay_alu instid0(SALU_CYCLE_1)
	v_cmpx_gt_u32_e64 s22, v1
	s_cbranch_execz .LBB2515_3
; %bb.2:
	global_load_u16 v11, v[2:3], off
	s_wait_loadcnt 0x0
	v_and_b32_e32 v24, 0xffff, v11
.LBB2515_3:
	s_or_b32 exec_lo, exec_lo, s2
	v_or_b32_e32 v4, 32, v1
	s_mov_b32 s2, exec_lo
	s_delay_alu instid0(VALU_DEP_1)
	v_cmpx_gt_u32_e64 s22, v4
	s_cbranch_execz .LBB2515_5
; %bb.4:
	global_load_u16 v10, v[2:3], off offset:64
	s_wait_loadcnt 0x0
	v_and_b32_e32 v27, 0xffff, v10
.LBB2515_5:
	s_or_b32 exec_lo, exec_lo, s2
	v_dual_mov_b32 v12, -1 :: v_dual_bitop2_b32 v4, 64, v1 bitop3:0x54
	v_dual_mov_b32 v33, 0xffff :: v_dual_mov_b32 v30, 0xffff
	v_mov_b32_e32 v13, -1
	s_mov_b32 s2, exec_lo
	s_delay_alu instid0(VALU_DEP_3)
	v_cmpx_gt_u32_e64 s22, v4
	s_cbranch_execz .LBB2515_7
; %bb.6:
	global_load_u16 v13, v[2:3], off offset:128
	s_wait_loadcnt 0x0
	v_and_b32_e32 v30, 0xffff, v13
.LBB2515_7:
	s_or_b32 exec_lo, exec_lo, s2
	v_or_b32_e32 v4, 0x60, v1
	s_mov_b32 s2, exec_lo
	s_delay_alu instid0(VALU_DEP_1)
	v_cmpx_gt_u32_e64 s22, v4
	s_cbranch_execz .LBB2515_9
; %bb.8:
	global_load_u16 v12, v[2:3], off offset:192
	s_wait_loadcnt 0x0
	v_and_b32_e32 v33, 0xffff, v12
.LBB2515_9:
	s_or_b32 exec_lo, exec_lo, s2
	v_dual_mov_b32 v17, -1 :: v_dual_add_nc_u32 v4, 0x80, v1
	v_dual_mov_b32 v39, 0xffff :: v_dual_mov_b32 v16, -1
	v_mov_b32_e32 v36, 0xffff
	s_mov_b32 s2, exec_lo
	s_delay_alu instid0(VALU_DEP_3)
	v_cmpx_gt_u32_e64 s22, v4
	s_cbranch_execz .LBB2515_11
; %bb.10:
	global_load_u16 v17, v[2:3], off offset:256
	s_wait_loadcnt 0x0
	v_and_b32_e32 v36, 0xffff, v17
.LBB2515_11:
	s_or_b32 exec_lo, exec_lo, s2
	v_add_nc_u32_e32 v4, 0xa0, v1
	s_mov_b32 s2, exec_lo
	s_delay_alu instid0(VALU_DEP_1)
	v_cmpx_gt_u32_e64 s22, v4
	s_cbranch_execz .LBB2515_13
; %bb.12:
	global_load_u16 v16, v[2:3], off offset:320
	s_wait_loadcnt 0x0
	v_and_b32_e32 v39, 0xffff, v16
.LBB2515_13:
	s_or_b32 exec_lo, exec_lo, s2
	v_dual_mov_b32 v19, -1 :: v_dual_add_nc_u32 v4, 0xc0, v1
	v_dual_mov_b32 v8, 0xffff :: v_dual_mov_b32 v9, 0xffff
	v_mov_b32_e32 v18, -1
	s_mov_b32 s2, exec_lo
	s_delay_alu instid0(VALU_DEP_3)
	v_cmpx_gt_u32_e64 s22, v4
	s_cbranch_execz .LBB2515_15
; %bb.14:
	global_load_u16 v19, v[2:3], off offset:384
	s_wait_loadcnt 0x0
	v_and_b32_e32 v9, 0xffff, v19
.LBB2515_15:
	s_or_b32 exec_lo, exec_lo, s2
	v_add_nc_u32_e32 v4, 0xe0, v1
	s_mov_b32 s2, exec_lo
	s_delay_alu instid0(VALU_DEP_1)
	v_cmpx_gt_u32_e64 s22, v4
	s_cbranch_execz .LBB2515_17
; %bb.16:
	global_load_u16 v18, v[2:3], off offset:448
	s_wait_loadcnt 0x0
	v_and_b32_e32 v8, 0xffff, v18
.LBB2515_17:
	s_or_b32 exec_lo, exec_lo, s2
	v_dual_mov_b32 v21, -1 :: v_dual_add_nc_u32 v4, 0x100, v1
	v_dual_mov_b32 v6, 0xffff :: v_dual_mov_b32 v7, 0xffff
	v_mov_b32_e32 v20, -1
	s_mov_b32 s2, exec_lo
	s_delay_alu instid0(VALU_DEP_3)
	v_cmpx_gt_u32_e64 s22, v4
	s_cbranch_execz .LBB2515_19
; %bb.18:
	global_load_u16 v21, v[2:3], off offset:512
	s_wait_loadcnt 0x0
	v_and_b32_e32 v7, 0xffff, v21
.LBB2515_19:
	s_or_b32 exec_lo, exec_lo, s2
	v_add_nc_u32_e32 v4, 0x120, v1
	s_mov_b32 s2, exec_lo
	s_delay_alu instid0(VALU_DEP_1)
	v_cmpx_gt_u32_e64 s22, v4
	s_cbranch_execz .LBB2515_21
; %bb.20:
	global_load_u16 v20, v[2:3], off offset:576
	s_wait_loadcnt 0x0
	v_and_b32_e32 v6, 0xffff, v20
.LBB2515_21:
	s_or_b32 exec_lo, exec_lo, s2
	v_dual_mov_b32 v22, -1 :: v_dual_add_nc_u32 v5, 0x140, v1
	v_dual_mov_b32 v4, 0xffff :: v_dual_mov_b32 v23, -1
	s_delay_alu instid0(VALU_DEP_2)
	v_cmp_gt_u32_e32 vcc_lo, s22, v5
	v_mov_b32_e32 v5, 0xffff
	s_and_saveexec_b32 s2, vcc_lo
	s_cbranch_execz .LBB2515_23
; %bb.22:
	global_load_u16 v23, v[2:3], off offset:640
	s_wait_loadcnt 0x0
	v_and_b32_e32 v5, 0xffff, v23
.LBB2515_23:
	s_or_b32 exec_lo, exec_lo, s2
	v_add_nc_u32_e32 v25, 0x160, v1
	v_and_b32_e32 v1, 0x3ff, v0
	s_mov_b32 s2, exec_lo
	s_delay_alu instid0(VALU_DEP_2)
	v_cmpx_gt_u32_e64 s22, v25
	s_cbranch_execz .LBB2515_25
; %bb.24:
	global_load_u16 v22, v[2:3], off offset:704
	s_wait_loadcnt 0x0
	v_and_b32_e32 v4, 0xffff, v22
.LBB2515_25:
	s_or_b32 exec_lo, exec_lo, s2
	s_clause 0x1
	s_load_b32 s23, s[0:1], 0x58
	s_load_u16 s4, s[0:1], 0x66
	v_lshrrev_b32_e32 v24, s20, v24
	v_bfe_u32 v2, v0, 10, 10
	v_bfe_u32 v3, v0, 20, 10
	s_mov_b32 s3, 0
	s_wait_kmcnt 0x0
	s_cmp_lt_u32 s9, s23
	s_delay_alu instid0(VALU_DEP_1)
	v_mad_u32_u24 v2, v3, s4, v2
	s_cselect_b32 s2, 12, 18
	s_lshl_b32 s25, -1, s21
	s_add_nc_u64 s[2:3], s[26:27], s[2:3]
	v_bitop3_b32 v26, v24, s25, v24 bitop3:0x30
	s_load_u16 s28, s[2:3], 0x0
	s_delay_alu instid0(VALU_DEP_1) | instskip(SKIP_4) | instid1(VALU_DEP_3)
	v_lshlrev_b32_e32 v25, 30, v26
	v_bitop3_b32 v3, v24, 1, s25 bitop3:0x40
	v_dual_lshlrev_b32 v28, 29, v26 :: v_dual_lshlrev_b32 v29, 28, v26
	v_dual_lshlrev_b32 v31, 27, v26 :: v_dual_lshlrev_b32 v32, 26, v26
	s_wait_xcnt 0x0
	v_add_co_u32 v3, s2, v3, -1
	s_delay_alu instid0(VALU_DEP_1) | instskip(SKIP_3) | instid1(VALU_DEP_4)
	v_cndmask_b32_e64 v24, 0, 1, s2
	v_dual_lshlrev_b32 v34, 25, v26 :: v_dual_lshlrev_b32 v35, 24, v26
	v_cmp_gt_i32_e64 s2, 0, v25
	v_cmp_gt_i32_e64 s3, 0, v28
	v_cmp_ne_u32_e32 vcc_lo, 0, v24
	v_not_b32_e32 v24, v25
	v_not_b32_e32 v25, v28
	v_not_b32_e32 v28, v29
	s_wait_kmcnt 0x0
	v_mad_u32 v2, v2, s28, v1
	v_cmp_gt_i32_e64 s4, 0, v29
	v_dual_ashrrev_i32 v24, 31, v24 :: v_dual_bitop2_b32 v3, vcc_lo, v3 bitop3:0x14
	v_cmp_gt_i32_e64 s5, 0, v31
	v_not_b32_e32 v29, v31
	v_cmp_gt_i32_e64 s6, 0, v32
	v_not_b32_e32 v31, v32
	v_not_b32_e32 v32, v34
	v_dual_ashrrev_i32 v25, 31, v25 :: v_dual_ashrrev_i32 v28, 31, v28
	v_dual_ashrrev_i32 v29, 31, v29 :: v_dual_bitop2_b32 v24, s2, v24 bitop3:0x14
	v_cmp_gt_i32_e64 s7, 0, v34
	v_not_b32_e32 v34, v35
	s_delay_alu instid0(VALU_DEP_4)
	v_dual_ashrrev_i32 v31, 31, v31 :: v_dual_bitop2_b32 v25, s3, v25 bitop3:0x14
	v_xor_b32_e32 v28, s4, v28
	v_bitop3_b32 v3, v3, v24, exec_lo bitop3:0x80
	v_dual_ashrrev_i32 v24, 31, v32 :: v_dual_bitop2_b32 v29, s5, v29 bitop3:0x14
	v_cmp_gt_i32_e64 s8, 0, v35
	v_dual_ashrrev_i32 v32, 31, v34 :: v_dual_bitop2_b32 v31, s6, v31 bitop3:0x14
	s_delay_alu instid0(VALU_DEP_4) | instskip(NEXT) | instid1(VALU_DEP_4)
	v_bitop3_b32 v3, v3, v28, v25 bitop3:0x80
	v_dual_lshrrev_b32 v2, 3, v2 :: v_dual_bitop2_b32 v24, s7, v24 bitop3:0x14
	v_mov_b32_e32 v28, 0
	v_mul_u32_u24_e32 v26, 0x44, v26
	s_delay_alu instid0(VALU_DEP_4)
	v_bitop3_b32 v3, v3, v31, v29 bitop3:0x80
	v_mul_u32_u24_e32 v25, 36, v1
	v_and_b32_e32 v2, 0x1ffffffc, v2
	v_xor_b32_e32 v32, s8, v32
	s_not_b32 s6, s25
	ds_store_2addr_b32 v25, v28, v28 offset0:16 offset1:17
	ds_store_2addr_b32 v25, v28, v28 offset0:18 offset1:19
	;; [unrolled: 1-line block ×4, first 2 shown]
	ds_store_b32 v25, v28 offset:96
	v_add_nc_u32_e32 v26, v2, v26
	v_bitop3_b32 v3, v3, v32, v24 bitop3:0x80
	s_wait_dscnt 0x0
	s_barrier_signal -1
	s_barrier_wait -1
	s_delay_alu instid0(VALU_DEP_1) | instskip(SKIP_1) | instid1(VALU_DEP_2)
	v_mbcnt_lo_u32_b32 v24, v3, 0
	v_cmp_ne_u32_e64 s2, 0, v3
	; wave barrier
	v_cmp_eq_u32_e32 vcc_lo, 0, v24
	s_and_b32 s3, s2, vcc_lo
	s_delay_alu instid0(SALU_CYCLE_1)
	s_and_saveexec_b32 s2, s3
; %bb.26:
	v_bcnt_u32_b32 v3, v3, 0
	ds_store_b32 v26, v3 offset:64
; %bb.27:
	s_or_b32 exec_lo, exec_lo, s2
	v_lshrrev_b32_e32 v3, s20, v27
	; wave barrier
	s_delay_alu instid0(VALU_DEP_1) | instskip(NEXT) | instid1(VALU_DEP_1)
	v_and_b32_e32 v29, s6, v3
	v_lshlrev_b32_e32 v28, 30, v29
	v_bitop3_b32 v27, v3, 1, s6 bitop3:0x80
	v_lshlrev_b32_e32 v31, 29, v29
	s_delay_alu instid0(VALU_DEP_2) | instskip(NEXT) | instid1(VALU_DEP_1)
	v_add_co_u32 v3, s2, v27, -1
	v_cndmask_b32_e64 v27, 0, 1, s2
	v_cmp_gt_i32_e64 s2, 0, v28
	s_delay_alu instid0(VALU_DEP_2) | instskip(SKIP_2) | instid1(VALU_DEP_1)
	v_cmp_ne_u32_e32 vcc_lo, 0, v27
	v_not_b32_e32 v27, v28
	v_not_b32_e32 v28, v31
	v_dual_ashrrev_i32 v28, 31, v28 :: v_dual_lshlrev_b32 v32, 28, v29
	v_dual_lshlrev_b32 v34, 27, v29 :: v_dual_lshlrev_b32 v35, 26, v29
	v_cmp_gt_i32_e64 s3, 0, v31
	v_ashrrev_i32_e32 v27, 31, v27
	s_delay_alu instid0(VALU_DEP_4)
	v_not_b32_e32 v31, v32
	v_cmp_gt_i32_e64 s4, 0, v32
	v_cmp_gt_i32_e64 s5, 0, v34
	v_not_b32_e32 v32, v34
	v_xor_b32_e32 v3, vcc_lo, v3
	v_not_b32_e32 v34, v35
	v_dual_ashrrev_i32 v31, 31, v31 :: v_dual_bitop2_b32 v28, s3, v28 bitop3:0x14
	v_dual_lshlrev_b32 v37, 25, v29 :: v_dual_bitop2_b32 v27, s2, v27 bitop3:0x14
	v_lshlrev_b32_e32 v38, 24, v29
	v_cmp_gt_i32_e32 vcc_lo, 0, v35
	s_delay_alu instid0(VALU_DEP_3) | instskip(SKIP_4) | instid1(VALU_DEP_3)
	v_bitop3_b32 v3, v3, v27, exec_lo bitop3:0x80
	v_dual_ashrrev_i32 v27, 31, v32 :: v_dual_ashrrev_i32 v32, 31, v34
	v_xor_b32_e32 v31, s4, v31
	v_not_b32_e32 v34, v37
	v_cmp_gt_i32_e64 s2, 0, v38
	v_bitop3_b32 v3, v3, v31, v28 bitop3:0x80
	v_not_b32_e32 v28, v38
	v_xor_b32_e32 v31, vcc_lo, v32
	v_cmp_gt_i32_e32 vcc_lo, 0, v37
	v_ashrrev_i32_e32 v32, 31, v34
	v_mad_u32_u24 v34, 0x44, v29, v2
	v_ashrrev_i32_e32 v28, 31, v28
	v_mul_u32_u24_e32 v29, 0x44, v29
	v_xor_b32_e32 v27, s5, v27
	s_delay_alu instid0(VALU_DEP_2) | instskip(NEXT) | instid1(VALU_DEP_2)
	v_dual_add_nc_u32 v29, v2, v29 :: v_dual_bitop2_b32 v28, s2, v28 bitop3:0x14
	v_bitop3_b32 v3, v3, v31, v27 bitop3:0x80
	v_xor_b32_e32 v31, vcc_lo, v32
	ds_load_b32 v27, v34 offset:64
	; wave barrier
	v_bitop3_b32 v3, v3, v28, v31 bitop3:0x80
	s_delay_alu instid0(VALU_DEP_1) | instskip(SKIP_1) | instid1(VALU_DEP_2)
	v_mbcnt_lo_u32_b32 v28, v3, 0
	v_cmp_ne_u32_e64 s2, 0, v3
	v_cmp_eq_u32_e32 vcc_lo, 0, v28
	s_and_b32 s3, s2, vcc_lo
	s_delay_alu instid0(SALU_CYCLE_1)
	s_and_saveexec_b32 s2, s3
	s_cbranch_execz .LBB2515_29
; %bb.28:
	s_wait_dscnt 0x0
	v_bcnt_u32_b32 v3, v3, v27
	ds_store_b32 v29, v3 offset:64
.LBB2515_29:
	s_or_b32 exec_lo, exec_lo, s2
	v_lshrrev_b32_e32 v3, s20, v30
	; wave barrier
	s_delay_alu instid0(VALU_DEP_1) | instskip(NEXT) | instid1(VALU_DEP_1)
	v_and_b32_e32 v32, s6, v3
	v_lshlrev_b32_e32 v31, 30, v32
	v_bitop3_b32 v30, v3, 1, s6 bitop3:0x80
	s_delay_alu instid0(VALU_DEP_1) | instskip(NEXT) | instid1(VALU_DEP_1)
	v_add_co_u32 v3, s2, v30, -1
	v_cndmask_b32_e64 v30, 0, 1, s2
	s_delay_alu instid0(VALU_DEP_4) | instskip(NEXT) | instid1(VALU_DEP_2)
	v_cmp_gt_i32_e64 s2, 0, v31
	v_cmp_ne_u32_e32 vcc_lo, 0, v30
	v_not_b32_e32 v30, v31
	s_delay_alu instid0(VALU_DEP_1) | instskip(SKIP_3) | instid1(VALU_DEP_4)
	v_dual_ashrrev_i32 v30, 31, v30 :: v_dual_lshlrev_b32 v34, 29, v32
	v_dual_lshlrev_b32 v35, 28, v32 :: v_dual_lshlrev_b32 v37, 27, v32
	v_dual_lshlrev_b32 v38, 26, v32 :: v_dual_lshlrev_b32 v40, 25, v32
	v_lshlrev_b32_e32 v41, 24, v32
	v_cmp_gt_i32_e64 s3, 0, v34
	v_not_b32_e32 v31, v34
	v_not_b32_e32 v34, v35
	v_cmp_gt_i32_e64 s4, 0, v35
	v_xor_b32_e32 v3, vcc_lo, v3
	s_delay_alu instid0(VALU_DEP_4) | instskip(NEXT) | instid1(VALU_DEP_4)
	v_dual_ashrrev_i32 v31, 31, v31 :: v_dual_bitop2_b32 v30, s2, v30 bitop3:0x14
	v_ashrrev_i32_e32 v34, 31, v34
	v_cmp_gt_i32_e64 s5, 0, v37
	v_not_b32_e32 v35, v37
	v_not_b32_e32 v37, v38
	v_xor_b32_e32 v31, s3, v31
	v_xor_b32_e32 v34, s4, v34
	v_bitop3_b32 v3, v3, v30, exec_lo bitop3:0x80
	v_ashrrev_i32_e32 v30, 31, v35
	v_cmp_gt_i32_e32 vcc_lo, 0, v38
	v_ashrrev_i32_e32 v35, 31, v37
	v_not_b32_e32 v37, v40
	v_bitop3_b32 v3, v3, v34, v31 bitop3:0x80
	v_not_b32_e32 v31, v41
	v_xor_b32_e32 v30, s5, v30
	v_xor_b32_e32 v34, vcc_lo, v35
	v_cmp_gt_i32_e32 vcc_lo, 0, v40
	v_ashrrev_i32_e32 v35, 31, v37
	v_cmp_gt_i32_e64 s2, 0, v41
	v_ashrrev_i32_e32 v31, 31, v31
	v_mad_u32_u24 v37, 0x44, v32, v2
	v_mul_u32_u24_e32 v32, 0x44, v32
	s_delay_alu instid0(VALU_DEP_1) | instskip(SKIP_4) | instid1(VALU_DEP_1)
	v_dual_add_nc_u32 v32, v2, v32 :: v_dual_bitop2_b32 v31, s2, v31 bitop3:0x14
	v_bitop3_b32 v3, v3, v34, v30 bitop3:0x80
	v_xor_b32_e32 v34, vcc_lo, v35
	ds_load_b32 v30, v37 offset:64
	; wave barrier
	v_bitop3_b32 v3, v3, v31, v34 bitop3:0x80
	v_mbcnt_lo_u32_b32 v31, v3, 0
	v_cmp_ne_u32_e64 s2, 0, v3
	s_delay_alu instid0(VALU_DEP_2) | instskip(SKIP_1) | instid1(SALU_CYCLE_1)
	v_cmp_eq_u32_e32 vcc_lo, 0, v31
	s_and_b32 s3, s2, vcc_lo
	s_and_saveexec_b32 s2, s3
	s_cbranch_execz .LBB2515_31
; %bb.30:
	s_wait_dscnt 0x0
	v_bcnt_u32_b32 v3, v3, v30
	ds_store_b32 v32, v3 offset:64
.LBB2515_31:
	s_or_b32 exec_lo, exec_lo, s2
	v_lshrrev_b32_e32 v3, s20, v33
	; wave barrier
	s_delay_alu instid0(VALU_DEP_1) | instskip(NEXT) | instid1(VALU_DEP_1)
	v_and_b32_e32 v35, s6, v3
	v_lshlrev_b32_e32 v34, 30, v35
	v_bitop3_b32 v33, v3, 1, s6 bitop3:0x80
	s_delay_alu instid0(VALU_DEP_1) | instskip(NEXT) | instid1(VALU_DEP_1)
	v_add_co_u32 v3, s2, v33, -1
	v_cndmask_b32_e64 v33, 0, 1, s2
	s_delay_alu instid0(VALU_DEP_4) | instskip(NEXT) | instid1(VALU_DEP_2)
	v_cmp_gt_i32_e64 s2, 0, v34
	v_cmp_ne_u32_e32 vcc_lo, 0, v33
	v_not_b32_e32 v33, v34
	s_delay_alu instid0(VALU_DEP_1) | instskip(SKIP_3) | instid1(VALU_DEP_4)
	v_dual_ashrrev_i32 v33, 31, v33 :: v_dual_lshlrev_b32 v37, 29, v35
	v_dual_lshlrev_b32 v38, 28, v35 :: v_dual_lshlrev_b32 v40, 27, v35
	v_dual_lshlrev_b32 v41, 26, v35 :: v_dual_lshlrev_b32 v42, 25, v35
	v_lshlrev_b32_e32 v43, 24, v35
	v_cmp_gt_i32_e64 s3, 0, v37
	v_not_b32_e32 v34, v37
	v_not_b32_e32 v37, v38
	v_cmp_gt_i32_e64 s4, 0, v38
	v_cmp_gt_i32_e64 s5, 0, v40
	s_delay_alu instid0(VALU_DEP_4) | instskip(NEXT) | instid1(VALU_DEP_4)
	v_dual_ashrrev_i32 v34, 31, v34 :: v_dual_bitop2_b32 v3, vcc_lo, v3 bitop3:0x14
	v_ashrrev_i32_e32 v37, 31, v37
	v_not_b32_e32 v38, v40
	v_not_b32_e32 v40, v41
	v_xor_b32_e32 v33, s2, v33
	v_xor_b32_e32 v34, s3, v34
	;; [unrolled: 1-line block ×3, first 2 shown]
	v_cmp_gt_i32_e32 vcc_lo, 0, v41
	v_cmp_gt_i32_e64 s2, 0, v43
	v_bitop3_b32 v3, v3, v33, exec_lo bitop3:0x80
	v_dual_ashrrev_i32 v33, 31, v38 :: v_dual_ashrrev_i32 v38, 31, v40
	v_not_b32_e32 v40, v42
	s_delay_alu instid0(VALU_DEP_3) | instskip(SKIP_1) | instid1(VALU_DEP_4)
	v_bitop3_b32 v3, v3, v37, v34 bitop3:0x80
	v_not_b32_e32 v34, v43
	v_xor_b32_e32 v33, s5, v33
	v_xor_b32_e32 v37, vcc_lo, v38
	v_cmp_gt_i32_e32 vcc_lo, 0, v42
	s_delay_alu instid0(VALU_DEP_4) | instskip(SKIP_2) | instid1(VALU_DEP_1)
	v_dual_ashrrev_i32 v38, 31, v40 :: v_dual_ashrrev_i32 v34, 31, v34
	v_mad_u32_u24 v40, 0x44, v35, v2
	v_mul_u32_u24_e32 v35, 0x44, v35
	v_dual_add_nc_u32 v35, v2, v35 :: v_dual_bitop2_b32 v34, s2, v34 bitop3:0x14
	v_bitop3_b32 v3, v3, v37, v33 bitop3:0x80
	v_xor_b32_e32 v37, vcc_lo, v38
	ds_load_b32 v33, v40 offset:64
	; wave barrier
	v_bitop3_b32 v3, v3, v34, v37 bitop3:0x80
	s_delay_alu instid0(VALU_DEP_1) | instskip(SKIP_1) | instid1(VALU_DEP_2)
	v_mbcnt_lo_u32_b32 v34, v3, 0
	v_cmp_ne_u32_e64 s2, 0, v3
	v_cmp_eq_u32_e32 vcc_lo, 0, v34
	s_and_b32 s3, s2, vcc_lo
	s_delay_alu instid0(SALU_CYCLE_1)
	s_and_saveexec_b32 s2, s3
	s_cbranch_execz .LBB2515_33
; %bb.32:
	s_wait_dscnt 0x0
	v_bcnt_u32_b32 v3, v3, v33
	ds_store_b32 v35, v3 offset:64
.LBB2515_33:
	s_or_b32 exec_lo, exec_lo, s2
	v_lshrrev_b32_e32 v3, s20, v36
	; wave barrier
	s_delay_alu instid0(VALU_DEP_1) | instskip(NEXT) | instid1(VALU_DEP_1)
	v_and_b32_e32 v38, s6, v3
	v_lshlrev_b32_e32 v37, 30, v38
	v_bitop3_b32 v36, v3, 1, s6 bitop3:0x80
	s_delay_alu instid0(VALU_DEP_1) | instskip(NEXT) | instid1(VALU_DEP_1)
	v_add_co_u32 v3, s2, v36, -1
	v_cndmask_b32_e64 v36, 0, 1, s2
	s_delay_alu instid0(VALU_DEP_4) | instskip(NEXT) | instid1(VALU_DEP_2)
	v_cmp_gt_i32_e64 s2, 0, v37
	v_cmp_ne_u32_e32 vcc_lo, 0, v36
	v_not_b32_e32 v36, v37
	s_delay_alu instid0(VALU_DEP_1) | instskip(SKIP_3) | instid1(VALU_DEP_4)
	v_dual_ashrrev_i32 v36, 31, v36 :: v_dual_lshlrev_b32 v40, 29, v38
	v_dual_lshlrev_b32 v41, 28, v38 :: v_dual_lshlrev_b32 v42, 27, v38
	v_dual_lshlrev_b32 v43, 26, v38 :: v_dual_lshlrev_b32 v44, 25, v38
	v_lshlrev_b32_e32 v45, 24, v38
	v_cmp_gt_i32_e64 s3, 0, v40
	v_not_b32_e32 v37, v40
	v_not_b32_e32 v40, v41
	v_cmp_gt_i32_e64 s4, 0, v41
	v_cmp_gt_i32_e64 s5, 0, v42
	s_delay_alu instid0(VALU_DEP_4) | instskip(NEXT) | instid1(VALU_DEP_4)
	v_dual_ashrrev_i32 v37, 31, v37 :: v_dual_bitop2_b32 v3, vcc_lo, v3 bitop3:0x14
	v_ashrrev_i32_e32 v40, 31, v40
	v_not_b32_e32 v41, v42
	v_not_b32_e32 v42, v43
	v_xor_b32_e32 v36, s2, v36
	v_xor_b32_e32 v37, s3, v37
	;; [unrolled: 1-line block ×3, first 2 shown]
	v_cmp_gt_i32_e32 vcc_lo, 0, v43
	v_cmp_gt_i32_e64 s2, 0, v45
	v_bitop3_b32 v3, v3, v36, exec_lo bitop3:0x80
	v_dual_ashrrev_i32 v36, 31, v41 :: v_dual_ashrrev_i32 v41, 31, v42
	v_not_b32_e32 v42, v44
	s_delay_alu instid0(VALU_DEP_3) | instskip(SKIP_1) | instid1(VALU_DEP_4)
	v_bitop3_b32 v3, v3, v40, v37 bitop3:0x80
	v_not_b32_e32 v37, v45
	v_xor_b32_e32 v36, s5, v36
	v_xor_b32_e32 v40, vcc_lo, v41
	v_cmp_gt_i32_e32 vcc_lo, 0, v44
	s_delay_alu instid0(VALU_DEP_4) | instskip(SKIP_2) | instid1(VALU_DEP_1)
	v_dual_ashrrev_i32 v41, 31, v42 :: v_dual_ashrrev_i32 v37, 31, v37
	v_mad_u32_u24 v42, 0x44, v38, v2
	v_mul_u32_u24_e32 v38, 0x44, v38
	v_dual_add_nc_u32 v38, v2, v38 :: v_dual_bitop2_b32 v37, s2, v37 bitop3:0x14
	v_bitop3_b32 v3, v3, v40, v36 bitop3:0x80
	v_xor_b32_e32 v40, vcc_lo, v41
	ds_load_b32 v36, v42 offset:64
	; wave barrier
	v_bitop3_b32 v3, v3, v37, v40 bitop3:0x80
	s_delay_alu instid0(VALU_DEP_1) | instskip(SKIP_1) | instid1(VALU_DEP_2)
	v_mbcnt_lo_u32_b32 v37, v3, 0
	v_cmp_ne_u32_e64 s2, 0, v3
	v_cmp_eq_u32_e32 vcc_lo, 0, v37
	s_and_b32 s3, s2, vcc_lo
	s_delay_alu instid0(SALU_CYCLE_1)
	s_and_saveexec_b32 s2, s3
	s_cbranch_execz .LBB2515_35
; %bb.34:
	s_wait_dscnt 0x0
	v_bcnt_u32_b32 v3, v3, v36
	ds_store_b32 v38, v3 offset:64
.LBB2515_35:
	s_or_b32 exec_lo, exec_lo, s2
	v_lshrrev_b32_e32 v3, s20, v39
	; wave barrier
	s_delay_alu instid0(VALU_DEP_1) | instskip(NEXT) | instid1(VALU_DEP_1)
	v_and_b32_e32 v41, s6, v3
	v_lshlrev_b32_e32 v40, 30, v41
	v_bitop3_b32 v39, v3, 1, s6 bitop3:0x80
	v_lshlrev_b32_e32 v42, 29, v41
	s_delay_alu instid0(VALU_DEP_2) | instskip(NEXT) | instid1(VALU_DEP_1)
	v_add_co_u32 v3, s2, v39, -1
	v_cndmask_b32_e64 v39, 0, 1, s2
	v_cmp_gt_i32_e64 s2, 0, v40
	s_delay_alu instid0(VALU_DEP_2) | instskip(SKIP_2) | instid1(VALU_DEP_1)
	v_cmp_ne_u32_e32 vcc_lo, 0, v39
	v_not_b32_e32 v39, v40
	v_not_b32_e32 v40, v42
	v_dual_ashrrev_i32 v40, 31, v40 :: v_dual_lshlrev_b32 v43, 28, v41
	v_dual_lshlrev_b32 v44, 27, v41 :: v_dual_lshlrev_b32 v45, 26, v41
	v_cmp_gt_i32_e64 s3, 0, v42
	v_dual_lshlrev_b32 v46, 25, v41 :: v_dual_lshlrev_b32 v47, 24, v41
	s_delay_alu instid0(VALU_DEP_4) | instskip(SKIP_4) | instid1(VALU_DEP_4)
	v_not_b32_e32 v42, v43
	v_ashrrev_i32_e32 v39, 31, v39
	v_cmp_gt_i32_e64 s4, 0, v43
	v_cmp_gt_i32_e64 s5, 0, v44
	v_not_b32_e32 v43, v44
	v_dual_ashrrev_i32 v42, 31, v42 :: v_dual_bitop2_b32 v39, s2, v39 bitop3:0x14
	v_not_b32_e32 v44, v45
	v_xor_b32_e32 v3, vcc_lo, v3
	v_xor_b32_e32 v40, s3, v40
	s_delay_alu instid0(VALU_DEP_4)
	v_xor_b32_e32 v42, s4, v42
	v_cmp_gt_i32_e32 vcc_lo, 0, v45
	v_cmp_gt_i32_e64 s2, 0, v47
	v_bitop3_b32 v3, v3, v39, exec_lo bitop3:0x80
	v_dual_ashrrev_i32 v39, 31, v43 :: v_dual_ashrrev_i32 v43, 31, v44
	v_not_b32_e32 v44, v46
	s_delay_alu instid0(VALU_DEP_3) | instskip(SKIP_1) | instid1(VALU_DEP_4)
	v_bitop3_b32 v3, v3, v42, v40 bitop3:0x80
	v_not_b32_e32 v40, v47
	v_xor_b32_e32 v42, vcc_lo, v43
	v_cmp_gt_i32_e32 vcc_lo, 0, v46
	v_ashrrev_i32_e32 v43, 31, v44
	v_mad_u32_u24 v44, 0x44, v41, v2
	v_ashrrev_i32_e32 v40, 31, v40
	v_mul_u32_u24_e32 v41, 0x44, v41
	v_xor_b32_e32 v39, s5, v39
	s_delay_alu instid0(VALU_DEP_2) | instskip(NEXT) | instid1(VALU_DEP_2)
	v_dual_add_nc_u32 v41, v2, v41 :: v_dual_bitop2_b32 v40, s2, v40 bitop3:0x14
	v_bitop3_b32 v3, v3, v42, v39 bitop3:0x80
	v_xor_b32_e32 v42, vcc_lo, v43
	ds_load_b32 v39, v44 offset:64
	; wave barrier
	v_bitop3_b32 v3, v3, v40, v42 bitop3:0x80
	s_delay_alu instid0(VALU_DEP_1) | instskip(SKIP_1) | instid1(VALU_DEP_2)
	v_mbcnt_lo_u32_b32 v40, v3, 0
	v_cmp_ne_u32_e64 s2, 0, v3
	v_cmp_eq_u32_e32 vcc_lo, 0, v40
	s_and_b32 s3, s2, vcc_lo
	s_delay_alu instid0(SALU_CYCLE_1)
	s_and_saveexec_b32 s2, s3
	s_cbranch_execz .LBB2515_37
; %bb.36:
	s_wait_dscnt 0x0
	v_bcnt_u32_b32 v3, v3, v39
	ds_store_b32 v41, v3 offset:64
.LBB2515_37:
	s_or_b32 exec_lo, exec_lo, s2
	v_lshrrev_b32_e32 v3, s20, v9
	; wave barrier
	s_delay_alu instid0(VALU_DEP_1) | instskip(NEXT) | instid1(VALU_DEP_1)
	v_and_b32_e32 v44, s6, v3
	v_lshlrev_b32_e32 v42, 30, v44
	v_bitop3_b32 v9, v3, 1, s6 bitop3:0x80
	s_delay_alu instid0(VALU_DEP_1) | instskip(NEXT) | instid1(VALU_DEP_1)
	v_add_co_u32 v3, s2, v9, -1
	v_cndmask_b32_e64 v9, 0, 1, s2
	s_delay_alu instid0(VALU_DEP_4) | instskip(NEXT) | instid1(VALU_DEP_2)
	v_cmp_gt_i32_e64 s2, 0, v42
	v_cmp_ne_u32_e32 vcc_lo, 0, v9
	v_not_b32_e32 v9, v42
	s_delay_alu instid0(VALU_DEP_1) | instskip(SKIP_3) | instid1(VALU_DEP_4)
	v_dual_ashrrev_i32 v9, 31, v9 :: v_dual_lshlrev_b32 v43, 29, v44
	v_dual_lshlrev_b32 v45, 28, v44 :: v_dual_lshlrev_b32 v46, 27, v44
	v_dual_lshlrev_b32 v47, 26, v44 :: v_dual_lshlrev_b32 v48, 25, v44
	v_lshlrev_b32_e32 v49, 24, v44
	v_cmp_gt_i32_e64 s3, 0, v43
	v_not_b32_e32 v42, v43
	v_not_b32_e32 v43, v45
	v_cmp_gt_i32_e64 s4, 0, v45
	v_xor_b32_e32 v3, vcc_lo, v3
	s_delay_alu instid0(VALU_DEP_4) | instskip(NEXT) | instid1(VALU_DEP_4)
	v_dual_ashrrev_i32 v42, 31, v42 :: v_dual_bitop2_b32 v9, s2, v9 bitop3:0x14
	v_ashrrev_i32_e32 v43, 31, v43
	v_cmp_gt_i32_e64 s5, 0, v46
	v_not_b32_e32 v45, v46
	v_not_b32_e32 v46, v47
	v_xor_b32_e32 v42, s3, v42
	v_xor_b32_e32 v43, s4, v43
	v_bitop3_b32 v3, v3, v9, exec_lo bitop3:0x80
	v_ashrrev_i32_e32 v9, 31, v45
	v_cmp_gt_i32_e32 vcc_lo, 0, v47
	v_ashrrev_i32_e32 v45, 31, v46
	v_not_b32_e32 v46, v48
	v_bitop3_b32 v3, v3, v43, v42 bitop3:0x80
	v_not_b32_e32 v42, v49
	v_xor_b32_e32 v9, s5, v9
	v_xor_b32_e32 v43, vcc_lo, v45
	v_cmp_gt_i32_e32 vcc_lo, 0, v48
	v_ashrrev_i32_e32 v45, 31, v46
	v_cmp_gt_i32_e64 s2, 0, v49
	v_ashrrev_i32_e32 v42, 31, v42
	v_mad_u32_u24 v46, 0x44, v44, v2
	v_bitop3_b32 v3, v3, v43, v9 bitop3:0x80
	v_xor_b32_e32 v9, vcc_lo, v45
	s_delay_alu instid0(VALU_DEP_4) | instskip(SKIP_3) | instid1(VALU_DEP_2)
	v_xor_b32_e32 v43, s2, v42
	ds_load_b32 v42, v46 offset:64
	; wave barrier
	v_bitop3_b32 v3, v3, v43, v9 bitop3:0x80
	v_mul_u32_u24_e32 v9, 0x44, v44
	v_mbcnt_lo_u32_b32 v43, v3, 0
	v_cmp_ne_u32_e64 s2, 0, v3
	s_delay_alu instid0(VALU_DEP_3) | instskip(NEXT) | instid1(VALU_DEP_3)
	v_add_nc_u32_e32 v45, v2, v9
	v_cmp_eq_u32_e32 vcc_lo, 0, v43
	s_and_b32 s3, s2, vcc_lo
	s_delay_alu instid0(SALU_CYCLE_1)
	s_and_saveexec_b32 s2, s3
	s_cbranch_execz .LBB2515_39
; %bb.38:
	s_wait_dscnt 0x0
	v_bcnt_u32_b32 v3, v3, v42
	ds_store_b32 v45, v3 offset:64
.LBB2515_39:
	s_or_b32 exec_lo, exec_lo, s2
	v_lshrrev_b32_e32 v3, s20, v8
	; wave barrier
	s_delay_alu instid0(VALU_DEP_1) | instskip(NEXT) | instid1(VALU_DEP_1)
	v_and_b32_e32 v9, s6, v3
	v_lshlrev_b32_e32 v44, 30, v9
	v_bitop3_b32 v8, v3, 1, s6 bitop3:0x80
	s_delay_alu instid0(VALU_DEP_1) | instskip(NEXT) | instid1(VALU_DEP_1)
	v_add_co_u32 v3, s2, v8, -1
	v_cndmask_b32_e64 v8, 0, 1, s2
	s_delay_alu instid0(VALU_DEP_4) | instskip(NEXT) | instid1(VALU_DEP_2)
	v_cmp_gt_i32_e64 s2, 0, v44
	v_cmp_ne_u32_e32 vcc_lo, 0, v8
	v_not_b32_e32 v8, v44
	s_delay_alu instid0(VALU_DEP_1) | instskip(SKIP_3) | instid1(VALU_DEP_4)
	v_dual_ashrrev_i32 v8, 31, v8 :: v_dual_lshlrev_b32 v46, 29, v9
	v_dual_lshlrev_b32 v47, 28, v9 :: v_dual_lshlrev_b32 v48, 27, v9
	v_dual_lshlrev_b32 v49, 26, v9 :: v_dual_lshlrev_b32 v50, 25, v9
	v_lshlrev_b32_e32 v51, 24, v9
	v_cmp_gt_i32_e64 s3, 0, v46
	v_not_b32_e32 v44, v46
	v_not_b32_e32 v46, v47
	v_cmp_gt_i32_e64 s4, 0, v47
	v_xor_b32_e32 v3, vcc_lo, v3
	v_xor_b32_e32 v8, s2, v8
	s_delay_alu instid0(VALU_DEP_4) | instskip(SKIP_3) | instid1(VALU_DEP_4)
	v_dual_ashrrev_i32 v44, 31, v44 :: v_dual_ashrrev_i32 v46, 31, v46
	v_cmp_gt_i32_e64 s5, 0, v48
	v_not_b32_e32 v47, v48
	v_not_b32_e32 v48, v49
	v_xor_b32_e32 v44, s3, v44
	v_xor_b32_e32 v46, s4, v46
	v_bitop3_b32 v3, v3, v8, exec_lo bitop3:0x80
	v_ashrrev_i32_e32 v8, 31, v47
	v_cmp_gt_i32_e32 vcc_lo, 0, v49
	v_ashrrev_i32_e32 v47, 31, v48
	v_not_b32_e32 v48, v50
	v_bitop3_b32 v3, v3, v46, v44 bitop3:0x80
	v_not_b32_e32 v44, v51
	v_xor_b32_e32 v8, s5, v8
	s_delay_alu instid0(VALU_DEP_4)
	v_dual_ashrrev_i32 v47, 31, v48 :: v_dual_bitop2_b32 v46, vcc_lo, v47 bitop3:0x14
	v_cmp_gt_i32_e32 vcc_lo, 0, v50
	v_cmp_gt_i32_e64 s2, 0, v51
	v_ashrrev_i32_e32 v44, 31, v44
	v_mad_u32_u24 v48, 0x44, v9, v2
	v_bitop3_b32 v3, v3, v46, v8 bitop3:0x80
	v_xor_b32_e32 v8, vcc_lo, v47
	s_delay_alu instid0(VALU_DEP_4) | instskip(SKIP_3) | instid1(VALU_DEP_2)
	v_xor_b32_e32 v46, s2, v44
	ds_load_b32 v44, v48 offset:64
	; wave barrier
	v_bitop3_b32 v3, v3, v46, v8 bitop3:0x80
	v_mul_u32_u24_e32 v8, 0x44, v9
	v_mbcnt_lo_u32_b32 v46, v3, 0
	v_cmp_ne_u32_e64 s2, 0, v3
	s_delay_alu instid0(VALU_DEP_3) | instskip(NEXT) | instid1(VALU_DEP_3)
	v_add_nc_u32_e32 v49, v2, v8
	v_cmp_eq_u32_e32 vcc_lo, 0, v46
	s_and_b32 s3, s2, vcc_lo
	s_delay_alu instid0(SALU_CYCLE_1)
	s_and_saveexec_b32 s2, s3
	s_cbranch_execz .LBB2515_41
; %bb.40:
	s_wait_dscnt 0x0
	v_bcnt_u32_b32 v3, v3, v44
	ds_store_b32 v49, v3 offset:64
.LBB2515_41:
	s_or_b32 exec_lo, exec_lo, s2
	v_lshrrev_b32_e32 v3, s20, v7
	; wave barrier
	s_delay_alu instid0(VALU_DEP_1) | instskip(NEXT) | instid1(VALU_DEP_1)
	v_and_b32_e32 v8, s6, v3
	v_lshlrev_b32_e32 v9, 30, v8
	v_bitop3_b32 v7, v3, 1, s6 bitop3:0x80
	v_lshlrev_b32_e32 v47, 29, v8
	s_delay_alu instid0(VALU_DEP_2) | instskip(NEXT) | instid1(VALU_DEP_1)
	v_add_co_u32 v3, s2, v7, -1
	v_cndmask_b32_e64 v7, 0, 1, s2
	v_cmp_gt_i32_e64 s2, 0, v9
	s_delay_alu instid0(VALU_DEP_2) | instskip(SKIP_2) | instid1(VALU_DEP_1)
	v_cmp_ne_u32_e32 vcc_lo, 0, v7
	v_not_b32_e32 v7, v9
	v_not_b32_e32 v9, v47
	v_dual_ashrrev_i32 v9, 31, v9 :: v_dual_lshlrev_b32 v48, 28, v8
	v_dual_lshlrev_b32 v50, 27, v8 :: v_dual_lshlrev_b32 v51, 26, v8
	v_cmp_gt_i32_e64 s3, 0, v47
	v_ashrrev_i32_e32 v7, 31, v7
	s_delay_alu instid0(VALU_DEP_4)
	v_not_b32_e32 v47, v48
	v_cmp_gt_i32_e64 s4, 0, v48
	v_cmp_gt_i32_e64 s5, 0, v50
	v_not_b32_e32 v48, v50
	v_xor_b32_e32 v3, vcc_lo, v3
	v_not_b32_e32 v50, v51
	v_dual_ashrrev_i32 v47, 31, v47 :: v_dual_bitop2_b32 v9, s3, v9 bitop3:0x14
	v_dual_lshlrev_b32 v52, 25, v8 :: v_dual_bitop2_b32 v7, s2, v7 bitop3:0x14
	v_lshlrev_b32_e32 v53, 24, v8
	v_cmp_gt_i32_e32 vcc_lo, 0, v51
	s_delay_alu instid0(VALU_DEP_3) | instskip(SKIP_4) | instid1(VALU_DEP_4)
	v_bitop3_b32 v3, v3, v7, exec_lo bitop3:0x80
	v_dual_ashrrev_i32 v7, 31, v48 :: v_dual_ashrrev_i32 v48, 31, v50
	v_xor_b32_e32 v47, s4, v47
	v_not_b32_e32 v50, v52
	v_cmp_gt_i32_e64 s2, 0, v53
	v_xor_b32_e32 v7, s5, v7
	s_delay_alu instid0(VALU_DEP_4)
	v_bitop3_b32 v3, v3, v47, v9 bitop3:0x80
	v_not_b32_e32 v9, v53
	v_xor_b32_e32 v47, vcc_lo, v48
	v_cmp_gt_i32_e32 vcc_lo, 0, v52
	v_ashrrev_i32_e32 v48, 31, v50
	v_mad_u32_u24 v50, 0x44, v8, v2
	v_ashrrev_i32_e32 v9, 31, v9
	v_bitop3_b32 v3, v3, v47, v7 bitop3:0x80
	s_delay_alu instid0(VALU_DEP_4) | instskip(SKIP_2) | instid1(VALU_DEP_1)
	v_xor_b32_e32 v7, vcc_lo, v48
	ds_load_b32 v47, v50 offset:64
	v_xor_b32_e32 v9, s2, v9
	; wave barrier
	v_bitop3_b32 v3, v3, v9, v7 bitop3:0x80
	v_mul_u32_u24_e32 v7, 0x44, v8
	s_delay_alu instid0(VALU_DEP_2) | instskip(SKIP_1) | instid1(VALU_DEP_3)
	v_mbcnt_lo_u32_b32 v48, v3, 0
	v_cmp_ne_u32_e64 s2, 0, v3
	v_add_nc_u32_e32 v52, v2, v7
	s_delay_alu instid0(VALU_DEP_3) | instskip(SKIP_1) | instid1(SALU_CYCLE_1)
	v_cmp_eq_u32_e32 vcc_lo, 0, v48
	s_and_b32 s3, s2, vcc_lo
	s_and_saveexec_b32 s2, s3
	s_cbranch_execz .LBB2515_43
; %bb.42:
	s_wait_dscnt 0x0
	v_bcnt_u32_b32 v3, v3, v47
	ds_store_b32 v52, v3 offset:64
.LBB2515_43:
	s_or_b32 exec_lo, exec_lo, s2
	v_lshrrev_b32_e32 v3, s20, v6
	; wave barrier
	s_delay_alu instid0(VALU_DEP_1) | instskip(NEXT) | instid1(VALU_DEP_1)
	v_and_b32_e32 v7, s6, v3
	v_lshlrev_b32_e32 v8, 30, v7
	v_bitop3_b32 v6, v3, 1, s6 bitop3:0x80
	s_delay_alu instid0(VALU_DEP_1) | instskip(NEXT) | instid1(VALU_DEP_1)
	v_add_co_u32 v3, s2, v6, -1
	v_cndmask_b32_e64 v6, 0, 1, s2
	s_delay_alu instid0(VALU_DEP_4) | instskip(NEXT) | instid1(VALU_DEP_2)
	v_cmp_gt_i32_e64 s2, 0, v8
	v_cmp_ne_u32_e32 vcc_lo, 0, v6
	v_not_b32_e32 v6, v8
	s_delay_alu instid0(VALU_DEP_1) | instskip(SKIP_3) | instid1(VALU_DEP_4)
	v_dual_ashrrev_i32 v6, 31, v6 :: v_dual_lshlrev_b32 v9, 29, v7
	v_dual_lshlrev_b32 v50, 28, v7 :: v_dual_lshlrev_b32 v51, 27, v7
	v_dual_lshlrev_b32 v53, 26, v7 :: v_dual_lshlrev_b32 v54, 25, v7
	v_lshlrev_b32_e32 v55, 24, v7
	v_cmp_gt_i32_e64 s3, 0, v9
	v_not_b32_e32 v8, v9
	v_not_b32_e32 v9, v50
	v_cmp_gt_i32_e64 s4, 0, v50
	v_xor_b32_e32 v3, vcc_lo, v3
	s_delay_alu instid0(VALU_DEP_4) | instskip(NEXT) | instid1(VALU_DEP_4)
	v_dual_ashrrev_i32 v8, 31, v8 :: v_dual_bitop2_b32 v6, s2, v6 bitop3:0x14
	v_ashrrev_i32_e32 v9, 31, v9
	v_cmp_gt_i32_e64 s5, 0, v51
	v_not_b32_e32 v50, v51
	v_not_b32_e32 v51, v53
	v_xor_b32_e32 v8, s3, v8
	v_xor_b32_e32 v9, s4, v9
	v_bitop3_b32 v3, v3, v6, exec_lo bitop3:0x80
	v_ashrrev_i32_e32 v6, 31, v50
	v_cmp_gt_i32_e32 vcc_lo, 0, v53
	v_ashrrev_i32_e32 v50, 31, v51
	v_not_b32_e32 v51, v54
	v_bitop3_b32 v3, v3, v9, v8 bitop3:0x80
	v_not_b32_e32 v8, v55
	v_xor_b32_e32 v6, s5, v6
	v_xor_b32_e32 v9, vcc_lo, v50
	v_cmp_gt_i32_e32 vcc_lo, 0, v54
	v_ashrrev_i32_e32 v50, 31, v51
	v_cmp_gt_i32_e64 s2, 0, v55
	v_ashrrev_i32_e32 v8, 31, v8
	v_mad_u32_u24 v51, 0x44, v7, v2
	v_bitop3_b32 v3, v3, v9, v6 bitop3:0x80
	v_xor_b32_e32 v6, vcc_lo, v50
	s_delay_alu instid0(VALU_DEP_4) | instskip(SKIP_3) | instid1(VALU_DEP_2)
	v_xor_b32_e32 v8, s2, v8
	ds_load_b32 v50, v51 offset:64
	; wave barrier
	v_bitop3_b32 v3, v3, v8, v6 bitop3:0x80
	v_mul_u32_u24_e32 v6, 0x44, v7
	v_mbcnt_lo_u32_b32 v51, v3, 0
	v_cmp_ne_u32_e64 s2, 0, v3
	s_delay_alu instid0(VALU_DEP_3) | instskip(NEXT) | instid1(VALU_DEP_3)
	v_add_nc_u32_e32 v55, v2, v6
	v_cmp_eq_u32_e32 vcc_lo, 0, v51
	s_and_b32 s3, s2, vcc_lo
	s_delay_alu instid0(SALU_CYCLE_1)
	s_and_saveexec_b32 s2, s3
	s_cbranch_execz .LBB2515_45
; %bb.44:
	s_wait_dscnt 0x0
	v_bcnt_u32_b32 v3, v3, v50
	ds_store_b32 v55, v3 offset:64
.LBB2515_45:
	s_or_b32 exec_lo, exec_lo, s2
	v_lshrrev_b32_e32 v3, s20, v5
	; wave barrier
	s_delay_alu instid0(VALU_DEP_1) | instskip(NEXT) | instid1(VALU_DEP_1)
	v_and_b32_e32 v6, s6, v3
	v_lshlrev_b32_e32 v7, 30, v6
	v_bitop3_b32 v5, v3, 1, s6 bitop3:0x80
	s_delay_alu instid0(VALU_DEP_1) | instskip(NEXT) | instid1(VALU_DEP_1)
	v_add_co_u32 v3, s2, v5, -1
	v_cndmask_b32_e64 v5, 0, 1, s2
	s_delay_alu instid0(VALU_DEP_4) | instskip(NEXT) | instid1(VALU_DEP_2)
	v_cmp_gt_i32_e64 s2, 0, v7
	v_cmp_ne_u32_e32 vcc_lo, 0, v5
	v_not_b32_e32 v5, v7
	s_delay_alu instid0(VALU_DEP_1) | instskip(SKIP_3) | instid1(VALU_DEP_4)
	v_dual_ashrrev_i32 v5, 31, v5 :: v_dual_lshlrev_b32 v8, 29, v6
	v_dual_lshlrev_b32 v9, 28, v6 :: v_dual_lshlrev_b32 v53, 27, v6
	v_dual_lshlrev_b32 v54, 26, v6 :: v_dual_lshlrev_b32 v56, 25, v6
	v_lshlrev_b32_e32 v57, 24, v6
	v_cmp_gt_i32_e64 s3, 0, v8
	v_not_b32_e32 v7, v8
	v_not_b32_e32 v8, v9
	v_cmp_gt_i32_e64 s4, 0, v9
	v_xor_b32_e32 v3, vcc_lo, v3
	s_delay_alu instid0(VALU_DEP_4) | instskip(NEXT) | instid1(VALU_DEP_4)
	v_dual_ashrrev_i32 v7, 31, v7 :: v_dual_bitop2_b32 v5, s2, v5 bitop3:0x14
	v_ashrrev_i32_e32 v8, 31, v8
	v_cmp_gt_i32_e64 s5, 0, v53
	v_not_b32_e32 v9, v53
	v_not_b32_e32 v53, v54
	v_xor_b32_e32 v7, s3, v7
	v_xor_b32_e32 v8, s4, v8
	v_bitop3_b32 v3, v3, v5, exec_lo bitop3:0x80
	v_ashrrev_i32_e32 v5, 31, v9
	v_cmp_gt_i32_e32 vcc_lo, 0, v54
	v_ashrrev_i32_e32 v9, 31, v53
	v_not_b32_e32 v53, v56
	v_bitop3_b32 v3, v3, v8, v7 bitop3:0x80
	v_not_b32_e32 v7, v57
	v_xor_b32_e32 v5, s5, v5
	v_xor_b32_e32 v8, vcc_lo, v9
	v_cmp_gt_i32_e32 vcc_lo, 0, v56
	v_cmp_gt_i32_e64 s2, 0, v57
	v_dual_ashrrev_i32 v7, 31, v7 :: v_dual_ashrrev_i32 v9, 31, v53
	v_mad_u32_u24 v53, 0x44, v6, v2
	v_bitop3_b32 v3, v3, v8, v5 bitop3:0x80
	s_delay_alu instid0(VALU_DEP_3) | instskip(NEXT) | instid1(VALU_DEP_4)
	v_xor_b32_e32 v7, s2, v7
	v_xor_b32_e32 v5, vcc_lo, v9
	ds_load_b32 v53, v53 offset:64
	; wave barrier
	v_bitop3_b32 v3, v3, v7, v5 bitop3:0x80
	v_mul_u32_u24_e32 v5, 0x44, v6
	s_delay_alu instid0(VALU_DEP_2) | instskip(SKIP_1) | instid1(VALU_DEP_3)
	v_mbcnt_lo_u32_b32 v54, v3, 0
	v_cmp_ne_u32_e64 s2, 0, v3
	v_add_nc_u32_e32 v58, v2, v5
	s_delay_alu instid0(VALU_DEP_3) | instskip(SKIP_1) | instid1(SALU_CYCLE_1)
	v_cmp_eq_u32_e32 vcc_lo, 0, v54
	s_and_b32 s3, s2, vcc_lo
	s_and_saveexec_b32 s2, s3
	s_cbranch_execz .LBB2515_47
; %bb.46:
	s_wait_dscnt 0x0
	v_bcnt_u32_b32 v3, v3, v53
	ds_store_b32 v58, v3 offset:64
.LBB2515_47:
	s_or_b32 exec_lo, exec_lo, s2
	v_lshrrev_b32_e32 v3, s20, v4
	; wave barrier
	s_delay_alu instid0(VALU_DEP_1) | instskip(NEXT) | instid1(VALU_DEP_1)
	v_and_b32_e32 v5, s6, v3
	v_lshlrev_b32_e32 v6, 30, v5
	v_bitop3_b32 v4, v3, 1, s6 bitop3:0x80
	s_delay_alu instid0(VALU_DEP_1) | instskip(NEXT) | instid1(VALU_DEP_1)
	v_add_co_u32 v3, s2, v4, -1
	v_cndmask_b32_e64 v4, 0, 1, s2
	s_delay_alu instid0(VALU_DEP_4) | instskip(NEXT) | instid1(VALU_DEP_2)
	v_cmp_gt_i32_e64 s2, 0, v6
	v_cmp_ne_u32_e32 vcc_lo, 0, v4
	v_not_b32_e32 v4, v6
	s_delay_alu instid0(VALU_DEP_1) | instskip(SKIP_3) | instid1(VALU_DEP_4)
	v_dual_ashrrev_i32 v4, 31, v4 :: v_dual_lshlrev_b32 v7, 29, v5
	v_dual_lshlrev_b32 v8, 28, v5 :: v_dual_lshlrev_b32 v9, 27, v5
	v_dual_lshlrev_b32 v56, 26, v5 :: v_dual_lshlrev_b32 v57, 25, v5
	v_lshlrev_b32_e32 v59, 24, v5
	v_cmp_gt_i32_e64 s3, 0, v7
	v_not_b32_e32 v6, v7
	v_not_b32_e32 v7, v8
	v_cmp_gt_i32_e64 s4, 0, v8
	v_xor_b32_e32 v3, vcc_lo, v3
	s_delay_alu instid0(VALU_DEP_4) | instskip(NEXT) | instid1(VALU_DEP_4)
	v_dual_ashrrev_i32 v6, 31, v6 :: v_dual_bitop2_b32 v4, s2, v4 bitop3:0x14
	v_ashrrev_i32_e32 v7, 31, v7
	v_cmp_gt_i32_e64 s5, 0, v9
	v_not_b32_e32 v8, v9
	v_not_b32_e32 v9, v56
	v_xor_b32_e32 v6, s3, v6
	v_xor_b32_e32 v7, s4, v7
	v_bitop3_b32 v3, v3, v4, exec_lo bitop3:0x80
	v_ashrrev_i32_e32 v4, 31, v8
	v_cmp_gt_i32_e32 vcc_lo, 0, v56
	v_ashrrev_i32_e32 v8, 31, v9
	v_not_b32_e32 v9, v57
	v_bitop3_b32 v3, v3, v7, v6 bitop3:0x80
	v_not_b32_e32 v6, v59
	v_xor_b32_e32 v4, s5, v4
	v_xor_b32_e32 v7, vcc_lo, v8
	v_cmp_gt_i32_e32 vcc_lo, 0, v57
	v_ashrrev_i32_e32 v8, 31, v9
	v_cmp_gt_i32_e64 s2, 0, v59
	v_ashrrev_i32_e32 v6, 31, v6
	v_mad_u32_u24 v9, 0x44, v5, v2
	v_bitop3_b32 v3, v3, v7, v4 bitop3:0x80
	v_xor_b32_e32 v4, vcc_lo, v8
	s_delay_alu instid0(VALU_DEP_4) | instskip(SKIP_3) | instid1(VALU_DEP_2)
	v_xor_b32_e32 v6, s2, v6
	ds_load_b32 v56, v9 offset:64
	; wave barrier
	v_bitop3_b32 v3, v3, v6, v4 bitop3:0x80
	v_mul_u32_u24_e32 v4, 0x44, v5
	v_mbcnt_lo_u32_b32 v57, v3, 0
	v_cmp_ne_u32_e64 s2, 0, v3
	s_delay_alu instid0(VALU_DEP_3) | instskip(NEXT) | instid1(VALU_DEP_3)
	v_add_nc_u32_e32 v59, v2, v4
	v_cmp_eq_u32_e32 vcc_lo, 0, v57
	s_and_b32 s3, s2, vcc_lo
	s_delay_alu instid0(SALU_CYCLE_1)
	s_and_saveexec_b32 s2, s3
	s_cbranch_execz .LBB2515_49
; %bb.48:
	s_wait_dscnt 0x0
	v_bcnt_u32_b32 v2, v3, v56
	ds_store_b32 v59, v2 offset:64
.LBB2515_49:
	s_or_b32 exec_lo, exec_lo, s2
	; wave barrier
	s_wait_dscnt 0x0
	s_barrier_signal -1
	s_barrier_wait -1
	ds_load_2addr_b32 v[8:9], v25 offset0:16 offset1:17
	ds_load_2addr_b32 v[6:7], v25 offset0:18 offset1:19
	ds_load_2addr_b32 v[4:5], v25 offset0:20 offset1:21
	ds_load_2addr_b32 v[2:3], v25 offset0:22 offset1:23
	ds_load_b32 v60, v25 offset:96
	s_mov_b32 s7, exec_lo
	s_wait_dscnt 0x3
	v_add3_u32 v61, v9, v8, v6
	s_wait_dscnt 0x2
	s_delay_alu instid0(VALU_DEP_1) | instskip(SKIP_1) | instid1(VALU_DEP_1)
	v_add3_u32 v61, v61, v7, v4
	s_wait_dscnt 0x1
	v_add3_u32 v61, v61, v5, v2
	s_wait_dscnt 0x0
	s_delay_alu instid0(VALU_DEP_1) | instskip(SKIP_1) | instid1(VALU_DEP_2)
	v_add3_u32 v60, v61, v3, v60
	v_and_b32_e32 v61, 15, v14
	v_mov_b32_dpp v62, v60 row_shr:1 row_mask:0xf bank_mask:0xf
	s_delay_alu instid0(VALU_DEP_2) | instskip(NEXT) | instid1(VALU_DEP_2)
	v_cmp_eq_u32_e32 vcc_lo, 0, v61
	v_cndmask_b32_e64 v62, v62, 0, vcc_lo
	s_delay_alu instid0(VALU_DEP_1) | instskip(SKIP_3) | instid1(VALU_DEP_4)
	v_add_nc_u32_e32 v60, v62, v60
	v_cmp_lt_u32_e64 s2, 1, v61
	v_cmp_lt_u32_e64 s3, 3, v61
	;; [unrolled: 1-line block ×3, first 2 shown]
	v_mov_b32_dpp v62, v60 row_shr:2 row_mask:0xf bank_mask:0xf
	s_delay_alu instid0(VALU_DEP_1) | instskip(NEXT) | instid1(VALU_DEP_1)
	v_cndmask_b32_e64 v62, 0, v62, s2
	v_add_nc_u32_e32 v60, v60, v62
	s_delay_alu instid0(VALU_DEP_1) | instskip(NEXT) | instid1(VALU_DEP_1)
	v_mov_b32_dpp v62, v60 row_shr:4 row_mask:0xf bank_mask:0xf
	v_cndmask_b32_e64 v62, 0, v62, s3
	s_delay_alu instid0(VALU_DEP_1) | instskip(NEXT) | instid1(VALU_DEP_1)
	v_add_nc_u32_e32 v60, v60, v62
	v_mov_b32_dpp v62, v60 row_shr:8 row_mask:0xf bank_mask:0xf
	s_delay_alu instid0(VALU_DEP_1) | instskip(SKIP_1) | instid1(VALU_DEP_2)
	v_cndmask_b32_e64 v61, 0, v62, s4
	v_bfe_i32 v62, v14, 4, 1
	v_add_nc_u32_e32 v60, v60, v61
	ds_swizzle_b32 v61, v60 offset:swizzle(BROADCAST,32,15)
	s_wait_dscnt 0x0
	v_and_b32_e32 v61, v62, v61
	v_min_u32_e32 v62, 0x1e0, v15
	s_delay_alu instid0(VALU_DEP_1) | instskip(SKIP_1) | instid1(VALU_DEP_2)
	v_dual_add_nc_u32 v60, v60, v61 :: v_dual_bitop2_b32 v62, 31, v62 bitop3:0x54
	v_lshrrev_b32_e32 v61, 5, v1
	v_cmpx_eq_u32_e64 v1, v62
; %bb.50:
	s_delay_alu instid0(VALU_DEP_2)
	v_lshlrev_b32_e32 v62, 2, v61
	ds_store_b32 v62, v60
; %bb.51:
	s_or_b32 exec_lo, exec_lo, s7
	s_delay_alu instid0(SALU_CYCLE_1)
	s_mov_b32 s7, exec_lo
	s_wait_dscnt 0x0
	s_barrier_signal -1
	s_barrier_wait -1
	v_cmpx_gt_u32_e32 16, v1
	s_cbranch_execz .LBB2515_53
; %bb.52:
	v_lshlrev_b32_e32 v62, 2, v1
	ds_load_b32 v63, v62
	s_wait_dscnt 0x0
	v_mov_b32_dpp v64, v63 row_shr:1 row_mask:0xf bank_mask:0xf
	s_delay_alu instid0(VALU_DEP_1) | instskip(NEXT) | instid1(VALU_DEP_1)
	v_cndmask_b32_e64 v64, v64, 0, vcc_lo
	v_add_nc_u32_e32 v63, v64, v63
	s_delay_alu instid0(VALU_DEP_1) | instskip(NEXT) | instid1(VALU_DEP_1)
	v_mov_b32_dpp v64, v63 row_shr:2 row_mask:0xf bank_mask:0xf
	v_cndmask_b32_e64 v64, 0, v64, s2
	s_delay_alu instid0(VALU_DEP_1) | instskip(NEXT) | instid1(VALU_DEP_1)
	v_add_nc_u32_e32 v63, v63, v64
	v_mov_b32_dpp v64, v63 row_shr:4 row_mask:0xf bank_mask:0xf
	s_delay_alu instid0(VALU_DEP_1) | instskip(NEXT) | instid1(VALU_DEP_1)
	v_cndmask_b32_e64 v64, 0, v64, s3
	v_add_nc_u32_e32 v63, v63, v64
	s_delay_alu instid0(VALU_DEP_1) | instskip(NEXT) | instid1(VALU_DEP_1)
	v_mov_b32_dpp v64, v63 row_shr:8 row_mask:0xf bank_mask:0xf
	v_cndmask_b32_e64 v64, 0, v64, s4
	s_delay_alu instid0(VALU_DEP_1)
	v_add_nc_u32_e32 v63, v63, v64
	ds_store_b32 v62, v63
.LBB2515_53:
	s_or_b32 exec_lo, exec_lo, s7
	v_mov_b32_e32 v62, 0
	s_mov_b32 s2, exec_lo
	s_wait_dscnt 0x0
	s_barrier_signal -1
	s_barrier_wait -1
	v_cmpx_lt_u32_e32 31, v1
; %bb.54:
	v_lshl_add_u32 v61, v61, 2, -4
	ds_load_b32 v62, v61
; %bb.55:
	s_or_b32 exec_lo, exec_lo, s2
	v_sub_co_u32 v61, vcc_lo, v14, 1
	s_wait_dscnt 0x0
	v_add_nc_u32_e32 v60, v62, v60
	s_delay_alu instid0(VALU_DEP_2) | instskip(NEXT) | instid1(VALU_DEP_1)
	v_cmp_gt_i32_e64 s2, 0, v61
	v_cndmask_b32_e64 v61, v61, v14, s2
	v_cmp_gt_u32_e64 s2, 0x100, v1
	s_delay_alu instid0(VALU_DEP_2) | instskip(SKIP_4) | instid1(VALU_DEP_2)
	v_lshlrev_b32_e32 v61, 2, v61
	ds_bpermute_b32 v60, v61, v60
	s_wait_dscnt 0x0
	v_cndmask_b32_e32 v60, v60, v62, vcc_lo
	v_cmp_ne_u32_e32 vcc_lo, 0, v1
	v_cndmask_b32_e32 v60, 0, v60, vcc_lo
	v_cmp_lt_u32_e32 vcc_lo, 0xff, v1
	s_delay_alu instid0(VALU_DEP_2) | instskip(NEXT) | instid1(VALU_DEP_1)
	v_add_nc_u32_e32 v8, v60, v8
	v_add_nc_u32_e32 v9, v8, v9
	s_delay_alu instid0(VALU_DEP_1) | instskip(NEXT) | instid1(VALU_DEP_1)
	v_add_nc_u32_e32 v6, v9, v6
	v_add_nc_u32_e32 v7, v6, v7
	s_delay_alu instid0(VALU_DEP_1) | instskip(NEXT) | instid1(VALU_DEP_1)
	;; [unrolled: 3-line block ×3, first 2 shown]
	v_add_nc_u32_e32 v2, v5, v2
	v_add_nc_u32_e32 v3, v2, v3
	ds_store_2addr_b32 v25, v60, v8 offset0:16 offset1:17
	ds_store_2addr_b32 v25, v9, v6 offset0:18 offset1:19
	;; [unrolled: 1-line block ×4, first 2 shown]
	ds_store_b32 v25, v3 offset:96
	s_wait_dscnt 0x0
	s_barrier_signal -1
	s_barrier_wait -1
	ds_load_b32 v61, v26 offset:64
	ds_load_b32 v62, v29 offset:64
	;; [unrolled: 1-line block ×12, first 2 shown]
	v_mov_b64_e32 v[2:3], 0
                                        ; implicit-def: $vgpr4
	s_and_saveexec_b32 s4, s2
	s_cbranch_execz .LBB2515_59
; %bb.56:
	v_mul_u32_u24_e32 v2, 0x44, v1
	v_dual_mov_b32 v3, 0x1800 :: v_dual_add_nc_u32 v4, 1, v1
	s_mov_b32 s5, exec_lo
	ds_load_b32 v2, v2 offset:64
	v_cmpx_ne_u32_e32 0x100, v4
; %bb.57:
	v_mul_u32_u24_e32 v3, 0x44, v4
	ds_load_b32 v3, v3 offset:64
; %bb.58:
	s_or_b32 exec_lo, exec_lo, s5
	s_wait_dscnt 0x0
	v_dual_mov_b32 v3, 0 :: v_dual_sub_nc_u32 v4, v3, v2
.LBB2515_59:
	s_or_b32 exec_lo, exec_lo, s4
	s_wait_dscnt 0xa
	v_dual_lshlrev_b32 v24, 1, v24 :: v_dual_lshlrev_b32 v35, 1, v62
	v_dual_lshlrev_b32 v28, 1, v28 :: v_dual_lshlrev_b32 v27, 1, v27
	v_lshlrev_b32_e32 v30, 1, v30
	s_delay_alu instid0(VALU_DEP_3)
	v_lshl_add_u32 v24, v61, 1, v24
	v_lshlrev_b32_e32 v31, 1, v31
	s_wait_dscnt 0x0
	v_add3_u32 v27, v35, v28, v27
	v_lshlrev_b32_e32 v28, 1, v60
	s_barrier_signal -1
	s_barrier_wait -1
	ds_store_b16 v24, v11 offset:2048
	ds_store_b16 v27, v10 offset:2048
	v_lshlrev_b32_e32 v11, 1, v32
	v_add3_u32 v10, v28, v31, v30
	v_dual_lshlrev_b32 v24, 1, v34 :: v_dual_lshlrev_b32 v27, 1, v33
	v_dual_lshlrev_b32 v28, 1, v29 :: v_dual_lshlrev_b32 v30, 1, v36
	;; [unrolled: 1-line block ×6, first 2 shown]
	ds_store_b16 v10, v13 offset:2048
	v_add3_u32 v10, v11, v24, v27
	v_add3_u32 v13, v26, v31, v32
	;; [unrolled: 1-line block ×3, first 2 shown]
	v_dual_lshlrev_b32 v25, 1, v46 :: v_dual_lshlrev_b32 v26, 1, v44
	v_add3_u32 v11, v28, v29, v30
	ds_store_b16 v10, v12 offset:2048
	ds_store_b16 v11, v17 offset:2048
	ds_store_b16 v13, v16 offset:2048
	ds_store_b16 v24, v19 offset:2048
	v_add3_u32 v9, v9, v25, v26
	v_dual_lshlrev_b32 v8, 1, v8 :: v_dual_lshlrev_b32 v11, 1, v47
	v_dual_lshlrev_b32 v10, 1, v48 :: v_dual_lshlrev_b32 v7, 1, v7
	;; [unrolled: 1-line block ×6, first 2 shown]
	ds_store_b16 v9, v18 offset:2048
	v_add3_u32 v8, v8, v10, v11
	v_add3_u32 v9, v7, v12, v13
	;; [unrolled: 1-line block ×3, first 2 shown]
	v_dual_mov_b32 v7, 0 :: v_dual_lshlrev_b32 v5, 3, v1
	v_add3_u32 v6, v6, v16, v17
	ds_store_b16 v8, v21 offset:2048
	ds_store_b16 v9, v20 offset:2048
	;; [unrolled: 1-line block ×4, first 2 shown]
	s_and_saveexec_b32 s3, s2
	s_cbranch_execz .LBB2515_69
; %bb.60:
	v_lshl_add_u32 v6, s9, 8, v1
	v_dual_mov_b32 v10, 0 :: v_dual_bitop2_b32 v11, 2.0, v4 bitop3:0x54
	s_mov_b32 s4, 0
	s_mov_b32 s5, s9
	s_delay_alu instid0(VALU_DEP_2)
	v_lshl_add_u64 v[8:9], v[6:7], 2, s[10:11]
	global_store_b32 v6, v11, s[10:11] scale_offset scope:SCOPE_DEV
                                        ; implicit-def: $sgpr2
	s_branch .LBB2515_63
.LBB2515_61:                            ;   in Loop: Header=BB2515_63 Depth=1
	s_or_b32 exec_lo, exec_lo, s8
.LBB2515_62:                            ;   in Loop: Header=BB2515_63 Depth=1
	s_delay_alu instid0(SALU_CYCLE_1) | instskip(SKIP_2) | instid1(VALU_DEP_2)
	s_or_b32 exec_lo, exec_lo, s7
	v_and_b32_e32 v6, 0x3fffffff, v11
	v_cmp_gt_i32_e64 s2, -2.0, v11
	v_add_nc_u32_e32 v10, v6, v10
	s_and_b32 s7, exec_lo, s2
	s_delay_alu instid0(SALU_CYCLE_1) | instskip(NEXT) | instid1(SALU_CYCLE_1)
	s_or_b32 s4, s7, s4
	s_and_not1_b32 exec_lo, exec_lo, s4
	s_cbranch_execz .LBB2515_68
.LBB2515_63:                            ; =>This Loop Header: Depth=1
                                        ;     Child Loop BB2515_66 Depth 2
	s_or_b32 s2, s2, exec_lo
	s_cmp_eq_u32 s5, 0
	s_cbranch_scc1 .LBB2515_67
; %bb.64:                               ;   in Loop: Header=BB2515_63 Depth=1
	s_add_co_i32 s5, s5, -1
	s_mov_b32 s7, exec_lo
	s_wait_xcnt 0x0
	v_lshl_or_b32 v6, s5, 8, v1
	global_load_b32 v11, v6, s[10:11] scale_offset scope:SCOPE_DEV
	s_wait_loadcnt 0x0
	v_cmpx_gt_u32_e32 2.0, v11
	s_cbranch_execz .LBB2515_62
; %bb.65:                               ;   in Loop: Header=BB2515_63 Depth=1
	v_lshl_add_u64 v[12:13], v[6:7], 2, s[10:11]
	s_mov_b32 s8, 0
.LBB2515_66:                            ;   Parent Loop BB2515_63 Depth=1
                                        ; =>  This Inner Loop Header: Depth=2
	global_load_b32 v11, v[12:13], off scope:SCOPE_DEV
	s_wait_loadcnt 0x0
	v_cmp_lt_u32_e64 s2, 0x3fffffff, v11
	s_or_b32 s8, s2, s8
	s_wait_xcnt 0x0
	s_and_not1_b32 exec_lo, exec_lo, s8
	s_cbranch_execnz .LBB2515_66
	s_branch .LBB2515_61
.LBB2515_67:                            ;   in Loop: Header=BB2515_63 Depth=1
                                        ; implicit-def: $sgpr5
	s_and_b32 s7, exec_lo, s2
	s_delay_alu instid0(SALU_CYCLE_1)
	s_or_b32 s4, s7, s4
	s_wait_xcnt 0x0
	s_and_not1_b32 exec_lo, exec_lo, s4
	s_cbranch_execnz .LBB2515_63
.LBB2515_68:
	s_or_b32 exec_lo, exec_lo, s4
	v_dual_mov_b32 v11, 0 :: v_dual_add_nc_u32 v6, v10, v4
	s_delay_alu instid0(VALU_DEP_1) | instskip(SKIP_4) | instid1(VALU_DEP_1)
	v_or_b32_e32 v6, 0x80000000, v6
	global_store_b32 v[8:9], v6, off scope:SCOPE_DEV
	global_load_b64 v[6:7], v1, s[12:13] scale_offset
	v_sub_nc_u64_e32 v[8:9], v[10:11], v[2:3]
	s_wait_loadcnt 0x0
	v_add_nc_u64_e32 v[6:7], v[8:9], v[6:7]
	ds_store_b64 v5, v[6:7]
.LBB2515_69:
	s_wait_xcnt 0x0
	s_or_b32 exec_lo, exec_lo, s3
	v_mad_i32_i24 v8, v1, -6, v5
	v_lshlrev_b32_e32 v6, 1, v1
	s_mov_b32 s3, exec_lo
	s_wait_storecnt_dscnt 0x0
	s_barrier_signal -1
	s_barrier_wait -1
	v_cmpx_gt_u32_e64 s22, v1
	s_cbranch_execz .LBB2515_71
; %bb.70:
	ds_load_u16 v9, v8 offset:2048
	s_wait_dscnt 0x0
	v_and_b32_e32 v7, 0xffff, v9
	s_delay_alu instid0(VALU_DEP_1) | instskip(NEXT) | instid1(VALU_DEP_1)
	v_lshrrev_b32_e32 v7, s20, v7
	v_and_b32_e32 v7, s6, v7
	s_delay_alu instid0(VALU_DEP_1) | instskip(SKIP_4) | instid1(VALU_DEP_1)
	v_lshlrev_b32_e32 v7, 3, v7
	ds_load_b64 v[10:11], v7
	v_mov_b32_e32 v7, 0
	s_wait_dscnt 0x0
	v_lshl_add_u64 v[10:11], v[10:11], 1, s[18:19]
	v_add_nc_u64_e32 v[10:11], v[10:11], v[6:7]
	global_store_b16 v[10:11], v9, off
.LBB2515_71:
	s_wait_xcnt 0x0
	s_or_b32 exec_lo, exec_lo, s3
	v_add_nc_u32_e32 v7, 0x200, v1
	s_mov_b32 s3, exec_lo
	s_delay_alu instid0(VALU_DEP_1)
	v_cmpx_gt_u32_e64 s22, v7
	s_cbranch_execz .LBB2515_73
; %bb.72:
	ds_load_u16 v9, v8 offset:3072
	s_wait_dscnt 0x0
	v_and_b32_e32 v7, 0xffff, v9
	s_delay_alu instid0(VALU_DEP_1) | instskip(NEXT) | instid1(VALU_DEP_1)
	v_lshrrev_b32_e32 v7, s20, v7
	v_and_b32_e32 v7, s6, v7
	s_delay_alu instid0(VALU_DEP_1) | instskip(SKIP_4) | instid1(VALU_DEP_1)
	v_lshlrev_b32_e32 v7, 3, v7
	ds_load_b64 v[10:11], v7
	v_mov_b32_e32 v7, 0
	s_wait_dscnt 0x0
	v_lshl_add_u64 v[10:11], v[10:11], 1, s[18:19]
	v_add_nc_u64_e32 v[10:11], v[10:11], v[6:7]
	global_store_b16 v[10:11], v9, off offset:1024
.LBB2515_73:
	s_wait_xcnt 0x0
	s_or_b32 exec_lo, exec_lo, s3
	v_or_b32_e32 v7, 0x400, v1
	s_mov_b32 s3, exec_lo
	s_delay_alu instid0(VALU_DEP_1)
	v_cmpx_gt_u32_e64 s22, v7
	s_cbranch_execz .LBB2515_75
; %bb.74:
	ds_load_u16 v9, v8 offset:4096
	s_wait_dscnt 0x0
	v_and_b32_e32 v7, 0xffff, v9
	s_delay_alu instid0(VALU_DEP_1) | instskip(NEXT) | instid1(VALU_DEP_1)
	v_lshrrev_b32_e32 v7, s20, v7
	v_and_b32_e32 v7, s6, v7
	s_delay_alu instid0(VALU_DEP_1) | instskip(SKIP_4) | instid1(VALU_DEP_1)
	v_lshlrev_b32_e32 v7, 3, v7
	ds_load_b64 v[10:11], v7
	v_mov_b32_e32 v7, 0
	s_wait_dscnt 0x0
	v_lshl_add_u64 v[10:11], v[10:11], 1, s[18:19]
	v_add_nc_u64_e32 v[10:11], v[10:11], v[6:7]
	global_store_b16 v[10:11], v9, off offset:2048
.LBB2515_75:
	s_wait_xcnt 0x0
	s_or_b32 exec_lo, exec_lo, s3
	v_add_nc_u32_e32 v7, 0x600, v1
	s_mov_b32 s3, exec_lo
	s_delay_alu instid0(VALU_DEP_1)
	v_cmpx_gt_u32_e64 s22, v7
	s_cbranch_execz .LBB2515_77
; %bb.76:
	ds_load_u16 v9, v8 offset:5120
	s_wait_dscnt 0x0
	v_and_b32_e32 v7, 0xffff, v9
	s_delay_alu instid0(VALU_DEP_1) | instskip(NEXT) | instid1(VALU_DEP_1)
	v_lshrrev_b32_e32 v7, s20, v7
	v_and_b32_e32 v7, s6, v7
	s_delay_alu instid0(VALU_DEP_1) | instskip(SKIP_4) | instid1(VALU_DEP_1)
	v_lshlrev_b32_e32 v7, 3, v7
	ds_load_b64 v[10:11], v7
	v_mov_b32_e32 v7, 0
	s_wait_dscnt 0x0
	v_lshl_add_u64 v[10:11], v[10:11], 1, s[18:19]
	v_add_nc_u64_e32 v[10:11], v[10:11], v[6:7]
	global_store_b16 v[10:11], v9, off offset:3072
.LBB2515_77:
	s_wait_xcnt 0x0
	s_or_b32 exec_lo, exec_lo, s3
	v_or_b32_e32 v7, 0x800, v1
	s_mov_b32 s3, exec_lo
	s_delay_alu instid0(VALU_DEP_1)
	v_cmpx_gt_u32_e64 s22, v7
	s_cbranch_execz .LBB2515_79
; %bb.78:
	ds_load_u16 v9, v8 offset:6144
	s_wait_dscnt 0x0
	v_and_b32_e32 v7, 0xffff, v9
	s_delay_alu instid0(VALU_DEP_1) | instskip(NEXT) | instid1(VALU_DEP_1)
	v_lshrrev_b32_e32 v7, s20, v7
	v_and_b32_e32 v7, s6, v7
	s_delay_alu instid0(VALU_DEP_1) | instskip(SKIP_4) | instid1(VALU_DEP_1)
	v_lshlrev_b32_e32 v7, 3, v7
	ds_load_b64 v[10:11], v7
	v_mov_b32_e32 v7, 0
	s_wait_dscnt 0x0
	v_lshl_add_u64 v[10:11], v[10:11], 1, s[18:19]
	v_add_nc_u64_e32 v[10:11], v[10:11], v[6:7]
	global_store_b16 v[10:11], v9, off offset:4096
.LBB2515_79:
	;; [unrolled: 46-line block ×5, first 2 shown]
	s_wait_xcnt 0x0
	s_or_b32 exec_lo, exec_lo, s3
	v_add_nc_u32_e32 v7, 0x1600, v1
	s_mov_b32 s3, exec_lo
	s_delay_alu instid0(VALU_DEP_1)
	v_cmpx_gt_u32_e64 s22, v7
	s_cbranch_execz .LBB2515_93
; %bb.92:
	ds_load_u16 v10, v6 offset:13312
	s_wait_dscnt 0x0
	v_and_b32_e32 v7, 0xffff, v10
	s_delay_alu instid0(VALU_DEP_1) | instskip(NEXT) | instid1(VALU_DEP_1)
	v_lshrrev_b32_e32 v7, s20, v7
	v_and_b32_e32 v7, s6, v7
	s_delay_alu instid0(VALU_DEP_1) | instskip(SKIP_4) | instid1(VALU_DEP_1)
	v_lshlrev_b32_e32 v7, 3, v7
	ds_load_b64 v[8:9], v7
	v_mov_b32_e32 v7, 0
	s_wait_dscnt 0x0
	v_lshl_add_u64 v[8:9], v[8:9], 1, s[18:19]
	v_add_nc_u64_e32 v[6:7], v[8:9], v[6:7]
	global_store_b16 v[6:7], v10, off offset:11264
.LBB2515_93:
	s_wait_xcnt 0x0
	s_or_b32 exec_lo, exec_lo, s3
	s_add_co_i32 s23, s23, -1
	s_delay_alu instid0(SALU_CYCLE_1) | instskip(SKIP_2) | instid1(SALU_CYCLE_1)
	s_cmp_eq_u32 s9, s23
	s_cselect_b32 s2, -1, 0
	s_xor_b32 s3, vcc_lo, -1
	s_and_b32 s3, s3, s2
	s_delay_alu instid0(SALU_CYCLE_1)
	s_and_saveexec_b32 s2, s3
	s_cbranch_execz .LBB2515_95
; %bb.94:
	ds_load_b64 v[6:7], v5
	v_mov_b32_e32 v5, 0
	s_delay_alu instid0(VALU_DEP_1) | instskip(SKIP_1) | instid1(VALU_DEP_1)
	v_add_nc_u64_e32 v[2:3], v[2:3], v[4:5]
	s_wait_dscnt 0x0
	v_add_nc_u64_e32 v[2:3], v[2:3], v[6:7]
	global_store_b64 v1, v[2:3], s[14:15] scale_offset
.LBB2515_95:
	s_wait_xcnt 0x0
	s_or_b32 exec_lo, exec_lo, s2
	s_mov_b32 s2, 0
.LBB2515_96:
	s_delay_alu instid0(SALU_CYCLE_1)
	s_and_b32 vcc_lo, exec_lo, s2
	s_cbranch_vccz .LBB2515_143
; %bb.97:
	s_mov_b32 s25, 0
	v_dual_mov_b32 v3, 0 :: v_dual_lshlrev_b32 v2, 1, v14
	s_lshl_b64 s[2:3], s[24:25], 1
	v_mul_u32_u24_e32 v1, 12, v15
	s_add_nc_u64 s[2:3], s[16:17], s[2:3]
	v_and_b32_e32 v12, 0x3ff, v0
	v_add_nc_u64_e32 v[4:5], s[2:3], v[2:3]
	s_delay_alu instid0(VALU_DEP_3) | instskip(NEXT) | instid1(VALU_DEP_1)
	v_lshlrev_b32_e32 v2, 1, v1
	v_add_nc_u64_e32 v[4:5], v[4:5], v[2:3]
	v_bfe_u32 v2, v0, 10, 10
	s_clause 0xb
	global_load_u16 v21, v[4:5], off
	global_load_u16 v22, v[4:5], off offset:64
	global_load_u16 v20, v[4:5], off offset:128
	;; [unrolled: 1-line block ×11, first 2 shown]
	s_clause 0x1
	s_load_b32 s7, s[0:1], 0x58
	s_load_u16 s2, s[0:1], 0x66
	v_bfe_u32 v4, v0, 20, 10
	s_wait_kmcnt 0x0
	s_cmp_lt_u32 s9, s7
	s_delay_alu instid0(VALU_DEP_1)
	v_mad_u32_u24 v0, v4, s2, v2
	s_cselect_b32 s24, 12, 18
	s_lshl_b32 s8, -1, s21
	s_add_nc_u64 s[0:1], s[26:27], s[24:25]
	s_load_u16 s16, s[0:1], 0x0
	s_wait_kmcnt 0x0
	v_mad_u32 v0, v0, s16, v12
	s_delay_alu instid0(VALU_DEP_1) | instskip(NEXT) | instid1(VALU_DEP_1)
	v_lshrrev_b32_e32 v0, 3, v0
	v_and_b32_e32 v0, 0x1ffffffc, v0
	s_wait_loadcnt 0xb
	v_and_b32_e32 v1, 0xffff, v21
	s_delay_alu instid0(VALU_DEP_1) | instskip(NEXT) | instid1(VALU_DEP_1)
	v_lshrrev_b32_e32 v1, s20, v1
	v_bitop3_b32 v2, v1, 1, s8 bitop3:0x40
	v_bitop3_b32 v4, v1, s8, v1 bitop3:0x30
	s_delay_alu instid0(VALU_DEP_2) | instskip(NEXT) | instid1(VALU_DEP_1)
	v_add_co_u32 v1, s0, v2, -1
	v_cndmask_b32_e64 v2, 0, 1, s0
	s_delay_alu instid0(VALU_DEP_3) | instskip(SKIP_1) | instid1(VALU_DEP_3)
	v_dual_lshlrev_b32 v5, 30, v4 :: v_dual_lshlrev_b32 v6, 29, v4
	v_dual_lshlrev_b32 v7, 28, v4 :: v_dual_lshlrev_b32 v23, 27, v4
	v_cmp_ne_u32_e32 vcc_lo, 0, v2
	s_delay_alu instid0(VALU_DEP_3)
	v_not_b32_e32 v2, v5
	v_dual_lshlrev_b32 v24, 26, v4 :: v_dual_lshlrev_b32 v25, 25, v4
	v_lshlrev_b32_e32 v26, 24, v4
	v_cmp_gt_i32_e64 s0, 0, v5
	v_cmp_gt_i32_e64 s1, 0, v6
	v_not_b32_e32 v5, v6
	v_cmp_gt_i32_e64 s2, 0, v7
	v_not_b32_e32 v6, v7
	v_not_b32_e32 v7, v23
	v_ashrrev_i32_e32 v2, 31, v2
	v_cmp_gt_i32_e64 s3, 0, v23
	v_not_b32_e32 v23, v24
	v_dual_ashrrev_i32 v6, 31, v6 :: v_dual_bitop2_b32 v1, vcc_lo, v1 bitop3:0x14
	s_delay_alu instid0(VALU_DEP_4)
	v_dual_ashrrev_i32 v5, 31, v5 :: v_dual_bitop2_b32 v2, s0, v2 bitop3:0x14
	v_ashrrev_i32_e32 v7, 31, v7
	v_cmp_gt_i32_e64 s4, 0, v24
	v_cmp_gt_i32_e64 s5, 0, v25
	v_not_b32_e32 v24, v25
	v_not_b32_e32 v25, v26
	v_dual_ashrrev_i32 v23, 31, v23 :: v_dual_bitop2_b32 v6, s2, v6 bitop3:0x14
	v_xor_b32_e32 v5, s1, v5
	v_bitop3_b32 v1, v1, v2, exec_lo bitop3:0x80
	v_xor_b32_e32 v7, s3, v7
	v_cmp_gt_i32_e64 s6, 0, v26
	v_dual_ashrrev_i32 v2, 31, v24 :: v_dual_ashrrev_i32 v24, 31, v25
	v_xor_b32_e32 v23, s4, v23
	v_bitop3_b32 v1, v1, v6, v5 bitop3:0x80
	s_delay_alu instid0(VALU_DEP_3) | instskip(NEXT) | instid1(VALU_DEP_4)
	v_xor_b32_e32 v2, s5, v2
	v_xor_b32_e32 v5, s6, v24
	v_mul_u32_u24_e32 v24, 36, v12
	s_delay_alu instid0(VALU_DEP_4)
	v_bitop3_b32 v1, v1, v23, v7 bitop3:0x80
	s_not_b32 s6, s8
	ds_store_2addr_b32 v24, v3, v3 offset0:16 offset1:17
	ds_store_2addr_b32 v24, v3, v3 offset0:18 offset1:19
	;; [unrolled: 1-line block ×4, first 2 shown]
	v_bitop3_b32 v1, v1, v5, v2 bitop3:0x80
	v_mul_u32_u24_e32 v2, 0x44, v4
	ds_store_b32 v24, v3 offset:96
	s_wait_storecnt 0x0
	s_wait_loadcnt_dscnt 0x0
	s_barrier_signal -1
	v_mbcnt_lo_u32_b32 v23, v1, 0
	v_cmp_ne_u32_e64 s0, 0, v1
	v_add_nc_u32_e32 v25, v0, v2
	s_barrier_wait -1
	s_delay_alu instid0(VALU_DEP_3) | instskip(SKIP_1) | instid1(SALU_CYCLE_1)
	v_cmp_eq_u32_e32 vcc_lo, 0, v23
	; wave barrier
	s_and_b32 s1, s0, vcc_lo
	s_and_saveexec_b32 s0, s1
; %bb.98:
	v_bcnt_u32_b32 v1, v1, 0
	ds_store_b32 v25, v1 offset:64
; %bb.99:
	s_or_b32 exec_lo, exec_lo, s0
	v_and_b32_e32 v1, 0xffff, v22
	; wave barrier
	s_delay_alu instid0(VALU_DEP_1) | instskip(NEXT) | instid1(VALU_DEP_1)
	v_lshrrev_b32_e32 v1, s20, v1
	v_and_b32_e32 v3, s6, v1
	s_delay_alu instid0(VALU_DEP_1) | instskip(SKIP_1) | instid1(VALU_DEP_1)
	v_lshlrev_b32_e32 v4, 30, v3
	v_bitop3_b32 v2, v1, 1, s6 bitop3:0x80
	v_add_co_u32 v1, s0, v2, -1
	s_delay_alu instid0(VALU_DEP_1) | instskip(NEXT) | instid1(VALU_DEP_4)
	v_cndmask_b32_e64 v2, 0, 1, s0
	v_cmp_gt_i32_e64 s0, 0, v4
	s_delay_alu instid0(VALU_DEP_2) | instskip(SKIP_1) | instid1(VALU_DEP_1)
	v_cmp_ne_u32_e32 vcc_lo, 0, v2
	v_not_b32_e32 v2, v4
	v_dual_ashrrev_i32 v2, 31, v2 :: v_dual_lshlrev_b32 v5, 29, v3
	v_dual_lshlrev_b32 v6, 28, v3 :: v_dual_lshlrev_b32 v7, 27, v3
	v_dual_lshlrev_b32 v26, 26, v3 :: v_dual_lshlrev_b32 v27, 25, v3
	v_lshlrev_b32_e32 v28, 24, v3
	s_delay_alu instid0(VALU_DEP_4)
	v_cmp_gt_i32_e64 s1, 0, v5
	v_not_b32_e32 v4, v5
	v_not_b32_e32 v5, v6
	v_cmp_gt_i32_e64 s2, 0, v6
	v_cmp_gt_i32_e64 s3, 0, v7
	v_not_b32_e32 v6, v7
	v_not_b32_e32 v7, v26
	v_dual_ashrrev_i32 v4, 31, v4 :: v_dual_bitop2_b32 v1, vcc_lo, v1 bitop3:0x14
	v_dual_ashrrev_i32 v5, 31, v5 :: v_dual_bitop2_b32 v2, s0, v2 bitop3:0x14
	v_cmp_gt_i32_e64 s4, 0, v26
	s_delay_alu instid0(VALU_DEP_4) | instskip(SKIP_1) | instid1(VALU_DEP_4)
	v_dual_ashrrev_i32 v6, 31, v6 :: v_dual_ashrrev_i32 v7, 31, v7
	v_not_b32_e32 v26, v28
	v_xor_b32_e32 v5, s2, v5
	v_bitop3_b32 v1, v1, v2, exec_lo bitop3:0x80
	v_not_b32_e32 v2, v27
	v_xor_b32_e32 v4, s1, v4
	v_cmp_gt_i32_e64 s5, 0, v27
	v_xor_b32_e32 v6, s3, v6
	s_delay_alu instid0(VALU_DEP_4) | instskip(NEXT) | instid1(VALU_DEP_4)
	v_dual_ashrrev_i32 v2, 31, v2 :: v_dual_bitop2_b32 v7, s4, v7 bitop3:0x14
	v_bitop3_b32 v1, v1, v5, v4 bitop3:0x80
	v_cmp_gt_i32_e32 vcc_lo, 0, v28
	v_ashrrev_i32_e32 v4, 31, v26
	v_mad_u32_u24 v5, 0x44, v3, v0
	v_xor_b32_e32 v2, s5, v2
	v_bitop3_b32 v1, v1, v7, v6 bitop3:0x80
	s_delay_alu instid0(VALU_DEP_4) | instskip(SKIP_3) | instid1(VALU_DEP_2)
	v_xor_b32_e32 v4, vcc_lo, v4
	ds_load_b32 v26, v5 offset:64
	; wave barrier
	v_bitop3_b32 v1, v1, v4, v2 bitop3:0x80
	v_mul_u32_u24_e32 v2, 0x44, v3
	v_mbcnt_lo_u32_b32 v27, v1, 0
	v_cmp_ne_u32_e64 s0, 0, v1
	s_delay_alu instid0(VALU_DEP_3) | instskip(NEXT) | instid1(VALU_DEP_3)
	v_add_nc_u32_e32 v28, v0, v2
	v_cmp_eq_u32_e32 vcc_lo, 0, v27
	s_and_b32 s1, s0, vcc_lo
	s_delay_alu instid0(SALU_CYCLE_1)
	s_and_saveexec_b32 s0, s1
	s_cbranch_execz .LBB2515_101
; %bb.100:
	s_wait_dscnt 0x0
	v_bcnt_u32_b32 v1, v1, v26
	ds_store_b32 v28, v1 offset:64
.LBB2515_101:
	s_or_b32 exec_lo, exec_lo, s0
	v_and_b32_e32 v1, 0xffff, v20
	; wave barrier
	s_delay_alu instid0(VALU_DEP_1) | instskip(NEXT) | instid1(VALU_DEP_1)
	v_lshrrev_b32_e32 v1, s20, v1
	v_and_b32_e32 v3, s6, v1
	s_delay_alu instid0(VALU_DEP_1) | instskip(SKIP_1) | instid1(VALU_DEP_1)
	v_lshlrev_b32_e32 v4, 30, v3
	v_bitop3_b32 v2, v1, 1, s6 bitop3:0x80
	v_add_co_u32 v1, s0, v2, -1
	s_delay_alu instid0(VALU_DEP_1) | instskip(NEXT) | instid1(VALU_DEP_4)
	v_cndmask_b32_e64 v2, 0, 1, s0
	v_cmp_gt_i32_e64 s0, 0, v4
	s_delay_alu instid0(VALU_DEP_2) | instskip(SKIP_1) | instid1(VALU_DEP_1)
	v_cmp_ne_u32_e32 vcc_lo, 0, v2
	v_not_b32_e32 v2, v4
	v_dual_ashrrev_i32 v2, 31, v2 :: v_dual_lshlrev_b32 v5, 29, v3
	v_dual_lshlrev_b32 v6, 28, v3 :: v_dual_lshlrev_b32 v7, 27, v3
	v_dual_lshlrev_b32 v29, 26, v3 :: v_dual_lshlrev_b32 v30, 25, v3
	v_lshlrev_b32_e32 v31, 24, v3
	s_delay_alu instid0(VALU_DEP_4)
	v_cmp_gt_i32_e64 s1, 0, v5
	v_not_b32_e32 v4, v5
	v_not_b32_e32 v5, v6
	v_cmp_gt_i32_e64 s2, 0, v6
	v_cmp_gt_i32_e64 s3, 0, v7
	v_not_b32_e32 v6, v7
	v_not_b32_e32 v7, v29
	v_dual_ashrrev_i32 v4, 31, v4 :: v_dual_bitop2_b32 v1, vcc_lo, v1 bitop3:0x14
	v_dual_ashrrev_i32 v5, 31, v5 :: v_dual_bitop2_b32 v2, s0, v2 bitop3:0x14
	v_cmp_gt_i32_e64 s4, 0, v29
	s_delay_alu instid0(VALU_DEP_4) | instskip(NEXT) | instid1(VALU_DEP_3)
	v_dual_ashrrev_i32 v6, 31, v6 :: v_dual_ashrrev_i32 v7, 31, v7
	v_xor_b32_e32 v5, s2, v5
	s_delay_alu instid0(VALU_DEP_4)
	v_bitop3_b32 v1, v1, v2, exec_lo bitop3:0x80
	v_not_b32_e32 v2, v30
	v_xor_b32_e32 v4, s1, v4
	v_not_b32_e32 v29, v31
	v_cmp_gt_i32_e64 s5, 0, v30
	v_xor_b32_e32 v6, s3, v6
	v_dual_ashrrev_i32 v2, 31, v2 :: v_dual_bitop2_b32 v7, s4, v7 bitop3:0x14
	v_bitop3_b32 v1, v1, v5, v4 bitop3:0x80
	v_cmp_gt_i32_e32 vcc_lo, 0, v31
	v_ashrrev_i32_e32 v4, 31, v29
	v_mad_u32_u24 v5, 0x44, v3, v0
	v_xor_b32_e32 v2, s5, v2
	v_bitop3_b32 v1, v1, v7, v6 bitop3:0x80
	s_delay_alu instid0(VALU_DEP_4) | instskip(SKIP_3) | instid1(VALU_DEP_2)
	v_xor_b32_e32 v4, vcc_lo, v4
	ds_load_b32 v29, v5 offset:64
	; wave barrier
	v_bitop3_b32 v1, v1, v4, v2 bitop3:0x80
	v_mul_u32_u24_e32 v2, 0x44, v3
	v_mbcnt_lo_u32_b32 v30, v1, 0
	v_cmp_ne_u32_e64 s0, 0, v1
	s_delay_alu instid0(VALU_DEP_3) | instskip(NEXT) | instid1(VALU_DEP_3)
	v_add_nc_u32_e32 v31, v0, v2
	v_cmp_eq_u32_e32 vcc_lo, 0, v30
	s_and_b32 s1, s0, vcc_lo
	s_delay_alu instid0(SALU_CYCLE_1)
	s_and_saveexec_b32 s0, s1
	s_cbranch_execz .LBB2515_103
; %bb.102:
	s_wait_dscnt 0x0
	v_bcnt_u32_b32 v1, v1, v29
	ds_store_b32 v31, v1 offset:64
.LBB2515_103:
	s_or_b32 exec_lo, exec_lo, s0
	v_and_b32_e32 v1, 0xffff, v16
	; wave barrier
	s_delay_alu instid0(VALU_DEP_1) | instskip(NEXT) | instid1(VALU_DEP_1)
	v_lshrrev_b32_e32 v1, s20, v1
	v_and_b32_e32 v3, s6, v1
	s_delay_alu instid0(VALU_DEP_1) | instskip(SKIP_1) | instid1(VALU_DEP_1)
	v_lshlrev_b32_e32 v4, 30, v3
	v_bitop3_b32 v2, v1, 1, s6 bitop3:0x80
	v_add_co_u32 v1, s0, v2, -1
	s_delay_alu instid0(VALU_DEP_1) | instskip(NEXT) | instid1(VALU_DEP_4)
	v_cndmask_b32_e64 v2, 0, 1, s0
	v_cmp_gt_i32_e64 s0, 0, v4
	s_delay_alu instid0(VALU_DEP_2) | instskip(SKIP_1) | instid1(VALU_DEP_1)
	v_cmp_ne_u32_e32 vcc_lo, 0, v2
	v_not_b32_e32 v2, v4
	v_dual_ashrrev_i32 v2, 31, v2 :: v_dual_lshlrev_b32 v5, 29, v3
	v_dual_lshlrev_b32 v6, 28, v3 :: v_dual_lshlrev_b32 v7, 27, v3
	v_dual_lshlrev_b32 v32, 26, v3 :: v_dual_lshlrev_b32 v33, 25, v3
	v_lshlrev_b32_e32 v34, 24, v3
	s_delay_alu instid0(VALU_DEP_4)
	v_cmp_gt_i32_e64 s1, 0, v5
	v_not_b32_e32 v4, v5
	v_not_b32_e32 v5, v6
	v_cmp_gt_i32_e64 s2, 0, v6
	v_cmp_gt_i32_e64 s3, 0, v7
	v_not_b32_e32 v6, v7
	v_not_b32_e32 v7, v32
	v_dual_ashrrev_i32 v4, 31, v4 :: v_dual_bitop2_b32 v1, vcc_lo, v1 bitop3:0x14
	v_dual_ashrrev_i32 v5, 31, v5 :: v_dual_bitop2_b32 v2, s0, v2 bitop3:0x14
	v_cmp_gt_i32_e64 s4, 0, v32
	s_delay_alu instid0(VALU_DEP_4) | instskip(SKIP_1) | instid1(VALU_DEP_4)
	v_dual_ashrrev_i32 v6, 31, v6 :: v_dual_ashrrev_i32 v7, 31, v7
	v_not_b32_e32 v32, v34
	v_xor_b32_e32 v5, s2, v5
	v_bitop3_b32 v1, v1, v2, exec_lo bitop3:0x80
	v_not_b32_e32 v2, v33
	v_xor_b32_e32 v4, s1, v4
	v_cmp_gt_i32_e64 s5, 0, v33
	v_xor_b32_e32 v6, s3, v6
	s_delay_alu instid0(VALU_DEP_4) | instskip(NEXT) | instid1(VALU_DEP_4)
	v_dual_ashrrev_i32 v2, 31, v2 :: v_dual_bitop2_b32 v7, s4, v7 bitop3:0x14
	v_bitop3_b32 v1, v1, v5, v4 bitop3:0x80
	v_cmp_gt_i32_e32 vcc_lo, 0, v34
	v_ashrrev_i32_e32 v4, 31, v32
	v_mad_u32_u24 v5, 0x44, v3, v0
	v_xor_b32_e32 v2, s5, v2
	v_bitop3_b32 v1, v1, v7, v6 bitop3:0x80
	s_delay_alu instid0(VALU_DEP_4) | instskip(SKIP_3) | instid1(VALU_DEP_2)
	v_xor_b32_e32 v4, vcc_lo, v4
	ds_load_b32 v32, v5 offset:64
	; wave barrier
	v_bitop3_b32 v1, v1, v4, v2 bitop3:0x80
	v_mul_u32_u24_e32 v2, 0x44, v3
	v_mbcnt_lo_u32_b32 v33, v1, 0
	v_cmp_ne_u32_e64 s0, 0, v1
	s_delay_alu instid0(VALU_DEP_3) | instskip(NEXT) | instid1(VALU_DEP_3)
	v_add_nc_u32_e32 v34, v0, v2
	v_cmp_eq_u32_e32 vcc_lo, 0, v33
	s_and_b32 s1, s0, vcc_lo
	s_delay_alu instid0(SALU_CYCLE_1)
	s_and_saveexec_b32 s0, s1
	s_cbranch_execz .LBB2515_105
; %bb.104:
	s_wait_dscnt 0x0
	v_bcnt_u32_b32 v1, v1, v32
	ds_store_b32 v34, v1 offset:64
.LBB2515_105:
	s_or_b32 exec_lo, exec_lo, s0
	v_and_b32_e32 v1, 0xffff, v17
	; wave barrier
	s_delay_alu instid0(VALU_DEP_1) | instskip(NEXT) | instid1(VALU_DEP_1)
	v_lshrrev_b32_e32 v1, s20, v1
	v_and_b32_e32 v3, s6, v1
	s_delay_alu instid0(VALU_DEP_1) | instskip(SKIP_1) | instid1(VALU_DEP_1)
	v_lshlrev_b32_e32 v4, 30, v3
	v_bitop3_b32 v2, v1, 1, s6 bitop3:0x80
	v_add_co_u32 v1, s0, v2, -1
	s_delay_alu instid0(VALU_DEP_1) | instskip(NEXT) | instid1(VALU_DEP_4)
	v_cndmask_b32_e64 v2, 0, 1, s0
	v_cmp_gt_i32_e64 s0, 0, v4
	s_delay_alu instid0(VALU_DEP_2) | instskip(SKIP_1) | instid1(VALU_DEP_1)
	v_cmp_ne_u32_e32 vcc_lo, 0, v2
	v_not_b32_e32 v2, v4
	v_dual_ashrrev_i32 v2, 31, v2 :: v_dual_lshlrev_b32 v5, 29, v3
	v_dual_lshlrev_b32 v6, 28, v3 :: v_dual_lshlrev_b32 v7, 27, v3
	v_dual_lshlrev_b32 v35, 26, v3 :: v_dual_lshlrev_b32 v36, 25, v3
	v_lshlrev_b32_e32 v37, 24, v3
	s_delay_alu instid0(VALU_DEP_4)
	v_cmp_gt_i32_e64 s1, 0, v5
	v_not_b32_e32 v4, v5
	v_not_b32_e32 v5, v6
	v_cmp_gt_i32_e64 s2, 0, v6
	v_cmp_gt_i32_e64 s3, 0, v7
	v_not_b32_e32 v6, v7
	v_not_b32_e32 v7, v35
	v_dual_ashrrev_i32 v4, 31, v4 :: v_dual_bitop2_b32 v1, vcc_lo, v1 bitop3:0x14
	v_dual_ashrrev_i32 v5, 31, v5 :: v_dual_bitop2_b32 v2, s0, v2 bitop3:0x14
	v_cmp_gt_i32_e64 s4, 0, v35
	s_delay_alu instid0(VALU_DEP_4) | instskip(SKIP_1) | instid1(VALU_DEP_4)
	v_dual_ashrrev_i32 v6, 31, v6 :: v_dual_ashrrev_i32 v7, 31, v7
	v_not_b32_e32 v35, v37
	v_xor_b32_e32 v5, s2, v5
	v_bitop3_b32 v1, v1, v2, exec_lo bitop3:0x80
	v_not_b32_e32 v2, v36
	v_xor_b32_e32 v4, s1, v4
	v_cmp_gt_i32_e64 s5, 0, v36
	v_xor_b32_e32 v6, s3, v6
	s_delay_alu instid0(VALU_DEP_4) | instskip(NEXT) | instid1(VALU_DEP_4)
	v_dual_ashrrev_i32 v2, 31, v2 :: v_dual_bitop2_b32 v7, s4, v7 bitop3:0x14
	v_bitop3_b32 v1, v1, v5, v4 bitop3:0x80
	v_cmp_gt_i32_e32 vcc_lo, 0, v37
	v_ashrrev_i32_e32 v4, 31, v35
	v_mad_u32_u24 v5, 0x44, v3, v0
	v_xor_b32_e32 v2, s5, v2
	v_bitop3_b32 v1, v1, v7, v6 bitop3:0x80
	s_delay_alu instid0(VALU_DEP_4) | instskip(SKIP_3) | instid1(VALU_DEP_2)
	v_xor_b32_e32 v4, vcc_lo, v4
	ds_load_b32 v35, v5 offset:64
	; wave barrier
	v_bitop3_b32 v1, v1, v4, v2 bitop3:0x80
	v_mul_u32_u24_e32 v2, 0x44, v3
	v_mbcnt_lo_u32_b32 v36, v1, 0
	v_cmp_ne_u32_e64 s0, 0, v1
	s_delay_alu instid0(VALU_DEP_3) | instskip(NEXT) | instid1(VALU_DEP_3)
	v_add_nc_u32_e32 v37, v0, v2
	v_cmp_eq_u32_e32 vcc_lo, 0, v36
	s_and_b32 s1, s0, vcc_lo
	s_delay_alu instid0(SALU_CYCLE_1)
	s_and_saveexec_b32 s0, s1
	s_cbranch_execz .LBB2515_107
; %bb.106:
	s_wait_dscnt 0x0
	v_bcnt_u32_b32 v1, v1, v35
	ds_store_b32 v37, v1 offset:64
.LBB2515_107:
	s_or_b32 exec_lo, exec_lo, s0
	v_and_b32_e32 v1, 0xffff, v18
	; wave barrier
	s_delay_alu instid0(VALU_DEP_1) | instskip(NEXT) | instid1(VALU_DEP_1)
	v_lshrrev_b32_e32 v1, s20, v1
	v_and_b32_e32 v3, s6, v1
	s_delay_alu instid0(VALU_DEP_1) | instskip(SKIP_1) | instid1(VALU_DEP_1)
	v_lshlrev_b32_e32 v4, 30, v3
	v_bitop3_b32 v2, v1, 1, s6 bitop3:0x80
	v_add_co_u32 v1, s0, v2, -1
	s_delay_alu instid0(VALU_DEP_1) | instskip(NEXT) | instid1(VALU_DEP_4)
	v_cndmask_b32_e64 v2, 0, 1, s0
	v_cmp_gt_i32_e64 s0, 0, v4
	s_delay_alu instid0(VALU_DEP_2) | instskip(SKIP_1) | instid1(VALU_DEP_1)
	v_cmp_ne_u32_e32 vcc_lo, 0, v2
	v_not_b32_e32 v2, v4
	v_dual_ashrrev_i32 v2, 31, v2 :: v_dual_lshlrev_b32 v5, 29, v3
	v_dual_lshlrev_b32 v6, 28, v3 :: v_dual_lshlrev_b32 v7, 27, v3
	v_dual_lshlrev_b32 v38, 26, v3 :: v_dual_lshlrev_b32 v39, 25, v3
	v_lshlrev_b32_e32 v40, 24, v3
	s_delay_alu instid0(VALU_DEP_4)
	v_cmp_gt_i32_e64 s1, 0, v5
	v_not_b32_e32 v4, v5
	v_not_b32_e32 v5, v6
	v_cmp_gt_i32_e64 s2, 0, v6
	v_cmp_gt_i32_e64 s3, 0, v7
	v_not_b32_e32 v6, v7
	v_not_b32_e32 v7, v38
	v_dual_ashrrev_i32 v4, 31, v4 :: v_dual_bitop2_b32 v1, vcc_lo, v1 bitop3:0x14
	v_dual_ashrrev_i32 v5, 31, v5 :: v_dual_bitop2_b32 v2, s0, v2 bitop3:0x14
	v_cmp_gt_i32_e64 s4, 0, v38
	s_delay_alu instid0(VALU_DEP_4) | instskip(SKIP_1) | instid1(VALU_DEP_4)
	v_dual_ashrrev_i32 v6, 31, v6 :: v_dual_ashrrev_i32 v7, 31, v7
	v_not_b32_e32 v38, v40
	v_xor_b32_e32 v5, s2, v5
	v_bitop3_b32 v1, v1, v2, exec_lo bitop3:0x80
	v_not_b32_e32 v2, v39
	v_xor_b32_e32 v4, s1, v4
	v_cmp_gt_i32_e64 s5, 0, v39
	v_xor_b32_e32 v6, s3, v6
	s_delay_alu instid0(VALU_DEP_4) | instskip(NEXT) | instid1(VALU_DEP_4)
	v_dual_ashrrev_i32 v2, 31, v2 :: v_dual_bitop2_b32 v7, s4, v7 bitop3:0x14
	v_bitop3_b32 v1, v1, v5, v4 bitop3:0x80
	v_cmp_gt_i32_e32 vcc_lo, 0, v40
	v_ashrrev_i32_e32 v4, 31, v38
	v_mad_u32_u24 v5, 0x44, v3, v0
	v_xor_b32_e32 v2, s5, v2
	v_bitop3_b32 v1, v1, v7, v6 bitop3:0x80
	s_delay_alu instid0(VALU_DEP_4) | instskip(SKIP_3) | instid1(VALU_DEP_2)
	v_xor_b32_e32 v4, vcc_lo, v4
	ds_load_b32 v38, v5 offset:64
	; wave barrier
	v_bitop3_b32 v1, v1, v4, v2 bitop3:0x80
	v_mul_u32_u24_e32 v2, 0x44, v3
	v_mbcnt_lo_u32_b32 v39, v1, 0
	v_cmp_ne_u32_e64 s0, 0, v1
	s_delay_alu instid0(VALU_DEP_3) | instskip(NEXT) | instid1(VALU_DEP_3)
	v_add_nc_u32_e32 v40, v0, v2
	v_cmp_eq_u32_e32 vcc_lo, 0, v39
	s_and_b32 s1, s0, vcc_lo
	s_delay_alu instid0(SALU_CYCLE_1)
	s_and_saveexec_b32 s0, s1
	s_cbranch_execz .LBB2515_109
; %bb.108:
	s_wait_dscnt 0x0
	v_bcnt_u32_b32 v1, v1, v38
	ds_store_b32 v40, v1 offset:64
.LBB2515_109:
	s_or_b32 exec_lo, exec_lo, s0
	v_and_b32_e32 v1, 0xffff, v19
	; wave barrier
	s_delay_alu instid0(VALU_DEP_1) | instskip(NEXT) | instid1(VALU_DEP_1)
	v_lshrrev_b32_e32 v1, s20, v1
	v_and_b32_e32 v3, s6, v1
	s_delay_alu instid0(VALU_DEP_1) | instskip(SKIP_1) | instid1(VALU_DEP_1)
	v_lshlrev_b32_e32 v4, 30, v3
	v_bitop3_b32 v2, v1, 1, s6 bitop3:0x80
	v_add_co_u32 v1, s0, v2, -1
	s_delay_alu instid0(VALU_DEP_1) | instskip(NEXT) | instid1(VALU_DEP_4)
	v_cndmask_b32_e64 v2, 0, 1, s0
	v_cmp_gt_i32_e64 s0, 0, v4
	s_delay_alu instid0(VALU_DEP_2) | instskip(SKIP_1) | instid1(VALU_DEP_1)
	v_cmp_ne_u32_e32 vcc_lo, 0, v2
	v_not_b32_e32 v2, v4
	v_dual_ashrrev_i32 v2, 31, v2 :: v_dual_lshlrev_b32 v5, 29, v3
	v_dual_lshlrev_b32 v6, 28, v3 :: v_dual_lshlrev_b32 v7, 27, v3
	v_dual_lshlrev_b32 v41, 26, v3 :: v_dual_lshlrev_b32 v42, 25, v3
	v_lshlrev_b32_e32 v43, 24, v3
	s_delay_alu instid0(VALU_DEP_4)
	v_cmp_gt_i32_e64 s1, 0, v5
	v_not_b32_e32 v4, v5
	v_not_b32_e32 v5, v6
	v_cmp_gt_i32_e64 s2, 0, v6
	v_cmp_gt_i32_e64 s3, 0, v7
	v_not_b32_e32 v6, v7
	v_not_b32_e32 v7, v41
	v_dual_ashrrev_i32 v4, 31, v4 :: v_dual_bitop2_b32 v1, vcc_lo, v1 bitop3:0x14
	v_dual_ashrrev_i32 v5, 31, v5 :: v_dual_bitop2_b32 v2, s0, v2 bitop3:0x14
	v_cmp_gt_i32_e64 s4, 0, v41
	s_delay_alu instid0(VALU_DEP_4) | instskip(NEXT) | instid1(VALU_DEP_3)
	v_dual_ashrrev_i32 v6, 31, v6 :: v_dual_ashrrev_i32 v7, 31, v7
	v_xor_b32_e32 v5, s2, v5
	s_delay_alu instid0(VALU_DEP_4)
	v_bitop3_b32 v1, v1, v2, exec_lo bitop3:0x80
	v_not_b32_e32 v2, v42
	v_xor_b32_e32 v4, s1, v4
	v_not_b32_e32 v41, v43
	v_cmp_gt_i32_e64 s5, 0, v42
	v_xor_b32_e32 v6, s3, v6
	v_dual_ashrrev_i32 v2, 31, v2 :: v_dual_bitop2_b32 v7, s4, v7 bitop3:0x14
	v_bitop3_b32 v1, v1, v5, v4 bitop3:0x80
	v_cmp_gt_i32_e32 vcc_lo, 0, v43
	v_ashrrev_i32_e32 v4, 31, v41
	v_mad_u32_u24 v5, 0x44, v3, v0
	v_xor_b32_e32 v2, s5, v2
	v_bitop3_b32 v1, v1, v7, v6 bitop3:0x80
	s_delay_alu instid0(VALU_DEP_4) | instskip(SKIP_3) | instid1(VALU_DEP_2)
	v_xor_b32_e32 v4, vcc_lo, v4
	ds_load_b32 v41, v5 offset:64
	; wave barrier
	v_bitop3_b32 v1, v1, v4, v2 bitop3:0x80
	v_mul_u32_u24_e32 v2, 0x44, v3
	v_mbcnt_lo_u32_b32 v42, v1, 0
	v_cmp_ne_u32_e64 s0, 0, v1
	s_delay_alu instid0(VALU_DEP_3) | instskip(NEXT) | instid1(VALU_DEP_3)
	v_add_nc_u32_e32 v44, v0, v2
	v_cmp_eq_u32_e32 vcc_lo, 0, v42
	s_and_b32 s1, s0, vcc_lo
	s_delay_alu instid0(SALU_CYCLE_1)
	s_and_saveexec_b32 s0, s1
	s_cbranch_execz .LBB2515_111
; %bb.110:
	s_wait_dscnt 0x0
	v_bcnt_u32_b32 v1, v1, v41
	ds_store_b32 v44, v1 offset:64
.LBB2515_111:
	s_or_b32 exec_lo, exec_lo, s0
	v_and_b32_e32 v1, 0xffff, v13
	; wave barrier
	s_delay_alu instid0(VALU_DEP_1) | instskip(NEXT) | instid1(VALU_DEP_1)
	v_lshrrev_b32_e32 v1, s20, v1
	v_and_b32_e32 v3, s6, v1
	s_delay_alu instid0(VALU_DEP_1) | instskip(SKIP_1) | instid1(VALU_DEP_1)
	v_lshlrev_b32_e32 v4, 30, v3
	v_bitop3_b32 v2, v1, 1, s6 bitop3:0x80
	v_add_co_u32 v1, s0, v2, -1
	s_delay_alu instid0(VALU_DEP_1) | instskip(NEXT) | instid1(VALU_DEP_4)
	v_cndmask_b32_e64 v2, 0, 1, s0
	v_cmp_gt_i32_e64 s0, 0, v4
	s_delay_alu instid0(VALU_DEP_2) | instskip(SKIP_1) | instid1(VALU_DEP_1)
	v_cmp_ne_u32_e32 vcc_lo, 0, v2
	v_not_b32_e32 v2, v4
	v_dual_ashrrev_i32 v2, 31, v2 :: v_dual_lshlrev_b32 v5, 29, v3
	v_dual_lshlrev_b32 v6, 28, v3 :: v_dual_lshlrev_b32 v7, 27, v3
	v_dual_lshlrev_b32 v43, 26, v3 :: v_dual_lshlrev_b32 v45, 25, v3
	v_lshlrev_b32_e32 v46, 24, v3
	s_delay_alu instid0(VALU_DEP_4)
	v_cmp_gt_i32_e64 s1, 0, v5
	v_not_b32_e32 v4, v5
	v_not_b32_e32 v5, v6
	v_cmp_gt_i32_e64 s2, 0, v6
	v_cmp_gt_i32_e64 s3, 0, v7
	v_not_b32_e32 v6, v7
	v_not_b32_e32 v7, v43
	v_dual_ashrrev_i32 v4, 31, v4 :: v_dual_bitop2_b32 v1, vcc_lo, v1 bitop3:0x14
	v_dual_ashrrev_i32 v5, 31, v5 :: v_dual_bitop2_b32 v2, s0, v2 bitop3:0x14
	v_cmp_gt_i32_e64 s4, 0, v43
	s_delay_alu instid0(VALU_DEP_4) | instskip(SKIP_1) | instid1(VALU_DEP_4)
	v_dual_ashrrev_i32 v6, 31, v6 :: v_dual_ashrrev_i32 v7, 31, v7
	v_not_b32_e32 v43, v46
	v_xor_b32_e32 v5, s2, v5
	v_bitop3_b32 v1, v1, v2, exec_lo bitop3:0x80
	v_not_b32_e32 v2, v45
	v_xor_b32_e32 v4, s1, v4
	v_cmp_gt_i32_e64 s5, 0, v45
	v_xor_b32_e32 v6, s3, v6
	s_delay_alu instid0(VALU_DEP_4) | instskip(NEXT) | instid1(VALU_DEP_4)
	v_dual_ashrrev_i32 v2, 31, v2 :: v_dual_bitop2_b32 v7, s4, v7 bitop3:0x14
	v_bitop3_b32 v1, v1, v5, v4 bitop3:0x80
	v_cmp_gt_i32_e32 vcc_lo, 0, v46
	v_ashrrev_i32_e32 v4, 31, v43
	v_mad_u32_u24 v5, 0x44, v3, v0
	v_xor_b32_e32 v2, s5, v2
	v_bitop3_b32 v1, v1, v7, v6 bitop3:0x80
	s_delay_alu instid0(VALU_DEP_4) | instskip(SKIP_3) | instid1(VALU_DEP_2)
	v_xor_b32_e32 v4, vcc_lo, v4
	ds_load_b32 v43, v5 offset:64
	; wave barrier
	v_bitop3_b32 v1, v1, v4, v2 bitop3:0x80
	v_mul_u32_u24_e32 v2, 0x44, v3
	v_mbcnt_lo_u32_b32 v45, v1, 0
	v_cmp_ne_u32_e64 s0, 0, v1
	s_delay_alu instid0(VALU_DEP_3) | instskip(NEXT) | instid1(VALU_DEP_3)
	v_add_nc_u32_e32 v48, v0, v2
	v_cmp_eq_u32_e32 vcc_lo, 0, v45
	s_and_b32 s1, s0, vcc_lo
	s_delay_alu instid0(SALU_CYCLE_1)
	s_and_saveexec_b32 s0, s1
	s_cbranch_execz .LBB2515_113
; %bb.112:
	s_wait_dscnt 0x0
	v_bcnt_u32_b32 v1, v1, v43
	ds_store_b32 v48, v1 offset:64
.LBB2515_113:
	s_or_b32 exec_lo, exec_lo, s0
	v_and_b32_e32 v1, 0xffff, v8
	; wave barrier
	s_delay_alu instid0(VALU_DEP_1) | instskip(NEXT) | instid1(VALU_DEP_1)
	v_lshrrev_b32_e32 v1, s20, v1
	v_and_b32_e32 v3, s6, v1
	s_delay_alu instid0(VALU_DEP_1) | instskip(SKIP_1) | instid1(VALU_DEP_1)
	v_lshlrev_b32_e32 v4, 30, v3
	v_bitop3_b32 v2, v1, 1, s6 bitop3:0x80
	v_add_co_u32 v1, s0, v2, -1
	s_delay_alu instid0(VALU_DEP_1) | instskip(NEXT) | instid1(VALU_DEP_4)
	v_cndmask_b32_e64 v2, 0, 1, s0
	v_cmp_gt_i32_e64 s0, 0, v4
	s_delay_alu instid0(VALU_DEP_2) | instskip(SKIP_1) | instid1(VALU_DEP_1)
	v_cmp_ne_u32_e32 vcc_lo, 0, v2
	v_not_b32_e32 v2, v4
	v_dual_ashrrev_i32 v2, 31, v2 :: v_dual_lshlrev_b32 v5, 29, v3
	v_dual_lshlrev_b32 v6, 28, v3 :: v_dual_lshlrev_b32 v7, 27, v3
	v_dual_lshlrev_b32 v46, 26, v3 :: v_dual_lshlrev_b32 v47, 25, v3
	v_lshlrev_b32_e32 v49, 24, v3
	s_delay_alu instid0(VALU_DEP_4)
	v_cmp_gt_i32_e64 s1, 0, v5
	v_not_b32_e32 v4, v5
	v_not_b32_e32 v5, v6
	v_cmp_gt_i32_e64 s2, 0, v6
	v_cmp_gt_i32_e64 s3, 0, v7
	v_not_b32_e32 v6, v7
	v_not_b32_e32 v7, v46
	v_dual_ashrrev_i32 v4, 31, v4 :: v_dual_bitop2_b32 v1, vcc_lo, v1 bitop3:0x14
	v_dual_ashrrev_i32 v5, 31, v5 :: v_dual_bitop2_b32 v2, s0, v2 bitop3:0x14
	v_cmp_gt_i32_e64 s4, 0, v46
	s_delay_alu instid0(VALU_DEP_4) | instskip(SKIP_1) | instid1(VALU_DEP_4)
	v_dual_ashrrev_i32 v6, 31, v6 :: v_dual_ashrrev_i32 v7, 31, v7
	v_not_b32_e32 v46, v49
	v_xor_b32_e32 v5, s2, v5
	v_bitop3_b32 v1, v1, v2, exec_lo bitop3:0x80
	v_not_b32_e32 v2, v47
	v_xor_b32_e32 v4, s1, v4
	v_cmp_gt_i32_e64 s5, 0, v47
	v_xor_b32_e32 v6, s3, v6
	s_delay_alu instid0(VALU_DEP_4) | instskip(NEXT) | instid1(VALU_DEP_4)
	v_dual_ashrrev_i32 v2, 31, v2 :: v_dual_bitop2_b32 v7, s4, v7 bitop3:0x14
	v_bitop3_b32 v1, v1, v5, v4 bitop3:0x80
	v_cmp_gt_i32_e32 vcc_lo, 0, v49
	v_ashrrev_i32_e32 v4, 31, v46
	v_mad_u32_u24 v5, 0x44, v3, v0
	v_xor_b32_e32 v2, s5, v2
	v_bitop3_b32 v1, v1, v7, v6 bitop3:0x80
	s_delay_alu instid0(VALU_DEP_4) | instskip(SKIP_3) | instid1(VALU_DEP_2)
	v_xor_b32_e32 v4, vcc_lo, v4
	ds_load_b32 v46, v5 offset:64
	; wave barrier
	v_bitop3_b32 v1, v1, v4, v2 bitop3:0x80
	v_mul_u32_u24_e32 v2, 0x44, v3
	v_mbcnt_lo_u32_b32 v47, v1, 0
	v_cmp_ne_u32_e64 s0, 0, v1
	s_delay_alu instid0(VALU_DEP_3) | instskip(NEXT) | instid1(VALU_DEP_3)
	v_add_nc_u32_e32 v51, v0, v2
	v_cmp_eq_u32_e32 vcc_lo, 0, v47
	s_and_b32 s1, s0, vcc_lo
	s_delay_alu instid0(SALU_CYCLE_1)
	s_and_saveexec_b32 s0, s1
	s_cbranch_execz .LBB2515_115
; %bb.114:
	s_wait_dscnt 0x0
	v_bcnt_u32_b32 v1, v1, v46
	ds_store_b32 v51, v1 offset:64
.LBB2515_115:
	s_or_b32 exec_lo, exec_lo, s0
	v_and_b32_e32 v1, 0xffff, v9
	; wave barrier
	s_delay_alu instid0(VALU_DEP_1) | instskip(NEXT) | instid1(VALU_DEP_1)
	v_lshrrev_b32_e32 v1, s20, v1
	v_and_b32_e32 v3, s6, v1
	s_delay_alu instid0(VALU_DEP_1) | instskip(SKIP_1) | instid1(VALU_DEP_1)
	v_lshlrev_b32_e32 v4, 30, v3
	v_bitop3_b32 v2, v1, 1, s6 bitop3:0x80
	v_add_co_u32 v1, s0, v2, -1
	s_delay_alu instid0(VALU_DEP_1) | instskip(NEXT) | instid1(VALU_DEP_4)
	v_cndmask_b32_e64 v2, 0, 1, s0
	v_cmp_gt_i32_e64 s0, 0, v4
	s_delay_alu instid0(VALU_DEP_2) | instskip(SKIP_1) | instid1(VALU_DEP_1)
	v_cmp_ne_u32_e32 vcc_lo, 0, v2
	v_not_b32_e32 v2, v4
	v_dual_ashrrev_i32 v2, 31, v2 :: v_dual_lshlrev_b32 v5, 29, v3
	v_dual_lshlrev_b32 v6, 28, v3 :: v_dual_lshlrev_b32 v7, 27, v3
	v_dual_lshlrev_b32 v49, 26, v3 :: v_dual_lshlrev_b32 v50, 25, v3
	v_lshlrev_b32_e32 v52, 24, v3
	s_delay_alu instid0(VALU_DEP_4)
	v_cmp_gt_i32_e64 s1, 0, v5
	v_not_b32_e32 v4, v5
	v_not_b32_e32 v5, v6
	v_cmp_gt_i32_e64 s2, 0, v6
	v_cmp_gt_i32_e64 s3, 0, v7
	v_not_b32_e32 v6, v7
	v_not_b32_e32 v7, v49
	v_dual_ashrrev_i32 v4, 31, v4 :: v_dual_bitop2_b32 v1, vcc_lo, v1 bitop3:0x14
	v_dual_ashrrev_i32 v5, 31, v5 :: v_dual_bitop2_b32 v2, s0, v2 bitop3:0x14
	v_cmp_gt_i32_e64 s4, 0, v49
	s_delay_alu instid0(VALU_DEP_4) | instskip(NEXT) | instid1(VALU_DEP_3)
	v_dual_ashrrev_i32 v6, 31, v6 :: v_dual_ashrrev_i32 v7, 31, v7
	v_xor_b32_e32 v5, s2, v5
	s_delay_alu instid0(VALU_DEP_4)
	v_bitop3_b32 v1, v1, v2, exec_lo bitop3:0x80
	v_not_b32_e32 v2, v50
	v_xor_b32_e32 v4, s1, v4
	v_not_b32_e32 v49, v52
	v_cmp_gt_i32_e64 s5, 0, v50
	v_xor_b32_e32 v6, s3, v6
	v_dual_ashrrev_i32 v2, 31, v2 :: v_dual_bitop2_b32 v7, s4, v7 bitop3:0x14
	v_bitop3_b32 v1, v1, v5, v4 bitop3:0x80
	v_cmp_gt_i32_e32 vcc_lo, 0, v52
	v_ashrrev_i32_e32 v4, 31, v49
	v_mad_u32_u24 v5, 0x44, v3, v0
	v_xor_b32_e32 v2, s5, v2
	v_bitop3_b32 v1, v1, v7, v6 bitop3:0x80
	s_delay_alu instid0(VALU_DEP_4) | instskip(SKIP_3) | instid1(VALU_DEP_2)
	v_xor_b32_e32 v4, vcc_lo, v4
	ds_load_b32 v49, v5 offset:64
	; wave barrier
	v_bitop3_b32 v1, v1, v4, v2 bitop3:0x80
	v_mul_u32_u24_e32 v2, 0x44, v3
	v_mbcnt_lo_u32_b32 v50, v1, 0
	v_cmp_ne_u32_e64 s0, 0, v1
	s_delay_alu instid0(VALU_DEP_3) | instskip(NEXT) | instid1(VALU_DEP_3)
	v_add_nc_u32_e32 v54, v0, v2
	v_cmp_eq_u32_e32 vcc_lo, 0, v50
	s_and_b32 s1, s0, vcc_lo
	s_delay_alu instid0(SALU_CYCLE_1)
	s_and_saveexec_b32 s0, s1
	s_cbranch_execz .LBB2515_117
; %bb.116:
	s_wait_dscnt 0x0
	v_bcnt_u32_b32 v1, v1, v49
	ds_store_b32 v54, v1 offset:64
.LBB2515_117:
	s_or_b32 exec_lo, exec_lo, s0
	v_and_b32_e32 v1, 0xffff, v10
	; wave barrier
	s_delay_alu instid0(VALU_DEP_1) | instskip(NEXT) | instid1(VALU_DEP_1)
	v_lshrrev_b32_e32 v1, s20, v1
	v_and_b32_e32 v3, s6, v1
	s_delay_alu instid0(VALU_DEP_1) | instskip(SKIP_1) | instid1(VALU_DEP_1)
	v_lshlrev_b32_e32 v4, 30, v3
	v_bitop3_b32 v2, v1, 1, s6 bitop3:0x80
	v_add_co_u32 v1, s0, v2, -1
	s_delay_alu instid0(VALU_DEP_1) | instskip(NEXT) | instid1(VALU_DEP_4)
	v_cndmask_b32_e64 v2, 0, 1, s0
	v_cmp_gt_i32_e64 s0, 0, v4
	s_delay_alu instid0(VALU_DEP_2) | instskip(SKIP_1) | instid1(VALU_DEP_1)
	v_cmp_ne_u32_e32 vcc_lo, 0, v2
	v_not_b32_e32 v2, v4
	v_dual_ashrrev_i32 v2, 31, v2 :: v_dual_lshlrev_b32 v5, 29, v3
	v_dual_lshlrev_b32 v6, 28, v3 :: v_dual_lshlrev_b32 v7, 27, v3
	v_dual_lshlrev_b32 v52, 26, v3 :: v_dual_lshlrev_b32 v53, 25, v3
	v_lshlrev_b32_e32 v55, 24, v3
	s_delay_alu instid0(VALU_DEP_4)
	v_cmp_gt_i32_e64 s1, 0, v5
	v_not_b32_e32 v4, v5
	v_not_b32_e32 v5, v6
	v_cmp_gt_i32_e64 s2, 0, v6
	v_cmp_gt_i32_e64 s3, 0, v7
	v_not_b32_e32 v6, v7
	v_not_b32_e32 v7, v52
	v_dual_ashrrev_i32 v4, 31, v4 :: v_dual_bitop2_b32 v1, vcc_lo, v1 bitop3:0x14
	v_dual_ashrrev_i32 v5, 31, v5 :: v_dual_bitop2_b32 v2, s0, v2 bitop3:0x14
	v_cmp_gt_i32_e64 s4, 0, v52
	s_delay_alu instid0(VALU_DEP_4) | instskip(SKIP_1) | instid1(VALU_DEP_4)
	v_dual_ashrrev_i32 v6, 31, v6 :: v_dual_ashrrev_i32 v7, 31, v7
	v_not_b32_e32 v52, v55
	v_xor_b32_e32 v5, s2, v5
	v_bitop3_b32 v1, v1, v2, exec_lo bitop3:0x80
	v_not_b32_e32 v2, v53
	v_xor_b32_e32 v4, s1, v4
	v_cmp_gt_i32_e64 s5, 0, v53
	v_xor_b32_e32 v6, s3, v6
	s_delay_alu instid0(VALU_DEP_4) | instskip(NEXT) | instid1(VALU_DEP_4)
	v_dual_ashrrev_i32 v2, 31, v2 :: v_dual_bitop2_b32 v7, s4, v7 bitop3:0x14
	v_bitop3_b32 v1, v1, v5, v4 bitop3:0x80
	v_cmp_gt_i32_e32 vcc_lo, 0, v55
	v_ashrrev_i32_e32 v4, 31, v52
	v_mad_u32_u24 v5, 0x44, v3, v0
	v_xor_b32_e32 v2, s5, v2
	v_bitop3_b32 v1, v1, v7, v6 bitop3:0x80
	s_delay_alu instid0(VALU_DEP_4) | instskip(SKIP_3) | instid1(VALU_DEP_2)
	v_xor_b32_e32 v4, vcc_lo, v4
	ds_load_b32 v52, v5 offset:64
	; wave barrier
	v_bitop3_b32 v1, v1, v4, v2 bitop3:0x80
	v_mul_u32_u24_e32 v2, 0x44, v3
	v_mbcnt_lo_u32_b32 v53, v1, 0
	v_cmp_ne_u32_e64 s0, 0, v1
	s_delay_alu instid0(VALU_DEP_3) | instskip(NEXT) | instid1(VALU_DEP_3)
	v_add_nc_u32_e32 v57, v0, v2
	v_cmp_eq_u32_e32 vcc_lo, 0, v53
	s_and_b32 s1, s0, vcc_lo
	s_delay_alu instid0(SALU_CYCLE_1)
	s_and_saveexec_b32 s0, s1
	s_cbranch_execz .LBB2515_119
; %bb.118:
	s_wait_dscnt 0x0
	v_bcnt_u32_b32 v1, v1, v52
	ds_store_b32 v57, v1 offset:64
.LBB2515_119:
	s_or_b32 exec_lo, exec_lo, s0
	v_and_b32_e32 v1, 0xffff, v11
	; wave barrier
	s_delay_alu instid0(VALU_DEP_1) | instskip(NEXT) | instid1(VALU_DEP_1)
	v_lshrrev_b32_e32 v1, s20, v1
	v_and_b32_e32 v3, s6, v1
	s_delay_alu instid0(VALU_DEP_1) | instskip(SKIP_1) | instid1(VALU_DEP_1)
	v_lshlrev_b32_e32 v4, 30, v3
	v_bitop3_b32 v2, v1, 1, s6 bitop3:0x80
	v_add_co_u32 v1, s0, v2, -1
	s_delay_alu instid0(VALU_DEP_1) | instskip(NEXT) | instid1(VALU_DEP_4)
	v_cndmask_b32_e64 v2, 0, 1, s0
	v_cmp_gt_i32_e64 s0, 0, v4
	s_delay_alu instid0(VALU_DEP_2) | instskip(SKIP_1) | instid1(VALU_DEP_1)
	v_cmp_ne_u32_e32 vcc_lo, 0, v2
	v_not_b32_e32 v2, v4
	v_dual_ashrrev_i32 v2, 31, v2 :: v_dual_lshlrev_b32 v5, 29, v3
	v_dual_lshlrev_b32 v6, 28, v3 :: v_dual_lshlrev_b32 v7, 27, v3
	v_dual_lshlrev_b32 v55, 26, v3 :: v_dual_lshlrev_b32 v56, 25, v3
	v_lshlrev_b32_e32 v58, 24, v3
	s_delay_alu instid0(VALU_DEP_4)
	v_cmp_gt_i32_e64 s1, 0, v5
	v_not_b32_e32 v4, v5
	v_not_b32_e32 v5, v6
	v_cmp_gt_i32_e64 s2, 0, v6
	v_cmp_gt_i32_e64 s3, 0, v7
	v_not_b32_e32 v6, v7
	v_not_b32_e32 v7, v55
	v_dual_ashrrev_i32 v4, 31, v4 :: v_dual_bitop2_b32 v1, vcc_lo, v1 bitop3:0x14
	v_dual_ashrrev_i32 v5, 31, v5 :: v_dual_bitop2_b32 v2, s0, v2 bitop3:0x14
	v_cmp_gt_i32_e64 s4, 0, v55
	s_delay_alu instid0(VALU_DEP_4) | instskip(SKIP_1) | instid1(VALU_DEP_4)
	v_dual_ashrrev_i32 v6, 31, v6 :: v_dual_ashrrev_i32 v7, 31, v7
	v_not_b32_e32 v55, v58
	v_xor_b32_e32 v5, s2, v5
	v_bitop3_b32 v1, v1, v2, exec_lo bitop3:0x80
	v_not_b32_e32 v2, v56
	v_xor_b32_e32 v4, s1, v4
	v_cmp_gt_i32_e64 s5, 0, v56
	v_xor_b32_e32 v6, s3, v6
	s_delay_alu instid0(VALU_DEP_4) | instskip(NEXT) | instid1(VALU_DEP_4)
	v_dual_ashrrev_i32 v2, 31, v2 :: v_dual_bitop2_b32 v7, s4, v7 bitop3:0x14
	v_bitop3_b32 v1, v1, v5, v4 bitop3:0x80
	v_cmp_gt_i32_e32 vcc_lo, 0, v58
	v_ashrrev_i32_e32 v4, 31, v55
	v_mad_u32_u24 v5, 0x44, v3, v0
	v_xor_b32_e32 v2, s5, v2
	v_bitop3_b32 v1, v1, v7, v6 bitop3:0x80
	s_delay_alu instid0(VALU_DEP_4) | instskip(SKIP_3) | instid1(VALU_DEP_2)
	v_xor_b32_e32 v4, vcc_lo, v4
	ds_load_b32 v55, v5 offset:64
	; wave barrier
	v_bitop3_b32 v1, v1, v4, v2 bitop3:0x80
	v_mul_u32_u24_e32 v2, 0x44, v3
	v_mbcnt_lo_u32_b32 v56, v1, 0
	v_cmp_ne_u32_e64 s0, 0, v1
	s_delay_alu instid0(VALU_DEP_3) | instskip(NEXT) | instid1(VALU_DEP_3)
	v_add_nc_u32_e32 v58, v0, v2
	v_cmp_eq_u32_e32 vcc_lo, 0, v56
	s_and_b32 s1, s0, vcc_lo
	s_delay_alu instid0(SALU_CYCLE_1)
	s_and_saveexec_b32 s0, s1
	s_cbranch_execz .LBB2515_121
; %bb.120:
	s_wait_dscnt 0x0
	v_bcnt_u32_b32 v0, v1, v55
	ds_store_b32 v58, v0 offset:64
.LBB2515_121:
	s_or_b32 exec_lo, exec_lo, s0
	; wave barrier
	s_wait_dscnt 0x0
	s_barrier_signal -1
	s_barrier_wait -1
	ds_load_2addr_b32 v[6:7], v24 offset0:16 offset1:17
	ds_load_2addr_b32 v[4:5], v24 offset0:18 offset1:19
	;; [unrolled: 1-line block ×4, first 2 shown]
	ds_load_b32 v59, v24 offset:96
	v_min_u32_e32 v15, 0x1e0, v15
	s_mov_b32 s4, exec_lo
	s_wait_dscnt 0x3
	v_add3_u32 v60, v7, v6, v4
	s_wait_dscnt 0x2
	s_delay_alu instid0(VALU_DEP_1) | instskip(SKIP_1) | instid1(VALU_DEP_1)
	v_add3_u32 v60, v60, v5, v2
	s_wait_dscnt 0x1
	v_add3_u32 v60, v60, v3, v0
	s_wait_dscnt 0x0
	s_delay_alu instid0(VALU_DEP_1) | instskip(SKIP_1) | instid1(VALU_DEP_2)
	v_add3_u32 v59, v60, v1, v59
	v_and_b32_e32 v60, 15, v14
	v_mov_b32_dpp v61, v59 row_shr:1 row_mask:0xf bank_mask:0xf
	s_delay_alu instid0(VALU_DEP_2) | instskip(NEXT) | instid1(VALU_DEP_2)
	v_cmp_eq_u32_e32 vcc_lo, 0, v60
	v_cndmask_b32_e64 v61, v61, 0, vcc_lo
	s_delay_alu instid0(VALU_DEP_1) | instskip(SKIP_3) | instid1(VALU_DEP_4)
	v_add_nc_u32_e32 v59, v61, v59
	v_cmp_lt_u32_e64 s0, 1, v60
	v_cmp_lt_u32_e64 s1, 3, v60
	;; [unrolled: 1-line block ×3, first 2 shown]
	v_mov_b32_dpp v61, v59 row_shr:2 row_mask:0xf bank_mask:0xf
	s_delay_alu instid0(VALU_DEP_1) | instskip(NEXT) | instid1(VALU_DEP_1)
	v_cndmask_b32_e64 v61, 0, v61, s0
	v_add_nc_u32_e32 v59, v59, v61
	s_delay_alu instid0(VALU_DEP_1) | instskip(NEXT) | instid1(VALU_DEP_1)
	v_mov_b32_dpp v61, v59 row_shr:4 row_mask:0xf bank_mask:0xf
	v_cndmask_b32_e64 v61, 0, v61, s1
	s_delay_alu instid0(VALU_DEP_1) | instskip(NEXT) | instid1(VALU_DEP_1)
	v_add_nc_u32_e32 v59, v59, v61
	v_mov_b32_dpp v61, v59 row_shr:8 row_mask:0xf bank_mask:0xf
	s_delay_alu instid0(VALU_DEP_1) | instskip(SKIP_1) | instid1(VALU_DEP_2)
	v_cndmask_b32_e64 v60, 0, v61, s2
	v_bfe_i32 v61, v14, 4, 1
	v_add_nc_u32_e32 v60, v59, v60
	ds_swizzle_b32 v59, v60 offset:swizzle(BROADCAST,32,15)
	s_wait_dscnt 0x0
	v_dual_lshrrev_b32 v59, 5, v12 :: v_dual_bitop2_b32 v61, v61, v59 bitop3:0x40
	s_delay_alu instid0(VALU_DEP_1) | instskip(NEXT) | instid1(VALU_DEP_1)
	v_dual_add_nc_u32 v15, v60, v61 :: v_dual_bitop2_b32 v62, 31, v15 bitop3:0x54
	v_cmpx_eq_u32_e64 v12, v62
; %bb.122:
	s_delay_alu instid0(VALU_DEP_3)
	v_lshlrev_b32_e32 v60, 2, v59
	ds_store_b32 v60, v15
; %bb.123:
	s_or_b32 exec_lo, exec_lo, s4
	s_delay_alu instid0(SALU_CYCLE_1)
	s_mov_b32 s4, exec_lo
	s_wait_dscnt 0x0
	s_barrier_signal -1
	s_barrier_wait -1
	v_cmpx_gt_u32_e32 16, v12
	s_cbranch_execz .LBB2515_125
; %bb.124:
	v_lshlrev_b32_e32 v60, 2, v12
	ds_load_b32 v61, v60
	s_wait_dscnt 0x0
	v_mov_b32_dpp v62, v61 row_shr:1 row_mask:0xf bank_mask:0xf
	s_delay_alu instid0(VALU_DEP_1) | instskip(NEXT) | instid1(VALU_DEP_1)
	v_cndmask_b32_e64 v62, v62, 0, vcc_lo
	v_add_nc_u32_e32 v61, v62, v61
	s_delay_alu instid0(VALU_DEP_1) | instskip(NEXT) | instid1(VALU_DEP_1)
	v_mov_b32_dpp v62, v61 row_shr:2 row_mask:0xf bank_mask:0xf
	v_cndmask_b32_e64 v62, 0, v62, s0
	s_delay_alu instid0(VALU_DEP_1) | instskip(NEXT) | instid1(VALU_DEP_1)
	v_add_nc_u32_e32 v61, v61, v62
	v_mov_b32_dpp v62, v61 row_shr:4 row_mask:0xf bank_mask:0xf
	s_delay_alu instid0(VALU_DEP_1) | instskip(NEXT) | instid1(VALU_DEP_1)
	v_cndmask_b32_e64 v62, 0, v62, s1
	v_add_nc_u32_e32 v61, v61, v62
	s_delay_alu instid0(VALU_DEP_1) | instskip(NEXT) | instid1(VALU_DEP_1)
	v_mov_b32_dpp v62, v61 row_shr:8 row_mask:0xf bank_mask:0xf
	v_cndmask_b32_e64 v62, 0, v62, s2
	s_delay_alu instid0(VALU_DEP_1)
	v_add_nc_u32_e32 v61, v61, v62
	ds_store_b32 v60, v61
.LBB2515_125:
	s_or_b32 exec_lo, exec_lo, s4
	v_mov_b32_e32 v60, 0
	s_mov_b32 s0, exec_lo
	s_wait_dscnt 0x0
	s_barrier_signal -1
	s_barrier_wait -1
	v_cmpx_lt_u32_e32 31, v12
; %bb.126:
	v_lshl_add_u32 v59, v59, 2, -4
	ds_load_b32 v60, v59
; %bb.127:
	s_or_b32 exec_lo, exec_lo, s0
	v_sub_co_u32 v59, vcc_lo, v14, 1
	s_wait_dscnt 0x0
	v_add_nc_u32_e32 v15, v60, v15
	s_delay_alu instid0(VALU_DEP_2) | instskip(NEXT) | instid1(VALU_DEP_1)
	v_cmp_gt_i32_e64 s0, 0, v59
	v_cndmask_b32_e64 v14, v59, v14, s0
	v_cmp_gt_u32_e64 s0, 0x100, v12
	s_delay_alu instid0(VALU_DEP_2) | instskip(SKIP_4) | instid1(VALU_DEP_2)
	v_lshlrev_b32_e32 v14, 2, v14
	ds_bpermute_b32 v14, v14, v15
	s_wait_dscnt 0x0
	v_cndmask_b32_e32 v14, v14, v60, vcc_lo
	v_cmp_ne_u32_e32 vcc_lo, 0, v12
	v_cndmask_b32_e32 v14, 0, v14, vcc_lo
	v_cmp_lt_u32_e32 vcc_lo, 0xff, v12
	s_delay_alu instid0(VALU_DEP_2) | instskip(NEXT) | instid1(VALU_DEP_1)
	v_add_nc_u32_e32 v6, v14, v6
	v_add_nc_u32_e32 v7, v6, v7
	s_delay_alu instid0(VALU_DEP_1) | instskip(NEXT) | instid1(VALU_DEP_1)
	v_add_nc_u32_e32 v4, v7, v4
	v_add_nc_u32_e32 v5, v4, v5
	s_delay_alu instid0(VALU_DEP_1) | instskip(NEXT) | instid1(VALU_DEP_1)
	;; [unrolled: 3-line block ×3, first 2 shown]
	v_add_nc_u32_e32 v0, v3, v0
	v_add_nc_u32_e32 v1, v0, v1
	ds_store_2addr_b32 v24, v14, v6 offset0:16 offset1:17
	ds_store_2addr_b32 v24, v7, v4 offset0:18 offset1:19
	;; [unrolled: 1-line block ×4, first 2 shown]
	ds_store_b32 v24, v1 offset:96
	s_wait_dscnt 0x0
	s_barrier_signal -1
	s_barrier_wait -1
	ds_load_b32 v59, v25 offset:64
	ds_load_b32 v60, v28 offset:64
	;; [unrolled: 1-line block ×12, first 2 shown]
	v_mov_b64_e32 v[0:1], 0
                                        ; implicit-def: $vgpr2
	s_and_saveexec_b32 s2, s0
	s_cbranch_execz .LBB2515_131
; %bb.128:
	v_mul_u32_u24_e32 v0, 0x44, v12
	v_dual_mov_b32 v1, 0x1800 :: v_dual_add_nc_u32 v2, 1, v12
	s_mov_b32 s3, exec_lo
	ds_load_b32 v0, v0 offset:64
	v_cmpx_ne_u32_e32 0x100, v2
; %bb.129:
	v_mul_u32_u24_e32 v1, 0x44, v2
	ds_load_b32 v1, v1 offset:64
; %bb.130:
	s_or_b32 exec_lo, exec_lo, s3
	s_wait_dscnt 0x0
	v_dual_mov_b32 v1, 0 :: v_dual_sub_nc_u32 v2, v1, v0
.LBB2515_131:
	s_or_b32 exec_lo, exec_lo, s2
	s_wait_dscnt 0xa
	v_dual_lshlrev_b32 v23, 1, v23 :: v_dual_lshlrev_b32 v31, 1, v60
	v_dual_lshlrev_b32 v27, 1, v27 :: v_dual_lshlrev_b32 v26, 1, v26
	v_lshlrev_b32_e32 v29, 1, v29
	s_delay_alu instid0(VALU_DEP_3)
	v_lshl_add_u32 v23, v59, 1, v23
	s_wait_dscnt 0x0
	s_barrier_signal -1
	v_add3_u32 v26, v31, v27, v26
	v_dual_lshlrev_b32 v27, 1, v28 :: v_dual_lshlrev_b32 v28, 1, v30
	s_barrier_wait -1
	ds_store_b16 v23, v21 offset:2048
	ds_store_b16 v26, v22 offset:2048
	v_dual_lshlrev_b32 v22, 1, v25 :: v_dual_lshlrev_b32 v24, 1, v24
	v_dual_lshlrev_b32 v23, 1, v33 :: v_dual_lshlrev_b32 v26, 1, v36
	v_lshlrev_b32_e32 v25, 1, v32
	v_add3_u32 v21, v27, v28, v29
	v_dual_lshlrev_b32 v27, 1, v35 :: v_dual_lshlrev_b32 v29, 1, v38
	v_dual_lshlrev_b32 v15, 1, v15 :: v_dual_lshlrev_b32 v14, 1, v14
	;; [unrolled: 1-line block ×4, first 2 shown]
	ds_store_b16 v21, v20 offset:2048
	v_add3_u32 v20, v22, v23, v25
	v_dual_lshlrev_b32 v22, 1, v45 :: v_dual_lshlrev_b32 v23, 1, v43
	v_add3_u32 v21, v24, v26, v27
	v_add3_u32 v15, v15, v28, v29
	;; [unrolled: 1-line block ×3, first 2 shown]
	ds_store_b16 v20, v16 offset:2048
	ds_store_b16 v21, v17 offset:2048
	;; [unrolled: 1-line block ×4, first 2 shown]
	v_add3_u32 v7, v7, v22, v23
	v_dual_lshlrev_b32 v6, 1, v6 :: v_dual_lshlrev_b32 v14, 1, v47
	v_dual_lshlrev_b32 v15, 1, v46 :: v_dual_lshlrev_b32 v5, 1, v5
	v_dual_lshlrev_b32 v16, 1, v50 :: v_dual_lshlrev_b32 v17, 1, v49
	v_dual_lshlrev_b32 v19, 1, v52 :: v_dual_lshlrev_b32 v3, 1, v3
	v_dual_lshlrev_b32 v20, 1, v56 :: v_dual_lshlrev_b32 v21, 1, v55
	v_dual_lshlrev_b32 v4, 1, v4 :: v_dual_lshlrev_b32 v18, 1, v53
	ds_store_b16 v7, v13 offset:2048
	v_add3_u32 v6, v6, v14, v15
	v_add3_u32 v7, v5, v16, v17
	;; [unrolled: 1-line block ×3, first 2 shown]
	v_dual_mov_b32 v5, 0 :: v_dual_lshlrev_b32 v3, 3, v12
	v_add3_u32 v4, v4, v18, v19
	ds_store_b16 v6, v8 offset:2048
	ds_store_b16 v7, v9 offset:2048
	;; [unrolled: 1-line block ×4, first 2 shown]
	s_and_saveexec_b32 s1, s0
	s_cbranch_execz .LBB2515_141
; %bb.132:
	v_lshl_add_u32 v4, s9, 8, v12
	v_dual_mov_b32 v8, 0 :: v_dual_bitop2_b32 v9, 2.0, v2 bitop3:0x54
	s_mov_b32 s2, 0
	s_mov_b32 s3, s9
	s_delay_alu instid0(VALU_DEP_2)
	v_lshl_add_u64 v[6:7], v[4:5], 2, s[10:11]
	global_store_b32 v4, v9, s[10:11] scale_offset scope:SCOPE_DEV
                                        ; implicit-def: $sgpr0
	s_branch .LBB2515_135
.LBB2515_133:                           ;   in Loop: Header=BB2515_135 Depth=1
	s_or_b32 exec_lo, exec_lo, s5
.LBB2515_134:                           ;   in Loop: Header=BB2515_135 Depth=1
	s_delay_alu instid0(SALU_CYCLE_1) | instskip(SKIP_2) | instid1(VALU_DEP_2)
	s_or_b32 exec_lo, exec_lo, s4
	v_and_b32_e32 v4, 0x3fffffff, v9
	v_cmp_gt_i32_e64 s0, -2.0, v9
	v_add_nc_u32_e32 v8, v4, v8
	s_and_b32 s4, exec_lo, s0
	s_delay_alu instid0(SALU_CYCLE_1) | instskip(NEXT) | instid1(SALU_CYCLE_1)
	s_or_b32 s2, s4, s2
	s_and_not1_b32 exec_lo, exec_lo, s2
	s_cbranch_execz .LBB2515_140
.LBB2515_135:                           ; =>This Loop Header: Depth=1
                                        ;     Child Loop BB2515_138 Depth 2
	s_or_b32 s0, s0, exec_lo
	s_cmp_eq_u32 s3, 0
	s_cbranch_scc1 .LBB2515_139
; %bb.136:                              ;   in Loop: Header=BB2515_135 Depth=1
	s_add_co_i32 s3, s3, -1
	s_mov_b32 s4, exec_lo
	s_wait_xcnt 0x0
	v_lshl_or_b32 v4, s3, 8, v12
	global_load_b32 v9, v4, s[10:11] scale_offset scope:SCOPE_DEV
	s_wait_loadcnt 0x0
	v_cmpx_gt_u32_e32 2.0, v9
	s_cbranch_execz .LBB2515_134
; %bb.137:                              ;   in Loop: Header=BB2515_135 Depth=1
	v_lshl_add_u64 v[10:11], v[4:5], 2, s[10:11]
	s_mov_b32 s5, 0
.LBB2515_138:                           ;   Parent Loop BB2515_135 Depth=1
                                        ; =>  This Inner Loop Header: Depth=2
	global_load_b32 v9, v[10:11], off scope:SCOPE_DEV
	s_wait_loadcnt 0x0
	v_cmp_lt_u32_e64 s0, 0x3fffffff, v9
	s_or_b32 s5, s0, s5
	s_wait_xcnt 0x0
	s_and_not1_b32 exec_lo, exec_lo, s5
	s_cbranch_execnz .LBB2515_138
	s_branch .LBB2515_133
.LBB2515_139:                           ;   in Loop: Header=BB2515_135 Depth=1
                                        ; implicit-def: $sgpr3
	s_and_b32 s4, exec_lo, s0
	s_delay_alu instid0(SALU_CYCLE_1)
	s_or_b32 s2, s4, s2
	s_wait_xcnt 0x0
	s_and_not1_b32 exec_lo, exec_lo, s2
	s_cbranch_execnz .LBB2515_135
.LBB2515_140:
	s_or_b32 exec_lo, exec_lo, s2
	v_dual_mov_b32 v9, 0 :: v_dual_add_nc_u32 v4, v8, v2
	s_delay_alu instid0(VALU_DEP_1) | instskip(SKIP_4) | instid1(VALU_DEP_1)
	v_or_b32_e32 v4, 0x80000000, v4
	global_store_b32 v[6:7], v4, off scope:SCOPE_DEV
	global_load_b64 v[4:5], v12, s[12:13] scale_offset
	v_sub_nc_u64_e32 v[6:7], v[8:9], v[0:1]
	s_wait_loadcnt 0x0
	v_add_nc_u64_e32 v[4:5], v[6:7], v[4:5]
	ds_store_b64 v3, v[4:5]
.LBB2515_141:
	s_wait_xcnt 0x0
	s_or_b32 exec_lo, exec_lo, s1
	v_mad_i32_i24 v8, v12, -6, v3
	s_wait_storecnt_dscnt 0x0
	s_barrier_signal -1
	s_barrier_wait -1
	ds_load_u16 v13, v8 offset:2048
	ds_load_u16 v30, v8 offset:3072
	;; [unrolled: 1-line block ×11, first 2 shown]
	v_dual_mov_b32 v5, 0 :: v_dual_lshlrev_b32 v4, 1, v12
	s_add_co_i32 s7, s7, -1
	s_delay_alu instid0(SALU_CYCLE_1) | instskip(SKIP_2) | instid1(SALU_CYCLE_1)
	s_cmp_eq_u32 s9, s7
	s_cselect_b32 s0, -1, 0
	s_xor_b32 s1, vcc_lo, -1
	s_and_b32 s0, s1, s0
	s_wait_dscnt 0xa
	v_and_b32_e32 v6, 0xffff, v13
	s_wait_dscnt 0x9
	v_and_b32_e32 v7, 0xffff, v30
	;; [unrolled: 2-line block ×5, first 2 shown]
	v_dual_lshrrev_b32 v6, s20, v6 :: v_dual_lshrrev_b32 v7, s20, v7
	s_wait_dscnt 0x5
	v_and_b32_e32 v14, 0xffff, v34
	s_wait_dscnt 0x4
	v_and_b32_e32 v15, 0xffff, v35
	;; [unrolled: 2-line block ×3, first 2 shown]
	v_dual_lshrrev_b32 v9, s20, v9 :: v_dual_lshrrev_b32 v10, s20, v10
	v_and_b32_e32 v7, s6, v7
	v_dual_lshrrev_b32 v11, s20, v11 :: v_dual_bitop2_b32 v6, s6, v6 bitop3:0x40
	v_dual_lshrrev_b32 v14, s20, v14 :: v_dual_lshrrev_b32 v15, s20, v15
	s_delay_alu instid0(VALU_DEP_3) | instskip(NEXT) | instid1(VALU_DEP_3)
	v_dual_lshrrev_b32 v16, s20, v16 :: v_dual_lshlrev_b32 v17, 3, v7
	v_lshlrev_b32_e32 v6, 3, v6
	v_and_b32_e32 v10, s6, v10
	ds_load_b64 v[6:7], v6
	ds_load_u16 v40, v8 offset:13312
	v_dual_lshlrev_b32 v19, 3, v10 :: v_dual_bitop2_b32 v9, s6, v9 bitop3:0x40
	v_and_b32_e32 v14, s6, v14
	v_and_b32_e32 v11, s6, v11
	;; [unrolled: 1-line block ×3, first 2 shown]
	s_delay_alu instid0(VALU_DEP_4) | instskip(NEXT) | instid1(VALU_DEP_3)
	v_dual_lshlrev_b32 v18, 3, v9 :: v_dual_bitop2_b32 v15, s6, v15 bitop3:0x40
	v_dual_lshlrev_b32 v21, 3, v14 :: v_dual_lshlrev_b32 v20, 3, v11
	s_wait_dscnt 0x4
	v_and_b32_e32 v24, 0xffff, v37
	s_wait_dscnt 0x3
	v_and_b32_e32 v25, 0xffff, v38
	s_wait_dscnt 0x2
	v_and_b32_e32 v26, 0xffff, v39
	v_dual_lshlrev_b32 v23, 3, v16 :: v_dual_lshlrev_b32 v22, 3, v15
	ds_load_b64 v[8:9], v17
	ds_load_b64 v[10:11], v18
	;; [unrolled: 1-line block ×4, first 2 shown]
	v_lshrrev_b32_e32 v24, s20, v24
	ds_load_b64 v[18:19], v21
	ds_load_b64 v[20:21], v22
	v_dual_lshrrev_b32 v22, s20, v25 :: v_dual_lshrrev_b32 v25, s20, v26
	v_and_b32_e32 v24, s6, v24
	s_wait_dscnt 0x6
	v_and_b32_e32 v26, 0xffff, v40
	v_lshl_add_u64 v[6:7], v[6:7], 1, s[18:19]
	v_and_b32_e32 v22, s6, v22
	v_dual_lshlrev_b32 v24, 3, v24 :: v_dual_bitop2_b32 v27, s6, v25 bitop3:0x40
	s_delay_alu instid0(VALU_DEP_4) | instskip(NEXT) | instid1(VALU_DEP_4)
	v_lshrrev_b32_e32 v26, s20, v26
	v_add_nc_u64_e32 v[6:7], v[6:7], v[4:5]
	s_delay_alu instid0(VALU_DEP_4)
	v_lshlrev_b32_e32 v28, 3, v22
	ds_load_b64 v[22:23], v23
	ds_load_b64 v[24:25], v24
	v_and_b32_e32 v26, s6, v26
	s_wait_dscnt 0x7
	v_lshl_add_u64 v[8:9], v[8:9], 1, s[18:19]
	s_wait_dscnt 0x5
	v_lshl_add_u64 v[14:15], v[14:15], 1, s[18:19]
	global_store_b16 v[6:7], v13, off
	s_wait_xcnt 0x0
	v_lshl_add_u64 v[6:7], v[10:11], 1, s[18:19]
	v_lshlrev_b32_e32 v13, 3, v27
	ds_load_b64 v[10:11], v28
	v_lshlrev_b32_e32 v28, 3, v26
	v_add_nc_u64_e32 v[8:9], v[8:9], v[4:5]
	v_add_nc_u64_e32 v[6:7], v[6:7], v[4:5]
	ds_load_b64 v[26:27], v13
	s_wait_dscnt 0x6
	v_lshl_add_u64 v[16:17], v[16:17], 1, s[18:19]
	ds_load_b64 v[28:29], v28
	v_add_nc_u64_e32 v[14:15], v[14:15], v[4:5]
	global_store_b16 v[8:9], v30, off offset:1024
	s_wait_dscnt 0x6
	s_wait_xcnt 0x0
	v_lshl_add_u64 v[8:9], v[18:19], 1, s[18:19]
	s_wait_dscnt 0x5
	v_lshl_add_u64 v[18:19], v[20:21], 1, s[18:19]
	v_add_nc_u64_e32 v[16:17], v[16:17], v[4:5]
	global_store_b16 v[6:7], v31, off offset:2048
	s_wait_dscnt 0x3
	v_lshl_add_u64 v[20:21], v[24:25], 1, s[18:19]
	s_wait_xcnt 0x0
	v_add_nc_u64_e32 v[6:7], v[8:9], v[4:5]
	v_lshl_add_u64 v[8:9], v[22:23], 1, s[18:19]
	v_add_nc_u64_e32 v[18:19], v[18:19], v[4:5]
	s_clause 0x1
	global_store_b16 v[14:15], v32, off offset:3072
	global_store_b16 v[16:17], v33, off offset:4096
	s_wait_xcnt 0x1
	v_add_nc_u64_e32 v[14:15], v[20:21], v[4:5]
	s_wait_dscnt 0x2
	v_lshl_add_u64 v[10:11], v[10:11], 1, s[18:19]
	v_add_nc_u64_e32 v[8:9], v[8:9], v[4:5]
	s_clause 0x1
	global_store_b16 v[6:7], v34, off offset:5120
	global_store_b16 v[18:19], v35, off offset:6144
	s_wait_dscnt 0x1
	s_wait_xcnt 0x1
	v_lshl_add_u64 v[6:7], v[26:27], 1, s[18:19]
	v_add_nc_u64_e32 v[10:11], v[10:11], v[4:5]
	s_wait_dscnt 0x0
	v_lshl_add_u64 v[16:17], v[28:29], 1, s[18:19]
	s_clause 0x1
	global_store_b16 v[8:9], v36, off offset:7168
	global_store_b16 v[14:15], v37, off offset:8192
	v_add_nc_u64_e32 v[6:7], v[6:7], v[4:5]
	s_wait_xcnt 0x1
	v_add_nc_u64_e32 v[8:9], v[16:17], v[4:5]
	s_clause 0x2
	global_store_b16 v[10:11], v38, off offset:9216
	global_store_b16 v[6:7], v39, off offset:10240
	;; [unrolled: 1-line block ×3, first 2 shown]
	s_wait_xcnt 0x0
	s_and_saveexec_b32 s1, s0
	s_cbranch_execz .LBB2515_143
; %bb.142:
	ds_load_b64 v[6:7], v3
	v_mov_b32_e32 v3, v5
	s_delay_alu instid0(VALU_DEP_1) | instskip(SKIP_1) | instid1(VALU_DEP_1)
	v_add_nc_u64_e32 v[0:1], v[0:1], v[2:3]
	s_wait_dscnt 0x0
	v_add_nc_u64_e32 v[0:1], v[0:1], v[6:7]
	global_store_b64 v12, v[0:1], s[14:15] scale_offset
.LBB2515_143:
	s_sendmsg sendmsg(MSG_DEALLOC_VGPRS)
	s_endpgm
	.section	.rodata,"a",@progbits
	.p2align	6, 0x0
	.amdhsa_kernel _ZN7rocprim17ROCPRIM_400000_NS6detail17trampoline_kernelINS0_14default_configENS1_35radix_sort_onesweep_config_selectorItNS0_10empty_typeEEEZZNS1_29radix_sort_onesweep_iterationIS3_Lb0EPKtPtPS5_SB_mNS0_19identity_decomposerENS1_16block_id_wrapperIjLb0EEEEE10hipError_tT1_PNSt15iterator_traitsISG_E10value_typeET2_T3_PNSH_ISM_E10value_typeET4_T5_PSR_SS_PNS1_23onesweep_lookback_stateEbbT6_jjT7_P12ihipStream_tbENKUlT_T0_SG_SL_E_clIS9_SA_SB_SB_EEDaSZ_S10_SG_SL_EUlSZ_E_NS1_11comp_targetILNS1_3genE0ELNS1_11target_archE4294967295ELNS1_3gpuE0ELNS1_3repE0EEENS1_47radix_sort_onesweep_sort_config_static_selectorELNS0_4arch9wavefront6targetE0EEEvSG_
		.amdhsa_group_segment_fixed_size 18504
		.amdhsa_private_segment_fixed_size 0
		.amdhsa_kernarg_size 344
		.amdhsa_user_sgpr_count 2
		.amdhsa_user_sgpr_dispatch_ptr 0
		.amdhsa_user_sgpr_queue_ptr 0
		.amdhsa_user_sgpr_kernarg_segment_ptr 1
		.amdhsa_user_sgpr_dispatch_id 0
		.amdhsa_user_sgpr_kernarg_preload_length 0
		.amdhsa_user_sgpr_kernarg_preload_offset 0
		.amdhsa_user_sgpr_private_segment_size 0
		.amdhsa_wavefront_size32 1
		.amdhsa_uses_dynamic_stack 0
		.amdhsa_enable_private_segment 0
		.amdhsa_system_sgpr_workgroup_id_x 1
		.amdhsa_system_sgpr_workgroup_id_y 0
		.amdhsa_system_sgpr_workgroup_id_z 0
		.amdhsa_system_sgpr_workgroup_info 0
		.amdhsa_system_vgpr_workitem_id 2
		.amdhsa_next_free_vgpr 65
		.amdhsa_next_free_sgpr 29
		.amdhsa_named_barrier_count 0
		.amdhsa_reserve_vcc 1
		.amdhsa_float_round_mode_32 0
		.amdhsa_float_round_mode_16_64 0
		.amdhsa_float_denorm_mode_32 3
		.amdhsa_float_denorm_mode_16_64 3
		.amdhsa_fp16_overflow 0
		.amdhsa_memory_ordered 1
		.amdhsa_forward_progress 1
		.amdhsa_inst_pref_size 130
		.amdhsa_round_robin_scheduling 0
		.amdhsa_exception_fp_ieee_invalid_op 0
		.amdhsa_exception_fp_denorm_src 0
		.amdhsa_exception_fp_ieee_div_zero 0
		.amdhsa_exception_fp_ieee_overflow 0
		.amdhsa_exception_fp_ieee_underflow 0
		.amdhsa_exception_fp_ieee_inexact 0
		.amdhsa_exception_int_div_zero 0
	.end_amdhsa_kernel
	.section	.text._ZN7rocprim17ROCPRIM_400000_NS6detail17trampoline_kernelINS0_14default_configENS1_35radix_sort_onesweep_config_selectorItNS0_10empty_typeEEEZZNS1_29radix_sort_onesweep_iterationIS3_Lb0EPKtPtPS5_SB_mNS0_19identity_decomposerENS1_16block_id_wrapperIjLb0EEEEE10hipError_tT1_PNSt15iterator_traitsISG_E10value_typeET2_T3_PNSH_ISM_E10value_typeET4_T5_PSR_SS_PNS1_23onesweep_lookback_stateEbbT6_jjT7_P12ihipStream_tbENKUlT_T0_SG_SL_E_clIS9_SA_SB_SB_EEDaSZ_S10_SG_SL_EUlSZ_E_NS1_11comp_targetILNS1_3genE0ELNS1_11target_archE4294967295ELNS1_3gpuE0ELNS1_3repE0EEENS1_47radix_sort_onesweep_sort_config_static_selectorELNS0_4arch9wavefront6targetE0EEEvSG_,"axG",@progbits,_ZN7rocprim17ROCPRIM_400000_NS6detail17trampoline_kernelINS0_14default_configENS1_35radix_sort_onesweep_config_selectorItNS0_10empty_typeEEEZZNS1_29radix_sort_onesweep_iterationIS3_Lb0EPKtPtPS5_SB_mNS0_19identity_decomposerENS1_16block_id_wrapperIjLb0EEEEE10hipError_tT1_PNSt15iterator_traitsISG_E10value_typeET2_T3_PNSH_ISM_E10value_typeET4_T5_PSR_SS_PNS1_23onesweep_lookback_stateEbbT6_jjT7_P12ihipStream_tbENKUlT_T0_SG_SL_E_clIS9_SA_SB_SB_EEDaSZ_S10_SG_SL_EUlSZ_E_NS1_11comp_targetILNS1_3genE0ELNS1_11target_archE4294967295ELNS1_3gpuE0ELNS1_3repE0EEENS1_47radix_sort_onesweep_sort_config_static_selectorELNS0_4arch9wavefront6targetE0EEEvSG_,comdat
.Lfunc_end2515:
	.size	_ZN7rocprim17ROCPRIM_400000_NS6detail17trampoline_kernelINS0_14default_configENS1_35radix_sort_onesweep_config_selectorItNS0_10empty_typeEEEZZNS1_29radix_sort_onesweep_iterationIS3_Lb0EPKtPtPS5_SB_mNS0_19identity_decomposerENS1_16block_id_wrapperIjLb0EEEEE10hipError_tT1_PNSt15iterator_traitsISG_E10value_typeET2_T3_PNSH_ISM_E10value_typeET4_T5_PSR_SS_PNS1_23onesweep_lookback_stateEbbT6_jjT7_P12ihipStream_tbENKUlT_T0_SG_SL_E_clIS9_SA_SB_SB_EEDaSZ_S10_SG_SL_EUlSZ_E_NS1_11comp_targetILNS1_3genE0ELNS1_11target_archE4294967295ELNS1_3gpuE0ELNS1_3repE0EEENS1_47radix_sort_onesweep_sort_config_static_selectorELNS0_4arch9wavefront6targetE0EEEvSG_, .Lfunc_end2515-_ZN7rocprim17ROCPRIM_400000_NS6detail17trampoline_kernelINS0_14default_configENS1_35radix_sort_onesweep_config_selectorItNS0_10empty_typeEEEZZNS1_29radix_sort_onesweep_iterationIS3_Lb0EPKtPtPS5_SB_mNS0_19identity_decomposerENS1_16block_id_wrapperIjLb0EEEEE10hipError_tT1_PNSt15iterator_traitsISG_E10value_typeET2_T3_PNSH_ISM_E10value_typeET4_T5_PSR_SS_PNS1_23onesweep_lookback_stateEbbT6_jjT7_P12ihipStream_tbENKUlT_T0_SG_SL_E_clIS9_SA_SB_SB_EEDaSZ_S10_SG_SL_EUlSZ_E_NS1_11comp_targetILNS1_3genE0ELNS1_11target_archE4294967295ELNS1_3gpuE0ELNS1_3repE0EEENS1_47radix_sort_onesweep_sort_config_static_selectorELNS0_4arch9wavefront6targetE0EEEvSG_
                                        ; -- End function
	.set _ZN7rocprim17ROCPRIM_400000_NS6detail17trampoline_kernelINS0_14default_configENS1_35radix_sort_onesweep_config_selectorItNS0_10empty_typeEEEZZNS1_29radix_sort_onesweep_iterationIS3_Lb0EPKtPtPS5_SB_mNS0_19identity_decomposerENS1_16block_id_wrapperIjLb0EEEEE10hipError_tT1_PNSt15iterator_traitsISG_E10value_typeET2_T3_PNSH_ISM_E10value_typeET4_T5_PSR_SS_PNS1_23onesweep_lookback_stateEbbT6_jjT7_P12ihipStream_tbENKUlT_T0_SG_SL_E_clIS9_SA_SB_SB_EEDaSZ_S10_SG_SL_EUlSZ_E_NS1_11comp_targetILNS1_3genE0ELNS1_11target_archE4294967295ELNS1_3gpuE0ELNS1_3repE0EEENS1_47radix_sort_onesweep_sort_config_static_selectorELNS0_4arch9wavefront6targetE0EEEvSG_.num_vgpr, 65
	.set _ZN7rocprim17ROCPRIM_400000_NS6detail17trampoline_kernelINS0_14default_configENS1_35radix_sort_onesweep_config_selectorItNS0_10empty_typeEEEZZNS1_29radix_sort_onesweep_iterationIS3_Lb0EPKtPtPS5_SB_mNS0_19identity_decomposerENS1_16block_id_wrapperIjLb0EEEEE10hipError_tT1_PNSt15iterator_traitsISG_E10value_typeET2_T3_PNSH_ISM_E10value_typeET4_T5_PSR_SS_PNS1_23onesweep_lookback_stateEbbT6_jjT7_P12ihipStream_tbENKUlT_T0_SG_SL_E_clIS9_SA_SB_SB_EEDaSZ_S10_SG_SL_EUlSZ_E_NS1_11comp_targetILNS1_3genE0ELNS1_11target_archE4294967295ELNS1_3gpuE0ELNS1_3repE0EEENS1_47radix_sort_onesweep_sort_config_static_selectorELNS0_4arch9wavefront6targetE0EEEvSG_.num_agpr, 0
	.set _ZN7rocprim17ROCPRIM_400000_NS6detail17trampoline_kernelINS0_14default_configENS1_35radix_sort_onesweep_config_selectorItNS0_10empty_typeEEEZZNS1_29radix_sort_onesweep_iterationIS3_Lb0EPKtPtPS5_SB_mNS0_19identity_decomposerENS1_16block_id_wrapperIjLb0EEEEE10hipError_tT1_PNSt15iterator_traitsISG_E10value_typeET2_T3_PNSH_ISM_E10value_typeET4_T5_PSR_SS_PNS1_23onesweep_lookback_stateEbbT6_jjT7_P12ihipStream_tbENKUlT_T0_SG_SL_E_clIS9_SA_SB_SB_EEDaSZ_S10_SG_SL_EUlSZ_E_NS1_11comp_targetILNS1_3genE0ELNS1_11target_archE4294967295ELNS1_3gpuE0ELNS1_3repE0EEENS1_47radix_sort_onesweep_sort_config_static_selectorELNS0_4arch9wavefront6targetE0EEEvSG_.numbered_sgpr, 29
	.set _ZN7rocprim17ROCPRIM_400000_NS6detail17trampoline_kernelINS0_14default_configENS1_35radix_sort_onesweep_config_selectorItNS0_10empty_typeEEEZZNS1_29radix_sort_onesweep_iterationIS3_Lb0EPKtPtPS5_SB_mNS0_19identity_decomposerENS1_16block_id_wrapperIjLb0EEEEE10hipError_tT1_PNSt15iterator_traitsISG_E10value_typeET2_T3_PNSH_ISM_E10value_typeET4_T5_PSR_SS_PNS1_23onesweep_lookback_stateEbbT6_jjT7_P12ihipStream_tbENKUlT_T0_SG_SL_E_clIS9_SA_SB_SB_EEDaSZ_S10_SG_SL_EUlSZ_E_NS1_11comp_targetILNS1_3genE0ELNS1_11target_archE4294967295ELNS1_3gpuE0ELNS1_3repE0EEENS1_47radix_sort_onesweep_sort_config_static_selectorELNS0_4arch9wavefront6targetE0EEEvSG_.num_named_barrier, 0
	.set _ZN7rocprim17ROCPRIM_400000_NS6detail17trampoline_kernelINS0_14default_configENS1_35radix_sort_onesweep_config_selectorItNS0_10empty_typeEEEZZNS1_29radix_sort_onesweep_iterationIS3_Lb0EPKtPtPS5_SB_mNS0_19identity_decomposerENS1_16block_id_wrapperIjLb0EEEEE10hipError_tT1_PNSt15iterator_traitsISG_E10value_typeET2_T3_PNSH_ISM_E10value_typeET4_T5_PSR_SS_PNS1_23onesweep_lookback_stateEbbT6_jjT7_P12ihipStream_tbENKUlT_T0_SG_SL_E_clIS9_SA_SB_SB_EEDaSZ_S10_SG_SL_EUlSZ_E_NS1_11comp_targetILNS1_3genE0ELNS1_11target_archE4294967295ELNS1_3gpuE0ELNS1_3repE0EEENS1_47radix_sort_onesweep_sort_config_static_selectorELNS0_4arch9wavefront6targetE0EEEvSG_.private_seg_size, 0
	.set _ZN7rocprim17ROCPRIM_400000_NS6detail17trampoline_kernelINS0_14default_configENS1_35radix_sort_onesweep_config_selectorItNS0_10empty_typeEEEZZNS1_29radix_sort_onesweep_iterationIS3_Lb0EPKtPtPS5_SB_mNS0_19identity_decomposerENS1_16block_id_wrapperIjLb0EEEEE10hipError_tT1_PNSt15iterator_traitsISG_E10value_typeET2_T3_PNSH_ISM_E10value_typeET4_T5_PSR_SS_PNS1_23onesweep_lookback_stateEbbT6_jjT7_P12ihipStream_tbENKUlT_T0_SG_SL_E_clIS9_SA_SB_SB_EEDaSZ_S10_SG_SL_EUlSZ_E_NS1_11comp_targetILNS1_3genE0ELNS1_11target_archE4294967295ELNS1_3gpuE0ELNS1_3repE0EEENS1_47radix_sort_onesweep_sort_config_static_selectorELNS0_4arch9wavefront6targetE0EEEvSG_.uses_vcc, 1
	.set _ZN7rocprim17ROCPRIM_400000_NS6detail17trampoline_kernelINS0_14default_configENS1_35radix_sort_onesweep_config_selectorItNS0_10empty_typeEEEZZNS1_29radix_sort_onesweep_iterationIS3_Lb0EPKtPtPS5_SB_mNS0_19identity_decomposerENS1_16block_id_wrapperIjLb0EEEEE10hipError_tT1_PNSt15iterator_traitsISG_E10value_typeET2_T3_PNSH_ISM_E10value_typeET4_T5_PSR_SS_PNS1_23onesweep_lookback_stateEbbT6_jjT7_P12ihipStream_tbENKUlT_T0_SG_SL_E_clIS9_SA_SB_SB_EEDaSZ_S10_SG_SL_EUlSZ_E_NS1_11comp_targetILNS1_3genE0ELNS1_11target_archE4294967295ELNS1_3gpuE0ELNS1_3repE0EEENS1_47radix_sort_onesweep_sort_config_static_selectorELNS0_4arch9wavefront6targetE0EEEvSG_.uses_flat_scratch, 0
	.set _ZN7rocprim17ROCPRIM_400000_NS6detail17trampoline_kernelINS0_14default_configENS1_35radix_sort_onesweep_config_selectorItNS0_10empty_typeEEEZZNS1_29radix_sort_onesweep_iterationIS3_Lb0EPKtPtPS5_SB_mNS0_19identity_decomposerENS1_16block_id_wrapperIjLb0EEEEE10hipError_tT1_PNSt15iterator_traitsISG_E10value_typeET2_T3_PNSH_ISM_E10value_typeET4_T5_PSR_SS_PNS1_23onesweep_lookback_stateEbbT6_jjT7_P12ihipStream_tbENKUlT_T0_SG_SL_E_clIS9_SA_SB_SB_EEDaSZ_S10_SG_SL_EUlSZ_E_NS1_11comp_targetILNS1_3genE0ELNS1_11target_archE4294967295ELNS1_3gpuE0ELNS1_3repE0EEENS1_47radix_sort_onesweep_sort_config_static_selectorELNS0_4arch9wavefront6targetE0EEEvSG_.has_dyn_sized_stack, 0
	.set _ZN7rocprim17ROCPRIM_400000_NS6detail17trampoline_kernelINS0_14default_configENS1_35radix_sort_onesweep_config_selectorItNS0_10empty_typeEEEZZNS1_29radix_sort_onesweep_iterationIS3_Lb0EPKtPtPS5_SB_mNS0_19identity_decomposerENS1_16block_id_wrapperIjLb0EEEEE10hipError_tT1_PNSt15iterator_traitsISG_E10value_typeET2_T3_PNSH_ISM_E10value_typeET4_T5_PSR_SS_PNS1_23onesweep_lookback_stateEbbT6_jjT7_P12ihipStream_tbENKUlT_T0_SG_SL_E_clIS9_SA_SB_SB_EEDaSZ_S10_SG_SL_EUlSZ_E_NS1_11comp_targetILNS1_3genE0ELNS1_11target_archE4294967295ELNS1_3gpuE0ELNS1_3repE0EEENS1_47radix_sort_onesweep_sort_config_static_selectorELNS0_4arch9wavefront6targetE0EEEvSG_.has_recursion, 0
	.set _ZN7rocprim17ROCPRIM_400000_NS6detail17trampoline_kernelINS0_14default_configENS1_35radix_sort_onesweep_config_selectorItNS0_10empty_typeEEEZZNS1_29radix_sort_onesweep_iterationIS3_Lb0EPKtPtPS5_SB_mNS0_19identity_decomposerENS1_16block_id_wrapperIjLb0EEEEE10hipError_tT1_PNSt15iterator_traitsISG_E10value_typeET2_T3_PNSH_ISM_E10value_typeET4_T5_PSR_SS_PNS1_23onesweep_lookback_stateEbbT6_jjT7_P12ihipStream_tbENKUlT_T0_SG_SL_E_clIS9_SA_SB_SB_EEDaSZ_S10_SG_SL_EUlSZ_E_NS1_11comp_targetILNS1_3genE0ELNS1_11target_archE4294967295ELNS1_3gpuE0ELNS1_3repE0EEENS1_47radix_sort_onesweep_sort_config_static_selectorELNS0_4arch9wavefront6targetE0EEEvSG_.has_indirect_call, 0
	.section	.AMDGPU.csdata,"",@progbits
; Kernel info:
; codeLenInByte = 16636
; TotalNumSgprs: 31
; NumVgprs: 65
; ScratchSize: 0
; MemoryBound: 0
; FloatMode: 240
; IeeeMode: 1
; LDSByteSize: 18504 bytes/workgroup (compile time only)
; SGPRBlocks: 0
; VGPRBlocks: 4
; NumSGPRsForWavesPerEU: 31
; NumVGPRsForWavesPerEU: 65
; NamedBarCnt: 0
; Occupancy: 12
; WaveLimiterHint : 0
; COMPUTE_PGM_RSRC2:SCRATCH_EN: 0
; COMPUTE_PGM_RSRC2:USER_SGPR: 2
; COMPUTE_PGM_RSRC2:TRAP_HANDLER: 0
; COMPUTE_PGM_RSRC2:TGID_X_EN: 1
; COMPUTE_PGM_RSRC2:TGID_Y_EN: 0
; COMPUTE_PGM_RSRC2:TGID_Z_EN: 0
; COMPUTE_PGM_RSRC2:TIDIG_COMP_CNT: 2
	.section	.text._ZN7rocprim17ROCPRIM_400000_NS6detail17trampoline_kernelINS0_14default_configENS1_35radix_sort_onesweep_config_selectorItNS0_10empty_typeEEEZZNS1_29radix_sort_onesweep_iterationIS3_Lb0EPKtPtPS5_SB_mNS0_19identity_decomposerENS1_16block_id_wrapperIjLb0EEEEE10hipError_tT1_PNSt15iterator_traitsISG_E10value_typeET2_T3_PNSH_ISM_E10value_typeET4_T5_PSR_SS_PNS1_23onesweep_lookback_stateEbbT6_jjT7_P12ihipStream_tbENKUlT_T0_SG_SL_E_clIS9_SA_SB_SB_EEDaSZ_S10_SG_SL_EUlSZ_E_NS1_11comp_targetILNS1_3genE6ELNS1_11target_archE950ELNS1_3gpuE13ELNS1_3repE0EEENS1_47radix_sort_onesweep_sort_config_static_selectorELNS0_4arch9wavefront6targetE0EEEvSG_,"axG",@progbits,_ZN7rocprim17ROCPRIM_400000_NS6detail17trampoline_kernelINS0_14default_configENS1_35radix_sort_onesweep_config_selectorItNS0_10empty_typeEEEZZNS1_29radix_sort_onesweep_iterationIS3_Lb0EPKtPtPS5_SB_mNS0_19identity_decomposerENS1_16block_id_wrapperIjLb0EEEEE10hipError_tT1_PNSt15iterator_traitsISG_E10value_typeET2_T3_PNSH_ISM_E10value_typeET4_T5_PSR_SS_PNS1_23onesweep_lookback_stateEbbT6_jjT7_P12ihipStream_tbENKUlT_T0_SG_SL_E_clIS9_SA_SB_SB_EEDaSZ_S10_SG_SL_EUlSZ_E_NS1_11comp_targetILNS1_3genE6ELNS1_11target_archE950ELNS1_3gpuE13ELNS1_3repE0EEENS1_47radix_sort_onesweep_sort_config_static_selectorELNS0_4arch9wavefront6targetE0EEEvSG_,comdat
	.protected	_ZN7rocprim17ROCPRIM_400000_NS6detail17trampoline_kernelINS0_14default_configENS1_35radix_sort_onesweep_config_selectorItNS0_10empty_typeEEEZZNS1_29radix_sort_onesweep_iterationIS3_Lb0EPKtPtPS5_SB_mNS0_19identity_decomposerENS1_16block_id_wrapperIjLb0EEEEE10hipError_tT1_PNSt15iterator_traitsISG_E10value_typeET2_T3_PNSH_ISM_E10value_typeET4_T5_PSR_SS_PNS1_23onesweep_lookback_stateEbbT6_jjT7_P12ihipStream_tbENKUlT_T0_SG_SL_E_clIS9_SA_SB_SB_EEDaSZ_S10_SG_SL_EUlSZ_E_NS1_11comp_targetILNS1_3genE6ELNS1_11target_archE950ELNS1_3gpuE13ELNS1_3repE0EEENS1_47radix_sort_onesweep_sort_config_static_selectorELNS0_4arch9wavefront6targetE0EEEvSG_ ; -- Begin function _ZN7rocprim17ROCPRIM_400000_NS6detail17trampoline_kernelINS0_14default_configENS1_35radix_sort_onesweep_config_selectorItNS0_10empty_typeEEEZZNS1_29radix_sort_onesweep_iterationIS3_Lb0EPKtPtPS5_SB_mNS0_19identity_decomposerENS1_16block_id_wrapperIjLb0EEEEE10hipError_tT1_PNSt15iterator_traitsISG_E10value_typeET2_T3_PNSH_ISM_E10value_typeET4_T5_PSR_SS_PNS1_23onesweep_lookback_stateEbbT6_jjT7_P12ihipStream_tbENKUlT_T0_SG_SL_E_clIS9_SA_SB_SB_EEDaSZ_S10_SG_SL_EUlSZ_E_NS1_11comp_targetILNS1_3genE6ELNS1_11target_archE950ELNS1_3gpuE13ELNS1_3repE0EEENS1_47radix_sort_onesweep_sort_config_static_selectorELNS0_4arch9wavefront6targetE0EEEvSG_
	.globl	_ZN7rocprim17ROCPRIM_400000_NS6detail17trampoline_kernelINS0_14default_configENS1_35radix_sort_onesweep_config_selectorItNS0_10empty_typeEEEZZNS1_29radix_sort_onesweep_iterationIS3_Lb0EPKtPtPS5_SB_mNS0_19identity_decomposerENS1_16block_id_wrapperIjLb0EEEEE10hipError_tT1_PNSt15iterator_traitsISG_E10value_typeET2_T3_PNSH_ISM_E10value_typeET4_T5_PSR_SS_PNS1_23onesweep_lookback_stateEbbT6_jjT7_P12ihipStream_tbENKUlT_T0_SG_SL_E_clIS9_SA_SB_SB_EEDaSZ_S10_SG_SL_EUlSZ_E_NS1_11comp_targetILNS1_3genE6ELNS1_11target_archE950ELNS1_3gpuE13ELNS1_3repE0EEENS1_47radix_sort_onesweep_sort_config_static_selectorELNS0_4arch9wavefront6targetE0EEEvSG_
	.p2align	8
	.type	_ZN7rocprim17ROCPRIM_400000_NS6detail17trampoline_kernelINS0_14default_configENS1_35radix_sort_onesweep_config_selectorItNS0_10empty_typeEEEZZNS1_29radix_sort_onesweep_iterationIS3_Lb0EPKtPtPS5_SB_mNS0_19identity_decomposerENS1_16block_id_wrapperIjLb0EEEEE10hipError_tT1_PNSt15iterator_traitsISG_E10value_typeET2_T3_PNSH_ISM_E10value_typeET4_T5_PSR_SS_PNS1_23onesweep_lookback_stateEbbT6_jjT7_P12ihipStream_tbENKUlT_T0_SG_SL_E_clIS9_SA_SB_SB_EEDaSZ_S10_SG_SL_EUlSZ_E_NS1_11comp_targetILNS1_3genE6ELNS1_11target_archE950ELNS1_3gpuE13ELNS1_3repE0EEENS1_47radix_sort_onesweep_sort_config_static_selectorELNS0_4arch9wavefront6targetE0EEEvSG_,@function
_ZN7rocprim17ROCPRIM_400000_NS6detail17trampoline_kernelINS0_14default_configENS1_35radix_sort_onesweep_config_selectorItNS0_10empty_typeEEEZZNS1_29radix_sort_onesweep_iterationIS3_Lb0EPKtPtPS5_SB_mNS0_19identity_decomposerENS1_16block_id_wrapperIjLb0EEEEE10hipError_tT1_PNSt15iterator_traitsISG_E10value_typeET2_T3_PNSH_ISM_E10value_typeET4_T5_PSR_SS_PNS1_23onesweep_lookback_stateEbbT6_jjT7_P12ihipStream_tbENKUlT_T0_SG_SL_E_clIS9_SA_SB_SB_EEDaSZ_S10_SG_SL_EUlSZ_E_NS1_11comp_targetILNS1_3genE6ELNS1_11target_archE950ELNS1_3gpuE13ELNS1_3repE0EEENS1_47radix_sort_onesweep_sort_config_static_selectorELNS0_4arch9wavefront6targetE0EEEvSG_: ; @_ZN7rocprim17ROCPRIM_400000_NS6detail17trampoline_kernelINS0_14default_configENS1_35radix_sort_onesweep_config_selectorItNS0_10empty_typeEEEZZNS1_29radix_sort_onesweep_iterationIS3_Lb0EPKtPtPS5_SB_mNS0_19identity_decomposerENS1_16block_id_wrapperIjLb0EEEEE10hipError_tT1_PNSt15iterator_traitsISG_E10value_typeET2_T3_PNSH_ISM_E10value_typeET4_T5_PSR_SS_PNS1_23onesweep_lookback_stateEbbT6_jjT7_P12ihipStream_tbENKUlT_T0_SG_SL_E_clIS9_SA_SB_SB_EEDaSZ_S10_SG_SL_EUlSZ_E_NS1_11comp_targetILNS1_3genE6ELNS1_11target_archE950ELNS1_3gpuE13ELNS1_3repE0EEENS1_47radix_sort_onesweep_sort_config_static_selectorELNS0_4arch9wavefront6targetE0EEEvSG_
; %bb.0:
	.section	.rodata,"a",@progbits
	.p2align	6, 0x0
	.amdhsa_kernel _ZN7rocprim17ROCPRIM_400000_NS6detail17trampoline_kernelINS0_14default_configENS1_35radix_sort_onesweep_config_selectorItNS0_10empty_typeEEEZZNS1_29radix_sort_onesweep_iterationIS3_Lb0EPKtPtPS5_SB_mNS0_19identity_decomposerENS1_16block_id_wrapperIjLb0EEEEE10hipError_tT1_PNSt15iterator_traitsISG_E10value_typeET2_T3_PNSH_ISM_E10value_typeET4_T5_PSR_SS_PNS1_23onesweep_lookback_stateEbbT6_jjT7_P12ihipStream_tbENKUlT_T0_SG_SL_E_clIS9_SA_SB_SB_EEDaSZ_S10_SG_SL_EUlSZ_E_NS1_11comp_targetILNS1_3genE6ELNS1_11target_archE950ELNS1_3gpuE13ELNS1_3repE0EEENS1_47radix_sort_onesweep_sort_config_static_selectorELNS0_4arch9wavefront6targetE0EEEvSG_
		.amdhsa_group_segment_fixed_size 0
		.amdhsa_private_segment_fixed_size 0
		.amdhsa_kernarg_size 88
		.amdhsa_user_sgpr_count 2
		.amdhsa_user_sgpr_dispatch_ptr 0
		.amdhsa_user_sgpr_queue_ptr 0
		.amdhsa_user_sgpr_kernarg_segment_ptr 1
		.amdhsa_user_sgpr_dispatch_id 0
		.amdhsa_user_sgpr_kernarg_preload_length 0
		.amdhsa_user_sgpr_kernarg_preload_offset 0
		.amdhsa_user_sgpr_private_segment_size 0
		.amdhsa_wavefront_size32 1
		.amdhsa_uses_dynamic_stack 0
		.amdhsa_enable_private_segment 0
		.amdhsa_system_sgpr_workgroup_id_x 1
		.amdhsa_system_sgpr_workgroup_id_y 0
		.amdhsa_system_sgpr_workgroup_id_z 0
		.amdhsa_system_sgpr_workgroup_info 0
		.amdhsa_system_vgpr_workitem_id 0
		.amdhsa_next_free_vgpr 1
		.amdhsa_next_free_sgpr 1
		.amdhsa_named_barrier_count 0
		.amdhsa_reserve_vcc 0
		.amdhsa_float_round_mode_32 0
		.amdhsa_float_round_mode_16_64 0
		.amdhsa_float_denorm_mode_32 3
		.amdhsa_float_denorm_mode_16_64 3
		.amdhsa_fp16_overflow 0
		.amdhsa_memory_ordered 1
		.amdhsa_forward_progress 1
		.amdhsa_inst_pref_size 0
		.amdhsa_round_robin_scheduling 0
		.amdhsa_exception_fp_ieee_invalid_op 0
		.amdhsa_exception_fp_denorm_src 0
		.amdhsa_exception_fp_ieee_div_zero 0
		.amdhsa_exception_fp_ieee_overflow 0
		.amdhsa_exception_fp_ieee_underflow 0
		.amdhsa_exception_fp_ieee_inexact 0
		.amdhsa_exception_int_div_zero 0
	.end_amdhsa_kernel
	.section	.text._ZN7rocprim17ROCPRIM_400000_NS6detail17trampoline_kernelINS0_14default_configENS1_35radix_sort_onesweep_config_selectorItNS0_10empty_typeEEEZZNS1_29radix_sort_onesweep_iterationIS3_Lb0EPKtPtPS5_SB_mNS0_19identity_decomposerENS1_16block_id_wrapperIjLb0EEEEE10hipError_tT1_PNSt15iterator_traitsISG_E10value_typeET2_T3_PNSH_ISM_E10value_typeET4_T5_PSR_SS_PNS1_23onesweep_lookback_stateEbbT6_jjT7_P12ihipStream_tbENKUlT_T0_SG_SL_E_clIS9_SA_SB_SB_EEDaSZ_S10_SG_SL_EUlSZ_E_NS1_11comp_targetILNS1_3genE6ELNS1_11target_archE950ELNS1_3gpuE13ELNS1_3repE0EEENS1_47radix_sort_onesweep_sort_config_static_selectorELNS0_4arch9wavefront6targetE0EEEvSG_,"axG",@progbits,_ZN7rocprim17ROCPRIM_400000_NS6detail17trampoline_kernelINS0_14default_configENS1_35radix_sort_onesweep_config_selectorItNS0_10empty_typeEEEZZNS1_29radix_sort_onesweep_iterationIS3_Lb0EPKtPtPS5_SB_mNS0_19identity_decomposerENS1_16block_id_wrapperIjLb0EEEEE10hipError_tT1_PNSt15iterator_traitsISG_E10value_typeET2_T3_PNSH_ISM_E10value_typeET4_T5_PSR_SS_PNS1_23onesweep_lookback_stateEbbT6_jjT7_P12ihipStream_tbENKUlT_T0_SG_SL_E_clIS9_SA_SB_SB_EEDaSZ_S10_SG_SL_EUlSZ_E_NS1_11comp_targetILNS1_3genE6ELNS1_11target_archE950ELNS1_3gpuE13ELNS1_3repE0EEENS1_47radix_sort_onesweep_sort_config_static_selectorELNS0_4arch9wavefront6targetE0EEEvSG_,comdat
.Lfunc_end2516:
	.size	_ZN7rocprim17ROCPRIM_400000_NS6detail17trampoline_kernelINS0_14default_configENS1_35radix_sort_onesweep_config_selectorItNS0_10empty_typeEEEZZNS1_29radix_sort_onesweep_iterationIS3_Lb0EPKtPtPS5_SB_mNS0_19identity_decomposerENS1_16block_id_wrapperIjLb0EEEEE10hipError_tT1_PNSt15iterator_traitsISG_E10value_typeET2_T3_PNSH_ISM_E10value_typeET4_T5_PSR_SS_PNS1_23onesweep_lookback_stateEbbT6_jjT7_P12ihipStream_tbENKUlT_T0_SG_SL_E_clIS9_SA_SB_SB_EEDaSZ_S10_SG_SL_EUlSZ_E_NS1_11comp_targetILNS1_3genE6ELNS1_11target_archE950ELNS1_3gpuE13ELNS1_3repE0EEENS1_47radix_sort_onesweep_sort_config_static_selectorELNS0_4arch9wavefront6targetE0EEEvSG_, .Lfunc_end2516-_ZN7rocprim17ROCPRIM_400000_NS6detail17trampoline_kernelINS0_14default_configENS1_35radix_sort_onesweep_config_selectorItNS0_10empty_typeEEEZZNS1_29radix_sort_onesweep_iterationIS3_Lb0EPKtPtPS5_SB_mNS0_19identity_decomposerENS1_16block_id_wrapperIjLb0EEEEE10hipError_tT1_PNSt15iterator_traitsISG_E10value_typeET2_T3_PNSH_ISM_E10value_typeET4_T5_PSR_SS_PNS1_23onesweep_lookback_stateEbbT6_jjT7_P12ihipStream_tbENKUlT_T0_SG_SL_E_clIS9_SA_SB_SB_EEDaSZ_S10_SG_SL_EUlSZ_E_NS1_11comp_targetILNS1_3genE6ELNS1_11target_archE950ELNS1_3gpuE13ELNS1_3repE0EEENS1_47radix_sort_onesweep_sort_config_static_selectorELNS0_4arch9wavefront6targetE0EEEvSG_
                                        ; -- End function
	.set _ZN7rocprim17ROCPRIM_400000_NS6detail17trampoline_kernelINS0_14default_configENS1_35radix_sort_onesweep_config_selectorItNS0_10empty_typeEEEZZNS1_29radix_sort_onesweep_iterationIS3_Lb0EPKtPtPS5_SB_mNS0_19identity_decomposerENS1_16block_id_wrapperIjLb0EEEEE10hipError_tT1_PNSt15iterator_traitsISG_E10value_typeET2_T3_PNSH_ISM_E10value_typeET4_T5_PSR_SS_PNS1_23onesweep_lookback_stateEbbT6_jjT7_P12ihipStream_tbENKUlT_T0_SG_SL_E_clIS9_SA_SB_SB_EEDaSZ_S10_SG_SL_EUlSZ_E_NS1_11comp_targetILNS1_3genE6ELNS1_11target_archE950ELNS1_3gpuE13ELNS1_3repE0EEENS1_47radix_sort_onesweep_sort_config_static_selectorELNS0_4arch9wavefront6targetE0EEEvSG_.num_vgpr, 0
	.set _ZN7rocprim17ROCPRIM_400000_NS6detail17trampoline_kernelINS0_14default_configENS1_35radix_sort_onesweep_config_selectorItNS0_10empty_typeEEEZZNS1_29radix_sort_onesweep_iterationIS3_Lb0EPKtPtPS5_SB_mNS0_19identity_decomposerENS1_16block_id_wrapperIjLb0EEEEE10hipError_tT1_PNSt15iterator_traitsISG_E10value_typeET2_T3_PNSH_ISM_E10value_typeET4_T5_PSR_SS_PNS1_23onesweep_lookback_stateEbbT6_jjT7_P12ihipStream_tbENKUlT_T0_SG_SL_E_clIS9_SA_SB_SB_EEDaSZ_S10_SG_SL_EUlSZ_E_NS1_11comp_targetILNS1_3genE6ELNS1_11target_archE950ELNS1_3gpuE13ELNS1_3repE0EEENS1_47radix_sort_onesweep_sort_config_static_selectorELNS0_4arch9wavefront6targetE0EEEvSG_.num_agpr, 0
	.set _ZN7rocprim17ROCPRIM_400000_NS6detail17trampoline_kernelINS0_14default_configENS1_35radix_sort_onesweep_config_selectorItNS0_10empty_typeEEEZZNS1_29radix_sort_onesweep_iterationIS3_Lb0EPKtPtPS5_SB_mNS0_19identity_decomposerENS1_16block_id_wrapperIjLb0EEEEE10hipError_tT1_PNSt15iterator_traitsISG_E10value_typeET2_T3_PNSH_ISM_E10value_typeET4_T5_PSR_SS_PNS1_23onesweep_lookback_stateEbbT6_jjT7_P12ihipStream_tbENKUlT_T0_SG_SL_E_clIS9_SA_SB_SB_EEDaSZ_S10_SG_SL_EUlSZ_E_NS1_11comp_targetILNS1_3genE6ELNS1_11target_archE950ELNS1_3gpuE13ELNS1_3repE0EEENS1_47radix_sort_onesweep_sort_config_static_selectorELNS0_4arch9wavefront6targetE0EEEvSG_.numbered_sgpr, 0
	.set _ZN7rocprim17ROCPRIM_400000_NS6detail17trampoline_kernelINS0_14default_configENS1_35radix_sort_onesweep_config_selectorItNS0_10empty_typeEEEZZNS1_29radix_sort_onesweep_iterationIS3_Lb0EPKtPtPS5_SB_mNS0_19identity_decomposerENS1_16block_id_wrapperIjLb0EEEEE10hipError_tT1_PNSt15iterator_traitsISG_E10value_typeET2_T3_PNSH_ISM_E10value_typeET4_T5_PSR_SS_PNS1_23onesweep_lookback_stateEbbT6_jjT7_P12ihipStream_tbENKUlT_T0_SG_SL_E_clIS9_SA_SB_SB_EEDaSZ_S10_SG_SL_EUlSZ_E_NS1_11comp_targetILNS1_3genE6ELNS1_11target_archE950ELNS1_3gpuE13ELNS1_3repE0EEENS1_47radix_sort_onesweep_sort_config_static_selectorELNS0_4arch9wavefront6targetE0EEEvSG_.num_named_barrier, 0
	.set _ZN7rocprim17ROCPRIM_400000_NS6detail17trampoline_kernelINS0_14default_configENS1_35radix_sort_onesweep_config_selectorItNS0_10empty_typeEEEZZNS1_29radix_sort_onesweep_iterationIS3_Lb0EPKtPtPS5_SB_mNS0_19identity_decomposerENS1_16block_id_wrapperIjLb0EEEEE10hipError_tT1_PNSt15iterator_traitsISG_E10value_typeET2_T3_PNSH_ISM_E10value_typeET4_T5_PSR_SS_PNS1_23onesweep_lookback_stateEbbT6_jjT7_P12ihipStream_tbENKUlT_T0_SG_SL_E_clIS9_SA_SB_SB_EEDaSZ_S10_SG_SL_EUlSZ_E_NS1_11comp_targetILNS1_3genE6ELNS1_11target_archE950ELNS1_3gpuE13ELNS1_3repE0EEENS1_47radix_sort_onesweep_sort_config_static_selectorELNS0_4arch9wavefront6targetE0EEEvSG_.private_seg_size, 0
	.set _ZN7rocprim17ROCPRIM_400000_NS6detail17trampoline_kernelINS0_14default_configENS1_35radix_sort_onesweep_config_selectorItNS0_10empty_typeEEEZZNS1_29radix_sort_onesweep_iterationIS3_Lb0EPKtPtPS5_SB_mNS0_19identity_decomposerENS1_16block_id_wrapperIjLb0EEEEE10hipError_tT1_PNSt15iterator_traitsISG_E10value_typeET2_T3_PNSH_ISM_E10value_typeET4_T5_PSR_SS_PNS1_23onesweep_lookback_stateEbbT6_jjT7_P12ihipStream_tbENKUlT_T0_SG_SL_E_clIS9_SA_SB_SB_EEDaSZ_S10_SG_SL_EUlSZ_E_NS1_11comp_targetILNS1_3genE6ELNS1_11target_archE950ELNS1_3gpuE13ELNS1_3repE0EEENS1_47radix_sort_onesweep_sort_config_static_selectorELNS0_4arch9wavefront6targetE0EEEvSG_.uses_vcc, 0
	.set _ZN7rocprim17ROCPRIM_400000_NS6detail17trampoline_kernelINS0_14default_configENS1_35radix_sort_onesweep_config_selectorItNS0_10empty_typeEEEZZNS1_29radix_sort_onesweep_iterationIS3_Lb0EPKtPtPS5_SB_mNS0_19identity_decomposerENS1_16block_id_wrapperIjLb0EEEEE10hipError_tT1_PNSt15iterator_traitsISG_E10value_typeET2_T3_PNSH_ISM_E10value_typeET4_T5_PSR_SS_PNS1_23onesweep_lookback_stateEbbT6_jjT7_P12ihipStream_tbENKUlT_T0_SG_SL_E_clIS9_SA_SB_SB_EEDaSZ_S10_SG_SL_EUlSZ_E_NS1_11comp_targetILNS1_3genE6ELNS1_11target_archE950ELNS1_3gpuE13ELNS1_3repE0EEENS1_47radix_sort_onesweep_sort_config_static_selectorELNS0_4arch9wavefront6targetE0EEEvSG_.uses_flat_scratch, 0
	.set _ZN7rocprim17ROCPRIM_400000_NS6detail17trampoline_kernelINS0_14default_configENS1_35radix_sort_onesweep_config_selectorItNS0_10empty_typeEEEZZNS1_29radix_sort_onesweep_iterationIS3_Lb0EPKtPtPS5_SB_mNS0_19identity_decomposerENS1_16block_id_wrapperIjLb0EEEEE10hipError_tT1_PNSt15iterator_traitsISG_E10value_typeET2_T3_PNSH_ISM_E10value_typeET4_T5_PSR_SS_PNS1_23onesweep_lookback_stateEbbT6_jjT7_P12ihipStream_tbENKUlT_T0_SG_SL_E_clIS9_SA_SB_SB_EEDaSZ_S10_SG_SL_EUlSZ_E_NS1_11comp_targetILNS1_3genE6ELNS1_11target_archE950ELNS1_3gpuE13ELNS1_3repE0EEENS1_47radix_sort_onesweep_sort_config_static_selectorELNS0_4arch9wavefront6targetE0EEEvSG_.has_dyn_sized_stack, 0
	.set _ZN7rocprim17ROCPRIM_400000_NS6detail17trampoline_kernelINS0_14default_configENS1_35radix_sort_onesweep_config_selectorItNS0_10empty_typeEEEZZNS1_29radix_sort_onesweep_iterationIS3_Lb0EPKtPtPS5_SB_mNS0_19identity_decomposerENS1_16block_id_wrapperIjLb0EEEEE10hipError_tT1_PNSt15iterator_traitsISG_E10value_typeET2_T3_PNSH_ISM_E10value_typeET4_T5_PSR_SS_PNS1_23onesweep_lookback_stateEbbT6_jjT7_P12ihipStream_tbENKUlT_T0_SG_SL_E_clIS9_SA_SB_SB_EEDaSZ_S10_SG_SL_EUlSZ_E_NS1_11comp_targetILNS1_3genE6ELNS1_11target_archE950ELNS1_3gpuE13ELNS1_3repE0EEENS1_47radix_sort_onesweep_sort_config_static_selectorELNS0_4arch9wavefront6targetE0EEEvSG_.has_recursion, 0
	.set _ZN7rocprim17ROCPRIM_400000_NS6detail17trampoline_kernelINS0_14default_configENS1_35radix_sort_onesweep_config_selectorItNS0_10empty_typeEEEZZNS1_29radix_sort_onesweep_iterationIS3_Lb0EPKtPtPS5_SB_mNS0_19identity_decomposerENS1_16block_id_wrapperIjLb0EEEEE10hipError_tT1_PNSt15iterator_traitsISG_E10value_typeET2_T3_PNSH_ISM_E10value_typeET4_T5_PSR_SS_PNS1_23onesweep_lookback_stateEbbT6_jjT7_P12ihipStream_tbENKUlT_T0_SG_SL_E_clIS9_SA_SB_SB_EEDaSZ_S10_SG_SL_EUlSZ_E_NS1_11comp_targetILNS1_3genE6ELNS1_11target_archE950ELNS1_3gpuE13ELNS1_3repE0EEENS1_47radix_sort_onesweep_sort_config_static_selectorELNS0_4arch9wavefront6targetE0EEEvSG_.has_indirect_call, 0
	.section	.AMDGPU.csdata,"",@progbits
; Kernel info:
; codeLenInByte = 0
; TotalNumSgprs: 0
; NumVgprs: 0
; ScratchSize: 0
; MemoryBound: 0
; FloatMode: 240
; IeeeMode: 1
; LDSByteSize: 0 bytes/workgroup (compile time only)
; SGPRBlocks: 0
; VGPRBlocks: 0
; NumSGPRsForWavesPerEU: 1
; NumVGPRsForWavesPerEU: 1
; NamedBarCnt: 0
; Occupancy: 16
; WaveLimiterHint : 0
; COMPUTE_PGM_RSRC2:SCRATCH_EN: 0
; COMPUTE_PGM_RSRC2:USER_SGPR: 2
; COMPUTE_PGM_RSRC2:TRAP_HANDLER: 0
; COMPUTE_PGM_RSRC2:TGID_X_EN: 1
; COMPUTE_PGM_RSRC2:TGID_Y_EN: 0
; COMPUTE_PGM_RSRC2:TGID_Z_EN: 0
; COMPUTE_PGM_RSRC2:TIDIG_COMP_CNT: 0
	.section	.text._ZN7rocprim17ROCPRIM_400000_NS6detail17trampoline_kernelINS0_14default_configENS1_35radix_sort_onesweep_config_selectorItNS0_10empty_typeEEEZZNS1_29radix_sort_onesweep_iterationIS3_Lb0EPKtPtPS5_SB_mNS0_19identity_decomposerENS1_16block_id_wrapperIjLb0EEEEE10hipError_tT1_PNSt15iterator_traitsISG_E10value_typeET2_T3_PNSH_ISM_E10value_typeET4_T5_PSR_SS_PNS1_23onesweep_lookback_stateEbbT6_jjT7_P12ihipStream_tbENKUlT_T0_SG_SL_E_clIS9_SA_SB_SB_EEDaSZ_S10_SG_SL_EUlSZ_E_NS1_11comp_targetILNS1_3genE5ELNS1_11target_archE942ELNS1_3gpuE9ELNS1_3repE0EEENS1_47radix_sort_onesweep_sort_config_static_selectorELNS0_4arch9wavefront6targetE0EEEvSG_,"axG",@progbits,_ZN7rocprim17ROCPRIM_400000_NS6detail17trampoline_kernelINS0_14default_configENS1_35radix_sort_onesweep_config_selectorItNS0_10empty_typeEEEZZNS1_29radix_sort_onesweep_iterationIS3_Lb0EPKtPtPS5_SB_mNS0_19identity_decomposerENS1_16block_id_wrapperIjLb0EEEEE10hipError_tT1_PNSt15iterator_traitsISG_E10value_typeET2_T3_PNSH_ISM_E10value_typeET4_T5_PSR_SS_PNS1_23onesweep_lookback_stateEbbT6_jjT7_P12ihipStream_tbENKUlT_T0_SG_SL_E_clIS9_SA_SB_SB_EEDaSZ_S10_SG_SL_EUlSZ_E_NS1_11comp_targetILNS1_3genE5ELNS1_11target_archE942ELNS1_3gpuE9ELNS1_3repE0EEENS1_47radix_sort_onesweep_sort_config_static_selectorELNS0_4arch9wavefront6targetE0EEEvSG_,comdat
	.protected	_ZN7rocprim17ROCPRIM_400000_NS6detail17trampoline_kernelINS0_14default_configENS1_35radix_sort_onesweep_config_selectorItNS0_10empty_typeEEEZZNS1_29radix_sort_onesweep_iterationIS3_Lb0EPKtPtPS5_SB_mNS0_19identity_decomposerENS1_16block_id_wrapperIjLb0EEEEE10hipError_tT1_PNSt15iterator_traitsISG_E10value_typeET2_T3_PNSH_ISM_E10value_typeET4_T5_PSR_SS_PNS1_23onesweep_lookback_stateEbbT6_jjT7_P12ihipStream_tbENKUlT_T0_SG_SL_E_clIS9_SA_SB_SB_EEDaSZ_S10_SG_SL_EUlSZ_E_NS1_11comp_targetILNS1_3genE5ELNS1_11target_archE942ELNS1_3gpuE9ELNS1_3repE0EEENS1_47radix_sort_onesweep_sort_config_static_selectorELNS0_4arch9wavefront6targetE0EEEvSG_ ; -- Begin function _ZN7rocprim17ROCPRIM_400000_NS6detail17trampoline_kernelINS0_14default_configENS1_35radix_sort_onesweep_config_selectorItNS0_10empty_typeEEEZZNS1_29radix_sort_onesweep_iterationIS3_Lb0EPKtPtPS5_SB_mNS0_19identity_decomposerENS1_16block_id_wrapperIjLb0EEEEE10hipError_tT1_PNSt15iterator_traitsISG_E10value_typeET2_T3_PNSH_ISM_E10value_typeET4_T5_PSR_SS_PNS1_23onesweep_lookback_stateEbbT6_jjT7_P12ihipStream_tbENKUlT_T0_SG_SL_E_clIS9_SA_SB_SB_EEDaSZ_S10_SG_SL_EUlSZ_E_NS1_11comp_targetILNS1_3genE5ELNS1_11target_archE942ELNS1_3gpuE9ELNS1_3repE0EEENS1_47radix_sort_onesweep_sort_config_static_selectorELNS0_4arch9wavefront6targetE0EEEvSG_
	.globl	_ZN7rocprim17ROCPRIM_400000_NS6detail17trampoline_kernelINS0_14default_configENS1_35radix_sort_onesweep_config_selectorItNS0_10empty_typeEEEZZNS1_29radix_sort_onesweep_iterationIS3_Lb0EPKtPtPS5_SB_mNS0_19identity_decomposerENS1_16block_id_wrapperIjLb0EEEEE10hipError_tT1_PNSt15iterator_traitsISG_E10value_typeET2_T3_PNSH_ISM_E10value_typeET4_T5_PSR_SS_PNS1_23onesweep_lookback_stateEbbT6_jjT7_P12ihipStream_tbENKUlT_T0_SG_SL_E_clIS9_SA_SB_SB_EEDaSZ_S10_SG_SL_EUlSZ_E_NS1_11comp_targetILNS1_3genE5ELNS1_11target_archE942ELNS1_3gpuE9ELNS1_3repE0EEENS1_47radix_sort_onesweep_sort_config_static_selectorELNS0_4arch9wavefront6targetE0EEEvSG_
	.p2align	8
	.type	_ZN7rocprim17ROCPRIM_400000_NS6detail17trampoline_kernelINS0_14default_configENS1_35radix_sort_onesweep_config_selectorItNS0_10empty_typeEEEZZNS1_29radix_sort_onesweep_iterationIS3_Lb0EPKtPtPS5_SB_mNS0_19identity_decomposerENS1_16block_id_wrapperIjLb0EEEEE10hipError_tT1_PNSt15iterator_traitsISG_E10value_typeET2_T3_PNSH_ISM_E10value_typeET4_T5_PSR_SS_PNS1_23onesweep_lookback_stateEbbT6_jjT7_P12ihipStream_tbENKUlT_T0_SG_SL_E_clIS9_SA_SB_SB_EEDaSZ_S10_SG_SL_EUlSZ_E_NS1_11comp_targetILNS1_3genE5ELNS1_11target_archE942ELNS1_3gpuE9ELNS1_3repE0EEENS1_47radix_sort_onesweep_sort_config_static_selectorELNS0_4arch9wavefront6targetE0EEEvSG_,@function
_ZN7rocprim17ROCPRIM_400000_NS6detail17trampoline_kernelINS0_14default_configENS1_35radix_sort_onesweep_config_selectorItNS0_10empty_typeEEEZZNS1_29radix_sort_onesweep_iterationIS3_Lb0EPKtPtPS5_SB_mNS0_19identity_decomposerENS1_16block_id_wrapperIjLb0EEEEE10hipError_tT1_PNSt15iterator_traitsISG_E10value_typeET2_T3_PNSH_ISM_E10value_typeET4_T5_PSR_SS_PNS1_23onesweep_lookback_stateEbbT6_jjT7_P12ihipStream_tbENKUlT_T0_SG_SL_E_clIS9_SA_SB_SB_EEDaSZ_S10_SG_SL_EUlSZ_E_NS1_11comp_targetILNS1_3genE5ELNS1_11target_archE942ELNS1_3gpuE9ELNS1_3repE0EEENS1_47radix_sort_onesweep_sort_config_static_selectorELNS0_4arch9wavefront6targetE0EEEvSG_: ; @_ZN7rocprim17ROCPRIM_400000_NS6detail17trampoline_kernelINS0_14default_configENS1_35radix_sort_onesweep_config_selectorItNS0_10empty_typeEEEZZNS1_29radix_sort_onesweep_iterationIS3_Lb0EPKtPtPS5_SB_mNS0_19identity_decomposerENS1_16block_id_wrapperIjLb0EEEEE10hipError_tT1_PNSt15iterator_traitsISG_E10value_typeET2_T3_PNSH_ISM_E10value_typeET4_T5_PSR_SS_PNS1_23onesweep_lookback_stateEbbT6_jjT7_P12ihipStream_tbENKUlT_T0_SG_SL_E_clIS9_SA_SB_SB_EEDaSZ_S10_SG_SL_EUlSZ_E_NS1_11comp_targetILNS1_3genE5ELNS1_11target_archE942ELNS1_3gpuE9ELNS1_3repE0EEENS1_47radix_sort_onesweep_sort_config_static_selectorELNS0_4arch9wavefront6targetE0EEEvSG_
; %bb.0:
	.section	.rodata,"a",@progbits
	.p2align	6, 0x0
	.amdhsa_kernel _ZN7rocprim17ROCPRIM_400000_NS6detail17trampoline_kernelINS0_14default_configENS1_35radix_sort_onesweep_config_selectorItNS0_10empty_typeEEEZZNS1_29radix_sort_onesweep_iterationIS3_Lb0EPKtPtPS5_SB_mNS0_19identity_decomposerENS1_16block_id_wrapperIjLb0EEEEE10hipError_tT1_PNSt15iterator_traitsISG_E10value_typeET2_T3_PNSH_ISM_E10value_typeET4_T5_PSR_SS_PNS1_23onesweep_lookback_stateEbbT6_jjT7_P12ihipStream_tbENKUlT_T0_SG_SL_E_clIS9_SA_SB_SB_EEDaSZ_S10_SG_SL_EUlSZ_E_NS1_11comp_targetILNS1_3genE5ELNS1_11target_archE942ELNS1_3gpuE9ELNS1_3repE0EEENS1_47radix_sort_onesweep_sort_config_static_selectorELNS0_4arch9wavefront6targetE0EEEvSG_
		.amdhsa_group_segment_fixed_size 0
		.amdhsa_private_segment_fixed_size 0
		.amdhsa_kernarg_size 88
		.amdhsa_user_sgpr_count 2
		.amdhsa_user_sgpr_dispatch_ptr 0
		.amdhsa_user_sgpr_queue_ptr 0
		.amdhsa_user_sgpr_kernarg_segment_ptr 1
		.amdhsa_user_sgpr_dispatch_id 0
		.amdhsa_user_sgpr_kernarg_preload_length 0
		.amdhsa_user_sgpr_kernarg_preload_offset 0
		.amdhsa_user_sgpr_private_segment_size 0
		.amdhsa_wavefront_size32 1
		.amdhsa_uses_dynamic_stack 0
		.amdhsa_enable_private_segment 0
		.amdhsa_system_sgpr_workgroup_id_x 1
		.amdhsa_system_sgpr_workgroup_id_y 0
		.amdhsa_system_sgpr_workgroup_id_z 0
		.amdhsa_system_sgpr_workgroup_info 0
		.amdhsa_system_vgpr_workitem_id 0
		.amdhsa_next_free_vgpr 1
		.amdhsa_next_free_sgpr 1
		.amdhsa_named_barrier_count 0
		.amdhsa_reserve_vcc 0
		.amdhsa_float_round_mode_32 0
		.amdhsa_float_round_mode_16_64 0
		.amdhsa_float_denorm_mode_32 3
		.amdhsa_float_denorm_mode_16_64 3
		.amdhsa_fp16_overflow 0
		.amdhsa_memory_ordered 1
		.amdhsa_forward_progress 1
		.amdhsa_inst_pref_size 0
		.amdhsa_round_robin_scheduling 0
		.amdhsa_exception_fp_ieee_invalid_op 0
		.amdhsa_exception_fp_denorm_src 0
		.amdhsa_exception_fp_ieee_div_zero 0
		.amdhsa_exception_fp_ieee_overflow 0
		.amdhsa_exception_fp_ieee_underflow 0
		.amdhsa_exception_fp_ieee_inexact 0
		.amdhsa_exception_int_div_zero 0
	.end_amdhsa_kernel
	.section	.text._ZN7rocprim17ROCPRIM_400000_NS6detail17trampoline_kernelINS0_14default_configENS1_35radix_sort_onesweep_config_selectorItNS0_10empty_typeEEEZZNS1_29radix_sort_onesweep_iterationIS3_Lb0EPKtPtPS5_SB_mNS0_19identity_decomposerENS1_16block_id_wrapperIjLb0EEEEE10hipError_tT1_PNSt15iterator_traitsISG_E10value_typeET2_T3_PNSH_ISM_E10value_typeET4_T5_PSR_SS_PNS1_23onesweep_lookback_stateEbbT6_jjT7_P12ihipStream_tbENKUlT_T0_SG_SL_E_clIS9_SA_SB_SB_EEDaSZ_S10_SG_SL_EUlSZ_E_NS1_11comp_targetILNS1_3genE5ELNS1_11target_archE942ELNS1_3gpuE9ELNS1_3repE0EEENS1_47radix_sort_onesweep_sort_config_static_selectorELNS0_4arch9wavefront6targetE0EEEvSG_,"axG",@progbits,_ZN7rocprim17ROCPRIM_400000_NS6detail17trampoline_kernelINS0_14default_configENS1_35radix_sort_onesweep_config_selectorItNS0_10empty_typeEEEZZNS1_29radix_sort_onesweep_iterationIS3_Lb0EPKtPtPS5_SB_mNS0_19identity_decomposerENS1_16block_id_wrapperIjLb0EEEEE10hipError_tT1_PNSt15iterator_traitsISG_E10value_typeET2_T3_PNSH_ISM_E10value_typeET4_T5_PSR_SS_PNS1_23onesweep_lookback_stateEbbT6_jjT7_P12ihipStream_tbENKUlT_T0_SG_SL_E_clIS9_SA_SB_SB_EEDaSZ_S10_SG_SL_EUlSZ_E_NS1_11comp_targetILNS1_3genE5ELNS1_11target_archE942ELNS1_3gpuE9ELNS1_3repE0EEENS1_47radix_sort_onesweep_sort_config_static_selectorELNS0_4arch9wavefront6targetE0EEEvSG_,comdat
.Lfunc_end2517:
	.size	_ZN7rocprim17ROCPRIM_400000_NS6detail17trampoline_kernelINS0_14default_configENS1_35radix_sort_onesweep_config_selectorItNS0_10empty_typeEEEZZNS1_29radix_sort_onesweep_iterationIS3_Lb0EPKtPtPS5_SB_mNS0_19identity_decomposerENS1_16block_id_wrapperIjLb0EEEEE10hipError_tT1_PNSt15iterator_traitsISG_E10value_typeET2_T3_PNSH_ISM_E10value_typeET4_T5_PSR_SS_PNS1_23onesweep_lookback_stateEbbT6_jjT7_P12ihipStream_tbENKUlT_T0_SG_SL_E_clIS9_SA_SB_SB_EEDaSZ_S10_SG_SL_EUlSZ_E_NS1_11comp_targetILNS1_3genE5ELNS1_11target_archE942ELNS1_3gpuE9ELNS1_3repE0EEENS1_47radix_sort_onesweep_sort_config_static_selectorELNS0_4arch9wavefront6targetE0EEEvSG_, .Lfunc_end2517-_ZN7rocprim17ROCPRIM_400000_NS6detail17trampoline_kernelINS0_14default_configENS1_35radix_sort_onesweep_config_selectorItNS0_10empty_typeEEEZZNS1_29radix_sort_onesweep_iterationIS3_Lb0EPKtPtPS5_SB_mNS0_19identity_decomposerENS1_16block_id_wrapperIjLb0EEEEE10hipError_tT1_PNSt15iterator_traitsISG_E10value_typeET2_T3_PNSH_ISM_E10value_typeET4_T5_PSR_SS_PNS1_23onesweep_lookback_stateEbbT6_jjT7_P12ihipStream_tbENKUlT_T0_SG_SL_E_clIS9_SA_SB_SB_EEDaSZ_S10_SG_SL_EUlSZ_E_NS1_11comp_targetILNS1_3genE5ELNS1_11target_archE942ELNS1_3gpuE9ELNS1_3repE0EEENS1_47radix_sort_onesweep_sort_config_static_selectorELNS0_4arch9wavefront6targetE0EEEvSG_
                                        ; -- End function
	.set _ZN7rocprim17ROCPRIM_400000_NS6detail17trampoline_kernelINS0_14default_configENS1_35radix_sort_onesweep_config_selectorItNS0_10empty_typeEEEZZNS1_29radix_sort_onesweep_iterationIS3_Lb0EPKtPtPS5_SB_mNS0_19identity_decomposerENS1_16block_id_wrapperIjLb0EEEEE10hipError_tT1_PNSt15iterator_traitsISG_E10value_typeET2_T3_PNSH_ISM_E10value_typeET4_T5_PSR_SS_PNS1_23onesweep_lookback_stateEbbT6_jjT7_P12ihipStream_tbENKUlT_T0_SG_SL_E_clIS9_SA_SB_SB_EEDaSZ_S10_SG_SL_EUlSZ_E_NS1_11comp_targetILNS1_3genE5ELNS1_11target_archE942ELNS1_3gpuE9ELNS1_3repE0EEENS1_47radix_sort_onesweep_sort_config_static_selectorELNS0_4arch9wavefront6targetE0EEEvSG_.num_vgpr, 0
	.set _ZN7rocprim17ROCPRIM_400000_NS6detail17trampoline_kernelINS0_14default_configENS1_35radix_sort_onesweep_config_selectorItNS0_10empty_typeEEEZZNS1_29radix_sort_onesweep_iterationIS3_Lb0EPKtPtPS5_SB_mNS0_19identity_decomposerENS1_16block_id_wrapperIjLb0EEEEE10hipError_tT1_PNSt15iterator_traitsISG_E10value_typeET2_T3_PNSH_ISM_E10value_typeET4_T5_PSR_SS_PNS1_23onesweep_lookback_stateEbbT6_jjT7_P12ihipStream_tbENKUlT_T0_SG_SL_E_clIS9_SA_SB_SB_EEDaSZ_S10_SG_SL_EUlSZ_E_NS1_11comp_targetILNS1_3genE5ELNS1_11target_archE942ELNS1_3gpuE9ELNS1_3repE0EEENS1_47radix_sort_onesweep_sort_config_static_selectorELNS0_4arch9wavefront6targetE0EEEvSG_.num_agpr, 0
	.set _ZN7rocprim17ROCPRIM_400000_NS6detail17trampoline_kernelINS0_14default_configENS1_35radix_sort_onesweep_config_selectorItNS0_10empty_typeEEEZZNS1_29radix_sort_onesweep_iterationIS3_Lb0EPKtPtPS5_SB_mNS0_19identity_decomposerENS1_16block_id_wrapperIjLb0EEEEE10hipError_tT1_PNSt15iterator_traitsISG_E10value_typeET2_T3_PNSH_ISM_E10value_typeET4_T5_PSR_SS_PNS1_23onesweep_lookback_stateEbbT6_jjT7_P12ihipStream_tbENKUlT_T0_SG_SL_E_clIS9_SA_SB_SB_EEDaSZ_S10_SG_SL_EUlSZ_E_NS1_11comp_targetILNS1_3genE5ELNS1_11target_archE942ELNS1_3gpuE9ELNS1_3repE0EEENS1_47radix_sort_onesweep_sort_config_static_selectorELNS0_4arch9wavefront6targetE0EEEvSG_.numbered_sgpr, 0
	.set _ZN7rocprim17ROCPRIM_400000_NS6detail17trampoline_kernelINS0_14default_configENS1_35radix_sort_onesweep_config_selectorItNS0_10empty_typeEEEZZNS1_29radix_sort_onesweep_iterationIS3_Lb0EPKtPtPS5_SB_mNS0_19identity_decomposerENS1_16block_id_wrapperIjLb0EEEEE10hipError_tT1_PNSt15iterator_traitsISG_E10value_typeET2_T3_PNSH_ISM_E10value_typeET4_T5_PSR_SS_PNS1_23onesweep_lookback_stateEbbT6_jjT7_P12ihipStream_tbENKUlT_T0_SG_SL_E_clIS9_SA_SB_SB_EEDaSZ_S10_SG_SL_EUlSZ_E_NS1_11comp_targetILNS1_3genE5ELNS1_11target_archE942ELNS1_3gpuE9ELNS1_3repE0EEENS1_47radix_sort_onesweep_sort_config_static_selectorELNS0_4arch9wavefront6targetE0EEEvSG_.num_named_barrier, 0
	.set _ZN7rocprim17ROCPRIM_400000_NS6detail17trampoline_kernelINS0_14default_configENS1_35radix_sort_onesweep_config_selectorItNS0_10empty_typeEEEZZNS1_29radix_sort_onesweep_iterationIS3_Lb0EPKtPtPS5_SB_mNS0_19identity_decomposerENS1_16block_id_wrapperIjLb0EEEEE10hipError_tT1_PNSt15iterator_traitsISG_E10value_typeET2_T3_PNSH_ISM_E10value_typeET4_T5_PSR_SS_PNS1_23onesweep_lookback_stateEbbT6_jjT7_P12ihipStream_tbENKUlT_T0_SG_SL_E_clIS9_SA_SB_SB_EEDaSZ_S10_SG_SL_EUlSZ_E_NS1_11comp_targetILNS1_3genE5ELNS1_11target_archE942ELNS1_3gpuE9ELNS1_3repE0EEENS1_47radix_sort_onesweep_sort_config_static_selectorELNS0_4arch9wavefront6targetE0EEEvSG_.private_seg_size, 0
	.set _ZN7rocprim17ROCPRIM_400000_NS6detail17trampoline_kernelINS0_14default_configENS1_35radix_sort_onesweep_config_selectorItNS0_10empty_typeEEEZZNS1_29radix_sort_onesweep_iterationIS3_Lb0EPKtPtPS5_SB_mNS0_19identity_decomposerENS1_16block_id_wrapperIjLb0EEEEE10hipError_tT1_PNSt15iterator_traitsISG_E10value_typeET2_T3_PNSH_ISM_E10value_typeET4_T5_PSR_SS_PNS1_23onesweep_lookback_stateEbbT6_jjT7_P12ihipStream_tbENKUlT_T0_SG_SL_E_clIS9_SA_SB_SB_EEDaSZ_S10_SG_SL_EUlSZ_E_NS1_11comp_targetILNS1_3genE5ELNS1_11target_archE942ELNS1_3gpuE9ELNS1_3repE0EEENS1_47radix_sort_onesweep_sort_config_static_selectorELNS0_4arch9wavefront6targetE0EEEvSG_.uses_vcc, 0
	.set _ZN7rocprim17ROCPRIM_400000_NS6detail17trampoline_kernelINS0_14default_configENS1_35radix_sort_onesweep_config_selectorItNS0_10empty_typeEEEZZNS1_29radix_sort_onesweep_iterationIS3_Lb0EPKtPtPS5_SB_mNS0_19identity_decomposerENS1_16block_id_wrapperIjLb0EEEEE10hipError_tT1_PNSt15iterator_traitsISG_E10value_typeET2_T3_PNSH_ISM_E10value_typeET4_T5_PSR_SS_PNS1_23onesweep_lookback_stateEbbT6_jjT7_P12ihipStream_tbENKUlT_T0_SG_SL_E_clIS9_SA_SB_SB_EEDaSZ_S10_SG_SL_EUlSZ_E_NS1_11comp_targetILNS1_3genE5ELNS1_11target_archE942ELNS1_3gpuE9ELNS1_3repE0EEENS1_47radix_sort_onesweep_sort_config_static_selectorELNS0_4arch9wavefront6targetE0EEEvSG_.uses_flat_scratch, 0
	.set _ZN7rocprim17ROCPRIM_400000_NS6detail17trampoline_kernelINS0_14default_configENS1_35radix_sort_onesweep_config_selectorItNS0_10empty_typeEEEZZNS1_29radix_sort_onesweep_iterationIS3_Lb0EPKtPtPS5_SB_mNS0_19identity_decomposerENS1_16block_id_wrapperIjLb0EEEEE10hipError_tT1_PNSt15iterator_traitsISG_E10value_typeET2_T3_PNSH_ISM_E10value_typeET4_T5_PSR_SS_PNS1_23onesweep_lookback_stateEbbT6_jjT7_P12ihipStream_tbENKUlT_T0_SG_SL_E_clIS9_SA_SB_SB_EEDaSZ_S10_SG_SL_EUlSZ_E_NS1_11comp_targetILNS1_3genE5ELNS1_11target_archE942ELNS1_3gpuE9ELNS1_3repE0EEENS1_47radix_sort_onesweep_sort_config_static_selectorELNS0_4arch9wavefront6targetE0EEEvSG_.has_dyn_sized_stack, 0
	.set _ZN7rocprim17ROCPRIM_400000_NS6detail17trampoline_kernelINS0_14default_configENS1_35radix_sort_onesweep_config_selectorItNS0_10empty_typeEEEZZNS1_29radix_sort_onesweep_iterationIS3_Lb0EPKtPtPS5_SB_mNS0_19identity_decomposerENS1_16block_id_wrapperIjLb0EEEEE10hipError_tT1_PNSt15iterator_traitsISG_E10value_typeET2_T3_PNSH_ISM_E10value_typeET4_T5_PSR_SS_PNS1_23onesweep_lookback_stateEbbT6_jjT7_P12ihipStream_tbENKUlT_T0_SG_SL_E_clIS9_SA_SB_SB_EEDaSZ_S10_SG_SL_EUlSZ_E_NS1_11comp_targetILNS1_3genE5ELNS1_11target_archE942ELNS1_3gpuE9ELNS1_3repE0EEENS1_47radix_sort_onesweep_sort_config_static_selectorELNS0_4arch9wavefront6targetE0EEEvSG_.has_recursion, 0
	.set _ZN7rocprim17ROCPRIM_400000_NS6detail17trampoline_kernelINS0_14default_configENS1_35radix_sort_onesweep_config_selectorItNS0_10empty_typeEEEZZNS1_29radix_sort_onesweep_iterationIS3_Lb0EPKtPtPS5_SB_mNS0_19identity_decomposerENS1_16block_id_wrapperIjLb0EEEEE10hipError_tT1_PNSt15iterator_traitsISG_E10value_typeET2_T3_PNSH_ISM_E10value_typeET4_T5_PSR_SS_PNS1_23onesweep_lookback_stateEbbT6_jjT7_P12ihipStream_tbENKUlT_T0_SG_SL_E_clIS9_SA_SB_SB_EEDaSZ_S10_SG_SL_EUlSZ_E_NS1_11comp_targetILNS1_3genE5ELNS1_11target_archE942ELNS1_3gpuE9ELNS1_3repE0EEENS1_47radix_sort_onesweep_sort_config_static_selectorELNS0_4arch9wavefront6targetE0EEEvSG_.has_indirect_call, 0
	.section	.AMDGPU.csdata,"",@progbits
; Kernel info:
; codeLenInByte = 0
; TotalNumSgprs: 0
; NumVgprs: 0
; ScratchSize: 0
; MemoryBound: 0
; FloatMode: 240
; IeeeMode: 1
; LDSByteSize: 0 bytes/workgroup (compile time only)
; SGPRBlocks: 0
; VGPRBlocks: 0
; NumSGPRsForWavesPerEU: 1
; NumVGPRsForWavesPerEU: 1
; NamedBarCnt: 0
; Occupancy: 16
; WaveLimiterHint : 0
; COMPUTE_PGM_RSRC2:SCRATCH_EN: 0
; COMPUTE_PGM_RSRC2:USER_SGPR: 2
; COMPUTE_PGM_RSRC2:TRAP_HANDLER: 0
; COMPUTE_PGM_RSRC2:TGID_X_EN: 1
; COMPUTE_PGM_RSRC2:TGID_Y_EN: 0
; COMPUTE_PGM_RSRC2:TGID_Z_EN: 0
; COMPUTE_PGM_RSRC2:TIDIG_COMP_CNT: 0
	.section	.text._ZN7rocprim17ROCPRIM_400000_NS6detail17trampoline_kernelINS0_14default_configENS1_35radix_sort_onesweep_config_selectorItNS0_10empty_typeEEEZZNS1_29radix_sort_onesweep_iterationIS3_Lb0EPKtPtPS5_SB_mNS0_19identity_decomposerENS1_16block_id_wrapperIjLb0EEEEE10hipError_tT1_PNSt15iterator_traitsISG_E10value_typeET2_T3_PNSH_ISM_E10value_typeET4_T5_PSR_SS_PNS1_23onesweep_lookback_stateEbbT6_jjT7_P12ihipStream_tbENKUlT_T0_SG_SL_E_clIS9_SA_SB_SB_EEDaSZ_S10_SG_SL_EUlSZ_E_NS1_11comp_targetILNS1_3genE2ELNS1_11target_archE906ELNS1_3gpuE6ELNS1_3repE0EEENS1_47radix_sort_onesweep_sort_config_static_selectorELNS0_4arch9wavefront6targetE0EEEvSG_,"axG",@progbits,_ZN7rocprim17ROCPRIM_400000_NS6detail17trampoline_kernelINS0_14default_configENS1_35radix_sort_onesweep_config_selectorItNS0_10empty_typeEEEZZNS1_29radix_sort_onesweep_iterationIS3_Lb0EPKtPtPS5_SB_mNS0_19identity_decomposerENS1_16block_id_wrapperIjLb0EEEEE10hipError_tT1_PNSt15iterator_traitsISG_E10value_typeET2_T3_PNSH_ISM_E10value_typeET4_T5_PSR_SS_PNS1_23onesweep_lookback_stateEbbT6_jjT7_P12ihipStream_tbENKUlT_T0_SG_SL_E_clIS9_SA_SB_SB_EEDaSZ_S10_SG_SL_EUlSZ_E_NS1_11comp_targetILNS1_3genE2ELNS1_11target_archE906ELNS1_3gpuE6ELNS1_3repE0EEENS1_47radix_sort_onesweep_sort_config_static_selectorELNS0_4arch9wavefront6targetE0EEEvSG_,comdat
	.protected	_ZN7rocprim17ROCPRIM_400000_NS6detail17trampoline_kernelINS0_14default_configENS1_35radix_sort_onesweep_config_selectorItNS0_10empty_typeEEEZZNS1_29radix_sort_onesweep_iterationIS3_Lb0EPKtPtPS5_SB_mNS0_19identity_decomposerENS1_16block_id_wrapperIjLb0EEEEE10hipError_tT1_PNSt15iterator_traitsISG_E10value_typeET2_T3_PNSH_ISM_E10value_typeET4_T5_PSR_SS_PNS1_23onesweep_lookback_stateEbbT6_jjT7_P12ihipStream_tbENKUlT_T0_SG_SL_E_clIS9_SA_SB_SB_EEDaSZ_S10_SG_SL_EUlSZ_E_NS1_11comp_targetILNS1_3genE2ELNS1_11target_archE906ELNS1_3gpuE6ELNS1_3repE0EEENS1_47radix_sort_onesweep_sort_config_static_selectorELNS0_4arch9wavefront6targetE0EEEvSG_ ; -- Begin function _ZN7rocprim17ROCPRIM_400000_NS6detail17trampoline_kernelINS0_14default_configENS1_35radix_sort_onesweep_config_selectorItNS0_10empty_typeEEEZZNS1_29radix_sort_onesweep_iterationIS3_Lb0EPKtPtPS5_SB_mNS0_19identity_decomposerENS1_16block_id_wrapperIjLb0EEEEE10hipError_tT1_PNSt15iterator_traitsISG_E10value_typeET2_T3_PNSH_ISM_E10value_typeET4_T5_PSR_SS_PNS1_23onesweep_lookback_stateEbbT6_jjT7_P12ihipStream_tbENKUlT_T0_SG_SL_E_clIS9_SA_SB_SB_EEDaSZ_S10_SG_SL_EUlSZ_E_NS1_11comp_targetILNS1_3genE2ELNS1_11target_archE906ELNS1_3gpuE6ELNS1_3repE0EEENS1_47radix_sort_onesweep_sort_config_static_selectorELNS0_4arch9wavefront6targetE0EEEvSG_
	.globl	_ZN7rocprim17ROCPRIM_400000_NS6detail17trampoline_kernelINS0_14default_configENS1_35radix_sort_onesweep_config_selectorItNS0_10empty_typeEEEZZNS1_29radix_sort_onesweep_iterationIS3_Lb0EPKtPtPS5_SB_mNS0_19identity_decomposerENS1_16block_id_wrapperIjLb0EEEEE10hipError_tT1_PNSt15iterator_traitsISG_E10value_typeET2_T3_PNSH_ISM_E10value_typeET4_T5_PSR_SS_PNS1_23onesweep_lookback_stateEbbT6_jjT7_P12ihipStream_tbENKUlT_T0_SG_SL_E_clIS9_SA_SB_SB_EEDaSZ_S10_SG_SL_EUlSZ_E_NS1_11comp_targetILNS1_3genE2ELNS1_11target_archE906ELNS1_3gpuE6ELNS1_3repE0EEENS1_47radix_sort_onesweep_sort_config_static_selectorELNS0_4arch9wavefront6targetE0EEEvSG_
	.p2align	8
	.type	_ZN7rocprim17ROCPRIM_400000_NS6detail17trampoline_kernelINS0_14default_configENS1_35radix_sort_onesweep_config_selectorItNS0_10empty_typeEEEZZNS1_29radix_sort_onesweep_iterationIS3_Lb0EPKtPtPS5_SB_mNS0_19identity_decomposerENS1_16block_id_wrapperIjLb0EEEEE10hipError_tT1_PNSt15iterator_traitsISG_E10value_typeET2_T3_PNSH_ISM_E10value_typeET4_T5_PSR_SS_PNS1_23onesweep_lookback_stateEbbT6_jjT7_P12ihipStream_tbENKUlT_T0_SG_SL_E_clIS9_SA_SB_SB_EEDaSZ_S10_SG_SL_EUlSZ_E_NS1_11comp_targetILNS1_3genE2ELNS1_11target_archE906ELNS1_3gpuE6ELNS1_3repE0EEENS1_47radix_sort_onesweep_sort_config_static_selectorELNS0_4arch9wavefront6targetE0EEEvSG_,@function
_ZN7rocprim17ROCPRIM_400000_NS6detail17trampoline_kernelINS0_14default_configENS1_35radix_sort_onesweep_config_selectorItNS0_10empty_typeEEEZZNS1_29radix_sort_onesweep_iterationIS3_Lb0EPKtPtPS5_SB_mNS0_19identity_decomposerENS1_16block_id_wrapperIjLb0EEEEE10hipError_tT1_PNSt15iterator_traitsISG_E10value_typeET2_T3_PNSH_ISM_E10value_typeET4_T5_PSR_SS_PNS1_23onesweep_lookback_stateEbbT6_jjT7_P12ihipStream_tbENKUlT_T0_SG_SL_E_clIS9_SA_SB_SB_EEDaSZ_S10_SG_SL_EUlSZ_E_NS1_11comp_targetILNS1_3genE2ELNS1_11target_archE906ELNS1_3gpuE6ELNS1_3repE0EEENS1_47radix_sort_onesweep_sort_config_static_selectorELNS0_4arch9wavefront6targetE0EEEvSG_: ; @_ZN7rocprim17ROCPRIM_400000_NS6detail17trampoline_kernelINS0_14default_configENS1_35radix_sort_onesweep_config_selectorItNS0_10empty_typeEEEZZNS1_29radix_sort_onesweep_iterationIS3_Lb0EPKtPtPS5_SB_mNS0_19identity_decomposerENS1_16block_id_wrapperIjLb0EEEEE10hipError_tT1_PNSt15iterator_traitsISG_E10value_typeET2_T3_PNSH_ISM_E10value_typeET4_T5_PSR_SS_PNS1_23onesweep_lookback_stateEbbT6_jjT7_P12ihipStream_tbENKUlT_T0_SG_SL_E_clIS9_SA_SB_SB_EEDaSZ_S10_SG_SL_EUlSZ_E_NS1_11comp_targetILNS1_3genE2ELNS1_11target_archE906ELNS1_3gpuE6ELNS1_3repE0EEENS1_47radix_sort_onesweep_sort_config_static_selectorELNS0_4arch9wavefront6targetE0EEEvSG_
; %bb.0:
	.section	.rodata,"a",@progbits
	.p2align	6, 0x0
	.amdhsa_kernel _ZN7rocprim17ROCPRIM_400000_NS6detail17trampoline_kernelINS0_14default_configENS1_35radix_sort_onesweep_config_selectorItNS0_10empty_typeEEEZZNS1_29radix_sort_onesweep_iterationIS3_Lb0EPKtPtPS5_SB_mNS0_19identity_decomposerENS1_16block_id_wrapperIjLb0EEEEE10hipError_tT1_PNSt15iterator_traitsISG_E10value_typeET2_T3_PNSH_ISM_E10value_typeET4_T5_PSR_SS_PNS1_23onesweep_lookback_stateEbbT6_jjT7_P12ihipStream_tbENKUlT_T0_SG_SL_E_clIS9_SA_SB_SB_EEDaSZ_S10_SG_SL_EUlSZ_E_NS1_11comp_targetILNS1_3genE2ELNS1_11target_archE906ELNS1_3gpuE6ELNS1_3repE0EEENS1_47radix_sort_onesweep_sort_config_static_selectorELNS0_4arch9wavefront6targetE0EEEvSG_
		.amdhsa_group_segment_fixed_size 0
		.amdhsa_private_segment_fixed_size 0
		.amdhsa_kernarg_size 88
		.amdhsa_user_sgpr_count 2
		.amdhsa_user_sgpr_dispatch_ptr 0
		.amdhsa_user_sgpr_queue_ptr 0
		.amdhsa_user_sgpr_kernarg_segment_ptr 1
		.amdhsa_user_sgpr_dispatch_id 0
		.amdhsa_user_sgpr_kernarg_preload_length 0
		.amdhsa_user_sgpr_kernarg_preload_offset 0
		.amdhsa_user_sgpr_private_segment_size 0
		.amdhsa_wavefront_size32 1
		.amdhsa_uses_dynamic_stack 0
		.amdhsa_enable_private_segment 0
		.amdhsa_system_sgpr_workgroup_id_x 1
		.amdhsa_system_sgpr_workgroup_id_y 0
		.amdhsa_system_sgpr_workgroup_id_z 0
		.amdhsa_system_sgpr_workgroup_info 0
		.amdhsa_system_vgpr_workitem_id 0
		.amdhsa_next_free_vgpr 1
		.amdhsa_next_free_sgpr 1
		.amdhsa_named_barrier_count 0
		.amdhsa_reserve_vcc 0
		.amdhsa_float_round_mode_32 0
		.amdhsa_float_round_mode_16_64 0
		.amdhsa_float_denorm_mode_32 3
		.amdhsa_float_denorm_mode_16_64 3
		.amdhsa_fp16_overflow 0
		.amdhsa_memory_ordered 1
		.amdhsa_forward_progress 1
		.amdhsa_inst_pref_size 0
		.amdhsa_round_robin_scheduling 0
		.amdhsa_exception_fp_ieee_invalid_op 0
		.amdhsa_exception_fp_denorm_src 0
		.amdhsa_exception_fp_ieee_div_zero 0
		.amdhsa_exception_fp_ieee_overflow 0
		.amdhsa_exception_fp_ieee_underflow 0
		.amdhsa_exception_fp_ieee_inexact 0
		.amdhsa_exception_int_div_zero 0
	.end_amdhsa_kernel
	.section	.text._ZN7rocprim17ROCPRIM_400000_NS6detail17trampoline_kernelINS0_14default_configENS1_35radix_sort_onesweep_config_selectorItNS0_10empty_typeEEEZZNS1_29radix_sort_onesweep_iterationIS3_Lb0EPKtPtPS5_SB_mNS0_19identity_decomposerENS1_16block_id_wrapperIjLb0EEEEE10hipError_tT1_PNSt15iterator_traitsISG_E10value_typeET2_T3_PNSH_ISM_E10value_typeET4_T5_PSR_SS_PNS1_23onesweep_lookback_stateEbbT6_jjT7_P12ihipStream_tbENKUlT_T0_SG_SL_E_clIS9_SA_SB_SB_EEDaSZ_S10_SG_SL_EUlSZ_E_NS1_11comp_targetILNS1_3genE2ELNS1_11target_archE906ELNS1_3gpuE6ELNS1_3repE0EEENS1_47radix_sort_onesweep_sort_config_static_selectorELNS0_4arch9wavefront6targetE0EEEvSG_,"axG",@progbits,_ZN7rocprim17ROCPRIM_400000_NS6detail17trampoline_kernelINS0_14default_configENS1_35radix_sort_onesweep_config_selectorItNS0_10empty_typeEEEZZNS1_29radix_sort_onesweep_iterationIS3_Lb0EPKtPtPS5_SB_mNS0_19identity_decomposerENS1_16block_id_wrapperIjLb0EEEEE10hipError_tT1_PNSt15iterator_traitsISG_E10value_typeET2_T3_PNSH_ISM_E10value_typeET4_T5_PSR_SS_PNS1_23onesweep_lookback_stateEbbT6_jjT7_P12ihipStream_tbENKUlT_T0_SG_SL_E_clIS9_SA_SB_SB_EEDaSZ_S10_SG_SL_EUlSZ_E_NS1_11comp_targetILNS1_3genE2ELNS1_11target_archE906ELNS1_3gpuE6ELNS1_3repE0EEENS1_47radix_sort_onesweep_sort_config_static_selectorELNS0_4arch9wavefront6targetE0EEEvSG_,comdat
.Lfunc_end2518:
	.size	_ZN7rocprim17ROCPRIM_400000_NS6detail17trampoline_kernelINS0_14default_configENS1_35radix_sort_onesweep_config_selectorItNS0_10empty_typeEEEZZNS1_29radix_sort_onesweep_iterationIS3_Lb0EPKtPtPS5_SB_mNS0_19identity_decomposerENS1_16block_id_wrapperIjLb0EEEEE10hipError_tT1_PNSt15iterator_traitsISG_E10value_typeET2_T3_PNSH_ISM_E10value_typeET4_T5_PSR_SS_PNS1_23onesweep_lookback_stateEbbT6_jjT7_P12ihipStream_tbENKUlT_T0_SG_SL_E_clIS9_SA_SB_SB_EEDaSZ_S10_SG_SL_EUlSZ_E_NS1_11comp_targetILNS1_3genE2ELNS1_11target_archE906ELNS1_3gpuE6ELNS1_3repE0EEENS1_47radix_sort_onesweep_sort_config_static_selectorELNS0_4arch9wavefront6targetE0EEEvSG_, .Lfunc_end2518-_ZN7rocprim17ROCPRIM_400000_NS6detail17trampoline_kernelINS0_14default_configENS1_35radix_sort_onesweep_config_selectorItNS0_10empty_typeEEEZZNS1_29radix_sort_onesweep_iterationIS3_Lb0EPKtPtPS5_SB_mNS0_19identity_decomposerENS1_16block_id_wrapperIjLb0EEEEE10hipError_tT1_PNSt15iterator_traitsISG_E10value_typeET2_T3_PNSH_ISM_E10value_typeET4_T5_PSR_SS_PNS1_23onesweep_lookback_stateEbbT6_jjT7_P12ihipStream_tbENKUlT_T0_SG_SL_E_clIS9_SA_SB_SB_EEDaSZ_S10_SG_SL_EUlSZ_E_NS1_11comp_targetILNS1_3genE2ELNS1_11target_archE906ELNS1_3gpuE6ELNS1_3repE0EEENS1_47radix_sort_onesweep_sort_config_static_selectorELNS0_4arch9wavefront6targetE0EEEvSG_
                                        ; -- End function
	.set _ZN7rocprim17ROCPRIM_400000_NS6detail17trampoline_kernelINS0_14default_configENS1_35radix_sort_onesweep_config_selectorItNS0_10empty_typeEEEZZNS1_29radix_sort_onesweep_iterationIS3_Lb0EPKtPtPS5_SB_mNS0_19identity_decomposerENS1_16block_id_wrapperIjLb0EEEEE10hipError_tT1_PNSt15iterator_traitsISG_E10value_typeET2_T3_PNSH_ISM_E10value_typeET4_T5_PSR_SS_PNS1_23onesweep_lookback_stateEbbT6_jjT7_P12ihipStream_tbENKUlT_T0_SG_SL_E_clIS9_SA_SB_SB_EEDaSZ_S10_SG_SL_EUlSZ_E_NS1_11comp_targetILNS1_3genE2ELNS1_11target_archE906ELNS1_3gpuE6ELNS1_3repE0EEENS1_47radix_sort_onesweep_sort_config_static_selectorELNS0_4arch9wavefront6targetE0EEEvSG_.num_vgpr, 0
	.set _ZN7rocprim17ROCPRIM_400000_NS6detail17trampoline_kernelINS0_14default_configENS1_35radix_sort_onesweep_config_selectorItNS0_10empty_typeEEEZZNS1_29radix_sort_onesweep_iterationIS3_Lb0EPKtPtPS5_SB_mNS0_19identity_decomposerENS1_16block_id_wrapperIjLb0EEEEE10hipError_tT1_PNSt15iterator_traitsISG_E10value_typeET2_T3_PNSH_ISM_E10value_typeET4_T5_PSR_SS_PNS1_23onesweep_lookback_stateEbbT6_jjT7_P12ihipStream_tbENKUlT_T0_SG_SL_E_clIS9_SA_SB_SB_EEDaSZ_S10_SG_SL_EUlSZ_E_NS1_11comp_targetILNS1_3genE2ELNS1_11target_archE906ELNS1_3gpuE6ELNS1_3repE0EEENS1_47radix_sort_onesweep_sort_config_static_selectorELNS0_4arch9wavefront6targetE0EEEvSG_.num_agpr, 0
	.set _ZN7rocprim17ROCPRIM_400000_NS6detail17trampoline_kernelINS0_14default_configENS1_35radix_sort_onesweep_config_selectorItNS0_10empty_typeEEEZZNS1_29radix_sort_onesweep_iterationIS3_Lb0EPKtPtPS5_SB_mNS0_19identity_decomposerENS1_16block_id_wrapperIjLb0EEEEE10hipError_tT1_PNSt15iterator_traitsISG_E10value_typeET2_T3_PNSH_ISM_E10value_typeET4_T5_PSR_SS_PNS1_23onesweep_lookback_stateEbbT6_jjT7_P12ihipStream_tbENKUlT_T0_SG_SL_E_clIS9_SA_SB_SB_EEDaSZ_S10_SG_SL_EUlSZ_E_NS1_11comp_targetILNS1_3genE2ELNS1_11target_archE906ELNS1_3gpuE6ELNS1_3repE0EEENS1_47radix_sort_onesweep_sort_config_static_selectorELNS0_4arch9wavefront6targetE0EEEvSG_.numbered_sgpr, 0
	.set _ZN7rocprim17ROCPRIM_400000_NS6detail17trampoline_kernelINS0_14default_configENS1_35radix_sort_onesweep_config_selectorItNS0_10empty_typeEEEZZNS1_29radix_sort_onesweep_iterationIS3_Lb0EPKtPtPS5_SB_mNS0_19identity_decomposerENS1_16block_id_wrapperIjLb0EEEEE10hipError_tT1_PNSt15iterator_traitsISG_E10value_typeET2_T3_PNSH_ISM_E10value_typeET4_T5_PSR_SS_PNS1_23onesweep_lookback_stateEbbT6_jjT7_P12ihipStream_tbENKUlT_T0_SG_SL_E_clIS9_SA_SB_SB_EEDaSZ_S10_SG_SL_EUlSZ_E_NS1_11comp_targetILNS1_3genE2ELNS1_11target_archE906ELNS1_3gpuE6ELNS1_3repE0EEENS1_47radix_sort_onesweep_sort_config_static_selectorELNS0_4arch9wavefront6targetE0EEEvSG_.num_named_barrier, 0
	.set _ZN7rocprim17ROCPRIM_400000_NS6detail17trampoline_kernelINS0_14default_configENS1_35radix_sort_onesweep_config_selectorItNS0_10empty_typeEEEZZNS1_29radix_sort_onesweep_iterationIS3_Lb0EPKtPtPS5_SB_mNS0_19identity_decomposerENS1_16block_id_wrapperIjLb0EEEEE10hipError_tT1_PNSt15iterator_traitsISG_E10value_typeET2_T3_PNSH_ISM_E10value_typeET4_T5_PSR_SS_PNS1_23onesweep_lookback_stateEbbT6_jjT7_P12ihipStream_tbENKUlT_T0_SG_SL_E_clIS9_SA_SB_SB_EEDaSZ_S10_SG_SL_EUlSZ_E_NS1_11comp_targetILNS1_3genE2ELNS1_11target_archE906ELNS1_3gpuE6ELNS1_3repE0EEENS1_47radix_sort_onesweep_sort_config_static_selectorELNS0_4arch9wavefront6targetE0EEEvSG_.private_seg_size, 0
	.set _ZN7rocprim17ROCPRIM_400000_NS6detail17trampoline_kernelINS0_14default_configENS1_35radix_sort_onesweep_config_selectorItNS0_10empty_typeEEEZZNS1_29radix_sort_onesweep_iterationIS3_Lb0EPKtPtPS5_SB_mNS0_19identity_decomposerENS1_16block_id_wrapperIjLb0EEEEE10hipError_tT1_PNSt15iterator_traitsISG_E10value_typeET2_T3_PNSH_ISM_E10value_typeET4_T5_PSR_SS_PNS1_23onesweep_lookback_stateEbbT6_jjT7_P12ihipStream_tbENKUlT_T0_SG_SL_E_clIS9_SA_SB_SB_EEDaSZ_S10_SG_SL_EUlSZ_E_NS1_11comp_targetILNS1_3genE2ELNS1_11target_archE906ELNS1_3gpuE6ELNS1_3repE0EEENS1_47radix_sort_onesweep_sort_config_static_selectorELNS0_4arch9wavefront6targetE0EEEvSG_.uses_vcc, 0
	.set _ZN7rocprim17ROCPRIM_400000_NS6detail17trampoline_kernelINS0_14default_configENS1_35radix_sort_onesweep_config_selectorItNS0_10empty_typeEEEZZNS1_29radix_sort_onesweep_iterationIS3_Lb0EPKtPtPS5_SB_mNS0_19identity_decomposerENS1_16block_id_wrapperIjLb0EEEEE10hipError_tT1_PNSt15iterator_traitsISG_E10value_typeET2_T3_PNSH_ISM_E10value_typeET4_T5_PSR_SS_PNS1_23onesweep_lookback_stateEbbT6_jjT7_P12ihipStream_tbENKUlT_T0_SG_SL_E_clIS9_SA_SB_SB_EEDaSZ_S10_SG_SL_EUlSZ_E_NS1_11comp_targetILNS1_3genE2ELNS1_11target_archE906ELNS1_3gpuE6ELNS1_3repE0EEENS1_47radix_sort_onesweep_sort_config_static_selectorELNS0_4arch9wavefront6targetE0EEEvSG_.uses_flat_scratch, 0
	.set _ZN7rocprim17ROCPRIM_400000_NS6detail17trampoline_kernelINS0_14default_configENS1_35radix_sort_onesweep_config_selectorItNS0_10empty_typeEEEZZNS1_29radix_sort_onesweep_iterationIS3_Lb0EPKtPtPS5_SB_mNS0_19identity_decomposerENS1_16block_id_wrapperIjLb0EEEEE10hipError_tT1_PNSt15iterator_traitsISG_E10value_typeET2_T3_PNSH_ISM_E10value_typeET4_T5_PSR_SS_PNS1_23onesweep_lookback_stateEbbT6_jjT7_P12ihipStream_tbENKUlT_T0_SG_SL_E_clIS9_SA_SB_SB_EEDaSZ_S10_SG_SL_EUlSZ_E_NS1_11comp_targetILNS1_3genE2ELNS1_11target_archE906ELNS1_3gpuE6ELNS1_3repE0EEENS1_47radix_sort_onesweep_sort_config_static_selectorELNS0_4arch9wavefront6targetE0EEEvSG_.has_dyn_sized_stack, 0
	.set _ZN7rocprim17ROCPRIM_400000_NS6detail17trampoline_kernelINS0_14default_configENS1_35radix_sort_onesweep_config_selectorItNS0_10empty_typeEEEZZNS1_29radix_sort_onesweep_iterationIS3_Lb0EPKtPtPS5_SB_mNS0_19identity_decomposerENS1_16block_id_wrapperIjLb0EEEEE10hipError_tT1_PNSt15iterator_traitsISG_E10value_typeET2_T3_PNSH_ISM_E10value_typeET4_T5_PSR_SS_PNS1_23onesweep_lookback_stateEbbT6_jjT7_P12ihipStream_tbENKUlT_T0_SG_SL_E_clIS9_SA_SB_SB_EEDaSZ_S10_SG_SL_EUlSZ_E_NS1_11comp_targetILNS1_3genE2ELNS1_11target_archE906ELNS1_3gpuE6ELNS1_3repE0EEENS1_47radix_sort_onesweep_sort_config_static_selectorELNS0_4arch9wavefront6targetE0EEEvSG_.has_recursion, 0
	.set _ZN7rocprim17ROCPRIM_400000_NS6detail17trampoline_kernelINS0_14default_configENS1_35radix_sort_onesweep_config_selectorItNS0_10empty_typeEEEZZNS1_29radix_sort_onesweep_iterationIS3_Lb0EPKtPtPS5_SB_mNS0_19identity_decomposerENS1_16block_id_wrapperIjLb0EEEEE10hipError_tT1_PNSt15iterator_traitsISG_E10value_typeET2_T3_PNSH_ISM_E10value_typeET4_T5_PSR_SS_PNS1_23onesweep_lookback_stateEbbT6_jjT7_P12ihipStream_tbENKUlT_T0_SG_SL_E_clIS9_SA_SB_SB_EEDaSZ_S10_SG_SL_EUlSZ_E_NS1_11comp_targetILNS1_3genE2ELNS1_11target_archE906ELNS1_3gpuE6ELNS1_3repE0EEENS1_47radix_sort_onesweep_sort_config_static_selectorELNS0_4arch9wavefront6targetE0EEEvSG_.has_indirect_call, 0
	.section	.AMDGPU.csdata,"",@progbits
; Kernel info:
; codeLenInByte = 0
; TotalNumSgprs: 0
; NumVgprs: 0
; ScratchSize: 0
; MemoryBound: 0
; FloatMode: 240
; IeeeMode: 1
; LDSByteSize: 0 bytes/workgroup (compile time only)
; SGPRBlocks: 0
; VGPRBlocks: 0
; NumSGPRsForWavesPerEU: 1
; NumVGPRsForWavesPerEU: 1
; NamedBarCnt: 0
; Occupancy: 16
; WaveLimiterHint : 0
; COMPUTE_PGM_RSRC2:SCRATCH_EN: 0
; COMPUTE_PGM_RSRC2:USER_SGPR: 2
; COMPUTE_PGM_RSRC2:TRAP_HANDLER: 0
; COMPUTE_PGM_RSRC2:TGID_X_EN: 1
; COMPUTE_PGM_RSRC2:TGID_Y_EN: 0
; COMPUTE_PGM_RSRC2:TGID_Z_EN: 0
; COMPUTE_PGM_RSRC2:TIDIG_COMP_CNT: 0
	.section	.text._ZN7rocprim17ROCPRIM_400000_NS6detail17trampoline_kernelINS0_14default_configENS1_35radix_sort_onesweep_config_selectorItNS0_10empty_typeEEEZZNS1_29radix_sort_onesweep_iterationIS3_Lb0EPKtPtPS5_SB_mNS0_19identity_decomposerENS1_16block_id_wrapperIjLb0EEEEE10hipError_tT1_PNSt15iterator_traitsISG_E10value_typeET2_T3_PNSH_ISM_E10value_typeET4_T5_PSR_SS_PNS1_23onesweep_lookback_stateEbbT6_jjT7_P12ihipStream_tbENKUlT_T0_SG_SL_E_clIS9_SA_SB_SB_EEDaSZ_S10_SG_SL_EUlSZ_E_NS1_11comp_targetILNS1_3genE4ELNS1_11target_archE910ELNS1_3gpuE8ELNS1_3repE0EEENS1_47radix_sort_onesweep_sort_config_static_selectorELNS0_4arch9wavefront6targetE0EEEvSG_,"axG",@progbits,_ZN7rocprim17ROCPRIM_400000_NS6detail17trampoline_kernelINS0_14default_configENS1_35radix_sort_onesweep_config_selectorItNS0_10empty_typeEEEZZNS1_29radix_sort_onesweep_iterationIS3_Lb0EPKtPtPS5_SB_mNS0_19identity_decomposerENS1_16block_id_wrapperIjLb0EEEEE10hipError_tT1_PNSt15iterator_traitsISG_E10value_typeET2_T3_PNSH_ISM_E10value_typeET4_T5_PSR_SS_PNS1_23onesweep_lookback_stateEbbT6_jjT7_P12ihipStream_tbENKUlT_T0_SG_SL_E_clIS9_SA_SB_SB_EEDaSZ_S10_SG_SL_EUlSZ_E_NS1_11comp_targetILNS1_3genE4ELNS1_11target_archE910ELNS1_3gpuE8ELNS1_3repE0EEENS1_47radix_sort_onesweep_sort_config_static_selectorELNS0_4arch9wavefront6targetE0EEEvSG_,comdat
	.protected	_ZN7rocprim17ROCPRIM_400000_NS6detail17trampoline_kernelINS0_14default_configENS1_35radix_sort_onesweep_config_selectorItNS0_10empty_typeEEEZZNS1_29radix_sort_onesweep_iterationIS3_Lb0EPKtPtPS5_SB_mNS0_19identity_decomposerENS1_16block_id_wrapperIjLb0EEEEE10hipError_tT1_PNSt15iterator_traitsISG_E10value_typeET2_T3_PNSH_ISM_E10value_typeET4_T5_PSR_SS_PNS1_23onesweep_lookback_stateEbbT6_jjT7_P12ihipStream_tbENKUlT_T0_SG_SL_E_clIS9_SA_SB_SB_EEDaSZ_S10_SG_SL_EUlSZ_E_NS1_11comp_targetILNS1_3genE4ELNS1_11target_archE910ELNS1_3gpuE8ELNS1_3repE0EEENS1_47radix_sort_onesweep_sort_config_static_selectorELNS0_4arch9wavefront6targetE0EEEvSG_ ; -- Begin function _ZN7rocprim17ROCPRIM_400000_NS6detail17trampoline_kernelINS0_14default_configENS1_35radix_sort_onesweep_config_selectorItNS0_10empty_typeEEEZZNS1_29radix_sort_onesweep_iterationIS3_Lb0EPKtPtPS5_SB_mNS0_19identity_decomposerENS1_16block_id_wrapperIjLb0EEEEE10hipError_tT1_PNSt15iterator_traitsISG_E10value_typeET2_T3_PNSH_ISM_E10value_typeET4_T5_PSR_SS_PNS1_23onesweep_lookback_stateEbbT6_jjT7_P12ihipStream_tbENKUlT_T0_SG_SL_E_clIS9_SA_SB_SB_EEDaSZ_S10_SG_SL_EUlSZ_E_NS1_11comp_targetILNS1_3genE4ELNS1_11target_archE910ELNS1_3gpuE8ELNS1_3repE0EEENS1_47radix_sort_onesweep_sort_config_static_selectorELNS0_4arch9wavefront6targetE0EEEvSG_
	.globl	_ZN7rocprim17ROCPRIM_400000_NS6detail17trampoline_kernelINS0_14default_configENS1_35radix_sort_onesweep_config_selectorItNS0_10empty_typeEEEZZNS1_29radix_sort_onesweep_iterationIS3_Lb0EPKtPtPS5_SB_mNS0_19identity_decomposerENS1_16block_id_wrapperIjLb0EEEEE10hipError_tT1_PNSt15iterator_traitsISG_E10value_typeET2_T3_PNSH_ISM_E10value_typeET4_T5_PSR_SS_PNS1_23onesweep_lookback_stateEbbT6_jjT7_P12ihipStream_tbENKUlT_T0_SG_SL_E_clIS9_SA_SB_SB_EEDaSZ_S10_SG_SL_EUlSZ_E_NS1_11comp_targetILNS1_3genE4ELNS1_11target_archE910ELNS1_3gpuE8ELNS1_3repE0EEENS1_47radix_sort_onesweep_sort_config_static_selectorELNS0_4arch9wavefront6targetE0EEEvSG_
	.p2align	8
	.type	_ZN7rocprim17ROCPRIM_400000_NS6detail17trampoline_kernelINS0_14default_configENS1_35radix_sort_onesweep_config_selectorItNS0_10empty_typeEEEZZNS1_29radix_sort_onesweep_iterationIS3_Lb0EPKtPtPS5_SB_mNS0_19identity_decomposerENS1_16block_id_wrapperIjLb0EEEEE10hipError_tT1_PNSt15iterator_traitsISG_E10value_typeET2_T3_PNSH_ISM_E10value_typeET4_T5_PSR_SS_PNS1_23onesweep_lookback_stateEbbT6_jjT7_P12ihipStream_tbENKUlT_T0_SG_SL_E_clIS9_SA_SB_SB_EEDaSZ_S10_SG_SL_EUlSZ_E_NS1_11comp_targetILNS1_3genE4ELNS1_11target_archE910ELNS1_3gpuE8ELNS1_3repE0EEENS1_47radix_sort_onesweep_sort_config_static_selectorELNS0_4arch9wavefront6targetE0EEEvSG_,@function
_ZN7rocprim17ROCPRIM_400000_NS6detail17trampoline_kernelINS0_14default_configENS1_35radix_sort_onesweep_config_selectorItNS0_10empty_typeEEEZZNS1_29radix_sort_onesweep_iterationIS3_Lb0EPKtPtPS5_SB_mNS0_19identity_decomposerENS1_16block_id_wrapperIjLb0EEEEE10hipError_tT1_PNSt15iterator_traitsISG_E10value_typeET2_T3_PNSH_ISM_E10value_typeET4_T5_PSR_SS_PNS1_23onesweep_lookback_stateEbbT6_jjT7_P12ihipStream_tbENKUlT_T0_SG_SL_E_clIS9_SA_SB_SB_EEDaSZ_S10_SG_SL_EUlSZ_E_NS1_11comp_targetILNS1_3genE4ELNS1_11target_archE910ELNS1_3gpuE8ELNS1_3repE0EEENS1_47radix_sort_onesweep_sort_config_static_selectorELNS0_4arch9wavefront6targetE0EEEvSG_: ; @_ZN7rocprim17ROCPRIM_400000_NS6detail17trampoline_kernelINS0_14default_configENS1_35radix_sort_onesweep_config_selectorItNS0_10empty_typeEEEZZNS1_29radix_sort_onesweep_iterationIS3_Lb0EPKtPtPS5_SB_mNS0_19identity_decomposerENS1_16block_id_wrapperIjLb0EEEEE10hipError_tT1_PNSt15iterator_traitsISG_E10value_typeET2_T3_PNSH_ISM_E10value_typeET4_T5_PSR_SS_PNS1_23onesweep_lookback_stateEbbT6_jjT7_P12ihipStream_tbENKUlT_T0_SG_SL_E_clIS9_SA_SB_SB_EEDaSZ_S10_SG_SL_EUlSZ_E_NS1_11comp_targetILNS1_3genE4ELNS1_11target_archE910ELNS1_3gpuE8ELNS1_3repE0EEENS1_47radix_sort_onesweep_sort_config_static_selectorELNS0_4arch9wavefront6targetE0EEEvSG_
; %bb.0:
	.section	.rodata,"a",@progbits
	.p2align	6, 0x0
	.amdhsa_kernel _ZN7rocprim17ROCPRIM_400000_NS6detail17trampoline_kernelINS0_14default_configENS1_35radix_sort_onesweep_config_selectorItNS0_10empty_typeEEEZZNS1_29radix_sort_onesweep_iterationIS3_Lb0EPKtPtPS5_SB_mNS0_19identity_decomposerENS1_16block_id_wrapperIjLb0EEEEE10hipError_tT1_PNSt15iterator_traitsISG_E10value_typeET2_T3_PNSH_ISM_E10value_typeET4_T5_PSR_SS_PNS1_23onesweep_lookback_stateEbbT6_jjT7_P12ihipStream_tbENKUlT_T0_SG_SL_E_clIS9_SA_SB_SB_EEDaSZ_S10_SG_SL_EUlSZ_E_NS1_11comp_targetILNS1_3genE4ELNS1_11target_archE910ELNS1_3gpuE8ELNS1_3repE0EEENS1_47radix_sort_onesweep_sort_config_static_selectorELNS0_4arch9wavefront6targetE0EEEvSG_
		.amdhsa_group_segment_fixed_size 0
		.amdhsa_private_segment_fixed_size 0
		.amdhsa_kernarg_size 88
		.amdhsa_user_sgpr_count 2
		.amdhsa_user_sgpr_dispatch_ptr 0
		.amdhsa_user_sgpr_queue_ptr 0
		.amdhsa_user_sgpr_kernarg_segment_ptr 1
		.amdhsa_user_sgpr_dispatch_id 0
		.amdhsa_user_sgpr_kernarg_preload_length 0
		.amdhsa_user_sgpr_kernarg_preload_offset 0
		.amdhsa_user_sgpr_private_segment_size 0
		.amdhsa_wavefront_size32 1
		.amdhsa_uses_dynamic_stack 0
		.amdhsa_enable_private_segment 0
		.amdhsa_system_sgpr_workgroup_id_x 1
		.amdhsa_system_sgpr_workgroup_id_y 0
		.amdhsa_system_sgpr_workgroup_id_z 0
		.amdhsa_system_sgpr_workgroup_info 0
		.amdhsa_system_vgpr_workitem_id 0
		.amdhsa_next_free_vgpr 1
		.amdhsa_next_free_sgpr 1
		.amdhsa_named_barrier_count 0
		.amdhsa_reserve_vcc 0
		.amdhsa_float_round_mode_32 0
		.amdhsa_float_round_mode_16_64 0
		.amdhsa_float_denorm_mode_32 3
		.amdhsa_float_denorm_mode_16_64 3
		.amdhsa_fp16_overflow 0
		.amdhsa_memory_ordered 1
		.amdhsa_forward_progress 1
		.amdhsa_inst_pref_size 0
		.amdhsa_round_robin_scheduling 0
		.amdhsa_exception_fp_ieee_invalid_op 0
		.amdhsa_exception_fp_denorm_src 0
		.amdhsa_exception_fp_ieee_div_zero 0
		.amdhsa_exception_fp_ieee_overflow 0
		.amdhsa_exception_fp_ieee_underflow 0
		.amdhsa_exception_fp_ieee_inexact 0
		.amdhsa_exception_int_div_zero 0
	.end_amdhsa_kernel
	.section	.text._ZN7rocprim17ROCPRIM_400000_NS6detail17trampoline_kernelINS0_14default_configENS1_35radix_sort_onesweep_config_selectorItNS0_10empty_typeEEEZZNS1_29radix_sort_onesweep_iterationIS3_Lb0EPKtPtPS5_SB_mNS0_19identity_decomposerENS1_16block_id_wrapperIjLb0EEEEE10hipError_tT1_PNSt15iterator_traitsISG_E10value_typeET2_T3_PNSH_ISM_E10value_typeET4_T5_PSR_SS_PNS1_23onesweep_lookback_stateEbbT6_jjT7_P12ihipStream_tbENKUlT_T0_SG_SL_E_clIS9_SA_SB_SB_EEDaSZ_S10_SG_SL_EUlSZ_E_NS1_11comp_targetILNS1_3genE4ELNS1_11target_archE910ELNS1_3gpuE8ELNS1_3repE0EEENS1_47radix_sort_onesweep_sort_config_static_selectorELNS0_4arch9wavefront6targetE0EEEvSG_,"axG",@progbits,_ZN7rocprim17ROCPRIM_400000_NS6detail17trampoline_kernelINS0_14default_configENS1_35radix_sort_onesweep_config_selectorItNS0_10empty_typeEEEZZNS1_29radix_sort_onesweep_iterationIS3_Lb0EPKtPtPS5_SB_mNS0_19identity_decomposerENS1_16block_id_wrapperIjLb0EEEEE10hipError_tT1_PNSt15iterator_traitsISG_E10value_typeET2_T3_PNSH_ISM_E10value_typeET4_T5_PSR_SS_PNS1_23onesweep_lookback_stateEbbT6_jjT7_P12ihipStream_tbENKUlT_T0_SG_SL_E_clIS9_SA_SB_SB_EEDaSZ_S10_SG_SL_EUlSZ_E_NS1_11comp_targetILNS1_3genE4ELNS1_11target_archE910ELNS1_3gpuE8ELNS1_3repE0EEENS1_47radix_sort_onesweep_sort_config_static_selectorELNS0_4arch9wavefront6targetE0EEEvSG_,comdat
.Lfunc_end2519:
	.size	_ZN7rocprim17ROCPRIM_400000_NS6detail17trampoline_kernelINS0_14default_configENS1_35radix_sort_onesweep_config_selectorItNS0_10empty_typeEEEZZNS1_29radix_sort_onesweep_iterationIS3_Lb0EPKtPtPS5_SB_mNS0_19identity_decomposerENS1_16block_id_wrapperIjLb0EEEEE10hipError_tT1_PNSt15iterator_traitsISG_E10value_typeET2_T3_PNSH_ISM_E10value_typeET4_T5_PSR_SS_PNS1_23onesweep_lookback_stateEbbT6_jjT7_P12ihipStream_tbENKUlT_T0_SG_SL_E_clIS9_SA_SB_SB_EEDaSZ_S10_SG_SL_EUlSZ_E_NS1_11comp_targetILNS1_3genE4ELNS1_11target_archE910ELNS1_3gpuE8ELNS1_3repE0EEENS1_47radix_sort_onesweep_sort_config_static_selectorELNS0_4arch9wavefront6targetE0EEEvSG_, .Lfunc_end2519-_ZN7rocprim17ROCPRIM_400000_NS6detail17trampoline_kernelINS0_14default_configENS1_35radix_sort_onesweep_config_selectorItNS0_10empty_typeEEEZZNS1_29radix_sort_onesweep_iterationIS3_Lb0EPKtPtPS5_SB_mNS0_19identity_decomposerENS1_16block_id_wrapperIjLb0EEEEE10hipError_tT1_PNSt15iterator_traitsISG_E10value_typeET2_T3_PNSH_ISM_E10value_typeET4_T5_PSR_SS_PNS1_23onesweep_lookback_stateEbbT6_jjT7_P12ihipStream_tbENKUlT_T0_SG_SL_E_clIS9_SA_SB_SB_EEDaSZ_S10_SG_SL_EUlSZ_E_NS1_11comp_targetILNS1_3genE4ELNS1_11target_archE910ELNS1_3gpuE8ELNS1_3repE0EEENS1_47radix_sort_onesweep_sort_config_static_selectorELNS0_4arch9wavefront6targetE0EEEvSG_
                                        ; -- End function
	.set _ZN7rocprim17ROCPRIM_400000_NS6detail17trampoline_kernelINS0_14default_configENS1_35radix_sort_onesweep_config_selectorItNS0_10empty_typeEEEZZNS1_29radix_sort_onesweep_iterationIS3_Lb0EPKtPtPS5_SB_mNS0_19identity_decomposerENS1_16block_id_wrapperIjLb0EEEEE10hipError_tT1_PNSt15iterator_traitsISG_E10value_typeET2_T3_PNSH_ISM_E10value_typeET4_T5_PSR_SS_PNS1_23onesweep_lookback_stateEbbT6_jjT7_P12ihipStream_tbENKUlT_T0_SG_SL_E_clIS9_SA_SB_SB_EEDaSZ_S10_SG_SL_EUlSZ_E_NS1_11comp_targetILNS1_3genE4ELNS1_11target_archE910ELNS1_3gpuE8ELNS1_3repE0EEENS1_47radix_sort_onesweep_sort_config_static_selectorELNS0_4arch9wavefront6targetE0EEEvSG_.num_vgpr, 0
	.set _ZN7rocprim17ROCPRIM_400000_NS6detail17trampoline_kernelINS0_14default_configENS1_35radix_sort_onesweep_config_selectorItNS0_10empty_typeEEEZZNS1_29radix_sort_onesweep_iterationIS3_Lb0EPKtPtPS5_SB_mNS0_19identity_decomposerENS1_16block_id_wrapperIjLb0EEEEE10hipError_tT1_PNSt15iterator_traitsISG_E10value_typeET2_T3_PNSH_ISM_E10value_typeET4_T5_PSR_SS_PNS1_23onesweep_lookback_stateEbbT6_jjT7_P12ihipStream_tbENKUlT_T0_SG_SL_E_clIS9_SA_SB_SB_EEDaSZ_S10_SG_SL_EUlSZ_E_NS1_11comp_targetILNS1_3genE4ELNS1_11target_archE910ELNS1_3gpuE8ELNS1_3repE0EEENS1_47radix_sort_onesweep_sort_config_static_selectorELNS0_4arch9wavefront6targetE0EEEvSG_.num_agpr, 0
	.set _ZN7rocprim17ROCPRIM_400000_NS6detail17trampoline_kernelINS0_14default_configENS1_35radix_sort_onesweep_config_selectorItNS0_10empty_typeEEEZZNS1_29radix_sort_onesweep_iterationIS3_Lb0EPKtPtPS5_SB_mNS0_19identity_decomposerENS1_16block_id_wrapperIjLb0EEEEE10hipError_tT1_PNSt15iterator_traitsISG_E10value_typeET2_T3_PNSH_ISM_E10value_typeET4_T5_PSR_SS_PNS1_23onesweep_lookback_stateEbbT6_jjT7_P12ihipStream_tbENKUlT_T0_SG_SL_E_clIS9_SA_SB_SB_EEDaSZ_S10_SG_SL_EUlSZ_E_NS1_11comp_targetILNS1_3genE4ELNS1_11target_archE910ELNS1_3gpuE8ELNS1_3repE0EEENS1_47radix_sort_onesweep_sort_config_static_selectorELNS0_4arch9wavefront6targetE0EEEvSG_.numbered_sgpr, 0
	.set _ZN7rocprim17ROCPRIM_400000_NS6detail17trampoline_kernelINS0_14default_configENS1_35radix_sort_onesweep_config_selectorItNS0_10empty_typeEEEZZNS1_29radix_sort_onesweep_iterationIS3_Lb0EPKtPtPS5_SB_mNS0_19identity_decomposerENS1_16block_id_wrapperIjLb0EEEEE10hipError_tT1_PNSt15iterator_traitsISG_E10value_typeET2_T3_PNSH_ISM_E10value_typeET4_T5_PSR_SS_PNS1_23onesweep_lookback_stateEbbT6_jjT7_P12ihipStream_tbENKUlT_T0_SG_SL_E_clIS9_SA_SB_SB_EEDaSZ_S10_SG_SL_EUlSZ_E_NS1_11comp_targetILNS1_3genE4ELNS1_11target_archE910ELNS1_3gpuE8ELNS1_3repE0EEENS1_47radix_sort_onesweep_sort_config_static_selectorELNS0_4arch9wavefront6targetE0EEEvSG_.num_named_barrier, 0
	.set _ZN7rocprim17ROCPRIM_400000_NS6detail17trampoline_kernelINS0_14default_configENS1_35radix_sort_onesweep_config_selectorItNS0_10empty_typeEEEZZNS1_29radix_sort_onesweep_iterationIS3_Lb0EPKtPtPS5_SB_mNS0_19identity_decomposerENS1_16block_id_wrapperIjLb0EEEEE10hipError_tT1_PNSt15iterator_traitsISG_E10value_typeET2_T3_PNSH_ISM_E10value_typeET4_T5_PSR_SS_PNS1_23onesweep_lookback_stateEbbT6_jjT7_P12ihipStream_tbENKUlT_T0_SG_SL_E_clIS9_SA_SB_SB_EEDaSZ_S10_SG_SL_EUlSZ_E_NS1_11comp_targetILNS1_3genE4ELNS1_11target_archE910ELNS1_3gpuE8ELNS1_3repE0EEENS1_47radix_sort_onesweep_sort_config_static_selectorELNS0_4arch9wavefront6targetE0EEEvSG_.private_seg_size, 0
	.set _ZN7rocprim17ROCPRIM_400000_NS6detail17trampoline_kernelINS0_14default_configENS1_35radix_sort_onesweep_config_selectorItNS0_10empty_typeEEEZZNS1_29radix_sort_onesweep_iterationIS3_Lb0EPKtPtPS5_SB_mNS0_19identity_decomposerENS1_16block_id_wrapperIjLb0EEEEE10hipError_tT1_PNSt15iterator_traitsISG_E10value_typeET2_T3_PNSH_ISM_E10value_typeET4_T5_PSR_SS_PNS1_23onesweep_lookback_stateEbbT6_jjT7_P12ihipStream_tbENKUlT_T0_SG_SL_E_clIS9_SA_SB_SB_EEDaSZ_S10_SG_SL_EUlSZ_E_NS1_11comp_targetILNS1_3genE4ELNS1_11target_archE910ELNS1_3gpuE8ELNS1_3repE0EEENS1_47radix_sort_onesweep_sort_config_static_selectorELNS0_4arch9wavefront6targetE0EEEvSG_.uses_vcc, 0
	.set _ZN7rocprim17ROCPRIM_400000_NS6detail17trampoline_kernelINS0_14default_configENS1_35radix_sort_onesweep_config_selectorItNS0_10empty_typeEEEZZNS1_29radix_sort_onesweep_iterationIS3_Lb0EPKtPtPS5_SB_mNS0_19identity_decomposerENS1_16block_id_wrapperIjLb0EEEEE10hipError_tT1_PNSt15iterator_traitsISG_E10value_typeET2_T3_PNSH_ISM_E10value_typeET4_T5_PSR_SS_PNS1_23onesweep_lookback_stateEbbT6_jjT7_P12ihipStream_tbENKUlT_T0_SG_SL_E_clIS9_SA_SB_SB_EEDaSZ_S10_SG_SL_EUlSZ_E_NS1_11comp_targetILNS1_3genE4ELNS1_11target_archE910ELNS1_3gpuE8ELNS1_3repE0EEENS1_47radix_sort_onesweep_sort_config_static_selectorELNS0_4arch9wavefront6targetE0EEEvSG_.uses_flat_scratch, 0
	.set _ZN7rocprim17ROCPRIM_400000_NS6detail17trampoline_kernelINS0_14default_configENS1_35radix_sort_onesweep_config_selectorItNS0_10empty_typeEEEZZNS1_29radix_sort_onesweep_iterationIS3_Lb0EPKtPtPS5_SB_mNS0_19identity_decomposerENS1_16block_id_wrapperIjLb0EEEEE10hipError_tT1_PNSt15iterator_traitsISG_E10value_typeET2_T3_PNSH_ISM_E10value_typeET4_T5_PSR_SS_PNS1_23onesweep_lookback_stateEbbT6_jjT7_P12ihipStream_tbENKUlT_T0_SG_SL_E_clIS9_SA_SB_SB_EEDaSZ_S10_SG_SL_EUlSZ_E_NS1_11comp_targetILNS1_3genE4ELNS1_11target_archE910ELNS1_3gpuE8ELNS1_3repE0EEENS1_47radix_sort_onesweep_sort_config_static_selectorELNS0_4arch9wavefront6targetE0EEEvSG_.has_dyn_sized_stack, 0
	.set _ZN7rocprim17ROCPRIM_400000_NS6detail17trampoline_kernelINS0_14default_configENS1_35radix_sort_onesweep_config_selectorItNS0_10empty_typeEEEZZNS1_29radix_sort_onesweep_iterationIS3_Lb0EPKtPtPS5_SB_mNS0_19identity_decomposerENS1_16block_id_wrapperIjLb0EEEEE10hipError_tT1_PNSt15iterator_traitsISG_E10value_typeET2_T3_PNSH_ISM_E10value_typeET4_T5_PSR_SS_PNS1_23onesweep_lookback_stateEbbT6_jjT7_P12ihipStream_tbENKUlT_T0_SG_SL_E_clIS9_SA_SB_SB_EEDaSZ_S10_SG_SL_EUlSZ_E_NS1_11comp_targetILNS1_3genE4ELNS1_11target_archE910ELNS1_3gpuE8ELNS1_3repE0EEENS1_47radix_sort_onesweep_sort_config_static_selectorELNS0_4arch9wavefront6targetE0EEEvSG_.has_recursion, 0
	.set _ZN7rocprim17ROCPRIM_400000_NS6detail17trampoline_kernelINS0_14default_configENS1_35radix_sort_onesweep_config_selectorItNS0_10empty_typeEEEZZNS1_29radix_sort_onesweep_iterationIS3_Lb0EPKtPtPS5_SB_mNS0_19identity_decomposerENS1_16block_id_wrapperIjLb0EEEEE10hipError_tT1_PNSt15iterator_traitsISG_E10value_typeET2_T3_PNSH_ISM_E10value_typeET4_T5_PSR_SS_PNS1_23onesweep_lookback_stateEbbT6_jjT7_P12ihipStream_tbENKUlT_T0_SG_SL_E_clIS9_SA_SB_SB_EEDaSZ_S10_SG_SL_EUlSZ_E_NS1_11comp_targetILNS1_3genE4ELNS1_11target_archE910ELNS1_3gpuE8ELNS1_3repE0EEENS1_47radix_sort_onesweep_sort_config_static_selectorELNS0_4arch9wavefront6targetE0EEEvSG_.has_indirect_call, 0
	.section	.AMDGPU.csdata,"",@progbits
; Kernel info:
; codeLenInByte = 0
; TotalNumSgprs: 0
; NumVgprs: 0
; ScratchSize: 0
; MemoryBound: 0
; FloatMode: 240
; IeeeMode: 1
; LDSByteSize: 0 bytes/workgroup (compile time only)
; SGPRBlocks: 0
; VGPRBlocks: 0
; NumSGPRsForWavesPerEU: 1
; NumVGPRsForWavesPerEU: 1
; NamedBarCnt: 0
; Occupancy: 16
; WaveLimiterHint : 0
; COMPUTE_PGM_RSRC2:SCRATCH_EN: 0
; COMPUTE_PGM_RSRC2:USER_SGPR: 2
; COMPUTE_PGM_RSRC2:TRAP_HANDLER: 0
; COMPUTE_PGM_RSRC2:TGID_X_EN: 1
; COMPUTE_PGM_RSRC2:TGID_Y_EN: 0
; COMPUTE_PGM_RSRC2:TGID_Z_EN: 0
; COMPUTE_PGM_RSRC2:TIDIG_COMP_CNT: 0
	.section	.text._ZN7rocprim17ROCPRIM_400000_NS6detail17trampoline_kernelINS0_14default_configENS1_35radix_sort_onesweep_config_selectorItNS0_10empty_typeEEEZZNS1_29radix_sort_onesweep_iterationIS3_Lb0EPKtPtPS5_SB_mNS0_19identity_decomposerENS1_16block_id_wrapperIjLb0EEEEE10hipError_tT1_PNSt15iterator_traitsISG_E10value_typeET2_T3_PNSH_ISM_E10value_typeET4_T5_PSR_SS_PNS1_23onesweep_lookback_stateEbbT6_jjT7_P12ihipStream_tbENKUlT_T0_SG_SL_E_clIS9_SA_SB_SB_EEDaSZ_S10_SG_SL_EUlSZ_E_NS1_11comp_targetILNS1_3genE3ELNS1_11target_archE908ELNS1_3gpuE7ELNS1_3repE0EEENS1_47radix_sort_onesweep_sort_config_static_selectorELNS0_4arch9wavefront6targetE0EEEvSG_,"axG",@progbits,_ZN7rocprim17ROCPRIM_400000_NS6detail17trampoline_kernelINS0_14default_configENS1_35radix_sort_onesweep_config_selectorItNS0_10empty_typeEEEZZNS1_29radix_sort_onesweep_iterationIS3_Lb0EPKtPtPS5_SB_mNS0_19identity_decomposerENS1_16block_id_wrapperIjLb0EEEEE10hipError_tT1_PNSt15iterator_traitsISG_E10value_typeET2_T3_PNSH_ISM_E10value_typeET4_T5_PSR_SS_PNS1_23onesweep_lookback_stateEbbT6_jjT7_P12ihipStream_tbENKUlT_T0_SG_SL_E_clIS9_SA_SB_SB_EEDaSZ_S10_SG_SL_EUlSZ_E_NS1_11comp_targetILNS1_3genE3ELNS1_11target_archE908ELNS1_3gpuE7ELNS1_3repE0EEENS1_47radix_sort_onesweep_sort_config_static_selectorELNS0_4arch9wavefront6targetE0EEEvSG_,comdat
	.protected	_ZN7rocprim17ROCPRIM_400000_NS6detail17trampoline_kernelINS0_14default_configENS1_35radix_sort_onesweep_config_selectorItNS0_10empty_typeEEEZZNS1_29radix_sort_onesweep_iterationIS3_Lb0EPKtPtPS5_SB_mNS0_19identity_decomposerENS1_16block_id_wrapperIjLb0EEEEE10hipError_tT1_PNSt15iterator_traitsISG_E10value_typeET2_T3_PNSH_ISM_E10value_typeET4_T5_PSR_SS_PNS1_23onesweep_lookback_stateEbbT6_jjT7_P12ihipStream_tbENKUlT_T0_SG_SL_E_clIS9_SA_SB_SB_EEDaSZ_S10_SG_SL_EUlSZ_E_NS1_11comp_targetILNS1_3genE3ELNS1_11target_archE908ELNS1_3gpuE7ELNS1_3repE0EEENS1_47radix_sort_onesweep_sort_config_static_selectorELNS0_4arch9wavefront6targetE0EEEvSG_ ; -- Begin function _ZN7rocprim17ROCPRIM_400000_NS6detail17trampoline_kernelINS0_14default_configENS1_35radix_sort_onesweep_config_selectorItNS0_10empty_typeEEEZZNS1_29radix_sort_onesweep_iterationIS3_Lb0EPKtPtPS5_SB_mNS0_19identity_decomposerENS1_16block_id_wrapperIjLb0EEEEE10hipError_tT1_PNSt15iterator_traitsISG_E10value_typeET2_T3_PNSH_ISM_E10value_typeET4_T5_PSR_SS_PNS1_23onesweep_lookback_stateEbbT6_jjT7_P12ihipStream_tbENKUlT_T0_SG_SL_E_clIS9_SA_SB_SB_EEDaSZ_S10_SG_SL_EUlSZ_E_NS1_11comp_targetILNS1_3genE3ELNS1_11target_archE908ELNS1_3gpuE7ELNS1_3repE0EEENS1_47radix_sort_onesweep_sort_config_static_selectorELNS0_4arch9wavefront6targetE0EEEvSG_
	.globl	_ZN7rocprim17ROCPRIM_400000_NS6detail17trampoline_kernelINS0_14default_configENS1_35radix_sort_onesweep_config_selectorItNS0_10empty_typeEEEZZNS1_29radix_sort_onesweep_iterationIS3_Lb0EPKtPtPS5_SB_mNS0_19identity_decomposerENS1_16block_id_wrapperIjLb0EEEEE10hipError_tT1_PNSt15iterator_traitsISG_E10value_typeET2_T3_PNSH_ISM_E10value_typeET4_T5_PSR_SS_PNS1_23onesweep_lookback_stateEbbT6_jjT7_P12ihipStream_tbENKUlT_T0_SG_SL_E_clIS9_SA_SB_SB_EEDaSZ_S10_SG_SL_EUlSZ_E_NS1_11comp_targetILNS1_3genE3ELNS1_11target_archE908ELNS1_3gpuE7ELNS1_3repE0EEENS1_47radix_sort_onesweep_sort_config_static_selectorELNS0_4arch9wavefront6targetE0EEEvSG_
	.p2align	8
	.type	_ZN7rocprim17ROCPRIM_400000_NS6detail17trampoline_kernelINS0_14default_configENS1_35radix_sort_onesweep_config_selectorItNS0_10empty_typeEEEZZNS1_29radix_sort_onesweep_iterationIS3_Lb0EPKtPtPS5_SB_mNS0_19identity_decomposerENS1_16block_id_wrapperIjLb0EEEEE10hipError_tT1_PNSt15iterator_traitsISG_E10value_typeET2_T3_PNSH_ISM_E10value_typeET4_T5_PSR_SS_PNS1_23onesweep_lookback_stateEbbT6_jjT7_P12ihipStream_tbENKUlT_T0_SG_SL_E_clIS9_SA_SB_SB_EEDaSZ_S10_SG_SL_EUlSZ_E_NS1_11comp_targetILNS1_3genE3ELNS1_11target_archE908ELNS1_3gpuE7ELNS1_3repE0EEENS1_47radix_sort_onesweep_sort_config_static_selectorELNS0_4arch9wavefront6targetE0EEEvSG_,@function
_ZN7rocprim17ROCPRIM_400000_NS6detail17trampoline_kernelINS0_14default_configENS1_35radix_sort_onesweep_config_selectorItNS0_10empty_typeEEEZZNS1_29radix_sort_onesweep_iterationIS3_Lb0EPKtPtPS5_SB_mNS0_19identity_decomposerENS1_16block_id_wrapperIjLb0EEEEE10hipError_tT1_PNSt15iterator_traitsISG_E10value_typeET2_T3_PNSH_ISM_E10value_typeET4_T5_PSR_SS_PNS1_23onesweep_lookback_stateEbbT6_jjT7_P12ihipStream_tbENKUlT_T0_SG_SL_E_clIS9_SA_SB_SB_EEDaSZ_S10_SG_SL_EUlSZ_E_NS1_11comp_targetILNS1_3genE3ELNS1_11target_archE908ELNS1_3gpuE7ELNS1_3repE0EEENS1_47radix_sort_onesweep_sort_config_static_selectorELNS0_4arch9wavefront6targetE0EEEvSG_: ; @_ZN7rocprim17ROCPRIM_400000_NS6detail17trampoline_kernelINS0_14default_configENS1_35radix_sort_onesweep_config_selectorItNS0_10empty_typeEEEZZNS1_29radix_sort_onesweep_iterationIS3_Lb0EPKtPtPS5_SB_mNS0_19identity_decomposerENS1_16block_id_wrapperIjLb0EEEEE10hipError_tT1_PNSt15iterator_traitsISG_E10value_typeET2_T3_PNSH_ISM_E10value_typeET4_T5_PSR_SS_PNS1_23onesweep_lookback_stateEbbT6_jjT7_P12ihipStream_tbENKUlT_T0_SG_SL_E_clIS9_SA_SB_SB_EEDaSZ_S10_SG_SL_EUlSZ_E_NS1_11comp_targetILNS1_3genE3ELNS1_11target_archE908ELNS1_3gpuE7ELNS1_3repE0EEENS1_47radix_sort_onesweep_sort_config_static_selectorELNS0_4arch9wavefront6targetE0EEEvSG_
; %bb.0:
	.section	.rodata,"a",@progbits
	.p2align	6, 0x0
	.amdhsa_kernel _ZN7rocprim17ROCPRIM_400000_NS6detail17trampoline_kernelINS0_14default_configENS1_35radix_sort_onesweep_config_selectorItNS0_10empty_typeEEEZZNS1_29radix_sort_onesweep_iterationIS3_Lb0EPKtPtPS5_SB_mNS0_19identity_decomposerENS1_16block_id_wrapperIjLb0EEEEE10hipError_tT1_PNSt15iterator_traitsISG_E10value_typeET2_T3_PNSH_ISM_E10value_typeET4_T5_PSR_SS_PNS1_23onesweep_lookback_stateEbbT6_jjT7_P12ihipStream_tbENKUlT_T0_SG_SL_E_clIS9_SA_SB_SB_EEDaSZ_S10_SG_SL_EUlSZ_E_NS1_11comp_targetILNS1_3genE3ELNS1_11target_archE908ELNS1_3gpuE7ELNS1_3repE0EEENS1_47radix_sort_onesweep_sort_config_static_selectorELNS0_4arch9wavefront6targetE0EEEvSG_
		.amdhsa_group_segment_fixed_size 0
		.amdhsa_private_segment_fixed_size 0
		.amdhsa_kernarg_size 88
		.amdhsa_user_sgpr_count 2
		.amdhsa_user_sgpr_dispatch_ptr 0
		.amdhsa_user_sgpr_queue_ptr 0
		.amdhsa_user_sgpr_kernarg_segment_ptr 1
		.amdhsa_user_sgpr_dispatch_id 0
		.amdhsa_user_sgpr_kernarg_preload_length 0
		.amdhsa_user_sgpr_kernarg_preload_offset 0
		.amdhsa_user_sgpr_private_segment_size 0
		.amdhsa_wavefront_size32 1
		.amdhsa_uses_dynamic_stack 0
		.amdhsa_enable_private_segment 0
		.amdhsa_system_sgpr_workgroup_id_x 1
		.amdhsa_system_sgpr_workgroup_id_y 0
		.amdhsa_system_sgpr_workgroup_id_z 0
		.amdhsa_system_sgpr_workgroup_info 0
		.amdhsa_system_vgpr_workitem_id 0
		.amdhsa_next_free_vgpr 1
		.amdhsa_next_free_sgpr 1
		.amdhsa_named_barrier_count 0
		.amdhsa_reserve_vcc 0
		.amdhsa_float_round_mode_32 0
		.amdhsa_float_round_mode_16_64 0
		.amdhsa_float_denorm_mode_32 3
		.amdhsa_float_denorm_mode_16_64 3
		.amdhsa_fp16_overflow 0
		.amdhsa_memory_ordered 1
		.amdhsa_forward_progress 1
		.amdhsa_inst_pref_size 0
		.amdhsa_round_robin_scheduling 0
		.amdhsa_exception_fp_ieee_invalid_op 0
		.amdhsa_exception_fp_denorm_src 0
		.amdhsa_exception_fp_ieee_div_zero 0
		.amdhsa_exception_fp_ieee_overflow 0
		.amdhsa_exception_fp_ieee_underflow 0
		.amdhsa_exception_fp_ieee_inexact 0
		.amdhsa_exception_int_div_zero 0
	.end_amdhsa_kernel
	.section	.text._ZN7rocprim17ROCPRIM_400000_NS6detail17trampoline_kernelINS0_14default_configENS1_35radix_sort_onesweep_config_selectorItNS0_10empty_typeEEEZZNS1_29radix_sort_onesweep_iterationIS3_Lb0EPKtPtPS5_SB_mNS0_19identity_decomposerENS1_16block_id_wrapperIjLb0EEEEE10hipError_tT1_PNSt15iterator_traitsISG_E10value_typeET2_T3_PNSH_ISM_E10value_typeET4_T5_PSR_SS_PNS1_23onesweep_lookback_stateEbbT6_jjT7_P12ihipStream_tbENKUlT_T0_SG_SL_E_clIS9_SA_SB_SB_EEDaSZ_S10_SG_SL_EUlSZ_E_NS1_11comp_targetILNS1_3genE3ELNS1_11target_archE908ELNS1_3gpuE7ELNS1_3repE0EEENS1_47radix_sort_onesweep_sort_config_static_selectorELNS0_4arch9wavefront6targetE0EEEvSG_,"axG",@progbits,_ZN7rocprim17ROCPRIM_400000_NS6detail17trampoline_kernelINS0_14default_configENS1_35radix_sort_onesweep_config_selectorItNS0_10empty_typeEEEZZNS1_29radix_sort_onesweep_iterationIS3_Lb0EPKtPtPS5_SB_mNS0_19identity_decomposerENS1_16block_id_wrapperIjLb0EEEEE10hipError_tT1_PNSt15iterator_traitsISG_E10value_typeET2_T3_PNSH_ISM_E10value_typeET4_T5_PSR_SS_PNS1_23onesweep_lookback_stateEbbT6_jjT7_P12ihipStream_tbENKUlT_T0_SG_SL_E_clIS9_SA_SB_SB_EEDaSZ_S10_SG_SL_EUlSZ_E_NS1_11comp_targetILNS1_3genE3ELNS1_11target_archE908ELNS1_3gpuE7ELNS1_3repE0EEENS1_47radix_sort_onesweep_sort_config_static_selectorELNS0_4arch9wavefront6targetE0EEEvSG_,comdat
.Lfunc_end2520:
	.size	_ZN7rocprim17ROCPRIM_400000_NS6detail17trampoline_kernelINS0_14default_configENS1_35radix_sort_onesweep_config_selectorItNS0_10empty_typeEEEZZNS1_29radix_sort_onesweep_iterationIS3_Lb0EPKtPtPS5_SB_mNS0_19identity_decomposerENS1_16block_id_wrapperIjLb0EEEEE10hipError_tT1_PNSt15iterator_traitsISG_E10value_typeET2_T3_PNSH_ISM_E10value_typeET4_T5_PSR_SS_PNS1_23onesweep_lookback_stateEbbT6_jjT7_P12ihipStream_tbENKUlT_T0_SG_SL_E_clIS9_SA_SB_SB_EEDaSZ_S10_SG_SL_EUlSZ_E_NS1_11comp_targetILNS1_3genE3ELNS1_11target_archE908ELNS1_3gpuE7ELNS1_3repE0EEENS1_47radix_sort_onesweep_sort_config_static_selectorELNS0_4arch9wavefront6targetE0EEEvSG_, .Lfunc_end2520-_ZN7rocprim17ROCPRIM_400000_NS6detail17trampoline_kernelINS0_14default_configENS1_35radix_sort_onesweep_config_selectorItNS0_10empty_typeEEEZZNS1_29radix_sort_onesweep_iterationIS3_Lb0EPKtPtPS5_SB_mNS0_19identity_decomposerENS1_16block_id_wrapperIjLb0EEEEE10hipError_tT1_PNSt15iterator_traitsISG_E10value_typeET2_T3_PNSH_ISM_E10value_typeET4_T5_PSR_SS_PNS1_23onesweep_lookback_stateEbbT6_jjT7_P12ihipStream_tbENKUlT_T0_SG_SL_E_clIS9_SA_SB_SB_EEDaSZ_S10_SG_SL_EUlSZ_E_NS1_11comp_targetILNS1_3genE3ELNS1_11target_archE908ELNS1_3gpuE7ELNS1_3repE0EEENS1_47radix_sort_onesweep_sort_config_static_selectorELNS0_4arch9wavefront6targetE0EEEvSG_
                                        ; -- End function
	.set _ZN7rocprim17ROCPRIM_400000_NS6detail17trampoline_kernelINS0_14default_configENS1_35radix_sort_onesweep_config_selectorItNS0_10empty_typeEEEZZNS1_29radix_sort_onesweep_iterationIS3_Lb0EPKtPtPS5_SB_mNS0_19identity_decomposerENS1_16block_id_wrapperIjLb0EEEEE10hipError_tT1_PNSt15iterator_traitsISG_E10value_typeET2_T3_PNSH_ISM_E10value_typeET4_T5_PSR_SS_PNS1_23onesweep_lookback_stateEbbT6_jjT7_P12ihipStream_tbENKUlT_T0_SG_SL_E_clIS9_SA_SB_SB_EEDaSZ_S10_SG_SL_EUlSZ_E_NS1_11comp_targetILNS1_3genE3ELNS1_11target_archE908ELNS1_3gpuE7ELNS1_3repE0EEENS1_47radix_sort_onesweep_sort_config_static_selectorELNS0_4arch9wavefront6targetE0EEEvSG_.num_vgpr, 0
	.set _ZN7rocprim17ROCPRIM_400000_NS6detail17trampoline_kernelINS0_14default_configENS1_35radix_sort_onesweep_config_selectorItNS0_10empty_typeEEEZZNS1_29radix_sort_onesweep_iterationIS3_Lb0EPKtPtPS5_SB_mNS0_19identity_decomposerENS1_16block_id_wrapperIjLb0EEEEE10hipError_tT1_PNSt15iterator_traitsISG_E10value_typeET2_T3_PNSH_ISM_E10value_typeET4_T5_PSR_SS_PNS1_23onesweep_lookback_stateEbbT6_jjT7_P12ihipStream_tbENKUlT_T0_SG_SL_E_clIS9_SA_SB_SB_EEDaSZ_S10_SG_SL_EUlSZ_E_NS1_11comp_targetILNS1_3genE3ELNS1_11target_archE908ELNS1_3gpuE7ELNS1_3repE0EEENS1_47radix_sort_onesweep_sort_config_static_selectorELNS0_4arch9wavefront6targetE0EEEvSG_.num_agpr, 0
	.set _ZN7rocprim17ROCPRIM_400000_NS6detail17trampoline_kernelINS0_14default_configENS1_35radix_sort_onesweep_config_selectorItNS0_10empty_typeEEEZZNS1_29radix_sort_onesweep_iterationIS3_Lb0EPKtPtPS5_SB_mNS0_19identity_decomposerENS1_16block_id_wrapperIjLb0EEEEE10hipError_tT1_PNSt15iterator_traitsISG_E10value_typeET2_T3_PNSH_ISM_E10value_typeET4_T5_PSR_SS_PNS1_23onesweep_lookback_stateEbbT6_jjT7_P12ihipStream_tbENKUlT_T0_SG_SL_E_clIS9_SA_SB_SB_EEDaSZ_S10_SG_SL_EUlSZ_E_NS1_11comp_targetILNS1_3genE3ELNS1_11target_archE908ELNS1_3gpuE7ELNS1_3repE0EEENS1_47radix_sort_onesweep_sort_config_static_selectorELNS0_4arch9wavefront6targetE0EEEvSG_.numbered_sgpr, 0
	.set _ZN7rocprim17ROCPRIM_400000_NS6detail17trampoline_kernelINS0_14default_configENS1_35radix_sort_onesweep_config_selectorItNS0_10empty_typeEEEZZNS1_29radix_sort_onesweep_iterationIS3_Lb0EPKtPtPS5_SB_mNS0_19identity_decomposerENS1_16block_id_wrapperIjLb0EEEEE10hipError_tT1_PNSt15iterator_traitsISG_E10value_typeET2_T3_PNSH_ISM_E10value_typeET4_T5_PSR_SS_PNS1_23onesweep_lookback_stateEbbT6_jjT7_P12ihipStream_tbENKUlT_T0_SG_SL_E_clIS9_SA_SB_SB_EEDaSZ_S10_SG_SL_EUlSZ_E_NS1_11comp_targetILNS1_3genE3ELNS1_11target_archE908ELNS1_3gpuE7ELNS1_3repE0EEENS1_47radix_sort_onesweep_sort_config_static_selectorELNS0_4arch9wavefront6targetE0EEEvSG_.num_named_barrier, 0
	.set _ZN7rocprim17ROCPRIM_400000_NS6detail17trampoline_kernelINS0_14default_configENS1_35radix_sort_onesweep_config_selectorItNS0_10empty_typeEEEZZNS1_29radix_sort_onesweep_iterationIS3_Lb0EPKtPtPS5_SB_mNS0_19identity_decomposerENS1_16block_id_wrapperIjLb0EEEEE10hipError_tT1_PNSt15iterator_traitsISG_E10value_typeET2_T3_PNSH_ISM_E10value_typeET4_T5_PSR_SS_PNS1_23onesweep_lookback_stateEbbT6_jjT7_P12ihipStream_tbENKUlT_T0_SG_SL_E_clIS9_SA_SB_SB_EEDaSZ_S10_SG_SL_EUlSZ_E_NS1_11comp_targetILNS1_3genE3ELNS1_11target_archE908ELNS1_3gpuE7ELNS1_3repE0EEENS1_47radix_sort_onesweep_sort_config_static_selectorELNS0_4arch9wavefront6targetE0EEEvSG_.private_seg_size, 0
	.set _ZN7rocprim17ROCPRIM_400000_NS6detail17trampoline_kernelINS0_14default_configENS1_35radix_sort_onesweep_config_selectorItNS0_10empty_typeEEEZZNS1_29radix_sort_onesweep_iterationIS3_Lb0EPKtPtPS5_SB_mNS0_19identity_decomposerENS1_16block_id_wrapperIjLb0EEEEE10hipError_tT1_PNSt15iterator_traitsISG_E10value_typeET2_T3_PNSH_ISM_E10value_typeET4_T5_PSR_SS_PNS1_23onesweep_lookback_stateEbbT6_jjT7_P12ihipStream_tbENKUlT_T0_SG_SL_E_clIS9_SA_SB_SB_EEDaSZ_S10_SG_SL_EUlSZ_E_NS1_11comp_targetILNS1_3genE3ELNS1_11target_archE908ELNS1_3gpuE7ELNS1_3repE0EEENS1_47radix_sort_onesweep_sort_config_static_selectorELNS0_4arch9wavefront6targetE0EEEvSG_.uses_vcc, 0
	.set _ZN7rocprim17ROCPRIM_400000_NS6detail17trampoline_kernelINS0_14default_configENS1_35radix_sort_onesweep_config_selectorItNS0_10empty_typeEEEZZNS1_29radix_sort_onesweep_iterationIS3_Lb0EPKtPtPS5_SB_mNS0_19identity_decomposerENS1_16block_id_wrapperIjLb0EEEEE10hipError_tT1_PNSt15iterator_traitsISG_E10value_typeET2_T3_PNSH_ISM_E10value_typeET4_T5_PSR_SS_PNS1_23onesweep_lookback_stateEbbT6_jjT7_P12ihipStream_tbENKUlT_T0_SG_SL_E_clIS9_SA_SB_SB_EEDaSZ_S10_SG_SL_EUlSZ_E_NS1_11comp_targetILNS1_3genE3ELNS1_11target_archE908ELNS1_3gpuE7ELNS1_3repE0EEENS1_47radix_sort_onesweep_sort_config_static_selectorELNS0_4arch9wavefront6targetE0EEEvSG_.uses_flat_scratch, 0
	.set _ZN7rocprim17ROCPRIM_400000_NS6detail17trampoline_kernelINS0_14default_configENS1_35radix_sort_onesweep_config_selectorItNS0_10empty_typeEEEZZNS1_29radix_sort_onesweep_iterationIS3_Lb0EPKtPtPS5_SB_mNS0_19identity_decomposerENS1_16block_id_wrapperIjLb0EEEEE10hipError_tT1_PNSt15iterator_traitsISG_E10value_typeET2_T3_PNSH_ISM_E10value_typeET4_T5_PSR_SS_PNS1_23onesweep_lookback_stateEbbT6_jjT7_P12ihipStream_tbENKUlT_T0_SG_SL_E_clIS9_SA_SB_SB_EEDaSZ_S10_SG_SL_EUlSZ_E_NS1_11comp_targetILNS1_3genE3ELNS1_11target_archE908ELNS1_3gpuE7ELNS1_3repE0EEENS1_47radix_sort_onesweep_sort_config_static_selectorELNS0_4arch9wavefront6targetE0EEEvSG_.has_dyn_sized_stack, 0
	.set _ZN7rocprim17ROCPRIM_400000_NS6detail17trampoline_kernelINS0_14default_configENS1_35radix_sort_onesweep_config_selectorItNS0_10empty_typeEEEZZNS1_29radix_sort_onesweep_iterationIS3_Lb0EPKtPtPS5_SB_mNS0_19identity_decomposerENS1_16block_id_wrapperIjLb0EEEEE10hipError_tT1_PNSt15iterator_traitsISG_E10value_typeET2_T3_PNSH_ISM_E10value_typeET4_T5_PSR_SS_PNS1_23onesweep_lookback_stateEbbT6_jjT7_P12ihipStream_tbENKUlT_T0_SG_SL_E_clIS9_SA_SB_SB_EEDaSZ_S10_SG_SL_EUlSZ_E_NS1_11comp_targetILNS1_3genE3ELNS1_11target_archE908ELNS1_3gpuE7ELNS1_3repE0EEENS1_47radix_sort_onesweep_sort_config_static_selectorELNS0_4arch9wavefront6targetE0EEEvSG_.has_recursion, 0
	.set _ZN7rocprim17ROCPRIM_400000_NS6detail17trampoline_kernelINS0_14default_configENS1_35radix_sort_onesweep_config_selectorItNS0_10empty_typeEEEZZNS1_29radix_sort_onesweep_iterationIS3_Lb0EPKtPtPS5_SB_mNS0_19identity_decomposerENS1_16block_id_wrapperIjLb0EEEEE10hipError_tT1_PNSt15iterator_traitsISG_E10value_typeET2_T3_PNSH_ISM_E10value_typeET4_T5_PSR_SS_PNS1_23onesweep_lookback_stateEbbT6_jjT7_P12ihipStream_tbENKUlT_T0_SG_SL_E_clIS9_SA_SB_SB_EEDaSZ_S10_SG_SL_EUlSZ_E_NS1_11comp_targetILNS1_3genE3ELNS1_11target_archE908ELNS1_3gpuE7ELNS1_3repE0EEENS1_47radix_sort_onesweep_sort_config_static_selectorELNS0_4arch9wavefront6targetE0EEEvSG_.has_indirect_call, 0
	.section	.AMDGPU.csdata,"",@progbits
; Kernel info:
; codeLenInByte = 0
; TotalNumSgprs: 0
; NumVgprs: 0
; ScratchSize: 0
; MemoryBound: 0
; FloatMode: 240
; IeeeMode: 1
; LDSByteSize: 0 bytes/workgroup (compile time only)
; SGPRBlocks: 0
; VGPRBlocks: 0
; NumSGPRsForWavesPerEU: 1
; NumVGPRsForWavesPerEU: 1
; NamedBarCnt: 0
; Occupancy: 16
; WaveLimiterHint : 0
; COMPUTE_PGM_RSRC2:SCRATCH_EN: 0
; COMPUTE_PGM_RSRC2:USER_SGPR: 2
; COMPUTE_PGM_RSRC2:TRAP_HANDLER: 0
; COMPUTE_PGM_RSRC2:TGID_X_EN: 1
; COMPUTE_PGM_RSRC2:TGID_Y_EN: 0
; COMPUTE_PGM_RSRC2:TGID_Z_EN: 0
; COMPUTE_PGM_RSRC2:TIDIG_COMP_CNT: 0
	.section	.text._ZN7rocprim17ROCPRIM_400000_NS6detail17trampoline_kernelINS0_14default_configENS1_35radix_sort_onesweep_config_selectorItNS0_10empty_typeEEEZZNS1_29radix_sort_onesweep_iterationIS3_Lb0EPKtPtPS5_SB_mNS0_19identity_decomposerENS1_16block_id_wrapperIjLb0EEEEE10hipError_tT1_PNSt15iterator_traitsISG_E10value_typeET2_T3_PNSH_ISM_E10value_typeET4_T5_PSR_SS_PNS1_23onesweep_lookback_stateEbbT6_jjT7_P12ihipStream_tbENKUlT_T0_SG_SL_E_clIS9_SA_SB_SB_EEDaSZ_S10_SG_SL_EUlSZ_E_NS1_11comp_targetILNS1_3genE10ELNS1_11target_archE1201ELNS1_3gpuE5ELNS1_3repE0EEENS1_47radix_sort_onesweep_sort_config_static_selectorELNS0_4arch9wavefront6targetE0EEEvSG_,"axG",@progbits,_ZN7rocprim17ROCPRIM_400000_NS6detail17trampoline_kernelINS0_14default_configENS1_35radix_sort_onesweep_config_selectorItNS0_10empty_typeEEEZZNS1_29radix_sort_onesweep_iterationIS3_Lb0EPKtPtPS5_SB_mNS0_19identity_decomposerENS1_16block_id_wrapperIjLb0EEEEE10hipError_tT1_PNSt15iterator_traitsISG_E10value_typeET2_T3_PNSH_ISM_E10value_typeET4_T5_PSR_SS_PNS1_23onesweep_lookback_stateEbbT6_jjT7_P12ihipStream_tbENKUlT_T0_SG_SL_E_clIS9_SA_SB_SB_EEDaSZ_S10_SG_SL_EUlSZ_E_NS1_11comp_targetILNS1_3genE10ELNS1_11target_archE1201ELNS1_3gpuE5ELNS1_3repE0EEENS1_47radix_sort_onesweep_sort_config_static_selectorELNS0_4arch9wavefront6targetE0EEEvSG_,comdat
	.protected	_ZN7rocprim17ROCPRIM_400000_NS6detail17trampoline_kernelINS0_14default_configENS1_35radix_sort_onesweep_config_selectorItNS0_10empty_typeEEEZZNS1_29radix_sort_onesweep_iterationIS3_Lb0EPKtPtPS5_SB_mNS0_19identity_decomposerENS1_16block_id_wrapperIjLb0EEEEE10hipError_tT1_PNSt15iterator_traitsISG_E10value_typeET2_T3_PNSH_ISM_E10value_typeET4_T5_PSR_SS_PNS1_23onesweep_lookback_stateEbbT6_jjT7_P12ihipStream_tbENKUlT_T0_SG_SL_E_clIS9_SA_SB_SB_EEDaSZ_S10_SG_SL_EUlSZ_E_NS1_11comp_targetILNS1_3genE10ELNS1_11target_archE1201ELNS1_3gpuE5ELNS1_3repE0EEENS1_47radix_sort_onesweep_sort_config_static_selectorELNS0_4arch9wavefront6targetE0EEEvSG_ ; -- Begin function _ZN7rocprim17ROCPRIM_400000_NS6detail17trampoline_kernelINS0_14default_configENS1_35radix_sort_onesweep_config_selectorItNS0_10empty_typeEEEZZNS1_29radix_sort_onesweep_iterationIS3_Lb0EPKtPtPS5_SB_mNS0_19identity_decomposerENS1_16block_id_wrapperIjLb0EEEEE10hipError_tT1_PNSt15iterator_traitsISG_E10value_typeET2_T3_PNSH_ISM_E10value_typeET4_T5_PSR_SS_PNS1_23onesweep_lookback_stateEbbT6_jjT7_P12ihipStream_tbENKUlT_T0_SG_SL_E_clIS9_SA_SB_SB_EEDaSZ_S10_SG_SL_EUlSZ_E_NS1_11comp_targetILNS1_3genE10ELNS1_11target_archE1201ELNS1_3gpuE5ELNS1_3repE0EEENS1_47radix_sort_onesweep_sort_config_static_selectorELNS0_4arch9wavefront6targetE0EEEvSG_
	.globl	_ZN7rocprim17ROCPRIM_400000_NS6detail17trampoline_kernelINS0_14default_configENS1_35radix_sort_onesweep_config_selectorItNS0_10empty_typeEEEZZNS1_29radix_sort_onesweep_iterationIS3_Lb0EPKtPtPS5_SB_mNS0_19identity_decomposerENS1_16block_id_wrapperIjLb0EEEEE10hipError_tT1_PNSt15iterator_traitsISG_E10value_typeET2_T3_PNSH_ISM_E10value_typeET4_T5_PSR_SS_PNS1_23onesweep_lookback_stateEbbT6_jjT7_P12ihipStream_tbENKUlT_T0_SG_SL_E_clIS9_SA_SB_SB_EEDaSZ_S10_SG_SL_EUlSZ_E_NS1_11comp_targetILNS1_3genE10ELNS1_11target_archE1201ELNS1_3gpuE5ELNS1_3repE0EEENS1_47radix_sort_onesweep_sort_config_static_selectorELNS0_4arch9wavefront6targetE0EEEvSG_
	.p2align	8
	.type	_ZN7rocprim17ROCPRIM_400000_NS6detail17trampoline_kernelINS0_14default_configENS1_35radix_sort_onesweep_config_selectorItNS0_10empty_typeEEEZZNS1_29radix_sort_onesweep_iterationIS3_Lb0EPKtPtPS5_SB_mNS0_19identity_decomposerENS1_16block_id_wrapperIjLb0EEEEE10hipError_tT1_PNSt15iterator_traitsISG_E10value_typeET2_T3_PNSH_ISM_E10value_typeET4_T5_PSR_SS_PNS1_23onesweep_lookback_stateEbbT6_jjT7_P12ihipStream_tbENKUlT_T0_SG_SL_E_clIS9_SA_SB_SB_EEDaSZ_S10_SG_SL_EUlSZ_E_NS1_11comp_targetILNS1_3genE10ELNS1_11target_archE1201ELNS1_3gpuE5ELNS1_3repE0EEENS1_47radix_sort_onesweep_sort_config_static_selectorELNS0_4arch9wavefront6targetE0EEEvSG_,@function
_ZN7rocprim17ROCPRIM_400000_NS6detail17trampoline_kernelINS0_14default_configENS1_35radix_sort_onesweep_config_selectorItNS0_10empty_typeEEEZZNS1_29radix_sort_onesweep_iterationIS3_Lb0EPKtPtPS5_SB_mNS0_19identity_decomposerENS1_16block_id_wrapperIjLb0EEEEE10hipError_tT1_PNSt15iterator_traitsISG_E10value_typeET2_T3_PNSH_ISM_E10value_typeET4_T5_PSR_SS_PNS1_23onesweep_lookback_stateEbbT6_jjT7_P12ihipStream_tbENKUlT_T0_SG_SL_E_clIS9_SA_SB_SB_EEDaSZ_S10_SG_SL_EUlSZ_E_NS1_11comp_targetILNS1_3genE10ELNS1_11target_archE1201ELNS1_3gpuE5ELNS1_3repE0EEENS1_47radix_sort_onesweep_sort_config_static_selectorELNS0_4arch9wavefront6targetE0EEEvSG_: ; @_ZN7rocprim17ROCPRIM_400000_NS6detail17trampoline_kernelINS0_14default_configENS1_35radix_sort_onesweep_config_selectorItNS0_10empty_typeEEEZZNS1_29radix_sort_onesweep_iterationIS3_Lb0EPKtPtPS5_SB_mNS0_19identity_decomposerENS1_16block_id_wrapperIjLb0EEEEE10hipError_tT1_PNSt15iterator_traitsISG_E10value_typeET2_T3_PNSH_ISM_E10value_typeET4_T5_PSR_SS_PNS1_23onesweep_lookback_stateEbbT6_jjT7_P12ihipStream_tbENKUlT_T0_SG_SL_E_clIS9_SA_SB_SB_EEDaSZ_S10_SG_SL_EUlSZ_E_NS1_11comp_targetILNS1_3genE10ELNS1_11target_archE1201ELNS1_3gpuE5ELNS1_3repE0EEENS1_47radix_sort_onesweep_sort_config_static_selectorELNS0_4arch9wavefront6targetE0EEEvSG_
; %bb.0:
	.section	.rodata,"a",@progbits
	.p2align	6, 0x0
	.amdhsa_kernel _ZN7rocprim17ROCPRIM_400000_NS6detail17trampoline_kernelINS0_14default_configENS1_35radix_sort_onesweep_config_selectorItNS0_10empty_typeEEEZZNS1_29radix_sort_onesweep_iterationIS3_Lb0EPKtPtPS5_SB_mNS0_19identity_decomposerENS1_16block_id_wrapperIjLb0EEEEE10hipError_tT1_PNSt15iterator_traitsISG_E10value_typeET2_T3_PNSH_ISM_E10value_typeET4_T5_PSR_SS_PNS1_23onesweep_lookback_stateEbbT6_jjT7_P12ihipStream_tbENKUlT_T0_SG_SL_E_clIS9_SA_SB_SB_EEDaSZ_S10_SG_SL_EUlSZ_E_NS1_11comp_targetILNS1_3genE10ELNS1_11target_archE1201ELNS1_3gpuE5ELNS1_3repE0EEENS1_47radix_sort_onesweep_sort_config_static_selectorELNS0_4arch9wavefront6targetE0EEEvSG_
		.amdhsa_group_segment_fixed_size 0
		.amdhsa_private_segment_fixed_size 0
		.amdhsa_kernarg_size 88
		.amdhsa_user_sgpr_count 2
		.amdhsa_user_sgpr_dispatch_ptr 0
		.amdhsa_user_sgpr_queue_ptr 0
		.amdhsa_user_sgpr_kernarg_segment_ptr 1
		.amdhsa_user_sgpr_dispatch_id 0
		.amdhsa_user_sgpr_kernarg_preload_length 0
		.amdhsa_user_sgpr_kernarg_preload_offset 0
		.amdhsa_user_sgpr_private_segment_size 0
		.amdhsa_wavefront_size32 1
		.amdhsa_uses_dynamic_stack 0
		.amdhsa_enable_private_segment 0
		.amdhsa_system_sgpr_workgroup_id_x 1
		.amdhsa_system_sgpr_workgroup_id_y 0
		.amdhsa_system_sgpr_workgroup_id_z 0
		.amdhsa_system_sgpr_workgroup_info 0
		.amdhsa_system_vgpr_workitem_id 0
		.amdhsa_next_free_vgpr 1
		.amdhsa_next_free_sgpr 1
		.amdhsa_named_barrier_count 0
		.amdhsa_reserve_vcc 0
		.amdhsa_float_round_mode_32 0
		.amdhsa_float_round_mode_16_64 0
		.amdhsa_float_denorm_mode_32 3
		.amdhsa_float_denorm_mode_16_64 3
		.amdhsa_fp16_overflow 0
		.amdhsa_memory_ordered 1
		.amdhsa_forward_progress 1
		.amdhsa_inst_pref_size 0
		.amdhsa_round_robin_scheduling 0
		.amdhsa_exception_fp_ieee_invalid_op 0
		.amdhsa_exception_fp_denorm_src 0
		.amdhsa_exception_fp_ieee_div_zero 0
		.amdhsa_exception_fp_ieee_overflow 0
		.amdhsa_exception_fp_ieee_underflow 0
		.amdhsa_exception_fp_ieee_inexact 0
		.amdhsa_exception_int_div_zero 0
	.end_amdhsa_kernel
	.section	.text._ZN7rocprim17ROCPRIM_400000_NS6detail17trampoline_kernelINS0_14default_configENS1_35radix_sort_onesweep_config_selectorItNS0_10empty_typeEEEZZNS1_29radix_sort_onesweep_iterationIS3_Lb0EPKtPtPS5_SB_mNS0_19identity_decomposerENS1_16block_id_wrapperIjLb0EEEEE10hipError_tT1_PNSt15iterator_traitsISG_E10value_typeET2_T3_PNSH_ISM_E10value_typeET4_T5_PSR_SS_PNS1_23onesweep_lookback_stateEbbT6_jjT7_P12ihipStream_tbENKUlT_T0_SG_SL_E_clIS9_SA_SB_SB_EEDaSZ_S10_SG_SL_EUlSZ_E_NS1_11comp_targetILNS1_3genE10ELNS1_11target_archE1201ELNS1_3gpuE5ELNS1_3repE0EEENS1_47radix_sort_onesweep_sort_config_static_selectorELNS0_4arch9wavefront6targetE0EEEvSG_,"axG",@progbits,_ZN7rocprim17ROCPRIM_400000_NS6detail17trampoline_kernelINS0_14default_configENS1_35radix_sort_onesweep_config_selectorItNS0_10empty_typeEEEZZNS1_29radix_sort_onesweep_iterationIS3_Lb0EPKtPtPS5_SB_mNS0_19identity_decomposerENS1_16block_id_wrapperIjLb0EEEEE10hipError_tT1_PNSt15iterator_traitsISG_E10value_typeET2_T3_PNSH_ISM_E10value_typeET4_T5_PSR_SS_PNS1_23onesweep_lookback_stateEbbT6_jjT7_P12ihipStream_tbENKUlT_T0_SG_SL_E_clIS9_SA_SB_SB_EEDaSZ_S10_SG_SL_EUlSZ_E_NS1_11comp_targetILNS1_3genE10ELNS1_11target_archE1201ELNS1_3gpuE5ELNS1_3repE0EEENS1_47radix_sort_onesweep_sort_config_static_selectorELNS0_4arch9wavefront6targetE0EEEvSG_,comdat
.Lfunc_end2521:
	.size	_ZN7rocprim17ROCPRIM_400000_NS6detail17trampoline_kernelINS0_14default_configENS1_35radix_sort_onesweep_config_selectorItNS0_10empty_typeEEEZZNS1_29radix_sort_onesweep_iterationIS3_Lb0EPKtPtPS5_SB_mNS0_19identity_decomposerENS1_16block_id_wrapperIjLb0EEEEE10hipError_tT1_PNSt15iterator_traitsISG_E10value_typeET2_T3_PNSH_ISM_E10value_typeET4_T5_PSR_SS_PNS1_23onesweep_lookback_stateEbbT6_jjT7_P12ihipStream_tbENKUlT_T0_SG_SL_E_clIS9_SA_SB_SB_EEDaSZ_S10_SG_SL_EUlSZ_E_NS1_11comp_targetILNS1_3genE10ELNS1_11target_archE1201ELNS1_3gpuE5ELNS1_3repE0EEENS1_47radix_sort_onesweep_sort_config_static_selectorELNS0_4arch9wavefront6targetE0EEEvSG_, .Lfunc_end2521-_ZN7rocprim17ROCPRIM_400000_NS6detail17trampoline_kernelINS0_14default_configENS1_35radix_sort_onesweep_config_selectorItNS0_10empty_typeEEEZZNS1_29radix_sort_onesweep_iterationIS3_Lb0EPKtPtPS5_SB_mNS0_19identity_decomposerENS1_16block_id_wrapperIjLb0EEEEE10hipError_tT1_PNSt15iterator_traitsISG_E10value_typeET2_T3_PNSH_ISM_E10value_typeET4_T5_PSR_SS_PNS1_23onesweep_lookback_stateEbbT6_jjT7_P12ihipStream_tbENKUlT_T0_SG_SL_E_clIS9_SA_SB_SB_EEDaSZ_S10_SG_SL_EUlSZ_E_NS1_11comp_targetILNS1_3genE10ELNS1_11target_archE1201ELNS1_3gpuE5ELNS1_3repE0EEENS1_47radix_sort_onesweep_sort_config_static_selectorELNS0_4arch9wavefront6targetE0EEEvSG_
                                        ; -- End function
	.set _ZN7rocprim17ROCPRIM_400000_NS6detail17trampoline_kernelINS0_14default_configENS1_35radix_sort_onesweep_config_selectorItNS0_10empty_typeEEEZZNS1_29radix_sort_onesweep_iterationIS3_Lb0EPKtPtPS5_SB_mNS0_19identity_decomposerENS1_16block_id_wrapperIjLb0EEEEE10hipError_tT1_PNSt15iterator_traitsISG_E10value_typeET2_T3_PNSH_ISM_E10value_typeET4_T5_PSR_SS_PNS1_23onesweep_lookback_stateEbbT6_jjT7_P12ihipStream_tbENKUlT_T0_SG_SL_E_clIS9_SA_SB_SB_EEDaSZ_S10_SG_SL_EUlSZ_E_NS1_11comp_targetILNS1_3genE10ELNS1_11target_archE1201ELNS1_3gpuE5ELNS1_3repE0EEENS1_47radix_sort_onesweep_sort_config_static_selectorELNS0_4arch9wavefront6targetE0EEEvSG_.num_vgpr, 0
	.set _ZN7rocprim17ROCPRIM_400000_NS6detail17trampoline_kernelINS0_14default_configENS1_35radix_sort_onesweep_config_selectorItNS0_10empty_typeEEEZZNS1_29radix_sort_onesweep_iterationIS3_Lb0EPKtPtPS5_SB_mNS0_19identity_decomposerENS1_16block_id_wrapperIjLb0EEEEE10hipError_tT1_PNSt15iterator_traitsISG_E10value_typeET2_T3_PNSH_ISM_E10value_typeET4_T5_PSR_SS_PNS1_23onesweep_lookback_stateEbbT6_jjT7_P12ihipStream_tbENKUlT_T0_SG_SL_E_clIS9_SA_SB_SB_EEDaSZ_S10_SG_SL_EUlSZ_E_NS1_11comp_targetILNS1_3genE10ELNS1_11target_archE1201ELNS1_3gpuE5ELNS1_3repE0EEENS1_47radix_sort_onesweep_sort_config_static_selectorELNS0_4arch9wavefront6targetE0EEEvSG_.num_agpr, 0
	.set _ZN7rocprim17ROCPRIM_400000_NS6detail17trampoline_kernelINS0_14default_configENS1_35radix_sort_onesweep_config_selectorItNS0_10empty_typeEEEZZNS1_29radix_sort_onesweep_iterationIS3_Lb0EPKtPtPS5_SB_mNS0_19identity_decomposerENS1_16block_id_wrapperIjLb0EEEEE10hipError_tT1_PNSt15iterator_traitsISG_E10value_typeET2_T3_PNSH_ISM_E10value_typeET4_T5_PSR_SS_PNS1_23onesweep_lookback_stateEbbT6_jjT7_P12ihipStream_tbENKUlT_T0_SG_SL_E_clIS9_SA_SB_SB_EEDaSZ_S10_SG_SL_EUlSZ_E_NS1_11comp_targetILNS1_3genE10ELNS1_11target_archE1201ELNS1_3gpuE5ELNS1_3repE0EEENS1_47radix_sort_onesweep_sort_config_static_selectorELNS0_4arch9wavefront6targetE0EEEvSG_.numbered_sgpr, 0
	.set _ZN7rocprim17ROCPRIM_400000_NS6detail17trampoline_kernelINS0_14default_configENS1_35radix_sort_onesweep_config_selectorItNS0_10empty_typeEEEZZNS1_29radix_sort_onesweep_iterationIS3_Lb0EPKtPtPS5_SB_mNS0_19identity_decomposerENS1_16block_id_wrapperIjLb0EEEEE10hipError_tT1_PNSt15iterator_traitsISG_E10value_typeET2_T3_PNSH_ISM_E10value_typeET4_T5_PSR_SS_PNS1_23onesweep_lookback_stateEbbT6_jjT7_P12ihipStream_tbENKUlT_T0_SG_SL_E_clIS9_SA_SB_SB_EEDaSZ_S10_SG_SL_EUlSZ_E_NS1_11comp_targetILNS1_3genE10ELNS1_11target_archE1201ELNS1_3gpuE5ELNS1_3repE0EEENS1_47radix_sort_onesweep_sort_config_static_selectorELNS0_4arch9wavefront6targetE0EEEvSG_.num_named_barrier, 0
	.set _ZN7rocprim17ROCPRIM_400000_NS6detail17trampoline_kernelINS0_14default_configENS1_35radix_sort_onesweep_config_selectorItNS0_10empty_typeEEEZZNS1_29radix_sort_onesweep_iterationIS3_Lb0EPKtPtPS5_SB_mNS0_19identity_decomposerENS1_16block_id_wrapperIjLb0EEEEE10hipError_tT1_PNSt15iterator_traitsISG_E10value_typeET2_T3_PNSH_ISM_E10value_typeET4_T5_PSR_SS_PNS1_23onesweep_lookback_stateEbbT6_jjT7_P12ihipStream_tbENKUlT_T0_SG_SL_E_clIS9_SA_SB_SB_EEDaSZ_S10_SG_SL_EUlSZ_E_NS1_11comp_targetILNS1_3genE10ELNS1_11target_archE1201ELNS1_3gpuE5ELNS1_3repE0EEENS1_47radix_sort_onesweep_sort_config_static_selectorELNS0_4arch9wavefront6targetE0EEEvSG_.private_seg_size, 0
	.set _ZN7rocprim17ROCPRIM_400000_NS6detail17trampoline_kernelINS0_14default_configENS1_35radix_sort_onesweep_config_selectorItNS0_10empty_typeEEEZZNS1_29radix_sort_onesweep_iterationIS3_Lb0EPKtPtPS5_SB_mNS0_19identity_decomposerENS1_16block_id_wrapperIjLb0EEEEE10hipError_tT1_PNSt15iterator_traitsISG_E10value_typeET2_T3_PNSH_ISM_E10value_typeET4_T5_PSR_SS_PNS1_23onesweep_lookback_stateEbbT6_jjT7_P12ihipStream_tbENKUlT_T0_SG_SL_E_clIS9_SA_SB_SB_EEDaSZ_S10_SG_SL_EUlSZ_E_NS1_11comp_targetILNS1_3genE10ELNS1_11target_archE1201ELNS1_3gpuE5ELNS1_3repE0EEENS1_47radix_sort_onesweep_sort_config_static_selectorELNS0_4arch9wavefront6targetE0EEEvSG_.uses_vcc, 0
	.set _ZN7rocprim17ROCPRIM_400000_NS6detail17trampoline_kernelINS0_14default_configENS1_35radix_sort_onesweep_config_selectorItNS0_10empty_typeEEEZZNS1_29radix_sort_onesweep_iterationIS3_Lb0EPKtPtPS5_SB_mNS0_19identity_decomposerENS1_16block_id_wrapperIjLb0EEEEE10hipError_tT1_PNSt15iterator_traitsISG_E10value_typeET2_T3_PNSH_ISM_E10value_typeET4_T5_PSR_SS_PNS1_23onesweep_lookback_stateEbbT6_jjT7_P12ihipStream_tbENKUlT_T0_SG_SL_E_clIS9_SA_SB_SB_EEDaSZ_S10_SG_SL_EUlSZ_E_NS1_11comp_targetILNS1_3genE10ELNS1_11target_archE1201ELNS1_3gpuE5ELNS1_3repE0EEENS1_47radix_sort_onesweep_sort_config_static_selectorELNS0_4arch9wavefront6targetE0EEEvSG_.uses_flat_scratch, 0
	.set _ZN7rocprim17ROCPRIM_400000_NS6detail17trampoline_kernelINS0_14default_configENS1_35radix_sort_onesweep_config_selectorItNS0_10empty_typeEEEZZNS1_29radix_sort_onesweep_iterationIS3_Lb0EPKtPtPS5_SB_mNS0_19identity_decomposerENS1_16block_id_wrapperIjLb0EEEEE10hipError_tT1_PNSt15iterator_traitsISG_E10value_typeET2_T3_PNSH_ISM_E10value_typeET4_T5_PSR_SS_PNS1_23onesweep_lookback_stateEbbT6_jjT7_P12ihipStream_tbENKUlT_T0_SG_SL_E_clIS9_SA_SB_SB_EEDaSZ_S10_SG_SL_EUlSZ_E_NS1_11comp_targetILNS1_3genE10ELNS1_11target_archE1201ELNS1_3gpuE5ELNS1_3repE0EEENS1_47radix_sort_onesweep_sort_config_static_selectorELNS0_4arch9wavefront6targetE0EEEvSG_.has_dyn_sized_stack, 0
	.set _ZN7rocprim17ROCPRIM_400000_NS6detail17trampoline_kernelINS0_14default_configENS1_35radix_sort_onesweep_config_selectorItNS0_10empty_typeEEEZZNS1_29radix_sort_onesweep_iterationIS3_Lb0EPKtPtPS5_SB_mNS0_19identity_decomposerENS1_16block_id_wrapperIjLb0EEEEE10hipError_tT1_PNSt15iterator_traitsISG_E10value_typeET2_T3_PNSH_ISM_E10value_typeET4_T5_PSR_SS_PNS1_23onesweep_lookback_stateEbbT6_jjT7_P12ihipStream_tbENKUlT_T0_SG_SL_E_clIS9_SA_SB_SB_EEDaSZ_S10_SG_SL_EUlSZ_E_NS1_11comp_targetILNS1_3genE10ELNS1_11target_archE1201ELNS1_3gpuE5ELNS1_3repE0EEENS1_47radix_sort_onesweep_sort_config_static_selectorELNS0_4arch9wavefront6targetE0EEEvSG_.has_recursion, 0
	.set _ZN7rocprim17ROCPRIM_400000_NS6detail17trampoline_kernelINS0_14default_configENS1_35radix_sort_onesweep_config_selectorItNS0_10empty_typeEEEZZNS1_29radix_sort_onesweep_iterationIS3_Lb0EPKtPtPS5_SB_mNS0_19identity_decomposerENS1_16block_id_wrapperIjLb0EEEEE10hipError_tT1_PNSt15iterator_traitsISG_E10value_typeET2_T3_PNSH_ISM_E10value_typeET4_T5_PSR_SS_PNS1_23onesweep_lookback_stateEbbT6_jjT7_P12ihipStream_tbENKUlT_T0_SG_SL_E_clIS9_SA_SB_SB_EEDaSZ_S10_SG_SL_EUlSZ_E_NS1_11comp_targetILNS1_3genE10ELNS1_11target_archE1201ELNS1_3gpuE5ELNS1_3repE0EEENS1_47radix_sort_onesweep_sort_config_static_selectorELNS0_4arch9wavefront6targetE0EEEvSG_.has_indirect_call, 0
	.section	.AMDGPU.csdata,"",@progbits
; Kernel info:
; codeLenInByte = 0
; TotalNumSgprs: 0
; NumVgprs: 0
; ScratchSize: 0
; MemoryBound: 0
; FloatMode: 240
; IeeeMode: 1
; LDSByteSize: 0 bytes/workgroup (compile time only)
; SGPRBlocks: 0
; VGPRBlocks: 0
; NumSGPRsForWavesPerEU: 1
; NumVGPRsForWavesPerEU: 1
; NamedBarCnt: 0
; Occupancy: 16
; WaveLimiterHint : 0
; COMPUTE_PGM_RSRC2:SCRATCH_EN: 0
; COMPUTE_PGM_RSRC2:USER_SGPR: 2
; COMPUTE_PGM_RSRC2:TRAP_HANDLER: 0
; COMPUTE_PGM_RSRC2:TGID_X_EN: 1
; COMPUTE_PGM_RSRC2:TGID_Y_EN: 0
; COMPUTE_PGM_RSRC2:TGID_Z_EN: 0
; COMPUTE_PGM_RSRC2:TIDIG_COMP_CNT: 0
	.section	.text._ZN7rocprim17ROCPRIM_400000_NS6detail17trampoline_kernelINS0_14default_configENS1_35radix_sort_onesweep_config_selectorItNS0_10empty_typeEEEZZNS1_29radix_sort_onesweep_iterationIS3_Lb0EPKtPtPS5_SB_mNS0_19identity_decomposerENS1_16block_id_wrapperIjLb0EEEEE10hipError_tT1_PNSt15iterator_traitsISG_E10value_typeET2_T3_PNSH_ISM_E10value_typeET4_T5_PSR_SS_PNS1_23onesweep_lookback_stateEbbT6_jjT7_P12ihipStream_tbENKUlT_T0_SG_SL_E_clIS9_SA_SB_SB_EEDaSZ_S10_SG_SL_EUlSZ_E_NS1_11comp_targetILNS1_3genE9ELNS1_11target_archE1100ELNS1_3gpuE3ELNS1_3repE0EEENS1_47radix_sort_onesweep_sort_config_static_selectorELNS0_4arch9wavefront6targetE0EEEvSG_,"axG",@progbits,_ZN7rocprim17ROCPRIM_400000_NS6detail17trampoline_kernelINS0_14default_configENS1_35radix_sort_onesweep_config_selectorItNS0_10empty_typeEEEZZNS1_29radix_sort_onesweep_iterationIS3_Lb0EPKtPtPS5_SB_mNS0_19identity_decomposerENS1_16block_id_wrapperIjLb0EEEEE10hipError_tT1_PNSt15iterator_traitsISG_E10value_typeET2_T3_PNSH_ISM_E10value_typeET4_T5_PSR_SS_PNS1_23onesweep_lookback_stateEbbT6_jjT7_P12ihipStream_tbENKUlT_T0_SG_SL_E_clIS9_SA_SB_SB_EEDaSZ_S10_SG_SL_EUlSZ_E_NS1_11comp_targetILNS1_3genE9ELNS1_11target_archE1100ELNS1_3gpuE3ELNS1_3repE0EEENS1_47radix_sort_onesweep_sort_config_static_selectorELNS0_4arch9wavefront6targetE0EEEvSG_,comdat
	.protected	_ZN7rocprim17ROCPRIM_400000_NS6detail17trampoline_kernelINS0_14default_configENS1_35radix_sort_onesweep_config_selectorItNS0_10empty_typeEEEZZNS1_29radix_sort_onesweep_iterationIS3_Lb0EPKtPtPS5_SB_mNS0_19identity_decomposerENS1_16block_id_wrapperIjLb0EEEEE10hipError_tT1_PNSt15iterator_traitsISG_E10value_typeET2_T3_PNSH_ISM_E10value_typeET4_T5_PSR_SS_PNS1_23onesweep_lookback_stateEbbT6_jjT7_P12ihipStream_tbENKUlT_T0_SG_SL_E_clIS9_SA_SB_SB_EEDaSZ_S10_SG_SL_EUlSZ_E_NS1_11comp_targetILNS1_3genE9ELNS1_11target_archE1100ELNS1_3gpuE3ELNS1_3repE0EEENS1_47radix_sort_onesweep_sort_config_static_selectorELNS0_4arch9wavefront6targetE0EEEvSG_ ; -- Begin function _ZN7rocprim17ROCPRIM_400000_NS6detail17trampoline_kernelINS0_14default_configENS1_35radix_sort_onesweep_config_selectorItNS0_10empty_typeEEEZZNS1_29radix_sort_onesweep_iterationIS3_Lb0EPKtPtPS5_SB_mNS0_19identity_decomposerENS1_16block_id_wrapperIjLb0EEEEE10hipError_tT1_PNSt15iterator_traitsISG_E10value_typeET2_T3_PNSH_ISM_E10value_typeET4_T5_PSR_SS_PNS1_23onesweep_lookback_stateEbbT6_jjT7_P12ihipStream_tbENKUlT_T0_SG_SL_E_clIS9_SA_SB_SB_EEDaSZ_S10_SG_SL_EUlSZ_E_NS1_11comp_targetILNS1_3genE9ELNS1_11target_archE1100ELNS1_3gpuE3ELNS1_3repE0EEENS1_47radix_sort_onesweep_sort_config_static_selectorELNS0_4arch9wavefront6targetE0EEEvSG_
	.globl	_ZN7rocprim17ROCPRIM_400000_NS6detail17trampoline_kernelINS0_14default_configENS1_35radix_sort_onesweep_config_selectorItNS0_10empty_typeEEEZZNS1_29radix_sort_onesweep_iterationIS3_Lb0EPKtPtPS5_SB_mNS0_19identity_decomposerENS1_16block_id_wrapperIjLb0EEEEE10hipError_tT1_PNSt15iterator_traitsISG_E10value_typeET2_T3_PNSH_ISM_E10value_typeET4_T5_PSR_SS_PNS1_23onesweep_lookback_stateEbbT6_jjT7_P12ihipStream_tbENKUlT_T0_SG_SL_E_clIS9_SA_SB_SB_EEDaSZ_S10_SG_SL_EUlSZ_E_NS1_11comp_targetILNS1_3genE9ELNS1_11target_archE1100ELNS1_3gpuE3ELNS1_3repE0EEENS1_47radix_sort_onesweep_sort_config_static_selectorELNS0_4arch9wavefront6targetE0EEEvSG_
	.p2align	8
	.type	_ZN7rocprim17ROCPRIM_400000_NS6detail17trampoline_kernelINS0_14default_configENS1_35radix_sort_onesweep_config_selectorItNS0_10empty_typeEEEZZNS1_29radix_sort_onesweep_iterationIS3_Lb0EPKtPtPS5_SB_mNS0_19identity_decomposerENS1_16block_id_wrapperIjLb0EEEEE10hipError_tT1_PNSt15iterator_traitsISG_E10value_typeET2_T3_PNSH_ISM_E10value_typeET4_T5_PSR_SS_PNS1_23onesweep_lookback_stateEbbT6_jjT7_P12ihipStream_tbENKUlT_T0_SG_SL_E_clIS9_SA_SB_SB_EEDaSZ_S10_SG_SL_EUlSZ_E_NS1_11comp_targetILNS1_3genE9ELNS1_11target_archE1100ELNS1_3gpuE3ELNS1_3repE0EEENS1_47radix_sort_onesweep_sort_config_static_selectorELNS0_4arch9wavefront6targetE0EEEvSG_,@function
_ZN7rocprim17ROCPRIM_400000_NS6detail17trampoline_kernelINS0_14default_configENS1_35radix_sort_onesweep_config_selectorItNS0_10empty_typeEEEZZNS1_29radix_sort_onesweep_iterationIS3_Lb0EPKtPtPS5_SB_mNS0_19identity_decomposerENS1_16block_id_wrapperIjLb0EEEEE10hipError_tT1_PNSt15iterator_traitsISG_E10value_typeET2_T3_PNSH_ISM_E10value_typeET4_T5_PSR_SS_PNS1_23onesweep_lookback_stateEbbT6_jjT7_P12ihipStream_tbENKUlT_T0_SG_SL_E_clIS9_SA_SB_SB_EEDaSZ_S10_SG_SL_EUlSZ_E_NS1_11comp_targetILNS1_3genE9ELNS1_11target_archE1100ELNS1_3gpuE3ELNS1_3repE0EEENS1_47radix_sort_onesweep_sort_config_static_selectorELNS0_4arch9wavefront6targetE0EEEvSG_: ; @_ZN7rocprim17ROCPRIM_400000_NS6detail17trampoline_kernelINS0_14default_configENS1_35radix_sort_onesweep_config_selectorItNS0_10empty_typeEEEZZNS1_29radix_sort_onesweep_iterationIS3_Lb0EPKtPtPS5_SB_mNS0_19identity_decomposerENS1_16block_id_wrapperIjLb0EEEEE10hipError_tT1_PNSt15iterator_traitsISG_E10value_typeET2_T3_PNSH_ISM_E10value_typeET4_T5_PSR_SS_PNS1_23onesweep_lookback_stateEbbT6_jjT7_P12ihipStream_tbENKUlT_T0_SG_SL_E_clIS9_SA_SB_SB_EEDaSZ_S10_SG_SL_EUlSZ_E_NS1_11comp_targetILNS1_3genE9ELNS1_11target_archE1100ELNS1_3gpuE3ELNS1_3repE0EEENS1_47radix_sort_onesweep_sort_config_static_selectorELNS0_4arch9wavefront6targetE0EEEvSG_
; %bb.0:
	.section	.rodata,"a",@progbits
	.p2align	6, 0x0
	.amdhsa_kernel _ZN7rocprim17ROCPRIM_400000_NS6detail17trampoline_kernelINS0_14default_configENS1_35radix_sort_onesweep_config_selectorItNS0_10empty_typeEEEZZNS1_29radix_sort_onesweep_iterationIS3_Lb0EPKtPtPS5_SB_mNS0_19identity_decomposerENS1_16block_id_wrapperIjLb0EEEEE10hipError_tT1_PNSt15iterator_traitsISG_E10value_typeET2_T3_PNSH_ISM_E10value_typeET4_T5_PSR_SS_PNS1_23onesweep_lookback_stateEbbT6_jjT7_P12ihipStream_tbENKUlT_T0_SG_SL_E_clIS9_SA_SB_SB_EEDaSZ_S10_SG_SL_EUlSZ_E_NS1_11comp_targetILNS1_3genE9ELNS1_11target_archE1100ELNS1_3gpuE3ELNS1_3repE0EEENS1_47radix_sort_onesweep_sort_config_static_selectorELNS0_4arch9wavefront6targetE0EEEvSG_
		.amdhsa_group_segment_fixed_size 0
		.amdhsa_private_segment_fixed_size 0
		.amdhsa_kernarg_size 88
		.amdhsa_user_sgpr_count 2
		.amdhsa_user_sgpr_dispatch_ptr 0
		.amdhsa_user_sgpr_queue_ptr 0
		.amdhsa_user_sgpr_kernarg_segment_ptr 1
		.amdhsa_user_sgpr_dispatch_id 0
		.amdhsa_user_sgpr_kernarg_preload_length 0
		.amdhsa_user_sgpr_kernarg_preload_offset 0
		.amdhsa_user_sgpr_private_segment_size 0
		.amdhsa_wavefront_size32 1
		.amdhsa_uses_dynamic_stack 0
		.amdhsa_enable_private_segment 0
		.amdhsa_system_sgpr_workgroup_id_x 1
		.amdhsa_system_sgpr_workgroup_id_y 0
		.amdhsa_system_sgpr_workgroup_id_z 0
		.amdhsa_system_sgpr_workgroup_info 0
		.amdhsa_system_vgpr_workitem_id 0
		.amdhsa_next_free_vgpr 1
		.amdhsa_next_free_sgpr 1
		.amdhsa_named_barrier_count 0
		.amdhsa_reserve_vcc 0
		.amdhsa_float_round_mode_32 0
		.amdhsa_float_round_mode_16_64 0
		.amdhsa_float_denorm_mode_32 3
		.amdhsa_float_denorm_mode_16_64 3
		.amdhsa_fp16_overflow 0
		.amdhsa_memory_ordered 1
		.amdhsa_forward_progress 1
		.amdhsa_inst_pref_size 0
		.amdhsa_round_robin_scheduling 0
		.amdhsa_exception_fp_ieee_invalid_op 0
		.amdhsa_exception_fp_denorm_src 0
		.amdhsa_exception_fp_ieee_div_zero 0
		.amdhsa_exception_fp_ieee_overflow 0
		.amdhsa_exception_fp_ieee_underflow 0
		.amdhsa_exception_fp_ieee_inexact 0
		.amdhsa_exception_int_div_zero 0
	.end_amdhsa_kernel
	.section	.text._ZN7rocprim17ROCPRIM_400000_NS6detail17trampoline_kernelINS0_14default_configENS1_35radix_sort_onesweep_config_selectorItNS0_10empty_typeEEEZZNS1_29radix_sort_onesweep_iterationIS3_Lb0EPKtPtPS5_SB_mNS0_19identity_decomposerENS1_16block_id_wrapperIjLb0EEEEE10hipError_tT1_PNSt15iterator_traitsISG_E10value_typeET2_T3_PNSH_ISM_E10value_typeET4_T5_PSR_SS_PNS1_23onesweep_lookback_stateEbbT6_jjT7_P12ihipStream_tbENKUlT_T0_SG_SL_E_clIS9_SA_SB_SB_EEDaSZ_S10_SG_SL_EUlSZ_E_NS1_11comp_targetILNS1_3genE9ELNS1_11target_archE1100ELNS1_3gpuE3ELNS1_3repE0EEENS1_47radix_sort_onesweep_sort_config_static_selectorELNS0_4arch9wavefront6targetE0EEEvSG_,"axG",@progbits,_ZN7rocprim17ROCPRIM_400000_NS6detail17trampoline_kernelINS0_14default_configENS1_35radix_sort_onesweep_config_selectorItNS0_10empty_typeEEEZZNS1_29radix_sort_onesweep_iterationIS3_Lb0EPKtPtPS5_SB_mNS0_19identity_decomposerENS1_16block_id_wrapperIjLb0EEEEE10hipError_tT1_PNSt15iterator_traitsISG_E10value_typeET2_T3_PNSH_ISM_E10value_typeET4_T5_PSR_SS_PNS1_23onesweep_lookback_stateEbbT6_jjT7_P12ihipStream_tbENKUlT_T0_SG_SL_E_clIS9_SA_SB_SB_EEDaSZ_S10_SG_SL_EUlSZ_E_NS1_11comp_targetILNS1_3genE9ELNS1_11target_archE1100ELNS1_3gpuE3ELNS1_3repE0EEENS1_47radix_sort_onesweep_sort_config_static_selectorELNS0_4arch9wavefront6targetE0EEEvSG_,comdat
.Lfunc_end2522:
	.size	_ZN7rocprim17ROCPRIM_400000_NS6detail17trampoline_kernelINS0_14default_configENS1_35radix_sort_onesweep_config_selectorItNS0_10empty_typeEEEZZNS1_29radix_sort_onesweep_iterationIS3_Lb0EPKtPtPS5_SB_mNS0_19identity_decomposerENS1_16block_id_wrapperIjLb0EEEEE10hipError_tT1_PNSt15iterator_traitsISG_E10value_typeET2_T3_PNSH_ISM_E10value_typeET4_T5_PSR_SS_PNS1_23onesweep_lookback_stateEbbT6_jjT7_P12ihipStream_tbENKUlT_T0_SG_SL_E_clIS9_SA_SB_SB_EEDaSZ_S10_SG_SL_EUlSZ_E_NS1_11comp_targetILNS1_3genE9ELNS1_11target_archE1100ELNS1_3gpuE3ELNS1_3repE0EEENS1_47radix_sort_onesweep_sort_config_static_selectorELNS0_4arch9wavefront6targetE0EEEvSG_, .Lfunc_end2522-_ZN7rocprim17ROCPRIM_400000_NS6detail17trampoline_kernelINS0_14default_configENS1_35radix_sort_onesweep_config_selectorItNS0_10empty_typeEEEZZNS1_29radix_sort_onesweep_iterationIS3_Lb0EPKtPtPS5_SB_mNS0_19identity_decomposerENS1_16block_id_wrapperIjLb0EEEEE10hipError_tT1_PNSt15iterator_traitsISG_E10value_typeET2_T3_PNSH_ISM_E10value_typeET4_T5_PSR_SS_PNS1_23onesweep_lookback_stateEbbT6_jjT7_P12ihipStream_tbENKUlT_T0_SG_SL_E_clIS9_SA_SB_SB_EEDaSZ_S10_SG_SL_EUlSZ_E_NS1_11comp_targetILNS1_3genE9ELNS1_11target_archE1100ELNS1_3gpuE3ELNS1_3repE0EEENS1_47radix_sort_onesweep_sort_config_static_selectorELNS0_4arch9wavefront6targetE0EEEvSG_
                                        ; -- End function
	.set _ZN7rocprim17ROCPRIM_400000_NS6detail17trampoline_kernelINS0_14default_configENS1_35radix_sort_onesweep_config_selectorItNS0_10empty_typeEEEZZNS1_29radix_sort_onesweep_iterationIS3_Lb0EPKtPtPS5_SB_mNS0_19identity_decomposerENS1_16block_id_wrapperIjLb0EEEEE10hipError_tT1_PNSt15iterator_traitsISG_E10value_typeET2_T3_PNSH_ISM_E10value_typeET4_T5_PSR_SS_PNS1_23onesweep_lookback_stateEbbT6_jjT7_P12ihipStream_tbENKUlT_T0_SG_SL_E_clIS9_SA_SB_SB_EEDaSZ_S10_SG_SL_EUlSZ_E_NS1_11comp_targetILNS1_3genE9ELNS1_11target_archE1100ELNS1_3gpuE3ELNS1_3repE0EEENS1_47radix_sort_onesweep_sort_config_static_selectorELNS0_4arch9wavefront6targetE0EEEvSG_.num_vgpr, 0
	.set _ZN7rocprim17ROCPRIM_400000_NS6detail17trampoline_kernelINS0_14default_configENS1_35radix_sort_onesweep_config_selectorItNS0_10empty_typeEEEZZNS1_29radix_sort_onesweep_iterationIS3_Lb0EPKtPtPS5_SB_mNS0_19identity_decomposerENS1_16block_id_wrapperIjLb0EEEEE10hipError_tT1_PNSt15iterator_traitsISG_E10value_typeET2_T3_PNSH_ISM_E10value_typeET4_T5_PSR_SS_PNS1_23onesweep_lookback_stateEbbT6_jjT7_P12ihipStream_tbENKUlT_T0_SG_SL_E_clIS9_SA_SB_SB_EEDaSZ_S10_SG_SL_EUlSZ_E_NS1_11comp_targetILNS1_3genE9ELNS1_11target_archE1100ELNS1_3gpuE3ELNS1_3repE0EEENS1_47radix_sort_onesweep_sort_config_static_selectorELNS0_4arch9wavefront6targetE0EEEvSG_.num_agpr, 0
	.set _ZN7rocprim17ROCPRIM_400000_NS6detail17trampoline_kernelINS0_14default_configENS1_35radix_sort_onesweep_config_selectorItNS0_10empty_typeEEEZZNS1_29radix_sort_onesweep_iterationIS3_Lb0EPKtPtPS5_SB_mNS0_19identity_decomposerENS1_16block_id_wrapperIjLb0EEEEE10hipError_tT1_PNSt15iterator_traitsISG_E10value_typeET2_T3_PNSH_ISM_E10value_typeET4_T5_PSR_SS_PNS1_23onesweep_lookback_stateEbbT6_jjT7_P12ihipStream_tbENKUlT_T0_SG_SL_E_clIS9_SA_SB_SB_EEDaSZ_S10_SG_SL_EUlSZ_E_NS1_11comp_targetILNS1_3genE9ELNS1_11target_archE1100ELNS1_3gpuE3ELNS1_3repE0EEENS1_47radix_sort_onesweep_sort_config_static_selectorELNS0_4arch9wavefront6targetE0EEEvSG_.numbered_sgpr, 0
	.set _ZN7rocprim17ROCPRIM_400000_NS6detail17trampoline_kernelINS0_14default_configENS1_35radix_sort_onesweep_config_selectorItNS0_10empty_typeEEEZZNS1_29radix_sort_onesweep_iterationIS3_Lb0EPKtPtPS5_SB_mNS0_19identity_decomposerENS1_16block_id_wrapperIjLb0EEEEE10hipError_tT1_PNSt15iterator_traitsISG_E10value_typeET2_T3_PNSH_ISM_E10value_typeET4_T5_PSR_SS_PNS1_23onesweep_lookback_stateEbbT6_jjT7_P12ihipStream_tbENKUlT_T0_SG_SL_E_clIS9_SA_SB_SB_EEDaSZ_S10_SG_SL_EUlSZ_E_NS1_11comp_targetILNS1_3genE9ELNS1_11target_archE1100ELNS1_3gpuE3ELNS1_3repE0EEENS1_47radix_sort_onesweep_sort_config_static_selectorELNS0_4arch9wavefront6targetE0EEEvSG_.num_named_barrier, 0
	.set _ZN7rocprim17ROCPRIM_400000_NS6detail17trampoline_kernelINS0_14default_configENS1_35radix_sort_onesweep_config_selectorItNS0_10empty_typeEEEZZNS1_29radix_sort_onesweep_iterationIS3_Lb0EPKtPtPS5_SB_mNS0_19identity_decomposerENS1_16block_id_wrapperIjLb0EEEEE10hipError_tT1_PNSt15iterator_traitsISG_E10value_typeET2_T3_PNSH_ISM_E10value_typeET4_T5_PSR_SS_PNS1_23onesweep_lookback_stateEbbT6_jjT7_P12ihipStream_tbENKUlT_T0_SG_SL_E_clIS9_SA_SB_SB_EEDaSZ_S10_SG_SL_EUlSZ_E_NS1_11comp_targetILNS1_3genE9ELNS1_11target_archE1100ELNS1_3gpuE3ELNS1_3repE0EEENS1_47radix_sort_onesweep_sort_config_static_selectorELNS0_4arch9wavefront6targetE0EEEvSG_.private_seg_size, 0
	.set _ZN7rocprim17ROCPRIM_400000_NS6detail17trampoline_kernelINS0_14default_configENS1_35radix_sort_onesweep_config_selectorItNS0_10empty_typeEEEZZNS1_29radix_sort_onesweep_iterationIS3_Lb0EPKtPtPS5_SB_mNS0_19identity_decomposerENS1_16block_id_wrapperIjLb0EEEEE10hipError_tT1_PNSt15iterator_traitsISG_E10value_typeET2_T3_PNSH_ISM_E10value_typeET4_T5_PSR_SS_PNS1_23onesweep_lookback_stateEbbT6_jjT7_P12ihipStream_tbENKUlT_T0_SG_SL_E_clIS9_SA_SB_SB_EEDaSZ_S10_SG_SL_EUlSZ_E_NS1_11comp_targetILNS1_3genE9ELNS1_11target_archE1100ELNS1_3gpuE3ELNS1_3repE0EEENS1_47radix_sort_onesweep_sort_config_static_selectorELNS0_4arch9wavefront6targetE0EEEvSG_.uses_vcc, 0
	.set _ZN7rocprim17ROCPRIM_400000_NS6detail17trampoline_kernelINS0_14default_configENS1_35radix_sort_onesweep_config_selectorItNS0_10empty_typeEEEZZNS1_29radix_sort_onesweep_iterationIS3_Lb0EPKtPtPS5_SB_mNS0_19identity_decomposerENS1_16block_id_wrapperIjLb0EEEEE10hipError_tT1_PNSt15iterator_traitsISG_E10value_typeET2_T3_PNSH_ISM_E10value_typeET4_T5_PSR_SS_PNS1_23onesweep_lookback_stateEbbT6_jjT7_P12ihipStream_tbENKUlT_T0_SG_SL_E_clIS9_SA_SB_SB_EEDaSZ_S10_SG_SL_EUlSZ_E_NS1_11comp_targetILNS1_3genE9ELNS1_11target_archE1100ELNS1_3gpuE3ELNS1_3repE0EEENS1_47radix_sort_onesweep_sort_config_static_selectorELNS0_4arch9wavefront6targetE0EEEvSG_.uses_flat_scratch, 0
	.set _ZN7rocprim17ROCPRIM_400000_NS6detail17trampoline_kernelINS0_14default_configENS1_35radix_sort_onesweep_config_selectorItNS0_10empty_typeEEEZZNS1_29radix_sort_onesweep_iterationIS3_Lb0EPKtPtPS5_SB_mNS0_19identity_decomposerENS1_16block_id_wrapperIjLb0EEEEE10hipError_tT1_PNSt15iterator_traitsISG_E10value_typeET2_T3_PNSH_ISM_E10value_typeET4_T5_PSR_SS_PNS1_23onesweep_lookback_stateEbbT6_jjT7_P12ihipStream_tbENKUlT_T0_SG_SL_E_clIS9_SA_SB_SB_EEDaSZ_S10_SG_SL_EUlSZ_E_NS1_11comp_targetILNS1_3genE9ELNS1_11target_archE1100ELNS1_3gpuE3ELNS1_3repE0EEENS1_47radix_sort_onesweep_sort_config_static_selectorELNS0_4arch9wavefront6targetE0EEEvSG_.has_dyn_sized_stack, 0
	.set _ZN7rocprim17ROCPRIM_400000_NS6detail17trampoline_kernelINS0_14default_configENS1_35radix_sort_onesweep_config_selectorItNS0_10empty_typeEEEZZNS1_29radix_sort_onesweep_iterationIS3_Lb0EPKtPtPS5_SB_mNS0_19identity_decomposerENS1_16block_id_wrapperIjLb0EEEEE10hipError_tT1_PNSt15iterator_traitsISG_E10value_typeET2_T3_PNSH_ISM_E10value_typeET4_T5_PSR_SS_PNS1_23onesweep_lookback_stateEbbT6_jjT7_P12ihipStream_tbENKUlT_T0_SG_SL_E_clIS9_SA_SB_SB_EEDaSZ_S10_SG_SL_EUlSZ_E_NS1_11comp_targetILNS1_3genE9ELNS1_11target_archE1100ELNS1_3gpuE3ELNS1_3repE0EEENS1_47radix_sort_onesweep_sort_config_static_selectorELNS0_4arch9wavefront6targetE0EEEvSG_.has_recursion, 0
	.set _ZN7rocprim17ROCPRIM_400000_NS6detail17trampoline_kernelINS0_14default_configENS1_35radix_sort_onesweep_config_selectorItNS0_10empty_typeEEEZZNS1_29radix_sort_onesweep_iterationIS3_Lb0EPKtPtPS5_SB_mNS0_19identity_decomposerENS1_16block_id_wrapperIjLb0EEEEE10hipError_tT1_PNSt15iterator_traitsISG_E10value_typeET2_T3_PNSH_ISM_E10value_typeET4_T5_PSR_SS_PNS1_23onesweep_lookback_stateEbbT6_jjT7_P12ihipStream_tbENKUlT_T0_SG_SL_E_clIS9_SA_SB_SB_EEDaSZ_S10_SG_SL_EUlSZ_E_NS1_11comp_targetILNS1_3genE9ELNS1_11target_archE1100ELNS1_3gpuE3ELNS1_3repE0EEENS1_47radix_sort_onesweep_sort_config_static_selectorELNS0_4arch9wavefront6targetE0EEEvSG_.has_indirect_call, 0
	.section	.AMDGPU.csdata,"",@progbits
; Kernel info:
; codeLenInByte = 0
; TotalNumSgprs: 0
; NumVgprs: 0
; ScratchSize: 0
; MemoryBound: 0
; FloatMode: 240
; IeeeMode: 1
; LDSByteSize: 0 bytes/workgroup (compile time only)
; SGPRBlocks: 0
; VGPRBlocks: 0
; NumSGPRsForWavesPerEU: 1
; NumVGPRsForWavesPerEU: 1
; NamedBarCnt: 0
; Occupancy: 16
; WaveLimiterHint : 0
; COMPUTE_PGM_RSRC2:SCRATCH_EN: 0
; COMPUTE_PGM_RSRC2:USER_SGPR: 2
; COMPUTE_PGM_RSRC2:TRAP_HANDLER: 0
; COMPUTE_PGM_RSRC2:TGID_X_EN: 1
; COMPUTE_PGM_RSRC2:TGID_Y_EN: 0
; COMPUTE_PGM_RSRC2:TGID_Z_EN: 0
; COMPUTE_PGM_RSRC2:TIDIG_COMP_CNT: 0
	.section	.text._ZN7rocprim17ROCPRIM_400000_NS6detail17trampoline_kernelINS0_14default_configENS1_35radix_sort_onesweep_config_selectorItNS0_10empty_typeEEEZZNS1_29radix_sort_onesweep_iterationIS3_Lb0EPKtPtPS5_SB_mNS0_19identity_decomposerENS1_16block_id_wrapperIjLb0EEEEE10hipError_tT1_PNSt15iterator_traitsISG_E10value_typeET2_T3_PNSH_ISM_E10value_typeET4_T5_PSR_SS_PNS1_23onesweep_lookback_stateEbbT6_jjT7_P12ihipStream_tbENKUlT_T0_SG_SL_E_clIS9_SA_SB_SB_EEDaSZ_S10_SG_SL_EUlSZ_E_NS1_11comp_targetILNS1_3genE8ELNS1_11target_archE1030ELNS1_3gpuE2ELNS1_3repE0EEENS1_47radix_sort_onesweep_sort_config_static_selectorELNS0_4arch9wavefront6targetE0EEEvSG_,"axG",@progbits,_ZN7rocprim17ROCPRIM_400000_NS6detail17trampoline_kernelINS0_14default_configENS1_35radix_sort_onesweep_config_selectorItNS0_10empty_typeEEEZZNS1_29radix_sort_onesweep_iterationIS3_Lb0EPKtPtPS5_SB_mNS0_19identity_decomposerENS1_16block_id_wrapperIjLb0EEEEE10hipError_tT1_PNSt15iterator_traitsISG_E10value_typeET2_T3_PNSH_ISM_E10value_typeET4_T5_PSR_SS_PNS1_23onesweep_lookback_stateEbbT6_jjT7_P12ihipStream_tbENKUlT_T0_SG_SL_E_clIS9_SA_SB_SB_EEDaSZ_S10_SG_SL_EUlSZ_E_NS1_11comp_targetILNS1_3genE8ELNS1_11target_archE1030ELNS1_3gpuE2ELNS1_3repE0EEENS1_47radix_sort_onesweep_sort_config_static_selectorELNS0_4arch9wavefront6targetE0EEEvSG_,comdat
	.protected	_ZN7rocprim17ROCPRIM_400000_NS6detail17trampoline_kernelINS0_14default_configENS1_35radix_sort_onesweep_config_selectorItNS0_10empty_typeEEEZZNS1_29radix_sort_onesweep_iterationIS3_Lb0EPKtPtPS5_SB_mNS0_19identity_decomposerENS1_16block_id_wrapperIjLb0EEEEE10hipError_tT1_PNSt15iterator_traitsISG_E10value_typeET2_T3_PNSH_ISM_E10value_typeET4_T5_PSR_SS_PNS1_23onesweep_lookback_stateEbbT6_jjT7_P12ihipStream_tbENKUlT_T0_SG_SL_E_clIS9_SA_SB_SB_EEDaSZ_S10_SG_SL_EUlSZ_E_NS1_11comp_targetILNS1_3genE8ELNS1_11target_archE1030ELNS1_3gpuE2ELNS1_3repE0EEENS1_47radix_sort_onesweep_sort_config_static_selectorELNS0_4arch9wavefront6targetE0EEEvSG_ ; -- Begin function _ZN7rocprim17ROCPRIM_400000_NS6detail17trampoline_kernelINS0_14default_configENS1_35radix_sort_onesweep_config_selectorItNS0_10empty_typeEEEZZNS1_29radix_sort_onesweep_iterationIS3_Lb0EPKtPtPS5_SB_mNS0_19identity_decomposerENS1_16block_id_wrapperIjLb0EEEEE10hipError_tT1_PNSt15iterator_traitsISG_E10value_typeET2_T3_PNSH_ISM_E10value_typeET4_T5_PSR_SS_PNS1_23onesweep_lookback_stateEbbT6_jjT7_P12ihipStream_tbENKUlT_T0_SG_SL_E_clIS9_SA_SB_SB_EEDaSZ_S10_SG_SL_EUlSZ_E_NS1_11comp_targetILNS1_3genE8ELNS1_11target_archE1030ELNS1_3gpuE2ELNS1_3repE0EEENS1_47radix_sort_onesweep_sort_config_static_selectorELNS0_4arch9wavefront6targetE0EEEvSG_
	.globl	_ZN7rocprim17ROCPRIM_400000_NS6detail17trampoline_kernelINS0_14default_configENS1_35radix_sort_onesweep_config_selectorItNS0_10empty_typeEEEZZNS1_29radix_sort_onesweep_iterationIS3_Lb0EPKtPtPS5_SB_mNS0_19identity_decomposerENS1_16block_id_wrapperIjLb0EEEEE10hipError_tT1_PNSt15iterator_traitsISG_E10value_typeET2_T3_PNSH_ISM_E10value_typeET4_T5_PSR_SS_PNS1_23onesweep_lookback_stateEbbT6_jjT7_P12ihipStream_tbENKUlT_T0_SG_SL_E_clIS9_SA_SB_SB_EEDaSZ_S10_SG_SL_EUlSZ_E_NS1_11comp_targetILNS1_3genE8ELNS1_11target_archE1030ELNS1_3gpuE2ELNS1_3repE0EEENS1_47radix_sort_onesweep_sort_config_static_selectorELNS0_4arch9wavefront6targetE0EEEvSG_
	.p2align	8
	.type	_ZN7rocprim17ROCPRIM_400000_NS6detail17trampoline_kernelINS0_14default_configENS1_35radix_sort_onesweep_config_selectorItNS0_10empty_typeEEEZZNS1_29radix_sort_onesweep_iterationIS3_Lb0EPKtPtPS5_SB_mNS0_19identity_decomposerENS1_16block_id_wrapperIjLb0EEEEE10hipError_tT1_PNSt15iterator_traitsISG_E10value_typeET2_T3_PNSH_ISM_E10value_typeET4_T5_PSR_SS_PNS1_23onesweep_lookback_stateEbbT6_jjT7_P12ihipStream_tbENKUlT_T0_SG_SL_E_clIS9_SA_SB_SB_EEDaSZ_S10_SG_SL_EUlSZ_E_NS1_11comp_targetILNS1_3genE8ELNS1_11target_archE1030ELNS1_3gpuE2ELNS1_3repE0EEENS1_47radix_sort_onesweep_sort_config_static_selectorELNS0_4arch9wavefront6targetE0EEEvSG_,@function
_ZN7rocprim17ROCPRIM_400000_NS6detail17trampoline_kernelINS0_14default_configENS1_35radix_sort_onesweep_config_selectorItNS0_10empty_typeEEEZZNS1_29radix_sort_onesweep_iterationIS3_Lb0EPKtPtPS5_SB_mNS0_19identity_decomposerENS1_16block_id_wrapperIjLb0EEEEE10hipError_tT1_PNSt15iterator_traitsISG_E10value_typeET2_T3_PNSH_ISM_E10value_typeET4_T5_PSR_SS_PNS1_23onesweep_lookback_stateEbbT6_jjT7_P12ihipStream_tbENKUlT_T0_SG_SL_E_clIS9_SA_SB_SB_EEDaSZ_S10_SG_SL_EUlSZ_E_NS1_11comp_targetILNS1_3genE8ELNS1_11target_archE1030ELNS1_3gpuE2ELNS1_3repE0EEENS1_47radix_sort_onesweep_sort_config_static_selectorELNS0_4arch9wavefront6targetE0EEEvSG_: ; @_ZN7rocprim17ROCPRIM_400000_NS6detail17trampoline_kernelINS0_14default_configENS1_35radix_sort_onesweep_config_selectorItNS0_10empty_typeEEEZZNS1_29radix_sort_onesweep_iterationIS3_Lb0EPKtPtPS5_SB_mNS0_19identity_decomposerENS1_16block_id_wrapperIjLb0EEEEE10hipError_tT1_PNSt15iterator_traitsISG_E10value_typeET2_T3_PNSH_ISM_E10value_typeET4_T5_PSR_SS_PNS1_23onesweep_lookback_stateEbbT6_jjT7_P12ihipStream_tbENKUlT_T0_SG_SL_E_clIS9_SA_SB_SB_EEDaSZ_S10_SG_SL_EUlSZ_E_NS1_11comp_targetILNS1_3genE8ELNS1_11target_archE1030ELNS1_3gpuE2ELNS1_3repE0EEENS1_47radix_sort_onesweep_sort_config_static_selectorELNS0_4arch9wavefront6targetE0EEEvSG_
; %bb.0:
	.section	.rodata,"a",@progbits
	.p2align	6, 0x0
	.amdhsa_kernel _ZN7rocprim17ROCPRIM_400000_NS6detail17trampoline_kernelINS0_14default_configENS1_35radix_sort_onesweep_config_selectorItNS0_10empty_typeEEEZZNS1_29radix_sort_onesweep_iterationIS3_Lb0EPKtPtPS5_SB_mNS0_19identity_decomposerENS1_16block_id_wrapperIjLb0EEEEE10hipError_tT1_PNSt15iterator_traitsISG_E10value_typeET2_T3_PNSH_ISM_E10value_typeET4_T5_PSR_SS_PNS1_23onesweep_lookback_stateEbbT6_jjT7_P12ihipStream_tbENKUlT_T0_SG_SL_E_clIS9_SA_SB_SB_EEDaSZ_S10_SG_SL_EUlSZ_E_NS1_11comp_targetILNS1_3genE8ELNS1_11target_archE1030ELNS1_3gpuE2ELNS1_3repE0EEENS1_47radix_sort_onesweep_sort_config_static_selectorELNS0_4arch9wavefront6targetE0EEEvSG_
		.amdhsa_group_segment_fixed_size 0
		.amdhsa_private_segment_fixed_size 0
		.amdhsa_kernarg_size 88
		.amdhsa_user_sgpr_count 2
		.amdhsa_user_sgpr_dispatch_ptr 0
		.amdhsa_user_sgpr_queue_ptr 0
		.amdhsa_user_sgpr_kernarg_segment_ptr 1
		.amdhsa_user_sgpr_dispatch_id 0
		.amdhsa_user_sgpr_kernarg_preload_length 0
		.amdhsa_user_sgpr_kernarg_preload_offset 0
		.amdhsa_user_sgpr_private_segment_size 0
		.amdhsa_wavefront_size32 1
		.amdhsa_uses_dynamic_stack 0
		.amdhsa_enable_private_segment 0
		.amdhsa_system_sgpr_workgroup_id_x 1
		.amdhsa_system_sgpr_workgroup_id_y 0
		.amdhsa_system_sgpr_workgroup_id_z 0
		.amdhsa_system_sgpr_workgroup_info 0
		.amdhsa_system_vgpr_workitem_id 0
		.amdhsa_next_free_vgpr 1
		.amdhsa_next_free_sgpr 1
		.amdhsa_named_barrier_count 0
		.amdhsa_reserve_vcc 0
		.amdhsa_float_round_mode_32 0
		.amdhsa_float_round_mode_16_64 0
		.amdhsa_float_denorm_mode_32 3
		.amdhsa_float_denorm_mode_16_64 3
		.amdhsa_fp16_overflow 0
		.amdhsa_memory_ordered 1
		.amdhsa_forward_progress 1
		.amdhsa_inst_pref_size 0
		.amdhsa_round_robin_scheduling 0
		.amdhsa_exception_fp_ieee_invalid_op 0
		.amdhsa_exception_fp_denorm_src 0
		.amdhsa_exception_fp_ieee_div_zero 0
		.amdhsa_exception_fp_ieee_overflow 0
		.amdhsa_exception_fp_ieee_underflow 0
		.amdhsa_exception_fp_ieee_inexact 0
		.amdhsa_exception_int_div_zero 0
	.end_amdhsa_kernel
	.section	.text._ZN7rocprim17ROCPRIM_400000_NS6detail17trampoline_kernelINS0_14default_configENS1_35radix_sort_onesweep_config_selectorItNS0_10empty_typeEEEZZNS1_29radix_sort_onesweep_iterationIS3_Lb0EPKtPtPS5_SB_mNS0_19identity_decomposerENS1_16block_id_wrapperIjLb0EEEEE10hipError_tT1_PNSt15iterator_traitsISG_E10value_typeET2_T3_PNSH_ISM_E10value_typeET4_T5_PSR_SS_PNS1_23onesweep_lookback_stateEbbT6_jjT7_P12ihipStream_tbENKUlT_T0_SG_SL_E_clIS9_SA_SB_SB_EEDaSZ_S10_SG_SL_EUlSZ_E_NS1_11comp_targetILNS1_3genE8ELNS1_11target_archE1030ELNS1_3gpuE2ELNS1_3repE0EEENS1_47radix_sort_onesweep_sort_config_static_selectorELNS0_4arch9wavefront6targetE0EEEvSG_,"axG",@progbits,_ZN7rocprim17ROCPRIM_400000_NS6detail17trampoline_kernelINS0_14default_configENS1_35radix_sort_onesweep_config_selectorItNS0_10empty_typeEEEZZNS1_29radix_sort_onesweep_iterationIS3_Lb0EPKtPtPS5_SB_mNS0_19identity_decomposerENS1_16block_id_wrapperIjLb0EEEEE10hipError_tT1_PNSt15iterator_traitsISG_E10value_typeET2_T3_PNSH_ISM_E10value_typeET4_T5_PSR_SS_PNS1_23onesweep_lookback_stateEbbT6_jjT7_P12ihipStream_tbENKUlT_T0_SG_SL_E_clIS9_SA_SB_SB_EEDaSZ_S10_SG_SL_EUlSZ_E_NS1_11comp_targetILNS1_3genE8ELNS1_11target_archE1030ELNS1_3gpuE2ELNS1_3repE0EEENS1_47radix_sort_onesweep_sort_config_static_selectorELNS0_4arch9wavefront6targetE0EEEvSG_,comdat
.Lfunc_end2523:
	.size	_ZN7rocprim17ROCPRIM_400000_NS6detail17trampoline_kernelINS0_14default_configENS1_35radix_sort_onesweep_config_selectorItNS0_10empty_typeEEEZZNS1_29radix_sort_onesweep_iterationIS3_Lb0EPKtPtPS5_SB_mNS0_19identity_decomposerENS1_16block_id_wrapperIjLb0EEEEE10hipError_tT1_PNSt15iterator_traitsISG_E10value_typeET2_T3_PNSH_ISM_E10value_typeET4_T5_PSR_SS_PNS1_23onesweep_lookback_stateEbbT6_jjT7_P12ihipStream_tbENKUlT_T0_SG_SL_E_clIS9_SA_SB_SB_EEDaSZ_S10_SG_SL_EUlSZ_E_NS1_11comp_targetILNS1_3genE8ELNS1_11target_archE1030ELNS1_3gpuE2ELNS1_3repE0EEENS1_47radix_sort_onesweep_sort_config_static_selectorELNS0_4arch9wavefront6targetE0EEEvSG_, .Lfunc_end2523-_ZN7rocprim17ROCPRIM_400000_NS6detail17trampoline_kernelINS0_14default_configENS1_35radix_sort_onesweep_config_selectorItNS0_10empty_typeEEEZZNS1_29radix_sort_onesweep_iterationIS3_Lb0EPKtPtPS5_SB_mNS0_19identity_decomposerENS1_16block_id_wrapperIjLb0EEEEE10hipError_tT1_PNSt15iterator_traitsISG_E10value_typeET2_T3_PNSH_ISM_E10value_typeET4_T5_PSR_SS_PNS1_23onesweep_lookback_stateEbbT6_jjT7_P12ihipStream_tbENKUlT_T0_SG_SL_E_clIS9_SA_SB_SB_EEDaSZ_S10_SG_SL_EUlSZ_E_NS1_11comp_targetILNS1_3genE8ELNS1_11target_archE1030ELNS1_3gpuE2ELNS1_3repE0EEENS1_47radix_sort_onesweep_sort_config_static_selectorELNS0_4arch9wavefront6targetE0EEEvSG_
                                        ; -- End function
	.set _ZN7rocprim17ROCPRIM_400000_NS6detail17trampoline_kernelINS0_14default_configENS1_35radix_sort_onesweep_config_selectorItNS0_10empty_typeEEEZZNS1_29radix_sort_onesweep_iterationIS3_Lb0EPKtPtPS5_SB_mNS0_19identity_decomposerENS1_16block_id_wrapperIjLb0EEEEE10hipError_tT1_PNSt15iterator_traitsISG_E10value_typeET2_T3_PNSH_ISM_E10value_typeET4_T5_PSR_SS_PNS1_23onesweep_lookback_stateEbbT6_jjT7_P12ihipStream_tbENKUlT_T0_SG_SL_E_clIS9_SA_SB_SB_EEDaSZ_S10_SG_SL_EUlSZ_E_NS1_11comp_targetILNS1_3genE8ELNS1_11target_archE1030ELNS1_3gpuE2ELNS1_3repE0EEENS1_47radix_sort_onesweep_sort_config_static_selectorELNS0_4arch9wavefront6targetE0EEEvSG_.num_vgpr, 0
	.set _ZN7rocprim17ROCPRIM_400000_NS6detail17trampoline_kernelINS0_14default_configENS1_35radix_sort_onesweep_config_selectorItNS0_10empty_typeEEEZZNS1_29radix_sort_onesweep_iterationIS3_Lb0EPKtPtPS5_SB_mNS0_19identity_decomposerENS1_16block_id_wrapperIjLb0EEEEE10hipError_tT1_PNSt15iterator_traitsISG_E10value_typeET2_T3_PNSH_ISM_E10value_typeET4_T5_PSR_SS_PNS1_23onesweep_lookback_stateEbbT6_jjT7_P12ihipStream_tbENKUlT_T0_SG_SL_E_clIS9_SA_SB_SB_EEDaSZ_S10_SG_SL_EUlSZ_E_NS1_11comp_targetILNS1_3genE8ELNS1_11target_archE1030ELNS1_3gpuE2ELNS1_3repE0EEENS1_47radix_sort_onesweep_sort_config_static_selectorELNS0_4arch9wavefront6targetE0EEEvSG_.num_agpr, 0
	.set _ZN7rocprim17ROCPRIM_400000_NS6detail17trampoline_kernelINS0_14default_configENS1_35radix_sort_onesweep_config_selectorItNS0_10empty_typeEEEZZNS1_29radix_sort_onesweep_iterationIS3_Lb0EPKtPtPS5_SB_mNS0_19identity_decomposerENS1_16block_id_wrapperIjLb0EEEEE10hipError_tT1_PNSt15iterator_traitsISG_E10value_typeET2_T3_PNSH_ISM_E10value_typeET4_T5_PSR_SS_PNS1_23onesweep_lookback_stateEbbT6_jjT7_P12ihipStream_tbENKUlT_T0_SG_SL_E_clIS9_SA_SB_SB_EEDaSZ_S10_SG_SL_EUlSZ_E_NS1_11comp_targetILNS1_3genE8ELNS1_11target_archE1030ELNS1_3gpuE2ELNS1_3repE0EEENS1_47radix_sort_onesweep_sort_config_static_selectorELNS0_4arch9wavefront6targetE0EEEvSG_.numbered_sgpr, 0
	.set _ZN7rocprim17ROCPRIM_400000_NS6detail17trampoline_kernelINS0_14default_configENS1_35radix_sort_onesweep_config_selectorItNS0_10empty_typeEEEZZNS1_29radix_sort_onesweep_iterationIS3_Lb0EPKtPtPS5_SB_mNS0_19identity_decomposerENS1_16block_id_wrapperIjLb0EEEEE10hipError_tT1_PNSt15iterator_traitsISG_E10value_typeET2_T3_PNSH_ISM_E10value_typeET4_T5_PSR_SS_PNS1_23onesweep_lookback_stateEbbT6_jjT7_P12ihipStream_tbENKUlT_T0_SG_SL_E_clIS9_SA_SB_SB_EEDaSZ_S10_SG_SL_EUlSZ_E_NS1_11comp_targetILNS1_3genE8ELNS1_11target_archE1030ELNS1_3gpuE2ELNS1_3repE0EEENS1_47radix_sort_onesweep_sort_config_static_selectorELNS0_4arch9wavefront6targetE0EEEvSG_.num_named_barrier, 0
	.set _ZN7rocprim17ROCPRIM_400000_NS6detail17trampoline_kernelINS0_14default_configENS1_35radix_sort_onesweep_config_selectorItNS0_10empty_typeEEEZZNS1_29radix_sort_onesweep_iterationIS3_Lb0EPKtPtPS5_SB_mNS0_19identity_decomposerENS1_16block_id_wrapperIjLb0EEEEE10hipError_tT1_PNSt15iterator_traitsISG_E10value_typeET2_T3_PNSH_ISM_E10value_typeET4_T5_PSR_SS_PNS1_23onesweep_lookback_stateEbbT6_jjT7_P12ihipStream_tbENKUlT_T0_SG_SL_E_clIS9_SA_SB_SB_EEDaSZ_S10_SG_SL_EUlSZ_E_NS1_11comp_targetILNS1_3genE8ELNS1_11target_archE1030ELNS1_3gpuE2ELNS1_3repE0EEENS1_47radix_sort_onesweep_sort_config_static_selectorELNS0_4arch9wavefront6targetE0EEEvSG_.private_seg_size, 0
	.set _ZN7rocprim17ROCPRIM_400000_NS6detail17trampoline_kernelINS0_14default_configENS1_35radix_sort_onesweep_config_selectorItNS0_10empty_typeEEEZZNS1_29radix_sort_onesweep_iterationIS3_Lb0EPKtPtPS5_SB_mNS0_19identity_decomposerENS1_16block_id_wrapperIjLb0EEEEE10hipError_tT1_PNSt15iterator_traitsISG_E10value_typeET2_T3_PNSH_ISM_E10value_typeET4_T5_PSR_SS_PNS1_23onesweep_lookback_stateEbbT6_jjT7_P12ihipStream_tbENKUlT_T0_SG_SL_E_clIS9_SA_SB_SB_EEDaSZ_S10_SG_SL_EUlSZ_E_NS1_11comp_targetILNS1_3genE8ELNS1_11target_archE1030ELNS1_3gpuE2ELNS1_3repE0EEENS1_47radix_sort_onesweep_sort_config_static_selectorELNS0_4arch9wavefront6targetE0EEEvSG_.uses_vcc, 0
	.set _ZN7rocprim17ROCPRIM_400000_NS6detail17trampoline_kernelINS0_14default_configENS1_35radix_sort_onesweep_config_selectorItNS0_10empty_typeEEEZZNS1_29radix_sort_onesweep_iterationIS3_Lb0EPKtPtPS5_SB_mNS0_19identity_decomposerENS1_16block_id_wrapperIjLb0EEEEE10hipError_tT1_PNSt15iterator_traitsISG_E10value_typeET2_T3_PNSH_ISM_E10value_typeET4_T5_PSR_SS_PNS1_23onesweep_lookback_stateEbbT6_jjT7_P12ihipStream_tbENKUlT_T0_SG_SL_E_clIS9_SA_SB_SB_EEDaSZ_S10_SG_SL_EUlSZ_E_NS1_11comp_targetILNS1_3genE8ELNS1_11target_archE1030ELNS1_3gpuE2ELNS1_3repE0EEENS1_47radix_sort_onesweep_sort_config_static_selectorELNS0_4arch9wavefront6targetE0EEEvSG_.uses_flat_scratch, 0
	.set _ZN7rocprim17ROCPRIM_400000_NS6detail17trampoline_kernelINS0_14default_configENS1_35radix_sort_onesweep_config_selectorItNS0_10empty_typeEEEZZNS1_29radix_sort_onesweep_iterationIS3_Lb0EPKtPtPS5_SB_mNS0_19identity_decomposerENS1_16block_id_wrapperIjLb0EEEEE10hipError_tT1_PNSt15iterator_traitsISG_E10value_typeET2_T3_PNSH_ISM_E10value_typeET4_T5_PSR_SS_PNS1_23onesweep_lookback_stateEbbT6_jjT7_P12ihipStream_tbENKUlT_T0_SG_SL_E_clIS9_SA_SB_SB_EEDaSZ_S10_SG_SL_EUlSZ_E_NS1_11comp_targetILNS1_3genE8ELNS1_11target_archE1030ELNS1_3gpuE2ELNS1_3repE0EEENS1_47radix_sort_onesweep_sort_config_static_selectorELNS0_4arch9wavefront6targetE0EEEvSG_.has_dyn_sized_stack, 0
	.set _ZN7rocprim17ROCPRIM_400000_NS6detail17trampoline_kernelINS0_14default_configENS1_35radix_sort_onesweep_config_selectorItNS0_10empty_typeEEEZZNS1_29radix_sort_onesweep_iterationIS3_Lb0EPKtPtPS5_SB_mNS0_19identity_decomposerENS1_16block_id_wrapperIjLb0EEEEE10hipError_tT1_PNSt15iterator_traitsISG_E10value_typeET2_T3_PNSH_ISM_E10value_typeET4_T5_PSR_SS_PNS1_23onesweep_lookback_stateEbbT6_jjT7_P12ihipStream_tbENKUlT_T0_SG_SL_E_clIS9_SA_SB_SB_EEDaSZ_S10_SG_SL_EUlSZ_E_NS1_11comp_targetILNS1_3genE8ELNS1_11target_archE1030ELNS1_3gpuE2ELNS1_3repE0EEENS1_47radix_sort_onesweep_sort_config_static_selectorELNS0_4arch9wavefront6targetE0EEEvSG_.has_recursion, 0
	.set _ZN7rocprim17ROCPRIM_400000_NS6detail17trampoline_kernelINS0_14default_configENS1_35radix_sort_onesweep_config_selectorItNS0_10empty_typeEEEZZNS1_29radix_sort_onesweep_iterationIS3_Lb0EPKtPtPS5_SB_mNS0_19identity_decomposerENS1_16block_id_wrapperIjLb0EEEEE10hipError_tT1_PNSt15iterator_traitsISG_E10value_typeET2_T3_PNSH_ISM_E10value_typeET4_T5_PSR_SS_PNS1_23onesweep_lookback_stateEbbT6_jjT7_P12ihipStream_tbENKUlT_T0_SG_SL_E_clIS9_SA_SB_SB_EEDaSZ_S10_SG_SL_EUlSZ_E_NS1_11comp_targetILNS1_3genE8ELNS1_11target_archE1030ELNS1_3gpuE2ELNS1_3repE0EEENS1_47radix_sort_onesweep_sort_config_static_selectorELNS0_4arch9wavefront6targetE0EEEvSG_.has_indirect_call, 0
	.section	.AMDGPU.csdata,"",@progbits
; Kernel info:
; codeLenInByte = 0
; TotalNumSgprs: 0
; NumVgprs: 0
; ScratchSize: 0
; MemoryBound: 0
; FloatMode: 240
; IeeeMode: 1
; LDSByteSize: 0 bytes/workgroup (compile time only)
; SGPRBlocks: 0
; VGPRBlocks: 0
; NumSGPRsForWavesPerEU: 1
; NumVGPRsForWavesPerEU: 1
; NamedBarCnt: 0
; Occupancy: 16
; WaveLimiterHint : 0
; COMPUTE_PGM_RSRC2:SCRATCH_EN: 0
; COMPUTE_PGM_RSRC2:USER_SGPR: 2
; COMPUTE_PGM_RSRC2:TRAP_HANDLER: 0
; COMPUTE_PGM_RSRC2:TGID_X_EN: 1
; COMPUTE_PGM_RSRC2:TGID_Y_EN: 0
; COMPUTE_PGM_RSRC2:TGID_Z_EN: 0
; COMPUTE_PGM_RSRC2:TIDIG_COMP_CNT: 0
	.section	.text._ZN7rocprim17ROCPRIM_400000_NS6detail17trampoline_kernelINS0_14default_configENS1_35radix_sort_onesweep_config_selectorItNS0_10empty_typeEEEZZNS1_29radix_sort_onesweep_iterationIS3_Lb0EPKtPtPS5_SB_mNS0_19identity_decomposerENS1_16block_id_wrapperIjLb0EEEEE10hipError_tT1_PNSt15iterator_traitsISG_E10value_typeET2_T3_PNSH_ISM_E10value_typeET4_T5_PSR_SS_PNS1_23onesweep_lookback_stateEbbT6_jjT7_P12ihipStream_tbENKUlT_T0_SG_SL_E_clISA_SA_SB_SB_EEDaSZ_S10_SG_SL_EUlSZ_E_NS1_11comp_targetILNS1_3genE0ELNS1_11target_archE4294967295ELNS1_3gpuE0ELNS1_3repE0EEENS1_47radix_sort_onesweep_sort_config_static_selectorELNS0_4arch9wavefront6targetE0EEEvSG_,"axG",@progbits,_ZN7rocprim17ROCPRIM_400000_NS6detail17trampoline_kernelINS0_14default_configENS1_35radix_sort_onesweep_config_selectorItNS0_10empty_typeEEEZZNS1_29radix_sort_onesweep_iterationIS3_Lb0EPKtPtPS5_SB_mNS0_19identity_decomposerENS1_16block_id_wrapperIjLb0EEEEE10hipError_tT1_PNSt15iterator_traitsISG_E10value_typeET2_T3_PNSH_ISM_E10value_typeET4_T5_PSR_SS_PNS1_23onesweep_lookback_stateEbbT6_jjT7_P12ihipStream_tbENKUlT_T0_SG_SL_E_clISA_SA_SB_SB_EEDaSZ_S10_SG_SL_EUlSZ_E_NS1_11comp_targetILNS1_3genE0ELNS1_11target_archE4294967295ELNS1_3gpuE0ELNS1_3repE0EEENS1_47radix_sort_onesweep_sort_config_static_selectorELNS0_4arch9wavefront6targetE0EEEvSG_,comdat
	.protected	_ZN7rocprim17ROCPRIM_400000_NS6detail17trampoline_kernelINS0_14default_configENS1_35radix_sort_onesweep_config_selectorItNS0_10empty_typeEEEZZNS1_29radix_sort_onesweep_iterationIS3_Lb0EPKtPtPS5_SB_mNS0_19identity_decomposerENS1_16block_id_wrapperIjLb0EEEEE10hipError_tT1_PNSt15iterator_traitsISG_E10value_typeET2_T3_PNSH_ISM_E10value_typeET4_T5_PSR_SS_PNS1_23onesweep_lookback_stateEbbT6_jjT7_P12ihipStream_tbENKUlT_T0_SG_SL_E_clISA_SA_SB_SB_EEDaSZ_S10_SG_SL_EUlSZ_E_NS1_11comp_targetILNS1_3genE0ELNS1_11target_archE4294967295ELNS1_3gpuE0ELNS1_3repE0EEENS1_47radix_sort_onesweep_sort_config_static_selectorELNS0_4arch9wavefront6targetE0EEEvSG_ ; -- Begin function _ZN7rocprim17ROCPRIM_400000_NS6detail17trampoline_kernelINS0_14default_configENS1_35radix_sort_onesweep_config_selectorItNS0_10empty_typeEEEZZNS1_29radix_sort_onesweep_iterationIS3_Lb0EPKtPtPS5_SB_mNS0_19identity_decomposerENS1_16block_id_wrapperIjLb0EEEEE10hipError_tT1_PNSt15iterator_traitsISG_E10value_typeET2_T3_PNSH_ISM_E10value_typeET4_T5_PSR_SS_PNS1_23onesweep_lookback_stateEbbT6_jjT7_P12ihipStream_tbENKUlT_T0_SG_SL_E_clISA_SA_SB_SB_EEDaSZ_S10_SG_SL_EUlSZ_E_NS1_11comp_targetILNS1_3genE0ELNS1_11target_archE4294967295ELNS1_3gpuE0ELNS1_3repE0EEENS1_47radix_sort_onesweep_sort_config_static_selectorELNS0_4arch9wavefront6targetE0EEEvSG_
	.globl	_ZN7rocprim17ROCPRIM_400000_NS6detail17trampoline_kernelINS0_14default_configENS1_35radix_sort_onesweep_config_selectorItNS0_10empty_typeEEEZZNS1_29radix_sort_onesweep_iterationIS3_Lb0EPKtPtPS5_SB_mNS0_19identity_decomposerENS1_16block_id_wrapperIjLb0EEEEE10hipError_tT1_PNSt15iterator_traitsISG_E10value_typeET2_T3_PNSH_ISM_E10value_typeET4_T5_PSR_SS_PNS1_23onesweep_lookback_stateEbbT6_jjT7_P12ihipStream_tbENKUlT_T0_SG_SL_E_clISA_SA_SB_SB_EEDaSZ_S10_SG_SL_EUlSZ_E_NS1_11comp_targetILNS1_3genE0ELNS1_11target_archE4294967295ELNS1_3gpuE0ELNS1_3repE0EEENS1_47radix_sort_onesweep_sort_config_static_selectorELNS0_4arch9wavefront6targetE0EEEvSG_
	.p2align	8
	.type	_ZN7rocprim17ROCPRIM_400000_NS6detail17trampoline_kernelINS0_14default_configENS1_35radix_sort_onesweep_config_selectorItNS0_10empty_typeEEEZZNS1_29radix_sort_onesweep_iterationIS3_Lb0EPKtPtPS5_SB_mNS0_19identity_decomposerENS1_16block_id_wrapperIjLb0EEEEE10hipError_tT1_PNSt15iterator_traitsISG_E10value_typeET2_T3_PNSH_ISM_E10value_typeET4_T5_PSR_SS_PNS1_23onesweep_lookback_stateEbbT6_jjT7_P12ihipStream_tbENKUlT_T0_SG_SL_E_clISA_SA_SB_SB_EEDaSZ_S10_SG_SL_EUlSZ_E_NS1_11comp_targetILNS1_3genE0ELNS1_11target_archE4294967295ELNS1_3gpuE0ELNS1_3repE0EEENS1_47radix_sort_onesweep_sort_config_static_selectorELNS0_4arch9wavefront6targetE0EEEvSG_,@function
_ZN7rocprim17ROCPRIM_400000_NS6detail17trampoline_kernelINS0_14default_configENS1_35radix_sort_onesweep_config_selectorItNS0_10empty_typeEEEZZNS1_29radix_sort_onesweep_iterationIS3_Lb0EPKtPtPS5_SB_mNS0_19identity_decomposerENS1_16block_id_wrapperIjLb0EEEEE10hipError_tT1_PNSt15iterator_traitsISG_E10value_typeET2_T3_PNSH_ISM_E10value_typeET4_T5_PSR_SS_PNS1_23onesweep_lookback_stateEbbT6_jjT7_P12ihipStream_tbENKUlT_T0_SG_SL_E_clISA_SA_SB_SB_EEDaSZ_S10_SG_SL_EUlSZ_E_NS1_11comp_targetILNS1_3genE0ELNS1_11target_archE4294967295ELNS1_3gpuE0ELNS1_3repE0EEENS1_47radix_sort_onesweep_sort_config_static_selectorELNS0_4arch9wavefront6targetE0EEEvSG_: ; @_ZN7rocprim17ROCPRIM_400000_NS6detail17trampoline_kernelINS0_14default_configENS1_35radix_sort_onesweep_config_selectorItNS0_10empty_typeEEEZZNS1_29radix_sort_onesweep_iterationIS3_Lb0EPKtPtPS5_SB_mNS0_19identity_decomposerENS1_16block_id_wrapperIjLb0EEEEE10hipError_tT1_PNSt15iterator_traitsISG_E10value_typeET2_T3_PNSH_ISM_E10value_typeET4_T5_PSR_SS_PNS1_23onesweep_lookback_stateEbbT6_jjT7_P12ihipStream_tbENKUlT_T0_SG_SL_E_clISA_SA_SB_SB_EEDaSZ_S10_SG_SL_EUlSZ_E_NS1_11comp_targetILNS1_3genE0ELNS1_11target_archE4294967295ELNS1_3gpuE0ELNS1_3repE0EEENS1_47radix_sort_onesweep_sort_config_static_selectorELNS0_4arch9wavefront6targetE0EEEvSG_
; %bb.0:
	s_clause 0x3
	s_load_b96 s[20:22], s[0:1], 0x44
	s_load_b64 s[10:11], s[0:1], 0x38
	s_load_b128 s[16:19], s[0:1], 0x0
	s_load_b128 s[12:15], s[0:1], 0x28
	s_bfe_u32 s2, ttmp6, 0x4000c
	s_and_b32 s3, ttmp6, 15
	s_add_co_i32 s2, s2, 1
	s_getreg_b32 s4, hwreg(HW_REG_IB_STS2, 6, 4)
	s_mul_i32 s5, ttmp9, s2
	v_mbcnt_lo_u32_b32 v14, -1, 0
	s_add_co_i32 s3, s3, s5
	s_cmp_eq_u32 s4, 0
	v_and_b32_e32 v15, 0x1e0, v0
	s_cselect_b32 s9, ttmp9, s3
	s_mov_b32 s25, 0
	s_mov_b32 s2, -1
	s_mul_i32 s24, s9, 0x1800
	s_add_nc_u64 s[26:27], s[0:1], 0x58
	s_wait_kmcnt 0x0
	s_cmp_ge_u32 s9, s22
	s_cbranch_scc0 .LBB2524_96
; %bb.1:
	s_load_b32 s4, s[0:1], 0x20
	v_dual_mov_b32 v3, 0 :: v_dual_lshlrev_b32 v2, 1, v14
	s_lshl_b64 s[2:3], s[24:25], 1
	v_mul_u32_u24_e32 v1, 12, v15
	s_add_nc_u64 s[2:3], s[16:17], s[2:3]
	v_mov_b32_e32 v27, 0xffff
	v_add_nc_u64_e32 v[4:5], s[2:3], v[2:3]
	s_delay_alu instid0(VALU_DEP_3) | instskip(SKIP_3) | instid1(VALU_DEP_3)
	v_dual_mov_b32 v10, -1 :: v_dual_lshlrev_b32 v2, 1, v1
	v_dual_mov_b32 v11, -1 :: v_dual_bitop2_b32 v1, v14, v1 bitop3:0x54
	v_mov_b32_e32 v24, 0xffff
	s_mul_i32 s5, s22, 0xffffe800
	v_add_nc_u64_e32 v[2:3], v[4:5], v[2:3]
	s_mov_b32 s2, exec_lo
	s_wait_kmcnt 0x0
	s_add_co_i32 s22, s4, s5
	s_delay_alu instid0(SALU_CYCLE_1)
	v_cmpx_gt_u32_e64 s22, v1
	s_cbranch_execz .LBB2524_3
; %bb.2:
	global_load_u16 v11, v[2:3], off
	s_wait_loadcnt 0x0
	v_and_b32_e32 v24, 0xffff, v11
.LBB2524_3:
	s_or_b32 exec_lo, exec_lo, s2
	v_or_b32_e32 v4, 32, v1
	s_mov_b32 s2, exec_lo
	s_delay_alu instid0(VALU_DEP_1)
	v_cmpx_gt_u32_e64 s22, v4
	s_cbranch_execz .LBB2524_5
; %bb.4:
	global_load_u16 v10, v[2:3], off offset:64
	s_wait_loadcnt 0x0
	v_and_b32_e32 v27, 0xffff, v10
.LBB2524_5:
	s_or_b32 exec_lo, exec_lo, s2
	v_dual_mov_b32 v12, -1 :: v_dual_bitop2_b32 v4, 64, v1 bitop3:0x54
	v_dual_mov_b32 v33, 0xffff :: v_dual_mov_b32 v30, 0xffff
	v_mov_b32_e32 v13, -1
	s_mov_b32 s2, exec_lo
	s_delay_alu instid0(VALU_DEP_3)
	v_cmpx_gt_u32_e64 s22, v4
	s_cbranch_execz .LBB2524_7
; %bb.6:
	global_load_u16 v13, v[2:3], off offset:128
	s_wait_loadcnt 0x0
	v_and_b32_e32 v30, 0xffff, v13
.LBB2524_7:
	s_or_b32 exec_lo, exec_lo, s2
	v_or_b32_e32 v4, 0x60, v1
	s_mov_b32 s2, exec_lo
	s_delay_alu instid0(VALU_DEP_1)
	v_cmpx_gt_u32_e64 s22, v4
	s_cbranch_execz .LBB2524_9
; %bb.8:
	global_load_u16 v12, v[2:3], off offset:192
	s_wait_loadcnt 0x0
	v_and_b32_e32 v33, 0xffff, v12
.LBB2524_9:
	s_or_b32 exec_lo, exec_lo, s2
	v_dual_mov_b32 v17, -1 :: v_dual_add_nc_u32 v4, 0x80, v1
	v_dual_mov_b32 v39, 0xffff :: v_dual_mov_b32 v16, -1
	v_mov_b32_e32 v36, 0xffff
	s_mov_b32 s2, exec_lo
	s_delay_alu instid0(VALU_DEP_3)
	v_cmpx_gt_u32_e64 s22, v4
	s_cbranch_execz .LBB2524_11
; %bb.10:
	global_load_u16 v17, v[2:3], off offset:256
	s_wait_loadcnt 0x0
	v_and_b32_e32 v36, 0xffff, v17
.LBB2524_11:
	s_or_b32 exec_lo, exec_lo, s2
	v_add_nc_u32_e32 v4, 0xa0, v1
	s_mov_b32 s2, exec_lo
	s_delay_alu instid0(VALU_DEP_1)
	v_cmpx_gt_u32_e64 s22, v4
	s_cbranch_execz .LBB2524_13
; %bb.12:
	global_load_u16 v16, v[2:3], off offset:320
	s_wait_loadcnt 0x0
	v_and_b32_e32 v39, 0xffff, v16
.LBB2524_13:
	s_or_b32 exec_lo, exec_lo, s2
	v_dual_mov_b32 v19, -1 :: v_dual_add_nc_u32 v4, 0xc0, v1
	v_dual_mov_b32 v8, 0xffff :: v_dual_mov_b32 v9, 0xffff
	v_mov_b32_e32 v18, -1
	s_mov_b32 s2, exec_lo
	s_delay_alu instid0(VALU_DEP_3)
	v_cmpx_gt_u32_e64 s22, v4
	s_cbranch_execz .LBB2524_15
; %bb.14:
	global_load_u16 v19, v[2:3], off offset:384
	s_wait_loadcnt 0x0
	v_and_b32_e32 v9, 0xffff, v19
.LBB2524_15:
	s_or_b32 exec_lo, exec_lo, s2
	v_add_nc_u32_e32 v4, 0xe0, v1
	s_mov_b32 s2, exec_lo
	s_delay_alu instid0(VALU_DEP_1)
	v_cmpx_gt_u32_e64 s22, v4
	s_cbranch_execz .LBB2524_17
; %bb.16:
	global_load_u16 v18, v[2:3], off offset:448
	s_wait_loadcnt 0x0
	v_and_b32_e32 v8, 0xffff, v18
.LBB2524_17:
	s_or_b32 exec_lo, exec_lo, s2
	v_dual_mov_b32 v21, -1 :: v_dual_add_nc_u32 v4, 0x100, v1
	v_dual_mov_b32 v6, 0xffff :: v_dual_mov_b32 v7, 0xffff
	v_mov_b32_e32 v20, -1
	s_mov_b32 s2, exec_lo
	s_delay_alu instid0(VALU_DEP_3)
	v_cmpx_gt_u32_e64 s22, v4
	s_cbranch_execz .LBB2524_19
; %bb.18:
	global_load_u16 v21, v[2:3], off offset:512
	s_wait_loadcnt 0x0
	v_and_b32_e32 v7, 0xffff, v21
.LBB2524_19:
	s_or_b32 exec_lo, exec_lo, s2
	v_add_nc_u32_e32 v4, 0x120, v1
	s_mov_b32 s2, exec_lo
	s_delay_alu instid0(VALU_DEP_1)
	v_cmpx_gt_u32_e64 s22, v4
	s_cbranch_execz .LBB2524_21
; %bb.20:
	global_load_u16 v20, v[2:3], off offset:576
	s_wait_loadcnt 0x0
	v_and_b32_e32 v6, 0xffff, v20
.LBB2524_21:
	s_or_b32 exec_lo, exec_lo, s2
	v_dual_mov_b32 v22, -1 :: v_dual_add_nc_u32 v5, 0x140, v1
	v_dual_mov_b32 v4, 0xffff :: v_dual_mov_b32 v23, -1
	s_delay_alu instid0(VALU_DEP_2)
	v_cmp_gt_u32_e32 vcc_lo, s22, v5
	v_mov_b32_e32 v5, 0xffff
	s_and_saveexec_b32 s2, vcc_lo
	s_cbranch_execz .LBB2524_23
; %bb.22:
	global_load_u16 v23, v[2:3], off offset:640
	s_wait_loadcnt 0x0
	v_and_b32_e32 v5, 0xffff, v23
.LBB2524_23:
	s_or_b32 exec_lo, exec_lo, s2
	v_add_nc_u32_e32 v25, 0x160, v1
	v_and_b32_e32 v1, 0x3ff, v0
	s_mov_b32 s2, exec_lo
	s_delay_alu instid0(VALU_DEP_2)
	v_cmpx_gt_u32_e64 s22, v25
	s_cbranch_execz .LBB2524_25
; %bb.24:
	global_load_u16 v22, v[2:3], off offset:704
	s_wait_loadcnt 0x0
	v_and_b32_e32 v4, 0xffff, v22
.LBB2524_25:
	s_or_b32 exec_lo, exec_lo, s2
	s_clause 0x1
	s_load_b32 s23, s[0:1], 0x58
	s_load_u16 s4, s[0:1], 0x66
	v_lshrrev_b32_e32 v24, s20, v24
	v_bfe_u32 v2, v0, 10, 10
	v_bfe_u32 v3, v0, 20, 10
	s_mov_b32 s3, 0
	s_wait_kmcnt 0x0
	s_cmp_lt_u32 s9, s23
	s_delay_alu instid0(VALU_DEP_1)
	v_mad_u32_u24 v2, v3, s4, v2
	s_cselect_b32 s2, 12, 18
	s_lshl_b32 s25, -1, s21
	s_add_nc_u64 s[2:3], s[26:27], s[2:3]
	v_bitop3_b32 v26, v24, s25, v24 bitop3:0x30
	s_load_u16 s28, s[2:3], 0x0
	s_delay_alu instid0(VALU_DEP_1) | instskip(SKIP_4) | instid1(VALU_DEP_3)
	v_lshlrev_b32_e32 v25, 30, v26
	v_bitop3_b32 v3, v24, 1, s25 bitop3:0x40
	v_dual_lshlrev_b32 v28, 29, v26 :: v_dual_lshlrev_b32 v29, 28, v26
	v_dual_lshlrev_b32 v31, 27, v26 :: v_dual_lshlrev_b32 v32, 26, v26
	s_wait_xcnt 0x0
	v_add_co_u32 v3, s2, v3, -1
	s_delay_alu instid0(VALU_DEP_1) | instskip(SKIP_3) | instid1(VALU_DEP_4)
	v_cndmask_b32_e64 v24, 0, 1, s2
	v_dual_lshlrev_b32 v34, 25, v26 :: v_dual_lshlrev_b32 v35, 24, v26
	v_cmp_gt_i32_e64 s2, 0, v25
	v_cmp_gt_i32_e64 s3, 0, v28
	v_cmp_ne_u32_e32 vcc_lo, 0, v24
	v_not_b32_e32 v24, v25
	v_not_b32_e32 v25, v28
	;; [unrolled: 1-line block ×3, first 2 shown]
	s_wait_kmcnt 0x0
	v_mad_u32 v2, v2, s28, v1
	v_cmp_gt_i32_e64 s4, 0, v29
	v_dual_ashrrev_i32 v24, 31, v24 :: v_dual_bitop2_b32 v3, vcc_lo, v3 bitop3:0x14
	v_cmp_gt_i32_e64 s5, 0, v31
	v_not_b32_e32 v29, v31
	v_cmp_gt_i32_e64 s6, 0, v32
	v_not_b32_e32 v31, v32
	v_not_b32_e32 v32, v34
	v_dual_ashrrev_i32 v25, 31, v25 :: v_dual_ashrrev_i32 v28, 31, v28
	v_dual_ashrrev_i32 v29, 31, v29 :: v_dual_bitop2_b32 v24, s2, v24 bitop3:0x14
	v_cmp_gt_i32_e64 s7, 0, v34
	v_not_b32_e32 v34, v35
	s_delay_alu instid0(VALU_DEP_4)
	v_dual_ashrrev_i32 v31, 31, v31 :: v_dual_bitop2_b32 v25, s3, v25 bitop3:0x14
	v_xor_b32_e32 v28, s4, v28
	v_bitop3_b32 v3, v3, v24, exec_lo bitop3:0x80
	v_dual_ashrrev_i32 v24, 31, v32 :: v_dual_bitop2_b32 v29, s5, v29 bitop3:0x14
	v_cmp_gt_i32_e64 s8, 0, v35
	v_dual_ashrrev_i32 v32, 31, v34 :: v_dual_bitop2_b32 v31, s6, v31 bitop3:0x14
	s_delay_alu instid0(VALU_DEP_4) | instskip(NEXT) | instid1(VALU_DEP_4)
	v_bitop3_b32 v3, v3, v28, v25 bitop3:0x80
	v_dual_lshrrev_b32 v2, 3, v2 :: v_dual_bitop2_b32 v24, s7, v24 bitop3:0x14
	v_mov_b32_e32 v28, 0
	v_mul_u32_u24_e32 v26, 0x44, v26
	s_delay_alu instid0(VALU_DEP_4)
	v_bitop3_b32 v3, v3, v31, v29 bitop3:0x80
	v_mul_u32_u24_e32 v25, 36, v1
	v_and_b32_e32 v2, 0x1ffffffc, v2
	v_xor_b32_e32 v32, s8, v32
	s_not_b32 s6, s25
	ds_store_2addr_b32 v25, v28, v28 offset0:16 offset1:17
	ds_store_2addr_b32 v25, v28, v28 offset0:18 offset1:19
	;; [unrolled: 1-line block ×4, first 2 shown]
	ds_store_b32 v25, v28 offset:96
	v_add_nc_u32_e32 v26, v2, v26
	v_bitop3_b32 v3, v3, v32, v24 bitop3:0x80
	s_wait_dscnt 0x0
	s_barrier_signal -1
	s_barrier_wait -1
	s_delay_alu instid0(VALU_DEP_1) | instskip(SKIP_1) | instid1(VALU_DEP_2)
	v_mbcnt_lo_u32_b32 v24, v3, 0
	v_cmp_ne_u32_e64 s2, 0, v3
	; wave barrier
	v_cmp_eq_u32_e32 vcc_lo, 0, v24
	s_and_b32 s3, s2, vcc_lo
	s_delay_alu instid0(SALU_CYCLE_1)
	s_and_saveexec_b32 s2, s3
; %bb.26:
	v_bcnt_u32_b32 v3, v3, 0
	ds_store_b32 v26, v3 offset:64
; %bb.27:
	s_or_b32 exec_lo, exec_lo, s2
	v_lshrrev_b32_e32 v3, s20, v27
	; wave barrier
	s_delay_alu instid0(VALU_DEP_1) | instskip(NEXT) | instid1(VALU_DEP_1)
	v_and_b32_e32 v29, s6, v3
	v_lshlrev_b32_e32 v28, 30, v29
	v_bitop3_b32 v27, v3, 1, s6 bitop3:0x80
	v_lshlrev_b32_e32 v31, 29, v29
	s_delay_alu instid0(VALU_DEP_2) | instskip(NEXT) | instid1(VALU_DEP_1)
	v_add_co_u32 v3, s2, v27, -1
	v_cndmask_b32_e64 v27, 0, 1, s2
	v_cmp_gt_i32_e64 s2, 0, v28
	s_delay_alu instid0(VALU_DEP_2) | instskip(SKIP_2) | instid1(VALU_DEP_1)
	v_cmp_ne_u32_e32 vcc_lo, 0, v27
	v_not_b32_e32 v27, v28
	v_not_b32_e32 v28, v31
	v_dual_ashrrev_i32 v28, 31, v28 :: v_dual_lshlrev_b32 v32, 28, v29
	v_dual_lshlrev_b32 v34, 27, v29 :: v_dual_lshlrev_b32 v35, 26, v29
	v_cmp_gt_i32_e64 s3, 0, v31
	v_ashrrev_i32_e32 v27, 31, v27
	s_delay_alu instid0(VALU_DEP_4)
	v_not_b32_e32 v31, v32
	v_cmp_gt_i32_e64 s4, 0, v32
	v_cmp_gt_i32_e64 s5, 0, v34
	v_not_b32_e32 v32, v34
	v_xor_b32_e32 v3, vcc_lo, v3
	v_not_b32_e32 v34, v35
	v_dual_ashrrev_i32 v31, 31, v31 :: v_dual_bitop2_b32 v28, s3, v28 bitop3:0x14
	v_dual_lshlrev_b32 v37, 25, v29 :: v_dual_bitop2_b32 v27, s2, v27 bitop3:0x14
	v_lshlrev_b32_e32 v38, 24, v29
	v_cmp_gt_i32_e32 vcc_lo, 0, v35
	s_delay_alu instid0(VALU_DEP_3) | instskip(SKIP_4) | instid1(VALU_DEP_3)
	v_bitop3_b32 v3, v3, v27, exec_lo bitop3:0x80
	v_dual_ashrrev_i32 v27, 31, v32 :: v_dual_ashrrev_i32 v32, 31, v34
	v_xor_b32_e32 v31, s4, v31
	v_not_b32_e32 v34, v37
	v_cmp_gt_i32_e64 s2, 0, v38
	v_bitop3_b32 v3, v3, v31, v28 bitop3:0x80
	v_not_b32_e32 v28, v38
	v_xor_b32_e32 v31, vcc_lo, v32
	v_cmp_gt_i32_e32 vcc_lo, 0, v37
	v_ashrrev_i32_e32 v32, 31, v34
	v_mad_u32_u24 v34, 0x44, v29, v2
	v_ashrrev_i32_e32 v28, 31, v28
	v_mul_u32_u24_e32 v29, 0x44, v29
	v_xor_b32_e32 v27, s5, v27
	s_delay_alu instid0(VALU_DEP_2) | instskip(NEXT) | instid1(VALU_DEP_2)
	v_dual_add_nc_u32 v29, v2, v29 :: v_dual_bitop2_b32 v28, s2, v28 bitop3:0x14
	v_bitop3_b32 v3, v3, v31, v27 bitop3:0x80
	v_xor_b32_e32 v31, vcc_lo, v32
	ds_load_b32 v27, v34 offset:64
	; wave barrier
	v_bitop3_b32 v3, v3, v28, v31 bitop3:0x80
	s_delay_alu instid0(VALU_DEP_1) | instskip(SKIP_1) | instid1(VALU_DEP_2)
	v_mbcnt_lo_u32_b32 v28, v3, 0
	v_cmp_ne_u32_e64 s2, 0, v3
	v_cmp_eq_u32_e32 vcc_lo, 0, v28
	s_and_b32 s3, s2, vcc_lo
	s_delay_alu instid0(SALU_CYCLE_1)
	s_and_saveexec_b32 s2, s3
	s_cbranch_execz .LBB2524_29
; %bb.28:
	s_wait_dscnt 0x0
	v_bcnt_u32_b32 v3, v3, v27
	ds_store_b32 v29, v3 offset:64
.LBB2524_29:
	s_or_b32 exec_lo, exec_lo, s2
	v_lshrrev_b32_e32 v3, s20, v30
	; wave barrier
	s_delay_alu instid0(VALU_DEP_1) | instskip(NEXT) | instid1(VALU_DEP_1)
	v_and_b32_e32 v32, s6, v3
	v_lshlrev_b32_e32 v31, 30, v32
	v_bitop3_b32 v30, v3, 1, s6 bitop3:0x80
	s_delay_alu instid0(VALU_DEP_1) | instskip(NEXT) | instid1(VALU_DEP_1)
	v_add_co_u32 v3, s2, v30, -1
	v_cndmask_b32_e64 v30, 0, 1, s2
	s_delay_alu instid0(VALU_DEP_4) | instskip(NEXT) | instid1(VALU_DEP_2)
	v_cmp_gt_i32_e64 s2, 0, v31
	v_cmp_ne_u32_e32 vcc_lo, 0, v30
	v_not_b32_e32 v30, v31
	s_delay_alu instid0(VALU_DEP_1) | instskip(SKIP_3) | instid1(VALU_DEP_4)
	v_dual_ashrrev_i32 v30, 31, v30 :: v_dual_lshlrev_b32 v34, 29, v32
	v_dual_lshlrev_b32 v35, 28, v32 :: v_dual_lshlrev_b32 v37, 27, v32
	v_dual_lshlrev_b32 v38, 26, v32 :: v_dual_lshlrev_b32 v40, 25, v32
	v_lshlrev_b32_e32 v41, 24, v32
	v_cmp_gt_i32_e64 s3, 0, v34
	v_not_b32_e32 v31, v34
	v_not_b32_e32 v34, v35
	v_cmp_gt_i32_e64 s4, 0, v35
	v_xor_b32_e32 v3, vcc_lo, v3
	s_delay_alu instid0(VALU_DEP_4) | instskip(NEXT) | instid1(VALU_DEP_4)
	v_dual_ashrrev_i32 v31, 31, v31 :: v_dual_bitop2_b32 v30, s2, v30 bitop3:0x14
	v_ashrrev_i32_e32 v34, 31, v34
	v_cmp_gt_i32_e64 s5, 0, v37
	v_not_b32_e32 v35, v37
	v_not_b32_e32 v37, v38
	v_xor_b32_e32 v31, s3, v31
	v_xor_b32_e32 v34, s4, v34
	v_bitop3_b32 v3, v3, v30, exec_lo bitop3:0x80
	v_ashrrev_i32_e32 v30, 31, v35
	v_cmp_gt_i32_e32 vcc_lo, 0, v38
	v_ashrrev_i32_e32 v35, 31, v37
	v_not_b32_e32 v37, v40
	v_bitop3_b32 v3, v3, v34, v31 bitop3:0x80
	v_not_b32_e32 v31, v41
	v_xor_b32_e32 v30, s5, v30
	v_xor_b32_e32 v34, vcc_lo, v35
	v_cmp_gt_i32_e32 vcc_lo, 0, v40
	v_ashrrev_i32_e32 v35, 31, v37
	v_cmp_gt_i32_e64 s2, 0, v41
	v_ashrrev_i32_e32 v31, 31, v31
	v_mad_u32_u24 v37, 0x44, v32, v2
	v_mul_u32_u24_e32 v32, 0x44, v32
	s_delay_alu instid0(VALU_DEP_1) | instskip(SKIP_4) | instid1(VALU_DEP_1)
	v_dual_add_nc_u32 v32, v2, v32 :: v_dual_bitop2_b32 v31, s2, v31 bitop3:0x14
	v_bitop3_b32 v3, v3, v34, v30 bitop3:0x80
	v_xor_b32_e32 v34, vcc_lo, v35
	ds_load_b32 v30, v37 offset:64
	; wave barrier
	v_bitop3_b32 v3, v3, v31, v34 bitop3:0x80
	v_mbcnt_lo_u32_b32 v31, v3, 0
	v_cmp_ne_u32_e64 s2, 0, v3
	s_delay_alu instid0(VALU_DEP_2) | instskip(SKIP_1) | instid1(SALU_CYCLE_1)
	v_cmp_eq_u32_e32 vcc_lo, 0, v31
	s_and_b32 s3, s2, vcc_lo
	s_and_saveexec_b32 s2, s3
	s_cbranch_execz .LBB2524_31
; %bb.30:
	s_wait_dscnt 0x0
	v_bcnt_u32_b32 v3, v3, v30
	ds_store_b32 v32, v3 offset:64
.LBB2524_31:
	s_or_b32 exec_lo, exec_lo, s2
	v_lshrrev_b32_e32 v3, s20, v33
	; wave barrier
	s_delay_alu instid0(VALU_DEP_1) | instskip(NEXT) | instid1(VALU_DEP_1)
	v_and_b32_e32 v35, s6, v3
	v_lshlrev_b32_e32 v34, 30, v35
	v_bitop3_b32 v33, v3, 1, s6 bitop3:0x80
	s_delay_alu instid0(VALU_DEP_1) | instskip(NEXT) | instid1(VALU_DEP_1)
	v_add_co_u32 v3, s2, v33, -1
	v_cndmask_b32_e64 v33, 0, 1, s2
	s_delay_alu instid0(VALU_DEP_4) | instskip(NEXT) | instid1(VALU_DEP_2)
	v_cmp_gt_i32_e64 s2, 0, v34
	v_cmp_ne_u32_e32 vcc_lo, 0, v33
	v_not_b32_e32 v33, v34
	s_delay_alu instid0(VALU_DEP_1) | instskip(SKIP_3) | instid1(VALU_DEP_4)
	v_dual_ashrrev_i32 v33, 31, v33 :: v_dual_lshlrev_b32 v37, 29, v35
	v_dual_lshlrev_b32 v38, 28, v35 :: v_dual_lshlrev_b32 v40, 27, v35
	v_dual_lshlrev_b32 v41, 26, v35 :: v_dual_lshlrev_b32 v42, 25, v35
	v_lshlrev_b32_e32 v43, 24, v35
	v_cmp_gt_i32_e64 s3, 0, v37
	v_not_b32_e32 v34, v37
	v_not_b32_e32 v37, v38
	v_cmp_gt_i32_e64 s4, 0, v38
	v_cmp_gt_i32_e64 s5, 0, v40
	s_delay_alu instid0(VALU_DEP_4) | instskip(NEXT) | instid1(VALU_DEP_4)
	v_dual_ashrrev_i32 v34, 31, v34 :: v_dual_bitop2_b32 v3, vcc_lo, v3 bitop3:0x14
	v_ashrrev_i32_e32 v37, 31, v37
	v_not_b32_e32 v38, v40
	v_not_b32_e32 v40, v41
	v_xor_b32_e32 v33, s2, v33
	v_xor_b32_e32 v34, s3, v34
	;; [unrolled: 1-line block ×3, first 2 shown]
	v_cmp_gt_i32_e32 vcc_lo, 0, v41
	v_cmp_gt_i32_e64 s2, 0, v43
	v_bitop3_b32 v3, v3, v33, exec_lo bitop3:0x80
	v_dual_ashrrev_i32 v33, 31, v38 :: v_dual_ashrrev_i32 v38, 31, v40
	v_not_b32_e32 v40, v42
	s_delay_alu instid0(VALU_DEP_3) | instskip(SKIP_1) | instid1(VALU_DEP_4)
	v_bitop3_b32 v3, v3, v37, v34 bitop3:0x80
	v_not_b32_e32 v34, v43
	v_xor_b32_e32 v33, s5, v33
	v_xor_b32_e32 v37, vcc_lo, v38
	v_cmp_gt_i32_e32 vcc_lo, 0, v42
	s_delay_alu instid0(VALU_DEP_4) | instskip(SKIP_2) | instid1(VALU_DEP_1)
	v_dual_ashrrev_i32 v38, 31, v40 :: v_dual_ashrrev_i32 v34, 31, v34
	v_mad_u32_u24 v40, 0x44, v35, v2
	v_mul_u32_u24_e32 v35, 0x44, v35
	v_dual_add_nc_u32 v35, v2, v35 :: v_dual_bitop2_b32 v34, s2, v34 bitop3:0x14
	v_bitop3_b32 v3, v3, v37, v33 bitop3:0x80
	v_xor_b32_e32 v37, vcc_lo, v38
	ds_load_b32 v33, v40 offset:64
	; wave barrier
	v_bitop3_b32 v3, v3, v34, v37 bitop3:0x80
	s_delay_alu instid0(VALU_DEP_1) | instskip(SKIP_1) | instid1(VALU_DEP_2)
	v_mbcnt_lo_u32_b32 v34, v3, 0
	v_cmp_ne_u32_e64 s2, 0, v3
	v_cmp_eq_u32_e32 vcc_lo, 0, v34
	s_and_b32 s3, s2, vcc_lo
	s_delay_alu instid0(SALU_CYCLE_1)
	s_and_saveexec_b32 s2, s3
	s_cbranch_execz .LBB2524_33
; %bb.32:
	s_wait_dscnt 0x0
	v_bcnt_u32_b32 v3, v3, v33
	ds_store_b32 v35, v3 offset:64
.LBB2524_33:
	s_or_b32 exec_lo, exec_lo, s2
	v_lshrrev_b32_e32 v3, s20, v36
	; wave barrier
	s_delay_alu instid0(VALU_DEP_1) | instskip(NEXT) | instid1(VALU_DEP_1)
	v_and_b32_e32 v38, s6, v3
	v_lshlrev_b32_e32 v37, 30, v38
	v_bitop3_b32 v36, v3, 1, s6 bitop3:0x80
	s_delay_alu instid0(VALU_DEP_1) | instskip(NEXT) | instid1(VALU_DEP_1)
	v_add_co_u32 v3, s2, v36, -1
	v_cndmask_b32_e64 v36, 0, 1, s2
	s_delay_alu instid0(VALU_DEP_4) | instskip(NEXT) | instid1(VALU_DEP_2)
	v_cmp_gt_i32_e64 s2, 0, v37
	v_cmp_ne_u32_e32 vcc_lo, 0, v36
	v_not_b32_e32 v36, v37
	s_delay_alu instid0(VALU_DEP_1) | instskip(SKIP_3) | instid1(VALU_DEP_4)
	v_dual_ashrrev_i32 v36, 31, v36 :: v_dual_lshlrev_b32 v40, 29, v38
	v_dual_lshlrev_b32 v41, 28, v38 :: v_dual_lshlrev_b32 v42, 27, v38
	v_dual_lshlrev_b32 v43, 26, v38 :: v_dual_lshlrev_b32 v44, 25, v38
	v_lshlrev_b32_e32 v45, 24, v38
	v_cmp_gt_i32_e64 s3, 0, v40
	v_not_b32_e32 v37, v40
	v_not_b32_e32 v40, v41
	v_cmp_gt_i32_e64 s4, 0, v41
	v_cmp_gt_i32_e64 s5, 0, v42
	s_delay_alu instid0(VALU_DEP_4) | instskip(NEXT) | instid1(VALU_DEP_4)
	v_dual_ashrrev_i32 v37, 31, v37 :: v_dual_bitop2_b32 v3, vcc_lo, v3 bitop3:0x14
	v_ashrrev_i32_e32 v40, 31, v40
	v_not_b32_e32 v41, v42
	v_not_b32_e32 v42, v43
	v_xor_b32_e32 v36, s2, v36
	v_xor_b32_e32 v37, s3, v37
	;; [unrolled: 1-line block ×3, first 2 shown]
	v_cmp_gt_i32_e32 vcc_lo, 0, v43
	v_cmp_gt_i32_e64 s2, 0, v45
	v_bitop3_b32 v3, v3, v36, exec_lo bitop3:0x80
	v_dual_ashrrev_i32 v36, 31, v41 :: v_dual_ashrrev_i32 v41, 31, v42
	v_not_b32_e32 v42, v44
	s_delay_alu instid0(VALU_DEP_3) | instskip(SKIP_1) | instid1(VALU_DEP_4)
	v_bitop3_b32 v3, v3, v40, v37 bitop3:0x80
	v_not_b32_e32 v37, v45
	v_xor_b32_e32 v36, s5, v36
	v_xor_b32_e32 v40, vcc_lo, v41
	v_cmp_gt_i32_e32 vcc_lo, 0, v44
	s_delay_alu instid0(VALU_DEP_4) | instskip(SKIP_2) | instid1(VALU_DEP_1)
	v_dual_ashrrev_i32 v41, 31, v42 :: v_dual_ashrrev_i32 v37, 31, v37
	v_mad_u32_u24 v42, 0x44, v38, v2
	v_mul_u32_u24_e32 v38, 0x44, v38
	v_dual_add_nc_u32 v38, v2, v38 :: v_dual_bitop2_b32 v37, s2, v37 bitop3:0x14
	v_bitop3_b32 v3, v3, v40, v36 bitop3:0x80
	v_xor_b32_e32 v40, vcc_lo, v41
	ds_load_b32 v36, v42 offset:64
	; wave barrier
	v_bitop3_b32 v3, v3, v37, v40 bitop3:0x80
	s_delay_alu instid0(VALU_DEP_1) | instskip(SKIP_1) | instid1(VALU_DEP_2)
	v_mbcnt_lo_u32_b32 v37, v3, 0
	v_cmp_ne_u32_e64 s2, 0, v3
	v_cmp_eq_u32_e32 vcc_lo, 0, v37
	s_and_b32 s3, s2, vcc_lo
	s_delay_alu instid0(SALU_CYCLE_1)
	s_and_saveexec_b32 s2, s3
	s_cbranch_execz .LBB2524_35
; %bb.34:
	s_wait_dscnt 0x0
	v_bcnt_u32_b32 v3, v3, v36
	ds_store_b32 v38, v3 offset:64
.LBB2524_35:
	s_or_b32 exec_lo, exec_lo, s2
	v_lshrrev_b32_e32 v3, s20, v39
	; wave barrier
	s_delay_alu instid0(VALU_DEP_1) | instskip(NEXT) | instid1(VALU_DEP_1)
	v_and_b32_e32 v41, s6, v3
	v_lshlrev_b32_e32 v40, 30, v41
	v_bitop3_b32 v39, v3, 1, s6 bitop3:0x80
	v_lshlrev_b32_e32 v42, 29, v41
	s_delay_alu instid0(VALU_DEP_2) | instskip(NEXT) | instid1(VALU_DEP_1)
	v_add_co_u32 v3, s2, v39, -1
	v_cndmask_b32_e64 v39, 0, 1, s2
	v_cmp_gt_i32_e64 s2, 0, v40
	s_delay_alu instid0(VALU_DEP_2) | instskip(SKIP_2) | instid1(VALU_DEP_1)
	v_cmp_ne_u32_e32 vcc_lo, 0, v39
	v_not_b32_e32 v39, v40
	v_not_b32_e32 v40, v42
	v_dual_ashrrev_i32 v40, 31, v40 :: v_dual_lshlrev_b32 v43, 28, v41
	v_dual_lshlrev_b32 v44, 27, v41 :: v_dual_lshlrev_b32 v45, 26, v41
	v_cmp_gt_i32_e64 s3, 0, v42
	v_dual_lshlrev_b32 v46, 25, v41 :: v_dual_lshlrev_b32 v47, 24, v41
	s_delay_alu instid0(VALU_DEP_4) | instskip(SKIP_4) | instid1(VALU_DEP_4)
	v_not_b32_e32 v42, v43
	v_ashrrev_i32_e32 v39, 31, v39
	v_cmp_gt_i32_e64 s4, 0, v43
	v_cmp_gt_i32_e64 s5, 0, v44
	v_not_b32_e32 v43, v44
	v_dual_ashrrev_i32 v42, 31, v42 :: v_dual_bitop2_b32 v39, s2, v39 bitop3:0x14
	v_not_b32_e32 v44, v45
	v_xor_b32_e32 v3, vcc_lo, v3
	v_xor_b32_e32 v40, s3, v40
	s_delay_alu instid0(VALU_DEP_4)
	v_xor_b32_e32 v42, s4, v42
	v_cmp_gt_i32_e32 vcc_lo, 0, v45
	v_cmp_gt_i32_e64 s2, 0, v47
	v_bitop3_b32 v3, v3, v39, exec_lo bitop3:0x80
	v_dual_ashrrev_i32 v39, 31, v43 :: v_dual_ashrrev_i32 v43, 31, v44
	v_not_b32_e32 v44, v46
	s_delay_alu instid0(VALU_DEP_3) | instskip(SKIP_1) | instid1(VALU_DEP_4)
	v_bitop3_b32 v3, v3, v42, v40 bitop3:0x80
	v_not_b32_e32 v40, v47
	v_xor_b32_e32 v42, vcc_lo, v43
	v_cmp_gt_i32_e32 vcc_lo, 0, v46
	v_ashrrev_i32_e32 v43, 31, v44
	v_mad_u32_u24 v44, 0x44, v41, v2
	v_ashrrev_i32_e32 v40, 31, v40
	v_mul_u32_u24_e32 v41, 0x44, v41
	v_xor_b32_e32 v39, s5, v39
	s_delay_alu instid0(VALU_DEP_2) | instskip(NEXT) | instid1(VALU_DEP_2)
	v_dual_add_nc_u32 v41, v2, v41 :: v_dual_bitop2_b32 v40, s2, v40 bitop3:0x14
	v_bitop3_b32 v3, v3, v42, v39 bitop3:0x80
	v_xor_b32_e32 v42, vcc_lo, v43
	ds_load_b32 v39, v44 offset:64
	; wave barrier
	v_bitop3_b32 v3, v3, v40, v42 bitop3:0x80
	s_delay_alu instid0(VALU_DEP_1) | instskip(SKIP_1) | instid1(VALU_DEP_2)
	v_mbcnt_lo_u32_b32 v40, v3, 0
	v_cmp_ne_u32_e64 s2, 0, v3
	v_cmp_eq_u32_e32 vcc_lo, 0, v40
	s_and_b32 s3, s2, vcc_lo
	s_delay_alu instid0(SALU_CYCLE_1)
	s_and_saveexec_b32 s2, s3
	s_cbranch_execz .LBB2524_37
; %bb.36:
	s_wait_dscnt 0x0
	v_bcnt_u32_b32 v3, v3, v39
	ds_store_b32 v41, v3 offset:64
.LBB2524_37:
	s_or_b32 exec_lo, exec_lo, s2
	v_lshrrev_b32_e32 v3, s20, v9
	; wave barrier
	s_delay_alu instid0(VALU_DEP_1) | instskip(NEXT) | instid1(VALU_DEP_1)
	v_and_b32_e32 v44, s6, v3
	v_lshlrev_b32_e32 v42, 30, v44
	v_bitop3_b32 v9, v3, 1, s6 bitop3:0x80
	s_delay_alu instid0(VALU_DEP_1) | instskip(NEXT) | instid1(VALU_DEP_1)
	v_add_co_u32 v3, s2, v9, -1
	v_cndmask_b32_e64 v9, 0, 1, s2
	s_delay_alu instid0(VALU_DEP_4) | instskip(NEXT) | instid1(VALU_DEP_2)
	v_cmp_gt_i32_e64 s2, 0, v42
	v_cmp_ne_u32_e32 vcc_lo, 0, v9
	v_not_b32_e32 v9, v42
	s_delay_alu instid0(VALU_DEP_1) | instskip(SKIP_3) | instid1(VALU_DEP_4)
	v_dual_ashrrev_i32 v9, 31, v9 :: v_dual_lshlrev_b32 v43, 29, v44
	v_dual_lshlrev_b32 v45, 28, v44 :: v_dual_lshlrev_b32 v46, 27, v44
	v_dual_lshlrev_b32 v47, 26, v44 :: v_dual_lshlrev_b32 v48, 25, v44
	v_lshlrev_b32_e32 v49, 24, v44
	v_cmp_gt_i32_e64 s3, 0, v43
	v_not_b32_e32 v42, v43
	v_not_b32_e32 v43, v45
	v_cmp_gt_i32_e64 s4, 0, v45
	v_xor_b32_e32 v3, vcc_lo, v3
	s_delay_alu instid0(VALU_DEP_4) | instskip(NEXT) | instid1(VALU_DEP_4)
	v_dual_ashrrev_i32 v42, 31, v42 :: v_dual_bitop2_b32 v9, s2, v9 bitop3:0x14
	v_ashrrev_i32_e32 v43, 31, v43
	v_cmp_gt_i32_e64 s5, 0, v46
	v_not_b32_e32 v45, v46
	v_not_b32_e32 v46, v47
	v_xor_b32_e32 v42, s3, v42
	v_xor_b32_e32 v43, s4, v43
	v_bitop3_b32 v3, v3, v9, exec_lo bitop3:0x80
	v_ashrrev_i32_e32 v9, 31, v45
	v_cmp_gt_i32_e32 vcc_lo, 0, v47
	v_ashrrev_i32_e32 v45, 31, v46
	v_not_b32_e32 v46, v48
	v_bitop3_b32 v3, v3, v43, v42 bitop3:0x80
	v_not_b32_e32 v42, v49
	v_xor_b32_e32 v9, s5, v9
	v_xor_b32_e32 v43, vcc_lo, v45
	v_cmp_gt_i32_e32 vcc_lo, 0, v48
	v_ashrrev_i32_e32 v45, 31, v46
	v_cmp_gt_i32_e64 s2, 0, v49
	v_ashrrev_i32_e32 v42, 31, v42
	v_mad_u32_u24 v46, 0x44, v44, v2
	v_bitop3_b32 v3, v3, v43, v9 bitop3:0x80
	v_xor_b32_e32 v9, vcc_lo, v45
	s_delay_alu instid0(VALU_DEP_4) | instskip(SKIP_3) | instid1(VALU_DEP_2)
	v_xor_b32_e32 v43, s2, v42
	ds_load_b32 v42, v46 offset:64
	; wave barrier
	v_bitop3_b32 v3, v3, v43, v9 bitop3:0x80
	v_mul_u32_u24_e32 v9, 0x44, v44
	v_mbcnt_lo_u32_b32 v43, v3, 0
	v_cmp_ne_u32_e64 s2, 0, v3
	s_delay_alu instid0(VALU_DEP_3) | instskip(NEXT) | instid1(VALU_DEP_3)
	v_add_nc_u32_e32 v45, v2, v9
	v_cmp_eq_u32_e32 vcc_lo, 0, v43
	s_and_b32 s3, s2, vcc_lo
	s_delay_alu instid0(SALU_CYCLE_1)
	s_and_saveexec_b32 s2, s3
	s_cbranch_execz .LBB2524_39
; %bb.38:
	s_wait_dscnt 0x0
	v_bcnt_u32_b32 v3, v3, v42
	ds_store_b32 v45, v3 offset:64
.LBB2524_39:
	s_or_b32 exec_lo, exec_lo, s2
	v_lshrrev_b32_e32 v3, s20, v8
	; wave barrier
	s_delay_alu instid0(VALU_DEP_1) | instskip(NEXT) | instid1(VALU_DEP_1)
	v_and_b32_e32 v9, s6, v3
	v_lshlrev_b32_e32 v44, 30, v9
	v_bitop3_b32 v8, v3, 1, s6 bitop3:0x80
	s_delay_alu instid0(VALU_DEP_1) | instskip(NEXT) | instid1(VALU_DEP_1)
	v_add_co_u32 v3, s2, v8, -1
	v_cndmask_b32_e64 v8, 0, 1, s2
	s_delay_alu instid0(VALU_DEP_4) | instskip(NEXT) | instid1(VALU_DEP_2)
	v_cmp_gt_i32_e64 s2, 0, v44
	v_cmp_ne_u32_e32 vcc_lo, 0, v8
	v_not_b32_e32 v8, v44
	s_delay_alu instid0(VALU_DEP_1) | instskip(SKIP_3) | instid1(VALU_DEP_4)
	v_dual_ashrrev_i32 v8, 31, v8 :: v_dual_lshlrev_b32 v46, 29, v9
	v_dual_lshlrev_b32 v47, 28, v9 :: v_dual_lshlrev_b32 v48, 27, v9
	v_dual_lshlrev_b32 v49, 26, v9 :: v_dual_lshlrev_b32 v50, 25, v9
	v_lshlrev_b32_e32 v51, 24, v9
	v_cmp_gt_i32_e64 s3, 0, v46
	v_not_b32_e32 v44, v46
	v_not_b32_e32 v46, v47
	v_cmp_gt_i32_e64 s4, 0, v47
	v_xor_b32_e32 v3, vcc_lo, v3
	v_xor_b32_e32 v8, s2, v8
	s_delay_alu instid0(VALU_DEP_4) | instskip(SKIP_3) | instid1(VALU_DEP_4)
	v_dual_ashrrev_i32 v44, 31, v44 :: v_dual_ashrrev_i32 v46, 31, v46
	v_cmp_gt_i32_e64 s5, 0, v48
	v_not_b32_e32 v47, v48
	v_not_b32_e32 v48, v49
	v_xor_b32_e32 v44, s3, v44
	v_xor_b32_e32 v46, s4, v46
	v_bitop3_b32 v3, v3, v8, exec_lo bitop3:0x80
	v_ashrrev_i32_e32 v8, 31, v47
	v_cmp_gt_i32_e32 vcc_lo, 0, v49
	v_ashrrev_i32_e32 v47, 31, v48
	v_not_b32_e32 v48, v50
	v_bitop3_b32 v3, v3, v46, v44 bitop3:0x80
	v_not_b32_e32 v44, v51
	v_xor_b32_e32 v8, s5, v8
	s_delay_alu instid0(VALU_DEP_4)
	v_dual_ashrrev_i32 v47, 31, v48 :: v_dual_bitop2_b32 v46, vcc_lo, v47 bitop3:0x14
	v_cmp_gt_i32_e32 vcc_lo, 0, v50
	v_cmp_gt_i32_e64 s2, 0, v51
	v_ashrrev_i32_e32 v44, 31, v44
	v_mad_u32_u24 v48, 0x44, v9, v2
	v_bitop3_b32 v3, v3, v46, v8 bitop3:0x80
	v_xor_b32_e32 v8, vcc_lo, v47
	s_delay_alu instid0(VALU_DEP_4) | instskip(SKIP_3) | instid1(VALU_DEP_2)
	v_xor_b32_e32 v46, s2, v44
	ds_load_b32 v44, v48 offset:64
	; wave barrier
	v_bitop3_b32 v3, v3, v46, v8 bitop3:0x80
	v_mul_u32_u24_e32 v8, 0x44, v9
	v_mbcnt_lo_u32_b32 v46, v3, 0
	v_cmp_ne_u32_e64 s2, 0, v3
	s_delay_alu instid0(VALU_DEP_3) | instskip(NEXT) | instid1(VALU_DEP_3)
	v_add_nc_u32_e32 v49, v2, v8
	v_cmp_eq_u32_e32 vcc_lo, 0, v46
	s_and_b32 s3, s2, vcc_lo
	s_delay_alu instid0(SALU_CYCLE_1)
	s_and_saveexec_b32 s2, s3
	s_cbranch_execz .LBB2524_41
; %bb.40:
	s_wait_dscnt 0x0
	v_bcnt_u32_b32 v3, v3, v44
	ds_store_b32 v49, v3 offset:64
.LBB2524_41:
	s_or_b32 exec_lo, exec_lo, s2
	v_lshrrev_b32_e32 v3, s20, v7
	; wave barrier
	s_delay_alu instid0(VALU_DEP_1) | instskip(NEXT) | instid1(VALU_DEP_1)
	v_and_b32_e32 v8, s6, v3
	v_lshlrev_b32_e32 v9, 30, v8
	v_bitop3_b32 v7, v3, 1, s6 bitop3:0x80
	v_lshlrev_b32_e32 v47, 29, v8
	s_delay_alu instid0(VALU_DEP_2) | instskip(NEXT) | instid1(VALU_DEP_1)
	v_add_co_u32 v3, s2, v7, -1
	v_cndmask_b32_e64 v7, 0, 1, s2
	v_cmp_gt_i32_e64 s2, 0, v9
	s_delay_alu instid0(VALU_DEP_2) | instskip(SKIP_2) | instid1(VALU_DEP_1)
	v_cmp_ne_u32_e32 vcc_lo, 0, v7
	v_not_b32_e32 v7, v9
	v_not_b32_e32 v9, v47
	v_dual_ashrrev_i32 v9, 31, v9 :: v_dual_lshlrev_b32 v48, 28, v8
	v_dual_lshlrev_b32 v50, 27, v8 :: v_dual_lshlrev_b32 v51, 26, v8
	v_cmp_gt_i32_e64 s3, 0, v47
	v_ashrrev_i32_e32 v7, 31, v7
	s_delay_alu instid0(VALU_DEP_4)
	v_not_b32_e32 v47, v48
	v_cmp_gt_i32_e64 s4, 0, v48
	v_cmp_gt_i32_e64 s5, 0, v50
	v_not_b32_e32 v48, v50
	v_xor_b32_e32 v3, vcc_lo, v3
	v_not_b32_e32 v50, v51
	v_dual_ashrrev_i32 v47, 31, v47 :: v_dual_bitop2_b32 v9, s3, v9 bitop3:0x14
	v_dual_lshlrev_b32 v52, 25, v8 :: v_dual_bitop2_b32 v7, s2, v7 bitop3:0x14
	v_lshlrev_b32_e32 v53, 24, v8
	v_cmp_gt_i32_e32 vcc_lo, 0, v51
	s_delay_alu instid0(VALU_DEP_3) | instskip(SKIP_4) | instid1(VALU_DEP_4)
	v_bitop3_b32 v3, v3, v7, exec_lo bitop3:0x80
	v_dual_ashrrev_i32 v7, 31, v48 :: v_dual_ashrrev_i32 v48, 31, v50
	v_xor_b32_e32 v47, s4, v47
	v_not_b32_e32 v50, v52
	v_cmp_gt_i32_e64 s2, 0, v53
	v_xor_b32_e32 v7, s5, v7
	s_delay_alu instid0(VALU_DEP_4)
	v_bitop3_b32 v3, v3, v47, v9 bitop3:0x80
	v_not_b32_e32 v9, v53
	v_xor_b32_e32 v47, vcc_lo, v48
	v_cmp_gt_i32_e32 vcc_lo, 0, v52
	v_ashrrev_i32_e32 v48, 31, v50
	v_mad_u32_u24 v50, 0x44, v8, v2
	v_ashrrev_i32_e32 v9, 31, v9
	v_bitop3_b32 v3, v3, v47, v7 bitop3:0x80
	s_delay_alu instid0(VALU_DEP_4) | instskip(SKIP_2) | instid1(VALU_DEP_1)
	v_xor_b32_e32 v7, vcc_lo, v48
	ds_load_b32 v47, v50 offset:64
	v_xor_b32_e32 v9, s2, v9
	; wave barrier
	v_bitop3_b32 v3, v3, v9, v7 bitop3:0x80
	v_mul_u32_u24_e32 v7, 0x44, v8
	s_delay_alu instid0(VALU_DEP_2) | instskip(SKIP_1) | instid1(VALU_DEP_3)
	v_mbcnt_lo_u32_b32 v48, v3, 0
	v_cmp_ne_u32_e64 s2, 0, v3
	v_add_nc_u32_e32 v52, v2, v7
	s_delay_alu instid0(VALU_DEP_3) | instskip(SKIP_1) | instid1(SALU_CYCLE_1)
	v_cmp_eq_u32_e32 vcc_lo, 0, v48
	s_and_b32 s3, s2, vcc_lo
	s_and_saveexec_b32 s2, s3
	s_cbranch_execz .LBB2524_43
; %bb.42:
	s_wait_dscnt 0x0
	v_bcnt_u32_b32 v3, v3, v47
	ds_store_b32 v52, v3 offset:64
.LBB2524_43:
	s_or_b32 exec_lo, exec_lo, s2
	v_lshrrev_b32_e32 v3, s20, v6
	; wave barrier
	s_delay_alu instid0(VALU_DEP_1) | instskip(NEXT) | instid1(VALU_DEP_1)
	v_and_b32_e32 v7, s6, v3
	v_lshlrev_b32_e32 v8, 30, v7
	v_bitop3_b32 v6, v3, 1, s6 bitop3:0x80
	s_delay_alu instid0(VALU_DEP_1) | instskip(NEXT) | instid1(VALU_DEP_1)
	v_add_co_u32 v3, s2, v6, -1
	v_cndmask_b32_e64 v6, 0, 1, s2
	s_delay_alu instid0(VALU_DEP_4) | instskip(NEXT) | instid1(VALU_DEP_2)
	v_cmp_gt_i32_e64 s2, 0, v8
	v_cmp_ne_u32_e32 vcc_lo, 0, v6
	v_not_b32_e32 v6, v8
	s_delay_alu instid0(VALU_DEP_1) | instskip(SKIP_3) | instid1(VALU_DEP_4)
	v_dual_ashrrev_i32 v6, 31, v6 :: v_dual_lshlrev_b32 v9, 29, v7
	v_dual_lshlrev_b32 v50, 28, v7 :: v_dual_lshlrev_b32 v51, 27, v7
	v_dual_lshlrev_b32 v53, 26, v7 :: v_dual_lshlrev_b32 v54, 25, v7
	v_lshlrev_b32_e32 v55, 24, v7
	v_cmp_gt_i32_e64 s3, 0, v9
	v_not_b32_e32 v8, v9
	v_not_b32_e32 v9, v50
	v_cmp_gt_i32_e64 s4, 0, v50
	v_xor_b32_e32 v3, vcc_lo, v3
	s_delay_alu instid0(VALU_DEP_4) | instskip(NEXT) | instid1(VALU_DEP_4)
	v_dual_ashrrev_i32 v8, 31, v8 :: v_dual_bitop2_b32 v6, s2, v6 bitop3:0x14
	v_ashrrev_i32_e32 v9, 31, v9
	v_cmp_gt_i32_e64 s5, 0, v51
	v_not_b32_e32 v50, v51
	v_not_b32_e32 v51, v53
	v_xor_b32_e32 v8, s3, v8
	v_xor_b32_e32 v9, s4, v9
	v_bitop3_b32 v3, v3, v6, exec_lo bitop3:0x80
	v_ashrrev_i32_e32 v6, 31, v50
	v_cmp_gt_i32_e32 vcc_lo, 0, v53
	v_ashrrev_i32_e32 v50, 31, v51
	v_not_b32_e32 v51, v54
	v_bitop3_b32 v3, v3, v9, v8 bitop3:0x80
	v_not_b32_e32 v8, v55
	v_xor_b32_e32 v6, s5, v6
	v_xor_b32_e32 v9, vcc_lo, v50
	v_cmp_gt_i32_e32 vcc_lo, 0, v54
	v_ashrrev_i32_e32 v50, 31, v51
	v_cmp_gt_i32_e64 s2, 0, v55
	v_ashrrev_i32_e32 v8, 31, v8
	v_mad_u32_u24 v51, 0x44, v7, v2
	v_bitop3_b32 v3, v3, v9, v6 bitop3:0x80
	v_xor_b32_e32 v6, vcc_lo, v50
	s_delay_alu instid0(VALU_DEP_4) | instskip(SKIP_3) | instid1(VALU_DEP_2)
	v_xor_b32_e32 v8, s2, v8
	ds_load_b32 v50, v51 offset:64
	; wave barrier
	v_bitop3_b32 v3, v3, v8, v6 bitop3:0x80
	v_mul_u32_u24_e32 v6, 0x44, v7
	v_mbcnt_lo_u32_b32 v51, v3, 0
	v_cmp_ne_u32_e64 s2, 0, v3
	s_delay_alu instid0(VALU_DEP_3) | instskip(NEXT) | instid1(VALU_DEP_3)
	v_add_nc_u32_e32 v55, v2, v6
	v_cmp_eq_u32_e32 vcc_lo, 0, v51
	s_and_b32 s3, s2, vcc_lo
	s_delay_alu instid0(SALU_CYCLE_1)
	s_and_saveexec_b32 s2, s3
	s_cbranch_execz .LBB2524_45
; %bb.44:
	s_wait_dscnt 0x0
	v_bcnt_u32_b32 v3, v3, v50
	ds_store_b32 v55, v3 offset:64
.LBB2524_45:
	s_or_b32 exec_lo, exec_lo, s2
	v_lshrrev_b32_e32 v3, s20, v5
	; wave barrier
	s_delay_alu instid0(VALU_DEP_1) | instskip(NEXT) | instid1(VALU_DEP_1)
	v_and_b32_e32 v6, s6, v3
	v_lshlrev_b32_e32 v7, 30, v6
	v_bitop3_b32 v5, v3, 1, s6 bitop3:0x80
	s_delay_alu instid0(VALU_DEP_1) | instskip(NEXT) | instid1(VALU_DEP_1)
	v_add_co_u32 v3, s2, v5, -1
	v_cndmask_b32_e64 v5, 0, 1, s2
	s_delay_alu instid0(VALU_DEP_4) | instskip(NEXT) | instid1(VALU_DEP_2)
	v_cmp_gt_i32_e64 s2, 0, v7
	v_cmp_ne_u32_e32 vcc_lo, 0, v5
	v_not_b32_e32 v5, v7
	s_delay_alu instid0(VALU_DEP_1) | instskip(SKIP_3) | instid1(VALU_DEP_4)
	v_dual_ashrrev_i32 v5, 31, v5 :: v_dual_lshlrev_b32 v8, 29, v6
	v_dual_lshlrev_b32 v9, 28, v6 :: v_dual_lshlrev_b32 v53, 27, v6
	v_dual_lshlrev_b32 v54, 26, v6 :: v_dual_lshlrev_b32 v56, 25, v6
	v_lshlrev_b32_e32 v57, 24, v6
	v_cmp_gt_i32_e64 s3, 0, v8
	v_not_b32_e32 v7, v8
	v_not_b32_e32 v8, v9
	v_cmp_gt_i32_e64 s4, 0, v9
	v_xor_b32_e32 v3, vcc_lo, v3
	s_delay_alu instid0(VALU_DEP_4) | instskip(NEXT) | instid1(VALU_DEP_4)
	v_dual_ashrrev_i32 v7, 31, v7 :: v_dual_bitop2_b32 v5, s2, v5 bitop3:0x14
	v_ashrrev_i32_e32 v8, 31, v8
	v_cmp_gt_i32_e64 s5, 0, v53
	v_not_b32_e32 v9, v53
	v_not_b32_e32 v53, v54
	v_xor_b32_e32 v7, s3, v7
	v_xor_b32_e32 v8, s4, v8
	v_bitop3_b32 v3, v3, v5, exec_lo bitop3:0x80
	v_ashrrev_i32_e32 v5, 31, v9
	v_cmp_gt_i32_e32 vcc_lo, 0, v54
	v_ashrrev_i32_e32 v9, 31, v53
	v_not_b32_e32 v53, v56
	v_bitop3_b32 v3, v3, v8, v7 bitop3:0x80
	v_not_b32_e32 v7, v57
	v_xor_b32_e32 v5, s5, v5
	v_xor_b32_e32 v8, vcc_lo, v9
	v_cmp_gt_i32_e32 vcc_lo, 0, v56
	v_cmp_gt_i32_e64 s2, 0, v57
	v_dual_ashrrev_i32 v7, 31, v7 :: v_dual_ashrrev_i32 v9, 31, v53
	v_mad_u32_u24 v53, 0x44, v6, v2
	v_bitop3_b32 v3, v3, v8, v5 bitop3:0x80
	s_delay_alu instid0(VALU_DEP_3) | instskip(NEXT) | instid1(VALU_DEP_4)
	v_xor_b32_e32 v7, s2, v7
	v_xor_b32_e32 v5, vcc_lo, v9
	ds_load_b32 v53, v53 offset:64
	; wave barrier
	v_bitop3_b32 v3, v3, v7, v5 bitop3:0x80
	v_mul_u32_u24_e32 v5, 0x44, v6
	s_delay_alu instid0(VALU_DEP_2) | instskip(SKIP_1) | instid1(VALU_DEP_3)
	v_mbcnt_lo_u32_b32 v54, v3, 0
	v_cmp_ne_u32_e64 s2, 0, v3
	v_add_nc_u32_e32 v58, v2, v5
	s_delay_alu instid0(VALU_DEP_3) | instskip(SKIP_1) | instid1(SALU_CYCLE_1)
	v_cmp_eq_u32_e32 vcc_lo, 0, v54
	s_and_b32 s3, s2, vcc_lo
	s_and_saveexec_b32 s2, s3
	s_cbranch_execz .LBB2524_47
; %bb.46:
	s_wait_dscnt 0x0
	v_bcnt_u32_b32 v3, v3, v53
	ds_store_b32 v58, v3 offset:64
.LBB2524_47:
	s_or_b32 exec_lo, exec_lo, s2
	v_lshrrev_b32_e32 v3, s20, v4
	; wave barrier
	s_delay_alu instid0(VALU_DEP_1) | instskip(NEXT) | instid1(VALU_DEP_1)
	v_and_b32_e32 v5, s6, v3
	v_lshlrev_b32_e32 v6, 30, v5
	v_bitop3_b32 v4, v3, 1, s6 bitop3:0x80
	s_delay_alu instid0(VALU_DEP_1) | instskip(NEXT) | instid1(VALU_DEP_1)
	v_add_co_u32 v3, s2, v4, -1
	v_cndmask_b32_e64 v4, 0, 1, s2
	s_delay_alu instid0(VALU_DEP_4) | instskip(NEXT) | instid1(VALU_DEP_2)
	v_cmp_gt_i32_e64 s2, 0, v6
	v_cmp_ne_u32_e32 vcc_lo, 0, v4
	v_not_b32_e32 v4, v6
	s_delay_alu instid0(VALU_DEP_1) | instskip(SKIP_3) | instid1(VALU_DEP_4)
	v_dual_ashrrev_i32 v4, 31, v4 :: v_dual_lshlrev_b32 v7, 29, v5
	v_dual_lshlrev_b32 v8, 28, v5 :: v_dual_lshlrev_b32 v9, 27, v5
	v_dual_lshlrev_b32 v56, 26, v5 :: v_dual_lshlrev_b32 v57, 25, v5
	v_lshlrev_b32_e32 v59, 24, v5
	v_cmp_gt_i32_e64 s3, 0, v7
	v_not_b32_e32 v6, v7
	v_not_b32_e32 v7, v8
	v_cmp_gt_i32_e64 s4, 0, v8
	v_xor_b32_e32 v3, vcc_lo, v3
	s_delay_alu instid0(VALU_DEP_4) | instskip(NEXT) | instid1(VALU_DEP_4)
	v_dual_ashrrev_i32 v6, 31, v6 :: v_dual_bitop2_b32 v4, s2, v4 bitop3:0x14
	v_ashrrev_i32_e32 v7, 31, v7
	v_cmp_gt_i32_e64 s5, 0, v9
	v_not_b32_e32 v8, v9
	v_not_b32_e32 v9, v56
	v_xor_b32_e32 v6, s3, v6
	v_xor_b32_e32 v7, s4, v7
	v_bitop3_b32 v3, v3, v4, exec_lo bitop3:0x80
	v_ashrrev_i32_e32 v4, 31, v8
	v_cmp_gt_i32_e32 vcc_lo, 0, v56
	v_ashrrev_i32_e32 v8, 31, v9
	v_not_b32_e32 v9, v57
	v_bitop3_b32 v3, v3, v7, v6 bitop3:0x80
	v_not_b32_e32 v6, v59
	v_xor_b32_e32 v4, s5, v4
	v_xor_b32_e32 v7, vcc_lo, v8
	v_cmp_gt_i32_e32 vcc_lo, 0, v57
	v_ashrrev_i32_e32 v8, 31, v9
	v_cmp_gt_i32_e64 s2, 0, v59
	v_ashrrev_i32_e32 v6, 31, v6
	v_mad_u32_u24 v9, 0x44, v5, v2
	v_bitop3_b32 v3, v3, v7, v4 bitop3:0x80
	v_xor_b32_e32 v4, vcc_lo, v8
	s_delay_alu instid0(VALU_DEP_4) | instskip(SKIP_3) | instid1(VALU_DEP_2)
	v_xor_b32_e32 v6, s2, v6
	ds_load_b32 v56, v9 offset:64
	; wave barrier
	v_bitop3_b32 v3, v3, v6, v4 bitop3:0x80
	v_mul_u32_u24_e32 v4, 0x44, v5
	v_mbcnt_lo_u32_b32 v57, v3, 0
	v_cmp_ne_u32_e64 s2, 0, v3
	s_delay_alu instid0(VALU_DEP_3) | instskip(NEXT) | instid1(VALU_DEP_3)
	v_add_nc_u32_e32 v59, v2, v4
	v_cmp_eq_u32_e32 vcc_lo, 0, v57
	s_and_b32 s3, s2, vcc_lo
	s_delay_alu instid0(SALU_CYCLE_1)
	s_and_saveexec_b32 s2, s3
	s_cbranch_execz .LBB2524_49
; %bb.48:
	s_wait_dscnt 0x0
	v_bcnt_u32_b32 v2, v3, v56
	ds_store_b32 v59, v2 offset:64
.LBB2524_49:
	s_or_b32 exec_lo, exec_lo, s2
	; wave barrier
	s_wait_dscnt 0x0
	s_barrier_signal -1
	s_barrier_wait -1
	ds_load_2addr_b32 v[8:9], v25 offset0:16 offset1:17
	ds_load_2addr_b32 v[6:7], v25 offset0:18 offset1:19
	;; [unrolled: 1-line block ×4, first 2 shown]
	ds_load_b32 v60, v25 offset:96
	s_mov_b32 s7, exec_lo
	s_wait_dscnt 0x3
	v_add3_u32 v61, v9, v8, v6
	s_wait_dscnt 0x2
	s_delay_alu instid0(VALU_DEP_1) | instskip(SKIP_1) | instid1(VALU_DEP_1)
	v_add3_u32 v61, v61, v7, v4
	s_wait_dscnt 0x1
	v_add3_u32 v61, v61, v5, v2
	s_wait_dscnt 0x0
	s_delay_alu instid0(VALU_DEP_1) | instskip(SKIP_1) | instid1(VALU_DEP_2)
	v_add3_u32 v60, v61, v3, v60
	v_and_b32_e32 v61, 15, v14
	v_mov_b32_dpp v62, v60 row_shr:1 row_mask:0xf bank_mask:0xf
	s_delay_alu instid0(VALU_DEP_2) | instskip(NEXT) | instid1(VALU_DEP_2)
	v_cmp_eq_u32_e32 vcc_lo, 0, v61
	v_cndmask_b32_e64 v62, v62, 0, vcc_lo
	s_delay_alu instid0(VALU_DEP_1) | instskip(SKIP_3) | instid1(VALU_DEP_4)
	v_add_nc_u32_e32 v60, v62, v60
	v_cmp_lt_u32_e64 s2, 1, v61
	v_cmp_lt_u32_e64 s3, 3, v61
	;; [unrolled: 1-line block ×3, first 2 shown]
	v_mov_b32_dpp v62, v60 row_shr:2 row_mask:0xf bank_mask:0xf
	s_delay_alu instid0(VALU_DEP_1) | instskip(NEXT) | instid1(VALU_DEP_1)
	v_cndmask_b32_e64 v62, 0, v62, s2
	v_add_nc_u32_e32 v60, v60, v62
	s_delay_alu instid0(VALU_DEP_1) | instskip(NEXT) | instid1(VALU_DEP_1)
	v_mov_b32_dpp v62, v60 row_shr:4 row_mask:0xf bank_mask:0xf
	v_cndmask_b32_e64 v62, 0, v62, s3
	s_delay_alu instid0(VALU_DEP_1) | instskip(NEXT) | instid1(VALU_DEP_1)
	v_add_nc_u32_e32 v60, v60, v62
	v_mov_b32_dpp v62, v60 row_shr:8 row_mask:0xf bank_mask:0xf
	s_delay_alu instid0(VALU_DEP_1) | instskip(SKIP_1) | instid1(VALU_DEP_2)
	v_cndmask_b32_e64 v61, 0, v62, s4
	v_bfe_i32 v62, v14, 4, 1
	v_add_nc_u32_e32 v60, v60, v61
	ds_swizzle_b32 v61, v60 offset:swizzle(BROADCAST,32,15)
	s_wait_dscnt 0x0
	v_and_b32_e32 v61, v62, v61
	v_min_u32_e32 v62, 0x1e0, v15
	s_delay_alu instid0(VALU_DEP_1) | instskip(SKIP_1) | instid1(VALU_DEP_2)
	v_dual_add_nc_u32 v60, v60, v61 :: v_dual_bitop2_b32 v62, 31, v62 bitop3:0x54
	v_lshrrev_b32_e32 v61, 5, v1
	v_cmpx_eq_u32_e64 v1, v62
; %bb.50:
	s_delay_alu instid0(VALU_DEP_2)
	v_lshlrev_b32_e32 v62, 2, v61
	ds_store_b32 v62, v60
; %bb.51:
	s_or_b32 exec_lo, exec_lo, s7
	s_delay_alu instid0(SALU_CYCLE_1)
	s_mov_b32 s7, exec_lo
	s_wait_dscnt 0x0
	s_barrier_signal -1
	s_barrier_wait -1
	v_cmpx_gt_u32_e32 16, v1
	s_cbranch_execz .LBB2524_53
; %bb.52:
	v_lshlrev_b32_e32 v62, 2, v1
	ds_load_b32 v63, v62
	s_wait_dscnt 0x0
	v_mov_b32_dpp v64, v63 row_shr:1 row_mask:0xf bank_mask:0xf
	s_delay_alu instid0(VALU_DEP_1) | instskip(NEXT) | instid1(VALU_DEP_1)
	v_cndmask_b32_e64 v64, v64, 0, vcc_lo
	v_add_nc_u32_e32 v63, v64, v63
	s_delay_alu instid0(VALU_DEP_1) | instskip(NEXT) | instid1(VALU_DEP_1)
	v_mov_b32_dpp v64, v63 row_shr:2 row_mask:0xf bank_mask:0xf
	v_cndmask_b32_e64 v64, 0, v64, s2
	s_delay_alu instid0(VALU_DEP_1) | instskip(NEXT) | instid1(VALU_DEP_1)
	v_add_nc_u32_e32 v63, v63, v64
	v_mov_b32_dpp v64, v63 row_shr:4 row_mask:0xf bank_mask:0xf
	s_delay_alu instid0(VALU_DEP_1) | instskip(NEXT) | instid1(VALU_DEP_1)
	v_cndmask_b32_e64 v64, 0, v64, s3
	v_add_nc_u32_e32 v63, v63, v64
	s_delay_alu instid0(VALU_DEP_1) | instskip(NEXT) | instid1(VALU_DEP_1)
	v_mov_b32_dpp v64, v63 row_shr:8 row_mask:0xf bank_mask:0xf
	v_cndmask_b32_e64 v64, 0, v64, s4
	s_delay_alu instid0(VALU_DEP_1)
	v_add_nc_u32_e32 v63, v63, v64
	ds_store_b32 v62, v63
.LBB2524_53:
	s_or_b32 exec_lo, exec_lo, s7
	v_mov_b32_e32 v62, 0
	s_mov_b32 s2, exec_lo
	s_wait_dscnt 0x0
	s_barrier_signal -1
	s_barrier_wait -1
	v_cmpx_lt_u32_e32 31, v1
; %bb.54:
	v_lshl_add_u32 v61, v61, 2, -4
	ds_load_b32 v62, v61
; %bb.55:
	s_or_b32 exec_lo, exec_lo, s2
	v_sub_co_u32 v61, vcc_lo, v14, 1
	s_wait_dscnt 0x0
	v_add_nc_u32_e32 v60, v62, v60
	s_delay_alu instid0(VALU_DEP_2) | instskip(NEXT) | instid1(VALU_DEP_1)
	v_cmp_gt_i32_e64 s2, 0, v61
	v_cndmask_b32_e64 v61, v61, v14, s2
	v_cmp_gt_u32_e64 s2, 0x100, v1
	s_delay_alu instid0(VALU_DEP_2) | instskip(SKIP_4) | instid1(VALU_DEP_2)
	v_lshlrev_b32_e32 v61, 2, v61
	ds_bpermute_b32 v60, v61, v60
	s_wait_dscnt 0x0
	v_cndmask_b32_e32 v60, v60, v62, vcc_lo
	v_cmp_ne_u32_e32 vcc_lo, 0, v1
	v_cndmask_b32_e32 v60, 0, v60, vcc_lo
	v_cmp_lt_u32_e32 vcc_lo, 0xff, v1
	s_delay_alu instid0(VALU_DEP_2) | instskip(NEXT) | instid1(VALU_DEP_1)
	v_add_nc_u32_e32 v8, v60, v8
	v_add_nc_u32_e32 v9, v8, v9
	s_delay_alu instid0(VALU_DEP_1) | instskip(NEXT) | instid1(VALU_DEP_1)
	v_add_nc_u32_e32 v6, v9, v6
	v_add_nc_u32_e32 v7, v6, v7
	s_delay_alu instid0(VALU_DEP_1) | instskip(NEXT) | instid1(VALU_DEP_1)
	;; [unrolled: 3-line block ×3, first 2 shown]
	v_add_nc_u32_e32 v2, v5, v2
	v_add_nc_u32_e32 v3, v2, v3
	ds_store_2addr_b32 v25, v60, v8 offset0:16 offset1:17
	ds_store_2addr_b32 v25, v9, v6 offset0:18 offset1:19
	;; [unrolled: 1-line block ×4, first 2 shown]
	ds_store_b32 v25, v3 offset:96
	s_wait_dscnt 0x0
	s_barrier_signal -1
	s_barrier_wait -1
	ds_load_b32 v61, v26 offset:64
	ds_load_b32 v62, v29 offset:64
	;; [unrolled: 1-line block ×12, first 2 shown]
	v_mov_b64_e32 v[2:3], 0
                                        ; implicit-def: $vgpr4
	s_and_saveexec_b32 s4, s2
	s_cbranch_execz .LBB2524_59
; %bb.56:
	v_mul_u32_u24_e32 v2, 0x44, v1
	v_dual_mov_b32 v3, 0x1800 :: v_dual_add_nc_u32 v4, 1, v1
	s_mov_b32 s5, exec_lo
	ds_load_b32 v2, v2 offset:64
	v_cmpx_ne_u32_e32 0x100, v4
; %bb.57:
	v_mul_u32_u24_e32 v3, 0x44, v4
	ds_load_b32 v3, v3 offset:64
; %bb.58:
	s_or_b32 exec_lo, exec_lo, s5
	s_wait_dscnt 0x0
	v_dual_mov_b32 v3, 0 :: v_dual_sub_nc_u32 v4, v3, v2
.LBB2524_59:
	s_or_b32 exec_lo, exec_lo, s4
	s_wait_dscnt 0xa
	v_dual_lshlrev_b32 v24, 1, v24 :: v_dual_lshlrev_b32 v35, 1, v62
	v_dual_lshlrev_b32 v28, 1, v28 :: v_dual_lshlrev_b32 v27, 1, v27
	v_lshlrev_b32_e32 v30, 1, v30
	s_delay_alu instid0(VALU_DEP_3)
	v_lshl_add_u32 v24, v61, 1, v24
	v_lshlrev_b32_e32 v31, 1, v31
	s_wait_dscnt 0x0
	v_add3_u32 v27, v35, v28, v27
	v_lshlrev_b32_e32 v28, 1, v60
	s_barrier_signal -1
	s_barrier_wait -1
	ds_store_b16 v24, v11 offset:2048
	ds_store_b16 v27, v10 offset:2048
	v_lshlrev_b32_e32 v11, 1, v32
	v_add3_u32 v10, v28, v31, v30
	v_dual_lshlrev_b32 v24, 1, v34 :: v_dual_lshlrev_b32 v27, 1, v33
	v_dual_lshlrev_b32 v28, 1, v29 :: v_dual_lshlrev_b32 v30, 1, v36
	;; [unrolled: 1-line block ×6, first 2 shown]
	ds_store_b16 v10, v13 offset:2048
	v_add3_u32 v10, v11, v24, v27
	v_add3_u32 v13, v26, v31, v32
	v_add3_u32 v24, v25, v33, v34
	v_dual_lshlrev_b32 v25, 1, v46 :: v_dual_lshlrev_b32 v26, 1, v44
	v_add3_u32 v11, v28, v29, v30
	ds_store_b16 v10, v12 offset:2048
	ds_store_b16 v11, v17 offset:2048
	;; [unrolled: 1-line block ×4, first 2 shown]
	v_add3_u32 v9, v9, v25, v26
	v_dual_lshlrev_b32 v8, 1, v8 :: v_dual_lshlrev_b32 v11, 1, v47
	v_dual_lshlrev_b32 v10, 1, v48 :: v_dual_lshlrev_b32 v7, 1, v7
	;; [unrolled: 1-line block ×6, first 2 shown]
	ds_store_b16 v9, v18 offset:2048
	v_add3_u32 v8, v8, v10, v11
	v_add3_u32 v9, v7, v12, v13
	;; [unrolled: 1-line block ×3, first 2 shown]
	v_dual_mov_b32 v7, 0 :: v_dual_lshlrev_b32 v5, 3, v1
	v_add3_u32 v6, v6, v16, v17
	ds_store_b16 v8, v21 offset:2048
	ds_store_b16 v9, v20 offset:2048
	;; [unrolled: 1-line block ×4, first 2 shown]
	s_and_saveexec_b32 s3, s2
	s_cbranch_execz .LBB2524_69
; %bb.60:
	v_lshl_add_u32 v6, s9, 8, v1
	v_dual_mov_b32 v10, 0 :: v_dual_bitop2_b32 v11, 2.0, v4 bitop3:0x54
	s_mov_b32 s4, 0
	s_mov_b32 s5, s9
	s_delay_alu instid0(VALU_DEP_2)
	v_lshl_add_u64 v[8:9], v[6:7], 2, s[10:11]
	global_store_b32 v6, v11, s[10:11] scale_offset scope:SCOPE_DEV
                                        ; implicit-def: $sgpr2
	s_branch .LBB2524_63
.LBB2524_61:                            ;   in Loop: Header=BB2524_63 Depth=1
	s_or_b32 exec_lo, exec_lo, s8
.LBB2524_62:                            ;   in Loop: Header=BB2524_63 Depth=1
	s_delay_alu instid0(SALU_CYCLE_1) | instskip(SKIP_2) | instid1(VALU_DEP_2)
	s_or_b32 exec_lo, exec_lo, s7
	v_and_b32_e32 v6, 0x3fffffff, v11
	v_cmp_gt_i32_e64 s2, -2.0, v11
	v_add_nc_u32_e32 v10, v6, v10
	s_and_b32 s7, exec_lo, s2
	s_delay_alu instid0(SALU_CYCLE_1) | instskip(NEXT) | instid1(SALU_CYCLE_1)
	s_or_b32 s4, s7, s4
	s_and_not1_b32 exec_lo, exec_lo, s4
	s_cbranch_execz .LBB2524_68
.LBB2524_63:                            ; =>This Loop Header: Depth=1
                                        ;     Child Loop BB2524_66 Depth 2
	s_or_b32 s2, s2, exec_lo
	s_cmp_eq_u32 s5, 0
	s_cbranch_scc1 .LBB2524_67
; %bb.64:                               ;   in Loop: Header=BB2524_63 Depth=1
	s_add_co_i32 s5, s5, -1
	s_mov_b32 s7, exec_lo
	s_wait_xcnt 0x0
	v_lshl_or_b32 v6, s5, 8, v1
	global_load_b32 v11, v6, s[10:11] scale_offset scope:SCOPE_DEV
	s_wait_loadcnt 0x0
	v_cmpx_gt_u32_e32 2.0, v11
	s_cbranch_execz .LBB2524_62
; %bb.65:                               ;   in Loop: Header=BB2524_63 Depth=1
	v_lshl_add_u64 v[12:13], v[6:7], 2, s[10:11]
	s_mov_b32 s8, 0
.LBB2524_66:                            ;   Parent Loop BB2524_63 Depth=1
                                        ; =>  This Inner Loop Header: Depth=2
	global_load_b32 v11, v[12:13], off scope:SCOPE_DEV
	s_wait_loadcnt 0x0
	v_cmp_lt_u32_e64 s2, 0x3fffffff, v11
	s_or_b32 s8, s2, s8
	s_wait_xcnt 0x0
	s_and_not1_b32 exec_lo, exec_lo, s8
	s_cbranch_execnz .LBB2524_66
	s_branch .LBB2524_61
.LBB2524_67:                            ;   in Loop: Header=BB2524_63 Depth=1
                                        ; implicit-def: $sgpr5
	s_and_b32 s7, exec_lo, s2
	s_delay_alu instid0(SALU_CYCLE_1)
	s_or_b32 s4, s7, s4
	s_wait_xcnt 0x0
	s_and_not1_b32 exec_lo, exec_lo, s4
	s_cbranch_execnz .LBB2524_63
.LBB2524_68:
	s_or_b32 exec_lo, exec_lo, s4
	v_dual_mov_b32 v11, 0 :: v_dual_add_nc_u32 v6, v10, v4
	s_delay_alu instid0(VALU_DEP_1) | instskip(SKIP_4) | instid1(VALU_DEP_1)
	v_or_b32_e32 v6, 0x80000000, v6
	global_store_b32 v[8:9], v6, off scope:SCOPE_DEV
	global_load_b64 v[6:7], v1, s[12:13] scale_offset
	v_sub_nc_u64_e32 v[8:9], v[10:11], v[2:3]
	s_wait_loadcnt 0x0
	v_add_nc_u64_e32 v[6:7], v[8:9], v[6:7]
	ds_store_b64 v5, v[6:7]
.LBB2524_69:
	s_wait_xcnt 0x0
	s_or_b32 exec_lo, exec_lo, s3
	v_mad_i32_i24 v8, v1, -6, v5
	v_lshlrev_b32_e32 v6, 1, v1
	s_mov_b32 s3, exec_lo
	s_wait_storecnt_dscnt 0x0
	s_barrier_signal -1
	s_barrier_wait -1
	v_cmpx_gt_u32_e64 s22, v1
	s_cbranch_execz .LBB2524_71
; %bb.70:
	ds_load_u16 v9, v8 offset:2048
	s_wait_dscnt 0x0
	v_and_b32_e32 v7, 0xffff, v9
	s_delay_alu instid0(VALU_DEP_1) | instskip(NEXT) | instid1(VALU_DEP_1)
	v_lshrrev_b32_e32 v7, s20, v7
	v_and_b32_e32 v7, s6, v7
	s_delay_alu instid0(VALU_DEP_1) | instskip(SKIP_4) | instid1(VALU_DEP_1)
	v_lshlrev_b32_e32 v7, 3, v7
	ds_load_b64 v[10:11], v7
	v_mov_b32_e32 v7, 0
	s_wait_dscnt 0x0
	v_lshl_add_u64 v[10:11], v[10:11], 1, s[18:19]
	v_add_nc_u64_e32 v[10:11], v[10:11], v[6:7]
	global_store_b16 v[10:11], v9, off
.LBB2524_71:
	s_wait_xcnt 0x0
	s_or_b32 exec_lo, exec_lo, s3
	v_add_nc_u32_e32 v7, 0x200, v1
	s_mov_b32 s3, exec_lo
	s_delay_alu instid0(VALU_DEP_1)
	v_cmpx_gt_u32_e64 s22, v7
	s_cbranch_execz .LBB2524_73
; %bb.72:
	ds_load_u16 v9, v8 offset:3072
	s_wait_dscnt 0x0
	v_and_b32_e32 v7, 0xffff, v9
	s_delay_alu instid0(VALU_DEP_1) | instskip(NEXT) | instid1(VALU_DEP_1)
	v_lshrrev_b32_e32 v7, s20, v7
	v_and_b32_e32 v7, s6, v7
	s_delay_alu instid0(VALU_DEP_1) | instskip(SKIP_4) | instid1(VALU_DEP_1)
	v_lshlrev_b32_e32 v7, 3, v7
	ds_load_b64 v[10:11], v7
	v_mov_b32_e32 v7, 0
	s_wait_dscnt 0x0
	v_lshl_add_u64 v[10:11], v[10:11], 1, s[18:19]
	v_add_nc_u64_e32 v[10:11], v[10:11], v[6:7]
	global_store_b16 v[10:11], v9, off offset:1024
.LBB2524_73:
	s_wait_xcnt 0x0
	s_or_b32 exec_lo, exec_lo, s3
	v_or_b32_e32 v7, 0x400, v1
	s_mov_b32 s3, exec_lo
	s_delay_alu instid0(VALU_DEP_1)
	v_cmpx_gt_u32_e64 s22, v7
	s_cbranch_execz .LBB2524_75
; %bb.74:
	ds_load_u16 v9, v8 offset:4096
	s_wait_dscnt 0x0
	v_and_b32_e32 v7, 0xffff, v9
	s_delay_alu instid0(VALU_DEP_1) | instskip(NEXT) | instid1(VALU_DEP_1)
	v_lshrrev_b32_e32 v7, s20, v7
	v_and_b32_e32 v7, s6, v7
	s_delay_alu instid0(VALU_DEP_1) | instskip(SKIP_4) | instid1(VALU_DEP_1)
	v_lshlrev_b32_e32 v7, 3, v7
	ds_load_b64 v[10:11], v7
	v_mov_b32_e32 v7, 0
	s_wait_dscnt 0x0
	v_lshl_add_u64 v[10:11], v[10:11], 1, s[18:19]
	v_add_nc_u64_e32 v[10:11], v[10:11], v[6:7]
	global_store_b16 v[10:11], v9, off offset:2048
.LBB2524_75:
	s_wait_xcnt 0x0
	s_or_b32 exec_lo, exec_lo, s3
	v_add_nc_u32_e32 v7, 0x600, v1
	s_mov_b32 s3, exec_lo
	s_delay_alu instid0(VALU_DEP_1)
	v_cmpx_gt_u32_e64 s22, v7
	s_cbranch_execz .LBB2524_77
; %bb.76:
	ds_load_u16 v9, v8 offset:5120
	s_wait_dscnt 0x0
	v_and_b32_e32 v7, 0xffff, v9
	s_delay_alu instid0(VALU_DEP_1) | instskip(NEXT) | instid1(VALU_DEP_1)
	v_lshrrev_b32_e32 v7, s20, v7
	v_and_b32_e32 v7, s6, v7
	s_delay_alu instid0(VALU_DEP_1) | instskip(SKIP_4) | instid1(VALU_DEP_1)
	v_lshlrev_b32_e32 v7, 3, v7
	ds_load_b64 v[10:11], v7
	v_mov_b32_e32 v7, 0
	s_wait_dscnt 0x0
	v_lshl_add_u64 v[10:11], v[10:11], 1, s[18:19]
	v_add_nc_u64_e32 v[10:11], v[10:11], v[6:7]
	global_store_b16 v[10:11], v9, off offset:3072
.LBB2524_77:
	s_wait_xcnt 0x0
	s_or_b32 exec_lo, exec_lo, s3
	v_or_b32_e32 v7, 0x800, v1
	s_mov_b32 s3, exec_lo
	s_delay_alu instid0(VALU_DEP_1)
	v_cmpx_gt_u32_e64 s22, v7
	s_cbranch_execz .LBB2524_79
; %bb.78:
	ds_load_u16 v9, v8 offset:6144
	s_wait_dscnt 0x0
	v_and_b32_e32 v7, 0xffff, v9
	s_delay_alu instid0(VALU_DEP_1) | instskip(NEXT) | instid1(VALU_DEP_1)
	v_lshrrev_b32_e32 v7, s20, v7
	v_and_b32_e32 v7, s6, v7
	s_delay_alu instid0(VALU_DEP_1) | instskip(SKIP_4) | instid1(VALU_DEP_1)
	v_lshlrev_b32_e32 v7, 3, v7
	ds_load_b64 v[10:11], v7
	v_mov_b32_e32 v7, 0
	s_wait_dscnt 0x0
	v_lshl_add_u64 v[10:11], v[10:11], 1, s[18:19]
	v_add_nc_u64_e32 v[10:11], v[10:11], v[6:7]
	global_store_b16 v[10:11], v9, off offset:4096
.LBB2524_79:
	;; [unrolled: 46-line block ×5, first 2 shown]
	s_wait_xcnt 0x0
	s_or_b32 exec_lo, exec_lo, s3
	v_add_nc_u32_e32 v7, 0x1600, v1
	s_mov_b32 s3, exec_lo
	s_delay_alu instid0(VALU_DEP_1)
	v_cmpx_gt_u32_e64 s22, v7
	s_cbranch_execz .LBB2524_93
; %bb.92:
	ds_load_u16 v10, v6 offset:13312
	s_wait_dscnt 0x0
	v_and_b32_e32 v7, 0xffff, v10
	s_delay_alu instid0(VALU_DEP_1) | instskip(NEXT) | instid1(VALU_DEP_1)
	v_lshrrev_b32_e32 v7, s20, v7
	v_and_b32_e32 v7, s6, v7
	s_delay_alu instid0(VALU_DEP_1) | instskip(SKIP_4) | instid1(VALU_DEP_1)
	v_lshlrev_b32_e32 v7, 3, v7
	ds_load_b64 v[8:9], v7
	v_mov_b32_e32 v7, 0
	s_wait_dscnt 0x0
	v_lshl_add_u64 v[8:9], v[8:9], 1, s[18:19]
	v_add_nc_u64_e32 v[6:7], v[8:9], v[6:7]
	global_store_b16 v[6:7], v10, off offset:11264
.LBB2524_93:
	s_wait_xcnt 0x0
	s_or_b32 exec_lo, exec_lo, s3
	s_add_co_i32 s23, s23, -1
	s_delay_alu instid0(SALU_CYCLE_1) | instskip(SKIP_2) | instid1(SALU_CYCLE_1)
	s_cmp_eq_u32 s9, s23
	s_cselect_b32 s2, -1, 0
	s_xor_b32 s3, vcc_lo, -1
	s_and_b32 s3, s3, s2
	s_delay_alu instid0(SALU_CYCLE_1)
	s_and_saveexec_b32 s2, s3
	s_cbranch_execz .LBB2524_95
; %bb.94:
	ds_load_b64 v[6:7], v5
	v_mov_b32_e32 v5, 0
	s_delay_alu instid0(VALU_DEP_1) | instskip(SKIP_1) | instid1(VALU_DEP_1)
	v_add_nc_u64_e32 v[2:3], v[2:3], v[4:5]
	s_wait_dscnt 0x0
	v_add_nc_u64_e32 v[2:3], v[2:3], v[6:7]
	global_store_b64 v1, v[2:3], s[14:15] scale_offset
.LBB2524_95:
	s_wait_xcnt 0x0
	s_or_b32 exec_lo, exec_lo, s2
	s_mov_b32 s2, 0
.LBB2524_96:
	s_delay_alu instid0(SALU_CYCLE_1)
	s_and_b32 vcc_lo, exec_lo, s2
	s_cbranch_vccz .LBB2524_143
; %bb.97:
	s_mov_b32 s25, 0
	v_dual_mov_b32 v3, 0 :: v_dual_lshlrev_b32 v2, 1, v14
	s_lshl_b64 s[2:3], s[24:25], 1
	v_mul_u32_u24_e32 v1, 12, v15
	s_add_nc_u64 s[2:3], s[16:17], s[2:3]
	v_and_b32_e32 v12, 0x3ff, v0
	v_add_nc_u64_e32 v[4:5], s[2:3], v[2:3]
	s_delay_alu instid0(VALU_DEP_3) | instskip(NEXT) | instid1(VALU_DEP_1)
	v_lshlrev_b32_e32 v2, 1, v1
	v_add_nc_u64_e32 v[4:5], v[4:5], v[2:3]
	v_bfe_u32 v2, v0, 10, 10
	s_clause 0xb
	global_load_u16 v21, v[4:5], off
	global_load_u16 v22, v[4:5], off offset:64
	global_load_u16 v20, v[4:5], off offset:128
	;; [unrolled: 1-line block ×11, first 2 shown]
	s_clause 0x1
	s_load_b32 s7, s[0:1], 0x58
	s_load_u16 s2, s[0:1], 0x66
	v_bfe_u32 v4, v0, 20, 10
	s_wait_kmcnt 0x0
	s_cmp_lt_u32 s9, s7
	s_delay_alu instid0(VALU_DEP_1)
	v_mad_u32_u24 v0, v4, s2, v2
	s_cselect_b32 s24, 12, 18
	s_lshl_b32 s8, -1, s21
	s_add_nc_u64 s[0:1], s[26:27], s[24:25]
	s_load_u16 s16, s[0:1], 0x0
	s_wait_kmcnt 0x0
	v_mad_u32 v0, v0, s16, v12
	s_delay_alu instid0(VALU_DEP_1) | instskip(NEXT) | instid1(VALU_DEP_1)
	v_lshrrev_b32_e32 v0, 3, v0
	v_and_b32_e32 v0, 0x1ffffffc, v0
	s_wait_loadcnt 0xb
	v_and_b32_e32 v1, 0xffff, v21
	s_delay_alu instid0(VALU_DEP_1) | instskip(NEXT) | instid1(VALU_DEP_1)
	v_lshrrev_b32_e32 v1, s20, v1
	v_bitop3_b32 v2, v1, 1, s8 bitop3:0x40
	v_bitop3_b32 v4, v1, s8, v1 bitop3:0x30
	s_delay_alu instid0(VALU_DEP_2) | instskip(NEXT) | instid1(VALU_DEP_1)
	v_add_co_u32 v1, s0, v2, -1
	v_cndmask_b32_e64 v2, 0, 1, s0
	s_delay_alu instid0(VALU_DEP_3) | instskip(SKIP_1) | instid1(VALU_DEP_3)
	v_dual_lshlrev_b32 v5, 30, v4 :: v_dual_lshlrev_b32 v6, 29, v4
	v_dual_lshlrev_b32 v7, 28, v4 :: v_dual_lshlrev_b32 v23, 27, v4
	v_cmp_ne_u32_e32 vcc_lo, 0, v2
	s_delay_alu instid0(VALU_DEP_3)
	v_not_b32_e32 v2, v5
	v_dual_lshlrev_b32 v24, 26, v4 :: v_dual_lshlrev_b32 v25, 25, v4
	v_lshlrev_b32_e32 v26, 24, v4
	v_cmp_gt_i32_e64 s0, 0, v5
	v_cmp_gt_i32_e64 s1, 0, v6
	v_not_b32_e32 v5, v6
	v_cmp_gt_i32_e64 s2, 0, v7
	v_not_b32_e32 v6, v7
	v_not_b32_e32 v7, v23
	v_ashrrev_i32_e32 v2, 31, v2
	v_cmp_gt_i32_e64 s3, 0, v23
	v_not_b32_e32 v23, v24
	v_dual_ashrrev_i32 v6, 31, v6 :: v_dual_bitop2_b32 v1, vcc_lo, v1 bitop3:0x14
	s_delay_alu instid0(VALU_DEP_4)
	v_dual_ashrrev_i32 v5, 31, v5 :: v_dual_bitop2_b32 v2, s0, v2 bitop3:0x14
	v_ashrrev_i32_e32 v7, 31, v7
	v_cmp_gt_i32_e64 s4, 0, v24
	v_cmp_gt_i32_e64 s5, 0, v25
	v_not_b32_e32 v24, v25
	v_not_b32_e32 v25, v26
	v_dual_ashrrev_i32 v23, 31, v23 :: v_dual_bitop2_b32 v6, s2, v6 bitop3:0x14
	v_xor_b32_e32 v5, s1, v5
	v_bitop3_b32 v1, v1, v2, exec_lo bitop3:0x80
	v_xor_b32_e32 v7, s3, v7
	v_cmp_gt_i32_e64 s6, 0, v26
	v_dual_ashrrev_i32 v2, 31, v24 :: v_dual_ashrrev_i32 v24, 31, v25
	v_xor_b32_e32 v23, s4, v23
	v_bitop3_b32 v1, v1, v6, v5 bitop3:0x80
	s_delay_alu instid0(VALU_DEP_3) | instskip(NEXT) | instid1(VALU_DEP_4)
	v_xor_b32_e32 v2, s5, v2
	v_xor_b32_e32 v5, s6, v24
	v_mul_u32_u24_e32 v24, 36, v12
	s_delay_alu instid0(VALU_DEP_4)
	v_bitop3_b32 v1, v1, v23, v7 bitop3:0x80
	s_not_b32 s6, s8
	ds_store_2addr_b32 v24, v3, v3 offset0:16 offset1:17
	ds_store_2addr_b32 v24, v3, v3 offset0:18 offset1:19
	;; [unrolled: 1-line block ×4, first 2 shown]
	v_bitop3_b32 v1, v1, v5, v2 bitop3:0x80
	v_mul_u32_u24_e32 v2, 0x44, v4
	ds_store_b32 v24, v3 offset:96
	s_wait_storecnt 0x0
	s_wait_loadcnt_dscnt 0x0
	s_barrier_signal -1
	v_mbcnt_lo_u32_b32 v23, v1, 0
	v_cmp_ne_u32_e64 s0, 0, v1
	v_add_nc_u32_e32 v25, v0, v2
	s_barrier_wait -1
	s_delay_alu instid0(VALU_DEP_3) | instskip(SKIP_1) | instid1(SALU_CYCLE_1)
	v_cmp_eq_u32_e32 vcc_lo, 0, v23
	; wave barrier
	s_and_b32 s1, s0, vcc_lo
	s_and_saveexec_b32 s0, s1
; %bb.98:
	v_bcnt_u32_b32 v1, v1, 0
	ds_store_b32 v25, v1 offset:64
; %bb.99:
	s_or_b32 exec_lo, exec_lo, s0
	v_and_b32_e32 v1, 0xffff, v22
	; wave barrier
	s_delay_alu instid0(VALU_DEP_1) | instskip(NEXT) | instid1(VALU_DEP_1)
	v_lshrrev_b32_e32 v1, s20, v1
	v_and_b32_e32 v3, s6, v1
	s_delay_alu instid0(VALU_DEP_1) | instskip(SKIP_1) | instid1(VALU_DEP_1)
	v_lshlrev_b32_e32 v4, 30, v3
	v_bitop3_b32 v2, v1, 1, s6 bitop3:0x80
	v_add_co_u32 v1, s0, v2, -1
	s_delay_alu instid0(VALU_DEP_1) | instskip(NEXT) | instid1(VALU_DEP_4)
	v_cndmask_b32_e64 v2, 0, 1, s0
	v_cmp_gt_i32_e64 s0, 0, v4
	s_delay_alu instid0(VALU_DEP_2) | instskip(SKIP_1) | instid1(VALU_DEP_1)
	v_cmp_ne_u32_e32 vcc_lo, 0, v2
	v_not_b32_e32 v2, v4
	v_dual_ashrrev_i32 v2, 31, v2 :: v_dual_lshlrev_b32 v5, 29, v3
	v_dual_lshlrev_b32 v6, 28, v3 :: v_dual_lshlrev_b32 v7, 27, v3
	v_dual_lshlrev_b32 v26, 26, v3 :: v_dual_lshlrev_b32 v27, 25, v3
	v_lshlrev_b32_e32 v28, 24, v3
	s_delay_alu instid0(VALU_DEP_4)
	v_cmp_gt_i32_e64 s1, 0, v5
	v_not_b32_e32 v4, v5
	v_not_b32_e32 v5, v6
	v_cmp_gt_i32_e64 s2, 0, v6
	v_cmp_gt_i32_e64 s3, 0, v7
	v_not_b32_e32 v6, v7
	v_not_b32_e32 v7, v26
	v_dual_ashrrev_i32 v4, 31, v4 :: v_dual_bitop2_b32 v1, vcc_lo, v1 bitop3:0x14
	v_dual_ashrrev_i32 v5, 31, v5 :: v_dual_bitop2_b32 v2, s0, v2 bitop3:0x14
	v_cmp_gt_i32_e64 s4, 0, v26
	s_delay_alu instid0(VALU_DEP_4) | instskip(SKIP_1) | instid1(VALU_DEP_4)
	v_dual_ashrrev_i32 v6, 31, v6 :: v_dual_ashrrev_i32 v7, 31, v7
	v_not_b32_e32 v26, v28
	v_xor_b32_e32 v5, s2, v5
	v_bitop3_b32 v1, v1, v2, exec_lo bitop3:0x80
	v_not_b32_e32 v2, v27
	v_xor_b32_e32 v4, s1, v4
	v_cmp_gt_i32_e64 s5, 0, v27
	v_xor_b32_e32 v6, s3, v6
	s_delay_alu instid0(VALU_DEP_4) | instskip(NEXT) | instid1(VALU_DEP_4)
	v_dual_ashrrev_i32 v2, 31, v2 :: v_dual_bitop2_b32 v7, s4, v7 bitop3:0x14
	v_bitop3_b32 v1, v1, v5, v4 bitop3:0x80
	v_cmp_gt_i32_e32 vcc_lo, 0, v28
	v_ashrrev_i32_e32 v4, 31, v26
	v_mad_u32_u24 v5, 0x44, v3, v0
	v_xor_b32_e32 v2, s5, v2
	v_bitop3_b32 v1, v1, v7, v6 bitop3:0x80
	s_delay_alu instid0(VALU_DEP_4) | instskip(SKIP_3) | instid1(VALU_DEP_2)
	v_xor_b32_e32 v4, vcc_lo, v4
	ds_load_b32 v26, v5 offset:64
	; wave barrier
	v_bitop3_b32 v1, v1, v4, v2 bitop3:0x80
	v_mul_u32_u24_e32 v2, 0x44, v3
	v_mbcnt_lo_u32_b32 v27, v1, 0
	v_cmp_ne_u32_e64 s0, 0, v1
	s_delay_alu instid0(VALU_DEP_3) | instskip(NEXT) | instid1(VALU_DEP_3)
	v_add_nc_u32_e32 v28, v0, v2
	v_cmp_eq_u32_e32 vcc_lo, 0, v27
	s_and_b32 s1, s0, vcc_lo
	s_delay_alu instid0(SALU_CYCLE_1)
	s_and_saveexec_b32 s0, s1
	s_cbranch_execz .LBB2524_101
; %bb.100:
	s_wait_dscnt 0x0
	v_bcnt_u32_b32 v1, v1, v26
	ds_store_b32 v28, v1 offset:64
.LBB2524_101:
	s_or_b32 exec_lo, exec_lo, s0
	v_and_b32_e32 v1, 0xffff, v20
	; wave barrier
	s_delay_alu instid0(VALU_DEP_1) | instskip(NEXT) | instid1(VALU_DEP_1)
	v_lshrrev_b32_e32 v1, s20, v1
	v_and_b32_e32 v3, s6, v1
	s_delay_alu instid0(VALU_DEP_1) | instskip(SKIP_1) | instid1(VALU_DEP_1)
	v_lshlrev_b32_e32 v4, 30, v3
	v_bitop3_b32 v2, v1, 1, s6 bitop3:0x80
	v_add_co_u32 v1, s0, v2, -1
	s_delay_alu instid0(VALU_DEP_1) | instskip(NEXT) | instid1(VALU_DEP_4)
	v_cndmask_b32_e64 v2, 0, 1, s0
	v_cmp_gt_i32_e64 s0, 0, v4
	s_delay_alu instid0(VALU_DEP_2) | instskip(SKIP_1) | instid1(VALU_DEP_1)
	v_cmp_ne_u32_e32 vcc_lo, 0, v2
	v_not_b32_e32 v2, v4
	v_dual_ashrrev_i32 v2, 31, v2 :: v_dual_lshlrev_b32 v5, 29, v3
	v_dual_lshlrev_b32 v6, 28, v3 :: v_dual_lshlrev_b32 v7, 27, v3
	v_dual_lshlrev_b32 v29, 26, v3 :: v_dual_lshlrev_b32 v30, 25, v3
	v_lshlrev_b32_e32 v31, 24, v3
	s_delay_alu instid0(VALU_DEP_4)
	v_cmp_gt_i32_e64 s1, 0, v5
	v_not_b32_e32 v4, v5
	v_not_b32_e32 v5, v6
	v_cmp_gt_i32_e64 s2, 0, v6
	v_cmp_gt_i32_e64 s3, 0, v7
	v_not_b32_e32 v6, v7
	v_not_b32_e32 v7, v29
	v_dual_ashrrev_i32 v4, 31, v4 :: v_dual_bitop2_b32 v1, vcc_lo, v1 bitop3:0x14
	v_dual_ashrrev_i32 v5, 31, v5 :: v_dual_bitop2_b32 v2, s0, v2 bitop3:0x14
	v_cmp_gt_i32_e64 s4, 0, v29
	s_delay_alu instid0(VALU_DEP_4) | instskip(NEXT) | instid1(VALU_DEP_3)
	v_dual_ashrrev_i32 v6, 31, v6 :: v_dual_ashrrev_i32 v7, 31, v7
	v_xor_b32_e32 v5, s2, v5
	s_delay_alu instid0(VALU_DEP_4)
	v_bitop3_b32 v1, v1, v2, exec_lo bitop3:0x80
	v_not_b32_e32 v2, v30
	v_xor_b32_e32 v4, s1, v4
	v_not_b32_e32 v29, v31
	v_cmp_gt_i32_e64 s5, 0, v30
	v_xor_b32_e32 v6, s3, v6
	v_dual_ashrrev_i32 v2, 31, v2 :: v_dual_bitop2_b32 v7, s4, v7 bitop3:0x14
	v_bitop3_b32 v1, v1, v5, v4 bitop3:0x80
	v_cmp_gt_i32_e32 vcc_lo, 0, v31
	v_ashrrev_i32_e32 v4, 31, v29
	v_mad_u32_u24 v5, 0x44, v3, v0
	v_xor_b32_e32 v2, s5, v2
	v_bitop3_b32 v1, v1, v7, v6 bitop3:0x80
	s_delay_alu instid0(VALU_DEP_4) | instskip(SKIP_3) | instid1(VALU_DEP_2)
	v_xor_b32_e32 v4, vcc_lo, v4
	ds_load_b32 v29, v5 offset:64
	; wave barrier
	v_bitop3_b32 v1, v1, v4, v2 bitop3:0x80
	v_mul_u32_u24_e32 v2, 0x44, v3
	v_mbcnt_lo_u32_b32 v30, v1, 0
	v_cmp_ne_u32_e64 s0, 0, v1
	s_delay_alu instid0(VALU_DEP_3) | instskip(NEXT) | instid1(VALU_DEP_3)
	v_add_nc_u32_e32 v31, v0, v2
	v_cmp_eq_u32_e32 vcc_lo, 0, v30
	s_and_b32 s1, s0, vcc_lo
	s_delay_alu instid0(SALU_CYCLE_1)
	s_and_saveexec_b32 s0, s1
	s_cbranch_execz .LBB2524_103
; %bb.102:
	s_wait_dscnt 0x0
	v_bcnt_u32_b32 v1, v1, v29
	ds_store_b32 v31, v1 offset:64
.LBB2524_103:
	s_or_b32 exec_lo, exec_lo, s0
	v_and_b32_e32 v1, 0xffff, v16
	; wave barrier
	s_delay_alu instid0(VALU_DEP_1) | instskip(NEXT) | instid1(VALU_DEP_1)
	v_lshrrev_b32_e32 v1, s20, v1
	v_and_b32_e32 v3, s6, v1
	s_delay_alu instid0(VALU_DEP_1) | instskip(SKIP_1) | instid1(VALU_DEP_1)
	v_lshlrev_b32_e32 v4, 30, v3
	v_bitop3_b32 v2, v1, 1, s6 bitop3:0x80
	v_add_co_u32 v1, s0, v2, -1
	s_delay_alu instid0(VALU_DEP_1) | instskip(NEXT) | instid1(VALU_DEP_4)
	v_cndmask_b32_e64 v2, 0, 1, s0
	v_cmp_gt_i32_e64 s0, 0, v4
	s_delay_alu instid0(VALU_DEP_2) | instskip(SKIP_1) | instid1(VALU_DEP_1)
	v_cmp_ne_u32_e32 vcc_lo, 0, v2
	v_not_b32_e32 v2, v4
	v_dual_ashrrev_i32 v2, 31, v2 :: v_dual_lshlrev_b32 v5, 29, v3
	v_dual_lshlrev_b32 v6, 28, v3 :: v_dual_lshlrev_b32 v7, 27, v3
	v_dual_lshlrev_b32 v32, 26, v3 :: v_dual_lshlrev_b32 v33, 25, v3
	v_lshlrev_b32_e32 v34, 24, v3
	s_delay_alu instid0(VALU_DEP_4)
	v_cmp_gt_i32_e64 s1, 0, v5
	v_not_b32_e32 v4, v5
	v_not_b32_e32 v5, v6
	v_cmp_gt_i32_e64 s2, 0, v6
	v_cmp_gt_i32_e64 s3, 0, v7
	v_not_b32_e32 v6, v7
	v_not_b32_e32 v7, v32
	v_dual_ashrrev_i32 v4, 31, v4 :: v_dual_bitop2_b32 v1, vcc_lo, v1 bitop3:0x14
	v_dual_ashrrev_i32 v5, 31, v5 :: v_dual_bitop2_b32 v2, s0, v2 bitop3:0x14
	v_cmp_gt_i32_e64 s4, 0, v32
	s_delay_alu instid0(VALU_DEP_4) | instskip(SKIP_1) | instid1(VALU_DEP_4)
	v_dual_ashrrev_i32 v6, 31, v6 :: v_dual_ashrrev_i32 v7, 31, v7
	v_not_b32_e32 v32, v34
	v_xor_b32_e32 v5, s2, v5
	v_bitop3_b32 v1, v1, v2, exec_lo bitop3:0x80
	v_not_b32_e32 v2, v33
	v_xor_b32_e32 v4, s1, v4
	v_cmp_gt_i32_e64 s5, 0, v33
	v_xor_b32_e32 v6, s3, v6
	s_delay_alu instid0(VALU_DEP_4) | instskip(NEXT) | instid1(VALU_DEP_4)
	v_dual_ashrrev_i32 v2, 31, v2 :: v_dual_bitop2_b32 v7, s4, v7 bitop3:0x14
	v_bitop3_b32 v1, v1, v5, v4 bitop3:0x80
	v_cmp_gt_i32_e32 vcc_lo, 0, v34
	v_ashrrev_i32_e32 v4, 31, v32
	v_mad_u32_u24 v5, 0x44, v3, v0
	v_xor_b32_e32 v2, s5, v2
	v_bitop3_b32 v1, v1, v7, v6 bitop3:0x80
	s_delay_alu instid0(VALU_DEP_4) | instskip(SKIP_3) | instid1(VALU_DEP_2)
	v_xor_b32_e32 v4, vcc_lo, v4
	ds_load_b32 v32, v5 offset:64
	; wave barrier
	v_bitop3_b32 v1, v1, v4, v2 bitop3:0x80
	v_mul_u32_u24_e32 v2, 0x44, v3
	v_mbcnt_lo_u32_b32 v33, v1, 0
	v_cmp_ne_u32_e64 s0, 0, v1
	s_delay_alu instid0(VALU_DEP_3) | instskip(NEXT) | instid1(VALU_DEP_3)
	v_add_nc_u32_e32 v34, v0, v2
	v_cmp_eq_u32_e32 vcc_lo, 0, v33
	s_and_b32 s1, s0, vcc_lo
	s_delay_alu instid0(SALU_CYCLE_1)
	s_and_saveexec_b32 s0, s1
	s_cbranch_execz .LBB2524_105
; %bb.104:
	s_wait_dscnt 0x0
	v_bcnt_u32_b32 v1, v1, v32
	ds_store_b32 v34, v1 offset:64
.LBB2524_105:
	s_or_b32 exec_lo, exec_lo, s0
	v_and_b32_e32 v1, 0xffff, v17
	; wave barrier
	s_delay_alu instid0(VALU_DEP_1) | instskip(NEXT) | instid1(VALU_DEP_1)
	v_lshrrev_b32_e32 v1, s20, v1
	v_and_b32_e32 v3, s6, v1
	s_delay_alu instid0(VALU_DEP_1) | instskip(SKIP_1) | instid1(VALU_DEP_1)
	v_lshlrev_b32_e32 v4, 30, v3
	v_bitop3_b32 v2, v1, 1, s6 bitop3:0x80
	v_add_co_u32 v1, s0, v2, -1
	s_delay_alu instid0(VALU_DEP_1) | instskip(NEXT) | instid1(VALU_DEP_4)
	v_cndmask_b32_e64 v2, 0, 1, s0
	v_cmp_gt_i32_e64 s0, 0, v4
	s_delay_alu instid0(VALU_DEP_2) | instskip(SKIP_1) | instid1(VALU_DEP_1)
	v_cmp_ne_u32_e32 vcc_lo, 0, v2
	v_not_b32_e32 v2, v4
	v_dual_ashrrev_i32 v2, 31, v2 :: v_dual_lshlrev_b32 v5, 29, v3
	v_dual_lshlrev_b32 v6, 28, v3 :: v_dual_lshlrev_b32 v7, 27, v3
	v_dual_lshlrev_b32 v35, 26, v3 :: v_dual_lshlrev_b32 v36, 25, v3
	v_lshlrev_b32_e32 v37, 24, v3
	s_delay_alu instid0(VALU_DEP_4)
	v_cmp_gt_i32_e64 s1, 0, v5
	v_not_b32_e32 v4, v5
	v_not_b32_e32 v5, v6
	v_cmp_gt_i32_e64 s2, 0, v6
	v_cmp_gt_i32_e64 s3, 0, v7
	v_not_b32_e32 v6, v7
	v_not_b32_e32 v7, v35
	v_dual_ashrrev_i32 v4, 31, v4 :: v_dual_bitop2_b32 v1, vcc_lo, v1 bitop3:0x14
	v_dual_ashrrev_i32 v5, 31, v5 :: v_dual_bitop2_b32 v2, s0, v2 bitop3:0x14
	v_cmp_gt_i32_e64 s4, 0, v35
	s_delay_alu instid0(VALU_DEP_4) | instskip(SKIP_1) | instid1(VALU_DEP_4)
	v_dual_ashrrev_i32 v6, 31, v6 :: v_dual_ashrrev_i32 v7, 31, v7
	v_not_b32_e32 v35, v37
	v_xor_b32_e32 v5, s2, v5
	v_bitop3_b32 v1, v1, v2, exec_lo bitop3:0x80
	v_not_b32_e32 v2, v36
	v_xor_b32_e32 v4, s1, v4
	v_cmp_gt_i32_e64 s5, 0, v36
	v_xor_b32_e32 v6, s3, v6
	s_delay_alu instid0(VALU_DEP_4) | instskip(NEXT) | instid1(VALU_DEP_4)
	v_dual_ashrrev_i32 v2, 31, v2 :: v_dual_bitop2_b32 v7, s4, v7 bitop3:0x14
	v_bitop3_b32 v1, v1, v5, v4 bitop3:0x80
	v_cmp_gt_i32_e32 vcc_lo, 0, v37
	v_ashrrev_i32_e32 v4, 31, v35
	v_mad_u32_u24 v5, 0x44, v3, v0
	v_xor_b32_e32 v2, s5, v2
	v_bitop3_b32 v1, v1, v7, v6 bitop3:0x80
	s_delay_alu instid0(VALU_DEP_4) | instskip(SKIP_3) | instid1(VALU_DEP_2)
	v_xor_b32_e32 v4, vcc_lo, v4
	ds_load_b32 v35, v5 offset:64
	; wave barrier
	v_bitop3_b32 v1, v1, v4, v2 bitop3:0x80
	v_mul_u32_u24_e32 v2, 0x44, v3
	v_mbcnt_lo_u32_b32 v36, v1, 0
	v_cmp_ne_u32_e64 s0, 0, v1
	s_delay_alu instid0(VALU_DEP_3) | instskip(NEXT) | instid1(VALU_DEP_3)
	v_add_nc_u32_e32 v37, v0, v2
	v_cmp_eq_u32_e32 vcc_lo, 0, v36
	s_and_b32 s1, s0, vcc_lo
	s_delay_alu instid0(SALU_CYCLE_1)
	s_and_saveexec_b32 s0, s1
	s_cbranch_execz .LBB2524_107
; %bb.106:
	s_wait_dscnt 0x0
	v_bcnt_u32_b32 v1, v1, v35
	ds_store_b32 v37, v1 offset:64
.LBB2524_107:
	s_or_b32 exec_lo, exec_lo, s0
	v_and_b32_e32 v1, 0xffff, v18
	; wave barrier
	s_delay_alu instid0(VALU_DEP_1) | instskip(NEXT) | instid1(VALU_DEP_1)
	v_lshrrev_b32_e32 v1, s20, v1
	v_and_b32_e32 v3, s6, v1
	s_delay_alu instid0(VALU_DEP_1) | instskip(SKIP_1) | instid1(VALU_DEP_1)
	v_lshlrev_b32_e32 v4, 30, v3
	v_bitop3_b32 v2, v1, 1, s6 bitop3:0x80
	v_add_co_u32 v1, s0, v2, -1
	s_delay_alu instid0(VALU_DEP_1) | instskip(NEXT) | instid1(VALU_DEP_4)
	v_cndmask_b32_e64 v2, 0, 1, s0
	v_cmp_gt_i32_e64 s0, 0, v4
	s_delay_alu instid0(VALU_DEP_2) | instskip(SKIP_1) | instid1(VALU_DEP_1)
	v_cmp_ne_u32_e32 vcc_lo, 0, v2
	v_not_b32_e32 v2, v4
	v_dual_ashrrev_i32 v2, 31, v2 :: v_dual_lshlrev_b32 v5, 29, v3
	v_dual_lshlrev_b32 v6, 28, v3 :: v_dual_lshlrev_b32 v7, 27, v3
	v_dual_lshlrev_b32 v38, 26, v3 :: v_dual_lshlrev_b32 v39, 25, v3
	v_lshlrev_b32_e32 v40, 24, v3
	s_delay_alu instid0(VALU_DEP_4)
	v_cmp_gt_i32_e64 s1, 0, v5
	v_not_b32_e32 v4, v5
	v_not_b32_e32 v5, v6
	v_cmp_gt_i32_e64 s2, 0, v6
	v_cmp_gt_i32_e64 s3, 0, v7
	v_not_b32_e32 v6, v7
	v_not_b32_e32 v7, v38
	v_dual_ashrrev_i32 v4, 31, v4 :: v_dual_bitop2_b32 v1, vcc_lo, v1 bitop3:0x14
	v_dual_ashrrev_i32 v5, 31, v5 :: v_dual_bitop2_b32 v2, s0, v2 bitop3:0x14
	v_cmp_gt_i32_e64 s4, 0, v38
	s_delay_alu instid0(VALU_DEP_4) | instskip(SKIP_1) | instid1(VALU_DEP_4)
	v_dual_ashrrev_i32 v6, 31, v6 :: v_dual_ashrrev_i32 v7, 31, v7
	v_not_b32_e32 v38, v40
	v_xor_b32_e32 v5, s2, v5
	v_bitop3_b32 v1, v1, v2, exec_lo bitop3:0x80
	v_not_b32_e32 v2, v39
	v_xor_b32_e32 v4, s1, v4
	v_cmp_gt_i32_e64 s5, 0, v39
	v_xor_b32_e32 v6, s3, v6
	s_delay_alu instid0(VALU_DEP_4) | instskip(NEXT) | instid1(VALU_DEP_4)
	v_dual_ashrrev_i32 v2, 31, v2 :: v_dual_bitop2_b32 v7, s4, v7 bitop3:0x14
	v_bitop3_b32 v1, v1, v5, v4 bitop3:0x80
	v_cmp_gt_i32_e32 vcc_lo, 0, v40
	v_ashrrev_i32_e32 v4, 31, v38
	v_mad_u32_u24 v5, 0x44, v3, v0
	v_xor_b32_e32 v2, s5, v2
	v_bitop3_b32 v1, v1, v7, v6 bitop3:0x80
	s_delay_alu instid0(VALU_DEP_4) | instskip(SKIP_3) | instid1(VALU_DEP_2)
	v_xor_b32_e32 v4, vcc_lo, v4
	ds_load_b32 v38, v5 offset:64
	; wave barrier
	v_bitop3_b32 v1, v1, v4, v2 bitop3:0x80
	v_mul_u32_u24_e32 v2, 0x44, v3
	v_mbcnt_lo_u32_b32 v39, v1, 0
	v_cmp_ne_u32_e64 s0, 0, v1
	s_delay_alu instid0(VALU_DEP_3) | instskip(NEXT) | instid1(VALU_DEP_3)
	v_add_nc_u32_e32 v40, v0, v2
	v_cmp_eq_u32_e32 vcc_lo, 0, v39
	s_and_b32 s1, s0, vcc_lo
	s_delay_alu instid0(SALU_CYCLE_1)
	s_and_saveexec_b32 s0, s1
	s_cbranch_execz .LBB2524_109
; %bb.108:
	s_wait_dscnt 0x0
	v_bcnt_u32_b32 v1, v1, v38
	ds_store_b32 v40, v1 offset:64
.LBB2524_109:
	s_or_b32 exec_lo, exec_lo, s0
	v_and_b32_e32 v1, 0xffff, v19
	; wave barrier
	s_delay_alu instid0(VALU_DEP_1) | instskip(NEXT) | instid1(VALU_DEP_1)
	v_lshrrev_b32_e32 v1, s20, v1
	v_and_b32_e32 v3, s6, v1
	s_delay_alu instid0(VALU_DEP_1) | instskip(SKIP_1) | instid1(VALU_DEP_1)
	v_lshlrev_b32_e32 v4, 30, v3
	v_bitop3_b32 v2, v1, 1, s6 bitop3:0x80
	v_add_co_u32 v1, s0, v2, -1
	s_delay_alu instid0(VALU_DEP_1) | instskip(NEXT) | instid1(VALU_DEP_4)
	v_cndmask_b32_e64 v2, 0, 1, s0
	v_cmp_gt_i32_e64 s0, 0, v4
	s_delay_alu instid0(VALU_DEP_2) | instskip(SKIP_1) | instid1(VALU_DEP_1)
	v_cmp_ne_u32_e32 vcc_lo, 0, v2
	v_not_b32_e32 v2, v4
	v_dual_ashrrev_i32 v2, 31, v2 :: v_dual_lshlrev_b32 v5, 29, v3
	v_dual_lshlrev_b32 v6, 28, v3 :: v_dual_lshlrev_b32 v7, 27, v3
	v_dual_lshlrev_b32 v41, 26, v3 :: v_dual_lshlrev_b32 v42, 25, v3
	v_lshlrev_b32_e32 v43, 24, v3
	s_delay_alu instid0(VALU_DEP_4)
	v_cmp_gt_i32_e64 s1, 0, v5
	v_not_b32_e32 v4, v5
	v_not_b32_e32 v5, v6
	v_cmp_gt_i32_e64 s2, 0, v6
	v_cmp_gt_i32_e64 s3, 0, v7
	v_not_b32_e32 v6, v7
	v_not_b32_e32 v7, v41
	v_dual_ashrrev_i32 v4, 31, v4 :: v_dual_bitop2_b32 v1, vcc_lo, v1 bitop3:0x14
	v_dual_ashrrev_i32 v5, 31, v5 :: v_dual_bitop2_b32 v2, s0, v2 bitop3:0x14
	v_cmp_gt_i32_e64 s4, 0, v41
	s_delay_alu instid0(VALU_DEP_4) | instskip(NEXT) | instid1(VALU_DEP_3)
	v_dual_ashrrev_i32 v6, 31, v6 :: v_dual_ashrrev_i32 v7, 31, v7
	v_xor_b32_e32 v5, s2, v5
	s_delay_alu instid0(VALU_DEP_4)
	v_bitop3_b32 v1, v1, v2, exec_lo bitop3:0x80
	v_not_b32_e32 v2, v42
	v_xor_b32_e32 v4, s1, v4
	v_not_b32_e32 v41, v43
	v_cmp_gt_i32_e64 s5, 0, v42
	v_xor_b32_e32 v6, s3, v6
	v_dual_ashrrev_i32 v2, 31, v2 :: v_dual_bitop2_b32 v7, s4, v7 bitop3:0x14
	v_bitop3_b32 v1, v1, v5, v4 bitop3:0x80
	v_cmp_gt_i32_e32 vcc_lo, 0, v43
	v_ashrrev_i32_e32 v4, 31, v41
	v_mad_u32_u24 v5, 0x44, v3, v0
	v_xor_b32_e32 v2, s5, v2
	v_bitop3_b32 v1, v1, v7, v6 bitop3:0x80
	s_delay_alu instid0(VALU_DEP_4) | instskip(SKIP_3) | instid1(VALU_DEP_2)
	v_xor_b32_e32 v4, vcc_lo, v4
	ds_load_b32 v41, v5 offset:64
	; wave barrier
	v_bitop3_b32 v1, v1, v4, v2 bitop3:0x80
	v_mul_u32_u24_e32 v2, 0x44, v3
	v_mbcnt_lo_u32_b32 v42, v1, 0
	v_cmp_ne_u32_e64 s0, 0, v1
	s_delay_alu instid0(VALU_DEP_3) | instskip(NEXT) | instid1(VALU_DEP_3)
	v_add_nc_u32_e32 v44, v0, v2
	v_cmp_eq_u32_e32 vcc_lo, 0, v42
	s_and_b32 s1, s0, vcc_lo
	s_delay_alu instid0(SALU_CYCLE_1)
	s_and_saveexec_b32 s0, s1
	s_cbranch_execz .LBB2524_111
; %bb.110:
	s_wait_dscnt 0x0
	v_bcnt_u32_b32 v1, v1, v41
	ds_store_b32 v44, v1 offset:64
.LBB2524_111:
	s_or_b32 exec_lo, exec_lo, s0
	v_and_b32_e32 v1, 0xffff, v13
	; wave barrier
	s_delay_alu instid0(VALU_DEP_1) | instskip(NEXT) | instid1(VALU_DEP_1)
	v_lshrrev_b32_e32 v1, s20, v1
	v_and_b32_e32 v3, s6, v1
	s_delay_alu instid0(VALU_DEP_1) | instskip(SKIP_1) | instid1(VALU_DEP_1)
	v_lshlrev_b32_e32 v4, 30, v3
	v_bitop3_b32 v2, v1, 1, s6 bitop3:0x80
	v_add_co_u32 v1, s0, v2, -1
	s_delay_alu instid0(VALU_DEP_1) | instskip(NEXT) | instid1(VALU_DEP_4)
	v_cndmask_b32_e64 v2, 0, 1, s0
	v_cmp_gt_i32_e64 s0, 0, v4
	s_delay_alu instid0(VALU_DEP_2) | instskip(SKIP_1) | instid1(VALU_DEP_1)
	v_cmp_ne_u32_e32 vcc_lo, 0, v2
	v_not_b32_e32 v2, v4
	v_dual_ashrrev_i32 v2, 31, v2 :: v_dual_lshlrev_b32 v5, 29, v3
	v_dual_lshlrev_b32 v6, 28, v3 :: v_dual_lshlrev_b32 v7, 27, v3
	v_dual_lshlrev_b32 v43, 26, v3 :: v_dual_lshlrev_b32 v45, 25, v3
	v_lshlrev_b32_e32 v46, 24, v3
	s_delay_alu instid0(VALU_DEP_4)
	v_cmp_gt_i32_e64 s1, 0, v5
	v_not_b32_e32 v4, v5
	v_not_b32_e32 v5, v6
	v_cmp_gt_i32_e64 s2, 0, v6
	v_cmp_gt_i32_e64 s3, 0, v7
	v_not_b32_e32 v6, v7
	v_not_b32_e32 v7, v43
	v_dual_ashrrev_i32 v4, 31, v4 :: v_dual_bitop2_b32 v1, vcc_lo, v1 bitop3:0x14
	v_dual_ashrrev_i32 v5, 31, v5 :: v_dual_bitop2_b32 v2, s0, v2 bitop3:0x14
	v_cmp_gt_i32_e64 s4, 0, v43
	s_delay_alu instid0(VALU_DEP_4) | instskip(SKIP_1) | instid1(VALU_DEP_4)
	v_dual_ashrrev_i32 v6, 31, v6 :: v_dual_ashrrev_i32 v7, 31, v7
	v_not_b32_e32 v43, v46
	v_xor_b32_e32 v5, s2, v5
	v_bitop3_b32 v1, v1, v2, exec_lo bitop3:0x80
	v_not_b32_e32 v2, v45
	v_xor_b32_e32 v4, s1, v4
	v_cmp_gt_i32_e64 s5, 0, v45
	v_xor_b32_e32 v6, s3, v6
	s_delay_alu instid0(VALU_DEP_4) | instskip(NEXT) | instid1(VALU_DEP_4)
	v_dual_ashrrev_i32 v2, 31, v2 :: v_dual_bitop2_b32 v7, s4, v7 bitop3:0x14
	v_bitop3_b32 v1, v1, v5, v4 bitop3:0x80
	v_cmp_gt_i32_e32 vcc_lo, 0, v46
	v_ashrrev_i32_e32 v4, 31, v43
	v_mad_u32_u24 v5, 0x44, v3, v0
	v_xor_b32_e32 v2, s5, v2
	v_bitop3_b32 v1, v1, v7, v6 bitop3:0x80
	s_delay_alu instid0(VALU_DEP_4) | instskip(SKIP_3) | instid1(VALU_DEP_2)
	v_xor_b32_e32 v4, vcc_lo, v4
	ds_load_b32 v43, v5 offset:64
	; wave barrier
	v_bitop3_b32 v1, v1, v4, v2 bitop3:0x80
	v_mul_u32_u24_e32 v2, 0x44, v3
	v_mbcnt_lo_u32_b32 v45, v1, 0
	v_cmp_ne_u32_e64 s0, 0, v1
	s_delay_alu instid0(VALU_DEP_3) | instskip(NEXT) | instid1(VALU_DEP_3)
	v_add_nc_u32_e32 v48, v0, v2
	v_cmp_eq_u32_e32 vcc_lo, 0, v45
	s_and_b32 s1, s0, vcc_lo
	s_delay_alu instid0(SALU_CYCLE_1)
	s_and_saveexec_b32 s0, s1
	s_cbranch_execz .LBB2524_113
; %bb.112:
	s_wait_dscnt 0x0
	v_bcnt_u32_b32 v1, v1, v43
	ds_store_b32 v48, v1 offset:64
.LBB2524_113:
	s_or_b32 exec_lo, exec_lo, s0
	v_and_b32_e32 v1, 0xffff, v8
	; wave barrier
	s_delay_alu instid0(VALU_DEP_1) | instskip(NEXT) | instid1(VALU_DEP_1)
	v_lshrrev_b32_e32 v1, s20, v1
	v_and_b32_e32 v3, s6, v1
	s_delay_alu instid0(VALU_DEP_1) | instskip(SKIP_1) | instid1(VALU_DEP_1)
	v_lshlrev_b32_e32 v4, 30, v3
	v_bitop3_b32 v2, v1, 1, s6 bitop3:0x80
	v_add_co_u32 v1, s0, v2, -1
	s_delay_alu instid0(VALU_DEP_1) | instskip(NEXT) | instid1(VALU_DEP_4)
	v_cndmask_b32_e64 v2, 0, 1, s0
	v_cmp_gt_i32_e64 s0, 0, v4
	s_delay_alu instid0(VALU_DEP_2) | instskip(SKIP_1) | instid1(VALU_DEP_1)
	v_cmp_ne_u32_e32 vcc_lo, 0, v2
	v_not_b32_e32 v2, v4
	v_dual_ashrrev_i32 v2, 31, v2 :: v_dual_lshlrev_b32 v5, 29, v3
	v_dual_lshlrev_b32 v6, 28, v3 :: v_dual_lshlrev_b32 v7, 27, v3
	v_dual_lshlrev_b32 v46, 26, v3 :: v_dual_lshlrev_b32 v47, 25, v3
	v_lshlrev_b32_e32 v49, 24, v3
	s_delay_alu instid0(VALU_DEP_4)
	v_cmp_gt_i32_e64 s1, 0, v5
	v_not_b32_e32 v4, v5
	v_not_b32_e32 v5, v6
	v_cmp_gt_i32_e64 s2, 0, v6
	v_cmp_gt_i32_e64 s3, 0, v7
	v_not_b32_e32 v6, v7
	v_not_b32_e32 v7, v46
	v_dual_ashrrev_i32 v4, 31, v4 :: v_dual_bitop2_b32 v1, vcc_lo, v1 bitop3:0x14
	v_dual_ashrrev_i32 v5, 31, v5 :: v_dual_bitop2_b32 v2, s0, v2 bitop3:0x14
	v_cmp_gt_i32_e64 s4, 0, v46
	s_delay_alu instid0(VALU_DEP_4) | instskip(SKIP_1) | instid1(VALU_DEP_4)
	v_dual_ashrrev_i32 v6, 31, v6 :: v_dual_ashrrev_i32 v7, 31, v7
	v_not_b32_e32 v46, v49
	v_xor_b32_e32 v5, s2, v5
	v_bitop3_b32 v1, v1, v2, exec_lo bitop3:0x80
	v_not_b32_e32 v2, v47
	v_xor_b32_e32 v4, s1, v4
	v_cmp_gt_i32_e64 s5, 0, v47
	v_xor_b32_e32 v6, s3, v6
	s_delay_alu instid0(VALU_DEP_4) | instskip(NEXT) | instid1(VALU_DEP_4)
	v_dual_ashrrev_i32 v2, 31, v2 :: v_dual_bitop2_b32 v7, s4, v7 bitop3:0x14
	v_bitop3_b32 v1, v1, v5, v4 bitop3:0x80
	v_cmp_gt_i32_e32 vcc_lo, 0, v49
	v_ashrrev_i32_e32 v4, 31, v46
	v_mad_u32_u24 v5, 0x44, v3, v0
	v_xor_b32_e32 v2, s5, v2
	v_bitop3_b32 v1, v1, v7, v6 bitop3:0x80
	s_delay_alu instid0(VALU_DEP_4) | instskip(SKIP_3) | instid1(VALU_DEP_2)
	v_xor_b32_e32 v4, vcc_lo, v4
	ds_load_b32 v46, v5 offset:64
	; wave barrier
	v_bitop3_b32 v1, v1, v4, v2 bitop3:0x80
	v_mul_u32_u24_e32 v2, 0x44, v3
	v_mbcnt_lo_u32_b32 v47, v1, 0
	v_cmp_ne_u32_e64 s0, 0, v1
	s_delay_alu instid0(VALU_DEP_3) | instskip(NEXT) | instid1(VALU_DEP_3)
	v_add_nc_u32_e32 v51, v0, v2
	v_cmp_eq_u32_e32 vcc_lo, 0, v47
	s_and_b32 s1, s0, vcc_lo
	s_delay_alu instid0(SALU_CYCLE_1)
	s_and_saveexec_b32 s0, s1
	s_cbranch_execz .LBB2524_115
; %bb.114:
	s_wait_dscnt 0x0
	v_bcnt_u32_b32 v1, v1, v46
	ds_store_b32 v51, v1 offset:64
.LBB2524_115:
	s_or_b32 exec_lo, exec_lo, s0
	v_and_b32_e32 v1, 0xffff, v9
	; wave barrier
	s_delay_alu instid0(VALU_DEP_1) | instskip(NEXT) | instid1(VALU_DEP_1)
	v_lshrrev_b32_e32 v1, s20, v1
	v_and_b32_e32 v3, s6, v1
	s_delay_alu instid0(VALU_DEP_1) | instskip(SKIP_1) | instid1(VALU_DEP_1)
	v_lshlrev_b32_e32 v4, 30, v3
	v_bitop3_b32 v2, v1, 1, s6 bitop3:0x80
	v_add_co_u32 v1, s0, v2, -1
	s_delay_alu instid0(VALU_DEP_1) | instskip(NEXT) | instid1(VALU_DEP_4)
	v_cndmask_b32_e64 v2, 0, 1, s0
	v_cmp_gt_i32_e64 s0, 0, v4
	s_delay_alu instid0(VALU_DEP_2) | instskip(SKIP_1) | instid1(VALU_DEP_1)
	v_cmp_ne_u32_e32 vcc_lo, 0, v2
	v_not_b32_e32 v2, v4
	v_dual_ashrrev_i32 v2, 31, v2 :: v_dual_lshlrev_b32 v5, 29, v3
	v_dual_lshlrev_b32 v6, 28, v3 :: v_dual_lshlrev_b32 v7, 27, v3
	v_dual_lshlrev_b32 v49, 26, v3 :: v_dual_lshlrev_b32 v50, 25, v3
	v_lshlrev_b32_e32 v52, 24, v3
	s_delay_alu instid0(VALU_DEP_4)
	v_cmp_gt_i32_e64 s1, 0, v5
	v_not_b32_e32 v4, v5
	v_not_b32_e32 v5, v6
	v_cmp_gt_i32_e64 s2, 0, v6
	v_cmp_gt_i32_e64 s3, 0, v7
	v_not_b32_e32 v6, v7
	v_not_b32_e32 v7, v49
	v_dual_ashrrev_i32 v4, 31, v4 :: v_dual_bitop2_b32 v1, vcc_lo, v1 bitop3:0x14
	v_dual_ashrrev_i32 v5, 31, v5 :: v_dual_bitop2_b32 v2, s0, v2 bitop3:0x14
	v_cmp_gt_i32_e64 s4, 0, v49
	s_delay_alu instid0(VALU_DEP_4) | instskip(NEXT) | instid1(VALU_DEP_3)
	v_dual_ashrrev_i32 v6, 31, v6 :: v_dual_ashrrev_i32 v7, 31, v7
	v_xor_b32_e32 v5, s2, v5
	s_delay_alu instid0(VALU_DEP_4)
	v_bitop3_b32 v1, v1, v2, exec_lo bitop3:0x80
	v_not_b32_e32 v2, v50
	v_xor_b32_e32 v4, s1, v4
	v_not_b32_e32 v49, v52
	v_cmp_gt_i32_e64 s5, 0, v50
	v_xor_b32_e32 v6, s3, v6
	v_dual_ashrrev_i32 v2, 31, v2 :: v_dual_bitop2_b32 v7, s4, v7 bitop3:0x14
	v_bitop3_b32 v1, v1, v5, v4 bitop3:0x80
	v_cmp_gt_i32_e32 vcc_lo, 0, v52
	v_ashrrev_i32_e32 v4, 31, v49
	v_mad_u32_u24 v5, 0x44, v3, v0
	v_xor_b32_e32 v2, s5, v2
	v_bitop3_b32 v1, v1, v7, v6 bitop3:0x80
	s_delay_alu instid0(VALU_DEP_4) | instskip(SKIP_3) | instid1(VALU_DEP_2)
	v_xor_b32_e32 v4, vcc_lo, v4
	ds_load_b32 v49, v5 offset:64
	; wave barrier
	v_bitop3_b32 v1, v1, v4, v2 bitop3:0x80
	v_mul_u32_u24_e32 v2, 0x44, v3
	v_mbcnt_lo_u32_b32 v50, v1, 0
	v_cmp_ne_u32_e64 s0, 0, v1
	s_delay_alu instid0(VALU_DEP_3) | instskip(NEXT) | instid1(VALU_DEP_3)
	v_add_nc_u32_e32 v54, v0, v2
	v_cmp_eq_u32_e32 vcc_lo, 0, v50
	s_and_b32 s1, s0, vcc_lo
	s_delay_alu instid0(SALU_CYCLE_1)
	s_and_saveexec_b32 s0, s1
	s_cbranch_execz .LBB2524_117
; %bb.116:
	s_wait_dscnt 0x0
	v_bcnt_u32_b32 v1, v1, v49
	ds_store_b32 v54, v1 offset:64
.LBB2524_117:
	s_or_b32 exec_lo, exec_lo, s0
	v_and_b32_e32 v1, 0xffff, v10
	; wave barrier
	s_delay_alu instid0(VALU_DEP_1) | instskip(NEXT) | instid1(VALU_DEP_1)
	v_lshrrev_b32_e32 v1, s20, v1
	v_and_b32_e32 v3, s6, v1
	s_delay_alu instid0(VALU_DEP_1) | instskip(SKIP_1) | instid1(VALU_DEP_1)
	v_lshlrev_b32_e32 v4, 30, v3
	v_bitop3_b32 v2, v1, 1, s6 bitop3:0x80
	v_add_co_u32 v1, s0, v2, -1
	s_delay_alu instid0(VALU_DEP_1) | instskip(NEXT) | instid1(VALU_DEP_4)
	v_cndmask_b32_e64 v2, 0, 1, s0
	v_cmp_gt_i32_e64 s0, 0, v4
	s_delay_alu instid0(VALU_DEP_2) | instskip(SKIP_1) | instid1(VALU_DEP_1)
	v_cmp_ne_u32_e32 vcc_lo, 0, v2
	v_not_b32_e32 v2, v4
	v_dual_ashrrev_i32 v2, 31, v2 :: v_dual_lshlrev_b32 v5, 29, v3
	v_dual_lshlrev_b32 v6, 28, v3 :: v_dual_lshlrev_b32 v7, 27, v3
	v_dual_lshlrev_b32 v52, 26, v3 :: v_dual_lshlrev_b32 v53, 25, v3
	v_lshlrev_b32_e32 v55, 24, v3
	s_delay_alu instid0(VALU_DEP_4)
	v_cmp_gt_i32_e64 s1, 0, v5
	v_not_b32_e32 v4, v5
	v_not_b32_e32 v5, v6
	v_cmp_gt_i32_e64 s2, 0, v6
	v_cmp_gt_i32_e64 s3, 0, v7
	v_not_b32_e32 v6, v7
	v_not_b32_e32 v7, v52
	v_dual_ashrrev_i32 v4, 31, v4 :: v_dual_bitop2_b32 v1, vcc_lo, v1 bitop3:0x14
	v_dual_ashrrev_i32 v5, 31, v5 :: v_dual_bitop2_b32 v2, s0, v2 bitop3:0x14
	v_cmp_gt_i32_e64 s4, 0, v52
	s_delay_alu instid0(VALU_DEP_4) | instskip(SKIP_1) | instid1(VALU_DEP_4)
	v_dual_ashrrev_i32 v6, 31, v6 :: v_dual_ashrrev_i32 v7, 31, v7
	v_not_b32_e32 v52, v55
	v_xor_b32_e32 v5, s2, v5
	v_bitop3_b32 v1, v1, v2, exec_lo bitop3:0x80
	v_not_b32_e32 v2, v53
	v_xor_b32_e32 v4, s1, v4
	v_cmp_gt_i32_e64 s5, 0, v53
	v_xor_b32_e32 v6, s3, v6
	s_delay_alu instid0(VALU_DEP_4) | instskip(NEXT) | instid1(VALU_DEP_4)
	v_dual_ashrrev_i32 v2, 31, v2 :: v_dual_bitop2_b32 v7, s4, v7 bitop3:0x14
	v_bitop3_b32 v1, v1, v5, v4 bitop3:0x80
	v_cmp_gt_i32_e32 vcc_lo, 0, v55
	v_ashrrev_i32_e32 v4, 31, v52
	v_mad_u32_u24 v5, 0x44, v3, v0
	v_xor_b32_e32 v2, s5, v2
	v_bitop3_b32 v1, v1, v7, v6 bitop3:0x80
	s_delay_alu instid0(VALU_DEP_4) | instskip(SKIP_3) | instid1(VALU_DEP_2)
	v_xor_b32_e32 v4, vcc_lo, v4
	ds_load_b32 v52, v5 offset:64
	; wave barrier
	v_bitop3_b32 v1, v1, v4, v2 bitop3:0x80
	v_mul_u32_u24_e32 v2, 0x44, v3
	v_mbcnt_lo_u32_b32 v53, v1, 0
	v_cmp_ne_u32_e64 s0, 0, v1
	s_delay_alu instid0(VALU_DEP_3) | instskip(NEXT) | instid1(VALU_DEP_3)
	v_add_nc_u32_e32 v57, v0, v2
	v_cmp_eq_u32_e32 vcc_lo, 0, v53
	s_and_b32 s1, s0, vcc_lo
	s_delay_alu instid0(SALU_CYCLE_1)
	s_and_saveexec_b32 s0, s1
	s_cbranch_execz .LBB2524_119
; %bb.118:
	s_wait_dscnt 0x0
	v_bcnt_u32_b32 v1, v1, v52
	ds_store_b32 v57, v1 offset:64
.LBB2524_119:
	s_or_b32 exec_lo, exec_lo, s0
	v_and_b32_e32 v1, 0xffff, v11
	; wave barrier
	s_delay_alu instid0(VALU_DEP_1) | instskip(NEXT) | instid1(VALU_DEP_1)
	v_lshrrev_b32_e32 v1, s20, v1
	v_and_b32_e32 v3, s6, v1
	s_delay_alu instid0(VALU_DEP_1) | instskip(SKIP_1) | instid1(VALU_DEP_1)
	v_lshlrev_b32_e32 v4, 30, v3
	v_bitop3_b32 v2, v1, 1, s6 bitop3:0x80
	v_add_co_u32 v1, s0, v2, -1
	s_delay_alu instid0(VALU_DEP_1) | instskip(NEXT) | instid1(VALU_DEP_4)
	v_cndmask_b32_e64 v2, 0, 1, s0
	v_cmp_gt_i32_e64 s0, 0, v4
	s_delay_alu instid0(VALU_DEP_2) | instskip(SKIP_1) | instid1(VALU_DEP_1)
	v_cmp_ne_u32_e32 vcc_lo, 0, v2
	v_not_b32_e32 v2, v4
	v_dual_ashrrev_i32 v2, 31, v2 :: v_dual_lshlrev_b32 v5, 29, v3
	v_dual_lshlrev_b32 v6, 28, v3 :: v_dual_lshlrev_b32 v7, 27, v3
	v_dual_lshlrev_b32 v55, 26, v3 :: v_dual_lshlrev_b32 v56, 25, v3
	v_lshlrev_b32_e32 v58, 24, v3
	s_delay_alu instid0(VALU_DEP_4)
	v_cmp_gt_i32_e64 s1, 0, v5
	v_not_b32_e32 v4, v5
	v_not_b32_e32 v5, v6
	v_cmp_gt_i32_e64 s2, 0, v6
	v_cmp_gt_i32_e64 s3, 0, v7
	v_not_b32_e32 v6, v7
	v_not_b32_e32 v7, v55
	v_dual_ashrrev_i32 v4, 31, v4 :: v_dual_bitop2_b32 v1, vcc_lo, v1 bitop3:0x14
	v_dual_ashrrev_i32 v5, 31, v5 :: v_dual_bitop2_b32 v2, s0, v2 bitop3:0x14
	v_cmp_gt_i32_e64 s4, 0, v55
	s_delay_alu instid0(VALU_DEP_4) | instskip(SKIP_1) | instid1(VALU_DEP_4)
	v_dual_ashrrev_i32 v6, 31, v6 :: v_dual_ashrrev_i32 v7, 31, v7
	v_not_b32_e32 v55, v58
	v_xor_b32_e32 v5, s2, v5
	v_bitop3_b32 v1, v1, v2, exec_lo bitop3:0x80
	v_not_b32_e32 v2, v56
	v_xor_b32_e32 v4, s1, v4
	v_cmp_gt_i32_e64 s5, 0, v56
	v_xor_b32_e32 v6, s3, v6
	s_delay_alu instid0(VALU_DEP_4) | instskip(NEXT) | instid1(VALU_DEP_4)
	v_dual_ashrrev_i32 v2, 31, v2 :: v_dual_bitop2_b32 v7, s4, v7 bitop3:0x14
	v_bitop3_b32 v1, v1, v5, v4 bitop3:0x80
	v_cmp_gt_i32_e32 vcc_lo, 0, v58
	v_ashrrev_i32_e32 v4, 31, v55
	v_mad_u32_u24 v5, 0x44, v3, v0
	v_xor_b32_e32 v2, s5, v2
	v_bitop3_b32 v1, v1, v7, v6 bitop3:0x80
	s_delay_alu instid0(VALU_DEP_4) | instskip(SKIP_3) | instid1(VALU_DEP_2)
	v_xor_b32_e32 v4, vcc_lo, v4
	ds_load_b32 v55, v5 offset:64
	; wave barrier
	v_bitop3_b32 v1, v1, v4, v2 bitop3:0x80
	v_mul_u32_u24_e32 v2, 0x44, v3
	v_mbcnt_lo_u32_b32 v56, v1, 0
	v_cmp_ne_u32_e64 s0, 0, v1
	s_delay_alu instid0(VALU_DEP_3) | instskip(NEXT) | instid1(VALU_DEP_3)
	v_add_nc_u32_e32 v58, v0, v2
	v_cmp_eq_u32_e32 vcc_lo, 0, v56
	s_and_b32 s1, s0, vcc_lo
	s_delay_alu instid0(SALU_CYCLE_1)
	s_and_saveexec_b32 s0, s1
	s_cbranch_execz .LBB2524_121
; %bb.120:
	s_wait_dscnt 0x0
	v_bcnt_u32_b32 v0, v1, v55
	ds_store_b32 v58, v0 offset:64
.LBB2524_121:
	s_or_b32 exec_lo, exec_lo, s0
	; wave barrier
	s_wait_dscnt 0x0
	s_barrier_signal -1
	s_barrier_wait -1
	ds_load_2addr_b32 v[6:7], v24 offset0:16 offset1:17
	ds_load_2addr_b32 v[4:5], v24 offset0:18 offset1:19
	ds_load_2addr_b32 v[2:3], v24 offset0:20 offset1:21
	ds_load_2addr_b32 v[0:1], v24 offset0:22 offset1:23
	ds_load_b32 v59, v24 offset:96
	v_min_u32_e32 v15, 0x1e0, v15
	s_mov_b32 s4, exec_lo
	s_wait_dscnt 0x3
	v_add3_u32 v60, v7, v6, v4
	s_wait_dscnt 0x2
	s_delay_alu instid0(VALU_DEP_1) | instskip(SKIP_1) | instid1(VALU_DEP_1)
	v_add3_u32 v60, v60, v5, v2
	s_wait_dscnt 0x1
	v_add3_u32 v60, v60, v3, v0
	s_wait_dscnt 0x0
	s_delay_alu instid0(VALU_DEP_1) | instskip(SKIP_1) | instid1(VALU_DEP_2)
	v_add3_u32 v59, v60, v1, v59
	v_and_b32_e32 v60, 15, v14
	v_mov_b32_dpp v61, v59 row_shr:1 row_mask:0xf bank_mask:0xf
	s_delay_alu instid0(VALU_DEP_2) | instskip(NEXT) | instid1(VALU_DEP_2)
	v_cmp_eq_u32_e32 vcc_lo, 0, v60
	v_cndmask_b32_e64 v61, v61, 0, vcc_lo
	s_delay_alu instid0(VALU_DEP_1) | instskip(SKIP_3) | instid1(VALU_DEP_4)
	v_add_nc_u32_e32 v59, v61, v59
	v_cmp_lt_u32_e64 s0, 1, v60
	v_cmp_lt_u32_e64 s1, 3, v60
	;; [unrolled: 1-line block ×3, first 2 shown]
	v_mov_b32_dpp v61, v59 row_shr:2 row_mask:0xf bank_mask:0xf
	s_delay_alu instid0(VALU_DEP_1) | instskip(NEXT) | instid1(VALU_DEP_1)
	v_cndmask_b32_e64 v61, 0, v61, s0
	v_add_nc_u32_e32 v59, v59, v61
	s_delay_alu instid0(VALU_DEP_1) | instskip(NEXT) | instid1(VALU_DEP_1)
	v_mov_b32_dpp v61, v59 row_shr:4 row_mask:0xf bank_mask:0xf
	v_cndmask_b32_e64 v61, 0, v61, s1
	s_delay_alu instid0(VALU_DEP_1) | instskip(NEXT) | instid1(VALU_DEP_1)
	v_add_nc_u32_e32 v59, v59, v61
	v_mov_b32_dpp v61, v59 row_shr:8 row_mask:0xf bank_mask:0xf
	s_delay_alu instid0(VALU_DEP_1) | instskip(SKIP_1) | instid1(VALU_DEP_2)
	v_cndmask_b32_e64 v60, 0, v61, s2
	v_bfe_i32 v61, v14, 4, 1
	v_add_nc_u32_e32 v60, v59, v60
	ds_swizzle_b32 v59, v60 offset:swizzle(BROADCAST,32,15)
	s_wait_dscnt 0x0
	v_dual_lshrrev_b32 v59, 5, v12 :: v_dual_bitop2_b32 v61, v61, v59 bitop3:0x40
	s_delay_alu instid0(VALU_DEP_1) | instskip(NEXT) | instid1(VALU_DEP_1)
	v_dual_add_nc_u32 v15, v60, v61 :: v_dual_bitop2_b32 v62, 31, v15 bitop3:0x54
	v_cmpx_eq_u32_e64 v12, v62
; %bb.122:
	s_delay_alu instid0(VALU_DEP_3)
	v_lshlrev_b32_e32 v60, 2, v59
	ds_store_b32 v60, v15
; %bb.123:
	s_or_b32 exec_lo, exec_lo, s4
	s_delay_alu instid0(SALU_CYCLE_1)
	s_mov_b32 s4, exec_lo
	s_wait_dscnt 0x0
	s_barrier_signal -1
	s_barrier_wait -1
	v_cmpx_gt_u32_e32 16, v12
	s_cbranch_execz .LBB2524_125
; %bb.124:
	v_lshlrev_b32_e32 v60, 2, v12
	ds_load_b32 v61, v60
	s_wait_dscnt 0x0
	v_mov_b32_dpp v62, v61 row_shr:1 row_mask:0xf bank_mask:0xf
	s_delay_alu instid0(VALU_DEP_1) | instskip(NEXT) | instid1(VALU_DEP_1)
	v_cndmask_b32_e64 v62, v62, 0, vcc_lo
	v_add_nc_u32_e32 v61, v62, v61
	s_delay_alu instid0(VALU_DEP_1) | instskip(NEXT) | instid1(VALU_DEP_1)
	v_mov_b32_dpp v62, v61 row_shr:2 row_mask:0xf bank_mask:0xf
	v_cndmask_b32_e64 v62, 0, v62, s0
	s_delay_alu instid0(VALU_DEP_1) | instskip(NEXT) | instid1(VALU_DEP_1)
	v_add_nc_u32_e32 v61, v61, v62
	v_mov_b32_dpp v62, v61 row_shr:4 row_mask:0xf bank_mask:0xf
	s_delay_alu instid0(VALU_DEP_1) | instskip(NEXT) | instid1(VALU_DEP_1)
	v_cndmask_b32_e64 v62, 0, v62, s1
	v_add_nc_u32_e32 v61, v61, v62
	s_delay_alu instid0(VALU_DEP_1) | instskip(NEXT) | instid1(VALU_DEP_1)
	v_mov_b32_dpp v62, v61 row_shr:8 row_mask:0xf bank_mask:0xf
	v_cndmask_b32_e64 v62, 0, v62, s2
	s_delay_alu instid0(VALU_DEP_1)
	v_add_nc_u32_e32 v61, v61, v62
	ds_store_b32 v60, v61
.LBB2524_125:
	s_or_b32 exec_lo, exec_lo, s4
	v_mov_b32_e32 v60, 0
	s_mov_b32 s0, exec_lo
	s_wait_dscnt 0x0
	s_barrier_signal -1
	s_barrier_wait -1
	v_cmpx_lt_u32_e32 31, v12
; %bb.126:
	v_lshl_add_u32 v59, v59, 2, -4
	ds_load_b32 v60, v59
; %bb.127:
	s_or_b32 exec_lo, exec_lo, s0
	v_sub_co_u32 v59, vcc_lo, v14, 1
	s_wait_dscnt 0x0
	v_add_nc_u32_e32 v15, v60, v15
	s_delay_alu instid0(VALU_DEP_2) | instskip(NEXT) | instid1(VALU_DEP_1)
	v_cmp_gt_i32_e64 s0, 0, v59
	v_cndmask_b32_e64 v14, v59, v14, s0
	v_cmp_gt_u32_e64 s0, 0x100, v12
	s_delay_alu instid0(VALU_DEP_2) | instskip(SKIP_4) | instid1(VALU_DEP_2)
	v_lshlrev_b32_e32 v14, 2, v14
	ds_bpermute_b32 v14, v14, v15
	s_wait_dscnt 0x0
	v_cndmask_b32_e32 v14, v14, v60, vcc_lo
	v_cmp_ne_u32_e32 vcc_lo, 0, v12
	v_cndmask_b32_e32 v14, 0, v14, vcc_lo
	v_cmp_lt_u32_e32 vcc_lo, 0xff, v12
	s_delay_alu instid0(VALU_DEP_2) | instskip(NEXT) | instid1(VALU_DEP_1)
	v_add_nc_u32_e32 v6, v14, v6
	v_add_nc_u32_e32 v7, v6, v7
	s_delay_alu instid0(VALU_DEP_1) | instskip(NEXT) | instid1(VALU_DEP_1)
	v_add_nc_u32_e32 v4, v7, v4
	v_add_nc_u32_e32 v5, v4, v5
	s_delay_alu instid0(VALU_DEP_1) | instskip(NEXT) | instid1(VALU_DEP_1)
	;; [unrolled: 3-line block ×3, first 2 shown]
	v_add_nc_u32_e32 v0, v3, v0
	v_add_nc_u32_e32 v1, v0, v1
	ds_store_2addr_b32 v24, v14, v6 offset0:16 offset1:17
	ds_store_2addr_b32 v24, v7, v4 offset0:18 offset1:19
	;; [unrolled: 1-line block ×4, first 2 shown]
	ds_store_b32 v24, v1 offset:96
	s_wait_dscnt 0x0
	s_barrier_signal -1
	s_barrier_wait -1
	ds_load_b32 v59, v25 offset:64
	ds_load_b32 v60, v28 offset:64
	;; [unrolled: 1-line block ×12, first 2 shown]
	v_mov_b64_e32 v[0:1], 0
                                        ; implicit-def: $vgpr2
	s_and_saveexec_b32 s2, s0
	s_cbranch_execz .LBB2524_131
; %bb.128:
	v_mul_u32_u24_e32 v0, 0x44, v12
	v_dual_mov_b32 v1, 0x1800 :: v_dual_add_nc_u32 v2, 1, v12
	s_mov_b32 s3, exec_lo
	ds_load_b32 v0, v0 offset:64
	v_cmpx_ne_u32_e32 0x100, v2
; %bb.129:
	v_mul_u32_u24_e32 v1, 0x44, v2
	ds_load_b32 v1, v1 offset:64
; %bb.130:
	s_or_b32 exec_lo, exec_lo, s3
	s_wait_dscnt 0x0
	v_dual_mov_b32 v1, 0 :: v_dual_sub_nc_u32 v2, v1, v0
.LBB2524_131:
	s_or_b32 exec_lo, exec_lo, s2
	s_wait_dscnt 0xa
	v_dual_lshlrev_b32 v23, 1, v23 :: v_dual_lshlrev_b32 v31, 1, v60
	v_dual_lshlrev_b32 v27, 1, v27 :: v_dual_lshlrev_b32 v26, 1, v26
	v_lshlrev_b32_e32 v29, 1, v29
	s_delay_alu instid0(VALU_DEP_3)
	v_lshl_add_u32 v23, v59, 1, v23
	s_wait_dscnt 0x0
	s_barrier_signal -1
	v_add3_u32 v26, v31, v27, v26
	v_dual_lshlrev_b32 v27, 1, v28 :: v_dual_lshlrev_b32 v28, 1, v30
	s_barrier_wait -1
	ds_store_b16 v23, v21 offset:2048
	ds_store_b16 v26, v22 offset:2048
	v_dual_lshlrev_b32 v22, 1, v25 :: v_dual_lshlrev_b32 v24, 1, v24
	v_dual_lshlrev_b32 v23, 1, v33 :: v_dual_lshlrev_b32 v26, 1, v36
	v_lshlrev_b32_e32 v25, 1, v32
	v_add3_u32 v21, v27, v28, v29
	v_dual_lshlrev_b32 v27, 1, v35 :: v_dual_lshlrev_b32 v29, 1, v38
	v_dual_lshlrev_b32 v15, 1, v15 :: v_dual_lshlrev_b32 v14, 1, v14
	;; [unrolled: 1-line block ×4, first 2 shown]
	ds_store_b16 v21, v20 offset:2048
	v_add3_u32 v20, v22, v23, v25
	v_dual_lshlrev_b32 v22, 1, v45 :: v_dual_lshlrev_b32 v23, 1, v43
	v_add3_u32 v21, v24, v26, v27
	v_add3_u32 v15, v15, v28, v29
	;; [unrolled: 1-line block ×3, first 2 shown]
	ds_store_b16 v20, v16 offset:2048
	ds_store_b16 v21, v17 offset:2048
	;; [unrolled: 1-line block ×4, first 2 shown]
	v_add3_u32 v7, v7, v22, v23
	v_dual_lshlrev_b32 v6, 1, v6 :: v_dual_lshlrev_b32 v14, 1, v47
	v_dual_lshlrev_b32 v15, 1, v46 :: v_dual_lshlrev_b32 v5, 1, v5
	;; [unrolled: 1-line block ×6, first 2 shown]
	ds_store_b16 v7, v13 offset:2048
	v_add3_u32 v6, v6, v14, v15
	v_add3_u32 v7, v5, v16, v17
	;; [unrolled: 1-line block ×3, first 2 shown]
	v_dual_mov_b32 v5, 0 :: v_dual_lshlrev_b32 v3, 3, v12
	v_add3_u32 v4, v4, v18, v19
	ds_store_b16 v6, v8 offset:2048
	ds_store_b16 v7, v9 offset:2048
	;; [unrolled: 1-line block ×4, first 2 shown]
	s_and_saveexec_b32 s1, s0
	s_cbranch_execz .LBB2524_141
; %bb.132:
	v_lshl_add_u32 v4, s9, 8, v12
	v_dual_mov_b32 v8, 0 :: v_dual_bitop2_b32 v9, 2.0, v2 bitop3:0x54
	s_mov_b32 s2, 0
	s_mov_b32 s3, s9
	s_delay_alu instid0(VALU_DEP_2)
	v_lshl_add_u64 v[6:7], v[4:5], 2, s[10:11]
	global_store_b32 v4, v9, s[10:11] scale_offset scope:SCOPE_DEV
                                        ; implicit-def: $sgpr0
	s_branch .LBB2524_135
.LBB2524_133:                           ;   in Loop: Header=BB2524_135 Depth=1
	s_or_b32 exec_lo, exec_lo, s5
.LBB2524_134:                           ;   in Loop: Header=BB2524_135 Depth=1
	s_delay_alu instid0(SALU_CYCLE_1) | instskip(SKIP_2) | instid1(VALU_DEP_2)
	s_or_b32 exec_lo, exec_lo, s4
	v_and_b32_e32 v4, 0x3fffffff, v9
	v_cmp_gt_i32_e64 s0, -2.0, v9
	v_add_nc_u32_e32 v8, v4, v8
	s_and_b32 s4, exec_lo, s0
	s_delay_alu instid0(SALU_CYCLE_1) | instskip(NEXT) | instid1(SALU_CYCLE_1)
	s_or_b32 s2, s4, s2
	s_and_not1_b32 exec_lo, exec_lo, s2
	s_cbranch_execz .LBB2524_140
.LBB2524_135:                           ; =>This Loop Header: Depth=1
                                        ;     Child Loop BB2524_138 Depth 2
	s_or_b32 s0, s0, exec_lo
	s_cmp_eq_u32 s3, 0
	s_cbranch_scc1 .LBB2524_139
; %bb.136:                              ;   in Loop: Header=BB2524_135 Depth=1
	s_add_co_i32 s3, s3, -1
	s_mov_b32 s4, exec_lo
	s_wait_xcnt 0x0
	v_lshl_or_b32 v4, s3, 8, v12
	global_load_b32 v9, v4, s[10:11] scale_offset scope:SCOPE_DEV
	s_wait_loadcnt 0x0
	v_cmpx_gt_u32_e32 2.0, v9
	s_cbranch_execz .LBB2524_134
; %bb.137:                              ;   in Loop: Header=BB2524_135 Depth=1
	v_lshl_add_u64 v[10:11], v[4:5], 2, s[10:11]
	s_mov_b32 s5, 0
.LBB2524_138:                           ;   Parent Loop BB2524_135 Depth=1
                                        ; =>  This Inner Loop Header: Depth=2
	global_load_b32 v9, v[10:11], off scope:SCOPE_DEV
	s_wait_loadcnt 0x0
	v_cmp_lt_u32_e64 s0, 0x3fffffff, v9
	s_or_b32 s5, s0, s5
	s_wait_xcnt 0x0
	s_and_not1_b32 exec_lo, exec_lo, s5
	s_cbranch_execnz .LBB2524_138
	s_branch .LBB2524_133
.LBB2524_139:                           ;   in Loop: Header=BB2524_135 Depth=1
                                        ; implicit-def: $sgpr3
	s_and_b32 s4, exec_lo, s0
	s_delay_alu instid0(SALU_CYCLE_1)
	s_or_b32 s2, s4, s2
	s_wait_xcnt 0x0
	s_and_not1_b32 exec_lo, exec_lo, s2
	s_cbranch_execnz .LBB2524_135
.LBB2524_140:
	s_or_b32 exec_lo, exec_lo, s2
	v_dual_mov_b32 v9, 0 :: v_dual_add_nc_u32 v4, v8, v2
	s_delay_alu instid0(VALU_DEP_1) | instskip(SKIP_4) | instid1(VALU_DEP_1)
	v_or_b32_e32 v4, 0x80000000, v4
	global_store_b32 v[6:7], v4, off scope:SCOPE_DEV
	global_load_b64 v[4:5], v12, s[12:13] scale_offset
	v_sub_nc_u64_e32 v[6:7], v[8:9], v[0:1]
	s_wait_loadcnt 0x0
	v_add_nc_u64_e32 v[4:5], v[6:7], v[4:5]
	ds_store_b64 v3, v[4:5]
.LBB2524_141:
	s_wait_xcnt 0x0
	s_or_b32 exec_lo, exec_lo, s1
	v_mad_i32_i24 v8, v12, -6, v3
	s_wait_storecnt_dscnt 0x0
	s_barrier_signal -1
	s_barrier_wait -1
	ds_load_u16 v13, v8 offset:2048
	ds_load_u16 v30, v8 offset:3072
	;; [unrolled: 1-line block ×11, first 2 shown]
	v_dual_mov_b32 v5, 0 :: v_dual_lshlrev_b32 v4, 1, v12
	s_add_co_i32 s7, s7, -1
	s_delay_alu instid0(SALU_CYCLE_1) | instskip(SKIP_2) | instid1(SALU_CYCLE_1)
	s_cmp_eq_u32 s9, s7
	s_cselect_b32 s0, -1, 0
	s_xor_b32 s1, vcc_lo, -1
	s_and_b32 s0, s1, s0
	s_wait_dscnt 0xa
	v_and_b32_e32 v6, 0xffff, v13
	s_wait_dscnt 0x9
	v_and_b32_e32 v7, 0xffff, v30
	;; [unrolled: 2-line block ×5, first 2 shown]
	v_dual_lshrrev_b32 v6, s20, v6 :: v_dual_lshrrev_b32 v7, s20, v7
	s_wait_dscnt 0x5
	v_and_b32_e32 v14, 0xffff, v34
	s_wait_dscnt 0x4
	v_and_b32_e32 v15, 0xffff, v35
	;; [unrolled: 2-line block ×3, first 2 shown]
	v_dual_lshrrev_b32 v9, s20, v9 :: v_dual_lshrrev_b32 v10, s20, v10
	v_and_b32_e32 v7, s6, v7
	v_dual_lshrrev_b32 v11, s20, v11 :: v_dual_bitop2_b32 v6, s6, v6 bitop3:0x40
	v_dual_lshrrev_b32 v14, s20, v14 :: v_dual_lshrrev_b32 v15, s20, v15
	s_delay_alu instid0(VALU_DEP_3) | instskip(NEXT) | instid1(VALU_DEP_3)
	v_dual_lshrrev_b32 v16, s20, v16 :: v_dual_lshlrev_b32 v17, 3, v7
	v_lshlrev_b32_e32 v6, 3, v6
	v_and_b32_e32 v10, s6, v10
	ds_load_b64 v[6:7], v6
	ds_load_u16 v40, v8 offset:13312
	v_dual_lshlrev_b32 v19, 3, v10 :: v_dual_bitop2_b32 v9, s6, v9 bitop3:0x40
	v_and_b32_e32 v14, s6, v14
	v_and_b32_e32 v11, s6, v11
	v_and_b32_e32 v16, s6, v16
	s_delay_alu instid0(VALU_DEP_4) | instskip(NEXT) | instid1(VALU_DEP_3)
	v_dual_lshlrev_b32 v18, 3, v9 :: v_dual_bitop2_b32 v15, s6, v15 bitop3:0x40
	v_dual_lshlrev_b32 v21, 3, v14 :: v_dual_lshlrev_b32 v20, 3, v11
	s_wait_dscnt 0x4
	v_and_b32_e32 v24, 0xffff, v37
	s_wait_dscnt 0x3
	v_and_b32_e32 v25, 0xffff, v38
	;; [unrolled: 2-line block ×3, first 2 shown]
	v_dual_lshlrev_b32 v23, 3, v16 :: v_dual_lshlrev_b32 v22, 3, v15
	ds_load_b64 v[8:9], v17
	ds_load_b64 v[10:11], v18
	;; [unrolled: 1-line block ×4, first 2 shown]
	v_lshrrev_b32_e32 v24, s20, v24
	ds_load_b64 v[18:19], v21
	ds_load_b64 v[20:21], v22
	v_dual_lshrrev_b32 v22, s20, v25 :: v_dual_lshrrev_b32 v25, s20, v26
	v_and_b32_e32 v24, s6, v24
	s_wait_dscnt 0x6
	v_and_b32_e32 v26, 0xffff, v40
	v_lshl_add_u64 v[6:7], v[6:7], 1, s[18:19]
	v_and_b32_e32 v22, s6, v22
	v_dual_lshlrev_b32 v24, 3, v24 :: v_dual_bitop2_b32 v27, s6, v25 bitop3:0x40
	s_delay_alu instid0(VALU_DEP_4) | instskip(NEXT) | instid1(VALU_DEP_4)
	v_lshrrev_b32_e32 v26, s20, v26
	v_add_nc_u64_e32 v[6:7], v[6:7], v[4:5]
	s_delay_alu instid0(VALU_DEP_4)
	v_lshlrev_b32_e32 v28, 3, v22
	ds_load_b64 v[22:23], v23
	ds_load_b64 v[24:25], v24
	v_and_b32_e32 v26, s6, v26
	s_wait_dscnt 0x7
	v_lshl_add_u64 v[8:9], v[8:9], 1, s[18:19]
	s_wait_dscnt 0x5
	v_lshl_add_u64 v[14:15], v[14:15], 1, s[18:19]
	global_store_b16 v[6:7], v13, off
	s_wait_xcnt 0x0
	v_lshl_add_u64 v[6:7], v[10:11], 1, s[18:19]
	v_lshlrev_b32_e32 v13, 3, v27
	ds_load_b64 v[10:11], v28
	v_lshlrev_b32_e32 v28, 3, v26
	v_add_nc_u64_e32 v[8:9], v[8:9], v[4:5]
	v_add_nc_u64_e32 v[6:7], v[6:7], v[4:5]
	ds_load_b64 v[26:27], v13
	s_wait_dscnt 0x6
	v_lshl_add_u64 v[16:17], v[16:17], 1, s[18:19]
	ds_load_b64 v[28:29], v28
	v_add_nc_u64_e32 v[14:15], v[14:15], v[4:5]
	global_store_b16 v[8:9], v30, off offset:1024
	s_wait_dscnt 0x6
	s_wait_xcnt 0x0
	v_lshl_add_u64 v[8:9], v[18:19], 1, s[18:19]
	s_wait_dscnt 0x5
	v_lshl_add_u64 v[18:19], v[20:21], 1, s[18:19]
	v_add_nc_u64_e32 v[16:17], v[16:17], v[4:5]
	global_store_b16 v[6:7], v31, off offset:2048
	s_wait_dscnt 0x3
	v_lshl_add_u64 v[20:21], v[24:25], 1, s[18:19]
	s_wait_xcnt 0x0
	v_add_nc_u64_e32 v[6:7], v[8:9], v[4:5]
	v_lshl_add_u64 v[8:9], v[22:23], 1, s[18:19]
	v_add_nc_u64_e32 v[18:19], v[18:19], v[4:5]
	s_clause 0x1
	global_store_b16 v[14:15], v32, off offset:3072
	global_store_b16 v[16:17], v33, off offset:4096
	s_wait_xcnt 0x1
	v_add_nc_u64_e32 v[14:15], v[20:21], v[4:5]
	s_wait_dscnt 0x2
	v_lshl_add_u64 v[10:11], v[10:11], 1, s[18:19]
	v_add_nc_u64_e32 v[8:9], v[8:9], v[4:5]
	s_clause 0x1
	global_store_b16 v[6:7], v34, off offset:5120
	global_store_b16 v[18:19], v35, off offset:6144
	s_wait_dscnt 0x1
	s_wait_xcnt 0x1
	v_lshl_add_u64 v[6:7], v[26:27], 1, s[18:19]
	v_add_nc_u64_e32 v[10:11], v[10:11], v[4:5]
	s_wait_dscnt 0x0
	v_lshl_add_u64 v[16:17], v[28:29], 1, s[18:19]
	s_clause 0x1
	global_store_b16 v[8:9], v36, off offset:7168
	global_store_b16 v[14:15], v37, off offset:8192
	v_add_nc_u64_e32 v[6:7], v[6:7], v[4:5]
	s_wait_xcnt 0x1
	v_add_nc_u64_e32 v[8:9], v[16:17], v[4:5]
	s_clause 0x2
	global_store_b16 v[10:11], v38, off offset:9216
	global_store_b16 v[6:7], v39, off offset:10240
	;; [unrolled: 1-line block ×3, first 2 shown]
	s_wait_xcnt 0x0
	s_and_saveexec_b32 s1, s0
	s_cbranch_execz .LBB2524_143
; %bb.142:
	ds_load_b64 v[6:7], v3
	v_mov_b32_e32 v3, v5
	s_delay_alu instid0(VALU_DEP_1) | instskip(SKIP_1) | instid1(VALU_DEP_1)
	v_add_nc_u64_e32 v[0:1], v[0:1], v[2:3]
	s_wait_dscnt 0x0
	v_add_nc_u64_e32 v[0:1], v[0:1], v[6:7]
	global_store_b64 v12, v[0:1], s[14:15] scale_offset
.LBB2524_143:
	s_sendmsg sendmsg(MSG_DEALLOC_VGPRS)
	s_endpgm
	.section	.rodata,"a",@progbits
	.p2align	6, 0x0
	.amdhsa_kernel _ZN7rocprim17ROCPRIM_400000_NS6detail17trampoline_kernelINS0_14default_configENS1_35radix_sort_onesweep_config_selectorItNS0_10empty_typeEEEZZNS1_29radix_sort_onesweep_iterationIS3_Lb0EPKtPtPS5_SB_mNS0_19identity_decomposerENS1_16block_id_wrapperIjLb0EEEEE10hipError_tT1_PNSt15iterator_traitsISG_E10value_typeET2_T3_PNSH_ISM_E10value_typeET4_T5_PSR_SS_PNS1_23onesweep_lookback_stateEbbT6_jjT7_P12ihipStream_tbENKUlT_T0_SG_SL_E_clISA_SA_SB_SB_EEDaSZ_S10_SG_SL_EUlSZ_E_NS1_11comp_targetILNS1_3genE0ELNS1_11target_archE4294967295ELNS1_3gpuE0ELNS1_3repE0EEENS1_47radix_sort_onesweep_sort_config_static_selectorELNS0_4arch9wavefront6targetE0EEEvSG_
		.amdhsa_group_segment_fixed_size 18504
		.amdhsa_private_segment_fixed_size 0
		.amdhsa_kernarg_size 344
		.amdhsa_user_sgpr_count 2
		.amdhsa_user_sgpr_dispatch_ptr 0
		.amdhsa_user_sgpr_queue_ptr 0
		.amdhsa_user_sgpr_kernarg_segment_ptr 1
		.amdhsa_user_sgpr_dispatch_id 0
		.amdhsa_user_sgpr_kernarg_preload_length 0
		.amdhsa_user_sgpr_kernarg_preload_offset 0
		.amdhsa_user_sgpr_private_segment_size 0
		.amdhsa_wavefront_size32 1
		.amdhsa_uses_dynamic_stack 0
		.amdhsa_enable_private_segment 0
		.amdhsa_system_sgpr_workgroup_id_x 1
		.amdhsa_system_sgpr_workgroup_id_y 0
		.amdhsa_system_sgpr_workgroup_id_z 0
		.amdhsa_system_sgpr_workgroup_info 0
		.amdhsa_system_vgpr_workitem_id 2
		.amdhsa_next_free_vgpr 65
		.amdhsa_next_free_sgpr 29
		.amdhsa_named_barrier_count 0
		.amdhsa_reserve_vcc 1
		.amdhsa_float_round_mode_32 0
		.amdhsa_float_round_mode_16_64 0
		.amdhsa_float_denorm_mode_32 3
		.amdhsa_float_denorm_mode_16_64 3
		.amdhsa_fp16_overflow 0
		.amdhsa_memory_ordered 1
		.amdhsa_forward_progress 1
		.amdhsa_inst_pref_size 130
		.amdhsa_round_robin_scheduling 0
		.amdhsa_exception_fp_ieee_invalid_op 0
		.amdhsa_exception_fp_denorm_src 0
		.amdhsa_exception_fp_ieee_div_zero 0
		.amdhsa_exception_fp_ieee_overflow 0
		.amdhsa_exception_fp_ieee_underflow 0
		.amdhsa_exception_fp_ieee_inexact 0
		.amdhsa_exception_int_div_zero 0
	.end_amdhsa_kernel
	.section	.text._ZN7rocprim17ROCPRIM_400000_NS6detail17trampoline_kernelINS0_14default_configENS1_35radix_sort_onesweep_config_selectorItNS0_10empty_typeEEEZZNS1_29radix_sort_onesweep_iterationIS3_Lb0EPKtPtPS5_SB_mNS0_19identity_decomposerENS1_16block_id_wrapperIjLb0EEEEE10hipError_tT1_PNSt15iterator_traitsISG_E10value_typeET2_T3_PNSH_ISM_E10value_typeET4_T5_PSR_SS_PNS1_23onesweep_lookback_stateEbbT6_jjT7_P12ihipStream_tbENKUlT_T0_SG_SL_E_clISA_SA_SB_SB_EEDaSZ_S10_SG_SL_EUlSZ_E_NS1_11comp_targetILNS1_3genE0ELNS1_11target_archE4294967295ELNS1_3gpuE0ELNS1_3repE0EEENS1_47radix_sort_onesweep_sort_config_static_selectorELNS0_4arch9wavefront6targetE0EEEvSG_,"axG",@progbits,_ZN7rocprim17ROCPRIM_400000_NS6detail17trampoline_kernelINS0_14default_configENS1_35radix_sort_onesweep_config_selectorItNS0_10empty_typeEEEZZNS1_29radix_sort_onesweep_iterationIS3_Lb0EPKtPtPS5_SB_mNS0_19identity_decomposerENS1_16block_id_wrapperIjLb0EEEEE10hipError_tT1_PNSt15iterator_traitsISG_E10value_typeET2_T3_PNSH_ISM_E10value_typeET4_T5_PSR_SS_PNS1_23onesweep_lookback_stateEbbT6_jjT7_P12ihipStream_tbENKUlT_T0_SG_SL_E_clISA_SA_SB_SB_EEDaSZ_S10_SG_SL_EUlSZ_E_NS1_11comp_targetILNS1_3genE0ELNS1_11target_archE4294967295ELNS1_3gpuE0ELNS1_3repE0EEENS1_47radix_sort_onesweep_sort_config_static_selectorELNS0_4arch9wavefront6targetE0EEEvSG_,comdat
.Lfunc_end2524:
	.size	_ZN7rocprim17ROCPRIM_400000_NS6detail17trampoline_kernelINS0_14default_configENS1_35radix_sort_onesweep_config_selectorItNS0_10empty_typeEEEZZNS1_29radix_sort_onesweep_iterationIS3_Lb0EPKtPtPS5_SB_mNS0_19identity_decomposerENS1_16block_id_wrapperIjLb0EEEEE10hipError_tT1_PNSt15iterator_traitsISG_E10value_typeET2_T3_PNSH_ISM_E10value_typeET4_T5_PSR_SS_PNS1_23onesweep_lookback_stateEbbT6_jjT7_P12ihipStream_tbENKUlT_T0_SG_SL_E_clISA_SA_SB_SB_EEDaSZ_S10_SG_SL_EUlSZ_E_NS1_11comp_targetILNS1_3genE0ELNS1_11target_archE4294967295ELNS1_3gpuE0ELNS1_3repE0EEENS1_47radix_sort_onesweep_sort_config_static_selectorELNS0_4arch9wavefront6targetE0EEEvSG_, .Lfunc_end2524-_ZN7rocprim17ROCPRIM_400000_NS6detail17trampoline_kernelINS0_14default_configENS1_35radix_sort_onesweep_config_selectorItNS0_10empty_typeEEEZZNS1_29radix_sort_onesweep_iterationIS3_Lb0EPKtPtPS5_SB_mNS0_19identity_decomposerENS1_16block_id_wrapperIjLb0EEEEE10hipError_tT1_PNSt15iterator_traitsISG_E10value_typeET2_T3_PNSH_ISM_E10value_typeET4_T5_PSR_SS_PNS1_23onesweep_lookback_stateEbbT6_jjT7_P12ihipStream_tbENKUlT_T0_SG_SL_E_clISA_SA_SB_SB_EEDaSZ_S10_SG_SL_EUlSZ_E_NS1_11comp_targetILNS1_3genE0ELNS1_11target_archE4294967295ELNS1_3gpuE0ELNS1_3repE0EEENS1_47radix_sort_onesweep_sort_config_static_selectorELNS0_4arch9wavefront6targetE0EEEvSG_
                                        ; -- End function
	.set _ZN7rocprim17ROCPRIM_400000_NS6detail17trampoline_kernelINS0_14default_configENS1_35radix_sort_onesweep_config_selectorItNS0_10empty_typeEEEZZNS1_29radix_sort_onesweep_iterationIS3_Lb0EPKtPtPS5_SB_mNS0_19identity_decomposerENS1_16block_id_wrapperIjLb0EEEEE10hipError_tT1_PNSt15iterator_traitsISG_E10value_typeET2_T3_PNSH_ISM_E10value_typeET4_T5_PSR_SS_PNS1_23onesweep_lookback_stateEbbT6_jjT7_P12ihipStream_tbENKUlT_T0_SG_SL_E_clISA_SA_SB_SB_EEDaSZ_S10_SG_SL_EUlSZ_E_NS1_11comp_targetILNS1_3genE0ELNS1_11target_archE4294967295ELNS1_3gpuE0ELNS1_3repE0EEENS1_47radix_sort_onesweep_sort_config_static_selectorELNS0_4arch9wavefront6targetE0EEEvSG_.num_vgpr, 65
	.set _ZN7rocprim17ROCPRIM_400000_NS6detail17trampoline_kernelINS0_14default_configENS1_35radix_sort_onesweep_config_selectorItNS0_10empty_typeEEEZZNS1_29radix_sort_onesweep_iterationIS3_Lb0EPKtPtPS5_SB_mNS0_19identity_decomposerENS1_16block_id_wrapperIjLb0EEEEE10hipError_tT1_PNSt15iterator_traitsISG_E10value_typeET2_T3_PNSH_ISM_E10value_typeET4_T5_PSR_SS_PNS1_23onesweep_lookback_stateEbbT6_jjT7_P12ihipStream_tbENKUlT_T0_SG_SL_E_clISA_SA_SB_SB_EEDaSZ_S10_SG_SL_EUlSZ_E_NS1_11comp_targetILNS1_3genE0ELNS1_11target_archE4294967295ELNS1_3gpuE0ELNS1_3repE0EEENS1_47radix_sort_onesweep_sort_config_static_selectorELNS0_4arch9wavefront6targetE0EEEvSG_.num_agpr, 0
	.set _ZN7rocprim17ROCPRIM_400000_NS6detail17trampoline_kernelINS0_14default_configENS1_35radix_sort_onesweep_config_selectorItNS0_10empty_typeEEEZZNS1_29radix_sort_onesweep_iterationIS3_Lb0EPKtPtPS5_SB_mNS0_19identity_decomposerENS1_16block_id_wrapperIjLb0EEEEE10hipError_tT1_PNSt15iterator_traitsISG_E10value_typeET2_T3_PNSH_ISM_E10value_typeET4_T5_PSR_SS_PNS1_23onesweep_lookback_stateEbbT6_jjT7_P12ihipStream_tbENKUlT_T0_SG_SL_E_clISA_SA_SB_SB_EEDaSZ_S10_SG_SL_EUlSZ_E_NS1_11comp_targetILNS1_3genE0ELNS1_11target_archE4294967295ELNS1_3gpuE0ELNS1_3repE0EEENS1_47radix_sort_onesweep_sort_config_static_selectorELNS0_4arch9wavefront6targetE0EEEvSG_.numbered_sgpr, 29
	.set _ZN7rocprim17ROCPRIM_400000_NS6detail17trampoline_kernelINS0_14default_configENS1_35radix_sort_onesweep_config_selectorItNS0_10empty_typeEEEZZNS1_29radix_sort_onesweep_iterationIS3_Lb0EPKtPtPS5_SB_mNS0_19identity_decomposerENS1_16block_id_wrapperIjLb0EEEEE10hipError_tT1_PNSt15iterator_traitsISG_E10value_typeET2_T3_PNSH_ISM_E10value_typeET4_T5_PSR_SS_PNS1_23onesweep_lookback_stateEbbT6_jjT7_P12ihipStream_tbENKUlT_T0_SG_SL_E_clISA_SA_SB_SB_EEDaSZ_S10_SG_SL_EUlSZ_E_NS1_11comp_targetILNS1_3genE0ELNS1_11target_archE4294967295ELNS1_3gpuE0ELNS1_3repE0EEENS1_47radix_sort_onesweep_sort_config_static_selectorELNS0_4arch9wavefront6targetE0EEEvSG_.num_named_barrier, 0
	.set _ZN7rocprim17ROCPRIM_400000_NS6detail17trampoline_kernelINS0_14default_configENS1_35radix_sort_onesweep_config_selectorItNS0_10empty_typeEEEZZNS1_29radix_sort_onesweep_iterationIS3_Lb0EPKtPtPS5_SB_mNS0_19identity_decomposerENS1_16block_id_wrapperIjLb0EEEEE10hipError_tT1_PNSt15iterator_traitsISG_E10value_typeET2_T3_PNSH_ISM_E10value_typeET4_T5_PSR_SS_PNS1_23onesweep_lookback_stateEbbT6_jjT7_P12ihipStream_tbENKUlT_T0_SG_SL_E_clISA_SA_SB_SB_EEDaSZ_S10_SG_SL_EUlSZ_E_NS1_11comp_targetILNS1_3genE0ELNS1_11target_archE4294967295ELNS1_3gpuE0ELNS1_3repE0EEENS1_47radix_sort_onesweep_sort_config_static_selectorELNS0_4arch9wavefront6targetE0EEEvSG_.private_seg_size, 0
	.set _ZN7rocprim17ROCPRIM_400000_NS6detail17trampoline_kernelINS0_14default_configENS1_35radix_sort_onesweep_config_selectorItNS0_10empty_typeEEEZZNS1_29radix_sort_onesweep_iterationIS3_Lb0EPKtPtPS5_SB_mNS0_19identity_decomposerENS1_16block_id_wrapperIjLb0EEEEE10hipError_tT1_PNSt15iterator_traitsISG_E10value_typeET2_T3_PNSH_ISM_E10value_typeET4_T5_PSR_SS_PNS1_23onesweep_lookback_stateEbbT6_jjT7_P12ihipStream_tbENKUlT_T0_SG_SL_E_clISA_SA_SB_SB_EEDaSZ_S10_SG_SL_EUlSZ_E_NS1_11comp_targetILNS1_3genE0ELNS1_11target_archE4294967295ELNS1_3gpuE0ELNS1_3repE0EEENS1_47radix_sort_onesweep_sort_config_static_selectorELNS0_4arch9wavefront6targetE0EEEvSG_.uses_vcc, 1
	.set _ZN7rocprim17ROCPRIM_400000_NS6detail17trampoline_kernelINS0_14default_configENS1_35radix_sort_onesweep_config_selectorItNS0_10empty_typeEEEZZNS1_29radix_sort_onesweep_iterationIS3_Lb0EPKtPtPS5_SB_mNS0_19identity_decomposerENS1_16block_id_wrapperIjLb0EEEEE10hipError_tT1_PNSt15iterator_traitsISG_E10value_typeET2_T3_PNSH_ISM_E10value_typeET4_T5_PSR_SS_PNS1_23onesweep_lookback_stateEbbT6_jjT7_P12ihipStream_tbENKUlT_T0_SG_SL_E_clISA_SA_SB_SB_EEDaSZ_S10_SG_SL_EUlSZ_E_NS1_11comp_targetILNS1_3genE0ELNS1_11target_archE4294967295ELNS1_3gpuE0ELNS1_3repE0EEENS1_47radix_sort_onesweep_sort_config_static_selectorELNS0_4arch9wavefront6targetE0EEEvSG_.uses_flat_scratch, 0
	.set _ZN7rocprim17ROCPRIM_400000_NS6detail17trampoline_kernelINS0_14default_configENS1_35radix_sort_onesweep_config_selectorItNS0_10empty_typeEEEZZNS1_29radix_sort_onesweep_iterationIS3_Lb0EPKtPtPS5_SB_mNS0_19identity_decomposerENS1_16block_id_wrapperIjLb0EEEEE10hipError_tT1_PNSt15iterator_traitsISG_E10value_typeET2_T3_PNSH_ISM_E10value_typeET4_T5_PSR_SS_PNS1_23onesweep_lookback_stateEbbT6_jjT7_P12ihipStream_tbENKUlT_T0_SG_SL_E_clISA_SA_SB_SB_EEDaSZ_S10_SG_SL_EUlSZ_E_NS1_11comp_targetILNS1_3genE0ELNS1_11target_archE4294967295ELNS1_3gpuE0ELNS1_3repE0EEENS1_47radix_sort_onesweep_sort_config_static_selectorELNS0_4arch9wavefront6targetE0EEEvSG_.has_dyn_sized_stack, 0
	.set _ZN7rocprim17ROCPRIM_400000_NS6detail17trampoline_kernelINS0_14default_configENS1_35radix_sort_onesweep_config_selectorItNS0_10empty_typeEEEZZNS1_29radix_sort_onesweep_iterationIS3_Lb0EPKtPtPS5_SB_mNS0_19identity_decomposerENS1_16block_id_wrapperIjLb0EEEEE10hipError_tT1_PNSt15iterator_traitsISG_E10value_typeET2_T3_PNSH_ISM_E10value_typeET4_T5_PSR_SS_PNS1_23onesweep_lookback_stateEbbT6_jjT7_P12ihipStream_tbENKUlT_T0_SG_SL_E_clISA_SA_SB_SB_EEDaSZ_S10_SG_SL_EUlSZ_E_NS1_11comp_targetILNS1_3genE0ELNS1_11target_archE4294967295ELNS1_3gpuE0ELNS1_3repE0EEENS1_47radix_sort_onesweep_sort_config_static_selectorELNS0_4arch9wavefront6targetE0EEEvSG_.has_recursion, 0
	.set _ZN7rocprim17ROCPRIM_400000_NS6detail17trampoline_kernelINS0_14default_configENS1_35radix_sort_onesweep_config_selectorItNS0_10empty_typeEEEZZNS1_29radix_sort_onesweep_iterationIS3_Lb0EPKtPtPS5_SB_mNS0_19identity_decomposerENS1_16block_id_wrapperIjLb0EEEEE10hipError_tT1_PNSt15iterator_traitsISG_E10value_typeET2_T3_PNSH_ISM_E10value_typeET4_T5_PSR_SS_PNS1_23onesweep_lookback_stateEbbT6_jjT7_P12ihipStream_tbENKUlT_T0_SG_SL_E_clISA_SA_SB_SB_EEDaSZ_S10_SG_SL_EUlSZ_E_NS1_11comp_targetILNS1_3genE0ELNS1_11target_archE4294967295ELNS1_3gpuE0ELNS1_3repE0EEENS1_47radix_sort_onesweep_sort_config_static_selectorELNS0_4arch9wavefront6targetE0EEEvSG_.has_indirect_call, 0
	.section	.AMDGPU.csdata,"",@progbits
; Kernel info:
; codeLenInByte = 16636
; TotalNumSgprs: 31
; NumVgprs: 65
; ScratchSize: 0
; MemoryBound: 0
; FloatMode: 240
; IeeeMode: 1
; LDSByteSize: 18504 bytes/workgroup (compile time only)
; SGPRBlocks: 0
; VGPRBlocks: 4
; NumSGPRsForWavesPerEU: 31
; NumVGPRsForWavesPerEU: 65
; NamedBarCnt: 0
; Occupancy: 12
; WaveLimiterHint : 0
; COMPUTE_PGM_RSRC2:SCRATCH_EN: 0
; COMPUTE_PGM_RSRC2:USER_SGPR: 2
; COMPUTE_PGM_RSRC2:TRAP_HANDLER: 0
; COMPUTE_PGM_RSRC2:TGID_X_EN: 1
; COMPUTE_PGM_RSRC2:TGID_Y_EN: 0
; COMPUTE_PGM_RSRC2:TGID_Z_EN: 0
; COMPUTE_PGM_RSRC2:TIDIG_COMP_CNT: 2
	.section	.text._ZN7rocprim17ROCPRIM_400000_NS6detail17trampoline_kernelINS0_14default_configENS1_35radix_sort_onesweep_config_selectorItNS0_10empty_typeEEEZZNS1_29radix_sort_onesweep_iterationIS3_Lb0EPKtPtPS5_SB_mNS0_19identity_decomposerENS1_16block_id_wrapperIjLb0EEEEE10hipError_tT1_PNSt15iterator_traitsISG_E10value_typeET2_T3_PNSH_ISM_E10value_typeET4_T5_PSR_SS_PNS1_23onesweep_lookback_stateEbbT6_jjT7_P12ihipStream_tbENKUlT_T0_SG_SL_E_clISA_SA_SB_SB_EEDaSZ_S10_SG_SL_EUlSZ_E_NS1_11comp_targetILNS1_3genE6ELNS1_11target_archE950ELNS1_3gpuE13ELNS1_3repE0EEENS1_47radix_sort_onesweep_sort_config_static_selectorELNS0_4arch9wavefront6targetE0EEEvSG_,"axG",@progbits,_ZN7rocprim17ROCPRIM_400000_NS6detail17trampoline_kernelINS0_14default_configENS1_35radix_sort_onesweep_config_selectorItNS0_10empty_typeEEEZZNS1_29radix_sort_onesweep_iterationIS3_Lb0EPKtPtPS5_SB_mNS0_19identity_decomposerENS1_16block_id_wrapperIjLb0EEEEE10hipError_tT1_PNSt15iterator_traitsISG_E10value_typeET2_T3_PNSH_ISM_E10value_typeET4_T5_PSR_SS_PNS1_23onesweep_lookback_stateEbbT6_jjT7_P12ihipStream_tbENKUlT_T0_SG_SL_E_clISA_SA_SB_SB_EEDaSZ_S10_SG_SL_EUlSZ_E_NS1_11comp_targetILNS1_3genE6ELNS1_11target_archE950ELNS1_3gpuE13ELNS1_3repE0EEENS1_47radix_sort_onesweep_sort_config_static_selectorELNS0_4arch9wavefront6targetE0EEEvSG_,comdat
	.protected	_ZN7rocprim17ROCPRIM_400000_NS6detail17trampoline_kernelINS0_14default_configENS1_35radix_sort_onesweep_config_selectorItNS0_10empty_typeEEEZZNS1_29radix_sort_onesweep_iterationIS3_Lb0EPKtPtPS5_SB_mNS0_19identity_decomposerENS1_16block_id_wrapperIjLb0EEEEE10hipError_tT1_PNSt15iterator_traitsISG_E10value_typeET2_T3_PNSH_ISM_E10value_typeET4_T5_PSR_SS_PNS1_23onesweep_lookback_stateEbbT6_jjT7_P12ihipStream_tbENKUlT_T0_SG_SL_E_clISA_SA_SB_SB_EEDaSZ_S10_SG_SL_EUlSZ_E_NS1_11comp_targetILNS1_3genE6ELNS1_11target_archE950ELNS1_3gpuE13ELNS1_3repE0EEENS1_47radix_sort_onesweep_sort_config_static_selectorELNS0_4arch9wavefront6targetE0EEEvSG_ ; -- Begin function _ZN7rocprim17ROCPRIM_400000_NS6detail17trampoline_kernelINS0_14default_configENS1_35radix_sort_onesweep_config_selectorItNS0_10empty_typeEEEZZNS1_29radix_sort_onesweep_iterationIS3_Lb0EPKtPtPS5_SB_mNS0_19identity_decomposerENS1_16block_id_wrapperIjLb0EEEEE10hipError_tT1_PNSt15iterator_traitsISG_E10value_typeET2_T3_PNSH_ISM_E10value_typeET4_T5_PSR_SS_PNS1_23onesweep_lookback_stateEbbT6_jjT7_P12ihipStream_tbENKUlT_T0_SG_SL_E_clISA_SA_SB_SB_EEDaSZ_S10_SG_SL_EUlSZ_E_NS1_11comp_targetILNS1_3genE6ELNS1_11target_archE950ELNS1_3gpuE13ELNS1_3repE0EEENS1_47radix_sort_onesweep_sort_config_static_selectorELNS0_4arch9wavefront6targetE0EEEvSG_
	.globl	_ZN7rocprim17ROCPRIM_400000_NS6detail17trampoline_kernelINS0_14default_configENS1_35radix_sort_onesweep_config_selectorItNS0_10empty_typeEEEZZNS1_29radix_sort_onesweep_iterationIS3_Lb0EPKtPtPS5_SB_mNS0_19identity_decomposerENS1_16block_id_wrapperIjLb0EEEEE10hipError_tT1_PNSt15iterator_traitsISG_E10value_typeET2_T3_PNSH_ISM_E10value_typeET4_T5_PSR_SS_PNS1_23onesweep_lookback_stateEbbT6_jjT7_P12ihipStream_tbENKUlT_T0_SG_SL_E_clISA_SA_SB_SB_EEDaSZ_S10_SG_SL_EUlSZ_E_NS1_11comp_targetILNS1_3genE6ELNS1_11target_archE950ELNS1_3gpuE13ELNS1_3repE0EEENS1_47radix_sort_onesweep_sort_config_static_selectorELNS0_4arch9wavefront6targetE0EEEvSG_
	.p2align	8
	.type	_ZN7rocprim17ROCPRIM_400000_NS6detail17trampoline_kernelINS0_14default_configENS1_35radix_sort_onesweep_config_selectorItNS0_10empty_typeEEEZZNS1_29radix_sort_onesweep_iterationIS3_Lb0EPKtPtPS5_SB_mNS0_19identity_decomposerENS1_16block_id_wrapperIjLb0EEEEE10hipError_tT1_PNSt15iterator_traitsISG_E10value_typeET2_T3_PNSH_ISM_E10value_typeET4_T5_PSR_SS_PNS1_23onesweep_lookback_stateEbbT6_jjT7_P12ihipStream_tbENKUlT_T0_SG_SL_E_clISA_SA_SB_SB_EEDaSZ_S10_SG_SL_EUlSZ_E_NS1_11comp_targetILNS1_3genE6ELNS1_11target_archE950ELNS1_3gpuE13ELNS1_3repE0EEENS1_47radix_sort_onesweep_sort_config_static_selectorELNS0_4arch9wavefront6targetE0EEEvSG_,@function
_ZN7rocprim17ROCPRIM_400000_NS6detail17trampoline_kernelINS0_14default_configENS1_35radix_sort_onesweep_config_selectorItNS0_10empty_typeEEEZZNS1_29radix_sort_onesweep_iterationIS3_Lb0EPKtPtPS5_SB_mNS0_19identity_decomposerENS1_16block_id_wrapperIjLb0EEEEE10hipError_tT1_PNSt15iterator_traitsISG_E10value_typeET2_T3_PNSH_ISM_E10value_typeET4_T5_PSR_SS_PNS1_23onesweep_lookback_stateEbbT6_jjT7_P12ihipStream_tbENKUlT_T0_SG_SL_E_clISA_SA_SB_SB_EEDaSZ_S10_SG_SL_EUlSZ_E_NS1_11comp_targetILNS1_3genE6ELNS1_11target_archE950ELNS1_3gpuE13ELNS1_3repE0EEENS1_47radix_sort_onesweep_sort_config_static_selectorELNS0_4arch9wavefront6targetE0EEEvSG_: ; @_ZN7rocprim17ROCPRIM_400000_NS6detail17trampoline_kernelINS0_14default_configENS1_35radix_sort_onesweep_config_selectorItNS0_10empty_typeEEEZZNS1_29radix_sort_onesweep_iterationIS3_Lb0EPKtPtPS5_SB_mNS0_19identity_decomposerENS1_16block_id_wrapperIjLb0EEEEE10hipError_tT1_PNSt15iterator_traitsISG_E10value_typeET2_T3_PNSH_ISM_E10value_typeET4_T5_PSR_SS_PNS1_23onesweep_lookback_stateEbbT6_jjT7_P12ihipStream_tbENKUlT_T0_SG_SL_E_clISA_SA_SB_SB_EEDaSZ_S10_SG_SL_EUlSZ_E_NS1_11comp_targetILNS1_3genE6ELNS1_11target_archE950ELNS1_3gpuE13ELNS1_3repE0EEENS1_47radix_sort_onesweep_sort_config_static_selectorELNS0_4arch9wavefront6targetE0EEEvSG_
; %bb.0:
	.section	.rodata,"a",@progbits
	.p2align	6, 0x0
	.amdhsa_kernel _ZN7rocprim17ROCPRIM_400000_NS6detail17trampoline_kernelINS0_14default_configENS1_35radix_sort_onesweep_config_selectorItNS0_10empty_typeEEEZZNS1_29radix_sort_onesweep_iterationIS3_Lb0EPKtPtPS5_SB_mNS0_19identity_decomposerENS1_16block_id_wrapperIjLb0EEEEE10hipError_tT1_PNSt15iterator_traitsISG_E10value_typeET2_T3_PNSH_ISM_E10value_typeET4_T5_PSR_SS_PNS1_23onesweep_lookback_stateEbbT6_jjT7_P12ihipStream_tbENKUlT_T0_SG_SL_E_clISA_SA_SB_SB_EEDaSZ_S10_SG_SL_EUlSZ_E_NS1_11comp_targetILNS1_3genE6ELNS1_11target_archE950ELNS1_3gpuE13ELNS1_3repE0EEENS1_47radix_sort_onesweep_sort_config_static_selectorELNS0_4arch9wavefront6targetE0EEEvSG_
		.amdhsa_group_segment_fixed_size 0
		.amdhsa_private_segment_fixed_size 0
		.amdhsa_kernarg_size 88
		.amdhsa_user_sgpr_count 2
		.amdhsa_user_sgpr_dispatch_ptr 0
		.amdhsa_user_sgpr_queue_ptr 0
		.amdhsa_user_sgpr_kernarg_segment_ptr 1
		.amdhsa_user_sgpr_dispatch_id 0
		.amdhsa_user_sgpr_kernarg_preload_length 0
		.amdhsa_user_sgpr_kernarg_preload_offset 0
		.amdhsa_user_sgpr_private_segment_size 0
		.amdhsa_wavefront_size32 1
		.amdhsa_uses_dynamic_stack 0
		.amdhsa_enable_private_segment 0
		.amdhsa_system_sgpr_workgroup_id_x 1
		.amdhsa_system_sgpr_workgroup_id_y 0
		.amdhsa_system_sgpr_workgroup_id_z 0
		.amdhsa_system_sgpr_workgroup_info 0
		.amdhsa_system_vgpr_workitem_id 0
		.amdhsa_next_free_vgpr 1
		.amdhsa_next_free_sgpr 1
		.amdhsa_named_barrier_count 0
		.amdhsa_reserve_vcc 0
		.amdhsa_float_round_mode_32 0
		.amdhsa_float_round_mode_16_64 0
		.amdhsa_float_denorm_mode_32 3
		.amdhsa_float_denorm_mode_16_64 3
		.amdhsa_fp16_overflow 0
		.amdhsa_memory_ordered 1
		.amdhsa_forward_progress 1
		.amdhsa_inst_pref_size 0
		.amdhsa_round_robin_scheduling 0
		.amdhsa_exception_fp_ieee_invalid_op 0
		.amdhsa_exception_fp_denorm_src 0
		.amdhsa_exception_fp_ieee_div_zero 0
		.amdhsa_exception_fp_ieee_overflow 0
		.amdhsa_exception_fp_ieee_underflow 0
		.amdhsa_exception_fp_ieee_inexact 0
		.amdhsa_exception_int_div_zero 0
	.end_amdhsa_kernel
	.section	.text._ZN7rocprim17ROCPRIM_400000_NS6detail17trampoline_kernelINS0_14default_configENS1_35radix_sort_onesweep_config_selectorItNS0_10empty_typeEEEZZNS1_29radix_sort_onesweep_iterationIS3_Lb0EPKtPtPS5_SB_mNS0_19identity_decomposerENS1_16block_id_wrapperIjLb0EEEEE10hipError_tT1_PNSt15iterator_traitsISG_E10value_typeET2_T3_PNSH_ISM_E10value_typeET4_T5_PSR_SS_PNS1_23onesweep_lookback_stateEbbT6_jjT7_P12ihipStream_tbENKUlT_T0_SG_SL_E_clISA_SA_SB_SB_EEDaSZ_S10_SG_SL_EUlSZ_E_NS1_11comp_targetILNS1_3genE6ELNS1_11target_archE950ELNS1_3gpuE13ELNS1_3repE0EEENS1_47radix_sort_onesweep_sort_config_static_selectorELNS0_4arch9wavefront6targetE0EEEvSG_,"axG",@progbits,_ZN7rocprim17ROCPRIM_400000_NS6detail17trampoline_kernelINS0_14default_configENS1_35radix_sort_onesweep_config_selectorItNS0_10empty_typeEEEZZNS1_29radix_sort_onesweep_iterationIS3_Lb0EPKtPtPS5_SB_mNS0_19identity_decomposerENS1_16block_id_wrapperIjLb0EEEEE10hipError_tT1_PNSt15iterator_traitsISG_E10value_typeET2_T3_PNSH_ISM_E10value_typeET4_T5_PSR_SS_PNS1_23onesweep_lookback_stateEbbT6_jjT7_P12ihipStream_tbENKUlT_T0_SG_SL_E_clISA_SA_SB_SB_EEDaSZ_S10_SG_SL_EUlSZ_E_NS1_11comp_targetILNS1_3genE6ELNS1_11target_archE950ELNS1_3gpuE13ELNS1_3repE0EEENS1_47radix_sort_onesweep_sort_config_static_selectorELNS0_4arch9wavefront6targetE0EEEvSG_,comdat
.Lfunc_end2525:
	.size	_ZN7rocprim17ROCPRIM_400000_NS6detail17trampoline_kernelINS0_14default_configENS1_35radix_sort_onesweep_config_selectorItNS0_10empty_typeEEEZZNS1_29radix_sort_onesweep_iterationIS3_Lb0EPKtPtPS5_SB_mNS0_19identity_decomposerENS1_16block_id_wrapperIjLb0EEEEE10hipError_tT1_PNSt15iterator_traitsISG_E10value_typeET2_T3_PNSH_ISM_E10value_typeET4_T5_PSR_SS_PNS1_23onesweep_lookback_stateEbbT6_jjT7_P12ihipStream_tbENKUlT_T0_SG_SL_E_clISA_SA_SB_SB_EEDaSZ_S10_SG_SL_EUlSZ_E_NS1_11comp_targetILNS1_3genE6ELNS1_11target_archE950ELNS1_3gpuE13ELNS1_3repE0EEENS1_47radix_sort_onesweep_sort_config_static_selectorELNS0_4arch9wavefront6targetE0EEEvSG_, .Lfunc_end2525-_ZN7rocprim17ROCPRIM_400000_NS6detail17trampoline_kernelINS0_14default_configENS1_35radix_sort_onesweep_config_selectorItNS0_10empty_typeEEEZZNS1_29radix_sort_onesweep_iterationIS3_Lb0EPKtPtPS5_SB_mNS0_19identity_decomposerENS1_16block_id_wrapperIjLb0EEEEE10hipError_tT1_PNSt15iterator_traitsISG_E10value_typeET2_T3_PNSH_ISM_E10value_typeET4_T5_PSR_SS_PNS1_23onesweep_lookback_stateEbbT6_jjT7_P12ihipStream_tbENKUlT_T0_SG_SL_E_clISA_SA_SB_SB_EEDaSZ_S10_SG_SL_EUlSZ_E_NS1_11comp_targetILNS1_3genE6ELNS1_11target_archE950ELNS1_3gpuE13ELNS1_3repE0EEENS1_47radix_sort_onesweep_sort_config_static_selectorELNS0_4arch9wavefront6targetE0EEEvSG_
                                        ; -- End function
	.set _ZN7rocprim17ROCPRIM_400000_NS6detail17trampoline_kernelINS0_14default_configENS1_35radix_sort_onesweep_config_selectorItNS0_10empty_typeEEEZZNS1_29radix_sort_onesweep_iterationIS3_Lb0EPKtPtPS5_SB_mNS0_19identity_decomposerENS1_16block_id_wrapperIjLb0EEEEE10hipError_tT1_PNSt15iterator_traitsISG_E10value_typeET2_T3_PNSH_ISM_E10value_typeET4_T5_PSR_SS_PNS1_23onesweep_lookback_stateEbbT6_jjT7_P12ihipStream_tbENKUlT_T0_SG_SL_E_clISA_SA_SB_SB_EEDaSZ_S10_SG_SL_EUlSZ_E_NS1_11comp_targetILNS1_3genE6ELNS1_11target_archE950ELNS1_3gpuE13ELNS1_3repE0EEENS1_47radix_sort_onesweep_sort_config_static_selectorELNS0_4arch9wavefront6targetE0EEEvSG_.num_vgpr, 0
	.set _ZN7rocprim17ROCPRIM_400000_NS6detail17trampoline_kernelINS0_14default_configENS1_35radix_sort_onesweep_config_selectorItNS0_10empty_typeEEEZZNS1_29radix_sort_onesweep_iterationIS3_Lb0EPKtPtPS5_SB_mNS0_19identity_decomposerENS1_16block_id_wrapperIjLb0EEEEE10hipError_tT1_PNSt15iterator_traitsISG_E10value_typeET2_T3_PNSH_ISM_E10value_typeET4_T5_PSR_SS_PNS1_23onesweep_lookback_stateEbbT6_jjT7_P12ihipStream_tbENKUlT_T0_SG_SL_E_clISA_SA_SB_SB_EEDaSZ_S10_SG_SL_EUlSZ_E_NS1_11comp_targetILNS1_3genE6ELNS1_11target_archE950ELNS1_3gpuE13ELNS1_3repE0EEENS1_47radix_sort_onesweep_sort_config_static_selectorELNS0_4arch9wavefront6targetE0EEEvSG_.num_agpr, 0
	.set _ZN7rocprim17ROCPRIM_400000_NS6detail17trampoline_kernelINS0_14default_configENS1_35radix_sort_onesweep_config_selectorItNS0_10empty_typeEEEZZNS1_29radix_sort_onesweep_iterationIS3_Lb0EPKtPtPS5_SB_mNS0_19identity_decomposerENS1_16block_id_wrapperIjLb0EEEEE10hipError_tT1_PNSt15iterator_traitsISG_E10value_typeET2_T3_PNSH_ISM_E10value_typeET4_T5_PSR_SS_PNS1_23onesweep_lookback_stateEbbT6_jjT7_P12ihipStream_tbENKUlT_T0_SG_SL_E_clISA_SA_SB_SB_EEDaSZ_S10_SG_SL_EUlSZ_E_NS1_11comp_targetILNS1_3genE6ELNS1_11target_archE950ELNS1_3gpuE13ELNS1_3repE0EEENS1_47radix_sort_onesweep_sort_config_static_selectorELNS0_4arch9wavefront6targetE0EEEvSG_.numbered_sgpr, 0
	.set _ZN7rocprim17ROCPRIM_400000_NS6detail17trampoline_kernelINS0_14default_configENS1_35radix_sort_onesweep_config_selectorItNS0_10empty_typeEEEZZNS1_29radix_sort_onesweep_iterationIS3_Lb0EPKtPtPS5_SB_mNS0_19identity_decomposerENS1_16block_id_wrapperIjLb0EEEEE10hipError_tT1_PNSt15iterator_traitsISG_E10value_typeET2_T3_PNSH_ISM_E10value_typeET4_T5_PSR_SS_PNS1_23onesweep_lookback_stateEbbT6_jjT7_P12ihipStream_tbENKUlT_T0_SG_SL_E_clISA_SA_SB_SB_EEDaSZ_S10_SG_SL_EUlSZ_E_NS1_11comp_targetILNS1_3genE6ELNS1_11target_archE950ELNS1_3gpuE13ELNS1_3repE0EEENS1_47radix_sort_onesweep_sort_config_static_selectorELNS0_4arch9wavefront6targetE0EEEvSG_.num_named_barrier, 0
	.set _ZN7rocprim17ROCPRIM_400000_NS6detail17trampoline_kernelINS0_14default_configENS1_35radix_sort_onesweep_config_selectorItNS0_10empty_typeEEEZZNS1_29radix_sort_onesweep_iterationIS3_Lb0EPKtPtPS5_SB_mNS0_19identity_decomposerENS1_16block_id_wrapperIjLb0EEEEE10hipError_tT1_PNSt15iterator_traitsISG_E10value_typeET2_T3_PNSH_ISM_E10value_typeET4_T5_PSR_SS_PNS1_23onesweep_lookback_stateEbbT6_jjT7_P12ihipStream_tbENKUlT_T0_SG_SL_E_clISA_SA_SB_SB_EEDaSZ_S10_SG_SL_EUlSZ_E_NS1_11comp_targetILNS1_3genE6ELNS1_11target_archE950ELNS1_3gpuE13ELNS1_3repE0EEENS1_47radix_sort_onesweep_sort_config_static_selectorELNS0_4arch9wavefront6targetE0EEEvSG_.private_seg_size, 0
	.set _ZN7rocprim17ROCPRIM_400000_NS6detail17trampoline_kernelINS0_14default_configENS1_35radix_sort_onesweep_config_selectorItNS0_10empty_typeEEEZZNS1_29radix_sort_onesweep_iterationIS3_Lb0EPKtPtPS5_SB_mNS0_19identity_decomposerENS1_16block_id_wrapperIjLb0EEEEE10hipError_tT1_PNSt15iterator_traitsISG_E10value_typeET2_T3_PNSH_ISM_E10value_typeET4_T5_PSR_SS_PNS1_23onesweep_lookback_stateEbbT6_jjT7_P12ihipStream_tbENKUlT_T0_SG_SL_E_clISA_SA_SB_SB_EEDaSZ_S10_SG_SL_EUlSZ_E_NS1_11comp_targetILNS1_3genE6ELNS1_11target_archE950ELNS1_3gpuE13ELNS1_3repE0EEENS1_47radix_sort_onesweep_sort_config_static_selectorELNS0_4arch9wavefront6targetE0EEEvSG_.uses_vcc, 0
	.set _ZN7rocprim17ROCPRIM_400000_NS6detail17trampoline_kernelINS0_14default_configENS1_35radix_sort_onesweep_config_selectorItNS0_10empty_typeEEEZZNS1_29radix_sort_onesweep_iterationIS3_Lb0EPKtPtPS5_SB_mNS0_19identity_decomposerENS1_16block_id_wrapperIjLb0EEEEE10hipError_tT1_PNSt15iterator_traitsISG_E10value_typeET2_T3_PNSH_ISM_E10value_typeET4_T5_PSR_SS_PNS1_23onesweep_lookback_stateEbbT6_jjT7_P12ihipStream_tbENKUlT_T0_SG_SL_E_clISA_SA_SB_SB_EEDaSZ_S10_SG_SL_EUlSZ_E_NS1_11comp_targetILNS1_3genE6ELNS1_11target_archE950ELNS1_3gpuE13ELNS1_3repE0EEENS1_47radix_sort_onesweep_sort_config_static_selectorELNS0_4arch9wavefront6targetE0EEEvSG_.uses_flat_scratch, 0
	.set _ZN7rocprim17ROCPRIM_400000_NS6detail17trampoline_kernelINS0_14default_configENS1_35radix_sort_onesweep_config_selectorItNS0_10empty_typeEEEZZNS1_29radix_sort_onesweep_iterationIS3_Lb0EPKtPtPS5_SB_mNS0_19identity_decomposerENS1_16block_id_wrapperIjLb0EEEEE10hipError_tT1_PNSt15iterator_traitsISG_E10value_typeET2_T3_PNSH_ISM_E10value_typeET4_T5_PSR_SS_PNS1_23onesweep_lookback_stateEbbT6_jjT7_P12ihipStream_tbENKUlT_T0_SG_SL_E_clISA_SA_SB_SB_EEDaSZ_S10_SG_SL_EUlSZ_E_NS1_11comp_targetILNS1_3genE6ELNS1_11target_archE950ELNS1_3gpuE13ELNS1_3repE0EEENS1_47radix_sort_onesweep_sort_config_static_selectorELNS0_4arch9wavefront6targetE0EEEvSG_.has_dyn_sized_stack, 0
	.set _ZN7rocprim17ROCPRIM_400000_NS6detail17trampoline_kernelINS0_14default_configENS1_35radix_sort_onesweep_config_selectorItNS0_10empty_typeEEEZZNS1_29radix_sort_onesweep_iterationIS3_Lb0EPKtPtPS5_SB_mNS0_19identity_decomposerENS1_16block_id_wrapperIjLb0EEEEE10hipError_tT1_PNSt15iterator_traitsISG_E10value_typeET2_T3_PNSH_ISM_E10value_typeET4_T5_PSR_SS_PNS1_23onesweep_lookback_stateEbbT6_jjT7_P12ihipStream_tbENKUlT_T0_SG_SL_E_clISA_SA_SB_SB_EEDaSZ_S10_SG_SL_EUlSZ_E_NS1_11comp_targetILNS1_3genE6ELNS1_11target_archE950ELNS1_3gpuE13ELNS1_3repE0EEENS1_47radix_sort_onesweep_sort_config_static_selectorELNS0_4arch9wavefront6targetE0EEEvSG_.has_recursion, 0
	.set _ZN7rocprim17ROCPRIM_400000_NS6detail17trampoline_kernelINS0_14default_configENS1_35radix_sort_onesweep_config_selectorItNS0_10empty_typeEEEZZNS1_29radix_sort_onesweep_iterationIS3_Lb0EPKtPtPS5_SB_mNS0_19identity_decomposerENS1_16block_id_wrapperIjLb0EEEEE10hipError_tT1_PNSt15iterator_traitsISG_E10value_typeET2_T3_PNSH_ISM_E10value_typeET4_T5_PSR_SS_PNS1_23onesweep_lookback_stateEbbT6_jjT7_P12ihipStream_tbENKUlT_T0_SG_SL_E_clISA_SA_SB_SB_EEDaSZ_S10_SG_SL_EUlSZ_E_NS1_11comp_targetILNS1_3genE6ELNS1_11target_archE950ELNS1_3gpuE13ELNS1_3repE0EEENS1_47radix_sort_onesweep_sort_config_static_selectorELNS0_4arch9wavefront6targetE0EEEvSG_.has_indirect_call, 0
	.section	.AMDGPU.csdata,"",@progbits
; Kernel info:
; codeLenInByte = 0
; TotalNumSgprs: 0
; NumVgprs: 0
; ScratchSize: 0
; MemoryBound: 0
; FloatMode: 240
; IeeeMode: 1
; LDSByteSize: 0 bytes/workgroup (compile time only)
; SGPRBlocks: 0
; VGPRBlocks: 0
; NumSGPRsForWavesPerEU: 1
; NumVGPRsForWavesPerEU: 1
; NamedBarCnt: 0
; Occupancy: 16
; WaveLimiterHint : 0
; COMPUTE_PGM_RSRC2:SCRATCH_EN: 0
; COMPUTE_PGM_RSRC2:USER_SGPR: 2
; COMPUTE_PGM_RSRC2:TRAP_HANDLER: 0
; COMPUTE_PGM_RSRC2:TGID_X_EN: 1
; COMPUTE_PGM_RSRC2:TGID_Y_EN: 0
; COMPUTE_PGM_RSRC2:TGID_Z_EN: 0
; COMPUTE_PGM_RSRC2:TIDIG_COMP_CNT: 0
	.section	.text._ZN7rocprim17ROCPRIM_400000_NS6detail17trampoline_kernelINS0_14default_configENS1_35radix_sort_onesweep_config_selectorItNS0_10empty_typeEEEZZNS1_29radix_sort_onesweep_iterationIS3_Lb0EPKtPtPS5_SB_mNS0_19identity_decomposerENS1_16block_id_wrapperIjLb0EEEEE10hipError_tT1_PNSt15iterator_traitsISG_E10value_typeET2_T3_PNSH_ISM_E10value_typeET4_T5_PSR_SS_PNS1_23onesweep_lookback_stateEbbT6_jjT7_P12ihipStream_tbENKUlT_T0_SG_SL_E_clISA_SA_SB_SB_EEDaSZ_S10_SG_SL_EUlSZ_E_NS1_11comp_targetILNS1_3genE5ELNS1_11target_archE942ELNS1_3gpuE9ELNS1_3repE0EEENS1_47radix_sort_onesweep_sort_config_static_selectorELNS0_4arch9wavefront6targetE0EEEvSG_,"axG",@progbits,_ZN7rocprim17ROCPRIM_400000_NS6detail17trampoline_kernelINS0_14default_configENS1_35radix_sort_onesweep_config_selectorItNS0_10empty_typeEEEZZNS1_29radix_sort_onesweep_iterationIS3_Lb0EPKtPtPS5_SB_mNS0_19identity_decomposerENS1_16block_id_wrapperIjLb0EEEEE10hipError_tT1_PNSt15iterator_traitsISG_E10value_typeET2_T3_PNSH_ISM_E10value_typeET4_T5_PSR_SS_PNS1_23onesweep_lookback_stateEbbT6_jjT7_P12ihipStream_tbENKUlT_T0_SG_SL_E_clISA_SA_SB_SB_EEDaSZ_S10_SG_SL_EUlSZ_E_NS1_11comp_targetILNS1_3genE5ELNS1_11target_archE942ELNS1_3gpuE9ELNS1_3repE0EEENS1_47radix_sort_onesweep_sort_config_static_selectorELNS0_4arch9wavefront6targetE0EEEvSG_,comdat
	.protected	_ZN7rocprim17ROCPRIM_400000_NS6detail17trampoline_kernelINS0_14default_configENS1_35radix_sort_onesweep_config_selectorItNS0_10empty_typeEEEZZNS1_29radix_sort_onesweep_iterationIS3_Lb0EPKtPtPS5_SB_mNS0_19identity_decomposerENS1_16block_id_wrapperIjLb0EEEEE10hipError_tT1_PNSt15iterator_traitsISG_E10value_typeET2_T3_PNSH_ISM_E10value_typeET4_T5_PSR_SS_PNS1_23onesweep_lookback_stateEbbT6_jjT7_P12ihipStream_tbENKUlT_T0_SG_SL_E_clISA_SA_SB_SB_EEDaSZ_S10_SG_SL_EUlSZ_E_NS1_11comp_targetILNS1_3genE5ELNS1_11target_archE942ELNS1_3gpuE9ELNS1_3repE0EEENS1_47radix_sort_onesweep_sort_config_static_selectorELNS0_4arch9wavefront6targetE0EEEvSG_ ; -- Begin function _ZN7rocprim17ROCPRIM_400000_NS6detail17trampoline_kernelINS0_14default_configENS1_35radix_sort_onesweep_config_selectorItNS0_10empty_typeEEEZZNS1_29radix_sort_onesweep_iterationIS3_Lb0EPKtPtPS5_SB_mNS0_19identity_decomposerENS1_16block_id_wrapperIjLb0EEEEE10hipError_tT1_PNSt15iterator_traitsISG_E10value_typeET2_T3_PNSH_ISM_E10value_typeET4_T5_PSR_SS_PNS1_23onesweep_lookback_stateEbbT6_jjT7_P12ihipStream_tbENKUlT_T0_SG_SL_E_clISA_SA_SB_SB_EEDaSZ_S10_SG_SL_EUlSZ_E_NS1_11comp_targetILNS1_3genE5ELNS1_11target_archE942ELNS1_3gpuE9ELNS1_3repE0EEENS1_47radix_sort_onesweep_sort_config_static_selectorELNS0_4arch9wavefront6targetE0EEEvSG_
	.globl	_ZN7rocprim17ROCPRIM_400000_NS6detail17trampoline_kernelINS0_14default_configENS1_35radix_sort_onesweep_config_selectorItNS0_10empty_typeEEEZZNS1_29radix_sort_onesweep_iterationIS3_Lb0EPKtPtPS5_SB_mNS0_19identity_decomposerENS1_16block_id_wrapperIjLb0EEEEE10hipError_tT1_PNSt15iterator_traitsISG_E10value_typeET2_T3_PNSH_ISM_E10value_typeET4_T5_PSR_SS_PNS1_23onesweep_lookback_stateEbbT6_jjT7_P12ihipStream_tbENKUlT_T0_SG_SL_E_clISA_SA_SB_SB_EEDaSZ_S10_SG_SL_EUlSZ_E_NS1_11comp_targetILNS1_3genE5ELNS1_11target_archE942ELNS1_3gpuE9ELNS1_3repE0EEENS1_47radix_sort_onesweep_sort_config_static_selectorELNS0_4arch9wavefront6targetE0EEEvSG_
	.p2align	8
	.type	_ZN7rocprim17ROCPRIM_400000_NS6detail17trampoline_kernelINS0_14default_configENS1_35radix_sort_onesweep_config_selectorItNS0_10empty_typeEEEZZNS1_29radix_sort_onesweep_iterationIS3_Lb0EPKtPtPS5_SB_mNS0_19identity_decomposerENS1_16block_id_wrapperIjLb0EEEEE10hipError_tT1_PNSt15iterator_traitsISG_E10value_typeET2_T3_PNSH_ISM_E10value_typeET4_T5_PSR_SS_PNS1_23onesweep_lookback_stateEbbT6_jjT7_P12ihipStream_tbENKUlT_T0_SG_SL_E_clISA_SA_SB_SB_EEDaSZ_S10_SG_SL_EUlSZ_E_NS1_11comp_targetILNS1_3genE5ELNS1_11target_archE942ELNS1_3gpuE9ELNS1_3repE0EEENS1_47radix_sort_onesweep_sort_config_static_selectorELNS0_4arch9wavefront6targetE0EEEvSG_,@function
_ZN7rocprim17ROCPRIM_400000_NS6detail17trampoline_kernelINS0_14default_configENS1_35radix_sort_onesweep_config_selectorItNS0_10empty_typeEEEZZNS1_29radix_sort_onesweep_iterationIS3_Lb0EPKtPtPS5_SB_mNS0_19identity_decomposerENS1_16block_id_wrapperIjLb0EEEEE10hipError_tT1_PNSt15iterator_traitsISG_E10value_typeET2_T3_PNSH_ISM_E10value_typeET4_T5_PSR_SS_PNS1_23onesweep_lookback_stateEbbT6_jjT7_P12ihipStream_tbENKUlT_T0_SG_SL_E_clISA_SA_SB_SB_EEDaSZ_S10_SG_SL_EUlSZ_E_NS1_11comp_targetILNS1_3genE5ELNS1_11target_archE942ELNS1_3gpuE9ELNS1_3repE0EEENS1_47radix_sort_onesweep_sort_config_static_selectorELNS0_4arch9wavefront6targetE0EEEvSG_: ; @_ZN7rocprim17ROCPRIM_400000_NS6detail17trampoline_kernelINS0_14default_configENS1_35radix_sort_onesweep_config_selectorItNS0_10empty_typeEEEZZNS1_29radix_sort_onesweep_iterationIS3_Lb0EPKtPtPS5_SB_mNS0_19identity_decomposerENS1_16block_id_wrapperIjLb0EEEEE10hipError_tT1_PNSt15iterator_traitsISG_E10value_typeET2_T3_PNSH_ISM_E10value_typeET4_T5_PSR_SS_PNS1_23onesweep_lookback_stateEbbT6_jjT7_P12ihipStream_tbENKUlT_T0_SG_SL_E_clISA_SA_SB_SB_EEDaSZ_S10_SG_SL_EUlSZ_E_NS1_11comp_targetILNS1_3genE5ELNS1_11target_archE942ELNS1_3gpuE9ELNS1_3repE0EEENS1_47radix_sort_onesweep_sort_config_static_selectorELNS0_4arch9wavefront6targetE0EEEvSG_
; %bb.0:
	.section	.rodata,"a",@progbits
	.p2align	6, 0x0
	.amdhsa_kernel _ZN7rocprim17ROCPRIM_400000_NS6detail17trampoline_kernelINS0_14default_configENS1_35radix_sort_onesweep_config_selectorItNS0_10empty_typeEEEZZNS1_29radix_sort_onesweep_iterationIS3_Lb0EPKtPtPS5_SB_mNS0_19identity_decomposerENS1_16block_id_wrapperIjLb0EEEEE10hipError_tT1_PNSt15iterator_traitsISG_E10value_typeET2_T3_PNSH_ISM_E10value_typeET4_T5_PSR_SS_PNS1_23onesweep_lookback_stateEbbT6_jjT7_P12ihipStream_tbENKUlT_T0_SG_SL_E_clISA_SA_SB_SB_EEDaSZ_S10_SG_SL_EUlSZ_E_NS1_11comp_targetILNS1_3genE5ELNS1_11target_archE942ELNS1_3gpuE9ELNS1_3repE0EEENS1_47radix_sort_onesweep_sort_config_static_selectorELNS0_4arch9wavefront6targetE0EEEvSG_
		.amdhsa_group_segment_fixed_size 0
		.amdhsa_private_segment_fixed_size 0
		.amdhsa_kernarg_size 88
		.amdhsa_user_sgpr_count 2
		.amdhsa_user_sgpr_dispatch_ptr 0
		.amdhsa_user_sgpr_queue_ptr 0
		.amdhsa_user_sgpr_kernarg_segment_ptr 1
		.amdhsa_user_sgpr_dispatch_id 0
		.amdhsa_user_sgpr_kernarg_preload_length 0
		.amdhsa_user_sgpr_kernarg_preload_offset 0
		.amdhsa_user_sgpr_private_segment_size 0
		.amdhsa_wavefront_size32 1
		.amdhsa_uses_dynamic_stack 0
		.amdhsa_enable_private_segment 0
		.amdhsa_system_sgpr_workgroup_id_x 1
		.amdhsa_system_sgpr_workgroup_id_y 0
		.amdhsa_system_sgpr_workgroup_id_z 0
		.amdhsa_system_sgpr_workgroup_info 0
		.amdhsa_system_vgpr_workitem_id 0
		.amdhsa_next_free_vgpr 1
		.amdhsa_next_free_sgpr 1
		.amdhsa_named_barrier_count 0
		.amdhsa_reserve_vcc 0
		.amdhsa_float_round_mode_32 0
		.amdhsa_float_round_mode_16_64 0
		.amdhsa_float_denorm_mode_32 3
		.amdhsa_float_denorm_mode_16_64 3
		.amdhsa_fp16_overflow 0
		.amdhsa_memory_ordered 1
		.amdhsa_forward_progress 1
		.amdhsa_inst_pref_size 0
		.amdhsa_round_robin_scheduling 0
		.amdhsa_exception_fp_ieee_invalid_op 0
		.amdhsa_exception_fp_denorm_src 0
		.amdhsa_exception_fp_ieee_div_zero 0
		.amdhsa_exception_fp_ieee_overflow 0
		.amdhsa_exception_fp_ieee_underflow 0
		.amdhsa_exception_fp_ieee_inexact 0
		.amdhsa_exception_int_div_zero 0
	.end_amdhsa_kernel
	.section	.text._ZN7rocprim17ROCPRIM_400000_NS6detail17trampoline_kernelINS0_14default_configENS1_35radix_sort_onesweep_config_selectorItNS0_10empty_typeEEEZZNS1_29radix_sort_onesweep_iterationIS3_Lb0EPKtPtPS5_SB_mNS0_19identity_decomposerENS1_16block_id_wrapperIjLb0EEEEE10hipError_tT1_PNSt15iterator_traitsISG_E10value_typeET2_T3_PNSH_ISM_E10value_typeET4_T5_PSR_SS_PNS1_23onesweep_lookback_stateEbbT6_jjT7_P12ihipStream_tbENKUlT_T0_SG_SL_E_clISA_SA_SB_SB_EEDaSZ_S10_SG_SL_EUlSZ_E_NS1_11comp_targetILNS1_3genE5ELNS1_11target_archE942ELNS1_3gpuE9ELNS1_3repE0EEENS1_47radix_sort_onesweep_sort_config_static_selectorELNS0_4arch9wavefront6targetE0EEEvSG_,"axG",@progbits,_ZN7rocprim17ROCPRIM_400000_NS6detail17trampoline_kernelINS0_14default_configENS1_35radix_sort_onesweep_config_selectorItNS0_10empty_typeEEEZZNS1_29radix_sort_onesweep_iterationIS3_Lb0EPKtPtPS5_SB_mNS0_19identity_decomposerENS1_16block_id_wrapperIjLb0EEEEE10hipError_tT1_PNSt15iterator_traitsISG_E10value_typeET2_T3_PNSH_ISM_E10value_typeET4_T5_PSR_SS_PNS1_23onesweep_lookback_stateEbbT6_jjT7_P12ihipStream_tbENKUlT_T0_SG_SL_E_clISA_SA_SB_SB_EEDaSZ_S10_SG_SL_EUlSZ_E_NS1_11comp_targetILNS1_3genE5ELNS1_11target_archE942ELNS1_3gpuE9ELNS1_3repE0EEENS1_47radix_sort_onesweep_sort_config_static_selectorELNS0_4arch9wavefront6targetE0EEEvSG_,comdat
.Lfunc_end2526:
	.size	_ZN7rocprim17ROCPRIM_400000_NS6detail17trampoline_kernelINS0_14default_configENS1_35radix_sort_onesweep_config_selectorItNS0_10empty_typeEEEZZNS1_29radix_sort_onesweep_iterationIS3_Lb0EPKtPtPS5_SB_mNS0_19identity_decomposerENS1_16block_id_wrapperIjLb0EEEEE10hipError_tT1_PNSt15iterator_traitsISG_E10value_typeET2_T3_PNSH_ISM_E10value_typeET4_T5_PSR_SS_PNS1_23onesweep_lookback_stateEbbT6_jjT7_P12ihipStream_tbENKUlT_T0_SG_SL_E_clISA_SA_SB_SB_EEDaSZ_S10_SG_SL_EUlSZ_E_NS1_11comp_targetILNS1_3genE5ELNS1_11target_archE942ELNS1_3gpuE9ELNS1_3repE0EEENS1_47radix_sort_onesweep_sort_config_static_selectorELNS0_4arch9wavefront6targetE0EEEvSG_, .Lfunc_end2526-_ZN7rocprim17ROCPRIM_400000_NS6detail17trampoline_kernelINS0_14default_configENS1_35radix_sort_onesweep_config_selectorItNS0_10empty_typeEEEZZNS1_29radix_sort_onesweep_iterationIS3_Lb0EPKtPtPS5_SB_mNS0_19identity_decomposerENS1_16block_id_wrapperIjLb0EEEEE10hipError_tT1_PNSt15iterator_traitsISG_E10value_typeET2_T3_PNSH_ISM_E10value_typeET4_T5_PSR_SS_PNS1_23onesweep_lookback_stateEbbT6_jjT7_P12ihipStream_tbENKUlT_T0_SG_SL_E_clISA_SA_SB_SB_EEDaSZ_S10_SG_SL_EUlSZ_E_NS1_11comp_targetILNS1_3genE5ELNS1_11target_archE942ELNS1_3gpuE9ELNS1_3repE0EEENS1_47radix_sort_onesweep_sort_config_static_selectorELNS0_4arch9wavefront6targetE0EEEvSG_
                                        ; -- End function
	.set _ZN7rocprim17ROCPRIM_400000_NS6detail17trampoline_kernelINS0_14default_configENS1_35radix_sort_onesweep_config_selectorItNS0_10empty_typeEEEZZNS1_29radix_sort_onesweep_iterationIS3_Lb0EPKtPtPS5_SB_mNS0_19identity_decomposerENS1_16block_id_wrapperIjLb0EEEEE10hipError_tT1_PNSt15iterator_traitsISG_E10value_typeET2_T3_PNSH_ISM_E10value_typeET4_T5_PSR_SS_PNS1_23onesweep_lookback_stateEbbT6_jjT7_P12ihipStream_tbENKUlT_T0_SG_SL_E_clISA_SA_SB_SB_EEDaSZ_S10_SG_SL_EUlSZ_E_NS1_11comp_targetILNS1_3genE5ELNS1_11target_archE942ELNS1_3gpuE9ELNS1_3repE0EEENS1_47radix_sort_onesweep_sort_config_static_selectorELNS0_4arch9wavefront6targetE0EEEvSG_.num_vgpr, 0
	.set _ZN7rocprim17ROCPRIM_400000_NS6detail17trampoline_kernelINS0_14default_configENS1_35radix_sort_onesweep_config_selectorItNS0_10empty_typeEEEZZNS1_29radix_sort_onesweep_iterationIS3_Lb0EPKtPtPS5_SB_mNS0_19identity_decomposerENS1_16block_id_wrapperIjLb0EEEEE10hipError_tT1_PNSt15iterator_traitsISG_E10value_typeET2_T3_PNSH_ISM_E10value_typeET4_T5_PSR_SS_PNS1_23onesweep_lookback_stateEbbT6_jjT7_P12ihipStream_tbENKUlT_T0_SG_SL_E_clISA_SA_SB_SB_EEDaSZ_S10_SG_SL_EUlSZ_E_NS1_11comp_targetILNS1_3genE5ELNS1_11target_archE942ELNS1_3gpuE9ELNS1_3repE0EEENS1_47radix_sort_onesweep_sort_config_static_selectorELNS0_4arch9wavefront6targetE0EEEvSG_.num_agpr, 0
	.set _ZN7rocprim17ROCPRIM_400000_NS6detail17trampoline_kernelINS0_14default_configENS1_35radix_sort_onesweep_config_selectorItNS0_10empty_typeEEEZZNS1_29radix_sort_onesweep_iterationIS3_Lb0EPKtPtPS5_SB_mNS0_19identity_decomposerENS1_16block_id_wrapperIjLb0EEEEE10hipError_tT1_PNSt15iterator_traitsISG_E10value_typeET2_T3_PNSH_ISM_E10value_typeET4_T5_PSR_SS_PNS1_23onesweep_lookback_stateEbbT6_jjT7_P12ihipStream_tbENKUlT_T0_SG_SL_E_clISA_SA_SB_SB_EEDaSZ_S10_SG_SL_EUlSZ_E_NS1_11comp_targetILNS1_3genE5ELNS1_11target_archE942ELNS1_3gpuE9ELNS1_3repE0EEENS1_47radix_sort_onesweep_sort_config_static_selectorELNS0_4arch9wavefront6targetE0EEEvSG_.numbered_sgpr, 0
	.set _ZN7rocprim17ROCPRIM_400000_NS6detail17trampoline_kernelINS0_14default_configENS1_35radix_sort_onesweep_config_selectorItNS0_10empty_typeEEEZZNS1_29radix_sort_onesweep_iterationIS3_Lb0EPKtPtPS5_SB_mNS0_19identity_decomposerENS1_16block_id_wrapperIjLb0EEEEE10hipError_tT1_PNSt15iterator_traitsISG_E10value_typeET2_T3_PNSH_ISM_E10value_typeET4_T5_PSR_SS_PNS1_23onesweep_lookback_stateEbbT6_jjT7_P12ihipStream_tbENKUlT_T0_SG_SL_E_clISA_SA_SB_SB_EEDaSZ_S10_SG_SL_EUlSZ_E_NS1_11comp_targetILNS1_3genE5ELNS1_11target_archE942ELNS1_3gpuE9ELNS1_3repE0EEENS1_47radix_sort_onesweep_sort_config_static_selectorELNS0_4arch9wavefront6targetE0EEEvSG_.num_named_barrier, 0
	.set _ZN7rocprim17ROCPRIM_400000_NS6detail17trampoline_kernelINS0_14default_configENS1_35radix_sort_onesweep_config_selectorItNS0_10empty_typeEEEZZNS1_29radix_sort_onesweep_iterationIS3_Lb0EPKtPtPS5_SB_mNS0_19identity_decomposerENS1_16block_id_wrapperIjLb0EEEEE10hipError_tT1_PNSt15iterator_traitsISG_E10value_typeET2_T3_PNSH_ISM_E10value_typeET4_T5_PSR_SS_PNS1_23onesweep_lookback_stateEbbT6_jjT7_P12ihipStream_tbENKUlT_T0_SG_SL_E_clISA_SA_SB_SB_EEDaSZ_S10_SG_SL_EUlSZ_E_NS1_11comp_targetILNS1_3genE5ELNS1_11target_archE942ELNS1_3gpuE9ELNS1_3repE0EEENS1_47radix_sort_onesweep_sort_config_static_selectorELNS0_4arch9wavefront6targetE0EEEvSG_.private_seg_size, 0
	.set _ZN7rocprim17ROCPRIM_400000_NS6detail17trampoline_kernelINS0_14default_configENS1_35radix_sort_onesweep_config_selectorItNS0_10empty_typeEEEZZNS1_29radix_sort_onesweep_iterationIS3_Lb0EPKtPtPS5_SB_mNS0_19identity_decomposerENS1_16block_id_wrapperIjLb0EEEEE10hipError_tT1_PNSt15iterator_traitsISG_E10value_typeET2_T3_PNSH_ISM_E10value_typeET4_T5_PSR_SS_PNS1_23onesweep_lookback_stateEbbT6_jjT7_P12ihipStream_tbENKUlT_T0_SG_SL_E_clISA_SA_SB_SB_EEDaSZ_S10_SG_SL_EUlSZ_E_NS1_11comp_targetILNS1_3genE5ELNS1_11target_archE942ELNS1_3gpuE9ELNS1_3repE0EEENS1_47radix_sort_onesweep_sort_config_static_selectorELNS0_4arch9wavefront6targetE0EEEvSG_.uses_vcc, 0
	.set _ZN7rocprim17ROCPRIM_400000_NS6detail17trampoline_kernelINS0_14default_configENS1_35radix_sort_onesweep_config_selectorItNS0_10empty_typeEEEZZNS1_29radix_sort_onesweep_iterationIS3_Lb0EPKtPtPS5_SB_mNS0_19identity_decomposerENS1_16block_id_wrapperIjLb0EEEEE10hipError_tT1_PNSt15iterator_traitsISG_E10value_typeET2_T3_PNSH_ISM_E10value_typeET4_T5_PSR_SS_PNS1_23onesweep_lookback_stateEbbT6_jjT7_P12ihipStream_tbENKUlT_T0_SG_SL_E_clISA_SA_SB_SB_EEDaSZ_S10_SG_SL_EUlSZ_E_NS1_11comp_targetILNS1_3genE5ELNS1_11target_archE942ELNS1_3gpuE9ELNS1_3repE0EEENS1_47radix_sort_onesweep_sort_config_static_selectorELNS0_4arch9wavefront6targetE0EEEvSG_.uses_flat_scratch, 0
	.set _ZN7rocprim17ROCPRIM_400000_NS6detail17trampoline_kernelINS0_14default_configENS1_35radix_sort_onesweep_config_selectorItNS0_10empty_typeEEEZZNS1_29radix_sort_onesweep_iterationIS3_Lb0EPKtPtPS5_SB_mNS0_19identity_decomposerENS1_16block_id_wrapperIjLb0EEEEE10hipError_tT1_PNSt15iterator_traitsISG_E10value_typeET2_T3_PNSH_ISM_E10value_typeET4_T5_PSR_SS_PNS1_23onesweep_lookback_stateEbbT6_jjT7_P12ihipStream_tbENKUlT_T0_SG_SL_E_clISA_SA_SB_SB_EEDaSZ_S10_SG_SL_EUlSZ_E_NS1_11comp_targetILNS1_3genE5ELNS1_11target_archE942ELNS1_3gpuE9ELNS1_3repE0EEENS1_47radix_sort_onesweep_sort_config_static_selectorELNS0_4arch9wavefront6targetE0EEEvSG_.has_dyn_sized_stack, 0
	.set _ZN7rocprim17ROCPRIM_400000_NS6detail17trampoline_kernelINS0_14default_configENS1_35radix_sort_onesweep_config_selectorItNS0_10empty_typeEEEZZNS1_29radix_sort_onesweep_iterationIS3_Lb0EPKtPtPS5_SB_mNS0_19identity_decomposerENS1_16block_id_wrapperIjLb0EEEEE10hipError_tT1_PNSt15iterator_traitsISG_E10value_typeET2_T3_PNSH_ISM_E10value_typeET4_T5_PSR_SS_PNS1_23onesweep_lookback_stateEbbT6_jjT7_P12ihipStream_tbENKUlT_T0_SG_SL_E_clISA_SA_SB_SB_EEDaSZ_S10_SG_SL_EUlSZ_E_NS1_11comp_targetILNS1_3genE5ELNS1_11target_archE942ELNS1_3gpuE9ELNS1_3repE0EEENS1_47radix_sort_onesweep_sort_config_static_selectorELNS0_4arch9wavefront6targetE0EEEvSG_.has_recursion, 0
	.set _ZN7rocprim17ROCPRIM_400000_NS6detail17trampoline_kernelINS0_14default_configENS1_35radix_sort_onesweep_config_selectorItNS0_10empty_typeEEEZZNS1_29radix_sort_onesweep_iterationIS3_Lb0EPKtPtPS5_SB_mNS0_19identity_decomposerENS1_16block_id_wrapperIjLb0EEEEE10hipError_tT1_PNSt15iterator_traitsISG_E10value_typeET2_T3_PNSH_ISM_E10value_typeET4_T5_PSR_SS_PNS1_23onesweep_lookback_stateEbbT6_jjT7_P12ihipStream_tbENKUlT_T0_SG_SL_E_clISA_SA_SB_SB_EEDaSZ_S10_SG_SL_EUlSZ_E_NS1_11comp_targetILNS1_3genE5ELNS1_11target_archE942ELNS1_3gpuE9ELNS1_3repE0EEENS1_47radix_sort_onesweep_sort_config_static_selectorELNS0_4arch9wavefront6targetE0EEEvSG_.has_indirect_call, 0
	.section	.AMDGPU.csdata,"",@progbits
; Kernel info:
; codeLenInByte = 0
; TotalNumSgprs: 0
; NumVgprs: 0
; ScratchSize: 0
; MemoryBound: 0
; FloatMode: 240
; IeeeMode: 1
; LDSByteSize: 0 bytes/workgroup (compile time only)
; SGPRBlocks: 0
; VGPRBlocks: 0
; NumSGPRsForWavesPerEU: 1
; NumVGPRsForWavesPerEU: 1
; NamedBarCnt: 0
; Occupancy: 16
; WaveLimiterHint : 0
; COMPUTE_PGM_RSRC2:SCRATCH_EN: 0
; COMPUTE_PGM_RSRC2:USER_SGPR: 2
; COMPUTE_PGM_RSRC2:TRAP_HANDLER: 0
; COMPUTE_PGM_RSRC2:TGID_X_EN: 1
; COMPUTE_PGM_RSRC2:TGID_Y_EN: 0
; COMPUTE_PGM_RSRC2:TGID_Z_EN: 0
; COMPUTE_PGM_RSRC2:TIDIG_COMP_CNT: 0
	.section	.text._ZN7rocprim17ROCPRIM_400000_NS6detail17trampoline_kernelINS0_14default_configENS1_35radix_sort_onesweep_config_selectorItNS0_10empty_typeEEEZZNS1_29radix_sort_onesweep_iterationIS3_Lb0EPKtPtPS5_SB_mNS0_19identity_decomposerENS1_16block_id_wrapperIjLb0EEEEE10hipError_tT1_PNSt15iterator_traitsISG_E10value_typeET2_T3_PNSH_ISM_E10value_typeET4_T5_PSR_SS_PNS1_23onesweep_lookback_stateEbbT6_jjT7_P12ihipStream_tbENKUlT_T0_SG_SL_E_clISA_SA_SB_SB_EEDaSZ_S10_SG_SL_EUlSZ_E_NS1_11comp_targetILNS1_3genE2ELNS1_11target_archE906ELNS1_3gpuE6ELNS1_3repE0EEENS1_47radix_sort_onesweep_sort_config_static_selectorELNS0_4arch9wavefront6targetE0EEEvSG_,"axG",@progbits,_ZN7rocprim17ROCPRIM_400000_NS6detail17trampoline_kernelINS0_14default_configENS1_35radix_sort_onesweep_config_selectorItNS0_10empty_typeEEEZZNS1_29radix_sort_onesweep_iterationIS3_Lb0EPKtPtPS5_SB_mNS0_19identity_decomposerENS1_16block_id_wrapperIjLb0EEEEE10hipError_tT1_PNSt15iterator_traitsISG_E10value_typeET2_T3_PNSH_ISM_E10value_typeET4_T5_PSR_SS_PNS1_23onesweep_lookback_stateEbbT6_jjT7_P12ihipStream_tbENKUlT_T0_SG_SL_E_clISA_SA_SB_SB_EEDaSZ_S10_SG_SL_EUlSZ_E_NS1_11comp_targetILNS1_3genE2ELNS1_11target_archE906ELNS1_3gpuE6ELNS1_3repE0EEENS1_47radix_sort_onesweep_sort_config_static_selectorELNS0_4arch9wavefront6targetE0EEEvSG_,comdat
	.protected	_ZN7rocprim17ROCPRIM_400000_NS6detail17trampoline_kernelINS0_14default_configENS1_35radix_sort_onesweep_config_selectorItNS0_10empty_typeEEEZZNS1_29radix_sort_onesweep_iterationIS3_Lb0EPKtPtPS5_SB_mNS0_19identity_decomposerENS1_16block_id_wrapperIjLb0EEEEE10hipError_tT1_PNSt15iterator_traitsISG_E10value_typeET2_T3_PNSH_ISM_E10value_typeET4_T5_PSR_SS_PNS1_23onesweep_lookback_stateEbbT6_jjT7_P12ihipStream_tbENKUlT_T0_SG_SL_E_clISA_SA_SB_SB_EEDaSZ_S10_SG_SL_EUlSZ_E_NS1_11comp_targetILNS1_3genE2ELNS1_11target_archE906ELNS1_3gpuE6ELNS1_3repE0EEENS1_47radix_sort_onesweep_sort_config_static_selectorELNS0_4arch9wavefront6targetE0EEEvSG_ ; -- Begin function _ZN7rocprim17ROCPRIM_400000_NS6detail17trampoline_kernelINS0_14default_configENS1_35radix_sort_onesweep_config_selectorItNS0_10empty_typeEEEZZNS1_29radix_sort_onesweep_iterationIS3_Lb0EPKtPtPS5_SB_mNS0_19identity_decomposerENS1_16block_id_wrapperIjLb0EEEEE10hipError_tT1_PNSt15iterator_traitsISG_E10value_typeET2_T3_PNSH_ISM_E10value_typeET4_T5_PSR_SS_PNS1_23onesweep_lookback_stateEbbT6_jjT7_P12ihipStream_tbENKUlT_T0_SG_SL_E_clISA_SA_SB_SB_EEDaSZ_S10_SG_SL_EUlSZ_E_NS1_11comp_targetILNS1_3genE2ELNS1_11target_archE906ELNS1_3gpuE6ELNS1_3repE0EEENS1_47radix_sort_onesweep_sort_config_static_selectorELNS0_4arch9wavefront6targetE0EEEvSG_
	.globl	_ZN7rocprim17ROCPRIM_400000_NS6detail17trampoline_kernelINS0_14default_configENS1_35radix_sort_onesweep_config_selectorItNS0_10empty_typeEEEZZNS1_29radix_sort_onesweep_iterationIS3_Lb0EPKtPtPS5_SB_mNS0_19identity_decomposerENS1_16block_id_wrapperIjLb0EEEEE10hipError_tT1_PNSt15iterator_traitsISG_E10value_typeET2_T3_PNSH_ISM_E10value_typeET4_T5_PSR_SS_PNS1_23onesweep_lookback_stateEbbT6_jjT7_P12ihipStream_tbENKUlT_T0_SG_SL_E_clISA_SA_SB_SB_EEDaSZ_S10_SG_SL_EUlSZ_E_NS1_11comp_targetILNS1_3genE2ELNS1_11target_archE906ELNS1_3gpuE6ELNS1_3repE0EEENS1_47radix_sort_onesweep_sort_config_static_selectorELNS0_4arch9wavefront6targetE0EEEvSG_
	.p2align	8
	.type	_ZN7rocprim17ROCPRIM_400000_NS6detail17trampoline_kernelINS0_14default_configENS1_35radix_sort_onesweep_config_selectorItNS0_10empty_typeEEEZZNS1_29radix_sort_onesweep_iterationIS3_Lb0EPKtPtPS5_SB_mNS0_19identity_decomposerENS1_16block_id_wrapperIjLb0EEEEE10hipError_tT1_PNSt15iterator_traitsISG_E10value_typeET2_T3_PNSH_ISM_E10value_typeET4_T5_PSR_SS_PNS1_23onesweep_lookback_stateEbbT6_jjT7_P12ihipStream_tbENKUlT_T0_SG_SL_E_clISA_SA_SB_SB_EEDaSZ_S10_SG_SL_EUlSZ_E_NS1_11comp_targetILNS1_3genE2ELNS1_11target_archE906ELNS1_3gpuE6ELNS1_3repE0EEENS1_47radix_sort_onesweep_sort_config_static_selectorELNS0_4arch9wavefront6targetE0EEEvSG_,@function
_ZN7rocprim17ROCPRIM_400000_NS6detail17trampoline_kernelINS0_14default_configENS1_35radix_sort_onesweep_config_selectorItNS0_10empty_typeEEEZZNS1_29radix_sort_onesweep_iterationIS3_Lb0EPKtPtPS5_SB_mNS0_19identity_decomposerENS1_16block_id_wrapperIjLb0EEEEE10hipError_tT1_PNSt15iterator_traitsISG_E10value_typeET2_T3_PNSH_ISM_E10value_typeET4_T5_PSR_SS_PNS1_23onesweep_lookback_stateEbbT6_jjT7_P12ihipStream_tbENKUlT_T0_SG_SL_E_clISA_SA_SB_SB_EEDaSZ_S10_SG_SL_EUlSZ_E_NS1_11comp_targetILNS1_3genE2ELNS1_11target_archE906ELNS1_3gpuE6ELNS1_3repE0EEENS1_47radix_sort_onesweep_sort_config_static_selectorELNS0_4arch9wavefront6targetE0EEEvSG_: ; @_ZN7rocprim17ROCPRIM_400000_NS6detail17trampoline_kernelINS0_14default_configENS1_35radix_sort_onesweep_config_selectorItNS0_10empty_typeEEEZZNS1_29radix_sort_onesweep_iterationIS3_Lb0EPKtPtPS5_SB_mNS0_19identity_decomposerENS1_16block_id_wrapperIjLb0EEEEE10hipError_tT1_PNSt15iterator_traitsISG_E10value_typeET2_T3_PNSH_ISM_E10value_typeET4_T5_PSR_SS_PNS1_23onesweep_lookback_stateEbbT6_jjT7_P12ihipStream_tbENKUlT_T0_SG_SL_E_clISA_SA_SB_SB_EEDaSZ_S10_SG_SL_EUlSZ_E_NS1_11comp_targetILNS1_3genE2ELNS1_11target_archE906ELNS1_3gpuE6ELNS1_3repE0EEENS1_47radix_sort_onesweep_sort_config_static_selectorELNS0_4arch9wavefront6targetE0EEEvSG_
; %bb.0:
	.section	.rodata,"a",@progbits
	.p2align	6, 0x0
	.amdhsa_kernel _ZN7rocprim17ROCPRIM_400000_NS6detail17trampoline_kernelINS0_14default_configENS1_35radix_sort_onesweep_config_selectorItNS0_10empty_typeEEEZZNS1_29radix_sort_onesweep_iterationIS3_Lb0EPKtPtPS5_SB_mNS0_19identity_decomposerENS1_16block_id_wrapperIjLb0EEEEE10hipError_tT1_PNSt15iterator_traitsISG_E10value_typeET2_T3_PNSH_ISM_E10value_typeET4_T5_PSR_SS_PNS1_23onesweep_lookback_stateEbbT6_jjT7_P12ihipStream_tbENKUlT_T0_SG_SL_E_clISA_SA_SB_SB_EEDaSZ_S10_SG_SL_EUlSZ_E_NS1_11comp_targetILNS1_3genE2ELNS1_11target_archE906ELNS1_3gpuE6ELNS1_3repE0EEENS1_47radix_sort_onesweep_sort_config_static_selectorELNS0_4arch9wavefront6targetE0EEEvSG_
		.amdhsa_group_segment_fixed_size 0
		.amdhsa_private_segment_fixed_size 0
		.amdhsa_kernarg_size 88
		.amdhsa_user_sgpr_count 2
		.amdhsa_user_sgpr_dispatch_ptr 0
		.amdhsa_user_sgpr_queue_ptr 0
		.amdhsa_user_sgpr_kernarg_segment_ptr 1
		.amdhsa_user_sgpr_dispatch_id 0
		.amdhsa_user_sgpr_kernarg_preload_length 0
		.amdhsa_user_sgpr_kernarg_preload_offset 0
		.amdhsa_user_sgpr_private_segment_size 0
		.amdhsa_wavefront_size32 1
		.amdhsa_uses_dynamic_stack 0
		.amdhsa_enable_private_segment 0
		.amdhsa_system_sgpr_workgroup_id_x 1
		.amdhsa_system_sgpr_workgroup_id_y 0
		.amdhsa_system_sgpr_workgroup_id_z 0
		.amdhsa_system_sgpr_workgroup_info 0
		.amdhsa_system_vgpr_workitem_id 0
		.amdhsa_next_free_vgpr 1
		.amdhsa_next_free_sgpr 1
		.amdhsa_named_barrier_count 0
		.amdhsa_reserve_vcc 0
		.amdhsa_float_round_mode_32 0
		.amdhsa_float_round_mode_16_64 0
		.amdhsa_float_denorm_mode_32 3
		.amdhsa_float_denorm_mode_16_64 3
		.amdhsa_fp16_overflow 0
		.amdhsa_memory_ordered 1
		.amdhsa_forward_progress 1
		.amdhsa_inst_pref_size 0
		.amdhsa_round_robin_scheduling 0
		.amdhsa_exception_fp_ieee_invalid_op 0
		.amdhsa_exception_fp_denorm_src 0
		.amdhsa_exception_fp_ieee_div_zero 0
		.amdhsa_exception_fp_ieee_overflow 0
		.amdhsa_exception_fp_ieee_underflow 0
		.amdhsa_exception_fp_ieee_inexact 0
		.amdhsa_exception_int_div_zero 0
	.end_amdhsa_kernel
	.section	.text._ZN7rocprim17ROCPRIM_400000_NS6detail17trampoline_kernelINS0_14default_configENS1_35radix_sort_onesweep_config_selectorItNS0_10empty_typeEEEZZNS1_29radix_sort_onesweep_iterationIS3_Lb0EPKtPtPS5_SB_mNS0_19identity_decomposerENS1_16block_id_wrapperIjLb0EEEEE10hipError_tT1_PNSt15iterator_traitsISG_E10value_typeET2_T3_PNSH_ISM_E10value_typeET4_T5_PSR_SS_PNS1_23onesweep_lookback_stateEbbT6_jjT7_P12ihipStream_tbENKUlT_T0_SG_SL_E_clISA_SA_SB_SB_EEDaSZ_S10_SG_SL_EUlSZ_E_NS1_11comp_targetILNS1_3genE2ELNS1_11target_archE906ELNS1_3gpuE6ELNS1_3repE0EEENS1_47radix_sort_onesweep_sort_config_static_selectorELNS0_4arch9wavefront6targetE0EEEvSG_,"axG",@progbits,_ZN7rocprim17ROCPRIM_400000_NS6detail17trampoline_kernelINS0_14default_configENS1_35radix_sort_onesweep_config_selectorItNS0_10empty_typeEEEZZNS1_29radix_sort_onesweep_iterationIS3_Lb0EPKtPtPS5_SB_mNS0_19identity_decomposerENS1_16block_id_wrapperIjLb0EEEEE10hipError_tT1_PNSt15iterator_traitsISG_E10value_typeET2_T3_PNSH_ISM_E10value_typeET4_T5_PSR_SS_PNS1_23onesweep_lookback_stateEbbT6_jjT7_P12ihipStream_tbENKUlT_T0_SG_SL_E_clISA_SA_SB_SB_EEDaSZ_S10_SG_SL_EUlSZ_E_NS1_11comp_targetILNS1_3genE2ELNS1_11target_archE906ELNS1_3gpuE6ELNS1_3repE0EEENS1_47radix_sort_onesweep_sort_config_static_selectorELNS0_4arch9wavefront6targetE0EEEvSG_,comdat
.Lfunc_end2527:
	.size	_ZN7rocprim17ROCPRIM_400000_NS6detail17trampoline_kernelINS0_14default_configENS1_35radix_sort_onesweep_config_selectorItNS0_10empty_typeEEEZZNS1_29radix_sort_onesweep_iterationIS3_Lb0EPKtPtPS5_SB_mNS0_19identity_decomposerENS1_16block_id_wrapperIjLb0EEEEE10hipError_tT1_PNSt15iterator_traitsISG_E10value_typeET2_T3_PNSH_ISM_E10value_typeET4_T5_PSR_SS_PNS1_23onesweep_lookback_stateEbbT6_jjT7_P12ihipStream_tbENKUlT_T0_SG_SL_E_clISA_SA_SB_SB_EEDaSZ_S10_SG_SL_EUlSZ_E_NS1_11comp_targetILNS1_3genE2ELNS1_11target_archE906ELNS1_3gpuE6ELNS1_3repE0EEENS1_47radix_sort_onesweep_sort_config_static_selectorELNS0_4arch9wavefront6targetE0EEEvSG_, .Lfunc_end2527-_ZN7rocprim17ROCPRIM_400000_NS6detail17trampoline_kernelINS0_14default_configENS1_35radix_sort_onesweep_config_selectorItNS0_10empty_typeEEEZZNS1_29radix_sort_onesweep_iterationIS3_Lb0EPKtPtPS5_SB_mNS0_19identity_decomposerENS1_16block_id_wrapperIjLb0EEEEE10hipError_tT1_PNSt15iterator_traitsISG_E10value_typeET2_T3_PNSH_ISM_E10value_typeET4_T5_PSR_SS_PNS1_23onesweep_lookback_stateEbbT6_jjT7_P12ihipStream_tbENKUlT_T0_SG_SL_E_clISA_SA_SB_SB_EEDaSZ_S10_SG_SL_EUlSZ_E_NS1_11comp_targetILNS1_3genE2ELNS1_11target_archE906ELNS1_3gpuE6ELNS1_3repE0EEENS1_47radix_sort_onesweep_sort_config_static_selectorELNS0_4arch9wavefront6targetE0EEEvSG_
                                        ; -- End function
	.set _ZN7rocprim17ROCPRIM_400000_NS6detail17trampoline_kernelINS0_14default_configENS1_35radix_sort_onesweep_config_selectorItNS0_10empty_typeEEEZZNS1_29radix_sort_onesweep_iterationIS3_Lb0EPKtPtPS5_SB_mNS0_19identity_decomposerENS1_16block_id_wrapperIjLb0EEEEE10hipError_tT1_PNSt15iterator_traitsISG_E10value_typeET2_T3_PNSH_ISM_E10value_typeET4_T5_PSR_SS_PNS1_23onesweep_lookback_stateEbbT6_jjT7_P12ihipStream_tbENKUlT_T0_SG_SL_E_clISA_SA_SB_SB_EEDaSZ_S10_SG_SL_EUlSZ_E_NS1_11comp_targetILNS1_3genE2ELNS1_11target_archE906ELNS1_3gpuE6ELNS1_3repE0EEENS1_47radix_sort_onesweep_sort_config_static_selectorELNS0_4arch9wavefront6targetE0EEEvSG_.num_vgpr, 0
	.set _ZN7rocprim17ROCPRIM_400000_NS6detail17trampoline_kernelINS0_14default_configENS1_35radix_sort_onesweep_config_selectorItNS0_10empty_typeEEEZZNS1_29radix_sort_onesweep_iterationIS3_Lb0EPKtPtPS5_SB_mNS0_19identity_decomposerENS1_16block_id_wrapperIjLb0EEEEE10hipError_tT1_PNSt15iterator_traitsISG_E10value_typeET2_T3_PNSH_ISM_E10value_typeET4_T5_PSR_SS_PNS1_23onesweep_lookback_stateEbbT6_jjT7_P12ihipStream_tbENKUlT_T0_SG_SL_E_clISA_SA_SB_SB_EEDaSZ_S10_SG_SL_EUlSZ_E_NS1_11comp_targetILNS1_3genE2ELNS1_11target_archE906ELNS1_3gpuE6ELNS1_3repE0EEENS1_47radix_sort_onesweep_sort_config_static_selectorELNS0_4arch9wavefront6targetE0EEEvSG_.num_agpr, 0
	.set _ZN7rocprim17ROCPRIM_400000_NS6detail17trampoline_kernelINS0_14default_configENS1_35radix_sort_onesweep_config_selectorItNS0_10empty_typeEEEZZNS1_29radix_sort_onesweep_iterationIS3_Lb0EPKtPtPS5_SB_mNS0_19identity_decomposerENS1_16block_id_wrapperIjLb0EEEEE10hipError_tT1_PNSt15iterator_traitsISG_E10value_typeET2_T3_PNSH_ISM_E10value_typeET4_T5_PSR_SS_PNS1_23onesweep_lookback_stateEbbT6_jjT7_P12ihipStream_tbENKUlT_T0_SG_SL_E_clISA_SA_SB_SB_EEDaSZ_S10_SG_SL_EUlSZ_E_NS1_11comp_targetILNS1_3genE2ELNS1_11target_archE906ELNS1_3gpuE6ELNS1_3repE0EEENS1_47radix_sort_onesweep_sort_config_static_selectorELNS0_4arch9wavefront6targetE0EEEvSG_.numbered_sgpr, 0
	.set _ZN7rocprim17ROCPRIM_400000_NS6detail17trampoline_kernelINS0_14default_configENS1_35radix_sort_onesweep_config_selectorItNS0_10empty_typeEEEZZNS1_29radix_sort_onesweep_iterationIS3_Lb0EPKtPtPS5_SB_mNS0_19identity_decomposerENS1_16block_id_wrapperIjLb0EEEEE10hipError_tT1_PNSt15iterator_traitsISG_E10value_typeET2_T3_PNSH_ISM_E10value_typeET4_T5_PSR_SS_PNS1_23onesweep_lookback_stateEbbT6_jjT7_P12ihipStream_tbENKUlT_T0_SG_SL_E_clISA_SA_SB_SB_EEDaSZ_S10_SG_SL_EUlSZ_E_NS1_11comp_targetILNS1_3genE2ELNS1_11target_archE906ELNS1_3gpuE6ELNS1_3repE0EEENS1_47radix_sort_onesweep_sort_config_static_selectorELNS0_4arch9wavefront6targetE0EEEvSG_.num_named_barrier, 0
	.set _ZN7rocprim17ROCPRIM_400000_NS6detail17trampoline_kernelINS0_14default_configENS1_35radix_sort_onesweep_config_selectorItNS0_10empty_typeEEEZZNS1_29radix_sort_onesweep_iterationIS3_Lb0EPKtPtPS5_SB_mNS0_19identity_decomposerENS1_16block_id_wrapperIjLb0EEEEE10hipError_tT1_PNSt15iterator_traitsISG_E10value_typeET2_T3_PNSH_ISM_E10value_typeET4_T5_PSR_SS_PNS1_23onesweep_lookback_stateEbbT6_jjT7_P12ihipStream_tbENKUlT_T0_SG_SL_E_clISA_SA_SB_SB_EEDaSZ_S10_SG_SL_EUlSZ_E_NS1_11comp_targetILNS1_3genE2ELNS1_11target_archE906ELNS1_3gpuE6ELNS1_3repE0EEENS1_47radix_sort_onesweep_sort_config_static_selectorELNS0_4arch9wavefront6targetE0EEEvSG_.private_seg_size, 0
	.set _ZN7rocprim17ROCPRIM_400000_NS6detail17trampoline_kernelINS0_14default_configENS1_35radix_sort_onesweep_config_selectorItNS0_10empty_typeEEEZZNS1_29radix_sort_onesweep_iterationIS3_Lb0EPKtPtPS5_SB_mNS0_19identity_decomposerENS1_16block_id_wrapperIjLb0EEEEE10hipError_tT1_PNSt15iterator_traitsISG_E10value_typeET2_T3_PNSH_ISM_E10value_typeET4_T5_PSR_SS_PNS1_23onesweep_lookback_stateEbbT6_jjT7_P12ihipStream_tbENKUlT_T0_SG_SL_E_clISA_SA_SB_SB_EEDaSZ_S10_SG_SL_EUlSZ_E_NS1_11comp_targetILNS1_3genE2ELNS1_11target_archE906ELNS1_3gpuE6ELNS1_3repE0EEENS1_47radix_sort_onesweep_sort_config_static_selectorELNS0_4arch9wavefront6targetE0EEEvSG_.uses_vcc, 0
	.set _ZN7rocprim17ROCPRIM_400000_NS6detail17trampoline_kernelINS0_14default_configENS1_35radix_sort_onesweep_config_selectorItNS0_10empty_typeEEEZZNS1_29radix_sort_onesweep_iterationIS3_Lb0EPKtPtPS5_SB_mNS0_19identity_decomposerENS1_16block_id_wrapperIjLb0EEEEE10hipError_tT1_PNSt15iterator_traitsISG_E10value_typeET2_T3_PNSH_ISM_E10value_typeET4_T5_PSR_SS_PNS1_23onesweep_lookback_stateEbbT6_jjT7_P12ihipStream_tbENKUlT_T0_SG_SL_E_clISA_SA_SB_SB_EEDaSZ_S10_SG_SL_EUlSZ_E_NS1_11comp_targetILNS1_3genE2ELNS1_11target_archE906ELNS1_3gpuE6ELNS1_3repE0EEENS1_47radix_sort_onesweep_sort_config_static_selectorELNS0_4arch9wavefront6targetE0EEEvSG_.uses_flat_scratch, 0
	.set _ZN7rocprim17ROCPRIM_400000_NS6detail17trampoline_kernelINS0_14default_configENS1_35radix_sort_onesweep_config_selectorItNS0_10empty_typeEEEZZNS1_29radix_sort_onesweep_iterationIS3_Lb0EPKtPtPS5_SB_mNS0_19identity_decomposerENS1_16block_id_wrapperIjLb0EEEEE10hipError_tT1_PNSt15iterator_traitsISG_E10value_typeET2_T3_PNSH_ISM_E10value_typeET4_T5_PSR_SS_PNS1_23onesweep_lookback_stateEbbT6_jjT7_P12ihipStream_tbENKUlT_T0_SG_SL_E_clISA_SA_SB_SB_EEDaSZ_S10_SG_SL_EUlSZ_E_NS1_11comp_targetILNS1_3genE2ELNS1_11target_archE906ELNS1_3gpuE6ELNS1_3repE0EEENS1_47radix_sort_onesweep_sort_config_static_selectorELNS0_4arch9wavefront6targetE0EEEvSG_.has_dyn_sized_stack, 0
	.set _ZN7rocprim17ROCPRIM_400000_NS6detail17trampoline_kernelINS0_14default_configENS1_35radix_sort_onesweep_config_selectorItNS0_10empty_typeEEEZZNS1_29radix_sort_onesweep_iterationIS3_Lb0EPKtPtPS5_SB_mNS0_19identity_decomposerENS1_16block_id_wrapperIjLb0EEEEE10hipError_tT1_PNSt15iterator_traitsISG_E10value_typeET2_T3_PNSH_ISM_E10value_typeET4_T5_PSR_SS_PNS1_23onesweep_lookback_stateEbbT6_jjT7_P12ihipStream_tbENKUlT_T0_SG_SL_E_clISA_SA_SB_SB_EEDaSZ_S10_SG_SL_EUlSZ_E_NS1_11comp_targetILNS1_3genE2ELNS1_11target_archE906ELNS1_3gpuE6ELNS1_3repE0EEENS1_47radix_sort_onesweep_sort_config_static_selectorELNS0_4arch9wavefront6targetE0EEEvSG_.has_recursion, 0
	.set _ZN7rocprim17ROCPRIM_400000_NS6detail17trampoline_kernelINS0_14default_configENS1_35radix_sort_onesweep_config_selectorItNS0_10empty_typeEEEZZNS1_29radix_sort_onesweep_iterationIS3_Lb0EPKtPtPS5_SB_mNS0_19identity_decomposerENS1_16block_id_wrapperIjLb0EEEEE10hipError_tT1_PNSt15iterator_traitsISG_E10value_typeET2_T3_PNSH_ISM_E10value_typeET4_T5_PSR_SS_PNS1_23onesweep_lookback_stateEbbT6_jjT7_P12ihipStream_tbENKUlT_T0_SG_SL_E_clISA_SA_SB_SB_EEDaSZ_S10_SG_SL_EUlSZ_E_NS1_11comp_targetILNS1_3genE2ELNS1_11target_archE906ELNS1_3gpuE6ELNS1_3repE0EEENS1_47radix_sort_onesweep_sort_config_static_selectorELNS0_4arch9wavefront6targetE0EEEvSG_.has_indirect_call, 0
	.section	.AMDGPU.csdata,"",@progbits
; Kernel info:
; codeLenInByte = 0
; TotalNumSgprs: 0
; NumVgprs: 0
; ScratchSize: 0
; MemoryBound: 0
; FloatMode: 240
; IeeeMode: 1
; LDSByteSize: 0 bytes/workgroup (compile time only)
; SGPRBlocks: 0
; VGPRBlocks: 0
; NumSGPRsForWavesPerEU: 1
; NumVGPRsForWavesPerEU: 1
; NamedBarCnt: 0
; Occupancy: 16
; WaveLimiterHint : 0
; COMPUTE_PGM_RSRC2:SCRATCH_EN: 0
; COMPUTE_PGM_RSRC2:USER_SGPR: 2
; COMPUTE_PGM_RSRC2:TRAP_HANDLER: 0
; COMPUTE_PGM_RSRC2:TGID_X_EN: 1
; COMPUTE_PGM_RSRC2:TGID_Y_EN: 0
; COMPUTE_PGM_RSRC2:TGID_Z_EN: 0
; COMPUTE_PGM_RSRC2:TIDIG_COMP_CNT: 0
	.section	.text._ZN7rocprim17ROCPRIM_400000_NS6detail17trampoline_kernelINS0_14default_configENS1_35radix_sort_onesweep_config_selectorItNS0_10empty_typeEEEZZNS1_29radix_sort_onesweep_iterationIS3_Lb0EPKtPtPS5_SB_mNS0_19identity_decomposerENS1_16block_id_wrapperIjLb0EEEEE10hipError_tT1_PNSt15iterator_traitsISG_E10value_typeET2_T3_PNSH_ISM_E10value_typeET4_T5_PSR_SS_PNS1_23onesweep_lookback_stateEbbT6_jjT7_P12ihipStream_tbENKUlT_T0_SG_SL_E_clISA_SA_SB_SB_EEDaSZ_S10_SG_SL_EUlSZ_E_NS1_11comp_targetILNS1_3genE4ELNS1_11target_archE910ELNS1_3gpuE8ELNS1_3repE0EEENS1_47radix_sort_onesweep_sort_config_static_selectorELNS0_4arch9wavefront6targetE0EEEvSG_,"axG",@progbits,_ZN7rocprim17ROCPRIM_400000_NS6detail17trampoline_kernelINS0_14default_configENS1_35radix_sort_onesweep_config_selectorItNS0_10empty_typeEEEZZNS1_29radix_sort_onesweep_iterationIS3_Lb0EPKtPtPS5_SB_mNS0_19identity_decomposerENS1_16block_id_wrapperIjLb0EEEEE10hipError_tT1_PNSt15iterator_traitsISG_E10value_typeET2_T3_PNSH_ISM_E10value_typeET4_T5_PSR_SS_PNS1_23onesweep_lookback_stateEbbT6_jjT7_P12ihipStream_tbENKUlT_T0_SG_SL_E_clISA_SA_SB_SB_EEDaSZ_S10_SG_SL_EUlSZ_E_NS1_11comp_targetILNS1_3genE4ELNS1_11target_archE910ELNS1_3gpuE8ELNS1_3repE0EEENS1_47radix_sort_onesweep_sort_config_static_selectorELNS0_4arch9wavefront6targetE0EEEvSG_,comdat
	.protected	_ZN7rocprim17ROCPRIM_400000_NS6detail17trampoline_kernelINS0_14default_configENS1_35radix_sort_onesweep_config_selectorItNS0_10empty_typeEEEZZNS1_29radix_sort_onesweep_iterationIS3_Lb0EPKtPtPS5_SB_mNS0_19identity_decomposerENS1_16block_id_wrapperIjLb0EEEEE10hipError_tT1_PNSt15iterator_traitsISG_E10value_typeET2_T3_PNSH_ISM_E10value_typeET4_T5_PSR_SS_PNS1_23onesweep_lookback_stateEbbT6_jjT7_P12ihipStream_tbENKUlT_T0_SG_SL_E_clISA_SA_SB_SB_EEDaSZ_S10_SG_SL_EUlSZ_E_NS1_11comp_targetILNS1_3genE4ELNS1_11target_archE910ELNS1_3gpuE8ELNS1_3repE0EEENS1_47radix_sort_onesweep_sort_config_static_selectorELNS0_4arch9wavefront6targetE0EEEvSG_ ; -- Begin function _ZN7rocprim17ROCPRIM_400000_NS6detail17trampoline_kernelINS0_14default_configENS1_35radix_sort_onesweep_config_selectorItNS0_10empty_typeEEEZZNS1_29radix_sort_onesweep_iterationIS3_Lb0EPKtPtPS5_SB_mNS0_19identity_decomposerENS1_16block_id_wrapperIjLb0EEEEE10hipError_tT1_PNSt15iterator_traitsISG_E10value_typeET2_T3_PNSH_ISM_E10value_typeET4_T5_PSR_SS_PNS1_23onesweep_lookback_stateEbbT6_jjT7_P12ihipStream_tbENKUlT_T0_SG_SL_E_clISA_SA_SB_SB_EEDaSZ_S10_SG_SL_EUlSZ_E_NS1_11comp_targetILNS1_3genE4ELNS1_11target_archE910ELNS1_3gpuE8ELNS1_3repE0EEENS1_47radix_sort_onesweep_sort_config_static_selectorELNS0_4arch9wavefront6targetE0EEEvSG_
	.globl	_ZN7rocprim17ROCPRIM_400000_NS6detail17trampoline_kernelINS0_14default_configENS1_35radix_sort_onesweep_config_selectorItNS0_10empty_typeEEEZZNS1_29radix_sort_onesweep_iterationIS3_Lb0EPKtPtPS5_SB_mNS0_19identity_decomposerENS1_16block_id_wrapperIjLb0EEEEE10hipError_tT1_PNSt15iterator_traitsISG_E10value_typeET2_T3_PNSH_ISM_E10value_typeET4_T5_PSR_SS_PNS1_23onesweep_lookback_stateEbbT6_jjT7_P12ihipStream_tbENKUlT_T0_SG_SL_E_clISA_SA_SB_SB_EEDaSZ_S10_SG_SL_EUlSZ_E_NS1_11comp_targetILNS1_3genE4ELNS1_11target_archE910ELNS1_3gpuE8ELNS1_3repE0EEENS1_47radix_sort_onesweep_sort_config_static_selectorELNS0_4arch9wavefront6targetE0EEEvSG_
	.p2align	8
	.type	_ZN7rocprim17ROCPRIM_400000_NS6detail17trampoline_kernelINS0_14default_configENS1_35radix_sort_onesweep_config_selectorItNS0_10empty_typeEEEZZNS1_29radix_sort_onesweep_iterationIS3_Lb0EPKtPtPS5_SB_mNS0_19identity_decomposerENS1_16block_id_wrapperIjLb0EEEEE10hipError_tT1_PNSt15iterator_traitsISG_E10value_typeET2_T3_PNSH_ISM_E10value_typeET4_T5_PSR_SS_PNS1_23onesweep_lookback_stateEbbT6_jjT7_P12ihipStream_tbENKUlT_T0_SG_SL_E_clISA_SA_SB_SB_EEDaSZ_S10_SG_SL_EUlSZ_E_NS1_11comp_targetILNS1_3genE4ELNS1_11target_archE910ELNS1_3gpuE8ELNS1_3repE0EEENS1_47radix_sort_onesweep_sort_config_static_selectorELNS0_4arch9wavefront6targetE0EEEvSG_,@function
_ZN7rocprim17ROCPRIM_400000_NS6detail17trampoline_kernelINS0_14default_configENS1_35radix_sort_onesweep_config_selectorItNS0_10empty_typeEEEZZNS1_29radix_sort_onesweep_iterationIS3_Lb0EPKtPtPS5_SB_mNS0_19identity_decomposerENS1_16block_id_wrapperIjLb0EEEEE10hipError_tT1_PNSt15iterator_traitsISG_E10value_typeET2_T3_PNSH_ISM_E10value_typeET4_T5_PSR_SS_PNS1_23onesweep_lookback_stateEbbT6_jjT7_P12ihipStream_tbENKUlT_T0_SG_SL_E_clISA_SA_SB_SB_EEDaSZ_S10_SG_SL_EUlSZ_E_NS1_11comp_targetILNS1_3genE4ELNS1_11target_archE910ELNS1_3gpuE8ELNS1_3repE0EEENS1_47radix_sort_onesweep_sort_config_static_selectorELNS0_4arch9wavefront6targetE0EEEvSG_: ; @_ZN7rocprim17ROCPRIM_400000_NS6detail17trampoline_kernelINS0_14default_configENS1_35radix_sort_onesweep_config_selectorItNS0_10empty_typeEEEZZNS1_29radix_sort_onesweep_iterationIS3_Lb0EPKtPtPS5_SB_mNS0_19identity_decomposerENS1_16block_id_wrapperIjLb0EEEEE10hipError_tT1_PNSt15iterator_traitsISG_E10value_typeET2_T3_PNSH_ISM_E10value_typeET4_T5_PSR_SS_PNS1_23onesweep_lookback_stateEbbT6_jjT7_P12ihipStream_tbENKUlT_T0_SG_SL_E_clISA_SA_SB_SB_EEDaSZ_S10_SG_SL_EUlSZ_E_NS1_11comp_targetILNS1_3genE4ELNS1_11target_archE910ELNS1_3gpuE8ELNS1_3repE0EEENS1_47radix_sort_onesweep_sort_config_static_selectorELNS0_4arch9wavefront6targetE0EEEvSG_
; %bb.0:
	.section	.rodata,"a",@progbits
	.p2align	6, 0x0
	.amdhsa_kernel _ZN7rocprim17ROCPRIM_400000_NS6detail17trampoline_kernelINS0_14default_configENS1_35radix_sort_onesweep_config_selectorItNS0_10empty_typeEEEZZNS1_29radix_sort_onesweep_iterationIS3_Lb0EPKtPtPS5_SB_mNS0_19identity_decomposerENS1_16block_id_wrapperIjLb0EEEEE10hipError_tT1_PNSt15iterator_traitsISG_E10value_typeET2_T3_PNSH_ISM_E10value_typeET4_T5_PSR_SS_PNS1_23onesweep_lookback_stateEbbT6_jjT7_P12ihipStream_tbENKUlT_T0_SG_SL_E_clISA_SA_SB_SB_EEDaSZ_S10_SG_SL_EUlSZ_E_NS1_11comp_targetILNS1_3genE4ELNS1_11target_archE910ELNS1_3gpuE8ELNS1_3repE0EEENS1_47radix_sort_onesweep_sort_config_static_selectorELNS0_4arch9wavefront6targetE0EEEvSG_
		.amdhsa_group_segment_fixed_size 0
		.amdhsa_private_segment_fixed_size 0
		.amdhsa_kernarg_size 88
		.amdhsa_user_sgpr_count 2
		.amdhsa_user_sgpr_dispatch_ptr 0
		.amdhsa_user_sgpr_queue_ptr 0
		.amdhsa_user_sgpr_kernarg_segment_ptr 1
		.amdhsa_user_sgpr_dispatch_id 0
		.amdhsa_user_sgpr_kernarg_preload_length 0
		.amdhsa_user_sgpr_kernarg_preload_offset 0
		.amdhsa_user_sgpr_private_segment_size 0
		.amdhsa_wavefront_size32 1
		.amdhsa_uses_dynamic_stack 0
		.amdhsa_enable_private_segment 0
		.amdhsa_system_sgpr_workgroup_id_x 1
		.amdhsa_system_sgpr_workgroup_id_y 0
		.amdhsa_system_sgpr_workgroup_id_z 0
		.amdhsa_system_sgpr_workgroup_info 0
		.amdhsa_system_vgpr_workitem_id 0
		.amdhsa_next_free_vgpr 1
		.amdhsa_next_free_sgpr 1
		.amdhsa_named_barrier_count 0
		.amdhsa_reserve_vcc 0
		.amdhsa_float_round_mode_32 0
		.amdhsa_float_round_mode_16_64 0
		.amdhsa_float_denorm_mode_32 3
		.amdhsa_float_denorm_mode_16_64 3
		.amdhsa_fp16_overflow 0
		.amdhsa_memory_ordered 1
		.amdhsa_forward_progress 1
		.amdhsa_inst_pref_size 0
		.amdhsa_round_robin_scheduling 0
		.amdhsa_exception_fp_ieee_invalid_op 0
		.amdhsa_exception_fp_denorm_src 0
		.amdhsa_exception_fp_ieee_div_zero 0
		.amdhsa_exception_fp_ieee_overflow 0
		.amdhsa_exception_fp_ieee_underflow 0
		.amdhsa_exception_fp_ieee_inexact 0
		.amdhsa_exception_int_div_zero 0
	.end_amdhsa_kernel
	.section	.text._ZN7rocprim17ROCPRIM_400000_NS6detail17trampoline_kernelINS0_14default_configENS1_35radix_sort_onesweep_config_selectorItNS0_10empty_typeEEEZZNS1_29radix_sort_onesweep_iterationIS3_Lb0EPKtPtPS5_SB_mNS0_19identity_decomposerENS1_16block_id_wrapperIjLb0EEEEE10hipError_tT1_PNSt15iterator_traitsISG_E10value_typeET2_T3_PNSH_ISM_E10value_typeET4_T5_PSR_SS_PNS1_23onesweep_lookback_stateEbbT6_jjT7_P12ihipStream_tbENKUlT_T0_SG_SL_E_clISA_SA_SB_SB_EEDaSZ_S10_SG_SL_EUlSZ_E_NS1_11comp_targetILNS1_3genE4ELNS1_11target_archE910ELNS1_3gpuE8ELNS1_3repE0EEENS1_47radix_sort_onesweep_sort_config_static_selectorELNS0_4arch9wavefront6targetE0EEEvSG_,"axG",@progbits,_ZN7rocprim17ROCPRIM_400000_NS6detail17trampoline_kernelINS0_14default_configENS1_35radix_sort_onesweep_config_selectorItNS0_10empty_typeEEEZZNS1_29radix_sort_onesweep_iterationIS3_Lb0EPKtPtPS5_SB_mNS0_19identity_decomposerENS1_16block_id_wrapperIjLb0EEEEE10hipError_tT1_PNSt15iterator_traitsISG_E10value_typeET2_T3_PNSH_ISM_E10value_typeET4_T5_PSR_SS_PNS1_23onesweep_lookback_stateEbbT6_jjT7_P12ihipStream_tbENKUlT_T0_SG_SL_E_clISA_SA_SB_SB_EEDaSZ_S10_SG_SL_EUlSZ_E_NS1_11comp_targetILNS1_3genE4ELNS1_11target_archE910ELNS1_3gpuE8ELNS1_3repE0EEENS1_47radix_sort_onesweep_sort_config_static_selectorELNS0_4arch9wavefront6targetE0EEEvSG_,comdat
.Lfunc_end2528:
	.size	_ZN7rocprim17ROCPRIM_400000_NS6detail17trampoline_kernelINS0_14default_configENS1_35radix_sort_onesweep_config_selectorItNS0_10empty_typeEEEZZNS1_29radix_sort_onesweep_iterationIS3_Lb0EPKtPtPS5_SB_mNS0_19identity_decomposerENS1_16block_id_wrapperIjLb0EEEEE10hipError_tT1_PNSt15iterator_traitsISG_E10value_typeET2_T3_PNSH_ISM_E10value_typeET4_T5_PSR_SS_PNS1_23onesweep_lookback_stateEbbT6_jjT7_P12ihipStream_tbENKUlT_T0_SG_SL_E_clISA_SA_SB_SB_EEDaSZ_S10_SG_SL_EUlSZ_E_NS1_11comp_targetILNS1_3genE4ELNS1_11target_archE910ELNS1_3gpuE8ELNS1_3repE0EEENS1_47radix_sort_onesweep_sort_config_static_selectorELNS0_4arch9wavefront6targetE0EEEvSG_, .Lfunc_end2528-_ZN7rocprim17ROCPRIM_400000_NS6detail17trampoline_kernelINS0_14default_configENS1_35radix_sort_onesweep_config_selectorItNS0_10empty_typeEEEZZNS1_29radix_sort_onesweep_iterationIS3_Lb0EPKtPtPS5_SB_mNS0_19identity_decomposerENS1_16block_id_wrapperIjLb0EEEEE10hipError_tT1_PNSt15iterator_traitsISG_E10value_typeET2_T3_PNSH_ISM_E10value_typeET4_T5_PSR_SS_PNS1_23onesweep_lookback_stateEbbT6_jjT7_P12ihipStream_tbENKUlT_T0_SG_SL_E_clISA_SA_SB_SB_EEDaSZ_S10_SG_SL_EUlSZ_E_NS1_11comp_targetILNS1_3genE4ELNS1_11target_archE910ELNS1_3gpuE8ELNS1_3repE0EEENS1_47radix_sort_onesweep_sort_config_static_selectorELNS0_4arch9wavefront6targetE0EEEvSG_
                                        ; -- End function
	.set _ZN7rocprim17ROCPRIM_400000_NS6detail17trampoline_kernelINS0_14default_configENS1_35radix_sort_onesweep_config_selectorItNS0_10empty_typeEEEZZNS1_29radix_sort_onesweep_iterationIS3_Lb0EPKtPtPS5_SB_mNS0_19identity_decomposerENS1_16block_id_wrapperIjLb0EEEEE10hipError_tT1_PNSt15iterator_traitsISG_E10value_typeET2_T3_PNSH_ISM_E10value_typeET4_T5_PSR_SS_PNS1_23onesweep_lookback_stateEbbT6_jjT7_P12ihipStream_tbENKUlT_T0_SG_SL_E_clISA_SA_SB_SB_EEDaSZ_S10_SG_SL_EUlSZ_E_NS1_11comp_targetILNS1_3genE4ELNS1_11target_archE910ELNS1_3gpuE8ELNS1_3repE0EEENS1_47radix_sort_onesweep_sort_config_static_selectorELNS0_4arch9wavefront6targetE0EEEvSG_.num_vgpr, 0
	.set _ZN7rocprim17ROCPRIM_400000_NS6detail17trampoline_kernelINS0_14default_configENS1_35radix_sort_onesweep_config_selectorItNS0_10empty_typeEEEZZNS1_29radix_sort_onesweep_iterationIS3_Lb0EPKtPtPS5_SB_mNS0_19identity_decomposerENS1_16block_id_wrapperIjLb0EEEEE10hipError_tT1_PNSt15iterator_traitsISG_E10value_typeET2_T3_PNSH_ISM_E10value_typeET4_T5_PSR_SS_PNS1_23onesweep_lookback_stateEbbT6_jjT7_P12ihipStream_tbENKUlT_T0_SG_SL_E_clISA_SA_SB_SB_EEDaSZ_S10_SG_SL_EUlSZ_E_NS1_11comp_targetILNS1_3genE4ELNS1_11target_archE910ELNS1_3gpuE8ELNS1_3repE0EEENS1_47radix_sort_onesweep_sort_config_static_selectorELNS0_4arch9wavefront6targetE0EEEvSG_.num_agpr, 0
	.set _ZN7rocprim17ROCPRIM_400000_NS6detail17trampoline_kernelINS0_14default_configENS1_35radix_sort_onesweep_config_selectorItNS0_10empty_typeEEEZZNS1_29radix_sort_onesweep_iterationIS3_Lb0EPKtPtPS5_SB_mNS0_19identity_decomposerENS1_16block_id_wrapperIjLb0EEEEE10hipError_tT1_PNSt15iterator_traitsISG_E10value_typeET2_T3_PNSH_ISM_E10value_typeET4_T5_PSR_SS_PNS1_23onesweep_lookback_stateEbbT6_jjT7_P12ihipStream_tbENKUlT_T0_SG_SL_E_clISA_SA_SB_SB_EEDaSZ_S10_SG_SL_EUlSZ_E_NS1_11comp_targetILNS1_3genE4ELNS1_11target_archE910ELNS1_3gpuE8ELNS1_3repE0EEENS1_47radix_sort_onesweep_sort_config_static_selectorELNS0_4arch9wavefront6targetE0EEEvSG_.numbered_sgpr, 0
	.set _ZN7rocprim17ROCPRIM_400000_NS6detail17trampoline_kernelINS0_14default_configENS1_35radix_sort_onesweep_config_selectorItNS0_10empty_typeEEEZZNS1_29radix_sort_onesweep_iterationIS3_Lb0EPKtPtPS5_SB_mNS0_19identity_decomposerENS1_16block_id_wrapperIjLb0EEEEE10hipError_tT1_PNSt15iterator_traitsISG_E10value_typeET2_T3_PNSH_ISM_E10value_typeET4_T5_PSR_SS_PNS1_23onesweep_lookback_stateEbbT6_jjT7_P12ihipStream_tbENKUlT_T0_SG_SL_E_clISA_SA_SB_SB_EEDaSZ_S10_SG_SL_EUlSZ_E_NS1_11comp_targetILNS1_3genE4ELNS1_11target_archE910ELNS1_3gpuE8ELNS1_3repE0EEENS1_47radix_sort_onesweep_sort_config_static_selectorELNS0_4arch9wavefront6targetE0EEEvSG_.num_named_barrier, 0
	.set _ZN7rocprim17ROCPRIM_400000_NS6detail17trampoline_kernelINS0_14default_configENS1_35radix_sort_onesweep_config_selectorItNS0_10empty_typeEEEZZNS1_29radix_sort_onesweep_iterationIS3_Lb0EPKtPtPS5_SB_mNS0_19identity_decomposerENS1_16block_id_wrapperIjLb0EEEEE10hipError_tT1_PNSt15iterator_traitsISG_E10value_typeET2_T3_PNSH_ISM_E10value_typeET4_T5_PSR_SS_PNS1_23onesweep_lookback_stateEbbT6_jjT7_P12ihipStream_tbENKUlT_T0_SG_SL_E_clISA_SA_SB_SB_EEDaSZ_S10_SG_SL_EUlSZ_E_NS1_11comp_targetILNS1_3genE4ELNS1_11target_archE910ELNS1_3gpuE8ELNS1_3repE0EEENS1_47radix_sort_onesweep_sort_config_static_selectorELNS0_4arch9wavefront6targetE0EEEvSG_.private_seg_size, 0
	.set _ZN7rocprim17ROCPRIM_400000_NS6detail17trampoline_kernelINS0_14default_configENS1_35radix_sort_onesweep_config_selectorItNS0_10empty_typeEEEZZNS1_29radix_sort_onesweep_iterationIS3_Lb0EPKtPtPS5_SB_mNS0_19identity_decomposerENS1_16block_id_wrapperIjLb0EEEEE10hipError_tT1_PNSt15iterator_traitsISG_E10value_typeET2_T3_PNSH_ISM_E10value_typeET4_T5_PSR_SS_PNS1_23onesweep_lookback_stateEbbT6_jjT7_P12ihipStream_tbENKUlT_T0_SG_SL_E_clISA_SA_SB_SB_EEDaSZ_S10_SG_SL_EUlSZ_E_NS1_11comp_targetILNS1_3genE4ELNS1_11target_archE910ELNS1_3gpuE8ELNS1_3repE0EEENS1_47radix_sort_onesweep_sort_config_static_selectorELNS0_4arch9wavefront6targetE0EEEvSG_.uses_vcc, 0
	.set _ZN7rocprim17ROCPRIM_400000_NS6detail17trampoline_kernelINS0_14default_configENS1_35radix_sort_onesweep_config_selectorItNS0_10empty_typeEEEZZNS1_29radix_sort_onesweep_iterationIS3_Lb0EPKtPtPS5_SB_mNS0_19identity_decomposerENS1_16block_id_wrapperIjLb0EEEEE10hipError_tT1_PNSt15iterator_traitsISG_E10value_typeET2_T3_PNSH_ISM_E10value_typeET4_T5_PSR_SS_PNS1_23onesweep_lookback_stateEbbT6_jjT7_P12ihipStream_tbENKUlT_T0_SG_SL_E_clISA_SA_SB_SB_EEDaSZ_S10_SG_SL_EUlSZ_E_NS1_11comp_targetILNS1_3genE4ELNS1_11target_archE910ELNS1_3gpuE8ELNS1_3repE0EEENS1_47radix_sort_onesweep_sort_config_static_selectorELNS0_4arch9wavefront6targetE0EEEvSG_.uses_flat_scratch, 0
	.set _ZN7rocprim17ROCPRIM_400000_NS6detail17trampoline_kernelINS0_14default_configENS1_35radix_sort_onesweep_config_selectorItNS0_10empty_typeEEEZZNS1_29radix_sort_onesweep_iterationIS3_Lb0EPKtPtPS5_SB_mNS0_19identity_decomposerENS1_16block_id_wrapperIjLb0EEEEE10hipError_tT1_PNSt15iterator_traitsISG_E10value_typeET2_T3_PNSH_ISM_E10value_typeET4_T5_PSR_SS_PNS1_23onesweep_lookback_stateEbbT6_jjT7_P12ihipStream_tbENKUlT_T0_SG_SL_E_clISA_SA_SB_SB_EEDaSZ_S10_SG_SL_EUlSZ_E_NS1_11comp_targetILNS1_3genE4ELNS1_11target_archE910ELNS1_3gpuE8ELNS1_3repE0EEENS1_47radix_sort_onesweep_sort_config_static_selectorELNS0_4arch9wavefront6targetE0EEEvSG_.has_dyn_sized_stack, 0
	.set _ZN7rocprim17ROCPRIM_400000_NS6detail17trampoline_kernelINS0_14default_configENS1_35radix_sort_onesweep_config_selectorItNS0_10empty_typeEEEZZNS1_29radix_sort_onesweep_iterationIS3_Lb0EPKtPtPS5_SB_mNS0_19identity_decomposerENS1_16block_id_wrapperIjLb0EEEEE10hipError_tT1_PNSt15iterator_traitsISG_E10value_typeET2_T3_PNSH_ISM_E10value_typeET4_T5_PSR_SS_PNS1_23onesweep_lookback_stateEbbT6_jjT7_P12ihipStream_tbENKUlT_T0_SG_SL_E_clISA_SA_SB_SB_EEDaSZ_S10_SG_SL_EUlSZ_E_NS1_11comp_targetILNS1_3genE4ELNS1_11target_archE910ELNS1_3gpuE8ELNS1_3repE0EEENS1_47radix_sort_onesweep_sort_config_static_selectorELNS0_4arch9wavefront6targetE0EEEvSG_.has_recursion, 0
	.set _ZN7rocprim17ROCPRIM_400000_NS6detail17trampoline_kernelINS0_14default_configENS1_35radix_sort_onesweep_config_selectorItNS0_10empty_typeEEEZZNS1_29radix_sort_onesweep_iterationIS3_Lb0EPKtPtPS5_SB_mNS0_19identity_decomposerENS1_16block_id_wrapperIjLb0EEEEE10hipError_tT1_PNSt15iterator_traitsISG_E10value_typeET2_T3_PNSH_ISM_E10value_typeET4_T5_PSR_SS_PNS1_23onesweep_lookback_stateEbbT6_jjT7_P12ihipStream_tbENKUlT_T0_SG_SL_E_clISA_SA_SB_SB_EEDaSZ_S10_SG_SL_EUlSZ_E_NS1_11comp_targetILNS1_3genE4ELNS1_11target_archE910ELNS1_3gpuE8ELNS1_3repE0EEENS1_47radix_sort_onesweep_sort_config_static_selectorELNS0_4arch9wavefront6targetE0EEEvSG_.has_indirect_call, 0
	.section	.AMDGPU.csdata,"",@progbits
; Kernel info:
; codeLenInByte = 0
; TotalNumSgprs: 0
; NumVgprs: 0
; ScratchSize: 0
; MemoryBound: 0
; FloatMode: 240
; IeeeMode: 1
; LDSByteSize: 0 bytes/workgroup (compile time only)
; SGPRBlocks: 0
; VGPRBlocks: 0
; NumSGPRsForWavesPerEU: 1
; NumVGPRsForWavesPerEU: 1
; NamedBarCnt: 0
; Occupancy: 16
; WaveLimiterHint : 0
; COMPUTE_PGM_RSRC2:SCRATCH_EN: 0
; COMPUTE_PGM_RSRC2:USER_SGPR: 2
; COMPUTE_PGM_RSRC2:TRAP_HANDLER: 0
; COMPUTE_PGM_RSRC2:TGID_X_EN: 1
; COMPUTE_PGM_RSRC2:TGID_Y_EN: 0
; COMPUTE_PGM_RSRC2:TGID_Z_EN: 0
; COMPUTE_PGM_RSRC2:TIDIG_COMP_CNT: 0
	.section	.text._ZN7rocprim17ROCPRIM_400000_NS6detail17trampoline_kernelINS0_14default_configENS1_35radix_sort_onesweep_config_selectorItNS0_10empty_typeEEEZZNS1_29radix_sort_onesweep_iterationIS3_Lb0EPKtPtPS5_SB_mNS0_19identity_decomposerENS1_16block_id_wrapperIjLb0EEEEE10hipError_tT1_PNSt15iterator_traitsISG_E10value_typeET2_T3_PNSH_ISM_E10value_typeET4_T5_PSR_SS_PNS1_23onesweep_lookback_stateEbbT6_jjT7_P12ihipStream_tbENKUlT_T0_SG_SL_E_clISA_SA_SB_SB_EEDaSZ_S10_SG_SL_EUlSZ_E_NS1_11comp_targetILNS1_3genE3ELNS1_11target_archE908ELNS1_3gpuE7ELNS1_3repE0EEENS1_47radix_sort_onesweep_sort_config_static_selectorELNS0_4arch9wavefront6targetE0EEEvSG_,"axG",@progbits,_ZN7rocprim17ROCPRIM_400000_NS6detail17trampoline_kernelINS0_14default_configENS1_35radix_sort_onesweep_config_selectorItNS0_10empty_typeEEEZZNS1_29radix_sort_onesweep_iterationIS3_Lb0EPKtPtPS5_SB_mNS0_19identity_decomposerENS1_16block_id_wrapperIjLb0EEEEE10hipError_tT1_PNSt15iterator_traitsISG_E10value_typeET2_T3_PNSH_ISM_E10value_typeET4_T5_PSR_SS_PNS1_23onesweep_lookback_stateEbbT6_jjT7_P12ihipStream_tbENKUlT_T0_SG_SL_E_clISA_SA_SB_SB_EEDaSZ_S10_SG_SL_EUlSZ_E_NS1_11comp_targetILNS1_3genE3ELNS1_11target_archE908ELNS1_3gpuE7ELNS1_3repE0EEENS1_47radix_sort_onesweep_sort_config_static_selectorELNS0_4arch9wavefront6targetE0EEEvSG_,comdat
	.protected	_ZN7rocprim17ROCPRIM_400000_NS6detail17trampoline_kernelINS0_14default_configENS1_35radix_sort_onesweep_config_selectorItNS0_10empty_typeEEEZZNS1_29radix_sort_onesweep_iterationIS3_Lb0EPKtPtPS5_SB_mNS0_19identity_decomposerENS1_16block_id_wrapperIjLb0EEEEE10hipError_tT1_PNSt15iterator_traitsISG_E10value_typeET2_T3_PNSH_ISM_E10value_typeET4_T5_PSR_SS_PNS1_23onesweep_lookback_stateEbbT6_jjT7_P12ihipStream_tbENKUlT_T0_SG_SL_E_clISA_SA_SB_SB_EEDaSZ_S10_SG_SL_EUlSZ_E_NS1_11comp_targetILNS1_3genE3ELNS1_11target_archE908ELNS1_3gpuE7ELNS1_3repE0EEENS1_47radix_sort_onesweep_sort_config_static_selectorELNS0_4arch9wavefront6targetE0EEEvSG_ ; -- Begin function _ZN7rocprim17ROCPRIM_400000_NS6detail17trampoline_kernelINS0_14default_configENS1_35radix_sort_onesweep_config_selectorItNS0_10empty_typeEEEZZNS1_29radix_sort_onesweep_iterationIS3_Lb0EPKtPtPS5_SB_mNS0_19identity_decomposerENS1_16block_id_wrapperIjLb0EEEEE10hipError_tT1_PNSt15iterator_traitsISG_E10value_typeET2_T3_PNSH_ISM_E10value_typeET4_T5_PSR_SS_PNS1_23onesweep_lookback_stateEbbT6_jjT7_P12ihipStream_tbENKUlT_T0_SG_SL_E_clISA_SA_SB_SB_EEDaSZ_S10_SG_SL_EUlSZ_E_NS1_11comp_targetILNS1_3genE3ELNS1_11target_archE908ELNS1_3gpuE7ELNS1_3repE0EEENS1_47radix_sort_onesweep_sort_config_static_selectorELNS0_4arch9wavefront6targetE0EEEvSG_
	.globl	_ZN7rocprim17ROCPRIM_400000_NS6detail17trampoline_kernelINS0_14default_configENS1_35radix_sort_onesweep_config_selectorItNS0_10empty_typeEEEZZNS1_29radix_sort_onesweep_iterationIS3_Lb0EPKtPtPS5_SB_mNS0_19identity_decomposerENS1_16block_id_wrapperIjLb0EEEEE10hipError_tT1_PNSt15iterator_traitsISG_E10value_typeET2_T3_PNSH_ISM_E10value_typeET4_T5_PSR_SS_PNS1_23onesweep_lookback_stateEbbT6_jjT7_P12ihipStream_tbENKUlT_T0_SG_SL_E_clISA_SA_SB_SB_EEDaSZ_S10_SG_SL_EUlSZ_E_NS1_11comp_targetILNS1_3genE3ELNS1_11target_archE908ELNS1_3gpuE7ELNS1_3repE0EEENS1_47radix_sort_onesweep_sort_config_static_selectorELNS0_4arch9wavefront6targetE0EEEvSG_
	.p2align	8
	.type	_ZN7rocprim17ROCPRIM_400000_NS6detail17trampoline_kernelINS0_14default_configENS1_35radix_sort_onesweep_config_selectorItNS0_10empty_typeEEEZZNS1_29radix_sort_onesweep_iterationIS3_Lb0EPKtPtPS5_SB_mNS0_19identity_decomposerENS1_16block_id_wrapperIjLb0EEEEE10hipError_tT1_PNSt15iterator_traitsISG_E10value_typeET2_T3_PNSH_ISM_E10value_typeET4_T5_PSR_SS_PNS1_23onesweep_lookback_stateEbbT6_jjT7_P12ihipStream_tbENKUlT_T0_SG_SL_E_clISA_SA_SB_SB_EEDaSZ_S10_SG_SL_EUlSZ_E_NS1_11comp_targetILNS1_3genE3ELNS1_11target_archE908ELNS1_3gpuE7ELNS1_3repE0EEENS1_47radix_sort_onesweep_sort_config_static_selectorELNS0_4arch9wavefront6targetE0EEEvSG_,@function
_ZN7rocprim17ROCPRIM_400000_NS6detail17trampoline_kernelINS0_14default_configENS1_35radix_sort_onesweep_config_selectorItNS0_10empty_typeEEEZZNS1_29radix_sort_onesweep_iterationIS3_Lb0EPKtPtPS5_SB_mNS0_19identity_decomposerENS1_16block_id_wrapperIjLb0EEEEE10hipError_tT1_PNSt15iterator_traitsISG_E10value_typeET2_T3_PNSH_ISM_E10value_typeET4_T5_PSR_SS_PNS1_23onesweep_lookback_stateEbbT6_jjT7_P12ihipStream_tbENKUlT_T0_SG_SL_E_clISA_SA_SB_SB_EEDaSZ_S10_SG_SL_EUlSZ_E_NS1_11comp_targetILNS1_3genE3ELNS1_11target_archE908ELNS1_3gpuE7ELNS1_3repE0EEENS1_47radix_sort_onesweep_sort_config_static_selectorELNS0_4arch9wavefront6targetE0EEEvSG_: ; @_ZN7rocprim17ROCPRIM_400000_NS6detail17trampoline_kernelINS0_14default_configENS1_35radix_sort_onesweep_config_selectorItNS0_10empty_typeEEEZZNS1_29radix_sort_onesweep_iterationIS3_Lb0EPKtPtPS5_SB_mNS0_19identity_decomposerENS1_16block_id_wrapperIjLb0EEEEE10hipError_tT1_PNSt15iterator_traitsISG_E10value_typeET2_T3_PNSH_ISM_E10value_typeET4_T5_PSR_SS_PNS1_23onesweep_lookback_stateEbbT6_jjT7_P12ihipStream_tbENKUlT_T0_SG_SL_E_clISA_SA_SB_SB_EEDaSZ_S10_SG_SL_EUlSZ_E_NS1_11comp_targetILNS1_3genE3ELNS1_11target_archE908ELNS1_3gpuE7ELNS1_3repE0EEENS1_47radix_sort_onesweep_sort_config_static_selectorELNS0_4arch9wavefront6targetE0EEEvSG_
; %bb.0:
	.section	.rodata,"a",@progbits
	.p2align	6, 0x0
	.amdhsa_kernel _ZN7rocprim17ROCPRIM_400000_NS6detail17trampoline_kernelINS0_14default_configENS1_35radix_sort_onesweep_config_selectorItNS0_10empty_typeEEEZZNS1_29radix_sort_onesweep_iterationIS3_Lb0EPKtPtPS5_SB_mNS0_19identity_decomposerENS1_16block_id_wrapperIjLb0EEEEE10hipError_tT1_PNSt15iterator_traitsISG_E10value_typeET2_T3_PNSH_ISM_E10value_typeET4_T5_PSR_SS_PNS1_23onesweep_lookback_stateEbbT6_jjT7_P12ihipStream_tbENKUlT_T0_SG_SL_E_clISA_SA_SB_SB_EEDaSZ_S10_SG_SL_EUlSZ_E_NS1_11comp_targetILNS1_3genE3ELNS1_11target_archE908ELNS1_3gpuE7ELNS1_3repE0EEENS1_47radix_sort_onesweep_sort_config_static_selectorELNS0_4arch9wavefront6targetE0EEEvSG_
		.amdhsa_group_segment_fixed_size 0
		.amdhsa_private_segment_fixed_size 0
		.amdhsa_kernarg_size 88
		.amdhsa_user_sgpr_count 2
		.amdhsa_user_sgpr_dispatch_ptr 0
		.amdhsa_user_sgpr_queue_ptr 0
		.amdhsa_user_sgpr_kernarg_segment_ptr 1
		.amdhsa_user_sgpr_dispatch_id 0
		.amdhsa_user_sgpr_kernarg_preload_length 0
		.amdhsa_user_sgpr_kernarg_preload_offset 0
		.amdhsa_user_sgpr_private_segment_size 0
		.amdhsa_wavefront_size32 1
		.amdhsa_uses_dynamic_stack 0
		.amdhsa_enable_private_segment 0
		.amdhsa_system_sgpr_workgroup_id_x 1
		.amdhsa_system_sgpr_workgroup_id_y 0
		.amdhsa_system_sgpr_workgroup_id_z 0
		.amdhsa_system_sgpr_workgroup_info 0
		.amdhsa_system_vgpr_workitem_id 0
		.amdhsa_next_free_vgpr 1
		.amdhsa_next_free_sgpr 1
		.amdhsa_named_barrier_count 0
		.amdhsa_reserve_vcc 0
		.amdhsa_float_round_mode_32 0
		.amdhsa_float_round_mode_16_64 0
		.amdhsa_float_denorm_mode_32 3
		.amdhsa_float_denorm_mode_16_64 3
		.amdhsa_fp16_overflow 0
		.amdhsa_memory_ordered 1
		.amdhsa_forward_progress 1
		.amdhsa_inst_pref_size 0
		.amdhsa_round_robin_scheduling 0
		.amdhsa_exception_fp_ieee_invalid_op 0
		.amdhsa_exception_fp_denorm_src 0
		.amdhsa_exception_fp_ieee_div_zero 0
		.amdhsa_exception_fp_ieee_overflow 0
		.amdhsa_exception_fp_ieee_underflow 0
		.amdhsa_exception_fp_ieee_inexact 0
		.amdhsa_exception_int_div_zero 0
	.end_amdhsa_kernel
	.section	.text._ZN7rocprim17ROCPRIM_400000_NS6detail17trampoline_kernelINS0_14default_configENS1_35radix_sort_onesweep_config_selectorItNS0_10empty_typeEEEZZNS1_29radix_sort_onesweep_iterationIS3_Lb0EPKtPtPS5_SB_mNS0_19identity_decomposerENS1_16block_id_wrapperIjLb0EEEEE10hipError_tT1_PNSt15iterator_traitsISG_E10value_typeET2_T3_PNSH_ISM_E10value_typeET4_T5_PSR_SS_PNS1_23onesweep_lookback_stateEbbT6_jjT7_P12ihipStream_tbENKUlT_T0_SG_SL_E_clISA_SA_SB_SB_EEDaSZ_S10_SG_SL_EUlSZ_E_NS1_11comp_targetILNS1_3genE3ELNS1_11target_archE908ELNS1_3gpuE7ELNS1_3repE0EEENS1_47radix_sort_onesweep_sort_config_static_selectorELNS0_4arch9wavefront6targetE0EEEvSG_,"axG",@progbits,_ZN7rocprim17ROCPRIM_400000_NS6detail17trampoline_kernelINS0_14default_configENS1_35radix_sort_onesweep_config_selectorItNS0_10empty_typeEEEZZNS1_29radix_sort_onesweep_iterationIS3_Lb0EPKtPtPS5_SB_mNS0_19identity_decomposerENS1_16block_id_wrapperIjLb0EEEEE10hipError_tT1_PNSt15iterator_traitsISG_E10value_typeET2_T3_PNSH_ISM_E10value_typeET4_T5_PSR_SS_PNS1_23onesweep_lookback_stateEbbT6_jjT7_P12ihipStream_tbENKUlT_T0_SG_SL_E_clISA_SA_SB_SB_EEDaSZ_S10_SG_SL_EUlSZ_E_NS1_11comp_targetILNS1_3genE3ELNS1_11target_archE908ELNS1_3gpuE7ELNS1_3repE0EEENS1_47radix_sort_onesweep_sort_config_static_selectorELNS0_4arch9wavefront6targetE0EEEvSG_,comdat
.Lfunc_end2529:
	.size	_ZN7rocprim17ROCPRIM_400000_NS6detail17trampoline_kernelINS0_14default_configENS1_35radix_sort_onesweep_config_selectorItNS0_10empty_typeEEEZZNS1_29radix_sort_onesweep_iterationIS3_Lb0EPKtPtPS5_SB_mNS0_19identity_decomposerENS1_16block_id_wrapperIjLb0EEEEE10hipError_tT1_PNSt15iterator_traitsISG_E10value_typeET2_T3_PNSH_ISM_E10value_typeET4_T5_PSR_SS_PNS1_23onesweep_lookback_stateEbbT6_jjT7_P12ihipStream_tbENKUlT_T0_SG_SL_E_clISA_SA_SB_SB_EEDaSZ_S10_SG_SL_EUlSZ_E_NS1_11comp_targetILNS1_3genE3ELNS1_11target_archE908ELNS1_3gpuE7ELNS1_3repE0EEENS1_47radix_sort_onesweep_sort_config_static_selectorELNS0_4arch9wavefront6targetE0EEEvSG_, .Lfunc_end2529-_ZN7rocprim17ROCPRIM_400000_NS6detail17trampoline_kernelINS0_14default_configENS1_35radix_sort_onesweep_config_selectorItNS0_10empty_typeEEEZZNS1_29radix_sort_onesweep_iterationIS3_Lb0EPKtPtPS5_SB_mNS0_19identity_decomposerENS1_16block_id_wrapperIjLb0EEEEE10hipError_tT1_PNSt15iterator_traitsISG_E10value_typeET2_T3_PNSH_ISM_E10value_typeET4_T5_PSR_SS_PNS1_23onesweep_lookback_stateEbbT6_jjT7_P12ihipStream_tbENKUlT_T0_SG_SL_E_clISA_SA_SB_SB_EEDaSZ_S10_SG_SL_EUlSZ_E_NS1_11comp_targetILNS1_3genE3ELNS1_11target_archE908ELNS1_3gpuE7ELNS1_3repE0EEENS1_47radix_sort_onesweep_sort_config_static_selectorELNS0_4arch9wavefront6targetE0EEEvSG_
                                        ; -- End function
	.set _ZN7rocprim17ROCPRIM_400000_NS6detail17trampoline_kernelINS0_14default_configENS1_35radix_sort_onesweep_config_selectorItNS0_10empty_typeEEEZZNS1_29radix_sort_onesweep_iterationIS3_Lb0EPKtPtPS5_SB_mNS0_19identity_decomposerENS1_16block_id_wrapperIjLb0EEEEE10hipError_tT1_PNSt15iterator_traitsISG_E10value_typeET2_T3_PNSH_ISM_E10value_typeET4_T5_PSR_SS_PNS1_23onesweep_lookback_stateEbbT6_jjT7_P12ihipStream_tbENKUlT_T0_SG_SL_E_clISA_SA_SB_SB_EEDaSZ_S10_SG_SL_EUlSZ_E_NS1_11comp_targetILNS1_3genE3ELNS1_11target_archE908ELNS1_3gpuE7ELNS1_3repE0EEENS1_47radix_sort_onesweep_sort_config_static_selectorELNS0_4arch9wavefront6targetE0EEEvSG_.num_vgpr, 0
	.set _ZN7rocprim17ROCPRIM_400000_NS6detail17trampoline_kernelINS0_14default_configENS1_35radix_sort_onesweep_config_selectorItNS0_10empty_typeEEEZZNS1_29radix_sort_onesweep_iterationIS3_Lb0EPKtPtPS5_SB_mNS0_19identity_decomposerENS1_16block_id_wrapperIjLb0EEEEE10hipError_tT1_PNSt15iterator_traitsISG_E10value_typeET2_T3_PNSH_ISM_E10value_typeET4_T5_PSR_SS_PNS1_23onesweep_lookback_stateEbbT6_jjT7_P12ihipStream_tbENKUlT_T0_SG_SL_E_clISA_SA_SB_SB_EEDaSZ_S10_SG_SL_EUlSZ_E_NS1_11comp_targetILNS1_3genE3ELNS1_11target_archE908ELNS1_3gpuE7ELNS1_3repE0EEENS1_47radix_sort_onesweep_sort_config_static_selectorELNS0_4arch9wavefront6targetE0EEEvSG_.num_agpr, 0
	.set _ZN7rocprim17ROCPRIM_400000_NS6detail17trampoline_kernelINS0_14default_configENS1_35radix_sort_onesweep_config_selectorItNS0_10empty_typeEEEZZNS1_29radix_sort_onesweep_iterationIS3_Lb0EPKtPtPS5_SB_mNS0_19identity_decomposerENS1_16block_id_wrapperIjLb0EEEEE10hipError_tT1_PNSt15iterator_traitsISG_E10value_typeET2_T3_PNSH_ISM_E10value_typeET4_T5_PSR_SS_PNS1_23onesweep_lookback_stateEbbT6_jjT7_P12ihipStream_tbENKUlT_T0_SG_SL_E_clISA_SA_SB_SB_EEDaSZ_S10_SG_SL_EUlSZ_E_NS1_11comp_targetILNS1_3genE3ELNS1_11target_archE908ELNS1_3gpuE7ELNS1_3repE0EEENS1_47radix_sort_onesweep_sort_config_static_selectorELNS0_4arch9wavefront6targetE0EEEvSG_.numbered_sgpr, 0
	.set _ZN7rocprim17ROCPRIM_400000_NS6detail17trampoline_kernelINS0_14default_configENS1_35radix_sort_onesweep_config_selectorItNS0_10empty_typeEEEZZNS1_29radix_sort_onesweep_iterationIS3_Lb0EPKtPtPS5_SB_mNS0_19identity_decomposerENS1_16block_id_wrapperIjLb0EEEEE10hipError_tT1_PNSt15iterator_traitsISG_E10value_typeET2_T3_PNSH_ISM_E10value_typeET4_T5_PSR_SS_PNS1_23onesweep_lookback_stateEbbT6_jjT7_P12ihipStream_tbENKUlT_T0_SG_SL_E_clISA_SA_SB_SB_EEDaSZ_S10_SG_SL_EUlSZ_E_NS1_11comp_targetILNS1_3genE3ELNS1_11target_archE908ELNS1_3gpuE7ELNS1_3repE0EEENS1_47radix_sort_onesweep_sort_config_static_selectorELNS0_4arch9wavefront6targetE0EEEvSG_.num_named_barrier, 0
	.set _ZN7rocprim17ROCPRIM_400000_NS6detail17trampoline_kernelINS0_14default_configENS1_35radix_sort_onesweep_config_selectorItNS0_10empty_typeEEEZZNS1_29radix_sort_onesweep_iterationIS3_Lb0EPKtPtPS5_SB_mNS0_19identity_decomposerENS1_16block_id_wrapperIjLb0EEEEE10hipError_tT1_PNSt15iterator_traitsISG_E10value_typeET2_T3_PNSH_ISM_E10value_typeET4_T5_PSR_SS_PNS1_23onesweep_lookback_stateEbbT6_jjT7_P12ihipStream_tbENKUlT_T0_SG_SL_E_clISA_SA_SB_SB_EEDaSZ_S10_SG_SL_EUlSZ_E_NS1_11comp_targetILNS1_3genE3ELNS1_11target_archE908ELNS1_3gpuE7ELNS1_3repE0EEENS1_47radix_sort_onesweep_sort_config_static_selectorELNS0_4arch9wavefront6targetE0EEEvSG_.private_seg_size, 0
	.set _ZN7rocprim17ROCPRIM_400000_NS6detail17trampoline_kernelINS0_14default_configENS1_35radix_sort_onesweep_config_selectorItNS0_10empty_typeEEEZZNS1_29radix_sort_onesweep_iterationIS3_Lb0EPKtPtPS5_SB_mNS0_19identity_decomposerENS1_16block_id_wrapperIjLb0EEEEE10hipError_tT1_PNSt15iterator_traitsISG_E10value_typeET2_T3_PNSH_ISM_E10value_typeET4_T5_PSR_SS_PNS1_23onesweep_lookback_stateEbbT6_jjT7_P12ihipStream_tbENKUlT_T0_SG_SL_E_clISA_SA_SB_SB_EEDaSZ_S10_SG_SL_EUlSZ_E_NS1_11comp_targetILNS1_3genE3ELNS1_11target_archE908ELNS1_3gpuE7ELNS1_3repE0EEENS1_47radix_sort_onesweep_sort_config_static_selectorELNS0_4arch9wavefront6targetE0EEEvSG_.uses_vcc, 0
	.set _ZN7rocprim17ROCPRIM_400000_NS6detail17trampoline_kernelINS0_14default_configENS1_35radix_sort_onesweep_config_selectorItNS0_10empty_typeEEEZZNS1_29radix_sort_onesweep_iterationIS3_Lb0EPKtPtPS5_SB_mNS0_19identity_decomposerENS1_16block_id_wrapperIjLb0EEEEE10hipError_tT1_PNSt15iterator_traitsISG_E10value_typeET2_T3_PNSH_ISM_E10value_typeET4_T5_PSR_SS_PNS1_23onesweep_lookback_stateEbbT6_jjT7_P12ihipStream_tbENKUlT_T0_SG_SL_E_clISA_SA_SB_SB_EEDaSZ_S10_SG_SL_EUlSZ_E_NS1_11comp_targetILNS1_3genE3ELNS1_11target_archE908ELNS1_3gpuE7ELNS1_3repE0EEENS1_47radix_sort_onesweep_sort_config_static_selectorELNS0_4arch9wavefront6targetE0EEEvSG_.uses_flat_scratch, 0
	.set _ZN7rocprim17ROCPRIM_400000_NS6detail17trampoline_kernelINS0_14default_configENS1_35radix_sort_onesweep_config_selectorItNS0_10empty_typeEEEZZNS1_29radix_sort_onesweep_iterationIS3_Lb0EPKtPtPS5_SB_mNS0_19identity_decomposerENS1_16block_id_wrapperIjLb0EEEEE10hipError_tT1_PNSt15iterator_traitsISG_E10value_typeET2_T3_PNSH_ISM_E10value_typeET4_T5_PSR_SS_PNS1_23onesweep_lookback_stateEbbT6_jjT7_P12ihipStream_tbENKUlT_T0_SG_SL_E_clISA_SA_SB_SB_EEDaSZ_S10_SG_SL_EUlSZ_E_NS1_11comp_targetILNS1_3genE3ELNS1_11target_archE908ELNS1_3gpuE7ELNS1_3repE0EEENS1_47radix_sort_onesweep_sort_config_static_selectorELNS0_4arch9wavefront6targetE0EEEvSG_.has_dyn_sized_stack, 0
	.set _ZN7rocprim17ROCPRIM_400000_NS6detail17trampoline_kernelINS0_14default_configENS1_35radix_sort_onesweep_config_selectorItNS0_10empty_typeEEEZZNS1_29radix_sort_onesweep_iterationIS3_Lb0EPKtPtPS5_SB_mNS0_19identity_decomposerENS1_16block_id_wrapperIjLb0EEEEE10hipError_tT1_PNSt15iterator_traitsISG_E10value_typeET2_T3_PNSH_ISM_E10value_typeET4_T5_PSR_SS_PNS1_23onesweep_lookback_stateEbbT6_jjT7_P12ihipStream_tbENKUlT_T0_SG_SL_E_clISA_SA_SB_SB_EEDaSZ_S10_SG_SL_EUlSZ_E_NS1_11comp_targetILNS1_3genE3ELNS1_11target_archE908ELNS1_3gpuE7ELNS1_3repE0EEENS1_47radix_sort_onesweep_sort_config_static_selectorELNS0_4arch9wavefront6targetE0EEEvSG_.has_recursion, 0
	.set _ZN7rocprim17ROCPRIM_400000_NS6detail17trampoline_kernelINS0_14default_configENS1_35radix_sort_onesweep_config_selectorItNS0_10empty_typeEEEZZNS1_29radix_sort_onesweep_iterationIS3_Lb0EPKtPtPS5_SB_mNS0_19identity_decomposerENS1_16block_id_wrapperIjLb0EEEEE10hipError_tT1_PNSt15iterator_traitsISG_E10value_typeET2_T3_PNSH_ISM_E10value_typeET4_T5_PSR_SS_PNS1_23onesweep_lookback_stateEbbT6_jjT7_P12ihipStream_tbENKUlT_T0_SG_SL_E_clISA_SA_SB_SB_EEDaSZ_S10_SG_SL_EUlSZ_E_NS1_11comp_targetILNS1_3genE3ELNS1_11target_archE908ELNS1_3gpuE7ELNS1_3repE0EEENS1_47radix_sort_onesweep_sort_config_static_selectorELNS0_4arch9wavefront6targetE0EEEvSG_.has_indirect_call, 0
	.section	.AMDGPU.csdata,"",@progbits
; Kernel info:
; codeLenInByte = 0
; TotalNumSgprs: 0
; NumVgprs: 0
; ScratchSize: 0
; MemoryBound: 0
; FloatMode: 240
; IeeeMode: 1
; LDSByteSize: 0 bytes/workgroup (compile time only)
; SGPRBlocks: 0
; VGPRBlocks: 0
; NumSGPRsForWavesPerEU: 1
; NumVGPRsForWavesPerEU: 1
; NamedBarCnt: 0
; Occupancy: 16
; WaveLimiterHint : 0
; COMPUTE_PGM_RSRC2:SCRATCH_EN: 0
; COMPUTE_PGM_RSRC2:USER_SGPR: 2
; COMPUTE_PGM_RSRC2:TRAP_HANDLER: 0
; COMPUTE_PGM_RSRC2:TGID_X_EN: 1
; COMPUTE_PGM_RSRC2:TGID_Y_EN: 0
; COMPUTE_PGM_RSRC2:TGID_Z_EN: 0
; COMPUTE_PGM_RSRC2:TIDIG_COMP_CNT: 0
	.section	.text._ZN7rocprim17ROCPRIM_400000_NS6detail17trampoline_kernelINS0_14default_configENS1_35radix_sort_onesweep_config_selectorItNS0_10empty_typeEEEZZNS1_29radix_sort_onesweep_iterationIS3_Lb0EPKtPtPS5_SB_mNS0_19identity_decomposerENS1_16block_id_wrapperIjLb0EEEEE10hipError_tT1_PNSt15iterator_traitsISG_E10value_typeET2_T3_PNSH_ISM_E10value_typeET4_T5_PSR_SS_PNS1_23onesweep_lookback_stateEbbT6_jjT7_P12ihipStream_tbENKUlT_T0_SG_SL_E_clISA_SA_SB_SB_EEDaSZ_S10_SG_SL_EUlSZ_E_NS1_11comp_targetILNS1_3genE10ELNS1_11target_archE1201ELNS1_3gpuE5ELNS1_3repE0EEENS1_47radix_sort_onesweep_sort_config_static_selectorELNS0_4arch9wavefront6targetE0EEEvSG_,"axG",@progbits,_ZN7rocprim17ROCPRIM_400000_NS6detail17trampoline_kernelINS0_14default_configENS1_35radix_sort_onesweep_config_selectorItNS0_10empty_typeEEEZZNS1_29radix_sort_onesweep_iterationIS3_Lb0EPKtPtPS5_SB_mNS0_19identity_decomposerENS1_16block_id_wrapperIjLb0EEEEE10hipError_tT1_PNSt15iterator_traitsISG_E10value_typeET2_T3_PNSH_ISM_E10value_typeET4_T5_PSR_SS_PNS1_23onesweep_lookback_stateEbbT6_jjT7_P12ihipStream_tbENKUlT_T0_SG_SL_E_clISA_SA_SB_SB_EEDaSZ_S10_SG_SL_EUlSZ_E_NS1_11comp_targetILNS1_3genE10ELNS1_11target_archE1201ELNS1_3gpuE5ELNS1_3repE0EEENS1_47radix_sort_onesweep_sort_config_static_selectorELNS0_4arch9wavefront6targetE0EEEvSG_,comdat
	.protected	_ZN7rocprim17ROCPRIM_400000_NS6detail17trampoline_kernelINS0_14default_configENS1_35radix_sort_onesweep_config_selectorItNS0_10empty_typeEEEZZNS1_29radix_sort_onesweep_iterationIS3_Lb0EPKtPtPS5_SB_mNS0_19identity_decomposerENS1_16block_id_wrapperIjLb0EEEEE10hipError_tT1_PNSt15iterator_traitsISG_E10value_typeET2_T3_PNSH_ISM_E10value_typeET4_T5_PSR_SS_PNS1_23onesweep_lookback_stateEbbT6_jjT7_P12ihipStream_tbENKUlT_T0_SG_SL_E_clISA_SA_SB_SB_EEDaSZ_S10_SG_SL_EUlSZ_E_NS1_11comp_targetILNS1_3genE10ELNS1_11target_archE1201ELNS1_3gpuE5ELNS1_3repE0EEENS1_47radix_sort_onesweep_sort_config_static_selectorELNS0_4arch9wavefront6targetE0EEEvSG_ ; -- Begin function _ZN7rocprim17ROCPRIM_400000_NS6detail17trampoline_kernelINS0_14default_configENS1_35radix_sort_onesweep_config_selectorItNS0_10empty_typeEEEZZNS1_29radix_sort_onesweep_iterationIS3_Lb0EPKtPtPS5_SB_mNS0_19identity_decomposerENS1_16block_id_wrapperIjLb0EEEEE10hipError_tT1_PNSt15iterator_traitsISG_E10value_typeET2_T3_PNSH_ISM_E10value_typeET4_T5_PSR_SS_PNS1_23onesweep_lookback_stateEbbT6_jjT7_P12ihipStream_tbENKUlT_T0_SG_SL_E_clISA_SA_SB_SB_EEDaSZ_S10_SG_SL_EUlSZ_E_NS1_11comp_targetILNS1_3genE10ELNS1_11target_archE1201ELNS1_3gpuE5ELNS1_3repE0EEENS1_47radix_sort_onesweep_sort_config_static_selectorELNS0_4arch9wavefront6targetE0EEEvSG_
	.globl	_ZN7rocprim17ROCPRIM_400000_NS6detail17trampoline_kernelINS0_14default_configENS1_35radix_sort_onesweep_config_selectorItNS0_10empty_typeEEEZZNS1_29radix_sort_onesweep_iterationIS3_Lb0EPKtPtPS5_SB_mNS0_19identity_decomposerENS1_16block_id_wrapperIjLb0EEEEE10hipError_tT1_PNSt15iterator_traitsISG_E10value_typeET2_T3_PNSH_ISM_E10value_typeET4_T5_PSR_SS_PNS1_23onesweep_lookback_stateEbbT6_jjT7_P12ihipStream_tbENKUlT_T0_SG_SL_E_clISA_SA_SB_SB_EEDaSZ_S10_SG_SL_EUlSZ_E_NS1_11comp_targetILNS1_3genE10ELNS1_11target_archE1201ELNS1_3gpuE5ELNS1_3repE0EEENS1_47radix_sort_onesweep_sort_config_static_selectorELNS0_4arch9wavefront6targetE0EEEvSG_
	.p2align	8
	.type	_ZN7rocprim17ROCPRIM_400000_NS6detail17trampoline_kernelINS0_14default_configENS1_35radix_sort_onesweep_config_selectorItNS0_10empty_typeEEEZZNS1_29radix_sort_onesweep_iterationIS3_Lb0EPKtPtPS5_SB_mNS0_19identity_decomposerENS1_16block_id_wrapperIjLb0EEEEE10hipError_tT1_PNSt15iterator_traitsISG_E10value_typeET2_T3_PNSH_ISM_E10value_typeET4_T5_PSR_SS_PNS1_23onesweep_lookback_stateEbbT6_jjT7_P12ihipStream_tbENKUlT_T0_SG_SL_E_clISA_SA_SB_SB_EEDaSZ_S10_SG_SL_EUlSZ_E_NS1_11comp_targetILNS1_3genE10ELNS1_11target_archE1201ELNS1_3gpuE5ELNS1_3repE0EEENS1_47radix_sort_onesweep_sort_config_static_selectorELNS0_4arch9wavefront6targetE0EEEvSG_,@function
_ZN7rocprim17ROCPRIM_400000_NS6detail17trampoline_kernelINS0_14default_configENS1_35radix_sort_onesweep_config_selectorItNS0_10empty_typeEEEZZNS1_29radix_sort_onesweep_iterationIS3_Lb0EPKtPtPS5_SB_mNS0_19identity_decomposerENS1_16block_id_wrapperIjLb0EEEEE10hipError_tT1_PNSt15iterator_traitsISG_E10value_typeET2_T3_PNSH_ISM_E10value_typeET4_T5_PSR_SS_PNS1_23onesweep_lookback_stateEbbT6_jjT7_P12ihipStream_tbENKUlT_T0_SG_SL_E_clISA_SA_SB_SB_EEDaSZ_S10_SG_SL_EUlSZ_E_NS1_11comp_targetILNS1_3genE10ELNS1_11target_archE1201ELNS1_3gpuE5ELNS1_3repE0EEENS1_47radix_sort_onesweep_sort_config_static_selectorELNS0_4arch9wavefront6targetE0EEEvSG_: ; @_ZN7rocprim17ROCPRIM_400000_NS6detail17trampoline_kernelINS0_14default_configENS1_35radix_sort_onesweep_config_selectorItNS0_10empty_typeEEEZZNS1_29radix_sort_onesweep_iterationIS3_Lb0EPKtPtPS5_SB_mNS0_19identity_decomposerENS1_16block_id_wrapperIjLb0EEEEE10hipError_tT1_PNSt15iterator_traitsISG_E10value_typeET2_T3_PNSH_ISM_E10value_typeET4_T5_PSR_SS_PNS1_23onesweep_lookback_stateEbbT6_jjT7_P12ihipStream_tbENKUlT_T0_SG_SL_E_clISA_SA_SB_SB_EEDaSZ_S10_SG_SL_EUlSZ_E_NS1_11comp_targetILNS1_3genE10ELNS1_11target_archE1201ELNS1_3gpuE5ELNS1_3repE0EEENS1_47radix_sort_onesweep_sort_config_static_selectorELNS0_4arch9wavefront6targetE0EEEvSG_
; %bb.0:
	.section	.rodata,"a",@progbits
	.p2align	6, 0x0
	.amdhsa_kernel _ZN7rocprim17ROCPRIM_400000_NS6detail17trampoline_kernelINS0_14default_configENS1_35radix_sort_onesweep_config_selectorItNS0_10empty_typeEEEZZNS1_29radix_sort_onesweep_iterationIS3_Lb0EPKtPtPS5_SB_mNS0_19identity_decomposerENS1_16block_id_wrapperIjLb0EEEEE10hipError_tT1_PNSt15iterator_traitsISG_E10value_typeET2_T3_PNSH_ISM_E10value_typeET4_T5_PSR_SS_PNS1_23onesweep_lookback_stateEbbT6_jjT7_P12ihipStream_tbENKUlT_T0_SG_SL_E_clISA_SA_SB_SB_EEDaSZ_S10_SG_SL_EUlSZ_E_NS1_11comp_targetILNS1_3genE10ELNS1_11target_archE1201ELNS1_3gpuE5ELNS1_3repE0EEENS1_47radix_sort_onesweep_sort_config_static_selectorELNS0_4arch9wavefront6targetE0EEEvSG_
		.amdhsa_group_segment_fixed_size 0
		.amdhsa_private_segment_fixed_size 0
		.amdhsa_kernarg_size 88
		.amdhsa_user_sgpr_count 2
		.amdhsa_user_sgpr_dispatch_ptr 0
		.amdhsa_user_sgpr_queue_ptr 0
		.amdhsa_user_sgpr_kernarg_segment_ptr 1
		.amdhsa_user_sgpr_dispatch_id 0
		.amdhsa_user_sgpr_kernarg_preload_length 0
		.amdhsa_user_sgpr_kernarg_preload_offset 0
		.amdhsa_user_sgpr_private_segment_size 0
		.amdhsa_wavefront_size32 1
		.amdhsa_uses_dynamic_stack 0
		.amdhsa_enable_private_segment 0
		.amdhsa_system_sgpr_workgroup_id_x 1
		.amdhsa_system_sgpr_workgroup_id_y 0
		.amdhsa_system_sgpr_workgroup_id_z 0
		.amdhsa_system_sgpr_workgroup_info 0
		.amdhsa_system_vgpr_workitem_id 0
		.amdhsa_next_free_vgpr 1
		.amdhsa_next_free_sgpr 1
		.amdhsa_named_barrier_count 0
		.amdhsa_reserve_vcc 0
		.amdhsa_float_round_mode_32 0
		.amdhsa_float_round_mode_16_64 0
		.amdhsa_float_denorm_mode_32 3
		.amdhsa_float_denorm_mode_16_64 3
		.amdhsa_fp16_overflow 0
		.amdhsa_memory_ordered 1
		.amdhsa_forward_progress 1
		.amdhsa_inst_pref_size 0
		.amdhsa_round_robin_scheduling 0
		.amdhsa_exception_fp_ieee_invalid_op 0
		.amdhsa_exception_fp_denorm_src 0
		.amdhsa_exception_fp_ieee_div_zero 0
		.amdhsa_exception_fp_ieee_overflow 0
		.amdhsa_exception_fp_ieee_underflow 0
		.amdhsa_exception_fp_ieee_inexact 0
		.amdhsa_exception_int_div_zero 0
	.end_amdhsa_kernel
	.section	.text._ZN7rocprim17ROCPRIM_400000_NS6detail17trampoline_kernelINS0_14default_configENS1_35radix_sort_onesweep_config_selectorItNS0_10empty_typeEEEZZNS1_29radix_sort_onesweep_iterationIS3_Lb0EPKtPtPS5_SB_mNS0_19identity_decomposerENS1_16block_id_wrapperIjLb0EEEEE10hipError_tT1_PNSt15iterator_traitsISG_E10value_typeET2_T3_PNSH_ISM_E10value_typeET4_T5_PSR_SS_PNS1_23onesweep_lookback_stateEbbT6_jjT7_P12ihipStream_tbENKUlT_T0_SG_SL_E_clISA_SA_SB_SB_EEDaSZ_S10_SG_SL_EUlSZ_E_NS1_11comp_targetILNS1_3genE10ELNS1_11target_archE1201ELNS1_3gpuE5ELNS1_3repE0EEENS1_47radix_sort_onesweep_sort_config_static_selectorELNS0_4arch9wavefront6targetE0EEEvSG_,"axG",@progbits,_ZN7rocprim17ROCPRIM_400000_NS6detail17trampoline_kernelINS0_14default_configENS1_35radix_sort_onesweep_config_selectorItNS0_10empty_typeEEEZZNS1_29radix_sort_onesweep_iterationIS3_Lb0EPKtPtPS5_SB_mNS0_19identity_decomposerENS1_16block_id_wrapperIjLb0EEEEE10hipError_tT1_PNSt15iterator_traitsISG_E10value_typeET2_T3_PNSH_ISM_E10value_typeET4_T5_PSR_SS_PNS1_23onesweep_lookback_stateEbbT6_jjT7_P12ihipStream_tbENKUlT_T0_SG_SL_E_clISA_SA_SB_SB_EEDaSZ_S10_SG_SL_EUlSZ_E_NS1_11comp_targetILNS1_3genE10ELNS1_11target_archE1201ELNS1_3gpuE5ELNS1_3repE0EEENS1_47radix_sort_onesweep_sort_config_static_selectorELNS0_4arch9wavefront6targetE0EEEvSG_,comdat
.Lfunc_end2530:
	.size	_ZN7rocprim17ROCPRIM_400000_NS6detail17trampoline_kernelINS0_14default_configENS1_35radix_sort_onesweep_config_selectorItNS0_10empty_typeEEEZZNS1_29radix_sort_onesweep_iterationIS3_Lb0EPKtPtPS5_SB_mNS0_19identity_decomposerENS1_16block_id_wrapperIjLb0EEEEE10hipError_tT1_PNSt15iterator_traitsISG_E10value_typeET2_T3_PNSH_ISM_E10value_typeET4_T5_PSR_SS_PNS1_23onesweep_lookback_stateEbbT6_jjT7_P12ihipStream_tbENKUlT_T0_SG_SL_E_clISA_SA_SB_SB_EEDaSZ_S10_SG_SL_EUlSZ_E_NS1_11comp_targetILNS1_3genE10ELNS1_11target_archE1201ELNS1_3gpuE5ELNS1_3repE0EEENS1_47radix_sort_onesweep_sort_config_static_selectorELNS0_4arch9wavefront6targetE0EEEvSG_, .Lfunc_end2530-_ZN7rocprim17ROCPRIM_400000_NS6detail17trampoline_kernelINS0_14default_configENS1_35radix_sort_onesweep_config_selectorItNS0_10empty_typeEEEZZNS1_29radix_sort_onesweep_iterationIS3_Lb0EPKtPtPS5_SB_mNS0_19identity_decomposerENS1_16block_id_wrapperIjLb0EEEEE10hipError_tT1_PNSt15iterator_traitsISG_E10value_typeET2_T3_PNSH_ISM_E10value_typeET4_T5_PSR_SS_PNS1_23onesweep_lookback_stateEbbT6_jjT7_P12ihipStream_tbENKUlT_T0_SG_SL_E_clISA_SA_SB_SB_EEDaSZ_S10_SG_SL_EUlSZ_E_NS1_11comp_targetILNS1_3genE10ELNS1_11target_archE1201ELNS1_3gpuE5ELNS1_3repE0EEENS1_47radix_sort_onesweep_sort_config_static_selectorELNS0_4arch9wavefront6targetE0EEEvSG_
                                        ; -- End function
	.set _ZN7rocprim17ROCPRIM_400000_NS6detail17trampoline_kernelINS0_14default_configENS1_35radix_sort_onesweep_config_selectorItNS0_10empty_typeEEEZZNS1_29radix_sort_onesweep_iterationIS3_Lb0EPKtPtPS5_SB_mNS0_19identity_decomposerENS1_16block_id_wrapperIjLb0EEEEE10hipError_tT1_PNSt15iterator_traitsISG_E10value_typeET2_T3_PNSH_ISM_E10value_typeET4_T5_PSR_SS_PNS1_23onesweep_lookback_stateEbbT6_jjT7_P12ihipStream_tbENKUlT_T0_SG_SL_E_clISA_SA_SB_SB_EEDaSZ_S10_SG_SL_EUlSZ_E_NS1_11comp_targetILNS1_3genE10ELNS1_11target_archE1201ELNS1_3gpuE5ELNS1_3repE0EEENS1_47radix_sort_onesweep_sort_config_static_selectorELNS0_4arch9wavefront6targetE0EEEvSG_.num_vgpr, 0
	.set _ZN7rocprim17ROCPRIM_400000_NS6detail17trampoline_kernelINS0_14default_configENS1_35radix_sort_onesweep_config_selectorItNS0_10empty_typeEEEZZNS1_29radix_sort_onesweep_iterationIS3_Lb0EPKtPtPS5_SB_mNS0_19identity_decomposerENS1_16block_id_wrapperIjLb0EEEEE10hipError_tT1_PNSt15iterator_traitsISG_E10value_typeET2_T3_PNSH_ISM_E10value_typeET4_T5_PSR_SS_PNS1_23onesweep_lookback_stateEbbT6_jjT7_P12ihipStream_tbENKUlT_T0_SG_SL_E_clISA_SA_SB_SB_EEDaSZ_S10_SG_SL_EUlSZ_E_NS1_11comp_targetILNS1_3genE10ELNS1_11target_archE1201ELNS1_3gpuE5ELNS1_3repE0EEENS1_47radix_sort_onesweep_sort_config_static_selectorELNS0_4arch9wavefront6targetE0EEEvSG_.num_agpr, 0
	.set _ZN7rocprim17ROCPRIM_400000_NS6detail17trampoline_kernelINS0_14default_configENS1_35radix_sort_onesweep_config_selectorItNS0_10empty_typeEEEZZNS1_29radix_sort_onesweep_iterationIS3_Lb0EPKtPtPS5_SB_mNS0_19identity_decomposerENS1_16block_id_wrapperIjLb0EEEEE10hipError_tT1_PNSt15iterator_traitsISG_E10value_typeET2_T3_PNSH_ISM_E10value_typeET4_T5_PSR_SS_PNS1_23onesweep_lookback_stateEbbT6_jjT7_P12ihipStream_tbENKUlT_T0_SG_SL_E_clISA_SA_SB_SB_EEDaSZ_S10_SG_SL_EUlSZ_E_NS1_11comp_targetILNS1_3genE10ELNS1_11target_archE1201ELNS1_3gpuE5ELNS1_3repE0EEENS1_47radix_sort_onesweep_sort_config_static_selectorELNS0_4arch9wavefront6targetE0EEEvSG_.numbered_sgpr, 0
	.set _ZN7rocprim17ROCPRIM_400000_NS6detail17trampoline_kernelINS0_14default_configENS1_35radix_sort_onesweep_config_selectorItNS0_10empty_typeEEEZZNS1_29radix_sort_onesweep_iterationIS3_Lb0EPKtPtPS5_SB_mNS0_19identity_decomposerENS1_16block_id_wrapperIjLb0EEEEE10hipError_tT1_PNSt15iterator_traitsISG_E10value_typeET2_T3_PNSH_ISM_E10value_typeET4_T5_PSR_SS_PNS1_23onesweep_lookback_stateEbbT6_jjT7_P12ihipStream_tbENKUlT_T0_SG_SL_E_clISA_SA_SB_SB_EEDaSZ_S10_SG_SL_EUlSZ_E_NS1_11comp_targetILNS1_3genE10ELNS1_11target_archE1201ELNS1_3gpuE5ELNS1_3repE0EEENS1_47radix_sort_onesweep_sort_config_static_selectorELNS0_4arch9wavefront6targetE0EEEvSG_.num_named_barrier, 0
	.set _ZN7rocprim17ROCPRIM_400000_NS6detail17trampoline_kernelINS0_14default_configENS1_35radix_sort_onesweep_config_selectorItNS0_10empty_typeEEEZZNS1_29radix_sort_onesweep_iterationIS3_Lb0EPKtPtPS5_SB_mNS0_19identity_decomposerENS1_16block_id_wrapperIjLb0EEEEE10hipError_tT1_PNSt15iterator_traitsISG_E10value_typeET2_T3_PNSH_ISM_E10value_typeET4_T5_PSR_SS_PNS1_23onesweep_lookback_stateEbbT6_jjT7_P12ihipStream_tbENKUlT_T0_SG_SL_E_clISA_SA_SB_SB_EEDaSZ_S10_SG_SL_EUlSZ_E_NS1_11comp_targetILNS1_3genE10ELNS1_11target_archE1201ELNS1_3gpuE5ELNS1_3repE0EEENS1_47radix_sort_onesweep_sort_config_static_selectorELNS0_4arch9wavefront6targetE0EEEvSG_.private_seg_size, 0
	.set _ZN7rocprim17ROCPRIM_400000_NS6detail17trampoline_kernelINS0_14default_configENS1_35radix_sort_onesweep_config_selectorItNS0_10empty_typeEEEZZNS1_29radix_sort_onesweep_iterationIS3_Lb0EPKtPtPS5_SB_mNS0_19identity_decomposerENS1_16block_id_wrapperIjLb0EEEEE10hipError_tT1_PNSt15iterator_traitsISG_E10value_typeET2_T3_PNSH_ISM_E10value_typeET4_T5_PSR_SS_PNS1_23onesweep_lookback_stateEbbT6_jjT7_P12ihipStream_tbENKUlT_T0_SG_SL_E_clISA_SA_SB_SB_EEDaSZ_S10_SG_SL_EUlSZ_E_NS1_11comp_targetILNS1_3genE10ELNS1_11target_archE1201ELNS1_3gpuE5ELNS1_3repE0EEENS1_47radix_sort_onesweep_sort_config_static_selectorELNS0_4arch9wavefront6targetE0EEEvSG_.uses_vcc, 0
	.set _ZN7rocprim17ROCPRIM_400000_NS6detail17trampoline_kernelINS0_14default_configENS1_35radix_sort_onesweep_config_selectorItNS0_10empty_typeEEEZZNS1_29radix_sort_onesweep_iterationIS3_Lb0EPKtPtPS5_SB_mNS0_19identity_decomposerENS1_16block_id_wrapperIjLb0EEEEE10hipError_tT1_PNSt15iterator_traitsISG_E10value_typeET2_T3_PNSH_ISM_E10value_typeET4_T5_PSR_SS_PNS1_23onesweep_lookback_stateEbbT6_jjT7_P12ihipStream_tbENKUlT_T0_SG_SL_E_clISA_SA_SB_SB_EEDaSZ_S10_SG_SL_EUlSZ_E_NS1_11comp_targetILNS1_3genE10ELNS1_11target_archE1201ELNS1_3gpuE5ELNS1_3repE0EEENS1_47radix_sort_onesweep_sort_config_static_selectorELNS0_4arch9wavefront6targetE0EEEvSG_.uses_flat_scratch, 0
	.set _ZN7rocprim17ROCPRIM_400000_NS6detail17trampoline_kernelINS0_14default_configENS1_35radix_sort_onesweep_config_selectorItNS0_10empty_typeEEEZZNS1_29radix_sort_onesweep_iterationIS3_Lb0EPKtPtPS5_SB_mNS0_19identity_decomposerENS1_16block_id_wrapperIjLb0EEEEE10hipError_tT1_PNSt15iterator_traitsISG_E10value_typeET2_T3_PNSH_ISM_E10value_typeET4_T5_PSR_SS_PNS1_23onesweep_lookback_stateEbbT6_jjT7_P12ihipStream_tbENKUlT_T0_SG_SL_E_clISA_SA_SB_SB_EEDaSZ_S10_SG_SL_EUlSZ_E_NS1_11comp_targetILNS1_3genE10ELNS1_11target_archE1201ELNS1_3gpuE5ELNS1_3repE0EEENS1_47radix_sort_onesweep_sort_config_static_selectorELNS0_4arch9wavefront6targetE0EEEvSG_.has_dyn_sized_stack, 0
	.set _ZN7rocprim17ROCPRIM_400000_NS6detail17trampoline_kernelINS0_14default_configENS1_35radix_sort_onesweep_config_selectorItNS0_10empty_typeEEEZZNS1_29radix_sort_onesweep_iterationIS3_Lb0EPKtPtPS5_SB_mNS0_19identity_decomposerENS1_16block_id_wrapperIjLb0EEEEE10hipError_tT1_PNSt15iterator_traitsISG_E10value_typeET2_T3_PNSH_ISM_E10value_typeET4_T5_PSR_SS_PNS1_23onesweep_lookback_stateEbbT6_jjT7_P12ihipStream_tbENKUlT_T0_SG_SL_E_clISA_SA_SB_SB_EEDaSZ_S10_SG_SL_EUlSZ_E_NS1_11comp_targetILNS1_3genE10ELNS1_11target_archE1201ELNS1_3gpuE5ELNS1_3repE0EEENS1_47radix_sort_onesweep_sort_config_static_selectorELNS0_4arch9wavefront6targetE0EEEvSG_.has_recursion, 0
	.set _ZN7rocprim17ROCPRIM_400000_NS6detail17trampoline_kernelINS0_14default_configENS1_35radix_sort_onesweep_config_selectorItNS0_10empty_typeEEEZZNS1_29radix_sort_onesweep_iterationIS3_Lb0EPKtPtPS5_SB_mNS0_19identity_decomposerENS1_16block_id_wrapperIjLb0EEEEE10hipError_tT1_PNSt15iterator_traitsISG_E10value_typeET2_T3_PNSH_ISM_E10value_typeET4_T5_PSR_SS_PNS1_23onesweep_lookback_stateEbbT6_jjT7_P12ihipStream_tbENKUlT_T0_SG_SL_E_clISA_SA_SB_SB_EEDaSZ_S10_SG_SL_EUlSZ_E_NS1_11comp_targetILNS1_3genE10ELNS1_11target_archE1201ELNS1_3gpuE5ELNS1_3repE0EEENS1_47radix_sort_onesweep_sort_config_static_selectorELNS0_4arch9wavefront6targetE0EEEvSG_.has_indirect_call, 0
	.section	.AMDGPU.csdata,"",@progbits
; Kernel info:
; codeLenInByte = 0
; TotalNumSgprs: 0
; NumVgprs: 0
; ScratchSize: 0
; MemoryBound: 0
; FloatMode: 240
; IeeeMode: 1
; LDSByteSize: 0 bytes/workgroup (compile time only)
; SGPRBlocks: 0
; VGPRBlocks: 0
; NumSGPRsForWavesPerEU: 1
; NumVGPRsForWavesPerEU: 1
; NamedBarCnt: 0
; Occupancy: 16
; WaveLimiterHint : 0
; COMPUTE_PGM_RSRC2:SCRATCH_EN: 0
; COMPUTE_PGM_RSRC2:USER_SGPR: 2
; COMPUTE_PGM_RSRC2:TRAP_HANDLER: 0
; COMPUTE_PGM_RSRC2:TGID_X_EN: 1
; COMPUTE_PGM_RSRC2:TGID_Y_EN: 0
; COMPUTE_PGM_RSRC2:TGID_Z_EN: 0
; COMPUTE_PGM_RSRC2:TIDIG_COMP_CNT: 0
	.section	.text._ZN7rocprim17ROCPRIM_400000_NS6detail17trampoline_kernelINS0_14default_configENS1_35radix_sort_onesweep_config_selectorItNS0_10empty_typeEEEZZNS1_29radix_sort_onesweep_iterationIS3_Lb0EPKtPtPS5_SB_mNS0_19identity_decomposerENS1_16block_id_wrapperIjLb0EEEEE10hipError_tT1_PNSt15iterator_traitsISG_E10value_typeET2_T3_PNSH_ISM_E10value_typeET4_T5_PSR_SS_PNS1_23onesweep_lookback_stateEbbT6_jjT7_P12ihipStream_tbENKUlT_T0_SG_SL_E_clISA_SA_SB_SB_EEDaSZ_S10_SG_SL_EUlSZ_E_NS1_11comp_targetILNS1_3genE9ELNS1_11target_archE1100ELNS1_3gpuE3ELNS1_3repE0EEENS1_47radix_sort_onesweep_sort_config_static_selectorELNS0_4arch9wavefront6targetE0EEEvSG_,"axG",@progbits,_ZN7rocprim17ROCPRIM_400000_NS6detail17trampoline_kernelINS0_14default_configENS1_35radix_sort_onesweep_config_selectorItNS0_10empty_typeEEEZZNS1_29radix_sort_onesweep_iterationIS3_Lb0EPKtPtPS5_SB_mNS0_19identity_decomposerENS1_16block_id_wrapperIjLb0EEEEE10hipError_tT1_PNSt15iterator_traitsISG_E10value_typeET2_T3_PNSH_ISM_E10value_typeET4_T5_PSR_SS_PNS1_23onesweep_lookback_stateEbbT6_jjT7_P12ihipStream_tbENKUlT_T0_SG_SL_E_clISA_SA_SB_SB_EEDaSZ_S10_SG_SL_EUlSZ_E_NS1_11comp_targetILNS1_3genE9ELNS1_11target_archE1100ELNS1_3gpuE3ELNS1_3repE0EEENS1_47radix_sort_onesweep_sort_config_static_selectorELNS0_4arch9wavefront6targetE0EEEvSG_,comdat
	.protected	_ZN7rocprim17ROCPRIM_400000_NS6detail17trampoline_kernelINS0_14default_configENS1_35radix_sort_onesweep_config_selectorItNS0_10empty_typeEEEZZNS1_29radix_sort_onesweep_iterationIS3_Lb0EPKtPtPS5_SB_mNS0_19identity_decomposerENS1_16block_id_wrapperIjLb0EEEEE10hipError_tT1_PNSt15iterator_traitsISG_E10value_typeET2_T3_PNSH_ISM_E10value_typeET4_T5_PSR_SS_PNS1_23onesweep_lookback_stateEbbT6_jjT7_P12ihipStream_tbENKUlT_T0_SG_SL_E_clISA_SA_SB_SB_EEDaSZ_S10_SG_SL_EUlSZ_E_NS1_11comp_targetILNS1_3genE9ELNS1_11target_archE1100ELNS1_3gpuE3ELNS1_3repE0EEENS1_47radix_sort_onesweep_sort_config_static_selectorELNS0_4arch9wavefront6targetE0EEEvSG_ ; -- Begin function _ZN7rocprim17ROCPRIM_400000_NS6detail17trampoline_kernelINS0_14default_configENS1_35radix_sort_onesweep_config_selectorItNS0_10empty_typeEEEZZNS1_29radix_sort_onesweep_iterationIS3_Lb0EPKtPtPS5_SB_mNS0_19identity_decomposerENS1_16block_id_wrapperIjLb0EEEEE10hipError_tT1_PNSt15iterator_traitsISG_E10value_typeET2_T3_PNSH_ISM_E10value_typeET4_T5_PSR_SS_PNS1_23onesweep_lookback_stateEbbT6_jjT7_P12ihipStream_tbENKUlT_T0_SG_SL_E_clISA_SA_SB_SB_EEDaSZ_S10_SG_SL_EUlSZ_E_NS1_11comp_targetILNS1_3genE9ELNS1_11target_archE1100ELNS1_3gpuE3ELNS1_3repE0EEENS1_47radix_sort_onesweep_sort_config_static_selectorELNS0_4arch9wavefront6targetE0EEEvSG_
	.globl	_ZN7rocprim17ROCPRIM_400000_NS6detail17trampoline_kernelINS0_14default_configENS1_35radix_sort_onesweep_config_selectorItNS0_10empty_typeEEEZZNS1_29radix_sort_onesweep_iterationIS3_Lb0EPKtPtPS5_SB_mNS0_19identity_decomposerENS1_16block_id_wrapperIjLb0EEEEE10hipError_tT1_PNSt15iterator_traitsISG_E10value_typeET2_T3_PNSH_ISM_E10value_typeET4_T5_PSR_SS_PNS1_23onesweep_lookback_stateEbbT6_jjT7_P12ihipStream_tbENKUlT_T0_SG_SL_E_clISA_SA_SB_SB_EEDaSZ_S10_SG_SL_EUlSZ_E_NS1_11comp_targetILNS1_3genE9ELNS1_11target_archE1100ELNS1_3gpuE3ELNS1_3repE0EEENS1_47radix_sort_onesweep_sort_config_static_selectorELNS0_4arch9wavefront6targetE0EEEvSG_
	.p2align	8
	.type	_ZN7rocprim17ROCPRIM_400000_NS6detail17trampoline_kernelINS0_14default_configENS1_35radix_sort_onesweep_config_selectorItNS0_10empty_typeEEEZZNS1_29radix_sort_onesweep_iterationIS3_Lb0EPKtPtPS5_SB_mNS0_19identity_decomposerENS1_16block_id_wrapperIjLb0EEEEE10hipError_tT1_PNSt15iterator_traitsISG_E10value_typeET2_T3_PNSH_ISM_E10value_typeET4_T5_PSR_SS_PNS1_23onesweep_lookback_stateEbbT6_jjT7_P12ihipStream_tbENKUlT_T0_SG_SL_E_clISA_SA_SB_SB_EEDaSZ_S10_SG_SL_EUlSZ_E_NS1_11comp_targetILNS1_3genE9ELNS1_11target_archE1100ELNS1_3gpuE3ELNS1_3repE0EEENS1_47radix_sort_onesweep_sort_config_static_selectorELNS0_4arch9wavefront6targetE0EEEvSG_,@function
_ZN7rocprim17ROCPRIM_400000_NS6detail17trampoline_kernelINS0_14default_configENS1_35radix_sort_onesweep_config_selectorItNS0_10empty_typeEEEZZNS1_29radix_sort_onesweep_iterationIS3_Lb0EPKtPtPS5_SB_mNS0_19identity_decomposerENS1_16block_id_wrapperIjLb0EEEEE10hipError_tT1_PNSt15iterator_traitsISG_E10value_typeET2_T3_PNSH_ISM_E10value_typeET4_T5_PSR_SS_PNS1_23onesweep_lookback_stateEbbT6_jjT7_P12ihipStream_tbENKUlT_T0_SG_SL_E_clISA_SA_SB_SB_EEDaSZ_S10_SG_SL_EUlSZ_E_NS1_11comp_targetILNS1_3genE9ELNS1_11target_archE1100ELNS1_3gpuE3ELNS1_3repE0EEENS1_47radix_sort_onesweep_sort_config_static_selectorELNS0_4arch9wavefront6targetE0EEEvSG_: ; @_ZN7rocprim17ROCPRIM_400000_NS6detail17trampoline_kernelINS0_14default_configENS1_35radix_sort_onesweep_config_selectorItNS0_10empty_typeEEEZZNS1_29radix_sort_onesweep_iterationIS3_Lb0EPKtPtPS5_SB_mNS0_19identity_decomposerENS1_16block_id_wrapperIjLb0EEEEE10hipError_tT1_PNSt15iterator_traitsISG_E10value_typeET2_T3_PNSH_ISM_E10value_typeET4_T5_PSR_SS_PNS1_23onesweep_lookback_stateEbbT6_jjT7_P12ihipStream_tbENKUlT_T0_SG_SL_E_clISA_SA_SB_SB_EEDaSZ_S10_SG_SL_EUlSZ_E_NS1_11comp_targetILNS1_3genE9ELNS1_11target_archE1100ELNS1_3gpuE3ELNS1_3repE0EEENS1_47radix_sort_onesweep_sort_config_static_selectorELNS0_4arch9wavefront6targetE0EEEvSG_
; %bb.0:
	.section	.rodata,"a",@progbits
	.p2align	6, 0x0
	.amdhsa_kernel _ZN7rocprim17ROCPRIM_400000_NS6detail17trampoline_kernelINS0_14default_configENS1_35radix_sort_onesweep_config_selectorItNS0_10empty_typeEEEZZNS1_29radix_sort_onesweep_iterationIS3_Lb0EPKtPtPS5_SB_mNS0_19identity_decomposerENS1_16block_id_wrapperIjLb0EEEEE10hipError_tT1_PNSt15iterator_traitsISG_E10value_typeET2_T3_PNSH_ISM_E10value_typeET4_T5_PSR_SS_PNS1_23onesweep_lookback_stateEbbT6_jjT7_P12ihipStream_tbENKUlT_T0_SG_SL_E_clISA_SA_SB_SB_EEDaSZ_S10_SG_SL_EUlSZ_E_NS1_11comp_targetILNS1_3genE9ELNS1_11target_archE1100ELNS1_3gpuE3ELNS1_3repE0EEENS1_47radix_sort_onesweep_sort_config_static_selectorELNS0_4arch9wavefront6targetE0EEEvSG_
		.amdhsa_group_segment_fixed_size 0
		.amdhsa_private_segment_fixed_size 0
		.amdhsa_kernarg_size 88
		.amdhsa_user_sgpr_count 2
		.amdhsa_user_sgpr_dispatch_ptr 0
		.amdhsa_user_sgpr_queue_ptr 0
		.amdhsa_user_sgpr_kernarg_segment_ptr 1
		.amdhsa_user_sgpr_dispatch_id 0
		.amdhsa_user_sgpr_kernarg_preload_length 0
		.amdhsa_user_sgpr_kernarg_preload_offset 0
		.amdhsa_user_sgpr_private_segment_size 0
		.amdhsa_wavefront_size32 1
		.amdhsa_uses_dynamic_stack 0
		.amdhsa_enable_private_segment 0
		.amdhsa_system_sgpr_workgroup_id_x 1
		.amdhsa_system_sgpr_workgroup_id_y 0
		.amdhsa_system_sgpr_workgroup_id_z 0
		.amdhsa_system_sgpr_workgroup_info 0
		.amdhsa_system_vgpr_workitem_id 0
		.amdhsa_next_free_vgpr 1
		.amdhsa_next_free_sgpr 1
		.amdhsa_named_barrier_count 0
		.amdhsa_reserve_vcc 0
		.amdhsa_float_round_mode_32 0
		.amdhsa_float_round_mode_16_64 0
		.amdhsa_float_denorm_mode_32 3
		.amdhsa_float_denorm_mode_16_64 3
		.amdhsa_fp16_overflow 0
		.amdhsa_memory_ordered 1
		.amdhsa_forward_progress 1
		.amdhsa_inst_pref_size 0
		.amdhsa_round_robin_scheduling 0
		.amdhsa_exception_fp_ieee_invalid_op 0
		.amdhsa_exception_fp_denorm_src 0
		.amdhsa_exception_fp_ieee_div_zero 0
		.amdhsa_exception_fp_ieee_overflow 0
		.amdhsa_exception_fp_ieee_underflow 0
		.amdhsa_exception_fp_ieee_inexact 0
		.amdhsa_exception_int_div_zero 0
	.end_amdhsa_kernel
	.section	.text._ZN7rocprim17ROCPRIM_400000_NS6detail17trampoline_kernelINS0_14default_configENS1_35radix_sort_onesweep_config_selectorItNS0_10empty_typeEEEZZNS1_29radix_sort_onesweep_iterationIS3_Lb0EPKtPtPS5_SB_mNS0_19identity_decomposerENS1_16block_id_wrapperIjLb0EEEEE10hipError_tT1_PNSt15iterator_traitsISG_E10value_typeET2_T3_PNSH_ISM_E10value_typeET4_T5_PSR_SS_PNS1_23onesweep_lookback_stateEbbT6_jjT7_P12ihipStream_tbENKUlT_T0_SG_SL_E_clISA_SA_SB_SB_EEDaSZ_S10_SG_SL_EUlSZ_E_NS1_11comp_targetILNS1_3genE9ELNS1_11target_archE1100ELNS1_3gpuE3ELNS1_3repE0EEENS1_47radix_sort_onesweep_sort_config_static_selectorELNS0_4arch9wavefront6targetE0EEEvSG_,"axG",@progbits,_ZN7rocprim17ROCPRIM_400000_NS6detail17trampoline_kernelINS0_14default_configENS1_35radix_sort_onesweep_config_selectorItNS0_10empty_typeEEEZZNS1_29radix_sort_onesweep_iterationIS3_Lb0EPKtPtPS5_SB_mNS0_19identity_decomposerENS1_16block_id_wrapperIjLb0EEEEE10hipError_tT1_PNSt15iterator_traitsISG_E10value_typeET2_T3_PNSH_ISM_E10value_typeET4_T5_PSR_SS_PNS1_23onesweep_lookback_stateEbbT6_jjT7_P12ihipStream_tbENKUlT_T0_SG_SL_E_clISA_SA_SB_SB_EEDaSZ_S10_SG_SL_EUlSZ_E_NS1_11comp_targetILNS1_3genE9ELNS1_11target_archE1100ELNS1_3gpuE3ELNS1_3repE0EEENS1_47radix_sort_onesweep_sort_config_static_selectorELNS0_4arch9wavefront6targetE0EEEvSG_,comdat
.Lfunc_end2531:
	.size	_ZN7rocprim17ROCPRIM_400000_NS6detail17trampoline_kernelINS0_14default_configENS1_35radix_sort_onesweep_config_selectorItNS0_10empty_typeEEEZZNS1_29radix_sort_onesweep_iterationIS3_Lb0EPKtPtPS5_SB_mNS0_19identity_decomposerENS1_16block_id_wrapperIjLb0EEEEE10hipError_tT1_PNSt15iterator_traitsISG_E10value_typeET2_T3_PNSH_ISM_E10value_typeET4_T5_PSR_SS_PNS1_23onesweep_lookback_stateEbbT6_jjT7_P12ihipStream_tbENKUlT_T0_SG_SL_E_clISA_SA_SB_SB_EEDaSZ_S10_SG_SL_EUlSZ_E_NS1_11comp_targetILNS1_3genE9ELNS1_11target_archE1100ELNS1_3gpuE3ELNS1_3repE0EEENS1_47radix_sort_onesweep_sort_config_static_selectorELNS0_4arch9wavefront6targetE0EEEvSG_, .Lfunc_end2531-_ZN7rocprim17ROCPRIM_400000_NS6detail17trampoline_kernelINS0_14default_configENS1_35radix_sort_onesweep_config_selectorItNS0_10empty_typeEEEZZNS1_29radix_sort_onesweep_iterationIS3_Lb0EPKtPtPS5_SB_mNS0_19identity_decomposerENS1_16block_id_wrapperIjLb0EEEEE10hipError_tT1_PNSt15iterator_traitsISG_E10value_typeET2_T3_PNSH_ISM_E10value_typeET4_T5_PSR_SS_PNS1_23onesweep_lookback_stateEbbT6_jjT7_P12ihipStream_tbENKUlT_T0_SG_SL_E_clISA_SA_SB_SB_EEDaSZ_S10_SG_SL_EUlSZ_E_NS1_11comp_targetILNS1_3genE9ELNS1_11target_archE1100ELNS1_3gpuE3ELNS1_3repE0EEENS1_47radix_sort_onesweep_sort_config_static_selectorELNS0_4arch9wavefront6targetE0EEEvSG_
                                        ; -- End function
	.set _ZN7rocprim17ROCPRIM_400000_NS6detail17trampoline_kernelINS0_14default_configENS1_35radix_sort_onesweep_config_selectorItNS0_10empty_typeEEEZZNS1_29radix_sort_onesweep_iterationIS3_Lb0EPKtPtPS5_SB_mNS0_19identity_decomposerENS1_16block_id_wrapperIjLb0EEEEE10hipError_tT1_PNSt15iterator_traitsISG_E10value_typeET2_T3_PNSH_ISM_E10value_typeET4_T5_PSR_SS_PNS1_23onesweep_lookback_stateEbbT6_jjT7_P12ihipStream_tbENKUlT_T0_SG_SL_E_clISA_SA_SB_SB_EEDaSZ_S10_SG_SL_EUlSZ_E_NS1_11comp_targetILNS1_3genE9ELNS1_11target_archE1100ELNS1_3gpuE3ELNS1_3repE0EEENS1_47radix_sort_onesweep_sort_config_static_selectorELNS0_4arch9wavefront6targetE0EEEvSG_.num_vgpr, 0
	.set _ZN7rocprim17ROCPRIM_400000_NS6detail17trampoline_kernelINS0_14default_configENS1_35radix_sort_onesweep_config_selectorItNS0_10empty_typeEEEZZNS1_29radix_sort_onesweep_iterationIS3_Lb0EPKtPtPS5_SB_mNS0_19identity_decomposerENS1_16block_id_wrapperIjLb0EEEEE10hipError_tT1_PNSt15iterator_traitsISG_E10value_typeET2_T3_PNSH_ISM_E10value_typeET4_T5_PSR_SS_PNS1_23onesweep_lookback_stateEbbT6_jjT7_P12ihipStream_tbENKUlT_T0_SG_SL_E_clISA_SA_SB_SB_EEDaSZ_S10_SG_SL_EUlSZ_E_NS1_11comp_targetILNS1_3genE9ELNS1_11target_archE1100ELNS1_3gpuE3ELNS1_3repE0EEENS1_47radix_sort_onesweep_sort_config_static_selectorELNS0_4arch9wavefront6targetE0EEEvSG_.num_agpr, 0
	.set _ZN7rocprim17ROCPRIM_400000_NS6detail17trampoline_kernelINS0_14default_configENS1_35radix_sort_onesweep_config_selectorItNS0_10empty_typeEEEZZNS1_29radix_sort_onesweep_iterationIS3_Lb0EPKtPtPS5_SB_mNS0_19identity_decomposerENS1_16block_id_wrapperIjLb0EEEEE10hipError_tT1_PNSt15iterator_traitsISG_E10value_typeET2_T3_PNSH_ISM_E10value_typeET4_T5_PSR_SS_PNS1_23onesweep_lookback_stateEbbT6_jjT7_P12ihipStream_tbENKUlT_T0_SG_SL_E_clISA_SA_SB_SB_EEDaSZ_S10_SG_SL_EUlSZ_E_NS1_11comp_targetILNS1_3genE9ELNS1_11target_archE1100ELNS1_3gpuE3ELNS1_3repE0EEENS1_47radix_sort_onesweep_sort_config_static_selectorELNS0_4arch9wavefront6targetE0EEEvSG_.numbered_sgpr, 0
	.set _ZN7rocprim17ROCPRIM_400000_NS6detail17trampoline_kernelINS0_14default_configENS1_35radix_sort_onesweep_config_selectorItNS0_10empty_typeEEEZZNS1_29radix_sort_onesweep_iterationIS3_Lb0EPKtPtPS5_SB_mNS0_19identity_decomposerENS1_16block_id_wrapperIjLb0EEEEE10hipError_tT1_PNSt15iterator_traitsISG_E10value_typeET2_T3_PNSH_ISM_E10value_typeET4_T5_PSR_SS_PNS1_23onesweep_lookback_stateEbbT6_jjT7_P12ihipStream_tbENKUlT_T0_SG_SL_E_clISA_SA_SB_SB_EEDaSZ_S10_SG_SL_EUlSZ_E_NS1_11comp_targetILNS1_3genE9ELNS1_11target_archE1100ELNS1_3gpuE3ELNS1_3repE0EEENS1_47radix_sort_onesweep_sort_config_static_selectorELNS0_4arch9wavefront6targetE0EEEvSG_.num_named_barrier, 0
	.set _ZN7rocprim17ROCPRIM_400000_NS6detail17trampoline_kernelINS0_14default_configENS1_35radix_sort_onesweep_config_selectorItNS0_10empty_typeEEEZZNS1_29radix_sort_onesweep_iterationIS3_Lb0EPKtPtPS5_SB_mNS0_19identity_decomposerENS1_16block_id_wrapperIjLb0EEEEE10hipError_tT1_PNSt15iterator_traitsISG_E10value_typeET2_T3_PNSH_ISM_E10value_typeET4_T5_PSR_SS_PNS1_23onesweep_lookback_stateEbbT6_jjT7_P12ihipStream_tbENKUlT_T0_SG_SL_E_clISA_SA_SB_SB_EEDaSZ_S10_SG_SL_EUlSZ_E_NS1_11comp_targetILNS1_3genE9ELNS1_11target_archE1100ELNS1_3gpuE3ELNS1_3repE0EEENS1_47radix_sort_onesweep_sort_config_static_selectorELNS0_4arch9wavefront6targetE0EEEvSG_.private_seg_size, 0
	.set _ZN7rocprim17ROCPRIM_400000_NS6detail17trampoline_kernelINS0_14default_configENS1_35radix_sort_onesweep_config_selectorItNS0_10empty_typeEEEZZNS1_29radix_sort_onesweep_iterationIS3_Lb0EPKtPtPS5_SB_mNS0_19identity_decomposerENS1_16block_id_wrapperIjLb0EEEEE10hipError_tT1_PNSt15iterator_traitsISG_E10value_typeET2_T3_PNSH_ISM_E10value_typeET4_T5_PSR_SS_PNS1_23onesweep_lookback_stateEbbT6_jjT7_P12ihipStream_tbENKUlT_T0_SG_SL_E_clISA_SA_SB_SB_EEDaSZ_S10_SG_SL_EUlSZ_E_NS1_11comp_targetILNS1_3genE9ELNS1_11target_archE1100ELNS1_3gpuE3ELNS1_3repE0EEENS1_47radix_sort_onesweep_sort_config_static_selectorELNS0_4arch9wavefront6targetE0EEEvSG_.uses_vcc, 0
	.set _ZN7rocprim17ROCPRIM_400000_NS6detail17trampoline_kernelINS0_14default_configENS1_35radix_sort_onesweep_config_selectorItNS0_10empty_typeEEEZZNS1_29radix_sort_onesweep_iterationIS3_Lb0EPKtPtPS5_SB_mNS0_19identity_decomposerENS1_16block_id_wrapperIjLb0EEEEE10hipError_tT1_PNSt15iterator_traitsISG_E10value_typeET2_T3_PNSH_ISM_E10value_typeET4_T5_PSR_SS_PNS1_23onesweep_lookback_stateEbbT6_jjT7_P12ihipStream_tbENKUlT_T0_SG_SL_E_clISA_SA_SB_SB_EEDaSZ_S10_SG_SL_EUlSZ_E_NS1_11comp_targetILNS1_3genE9ELNS1_11target_archE1100ELNS1_3gpuE3ELNS1_3repE0EEENS1_47radix_sort_onesweep_sort_config_static_selectorELNS0_4arch9wavefront6targetE0EEEvSG_.uses_flat_scratch, 0
	.set _ZN7rocprim17ROCPRIM_400000_NS6detail17trampoline_kernelINS0_14default_configENS1_35radix_sort_onesweep_config_selectorItNS0_10empty_typeEEEZZNS1_29radix_sort_onesweep_iterationIS3_Lb0EPKtPtPS5_SB_mNS0_19identity_decomposerENS1_16block_id_wrapperIjLb0EEEEE10hipError_tT1_PNSt15iterator_traitsISG_E10value_typeET2_T3_PNSH_ISM_E10value_typeET4_T5_PSR_SS_PNS1_23onesweep_lookback_stateEbbT6_jjT7_P12ihipStream_tbENKUlT_T0_SG_SL_E_clISA_SA_SB_SB_EEDaSZ_S10_SG_SL_EUlSZ_E_NS1_11comp_targetILNS1_3genE9ELNS1_11target_archE1100ELNS1_3gpuE3ELNS1_3repE0EEENS1_47radix_sort_onesweep_sort_config_static_selectorELNS0_4arch9wavefront6targetE0EEEvSG_.has_dyn_sized_stack, 0
	.set _ZN7rocprim17ROCPRIM_400000_NS6detail17trampoline_kernelINS0_14default_configENS1_35radix_sort_onesweep_config_selectorItNS0_10empty_typeEEEZZNS1_29radix_sort_onesweep_iterationIS3_Lb0EPKtPtPS5_SB_mNS0_19identity_decomposerENS1_16block_id_wrapperIjLb0EEEEE10hipError_tT1_PNSt15iterator_traitsISG_E10value_typeET2_T3_PNSH_ISM_E10value_typeET4_T5_PSR_SS_PNS1_23onesweep_lookback_stateEbbT6_jjT7_P12ihipStream_tbENKUlT_T0_SG_SL_E_clISA_SA_SB_SB_EEDaSZ_S10_SG_SL_EUlSZ_E_NS1_11comp_targetILNS1_3genE9ELNS1_11target_archE1100ELNS1_3gpuE3ELNS1_3repE0EEENS1_47radix_sort_onesweep_sort_config_static_selectorELNS0_4arch9wavefront6targetE0EEEvSG_.has_recursion, 0
	.set _ZN7rocprim17ROCPRIM_400000_NS6detail17trampoline_kernelINS0_14default_configENS1_35radix_sort_onesweep_config_selectorItNS0_10empty_typeEEEZZNS1_29radix_sort_onesweep_iterationIS3_Lb0EPKtPtPS5_SB_mNS0_19identity_decomposerENS1_16block_id_wrapperIjLb0EEEEE10hipError_tT1_PNSt15iterator_traitsISG_E10value_typeET2_T3_PNSH_ISM_E10value_typeET4_T5_PSR_SS_PNS1_23onesweep_lookback_stateEbbT6_jjT7_P12ihipStream_tbENKUlT_T0_SG_SL_E_clISA_SA_SB_SB_EEDaSZ_S10_SG_SL_EUlSZ_E_NS1_11comp_targetILNS1_3genE9ELNS1_11target_archE1100ELNS1_3gpuE3ELNS1_3repE0EEENS1_47radix_sort_onesweep_sort_config_static_selectorELNS0_4arch9wavefront6targetE0EEEvSG_.has_indirect_call, 0
	.section	.AMDGPU.csdata,"",@progbits
; Kernel info:
; codeLenInByte = 0
; TotalNumSgprs: 0
; NumVgprs: 0
; ScratchSize: 0
; MemoryBound: 0
; FloatMode: 240
; IeeeMode: 1
; LDSByteSize: 0 bytes/workgroup (compile time only)
; SGPRBlocks: 0
; VGPRBlocks: 0
; NumSGPRsForWavesPerEU: 1
; NumVGPRsForWavesPerEU: 1
; NamedBarCnt: 0
; Occupancy: 16
; WaveLimiterHint : 0
; COMPUTE_PGM_RSRC2:SCRATCH_EN: 0
; COMPUTE_PGM_RSRC2:USER_SGPR: 2
; COMPUTE_PGM_RSRC2:TRAP_HANDLER: 0
; COMPUTE_PGM_RSRC2:TGID_X_EN: 1
; COMPUTE_PGM_RSRC2:TGID_Y_EN: 0
; COMPUTE_PGM_RSRC2:TGID_Z_EN: 0
; COMPUTE_PGM_RSRC2:TIDIG_COMP_CNT: 0
	.section	.text._ZN7rocprim17ROCPRIM_400000_NS6detail17trampoline_kernelINS0_14default_configENS1_35radix_sort_onesweep_config_selectorItNS0_10empty_typeEEEZZNS1_29radix_sort_onesweep_iterationIS3_Lb0EPKtPtPS5_SB_mNS0_19identity_decomposerENS1_16block_id_wrapperIjLb0EEEEE10hipError_tT1_PNSt15iterator_traitsISG_E10value_typeET2_T3_PNSH_ISM_E10value_typeET4_T5_PSR_SS_PNS1_23onesweep_lookback_stateEbbT6_jjT7_P12ihipStream_tbENKUlT_T0_SG_SL_E_clISA_SA_SB_SB_EEDaSZ_S10_SG_SL_EUlSZ_E_NS1_11comp_targetILNS1_3genE8ELNS1_11target_archE1030ELNS1_3gpuE2ELNS1_3repE0EEENS1_47radix_sort_onesweep_sort_config_static_selectorELNS0_4arch9wavefront6targetE0EEEvSG_,"axG",@progbits,_ZN7rocprim17ROCPRIM_400000_NS6detail17trampoline_kernelINS0_14default_configENS1_35radix_sort_onesweep_config_selectorItNS0_10empty_typeEEEZZNS1_29radix_sort_onesweep_iterationIS3_Lb0EPKtPtPS5_SB_mNS0_19identity_decomposerENS1_16block_id_wrapperIjLb0EEEEE10hipError_tT1_PNSt15iterator_traitsISG_E10value_typeET2_T3_PNSH_ISM_E10value_typeET4_T5_PSR_SS_PNS1_23onesweep_lookback_stateEbbT6_jjT7_P12ihipStream_tbENKUlT_T0_SG_SL_E_clISA_SA_SB_SB_EEDaSZ_S10_SG_SL_EUlSZ_E_NS1_11comp_targetILNS1_3genE8ELNS1_11target_archE1030ELNS1_3gpuE2ELNS1_3repE0EEENS1_47radix_sort_onesweep_sort_config_static_selectorELNS0_4arch9wavefront6targetE0EEEvSG_,comdat
	.protected	_ZN7rocprim17ROCPRIM_400000_NS6detail17trampoline_kernelINS0_14default_configENS1_35radix_sort_onesweep_config_selectorItNS0_10empty_typeEEEZZNS1_29radix_sort_onesweep_iterationIS3_Lb0EPKtPtPS5_SB_mNS0_19identity_decomposerENS1_16block_id_wrapperIjLb0EEEEE10hipError_tT1_PNSt15iterator_traitsISG_E10value_typeET2_T3_PNSH_ISM_E10value_typeET4_T5_PSR_SS_PNS1_23onesweep_lookback_stateEbbT6_jjT7_P12ihipStream_tbENKUlT_T0_SG_SL_E_clISA_SA_SB_SB_EEDaSZ_S10_SG_SL_EUlSZ_E_NS1_11comp_targetILNS1_3genE8ELNS1_11target_archE1030ELNS1_3gpuE2ELNS1_3repE0EEENS1_47radix_sort_onesweep_sort_config_static_selectorELNS0_4arch9wavefront6targetE0EEEvSG_ ; -- Begin function _ZN7rocprim17ROCPRIM_400000_NS6detail17trampoline_kernelINS0_14default_configENS1_35radix_sort_onesweep_config_selectorItNS0_10empty_typeEEEZZNS1_29radix_sort_onesweep_iterationIS3_Lb0EPKtPtPS5_SB_mNS0_19identity_decomposerENS1_16block_id_wrapperIjLb0EEEEE10hipError_tT1_PNSt15iterator_traitsISG_E10value_typeET2_T3_PNSH_ISM_E10value_typeET4_T5_PSR_SS_PNS1_23onesweep_lookback_stateEbbT6_jjT7_P12ihipStream_tbENKUlT_T0_SG_SL_E_clISA_SA_SB_SB_EEDaSZ_S10_SG_SL_EUlSZ_E_NS1_11comp_targetILNS1_3genE8ELNS1_11target_archE1030ELNS1_3gpuE2ELNS1_3repE0EEENS1_47radix_sort_onesweep_sort_config_static_selectorELNS0_4arch9wavefront6targetE0EEEvSG_
	.globl	_ZN7rocprim17ROCPRIM_400000_NS6detail17trampoline_kernelINS0_14default_configENS1_35radix_sort_onesweep_config_selectorItNS0_10empty_typeEEEZZNS1_29radix_sort_onesweep_iterationIS3_Lb0EPKtPtPS5_SB_mNS0_19identity_decomposerENS1_16block_id_wrapperIjLb0EEEEE10hipError_tT1_PNSt15iterator_traitsISG_E10value_typeET2_T3_PNSH_ISM_E10value_typeET4_T5_PSR_SS_PNS1_23onesweep_lookback_stateEbbT6_jjT7_P12ihipStream_tbENKUlT_T0_SG_SL_E_clISA_SA_SB_SB_EEDaSZ_S10_SG_SL_EUlSZ_E_NS1_11comp_targetILNS1_3genE8ELNS1_11target_archE1030ELNS1_3gpuE2ELNS1_3repE0EEENS1_47radix_sort_onesweep_sort_config_static_selectorELNS0_4arch9wavefront6targetE0EEEvSG_
	.p2align	8
	.type	_ZN7rocprim17ROCPRIM_400000_NS6detail17trampoline_kernelINS0_14default_configENS1_35radix_sort_onesweep_config_selectorItNS0_10empty_typeEEEZZNS1_29radix_sort_onesweep_iterationIS3_Lb0EPKtPtPS5_SB_mNS0_19identity_decomposerENS1_16block_id_wrapperIjLb0EEEEE10hipError_tT1_PNSt15iterator_traitsISG_E10value_typeET2_T3_PNSH_ISM_E10value_typeET4_T5_PSR_SS_PNS1_23onesweep_lookback_stateEbbT6_jjT7_P12ihipStream_tbENKUlT_T0_SG_SL_E_clISA_SA_SB_SB_EEDaSZ_S10_SG_SL_EUlSZ_E_NS1_11comp_targetILNS1_3genE8ELNS1_11target_archE1030ELNS1_3gpuE2ELNS1_3repE0EEENS1_47radix_sort_onesweep_sort_config_static_selectorELNS0_4arch9wavefront6targetE0EEEvSG_,@function
_ZN7rocprim17ROCPRIM_400000_NS6detail17trampoline_kernelINS0_14default_configENS1_35radix_sort_onesweep_config_selectorItNS0_10empty_typeEEEZZNS1_29radix_sort_onesweep_iterationIS3_Lb0EPKtPtPS5_SB_mNS0_19identity_decomposerENS1_16block_id_wrapperIjLb0EEEEE10hipError_tT1_PNSt15iterator_traitsISG_E10value_typeET2_T3_PNSH_ISM_E10value_typeET4_T5_PSR_SS_PNS1_23onesweep_lookback_stateEbbT6_jjT7_P12ihipStream_tbENKUlT_T0_SG_SL_E_clISA_SA_SB_SB_EEDaSZ_S10_SG_SL_EUlSZ_E_NS1_11comp_targetILNS1_3genE8ELNS1_11target_archE1030ELNS1_3gpuE2ELNS1_3repE0EEENS1_47radix_sort_onesweep_sort_config_static_selectorELNS0_4arch9wavefront6targetE0EEEvSG_: ; @_ZN7rocprim17ROCPRIM_400000_NS6detail17trampoline_kernelINS0_14default_configENS1_35radix_sort_onesweep_config_selectorItNS0_10empty_typeEEEZZNS1_29radix_sort_onesweep_iterationIS3_Lb0EPKtPtPS5_SB_mNS0_19identity_decomposerENS1_16block_id_wrapperIjLb0EEEEE10hipError_tT1_PNSt15iterator_traitsISG_E10value_typeET2_T3_PNSH_ISM_E10value_typeET4_T5_PSR_SS_PNS1_23onesweep_lookback_stateEbbT6_jjT7_P12ihipStream_tbENKUlT_T0_SG_SL_E_clISA_SA_SB_SB_EEDaSZ_S10_SG_SL_EUlSZ_E_NS1_11comp_targetILNS1_3genE8ELNS1_11target_archE1030ELNS1_3gpuE2ELNS1_3repE0EEENS1_47radix_sort_onesweep_sort_config_static_selectorELNS0_4arch9wavefront6targetE0EEEvSG_
; %bb.0:
	.section	.rodata,"a",@progbits
	.p2align	6, 0x0
	.amdhsa_kernel _ZN7rocprim17ROCPRIM_400000_NS6detail17trampoline_kernelINS0_14default_configENS1_35radix_sort_onesweep_config_selectorItNS0_10empty_typeEEEZZNS1_29radix_sort_onesweep_iterationIS3_Lb0EPKtPtPS5_SB_mNS0_19identity_decomposerENS1_16block_id_wrapperIjLb0EEEEE10hipError_tT1_PNSt15iterator_traitsISG_E10value_typeET2_T3_PNSH_ISM_E10value_typeET4_T5_PSR_SS_PNS1_23onesweep_lookback_stateEbbT6_jjT7_P12ihipStream_tbENKUlT_T0_SG_SL_E_clISA_SA_SB_SB_EEDaSZ_S10_SG_SL_EUlSZ_E_NS1_11comp_targetILNS1_3genE8ELNS1_11target_archE1030ELNS1_3gpuE2ELNS1_3repE0EEENS1_47radix_sort_onesweep_sort_config_static_selectorELNS0_4arch9wavefront6targetE0EEEvSG_
		.amdhsa_group_segment_fixed_size 0
		.amdhsa_private_segment_fixed_size 0
		.amdhsa_kernarg_size 88
		.amdhsa_user_sgpr_count 2
		.amdhsa_user_sgpr_dispatch_ptr 0
		.amdhsa_user_sgpr_queue_ptr 0
		.amdhsa_user_sgpr_kernarg_segment_ptr 1
		.amdhsa_user_sgpr_dispatch_id 0
		.amdhsa_user_sgpr_kernarg_preload_length 0
		.amdhsa_user_sgpr_kernarg_preload_offset 0
		.amdhsa_user_sgpr_private_segment_size 0
		.amdhsa_wavefront_size32 1
		.amdhsa_uses_dynamic_stack 0
		.amdhsa_enable_private_segment 0
		.amdhsa_system_sgpr_workgroup_id_x 1
		.amdhsa_system_sgpr_workgroup_id_y 0
		.amdhsa_system_sgpr_workgroup_id_z 0
		.amdhsa_system_sgpr_workgroup_info 0
		.amdhsa_system_vgpr_workitem_id 0
		.amdhsa_next_free_vgpr 1
		.amdhsa_next_free_sgpr 1
		.amdhsa_named_barrier_count 0
		.amdhsa_reserve_vcc 0
		.amdhsa_float_round_mode_32 0
		.amdhsa_float_round_mode_16_64 0
		.amdhsa_float_denorm_mode_32 3
		.amdhsa_float_denorm_mode_16_64 3
		.amdhsa_fp16_overflow 0
		.amdhsa_memory_ordered 1
		.amdhsa_forward_progress 1
		.amdhsa_inst_pref_size 0
		.amdhsa_round_robin_scheduling 0
		.amdhsa_exception_fp_ieee_invalid_op 0
		.amdhsa_exception_fp_denorm_src 0
		.amdhsa_exception_fp_ieee_div_zero 0
		.amdhsa_exception_fp_ieee_overflow 0
		.amdhsa_exception_fp_ieee_underflow 0
		.amdhsa_exception_fp_ieee_inexact 0
		.amdhsa_exception_int_div_zero 0
	.end_amdhsa_kernel
	.section	.text._ZN7rocprim17ROCPRIM_400000_NS6detail17trampoline_kernelINS0_14default_configENS1_35radix_sort_onesweep_config_selectorItNS0_10empty_typeEEEZZNS1_29radix_sort_onesweep_iterationIS3_Lb0EPKtPtPS5_SB_mNS0_19identity_decomposerENS1_16block_id_wrapperIjLb0EEEEE10hipError_tT1_PNSt15iterator_traitsISG_E10value_typeET2_T3_PNSH_ISM_E10value_typeET4_T5_PSR_SS_PNS1_23onesweep_lookback_stateEbbT6_jjT7_P12ihipStream_tbENKUlT_T0_SG_SL_E_clISA_SA_SB_SB_EEDaSZ_S10_SG_SL_EUlSZ_E_NS1_11comp_targetILNS1_3genE8ELNS1_11target_archE1030ELNS1_3gpuE2ELNS1_3repE0EEENS1_47radix_sort_onesweep_sort_config_static_selectorELNS0_4arch9wavefront6targetE0EEEvSG_,"axG",@progbits,_ZN7rocprim17ROCPRIM_400000_NS6detail17trampoline_kernelINS0_14default_configENS1_35radix_sort_onesweep_config_selectorItNS0_10empty_typeEEEZZNS1_29radix_sort_onesweep_iterationIS3_Lb0EPKtPtPS5_SB_mNS0_19identity_decomposerENS1_16block_id_wrapperIjLb0EEEEE10hipError_tT1_PNSt15iterator_traitsISG_E10value_typeET2_T3_PNSH_ISM_E10value_typeET4_T5_PSR_SS_PNS1_23onesweep_lookback_stateEbbT6_jjT7_P12ihipStream_tbENKUlT_T0_SG_SL_E_clISA_SA_SB_SB_EEDaSZ_S10_SG_SL_EUlSZ_E_NS1_11comp_targetILNS1_3genE8ELNS1_11target_archE1030ELNS1_3gpuE2ELNS1_3repE0EEENS1_47radix_sort_onesweep_sort_config_static_selectorELNS0_4arch9wavefront6targetE0EEEvSG_,comdat
.Lfunc_end2532:
	.size	_ZN7rocprim17ROCPRIM_400000_NS6detail17trampoline_kernelINS0_14default_configENS1_35radix_sort_onesweep_config_selectorItNS0_10empty_typeEEEZZNS1_29radix_sort_onesweep_iterationIS3_Lb0EPKtPtPS5_SB_mNS0_19identity_decomposerENS1_16block_id_wrapperIjLb0EEEEE10hipError_tT1_PNSt15iterator_traitsISG_E10value_typeET2_T3_PNSH_ISM_E10value_typeET4_T5_PSR_SS_PNS1_23onesweep_lookback_stateEbbT6_jjT7_P12ihipStream_tbENKUlT_T0_SG_SL_E_clISA_SA_SB_SB_EEDaSZ_S10_SG_SL_EUlSZ_E_NS1_11comp_targetILNS1_3genE8ELNS1_11target_archE1030ELNS1_3gpuE2ELNS1_3repE0EEENS1_47radix_sort_onesweep_sort_config_static_selectorELNS0_4arch9wavefront6targetE0EEEvSG_, .Lfunc_end2532-_ZN7rocprim17ROCPRIM_400000_NS6detail17trampoline_kernelINS0_14default_configENS1_35radix_sort_onesweep_config_selectorItNS0_10empty_typeEEEZZNS1_29radix_sort_onesweep_iterationIS3_Lb0EPKtPtPS5_SB_mNS0_19identity_decomposerENS1_16block_id_wrapperIjLb0EEEEE10hipError_tT1_PNSt15iterator_traitsISG_E10value_typeET2_T3_PNSH_ISM_E10value_typeET4_T5_PSR_SS_PNS1_23onesweep_lookback_stateEbbT6_jjT7_P12ihipStream_tbENKUlT_T0_SG_SL_E_clISA_SA_SB_SB_EEDaSZ_S10_SG_SL_EUlSZ_E_NS1_11comp_targetILNS1_3genE8ELNS1_11target_archE1030ELNS1_3gpuE2ELNS1_3repE0EEENS1_47radix_sort_onesweep_sort_config_static_selectorELNS0_4arch9wavefront6targetE0EEEvSG_
                                        ; -- End function
	.set _ZN7rocprim17ROCPRIM_400000_NS6detail17trampoline_kernelINS0_14default_configENS1_35radix_sort_onesweep_config_selectorItNS0_10empty_typeEEEZZNS1_29radix_sort_onesweep_iterationIS3_Lb0EPKtPtPS5_SB_mNS0_19identity_decomposerENS1_16block_id_wrapperIjLb0EEEEE10hipError_tT1_PNSt15iterator_traitsISG_E10value_typeET2_T3_PNSH_ISM_E10value_typeET4_T5_PSR_SS_PNS1_23onesweep_lookback_stateEbbT6_jjT7_P12ihipStream_tbENKUlT_T0_SG_SL_E_clISA_SA_SB_SB_EEDaSZ_S10_SG_SL_EUlSZ_E_NS1_11comp_targetILNS1_3genE8ELNS1_11target_archE1030ELNS1_3gpuE2ELNS1_3repE0EEENS1_47radix_sort_onesweep_sort_config_static_selectorELNS0_4arch9wavefront6targetE0EEEvSG_.num_vgpr, 0
	.set _ZN7rocprim17ROCPRIM_400000_NS6detail17trampoline_kernelINS0_14default_configENS1_35radix_sort_onesweep_config_selectorItNS0_10empty_typeEEEZZNS1_29radix_sort_onesweep_iterationIS3_Lb0EPKtPtPS5_SB_mNS0_19identity_decomposerENS1_16block_id_wrapperIjLb0EEEEE10hipError_tT1_PNSt15iterator_traitsISG_E10value_typeET2_T3_PNSH_ISM_E10value_typeET4_T5_PSR_SS_PNS1_23onesweep_lookback_stateEbbT6_jjT7_P12ihipStream_tbENKUlT_T0_SG_SL_E_clISA_SA_SB_SB_EEDaSZ_S10_SG_SL_EUlSZ_E_NS1_11comp_targetILNS1_3genE8ELNS1_11target_archE1030ELNS1_3gpuE2ELNS1_3repE0EEENS1_47radix_sort_onesweep_sort_config_static_selectorELNS0_4arch9wavefront6targetE0EEEvSG_.num_agpr, 0
	.set _ZN7rocprim17ROCPRIM_400000_NS6detail17trampoline_kernelINS0_14default_configENS1_35radix_sort_onesweep_config_selectorItNS0_10empty_typeEEEZZNS1_29radix_sort_onesweep_iterationIS3_Lb0EPKtPtPS5_SB_mNS0_19identity_decomposerENS1_16block_id_wrapperIjLb0EEEEE10hipError_tT1_PNSt15iterator_traitsISG_E10value_typeET2_T3_PNSH_ISM_E10value_typeET4_T5_PSR_SS_PNS1_23onesweep_lookback_stateEbbT6_jjT7_P12ihipStream_tbENKUlT_T0_SG_SL_E_clISA_SA_SB_SB_EEDaSZ_S10_SG_SL_EUlSZ_E_NS1_11comp_targetILNS1_3genE8ELNS1_11target_archE1030ELNS1_3gpuE2ELNS1_3repE0EEENS1_47radix_sort_onesweep_sort_config_static_selectorELNS0_4arch9wavefront6targetE0EEEvSG_.numbered_sgpr, 0
	.set _ZN7rocprim17ROCPRIM_400000_NS6detail17trampoline_kernelINS0_14default_configENS1_35radix_sort_onesweep_config_selectorItNS0_10empty_typeEEEZZNS1_29radix_sort_onesweep_iterationIS3_Lb0EPKtPtPS5_SB_mNS0_19identity_decomposerENS1_16block_id_wrapperIjLb0EEEEE10hipError_tT1_PNSt15iterator_traitsISG_E10value_typeET2_T3_PNSH_ISM_E10value_typeET4_T5_PSR_SS_PNS1_23onesweep_lookback_stateEbbT6_jjT7_P12ihipStream_tbENKUlT_T0_SG_SL_E_clISA_SA_SB_SB_EEDaSZ_S10_SG_SL_EUlSZ_E_NS1_11comp_targetILNS1_3genE8ELNS1_11target_archE1030ELNS1_3gpuE2ELNS1_3repE0EEENS1_47radix_sort_onesweep_sort_config_static_selectorELNS0_4arch9wavefront6targetE0EEEvSG_.num_named_barrier, 0
	.set _ZN7rocprim17ROCPRIM_400000_NS6detail17trampoline_kernelINS0_14default_configENS1_35radix_sort_onesweep_config_selectorItNS0_10empty_typeEEEZZNS1_29radix_sort_onesweep_iterationIS3_Lb0EPKtPtPS5_SB_mNS0_19identity_decomposerENS1_16block_id_wrapperIjLb0EEEEE10hipError_tT1_PNSt15iterator_traitsISG_E10value_typeET2_T3_PNSH_ISM_E10value_typeET4_T5_PSR_SS_PNS1_23onesweep_lookback_stateEbbT6_jjT7_P12ihipStream_tbENKUlT_T0_SG_SL_E_clISA_SA_SB_SB_EEDaSZ_S10_SG_SL_EUlSZ_E_NS1_11comp_targetILNS1_3genE8ELNS1_11target_archE1030ELNS1_3gpuE2ELNS1_3repE0EEENS1_47radix_sort_onesweep_sort_config_static_selectorELNS0_4arch9wavefront6targetE0EEEvSG_.private_seg_size, 0
	.set _ZN7rocprim17ROCPRIM_400000_NS6detail17trampoline_kernelINS0_14default_configENS1_35radix_sort_onesweep_config_selectorItNS0_10empty_typeEEEZZNS1_29radix_sort_onesweep_iterationIS3_Lb0EPKtPtPS5_SB_mNS0_19identity_decomposerENS1_16block_id_wrapperIjLb0EEEEE10hipError_tT1_PNSt15iterator_traitsISG_E10value_typeET2_T3_PNSH_ISM_E10value_typeET4_T5_PSR_SS_PNS1_23onesweep_lookback_stateEbbT6_jjT7_P12ihipStream_tbENKUlT_T0_SG_SL_E_clISA_SA_SB_SB_EEDaSZ_S10_SG_SL_EUlSZ_E_NS1_11comp_targetILNS1_3genE8ELNS1_11target_archE1030ELNS1_3gpuE2ELNS1_3repE0EEENS1_47radix_sort_onesweep_sort_config_static_selectorELNS0_4arch9wavefront6targetE0EEEvSG_.uses_vcc, 0
	.set _ZN7rocprim17ROCPRIM_400000_NS6detail17trampoline_kernelINS0_14default_configENS1_35radix_sort_onesweep_config_selectorItNS0_10empty_typeEEEZZNS1_29radix_sort_onesweep_iterationIS3_Lb0EPKtPtPS5_SB_mNS0_19identity_decomposerENS1_16block_id_wrapperIjLb0EEEEE10hipError_tT1_PNSt15iterator_traitsISG_E10value_typeET2_T3_PNSH_ISM_E10value_typeET4_T5_PSR_SS_PNS1_23onesweep_lookback_stateEbbT6_jjT7_P12ihipStream_tbENKUlT_T0_SG_SL_E_clISA_SA_SB_SB_EEDaSZ_S10_SG_SL_EUlSZ_E_NS1_11comp_targetILNS1_3genE8ELNS1_11target_archE1030ELNS1_3gpuE2ELNS1_3repE0EEENS1_47radix_sort_onesweep_sort_config_static_selectorELNS0_4arch9wavefront6targetE0EEEvSG_.uses_flat_scratch, 0
	.set _ZN7rocprim17ROCPRIM_400000_NS6detail17trampoline_kernelINS0_14default_configENS1_35radix_sort_onesweep_config_selectorItNS0_10empty_typeEEEZZNS1_29radix_sort_onesweep_iterationIS3_Lb0EPKtPtPS5_SB_mNS0_19identity_decomposerENS1_16block_id_wrapperIjLb0EEEEE10hipError_tT1_PNSt15iterator_traitsISG_E10value_typeET2_T3_PNSH_ISM_E10value_typeET4_T5_PSR_SS_PNS1_23onesweep_lookback_stateEbbT6_jjT7_P12ihipStream_tbENKUlT_T0_SG_SL_E_clISA_SA_SB_SB_EEDaSZ_S10_SG_SL_EUlSZ_E_NS1_11comp_targetILNS1_3genE8ELNS1_11target_archE1030ELNS1_3gpuE2ELNS1_3repE0EEENS1_47radix_sort_onesweep_sort_config_static_selectorELNS0_4arch9wavefront6targetE0EEEvSG_.has_dyn_sized_stack, 0
	.set _ZN7rocprim17ROCPRIM_400000_NS6detail17trampoline_kernelINS0_14default_configENS1_35radix_sort_onesweep_config_selectorItNS0_10empty_typeEEEZZNS1_29radix_sort_onesweep_iterationIS3_Lb0EPKtPtPS5_SB_mNS0_19identity_decomposerENS1_16block_id_wrapperIjLb0EEEEE10hipError_tT1_PNSt15iterator_traitsISG_E10value_typeET2_T3_PNSH_ISM_E10value_typeET4_T5_PSR_SS_PNS1_23onesweep_lookback_stateEbbT6_jjT7_P12ihipStream_tbENKUlT_T0_SG_SL_E_clISA_SA_SB_SB_EEDaSZ_S10_SG_SL_EUlSZ_E_NS1_11comp_targetILNS1_3genE8ELNS1_11target_archE1030ELNS1_3gpuE2ELNS1_3repE0EEENS1_47radix_sort_onesweep_sort_config_static_selectorELNS0_4arch9wavefront6targetE0EEEvSG_.has_recursion, 0
	.set _ZN7rocprim17ROCPRIM_400000_NS6detail17trampoline_kernelINS0_14default_configENS1_35radix_sort_onesweep_config_selectorItNS0_10empty_typeEEEZZNS1_29radix_sort_onesweep_iterationIS3_Lb0EPKtPtPS5_SB_mNS0_19identity_decomposerENS1_16block_id_wrapperIjLb0EEEEE10hipError_tT1_PNSt15iterator_traitsISG_E10value_typeET2_T3_PNSH_ISM_E10value_typeET4_T5_PSR_SS_PNS1_23onesweep_lookback_stateEbbT6_jjT7_P12ihipStream_tbENKUlT_T0_SG_SL_E_clISA_SA_SB_SB_EEDaSZ_S10_SG_SL_EUlSZ_E_NS1_11comp_targetILNS1_3genE8ELNS1_11target_archE1030ELNS1_3gpuE2ELNS1_3repE0EEENS1_47radix_sort_onesweep_sort_config_static_selectorELNS0_4arch9wavefront6targetE0EEEvSG_.has_indirect_call, 0
	.section	.AMDGPU.csdata,"",@progbits
; Kernel info:
; codeLenInByte = 0
; TotalNumSgprs: 0
; NumVgprs: 0
; ScratchSize: 0
; MemoryBound: 0
; FloatMode: 240
; IeeeMode: 1
; LDSByteSize: 0 bytes/workgroup (compile time only)
; SGPRBlocks: 0
; VGPRBlocks: 0
; NumSGPRsForWavesPerEU: 1
; NumVGPRsForWavesPerEU: 1
; NamedBarCnt: 0
; Occupancy: 16
; WaveLimiterHint : 0
; COMPUTE_PGM_RSRC2:SCRATCH_EN: 0
; COMPUTE_PGM_RSRC2:USER_SGPR: 2
; COMPUTE_PGM_RSRC2:TRAP_HANDLER: 0
; COMPUTE_PGM_RSRC2:TGID_X_EN: 1
; COMPUTE_PGM_RSRC2:TGID_Y_EN: 0
; COMPUTE_PGM_RSRC2:TGID_Z_EN: 0
; COMPUTE_PGM_RSRC2:TIDIG_COMP_CNT: 0
	.section	.text._ZN7rocprim17ROCPRIM_400000_NS6detail17trampoline_kernelINS0_13kernel_configILj256ELj4ELj4294967295EEENS1_37radix_sort_block_sort_config_selectorIjNS0_10empty_typeEEEZNS1_21radix_sort_block_sortIS4_Lb1EPKjPjPS6_SC_NS0_19identity_decomposerEEE10hipError_tT1_T2_T3_T4_jRjT5_jjP12ihipStream_tbEUlT_E_NS1_11comp_targetILNS1_3genE0ELNS1_11target_archE4294967295ELNS1_3gpuE0ELNS1_3repE0EEENS1_44radix_sort_block_sort_config_static_selectorELNS0_4arch9wavefront6targetE0EEEvSF_,"axG",@progbits,_ZN7rocprim17ROCPRIM_400000_NS6detail17trampoline_kernelINS0_13kernel_configILj256ELj4ELj4294967295EEENS1_37radix_sort_block_sort_config_selectorIjNS0_10empty_typeEEEZNS1_21radix_sort_block_sortIS4_Lb1EPKjPjPS6_SC_NS0_19identity_decomposerEEE10hipError_tT1_T2_T3_T4_jRjT5_jjP12ihipStream_tbEUlT_E_NS1_11comp_targetILNS1_3genE0ELNS1_11target_archE4294967295ELNS1_3gpuE0ELNS1_3repE0EEENS1_44radix_sort_block_sort_config_static_selectorELNS0_4arch9wavefront6targetE0EEEvSF_,comdat
	.protected	_ZN7rocprim17ROCPRIM_400000_NS6detail17trampoline_kernelINS0_13kernel_configILj256ELj4ELj4294967295EEENS1_37radix_sort_block_sort_config_selectorIjNS0_10empty_typeEEEZNS1_21radix_sort_block_sortIS4_Lb1EPKjPjPS6_SC_NS0_19identity_decomposerEEE10hipError_tT1_T2_T3_T4_jRjT5_jjP12ihipStream_tbEUlT_E_NS1_11comp_targetILNS1_3genE0ELNS1_11target_archE4294967295ELNS1_3gpuE0ELNS1_3repE0EEENS1_44radix_sort_block_sort_config_static_selectorELNS0_4arch9wavefront6targetE0EEEvSF_ ; -- Begin function _ZN7rocprim17ROCPRIM_400000_NS6detail17trampoline_kernelINS0_13kernel_configILj256ELj4ELj4294967295EEENS1_37radix_sort_block_sort_config_selectorIjNS0_10empty_typeEEEZNS1_21radix_sort_block_sortIS4_Lb1EPKjPjPS6_SC_NS0_19identity_decomposerEEE10hipError_tT1_T2_T3_T4_jRjT5_jjP12ihipStream_tbEUlT_E_NS1_11comp_targetILNS1_3genE0ELNS1_11target_archE4294967295ELNS1_3gpuE0ELNS1_3repE0EEENS1_44radix_sort_block_sort_config_static_selectorELNS0_4arch9wavefront6targetE0EEEvSF_
	.globl	_ZN7rocprim17ROCPRIM_400000_NS6detail17trampoline_kernelINS0_13kernel_configILj256ELj4ELj4294967295EEENS1_37radix_sort_block_sort_config_selectorIjNS0_10empty_typeEEEZNS1_21radix_sort_block_sortIS4_Lb1EPKjPjPS6_SC_NS0_19identity_decomposerEEE10hipError_tT1_T2_T3_T4_jRjT5_jjP12ihipStream_tbEUlT_E_NS1_11comp_targetILNS1_3genE0ELNS1_11target_archE4294967295ELNS1_3gpuE0ELNS1_3repE0EEENS1_44radix_sort_block_sort_config_static_selectorELNS0_4arch9wavefront6targetE0EEEvSF_
	.p2align	8
	.type	_ZN7rocprim17ROCPRIM_400000_NS6detail17trampoline_kernelINS0_13kernel_configILj256ELj4ELj4294967295EEENS1_37radix_sort_block_sort_config_selectorIjNS0_10empty_typeEEEZNS1_21radix_sort_block_sortIS4_Lb1EPKjPjPS6_SC_NS0_19identity_decomposerEEE10hipError_tT1_T2_T3_T4_jRjT5_jjP12ihipStream_tbEUlT_E_NS1_11comp_targetILNS1_3genE0ELNS1_11target_archE4294967295ELNS1_3gpuE0ELNS1_3repE0EEENS1_44radix_sort_block_sort_config_static_selectorELNS0_4arch9wavefront6targetE0EEEvSF_,@function
_ZN7rocprim17ROCPRIM_400000_NS6detail17trampoline_kernelINS0_13kernel_configILj256ELj4ELj4294967295EEENS1_37radix_sort_block_sort_config_selectorIjNS0_10empty_typeEEEZNS1_21radix_sort_block_sortIS4_Lb1EPKjPjPS6_SC_NS0_19identity_decomposerEEE10hipError_tT1_T2_T3_T4_jRjT5_jjP12ihipStream_tbEUlT_E_NS1_11comp_targetILNS1_3genE0ELNS1_11target_archE4294967295ELNS1_3gpuE0ELNS1_3repE0EEENS1_44radix_sort_block_sort_config_static_selectorELNS0_4arch9wavefront6targetE0EEEvSF_: ; @_ZN7rocprim17ROCPRIM_400000_NS6detail17trampoline_kernelINS0_13kernel_configILj256ELj4ELj4294967295EEENS1_37radix_sort_block_sort_config_selectorIjNS0_10empty_typeEEEZNS1_21radix_sort_block_sortIS4_Lb1EPKjPjPS6_SC_NS0_19identity_decomposerEEE10hipError_tT1_T2_T3_T4_jRjT5_jjP12ihipStream_tbEUlT_E_NS1_11comp_targetILNS1_3genE0ELNS1_11target_archE4294967295ELNS1_3gpuE0ELNS1_3repE0EEENS1_44radix_sort_block_sort_config_static_selectorELNS0_4arch9wavefront6targetE0EEEvSF_
; %bb.0:
	s_clause 0x1
	s_load_b32 s4, s[0:1], 0x20
	s_load_b128 s[16:19], s[0:1], 0x0
	s_bfe_u32 s5, ttmp6, 0x4000c
	s_and_b32 s2, ttmp6, 15
	s_add_co_i32 s5, s5, 1
	s_getreg_b32 s6, hwreg(HW_REG_IB_STS2, 6, 4)
	s_mul_i32 s5, ttmp9, s5
	v_and_b32_e32 v14, 0x3ff, v0
	s_add_co_i32 s2, s2, s5
	s_cmp_eq_u32 s6, 0
	v_mbcnt_lo_u32_b32 v1, -1, 0
	s_cselect_b32 s5, ttmp9, s2
	v_dual_mov_b32 v7, 0 :: v_dual_lshlrev_b32 v8, 2, v14
	s_lshl_b32 s2, s5, 10
	s_mov_b32 s3, 0
	v_lshlrev_b32_e32 v6, 2, v1
	s_delay_alu instid0(VALU_DEP_2) | instskip(SKIP_2) | instid1(SALU_CYCLE_1)
	v_and_b32_e32 v9, 0x380, v8
	s_wait_kmcnt 0x0
	s_lshr_b32 s8, s4, 10
	s_cmp_lg_u32 s5, s8
	s_cselect_b32 s25, -1, 0
	s_lshl_b64 s[20:21], s[2:3], 2
	s_cmp_eq_u32 s5, s8
	s_add_nc_u64 s[6:7], s[16:17], s[20:21]
	s_mov_b32 s5, -1
	v_add_nc_u64_e32 v[2:3], s[6:7], v[6:7]
	v_lshlrev_b32_e32 v6, 2, v9
	s_delay_alu instid0(VALU_DEP_1)
	v_add_nc_u64_e32 v[10:11], v[2:3], v[6:7]
                                        ; implicit-def: $vgpr2_vgpr3_vgpr4_vgpr5
	s_cbranch_scc0 .LBB2533_24
; %bb.1:
	s_load_b64 s[22:23], s[0:1], 0x28
	s_and_not1_b32 vcc_lo, exec_lo, s5
	s_sub_co_i32 s24, s4, s2
	s_cbranch_vccz .LBB2533_25
.LBB2533_2:
	s_and_saveexec_b32 s2, s3
	s_cbranch_execz .LBB2533_4
.LBB2533_3:
	global_load_b32 v5, v[10:11], off offset:384
.LBB2533_4:
	s_wait_xcnt 0x0
	s_or_b32 exec_lo, exec_lo, s2
	s_load_b32 s6, s[0:1], 0x3c
	v_bfe_u32 v7, v0, 10, 10
	v_bfe_u32 v0, v0, 20, 10
	s_get_pc_i64 s[4:5]
	s_add_nc_u64 s[4:5], s[4:5], _ZN7rocprim17ROCPRIM_400000_NS16block_radix_sortIjLj256ELj4ENS0_10empty_typeELj1ELj1ELj0ELNS0_26block_radix_rank_algorithmE1ELNS0_18block_padding_hintE2ELNS0_4arch9wavefront6targetE0EE19radix_bits_per_passE@rel64+4
	v_sub_co_u32 v13, s2, v1, 1
	v_and_b32_e32 v12, 0x3e0, v14
	s_load_b32 s26, s[4:5], 0x0
	v_dual_lshlrev_b32 v9, 5, v14 :: v_dual_bitop2_b32 v10, 15, v1 bitop3:0x40
	s_delay_alu instid0(VALU_DEP_3)
	v_cmp_gt_i32_e32 vcc_lo, 0, v13
	v_dual_lshrrev_b32 v15, 3, v14 :: v_dual_bitop2_b32 v11, 16, v1 bitop3:0x40
	v_and_b32_e32 v17, 7, v1
	s_wait_xcnt 0x0
	v_cmp_eq_u32_e64 s4, 0, v10
	v_cmp_lt_u32_e64 s5, 1, v10
	s_mov_b32 s14, 0
	v_mul_i32_i24_e32 v16, 0xffffffe4, v14
	v_and_b32_e32 v15, 0x7c, v15
	s_mov_b32 s15, s14
	s_wait_kmcnt 0x0
	s_lshr_b32 s7, s6, 16
	s_and_b32 s6, s6, 0xffff
	v_mad_u32_u24 v0, v0, s7, v7
	v_min_u32_e32 v7, 0xe0, v12
	v_cmp_lt_u32_e64 s7, 7, v10
	s_mov_b32 s16, s14
	s_mov_b32 s17, s14
	v_mad_u32 v0, v0, s6, v14
	v_cmp_lt_u32_e64 s6, 3, v10
	v_dual_cndmask_b32 v10, v13, v1, vcc_lo :: v_dual_bitop2_b32 v7, 31, v7 bitop3:0x54
	v_cmp_eq_u32_e64 s8, 0, v11
	v_cmp_eq_u32_e64 s9, 0, v17
	v_cmp_lt_u32_e64 s10, 1, v17
	v_cmp_lt_u32_e64 s11, 3, v17
	v_dual_lshlrev_b32 v17, 2, v10 :: v_dual_add_nc_u32 v18, -4, v15
	v_mov_b64_e32 v[10:11], s[14:15]
	v_lshrrev_b32_e32 v0, 3, v0
	v_mov_b64_e32 v[12:13], s[16:17]
	s_wait_loadcnt 0x2
	v_not_b32_e32 v2, v2
	s_wait_loadcnt 0x0
	v_not_b32_e32 v3, v3
	v_not_b32_e32 v4, v4
	;; [unrolled: 1-line block ×3, first 2 shown]
	v_cmp_gt_u32_e64 s0, 8, v14
	v_cmp_lt_u32_e64 s1, 31, v14
	v_cmp_eq_u32_e64 s3, 0, v14
	v_cmp_eq_u32_e64 s12, v14, v7
	v_and_b32_e32 v19, 0x1ffffffc, v0
	v_lshl_add_u32 v20, v1, 2, v6
	v_add_nc_u32_e32 v16, v9, v16
	s_add_co_i32 s27, s23, s22
	s_branch .LBB2533_6
.LBB2533_5:                             ;   in Loop: Header=BB2533_6 Depth=1
	s_and_not1_b32 vcc_lo, exec_lo, s14
	s_mov_b32 s23, s13
	s_cbranch_vccz .LBB2533_22
.LBB2533_6:                             ; =>This Inner Loop Header: Depth=1
	v_mov_b32_e32 v21, v2
	s_min_u32 s13, s26, s23
	ds_store_2addr_b64 v9, v[10:11], v[12:13] offset0:4 offset1:5
	ds_store_2addr_b64 v9, v[10:11], v[12:13] offset0:6 offset1:7
	s_lshl_b32 s28, -1, s13
	s_wait_dscnt 0x0
	v_lshrrev_b32_e32 v0, s22, v21
	s_barrier_signal -1
	s_barrier_wait -1
	s_delay_alu instid0(VALU_DEP_1) | instskip(NEXT) | instid1(VALU_DEP_1)
	v_bitop3_b32 v2, v0, s28, v0 bitop3:0x30
	; wave barrier
	v_lshlrev_b32_e32 v7, 29, v2
	v_bitop3_b32 v1, v0, 1, s28 bitop3:0x40
	v_dual_lshlrev_b32 v6, 30, v2 :: v_dual_lshlrev_b32 v22, 28, v2
	v_dual_lshlrev_b32 v23, 27, v2 :: v_dual_lshlrev_b32 v24, 26, v2
	v_lshlrev_b32_e32 v25, 25, v2
	s_delay_alu instid0(VALU_DEP_4) | instskip(NEXT) | instid1(VALU_DEP_1)
	v_add_co_u32 v0, s13, v1, -1
	v_cndmask_b32_e64 v1, 0, 1, s13
	v_cmp_gt_i32_e64 s13, 0, v6
	v_cmp_gt_i32_e64 s14, 0, v7
	;; [unrolled: 1-line block ×4, first 2 shown]
	v_cmp_ne_u32_e32 vcc_lo, 0, v1
	v_not_b32_e32 v1, v6
	v_lshlrev_b32_e32 v26, 24, v2
	v_not_b32_e32 v6, v7
	v_not_b32_e32 v7, v22
	;; [unrolled: 1-line block ×3, first 2 shown]
	v_dual_ashrrev_i32 v1, 31, v1 :: v_dual_bitop2_b32 v0, vcc_lo, v0 bitop3:0x14
	s_delay_alu instid0(VALU_DEP_3) | instskip(SKIP_1) | instid1(VALU_DEP_3)
	v_dual_ashrrev_i32 v6, 31, v6 :: v_dual_ashrrev_i32 v7, 31, v7
	v_not_b32_e32 v23, v24
	v_xor_b32_e32 v1, s13, v1
	v_cmp_gt_i32_e64 s17, 0, v24
	s_delay_alu instid0(VALU_DEP_4) | instskip(NEXT) | instid1(VALU_DEP_4)
	v_dual_ashrrev_i32 v22, 31, v22 :: v_dual_bitop2_b32 v7, s15, v7 bitop3:0x14
	v_dual_ashrrev_i32 v23, 31, v23 :: v_dual_bitop2_b32 v6, s14, v6 bitop3:0x14
	s_delay_alu instid0(VALU_DEP_4)
	v_bitop3_b32 v0, v0, v1, exec_lo bitop3:0x80
	v_not_b32_e32 v1, v25
	v_not_b32_e32 v24, v26
	v_xor_b32_e32 v22, s16, v22
	v_cmp_gt_i32_e32 vcc_lo, 0, v25
	v_bitop3_b32 v0, v0, v7, v6 bitop3:0x80
	v_ashrrev_i32_e32 v1, 31, v1
	v_cmp_gt_i32_e64 s13, 0, v26
	v_dual_ashrrev_i32 v6, 31, v24 :: v_dual_bitop2_b32 v7, s17, v23 bitop3:0x14
	s_delay_alu instid0(VALU_DEP_3) | instskip(NEXT) | instid1(VALU_DEP_2)
	v_dual_mov_b32 v23, v4 :: v_dual_bitop2_b32 v1, vcc_lo, v1 bitop3:0x14
	v_dual_mov_b32 v24, v3 :: v_dual_bitop2_b32 v6, s13, v6 bitop3:0x14
	s_delay_alu instid0(VALU_DEP_3) | instskip(SKIP_1) | instid1(VALU_DEP_2)
	v_bitop3_b32 v0, v0, v7, v22 bitop3:0x80
	v_mov_b32_e32 v22, v5
	v_bitop3_b32 v0, v0, v6, v1 bitop3:0x80
	v_lshlrev_b32_e32 v1, 5, v2
	s_delay_alu instid0(VALU_DEP_2) | instskip(SKIP_1) | instid1(VALU_DEP_3)
	v_mbcnt_lo_u32_b32 v25, v0, 0
	v_cmp_ne_u32_e64 s13, 0, v0
	v_add_nc_u32_e32 v26, v19, v1
	s_delay_alu instid0(VALU_DEP_3) | instskip(SKIP_1) | instid1(SALU_CYCLE_1)
	v_cmp_eq_u32_e32 vcc_lo, 0, v25
	s_and_b32 s14, s13, vcc_lo
	s_and_saveexec_b32 s13, s14
; %bb.7:                                ;   in Loop: Header=BB2533_6 Depth=1
	v_bcnt_u32_b32 v0, v0, 0
	ds_store_b32 v26, v0 offset:32
; %bb.8:                                ;   in Loop: Header=BB2533_6 Depth=1
	s_or_b32 exec_lo, exec_lo, s13
	v_lshrrev_b32_e32 v0, s22, v24
	s_not_b32 s17, s28
	; wave barrier
	s_delay_alu instid0(VALU_DEP_1) | instid1(SALU_CYCLE_1)
	v_and_b32_e32 v1, s17, v0
	s_delay_alu instid0(VALU_DEP_1) | instskip(SKIP_1) | instid1(VALU_DEP_2)
	v_lshlrev_b32_e32 v2, 5, v1
	v_bitop3_b32 v0, v0, 1, s17 bitop3:0x80
	v_dual_lshlrev_b32 v4, 30, v1 :: v_dual_add_nc_u32 v28, v19, v2
	s_delay_alu instid0(VALU_DEP_2) | instskip(NEXT) | instid1(VALU_DEP_1)
	v_add_co_u32 v0, s13, v0, -1
	v_cndmask_b32_e64 v3, 0, 1, s13
	s_delay_alu instid0(VALU_DEP_1) | instskip(NEXT) | instid1(VALU_DEP_4)
	v_cmp_ne_u32_e32 vcc_lo, 0, v3
	v_not_b32_e32 v3, v4
	s_delay_alu instid0(VALU_DEP_1) | instskip(SKIP_4) | instid1(VALU_DEP_4)
	v_dual_ashrrev_i32 v3, 31, v3 :: v_dual_bitop2_b32 v0, vcc_lo, v0 bitop3:0x14
	v_dual_lshlrev_b32 v5, 29, v1 :: v_dual_lshlrev_b32 v6, 28, v1
	v_lshlrev_b32_e32 v7, 27, v1
	v_cmp_gt_i32_e64 s13, 0, v4
	v_lshlrev_b32_e32 v27, 26, v1
	v_cmp_gt_i32_e64 s14, 0, v5
	v_not_b32_e32 v4, v5
	v_not_b32_e32 v5, v6
	v_cmp_gt_i32_e64 s15, 0, v6
	v_xor_b32_e32 v3, s13, v3
	v_not_b32_e32 v6, v7
	s_delay_alu instid0(VALU_DEP_4) | instskip(SKIP_3) | instid1(VALU_DEP_4)
	v_dual_ashrrev_i32 v4, 31, v4 :: v_dual_ashrrev_i32 v5, 31, v5
	v_cmp_gt_i32_e64 s16, 0, v7
	v_not_b32_e32 v7, v27
	v_bitop3_b32 v0, v0, v3, exec_lo bitop3:0x80
	v_dual_ashrrev_i32 v3, 31, v6 :: v_dual_bitop2_b32 v4, s14, v4 bitop3:0x14
	s_delay_alu instid0(VALU_DEP_3) | instskip(SKIP_1) | instid1(VALU_DEP_3)
	v_dual_ashrrev_i32 v7, 31, v7 :: v_dual_bitop2_b32 v5, s15, v5 bitop3:0x14
	v_dual_lshlrev_b32 v6, 25, v1 :: v_dual_lshlrev_b32 v1, 24, v1
	v_xor_b32_e32 v3, s16, v3
	v_cmp_gt_i32_e32 vcc_lo, 0, v27
	s_delay_alu instid0(VALU_DEP_4) | instskip(NEXT) | instid1(VALU_DEP_4)
	v_bitop3_b32 v0, v0, v5, v4 bitop3:0x80
	v_not_b32_e32 v4, v6
	v_not_b32_e32 v5, v1
	v_cmp_gt_i32_e64 s13, 0, v1
	v_xor_b32_e32 v7, vcc_lo, v7
	v_cmp_gt_i32_e32 vcc_lo, 0, v6
	s_delay_alu instid0(VALU_DEP_4) | instskip(SKIP_4) | instid1(VALU_DEP_1)
	v_dual_ashrrev_i32 v4, 31, v4 :: v_dual_ashrrev_i32 v1, 31, v5
	ds_load_b32 v27, v28 offset:32
	v_bitop3_b32 v0, v0, v7, v3 bitop3:0x80
	v_xor_b32_e32 v2, vcc_lo, v4
	v_xor_b32_e32 v1, s13, v1
	; wave barrier
	v_bitop3_b32 v0, v0, v1, v2 bitop3:0x80
	s_delay_alu instid0(VALU_DEP_1) | instskip(SKIP_1) | instid1(VALU_DEP_2)
	v_mbcnt_lo_u32_b32 v29, v0, 0
	v_cmp_ne_u32_e64 s13, 0, v0
	v_cmp_eq_u32_e32 vcc_lo, 0, v29
	s_and_b32 s14, s13, vcc_lo
	s_delay_alu instid0(SALU_CYCLE_1)
	s_and_saveexec_b32 s13, s14
	s_cbranch_execz .LBB2533_10
; %bb.9:                                ;   in Loop: Header=BB2533_6 Depth=1
	s_wait_dscnt 0x0
	v_bcnt_u32_b32 v0, v0, v27
	ds_store_b32 v28, v0 offset:32
.LBB2533_10:                            ;   in Loop: Header=BB2533_6 Depth=1
	s_or_b32 exec_lo, exec_lo, s13
	v_lshrrev_b32_e32 v0, s22, v23
	; wave barrier
	s_delay_alu instid0(VALU_DEP_1) | instskip(NEXT) | instid1(VALU_DEP_1)
	v_and_b32_e32 v1, s17, v0
	v_lshlrev_b32_e32 v2, 5, v1
	v_bitop3_b32 v0, v0, 1, s17 bitop3:0x80
	v_lshlrev_b32_e32 v4, 30, v1
	s_delay_alu instid0(VALU_DEP_2) | instskip(NEXT) | instid1(VALU_DEP_1)
	v_add_co_u32 v0, s13, v0, -1
	v_cndmask_b32_e64 v3, 0, 1, s13
	s_delay_alu instid0(VALU_DEP_1) | instskip(NEXT) | instid1(VALU_DEP_4)
	v_cmp_ne_u32_e32 vcc_lo, 0, v3
	v_not_b32_e32 v3, v4
	s_delay_alu instid0(VALU_DEP_1) | instskip(SKIP_4) | instid1(VALU_DEP_4)
	v_dual_ashrrev_i32 v3, 31, v3 :: v_dual_bitop2_b32 v0, vcc_lo, v0 bitop3:0x14
	v_dual_lshlrev_b32 v5, 29, v1 :: v_dual_lshlrev_b32 v6, 28, v1
	v_dual_lshlrev_b32 v7, 27, v1 :: v_dual_lshlrev_b32 v30, 26, v1
	v_lshlrev_b32_e32 v31, 25, v1
	v_cmp_gt_i32_e64 s13, 0, v4
	v_cmp_gt_i32_e64 s14, 0, v5
	v_not_b32_e32 v4, v5
	v_not_b32_e32 v5, v6
	v_lshlrev_b32_e32 v1, 24, v1
	v_cmp_gt_i32_e64 s15, 0, v6
	v_not_b32_e32 v32, v30
	s_delay_alu instid0(VALU_DEP_4) | instskip(SKIP_3) | instid1(VALU_DEP_4)
	v_dual_ashrrev_i32 v4, 31, v4 :: v_dual_ashrrev_i32 v5, 31, v5
	v_xor_b32_e32 v3, s13, v3
	v_not_b32_e32 v6, v7
	v_cmp_gt_i32_e32 vcc_lo, 0, v7
	v_xor_b32_e32 v4, s14, v4
	v_xor_b32_e32 v5, s15, v5
	v_bitop3_b32 v0, v0, v3, exec_lo bitop3:0x80
	v_ashrrev_i32_e32 v3, 31, v6
	v_cmp_gt_i32_e64 s13, 0, v30
	v_ashrrev_i32_e32 v6, 31, v32
	s_delay_alu instid0(VALU_DEP_4)
	v_bitop3_b32 v0, v0, v5, v4 bitop3:0x80
	v_not_b32_e32 v4, v31
	v_not_b32_e32 v5, v1
	v_xor_b32_e32 v3, vcc_lo, v3
	v_xor_b32_e32 v6, s13, v6
	v_cmp_gt_i32_e32 vcc_lo, 0, v31
	v_ashrrev_i32_e32 v4, 31, v4
	v_cmp_gt_i32_e64 s13, 0, v1
	v_dual_ashrrev_i32 v1, 31, v5 :: v_dual_add_nc_u32 v32, v19, v2
	v_bitop3_b32 v0, v0, v6, v3 bitop3:0x80
	s_delay_alu instid0(VALU_DEP_4) | instskip(NEXT) | instid1(VALU_DEP_3)
	v_xor_b32_e32 v2, vcc_lo, v4
	v_xor_b32_e32 v1, s13, v1
	ds_load_b32 v30, v32 offset:32
	; wave barrier
	v_bitop3_b32 v0, v0, v1, v2 bitop3:0x80
	s_delay_alu instid0(VALU_DEP_1) | instskip(SKIP_1) | instid1(VALU_DEP_2)
	v_mbcnt_lo_u32_b32 v31, v0, 0
	v_cmp_ne_u32_e64 s13, 0, v0
	v_cmp_eq_u32_e32 vcc_lo, 0, v31
	s_and_b32 s14, s13, vcc_lo
	s_delay_alu instid0(SALU_CYCLE_1)
	s_and_saveexec_b32 s13, s14
	s_cbranch_execz .LBB2533_12
; %bb.11:                               ;   in Loop: Header=BB2533_6 Depth=1
	s_wait_dscnt 0x0
	v_bcnt_u32_b32 v0, v0, v30
	ds_store_b32 v32, v0 offset:32
.LBB2533_12:                            ;   in Loop: Header=BB2533_6 Depth=1
	s_or_b32 exec_lo, exec_lo, s13
	v_lshrrev_b32_e32 v0, s22, v22
	; wave barrier
	s_delay_alu instid0(VALU_DEP_1) | instskip(NEXT) | instid1(VALU_DEP_1)
	v_and_b32_e32 v1, s17, v0
	v_lshlrev_b32_e32 v2, 5, v1
	v_bitop3_b32 v0, v0, 1, s17 bitop3:0x80
	v_lshlrev_b32_e32 v4, 30, v1
	s_delay_alu instid0(VALU_DEP_2) | instskip(NEXT) | instid1(VALU_DEP_1)
	v_add_co_u32 v0, s13, v0, -1
	v_cndmask_b32_e64 v3, 0, 1, s13
	s_delay_alu instid0(VALU_DEP_1) | instskip(NEXT) | instid1(VALU_DEP_4)
	v_cmp_ne_u32_e32 vcc_lo, 0, v3
	v_not_b32_e32 v3, v4
	s_delay_alu instid0(VALU_DEP_1) | instskip(SKIP_4) | instid1(VALU_DEP_4)
	v_dual_ashrrev_i32 v3, 31, v3 :: v_dual_bitop2_b32 v0, vcc_lo, v0 bitop3:0x14
	v_dual_lshlrev_b32 v5, 29, v1 :: v_dual_lshlrev_b32 v6, 28, v1
	v_lshlrev_b32_e32 v7, 27, v1
	v_cmp_gt_i32_e64 s13, 0, v4
	v_dual_lshlrev_b32 v33, 26, v1 :: v_dual_lshlrev_b32 v34, 25, v1
	v_cmp_gt_i32_e64 s14, 0, v5
	v_not_b32_e32 v4, v5
	v_not_b32_e32 v5, v6
	v_lshlrev_b32_e32 v1, 24, v1
	v_cmp_gt_i32_e64 s15, 0, v6
	s_delay_alu instid0(VALU_DEP_4) | instskip(NEXT) | instid1(VALU_DEP_4)
	v_dual_ashrrev_i32 v4, 31, v4 :: v_dual_bitop2_b32 v3, s13, v3 bitop3:0x14
	v_ashrrev_i32_e32 v5, 31, v5
	v_not_b32_e32 v6, v7
	v_not_b32_e32 v35, v33
	s_delay_alu instid0(VALU_DEP_4)
	v_bitop3_b32 v0, v0, v3, exec_lo bitop3:0x80
	v_xor_b32_e32 v4, s14, v4
	v_xor_b32_e32 v5, s15, v5
	v_cmp_gt_i32_e32 vcc_lo, 0, v7
	v_ashrrev_i32_e32 v3, 31, v6
	v_cmp_gt_i32_e64 s13, 0, v33
	v_ashrrev_i32_e32 v6, 31, v35
	v_bitop3_b32 v0, v0, v5, v4 bitop3:0x80
	v_not_b32_e32 v4, v34
	v_not_b32_e32 v5, v1
	v_xor_b32_e32 v3, vcc_lo, v3
	v_xor_b32_e32 v6, s13, v6
	v_cmp_gt_i32_e32 vcc_lo, 0, v34
	v_ashrrev_i32_e32 v4, 31, v4
	v_cmp_gt_i32_e64 s13, 0, v1
	v_dual_ashrrev_i32 v1, 31, v5 :: v_dual_add_nc_u32 v35, v19, v2
	v_bitop3_b32 v0, v0, v6, v3 bitop3:0x80
	s_delay_alu instid0(VALU_DEP_4) | instskip(NEXT) | instid1(VALU_DEP_3)
	v_xor_b32_e32 v2, vcc_lo, v4
	v_xor_b32_e32 v1, s13, v1
	ds_load_b32 v33, v35 offset:32
	; wave barrier
	v_bitop3_b32 v0, v0, v1, v2 bitop3:0x80
	s_delay_alu instid0(VALU_DEP_1) | instskip(SKIP_1) | instid1(VALU_DEP_2)
	v_mbcnt_lo_u32_b32 v34, v0, 0
	v_cmp_ne_u32_e64 s13, 0, v0
	v_cmp_eq_u32_e32 vcc_lo, 0, v34
	s_and_b32 s14, s13, vcc_lo
	s_delay_alu instid0(SALU_CYCLE_1)
	s_and_saveexec_b32 s13, s14
	s_cbranch_execz .LBB2533_14
; %bb.13:                               ;   in Loop: Header=BB2533_6 Depth=1
	s_wait_dscnt 0x0
	v_bcnt_u32_b32 v0, v0, v33
	ds_store_b32 v35, v0 offset:32
.LBB2533_14:                            ;   in Loop: Header=BB2533_6 Depth=1
	s_or_b32 exec_lo, exec_lo, s13
	; wave barrier
	s_wait_dscnt 0x0
	s_barrier_signal -1
	s_barrier_wait -1
	ds_load_2addr_b64 v[4:7], v9 offset0:4 offset1:5
	ds_load_2addr_b64 v[0:3], v9 offset0:6 offset1:7
	s_wait_dscnt 0x1
	v_add_nc_u32_e32 v36, v5, v4
	s_delay_alu instid0(VALU_DEP_1) | instskip(SKIP_1) | instid1(VALU_DEP_1)
	v_add3_u32 v36, v36, v6, v7
	s_wait_dscnt 0x0
	v_add3_u32 v36, v36, v0, v1
	s_delay_alu instid0(VALU_DEP_1) | instskip(NEXT) | instid1(VALU_DEP_1)
	v_add3_u32 v3, v36, v2, v3
	v_mov_b32_dpp v36, v3 row_shr:1 row_mask:0xf bank_mask:0xf
	s_delay_alu instid0(VALU_DEP_1) | instskip(NEXT) | instid1(VALU_DEP_1)
	v_cndmask_b32_e64 v36, v36, 0, s4
	v_add_nc_u32_e32 v3, v36, v3
	s_delay_alu instid0(VALU_DEP_1) | instskip(NEXT) | instid1(VALU_DEP_1)
	v_mov_b32_dpp v36, v3 row_shr:2 row_mask:0xf bank_mask:0xf
	v_cndmask_b32_e64 v36, 0, v36, s5
	s_delay_alu instid0(VALU_DEP_1) | instskip(NEXT) | instid1(VALU_DEP_1)
	v_add_nc_u32_e32 v3, v3, v36
	v_mov_b32_dpp v36, v3 row_shr:4 row_mask:0xf bank_mask:0xf
	s_delay_alu instid0(VALU_DEP_1) | instskip(NEXT) | instid1(VALU_DEP_1)
	v_cndmask_b32_e64 v36, 0, v36, s6
	v_add_nc_u32_e32 v3, v3, v36
	s_delay_alu instid0(VALU_DEP_1) | instskip(NEXT) | instid1(VALU_DEP_1)
	v_mov_b32_dpp v36, v3 row_shr:8 row_mask:0xf bank_mask:0xf
	v_cndmask_b32_e64 v36, 0, v36, s7
	s_delay_alu instid0(VALU_DEP_1) | instskip(SKIP_3) | instid1(VALU_DEP_1)
	v_add_nc_u32_e32 v3, v3, v36
	ds_swizzle_b32 v36, v3 offset:swizzle(BROADCAST,32,15)
	s_wait_dscnt 0x0
	v_cndmask_b32_e64 v36, v36, 0, s8
	v_add_nc_u32_e32 v3, v3, v36
	s_and_saveexec_b32 s13, s12
; %bb.15:                               ;   in Loop: Header=BB2533_6 Depth=1
	ds_store_b32 v15, v3
; %bb.16:                               ;   in Loop: Header=BB2533_6 Depth=1
	s_or_b32 exec_lo, exec_lo, s13
	s_wait_dscnt 0x0
	s_barrier_signal -1
	s_barrier_wait -1
	s_and_saveexec_b32 s13, s0
	s_cbranch_execz .LBB2533_18
; %bb.17:                               ;   in Loop: Header=BB2533_6 Depth=1
	ds_load_b32 v36, v16
	s_wait_dscnt 0x0
	v_mov_b32_dpp v37, v36 row_shr:1 row_mask:0xf bank_mask:0xf
	s_delay_alu instid0(VALU_DEP_1) | instskip(NEXT) | instid1(VALU_DEP_1)
	v_cndmask_b32_e64 v37, v37, 0, s9
	v_add_nc_u32_e32 v36, v37, v36
	s_delay_alu instid0(VALU_DEP_1) | instskip(NEXT) | instid1(VALU_DEP_1)
	v_mov_b32_dpp v37, v36 row_shr:2 row_mask:0xf bank_mask:0xf
	v_cndmask_b32_e64 v37, 0, v37, s10
	s_delay_alu instid0(VALU_DEP_1) | instskip(NEXT) | instid1(VALU_DEP_1)
	v_add_nc_u32_e32 v36, v36, v37
	v_mov_b32_dpp v37, v36 row_shr:4 row_mask:0xf bank_mask:0xf
	s_delay_alu instid0(VALU_DEP_1) | instskip(NEXT) | instid1(VALU_DEP_1)
	v_cndmask_b32_e64 v37, 0, v37, s11
	v_add_nc_u32_e32 v36, v36, v37
	ds_store_b32 v16, v36
.LBB2533_18:                            ;   in Loop: Header=BB2533_6 Depth=1
	s_or_b32 exec_lo, exec_lo, s13
	v_mov_b32_e32 v36, 0
	s_wait_dscnt 0x0
	s_barrier_signal -1
	s_barrier_wait -1
	s_and_saveexec_b32 s13, s1
; %bb.19:                               ;   in Loop: Header=BB2533_6 Depth=1
	ds_load_b32 v36, v18
; %bb.20:                               ;   in Loop: Header=BB2533_6 Depth=1
	s_or_b32 exec_lo, exec_lo, s13
	s_wait_dscnt 0x0
	v_add_nc_u32_e32 v3, v36, v3
	s_add_co_i32 s22, s22, 8
	s_mov_b32 s14, -1
	s_cmp_ge_u32 s22, s27
	ds_bpermute_b32 v3, v17, v3
	s_wait_dscnt 0x0
	v_cndmask_b32_e64 v3, v3, v36, s2
	s_delay_alu instid0(VALU_DEP_1) | instskip(NEXT) | instid1(VALU_DEP_1)
	v_cndmask_b32_e64 v36, v3, 0, s3
	v_add_nc_u32_e32 v37, v36, v4
	s_delay_alu instid0(VALU_DEP_1) | instskip(NEXT) | instid1(VALU_DEP_1)
	v_add_nc_u32_e32 v4, v37, v5
	v_add_nc_u32_e32 v5, v4, v6
	s_delay_alu instid0(VALU_DEP_1) | instskip(NEXT) | instid1(VALU_DEP_1)
	v_add_nc_u32_e32 v6, v5, v7
	;; [unrolled: 3-line block ×3, first 2 shown]
	v_add_nc_u32_e32 v1, v0, v2
	ds_store_2addr_b64 v9, v[36:37], v[4:5] offset0:4 offset1:5
	ds_store_2addr_b64 v9, v[6:7], v[0:1] offset0:6 offset1:7
	s_wait_dscnt 0x0
	s_barrier_signal -1
	s_barrier_wait -1
	ds_load_b32 v0, v28 offset:32
	ds_load_b32 v1, v32 offset:32
	;; [unrolled: 1-line block ×4, first 2 shown]
	v_lshlrev_b32_e32 v4, 2, v25
	v_dual_lshlrev_b32 v5, 2, v29 :: v_dual_lshlrev_b32 v6, 2, v27
	v_dual_lshlrev_b32 v7, 2, v31 :: v_dual_lshlrev_b32 v25, 2, v30
	;; [unrolled: 1-line block ×3, first 2 shown]
	s_wait_dscnt 0x0
	v_dual_lshlrev_b32 v28, 2, v0 :: v_dual_lshlrev_b32 v29, 2, v1
	v_lshlrev_b32_e32 v2, 2, v2
	v_lshl_add_u32 v0, v3, 2, v4
	s_delay_alu instid0(VALU_DEP_3) | instskip(NEXT) | instid1(VALU_DEP_4)
	v_add3_u32 v1, v5, v6, v28
	v_add3_u32 v6, v7, v25, v29
	s_delay_alu instid0(VALU_DEP_4) | instskip(NEXT) | instid1(VALU_DEP_4)
	v_add3_u32 v7, v26, v27, v2
	v_readfirstlane_b32 s13, v0
                                        ; implicit-def: $vgpr5
                                        ; implicit-def: $vgpr3
	s_cbranch_scc1 .LBB2533_5
; %bb.21:                               ;   in Loop: Header=BB2533_6 Depth=1
	s_barrier_signal -1
	s_barrier_wait -1
	ds_store_b32 v0, v21
	ds_store_b32 v1, v24
	ds_store_b32 v6, v23
	ds_store_b32 v7, v22
	s_wait_dscnt 0x0
	s_barrier_signal -1
	s_barrier_wait -1
	ds_load_2addr_b32 v[2:3], v20 offset1:32
	ds_load_2addr_b32 v[4:5], v20 offset0:64 offset1:96
	s_add_co_i32 s13, s23, -8
	s_mov_b32 s14, 0
	s_wait_dscnt 0x0
	s_barrier_signal -1
	s_barrier_wait -1
	s_branch .LBB2533_5
.LBB2533_22:
	s_barrier_signal -1
	s_barrier_wait -1
	ds_store_b32 v0, v21
	ds_store_b32 v1, v24
	;; [unrolled: 1-line block ×4, first 2 shown]
	s_wait_dscnt 0x0
	s_barrier_signal -1
	s_barrier_wait -1
	ds_load_2addr_stride64_b32 v[6:7], v16 offset1:4
	ds_load_2addr_stride64_b32 v[0:1], v16 offset0:8 offset1:12
	v_mov_b32_e32 v9, 0
	s_add_nc_u64 s[0:1], s[18:19], s[20:21]
	s_and_not1_b32 vcc_lo, exec_lo, s25
	s_delay_alu instid0(VALU_DEP_1)
	v_add_nc_u64_e32 v[2:3], s[0:1], v[8:9]
	s_wait_dscnt 0x1
	v_not_b32_e32 v5, v6
	v_not_b32_e32 v4, v7
	s_wait_dscnt 0x0
	v_not_b32_e32 v0, v0
	s_cbranch_vccnz .LBB2533_32
; %bb.23:
	s_mov_b32 s0, -1
	s_clause 0x2
	global_store_b32 v[2:3], v5, off
	global_store_b32 v[2:3], v4, off offset:1024
	global_store_b32 v[2:3], v0, off offset:2048
	s_cbranch_execz .LBB2533_33
	s_branch .LBB2533_40
.LBB2533_24:
	s_clause 0x2
	global_load_b32 v2, v[10:11], off
	global_load_b32 v3, v[10:11], off offset:128
	global_load_b32 v4, v[10:11], off offset:256
	s_mov_b32 s3, -1
	s_load_b64 s[22:23], s[0:1], 0x28
	s_sub_co_i32 s24, s4, s2
	s_cbranch_execnz .LBB2533_2
.LBB2533_25:
	s_wait_loadcnt 0x2
	v_dual_mov_b32 v2, 0 :: v_dual_bitop2_b32 v7, v1, v9 bitop3:0x54
	s_mov_b32 s2, exec_lo
	s_wait_loadcnt 0x0
	s_delay_alu instid0(VALU_DEP_1)
	v_dual_mov_b32 v3, v2 :: v_dual_mov_b32 v4, v2
	v_mov_b32_e32 v5, v2
	v_cmpx_gt_u32_e64 s24, v7
	s_cbranch_execz .LBB2533_27
; %bb.26:
	global_load_b32 v16, v[10:11], off
	v_dual_mov_b32 v17, v2 :: v_dual_mov_b32 v18, v2
	v_mov_b32_e32 v19, v2
	s_wait_loadcnt 0x0
	s_delay_alu instid0(VALU_DEP_2) | instskip(NEXT) | instid1(VALU_DEP_2)
	v_mov_b64_e32 v[2:3], v[16:17]
	v_mov_b64_e32 v[4:5], v[18:19]
.LBB2533_27:
	s_or_b32 exec_lo, exec_lo, s2
	v_or_b32_e32 v9, 32, v7
	s_mov_b32 s2, exec_lo
	s_delay_alu instid0(VALU_DEP_1)
	v_cmpx_gt_u32_e64 s24, v9
	s_cbranch_execz .LBB2533_29
; %bb.28:
	global_load_b32 v3, v[10:11], off offset:128
.LBB2533_29:
	s_wait_xcnt 0x0
	s_or_b32 exec_lo, exec_lo, s2
	v_or_b32_e32 v9, 64, v7
	s_mov_b32 s2, exec_lo
	s_delay_alu instid0(VALU_DEP_1)
	v_cmpx_gt_u32_e64 s24, v9
	s_cbranch_execz .LBB2533_31
; %bb.30:
	global_load_b32 v4, v[10:11], off offset:256
.LBB2533_31:
	s_wait_xcnt 0x0
	s_or_b32 exec_lo, exec_lo, s2
	v_or_b32_e32 v7, 0x60, v7
	s_delay_alu instid0(VALU_DEP_1)
	v_cmp_gt_u32_e64 s3, s24, v7
	s_and_saveexec_b32 s2, s3
	s_cbranch_execnz .LBB2533_3
	s_branch .LBB2533_4
.LBB2533_32:
	s_mov_b32 s0, 0
.LBB2533_33:
	s_mov_b32 s0, exec_lo
	s_wait_xcnt 0x0
	v_cmpx_gt_u32_e64 s24, v14
	s_cbranch_execz .LBB2533_35
; %bb.34:
	global_store_b32 v[2:3], v5, off
.LBB2533_35:
	s_wait_xcnt 0x0
	s_or_b32 exec_lo, exec_lo, s0
	v_add_nc_u32_e32 v5, 0x100, v14
	s_mov_b32 s0, exec_lo
	s_delay_alu instid0(VALU_DEP_1)
	v_cmpx_gt_u32_e64 s24, v5
	s_cbranch_execz .LBB2533_37
; %bb.36:
	global_store_b32 v[2:3], v4, off offset:1024
.LBB2533_37:
	s_wait_xcnt 0x0
	s_or_b32 exec_lo, exec_lo, s0
	v_add_nc_u32_e32 v4, 0x200, v14
	s_mov_b32 s0, exec_lo
	s_delay_alu instid0(VALU_DEP_1)
	v_cmpx_gt_u32_e64 s24, v4
	s_cbranch_execz .LBB2533_39
; %bb.38:
	global_store_b32 v[2:3], v0, off offset:2048
.LBB2533_39:
	s_wait_xcnt 0x0
	s_or_b32 exec_lo, exec_lo, s0
	v_add_nc_u32_e32 v0, 0x300, v14
	s_delay_alu instid0(VALU_DEP_1)
	v_cmp_gt_u32_e64 s0, s24, v0
.LBB2533_40:
	s_wait_xcnt 0x0
	s_delay_alu instid0(VALU_DEP_1)
	s_and_saveexec_b32 s1, s0
	s_cbranch_execnz .LBB2533_42
; %bb.41:
	s_endpgm
.LBB2533_42:
	v_not_b32_e32 v0, v1
	global_store_b32 v[2:3], v0, off offset:3072
	s_endpgm
	.section	.rodata,"a",@progbits
	.p2align	6, 0x0
	.amdhsa_kernel _ZN7rocprim17ROCPRIM_400000_NS6detail17trampoline_kernelINS0_13kernel_configILj256ELj4ELj4294967295EEENS1_37radix_sort_block_sort_config_selectorIjNS0_10empty_typeEEEZNS1_21radix_sort_block_sortIS4_Lb1EPKjPjPS6_SC_NS0_19identity_decomposerEEE10hipError_tT1_T2_T3_T4_jRjT5_jjP12ihipStream_tbEUlT_E_NS1_11comp_targetILNS1_3genE0ELNS1_11target_archE4294967295ELNS1_3gpuE0ELNS1_3repE0EEENS1_44radix_sort_block_sort_config_static_selectorELNS0_4arch9wavefront6targetE0EEEvSF_
		.amdhsa_group_segment_fixed_size 8224
		.amdhsa_private_segment_fixed_size 0
		.amdhsa_kernarg_size 304
		.amdhsa_user_sgpr_count 2
		.amdhsa_user_sgpr_dispatch_ptr 0
		.amdhsa_user_sgpr_queue_ptr 0
		.amdhsa_user_sgpr_kernarg_segment_ptr 1
		.amdhsa_user_sgpr_dispatch_id 0
		.amdhsa_user_sgpr_kernarg_preload_length 0
		.amdhsa_user_sgpr_kernarg_preload_offset 0
		.amdhsa_user_sgpr_private_segment_size 0
		.amdhsa_wavefront_size32 1
		.amdhsa_uses_dynamic_stack 0
		.amdhsa_enable_private_segment 0
		.amdhsa_system_sgpr_workgroup_id_x 1
		.amdhsa_system_sgpr_workgroup_id_y 0
		.amdhsa_system_sgpr_workgroup_id_z 0
		.amdhsa_system_sgpr_workgroup_info 0
		.amdhsa_system_vgpr_workitem_id 2
		.amdhsa_next_free_vgpr 38
		.amdhsa_next_free_sgpr 29
		.amdhsa_named_barrier_count 0
		.amdhsa_reserve_vcc 1
		.amdhsa_float_round_mode_32 0
		.amdhsa_float_round_mode_16_64 0
		.amdhsa_float_denorm_mode_32 3
		.amdhsa_float_denorm_mode_16_64 3
		.amdhsa_fp16_overflow 0
		.amdhsa_memory_ordered 1
		.amdhsa_forward_progress 1
		.amdhsa_inst_pref_size 28
		.amdhsa_round_robin_scheduling 0
		.amdhsa_exception_fp_ieee_invalid_op 0
		.amdhsa_exception_fp_denorm_src 0
		.amdhsa_exception_fp_ieee_div_zero 0
		.amdhsa_exception_fp_ieee_overflow 0
		.amdhsa_exception_fp_ieee_underflow 0
		.amdhsa_exception_fp_ieee_inexact 0
		.amdhsa_exception_int_div_zero 0
	.end_amdhsa_kernel
	.section	.text._ZN7rocprim17ROCPRIM_400000_NS6detail17trampoline_kernelINS0_13kernel_configILj256ELj4ELj4294967295EEENS1_37radix_sort_block_sort_config_selectorIjNS0_10empty_typeEEEZNS1_21radix_sort_block_sortIS4_Lb1EPKjPjPS6_SC_NS0_19identity_decomposerEEE10hipError_tT1_T2_T3_T4_jRjT5_jjP12ihipStream_tbEUlT_E_NS1_11comp_targetILNS1_3genE0ELNS1_11target_archE4294967295ELNS1_3gpuE0ELNS1_3repE0EEENS1_44radix_sort_block_sort_config_static_selectorELNS0_4arch9wavefront6targetE0EEEvSF_,"axG",@progbits,_ZN7rocprim17ROCPRIM_400000_NS6detail17trampoline_kernelINS0_13kernel_configILj256ELj4ELj4294967295EEENS1_37radix_sort_block_sort_config_selectorIjNS0_10empty_typeEEEZNS1_21radix_sort_block_sortIS4_Lb1EPKjPjPS6_SC_NS0_19identity_decomposerEEE10hipError_tT1_T2_T3_T4_jRjT5_jjP12ihipStream_tbEUlT_E_NS1_11comp_targetILNS1_3genE0ELNS1_11target_archE4294967295ELNS1_3gpuE0ELNS1_3repE0EEENS1_44radix_sort_block_sort_config_static_selectorELNS0_4arch9wavefront6targetE0EEEvSF_,comdat
.Lfunc_end2533:
	.size	_ZN7rocprim17ROCPRIM_400000_NS6detail17trampoline_kernelINS0_13kernel_configILj256ELj4ELj4294967295EEENS1_37radix_sort_block_sort_config_selectorIjNS0_10empty_typeEEEZNS1_21radix_sort_block_sortIS4_Lb1EPKjPjPS6_SC_NS0_19identity_decomposerEEE10hipError_tT1_T2_T3_T4_jRjT5_jjP12ihipStream_tbEUlT_E_NS1_11comp_targetILNS1_3genE0ELNS1_11target_archE4294967295ELNS1_3gpuE0ELNS1_3repE0EEENS1_44radix_sort_block_sort_config_static_selectorELNS0_4arch9wavefront6targetE0EEEvSF_, .Lfunc_end2533-_ZN7rocprim17ROCPRIM_400000_NS6detail17trampoline_kernelINS0_13kernel_configILj256ELj4ELj4294967295EEENS1_37radix_sort_block_sort_config_selectorIjNS0_10empty_typeEEEZNS1_21radix_sort_block_sortIS4_Lb1EPKjPjPS6_SC_NS0_19identity_decomposerEEE10hipError_tT1_T2_T3_T4_jRjT5_jjP12ihipStream_tbEUlT_E_NS1_11comp_targetILNS1_3genE0ELNS1_11target_archE4294967295ELNS1_3gpuE0ELNS1_3repE0EEENS1_44radix_sort_block_sort_config_static_selectorELNS0_4arch9wavefront6targetE0EEEvSF_
                                        ; -- End function
	.set _ZN7rocprim17ROCPRIM_400000_NS6detail17trampoline_kernelINS0_13kernel_configILj256ELj4ELj4294967295EEENS1_37radix_sort_block_sort_config_selectorIjNS0_10empty_typeEEEZNS1_21radix_sort_block_sortIS4_Lb1EPKjPjPS6_SC_NS0_19identity_decomposerEEE10hipError_tT1_T2_T3_T4_jRjT5_jjP12ihipStream_tbEUlT_E_NS1_11comp_targetILNS1_3genE0ELNS1_11target_archE4294967295ELNS1_3gpuE0ELNS1_3repE0EEENS1_44radix_sort_block_sort_config_static_selectorELNS0_4arch9wavefront6targetE0EEEvSF_.num_vgpr, 38
	.set _ZN7rocprim17ROCPRIM_400000_NS6detail17trampoline_kernelINS0_13kernel_configILj256ELj4ELj4294967295EEENS1_37radix_sort_block_sort_config_selectorIjNS0_10empty_typeEEEZNS1_21radix_sort_block_sortIS4_Lb1EPKjPjPS6_SC_NS0_19identity_decomposerEEE10hipError_tT1_T2_T3_T4_jRjT5_jjP12ihipStream_tbEUlT_E_NS1_11comp_targetILNS1_3genE0ELNS1_11target_archE4294967295ELNS1_3gpuE0ELNS1_3repE0EEENS1_44radix_sort_block_sort_config_static_selectorELNS0_4arch9wavefront6targetE0EEEvSF_.num_agpr, 0
	.set _ZN7rocprim17ROCPRIM_400000_NS6detail17trampoline_kernelINS0_13kernel_configILj256ELj4ELj4294967295EEENS1_37radix_sort_block_sort_config_selectorIjNS0_10empty_typeEEEZNS1_21radix_sort_block_sortIS4_Lb1EPKjPjPS6_SC_NS0_19identity_decomposerEEE10hipError_tT1_T2_T3_T4_jRjT5_jjP12ihipStream_tbEUlT_E_NS1_11comp_targetILNS1_3genE0ELNS1_11target_archE4294967295ELNS1_3gpuE0ELNS1_3repE0EEENS1_44radix_sort_block_sort_config_static_selectorELNS0_4arch9wavefront6targetE0EEEvSF_.numbered_sgpr, 29
	.set _ZN7rocprim17ROCPRIM_400000_NS6detail17trampoline_kernelINS0_13kernel_configILj256ELj4ELj4294967295EEENS1_37radix_sort_block_sort_config_selectorIjNS0_10empty_typeEEEZNS1_21radix_sort_block_sortIS4_Lb1EPKjPjPS6_SC_NS0_19identity_decomposerEEE10hipError_tT1_T2_T3_T4_jRjT5_jjP12ihipStream_tbEUlT_E_NS1_11comp_targetILNS1_3genE0ELNS1_11target_archE4294967295ELNS1_3gpuE0ELNS1_3repE0EEENS1_44radix_sort_block_sort_config_static_selectorELNS0_4arch9wavefront6targetE0EEEvSF_.num_named_barrier, 0
	.set _ZN7rocprim17ROCPRIM_400000_NS6detail17trampoline_kernelINS0_13kernel_configILj256ELj4ELj4294967295EEENS1_37radix_sort_block_sort_config_selectorIjNS0_10empty_typeEEEZNS1_21radix_sort_block_sortIS4_Lb1EPKjPjPS6_SC_NS0_19identity_decomposerEEE10hipError_tT1_T2_T3_T4_jRjT5_jjP12ihipStream_tbEUlT_E_NS1_11comp_targetILNS1_3genE0ELNS1_11target_archE4294967295ELNS1_3gpuE0ELNS1_3repE0EEENS1_44radix_sort_block_sort_config_static_selectorELNS0_4arch9wavefront6targetE0EEEvSF_.private_seg_size, 0
	.set _ZN7rocprim17ROCPRIM_400000_NS6detail17trampoline_kernelINS0_13kernel_configILj256ELj4ELj4294967295EEENS1_37radix_sort_block_sort_config_selectorIjNS0_10empty_typeEEEZNS1_21radix_sort_block_sortIS4_Lb1EPKjPjPS6_SC_NS0_19identity_decomposerEEE10hipError_tT1_T2_T3_T4_jRjT5_jjP12ihipStream_tbEUlT_E_NS1_11comp_targetILNS1_3genE0ELNS1_11target_archE4294967295ELNS1_3gpuE0ELNS1_3repE0EEENS1_44radix_sort_block_sort_config_static_selectorELNS0_4arch9wavefront6targetE0EEEvSF_.uses_vcc, 1
	.set _ZN7rocprim17ROCPRIM_400000_NS6detail17trampoline_kernelINS0_13kernel_configILj256ELj4ELj4294967295EEENS1_37radix_sort_block_sort_config_selectorIjNS0_10empty_typeEEEZNS1_21radix_sort_block_sortIS4_Lb1EPKjPjPS6_SC_NS0_19identity_decomposerEEE10hipError_tT1_T2_T3_T4_jRjT5_jjP12ihipStream_tbEUlT_E_NS1_11comp_targetILNS1_3genE0ELNS1_11target_archE4294967295ELNS1_3gpuE0ELNS1_3repE0EEENS1_44radix_sort_block_sort_config_static_selectorELNS0_4arch9wavefront6targetE0EEEvSF_.uses_flat_scratch, 0
	.set _ZN7rocprim17ROCPRIM_400000_NS6detail17trampoline_kernelINS0_13kernel_configILj256ELj4ELj4294967295EEENS1_37radix_sort_block_sort_config_selectorIjNS0_10empty_typeEEEZNS1_21radix_sort_block_sortIS4_Lb1EPKjPjPS6_SC_NS0_19identity_decomposerEEE10hipError_tT1_T2_T3_T4_jRjT5_jjP12ihipStream_tbEUlT_E_NS1_11comp_targetILNS1_3genE0ELNS1_11target_archE4294967295ELNS1_3gpuE0ELNS1_3repE0EEENS1_44radix_sort_block_sort_config_static_selectorELNS0_4arch9wavefront6targetE0EEEvSF_.has_dyn_sized_stack, 0
	.set _ZN7rocprim17ROCPRIM_400000_NS6detail17trampoline_kernelINS0_13kernel_configILj256ELj4ELj4294967295EEENS1_37radix_sort_block_sort_config_selectorIjNS0_10empty_typeEEEZNS1_21radix_sort_block_sortIS4_Lb1EPKjPjPS6_SC_NS0_19identity_decomposerEEE10hipError_tT1_T2_T3_T4_jRjT5_jjP12ihipStream_tbEUlT_E_NS1_11comp_targetILNS1_3genE0ELNS1_11target_archE4294967295ELNS1_3gpuE0ELNS1_3repE0EEENS1_44radix_sort_block_sort_config_static_selectorELNS0_4arch9wavefront6targetE0EEEvSF_.has_recursion, 0
	.set _ZN7rocprim17ROCPRIM_400000_NS6detail17trampoline_kernelINS0_13kernel_configILj256ELj4ELj4294967295EEENS1_37radix_sort_block_sort_config_selectorIjNS0_10empty_typeEEEZNS1_21radix_sort_block_sortIS4_Lb1EPKjPjPS6_SC_NS0_19identity_decomposerEEE10hipError_tT1_T2_T3_T4_jRjT5_jjP12ihipStream_tbEUlT_E_NS1_11comp_targetILNS1_3genE0ELNS1_11target_archE4294967295ELNS1_3gpuE0ELNS1_3repE0EEENS1_44radix_sort_block_sort_config_static_selectorELNS0_4arch9wavefront6targetE0EEEvSF_.has_indirect_call, 0
	.section	.AMDGPU.csdata,"",@progbits
; Kernel info:
; codeLenInByte = 3460
; TotalNumSgprs: 31
; NumVgprs: 38
; ScratchSize: 0
; MemoryBound: 0
; FloatMode: 240
; IeeeMode: 1
; LDSByteSize: 8224 bytes/workgroup (compile time only)
; SGPRBlocks: 0
; VGPRBlocks: 2
; NumSGPRsForWavesPerEU: 31
; NumVGPRsForWavesPerEU: 38
; NamedBarCnt: 0
; Occupancy: 16
; WaveLimiterHint : 1
; COMPUTE_PGM_RSRC2:SCRATCH_EN: 0
; COMPUTE_PGM_RSRC2:USER_SGPR: 2
; COMPUTE_PGM_RSRC2:TRAP_HANDLER: 0
; COMPUTE_PGM_RSRC2:TGID_X_EN: 1
; COMPUTE_PGM_RSRC2:TGID_Y_EN: 0
; COMPUTE_PGM_RSRC2:TGID_Z_EN: 0
; COMPUTE_PGM_RSRC2:TIDIG_COMP_CNT: 2
	.section	.text._ZN7rocprim17ROCPRIM_400000_NS6detail17trampoline_kernelINS0_13kernel_configILj256ELj4ELj4294967295EEENS1_37radix_sort_block_sort_config_selectorIjNS0_10empty_typeEEEZNS1_21radix_sort_block_sortIS4_Lb1EPKjPjPS6_SC_NS0_19identity_decomposerEEE10hipError_tT1_T2_T3_T4_jRjT5_jjP12ihipStream_tbEUlT_E_NS1_11comp_targetILNS1_3genE5ELNS1_11target_archE942ELNS1_3gpuE9ELNS1_3repE0EEENS1_44radix_sort_block_sort_config_static_selectorELNS0_4arch9wavefront6targetE0EEEvSF_,"axG",@progbits,_ZN7rocprim17ROCPRIM_400000_NS6detail17trampoline_kernelINS0_13kernel_configILj256ELj4ELj4294967295EEENS1_37radix_sort_block_sort_config_selectorIjNS0_10empty_typeEEEZNS1_21radix_sort_block_sortIS4_Lb1EPKjPjPS6_SC_NS0_19identity_decomposerEEE10hipError_tT1_T2_T3_T4_jRjT5_jjP12ihipStream_tbEUlT_E_NS1_11comp_targetILNS1_3genE5ELNS1_11target_archE942ELNS1_3gpuE9ELNS1_3repE0EEENS1_44radix_sort_block_sort_config_static_selectorELNS0_4arch9wavefront6targetE0EEEvSF_,comdat
	.protected	_ZN7rocprim17ROCPRIM_400000_NS6detail17trampoline_kernelINS0_13kernel_configILj256ELj4ELj4294967295EEENS1_37radix_sort_block_sort_config_selectorIjNS0_10empty_typeEEEZNS1_21radix_sort_block_sortIS4_Lb1EPKjPjPS6_SC_NS0_19identity_decomposerEEE10hipError_tT1_T2_T3_T4_jRjT5_jjP12ihipStream_tbEUlT_E_NS1_11comp_targetILNS1_3genE5ELNS1_11target_archE942ELNS1_3gpuE9ELNS1_3repE0EEENS1_44radix_sort_block_sort_config_static_selectorELNS0_4arch9wavefront6targetE0EEEvSF_ ; -- Begin function _ZN7rocprim17ROCPRIM_400000_NS6detail17trampoline_kernelINS0_13kernel_configILj256ELj4ELj4294967295EEENS1_37radix_sort_block_sort_config_selectorIjNS0_10empty_typeEEEZNS1_21radix_sort_block_sortIS4_Lb1EPKjPjPS6_SC_NS0_19identity_decomposerEEE10hipError_tT1_T2_T3_T4_jRjT5_jjP12ihipStream_tbEUlT_E_NS1_11comp_targetILNS1_3genE5ELNS1_11target_archE942ELNS1_3gpuE9ELNS1_3repE0EEENS1_44radix_sort_block_sort_config_static_selectorELNS0_4arch9wavefront6targetE0EEEvSF_
	.globl	_ZN7rocprim17ROCPRIM_400000_NS6detail17trampoline_kernelINS0_13kernel_configILj256ELj4ELj4294967295EEENS1_37radix_sort_block_sort_config_selectorIjNS0_10empty_typeEEEZNS1_21radix_sort_block_sortIS4_Lb1EPKjPjPS6_SC_NS0_19identity_decomposerEEE10hipError_tT1_T2_T3_T4_jRjT5_jjP12ihipStream_tbEUlT_E_NS1_11comp_targetILNS1_3genE5ELNS1_11target_archE942ELNS1_3gpuE9ELNS1_3repE0EEENS1_44radix_sort_block_sort_config_static_selectorELNS0_4arch9wavefront6targetE0EEEvSF_
	.p2align	8
	.type	_ZN7rocprim17ROCPRIM_400000_NS6detail17trampoline_kernelINS0_13kernel_configILj256ELj4ELj4294967295EEENS1_37radix_sort_block_sort_config_selectorIjNS0_10empty_typeEEEZNS1_21radix_sort_block_sortIS4_Lb1EPKjPjPS6_SC_NS0_19identity_decomposerEEE10hipError_tT1_T2_T3_T4_jRjT5_jjP12ihipStream_tbEUlT_E_NS1_11comp_targetILNS1_3genE5ELNS1_11target_archE942ELNS1_3gpuE9ELNS1_3repE0EEENS1_44radix_sort_block_sort_config_static_selectorELNS0_4arch9wavefront6targetE0EEEvSF_,@function
_ZN7rocprim17ROCPRIM_400000_NS6detail17trampoline_kernelINS0_13kernel_configILj256ELj4ELj4294967295EEENS1_37radix_sort_block_sort_config_selectorIjNS0_10empty_typeEEEZNS1_21radix_sort_block_sortIS4_Lb1EPKjPjPS6_SC_NS0_19identity_decomposerEEE10hipError_tT1_T2_T3_T4_jRjT5_jjP12ihipStream_tbEUlT_E_NS1_11comp_targetILNS1_3genE5ELNS1_11target_archE942ELNS1_3gpuE9ELNS1_3repE0EEENS1_44radix_sort_block_sort_config_static_selectorELNS0_4arch9wavefront6targetE0EEEvSF_: ; @_ZN7rocprim17ROCPRIM_400000_NS6detail17trampoline_kernelINS0_13kernel_configILj256ELj4ELj4294967295EEENS1_37radix_sort_block_sort_config_selectorIjNS0_10empty_typeEEEZNS1_21radix_sort_block_sortIS4_Lb1EPKjPjPS6_SC_NS0_19identity_decomposerEEE10hipError_tT1_T2_T3_T4_jRjT5_jjP12ihipStream_tbEUlT_E_NS1_11comp_targetILNS1_3genE5ELNS1_11target_archE942ELNS1_3gpuE9ELNS1_3repE0EEENS1_44radix_sort_block_sort_config_static_selectorELNS0_4arch9wavefront6targetE0EEEvSF_
; %bb.0:
	.section	.rodata,"a",@progbits
	.p2align	6, 0x0
	.amdhsa_kernel _ZN7rocprim17ROCPRIM_400000_NS6detail17trampoline_kernelINS0_13kernel_configILj256ELj4ELj4294967295EEENS1_37radix_sort_block_sort_config_selectorIjNS0_10empty_typeEEEZNS1_21radix_sort_block_sortIS4_Lb1EPKjPjPS6_SC_NS0_19identity_decomposerEEE10hipError_tT1_T2_T3_T4_jRjT5_jjP12ihipStream_tbEUlT_E_NS1_11comp_targetILNS1_3genE5ELNS1_11target_archE942ELNS1_3gpuE9ELNS1_3repE0EEENS1_44radix_sort_block_sort_config_static_selectorELNS0_4arch9wavefront6targetE0EEEvSF_
		.amdhsa_group_segment_fixed_size 0
		.amdhsa_private_segment_fixed_size 0
		.amdhsa_kernarg_size 48
		.amdhsa_user_sgpr_count 2
		.amdhsa_user_sgpr_dispatch_ptr 0
		.amdhsa_user_sgpr_queue_ptr 0
		.amdhsa_user_sgpr_kernarg_segment_ptr 1
		.amdhsa_user_sgpr_dispatch_id 0
		.amdhsa_user_sgpr_kernarg_preload_length 0
		.amdhsa_user_sgpr_kernarg_preload_offset 0
		.amdhsa_user_sgpr_private_segment_size 0
		.amdhsa_wavefront_size32 1
		.amdhsa_uses_dynamic_stack 0
		.amdhsa_enable_private_segment 0
		.amdhsa_system_sgpr_workgroup_id_x 1
		.amdhsa_system_sgpr_workgroup_id_y 0
		.amdhsa_system_sgpr_workgroup_id_z 0
		.amdhsa_system_sgpr_workgroup_info 0
		.amdhsa_system_vgpr_workitem_id 0
		.amdhsa_next_free_vgpr 1
		.amdhsa_next_free_sgpr 1
		.amdhsa_named_barrier_count 0
		.amdhsa_reserve_vcc 0
		.amdhsa_float_round_mode_32 0
		.amdhsa_float_round_mode_16_64 0
		.amdhsa_float_denorm_mode_32 3
		.amdhsa_float_denorm_mode_16_64 3
		.amdhsa_fp16_overflow 0
		.amdhsa_memory_ordered 1
		.amdhsa_forward_progress 1
		.amdhsa_inst_pref_size 0
		.amdhsa_round_robin_scheduling 0
		.amdhsa_exception_fp_ieee_invalid_op 0
		.amdhsa_exception_fp_denorm_src 0
		.amdhsa_exception_fp_ieee_div_zero 0
		.amdhsa_exception_fp_ieee_overflow 0
		.amdhsa_exception_fp_ieee_underflow 0
		.amdhsa_exception_fp_ieee_inexact 0
		.amdhsa_exception_int_div_zero 0
	.end_amdhsa_kernel
	.section	.text._ZN7rocprim17ROCPRIM_400000_NS6detail17trampoline_kernelINS0_13kernel_configILj256ELj4ELj4294967295EEENS1_37radix_sort_block_sort_config_selectorIjNS0_10empty_typeEEEZNS1_21radix_sort_block_sortIS4_Lb1EPKjPjPS6_SC_NS0_19identity_decomposerEEE10hipError_tT1_T2_T3_T4_jRjT5_jjP12ihipStream_tbEUlT_E_NS1_11comp_targetILNS1_3genE5ELNS1_11target_archE942ELNS1_3gpuE9ELNS1_3repE0EEENS1_44radix_sort_block_sort_config_static_selectorELNS0_4arch9wavefront6targetE0EEEvSF_,"axG",@progbits,_ZN7rocprim17ROCPRIM_400000_NS6detail17trampoline_kernelINS0_13kernel_configILj256ELj4ELj4294967295EEENS1_37radix_sort_block_sort_config_selectorIjNS0_10empty_typeEEEZNS1_21radix_sort_block_sortIS4_Lb1EPKjPjPS6_SC_NS0_19identity_decomposerEEE10hipError_tT1_T2_T3_T4_jRjT5_jjP12ihipStream_tbEUlT_E_NS1_11comp_targetILNS1_3genE5ELNS1_11target_archE942ELNS1_3gpuE9ELNS1_3repE0EEENS1_44radix_sort_block_sort_config_static_selectorELNS0_4arch9wavefront6targetE0EEEvSF_,comdat
.Lfunc_end2534:
	.size	_ZN7rocprim17ROCPRIM_400000_NS6detail17trampoline_kernelINS0_13kernel_configILj256ELj4ELj4294967295EEENS1_37radix_sort_block_sort_config_selectorIjNS0_10empty_typeEEEZNS1_21radix_sort_block_sortIS4_Lb1EPKjPjPS6_SC_NS0_19identity_decomposerEEE10hipError_tT1_T2_T3_T4_jRjT5_jjP12ihipStream_tbEUlT_E_NS1_11comp_targetILNS1_3genE5ELNS1_11target_archE942ELNS1_3gpuE9ELNS1_3repE0EEENS1_44radix_sort_block_sort_config_static_selectorELNS0_4arch9wavefront6targetE0EEEvSF_, .Lfunc_end2534-_ZN7rocprim17ROCPRIM_400000_NS6detail17trampoline_kernelINS0_13kernel_configILj256ELj4ELj4294967295EEENS1_37radix_sort_block_sort_config_selectorIjNS0_10empty_typeEEEZNS1_21radix_sort_block_sortIS4_Lb1EPKjPjPS6_SC_NS0_19identity_decomposerEEE10hipError_tT1_T2_T3_T4_jRjT5_jjP12ihipStream_tbEUlT_E_NS1_11comp_targetILNS1_3genE5ELNS1_11target_archE942ELNS1_3gpuE9ELNS1_3repE0EEENS1_44radix_sort_block_sort_config_static_selectorELNS0_4arch9wavefront6targetE0EEEvSF_
                                        ; -- End function
	.set _ZN7rocprim17ROCPRIM_400000_NS6detail17trampoline_kernelINS0_13kernel_configILj256ELj4ELj4294967295EEENS1_37radix_sort_block_sort_config_selectorIjNS0_10empty_typeEEEZNS1_21radix_sort_block_sortIS4_Lb1EPKjPjPS6_SC_NS0_19identity_decomposerEEE10hipError_tT1_T2_T3_T4_jRjT5_jjP12ihipStream_tbEUlT_E_NS1_11comp_targetILNS1_3genE5ELNS1_11target_archE942ELNS1_3gpuE9ELNS1_3repE0EEENS1_44radix_sort_block_sort_config_static_selectorELNS0_4arch9wavefront6targetE0EEEvSF_.num_vgpr, 0
	.set _ZN7rocprim17ROCPRIM_400000_NS6detail17trampoline_kernelINS0_13kernel_configILj256ELj4ELj4294967295EEENS1_37radix_sort_block_sort_config_selectorIjNS0_10empty_typeEEEZNS1_21radix_sort_block_sortIS4_Lb1EPKjPjPS6_SC_NS0_19identity_decomposerEEE10hipError_tT1_T2_T3_T4_jRjT5_jjP12ihipStream_tbEUlT_E_NS1_11comp_targetILNS1_3genE5ELNS1_11target_archE942ELNS1_3gpuE9ELNS1_3repE0EEENS1_44radix_sort_block_sort_config_static_selectorELNS0_4arch9wavefront6targetE0EEEvSF_.num_agpr, 0
	.set _ZN7rocprim17ROCPRIM_400000_NS6detail17trampoline_kernelINS0_13kernel_configILj256ELj4ELj4294967295EEENS1_37radix_sort_block_sort_config_selectorIjNS0_10empty_typeEEEZNS1_21radix_sort_block_sortIS4_Lb1EPKjPjPS6_SC_NS0_19identity_decomposerEEE10hipError_tT1_T2_T3_T4_jRjT5_jjP12ihipStream_tbEUlT_E_NS1_11comp_targetILNS1_3genE5ELNS1_11target_archE942ELNS1_3gpuE9ELNS1_3repE0EEENS1_44radix_sort_block_sort_config_static_selectorELNS0_4arch9wavefront6targetE0EEEvSF_.numbered_sgpr, 0
	.set _ZN7rocprim17ROCPRIM_400000_NS6detail17trampoline_kernelINS0_13kernel_configILj256ELj4ELj4294967295EEENS1_37radix_sort_block_sort_config_selectorIjNS0_10empty_typeEEEZNS1_21radix_sort_block_sortIS4_Lb1EPKjPjPS6_SC_NS0_19identity_decomposerEEE10hipError_tT1_T2_T3_T4_jRjT5_jjP12ihipStream_tbEUlT_E_NS1_11comp_targetILNS1_3genE5ELNS1_11target_archE942ELNS1_3gpuE9ELNS1_3repE0EEENS1_44radix_sort_block_sort_config_static_selectorELNS0_4arch9wavefront6targetE0EEEvSF_.num_named_barrier, 0
	.set _ZN7rocprim17ROCPRIM_400000_NS6detail17trampoline_kernelINS0_13kernel_configILj256ELj4ELj4294967295EEENS1_37radix_sort_block_sort_config_selectorIjNS0_10empty_typeEEEZNS1_21radix_sort_block_sortIS4_Lb1EPKjPjPS6_SC_NS0_19identity_decomposerEEE10hipError_tT1_T2_T3_T4_jRjT5_jjP12ihipStream_tbEUlT_E_NS1_11comp_targetILNS1_3genE5ELNS1_11target_archE942ELNS1_3gpuE9ELNS1_3repE0EEENS1_44radix_sort_block_sort_config_static_selectorELNS0_4arch9wavefront6targetE0EEEvSF_.private_seg_size, 0
	.set _ZN7rocprim17ROCPRIM_400000_NS6detail17trampoline_kernelINS0_13kernel_configILj256ELj4ELj4294967295EEENS1_37radix_sort_block_sort_config_selectorIjNS0_10empty_typeEEEZNS1_21radix_sort_block_sortIS4_Lb1EPKjPjPS6_SC_NS0_19identity_decomposerEEE10hipError_tT1_T2_T3_T4_jRjT5_jjP12ihipStream_tbEUlT_E_NS1_11comp_targetILNS1_3genE5ELNS1_11target_archE942ELNS1_3gpuE9ELNS1_3repE0EEENS1_44radix_sort_block_sort_config_static_selectorELNS0_4arch9wavefront6targetE0EEEvSF_.uses_vcc, 0
	.set _ZN7rocprim17ROCPRIM_400000_NS6detail17trampoline_kernelINS0_13kernel_configILj256ELj4ELj4294967295EEENS1_37radix_sort_block_sort_config_selectorIjNS0_10empty_typeEEEZNS1_21radix_sort_block_sortIS4_Lb1EPKjPjPS6_SC_NS0_19identity_decomposerEEE10hipError_tT1_T2_T3_T4_jRjT5_jjP12ihipStream_tbEUlT_E_NS1_11comp_targetILNS1_3genE5ELNS1_11target_archE942ELNS1_3gpuE9ELNS1_3repE0EEENS1_44radix_sort_block_sort_config_static_selectorELNS0_4arch9wavefront6targetE0EEEvSF_.uses_flat_scratch, 0
	.set _ZN7rocprim17ROCPRIM_400000_NS6detail17trampoline_kernelINS0_13kernel_configILj256ELj4ELj4294967295EEENS1_37radix_sort_block_sort_config_selectorIjNS0_10empty_typeEEEZNS1_21radix_sort_block_sortIS4_Lb1EPKjPjPS6_SC_NS0_19identity_decomposerEEE10hipError_tT1_T2_T3_T4_jRjT5_jjP12ihipStream_tbEUlT_E_NS1_11comp_targetILNS1_3genE5ELNS1_11target_archE942ELNS1_3gpuE9ELNS1_3repE0EEENS1_44radix_sort_block_sort_config_static_selectorELNS0_4arch9wavefront6targetE0EEEvSF_.has_dyn_sized_stack, 0
	.set _ZN7rocprim17ROCPRIM_400000_NS6detail17trampoline_kernelINS0_13kernel_configILj256ELj4ELj4294967295EEENS1_37radix_sort_block_sort_config_selectorIjNS0_10empty_typeEEEZNS1_21radix_sort_block_sortIS4_Lb1EPKjPjPS6_SC_NS0_19identity_decomposerEEE10hipError_tT1_T2_T3_T4_jRjT5_jjP12ihipStream_tbEUlT_E_NS1_11comp_targetILNS1_3genE5ELNS1_11target_archE942ELNS1_3gpuE9ELNS1_3repE0EEENS1_44radix_sort_block_sort_config_static_selectorELNS0_4arch9wavefront6targetE0EEEvSF_.has_recursion, 0
	.set _ZN7rocprim17ROCPRIM_400000_NS6detail17trampoline_kernelINS0_13kernel_configILj256ELj4ELj4294967295EEENS1_37radix_sort_block_sort_config_selectorIjNS0_10empty_typeEEEZNS1_21radix_sort_block_sortIS4_Lb1EPKjPjPS6_SC_NS0_19identity_decomposerEEE10hipError_tT1_T2_T3_T4_jRjT5_jjP12ihipStream_tbEUlT_E_NS1_11comp_targetILNS1_3genE5ELNS1_11target_archE942ELNS1_3gpuE9ELNS1_3repE0EEENS1_44radix_sort_block_sort_config_static_selectorELNS0_4arch9wavefront6targetE0EEEvSF_.has_indirect_call, 0
	.section	.AMDGPU.csdata,"",@progbits
; Kernel info:
; codeLenInByte = 0
; TotalNumSgprs: 0
; NumVgprs: 0
; ScratchSize: 0
; MemoryBound: 0
; FloatMode: 240
; IeeeMode: 1
; LDSByteSize: 0 bytes/workgroup (compile time only)
; SGPRBlocks: 0
; VGPRBlocks: 0
; NumSGPRsForWavesPerEU: 1
; NumVGPRsForWavesPerEU: 1
; NamedBarCnt: 0
; Occupancy: 16
; WaveLimiterHint : 0
; COMPUTE_PGM_RSRC2:SCRATCH_EN: 0
; COMPUTE_PGM_RSRC2:USER_SGPR: 2
; COMPUTE_PGM_RSRC2:TRAP_HANDLER: 0
; COMPUTE_PGM_RSRC2:TGID_X_EN: 1
; COMPUTE_PGM_RSRC2:TGID_Y_EN: 0
; COMPUTE_PGM_RSRC2:TGID_Z_EN: 0
; COMPUTE_PGM_RSRC2:TIDIG_COMP_CNT: 0
	.section	.text._ZN7rocprim17ROCPRIM_400000_NS6detail17trampoline_kernelINS0_13kernel_configILj256ELj4ELj4294967295EEENS1_37radix_sort_block_sort_config_selectorIjNS0_10empty_typeEEEZNS1_21radix_sort_block_sortIS4_Lb1EPKjPjPS6_SC_NS0_19identity_decomposerEEE10hipError_tT1_T2_T3_T4_jRjT5_jjP12ihipStream_tbEUlT_E_NS1_11comp_targetILNS1_3genE4ELNS1_11target_archE910ELNS1_3gpuE8ELNS1_3repE0EEENS1_44radix_sort_block_sort_config_static_selectorELNS0_4arch9wavefront6targetE0EEEvSF_,"axG",@progbits,_ZN7rocprim17ROCPRIM_400000_NS6detail17trampoline_kernelINS0_13kernel_configILj256ELj4ELj4294967295EEENS1_37radix_sort_block_sort_config_selectorIjNS0_10empty_typeEEEZNS1_21radix_sort_block_sortIS4_Lb1EPKjPjPS6_SC_NS0_19identity_decomposerEEE10hipError_tT1_T2_T3_T4_jRjT5_jjP12ihipStream_tbEUlT_E_NS1_11comp_targetILNS1_3genE4ELNS1_11target_archE910ELNS1_3gpuE8ELNS1_3repE0EEENS1_44radix_sort_block_sort_config_static_selectorELNS0_4arch9wavefront6targetE0EEEvSF_,comdat
	.protected	_ZN7rocprim17ROCPRIM_400000_NS6detail17trampoline_kernelINS0_13kernel_configILj256ELj4ELj4294967295EEENS1_37radix_sort_block_sort_config_selectorIjNS0_10empty_typeEEEZNS1_21radix_sort_block_sortIS4_Lb1EPKjPjPS6_SC_NS0_19identity_decomposerEEE10hipError_tT1_T2_T3_T4_jRjT5_jjP12ihipStream_tbEUlT_E_NS1_11comp_targetILNS1_3genE4ELNS1_11target_archE910ELNS1_3gpuE8ELNS1_3repE0EEENS1_44radix_sort_block_sort_config_static_selectorELNS0_4arch9wavefront6targetE0EEEvSF_ ; -- Begin function _ZN7rocprim17ROCPRIM_400000_NS6detail17trampoline_kernelINS0_13kernel_configILj256ELj4ELj4294967295EEENS1_37radix_sort_block_sort_config_selectorIjNS0_10empty_typeEEEZNS1_21radix_sort_block_sortIS4_Lb1EPKjPjPS6_SC_NS0_19identity_decomposerEEE10hipError_tT1_T2_T3_T4_jRjT5_jjP12ihipStream_tbEUlT_E_NS1_11comp_targetILNS1_3genE4ELNS1_11target_archE910ELNS1_3gpuE8ELNS1_3repE0EEENS1_44radix_sort_block_sort_config_static_selectorELNS0_4arch9wavefront6targetE0EEEvSF_
	.globl	_ZN7rocprim17ROCPRIM_400000_NS6detail17trampoline_kernelINS0_13kernel_configILj256ELj4ELj4294967295EEENS1_37radix_sort_block_sort_config_selectorIjNS0_10empty_typeEEEZNS1_21radix_sort_block_sortIS4_Lb1EPKjPjPS6_SC_NS0_19identity_decomposerEEE10hipError_tT1_T2_T3_T4_jRjT5_jjP12ihipStream_tbEUlT_E_NS1_11comp_targetILNS1_3genE4ELNS1_11target_archE910ELNS1_3gpuE8ELNS1_3repE0EEENS1_44radix_sort_block_sort_config_static_selectorELNS0_4arch9wavefront6targetE0EEEvSF_
	.p2align	8
	.type	_ZN7rocprim17ROCPRIM_400000_NS6detail17trampoline_kernelINS0_13kernel_configILj256ELj4ELj4294967295EEENS1_37radix_sort_block_sort_config_selectorIjNS0_10empty_typeEEEZNS1_21radix_sort_block_sortIS4_Lb1EPKjPjPS6_SC_NS0_19identity_decomposerEEE10hipError_tT1_T2_T3_T4_jRjT5_jjP12ihipStream_tbEUlT_E_NS1_11comp_targetILNS1_3genE4ELNS1_11target_archE910ELNS1_3gpuE8ELNS1_3repE0EEENS1_44radix_sort_block_sort_config_static_selectorELNS0_4arch9wavefront6targetE0EEEvSF_,@function
_ZN7rocprim17ROCPRIM_400000_NS6detail17trampoline_kernelINS0_13kernel_configILj256ELj4ELj4294967295EEENS1_37radix_sort_block_sort_config_selectorIjNS0_10empty_typeEEEZNS1_21radix_sort_block_sortIS4_Lb1EPKjPjPS6_SC_NS0_19identity_decomposerEEE10hipError_tT1_T2_T3_T4_jRjT5_jjP12ihipStream_tbEUlT_E_NS1_11comp_targetILNS1_3genE4ELNS1_11target_archE910ELNS1_3gpuE8ELNS1_3repE0EEENS1_44radix_sort_block_sort_config_static_selectorELNS0_4arch9wavefront6targetE0EEEvSF_: ; @_ZN7rocprim17ROCPRIM_400000_NS6detail17trampoline_kernelINS0_13kernel_configILj256ELj4ELj4294967295EEENS1_37radix_sort_block_sort_config_selectorIjNS0_10empty_typeEEEZNS1_21radix_sort_block_sortIS4_Lb1EPKjPjPS6_SC_NS0_19identity_decomposerEEE10hipError_tT1_T2_T3_T4_jRjT5_jjP12ihipStream_tbEUlT_E_NS1_11comp_targetILNS1_3genE4ELNS1_11target_archE910ELNS1_3gpuE8ELNS1_3repE0EEENS1_44radix_sort_block_sort_config_static_selectorELNS0_4arch9wavefront6targetE0EEEvSF_
; %bb.0:
	.section	.rodata,"a",@progbits
	.p2align	6, 0x0
	.amdhsa_kernel _ZN7rocprim17ROCPRIM_400000_NS6detail17trampoline_kernelINS0_13kernel_configILj256ELj4ELj4294967295EEENS1_37radix_sort_block_sort_config_selectorIjNS0_10empty_typeEEEZNS1_21radix_sort_block_sortIS4_Lb1EPKjPjPS6_SC_NS0_19identity_decomposerEEE10hipError_tT1_T2_T3_T4_jRjT5_jjP12ihipStream_tbEUlT_E_NS1_11comp_targetILNS1_3genE4ELNS1_11target_archE910ELNS1_3gpuE8ELNS1_3repE0EEENS1_44radix_sort_block_sort_config_static_selectorELNS0_4arch9wavefront6targetE0EEEvSF_
		.amdhsa_group_segment_fixed_size 0
		.amdhsa_private_segment_fixed_size 0
		.amdhsa_kernarg_size 48
		.amdhsa_user_sgpr_count 2
		.amdhsa_user_sgpr_dispatch_ptr 0
		.amdhsa_user_sgpr_queue_ptr 0
		.amdhsa_user_sgpr_kernarg_segment_ptr 1
		.amdhsa_user_sgpr_dispatch_id 0
		.amdhsa_user_sgpr_kernarg_preload_length 0
		.amdhsa_user_sgpr_kernarg_preload_offset 0
		.amdhsa_user_sgpr_private_segment_size 0
		.amdhsa_wavefront_size32 1
		.amdhsa_uses_dynamic_stack 0
		.amdhsa_enable_private_segment 0
		.amdhsa_system_sgpr_workgroup_id_x 1
		.amdhsa_system_sgpr_workgroup_id_y 0
		.amdhsa_system_sgpr_workgroup_id_z 0
		.amdhsa_system_sgpr_workgroup_info 0
		.amdhsa_system_vgpr_workitem_id 0
		.amdhsa_next_free_vgpr 1
		.amdhsa_next_free_sgpr 1
		.amdhsa_named_barrier_count 0
		.amdhsa_reserve_vcc 0
		.amdhsa_float_round_mode_32 0
		.amdhsa_float_round_mode_16_64 0
		.amdhsa_float_denorm_mode_32 3
		.amdhsa_float_denorm_mode_16_64 3
		.amdhsa_fp16_overflow 0
		.amdhsa_memory_ordered 1
		.amdhsa_forward_progress 1
		.amdhsa_inst_pref_size 0
		.amdhsa_round_robin_scheduling 0
		.amdhsa_exception_fp_ieee_invalid_op 0
		.amdhsa_exception_fp_denorm_src 0
		.amdhsa_exception_fp_ieee_div_zero 0
		.amdhsa_exception_fp_ieee_overflow 0
		.amdhsa_exception_fp_ieee_underflow 0
		.amdhsa_exception_fp_ieee_inexact 0
		.amdhsa_exception_int_div_zero 0
	.end_amdhsa_kernel
	.section	.text._ZN7rocprim17ROCPRIM_400000_NS6detail17trampoline_kernelINS0_13kernel_configILj256ELj4ELj4294967295EEENS1_37radix_sort_block_sort_config_selectorIjNS0_10empty_typeEEEZNS1_21radix_sort_block_sortIS4_Lb1EPKjPjPS6_SC_NS0_19identity_decomposerEEE10hipError_tT1_T2_T3_T4_jRjT5_jjP12ihipStream_tbEUlT_E_NS1_11comp_targetILNS1_3genE4ELNS1_11target_archE910ELNS1_3gpuE8ELNS1_3repE0EEENS1_44radix_sort_block_sort_config_static_selectorELNS0_4arch9wavefront6targetE0EEEvSF_,"axG",@progbits,_ZN7rocprim17ROCPRIM_400000_NS6detail17trampoline_kernelINS0_13kernel_configILj256ELj4ELj4294967295EEENS1_37radix_sort_block_sort_config_selectorIjNS0_10empty_typeEEEZNS1_21radix_sort_block_sortIS4_Lb1EPKjPjPS6_SC_NS0_19identity_decomposerEEE10hipError_tT1_T2_T3_T4_jRjT5_jjP12ihipStream_tbEUlT_E_NS1_11comp_targetILNS1_3genE4ELNS1_11target_archE910ELNS1_3gpuE8ELNS1_3repE0EEENS1_44radix_sort_block_sort_config_static_selectorELNS0_4arch9wavefront6targetE0EEEvSF_,comdat
.Lfunc_end2535:
	.size	_ZN7rocprim17ROCPRIM_400000_NS6detail17trampoline_kernelINS0_13kernel_configILj256ELj4ELj4294967295EEENS1_37radix_sort_block_sort_config_selectorIjNS0_10empty_typeEEEZNS1_21radix_sort_block_sortIS4_Lb1EPKjPjPS6_SC_NS0_19identity_decomposerEEE10hipError_tT1_T2_T3_T4_jRjT5_jjP12ihipStream_tbEUlT_E_NS1_11comp_targetILNS1_3genE4ELNS1_11target_archE910ELNS1_3gpuE8ELNS1_3repE0EEENS1_44radix_sort_block_sort_config_static_selectorELNS0_4arch9wavefront6targetE0EEEvSF_, .Lfunc_end2535-_ZN7rocprim17ROCPRIM_400000_NS6detail17trampoline_kernelINS0_13kernel_configILj256ELj4ELj4294967295EEENS1_37radix_sort_block_sort_config_selectorIjNS0_10empty_typeEEEZNS1_21radix_sort_block_sortIS4_Lb1EPKjPjPS6_SC_NS0_19identity_decomposerEEE10hipError_tT1_T2_T3_T4_jRjT5_jjP12ihipStream_tbEUlT_E_NS1_11comp_targetILNS1_3genE4ELNS1_11target_archE910ELNS1_3gpuE8ELNS1_3repE0EEENS1_44radix_sort_block_sort_config_static_selectorELNS0_4arch9wavefront6targetE0EEEvSF_
                                        ; -- End function
	.set _ZN7rocprim17ROCPRIM_400000_NS6detail17trampoline_kernelINS0_13kernel_configILj256ELj4ELj4294967295EEENS1_37radix_sort_block_sort_config_selectorIjNS0_10empty_typeEEEZNS1_21radix_sort_block_sortIS4_Lb1EPKjPjPS6_SC_NS0_19identity_decomposerEEE10hipError_tT1_T2_T3_T4_jRjT5_jjP12ihipStream_tbEUlT_E_NS1_11comp_targetILNS1_3genE4ELNS1_11target_archE910ELNS1_3gpuE8ELNS1_3repE0EEENS1_44radix_sort_block_sort_config_static_selectorELNS0_4arch9wavefront6targetE0EEEvSF_.num_vgpr, 0
	.set _ZN7rocprim17ROCPRIM_400000_NS6detail17trampoline_kernelINS0_13kernel_configILj256ELj4ELj4294967295EEENS1_37radix_sort_block_sort_config_selectorIjNS0_10empty_typeEEEZNS1_21radix_sort_block_sortIS4_Lb1EPKjPjPS6_SC_NS0_19identity_decomposerEEE10hipError_tT1_T2_T3_T4_jRjT5_jjP12ihipStream_tbEUlT_E_NS1_11comp_targetILNS1_3genE4ELNS1_11target_archE910ELNS1_3gpuE8ELNS1_3repE0EEENS1_44radix_sort_block_sort_config_static_selectorELNS0_4arch9wavefront6targetE0EEEvSF_.num_agpr, 0
	.set _ZN7rocprim17ROCPRIM_400000_NS6detail17trampoline_kernelINS0_13kernel_configILj256ELj4ELj4294967295EEENS1_37radix_sort_block_sort_config_selectorIjNS0_10empty_typeEEEZNS1_21radix_sort_block_sortIS4_Lb1EPKjPjPS6_SC_NS0_19identity_decomposerEEE10hipError_tT1_T2_T3_T4_jRjT5_jjP12ihipStream_tbEUlT_E_NS1_11comp_targetILNS1_3genE4ELNS1_11target_archE910ELNS1_3gpuE8ELNS1_3repE0EEENS1_44radix_sort_block_sort_config_static_selectorELNS0_4arch9wavefront6targetE0EEEvSF_.numbered_sgpr, 0
	.set _ZN7rocprim17ROCPRIM_400000_NS6detail17trampoline_kernelINS0_13kernel_configILj256ELj4ELj4294967295EEENS1_37radix_sort_block_sort_config_selectorIjNS0_10empty_typeEEEZNS1_21radix_sort_block_sortIS4_Lb1EPKjPjPS6_SC_NS0_19identity_decomposerEEE10hipError_tT1_T2_T3_T4_jRjT5_jjP12ihipStream_tbEUlT_E_NS1_11comp_targetILNS1_3genE4ELNS1_11target_archE910ELNS1_3gpuE8ELNS1_3repE0EEENS1_44radix_sort_block_sort_config_static_selectorELNS0_4arch9wavefront6targetE0EEEvSF_.num_named_barrier, 0
	.set _ZN7rocprim17ROCPRIM_400000_NS6detail17trampoline_kernelINS0_13kernel_configILj256ELj4ELj4294967295EEENS1_37radix_sort_block_sort_config_selectorIjNS0_10empty_typeEEEZNS1_21radix_sort_block_sortIS4_Lb1EPKjPjPS6_SC_NS0_19identity_decomposerEEE10hipError_tT1_T2_T3_T4_jRjT5_jjP12ihipStream_tbEUlT_E_NS1_11comp_targetILNS1_3genE4ELNS1_11target_archE910ELNS1_3gpuE8ELNS1_3repE0EEENS1_44radix_sort_block_sort_config_static_selectorELNS0_4arch9wavefront6targetE0EEEvSF_.private_seg_size, 0
	.set _ZN7rocprim17ROCPRIM_400000_NS6detail17trampoline_kernelINS0_13kernel_configILj256ELj4ELj4294967295EEENS1_37radix_sort_block_sort_config_selectorIjNS0_10empty_typeEEEZNS1_21radix_sort_block_sortIS4_Lb1EPKjPjPS6_SC_NS0_19identity_decomposerEEE10hipError_tT1_T2_T3_T4_jRjT5_jjP12ihipStream_tbEUlT_E_NS1_11comp_targetILNS1_3genE4ELNS1_11target_archE910ELNS1_3gpuE8ELNS1_3repE0EEENS1_44radix_sort_block_sort_config_static_selectorELNS0_4arch9wavefront6targetE0EEEvSF_.uses_vcc, 0
	.set _ZN7rocprim17ROCPRIM_400000_NS6detail17trampoline_kernelINS0_13kernel_configILj256ELj4ELj4294967295EEENS1_37radix_sort_block_sort_config_selectorIjNS0_10empty_typeEEEZNS1_21radix_sort_block_sortIS4_Lb1EPKjPjPS6_SC_NS0_19identity_decomposerEEE10hipError_tT1_T2_T3_T4_jRjT5_jjP12ihipStream_tbEUlT_E_NS1_11comp_targetILNS1_3genE4ELNS1_11target_archE910ELNS1_3gpuE8ELNS1_3repE0EEENS1_44radix_sort_block_sort_config_static_selectorELNS0_4arch9wavefront6targetE0EEEvSF_.uses_flat_scratch, 0
	.set _ZN7rocprim17ROCPRIM_400000_NS6detail17trampoline_kernelINS0_13kernel_configILj256ELj4ELj4294967295EEENS1_37radix_sort_block_sort_config_selectorIjNS0_10empty_typeEEEZNS1_21radix_sort_block_sortIS4_Lb1EPKjPjPS6_SC_NS0_19identity_decomposerEEE10hipError_tT1_T2_T3_T4_jRjT5_jjP12ihipStream_tbEUlT_E_NS1_11comp_targetILNS1_3genE4ELNS1_11target_archE910ELNS1_3gpuE8ELNS1_3repE0EEENS1_44radix_sort_block_sort_config_static_selectorELNS0_4arch9wavefront6targetE0EEEvSF_.has_dyn_sized_stack, 0
	.set _ZN7rocprim17ROCPRIM_400000_NS6detail17trampoline_kernelINS0_13kernel_configILj256ELj4ELj4294967295EEENS1_37radix_sort_block_sort_config_selectorIjNS0_10empty_typeEEEZNS1_21radix_sort_block_sortIS4_Lb1EPKjPjPS6_SC_NS0_19identity_decomposerEEE10hipError_tT1_T2_T3_T4_jRjT5_jjP12ihipStream_tbEUlT_E_NS1_11comp_targetILNS1_3genE4ELNS1_11target_archE910ELNS1_3gpuE8ELNS1_3repE0EEENS1_44radix_sort_block_sort_config_static_selectorELNS0_4arch9wavefront6targetE0EEEvSF_.has_recursion, 0
	.set _ZN7rocprim17ROCPRIM_400000_NS6detail17trampoline_kernelINS0_13kernel_configILj256ELj4ELj4294967295EEENS1_37radix_sort_block_sort_config_selectorIjNS0_10empty_typeEEEZNS1_21radix_sort_block_sortIS4_Lb1EPKjPjPS6_SC_NS0_19identity_decomposerEEE10hipError_tT1_T2_T3_T4_jRjT5_jjP12ihipStream_tbEUlT_E_NS1_11comp_targetILNS1_3genE4ELNS1_11target_archE910ELNS1_3gpuE8ELNS1_3repE0EEENS1_44radix_sort_block_sort_config_static_selectorELNS0_4arch9wavefront6targetE0EEEvSF_.has_indirect_call, 0
	.section	.AMDGPU.csdata,"",@progbits
; Kernel info:
; codeLenInByte = 0
; TotalNumSgprs: 0
; NumVgprs: 0
; ScratchSize: 0
; MemoryBound: 0
; FloatMode: 240
; IeeeMode: 1
; LDSByteSize: 0 bytes/workgroup (compile time only)
; SGPRBlocks: 0
; VGPRBlocks: 0
; NumSGPRsForWavesPerEU: 1
; NumVGPRsForWavesPerEU: 1
; NamedBarCnt: 0
; Occupancy: 16
; WaveLimiterHint : 0
; COMPUTE_PGM_RSRC2:SCRATCH_EN: 0
; COMPUTE_PGM_RSRC2:USER_SGPR: 2
; COMPUTE_PGM_RSRC2:TRAP_HANDLER: 0
; COMPUTE_PGM_RSRC2:TGID_X_EN: 1
; COMPUTE_PGM_RSRC2:TGID_Y_EN: 0
; COMPUTE_PGM_RSRC2:TGID_Z_EN: 0
; COMPUTE_PGM_RSRC2:TIDIG_COMP_CNT: 0
	.section	.text._ZN7rocprim17ROCPRIM_400000_NS6detail17trampoline_kernelINS0_13kernel_configILj256ELj4ELj4294967295EEENS1_37radix_sort_block_sort_config_selectorIjNS0_10empty_typeEEEZNS1_21radix_sort_block_sortIS4_Lb1EPKjPjPS6_SC_NS0_19identity_decomposerEEE10hipError_tT1_T2_T3_T4_jRjT5_jjP12ihipStream_tbEUlT_E_NS1_11comp_targetILNS1_3genE3ELNS1_11target_archE908ELNS1_3gpuE7ELNS1_3repE0EEENS1_44radix_sort_block_sort_config_static_selectorELNS0_4arch9wavefront6targetE0EEEvSF_,"axG",@progbits,_ZN7rocprim17ROCPRIM_400000_NS6detail17trampoline_kernelINS0_13kernel_configILj256ELj4ELj4294967295EEENS1_37radix_sort_block_sort_config_selectorIjNS0_10empty_typeEEEZNS1_21radix_sort_block_sortIS4_Lb1EPKjPjPS6_SC_NS0_19identity_decomposerEEE10hipError_tT1_T2_T3_T4_jRjT5_jjP12ihipStream_tbEUlT_E_NS1_11comp_targetILNS1_3genE3ELNS1_11target_archE908ELNS1_3gpuE7ELNS1_3repE0EEENS1_44radix_sort_block_sort_config_static_selectorELNS0_4arch9wavefront6targetE0EEEvSF_,comdat
	.protected	_ZN7rocprim17ROCPRIM_400000_NS6detail17trampoline_kernelINS0_13kernel_configILj256ELj4ELj4294967295EEENS1_37radix_sort_block_sort_config_selectorIjNS0_10empty_typeEEEZNS1_21radix_sort_block_sortIS4_Lb1EPKjPjPS6_SC_NS0_19identity_decomposerEEE10hipError_tT1_T2_T3_T4_jRjT5_jjP12ihipStream_tbEUlT_E_NS1_11comp_targetILNS1_3genE3ELNS1_11target_archE908ELNS1_3gpuE7ELNS1_3repE0EEENS1_44radix_sort_block_sort_config_static_selectorELNS0_4arch9wavefront6targetE0EEEvSF_ ; -- Begin function _ZN7rocprim17ROCPRIM_400000_NS6detail17trampoline_kernelINS0_13kernel_configILj256ELj4ELj4294967295EEENS1_37radix_sort_block_sort_config_selectorIjNS0_10empty_typeEEEZNS1_21radix_sort_block_sortIS4_Lb1EPKjPjPS6_SC_NS0_19identity_decomposerEEE10hipError_tT1_T2_T3_T4_jRjT5_jjP12ihipStream_tbEUlT_E_NS1_11comp_targetILNS1_3genE3ELNS1_11target_archE908ELNS1_3gpuE7ELNS1_3repE0EEENS1_44radix_sort_block_sort_config_static_selectorELNS0_4arch9wavefront6targetE0EEEvSF_
	.globl	_ZN7rocprim17ROCPRIM_400000_NS6detail17trampoline_kernelINS0_13kernel_configILj256ELj4ELj4294967295EEENS1_37radix_sort_block_sort_config_selectorIjNS0_10empty_typeEEEZNS1_21radix_sort_block_sortIS4_Lb1EPKjPjPS6_SC_NS0_19identity_decomposerEEE10hipError_tT1_T2_T3_T4_jRjT5_jjP12ihipStream_tbEUlT_E_NS1_11comp_targetILNS1_3genE3ELNS1_11target_archE908ELNS1_3gpuE7ELNS1_3repE0EEENS1_44radix_sort_block_sort_config_static_selectorELNS0_4arch9wavefront6targetE0EEEvSF_
	.p2align	8
	.type	_ZN7rocprim17ROCPRIM_400000_NS6detail17trampoline_kernelINS0_13kernel_configILj256ELj4ELj4294967295EEENS1_37radix_sort_block_sort_config_selectorIjNS0_10empty_typeEEEZNS1_21radix_sort_block_sortIS4_Lb1EPKjPjPS6_SC_NS0_19identity_decomposerEEE10hipError_tT1_T2_T3_T4_jRjT5_jjP12ihipStream_tbEUlT_E_NS1_11comp_targetILNS1_3genE3ELNS1_11target_archE908ELNS1_3gpuE7ELNS1_3repE0EEENS1_44radix_sort_block_sort_config_static_selectorELNS0_4arch9wavefront6targetE0EEEvSF_,@function
_ZN7rocprim17ROCPRIM_400000_NS6detail17trampoline_kernelINS0_13kernel_configILj256ELj4ELj4294967295EEENS1_37radix_sort_block_sort_config_selectorIjNS0_10empty_typeEEEZNS1_21radix_sort_block_sortIS4_Lb1EPKjPjPS6_SC_NS0_19identity_decomposerEEE10hipError_tT1_T2_T3_T4_jRjT5_jjP12ihipStream_tbEUlT_E_NS1_11comp_targetILNS1_3genE3ELNS1_11target_archE908ELNS1_3gpuE7ELNS1_3repE0EEENS1_44radix_sort_block_sort_config_static_selectorELNS0_4arch9wavefront6targetE0EEEvSF_: ; @_ZN7rocprim17ROCPRIM_400000_NS6detail17trampoline_kernelINS0_13kernel_configILj256ELj4ELj4294967295EEENS1_37radix_sort_block_sort_config_selectorIjNS0_10empty_typeEEEZNS1_21radix_sort_block_sortIS4_Lb1EPKjPjPS6_SC_NS0_19identity_decomposerEEE10hipError_tT1_T2_T3_T4_jRjT5_jjP12ihipStream_tbEUlT_E_NS1_11comp_targetILNS1_3genE3ELNS1_11target_archE908ELNS1_3gpuE7ELNS1_3repE0EEENS1_44radix_sort_block_sort_config_static_selectorELNS0_4arch9wavefront6targetE0EEEvSF_
; %bb.0:
	.section	.rodata,"a",@progbits
	.p2align	6, 0x0
	.amdhsa_kernel _ZN7rocprim17ROCPRIM_400000_NS6detail17trampoline_kernelINS0_13kernel_configILj256ELj4ELj4294967295EEENS1_37radix_sort_block_sort_config_selectorIjNS0_10empty_typeEEEZNS1_21radix_sort_block_sortIS4_Lb1EPKjPjPS6_SC_NS0_19identity_decomposerEEE10hipError_tT1_T2_T3_T4_jRjT5_jjP12ihipStream_tbEUlT_E_NS1_11comp_targetILNS1_3genE3ELNS1_11target_archE908ELNS1_3gpuE7ELNS1_3repE0EEENS1_44radix_sort_block_sort_config_static_selectorELNS0_4arch9wavefront6targetE0EEEvSF_
		.amdhsa_group_segment_fixed_size 0
		.amdhsa_private_segment_fixed_size 0
		.amdhsa_kernarg_size 48
		.amdhsa_user_sgpr_count 2
		.amdhsa_user_sgpr_dispatch_ptr 0
		.amdhsa_user_sgpr_queue_ptr 0
		.amdhsa_user_sgpr_kernarg_segment_ptr 1
		.amdhsa_user_sgpr_dispatch_id 0
		.amdhsa_user_sgpr_kernarg_preload_length 0
		.amdhsa_user_sgpr_kernarg_preload_offset 0
		.amdhsa_user_sgpr_private_segment_size 0
		.amdhsa_wavefront_size32 1
		.amdhsa_uses_dynamic_stack 0
		.amdhsa_enable_private_segment 0
		.amdhsa_system_sgpr_workgroup_id_x 1
		.amdhsa_system_sgpr_workgroup_id_y 0
		.amdhsa_system_sgpr_workgroup_id_z 0
		.amdhsa_system_sgpr_workgroup_info 0
		.amdhsa_system_vgpr_workitem_id 0
		.amdhsa_next_free_vgpr 1
		.amdhsa_next_free_sgpr 1
		.amdhsa_named_barrier_count 0
		.amdhsa_reserve_vcc 0
		.amdhsa_float_round_mode_32 0
		.amdhsa_float_round_mode_16_64 0
		.amdhsa_float_denorm_mode_32 3
		.amdhsa_float_denorm_mode_16_64 3
		.amdhsa_fp16_overflow 0
		.amdhsa_memory_ordered 1
		.amdhsa_forward_progress 1
		.amdhsa_inst_pref_size 0
		.amdhsa_round_robin_scheduling 0
		.amdhsa_exception_fp_ieee_invalid_op 0
		.amdhsa_exception_fp_denorm_src 0
		.amdhsa_exception_fp_ieee_div_zero 0
		.amdhsa_exception_fp_ieee_overflow 0
		.amdhsa_exception_fp_ieee_underflow 0
		.amdhsa_exception_fp_ieee_inexact 0
		.amdhsa_exception_int_div_zero 0
	.end_amdhsa_kernel
	.section	.text._ZN7rocprim17ROCPRIM_400000_NS6detail17trampoline_kernelINS0_13kernel_configILj256ELj4ELj4294967295EEENS1_37radix_sort_block_sort_config_selectorIjNS0_10empty_typeEEEZNS1_21radix_sort_block_sortIS4_Lb1EPKjPjPS6_SC_NS0_19identity_decomposerEEE10hipError_tT1_T2_T3_T4_jRjT5_jjP12ihipStream_tbEUlT_E_NS1_11comp_targetILNS1_3genE3ELNS1_11target_archE908ELNS1_3gpuE7ELNS1_3repE0EEENS1_44radix_sort_block_sort_config_static_selectorELNS0_4arch9wavefront6targetE0EEEvSF_,"axG",@progbits,_ZN7rocprim17ROCPRIM_400000_NS6detail17trampoline_kernelINS0_13kernel_configILj256ELj4ELj4294967295EEENS1_37radix_sort_block_sort_config_selectorIjNS0_10empty_typeEEEZNS1_21radix_sort_block_sortIS4_Lb1EPKjPjPS6_SC_NS0_19identity_decomposerEEE10hipError_tT1_T2_T3_T4_jRjT5_jjP12ihipStream_tbEUlT_E_NS1_11comp_targetILNS1_3genE3ELNS1_11target_archE908ELNS1_3gpuE7ELNS1_3repE0EEENS1_44radix_sort_block_sort_config_static_selectorELNS0_4arch9wavefront6targetE0EEEvSF_,comdat
.Lfunc_end2536:
	.size	_ZN7rocprim17ROCPRIM_400000_NS6detail17trampoline_kernelINS0_13kernel_configILj256ELj4ELj4294967295EEENS1_37radix_sort_block_sort_config_selectorIjNS0_10empty_typeEEEZNS1_21radix_sort_block_sortIS4_Lb1EPKjPjPS6_SC_NS0_19identity_decomposerEEE10hipError_tT1_T2_T3_T4_jRjT5_jjP12ihipStream_tbEUlT_E_NS1_11comp_targetILNS1_3genE3ELNS1_11target_archE908ELNS1_3gpuE7ELNS1_3repE0EEENS1_44radix_sort_block_sort_config_static_selectorELNS0_4arch9wavefront6targetE0EEEvSF_, .Lfunc_end2536-_ZN7rocprim17ROCPRIM_400000_NS6detail17trampoline_kernelINS0_13kernel_configILj256ELj4ELj4294967295EEENS1_37radix_sort_block_sort_config_selectorIjNS0_10empty_typeEEEZNS1_21radix_sort_block_sortIS4_Lb1EPKjPjPS6_SC_NS0_19identity_decomposerEEE10hipError_tT1_T2_T3_T4_jRjT5_jjP12ihipStream_tbEUlT_E_NS1_11comp_targetILNS1_3genE3ELNS1_11target_archE908ELNS1_3gpuE7ELNS1_3repE0EEENS1_44radix_sort_block_sort_config_static_selectorELNS0_4arch9wavefront6targetE0EEEvSF_
                                        ; -- End function
	.set _ZN7rocprim17ROCPRIM_400000_NS6detail17trampoline_kernelINS0_13kernel_configILj256ELj4ELj4294967295EEENS1_37radix_sort_block_sort_config_selectorIjNS0_10empty_typeEEEZNS1_21radix_sort_block_sortIS4_Lb1EPKjPjPS6_SC_NS0_19identity_decomposerEEE10hipError_tT1_T2_T3_T4_jRjT5_jjP12ihipStream_tbEUlT_E_NS1_11comp_targetILNS1_3genE3ELNS1_11target_archE908ELNS1_3gpuE7ELNS1_3repE0EEENS1_44radix_sort_block_sort_config_static_selectorELNS0_4arch9wavefront6targetE0EEEvSF_.num_vgpr, 0
	.set _ZN7rocprim17ROCPRIM_400000_NS6detail17trampoline_kernelINS0_13kernel_configILj256ELj4ELj4294967295EEENS1_37radix_sort_block_sort_config_selectorIjNS0_10empty_typeEEEZNS1_21radix_sort_block_sortIS4_Lb1EPKjPjPS6_SC_NS0_19identity_decomposerEEE10hipError_tT1_T2_T3_T4_jRjT5_jjP12ihipStream_tbEUlT_E_NS1_11comp_targetILNS1_3genE3ELNS1_11target_archE908ELNS1_3gpuE7ELNS1_3repE0EEENS1_44radix_sort_block_sort_config_static_selectorELNS0_4arch9wavefront6targetE0EEEvSF_.num_agpr, 0
	.set _ZN7rocprim17ROCPRIM_400000_NS6detail17trampoline_kernelINS0_13kernel_configILj256ELj4ELj4294967295EEENS1_37radix_sort_block_sort_config_selectorIjNS0_10empty_typeEEEZNS1_21radix_sort_block_sortIS4_Lb1EPKjPjPS6_SC_NS0_19identity_decomposerEEE10hipError_tT1_T2_T3_T4_jRjT5_jjP12ihipStream_tbEUlT_E_NS1_11comp_targetILNS1_3genE3ELNS1_11target_archE908ELNS1_3gpuE7ELNS1_3repE0EEENS1_44radix_sort_block_sort_config_static_selectorELNS0_4arch9wavefront6targetE0EEEvSF_.numbered_sgpr, 0
	.set _ZN7rocprim17ROCPRIM_400000_NS6detail17trampoline_kernelINS0_13kernel_configILj256ELj4ELj4294967295EEENS1_37radix_sort_block_sort_config_selectorIjNS0_10empty_typeEEEZNS1_21radix_sort_block_sortIS4_Lb1EPKjPjPS6_SC_NS0_19identity_decomposerEEE10hipError_tT1_T2_T3_T4_jRjT5_jjP12ihipStream_tbEUlT_E_NS1_11comp_targetILNS1_3genE3ELNS1_11target_archE908ELNS1_3gpuE7ELNS1_3repE0EEENS1_44radix_sort_block_sort_config_static_selectorELNS0_4arch9wavefront6targetE0EEEvSF_.num_named_barrier, 0
	.set _ZN7rocprim17ROCPRIM_400000_NS6detail17trampoline_kernelINS0_13kernel_configILj256ELj4ELj4294967295EEENS1_37radix_sort_block_sort_config_selectorIjNS0_10empty_typeEEEZNS1_21radix_sort_block_sortIS4_Lb1EPKjPjPS6_SC_NS0_19identity_decomposerEEE10hipError_tT1_T2_T3_T4_jRjT5_jjP12ihipStream_tbEUlT_E_NS1_11comp_targetILNS1_3genE3ELNS1_11target_archE908ELNS1_3gpuE7ELNS1_3repE0EEENS1_44radix_sort_block_sort_config_static_selectorELNS0_4arch9wavefront6targetE0EEEvSF_.private_seg_size, 0
	.set _ZN7rocprim17ROCPRIM_400000_NS6detail17trampoline_kernelINS0_13kernel_configILj256ELj4ELj4294967295EEENS1_37radix_sort_block_sort_config_selectorIjNS0_10empty_typeEEEZNS1_21radix_sort_block_sortIS4_Lb1EPKjPjPS6_SC_NS0_19identity_decomposerEEE10hipError_tT1_T2_T3_T4_jRjT5_jjP12ihipStream_tbEUlT_E_NS1_11comp_targetILNS1_3genE3ELNS1_11target_archE908ELNS1_3gpuE7ELNS1_3repE0EEENS1_44radix_sort_block_sort_config_static_selectorELNS0_4arch9wavefront6targetE0EEEvSF_.uses_vcc, 0
	.set _ZN7rocprim17ROCPRIM_400000_NS6detail17trampoline_kernelINS0_13kernel_configILj256ELj4ELj4294967295EEENS1_37radix_sort_block_sort_config_selectorIjNS0_10empty_typeEEEZNS1_21radix_sort_block_sortIS4_Lb1EPKjPjPS6_SC_NS0_19identity_decomposerEEE10hipError_tT1_T2_T3_T4_jRjT5_jjP12ihipStream_tbEUlT_E_NS1_11comp_targetILNS1_3genE3ELNS1_11target_archE908ELNS1_3gpuE7ELNS1_3repE0EEENS1_44radix_sort_block_sort_config_static_selectorELNS0_4arch9wavefront6targetE0EEEvSF_.uses_flat_scratch, 0
	.set _ZN7rocprim17ROCPRIM_400000_NS6detail17trampoline_kernelINS0_13kernel_configILj256ELj4ELj4294967295EEENS1_37radix_sort_block_sort_config_selectorIjNS0_10empty_typeEEEZNS1_21radix_sort_block_sortIS4_Lb1EPKjPjPS6_SC_NS0_19identity_decomposerEEE10hipError_tT1_T2_T3_T4_jRjT5_jjP12ihipStream_tbEUlT_E_NS1_11comp_targetILNS1_3genE3ELNS1_11target_archE908ELNS1_3gpuE7ELNS1_3repE0EEENS1_44radix_sort_block_sort_config_static_selectorELNS0_4arch9wavefront6targetE0EEEvSF_.has_dyn_sized_stack, 0
	.set _ZN7rocprim17ROCPRIM_400000_NS6detail17trampoline_kernelINS0_13kernel_configILj256ELj4ELj4294967295EEENS1_37radix_sort_block_sort_config_selectorIjNS0_10empty_typeEEEZNS1_21radix_sort_block_sortIS4_Lb1EPKjPjPS6_SC_NS0_19identity_decomposerEEE10hipError_tT1_T2_T3_T4_jRjT5_jjP12ihipStream_tbEUlT_E_NS1_11comp_targetILNS1_3genE3ELNS1_11target_archE908ELNS1_3gpuE7ELNS1_3repE0EEENS1_44radix_sort_block_sort_config_static_selectorELNS0_4arch9wavefront6targetE0EEEvSF_.has_recursion, 0
	.set _ZN7rocprim17ROCPRIM_400000_NS6detail17trampoline_kernelINS0_13kernel_configILj256ELj4ELj4294967295EEENS1_37radix_sort_block_sort_config_selectorIjNS0_10empty_typeEEEZNS1_21radix_sort_block_sortIS4_Lb1EPKjPjPS6_SC_NS0_19identity_decomposerEEE10hipError_tT1_T2_T3_T4_jRjT5_jjP12ihipStream_tbEUlT_E_NS1_11comp_targetILNS1_3genE3ELNS1_11target_archE908ELNS1_3gpuE7ELNS1_3repE0EEENS1_44radix_sort_block_sort_config_static_selectorELNS0_4arch9wavefront6targetE0EEEvSF_.has_indirect_call, 0
	.section	.AMDGPU.csdata,"",@progbits
; Kernel info:
; codeLenInByte = 0
; TotalNumSgprs: 0
; NumVgprs: 0
; ScratchSize: 0
; MemoryBound: 0
; FloatMode: 240
; IeeeMode: 1
; LDSByteSize: 0 bytes/workgroup (compile time only)
; SGPRBlocks: 0
; VGPRBlocks: 0
; NumSGPRsForWavesPerEU: 1
; NumVGPRsForWavesPerEU: 1
; NamedBarCnt: 0
; Occupancy: 16
; WaveLimiterHint : 0
; COMPUTE_PGM_RSRC2:SCRATCH_EN: 0
; COMPUTE_PGM_RSRC2:USER_SGPR: 2
; COMPUTE_PGM_RSRC2:TRAP_HANDLER: 0
; COMPUTE_PGM_RSRC2:TGID_X_EN: 1
; COMPUTE_PGM_RSRC2:TGID_Y_EN: 0
; COMPUTE_PGM_RSRC2:TGID_Z_EN: 0
; COMPUTE_PGM_RSRC2:TIDIG_COMP_CNT: 0
	.section	.text._ZN7rocprim17ROCPRIM_400000_NS6detail17trampoline_kernelINS0_13kernel_configILj256ELj4ELj4294967295EEENS1_37radix_sort_block_sort_config_selectorIjNS0_10empty_typeEEEZNS1_21radix_sort_block_sortIS4_Lb1EPKjPjPS6_SC_NS0_19identity_decomposerEEE10hipError_tT1_T2_T3_T4_jRjT5_jjP12ihipStream_tbEUlT_E_NS1_11comp_targetILNS1_3genE2ELNS1_11target_archE906ELNS1_3gpuE6ELNS1_3repE0EEENS1_44radix_sort_block_sort_config_static_selectorELNS0_4arch9wavefront6targetE0EEEvSF_,"axG",@progbits,_ZN7rocprim17ROCPRIM_400000_NS6detail17trampoline_kernelINS0_13kernel_configILj256ELj4ELj4294967295EEENS1_37radix_sort_block_sort_config_selectorIjNS0_10empty_typeEEEZNS1_21radix_sort_block_sortIS4_Lb1EPKjPjPS6_SC_NS0_19identity_decomposerEEE10hipError_tT1_T2_T3_T4_jRjT5_jjP12ihipStream_tbEUlT_E_NS1_11comp_targetILNS1_3genE2ELNS1_11target_archE906ELNS1_3gpuE6ELNS1_3repE0EEENS1_44radix_sort_block_sort_config_static_selectorELNS0_4arch9wavefront6targetE0EEEvSF_,comdat
	.protected	_ZN7rocprim17ROCPRIM_400000_NS6detail17trampoline_kernelINS0_13kernel_configILj256ELj4ELj4294967295EEENS1_37radix_sort_block_sort_config_selectorIjNS0_10empty_typeEEEZNS1_21radix_sort_block_sortIS4_Lb1EPKjPjPS6_SC_NS0_19identity_decomposerEEE10hipError_tT1_T2_T3_T4_jRjT5_jjP12ihipStream_tbEUlT_E_NS1_11comp_targetILNS1_3genE2ELNS1_11target_archE906ELNS1_3gpuE6ELNS1_3repE0EEENS1_44radix_sort_block_sort_config_static_selectorELNS0_4arch9wavefront6targetE0EEEvSF_ ; -- Begin function _ZN7rocprim17ROCPRIM_400000_NS6detail17trampoline_kernelINS0_13kernel_configILj256ELj4ELj4294967295EEENS1_37radix_sort_block_sort_config_selectorIjNS0_10empty_typeEEEZNS1_21radix_sort_block_sortIS4_Lb1EPKjPjPS6_SC_NS0_19identity_decomposerEEE10hipError_tT1_T2_T3_T4_jRjT5_jjP12ihipStream_tbEUlT_E_NS1_11comp_targetILNS1_3genE2ELNS1_11target_archE906ELNS1_3gpuE6ELNS1_3repE0EEENS1_44radix_sort_block_sort_config_static_selectorELNS0_4arch9wavefront6targetE0EEEvSF_
	.globl	_ZN7rocprim17ROCPRIM_400000_NS6detail17trampoline_kernelINS0_13kernel_configILj256ELj4ELj4294967295EEENS1_37radix_sort_block_sort_config_selectorIjNS0_10empty_typeEEEZNS1_21radix_sort_block_sortIS4_Lb1EPKjPjPS6_SC_NS0_19identity_decomposerEEE10hipError_tT1_T2_T3_T4_jRjT5_jjP12ihipStream_tbEUlT_E_NS1_11comp_targetILNS1_3genE2ELNS1_11target_archE906ELNS1_3gpuE6ELNS1_3repE0EEENS1_44radix_sort_block_sort_config_static_selectorELNS0_4arch9wavefront6targetE0EEEvSF_
	.p2align	8
	.type	_ZN7rocprim17ROCPRIM_400000_NS6detail17trampoline_kernelINS0_13kernel_configILj256ELj4ELj4294967295EEENS1_37radix_sort_block_sort_config_selectorIjNS0_10empty_typeEEEZNS1_21radix_sort_block_sortIS4_Lb1EPKjPjPS6_SC_NS0_19identity_decomposerEEE10hipError_tT1_T2_T3_T4_jRjT5_jjP12ihipStream_tbEUlT_E_NS1_11comp_targetILNS1_3genE2ELNS1_11target_archE906ELNS1_3gpuE6ELNS1_3repE0EEENS1_44radix_sort_block_sort_config_static_selectorELNS0_4arch9wavefront6targetE0EEEvSF_,@function
_ZN7rocprim17ROCPRIM_400000_NS6detail17trampoline_kernelINS0_13kernel_configILj256ELj4ELj4294967295EEENS1_37radix_sort_block_sort_config_selectorIjNS0_10empty_typeEEEZNS1_21radix_sort_block_sortIS4_Lb1EPKjPjPS6_SC_NS0_19identity_decomposerEEE10hipError_tT1_T2_T3_T4_jRjT5_jjP12ihipStream_tbEUlT_E_NS1_11comp_targetILNS1_3genE2ELNS1_11target_archE906ELNS1_3gpuE6ELNS1_3repE0EEENS1_44radix_sort_block_sort_config_static_selectorELNS0_4arch9wavefront6targetE0EEEvSF_: ; @_ZN7rocprim17ROCPRIM_400000_NS6detail17trampoline_kernelINS0_13kernel_configILj256ELj4ELj4294967295EEENS1_37radix_sort_block_sort_config_selectorIjNS0_10empty_typeEEEZNS1_21radix_sort_block_sortIS4_Lb1EPKjPjPS6_SC_NS0_19identity_decomposerEEE10hipError_tT1_T2_T3_T4_jRjT5_jjP12ihipStream_tbEUlT_E_NS1_11comp_targetILNS1_3genE2ELNS1_11target_archE906ELNS1_3gpuE6ELNS1_3repE0EEENS1_44radix_sort_block_sort_config_static_selectorELNS0_4arch9wavefront6targetE0EEEvSF_
; %bb.0:
	.section	.rodata,"a",@progbits
	.p2align	6, 0x0
	.amdhsa_kernel _ZN7rocprim17ROCPRIM_400000_NS6detail17trampoline_kernelINS0_13kernel_configILj256ELj4ELj4294967295EEENS1_37radix_sort_block_sort_config_selectorIjNS0_10empty_typeEEEZNS1_21radix_sort_block_sortIS4_Lb1EPKjPjPS6_SC_NS0_19identity_decomposerEEE10hipError_tT1_T2_T3_T4_jRjT5_jjP12ihipStream_tbEUlT_E_NS1_11comp_targetILNS1_3genE2ELNS1_11target_archE906ELNS1_3gpuE6ELNS1_3repE0EEENS1_44radix_sort_block_sort_config_static_selectorELNS0_4arch9wavefront6targetE0EEEvSF_
		.amdhsa_group_segment_fixed_size 0
		.amdhsa_private_segment_fixed_size 0
		.amdhsa_kernarg_size 48
		.amdhsa_user_sgpr_count 2
		.amdhsa_user_sgpr_dispatch_ptr 0
		.amdhsa_user_sgpr_queue_ptr 0
		.amdhsa_user_sgpr_kernarg_segment_ptr 1
		.amdhsa_user_sgpr_dispatch_id 0
		.amdhsa_user_sgpr_kernarg_preload_length 0
		.amdhsa_user_sgpr_kernarg_preload_offset 0
		.amdhsa_user_sgpr_private_segment_size 0
		.amdhsa_wavefront_size32 1
		.amdhsa_uses_dynamic_stack 0
		.amdhsa_enable_private_segment 0
		.amdhsa_system_sgpr_workgroup_id_x 1
		.amdhsa_system_sgpr_workgroup_id_y 0
		.amdhsa_system_sgpr_workgroup_id_z 0
		.amdhsa_system_sgpr_workgroup_info 0
		.amdhsa_system_vgpr_workitem_id 0
		.amdhsa_next_free_vgpr 1
		.amdhsa_next_free_sgpr 1
		.amdhsa_named_barrier_count 0
		.amdhsa_reserve_vcc 0
		.amdhsa_float_round_mode_32 0
		.amdhsa_float_round_mode_16_64 0
		.amdhsa_float_denorm_mode_32 3
		.amdhsa_float_denorm_mode_16_64 3
		.amdhsa_fp16_overflow 0
		.amdhsa_memory_ordered 1
		.amdhsa_forward_progress 1
		.amdhsa_inst_pref_size 0
		.amdhsa_round_robin_scheduling 0
		.amdhsa_exception_fp_ieee_invalid_op 0
		.amdhsa_exception_fp_denorm_src 0
		.amdhsa_exception_fp_ieee_div_zero 0
		.amdhsa_exception_fp_ieee_overflow 0
		.amdhsa_exception_fp_ieee_underflow 0
		.amdhsa_exception_fp_ieee_inexact 0
		.amdhsa_exception_int_div_zero 0
	.end_amdhsa_kernel
	.section	.text._ZN7rocprim17ROCPRIM_400000_NS6detail17trampoline_kernelINS0_13kernel_configILj256ELj4ELj4294967295EEENS1_37radix_sort_block_sort_config_selectorIjNS0_10empty_typeEEEZNS1_21radix_sort_block_sortIS4_Lb1EPKjPjPS6_SC_NS0_19identity_decomposerEEE10hipError_tT1_T2_T3_T4_jRjT5_jjP12ihipStream_tbEUlT_E_NS1_11comp_targetILNS1_3genE2ELNS1_11target_archE906ELNS1_3gpuE6ELNS1_3repE0EEENS1_44radix_sort_block_sort_config_static_selectorELNS0_4arch9wavefront6targetE0EEEvSF_,"axG",@progbits,_ZN7rocprim17ROCPRIM_400000_NS6detail17trampoline_kernelINS0_13kernel_configILj256ELj4ELj4294967295EEENS1_37radix_sort_block_sort_config_selectorIjNS0_10empty_typeEEEZNS1_21radix_sort_block_sortIS4_Lb1EPKjPjPS6_SC_NS0_19identity_decomposerEEE10hipError_tT1_T2_T3_T4_jRjT5_jjP12ihipStream_tbEUlT_E_NS1_11comp_targetILNS1_3genE2ELNS1_11target_archE906ELNS1_3gpuE6ELNS1_3repE0EEENS1_44radix_sort_block_sort_config_static_selectorELNS0_4arch9wavefront6targetE0EEEvSF_,comdat
.Lfunc_end2537:
	.size	_ZN7rocprim17ROCPRIM_400000_NS6detail17trampoline_kernelINS0_13kernel_configILj256ELj4ELj4294967295EEENS1_37radix_sort_block_sort_config_selectorIjNS0_10empty_typeEEEZNS1_21radix_sort_block_sortIS4_Lb1EPKjPjPS6_SC_NS0_19identity_decomposerEEE10hipError_tT1_T2_T3_T4_jRjT5_jjP12ihipStream_tbEUlT_E_NS1_11comp_targetILNS1_3genE2ELNS1_11target_archE906ELNS1_3gpuE6ELNS1_3repE0EEENS1_44radix_sort_block_sort_config_static_selectorELNS0_4arch9wavefront6targetE0EEEvSF_, .Lfunc_end2537-_ZN7rocprim17ROCPRIM_400000_NS6detail17trampoline_kernelINS0_13kernel_configILj256ELj4ELj4294967295EEENS1_37radix_sort_block_sort_config_selectorIjNS0_10empty_typeEEEZNS1_21radix_sort_block_sortIS4_Lb1EPKjPjPS6_SC_NS0_19identity_decomposerEEE10hipError_tT1_T2_T3_T4_jRjT5_jjP12ihipStream_tbEUlT_E_NS1_11comp_targetILNS1_3genE2ELNS1_11target_archE906ELNS1_3gpuE6ELNS1_3repE0EEENS1_44radix_sort_block_sort_config_static_selectorELNS0_4arch9wavefront6targetE0EEEvSF_
                                        ; -- End function
	.set _ZN7rocprim17ROCPRIM_400000_NS6detail17trampoline_kernelINS0_13kernel_configILj256ELj4ELj4294967295EEENS1_37radix_sort_block_sort_config_selectorIjNS0_10empty_typeEEEZNS1_21radix_sort_block_sortIS4_Lb1EPKjPjPS6_SC_NS0_19identity_decomposerEEE10hipError_tT1_T2_T3_T4_jRjT5_jjP12ihipStream_tbEUlT_E_NS1_11comp_targetILNS1_3genE2ELNS1_11target_archE906ELNS1_3gpuE6ELNS1_3repE0EEENS1_44radix_sort_block_sort_config_static_selectorELNS0_4arch9wavefront6targetE0EEEvSF_.num_vgpr, 0
	.set _ZN7rocprim17ROCPRIM_400000_NS6detail17trampoline_kernelINS0_13kernel_configILj256ELj4ELj4294967295EEENS1_37radix_sort_block_sort_config_selectorIjNS0_10empty_typeEEEZNS1_21radix_sort_block_sortIS4_Lb1EPKjPjPS6_SC_NS0_19identity_decomposerEEE10hipError_tT1_T2_T3_T4_jRjT5_jjP12ihipStream_tbEUlT_E_NS1_11comp_targetILNS1_3genE2ELNS1_11target_archE906ELNS1_3gpuE6ELNS1_3repE0EEENS1_44radix_sort_block_sort_config_static_selectorELNS0_4arch9wavefront6targetE0EEEvSF_.num_agpr, 0
	.set _ZN7rocprim17ROCPRIM_400000_NS6detail17trampoline_kernelINS0_13kernel_configILj256ELj4ELj4294967295EEENS1_37radix_sort_block_sort_config_selectorIjNS0_10empty_typeEEEZNS1_21radix_sort_block_sortIS4_Lb1EPKjPjPS6_SC_NS0_19identity_decomposerEEE10hipError_tT1_T2_T3_T4_jRjT5_jjP12ihipStream_tbEUlT_E_NS1_11comp_targetILNS1_3genE2ELNS1_11target_archE906ELNS1_3gpuE6ELNS1_3repE0EEENS1_44radix_sort_block_sort_config_static_selectorELNS0_4arch9wavefront6targetE0EEEvSF_.numbered_sgpr, 0
	.set _ZN7rocprim17ROCPRIM_400000_NS6detail17trampoline_kernelINS0_13kernel_configILj256ELj4ELj4294967295EEENS1_37radix_sort_block_sort_config_selectorIjNS0_10empty_typeEEEZNS1_21radix_sort_block_sortIS4_Lb1EPKjPjPS6_SC_NS0_19identity_decomposerEEE10hipError_tT1_T2_T3_T4_jRjT5_jjP12ihipStream_tbEUlT_E_NS1_11comp_targetILNS1_3genE2ELNS1_11target_archE906ELNS1_3gpuE6ELNS1_3repE0EEENS1_44radix_sort_block_sort_config_static_selectorELNS0_4arch9wavefront6targetE0EEEvSF_.num_named_barrier, 0
	.set _ZN7rocprim17ROCPRIM_400000_NS6detail17trampoline_kernelINS0_13kernel_configILj256ELj4ELj4294967295EEENS1_37radix_sort_block_sort_config_selectorIjNS0_10empty_typeEEEZNS1_21radix_sort_block_sortIS4_Lb1EPKjPjPS6_SC_NS0_19identity_decomposerEEE10hipError_tT1_T2_T3_T4_jRjT5_jjP12ihipStream_tbEUlT_E_NS1_11comp_targetILNS1_3genE2ELNS1_11target_archE906ELNS1_3gpuE6ELNS1_3repE0EEENS1_44radix_sort_block_sort_config_static_selectorELNS0_4arch9wavefront6targetE0EEEvSF_.private_seg_size, 0
	.set _ZN7rocprim17ROCPRIM_400000_NS6detail17trampoline_kernelINS0_13kernel_configILj256ELj4ELj4294967295EEENS1_37radix_sort_block_sort_config_selectorIjNS0_10empty_typeEEEZNS1_21radix_sort_block_sortIS4_Lb1EPKjPjPS6_SC_NS0_19identity_decomposerEEE10hipError_tT1_T2_T3_T4_jRjT5_jjP12ihipStream_tbEUlT_E_NS1_11comp_targetILNS1_3genE2ELNS1_11target_archE906ELNS1_3gpuE6ELNS1_3repE0EEENS1_44radix_sort_block_sort_config_static_selectorELNS0_4arch9wavefront6targetE0EEEvSF_.uses_vcc, 0
	.set _ZN7rocprim17ROCPRIM_400000_NS6detail17trampoline_kernelINS0_13kernel_configILj256ELj4ELj4294967295EEENS1_37radix_sort_block_sort_config_selectorIjNS0_10empty_typeEEEZNS1_21radix_sort_block_sortIS4_Lb1EPKjPjPS6_SC_NS0_19identity_decomposerEEE10hipError_tT1_T2_T3_T4_jRjT5_jjP12ihipStream_tbEUlT_E_NS1_11comp_targetILNS1_3genE2ELNS1_11target_archE906ELNS1_3gpuE6ELNS1_3repE0EEENS1_44radix_sort_block_sort_config_static_selectorELNS0_4arch9wavefront6targetE0EEEvSF_.uses_flat_scratch, 0
	.set _ZN7rocprim17ROCPRIM_400000_NS6detail17trampoline_kernelINS0_13kernel_configILj256ELj4ELj4294967295EEENS1_37radix_sort_block_sort_config_selectorIjNS0_10empty_typeEEEZNS1_21radix_sort_block_sortIS4_Lb1EPKjPjPS6_SC_NS0_19identity_decomposerEEE10hipError_tT1_T2_T3_T4_jRjT5_jjP12ihipStream_tbEUlT_E_NS1_11comp_targetILNS1_3genE2ELNS1_11target_archE906ELNS1_3gpuE6ELNS1_3repE0EEENS1_44radix_sort_block_sort_config_static_selectorELNS0_4arch9wavefront6targetE0EEEvSF_.has_dyn_sized_stack, 0
	.set _ZN7rocprim17ROCPRIM_400000_NS6detail17trampoline_kernelINS0_13kernel_configILj256ELj4ELj4294967295EEENS1_37radix_sort_block_sort_config_selectorIjNS0_10empty_typeEEEZNS1_21radix_sort_block_sortIS4_Lb1EPKjPjPS6_SC_NS0_19identity_decomposerEEE10hipError_tT1_T2_T3_T4_jRjT5_jjP12ihipStream_tbEUlT_E_NS1_11comp_targetILNS1_3genE2ELNS1_11target_archE906ELNS1_3gpuE6ELNS1_3repE0EEENS1_44radix_sort_block_sort_config_static_selectorELNS0_4arch9wavefront6targetE0EEEvSF_.has_recursion, 0
	.set _ZN7rocprim17ROCPRIM_400000_NS6detail17trampoline_kernelINS0_13kernel_configILj256ELj4ELj4294967295EEENS1_37radix_sort_block_sort_config_selectorIjNS0_10empty_typeEEEZNS1_21radix_sort_block_sortIS4_Lb1EPKjPjPS6_SC_NS0_19identity_decomposerEEE10hipError_tT1_T2_T3_T4_jRjT5_jjP12ihipStream_tbEUlT_E_NS1_11comp_targetILNS1_3genE2ELNS1_11target_archE906ELNS1_3gpuE6ELNS1_3repE0EEENS1_44radix_sort_block_sort_config_static_selectorELNS0_4arch9wavefront6targetE0EEEvSF_.has_indirect_call, 0
	.section	.AMDGPU.csdata,"",@progbits
; Kernel info:
; codeLenInByte = 0
; TotalNumSgprs: 0
; NumVgprs: 0
; ScratchSize: 0
; MemoryBound: 0
; FloatMode: 240
; IeeeMode: 1
; LDSByteSize: 0 bytes/workgroup (compile time only)
; SGPRBlocks: 0
; VGPRBlocks: 0
; NumSGPRsForWavesPerEU: 1
; NumVGPRsForWavesPerEU: 1
; NamedBarCnt: 0
; Occupancy: 16
; WaveLimiterHint : 0
; COMPUTE_PGM_RSRC2:SCRATCH_EN: 0
; COMPUTE_PGM_RSRC2:USER_SGPR: 2
; COMPUTE_PGM_RSRC2:TRAP_HANDLER: 0
; COMPUTE_PGM_RSRC2:TGID_X_EN: 1
; COMPUTE_PGM_RSRC2:TGID_Y_EN: 0
; COMPUTE_PGM_RSRC2:TGID_Z_EN: 0
; COMPUTE_PGM_RSRC2:TIDIG_COMP_CNT: 0
	.section	.text._ZN7rocprim17ROCPRIM_400000_NS6detail17trampoline_kernelINS0_13kernel_configILj256ELj4ELj4294967295EEENS1_37radix_sort_block_sort_config_selectorIjNS0_10empty_typeEEEZNS1_21radix_sort_block_sortIS4_Lb1EPKjPjPS6_SC_NS0_19identity_decomposerEEE10hipError_tT1_T2_T3_T4_jRjT5_jjP12ihipStream_tbEUlT_E_NS1_11comp_targetILNS1_3genE10ELNS1_11target_archE1201ELNS1_3gpuE5ELNS1_3repE0EEENS1_44radix_sort_block_sort_config_static_selectorELNS0_4arch9wavefront6targetE0EEEvSF_,"axG",@progbits,_ZN7rocprim17ROCPRIM_400000_NS6detail17trampoline_kernelINS0_13kernel_configILj256ELj4ELj4294967295EEENS1_37radix_sort_block_sort_config_selectorIjNS0_10empty_typeEEEZNS1_21radix_sort_block_sortIS4_Lb1EPKjPjPS6_SC_NS0_19identity_decomposerEEE10hipError_tT1_T2_T3_T4_jRjT5_jjP12ihipStream_tbEUlT_E_NS1_11comp_targetILNS1_3genE10ELNS1_11target_archE1201ELNS1_3gpuE5ELNS1_3repE0EEENS1_44radix_sort_block_sort_config_static_selectorELNS0_4arch9wavefront6targetE0EEEvSF_,comdat
	.protected	_ZN7rocprim17ROCPRIM_400000_NS6detail17trampoline_kernelINS0_13kernel_configILj256ELj4ELj4294967295EEENS1_37radix_sort_block_sort_config_selectorIjNS0_10empty_typeEEEZNS1_21radix_sort_block_sortIS4_Lb1EPKjPjPS6_SC_NS0_19identity_decomposerEEE10hipError_tT1_T2_T3_T4_jRjT5_jjP12ihipStream_tbEUlT_E_NS1_11comp_targetILNS1_3genE10ELNS1_11target_archE1201ELNS1_3gpuE5ELNS1_3repE0EEENS1_44radix_sort_block_sort_config_static_selectorELNS0_4arch9wavefront6targetE0EEEvSF_ ; -- Begin function _ZN7rocprim17ROCPRIM_400000_NS6detail17trampoline_kernelINS0_13kernel_configILj256ELj4ELj4294967295EEENS1_37radix_sort_block_sort_config_selectorIjNS0_10empty_typeEEEZNS1_21radix_sort_block_sortIS4_Lb1EPKjPjPS6_SC_NS0_19identity_decomposerEEE10hipError_tT1_T2_T3_T4_jRjT5_jjP12ihipStream_tbEUlT_E_NS1_11comp_targetILNS1_3genE10ELNS1_11target_archE1201ELNS1_3gpuE5ELNS1_3repE0EEENS1_44radix_sort_block_sort_config_static_selectorELNS0_4arch9wavefront6targetE0EEEvSF_
	.globl	_ZN7rocprim17ROCPRIM_400000_NS6detail17trampoline_kernelINS0_13kernel_configILj256ELj4ELj4294967295EEENS1_37radix_sort_block_sort_config_selectorIjNS0_10empty_typeEEEZNS1_21radix_sort_block_sortIS4_Lb1EPKjPjPS6_SC_NS0_19identity_decomposerEEE10hipError_tT1_T2_T3_T4_jRjT5_jjP12ihipStream_tbEUlT_E_NS1_11comp_targetILNS1_3genE10ELNS1_11target_archE1201ELNS1_3gpuE5ELNS1_3repE0EEENS1_44radix_sort_block_sort_config_static_selectorELNS0_4arch9wavefront6targetE0EEEvSF_
	.p2align	8
	.type	_ZN7rocprim17ROCPRIM_400000_NS6detail17trampoline_kernelINS0_13kernel_configILj256ELj4ELj4294967295EEENS1_37radix_sort_block_sort_config_selectorIjNS0_10empty_typeEEEZNS1_21radix_sort_block_sortIS4_Lb1EPKjPjPS6_SC_NS0_19identity_decomposerEEE10hipError_tT1_T2_T3_T4_jRjT5_jjP12ihipStream_tbEUlT_E_NS1_11comp_targetILNS1_3genE10ELNS1_11target_archE1201ELNS1_3gpuE5ELNS1_3repE0EEENS1_44radix_sort_block_sort_config_static_selectorELNS0_4arch9wavefront6targetE0EEEvSF_,@function
_ZN7rocprim17ROCPRIM_400000_NS6detail17trampoline_kernelINS0_13kernel_configILj256ELj4ELj4294967295EEENS1_37radix_sort_block_sort_config_selectorIjNS0_10empty_typeEEEZNS1_21radix_sort_block_sortIS4_Lb1EPKjPjPS6_SC_NS0_19identity_decomposerEEE10hipError_tT1_T2_T3_T4_jRjT5_jjP12ihipStream_tbEUlT_E_NS1_11comp_targetILNS1_3genE10ELNS1_11target_archE1201ELNS1_3gpuE5ELNS1_3repE0EEENS1_44radix_sort_block_sort_config_static_selectorELNS0_4arch9wavefront6targetE0EEEvSF_: ; @_ZN7rocprim17ROCPRIM_400000_NS6detail17trampoline_kernelINS0_13kernel_configILj256ELj4ELj4294967295EEENS1_37radix_sort_block_sort_config_selectorIjNS0_10empty_typeEEEZNS1_21radix_sort_block_sortIS4_Lb1EPKjPjPS6_SC_NS0_19identity_decomposerEEE10hipError_tT1_T2_T3_T4_jRjT5_jjP12ihipStream_tbEUlT_E_NS1_11comp_targetILNS1_3genE10ELNS1_11target_archE1201ELNS1_3gpuE5ELNS1_3repE0EEENS1_44radix_sort_block_sort_config_static_selectorELNS0_4arch9wavefront6targetE0EEEvSF_
; %bb.0:
	.section	.rodata,"a",@progbits
	.p2align	6, 0x0
	.amdhsa_kernel _ZN7rocprim17ROCPRIM_400000_NS6detail17trampoline_kernelINS0_13kernel_configILj256ELj4ELj4294967295EEENS1_37radix_sort_block_sort_config_selectorIjNS0_10empty_typeEEEZNS1_21radix_sort_block_sortIS4_Lb1EPKjPjPS6_SC_NS0_19identity_decomposerEEE10hipError_tT1_T2_T3_T4_jRjT5_jjP12ihipStream_tbEUlT_E_NS1_11comp_targetILNS1_3genE10ELNS1_11target_archE1201ELNS1_3gpuE5ELNS1_3repE0EEENS1_44radix_sort_block_sort_config_static_selectorELNS0_4arch9wavefront6targetE0EEEvSF_
		.amdhsa_group_segment_fixed_size 0
		.amdhsa_private_segment_fixed_size 0
		.amdhsa_kernarg_size 48
		.amdhsa_user_sgpr_count 2
		.amdhsa_user_sgpr_dispatch_ptr 0
		.amdhsa_user_sgpr_queue_ptr 0
		.amdhsa_user_sgpr_kernarg_segment_ptr 1
		.amdhsa_user_sgpr_dispatch_id 0
		.amdhsa_user_sgpr_kernarg_preload_length 0
		.amdhsa_user_sgpr_kernarg_preload_offset 0
		.amdhsa_user_sgpr_private_segment_size 0
		.amdhsa_wavefront_size32 1
		.amdhsa_uses_dynamic_stack 0
		.amdhsa_enable_private_segment 0
		.amdhsa_system_sgpr_workgroup_id_x 1
		.amdhsa_system_sgpr_workgroup_id_y 0
		.amdhsa_system_sgpr_workgroup_id_z 0
		.amdhsa_system_sgpr_workgroup_info 0
		.amdhsa_system_vgpr_workitem_id 0
		.amdhsa_next_free_vgpr 1
		.amdhsa_next_free_sgpr 1
		.amdhsa_named_barrier_count 0
		.amdhsa_reserve_vcc 0
		.amdhsa_float_round_mode_32 0
		.amdhsa_float_round_mode_16_64 0
		.amdhsa_float_denorm_mode_32 3
		.amdhsa_float_denorm_mode_16_64 3
		.amdhsa_fp16_overflow 0
		.amdhsa_memory_ordered 1
		.amdhsa_forward_progress 1
		.amdhsa_inst_pref_size 0
		.amdhsa_round_robin_scheduling 0
		.amdhsa_exception_fp_ieee_invalid_op 0
		.amdhsa_exception_fp_denorm_src 0
		.amdhsa_exception_fp_ieee_div_zero 0
		.amdhsa_exception_fp_ieee_overflow 0
		.amdhsa_exception_fp_ieee_underflow 0
		.amdhsa_exception_fp_ieee_inexact 0
		.amdhsa_exception_int_div_zero 0
	.end_amdhsa_kernel
	.section	.text._ZN7rocprim17ROCPRIM_400000_NS6detail17trampoline_kernelINS0_13kernel_configILj256ELj4ELj4294967295EEENS1_37radix_sort_block_sort_config_selectorIjNS0_10empty_typeEEEZNS1_21radix_sort_block_sortIS4_Lb1EPKjPjPS6_SC_NS0_19identity_decomposerEEE10hipError_tT1_T2_T3_T4_jRjT5_jjP12ihipStream_tbEUlT_E_NS1_11comp_targetILNS1_3genE10ELNS1_11target_archE1201ELNS1_3gpuE5ELNS1_3repE0EEENS1_44radix_sort_block_sort_config_static_selectorELNS0_4arch9wavefront6targetE0EEEvSF_,"axG",@progbits,_ZN7rocprim17ROCPRIM_400000_NS6detail17trampoline_kernelINS0_13kernel_configILj256ELj4ELj4294967295EEENS1_37radix_sort_block_sort_config_selectorIjNS0_10empty_typeEEEZNS1_21radix_sort_block_sortIS4_Lb1EPKjPjPS6_SC_NS0_19identity_decomposerEEE10hipError_tT1_T2_T3_T4_jRjT5_jjP12ihipStream_tbEUlT_E_NS1_11comp_targetILNS1_3genE10ELNS1_11target_archE1201ELNS1_3gpuE5ELNS1_3repE0EEENS1_44radix_sort_block_sort_config_static_selectorELNS0_4arch9wavefront6targetE0EEEvSF_,comdat
.Lfunc_end2538:
	.size	_ZN7rocprim17ROCPRIM_400000_NS6detail17trampoline_kernelINS0_13kernel_configILj256ELj4ELj4294967295EEENS1_37radix_sort_block_sort_config_selectorIjNS0_10empty_typeEEEZNS1_21radix_sort_block_sortIS4_Lb1EPKjPjPS6_SC_NS0_19identity_decomposerEEE10hipError_tT1_T2_T3_T4_jRjT5_jjP12ihipStream_tbEUlT_E_NS1_11comp_targetILNS1_3genE10ELNS1_11target_archE1201ELNS1_3gpuE5ELNS1_3repE0EEENS1_44radix_sort_block_sort_config_static_selectorELNS0_4arch9wavefront6targetE0EEEvSF_, .Lfunc_end2538-_ZN7rocprim17ROCPRIM_400000_NS6detail17trampoline_kernelINS0_13kernel_configILj256ELj4ELj4294967295EEENS1_37radix_sort_block_sort_config_selectorIjNS0_10empty_typeEEEZNS1_21radix_sort_block_sortIS4_Lb1EPKjPjPS6_SC_NS0_19identity_decomposerEEE10hipError_tT1_T2_T3_T4_jRjT5_jjP12ihipStream_tbEUlT_E_NS1_11comp_targetILNS1_3genE10ELNS1_11target_archE1201ELNS1_3gpuE5ELNS1_3repE0EEENS1_44radix_sort_block_sort_config_static_selectorELNS0_4arch9wavefront6targetE0EEEvSF_
                                        ; -- End function
	.set _ZN7rocprim17ROCPRIM_400000_NS6detail17trampoline_kernelINS0_13kernel_configILj256ELj4ELj4294967295EEENS1_37radix_sort_block_sort_config_selectorIjNS0_10empty_typeEEEZNS1_21radix_sort_block_sortIS4_Lb1EPKjPjPS6_SC_NS0_19identity_decomposerEEE10hipError_tT1_T2_T3_T4_jRjT5_jjP12ihipStream_tbEUlT_E_NS1_11comp_targetILNS1_3genE10ELNS1_11target_archE1201ELNS1_3gpuE5ELNS1_3repE0EEENS1_44radix_sort_block_sort_config_static_selectorELNS0_4arch9wavefront6targetE0EEEvSF_.num_vgpr, 0
	.set _ZN7rocprim17ROCPRIM_400000_NS6detail17trampoline_kernelINS0_13kernel_configILj256ELj4ELj4294967295EEENS1_37radix_sort_block_sort_config_selectorIjNS0_10empty_typeEEEZNS1_21radix_sort_block_sortIS4_Lb1EPKjPjPS6_SC_NS0_19identity_decomposerEEE10hipError_tT1_T2_T3_T4_jRjT5_jjP12ihipStream_tbEUlT_E_NS1_11comp_targetILNS1_3genE10ELNS1_11target_archE1201ELNS1_3gpuE5ELNS1_3repE0EEENS1_44radix_sort_block_sort_config_static_selectorELNS0_4arch9wavefront6targetE0EEEvSF_.num_agpr, 0
	.set _ZN7rocprim17ROCPRIM_400000_NS6detail17trampoline_kernelINS0_13kernel_configILj256ELj4ELj4294967295EEENS1_37radix_sort_block_sort_config_selectorIjNS0_10empty_typeEEEZNS1_21radix_sort_block_sortIS4_Lb1EPKjPjPS6_SC_NS0_19identity_decomposerEEE10hipError_tT1_T2_T3_T4_jRjT5_jjP12ihipStream_tbEUlT_E_NS1_11comp_targetILNS1_3genE10ELNS1_11target_archE1201ELNS1_3gpuE5ELNS1_3repE0EEENS1_44radix_sort_block_sort_config_static_selectorELNS0_4arch9wavefront6targetE0EEEvSF_.numbered_sgpr, 0
	.set _ZN7rocprim17ROCPRIM_400000_NS6detail17trampoline_kernelINS0_13kernel_configILj256ELj4ELj4294967295EEENS1_37radix_sort_block_sort_config_selectorIjNS0_10empty_typeEEEZNS1_21radix_sort_block_sortIS4_Lb1EPKjPjPS6_SC_NS0_19identity_decomposerEEE10hipError_tT1_T2_T3_T4_jRjT5_jjP12ihipStream_tbEUlT_E_NS1_11comp_targetILNS1_3genE10ELNS1_11target_archE1201ELNS1_3gpuE5ELNS1_3repE0EEENS1_44radix_sort_block_sort_config_static_selectorELNS0_4arch9wavefront6targetE0EEEvSF_.num_named_barrier, 0
	.set _ZN7rocprim17ROCPRIM_400000_NS6detail17trampoline_kernelINS0_13kernel_configILj256ELj4ELj4294967295EEENS1_37radix_sort_block_sort_config_selectorIjNS0_10empty_typeEEEZNS1_21radix_sort_block_sortIS4_Lb1EPKjPjPS6_SC_NS0_19identity_decomposerEEE10hipError_tT1_T2_T3_T4_jRjT5_jjP12ihipStream_tbEUlT_E_NS1_11comp_targetILNS1_3genE10ELNS1_11target_archE1201ELNS1_3gpuE5ELNS1_3repE0EEENS1_44radix_sort_block_sort_config_static_selectorELNS0_4arch9wavefront6targetE0EEEvSF_.private_seg_size, 0
	.set _ZN7rocprim17ROCPRIM_400000_NS6detail17trampoline_kernelINS0_13kernel_configILj256ELj4ELj4294967295EEENS1_37radix_sort_block_sort_config_selectorIjNS0_10empty_typeEEEZNS1_21radix_sort_block_sortIS4_Lb1EPKjPjPS6_SC_NS0_19identity_decomposerEEE10hipError_tT1_T2_T3_T4_jRjT5_jjP12ihipStream_tbEUlT_E_NS1_11comp_targetILNS1_3genE10ELNS1_11target_archE1201ELNS1_3gpuE5ELNS1_3repE0EEENS1_44radix_sort_block_sort_config_static_selectorELNS0_4arch9wavefront6targetE0EEEvSF_.uses_vcc, 0
	.set _ZN7rocprim17ROCPRIM_400000_NS6detail17trampoline_kernelINS0_13kernel_configILj256ELj4ELj4294967295EEENS1_37radix_sort_block_sort_config_selectorIjNS0_10empty_typeEEEZNS1_21radix_sort_block_sortIS4_Lb1EPKjPjPS6_SC_NS0_19identity_decomposerEEE10hipError_tT1_T2_T3_T4_jRjT5_jjP12ihipStream_tbEUlT_E_NS1_11comp_targetILNS1_3genE10ELNS1_11target_archE1201ELNS1_3gpuE5ELNS1_3repE0EEENS1_44radix_sort_block_sort_config_static_selectorELNS0_4arch9wavefront6targetE0EEEvSF_.uses_flat_scratch, 0
	.set _ZN7rocprim17ROCPRIM_400000_NS6detail17trampoline_kernelINS0_13kernel_configILj256ELj4ELj4294967295EEENS1_37radix_sort_block_sort_config_selectorIjNS0_10empty_typeEEEZNS1_21radix_sort_block_sortIS4_Lb1EPKjPjPS6_SC_NS0_19identity_decomposerEEE10hipError_tT1_T2_T3_T4_jRjT5_jjP12ihipStream_tbEUlT_E_NS1_11comp_targetILNS1_3genE10ELNS1_11target_archE1201ELNS1_3gpuE5ELNS1_3repE0EEENS1_44radix_sort_block_sort_config_static_selectorELNS0_4arch9wavefront6targetE0EEEvSF_.has_dyn_sized_stack, 0
	.set _ZN7rocprim17ROCPRIM_400000_NS6detail17trampoline_kernelINS0_13kernel_configILj256ELj4ELj4294967295EEENS1_37radix_sort_block_sort_config_selectorIjNS0_10empty_typeEEEZNS1_21radix_sort_block_sortIS4_Lb1EPKjPjPS6_SC_NS0_19identity_decomposerEEE10hipError_tT1_T2_T3_T4_jRjT5_jjP12ihipStream_tbEUlT_E_NS1_11comp_targetILNS1_3genE10ELNS1_11target_archE1201ELNS1_3gpuE5ELNS1_3repE0EEENS1_44radix_sort_block_sort_config_static_selectorELNS0_4arch9wavefront6targetE0EEEvSF_.has_recursion, 0
	.set _ZN7rocprim17ROCPRIM_400000_NS6detail17trampoline_kernelINS0_13kernel_configILj256ELj4ELj4294967295EEENS1_37radix_sort_block_sort_config_selectorIjNS0_10empty_typeEEEZNS1_21radix_sort_block_sortIS4_Lb1EPKjPjPS6_SC_NS0_19identity_decomposerEEE10hipError_tT1_T2_T3_T4_jRjT5_jjP12ihipStream_tbEUlT_E_NS1_11comp_targetILNS1_3genE10ELNS1_11target_archE1201ELNS1_3gpuE5ELNS1_3repE0EEENS1_44radix_sort_block_sort_config_static_selectorELNS0_4arch9wavefront6targetE0EEEvSF_.has_indirect_call, 0
	.section	.AMDGPU.csdata,"",@progbits
; Kernel info:
; codeLenInByte = 0
; TotalNumSgprs: 0
; NumVgprs: 0
; ScratchSize: 0
; MemoryBound: 0
; FloatMode: 240
; IeeeMode: 1
; LDSByteSize: 0 bytes/workgroup (compile time only)
; SGPRBlocks: 0
; VGPRBlocks: 0
; NumSGPRsForWavesPerEU: 1
; NumVGPRsForWavesPerEU: 1
; NamedBarCnt: 0
; Occupancy: 16
; WaveLimiterHint : 0
; COMPUTE_PGM_RSRC2:SCRATCH_EN: 0
; COMPUTE_PGM_RSRC2:USER_SGPR: 2
; COMPUTE_PGM_RSRC2:TRAP_HANDLER: 0
; COMPUTE_PGM_RSRC2:TGID_X_EN: 1
; COMPUTE_PGM_RSRC2:TGID_Y_EN: 0
; COMPUTE_PGM_RSRC2:TGID_Z_EN: 0
; COMPUTE_PGM_RSRC2:TIDIG_COMP_CNT: 0
	.section	.text._ZN7rocprim17ROCPRIM_400000_NS6detail17trampoline_kernelINS0_13kernel_configILj256ELj4ELj4294967295EEENS1_37radix_sort_block_sort_config_selectorIjNS0_10empty_typeEEEZNS1_21radix_sort_block_sortIS4_Lb1EPKjPjPS6_SC_NS0_19identity_decomposerEEE10hipError_tT1_T2_T3_T4_jRjT5_jjP12ihipStream_tbEUlT_E_NS1_11comp_targetILNS1_3genE10ELNS1_11target_archE1200ELNS1_3gpuE4ELNS1_3repE0EEENS1_44radix_sort_block_sort_config_static_selectorELNS0_4arch9wavefront6targetE0EEEvSF_,"axG",@progbits,_ZN7rocprim17ROCPRIM_400000_NS6detail17trampoline_kernelINS0_13kernel_configILj256ELj4ELj4294967295EEENS1_37radix_sort_block_sort_config_selectorIjNS0_10empty_typeEEEZNS1_21radix_sort_block_sortIS4_Lb1EPKjPjPS6_SC_NS0_19identity_decomposerEEE10hipError_tT1_T2_T3_T4_jRjT5_jjP12ihipStream_tbEUlT_E_NS1_11comp_targetILNS1_3genE10ELNS1_11target_archE1200ELNS1_3gpuE4ELNS1_3repE0EEENS1_44radix_sort_block_sort_config_static_selectorELNS0_4arch9wavefront6targetE0EEEvSF_,comdat
	.protected	_ZN7rocprim17ROCPRIM_400000_NS6detail17trampoline_kernelINS0_13kernel_configILj256ELj4ELj4294967295EEENS1_37radix_sort_block_sort_config_selectorIjNS0_10empty_typeEEEZNS1_21radix_sort_block_sortIS4_Lb1EPKjPjPS6_SC_NS0_19identity_decomposerEEE10hipError_tT1_T2_T3_T4_jRjT5_jjP12ihipStream_tbEUlT_E_NS1_11comp_targetILNS1_3genE10ELNS1_11target_archE1200ELNS1_3gpuE4ELNS1_3repE0EEENS1_44radix_sort_block_sort_config_static_selectorELNS0_4arch9wavefront6targetE0EEEvSF_ ; -- Begin function _ZN7rocprim17ROCPRIM_400000_NS6detail17trampoline_kernelINS0_13kernel_configILj256ELj4ELj4294967295EEENS1_37radix_sort_block_sort_config_selectorIjNS0_10empty_typeEEEZNS1_21radix_sort_block_sortIS4_Lb1EPKjPjPS6_SC_NS0_19identity_decomposerEEE10hipError_tT1_T2_T3_T4_jRjT5_jjP12ihipStream_tbEUlT_E_NS1_11comp_targetILNS1_3genE10ELNS1_11target_archE1200ELNS1_3gpuE4ELNS1_3repE0EEENS1_44radix_sort_block_sort_config_static_selectorELNS0_4arch9wavefront6targetE0EEEvSF_
	.globl	_ZN7rocprim17ROCPRIM_400000_NS6detail17trampoline_kernelINS0_13kernel_configILj256ELj4ELj4294967295EEENS1_37radix_sort_block_sort_config_selectorIjNS0_10empty_typeEEEZNS1_21radix_sort_block_sortIS4_Lb1EPKjPjPS6_SC_NS0_19identity_decomposerEEE10hipError_tT1_T2_T3_T4_jRjT5_jjP12ihipStream_tbEUlT_E_NS1_11comp_targetILNS1_3genE10ELNS1_11target_archE1200ELNS1_3gpuE4ELNS1_3repE0EEENS1_44radix_sort_block_sort_config_static_selectorELNS0_4arch9wavefront6targetE0EEEvSF_
	.p2align	8
	.type	_ZN7rocprim17ROCPRIM_400000_NS6detail17trampoline_kernelINS0_13kernel_configILj256ELj4ELj4294967295EEENS1_37radix_sort_block_sort_config_selectorIjNS0_10empty_typeEEEZNS1_21radix_sort_block_sortIS4_Lb1EPKjPjPS6_SC_NS0_19identity_decomposerEEE10hipError_tT1_T2_T3_T4_jRjT5_jjP12ihipStream_tbEUlT_E_NS1_11comp_targetILNS1_3genE10ELNS1_11target_archE1200ELNS1_3gpuE4ELNS1_3repE0EEENS1_44radix_sort_block_sort_config_static_selectorELNS0_4arch9wavefront6targetE0EEEvSF_,@function
_ZN7rocprim17ROCPRIM_400000_NS6detail17trampoline_kernelINS0_13kernel_configILj256ELj4ELj4294967295EEENS1_37radix_sort_block_sort_config_selectorIjNS0_10empty_typeEEEZNS1_21radix_sort_block_sortIS4_Lb1EPKjPjPS6_SC_NS0_19identity_decomposerEEE10hipError_tT1_T2_T3_T4_jRjT5_jjP12ihipStream_tbEUlT_E_NS1_11comp_targetILNS1_3genE10ELNS1_11target_archE1200ELNS1_3gpuE4ELNS1_3repE0EEENS1_44radix_sort_block_sort_config_static_selectorELNS0_4arch9wavefront6targetE0EEEvSF_: ; @_ZN7rocprim17ROCPRIM_400000_NS6detail17trampoline_kernelINS0_13kernel_configILj256ELj4ELj4294967295EEENS1_37radix_sort_block_sort_config_selectorIjNS0_10empty_typeEEEZNS1_21radix_sort_block_sortIS4_Lb1EPKjPjPS6_SC_NS0_19identity_decomposerEEE10hipError_tT1_T2_T3_T4_jRjT5_jjP12ihipStream_tbEUlT_E_NS1_11comp_targetILNS1_3genE10ELNS1_11target_archE1200ELNS1_3gpuE4ELNS1_3repE0EEENS1_44radix_sort_block_sort_config_static_selectorELNS0_4arch9wavefront6targetE0EEEvSF_
; %bb.0:
	.section	.rodata,"a",@progbits
	.p2align	6, 0x0
	.amdhsa_kernel _ZN7rocprim17ROCPRIM_400000_NS6detail17trampoline_kernelINS0_13kernel_configILj256ELj4ELj4294967295EEENS1_37radix_sort_block_sort_config_selectorIjNS0_10empty_typeEEEZNS1_21radix_sort_block_sortIS4_Lb1EPKjPjPS6_SC_NS0_19identity_decomposerEEE10hipError_tT1_T2_T3_T4_jRjT5_jjP12ihipStream_tbEUlT_E_NS1_11comp_targetILNS1_3genE10ELNS1_11target_archE1200ELNS1_3gpuE4ELNS1_3repE0EEENS1_44radix_sort_block_sort_config_static_selectorELNS0_4arch9wavefront6targetE0EEEvSF_
		.amdhsa_group_segment_fixed_size 0
		.amdhsa_private_segment_fixed_size 0
		.amdhsa_kernarg_size 48
		.amdhsa_user_sgpr_count 2
		.amdhsa_user_sgpr_dispatch_ptr 0
		.amdhsa_user_sgpr_queue_ptr 0
		.amdhsa_user_sgpr_kernarg_segment_ptr 1
		.amdhsa_user_sgpr_dispatch_id 0
		.amdhsa_user_sgpr_kernarg_preload_length 0
		.amdhsa_user_sgpr_kernarg_preload_offset 0
		.amdhsa_user_sgpr_private_segment_size 0
		.amdhsa_wavefront_size32 1
		.amdhsa_uses_dynamic_stack 0
		.amdhsa_enable_private_segment 0
		.amdhsa_system_sgpr_workgroup_id_x 1
		.amdhsa_system_sgpr_workgroup_id_y 0
		.amdhsa_system_sgpr_workgroup_id_z 0
		.amdhsa_system_sgpr_workgroup_info 0
		.amdhsa_system_vgpr_workitem_id 0
		.amdhsa_next_free_vgpr 1
		.amdhsa_next_free_sgpr 1
		.amdhsa_named_barrier_count 0
		.amdhsa_reserve_vcc 0
		.amdhsa_float_round_mode_32 0
		.amdhsa_float_round_mode_16_64 0
		.amdhsa_float_denorm_mode_32 3
		.amdhsa_float_denorm_mode_16_64 3
		.amdhsa_fp16_overflow 0
		.amdhsa_memory_ordered 1
		.amdhsa_forward_progress 1
		.amdhsa_inst_pref_size 0
		.amdhsa_round_robin_scheduling 0
		.amdhsa_exception_fp_ieee_invalid_op 0
		.amdhsa_exception_fp_denorm_src 0
		.amdhsa_exception_fp_ieee_div_zero 0
		.amdhsa_exception_fp_ieee_overflow 0
		.amdhsa_exception_fp_ieee_underflow 0
		.amdhsa_exception_fp_ieee_inexact 0
		.amdhsa_exception_int_div_zero 0
	.end_amdhsa_kernel
	.section	.text._ZN7rocprim17ROCPRIM_400000_NS6detail17trampoline_kernelINS0_13kernel_configILj256ELj4ELj4294967295EEENS1_37radix_sort_block_sort_config_selectorIjNS0_10empty_typeEEEZNS1_21radix_sort_block_sortIS4_Lb1EPKjPjPS6_SC_NS0_19identity_decomposerEEE10hipError_tT1_T2_T3_T4_jRjT5_jjP12ihipStream_tbEUlT_E_NS1_11comp_targetILNS1_3genE10ELNS1_11target_archE1200ELNS1_3gpuE4ELNS1_3repE0EEENS1_44radix_sort_block_sort_config_static_selectorELNS0_4arch9wavefront6targetE0EEEvSF_,"axG",@progbits,_ZN7rocprim17ROCPRIM_400000_NS6detail17trampoline_kernelINS0_13kernel_configILj256ELj4ELj4294967295EEENS1_37radix_sort_block_sort_config_selectorIjNS0_10empty_typeEEEZNS1_21radix_sort_block_sortIS4_Lb1EPKjPjPS6_SC_NS0_19identity_decomposerEEE10hipError_tT1_T2_T3_T4_jRjT5_jjP12ihipStream_tbEUlT_E_NS1_11comp_targetILNS1_3genE10ELNS1_11target_archE1200ELNS1_3gpuE4ELNS1_3repE0EEENS1_44radix_sort_block_sort_config_static_selectorELNS0_4arch9wavefront6targetE0EEEvSF_,comdat
.Lfunc_end2539:
	.size	_ZN7rocprim17ROCPRIM_400000_NS6detail17trampoline_kernelINS0_13kernel_configILj256ELj4ELj4294967295EEENS1_37radix_sort_block_sort_config_selectorIjNS0_10empty_typeEEEZNS1_21radix_sort_block_sortIS4_Lb1EPKjPjPS6_SC_NS0_19identity_decomposerEEE10hipError_tT1_T2_T3_T4_jRjT5_jjP12ihipStream_tbEUlT_E_NS1_11comp_targetILNS1_3genE10ELNS1_11target_archE1200ELNS1_3gpuE4ELNS1_3repE0EEENS1_44radix_sort_block_sort_config_static_selectorELNS0_4arch9wavefront6targetE0EEEvSF_, .Lfunc_end2539-_ZN7rocprim17ROCPRIM_400000_NS6detail17trampoline_kernelINS0_13kernel_configILj256ELj4ELj4294967295EEENS1_37radix_sort_block_sort_config_selectorIjNS0_10empty_typeEEEZNS1_21radix_sort_block_sortIS4_Lb1EPKjPjPS6_SC_NS0_19identity_decomposerEEE10hipError_tT1_T2_T3_T4_jRjT5_jjP12ihipStream_tbEUlT_E_NS1_11comp_targetILNS1_3genE10ELNS1_11target_archE1200ELNS1_3gpuE4ELNS1_3repE0EEENS1_44radix_sort_block_sort_config_static_selectorELNS0_4arch9wavefront6targetE0EEEvSF_
                                        ; -- End function
	.set _ZN7rocprim17ROCPRIM_400000_NS6detail17trampoline_kernelINS0_13kernel_configILj256ELj4ELj4294967295EEENS1_37radix_sort_block_sort_config_selectorIjNS0_10empty_typeEEEZNS1_21radix_sort_block_sortIS4_Lb1EPKjPjPS6_SC_NS0_19identity_decomposerEEE10hipError_tT1_T2_T3_T4_jRjT5_jjP12ihipStream_tbEUlT_E_NS1_11comp_targetILNS1_3genE10ELNS1_11target_archE1200ELNS1_3gpuE4ELNS1_3repE0EEENS1_44radix_sort_block_sort_config_static_selectorELNS0_4arch9wavefront6targetE0EEEvSF_.num_vgpr, 0
	.set _ZN7rocprim17ROCPRIM_400000_NS6detail17trampoline_kernelINS0_13kernel_configILj256ELj4ELj4294967295EEENS1_37radix_sort_block_sort_config_selectorIjNS0_10empty_typeEEEZNS1_21radix_sort_block_sortIS4_Lb1EPKjPjPS6_SC_NS0_19identity_decomposerEEE10hipError_tT1_T2_T3_T4_jRjT5_jjP12ihipStream_tbEUlT_E_NS1_11comp_targetILNS1_3genE10ELNS1_11target_archE1200ELNS1_3gpuE4ELNS1_3repE0EEENS1_44radix_sort_block_sort_config_static_selectorELNS0_4arch9wavefront6targetE0EEEvSF_.num_agpr, 0
	.set _ZN7rocprim17ROCPRIM_400000_NS6detail17trampoline_kernelINS0_13kernel_configILj256ELj4ELj4294967295EEENS1_37radix_sort_block_sort_config_selectorIjNS0_10empty_typeEEEZNS1_21radix_sort_block_sortIS4_Lb1EPKjPjPS6_SC_NS0_19identity_decomposerEEE10hipError_tT1_T2_T3_T4_jRjT5_jjP12ihipStream_tbEUlT_E_NS1_11comp_targetILNS1_3genE10ELNS1_11target_archE1200ELNS1_3gpuE4ELNS1_3repE0EEENS1_44radix_sort_block_sort_config_static_selectorELNS0_4arch9wavefront6targetE0EEEvSF_.numbered_sgpr, 0
	.set _ZN7rocprim17ROCPRIM_400000_NS6detail17trampoline_kernelINS0_13kernel_configILj256ELj4ELj4294967295EEENS1_37radix_sort_block_sort_config_selectorIjNS0_10empty_typeEEEZNS1_21radix_sort_block_sortIS4_Lb1EPKjPjPS6_SC_NS0_19identity_decomposerEEE10hipError_tT1_T2_T3_T4_jRjT5_jjP12ihipStream_tbEUlT_E_NS1_11comp_targetILNS1_3genE10ELNS1_11target_archE1200ELNS1_3gpuE4ELNS1_3repE0EEENS1_44radix_sort_block_sort_config_static_selectorELNS0_4arch9wavefront6targetE0EEEvSF_.num_named_barrier, 0
	.set _ZN7rocprim17ROCPRIM_400000_NS6detail17trampoline_kernelINS0_13kernel_configILj256ELj4ELj4294967295EEENS1_37radix_sort_block_sort_config_selectorIjNS0_10empty_typeEEEZNS1_21radix_sort_block_sortIS4_Lb1EPKjPjPS6_SC_NS0_19identity_decomposerEEE10hipError_tT1_T2_T3_T4_jRjT5_jjP12ihipStream_tbEUlT_E_NS1_11comp_targetILNS1_3genE10ELNS1_11target_archE1200ELNS1_3gpuE4ELNS1_3repE0EEENS1_44radix_sort_block_sort_config_static_selectorELNS0_4arch9wavefront6targetE0EEEvSF_.private_seg_size, 0
	.set _ZN7rocprim17ROCPRIM_400000_NS6detail17trampoline_kernelINS0_13kernel_configILj256ELj4ELj4294967295EEENS1_37radix_sort_block_sort_config_selectorIjNS0_10empty_typeEEEZNS1_21radix_sort_block_sortIS4_Lb1EPKjPjPS6_SC_NS0_19identity_decomposerEEE10hipError_tT1_T2_T3_T4_jRjT5_jjP12ihipStream_tbEUlT_E_NS1_11comp_targetILNS1_3genE10ELNS1_11target_archE1200ELNS1_3gpuE4ELNS1_3repE0EEENS1_44radix_sort_block_sort_config_static_selectorELNS0_4arch9wavefront6targetE0EEEvSF_.uses_vcc, 0
	.set _ZN7rocprim17ROCPRIM_400000_NS6detail17trampoline_kernelINS0_13kernel_configILj256ELj4ELj4294967295EEENS1_37radix_sort_block_sort_config_selectorIjNS0_10empty_typeEEEZNS1_21radix_sort_block_sortIS4_Lb1EPKjPjPS6_SC_NS0_19identity_decomposerEEE10hipError_tT1_T2_T3_T4_jRjT5_jjP12ihipStream_tbEUlT_E_NS1_11comp_targetILNS1_3genE10ELNS1_11target_archE1200ELNS1_3gpuE4ELNS1_3repE0EEENS1_44radix_sort_block_sort_config_static_selectorELNS0_4arch9wavefront6targetE0EEEvSF_.uses_flat_scratch, 0
	.set _ZN7rocprim17ROCPRIM_400000_NS6detail17trampoline_kernelINS0_13kernel_configILj256ELj4ELj4294967295EEENS1_37radix_sort_block_sort_config_selectorIjNS0_10empty_typeEEEZNS1_21radix_sort_block_sortIS4_Lb1EPKjPjPS6_SC_NS0_19identity_decomposerEEE10hipError_tT1_T2_T3_T4_jRjT5_jjP12ihipStream_tbEUlT_E_NS1_11comp_targetILNS1_3genE10ELNS1_11target_archE1200ELNS1_3gpuE4ELNS1_3repE0EEENS1_44radix_sort_block_sort_config_static_selectorELNS0_4arch9wavefront6targetE0EEEvSF_.has_dyn_sized_stack, 0
	.set _ZN7rocprim17ROCPRIM_400000_NS6detail17trampoline_kernelINS0_13kernel_configILj256ELj4ELj4294967295EEENS1_37radix_sort_block_sort_config_selectorIjNS0_10empty_typeEEEZNS1_21radix_sort_block_sortIS4_Lb1EPKjPjPS6_SC_NS0_19identity_decomposerEEE10hipError_tT1_T2_T3_T4_jRjT5_jjP12ihipStream_tbEUlT_E_NS1_11comp_targetILNS1_3genE10ELNS1_11target_archE1200ELNS1_3gpuE4ELNS1_3repE0EEENS1_44radix_sort_block_sort_config_static_selectorELNS0_4arch9wavefront6targetE0EEEvSF_.has_recursion, 0
	.set _ZN7rocprim17ROCPRIM_400000_NS6detail17trampoline_kernelINS0_13kernel_configILj256ELj4ELj4294967295EEENS1_37radix_sort_block_sort_config_selectorIjNS0_10empty_typeEEEZNS1_21radix_sort_block_sortIS4_Lb1EPKjPjPS6_SC_NS0_19identity_decomposerEEE10hipError_tT1_T2_T3_T4_jRjT5_jjP12ihipStream_tbEUlT_E_NS1_11comp_targetILNS1_3genE10ELNS1_11target_archE1200ELNS1_3gpuE4ELNS1_3repE0EEENS1_44radix_sort_block_sort_config_static_selectorELNS0_4arch9wavefront6targetE0EEEvSF_.has_indirect_call, 0
	.section	.AMDGPU.csdata,"",@progbits
; Kernel info:
; codeLenInByte = 0
; TotalNumSgprs: 0
; NumVgprs: 0
; ScratchSize: 0
; MemoryBound: 0
; FloatMode: 240
; IeeeMode: 1
; LDSByteSize: 0 bytes/workgroup (compile time only)
; SGPRBlocks: 0
; VGPRBlocks: 0
; NumSGPRsForWavesPerEU: 1
; NumVGPRsForWavesPerEU: 1
; NamedBarCnt: 0
; Occupancy: 16
; WaveLimiterHint : 0
; COMPUTE_PGM_RSRC2:SCRATCH_EN: 0
; COMPUTE_PGM_RSRC2:USER_SGPR: 2
; COMPUTE_PGM_RSRC2:TRAP_HANDLER: 0
; COMPUTE_PGM_RSRC2:TGID_X_EN: 1
; COMPUTE_PGM_RSRC2:TGID_Y_EN: 0
; COMPUTE_PGM_RSRC2:TGID_Z_EN: 0
; COMPUTE_PGM_RSRC2:TIDIG_COMP_CNT: 0
	.section	.text._ZN7rocprim17ROCPRIM_400000_NS6detail17trampoline_kernelINS0_13kernel_configILj256ELj4ELj4294967295EEENS1_37radix_sort_block_sort_config_selectorIjNS0_10empty_typeEEEZNS1_21radix_sort_block_sortIS4_Lb1EPKjPjPS6_SC_NS0_19identity_decomposerEEE10hipError_tT1_T2_T3_T4_jRjT5_jjP12ihipStream_tbEUlT_E_NS1_11comp_targetILNS1_3genE9ELNS1_11target_archE1100ELNS1_3gpuE3ELNS1_3repE0EEENS1_44radix_sort_block_sort_config_static_selectorELNS0_4arch9wavefront6targetE0EEEvSF_,"axG",@progbits,_ZN7rocprim17ROCPRIM_400000_NS6detail17trampoline_kernelINS0_13kernel_configILj256ELj4ELj4294967295EEENS1_37radix_sort_block_sort_config_selectorIjNS0_10empty_typeEEEZNS1_21radix_sort_block_sortIS4_Lb1EPKjPjPS6_SC_NS0_19identity_decomposerEEE10hipError_tT1_T2_T3_T4_jRjT5_jjP12ihipStream_tbEUlT_E_NS1_11comp_targetILNS1_3genE9ELNS1_11target_archE1100ELNS1_3gpuE3ELNS1_3repE0EEENS1_44radix_sort_block_sort_config_static_selectorELNS0_4arch9wavefront6targetE0EEEvSF_,comdat
	.protected	_ZN7rocprim17ROCPRIM_400000_NS6detail17trampoline_kernelINS0_13kernel_configILj256ELj4ELj4294967295EEENS1_37radix_sort_block_sort_config_selectorIjNS0_10empty_typeEEEZNS1_21radix_sort_block_sortIS4_Lb1EPKjPjPS6_SC_NS0_19identity_decomposerEEE10hipError_tT1_T2_T3_T4_jRjT5_jjP12ihipStream_tbEUlT_E_NS1_11comp_targetILNS1_3genE9ELNS1_11target_archE1100ELNS1_3gpuE3ELNS1_3repE0EEENS1_44radix_sort_block_sort_config_static_selectorELNS0_4arch9wavefront6targetE0EEEvSF_ ; -- Begin function _ZN7rocprim17ROCPRIM_400000_NS6detail17trampoline_kernelINS0_13kernel_configILj256ELj4ELj4294967295EEENS1_37radix_sort_block_sort_config_selectorIjNS0_10empty_typeEEEZNS1_21radix_sort_block_sortIS4_Lb1EPKjPjPS6_SC_NS0_19identity_decomposerEEE10hipError_tT1_T2_T3_T4_jRjT5_jjP12ihipStream_tbEUlT_E_NS1_11comp_targetILNS1_3genE9ELNS1_11target_archE1100ELNS1_3gpuE3ELNS1_3repE0EEENS1_44radix_sort_block_sort_config_static_selectorELNS0_4arch9wavefront6targetE0EEEvSF_
	.globl	_ZN7rocprim17ROCPRIM_400000_NS6detail17trampoline_kernelINS0_13kernel_configILj256ELj4ELj4294967295EEENS1_37radix_sort_block_sort_config_selectorIjNS0_10empty_typeEEEZNS1_21radix_sort_block_sortIS4_Lb1EPKjPjPS6_SC_NS0_19identity_decomposerEEE10hipError_tT1_T2_T3_T4_jRjT5_jjP12ihipStream_tbEUlT_E_NS1_11comp_targetILNS1_3genE9ELNS1_11target_archE1100ELNS1_3gpuE3ELNS1_3repE0EEENS1_44radix_sort_block_sort_config_static_selectorELNS0_4arch9wavefront6targetE0EEEvSF_
	.p2align	8
	.type	_ZN7rocprim17ROCPRIM_400000_NS6detail17trampoline_kernelINS0_13kernel_configILj256ELj4ELj4294967295EEENS1_37radix_sort_block_sort_config_selectorIjNS0_10empty_typeEEEZNS1_21radix_sort_block_sortIS4_Lb1EPKjPjPS6_SC_NS0_19identity_decomposerEEE10hipError_tT1_T2_T3_T4_jRjT5_jjP12ihipStream_tbEUlT_E_NS1_11comp_targetILNS1_3genE9ELNS1_11target_archE1100ELNS1_3gpuE3ELNS1_3repE0EEENS1_44radix_sort_block_sort_config_static_selectorELNS0_4arch9wavefront6targetE0EEEvSF_,@function
_ZN7rocprim17ROCPRIM_400000_NS6detail17trampoline_kernelINS0_13kernel_configILj256ELj4ELj4294967295EEENS1_37radix_sort_block_sort_config_selectorIjNS0_10empty_typeEEEZNS1_21radix_sort_block_sortIS4_Lb1EPKjPjPS6_SC_NS0_19identity_decomposerEEE10hipError_tT1_T2_T3_T4_jRjT5_jjP12ihipStream_tbEUlT_E_NS1_11comp_targetILNS1_3genE9ELNS1_11target_archE1100ELNS1_3gpuE3ELNS1_3repE0EEENS1_44radix_sort_block_sort_config_static_selectorELNS0_4arch9wavefront6targetE0EEEvSF_: ; @_ZN7rocprim17ROCPRIM_400000_NS6detail17trampoline_kernelINS0_13kernel_configILj256ELj4ELj4294967295EEENS1_37radix_sort_block_sort_config_selectorIjNS0_10empty_typeEEEZNS1_21radix_sort_block_sortIS4_Lb1EPKjPjPS6_SC_NS0_19identity_decomposerEEE10hipError_tT1_T2_T3_T4_jRjT5_jjP12ihipStream_tbEUlT_E_NS1_11comp_targetILNS1_3genE9ELNS1_11target_archE1100ELNS1_3gpuE3ELNS1_3repE0EEENS1_44radix_sort_block_sort_config_static_selectorELNS0_4arch9wavefront6targetE0EEEvSF_
; %bb.0:
	.section	.rodata,"a",@progbits
	.p2align	6, 0x0
	.amdhsa_kernel _ZN7rocprim17ROCPRIM_400000_NS6detail17trampoline_kernelINS0_13kernel_configILj256ELj4ELj4294967295EEENS1_37radix_sort_block_sort_config_selectorIjNS0_10empty_typeEEEZNS1_21radix_sort_block_sortIS4_Lb1EPKjPjPS6_SC_NS0_19identity_decomposerEEE10hipError_tT1_T2_T3_T4_jRjT5_jjP12ihipStream_tbEUlT_E_NS1_11comp_targetILNS1_3genE9ELNS1_11target_archE1100ELNS1_3gpuE3ELNS1_3repE0EEENS1_44radix_sort_block_sort_config_static_selectorELNS0_4arch9wavefront6targetE0EEEvSF_
		.amdhsa_group_segment_fixed_size 0
		.amdhsa_private_segment_fixed_size 0
		.amdhsa_kernarg_size 48
		.amdhsa_user_sgpr_count 2
		.amdhsa_user_sgpr_dispatch_ptr 0
		.amdhsa_user_sgpr_queue_ptr 0
		.amdhsa_user_sgpr_kernarg_segment_ptr 1
		.amdhsa_user_sgpr_dispatch_id 0
		.amdhsa_user_sgpr_kernarg_preload_length 0
		.amdhsa_user_sgpr_kernarg_preload_offset 0
		.amdhsa_user_sgpr_private_segment_size 0
		.amdhsa_wavefront_size32 1
		.amdhsa_uses_dynamic_stack 0
		.amdhsa_enable_private_segment 0
		.amdhsa_system_sgpr_workgroup_id_x 1
		.amdhsa_system_sgpr_workgroup_id_y 0
		.amdhsa_system_sgpr_workgroup_id_z 0
		.amdhsa_system_sgpr_workgroup_info 0
		.amdhsa_system_vgpr_workitem_id 0
		.amdhsa_next_free_vgpr 1
		.amdhsa_next_free_sgpr 1
		.amdhsa_named_barrier_count 0
		.amdhsa_reserve_vcc 0
		.amdhsa_float_round_mode_32 0
		.amdhsa_float_round_mode_16_64 0
		.amdhsa_float_denorm_mode_32 3
		.amdhsa_float_denorm_mode_16_64 3
		.amdhsa_fp16_overflow 0
		.amdhsa_memory_ordered 1
		.amdhsa_forward_progress 1
		.amdhsa_inst_pref_size 0
		.amdhsa_round_robin_scheduling 0
		.amdhsa_exception_fp_ieee_invalid_op 0
		.amdhsa_exception_fp_denorm_src 0
		.amdhsa_exception_fp_ieee_div_zero 0
		.amdhsa_exception_fp_ieee_overflow 0
		.amdhsa_exception_fp_ieee_underflow 0
		.amdhsa_exception_fp_ieee_inexact 0
		.amdhsa_exception_int_div_zero 0
	.end_amdhsa_kernel
	.section	.text._ZN7rocprim17ROCPRIM_400000_NS6detail17trampoline_kernelINS0_13kernel_configILj256ELj4ELj4294967295EEENS1_37radix_sort_block_sort_config_selectorIjNS0_10empty_typeEEEZNS1_21radix_sort_block_sortIS4_Lb1EPKjPjPS6_SC_NS0_19identity_decomposerEEE10hipError_tT1_T2_T3_T4_jRjT5_jjP12ihipStream_tbEUlT_E_NS1_11comp_targetILNS1_3genE9ELNS1_11target_archE1100ELNS1_3gpuE3ELNS1_3repE0EEENS1_44radix_sort_block_sort_config_static_selectorELNS0_4arch9wavefront6targetE0EEEvSF_,"axG",@progbits,_ZN7rocprim17ROCPRIM_400000_NS6detail17trampoline_kernelINS0_13kernel_configILj256ELj4ELj4294967295EEENS1_37radix_sort_block_sort_config_selectorIjNS0_10empty_typeEEEZNS1_21radix_sort_block_sortIS4_Lb1EPKjPjPS6_SC_NS0_19identity_decomposerEEE10hipError_tT1_T2_T3_T4_jRjT5_jjP12ihipStream_tbEUlT_E_NS1_11comp_targetILNS1_3genE9ELNS1_11target_archE1100ELNS1_3gpuE3ELNS1_3repE0EEENS1_44radix_sort_block_sort_config_static_selectorELNS0_4arch9wavefront6targetE0EEEvSF_,comdat
.Lfunc_end2540:
	.size	_ZN7rocprim17ROCPRIM_400000_NS6detail17trampoline_kernelINS0_13kernel_configILj256ELj4ELj4294967295EEENS1_37radix_sort_block_sort_config_selectorIjNS0_10empty_typeEEEZNS1_21radix_sort_block_sortIS4_Lb1EPKjPjPS6_SC_NS0_19identity_decomposerEEE10hipError_tT1_T2_T3_T4_jRjT5_jjP12ihipStream_tbEUlT_E_NS1_11comp_targetILNS1_3genE9ELNS1_11target_archE1100ELNS1_3gpuE3ELNS1_3repE0EEENS1_44radix_sort_block_sort_config_static_selectorELNS0_4arch9wavefront6targetE0EEEvSF_, .Lfunc_end2540-_ZN7rocprim17ROCPRIM_400000_NS6detail17trampoline_kernelINS0_13kernel_configILj256ELj4ELj4294967295EEENS1_37radix_sort_block_sort_config_selectorIjNS0_10empty_typeEEEZNS1_21radix_sort_block_sortIS4_Lb1EPKjPjPS6_SC_NS0_19identity_decomposerEEE10hipError_tT1_T2_T3_T4_jRjT5_jjP12ihipStream_tbEUlT_E_NS1_11comp_targetILNS1_3genE9ELNS1_11target_archE1100ELNS1_3gpuE3ELNS1_3repE0EEENS1_44radix_sort_block_sort_config_static_selectorELNS0_4arch9wavefront6targetE0EEEvSF_
                                        ; -- End function
	.set _ZN7rocprim17ROCPRIM_400000_NS6detail17trampoline_kernelINS0_13kernel_configILj256ELj4ELj4294967295EEENS1_37radix_sort_block_sort_config_selectorIjNS0_10empty_typeEEEZNS1_21radix_sort_block_sortIS4_Lb1EPKjPjPS6_SC_NS0_19identity_decomposerEEE10hipError_tT1_T2_T3_T4_jRjT5_jjP12ihipStream_tbEUlT_E_NS1_11comp_targetILNS1_3genE9ELNS1_11target_archE1100ELNS1_3gpuE3ELNS1_3repE0EEENS1_44radix_sort_block_sort_config_static_selectorELNS0_4arch9wavefront6targetE0EEEvSF_.num_vgpr, 0
	.set _ZN7rocprim17ROCPRIM_400000_NS6detail17trampoline_kernelINS0_13kernel_configILj256ELj4ELj4294967295EEENS1_37radix_sort_block_sort_config_selectorIjNS0_10empty_typeEEEZNS1_21radix_sort_block_sortIS4_Lb1EPKjPjPS6_SC_NS0_19identity_decomposerEEE10hipError_tT1_T2_T3_T4_jRjT5_jjP12ihipStream_tbEUlT_E_NS1_11comp_targetILNS1_3genE9ELNS1_11target_archE1100ELNS1_3gpuE3ELNS1_3repE0EEENS1_44radix_sort_block_sort_config_static_selectorELNS0_4arch9wavefront6targetE0EEEvSF_.num_agpr, 0
	.set _ZN7rocprim17ROCPRIM_400000_NS6detail17trampoline_kernelINS0_13kernel_configILj256ELj4ELj4294967295EEENS1_37radix_sort_block_sort_config_selectorIjNS0_10empty_typeEEEZNS1_21radix_sort_block_sortIS4_Lb1EPKjPjPS6_SC_NS0_19identity_decomposerEEE10hipError_tT1_T2_T3_T4_jRjT5_jjP12ihipStream_tbEUlT_E_NS1_11comp_targetILNS1_3genE9ELNS1_11target_archE1100ELNS1_3gpuE3ELNS1_3repE0EEENS1_44radix_sort_block_sort_config_static_selectorELNS0_4arch9wavefront6targetE0EEEvSF_.numbered_sgpr, 0
	.set _ZN7rocprim17ROCPRIM_400000_NS6detail17trampoline_kernelINS0_13kernel_configILj256ELj4ELj4294967295EEENS1_37radix_sort_block_sort_config_selectorIjNS0_10empty_typeEEEZNS1_21radix_sort_block_sortIS4_Lb1EPKjPjPS6_SC_NS0_19identity_decomposerEEE10hipError_tT1_T2_T3_T4_jRjT5_jjP12ihipStream_tbEUlT_E_NS1_11comp_targetILNS1_3genE9ELNS1_11target_archE1100ELNS1_3gpuE3ELNS1_3repE0EEENS1_44radix_sort_block_sort_config_static_selectorELNS0_4arch9wavefront6targetE0EEEvSF_.num_named_barrier, 0
	.set _ZN7rocprim17ROCPRIM_400000_NS6detail17trampoline_kernelINS0_13kernel_configILj256ELj4ELj4294967295EEENS1_37radix_sort_block_sort_config_selectorIjNS0_10empty_typeEEEZNS1_21radix_sort_block_sortIS4_Lb1EPKjPjPS6_SC_NS0_19identity_decomposerEEE10hipError_tT1_T2_T3_T4_jRjT5_jjP12ihipStream_tbEUlT_E_NS1_11comp_targetILNS1_3genE9ELNS1_11target_archE1100ELNS1_3gpuE3ELNS1_3repE0EEENS1_44radix_sort_block_sort_config_static_selectorELNS0_4arch9wavefront6targetE0EEEvSF_.private_seg_size, 0
	.set _ZN7rocprim17ROCPRIM_400000_NS6detail17trampoline_kernelINS0_13kernel_configILj256ELj4ELj4294967295EEENS1_37radix_sort_block_sort_config_selectorIjNS0_10empty_typeEEEZNS1_21radix_sort_block_sortIS4_Lb1EPKjPjPS6_SC_NS0_19identity_decomposerEEE10hipError_tT1_T2_T3_T4_jRjT5_jjP12ihipStream_tbEUlT_E_NS1_11comp_targetILNS1_3genE9ELNS1_11target_archE1100ELNS1_3gpuE3ELNS1_3repE0EEENS1_44radix_sort_block_sort_config_static_selectorELNS0_4arch9wavefront6targetE0EEEvSF_.uses_vcc, 0
	.set _ZN7rocprim17ROCPRIM_400000_NS6detail17trampoline_kernelINS0_13kernel_configILj256ELj4ELj4294967295EEENS1_37radix_sort_block_sort_config_selectorIjNS0_10empty_typeEEEZNS1_21radix_sort_block_sortIS4_Lb1EPKjPjPS6_SC_NS0_19identity_decomposerEEE10hipError_tT1_T2_T3_T4_jRjT5_jjP12ihipStream_tbEUlT_E_NS1_11comp_targetILNS1_3genE9ELNS1_11target_archE1100ELNS1_3gpuE3ELNS1_3repE0EEENS1_44radix_sort_block_sort_config_static_selectorELNS0_4arch9wavefront6targetE0EEEvSF_.uses_flat_scratch, 0
	.set _ZN7rocprim17ROCPRIM_400000_NS6detail17trampoline_kernelINS0_13kernel_configILj256ELj4ELj4294967295EEENS1_37radix_sort_block_sort_config_selectorIjNS0_10empty_typeEEEZNS1_21radix_sort_block_sortIS4_Lb1EPKjPjPS6_SC_NS0_19identity_decomposerEEE10hipError_tT1_T2_T3_T4_jRjT5_jjP12ihipStream_tbEUlT_E_NS1_11comp_targetILNS1_3genE9ELNS1_11target_archE1100ELNS1_3gpuE3ELNS1_3repE0EEENS1_44radix_sort_block_sort_config_static_selectorELNS0_4arch9wavefront6targetE0EEEvSF_.has_dyn_sized_stack, 0
	.set _ZN7rocprim17ROCPRIM_400000_NS6detail17trampoline_kernelINS0_13kernel_configILj256ELj4ELj4294967295EEENS1_37radix_sort_block_sort_config_selectorIjNS0_10empty_typeEEEZNS1_21radix_sort_block_sortIS4_Lb1EPKjPjPS6_SC_NS0_19identity_decomposerEEE10hipError_tT1_T2_T3_T4_jRjT5_jjP12ihipStream_tbEUlT_E_NS1_11comp_targetILNS1_3genE9ELNS1_11target_archE1100ELNS1_3gpuE3ELNS1_3repE0EEENS1_44radix_sort_block_sort_config_static_selectorELNS0_4arch9wavefront6targetE0EEEvSF_.has_recursion, 0
	.set _ZN7rocprim17ROCPRIM_400000_NS6detail17trampoline_kernelINS0_13kernel_configILj256ELj4ELj4294967295EEENS1_37radix_sort_block_sort_config_selectorIjNS0_10empty_typeEEEZNS1_21radix_sort_block_sortIS4_Lb1EPKjPjPS6_SC_NS0_19identity_decomposerEEE10hipError_tT1_T2_T3_T4_jRjT5_jjP12ihipStream_tbEUlT_E_NS1_11comp_targetILNS1_3genE9ELNS1_11target_archE1100ELNS1_3gpuE3ELNS1_3repE0EEENS1_44radix_sort_block_sort_config_static_selectorELNS0_4arch9wavefront6targetE0EEEvSF_.has_indirect_call, 0
	.section	.AMDGPU.csdata,"",@progbits
; Kernel info:
; codeLenInByte = 0
; TotalNumSgprs: 0
; NumVgprs: 0
; ScratchSize: 0
; MemoryBound: 0
; FloatMode: 240
; IeeeMode: 1
; LDSByteSize: 0 bytes/workgroup (compile time only)
; SGPRBlocks: 0
; VGPRBlocks: 0
; NumSGPRsForWavesPerEU: 1
; NumVGPRsForWavesPerEU: 1
; NamedBarCnt: 0
; Occupancy: 16
; WaveLimiterHint : 0
; COMPUTE_PGM_RSRC2:SCRATCH_EN: 0
; COMPUTE_PGM_RSRC2:USER_SGPR: 2
; COMPUTE_PGM_RSRC2:TRAP_HANDLER: 0
; COMPUTE_PGM_RSRC2:TGID_X_EN: 1
; COMPUTE_PGM_RSRC2:TGID_Y_EN: 0
; COMPUTE_PGM_RSRC2:TGID_Z_EN: 0
; COMPUTE_PGM_RSRC2:TIDIG_COMP_CNT: 0
	.section	.text._ZN7rocprim17ROCPRIM_400000_NS6detail17trampoline_kernelINS0_13kernel_configILj256ELj4ELj4294967295EEENS1_37radix_sort_block_sort_config_selectorIjNS0_10empty_typeEEEZNS1_21radix_sort_block_sortIS4_Lb1EPKjPjPS6_SC_NS0_19identity_decomposerEEE10hipError_tT1_T2_T3_T4_jRjT5_jjP12ihipStream_tbEUlT_E_NS1_11comp_targetILNS1_3genE8ELNS1_11target_archE1030ELNS1_3gpuE2ELNS1_3repE0EEENS1_44radix_sort_block_sort_config_static_selectorELNS0_4arch9wavefront6targetE0EEEvSF_,"axG",@progbits,_ZN7rocprim17ROCPRIM_400000_NS6detail17trampoline_kernelINS0_13kernel_configILj256ELj4ELj4294967295EEENS1_37radix_sort_block_sort_config_selectorIjNS0_10empty_typeEEEZNS1_21radix_sort_block_sortIS4_Lb1EPKjPjPS6_SC_NS0_19identity_decomposerEEE10hipError_tT1_T2_T3_T4_jRjT5_jjP12ihipStream_tbEUlT_E_NS1_11comp_targetILNS1_3genE8ELNS1_11target_archE1030ELNS1_3gpuE2ELNS1_3repE0EEENS1_44radix_sort_block_sort_config_static_selectorELNS0_4arch9wavefront6targetE0EEEvSF_,comdat
	.protected	_ZN7rocprim17ROCPRIM_400000_NS6detail17trampoline_kernelINS0_13kernel_configILj256ELj4ELj4294967295EEENS1_37radix_sort_block_sort_config_selectorIjNS0_10empty_typeEEEZNS1_21radix_sort_block_sortIS4_Lb1EPKjPjPS6_SC_NS0_19identity_decomposerEEE10hipError_tT1_T2_T3_T4_jRjT5_jjP12ihipStream_tbEUlT_E_NS1_11comp_targetILNS1_3genE8ELNS1_11target_archE1030ELNS1_3gpuE2ELNS1_3repE0EEENS1_44radix_sort_block_sort_config_static_selectorELNS0_4arch9wavefront6targetE0EEEvSF_ ; -- Begin function _ZN7rocprim17ROCPRIM_400000_NS6detail17trampoline_kernelINS0_13kernel_configILj256ELj4ELj4294967295EEENS1_37radix_sort_block_sort_config_selectorIjNS0_10empty_typeEEEZNS1_21radix_sort_block_sortIS4_Lb1EPKjPjPS6_SC_NS0_19identity_decomposerEEE10hipError_tT1_T2_T3_T4_jRjT5_jjP12ihipStream_tbEUlT_E_NS1_11comp_targetILNS1_3genE8ELNS1_11target_archE1030ELNS1_3gpuE2ELNS1_3repE0EEENS1_44radix_sort_block_sort_config_static_selectorELNS0_4arch9wavefront6targetE0EEEvSF_
	.globl	_ZN7rocprim17ROCPRIM_400000_NS6detail17trampoline_kernelINS0_13kernel_configILj256ELj4ELj4294967295EEENS1_37radix_sort_block_sort_config_selectorIjNS0_10empty_typeEEEZNS1_21radix_sort_block_sortIS4_Lb1EPKjPjPS6_SC_NS0_19identity_decomposerEEE10hipError_tT1_T2_T3_T4_jRjT5_jjP12ihipStream_tbEUlT_E_NS1_11comp_targetILNS1_3genE8ELNS1_11target_archE1030ELNS1_3gpuE2ELNS1_3repE0EEENS1_44radix_sort_block_sort_config_static_selectorELNS0_4arch9wavefront6targetE0EEEvSF_
	.p2align	8
	.type	_ZN7rocprim17ROCPRIM_400000_NS6detail17trampoline_kernelINS0_13kernel_configILj256ELj4ELj4294967295EEENS1_37radix_sort_block_sort_config_selectorIjNS0_10empty_typeEEEZNS1_21radix_sort_block_sortIS4_Lb1EPKjPjPS6_SC_NS0_19identity_decomposerEEE10hipError_tT1_T2_T3_T4_jRjT5_jjP12ihipStream_tbEUlT_E_NS1_11comp_targetILNS1_3genE8ELNS1_11target_archE1030ELNS1_3gpuE2ELNS1_3repE0EEENS1_44radix_sort_block_sort_config_static_selectorELNS0_4arch9wavefront6targetE0EEEvSF_,@function
_ZN7rocprim17ROCPRIM_400000_NS6detail17trampoline_kernelINS0_13kernel_configILj256ELj4ELj4294967295EEENS1_37radix_sort_block_sort_config_selectorIjNS0_10empty_typeEEEZNS1_21radix_sort_block_sortIS4_Lb1EPKjPjPS6_SC_NS0_19identity_decomposerEEE10hipError_tT1_T2_T3_T4_jRjT5_jjP12ihipStream_tbEUlT_E_NS1_11comp_targetILNS1_3genE8ELNS1_11target_archE1030ELNS1_3gpuE2ELNS1_3repE0EEENS1_44radix_sort_block_sort_config_static_selectorELNS0_4arch9wavefront6targetE0EEEvSF_: ; @_ZN7rocprim17ROCPRIM_400000_NS6detail17trampoline_kernelINS0_13kernel_configILj256ELj4ELj4294967295EEENS1_37radix_sort_block_sort_config_selectorIjNS0_10empty_typeEEEZNS1_21radix_sort_block_sortIS4_Lb1EPKjPjPS6_SC_NS0_19identity_decomposerEEE10hipError_tT1_T2_T3_T4_jRjT5_jjP12ihipStream_tbEUlT_E_NS1_11comp_targetILNS1_3genE8ELNS1_11target_archE1030ELNS1_3gpuE2ELNS1_3repE0EEENS1_44radix_sort_block_sort_config_static_selectorELNS0_4arch9wavefront6targetE0EEEvSF_
; %bb.0:
	.section	.rodata,"a",@progbits
	.p2align	6, 0x0
	.amdhsa_kernel _ZN7rocprim17ROCPRIM_400000_NS6detail17trampoline_kernelINS0_13kernel_configILj256ELj4ELj4294967295EEENS1_37radix_sort_block_sort_config_selectorIjNS0_10empty_typeEEEZNS1_21radix_sort_block_sortIS4_Lb1EPKjPjPS6_SC_NS0_19identity_decomposerEEE10hipError_tT1_T2_T3_T4_jRjT5_jjP12ihipStream_tbEUlT_E_NS1_11comp_targetILNS1_3genE8ELNS1_11target_archE1030ELNS1_3gpuE2ELNS1_3repE0EEENS1_44radix_sort_block_sort_config_static_selectorELNS0_4arch9wavefront6targetE0EEEvSF_
		.amdhsa_group_segment_fixed_size 0
		.amdhsa_private_segment_fixed_size 0
		.amdhsa_kernarg_size 48
		.amdhsa_user_sgpr_count 2
		.amdhsa_user_sgpr_dispatch_ptr 0
		.amdhsa_user_sgpr_queue_ptr 0
		.amdhsa_user_sgpr_kernarg_segment_ptr 1
		.amdhsa_user_sgpr_dispatch_id 0
		.amdhsa_user_sgpr_kernarg_preload_length 0
		.amdhsa_user_sgpr_kernarg_preload_offset 0
		.amdhsa_user_sgpr_private_segment_size 0
		.amdhsa_wavefront_size32 1
		.amdhsa_uses_dynamic_stack 0
		.amdhsa_enable_private_segment 0
		.amdhsa_system_sgpr_workgroup_id_x 1
		.amdhsa_system_sgpr_workgroup_id_y 0
		.amdhsa_system_sgpr_workgroup_id_z 0
		.amdhsa_system_sgpr_workgroup_info 0
		.amdhsa_system_vgpr_workitem_id 0
		.amdhsa_next_free_vgpr 1
		.amdhsa_next_free_sgpr 1
		.amdhsa_named_barrier_count 0
		.amdhsa_reserve_vcc 0
		.amdhsa_float_round_mode_32 0
		.amdhsa_float_round_mode_16_64 0
		.amdhsa_float_denorm_mode_32 3
		.amdhsa_float_denorm_mode_16_64 3
		.amdhsa_fp16_overflow 0
		.amdhsa_memory_ordered 1
		.amdhsa_forward_progress 1
		.amdhsa_inst_pref_size 0
		.amdhsa_round_robin_scheduling 0
		.amdhsa_exception_fp_ieee_invalid_op 0
		.amdhsa_exception_fp_denorm_src 0
		.amdhsa_exception_fp_ieee_div_zero 0
		.amdhsa_exception_fp_ieee_overflow 0
		.amdhsa_exception_fp_ieee_underflow 0
		.amdhsa_exception_fp_ieee_inexact 0
		.amdhsa_exception_int_div_zero 0
	.end_amdhsa_kernel
	.section	.text._ZN7rocprim17ROCPRIM_400000_NS6detail17trampoline_kernelINS0_13kernel_configILj256ELj4ELj4294967295EEENS1_37radix_sort_block_sort_config_selectorIjNS0_10empty_typeEEEZNS1_21radix_sort_block_sortIS4_Lb1EPKjPjPS6_SC_NS0_19identity_decomposerEEE10hipError_tT1_T2_T3_T4_jRjT5_jjP12ihipStream_tbEUlT_E_NS1_11comp_targetILNS1_3genE8ELNS1_11target_archE1030ELNS1_3gpuE2ELNS1_3repE0EEENS1_44radix_sort_block_sort_config_static_selectorELNS0_4arch9wavefront6targetE0EEEvSF_,"axG",@progbits,_ZN7rocprim17ROCPRIM_400000_NS6detail17trampoline_kernelINS0_13kernel_configILj256ELj4ELj4294967295EEENS1_37radix_sort_block_sort_config_selectorIjNS0_10empty_typeEEEZNS1_21radix_sort_block_sortIS4_Lb1EPKjPjPS6_SC_NS0_19identity_decomposerEEE10hipError_tT1_T2_T3_T4_jRjT5_jjP12ihipStream_tbEUlT_E_NS1_11comp_targetILNS1_3genE8ELNS1_11target_archE1030ELNS1_3gpuE2ELNS1_3repE0EEENS1_44radix_sort_block_sort_config_static_selectorELNS0_4arch9wavefront6targetE0EEEvSF_,comdat
.Lfunc_end2541:
	.size	_ZN7rocprim17ROCPRIM_400000_NS6detail17trampoline_kernelINS0_13kernel_configILj256ELj4ELj4294967295EEENS1_37radix_sort_block_sort_config_selectorIjNS0_10empty_typeEEEZNS1_21radix_sort_block_sortIS4_Lb1EPKjPjPS6_SC_NS0_19identity_decomposerEEE10hipError_tT1_T2_T3_T4_jRjT5_jjP12ihipStream_tbEUlT_E_NS1_11comp_targetILNS1_3genE8ELNS1_11target_archE1030ELNS1_3gpuE2ELNS1_3repE0EEENS1_44radix_sort_block_sort_config_static_selectorELNS0_4arch9wavefront6targetE0EEEvSF_, .Lfunc_end2541-_ZN7rocprim17ROCPRIM_400000_NS6detail17trampoline_kernelINS0_13kernel_configILj256ELj4ELj4294967295EEENS1_37radix_sort_block_sort_config_selectorIjNS0_10empty_typeEEEZNS1_21radix_sort_block_sortIS4_Lb1EPKjPjPS6_SC_NS0_19identity_decomposerEEE10hipError_tT1_T2_T3_T4_jRjT5_jjP12ihipStream_tbEUlT_E_NS1_11comp_targetILNS1_3genE8ELNS1_11target_archE1030ELNS1_3gpuE2ELNS1_3repE0EEENS1_44radix_sort_block_sort_config_static_selectorELNS0_4arch9wavefront6targetE0EEEvSF_
                                        ; -- End function
	.set _ZN7rocprim17ROCPRIM_400000_NS6detail17trampoline_kernelINS0_13kernel_configILj256ELj4ELj4294967295EEENS1_37radix_sort_block_sort_config_selectorIjNS0_10empty_typeEEEZNS1_21radix_sort_block_sortIS4_Lb1EPKjPjPS6_SC_NS0_19identity_decomposerEEE10hipError_tT1_T2_T3_T4_jRjT5_jjP12ihipStream_tbEUlT_E_NS1_11comp_targetILNS1_3genE8ELNS1_11target_archE1030ELNS1_3gpuE2ELNS1_3repE0EEENS1_44radix_sort_block_sort_config_static_selectorELNS0_4arch9wavefront6targetE0EEEvSF_.num_vgpr, 0
	.set _ZN7rocprim17ROCPRIM_400000_NS6detail17trampoline_kernelINS0_13kernel_configILj256ELj4ELj4294967295EEENS1_37radix_sort_block_sort_config_selectorIjNS0_10empty_typeEEEZNS1_21radix_sort_block_sortIS4_Lb1EPKjPjPS6_SC_NS0_19identity_decomposerEEE10hipError_tT1_T2_T3_T4_jRjT5_jjP12ihipStream_tbEUlT_E_NS1_11comp_targetILNS1_3genE8ELNS1_11target_archE1030ELNS1_3gpuE2ELNS1_3repE0EEENS1_44radix_sort_block_sort_config_static_selectorELNS0_4arch9wavefront6targetE0EEEvSF_.num_agpr, 0
	.set _ZN7rocprim17ROCPRIM_400000_NS6detail17trampoline_kernelINS0_13kernel_configILj256ELj4ELj4294967295EEENS1_37radix_sort_block_sort_config_selectorIjNS0_10empty_typeEEEZNS1_21radix_sort_block_sortIS4_Lb1EPKjPjPS6_SC_NS0_19identity_decomposerEEE10hipError_tT1_T2_T3_T4_jRjT5_jjP12ihipStream_tbEUlT_E_NS1_11comp_targetILNS1_3genE8ELNS1_11target_archE1030ELNS1_3gpuE2ELNS1_3repE0EEENS1_44radix_sort_block_sort_config_static_selectorELNS0_4arch9wavefront6targetE0EEEvSF_.numbered_sgpr, 0
	.set _ZN7rocprim17ROCPRIM_400000_NS6detail17trampoline_kernelINS0_13kernel_configILj256ELj4ELj4294967295EEENS1_37radix_sort_block_sort_config_selectorIjNS0_10empty_typeEEEZNS1_21radix_sort_block_sortIS4_Lb1EPKjPjPS6_SC_NS0_19identity_decomposerEEE10hipError_tT1_T2_T3_T4_jRjT5_jjP12ihipStream_tbEUlT_E_NS1_11comp_targetILNS1_3genE8ELNS1_11target_archE1030ELNS1_3gpuE2ELNS1_3repE0EEENS1_44radix_sort_block_sort_config_static_selectorELNS0_4arch9wavefront6targetE0EEEvSF_.num_named_barrier, 0
	.set _ZN7rocprim17ROCPRIM_400000_NS6detail17trampoline_kernelINS0_13kernel_configILj256ELj4ELj4294967295EEENS1_37radix_sort_block_sort_config_selectorIjNS0_10empty_typeEEEZNS1_21radix_sort_block_sortIS4_Lb1EPKjPjPS6_SC_NS0_19identity_decomposerEEE10hipError_tT1_T2_T3_T4_jRjT5_jjP12ihipStream_tbEUlT_E_NS1_11comp_targetILNS1_3genE8ELNS1_11target_archE1030ELNS1_3gpuE2ELNS1_3repE0EEENS1_44radix_sort_block_sort_config_static_selectorELNS0_4arch9wavefront6targetE0EEEvSF_.private_seg_size, 0
	.set _ZN7rocprim17ROCPRIM_400000_NS6detail17trampoline_kernelINS0_13kernel_configILj256ELj4ELj4294967295EEENS1_37radix_sort_block_sort_config_selectorIjNS0_10empty_typeEEEZNS1_21radix_sort_block_sortIS4_Lb1EPKjPjPS6_SC_NS0_19identity_decomposerEEE10hipError_tT1_T2_T3_T4_jRjT5_jjP12ihipStream_tbEUlT_E_NS1_11comp_targetILNS1_3genE8ELNS1_11target_archE1030ELNS1_3gpuE2ELNS1_3repE0EEENS1_44radix_sort_block_sort_config_static_selectorELNS0_4arch9wavefront6targetE0EEEvSF_.uses_vcc, 0
	.set _ZN7rocprim17ROCPRIM_400000_NS6detail17trampoline_kernelINS0_13kernel_configILj256ELj4ELj4294967295EEENS1_37radix_sort_block_sort_config_selectorIjNS0_10empty_typeEEEZNS1_21radix_sort_block_sortIS4_Lb1EPKjPjPS6_SC_NS0_19identity_decomposerEEE10hipError_tT1_T2_T3_T4_jRjT5_jjP12ihipStream_tbEUlT_E_NS1_11comp_targetILNS1_3genE8ELNS1_11target_archE1030ELNS1_3gpuE2ELNS1_3repE0EEENS1_44radix_sort_block_sort_config_static_selectorELNS0_4arch9wavefront6targetE0EEEvSF_.uses_flat_scratch, 0
	.set _ZN7rocprim17ROCPRIM_400000_NS6detail17trampoline_kernelINS0_13kernel_configILj256ELj4ELj4294967295EEENS1_37radix_sort_block_sort_config_selectorIjNS0_10empty_typeEEEZNS1_21radix_sort_block_sortIS4_Lb1EPKjPjPS6_SC_NS0_19identity_decomposerEEE10hipError_tT1_T2_T3_T4_jRjT5_jjP12ihipStream_tbEUlT_E_NS1_11comp_targetILNS1_3genE8ELNS1_11target_archE1030ELNS1_3gpuE2ELNS1_3repE0EEENS1_44radix_sort_block_sort_config_static_selectorELNS0_4arch9wavefront6targetE0EEEvSF_.has_dyn_sized_stack, 0
	.set _ZN7rocprim17ROCPRIM_400000_NS6detail17trampoline_kernelINS0_13kernel_configILj256ELj4ELj4294967295EEENS1_37radix_sort_block_sort_config_selectorIjNS0_10empty_typeEEEZNS1_21radix_sort_block_sortIS4_Lb1EPKjPjPS6_SC_NS0_19identity_decomposerEEE10hipError_tT1_T2_T3_T4_jRjT5_jjP12ihipStream_tbEUlT_E_NS1_11comp_targetILNS1_3genE8ELNS1_11target_archE1030ELNS1_3gpuE2ELNS1_3repE0EEENS1_44radix_sort_block_sort_config_static_selectorELNS0_4arch9wavefront6targetE0EEEvSF_.has_recursion, 0
	.set _ZN7rocprim17ROCPRIM_400000_NS6detail17trampoline_kernelINS0_13kernel_configILj256ELj4ELj4294967295EEENS1_37radix_sort_block_sort_config_selectorIjNS0_10empty_typeEEEZNS1_21radix_sort_block_sortIS4_Lb1EPKjPjPS6_SC_NS0_19identity_decomposerEEE10hipError_tT1_T2_T3_T4_jRjT5_jjP12ihipStream_tbEUlT_E_NS1_11comp_targetILNS1_3genE8ELNS1_11target_archE1030ELNS1_3gpuE2ELNS1_3repE0EEENS1_44radix_sort_block_sort_config_static_selectorELNS0_4arch9wavefront6targetE0EEEvSF_.has_indirect_call, 0
	.section	.AMDGPU.csdata,"",@progbits
; Kernel info:
; codeLenInByte = 0
; TotalNumSgprs: 0
; NumVgprs: 0
; ScratchSize: 0
; MemoryBound: 0
; FloatMode: 240
; IeeeMode: 1
; LDSByteSize: 0 bytes/workgroup (compile time only)
; SGPRBlocks: 0
; VGPRBlocks: 0
; NumSGPRsForWavesPerEU: 1
; NumVGPRsForWavesPerEU: 1
; NamedBarCnt: 0
; Occupancy: 16
; WaveLimiterHint : 0
; COMPUTE_PGM_RSRC2:SCRATCH_EN: 0
; COMPUTE_PGM_RSRC2:USER_SGPR: 2
; COMPUTE_PGM_RSRC2:TRAP_HANDLER: 0
; COMPUTE_PGM_RSRC2:TGID_X_EN: 1
; COMPUTE_PGM_RSRC2:TGID_Y_EN: 0
; COMPUTE_PGM_RSRC2:TGID_Z_EN: 0
; COMPUTE_PGM_RSRC2:TIDIG_COMP_CNT: 0
	.section	.text._ZN7rocprim17ROCPRIM_400000_NS6detail44device_merge_sort_compile_time_verifier_archINS1_11comp_targetILNS1_3genE0ELNS1_11target_archE4294967295ELNS1_3gpuE0ELNS1_3repE0EEES8_NS1_28merge_sort_block_sort_configILj256ELj4ELNS0_20block_sort_algorithmE0EEENS0_14default_configENS1_37merge_sort_block_sort_config_selectorIjNS0_10empty_typeEEENS1_38merge_sort_block_merge_config_selectorIjSE_EEEEvv,"axG",@progbits,_ZN7rocprim17ROCPRIM_400000_NS6detail44device_merge_sort_compile_time_verifier_archINS1_11comp_targetILNS1_3genE0ELNS1_11target_archE4294967295ELNS1_3gpuE0ELNS1_3repE0EEES8_NS1_28merge_sort_block_sort_configILj256ELj4ELNS0_20block_sort_algorithmE0EEENS0_14default_configENS1_37merge_sort_block_sort_config_selectorIjNS0_10empty_typeEEENS1_38merge_sort_block_merge_config_selectorIjSE_EEEEvv,comdat
	.protected	_ZN7rocprim17ROCPRIM_400000_NS6detail44device_merge_sort_compile_time_verifier_archINS1_11comp_targetILNS1_3genE0ELNS1_11target_archE4294967295ELNS1_3gpuE0ELNS1_3repE0EEES8_NS1_28merge_sort_block_sort_configILj256ELj4ELNS0_20block_sort_algorithmE0EEENS0_14default_configENS1_37merge_sort_block_sort_config_selectorIjNS0_10empty_typeEEENS1_38merge_sort_block_merge_config_selectorIjSE_EEEEvv ; -- Begin function _ZN7rocprim17ROCPRIM_400000_NS6detail44device_merge_sort_compile_time_verifier_archINS1_11comp_targetILNS1_3genE0ELNS1_11target_archE4294967295ELNS1_3gpuE0ELNS1_3repE0EEES8_NS1_28merge_sort_block_sort_configILj256ELj4ELNS0_20block_sort_algorithmE0EEENS0_14default_configENS1_37merge_sort_block_sort_config_selectorIjNS0_10empty_typeEEENS1_38merge_sort_block_merge_config_selectorIjSE_EEEEvv
	.globl	_ZN7rocprim17ROCPRIM_400000_NS6detail44device_merge_sort_compile_time_verifier_archINS1_11comp_targetILNS1_3genE0ELNS1_11target_archE4294967295ELNS1_3gpuE0ELNS1_3repE0EEES8_NS1_28merge_sort_block_sort_configILj256ELj4ELNS0_20block_sort_algorithmE0EEENS0_14default_configENS1_37merge_sort_block_sort_config_selectorIjNS0_10empty_typeEEENS1_38merge_sort_block_merge_config_selectorIjSE_EEEEvv
	.p2align	8
	.type	_ZN7rocprim17ROCPRIM_400000_NS6detail44device_merge_sort_compile_time_verifier_archINS1_11comp_targetILNS1_3genE0ELNS1_11target_archE4294967295ELNS1_3gpuE0ELNS1_3repE0EEES8_NS1_28merge_sort_block_sort_configILj256ELj4ELNS0_20block_sort_algorithmE0EEENS0_14default_configENS1_37merge_sort_block_sort_config_selectorIjNS0_10empty_typeEEENS1_38merge_sort_block_merge_config_selectorIjSE_EEEEvv,@function
_ZN7rocprim17ROCPRIM_400000_NS6detail44device_merge_sort_compile_time_verifier_archINS1_11comp_targetILNS1_3genE0ELNS1_11target_archE4294967295ELNS1_3gpuE0ELNS1_3repE0EEES8_NS1_28merge_sort_block_sort_configILj256ELj4ELNS0_20block_sort_algorithmE0EEENS0_14default_configENS1_37merge_sort_block_sort_config_selectorIjNS0_10empty_typeEEENS1_38merge_sort_block_merge_config_selectorIjSE_EEEEvv: ; @_ZN7rocprim17ROCPRIM_400000_NS6detail44device_merge_sort_compile_time_verifier_archINS1_11comp_targetILNS1_3genE0ELNS1_11target_archE4294967295ELNS1_3gpuE0ELNS1_3repE0EEES8_NS1_28merge_sort_block_sort_configILj256ELj4ELNS0_20block_sort_algorithmE0EEENS0_14default_configENS1_37merge_sort_block_sort_config_selectorIjNS0_10empty_typeEEENS1_38merge_sort_block_merge_config_selectorIjSE_EEEEvv
; %bb.0:
	s_endpgm
	.section	.rodata,"a",@progbits
	.p2align	6, 0x0
	.amdhsa_kernel _ZN7rocprim17ROCPRIM_400000_NS6detail44device_merge_sort_compile_time_verifier_archINS1_11comp_targetILNS1_3genE0ELNS1_11target_archE4294967295ELNS1_3gpuE0ELNS1_3repE0EEES8_NS1_28merge_sort_block_sort_configILj256ELj4ELNS0_20block_sort_algorithmE0EEENS0_14default_configENS1_37merge_sort_block_sort_config_selectorIjNS0_10empty_typeEEENS1_38merge_sort_block_merge_config_selectorIjSE_EEEEvv
		.amdhsa_group_segment_fixed_size 0
		.amdhsa_private_segment_fixed_size 0
		.amdhsa_kernarg_size 0
		.amdhsa_user_sgpr_count 0
		.amdhsa_user_sgpr_dispatch_ptr 0
		.amdhsa_user_sgpr_queue_ptr 0
		.amdhsa_user_sgpr_kernarg_segment_ptr 0
		.amdhsa_user_sgpr_dispatch_id 0
		.amdhsa_user_sgpr_kernarg_preload_length 0
		.amdhsa_user_sgpr_kernarg_preload_offset 0
		.amdhsa_user_sgpr_private_segment_size 0
		.amdhsa_wavefront_size32 1
		.amdhsa_uses_dynamic_stack 0
		.amdhsa_enable_private_segment 0
		.amdhsa_system_sgpr_workgroup_id_x 1
		.amdhsa_system_sgpr_workgroup_id_y 0
		.amdhsa_system_sgpr_workgroup_id_z 0
		.amdhsa_system_sgpr_workgroup_info 0
		.amdhsa_system_vgpr_workitem_id 0
		.amdhsa_next_free_vgpr 1
		.amdhsa_next_free_sgpr 1
		.amdhsa_named_barrier_count 0
		.amdhsa_reserve_vcc 0
		.amdhsa_float_round_mode_32 0
		.amdhsa_float_round_mode_16_64 0
		.amdhsa_float_denorm_mode_32 3
		.amdhsa_float_denorm_mode_16_64 3
		.amdhsa_fp16_overflow 0
		.amdhsa_memory_ordered 1
		.amdhsa_forward_progress 1
		.amdhsa_inst_pref_size 1
		.amdhsa_round_robin_scheduling 0
		.amdhsa_exception_fp_ieee_invalid_op 0
		.amdhsa_exception_fp_denorm_src 0
		.amdhsa_exception_fp_ieee_div_zero 0
		.amdhsa_exception_fp_ieee_overflow 0
		.amdhsa_exception_fp_ieee_underflow 0
		.amdhsa_exception_fp_ieee_inexact 0
		.amdhsa_exception_int_div_zero 0
	.end_amdhsa_kernel
	.section	.text._ZN7rocprim17ROCPRIM_400000_NS6detail44device_merge_sort_compile_time_verifier_archINS1_11comp_targetILNS1_3genE0ELNS1_11target_archE4294967295ELNS1_3gpuE0ELNS1_3repE0EEES8_NS1_28merge_sort_block_sort_configILj256ELj4ELNS0_20block_sort_algorithmE0EEENS0_14default_configENS1_37merge_sort_block_sort_config_selectorIjNS0_10empty_typeEEENS1_38merge_sort_block_merge_config_selectorIjSE_EEEEvv,"axG",@progbits,_ZN7rocprim17ROCPRIM_400000_NS6detail44device_merge_sort_compile_time_verifier_archINS1_11comp_targetILNS1_3genE0ELNS1_11target_archE4294967295ELNS1_3gpuE0ELNS1_3repE0EEES8_NS1_28merge_sort_block_sort_configILj256ELj4ELNS0_20block_sort_algorithmE0EEENS0_14default_configENS1_37merge_sort_block_sort_config_selectorIjNS0_10empty_typeEEENS1_38merge_sort_block_merge_config_selectorIjSE_EEEEvv,comdat
.Lfunc_end2542:
	.size	_ZN7rocprim17ROCPRIM_400000_NS6detail44device_merge_sort_compile_time_verifier_archINS1_11comp_targetILNS1_3genE0ELNS1_11target_archE4294967295ELNS1_3gpuE0ELNS1_3repE0EEES8_NS1_28merge_sort_block_sort_configILj256ELj4ELNS0_20block_sort_algorithmE0EEENS0_14default_configENS1_37merge_sort_block_sort_config_selectorIjNS0_10empty_typeEEENS1_38merge_sort_block_merge_config_selectorIjSE_EEEEvv, .Lfunc_end2542-_ZN7rocprim17ROCPRIM_400000_NS6detail44device_merge_sort_compile_time_verifier_archINS1_11comp_targetILNS1_3genE0ELNS1_11target_archE4294967295ELNS1_3gpuE0ELNS1_3repE0EEES8_NS1_28merge_sort_block_sort_configILj256ELj4ELNS0_20block_sort_algorithmE0EEENS0_14default_configENS1_37merge_sort_block_sort_config_selectorIjNS0_10empty_typeEEENS1_38merge_sort_block_merge_config_selectorIjSE_EEEEvv
                                        ; -- End function
	.set _ZN7rocprim17ROCPRIM_400000_NS6detail44device_merge_sort_compile_time_verifier_archINS1_11comp_targetILNS1_3genE0ELNS1_11target_archE4294967295ELNS1_3gpuE0ELNS1_3repE0EEES8_NS1_28merge_sort_block_sort_configILj256ELj4ELNS0_20block_sort_algorithmE0EEENS0_14default_configENS1_37merge_sort_block_sort_config_selectorIjNS0_10empty_typeEEENS1_38merge_sort_block_merge_config_selectorIjSE_EEEEvv.num_vgpr, 0
	.set _ZN7rocprim17ROCPRIM_400000_NS6detail44device_merge_sort_compile_time_verifier_archINS1_11comp_targetILNS1_3genE0ELNS1_11target_archE4294967295ELNS1_3gpuE0ELNS1_3repE0EEES8_NS1_28merge_sort_block_sort_configILj256ELj4ELNS0_20block_sort_algorithmE0EEENS0_14default_configENS1_37merge_sort_block_sort_config_selectorIjNS0_10empty_typeEEENS1_38merge_sort_block_merge_config_selectorIjSE_EEEEvv.num_agpr, 0
	.set _ZN7rocprim17ROCPRIM_400000_NS6detail44device_merge_sort_compile_time_verifier_archINS1_11comp_targetILNS1_3genE0ELNS1_11target_archE4294967295ELNS1_3gpuE0ELNS1_3repE0EEES8_NS1_28merge_sort_block_sort_configILj256ELj4ELNS0_20block_sort_algorithmE0EEENS0_14default_configENS1_37merge_sort_block_sort_config_selectorIjNS0_10empty_typeEEENS1_38merge_sort_block_merge_config_selectorIjSE_EEEEvv.numbered_sgpr, 0
	.set _ZN7rocprim17ROCPRIM_400000_NS6detail44device_merge_sort_compile_time_verifier_archINS1_11comp_targetILNS1_3genE0ELNS1_11target_archE4294967295ELNS1_3gpuE0ELNS1_3repE0EEES8_NS1_28merge_sort_block_sort_configILj256ELj4ELNS0_20block_sort_algorithmE0EEENS0_14default_configENS1_37merge_sort_block_sort_config_selectorIjNS0_10empty_typeEEENS1_38merge_sort_block_merge_config_selectorIjSE_EEEEvv.num_named_barrier, 0
	.set _ZN7rocprim17ROCPRIM_400000_NS6detail44device_merge_sort_compile_time_verifier_archINS1_11comp_targetILNS1_3genE0ELNS1_11target_archE4294967295ELNS1_3gpuE0ELNS1_3repE0EEES8_NS1_28merge_sort_block_sort_configILj256ELj4ELNS0_20block_sort_algorithmE0EEENS0_14default_configENS1_37merge_sort_block_sort_config_selectorIjNS0_10empty_typeEEENS1_38merge_sort_block_merge_config_selectorIjSE_EEEEvv.private_seg_size, 0
	.set _ZN7rocprim17ROCPRIM_400000_NS6detail44device_merge_sort_compile_time_verifier_archINS1_11comp_targetILNS1_3genE0ELNS1_11target_archE4294967295ELNS1_3gpuE0ELNS1_3repE0EEES8_NS1_28merge_sort_block_sort_configILj256ELj4ELNS0_20block_sort_algorithmE0EEENS0_14default_configENS1_37merge_sort_block_sort_config_selectorIjNS0_10empty_typeEEENS1_38merge_sort_block_merge_config_selectorIjSE_EEEEvv.uses_vcc, 0
	.set _ZN7rocprim17ROCPRIM_400000_NS6detail44device_merge_sort_compile_time_verifier_archINS1_11comp_targetILNS1_3genE0ELNS1_11target_archE4294967295ELNS1_3gpuE0ELNS1_3repE0EEES8_NS1_28merge_sort_block_sort_configILj256ELj4ELNS0_20block_sort_algorithmE0EEENS0_14default_configENS1_37merge_sort_block_sort_config_selectorIjNS0_10empty_typeEEENS1_38merge_sort_block_merge_config_selectorIjSE_EEEEvv.uses_flat_scratch, 0
	.set _ZN7rocprim17ROCPRIM_400000_NS6detail44device_merge_sort_compile_time_verifier_archINS1_11comp_targetILNS1_3genE0ELNS1_11target_archE4294967295ELNS1_3gpuE0ELNS1_3repE0EEES8_NS1_28merge_sort_block_sort_configILj256ELj4ELNS0_20block_sort_algorithmE0EEENS0_14default_configENS1_37merge_sort_block_sort_config_selectorIjNS0_10empty_typeEEENS1_38merge_sort_block_merge_config_selectorIjSE_EEEEvv.has_dyn_sized_stack, 0
	.set _ZN7rocprim17ROCPRIM_400000_NS6detail44device_merge_sort_compile_time_verifier_archINS1_11comp_targetILNS1_3genE0ELNS1_11target_archE4294967295ELNS1_3gpuE0ELNS1_3repE0EEES8_NS1_28merge_sort_block_sort_configILj256ELj4ELNS0_20block_sort_algorithmE0EEENS0_14default_configENS1_37merge_sort_block_sort_config_selectorIjNS0_10empty_typeEEENS1_38merge_sort_block_merge_config_selectorIjSE_EEEEvv.has_recursion, 0
	.set _ZN7rocprim17ROCPRIM_400000_NS6detail44device_merge_sort_compile_time_verifier_archINS1_11comp_targetILNS1_3genE0ELNS1_11target_archE4294967295ELNS1_3gpuE0ELNS1_3repE0EEES8_NS1_28merge_sort_block_sort_configILj256ELj4ELNS0_20block_sort_algorithmE0EEENS0_14default_configENS1_37merge_sort_block_sort_config_selectorIjNS0_10empty_typeEEENS1_38merge_sort_block_merge_config_selectorIjSE_EEEEvv.has_indirect_call, 0
	.section	.AMDGPU.csdata,"",@progbits
; Kernel info:
; codeLenInByte = 4
; TotalNumSgprs: 0
; NumVgprs: 0
; ScratchSize: 0
; MemoryBound: 0
; FloatMode: 240
; IeeeMode: 1
; LDSByteSize: 0 bytes/workgroup (compile time only)
; SGPRBlocks: 0
; VGPRBlocks: 0
; NumSGPRsForWavesPerEU: 1
; NumVGPRsForWavesPerEU: 1
; NamedBarCnt: 0
; Occupancy: 16
; WaveLimiterHint : 0
; COMPUTE_PGM_RSRC2:SCRATCH_EN: 0
; COMPUTE_PGM_RSRC2:USER_SGPR: 0
; COMPUTE_PGM_RSRC2:TRAP_HANDLER: 0
; COMPUTE_PGM_RSRC2:TGID_X_EN: 1
; COMPUTE_PGM_RSRC2:TGID_Y_EN: 0
; COMPUTE_PGM_RSRC2:TGID_Z_EN: 0
; COMPUTE_PGM_RSRC2:TIDIG_COMP_CNT: 0
	.section	.text._ZN7rocprim17ROCPRIM_400000_NS6detail44device_merge_sort_compile_time_verifier_archINS1_11comp_targetILNS1_3genE5ELNS1_11target_archE942ELNS1_3gpuE9ELNS1_3repE0EEES8_NS1_28merge_sort_block_sort_configILj256ELj4ELNS0_20block_sort_algorithmE0EEENS0_14default_configENS1_37merge_sort_block_sort_config_selectorIjNS0_10empty_typeEEENS1_38merge_sort_block_merge_config_selectorIjSE_EEEEvv,"axG",@progbits,_ZN7rocprim17ROCPRIM_400000_NS6detail44device_merge_sort_compile_time_verifier_archINS1_11comp_targetILNS1_3genE5ELNS1_11target_archE942ELNS1_3gpuE9ELNS1_3repE0EEES8_NS1_28merge_sort_block_sort_configILj256ELj4ELNS0_20block_sort_algorithmE0EEENS0_14default_configENS1_37merge_sort_block_sort_config_selectorIjNS0_10empty_typeEEENS1_38merge_sort_block_merge_config_selectorIjSE_EEEEvv,comdat
	.protected	_ZN7rocprim17ROCPRIM_400000_NS6detail44device_merge_sort_compile_time_verifier_archINS1_11comp_targetILNS1_3genE5ELNS1_11target_archE942ELNS1_3gpuE9ELNS1_3repE0EEES8_NS1_28merge_sort_block_sort_configILj256ELj4ELNS0_20block_sort_algorithmE0EEENS0_14default_configENS1_37merge_sort_block_sort_config_selectorIjNS0_10empty_typeEEENS1_38merge_sort_block_merge_config_selectorIjSE_EEEEvv ; -- Begin function _ZN7rocprim17ROCPRIM_400000_NS6detail44device_merge_sort_compile_time_verifier_archINS1_11comp_targetILNS1_3genE5ELNS1_11target_archE942ELNS1_3gpuE9ELNS1_3repE0EEES8_NS1_28merge_sort_block_sort_configILj256ELj4ELNS0_20block_sort_algorithmE0EEENS0_14default_configENS1_37merge_sort_block_sort_config_selectorIjNS0_10empty_typeEEENS1_38merge_sort_block_merge_config_selectorIjSE_EEEEvv
	.globl	_ZN7rocprim17ROCPRIM_400000_NS6detail44device_merge_sort_compile_time_verifier_archINS1_11comp_targetILNS1_3genE5ELNS1_11target_archE942ELNS1_3gpuE9ELNS1_3repE0EEES8_NS1_28merge_sort_block_sort_configILj256ELj4ELNS0_20block_sort_algorithmE0EEENS0_14default_configENS1_37merge_sort_block_sort_config_selectorIjNS0_10empty_typeEEENS1_38merge_sort_block_merge_config_selectorIjSE_EEEEvv
	.p2align	8
	.type	_ZN7rocprim17ROCPRIM_400000_NS6detail44device_merge_sort_compile_time_verifier_archINS1_11comp_targetILNS1_3genE5ELNS1_11target_archE942ELNS1_3gpuE9ELNS1_3repE0EEES8_NS1_28merge_sort_block_sort_configILj256ELj4ELNS0_20block_sort_algorithmE0EEENS0_14default_configENS1_37merge_sort_block_sort_config_selectorIjNS0_10empty_typeEEENS1_38merge_sort_block_merge_config_selectorIjSE_EEEEvv,@function
_ZN7rocprim17ROCPRIM_400000_NS6detail44device_merge_sort_compile_time_verifier_archINS1_11comp_targetILNS1_3genE5ELNS1_11target_archE942ELNS1_3gpuE9ELNS1_3repE0EEES8_NS1_28merge_sort_block_sort_configILj256ELj4ELNS0_20block_sort_algorithmE0EEENS0_14default_configENS1_37merge_sort_block_sort_config_selectorIjNS0_10empty_typeEEENS1_38merge_sort_block_merge_config_selectorIjSE_EEEEvv: ; @_ZN7rocprim17ROCPRIM_400000_NS6detail44device_merge_sort_compile_time_verifier_archINS1_11comp_targetILNS1_3genE5ELNS1_11target_archE942ELNS1_3gpuE9ELNS1_3repE0EEES8_NS1_28merge_sort_block_sort_configILj256ELj4ELNS0_20block_sort_algorithmE0EEENS0_14default_configENS1_37merge_sort_block_sort_config_selectorIjNS0_10empty_typeEEENS1_38merge_sort_block_merge_config_selectorIjSE_EEEEvv
; %bb.0:
	s_endpgm
	.section	.rodata,"a",@progbits
	.p2align	6, 0x0
	.amdhsa_kernel _ZN7rocprim17ROCPRIM_400000_NS6detail44device_merge_sort_compile_time_verifier_archINS1_11comp_targetILNS1_3genE5ELNS1_11target_archE942ELNS1_3gpuE9ELNS1_3repE0EEES8_NS1_28merge_sort_block_sort_configILj256ELj4ELNS0_20block_sort_algorithmE0EEENS0_14default_configENS1_37merge_sort_block_sort_config_selectorIjNS0_10empty_typeEEENS1_38merge_sort_block_merge_config_selectorIjSE_EEEEvv
		.amdhsa_group_segment_fixed_size 0
		.amdhsa_private_segment_fixed_size 0
		.amdhsa_kernarg_size 0
		.amdhsa_user_sgpr_count 0
		.amdhsa_user_sgpr_dispatch_ptr 0
		.amdhsa_user_sgpr_queue_ptr 0
		.amdhsa_user_sgpr_kernarg_segment_ptr 0
		.amdhsa_user_sgpr_dispatch_id 0
		.amdhsa_user_sgpr_kernarg_preload_length 0
		.amdhsa_user_sgpr_kernarg_preload_offset 0
		.amdhsa_user_sgpr_private_segment_size 0
		.amdhsa_wavefront_size32 1
		.amdhsa_uses_dynamic_stack 0
		.amdhsa_enable_private_segment 0
		.amdhsa_system_sgpr_workgroup_id_x 1
		.amdhsa_system_sgpr_workgroup_id_y 0
		.amdhsa_system_sgpr_workgroup_id_z 0
		.amdhsa_system_sgpr_workgroup_info 0
		.amdhsa_system_vgpr_workitem_id 0
		.amdhsa_next_free_vgpr 1
		.amdhsa_next_free_sgpr 1
		.amdhsa_named_barrier_count 0
		.amdhsa_reserve_vcc 0
		.amdhsa_float_round_mode_32 0
		.amdhsa_float_round_mode_16_64 0
		.amdhsa_float_denorm_mode_32 3
		.amdhsa_float_denorm_mode_16_64 3
		.amdhsa_fp16_overflow 0
		.amdhsa_memory_ordered 1
		.amdhsa_forward_progress 1
		.amdhsa_inst_pref_size 1
		.amdhsa_round_robin_scheduling 0
		.amdhsa_exception_fp_ieee_invalid_op 0
		.amdhsa_exception_fp_denorm_src 0
		.amdhsa_exception_fp_ieee_div_zero 0
		.amdhsa_exception_fp_ieee_overflow 0
		.amdhsa_exception_fp_ieee_underflow 0
		.amdhsa_exception_fp_ieee_inexact 0
		.amdhsa_exception_int_div_zero 0
	.end_amdhsa_kernel
	.section	.text._ZN7rocprim17ROCPRIM_400000_NS6detail44device_merge_sort_compile_time_verifier_archINS1_11comp_targetILNS1_3genE5ELNS1_11target_archE942ELNS1_3gpuE9ELNS1_3repE0EEES8_NS1_28merge_sort_block_sort_configILj256ELj4ELNS0_20block_sort_algorithmE0EEENS0_14default_configENS1_37merge_sort_block_sort_config_selectorIjNS0_10empty_typeEEENS1_38merge_sort_block_merge_config_selectorIjSE_EEEEvv,"axG",@progbits,_ZN7rocprim17ROCPRIM_400000_NS6detail44device_merge_sort_compile_time_verifier_archINS1_11comp_targetILNS1_3genE5ELNS1_11target_archE942ELNS1_3gpuE9ELNS1_3repE0EEES8_NS1_28merge_sort_block_sort_configILj256ELj4ELNS0_20block_sort_algorithmE0EEENS0_14default_configENS1_37merge_sort_block_sort_config_selectorIjNS0_10empty_typeEEENS1_38merge_sort_block_merge_config_selectorIjSE_EEEEvv,comdat
.Lfunc_end2543:
	.size	_ZN7rocprim17ROCPRIM_400000_NS6detail44device_merge_sort_compile_time_verifier_archINS1_11comp_targetILNS1_3genE5ELNS1_11target_archE942ELNS1_3gpuE9ELNS1_3repE0EEES8_NS1_28merge_sort_block_sort_configILj256ELj4ELNS0_20block_sort_algorithmE0EEENS0_14default_configENS1_37merge_sort_block_sort_config_selectorIjNS0_10empty_typeEEENS1_38merge_sort_block_merge_config_selectorIjSE_EEEEvv, .Lfunc_end2543-_ZN7rocprim17ROCPRIM_400000_NS6detail44device_merge_sort_compile_time_verifier_archINS1_11comp_targetILNS1_3genE5ELNS1_11target_archE942ELNS1_3gpuE9ELNS1_3repE0EEES8_NS1_28merge_sort_block_sort_configILj256ELj4ELNS0_20block_sort_algorithmE0EEENS0_14default_configENS1_37merge_sort_block_sort_config_selectorIjNS0_10empty_typeEEENS1_38merge_sort_block_merge_config_selectorIjSE_EEEEvv
                                        ; -- End function
	.set _ZN7rocprim17ROCPRIM_400000_NS6detail44device_merge_sort_compile_time_verifier_archINS1_11comp_targetILNS1_3genE5ELNS1_11target_archE942ELNS1_3gpuE9ELNS1_3repE0EEES8_NS1_28merge_sort_block_sort_configILj256ELj4ELNS0_20block_sort_algorithmE0EEENS0_14default_configENS1_37merge_sort_block_sort_config_selectorIjNS0_10empty_typeEEENS1_38merge_sort_block_merge_config_selectorIjSE_EEEEvv.num_vgpr, 0
	.set _ZN7rocprim17ROCPRIM_400000_NS6detail44device_merge_sort_compile_time_verifier_archINS1_11comp_targetILNS1_3genE5ELNS1_11target_archE942ELNS1_3gpuE9ELNS1_3repE0EEES8_NS1_28merge_sort_block_sort_configILj256ELj4ELNS0_20block_sort_algorithmE0EEENS0_14default_configENS1_37merge_sort_block_sort_config_selectorIjNS0_10empty_typeEEENS1_38merge_sort_block_merge_config_selectorIjSE_EEEEvv.num_agpr, 0
	.set _ZN7rocprim17ROCPRIM_400000_NS6detail44device_merge_sort_compile_time_verifier_archINS1_11comp_targetILNS1_3genE5ELNS1_11target_archE942ELNS1_3gpuE9ELNS1_3repE0EEES8_NS1_28merge_sort_block_sort_configILj256ELj4ELNS0_20block_sort_algorithmE0EEENS0_14default_configENS1_37merge_sort_block_sort_config_selectorIjNS0_10empty_typeEEENS1_38merge_sort_block_merge_config_selectorIjSE_EEEEvv.numbered_sgpr, 0
	.set _ZN7rocprim17ROCPRIM_400000_NS6detail44device_merge_sort_compile_time_verifier_archINS1_11comp_targetILNS1_3genE5ELNS1_11target_archE942ELNS1_3gpuE9ELNS1_3repE0EEES8_NS1_28merge_sort_block_sort_configILj256ELj4ELNS0_20block_sort_algorithmE0EEENS0_14default_configENS1_37merge_sort_block_sort_config_selectorIjNS0_10empty_typeEEENS1_38merge_sort_block_merge_config_selectorIjSE_EEEEvv.num_named_barrier, 0
	.set _ZN7rocprim17ROCPRIM_400000_NS6detail44device_merge_sort_compile_time_verifier_archINS1_11comp_targetILNS1_3genE5ELNS1_11target_archE942ELNS1_3gpuE9ELNS1_3repE0EEES8_NS1_28merge_sort_block_sort_configILj256ELj4ELNS0_20block_sort_algorithmE0EEENS0_14default_configENS1_37merge_sort_block_sort_config_selectorIjNS0_10empty_typeEEENS1_38merge_sort_block_merge_config_selectorIjSE_EEEEvv.private_seg_size, 0
	.set _ZN7rocprim17ROCPRIM_400000_NS6detail44device_merge_sort_compile_time_verifier_archINS1_11comp_targetILNS1_3genE5ELNS1_11target_archE942ELNS1_3gpuE9ELNS1_3repE0EEES8_NS1_28merge_sort_block_sort_configILj256ELj4ELNS0_20block_sort_algorithmE0EEENS0_14default_configENS1_37merge_sort_block_sort_config_selectorIjNS0_10empty_typeEEENS1_38merge_sort_block_merge_config_selectorIjSE_EEEEvv.uses_vcc, 0
	.set _ZN7rocprim17ROCPRIM_400000_NS6detail44device_merge_sort_compile_time_verifier_archINS1_11comp_targetILNS1_3genE5ELNS1_11target_archE942ELNS1_3gpuE9ELNS1_3repE0EEES8_NS1_28merge_sort_block_sort_configILj256ELj4ELNS0_20block_sort_algorithmE0EEENS0_14default_configENS1_37merge_sort_block_sort_config_selectorIjNS0_10empty_typeEEENS1_38merge_sort_block_merge_config_selectorIjSE_EEEEvv.uses_flat_scratch, 0
	.set _ZN7rocprim17ROCPRIM_400000_NS6detail44device_merge_sort_compile_time_verifier_archINS1_11comp_targetILNS1_3genE5ELNS1_11target_archE942ELNS1_3gpuE9ELNS1_3repE0EEES8_NS1_28merge_sort_block_sort_configILj256ELj4ELNS0_20block_sort_algorithmE0EEENS0_14default_configENS1_37merge_sort_block_sort_config_selectorIjNS0_10empty_typeEEENS1_38merge_sort_block_merge_config_selectorIjSE_EEEEvv.has_dyn_sized_stack, 0
	.set _ZN7rocprim17ROCPRIM_400000_NS6detail44device_merge_sort_compile_time_verifier_archINS1_11comp_targetILNS1_3genE5ELNS1_11target_archE942ELNS1_3gpuE9ELNS1_3repE0EEES8_NS1_28merge_sort_block_sort_configILj256ELj4ELNS0_20block_sort_algorithmE0EEENS0_14default_configENS1_37merge_sort_block_sort_config_selectorIjNS0_10empty_typeEEENS1_38merge_sort_block_merge_config_selectorIjSE_EEEEvv.has_recursion, 0
	.set _ZN7rocprim17ROCPRIM_400000_NS6detail44device_merge_sort_compile_time_verifier_archINS1_11comp_targetILNS1_3genE5ELNS1_11target_archE942ELNS1_3gpuE9ELNS1_3repE0EEES8_NS1_28merge_sort_block_sort_configILj256ELj4ELNS0_20block_sort_algorithmE0EEENS0_14default_configENS1_37merge_sort_block_sort_config_selectorIjNS0_10empty_typeEEENS1_38merge_sort_block_merge_config_selectorIjSE_EEEEvv.has_indirect_call, 0
	.section	.AMDGPU.csdata,"",@progbits
; Kernel info:
; codeLenInByte = 4
; TotalNumSgprs: 0
; NumVgprs: 0
; ScratchSize: 0
; MemoryBound: 0
; FloatMode: 240
; IeeeMode: 1
; LDSByteSize: 0 bytes/workgroup (compile time only)
; SGPRBlocks: 0
; VGPRBlocks: 0
; NumSGPRsForWavesPerEU: 1
; NumVGPRsForWavesPerEU: 1
; NamedBarCnt: 0
; Occupancy: 16
; WaveLimiterHint : 0
; COMPUTE_PGM_RSRC2:SCRATCH_EN: 0
; COMPUTE_PGM_RSRC2:USER_SGPR: 0
; COMPUTE_PGM_RSRC2:TRAP_HANDLER: 0
; COMPUTE_PGM_RSRC2:TGID_X_EN: 1
; COMPUTE_PGM_RSRC2:TGID_Y_EN: 0
; COMPUTE_PGM_RSRC2:TGID_Z_EN: 0
; COMPUTE_PGM_RSRC2:TIDIG_COMP_CNT: 0
	.section	.text._ZN7rocprim17ROCPRIM_400000_NS6detail44device_merge_sort_compile_time_verifier_archINS1_11comp_targetILNS1_3genE4ELNS1_11target_archE910ELNS1_3gpuE8ELNS1_3repE0EEES8_NS1_28merge_sort_block_sort_configILj256ELj4ELNS0_20block_sort_algorithmE0EEENS0_14default_configENS1_37merge_sort_block_sort_config_selectorIjNS0_10empty_typeEEENS1_38merge_sort_block_merge_config_selectorIjSE_EEEEvv,"axG",@progbits,_ZN7rocprim17ROCPRIM_400000_NS6detail44device_merge_sort_compile_time_verifier_archINS1_11comp_targetILNS1_3genE4ELNS1_11target_archE910ELNS1_3gpuE8ELNS1_3repE0EEES8_NS1_28merge_sort_block_sort_configILj256ELj4ELNS0_20block_sort_algorithmE0EEENS0_14default_configENS1_37merge_sort_block_sort_config_selectorIjNS0_10empty_typeEEENS1_38merge_sort_block_merge_config_selectorIjSE_EEEEvv,comdat
	.protected	_ZN7rocprim17ROCPRIM_400000_NS6detail44device_merge_sort_compile_time_verifier_archINS1_11comp_targetILNS1_3genE4ELNS1_11target_archE910ELNS1_3gpuE8ELNS1_3repE0EEES8_NS1_28merge_sort_block_sort_configILj256ELj4ELNS0_20block_sort_algorithmE0EEENS0_14default_configENS1_37merge_sort_block_sort_config_selectorIjNS0_10empty_typeEEENS1_38merge_sort_block_merge_config_selectorIjSE_EEEEvv ; -- Begin function _ZN7rocprim17ROCPRIM_400000_NS6detail44device_merge_sort_compile_time_verifier_archINS1_11comp_targetILNS1_3genE4ELNS1_11target_archE910ELNS1_3gpuE8ELNS1_3repE0EEES8_NS1_28merge_sort_block_sort_configILj256ELj4ELNS0_20block_sort_algorithmE0EEENS0_14default_configENS1_37merge_sort_block_sort_config_selectorIjNS0_10empty_typeEEENS1_38merge_sort_block_merge_config_selectorIjSE_EEEEvv
	.globl	_ZN7rocprim17ROCPRIM_400000_NS6detail44device_merge_sort_compile_time_verifier_archINS1_11comp_targetILNS1_3genE4ELNS1_11target_archE910ELNS1_3gpuE8ELNS1_3repE0EEES8_NS1_28merge_sort_block_sort_configILj256ELj4ELNS0_20block_sort_algorithmE0EEENS0_14default_configENS1_37merge_sort_block_sort_config_selectorIjNS0_10empty_typeEEENS1_38merge_sort_block_merge_config_selectorIjSE_EEEEvv
	.p2align	8
	.type	_ZN7rocprim17ROCPRIM_400000_NS6detail44device_merge_sort_compile_time_verifier_archINS1_11comp_targetILNS1_3genE4ELNS1_11target_archE910ELNS1_3gpuE8ELNS1_3repE0EEES8_NS1_28merge_sort_block_sort_configILj256ELj4ELNS0_20block_sort_algorithmE0EEENS0_14default_configENS1_37merge_sort_block_sort_config_selectorIjNS0_10empty_typeEEENS1_38merge_sort_block_merge_config_selectorIjSE_EEEEvv,@function
_ZN7rocprim17ROCPRIM_400000_NS6detail44device_merge_sort_compile_time_verifier_archINS1_11comp_targetILNS1_3genE4ELNS1_11target_archE910ELNS1_3gpuE8ELNS1_3repE0EEES8_NS1_28merge_sort_block_sort_configILj256ELj4ELNS0_20block_sort_algorithmE0EEENS0_14default_configENS1_37merge_sort_block_sort_config_selectorIjNS0_10empty_typeEEENS1_38merge_sort_block_merge_config_selectorIjSE_EEEEvv: ; @_ZN7rocprim17ROCPRIM_400000_NS6detail44device_merge_sort_compile_time_verifier_archINS1_11comp_targetILNS1_3genE4ELNS1_11target_archE910ELNS1_3gpuE8ELNS1_3repE0EEES8_NS1_28merge_sort_block_sort_configILj256ELj4ELNS0_20block_sort_algorithmE0EEENS0_14default_configENS1_37merge_sort_block_sort_config_selectorIjNS0_10empty_typeEEENS1_38merge_sort_block_merge_config_selectorIjSE_EEEEvv
; %bb.0:
	s_endpgm
	.section	.rodata,"a",@progbits
	.p2align	6, 0x0
	.amdhsa_kernel _ZN7rocprim17ROCPRIM_400000_NS6detail44device_merge_sort_compile_time_verifier_archINS1_11comp_targetILNS1_3genE4ELNS1_11target_archE910ELNS1_3gpuE8ELNS1_3repE0EEES8_NS1_28merge_sort_block_sort_configILj256ELj4ELNS0_20block_sort_algorithmE0EEENS0_14default_configENS1_37merge_sort_block_sort_config_selectorIjNS0_10empty_typeEEENS1_38merge_sort_block_merge_config_selectorIjSE_EEEEvv
		.amdhsa_group_segment_fixed_size 0
		.amdhsa_private_segment_fixed_size 0
		.amdhsa_kernarg_size 0
		.amdhsa_user_sgpr_count 0
		.amdhsa_user_sgpr_dispatch_ptr 0
		.amdhsa_user_sgpr_queue_ptr 0
		.amdhsa_user_sgpr_kernarg_segment_ptr 0
		.amdhsa_user_sgpr_dispatch_id 0
		.amdhsa_user_sgpr_kernarg_preload_length 0
		.amdhsa_user_sgpr_kernarg_preload_offset 0
		.amdhsa_user_sgpr_private_segment_size 0
		.amdhsa_wavefront_size32 1
		.amdhsa_uses_dynamic_stack 0
		.amdhsa_enable_private_segment 0
		.amdhsa_system_sgpr_workgroup_id_x 1
		.amdhsa_system_sgpr_workgroup_id_y 0
		.amdhsa_system_sgpr_workgroup_id_z 0
		.amdhsa_system_sgpr_workgroup_info 0
		.amdhsa_system_vgpr_workitem_id 0
		.amdhsa_next_free_vgpr 1
		.amdhsa_next_free_sgpr 1
		.amdhsa_named_barrier_count 0
		.amdhsa_reserve_vcc 0
		.amdhsa_float_round_mode_32 0
		.amdhsa_float_round_mode_16_64 0
		.amdhsa_float_denorm_mode_32 3
		.amdhsa_float_denorm_mode_16_64 3
		.amdhsa_fp16_overflow 0
		.amdhsa_memory_ordered 1
		.amdhsa_forward_progress 1
		.amdhsa_inst_pref_size 1
		.amdhsa_round_robin_scheduling 0
		.amdhsa_exception_fp_ieee_invalid_op 0
		.amdhsa_exception_fp_denorm_src 0
		.amdhsa_exception_fp_ieee_div_zero 0
		.amdhsa_exception_fp_ieee_overflow 0
		.amdhsa_exception_fp_ieee_underflow 0
		.amdhsa_exception_fp_ieee_inexact 0
		.amdhsa_exception_int_div_zero 0
	.end_amdhsa_kernel
	.section	.text._ZN7rocprim17ROCPRIM_400000_NS6detail44device_merge_sort_compile_time_verifier_archINS1_11comp_targetILNS1_3genE4ELNS1_11target_archE910ELNS1_3gpuE8ELNS1_3repE0EEES8_NS1_28merge_sort_block_sort_configILj256ELj4ELNS0_20block_sort_algorithmE0EEENS0_14default_configENS1_37merge_sort_block_sort_config_selectorIjNS0_10empty_typeEEENS1_38merge_sort_block_merge_config_selectorIjSE_EEEEvv,"axG",@progbits,_ZN7rocprim17ROCPRIM_400000_NS6detail44device_merge_sort_compile_time_verifier_archINS1_11comp_targetILNS1_3genE4ELNS1_11target_archE910ELNS1_3gpuE8ELNS1_3repE0EEES8_NS1_28merge_sort_block_sort_configILj256ELj4ELNS0_20block_sort_algorithmE0EEENS0_14default_configENS1_37merge_sort_block_sort_config_selectorIjNS0_10empty_typeEEENS1_38merge_sort_block_merge_config_selectorIjSE_EEEEvv,comdat
.Lfunc_end2544:
	.size	_ZN7rocprim17ROCPRIM_400000_NS6detail44device_merge_sort_compile_time_verifier_archINS1_11comp_targetILNS1_3genE4ELNS1_11target_archE910ELNS1_3gpuE8ELNS1_3repE0EEES8_NS1_28merge_sort_block_sort_configILj256ELj4ELNS0_20block_sort_algorithmE0EEENS0_14default_configENS1_37merge_sort_block_sort_config_selectorIjNS0_10empty_typeEEENS1_38merge_sort_block_merge_config_selectorIjSE_EEEEvv, .Lfunc_end2544-_ZN7rocprim17ROCPRIM_400000_NS6detail44device_merge_sort_compile_time_verifier_archINS1_11comp_targetILNS1_3genE4ELNS1_11target_archE910ELNS1_3gpuE8ELNS1_3repE0EEES8_NS1_28merge_sort_block_sort_configILj256ELj4ELNS0_20block_sort_algorithmE0EEENS0_14default_configENS1_37merge_sort_block_sort_config_selectorIjNS0_10empty_typeEEENS1_38merge_sort_block_merge_config_selectorIjSE_EEEEvv
                                        ; -- End function
	.set _ZN7rocprim17ROCPRIM_400000_NS6detail44device_merge_sort_compile_time_verifier_archINS1_11comp_targetILNS1_3genE4ELNS1_11target_archE910ELNS1_3gpuE8ELNS1_3repE0EEES8_NS1_28merge_sort_block_sort_configILj256ELj4ELNS0_20block_sort_algorithmE0EEENS0_14default_configENS1_37merge_sort_block_sort_config_selectorIjNS0_10empty_typeEEENS1_38merge_sort_block_merge_config_selectorIjSE_EEEEvv.num_vgpr, 0
	.set _ZN7rocprim17ROCPRIM_400000_NS6detail44device_merge_sort_compile_time_verifier_archINS1_11comp_targetILNS1_3genE4ELNS1_11target_archE910ELNS1_3gpuE8ELNS1_3repE0EEES8_NS1_28merge_sort_block_sort_configILj256ELj4ELNS0_20block_sort_algorithmE0EEENS0_14default_configENS1_37merge_sort_block_sort_config_selectorIjNS0_10empty_typeEEENS1_38merge_sort_block_merge_config_selectorIjSE_EEEEvv.num_agpr, 0
	.set _ZN7rocprim17ROCPRIM_400000_NS6detail44device_merge_sort_compile_time_verifier_archINS1_11comp_targetILNS1_3genE4ELNS1_11target_archE910ELNS1_3gpuE8ELNS1_3repE0EEES8_NS1_28merge_sort_block_sort_configILj256ELj4ELNS0_20block_sort_algorithmE0EEENS0_14default_configENS1_37merge_sort_block_sort_config_selectorIjNS0_10empty_typeEEENS1_38merge_sort_block_merge_config_selectorIjSE_EEEEvv.numbered_sgpr, 0
	.set _ZN7rocprim17ROCPRIM_400000_NS6detail44device_merge_sort_compile_time_verifier_archINS1_11comp_targetILNS1_3genE4ELNS1_11target_archE910ELNS1_3gpuE8ELNS1_3repE0EEES8_NS1_28merge_sort_block_sort_configILj256ELj4ELNS0_20block_sort_algorithmE0EEENS0_14default_configENS1_37merge_sort_block_sort_config_selectorIjNS0_10empty_typeEEENS1_38merge_sort_block_merge_config_selectorIjSE_EEEEvv.num_named_barrier, 0
	.set _ZN7rocprim17ROCPRIM_400000_NS6detail44device_merge_sort_compile_time_verifier_archINS1_11comp_targetILNS1_3genE4ELNS1_11target_archE910ELNS1_3gpuE8ELNS1_3repE0EEES8_NS1_28merge_sort_block_sort_configILj256ELj4ELNS0_20block_sort_algorithmE0EEENS0_14default_configENS1_37merge_sort_block_sort_config_selectorIjNS0_10empty_typeEEENS1_38merge_sort_block_merge_config_selectorIjSE_EEEEvv.private_seg_size, 0
	.set _ZN7rocprim17ROCPRIM_400000_NS6detail44device_merge_sort_compile_time_verifier_archINS1_11comp_targetILNS1_3genE4ELNS1_11target_archE910ELNS1_3gpuE8ELNS1_3repE0EEES8_NS1_28merge_sort_block_sort_configILj256ELj4ELNS0_20block_sort_algorithmE0EEENS0_14default_configENS1_37merge_sort_block_sort_config_selectorIjNS0_10empty_typeEEENS1_38merge_sort_block_merge_config_selectorIjSE_EEEEvv.uses_vcc, 0
	.set _ZN7rocprim17ROCPRIM_400000_NS6detail44device_merge_sort_compile_time_verifier_archINS1_11comp_targetILNS1_3genE4ELNS1_11target_archE910ELNS1_3gpuE8ELNS1_3repE0EEES8_NS1_28merge_sort_block_sort_configILj256ELj4ELNS0_20block_sort_algorithmE0EEENS0_14default_configENS1_37merge_sort_block_sort_config_selectorIjNS0_10empty_typeEEENS1_38merge_sort_block_merge_config_selectorIjSE_EEEEvv.uses_flat_scratch, 0
	.set _ZN7rocprim17ROCPRIM_400000_NS6detail44device_merge_sort_compile_time_verifier_archINS1_11comp_targetILNS1_3genE4ELNS1_11target_archE910ELNS1_3gpuE8ELNS1_3repE0EEES8_NS1_28merge_sort_block_sort_configILj256ELj4ELNS0_20block_sort_algorithmE0EEENS0_14default_configENS1_37merge_sort_block_sort_config_selectorIjNS0_10empty_typeEEENS1_38merge_sort_block_merge_config_selectorIjSE_EEEEvv.has_dyn_sized_stack, 0
	.set _ZN7rocprim17ROCPRIM_400000_NS6detail44device_merge_sort_compile_time_verifier_archINS1_11comp_targetILNS1_3genE4ELNS1_11target_archE910ELNS1_3gpuE8ELNS1_3repE0EEES8_NS1_28merge_sort_block_sort_configILj256ELj4ELNS0_20block_sort_algorithmE0EEENS0_14default_configENS1_37merge_sort_block_sort_config_selectorIjNS0_10empty_typeEEENS1_38merge_sort_block_merge_config_selectorIjSE_EEEEvv.has_recursion, 0
	.set _ZN7rocprim17ROCPRIM_400000_NS6detail44device_merge_sort_compile_time_verifier_archINS1_11comp_targetILNS1_3genE4ELNS1_11target_archE910ELNS1_3gpuE8ELNS1_3repE0EEES8_NS1_28merge_sort_block_sort_configILj256ELj4ELNS0_20block_sort_algorithmE0EEENS0_14default_configENS1_37merge_sort_block_sort_config_selectorIjNS0_10empty_typeEEENS1_38merge_sort_block_merge_config_selectorIjSE_EEEEvv.has_indirect_call, 0
	.section	.AMDGPU.csdata,"",@progbits
; Kernel info:
; codeLenInByte = 4
; TotalNumSgprs: 0
; NumVgprs: 0
; ScratchSize: 0
; MemoryBound: 0
; FloatMode: 240
; IeeeMode: 1
; LDSByteSize: 0 bytes/workgroup (compile time only)
; SGPRBlocks: 0
; VGPRBlocks: 0
; NumSGPRsForWavesPerEU: 1
; NumVGPRsForWavesPerEU: 1
; NamedBarCnt: 0
; Occupancy: 16
; WaveLimiterHint : 0
; COMPUTE_PGM_RSRC2:SCRATCH_EN: 0
; COMPUTE_PGM_RSRC2:USER_SGPR: 0
; COMPUTE_PGM_RSRC2:TRAP_HANDLER: 0
; COMPUTE_PGM_RSRC2:TGID_X_EN: 1
; COMPUTE_PGM_RSRC2:TGID_Y_EN: 0
; COMPUTE_PGM_RSRC2:TGID_Z_EN: 0
; COMPUTE_PGM_RSRC2:TIDIG_COMP_CNT: 0
	.section	.text._ZN7rocprim17ROCPRIM_400000_NS6detail44device_merge_sort_compile_time_verifier_archINS1_11comp_targetILNS1_3genE3ELNS1_11target_archE908ELNS1_3gpuE7ELNS1_3repE0EEES8_NS1_28merge_sort_block_sort_configILj256ELj4ELNS0_20block_sort_algorithmE0EEENS0_14default_configENS1_37merge_sort_block_sort_config_selectorIjNS0_10empty_typeEEENS1_38merge_sort_block_merge_config_selectorIjSE_EEEEvv,"axG",@progbits,_ZN7rocprim17ROCPRIM_400000_NS6detail44device_merge_sort_compile_time_verifier_archINS1_11comp_targetILNS1_3genE3ELNS1_11target_archE908ELNS1_3gpuE7ELNS1_3repE0EEES8_NS1_28merge_sort_block_sort_configILj256ELj4ELNS0_20block_sort_algorithmE0EEENS0_14default_configENS1_37merge_sort_block_sort_config_selectorIjNS0_10empty_typeEEENS1_38merge_sort_block_merge_config_selectorIjSE_EEEEvv,comdat
	.protected	_ZN7rocprim17ROCPRIM_400000_NS6detail44device_merge_sort_compile_time_verifier_archINS1_11comp_targetILNS1_3genE3ELNS1_11target_archE908ELNS1_3gpuE7ELNS1_3repE0EEES8_NS1_28merge_sort_block_sort_configILj256ELj4ELNS0_20block_sort_algorithmE0EEENS0_14default_configENS1_37merge_sort_block_sort_config_selectorIjNS0_10empty_typeEEENS1_38merge_sort_block_merge_config_selectorIjSE_EEEEvv ; -- Begin function _ZN7rocprim17ROCPRIM_400000_NS6detail44device_merge_sort_compile_time_verifier_archINS1_11comp_targetILNS1_3genE3ELNS1_11target_archE908ELNS1_3gpuE7ELNS1_3repE0EEES8_NS1_28merge_sort_block_sort_configILj256ELj4ELNS0_20block_sort_algorithmE0EEENS0_14default_configENS1_37merge_sort_block_sort_config_selectorIjNS0_10empty_typeEEENS1_38merge_sort_block_merge_config_selectorIjSE_EEEEvv
	.globl	_ZN7rocprim17ROCPRIM_400000_NS6detail44device_merge_sort_compile_time_verifier_archINS1_11comp_targetILNS1_3genE3ELNS1_11target_archE908ELNS1_3gpuE7ELNS1_3repE0EEES8_NS1_28merge_sort_block_sort_configILj256ELj4ELNS0_20block_sort_algorithmE0EEENS0_14default_configENS1_37merge_sort_block_sort_config_selectorIjNS0_10empty_typeEEENS1_38merge_sort_block_merge_config_selectorIjSE_EEEEvv
	.p2align	8
	.type	_ZN7rocprim17ROCPRIM_400000_NS6detail44device_merge_sort_compile_time_verifier_archINS1_11comp_targetILNS1_3genE3ELNS1_11target_archE908ELNS1_3gpuE7ELNS1_3repE0EEES8_NS1_28merge_sort_block_sort_configILj256ELj4ELNS0_20block_sort_algorithmE0EEENS0_14default_configENS1_37merge_sort_block_sort_config_selectorIjNS0_10empty_typeEEENS1_38merge_sort_block_merge_config_selectorIjSE_EEEEvv,@function
_ZN7rocprim17ROCPRIM_400000_NS6detail44device_merge_sort_compile_time_verifier_archINS1_11comp_targetILNS1_3genE3ELNS1_11target_archE908ELNS1_3gpuE7ELNS1_3repE0EEES8_NS1_28merge_sort_block_sort_configILj256ELj4ELNS0_20block_sort_algorithmE0EEENS0_14default_configENS1_37merge_sort_block_sort_config_selectorIjNS0_10empty_typeEEENS1_38merge_sort_block_merge_config_selectorIjSE_EEEEvv: ; @_ZN7rocprim17ROCPRIM_400000_NS6detail44device_merge_sort_compile_time_verifier_archINS1_11comp_targetILNS1_3genE3ELNS1_11target_archE908ELNS1_3gpuE7ELNS1_3repE0EEES8_NS1_28merge_sort_block_sort_configILj256ELj4ELNS0_20block_sort_algorithmE0EEENS0_14default_configENS1_37merge_sort_block_sort_config_selectorIjNS0_10empty_typeEEENS1_38merge_sort_block_merge_config_selectorIjSE_EEEEvv
; %bb.0:
	s_endpgm
	.section	.rodata,"a",@progbits
	.p2align	6, 0x0
	.amdhsa_kernel _ZN7rocprim17ROCPRIM_400000_NS6detail44device_merge_sort_compile_time_verifier_archINS1_11comp_targetILNS1_3genE3ELNS1_11target_archE908ELNS1_3gpuE7ELNS1_3repE0EEES8_NS1_28merge_sort_block_sort_configILj256ELj4ELNS0_20block_sort_algorithmE0EEENS0_14default_configENS1_37merge_sort_block_sort_config_selectorIjNS0_10empty_typeEEENS1_38merge_sort_block_merge_config_selectorIjSE_EEEEvv
		.amdhsa_group_segment_fixed_size 0
		.amdhsa_private_segment_fixed_size 0
		.amdhsa_kernarg_size 0
		.amdhsa_user_sgpr_count 0
		.amdhsa_user_sgpr_dispatch_ptr 0
		.amdhsa_user_sgpr_queue_ptr 0
		.amdhsa_user_sgpr_kernarg_segment_ptr 0
		.amdhsa_user_sgpr_dispatch_id 0
		.amdhsa_user_sgpr_kernarg_preload_length 0
		.amdhsa_user_sgpr_kernarg_preload_offset 0
		.amdhsa_user_sgpr_private_segment_size 0
		.amdhsa_wavefront_size32 1
		.amdhsa_uses_dynamic_stack 0
		.amdhsa_enable_private_segment 0
		.amdhsa_system_sgpr_workgroup_id_x 1
		.amdhsa_system_sgpr_workgroup_id_y 0
		.amdhsa_system_sgpr_workgroup_id_z 0
		.amdhsa_system_sgpr_workgroup_info 0
		.amdhsa_system_vgpr_workitem_id 0
		.amdhsa_next_free_vgpr 1
		.amdhsa_next_free_sgpr 1
		.amdhsa_named_barrier_count 0
		.amdhsa_reserve_vcc 0
		.amdhsa_float_round_mode_32 0
		.amdhsa_float_round_mode_16_64 0
		.amdhsa_float_denorm_mode_32 3
		.amdhsa_float_denorm_mode_16_64 3
		.amdhsa_fp16_overflow 0
		.amdhsa_memory_ordered 1
		.amdhsa_forward_progress 1
		.amdhsa_inst_pref_size 1
		.amdhsa_round_robin_scheduling 0
		.amdhsa_exception_fp_ieee_invalid_op 0
		.amdhsa_exception_fp_denorm_src 0
		.amdhsa_exception_fp_ieee_div_zero 0
		.amdhsa_exception_fp_ieee_overflow 0
		.amdhsa_exception_fp_ieee_underflow 0
		.amdhsa_exception_fp_ieee_inexact 0
		.amdhsa_exception_int_div_zero 0
	.end_amdhsa_kernel
	.section	.text._ZN7rocprim17ROCPRIM_400000_NS6detail44device_merge_sort_compile_time_verifier_archINS1_11comp_targetILNS1_3genE3ELNS1_11target_archE908ELNS1_3gpuE7ELNS1_3repE0EEES8_NS1_28merge_sort_block_sort_configILj256ELj4ELNS0_20block_sort_algorithmE0EEENS0_14default_configENS1_37merge_sort_block_sort_config_selectorIjNS0_10empty_typeEEENS1_38merge_sort_block_merge_config_selectorIjSE_EEEEvv,"axG",@progbits,_ZN7rocprim17ROCPRIM_400000_NS6detail44device_merge_sort_compile_time_verifier_archINS1_11comp_targetILNS1_3genE3ELNS1_11target_archE908ELNS1_3gpuE7ELNS1_3repE0EEES8_NS1_28merge_sort_block_sort_configILj256ELj4ELNS0_20block_sort_algorithmE0EEENS0_14default_configENS1_37merge_sort_block_sort_config_selectorIjNS0_10empty_typeEEENS1_38merge_sort_block_merge_config_selectorIjSE_EEEEvv,comdat
.Lfunc_end2545:
	.size	_ZN7rocprim17ROCPRIM_400000_NS6detail44device_merge_sort_compile_time_verifier_archINS1_11comp_targetILNS1_3genE3ELNS1_11target_archE908ELNS1_3gpuE7ELNS1_3repE0EEES8_NS1_28merge_sort_block_sort_configILj256ELj4ELNS0_20block_sort_algorithmE0EEENS0_14default_configENS1_37merge_sort_block_sort_config_selectorIjNS0_10empty_typeEEENS1_38merge_sort_block_merge_config_selectorIjSE_EEEEvv, .Lfunc_end2545-_ZN7rocprim17ROCPRIM_400000_NS6detail44device_merge_sort_compile_time_verifier_archINS1_11comp_targetILNS1_3genE3ELNS1_11target_archE908ELNS1_3gpuE7ELNS1_3repE0EEES8_NS1_28merge_sort_block_sort_configILj256ELj4ELNS0_20block_sort_algorithmE0EEENS0_14default_configENS1_37merge_sort_block_sort_config_selectorIjNS0_10empty_typeEEENS1_38merge_sort_block_merge_config_selectorIjSE_EEEEvv
                                        ; -- End function
	.set _ZN7rocprim17ROCPRIM_400000_NS6detail44device_merge_sort_compile_time_verifier_archINS1_11comp_targetILNS1_3genE3ELNS1_11target_archE908ELNS1_3gpuE7ELNS1_3repE0EEES8_NS1_28merge_sort_block_sort_configILj256ELj4ELNS0_20block_sort_algorithmE0EEENS0_14default_configENS1_37merge_sort_block_sort_config_selectorIjNS0_10empty_typeEEENS1_38merge_sort_block_merge_config_selectorIjSE_EEEEvv.num_vgpr, 0
	.set _ZN7rocprim17ROCPRIM_400000_NS6detail44device_merge_sort_compile_time_verifier_archINS1_11comp_targetILNS1_3genE3ELNS1_11target_archE908ELNS1_3gpuE7ELNS1_3repE0EEES8_NS1_28merge_sort_block_sort_configILj256ELj4ELNS0_20block_sort_algorithmE0EEENS0_14default_configENS1_37merge_sort_block_sort_config_selectorIjNS0_10empty_typeEEENS1_38merge_sort_block_merge_config_selectorIjSE_EEEEvv.num_agpr, 0
	.set _ZN7rocprim17ROCPRIM_400000_NS6detail44device_merge_sort_compile_time_verifier_archINS1_11comp_targetILNS1_3genE3ELNS1_11target_archE908ELNS1_3gpuE7ELNS1_3repE0EEES8_NS1_28merge_sort_block_sort_configILj256ELj4ELNS0_20block_sort_algorithmE0EEENS0_14default_configENS1_37merge_sort_block_sort_config_selectorIjNS0_10empty_typeEEENS1_38merge_sort_block_merge_config_selectorIjSE_EEEEvv.numbered_sgpr, 0
	.set _ZN7rocprim17ROCPRIM_400000_NS6detail44device_merge_sort_compile_time_verifier_archINS1_11comp_targetILNS1_3genE3ELNS1_11target_archE908ELNS1_3gpuE7ELNS1_3repE0EEES8_NS1_28merge_sort_block_sort_configILj256ELj4ELNS0_20block_sort_algorithmE0EEENS0_14default_configENS1_37merge_sort_block_sort_config_selectorIjNS0_10empty_typeEEENS1_38merge_sort_block_merge_config_selectorIjSE_EEEEvv.num_named_barrier, 0
	.set _ZN7rocprim17ROCPRIM_400000_NS6detail44device_merge_sort_compile_time_verifier_archINS1_11comp_targetILNS1_3genE3ELNS1_11target_archE908ELNS1_3gpuE7ELNS1_3repE0EEES8_NS1_28merge_sort_block_sort_configILj256ELj4ELNS0_20block_sort_algorithmE0EEENS0_14default_configENS1_37merge_sort_block_sort_config_selectorIjNS0_10empty_typeEEENS1_38merge_sort_block_merge_config_selectorIjSE_EEEEvv.private_seg_size, 0
	.set _ZN7rocprim17ROCPRIM_400000_NS6detail44device_merge_sort_compile_time_verifier_archINS1_11comp_targetILNS1_3genE3ELNS1_11target_archE908ELNS1_3gpuE7ELNS1_3repE0EEES8_NS1_28merge_sort_block_sort_configILj256ELj4ELNS0_20block_sort_algorithmE0EEENS0_14default_configENS1_37merge_sort_block_sort_config_selectorIjNS0_10empty_typeEEENS1_38merge_sort_block_merge_config_selectorIjSE_EEEEvv.uses_vcc, 0
	.set _ZN7rocprim17ROCPRIM_400000_NS6detail44device_merge_sort_compile_time_verifier_archINS1_11comp_targetILNS1_3genE3ELNS1_11target_archE908ELNS1_3gpuE7ELNS1_3repE0EEES8_NS1_28merge_sort_block_sort_configILj256ELj4ELNS0_20block_sort_algorithmE0EEENS0_14default_configENS1_37merge_sort_block_sort_config_selectorIjNS0_10empty_typeEEENS1_38merge_sort_block_merge_config_selectorIjSE_EEEEvv.uses_flat_scratch, 0
	.set _ZN7rocprim17ROCPRIM_400000_NS6detail44device_merge_sort_compile_time_verifier_archINS1_11comp_targetILNS1_3genE3ELNS1_11target_archE908ELNS1_3gpuE7ELNS1_3repE0EEES8_NS1_28merge_sort_block_sort_configILj256ELj4ELNS0_20block_sort_algorithmE0EEENS0_14default_configENS1_37merge_sort_block_sort_config_selectorIjNS0_10empty_typeEEENS1_38merge_sort_block_merge_config_selectorIjSE_EEEEvv.has_dyn_sized_stack, 0
	.set _ZN7rocprim17ROCPRIM_400000_NS6detail44device_merge_sort_compile_time_verifier_archINS1_11comp_targetILNS1_3genE3ELNS1_11target_archE908ELNS1_3gpuE7ELNS1_3repE0EEES8_NS1_28merge_sort_block_sort_configILj256ELj4ELNS0_20block_sort_algorithmE0EEENS0_14default_configENS1_37merge_sort_block_sort_config_selectorIjNS0_10empty_typeEEENS1_38merge_sort_block_merge_config_selectorIjSE_EEEEvv.has_recursion, 0
	.set _ZN7rocprim17ROCPRIM_400000_NS6detail44device_merge_sort_compile_time_verifier_archINS1_11comp_targetILNS1_3genE3ELNS1_11target_archE908ELNS1_3gpuE7ELNS1_3repE0EEES8_NS1_28merge_sort_block_sort_configILj256ELj4ELNS0_20block_sort_algorithmE0EEENS0_14default_configENS1_37merge_sort_block_sort_config_selectorIjNS0_10empty_typeEEENS1_38merge_sort_block_merge_config_selectorIjSE_EEEEvv.has_indirect_call, 0
	.section	.AMDGPU.csdata,"",@progbits
; Kernel info:
; codeLenInByte = 4
; TotalNumSgprs: 0
; NumVgprs: 0
; ScratchSize: 0
; MemoryBound: 0
; FloatMode: 240
; IeeeMode: 1
; LDSByteSize: 0 bytes/workgroup (compile time only)
; SGPRBlocks: 0
; VGPRBlocks: 0
; NumSGPRsForWavesPerEU: 1
; NumVGPRsForWavesPerEU: 1
; NamedBarCnt: 0
; Occupancy: 16
; WaveLimiterHint : 0
; COMPUTE_PGM_RSRC2:SCRATCH_EN: 0
; COMPUTE_PGM_RSRC2:USER_SGPR: 0
; COMPUTE_PGM_RSRC2:TRAP_HANDLER: 0
; COMPUTE_PGM_RSRC2:TGID_X_EN: 1
; COMPUTE_PGM_RSRC2:TGID_Y_EN: 0
; COMPUTE_PGM_RSRC2:TGID_Z_EN: 0
; COMPUTE_PGM_RSRC2:TIDIG_COMP_CNT: 0
	.section	.text._ZN7rocprim17ROCPRIM_400000_NS6detail44device_merge_sort_compile_time_verifier_archINS1_11comp_targetILNS1_3genE2ELNS1_11target_archE906ELNS1_3gpuE6ELNS1_3repE0EEES8_NS1_28merge_sort_block_sort_configILj256ELj4ELNS0_20block_sort_algorithmE0EEENS0_14default_configENS1_37merge_sort_block_sort_config_selectorIjNS0_10empty_typeEEENS1_38merge_sort_block_merge_config_selectorIjSE_EEEEvv,"axG",@progbits,_ZN7rocprim17ROCPRIM_400000_NS6detail44device_merge_sort_compile_time_verifier_archINS1_11comp_targetILNS1_3genE2ELNS1_11target_archE906ELNS1_3gpuE6ELNS1_3repE0EEES8_NS1_28merge_sort_block_sort_configILj256ELj4ELNS0_20block_sort_algorithmE0EEENS0_14default_configENS1_37merge_sort_block_sort_config_selectorIjNS0_10empty_typeEEENS1_38merge_sort_block_merge_config_selectorIjSE_EEEEvv,comdat
	.protected	_ZN7rocprim17ROCPRIM_400000_NS6detail44device_merge_sort_compile_time_verifier_archINS1_11comp_targetILNS1_3genE2ELNS1_11target_archE906ELNS1_3gpuE6ELNS1_3repE0EEES8_NS1_28merge_sort_block_sort_configILj256ELj4ELNS0_20block_sort_algorithmE0EEENS0_14default_configENS1_37merge_sort_block_sort_config_selectorIjNS0_10empty_typeEEENS1_38merge_sort_block_merge_config_selectorIjSE_EEEEvv ; -- Begin function _ZN7rocprim17ROCPRIM_400000_NS6detail44device_merge_sort_compile_time_verifier_archINS1_11comp_targetILNS1_3genE2ELNS1_11target_archE906ELNS1_3gpuE6ELNS1_3repE0EEES8_NS1_28merge_sort_block_sort_configILj256ELj4ELNS0_20block_sort_algorithmE0EEENS0_14default_configENS1_37merge_sort_block_sort_config_selectorIjNS0_10empty_typeEEENS1_38merge_sort_block_merge_config_selectorIjSE_EEEEvv
	.globl	_ZN7rocprim17ROCPRIM_400000_NS6detail44device_merge_sort_compile_time_verifier_archINS1_11comp_targetILNS1_3genE2ELNS1_11target_archE906ELNS1_3gpuE6ELNS1_3repE0EEES8_NS1_28merge_sort_block_sort_configILj256ELj4ELNS0_20block_sort_algorithmE0EEENS0_14default_configENS1_37merge_sort_block_sort_config_selectorIjNS0_10empty_typeEEENS1_38merge_sort_block_merge_config_selectorIjSE_EEEEvv
	.p2align	8
	.type	_ZN7rocprim17ROCPRIM_400000_NS6detail44device_merge_sort_compile_time_verifier_archINS1_11comp_targetILNS1_3genE2ELNS1_11target_archE906ELNS1_3gpuE6ELNS1_3repE0EEES8_NS1_28merge_sort_block_sort_configILj256ELj4ELNS0_20block_sort_algorithmE0EEENS0_14default_configENS1_37merge_sort_block_sort_config_selectorIjNS0_10empty_typeEEENS1_38merge_sort_block_merge_config_selectorIjSE_EEEEvv,@function
_ZN7rocprim17ROCPRIM_400000_NS6detail44device_merge_sort_compile_time_verifier_archINS1_11comp_targetILNS1_3genE2ELNS1_11target_archE906ELNS1_3gpuE6ELNS1_3repE0EEES8_NS1_28merge_sort_block_sort_configILj256ELj4ELNS0_20block_sort_algorithmE0EEENS0_14default_configENS1_37merge_sort_block_sort_config_selectorIjNS0_10empty_typeEEENS1_38merge_sort_block_merge_config_selectorIjSE_EEEEvv: ; @_ZN7rocprim17ROCPRIM_400000_NS6detail44device_merge_sort_compile_time_verifier_archINS1_11comp_targetILNS1_3genE2ELNS1_11target_archE906ELNS1_3gpuE6ELNS1_3repE0EEES8_NS1_28merge_sort_block_sort_configILj256ELj4ELNS0_20block_sort_algorithmE0EEENS0_14default_configENS1_37merge_sort_block_sort_config_selectorIjNS0_10empty_typeEEENS1_38merge_sort_block_merge_config_selectorIjSE_EEEEvv
; %bb.0:
	s_endpgm
	.section	.rodata,"a",@progbits
	.p2align	6, 0x0
	.amdhsa_kernel _ZN7rocprim17ROCPRIM_400000_NS6detail44device_merge_sort_compile_time_verifier_archINS1_11comp_targetILNS1_3genE2ELNS1_11target_archE906ELNS1_3gpuE6ELNS1_3repE0EEES8_NS1_28merge_sort_block_sort_configILj256ELj4ELNS0_20block_sort_algorithmE0EEENS0_14default_configENS1_37merge_sort_block_sort_config_selectorIjNS0_10empty_typeEEENS1_38merge_sort_block_merge_config_selectorIjSE_EEEEvv
		.amdhsa_group_segment_fixed_size 0
		.amdhsa_private_segment_fixed_size 0
		.amdhsa_kernarg_size 0
		.amdhsa_user_sgpr_count 0
		.amdhsa_user_sgpr_dispatch_ptr 0
		.amdhsa_user_sgpr_queue_ptr 0
		.amdhsa_user_sgpr_kernarg_segment_ptr 0
		.amdhsa_user_sgpr_dispatch_id 0
		.amdhsa_user_sgpr_kernarg_preload_length 0
		.amdhsa_user_sgpr_kernarg_preload_offset 0
		.amdhsa_user_sgpr_private_segment_size 0
		.amdhsa_wavefront_size32 1
		.amdhsa_uses_dynamic_stack 0
		.amdhsa_enable_private_segment 0
		.amdhsa_system_sgpr_workgroup_id_x 1
		.amdhsa_system_sgpr_workgroup_id_y 0
		.amdhsa_system_sgpr_workgroup_id_z 0
		.amdhsa_system_sgpr_workgroup_info 0
		.amdhsa_system_vgpr_workitem_id 0
		.amdhsa_next_free_vgpr 1
		.amdhsa_next_free_sgpr 1
		.amdhsa_named_barrier_count 0
		.amdhsa_reserve_vcc 0
		.amdhsa_float_round_mode_32 0
		.amdhsa_float_round_mode_16_64 0
		.amdhsa_float_denorm_mode_32 3
		.amdhsa_float_denorm_mode_16_64 3
		.amdhsa_fp16_overflow 0
		.amdhsa_memory_ordered 1
		.amdhsa_forward_progress 1
		.amdhsa_inst_pref_size 1
		.amdhsa_round_robin_scheduling 0
		.amdhsa_exception_fp_ieee_invalid_op 0
		.amdhsa_exception_fp_denorm_src 0
		.amdhsa_exception_fp_ieee_div_zero 0
		.amdhsa_exception_fp_ieee_overflow 0
		.amdhsa_exception_fp_ieee_underflow 0
		.amdhsa_exception_fp_ieee_inexact 0
		.amdhsa_exception_int_div_zero 0
	.end_amdhsa_kernel
	.section	.text._ZN7rocprim17ROCPRIM_400000_NS6detail44device_merge_sort_compile_time_verifier_archINS1_11comp_targetILNS1_3genE2ELNS1_11target_archE906ELNS1_3gpuE6ELNS1_3repE0EEES8_NS1_28merge_sort_block_sort_configILj256ELj4ELNS0_20block_sort_algorithmE0EEENS0_14default_configENS1_37merge_sort_block_sort_config_selectorIjNS0_10empty_typeEEENS1_38merge_sort_block_merge_config_selectorIjSE_EEEEvv,"axG",@progbits,_ZN7rocprim17ROCPRIM_400000_NS6detail44device_merge_sort_compile_time_verifier_archINS1_11comp_targetILNS1_3genE2ELNS1_11target_archE906ELNS1_3gpuE6ELNS1_3repE0EEES8_NS1_28merge_sort_block_sort_configILj256ELj4ELNS0_20block_sort_algorithmE0EEENS0_14default_configENS1_37merge_sort_block_sort_config_selectorIjNS0_10empty_typeEEENS1_38merge_sort_block_merge_config_selectorIjSE_EEEEvv,comdat
.Lfunc_end2546:
	.size	_ZN7rocprim17ROCPRIM_400000_NS6detail44device_merge_sort_compile_time_verifier_archINS1_11comp_targetILNS1_3genE2ELNS1_11target_archE906ELNS1_3gpuE6ELNS1_3repE0EEES8_NS1_28merge_sort_block_sort_configILj256ELj4ELNS0_20block_sort_algorithmE0EEENS0_14default_configENS1_37merge_sort_block_sort_config_selectorIjNS0_10empty_typeEEENS1_38merge_sort_block_merge_config_selectorIjSE_EEEEvv, .Lfunc_end2546-_ZN7rocprim17ROCPRIM_400000_NS6detail44device_merge_sort_compile_time_verifier_archINS1_11comp_targetILNS1_3genE2ELNS1_11target_archE906ELNS1_3gpuE6ELNS1_3repE0EEES8_NS1_28merge_sort_block_sort_configILj256ELj4ELNS0_20block_sort_algorithmE0EEENS0_14default_configENS1_37merge_sort_block_sort_config_selectorIjNS0_10empty_typeEEENS1_38merge_sort_block_merge_config_selectorIjSE_EEEEvv
                                        ; -- End function
	.set _ZN7rocprim17ROCPRIM_400000_NS6detail44device_merge_sort_compile_time_verifier_archINS1_11comp_targetILNS1_3genE2ELNS1_11target_archE906ELNS1_3gpuE6ELNS1_3repE0EEES8_NS1_28merge_sort_block_sort_configILj256ELj4ELNS0_20block_sort_algorithmE0EEENS0_14default_configENS1_37merge_sort_block_sort_config_selectorIjNS0_10empty_typeEEENS1_38merge_sort_block_merge_config_selectorIjSE_EEEEvv.num_vgpr, 0
	.set _ZN7rocprim17ROCPRIM_400000_NS6detail44device_merge_sort_compile_time_verifier_archINS1_11comp_targetILNS1_3genE2ELNS1_11target_archE906ELNS1_3gpuE6ELNS1_3repE0EEES8_NS1_28merge_sort_block_sort_configILj256ELj4ELNS0_20block_sort_algorithmE0EEENS0_14default_configENS1_37merge_sort_block_sort_config_selectorIjNS0_10empty_typeEEENS1_38merge_sort_block_merge_config_selectorIjSE_EEEEvv.num_agpr, 0
	.set _ZN7rocprim17ROCPRIM_400000_NS6detail44device_merge_sort_compile_time_verifier_archINS1_11comp_targetILNS1_3genE2ELNS1_11target_archE906ELNS1_3gpuE6ELNS1_3repE0EEES8_NS1_28merge_sort_block_sort_configILj256ELj4ELNS0_20block_sort_algorithmE0EEENS0_14default_configENS1_37merge_sort_block_sort_config_selectorIjNS0_10empty_typeEEENS1_38merge_sort_block_merge_config_selectorIjSE_EEEEvv.numbered_sgpr, 0
	.set _ZN7rocprim17ROCPRIM_400000_NS6detail44device_merge_sort_compile_time_verifier_archINS1_11comp_targetILNS1_3genE2ELNS1_11target_archE906ELNS1_3gpuE6ELNS1_3repE0EEES8_NS1_28merge_sort_block_sort_configILj256ELj4ELNS0_20block_sort_algorithmE0EEENS0_14default_configENS1_37merge_sort_block_sort_config_selectorIjNS0_10empty_typeEEENS1_38merge_sort_block_merge_config_selectorIjSE_EEEEvv.num_named_barrier, 0
	.set _ZN7rocprim17ROCPRIM_400000_NS6detail44device_merge_sort_compile_time_verifier_archINS1_11comp_targetILNS1_3genE2ELNS1_11target_archE906ELNS1_3gpuE6ELNS1_3repE0EEES8_NS1_28merge_sort_block_sort_configILj256ELj4ELNS0_20block_sort_algorithmE0EEENS0_14default_configENS1_37merge_sort_block_sort_config_selectorIjNS0_10empty_typeEEENS1_38merge_sort_block_merge_config_selectorIjSE_EEEEvv.private_seg_size, 0
	.set _ZN7rocprim17ROCPRIM_400000_NS6detail44device_merge_sort_compile_time_verifier_archINS1_11comp_targetILNS1_3genE2ELNS1_11target_archE906ELNS1_3gpuE6ELNS1_3repE0EEES8_NS1_28merge_sort_block_sort_configILj256ELj4ELNS0_20block_sort_algorithmE0EEENS0_14default_configENS1_37merge_sort_block_sort_config_selectorIjNS0_10empty_typeEEENS1_38merge_sort_block_merge_config_selectorIjSE_EEEEvv.uses_vcc, 0
	.set _ZN7rocprim17ROCPRIM_400000_NS6detail44device_merge_sort_compile_time_verifier_archINS1_11comp_targetILNS1_3genE2ELNS1_11target_archE906ELNS1_3gpuE6ELNS1_3repE0EEES8_NS1_28merge_sort_block_sort_configILj256ELj4ELNS0_20block_sort_algorithmE0EEENS0_14default_configENS1_37merge_sort_block_sort_config_selectorIjNS0_10empty_typeEEENS1_38merge_sort_block_merge_config_selectorIjSE_EEEEvv.uses_flat_scratch, 0
	.set _ZN7rocprim17ROCPRIM_400000_NS6detail44device_merge_sort_compile_time_verifier_archINS1_11comp_targetILNS1_3genE2ELNS1_11target_archE906ELNS1_3gpuE6ELNS1_3repE0EEES8_NS1_28merge_sort_block_sort_configILj256ELj4ELNS0_20block_sort_algorithmE0EEENS0_14default_configENS1_37merge_sort_block_sort_config_selectorIjNS0_10empty_typeEEENS1_38merge_sort_block_merge_config_selectorIjSE_EEEEvv.has_dyn_sized_stack, 0
	.set _ZN7rocprim17ROCPRIM_400000_NS6detail44device_merge_sort_compile_time_verifier_archINS1_11comp_targetILNS1_3genE2ELNS1_11target_archE906ELNS1_3gpuE6ELNS1_3repE0EEES8_NS1_28merge_sort_block_sort_configILj256ELj4ELNS0_20block_sort_algorithmE0EEENS0_14default_configENS1_37merge_sort_block_sort_config_selectorIjNS0_10empty_typeEEENS1_38merge_sort_block_merge_config_selectorIjSE_EEEEvv.has_recursion, 0
	.set _ZN7rocprim17ROCPRIM_400000_NS6detail44device_merge_sort_compile_time_verifier_archINS1_11comp_targetILNS1_3genE2ELNS1_11target_archE906ELNS1_3gpuE6ELNS1_3repE0EEES8_NS1_28merge_sort_block_sort_configILj256ELj4ELNS0_20block_sort_algorithmE0EEENS0_14default_configENS1_37merge_sort_block_sort_config_selectorIjNS0_10empty_typeEEENS1_38merge_sort_block_merge_config_selectorIjSE_EEEEvv.has_indirect_call, 0
	.section	.AMDGPU.csdata,"",@progbits
; Kernel info:
; codeLenInByte = 4
; TotalNumSgprs: 0
; NumVgprs: 0
; ScratchSize: 0
; MemoryBound: 0
; FloatMode: 240
; IeeeMode: 1
; LDSByteSize: 0 bytes/workgroup (compile time only)
; SGPRBlocks: 0
; VGPRBlocks: 0
; NumSGPRsForWavesPerEU: 1
; NumVGPRsForWavesPerEU: 1
; NamedBarCnt: 0
; Occupancy: 16
; WaveLimiterHint : 0
; COMPUTE_PGM_RSRC2:SCRATCH_EN: 0
; COMPUTE_PGM_RSRC2:USER_SGPR: 0
; COMPUTE_PGM_RSRC2:TRAP_HANDLER: 0
; COMPUTE_PGM_RSRC2:TGID_X_EN: 1
; COMPUTE_PGM_RSRC2:TGID_Y_EN: 0
; COMPUTE_PGM_RSRC2:TGID_Z_EN: 0
; COMPUTE_PGM_RSRC2:TIDIG_COMP_CNT: 0
	.section	.text._ZN7rocprim17ROCPRIM_400000_NS6detail44device_merge_sort_compile_time_verifier_archINS1_11comp_targetILNS1_3genE10ELNS1_11target_archE1201ELNS1_3gpuE5ELNS1_3repE0EEES8_NS1_28merge_sort_block_sort_configILj256ELj4ELNS0_20block_sort_algorithmE0EEENS0_14default_configENS1_37merge_sort_block_sort_config_selectorIjNS0_10empty_typeEEENS1_38merge_sort_block_merge_config_selectorIjSE_EEEEvv,"axG",@progbits,_ZN7rocprim17ROCPRIM_400000_NS6detail44device_merge_sort_compile_time_verifier_archINS1_11comp_targetILNS1_3genE10ELNS1_11target_archE1201ELNS1_3gpuE5ELNS1_3repE0EEES8_NS1_28merge_sort_block_sort_configILj256ELj4ELNS0_20block_sort_algorithmE0EEENS0_14default_configENS1_37merge_sort_block_sort_config_selectorIjNS0_10empty_typeEEENS1_38merge_sort_block_merge_config_selectorIjSE_EEEEvv,comdat
	.protected	_ZN7rocprim17ROCPRIM_400000_NS6detail44device_merge_sort_compile_time_verifier_archINS1_11comp_targetILNS1_3genE10ELNS1_11target_archE1201ELNS1_3gpuE5ELNS1_3repE0EEES8_NS1_28merge_sort_block_sort_configILj256ELj4ELNS0_20block_sort_algorithmE0EEENS0_14default_configENS1_37merge_sort_block_sort_config_selectorIjNS0_10empty_typeEEENS1_38merge_sort_block_merge_config_selectorIjSE_EEEEvv ; -- Begin function _ZN7rocprim17ROCPRIM_400000_NS6detail44device_merge_sort_compile_time_verifier_archINS1_11comp_targetILNS1_3genE10ELNS1_11target_archE1201ELNS1_3gpuE5ELNS1_3repE0EEES8_NS1_28merge_sort_block_sort_configILj256ELj4ELNS0_20block_sort_algorithmE0EEENS0_14default_configENS1_37merge_sort_block_sort_config_selectorIjNS0_10empty_typeEEENS1_38merge_sort_block_merge_config_selectorIjSE_EEEEvv
	.globl	_ZN7rocprim17ROCPRIM_400000_NS6detail44device_merge_sort_compile_time_verifier_archINS1_11comp_targetILNS1_3genE10ELNS1_11target_archE1201ELNS1_3gpuE5ELNS1_3repE0EEES8_NS1_28merge_sort_block_sort_configILj256ELj4ELNS0_20block_sort_algorithmE0EEENS0_14default_configENS1_37merge_sort_block_sort_config_selectorIjNS0_10empty_typeEEENS1_38merge_sort_block_merge_config_selectorIjSE_EEEEvv
	.p2align	8
	.type	_ZN7rocprim17ROCPRIM_400000_NS6detail44device_merge_sort_compile_time_verifier_archINS1_11comp_targetILNS1_3genE10ELNS1_11target_archE1201ELNS1_3gpuE5ELNS1_3repE0EEES8_NS1_28merge_sort_block_sort_configILj256ELj4ELNS0_20block_sort_algorithmE0EEENS0_14default_configENS1_37merge_sort_block_sort_config_selectorIjNS0_10empty_typeEEENS1_38merge_sort_block_merge_config_selectorIjSE_EEEEvv,@function
_ZN7rocprim17ROCPRIM_400000_NS6detail44device_merge_sort_compile_time_verifier_archINS1_11comp_targetILNS1_3genE10ELNS1_11target_archE1201ELNS1_3gpuE5ELNS1_3repE0EEES8_NS1_28merge_sort_block_sort_configILj256ELj4ELNS0_20block_sort_algorithmE0EEENS0_14default_configENS1_37merge_sort_block_sort_config_selectorIjNS0_10empty_typeEEENS1_38merge_sort_block_merge_config_selectorIjSE_EEEEvv: ; @_ZN7rocprim17ROCPRIM_400000_NS6detail44device_merge_sort_compile_time_verifier_archINS1_11comp_targetILNS1_3genE10ELNS1_11target_archE1201ELNS1_3gpuE5ELNS1_3repE0EEES8_NS1_28merge_sort_block_sort_configILj256ELj4ELNS0_20block_sort_algorithmE0EEENS0_14default_configENS1_37merge_sort_block_sort_config_selectorIjNS0_10empty_typeEEENS1_38merge_sort_block_merge_config_selectorIjSE_EEEEvv
; %bb.0:
	s_endpgm
	.section	.rodata,"a",@progbits
	.p2align	6, 0x0
	.amdhsa_kernel _ZN7rocprim17ROCPRIM_400000_NS6detail44device_merge_sort_compile_time_verifier_archINS1_11comp_targetILNS1_3genE10ELNS1_11target_archE1201ELNS1_3gpuE5ELNS1_3repE0EEES8_NS1_28merge_sort_block_sort_configILj256ELj4ELNS0_20block_sort_algorithmE0EEENS0_14default_configENS1_37merge_sort_block_sort_config_selectorIjNS0_10empty_typeEEENS1_38merge_sort_block_merge_config_selectorIjSE_EEEEvv
		.amdhsa_group_segment_fixed_size 0
		.amdhsa_private_segment_fixed_size 0
		.amdhsa_kernarg_size 0
		.amdhsa_user_sgpr_count 0
		.amdhsa_user_sgpr_dispatch_ptr 0
		.amdhsa_user_sgpr_queue_ptr 0
		.amdhsa_user_sgpr_kernarg_segment_ptr 0
		.amdhsa_user_sgpr_dispatch_id 0
		.amdhsa_user_sgpr_kernarg_preload_length 0
		.amdhsa_user_sgpr_kernarg_preload_offset 0
		.amdhsa_user_sgpr_private_segment_size 0
		.amdhsa_wavefront_size32 1
		.amdhsa_uses_dynamic_stack 0
		.amdhsa_enable_private_segment 0
		.amdhsa_system_sgpr_workgroup_id_x 1
		.amdhsa_system_sgpr_workgroup_id_y 0
		.amdhsa_system_sgpr_workgroup_id_z 0
		.amdhsa_system_sgpr_workgroup_info 0
		.amdhsa_system_vgpr_workitem_id 0
		.amdhsa_next_free_vgpr 1
		.amdhsa_next_free_sgpr 1
		.amdhsa_named_barrier_count 0
		.amdhsa_reserve_vcc 0
		.amdhsa_float_round_mode_32 0
		.amdhsa_float_round_mode_16_64 0
		.amdhsa_float_denorm_mode_32 3
		.amdhsa_float_denorm_mode_16_64 3
		.amdhsa_fp16_overflow 0
		.amdhsa_memory_ordered 1
		.amdhsa_forward_progress 1
		.amdhsa_inst_pref_size 1
		.amdhsa_round_robin_scheduling 0
		.amdhsa_exception_fp_ieee_invalid_op 0
		.amdhsa_exception_fp_denorm_src 0
		.amdhsa_exception_fp_ieee_div_zero 0
		.amdhsa_exception_fp_ieee_overflow 0
		.amdhsa_exception_fp_ieee_underflow 0
		.amdhsa_exception_fp_ieee_inexact 0
		.amdhsa_exception_int_div_zero 0
	.end_amdhsa_kernel
	.section	.text._ZN7rocprim17ROCPRIM_400000_NS6detail44device_merge_sort_compile_time_verifier_archINS1_11comp_targetILNS1_3genE10ELNS1_11target_archE1201ELNS1_3gpuE5ELNS1_3repE0EEES8_NS1_28merge_sort_block_sort_configILj256ELj4ELNS0_20block_sort_algorithmE0EEENS0_14default_configENS1_37merge_sort_block_sort_config_selectorIjNS0_10empty_typeEEENS1_38merge_sort_block_merge_config_selectorIjSE_EEEEvv,"axG",@progbits,_ZN7rocprim17ROCPRIM_400000_NS6detail44device_merge_sort_compile_time_verifier_archINS1_11comp_targetILNS1_3genE10ELNS1_11target_archE1201ELNS1_3gpuE5ELNS1_3repE0EEES8_NS1_28merge_sort_block_sort_configILj256ELj4ELNS0_20block_sort_algorithmE0EEENS0_14default_configENS1_37merge_sort_block_sort_config_selectorIjNS0_10empty_typeEEENS1_38merge_sort_block_merge_config_selectorIjSE_EEEEvv,comdat
.Lfunc_end2547:
	.size	_ZN7rocprim17ROCPRIM_400000_NS6detail44device_merge_sort_compile_time_verifier_archINS1_11comp_targetILNS1_3genE10ELNS1_11target_archE1201ELNS1_3gpuE5ELNS1_3repE0EEES8_NS1_28merge_sort_block_sort_configILj256ELj4ELNS0_20block_sort_algorithmE0EEENS0_14default_configENS1_37merge_sort_block_sort_config_selectorIjNS0_10empty_typeEEENS1_38merge_sort_block_merge_config_selectorIjSE_EEEEvv, .Lfunc_end2547-_ZN7rocprim17ROCPRIM_400000_NS6detail44device_merge_sort_compile_time_verifier_archINS1_11comp_targetILNS1_3genE10ELNS1_11target_archE1201ELNS1_3gpuE5ELNS1_3repE0EEES8_NS1_28merge_sort_block_sort_configILj256ELj4ELNS0_20block_sort_algorithmE0EEENS0_14default_configENS1_37merge_sort_block_sort_config_selectorIjNS0_10empty_typeEEENS1_38merge_sort_block_merge_config_selectorIjSE_EEEEvv
                                        ; -- End function
	.set _ZN7rocprim17ROCPRIM_400000_NS6detail44device_merge_sort_compile_time_verifier_archINS1_11comp_targetILNS1_3genE10ELNS1_11target_archE1201ELNS1_3gpuE5ELNS1_3repE0EEES8_NS1_28merge_sort_block_sort_configILj256ELj4ELNS0_20block_sort_algorithmE0EEENS0_14default_configENS1_37merge_sort_block_sort_config_selectorIjNS0_10empty_typeEEENS1_38merge_sort_block_merge_config_selectorIjSE_EEEEvv.num_vgpr, 0
	.set _ZN7rocprim17ROCPRIM_400000_NS6detail44device_merge_sort_compile_time_verifier_archINS1_11comp_targetILNS1_3genE10ELNS1_11target_archE1201ELNS1_3gpuE5ELNS1_3repE0EEES8_NS1_28merge_sort_block_sort_configILj256ELj4ELNS0_20block_sort_algorithmE0EEENS0_14default_configENS1_37merge_sort_block_sort_config_selectorIjNS0_10empty_typeEEENS1_38merge_sort_block_merge_config_selectorIjSE_EEEEvv.num_agpr, 0
	.set _ZN7rocprim17ROCPRIM_400000_NS6detail44device_merge_sort_compile_time_verifier_archINS1_11comp_targetILNS1_3genE10ELNS1_11target_archE1201ELNS1_3gpuE5ELNS1_3repE0EEES8_NS1_28merge_sort_block_sort_configILj256ELj4ELNS0_20block_sort_algorithmE0EEENS0_14default_configENS1_37merge_sort_block_sort_config_selectorIjNS0_10empty_typeEEENS1_38merge_sort_block_merge_config_selectorIjSE_EEEEvv.numbered_sgpr, 0
	.set _ZN7rocprim17ROCPRIM_400000_NS6detail44device_merge_sort_compile_time_verifier_archINS1_11comp_targetILNS1_3genE10ELNS1_11target_archE1201ELNS1_3gpuE5ELNS1_3repE0EEES8_NS1_28merge_sort_block_sort_configILj256ELj4ELNS0_20block_sort_algorithmE0EEENS0_14default_configENS1_37merge_sort_block_sort_config_selectorIjNS0_10empty_typeEEENS1_38merge_sort_block_merge_config_selectorIjSE_EEEEvv.num_named_barrier, 0
	.set _ZN7rocprim17ROCPRIM_400000_NS6detail44device_merge_sort_compile_time_verifier_archINS1_11comp_targetILNS1_3genE10ELNS1_11target_archE1201ELNS1_3gpuE5ELNS1_3repE0EEES8_NS1_28merge_sort_block_sort_configILj256ELj4ELNS0_20block_sort_algorithmE0EEENS0_14default_configENS1_37merge_sort_block_sort_config_selectorIjNS0_10empty_typeEEENS1_38merge_sort_block_merge_config_selectorIjSE_EEEEvv.private_seg_size, 0
	.set _ZN7rocprim17ROCPRIM_400000_NS6detail44device_merge_sort_compile_time_verifier_archINS1_11comp_targetILNS1_3genE10ELNS1_11target_archE1201ELNS1_3gpuE5ELNS1_3repE0EEES8_NS1_28merge_sort_block_sort_configILj256ELj4ELNS0_20block_sort_algorithmE0EEENS0_14default_configENS1_37merge_sort_block_sort_config_selectorIjNS0_10empty_typeEEENS1_38merge_sort_block_merge_config_selectorIjSE_EEEEvv.uses_vcc, 0
	.set _ZN7rocprim17ROCPRIM_400000_NS6detail44device_merge_sort_compile_time_verifier_archINS1_11comp_targetILNS1_3genE10ELNS1_11target_archE1201ELNS1_3gpuE5ELNS1_3repE0EEES8_NS1_28merge_sort_block_sort_configILj256ELj4ELNS0_20block_sort_algorithmE0EEENS0_14default_configENS1_37merge_sort_block_sort_config_selectorIjNS0_10empty_typeEEENS1_38merge_sort_block_merge_config_selectorIjSE_EEEEvv.uses_flat_scratch, 0
	.set _ZN7rocprim17ROCPRIM_400000_NS6detail44device_merge_sort_compile_time_verifier_archINS1_11comp_targetILNS1_3genE10ELNS1_11target_archE1201ELNS1_3gpuE5ELNS1_3repE0EEES8_NS1_28merge_sort_block_sort_configILj256ELj4ELNS0_20block_sort_algorithmE0EEENS0_14default_configENS1_37merge_sort_block_sort_config_selectorIjNS0_10empty_typeEEENS1_38merge_sort_block_merge_config_selectorIjSE_EEEEvv.has_dyn_sized_stack, 0
	.set _ZN7rocprim17ROCPRIM_400000_NS6detail44device_merge_sort_compile_time_verifier_archINS1_11comp_targetILNS1_3genE10ELNS1_11target_archE1201ELNS1_3gpuE5ELNS1_3repE0EEES8_NS1_28merge_sort_block_sort_configILj256ELj4ELNS0_20block_sort_algorithmE0EEENS0_14default_configENS1_37merge_sort_block_sort_config_selectorIjNS0_10empty_typeEEENS1_38merge_sort_block_merge_config_selectorIjSE_EEEEvv.has_recursion, 0
	.set _ZN7rocprim17ROCPRIM_400000_NS6detail44device_merge_sort_compile_time_verifier_archINS1_11comp_targetILNS1_3genE10ELNS1_11target_archE1201ELNS1_3gpuE5ELNS1_3repE0EEES8_NS1_28merge_sort_block_sort_configILj256ELj4ELNS0_20block_sort_algorithmE0EEENS0_14default_configENS1_37merge_sort_block_sort_config_selectorIjNS0_10empty_typeEEENS1_38merge_sort_block_merge_config_selectorIjSE_EEEEvv.has_indirect_call, 0
	.section	.AMDGPU.csdata,"",@progbits
; Kernel info:
; codeLenInByte = 4
; TotalNumSgprs: 0
; NumVgprs: 0
; ScratchSize: 0
; MemoryBound: 0
; FloatMode: 240
; IeeeMode: 1
; LDSByteSize: 0 bytes/workgroup (compile time only)
; SGPRBlocks: 0
; VGPRBlocks: 0
; NumSGPRsForWavesPerEU: 1
; NumVGPRsForWavesPerEU: 1
; NamedBarCnt: 0
; Occupancy: 16
; WaveLimiterHint : 0
; COMPUTE_PGM_RSRC2:SCRATCH_EN: 0
; COMPUTE_PGM_RSRC2:USER_SGPR: 0
; COMPUTE_PGM_RSRC2:TRAP_HANDLER: 0
; COMPUTE_PGM_RSRC2:TGID_X_EN: 1
; COMPUTE_PGM_RSRC2:TGID_Y_EN: 0
; COMPUTE_PGM_RSRC2:TGID_Z_EN: 0
; COMPUTE_PGM_RSRC2:TIDIG_COMP_CNT: 0
	.section	.text._ZN7rocprim17ROCPRIM_400000_NS6detail44device_merge_sort_compile_time_verifier_archINS1_11comp_targetILNS1_3genE10ELNS1_11target_archE1200ELNS1_3gpuE4ELNS1_3repE0EEENS3_ILS4_10ELS5_1201ELS6_5ELS7_0EEENS1_28merge_sort_block_sort_configILj256ELj4ELNS0_20block_sort_algorithmE0EEENS0_14default_configENS1_37merge_sort_block_sort_config_selectorIjNS0_10empty_typeEEENS1_38merge_sort_block_merge_config_selectorIjSF_EEEEvv,"axG",@progbits,_ZN7rocprim17ROCPRIM_400000_NS6detail44device_merge_sort_compile_time_verifier_archINS1_11comp_targetILNS1_3genE10ELNS1_11target_archE1200ELNS1_3gpuE4ELNS1_3repE0EEENS3_ILS4_10ELS5_1201ELS6_5ELS7_0EEENS1_28merge_sort_block_sort_configILj256ELj4ELNS0_20block_sort_algorithmE0EEENS0_14default_configENS1_37merge_sort_block_sort_config_selectorIjNS0_10empty_typeEEENS1_38merge_sort_block_merge_config_selectorIjSF_EEEEvv,comdat
	.protected	_ZN7rocprim17ROCPRIM_400000_NS6detail44device_merge_sort_compile_time_verifier_archINS1_11comp_targetILNS1_3genE10ELNS1_11target_archE1200ELNS1_3gpuE4ELNS1_3repE0EEENS3_ILS4_10ELS5_1201ELS6_5ELS7_0EEENS1_28merge_sort_block_sort_configILj256ELj4ELNS0_20block_sort_algorithmE0EEENS0_14default_configENS1_37merge_sort_block_sort_config_selectorIjNS0_10empty_typeEEENS1_38merge_sort_block_merge_config_selectorIjSF_EEEEvv ; -- Begin function _ZN7rocprim17ROCPRIM_400000_NS6detail44device_merge_sort_compile_time_verifier_archINS1_11comp_targetILNS1_3genE10ELNS1_11target_archE1200ELNS1_3gpuE4ELNS1_3repE0EEENS3_ILS4_10ELS5_1201ELS6_5ELS7_0EEENS1_28merge_sort_block_sort_configILj256ELj4ELNS0_20block_sort_algorithmE0EEENS0_14default_configENS1_37merge_sort_block_sort_config_selectorIjNS0_10empty_typeEEENS1_38merge_sort_block_merge_config_selectorIjSF_EEEEvv
	.globl	_ZN7rocprim17ROCPRIM_400000_NS6detail44device_merge_sort_compile_time_verifier_archINS1_11comp_targetILNS1_3genE10ELNS1_11target_archE1200ELNS1_3gpuE4ELNS1_3repE0EEENS3_ILS4_10ELS5_1201ELS6_5ELS7_0EEENS1_28merge_sort_block_sort_configILj256ELj4ELNS0_20block_sort_algorithmE0EEENS0_14default_configENS1_37merge_sort_block_sort_config_selectorIjNS0_10empty_typeEEENS1_38merge_sort_block_merge_config_selectorIjSF_EEEEvv
	.p2align	8
	.type	_ZN7rocprim17ROCPRIM_400000_NS6detail44device_merge_sort_compile_time_verifier_archINS1_11comp_targetILNS1_3genE10ELNS1_11target_archE1200ELNS1_3gpuE4ELNS1_3repE0EEENS3_ILS4_10ELS5_1201ELS6_5ELS7_0EEENS1_28merge_sort_block_sort_configILj256ELj4ELNS0_20block_sort_algorithmE0EEENS0_14default_configENS1_37merge_sort_block_sort_config_selectorIjNS0_10empty_typeEEENS1_38merge_sort_block_merge_config_selectorIjSF_EEEEvv,@function
_ZN7rocprim17ROCPRIM_400000_NS6detail44device_merge_sort_compile_time_verifier_archINS1_11comp_targetILNS1_3genE10ELNS1_11target_archE1200ELNS1_3gpuE4ELNS1_3repE0EEENS3_ILS4_10ELS5_1201ELS6_5ELS7_0EEENS1_28merge_sort_block_sort_configILj256ELj4ELNS0_20block_sort_algorithmE0EEENS0_14default_configENS1_37merge_sort_block_sort_config_selectorIjNS0_10empty_typeEEENS1_38merge_sort_block_merge_config_selectorIjSF_EEEEvv: ; @_ZN7rocprim17ROCPRIM_400000_NS6detail44device_merge_sort_compile_time_verifier_archINS1_11comp_targetILNS1_3genE10ELNS1_11target_archE1200ELNS1_3gpuE4ELNS1_3repE0EEENS3_ILS4_10ELS5_1201ELS6_5ELS7_0EEENS1_28merge_sort_block_sort_configILj256ELj4ELNS0_20block_sort_algorithmE0EEENS0_14default_configENS1_37merge_sort_block_sort_config_selectorIjNS0_10empty_typeEEENS1_38merge_sort_block_merge_config_selectorIjSF_EEEEvv
; %bb.0:
	s_endpgm
	.section	.rodata,"a",@progbits
	.p2align	6, 0x0
	.amdhsa_kernel _ZN7rocprim17ROCPRIM_400000_NS6detail44device_merge_sort_compile_time_verifier_archINS1_11comp_targetILNS1_3genE10ELNS1_11target_archE1200ELNS1_3gpuE4ELNS1_3repE0EEENS3_ILS4_10ELS5_1201ELS6_5ELS7_0EEENS1_28merge_sort_block_sort_configILj256ELj4ELNS0_20block_sort_algorithmE0EEENS0_14default_configENS1_37merge_sort_block_sort_config_selectorIjNS0_10empty_typeEEENS1_38merge_sort_block_merge_config_selectorIjSF_EEEEvv
		.amdhsa_group_segment_fixed_size 0
		.amdhsa_private_segment_fixed_size 0
		.amdhsa_kernarg_size 0
		.amdhsa_user_sgpr_count 0
		.amdhsa_user_sgpr_dispatch_ptr 0
		.amdhsa_user_sgpr_queue_ptr 0
		.amdhsa_user_sgpr_kernarg_segment_ptr 0
		.amdhsa_user_sgpr_dispatch_id 0
		.amdhsa_user_sgpr_kernarg_preload_length 0
		.amdhsa_user_sgpr_kernarg_preload_offset 0
		.amdhsa_user_sgpr_private_segment_size 0
		.amdhsa_wavefront_size32 1
		.amdhsa_uses_dynamic_stack 0
		.amdhsa_enable_private_segment 0
		.amdhsa_system_sgpr_workgroup_id_x 1
		.amdhsa_system_sgpr_workgroup_id_y 0
		.amdhsa_system_sgpr_workgroup_id_z 0
		.amdhsa_system_sgpr_workgroup_info 0
		.amdhsa_system_vgpr_workitem_id 0
		.amdhsa_next_free_vgpr 1
		.amdhsa_next_free_sgpr 1
		.amdhsa_named_barrier_count 0
		.amdhsa_reserve_vcc 0
		.amdhsa_float_round_mode_32 0
		.amdhsa_float_round_mode_16_64 0
		.amdhsa_float_denorm_mode_32 3
		.amdhsa_float_denorm_mode_16_64 3
		.amdhsa_fp16_overflow 0
		.amdhsa_memory_ordered 1
		.amdhsa_forward_progress 1
		.amdhsa_inst_pref_size 1
		.amdhsa_round_robin_scheduling 0
		.amdhsa_exception_fp_ieee_invalid_op 0
		.amdhsa_exception_fp_denorm_src 0
		.amdhsa_exception_fp_ieee_div_zero 0
		.amdhsa_exception_fp_ieee_overflow 0
		.amdhsa_exception_fp_ieee_underflow 0
		.amdhsa_exception_fp_ieee_inexact 0
		.amdhsa_exception_int_div_zero 0
	.end_amdhsa_kernel
	.section	.text._ZN7rocprim17ROCPRIM_400000_NS6detail44device_merge_sort_compile_time_verifier_archINS1_11comp_targetILNS1_3genE10ELNS1_11target_archE1200ELNS1_3gpuE4ELNS1_3repE0EEENS3_ILS4_10ELS5_1201ELS6_5ELS7_0EEENS1_28merge_sort_block_sort_configILj256ELj4ELNS0_20block_sort_algorithmE0EEENS0_14default_configENS1_37merge_sort_block_sort_config_selectorIjNS0_10empty_typeEEENS1_38merge_sort_block_merge_config_selectorIjSF_EEEEvv,"axG",@progbits,_ZN7rocprim17ROCPRIM_400000_NS6detail44device_merge_sort_compile_time_verifier_archINS1_11comp_targetILNS1_3genE10ELNS1_11target_archE1200ELNS1_3gpuE4ELNS1_3repE0EEENS3_ILS4_10ELS5_1201ELS6_5ELS7_0EEENS1_28merge_sort_block_sort_configILj256ELj4ELNS0_20block_sort_algorithmE0EEENS0_14default_configENS1_37merge_sort_block_sort_config_selectorIjNS0_10empty_typeEEENS1_38merge_sort_block_merge_config_selectorIjSF_EEEEvv,comdat
.Lfunc_end2548:
	.size	_ZN7rocprim17ROCPRIM_400000_NS6detail44device_merge_sort_compile_time_verifier_archINS1_11comp_targetILNS1_3genE10ELNS1_11target_archE1200ELNS1_3gpuE4ELNS1_3repE0EEENS3_ILS4_10ELS5_1201ELS6_5ELS7_0EEENS1_28merge_sort_block_sort_configILj256ELj4ELNS0_20block_sort_algorithmE0EEENS0_14default_configENS1_37merge_sort_block_sort_config_selectorIjNS0_10empty_typeEEENS1_38merge_sort_block_merge_config_selectorIjSF_EEEEvv, .Lfunc_end2548-_ZN7rocprim17ROCPRIM_400000_NS6detail44device_merge_sort_compile_time_verifier_archINS1_11comp_targetILNS1_3genE10ELNS1_11target_archE1200ELNS1_3gpuE4ELNS1_3repE0EEENS3_ILS4_10ELS5_1201ELS6_5ELS7_0EEENS1_28merge_sort_block_sort_configILj256ELj4ELNS0_20block_sort_algorithmE0EEENS0_14default_configENS1_37merge_sort_block_sort_config_selectorIjNS0_10empty_typeEEENS1_38merge_sort_block_merge_config_selectorIjSF_EEEEvv
                                        ; -- End function
	.set _ZN7rocprim17ROCPRIM_400000_NS6detail44device_merge_sort_compile_time_verifier_archINS1_11comp_targetILNS1_3genE10ELNS1_11target_archE1200ELNS1_3gpuE4ELNS1_3repE0EEENS3_ILS4_10ELS5_1201ELS6_5ELS7_0EEENS1_28merge_sort_block_sort_configILj256ELj4ELNS0_20block_sort_algorithmE0EEENS0_14default_configENS1_37merge_sort_block_sort_config_selectorIjNS0_10empty_typeEEENS1_38merge_sort_block_merge_config_selectorIjSF_EEEEvv.num_vgpr, 0
	.set _ZN7rocprim17ROCPRIM_400000_NS6detail44device_merge_sort_compile_time_verifier_archINS1_11comp_targetILNS1_3genE10ELNS1_11target_archE1200ELNS1_3gpuE4ELNS1_3repE0EEENS3_ILS4_10ELS5_1201ELS6_5ELS7_0EEENS1_28merge_sort_block_sort_configILj256ELj4ELNS0_20block_sort_algorithmE0EEENS0_14default_configENS1_37merge_sort_block_sort_config_selectorIjNS0_10empty_typeEEENS1_38merge_sort_block_merge_config_selectorIjSF_EEEEvv.num_agpr, 0
	.set _ZN7rocprim17ROCPRIM_400000_NS6detail44device_merge_sort_compile_time_verifier_archINS1_11comp_targetILNS1_3genE10ELNS1_11target_archE1200ELNS1_3gpuE4ELNS1_3repE0EEENS3_ILS4_10ELS5_1201ELS6_5ELS7_0EEENS1_28merge_sort_block_sort_configILj256ELj4ELNS0_20block_sort_algorithmE0EEENS0_14default_configENS1_37merge_sort_block_sort_config_selectorIjNS0_10empty_typeEEENS1_38merge_sort_block_merge_config_selectorIjSF_EEEEvv.numbered_sgpr, 0
	.set _ZN7rocprim17ROCPRIM_400000_NS6detail44device_merge_sort_compile_time_verifier_archINS1_11comp_targetILNS1_3genE10ELNS1_11target_archE1200ELNS1_3gpuE4ELNS1_3repE0EEENS3_ILS4_10ELS5_1201ELS6_5ELS7_0EEENS1_28merge_sort_block_sort_configILj256ELj4ELNS0_20block_sort_algorithmE0EEENS0_14default_configENS1_37merge_sort_block_sort_config_selectorIjNS0_10empty_typeEEENS1_38merge_sort_block_merge_config_selectorIjSF_EEEEvv.num_named_barrier, 0
	.set _ZN7rocprim17ROCPRIM_400000_NS6detail44device_merge_sort_compile_time_verifier_archINS1_11comp_targetILNS1_3genE10ELNS1_11target_archE1200ELNS1_3gpuE4ELNS1_3repE0EEENS3_ILS4_10ELS5_1201ELS6_5ELS7_0EEENS1_28merge_sort_block_sort_configILj256ELj4ELNS0_20block_sort_algorithmE0EEENS0_14default_configENS1_37merge_sort_block_sort_config_selectorIjNS0_10empty_typeEEENS1_38merge_sort_block_merge_config_selectorIjSF_EEEEvv.private_seg_size, 0
	.set _ZN7rocprim17ROCPRIM_400000_NS6detail44device_merge_sort_compile_time_verifier_archINS1_11comp_targetILNS1_3genE10ELNS1_11target_archE1200ELNS1_3gpuE4ELNS1_3repE0EEENS3_ILS4_10ELS5_1201ELS6_5ELS7_0EEENS1_28merge_sort_block_sort_configILj256ELj4ELNS0_20block_sort_algorithmE0EEENS0_14default_configENS1_37merge_sort_block_sort_config_selectorIjNS0_10empty_typeEEENS1_38merge_sort_block_merge_config_selectorIjSF_EEEEvv.uses_vcc, 0
	.set _ZN7rocprim17ROCPRIM_400000_NS6detail44device_merge_sort_compile_time_verifier_archINS1_11comp_targetILNS1_3genE10ELNS1_11target_archE1200ELNS1_3gpuE4ELNS1_3repE0EEENS3_ILS4_10ELS5_1201ELS6_5ELS7_0EEENS1_28merge_sort_block_sort_configILj256ELj4ELNS0_20block_sort_algorithmE0EEENS0_14default_configENS1_37merge_sort_block_sort_config_selectorIjNS0_10empty_typeEEENS1_38merge_sort_block_merge_config_selectorIjSF_EEEEvv.uses_flat_scratch, 0
	.set _ZN7rocprim17ROCPRIM_400000_NS6detail44device_merge_sort_compile_time_verifier_archINS1_11comp_targetILNS1_3genE10ELNS1_11target_archE1200ELNS1_3gpuE4ELNS1_3repE0EEENS3_ILS4_10ELS5_1201ELS6_5ELS7_0EEENS1_28merge_sort_block_sort_configILj256ELj4ELNS0_20block_sort_algorithmE0EEENS0_14default_configENS1_37merge_sort_block_sort_config_selectorIjNS0_10empty_typeEEENS1_38merge_sort_block_merge_config_selectorIjSF_EEEEvv.has_dyn_sized_stack, 0
	.set _ZN7rocprim17ROCPRIM_400000_NS6detail44device_merge_sort_compile_time_verifier_archINS1_11comp_targetILNS1_3genE10ELNS1_11target_archE1200ELNS1_3gpuE4ELNS1_3repE0EEENS3_ILS4_10ELS5_1201ELS6_5ELS7_0EEENS1_28merge_sort_block_sort_configILj256ELj4ELNS0_20block_sort_algorithmE0EEENS0_14default_configENS1_37merge_sort_block_sort_config_selectorIjNS0_10empty_typeEEENS1_38merge_sort_block_merge_config_selectorIjSF_EEEEvv.has_recursion, 0
	.set _ZN7rocprim17ROCPRIM_400000_NS6detail44device_merge_sort_compile_time_verifier_archINS1_11comp_targetILNS1_3genE10ELNS1_11target_archE1200ELNS1_3gpuE4ELNS1_3repE0EEENS3_ILS4_10ELS5_1201ELS6_5ELS7_0EEENS1_28merge_sort_block_sort_configILj256ELj4ELNS0_20block_sort_algorithmE0EEENS0_14default_configENS1_37merge_sort_block_sort_config_selectorIjNS0_10empty_typeEEENS1_38merge_sort_block_merge_config_selectorIjSF_EEEEvv.has_indirect_call, 0
	.section	.AMDGPU.csdata,"",@progbits
; Kernel info:
; codeLenInByte = 4
; TotalNumSgprs: 0
; NumVgprs: 0
; ScratchSize: 0
; MemoryBound: 0
; FloatMode: 240
; IeeeMode: 1
; LDSByteSize: 0 bytes/workgroup (compile time only)
; SGPRBlocks: 0
; VGPRBlocks: 0
; NumSGPRsForWavesPerEU: 1
; NumVGPRsForWavesPerEU: 1
; NamedBarCnt: 0
; Occupancy: 16
; WaveLimiterHint : 0
; COMPUTE_PGM_RSRC2:SCRATCH_EN: 0
; COMPUTE_PGM_RSRC2:USER_SGPR: 0
; COMPUTE_PGM_RSRC2:TRAP_HANDLER: 0
; COMPUTE_PGM_RSRC2:TGID_X_EN: 1
; COMPUTE_PGM_RSRC2:TGID_Y_EN: 0
; COMPUTE_PGM_RSRC2:TGID_Z_EN: 0
; COMPUTE_PGM_RSRC2:TIDIG_COMP_CNT: 0
	.section	.text._ZN7rocprim17ROCPRIM_400000_NS6detail44device_merge_sort_compile_time_verifier_archINS1_11comp_targetILNS1_3genE9ELNS1_11target_archE1100ELNS1_3gpuE3ELNS1_3repE0EEES8_NS1_28merge_sort_block_sort_configILj256ELj4ELNS0_20block_sort_algorithmE0EEENS0_14default_configENS1_37merge_sort_block_sort_config_selectorIjNS0_10empty_typeEEENS1_38merge_sort_block_merge_config_selectorIjSE_EEEEvv,"axG",@progbits,_ZN7rocprim17ROCPRIM_400000_NS6detail44device_merge_sort_compile_time_verifier_archINS1_11comp_targetILNS1_3genE9ELNS1_11target_archE1100ELNS1_3gpuE3ELNS1_3repE0EEES8_NS1_28merge_sort_block_sort_configILj256ELj4ELNS0_20block_sort_algorithmE0EEENS0_14default_configENS1_37merge_sort_block_sort_config_selectorIjNS0_10empty_typeEEENS1_38merge_sort_block_merge_config_selectorIjSE_EEEEvv,comdat
	.protected	_ZN7rocprim17ROCPRIM_400000_NS6detail44device_merge_sort_compile_time_verifier_archINS1_11comp_targetILNS1_3genE9ELNS1_11target_archE1100ELNS1_3gpuE3ELNS1_3repE0EEES8_NS1_28merge_sort_block_sort_configILj256ELj4ELNS0_20block_sort_algorithmE0EEENS0_14default_configENS1_37merge_sort_block_sort_config_selectorIjNS0_10empty_typeEEENS1_38merge_sort_block_merge_config_selectorIjSE_EEEEvv ; -- Begin function _ZN7rocprim17ROCPRIM_400000_NS6detail44device_merge_sort_compile_time_verifier_archINS1_11comp_targetILNS1_3genE9ELNS1_11target_archE1100ELNS1_3gpuE3ELNS1_3repE0EEES8_NS1_28merge_sort_block_sort_configILj256ELj4ELNS0_20block_sort_algorithmE0EEENS0_14default_configENS1_37merge_sort_block_sort_config_selectorIjNS0_10empty_typeEEENS1_38merge_sort_block_merge_config_selectorIjSE_EEEEvv
	.globl	_ZN7rocprim17ROCPRIM_400000_NS6detail44device_merge_sort_compile_time_verifier_archINS1_11comp_targetILNS1_3genE9ELNS1_11target_archE1100ELNS1_3gpuE3ELNS1_3repE0EEES8_NS1_28merge_sort_block_sort_configILj256ELj4ELNS0_20block_sort_algorithmE0EEENS0_14default_configENS1_37merge_sort_block_sort_config_selectorIjNS0_10empty_typeEEENS1_38merge_sort_block_merge_config_selectorIjSE_EEEEvv
	.p2align	8
	.type	_ZN7rocprim17ROCPRIM_400000_NS6detail44device_merge_sort_compile_time_verifier_archINS1_11comp_targetILNS1_3genE9ELNS1_11target_archE1100ELNS1_3gpuE3ELNS1_3repE0EEES8_NS1_28merge_sort_block_sort_configILj256ELj4ELNS0_20block_sort_algorithmE0EEENS0_14default_configENS1_37merge_sort_block_sort_config_selectorIjNS0_10empty_typeEEENS1_38merge_sort_block_merge_config_selectorIjSE_EEEEvv,@function
_ZN7rocprim17ROCPRIM_400000_NS6detail44device_merge_sort_compile_time_verifier_archINS1_11comp_targetILNS1_3genE9ELNS1_11target_archE1100ELNS1_3gpuE3ELNS1_3repE0EEES8_NS1_28merge_sort_block_sort_configILj256ELj4ELNS0_20block_sort_algorithmE0EEENS0_14default_configENS1_37merge_sort_block_sort_config_selectorIjNS0_10empty_typeEEENS1_38merge_sort_block_merge_config_selectorIjSE_EEEEvv: ; @_ZN7rocprim17ROCPRIM_400000_NS6detail44device_merge_sort_compile_time_verifier_archINS1_11comp_targetILNS1_3genE9ELNS1_11target_archE1100ELNS1_3gpuE3ELNS1_3repE0EEES8_NS1_28merge_sort_block_sort_configILj256ELj4ELNS0_20block_sort_algorithmE0EEENS0_14default_configENS1_37merge_sort_block_sort_config_selectorIjNS0_10empty_typeEEENS1_38merge_sort_block_merge_config_selectorIjSE_EEEEvv
; %bb.0:
	s_endpgm
	.section	.rodata,"a",@progbits
	.p2align	6, 0x0
	.amdhsa_kernel _ZN7rocprim17ROCPRIM_400000_NS6detail44device_merge_sort_compile_time_verifier_archINS1_11comp_targetILNS1_3genE9ELNS1_11target_archE1100ELNS1_3gpuE3ELNS1_3repE0EEES8_NS1_28merge_sort_block_sort_configILj256ELj4ELNS0_20block_sort_algorithmE0EEENS0_14default_configENS1_37merge_sort_block_sort_config_selectorIjNS0_10empty_typeEEENS1_38merge_sort_block_merge_config_selectorIjSE_EEEEvv
		.amdhsa_group_segment_fixed_size 0
		.amdhsa_private_segment_fixed_size 0
		.amdhsa_kernarg_size 0
		.amdhsa_user_sgpr_count 0
		.amdhsa_user_sgpr_dispatch_ptr 0
		.amdhsa_user_sgpr_queue_ptr 0
		.amdhsa_user_sgpr_kernarg_segment_ptr 0
		.amdhsa_user_sgpr_dispatch_id 0
		.amdhsa_user_sgpr_kernarg_preload_length 0
		.amdhsa_user_sgpr_kernarg_preload_offset 0
		.amdhsa_user_sgpr_private_segment_size 0
		.amdhsa_wavefront_size32 1
		.amdhsa_uses_dynamic_stack 0
		.amdhsa_enable_private_segment 0
		.amdhsa_system_sgpr_workgroup_id_x 1
		.amdhsa_system_sgpr_workgroup_id_y 0
		.amdhsa_system_sgpr_workgroup_id_z 0
		.amdhsa_system_sgpr_workgroup_info 0
		.amdhsa_system_vgpr_workitem_id 0
		.amdhsa_next_free_vgpr 1
		.amdhsa_next_free_sgpr 1
		.amdhsa_named_barrier_count 0
		.amdhsa_reserve_vcc 0
		.amdhsa_float_round_mode_32 0
		.amdhsa_float_round_mode_16_64 0
		.amdhsa_float_denorm_mode_32 3
		.amdhsa_float_denorm_mode_16_64 3
		.amdhsa_fp16_overflow 0
		.amdhsa_memory_ordered 1
		.amdhsa_forward_progress 1
		.amdhsa_inst_pref_size 1
		.amdhsa_round_robin_scheduling 0
		.amdhsa_exception_fp_ieee_invalid_op 0
		.amdhsa_exception_fp_denorm_src 0
		.amdhsa_exception_fp_ieee_div_zero 0
		.amdhsa_exception_fp_ieee_overflow 0
		.amdhsa_exception_fp_ieee_underflow 0
		.amdhsa_exception_fp_ieee_inexact 0
		.amdhsa_exception_int_div_zero 0
	.end_amdhsa_kernel
	.section	.text._ZN7rocprim17ROCPRIM_400000_NS6detail44device_merge_sort_compile_time_verifier_archINS1_11comp_targetILNS1_3genE9ELNS1_11target_archE1100ELNS1_3gpuE3ELNS1_3repE0EEES8_NS1_28merge_sort_block_sort_configILj256ELj4ELNS0_20block_sort_algorithmE0EEENS0_14default_configENS1_37merge_sort_block_sort_config_selectorIjNS0_10empty_typeEEENS1_38merge_sort_block_merge_config_selectorIjSE_EEEEvv,"axG",@progbits,_ZN7rocprim17ROCPRIM_400000_NS6detail44device_merge_sort_compile_time_verifier_archINS1_11comp_targetILNS1_3genE9ELNS1_11target_archE1100ELNS1_3gpuE3ELNS1_3repE0EEES8_NS1_28merge_sort_block_sort_configILj256ELj4ELNS0_20block_sort_algorithmE0EEENS0_14default_configENS1_37merge_sort_block_sort_config_selectorIjNS0_10empty_typeEEENS1_38merge_sort_block_merge_config_selectorIjSE_EEEEvv,comdat
.Lfunc_end2549:
	.size	_ZN7rocprim17ROCPRIM_400000_NS6detail44device_merge_sort_compile_time_verifier_archINS1_11comp_targetILNS1_3genE9ELNS1_11target_archE1100ELNS1_3gpuE3ELNS1_3repE0EEES8_NS1_28merge_sort_block_sort_configILj256ELj4ELNS0_20block_sort_algorithmE0EEENS0_14default_configENS1_37merge_sort_block_sort_config_selectorIjNS0_10empty_typeEEENS1_38merge_sort_block_merge_config_selectorIjSE_EEEEvv, .Lfunc_end2549-_ZN7rocprim17ROCPRIM_400000_NS6detail44device_merge_sort_compile_time_verifier_archINS1_11comp_targetILNS1_3genE9ELNS1_11target_archE1100ELNS1_3gpuE3ELNS1_3repE0EEES8_NS1_28merge_sort_block_sort_configILj256ELj4ELNS0_20block_sort_algorithmE0EEENS0_14default_configENS1_37merge_sort_block_sort_config_selectorIjNS0_10empty_typeEEENS1_38merge_sort_block_merge_config_selectorIjSE_EEEEvv
                                        ; -- End function
	.set _ZN7rocprim17ROCPRIM_400000_NS6detail44device_merge_sort_compile_time_verifier_archINS1_11comp_targetILNS1_3genE9ELNS1_11target_archE1100ELNS1_3gpuE3ELNS1_3repE0EEES8_NS1_28merge_sort_block_sort_configILj256ELj4ELNS0_20block_sort_algorithmE0EEENS0_14default_configENS1_37merge_sort_block_sort_config_selectorIjNS0_10empty_typeEEENS1_38merge_sort_block_merge_config_selectorIjSE_EEEEvv.num_vgpr, 0
	.set _ZN7rocprim17ROCPRIM_400000_NS6detail44device_merge_sort_compile_time_verifier_archINS1_11comp_targetILNS1_3genE9ELNS1_11target_archE1100ELNS1_3gpuE3ELNS1_3repE0EEES8_NS1_28merge_sort_block_sort_configILj256ELj4ELNS0_20block_sort_algorithmE0EEENS0_14default_configENS1_37merge_sort_block_sort_config_selectorIjNS0_10empty_typeEEENS1_38merge_sort_block_merge_config_selectorIjSE_EEEEvv.num_agpr, 0
	.set _ZN7rocprim17ROCPRIM_400000_NS6detail44device_merge_sort_compile_time_verifier_archINS1_11comp_targetILNS1_3genE9ELNS1_11target_archE1100ELNS1_3gpuE3ELNS1_3repE0EEES8_NS1_28merge_sort_block_sort_configILj256ELj4ELNS0_20block_sort_algorithmE0EEENS0_14default_configENS1_37merge_sort_block_sort_config_selectorIjNS0_10empty_typeEEENS1_38merge_sort_block_merge_config_selectorIjSE_EEEEvv.numbered_sgpr, 0
	.set _ZN7rocprim17ROCPRIM_400000_NS6detail44device_merge_sort_compile_time_verifier_archINS1_11comp_targetILNS1_3genE9ELNS1_11target_archE1100ELNS1_3gpuE3ELNS1_3repE0EEES8_NS1_28merge_sort_block_sort_configILj256ELj4ELNS0_20block_sort_algorithmE0EEENS0_14default_configENS1_37merge_sort_block_sort_config_selectorIjNS0_10empty_typeEEENS1_38merge_sort_block_merge_config_selectorIjSE_EEEEvv.num_named_barrier, 0
	.set _ZN7rocprim17ROCPRIM_400000_NS6detail44device_merge_sort_compile_time_verifier_archINS1_11comp_targetILNS1_3genE9ELNS1_11target_archE1100ELNS1_3gpuE3ELNS1_3repE0EEES8_NS1_28merge_sort_block_sort_configILj256ELj4ELNS0_20block_sort_algorithmE0EEENS0_14default_configENS1_37merge_sort_block_sort_config_selectorIjNS0_10empty_typeEEENS1_38merge_sort_block_merge_config_selectorIjSE_EEEEvv.private_seg_size, 0
	.set _ZN7rocprim17ROCPRIM_400000_NS6detail44device_merge_sort_compile_time_verifier_archINS1_11comp_targetILNS1_3genE9ELNS1_11target_archE1100ELNS1_3gpuE3ELNS1_3repE0EEES8_NS1_28merge_sort_block_sort_configILj256ELj4ELNS0_20block_sort_algorithmE0EEENS0_14default_configENS1_37merge_sort_block_sort_config_selectorIjNS0_10empty_typeEEENS1_38merge_sort_block_merge_config_selectorIjSE_EEEEvv.uses_vcc, 0
	.set _ZN7rocprim17ROCPRIM_400000_NS6detail44device_merge_sort_compile_time_verifier_archINS1_11comp_targetILNS1_3genE9ELNS1_11target_archE1100ELNS1_3gpuE3ELNS1_3repE0EEES8_NS1_28merge_sort_block_sort_configILj256ELj4ELNS0_20block_sort_algorithmE0EEENS0_14default_configENS1_37merge_sort_block_sort_config_selectorIjNS0_10empty_typeEEENS1_38merge_sort_block_merge_config_selectorIjSE_EEEEvv.uses_flat_scratch, 0
	.set _ZN7rocprim17ROCPRIM_400000_NS6detail44device_merge_sort_compile_time_verifier_archINS1_11comp_targetILNS1_3genE9ELNS1_11target_archE1100ELNS1_3gpuE3ELNS1_3repE0EEES8_NS1_28merge_sort_block_sort_configILj256ELj4ELNS0_20block_sort_algorithmE0EEENS0_14default_configENS1_37merge_sort_block_sort_config_selectorIjNS0_10empty_typeEEENS1_38merge_sort_block_merge_config_selectorIjSE_EEEEvv.has_dyn_sized_stack, 0
	.set _ZN7rocprim17ROCPRIM_400000_NS6detail44device_merge_sort_compile_time_verifier_archINS1_11comp_targetILNS1_3genE9ELNS1_11target_archE1100ELNS1_3gpuE3ELNS1_3repE0EEES8_NS1_28merge_sort_block_sort_configILj256ELj4ELNS0_20block_sort_algorithmE0EEENS0_14default_configENS1_37merge_sort_block_sort_config_selectorIjNS0_10empty_typeEEENS1_38merge_sort_block_merge_config_selectorIjSE_EEEEvv.has_recursion, 0
	.set _ZN7rocprim17ROCPRIM_400000_NS6detail44device_merge_sort_compile_time_verifier_archINS1_11comp_targetILNS1_3genE9ELNS1_11target_archE1100ELNS1_3gpuE3ELNS1_3repE0EEES8_NS1_28merge_sort_block_sort_configILj256ELj4ELNS0_20block_sort_algorithmE0EEENS0_14default_configENS1_37merge_sort_block_sort_config_selectorIjNS0_10empty_typeEEENS1_38merge_sort_block_merge_config_selectorIjSE_EEEEvv.has_indirect_call, 0
	.section	.AMDGPU.csdata,"",@progbits
; Kernel info:
; codeLenInByte = 4
; TotalNumSgprs: 0
; NumVgprs: 0
; ScratchSize: 0
; MemoryBound: 0
; FloatMode: 240
; IeeeMode: 1
; LDSByteSize: 0 bytes/workgroup (compile time only)
; SGPRBlocks: 0
; VGPRBlocks: 0
; NumSGPRsForWavesPerEU: 1
; NumVGPRsForWavesPerEU: 1
; NamedBarCnt: 0
; Occupancy: 16
; WaveLimiterHint : 0
; COMPUTE_PGM_RSRC2:SCRATCH_EN: 0
; COMPUTE_PGM_RSRC2:USER_SGPR: 0
; COMPUTE_PGM_RSRC2:TRAP_HANDLER: 0
; COMPUTE_PGM_RSRC2:TGID_X_EN: 1
; COMPUTE_PGM_RSRC2:TGID_Y_EN: 0
; COMPUTE_PGM_RSRC2:TGID_Z_EN: 0
; COMPUTE_PGM_RSRC2:TIDIG_COMP_CNT: 0
	.section	.text._ZN7rocprim17ROCPRIM_400000_NS6detail44device_merge_sort_compile_time_verifier_archINS1_11comp_targetILNS1_3genE8ELNS1_11target_archE1030ELNS1_3gpuE2ELNS1_3repE0EEES8_NS1_28merge_sort_block_sort_configILj256ELj4ELNS0_20block_sort_algorithmE0EEENS0_14default_configENS1_37merge_sort_block_sort_config_selectorIjNS0_10empty_typeEEENS1_38merge_sort_block_merge_config_selectorIjSE_EEEEvv,"axG",@progbits,_ZN7rocprim17ROCPRIM_400000_NS6detail44device_merge_sort_compile_time_verifier_archINS1_11comp_targetILNS1_3genE8ELNS1_11target_archE1030ELNS1_3gpuE2ELNS1_3repE0EEES8_NS1_28merge_sort_block_sort_configILj256ELj4ELNS0_20block_sort_algorithmE0EEENS0_14default_configENS1_37merge_sort_block_sort_config_selectorIjNS0_10empty_typeEEENS1_38merge_sort_block_merge_config_selectorIjSE_EEEEvv,comdat
	.protected	_ZN7rocprim17ROCPRIM_400000_NS6detail44device_merge_sort_compile_time_verifier_archINS1_11comp_targetILNS1_3genE8ELNS1_11target_archE1030ELNS1_3gpuE2ELNS1_3repE0EEES8_NS1_28merge_sort_block_sort_configILj256ELj4ELNS0_20block_sort_algorithmE0EEENS0_14default_configENS1_37merge_sort_block_sort_config_selectorIjNS0_10empty_typeEEENS1_38merge_sort_block_merge_config_selectorIjSE_EEEEvv ; -- Begin function _ZN7rocprim17ROCPRIM_400000_NS6detail44device_merge_sort_compile_time_verifier_archINS1_11comp_targetILNS1_3genE8ELNS1_11target_archE1030ELNS1_3gpuE2ELNS1_3repE0EEES8_NS1_28merge_sort_block_sort_configILj256ELj4ELNS0_20block_sort_algorithmE0EEENS0_14default_configENS1_37merge_sort_block_sort_config_selectorIjNS0_10empty_typeEEENS1_38merge_sort_block_merge_config_selectorIjSE_EEEEvv
	.globl	_ZN7rocprim17ROCPRIM_400000_NS6detail44device_merge_sort_compile_time_verifier_archINS1_11comp_targetILNS1_3genE8ELNS1_11target_archE1030ELNS1_3gpuE2ELNS1_3repE0EEES8_NS1_28merge_sort_block_sort_configILj256ELj4ELNS0_20block_sort_algorithmE0EEENS0_14default_configENS1_37merge_sort_block_sort_config_selectorIjNS0_10empty_typeEEENS1_38merge_sort_block_merge_config_selectorIjSE_EEEEvv
	.p2align	8
	.type	_ZN7rocprim17ROCPRIM_400000_NS6detail44device_merge_sort_compile_time_verifier_archINS1_11comp_targetILNS1_3genE8ELNS1_11target_archE1030ELNS1_3gpuE2ELNS1_3repE0EEES8_NS1_28merge_sort_block_sort_configILj256ELj4ELNS0_20block_sort_algorithmE0EEENS0_14default_configENS1_37merge_sort_block_sort_config_selectorIjNS0_10empty_typeEEENS1_38merge_sort_block_merge_config_selectorIjSE_EEEEvv,@function
_ZN7rocprim17ROCPRIM_400000_NS6detail44device_merge_sort_compile_time_verifier_archINS1_11comp_targetILNS1_3genE8ELNS1_11target_archE1030ELNS1_3gpuE2ELNS1_3repE0EEES8_NS1_28merge_sort_block_sort_configILj256ELj4ELNS0_20block_sort_algorithmE0EEENS0_14default_configENS1_37merge_sort_block_sort_config_selectorIjNS0_10empty_typeEEENS1_38merge_sort_block_merge_config_selectorIjSE_EEEEvv: ; @_ZN7rocprim17ROCPRIM_400000_NS6detail44device_merge_sort_compile_time_verifier_archINS1_11comp_targetILNS1_3genE8ELNS1_11target_archE1030ELNS1_3gpuE2ELNS1_3repE0EEES8_NS1_28merge_sort_block_sort_configILj256ELj4ELNS0_20block_sort_algorithmE0EEENS0_14default_configENS1_37merge_sort_block_sort_config_selectorIjNS0_10empty_typeEEENS1_38merge_sort_block_merge_config_selectorIjSE_EEEEvv
; %bb.0:
	s_endpgm
	.section	.rodata,"a",@progbits
	.p2align	6, 0x0
	.amdhsa_kernel _ZN7rocprim17ROCPRIM_400000_NS6detail44device_merge_sort_compile_time_verifier_archINS1_11comp_targetILNS1_3genE8ELNS1_11target_archE1030ELNS1_3gpuE2ELNS1_3repE0EEES8_NS1_28merge_sort_block_sort_configILj256ELj4ELNS0_20block_sort_algorithmE0EEENS0_14default_configENS1_37merge_sort_block_sort_config_selectorIjNS0_10empty_typeEEENS1_38merge_sort_block_merge_config_selectorIjSE_EEEEvv
		.amdhsa_group_segment_fixed_size 0
		.amdhsa_private_segment_fixed_size 0
		.amdhsa_kernarg_size 0
		.amdhsa_user_sgpr_count 0
		.amdhsa_user_sgpr_dispatch_ptr 0
		.amdhsa_user_sgpr_queue_ptr 0
		.amdhsa_user_sgpr_kernarg_segment_ptr 0
		.amdhsa_user_sgpr_dispatch_id 0
		.amdhsa_user_sgpr_kernarg_preload_length 0
		.amdhsa_user_sgpr_kernarg_preload_offset 0
		.amdhsa_user_sgpr_private_segment_size 0
		.amdhsa_wavefront_size32 1
		.amdhsa_uses_dynamic_stack 0
		.amdhsa_enable_private_segment 0
		.amdhsa_system_sgpr_workgroup_id_x 1
		.amdhsa_system_sgpr_workgroup_id_y 0
		.amdhsa_system_sgpr_workgroup_id_z 0
		.amdhsa_system_sgpr_workgroup_info 0
		.amdhsa_system_vgpr_workitem_id 0
		.amdhsa_next_free_vgpr 1
		.amdhsa_next_free_sgpr 1
		.amdhsa_named_barrier_count 0
		.amdhsa_reserve_vcc 0
		.amdhsa_float_round_mode_32 0
		.amdhsa_float_round_mode_16_64 0
		.amdhsa_float_denorm_mode_32 3
		.amdhsa_float_denorm_mode_16_64 3
		.amdhsa_fp16_overflow 0
		.amdhsa_memory_ordered 1
		.amdhsa_forward_progress 1
		.amdhsa_inst_pref_size 1
		.amdhsa_round_robin_scheduling 0
		.amdhsa_exception_fp_ieee_invalid_op 0
		.amdhsa_exception_fp_denorm_src 0
		.amdhsa_exception_fp_ieee_div_zero 0
		.amdhsa_exception_fp_ieee_overflow 0
		.amdhsa_exception_fp_ieee_underflow 0
		.amdhsa_exception_fp_ieee_inexact 0
		.amdhsa_exception_int_div_zero 0
	.end_amdhsa_kernel
	.section	.text._ZN7rocprim17ROCPRIM_400000_NS6detail44device_merge_sort_compile_time_verifier_archINS1_11comp_targetILNS1_3genE8ELNS1_11target_archE1030ELNS1_3gpuE2ELNS1_3repE0EEES8_NS1_28merge_sort_block_sort_configILj256ELj4ELNS0_20block_sort_algorithmE0EEENS0_14default_configENS1_37merge_sort_block_sort_config_selectorIjNS0_10empty_typeEEENS1_38merge_sort_block_merge_config_selectorIjSE_EEEEvv,"axG",@progbits,_ZN7rocprim17ROCPRIM_400000_NS6detail44device_merge_sort_compile_time_verifier_archINS1_11comp_targetILNS1_3genE8ELNS1_11target_archE1030ELNS1_3gpuE2ELNS1_3repE0EEES8_NS1_28merge_sort_block_sort_configILj256ELj4ELNS0_20block_sort_algorithmE0EEENS0_14default_configENS1_37merge_sort_block_sort_config_selectorIjNS0_10empty_typeEEENS1_38merge_sort_block_merge_config_selectorIjSE_EEEEvv,comdat
.Lfunc_end2550:
	.size	_ZN7rocprim17ROCPRIM_400000_NS6detail44device_merge_sort_compile_time_verifier_archINS1_11comp_targetILNS1_3genE8ELNS1_11target_archE1030ELNS1_3gpuE2ELNS1_3repE0EEES8_NS1_28merge_sort_block_sort_configILj256ELj4ELNS0_20block_sort_algorithmE0EEENS0_14default_configENS1_37merge_sort_block_sort_config_selectorIjNS0_10empty_typeEEENS1_38merge_sort_block_merge_config_selectorIjSE_EEEEvv, .Lfunc_end2550-_ZN7rocprim17ROCPRIM_400000_NS6detail44device_merge_sort_compile_time_verifier_archINS1_11comp_targetILNS1_3genE8ELNS1_11target_archE1030ELNS1_3gpuE2ELNS1_3repE0EEES8_NS1_28merge_sort_block_sort_configILj256ELj4ELNS0_20block_sort_algorithmE0EEENS0_14default_configENS1_37merge_sort_block_sort_config_selectorIjNS0_10empty_typeEEENS1_38merge_sort_block_merge_config_selectorIjSE_EEEEvv
                                        ; -- End function
	.set _ZN7rocprim17ROCPRIM_400000_NS6detail44device_merge_sort_compile_time_verifier_archINS1_11comp_targetILNS1_3genE8ELNS1_11target_archE1030ELNS1_3gpuE2ELNS1_3repE0EEES8_NS1_28merge_sort_block_sort_configILj256ELj4ELNS0_20block_sort_algorithmE0EEENS0_14default_configENS1_37merge_sort_block_sort_config_selectorIjNS0_10empty_typeEEENS1_38merge_sort_block_merge_config_selectorIjSE_EEEEvv.num_vgpr, 0
	.set _ZN7rocprim17ROCPRIM_400000_NS6detail44device_merge_sort_compile_time_verifier_archINS1_11comp_targetILNS1_3genE8ELNS1_11target_archE1030ELNS1_3gpuE2ELNS1_3repE0EEES8_NS1_28merge_sort_block_sort_configILj256ELj4ELNS0_20block_sort_algorithmE0EEENS0_14default_configENS1_37merge_sort_block_sort_config_selectorIjNS0_10empty_typeEEENS1_38merge_sort_block_merge_config_selectorIjSE_EEEEvv.num_agpr, 0
	.set _ZN7rocprim17ROCPRIM_400000_NS6detail44device_merge_sort_compile_time_verifier_archINS1_11comp_targetILNS1_3genE8ELNS1_11target_archE1030ELNS1_3gpuE2ELNS1_3repE0EEES8_NS1_28merge_sort_block_sort_configILj256ELj4ELNS0_20block_sort_algorithmE0EEENS0_14default_configENS1_37merge_sort_block_sort_config_selectorIjNS0_10empty_typeEEENS1_38merge_sort_block_merge_config_selectorIjSE_EEEEvv.numbered_sgpr, 0
	.set _ZN7rocprim17ROCPRIM_400000_NS6detail44device_merge_sort_compile_time_verifier_archINS1_11comp_targetILNS1_3genE8ELNS1_11target_archE1030ELNS1_3gpuE2ELNS1_3repE0EEES8_NS1_28merge_sort_block_sort_configILj256ELj4ELNS0_20block_sort_algorithmE0EEENS0_14default_configENS1_37merge_sort_block_sort_config_selectorIjNS0_10empty_typeEEENS1_38merge_sort_block_merge_config_selectorIjSE_EEEEvv.num_named_barrier, 0
	.set _ZN7rocprim17ROCPRIM_400000_NS6detail44device_merge_sort_compile_time_verifier_archINS1_11comp_targetILNS1_3genE8ELNS1_11target_archE1030ELNS1_3gpuE2ELNS1_3repE0EEES8_NS1_28merge_sort_block_sort_configILj256ELj4ELNS0_20block_sort_algorithmE0EEENS0_14default_configENS1_37merge_sort_block_sort_config_selectorIjNS0_10empty_typeEEENS1_38merge_sort_block_merge_config_selectorIjSE_EEEEvv.private_seg_size, 0
	.set _ZN7rocprim17ROCPRIM_400000_NS6detail44device_merge_sort_compile_time_verifier_archINS1_11comp_targetILNS1_3genE8ELNS1_11target_archE1030ELNS1_3gpuE2ELNS1_3repE0EEES8_NS1_28merge_sort_block_sort_configILj256ELj4ELNS0_20block_sort_algorithmE0EEENS0_14default_configENS1_37merge_sort_block_sort_config_selectorIjNS0_10empty_typeEEENS1_38merge_sort_block_merge_config_selectorIjSE_EEEEvv.uses_vcc, 0
	.set _ZN7rocprim17ROCPRIM_400000_NS6detail44device_merge_sort_compile_time_verifier_archINS1_11comp_targetILNS1_3genE8ELNS1_11target_archE1030ELNS1_3gpuE2ELNS1_3repE0EEES8_NS1_28merge_sort_block_sort_configILj256ELj4ELNS0_20block_sort_algorithmE0EEENS0_14default_configENS1_37merge_sort_block_sort_config_selectorIjNS0_10empty_typeEEENS1_38merge_sort_block_merge_config_selectorIjSE_EEEEvv.uses_flat_scratch, 0
	.set _ZN7rocprim17ROCPRIM_400000_NS6detail44device_merge_sort_compile_time_verifier_archINS1_11comp_targetILNS1_3genE8ELNS1_11target_archE1030ELNS1_3gpuE2ELNS1_3repE0EEES8_NS1_28merge_sort_block_sort_configILj256ELj4ELNS0_20block_sort_algorithmE0EEENS0_14default_configENS1_37merge_sort_block_sort_config_selectorIjNS0_10empty_typeEEENS1_38merge_sort_block_merge_config_selectorIjSE_EEEEvv.has_dyn_sized_stack, 0
	.set _ZN7rocprim17ROCPRIM_400000_NS6detail44device_merge_sort_compile_time_verifier_archINS1_11comp_targetILNS1_3genE8ELNS1_11target_archE1030ELNS1_3gpuE2ELNS1_3repE0EEES8_NS1_28merge_sort_block_sort_configILj256ELj4ELNS0_20block_sort_algorithmE0EEENS0_14default_configENS1_37merge_sort_block_sort_config_selectorIjNS0_10empty_typeEEENS1_38merge_sort_block_merge_config_selectorIjSE_EEEEvv.has_recursion, 0
	.set _ZN7rocprim17ROCPRIM_400000_NS6detail44device_merge_sort_compile_time_verifier_archINS1_11comp_targetILNS1_3genE8ELNS1_11target_archE1030ELNS1_3gpuE2ELNS1_3repE0EEES8_NS1_28merge_sort_block_sort_configILj256ELj4ELNS0_20block_sort_algorithmE0EEENS0_14default_configENS1_37merge_sort_block_sort_config_selectorIjNS0_10empty_typeEEENS1_38merge_sort_block_merge_config_selectorIjSE_EEEEvv.has_indirect_call, 0
	.section	.AMDGPU.csdata,"",@progbits
; Kernel info:
; codeLenInByte = 4
; TotalNumSgprs: 0
; NumVgprs: 0
; ScratchSize: 0
; MemoryBound: 0
; FloatMode: 240
; IeeeMode: 1
; LDSByteSize: 0 bytes/workgroup (compile time only)
; SGPRBlocks: 0
; VGPRBlocks: 0
; NumSGPRsForWavesPerEU: 1
; NumVGPRsForWavesPerEU: 1
; NamedBarCnt: 0
; Occupancy: 16
; WaveLimiterHint : 0
; COMPUTE_PGM_RSRC2:SCRATCH_EN: 0
; COMPUTE_PGM_RSRC2:USER_SGPR: 0
; COMPUTE_PGM_RSRC2:TRAP_HANDLER: 0
; COMPUTE_PGM_RSRC2:TGID_X_EN: 1
; COMPUTE_PGM_RSRC2:TGID_Y_EN: 0
; COMPUTE_PGM_RSRC2:TGID_Z_EN: 0
; COMPUTE_PGM_RSRC2:TIDIG_COMP_CNT: 0
	.section	.text._ZN7rocprim17ROCPRIM_400000_NS6detail17trampoline_kernelINS0_14default_configENS1_38merge_sort_block_merge_config_selectorIjNS0_10empty_typeEEEZZNS1_27merge_sort_block_merge_implIS3_PjPS5_jNS1_19radix_merge_compareILb1ELb0EjNS0_19identity_decomposerEEEEE10hipError_tT0_T1_T2_jT3_P12ihipStream_tbPNSt15iterator_traitsISE_E10value_typeEPNSK_ISF_E10value_typeEPSG_NS1_7vsmem_tEENKUlT_SE_SF_SG_E_clIS8_S8_S9_S9_EESD_ST_SE_SF_SG_EUlST_E_NS1_11comp_targetILNS1_3genE0ELNS1_11target_archE4294967295ELNS1_3gpuE0ELNS1_3repE0EEENS1_48merge_mergepath_partition_config_static_selectorELNS0_4arch9wavefront6targetE0EEEvSF_,"axG",@progbits,_ZN7rocprim17ROCPRIM_400000_NS6detail17trampoline_kernelINS0_14default_configENS1_38merge_sort_block_merge_config_selectorIjNS0_10empty_typeEEEZZNS1_27merge_sort_block_merge_implIS3_PjPS5_jNS1_19radix_merge_compareILb1ELb0EjNS0_19identity_decomposerEEEEE10hipError_tT0_T1_T2_jT3_P12ihipStream_tbPNSt15iterator_traitsISE_E10value_typeEPNSK_ISF_E10value_typeEPSG_NS1_7vsmem_tEENKUlT_SE_SF_SG_E_clIS8_S8_S9_S9_EESD_ST_SE_SF_SG_EUlST_E_NS1_11comp_targetILNS1_3genE0ELNS1_11target_archE4294967295ELNS1_3gpuE0ELNS1_3repE0EEENS1_48merge_mergepath_partition_config_static_selectorELNS0_4arch9wavefront6targetE0EEEvSF_,comdat
	.protected	_ZN7rocprim17ROCPRIM_400000_NS6detail17trampoline_kernelINS0_14default_configENS1_38merge_sort_block_merge_config_selectorIjNS0_10empty_typeEEEZZNS1_27merge_sort_block_merge_implIS3_PjPS5_jNS1_19radix_merge_compareILb1ELb0EjNS0_19identity_decomposerEEEEE10hipError_tT0_T1_T2_jT3_P12ihipStream_tbPNSt15iterator_traitsISE_E10value_typeEPNSK_ISF_E10value_typeEPSG_NS1_7vsmem_tEENKUlT_SE_SF_SG_E_clIS8_S8_S9_S9_EESD_ST_SE_SF_SG_EUlST_E_NS1_11comp_targetILNS1_3genE0ELNS1_11target_archE4294967295ELNS1_3gpuE0ELNS1_3repE0EEENS1_48merge_mergepath_partition_config_static_selectorELNS0_4arch9wavefront6targetE0EEEvSF_ ; -- Begin function _ZN7rocprim17ROCPRIM_400000_NS6detail17trampoline_kernelINS0_14default_configENS1_38merge_sort_block_merge_config_selectorIjNS0_10empty_typeEEEZZNS1_27merge_sort_block_merge_implIS3_PjPS5_jNS1_19radix_merge_compareILb1ELb0EjNS0_19identity_decomposerEEEEE10hipError_tT0_T1_T2_jT3_P12ihipStream_tbPNSt15iterator_traitsISE_E10value_typeEPNSK_ISF_E10value_typeEPSG_NS1_7vsmem_tEENKUlT_SE_SF_SG_E_clIS8_S8_S9_S9_EESD_ST_SE_SF_SG_EUlST_E_NS1_11comp_targetILNS1_3genE0ELNS1_11target_archE4294967295ELNS1_3gpuE0ELNS1_3repE0EEENS1_48merge_mergepath_partition_config_static_selectorELNS0_4arch9wavefront6targetE0EEEvSF_
	.globl	_ZN7rocprim17ROCPRIM_400000_NS6detail17trampoline_kernelINS0_14default_configENS1_38merge_sort_block_merge_config_selectorIjNS0_10empty_typeEEEZZNS1_27merge_sort_block_merge_implIS3_PjPS5_jNS1_19radix_merge_compareILb1ELb0EjNS0_19identity_decomposerEEEEE10hipError_tT0_T1_T2_jT3_P12ihipStream_tbPNSt15iterator_traitsISE_E10value_typeEPNSK_ISF_E10value_typeEPSG_NS1_7vsmem_tEENKUlT_SE_SF_SG_E_clIS8_S8_S9_S9_EESD_ST_SE_SF_SG_EUlST_E_NS1_11comp_targetILNS1_3genE0ELNS1_11target_archE4294967295ELNS1_3gpuE0ELNS1_3repE0EEENS1_48merge_mergepath_partition_config_static_selectorELNS0_4arch9wavefront6targetE0EEEvSF_
	.p2align	8
	.type	_ZN7rocprim17ROCPRIM_400000_NS6detail17trampoline_kernelINS0_14default_configENS1_38merge_sort_block_merge_config_selectorIjNS0_10empty_typeEEEZZNS1_27merge_sort_block_merge_implIS3_PjPS5_jNS1_19radix_merge_compareILb1ELb0EjNS0_19identity_decomposerEEEEE10hipError_tT0_T1_T2_jT3_P12ihipStream_tbPNSt15iterator_traitsISE_E10value_typeEPNSK_ISF_E10value_typeEPSG_NS1_7vsmem_tEENKUlT_SE_SF_SG_E_clIS8_S8_S9_S9_EESD_ST_SE_SF_SG_EUlST_E_NS1_11comp_targetILNS1_3genE0ELNS1_11target_archE4294967295ELNS1_3gpuE0ELNS1_3repE0EEENS1_48merge_mergepath_partition_config_static_selectorELNS0_4arch9wavefront6targetE0EEEvSF_,@function
_ZN7rocprim17ROCPRIM_400000_NS6detail17trampoline_kernelINS0_14default_configENS1_38merge_sort_block_merge_config_selectorIjNS0_10empty_typeEEEZZNS1_27merge_sort_block_merge_implIS3_PjPS5_jNS1_19radix_merge_compareILb1ELb0EjNS0_19identity_decomposerEEEEE10hipError_tT0_T1_T2_jT3_P12ihipStream_tbPNSt15iterator_traitsISE_E10value_typeEPNSK_ISF_E10value_typeEPSG_NS1_7vsmem_tEENKUlT_SE_SF_SG_E_clIS8_S8_S9_S9_EESD_ST_SE_SF_SG_EUlST_E_NS1_11comp_targetILNS1_3genE0ELNS1_11target_archE4294967295ELNS1_3gpuE0ELNS1_3repE0EEENS1_48merge_mergepath_partition_config_static_selectorELNS0_4arch9wavefront6targetE0EEEvSF_: ; @_ZN7rocprim17ROCPRIM_400000_NS6detail17trampoline_kernelINS0_14default_configENS1_38merge_sort_block_merge_config_selectorIjNS0_10empty_typeEEEZZNS1_27merge_sort_block_merge_implIS3_PjPS5_jNS1_19radix_merge_compareILb1ELb0EjNS0_19identity_decomposerEEEEE10hipError_tT0_T1_T2_jT3_P12ihipStream_tbPNSt15iterator_traitsISE_E10value_typeEPNSK_ISF_E10value_typeEPSG_NS1_7vsmem_tEENKUlT_SE_SF_SG_E_clIS8_S8_S9_S9_EESD_ST_SE_SF_SG_EUlST_E_NS1_11comp_targetILNS1_3genE0ELNS1_11target_archE4294967295ELNS1_3gpuE0ELNS1_3repE0EEENS1_48merge_mergepath_partition_config_static_selectorELNS0_4arch9wavefront6targetE0EEEvSF_
; %bb.0:
	s_load_b32 s2, s[0:1], 0x0
	s_bfe_u32 s3, ttmp6, 0x4000c
	s_and_b32 s4, ttmp6, 15
	s_add_co_i32 s3, s3, 1
	s_getreg_b32 s5, hwreg(HW_REG_IB_STS2, 6, 4)
	s_mul_i32 s3, ttmp9, s3
	s_delay_alu instid0(SALU_CYCLE_1) | instskip(SKIP_2) | instid1(SALU_CYCLE_1)
	s_add_co_i32 s4, s4, s3
	s_cmp_eq_u32 s5, 0
	s_cselect_b32 s3, ttmp9, s4
	v_lshl_or_b32 v8, s3, 7, v0
	s_wait_kmcnt 0x0
	s_delay_alu instid0(VALU_DEP_1)
	v_cmp_gt_u32_e32 vcc_lo, s2, v8
	s_and_saveexec_b32 s2, vcc_lo
	s_cbranch_execz .LBB2551_6
; %bb.1:
	s_load_b64 s[2:3], s[0:1], 0x4
	s_wait_kmcnt 0x0
	s_lshr_b32 s4, s2, 9
	s_delay_alu instid0(SALU_CYCLE_1) | instskip(NEXT) | instid1(SALU_CYCLE_1)
	s_and_b32 s4, s4, 0x7ffffe
	s_sub_co_i32 s5, 0, s4
	s_add_co_i32 s4, s4, -1
	s_delay_alu instid0(SALU_CYCLE_1) | instskip(SKIP_2) | instid1(VALU_DEP_1)
	v_and_b32_e32 v1, s4, v8
	v_and_b32_e32 v0, s5, v8
	s_mov_b32 s4, exec_lo
	v_dual_lshlrev_b32 v1, 10, v1 :: v_dual_lshlrev_b32 v0, 10, v0
	s_delay_alu instid0(VALU_DEP_1) | instskip(SKIP_1) | instid1(VALU_DEP_2)
	v_add_min_u32_e64 v2, v0, s2, s3
	v_min_u32_e32 v0, s3, v0
	v_add_min_u32_e64 v3, v2, s2, s3
	s_load_b64 s[2:3], s[0:1], 0x20
	s_delay_alu instid0(VALU_DEP_1) | instskip(NEXT) | instid1(VALU_DEP_1)
	v_dual_sub_nc_u32 v4, v3, v0 :: v_dual_sub_nc_u32 v3, v3, v2
	v_min_u32_e32 v10, v4, v1
	v_sub_nc_u32_e32 v1, v2, v0
	s_delay_alu instid0(VALU_DEP_2) | instskip(NEXT) | instid1(VALU_DEP_2)
	v_sub_nc_u32_e64 v9, v10, v3 clamp
	v_min_u32_e32 v11, v10, v1
	s_delay_alu instid0(VALU_DEP_1)
	v_cmpx_lt_u32_e64 v9, v11
	s_cbranch_execz .LBB2551_5
; %bb.2:
	s_wait_xcnt 0x0
	s_load_b64 s[0:1], s[0:1], 0x10
	v_mov_b32_e32 v3, 0
	s_delay_alu instid0(VALU_DEP_1) | instskip(SKIP_1) | instid1(VALU_DEP_1)
	v_mov_b32_e32 v1, v3
	s_wait_kmcnt 0x0
	v_lshl_add_u64 v[4:5], v[0:1], 2, s[0:1]
	v_lshl_add_u64 v[6:7], v[2:3], 2, s[0:1]
	s_mov_b32 s0, 0
.LBB2551_3:                             ; =>This Inner Loop Header: Depth=1
	v_add_nc_u32_e32 v1, v11, v9
	s_delay_alu instid0(VALU_DEP_1) | instskip(NEXT) | instid1(VALU_DEP_1)
	v_dual_mov_b32 v13, v3 :: v_dual_lshrrev_b32 v2, 1, v1
	v_xad_u32 v12, v2, -1, v10
	v_lshl_add_u64 v[14:15], v[2:3], 2, v[4:5]
	s_delay_alu instid0(VALU_DEP_2)
	v_lshl_add_u64 v[12:13], v[12:13], 2, v[6:7]
	s_clause 0x1
	global_load_b32 v1, v[14:15], off
	global_load_b32 v16, v[12:13], off
	s_wait_xcnt 0x0
	v_add_nc_u32_e32 v12, 1, v2
	s_wait_loadcnt 0x0
	v_cmp_gt_u32_e32 vcc_lo, v16, v1
	s_delay_alu instid0(VALU_DEP_2) | instskip(NEXT) | instid1(VALU_DEP_1)
	v_dual_cndmask_b32 v11, v11, v2, vcc_lo :: v_dual_cndmask_b32 v9, v12, v9, vcc_lo
	v_cmp_ge_u32_e32 vcc_lo, v9, v11
	s_or_b32 s0, vcc_lo, s0
	s_delay_alu instid0(SALU_CYCLE_1)
	s_and_not1_b32 exec_lo, exec_lo, s0
	s_cbranch_execnz .LBB2551_3
; %bb.4:
	s_or_b32 exec_lo, exec_lo, s0
.LBB2551_5:
	s_delay_alu instid0(SALU_CYCLE_1)
	s_or_b32 exec_lo, exec_lo, s4
	v_add_nc_u32_e32 v0, v9, v0
	s_wait_kmcnt 0x0
	global_store_b32 v8, v0, s[2:3] scale_offset
.LBB2551_6:
	s_endpgm
	.section	.rodata,"a",@progbits
	.p2align	6, 0x0
	.amdhsa_kernel _ZN7rocprim17ROCPRIM_400000_NS6detail17trampoline_kernelINS0_14default_configENS1_38merge_sort_block_merge_config_selectorIjNS0_10empty_typeEEEZZNS1_27merge_sort_block_merge_implIS3_PjPS5_jNS1_19radix_merge_compareILb1ELb0EjNS0_19identity_decomposerEEEEE10hipError_tT0_T1_T2_jT3_P12ihipStream_tbPNSt15iterator_traitsISE_E10value_typeEPNSK_ISF_E10value_typeEPSG_NS1_7vsmem_tEENKUlT_SE_SF_SG_E_clIS8_S8_S9_S9_EESD_ST_SE_SF_SG_EUlST_E_NS1_11comp_targetILNS1_3genE0ELNS1_11target_archE4294967295ELNS1_3gpuE0ELNS1_3repE0EEENS1_48merge_mergepath_partition_config_static_selectorELNS0_4arch9wavefront6targetE0EEEvSF_
		.amdhsa_group_segment_fixed_size 0
		.amdhsa_private_segment_fixed_size 0
		.amdhsa_kernarg_size 40
		.amdhsa_user_sgpr_count 2
		.amdhsa_user_sgpr_dispatch_ptr 0
		.amdhsa_user_sgpr_queue_ptr 0
		.amdhsa_user_sgpr_kernarg_segment_ptr 1
		.amdhsa_user_sgpr_dispatch_id 0
		.amdhsa_user_sgpr_kernarg_preload_length 0
		.amdhsa_user_sgpr_kernarg_preload_offset 0
		.amdhsa_user_sgpr_private_segment_size 0
		.amdhsa_wavefront_size32 1
		.amdhsa_uses_dynamic_stack 0
		.amdhsa_enable_private_segment 0
		.amdhsa_system_sgpr_workgroup_id_x 1
		.amdhsa_system_sgpr_workgroup_id_y 0
		.amdhsa_system_sgpr_workgroup_id_z 0
		.amdhsa_system_sgpr_workgroup_info 0
		.amdhsa_system_vgpr_workitem_id 0
		.amdhsa_next_free_vgpr 17
		.amdhsa_next_free_sgpr 6
		.amdhsa_named_barrier_count 0
		.amdhsa_reserve_vcc 1
		.amdhsa_float_round_mode_32 0
		.amdhsa_float_round_mode_16_64 0
		.amdhsa_float_denorm_mode_32 3
		.amdhsa_float_denorm_mode_16_64 3
		.amdhsa_fp16_overflow 0
		.amdhsa_memory_ordered 1
		.amdhsa_forward_progress 1
		.amdhsa_inst_pref_size 4
		.amdhsa_round_robin_scheduling 0
		.amdhsa_exception_fp_ieee_invalid_op 0
		.amdhsa_exception_fp_denorm_src 0
		.amdhsa_exception_fp_ieee_div_zero 0
		.amdhsa_exception_fp_ieee_overflow 0
		.amdhsa_exception_fp_ieee_underflow 0
		.amdhsa_exception_fp_ieee_inexact 0
		.amdhsa_exception_int_div_zero 0
	.end_amdhsa_kernel
	.section	.text._ZN7rocprim17ROCPRIM_400000_NS6detail17trampoline_kernelINS0_14default_configENS1_38merge_sort_block_merge_config_selectorIjNS0_10empty_typeEEEZZNS1_27merge_sort_block_merge_implIS3_PjPS5_jNS1_19radix_merge_compareILb1ELb0EjNS0_19identity_decomposerEEEEE10hipError_tT0_T1_T2_jT3_P12ihipStream_tbPNSt15iterator_traitsISE_E10value_typeEPNSK_ISF_E10value_typeEPSG_NS1_7vsmem_tEENKUlT_SE_SF_SG_E_clIS8_S8_S9_S9_EESD_ST_SE_SF_SG_EUlST_E_NS1_11comp_targetILNS1_3genE0ELNS1_11target_archE4294967295ELNS1_3gpuE0ELNS1_3repE0EEENS1_48merge_mergepath_partition_config_static_selectorELNS0_4arch9wavefront6targetE0EEEvSF_,"axG",@progbits,_ZN7rocprim17ROCPRIM_400000_NS6detail17trampoline_kernelINS0_14default_configENS1_38merge_sort_block_merge_config_selectorIjNS0_10empty_typeEEEZZNS1_27merge_sort_block_merge_implIS3_PjPS5_jNS1_19radix_merge_compareILb1ELb0EjNS0_19identity_decomposerEEEEE10hipError_tT0_T1_T2_jT3_P12ihipStream_tbPNSt15iterator_traitsISE_E10value_typeEPNSK_ISF_E10value_typeEPSG_NS1_7vsmem_tEENKUlT_SE_SF_SG_E_clIS8_S8_S9_S9_EESD_ST_SE_SF_SG_EUlST_E_NS1_11comp_targetILNS1_3genE0ELNS1_11target_archE4294967295ELNS1_3gpuE0ELNS1_3repE0EEENS1_48merge_mergepath_partition_config_static_selectorELNS0_4arch9wavefront6targetE0EEEvSF_,comdat
.Lfunc_end2551:
	.size	_ZN7rocprim17ROCPRIM_400000_NS6detail17trampoline_kernelINS0_14default_configENS1_38merge_sort_block_merge_config_selectorIjNS0_10empty_typeEEEZZNS1_27merge_sort_block_merge_implIS3_PjPS5_jNS1_19radix_merge_compareILb1ELb0EjNS0_19identity_decomposerEEEEE10hipError_tT0_T1_T2_jT3_P12ihipStream_tbPNSt15iterator_traitsISE_E10value_typeEPNSK_ISF_E10value_typeEPSG_NS1_7vsmem_tEENKUlT_SE_SF_SG_E_clIS8_S8_S9_S9_EESD_ST_SE_SF_SG_EUlST_E_NS1_11comp_targetILNS1_3genE0ELNS1_11target_archE4294967295ELNS1_3gpuE0ELNS1_3repE0EEENS1_48merge_mergepath_partition_config_static_selectorELNS0_4arch9wavefront6targetE0EEEvSF_, .Lfunc_end2551-_ZN7rocprim17ROCPRIM_400000_NS6detail17trampoline_kernelINS0_14default_configENS1_38merge_sort_block_merge_config_selectorIjNS0_10empty_typeEEEZZNS1_27merge_sort_block_merge_implIS3_PjPS5_jNS1_19radix_merge_compareILb1ELb0EjNS0_19identity_decomposerEEEEE10hipError_tT0_T1_T2_jT3_P12ihipStream_tbPNSt15iterator_traitsISE_E10value_typeEPNSK_ISF_E10value_typeEPSG_NS1_7vsmem_tEENKUlT_SE_SF_SG_E_clIS8_S8_S9_S9_EESD_ST_SE_SF_SG_EUlST_E_NS1_11comp_targetILNS1_3genE0ELNS1_11target_archE4294967295ELNS1_3gpuE0ELNS1_3repE0EEENS1_48merge_mergepath_partition_config_static_selectorELNS0_4arch9wavefront6targetE0EEEvSF_
                                        ; -- End function
	.set _ZN7rocprim17ROCPRIM_400000_NS6detail17trampoline_kernelINS0_14default_configENS1_38merge_sort_block_merge_config_selectorIjNS0_10empty_typeEEEZZNS1_27merge_sort_block_merge_implIS3_PjPS5_jNS1_19radix_merge_compareILb1ELb0EjNS0_19identity_decomposerEEEEE10hipError_tT0_T1_T2_jT3_P12ihipStream_tbPNSt15iterator_traitsISE_E10value_typeEPNSK_ISF_E10value_typeEPSG_NS1_7vsmem_tEENKUlT_SE_SF_SG_E_clIS8_S8_S9_S9_EESD_ST_SE_SF_SG_EUlST_E_NS1_11comp_targetILNS1_3genE0ELNS1_11target_archE4294967295ELNS1_3gpuE0ELNS1_3repE0EEENS1_48merge_mergepath_partition_config_static_selectorELNS0_4arch9wavefront6targetE0EEEvSF_.num_vgpr, 17
	.set _ZN7rocprim17ROCPRIM_400000_NS6detail17trampoline_kernelINS0_14default_configENS1_38merge_sort_block_merge_config_selectorIjNS0_10empty_typeEEEZZNS1_27merge_sort_block_merge_implIS3_PjPS5_jNS1_19radix_merge_compareILb1ELb0EjNS0_19identity_decomposerEEEEE10hipError_tT0_T1_T2_jT3_P12ihipStream_tbPNSt15iterator_traitsISE_E10value_typeEPNSK_ISF_E10value_typeEPSG_NS1_7vsmem_tEENKUlT_SE_SF_SG_E_clIS8_S8_S9_S9_EESD_ST_SE_SF_SG_EUlST_E_NS1_11comp_targetILNS1_3genE0ELNS1_11target_archE4294967295ELNS1_3gpuE0ELNS1_3repE0EEENS1_48merge_mergepath_partition_config_static_selectorELNS0_4arch9wavefront6targetE0EEEvSF_.num_agpr, 0
	.set _ZN7rocprim17ROCPRIM_400000_NS6detail17trampoline_kernelINS0_14default_configENS1_38merge_sort_block_merge_config_selectorIjNS0_10empty_typeEEEZZNS1_27merge_sort_block_merge_implIS3_PjPS5_jNS1_19radix_merge_compareILb1ELb0EjNS0_19identity_decomposerEEEEE10hipError_tT0_T1_T2_jT3_P12ihipStream_tbPNSt15iterator_traitsISE_E10value_typeEPNSK_ISF_E10value_typeEPSG_NS1_7vsmem_tEENKUlT_SE_SF_SG_E_clIS8_S8_S9_S9_EESD_ST_SE_SF_SG_EUlST_E_NS1_11comp_targetILNS1_3genE0ELNS1_11target_archE4294967295ELNS1_3gpuE0ELNS1_3repE0EEENS1_48merge_mergepath_partition_config_static_selectorELNS0_4arch9wavefront6targetE0EEEvSF_.numbered_sgpr, 6
	.set _ZN7rocprim17ROCPRIM_400000_NS6detail17trampoline_kernelINS0_14default_configENS1_38merge_sort_block_merge_config_selectorIjNS0_10empty_typeEEEZZNS1_27merge_sort_block_merge_implIS3_PjPS5_jNS1_19radix_merge_compareILb1ELb0EjNS0_19identity_decomposerEEEEE10hipError_tT0_T1_T2_jT3_P12ihipStream_tbPNSt15iterator_traitsISE_E10value_typeEPNSK_ISF_E10value_typeEPSG_NS1_7vsmem_tEENKUlT_SE_SF_SG_E_clIS8_S8_S9_S9_EESD_ST_SE_SF_SG_EUlST_E_NS1_11comp_targetILNS1_3genE0ELNS1_11target_archE4294967295ELNS1_3gpuE0ELNS1_3repE0EEENS1_48merge_mergepath_partition_config_static_selectorELNS0_4arch9wavefront6targetE0EEEvSF_.num_named_barrier, 0
	.set _ZN7rocprim17ROCPRIM_400000_NS6detail17trampoline_kernelINS0_14default_configENS1_38merge_sort_block_merge_config_selectorIjNS0_10empty_typeEEEZZNS1_27merge_sort_block_merge_implIS3_PjPS5_jNS1_19radix_merge_compareILb1ELb0EjNS0_19identity_decomposerEEEEE10hipError_tT0_T1_T2_jT3_P12ihipStream_tbPNSt15iterator_traitsISE_E10value_typeEPNSK_ISF_E10value_typeEPSG_NS1_7vsmem_tEENKUlT_SE_SF_SG_E_clIS8_S8_S9_S9_EESD_ST_SE_SF_SG_EUlST_E_NS1_11comp_targetILNS1_3genE0ELNS1_11target_archE4294967295ELNS1_3gpuE0ELNS1_3repE0EEENS1_48merge_mergepath_partition_config_static_selectorELNS0_4arch9wavefront6targetE0EEEvSF_.private_seg_size, 0
	.set _ZN7rocprim17ROCPRIM_400000_NS6detail17trampoline_kernelINS0_14default_configENS1_38merge_sort_block_merge_config_selectorIjNS0_10empty_typeEEEZZNS1_27merge_sort_block_merge_implIS3_PjPS5_jNS1_19radix_merge_compareILb1ELb0EjNS0_19identity_decomposerEEEEE10hipError_tT0_T1_T2_jT3_P12ihipStream_tbPNSt15iterator_traitsISE_E10value_typeEPNSK_ISF_E10value_typeEPSG_NS1_7vsmem_tEENKUlT_SE_SF_SG_E_clIS8_S8_S9_S9_EESD_ST_SE_SF_SG_EUlST_E_NS1_11comp_targetILNS1_3genE0ELNS1_11target_archE4294967295ELNS1_3gpuE0ELNS1_3repE0EEENS1_48merge_mergepath_partition_config_static_selectorELNS0_4arch9wavefront6targetE0EEEvSF_.uses_vcc, 1
	.set _ZN7rocprim17ROCPRIM_400000_NS6detail17trampoline_kernelINS0_14default_configENS1_38merge_sort_block_merge_config_selectorIjNS0_10empty_typeEEEZZNS1_27merge_sort_block_merge_implIS3_PjPS5_jNS1_19radix_merge_compareILb1ELb0EjNS0_19identity_decomposerEEEEE10hipError_tT0_T1_T2_jT3_P12ihipStream_tbPNSt15iterator_traitsISE_E10value_typeEPNSK_ISF_E10value_typeEPSG_NS1_7vsmem_tEENKUlT_SE_SF_SG_E_clIS8_S8_S9_S9_EESD_ST_SE_SF_SG_EUlST_E_NS1_11comp_targetILNS1_3genE0ELNS1_11target_archE4294967295ELNS1_3gpuE0ELNS1_3repE0EEENS1_48merge_mergepath_partition_config_static_selectorELNS0_4arch9wavefront6targetE0EEEvSF_.uses_flat_scratch, 0
	.set _ZN7rocprim17ROCPRIM_400000_NS6detail17trampoline_kernelINS0_14default_configENS1_38merge_sort_block_merge_config_selectorIjNS0_10empty_typeEEEZZNS1_27merge_sort_block_merge_implIS3_PjPS5_jNS1_19radix_merge_compareILb1ELb0EjNS0_19identity_decomposerEEEEE10hipError_tT0_T1_T2_jT3_P12ihipStream_tbPNSt15iterator_traitsISE_E10value_typeEPNSK_ISF_E10value_typeEPSG_NS1_7vsmem_tEENKUlT_SE_SF_SG_E_clIS8_S8_S9_S9_EESD_ST_SE_SF_SG_EUlST_E_NS1_11comp_targetILNS1_3genE0ELNS1_11target_archE4294967295ELNS1_3gpuE0ELNS1_3repE0EEENS1_48merge_mergepath_partition_config_static_selectorELNS0_4arch9wavefront6targetE0EEEvSF_.has_dyn_sized_stack, 0
	.set _ZN7rocprim17ROCPRIM_400000_NS6detail17trampoline_kernelINS0_14default_configENS1_38merge_sort_block_merge_config_selectorIjNS0_10empty_typeEEEZZNS1_27merge_sort_block_merge_implIS3_PjPS5_jNS1_19radix_merge_compareILb1ELb0EjNS0_19identity_decomposerEEEEE10hipError_tT0_T1_T2_jT3_P12ihipStream_tbPNSt15iterator_traitsISE_E10value_typeEPNSK_ISF_E10value_typeEPSG_NS1_7vsmem_tEENKUlT_SE_SF_SG_E_clIS8_S8_S9_S9_EESD_ST_SE_SF_SG_EUlST_E_NS1_11comp_targetILNS1_3genE0ELNS1_11target_archE4294967295ELNS1_3gpuE0ELNS1_3repE0EEENS1_48merge_mergepath_partition_config_static_selectorELNS0_4arch9wavefront6targetE0EEEvSF_.has_recursion, 0
	.set _ZN7rocprim17ROCPRIM_400000_NS6detail17trampoline_kernelINS0_14default_configENS1_38merge_sort_block_merge_config_selectorIjNS0_10empty_typeEEEZZNS1_27merge_sort_block_merge_implIS3_PjPS5_jNS1_19radix_merge_compareILb1ELb0EjNS0_19identity_decomposerEEEEE10hipError_tT0_T1_T2_jT3_P12ihipStream_tbPNSt15iterator_traitsISE_E10value_typeEPNSK_ISF_E10value_typeEPSG_NS1_7vsmem_tEENKUlT_SE_SF_SG_E_clIS8_S8_S9_S9_EESD_ST_SE_SF_SG_EUlST_E_NS1_11comp_targetILNS1_3genE0ELNS1_11target_archE4294967295ELNS1_3gpuE0ELNS1_3repE0EEENS1_48merge_mergepath_partition_config_static_selectorELNS0_4arch9wavefront6targetE0EEEvSF_.has_indirect_call, 0
	.section	.AMDGPU.csdata,"",@progbits
; Kernel info:
; codeLenInByte = 436
; TotalNumSgprs: 8
; NumVgprs: 17
; ScratchSize: 0
; MemoryBound: 0
; FloatMode: 240
; IeeeMode: 1
; LDSByteSize: 0 bytes/workgroup (compile time only)
; SGPRBlocks: 0
; VGPRBlocks: 1
; NumSGPRsForWavesPerEU: 8
; NumVGPRsForWavesPerEU: 17
; NamedBarCnt: 0
; Occupancy: 16
; WaveLimiterHint : 0
; COMPUTE_PGM_RSRC2:SCRATCH_EN: 0
; COMPUTE_PGM_RSRC2:USER_SGPR: 2
; COMPUTE_PGM_RSRC2:TRAP_HANDLER: 0
; COMPUTE_PGM_RSRC2:TGID_X_EN: 1
; COMPUTE_PGM_RSRC2:TGID_Y_EN: 0
; COMPUTE_PGM_RSRC2:TGID_Z_EN: 0
; COMPUTE_PGM_RSRC2:TIDIG_COMP_CNT: 0
	.section	.text._ZN7rocprim17ROCPRIM_400000_NS6detail17trampoline_kernelINS0_14default_configENS1_38merge_sort_block_merge_config_selectorIjNS0_10empty_typeEEEZZNS1_27merge_sort_block_merge_implIS3_PjPS5_jNS1_19radix_merge_compareILb1ELb0EjNS0_19identity_decomposerEEEEE10hipError_tT0_T1_T2_jT3_P12ihipStream_tbPNSt15iterator_traitsISE_E10value_typeEPNSK_ISF_E10value_typeEPSG_NS1_7vsmem_tEENKUlT_SE_SF_SG_E_clIS8_S8_S9_S9_EESD_ST_SE_SF_SG_EUlST_E_NS1_11comp_targetILNS1_3genE10ELNS1_11target_archE1201ELNS1_3gpuE5ELNS1_3repE0EEENS1_48merge_mergepath_partition_config_static_selectorELNS0_4arch9wavefront6targetE0EEEvSF_,"axG",@progbits,_ZN7rocprim17ROCPRIM_400000_NS6detail17trampoline_kernelINS0_14default_configENS1_38merge_sort_block_merge_config_selectorIjNS0_10empty_typeEEEZZNS1_27merge_sort_block_merge_implIS3_PjPS5_jNS1_19radix_merge_compareILb1ELb0EjNS0_19identity_decomposerEEEEE10hipError_tT0_T1_T2_jT3_P12ihipStream_tbPNSt15iterator_traitsISE_E10value_typeEPNSK_ISF_E10value_typeEPSG_NS1_7vsmem_tEENKUlT_SE_SF_SG_E_clIS8_S8_S9_S9_EESD_ST_SE_SF_SG_EUlST_E_NS1_11comp_targetILNS1_3genE10ELNS1_11target_archE1201ELNS1_3gpuE5ELNS1_3repE0EEENS1_48merge_mergepath_partition_config_static_selectorELNS0_4arch9wavefront6targetE0EEEvSF_,comdat
	.protected	_ZN7rocprim17ROCPRIM_400000_NS6detail17trampoline_kernelINS0_14default_configENS1_38merge_sort_block_merge_config_selectorIjNS0_10empty_typeEEEZZNS1_27merge_sort_block_merge_implIS3_PjPS5_jNS1_19radix_merge_compareILb1ELb0EjNS0_19identity_decomposerEEEEE10hipError_tT0_T1_T2_jT3_P12ihipStream_tbPNSt15iterator_traitsISE_E10value_typeEPNSK_ISF_E10value_typeEPSG_NS1_7vsmem_tEENKUlT_SE_SF_SG_E_clIS8_S8_S9_S9_EESD_ST_SE_SF_SG_EUlST_E_NS1_11comp_targetILNS1_3genE10ELNS1_11target_archE1201ELNS1_3gpuE5ELNS1_3repE0EEENS1_48merge_mergepath_partition_config_static_selectorELNS0_4arch9wavefront6targetE0EEEvSF_ ; -- Begin function _ZN7rocprim17ROCPRIM_400000_NS6detail17trampoline_kernelINS0_14default_configENS1_38merge_sort_block_merge_config_selectorIjNS0_10empty_typeEEEZZNS1_27merge_sort_block_merge_implIS3_PjPS5_jNS1_19radix_merge_compareILb1ELb0EjNS0_19identity_decomposerEEEEE10hipError_tT0_T1_T2_jT3_P12ihipStream_tbPNSt15iterator_traitsISE_E10value_typeEPNSK_ISF_E10value_typeEPSG_NS1_7vsmem_tEENKUlT_SE_SF_SG_E_clIS8_S8_S9_S9_EESD_ST_SE_SF_SG_EUlST_E_NS1_11comp_targetILNS1_3genE10ELNS1_11target_archE1201ELNS1_3gpuE5ELNS1_3repE0EEENS1_48merge_mergepath_partition_config_static_selectorELNS0_4arch9wavefront6targetE0EEEvSF_
	.globl	_ZN7rocprim17ROCPRIM_400000_NS6detail17trampoline_kernelINS0_14default_configENS1_38merge_sort_block_merge_config_selectorIjNS0_10empty_typeEEEZZNS1_27merge_sort_block_merge_implIS3_PjPS5_jNS1_19radix_merge_compareILb1ELb0EjNS0_19identity_decomposerEEEEE10hipError_tT0_T1_T2_jT3_P12ihipStream_tbPNSt15iterator_traitsISE_E10value_typeEPNSK_ISF_E10value_typeEPSG_NS1_7vsmem_tEENKUlT_SE_SF_SG_E_clIS8_S8_S9_S9_EESD_ST_SE_SF_SG_EUlST_E_NS1_11comp_targetILNS1_3genE10ELNS1_11target_archE1201ELNS1_3gpuE5ELNS1_3repE0EEENS1_48merge_mergepath_partition_config_static_selectorELNS0_4arch9wavefront6targetE0EEEvSF_
	.p2align	8
	.type	_ZN7rocprim17ROCPRIM_400000_NS6detail17trampoline_kernelINS0_14default_configENS1_38merge_sort_block_merge_config_selectorIjNS0_10empty_typeEEEZZNS1_27merge_sort_block_merge_implIS3_PjPS5_jNS1_19radix_merge_compareILb1ELb0EjNS0_19identity_decomposerEEEEE10hipError_tT0_T1_T2_jT3_P12ihipStream_tbPNSt15iterator_traitsISE_E10value_typeEPNSK_ISF_E10value_typeEPSG_NS1_7vsmem_tEENKUlT_SE_SF_SG_E_clIS8_S8_S9_S9_EESD_ST_SE_SF_SG_EUlST_E_NS1_11comp_targetILNS1_3genE10ELNS1_11target_archE1201ELNS1_3gpuE5ELNS1_3repE0EEENS1_48merge_mergepath_partition_config_static_selectorELNS0_4arch9wavefront6targetE0EEEvSF_,@function
_ZN7rocprim17ROCPRIM_400000_NS6detail17trampoline_kernelINS0_14default_configENS1_38merge_sort_block_merge_config_selectorIjNS0_10empty_typeEEEZZNS1_27merge_sort_block_merge_implIS3_PjPS5_jNS1_19radix_merge_compareILb1ELb0EjNS0_19identity_decomposerEEEEE10hipError_tT0_T1_T2_jT3_P12ihipStream_tbPNSt15iterator_traitsISE_E10value_typeEPNSK_ISF_E10value_typeEPSG_NS1_7vsmem_tEENKUlT_SE_SF_SG_E_clIS8_S8_S9_S9_EESD_ST_SE_SF_SG_EUlST_E_NS1_11comp_targetILNS1_3genE10ELNS1_11target_archE1201ELNS1_3gpuE5ELNS1_3repE0EEENS1_48merge_mergepath_partition_config_static_selectorELNS0_4arch9wavefront6targetE0EEEvSF_: ; @_ZN7rocprim17ROCPRIM_400000_NS6detail17trampoline_kernelINS0_14default_configENS1_38merge_sort_block_merge_config_selectorIjNS0_10empty_typeEEEZZNS1_27merge_sort_block_merge_implIS3_PjPS5_jNS1_19radix_merge_compareILb1ELb0EjNS0_19identity_decomposerEEEEE10hipError_tT0_T1_T2_jT3_P12ihipStream_tbPNSt15iterator_traitsISE_E10value_typeEPNSK_ISF_E10value_typeEPSG_NS1_7vsmem_tEENKUlT_SE_SF_SG_E_clIS8_S8_S9_S9_EESD_ST_SE_SF_SG_EUlST_E_NS1_11comp_targetILNS1_3genE10ELNS1_11target_archE1201ELNS1_3gpuE5ELNS1_3repE0EEENS1_48merge_mergepath_partition_config_static_selectorELNS0_4arch9wavefront6targetE0EEEvSF_
; %bb.0:
	.section	.rodata,"a",@progbits
	.p2align	6, 0x0
	.amdhsa_kernel _ZN7rocprim17ROCPRIM_400000_NS6detail17trampoline_kernelINS0_14default_configENS1_38merge_sort_block_merge_config_selectorIjNS0_10empty_typeEEEZZNS1_27merge_sort_block_merge_implIS3_PjPS5_jNS1_19radix_merge_compareILb1ELb0EjNS0_19identity_decomposerEEEEE10hipError_tT0_T1_T2_jT3_P12ihipStream_tbPNSt15iterator_traitsISE_E10value_typeEPNSK_ISF_E10value_typeEPSG_NS1_7vsmem_tEENKUlT_SE_SF_SG_E_clIS8_S8_S9_S9_EESD_ST_SE_SF_SG_EUlST_E_NS1_11comp_targetILNS1_3genE10ELNS1_11target_archE1201ELNS1_3gpuE5ELNS1_3repE0EEENS1_48merge_mergepath_partition_config_static_selectorELNS0_4arch9wavefront6targetE0EEEvSF_
		.amdhsa_group_segment_fixed_size 0
		.amdhsa_private_segment_fixed_size 0
		.amdhsa_kernarg_size 40
		.amdhsa_user_sgpr_count 2
		.amdhsa_user_sgpr_dispatch_ptr 0
		.amdhsa_user_sgpr_queue_ptr 0
		.amdhsa_user_sgpr_kernarg_segment_ptr 1
		.amdhsa_user_sgpr_dispatch_id 0
		.amdhsa_user_sgpr_kernarg_preload_length 0
		.amdhsa_user_sgpr_kernarg_preload_offset 0
		.amdhsa_user_sgpr_private_segment_size 0
		.amdhsa_wavefront_size32 1
		.amdhsa_uses_dynamic_stack 0
		.amdhsa_enable_private_segment 0
		.amdhsa_system_sgpr_workgroup_id_x 1
		.amdhsa_system_sgpr_workgroup_id_y 0
		.amdhsa_system_sgpr_workgroup_id_z 0
		.amdhsa_system_sgpr_workgroup_info 0
		.amdhsa_system_vgpr_workitem_id 0
		.amdhsa_next_free_vgpr 1
		.amdhsa_next_free_sgpr 1
		.amdhsa_named_barrier_count 0
		.amdhsa_reserve_vcc 0
		.amdhsa_float_round_mode_32 0
		.amdhsa_float_round_mode_16_64 0
		.amdhsa_float_denorm_mode_32 3
		.amdhsa_float_denorm_mode_16_64 3
		.amdhsa_fp16_overflow 0
		.amdhsa_memory_ordered 1
		.amdhsa_forward_progress 1
		.amdhsa_inst_pref_size 0
		.amdhsa_round_robin_scheduling 0
		.amdhsa_exception_fp_ieee_invalid_op 0
		.amdhsa_exception_fp_denorm_src 0
		.amdhsa_exception_fp_ieee_div_zero 0
		.amdhsa_exception_fp_ieee_overflow 0
		.amdhsa_exception_fp_ieee_underflow 0
		.amdhsa_exception_fp_ieee_inexact 0
		.amdhsa_exception_int_div_zero 0
	.end_amdhsa_kernel
	.section	.text._ZN7rocprim17ROCPRIM_400000_NS6detail17trampoline_kernelINS0_14default_configENS1_38merge_sort_block_merge_config_selectorIjNS0_10empty_typeEEEZZNS1_27merge_sort_block_merge_implIS3_PjPS5_jNS1_19radix_merge_compareILb1ELb0EjNS0_19identity_decomposerEEEEE10hipError_tT0_T1_T2_jT3_P12ihipStream_tbPNSt15iterator_traitsISE_E10value_typeEPNSK_ISF_E10value_typeEPSG_NS1_7vsmem_tEENKUlT_SE_SF_SG_E_clIS8_S8_S9_S9_EESD_ST_SE_SF_SG_EUlST_E_NS1_11comp_targetILNS1_3genE10ELNS1_11target_archE1201ELNS1_3gpuE5ELNS1_3repE0EEENS1_48merge_mergepath_partition_config_static_selectorELNS0_4arch9wavefront6targetE0EEEvSF_,"axG",@progbits,_ZN7rocprim17ROCPRIM_400000_NS6detail17trampoline_kernelINS0_14default_configENS1_38merge_sort_block_merge_config_selectorIjNS0_10empty_typeEEEZZNS1_27merge_sort_block_merge_implIS3_PjPS5_jNS1_19radix_merge_compareILb1ELb0EjNS0_19identity_decomposerEEEEE10hipError_tT0_T1_T2_jT3_P12ihipStream_tbPNSt15iterator_traitsISE_E10value_typeEPNSK_ISF_E10value_typeEPSG_NS1_7vsmem_tEENKUlT_SE_SF_SG_E_clIS8_S8_S9_S9_EESD_ST_SE_SF_SG_EUlST_E_NS1_11comp_targetILNS1_3genE10ELNS1_11target_archE1201ELNS1_3gpuE5ELNS1_3repE0EEENS1_48merge_mergepath_partition_config_static_selectorELNS0_4arch9wavefront6targetE0EEEvSF_,comdat
.Lfunc_end2552:
	.size	_ZN7rocprim17ROCPRIM_400000_NS6detail17trampoline_kernelINS0_14default_configENS1_38merge_sort_block_merge_config_selectorIjNS0_10empty_typeEEEZZNS1_27merge_sort_block_merge_implIS3_PjPS5_jNS1_19radix_merge_compareILb1ELb0EjNS0_19identity_decomposerEEEEE10hipError_tT0_T1_T2_jT3_P12ihipStream_tbPNSt15iterator_traitsISE_E10value_typeEPNSK_ISF_E10value_typeEPSG_NS1_7vsmem_tEENKUlT_SE_SF_SG_E_clIS8_S8_S9_S9_EESD_ST_SE_SF_SG_EUlST_E_NS1_11comp_targetILNS1_3genE10ELNS1_11target_archE1201ELNS1_3gpuE5ELNS1_3repE0EEENS1_48merge_mergepath_partition_config_static_selectorELNS0_4arch9wavefront6targetE0EEEvSF_, .Lfunc_end2552-_ZN7rocprim17ROCPRIM_400000_NS6detail17trampoline_kernelINS0_14default_configENS1_38merge_sort_block_merge_config_selectorIjNS0_10empty_typeEEEZZNS1_27merge_sort_block_merge_implIS3_PjPS5_jNS1_19radix_merge_compareILb1ELb0EjNS0_19identity_decomposerEEEEE10hipError_tT0_T1_T2_jT3_P12ihipStream_tbPNSt15iterator_traitsISE_E10value_typeEPNSK_ISF_E10value_typeEPSG_NS1_7vsmem_tEENKUlT_SE_SF_SG_E_clIS8_S8_S9_S9_EESD_ST_SE_SF_SG_EUlST_E_NS1_11comp_targetILNS1_3genE10ELNS1_11target_archE1201ELNS1_3gpuE5ELNS1_3repE0EEENS1_48merge_mergepath_partition_config_static_selectorELNS0_4arch9wavefront6targetE0EEEvSF_
                                        ; -- End function
	.set _ZN7rocprim17ROCPRIM_400000_NS6detail17trampoline_kernelINS0_14default_configENS1_38merge_sort_block_merge_config_selectorIjNS0_10empty_typeEEEZZNS1_27merge_sort_block_merge_implIS3_PjPS5_jNS1_19radix_merge_compareILb1ELb0EjNS0_19identity_decomposerEEEEE10hipError_tT0_T1_T2_jT3_P12ihipStream_tbPNSt15iterator_traitsISE_E10value_typeEPNSK_ISF_E10value_typeEPSG_NS1_7vsmem_tEENKUlT_SE_SF_SG_E_clIS8_S8_S9_S9_EESD_ST_SE_SF_SG_EUlST_E_NS1_11comp_targetILNS1_3genE10ELNS1_11target_archE1201ELNS1_3gpuE5ELNS1_3repE0EEENS1_48merge_mergepath_partition_config_static_selectorELNS0_4arch9wavefront6targetE0EEEvSF_.num_vgpr, 0
	.set _ZN7rocprim17ROCPRIM_400000_NS6detail17trampoline_kernelINS0_14default_configENS1_38merge_sort_block_merge_config_selectorIjNS0_10empty_typeEEEZZNS1_27merge_sort_block_merge_implIS3_PjPS5_jNS1_19radix_merge_compareILb1ELb0EjNS0_19identity_decomposerEEEEE10hipError_tT0_T1_T2_jT3_P12ihipStream_tbPNSt15iterator_traitsISE_E10value_typeEPNSK_ISF_E10value_typeEPSG_NS1_7vsmem_tEENKUlT_SE_SF_SG_E_clIS8_S8_S9_S9_EESD_ST_SE_SF_SG_EUlST_E_NS1_11comp_targetILNS1_3genE10ELNS1_11target_archE1201ELNS1_3gpuE5ELNS1_3repE0EEENS1_48merge_mergepath_partition_config_static_selectorELNS0_4arch9wavefront6targetE0EEEvSF_.num_agpr, 0
	.set _ZN7rocprim17ROCPRIM_400000_NS6detail17trampoline_kernelINS0_14default_configENS1_38merge_sort_block_merge_config_selectorIjNS0_10empty_typeEEEZZNS1_27merge_sort_block_merge_implIS3_PjPS5_jNS1_19radix_merge_compareILb1ELb0EjNS0_19identity_decomposerEEEEE10hipError_tT0_T1_T2_jT3_P12ihipStream_tbPNSt15iterator_traitsISE_E10value_typeEPNSK_ISF_E10value_typeEPSG_NS1_7vsmem_tEENKUlT_SE_SF_SG_E_clIS8_S8_S9_S9_EESD_ST_SE_SF_SG_EUlST_E_NS1_11comp_targetILNS1_3genE10ELNS1_11target_archE1201ELNS1_3gpuE5ELNS1_3repE0EEENS1_48merge_mergepath_partition_config_static_selectorELNS0_4arch9wavefront6targetE0EEEvSF_.numbered_sgpr, 0
	.set _ZN7rocprim17ROCPRIM_400000_NS6detail17trampoline_kernelINS0_14default_configENS1_38merge_sort_block_merge_config_selectorIjNS0_10empty_typeEEEZZNS1_27merge_sort_block_merge_implIS3_PjPS5_jNS1_19radix_merge_compareILb1ELb0EjNS0_19identity_decomposerEEEEE10hipError_tT0_T1_T2_jT3_P12ihipStream_tbPNSt15iterator_traitsISE_E10value_typeEPNSK_ISF_E10value_typeEPSG_NS1_7vsmem_tEENKUlT_SE_SF_SG_E_clIS8_S8_S9_S9_EESD_ST_SE_SF_SG_EUlST_E_NS1_11comp_targetILNS1_3genE10ELNS1_11target_archE1201ELNS1_3gpuE5ELNS1_3repE0EEENS1_48merge_mergepath_partition_config_static_selectorELNS0_4arch9wavefront6targetE0EEEvSF_.num_named_barrier, 0
	.set _ZN7rocprim17ROCPRIM_400000_NS6detail17trampoline_kernelINS0_14default_configENS1_38merge_sort_block_merge_config_selectorIjNS0_10empty_typeEEEZZNS1_27merge_sort_block_merge_implIS3_PjPS5_jNS1_19radix_merge_compareILb1ELb0EjNS0_19identity_decomposerEEEEE10hipError_tT0_T1_T2_jT3_P12ihipStream_tbPNSt15iterator_traitsISE_E10value_typeEPNSK_ISF_E10value_typeEPSG_NS1_7vsmem_tEENKUlT_SE_SF_SG_E_clIS8_S8_S9_S9_EESD_ST_SE_SF_SG_EUlST_E_NS1_11comp_targetILNS1_3genE10ELNS1_11target_archE1201ELNS1_3gpuE5ELNS1_3repE0EEENS1_48merge_mergepath_partition_config_static_selectorELNS0_4arch9wavefront6targetE0EEEvSF_.private_seg_size, 0
	.set _ZN7rocprim17ROCPRIM_400000_NS6detail17trampoline_kernelINS0_14default_configENS1_38merge_sort_block_merge_config_selectorIjNS0_10empty_typeEEEZZNS1_27merge_sort_block_merge_implIS3_PjPS5_jNS1_19radix_merge_compareILb1ELb0EjNS0_19identity_decomposerEEEEE10hipError_tT0_T1_T2_jT3_P12ihipStream_tbPNSt15iterator_traitsISE_E10value_typeEPNSK_ISF_E10value_typeEPSG_NS1_7vsmem_tEENKUlT_SE_SF_SG_E_clIS8_S8_S9_S9_EESD_ST_SE_SF_SG_EUlST_E_NS1_11comp_targetILNS1_3genE10ELNS1_11target_archE1201ELNS1_3gpuE5ELNS1_3repE0EEENS1_48merge_mergepath_partition_config_static_selectorELNS0_4arch9wavefront6targetE0EEEvSF_.uses_vcc, 0
	.set _ZN7rocprim17ROCPRIM_400000_NS6detail17trampoline_kernelINS0_14default_configENS1_38merge_sort_block_merge_config_selectorIjNS0_10empty_typeEEEZZNS1_27merge_sort_block_merge_implIS3_PjPS5_jNS1_19radix_merge_compareILb1ELb0EjNS0_19identity_decomposerEEEEE10hipError_tT0_T1_T2_jT3_P12ihipStream_tbPNSt15iterator_traitsISE_E10value_typeEPNSK_ISF_E10value_typeEPSG_NS1_7vsmem_tEENKUlT_SE_SF_SG_E_clIS8_S8_S9_S9_EESD_ST_SE_SF_SG_EUlST_E_NS1_11comp_targetILNS1_3genE10ELNS1_11target_archE1201ELNS1_3gpuE5ELNS1_3repE0EEENS1_48merge_mergepath_partition_config_static_selectorELNS0_4arch9wavefront6targetE0EEEvSF_.uses_flat_scratch, 0
	.set _ZN7rocprim17ROCPRIM_400000_NS6detail17trampoline_kernelINS0_14default_configENS1_38merge_sort_block_merge_config_selectorIjNS0_10empty_typeEEEZZNS1_27merge_sort_block_merge_implIS3_PjPS5_jNS1_19radix_merge_compareILb1ELb0EjNS0_19identity_decomposerEEEEE10hipError_tT0_T1_T2_jT3_P12ihipStream_tbPNSt15iterator_traitsISE_E10value_typeEPNSK_ISF_E10value_typeEPSG_NS1_7vsmem_tEENKUlT_SE_SF_SG_E_clIS8_S8_S9_S9_EESD_ST_SE_SF_SG_EUlST_E_NS1_11comp_targetILNS1_3genE10ELNS1_11target_archE1201ELNS1_3gpuE5ELNS1_3repE0EEENS1_48merge_mergepath_partition_config_static_selectorELNS0_4arch9wavefront6targetE0EEEvSF_.has_dyn_sized_stack, 0
	.set _ZN7rocprim17ROCPRIM_400000_NS6detail17trampoline_kernelINS0_14default_configENS1_38merge_sort_block_merge_config_selectorIjNS0_10empty_typeEEEZZNS1_27merge_sort_block_merge_implIS3_PjPS5_jNS1_19radix_merge_compareILb1ELb0EjNS0_19identity_decomposerEEEEE10hipError_tT0_T1_T2_jT3_P12ihipStream_tbPNSt15iterator_traitsISE_E10value_typeEPNSK_ISF_E10value_typeEPSG_NS1_7vsmem_tEENKUlT_SE_SF_SG_E_clIS8_S8_S9_S9_EESD_ST_SE_SF_SG_EUlST_E_NS1_11comp_targetILNS1_3genE10ELNS1_11target_archE1201ELNS1_3gpuE5ELNS1_3repE0EEENS1_48merge_mergepath_partition_config_static_selectorELNS0_4arch9wavefront6targetE0EEEvSF_.has_recursion, 0
	.set _ZN7rocprim17ROCPRIM_400000_NS6detail17trampoline_kernelINS0_14default_configENS1_38merge_sort_block_merge_config_selectorIjNS0_10empty_typeEEEZZNS1_27merge_sort_block_merge_implIS3_PjPS5_jNS1_19radix_merge_compareILb1ELb0EjNS0_19identity_decomposerEEEEE10hipError_tT0_T1_T2_jT3_P12ihipStream_tbPNSt15iterator_traitsISE_E10value_typeEPNSK_ISF_E10value_typeEPSG_NS1_7vsmem_tEENKUlT_SE_SF_SG_E_clIS8_S8_S9_S9_EESD_ST_SE_SF_SG_EUlST_E_NS1_11comp_targetILNS1_3genE10ELNS1_11target_archE1201ELNS1_3gpuE5ELNS1_3repE0EEENS1_48merge_mergepath_partition_config_static_selectorELNS0_4arch9wavefront6targetE0EEEvSF_.has_indirect_call, 0
	.section	.AMDGPU.csdata,"",@progbits
; Kernel info:
; codeLenInByte = 0
; TotalNumSgprs: 0
; NumVgprs: 0
; ScratchSize: 0
; MemoryBound: 0
; FloatMode: 240
; IeeeMode: 1
; LDSByteSize: 0 bytes/workgroup (compile time only)
; SGPRBlocks: 0
; VGPRBlocks: 0
; NumSGPRsForWavesPerEU: 1
; NumVGPRsForWavesPerEU: 1
; NamedBarCnt: 0
; Occupancy: 16
; WaveLimiterHint : 0
; COMPUTE_PGM_RSRC2:SCRATCH_EN: 0
; COMPUTE_PGM_RSRC2:USER_SGPR: 2
; COMPUTE_PGM_RSRC2:TRAP_HANDLER: 0
; COMPUTE_PGM_RSRC2:TGID_X_EN: 1
; COMPUTE_PGM_RSRC2:TGID_Y_EN: 0
; COMPUTE_PGM_RSRC2:TGID_Z_EN: 0
; COMPUTE_PGM_RSRC2:TIDIG_COMP_CNT: 0
	.section	.text._ZN7rocprim17ROCPRIM_400000_NS6detail17trampoline_kernelINS0_14default_configENS1_38merge_sort_block_merge_config_selectorIjNS0_10empty_typeEEEZZNS1_27merge_sort_block_merge_implIS3_PjPS5_jNS1_19radix_merge_compareILb1ELb0EjNS0_19identity_decomposerEEEEE10hipError_tT0_T1_T2_jT3_P12ihipStream_tbPNSt15iterator_traitsISE_E10value_typeEPNSK_ISF_E10value_typeEPSG_NS1_7vsmem_tEENKUlT_SE_SF_SG_E_clIS8_S8_S9_S9_EESD_ST_SE_SF_SG_EUlST_E_NS1_11comp_targetILNS1_3genE5ELNS1_11target_archE942ELNS1_3gpuE9ELNS1_3repE0EEENS1_48merge_mergepath_partition_config_static_selectorELNS0_4arch9wavefront6targetE0EEEvSF_,"axG",@progbits,_ZN7rocprim17ROCPRIM_400000_NS6detail17trampoline_kernelINS0_14default_configENS1_38merge_sort_block_merge_config_selectorIjNS0_10empty_typeEEEZZNS1_27merge_sort_block_merge_implIS3_PjPS5_jNS1_19radix_merge_compareILb1ELb0EjNS0_19identity_decomposerEEEEE10hipError_tT0_T1_T2_jT3_P12ihipStream_tbPNSt15iterator_traitsISE_E10value_typeEPNSK_ISF_E10value_typeEPSG_NS1_7vsmem_tEENKUlT_SE_SF_SG_E_clIS8_S8_S9_S9_EESD_ST_SE_SF_SG_EUlST_E_NS1_11comp_targetILNS1_3genE5ELNS1_11target_archE942ELNS1_3gpuE9ELNS1_3repE0EEENS1_48merge_mergepath_partition_config_static_selectorELNS0_4arch9wavefront6targetE0EEEvSF_,comdat
	.protected	_ZN7rocprim17ROCPRIM_400000_NS6detail17trampoline_kernelINS0_14default_configENS1_38merge_sort_block_merge_config_selectorIjNS0_10empty_typeEEEZZNS1_27merge_sort_block_merge_implIS3_PjPS5_jNS1_19radix_merge_compareILb1ELb0EjNS0_19identity_decomposerEEEEE10hipError_tT0_T1_T2_jT3_P12ihipStream_tbPNSt15iterator_traitsISE_E10value_typeEPNSK_ISF_E10value_typeEPSG_NS1_7vsmem_tEENKUlT_SE_SF_SG_E_clIS8_S8_S9_S9_EESD_ST_SE_SF_SG_EUlST_E_NS1_11comp_targetILNS1_3genE5ELNS1_11target_archE942ELNS1_3gpuE9ELNS1_3repE0EEENS1_48merge_mergepath_partition_config_static_selectorELNS0_4arch9wavefront6targetE0EEEvSF_ ; -- Begin function _ZN7rocprim17ROCPRIM_400000_NS6detail17trampoline_kernelINS0_14default_configENS1_38merge_sort_block_merge_config_selectorIjNS0_10empty_typeEEEZZNS1_27merge_sort_block_merge_implIS3_PjPS5_jNS1_19radix_merge_compareILb1ELb0EjNS0_19identity_decomposerEEEEE10hipError_tT0_T1_T2_jT3_P12ihipStream_tbPNSt15iterator_traitsISE_E10value_typeEPNSK_ISF_E10value_typeEPSG_NS1_7vsmem_tEENKUlT_SE_SF_SG_E_clIS8_S8_S9_S9_EESD_ST_SE_SF_SG_EUlST_E_NS1_11comp_targetILNS1_3genE5ELNS1_11target_archE942ELNS1_3gpuE9ELNS1_3repE0EEENS1_48merge_mergepath_partition_config_static_selectorELNS0_4arch9wavefront6targetE0EEEvSF_
	.globl	_ZN7rocprim17ROCPRIM_400000_NS6detail17trampoline_kernelINS0_14default_configENS1_38merge_sort_block_merge_config_selectorIjNS0_10empty_typeEEEZZNS1_27merge_sort_block_merge_implIS3_PjPS5_jNS1_19radix_merge_compareILb1ELb0EjNS0_19identity_decomposerEEEEE10hipError_tT0_T1_T2_jT3_P12ihipStream_tbPNSt15iterator_traitsISE_E10value_typeEPNSK_ISF_E10value_typeEPSG_NS1_7vsmem_tEENKUlT_SE_SF_SG_E_clIS8_S8_S9_S9_EESD_ST_SE_SF_SG_EUlST_E_NS1_11comp_targetILNS1_3genE5ELNS1_11target_archE942ELNS1_3gpuE9ELNS1_3repE0EEENS1_48merge_mergepath_partition_config_static_selectorELNS0_4arch9wavefront6targetE0EEEvSF_
	.p2align	8
	.type	_ZN7rocprim17ROCPRIM_400000_NS6detail17trampoline_kernelINS0_14default_configENS1_38merge_sort_block_merge_config_selectorIjNS0_10empty_typeEEEZZNS1_27merge_sort_block_merge_implIS3_PjPS5_jNS1_19radix_merge_compareILb1ELb0EjNS0_19identity_decomposerEEEEE10hipError_tT0_T1_T2_jT3_P12ihipStream_tbPNSt15iterator_traitsISE_E10value_typeEPNSK_ISF_E10value_typeEPSG_NS1_7vsmem_tEENKUlT_SE_SF_SG_E_clIS8_S8_S9_S9_EESD_ST_SE_SF_SG_EUlST_E_NS1_11comp_targetILNS1_3genE5ELNS1_11target_archE942ELNS1_3gpuE9ELNS1_3repE0EEENS1_48merge_mergepath_partition_config_static_selectorELNS0_4arch9wavefront6targetE0EEEvSF_,@function
_ZN7rocprim17ROCPRIM_400000_NS6detail17trampoline_kernelINS0_14default_configENS1_38merge_sort_block_merge_config_selectorIjNS0_10empty_typeEEEZZNS1_27merge_sort_block_merge_implIS3_PjPS5_jNS1_19radix_merge_compareILb1ELb0EjNS0_19identity_decomposerEEEEE10hipError_tT0_T1_T2_jT3_P12ihipStream_tbPNSt15iterator_traitsISE_E10value_typeEPNSK_ISF_E10value_typeEPSG_NS1_7vsmem_tEENKUlT_SE_SF_SG_E_clIS8_S8_S9_S9_EESD_ST_SE_SF_SG_EUlST_E_NS1_11comp_targetILNS1_3genE5ELNS1_11target_archE942ELNS1_3gpuE9ELNS1_3repE0EEENS1_48merge_mergepath_partition_config_static_selectorELNS0_4arch9wavefront6targetE0EEEvSF_: ; @_ZN7rocprim17ROCPRIM_400000_NS6detail17trampoline_kernelINS0_14default_configENS1_38merge_sort_block_merge_config_selectorIjNS0_10empty_typeEEEZZNS1_27merge_sort_block_merge_implIS3_PjPS5_jNS1_19radix_merge_compareILb1ELb0EjNS0_19identity_decomposerEEEEE10hipError_tT0_T1_T2_jT3_P12ihipStream_tbPNSt15iterator_traitsISE_E10value_typeEPNSK_ISF_E10value_typeEPSG_NS1_7vsmem_tEENKUlT_SE_SF_SG_E_clIS8_S8_S9_S9_EESD_ST_SE_SF_SG_EUlST_E_NS1_11comp_targetILNS1_3genE5ELNS1_11target_archE942ELNS1_3gpuE9ELNS1_3repE0EEENS1_48merge_mergepath_partition_config_static_selectorELNS0_4arch9wavefront6targetE0EEEvSF_
; %bb.0:
	.section	.rodata,"a",@progbits
	.p2align	6, 0x0
	.amdhsa_kernel _ZN7rocprim17ROCPRIM_400000_NS6detail17trampoline_kernelINS0_14default_configENS1_38merge_sort_block_merge_config_selectorIjNS0_10empty_typeEEEZZNS1_27merge_sort_block_merge_implIS3_PjPS5_jNS1_19radix_merge_compareILb1ELb0EjNS0_19identity_decomposerEEEEE10hipError_tT0_T1_T2_jT3_P12ihipStream_tbPNSt15iterator_traitsISE_E10value_typeEPNSK_ISF_E10value_typeEPSG_NS1_7vsmem_tEENKUlT_SE_SF_SG_E_clIS8_S8_S9_S9_EESD_ST_SE_SF_SG_EUlST_E_NS1_11comp_targetILNS1_3genE5ELNS1_11target_archE942ELNS1_3gpuE9ELNS1_3repE0EEENS1_48merge_mergepath_partition_config_static_selectorELNS0_4arch9wavefront6targetE0EEEvSF_
		.amdhsa_group_segment_fixed_size 0
		.amdhsa_private_segment_fixed_size 0
		.amdhsa_kernarg_size 40
		.amdhsa_user_sgpr_count 2
		.amdhsa_user_sgpr_dispatch_ptr 0
		.amdhsa_user_sgpr_queue_ptr 0
		.amdhsa_user_sgpr_kernarg_segment_ptr 1
		.amdhsa_user_sgpr_dispatch_id 0
		.amdhsa_user_sgpr_kernarg_preload_length 0
		.amdhsa_user_sgpr_kernarg_preload_offset 0
		.amdhsa_user_sgpr_private_segment_size 0
		.amdhsa_wavefront_size32 1
		.amdhsa_uses_dynamic_stack 0
		.amdhsa_enable_private_segment 0
		.amdhsa_system_sgpr_workgroup_id_x 1
		.amdhsa_system_sgpr_workgroup_id_y 0
		.amdhsa_system_sgpr_workgroup_id_z 0
		.amdhsa_system_sgpr_workgroup_info 0
		.amdhsa_system_vgpr_workitem_id 0
		.amdhsa_next_free_vgpr 1
		.amdhsa_next_free_sgpr 1
		.amdhsa_named_barrier_count 0
		.amdhsa_reserve_vcc 0
		.amdhsa_float_round_mode_32 0
		.amdhsa_float_round_mode_16_64 0
		.amdhsa_float_denorm_mode_32 3
		.amdhsa_float_denorm_mode_16_64 3
		.amdhsa_fp16_overflow 0
		.amdhsa_memory_ordered 1
		.amdhsa_forward_progress 1
		.amdhsa_inst_pref_size 0
		.amdhsa_round_robin_scheduling 0
		.amdhsa_exception_fp_ieee_invalid_op 0
		.amdhsa_exception_fp_denorm_src 0
		.amdhsa_exception_fp_ieee_div_zero 0
		.amdhsa_exception_fp_ieee_overflow 0
		.amdhsa_exception_fp_ieee_underflow 0
		.amdhsa_exception_fp_ieee_inexact 0
		.amdhsa_exception_int_div_zero 0
	.end_amdhsa_kernel
	.section	.text._ZN7rocprim17ROCPRIM_400000_NS6detail17trampoline_kernelINS0_14default_configENS1_38merge_sort_block_merge_config_selectorIjNS0_10empty_typeEEEZZNS1_27merge_sort_block_merge_implIS3_PjPS5_jNS1_19radix_merge_compareILb1ELb0EjNS0_19identity_decomposerEEEEE10hipError_tT0_T1_T2_jT3_P12ihipStream_tbPNSt15iterator_traitsISE_E10value_typeEPNSK_ISF_E10value_typeEPSG_NS1_7vsmem_tEENKUlT_SE_SF_SG_E_clIS8_S8_S9_S9_EESD_ST_SE_SF_SG_EUlST_E_NS1_11comp_targetILNS1_3genE5ELNS1_11target_archE942ELNS1_3gpuE9ELNS1_3repE0EEENS1_48merge_mergepath_partition_config_static_selectorELNS0_4arch9wavefront6targetE0EEEvSF_,"axG",@progbits,_ZN7rocprim17ROCPRIM_400000_NS6detail17trampoline_kernelINS0_14default_configENS1_38merge_sort_block_merge_config_selectorIjNS0_10empty_typeEEEZZNS1_27merge_sort_block_merge_implIS3_PjPS5_jNS1_19radix_merge_compareILb1ELb0EjNS0_19identity_decomposerEEEEE10hipError_tT0_T1_T2_jT3_P12ihipStream_tbPNSt15iterator_traitsISE_E10value_typeEPNSK_ISF_E10value_typeEPSG_NS1_7vsmem_tEENKUlT_SE_SF_SG_E_clIS8_S8_S9_S9_EESD_ST_SE_SF_SG_EUlST_E_NS1_11comp_targetILNS1_3genE5ELNS1_11target_archE942ELNS1_3gpuE9ELNS1_3repE0EEENS1_48merge_mergepath_partition_config_static_selectorELNS0_4arch9wavefront6targetE0EEEvSF_,comdat
.Lfunc_end2553:
	.size	_ZN7rocprim17ROCPRIM_400000_NS6detail17trampoline_kernelINS0_14default_configENS1_38merge_sort_block_merge_config_selectorIjNS0_10empty_typeEEEZZNS1_27merge_sort_block_merge_implIS3_PjPS5_jNS1_19radix_merge_compareILb1ELb0EjNS0_19identity_decomposerEEEEE10hipError_tT0_T1_T2_jT3_P12ihipStream_tbPNSt15iterator_traitsISE_E10value_typeEPNSK_ISF_E10value_typeEPSG_NS1_7vsmem_tEENKUlT_SE_SF_SG_E_clIS8_S8_S9_S9_EESD_ST_SE_SF_SG_EUlST_E_NS1_11comp_targetILNS1_3genE5ELNS1_11target_archE942ELNS1_3gpuE9ELNS1_3repE0EEENS1_48merge_mergepath_partition_config_static_selectorELNS0_4arch9wavefront6targetE0EEEvSF_, .Lfunc_end2553-_ZN7rocprim17ROCPRIM_400000_NS6detail17trampoline_kernelINS0_14default_configENS1_38merge_sort_block_merge_config_selectorIjNS0_10empty_typeEEEZZNS1_27merge_sort_block_merge_implIS3_PjPS5_jNS1_19radix_merge_compareILb1ELb0EjNS0_19identity_decomposerEEEEE10hipError_tT0_T1_T2_jT3_P12ihipStream_tbPNSt15iterator_traitsISE_E10value_typeEPNSK_ISF_E10value_typeEPSG_NS1_7vsmem_tEENKUlT_SE_SF_SG_E_clIS8_S8_S9_S9_EESD_ST_SE_SF_SG_EUlST_E_NS1_11comp_targetILNS1_3genE5ELNS1_11target_archE942ELNS1_3gpuE9ELNS1_3repE0EEENS1_48merge_mergepath_partition_config_static_selectorELNS0_4arch9wavefront6targetE0EEEvSF_
                                        ; -- End function
	.set _ZN7rocprim17ROCPRIM_400000_NS6detail17trampoline_kernelINS0_14default_configENS1_38merge_sort_block_merge_config_selectorIjNS0_10empty_typeEEEZZNS1_27merge_sort_block_merge_implIS3_PjPS5_jNS1_19radix_merge_compareILb1ELb0EjNS0_19identity_decomposerEEEEE10hipError_tT0_T1_T2_jT3_P12ihipStream_tbPNSt15iterator_traitsISE_E10value_typeEPNSK_ISF_E10value_typeEPSG_NS1_7vsmem_tEENKUlT_SE_SF_SG_E_clIS8_S8_S9_S9_EESD_ST_SE_SF_SG_EUlST_E_NS1_11comp_targetILNS1_3genE5ELNS1_11target_archE942ELNS1_3gpuE9ELNS1_3repE0EEENS1_48merge_mergepath_partition_config_static_selectorELNS0_4arch9wavefront6targetE0EEEvSF_.num_vgpr, 0
	.set _ZN7rocprim17ROCPRIM_400000_NS6detail17trampoline_kernelINS0_14default_configENS1_38merge_sort_block_merge_config_selectorIjNS0_10empty_typeEEEZZNS1_27merge_sort_block_merge_implIS3_PjPS5_jNS1_19radix_merge_compareILb1ELb0EjNS0_19identity_decomposerEEEEE10hipError_tT0_T1_T2_jT3_P12ihipStream_tbPNSt15iterator_traitsISE_E10value_typeEPNSK_ISF_E10value_typeEPSG_NS1_7vsmem_tEENKUlT_SE_SF_SG_E_clIS8_S8_S9_S9_EESD_ST_SE_SF_SG_EUlST_E_NS1_11comp_targetILNS1_3genE5ELNS1_11target_archE942ELNS1_3gpuE9ELNS1_3repE0EEENS1_48merge_mergepath_partition_config_static_selectorELNS0_4arch9wavefront6targetE0EEEvSF_.num_agpr, 0
	.set _ZN7rocprim17ROCPRIM_400000_NS6detail17trampoline_kernelINS0_14default_configENS1_38merge_sort_block_merge_config_selectorIjNS0_10empty_typeEEEZZNS1_27merge_sort_block_merge_implIS3_PjPS5_jNS1_19radix_merge_compareILb1ELb0EjNS0_19identity_decomposerEEEEE10hipError_tT0_T1_T2_jT3_P12ihipStream_tbPNSt15iterator_traitsISE_E10value_typeEPNSK_ISF_E10value_typeEPSG_NS1_7vsmem_tEENKUlT_SE_SF_SG_E_clIS8_S8_S9_S9_EESD_ST_SE_SF_SG_EUlST_E_NS1_11comp_targetILNS1_3genE5ELNS1_11target_archE942ELNS1_3gpuE9ELNS1_3repE0EEENS1_48merge_mergepath_partition_config_static_selectorELNS0_4arch9wavefront6targetE0EEEvSF_.numbered_sgpr, 0
	.set _ZN7rocprim17ROCPRIM_400000_NS6detail17trampoline_kernelINS0_14default_configENS1_38merge_sort_block_merge_config_selectorIjNS0_10empty_typeEEEZZNS1_27merge_sort_block_merge_implIS3_PjPS5_jNS1_19radix_merge_compareILb1ELb0EjNS0_19identity_decomposerEEEEE10hipError_tT0_T1_T2_jT3_P12ihipStream_tbPNSt15iterator_traitsISE_E10value_typeEPNSK_ISF_E10value_typeEPSG_NS1_7vsmem_tEENKUlT_SE_SF_SG_E_clIS8_S8_S9_S9_EESD_ST_SE_SF_SG_EUlST_E_NS1_11comp_targetILNS1_3genE5ELNS1_11target_archE942ELNS1_3gpuE9ELNS1_3repE0EEENS1_48merge_mergepath_partition_config_static_selectorELNS0_4arch9wavefront6targetE0EEEvSF_.num_named_barrier, 0
	.set _ZN7rocprim17ROCPRIM_400000_NS6detail17trampoline_kernelINS0_14default_configENS1_38merge_sort_block_merge_config_selectorIjNS0_10empty_typeEEEZZNS1_27merge_sort_block_merge_implIS3_PjPS5_jNS1_19radix_merge_compareILb1ELb0EjNS0_19identity_decomposerEEEEE10hipError_tT0_T1_T2_jT3_P12ihipStream_tbPNSt15iterator_traitsISE_E10value_typeEPNSK_ISF_E10value_typeEPSG_NS1_7vsmem_tEENKUlT_SE_SF_SG_E_clIS8_S8_S9_S9_EESD_ST_SE_SF_SG_EUlST_E_NS1_11comp_targetILNS1_3genE5ELNS1_11target_archE942ELNS1_3gpuE9ELNS1_3repE0EEENS1_48merge_mergepath_partition_config_static_selectorELNS0_4arch9wavefront6targetE0EEEvSF_.private_seg_size, 0
	.set _ZN7rocprim17ROCPRIM_400000_NS6detail17trampoline_kernelINS0_14default_configENS1_38merge_sort_block_merge_config_selectorIjNS0_10empty_typeEEEZZNS1_27merge_sort_block_merge_implIS3_PjPS5_jNS1_19radix_merge_compareILb1ELb0EjNS0_19identity_decomposerEEEEE10hipError_tT0_T1_T2_jT3_P12ihipStream_tbPNSt15iterator_traitsISE_E10value_typeEPNSK_ISF_E10value_typeEPSG_NS1_7vsmem_tEENKUlT_SE_SF_SG_E_clIS8_S8_S9_S9_EESD_ST_SE_SF_SG_EUlST_E_NS1_11comp_targetILNS1_3genE5ELNS1_11target_archE942ELNS1_3gpuE9ELNS1_3repE0EEENS1_48merge_mergepath_partition_config_static_selectorELNS0_4arch9wavefront6targetE0EEEvSF_.uses_vcc, 0
	.set _ZN7rocprim17ROCPRIM_400000_NS6detail17trampoline_kernelINS0_14default_configENS1_38merge_sort_block_merge_config_selectorIjNS0_10empty_typeEEEZZNS1_27merge_sort_block_merge_implIS3_PjPS5_jNS1_19radix_merge_compareILb1ELb0EjNS0_19identity_decomposerEEEEE10hipError_tT0_T1_T2_jT3_P12ihipStream_tbPNSt15iterator_traitsISE_E10value_typeEPNSK_ISF_E10value_typeEPSG_NS1_7vsmem_tEENKUlT_SE_SF_SG_E_clIS8_S8_S9_S9_EESD_ST_SE_SF_SG_EUlST_E_NS1_11comp_targetILNS1_3genE5ELNS1_11target_archE942ELNS1_3gpuE9ELNS1_3repE0EEENS1_48merge_mergepath_partition_config_static_selectorELNS0_4arch9wavefront6targetE0EEEvSF_.uses_flat_scratch, 0
	.set _ZN7rocprim17ROCPRIM_400000_NS6detail17trampoline_kernelINS0_14default_configENS1_38merge_sort_block_merge_config_selectorIjNS0_10empty_typeEEEZZNS1_27merge_sort_block_merge_implIS3_PjPS5_jNS1_19radix_merge_compareILb1ELb0EjNS0_19identity_decomposerEEEEE10hipError_tT0_T1_T2_jT3_P12ihipStream_tbPNSt15iterator_traitsISE_E10value_typeEPNSK_ISF_E10value_typeEPSG_NS1_7vsmem_tEENKUlT_SE_SF_SG_E_clIS8_S8_S9_S9_EESD_ST_SE_SF_SG_EUlST_E_NS1_11comp_targetILNS1_3genE5ELNS1_11target_archE942ELNS1_3gpuE9ELNS1_3repE0EEENS1_48merge_mergepath_partition_config_static_selectorELNS0_4arch9wavefront6targetE0EEEvSF_.has_dyn_sized_stack, 0
	.set _ZN7rocprim17ROCPRIM_400000_NS6detail17trampoline_kernelINS0_14default_configENS1_38merge_sort_block_merge_config_selectorIjNS0_10empty_typeEEEZZNS1_27merge_sort_block_merge_implIS3_PjPS5_jNS1_19radix_merge_compareILb1ELb0EjNS0_19identity_decomposerEEEEE10hipError_tT0_T1_T2_jT3_P12ihipStream_tbPNSt15iterator_traitsISE_E10value_typeEPNSK_ISF_E10value_typeEPSG_NS1_7vsmem_tEENKUlT_SE_SF_SG_E_clIS8_S8_S9_S9_EESD_ST_SE_SF_SG_EUlST_E_NS1_11comp_targetILNS1_3genE5ELNS1_11target_archE942ELNS1_3gpuE9ELNS1_3repE0EEENS1_48merge_mergepath_partition_config_static_selectorELNS0_4arch9wavefront6targetE0EEEvSF_.has_recursion, 0
	.set _ZN7rocprim17ROCPRIM_400000_NS6detail17trampoline_kernelINS0_14default_configENS1_38merge_sort_block_merge_config_selectorIjNS0_10empty_typeEEEZZNS1_27merge_sort_block_merge_implIS3_PjPS5_jNS1_19radix_merge_compareILb1ELb0EjNS0_19identity_decomposerEEEEE10hipError_tT0_T1_T2_jT3_P12ihipStream_tbPNSt15iterator_traitsISE_E10value_typeEPNSK_ISF_E10value_typeEPSG_NS1_7vsmem_tEENKUlT_SE_SF_SG_E_clIS8_S8_S9_S9_EESD_ST_SE_SF_SG_EUlST_E_NS1_11comp_targetILNS1_3genE5ELNS1_11target_archE942ELNS1_3gpuE9ELNS1_3repE0EEENS1_48merge_mergepath_partition_config_static_selectorELNS0_4arch9wavefront6targetE0EEEvSF_.has_indirect_call, 0
	.section	.AMDGPU.csdata,"",@progbits
; Kernel info:
; codeLenInByte = 0
; TotalNumSgprs: 0
; NumVgprs: 0
; ScratchSize: 0
; MemoryBound: 0
; FloatMode: 240
; IeeeMode: 1
; LDSByteSize: 0 bytes/workgroup (compile time only)
; SGPRBlocks: 0
; VGPRBlocks: 0
; NumSGPRsForWavesPerEU: 1
; NumVGPRsForWavesPerEU: 1
; NamedBarCnt: 0
; Occupancy: 16
; WaveLimiterHint : 0
; COMPUTE_PGM_RSRC2:SCRATCH_EN: 0
; COMPUTE_PGM_RSRC2:USER_SGPR: 2
; COMPUTE_PGM_RSRC2:TRAP_HANDLER: 0
; COMPUTE_PGM_RSRC2:TGID_X_EN: 1
; COMPUTE_PGM_RSRC2:TGID_Y_EN: 0
; COMPUTE_PGM_RSRC2:TGID_Z_EN: 0
; COMPUTE_PGM_RSRC2:TIDIG_COMP_CNT: 0
	.section	.text._ZN7rocprim17ROCPRIM_400000_NS6detail17trampoline_kernelINS0_14default_configENS1_38merge_sort_block_merge_config_selectorIjNS0_10empty_typeEEEZZNS1_27merge_sort_block_merge_implIS3_PjPS5_jNS1_19radix_merge_compareILb1ELb0EjNS0_19identity_decomposerEEEEE10hipError_tT0_T1_T2_jT3_P12ihipStream_tbPNSt15iterator_traitsISE_E10value_typeEPNSK_ISF_E10value_typeEPSG_NS1_7vsmem_tEENKUlT_SE_SF_SG_E_clIS8_S8_S9_S9_EESD_ST_SE_SF_SG_EUlST_E_NS1_11comp_targetILNS1_3genE4ELNS1_11target_archE910ELNS1_3gpuE8ELNS1_3repE0EEENS1_48merge_mergepath_partition_config_static_selectorELNS0_4arch9wavefront6targetE0EEEvSF_,"axG",@progbits,_ZN7rocprim17ROCPRIM_400000_NS6detail17trampoline_kernelINS0_14default_configENS1_38merge_sort_block_merge_config_selectorIjNS0_10empty_typeEEEZZNS1_27merge_sort_block_merge_implIS3_PjPS5_jNS1_19radix_merge_compareILb1ELb0EjNS0_19identity_decomposerEEEEE10hipError_tT0_T1_T2_jT3_P12ihipStream_tbPNSt15iterator_traitsISE_E10value_typeEPNSK_ISF_E10value_typeEPSG_NS1_7vsmem_tEENKUlT_SE_SF_SG_E_clIS8_S8_S9_S9_EESD_ST_SE_SF_SG_EUlST_E_NS1_11comp_targetILNS1_3genE4ELNS1_11target_archE910ELNS1_3gpuE8ELNS1_3repE0EEENS1_48merge_mergepath_partition_config_static_selectorELNS0_4arch9wavefront6targetE0EEEvSF_,comdat
	.protected	_ZN7rocprim17ROCPRIM_400000_NS6detail17trampoline_kernelINS0_14default_configENS1_38merge_sort_block_merge_config_selectorIjNS0_10empty_typeEEEZZNS1_27merge_sort_block_merge_implIS3_PjPS5_jNS1_19radix_merge_compareILb1ELb0EjNS0_19identity_decomposerEEEEE10hipError_tT0_T1_T2_jT3_P12ihipStream_tbPNSt15iterator_traitsISE_E10value_typeEPNSK_ISF_E10value_typeEPSG_NS1_7vsmem_tEENKUlT_SE_SF_SG_E_clIS8_S8_S9_S9_EESD_ST_SE_SF_SG_EUlST_E_NS1_11comp_targetILNS1_3genE4ELNS1_11target_archE910ELNS1_3gpuE8ELNS1_3repE0EEENS1_48merge_mergepath_partition_config_static_selectorELNS0_4arch9wavefront6targetE0EEEvSF_ ; -- Begin function _ZN7rocprim17ROCPRIM_400000_NS6detail17trampoline_kernelINS0_14default_configENS1_38merge_sort_block_merge_config_selectorIjNS0_10empty_typeEEEZZNS1_27merge_sort_block_merge_implIS3_PjPS5_jNS1_19radix_merge_compareILb1ELb0EjNS0_19identity_decomposerEEEEE10hipError_tT0_T1_T2_jT3_P12ihipStream_tbPNSt15iterator_traitsISE_E10value_typeEPNSK_ISF_E10value_typeEPSG_NS1_7vsmem_tEENKUlT_SE_SF_SG_E_clIS8_S8_S9_S9_EESD_ST_SE_SF_SG_EUlST_E_NS1_11comp_targetILNS1_3genE4ELNS1_11target_archE910ELNS1_3gpuE8ELNS1_3repE0EEENS1_48merge_mergepath_partition_config_static_selectorELNS0_4arch9wavefront6targetE0EEEvSF_
	.globl	_ZN7rocprim17ROCPRIM_400000_NS6detail17trampoline_kernelINS0_14default_configENS1_38merge_sort_block_merge_config_selectorIjNS0_10empty_typeEEEZZNS1_27merge_sort_block_merge_implIS3_PjPS5_jNS1_19radix_merge_compareILb1ELb0EjNS0_19identity_decomposerEEEEE10hipError_tT0_T1_T2_jT3_P12ihipStream_tbPNSt15iterator_traitsISE_E10value_typeEPNSK_ISF_E10value_typeEPSG_NS1_7vsmem_tEENKUlT_SE_SF_SG_E_clIS8_S8_S9_S9_EESD_ST_SE_SF_SG_EUlST_E_NS1_11comp_targetILNS1_3genE4ELNS1_11target_archE910ELNS1_3gpuE8ELNS1_3repE0EEENS1_48merge_mergepath_partition_config_static_selectorELNS0_4arch9wavefront6targetE0EEEvSF_
	.p2align	8
	.type	_ZN7rocprim17ROCPRIM_400000_NS6detail17trampoline_kernelINS0_14default_configENS1_38merge_sort_block_merge_config_selectorIjNS0_10empty_typeEEEZZNS1_27merge_sort_block_merge_implIS3_PjPS5_jNS1_19radix_merge_compareILb1ELb0EjNS0_19identity_decomposerEEEEE10hipError_tT0_T1_T2_jT3_P12ihipStream_tbPNSt15iterator_traitsISE_E10value_typeEPNSK_ISF_E10value_typeEPSG_NS1_7vsmem_tEENKUlT_SE_SF_SG_E_clIS8_S8_S9_S9_EESD_ST_SE_SF_SG_EUlST_E_NS1_11comp_targetILNS1_3genE4ELNS1_11target_archE910ELNS1_3gpuE8ELNS1_3repE0EEENS1_48merge_mergepath_partition_config_static_selectorELNS0_4arch9wavefront6targetE0EEEvSF_,@function
_ZN7rocprim17ROCPRIM_400000_NS6detail17trampoline_kernelINS0_14default_configENS1_38merge_sort_block_merge_config_selectorIjNS0_10empty_typeEEEZZNS1_27merge_sort_block_merge_implIS3_PjPS5_jNS1_19radix_merge_compareILb1ELb0EjNS0_19identity_decomposerEEEEE10hipError_tT0_T1_T2_jT3_P12ihipStream_tbPNSt15iterator_traitsISE_E10value_typeEPNSK_ISF_E10value_typeEPSG_NS1_7vsmem_tEENKUlT_SE_SF_SG_E_clIS8_S8_S9_S9_EESD_ST_SE_SF_SG_EUlST_E_NS1_11comp_targetILNS1_3genE4ELNS1_11target_archE910ELNS1_3gpuE8ELNS1_3repE0EEENS1_48merge_mergepath_partition_config_static_selectorELNS0_4arch9wavefront6targetE0EEEvSF_: ; @_ZN7rocprim17ROCPRIM_400000_NS6detail17trampoline_kernelINS0_14default_configENS1_38merge_sort_block_merge_config_selectorIjNS0_10empty_typeEEEZZNS1_27merge_sort_block_merge_implIS3_PjPS5_jNS1_19radix_merge_compareILb1ELb0EjNS0_19identity_decomposerEEEEE10hipError_tT0_T1_T2_jT3_P12ihipStream_tbPNSt15iterator_traitsISE_E10value_typeEPNSK_ISF_E10value_typeEPSG_NS1_7vsmem_tEENKUlT_SE_SF_SG_E_clIS8_S8_S9_S9_EESD_ST_SE_SF_SG_EUlST_E_NS1_11comp_targetILNS1_3genE4ELNS1_11target_archE910ELNS1_3gpuE8ELNS1_3repE0EEENS1_48merge_mergepath_partition_config_static_selectorELNS0_4arch9wavefront6targetE0EEEvSF_
; %bb.0:
	.section	.rodata,"a",@progbits
	.p2align	6, 0x0
	.amdhsa_kernel _ZN7rocprim17ROCPRIM_400000_NS6detail17trampoline_kernelINS0_14default_configENS1_38merge_sort_block_merge_config_selectorIjNS0_10empty_typeEEEZZNS1_27merge_sort_block_merge_implIS3_PjPS5_jNS1_19radix_merge_compareILb1ELb0EjNS0_19identity_decomposerEEEEE10hipError_tT0_T1_T2_jT3_P12ihipStream_tbPNSt15iterator_traitsISE_E10value_typeEPNSK_ISF_E10value_typeEPSG_NS1_7vsmem_tEENKUlT_SE_SF_SG_E_clIS8_S8_S9_S9_EESD_ST_SE_SF_SG_EUlST_E_NS1_11comp_targetILNS1_3genE4ELNS1_11target_archE910ELNS1_3gpuE8ELNS1_3repE0EEENS1_48merge_mergepath_partition_config_static_selectorELNS0_4arch9wavefront6targetE0EEEvSF_
		.amdhsa_group_segment_fixed_size 0
		.amdhsa_private_segment_fixed_size 0
		.amdhsa_kernarg_size 40
		.amdhsa_user_sgpr_count 2
		.amdhsa_user_sgpr_dispatch_ptr 0
		.amdhsa_user_sgpr_queue_ptr 0
		.amdhsa_user_sgpr_kernarg_segment_ptr 1
		.amdhsa_user_sgpr_dispatch_id 0
		.amdhsa_user_sgpr_kernarg_preload_length 0
		.amdhsa_user_sgpr_kernarg_preload_offset 0
		.amdhsa_user_sgpr_private_segment_size 0
		.amdhsa_wavefront_size32 1
		.amdhsa_uses_dynamic_stack 0
		.amdhsa_enable_private_segment 0
		.amdhsa_system_sgpr_workgroup_id_x 1
		.amdhsa_system_sgpr_workgroup_id_y 0
		.amdhsa_system_sgpr_workgroup_id_z 0
		.amdhsa_system_sgpr_workgroup_info 0
		.amdhsa_system_vgpr_workitem_id 0
		.amdhsa_next_free_vgpr 1
		.amdhsa_next_free_sgpr 1
		.amdhsa_named_barrier_count 0
		.amdhsa_reserve_vcc 0
		.amdhsa_float_round_mode_32 0
		.amdhsa_float_round_mode_16_64 0
		.amdhsa_float_denorm_mode_32 3
		.amdhsa_float_denorm_mode_16_64 3
		.amdhsa_fp16_overflow 0
		.amdhsa_memory_ordered 1
		.amdhsa_forward_progress 1
		.amdhsa_inst_pref_size 0
		.amdhsa_round_robin_scheduling 0
		.amdhsa_exception_fp_ieee_invalid_op 0
		.amdhsa_exception_fp_denorm_src 0
		.amdhsa_exception_fp_ieee_div_zero 0
		.amdhsa_exception_fp_ieee_overflow 0
		.amdhsa_exception_fp_ieee_underflow 0
		.amdhsa_exception_fp_ieee_inexact 0
		.amdhsa_exception_int_div_zero 0
	.end_amdhsa_kernel
	.section	.text._ZN7rocprim17ROCPRIM_400000_NS6detail17trampoline_kernelINS0_14default_configENS1_38merge_sort_block_merge_config_selectorIjNS0_10empty_typeEEEZZNS1_27merge_sort_block_merge_implIS3_PjPS5_jNS1_19radix_merge_compareILb1ELb0EjNS0_19identity_decomposerEEEEE10hipError_tT0_T1_T2_jT3_P12ihipStream_tbPNSt15iterator_traitsISE_E10value_typeEPNSK_ISF_E10value_typeEPSG_NS1_7vsmem_tEENKUlT_SE_SF_SG_E_clIS8_S8_S9_S9_EESD_ST_SE_SF_SG_EUlST_E_NS1_11comp_targetILNS1_3genE4ELNS1_11target_archE910ELNS1_3gpuE8ELNS1_3repE0EEENS1_48merge_mergepath_partition_config_static_selectorELNS0_4arch9wavefront6targetE0EEEvSF_,"axG",@progbits,_ZN7rocprim17ROCPRIM_400000_NS6detail17trampoline_kernelINS0_14default_configENS1_38merge_sort_block_merge_config_selectorIjNS0_10empty_typeEEEZZNS1_27merge_sort_block_merge_implIS3_PjPS5_jNS1_19radix_merge_compareILb1ELb0EjNS0_19identity_decomposerEEEEE10hipError_tT0_T1_T2_jT3_P12ihipStream_tbPNSt15iterator_traitsISE_E10value_typeEPNSK_ISF_E10value_typeEPSG_NS1_7vsmem_tEENKUlT_SE_SF_SG_E_clIS8_S8_S9_S9_EESD_ST_SE_SF_SG_EUlST_E_NS1_11comp_targetILNS1_3genE4ELNS1_11target_archE910ELNS1_3gpuE8ELNS1_3repE0EEENS1_48merge_mergepath_partition_config_static_selectorELNS0_4arch9wavefront6targetE0EEEvSF_,comdat
.Lfunc_end2554:
	.size	_ZN7rocprim17ROCPRIM_400000_NS6detail17trampoline_kernelINS0_14default_configENS1_38merge_sort_block_merge_config_selectorIjNS0_10empty_typeEEEZZNS1_27merge_sort_block_merge_implIS3_PjPS5_jNS1_19radix_merge_compareILb1ELb0EjNS0_19identity_decomposerEEEEE10hipError_tT0_T1_T2_jT3_P12ihipStream_tbPNSt15iterator_traitsISE_E10value_typeEPNSK_ISF_E10value_typeEPSG_NS1_7vsmem_tEENKUlT_SE_SF_SG_E_clIS8_S8_S9_S9_EESD_ST_SE_SF_SG_EUlST_E_NS1_11comp_targetILNS1_3genE4ELNS1_11target_archE910ELNS1_3gpuE8ELNS1_3repE0EEENS1_48merge_mergepath_partition_config_static_selectorELNS0_4arch9wavefront6targetE0EEEvSF_, .Lfunc_end2554-_ZN7rocprim17ROCPRIM_400000_NS6detail17trampoline_kernelINS0_14default_configENS1_38merge_sort_block_merge_config_selectorIjNS0_10empty_typeEEEZZNS1_27merge_sort_block_merge_implIS3_PjPS5_jNS1_19radix_merge_compareILb1ELb0EjNS0_19identity_decomposerEEEEE10hipError_tT0_T1_T2_jT3_P12ihipStream_tbPNSt15iterator_traitsISE_E10value_typeEPNSK_ISF_E10value_typeEPSG_NS1_7vsmem_tEENKUlT_SE_SF_SG_E_clIS8_S8_S9_S9_EESD_ST_SE_SF_SG_EUlST_E_NS1_11comp_targetILNS1_3genE4ELNS1_11target_archE910ELNS1_3gpuE8ELNS1_3repE0EEENS1_48merge_mergepath_partition_config_static_selectorELNS0_4arch9wavefront6targetE0EEEvSF_
                                        ; -- End function
	.set _ZN7rocprim17ROCPRIM_400000_NS6detail17trampoline_kernelINS0_14default_configENS1_38merge_sort_block_merge_config_selectorIjNS0_10empty_typeEEEZZNS1_27merge_sort_block_merge_implIS3_PjPS5_jNS1_19radix_merge_compareILb1ELb0EjNS0_19identity_decomposerEEEEE10hipError_tT0_T1_T2_jT3_P12ihipStream_tbPNSt15iterator_traitsISE_E10value_typeEPNSK_ISF_E10value_typeEPSG_NS1_7vsmem_tEENKUlT_SE_SF_SG_E_clIS8_S8_S9_S9_EESD_ST_SE_SF_SG_EUlST_E_NS1_11comp_targetILNS1_3genE4ELNS1_11target_archE910ELNS1_3gpuE8ELNS1_3repE0EEENS1_48merge_mergepath_partition_config_static_selectorELNS0_4arch9wavefront6targetE0EEEvSF_.num_vgpr, 0
	.set _ZN7rocprim17ROCPRIM_400000_NS6detail17trampoline_kernelINS0_14default_configENS1_38merge_sort_block_merge_config_selectorIjNS0_10empty_typeEEEZZNS1_27merge_sort_block_merge_implIS3_PjPS5_jNS1_19radix_merge_compareILb1ELb0EjNS0_19identity_decomposerEEEEE10hipError_tT0_T1_T2_jT3_P12ihipStream_tbPNSt15iterator_traitsISE_E10value_typeEPNSK_ISF_E10value_typeEPSG_NS1_7vsmem_tEENKUlT_SE_SF_SG_E_clIS8_S8_S9_S9_EESD_ST_SE_SF_SG_EUlST_E_NS1_11comp_targetILNS1_3genE4ELNS1_11target_archE910ELNS1_3gpuE8ELNS1_3repE0EEENS1_48merge_mergepath_partition_config_static_selectorELNS0_4arch9wavefront6targetE0EEEvSF_.num_agpr, 0
	.set _ZN7rocprim17ROCPRIM_400000_NS6detail17trampoline_kernelINS0_14default_configENS1_38merge_sort_block_merge_config_selectorIjNS0_10empty_typeEEEZZNS1_27merge_sort_block_merge_implIS3_PjPS5_jNS1_19radix_merge_compareILb1ELb0EjNS0_19identity_decomposerEEEEE10hipError_tT0_T1_T2_jT3_P12ihipStream_tbPNSt15iterator_traitsISE_E10value_typeEPNSK_ISF_E10value_typeEPSG_NS1_7vsmem_tEENKUlT_SE_SF_SG_E_clIS8_S8_S9_S9_EESD_ST_SE_SF_SG_EUlST_E_NS1_11comp_targetILNS1_3genE4ELNS1_11target_archE910ELNS1_3gpuE8ELNS1_3repE0EEENS1_48merge_mergepath_partition_config_static_selectorELNS0_4arch9wavefront6targetE0EEEvSF_.numbered_sgpr, 0
	.set _ZN7rocprim17ROCPRIM_400000_NS6detail17trampoline_kernelINS0_14default_configENS1_38merge_sort_block_merge_config_selectorIjNS0_10empty_typeEEEZZNS1_27merge_sort_block_merge_implIS3_PjPS5_jNS1_19radix_merge_compareILb1ELb0EjNS0_19identity_decomposerEEEEE10hipError_tT0_T1_T2_jT3_P12ihipStream_tbPNSt15iterator_traitsISE_E10value_typeEPNSK_ISF_E10value_typeEPSG_NS1_7vsmem_tEENKUlT_SE_SF_SG_E_clIS8_S8_S9_S9_EESD_ST_SE_SF_SG_EUlST_E_NS1_11comp_targetILNS1_3genE4ELNS1_11target_archE910ELNS1_3gpuE8ELNS1_3repE0EEENS1_48merge_mergepath_partition_config_static_selectorELNS0_4arch9wavefront6targetE0EEEvSF_.num_named_barrier, 0
	.set _ZN7rocprim17ROCPRIM_400000_NS6detail17trampoline_kernelINS0_14default_configENS1_38merge_sort_block_merge_config_selectorIjNS0_10empty_typeEEEZZNS1_27merge_sort_block_merge_implIS3_PjPS5_jNS1_19radix_merge_compareILb1ELb0EjNS0_19identity_decomposerEEEEE10hipError_tT0_T1_T2_jT3_P12ihipStream_tbPNSt15iterator_traitsISE_E10value_typeEPNSK_ISF_E10value_typeEPSG_NS1_7vsmem_tEENKUlT_SE_SF_SG_E_clIS8_S8_S9_S9_EESD_ST_SE_SF_SG_EUlST_E_NS1_11comp_targetILNS1_3genE4ELNS1_11target_archE910ELNS1_3gpuE8ELNS1_3repE0EEENS1_48merge_mergepath_partition_config_static_selectorELNS0_4arch9wavefront6targetE0EEEvSF_.private_seg_size, 0
	.set _ZN7rocprim17ROCPRIM_400000_NS6detail17trampoline_kernelINS0_14default_configENS1_38merge_sort_block_merge_config_selectorIjNS0_10empty_typeEEEZZNS1_27merge_sort_block_merge_implIS3_PjPS5_jNS1_19radix_merge_compareILb1ELb0EjNS0_19identity_decomposerEEEEE10hipError_tT0_T1_T2_jT3_P12ihipStream_tbPNSt15iterator_traitsISE_E10value_typeEPNSK_ISF_E10value_typeEPSG_NS1_7vsmem_tEENKUlT_SE_SF_SG_E_clIS8_S8_S9_S9_EESD_ST_SE_SF_SG_EUlST_E_NS1_11comp_targetILNS1_3genE4ELNS1_11target_archE910ELNS1_3gpuE8ELNS1_3repE0EEENS1_48merge_mergepath_partition_config_static_selectorELNS0_4arch9wavefront6targetE0EEEvSF_.uses_vcc, 0
	.set _ZN7rocprim17ROCPRIM_400000_NS6detail17trampoline_kernelINS0_14default_configENS1_38merge_sort_block_merge_config_selectorIjNS0_10empty_typeEEEZZNS1_27merge_sort_block_merge_implIS3_PjPS5_jNS1_19radix_merge_compareILb1ELb0EjNS0_19identity_decomposerEEEEE10hipError_tT0_T1_T2_jT3_P12ihipStream_tbPNSt15iterator_traitsISE_E10value_typeEPNSK_ISF_E10value_typeEPSG_NS1_7vsmem_tEENKUlT_SE_SF_SG_E_clIS8_S8_S9_S9_EESD_ST_SE_SF_SG_EUlST_E_NS1_11comp_targetILNS1_3genE4ELNS1_11target_archE910ELNS1_3gpuE8ELNS1_3repE0EEENS1_48merge_mergepath_partition_config_static_selectorELNS0_4arch9wavefront6targetE0EEEvSF_.uses_flat_scratch, 0
	.set _ZN7rocprim17ROCPRIM_400000_NS6detail17trampoline_kernelINS0_14default_configENS1_38merge_sort_block_merge_config_selectorIjNS0_10empty_typeEEEZZNS1_27merge_sort_block_merge_implIS3_PjPS5_jNS1_19radix_merge_compareILb1ELb0EjNS0_19identity_decomposerEEEEE10hipError_tT0_T1_T2_jT3_P12ihipStream_tbPNSt15iterator_traitsISE_E10value_typeEPNSK_ISF_E10value_typeEPSG_NS1_7vsmem_tEENKUlT_SE_SF_SG_E_clIS8_S8_S9_S9_EESD_ST_SE_SF_SG_EUlST_E_NS1_11comp_targetILNS1_3genE4ELNS1_11target_archE910ELNS1_3gpuE8ELNS1_3repE0EEENS1_48merge_mergepath_partition_config_static_selectorELNS0_4arch9wavefront6targetE0EEEvSF_.has_dyn_sized_stack, 0
	.set _ZN7rocprim17ROCPRIM_400000_NS6detail17trampoline_kernelINS0_14default_configENS1_38merge_sort_block_merge_config_selectorIjNS0_10empty_typeEEEZZNS1_27merge_sort_block_merge_implIS3_PjPS5_jNS1_19radix_merge_compareILb1ELb0EjNS0_19identity_decomposerEEEEE10hipError_tT0_T1_T2_jT3_P12ihipStream_tbPNSt15iterator_traitsISE_E10value_typeEPNSK_ISF_E10value_typeEPSG_NS1_7vsmem_tEENKUlT_SE_SF_SG_E_clIS8_S8_S9_S9_EESD_ST_SE_SF_SG_EUlST_E_NS1_11comp_targetILNS1_3genE4ELNS1_11target_archE910ELNS1_3gpuE8ELNS1_3repE0EEENS1_48merge_mergepath_partition_config_static_selectorELNS0_4arch9wavefront6targetE0EEEvSF_.has_recursion, 0
	.set _ZN7rocprim17ROCPRIM_400000_NS6detail17trampoline_kernelINS0_14default_configENS1_38merge_sort_block_merge_config_selectorIjNS0_10empty_typeEEEZZNS1_27merge_sort_block_merge_implIS3_PjPS5_jNS1_19radix_merge_compareILb1ELb0EjNS0_19identity_decomposerEEEEE10hipError_tT0_T1_T2_jT3_P12ihipStream_tbPNSt15iterator_traitsISE_E10value_typeEPNSK_ISF_E10value_typeEPSG_NS1_7vsmem_tEENKUlT_SE_SF_SG_E_clIS8_S8_S9_S9_EESD_ST_SE_SF_SG_EUlST_E_NS1_11comp_targetILNS1_3genE4ELNS1_11target_archE910ELNS1_3gpuE8ELNS1_3repE0EEENS1_48merge_mergepath_partition_config_static_selectorELNS0_4arch9wavefront6targetE0EEEvSF_.has_indirect_call, 0
	.section	.AMDGPU.csdata,"",@progbits
; Kernel info:
; codeLenInByte = 0
; TotalNumSgprs: 0
; NumVgprs: 0
; ScratchSize: 0
; MemoryBound: 0
; FloatMode: 240
; IeeeMode: 1
; LDSByteSize: 0 bytes/workgroup (compile time only)
; SGPRBlocks: 0
; VGPRBlocks: 0
; NumSGPRsForWavesPerEU: 1
; NumVGPRsForWavesPerEU: 1
; NamedBarCnt: 0
; Occupancy: 16
; WaveLimiterHint : 0
; COMPUTE_PGM_RSRC2:SCRATCH_EN: 0
; COMPUTE_PGM_RSRC2:USER_SGPR: 2
; COMPUTE_PGM_RSRC2:TRAP_HANDLER: 0
; COMPUTE_PGM_RSRC2:TGID_X_EN: 1
; COMPUTE_PGM_RSRC2:TGID_Y_EN: 0
; COMPUTE_PGM_RSRC2:TGID_Z_EN: 0
; COMPUTE_PGM_RSRC2:TIDIG_COMP_CNT: 0
	.section	.text._ZN7rocprim17ROCPRIM_400000_NS6detail17trampoline_kernelINS0_14default_configENS1_38merge_sort_block_merge_config_selectorIjNS0_10empty_typeEEEZZNS1_27merge_sort_block_merge_implIS3_PjPS5_jNS1_19radix_merge_compareILb1ELb0EjNS0_19identity_decomposerEEEEE10hipError_tT0_T1_T2_jT3_P12ihipStream_tbPNSt15iterator_traitsISE_E10value_typeEPNSK_ISF_E10value_typeEPSG_NS1_7vsmem_tEENKUlT_SE_SF_SG_E_clIS8_S8_S9_S9_EESD_ST_SE_SF_SG_EUlST_E_NS1_11comp_targetILNS1_3genE3ELNS1_11target_archE908ELNS1_3gpuE7ELNS1_3repE0EEENS1_48merge_mergepath_partition_config_static_selectorELNS0_4arch9wavefront6targetE0EEEvSF_,"axG",@progbits,_ZN7rocprim17ROCPRIM_400000_NS6detail17trampoline_kernelINS0_14default_configENS1_38merge_sort_block_merge_config_selectorIjNS0_10empty_typeEEEZZNS1_27merge_sort_block_merge_implIS3_PjPS5_jNS1_19radix_merge_compareILb1ELb0EjNS0_19identity_decomposerEEEEE10hipError_tT0_T1_T2_jT3_P12ihipStream_tbPNSt15iterator_traitsISE_E10value_typeEPNSK_ISF_E10value_typeEPSG_NS1_7vsmem_tEENKUlT_SE_SF_SG_E_clIS8_S8_S9_S9_EESD_ST_SE_SF_SG_EUlST_E_NS1_11comp_targetILNS1_3genE3ELNS1_11target_archE908ELNS1_3gpuE7ELNS1_3repE0EEENS1_48merge_mergepath_partition_config_static_selectorELNS0_4arch9wavefront6targetE0EEEvSF_,comdat
	.protected	_ZN7rocprim17ROCPRIM_400000_NS6detail17trampoline_kernelINS0_14default_configENS1_38merge_sort_block_merge_config_selectorIjNS0_10empty_typeEEEZZNS1_27merge_sort_block_merge_implIS3_PjPS5_jNS1_19radix_merge_compareILb1ELb0EjNS0_19identity_decomposerEEEEE10hipError_tT0_T1_T2_jT3_P12ihipStream_tbPNSt15iterator_traitsISE_E10value_typeEPNSK_ISF_E10value_typeEPSG_NS1_7vsmem_tEENKUlT_SE_SF_SG_E_clIS8_S8_S9_S9_EESD_ST_SE_SF_SG_EUlST_E_NS1_11comp_targetILNS1_3genE3ELNS1_11target_archE908ELNS1_3gpuE7ELNS1_3repE0EEENS1_48merge_mergepath_partition_config_static_selectorELNS0_4arch9wavefront6targetE0EEEvSF_ ; -- Begin function _ZN7rocprim17ROCPRIM_400000_NS6detail17trampoline_kernelINS0_14default_configENS1_38merge_sort_block_merge_config_selectorIjNS0_10empty_typeEEEZZNS1_27merge_sort_block_merge_implIS3_PjPS5_jNS1_19radix_merge_compareILb1ELb0EjNS0_19identity_decomposerEEEEE10hipError_tT0_T1_T2_jT3_P12ihipStream_tbPNSt15iterator_traitsISE_E10value_typeEPNSK_ISF_E10value_typeEPSG_NS1_7vsmem_tEENKUlT_SE_SF_SG_E_clIS8_S8_S9_S9_EESD_ST_SE_SF_SG_EUlST_E_NS1_11comp_targetILNS1_3genE3ELNS1_11target_archE908ELNS1_3gpuE7ELNS1_3repE0EEENS1_48merge_mergepath_partition_config_static_selectorELNS0_4arch9wavefront6targetE0EEEvSF_
	.globl	_ZN7rocprim17ROCPRIM_400000_NS6detail17trampoline_kernelINS0_14default_configENS1_38merge_sort_block_merge_config_selectorIjNS0_10empty_typeEEEZZNS1_27merge_sort_block_merge_implIS3_PjPS5_jNS1_19radix_merge_compareILb1ELb0EjNS0_19identity_decomposerEEEEE10hipError_tT0_T1_T2_jT3_P12ihipStream_tbPNSt15iterator_traitsISE_E10value_typeEPNSK_ISF_E10value_typeEPSG_NS1_7vsmem_tEENKUlT_SE_SF_SG_E_clIS8_S8_S9_S9_EESD_ST_SE_SF_SG_EUlST_E_NS1_11comp_targetILNS1_3genE3ELNS1_11target_archE908ELNS1_3gpuE7ELNS1_3repE0EEENS1_48merge_mergepath_partition_config_static_selectorELNS0_4arch9wavefront6targetE0EEEvSF_
	.p2align	8
	.type	_ZN7rocprim17ROCPRIM_400000_NS6detail17trampoline_kernelINS0_14default_configENS1_38merge_sort_block_merge_config_selectorIjNS0_10empty_typeEEEZZNS1_27merge_sort_block_merge_implIS3_PjPS5_jNS1_19radix_merge_compareILb1ELb0EjNS0_19identity_decomposerEEEEE10hipError_tT0_T1_T2_jT3_P12ihipStream_tbPNSt15iterator_traitsISE_E10value_typeEPNSK_ISF_E10value_typeEPSG_NS1_7vsmem_tEENKUlT_SE_SF_SG_E_clIS8_S8_S9_S9_EESD_ST_SE_SF_SG_EUlST_E_NS1_11comp_targetILNS1_3genE3ELNS1_11target_archE908ELNS1_3gpuE7ELNS1_3repE0EEENS1_48merge_mergepath_partition_config_static_selectorELNS0_4arch9wavefront6targetE0EEEvSF_,@function
_ZN7rocprim17ROCPRIM_400000_NS6detail17trampoline_kernelINS0_14default_configENS1_38merge_sort_block_merge_config_selectorIjNS0_10empty_typeEEEZZNS1_27merge_sort_block_merge_implIS3_PjPS5_jNS1_19radix_merge_compareILb1ELb0EjNS0_19identity_decomposerEEEEE10hipError_tT0_T1_T2_jT3_P12ihipStream_tbPNSt15iterator_traitsISE_E10value_typeEPNSK_ISF_E10value_typeEPSG_NS1_7vsmem_tEENKUlT_SE_SF_SG_E_clIS8_S8_S9_S9_EESD_ST_SE_SF_SG_EUlST_E_NS1_11comp_targetILNS1_3genE3ELNS1_11target_archE908ELNS1_3gpuE7ELNS1_3repE0EEENS1_48merge_mergepath_partition_config_static_selectorELNS0_4arch9wavefront6targetE0EEEvSF_: ; @_ZN7rocprim17ROCPRIM_400000_NS6detail17trampoline_kernelINS0_14default_configENS1_38merge_sort_block_merge_config_selectorIjNS0_10empty_typeEEEZZNS1_27merge_sort_block_merge_implIS3_PjPS5_jNS1_19radix_merge_compareILb1ELb0EjNS0_19identity_decomposerEEEEE10hipError_tT0_T1_T2_jT3_P12ihipStream_tbPNSt15iterator_traitsISE_E10value_typeEPNSK_ISF_E10value_typeEPSG_NS1_7vsmem_tEENKUlT_SE_SF_SG_E_clIS8_S8_S9_S9_EESD_ST_SE_SF_SG_EUlST_E_NS1_11comp_targetILNS1_3genE3ELNS1_11target_archE908ELNS1_3gpuE7ELNS1_3repE0EEENS1_48merge_mergepath_partition_config_static_selectorELNS0_4arch9wavefront6targetE0EEEvSF_
; %bb.0:
	.section	.rodata,"a",@progbits
	.p2align	6, 0x0
	.amdhsa_kernel _ZN7rocprim17ROCPRIM_400000_NS6detail17trampoline_kernelINS0_14default_configENS1_38merge_sort_block_merge_config_selectorIjNS0_10empty_typeEEEZZNS1_27merge_sort_block_merge_implIS3_PjPS5_jNS1_19radix_merge_compareILb1ELb0EjNS0_19identity_decomposerEEEEE10hipError_tT0_T1_T2_jT3_P12ihipStream_tbPNSt15iterator_traitsISE_E10value_typeEPNSK_ISF_E10value_typeEPSG_NS1_7vsmem_tEENKUlT_SE_SF_SG_E_clIS8_S8_S9_S9_EESD_ST_SE_SF_SG_EUlST_E_NS1_11comp_targetILNS1_3genE3ELNS1_11target_archE908ELNS1_3gpuE7ELNS1_3repE0EEENS1_48merge_mergepath_partition_config_static_selectorELNS0_4arch9wavefront6targetE0EEEvSF_
		.amdhsa_group_segment_fixed_size 0
		.amdhsa_private_segment_fixed_size 0
		.amdhsa_kernarg_size 40
		.amdhsa_user_sgpr_count 2
		.amdhsa_user_sgpr_dispatch_ptr 0
		.amdhsa_user_sgpr_queue_ptr 0
		.amdhsa_user_sgpr_kernarg_segment_ptr 1
		.amdhsa_user_sgpr_dispatch_id 0
		.amdhsa_user_sgpr_kernarg_preload_length 0
		.amdhsa_user_sgpr_kernarg_preload_offset 0
		.amdhsa_user_sgpr_private_segment_size 0
		.amdhsa_wavefront_size32 1
		.amdhsa_uses_dynamic_stack 0
		.amdhsa_enable_private_segment 0
		.amdhsa_system_sgpr_workgroup_id_x 1
		.amdhsa_system_sgpr_workgroup_id_y 0
		.amdhsa_system_sgpr_workgroup_id_z 0
		.amdhsa_system_sgpr_workgroup_info 0
		.amdhsa_system_vgpr_workitem_id 0
		.amdhsa_next_free_vgpr 1
		.amdhsa_next_free_sgpr 1
		.amdhsa_named_barrier_count 0
		.amdhsa_reserve_vcc 0
		.amdhsa_float_round_mode_32 0
		.amdhsa_float_round_mode_16_64 0
		.amdhsa_float_denorm_mode_32 3
		.amdhsa_float_denorm_mode_16_64 3
		.amdhsa_fp16_overflow 0
		.amdhsa_memory_ordered 1
		.amdhsa_forward_progress 1
		.amdhsa_inst_pref_size 0
		.amdhsa_round_robin_scheduling 0
		.amdhsa_exception_fp_ieee_invalid_op 0
		.amdhsa_exception_fp_denorm_src 0
		.amdhsa_exception_fp_ieee_div_zero 0
		.amdhsa_exception_fp_ieee_overflow 0
		.amdhsa_exception_fp_ieee_underflow 0
		.amdhsa_exception_fp_ieee_inexact 0
		.amdhsa_exception_int_div_zero 0
	.end_amdhsa_kernel
	.section	.text._ZN7rocprim17ROCPRIM_400000_NS6detail17trampoline_kernelINS0_14default_configENS1_38merge_sort_block_merge_config_selectorIjNS0_10empty_typeEEEZZNS1_27merge_sort_block_merge_implIS3_PjPS5_jNS1_19radix_merge_compareILb1ELb0EjNS0_19identity_decomposerEEEEE10hipError_tT0_T1_T2_jT3_P12ihipStream_tbPNSt15iterator_traitsISE_E10value_typeEPNSK_ISF_E10value_typeEPSG_NS1_7vsmem_tEENKUlT_SE_SF_SG_E_clIS8_S8_S9_S9_EESD_ST_SE_SF_SG_EUlST_E_NS1_11comp_targetILNS1_3genE3ELNS1_11target_archE908ELNS1_3gpuE7ELNS1_3repE0EEENS1_48merge_mergepath_partition_config_static_selectorELNS0_4arch9wavefront6targetE0EEEvSF_,"axG",@progbits,_ZN7rocprim17ROCPRIM_400000_NS6detail17trampoline_kernelINS0_14default_configENS1_38merge_sort_block_merge_config_selectorIjNS0_10empty_typeEEEZZNS1_27merge_sort_block_merge_implIS3_PjPS5_jNS1_19radix_merge_compareILb1ELb0EjNS0_19identity_decomposerEEEEE10hipError_tT0_T1_T2_jT3_P12ihipStream_tbPNSt15iterator_traitsISE_E10value_typeEPNSK_ISF_E10value_typeEPSG_NS1_7vsmem_tEENKUlT_SE_SF_SG_E_clIS8_S8_S9_S9_EESD_ST_SE_SF_SG_EUlST_E_NS1_11comp_targetILNS1_3genE3ELNS1_11target_archE908ELNS1_3gpuE7ELNS1_3repE0EEENS1_48merge_mergepath_partition_config_static_selectorELNS0_4arch9wavefront6targetE0EEEvSF_,comdat
.Lfunc_end2555:
	.size	_ZN7rocprim17ROCPRIM_400000_NS6detail17trampoline_kernelINS0_14default_configENS1_38merge_sort_block_merge_config_selectorIjNS0_10empty_typeEEEZZNS1_27merge_sort_block_merge_implIS3_PjPS5_jNS1_19radix_merge_compareILb1ELb0EjNS0_19identity_decomposerEEEEE10hipError_tT0_T1_T2_jT3_P12ihipStream_tbPNSt15iterator_traitsISE_E10value_typeEPNSK_ISF_E10value_typeEPSG_NS1_7vsmem_tEENKUlT_SE_SF_SG_E_clIS8_S8_S9_S9_EESD_ST_SE_SF_SG_EUlST_E_NS1_11comp_targetILNS1_3genE3ELNS1_11target_archE908ELNS1_3gpuE7ELNS1_3repE0EEENS1_48merge_mergepath_partition_config_static_selectorELNS0_4arch9wavefront6targetE0EEEvSF_, .Lfunc_end2555-_ZN7rocprim17ROCPRIM_400000_NS6detail17trampoline_kernelINS0_14default_configENS1_38merge_sort_block_merge_config_selectorIjNS0_10empty_typeEEEZZNS1_27merge_sort_block_merge_implIS3_PjPS5_jNS1_19radix_merge_compareILb1ELb0EjNS0_19identity_decomposerEEEEE10hipError_tT0_T1_T2_jT3_P12ihipStream_tbPNSt15iterator_traitsISE_E10value_typeEPNSK_ISF_E10value_typeEPSG_NS1_7vsmem_tEENKUlT_SE_SF_SG_E_clIS8_S8_S9_S9_EESD_ST_SE_SF_SG_EUlST_E_NS1_11comp_targetILNS1_3genE3ELNS1_11target_archE908ELNS1_3gpuE7ELNS1_3repE0EEENS1_48merge_mergepath_partition_config_static_selectorELNS0_4arch9wavefront6targetE0EEEvSF_
                                        ; -- End function
	.set _ZN7rocprim17ROCPRIM_400000_NS6detail17trampoline_kernelINS0_14default_configENS1_38merge_sort_block_merge_config_selectorIjNS0_10empty_typeEEEZZNS1_27merge_sort_block_merge_implIS3_PjPS5_jNS1_19radix_merge_compareILb1ELb0EjNS0_19identity_decomposerEEEEE10hipError_tT0_T1_T2_jT3_P12ihipStream_tbPNSt15iterator_traitsISE_E10value_typeEPNSK_ISF_E10value_typeEPSG_NS1_7vsmem_tEENKUlT_SE_SF_SG_E_clIS8_S8_S9_S9_EESD_ST_SE_SF_SG_EUlST_E_NS1_11comp_targetILNS1_3genE3ELNS1_11target_archE908ELNS1_3gpuE7ELNS1_3repE0EEENS1_48merge_mergepath_partition_config_static_selectorELNS0_4arch9wavefront6targetE0EEEvSF_.num_vgpr, 0
	.set _ZN7rocprim17ROCPRIM_400000_NS6detail17trampoline_kernelINS0_14default_configENS1_38merge_sort_block_merge_config_selectorIjNS0_10empty_typeEEEZZNS1_27merge_sort_block_merge_implIS3_PjPS5_jNS1_19radix_merge_compareILb1ELb0EjNS0_19identity_decomposerEEEEE10hipError_tT0_T1_T2_jT3_P12ihipStream_tbPNSt15iterator_traitsISE_E10value_typeEPNSK_ISF_E10value_typeEPSG_NS1_7vsmem_tEENKUlT_SE_SF_SG_E_clIS8_S8_S9_S9_EESD_ST_SE_SF_SG_EUlST_E_NS1_11comp_targetILNS1_3genE3ELNS1_11target_archE908ELNS1_3gpuE7ELNS1_3repE0EEENS1_48merge_mergepath_partition_config_static_selectorELNS0_4arch9wavefront6targetE0EEEvSF_.num_agpr, 0
	.set _ZN7rocprim17ROCPRIM_400000_NS6detail17trampoline_kernelINS0_14default_configENS1_38merge_sort_block_merge_config_selectorIjNS0_10empty_typeEEEZZNS1_27merge_sort_block_merge_implIS3_PjPS5_jNS1_19radix_merge_compareILb1ELb0EjNS0_19identity_decomposerEEEEE10hipError_tT0_T1_T2_jT3_P12ihipStream_tbPNSt15iterator_traitsISE_E10value_typeEPNSK_ISF_E10value_typeEPSG_NS1_7vsmem_tEENKUlT_SE_SF_SG_E_clIS8_S8_S9_S9_EESD_ST_SE_SF_SG_EUlST_E_NS1_11comp_targetILNS1_3genE3ELNS1_11target_archE908ELNS1_3gpuE7ELNS1_3repE0EEENS1_48merge_mergepath_partition_config_static_selectorELNS0_4arch9wavefront6targetE0EEEvSF_.numbered_sgpr, 0
	.set _ZN7rocprim17ROCPRIM_400000_NS6detail17trampoline_kernelINS0_14default_configENS1_38merge_sort_block_merge_config_selectorIjNS0_10empty_typeEEEZZNS1_27merge_sort_block_merge_implIS3_PjPS5_jNS1_19radix_merge_compareILb1ELb0EjNS0_19identity_decomposerEEEEE10hipError_tT0_T1_T2_jT3_P12ihipStream_tbPNSt15iterator_traitsISE_E10value_typeEPNSK_ISF_E10value_typeEPSG_NS1_7vsmem_tEENKUlT_SE_SF_SG_E_clIS8_S8_S9_S9_EESD_ST_SE_SF_SG_EUlST_E_NS1_11comp_targetILNS1_3genE3ELNS1_11target_archE908ELNS1_3gpuE7ELNS1_3repE0EEENS1_48merge_mergepath_partition_config_static_selectorELNS0_4arch9wavefront6targetE0EEEvSF_.num_named_barrier, 0
	.set _ZN7rocprim17ROCPRIM_400000_NS6detail17trampoline_kernelINS0_14default_configENS1_38merge_sort_block_merge_config_selectorIjNS0_10empty_typeEEEZZNS1_27merge_sort_block_merge_implIS3_PjPS5_jNS1_19radix_merge_compareILb1ELb0EjNS0_19identity_decomposerEEEEE10hipError_tT0_T1_T2_jT3_P12ihipStream_tbPNSt15iterator_traitsISE_E10value_typeEPNSK_ISF_E10value_typeEPSG_NS1_7vsmem_tEENKUlT_SE_SF_SG_E_clIS8_S8_S9_S9_EESD_ST_SE_SF_SG_EUlST_E_NS1_11comp_targetILNS1_3genE3ELNS1_11target_archE908ELNS1_3gpuE7ELNS1_3repE0EEENS1_48merge_mergepath_partition_config_static_selectorELNS0_4arch9wavefront6targetE0EEEvSF_.private_seg_size, 0
	.set _ZN7rocprim17ROCPRIM_400000_NS6detail17trampoline_kernelINS0_14default_configENS1_38merge_sort_block_merge_config_selectorIjNS0_10empty_typeEEEZZNS1_27merge_sort_block_merge_implIS3_PjPS5_jNS1_19radix_merge_compareILb1ELb0EjNS0_19identity_decomposerEEEEE10hipError_tT0_T1_T2_jT3_P12ihipStream_tbPNSt15iterator_traitsISE_E10value_typeEPNSK_ISF_E10value_typeEPSG_NS1_7vsmem_tEENKUlT_SE_SF_SG_E_clIS8_S8_S9_S9_EESD_ST_SE_SF_SG_EUlST_E_NS1_11comp_targetILNS1_3genE3ELNS1_11target_archE908ELNS1_3gpuE7ELNS1_3repE0EEENS1_48merge_mergepath_partition_config_static_selectorELNS0_4arch9wavefront6targetE0EEEvSF_.uses_vcc, 0
	.set _ZN7rocprim17ROCPRIM_400000_NS6detail17trampoline_kernelINS0_14default_configENS1_38merge_sort_block_merge_config_selectorIjNS0_10empty_typeEEEZZNS1_27merge_sort_block_merge_implIS3_PjPS5_jNS1_19radix_merge_compareILb1ELb0EjNS0_19identity_decomposerEEEEE10hipError_tT0_T1_T2_jT3_P12ihipStream_tbPNSt15iterator_traitsISE_E10value_typeEPNSK_ISF_E10value_typeEPSG_NS1_7vsmem_tEENKUlT_SE_SF_SG_E_clIS8_S8_S9_S9_EESD_ST_SE_SF_SG_EUlST_E_NS1_11comp_targetILNS1_3genE3ELNS1_11target_archE908ELNS1_3gpuE7ELNS1_3repE0EEENS1_48merge_mergepath_partition_config_static_selectorELNS0_4arch9wavefront6targetE0EEEvSF_.uses_flat_scratch, 0
	.set _ZN7rocprim17ROCPRIM_400000_NS6detail17trampoline_kernelINS0_14default_configENS1_38merge_sort_block_merge_config_selectorIjNS0_10empty_typeEEEZZNS1_27merge_sort_block_merge_implIS3_PjPS5_jNS1_19radix_merge_compareILb1ELb0EjNS0_19identity_decomposerEEEEE10hipError_tT0_T1_T2_jT3_P12ihipStream_tbPNSt15iterator_traitsISE_E10value_typeEPNSK_ISF_E10value_typeEPSG_NS1_7vsmem_tEENKUlT_SE_SF_SG_E_clIS8_S8_S9_S9_EESD_ST_SE_SF_SG_EUlST_E_NS1_11comp_targetILNS1_3genE3ELNS1_11target_archE908ELNS1_3gpuE7ELNS1_3repE0EEENS1_48merge_mergepath_partition_config_static_selectorELNS0_4arch9wavefront6targetE0EEEvSF_.has_dyn_sized_stack, 0
	.set _ZN7rocprim17ROCPRIM_400000_NS6detail17trampoline_kernelINS0_14default_configENS1_38merge_sort_block_merge_config_selectorIjNS0_10empty_typeEEEZZNS1_27merge_sort_block_merge_implIS3_PjPS5_jNS1_19radix_merge_compareILb1ELb0EjNS0_19identity_decomposerEEEEE10hipError_tT0_T1_T2_jT3_P12ihipStream_tbPNSt15iterator_traitsISE_E10value_typeEPNSK_ISF_E10value_typeEPSG_NS1_7vsmem_tEENKUlT_SE_SF_SG_E_clIS8_S8_S9_S9_EESD_ST_SE_SF_SG_EUlST_E_NS1_11comp_targetILNS1_3genE3ELNS1_11target_archE908ELNS1_3gpuE7ELNS1_3repE0EEENS1_48merge_mergepath_partition_config_static_selectorELNS0_4arch9wavefront6targetE0EEEvSF_.has_recursion, 0
	.set _ZN7rocprim17ROCPRIM_400000_NS6detail17trampoline_kernelINS0_14default_configENS1_38merge_sort_block_merge_config_selectorIjNS0_10empty_typeEEEZZNS1_27merge_sort_block_merge_implIS3_PjPS5_jNS1_19radix_merge_compareILb1ELb0EjNS0_19identity_decomposerEEEEE10hipError_tT0_T1_T2_jT3_P12ihipStream_tbPNSt15iterator_traitsISE_E10value_typeEPNSK_ISF_E10value_typeEPSG_NS1_7vsmem_tEENKUlT_SE_SF_SG_E_clIS8_S8_S9_S9_EESD_ST_SE_SF_SG_EUlST_E_NS1_11comp_targetILNS1_3genE3ELNS1_11target_archE908ELNS1_3gpuE7ELNS1_3repE0EEENS1_48merge_mergepath_partition_config_static_selectorELNS0_4arch9wavefront6targetE0EEEvSF_.has_indirect_call, 0
	.section	.AMDGPU.csdata,"",@progbits
; Kernel info:
; codeLenInByte = 0
; TotalNumSgprs: 0
; NumVgprs: 0
; ScratchSize: 0
; MemoryBound: 0
; FloatMode: 240
; IeeeMode: 1
; LDSByteSize: 0 bytes/workgroup (compile time only)
; SGPRBlocks: 0
; VGPRBlocks: 0
; NumSGPRsForWavesPerEU: 1
; NumVGPRsForWavesPerEU: 1
; NamedBarCnt: 0
; Occupancy: 16
; WaveLimiterHint : 0
; COMPUTE_PGM_RSRC2:SCRATCH_EN: 0
; COMPUTE_PGM_RSRC2:USER_SGPR: 2
; COMPUTE_PGM_RSRC2:TRAP_HANDLER: 0
; COMPUTE_PGM_RSRC2:TGID_X_EN: 1
; COMPUTE_PGM_RSRC2:TGID_Y_EN: 0
; COMPUTE_PGM_RSRC2:TGID_Z_EN: 0
; COMPUTE_PGM_RSRC2:TIDIG_COMP_CNT: 0
	.section	.text._ZN7rocprim17ROCPRIM_400000_NS6detail17trampoline_kernelINS0_14default_configENS1_38merge_sort_block_merge_config_selectorIjNS0_10empty_typeEEEZZNS1_27merge_sort_block_merge_implIS3_PjPS5_jNS1_19radix_merge_compareILb1ELb0EjNS0_19identity_decomposerEEEEE10hipError_tT0_T1_T2_jT3_P12ihipStream_tbPNSt15iterator_traitsISE_E10value_typeEPNSK_ISF_E10value_typeEPSG_NS1_7vsmem_tEENKUlT_SE_SF_SG_E_clIS8_S8_S9_S9_EESD_ST_SE_SF_SG_EUlST_E_NS1_11comp_targetILNS1_3genE2ELNS1_11target_archE906ELNS1_3gpuE6ELNS1_3repE0EEENS1_48merge_mergepath_partition_config_static_selectorELNS0_4arch9wavefront6targetE0EEEvSF_,"axG",@progbits,_ZN7rocprim17ROCPRIM_400000_NS6detail17trampoline_kernelINS0_14default_configENS1_38merge_sort_block_merge_config_selectorIjNS0_10empty_typeEEEZZNS1_27merge_sort_block_merge_implIS3_PjPS5_jNS1_19radix_merge_compareILb1ELb0EjNS0_19identity_decomposerEEEEE10hipError_tT0_T1_T2_jT3_P12ihipStream_tbPNSt15iterator_traitsISE_E10value_typeEPNSK_ISF_E10value_typeEPSG_NS1_7vsmem_tEENKUlT_SE_SF_SG_E_clIS8_S8_S9_S9_EESD_ST_SE_SF_SG_EUlST_E_NS1_11comp_targetILNS1_3genE2ELNS1_11target_archE906ELNS1_3gpuE6ELNS1_3repE0EEENS1_48merge_mergepath_partition_config_static_selectorELNS0_4arch9wavefront6targetE0EEEvSF_,comdat
	.protected	_ZN7rocprim17ROCPRIM_400000_NS6detail17trampoline_kernelINS0_14default_configENS1_38merge_sort_block_merge_config_selectorIjNS0_10empty_typeEEEZZNS1_27merge_sort_block_merge_implIS3_PjPS5_jNS1_19radix_merge_compareILb1ELb0EjNS0_19identity_decomposerEEEEE10hipError_tT0_T1_T2_jT3_P12ihipStream_tbPNSt15iterator_traitsISE_E10value_typeEPNSK_ISF_E10value_typeEPSG_NS1_7vsmem_tEENKUlT_SE_SF_SG_E_clIS8_S8_S9_S9_EESD_ST_SE_SF_SG_EUlST_E_NS1_11comp_targetILNS1_3genE2ELNS1_11target_archE906ELNS1_3gpuE6ELNS1_3repE0EEENS1_48merge_mergepath_partition_config_static_selectorELNS0_4arch9wavefront6targetE0EEEvSF_ ; -- Begin function _ZN7rocprim17ROCPRIM_400000_NS6detail17trampoline_kernelINS0_14default_configENS1_38merge_sort_block_merge_config_selectorIjNS0_10empty_typeEEEZZNS1_27merge_sort_block_merge_implIS3_PjPS5_jNS1_19radix_merge_compareILb1ELb0EjNS0_19identity_decomposerEEEEE10hipError_tT0_T1_T2_jT3_P12ihipStream_tbPNSt15iterator_traitsISE_E10value_typeEPNSK_ISF_E10value_typeEPSG_NS1_7vsmem_tEENKUlT_SE_SF_SG_E_clIS8_S8_S9_S9_EESD_ST_SE_SF_SG_EUlST_E_NS1_11comp_targetILNS1_3genE2ELNS1_11target_archE906ELNS1_3gpuE6ELNS1_3repE0EEENS1_48merge_mergepath_partition_config_static_selectorELNS0_4arch9wavefront6targetE0EEEvSF_
	.globl	_ZN7rocprim17ROCPRIM_400000_NS6detail17trampoline_kernelINS0_14default_configENS1_38merge_sort_block_merge_config_selectorIjNS0_10empty_typeEEEZZNS1_27merge_sort_block_merge_implIS3_PjPS5_jNS1_19radix_merge_compareILb1ELb0EjNS0_19identity_decomposerEEEEE10hipError_tT0_T1_T2_jT3_P12ihipStream_tbPNSt15iterator_traitsISE_E10value_typeEPNSK_ISF_E10value_typeEPSG_NS1_7vsmem_tEENKUlT_SE_SF_SG_E_clIS8_S8_S9_S9_EESD_ST_SE_SF_SG_EUlST_E_NS1_11comp_targetILNS1_3genE2ELNS1_11target_archE906ELNS1_3gpuE6ELNS1_3repE0EEENS1_48merge_mergepath_partition_config_static_selectorELNS0_4arch9wavefront6targetE0EEEvSF_
	.p2align	8
	.type	_ZN7rocprim17ROCPRIM_400000_NS6detail17trampoline_kernelINS0_14default_configENS1_38merge_sort_block_merge_config_selectorIjNS0_10empty_typeEEEZZNS1_27merge_sort_block_merge_implIS3_PjPS5_jNS1_19radix_merge_compareILb1ELb0EjNS0_19identity_decomposerEEEEE10hipError_tT0_T1_T2_jT3_P12ihipStream_tbPNSt15iterator_traitsISE_E10value_typeEPNSK_ISF_E10value_typeEPSG_NS1_7vsmem_tEENKUlT_SE_SF_SG_E_clIS8_S8_S9_S9_EESD_ST_SE_SF_SG_EUlST_E_NS1_11comp_targetILNS1_3genE2ELNS1_11target_archE906ELNS1_3gpuE6ELNS1_3repE0EEENS1_48merge_mergepath_partition_config_static_selectorELNS0_4arch9wavefront6targetE0EEEvSF_,@function
_ZN7rocprim17ROCPRIM_400000_NS6detail17trampoline_kernelINS0_14default_configENS1_38merge_sort_block_merge_config_selectorIjNS0_10empty_typeEEEZZNS1_27merge_sort_block_merge_implIS3_PjPS5_jNS1_19radix_merge_compareILb1ELb0EjNS0_19identity_decomposerEEEEE10hipError_tT0_T1_T2_jT3_P12ihipStream_tbPNSt15iterator_traitsISE_E10value_typeEPNSK_ISF_E10value_typeEPSG_NS1_7vsmem_tEENKUlT_SE_SF_SG_E_clIS8_S8_S9_S9_EESD_ST_SE_SF_SG_EUlST_E_NS1_11comp_targetILNS1_3genE2ELNS1_11target_archE906ELNS1_3gpuE6ELNS1_3repE0EEENS1_48merge_mergepath_partition_config_static_selectorELNS0_4arch9wavefront6targetE0EEEvSF_: ; @_ZN7rocprim17ROCPRIM_400000_NS6detail17trampoline_kernelINS0_14default_configENS1_38merge_sort_block_merge_config_selectorIjNS0_10empty_typeEEEZZNS1_27merge_sort_block_merge_implIS3_PjPS5_jNS1_19radix_merge_compareILb1ELb0EjNS0_19identity_decomposerEEEEE10hipError_tT0_T1_T2_jT3_P12ihipStream_tbPNSt15iterator_traitsISE_E10value_typeEPNSK_ISF_E10value_typeEPSG_NS1_7vsmem_tEENKUlT_SE_SF_SG_E_clIS8_S8_S9_S9_EESD_ST_SE_SF_SG_EUlST_E_NS1_11comp_targetILNS1_3genE2ELNS1_11target_archE906ELNS1_3gpuE6ELNS1_3repE0EEENS1_48merge_mergepath_partition_config_static_selectorELNS0_4arch9wavefront6targetE0EEEvSF_
; %bb.0:
	.section	.rodata,"a",@progbits
	.p2align	6, 0x0
	.amdhsa_kernel _ZN7rocprim17ROCPRIM_400000_NS6detail17trampoline_kernelINS0_14default_configENS1_38merge_sort_block_merge_config_selectorIjNS0_10empty_typeEEEZZNS1_27merge_sort_block_merge_implIS3_PjPS5_jNS1_19radix_merge_compareILb1ELb0EjNS0_19identity_decomposerEEEEE10hipError_tT0_T1_T2_jT3_P12ihipStream_tbPNSt15iterator_traitsISE_E10value_typeEPNSK_ISF_E10value_typeEPSG_NS1_7vsmem_tEENKUlT_SE_SF_SG_E_clIS8_S8_S9_S9_EESD_ST_SE_SF_SG_EUlST_E_NS1_11comp_targetILNS1_3genE2ELNS1_11target_archE906ELNS1_3gpuE6ELNS1_3repE0EEENS1_48merge_mergepath_partition_config_static_selectorELNS0_4arch9wavefront6targetE0EEEvSF_
		.amdhsa_group_segment_fixed_size 0
		.amdhsa_private_segment_fixed_size 0
		.amdhsa_kernarg_size 40
		.amdhsa_user_sgpr_count 2
		.amdhsa_user_sgpr_dispatch_ptr 0
		.amdhsa_user_sgpr_queue_ptr 0
		.amdhsa_user_sgpr_kernarg_segment_ptr 1
		.amdhsa_user_sgpr_dispatch_id 0
		.amdhsa_user_sgpr_kernarg_preload_length 0
		.amdhsa_user_sgpr_kernarg_preload_offset 0
		.amdhsa_user_sgpr_private_segment_size 0
		.amdhsa_wavefront_size32 1
		.amdhsa_uses_dynamic_stack 0
		.amdhsa_enable_private_segment 0
		.amdhsa_system_sgpr_workgroup_id_x 1
		.amdhsa_system_sgpr_workgroup_id_y 0
		.amdhsa_system_sgpr_workgroup_id_z 0
		.amdhsa_system_sgpr_workgroup_info 0
		.amdhsa_system_vgpr_workitem_id 0
		.amdhsa_next_free_vgpr 1
		.amdhsa_next_free_sgpr 1
		.amdhsa_named_barrier_count 0
		.amdhsa_reserve_vcc 0
		.amdhsa_float_round_mode_32 0
		.amdhsa_float_round_mode_16_64 0
		.amdhsa_float_denorm_mode_32 3
		.amdhsa_float_denorm_mode_16_64 3
		.amdhsa_fp16_overflow 0
		.amdhsa_memory_ordered 1
		.amdhsa_forward_progress 1
		.amdhsa_inst_pref_size 0
		.amdhsa_round_robin_scheduling 0
		.amdhsa_exception_fp_ieee_invalid_op 0
		.amdhsa_exception_fp_denorm_src 0
		.amdhsa_exception_fp_ieee_div_zero 0
		.amdhsa_exception_fp_ieee_overflow 0
		.amdhsa_exception_fp_ieee_underflow 0
		.amdhsa_exception_fp_ieee_inexact 0
		.amdhsa_exception_int_div_zero 0
	.end_amdhsa_kernel
	.section	.text._ZN7rocprim17ROCPRIM_400000_NS6detail17trampoline_kernelINS0_14default_configENS1_38merge_sort_block_merge_config_selectorIjNS0_10empty_typeEEEZZNS1_27merge_sort_block_merge_implIS3_PjPS5_jNS1_19radix_merge_compareILb1ELb0EjNS0_19identity_decomposerEEEEE10hipError_tT0_T1_T2_jT3_P12ihipStream_tbPNSt15iterator_traitsISE_E10value_typeEPNSK_ISF_E10value_typeEPSG_NS1_7vsmem_tEENKUlT_SE_SF_SG_E_clIS8_S8_S9_S9_EESD_ST_SE_SF_SG_EUlST_E_NS1_11comp_targetILNS1_3genE2ELNS1_11target_archE906ELNS1_3gpuE6ELNS1_3repE0EEENS1_48merge_mergepath_partition_config_static_selectorELNS0_4arch9wavefront6targetE0EEEvSF_,"axG",@progbits,_ZN7rocprim17ROCPRIM_400000_NS6detail17trampoline_kernelINS0_14default_configENS1_38merge_sort_block_merge_config_selectorIjNS0_10empty_typeEEEZZNS1_27merge_sort_block_merge_implIS3_PjPS5_jNS1_19radix_merge_compareILb1ELb0EjNS0_19identity_decomposerEEEEE10hipError_tT0_T1_T2_jT3_P12ihipStream_tbPNSt15iterator_traitsISE_E10value_typeEPNSK_ISF_E10value_typeEPSG_NS1_7vsmem_tEENKUlT_SE_SF_SG_E_clIS8_S8_S9_S9_EESD_ST_SE_SF_SG_EUlST_E_NS1_11comp_targetILNS1_3genE2ELNS1_11target_archE906ELNS1_3gpuE6ELNS1_3repE0EEENS1_48merge_mergepath_partition_config_static_selectorELNS0_4arch9wavefront6targetE0EEEvSF_,comdat
.Lfunc_end2556:
	.size	_ZN7rocprim17ROCPRIM_400000_NS6detail17trampoline_kernelINS0_14default_configENS1_38merge_sort_block_merge_config_selectorIjNS0_10empty_typeEEEZZNS1_27merge_sort_block_merge_implIS3_PjPS5_jNS1_19radix_merge_compareILb1ELb0EjNS0_19identity_decomposerEEEEE10hipError_tT0_T1_T2_jT3_P12ihipStream_tbPNSt15iterator_traitsISE_E10value_typeEPNSK_ISF_E10value_typeEPSG_NS1_7vsmem_tEENKUlT_SE_SF_SG_E_clIS8_S8_S9_S9_EESD_ST_SE_SF_SG_EUlST_E_NS1_11comp_targetILNS1_3genE2ELNS1_11target_archE906ELNS1_3gpuE6ELNS1_3repE0EEENS1_48merge_mergepath_partition_config_static_selectorELNS0_4arch9wavefront6targetE0EEEvSF_, .Lfunc_end2556-_ZN7rocprim17ROCPRIM_400000_NS6detail17trampoline_kernelINS0_14default_configENS1_38merge_sort_block_merge_config_selectorIjNS0_10empty_typeEEEZZNS1_27merge_sort_block_merge_implIS3_PjPS5_jNS1_19radix_merge_compareILb1ELb0EjNS0_19identity_decomposerEEEEE10hipError_tT0_T1_T2_jT3_P12ihipStream_tbPNSt15iterator_traitsISE_E10value_typeEPNSK_ISF_E10value_typeEPSG_NS1_7vsmem_tEENKUlT_SE_SF_SG_E_clIS8_S8_S9_S9_EESD_ST_SE_SF_SG_EUlST_E_NS1_11comp_targetILNS1_3genE2ELNS1_11target_archE906ELNS1_3gpuE6ELNS1_3repE0EEENS1_48merge_mergepath_partition_config_static_selectorELNS0_4arch9wavefront6targetE0EEEvSF_
                                        ; -- End function
	.set _ZN7rocprim17ROCPRIM_400000_NS6detail17trampoline_kernelINS0_14default_configENS1_38merge_sort_block_merge_config_selectorIjNS0_10empty_typeEEEZZNS1_27merge_sort_block_merge_implIS3_PjPS5_jNS1_19radix_merge_compareILb1ELb0EjNS0_19identity_decomposerEEEEE10hipError_tT0_T1_T2_jT3_P12ihipStream_tbPNSt15iterator_traitsISE_E10value_typeEPNSK_ISF_E10value_typeEPSG_NS1_7vsmem_tEENKUlT_SE_SF_SG_E_clIS8_S8_S9_S9_EESD_ST_SE_SF_SG_EUlST_E_NS1_11comp_targetILNS1_3genE2ELNS1_11target_archE906ELNS1_3gpuE6ELNS1_3repE0EEENS1_48merge_mergepath_partition_config_static_selectorELNS0_4arch9wavefront6targetE0EEEvSF_.num_vgpr, 0
	.set _ZN7rocprim17ROCPRIM_400000_NS6detail17trampoline_kernelINS0_14default_configENS1_38merge_sort_block_merge_config_selectorIjNS0_10empty_typeEEEZZNS1_27merge_sort_block_merge_implIS3_PjPS5_jNS1_19radix_merge_compareILb1ELb0EjNS0_19identity_decomposerEEEEE10hipError_tT0_T1_T2_jT3_P12ihipStream_tbPNSt15iterator_traitsISE_E10value_typeEPNSK_ISF_E10value_typeEPSG_NS1_7vsmem_tEENKUlT_SE_SF_SG_E_clIS8_S8_S9_S9_EESD_ST_SE_SF_SG_EUlST_E_NS1_11comp_targetILNS1_3genE2ELNS1_11target_archE906ELNS1_3gpuE6ELNS1_3repE0EEENS1_48merge_mergepath_partition_config_static_selectorELNS0_4arch9wavefront6targetE0EEEvSF_.num_agpr, 0
	.set _ZN7rocprim17ROCPRIM_400000_NS6detail17trampoline_kernelINS0_14default_configENS1_38merge_sort_block_merge_config_selectorIjNS0_10empty_typeEEEZZNS1_27merge_sort_block_merge_implIS3_PjPS5_jNS1_19radix_merge_compareILb1ELb0EjNS0_19identity_decomposerEEEEE10hipError_tT0_T1_T2_jT3_P12ihipStream_tbPNSt15iterator_traitsISE_E10value_typeEPNSK_ISF_E10value_typeEPSG_NS1_7vsmem_tEENKUlT_SE_SF_SG_E_clIS8_S8_S9_S9_EESD_ST_SE_SF_SG_EUlST_E_NS1_11comp_targetILNS1_3genE2ELNS1_11target_archE906ELNS1_3gpuE6ELNS1_3repE0EEENS1_48merge_mergepath_partition_config_static_selectorELNS0_4arch9wavefront6targetE0EEEvSF_.numbered_sgpr, 0
	.set _ZN7rocprim17ROCPRIM_400000_NS6detail17trampoline_kernelINS0_14default_configENS1_38merge_sort_block_merge_config_selectorIjNS0_10empty_typeEEEZZNS1_27merge_sort_block_merge_implIS3_PjPS5_jNS1_19radix_merge_compareILb1ELb0EjNS0_19identity_decomposerEEEEE10hipError_tT0_T1_T2_jT3_P12ihipStream_tbPNSt15iterator_traitsISE_E10value_typeEPNSK_ISF_E10value_typeEPSG_NS1_7vsmem_tEENKUlT_SE_SF_SG_E_clIS8_S8_S9_S9_EESD_ST_SE_SF_SG_EUlST_E_NS1_11comp_targetILNS1_3genE2ELNS1_11target_archE906ELNS1_3gpuE6ELNS1_3repE0EEENS1_48merge_mergepath_partition_config_static_selectorELNS0_4arch9wavefront6targetE0EEEvSF_.num_named_barrier, 0
	.set _ZN7rocprim17ROCPRIM_400000_NS6detail17trampoline_kernelINS0_14default_configENS1_38merge_sort_block_merge_config_selectorIjNS0_10empty_typeEEEZZNS1_27merge_sort_block_merge_implIS3_PjPS5_jNS1_19radix_merge_compareILb1ELb0EjNS0_19identity_decomposerEEEEE10hipError_tT0_T1_T2_jT3_P12ihipStream_tbPNSt15iterator_traitsISE_E10value_typeEPNSK_ISF_E10value_typeEPSG_NS1_7vsmem_tEENKUlT_SE_SF_SG_E_clIS8_S8_S9_S9_EESD_ST_SE_SF_SG_EUlST_E_NS1_11comp_targetILNS1_3genE2ELNS1_11target_archE906ELNS1_3gpuE6ELNS1_3repE0EEENS1_48merge_mergepath_partition_config_static_selectorELNS0_4arch9wavefront6targetE0EEEvSF_.private_seg_size, 0
	.set _ZN7rocprim17ROCPRIM_400000_NS6detail17trampoline_kernelINS0_14default_configENS1_38merge_sort_block_merge_config_selectorIjNS0_10empty_typeEEEZZNS1_27merge_sort_block_merge_implIS3_PjPS5_jNS1_19radix_merge_compareILb1ELb0EjNS0_19identity_decomposerEEEEE10hipError_tT0_T1_T2_jT3_P12ihipStream_tbPNSt15iterator_traitsISE_E10value_typeEPNSK_ISF_E10value_typeEPSG_NS1_7vsmem_tEENKUlT_SE_SF_SG_E_clIS8_S8_S9_S9_EESD_ST_SE_SF_SG_EUlST_E_NS1_11comp_targetILNS1_3genE2ELNS1_11target_archE906ELNS1_3gpuE6ELNS1_3repE0EEENS1_48merge_mergepath_partition_config_static_selectorELNS0_4arch9wavefront6targetE0EEEvSF_.uses_vcc, 0
	.set _ZN7rocprim17ROCPRIM_400000_NS6detail17trampoline_kernelINS0_14default_configENS1_38merge_sort_block_merge_config_selectorIjNS0_10empty_typeEEEZZNS1_27merge_sort_block_merge_implIS3_PjPS5_jNS1_19radix_merge_compareILb1ELb0EjNS0_19identity_decomposerEEEEE10hipError_tT0_T1_T2_jT3_P12ihipStream_tbPNSt15iterator_traitsISE_E10value_typeEPNSK_ISF_E10value_typeEPSG_NS1_7vsmem_tEENKUlT_SE_SF_SG_E_clIS8_S8_S9_S9_EESD_ST_SE_SF_SG_EUlST_E_NS1_11comp_targetILNS1_3genE2ELNS1_11target_archE906ELNS1_3gpuE6ELNS1_3repE0EEENS1_48merge_mergepath_partition_config_static_selectorELNS0_4arch9wavefront6targetE0EEEvSF_.uses_flat_scratch, 0
	.set _ZN7rocprim17ROCPRIM_400000_NS6detail17trampoline_kernelINS0_14default_configENS1_38merge_sort_block_merge_config_selectorIjNS0_10empty_typeEEEZZNS1_27merge_sort_block_merge_implIS3_PjPS5_jNS1_19radix_merge_compareILb1ELb0EjNS0_19identity_decomposerEEEEE10hipError_tT0_T1_T2_jT3_P12ihipStream_tbPNSt15iterator_traitsISE_E10value_typeEPNSK_ISF_E10value_typeEPSG_NS1_7vsmem_tEENKUlT_SE_SF_SG_E_clIS8_S8_S9_S9_EESD_ST_SE_SF_SG_EUlST_E_NS1_11comp_targetILNS1_3genE2ELNS1_11target_archE906ELNS1_3gpuE6ELNS1_3repE0EEENS1_48merge_mergepath_partition_config_static_selectorELNS0_4arch9wavefront6targetE0EEEvSF_.has_dyn_sized_stack, 0
	.set _ZN7rocprim17ROCPRIM_400000_NS6detail17trampoline_kernelINS0_14default_configENS1_38merge_sort_block_merge_config_selectorIjNS0_10empty_typeEEEZZNS1_27merge_sort_block_merge_implIS3_PjPS5_jNS1_19radix_merge_compareILb1ELb0EjNS0_19identity_decomposerEEEEE10hipError_tT0_T1_T2_jT3_P12ihipStream_tbPNSt15iterator_traitsISE_E10value_typeEPNSK_ISF_E10value_typeEPSG_NS1_7vsmem_tEENKUlT_SE_SF_SG_E_clIS8_S8_S9_S9_EESD_ST_SE_SF_SG_EUlST_E_NS1_11comp_targetILNS1_3genE2ELNS1_11target_archE906ELNS1_3gpuE6ELNS1_3repE0EEENS1_48merge_mergepath_partition_config_static_selectorELNS0_4arch9wavefront6targetE0EEEvSF_.has_recursion, 0
	.set _ZN7rocprim17ROCPRIM_400000_NS6detail17trampoline_kernelINS0_14default_configENS1_38merge_sort_block_merge_config_selectorIjNS0_10empty_typeEEEZZNS1_27merge_sort_block_merge_implIS3_PjPS5_jNS1_19radix_merge_compareILb1ELb0EjNS0_19identity_decomposerEEEEE10hipError_tT0_T1_T2_jT3_P12ihipStream_tbPNSt15iterator_traitsISE_E10value_typeEPNSK_ISF_E10value_typeEPSG_NS1_7vsmem_tEENKUlT_SE_SF_SG_E_clIS8_S8_S9_S9_EESD_ST_SE_SF_SG_EUlST_E_NS1_11comp_targetILNS1_3genE2ELNS1_11target_archE906ELNS1_3gpuE6ELNS1_3repE0EEENS1_48merge_mergepath_partition_config_static_selectorELNS0_4arch9wavefront6targetE0EEEvSF_.has_indirect_call, 0
	.section	.AMDGPU.csdata,"",@progbits
; Kernel info:
; codeLenInByte = 0
; TotalNumSgprs: 0
; NumVgprs: 0
; ScratchSize: 0
; MemoryBound: 0
; FloatMode: 240
; IeeeMode: 1
; LDSByteSize: 0 bytes/workgroup (compile time only)
; SGPRBlocks: 0
; VGPRBlocks: 0
; NumSGPRsForWavesPerEU: 1
; NumVGPRsForWavesPerEU: 1
; NamedBarCnt: 0
; Occupancy: 16
; WaveLimiterHint : 0
; COMPUTE_PGM_RSRC2:SCRATCH_EN: 0
; COMPUTE_PGM_RSRC2:USER_SGPR: 2
; COMPUTE_PGM_RSRC2:TRAP_HANDLER: 0
; COMPUTE_PGM_RSRC2:TGID_X_EN: 1
; COMPUTE_PGM_RSRC2:TGID_Y_EN: 0
; COMPUTE_PGM_RSRC2:TGID_Z_EN: 0
; COMPUTE_PGM_RSRC2:TIDIG_COMP_CNT: 0
	.section	.text._ZN7rocprim17ROCPRIM_400000_NS6detail17trampoline_kernelINS0_14default_configENS1_38merge_sort_block_merge_config_selectorIjNS0_10empty_typeEEEZZNS1_27merge_sort_block_merge_implIS3_PjPS5_jNS1_19radix_merge_compareILb1ELb0EjNS0_19identity_decomposerEEEEE10hipError_tT0_T1_T2_jT3_P12ihipStream_tbPNSt15iterator_traitsISE_E10value_typeEPNSK_ISF_E10value_typeEPSG_NS1_7vsmem_tEENKUlT_SE_SF_SG_E_clIS8_S8_S9_S9_EESD_ST_SE_SF_SG_EUlST_E_NS1_11comp_targetILNS1_3genE9ELNS1_11target_archE1100ELNS1_3gpuE3ELNS1_3repE0EEENS1_48merge_mergepath_partition_config_static_selectorELNS0_4arch9wavefront6targetE0EEEvSF_,"axG",@progbits,_ZN7rocprim17ROCPRIM_400000_NS6detail17trampoline_kernelINS0_14default_configENS1_38merge_sort_block_merge_config_selectorIjNS0_10empty_typeEEEZZNS1_27merge_sort_block_merge_implIS3_PjPS5_jNS1_19radix_merge_compareILb1ELb0EjNS0_19identity_decomposerEEEEE10hipError_tT0_T1_T2_jT3_P12ihipStream_tbPNSt15iterator_traitsISE_E10value_typeEPNSK_ISF_E10value_typeEPSG_NS1_7vsmem_tEENKUlT_SE_SF_SG_E_clIS8_S8_S9_S9_EESD_ST_SE_SF_SG_EUlST_E_NS1_11comp_targetILNS1_3genE9ELNS1_11target_archE1100ELNS1_3gpuE3ELNS1_3repE0EEENS1_48merge_mergepath_partition_config_static_selectorELNS0_4arch9wavefront6targetE0EEEvSF_,comdat
	.protected	_ZN7rocprim17ROCPRIM_400000_NS6detail17trampoline_kernelINS0_14default_configENS1_38merge_sort_block_merge_config_selectorIjNS0_10empty_typeEEEZZNS1_27merge_sort_block_merge_implIS3_PjPS5_jNS1_19radix_merge_compareILb1ELb0EjNS0_19identity_decomposerEEEEE10hipError_tT0_T1_T2_jT3_P12ihipStream_tbPNSt15iterator_traitsISE_E10value_typeEPNSK_ISF_E10value_typeEPSG_NS1_7vsmem_tEENKUlT_SE_SF_SG_E_clIS8_S8_S9_S9_EESD_ST_SE_SF_SG_EUlST_E_NS1_11comp_targetILNS1_3genE9ELNS1_11target_archE1100ELNS1_3gpuE3ELNS1_3repE0EEENS1_48merge_mergepath_partition_config_static_selectorELNS0_4arch9wavefront6targetE0EEEvSF_ ; -- Begin function _ZN7rocprim17ROCPRIM_400000_NS6detail17trampoline_kernelINS0_14default_configENS1_38merge_sort_block_merge_config_selectorIjNS0_10empty_typeEEEZZNS1_27merge_sort_block_merge_implIS3_PjPS5_jNS1_19radix_merge_compareILb1ELb0EjNS0_19identity_decomposerEEEEE10hipError_tT0_T1_T2_jT3_P12ihipStream_tbPNSt15iterator_traitsISE_E10value_typeEPNSK_ISF_E10value_typeEPSG_NS1_7vsmem_tEENKUlT_SE_SF_SG_E_clIS8_S8_S9_S9_EESD_ST_SE_SF_SG_EUlST_E_NS1_11comp_targetILNS1_3genE9ELNS1_11target_archE1100ELNS1_3gpuE3ELNS1_3repE0EEENS1_48merge_mergepath_partition_config_static_selectorELNS0_4arch9wavefront6targetE0EEEvSF_
	.globl	_ZN7rocprim17ROCPRIM_400000_NS6detail17trampoline_kernelINS0_14default_configENS1_38merge_sort_block_merge_config_selectorIjNS0_10empty_typeEEEZZNS1_27merge_sort_block_merge_implIS3_PjPS5_jNS1_19radix_merge_compareILb1ELb0EjNS0_19identity_decomposerEEEEE10hipError_tT0_T1_T2_jT3_P12ihipStream_tbPNSt15iterator_traitsISE_E10value_typeEPNSK_ISF_E10value_typeEPSG_NS1_7vsmem_tEENKUlT_SE_SF_SG_E_clIS8_S8_S9_S9_EESD_ST_SE_SF_SG_EUlST_E_NS1_11comp_targetILNS1_3genE9ELNS1_11target_archE1100ELNS1_3gpuE3ELNS1_3repE0EEENS1_48merge_mergepath_partition_config_static_selectorELNS0_4arch9wavefront6targetE0EEEvSF_
	.p2align	8
	.type	_ZN7rocprim17ROCPRIM_400000_NS6detail17trampoline_kernelINS0_14default_configENS1_38merge_sort_block_merge_config_selectorIjNS0_10empty_typeEEEZZNS1_27merge_sort_block_merge_implIS3_PjPS5_jNS1_19radix_merge_compareILb1ELb0EjNS0_19identity_decomposerEEEEE10hipError_tT0_T1_T2_jT3_P12ihipStream_tbPNSt15iterator_traitsISE_E10value_typeEPNSK_ISF_E10value_typeEPSG_NS1_7vsmem_tEENKUlT_SE_SF_SG_E_clIS8_S8_S9_S9_EESD_ST_SE_SF_SG_EUlST_E_NS1_11comp_targetILNS1_3genE9ELNS1_11target_archE1100ELNS1_3gpuE3ELNS1_3repE0EEENS1_48merge_mergepath_partition_config_static_selectorELNS0_4arch9wavefront6targetE0EEEvSF_,@function
_ZN7rocprim17ROCPRIM_400000_NS6detail17trampoline_kernelINS0_14default_configENS1_38merge_sort_block_merge_config_selectorIjNS0_10empty_typeEEEZZNS1_27merge_sort_block_merge_implIS3_PjPS5_jNS1_19radix_merge_compareILb1ELb0EjNS0_19identity_decomposerEEEEE10hipError_tT0_T1_T2_jT3_P12ihipStream_tbPNSt15iterator_traitsISE_E10value_typeEPNSK_ISF_E10value_typeEPSG_NS1_7vsmem_tEENKUlT_SE_SF_SG_E_clIS8_S8_S9_S9_EESD_ST_SE_SF_SG_EUlST_E_NS1_11comp_targetILNS1_3genE9ELNS1_11target_archE1100ELNS1_3gpuE3ELNS1_3repE0EEENS1_48merge_mergepath_partition_config_static_selectorELNS0_4arch9wavefront6targetE0EEEvSF_: ; @_ZN7rocprim17ROCPRIM_400000_NS6detail17trampoline_kernelINS0_14default_configENS1_38merge_sort_block_merge_config_selectorIjNS0_10empty_typeEEEZZNS1_27merge_sort_block_merge_implIS3_PjPS5_jNS1_19radix_merge_compareILb1ELb0EjNS0_19identity_decomposerEEEEE10hipError_tT0_T1_T2_jT3_P12ihipStream_tbPNSt15iterator_traitsISE_E10value_typeEPNSK_ISF_E10value_typeEPSG_NS1_7vsmem_tEENKUlT_SE_SF_SG_E_clIS8_S8_S9_S9_EESD_ST_SE_SF_SG_EUlST_E_NS1_11comp_targetILNS1_3genE9ELNS1_11target_archE1100ELNS1_3gpuE3ELNS1_3repE0EEENS1_48merge_mergepath_partition_config_static_selectorELNS0_4arch9wavefront6targetE0EEEvSF_
; %bb.0:
	.section	.rodata,"a",@progbits
	.p2align	6, 0x0
	.amdhsa_kernel _ZN7rocprim17ROCPRIM_400000_NS6detail17trampoline_kernelINS0_14default_configENS1_38merge_sort_block_merge_config_selectorIjNS0_10empty_typeEEEZZNS1_27merge_sort_block_merge_implIS3_PjPS5_jNS1_19radix_merge_compareILb1ELb0EjNS0_19identity_decomposerEEEEE10hipError_tT0_T1_T2_jT3_P12ihipStream_tbPNSt15iterator_traitsISE_E10value_typeEPNSK_ISF_E10value_typeEPSG_NS1_7vsmem_tEENKUlT_SE_SF_SG_E_clIS8_S8_S9_S9_EESD_ST_SE_SF_SG_EUlST_E_NS1_11comp_targetILNS1_3genE9ELNS1_11target_archE1100ELNS1_3gpuE3ELNS1_3repE0EEENS1_48merge_mergepath_partition_config_static_selectorELNS0_4arch9wavefront6targetE0EEEvSF_
		.amdhsa_group_segment_fixed_size 0
		.amdhsa_private_segment_fixed_size 0
		.amdhsa_kernarg_size 40
		.amdhsa_user_sgpr_count 2
		.amdhsa_user_sgpr_dispatch_ptr 0
		.amdhsa_user_sgpr_queue_ptr 0
		.amdhsa_user_sgpr_kernarg_segment_ptr 1
		.amdhsa_user_sgpr_dispatch_id 0
		.amdhsa_user_sgpr_kernarg_preload_length 0
		.amdhsa_user_sgpr_kernarg_preload_offset 0
		.amdhsa_user_sgpr_private_segment_size 0
		.amdhsa_wavefront_size32 1
		.amdhsa_uses_dynamic_stack 0
		.amdhsa_enable_private_segment 0
		.amdhsa_system_sgpr_workgroup_id_x 1
		.amdhsa_system_sgpr_workgroup_id_y 0
		.amdhsa_system_sgpr_workgroup_id_z 0
		.amdhsa_system_sgpr_workgroup_info 0
		.amdhsa_system_vgpr_workitem_id 0
		.amdhsa_next_free_vgpr 1
		.amdhsa_next_free_sgpr 1
		.amdhsa_named_barrier_count 0
		.amdhsa_reserve_vcc 0
		.amdhsa_float_round_mode_32 0
		.amdhsa_float_round_mode_16_64 0
		.amdhsa_float_denorm_mode_32 3
		.amdhsa_float_denorm_mode_16_64 3
		.amdhsa_fp16_overflow 0
		.amdhsa_memory_ordered 1
		.amdhsa_forward_progress 1
		.amdhsa_inst_pref_size 0
		.amdhsa_round_robin_scheduling 0
		.amdhsa_exception_fp_ieee_invalid_op 0
		.amdhsa_exception_fp_denorm_src 0
		.amdhsa_exception_fp_ieee_div_zero 0
		.amdhsa_exception_fp_ieee_overflow 0
		.amdhsa_exception_fp_ieee_underflow 0
		.amdhsa_exception_fp_ieee_inexact 0
		.amdhsa_exception_int_div_zero 0
	.end_amdhsa_kernel
	.section	.text._ZN7rocprim17ROCPRIM_400000_NS6detail17trampoline_kernelINS0_14default_configENS1_38merge_sort_block_merge_config_selectorIjNS0_10empty_typeEEEZZNS1_27merge_sort_block_merge_implIS3_PjPS5_jNS1_19radix_merge_compareILb1ELb0EjNS0_19identity_decomposerEEEEE10hipError_tT0_T1_T2_jT3_P12ihipStream_tbPNSt15iterator_traitsISE_E10value_typeEPNSK_ISF_E10value_typeEPSG_NS1_7vsmem_tEENKUlT_SE_SF_SG_E_clIS8_S8_S9_S9_EESD_ST_SE_SF_SG_EUlST_E_NS1_11comp_targetILNS1_3genE9ELNS1_11target_archE1100ELNS1_3gpuE3ELNS1_3repE0EEENS1_48merge_mergepath_partition_config_static_selectorELNS0_4arch9wavefront6targetE0EEEvSF_,"axG",@progbits,_ZN7rocprim17ROCPRIM_400000_NS6detail17trampoline_kernelINS0_14default_configENS1_38merge_sort_block_merge_config_selectorIjNS0_10empty_typeEEEZZNS1_27merge_sort_block_merge_implIS3_PjPS5_jNS1_19radix_merge_compareILb1ELb0EjNS0_19identity_decomposerEEEEE10hipError_tT0_T1_T2_jT3_P12ihipStream_tbPNSt15iterator_traitsISE_E10value_typeEPNSK_ISF_E10value_typeEPSG_NS1_7vsmem_tEENKUlT_SE_SF_SG_E_clIS8_S8_S9_S9_EESD_ST_SE_SF_SG_EUlST_E_NS1_11comp_targetILNS1_3genE9ELNS1_11target_archE1100ELNS1_3gpuE3ELNS1_3repE0EEENS1_48merge_mergepath_partition_config_static_selectorELNS0_4arch9wavefront6targetE0EEEvSF_,comdat
.Lfunc_end2557:
	.size	_ZN7rocprim17ROCPRIM_400000_NS6detail17trampoline_kernelINS0_14default_configENS1_38merge_sort_block_merge_config_selectorIjNS0_10empty_typeEEEZZNS1_27merge_sort_block_merge_implIS3_PjPS5_jNS1_19radix_merge_compareILb1ELb0EjNS0_19identity_decomposerEEEEE10hipError_tT0_T1_T2_jT3_P12ihipStream_tbPNSt15iterator_traitsISE_E10value_typeEPNSK_ISF_E10value_typeEPSG_NS1_7vsmem_tEENKUlT_SE_SF_SG_E_clIS8_S8_S9_S9_EESD_ST_SE_SF_SG_EUlST_E_NS1_11comp_targetILNS1_3genE9ELNS1_11target_archE1100ELNS1_3gpuE3ELNS1_3repE0EEENS1_48merge_mergepath_partition_config_static_selectorELNS0_4arch9wavefront6targetE0EEEvSF_, .Lfunc_end2557-_ZN7rocprim17ROCPRIM_400000_NS6detail17trampoline_kernelINS0_14default_configENS1_38merge_sort_block_merge_config_selectorIjNS0_10empty_typeEEEZZNS1_27merge_sort_block_merge_implIS3_PjPS5_jNS1_19radix_merge_compareILb1ELb0EjNS0_19identity_decomposerEEEEE10hipError_tT0_T1_T2_jT3_P12ihipStream_tbPNSt15iterator_traitsISE_E10value_typeEPNSK_ISF_E10value_typeEPSG_NS1_7vsmem_tEENKUlT_SE_SF_SG_E_clIS8_S8_S9_S9_EESD_ST_SE_SF_SG_EUlST_E_NS1_11comp_targetILNS1_3genE9ELNS1_11target_archE1100ELNS1_3gpuE3ELNS1_3repE0EEENS1_48merge_mergepath_partition_config_static_selectorELNS0_4arch9wavefront6targetE0EEEvSF_
                                        ; -- End function
	.set _ZN7rocprim17ROCPRIM_400000_NS6detail17trampoline_kernelINS0_14default_configENS1_38merge_sort_block_merge_config_selectorIjNS0_10empty_typeEEEZZNS1_27merge_sort_block_merge_implIS3_PjPS5_jNS1_19radix_merge_compareILb1ELb0EjNS0_19identity_decomposerEEEEE10hipError_tT0_T1_T2_jT3_P12ihipStream_tbPNSt15iterator_traitsISE_E10value_typeEPNSK_ISF_E10value_typeEPSG_NS1_7vsmem_tEENKUlT_SE_SF_SG_E_clIS8_S8_S9_S9_EESD_ST_SE_SF_SG_EUlST_E_NS1_11comp_targetILNS1_3genE9ELNS1_11target_archE1100ELNS1_3gpuE3ELNS1_3repE0EEENS1_48merge_mergepath_partition_config_static_selectorELNS0_4arch9wavefront6targetE0EEEvSF_.num_vgpr, 0
	.set _ZN7rocprim17ROCPRIM_400000_NS6detail17trampoline_kernelINS0_14default_configENS1_38merge_sort_block_merge_config_selectorIjNS0_10empty_typeEEEZZNS1_27merge_sort_block_merge_implIS3_PjPS5_jNS1_19radix_merge_compareILb1ELb0EjNS0_19identity_decomposerEEEEE10hipError_tT0_T1_T2_jT3_P12ihipStream_tbPNSt15iterator_traitsISE_E10value_typeEPNSK_ISF_E10value_typeEPSG_NS1_7vsmem_tEENKUlT_SE_SF_SG_E_clIS8_S8_S9_S9_EESD_ST_SE_SF_SG_EUlST_E_NS1_11comp_targetILNS1_3genE9ELNS1_11target_archE1100ELNS1_3gpuE3ELNS1_3repE0EEENS1_48merge_mergepath_partition_config_static_selectorELNS0_4arch9wavefront6targetE0EEEvSF_.num_agpr, 0
	.set _ZN7rocprim17ROCPRIM_400000_NS6detail17trampoline_kernelINS0_14default_configENS1_38merge_sort_block_merge_config_selectorIjNS0_10empty_typeEEEZZNS1_27merge_sort_block_merge_implIS3_PjPS5_jNS1_19radix_merge_compareILb1ELb0EjNS0_19identity_decomposerEEEEE10hipError_tT0_T1_T2_jT3_P12ihipStream_tbPNSt15iterator_traitsISE_E10value_typeEPNSK_ISF_E10value_typeEPSG_NS1_7vsmem_tEENKUlT_SE_SF_SG_E_clIS8_S8_S9_S9_EESD_ST_SE_SF_SG_EUlST_E_NS1_11comp_targetILNS1_3genE9ELNS1_11target_archE1100ELNS1_3gpuE3ELNS1_3repE0EEENS1_48merge_mergepath_partition_config_static_selectorELNS0_4arch9wavefront6targetE0EEEvSF_.numbered_sgpr, 0
	.set _ZN7rocprim17ROCPRIM_400000_NS6detail17trampoline_kernelINS0_14default_configENS1_38merge_sort_block_merge_config_selectorIjNS0_10empty_typeEEEZZNS1_27merge_sort_block_merge_implIS3_PjPS5_jNS1_19radix_merge_compareILb1ELb0EjNS0_19identity_decomposerEEEEE10hipError_tT0_T1_T2_jT3_P12ihipStream_tbPNSt15iterator_traitsISE_E10value_typeEPNSK_ISF_E10value_typeEPSG_NS1_7vsmem_tEENKUlT_SE_SF_SG_E_clIS8_S8_S9_S9_EESD_ST_SE_SF_SG_EUlST_E_NS1_11comp_targetILNS1_3genE9ELNS1_11target_archE1100ELNS1_3gpuE3ELNS1_3repE0EEENS1_48merge_mergepath_partition_config_static_selectorELNS0_4arch9wavefront6targetE0EEEvSF_.num_named_barrier, 0
	.set _ZN7rocprim17ROCPRIM_400000_NS6detail17trampoline_kernelINS0_14default_configENS1_38merge_sort_block_merge_config_selectorIjNS0_10empty_typeEEEZZNS1_27merge_sort_block_merge_implIS3_PjPS5_jNS1_19radix_merge_compareILb1ELb0EjNS0_19identity_decomposerEEEEE10hipError_tT0_T1_T2_jT3_P12ihipStream_tbPNSt15iterator_traitsISE_E10value_typeEPNSK_ISF_E10value_typeEPSG_NS1_7vsmem_tEENKUlT_SE_SF_SG_E_clIS8_S8_S9_S9_EESD_ST_SE_SF_SG_EUlST_E_NS1_11comp_targetILNS1_3genE9ELNS1_11target_archE1100ELNS1_3gpuE3ELNS1_3repE0EEENS1_48merge_mergepath_partition_config_static_selectorELNS0_4arch9wavefront6targetE0EEEvSF_.private_seg_size, 0
	.set _ZN7rocprim17ROCPRIM_400000_NS6detail17trampoline_kernelINS0_14default_configENS1_38merge_sort_block_merge_config_selectorIjNS0_10empty_typeEEEZZNS1_27merge_sort_block_merge_implIS3_PjPS5_jNS1_19radix_merge_compareILb1ELb0EjNS0_19identity_decomposerEEEEE10hipError_tT0_T1_T2_jT3_P12ihipStream_tbPNSt15iterator_traitsISE_E10value_typeEPNSK_ISF_E10value_typeEPSG_NS1_7vsmem_tEENKUlT_SE_SF_SG_E_clIS8_S8_S9_S9_EESD_ST_SE_SF_SG_EUlST_E_NS1_11comp_targetILNS1_3genE9ELNS1_11target_archE1100ELNS1_3gpuE3ELNS1_3repE0EEENS1_48merge_mergepath_partition_config_static_selectorELNS0_4arch9wavefront6targetE0EEEvSF_.uses_vcc, 0
	.set _ZN7rocprim17ROCPRIM_400000_NS6detail17trampoline_kernelINS0_14default_configENS1_38merge_sort_block_merge_config_selectorIjNS0_10empty_typeEEEZZNS1_27merge_sort_block_merge_implIS3_PjPS5_jNS1_19radix_merge_compareILb1ELb0EjNS0_19identity_decomposerEEEEE10hipError_tT0_T1_T2_jT3_P12ihipStream_tbPNSt15iterator_traitsISE_E10value_typeEPNSK_ISF_E10value_typeEPSG_NS1_7vsmem_tEENKUlT_SE_SF_SG_E_clIS8_S8_S9_S9_EESD_ST_SE_SF_SG_EUlST_E_NS1_11comp_targetILNS1_3genE9ELNS1_11target_archE1100ELNS1_3gpuE3ELNS1_3repE0EEENS1_48merge_mergepath_partition_config_static_selectorELNS0_4arch9wavefront6targetE0EEEvSF_.uses_flat_scratch, 0
	.set _ZN7rocprim17ROCPRIM_400000_NS6detail17trampoline_kernelINS0_14default_configENS1_38merge_sort_block_merge_config_selectorIjNS0_10empty_typeEEEZZNS1_27merge_sort_block_merge_implIS3_PjPS5_jNS1_19radix_merge_compareILb1ELb0EjNS0_19identity_decomposerEEEEE10hipError_tT0_T1_T2_jT3_P12ihipStream_tbPNSt15iterator_traitsISE_E10value_typeEPNSK_ISF_E10value_typeEPSG_NS1_7vsmem_tEENKUlT_SE_SF_SG_E_clIS8_S8_S9_S9_EESD_ST_SE_SF_SG_EUlST_E_NS1_11comp_targetILNS1_3genE9ELNS1_11target_archE1100ELNS1_3gpuE3ELNS1_3repE0EEENS1_48merge_mergepath_partition_config_static_selectorELNS0_4arch9wavefront6targetE0EEEvSF_.has_dyn_sized_stack, 0
	.set _ZN7rocprim17ROCPRIM_400000_NS6detail17trampoline_kernelINS0_14default_configENS1_38merge_sort_block_merge_config_selectorIjNS0_10empty_typeEEEZZNS1_27merge_sort_block_merge_implIS3_PjPS5_jNS1_19radix_merge_compareILb1ELb0EjNS0_19identity_decomposerEEEEE10hipError_tT0_T1_T2_jT3_P12ihipStream_tbPNSt15iterator_traitsISE_E10value_typeEPNSK_ISF_E10value_typeEPSG_NS1_7vsmem_tEENKUlT_SE_SF_SG_E_clIS8_S8_S9_S9_EESD_ST_SE_SF_SG_EUlST_E_NS1_11comp_targetILNS1_3genE9ELNS1_11target_archE1100ELNS1_3gpuE3ELNS1_3repE0EEENS1_48merge_mergepath_partition_config_static_selectorELNS0_4arch9wavefront6targetE0EEEvSF_.has_recursion, 0
	.set _ZN7rocprim17ROCPRIM_400000_NS6detail17trampoline_kernelINS0_14default_configENS1_38merge_sort_block_merge_config_selectorIjNS0_10empty_typeEEEZZNS1_27merge_sort_block_merge_implIS3_PjPS5_jNS1_19radix_merge_compareILb1ELb0EjNS0_19identity_decomposerEEEEE10hipError_tT0_T1_T2_jT3_P12ihipStream_tbPNSt15iterator_traitsISE_E10value_typeEPNSK_ISF_E10value_typeEPSG_NS1_7vsmem_tEENKUlT_SE_SF_SG_E_clIS8_S8_S9_S9_EESD_ST_SE_SF_SG_EUlST_E_NS1_11comp_targetILNS1_3genE9ELNS1_11target_archE1100ELNS1_3gpuE3ELNS1_3repE0EEENS1_48merge_mergepath_partition_config_static_selectorELNS0_4arch9wavefront6targetE0EEEvSF_.has_indirect_call, 0
	.section	.AMDGPU.csdata,"",@progbits
; Kernel info:
; codeLenInByte = 0
; TotalNumSgprs: 0
; NumVgprs: 0
; ScratchSize: 0
; MemoryBound: 0
; FloatMode: 240
; IeeeMode: 1
; LDSByteSize: 0 bytes/workgroup (compile time only)
; SGPRBlocks: 0
; VGPRBlocks: 0
; NumSGPRsForWavesPerEU: 1
; NumVGPRsForWavesPerEU: 1
; NamedBarCnt: 0
; Occupancy: 16
; WaveLimiterHint : 0
; COMPUTE_PGM_RSRC2:SCRATCH_EN: 0
; COMPUTE_PGM_RSRC2:USER_SGPR: 2
; COMPUTE_PGM_RSRC2:TRAP_HANDLER: 0
; COMPUTE_PGM_RSRC2:TGID_X_EN: 1
; COMPUTE_PGM_RSRC2:TGID_Y_EN: 0
; COMPUTE_PGM_RSRC2:TGID_Z_EN: 0
; COMPUTE_PGM_RSRC2:TIDIG_COMP_CNT: 0
	.section	.text._ZN7rocprim17ROCPRIM_400000_NS6detail17trampoline_kernelINS0_14default_configENS1_38merge_sort_block_merge_config_selectorIjNS0_10empty_typeEEEZZNS1_27merge_sort_block_merge_implIS3_PjPS5_jNS1_19radix_merge_compareILb1ELb0EjNS0_19identity_decomposerEEEEE10hipError_tT0_T1_T2_jT3_P12ihipStream_tbPNSt15iterator_traitsISE_E10value_typeEPNSK_ISF_E10value_typeEPSG_NS1_7vsmem_tEENKUlT_SE_SF_SG_E_clIS8_S8_S9_S9_EESD_ST_SE_SF_SG_EUlST_E_NS1_11comp_targetILNS1_3genE8ELNS1_11target_archE1030ELNS1_3gpuE2ELNS1_3repE0EEENS1_48merge_mergepath_partition_config_static_selectorELNS0_4arch9wavefront6targetE0EEEvSF_,"axG",@progbits,_ZN7rocprim17ROCPRIM_400000_NS6detail17trampoline_kernelINS0_14default_configENS1_38merge_sort_block_merge_config_selectorIjNS0_10empty_typeEEEZZNS1_27merge_sort_block_merge_implIS3_PjPS5_jNS1_19radix_merge_compareILb1ELb0EjNS0_19identity_decomposerEEEEE10hipError_tT0_T1_T2_jT3_P12ihipStream_tbPNSt15iterator_traitsISE_E10value_typeEPNSK_ISF_E10value_typeEPSG_NS1_7vsmem_tEENKUlT_SE_SF_SG_E_clIS8_S8_S9_S9_EESD_ST_SE_SF_SG_EUlST_E_NS1_11comp_targetILNS1_3genE8ELNS1_11target_archE1030ELNS1_3gpuE2ELNS1_3repE0EEENS1_48merge_mergepath_partition_config_static_selectorELNS0_4arch9wavefront6targetE0EEEvSF_,comdat
	.protected	_ZN7rocprim17ROCPRIM_400000_NS6detail17trampoline_kernelINS0_14default_configENS1_38merge_sort_block_merge_config_selectorIjNS0_10empty_typeEEEZZNS1_27merge_sort_block_merge_implIS3_PjPS5_jNS1_19radix_merge_compareILb1ELb0EjNS0_19identity_decomposerEEEEE10hipError_tT0_T1_T2_jT3_P12ihipStream_tbPNSt15iterator_traitsISE_E10value_typeEPNSK_ISF_E10value_typeEPSG_NS1_7vsmem_tEENKUlT_SE_SF_SG_E_clIS8_S8_S9_S9_EESD_ST_SE_SF_SG_EUlST_E_NS1_11comp_targetILNS1_3genE8ELNS1_11target_archE1030ELNS1_3gpuE2ELNS1_3repE0EEENS1_48merge_mergepath_partition_config_static_selectorELNS0_4arch9wavefront6targetE0EEEvSF_ ; -- Begin function _ZN7rocprim17ROCPRIM_400000_NS6detail17trampoline_kernelINS0_14default_configENS1_38merge_sort_block_merge_config_selectorIjNS0_10empty_typeEEEZZNS1_27merge_sort_block_merge_implIS3_PjPS5_jNS1_19radix_merge_compareILb1ELb0EjNS0_19identity_decomposerEEEEE10hipError_tT0_T1_T2_jT3_P12ihipStream_tbPNSt15iterator_traitsISE_E10value_typeEPNSK_ISF_E10value_typeEPSG_NS1_7vsmem_tEENKUlT_SE_SF_SG_E_clIS8_S8_S9_S9_EESD_ST_SE_SF_SG_EUlST_E_NS1_11comp_targetILNS1_3genE8ELNS1_11target_archE1030ELNS1_3gpuE2ELNS1_3repE0EEENS1_48merge_mergepath_partition_config_static_selectorELNS0_4arch9wavefront6targetE0EEEvSF_
	.globl	_ZN7rocprim17ROCPRIM_400000_NS6detail17trampoline_kernelINS0_14default_configENS1_38merge_sort_block_merge_config_selectorIjNS0_10empty_typeEEEZZNS1_27merge_sort_block_merge_implIS3_PjPS5_jNS1_19radix_merge_compareILb1ELb0EjNS0_19identity_decomposerEEEEE10hipError_tT0_T1_T2_jT3_P12ihipStream_tbPNSt15iterator_traitsISE_E10value_typeEPNSK_ISF_E10value_typeEPSG_NS1_7vsmem_tEENKUlT_SE_SF_SG_E_clIS8_S8_S9_S9_EESD_ST_SE_SF_SG_EUlST_E_NS1_11comp_targetILNS1_3genE8ELNS1_11target_archE1030ELNS1_3gpuE2ELNS1_3repE0EEENS1_48merge_mergepath_partition_config_static_selectorELNS0_4arch9wavefront6targetE0EEEvSF_
	.p2align	8
	.type	_ZN7rocprim17ROCPRIM_400000_NS6detail17trampoline_kernelINS0_14default_configENS1_38merge_sort_block_merge_config_selectorIjNS0_10empty_typeEEEZZNS1_27merge_sort_block_merge_implIS3_PjPS5_jNS1_19radix_merge_compareILb1ELb0EjNS0_19identity_decomposerEEEEE10hipError_tT0_T1_T2_jT3_P12ihipStream_tbPNSt15iterator_traitsISE_E10value_typeEPNSK_ISF_E10value_typeEPSG_NS1_7vsmem_tEENKUlT_SE_SF_SG_E_clIS8_S8_S9_S9_EESD_ST_SE_SF_SG_EUlST_E_NS1_11comp_targetILNS1_3genE8ELNS1_11target_archE1030ELNS1_3gpuE2ELNS1_3repE0EEENS1_48merge_mergepath_partition_config_static_selectorELNS0_4arch9wavefront6targetE0EEEvSF_,@function
_ZN7rocprim17ROCPRIM_400000_NS6detail17trampoline_kernelINS0_14default_configENS1_38merge_sort_block_merge_config_selectorIjNS0_10empty_typeEEEZZNS1_27merge_sort_block_merge_implIS3_PjPS5_jNS1_19radix_merge_compareILb1ELb0EjNS0_19identity_decomposerEEEEE10hipError_tT0_T1_T2_jT3_P12ihipStream_tbPNSt15iterator_traitsISE_E10value_typeEPNSK_ISF_E10value_typeEPSG_NS1_7vsmem_tEENKUlT_SE_SF_SG_E_clIS8_S8_S9_S9_EESD_ST_SE_SF_SG_EUlST_E_NS1_11comp_targetILNS1_3genE8ELNS1_11target_archE1030ELNS1_3gpuE2ELNS1_3repE0EEENS1_48merge_mergepath_partition_config_static_selectorELNS0_4arch9wavefront6targetE0EEEvSF_: ; @_ZN7rocprim17ROCPRIM_400000_NS6detail17trampoline_kernelINS0_14default_configENS1_38merge_sort_block_merge_config_selectorIjNS0_10empty_typeEEEZZNS1_27merge_sort_block_merge_implIS3_PjPS5_jNS1_19radix_merge_compareILb1ELb0EjNS0_19identity_decomposerEEEEE10hipError_tT0_T1_T2_jT3_P12ihipStream_tbPNSt15iterator_traitsISE_E10value_typeEPNSK_ISF_E10value_typeEPSG_NS1_7vsmem_tEENKUlT_SE_SF_SG_E_clIS8_S8_S9_S9_EESD_ST_SE_SF_SG_EUlST_E_NS1_11comp_targetILNS1_3genE8ELNS1_11target_archE1030ELNS1_3gpuE2ELNS1_3repE0EEENS1_48merge_mergepath_partition_config_static_selectorELNS0_4arch9wavefront6targetE0EEEvSF_
; %bb.0:
	.section	.rodata,"a",@progbits
	.p2align	6, 0x0
	.amdhsa_kernel _ZN7rocprim17ROCPRIM_400000_NS6detail17trampoline_kernelINS0_14default_configENS1_38merge_sort_block_merge_config_selectorIjNS0_10empty_typeEEEZZNS1_27merge_sort_block_merge_implIS3_PjPS5_jNS1_19radix_merge_compareILb1ELb0EjNS0_19identity_decomposerEEEEE10hipError_tT0_T1_T2_jT3_P12ihipStream_tbPNSt15iterator_traitsISE_E10value_typeEPNSK_ISF_E10value_typeEPSG_NS1_7vsmem_tEENKUlT_SE_SF_SG_E_clIS8_S8_S9_S9_EESD_ST_SE_SF_SG_EUlST_E_NS1_11comp_targetILNS1_3genE8ELNS1_11target_archE1030ELNS1_3gpuE2ELNS1_3repE0EEENS1_48merge_mergepath_partition_config_static_selectorELNS0_4arch9wavefront6targetE0EEEvSF_
		.amdhsa_group_segment_fixed_size 0
		.amdhsa_private_segment_fixed_size 0
		.amdhsa_kernarg_size 40
		.amdhsa_user_sgpr_count 2
		.amdhsa_user_sgpr_dispatch_ptr 0
		.amdhsa_user_sgpr_queue_ptr 0
		.amdhsa_user_sgpr_kernarg_segment_ptr 1
		.amdhsa_user_sgpr_dispatch_id 0
		.amdhsa_user_sgpr_kernarg_preload_length 0
		.amdhsa_user_sgpr_kernarg_preload_offset 0
		.amdhsa_user_sgpr_private_segment_size 0
		.amdhsa_wavefront_size32 1
		.amdhsa_uses_dynamic_stack 0
		.amdhsa_enable_private_segment 0
		.amdhsa_system_sgpr_workgroup_id_x 1
		.amdhsa_system_sgpr_workgroup_id_y 0
		.amdhsa_system_sgpr_workgroup_id_z 0
		.amdhsa_system_sgpr_workgroup_info 0
		.amdhsa_system_vgpr_workitem_id 0
		.amdhsa_next_free_vgpr 1
		.amdhsa_next_free_sgpr 1
		.amdhsa_named_barrier_count 0
		.amdhsa_reserve_vcc 0
		.amdhsa_float_round_mode_32 0
		.amdhsa_float_round_mode_16_64 0
		.amdhsa_float_denorm_mode_32 3
		.amdhsa_float_denorm_mode_16_64 3
		.amdhsa_fp16_overflow 0
		.amdhsa_memory_ordered 1
		.amdhsa_forward_progress 1
		.amdhsa_inst_pref_size 0
		.amdhsa_round_robin_scheduling 0
		.amdhsa_exception_fp_ieee_invalid_op 0
		.amdhsa_exception_fp_denorm_src 0
		.amdhsa_exception_fp_ieee_div_zero 0
		.amdhsa_exception_fp_ieee_overflow 0
		.amdhsa_exception_fp_ieee_underflow 0
		.amdhsa_exception_fp_ieee_inexact 0
		.amdhsa_exception_int_div_zero 0
	.end_amdhsa_kernel
	.section	.text._ZN7rocprim17ROCPRIM_400000_NS6detail17trampoline_kernelINS0_14default_configENS1_38merge_sort_block_merge_config_selectorIjNS0_10empty_typeEEEZZNS1_27merge_sort_block_merge_implIS3_PjPS5_jNS1_19radix_merge_compareILb1ELb0EjNS0_19identity_decomposerEEEEE10hipError_tT0_T1_T2_jT3_P12ihipStream_tbPNSt15iterator_traitsISE_E10value_typeEPNSK_ISF_E10value_typeEPSG_NS1_7vsmem_tEENKUlT_SE_SF_SG_E_clIS8_S8_S9_S9_EESD_ST_SE_SF_SG_EUlST_E_NS1_11comp_targetILNS1_3genE8ELNS1_11target_archE1030ELNS1_3gpuE2ELNS1_3repE0EEENS1_48merge_mergepath_partition_config_static_selectorELNS0_4arch9wavefront6targetE0EEEvSF_,"axG",@progbits,_ZN7rocprim17ROCPRIM_400000_NS6detail17trampoline_kernelINS0_14default_configENS1_38merge_sort_block_merge_config_selectorIjNS0_10empty_typeEEEZZNS1_27merge_sort_block_merge_implIS3_PjPS5_jNS1_19radix_merge_compareILb1ELb0EjNS0_19identity_decomposerEEEEE10hipError_tT0_T1_T2_jT3_P12ihipStream_tbPNSt15iterator_traitsISE_E10value_typeEPNSK_ISF_E10value_typeEPSG_NS1_7vsmem_tEENKUlT_SE_SF_SG_E_clIS8_S8_S9_S9_EESD_ST_SE_SF_SG_EUlST_E_NS1_11comp_targetILNS1_3genE8ELNS1_11target_archE1030ELNS1_3gpuE2ELNS1_3repE0EEENS1_48merge_mergepath_partition_config_static_selectorELNS0_4arch9wavefront6targetE0EEEvSF_,comdat
.Lfunc_end2558:
	.size	_ZN7rocprim17ROCPRIM_400000_NS6detail17trampoline_kernelINS0_14default_configENS1_38merge_sort_block_merge_config_selectorIjNS0_10empty_typeEEEZZNS1_27merge_sort_block_merge_implIS3_PjPS5_jNS1_19radix_merge_compareILb1ELb0EjNS0_19identity_decomposerEEEEE10hipError_tT0_T1_T2_jT3_P12ihipStream_tbPNSt15iterator_traitsISE_E10value_typeEPNSK_ISF_E10value_typeEPSG_NS1_7vsmem_tEENKUlT_SE_SF_SG_E_clIS8_S8_S9_S9_EESD_ST_SE_SF_SG_EUlST_E_NS1_11comp_targetILNS1_3genE8ELNS1_11target_archE1030ELNS1_3gpuE2ELNS1_3repE0EEENS1_48merge_mergepath_partition_config_static_selectorELNS0_4arch9wavefront6targetE0EEEvSF_, .Lfunc_end2558-_ZN7rocprim17ROCPRIM_400000_NS6detail17trampoline_kernelINS0_14default_configENS1_38merge_sort_block_merge_config_selectorIjNS0_10empty_typeEEEZZNS1_27merge_sort_block_merge_implIS3_PjPS5_jNS1_19radix_merge_compareILb1ELb0EjNS0_19identity_decomposerEEEEE10hipError_tT0_T1_T2_jT3_P12ihipStream_tbPNSt15iterator_traitsISE_E10value_typeEPNSK_ISF_E10value_typeEPSG_NS1_7vsmem_tEENKUlT_SE_SF_SG_E_clIS8_S8_S9_S9_EESD_ST_SE_SF_SG_EUlST_E_NS1_11comp_targetILNS1_3genE8ELNS1_11target_archE1030ELNS1_3gpuE2ELNS1_3repE0EEENS1_48merge_mergepath_partition_config_static_selectorELNS0_4arch9wavefront6targetE0EEEvSF_
                                        ; -- End function
	.set _ZN7rocprim17ROCPRIM_400000_NS6detail17trampoline_kernelINS0_14default_configENS1_38merge_sort_block_merge_config_selectorIjNS0_10empty_typeEEEZZNS1_27merge_sort_block_merge_implIS3_PjPS5_jNS1_19radix_merge_compareILb1ELb0EjNS0_19identity_decomposerEEEEE10hipError_tT0_T1_T2_jT3_P12ihipStream_tbPNSt15iterator_traitsISE_E10value_typeEPNSK_ISF_E10value_typeEPSG_NS1_7vsmem_tEENKUlT_SE_SF_SG_E_clIS8_S8_S9_S9_EESD_ST_SE_SF_SG_EUlST_E_NS1_11comp_targetILNS1_3genE8ELNS1_11target_archE1030ELNS1_3gpuE2ELNS1_3repE0EEENS1_48merge_mergepath_partition_config_static_selectorELNS0_4arch9wavefront6targetE0EEEvSF_.num_vgpr, 0
	.set _ZN7rocprim17ROCPRIM_400000_NS6detail17trampoline_kernelINS0_14default_configENS1_38merge_sort_block_merge_config_selectorIjNS0_10empty_typeEEEZZNS1_27merge_sort_block_merge_implIS3_PjPS5_jNS1_19radix_merge_compareILb1ELb0EjNS0_19identity_decomposerEEEEE10hipError_tT0_T1_T2_jT3_P12ihipStream_tbPNSt15iterator_traitsISE_E10value_typeEPNSK_ISF_E10value_typeEPSG_NS1_7vsmem_tEENKUlT_SE_SF_SG_E_clIS8_S8_S9_S9_EESD_ST_SE_SF_SG_EUlST_E_NS1_11comp_targetILNS1_3genE8ELNS1_11target_archE1030ELNS1_3gpuE2ELNS1_3repE0EEENS1_48merge_mergepath_partition_config_static_selectorELNS0_4arch9wavefront6targetE0EEEvSF_.num_agpr, 0
	.set _ZN7rocprim17ROCPRIM_400000_NS6detail17trampoline_kernelINS0_14default_configENS1_38merge_sort_block_merge_config_selectorIjNS0_10empty_typeEEEZZNS1_27merge_sort_block_merge_implIS3_PjPS5_jNS1_19radix_merge_compareILb1ELb0EjNS0_19identity_decomposerEEEEE10hipError_tT0_T1_T2_jT3_P12ihipStream_tbPNSt15iterator_traitsISE_E10value_typeEPNSK_ISF_E10value_typeEPSG_NS1_7vsmem_tEENKUlT_SE_SF_SG_E_clIS8_S8_S9_S9_EESD_ST_SE_SF_SG_EUlST_E_NS1_11comp_targetILNS1_3genE8ELNS1_11target_archE1030ELNS1_3gpuE2ELNS1_3repE0EEENS1_48merge_mergepath_partition_config_static_selectorELNS0_4arch9wavefront6targetE0EEEvSF_.numbered_sgpr, 0
	.set _ZN7rocprim17ROCPRIM_400000_NS6detail17trampoline_kernelINS0_14default_configENS1_38merge_sort_block_merge_config_selectorIjNS0_10empty_typeEEEZZNS1_27merge_sort_block_merge_implIS3_PjPS5_jNS1_19radix_merge_compareILb1ELb0EjNS0_19identity_decomposerEEEEE10hipError_tT0_T1_T2_jT3_P12ihipStream_tbPNSt15iterator_traitsISE_E10value_typeEPNSK_ISF_E10value_typeEPSG_NS1_7vsmem_tEENKUlT_SE_SF_SG_E_clIS8_S8_S9_S9_EESD_ST_SE_SF_SG_EUlST_E_NS1_11comp_targetILNS1_3genE8ELNS1_11target_archE1030ELNS1_3gpuE2ELNS1_3repE0EEENS1_48merge_mergepath_partition_config_static_selectorELNS0_4arch9wavefront6targetE0EEEvSF_.num_named_barrier, 0
	.set _ZN7rocprim17ROCPRIM_400000_NS6detail17trampoline_kernelINS0_14default_configENS1_38merge_sort_block_merge_config_selectorIjNS0_10empty_typeEEEZZNS1_27merge_sort_block_merge_implIS3_PjPS5_jNS1_19radix_merge_compareILb1ELb0EjNS0_19identity_decomposerEEEEE10hipError_tT0_T1_T2_jT3_P12ihipStream_tbPNSt15iterator_traitsISE_E10value_typeEPNSK_ISF_E10value_typeEPSG_NS1_7vsmem_tEENKUlT_SE_SF_SG_E_clIS8_S8_S9_S9_EESD_ST_SE_SF_SG_EUlST_E_NS1_11comp_targetILNS1_3genE8ELNS1_11target_archE1030ELNS1_3gpuE2ELNS1_3repE0EEENS1_48merge_mergepath_partition_config_static_selectorELNS0_4arch9wavefront6targetE0EEEvSF_.private_seg_size, 0
	.set _ZN7rocprim17ROCPRIM_400000_NS6detail17trampoline_kernelINS0_14default_configENS1_38merge_sort_block_merge_config_selectorIjNS0_10empty_typeEEEZZNS1_27merge_sort_block_merge_implIS3_PjPS5_jNS1_19radix_merge_compareILb1ELb0EjNS0_19identity_decomposerEEEEE10hipError_tT0_T1_T2_jT3_P12ihipStream_tbPNSt15iterator_traitsISE_E10value_typeEPNSK_ISF_E10value_typeEPSG_NS1_7vsmem_tEENKUlT_SE_SF_SG_E_clIS8_S8_S9_S9_EESD_ST_SE_SF_SG_EUlST_E_NS1_11comp_targetILNS1_3genE8ELNS1_11target_archE1030ELNS1_3gpuE2ELNS1_3repE0EEENS1_48merge_mergepath_partition_config_static_selectorELNS0_4arch9wavefront6targetE0EEEvSF_.uses_vcc, 0
	.set _ZN7rocprim17ROCPRIM_400000_NS6detail17trampoline_kernelINS0_14default_configENS1_38merge_sort_block_merge_config_selectorIjNS0_10empty_typeEEEZZNS1_27merge_sort_block_merge_implIS3_PjPS5_jNS1_19radix_merge_compareILb1ELb0EjNS0_19identity_decomposerEEEEE10hipError_tT0_T1_T2_jT3_P12ihipStream_tbPNSt15iterator_traitsISE_E10value_typeEPNSK_ISF_E10value_typeEPSG_NS1_7vsmem_tEENKUlT_SE_SF_SG_E_clIS8_S8_S9_S9_EESD_ST_SE_SF_SG_EUlST_E_NS1_11comp_targetILNS1_3genE8ELNS1_11target_archE1030ELNS1_3gpuE2ELNS1_3repE0EEENS1_48merge_mergepath_partition_config_static_selectorELNS0_4arch9wavefront6targetE0EEEvSF_.uses_flat_scratch, 0
	.set _ZN7rocprim17ROCPRIM_400000_NS6detail17trampoline_kernelINS0_14default_configENS1_38merge_sort_block_merge_config_selectorIjNS0_10empty_typeEEEZZNS1_27merge_sort_block_merge_implIS3_PjPS5_jNS1_19radix_merge_compareILb1ELb0EjNS0_19identity_decomposerEEEEE10hipError_tT0_T1_T2_jT3_P12ihipStream_tbPNSt15iterator_traitsISE_E10value_typeEPNSK_ISF_E10value_typeEPSG_NS1_7vsmem_tEENKUlT_SE_SF_SG_E_clIS8_S8_S9_S9_EESD_ST_SE_SF_SG_EUlST_E_NS1_11comp_targetILNS1_3genE8ELNS1_11target_archE1030ELNS1_3gpuE2ELNS1_3repE0EEENS1_48merge_mergepath_partition_config_static_selectorELNS0_4arch9wavefront6targetE0EEEvSF_.has_dyn_sized_stack, 0
	.set _ZN7rocprim17ROCPRIM_400000_NS6detail17trampoline_kernelINS0_14default_configENS1_38merge_sort_block_merge_config_selectorIjNS0_10empty_typeEEEZZNS1_27merge_sort_block_merge_implIS3_PjPS5_jNS1_19radix_merge_compareILb1ELb0EjNS0_19identity_decomposerEEEEE10hipError_tT0_T1_T2_jT3_P12ihipStream_tbPNSt15iterator_traitsISE_E10value_typeEPNSK_ISF_E10value_typeEPSG_NS1_7vsmem_tEENKUlT_SE_SF_SG_E_clIS8_S8_S9_S9_EESD_ST_SE_SF_SG_EUlST_E_NS1_11comp_targetILNS1_3genE8ELNS1_11target_archE1030ELNS1_3gpuE2ELNS1_3repE0EEENS1_48merge_mergepath_partition_config_static_selectorELNS0_4arch9wavefront6targetE0EEEvSF_.has_recursion, 0
	.set _ZN7rocprim17ROCPRIM_400000_NS6detail17trampoline_kernelINS0_14default_configENS1_38merge_sort_block_merge_config_selectorIjNS0_10empty_typeEEEZZNS1_27merge_sort_block_merge_implIS3_PjPS5_jNS1_19radix_merge_compareILb1ELb0EjNS0_19identity_decomposerEEEEE10hipError_tT0_T1_T2_jT3_P12ihipStream_tbPNSt15iterator_traitsISE_E10value_typeEPNSK_ISF_E10value_typeEPSG_NS1_7vsmem_tEENKUlT_SE_SF_SG_E_clIS8_S8_S9_S9_EESD_ST_SE_SF_SG_EUlST_E_NS1_11comp_targetILNS1_3genE8ELNS1_11target_archE1030ELNS1_3gpuE2ELNS1_3repE0EEENS1_48merge_mergepath_partition_config_static_selectorELNS0_4arch9wavefront6targetE0EEEvSF_.has_indirect_call, 0
	.section	.AMDGPU.csdata,"",@progbits
; Kernel info:
; codeLenInByte = 0
; TotalNumSgprs: 0
; NumVgprs: 0
; ScratchSize: 0
; MemoryBound: 0
; FloatMode: 240
; IeeeMode: 1
; LDSByteSize: 0 bytes/workgroup (compile time only)
; SGPRBlocks: 0
; VGPRBlocks: 0
; NumSGPRsForWavesPerEU: 1
; NumVGPRsForWavesPerEU: 1
; NamedBarCnt: 0
; Occupancy: 16
; WaveLimiterHint : 0
; COMPUTE_PGM_RSRC2:SCRATCH_EN: 0
; COMPUTE_PGM_RSRC2:USER_SGPR: 2
; COMPUTE_PGM_RSRC2:TRAP_HANDLER: 0
; COMPUTE_PGM_RSRC2:TGID_X_EN: 1
; COMPUTE_PGM_RSRC2:TGID_Y_EN: 0
; COMPUTE_PGM_RSRC2:TGID_Z_EN: 0
; COMPUTE_PGM_RSRC2:TIDIG_COMP_CNT: 0
	.section	.text._ZN7rocprim17ROCPRIM_400000_NS6detail17trampoline_kernelINS0_14default_configENS1_38merge_sort_block_merge_config_selectorIjNS0_10empty_typeEEEZZNS1_27merge_sort_block_merge_implIS3_PjPS5_jNS1_19radix_merge_compareILb1ELb0EjNS0_19identity_decomposerEEEEE10hipError_tT0_T1_T2_jT3_P12ihipStream_tbPNSt15iterator_traitsISE_E10value_typeEPNSK_ISF_E10value_typeEPSG_NS1_7vsmem_tEENKUlT_SE_SF_SG_E_clIS8_S8_S9_S9_EESD_ST_SE_SF_SG_EUlST_E0_NS1_11comp_targetILNS1_3genE0ELNS1_11target_archE4294967295ELNS1_3gpuE0ELNS1_3repE0EEENS1_38merge_mergepath_config_static_selectorELNS0_4arch9wavefront6targetE0EEEvSF_,"axG",@progbits,_ZN7rocprim17ROCPRIM_400000_NS6detail17trampoline_kernelINS0_14default_configENS1_38merge_sort_block_merge_config_selectorIjNS0_10empty_typeEEEZZNS1_27merge_sort_block_merge_implIS3_PjPS5_jNS1_19radix_merge_compareILb1ELb0EjNS0_19identity_decomposerEEEEE10hipError_tT0_T1_T2_jT3_P12ihipStream_tbPNSt15iterator_traitsISE_E10value_typeEPNSK_ISF_E10value_typeEPSG_NS1_7vsmem_tEENKUlT_SE_SF_SG_E_clIS8_S8_S9_S9_EESD_ST_SE_SF_SG_EUlST_E0_NS1_11comp_targetILNS1_3genE0ELNS1_11target_archE4294967295ELNS1_3gpuE0ELNS1_3repE0EEENS1_38merge_mergepath_config_static_selectorELNS0_4arch9wavefront6targetE0EEEvSF_,comdat
	.protected	_ZN7rocprim17ROCPRIM_400000_NS6detail17trampoline_kernelINS0_14default_configENS1_38merge_sort_block_merge_config_selectorIjNS0_10empty_typeEEEZZNS1_27merge_sort_block_merge_implIS3_PjPS5_jNS1_19radix_merge_compareILb1ELb0EjNS0_19identity_decomposerEEEEE10hipError_tT0_T1_T2_jT3_P12ihipStream_tbPNSt15iterator_traitsISE_E10value_typeEPNSK_ISF_E10value_typeEPSG_NS1_7vsmem_tEENKUlT_SE_SF_SG_E_clIS8_S8_S9_S9_EESD_ST_SE_SF_SG_EUlST_E0_NS1_11comp_targetILNS1_3genE0ELNS1_11target_archE4294967295ELNS1_3gpuE0ELNS1_3repE0EEENS1_38merge_mergepath_config_static_selectorELNS0_4arch9wavefront6targetE0EEEvSF_ ; -- Begin function _ZN7rocprim17ROCPRIM_400000_NS6detail17trampoline_kernelINS0_14default_configENS1_38merge_sort_block_merge_config_selectorIjNS0_10empty_typeEEEZZNS1_27merge_sort_block_merge_implIS3_PjPS5_jNS1_19radix_merge_compareILb1ELb0EjNS0_19identity_decomposerEEEEE10hipError_tT0_T1_T2_jT3_P12ihipStream_tbPNSt15iterator_traitsISE_E10value_typeEPNSK_ISF_E10value_typeEPSG_NS1_7vsmem_tEENKUlT_SE_SF_SG_E_clIS8_S8_S9_S9_EESD_ST_SE_SF_SG_EUlST_E0_NS1_11comp_targetILNS1_3genE0ELNS1_11target_archE4294967295ELNS1_3gpuE0ELNS1_3repE0EEENS1_38merge_mergepath_config_static_selectorELNS0_4arch9wavefront6targetE0EEEvSF_
	.globl	_ZN7rocprim17ROCPRIM_400000_NS6detail17trampoline_kernelINS0_14default_configENS1_38merge_sort_block_merge_config_selectorIjNS0_10empty_typeEEEZZNS1_27merge_sort_block_merge_implIS3_PjPS5_jNS1_19radix_merge_compareILb1ELb0EjNS0_19identity_decomposerEEEEE10hipError_tT0_T1_T2_jT3_P12ihipStream_tbPNSt15iterator_traitsISE_E10value_typeEPNSK_ISF_E10value_typeEPSG_NS1_7vsmem_tEENKUlT_SE_SF_SG_E_clIS8_S8_S9_S9_EESD_ST_SE_SF_SG_EUlST_E0_NS1_11comp_targetILNS1_3genE0ELNS1_11target_archE4294967295ELNS1_3gpuE0ELNS1_3repE0EEENS1_38merge_mergepath_config_static_selectorELNS0_4arch9wavefront6targetE0EEEvSF_
	.p2align	8
	.type	_ZN7rocprim17ROCPRIM_400000_NS6detail17trampoline_kernelINS0_14default_configENS1_38merge_sort_block_merge_config_selectorIjNS0_10empty_typeEEEZZNS1_27merge_sort_block_merge_implIS3_PjPS5_jNS1_19radix_merge_compareILb1ELb0EjNS0_19identity_decomposerEEEEE10hipError_tT0_T1_T2_jT3_P12ihipStream_tbPNSt15iterator_traitsISE_E10value_typeEPNSK_ISF_E10value_typeEPSG_NS1_7vsmem_tEENKUlT_SE_SF_SG_E_clIS8_S8_S9_S9_EESD_ST_SE_SF_SG_EUlST_E0_NS1_11comp_targetILNS1_3genE0ELNS1_11target_archE4294967295ELNS1_3gpuE0ELNS1_3repE0EEENS1_38merge_mergepath_config_static_selectorELNS0_4arch9wavefront6targetE0EEEvSF_,@function
_ZN7rocprim17ROCPRIM_400000_NS6detail17trampoline_kernelINS0_14default_configENS1_38merge_sort_block_merge_config_selectorIjNS0_10empty_typeEEEZZNS1_27merge_sort_block_merge_implIS3_PjPS5_jNS1_19radix_merge_compareILb1ELb0EjNS0_19identity_decomposerEEEEE10hipError_tT0_T1_T2_jT3_P12ihipStream_tbPNSt15iterator_traitsISE_E10value_typeEPNSK_ISF_E10value_typeEPSG_NS1_7vsmem_tEENKUlT_SE_SF_SG_E_clIS8_S8_S9_S9_EESD_ST_SE_SF_SG_EUlST_E0_NS1_11comp_targetILNS1_3genE0ELNS1_11target_archE4294967295ELNS1_3gpuE0ELNS1_3repE0EEENS1_38merge_mergepath_config_static_selectorELNS0_4arch9wavefront6targetE0EEEvSF_: ; @_ZN7rocprim17ROCPRIM_400000_NS6detail17trampoline_kernelINS0_14default_configENS1_38merge_sort_block_merge_config_selectorIjNS0_10empty_typeEEEZZNS1_27merge_sort_block_merge_implIS3_PjPS5_jNS1_19radix_merge_compareILb1ELb0EjNS0_19identity_decomposerEEEEE10hipError_tT0_T1_T2_jT3_P12ihipStream_tbPNSt15iterator_traitsISE_E10value_typeEPNSK_ISF_E10value_typeEPSG_NS1_7vsmem_tEENKUlT_SE_SF_SG_E_clIS8_S8_S9_S9_EESD_ST_SE_SF_SG_EUlST_E0_NS1_11comp_targetILNS1_3genE0ELNS1_11target_archE4294967295ELNS1_3gpuE0ELNS1_3repE0EEENS1_38merge_mergepath_config_static_selectorELNS0_4arch9wavefront6targetE0EEEvSF_
; %bb.0:
	s_bfe_u32 s2, ttmp6, 0x40010
	s_and_b32 s4, ttmp7, 0xffff
	s_add_co_i32 s5, s2, 1
	s_clause 0x1
	s_load_b32 s6, s[0:1], 0x30
	s_load_b64 s[2:3], s[0:1], 0x40
	s_bfe_u32 s8, ttmp6, 0x4000c
	s_mul_i32 s5, s4, s5
	s_bfe_u32 s7, ttmp6, 0x40004
	s_add_co_i32 s8, s8, 1
	s_bfe_u32 s9, ttmp6, 0x40014
	s_add_co_i32 s7, s7, s5
	s_and_b32 s5, ttmp6, 15
	s_mul_i32 s8, ttmp9, s8
	s_lshr_b32 s10, ttmp7, 16
	s_add_co_i32 s9, s9, 1
	s_add_co_i32 s5, s5, s8
	s_mul_i32 s8, s10, s9
	s_bfe_u32 s9, ttmp6, 0x40008
	s_getreg_b32 s11, hwreg(HW_REG_IB_STS2, 6, 4)
	s_add_co_i32 s9, s9, s8
	s_cmp_eq_u32 s11, 0
	s_cselect_b32 s8, s10, s9
	s_cselect_b32 s4, s4, s7
	s_wait_kmcnt 0x0
	s_mul_i32 s8, s3, s8
	s_cselect_b32 s3, ttmp9, s5
	s_add_co_i32 s4, s8, s4
	s_mov_b32 s5, 0
	s_mul_i32 s4, s4, s2
	s_delay_alu instid0(SALU_CYCLE_1) | instskip(NEXT) | instid1(SALU_CYCLE_1)
	s_add_co_i32 s4, s4, s3
	s_cmp_ge_u32 s4, s6
	s_cbranch_scc1 .LBB2559_43
; %bb.1:
	v_mov_b32_e32 v11, 0
	s_add_nc_u64 s[6:7], s[0:1], 64
	v_lshlrev_b32_e32 v10, 2, v0
	global_load_b32 v1, v11, s[6:7] offset:14
	s_clause 0x2
	s_load_b64 s[8:9], s[0:1], 0x28
	s_load_b64 s[10:11], s[0:1], 0x38
	;; [unrolled: 1-line block ×3, first 2 shown]
	s_wait_kmcnt 0x0
	s_lshr_b32 s22, s8, 10
	s_delay_alu instid0(SALU_CYCLE_1) | instskip(SKIP_2) | instid1(SALU_CYCLE_1)
	s_cmp_lg_u32 s4, s22
	s_cselect_b32 s14, -1, 0
	s_lshl_b64 s[12:13], s[4:5], 2
	s_add_nc_u64 s[10:11], s[10:11], s[12:13]
	s_load_b64 s[12:13], s[10:11], 0x0
	s_wait_xcnt 0x0
	s_lshr_b32 s10, s9, 9
	s_delay_alu instid0(SALU_CYCLE_1) | instskip(NEXT) | instid1(SALU_CYCLE_1)
	s_and_b32 s10, s10, 0x7ffffe
	s_sub_co_i32 s11, 0, s10
	s_lshl_b32 s10, s4, 10
	s_and_b32 s15, s4, s11
	s_or_b32 s11, s4, s11
	s_lshl_b32 s18, s15, 11
	s_lshl_b32 s15, s15, 10
	s_add_co_i32 s18, s18, s9
	s_sub_co_i32 s19, s10, s15
	s_sub_co_i32 s15, s18, s15
	s_add_co_i32 s18, s18, s19
	s_min_u32 s20, s8, s15
	s_add_co_i32 s15, s15, s9
	s_wait_kmcnt 0x0
	s_sub_co_i32 s9, s18, s12
	s_sub_co_i32 s19, s18, s13
	s_min_u32 s18, s8, s9
	s_add_co_i32 s9, s19, 0x400
	s_cmp_eq_u32 s11, -1
	s_mov_b32 s19, s5
	s_cselect_b32 s9, s15, s9
	s_cselect_b32 s11, s20, s13
	s_mov_b32 s13, s5
	s_min_u32 s15, s9, s8
	s_lshl_b64 s[20:21], s[18:19], 2
	s_sub_co_i32 s9, s11, s12
	s_lshl_b64 s[12:13], s[12:13], 2
	s_sub_co_i32 s15, s15, s18
	s_cmp_lt_u32 s3, s2
	s_mov_b32 s3, s5
	s_cselect_b32 s2, 12, 18
	s_add_nc_u64 s[12:13], s[16:17], s[12:13]
	s_add_nc_u64 s[2:3], s[6:7], s[2:3]
	s_cmp_eq_u32 s4, s22
	s_load_u16 s2, s[2:3], 0x0
	s_add_nc_u64 s[6:7], s[16:17], s[20:21]
	s_wait_loadcnt 0x0
	v_lshrrev_b32_e32 v2, 16, v1
	v_and_b32_e32 v1, 0xffff, v1
	s_delay_alu instid0(VALU_DEP_1) | instskip(SKIP_1) | instid1(VALU_DEP_1)
	v_mul_lo_u32 v1, v1, v2
	s_wait_kmcnt 0x0
	v_mul_lo_u32 v1, v1, s2
	s_mov_b32 s2, -1
	s_delay_alu instid0(VALU_DEP_1) | instskip(NEXT) | instid1(VALU_DEP_1)
	v_add_nc_u32_e32 v14, v1, v0
	v_add_nc_u32_e32 v12, v14, v1
	s_cbranch_scc1 .LBB2559_3
; %bb.2:
	v_sub_co_u32 v4, vcc_lo, v0, s9
	v_dual_mov_b32 v5, v11 :: v_dual_mov_b32 v15, v11
	v_add_nc_u64_e32 v[2:3], s[12:13], v[10:11]
	v_sub_co_u32 v8, s2, v14, s9
	s_delay_alu instid0(VALU_DEP_3) | instskip(SKIP_3) | instid1(VALU_DEP_4)
	v_lshl_add_u64 v[4:5], v[4:5], 2, s[6:7]
	v_dual_mov_b32 v9, v11 :: v_dual_mov_b32 v13, v11
	v_lshl_add_u64 v[6:7], v[14:15], 2, s[12:13]
	v_dual_mov_b32 v17, v11 :: v_dual_add_nc_u32 v18, v12, v1
	v_dual_cndmask_b32 v3, v5, v3 :: v_dual_cndmask_b32 v2, v4, v2
	s_delay_alu instid0(VALU_DEP_4) | instskip(SKIP_3) | instid1(VALU_DEP_4)
	v_lshl_add_u64 v[4:5], v[8:9], 2, s[6:7]
	v_sub_co_u32 v16, vcc_lo, v12, s9
	v_mov_b32_e32 v19, v11
	v_lshl_add_u64 v[8:9], v[12:13], 2, s[12:13]
	v_dual_cndmask_b32 v5, v5, v7, s2 :: v_dual_cndmask_b32 v4, v4, v6, s2
	v_mov_b32_e32 v21, v11
	v_lshl_add_u64 v[6:7], v[16:17], 2, s[6:7]
	v_lshl_add_u64 v[16:17], v[18:19], 2, s[12:13]
	v_sub_co_u32 v20, s2, v18, s9
	v_dual_mov_b32 v23, v11 :: v_dual_add_nc_u32 v18, v18, v1
	global_load_b32 v2, v[2:3], off
	global_load_b32 v3, v[4:5], off
	s_wait_xcnt 0x0
	v_dual_cndmask_b32 v5, v7, v9 :: v_dual_cndmask_b32 v4, v6, v8
	v_lshl_add_u64 v[6:7], v[20:21], 2, s[6:7]
	v_lshl_add_u64 v[8:9], v[18:19], 2, s[12:13]
	v_sub_co_u32 v20, vcc_lo, v18, s9
	v_dual_mov_b32 v25, v11 :: v_dual_add_nc_u32 v18, v18, v1
	s_delay_alu instid0(VALU_DEP_4) | instskip(NEXT) | instid1(VALU_DEP_3)
	v_dual_cndmask_b32 v17, v7, v17, s2 :: v_dual_cndmask_b32 v16, v6, v16, s2
	v_lshl_add_u64 v[6:7], v[20:21], 2, s[6:7]
	s_delay_alu instid0(VALU_DEP_3) | instskip(SKIP_2) | instid1(VALU_DEP_4)
	v_lshl_add_u64 v[20:21], v[18:19], 2, s[12:13]
	v_add_nc_u32_e32 v22, v18, v1
	v_sub_co_u32 v18, s2, v18, s9
	v_dual_cndmask_b32 v31, v7, v9 :: v_dual_cndmask_b32 v30, v6, v8
	global_load_b32 v4, v[4:5], off
	v_lshl_add_u64 v[18:19], v[18:19], 2, s[6:7]
	s_add_co_i32 s11, s15, s9
	s_delay_alu instid0(VALU_DEP_1) | instskip(SKIP_3) | instid1(VALU_DEP_1)
	v_cndmask_b32_e64 v18, v18, v20, s2
	v_lshl_add_u64 v[26:27], v[22:23], 2, s[12:13]
	v_add_nc_u32_e32 v24, v22, v1
	v_sub_co_u32 v22, s3, v22, s9
	v_lshl_add_u64 v[22:23], v[22:23], 2, s[6:7]
	v_cndmask_b32_e64 v19, v19, v21, s2
	s_delay_alu instid0(VALU_DEP_2) | instskip(SKIP_3) | instid1(VALU_DEP_2)
	v_cndmask_b32_e64 v21, v23, v27, s3
	v_lshl_add_u64 v[28:29], v[24:25], 2, s[12:13]
	v_sub_co_u32 v24, s4, v24, s9
	v_cndmask_b32_e64 v20, v22, v26, s3
	v_lshl_add_u64 v[6:7], v[24:25], 2, s[6:7]
	s_delay_alu instid0(VALU_DEP_1)
	v_dual_cndmask_b32 v23, v7, v29, s4 :: v_dual_cndmask_b32 v22, v6, v28, s4
	global_load_b32 v5, v[16:17], off
	global_load_b32 v6, v[30:31], off
	;; [unrolled: 1-line block ×5, first 2 shown]
	s_cbranch_execz .LBB2559_4
	s_branch .LBB2559_19
.LBB2559_3:
                                        ; implicit-def: $vgpr2_vgpr3_vgpr4_vgpr5_vgpr6_vgpr7_vgpr8_vgpr9
                                        ; implicit-def: $sgpr11
	s_and_not1_b32 vcc_lo, exec_lo, s2
	s_cbranch_vccnz .LBB2559_19
.LBB2559_4:
	s_wait_loadcnt 0x7
	v_mov_b32_e32 v2, 0
	s_add_co_i32 s11, s15, s9
	s_mov_b32 s2, exec_lo
	s_wait_loadcnt 0x5
	s_delay_alu instid0(VALU_DEP_1)
	v_dual_mov_b32 v3, v2 :: v_dual_mov_b32 v4, v2
	s_wait_loadcnt 0x3
	v_dual_mov_b32 v5, v2 :: v_dual_mov_b32 v6, v2
	s_wait_loadcnt 0x1
	;; [unrolled: 2-line block ×3, first 2 shown]
	v_mov_b32_e32 v9, v2
	v_cmpx_gt_u32_e64 s11, v0
	s_cbranch_execnz .LBB2559_44
; %bb.5:
	s_or_b32 exec_lo, exec_lo, s2
	s_delay_alu instid0(SALU_CYCLE_1)
	s_mov_b32 s2, exec_lo
	v_cmpx_gt_u32_e64 s11, v14
	s_cbranch_execnz .LBB2559_45
.LBB2559_6:
	s_or_b32 exec_lo, exec_lo, s2
	s_delay_alu instid0(SALU_CYCLE_1)
	s_mov_b32 s2, exec_lo
	v_cmpx_gt_u32_e64 s11, v12
	s_cbranch_execz .LBB2559_8
.LBB2559_7:
	v_sub_co_u32 v16, vcc_lo, v12, s9
	v_mov_b32_e32 v13, 0
	s_delay_alu instid0(VALU_DEP_1) | instskip(SKIP_1) | instid1(VALU_DEP_1)
	v_lshl_add_u64 v[14:15], v[12:13], 2, s[12:13]
	v_mov_b32_e32 v17, v13
	v_lshl_add_u64 v[16:17], v[16:17], 2, s[6:7]
	s_delay_alu instid0(VALU_DEP_1)
	v_dual_cndmask_b32 v15, v17, v15 :: v_dual_cndmask_b32 v14, v16, v14
	global_load_b32 v4, v[14:15], off
.LBB2559_8:
	s_wait_xcnt 0x0
	s_or_b32 exec_lo, exec_lo, s2
	v_add_nc_u32_e32 v12, v12, v1
	s_mov_b32 s2, exec_lo
	s_delay_alu instid0(VALU_DEP_1)
	v_cmpx_gt_u32_e64 s11, v12
	s_cbranch_execz .LBB2559_10
; %bb.9:
	v_sub_co_u32 v16, vcc_lo, v12, s9
	v_mov_b32_e32 v13, 0
	s_delay_alu instid0(VALU_DEP_1) | instskip(SKIP_1) | instid1(VALU_DEP_1)
	v_lshl_add_u64 v[14:15], v[12:13], 2, s[12:13]
	v_mov_b32_e32 v17, v13
	v_lshl_add_u64 v[16:17], v[16:17], 2, s[6:7]
	s_delay_alu instid0(VALU_DEP_1)
	v_dual_cndmask_b32 v15, v17, v15 :: v_dual_cndmask_b32 v14, v16, v14
	global_load_b32 v5, v[14:15], off
.LBB2559_10:
	s_wait_xcnt 0x0
	s_or_b32 exec_lo, exec_lo, s2
	v_add_nc_u32_e32 v12, v12, v1
	s_mov_b32 s2, exec_lo
	s_delay_alu instid0(VALU_DEP_1)
	v_cmpx_gt_u32_e64 s11, v12
	s_cbranch_execz .LBB2559_12
; %bb.11:
	v_sub_co_u32 v16, vcc_lo, v12, s9
	v_mov_b32_e32 v13, 0
	s_delay_alu instid0(VALU_DEP_1) | instskip(SKIP_1) | instid1(VALU_DEP_1)
	v_lshl_add_u64 v[14:15], v[12:13], 2, s[12:13]
	v_mov_b32_e32 v17, v13
	v_lshl_add_u64 v[16:17], v[16:17], 2, s[6:7]
	s_delay_alu instid0(VALU_DEP_1)
	v_dual_cndmask_b32 v15, v17, v15 :: v_dual_cndmask_b32 v14, v16, v14
	global_load_b32 v6, v[14:15], off
.LBB2559_12:
	;; [unrolled: 18-line block ×4, first 2 shown]
	s_wait_xcnt 0x0
	s_or_b32 exec_lo, exec_lo, s2
	v_add_nc_u32_e32 v12, v12, v1
	s_mov_b32 s2, exec_lo
	s_delay_alu instid0(VALU_DEP_1)
	v_cmpx_gt_u32_e64 s11, v12
	s_cbranch_execz .LBB2559_18
; %bb.17:
	v_mov_b32_e32 v13, 0
	s_delay_alu instid0(VALU_DEP_1) | instskip(SKIP_1) | instid1(VALU_DEP_1)
	v_lshl_add_u64 v[14:15], v[12:13], 2, s[12:13]
	v_sub_co_u32 v12, vcc_lo, v12, s9
	v_lshl_add_u64 v[12:13], v[12:13], 2, s[6:7]
	s_delay_alu instid0(VALU_DEP_1)
	v_dual_cndmask_b32 v13, v13, v15 :: v_dual_cndmask_b32 v12, v12, v14
	global_load_b32 v9, v[12:13], off
.LBB2559_18:
	s_wait_xcnt 0x0
	s_or_b32 exec_lo, exec_lo, s2
.LBB2559_19:
	s_load_b64 s[12:13], s[0:1], 0x10
	v_lshlrev_b32_e32 v1, 3, v0
	s_wait_xcnt 0x0
	s_mov_b32 s0, exec_lo
	s_wait_loadcnt 0x0
	ds_store_2addr_stride64_b32 v10, v2, v3 offset1:2
	ds_store_2addr_stride64_b32 v10, v4, v5 offset0:4 offset1:6
	ds_store_2addr_stride64_b32 v10, v6, v7 offset0:8 offset1:10
	;; [unrolled: 1-line block ×3, first 2 shown]
	s_wait_dscnt 0x0
	s_barrier_signal -1
	v_min_u32_e32 v12, s11, v1
	s_barrier_wait -1
	s_delay_alu instid0(VALU_DEP_1) | instskip(SKIP_1) | instid1(VALU_DEP_1)
	v_sub_nc_u32_e64 v11, v12, s15 clamp
	v_min_u32_e32 v13, s9, v12
	v_cmpx_lt_u32_e64 v11, v13
	s_cbranch_execz .LBB2559_23
; %bb.20:
	v_lshlrev_b32_e32 v14, 2, v12
	s_mov_b32 s1, 0
	s_delay_alu instid0(VALU_DEP_1)
	v_lshl_add_u32 v14, s9, 2, v14
.LBB2559_21:                            ; =>This Inner Loop Header: Depth=1
	v_add_nc_u32_e32 v15, v13, v11
	s_delay_alu instid0(VALU_DEP_1) | instskip(NEXT) | instid1(VALU_DEP_1)
	v_lshrrev_b32_e32 v15, 1, v15
	v_not_b32_e32 v16, v15
	v_dual_lshlrev_b32 v17, 2, v15 :: v_dual_add_nc_u32 v18, 1, v15
	s_delay_alu instid0(VALU_DEP_2)
	v_lshl_add_u32 v16, v16, 2, v14
	ds_load_b32 v17, v17
	ds_load_b32 v16, v16
	s_wait_dscnt 0x0
	v_cmp_gt_u32_e32 vcc_lo, v16, v17
	v_cndmask_b32_e32 v13, v13, v15, vcc_lo
	v_cndmask_b32_e32 v11, v18, v11, vcc_lo
	s_delay_alu instid0(VALU_DEP_1) | instskip(SKIP_1) | instid1(SALU_CYCLE_1)
	v_cmp_ge_u32_e32 vcc_lo, v11, v13
	s_or_b32 s1, vcc_lo, s1
	s_and_not1_b32 exec_lo, exec_lo, s1
	s_cbranch_execnz .LBB2559_21
; %bb.22:
	s_or_b32 exec_lo, exec_lo, s1
.LBB2559_23:
	s_delay_alu instid0(SALU_CYCLE_1) | instskip(SKIP_2) | instid1(VALU_DEP_2)
	s_or_b32 exec_lo, exec_lo, s0
	v_sub_nc_u32_e32 v12, v12, v11
	v_cmp_ge_u32_e32 vcc_lo, s9, v11
	v_add_nc_u32_e32 v12, s9, v12
	s_delay_alu instid0(VALU_DEP_1) | instskip(SKIP_1) | instid1(SALU_CYCLE_1)
	v_cmp_ge_u32_e64 s0, s11, v12
	s_or_b32 s0, vcc_lo, s0
	s_and_saveexec_b32 s15, s0
	s_cbranch_execz .LBB2559_29
; %bb.24:
	v_cmp_gt_u32_e32 vcc_lo, s9, v11
                                        ; implicit-def: $vgpr2
	s_and_saveexec_b32 s0, vcc_lo
; %bb.25:
	v_lshlrev_b32_e32 v2, 2, v11
	ds_load_b32 v2, v2
; %bb.26:
	s_or_b32 exec_lo, exec_lo, s0
	v_cmp_le_u32_e64 s0, s11, v12
	s_mov_b32 s2, exec_lo
                                        ; implicit-def: $vgpr3
	v_cmpx_gt_u32_e64 s11, v12
; %bb.27:
	v_lshlrev_b32_e32 v3, 2, v12
	ds_load_b32 v3, v3
; %bb.28:
	s_or_b32 exec_lo, exec_lo, s2
	s_wait_dscnt 0x0
	v_cmp_le_u32_e64 s1, v3, v2
	s_and_b32 s1, vcc_lo, s1
	s_delay_alu instid0(SALU_CYCLE_1) | instskip(SKIP_1) | instid1(VALU_DEP_1)
	s_or_b32 vcc_lo, s0, s1
	v_dual_mov_b32 v4, s9 :: v_dual_cndmask_b32 v5, v12, v11
	v_dual_cndmask_b32 v6, s11, v4 :: v_dual_add_nc_u32 v5, 1, v5
	s_delay_alu instid0(VALU_DEP_1) | instskip(SKIP_1) | instid1(VALU_DEP_2)
	v_add_min_u32_e64 v6, v6, -1, v5
	v_dual_cndmask_b32 v7, v11, v5, vcc_lo :: v_dual_cndmask_b32 v5, v5, v12, vcc_lo
	v_lshlrev_b32_e32 v6, 2, v6
	s_delay_alu instid0(VALU_DEP_2) | instskip(NEXT) | instid1(VALU_DEP_3)
	v_cmp_gt_u32_e64 s0, s9, v7
	v_cmp_le_u32_e64 s2, s11, v5
	ds_load_b32 v6, v6
	s_wait_dscnt 0x0
	v_cndmask_b32_e32 v8, v6, v3, vcc_lo
	v_cndmask_b32_e32 v6, v2, v6, vcc_lo
	v_cndmask_b32_e32 v2, v3, v2, vcc_lo
	s_delay_alu instid0(VALU_DEP_2) | instskip(SKIP_1) | instid1(SALU_CYCLE_1)
	v_cmp_le_u32_e64 s1, v8, v6
	s_and_b32 s0, s0, s1
	s_or_b32 s0, s2, s0
	s_delay_alu instid0(SALU_CYCLE_1) | instskip(SKIP_1) | instid1(VALU_DEP_2)
	v_cndmask_b32_e64 v9, v5, v7, s0
	v_cndmask_b32_e64 v11, s11, v4, s0
	v_dual_cndmask_b32 v3, v8, v6, s0 :: v_dual_add_nc_u32 v9, 1, v9
	s_delay_alu instid0(VALU_DEP_1) | instskip(SKIP_1) | instid1(VALU_DEP_2)
	v_add_min_u32_e64 v11, v11, -1, v9
	v_cndmask_b32_e64 v7, v7, v9, s0
	v_dual_cndmask_b32 v5, v9, v5, s0 :: v_dual_lshlrev_b32 v11, 2, v11
	s_delay_alu instid0(VALU_DEP_2) | instskip(NEXT) | instid1(VALU_DEP_2)
	v_cmp_gt_u32_e64 s1, s9, v7
	v_cmp_le_u32_e64 s3, s11, v5
	ds_load_b32 v11, v11
	s_wait_dscnt 0x0
	v_dual_cndmask_b32 v12, v11, v8, s0 :: v_dual_cndmask_b32 v11, v6, v11, s0
	s_delay_alu instid0(VALU_DEP_1) | instskip(SKIP_1) | instid1(SALU_CYCLE_1)
	v_cmp_le_u32_e64 s2, v12, v11
	s_and_b32 s1, s1, s2
	s_or_b32 s1, s3, s1
	s_delay_alu instid0(SALU_CYCLE_1) | instskip(NEXT) | instid1(VALU_DEP_1)
	v_cndmask_b32_e64 v9, v5, v7, s1
	v_dual_cndmask_b32 v13, s11, v4, s1 :: v_dual_add_nc_u32 v9, 1, v9
	s_delay_alu instid0(VALU_DEP_1) | instskip(NEXT) | instid1(VALU_DEP_1)
	v_add_min_u32_e64 v13, v13, -1, v9
	v_lshlrev_b32_e32 v13, 2, v13
	ds_load_b32 v13, v13
	s_wait_dscnt 0x0
	v_dual_cndmask_b32 v7, v7, v9, s1 :: v_dual_cndmask_b32 v14, v13, v12, s1
	v_cndmask_b32_e64 v5, v9, v5, s1
	v_cndmask_b32_e64 v13, v11, v13, s1
	s_delay_alu instid0(VALU_DEP_3) | instskip(NEXT) | instid1(VALU_DEP_3)
	v_cmp_gt_u32_e64 s2, s9, v7
	v_cmp_le_u32_e64 s4, s11, v5
	s_delay_alu instid0(VALU_DEP_3) | instskip(SKIP_1) | instid1(SALU_CYCLE_1)
	v_cmp_le_u32_e64 s3, v14, v13
	s_and_b32 s2, s2, s3
	s_or_b32 s2, s4, s2
	s_delay_alu instid0(SALU_CYCLE_1) | instskip(NEXT) | instid1(VALU_DEP_1)
	v_cndmask_b32_e64 v9, v5, v7, s2
	v_dual_cndmask_b32 v15, s11, v4, s2 :: v_dual_add_nc_u32 v9, 1, v9
	s_delay_alu instid0(VALU_DEP_1) | instskip(NEXT) | instid1(VALU_DEP_1)
	v_add_min_u32_e64 v15, v15, -1, v9
	v_lshlrev_b32_e32 v15, 2, v15
	ds_load_b32 v15, v15
	v_cndmask_b32_e64 v7, v7, v9, s2
	s_wait_dscnt 0x0
	v_dual_cndmask_b32 v16, v15, v14, s2 :: v_dual_cndmask_b32 v15, v13, v15, s2
	v_cndmask_b32_e64 v5, v9, v5, s2
	s_delay_alu instid0(VALU_DEP_3) | instskip(NEXT) | instid1(VALU_DEP_3)
	v_cmp_gt_u32_e64 s3, s9, v7
	v_cmp_le_u32_e64 s4, v16, v15
	s_delay_alu instid0(VALU_DEP_3) | instskip(SKIP_1) | instid1(SALU_CYCLE_1)
	v_cmp_le_u32_e64 s5, s11, v5
	s_and_b32 s3, s3, s4
	s_or_b32 s3, s5, s3
	s_delay_alu instid0(SALU_CYCLE_1) | instskip(NEXT) | instid1(VALU_DEP_1)
	v_cndmask_b32_e64 v9, v5, v7, s3
	v_dual_cndmask_b32 v17, s11, v4, s3 :: v_dual_add_nc_u32 v9, 1, v9
	s_delay_alu instid0(VALU_DEP_1) | instskip(NEXT) | instid1(VALU_DEP_1)
	v_add_min_u32_e64 v17, v17, -1, v9
	v_lshlrev_b32_e32 v17, 2, v17
	ds_load_b32 v17, v17
	s_wait_dscnt 0x0
	v_dual_cndmask_b32 v7, v7, v9, s3 :: v_dual_cndmask_b32 v18, v17, v16, s3
	v_cndmask_b32_e64 v5, v9, v5, s3
	v_cndmask_b32_e64 v17, v15, v17, s3
	s_delay_alu instid0(VALU_DEP_3) | instskip(NEXT) | instid1(VALU_DEP_3)
	v_cmp_gt_u32_e64 s4, s9, v7
	v_cmp_le_u32_e64 s6, s11, v5
	s_delay_alu instid0(VALU_DEP_3) | instskip(SKIP_1) | instid1(SALU_CYCLE_1)
	v_cmp_le_u32_e64 s5, v18, v17
	s_and_b32 s4, s4, s5
	s_or_b32 s4, s6, s4
	s_delay_alu instid0(SALU_CYCLE_1) | instskip(NEXT) | instid1(VALU_DEP_1)
	v_cndmask_b32_e64 v9, v5, v7, s4
	v_dual_cndmask_b32 v19, s11, v4, s4 :: v_dual_add_nc_u32 v9, 1, v9
	s_delay_alu instid0(VALU_DEP_1) | instskip(NEXT) | instid1(VALU_DEP_1)
	v_add_min_u32_e64 v19, v19, -1, v9
	v_lshlrev_b32_e32 v19, 2, v19
	ds_load_b32 v19, v19
	v_cndmask_b32_e64 v7, v7, v9, s4
	s_wait_dscnt 0x0
	v_dual_cndmask_b32 v20, v19, v18, s4 :: v_dual_cndmask_b32 v19, v17, v19, s4
	v_cndmask_b32_e64 v5, v9, v5, s4
	s_delay_alu instid0(VALU_DEP_3) | instskip(NEXT) | instid1(VALU_DEP_3)
	v_cmp_gt_u32_e64 s5, s9, v7
	v_cmp_le_u32_e64 s6, v20, v19
	s_delay_alu instid0(VALU_DEP_3) | instskip(SKIP_1) | instid1(SALU_CYCLE_1)
	v_cmp_le_u32_e64 s7, s11, v5
	s_and_b32 s5, s5, s6
	s_or_b32 s5, s7, s5
	s_delay_alu instid0(SALU_CYCLE_1) | instskip(SKIP_1) | instid1(VALU_DEP_2)
	v_cndmask_b32_e64 v9, v5, v7, s5
	v_cndmask_b32_e64 v4, s11, v4, s5
	v_dual_cndmask_b32 v8, v20, v19, s5 :: v_dual_add_nc_u32 v9, 1, v9
	s_delay_alu instid0(VALU_DEP_1) | instskip(NEXT) | instid1(VALU_DEP_1)
	v_add_min_u32_e64 v4, v4, -1, v9
	v_dual_lshlrev_b32 v4, 2, v4 :: v_dual_cndmask_b32 v6, v9, v5, s5
	v_cndmask_b32_e64 v5, v14, v13, s2
	ds_load_b32 v4, v4
	s_wait_dscnt 0x0
	v_dual_cndmask_b32 v7, v7, v9, s5 :: v_dual_cndmask_b32 v21, v4, v20, s5
	v_cndmask_b32_e64 v22, v19, v4, s5
	s_delay_alu instid0(VALU_DEP_2)
	v_cmp_gt_u32_e32 vcc_lo, s9, v7
	v_cndmask_b32_e64 v4, v12, v11, s1
	v_cmp_le_u32_e64 s1, s11, v6
	v_cndmask_b32_e64 v6, v16, v15, s3
	v_cmp_le_u32_e64 s0, v21, v22
	v_cndmask_b32_e64 v7, v18, v17, s4
	s_and_b32 s0, vcc_lo, s0
	s_delay_alu instid0(SALU_CYCLE_1)
	s_or_b32 vcc_lo, s1, s0
	v_cndmask_b32_e32 v9, v21, v22, vcc_lo
.LBB2559_29:
	s_or_b32 exec_lo, exec_lo, s15
	v_or_b32_e32 v14, 0x80, v0
	v_or_b32_e32 v12, 0x100, v0
	v_and_b32_e32 v11, 0x7c, v0
	v_lshrrev_b32_e32 v13, 3, v0
	s_delay_alu instid0(VALU_DEP_3) | instskip(NEXT) | instid1(VALU_DEP_3)
	v_dual_lshrrev_b32 v15, 3, v14 :: v_dual_lshrrev_b32 v16, 3, v12
	v_lshl_add_u32 v1, v1, 2, v11
	s_delay_alu instid0(VALU_DEP_3)
	v_and_b32_e32 v11, 12, v13
	v_or_b32_e32 v13, 0x180, v0
	s_barrier_signal -1
	s_barrier_wait -1
	s_barrier_signal -1
	s_barrier_wait -1
	v_and_b32_e32 v15, 28, v15
	ds_store_2addr_b32 v1, v2, v3 offset1:1
	ds_store_2addr_b32 v1, v4, v5 offset0:2 offset1:3
	ds_store_2addr_b32 v1, v6, v7 offset0:4 offset1:5
	;; [unrolled: 1-line block ×3, first 2 shown]
	v_dual_add_nc_u32 v8, v11, v10 :: v_dual_bitop2_b32 v16, 44, v16 bitop3:0x40
	v_lshrrev_b32_e32 v1, 3, v13
	v_or_b32_e32 v6, 0x200, v0
	v_or_b32_e32 v5, 0x280, v0
	;; [unrolled: 1-line block ×3, first 2 shown]
	v_dual_add_nc_u32 v9, v15, v10 :: v_dual_add_nc_u32 v15, v16, v10
	s_delay_alu instid0(VALU_DEP_4) | instskip(SKIP_1) | instid1(VALU_DEP_4)
	v_dual_lshrrev_b32 v3, 3, v6 :: v_dual_bitop2_b32 v2, 60, v1 bitop3:0x40
	v_or_b32_e32 v1, 0x380, v0
	v_dual_lshrrev_b32 v7, 3, v5 :: v_dual_lshrrev_b32 v11, 3, v4
	s_delay_alu instid0(VALU_DEP_3) | instskip(SKIP_1) | instid1(VALU_DEP_3)
	v_add_nc_u32_e32 v16, v2, v10
	s_mov_b32 s11, 0
	v_lshrrev_b32_e32 v2, 3, v1
	v_and_b32_e32 v3, 0x4c, v3
	v_and_b32_e32 v19, 0x6c, v11
	v_mov_b32_e32 v11, 0
	s_lshl_b64 s[0:1], s[10:11], 2
	v_and_b32_e32 v7, 0x5c, v7
	v_and_b32_e32 v20, 0x7c, v2
	s_wait_kmcnt 0x0
	s_add_nc_u64 s[0:1], s[12:13], s[0:1]
	v_add_nc_u32_e32 v17, v3, v10
	v_add_nc_u64_e32 v[2:3], s[0:1], v[10:11]
	v_add_nc_u32_e32 v18, v7, v10
	v_dual_add_nc_u32 v19, v19, v10 :: v_dual_add_nc_u32 v10, v20, v10
	s_and_b32 vcc_lo, exec_lo, s14
	s_wait_dscnt 0x0
	s_cbranch_vccz .LBB2559_31
; %bb.30:
	s_barrier_signal -1
	s_barrier_wait -1
	ds_load_b32 v11, v8
	ds_load_b32 v20, v9 offset:512
	ds_load_b32 v21, v15 offset:1024
	;; [unrolled: 1-line block ×7, first 2 shown]
	s_mov_b32 s11, -1
	s_wait_dscnt 0x7
	global_store_b32 v[2:3], v11, off
	s_wait_dscnt 0x6
	global_store_b32 v[2:3], v20, off offset:512
	s_wait_dscnt 0x5
	global_store_b32 v[2:3], v21, off offset:1024
	;; [unrolled: 2-line block ×6, first 2 shown]
	s_cbranch_execz .LBB2559_32
	s_branch .LBB2559_41
.LBB2559_31:
                                        ; implicit-def: $vgpr7
.LBB2559_32:
	s_barrier_signal -1
	s_barrier_wait -1
	s_wait_storecnt_dscnt 0x0
	s_wait_xcnt 0x4
	ds_load_b32 v21, v9 offset:512
	ds_load_b32 v20, v15 offset:1024
	;; [unrolled: 1-line block ×7, first 2 shown]
	s_sub_co_i32 s0, s8, s10
	s_mov_b32 s1, exec_lo
	s_wait_xcnt 0x0
	v_cmpx_gt_u32_e64 s0, v0
	s_cbranch_execnz .LBB2559_46
; %bb.33:
	s_or_b32 exec_lo, exec_lo, s1
	s_delay_alu instid0(SALU_CYCLE_1)
	s_mov_b32 s1, exec_lo
	v_cmpx_gt_u32_e64 s0, v14
	s_cbranch_execnz .LBB2559_47
.LBB2559_34:
	s_or_b32 exec_lo, exec_lo, s1
	s_delay_alu instid0(SALU_CYCLE_1)
	s_mov_b32 s1, exec_lo
	v_cmpx_gt_u32_e64 s0, v12
	s_cbranch_execnz .LBB2559_48
.LBB2559_35:
	s_or_b32 exec_lo, exec_lo, s1
	s_delay_alu instid0(SALU_CYCLE_1)
	s_mov_b32 s1, exec_lo
	v_cmpx_gt_u32_e64 s0, v13
	s_cbranch_execnz .LBB2559_49
.LBB2559_36:
	s_or_b32 exec_lo, exec_lo, s1
	s_delay_alu instid0(SALU_CYCLE_1)
	s_mov_b32 s1, exec_lo
	v_cmpx_gt_u32_e64 s0, v6
	s_cbranch_execnz .LBB2559_50
.LBB2559_37:
	s_or_b32 exec_lo, exec_lo, s1
	s_delay_alu instid0(SALU_CYCLE_1)
	s_mov_b32 s1, exec_lo
	v_cmpx_gt_u32_e64 s0, v5
	s_cbranch_execnz .LBB2559_51
.LBB2559_38:
	s_or_b32 exec_lo, exec_lo, s1
	s_delay_alu instid0(SALU_CYCLE_1)
	s_mov_b32 s1, exec_lo
	v_cmpx_gt_u32_e64 s0, v4
	s_cbranch_execz .LBB2559_40
.LBB2559_39:
	s_wait_dscnt 0x1
	global_store_b32 v[2:3], v9, off offset:3072
.LBB2559_40:
	s_wait_xcnt 0x0
	s_or_b32 exec_lo, exec_lo, s1
	v_cmp_gt_u32_e64 s11, s0, v1
.LBB2559_41:
	s_wait_xcnt 0x0
	s_delay_alu instid0(VALU_DEP_1)
	s_and_saveexec_b32 s0, s11
	s_cbranch_execz .LBB2559_43
; %bb.42:
	s_wait_dscnt 0x0
	global_store_b32 v[2:3], v7, off offset:3584
.LBB2559_43:
	s_endpgm
.LBB2559_44:
	v_dual_mov_b32 v11, v2 :: v_dual_mov_b32 v5, v2
	v_sub_co_u32 v4, vcc_lo, v0, s9
	v_dual_mov_b32 v17, v2 :: v_dual_mov_b32 v18, v2
	s_delay_alu instid0(VALU_DEP_3) | instskip(NEXT) | instid1(VALU_DEP_3)
	v_add_nc_u64_e32 v[6:7], s[12:13], v[10:11]
	v_lshl_add_u64 v[4:5], v[4:5], 2, s[6:7]
	v_dual_mov_b32 v19, v2 :: v_dual_mov_b32 v20, v2
	v_dual_mov_b32 v21, v2 :: v_dual_mov_b32 v22, v2
	s_delay_alu instid0(VALU_DEP_3) | instskip(NEXT) | instid1(VALU_DEP_4)
	v_dual_mov_b32 v23, v2 :: v_dual_cndmask_b32 v5, v5, v7, vcc_lo
	v_cndmask_b32_e32 v4, v4, v6, vcc_lo
	global_load_b32 v16, v[4:5], off
	s_wait_loadcnt 0x0
	v_mov_b64_e32 v[2:3], v[16:17]
	v_mov_b64_e32 v[4:5], v[18:19]
	;; [unrolled: 1-line block ×4, first 2 shown]
	s_or_b32 exec_lo, exec_lo, s2
	s_delay_alu instid0(SALU_CYCLE_1)
	s_mov_b32 s2, exec_lo
	v_cmpx_gt_u32_e64 s11, v14
	s_cbranch_execz .LBB2559_6
.LBB2559_45:
	v_mov_b32_e32 v15, 0
	s_delay_alu instid0(VALU_DEP_1) | instskip(SKIP_1) | instid1(VALU_DEP_1)
	v_lshl_add_u64 v[16:17], v[14:15], 2, s[12:13]
	v_sub_co_u32 v14, vcc_lo, v14, s9
	v_lshl_add_u64 v[14:15], v[14:15], 2, s[6:7]
	s_delay_alu instid0(VALU_DEP_1) | instskip(SKIP_3) | instid1(SALU_CYCLE_1)
	v_dual_cndmask_b32 v15, v15, v17 :: v_dual_cndmask_b32 v14, v14, v16
	global_load_b32 v3, v[14:15], off
	s_wait_xcnt 0x0
	s_or_b32 exec_lo, exec_lo, s2
	s_mov_b32 s2, exec_lo
	v_cmpx_gt_u32_e64 s11, v12
	s_cbranch_execnz .LBB2559_7
	s_branch .LBB2559_8
.LBB2559_46:
	ds_load_b32 v0, v8
	s_wait_dscnt 0x0
	global_store_b32 v[2:3], v0, off
	s_wait_xcnt 0x0
	s_or_b32 exec_lo, exec_lo, s1
	s_delay_alu instid0(SALU_CYCLE_1)
	s_mov_b32 s1, exec_lo
	v_cmpx_gt_u32_e64 s0, v14
	s_cbranch_execz .LBB2559_34
.LBB2559_47:
	s_wait_dscnt 0x6
	global_store_b32 v[2:3], v21, off offset:512
	s_wait_xcnt 0x0
	s_or_b32 exec_lo, exec_lo, s1
	s_delay_alu instid0(SALU_CYCLE_1)
	s_mov_b32 s1, exec_lo
	v_cmpx_gt_u32_e64 s0, v12
	s_cbranch_execz .LBB2559_35
.LBB2559_48:
	s_wait_dscnt 0x5
	global_store_b32 v[2:3], v20, off offset:1024
	s_wait_xcnt 0x0
	s_or_b32 exec_lo, exec_lo, s1
	s_delay_alu instid0(SALU_CYCLE_1)
	s_mov_b32 s1, exec_lo
	v_cmpx_gt_u32_e64 s0, v13
	s_cbranch_execz .LBB2559_36
.LBB2559_49:
	s_wait_dscnt 0x4
	global_store_b32 v[2:3], v16, off offset:1536
	s_wait_xcnt 0x0
	s_or_b32 exec_lo, exec_lo, s1
	s_delay_alu instid0(SALU_CYCLE_1)
	s_mov_b32 s1, exec_lo
	v_cmpx_gt_u32_e64 s0, v6
	s_cbranch_execz .LBB2559_37
.LBB2559_50:
	s_wait_dscnt 0x3
	global_store_b32 v[2:3], v15, off offset:2048
	s_wait_xcnt 0x0
	s_or_b32 exec_lo, exec_lo, s1
	s_delay_alu instid0(SALU_CYCLE_1)
	s_mov_b32 s1, exec_lo
	v_cmpx_gt_u32_e64 s0, v5
	s_cbranch_execz .LBB2559_38
.LBB2559_51:
	s_wait_dscnt 0x2
	global_store_b32 v[2:3], v11, off offset:2560
	s_wait_xcnt 0x0
	s_or_b32 exec_lo, exec_lo, s1
	s_delay_alu instid0(SALU_CYCLE_1)
	s_mov_b32 s1, exec_lo
	v_cmpx_gt_u32_e64 s0, v4
	s_cbranch_execnz .LBB2559_39
	s_branch .LBB2559_40
	.section	.rodata,"a",@progbits
	.p2align	6, 0x0
	.amdhsa_kernel _ZN7rocprim17ROCPRIM_400000_NS6detail17trampoline_kernelINS0_14default_configENS1_38merge_sort_block_merge_config_selectorIjNS0_10empty_typeEEEZZNS1_27merge_sort_block_merge_implIS3_PjPS5_jNS1_19radix_merge_compareILb1ELb0EjNS0_19identity_decomposerEEEEE10hipError_tT0_T1_T2_jT3_P12ihipStream_tbPNSt15iterator_traitsISE_E10value_typeEPNSK_ISF_E10value_typeEPSG_NS1_7vsmem_tEENKUlT_SE_SF_SG_E_clIS8_S8_S9_S9_EESD_ST_SE_SF_SG_EUlST_E0_NS1_11comp_targetILNS1_3genE0ELNS1_11target_archE4294967295ELNS1_3gpuE0ELNS1_3repE0EEENS1_38merge_mergepath_config_static_selectorELNS0_4arch9wavefront6targetE0EEEvSF_
		.amdhsa_group_segment_fixed_size 4224
		.amdhsa_private_segment_fixed_size 0
		.amdhsa_kernarg_size 320
		.amdhsa_user_sgpr_count 2
		.amdhsa_user_sgpr_dispatch_ptr 0
		.amdhsa_user_sgpr_queue_ptr 0
		.amdhsa_user_sgpr_kernarg_segment_ptr 1
		.amdhsa_user_sgpr_dispatch_id 0
		.amdhsa_user_sgpr_kernarg_preload_length 0
		.amdhsa_user_sgpr_kernarg_preload_offset 0
		.amdhsa_user_sgpr_private_segment_size 0
		.amdhsa_wavefront_size32 1
		.amdhsa_uses_dynamic_stack 0
		.amdhsa_enable_private_segment 0
		.amdhsa_system_sgpr_workgroup_id_x 1
		.amdhsa_system_sgpr_workgroup_id_y 1
		.amdhsa_system_sgpr_workgroup_id_z 1
		.amdhsa_system_sgpr_workgroup_info 0
		.amdhsa_system_vgpr_workitem_id 0
		.amdhsa_next_free_vgpr 32
		.amdhsa_next_free_sgpr 23
		.amdhsa_named_barrier_count 0
		.amdhsa_reserve_vcc 1
		.amdhsa_float_round_mode_32 0
		.amdhsa_float_round_mode_16_64 0
		.amdhsa_float_denorm_mode_32 3
		.amdhsa_float_denorm_mode_16_64 3
		.amdhsa_fp16_overflow 0
		.amdhsa_memory_ordered 1
		.amdhsa_forward_progress 1
		.amdhsa_inst_pref_size 33
		.amdhsa_round_robin_scheduling 0
		.amdhsa_exception_fp_ieee_invalid_op 0
		.amdhsa_exception_fp_denorm_src 0
		.amdhsa_exception_fp_ieee_div_zero 0
		.amdhsa_exception_fp_ieee_overflow 0
		.amdhsa_exception_fp_ieee_underflow 0
		.amdhsa_exception_fp_ieee_inexact 0
		.amdhsa_exception_int_div_zero 0
	.end_amdhsa_kernel
	.section	.text._ZN7rocprim17ROCPRIM_400000_NS6detail17trampoline_kernelINS0_14default_configENS1_38merge_sort_block_merge_config_selectorIjNS0_10empty_typeEEEZZNS1_27merge_sort_block_merge_implIS3_PjPS5_jNS1_19radix_merge_compareILb1ELb0EjNS0_19identity_decomposerEEEEE10hipError_tT0_T1_T2_jT3_P12ihipStream_tbPNSt15iterator_traitsISE_E10value_typeEPNSK_ISF_E10value_typeEPSG_NS1_7vsmem_tEENKUlT_SE_SF_SG_E_clIS8_S8_S9_S9_EESD_ST_SE_SF_SG_EUlST_E0_NS1_11comp_targetILNS1_3genE0ELNS1_11target_archE4294967295ELNS1_3gpuE0ELNS1_3repE0EEENS1_38merge_mergepath_config_static_selectorELNS0_4arch9wavefront6targetE0EEEvSF_,"axG",@progbits,_ZN7rocprim17ROCPRIM_400000_NS6detail17trampoline_kernelINS0_14default_configENS1_38merge_sort_block_merge_config_selectorIjNS0_10empty_typeEEEZZNS1_27merge_sort_block_merge_implIS3_PjPS5_jNS1_19radix_merge_compareILb1ELb0EjNS0_19identity_decomposerEEEEE10hipError_tT0_T1_T2_jT3_P12ihipStream_tbPNSt15iterator_traitsISE_E10value_typeEPNSK_ISF_E10value_typeEPSG_NS1_7vsmem_tEENKUlT_SE_SF_SG_E_clIS8_S8_S9_S9_EESD_ST_SE_SF_SG_EUlST_E0_NS1_11comp_targetILNS1_3genE0ELNS1_11target_archE4294967295ELNS1_3gpuE0ELNS1_3repE0EEENS1_38merge_mergepath_config_static_selectorELNS0_4arch9wavefront6targetE0EEEvSF_,comdat
.Lfunc_end2559:
	.size	_ZN7rocprim17ROCPRIM_400000_NS6detail17trampoline_kernelINS0_14default_configENS1_38merge_sort_block_merge_config_selectorIjNS0_10empty_typeEEEZZNS1_27merge_sort_block_merge_implIS3_PjPS5_jNS1_19radix_merge_compareILb1ELb0EjNS0_19identity_decomposerEEEEE10hipError_tT0_T1_T2_jT3_P12ihipStream_tbPNSt15iterator_traitsISE_E10value_typeEPNSK_ISF_E10value_typeEPSG_NS1_7vsmem_tEENKUlT_SE_SF_SG_E_clIS8_S8_S9_S9_EESD_ST_SE_SF_SG_EUlST_E0_NS1_11comp_targetILNS1_3genE0ELNS1_11target_archE4294967295ELNS1_3gpuE0ELNS1_3repE0EEENS1_38merge_mergepath_config_static_selectorELNS0_4arch9wavefront6targetE0EEEvSF_, .Lfunc_end2559-_ZN7rocprim17ROCPRIM_400000_NS6detail17trampoline_kernelINS0_14default_configENS1_38merge_sort_block_merge_config_selectorIjNS0_10empty_typeEEEZZNS1_27merge_sort_block_merge_implIS3_PjPS5_jNS1_19radix_merge_compareILb1ELb0EjNS0_19identity_decomposerEEEEE10hipError_tT0_T1_T2_jT3_P12ihipStream_tbPNSt15iterator_traitsISE_E10value_typeEPNSK_ISF_E10value_typeEPSG_NS1_7vsmem_tEENKUlT_SE_SF_SG_E_clIS8_S8_S9_S9_EESD_ST_SE_SF_SG_EUlST_E0_NS1_11comp_targetILNS1_3genE0ELNS1_11target_archE4294967295ELNS1_3gpuE0ELNS1_3repE0EEENS1_38merge_mergepath_config_static_selectorELNS0_4arch9wavefront6targetE0EEEvSF_
                                        ; -- End function
	.set _ZN7rocprim17ROCPRIM_400000_NS6detail17trampoline_kernelINS0_14default_configENS1_38merge_sort_block_merge_config_selectorIjNS0_10empty_typeEEEZZNS1_27merge_sort_block_merge_implIS3_PjPS5_jNS1_19radix_merge_compareILb1ELb0EjNS0_19identity_decomposerEEEEE10hipError_tT0_T1_T2_jT3_P12ihipStream_tbPNSt15iterator_traitsISE_E10value_typeEPNSK_ISF_E10value_typeEPSG_NS1_7vsmem_tEENKUlT_SE_SF_SG_E_clIS8_S8_S9_S9_EESD_ST_SE_SF_SG_EUlST_E0_NS1_11comp_targetILNS1_3genE0ELNS1_11target_archE4294967295ELNS1_3gpuE0ELNS1_3repE0EEENS1_38merge_mergepath_config_static_selectorELNS0_4arch9wavefront6targetE0EEEvSF_.num_vgpr, 32
	.set _ZN7rocprim17ROCPRIM_400000_NS6detail17trampoline_kernelINS0_14default_configENS1_38merge_sort_block_merge_config_selectorIjNS0_10empty_typeEEEZZNS1_27merge_sort_block_merge_implIS3_PjPS5_jNS1_19radix_merge_compareILb1ELb0EjNS0_19identity_decomposerEEEEE10hipError_tT0_T1_T2_jT3_P12ihipStream_tbPNSt15iterator_traitsISE_E10value_typeEPNSK_ISF_E10value_typeEPSG_NS1_7vsmem_tEENKUlT_SE_SF_SG_E_clIS8_S8_S9_S9_EESD_ST_SE_SF_SG_EUlST_E0_NS1_11comp_targetILNS1_3genE0ELNS1_11target_archE4294967295ELNS1_3gpuE0ELNS1_3repE0EEENS1_38merge_mergepath_config_static_selectorELNS0_4arch9wavefront6targetE0EEEvSF_.num_agpr, 0
	.set _ZN7rocprim17ROCPRIM_400000_NS6detail17trampoline_kernelINS0_14default_configENS1_38merge_sort_block_merge_config_selectorIjNS0_10empty_typeEEEZZNS1_27merge_sort_block_merge_implIS3_PjPS5_jNS1_19radix_merge_compareILb1ELb0EjNS0_19identity_decomposerEEEEE10hipError_tT0_T1_T2_jT3_P12ihipStream_tbPNSt15iterator_traitsISE_E10value_typeEPNSK_ISF_E10value_typeEPSG_NS1_7vsmem_tEENKUlT_SE_SF_SG_E_clIS8_S8_S9_S9_EESD_ST_SE_SF_SG_EUlST_E0_NS1_11comp_targetILNS1_3genE0ELNS1_11target_archE4294967295ELNS1_3gpuE0ELNS1_3repE0EEENS1_38merge_mergepath_config_static_selectorELNS0_4arch9wavefront6targetE0EEEvSF_.numbered_sgpr, 23
	.set _ZN7rocprim17ROCPRIM_400000_NS6detail17trampoline_kernelINS0_14default_configENS1_38merge_sort_block_merge_config_selectorIjNS0_10empty_typeEEEZZNS1_27merge_sort_block_merge_implIS3_PjPS5_jNS1_19radix_merge_compareILb1ELb0EjNS0_19identity_decomposerEEEEE10hipError_tT0_T1_T2_jT3_P12ihipStream_tbPNSt15iterator_traitsISE_E10value_typeEPNSK_ISF_E10value_typeEPSG_NS1_7vsmem_tEENKUlT_SE_SF_SG_E_clIS8_S8_S9_S9_EESD_ST_SE_SF_SG_EUlST_E0_NS1_11comp_targetILNS1_3genE0ELNS1_11target_archE4294967295ELNS1_3gpuE0ELNS1_3repE0EEENS1_38merge_mergepath_config_static_selectorELNS0_4arch9wavefront6targetE0EEEvSF_.num_named_barrier, 0
	.set _ZN7rocprim17ROCPRIM_400000_NS6detail17trampoline_kernelINS0_14default_configENS1_38merge_sort_block_merge_config_selectorIjNS0_10empty_typeEEEZZNS1_27merge_sort_block_merge_implIS3_PjPS5_jNS1_19radix_merge_compareILb1ELb0EjNS0_19identity_decomposerEEEEE10hipError_tT0_T1_T2_jT3_P12ihipStream_tbPNSt15iterator_traitsISE_E10value_typeEPNSK_ISF_E10value_typeEPSG_NS1_7vsmem_tEENKUlT_SE_SF_SG_E_clIS8_S8_S9_S9_EESD_ST_SE_SF_SG_EUlST_E0_NS1_11comp_targetILNS1_3genE0ELNS1_11target_archE4294967295ELNS1_3gpuE0ELNS1_3repE0EEENS1_38merge_mergepath_config_static_selectorELNS0_4arch9wavefront6targetE0EEEvSF_.private_seg_size, 0
	.set _ZN7rocprim17ROCPRIM_400000_NS6detail17trampoline_kernelINS0_14default_configENS1_38merge_sort_block_merge_config_selectorIjNS0_10empty_typeEEEZZNS1_27merge_sort_block_merge_implIS3_PjPS5_jNS1_19radix_merge_compareILb1ELb0EjNS0_19identity_decomposerEEEEE10hipError_tT0_T1_T2_jT3_P12ihipStream_tbPNSt15iterator_traitsISE_E10value_typeEPNSK_ISF_E10value_typeEPSG_NS1_7vsmem_tEENKUlT_SE_SF_SG_E_clIS8_S8_S9_S9_EESD_ST_SE_SF_SG_EUlST_E0_NS1_11comp_targetILNS1_3genE0ELNS1_11target_archE4294967295ELNS1_3gpuE0ELNS1_3repE0EEENS1_38merge_mergepath_config_static_selectorELNS0_4arch9wavefront6targetE0EEEvSF_.uses_vcc, 1
	.set _ZN7rocprim17ROCPRIM_400000_NS6detail17trampoline_kernelINS0_14default_configENS1_38merge_sort_block_merge_config_selectorIjNS0_10empty_typeEEEZZNS1_27merge_sort_block_merge_implIS3_PjPS5_jNS1_19radix_merge_compareILb1ELb0EjNS0_19identity_decomposerEEEEE10hipError_tT0_T1_T2_jT3_P12ihipStream_tbPNSt15iterator_traitsISE_E10value_typeEPNSK_ISF_E10value_typeEPSG_NS1_7vsmem_tEENKUlT_SE_SF_SG_E_clIS8_S8_S9_S9_EESD_ST_SE_SF_SG_EUlST_E0_NS1_11comp_targetILNS1_3genE0ELNS1_11target_archE4294967295ELNS1_3gpuE0ELNS1_3repE0EEENS1_38merge_mergepath_config_static_selectorELNS0_4arch9wavefront6targetE0EEEvSF_.uses_flat_scratch, 0
	.set _ZN7rocprim17ROCPRIM_400000_NS6detail17trampoline_kernelINS0_14default_configENS1_38merge_sort_block_merge_config_selectorIjNS0_10empty_typeEEEZZNS1_27merge_sort_block_merge_implIS3_PjPS5_jNS1_19radix_merge_compareILb1ELb0EjNS0_19identity_decomposerEEEEE10hipError_tT0_T1_T2_jT3_P12ihipStream_tbPNSt15iterator_traitsISE_E10value_typeEPNSK_ISF_E10value_typeEPSG_NS1_7vsmem_tEENKUlT_SE_SF_SG_E_clIS8_S8_S9_S9_EESD_ST_SE_SF_SG_EUlST_E0_NS1_11comp_targetILNS1_3genE0ELNS1_11target_archE4294967295ELNS1_3gpuE0ELNS1_3repE0EEENS1_38merge_mergepath_config_static_selectorELNS0_4arch9wavefront6targetE0EEEvSF_.has_dyn_sized_stack, 0
	.set _ZN7rocprim17ROCPRIM_400000_NS6detail17trampoline_kernelINS0_14default_configENS1_38merge_sort_block_merge_config_selectorIjNS0_10empty_typeEEEZZNS1_27merge_sort_block_merge_implIS3_PjPS5_jNS1_19radix_merge_compareILb1ELb0EjNS0_19identity_decomposerEEEEE10hipError_tT0_T1_T2_jT3_P12ihipStream_tbPNSt15iterator_traitsISE_E10value_typeEPNSK_ISF_E10value_typeEPSG_NS1_7vsmem_tEENKUlT_SE_SF_SG_E_clIS8_S8_S9_S9_EESD_ST_SE_SF_SG_EUlST_E0_NS1_11comp_targetILNS1_3genE0ELNS1_11target_archE4294967295ELNS1_3gpuE0ELNS1_3repE0EEENS1_38merge_mergepath_config_static_selectorELNS0_4arch9wavefront6targetE0EEEvSF_.has_recursion, 0
	.set _ZN7rocprim17ROCPRIM_400000_NS6detail17trampoline_kernelINS0_14default_configENS1_38merge_sort_block_merge_config_selectorIjNS0_10empty_typeEEEZZNS1_27merge_sort_block_merge_implIS3_PjPS5_jNS1_19radix_merge_compareILb1ELb0EjNS0_19identity_decomposerEEEEE10hipError_tT0_T1_T2_jT3_P12ihipStream_tbPNSt15iterator_traitsISE_E10value_typeEPNSK_ISF_E10value_typeEPSG_NS1_7vsmem_tEENKUlT_SE_SF_SG_E_clIS8_S8_S9_S9_EESD_ST_SE_SF_SG_EUlST_E0_NS1_11comp_targetILNS1_3genE0ELNS1_11target_archE4294967295ELNS1_3gpuE0ELNS1_3repE0EEENS1_38merge_mergepath_config_static_selectorELNS0_4arch9wavefront6targetE0EEEvSF_.has_indirect_call, 0
	.section	.AMDGPU.csdata,"",@progbits
; Kernel info:
; codeLenInByte = 4156
; TotalNumSgprs: 25
; NumVgprs: 32
; ScratchSize: 0
; MemoryBound: 0
; FloatMode: 240
; IeeeMode: 1
; LDSByteSize: 4224 bytes/workgroup (compile time only)
; SGPRBlocks: 0
; VGPRBlocks: 1
; NumSGPRsForWavesPerEU: 25
; NumVGPRsForWavesPerEU: 32
; NamedBarCnt: 0
; Occupancy: 16
; WaveLimiterHint : 1
; COMPUTE_PGM_RSRC2:SCRATCH_EN: 0
; COMPUTE_PGM_RSRC2:USER_SGPR: 2
; COMPUTE_PGM_RSRC2:TRAP_HANDLER: 0
; COMPUTE_PGM_RSRC2:TGID_X_EN: 1
; COMPUTE_PGM_RSRC2:TGID_Y_EN: 1
; COMPUTE_PGM_RSRC2:TGID_Z_EN: 1
; COMPUTE_PGM_RSRC2:TIDIG_COMP_CNT: 0
	.section	.text._ZN7rocprim17ROCPRIM_400000_NS6detail17trampoline_kernelINS0_14default_configENS1_38merge_sort_block_merge_config_selectorIjNS0_10empty_typeEEEZZNS1_27merge_sort_block_merge_implIS3_PjPS5_jNS1_19radix_merge_compareILb1ELb0EjNS0_19identity_decomposerEEEEE10hipError_tT0_T1_T2_jT3_P12ihipStream_tbPNSt15iterator_traitsISE_E10value_typeEPNSK_ISF_E10value_typeEPSG_NS1_7vsmem_tEENKUlT_SE_SF_SG_E_clIS8_S8_S9_S9_EESD_ST_SE_SF_SG_EUlST_E0_NS1_11comp_targetILNS1_3genE10ELNS1_11target_archE1201ELNS1_3gpuE5ELNS1_3repE0EEENS1_38merge_mergepath_config_static_selectorELNS0_4arch9wavefront6targetE0EEEvSF_,"axG",@progbits,_ZN7rocprim17ROCPRIM_400000_NS6detail17trampoline_kernelINS0_14default_configENS1_38merge_sort_block_merge_config_selectorIjNS0_10empty_typeEEEZZNS1_27merge_sort_block_merge_implIS3_PjPS5_jNS1_19radix_merge_compareILb1ELb0EjNS0_19identity_decomposerEEEEE10hipError_tT0_T1_T2_jT3_P12ihipStream_tbPNSt15iterator_traitsISE_E10value_typeEPNSK_ISF_E10value_typeEPSG_NS1_7vsmem_tEENKUlT_SE_SF_SG_E_clIS8_S8_S9_S9_EESD_ST_SE_SF_SG_EUlST_E0_NS1_11comp_targetILNS1_3genE10ELNS1_11target_archE1201ELNS1_3gpuE5ELNS1_3repE0EEENS1_38merge_mergepath_config_static_selectorELNS0_4arch9wavefront6targetE0EEEvSF_,comdat
	.protected	_ZN7rocprim17ROCPRIM_400000_NS6detail17trampoline_kernelINS0_14default_configENS1_38merge_sort_block_merge_config_selectorIjNS0_10empty_typeEEEZZNS1_27merge_sort_block_merge_implIS3_PjPS5_jNS1_19radix_merge_compareILb1ELb0EjNS0_19identity_decomposerEEEEE10hipError_tT0_T1_T2_jT3_P12ihipStream_tbPNSt15iterator_traitsISE_E10value_typeEPNSK_ISF_E10value_typeEPSG_NS1_7vsmem_tEENKUlT_SE_SF_SG_E_clIS8_S8_S9_S9_EESD_ST_SE_SF_SG_EUlST_E0_NS1_11comp_targetILNS1_3genE10ELNS1_11target_archE1201ELNS1_3gpuE5ELNS1_3repE0EEENS1_38merge_mergepath_config_static_selectorELNS0_4arch9wavefront6targetE0EEEvSF_ ; -- Begin function _ZN7rocprim17ROCPRIM_400000_NS6detail17trampoline_kernelINS0_14default_configENS1_38merge_sort_block_merge_config_selectorIjNS0_10empty_typeEEEZZNS1_27merge_sort_block_merge_implIS3_PjPS5_jNS1_19radix_merge_compareILb1ELb0EjNS0_19identity_decomposerEEEEE10hipError_tT0_T1_T2_jT3_P12ihipStream_tbPNSt15iterator_traitsISE_E10value_typeEPNSK_ISF_E10value_typeEPSG_NS1_7vsmem_tEENKUlT_SE_SF_SG_E_clIS8_S8_S9_S9_EESD_ST_SE_SF_SG_EUlST_E0_NS1_11comp_targetILNS1_3genE10ELNS1_11target_archE1201ELNS1_3gpuE5ELNS1_3repE0EEENS1_38merge_mergepath_config_static_selectorELNS0_4arch9wavefront6targetE0EEEvSF_
	.globl	_ZN7rocprim17ROCPRIM_400000_NS6detail17trampoline_kernelINS0_14default_configENS1_38merge_sort_block_merge_config_selectorIjNS0_10empty_typeEEEZZNS1_27merge_sort_block_merge_implIS3_PjPS5_jNS1_19radix_merge_compareILb1ELb0EjNS0_19identity_decomposerEEEEE10hipError_tT0_T1_T2_jT3_P12ihipStream_tbPNSt15iterator_traitsISE_E10value_typeEPNSK_ISF_E10value_typeEPSG_NS1_7vsmem_tEENKUlT_SE_SF_SG_E_clIS8_S8_S9_S9_EESD_ST_SE_SF_SG_EUlST_E0_NS1_11comp_targetILNS1_3genE10ELNS1_11target_archE1201ELNS1_3gpuE5ELNS1_3repE0EEENS1_38merge_mergepath_config_static_selectorELNS0_4arch9wavefront6targetE0EEEvSF_
	.p2align	8
	.type	_ZN7rocprim17ROCPRIM_400000_NS6detail17trampoline_kernelINS0_14default_configENS1_38merge_sort_block_merge_config_selectorIjNS0_10empty_typeEEEZZNS1_27merge_sort_block_merge_implIS3_PjPS5_jNS1_19radix_merge_compareILb1ELb0EjNS0_19identity_decomposerEEEEE10hipError_tT0_T1_T2_jT3_P12ihipStream_tbPNSt15iterator_traitsISE_E10value_typeEPNSK_ISF_E10value_typeEPSG_NS1_7vsmem_tEENKUlT_SE_SF_SG_E_clIS8_S8_S9_S9_EESD_ST_SE_SF_SG_EUlST_E0_NS1_11comp_targetILNS1_3genE10ELNS1_11target_archE1201ELNS1_3gpuE5ELNS1_3repE0EEENS1_38merge_mergepath_config_static_selectorELNS0_4arch9wavefront6targetE0EEEvSF_,@function
_ZN7rocprim17ROCPRIM_400000_NS6detail17trampoline_kernelINS0_14default_configENS1_38merge_sort_block_merge_config_selectorIjNS0_10empty_typeEEEZZNS1_27merge_sort_block_merge_implIS3_PjPS5_jNS1_19radix_merge_compareILb1ELb0EjNS0_19identity_decomposerEEEEE10hipError_tT0_T1_T2_jT3_P12ihipStream_tbPNSt15iterator_traitsISE_E10value_typeEPNSK_ISF_E10value_typeEPSG_NS1_7vsmem_tEENKUlT_SE_SF_SG_E_clIS8_S8_S9_S9_EESD_ST_SE_SF_SG_EUlST_E0_NS1_11comp_targetILNS1_3genE10ELNS1_11target_archE1201ELNS1_3gpuE5ELNS1_3repE0EEENS1_38merge_mergepath_config_static_selectorELNS0_4arch9wavefront6targetE0EEEvSF_: ; @_ZN7rocprim17ROCPRIM_400000_NS6detail17trampoline_kernelINS0_14default_configENS1_38merge_sort_block_merge_config_selectorIjNS0_10empty_typeEEEZZNS1_27merge_sort_block_merge_implIS3_PjPS5_jNS1_19radix_merge_compareILb1ELb0EjNS0_19identity_decomposerEEEEE10hipError_tT0_T1_T2_jT3_P12ihipStream_tbPNSt15iterator_traitsISE_E10value_typeEPNSK_ISF_E10value_typeEPSG_NS1_7vsmem_tEENKUlT_SE_SF_SG_E_clIS8_S8_S9_S9_EESD_ST_SE_SF_SG_EUlST_E0_NS1_11comp_targetILNS1_3genE10ELNS1_11target_archE1201ELNS1_3gpuE5ELNS1_3repE0EEENS1_38merge_mergepath_config_static_selectorELNS0_4arch9wavefront6targetE0EEEvSF_
; %bb.0:
	.section	.rodata,"a",@progbits
	.p2align	6, 0x0
	.amdhsa_kernel _ZN7rocprim17ROCPRIM_400000_NS6detail17trampoline_kernelINS0_14default_configENS1_38merge_sort_block_merge_config_selectorIjNS0_10empty_typeEEEZZNS1_27merge_sort_block_merge_implIS3_PjPS5_jNS1_19radix_merge_compareILb1ELb0EjNS0_19identity_decomposerEEEEE10hipError_tT0_T1_T2_jT3_P12ihipStream_tbPNSt15iterator_traitsISE_E10value_typeEPNSK_ISF_E10value_typeEPSG_NS1_7vsmem_tEENKUlT_SE_SF_SG_E_clIS8_S8_S9_S9_EESD_ST_SE_SF_SG_EUlST_E0_NS1_11comp_targetILNS1_3genE10ELNS1_11target_archE1201ELNS1_3gpuE5ELNS1_3repE0EEENS1_38merge_mergepath_config_static_selectorELNS0_4arch9wavefront6targetE0EEEvSF_
		.amdhsa_group_segment_fixed_size 0
		.amdhsa_private_segment_fixed_size 0
		.amdhsa_kernarg_size 64
		.amdhsa_user_sgpr_count 2
		.amdhsa_user_sgpr_dispatch_ptr 0
		.amdhsa_user_sgpr_queue_ptr 0
		.amdhsa_user_sgpr_kernarg_segment_ptr 1
		.amdhsa_user_sgpr_dispatch_id 0
		.amdhsa_user_sgpr_kernarg_preload_length 0
		.amdhsa_user_sgpr_kernarg_preload_offset 0
		.amdhsa_user_sgpr_private_segment_size 0
		.amdhsa_wavefront_size32 1
		.amdhsa_uses_dynamic_stack 0
		.amdhsa_enable_private_segment 0
		.amdhsa_system_sgpr_workgroup_id_x 1
		.amdhsa_system_sgpr_workgroup_id_y 0
		.amdhsa_system_sgpr_workgroup_id_z 0
		.amdhsa_system_sgpr_workgroup_info 0
		.amdhsa_system_vgpr_workitem_id 0
		.amdhsa_next_free_vgpr 1
		.amdhsa_next_free_sgpr 1
		.amdhsa_named_barrier_count 0
		.amdhsa_reserve_vcc 0
		.amdhsa_float_round_mode_32 0
		.amdhsa_float_round_mode_16_64 0
		.amdhsa_float_denorm_mode_32 3
		.amdhsa_float_denorm_mode_16_64 3
		.amdhsa_fp16_overflow 0
		.amdhsa_memory_ordered 1
		.amdhsa_forward_progress 1
		.amdhsa_inst_pref_size 0
		.amdhsa_round_robin_scheduling 0
		.amdhsa_exception_fp_ieee_invalid_op 0
		.amdhsa_exception_fp_denorm_src 0
		.amdhsa_exception_fp_ieee_div_zero 0
		.amdhsa_exception_fp_ieee_overflow 0
		.amdhsa_exception_fp_ieee_underflow 0
		.amdhsa_exception_fp_ieee_inexact 0
		.amdhsa_exception_int_div_zero 0
	.end_amdhsa_kernel
	.section	.text._ZN7rocprim17ROCPRIM_400000_NS6detail17trampoline_kernelINS0_14default_configENS1_38merge_sort_block_merge_config_selectorIjNS0_10empty_typeEEEZZNS1_27merge_sort_block_merge_implIS3_PjPS5_jNS1_19radix_merge_compareILb1ELb0EjNS0_19identity_decomposerEEEEE10hipError_tT0_T1_T2_jT3_P12ihipStream_tbPNSt15iterator_traitsISE_E10value_typeEPNSK_ISF_E10value_typeEPSG_NS1_7vsmem_tEENKUlT_SE_SF_SG_E_clIS8_S8_S9_S9_EESD_ST_SE_SF_SG_EUlST_E0_NS1_11comp_targetILNS1_3genE10ELNS1_11target_archE1201ELNS1_3gpuE5ELNS1_3repE0EEENS1_38merge_mergepath_config_static_selectorELNS0_4arch9wavefront6targetE0EEEvSF_,"axG",@progbits,_ZN7rocprim17ROCPRIM_400000_NS6detail17trampoline_kernelINS0_14default_configENS1_38merge_sort_block_merge_config_selectorIjNS0_10empty_typeEEEZZNS1_27merge_sort_block_merge_implIS3_PjPS5_jNS1_19radix_merge_compareILb1ELb0EjNS0_19identity_decomposerEEEEE10hipError_tT0_T1_T2_jT3_P12ihipStream_tbPNSt15iterator_traitsISE_E10value_typeEPNSK_ISF_E10value_typeEPSG_NS1_7vsmem_tEENKUlT_SE_SF_SG_E_clIS8_S8_S9_S9_EESD_ST_SE_SF_SG_EUlST_E0_NS1_11comp_targetILNS1_3genE10ELNS1_11target_archE1201ELNS1_3gpuE5ELNS1_3repE0EEENS1_38merge_mergepath_config_static_selectorELNS0_4arch9wavefront6targetE0EEEvSF_,comdat
.Lfunc_end2560:
	.size	_ZN7rocprim17ROCPRIM_400000_NS6detail17trampoline_kernelINS0_14default_configENS1_38merge_sort_block_merge_config_selectorIjNS0_10empty_typeEEEZZNS1_27merge_sort_block_merge_implIS3_PjPS5_jNS1_19radix_merge_compareILb1ELb0EjNS0_19identity_decomposerEEEEE10hipError_tT0_T1_T2_jT3_P12ihipStream_tbPNSt15iterator_traitsISE_E10value_typeEPNSK_ISF_E10value_typeEPSG_NS1_7vsmem_tEENKUlT_SE_SF_SG_E_clIS8_S8_S9_S9_EESD_ST_SE_SF_SG_EUlST_E0_NS1_11comp_targetILNS1_3genE10ELNS1_11target_archE1201ELNS1_3gpuE5ELNS1_3repE0EEENS1_38merge_mergepath_config_static_selectorELNS0_4arch9wavefront6targetE0EEEvSF_, .Lfunc_end2560-_ZN7rocprim17ROCPRIM_400000_NS6detail17trampoline_kernelINS0_14default_configENS1_38merge_sort_block_merge_config_selectorIjNS0_10empty_typeEEEZZNS1_27merge_sort_block_merge_implIS3_PjPS5_jNS1_19radix_merge_compareILb1ELb0EjNS0_19identity_decomposerEEEEE10hipError_tT0_T1_T2_jT3_P12ihipStream_tbPNSt15iterator_traitsISE_E10value_typeEPNSK_ISF_E10value_typeEPSG_NS1_7vsmem_tEENKUlT_SE_SF_SG_E_clIS8_S8_S9_S9_EESD_ST_SE_SF_SG_EUlST_E0_NS1_11comp_targetILNS1_3genE10ELNS1_11target_archE1201ELNS1_3gpuE5ELNS1_3repE0EEENS1_38merge_mergepath_config_static_selectorELNS0_4arch9wavefront6targetE0EEEvSF_
                                        ; -- End function
	.set _ZN7rocprim17ROCPRIM_400000_NS6detail17trampoline_kernelINS0_14default_configENS1_38merge_sort_block_merge_config_selectorIjNS0_10empty_typeEEEZZNS1_27merge_sort_block_merge_implIS3_PjPS5_jNS1_19radix_merge_compareILb1ELb0EjNS0_19identity_decomposerEEEEE10hipError_tT0_T1_T2_jT3_P12ihipStream_tbPNSt15iterator_traitsISE_E10value_typeEPNSK_ISF_E10value_typeEPSG_NS1_7vsmem_tEENKUlT_SE_SF_SG_E_clIS8_S8_S9_S9_EESD_ST_SE_SF_SG_EUlST_E0_NS1_11comp_targetILNS1_3genE10ELNS1_11target_archE1201ELNS1_3gpuE5ELNS1_3repE0EEENS1_38merge_mergepath_config_static_selectorELNS0_4arch9wavefront6targetE0EEEvSF_.num_vgpr, 0
	.set _ZN7rocprim17ROCPRIM_400000_NS6detail17trampoline_kernelINS0_14default_configENS1_38merge_sort_block_merge_config_selectorIjNS0_10empty_typeEEEZZNS1_27merge_sort_block_merge_implIS3_PjPS5_jNS1_19radix_merge_compareILb1ELb0EjNS0_19identity_decomposerEEEEE10hipError_tT0_T1_T2_jT3_P12ihipStream_tbPNSt15iterator_traitsISE_E10value_typeEPNSK_ISF_E10value_typeEPSG_NS1_7vsmem_tEENKUlT_SE_SF_SG_E_clIS8_S8_S9_S9_EESD_ST_SE_SF_SG_EUlST_E0_NS1_11comp_targetILNS1_3genE10ELNS1_11target_archE1201ELNS1_3gpuE5ELNS1_3repE0EEENS1_38merge_mergepath_config_static_selectorELNS0_4arch9wavefront6targetE0EEEvSF_.num_agpr, 0
	.set _ZN7rocprim17ROCPRIM_400000_NS6detail17trampoline_kernelINS0_14default_configENS1_38merge_sort_block_merge_config_selectorIjNS0_10empty_typeEEEZZNS1_27merge_sort_block_merge_implIS3_PjPS5_jNS1_19radix_merge_compareILb1ELb0EjNS0_19identity_decomposerEEEEE10hipError_tT0_T1_T2_jT3_P12ihipStream_tbPNSt15iterator_traitsISE_E10value_typeEPNSK_ISF_E10value_typeEPSG_NS1_7vsmem_tEENKUlT_SE_SF_SG_E_clIS8_S8_S9_S9_EESD_ST_SE_SF_SG_EUlST_E0_NS1_11comp_targetILNS1_3genE10ELNS1_11target_archE1201ELNS1_3gpuE5ELNS1_3repE0EEENS1_38merge_mergepath_config_static_selectorELNS0_4arch9wavefront6targetE0EEEvSF_.numbered_sgpr, 0
	.set _ZN7rocprim17ROCPRIM_400000_NS6detail17trampoline_kernelINS0_14default_configENS1_38merge_sort_block_merge_config_selectorIjNS0_10empty_typeEEEZZNS1_27merge_sort_block_merge_implIS3_PjPS5_jNS1_19radix_merge_compareILb1ELb0EjNS0_19identity_decomposerEEEEE10hipError_tT0_T1_T2_jT3_P12ihipStream_tbPNSt15iterator_traitsISE_E10value_typeEPNSK_ISF_E10value_typeEPSG_NS1_7vsmem_tEENKUlT_SE_SF_SG_E_clIS8_S8_S9_S9_EESD_ST_SE_SF_SG_EUlST_E0_NS1_11comp_targetILNS1_3genE10ELNS1_11target_archE1201ELNS1_3gpuE5ELNS1_3repE0EEENS1_38merge_mergepath_config_static_selectorELNS0_4arch9wavefront6targetE0EEEvSF_.num_named_barrier, 0
	.set _ZN7rocprim17ROCPRIM_400000_NS6detail17trampoline_kernelINS0_14default_configENS1_38merge_sort_block_merge_config_selectorIjNS0_10empty_typeEEEZZNS1_27merge_sort_block_merge_implIS3_PjPS5_jNS1_19radix_merge_compareILb1ELb0EjNS0_19identity_decomposerEEEEE10hipError_tT0_T1_T2_jT3_P12ihipStream_tbPNSt15iterator_traitsISE_E10value_typeEPNSK_ISF_E10value_typeEPSG_NS1_7vsmem_tEENKUlT_SE_SF_SG_E_clIS8_S8_S9_S9_EESD_ST_SE_SF_SG_EUlST_E0_NS1_11comp_targetILNS1_3genE10ELNS1_11target_archE1201ELNS1_3gpuE5ELNS1_3repE0EEENS1_38merge_mergepath_config_static_selectorELNS0_4arch9wavefront6targetE0EEEvSF_.private_seg_size, 0
	.set _ZN7rocprim17ROCPRIM_400000_NS6detail17trampoline_kernelINS0_14default_configENS1_38merge_sort_block_merge_config_selectorIjNS0_10empty_typeEEEZZNS1_27merge_sort_block_merge_implIS3_PjPS5_jNS1_19radix_merge_compareILb1ELb0EjNS0_19identity_decomposerEEEEE10hipError_tT0_T1_T2_jT3_P12ihipStream_tbPNSt15iterator_traitsISE_E10value_typeEPNSK_ISF_E10value_typeEPSG_NS1_7vsmem_tEENKUlT_SE_SF_SG_E_clIS8_S8_S9_S9_EESD_ST_SE_SF_SG_EUlST_E0_NS1_11comp_targetILNS1_3genE10ELNS1_11target_archE1201ELNS1_3gpuE5ELNS1_3repE0EEENS1_38merge_mergepath_config_static_selectorELNS0_4arch9wavefront6targetE0EEEvSF_.uses_vcc, 0
	.set _ZN7rocprim17ROCPRIM_400000_NS6detail17trampoline_kernelINS0_14default_configENS1_38merge_sort_block_merge_config_selectorIjNS0_10empty_typeEEEZZNS1_27merge_sort_block_merge_implIS3_PjPS5_jNS1_19radix_merge_compareILb1ELb0EjNS0_19identity_decomposerEEEEE10hipError_tT0_T1_T2_jT3_P12ihipStream_tbPNSt15iterator_traitsISE_E10value_typeEPNSK_ISF_E10value_typeEPSG_NS1_7vsmem_tEENKUlT_SE_SF_SG_E_clIS8_S8_S9_S9_EESD_ST_SE_SF_SG_EUlST_E0_NS1_11comp_targetILNS1_3genE10ELNS1_11target_archE1201ELNS1_3gpuE5ELNS1_3repE0EEENS1_38merge_mergepath_config_static_selectorELNS0_4arch9wavefront6targetE0EEEvSF_.uses_flat_scratch, 0
	.set _ZN7rocprim17ROCPRIM_400000_NS6detail17trampoline_kernelINS0_14default_configENS1_38merge_sort_block_merge_config_selectorIjNS0_10empty_typeEEEZZNS1_27merge_sort_block_merge_implIS3_PjPS5_jNS1_19radix_merge_compareILb1ELb0EjNS0_19identity_decomposerEEEEE10hipError_tT0_T1_T2_jT3_P12ihipStream_tbPNSt15iterator_traitsISE_E10value_typeEPNSK_ISF_E10value_typeEPSG_NS1_7vsmem_tEENKUlT_SE_SF_SG_E_clIS8_S8_S9_S9_EESD_ST_SE_SF_SG_EUlST_E0_NS1_11comp_targetILNS1_3genE10ELNS1_11target_archE1201ELNS1_3gpuE5ELNS1_3repE0EEENS1_38merge_mergepath_config_static_selectorELNS0_4arch9wavefront6targetE0EEEvSF_.has_dyn_sized_stack, 0
	.set _ZN7rocprim17ROCPRIM_400000_NS6detail17trampoline_kernelINS0_14default_configENS1_38merge_sort_block_merge_config_selectorIjNS0_10empty_typeEEEZZNS1_27merge_sort_block_merge_implIS3_PjPS5_jNS1_19radix_merge_compareILb1ELb0EjNS0_19identity_decomposerEEEEE10hipError_tT0_T1_T2_jT3_P12ihipStream_tbPNSt15iterator_traitsISE_E10value_typeEPNSK_ISF_E10value_typeEPSG_NS1_7vsmem_tEENKUlT_SE_SF_SG_E_clIS8_S8_S9_S9_EESD_ST_SE_SF_SG_EUlST_E0_NS1_11comp_targetILNS1_3genE10ELNS1_11target_archE1201ELNS1_3gpuE5ELNS1_3repE0EEENS1_38merge_mergepath_config_static_selectorELNS0_4arch9wavefront6targetE0EEEvSF_.has_recursion, 0
	.set _ZN7rocprim17ROCPRIM_400000_NS6detail17trampoline_kernelINS0_14default_configENS1_38merge_sort_block_merge_config_selectorIjNS0_10empty_typeEEEZZNS1_27merge_sort_block_merge_implIS3_PjPS5_jNS1_19radix_merge_compareILb1ELb0EjNS0_19identity_decomposerEEEEE10hipError_tT0_T1_T2_jT3_P12ihipStream_tbPNSt15iterator_traitsISE_E10value_typeEPNSK_ISF_E10value_typeEPSG_NS1_7vsmem_tEENKUlT_SE_SF_SG_E_clIS8_S8_S9_S9_EESD_ST_SE_SF_SG_EUlST_E0_NS1_11comp_targetILNS1_3genE10ELNS1_11target_archE1201ELNS1_3gpuE5ELNS1_3repE0EEENS1_38merge_mergepath_config_static_selectorELNS0_4arch9wavefront6targetE0EEEvSF_.has_indirect_call, 0
	.section	.AMDGPU.csdata,"",@progbits
; Kernel info:
; codeLenInByte = 0
; TotalNumSgprs: 0
; NumVgprs: 0
; ScratchSize: 0
; MemoryBound: 0
; FloatMode: 240
; IeeeMode: 1
; LDSByteSize: 0 bytes/workgroup (compile time only)
; SGPRBlocks: 0
; VGPRBlocks: 0
; NumSGPRsForWavesPerEU: 1
; NumVGPRsForWavesPerEU: 1
; NamedBarCnt: 0
; Occupancy: 16
; WaveLimiterHint : 0
; COMPUTE_PGM_RSRC2:SCRATCH_EN: 0
; COMPUTE_PGM_RSRC2:USER_SGPR: 2
; COMPUTE_PGM_RSRC2:TRAP_HANDLER: 0
; COMPUTE_PGM_RSRC2:TGID_X_EN: 1
; COMPUTE_PGM_RSRC2:TGID_Y_EN: 0
; COMPUTE_PGM_RSRC2:TGID_Z_EN: 0
; COMPUTE_PGM_RSRC2:TIDIG_COMP_CNT: 0
	.section	.text._ZN7rocprim17ROCPRIM_400000_NS6detail17trampoline_kernelINS0_14default_configENS1_38merge_sort_block_merge_config_selectorIjNS0_10empty_typeEEEZZNS1_27merge_sort_block_merge_implIS3_PjPS5_jNS1_19radix_merge_compareILb1ELb0EjNS0_19identity_decomposerEEEEE10hipError_tT0_T1_T2_jT3_P12ihipStream_tbPNSt15iterator_traitsISE_E10value_typeEPNSK_ISF_E10value_typeEPSG_NS1_7vsmem_tEENKUlT_SE_SF_SG_E_clIS8_S8_S9_S9_EESD_ST_SE_SF_SG_EUlST_E0_NS1_11comp_targetILNS1_3genE5ELNS1_11target_archE942ELNS1_3gpuE9ELNS1_3repE0EEENS1_38merge_mergepath_config_static_selectorELNS0_4arch9wavefront6targetE0EEEvSF_,"axG",@progbits,_ZN7rocprim17ROCPRIM_400000_NS6detail17trampoline_kernelINS0_14default_configENS1_38merge_sort_block_merge_config_selectorIjNS0_10empty_typeEEEZZNS1_27merge_sort_block_merge_implIS3_PjPS5_jNS1_19radix_merge_compareILb1ELb0EjNS0_19identity_decomposerEEEEE10hipError_tT0_T1_T2_jT3_P12ihipStream_tbPNSt15iterator_traitsISE_E10value_typeEPNSK_ISF_E10value_typeEPSG_NS1_7vsmem_tEENKUlT_SE_SF_SG_E_clIS8_S8_S9_S9_EESD_ST_SE_SF_SG_EUlST_E0_NS1_11comp_targetILNS1_3genE5ELNS1_11target_archE942ELNS1_3gpuE9ELNS1_3repE0EEENS1_38merge_mergepath_config_static_selectorELNS0_4arch9wavefront6targetE0EEEvSF_,comdat
	.protected	_ZN7rocprim17ROCPRIM_400000_NS6detail17trampoline_kernelINS0_14default_configENS1_38merge_sort_block_merge_config_selectorIjNS0_10empty_typeEEEZZNS1_27merge_sort_block_merge_implIS3_PjPS5_jNS1_19radix_merge_compareILb1ELb0EjNS0_19identity_decomposerEEEEE10hipError_tT0_T1_T2_jT3_P12ihipStream_tbPNSt15iterator_traitsISE_E10value_typeEPNSK_ISF_E10value_typeEPSG_NS1_7vsmem_tEENKUlT_SE_SF_SG_E_clIS8_S8_S9_S9_EESD_ST_SE_SF_SG_EUlST_E0_NS1_11comp_targetILNS1_3genE5ELNS1_11target_archE942ELNS1_3gpuE9ELNS1_3repE0EEENS1_38merge_mergepath_config_static_selectorELNS0_4arch9wavefront6targetE0EEEvSF_ ; -- Begin function _ZN7rocprim17ROCPRIM_400000_NS6detail17trampoline_kernelINS0_14default_configENS1_38merge_sort_block_merge_config_selectorIjNS0_10empty_typeEEEZZNS1_27merge_sort_block_merge_implIS3_PjPS5_jNS1_19radix_merge_compareILb1ELb0EjNS0_19identity_decomposerEEEEE10hipError_tT0_T1_T2_jT3_P12ihipStream_tbPNSt15iterator_traitsISE_E10value_typeEPNSK_ISF_E10value_typeEPSG_NS1_7vsmem_tEENKUlT_SE_SF_SG_E_clIS8_S8_S9_S9_EESD_ST_SE_SF_SG_EUlST_E0_NS1_11comp_targetILNS1_3genE5ELNS1_11target_archE942ELNS1_3gpuE9ELNS1_3repE0EEENS1_38merge_mergepath_config_static_selectorELNS0_4arch9wavefront6targetE0EEEvSF_
	.globl	_ZN7rocprim17ROCPRIM_400000_NS6detail17trampoline_kernelINS0_14default_configENS1_38merge_sort_block_merge_config_selectorIjNS0_10empty_typeEEEZZNS1_27merge_sort_block_merge_implIS3_PjPS5_jNS1_19radix_merge_compareILb1ELb0EjNS0_19identity_decomposerEEEEE10hipError_tT0_T1_T2_jT3_P12ihipStream_tbPNSt15iterator_traitsISE_E10value_typeEPNSK_ISF_E10value_typeEPSG_NS1_7vsmem_tEENKUlT_SE_SF_SG_E_clIS8_S8_S9_S9_EESD_ST_SE_SF_SG_EUlST_E0_NS1_11comp_targetILNS1_3genE5ELNS1_11target_archE942ELNS1_3gpuE9ELNS1_3repE0EEENS1_38merge_mergepath_config_static_selectorELNS0_4arch9wavefront6targetE0EEEvSF_
	.p2align	8
	.type	_ZN7rocprim17ROCPRIM_400000_NS6detail17trampoline_kernelINS0_14default_configENS1_38merge_sort_block_merge_config_selectorIjNS0_10empty_typeEEEZZNS1_27merge_sort_block_merge_implIS3_PjPS5_jNS1_19radix_merge_compareILb1ELb0EjNS0_19identity_decomposerEEEEE10hipError_tT0_T1_T2_jT3_P12ihipStream_tbPNSt15iterator_traitsISE_E10value_typeEPNSK_ISF_E10value_typeEPSG_NS1_7vsmem_tEENKUlT_SE_SF_SG_E_clIS8_S8_S9_S9_EESD_ST_SE_SF_SG_EUlST_E0_NS1_11comp_targetILNS1_3genE5ELNS1_11target_archE942ELNS1_3gpuE9ELNS1_3repE0EEENS1_38merge_mergepath_config_static_selectorELNS0_4arch9wavefront6targetE0EEEvSF_,@function
_ZN7rocprim17ROCPRIM_400000_NS6detail17trampoline_kernelINS0_14default_configENS1_38merge_sort_block_merge_config_selectorIjNS0_10empty_typeEEEZZNS1_27merge_sort_block_merge_implIS3_PjPS5_jNS1_19radix_merge_compareILb1ELb0EjNS0_19identity_decomposerEEEEE10hipError_tT0_T1_T2_jT3_P12ihipStream_tbPNSt15iterator_traitsISE_E10value_typeEPNSK_ISF_E10value_typeEPSG_NS1_7vsmem_tEENKUlT_SE_SF_SG_E_clIS8_S8_S9_S9_EESD_ST_SE_SF_SG_EUlST_E0_NS1_11comp_targetILNS1_3genE5ELNS1_11target_archE942ELNS1_3gpuE9ELNS1_3repE0EEENS1_38merge_mergepath_config_static_selectorELNS0_4arch9wavefront6targetE0EEEvSF_: ; @_ZN7rocprim17ROCPRIM_400000_NS6detail17trampoline_kernelINS0_14default_configENS1_38merge_sort_block_merge_config_selectorIjNS0_10empty_typeEEEZZNS1_27merge_sort_block_merge_implIS3_PjPS5_jNS1_19radix_merge_compareILb1ELb0EjNS0_19identity_decomposerEEEEE10hipError_tT0_T1_T2_jT3_P12ihipStream_tbPNSt15iterator_traitsISE_E10value_typeEPNSK_ISF_E10value_typeEPSG_NS1_7vsmem_tEENKUlT_SE_SF_SG_E_clIS8_S8_S9_S9_EESD_ST_SE_SF_SG_EUlST_E0_NS1_11comp_targetILNS1_3genE5ELNS1_11target_archE942ELNS1_3gpuE9ELNS1_3repE0EEENS1_38merge_mergepath_config_static_selectorELNS0_4arch9wavefront6targetE0EEEvSF_
; %bb.0:
	.section	.rodata,"a",@progbits
	.p2align	6, 0x0
	.amdhsa_kernel _ZN7rocprim17ROCPRIM_400000_NS6detail17trampoline_kernelINS0_14default_configENS1_38merge_sort_block_merge_config_selectorIjNS0_10empty_typeEEEZZNS1_27merge_sort_block_merge_implIS3_PjPS5_jNS1_19radix_merge_compareILb1ELb0EjNS0_19identity_decomposerEEEEE10hipError_tT0_T1_T2_jT3_P12ihipStream_tbPNSt15iterator_traitsISE_E10value_typeEPNSK_ISF_E10value_typeEPSG_NS1_7vsmem_tEENKUlT_SE_SF_SG_E_clIS8_S8_S9_S9_EESD_ST_SE_SF_SG_EUlST_E0_NS1_11comp_targetILNS1_3genE5ELNS1_11target_archE942ELNS1_3gpuE9ELNS1_3repE0EEENS1_38merge_mergepath_config_static_selectorELNS0_4arch9wavefront6targetE0EEEvSF_
		.amdhsa_group_segment_fixed_size 0
		.amdhsa_private_segment_fixed_size 0
		.amdhsa_kernarg_size 64
		.amdhsa_user_sgpr_count 2
		.amdhsa_user_sgpr_dispatch_ptr 0
		.amdhsa_user_sgpr_queue_ptr 0
		.amdhsa_user_sgpr_kernarg_segment_ptr 1
		.amdhsa_user_sgpr_dispatch_id 0
		.amdhsa_user_sgpr_kernarg_preload_length 0
		.amdhsa_user_sgpr_kernarg_preload_offset 0
		.amdhsa_user_sgpr_private_segment_size 0
		.amdhsa_wavefront_size32 1
		.amdhsa_uses_dynamic_stack 0
		.amdhsa_enable_private_segment 0
		.amdhsa_system_sgpr_workgroup_id_x 1
		.amdhsa_system_sgpr_workgroup_id_y 0
		.amdhsa_system_sgpr_workgroup_id_z 0
		.amdhsa_system_sgpr_workgroup_info 0
		.amdhsa_system_vgpr_workitem_id 0
		.amdhsa_next_free_vgpr 1
		.amdhsa_next_free_sgpr 1
		.amdhsa_named_barrier_count 0
		.amdhsa_reserve_vcc 0
		.amdhsa_float_round_mode_32 0
		.amdhsa_float_round_mode_16_64 0
		.amdhsa_float_denorm_mode_32 3
		.amdhsa_float_denorm_mode_16_64 3
		.amdhsa_fp16_overflow 0
		.amdhsa_memory_ordered 1
		.amdhsa_forward_progress 1
		.amdhsa_inst_pref_size 0
		.amdhsa_round_robin_scheduling 0
		.amdhsa_exception_fp_ieee_invalid_op 0
		.amdhsa_exception_fp_denorm_src 0
		.amdhsa_exception_fp_ieee_div_zero 0
		.amdhsa_exception_fp_ieee_overflow 0
		.amdhsa_exception_fp_ieee_underflow 0
		.amdhsa_exception_fp_ieee_inexact 0
		.amdhsa_exception_int_div_zero 0
	.end_amdhsa_kernel
	.section	.text._ZN7rocprim17ROCPRIM_400000_NS6detail17trampoline_kernelINS0_14default_configENS1_38merge_sort_block_merge_config_selectorIjNS0_10empty_typeEEEZZNS1_27merge_sort_block_merge_implIS3_PjPS5_jNS1_19radix_merge_compareILb1ELb0EjNS0_19identity_decomposerEEEEE10hipError_tT0_T1_T2_jT3_P12ihipStream_tbPNSt15iterator_traitsISE_E10value_typeEPNSK_ISF_E10value_typeEPSG_NS1_7vsmem_tEENKUlT_SE_SF_SG_E_clIS8_S8_S9_S9_EESD_ST_SE_SF_SG_EUlST_E0_NS1_11comp_targetILNS1_3genE5ELNS1_11target_archE942ELNS1_3gpuE9ELNS1_3repE0EEENS1_38merge_mergepath_config_static_selectorELNS0_4arch9wavefront6targetE0EEEvSF_,"axG",@progbits,_ZN7rocprim17ROCPRIM_400000_NS6detail17trampoline_kernelINS0_14default_configENS1_38merge_sort_block_merge_config_selectorIjNS0_10empty_typeEEEZZNS1_27merge_sort_block_merge_implIS3_PjPS5_jNS1_19radix_merge_compareILb1ELb0EjNS0_19identity_decomposerEEEEE10hipError_tT0_T1_T2_jT3_P12ihipStream_tbPNSt15iterator_traitsISE_E10value_typeEPNSK_ISF_E10value_typeEPSG_NS1_7vsmem_tEENKUlT_SE_SF_SG_E_clIS8_S8_S9_S9_EESD_ST_SE_SF_SG_EUlST_E0_NS1_11comp_targetILNS1_3genE5ELNS1_11target_archE942ELNS1_3gpuE9ELNS1_3repE0EEENS1_38merge_mergepath_config_static_selectorELNS0_4arch9wavefront6targetE0EEEvSF_,comdat
.Lfunc_end2561:
	.size	_ZN7rocprim17ROCPRIM_400000_NS6detail17trampoline_kernelINS0_14default_configENS1_38merge_sort_block_merge_config_selectorIjNS0_10empty_typeEEEZZNS1_27merge_sort_block_merge_implIS3_PjPS5_jNS1_19radix_merge_compareILb1ELb0EjNS0_19identity_decomposerEEEEE10hipError_tT0_T1_T2_jT3_P12ihipStream_tbPNSt15iterator_traitsISE_E10value_typeEPNSK_ISF_E10value_typeEPSG_NS1_7vsmem_tEENKUlT_SE_SF_SG_E_clIS8_S8_S9_S9_EESD_ST_SE_SF_SG_EUlST_E0_NS1_11comp_targetILNS1_3genE5ELNS1_11target_archE942ELNS1_3gpuE9ELNS1_3repE0EEENS1_38merge_mergepath_config_static_selectorELNS0_4arch9wavefront6targetE0EEEvSF_, .Lfunc_end2561-_ZN7rocprim17ROCPRIM_400000_NS6detail17trampoline_kernelINS0_14default_configENS1_38merge_sort_block_merge_config_selectorIjNS0_10empty_typeEEEZZNS1_27merge_sort_block_merge_implIS3_PjPS5_jNS1_19radix_merge_compareILb1ELb0EjNS0_19identity_decomposerEEEEE10hipError_tT0_T1_T2_jT3_P12ihipStream_tbPNSt15iterator_traitsISE_E10value_typeEPNSK_ISF_E10value_typeEPSG_NS1_7vsmem_tEENKUlT_SE_SF_SG_E_clIS8_S8_S9_S9_EESD_ST_SE_SF_SG_EUlST_E0_NS1_11comp_targetILNS1_3genE5ELNS1_11target_archE942ELNS1_3gpuE9ELNS1_3repE0EEENS1_38merge_mergepath_config_static_selectorELNS0_4arch9wavefront6targetE0EEEvSF_
                                        ; -- End function
	.set _ZN7rocprim17ROCPRIM_400000_NS6detail17trampoline_kernelINS0_14default_configENS1_38merge_sort_block_merge_config_selectorIjNS0_10empty_typeEEEZZNS1_27merge_sort_block_merge_implIS3_PjPS5_jNS1_19radix_merge_compareILb1ELb0EjNS0_19identity_decomposerEEEEE10hipError_tT0_T1_T2_jT3_P12ihipStream_tbPNSt15iterator_traitsISE_E10value_typeEPNSK_ISF_E10value_typeEPSG_NS1_7vsmem_tEENKUlT_SE_SF_SG_E_clIS8_S8_S9_S9_EESD_ST_SE_SF_SG_EUlST_E0_NS1_11comp_targetILNS1_3genE5ELNS1_11target_archE942ELNS1_3gpuE9ELNS1_3repE0EEENS1_38merge_mergepath_config_static_selectorELNS0_4arch9wavefront6targetE0EEEvSF_.num_vgpr, 0
	.set _ZN7rocprim17ROCPRIM_400000_NS6detail17trampoline_kernelINS0_14default_configENS1_38merge_sort_block_merge_config_selectorIjNS0_10empty_typeEEEZZNS1_27merge_sort_block_merge_implIS3_PjPS5_jNS1_19radix_merge_compareILb1ELb0EjNS0_19identity_decomposerEEEEE10hipError_tT0_T1_T2_jT3_P12ihipStream_tbPNSt15iterator_traitsISE_E10value_typeEPNSK_ISF_E10value_typeEPSG_NS1_7vsmem_tEENKUlT_SE_SF_SG_E_clIS8_S8_S9_S9_EESD_ST_SE_SF_SG_EUlST_E0_NS1_11comp_targetILNS1_3genE5ELNS1_11target_archE942ELNS1_3gpuE9ELNS1_3repE0EEENS1_38merge_mergepath_config_static_selectorELNS0_4arch9wavefront6targetE0EEEvSF_.num_agpr, 0
	.set _ZN7rocprim17ROCPRIM_400000_NS6detail17trampoline_kernelINS0_14default_configENS1_38merge_sort_block_merge_config_selectorIjNS0_10empty_typeEEEZZNS1_27merge_sort_block_merge_implIS3_PjPS5_jNS1_19radix_merge_compareILb1ELb0EjNS0_19identity_decomposerEEEEE10hipError_tT0_T1_T2_jT3_P12ihipStream_tbPNSt15iterator_traitsISE_E10value_typeEPNSK_ISF_E10value_typeEPSG_NS1_7vsmem_tEENKUlT_SE_SF_SG_E_clIS8_S8_S9_S9_EESD_ST_SE_SF_SG_EUlST_E0_NS1_11comp_targetILNS1_3genE5ELNS1_11target_archE942ELNS1_3gpuE9ELNS1_3repE0EEENS1_38merge_mergepath_config_static_selectorELNS0_4arch9wavefront6targetE0EEEvSF_.numbered_sgpr, 0
	.set _ZN7rocprim17ROCPRIM_400000_NS6detail17trampoline_kernelINS0_14default_configENS1_38merge_sort_block_merge_config_selectorIjNS0_10empty_typeEEEZZNS1_27merge_sort_block_merge_implIS3_PjPS5_jNS1_19radix_merge_compareILb1ELb0EjNS0_19identity_decomposerEEEEE10hipError_tT0_T1_T2_jT3_P12ihipStream_tbPNSt15iterator_traitsISE_E10value_typeEPNSK_ISF_E10value_typeEPSG_NS1_7vsmem_tEENKUlT_SE_SF_SG_E_clIS8_S8_S9_S9_EESD_ST_SE_SF_SG_EUlST_E0_NS1_11comp_targetILNS1_3genE5ELNS1_11target_archE942ELNS1_3gpuE9ELNS1_3repE0EEENS1_38merge_mergepath_config_static_selectorELNS0_4arch9wavefront6targetE0EEEvSF_.num_named_barrier, 0
	.set _ZN7rocprim17ROCPRIM_400000_NS6detail17trampoline_kernelINS0_14default_configENS1_38merge_sort_block_merge_config_selectorIjNS0_10empty_typeEEEZZNS1_27merge_sort_block_merge_implIS3_PjPS5_jNS1_19radix_merge_compareILb1ELb0EjNS0_19identity_decomposerEEEEE10hipError_tT0_T1_T2_jT3_P12ihipStream_tbPNSt15iterator_traitsISE_E10value_typeEPNSK_ISF_E10value_typeEPSG_NS1_7vsmem_tEENKUlT_SE_SF_SG_E_clIS8_S8_S9_S9_EESD_ST_SE_SF_SG_EUlST_E0_NS1_11comp_targetILNS1_3genE5ELNS1_11target_archE942ELNS1_3gpuE9ELNS1_3repE0EEENS1_38merge_mergepath_config_static_selectorELNS0_4arch9wavefront6targetE0EEEvSF_.private_seg_size, 0
	.set _ZN7rocprim17ROCPRIM_400000_NS6detail17trampoline_kernelINS0_14default_configENS1_38merge_sort_block_merge_config_selectorIjNS0_10empty_typeEEEZZNS1_27merge_sort_block_merge_implIS3_PjPS5_jNS1_19radix_merge_compareILb1ELb0EjNS0_19identity_decomposerEEEEE10hipError_tT0_T1_T2_jT3_P12ihipStream_tbPNSt15iterator_traitsISE_E10value_typeEPNSK_ISF_E10value_typeEPSG_NS1_7vsmem_tEENKUlT_SE_SF_SG_E_clIS8_S8_S9_S9_EESD_ST_SE_SF_SG_EUlST_E0_NS1_11comp_targetILNS1_3genE5ELNS1_11target_archE942ELNS1_3gpuE9ELNS1_3repE0EEENS1_38merge_mergepath_config_static_selectorELNS0_4arch9wavefront6targetE0EEEvSF_.uses_vcc, 0
	.set _ZN7rocprim17ROCPRIM_400000_NS6detail17trampoline_kernelINS0_14default_configENS1_38merge_sort_block_merge_config_selectorIjNS0_10empty_typeEEEZZNS1_27merge_sort_block_merge_implIS3_PjPS5_jNS1_19radix_merge_compareILb1ELb0EjNS0_19identity_decomposerEEEEE10hipError_tT0_T1_T2_jT3_P12ihipStream_tbPNSt15iterator_traitsISE_E10value_typeEPNSK_ISF_E10value_typeEPSG_NS1_7vsmem_tEENKUlT_SE_SF_SG_E_clIS8_S8_S9_S9_EESD_ST_SE_SF_SG_EUlST_E0_NS1_11comp_targetILNS1_3genE5ELNS1_11target_archE942ELNS1_3gpuE9ELNS1_3repE0EEENS1_38merge_mergepath_config_static_selectorELNS0_4arch9wavefront6targetE0EEEvSF_.uses_flat_scratch, 0
	.set _ZN7rocprim17ROCPRIM_400000_NS6detail17trampoline_kernelINS0_14default_configENS1_38merge_sort_block_merge_config_selectorIjNS0_10empty_typeEEEZZNS1_27merge_sort_block_merge_implIS3_PjPS5_jNS1_19radix_merge_compareILb1ELb0EjNS0_19identity_decomposerEEEEE10hipError_tT0_T1_T2_jT3_P12ihipStream_tbPNSt15iterator_traitsISE_E10value_typeEPNSK_ISF_E10value_typeEPSG_NS1_7vsmem_tEENKUlT_SE_SF_SG_E_clIS8_S8_S9_S9_EESD_ST_SE_SF_SG_EUlST_E0_NS1_11comp_targetILNS1_3genE5ELNS1_11target_archE942ELNS1_3gpuE9ELNS1_3repE0EEENS1_38merge_mergepath_config_static_selectorELNS0_4arch9wavefront6targetE0EEEvSF_.has_dyn_sized_stack, 0
	.set _ZN7rocprim17ROCPRIM_400000_NS6detail17trampoline_kernelINS0_14default_configENS1_38merge_sort_block_merge_config_selectorIjNS0_10empty_typeEEEZZNS1_27merge_sort_block_merge_implIS3_PjPS5_jNS1_19radix_merge_compareILb1ELb0EjNS0_19identity_decomposerEEEEE10hipError_tT0_T1_T2_jT3_P12ihipStream_tbPNSt15iterator_traitsISE_E10value_typeEPNSK_ISF_E10value_typeEPSG_NS1_7vsmem_tEENKUlT_SE_SF_SG_E_clIS8_S8_S9_S9_EESD_ST_SE_SF_SG_EUlST_E0_NS1_11comp_targetILNS1_3genE5ELNS1_11target_archE942ELNS1_3gpuE9ELNS1_3repE0EEENS1_38merge_mergepath_config_static_selectorELNS0_4arch9wavefront6targetE0EEEvSF_.has_recursion, 0
	.set _ZN7rocprim17ROCPRIM_400000_NS6detail17trampoline_kernelINS0_14default_configENS1_38merge_sort_block_merge_config_selectorIjNS0_10empty_typeEEEZZNS1_27merge_sort_block_merge_implIS3_PjPS5_jNS1_19radix_merge_compareILb1ELb0EjNS0_19identity_decomposerEEEEE10hipError_tT0_T1_T2_jT3_P12ihipStream_tbPNSt15iterator_traitsISE_E10value_typeEPNSK_ISF_E10value_typeEPSG_NS1_7vsmem_tEENKUlT_SE_SF_SG_E_clIS8_S8_S9_S9_EESD_ST_SE_SF_SG_EUlST_E0_NS1_11comp_targetILNS1_3genE5ELNS1_11target_archE942ELNS1_3gpuE9ELNS1_3repE0EEENS1_38merge_mergepath_config_static_selectorELNS0_4arch9wavefront6targetE0EEEvSF_.has_indirect_call, 0
	.section	.AMDGPU.csdata,"",@progbits
; Kernel info:
; codeLenInByte = 0
; TotalNumSgprs: 0
; NumVgprs: 0
; ScratchSize: 0
; MemoryBound: 0
; FloatMode: 240
; IeeeMode: 1
; LDSByteSize: 0 bytes/workgroup (compile time only)
; SGPRBlocks: 0
; VGPRBlocks: 0
; NumSGPRsForWavesPerEU: 1
; NumVGPRsForWavesPerEU: 1
; NamedBarCnt: 0
; Occupancy: 16
; WaveLimiterHint : 0
; COMPUTE_PGM_RSRC2:SCRATCH_EN: 0
; COMPUTE_PGM_RSRC2:USER_SGPR: 2
; COMPUTE_PGM_RSRC2:TRAP_HANDLER: 0
; COMPUTE_PGM_RSRC2:TGID_X_EN: 1
; COMPUTE_PGM_RSRC2:TGID_Y_EN: 0
; COMPUTE_PGM_RSRC2:TGID_Z_EN: 0
; COMPUTE_PGM_RSRC2:TIDIG_COMP_CNT: 0
	.section	.text._ZN7rocprim17ROCPRIM_400000_NS6detail17trampoline_kernelINS0_14default_configENS1_38merge_sort_block_merge_config_selectorIjNS0_10empty_typeEEEZZNS1_27merge_sort_block_merge_implIS3_PjPS5_jNS1_19radix_merge_compareILb1ELb0EjNS0_19identity_decomposerEEEEE10hipError_tT0_T1_T2_jT3_P12ihipStream_tbPNSt15iterator_traitsISE_E10value_typeEPNSK_ISF_E10value_typeEPSG_NS1_7vsmem_tEENKUlT_SE_SF_SG_E_clIS8_S8_S9_S9_EESD_ST_SE_SF_SG_EUlST_E0_NS1_11comp_targetILNS1_3genE4ELNS1_11target_archE910ELNS1_3gpuE8ELNS1_3repE0EEENS1_38merge_mergepath_config_static_selectorELNS0_4arch9wavefront6targetE0EEEvSF_,"axG",@progbits,_ZN7rocprim17ROCPRIM_400000_NS6detail17trampoline_kernelINS0_14default_configENS1_38merge_sort_block_merge_config_selectorIjNS0_10empty_typeEEEZZNS1_27merge_sort_block_merge_implIS3_PjPS5_jNS1_19radix_merge_compareILb1ELb0EjNS0_19identity_decomposerEEEEE10hipError_tT0_T1_T2_jT3_P12ihipStream_tbPNSt15iterator_traitsISE_E10value_typeEPNSK_ISF_E10value_typeEPSG_NS1_7vsmem_tEENKUlT_SE_SF_SG_E_clIS8_S8_S9_S9_EESD_ST_SE_SF_SG_EUlST_E0_NS1_11comp_targetILNS1_3genE4ELNS1_11target_archE910ELNS1_3gpuE8ELNS1_3repE0EEENS1_38merge_mergepath_config_static_selectorELNS0_4arch9wavefront6targetE0EEEvSF_,comdat
	.protected	_ZN7rocprim17ROCPRIM_400000_NS6detail17trampoline_kernelINS0_14default_configENS1_38merge_sort_block_merge_config_selectorIjNS0_10empty_typeEEEZZNS1_27merge_sort_block_merge_implIS3_PjPS5_jNS1_19radix_merge_compareILb1ELb0EjNS0_19identity_decomposerEEEEE10hipError_tT0_T1_T2_jT3_P12ihipStream_tbPNSt15iterator_traitsISE_E10value_typeEPNSK_ISF_E10value_typeEPSG_NS1_7vsmem_tEENKUlT_SE_SF_SG_E_clIS8_S8_S9_S9_EESD_ST_SE_SF_SG_EUlST_E0_NS1_11comp_targetILNS1_3genE4ELNS1_11target_archE910ELNS1_3gpuE8ELNS1_3repE0EEENS1_38merge_mergepath_config_static_selectorELNS0_4arch9wavefront6targetE0EEEvSF_ ; -- Begin function _ZN7rocprim17ROCPRIM_400000_NS6detail17trampoline_kernelINS0_14default_configENS1_38merge_sort_block_merge_config_selectorIjNS0_10empty_typeEEEZZNS1_27merge_sort_block_merge_implIS3_PjPS5_jNS1_19radix_merge_compareILb1ELb0EjNS0_19identity_decomposerEEEEE10hipError_tT0_T1_T2_jT3_P12ihipStream_tbPNSt15iterator_traitsISE_E10value_typeEPNSK_ISF_E10value_typeEPSG_NS1_7vsmem_tEENKUlT_SE_SF_SG_E_clIS8_S8_S9_S9_EESD_ST_SE_SF_SG_EUlST_E0_NS1_11comp_targetILNS1_3genE4ELNS1_11target_archE910ELNS1_3gpuE8ELNS1_3repE0EEENS1_38merge_mergepath_config_static_selectorELNS0_4arch9wavefront6targetE0EEEvSF_
	.globl	_ZN7rocprim17ROCPRIM_400000_NS6detail17trampoline_kernelINS0_14default_configENS1_38merge_sort_block_merge_config_selectorIjNS0_10empty_typeEEEZZNS1_27merge_sort_block_merge_implIS3_PjPS5_jNS1_19radix_merge_compareILb1ELb0EjNS0_19identity_decomposerEEEEE10hipError_tT0_T1_T2_jT3_P12ihipStream_tbPNSt15iterator_traitsISE_E10value_typeEPNSK_ISF_E10value_typeEPSG_NS1_7vsmem_tEENKUlT_SE_SF_SG_E_clIS8_S8_S9_S9_EESD_ST_SE_SF_SG_EUlST_E0_NS1_11comp_targetILNS1_3genE4ELNS1_11target_archE910ELNS1_3gpuE8ELNS1_3repE0EEENS1_38merge_mergepath_config_static_selectorELNS0_4arch9wavefront6targetE0EEEvSF_
	.p2align	8
	.type	_ZN7rocprim17ROCPRIM_400000_NS6detail17trampoline_kernelINS0_14default_configENS1_38merge_sort_block_merge_config_selectorIjNS0_10empty_typeEEEZZNS1_27merge_sort_block_merge_implIS3_PjPS5_jNS1_19radix_merge_compareILb1ELb0EjNS0_19identity_decomposerEEEEE10hipError_tT0_T1_T2_jT3_P12ihipStream_tbPNSt15iterator_traitsISE_E10value_typeEPNSK_ISF_E10value_typeEPSG_NS1_7vsmem_tEENKUlT_SE_SF_SG_E_clIS8_S8_S9_S9_EESD_ST_SE_SF_SG_EUlST_E0_NS1_11comp_targetILNS1_3genE4ELNS1_11target_archE910ELNS1_3gpuE8ELNS1_3repE0EEENS1_38merge_mergepath_config_static_selectorELNS0_4arch9wavefront6targetE0EEEvSF_,@function
_ZN7rocprim17ROCPRIM_400000_NS6detail17trampoline_kernelINS0_14default_configENS1_38merge_sort_block_merge_config_selectorIjNS0_10empty_typeEEEZZNS1_27merge_sort_block_merge_implIS3_PjPS5_jNS1_19radix_merge_compareILb1ELb0EjNS0_19identity_decomposerEEEEE10hipError_tT0_T1_T2_jT3_P12ihipStream_tbPNSt15iterator_traitsISE_E10value_typeEPNSK_ISF_E10value_typeEPSG_NS1_7vsmem_tEENKUlT_SE_SF_SG_E_clIS8_S8_S9_S9_EESD_ST_SE_SF_SG_EUlST_E0_NS1_11comp_targetILNS1_3genE4ELNS1_11target_archE910ELNS1_3gpuE8ELNS1_3repE0EEENS1_38merge_mergepath_config_static_selectorELNS0_4arch9wavefront6targetE0EEEvSF_: ; @_ZN7rocprim17ROCPRIM_400000_NS6detail17trampoline_kernelINS0_14default_configENS1_38merge_sort_block_merge_config_selectorIjNS0_10empty_typeEEEZZNS1_27merge_sort_block_merge_implIS3_PjPS5_jNS1_19radix_merge_compareILb1ELb0EjNS0_19identity_decomposerEEEEE10hipError_tT0_T1_T2_jT3_P12ihipStream_tbPNSt15iterator_traitsISE_E10value_typeEPNSK_ISF_E10value_typeEPSG_NS1_7vsmem_tEENKUlT_SE_SF_SG_E_clIS8_S8_S9_S9_EESD_ST_SE_SF_SG_EUlST_E0_NS1_11comp_targetILNS1_3genE4ELNS1_11target_archE910ELNS1_3gpuE8ELNS1_3repE0EEENS1_38merge_mergepath_config_static_selectorELNS0_4arch9wavefront6targetE0EEEvSF_
; %bb.0:
	.section	.rodata,"a",@progbits
	.p2align	6, 0x0
	.amdhsa_kernel _ZN7rocprim17ROCPRIM_400000_NS6detail17trampoline_kernelINS0_14default_configENS1_38merge_sort_block_merge_config_selectorIjNS0_10empty_typeEEEZZNS1_27merge_sort_block_merge_implIS3_PjPS5_jNS1_19radix_merge_compareILb1ELb0EjNS0_19identity_decomposerEEEEE10hipError_tT0_T1_T2_jT3_P12ihipStream_tbPNSt15iterator_traitsISE_E10value_typeEPNSK_ISF_E10value_typeEPSG_NS1_7vsmem_tEENKUlT_SE_SF_SG_E_clIS8_S8_S9_S9_EESD_ST_SE_SF_SG_EUlST_E0_NS1_11comp_targetILNS1_3genE4ELNS1_11target_archE910ELNS1_3gpuE8ELNS1_3repE0EEENS1_38merge_mergepath_config_static_selectorELNS0_4arch9wavefront6targetE0EEEvSF_
		.amdhsa_group_segment_fixed_size 0
		.amdhsa_private_segment_fixed_size 0
		.amdhsa_kernarg_size 64
		.amdhsa_user_sgpr_count 2
		.amdhsa_user_sgpr_dispatch_ptr 0
		.amdhsa_user_sgpr_queue_ptr 0
		.amdhsa_user_sgpr_kernarg_segment_ptr 1
		.amdhsa_user_sgpr_dispatch_id 0
		.amdhsa_user_sgpr_kernarg_preload_length 0
		.amdhsa_user_sgpr_kernarg_preload_offset 0
		.amdhsa_user_sgpr_private_segment_size 0
		.amdhsa_wavefront_size32 1
		.amdhsa_uses_dynamic_stack 0
		.amdhsa_enable_private_segment 0
		.amdhsa_system_sgpr_workgroup_id_x 1
		.amdhsa_system_sgpr_workgroup_id_y 0
		.amdhsa_system_sgpr_workgroup_id_z 0
		.amdhsa_system_sgpr_workgroup_info 0
		.amdhsa_system_vgpr_workitem_id 0
		.amdhsa_next_free_vgpr 1
		.amdhsa_next_free_sgpr 1
		.amdhsa_named_barrier_count 0
		.amdhsa_reserve_vcc 0
		.amdhsa_float_round_mode_32 0
		.amdhsa_float_round_mode_16_64 0
		.amdhsa_float_denorm_mode_32 3
		.amdhsa_float_denorm_mode_16_64 3
		.amdhsa_fp16_overflow 0
		.amdhsa_memory_ordered 1
		.amdhsa_forward_progress 1
		.amdhsa_inst_pref_size 0
		.amdhsa_round_robin_scheduling 0
		.amdhsa_exception_fp_ieee_invalid_op 0
		.amdhsa_exception_fp_denorm_src 0
		.amdhsa_exception_fp_ieee_div_zero 0
		.amdhsa_exception_fp_ieee_overflow 0
		.amdhsa_exception_fp_ieee_underflow 0
		.amdhsa_exception_fp_ieee_inexact 0
		.amdhsa_exception_int_div_zero 0
	.end_amdhsa_kernel
	.section	.text._ZN7rocprim17ROCPRIM_400000_NS6detail17trampoline_kernelINS0_14default_configENS1_38merge_sort_block_merge_config_selectorIjNS0_10empty_typeEEEZZNS1_27merge_sort_block_merge_implIS3_PjPS5_jNS1_19radix_merge_compareILb1ELb0EjNS0_19identity_decomposerEEEEE10hipError_tT0_T1_T2_jT3_P12ihipStream_tbPNSt15iterator_traitsISE_E10value_typeEPNSK_ISF_E10value_typeEPSG_NS1_7vsmem_tEENKUlT_SE_SF_SG_E_clIS8_S8_S9_S9_EESD_ST_SE_SF_SG_EUlST_E0_NS1_11comp_targetILNS1_3genE4ELNS1_11target_archE910ELNS1_3gpuE8ELNS1_3repE0EEENS1_38merge_mergepath_config_static_selectorELNS0_4arch9wavefront6targetE0EEEvSF_,"axG",@progbits,_ZN7rocprim17ROCPRIM_400000_NS6detail17trampoline_kernelINS0_14default_configENS1_38merge_sort_block_merge_config_selectorIjNS0_10empty_typeEEEZZNS1_27merge_sort_block_merge_implIS3_PjPS5_jNS1_19radix_merge_compareILb1ELb0EjNS0_19identity_decomposerEEEEE10hipError_tT0_T1_T2_jT3_P12ihipStream_tbPNSt15iterator_traitsISE_E10value_typeEPNSK_ISF_E10value_typeEPSG_NS1_7vsmem_tEENKUlT_SE_SF_SG_E_clIS8_S8_S9_S9_EESD_ST_SE_SF_SG_EUlST_E0_NS1_11comp_targetILNS1_3genE4ELNS1_11target_archE910ELNS1_3gpuE8ELNS1_3repE0EEENS1_38merge_mergepath_config_static_selectorELNS0_4arch9wavefront6targetE0EEEvSF_,comdat
.Lfunc_end2562:
	.size	_ZN7rocprim17ROCPRIM_400000_NS6detail17trampoline_kernelINS0_14default_configENS1_38merge_sort_block_merge_config_selectorIjNS0_10empty_typeEEEZZNS1_27merge_sort_block_merge_implIS3_PjPS5_jNS1_19radix_merge_compareILb1ELb0EjNS0_19identity_decomposerEEEEE10hipError_tT0_T1_T2_jT3_P12ihipStream_tbPNSt15iterator_traitsISE_E10value_typeEPNSK_ISF_E10value_typeEPSG_NS1_7vsmem_tEENKUlT_SE_SF_SG_E_clIS8_S8_S9_S9_EESD_ST_SE_SF_SG_EUlST_E0_NS1_11comp_targetILNS1_3genE4ELNS1_11target_archE910ELNS1_3gpuE8ELNS1_3repE0EEENS1_38merge_mergepath_config_static_selectorELNS0_4arch9wavefront6targetE0EEEvSF_, .Lfunc_end2562-_ZN7rocprim17ROCPRIM_400000_NS6detail17trampoline_kernelINS0_14default_configENS1_38merge_sort_block_merge_config_selectorIjNS0_10empty_typeEEEZZNS1_27merge_sort_block_merge_implIS3_PjPS5_jNS1_19radix_merge_compareILb1ELb0EjNS0_19identity_decomposerEEEEE10hipError_tT0_T1_T2_jT3_P12ihipStream_tbPNSt15iterator_traitsISE_E10value_typeEPNSK_ISF_E10value_typeEPSG_NS1_7vsmem_tEENKUlT_SE_SF_SG_E_clIS8_S8_S9_S9_EESD_ST_SE_SF_SG_EUlST_E0_NS1_11comp_targetILNS1_3genE4ELNS1_11target_archE910ELNS1_3gpuE8ELNS1_3repE0EEENS1_38merge_mergepath_config_static_selectorELNS0_4arch9wavefront6targetE0EEEvSF_
                                        ; -- End function
	.set _ZN7rocprim17ROCPRIM_400000_NS6detail17trampoline_kernelINS0_14default_configENS1_38merge_sort_block_merge_config_selectorIjNS0_10empty_typeEEEZZNS1_27merge_sort_block_merge_implIS3_PjPS5_jNS1_19radix_merge_compareILb1ELb0EjNS0_19identity_decomposerEEEEE10hipError_tT0_T1_T2_jT3_P12ihipStream_tbPNSt15iterator_traitsISE_E10value_typeEPNSK_ISF_E10value_typeEPSG_NS1_7vsmem_tEENKUlT_SE_SF_SG_E_clIS8_S8_S9_S9_EESD_ST_SE_SF_SG_EUlST_E0_NS1_11comp_targetILNS1_3genE4ELNS1_11target_archE910ELNS1_3gpuE8ELNS1_3repE0EEENS1_38merge_mergepath_config_static_selectorELNS0_4arch9wavefront6targetE0EEEvSF_.num_vgpr, 0
	.set _ZN7rocprim17ROCPRIM_400000_NS6detail17trampoline_kernelINS0_14default_configENS1_38merge_sort_block_merge_config_selectorIjNS0_10empty_typeEEEZZNS1_27merge_sort_block_merge_implIS3_PjPS5_jNS1_19radix_merge_compareILb1ELb0EjNS0_19identity_decomposerEEEEE10hipError_tT0_T1_T2_jT3_P12ihipStream_tbPNSt15iterator_traitsISE_E10value_typeEPNSK_ISF_E10value_typeEPSG_NS1_7vsmem_tEENKUlT_SE_SF_SG_E_clIS8_S8_S9_S9_EESD_ST_SE_SF_SG_EUlST_E0_NS1_11comp_targetILNS1_3genE4ELNS1_11target_archE910ELNS1_3gpuE8ELNS1_3repE0EEENS1_38merge_mergepath_config_static_selectorELNS0_4arch9wavefront6targetE0EEEvSF_.num_agpr, 0
	.set _ZN7rocprim17ROCPRIM_400000_NS6detail17trampoline_kernelINS0_14default_configENS1_38merge_sort_block_merge_config_selectorIjNS0_10empty_typeEEEZZNS1_27merge_sort_block_merge_implIS3_PjPS5_jNS1_19radix_merge_compareILb1ELb0EjNS0_19identity_decomposerEEEEE10hipError_tT0_T1_T2_jT3_P12ihipStream_tbPNSt15iterator_traitsISE_E10value_typeEPNSK_ISF_E10value_typeEPSG_NS1_7vsmem_tEENKUlT_SE_SF_SG_E_clIS8_S8_S9_S9_EESD_ST_SE_SF_SG_EUlST_E0_NS1_11comp_targetILNS1_3genE4ELNS1_11target_archE910ELNS1_3gpuE8ELNS1_3repE0EEENS1_38merge_mergepath_config_static_selectorELNS0_4arch9wavefront6targetE0EEEvSF_.numbered_sgpr, 0
	.set _ZN7rocprim17ROCPRIM_400000_NS6detail17trampoline_kernelINS0_14default_configENS1_38merge_sort_block_merge_config_selectorIjNS0_10empty_typeEEEZZNS1_27merge_sort_block_merge_implIS3_PjPS5_jNS1_19radix_merge_compareILb1ELb0EjNS0_19identity_decomposerEEEEE10hipError_tT0_T1_T2_jT3_P12ihipStream_tbPNSt15iterator_traitsISE_E10value_typeEPNSK_ISF_E10value_typeEPSG_NS1_7vsmem_tEENKUlT_SE_SF_SG_E_clIS8_S8_S9_S9_EESD_ST_SE_SF_SG_EUlST_E0_NS1_11comp_targetILNS1_3genE4ELNS1_11target_archE910ELNS1_3gpuE8ELNS1_3repE0EEENS1_38merge_mergepath_config_static_selectorELNS0_4arch9wavefront6targetE0EEEvSF_.num_named_barrier, 0
	.set _ZN7rocprim17ROCPRIM_400000_NS6detail17trampoline_kernelINS0_14default_configENS1_38merge_sort_block_merge_config_selectorIjNS0_10empty_typeEEEZZNS1_27merge_sort_block_merge_implIS3_PjPS5_jNS1_19radix_merge_compareILb1ELb0EjNS0_19identity_decomposerEEEEE10hipError_tT0_T1_T2_jT3_P12ihipStream_tbPNSt15iterator_traitsISE_E10value_typeEPNSK_ISF_E10value_typeEPSG_NS1_7vsmem_tEENKUlT_SE_SF_SG_E_clIS8_S8_S9_S9_EESD_ST_SE_SF_SG_EUlST_E0_NS1_11comp_targetILNS1_3genE4ELNS1_11target_archE910ELNS1_3gpuE8ELNS1_3repE0EEENS1_38merge_mergepath_config_static_selectorELNS0_4arch9wavefront6targetE0EEEvSF_.private_seg_size, 0
	.set _ZN7rocprim17ROCPRIM_400000_NS6detail17trampoline_kernelINS0_14default_configENS1_38merge_sort_block_merge_config_selectorIjNS0_10empty_typeEEEZZNS1_27merge_sort_block_merge_implIS3_PjPS5_jNS1_19radix_merge_compareILb1ELb0EjNS0_19identity_decomposerEEEEE10hipError_tT0_T1_T2_jT3_P12ihipStream_tbPNSt15iterator_traitsISE_E10value_typeEPNSK_ISF_E10value_typeEPSG_NS1_7vsmem_tEENKUlT_SE_SF_SG_E_clIS8_S8_S9_S9_EESD_ST_SE_SF_SG_EUlST_E0_NS1_11comp_targetILNS1_3genE4ELNS1_11target_archE910ELNS1_3gpuE8ELNS1_3repE0EEENS1_38merge_mergepath_config_static_selectorELNS0_4arch9wavefront6targetE0EEEvSF_.uses_vcc, 0
	.set _ZN7rocprim17ROCPRIM_400000_NS6detail17trampoline_kernelINS0_14default_configENS1_38merge_sort_block_merge_config_selectorIjNS0_10empty_typeEEEZZNS1_27merge_sort_block_merge_implIS3_PjPS5_jNS1_19radix_merge_compareILb1ELb0EjNS0_19identity_decomposerEEEEE10hipError_tT0_T1_T2_jT3_P12ihipStream_tbPNSt15iterator_traitsISE_E10value_typeEPNSK_ISF_E10value_typeEPSG_NS1_7vsmem_tEENKUlT_SE_SF_SG_E_clIS8_S8_S9_S9_EESD_ST_SE_SF_SG_EUlST_E0_NS1_11comp_targetILNS1_3genE4ELNS1_11target_archE910ELNS1_3gpuE8ELNS1_3repE0EEENS1_38merge_mergepath_config_static_selectorELNS0_4arch9wavefront6targetE0EEEvSF_.uses_flat_scratch, 0
	.set _ZN7rocprim17ROCPRIM_400000_NS6detail17trampoline_kernelINS0_14default_configENS1_38merge_sort_block_merge_config_selectorIjNS0_10empty_typeEEEZZNS1_27merge_sort_block_merge_implIS3_PjPS5_jNS1_19radix_merge_compareILb1ELb0EjNS0_19identity_decomposerEEEEE10hipError_tT0_T1_T2_jT3_P12ihipStream_tbPNSt15iterator_traitsISE_E10value_typeEPNSK_ISF_E10value_typeEPSG_NS1_7vsmem_tEENKUlT_SE_SF_SG_E_clIS8_S8_S9_S9_EESD_ST_SE_SF_SG_EUlST_E0_NS1_11comp_targetILNS1_3genE4ELNS1_11target_archE910ELNS1_3gpuE8ELNS1_3repE0EEENS1_38merge_mergepath_config_static_selectorELNS0_4arch9wavefront6targetE0EEEvSF_.has_dyn_sized_stack, 0
	.set _ZN7rocprim17ROCPRIM_400000_NS6detail17trampoline_kernelINS0_14default_configENS1_38merge_sort_block_merge_config_selectorIjNS0_10empty_typeEEEZZNS1_27merge_sort_block_merge_implIS3_PjPS5_jNS1_19radix_merge_compareILb1ELb0EjNS0_19identity_decomposerEEEEE10hipError_tT0_T1_T2_jT3_P12ihipStream_tbPNSt15iterator_traitsISE_E10value_typeEPNSK_ISF_E10value_typeEPSG_NS1_7vsmem_tEENKUlT_SE_SF_SG_E_clIS8_S8_S9_S9_EESD_ST_SE_SF_SG_EUlST_E0_NS1_11comp_targetILNS1_3genE4ELNS1_11target_archE910ELNS1_3gpuE8ELNS1_3repE0EEENS1_38merge_mergepath_config_static_selectorELNS0_4arch9wavefront6targetE0EEEvSF_.has_recursion, 0
	.set _ZN7rocprim17ROCPRIM_400000_NS6detail17trampoline_kernelINS0_14default_configENS1_38merge_sort_block_merge_config_selectorIjNS0_10empty_typeEEEZZNS1_27merge_sort_block_merge_implIS3_PjPS5_jNS1_19radix_merge_compareILb1ELb0EjNS0_19identity_decomposerEEEEE10hipError_tT0_T1_T2_jT3_P12ihipStream_tbPNSt15iterator_traitsISE_E10value_typeEPNSK_ISF_E10value_typeEPSG_NS1_7vsmem_tEENKUlT_SE_SF_SG_E_clIS8_S8_S9_S9_EESD_ST_SE_SF_SG_EUlST_E0_NS1_11comp_targetILNS1_3genE4ELNS1_11target_archE910ELNS1_3gpuE8ELNS1_3repE0EEENS1_38merge_mergepath_config_static_selectorELNS0_4arch9wavefront6targetE0EEEvSF_.has_indirect_call, 0
	.section	.AMDGPU.csdata,"",@progbits
; Kernel info:
; codeLenInByte = 0
; TotalNumSgprs: 0
; NumVgprs: 0
; ScratchSize: 0
; MemoryBound: 0
; FloatMode: 240
; IeeeMode: 1
; LDSByteSize: 0 bytes/workgroup (compile time only)
; SGPRBlocks: 0
; VGPRBlocks: 0
; NumSGPRsForWavesPerEU: 1
; NumVGPRsForWavesPerEU: 1
; NamedBarCnt: 0
; Occupancy: 16
; WaveLimiterHint : 0
; COMPUTE_PGM_RSRC2:SCRATCH_EN: 0
; COMPUTE_PGM_RSRC2:USER_SGPR: 2
; COMPUTE_PGM_RSRC2:TRAP_HANDLER: 0
; COMPUTE_PGM_RSRC2:TGID_X_EN: 1
; COMPUTE_PGM_RSRC2:TGID_Y_EN: 0
; COMPUTE_PGM_RSRC2:TGID_Z_EN: 0
; COMPUTE_PGM_RSRC2:TIDIG_COMP_CNT: 0
	.section	.text._ZN7rocprim17ROCPRIM_400000_NS6detail17trampoline_kernelINS0_14default_configENS1_38merge_sort_block_merge_config_selectorIjNS0_10empty_typeEEEZZNS1_27merge_sort_block_merge_implIS3_PjPS5_jNS1_19radix_merge_compareILb1ELb0EjNS0_19identity_decomposerEEEEE10hipError_tT0_T1_T2_jT3_P12ihipStream_tbPNSt15iterator_traitsISE_E10value_typeEPNSK_ISF_E10value_typeEPSG_NS1_7vsmem_tEENKUlT_SE_SF_SG_E_clIS8_S8_S9_S9_EESD_ST_SE_SF_SG_EUlST_E0_NS1_11comp_targetILNS1_3genE3ELNS1_11target_archE908ELNS1_3gpuE7ELNS1_3repE0EEENS1_38merge_mergepath_config_static_selectorELNS0_4arch9wavefront6targetE0EEEvSF_,"axG",@progbits,_ZN7rocprim17ROCPRIM_400000_NS6detail17trampoline_kernelINS0_14default_configENS1_38merge_sort_block_merge_config_selectorIjNS0_10empty_typeEEEZZNS1_27merge_sort_block_merge_implIS3_PjPS5_jNS1_19radix_merge_compareILb1ELb0EjNS0_19identity_decomposerEEEEE10hipError_tT0_T1_T2_jT3_P12ihipStream_tbPNSt15iterator_traitsISE_E10value_typeEPNSK_ISF_E10value_typeEPSG_NS1_7vsmem_tEENKUlT_SE_SF_SG_E_clIS8_S8_S9_S9_EESD_ST_SE_SF_SG_EUlST_E0_NS1_11comp_targetILNS1_3genE3ELNS1_11target_archE908ELNS1_3gpuE7ELNS1_3repE0EEENS1_38merge_mergepath_config_static_selectorELNS0_4arch9wavefront6targetE0EEEvSF_,comdat
	.protected	_ZN7rocprim17ROCPRIM_400000_NS6detail17trampoline_kernelINS0_14default_configENS1_38merge_sort_block_merge_config_selectorIjNS0_10empty_typeEEEZZNS1_27merge_sort_block_merge_implIS3_PjPS5_jNS1_19radix_merge_compareILb1ELb0EjNS0_19identity_decomposerEEEEE10hipError_tT0_T1_T2_jT3_P12ihipStream_tbPNSt15iterator_traitsISE_E10value_typeEPNSK_ISF_E10value_typeEPSG_NS1_7vsmem_tEENKUlT_SE_SF_SG_E_clIS8_S8_S9_S9_EESD_ST_SE_SF_SG_EUlST_E0_NS1_11comp_targetILNS1_3genE3ELNS1_11target_archE908ELNS1_3gpuE7ELNS1_3repE0EEENS1_38merge_mergepath_config_static_selectorELNS0_4arch9wavefront6targetE0EEEvSF_ ; -- Begin function _ZN7rocprim17ROCPRIM_400000_NS6detail17trampoline_kernelINS0_14default_configENS1_38merge_sort_block_merge_config_selectorIjNS0_10empty_typeEEEZZNS1_27merge_sort_block_merge_implIS3_PjPS5_jNS1_19radix_merge_compareILb1ELb0EjNS0_19identity_decomposerEEEEE10hipError_tT0_T1_T2_jT3_P12ihipStream_tbPNSt15iterator_traitsISE_E10value_typeEPNSK_ISF_E10value_typeEPSG_NS1_7vsmem_tEENKUlT_SE_SF_SG_E_clIS8_S8_S9_S9_EESD_ST_SE_SF_SG_EUlST_E0_NS1_11comp_targetILNS1_3genE3ELNS1_11target_archE908ELNS1_3gpuE7ELNS1_3repE0EEENS1_38merge_mergepath_config_static_selectorELNS0_4arch9wavefront6targetE0EEEvSF_
	.globl	_ZN7rocprim17ROCPRIM_400000_NS6detail17trampoline_kernelINS0_14default_configENS1_38merge_sort_block_merge_config_selectorIjNS0_10empty_typeEEEZZNS1_27merge_sort_block_merge_implIS3_PjPS5_jNS1_19radix_merge_compareILb1ELb0EjNS0_19identity_decomposerEEEEE10hipError_tT0_T1_T2_jT3_P12ihipStream_tbPNSt15iterator_traitsISE_E10value_typeEPNSK_ISF_E10value_typeEPSG_NS1_7vsmem_tEENKUlT_SE_SF_SG_E_clIS8_S8_S9_S9_EESD_ST_SE_SF_SG_EUlST_E0_NS1_11comp_targetILNS1_3genE3ELNS1_11target_archE908ELNS1_3gpuE7ELNS1_3repE0EEENS1_38merge_mergepath_config_static_selectorELNS0_4arch9wavefront6targetE0EEEvSF_
	.p2align	8
	.type	_ZN7rocprim17ROCPRIM_400000_NS6detail17trampoline_kernelINS0_14default_configENS1_38merge_sort_block_merge_config_selectorIjNS0_10empty_typeEEEZZNS1_27merge_sort_block_merge_implIS3_PjPS5_jNS1_19radix_merge_compareILb1ELb0EjNS0_19identity_decomposerEEEEE10hipError_tT0_T1_T2_jT3_P12ihipStream_tbPNSt15iterator_traitsISE_E10value_typeEPNSK_ISF_E10value_typeEPSG_NS1_7vsmem_tEENKUlT_SE_SF_SG_E_clIS8_S8_S9_S9_EESD_ST_SE_SF_SG_EUlST_E0_NS1_11comp_targetILNS1_3genE3ELNS1_11target_archE908ELNS1_3gpuE7ELNS1_3repE0EEENS1_38merge_mergepath_config_static_selectorELNS0_4arch9wavefront6targetE0EEEvSF_,@function
_ZN7rocprim17ROCPRIM_400000_NS6detail17trampoline_kernelINS0_14default_configENS1_38merge_sort_block_merge_config_selectorIjNS0_10empty_typeEEEZZNS1_27merge_sort_block_merge_implIS3_PjPS5_jNS1_19radix_merge_compareILb1ELb0EjNS0_19identity_decomposerEEEEE10hipError_tT0_T1_T2_jT3_P12ihipStream_tbPNSt15iterator_traitsISE_E10value_typeEPNSK_ISF_E10value_typeEPSG_NS1_7vsmem_tEENKUlT_SE_SF_SG_E_clIS8_S8_S9_S9_EESD_ST_SE_SF_SG_EUlST_E0_NS1_11comp_targetILNS1_3genE3ELNS1_11target_archE908ELNS1_3gpuE7ELNS1_3repE0EEENS1_38merge_mergepath_config_static_selectorELNS0_4arch9wavefront6targetE0EEEvSF_: ; @_ZN7rocprim17ROCPRIM_400000_NS6detail17trampoline_kernelINS0_14default_configENS1_38merge_sort_block_merge_config_selectorIjNS0_10empty_typeEEEZZNS1_27merge_sort_block_merge_implIS3_PjPS5_jNS1_19radix_merge_compareILb1ELb0EjNS0_19identity_decomposerEEEEE10hipError_tT0_T1_T2_jT3_P12ihipStream_tbPNSt15iterator_traitsISE_E10value_typeEPNSK_ISF_E10value_typeEPSG_NS1_7vsmem_tEENKUlT_SE_SF_SG_E_clIS8_S8_S9_S9_EESD_ST_SE_SF_SG_EUlST_E0_NS1_11comp_targetILNS1_3genE3ELNS1_11target_archE908ELNS1_3gpuE7ELNS1_3repE0EEENS1_38merge_mergepath_config_static_selectorELNS0_4arch9wavefront6targetE0EEEvSF_
; %bb.0:
	.section	.rodata,"a",@progbits
	.p2align	6, 0x0
	.amdhsa_kernel _ZN7rocprim17ROCPRIM_400000_NS6detail17trampoline_kernelINS0_14default_configENS1_38merge_sort_block_merge_config_selectorIjNS0_10empty_typeEEEZZNS1_27merge_sort_block_merge_implIS3_PjPS5_jNS1_19radix_merge_compareILb1ELb0EjNS0_19identity_decomposerEEEEE10hipError_tT0_T1_T2_jT3_P12ihipStream_tbPNSt15iterator_traitsISE_E10value_typeEPNSK_ISF_E10value_typeEPSG_NS1_7vsmem_tEENKUlT_SE_SF_SG_E_clIS8_S8_S9_S9_EESD_ST_SE_SF_SG_EUlST_E0_NS1_11comp_targetILNS1_3genE3ELNS1_11target_archE908ELNS1_3gpuE7ELNS1_3repE0EEENS1_38merge_mergepath_config_static_selectorELNS0_4arch9wavefront6targetE0EEEvSF_
		.amdhsa_group_segment_fixed_size 0
		.amdhsa_private_segment_fixed_size 0
		.amdhsa_kernarg_size 64
		.amdhsa_user_sgpr_count 2
		.amdhsa_user_sgpr_dispatch_ptr 0
		.amdhsa_user_sgpr_queue_ptr 0
		.amdhsa_user_sgpr_kernarg_segment_ptr 1
		.amdhsa_user_sgpr_dispatch_id 0
		.amdhsa_user_sgpr_kernarg_preload_length 0
		.amdhsa_user_sgpr_kernarg_preload_offset 0
		.amdhsa_user_sgpr_private_segment_size 0
		.amdhsa_wavefront_size32 1
		.amdhsa_uses_dynamic_stack 0
		.amdhsa_enable_private_segment 0
		.amdhsa_system_sgpr_workgroup_id_x 1
		.amdhsa_system_sgpr_workgroup_id_y 0
		.amdhsa_system_sgpr_workgroup_id_z 0
		.amdhsa_system_sgpr_workgroup_info 0
		.amdhsa_system_vgpr_workitem_id 0
		.amdhsa_next_free_vgpr 1
		.amdhsa_next_free_sgpr 1
		.amdhsa_named_barrier_count 0
		.amdhsa_reserve_vcc 0
		.amdhsa_float_round_mode_32 0
		.amdhsa_float_round_mode_16_64 0
		.amdhsa_float_denorm_mode_32 3
		.amdhsa_float_denorm_mode_16_64 3
		.amdhsa_fp16_overflow 0
		.amdhsa_memory_ordered 1
		.amdhsa_forward_progress 1
		.amdhsa_inst_pref_size 0
		.amdhsa_round_robin_scheduling 0
		.amdhsa_exception_fp_ieee_invalid_op 0
		.amdhsa_exception_fp_denorm_src 0
		.amdhsa_exception_fp_ieee_div_zero 0
		.amdhsa_exception_fp_ieee_overflow 0
		.amdhsa_exception_fp_ieee_underflow 0
		.amdhsa_exception_fp_ieee_inexact 0
		.amdhsa_exception_int_div_zero 0
	.end_amdhsa_kernel
	.section	.text._ZN7rocprim17ROCPRIM_400000_NS6detail17trampoline_kernelINS0_14default_configENS1_38merge_sort_block_merge_config_selectorIjNS0_10empty_typeEEEZZNS1_27merge_sort_block_merge_implIS3_PjPS5_jNS1_19radix_merge_compareILb1ELb0EjNS0_19identity_decomposerEEEEE10hipError_tT0_T1_T2_jT3_P12ihipStream_tbPNSt15iterator_traitsISE_E10value_typeEPNSK_ISF_E10value_typeEPSG_NS1_7vsmem_tEENKUlT_SE_SF_SG_E_clIS8_S8_S9_S9_EESD_ST_SE_SF_SG_EUlST_E0_NS1_11comp_targetILNS1_3genE3ELNS1_11target_archE908ELNS1_3gpuE7ELNS1_3repE0EEENS1_38merge_mergepath_config_static_selectorELNS0_4arch9wavefront6targetE0EEEvSF_,"axG",@progbits,_ZN7rocprim17ROCPRIM_400000_NS6detail17trampoline_kernelINS0_14default_configENS1_38merge_sort_block_merge_config_selectorIjNS0_10empty_typeEEEZZNS1_27merge_sort_block_merge_implIS3_PjPS5_jNS1_19radix_merge_compareILb1ELb0EjNS0_19identity_decomposerEEEEE10hipError_tT0_T1_T2_jT3_P12ihipStream_tbPNSt15iterator_traitsISE_E10value_typeEPNSK_ISF_E10value_typeEPSG_NS1_7vsmem_tEENKUlT_SE_SF_SG_E_clIS8_S8_S9_S9_EESD_ST_SE_SF_SG_EUlST_E0_NS1_11comp_targetILNS1_3genE3ELNS1_11target_archE908ELNS1_3gpuE7ELNS1_3repE0EEENS1_38merge_mergepath_config_static_selectorELNS0_4arch9wavefront6targetE0EEEvSF_,comdat
.Lfunc_end2563:
	.size	_ZN7rocprim17ROCPRIM_400000_NS6detail17trampoline_kernelINS0_14default_configENS1_38merge_sort_block_merge_config_selectorIjNS0_10empty_typeEEEZZNS1_27merge_sort_block_merge_implIS3_PjPS5_jNS1_19radix_merge_compareILb1ELb0EjNS0_19identity_decomposerEEEEE10hipError_tT0_T1_T2_jT3_P12ihipStream_tbPNSt15iterator_traitsISE_E10value_typeEPNSK_ISF_E10value_typeEPSG_NS1_7vsmem_tEENKUlT_SE_SF_SG_E_clIS8_S8_S9_S9_EESD_ST_SE_SF_SG_EUlST_E0_NS1_11comp_targetILNS1_3genE3ELNS1_11target_archE908ELNS1_3gpuE7ELNS1_3repE0EEENS1_38merge_mergepath_config_static_selectorELNS0_4arch9wavefront6targetE0EEEvSF_, .Lfunc_end2563-_ZN7rocprim17ROCPRIM_400000_NS6detail17trampoline_kernelINS0_14default_configENS1_38merge_sort_block_merge_config_selectorIjNS0_10empty_typeEEEZZNS1_27merge_sort_block_merge_implIS3_PjPS5_jNS1_19radix_merge_compareILb1ELb0EjNS0_19identity_decomposerEEEEE10hipError_tT0_T1_T2_jT3_P12ihipStream_tbPNSt15iterator_traitsISE_E10value_typeEPNSK_ISF_E10value_typeEPSG_NS1_7vsmem_tEENKUlT_SE_SF_SG_E_clIS8_S8_S9_S9_EESD_ST_SE_SF_SG_EUlST_E0_NS1_11comp_targetILNS1_3genE3ELNS1_11target_archE908ELNS1_3gpuE7ELNS1_3repE0EEENS1_38merge_mergepath_config_static_selectorELNS0_4arch9wavefront6targetE0EEEvSF_
                                        ; -- End function
	.set _ZN7rocprim17ROCPRIM_400000_NS6detail17trampoline_kernelINS0_14default_configENS1_38merge_sort_block_merge_config_selectorIjNS0_10empty_typeEEEZZNS1_27merge_sort_block_merge_implIS3_PjPS5_jNS1_19radix_merge_compareILb1ELb0EjNS0_19identity_decomposerEEEEE10hipError_tT0_T1_T2_jT3_P12ihipStream_tbPNSt15iterator_traitsISE_E10value_typeEPNSK_ISF_E10value_typeEPSG_NS1_7vsmem_tEENKUlT_SE_SF_SG_E_clIS8_S8_S9_S9_EESD_ST_SE_SF_SG_EUlST_E0_NS1_11comp_targetILNS1_3genE3ELNS1_11target_archE908ELNS1_3gpuE7ELNS1_3repE0EEENS1_38merge_mergepath_config_static_selectorELNS0_4arch9wavefront6targetE0EEEvSF_.num_vgpr, 0
	.set _ZN7rocprim17ROCPRIM_400000_NS6detail17trampoline_kernelINS0_14default_configENS1_38merge_sort_block_merge_config_selectorIjNS0_10empty_typeEEEZZNS1_27merge_sort_block_merge_implIS3_PjPS5_jNS1_19radix_merge_compareILb1ELb0EjNS0_19identity_decomposerEEEEE10hipError_tT0_T1_T2_jT3_P12ihipStream_tbPNSt15iterator_traitsISE_E10value_typeEPNSK_ISF_E10value_typeEPSG_NS1_7vsmem_tEENKUlT_SE_SF_SG_E_clIS8_S8_S9_S9_EESD_ST_SE_SF_SG_EUlST_E0_NS1_11comp_targetILNS1_3genE3ELNS1_11target_archE908ELNS1_3gpuE7ELNS1_3repE0EEENS1_38merge_mergepath_config_static_selectorELNS0_4arch9wavefront6targetE0EEEvSF_.num_agpr, 0
	.set _ZN7rocprim17ROCPRIM_400000_NS6detail17trampoline_kernelINS0_14default_configENS1_38merge_sort_block_merge_config_selectorIjNS0_10empty_typeEEEZZNS1_27merge_sort_block_merge_implIS3_PjPS5_jNS1_19radix_merge_compareILb1ELb0EjNS0_19identity_decomposerEEEEE10hipError_tT0_T1_T2_jT3_P12ihipStream_tbPNSt15iterator_traitsISE_E10value_typeEPNSK_ISF_E10value_typeEPSG_NS1_7vsmem_tEENKUlT_SE_SF_SG_E_clIS8_S8_S9_S9_EESD_ST_SE_SF_SG_EUlST_E0_NS1_11comp_targetILNS1_3genE3ELNS1_11target_archE908ELNS1_3gpuE7ELNS1_3repE0EEENS1_38merge_mergepath_config_static_selectorELNS0_4arch9wavefront6targetE0EEEvSF_.numbered_sgpr, 0
	.set _ZN7rocprim17ROCPRIM_400000_NS6detail17trampoline_kernelINS0_14default_configENS1_38merge_sort_block_merge_config_selectorIjNS0_10empty_typeEEEZZNS1_27merge_sort_block_merge_implIS3_PjPS5_jNS1_19radix_merge_compareILb1ELb0EjNS0_19identity_decomposerEEEEE10hipError_tT0_T1_T2_jT3_P12ihipStream_tbPNSt15iterator_traitsISE_E10value_typeEPNSK_ISF_E10value_typeEPSG_NS1_7vsmem_tEENKUlT_SE_SF_SG_E_clIS8_S8_S9_S9_EESD_ST_SE_SF_SG_EUlST_E0_NS1_11comp_targetILNS1_3genE3ELNS1_11target_archE908ELNS1_3gpuE7ELNS1_3repE0EEENS1_38merge_mergepath_config_static_selectorELNS0_4arch9wavefront6targetE0EEEvSF_.num_named_barrier, 0
	.set _ZN7rocprim17ROCPRIM_400000_NS6detail17trampoline_kernelINS0_14default_configENS1_38merge_sort_block_merge_config_selectorIjNS0_10empty_typeEEEZZNS1_27merge_sort_block_merge_implIS3_PjPS5_jNS1_19radix_merge_compareILb1ELb0EjNS0_19identity_decomposerEEEEE10hipError_tT0_T1_T2_jT3_P12ihipStream_tbPNSt15iterator_traitsISE_E10value_typeEPNSK_ISF_E10value_typeEPSG_NS1_7vsmem_tEENKUlT_SE_SF_SG_E_clIS8_S8_S9_S9_EESD_ST_SE_SF_SG_EUlST_E0_NS1_11comp_targetILNS1_3genE3ELNS1_11target_archE908ELNS1_3gpuE7ELNS1_3repE0EEENS1_38merge_mergepath_config_static_selectorELNS0_4arch9wavefront6targetE0EEEvSF_.private_seg_size, 0
	.set _ZN7rocprim17ROCPRIM_400000_NS6detail17trampoline_kernelINS0_14default_configENS1_38merge_sort_block_merge_config_selectorIjNS0_10empty_typeEEEZZNS1_27merge_sort_block_merge_implIS3_PjPS5_jNS1_19radix_merge_compareILb1ELb0EjNS0_19identity_decomposerEEEEE10hipError_tT0_T1_T2_jT3_P12ihipStream_tbPNSt15iterator_traitsISE_E10value_typeEPNSK_ISF_E10value_typeEPSG_NS1_7vsmem_tEENKUlT_SE_SF_SG_E_clIS8_S8_S9_S9_EESD_ST_SE_SF_SG_EUlST_E0_NS1_11comp_targetILNS1_3genE3ELNS1_11target_archE908ELNS1_3gpuE7ELNS1_3repE0EEENS1_38merge_mergepath_config_static_selectorELNS0_4arch9wavefront6targetE0EEEvSF_.uses_vcc, 0
	.set _ZN7rocprim17ROCPRIM_400000_NS6detail17trampoline_kernelINS0_14default_configENS1_38merge_sort_block_merge_config_selectorIjNS0_10empty_typeEEEZZNS1_27merge_sort_block_merge_implIS3_PjPS5_jNS1_19radix_merge_compareILb1ELb0EjNS0_19identity_decomposerEEEEE10hipError_tT0_T1_T2_jT3_P12ihipStream_tbPNSt15iterator_traitsISE_E10value_typeEPNSK_ISF_E10value_typeEPSG_NS1_7vsmem_tEENKUlT_SE_SF_SG_E_clIS8_S8_S9_S9_EESD_ST_SE_SF_SG_EUlST_E0_NS1_11comp_targetILNS1_3genE3ELNS1_11target_archE908ELNS1_3gpuE7ELNS1_3repE0EEENS1_38merge_mergepath_config_static_selectorELNS0_4arch9wavefront6targetE0EEEvSF_.uses_flat_scratch, 0
	.set _ZN7rocprim17ROCPRIM_400000_NS6detail17trampoline_kernelINS0_14default_configENS1_38merge_sort_block_merge_config_selectorIjNS0_10empty_typeEEEZZNS1_27merge_sort_block_merge_implIS3_PjPS5_jNS1_19radix_merge_compareILb1ELb0EjNS0_19identity_decomposerEEEEE10hipError_tT0_T1_T2_jT3_P12ihipStream_tbPNSt15iterator_traitsISE_E10value_typeEPNSK_ISF_E10value_typeEPSG_NS1_7vsmem_tEENKUlT_SE_SF_SG_E_clIS8_S8_S9_S9_EESD_ST_SE_SF_SG_EUlST_E0_NS1_11comp_targetILNS1_3genE3ELNS1_11target_archE908ELNS1_3gpuE7ELNS1_3repE0EEENS1_38merge_mergepath_config_static_selectorELNS0_4arch9wavefront6targetE0EEEvSF_.has_dyn_sized_stack, 0
	.set _ZN7rocprim17ROCPRIM_400000_NS6detail17trampoline_kernelINS0_14default_configENS1_38merge_sort_block_merge_config_selectorIjNS0_10empty_typeEEEZZNS1_27merge_sort_block_merge_implIS3_PjPS5_jNS1_19radix_merge_compareILb1ELb0EjNS0_19identity_decomposerEEEEE10hipError_tT0_T1_T2_jT3_P12ihipStream_tbPNSt15iterator_traitsISE_E10value_typeEPNSK_ISF_E10value_typeEPSG_NS1_7vsmem_tEENKUlT_SE_SF_SG_E_clIS8_S8_S9_S9_EESD_ST_SE_SF_SG_EUlST_E0_NS1_11comp_targetILNS1_3genE3ELNS1_11target_archE908ELNS1_3gpuE7ELNS1_3repE0EEENS1_38merge_mergepath_config_static_selectorELNS0_4arch9wavefront6targetE0EEEvSF_.has_recursion, 0
	.set _ZN7rocprim17ROCPRIM_400000_NS6detail17trampoline_kernelINS0_14default_configENS1_38merge_sort_block_merge_config_selectorIjNS0_10empty_typeEEEZZNS1_27merge_sort_block_merge_implIS3_PjPS5_jNS1_19radix_merge_compareILb1ELb0EjNS0_19identity_decomposerEEEEE10hipError_tT0_T1_T2_jT3_P12ihipStream_tbPNSt15iterator_traitsISE_E10value_typeEPNSK_ISF_E10value_typeEPSG_NS1_7vsmem_tEENKUlT_SE_SF_SG_E_clIS8_S8_S9_S9_EESD_ST_SE_SF_SG_EUlST_E0_NS1_11comp_targetILNS1_3genE3ELNS1_11target_archE908ELNS1_3gpuE7ELNS1_3repE0EEENS1_38merge_mergepath_config_static_selectorELNS0_4arch9wavefront6targetE0EEEvSF_.has_indirect_call, 0
	.section	.AMDGPU.csdata,"",@progbits
; Kernel info:
; codeLenInByte = 0
; TotalNumSgprs: 0
; NumVgprs: 0
; ScratchSize: 0
; MemoryBound: 0
; FloatMode: 240
; IeeeMode: 1
; LDSByteSize: 0 bytes/workgroup (compile time only)
; SGPRBlocks: 0
; VGPRBlocks: 0
; NumSGPRsForWavesPerEU: 1
; NumVGPRsForWavesPerEU: 1
; NamedBarCnt: 0
; Occupancy: 16
; WaveLimiterHint : 0
; COMPUTE_PGM_RSRC2:SCRATCH_EN: 0
; COMPUTE_PGM_RSRC2:USER_SGPR: 2
; COMPUTE_PGM_RSRC2:TRAP_HANDLER: 0
; COMPUTE_PGM_RSRC2:TGID_X_EN: 1
; COMPUTE_PGM_RSRC2:TGID_Y_EN: 0
; COMPUTE_PGM_RSRC2:TGID_Z_EN: 0
; COMPUTE_PGM_RSRC2:TIDIG_COMP_CNT: 0
	.section	.text._ZN7rocprim17ROCPRIM_400000_NS6detail17trampoline_kernelINS0_14default_configENS1_38merge_sort_block_merge_config_selectorIjNS0_10empty_typeEEEZZNS1_27merge_sort_block_merge_implIS3_PjPS5_jNS1_19radix_merge_compareILb1ELb0EjNS0_19identity_decomposerEEEEE10hipError_tT0_T1_T2_jT3_P12ihipStream_tbPNSt15iterator_traitsISE_E10value_typeEPNSK_ISF_E10value_typeEPSG_NS1_7vsmem_tEENKUlT_SE_SF_SG_E_clIS8_S8_S9_S9_EESD_ST_SE_SF_SG_EUlST_E0_NS1_11comp_targetILNS1_3genE2ELNS1_11target_archE906ELNS1_3gpuE6ELNS1_3repE0EEENS1_38merge_mergepath_config_static_selectorELNS0_4arch9wavefront6targetE0EEEvSF_,"axG",@progbits,_ZN7rocprim17ROCPRIM_400000_NS6detail17trampoline_kernelINS0_14default_configENS1_38merge_sort_block_merge_config_selectorIjNS0_10empty_typeEEEZZNS1_27merge_sort_block_merge_implIS3_PjPS5_jNS1_19radix_merge_compareILb1ELb0EjNS0_19identity_decomposerEEEEE10hipError_tT0_T1_T2_jT3_P12ihipStream_tbPNSt15iterator_traitsISE_E10value_typeEPNSK_ISF_E10value_typeEPSG_NS1_7vsmem_tEENKUlT_SE_SF_SG_E_clIS8_S8_S9_S9_EESD_ST_SE_SF_SG_EUlST_E0_NS1_11comp_targetILNS1_3genE2ELNS1_11target_archE906ELNS1_3gpuE6ELNS1_3repE0EEENS1_38merge_mergepath_config_static_selectorELNS0_4arch9wavefront6targetE0EEEvSF_,comdat
	.protected	_ZN7rocprim17ROCPRIM_400000_NS6detail17trampoline_kernelINS0_14default_configENS1_38merge_sort_block_merge_config_selectorIjNS0_10empty_typeEEEZZNS1_27merge_sort_block_merge_implIS3_PjPS5_jNS1_19radix_merge_compareILb1ELb0EjNS0_19identity_decomposerEEEEE10hipError_tT0_T1_T2_jT3_P12ihipStream_tbPNSt15iterator_traitsISE_E10value_typeEPNSK_ISF_E10value_typeEPSG_NS1_7vsmem_tEENKUlT_SE_SF_SG_E_clIS8_S8_S9_S9_EESD_ST_SE_SF_SG_EUlST_E0_NS1_11comp_targetILNS1_3genE2ELNS1_11target_archE906ELNS1_3gpuE6ELNS1_3repE0EEENS1_38merge_mergepath_config_static_selectorELNS0_4arch9wavefront6targetE0EEEvSF_ ; -- Begin function _ZN7rocprim17ROCPRIM_400000_NS6detail17trampoline_kernelINS0_14default_configENS1_38merge_sort_block_merge_config_selectorIjNS0_10empty_typeEEEZZNS1_27merge_sort_block_merge_implIS3_PjPS5_jNS1_19radix_merge_compareILb1ELb0EjNS0_19identity_decomposerEEEEE10hipError_tT0_T1_T2_jT3_P12ihipStream_tbPNSt15iterator_traitsISE_E10value_typeEPNSK_ISF_E10value_typeEPSG_NS1_7vsmem_tEENKUlT_SE_SF_SG_E_clIS8_S8_S9_S9_EESD_ST_SE_SF_SG_EUlST_E0_NS1_11comp_targetILNS1_3genE2ELNS1_11target_archE906ELNS1_3gpuE6ELNS1_3repE0EEENS1_38merge_mergepath_config_static_selectorELNS0_4arch9wavefront6targetE0EEEvSF_
	.globl	_ZN7rocprim17ROCPRIM_400000_NS6detail17trampoline_kernelINS0_14default_configENS1_38merge_sort_block_merge_config_selectorIjNS0_10empty_typeEEEZZNS1_27merge_sort_block_merge_implIS3_PjPS5_jNS1_19radix_merge_compareILb1ELb0EjNS0_19identity_decomposerEEEEE10hipError_tT0_T1_T2_jT3_P12ihipStream_tbPNSt15iterator_traitsISE_E10value_typeEPNSK_ISF_E10value_typeEPSG_NS1_7vsmem_tEENKUlT_SE_SF_SG_E_clIS8_S8_S9_S9_EESD_ST_SE_SF_SG_EUlST_E0_NS1_11comp_targetILNS1_3genE2ELNS1_11target_archE906ELNS1_3gpuE6ELNS1_3repE0EEENS1_38merge_mergepath_config_static_selectorELNS0_4arch9wavefront6targetE0EEEvSF_
	.p2align	8
	.type	_ZN7rocprim17ROCPRIM_400000_NS6detail17trampoline_kernelINS0_14default_configENS1_38merge_sort_block_merge_config_selectorIjNS0_10empty_typeEEEZZNS1_27merge_sort_block_merge_implIS3_PjPS5_jNS1_19radix_merge_compareILb1ELb0EjNS0_19identity_decomposerEEEEE10hipError_tT0_T1_T2_jT3_P12ihipStream_tbPNSt15iterator_traitsISE_E10value_typeEPNSK_ISF_E10value_typeEPSG_NS1_7vsmem_tEENKUlT_SE_SF_SG_E_clIS8_S8_S9_S9_EESD_ST_SE_SF_SG_EUlST_E0_NS1_11comp_targetILNS1_3genE2ELNS1_11target_archE906ELNS1_3gpuE6ELNS1_3repE0EEENS1_38merge_mergepath_config_static_selectorELNS0_4arch9wavefront6targetE0EEEvSF_,@function
_ZN7rocprim17ROCPRIM_400000_NS6detail17trampoline_kernelINS0_14default_configENS1_38merge_sort_block_merge_config_selectorIjNS0_10empty_typeEEEZZNS1_27merge_sort_block_merge_implIS3_PjPS5_jNS1_19radix_merge_compareILb1ELb0EjNS0_19identity_decomposerEEEEE10hipError_tT0_T1_T2_jT3_P12ihipStream_tbPNSt15iterator_traitsISE_E10value_typeEPNSK_ISF_E10value_typeEPSG_NS1_7vsmem_tEENKUlT_SE_SF_SG_E_clIS8_S8_S9_S9_EESD_ST_SE_SF_SG_EUlST_E0_NS1_11comp_targetILNS1_3genE2ELNS1_11target_archE906ELNS1_3gpuE6ELNS1_3repE0EEENS1_38merge_mergepath_config_static_selectorELNS0_4arch9wavefront6targetE0EEEvSF_: ; @_ZN7rocprim17ROCPRIM_400000_NS6detail17trampoline_kernelINS0_14default_configENS1_38merge_sort_block_merge_config_selectorIjNS0_10empty_typeEEEZZNS1_27merge_sort_block_merge_implIS3_PjPS5_jNS1_19radix_merge_compareILb1ELb0EjNS0_19identity_decomposerEEEEE10hipError_tT0_T1_T2_jT3_P12ihipStream_tbPNSt15iterator_traitsISE_E10value_typeEPNSK_ISF_E10value_typeEPSG_NS1_7vsmem_tEENKUlT_SE_SF_SG_E_clIS8_S8_S9_S9_EESD_ST_SE_SF_SG_EUlST_E0_NS1_11comp_targetILNS1_3genE2ELNS1_11target_archE906ELNS1_3gpuE6ELNS1_3repE0EEENS1_38merge_mergepath_config_static_selectorELNS0_4arch9wavefront6targetE0EEEvSF_
; %bb.0:
	.section	.rodata,"a",@progbits
	.p2align	6, 0x0
	.amdhsa_kernel _ZN7rocprim17ROCPRIM_400000_NS6detail17trampoline_kernelINS0_14default_configENS1_38merge_sort_block_merge_config_selectorIjNS0_10empty_typeEEEZZNS1_27merge_sort_block_merge_implIS3_PjPS5_jNS1_19radix_merge_compareILb1ELb0EjNS0_19identity_decomposerEEEEE10hipError_tT0_T1_T2_jT3_P12ihipStream_tbPNSt15iterator_traitsISE_E10value_typeEPNSK_ISF_E10value_typeEPSG_NS1_7vsmem_tEENKUlT_SE_SF_SG_E_clIS8_S8_S9_S9_EESD_ST_SE_SF_SG_EUlST_E0_NS1_11comp_targetILNS1_3genE2ELNS1_11target_archE906ELNS1_3gpuE6ELNS1_3repE0EEENS1_38merge_mergepath_config_static_selectorELNS0_4arch9wavefront6targetE0EEEvSF_
		.amdhsa_group_segment_fixed_size 0
		.amdhsa_private_segment_fixed_size 0
		.amdhsa_kernarg_size 64
		.amdhsa_user_sgpr_count 2
		.amdhsa_user_sgpr_dispatch_ptr 0
		.amdhsa_user_sgpr_queue_ptr 0
		.amdhsa_user_sgpr_kernarg_segment_ptr 1
		.amdhsa_user_sgpr_dispatch_id 0
		.amdhsa_user_sgpr_kernarg_preload_length 0
		.amdhsa_user_sgpr_kernarg_preload_offset 0
		.amdhsa_user_sgpr_private_segment_size 0
		.amdhsa_wavefront_size32 1
		.amdhsa_uses_dynamic_stack 0
		.amdhsa_enable_private_segment 0
		.amdhsa_system_sgpr_workgroup_id_x 1
		.amdhsa_system_sgpr_workgroup_id_y 0
		.amdhsa_system_sgpr_workgroup_id_z 0
		.amdhsa_system_sgpr_workgroup_info 0
		.amdhsa_system_vgpr_workitem_id 0
		.amdhsa_next_free_vgpr 1
		.amdhsa_next_free_sgpr 1
		.amdhsa_named_barrier_count 0
		.amdhsa_reserve_vcc 0
		.amdhsa_float_round_mode_32 0
		.amdhsa_float_round_mode_16_64 0
		.amdhsa_float_denorm_mode_32 3
		.amdhsa_float_denorm_mode_16_64 3
		.amdhsa_fp16_overflow 0
		.amdhsa_memory_ordered 1
		.amdhsa_forward_progress 1
		.amdhsa_inst_pref_size 0
		.amdhsa_round_robin_scheduling 0
		.amdhsa_exception_fp_ieee_invalid_op 0
		.amdhsa_exception_fp_denorm_src 0
		.amdhsa_exception_fp_ieee_div_zero 0
		.amdhsa_exception_fp_ieee_overflow 0
		.amdhsa_exception_fp_ieee_underflow 0
		.amdhsa_exception_fp_ieee_inexact 0
		.amdhsa_exception_int_div_zero 0
	.end_amdhsa_kernel
	.section	.text._ZN7rocprim17ROCPRIM_400000_NS6detail17trampoline_kernelINS0_14default_configENS1_38merge_sort_block_merge_config_selectorIjNS0_10empty_typeEEEZZNS1_27merge_sort_block_merge_implIS3_PjPS5_jNS1_19radix_merge_compareILb1ELb0EjNS0_19identity_decomposerEEEEE10hipError_tT0_T1_T2_jT3_P12ihipStream_tbPNSt15iterator_traitsISE_E10value_typeEPNSK_ISF_E10value_typeEPSG_NS1_7vsmem_tEENKUlT_SE_SF_SG_E_clIS8_S8_S9_S9_EESD_ST_SE_SF_SG_EUlST_E0_NS1_11comp_targetILNS1_3genE2ELNS1_11target_archE906ELNS1_3gpuE6ELNS1_3repE0EEENS1_38merge_mergepath_config_static_selectorELNS0_4arch9wavefront6targetE0EEEvSF_,"axG",@progbits,_ZN7rocprim17ROCPRIM_400000_NS6detail17trampoline_kernelINS0_14default_configENS1_38merge_sort_block_merge_config_selectorIjNS0_10empty_typeEEEZZNS1_27merge_sort_block_merge_implIS3_PjPS5_jNS1_19radix_merge_compareILb1ELb0EjNS0_19identity_decomposerEEEEE10hipError_tT0_T1_T2_jT3_P12ihipStream_tbPNSt15iterator_traitsISE_E10value_typeEPNSK_ISF_E10value_typeEPSG_NS1_7vsmem_tEENKUlT_SE_SF_SG_E_clIS8_S8_S9_S9_EESD_ST_SE_SF_SG_EUlST_E0_NS1_11comp_targetILNS1_3genE2ELNS1_11target_archE906ELNS1_3gpuE6ELNS1_3repE0EEENS1_38merge_mergepath_config_static_selectorELNS0_4arch9wavefront6targetE0EEEvSF_,comdat
.Lfunc_end2564:
	.size	_ZN7rocprim17ROCPRIM_400000_NS6detail17trampoline_kernelINS0_14default_configENS1_38merge_sort_block_merge_config_selectorIjNS0_10empty_typeEEEZZNS1_27merge_sort_block_merge_implIS3_PjPS5_jNS1_19radix_merge_compareILb1ELb0EjNS0_19identity_decomposerEEEEE10hipError_tT0_T1_T2_jT3_P12ihipStream_tbPNSt15iterator_traitsISE_E10value_typeEPNSK_ISF_E10value_typeEPSG_NS1_7vsmem_tEENKUlT_SE_SF_SG_E_clIS8_S8_S9_S9_EESD_ST_SE_SF_SG_EUlST_E0_NS1_11comp_targetILNS1_3genE2ELNS1_11target_archE906ELNS1_3gpuE6ELNS1_3repE0EEENS1_38merge_mergepath_config_static_selectorELNS0_4arch9wavefront6targetE0EEEvSF_, .Lfunc_end2564-_ZN7rocprim17ROCPRIM_400000_NS6detail17trampoline_kernelINS0_14default_configENS1_38merge_sort_block_merge_config_selectorIjNS0_10empty_typeEEEZZNS1_27merge_sort_block_merge_implIS3_PjPS5_jNS1_19radix_merge_compareILb1ELb0EjNS0_19identity_decomposerEEEEE10hipError_tT0_T1_T2_jT3_P12ihipStream_tbPNSt15iterator_traitsISE_E10value_typeEPNSK_ISF_E10value_typeEPSG_NS1_7vsmem_tEENKUlT_SE_SF_SG_E_clIS8_S8_S9_S9_EESD_ST_SE_SF_SG_EUlST_E0_NS1_11comp_targetILNS1_3genE2ELNS1_11target_archE906ELNS1_3gpuE6ELNS1_3repE0EEENS1_38merge_mergepath_config_static_selectorELNS0_4arch9wavefront6targetE0EEEvSF_
                                        ; -- End function
	.set _ZN7rocprim17ROCPRIM_400000_NS6detail17trampoline_kernelINS0_14default_configENS1_38merge_sort_block_merge_config_selectorIjNS0_10empty_typeEEEZZNS1_27merge_sort_block_merge_implIS3_PjPS5_jNS1_19radix_merge_compareILb1ELb0EjNS0_19identity_decomposerEEEEE10hipError_tT0_T1_T2_jT3_P12ihipStream_tbPNSt15iterator_traitsISE_E10value_typeEPNSK_ISF_E10value_typeEPSG_NS1_7vsmem_tEENKUlT_SE_SF_SG_E_clIS8_S8_S9_S9_EESD_ST_SE_SF_SG_EUlST_E0_NS1_11comp_targetILNS1_3genE2ELNS1_11target_archE906ELNS1_3gpuE6ELNS1_3repE0EEENS1_38merge_mergepath_config_static_selectorELNS0_4arch9wavefront6targetE0EEEvSF_.num_vgpr, 0
	.set _ZN7rocprim17ROCPRIM_400000_NS6detail17trampoline_kernelINS0_14default_configENS1_38merge_sort_block_merge_config_selectorIjNS0_10empty_typeEEEZZNS1_27merge_sort_block_merge_implIS3_PjPS5_jNS1_19radix_merge_compareILb1ELb0EjNS0_19identity_decomposerEEEEE10hipError_tT0_T1_T2_jT3_P12ihipStream_tbPNSt15iterator_traitsISE_E10value_typeEPNSK_ISF_E10value_typeEPSG_NS1_7vsmem_tEENKUlT_SE_SF_SG_E_clIS8_S8_S9_S9_EESD_ST_SE_SF_SG_EUlST_E0_NS1_11comp_targetILNS1_3genE2ELNS1_11target_archE906ELNS1_3gpuE6ELNS1_3repE0EEENS1_38merge_mergepath_config_static_selectorELNS0_4arch9wavefront6targetE0EEEvSF_.num_agpr, 0
	.set _ZN7rocprim17ROCPRIM_400000_NS6detail17trampoline_kernelINS0_14default_configENS1_38merge_sort_block_merge_config_selectorIjNS0_10empty_typeEEEZZNS1_27merge_sort_block_merge_implIS3_PjPS5_jNS1_19radix_merge_compareILb1ELb0EjNS0_19identity_decomposerEEEEE10hipError_tT0_T1_T2_jT3_P12ihipStream_tbPNSt15iterator_traitsISE_E10value_typeEPNSK_ISF_E10value_typeEPSG_NS1_7vsmem_tEENKUlT_SE_SF_SG_E_clIS8_S8_S9_S9_EESD_ST_SE_SF_SG_EUlST_E0_NS1_11comp_targetILNS1_3genE2ELNS1_11target_archE906ELNS1_3gpuE6ELNS1_3repE0EEENS1_38merge_mergepath_config_static_selectorELNS0_4arch9wavefront6targetE0EEEvSF_.numbered_sgpr, 0
	.set _ZN7rocprim17ROCPRIM_400000_NS6detail17trampoline_kernelINS0_14default_configENS1_38merge_sort_block_merge_config_selectorIjNS0_10empty_typeEEEZZNS1_27merge_sort_block_merge_implIS3_PjPS5_jNS1_19radix_merge_compareILb1ELb0EjNS0_19identity_decomposerEEEEE10hipError_tT0_T1_T2_jT3_P12ihipStream_tbPNSt15iterator_traitsISE_E10value_typeEPNSK_ISF_E10value_typeEPSG_NS1_7vsmem_tEENKUlT_SE_SF_SG_E_clIS8_S8_S9_S9_EESD_ST_SE_SF_SG_EUlST_E0_NS1_11comp_targetILNS1_3genE2ELNS1_11target_archE906ELNS1_3gpuE6ELNS1_3repE0EEENS1_38merge_mergepath_config_static_selectorELNS0_4arch9wavefront6targetE0EEEvSF_.num_named_barrier, 0
	.set _ZN7rocprim17ROCPRIM_400000_NS6detail17trampoline_kernelINS0_14default_configENS1_38merge_sort_block_merge_config_selectorIjNS0_10empty_typeEEEZZNS1_27merge_sort_block_merge_implIS3_PjPS5_jNS1_19radix_merge_compareILb1ELb0EjNS0_19identity_decomposerEEEEE10hipError_tT0_T1_T2_jT3_P12ihipStream_tbPNSt15iterator_traitsISE_E10value_typeEPNSK_ISF_E10value_typeEPSG_NS1_7vsmem_tEENKUlT_SE_SF_SG_E_clIS8_S8_S9_S9_EESD_ST_SE_SF_SG_EUlST_E0_NS1_11comp_targetILNS1_3genE2ELNS1_11target_archE906ELNS1_3gpuE6ELNS1_3repE0EEENS1_38merge_mergepath_config_static_selectorELNS0_4arch9wavefront6targetE0EEEvSF_.private_seg_size, 0
	.set _ZN7rocprim17ROCPRIM_400000_NS6detail17trampoline_kernelINS0_14default_configENS1_38merge_sort_block_merge_config_selectorIjNS0_10empty_typeEEEZZNS1_27merge_sort_block_merge_implIS3_PjPS5_jNS1_19radix_merge_compareILb1ELb0EjNS0_19identity_decomposerEEEEE10hipError_tT0_T1_T2_jT3_P12ihipStream_tbPNSt15iterator_traitsISE_E10value_typeEPNSK_ISF_E10value_typeEPSG_NS1_7vsmem_tEENKUlT_SE_SF_SG_E_clIS8_S8_S9_S9_EESD_ST_SE_SF_SG_EUlST_E0_NS1_11comp_targetILNS1_3genE2ELNS1_11target_archE906ELNS1_3gpuE6ELNS1_3repE0EEENS1_38merge_mergepath_config_static_selectorELNS0_4arch9wavefront6targetE0EEEvSF_.uses_vcc, 0
	.set _ZN7rocprim17ROCPRIM_400000_NS6detail17trampoline_kernelINS0_14default_configENS1_38merge_sort_block_merge_config_selectorIjNS0_10empty_typeEEEZZNS1_27merge_sort_block_merge_implIS3_PjPS5_jNS1_19radix_merge_compareILb1ELb0EjNS0_19identity_decomposerEEEEE10hipError_tT0_T1_T2_jT3_P12ihipStream_tbPNSt15iterator_traitsISE_E10value_typeEPNSK_ISF_E10value_typeEPSG_NS1_7vsmem_tEENKUlT_SE_SF_SG_E_clIS8_S8_S9_S9_EESD_ST_SE_SF_SG_EUlST_E0_NS1_11comp_targetILNS1_3genE2ELNS1_11target_archE906ELNS1_3gpuE6ELNS1_3repE0EEENS1_38merge_mergepath_config_static_selectorELNS0_4arch9wavefront6targetE0EEEvSF_.uses_flat_scratch, 0
	.set _ZN7rocprim17ROCPRIM_400000_NS6detail17trampoline_kernelINS0_14default_configENS1_38merge_sort_block_merge_config_selectorIjNS0_10empty_typeEEEZZNS1_27merge_sort_block_merge_implIS3_PjPS5_jNS1_19radix_merge_compareILb1ELb0EjNS0_19identity_decomposerEEEEE10hipError_tT0_T1_T2_jT3_P12ihipStream_tbPNSt15iterator_traitsISE_E10value_typeEPNSK_ISF_E10value_typeEPSG_NS1_7vsmem_tEENKUlT_SE_SF_SG_E_clIS8_S8_S9_S9_EESD_ST_SE_SF_SG_EUlST_E0_NS1_11comp_targetILNS1_3genE2ELNS1_11target_archE906ELNS1_3gpuE6ELNS1_3repE0EEENS1_38merge_mergepath_config_static_selectorELNS0_4arch9wavefront6targetE0EEEvSF_.has_dyn_sized_stack, 0
	.set _ZN7rocprim17ROCPRIM_400000_NS6detail17trampoline_kernelINS0_14default_configENS1_38merge_sort_block_merge_config_selectorIjNS0_10empty_typeEEEZZNS1_27merge_sort_block_merge_implIS3_PjPS5_jNS1_19radix_merge_compareILb1ELb0EjNS0_19identity_decomposerEEEEE10hipError_tT0_T1_T2_jT3_P12ihipStream_tbPNSt15iterator_traitsISE_E10value_typeEPNSK_ISF_E10value_typeEPSG_NS1_7vsmem_tEENKUlT_SE_SF_SG_E_clIS8_S8_S9_S9_EESD_ST_SE_SF_SG_EUlST_E0_NS1_11comp_targetILNS1_3genE2ELNS1_11target_archE906ELNS1_3gpuE6ELNS1_3repE0EEENS1_38merge_mergepath_config_static_selectorELNS0_4arch9wavefront6targetE0EEEvSF_.has_recursion, 0
	.set _ZN7rocprim17ROCPRIM_400000_NS6detail17trampoline_kernelINS0_14default_configENS1_38merge_sort_block_merge_config_selectorIjNS0_10empty_typeEEEZZNS1_27merge_sort_block_merge_implIS3_PjPS5_jNS1_19radix_merge_compareILb1ELb0EjNS0_19identity_decomposerEEEEE10hipError_tT0_T1_T2_jT3_P12ihipStream_tbPNSt15iterator_traitsISE_E10value_typeEPNSK_ISF_E10value_typeEPSG_NS1_7vsmem_tEENKUlT_SE_SF_SG_E_clIS8_S8_S9_S9_EESD_ST_SE_SF_SG_EUlST_E0_NS1_11comp_targetILNS1_3genE2ELNS1_11target_archE906ELNS1_3gpuE6ELNS1_3repE0EEENS1_38merge_mergepath_config_static_selectorELNS0_4arch9wavefront6targetE0EEEvSF_.has_indirect_call, 0
	.section	.AMDGPU.csdata,"",@progbits
; Kernel info:
; codeLenInByte = 0
; TotalNumSgprs: 0
; NumVgprs: 0
; ScratchSize: 0
; MemoryBound: 0
; FloatMode: 240
; IeeeMode: 1
; LDSByteSize: 0 bytes/workgroup (compile time only)
; SGPRBlocks: 0
; VGPRBlocks: 0
; NumSGPRsForWavesPerEU: 1
; NumVGPRsForWavesPerEU: 1
; NamedBarCnt: 0
; Occupancy: 16
; WaveLimiterHint : 0
; COMPUTE_PGM_RSRC2:SCRATCH_EN: 0
; COMPUTE_PGM_RSRC2:USER_SGPR: 2
; COMPUTE_PGM_RSRC2:TRAP_HANDLER: 0
; COMPUTE_PGM_RSRC2:TGID_X_EN: 1
; COMPUTE_PGM_RSRC2:TGID_Y_EN: 0
; COMPUTE_PGM_RSRC2:TGID_Z_EN: 0
; COMPUTE_PGM_RSRC2:TIDIG_COMP_CNT: 0
	.section	.text._ZN7rocprim17ROCPRIM_400000_NS6detail17trampoline_kernelINS0_14default_configENS1_38merge_sort_block_merge_config_selectorIjNS0_10empty_typeEEEZZNS1_27merge_sort_block_merge_implIS3_PjPS5_jNS1_19radix_merge_compareILb1ELb0EjNS0_19identity_decomposerEEEEE10hipError_tT0_T1_T2_jT3_P12ihipStream_tbPNSt15iterator_traitsISE_E10value_typeEPNSK_ISF_E10value_typeEPSG_NS1_7vsmem_tEENKUlT_SE_SF_SG_E_clIS8_S8_S9_S9_EESD_ST_SE_SF_SG_EUlST_E0_NS1_11comp_targetILNS1_3genE9ELNS1_11target_archE1100ELNS1_3gpuE3ELNS1_3repE0EEENS1_38merge_mergepath_config_static_selectorELNS0_4arch9wavefront6targetE0EEEvSF_,"axG",@progbits,_ZN7rocprim17ROCPRIM_400000_NS6detail17trampoline_kernelINS0_14default_configENS1_38merge_sort_block_merge_config_selectorIjNS0_10empty_typeEEEZZNS1_27merge_sort_block_merge_implIS3_PjPS5_jNS1_19radix_merge_compareILb1ELb0EjNS0_19identity_decomposerEEEEE10hipError_tT0_T1_T2_jT3_P12ihipStream_tbPNSt15iterator_traitsISE_E10value_typeEPNSK_ISF_E10value_typeEPSG_NS1_7vsmem_tEENKUlT_SE_SF_SG_E_clIS8_S8_S9_S9_EESD_ST_SE_SF_SG_EUlST_E0_NS1_11comp_targetILNS1_3genE9ELNS1_11target_archE1100ELNS1_3gpuE3ELNS1_3repE0EEENS1_38merge_mergepath_config_static_selectorELNS0_4arch9wavefront6targetE0EEEvSF_,comdat
	.protected	_ZN7rocprim17ROCPRIM_400000_NS6detail17trampoline_kernelINS0_14default_configENS1_38merge_sort_block_merge_config_selectorIjNS0_10empty_typeEEEZZNS1_27merge_sort_block_merge_implIS3_PjPS5_jNS1_19radix_merge_compareILb1ELb0EjNS0_19identity_decomposerEEEEE10hipError_tT0_T1_T2_jT3_P12ihipStream_tbPNSt15iterator_traitsISE_E10value_typeEPNSK_ISF_E10value_typeEPSG_NS1_7vsmem_tEENKUlT_SE_SF_SG_E_clIS8_S8_S9_S9_EESD_ST_SE_SF_SG_EUlST_E0_NS1_11comp_targetILNS1_3genE9ELNS1_11target_archE1100ELNS1_3gpuE3ELNS1_3repE0EEENS1_38merge_mergepath_config_static_selectorELNS0_4arch9wavefront6targetE0EEEvSF_ ; -- Begin function _ZN7rocprim17ROCPRIM_400000_NS6detail17trampoline_kernelINS0_14default_configENS1_38merge_sort_block_merge_config_selectorIjNS0_10empty_typeEEEZZNS1_27merge_sort_block_merge_implIS3_PjPS5_jNS1_19radix_merge_compareILb1ELb0EjNS0_19identity_decomposerEEEEE10hipError_tT0_T1_T2_jT3_P12ihipStream_tbPNSt15iterator_traitsISE_E10value_typeEPNSK_ISF_E10value_typeEPSG_NS1_7vsmem_tEENKUlT_SE_SF_SG_E_clIS8_S8_S9_S9_EESD_ST_SE_SF_SG_EUlST_E0_NS1_11comp_targetILNS1_3genE9ELNS1_11target_archE1100ELNS1_3gpuE3ELNS1_3repE0EEENS1_38merge_mergepath_config_static_selectorELNS0_4arch9wavefront6targetE0EEEvSF_
	.globl	_ZN7rocprim17ROCPRIM_400000_NS6detail17trampoline_kernelINS0_14default_configENS1_38merge_sort_block_merge_config_selectorIjNS0_10empty_typeEEEZZNS1_27merge_sort_block_merge_implIS3_PjPS5_jNS1_19radix_merge_compareILb1ELb0EjNS0_19identity_decomposerEEEEE10hipError_tT0_T1_T2_jT3_P12ihipStream_tbPNSt15iterator_traitsISE_E10value_typeEPNSK_ISF_E10value_typeEPSG_NS1_7vsmem_tEENKUlT_SE_SF_SG_E_clIS8_S8_S9_S9_EESD_ST_SE_SF_SG_EUlST_E0_NS1_11comp_targetILNS1_3genE9ELNS1_11target_archE1100ELNS1_3gpuE3ELNS1_3repE0EEENS1_38merge_mergepath_config_static_selectorELNS0_4arch9wavefront6targetE0EEEvSF_
	.p2align	8
	.type	_ZN7rocprim17ROCPRIM_400000_NS6detail17trampoline_kernelINS0_14default_configENS1_38merge_sort_block_merge_config_selectorIjNS0_10empty_typeEEEZZNS1_27merge_sort_block_merge_implIS3_PjPS5_jNS1_19radix_merge_compareILb1ELb0EjNS0_19identity_decomposerEEEEE10hipError_tT0_T1_T2_jT3_P12ihipStream_tbPNSt15iterator_traitsISE_E10value_typeEPNSK_ISF_E10value_typeEPSG_NS1_7vsmem_tEENKUlT_SE_SF_SG_E_clIS8_S8_S9_S9_EESD_ST_SE_SF_SG_EUlST_E0_NS1_11comp_targetILNS1_3genE9ELNS1_11target_archE1100ELNS1_3gpuE3ELNS1_3repE0EEENS1_38merge_mergepath_config_static_selectorELNS0_4arch9wavefront6targetE0EEEvSF_,@function
_ZN7rocprim17ROCPRIM_400000_NS6detail17trampoline_kernelINS0_14default_configENS1_38merge_sort_block_merge_config_selectorIjNS0_10empty_typeEEEZZNS1_27merge_sort_block_merge_implIS3_PjPS5_jNS1_19radix_merge_compareILb1ELb0EjNS0_19identity_decomposerEEEEE10hipError_tT0_T1_T2_jT3_P12ihipStream_tbPNSt15iterator_traitsISE_E10value_typeEPNSK_ISF_E10value_typeEPSG_NS1_7vsmem_tEENKUlT_SE_SF_SG_E_clIS8_S8_S9_S9_EESD_ST_SE_SF_SG_EUlST_E0_NS1_11comp_targetILNS1_3genE9ELNS1_11target_archE1100ELNS1_3gpuE3ELNS1_3repE0EEENS1_38merge_mergepath_config_static_selectorELNS0_4arch9wavefront6targetE0EEEvSF_: ; @_ZN7rocprim17ROCPRIM_400000_NS6detail17trampoline_kernelINS0_14default_configENS1_38merge_sort_block_merge_config_selectorIjNS0_10empty_typeEEEZZNS1_27merge_sort_block_merge_implIS3_PjPS5_jNS1_19radix_merge_compareILb1ELb0EjNS0_19identity_decomposerEEEEE10hipError_tT0_T1_T2_jT3_P12ihipStream_tbPNSt15iterator_traitsISE_E10value_typeEPNSK_ISF_E10value_typeEPSG_NS1_7vsmem_tEENKUlT_SE_SF_SG_E_clIS8_S8_S9_S9_EESD_ST_SE_SF_SG_EUlST_E0_NS1_11comp_targetILNS1_3genE9ELNS1_11target_archE1100ELNS1_3gpuE3ELNS1_3repE0EEENS1_38merge_mergepath_config_static_selectorELNS0_4arch9wavefront6targetE0EEEvSF_
; %bb.0:
	.section	.rodata,"a",@progbits
	.p2align	6, 0x0
	.amdhsa_kernel _ZN7rocprim17ROCPRIM_400000_NS6detail17trampoline_kernelINS0_14default_configENS1_38merge_sort_block_merge_config_selectorIjNS0_10empty_typeEEEZZNS1_27merge_sort_block_merge_implIS3_PjPS5_jNS1_19radix_merge_compareILb1ELb0EjNS0_19identity_decomposerEEEEE10hipError_tT0_T1_T2_jT3_P12ihipStream_tbPNSt15iterator_traitsISE_E10value_typeEPNSK_ISF_E10value_typeEPSG_NS1_7vsmem_tEENKUlT_SE_SF_SG_E_clIS8_S8_S9_S9_EESD_ST_SE_SF_SG_EUlST_E0_NS1_11comp_targetILNS1_3genE9ELNS1_11target_archE1100ELNS1_3gpuE3ELNS1_3repE0EEENS1_38merge_mergepath_config_static_selectorELNS0_4arch9wavefront6targetE0EEEvSF_
		.amdhsa_group_segment_fixed_size 0
		.amdhsa_private_segment_fixed_size 0
		.amdhsa_kernarg_size 64
		.amdhsa_user_sgpr_count 2
		.amdhsa_user_sgpr_dispatch_ptr 0
		.amdhsa_user_sgpr_queue_ptr 0
		.amdhsa_user_sgpr_kernarg_segment_ptr 1
		.amdhsa_user_sgpr_dispatch_id 0
		.amdhsa_user_sgpr_kernarg_preload_length 0
		.amdhsa_user_sgpr_kernarg_preload_offset 0
		.amdhsa_user_sgpr_private_segment_size 0
		.amdhsa_wavefront_size32 1
		.amdhsa_uses_dynamic_stack 0
		.amdhsa_enable_private_segment 0
		.amdhsa_system_sgpr_workgroup_id_x 1
		.amdhsa_system_sgpr_workgroup_id_y 0
		.amdhsa_system_sgpr_workgroup_id_z 0
		.amdhsa_system_sgpr_workgroup_info 0
		.amdhsa_system_vgpr_workitem_id 0
		.amdhsa_next_free_vgpr 1
		.amdhsa_next_free_sgpr 1
		.amdhsa_named_barrier_count 0
		.amdhsa_reserve_vcc 0
		.amdhsa_float_round_mode_32 0
		.amdhsa_float_round_mode_16_64 0
		.amdhsa_float_denorm_mode_32 3
		.amdhsa_float_denorm_mode_16_64 3
		.amdhsa_fp16_overflow 0
		.amdhsa_memory_ordered 1
		.amdhsa_forward_progress 1
		.amdhsa_inst_pref_size 0
		.amdhsa_round_robin_scheduling 0
		.amdhsa_exception_fp_ieee_invalid_op 0
		.amdhsa_exception_fp_denorm_src 0
		.amdhsa_exception_fp_ieee_div_zero 0
		.amdhsa_exception_fp_ieee_overflow 0
		.amdhsa_exception_fp_ieee_underflow 0
		.amdhsa_exception_fp_ieee_inexact 0
		.amdhsa_exception_int_div_zero 0
	.end_amdhsa_kernel
	.section	.text._ZN7rocprim17ROCPRIM_400000_NS6detail17trampoline_kernelINS0_14default_configENS1_38merge_sort_block_merge_config_selectorIjNS0_10empty_typeEEEZZNS1_27merge_sort_block_merge_implIS3_PjPS5_jNS1_19radix_merge_compareILb1ELb0EjNS0_19identity_decomposerEEEEE10hipError_tT0_T1_T2_jT3_P12ihipStream_tbPNSt15iterator_traitsISE_E10value_typeEPNSK_ISF_E10value_typeEPSG_NS1_7vsmem_tEENKUlT_SE_SF_SG_E_clIS8_S8_S9_S9_EESD_ST_SE_SF_SG_EUlST_E0_NS1_11comp_targetILNS1_3genE9ELNS1_11target_archE1100ELNS1_3gpuE3ELNS1_3repE0EEENS1_38merge_mergepath_config_static_selectorELNS0_4arch9wavefront6targetE0EEEvSF_,"axG",@progbits,_ZN7rocprim17ROCPRIM_400000_NS6detail17trampoline_kernelINS0_14default_configENS1_38merge_sort_block_merge_config_selectorIjNS0_10empty_typeEEEZZNS1_27merge_sort_block_merge_implIS3_PjPS5_jNS1_19radix_merge_compareILb1ELb0EjNS0_19identity_decomposerEEEEE10hipError_tT0_T1_T2_jT3_P12ihipStream_tbPNSt15iterator_traitsISE_E10value_typeEPNSK_ISF_E10value_typeEPSG_NS1_7vsmem_tEENKUlT_SE_SF_SG_E_clIS8_S8_S9_S9_EESD_ST_SE_SF_SG_EUlST_E0_NS1_11comp_targetILNS1_3genE9ELNS1_11target_archE1100ELNS1_3gpuE3ELNS1_3repE0EEENS1_38merge_mergepath_config_static_selectorELNS0_4arch9wavefront6targetE0EEEvSF_,comdat
.Lfunc_end2565:
	.size	_ZN7rocprim17ROCPRIM_400000_NS6detail17trampoline_kernelINS0_14default_configENS1_38merge_sort_block_merge_config_selectorIjNS0_10empty_typeEEEZZNS1_27merge_sort_block_merge_implIS3_PjPS5_jNS1_19radix_merge_compareILb1ELb0EjNS0_19identity_decomposerEEEEE10hipError_tT0_T1_T2_jT3_P12ihipStream_tbPNSt15iterator_traitsISE_E10value_typeEPNSK_ISF_E10value_typeEPSG_NS1_7vsmem_tEENKUlT_SE_SF_SG_E_clIS8_S8_S9_S9_EESD_ST_SE_SF_SG_EUlST_E0_NS1_11comp_targetILNS1_3genE9ELNS1_11target_archE1100ELNS1_3gpuE3ELNS1_3repE0EEENS1_38merge_mergepath_config_static_selectorELNS0_4arch9wavefront6targetE0EEEvSF_, .Lfunc_end2565-_ZN7rocprim17ROCPRIM_400000_NS6detail17trampoline_kernelINS0_14default_configENS1_38merge_sort_block_merge_config_selectorIjNS0_10empty_typeEEEZZNS1_27merge_sort_block_merge_implIS3_PjPS5_jNS1_19radix_merge_compareILb1ELb0EjNS0_19identity_decomposerEEEEE10hipError_tT0_T1_T2_jT3_P12ihipStream_tbPNSt15iterator_traitsISE_E10value_typeEPNSK_ISF_E10value_typeEPSG_NS1_7vsmem_tEENKUlT_SE_SF_SG_E_clIS8_S8_S9_S9_EESD_ST_SE_SF_SG_EUlST_E0_NS1_11comp_targetILNS1_3genE9ELNS1_11target_archE1100ELNS1_3gpuE3ELNS1_3repE0EEENS1_38merge_mergepath_config_static_selectorELNS0_4arch9wavefront6targetE0EEEvSF_
                                        ; -- End function
	.set _ZN7rocprim17ROCPRIM_400000_NS6detail17trampoline_kernelINS0_14default_configENS1_38merge_sort_block_merge_config_selectorIjNS0_10empty_typeEEEZZNS1_27merge_sort_block_merge_implIS3_PjPS5_jNS1_19radix_merge_compareILb1ELb0EjNS0_19identity_decomposerEEEEE10hipError_tT0_T1_T2_jT3_P12ihipStream_tbPNSt15iterator_traitsISE_E10value_typeEPNSK_ISF_E10value_typeEPSG_NS1_7vsmem_tEENKUlT_SE_SF_SG_E_clIS8_S8_S9_S9_EESD_ST_SE_SF_SG_EUlST_E0_NS1_11comp_targetILNS1_3genE9ELNS1_11target_archE1100ELNS1_3gpuE3ELNS1_3repE0EEENS1_38merge_mergepath_config_static_selectorELNS0_4arch9wavefront6targetE0EEEvSF_.num_vgpr, 0
	.set _ZN7rocprim17ROCPRIM_400000_NS6detail17trampoline_kernelINS0_14default_configENS1_38merge_sort_block_merge_config_selectorIjNS0_10empty_typeEEEZZNS1_27merge_sort_block_merge_implIS3_PjPS5_jNS1_19radix_merge_compareILb1ELb0EjNS0_19identity_decomposerEEEEE10hipError_tT0_T1_T2_jT3_P12ihipStream_tbPNSt15iterator_traitsISE_E10value_typeEPNSK_ISF_E10value_typeEPSG_NS1_7vsmem_tEENKUlT_SE_SF_SG_E_clIS8_S8_S9_S9_EESD_ST_SE_SF_SG_EUlST_E0_NS1_11comp_targetILNS1_3genE9ELNS1_11target_archE1100ELNS1_3gpuE3ELNS1_3repE0EEENS1_38merge_mergepath_config_static_selectorELNS0_4arch9wavefront6targetE0EEEvSF_.num_agpr, 0
	.set _ZN7rocprim17ROCPRIM_400000_NS6detail17trampoline_kernelINS0_14default_configENS1_38merge_sort_block_merge_config_selectorIjNS0_10empty_typeEEEZZNS1_27merge_sort_block_merge_implIS3_PjPS5_jNS1_19radix_merge_compareILb1ELb0EjNS0_19identity_decomposerEEEEE10hipError_tT0_T1_T2_jT3_P12ihipStream_tbPNSt15iterator_traitsISE_E10value_typeEPNSK_ISF_E10value_typeEPSG_NS1_7vsmem_tEENKUlT_SE_SF_SG_E_clIS8_S8_S9_S9_EESD_ST_SE_SF_SG_EUlST_E0_NS1_11comp_targetILNS1_3genE9ELNS1_11target_archE1100ELNS1_3gpuE3ELNS1_3repE0EEENS1_38merge_mergepath_config_static_selectorELNS0_4arch9wavefront6targetE0EEEvSF_.numbered_sgpr, 0
	.set _ZN7rocprim17ROCPRIM_400000_NS6detail17trampoline_kernelINS0_14default_configENS1_38merge_sort_block_merge_config_selectorIjNS0_10empty_typeEEEZZNS1_27merge_sort_block_merge_implIS3_PjPS5_jNS1_19radix_merge_compareILb1ELb0EjNS0_19identity_decomposerEEEEE10hipError_tT0_T1_T2_jT3_P12ihipStream_tbPNSt15iterator_traitsISE_E10value_typeEPNSK_ISF_E10value_typeEPSG_NS1_7vsmem_tEENKUlT_SE_SF_SG_E_clIS8_S8_S9_S9_EESD_ST_SE_SF_SG_EUlST_E0_NS1_11comp_targetILNS1_3genE9ELNS1_11target_archE1100ELNS1_3gpuE3ELNS1_3repE0EEENS1_38merge_mergepath_config_static_selectorELNS0_4arch9wavefront6targetE0EEEvSF_.num_named_barrier, 0
	.set _ZN7rocprim17ROCPRIM_400000_NS6detail17trampoline_kernelINS0_14default_configENS1_38merge_sort_block_merge_config_selectorIjNS0_10empty_typeEEEZZNS1_27merge_sort_block_merge_implIS3_PjPS5_jNS1_19radix_merge_compareILb1ELb0EjNS0_19identity_decomposerEEEEE10hipError_tT0_T1_T2_jT3_P12ihipStream_tbPNSt15iterator_traitsISE_E10value_typeEPNSK_ISF_E10value_typeEPSG_NS1_7vsmem_tEENKUlT_SE_SF_SG_E_clIS8_S8_S9_S9_EESD_ST_SE_SF_SG_EUlST_E0_NS1_11comp_targetILNS1_3genE9ELNS1_11target_archE1100ELNS1_3gpuE3ELNS1_3repE0EEENS1_38merge_mergepath_config_static_selectorELNS0_4arch9wavefront6targetE0EEEvSF_.private_seg_size, 0
	.set _ZN7rocprim17ROCPRIM_400000_NS6detail17trampoline_kernelINS0_14default_configENS1_38merge_sort_block_merge_config_selectorIjNS0_10empty_typeEEEZZNS1_27merge_sort_block_merge_implIS3_PjPS5_jNS1_19radix_merge_compareILb1ELb0EjNS0_19identity_decomposerEEEEE10hipError_tT0_T1_T2_jT3_P12ihipStream_tbPNSt15iterator_traitsISE_E10value_typeEPNSK_ISF_E10value_typeEPSG_NS1_7vsmem_tEENKUlT_SE_SF_SG_E_clIS8_S8_S9_S9_EESD_ST_SE_SF_SG_EUlST_E0_NS1_11comp_targetILNS1_3genE9ELNS1_11target_archE1100ELNS1_3gpuE3ELNS1_3repE0EEENS1_38merge_mergepath_config_static_selectorELNS0_4arch9wavefront6targetE0EEEvSF_.uses_vcc, 0
	.set _ZN7rocprim17ROCPRIM_400000_NS6detail17trampoline_kernelINS0_14default_configENS1_38merge_sort_block_merge_config_selectorIjNS0_10empty_typeEEEZZNS1_27merge_sort_block_merge_implIS3_PjPS5_jNS1_19radix_merge_compareILb1ELb0EjNS0_19identity_decomposerEEEEE10hipError_tT0_T1_T2_jT3_P12ihipStream_tbPNSt15iterator_traitsISE_E10value_typeEPNSK_ISF_E10value_typeEPSG_NS1_7vsmem_tEENKUlT_SE_SF_SG_E_clIS8_S8_S9_S9_EESD_ST_SE_SF_SG_EUlST_E0_NS1_11comp_targetILNS1_3genE9ELNS1_11target_archE1100ELNS1_3gpuE3ELNS1_3repE0EEENS1_38merge_mergepath_config_static_selectorELNS0_4arch9wavefront6targetE0EEEvSF_.uses_flat_scratch, 0
	.set _ZN7rocprim17ROCPRIM_400000_NS6detail17trampoline_kernelINS0_14default_configENS1_38merge_sort_block_merge_config_selectorIjNS0_10empty_typeEEEZZNS1_27merge_sort_block_merge_implIS3_PjPS5_jNS1_19radix_merge_compareILb1ELb0EjNS0_19identity_decomposerEEEEE10hipError_tT0_T1_T2_jT3_P12ihipStream_tbPNSt15iterator_traitsISE_E10value_typeEPNSK_ISF_E10value_typeEPSG_NS1_7vsmem_tEENKUlT_SE_SF_SG_E_clIS8_S8_S9_S9_EESD_ST_SE_SF_SG_EUlST_E0_NS1_11comp_targetILNS1_3genE9ELNS1_11target_archE1100ELNS1_3gpuE3ELNS1_3repE0EEENS1_38merge_mergepath_config_static_selectorELNS0_4arch9wavefront6targetE0EEEvSF_.has_dyn_sized_stack, 0
	.set _ZN7rocprim17ROCPRIM_400000_NS6detail17trampoline_kernelINS0_14default_configENS1_38merge_sort_block_merge_config_selectorIjNS0_10empty_typeEEEZZNS1_27merge_sort_block_merge_implIS3_PjPS5_jNS1_19radix_merge_compareILb1ELb0EjNS0_19identity_decomposerEEEEE10hipError_tT0_T1_T2_jT3_P12ihipStream_tbPNSt15iterator_traitsISE_E10value_typeEPNSK_ISF_E10value_typeEPSG_NS1_7vsmem_tEENKUlT_SE_SF_SG_E_clIS8_S8_S9_S9_EESD_ST_SE_SF_SG_EUlST_E0_NS1_11comp_targetILNS1_3genE9ELNS1_11target_archE1100ELNS1_3gpuE3ELNS1_3repE0EEENS1_38merge_mergepath_config_static_selectorELNS0_4arch9wavefront6targetE0EEEvSF_.has_recursion, 0
	.set _ZN7rocprim17ROCPRIM_400000_NS6detail17trampoline_kernelINS0_14default_configENS1_38merge_sort_block_merge_config_selectorIjNS0_10empty_typeEEEZZNS1_27merge_sort_block_merge_implIS3_PjPS5_jNS1_19radix_merge_compareILb1ELb0EjNS0_19identity_decomposerEEEEE10hipError_tT0_T1_T2_jT3_P12ihipStream_tbPNSt15iterator_traitsISE_E10value_typeEPNSK_ISF_E10value_typeEPSG_NS1_7vsmem_tEENKUlT_SE_SF_SG_E_clIS8_S8_S9_S9_EESD_ST_SE_SF_SG_EUlST_E0_NS1_11comp_targetILNS1_3genE9ELNS1_11target_archE1100ELNS1_3gpuE3ELNS1_3repE0EEENS1_38merge_mergepath_config_static_selectorELNS0_4arch9wavefront6targetE0EEEvSF_.has_indirect_call, 0
	.section	.AMDGPU.csdata,"",@progbits
; Kernel info:
; codeLenInByte = 0
; TotalNumSgprs: 0
; NumVgprs: 0
; ScratchSize: 0
; MemoryBound: 0
; FloatMode: 240
; IeeeMode: 1
; LDSByteSize: 0 bytes/workgroup (compile time only)
; SGPRBlocks: 0
; VGPRBlocks: 0
; NumSGPRsForWavesPerEU: 1
; NumVGPRsForWavesPerEU: 1
; NamedBarCnt: 0
; Occupancy: 16
; WaveLimiterHint : 0
; COMPUTE_PGM_RSRC2:SCRATCH_EN: 0
; COMPUTE_PGM_RSRC2:USER_SGPR: 2
; COMPUTE_PGM_RSRC2:TRAP_HANDLER: 0
; COMPUTE_PGM_RSRC2:TGID_X_EN: 1
; COMPUTE_PGM_RSRC2:TGID_Y_EN: 0
; COMPUTE_PGM_RSRC2:TGID_Z_EN: 0
; COMPUTE_PGM_RSRC2:TIDIG_COMP_CNT: 0
	.section	.text._ZN7rocprim17ROCPRIM_400000_NS6detail17trampoline_kernelINS0_14default_configENS1_38merge_sort_block_merge_config_selectorIjNS0_10empty_typeEEEZZNS1_27merge_sort_block_merge_implIS3_PjPS5_jNS1_19radix_merge_compareILb1ELb0EjNS0_19identity_decomposerEEEEE10hipError_tT0_T1_T2_jT3_P12ihipStream_tbPNSt15iterator_traitsISE_E10value_typeEPNSK_ISF_E10value_typeEPSG_NS1_7vsmem_tEENKUlT_SE_SF_SG_E_clIS8_S8_S9_S9_EESD_ST_SE_SF_SG_EUlST_E0_NS1_11comp_targetILNS1_3genE8ELNS1_11target_archE1030ELNS1_3gpuE2ELNS1_3repE0EEENS1_38merge_mergepath_config_static_selectorELNS0_4arch9wavefront6targetE0EEEvSF_,"axG",@progbits,_ZN7rocprim17ROCPRIM_400000_NS6detail17trampoline_kernelINS0_14default_configENS1_38merge_sort_block_merge_config_selectorIjNS0_10empty_typeEEEZZNS1_27merge_sort_block_merge_implIS3_PjPS5_jNS1_19radix_merge_compareILb1ELb0EjNS0_19identity_decomposerEEEEE10hipError_tT0_T1_T2_jT3_P12ihipStream_tbPNSt15iterator_traitsISE_E10value_typeEPNSK_ISF_E10value_typeEPSG_NS1_7vsmem_tEENKUlT_SE_SF_SG_E_clIS8_S8_S9_S9_EESD_ST_SE_SF_SG_EUlST_E0_NS1_11comp_targetILNS1_3genE8ELNS1_11target_archE1030ELNS1_3gpuE2ELNS1_3repE0EEENS1_38merge_mergepath_config_static_selectorELNS0_4arch9wavefront6targetE0EEEvSF_,comdat
	.protected	_ZN7rocprim17ROCPRIM_400000_NS6detail17trampoline_kernelINS0_14default_configENS1_38merge_sort_block_merge_config_selectorIjNS0_10empty_typeEEEZZNS1_27merge_sort_block_merge_implIS3_PjPS5_jNS1_19radix_merge_compareILb1ELb0EjNS0_19identity_decomposerEEEEE10hipError_tT0_T1_T2_jT3_P12ihipStream_tbPNSt15iterator_traitsISE_E10value_typeEPNSK_ISF_E10value_typeEPSG_NS1_7vsmem_tEENKUlT_SE_SF_SG_E_clIS8_S8_S9_S9_EESD_ST_SE_SF_SG_EUlST_E0_NS1_11comp_targetILNS1_3genE8ELNS1_11target_archE1030ELNS1_3gpuE2ELNS1_3repE0EEENS1_38merge_mergepath_config_static_selectorELNS0_4arch9wavefront6targetE0EEEvSF_ ; -- Begin function _ZN7rocprim17ROCPRIM_400000_NS6detail17trampoline_kernelINS0_14default_configENS1_38merge_sort_block_merge_config_selectorIjNS0_10empty_typeEEEZZNS1_27merge_sort_block_merge_implIS3_PjPS5_jNS1_19radix_merge_compareILb1ELb0EjNS0_19identity_decomposerEEEEE10hipError_tT0_T1_T2_jT3_P12ihipStream_tbPNSt15iterator_traitsISE_E10value_typeEPNSK_ISF_E10value_typeEPSG_NS1_7vsmem_tEENKUlT_SE_SF_SG_E_clIS8_S8_S9_S9_EESD_ST_SE_SF_SG_EUlST_E0_NS1_11comp_targetILNS1_3genE8ELNS1_11target_archE1030ELNS1_3gpuE2ELNS1_3repE0EEENS1_38merge_mergepath_config_static_selectorELNS0_4arch9wavefront6targetE0EEEvSF_
	.globl	_ZN7rocprim17ROCPRIM_400000_NS6detail17trampoline_kernelINS0_14default_configENS1_38merge_sort_block_merge_config_selectorIjNS0_10empty_typeEEEZZNS1_27merge_sort_block_merge_implIS3_PjPS5_jNS1_19radix_merge_compareILb1ELb0EjNS0_19identity_decomposerEEEEE10hipError_tT0_T1_T2_jT3_P12ihipStream_tbPNSt15iterator_traitsISE_E10value_typeEPNSK_ISF_E10value_typeEPSG_NS1_7vsmem_tEENKUlT_SE_SF_SG_E_clIS8_S8_S9_S9_EESD_ST_SE_SF_SG_EUlST_E0_NS1_11comp_targetILNS1_3genE8ELNS1_11target_archE1030ELNS1_3gpuE2ELNS1_3repE0EEENS1_38merge_mergepath_config_static_selectorELNS0_4arch9wavefront6targetE0EEEvSF_
	.p2align	8
	.type	_ZN7rocprim17ROCPRIM_400000_NS6detail17trampoline_kernelINS0_14default_configENS1_38merge_sort_block_merge_config_selectorIjNS0_10empty_typeEEEZZNS1_27merge_sort_block_merge_implIS3_PjPS5_jNS1_19radix_merge_compareILb1ELb0EjNS0_19identity_decomposerEEEEE10hipError_tT0_T1_T2_jT3_P12ihipStream_tbPNSt15iterator_traitsISE_E10value_typeEPNSK_ISF_E10value_typeEPSG_NS1_7vsmem_tEENKUlT_SE_SF_SG_E_clIS8_S8_S9_S9_EESD_ST_SE_SF_SG_EUlST_E0_NS1_11comp_targetILNS1_3genE8ELNS1_11target_archE1030ELNS1_3gpuE2ELNS1_3repE0EEENS1_38merge_mergepath_config_static_selectorELNS0_4arch9wavefront6targetE0EEEvSF_,@function
_ZN7rocprim17ROCPRIM_400000_NS6detail17trampoline_kernelINS0_14default_configENS1_38merge_sort_block_merge_config_selectorIjNS0_10empty_typeEEEZZNS1_27merge_sort_block_merge_implIS3_PjPS5_jNS1_19radix_merge_compareILb1ELb0EjNS0_19identity_decomposerEEEEE10hipError_tT0_T1_T2_jT3_P12ihipStream_tbPNSt15iterator_traitsISE_E10value_typeEPNSK_ISF_E10value_typeEPSG_NS1_7vsmem_tEENKUlT_SE_SF_SG_E_clIS8_S8_S9_S9_EESD_ST_SE_SF_SG_EUlST_E0_NS1_11comp_targetILNS1_3genE8ELNS1_11target_archE1030ELNS1_3gpuE2ELNS1_3repE0EEENS1_38merge_mergepath_config_static_selectorELNS0_4arch9wavefront6targetE0EEEvSF_: ; @_ZN7rocprim17ROCPRIM_400000_NS6detail17trampoline_kernelINS0_14default_configENS1_38merge_sort_block_merge_config_selectorIjNS0_10empty_typeEEEZZNS1_27merge_sort_block_merge_implIS3_PjPS5_jNS1_19radix_merge_compareILb1ELb0EjNS0_19identity_decomposerEEEEE10hipError_tT0_T1_T2_jT3_P12ihipStream_tbPNSt15iterator_traitsISE_E10value_typeEPNSK_ISF_E10value_typeEPSG_NS1_7vsmem_tEENKUlT_SE_SF_SG_E_clIS8_S8_S9_S9_EESD_ST_SE_SF_SG_EUlST_E0_NS1_11comp_targetILNS1_3genE8ELNS1_11target_archE1030ELNS1_3gpuE2ELNS1_3repE0EEENS1_38merge_mergepath_config_static_selectorELNS0_4arch9wavefront6targetE0EEEvSF_
; %bb.0:
	.section	.rodata,"a",@progbits
	.p2align	6, 0x0
	.amdhsa_kernel _ZN7rocprim17ROCPRIM_400000_NS6detail17trampoline_kernelINS0_14default_configENS1_38merge_sort_block_merge_config_selectorIjNS0_10empty_typeEEEZZNS1_27merge_sort_block_merge_implIS3_PjPS5_jNS1_19radix_merge_compareILb1ELb0EjNS0_19identity_decomposerEEEEE10hipError_tT0_T1_T2_jT3_P12ihipStream_tbPNSt15iterator_traitsISE_E10value_typeEPNSK_ISF_E10value_typeEPSG_NS1_7vsmem_tEENKUlT_SE_SF_SG_E_clIS8_S8_S9_S9_EESD_ST_SE_SF_SG_EUlST_E0_NS1_11comp_targetILNS1_3genE8ELNS1_11target_archE1030ELNS1_3gpuE2ELNS1_3repE0EEENS1_38merge_mergepath_config_static_selectorELNS0_4arch9wavefront6targetE0EEEvSF_
		.amdhsa_group_segment_fixed_size 0
		.amdhsa_private_segment_fixed_size 0
		.amdhsa_kernarg_size 64
		.amdhsa_user_sgpr_count 2
		.amdhsa_user_sgpr_dispatch_ptr 0
		.amdhsa_user_sgpr_queue_ptr 0
		.amdhsa_user_sgpr_kernarg_segment_ptr 1
		.amdhsa_user_sgpr_dispatch_id 0
		.amdhsa_user_sgpr_kernarg_preload_length 0
		.amdhsa_user_sgpr_kernarg_preload_offset 0
		.amdhsa_user_sgpr_private_segment_size 0
		.amdhsa_wavefront_size32 1
		.amdhsa_uses_dynamic_stack 0
		.amdhsa_enable_private_segment 0
		.amdhsa_system_sgpr_workgroup_id_x 1
		.amdhsa_system_sgpr_workgroup_id_y 0
		.amdhsa_system_sgpr_workgroup_id_z 0
		.amdhsa_system_sgpr_workgroup_info 0
		.amdhsa_system_vgpr_workitem_id 0
		.amdhsa_next_free_vgpr 1
		.amdhsa_next_free_sgpr 1
		.amdhsa_named_barrier_count 0
		.amdhsa_reserve_vcc 0
		.amdhsa_float_round_mode_32 0
		.amdhsa_float_round_mode_16_64 0
		.amdhsa_float_denorm_mode_32 3
		.amdhsa_float_denorm_mode_16_64 3
		.amdhsa_fp16_overflow 0
		.amdhsa_memory_ordered 1
		.amdhsa_forward_progress 1
		.amdhsa_inst_pref_size 0
		.amdhsa_round_robin_scheduling 0
		.amdhsa_exception_fp_ieee_invalid_op 0
		.amdhsa_exception_fp_denorm_src 0
		.amdhsa_exception_fp_ieee_div_zero 0
		.amdhsa_exception_fp_ieee_overflow 0
		.amdhsa_exception_fp_ieee_underflow 0
		.amdhsa_exception_fp_ieee_inexact 0
		.amdhsa_exception_int_div_zero 0
	.end_amdhsa_kernel
	.section	.text._ZN7rocprim17ROCPRIM_400000_NS6detail17trampoline_kernelINS0_14default_configENS1_38merge_sort_block_merge_config_selectorIjNS0_10empty_typeEEEZZNS1_27merge_sort_block_merge_implIS3_PjPS5_jNS1_19radix_merge_compareILb1ELb0EjNS0_19identity_decomposerEEEEE10hipError_tT0_T1_T2_jT3_P12ihipStream_tbPNSt15iterator_traitsISE_E10value_typeEPNSK_ISF_E10value_typeEPSG_NS1_7vsmem_tEENKUlT_SE_SF_SG_E_clIS8_S8_S9_S9_EESD_ST_SE_SF_SG_EUlST_E0_NS1_11comp_targetILNS1_3genE8ELNS1_11target_archE1030ELNS1_3gpuE2ELNS1_3repE0EEENS1_38merge_mergepath_config_static_selectorELNS0_4arch9wavefront6targetE0EEEvSF_,"axG",@progbits,_ZN7rocprim17ROCPRIM_400000_NS6detail17trampoline_kernelINS0_14default_configENS1_38merge_sort_block_merge_config_selectorIjNS0_10empty_typeEEEZZNS1_27merge_sort_block_merge_implIS3_PjPS5_jNS1_19radix_merge_compareILb1ELb0EjNS0_19identity_decomposerEEEEE10hipError_tT0_T1_T2_jT3_P12ihipStream_tbPNSt15iterator_traitsISE_E10value_typeEPNSK_ISF_E10value_typeEPSG_NS1_7vsmem_tEENKUlT_SE_SF_SG_E_clIS8_S8_S9_S9_EESD_ST_SE_SF_SG_EUlST_E0_NS1_11comp_targetILNS1_3genE8ELNS1_11target_archE1030ELNS1_3gpuE2ELNS1_3repE0EEENS1_38merge_mergepath_config_static_selectorELNS0_4arch9wavefront6targetE0EEEvSF_,comdat
.Lfunc_end2566:
	.size	_ZN7rocprim17ROCPRIM_400000_NS6detail17trampoline_kernelINS0_14default_configENS1_38merge_sort_block_merge_config_selectorIjNS0_10empty_typeEEEZZNS1_27merge_sort_block_merge_implIS3_PjPS5_jNS1_19radix_merge_compareILb1ELb0EjNS0_19identity_decomposerEEEEE10hipError_tT0_T1_T2_jT3_P12ihipStream_tbPNSt15iterator_traitsISE_E10value_typeEPNSK_ISF_E10value_typeEPSG_NS1_7vsmem_tEENKUlT_SE_SF_SG_E_clIS8_S8_S9_S9_EESD_ST_SE_SF_SG_EUlST_E0_NS1_11comp_targetILNS1_3genE8ELNS1_11target_archE1030ELNS1_3gpuE2ELNS1_3repE0EEENS1_38merge_mergepath_config_static_selectorELNS0_4arch9wavefront6targetE0EEEvSF_, .Lfunc_end2566-_ZN7rocprim17ROCPRIM_400000_NS6detail17trampoline_kernelINS0_14default_configENS1_38merge_sort_block_merge_config_selectorIjNS0_10empty_typeEEEZZNS1_27merge_sort_block_merge_implIS3_PjPS5_jNS1_19radix_merge_compareILb1ELb0EjNS0_19identity_decomposerEEEEE10hipError_tT0_T1_T2_jT3_P12ihipStream_tbPNSt15iterator_traitsISE_E10value_typeEPNSK_ISF_E10value_typeEPSG_NS1_7vsmem_tEENKUlT_SE_SF_SG_E_clIS8_S8_S9_S9_EESD_ST_SE_SF_SG_EUlST_E0_NS1_11comp_targetILNS1_3genE8ELNS1_11target_archE1030ELNS1_3gpuE2ELNS1_3repE0EEENS1_38merge_mergepath_config_static_selectorELNS0_4arch9wavefront6targetE0EEEvSF_
                                        ; -- End function
	.set _ZN7rocprim17ROCPRIM_400000_NS6detail17trampoline_kernelINS0_14default_configENS1_38merge_sort_block_merge_config_selectorIjNS0_10empty_typeEEEZZNS1_27merge_sort_block_merge_implIS3_PjPS5_jNS1_19radix_merge_compareILb1ELb0EjNS0_19identity_decomposerEEEEE10hipError_tT0_T1_T2_jT3_P12ihipStream_tbPNSt15iterator_traitsISE_E10value_typeEPNSK_ISF_E10value_typeEPSG_NS1_7vsmem_tEENKUlT_SE_SF_SG_E_clIS8_S8_S9_S9_EESD_ST_SE_SF_SG_EUlST_E0_NS1_11comp_targetILNS1_3genE8ELNS1_11target_archE1030ELNS1_3gpuE2ELNS1_3repE0EEENS1_38merge_mergepath_config_static_selectorELNS0_4arch9wavefront6targetE0EEEvSF_.num_vgpr, 0
	.set _ZN7rocprim17ROCPRIM_400000_NS6detail17trampoline_kernelINS0_14default_configENS1_38merge_sort_block_merge_config_selectorIjNS0_10empty_typeEEEZZNS1_27merge_sort_block_merge_implIS3_PjPS5_jNS1_19radix_merge_compareILb1ELb0EjNS0_19identity_decomposerEEEEE10hipError_tT0_T1_T2_jT3_P12ihipStream_tbPNSt15iterator_traitsISE_E10value_typeEPNSK_ISF_E10value_typeEPSG_NS1_7vsmem_tEENKUlT_SE_SF_SG_E_clIS8_S8_S9_S9_EESD_ST_SE_SF_SG_EUlST_E0_NS1_11comp_targetILNS1_3genE8ELNS1_11target_archE1030ELNS1_3gpuE2ELNS1_3repE0EEENS1_38merge_mergepath_config_static_selectorELNS0_4arch9wavefront6targetE0EEEvSF_.num_agpr, 0
	.set _ZN7rocprim17ROCPRIM_400000_NS6detail17trampoline_kernelINS0_14default_configENS1_38merge_sort_block_merge_config_selectorIjNS0_10empty_typeEEEZZNS1_27merge_sort_block_merge_implIS3_PjPS5_jNS1_19radix_merge_compareILb1ELb0EjNS0_19identity_decomposerEEEEE10hipError_tT0_T1_T2_jT3_P12ihipStream_tbPNSt15iterator_traitsISE_E10value_typeEPNSK_ISF_E10value_typeEPSG_NS1_7vsmem_tEENKUlT_SE_SF_SG_E_clIS8_S8_S9_S9_EESD_ST_SE_SF_SG_EUlST_E0_NS1_11comp_targetILNS1_3genE8ELNS1_11target_archE1030ELNS1_3gpuE2ELNS1_3repE0EEENS1_38merge_mergepath_config_static_selectorELNS0_4arch9wavefront6targetE0EEEvSF_.numbered_sgpr, 0
	.set _ZN7rocprim17ROCPRIM_400000_NS6detail17trampoline_kernelINS0_14default_configENS1_38merge_sort_block_merge_config_selectorIjNS0_10empty_typeEEEZZNS1_27merge_sort_block_merge_implIS3_PjPS5_jNS1_19radix_merge_compareILb1ELb0EjNS0_19identity_decomposerEEEEE10hipError_tT0_T1_T2_jT3_P12ihipStream_tbPNSt15iterator_traitsISE_E10value_typeEPNSK_ISF_E10value_typeEPSG_NS1_7vsmem_tEENKUlT_SE_SF_SG_E_clIS8_S8_S9_S9_EESD_ST_SE_SF_SG_EUlST_E0_NS1_11comp_targetILNS1_3genE8ELNS1_11target_archE1030ELNS1_3gpuE2ELNS1_3repE0EEENS1_38merge_mergepath_config_static_selectorELNS0_4arch9wavefront6targetE0EEEvSF_.num_named_barrier, 0
	.set _ZN7rocprim17ROCPRIM_400000_NS6detail17trampoline_kernelINS0_14default_configENS1_38merge_sort_block_merge_config_selectorIjNS0_10empty_typeEEEZZNS1_27merge_sort_block_merge_implIS3_PjPS5_jNS1_19radix_merge_compareILb1ELb0EjNS0_19identity_decomposerEEEEE10hipError_tT0_T1_T2_jT3_P12ihipStream_tbPNSt15iterator_traitsISE_E10value_typeEPNSK_ISF_E10value_typeEPSG_NS1_7vsmem_tEENKUlT_SE_SF_SG_E_clIS8_S8_S9_S9_EESD_ST_SE_SF_SG_EUlST_E0_NS1_11comp_targetILNS1_3genE8ELNS1_11target_archE1030ELNS1_3gpuE2ELNS1_3repE0EEENS1_38merge_mergepath_config_static_selectorELNS0_4arch9wavefront6targetE0EEEvSF_.private_seg_size, 0
	.set _ZN7rocprim17ROCPRIM_400000_NS6detail17trampoline_kernelINS0_14default_configENS1_38merge_sort_block_merge_config_selectorIjNS0_10empty_typeEEEZZNS1_27merge_sort_block_merge_implIS3_PjPS5_jNS1_19radix_merge_compareILb1ELb0EjNS0_19identity_decomposerEEEEE10hipError_tT0_T1_T2_jT3_P12ihipStream_tbPNSt15iterator_traitsISE_E10value_typeEPNSK_ISF_E10value_typeEPSG_NS1_7vsmem_tEENKUlT_SE_SF_SG_E_clIS8_S8_S9_S9_EESD_ST_SE_SF_SG_EUlST_E0_NS1_11comp_targetILNS1_3genE8ELNS1_11target_archE1030ELNS1_3gpuE2ELNS1_3repE0EEENS1_38merge_mergepath_config_static_selectorELNS0_4arch9wavefront6targetE0EEEvSF_.uses_vcc, 0
	.set _ZN7rocprim17ROCPRIM_400000_NS6detail17trampoline_kernelINS0_14default_configENS1_38merge_sort_block_merge_config_selectorIjNS0_10empty_typeEEEZZNS1_27merge_sort_block_merge_implIS3_PjPS5_jNS1_19radix_merge_compareILb1ELb0EjNS0_19identity_decomposerEEEEE10hipError_tT0_T1_T2_jT3_P12ihipStream_tbPNSt15iterator_traitsISE_E10value_typeEPNSK_ISF_E10value_typeEPSG_NS1_7vsmem_tEENKUlT_SE_SF_SG_E_clIS8_S8_S9_S9_EESD_ST_SE_SF_SG_EUlST_E0_NS1_11comp_targetILNS1_3genE8ELNS1_11target_archE1030ELNS1_3gpuE2ELNS1_3repE0EEENS1_38merge_mergepath_config_static_selectorELNS0_4arch9wavefront6targetE0EEEvSF_.uses_flat_scratch, 0
	.set _ZN7rocprim17ROCPRIM_400000_NS6detail17trampoline_kernelINS0_14default_configENS1_38merge_sort_block_merge_config_selectorIjNS0_10empty_typeEEEZZNS1_27merge_sort_block_merge_implIS3_PjPS5_jNS1_19radix_merge_compareILb1ELb0EjNS0_19identity_decomposerEEEEE10hipError_tT0_T1_T2_jT3_P12ihipStream_tbPNSt15iterator_traitsISE_E10value_typeEPNSK_ISF_E10value_typeEPSG_NS1_7vsmem_tEENKUlT_SE_SF_SG_E_clIS8_S8_S9_S9_EESD_ST_SE_SF_SG_EUlST_E0_NS1_11comp_targetILNS1_3genE8ELNS1_11target_archE1030ELNS1_3gpuE2ELNS1_3repE0EEENS1_38merge_mergepath_config_static_selectorELNS0_4arch9wavefront6targetE0EEEvSF_.has_dyn_sized_stack, 0
	.set _ZN7rocprim17ROCPRIM_400000_NS6detail17trampoline_kernelINS0_14default_configENS1_38merge_sort_block_merge_config_selectorIjNS0_10empty_typeEEEZZNS1_27merge_sort_block_merge_implIS3_PjPS5_jNS1_19radix_merge_compareILb1ELb0EjNS0_19identity_decomposerEEEEE10hipError_tT0_T1_T2_jT3_P12ihipStream_tbPNSt15iterator_traitsISE_E10value_typeEPNSK_ISF_E10value_typeEPSG_NS1_7vsmem_tEENKUlT_SE_SF_SG_E_clIS8_S8_S9_S9_EESD_ST_SE_SF_SG_EUlST_E0_NS1_11comp_targetILNS1_3genE8ELNS1_11target_archE1030ELNS1_3gpuE2ELNS1_3repE0EEENS1_38merge_mergepath_config_static_selectorELNS0_4arch9wavefront6targetE0EEEvSF_.has_recursion, 0
	.set _ZN7rocprim17ROCPRIM_400000_NS6detail17trampoline_kernelINS0_14default_configENS1_38merge_sort_block_merge_config_selectorIjNS0_10empty_typeEEEZZNS1_27merge_sort_block_merge_implIS3_PjPS5_jNS1_19radix_merge_compareILb1ELb0EjNS0_19identity_decomposerEEEEE10hipError_tT0_T1_T2_jT3_P12ihipStream_tbPNSt15iterator_traitsISE_E10value_typeEPNSK_ISF_E10value_typeEPSG_NS1_7vsmem_tEENKUlT_SE_SF_SG_E_clIS8_S8_S9_S9_EESD_ST_SE_SF_SG_EUlST_E0_NS1_11comp_targetILNS1_3genE8ELNS1_11target_archE1030ELNS1_3gpuE2ELNS1_3repE0EEENS1_38merge_mergepath_config_static_selectorELNS0_4arch9wavefront6targetE0EEEvSF_.has_indirect_call, 0
	.section	.AMDGPU.csdata,"",@progbits
; Kernel info:
; codeLenInByte = 0
; TotalNumSgprs: 0
; NumVgprs: 0
; ScratchSize: 0
; MemoryBound: 0
; FloatMode: 240
; IeeeMode: 1
; LDSByteSize: 0 bytes/workgroup (compile time only)
; SGPRBlocks: 0
; VGPRBlocks: 0
; NumSGPRsForWavesPerEU: 1
; NumVGPRsForWavesPerEU: 1
; NamedBarCnt: 0
; Occupancy: 16
; WaveLimiterHint : 0
; COMPUTE_PGM_RSRC2:SCRATCH_EN: 0
; COMPUTE_PGM_RSRC2:USER_SGPR: 2
; COMPUTE_PGM_RSRC2:TRAP_HANDLER: 0
; COMPUTE_PGM_RSRC2:TGID_X_EN: 1
; COMPUTE_PGM_RSRC2:TGID_Y_EN: 0
; COMPUTE_PGM_RSRC2:TGID_Z_EN: 0
; COMPUTE_PGM_RSRC2:TIDIG_COMP_CNT: 0
	.section	.text._ZN7rocprim17ROCPRIM_400000_NS6detail17trampoline_kernelINS0_14default_configENS1_38merge_sort_block_merge_config_selectorIjNS0_10empty_typeEEEZZNS1_27merge_sort_block_merge_implIS3_PjPS5_jNS1_19radix_merge_compareILb1ELb0EjNS0_19identity_decomposerEEEEE10hipError_tT0_T1_T2_jT3_P12ihipStream_tbPNSt15iterator_traitsISE_E10value_typeEPNSK_ISF_E10value_typeEPSG_NS1_7vsmem_tEENKUlT_SE_SF_SG_E_clIS8_S8_S9_S9_EESD_ST_SE_SF_SG_EUlST_E1_NS1_11comp_targetILNS1_3genE0ELNS1_11target_archE4294967295ELNS1_3gpuE0ELNS1_3repE0EEENS1_36merge_oddeven_config_static_selectorELNS0_4arch9wavefront6targetE0EEEvSF_,"axG",@progbits,_ZN7rocprim17ROCPRIM_400000_NS6detail17trampoline_kernelINS0_14default_configENS1_38merge_sort_block_merge_config_selectorIjNS0_10empty_typeEEEZZNS1_27merge_sort_block_merge_implIS3_PjPS5_jNS1_19radix_merge_compareILb1ELb0EjNS0_19identity_decomposerEEEEE10hipError_tT0_T1_T2_jT3_P12ihipStream_tbPNSt15iterator_traitsISE_E10value_typeEPNSK_ISF_E10value_typeEPSG_NS1_7vsmem_tEENKUlT_SE_SF_SG_E_clIS8_S8_S9_S9_EESD_ST_SE_SF_SG_EUlST_E1_NS1_11comp_targetILNS1_3genE0ELNS1_11target_archE4294967295ELNS1_3gpuE0ELNS1_3repE0EEENS1_36merge_oddeven_config_static_selectorELNS0_4arch9wavefront6targetE0EEEvSF_,comdat
	.protected	_ZN7rocprim17ROCPRIM_400000_NS6detail17trampoline_kernelINS0_14default_configENS1_38merge_sort_block_merge_config_selectorIjNS0_10empty_typeEEEZZNS1_27merge_sort_block_merge_implIS3_PjPS5_jNS1_19radix_merge_compareILb1ELb0EjNS0_19identity_decomposerEEEEE10hipError_tT0_T1_T2_jT3_P12ihipStream_tbPNSt15iterator_traitsISE_E10value_typeEPNSK_ISF_E10value_typeEPSG_NS1_7vsmem_tEENKUlT_SE_SF_SG_E_clIS8_S8_S9_S9_EESD_ST_SE_SF_SG_EUlST_E1_NS1_11comp_targetILNS1_3genE0ELNS1_11target_archE4294967295ELNS1_3gpuE0ELNS1_3repE0EEENS1_36merge_oddeven_config_static_selectorELNS0_4arch9wavefront6targetE0EEEvSF_ ; -- Begin function _ZN7rocprim17ROCPRIM_400000_NS6detail17trampoline_kernelINS0_14default_configENS1_38merge_sort_block_merge_config_selectorIjNS0_10empty_typeEEEZZNS1_27merge_sort_block_merge_implIS3_PjPS5_jNS1_19radix_merge_compareILb1ELb0EjNS0_19identity_decomposerEEEEE10hipError_tT0_T1_T2_jT3_P12ihipStream_tbPNSt15iterator_traitsISE_E10value_typeEPNSK_ISF_E10value_typeEPSG_NS1_7vsmem_tEENKUlT_SE_SF_SG_E_clIS8_S8_S9_S9_EESD_ST_SE_SF_SG_EUlST_E1_NS1_11comp_targetILNS1_3genE0ELNS1_11target_archE4294967295ELNS1_3gpuE0ELNS1_3repE0EEENS1_36merge_oddeven_config_static_selectorELNS0_4arch9wavefront6targetE0EEEvSF_
	.globl	_ZN7rocprim17ROCPRIM_400000_NS6detail17trampoline_kernelINS0_14default_configENS1_38merge_sort_block_merge_config_selectorIjNS0_10empty_typeEEEZZNS1_27merge_sort_block_merge_implIS3_PjPS5_jNS1_19radix_merge_compareILb1ELb0EjNS0_19identity_decomposerEEEEE10hipError_tT0_T1_T2_jT3_P12ihipStream_tbPNSt15iterator_traitsISE_E10value_typeEPNSK_ISF_E10value_typeEPSG_NS1_7vsmem_tEENKUlT_SE_SF_SG_E_clIS8_S8_S9_S9_EESD_ST_SE_SF_SG_EUlST_E1_NS1_11comp_targetILNS1_3genE0ELNS1_11target_archE4294967295ELNS1_3gpuE0ELNS1_3repE0EEENS1_36merge_oddeven_config_static_selectorELNS0_4arch9wavefront6targetE0EEEvSF_
	.p2align	8
	.type	_ZN7rocprim17ROCPRIM_400000_NS6detail17trampoline_kernelINS0_14default_configENS1_38merge_sort_block_merge_config_selectorIjNS0_10empty_typeEEEZZNS1_27merge_sort_block_merge_implIS3_PjPS5_jNS1_19radix_merge_compareILb1ELb0EjNS0_19identity_decomposerEEEEE10hipError_tT0_T1_T2_jT3_P12ihipStream_tbPNSt15iterator_traitsISE_E10value_typeEPNSK_ISF_E10value_typeEPSG_NS1_7vsmem_tEENKUlT_SE_SF_SG_E_clIS8_S8_S9_S9_EESD_ST_SE_SF_SG_EUlST_E1_NS1_11comp_targetILNS1_3genE0ELNS1_11target_archE4294967295ELNS1_3gpuE0ELNS1_3repE0EEENS1_36merge_oddeven_config_static_selectorELNS0_4arch9wavefront6targetE0EEEvSF_,@function
_ZN7rocprim17ROCPRIM_400000_NS6detail17trampoline_kernelINS0_14default_configENS1_38merge_sort_block_merge_config_selectorIjNS0_10empty_typeEEEZZNS1_27merge_sort_block_merge_implIS3_PjPS5_jNS1_19radix_merge_compareILb1ELb0EjNS0_19identity_decomposerEEEEE10hipError_tT0_T1_T2_jT3_P12ihipStream_tbPNSt15iterator_traitsISE_E10value_typeEPNSK_ISF_E10value_typeEPSG_NS1_7vsmem_tEENKUlT_SE_SF_SG_E_clIS8_S8_S9_S9_EESD_ST_SE_SF_SG_EUlST_E1_NS1_11comp_targetILNS1_3genE0ELNS1_11target_archE4294967295ELNS1_3gpuE0ELNS1_3repE0EEENS1_36merge_oddeven_config_static_selectorELNS0_4arch9wavefront6targetE0EEEvSF_: ; @_ZN7rocprim17ROCPRIM_400000_NS6detail17trampoline_kernelINS0_14default_configENS1_38merge_sort_block_merge_config_selectorIjNS0_10empty_typeEEEZZNS1_27merge_sort_block_merge_implIS3_PjPS5_jNS1_19radix_merge_compareILb1ELb0EjNS0_19identity_decomposerEEEEE10hipError_tT0_T1_T2_jT3_P12ihipStream_tbPNSt15iterator_traitsISE_E10value_typeEPNSK_ISF_E10value_typeEPSG_NS1_7vsmem_tEENKUlT_SE_SF_SG_E_clIS8_S8_S9_S9_EESD_ST_SE_SF_SG_EUlST_E1_NS1_11comp_targetILNS1_3genE0ELNS1_11target_archE4294967295ELNS1_3gpuE0ELNS1_3repE0EEENS1_36merge_oddeven_config_static_selectorELNS0_4arch9wavefront6targetE0EEEvSF_
; %bb.0:
	s_load_b32 s10, s[0:1], 0x20
	s_bfe_u32 s2, ttmp6, 0x4000c
	s_and_b32 s3, ttmp6, 15
	s_add_co_i32 s2, s2, 1
	s_getreg_b32 s4, hwreg(HW_REG_IB_STS2, 6, 4)
	s_mul_i32 s2, ttmp9, s2
	s_mov_b32 s9, 0
	s_add_co_i32 s3, s3, s2
	s_cmp_eq_u32 s4, 0
	s_cselect_b32 s13, ttmp9, s3
	s_wait_kmcnt 0x0
	s_lshr_b32 s2, s10, 8
	s_delay_alu instid0(SALU_CYCLE_1) | instskip(SKIP_4) | instid1(SALU_CYCLE_1)
	s_cmp_lg_u32 s13, s2
	s_cselect_b32 s3, -1, 0
	s_cmp_eq_u32 s13, s2
	s_cselect_b32 s11, -1, 0
	s_lshl_b32 s8, s13, 8
	s_sub_co_i32 s2, s10, s8
	s_delay_alu instid0(SALU_CYCLE_1) | instskip(SKIP_1) | instid1(SALU_CYCLE_1)
	v_cmp_gt_u32_e64 s2, s2, v0
	s_or_b32 s4, s3, s2
	s_and_saveexec_b32 s5, s4
	s_cbranch_execz .LBB2567_20
; %bb.1:
	s_clause 0x1
	s_load_b128 s[4:7], s[0:1], 0x0
	s_load_b32 s12, s[0:1], 0x24
	s_lshl_b64 s[14:15], s[8:9], 2
	v_add_nc_u32_e32 v2, s8, v0
	s_wait_kmcnt 0x0
	s_add_nc_u64 s[0:1], s[4:5], s[14:15]
	global_load_b32 v1, v0, s[0:1] scale_offset
	s_wait_xcnt 0x0
	s_lshr_b32 s0, s12, 8
	s_delay_alu instid0(SALU_CYCLE_1) | instskip(NEXT) | instid1(SALU_CYCLE_1)
	s_sub_co_i32 s1, 0, s0
	s_and_b32 s1, s13, s1
	s_delay_alu instid0(SALU_CYCLE_1) | instskip(SKIP_4) | instid1(SALU_CYCLE_1)
	s_and_b32 s0, s1, s0
	s_lshl_b32 s13, s1, 8
	s_sub_co_i32 s1, 0, s12
	s_cmp_eq_u32 s0, 0
	s_cselect_b32 s0, -1, 0
	s_and_b32 s14, s0, exec_lo
	s_cselect_b32 s1, s12, s1
	s_delay_alu instid0(SALU_CYCLE_1) | instskip(NEXT) | instid1(SALU_CYCLE_1)
	s_add_co_i32 s1, s1, s13
	s_cmp_gt_u32 s10, s1
	s_cbranch_scc1 .LBB2567_3
; %bb.2:
	v_cmp_gt_u32_e32 vcc_lo, s10, v2
	s_or_b32 s8, vcc_lo, s3
	s_delay_alu instid0(SALU_CYCLE_1)
	s_and_b32 s9, s8, exec_lo
	s_cbranch_execz .LBB2567_4
	s_branch .LBB2567_18
.LBB2567_3:
.LBB2567_4:
	s_min_u32 s3, s1, s10
	s_and_b32 vcc_lo, exec_lo, s11
	s_add_co_i32 s8, s13, s3
	s_add_co_i32 s12, s3, s12
	v_subrev_nc_u32_e32 v0, s8, v2
	s_min_u32 s8, s13, s3
	s_delay_alu instid0(VALU_DEP_1) | instid1(SALU_CYCLE_1)
	v_add_nc_u32_e32 v0, s8, v0
	s_min_u32 s8, s12, s10
	s_cbranch_vccz .LBB2567_12
; %bb.5:
                                        ; implicit-def: $vgpr2
	s_and_saveexec_b32 s10, s2
	s_cbranch_execz .LBB2567_11
; %bb.6:
	v_mov_b32_e32 v2, s3
	s_cmp_ge_u32 s1, s8
	s_cbranch_scc1 .LBB2567_10
; %bb.7:
	v_dual_mov_b32 v3, s8 :: v_dual_mov_b32 v2, s3
	s_mov_b32 s2, 0
.LBB2567_8:                             ; =>This Inner Loop Header: Depth=1
	s_delay_alu instid0(VALU_DEP_1) | instskip(NEXT) | instid1(VALU_DEP_1)
	v_add_nc_u32_e32 v4, v2, v3
	v_lshrrev_b32_e32 v4, 1, v4
	global_load_b32 v5, v4, s[4:5] scale_offset
	s_wait_loadcnt 0x0
	v_cmp_gt_u32_e32 vcc_lo, v5, v1
	v_cndmask_b32_e64 v6, 0, 1, vcc_lo
	v_cmp_le_u32_e32 vcc_lo, v1, v5
	v_cndmask_b32_e64 v5, 0, 1, vcc_lo
	s_delay_alu instid0(VALU_DEP_1) | instskip(NEXT) | instid1(VALU_DEP_1)
	v_cndmask_b32_e64 v5, v5, v6, s0
	v_and_b32_e32 v5, 1, v5
	s_delay_alu instid0(VALU_DEP_1) | instskip(SKIP_1) | instid1(VALU_DEP_1)
	v_cmp_eq_u32_e32 vcc_lo, 1, v5
	v_dual_cndmask_b32 v3, v4, v3 :: v_dual_add_nc_u32 v6, 1, v4
	v_cndmask_b32_e32 v2, v2, v6, vcc_lo
	s_delay_alu instid0(VALU_DEP_1) | instskip(SKIP_1) | instid1(SALU_CYCLE_1)
	v_cmp_ge_u32_e32 vcc_lo, v2, v3
	s_or_b32 s2, vcc_lo, s2
	s_and_not1_b32 exec_lo, exec_lo, s2
	s_cbranch_execnz .LBB2567_8
; %bb.9:
	s_or_b32 exec_lo, exec_lo, s2
.LBB2567_10:
	s_delay_alu instid0(VALU_DEP_1)
	v_add_nc_u32_e32 v2, v2, v0
	s_or_b32 s9, s9, exec_lo
.LBB2567_11:
	s_or_b32 exec_lo, exec_lo, s10
	s_branch .LBB2567_18
.LBB2567_12:
                                        ; implicit-def: $vgpr2
	s_cbranch_execz .LBB2567_18
; %bb.13:
	v_mov_b32_e32 v2, s3
	s_cmp_ge_u32 s1, s8
	s_cbranch_scc1 .LBB2567_17
; %bb.14:
	v_dual_mov_b32 v3, s8 :: v_dual_mov_b32 v2, s3
	s_mov_b32 s1, 0
.LBB2567_15:                            ; =>This Inner Loop Header: Depth=1
	s_delay_alu instid0(VALU_DEP_1) | instskip(NEXT) | instid1(VALU_DEP_1)
	v_add_nc_u32_e32 v4, v2, v3
	v_lshrrev_b32_e32 v4, 1, v4
	global_load_b32 v5, v4, s[4:5] scale_offset
	s_wait_loadcnt 0x0
	v_cmp_gt_u32_e32 vcc_lo, v5, v1
	v_cndmask_b32_e64 v6, 0, 1, vcc_lo
	v_cmp_le_u32_e32 vcc_lo, v1, v5
	v_cndmask_b32_e64 v5, 0, 1, vcc_lo
	s_delay_alu instid0(VALU_DEP_1) | instskip(NEXT) | instid1(VALU_DEP_1)
	v_cndmask_b32_e64 v5, v5, v6, s0
	v_and_b32_e32 v5, 1, v5
	s_delay_alu instid0(VALU_DEP_1) | instskip(SKIP_1) | instid1(VALU_DEP_1)
	v_cmp_eq_u32_e32 vcc_lo, 1, v5
	v_dual_cndmask_b32 v3, v4, v3 :: v_dual_add_nc_u32 v6, 1, v4
	v_cndmask_b32_e32 v2, v2, v6, vcc_lo
	s_delay_alu instid0(VALU_DEP_1) | instskip(SKIP_1) | instid1(SALU_CYCLE_1)
	v_cmp_ge_u32_e32 vcc_lo, v2, v3
	s_or_b32 s1, vcc_lo, s1
	s_and_not1_b32 exec_lo, exec_lo, s1
	s_cbranch_execnz .LBB2567_15
; %bb.16:
	s_or_b32 exec_lo, exec_lo, s1
.LBB2567_17:
	s_delay_alu instid0(VALU_DEP_1)
	v_add_nc_u32_e32 v2, v2, v0
	s_mov_b32 s9, -1
.LBB2567_18:
	s_delay_alu instid0(SALU_CYCLE_1)
	s_and_b32 exec_lo, exec_lo, s9
	s_cbranch_execz .LBB2567_20
; %bb.19:
	s_wait_loadcnt 0x0
	global_store_b32 v2, v1, s[6:7] scale_offset
.LBB2567_20:
	s_endpgm
	.section	.rodata,"a",@progbits
	.p2align	6, 0x0
	.amdhsa_kernel _ZN7rocprim17ROCPRIM_400000_NS6detail17trampoline_kernelINS0_14default_configENS1_38merge_sort_block_merge_config_selectorIjNS0_10empty_typeEEEZZNS1_27merge_sort_block_merge_implIS3_PjPS5_jNS1_19radix_merge_compareILb1ELb0EjNS0_19identity_decomposerEEEEE10hipError_tT0_T1_T2_jT3_P12ihipStream_tbPNSt15iterator_traitsISE_E10value_typeEPNSK_ISF_E10value_typeEPSG_NS1_7vsmem_tEENKUlT_SE_SF_SG_E_clIS8_S8_S9_S9_EESD_ST_SE_SF_SG_EUlST_E1_NS1_11comp_targetILNS1_3genE0ELNS1_11target_archE4294967295ELNS1_3gpuE0ELNS1_3repE0EEENS1_36merge_oddeven_config_static_selectorELNS0_4arch9wavefront6targetE0EEEvSF_
		.amdhsa_group_segment_fixed_size 0
		.amdhsa_private_segment_fixed_size 0
		.amdhsa_kernarg_size 48
		.amdhsa_user_sgpr_count 2
		.amdhsa_user_sgpr_dispatch_ptr 0
		.amdhsa_user_sgpr_queue_ptr 0
		.amdhsa_user_sgpr_kernarg_segment_ptr 1
		.amdhsa_user_sgpr_dispatch_id 0
		.amdhsa_user_sgpr_kernarg_preload_length 0
		.amdhsa_user_sgpr_kernarg_preload_offset 0
		.amdhsa_user_sgpr_private_segment_size 0
		.amdhsa_wavefront_size32 1
		.amdhsa_uses_dynamic_stack 0
		.amdhsa_enable_private_segment 0
		.amdhsa_system_sgpr_workgroup_id_x 1
		.amdhsa_system_sgpr_workgroup_id_y 0
		.amdhsa_system_sgpr_workgroup_id_z 0
		.amdhsa_system_sgpr_workgroup_info 0
		.amdhsa_system_vgpr_workitem_id 0
		.amdhsa_next_free_vgpr 7
		.amdhsa_next_free_sgpr 16
		.amdhsa_named_barrier_count 0
		.amdhsa_reserve_vcc 1
		.amdhsa_float_round_mode_32 0
		.amdhsa_float_round_mode_16_64 0
		.amdhsa_float_denorm_mode_32 3
		.amdhsa_float_denorm_mode_16_64 3
		.amdhsa_fp16_overflow 0
		.amdhsa_memory_ordered 1
		.amdhsa_forward_progress 1
		.amdhsa_inst_pref_size 5
		.amdhsa_round_robin_scheduling 0
		.amdhsa_exception_fp_ieee_invalid_op 0
		.amdhsa_exception_fp_denorm_src 0
		.amdhsa_exception_fp_ieee_div_zero 0
		.amdhsa_exception_fp_ieee_overflow 0
		.amdhsa_exception_fp_ieee_underflow 0
		.amdhsa_exception_fp_ieee_inexact 0
		.amdhsa_exception_int_div_zero 0
	.end_amdhsa_kernel
	.section	.text._ZN7rocprim17ROCPRIM_400000_NS6detail17trampoline_kernelINS0_14default_configENS1_38merge_sort_block_merge_config_selectorIjNS0_10empty_typeEEEZZNS1_27merge_sort_block_merge_implIS3_PjPS5_jNS1_19radix_merge_compareILb1ELb0EjNS0_19identity_decomposerEEEEE10hipError_tT0_T1_T2_jT3_P12ihipStream_tbPNSt15iterator_traitsISE_E10value_typeEPNSK_ISF_E10value_typeEPSG_NS1_7vsmem_tEENKUlT_SE_SF_SG_E_clIS8_S8_S9_S9_EESD_ST_SE_SF_SG_EUlST_E1_NS1_11comp_targetILNS1_3genE0ELNS1_11target_archE4294967295ELNS1_3gpuE0ELNS1_3repE0EEENS1_36merge_oddeven_config_static_selectorELNS0_4arch9wavefront6targetE0EEEvSF_,"axG",@progbits,_ZN7rocprim17ROCPRIM_400000_NS6detail17trampoline_kernelINS0_14default_configENS1_38merge_sort_block_merge_config_selectorIjNS0_10empty_typeEEEZZNS1_27merge_sort_block_merge_implIS3_PjPS5_jNS1_19radix_merge_compareILb1ELb0EjNS0_19identity_decomposerEEEEE10hipError_tT0_T1_T2_jT3_P12ihipStream_tbPNSt15iterator_traitsISE_E10value_typeEPNSK_ISF_E10value_typeEPSG_NS1_7vsmem_tEENKUlT_SE_SF_SG_E_clIS8_S8_S9_S9_EESD_ST_SE_SF_SG_EUlST_E1_NS1_11comp_targetILNS1_3genE0ELNS1_11target_archE4294967295ELNS1_3gpuE0ELNS1_3repE0EEENS1_36merge_oddeven_config_static_selectorELNS0_4arch9wavefront6targetE0EEEvSF_,comdat
.Lfunc_end2567:
	.size	_ZN7rocprim17ROCPRIM_400000_NS6detail17trampoline_kernelINS0_14default_configENS1_38merge_sort_block_merge_config_selectorIjNS0_10empty_typeEEEZZNS1_27merge_sort_block_merge_implIS3_PjPS5_jNS1_19radix_merge_compareILb1ELb0EjNS0_19identity_decomposerEEEEE10hipError_tT0_T1_T2_jT3_P12ihipStream_tbPNSt15iterator_traitsISE_E10value_typeEPNSK_ISF_E10value_typeEPSG_NS1_7vsmem_tEENKUlT_SE_SF_SG_E_clIS8_S8_S9_S9_EESD_ST_SE_SF_SG_EUlST_E1_NS1_11comp_targetILNS1_3genE0ELNS1_11target_archE4294967295ELNS1_3gpuE0ELNS1_3repE0EEENS1_36merge_oddeven_config_static_selectorELNS0_4arch9wavefront6targetE0EEEvSF_, .Lfunc_end2567-_ZN7rocprim17ROCPRIM_400000_NS6detail17trampoline_kernelINS0_14default_configENS1_38merge_sort_block_merge_config_selectorIjNS0_10empty_typeEEEZZNS1_27merge_sort_block_merge_implIS3_PjPS5_jNS1_19radix_merge_compareILb1ELb0EjNS0_19identity_decomposerEEEEE10hipError_tT0_T1_T2_jT3_P12ihipStream_tbPNSt15iterator_traitsISE_E10value_typeEPNSK_ISF_E10value_typeEPSG_NS1_7vsmem_tEENKUlT_SE_SF_SG_E_clIS8_S8_S9_S9_EESD_ST_SE_SF_SG_EUlST_E1_NS1_11comp_targetILNS1_3genE0ELNS1_11target_archE4294967295ELNS1_3gpuE0ELNS1_3repE0EEENS1_36merge_oddeven_config_static_selectorELNS0_4arch9wavefront6targetE0EEEvSF_
                                        ; -- End function
	.set _ZN7rocprim17ROCPRIM_400000_NS6detail17trampoline_kernelINS0_14default_configENS1_38merge_sort_block_merge_config_selectorIjNS0_10empty_typeEEEZZNS1_27merge_sort_block_merge_implIS3_PjPS5_jNS1_19radix_merge_compareILb1ELb0EjNS0_19identity_decomposerEEEEE10hipError_tT0_T1_T2_jT3_P12ihipStream_tbPNSt15iterator_traitsISE_E10value_typeEPNSK_ISF_E10value_typeEPSG_NS1_7vsmem_tEENKUlT_SE_SF_SG_E_clIS8_S8_S9_S9_EESD_ST_SE_SF_SG_EUlST_E1_NS1_11comp_targetILNS1_3genE0ELNS1_11target_archE4294967295ELNS1_3gpuE0ELNS1_3repE0EEENS1_36merge_oddeven_config_static_selectorELNS0_4arch9wavefront6targetE0EEEvSF_.num_vgpr, 7
	.set _ZN7rocprim17ROCPRIM_400000_NS6detail17trampoline_kernelINS0_14default_configENS1_38merge_sort_block_merge_config_selectorIjNS0_10empty_typeEEEZZNS1_27merge_sort_block_merge_implIS3_PjPS5_jNS1_19radix_merge_compareILb1ELb0EjNS0_19identity_decomposerEEEEE10hipError_tT0_T1_T2_jT3_P12ihipStream_tbPNSt15iterator_traitsISE_E10value_typeEPNSK_ISF_E10value_typeEPSG_NS1_7vsmem_tEENKUlT_SE_SF_SG_E_clIS8_S8_S9_S9_EESD_ST_SE_SF_SG_EUlST_E1_NS1_11comp_targetILNS1_3genE0ELNS1_11target_archE4294967295ELNS1_3gpuE0ELNS1_3repE0EEENS1_36merge_oddeven_config_static_selectorELNS0_4arch9wavefront6targetE0EEEvSF_.num_agpr, 0
	.set _ZN7rocprim17ROCPRIM_400000_NS6detail17trampoline_kernelINS0_14default_configENS1_38merge_sort_block_merge_config_selectorIjNS0_10empty_typeEEEZZNS1_27merge_sort_block_merge_implIS3_PjPS5_jNS1_19radix_merge_compareILb1ELb0EjNS0_19identity_decomposerEEEEE10hipError_tT0_T1_T2_jT3_P12ihipStream_tbPNSt15iterator_traitsISE_E10value_typeEPNSK_ISF_E10value_typeEPSG_NS1_7vsmem_tEENKUlT_SE_SF_SG_E_clIS8_S8_S9_S9_EESD_ST_SE_SF_SG_EUlST_E1_NS1_11comp_targetILNS1_3genE0ELNS1_11target_archE4294967295ELNS1_3gpuE0ELNS1_3repE0EEENS1_36merge_oddeven_config_static_selectorELNS0_4arch9wavefront6targetE0EEEvSF_.numbered_sgpr, 16
	.set _ZN7rocprim17ROCPRIM_400000_NS6detail17trampoline_kernelINS0_14default_configENS1_38merge_sort_block_merge_config_selectorIjNS0_10empty_typeEEEZZNS1_27merge_sort_block_merge_implIS3_PjPS5_jNS1_19radix_merge_compareILb1ELb0EjNS0_19identity_decomposerEEEEE10hipError_tT0_T1_T2_jT3_P12ihipStream_tbPNSt15iterator_traitsISE_E10value_typeEPNSK_ISF_E10value_typeEPSG_NS1_7vsmem_tEENKUlT_SE_SF_SG_E_clIS8_S8_S9_S9_EESD_ST_SE_SF_SG_EUlST_E1_NS1_11comp_targetILNS1_3genE0ELNS1_11target_archE4294967295ELNS1_3gpuE0ELNS1_3repE0EEENS1_36merge_oddeven_config_static_selectorELNS0_4arch9wavefront6targetE0EEEvSF_.num_named_barrier, 0
	.set _ZN7rocprim17ROCPRIM_400000_NS6detail17trampoline_kernelINS0_14default_configENS1_38merge_sort_block_merge_config_selectorIjNS0_10empty_typeEEEZZNS1_27merge_sort_block_merge_implIS3_PjPS5_jNS1_19radix_merge_compareILb1ELb0EjNS0_19identity_decomposerEEEEE10hipError_tT0_T1_T2_jT3_P12ihipStream_tbPNSt15iterator_traitsISE_E10value_typeEPNSK_ISF_E10value_typeEPSG_NS1_7vsmem_tEENKUlT_SE_SF_SG_E_clIS8_S8_S9_S9_EESD_ST_SE_SF_SG_EUlST_E1_NS1_11comp_targetILNS1_3genE0ELNS1_11target_archE4294967295ELNS1_3gpuE0ELNS1_3repE0EEENS1_36merge_oddeven_config_static_selectorELNS0_4arch9wavefront6targetE0EEEvSF_.private_seg_size, 0
	.set _ZN7rocprim17ROCPRIM_400000_NS6detail17trampoline_kernelINS0_14default_configENS1_38merge_sort_block_merge_config_selectorIjNS0_10empty_typeEEEZZNS1_27merge_sort_block_merge_implIS3_PjPS5_jNS1_19radix_merge_compareILb1ELb0EjNS0_19identity_decomposerEEEEE10hipError_tT0_T1_T2_jT3_P12ihipStream_tbPNSt15iterator_traitsISE_E10value_typeEPNSK_ISF_E10value_typeEPSG_NS1_7vsmem_tEENKUlT_SE_SF_SG_E_clIS8_S8_S9_S9_EESD_ST_SE_SF_SG_EUlST_E1_NS1_11comp_targetILNS1_3genE0ELNS1_11target_archE4294967295ELNS1_3gpuE0ELNS1_3repE0EEENS1_36merge_oddeven_config_static_selectorELNS0_4arch9wavefront6targetE0EEEvSF_.uses_vcc, 1
	.set _ZN7rocprim17ROCPRIM_400000_NS6detail17trampoline_kernelINS0_14default_configENS1_38merge_sort_block_merge_config_selectorIjNS0_10empty_typeEEEZZNS1_27merge_sort_block_merge_implIS3_PjPS5_jNS1_19radix_merge_compareILb1ELb0EjNS0_19identity_decomposerEEEEE10hipError_tT0_T1_T2_jT3_P12ihipStream_tbPNSt15iterator_traitsISE_E10value_typeEPNSK_ISF_E10value_typeEPSG_NS1_7vsmem_tEENKUlT_SE_SF_SG_E_clIS8_S8_S9_S9_EESD_ST_SE_SF_SG_EUlST_E1_NS1_11comp_targetILNS1_3genE0ELNS1_11target_archE4294967295ELNS1_3gpuE0ELNS1_3repE0EEENS1_36merge_oddeven_config_static_selectorELNS0_4arch9wavefront6targetE0EEEvSF_.uses_flat_scratch, 0
	.set _ZN7rocprim17ROCPRIM_400000_NS6detail17trampoline_kernelINS0_14default_configENS1_38merge_sort_block_merge_config_selectorIjNS0_10empty_typeEEEZZNS1_27merge_sort_block_merge_implIS3_PjPS5_jNS1_19radix_merge_compareILb1ELb0EjNS0_19identity_decomposerEEEEE10hipError_tT0_T1_T2_jT3_P12ihipStream_tbPNSt15iterator_traitsISE_E10value_typeEPNSK_ISF_E10value_typeEPSG_NS1_7vsmem_tEENKUlT_SE_SF_SG_E_clIS8_S8_S9_S9_EESD_ST_SE_SF_SG_EUlST_E1_NS1_11comp_targetILNS1_3genE0ELNS1_11target_archE4294967295ELNS1_3gpuE0ELNS1_3repE0EEENS1_36merge_oddeven_config_static_selectorELNS0_4arch9wavefront6targetE0EEEvSF_.has_dyn_sized_stack, 0
	.set _ZN7rocprim17ROCPRIM_400000_NS6detail17trampoline_kernelINS0_14default_configENS1_38merge_sort_block_merge_config_selectorIjNS0_10empty_typeEEEZZNS1_27merge_sort_block_merge_implIS3_PjPS5_jNS1_19radix_merge_compareILb1ELb0EjNS0_19identity_decomposerEEEEE10hipError_tT0_T1_T2_jT3_P12ihipStream_tbPNSt15iterator_traitsISE_E10value_typeEPNSK_ISF_E10value_typeEPSG_NS1_7vsmem_tEENKUlT_SE_SF_SG_E_clIS8_S8_S9_S9_EESD_ST_SE_SF_SG_EUlST_E1_NS1_11comp_targetILNS1_3genE0ELNS1_11target_archE4294967295ELNS1_3gpuE0ELNS1_3repE0EEENS1_36merge_oddeven_config_static_selectorELNS0_4arch9wavefront6targetE0EEEvSF_.has_recursion, 0
	.set _ZN7rocprim17ROCPRIM_400000_NS6detail17trampoline_kernelINS0_14default_configENS1_38merge_sort_block_merge_config_selectorIjNS0_10empty_typeEEEZZNS1_27merge_sort_block_merge_implIS3_PjPS5_jNS1_19radix_merge_compareILb1ELb0EjNS0_19identity_decomposerEEEEE10hipError_tT0_T1_T2_jT3_P12ihipStream_tbPNSt15iterator_traitsISE_E10value_typeEPNSK_ISF_E10value_typeEPSG_NS1_7vsmem_tEENKUlT_SE_SF_SG_E_clIS8_S8_S9_S9_EESD_ST_SE_SF_SG_EUlST_E1_NS1_11comp_targetILNS1_3genE0ELNS1_11target_archE4294967295ELNS1_3gpuE0ELNS1_3repE0EEENS1_36merge_oddeven_config_static_selectorELNS0_4arch9wavefront6targetE0EEEvSF_.has_indirect_call, 0
	.section	.AMDGPU.csdata,"",@progbits
; Kernel info:
; codeLenInByte = 636
; TotalNumSgprs: 18
; NumVgprs: 7
; ScratchSize: 0
; MemoryBound: 0
; FloatMode: 240
; IeeeMode: 1
; LDSByteSize: 0 bytes/workgroup (compile time only)
; SGPRBlocks: 0
; VGPRBlocks: 0
; NumSGPRsForWavesPerEU: 18
; NumVGPRsForWavesPerEU: 7
; NamedBarCnt: 0
; Occupancy: 16
; WaveLimiterHint : 0
; COMPUTE_PGM_RSRC2:SCRATCH_EN: 0
; COMPUTE_PGM_RSRC2:USER_SGPR: 2
; COMPUTE_PGM_RSRC2:TRAP_HANDLER: 0
; COMPUTE_PGM_RSRC2:TGID_X_EN: 1
; COMPUTE_PGM_RSRC2:TGID_Y_EN: 0
; COMPUTE_PGM_RSRC2:TGID_Z_EN: 0
; COMPUTE_PGM_RSRC2:TIDIG_COMP_CNT: 0
	.section	.text._ZN7rocprim17ROCPRIM_400000_NS6detail17trampoline_kernelINS0_14default_configENS1_38merge_sort_block_merge_config_selectorIjNS0_10empty_typeEEEZZNS1_27merge_sort_block_merge_implIS3_PjPS5_jNS1_19radix_merge_compareILb1ELb0EjNS0_19identity_decomposerEEEEE10hipError_tT0_T1_T2_jT3_P12ihipStream_tbPNSt15iterator_traitsISE_E10value_typeEPNSK_ISF_E10value_typeEPSG_NS1_7vsmem_tEENKUlT_SE_SF_SG_E_clIS8_S8_S9_S9_EESD_ST_SE_SF_SG_EUlST_E1_NS1_11comp_targetILNS1_3genE10ELNS1_11target_archE1201ELNS1_3gpuE5ELNS1_3repE0EEENS1_36merge_oddeven_config_static_selectorELNS0_4arch9wavefront6targetE0EEEvSF_,"axG",@progbits,_ZN7rocprim17ROCPRIM_400000_NS6detail17trampoline_kernelINS0_14default_configENS1_38merge_sort_block_merge_config_selectorIjNS0_10empty_typeEEEZZNS1_27merge_sort_block_merge_implIS3_PjPS5_jNS1_19radix_merge_compareILb1ELb0EjNS0_19identity_decomposerEEEEE10hipError_tT0_T1_T2_jT3_P12ihipStream_tbPNSt15iterator_traitsISE_E10value_typeEPNSK_ISF_E10value_typeEPSG_NS1_7vsmem_tEENKUlT_SE_SF_SG_E_clIS8_S8_S9_S9_EESD_ST_SE_SF_SG_EUlST_E1_NS1_11comp_targetILNS1_3genE10ELNS1_11target_archE1201ELNS1_3gpuE5ELNS1_3repE0EEENS1_36merge_oddeven_config_static_selectorELNS0_4arch9wavefront6targetE0EEEvSF_,comdat
	.protected	_ZN7rocprim17ROCPRIM_400000_NS6detail17trampoline_kernelINS0_14default_configENS1_38merge_sort_block_merge_config_selectorIjNS0_10empty_typeEEEZZNS1_27merge_sort_block_merge_implIS3_PjPS5_jNS1_19radix_merge_compareILb1ELb0EjNS0_19identity_decomposerEEEEE10hipError_tT0_T1_T2_jT3_P12ihipStream_tbPNSt15iterator_traitsISE_E10value_typeEPNSK_ISF_E10value_typeEPSG_NS1_7vsmem_tEENKUlT_SE_SF_SG_E_clIS8_S8_S9_S9_EESD_ST_SE_SF_SG_EUlST_E1_NS1_11comp_targetILNS1_3genE10ELNS1_11target_archE1201ELNS1_3gpuE5ELNS1_3repE0EEENS1_36merge_oddeven_config_static_selectorELNS0_4arch9wavefront6targetE0EEEvSF_ ; -- Begin function _ZN7rocprim17ROCPRIM_400000_NS6detail17trampoline_kernelINS0_14default_configENS1_38merge_sort_block_merge_config_selectorIjNS0_10empty_typeEEEZZNS1_27merge_sort_block_merge_implIS3_PjPS5_jNS1_19radix_merge_compareILb1ELb0EjNS0_19identity_decomposerEEEEE10hipError_tT0_T1_T2_jT3_P12ihipStream_tbPNSt15iterator_traitsISE_E10value_typeEPNSK_ISF_E10value_typeEPSG_NS1_7vsmem_tEENKUlT_SE_SF_SG_E_clIS8_S8_S9_S9_EESD_ST_SE_SF_SG_EUlST_E1_NS1_11comp_targetILNS1_3genE10ELNS1_11target_archE1201ELNS1_3gpuE5ELNS1_3repE0EEENS1_36merge_oddeven_config_static_selectorELNS0_4arch9wavefront6targetE0EEEvSF_
	.globl	_ZN7rocprim17ROCPRIM_400000_NS6detail17trampoline_kernelINS0_14default_configENS1_38merge_sort_block_merge_config_selectorIjNS0_10empty_typeEEEZZNS1_27merge_sort_block_merge_implIS3_PjPS5_jNS1_19radix_merge_compareILb1ELb0EjNS0_19identity_decomposerEEEEE10hipError_tT0_T1_T2_jT3_P12ihipStream_tbPNSt15iterator_traitsISE_E10value_typeEPNSK_ISF_E10value_typeEPSG_NS1_7vsmem_tEENKUlT_SE_SF_SG_E_clIS8_S8_S9_S9_EESD_ST_SE_SF_SG_EUlST_E1_NS1_11comp_targetILNS1_3genE10ELNS1_11target_archE1201ELNS1_3gpuE5ELNS1_3repE0EEENS1_36merge_oddeven_config_static_selectorELNS0_4arch9wavefront6targetE0EEEvSF_
	.p2align	8
	.type	_ZN7rocprim17ROCPRIM_400000_NS6detail17trampoline_kernelINS0_14default_configENS1_38merge_sort_block_merge_config_selectorIjNS0_10empty_typeEEEZZNS1_27merge_sort_block_merge_implIS3_PjPS5_jNS1_19radix_merge_compareILb1ELb0EjNS0_19identity_decomposerEEEEE10hipError_tT0_T1_T2_jT3_P12ihipStream_tbPNSt15iterator_traitsISE_E10value_typeEPNSK_ISF_E10value_typeEPSG_NS1_7vsmem_tEENKUlT_SE_SF_SG_E_clIS8_S8_S9_S9_EESD_ST_SE_SF_SG_EUlST_E1_NS1_11comp_targetILNS1_3genE10ELNS1_11target_archE1201ELNS1_3gpuE5ELNS1_3repE0EEENS1_36merge_oddeven_config_static_selectorELNS0_4arch9wavefront6targetE0EEEvSF_,@function
_ZN7rocprim17ROCPRIM_400000_NS6detail17trampoline_kernelINS0_14default_configENS1_38merge_sort_block_merge_config_selectorIjNS0_10empty_typeEEEZZNS1_27merge_sort_block_merge_implIS3_PjPS5_jNS1_19radix_merge_compareILb1ELb0EjNS0_19identity_decomposerEEEEE10hipError_tT0_T1_T2_jT3_P12ihipStream_tbPNSt15iterator_traitsISE_E10value_typeEPNSK_ISF_E10value_typeEPSG_NS1_7vsmem_tEENKUlT_SE_SF_SG_E_clIS8_S8_S9_S9_EESD_ST_SE_SF_SG_EUlST_E1_NS1_11comp_targetILNS1_3genE10ELNS1_11target_archE1201ELNS1_3gpuE5ELNS1_3repE0EEENS1_36merge_oddeven_config_static_selectorELNS0_4arch9wavefront6targetE0EEEvSF_: ; @_ZN7rocprim17ROCPRIM_400000_NS6detail17trampoline_kernelINS0_14default_configENS1_38merge_sort_block_merge_config_selectorIjNS0_10empty_typeEEEZZNS1_27merge_sort_block_merge_implIS3_PjPS5_jNS1_19radix_merge_compareILb1ELb0EjNS0_19identity_decomposerEEEEE10hipError_tT0_T1_T2_jT3_P12ihipStream_tbPNSt15iterator_traitsISE_E10value_typeEPNSK_ISF_E10value_typeEPSG_NS1_7vsmem_tEENKUlT_SE_SF_SG_E_clIS8_S8_S9_S9_EESD_ST_SE_SF_SG_EUlST_E1_NS1_11comp_targetILNS1_3genE10ELNS1_11target_archE1201ELNS1_3gpuE5ELNS1_3repE0EEENS1_36merge_oddeven_config_static_selectorELNS0_4arch9wavefront6targetE0EEEvSF_
; %bb.0:
	.section	.rodata,"a",@progbits
	.p2align	6, 0x0
	.amdhsa_kernel _ZN7rocprim17ROCPRIM_400000_NS6detail17trampoline_kernelINS0_14default_configENS1_38merge_sort_block_merge_config_selectorIjNS0_10empty_typeEEEZZNS1_27merge_sort_block_merge_implIS3_PjPS5_jNS1_19radix_merge_compareILb1ELb0EjNS0_19identity_decomposerEEEEE10hipError_tT0_T1_T2_jT3_P12ihipStream_tbPNSt15iterator_traitsISE_E10value_typeEPNSK_ISF_E10value_typeEPSG_NS1_7vsmem_tEENKUlT_SE_SF_SG_E_clIS8_S8_S9_S9_EESD_ST_SE_SF_SG_EUlST_E1_NS1_11comp_targetILNS1_3genE10ELNS1_11target_archE1201ELNS1_3gpuE5ELNS1_3repE0EEENS1_36merge_oddeven_config_static_selectorELNS0_4arch9wavefront6targetE0EEEvSF_
		.amdhsa_group_segment_fixed_size 0
		.amdhsa_private_segment_fixed_size 0
		.amdhsa_kernarg_size 48
		.amdhsa_user_sgpr_count 2
		.amdhsa_user_sgpr_dispatch_ptr 0
		.amdhsa_user_sgpr_queue_ptr 0
		.amdhsa_user_sgpr_kernarg_segment_ptr 1
		.amdhsa_user_sgpr_dispatch_id 0
		.amdhsa_user_sgpr_kernarg_preload_length 0
		.amdhsa_user_sgpr_kernarg_preload_offset 0
		.amdhsa_user_sgpr_private_segment_size 0
		.amdhsa_wavefront_size32 1
		.amdhsa_uses_dynamic_stack 0
		.amdhsa_enable_private_segment 0
		.amdhsa_system_sgpr_workgroup_id_x 1
		.amdhsa_system_sgpr_workgroup_id_y 0
		.amdhsa_system_sgpr_workgroup_id_z 0
		.amdhsa_system_sgpr_workgroup_info 0
		.amdhsa_system_vgpr_workitem_id 0
		.amdhsa_next_free_vgpr 1
		.amdhsa_next_free_sgpr 1
		.amdhsa_named_barrier_count 0
		.amdhsa_reserve_vcc 0
		.amdhsa_float_round_mode_32 0
		.amdhsa_float_round_mode_16_64 0
		.amdhsa_float_denorm_mode_32 3
		.amdhsa_float_denorm_mode_16_64 3
		.amdhsa_fp16_overflow 0
		.amdhsa_memory_ordered 1
		.amdhsa_forward_progress 1
		.amdhsa_inst_pref_size 0
		.amdhsa_round_robin_scheduling 0
		.amdhsa_exception_fp_ieee_invalid_op 0
		.amdhsa_exception_fp_denorm_src 0
		.amdhsa_exception_fp_ieee_div_zero 0
		.amdhsa_exception_fp_ieee_overflow 0
		.amdhsa_exception_fp_ieee_underflow 0
		.amdhsa_exception_fp_ieee_inexact 0
		.amdhsa_exception_int_div_zero 0
	.end_amdhsa_kernel
	.section	.text._ZN7rocprim17ROCPRIM_400000_NS6detail17trampoline_kernelINS0_14default_configENS1_38merge_sort_block_merge_config_selectorIjNS0_10empty_typeEEEZZNS1_27merge_sort_block_merge_implIS3_PjPS5_jNS1_19radix_merge_compareILb1ELb0EjNS0_19identity_decomposerEEEEE10hipError_tT0_T1_T2_jT3_P12ihipStream_tbPNSt15iterator_traitsISE_E10value_typeEPNSK_ISF_E10value_typeEPSG_NS1_7vsmem_tEENKUlT_SE_SF_SG_E_clIS8_S8_S9_S9_EESD_ST_SE_SF_SG_EUlST_E1_NS1_11comp_targetILNS1_3genE10ELNS1_11target_archE1201ELNS1_3gpuE5ELNS1_3repE0EEENS1_36merge_oddeven_config_static_selectorELNS0_4arch9wavefront6targetE0EEEvSF_,"axG",@progbits,_ZN7rocprim17ROCPRIM_400000_NS6detail17trampoline_kernelINS0_14default_configENS1_38merge_sort_block_merge_config_selectorIjNS0_10empty_typeEEEZZNS1_27merge_sort_block_merge_implIS3_PjPS5_jNS1_19radix_merge_compareILb1ELb0EjNS0_19identity_decomposerEEEEE10hipError_tT0_T1_T2_jT3_P12ihipStream_tbPNSt15iterator_traitsISE_E10value_typeEPNSK_ISF_E10value_typeEPSG_NS1_7vsmem_tEENKUlT_SE_SF_SG_E_clIS8_S8_S9_S9_EESD_ST_SE_SF_SG_EUlST_E1_NS1_11comp_targetILNS1_3genE10ELNS1_11target_archE1201ELNS1_3gpuE5ELNS1_3repE0EEENS1_36merge_oddeven_config_static_selectorELNS0_4arch9wavefront6targetE0EEEvSF_,comdat
.Lfunc_end2568:
	.size	_ZN7rocprim17ROCPRIM_400000_NS6detail17trampoline_kernelINS0_14default_configENS1_38merge_sort_block_merge_config_selectorIjNS0_10empty_typeEEEZZNS1_27merge_sort_block_merge_implIS3_PjPS5_jNS1_19radix_merge_compareILb1ELb0EjNS0_19identity_decomposerEEEEE10hipError_tT0_T1_T2_jT3_P12ihipStream_tbPNSt15iterator_traitsISE_E10value_typeEPNSK_ISF_E10value_typeEPSG_NS1_7vsmem_tEENKUlT_SE_SF_SG_E_clIS8_S8_S9_S9_EESD_ST_SE_SF_SG_EUlST_E1_NS1_11comp_targetILNS1_3genE10ELNS1_11target_archE1201ELNS1_3gpuE5ELNS1_3repE0EEENS1_36merge_oddeven_config_static_selectorELNS0_4arch9wavefront6targetE0EEEvSF_, .Lfunc_end2568-_ZN7rocprim17ROCPRIM_400000_NS6detail17trampoline_kernelINS0_14default_configENS1_38merge_sort_block_merge_config_selectorIjNS0_10empty_typeEEEZZNS1_27merge_sort_block_merge_implIS3_PjPS5_jNS1_19radix_merge_compareILb1ELb0EjNS0_19identity_decomposerEEEEE10hipError_tT0_T1_T2_jT3_P12ihipStream_tbPNSt15iterator_traitsISE_E10value_typeEPNSK_ISF_E10value_typeEPSG_NS1_7vsmem_tEENKUlT_SE_SF_SG_E_clIS8_S8_S9_S9_EESD_ST_SE_SF_SG_EUlST_E1_NS1_11comp_targetILNS1_3genE10ELNS1_11target_archE1201ELNS1_3gpuE5ELNS1_3repE0EEENS1_36merge_oddeven_config_static_selectorELNS0_4arch9wavefront6targetE0EEEvSF_
                                        ; -- End function
	.set _ZN7rocprim17ROCPRIM_400000_NS6detail17trampoline_kernelINS0_14default_configENS1_38merge_sort_block_merge_config_selectorIjNS0_10empty_typeEEEZZNS1_27merge_sort_block_merge_implIS3_PjPS5_jNS1_19radix_merge_compareILb1ELb0EjNS0_19identity_decomposerEEEEE10hipError_tT0_T1_T2_jT3_P12ihipStream_tbPNSt15iterator_traitsISE_E10value_typeEPNSK_ISF_E10value_typeEPSG_NS1_7vsmem_tEENKUlT_SE_SF_SG_E_clIS8_S8_S9_S9_EESD_ST_SE_SF_SG_EUlST_E1_NS1_11comp_targetILNS1_3genE10ELNS1_11target_archE1201ELNS1_3gpuE5ELNS1_3repE0EEENS1_36merge_oddeven_config_static_selectorELNS0_4arch9wavefront6targetE0EEEvSF_.num_vgpr, 0
	.set _ZN7rocprim17ROCPRIM_400000_NS6detail17trampoline_kernelINS0_14default_configENS1_38merge_sort_block_merge_config_selectorIjNS0_10empty_typeEEEZZNS1_27merge_sort_block_merge_implIS3_PjPS5_jNS1_19radix_merge_compareILb1ELb0EjNS0_19identity_decomposerEEEEE10hipError_tT0_T1_T2_jT3_P12ihipStream_tbPNSt15iterator_traitsISE_E10value_typeEPNSK_ISF_E10value_typeEPSG_NS1_7vsmem_tEENKUlT_SE_SF_SG_E_clIS8_S8_S9_S9_EESD_ST_SE_SF_SG_EUlST_E1_NS1_11comp_targetILNS1_3genE10ELNS1_11target_archE1201ELNS1_3gpuE5ELNS1_3repE0EEENS1_36merge_oddeven_config_static_selectorELNS0_4arch9wavefront6targetE0EEEvSF_.num_agpr, 0
	.set _ZN7rocprim17ROCPRIM_400000_NS6detail17trampoline_kernelINS0_14default_configENS1_38merge_sort_block_merge_config_selectorIjNS0_10empty_typeEEEZZNS1_27merge_sort_block_merge_implIS3_PjPS5_jNS1_19radix_merge_compareILb1ELb0EjNS0_19identity_decomposerEEEEE10hipError_tT0_T1_T2_jT3_P12ihipStream_tbPNSt15iterator_traitsISE_E10value_typeEPNSK_ISF_E10value_typeEPSG_NS1_7vsmem_tEENKUlT_SE_SF_SG_E_clIS8_S8_S9_S9_EESD_ST_SE_SF_SG_EUlST_E1_NS1_11comp_targetILNS1_3genE10ELNS1_11target_archE1201ELNS1_3gpuE5ELNS1_3repE0EEENS1_36merge_oddeven_config_static_selectorELNS0_4arch9wavefront6targetE0EEEvSF_.numbered_sgpr, 0
	.set _ZN7rocprim17ROCPRIM_400000_NS6detail17trampoline_kernelINS0_14default_configENS1_38merge_sort_block_merge_config_selectorIjNS0_10empty_typeEEEZZNS1_27merge_sort_block_merge_implIS3_PjPS5_jNS1_19radix_merge_compareILb1ELb0EjNS0_19identity_decomposerEEEEE10hipError_tT0_T1_T2_jT3_P12ihipStream_tbPNSt15iterator_traitsISE_E10value_typeEPNSK_ISF_E10value_typeEPSG_NS1_7vsmem_tEENKUlT_SE_SF_SG_E_clIS8_S8_S9_S9_EESD_ST_SE_SF_SG_EUlST_E1_NS1_11comp_targetILNS1_3genE10ELNS1_11target_archE1201ELNS1_3gpuE5ELNS1_3repE0EEENS1_36merge_oddeven_config_static_selectorELNS0_4arch9wavefront6targetE0EEEvSF_.num_named_barrier, 0
	.set _ZN7rocprim17ROCPRIM_400000_NS6detail17trampoline_kernelINS0_14default_configENS1_38merge_sort_block_merge_config_selectorIjNS0_10empty_typeEEEZZNS1_27merge_sort_block_merge_implIS3_PjPS5_jNS1_19radix_merge_compareILb1ELb0EjNS0_19identity_decomposerEEEEE10hipError_tT0_T1_T2_jT3_P12ihipStream_tbPNSt15iterator_traitsISE_E10value_typeEPNSK_ISF_E10value_typeEPSG_NS1_7vsmem_tEENKUlT_SE_SF_SG_E_clIS8_S8_S9_S9_EESD_ST_SE_SF_SG_EUlST_E1_NS1_11comp_targetILNS1_3genE10ELNS1_11target_archE1201ELNS1_3gpuE5ELNS1_3repE0EEENS1_36merge_oddeven_config_static_selectorELNS0_4arch9wavefront6targetE0EEEvSF_.private_seg_size, 0
	.set _ZN7rocprim17ROCPRIM_400000_NS6detail17trampoline_kernelINS0_14default_configENS1_38merge_sort_block_merge_config_selectorIjNS0_10empty_typeEEEZZNS1_27merge_sort_block_merge_implIS3_PjPS5_jNS1_19radix_merge_compareILb1ELb0EjNS0_19identity_decomposerEEEEE10hipError_tT0_T1_T2_jT3_P12ihipStream_tbPNSt15iterator_traitsISE_E10value_typeEPNSK_ISF_E10value_typeEPSG_NS1_7vsmem_tEENKUlT_SE_SF_SG_E_clIS8_S8_S9_S9_EESD_ST_SE_SF_SG_EUlST_E1_NS1_11comp_targetILNS1_3genE10ELNS1_11target_archE1201ELNS1_3gpuE5ELNS1_3repE0EEENS1_36merge_oddeven_config_static_selectorELNS0_4arch9wavefront6targetE0EEEvSF_.uses_vcc, 0
	.set _ZN7rocprim17ROCPRIM_400000_NS6detail17trampoline_kernelINS0_14default_configENS1_38merge_sort_block_merge_config_selectorIjNS0_10empty_typeEEEZZNS1_27merge_sort_block_merge_implIS3_PjPS5_jNS1_19radix_merge_compareILb1ELb0EjNS0_19identity_decomposerEEEEE10hipError_tT0_T1_T2_jT3_P12ihipStream_tbPNSt15iterator_traitsISE_E10value_typeEPNSK_ISF_E10value_typeEPSG_NS1_7vsmem_tEENKUlT_SE_SF_SG_E_clIS8_S8_S9_S9_EESD_ST_SE_SF_SG_EUlST_E1_NS1_11comp_targetILNS1_3genE10ELNS1_11target_archE1201ELNS1_3gpuE5ELNS1_3repE0EEENS1_36merge_oddeven_config_static_selectorELNS0_4arch9wavefront6targetE0EEEvSF_.uses_flat_scratch, 0
	.set _ZN7rocprim17ROCPRIM_400000_NS6detail17trampoline_kernelINS0_14default_configENS1_38merge_sort_block_merge_config_selectorIjNS0_10empty_typeEEEZZNS1_27merge_sort_block_merge_implIS3_PjPS5_jNS1_19radix_merge_compareILb1ELb0EjNS0_19identity_decomposerEEEEE10hipError_tT0_T1_T2_jT3_P12ihipStream_tbPNSt15iterator_traitsISE_E10value_typeEPNSK_ISF_E10value_typeEPSG_NS1_7vsmem_tEENKUlT_SE_SF_SG_E_clIS8_S8_S9_S9_EESD_ST_SE_SF_SG_EUlST_E1_NS1_11comp_targetILNS1_3genE10ELNS1_11target_archE1201ELNS1_3gpuE5ELNS1_3repE0EEENS1_36merge_oddeven_config_static_selectorELNS0_4arch9wavefront6targetE0EEEvSF_.has_dyn_sized_stack, 0
	.set _ZN7rocprim17ROCPRIM_400000_NS6detail17trampoline_kernelINS0_14default_configENS1_38merge_sort_block_merge_config_selectorIjNS0_10empty_typeEEEZZNS1_27merge_sort_block_merge_implIS3_PjPS5_jNS1_19radix_merge_compareILb1ELb0EjNS0_19identity_decomposerEEEEE10hipError_tT0_T1_T2_jT3_P12ihipStream_tbPNSt15iterator_traitsISE_E10value_typeEPNSK_ISF_E10value_typeEPSG_NS1_7vsmem_tEENKUlT_SE_SF_SG_E_clIS8_S8_S9_S9_EESD_ST_SE_SF_SG_EUlST_E1_NS1_11comp_targetILNS1_3genE10ELNS1_11target_archE1201ELNS1_3gpuE5ELNS1_3repE0EEENS1_36merge_oddeven_config_static_selectorELNS0_4arch9wavefront6targetE0EEEvSF_.has_recursion, 0
	.set _ZN7rocprim17ROCPRIM_400000_NS6detail17trampoline_kernelINS0_14default_configENS1_38merge_sort_block_merge_config_selectorIjNS0_10empty_typeEEEZZNS1_27merge_sort_block_merge_implIS3_PjPS5_jNS1_19radix_merge_compareILb1ELb0EjNS0_19identity_decomposerEEEEE10hipError_tT0_T1_T2_jT3_P12ihipStream_tbPNSt15iterator_traitsISE_E10value_typeEPNSK_ISF_E10value_typeEPSG_NS1_7vsmem_tEENKUlT_SE_SF_SG_E_clIS8_S8_S9_S9_EESD_ST_SE_SF_SG_EUlST_E1_NS1_11comp_targetILNS1_3genE10ELNS1_11target_archE1201ELNS1_3gpuE5ELNS1_3repE0EEENS1_36merge_oddeven_config_static_selectorELNS0_4arch9wavefront6targetE0EEEvSF_.has_indirect_call, 0
	.section	.AMDGPU.csdata,"",@progbits
; Kernel info:
; codeLenInByte = 0
; TotalNumSgprs: 0
; NumVgprs: 0
; ScratchSize: 0
; MemoryBound: 0
; FloatMode: 240
; IeeeMode: 1
; LDSByteSize: 0 bytes/workgroup (compile time only)
; SGPRBlocks: 0
; VGPRBlocks: 0
; NumSGPRsForWavesPerEU: 1
; NumVGPRsForWavesPerEU: 1
; NamedBarCnt: 0
; Occupancy: 16
; WaveLimiterHint : 0
; COMPUTE_PGM_RSRC2:SCRATCH_EN: 0
; COMPUTE_PGM_RSRC2:USER_SGPR: 2
; COMPUTE_PGM_RSRC2:TRAP_HANDLER: 0
; COMPUTE_PGM_RSRC2:TGID_X_EN: 1
; COMPUTE_PGM_RSRC2:TGID_Y_EN: 0
; COMPUTE_PGM_RSRC2:TGID_Z_EN: 0
; COMPUTE_PGM_RSRC2:TIDIG_COMP_CNT: 0
	.section	.text._ZN7rocprim17ROCPRIM_400000_NS6detail17trampoline_kernelINS0_14default_configENS1_38merge_sort_block_merge_config_selectorIjNS0_10empty_typeEEEZZNS1_27merge_sort_block_merge_implIS3_PjPS5_jNS1_19radix_merge_compareILb1ELb0EjNS0_19identity_decomposerEEEEE10hipError_tT0_T1_T2_jT3_P12ihipStream_tbPNSt15iterator_traitsISE_E10value_typeEPNSK_ISF_E10value_typeEPSG_NS1_7vsmem_tEENKUlT_SE_SF_SG_E_clIS8_S8_S9_S9_EESD_ST_SE_SF_SG_EUlST_E1_NS1_11comp_targetILNS1_3genE5ELNS1_11target_archE942ELNS1_3gpuE9ELNS1_3repE0EEENS1_36merge_oddeven_config_static_selectorELNS0_4arch9wavefront6targetE0EEEvSF_,"axG",@progbits,_ZN7rocprim17ROCPRIM_400000_NS6detail17trampoline_kernelINS0_14default_configENS1_38merge_sort_block_merge_config_selectorIjNS0_10empty_typeEEEZZNS1_27merge_sort_block_merge_implIS3_PjPS5_jNS1_19radix_merge_compareILb1ELb0EjNS0_19identity_decomposerEEEEE10hipError_tT0_T1_T2_jT3_P12ihipStream_tbPNSt15iterator_traitsISE_E10value_typeEPNSK_ISF_E10value_typeEPSG_NS1_7vsmem_tEENKUlT_SE_SF_SG_E_clIS8_S8_S9_S9_EESD_ST_SE_SF_SG_EUlST_E1_NS1_11comp_targetILNS1_3genE5ELNS1_11target_archE942ELNS1_3gpuE9ELNS1_3repE0EEENS1_36merge_oddeven_config_static_selectorELNS0_4arch9wavefront6targetE0EEEvSF_,comdat
	.protected	_ZN7rocprim17ROCPRIM_400000_NS6detail17trampoline_kernelINS0_14default_configENS1_38merge_sort_block_merge_config_selectorIjNS0_10empty_typeEEEZZNS1_27merge_sort_block_merge_implIS3_PjPS5_jNS1_19radix_merge_compareILb1ELb0EjNS0_19identity_decomposerEEEEE10hipError_tT0_T1_T2_jT3_P12ihipStream_tbPNSt15iterator_traitsISE_E10value_typeEPNSK_ISF_E10value_typeEPSG_NS1_7vsmem_tEENKUlT_SE_SF_SG_E_clIS8_S8_S9_S9_EESD_ST_SE_SF_SG_EUlST_E1_NS1_11comp_targetILNS1_3genE5ELNS1_11target_archE942ELNS1_3gpuE9ELNS1_3repE0EEENS1_36merge_oddeven_config_static_selectorELNS0_4arch9wavefront6targetE0EEEvSF_ ; -- Begin function _ZN7rocprim17ROCPRIM_400000_NS6detail17trampoline_kernelINS0_14default_configENS1_38merge_sort_block_merge_config_selectorIjNS0_10empty_typeEEEZZNS1_27merge_sort_block_merge_implIS3_PjPS5_jNS1_19radix_merge_compareILb1ELb0EjNS0_19identity_decomposerEEEEE10hipError_tT0_T1_T2_jT3_P12ihipStream_tbPNSt15iterator_traitsISE_E10value_typeEPNSK_ISF_E10value_typeEPSG_NS1_7vsmem_tEENKUlT_SE_SF_SG_E_clIS8_S8_S9_S9_EESD_ST_SE_SF_SG_EUlST_E1_NS1_11comp_targetILNS1_3genE5ELNS1_11target_archE942ELNS1_3gpuE9ELNS1_3repE0EEENS1_36merge_oddeven_config_static_selectorELNS0_4arch9wavefront6targetE0EEEvSF_
	.globl	_ZN7rocprim17ROCPRIM_400000_NS6detail17trampoline_kernelINS0_14default_configENS1_38merge_sort_block_merge_config_selectorIjNS0_10empty_typeEEEZZNS1_27merge_sort_block_merge_implIS3_PjPS5_jNS1_19radix_merge_compareILb1ELb0EjNS0_19identity_decomposerEEEEE10hipError_tT0_T1_T2_jT3_P12ihipStream_tbPNSt15iterator_traitsISE_E10value_typeEPNSK_ISF_E10value_typeEPSG_NS1_7vsmem_tEENKUlT_SE_SF_SG_E_clIS8_S8_S9_S9_EESD_ST_SE_SF_SG_EUlST_E1_NS1_11comp_targetILNS1_3genE5ELNS1_11target_archE942ELNS1_3gpuE9ELNS1_3repE0EEENS1_36merge_oddeven_config_static_selectorELNS0_4arch9wavefront6targetE0EEEvSF_
	.p2align	8
	.type	_ZN7rocprim17ROCPRIM_400000_NS6detail17trampoline_kernelINS0_14default_configENS1_38merge_sort_block_merge_config_selectorIjNS0_10empty_typeEEEZZNS1_27merge_sort_block_merge_implIS3_PjPS5_jNS1_19radix_merge_compareILb1ELb0EjNS0_19identity_decomposerEEEEE10hipError_tT0_T1_T2_jT3_P12ihipStream_tbPNSt15iterator_traitsISE_E10value_typeEPNSK_ISF_E10value_typeEPSG_NS1_7vsmem_tEENKUlT_SE_SF_SG_E_clIS8_S8_S9_S9_EESD_ST_SE_SF_SG_EUlST_E1_NS1_11comp_targetILNS1_3genE5ELNS1_11target_archE942ELNS1_3gpuE9ELNS1_3repE0EEENS1_36merge_oddeven_config_static_selectorELNS0_4arch9wavefront6targetE0EEEvSF_,@function
_ZN7rocprim17ROCPRIM_400000_NS6detail17trampoline_kernelINS0_14default_configENS1_38merge_sort_block_merge_config_selectorIjNS0_10empty_typeEEEZZNS1_27merge_sort_block_merge_implIS3_PjPS5_jNS1_19radix_merge_compareILb1ELb0EjNS0_19identity_decomposerEEEEE10hipError_tT0_T1_T2_jT3_P12ihipStream_tbPNSt15iterator_traitsISE_E10value_typeEPNSK_ISF_E10value_typeEPSG_NS1_7vsmem_tEENKUlT_SE_SF_SG_E_clIS8_S8_S9_S9_EESD_ST_SE_SF_SG_EUlST_E1_NS1_11comp_targetILNS1_3genE5ELNS1_11target_archE942ELNS1_3gpuE9ELNS1_3repE0EEENS1_36merge_oddeven_config_static_selectorELNS0_4arch9wavefront6targetE0EEEvSF_: ; @_ZN7rocprim17ROCPRIM_400000_NS6detail17trampoline_kernelINS0_14default_configENS1_38merge_sort_block_merge_config_selectorIjNS0_10empty_typeEEEZZNS1_27merge_sort_block_merge_implIS3_PjPS5_jNS1_19radix_merge_compareILb1ELb0EjNS0_19identity_decomposerEEEEE10hipError_tT0_T1_T2_jT3_P12ihipStream_tbPNSt15iterator_traitsISE_E10value_typeEPNSK_ISF_E10value_typeEPSG_NS1_7vsmem_tEENKUlT_SE_SF_SG_E_clIS8_S8_S9_S9_EESD_ST_SE_SF_SG_EUlST_E1_NS1_11comp_targetILNS1_3genE5ELNS1_11target_archE942ELNS1_3gpuE9ELNS1_3repE0EEENS1_36merge_oddeven_config_static_selectorELNS0_4arch9wavefront6targetE0EEEvSF_
; %bb.0:
	.section	.rodata,"a",@progbits
	.p2align	6, 0x0
	.amdhsa_kernel _ZN7rocprim17ROCPRIM_400000_NS6detail17trampoline_kernelINS0_14default_configENS1_38merge_sort_block_merge_config_selectorIjNS0_10empty_typeEEEZZNS1_27merge_sort_block_merge_implIS3_PjPS5_jNS1_19radix_merge_compareILb1ELb0EjNS0_19identity_decomposerEEEEE10hipError_tT0_T1_T2_jT3_P12ihipStream_tbPNSt15iterator_traitsISE_E10value_typeEPNSK_ISF_E10value_typeEPSG_NS1_7vsmem_tEENKUlT_SE_SF_SG_E_clIS8_S8_S9_S9_EESD_ST_SE_SF_SG_EUlST_E1_NS1_11comp_targetILNS1_3genE5ELNS1_11target_archE942ELNS1_3gpuE9ELNS1_3repE0EEENS1_36merge_oddeven_config_static_selectorELNS0_4arch9wavefront6targetE0EEEvSF_
		.amdhsa_group_segment_fixed_size 0
		.amdhsa_private_segment_fixed_size 0
		.amdhsa_kernarg_size 48
		.amdhsa_user_sgpr_count 2
		.amdhsa_user_sgpr_dispatch_ptr 0
		.amdhsa_user_sgpr_queue_ptr 0
		.amdhsa_user_sgpr_kernarg_segment_ptr 1
		.amdhsa_user_sgpr_dispatch_id 0
		.amdhsa_user_sgpr_kernarg_preload_length 0
		.amdhsa_user_sgpr_kernarg_preload_offset 0
		.amdhsa_user_sgpr_private_segment_size 0
		.amdhsa_wavefront_size32 1
		.amdhsa_uses_dynamic_stack 0
		.amdhsa_enable_private_segment 0
		.amdhsa_system_sgpr_workgroup_id_x 1
		.amdhsa_system_sgpr_workgroup_id_y 0
		.amdhsa_system_sgpr_workgroup_id_z 0
		.amdhsa_system_sgpr_workgroup_info 0
		.amdhsa_system_vgpr_workitem_id 0
		.amdhsa_next_free_vgpr 1
		.amdhsa_next_free_sgpr 1
		.amdhsa_named_barrier_count 0
		.amdhsa_reserve_vcc 0
		.amdhsa_float_round_mode_32 0
		.amdhsa_float_round_mode_16_64 0
		.amdhsa_float_denorm_mode_32 3
		.amdhsa_float_denorm_mode_16_64 3
		.amdhsa_fp16_overflow 0
		.amdhsa_memory_ordered 1
		.amdhsa_forward_progress 1
		.amdhsa_inst_pref_size 0
		.amdhsa_round_robin_scheduling 0
		.amdhsa_exception_fp_ieee_invalid_op 0
		.amdhsa_exception_fp_denorm_src 0
		.amdhsa_exception_fp_ieee_div_zero 0
		.amdhsa_exception_fp_ieee_overflow 0
		.amdhsa_exception_fp_ieee_underflow 0
		.amdhsa_exception_fp_ieee_inexact 0
		.amdhsa_exception_int_div_zero 0
	.end_amdhsa_kernel
	.section	.text._ZN7rocprim17ROCPRIM_400000_NS6detail17trampoline_kernelINS0_14default_configENS1_38merge_sort_block_merge_config_selectorIjNS0_10empty_typeEEEZZNS1_27merge_sort_block_merge_implIS3_PjPS5_jNS1_19radix_merge_compareILb1ELb0EjNS0_19identity_decomposerEEEEE10hipError_tT0_T1_T2_jT3_P12ihipStream_tbPNSt15iterator_traitsISE_E10value_typeEPNSK_ISF_E10value_typeEPSG_NS1_7vsmem_tEENKUlT_SE_SF_SG_E_clIS8_S8_S9_S9_EESD_ST_SE_SF_SG_EUlST_E1_NS1_11comp_targetILNS1_3genE5ELNS1_11target_archE942ELNS1_3gpuE9ELNS1_3repE0EEENS1_36merge_oddeven_config_static_selectorELNS0_4arch9wavefront6targetE0EEEvSF_,"axG",@progbits,_ZN7rocprim17ROCPRIM_400000_NS6detail17trampoline_kernelINS0_14default_configENS1_38merge_sort_block_merge_config_selectorIjNS0_10empty_typeEEEZZNS1_27merge_sort_block_merge_implIS3_PjPS5_jNS1_19radix_merge_compareILb1ELb0EjNS0_19identity_decomposerEEEEE10hipError_tT0_T1_T2_jT3_P12ihipStream_tbPNSt15iterator_traitsISE_E10value_typeEPNSK_ISF_E10value_typeEPSG_NS1_7vsmem_tEENKUlT_SE_SF_SG_E_clIS8_S8_S9_S9_EESD_ST_SE_SF_SG_EUlST_E1_NS1_11comp_targetILNS1_3genE5ELNS1_11target_archE942ELNS1_3gpuE9ELNS1_3repE0EEENS1_36merge_oddeven_config_static_selectorELNS0_4arch9wavefront6targetE0EEEvSF_,comdat
.Lfunc_end2569:
	.size	_ZN7rocprim17ROCPRIM_400000_NS6detail17trampoline_kernelINS0_14default_configENS1_38merge_sort_block_merge_config_selectorIjNS0_10empty_typeEEEZZNS1_27merge_sort_block_merge_implIS3_PjPS5_jNS1_19radix_merge_compareILb1ELb0EjNS0_19identity_decomposerEEEEE10hipError_tT0_T1_T2_jT3_P12ihipStream_tbPNSt15iterator_traitsISE_E10value_typeEPNSK_ISF_E10value_typeEPSG_NS1_7vsmem_tEENKUlT_SE_SF_SG_E_clIS8_S8_S9_S9_EESD_ST_SE_SF_SG_EUlST_E1_NS1_11comp_targetILNS1_3genE5ELNS1_11target_archE942ELNS1_3gpuE9ELNS1_3repE0EEENS1_36merge_oddeven_config_static_selectorELNS0_4arch9wavefront6targetE0EEEvSF_, .Lfunc_end2569-_ZN7rocprim17ROCPRIM_400000_NS6detail17trampoline_kernelINS0_14default_configENS1_38merge_sort_block_merge_config_selectorIjNS0_10empty_typeEEEZZNS1_27merge_sort_block_merge_implIS3_PjPS5_jNS1_19radix_merge_compareILb1ELb0EjNS0_19identity_decomposerEEEEE10hipError_tT0_T1_T2_jT3_P12ihipStream_tbPNSt15iterator_traitsISE_E10value_typeEPNSK_ISF_E10value_typeEPSG_NS1_7vsmem_tEENKUlT_SE_SF_SG_E_clIS8_S8_S9_S9_EESD_ST_SE_SF_SG_EUlST_E1_NS1_11comp_targetILNS1_3genE5ELNS1_11target_archE942ELNS1_3gpuE9ELNS1_3repE0EEENS1_36merge_oddeven_config_static_selectorELNS0_4arch9wavefront6targetE0EEEvSF_
                                        ; -- End function
	.set _ZN7rocprim17ROCPRIM_400000_NS6detail17trampoline_kernelINS0_14default_configENS1_38merge_sort_block_merge_config_selectorIjNS0_10empty_typeEEEZZNS1_27merge_sort_block_merge_implIS3_PjPS5_jNS1_19radix_merge_compareILb1ELb0EjNS0_19identity_decomposerEEEEE10hipError_tT0_T1_T2_jT3_P12ihipStream_tbPNSt15iterator_traitsISE_E10value_typeEPNSK_ISF_E10value_typeEPSG_NS1_7vsmem_tEENKUlT_SE_SF_SG_E_clIS8_S8_S9_S9_EESD_ST_SE_SF_SG_EUlST_E1_NS1_11comp_targetILNS1_3genE5ELNS1_11target_archE942ELNS1_3gpuE9ELNS1_3repE0EEENS1_36merge_oddeven_config_static_selectorELNS0_4arch9wavefront6targetE0EEEvSF_.num_vgpr, 0
	.set _ZN7rocprim17ROCPRIM_400000_NS6detail17trampoline_kernelINS0_14default_configENS1_38merge_sort_block_merge_config_selectorIjNS0_10empty_typeEEEZZNS1_27merge_sort_block_merge_implIS3_PjPS5_jNS1_19radix_merge_compareILb1ELb0EjNS0_19identity_decomposerEEEEE10hipError_tT0_T1_T2_jT3_P12ihipStream_tbPNSt15iterator_traitsISE_E10value_typeEPNSK_ISF_E10value_typeEPSG_NS1_7vsmem_tEENKUlT_SE_SF_SG_E_clIS8_S8_S9_S9_EESD_ST_SE_SF_SG_EUlST_E1_NS1_11comp_targetILNS1_3genE5ELNS1_11target_archE942ELNS1_3gpuE9ELNS1_3repE0EEENS1_36merge_oddeven_config_static_selectorELNS0_4arch9wavefront6targetE0EEEvSF_.num_agpr, 0
	.set _ZN7rocprim17ROCPRIM_400000_NS6detail17trampoline_kernelINS0_14default_configENS1_38merge_sort_block_merge_config_selectorIjNS0_10empty_typeEEEZZNS1_27merge_sort_block_merge_implIS3_PjPS5_jNS1_19radix_merge_compareILb1ELb0EjNS0_19identity_decomposerEEEEE10hipError_tT0_T1_T2_jT3_P12ihipStream_tbPNSt15iterator_traitsISE_E10value_typeEPNSK_ISF_E10value_typeEPSG_NS1_7vsmem_tEENKUlT_SE_SF_SG_E_clIS8_S8_S9_S9_EESD_ST_SE_SF_SG_EUlST_E1_NS1_11comp_targetILNS1_3genE5ELNS1_11target_archE942ELNS1_3gpuE9ELNS1_3repE0EEENS1_36merge_oddeven_config_static_selectorELNS0_4arch9wavefront6targetE0EEEvSF_.numbered_sgpr, 0
	.set _ZN7rocprim17ROCPRIM_400000_NS6detail17trampoline_kernelINS0_14default_configENS1_38merge_sort_block_merge_config_selectorIjNS0_10empty_typeEEEZZNS1_27merge_sort_block_merge_implIS3_PjPS5_jNS1_19radix_merge_compareILb1ELb0EjNS0_19identity_decomposerEEEEE10hipError_tT0_T1_T2_jT3_P12ihipStream_tbPNSt15iterator_traitsISE_E10value_typeEPNSK_ISF_E10value_typeEPSG_NS1_7vsmem_tEENKUlT_SE_SF_SG_E_clIS8_S8_S9_S9_EESD_ST_SE_SF_SG_EUlST_E1_NS1_11comp_targetILNS1_3genE5ELNS1_11target_archE942ELNS1_3gpuE9ELNS1_3repE0EEENS1_36merge_oddeven_config_static_selectorELNS0_4arch9wavefront6targetE0EEEvSF_.num_named_barrier, 0
	.set _ZN7rocprim17ROCPRIM_400000_NS6detail17trampoline_kernelINS0_14default_configENS1_38merge_sort_block_merge_config_selectorIjNS0_10empty_typeEEEZZNS1_27merge_sort_block_merge_implIS3_PjPS5_jNS1_19radix_merge_compareILb1ELb0EjNS0_19identity_decomposerEEEEE10hipError_tT0_T1_T2_jT3_P12ihipStream_tbPNSt15iterator_traitsISE_E10value_typeEPNSK_ISF_E10value_typeEPSG_NS1_7vsmem_tEENKUlT_SE_SF_SG_E_clIS8_S8_S9_S9_EESD_ST_SE_SF_SG_EUlST_E1_NS1_11comp_targetILNS1_3genE5ELNS1_11target_archE942ELNS1_3gpuE9ELNS1_3repE0EEENS1_36merge_oddeven_config_static_selectorELNS0_4arch9wavefront6targetE0EEEvSF_.private_seg_size, 0
	.set _ZN7rocprim17ROCPRIM_400000_NS6detail17trampoline_kernelINS0_14default_configENS1_38merge_sort_block_merge_config_selectorIjNS0_10empty_typeEEEZZNS1_27merge_sort_block_merge_implIS3_PjPS5_jNS1_19radix_merge_compareILb1ELb0EjNS0_19identity_decomposerEEEEE10hipError_tT0_T1_T2_jT3_P12ihipStream_tbPNSt15iterator_traitsISE_E10value_typeEPNSK_ISF_E10value_typeEPSG_NS1_7vsmem_tEENKUlT_SE_SF_SG_E_clIS8_S8_S9_S9_EESD_ST_SE_SF_SG_EUlST_E1_NS1_11comp_targetILNS1_3genE5ELNS1_11target_archE942ELNS1_3gpuE9ELNS1_3repE0EEENS1_36merge_oddeven_config_static_selectorELNS0_4arch9wavefront6targetE0EEEvSF_.uses_vcc, 0
	.set _ZN7rocprim17ROCPRIM_400000_NS6detail17trampoline_kernelINS0_14default_configENS1_38merge_sort_block_merge_config_selectorIjNS0_10empty_typeEEEZZNS1_27merge_sort_block_merge_implIS3_PjPS5_jNS1_19radix_merge_compareILb1ELb0EjNS0_19identity_decomposerEEEEE10hipError_tT0_T1_T2_jT3_P12ihipStream_tbPNSt15iterator_traitsISE_E10value_typeEPNSK_ISF_E10value_typeEPSG_NS1_7vsmem_tEENKUlT_SE_SF_SG_E_clIS8_S8_S9_S9_EESD_ST_SE_SF_SG_EUlST_E1_NS1_11comp_targetILNS1_3genE5ELNS1_11target_archE942ELNS1_3gpuE9ELNS1_3repE0EEENS1_36merge_oddeven_config_static_selectorELNS0_4arch9wavefront6targetE0EEEvSF_.uses_flat_scratch, 0
	.set _ZN7rocprim17ROCPRIM_400000_NS6detail17trampoline_kernelINS0_14default_configENS1_38merge_sort_block_merge_config_selectorIjNS0_10empty_typeEEEZZNS1_27merge_sort_block_merge_implIS3_PjPS5_jNS1_19radix_merge_compareILb1ELb0EjNS0_19identity_decomposerEEEEE10hipError_tT0_T1_T2_jT3_P12ihipStream_tbPNSt15iterator_traitsISE_E10value_typeEPNSK_ISF_E10value_typeEPSG_NS1_7vsmem_tEENKUlT_SE_SF_SG_E_clIS8_S8_S9_S9_EESD_ST_SE_SF_SG_EUlST_E1_NS1_11comp_targetILNS1_3genE5ELNS1_11target_archE942ELNS1_3gpuE9ELNS1_3repE0EEENS1_36merge_oddeven_config_static_selectorELNS0_4arch9wavefront6targetE0EEEvSF_.has_dyn_sized_stack, 0
	.set _ZN7rocprim17ROCPRIM_400000_NS6detail17trampoline_kernelINS0_14default_configENS1_38merge_sort_block_merge_config_selectorIjNS0_10empty_typeEEEZZNS1_27merge_sort_block_merge_implIS3_PjPS5_jNS1_19radix_merge_compareILb1ELb0EjNS0_19identity_decomposerEEEEE10hipError_tT0_T1_T2_jT3_P12ihipStream_tbPNSt15iterator_traitsISE_E10value_typeEPNSK_ISF_E10value_typeEPSG_NS1_7vsmem_tEENKUlT_SE_SF_SG_E_clIS8_S8_S9_S9_EESD_ST_SE_SF_SG_EUlST_E1_NS1_11comp_targetILNS1_3genE5ELNS1_11target_archE942ELNS1_3gpuE9ELNS1_3repE0EEENS1_36merge_oddeven_config_static_selectorELNS0_4arch9wavefront6targetE0EEEvSF_.has_recursion, 0
	.set _ZN7rocprim17ROCPRIM_400000_NS6detail17trampoline_kernelINS0_14default_configENS1_38merge_sort_block_merge_config_selectorIjNS0_10empty_typeEEEZZNS1_27merge_sort_block_merge_implIS3_PjPS5_jNS1_19radix_merge_compareILb1ELb0EjNS0_19identity_decomposerEEEEE10hipError_tT0_T1_T2_jT3_P12ihipStream_tbPNSt15iterator_traitsISE_E10value_typeEPNSK_ISF_E10value_typeEPSG_NS1_7vsmem_tEENKUlT_SE_SF_SG_E_clIS8_S8_S9_S9_EESD_ST_SE_SF_SG_EUlST_E1_NS1_11comp_targetILNS1_3genE5ELNS1_11target_archE942ELNS1_3gpuE9ELNS1_3repE0EEENS1_36merge_oddeven_config_static_selectorELNS0_4arch9wavefront6targetE0EEEvSF_.has_indirect_call, 0
	.section	.AMDGPU.csdata,"",@progbits
; Kernel info:
; codeLenInByte = 0
; TotalNumSgprs: 0
; NumVgprs: 0
; ScratchSize: 0
; MemoryBound: 0
; FloatMode: 240
; IeeeMode: 1
; LDSByteSize: 0 bytes/workgroup (compile time only)
; SGPRBlocks: 0
; VGPRBlocks: 0
; NumSGPRsForWavesPerEU: 1
; NumVGPRsForWavesPerEU: 1
; NamedBarCnt: 0
; Occupancy: 16
; WaveLimiterHint : 0
; COMPUTE_PGM_RSRC2:SCRATCH_EN: 0
; COMPUTE_PGM_RSRC2:USER_SGPR: 2
; COMPUTE_PGM_RSRC2:TRAP_HANDLER: 0
; COMPUTE_PGM_RSRC2:TGID_X_EN: 1
; COMPUTE_PGM_RSRC2:TGID_Y_EN: 0
; COMPUTE_PGM_RSRC2:TGID_Z_EN: 0
; COMPUTE_PGM_RSRC2:TIDIG_COMP_CNT: 0
	.section	.text._ZN7rocprim17ROCPRIM_400000_NS6detail17trampoline_kernelINS0_14default_configENS1_38merge_sort_block_merge_config_selectorIjNS0_10empty_typeEEEZZNS1_27merge_sort_block_merge_implIS3_PjPS5_jNS1_19radix_merge_compareILb1ELb0EjNS0_19identity_decomposerEEEEE10hipError_tT0_T1_T2_jT3_P12ihipStream_tbPNSt15iterator_traitsISE_E10value_typeEPNSK_ISF_E10value_typeEPSG_NS1_7vsmem_tEENKUlT_SE_SF_SG_E_clIS8_S8_S9_S9_EESD_ST_SE_SF_SG_EUlST_E1_NS1_11comp_targetILNS1_3genE4ELNS1_11target_archE910ELNS1_3gpuE8ELNS1_3repE0EEENS1_36merge_oddeven_config_static_selectorELNS0_4arch9wavefront6targetE0EEEvSF_,"axG",@progbits,_ZN7rocprim17ROCPRIM_400000_NS6detail17trampoline_kernelINS0_14default_configENS1_38merge_sort_block_merge_config_selectorIjNS0_10empty_typeEEEZZNS1_27merge_sort_block_merge_implIS3_PjPS5_jNS1_19radix_merge_compareILb1ELb0EjNS0_19identity_decomposerEEEEE10hipError_tT0_T1_T2_jT3_P12ihipStream_tbPNSt15iterator_traitsISE_E10value_typeEPNSK_ISF_E10value_typeEPSG_NS1_7vsmem_tEENKUlT_SE_SF_SG_E_clIS8_S8_S9_S9_EESD_ST_SE_SF_SG_EUlST_E1_NS1_11comp_targetILNS1_3genE4ELNS1_11target_archE910ELNS1_3gpuE8ELNS1_3repE0EEENS1_36merge_oddeven_config_static_selectorELNS0_4arch9wavefront6targetE0EEEvSF_,comdat
	.protected	_ZN7rocprim17ROCPRIM_400000_NS6detail17trampoline_kernelINS0_14default_configENS1_38merge_sort_block_merge_config_selectorIjNS0_10empty_typeEEEZZNS1_27merge_sort_block_merge_implIS3_PjPS5_jNS1_19radix_merge_compareILb1ELb0EjNS0_19identity_decomposerEEEEE10hipError_tT0_T1_T2_jT3_P12ihipStream_tbPNSt15iterator_traitsISE_E10value_typeEPNSK_ISF_E10value_typeEPSG_NS1_7vsmem_tEENKUlT_SE_SF_SG_E_clIS8_S8_S9_S9_EESD_ST_SE_SF_SG_EUlST_E1_NS1_11comp_targetILNS1_3genE4ELNS1_11target_archE910ELNS1_3gpuE8ELNS1_3repE0EEENS1_36merge_oddeven_config_static_selectorELNS0_4arch9wavefront6targetE0EEEvSF_ ; -- Begin function _ZN7rocprim17ROCPRIM_400000_NS6detail17trampoline_kernelINS0_14default_configENS1_38merge_sort_block_merge_config_selectorIjNS0_10empty_typeEEEZZNS1_27merge_sort_block_merge_implIS3_PjPS5_jNS1_19radix_merge_compareILb1ELb0EjNS0_19identity_decomposerEEEEE10hipError_tT0_T1_T2_jT3_P12ihipStream_tbPNSt15iterator_traitsISE_E10value_typeEPNSK_ISF_E10value_typeEPSG_NS1_7vsmem_tEENKUlT_SE_SF_SG_E_clIS8_S8_S9_S9_EESD_ST_SE_SF_SG_EUlST_E1_NS1_11comp_targetILNS1_3genE4ELNS1_11target_archE910ELNS1_3gpuE8ELNS1_3repE0EEENS1_36merge_oddeven_config_static_selectorELNS0_4arch9wavefront6targetE0EEEvSF_
	.globl	_ZN7rocprim17ROCPRIM_400000_NS6detail17trampoline_kernelINS0_14default_configENS1_38merge_sort_block_merge_config_selectorIjNS0_10empty_typeEEEZZNS1_27merge_sort_block_merge_implIS3_PjPS5_jNS1_19radix_merge_compareILb1ELb0EjNS0_19identity_decomposerEEEEE10hipError_tT0_T1_T2_jT3_P12ihipStream_tbPNSt15iterator_traitsISE_E10value_typeEPNSK_ISF_E10value_typeEPSG_NS1_7vsmem_tEENKUlT_SE_SF_SG_E_clIS8_S8_S9_S9_EESD_ST_SE_SF_SG_EUlST_E1_NS1_11comp_targetILNS1_3genE4ELNS1_11target_archE910ELNS1_3gpuE8ELNS1_3repE0EEENS1_36merge_oddeven_config_static_selectorELNS0_4arch9wavefront6targetE0EEEvSF_
	.p2align	8
	.type	_ZN7rocprim17ROCPRIM_400000_NS6detail17trampoline_kernelINS0_14default_configENS1_38merge_sort_block_merge_config_selectorIjNS0_10empty_typeEEEZZNS1_27merge_sort_block_merge_implIS3_PjPS5_jNS1_19radix_merge_compareILb1ELb0EjNS0_19identity_decomposerEEEEE10hipError_tT0_T1_T2_jT3_P12ihipStream_tbPNSt15iterator_traitsISE_E10value_typeEPNSK_ISF_E10value_typeEPSG_NS1_7vsmem_tEENKUlT_SE_SF_SG_E_clIS8_S8_S9_S9_EESD_ST_SE_SF_SG_EUlST_E1_NS1_11comp_targetILNS1_3genE4ELNS1_11target_archE910ELNS1_3gpuE8ELNS1_3repE0EEENS1_36merge_oddeven_config_static_selectorELNS0_4arch9wavefront6targetE0EEEvSF_,@function
_ZN7rocprim17ROCPRIM_400000_NS6detail17trampoline_kernelINS0_14default_configENS1_38merge_sort_block_merge_config_selectorIjNS0_10empty_typeEEEZZNS1_27merge_sort_block_merge_implIS3_PjPS5_jNS1_19radix_merge_compareILb1ELb0EjNS0_19identity_decomposerEEEEE10hipError_tT0_T1_T2_jT3_P12ihipStream_tbPNSt15iterator_traitsISE_E10value_typeEPNSK_ISF_E10value_typeEPSG_NS1_7vsmem_tEENKUlT_SE_SF_SG_E_clIS8_S8_S9_S9_EESD_ST_SE_SF_SG_EUlST_E1_NS1_11comp_targetILNS1_3genE4ELNS1_11target_archE910ELNS1_3gpuE8ELNS1_3repE0EEENS1_36merge_oddeven_config_static_selectorELNS0_4arch9wavefront6targetE0EEEvSF_: ; @_ZN7rocprim17ROCPRIM_400000_NS6detail17trampoline_kernelINS0_14default_configENS1_38merge_sort_block_merge_config_selectorIjNS0_10empty_typeEEEZZNS1_27merge_sort_block_merge_implIS3_PjPS5_jNS1_19radix_merge_compareILb1ELb0EjNS0_19identity_decomposerEEEEE10hipError_tT0_T1_T2_jT3_P12ihipStream_tbPNSt15iterator_traitsISE_E10value_typeEPNSK_ISF_E10value_typeEPSG_NS1_7vsmem_tEENKUlT_SE_SF_SG_E_clIS8_S8_S9_S9_EESD_ST_SE_SF_SG_EUlST_E1_NS1_11comp_targetILNS1_3genE4ELNS1_11target_archE910ELNS1_3gpuE8ELNS1_3repE0EEENS1_36merge_oddeven_config_static_selectorELNS0_4arch9wavefront6targetE0EEEvSF_
; %bb.0:
	.section	.rodata,"a",@progbits
	.p2align	6, 0x0
	.amdhsa_kernel _ZN7rocprim17ROCPRIM_400000_NS6detail17trampoline_kernelINS0_14default_configENS1_38merge_sort_block_merge_config_selectorIjNS0_10empty_typeEEEZZNS1_27merge_sort_block_merge_implIS3_PjPS5_jNS1_19radix_merge_compareILb1ELb0EjNS0_19identity_decomposerEEEEE10hipError_tT0_T1_T2_jT3_P12ihipStream_tbPNSt15iterator_traitsISE_E10value_typeEPNSK_ISF_E10value_typeEPSG_NS1_7vsmem_tEENKUlT_SE_SF_SG_E_clIS8_S8_S9_S9_EESD_ST_SE_SF_SG_EUlST_E1_NS1_11comp_targetILNS1_3genE4ELNS1_11target_archE910ELNS1_3gpuE8ELNS1_3repE0EEENS1_36merge_oddeven_config_static_selectorELNS0_4arch9wavefront6targetE0EEEvSF_
		.amdhsa_group_segment_fixed_size 0
		.amdhsa_private_segment_fixed_size 0
		.amdhsa_kernarg_size 48
		.amdhsa_user_sgpr_count 2
		.amdhsa_user_sgpr_dispatch_ptr 0
		.amdhsa_user_sgpr_queue_ptr 0
		.amdhsa_user_sgpr_kernarg_segment_ptr 1
		.amdhsa_user_sgpr_dispatch_id 0
		.amdhsa_user_sgpr_kernarg_preload_length 0
		.amdhsa_user_sgpr_kernarg_preload_offset 0
		.amdhsa_user_sgpr_private_segment_size 0
		.amdhsa_wavefront_size32 1
		.amdhsa_uses_dynamic_stack 0
		.amdhsa_enable_private_segment 0
		.amdhsa_system_sgpr_workgroup_id_x 1
		.amdhsa_system_sgpr_workgroup_id_y 0
		.amdhsa_system_sgpr_workgroup_id_z 0
		.amdhsa_system_sgpr_workgroup_info 0
		.amdhsa_system_vgpr_workitem_id 0
		.amdhsa_next_free_vgpr 1
		.amdhsa_next_free_sgpr 1
		.amdhsa_named_barrier_count 0
		.amdhsa_reserve_vcc 0
		.amdhsa_float_round_mode_32 0
		.amdhsa_float_round_mode_16_64 0
		.amdhsa_float_denorm_mode_32 3
		.amdhsa_float_denorm_mode_16_64 3
		.amdhsa_fp16_overflow 0
		.amdhsa_memory_ordered 1
		.amdhsa_forward_progress 1
		.amdhsa_inst_pref_size 0
		.amdhsa_round_robin_scheduling 0
		.amdhsa_exception_fp_ieee_invalid_op 0
		.amdhsa_exception_fp_denorm_src 0
		.amdhsa_exception_fp_ieee_div_zero 0
		.amdhsa_exception_fp_ieee_overflow 0
		.amdhsa_exception_fp_ieee_underflow 0
		.amdhsa_exception_fp_ieee_inexact 0
		.amdhsa_exception_int_div_zero 0
	.end_amdhsa_kernel
	.section	.text._ZN7rocprim17ROCPRIM_400000_NS6detail17trampoline_kernelINS0_14default_configENS1_38merge_sort_block_merge_config_selectorIjNS0_10empty_typeEEEZZNS1_27merge_sort_block_merge_implIS3_PjPS5_jNS1_19radix_merge_compareILb1ELb0EjNS0_19identity_decomposerEEEEE10hipError_tT0_T1_T2_jT3_P12ihipStream_tbPNSt15iterator_traitsISE_E10value_typeEPNSK_ISF_E10value_typeEPSG_NS1_7vsmem_tEENKUlT_SE_SF_SG_E_clIS8_S8_S9_S9_EESD_ST_SE_SF_SG_EUlST_E1_NS1_11comp_targetILNS1_3genE4ELNS1_11target_archE910ELNS1_3gpuE8ELNS1_3repE0EEENS1_36merge_oddeven_config_static_selectorELNS0_4arch9wavefront6targetE0EEEvSF_,"axG",@progbits,_ZN7rocprim17ROCPRIM_400000_NS6detail17trampoline_kernelINS0_14default_configENS1_38merge_sort_block_merge_config_selectorIjNS0_10empty_typeEEEZZNS1_27merge_sort_block_merge_implIS3_PjPS5_jNS1_19radix_merge_compareILb1ELb0EjNS0_19identity_decomposerEEEEE10hipError_tT0_T1_T2_jT3_P12ihipStream_tbPNSt15iterator_traitsISE_E10value_typeEPNSK_ISF_E10value_typeEPSG_NS1_7vsmem_tEENKUlT_SE_SF_SG_E_clIS8_S8_S9_S9_EESD_ST_SE_SF_SG_EUlST_E1_NS1_11comp_targetILNS1_3genE4ELNS1_11target_archE910ELNS1_3gpuE8ELNS1_3repE0EEENS1_36merge_oddeven_config_static_selectorELNS0_4arch9wavefront6targetE0EEEvSF_,comdat
.Lfunc_end2570:
	.size	_ZN7rocprim17ROCPRIM_400000_NS6detail17trampoline_kernelINS0_14default_configENS1_38merge_sort_block_merge_config_selectorIjNS0_10empty_typeEEEZZNS1_27merge_sort_block_merge_implIS3_PjPS5_jNS1_19radix_merge_compareILb1ELb0EjNS0_19identity_decomposerEEEEE10hipError_tT0_T1_T2_jT3_P12ihipStream_tbPNSt15iterator_traitsISE_E10value_typeEPNSK_ISF_E10value_typeEPSG_NS1_7vsmem_tEENKUlT_SE_SF_SG_E_clIS8_S8_S9_S9_EESD_ST_SE_SF_SG_EUlST_E1_NS1_11comp_targetILNS1_3genE4ELNS1_11target_archE910ELNS1_3gpuE8ELNS1_3repE0EEENS1_36merge_oddeven_config_static_selectorELNS0_4arch9wavefront6targetE0EEEvSF_, .Lfunc_end2570-_ZN7rocprim17ROCPRIM_400000_NS6detail17trampoline_kernelINS0_14default_configENS1_38merge_sort_block_merge_config_selectorIjNS0_10empty_typeEEEZZNS1_27merge_sort_block_merge_implIS3_PjPS5_jNS1_19radix_merge_compareILb1ELb0EjNS0_19identity_decomposerEEEEE10hipError_tT0_T1_T2_jT3_P12ihipStream_tbPNSt15iterator_traitsISE_E10value_typeEPNSK_ISF_E10value_typeEPSG_NS1_7vsmem_tEENKUlT_SE_SF_SG_E_clIS8_S8_S9_S9_EESD_ST_SE_SF_SG_EUlST_E1_NS1_11comp_targetILNS1_3genE4ELNS1_11target_archE910ELNS1_3gpuE8ELNS1_3repE0EEENS1_36merge_oddeven_config_static_selectorELNS0_4arch9wavefront6targetE0EEEvSF_
                                        ; -- End function
	.set _ZN7rocprim17ROCPRIM_400000_NS6detail17trampoline_kernelINS0_14default_configENS1_38merge_sort_block_merge_config_selectorIjNS0_10empty_typeEEEZZNS1_27merge_sort_block_merge_implIS3_PjPS5_jNS1_19radix_merge_compareILb1ELb0EjNS0_19identity_decomposerEEEEE10hipError_tT0_T1_T2_jT3_P12ihipStream_tbPNSt15iterator_traitsISE_E10value_typeEPNSK_ISF_E10value_typeEPSG_NS1_7vsmem_tEENKUlT_SE_SF_SG_E_clIS8_S8_S9_S9_EESD_ST_SE_SF_SG_EUlST_E1_NS1_11comp_targetILNS1_3genE4ELNS1_11target_archE910ELNS1_3gpuE8ELNS1_3repE0EEENS1_36merge_oddeven_config_static_selectorELNS0_4arch9wavefront6targetE0EEEvSF_.num_vgpr, 0
	.set _ZN7rocprim17ROCPRIM_400000_NS6detail17trampoline_kernelINS0_14default_configENS1_38merge_sort_block_merge_config_selectorIjNS0_10empty_typeEEEZZNS1_27merge_sort_block_merge_implIS3_PjPS5_jNS1_19radix_merge_compareILb1ELb0EjNS0_19identity_decomposerEEEEE10hipError_tT0_T1_T2_jT3_P12ihipStream_tbPNSt15iterator_traitsISE_E10value_typeEPNSK_ISF_E10value_typeEPSG_NS1_7vsmem_tEENKUlT_SE_SF_SG_E_clIS8_S8_S9_S9_EESD_ST_SE_SF_SG_EUlST_E1_NS1_11comp_targetILNS1_3genE4ELNS1_11target_archE910ELNS1_3gpuE8ELNS1_3repE0EEENS1_36merge_oddeven_config_static_selectorELNS0_4arch9wavefront6targetE0EEEvSF_.num_agpr, 0
	.set _ZN7rocprim17ROCPRIM_400000_NS6detail17trampoline_kernelINS0_14default_configENS1_38merge_sort_block_merge_config_selectorIjNS0_10empty_typeEEEZZNS1_27merge_sort_block_merge_implIS3_PjPS5_jNS1_19radix_merge_compareILb1ELb0EjNS0_19identity_decomposerEEEEE10hipError_tT0_T1_T2_jT3_P12ihipStream_tbPNSt15iterator_traitsISE_E10value_typeEPNSK_ISF_E10value_typeEPSG_NS1_7vsmem_tEENKUlT_SE_SF_SG_E_clIS8_S8_S9_S9_EESD_ST_SE_SF_SG_EUlST_E1_NS1_11comp_targetILNS1_3genE4ELNS1_11target_archE910ELNS1_3gpuE8ELNS1_3repE0EEENS1_36merge_oddeven_config_static_selectorELNS0_4arch9wavefront6targetE0EEEvSF_.numbered_sgpr, 0
	.set _ZN7rocprim17ROCPRIM_400000_NS6detail17trampoline_kernelINS0_14default_configENS1_38merge_sort_block_merge_config_selectorIjNS0_10empty_typeEEEZZNS1_27merge_sort_block_merge_implIS3_PjPS5_jNS1_19radix_merge_compareILb1ELb0EjNS0_19identity_decomposerEEEEE10hipError_tT0_T1_T2_jT3_P12ihipStream_tbPNSt15iterator_traitsISE_E10value_typeEPNSK_ISF_E10value_typeEPSG_NS1_7vsmem_tEENKUlT_SE_SF_SG_E_clIS8_S8_S9_S9_EESD_ST_SE_SF_SG_EUlST_E1_NS1_11comp_targetILNS1_3genE4ELNS1_11target_archE910ELNS1_3gpuE8ELNS1_3repE0EEENS1_36merge_oddeven_config_static_selectorELNS0_4arch9wavefront6targetE0EEEvSF_.num_named_barrier, 0
	.set _ZN7rocprim17ROCPRIM_400000_NS6detail17trampoline_kernelINS0_14default_configENS1_38merge_sort_block_merge_config_selectorIjNS0_10empty_typeEEEZZNS1_27merge_sort_block_merge_implIS3_PjPS5_jNS1_19radix_merge_compareILb1ELb0EjNS0_19identity_decomposerEEEEE10hipError_tT0_T1_T2_jT3_P12ihipStream_tbPNSt15iterator_traitsISE_E10value_typeEPNSK_ISF_E10value_typeEPSG_NS1_7vsmem_tEENKUlT_SE_SF_SG_E_clIS8_S8_S9_S9_EESD_ST_SE_SF_SG_EUlST_E1_NS1_11comp_targetILNS1_3genE4ELNS1_11target_archE910ELNS1_3gpuE8ELNS1_3repE0EEENS1_36merge_oddeven_config_static_selectorELNS0_4arch9wavefront6targetE0EEEvSF_.private_seg_size, 0
	.set _ZN7rocprim17ROCPRIM_400000_NS6detail17trampoline_kernelINS0_14default_configENS1_38merge_sort_block_merge_config_selectorIjNS0_10empty_typeEEEZZNS1_27merge_sort_block_merge_implIS3_PjPS5_jNS1_19radix_merge_compareILb1ELb0EjNS0_19identity_decomposerEEEEE10hipError_tT0_T1_T2_jT3_P12ihipStream_tbPNSt15iterator_traitsISE_E10value_typeEPNSK_ISF_E10value_typeEPSG_NS1_7vsmem_tEENKUlT_SE_SF_SG_E_clIS8_S8_S9_S9_EESD_ST_SE_SF_SG_EUlST_E1_NS1_11comp_targetILNS1_3genE4ELNS1_11target_archE910ELNS1_3gpuE8ELNS1_3repE0EEENS1_36merge_oddeven_config_static_selectorELNS0_4arch9wavefront6targetE0EEEvSF_.uses_vcc, 0
	.set _ZN7rocprim17ROCPRIM_400000_NS6detail17trampoline_kernelINS0_14default_configENS1_38merge_sort_block_merge_config_selectorIjNS0_10empty_typeEEEZZNS1_27merge_sort_block_merge_implIS3_PjPS5_jNS1_19radix_merge_compareILb1ELb0EjNS0_19identity_decomposerEEEEE10hipError_tT0_T1_T2_jT3_P12ihipStream_tbPNSt15iterator_traitsISE_E10value_typeEPNSK_ISF_E10value_typeEPSG_NS1_7vsmem_tEENKUlT_SE_SF_SG_E_clIS8_S8_S9_S9_EESD_ST_SE_SF_SG_EUlST_E1_NS1_11comp_targetILNS1_3genE4ELNS1_11target_archE910ELNS1_3gpuE8ELNS1_3repE0EEENS1_36merge_oddeven_config_static_selectorELNS0_4arch9wavefront6targetE0EEEvSF_.uses_flat_scratch, 0
	.set _ZN7rocprim17ROCPRIM_400000_NS6detail17trampoline_kernelINS0_14default_configENS1_38merge_sort_block_merge_config_selectorIjNS0_10empty_typeEEEZZNS1_27merge_sort_block_merge_implIS3_PjPS5_jNS1_19radix_merge_compareILb1ELb0EjNS0_19identity_decomposerEEEEE10hipError_tT0_T1_T2_jT3_P12ihipStream_tbPNSt15iterator_traitsISE_E10value_typeEPNSK_ISF_E10value_typeEPSG_NS1_7vsmem_tEENKUlT_SE_SF_SG_E_clIS8_S8_S9_S9_EESD_ST_SE_SF_SG_EUlST_E1_NS1_11comp_targetILNS1_3genE4ELNS1_11target_archE910ELNS1_3gpuE8ELNS1_3repE0EEENS1_36merge_oddeven_config_static_selectorELNS0_4arch9wavefront6targetE0EEEvSF_.has_dyn_sized_stack, 0
	.set _ZN7rocprim17ROCPRIM_400000_NS6detail17trampoline_kernelINS0_14default_configENS1_38merge_sort_block_merge_config_selectorIjNS0_10empty_typeEEEZZNS1_27merge_sort_block_merge_implIS3_PjPS5_jNS1_19radix_merge_compareILb1ELb0EjNS0_19identity_decomposerEEEEE10hipError_tT0_T1_T2_jT3_P12ihipStream_tbPNSt15iterator_traitsISE_E10value_typeEPNSK_ISF_E10value_typeEPSG_NS1_7vsmem_tEENKUlT_SE_SF_SG_E_clIS8_S8_S9_S9_EESD_ST_SE_SF_SG_EUlST_E1_NS1_11comp_targetILNS1_3genE4ELNS1_11target_archE910ELNS1_3gpuE8ELNS1_3repE0EEENS1_36merge_oddeven_config_static_selectorELNS0_4arch9wavefront6targetE0EEEvSF_.has_recursion, 0
	.set _ZN7rocprim17ROCPRIM_400000_NS6detail17trampoline_kernelINS0_14default_configENS1_38merge_sort_block_merge_config_selectorIjNS0_10empty_typeEEEZZNS1_27merge_sort_block_merge_implIS3_PjPS5_jNS1_19radix_merge_compareILb1ELb0EjNS0_19identity_decomposerEEEEE10hipError_tT0_T1_T2_jT3_P12ihipStream_tbPNSt15iterator_traitsISE_E10value_typeEPNSK_ISF_E10value_typeEPSG_NS1_7vsmem_tEENKUlT_SE_SF_SG_E_clIS8_S8_S9_S9_EESD_ST_SE_SF_SG_EUlST_E1_NS1_11comp_targetILNS1_3genE4ELNS1_11target_archE910ELNS1_3gpuE8ELNS1_3repE0EEENS1_36merge_oddeven_config_static_selectorELNS0_4arch9wavefront6targetE0EEEvSF_.has_indirect_call, 0
	.section	.AMDGPU.csdata,"",@progbits
; Kernel info:
; codeLenInByte = 0
; TotalNumSgprs: 0
; NumVgprs: 0
; ScratchSize: 0
; MemoryBound: 0
; FloatMode: 240
; IeeeMode: 1
; LDSByteSize: 0 bytes/workgroup (compile time only)
; SGPRBlocks: 0
; VGPRBlocks: 0
; NumSGPRsForWavesPerEU: 1
; NumVGPRsForWavesPerEU: 1
; NamedBarCnt: 0
; Occupancy: 16
; WaveLimiterHint : 0
; COMPUTE_PGM_RSRC2:SCRATCH_EN: 0
; COMPUTE_PGM_RSRC2:USER_SGPR: 2
; COMPUTE_PGM_RSRC2:TRAP_HANDLER: 0
; COMPUTE_PGM_RSRC2:TGID_X_EN: 1
; COMPUTE_PGM_RSRC2:TGID_Y_EN: 0
; COMPUTE_PGM_RSRC2:TGID_Z_EN: 0
; COMPUTE_PGM_RSRC2:TIDIG_COMP_CNT: 0
	.section	.text._ZN7rocprim17ROCPRIM_400000_NS6detail17trampoline_kernelINS0_14default_configENS1_38merge_sort_block_merge_config_selectorIjNS0_10empty_typeEEEZZNS1_27merge_sort_block_merge_implIS3_PjPS5_jNS1_19radix_merge_compareILb1ELb0EjNS0_19identity_decomposerEEEEE10hipError_tT0_T1_T2_jT3_P12ihipStream_tbPNSt15iterator_traitsISE_E10value_typeEPNSK_ISF_E10value_typeEPSG_NS1_7vsmem_tEENKUlT_SE_SF_SG_E_clIS8_S8_S9_S9_EESD_ST_SE_SF_SG_EUlST_E1_NS1_11comp_targetILNS1_3genE3ELNS1_11target_archE908ELNS1_3gpuE7ELNS1_3repE0EEENS1_36merge_oddeven_config_static_selectorELNS0_4arch9wavefront6targetE0EEEvSF_,"axG",@progbits,_ZN7rocprim17ROCPRIM_400000_NS6detail17trampoline_kernelINS0_14default_configENS1_38merge_sort_block_merge_config_selectorIjNS0_10empty_typeEEEZZNS1_27merge_sort_block_merge_implIS3_PjPS5_jNS1_19radix_merge_compareILb1ELb0EjNS0_19identity_decomposerEEEEE10hipError_tT0_T1_T2_jT3_P12ihipStream_tbPNSt15iterator_traitsISE_E10value_typeEPNSK_ISF_E10value_typeEPSG_NS1_7vsmem_tEENKUlT_SE_SF_SG_E_clIS8_S8_S9_S9_EESD_ST_SE_SF_SG_EUlST_E1_NS1_11comp_targetILNS1_3genE3ELNS1_11target_archE908ELNS1_3gpuE7ELNS1_3repE0EEENS1_36merge_oddeven_config_static_selectorELNS0_4arch9wavefront6targetE0EEEvSF_,comdat
	.protected	_ZN7rocprim17ROCPRIM_400000_NS6detail17trampoline_kernelINS0_14default_configENS1_38merge_sort_block_merge_config_selectorIjNS0_10empty_typeEEEZZNS1_27merge_sort_block_merge_implIS3_PjPS5_jNS1_19radix_merge_compareILb1ELb0EjNS0_19identity_decomposerEEEEE10hipError_tT0_T1_T2_jT3_P12ihipStream_tbPNSt15iterator_traitsISE_E10value_typeEPNSK_ISF_E10value_typeEPSG_NS1_7vsmem_tEENKUlT_SE_SF_SG_E_clIS8_S8_S9_S9_EESD_ST_SE_SF_SG_EUlST_E1_NS1_11comp_targetILNS1_3genE3ELNS1_11target_archE908ELNS1_3gpuE7ELNS1_3repE0EEENS1_36merge_oddeven_config_static_selectorELNS0_4arch9wavefront6targetE0EEEvSF_ ; -- Begin function _ZN7rocprim17ROCPRIM_400000_NS6detail17trampoline_kernelINS0_14default_configENS1_38merge_sort_block_merge_config_selectorIjNS0_10empty_typeEEEZZNS1_27merge_sort_block_merge_implIS3_PjPS5_jNS1_19radix_merge_compareILb1ELb0EjNS0_19identity_decomposerEEEEE10hipError_tT0_T1_T2_jT3_P12ihipStream_tbPNSt15iterator_traitsISE_E10value_typeEPNSK_ISF_E10value_typeEPSG_NS1_7vsmem_tEENKUlT_SE_SF_SG_E_clIS8_S8_S9_S9_EESD_ST_SE_SF_SG_EUlST_E1_NS1_11comp_targetILNS1_3genE3ELNS1_11target_archE908ELNS1_3gpuE7ELNS1_3repE0EEENS1_36merge_oddeven_config_static_selectorELNS0_4arch9wavefront6targetE0EEEvSF_
	.globl	_ZN7rocprim17ROCPRIM_400000_NS6detail17trampoline_kernelINS0_14default_configENS1_38merge_sort_block_merge_config_selectorIjNS0_10empty_typeEEEZZNS1_27merge_sort_block_merge_implIS3_PjPS5_jNS1_19radix_merge_compareILb1ELb0EjNS0_19identity_decomposerEEEEE10hipError_tT0_T1_T2_jT3_P12ihipStream_tbPNSt15iterator_traitsISE_E10value_typeEPNSK_ISF_E10value_typeEPSG_NS1_7vsmem_tEENKUlT_SE_SF_SG_E_clIS8_S8_S9_S9_EESD_ST_SE_SF_SG_EUlST_E1_NS1_11comp_targetILNS1_3genE3ELNS1_11target_archE908ELNS1_3gpuE7ELNS1_3repE0EEENS1_36merge_oddeven_config_static_selectorELNS0_4arch9wavefront6targetE0EEEvSF_
	.p2align	8
	.type	_ZN7rocprim17ROCPRIM_400000_NS6detail17trampoline_kernelINS0_14default_configENS1_38merge_sort_block_merge_config_selectorIjNS0_10empty_typeEEEZZNS1_27merge_sort_block_merge_implIS3_PjPS5_jNS1_19radix_merge_compareILb1ELb0EjNS0_19identity_decomposerEEEEE10hipError_tT0_T1_T2_jT3_P12ihipStream_tbPNSt15iterator_traitsISE_E10value_typeEPNSK_ISF_E10value_typeEPSG_NS1_7vsmem_tEENKUlT_SE_SF_SG_E_clIS8_S8_S9_S9_EESD_ST_SE_SF_SG_EUlST_E1_NS1_11comp_targetILNS1_3genE3ELNS1_11target_archE908ELNS1_3gpuE7ELNS1_3repE0EEENS1_36merge_oddeven_config_static_selectorELNS0_4arch9wavefront6targetE0EEEvSF_,@function
_ZN7rocprim17ROCPRIM_400000_NS6detail17trampoline_kernelINS0_14default_configENS1_38merge_sort_block_merge_config_selectorIjNS0_10empty_typeEEEZZNS1_27merge_sort_block_merge_implIS3_PjPS5_jNS1_19radix_merge_compareILb1ELb0EjNS0_19identity_decomposerEEEEE10hipError_tT0_T1_T2_jT3_P12ihipStream_tbPNSt15iterator_traitsISE_E10value_typeEPNSK_ISF_E10value_typeEPSG_NS1_7vsmem_tEENKUlT_SE_SF_SG_E_clIS8_S8_S9_S9_EESD_ST_SE_SF_SG_EUlST_E1_NS1_11comp_targetILNS1_3genE3ELNS1_11target_archE908ELNS1_3gpuE7ELNS1_3repE0EEENS1_36merge_oddeven_config_static_selectorELNS0_4arch9wavefront6targetE0EEEvSF_: ; @_ZN7rocprim17ROCPRIM_400000_NS6detail17trampoline_kernelINS0_14default_configENS1_38merge_sort_block_merge_config_selectorIjNS0_10empty_typeEEEZZNS1_27merge_sort_block_merge_implIS3_PjPS5_jNS1_19radix_merge_compareILb1ELb0EjNS0_19identity_decomposerEEEEE10hipError_tT0_T1_T2_jT3_P12ihipStream_tbPNSt15iterator_traitsISE_E10value_typeEPNSK_ISF_E10value_typeEPSG_NS1_7vsmem_tEENKUlT_SE_SF_SG_E_clIS8_S8_S9_S9_EESD_ST_SE_SF_SG_EUlST_E1_NS1_11comp_targetILNS1_3genE3ELNS1_11target_archE908ELNS1_3gpuE7ELNS1_3repE0EEENS1_36merge_oddeven_config_static_selectorELNS0_4arch9wavefront6targetE0EEEvSF_
; %bb.0:
	.section	.rodata,"a",@progbits
	.p2align	6, 0x0
	.amdhsa_kernel _ZN7rocprim17ROCPRIM_400000_NS6detail17trampoline_kernelINS0_14default_configENS1_38merge_sort_block_merge_config_selectorIjNS0_10empty_typeEEEZZNS1_27merge_sort_block_merge_implIS3_PjPS5_jNS1_19radix_merge_compareILb1ELb0EjNS0_19identity_decomposerEEEEE10hipError_tT0_T1_T2_jT3_P12ihipStream_tbPNSt15iterator_traitsISE_E10value_typeEPNSK_ISF_E10value_typeEPSG_NS1_7vsmem_tEENKUlT_SE_SF_SG_E_clIS8_S8_S9_S9_EESD_ST_SE_SF_SG_EUlST_E1_NS1_11comp_targetILNS1_3genE3ELNS1_11target_archE908ELNS1_3gpuE7ELNS1_3repE0EEENS1_36merge_oddeven_config_static_selectorELNS0_4arch9wavefront6targetE0EEEvSF_
		.amdhsa_group_segment_fixed_size 0
		.amdhsa_private_segment_fixed_size 0
		.amdhsa_kernarg_size 48
		.amdhsa_user_sgpr_count 2
		.amdhsa_user_sgpr_dispatch_ptr 0
		.amdhsa_user_sgpr_queue_ptr 0
		.amdhsa_user_sgpr_kernarg_segment_ptr 1
		.amdhsa_user_sgpr_dispatch_id 0
		.amdhsa_user_sgpr_kernarg_preload_length 0
		.amdhsa_user_sgpr_kernarg_preload_offset 0
		.amdhsa_user_sgpr_private_segment_size 0
		.amdhsa_wavefront_size32 1
		.amdhsa_uses_dynamic_stack 0
		.amdhsa_enable_private_segment 0
		.amdhsa_system_sgpr_workgroup_id_x 1
		.amdhsa_system_sgpr_workgroup_id_y 0
		.amdhsa_system_sgpr_workgroup_id_z 0
		.amdhsa_system_sgpr_workgroup_info 0
		.amdhsa_system_vgpr_workitem_id 0
		.amdhsa_next_free_vgpr 1
		.amdhsa_next_free_sgpr 1
		.amdhsa_named_barrier_count 0
		.amdhsa_reserve_vcc 0
		.amdhsa_float_round_mode_32 0
		.amdhsa_float_round_mode_16_64 0
		.amdhsa_float_denorm_mode_32 3
		.amdhsa_float_denorm_mode_16_64 3
		.amdhsa_fp16_overflow 0
		.amdhsa_memory_ordered 1
		.amdhsa_forward_progress 1
		.amdhsa_inst_pref_size 0
		.amdhsa_round_robin_scheduling 0
		.amdhsa_exception_fp_ieee_invalid_op 0
		.amdhsa_exception_fp_denorm_src 0
		.amdhsa_exception_fp_ieee_div_zero 0
		.amdhsa_exception_fp_ieee_overflow 0
		.amdhsa_exception_fp_ieee_underflow 0
		.amdhsa_exception_fp_ieee_inexact 0
		.amdhsa_exception_int_div_zero 0
	.end_amdhsa_kernel
	.section	.text._ZN7rocprim17ROCPRIM_400000_NS6detail17trampoline_kernelINS0_14default_configENS1_38merge_sort_block_merge_config_selectorIjNS0_10empty_typeEEEZZNS1_27merge_sort_block_merge_implIS3_PjPS5_jNS1_19radix_merge_compareILb1ELb0EjNS0_19identity_decomposerEEEEE10hipError_tT0_T1_T2_jT3_P12ihipStream_tbPNSt15iterator_traitsISE_E10value_typeEPNSK_ISF_E10value_typeEPSG_NS1_7vsmem_tEENKUlT_SE_SF_SG_E_clIS8_S8_S9_S9_EESD_ST_SE_SF_SG_EUlST_E1_NS1_11comp_targetILNS1_3genE3ELNS1_11target_archE908ELNS1_3gpuE7ELNS1_3repE0EEENS1_36merge_oddeven_config_static_selectorELNS0_4arch9wavefront6targetE0EEEvSF_,"axG",@progbits,_ZN7rocprim17ROCPRIM_400000_NS6detail17trampoline_kernelINS0_14default_configENS1_38merge_sort_block_merge_config_selectorIjNS0_10empty_typeEEEZZNS1_27merge_sort_block_merge_implIS3_PjPS5_jNS1_19radix_merge_compareILb1ELb0EjNS0_19identity_decomposerEEEEE10hipError_tT0_T1_T2_jT3_P12ihipStream_tbPNSt15iterator_traitsISE_E10value_typeEPNSK_ISF_E10value_typeEPSG_NS1_7vsmem_tEENKUlT_SE_SF_SG_E_clIS8_S8_S9_S9_EESD_ST_SE_SF_SG_EUlST_E1_NS1_11comp_targetILNS1_3genE3ELNS1_11target_archE908ELNS1_3gpuE7ELNS1_3repE0EEENS1_36merge_oddeven_config_static_selectorELNS0_4arch9wavefront6targetE0EEEvSF_,comdat
.Lfunc_end2571:
	.size	_ZN7rocprim17ROCPRIM_400000_NS6detail17trampoline_kernelINS0_14default_configENS1_38merge_sort_block_merge_config_selectorIjNS0_10empty_typeEEEZZNS1_27merge_sort_block_merge_implIS3_PjPS5_jNS1_19radix_merge_compareILb1ELb0EjNS0_19identity_decomposerEEEEE10hipError_tT0_T1_T2_jT3_P12ihipStream_tbPNSt15iterator_traitsISE_E10value_typeEPNSK_ISF_E10value_typeEPSG_NS1_7vsmem_tEENKUlT_SE_SF_SG_E_clIS8_S8_S9_S9_EESD_ST_SE_SF_SG_EUlST_E1_NS1_11comp_targetILNS1_3genE3ELNS1_11target_archE908ELNS1_3gpuE7ELNS1_3repE0EEENS1_36merge_oddeven_config_static_selectorELNS0_4arch9wavefront6targetE0EEEvSF_, .Lfunc_end2571-_ZN7rocprim17ROCPRIM_400000_NS6detail17trampoline_kernelINS0_14default_configENS1_38merge_sort_block_merge_config_selectorIjNS0_10empty_typeEEEZZNS1_27merge_sort_block_merge_implIS3_PjPS5_jNS1_19radix_merge_compareILb1ELb0EjNS0_19identity_decomposerEEEEE10hipError_tT0_T1_T2_jT3_P12ihipStream_tbPNSt15iterator_traitsISE_E10value_typeEPNSK_ISF_E10value_typeEPSG_NS1_7vsmem_tEENKUlT_SE_SF_SG_E_clIS8_S8_S9_S9_EESD_ST_SE_SF_SG_EUlST_E1_NS1_11comp_targetILNS1_3genE3ELNS1_11target_archE908ELNS1_3gpuE7ELNS1_3repE0EEENS1_36merge_oddeven_config_static_selectorELNS0_4arch9wavefront6targetE0EEEvSF_
                                        ; -- End function
	.set _ZN7rocprim17ROCPRIM_400000_NS6detail17trampoline_kernelINS0_14default_configENS1_38merge_sort_block_merge_config_selectorIjNS0_10empty_typeEEEZZNS1_27merge_sort_block_merge_implIS3_PjPS5_jNS1_19radix_merge_compareILb1ELb0EjNS0_19identity_decomposerEEEEE10hipError_tT0_T1_T2_jT3_P12ihipStream_tbPNSt15iterator_traitsISE_E10value_typeEPNSK_ISF_E10value_typeEPSG_NS1_7vsmem_tEENKUlT_SE_SF_SG_E_clIS8_S8_S9_S9_EESD_ST_SE_SF_SG_EUlST_E1_NS1_11comp_targetILNS1_3genE3ELNS1_11target_archE908ELNS1_3gpuE7ELNS1_3repE0EEENS1_36merge_oddeven_config_static_selectorELNS0_4arch9wavefront6targetE0EEEvSF_.num_vgpr, 0
	.set _ZN7rocprim17ROCPRIM_400000_NS6detail17trampoline_kernelINS0_14default_configENS1_38merge_sort_block_merge_config_selectorIjNS0_10empty_typeEEEZZNS1_27merge_sort_block_merge_implIS3_PjPS5_jNS1_19radix_merge_compareILb1ELb0EjNS0_19identity_decomposerEEEEE10hipError_tT0_T1_T2_jT3_P12ihipStream_tbPNSt15iterator_traitsISE_E10value_typeEPNSK_ISF_E10value_typeEPSG_NS1_7vsmem_tEENKUlT_SE_SF_SG_E_clIS8_S8_S9_S9_EESD_ST_SE_SF_SG_EUlST_E1_NS1_11comp_targetILNS1_3genE3ELNS1_11target_archE908ELNS1_3gpuE7ELNS1_3repE0EEENS1_36merge_oddeven_config_static_selectorELNS0_4arch9wavefront6targetE0EEEvSF_.num_agpr, 0
	.set _ZN7rocprim17ROCPRIM_400000_NS6detail17trampoline_kernelINS0_14default_configENS1_38merge_sort_block_merge_config_selectorIjNS0_10empty_typeEEEZZNS1_27merge_sort_block_merge_implIS3_PjPS5_jNS1_19radix_merge_compareILb1ELb0EjNS0_19identity_decomposerEEEEE10hipError_tT0_T1_T2_jT3_P12ihipStream_tbPNSt15iterator_traitsISE_E10value_typeEPNSK_ISF_E10value_typeEPSG_NS1_7vsmem_tEENKUlT_SE_SF_SG_E_clIS8_S8_S9_S9_EESD_ST_SE_SF_SG_EUlST_E1_NS1_11comp_targetILNS1_3genE3ELNS1_11target_archE908ELNS1_3gpuE7ELNS1_3repE0EEENS1_36merge_oddeven_config_static_selectorELNS0_4arch9wavefront6targetE0EEEvSF_.numbered_sgpr, 0
	.set _ZN7rocprim17ROCPRIM_400000_NS6detail17trampoline_kernelINS0_14default_configENS1_38merge_sort_block_merge_config_selectorIjNS0_10empty_typeEEEZZNS1_27merge_sort_block_merge_implIS3_PjPS5_jNS1_19radix_merge_compareILb1ELb0EjNS0_19identity_decomposerEEEEE10hipError_tT0_T1_T2_jT3_P12ihipStream_tbPNSt15iterator_traitsISE_E10value_typeEPNSK_ISF_E10value_typeEPSG_NS1_7vsmem_tEENKUlT_SE_SF_SG_E_clIS8_S8_S9_S9_EESD_ST_SE_SF_SG_EUlST_E1_NS1_11comp_targetILNS1_3genE3ELNS1_11target_archE908ELNS1_3gpuE7ELNS1_3repE0EEENS1_36merge_oddeven_config_static_selectorELNS0_4arch9wavefront6targetE0EEEvSF_.num_named_barrier, 0
	.set _ZN7rocprim17ROCPRIM_400000_NS6detail17trampoline_kernelINS0_14default_configENS1_38merge_sort_block_merge_config_selectorIjNS0_10empty_typeEEEZZNS1_27merge_sort_block_merge_implIS3_PjPS5_jNS1_19radix_merge_compareILb1ELb0EjNS0_19identity_decomposerEEEEE10hipError_tT0_T1_T2_jT3_P12ihipStream_tbPNSt15iterator_traitsISE_E10value_typeEPNSK_ISF_E10value_typeEPSG_NS1_7vsmem_tEENKUlT_SE_SF_SG_E_clIS8_S8_S9_S9_EESD_ST_SE_SF_SG_EUlST_E1_NS1_11comp_targetILNS1_3genE3ELNS1_11target_archE908ELNS1_3gpuE7ELNS1_3repE0EEENS1_36merge_oddeven_config_static_selectorELNS0_4arch9wavefront6targetE0EEEvSF_.private_seg_size, 0
	.set _ZN7rocprim17ROCPRIM_400000_NS6detail17trampoline_kernelINS0_14default_configENS1_38merge_sort_block_merge_config_selectorIjNS0_10empty_typeEEEZZNS1_27merge_sort_block_merge_implIS3_PjPS5_jNS1_19radix_merge_compareILb1ELb0EjNS0_19identity_decomposerEEEEE10hipError_tT0_T1_T2_jT3_P12ihipStream_tbPNSt15iterator_traitsISE_E10value_typeEPNSK_ISF_E10value_typeEPSG_NS1_7vsmem_tEENKUlT_SE_SF_SG_E_clIS8_S8_S9_S9_EESD_ST_SE_SF_SG_EUlST_E1_NS1_11comp_targetILNS1_3genE3ELNS1_11target_archE908ELNS1_3gpuE7ELNS1_3repE0EEENS1_36merge_oddeven_config_static_selectorELNS0_4arch9wavefront6targetE0EEEvSF_.uses_vcc, 0
	.set _ZN7rocprim17ROCPRIM_400000_NS6detail17trampoline_kernelINS0_14default_configENS1_38merge_sort_block_merge_config_selectorIjNS0_10empty_typeEEEZZNS1_27merge_sort_block_merge_implIS3_PjPS5_jNS1_19radix_merge_compareILb1ELb0EjNS0_19identity_decomposerEEEEE10hipError_tT0_T1_T2_jT3_P12ihipStream_tbPNSt15iterator_traitsISE_E10value_typeEPNSK_ISF_E10value_typeEPSG_NS1_7vsmem_tEENKUlT_SE_SF_SG_E_clIS8_S8_S9_S9_EESD_ST_SE_SF_SG_EUlST_E1_NS1_11comp_targetILNS1_3genE3ELNS1_11target_archE908ELNS1_3gpuE7ELNS1_3repE0EEENS1_36merge_oddeven_config_static_selectorELNS0_4arch9wavefront6targetE0EEEvSF_.uses_flat_scratch, 0
	.set _ZN7rocprim17ROCPRIM_400000_NS6detail17trampoline_kernelINS0_14default_configENS1_38merge_sort_block_merge_config_selectorIjNS0_10empty_typeEEEZZNS1_27merge_sort_block_merge_implIS3_PjPS5_jNS1_19radix_merge_compareILb1ELb0EjNS0_19identity_decomposerEEEEE10hipError_tT0_T1_T2_jT3_P12ihipStream_tbPNSt15iterator_traitsISE_E10value_typeEPNSK_ISF_E10value_typeEPSG_NS1_7vsmem_tEENKUlT_SE_SF_SG_E_clIS8_S8_S9_S9_EESD_ST_SE_SF_SG_EUlST_E1_NS1_11comp_targetILNS1_3genE3ELNS1_11target_archE908ELNS1_3gpuE7ELNS1_3repE0EEENS1_36merge_oddeven_config_static_selectorELNS0_4arch9wavefront6targetE0EEEvSF_.has_dyn_sized_stack, 0
	.set _ZN7rocprim17ROCPRIM_400000_NS6detail17trampoline_kernelINS0_14default_configENS1_38merge_sort_block_merge_config_selectorIjNS0_10empty_typeEEEZZNS1_27merge_sort_block_merge_implIS3_PjPS5_jNS1_19radix_merge_compareILb1ELb0EjNS0_19identity_decomposerEEEEE10hipError_tT0_T1_T2_jT3_P12ihipStream_tbPNSt15iterator_traitsISE_E10value_typeEPNSK_ISF_E10value_typeEPSG_NS1_7vsmem_tEENKUlT_SE_SF_SG_E_clIS8_S8_S9_S9_EESD_ST_SE_SF_SG_EUlST_E1_NS1_11comp_targetILNS1_3genE3ELNS1_11target_archE908ELNS1_3gpuE7ELNS1_3repE0EEENS1_36merge_oddeven_config_static_selectorELNS0_4arch9wavefront6targetE0EEEvSF_.has_recursion, 0
	.set _ZN7rocprim17ROCPRIM_400000_NS6detail17trampoline_kernelINS0_14default_configENS1_38merge_sort_block_merge_config_selectorIjNS0_10empty_typeEEEZZNS1_27merge_sort_block_merge_implIS3_PjPS5_jNS1_19radix_merge_compareILb1ELb0EjNS0_19identity_decomposerEEEEE10hipError_tT0_T1_T2_jT3_P12ihipStream_tbPNSt15iterator_traitsISE_E10value_typeEPNSK_ISF_E10value_typeEPSG_NS1_7vsmem_tEENKUlT_SE_SF_SG_E_clIS8_S8_S9_S9_EESD_ST_SE_SF_SG_EUlST_E1_NS1_11comp_targetILNS1_3genE3ELNS1_11target_archE908ELNS1_3gpuE7ELNS1_3repE0EEENS1_36merge_oddeven_config_static_selectorELNS0_4arch9wavefront6targetE0EEEvSF_.has_indirect_call, 0
	.section	.AMDGPU.csdata,"",@progbits
; Kernel info:
; codeLenInByte = 0
; TotalNumSgprs: 0
; NumVgprs: 0
; ScratchSize: 0
; MemoryBound: 0
; FloatMode: 240
; IeeeMode: 1
; LDSByteSize: 0 bytes/workgroup (compile time only)
; SGPRBlocks: 0
; VGPRBlocks: 0
; NumSGPRsForWavesPerEU: 1
; NumVGPRsForWavesPerEU: 1
; NamedBarCnt: 0
; Occupancy: 16
; WaveLimiterHint : 0
; COMPUTE_PGM_RSRC2:SCRATCH_EN: 0
; COMPUTE_PGM_RSRC2:USER_SGPR: 2
; COMPUTE_PGM_RSRC2:TRAP_HANDLER: 0
; COMPUTE_PGM_RSRC2:TGID_X_EN: 1
; COMPUTE_PGM_RSRC2:TGID_Y_EN: 0
; COMPUTE_PGM_RSRC2:TGID_Z_EN: 0
; COMPUTE_PGM_RSRC2:TIDIG_COMP_CNT: 0
	.section	.text._ZN7rocprim17ROCPRIM_400000_NS6detail17trampoline_kernelINS0_14default_configENS1_38merge_sort_block_merge_config_selectorIjNS0_10empty_typeEEEZZNS1_27merge_sort_block_merge_implIS3_PjPS5_jNS1_19radix_merge_compareILb1ELb0EjNS0_19identity_decomposerEEEEE10hipError_tT0_T1_T2_jT3_P12ihipStream_tbPNSt15iterator_traitsISE_E10value_typeEPNSK_ISF_E10value_typeEPSG_NS1_7vsmem_tEENKUlT_SE_SF_SG_E_clIS8_S8_S9_S9_EESD_ST_SE_SF_SG_EUlST_E1_NS1_11comp_targetILNS1_3genE2ELNS1_11target_archE906ELNS1_3gpuE6ELNS1_3repE0EEENS1_36merge_oddeven_config_static_selectorELNS0_4arch9wavefront6targetE0EEEvSF_,"axG",@progbits,_ZN7rocprim17ROCPRIM_400000_NS6detail17trampoline_kernelINS0_14default_configENS1_38merge_sort_block_merge_config_selectorIjNS0_10empty_typeEEEZZNS1_27merge_sort_block_merge_implIS3_PjPS5_jNS1_19radix_merge_compareILb1ELb0EjNS0_19identity_decomposerEEEEE10hipError_tT0_T1_T2_jT3_P12ihipStream_tbPNSt15iterator_traitsISE_E10value_typeEPNSK_ISF_E10value_typeEPSG_NS1_7vsmem_tEENKUlT_SE_SF_SG_E_clIS8_S8_S9_S9_EESD_ST_SE_SF_SG_EUlST_E1_NS1_11comp_targetILNS1_3genE2ELNS1_11target_archE906ELNS1_3gpuE6ELNS1_3repE0EEENS1_36merge_oddeven_config_static_selectorELNS0_4arch9wavefront6targetE0EEEvSF_,comdat
	.protected	_ZN7rocprim17ROCPRIM_400000_NS6detail17trampoline_kernelINS0_14default_configENS1_38merge_sort_block_merge_config_selectorIjNS0_10empty_typeEEEZZNS1_27merge_sort_block_merge_implIS3_PjPS5_jNS1_19radix_merge_compareILb1ELb0EjNS0_19identity_decomposerEEEEE10hipError_tT0_T1_T2_jT3_P12ihipStream_tbPNSt15iterator_traitsISE_E10value_typeEPNSK_ISF_E10value_typeEPSG_NS1_7vsmem_tEENKUlT_SE_SF_SG_E_clIS8_S8_S9_S9_EESD_ST_SE_SF_SG_EUlST_E1_NS1_11comp_targetILNS1_3genE2ELNS1_11target_archE906ELNS1_3gpuE6ELNS1_3repE0EEENS1_36merge_oddeven_config_static_selectorELNS0_4arch9wavefront6targetE0EEEvSF_ ; -- Begin function _ZN7rocprim17ROCPRIM_400000_NS6detail17trampoline_kernelINS0_14default_configENS1_38merge_sort_block_merge_config_selectorIjNS0_10empty_typeEEEZZNS1_27merge_sort_block_merge_implIS3_PjPS5_jNS1_19radix_merge_compareILb1ELb0EjNS0_19identity_decomposerEEEEE10hipError_tT0_T1_T2_jT3_P12ihipStream_tbPNSt15iterator_traitsISE_E10value_typeEPNSK_ISF_E10value_typeEPSG_NS1_7vsmem_tEENKUlT_SE_SF_SG_E_clIS8_S8_S9_S9_EESD_ST_SE_SF_SG_EUlST_E1_NS1_11comp_targetILNS1_3genE2ELNS1_11target_archE906ELNS1_3gpuE6ELNS1_3repE0EEENS1_36merge_oddeven_config_static_selectorELNS0_4arch9wavefront6targetE0EEEvSF_
	.globl	_ZN7rocprim17ROCPRIM_400000_NS6detail17trampoline_kernelINS0_14default_configENS1_38merge_sort_block_merge_config_selectorIjNS0_10empty_typeEEEZZNS1_27merge_sort_block_merge_implIS3_PjPS5_jNS1_19radix_merge_compareILb1ELb0EjNS0_19identity_decomposerEEEEE10hipError_tT0_T1_T2_jT3_P12ihipStream_tbPNSt15iterator_traitsISE_E10value_typeEPNSK_ISF_E10value_typeEPSG_NS1_7vsmem_tEENKUlT_SE_SF_SG_E_clIS8_S8_S9_S9_EESD_ST_SE_SF_SG_EUlST_E1_NS1_11comp_targetILNS1_3genE2ELNS1_11target_archE906ELNS1_3gpuE6ELNS1_3repE0EEENS1_36merge_oddeven_config_static_selectorELNS0_4arch9wavefront6targetE0EEEvSF_
	.p2align	8
	.type	_ZN7rocprim17ROCPRIM_400000_NS6detail17trampoline_kernelINS0_14default_configENS1_38merge_sort_block_merge_config_selectorIjNS0_10empty_typeEEEZZNS1_27merge_sort_block_merge_implIS3_PjPS5_jNS1_19radix_merge_compareILb1ELb0EjNS0_19identity_decomposerEEEEE10hipError_tT0_T1_T2_jT3_P12ihipStream_tbPNSt15iterator_traitsISE_E10value_typeEPNSK_ISF_E10value_typeEPSG_NS1_7vsmem_tEENKUlT_SE_SF_SG_E_clIS8_S8_S9_S9_EESD_ST_SE_SF_SG_EUlST_E1_NS1_11comp_targetILNS1_3genE2ELNS1_11target_archE906ELNS1_3gpuE6ELNS1_3repE0EEENS1_36merge_oddeven_config_static_selectorELNS0_4arch9wavefront6targetE0EEEvSF_,@function
_ZN7rocprim17ROCPRIM_400000_NS6detail17trampoline_kernelINS0_14default_configENS1_38merge_sort_block_merge_config_selectorIjNS0_10empty_typeEEEZZNS1_27merge_sort_block_merge_implIS3_PjPS5_jNS1_19radix_merge_compareILb1ELb0EjNS0_19identity_decomposerEEEEE10hipError_tT0_T1_T2_jT3_P12ihipStream_tbPNSt15iterator_traitsISE_E10value_typeEPNSK_ISF_E10value_typeEPSG_NS1_7vsmem_tEENKUlT_SE_SF_SG_E_clIS8_S8_S9_S9_EESD_ST_SE_SF_SG_EUlST_E1_NS1_11comp_targetILNS1_3genE2ELNS1_11target_archE906ELNS1_3gpuE6ELNS1_3repE0EEENS1_36merge_oddeven_config_static_selectorELNS0_4arch9wavefront6targetE0EEEvSF_: ; @_ZN7rocprim17ROCPRIM_400000_NS6detail17trampoline_kernelINS0_14default_configENS1_38merge_sort_block_merge_config_selectorIjNS0_10empty_typeEEEZZNS1_27merge_sort_block_merge_implIS3_PjPS5_jNS1_19radix_merge_compareILb1ELb0EjNS0_19identity_decomposerEEEEE10hipError_tT0_T1_T2_jT3_P12ihipStream_tbPNSt15iterator_traitsISE_E10value_typeEPNSK_ISF_E10value_typeEPSG_NS1_7vsmem_tEENKUlT_SE_SF_SG_E_clIS8_S8_S9_S9_EESD_ST_SE_SF_SG_EUlST_E1_NS1_11comp_targetILNS1_3genE2ELNS1_11target_archE906ELNS1_3gpuE6ELNS1_3repE0EEENS1_36merge_oddeven_config_static_selectorELNS0_4arch9wavefront6targetE0EEEvSF_
; %bb.0:
	.section	.rodata,"a",@progbits
	.p2align	6, 0x0
	.amdhsa_kernel _ZN7rocprim17ROCPRIM_400000_NS6detail17trampoline_kernelINS0_14default_configENS1_38merge_sort_block_merge_config_selectorIjNS0_10empty_typeEEEZZNS1_27merge_sort_block_merge_implIS3_PjPS5_jNS1_19radix_merge_compareILb1ELb0EjNS0_19identity_decomposerEEEEE10hipError_tT0_T1_T2_jT3_P12ihipStream_tbPNSt15iterator_traitsISE_E10value_typeEPNSK_ISF_E10value_typeEPSG_NS1_7vsmem_tEENKUlT_SE_SF_SG_E_clIS8_S8_S9_S9_EESD_ST_SE_SF_SG_EUlST_E1_NS1_11comp_targetILNS1_3genE2ELNS1_11target_archE906ELNS1_3gpuE6ELNS1_3repE0EEENS1_36merge_oddeven_config_static_selectorELNS0_4arch9wavefront6targetE0EEEvSF_
		.amdhsa_group_segment_fixed_size 0
		.amdhsa_private_segment_fixed_size 0
		.amdhsa_kernarg_size 48
		.amdhsa_user_sgpr_count 2
		.amdhsa_user_sgpr_dispatch_ptr 0
		.amdhsa_user_sgpr_queue_ptr 0
		.amdhsa_user_sgpr_kernarg_segment_ptr 1
		.amdhsa_user_sgpr_dispatch_id 0
		.amdhsa_user_sgpr_kernarg_preload_length 0
		.amdhsa_user_sgpr_kernarg_preload_offset 0
		.amdhsa_user_sgpr_private_segment_size 0
		.amdhsa_wavefront_size32 1
		.amdhsa_uses_dynamic_stack 0
		.amdhsa_enable_private_segment 0
		.amdhsa_system_sgpr_workgroup_id_x 1
		.amdhsa_system_sgpr_workgroup_id_y 0
		.amdhsa_system_sgpr_workgroup_id_z 0
		.amdhsa_system_sgpr_workgroup_info 0
		.amdhsa_system_vgpr_workitem_id 0
		.amdhsa_next_free_vgpr 1
		.amdhsa_next_free_sgpr 1
		.amdhsa_named_barrier_count 0
		.amdhsa_reserve_vcc 0
		.amdhsa_float_round_mode_32 0
		.amdhsa_float_round_mode_16_64 0
		.amdhsa_float_denorm_mode_32 3
		.amdhsa_float_denorm_mode_16_64 3
		.amdhsa_fp16_overflow 0
		.amdhsa_memory_ordered 1
		.amdhsa_forward_progress 1
		.amdhsa_inst_pref_size 0
		.amdhsa_round_robin_scheduling 0
		.amdhsa_exception_fp_ieee_invalid_op 0
		.amdhsa_exception_fp_denorm_src 0
		.amdhsa_exception_fp_ieee_div_zero 0
		.amdhsa_exception_fp_ieee_overflow 0
		.amdhsa_exception_fp_ieee_underflow 0
		.amdhsa_exception_fp_ieee_inexact 0
		.amdhsa_exception_int_div_zero 0
	.end_amdhsa_kernel
	.section	.text._ZN7rocprim17ROCPRIM_400000_NS6detail17trampoline_kernelINS0_14default_configENS1_38merge_sort_block_merge_config_selectorIjNS0_10empty_typeEEEZZNS1_27merge_sort_block_merge_implIS3_PjPS5_jNS1_19radix_merge_compareILb1ELb0EjNS0_19identity_decomposerEEEEE10hipError_tT0_T1_T2_jT3_P12ihipStream_tbPNSt15iterator_traitsISE_E10value_typeEPNSK_ISF_E10value_typeEPSG_NS1_7vsmem_tEENKUlT_SE_SF_SG_E_clIS8_S8_S9_S9_EESD_ST_SE_SF_SG_EUlST_E1_NS1_11comp_targetILNS1_3genE2ELNS1_11target_archE906ELNS1_3gpuE6ELNS1_3repE0EEENS1_36merge_oddeven_config_static_selectorELNS0_4arch9wavefront6targetE0EEEvSF_,"axG",@progbits,_ZN7rocprim17ROCPRIM_400000_NS6detail17trampoline_kernelINS0_14default_configENS1_38merge_sort_block_merge_config_selectorIjNS0_10empty_typeEEEZZNS1_27merge_sort_block_merge_implIS3_PjPS5_jNS1_19radix_merge_compareILb1ELb0EjNS0_19identity_decomposerEEEEE10hipError_tT0_T1_T2_jT3_P12ihipStream_tbPNSt15iterator_traitsISE_E10value_typeEPNSK_ISF_E10value_typeEPSG_NS1_7vsmem_tEENKUlT_SE_SF_SG_E_clIS8_S8_S9_S9_EESD_ST_SE_SF_SG_EUlST_E1_NS1_11comp_targetILNS1_3genE2ELNS1_11target_archE906ELNS1_3gpuE6ELNS1_3repE0EEENS1_36merge_oddeven_config_static_selectorELNS0_4arch9wavefront6targetE0EEEvSF_,comdat
.Lfunc_end2572:
	.size	_ZN7rocprim17ROCPRIM_400000_NS6detail17trampoline_kernelINS0_14default_configENS1_38merge_sort_block_merge_config_selectorIjNS0_10empty_typeEEEZZNS1_27merge_sort_block_merge_implIS3_PjPS5_jNS1_19radix_merge_compareILb1ELb0EjNS0_19identity_decomposerEEEEE10hipError_tT0_T1_T2_jT3_P12ihipStream_tbPNSt15iterator_traitsISE_E10value_typeEPNSK_ISF_E10value_typeEPSG_NS1_7vsmem_tEENKUlT_SE_SF_SG_E_clIS8_S8_S9_S9_EESD_ST_SE_SF_SG_EUlST_E1_NS1_11comp_targetILNS1_3genE2ELNS1_11target_archE906ELNS1_3gpuE6ELNS1_3repE0EEENS1_36merge_oddeven_config_static_selectorELNS0_4arch9wavefront6targetE0EEEvSF_, .Lfunc_end2572-_ZN7rocprim17ROCPRIM_400000_NS6detail17trampoline_kernelINS0_14default_configENS1_38merge_sort_block_merge_config_selectorIjNS0_10empty_typeEEEZZNS1_27merge_sort_block_merge_implIS3_PjPS5_jNS1_19radix_merge_compareILb1ELb0EjNS0_19identity_decomposerEEEEE10hipError_tT0_T1_T2_jT3_P12ihipStream_tbPNSt15iterator_traitsISE_E10value_typeEPNSK_ISF_E10value_typeEPSG_NS1_7vsmem_tEENKUlT_SE_SF_SG_E_clIS8_S8_S9_S9_EESD_ST_SE_SF_SG_EUlST_E1_NS1_11comp_targetILNS1_3genE2ELNS1_11target_archE906ELNS1_3gpuE6ELNS1_3repE0EEENS1_36merge_oddeven_config_static_selectorELNS0_4arch9wavefront6targetE0EEEvSF_
                                        ; -- End function
	.set _ZN7rocprim17ROCPRIM_400000_NS6detail17trampoline_kernelINS0_14default_configENS1_38merge_sort_block_merge_config_selectorIjNS0_10empty_typeEEEZZNS1_27merge_sort_block_merge_implIS3_PjPS5_jNS1_19radix_merge_compareILb1ELb0EjNS0_19identity_decomposerEEEEE10hipError_tT0_T1_T2_jT3_P12ihipStream_tbPNSt15iterator_traitsISE_E10value_typeEPNSK_ISF_E10value_typeEPSG_NS1_7vsmem_tEENKUlT_SE_SF_SG_E_clIS8_S8_S9_S9_EESD_ST_SE_SF_SG_EUlST_E1_NS1_11comp_targetILNS1_3genE2ELNS1_11target_archE906ELNS1_3gpuE6ELNS1_3repE0EEENS1_36merge_oddeven_config_static_selectorELNS0_4arch9wavefront6targetE0EEEvSF_.num_vgpr, 0
	.set _ZN7rocprim17ROCPRIM_400000_NS6detail17trampoline_kernelINS0_14default_configENS1_38merge_sort_block_merge_config_selectorIjNS0_10empty_typeEEEZZNS1_27merge_sort_block_merge_implIS3_PjPS5_jNS1_19radix_merge_compareILb1ELb0EjNS0_19identity_decomposerEEEEE10hipError_tT0_T1_T2_jT3_P12ihipStream_tbPNSt15iterator_traitsISE_E10value_typeEPNSK_ISF_E10value_typeEPSG_NS1_7vsmem_tEENKUlT_SE_SF_SG_E_clIS8_S8_S9_S9_EESD_ST_SE_SF_SG_EUlST_E1_NS1_11comp_targetILNS1_3genE2ELNS1_11target_archE906ELNS1_3gpuE6ELNS1_3repE0EEENS1_36merge_oddeven_config_static_selectorELNS0_4arch9wavefront6targetE0EEEvSF_.num_agpr, 0
	.set _ZN7rocprim17ROCPRIM_400000_NS6detail17trampoline_kernelINS0_14default_configENS1_38merge_sort_block_merge_config_selectorIjNS0_10empty_typeEEEZZNS1_27merge_sort_block_merge_implIS3_PjPS5_jNS1_19radix_merge_compareILb1ELb0EjNS0_19identity_decomposerEEEEE10hipError_tT0_T1_T2_jT3_P12ihipStream_tbPNSt15iterator_traitsISE_E10value_typeEPNSK_ISF_E10value_typeEPSG_NS1_7vsmem_tEENKUlT_SE_SF_SG_E_clIS8_S8_S9_S9_EESD_ST_SE_SF_SG_EUlST_E1_NS1_11comp_targetILNS1_3genE2ELNS1_11target_archE906ELNS1_3gpuE6ELNS1_3repE0EEENS1_36merge_oddeven_config_static_selectorELNS0_4arch9wavefront6targetE0EEEvSF_.numbered_sgpr, 0
	.set _ZN7rocprim17ROCPRIM_400000_NS6detail17trampoline_kernelINS0_14default_configENS1_38merge_sort_block_merge_config_selectorIjNS0_10empty_typeEEEZZNS1_27merge_sort_block_merge_implIS3_PjPS5_jNS1_19radix_merge_compareILb1ELb0EjNS0_19identity_decomposerEEEEE10hipError_tT0_T1_T2_jT3_P12ihipStream_tbPNSt15iterator_traitsISE_E10value_typeEPNSK_ISF_E10value_typeEPSG_NS1_7vsmem_tEENKUlT_SE_SF_SG_E_clIS8_S8_S9_S9_EESD_ST_SE_SF_SG_EUlST_E1_NS1_11comp_targetILNS1_3genE2ELNS1_11target_archE906ELNS1_3gpuE6ELNS1_3repE0EEENS1_36merge_oddeven_config_static_selectorELNS0_4arch9wavefront6targetE0EEEvSF_.num_named_barrier, 0
	.set _ZN7rocprim17ROCPRIM_400000_NS6detail17trampoline_kernelINS0_14default_configENS1_38merge_sort_block_merge_config_selectorIjNS0_10empty_typeEEEZZNS1_27merge_sort_block_merge_implIS3_PjPS5_jNS1_19radix_merge_compareILb1ELb0EjNS0_19identity_decomposerEEEEE10hipError_tT0_T1_T2_jT3_P12ihipStream_tbPNSt15iterator_traitsISE_E10value_typeEPNSK_ISF_E10value_typeEPSG_NS1_7vsmem_tEENKUlT_SE_SF_SG_E_clIS8_S8_S9_S9_EESD_ST_SE_SF_SG_EUlST_E1_NS1_11comp_targetILNS1_3genE2ELNS1_11target_archE906ELNS1_3gpuE6ELNS1_3repE0EEENS1_36merge_oddeven_config_static_selectorELNS0_4arch9wavefront6targetE0EEEvSF_.private_seg_size, 0
	.set _ZN7rocprim17ROCPRIM_400000_NS6detail17trampoline_kernelINS0_14default_configENS1_38merge_sort_block_merge_config_selectorIjNS0_10empty_typeEEEZZNS1_27merge_sort_block_merge_implIS3_PjPS5_jNS1_19radix_merge_compareILb1ELb0EjNS0_19identity_decomposerEEEEE10hipError_tT0_T1_T2_jT3_P12ihipStream_tbPNSt15iterator_traitsISE_E10value_typeEPNSK_ISF_E10value_typeEPSG_NS1_7vsmem_tEENKUlT_SE_SF_SG_E_clIS8_S8_S9_S9_EESD_ST_SE_SF_SG_EUlST_E1_NS1_11comp_targetILNS1_3genE2ELNS1_11target_archE906ELNS1_3gpuE6ELNS1_3repE0EEENS1_36merge_oddeven_config_static_selectorELNS0_4arch9wavefront6targetE0EEEvSF_.uses_vcc, 0
	.set _ZN7rocprim17ROCPRIM_400000_NS6detail17trampoline_kernelINS0_14default_configENS1_38merge_sort_block_merge_config_selectorIjNS0_10empty_typeEEEZZNS1_27merge_sort_block_merge_implIS3_PjPS5_jNS1_19radix_merge_compareILb1ELb0EjNS0_19identity_decomposerEEEEE10hipError_tT0_T1_T2_jT3_P12ihipStream_tbPNSt15iterator_traitsISE_E10value_typeEPNSK_ISF_E10value_typeEPSG_NS1_7vsmem_tEENKUlT_SE_SF_SG_E_clIS8_S8_S9_S9_EESD_ST_SE_SF_SG_EUlST_E1_NS1_11comp_targetILNS1_3genE2ELNS1_11target_archE906ELNS1_3gpuE6ELNS1_3repE0EEENS1_36merge_oddeven_config_static_selectorELNS0_4arch9wavefront6targetE0EEEvSF_.uses_flat_scratch, 0
	.set _ZN7rocprim17ROCPRIM_400000_NS6detail17trampoline_kernelINS0_14default_configENS1_38merge_sort_block_merge_config_selectorIjNS0_10empty_typeEEEZZNS1_27merge_sort_block_merge_implIS3_PjPS5_jNS1_19radix_merge_compareILb1ELb0EjNS0_19identity_decomposerEEEEE10hipError_tT0_T1_T2_jT3_P12ihipStream_tbPNSt15iterator_traitsISE_E10value_typeEPNSK_ISF_E10value_typeEPSG_NS1_7vsmem_tEENKUlT_SE_SF_SG_E_clIS8_S8_S9_S9_EESD_ST_SE_SF_SG_EUlST_E1_NS1_11comp_targetILNS1_3genE2ELNS1_11target_archE906ELNS1_3gpuE6ELNS1_3repE0EEENS1_36merge_oddeven_config_static_selectorELNS0_4arch9wavefront6targetE0EEEvSF_.has_dyn_sized_stack, 0
	.set _ZN7rocprim17ROCPRIM_400000_NS6detail17trampoline_kernelINS0_14default_configENS1_38merge_sort_block_merge_config_selectorIjNS0_10empty_typeEEEZZNS1_27merge_sort_block_merge_implIS3_PjPS5_jNS1_19radix_merge_compareILb1ELb0EjNS0_19identity_decomposerEEEEE10hipError_tT0_T1_T2_jT3_P12ihipStream_tbPNSt15iterator_traitsISE_E10value_typeEPNSK_ISF_E10value_typeEPSG_NS1_7vsmem_tEENKUlT_SE_SF_SG_E_clIS8_S8_S9_S9_EESD_ST_SE_SF_SG_EUlST_E1_NS1_11comp_targetILNS1_3genE2ELNS1_11target_archE906ELNS1_3gpuE6ELNS1_3repE0EEENS1_36merge_oddeven_config_static_selectorELNS0_4arch9wavefront6targetE0EEEvSF_.has_recursion, 0
	.set _ZN7rocprim17ROCPRIM_400000_NS6detail17trampoline_kernelINS0_14default_configENS1_38merge_sort_block_merge_config_selectorIjNS0_10empty_typeEEEZZNS1_27merge_sort_block_merge_implIS3_PjPS5_jNS1_19radix_merge_compareILb1ELb0EjNS0_19identity_decomposerEEEEE10hipError_tT0_T1_T2_jT3_P12ihipStream_tbPNSt15iterator_traitsISE_E10value_typeEPNSK_ISF_E10value_typeEPSG_NS1_7vsmem_tEENKUlT_SE_SF_SG_E_clIS8_S8_S9_S9_EESD_ST_SE_SF_SG_EUlST_E1_NS1_11comp_targetILNS1_3genE2ELNS1_11target_archE906ELNS1_3gpuE6ELNS1_3repE0EEENS1_36merge_oddeven_config_static_selectorELNS0_4arch9wavefront6targetE0EEEvSF_.has_indirect_call, 0
	.section	.AMDGPU.csdata,"",@progbits
; Kernel info:
; codeLenInByte = 0
; TotalNumSgprs: 0
; NumVgprs: 0
; ScratchSize: 0
; MemoryBound: 0
; FloatMode: 240
; IeeeMode: 1
; LDSByteSize: 0 bytes/workgroup (compile time only)
; SGPRBlocks: 0
; VGPRBlocks: 0
; NumSGPRsForWavesPerEU: 1
; NumVGPRsForWavesPerEU: 1
; NamedBarCnt: 0
; Occupancy: 16
; WaveLimiterHint : 0
; COMPUTE_PGM_RSRC2:SCRATCH_EN: 0
; COMPUTE_PGM_RSRC2:USER_SGPR: 2
; COMPUTE_PGM_RSRC2:TRAP_HANDLER: 0
; COMPUTE_PGM_RSRC2:TGID_X_EN: 1
; COMPUTE_PGM_RSRC2:TGID_Y_EN: 0
; COMPUTE_PGM_RSRC2:TGID_Z_EN: 0
; COMPUTE_PGM_RSRC2:TIDIG_COMP_CNT: 0
	.section	.text._ZN7rocprim17ROCPRIM_400000_NS6detail17trampoline_kernelINS0_14default_configENS1_38merge_sort_block_merge_config_selectorIjNS0_10empty_typeEEEZZNS1_27merge_sort_block_merge_implIS3_PjPS5_jNS1_19radix_merge_compareILb1ELb0EjNS0_19identity_decomposerEEEEE10hipError_tT0_T1_T2_jT3_P12ihipStream_tbPNSt15iterator_traitsISE_E10value_typeEPNSK_ISF_E10value_typeEPSG_NS1_7vsmem_tEENKUlT_SE_SF_SG_E_clIS8_S8_S9_S9_EESD_ST_SE_SF_SG_EUlST_E1_NS1_11comp_targetILNS1_3genE9ELNS1_11target_archE1100ELNS1_3gpuE3ELNS1_3repE0EEENS1_36merge_oddeven_config_static_selectorELNS0_4arch9wavefront6targetE0EEEvSF_,"axG",@progbits,_ZN7rocprim17ROCPRIM_400000_NS6detail17trampoline_kernelINS0_14default_configENS1_38merge_sort_block_merge_config_selectorIjNS0_10empty_typeEEEZZNS1_27merge_sort_block_merge_implIS3_PjPS5_jNS1_19radix_merge_compareILb1ELb0EjNS0_19identity_decomposerEEEEE10hipError_tT0_T1_T2_jT3_P12ihipStream_tbPNSt15iterator_traitsISE_E10value_typeEPNSK_ISF_E10value_typeEPSG_NS1_7vsmem_tEENKUlT_SE_SF_SG_E_clIS8_S8_S9_S9_EESD_ST_SE_SF_SG_EUlST_E1_NS1_11comp_targetILNS1_3genE9ELNS1_11target_archE1100ELNS1_3gpuE3ELNS1_3repE0EEENS1_36merge_oddeven_config_static_selectorELNS0_4arch9wavefront6targetE0EEEvSF_,comdat
	.protected	_ZN7rocprim17ROCPRIM_400000_NS6detail17trampoline_kernelINS0_14default_configENS1_38merge_sort_block_merge_config_selectorIjNS0_10empty_typeEEEZZNS1_27merge_sort_block_merge_implIS3_PjPS5_jNS1_19radix_merge_compareILb1ELb0EjNS0_19identity_decomposerEEEEE10hipError_tT0_T1_T2_jT3_P12ihipStream_tbPNSt15iterator_traitsISE_E10value_typeEPNSK_ISF_E10value_typeEPSG_NS1_7vsmem_tEENKUlT_SE_SF_SG_E_clIS8_S8_S9_S9_EESD_ST_SE_SF_SG_EUlST_E1_NS1_11comp_targetILNS1_3genE9ELNS1_11target_archE1100ELNS1_3gpuE3ELNS1_3repE0EEENS1_36merge_oddeven_config_static_selectorELNS0_4arch9wavefront6targetE0EEEvSF_ ; -- Begin function _ZN7rocprim17ROCPRIM_400000_NS6detail17trampoline_kernelINS0_14default_configENS1_38merge_sort_block_merge_config_selectorIjNS0_10empty_typeEEEZZNS1_27merge_sort_block_merge_implIS3_PjPS5_jNS1_19radix_merge_compareILb1ELb0EjNS0_19identity_decomposerEEEEE10hipError_tT0_T1_T2_jT3_P12ihipStream_tbPNSt15iterator_traitsISE_E10value_typeEPNSK_ISF_E10value_typeEPSG_NS1_7vsmem_tEENKUlT_SE_SF_SG_E_clIS8_S8_S9_S9_EESD_ST_SE_SF_SG_EUlST_E1_NS1_11comp_targetILNS1_3genE9ELNS1_11target_archE1100ELNS1_3gpuE3ELNS1_3repE0EEENS1_36merge_oddeven_config_static_selectorELNS0_4arch9wavefront6targetE0EEEvSF_
	.globl	_ZN7rocprim17ROCPRIM_400000_NS6detail17trampoline_kernelINS0_14default_configENS1_38merge_sort_block_merge_config_selectorIjNS0_10empty_typeEEEZZNS1_27merge_sort_block_merge_implIS3_PjPS5_jNS1_19radix_merge_compareILb1ELb0EjNS0_19identity_decomposerEEEEE10hipError_tT0_T1_T2_jT3_P12ihipStream_tbPNSt15iterator_traitsISE_E10value_typeEPNSK_ISF_E10value_typeEPSG_NS1_7vsmem_tEENKUlT_SE_SF_SG_E_clIS8_S8_S9_S9_EESD_ST_SE_SF_SG_EUlST_E1_NS1_11comp_targetILNS1_3genE9ELNS1_11target_archE1100ELNS1_3gpuE3ELNS1_3repE0EEENS1_36merge_oddeven_config_static_selectorELNS0_4arch9wavefront6targetE0EEEvSF_
	.p2align	8
	.type	_ZN7rocprim17ROCPRIM_400000_NS6detail17trampoline_kernelINS0_14default_configENS1_38merge_sort_block_merge_config_selectorIjNS0_10empty_typeEEEZZNS1_27merge_sort_block_merge_implIS3_PjPS5_jNS1_19radix_merge_compareILb1ELb0EjNS0_19identity_decomposerEEEEE10hipError_tT0_T1_T2_jT3_P12ihipStream_tbPNSt15iterator_traitsISE_E10value_typeEPNSK_ISF_E10value_typeEPSG_NS1_7vsmem_tEENKUlT_SE_SF_SG_E_clIS8_S8_S9_S9_EESD_ST_SE_SF_SG_EUlST_E1_NS1_11comp_targetILNS1_3genE9ELNS1_11target_archE1100ELNS1_3gpuE3ELNS1_3repE0EEENS1_36merge_oddeven_config_static_selectorELNS0_4arch9wavefront6targetE0EEEvSF_,@function
_ZN7rocprim17ROCPRIM_400000_NS6detail17trampoline_kernelINS0_14default_configENS1_38merge_sort_block_merge_config_selectorIjNS0_10empty_typeEEEZZNS1_27merge_sort_block_merge_implIS3_PjPS5_jNS1_19radix_merge_compareILb1ELb0EjNS0_19identity_decomposerEEEEE10hipError_tT0_T1_T2_jT3_P12ihipStream_tbPNSt15iterator_traitsISE_E10value_typeEPNSK_ISF_E10value_typeEPSG_NS1_7vsmem_tEENKUlT_SE_SF_SG_E_clIS8_S8_S9_S9_EESD_ST_SE_SF_SG_EUlST_E1_NS1_11comp_targetILNS1_3genE9ELNS1_11target_archE1100ELNS1_3gpuE3ELNS1_3repE0EEENS1_36merge_oddeven_config_static_selectorELNS0_4arch9wavefront6targetE0EEEvSF_: ; @_ZN7rocprim17ROCPRIM_400000_NS6detail17trampoline_kernelINS0_14default_configENS1_38merge_sort_block_merge_config_selectorIjNS0_10empty_typeEEEZZNS1_27merge_sort_block_merge_implIS3_PjPS5_jNS1_19radix_merge_compareILb1ELb0EjNS0_19identity_decomposerEEEEE10hipError_tT0_T1_T2_jT3_P12ihipStream_tbPNSt15iterator_traitsISE_E10value_typeEPNSK_ISF_E10value_typeEPSG_NS1_7vsmem_tEENKUlT_SE_SF_SG_E_clIS8_S8_S9_S9_EESD_ST_SE_SF_SG_EUlST_E1_NS1_11comp_targetILNS1_3genE9ELNS1_11target_archE1100ELNS1_3gpuE3ELNS1_3repE0EEENS1_36merge_oddeven_config_static_selectorELNS0_4arch9wavefront6targetE0EEEvSF_
; %bb.0:
	.section	.rodata,"a",@progbits
	.p2align	6, 0x0
	.amdhsa_kernel _ZN7rocprim17ROCPRIM_400000_NS6detail17trampoline_kernelINS0_14default_configENS1_38merge_sort_block_merge_config_selectorIjNS0_10empty_typeEEEZZNS1_27merge_sort_block_merge_implIS3_PjPS5_jNS1_19radix_merge_compareILb1ELb0EjNS0_19identity_decomposerEEEEE10hipError_tT0_T1_T2_jT3_P12ihipStream_tbPNSt15iterator_traitsISE_E10value_typeEPNSK_ISF_E10value_typeEPSG_NS1_7vsmem_tEENKUlT_SE_SF_SG_E_clIS8_S8_S9_S9_EESD_ST_SE_SF_SG_EUlST_E1_NS1_11comp_targetILNS1_3genE9ELNS1_11target_archE1100ELNS1_3gpuE3ELNS1_3repE0EEENS1_36merge_oddeven_config_static_selectorELNS0_4arch9wavefront6targetE0EEEvSF_
		.amdhsa_group_segment_fixed_size 0
		.amdhsa_private_segment_fixed_size 0
		.amdhsa_kernarg_size 48
		.amdhsa_user_sgpr_count 2
		.amdhsa_user_sgpr_dispatch_ptr 0
		.amdhsa_user_sgpr_queue_ptr 0
		.amdhsa_user_sgpr_kernarg_segment_ptr 1
		.amdhsa_user_sgpr_dispatch_id 0
		.amdhsa_user_sgpr_kernarg_preload_length 0
		.amdhsa_user_sgpr_kernarg_preload_offset 0
		.amdhsa_user_sgpr_private_segment_size 0
		.amdhsa_wavefront_size32 1
		.amdhsa_uses_dynamic_stack 0
		.amdhsa_enable_private_segment 0
		.amdhsa_system_sgpr_workgroup_id_x 1
		.amdhsa_system_sgpr_workgroup_id_y 0
		.amdhsa_system_sgpr_workgroup_id_z 0
		.amdhsa_system_sgpr_workgroup_info 0
		.amdhsa_system_vgpr_workitem_id 0
		.amdhsa_next_free_vgpr 1
		.amdhsa_next_free_sgpr 1
		.amdhsa_named_barrier_count 0
		.amdhsa_reserve_vcc 0
		.amdhsa_float_round_mode_32 0
		.amdhsa_float_round_mode_16_64 0
		.amdhsa_float_denorm_mode_32 3
		.amdhsa_float_denorm_mode_16_64 3
		.amdhsa_fp16_overflow 0
		.amdhsa_memory_ordered 1
		.amdhsa_forward_progress 1
		.amdhsa_inst_pref_size 0
		.amdhsa_round_robin_scheduling 0
		.amdhsa_exception_fp_ieee_invalid_op 0
		.amdhsa_exception_fp_denorm_src 0
		.amdhsa_exception_fp_ieee_div_zero 0
		.amdhsa_exception_fp_ieee_overflow 0
		.amdhsa_exception_fp_ieee_underflow 0
		.amdhsa_exception_fp_ieee_inexact 0
		.amdhsa_exception_int_div_zero 0
	.end_amdhsa_kernel
	.section	.text._ZN7rocprim17ROCPRIM_400000_NS6detail17trampoline_kernelINS0_14default_configENS1_38merge_sort_block_merge_config_selectorIjNS0_10empty_typeEEEZZNS1_27merge_sort_block_merge_implIS3_PjPS5_jNS1_19radix_merge_compareILb1ELb0EjNS0_19identity_decomposerEEEEE10hipError_tT0_T1_T2_jT3_P12ihipStream_tbPNSt15iterator_traitsISE_E10value_typeEPNSK_ISF_E10value_typeEPSG_NS1_7vsmem_tEENKUlT_SE_SF_SG_E_clIS8_S8_S9_S9_EESD_ST_SE_SF_SG_EUlST_E1_NS1_11comp_targetILNS1_3genE9ELNS1_11target_archE1100ELNS1_3gpuE3ELNS1_3repE0EEENS1_36merge_oddeven_config_static_selectorELNS0_4arch9wavefront6targetE0EEEvSF_,"axG",@progbits,_ZN7rocprim17ROCPRIM_400000_NS6detail17trampoline_kernelINS0_14default_configENS1_38merge_sort_block_merge_config_selectorIjNS0_10empty_typeEEEZZNS1_27merge_sort_block_merge_implIS3_PjPS5_jNS1_19radix_merge_compareILb1ELb0EjNS0_19identity_decomposerEEEEE10hipError_tT0_T1_T2_jT3_P12ihipStream_tbPNSt15iterator_traitsISE_E10value_typeEPNSK_ISF_E10value_typeEPSG_NS1_7vsmem_tEENKUlT_SE_SF_SG_E_clIS8_S8_S9_S9_EESD_ST_SE_SF_SG_EUlST_E1_NS1_11comp_targetILNS1_3genE9ELNS1_11target_archE1100ELNS1_3gpuE3ELNS1_3repE0EEENS1_36merge_oddeven_config_static_selectorELNS0_4arch9wavefront6targetE0EEEvSF_,comdat
.Lfunc_end2573:
	.size	_ZN7rocprim17ROCPRIM_400000_NS6detail17trampoline_kernelINS0_14default_configENS1_38merge_sort_block_merge_config_selectorIjNS0_10empty_typeEEEZZNS1_27merge_sort_block_merge_implIS3_PjPS5_jNS1_19radix_merge_compareILb1ELb0EjNS0_19identity_decomposerEEEEE10hipError_tT0_T1_T2_jT3_P12ihipStream_tbPNSt15iterator_traitsISE_E10value_typeEPNSK_ISF_E10value_typeEPSG_NS1_7vsmem_tEENKUlT_SE_SF_SG_E_clIS8_S8_S9_S9_EESD_ST_SE_SF_SG_EUlST_E1_NS1_11comp_targetILNS1_3genE9ELNS1_11target_archE1100ELNS1_3gpuE3ELNS1_3repE0EEENS1_36merge_oddeven_config_static_selectorELNS0_4arch9wavefront6targetE0EEEvSF_, .Lfunc_end2573-_ZN7rocprim17ROCPRIM_400000_NS6detail17trampoline_kernelINS0_14default_configENS1_38merge_sort_block_merge_config_selectorIjNS0_10empty_typeEEEZZNS1_27merge_sort_block_merge_implIS3_PjPS5_jNS1_19radix_merge_compareILb1ELb0EjNS0_19identity_decomposerEEEEE10hipError_tT0_T1_T2_jT3_P12ihipStream_tbPNSt15iterator_traitsISE_E10value_typeEPNSK_ISF_E10value_typeEPSG_NS1_7vsmem_tEENKUlT_SE_SF_SG_E_clIS8_S8_S9_S9_EESD_ST_SE_SF_SG_EUlST_E1_NS1_11comp_targetILNS1_3genE9ELNS1_11target_archE1100ELNS1_3gpuE3ELNS1_3repE0EEENS1_36merge_oddeven_config_static_selectorELNS0_4arch9wavefront6targetE0EEEvSF_
                                        ; -- End function
	.set _ZN7rocprim17ROCPRIM_400000_NS6detail17trampoline_kernelINS0_14default_configENS1_38merge_sort_block_merge_config_selectorIjNS0_10empty_typeEEEZZNS1_27merge_sort_block_merge_implIS3_PjPS5_jNS1_19radix_merge_compareILb1ELb0EjNS0_19identity_decomposerEEEEE10hipError_tT0_T1_T2_jT3_P12ihipStream_tbPNSt15iterator_traitsISE_E10value_typeEPNSK_ISF_E10value_typeEPSG_NS1_7vsmem_tEENKUlT_SE_SF_SG_E_clIS8_S8_S9_S9_EESD_ST_SE_SF_SG_EUlST_E1_NS1_11comp_targetILNS1_3genE9ELNS1_11target_archE1100ELNS1_3gpuE3ELNS1_3repE0EEENS1_36merge_oddeven_config_static_selectorELNS0_4arch9wavefront6targetE0EEEvSF_.num_vgpr, 0
	.set _ZN7rocprim17ROCPRIM_400000_NS6detail17trampoline_kernelINS0_14default_configENS1_38merge_sort_block_merge_config_selectorIjNS0_10empty_typeEEEZZNS1_27merge_sort_block_merge_implIS3_PjPS5_jNS1_19radix_merge_compareILb1ELb0EjNS0_19identity_decomposerEEEEE10hipError_tT0_T1_T2_jT3_P12ihipStream_tbPNSt15iterator_traitsISE_E10value_typeEPNSK_ISF_E10value_typeEPSG_NS1_7vsmem_tEENKUlT_SE_SF_SG_E_clIS8_S8_S9_S9_EESD_ST_SE_SF_SG_EUlST_E1_NS1_11comp_targetILNS1_3genE9ELNS1_11target_archE1100ELNS1_3gpuE3ELNS1_3repE0EEENS1_36merge_oddeven_config_static_selectorELNS0_4arch9wavefront6targetE0EEEvSF_.num_agpr, 0
	.set _ZN7rocprim17ROCPRIM_400000_NS6detail17trampoline_kernelINS0_14default_configENS1_38merge_sort_block_merge_config_selectorIjNS0_10empty_typeEEEZZNS1_27merge_sort_block_merge_implIS3_PjPS5_jNS1_19radix_merge_compareILb1ELb0EjNS0_19identity_decomposerEEEEE10hipError_tT0_T1_T2_jT3_P12ihipStream_tbPNSt15iterator_traitsISE_E10value_typeEPNSK_ISF_E10value_typeEPSG_NS1_7vsmem_tEENKUlT_SE_SF_SG_E_clIS8_S8_S9_S9_EESD_ST_SE_SF_SG_EUlST_E1_NS1_11comp_targetILNS1_3genE9ELNS1_11target_archE1100ELNS1_3gpuE3ELNS1_3repE0EEENS1_36merge_oddeven_config_static_selectorELNS0_4arch9wavefront6targetE0EEEvSF_.numbered_sgpr, 0
	.set _ZN7rocprim17ROCPRIM_400000_NS6detail17trampoline_kernelINS0_14default_configENS1_38merge_sort_block_merge_config_selectorIjNS0_10empty_typeEEEZZNS1_27merge_sort_block_merge_implIS3_PjPS5_jNS1_19radix_merge_compareILb1ELb0EjNS0_19identity_decomposerEEEEE10hipError_tT0_T1_T2_jT3_P12ihipStream_tbPNSt15iterator_traitsISE_E10value_typeEPNSK_ISF_E10value_typeEPSG_NS1_7vsmem_tEENKUlT_SE_SF_SG_E_clIS8_S8_S9_S9_EESD_ST_SE_SF_SG_EUlST_E1_NS1_11comp_targetILNS1_3genE9ELNS1_11target_archE1100ELNS1_3gpuE3ELNS1_3repE0EEENS1_36merge_oddeven_config_static_selectorELNS0_4arch9wavefront6targetE0EEEvSF_.num_named_barrier, 0
	.set _ZN7rocprim17ROCPRIM_400000_NS6detail17trampoline_kernelINS0_14default_configENS1_38merge_sort_block_merge_config_selectorIjNS0_10empty_typeEEEZZNS1_27merge_sort_block_merge_implIS3_PjPS5_jNS1_19radix_merge_compareILb1ELb0EjNS0_19identity_decomposerEEEEE10hipError_tT0_T1_T2_jT3_P12ihipStream_tbPNSt15iterator_traitsISE_E10value_typeEPNSK_ISF_E10value_typeEPSG_NS1_7vsmem_tEENKUlT_SE_SF_SG_E_clIS8_S8_S9_S9_EESD_ST_SE_SF_SG_EUlST_E1_NS1_11comp_targetILNS1_3genE9ELNS1_11target_archE1100ELNS1_3gpuE3ELNS1_3repE0EEENS1_36merge_oddeven_config_static_selectorELNS0_4arch9wavefront6targetE0EEEvSF_.private_seg_size, 0
	.set _ZN7rocprim17ROCPRIM_400000_NS6detail17trampoline_kernelINS0_14default_configENS1_38merge_sort_block_merge_config_selectorIjNS0_10empty_typeEEEZZNS1_27merge_sort_block_merge_implIS3_PjPS5_jNS1_19radix_merge_compareILb1ELb0EjNS0_19identity_decomposerEEEEE10hipError_tT0_T1_T2_jT3_P12ihipStream_tbPNSt15iterator_traitsISE_E10value_typeEPNSK_ISF_E10value_typeEPSG_NS1_7vsmem_tEENKUlT_SE_SF_SG_E_clIS8_S8_S9_S9_EESD_ST_SE_SF_SG_EUlST_E1_NS1_11comp_targetILNS1_3genE9ELNS1_11target_archE1100ELNS1_3gpuE3ELNS1_3repE0EEENS1_36merge_oddeven_config_static_selectorELNS0_4arch9wavefront6targetE0EEEvSF_.uses_vcc, 0
	.set _ZN7rocprim17ROCPRIM_400000_NS6detail17trampoline_kernelINS0_14default_configENS1_38merge_sort_block_merge_config_selectorIjNS0_10empty_typeEEEZZNS1_27merge_sort_block_merge_implIS3_PjPS5_jNS1_19radix_merge_compareILb1ELb0EjNS0_19identity_decomposerEEEEE10hipError_tT0_T1_T2_jT3_P12ihipStream_tbPNSt15iterator_traitsISE_E10value_typeEPNSK_ISF_E10value_typeEPSG_NS1_7vsmem_tEENKUlT_SE_SF_SG_E_clIS8_S8_S9_S9_EESD_ST_SE_SF_SG_EUlST_E1_NS1_11comp_targetILNS1_3genE9ELNS1_11target_archE1100ELNS1_3gpuE3ELNS1_3repE0EEENS1_36merge_oddeven_config_static_selectorELNS0_4arch9wavefront6targetE0EEEvSF_.uses_flat_scratch, 0
	.set _ZN7rocprim17ROCPRIM_400000_NS6detail17trampoline_kernelINS0_14default_configENS1_38merge_sort_block_merge_config_selectorIjNS0_10empty_typeEEEZZNS1_27merge_sort_block_merge_implIS3_PjPS5_jNS1_19radix_merge_compareILb1ELb0EjNS0_19identity_decomposerEEEEE10hipError_tT0_T1_T2_jT3_P12ihipStream_tbPNSt15iterator_traitsISE_E10value_typeEPNSK_ISF_E10value_typeEPSG_NS1_7vsmem_tEENKUlT_SE_SF_SG_E_clIS8_S8_S9_S9_EESD_ST_SE_SF_SG_EUlST_E1_NS1_11comp_targetILNS1_3genE9ELNS1_11target_archE1100ELNS1_3gpuE3ELNS1_3repE0EEENS1_36merge_oddeven_config_static_selectorELNS0_4arch9wavefront6targetE0EEEvSF_.has_dyn_sized_stack, 0
	.set _ZN7rocprim17ROCPRIM_400000_NS6detail17trampoline_kernelINS0_14default_configENS1_38merge_sort_block_merge_config_selectorIjNS0_10empty_typeEEEZZNS1_27merge_sort_block_merge_implIS3_PjPS5_jNS1_19radix_merge_compareILb1ELb0EjNS0_19identity_decomposerEEEEE10hipError_tT0_T1_T2_jT3_P12ihipStream_tbPNSt15iterator_traitsISE_E10value_typeEPNSK_ISF_E10value_typeEPSG_NS1_7vsmem_tEENKUlT_SE_SF_SG_E_clIS8_S8_S9_S9_EESD_ST_SE_SF_SG_EUlST_E1_NS1_11comp_targetILNS1_3genE9ELNS1_11target_archE1100ELNS1_3gpuE3ELNS1_3repE0EEENS1_36merge_oddeven_config_static_selectorELNS0_4arch9wavefront6targetE0EEEvSF_.has_recursion, 0
	.set _ZN7rocprim17ROCPRIM_400000_NS6detail17trampoline_kernelINS0_14default_configENS1_38merge_sort_block_merge_config_selectorIjNS0_10empty_typeEEEZZNS1_27merge_sort_block_merge_implIS3_PjPS5_jNS1_19radix_merge_compareILb1ELb0EjNS0_19identity_decomposerEEEEE10hipError_tT0_T1_T2_jT3_P12ihipStream_tbPNSt15iterator_traitsISE_E10value_typeEPNSK_ISF_E10value_typeEPSG_NS1_7vsmem_tEENKUlT_SE_SF_SG_E_clIS8_S8_S9_S9_EESD_ST_SE_SF_SG_EUlST_E1_NS1_11comp_targetILNS1_3genE9ELNS1_11target_archE1100ELNS1_3gpuE3ELNS1_3repE0EEENS1_36merge_oddeven_config_static_selectorELNS0_4arch9wavefront6targetE0EEEvSF_.has_indirect_call, 0
	.section	.AMDGPU.csdata,"",@progbits
; Kernel info:
; codeLenInByte = 0
; TotalNumSgprs: 0
; NumVgprs: 0
; ScratchSize: 0
; MemoryBound: 0
; FloatMode: 240
; IeeeMode: 1
; LDSByteSize: 0 bytes/workgroup (compile time only)
; SGPRBlocks: 0
; VGPRBlocks: 0
; NumSGPRsForWavesPerEU: 1
; NumVGPRsForWavesPerEU: 1
; NamedBarCnt: 0
; Occupancy: 16
; WaveLimiterHint : 0
; COMPUTE_PGM_RSRC2:SCRATCH_EN: 0
; COMPUTE_PGM_RSRC2:USER_SGPR: 2
; COMPUTE_PGM_RSRC2:TRAP_HANDLER: 0
; COMPUTE_PGM_RSRC2:TGID_X_EN: 1
; COMPUTE_PGM_RSRC2:TGID_Y_EN: 0
; COMPUTE_PGM_RSRC2:TGID_Z_EN: 0
; COMPUTE_PGM_RSRC2:TIDIG_COMP_CNT: 0
	.section	.text._ZN7rocprim17ROCPRIM_400000_NS6detail17trampoline_kernelINS0_14default_configENS1_38merge_sort_block_merge_config_selectorIjNS0_10empty_typeEEEZZNS1_27merge_sort_block_merge_implIS3_PjPS5_jNS1_19radix_merge_compareILb1ELb0EjNS0_19identity_decomposerEEEEE10hipError_tT0_T1_T2_jT3_P12ihipStream_tbPNSt15iterator_traitsISE_E10value_typeEPNSK_ISF_E10value_typeEPSG_NS1_7vsmem_tEENKUlT_SE_SF_SG_E_clIS8_S8_S9_S9_EESD_ST_SE_SF_SG_EUlST_E1_NS1_11comp_targetILNS1_3genE8ELNS1_11target_archE1030ELNS1_3gpuE2ELNS1_3repE0EEENS1_36merge_oddeven_config_static_selectorELNS0_4arch9wavefront6targetE0EEEvSF_,"axG",@progbits,_ZN7rocprim17ROCPRIM_400000_NS6detail17trampoline_kernelINS0_14default_configENS1_38merge_sort_block_merge_config_selectorIjNS0_10empty_typeEEEZZNS1_27merge_sort_block_merge_implIS3_PjPS5_jNS1_19radix_merge_compareILb1ELb0EjNS0_19identity_decomposerEEEEE10hipError_tT0_T1_T2_jT3_P12ihipStream_tbPNSt15iterator_traitsISE_E10value_typeEPNSK_ISF_E10value_typeEPSG_NS1_7vsmem_tEENKUlT_SE_SF_SG_E_clIS8_S8_S9_S9_EESD_ST_SE_SF_SG_EUlST_E1_NS1_11comp_targetILNS1_3genE8ELNS1_11target_archE1030ELNS1_3gpuE2ELNS1_3repE0EEENS1_36merge_oddeven_config_static_selectorELNS0_4arch9wavefront6targetE0EEEvSF_,comdat
	.protected	_ZN7rocprim17ROCPRIM_400000_NS6detail17trampoline_kernelINS0_14default_configENS1_38merge_sort_block_merge_config_selectorIjNS0_10empty_typeEEEZZNS1_27merge_sort_block_merge_implIS3_PjPS5_jNS1_19radix_merge_compareILb1ELb0EjNS0_19identity_decomposerEEEEE10hipError_tT0_T1_T2_jT3_P12ihipStream_tbPNSt15iterator_traitsISE_E10value_typeEPNSK_ISF_E10value_typeEPSG_NS1_7vsmem_tEENKUlT_SE_SF_SG_E_clIS8_S8_S9_S9_EESD_ST_SE_SF_SG_EUlST_E1_NS1_11comp_targetILNS1_3genE8ELNS1_11target_archE1030ELNS1_3gpuE2ELNS1_3repE0EEENS1_36merge_oddeven_config_static_selectorELNS0_4arch9wavefront6targetE0EEEvSF_ ; -- Begin function _ZN7rocprim17ROCPRIM_400000_NS6detail17trampoline_kernelINS0_14default_configENS1_38merge_sort_block_merge_config_selectorIjNS0_10empty_typeEEEZZNS1_27merge_sort_block_merge_implIS3_PjPS5_jNS1_19radix_merge_compareILb1ELb0EjNS0_19identity_decomposerEEEEE10hipError_tT0_T1_T2_jT3_P12ihipStream_tbPNSt15iterator_traitsISE_E10value_typeEPNSK_ISF_E10value_typeEPSG_NS1_7vsmem_tEENKUlT_SE_SF_SG_E_clIS8_S8_S9_S9_EESD_ST_SE_SF_SG_EUlST_E1_NS1_11comp_targetILNS1_3genE8ELNS1_11target_archE1030ELNS1_3gpuE2ELNS1_3repE0EEENS1_36merge_oddeven_config_static_selectorELNS0_4arch9wavefront6targetE0EEEvSF_
	.globl	_ZN7rocprim17ROCPRIM_400000_NS6detail17trampoline_kernelINS0_14default_configENS1_38merge_sort_block_merge_config_selectorIjNS0_10empty_typeEEEZZNS1_27merge_sort_block_merge_implIS3_PjPS5_jNS1_19radix_merge_compareILb1ELb0EjNS0_19identity_decomposerEEEEE10hipError_tT0_T1_T2_jT3_P12ihipStream_tbPNSt15iterator_traitsISE_E10value_typeEPNSK_ISF_E10value_typeEPSG_NS1_7vsmem_tEENKUlT_SE_SF_SG_E_clIS8_S8_S9_S9_EESD_ST_SE_SF_SG_EUlST_E1_NS1_11comp_targetILNS1_3genE8ELNS1_11target_archE1030ELNS1_3gpuE2ELNS1_3repE0EEENS1_36merge_oddeven_config_static_selectorELNS0_4arch9wavefront6targetE0EEEvSF_
	.p2align	8
	.type	_ZN7rocprim17ROCPRIM_400000_NS6detail17trampoline_kernelINS0_14default_configENS1_38merge_sort_block_merge_config_selectorIjNS0_10empty_typeEEEZZNS1_27merge_sort_block_merge_implIS3_PjPS5_jNS1_19radix_merge_compareILb1ELb0EjNS0_19identity_decomposerEEEEE10hipError_tT0_T1_T2_jT3_P12ihipStream_tbPNSt15iterator_traitsISE_E10value_typeEPNSK_ISF_E10value_typeEPSG_NS1_7vsmem_tEENKUlT_SE_SF_SG_E_clIS8_S8_S9_S9_EESD_ST_SE_SF_SG_EUlST_E1_NS1_11comp_targetILNS1_3genE8ELNS1_11target_archE1030ELNS1_3gpuE2ELNS1_3repE0EEENS1_36merge_oddeven_config_static_selectorELNS0_4arch9wavefront6targetE0EEEvSF_,@function
_ZN7rocprim17ROCPRIM_400000_NS6detail17trampoline_kernelINS0_14default_configENS1_38merge_sort_block_merge_config_selectorIjNS0_10empty_typeEEEZZNS1_27merge_sort_block_merge_implIS3_PjPS5_jNS1_19radix_merge_compareILb1ELb0EjNS0_19identity_decomposerEEEEE10hipError_tT0_T1_T2_jT3_P12ihipStream_tbPNSt15iterator_traitsISE_E10value_typeEPNSK_ISF_E10value_typeEPSG_NS1_7vsmem_tEENKUlT_SE_SF_SG_E_clIS8_S8_S9_S9_EESD_ST_SE_SF_SG_EUlST_E1_NS1_11comp_targetILNS1_3genE8ELNS1_11target_archE1030ELNS1_3gpuE2ELNS1_3repE0EEENS1_36merge_oddeven_config_static_selectorELNS0_4arch9wavefront6targetE0EEEvSF_: ; @_ZN7rocprim17ROCPRIM_400000_NS6detail17trampoline_kernelINS0_14default_configENS1_38merge_sort_block_merge_config_selectorIjNS0_10empty_typeEEEZZNS1_27merge_sort_block_merge_implIS3_PjPS5_jNS1_19radix_merge_compareILb1ELb0EjNS0_19identity_decomposerEEEEE10hipError_tT0_T1_T2_jT3_P12ihipStream_tbPNSt15iterator_traitsISE_E10value_typeEPNSK_ISF_E10value_typeEPSG_NS1_7vsmem_tEENKUlT_SE_SF_SG_E_clIS8_S8_S9_S9_EESD_ST_SE_SF_SG_EUlST_E1_NS1_11comp_targetILNS1_3genE8ELNS1_11target_archE1030ELNS1_3gpuE2ELNS1_3repE0EEENS1_36merge_oddeven_config_static_selectorELNS0_4arch9wavefront6targetE0EEEvSF_
; %bb.0:
	.section	.rodata,"a",@progbits
	.p2align	6, 0x0
	.amdhsa_kernel _ZN7rocprim17ROCPRIM_400000_NS6detail17trampoline_kernelINS0_14default_configENS1_38merge_sort_block_merge_config_selectorIjNS0_10empty_typeEEEZZNS1_27merge_sort_block_merge_implIS3_PjPS5_jNS1_19radix_merge_compareILb1ELb0EjNS0_19identity_decomposerEEEEE10hipError_tT0_T1_T2_jT3_P12ihipStream_tbPNSt15iterator_traitsISE_E10value_typeEPNSK_ISF_E10value_typeEPSG_NS1_7vsmem_tEENKUlT_SE_SF_SG_E_clIS8_S8_S9_S9_EESD_ST_SE_SF_SG_EUlST_E1_NS1_11comp_targetILNS1_3genE8ELNS1_11target_archE1030ELNS1_3gpuE2ELNS1_3repE0EEENS1_36merge_oddeven_config_static_selectorELNS0_4arch9wavefront6targetE0EEEvSF_
		.amdhsa_group_segment_fixed_size 0
		.amdhsa_private_segment_fixed_size 0
		.amdhsa_kernarg_size 48
		.amdhsa_user_sgpr_count 2
		.amdhsa_user_sgpr_dispatch_ptr 0
		.amdhsa_user_sgpr_queue_ptr 0
		.amdhsa_user_sgpr_kernarg_segment_ptr 1
		.amdhsa_user_sgpr_dispatch_id 0
		.amdhsa_user_sgpr_kernarg_preload_length 0
		.amdhsa_user_sgpr_kernarg_preload_offset 0
		.amdhsa_user_sgpr_private_segment_size 0
		.amdhsa_wavefront_size32 1
		.amdhsa_uses_dynamic_stack 0
		.amdhsa_enable_private_segment 0
		.amdhsa_system_sgpr_workgroup_id_x 1
		.amdhsa_system_sgpr_workgroup_id_y 0
		.amdhsa_system_sgpr_workgroup_id_z 0
		.amdhsa_system_sgpr_workgroup_info 0
		.amdhsa_system_vgpr_workitem_id 0
		.amdhsa_next_free_vgpr 1
		.amdhsa_next_free_sgpr 1
		.amdhsa_named_barrier_count 0
		.amdhsa_reserve_vcc 0
		.amdhsa_float_round_mode_32 0
		.amdhsa_float_round_mode_16_64 0
		.amdhsa_float_denorm_mode_32 3
		.amdhsa_float_denorm_mode_16_64 3
		.amdhsa_fp16_overflow 0
		.amdhsa_memory_ordered 1
		.amdhsa_forward_progress 1
		.amdhsa_inst_pref_size 0
		.amdhsa_round_robin_scheduling 0
		.amdhsa_exception_fp_ieee_invalid_op 0
		.amdhsa_exception_fp_denorm_src 0
		.amdhsa_exception_fp_ieee_div_zero 0
		.amdhsa_exception_fp_ieee_overflow 0
		.amdhsa_exception_fp_ieee_underflow 0
		.amdhsa_exception_fp_ieee_inexact 0
		.amdhsa_exception_int_div_zero 0
	.end_amdhsa_kernel
	.section	.text._ZN7rocprim17ROCPRIM_400000_NS6detail17trampoline_kernelINS0_14default_configENS1_38merge_sort_block_merge_config_selectorIjNS0_10empty_typeEEEZZNS1_27merge_sort_block_merge_implIS3_PjPS5_jNS1_19radix_merge_compareILb1ELb0EjNS0_19identity_decomposerEEEEE10hipError_tT0_T1_T2_jT3_P12ihipStream_tbPNSt15iterator_traitsISE_E10value_typeEPNSK_ISF_E10value_typeEPSG_NS1_7vsmem_tEENKUlT_SE_SF_SG_E_clIS8_S8_S9_S9_EESD_ST_SE_SF_SG_EUlST_E1_NS1_11comp_targetILNS1_3genE8ELNS1_11target_archE1030ELNS1_3gpuE2ELNS1_3repE0EEENS1_36merge_oddeven_config_static_selectorELNS0_4arch9wavefront6targetE0EEEvSF_,"axG",@progbits,_ZN7rocprim17ROCPRIM_400000_NS6detail17trampoline_kernelINS0_14default_configENS1_38merge_sort_block_merge_config_selectorIjNS0_10empty_typeEEEZZNS1_27merge_sort_block_merge_implIS3_PjPS5_jNS1_19radix_merge_compareILb1ELb0EjNS0_19identity_decomposerEEEEE10hipError_tT0_T1_T2_jT3_P12ihipStream_tbPNSt15iterator_traitsISE_E10value_typeEPNSK_ISF_E10value_typeEPSG_NS1_7vsmem_tEENKUlT_SE_SF_SG_E_clIS8_S8_S9_S9_EESD_ST_SE_SF_SG_EUlST_E1_NS1_11comp_targetILNS1_3genE8ELNS1_11target_archE1030ELNS1_3gpuE2ELNS1_3repE0EEENS1_36merge_oddeven_config_static_selectorELNS0_4arch9wavefront6targetE0EEEvSF_,comdat
.Lfunc_end2574:
	.size	_ZN7rocprim17ROCPRIM_400000_NS6detail17trampoline_kernelINS0_14default_configENS1_38merge_sort_block_merge_config_selectorIjNS0_10empty_typeEEEZZNS1_27merge_sort_block_merge_implIS3_PjPS5_jNS1_19radix_merge_compareILb1ELb0EjNS0_19identity_decomposerEEEEE10hipError_tT0_T1_T2_jT3_P12ihipStream_tbPNSt15iterator_traitsISE_E10value_typeEPNSK_ISF_E10value_typeEPSG_NS1_7vsmem_tEENKUlT_SE_SF_SG_E_clIS8_S8_S9_S9_EESD_ST_SE_SF_SG_EUlST_E1_NS1_11comp_targetILNS1_3genE8ELNS1_11target_archE1030ELNS1_3gpuE2ELNS1_3repE0EEENS1_36merge_oddeven_config_static_selectorELNS0_4arch9wavefront6targetE0EEEvSF_, .Lfunc_end2574-_ZN7rocprim17ROCPRIM_400000_NS6detail17trampoline_kernelINS0_14default_configENS1_38merge_sort_block_merge_config_selectorIjNS0_10empty_typeEEEZZNS1_27merge_sort_block_merge_implIS3_PjPS5_jNS1_19radix_merge_compareILb1ELb0EjNS0_19identity_decomposerEEEEE10hipError_tT0_T1_T2_jT3_P12ihipStream_tbPNSt15iterator_traitsISE_E10value_typeEPNSK_ISF_E10value_typeEPSG_NS1_7vsmem_tEENKUlT_SE_SF_SG_E_clIS8_S8_S9_S9_EESD_ST_SE_SF_SG_EUlST_E1_NS1_11comp_targetILNS1_3genE8ELNS1_11target_archE1030ELNS1_3gpuE2ELNS1_3repE0EEENS1_36merge_oddeven_config_static_selectorELNS0_4arch9wavefront6targetE0EEEvSF_
                                        ; -- End function
	.set _ZN7rocprim17ROCPRIM_400000_NS6detail17trampoline_kernelINS0_14default_configENS1_38merge_sort_block_merge_config_selectorIjNS0_10empty_typeEEEZZNS1_27merge_sort_block_merge_implIS3_PjPS5_jNS1_19radix_merge_compareILb1ELb0EjNS0_19identity_decomposerEEEEE10hipError_tT0_T1_T2_jT3_P12ihipStream_tbPNSt15iterator_traitsISE_E10value_typeEPNSK_ISF_E10value_typeEPSG_NS1_7vsmem_tEENKUlT_SE_SF_SG_E_clIS8_S8_S9_S9_EESD_ST_SE_SF_SG_EUlST_E1_NS1_11comp_targetILNS1_3genE8ELNS1_11target_archE1030ELNS1_3gpuE2ELNS1_3repE0EEENS1_36merge_oddeven_config_static_selectorELNS0_4arch9wavefront6targetE0EEEvSF_.num_vgpr, 0
	.set _ZN7rocprim17ROCPRIM_400000_NS6detail17trampoline_kernelINS0_14default_configENS1_38merge_sort_block_merge_config_selectorIjNS0_10empty_typeEEEZZNS1_27merge_sort_block_merge_implIS3_PjPS5_jNS1_19radix_merge_compareILb1ELb0EjNS0_19identity_decomposerEEEEE10hipError_tT0_T1_T2_jT3_P12ihipStream_tbPNSt15iterator_traitsISE_E10value_typeEPNSK_ISF_E10value_typeEPSG_NS1_7vsmem_tEENKUlT_SE_SF_SG_E_clIS8_S8_S9_S9_EESD_ST_SE_SF_SG_EUlST_E1_NS1_11comp_targetILNS1_3genE8ELNS1_11target_archE1030ELNS1_3gpuE2ELNS1_3repE0EEENS1_36merge_oddeven_config_static_selectorELNS0_4arch9wavefront6targetE0EEEvSF_.num_agpr, 0
	.set _ZN7rocprim17ROCPRIM_400000_NS6detail17trampoline_kernelINS0_14default_configENS1_38merge_sort_block_merge_config_selectorIjNS0_10empty_typeEEEZZNS1_27merge_sort_block_merge_implIS3_PjPS5_jNS1_19radix_merge_compareILb1ELb0EjNS0_19identity_decomposerEEEEE10hipError_tT0_T1_T2_jT3_P12ihipStream_tbPNSt15iterator_traitsISE_E10value_typeEPNSK_ISF_E10value_typeEPSG_NS1_7vsmem_tEENKUlT_SE_SF_SG_E_clIS8_S8_S9_S9_EESD_ST_SE_SF_SG_EUlST_E1_NS1_11comp_targetILNS1_3genE8ELNS1_11target_archE1030ELNS1_3gpuE2ELNS1_3repE0EEENS1_36merge_oddeven_config_static_selectorELNS0_4arch9wavefront6targetE0EEEvSF_.numbered_sgpr, 0
	.set _ZN7rocprim17ROCPRIM_400000_NS6detail17trampoline_kernelINS0_14default_configENS1_38merge_sort_block_merge_config_selectorIjNS0_10empty_typeEEEZZNS1_27merge_sort_block_merge_implIS3_PjPS5_jNS1_19radix_merge_compareILb1ELb0EjNS0_19identity_decomposerEEEEE10hipError_tT0_T1_T2_jT3_P12ihipStream_tbPNSt15iterator_traitsISE_E10value_typeEPNSK_ISF_E10value_typeEPSG_NS1_7vsmem_tEENKUlT_SE_SF_SG_E_clIS8_S8_S9_S9_EESD_ST_SE_SF_SG_EUlST_E1_NS1_11comp_targetILNS1_3genE8ELNS1_11target_archE1030ELNS1_3gpuE2ELNS1_3repE0EEENS1_36merge_oddeven_config_static_selectorELNS0_4arch9wavefront6targetE0EEEvSF_.num_named_barrier, 0
	.set _ZN7rocprim17ROCPRIM_400000_NS6detail17trampoline_kernelINS0_14default_configENS1_38merge_sort_block_merge_config_selectorIjNS0_10empty_typeEEEZZNS1_27merge_sort_block_merge_implIS3_PjPS5_jNS1_19radix_merge_compareILb1ELb0EjNS0_19identity_decomposerEEEEE10hipError_tT0_T1_T2_jT3_P12ihipStream_tbPNSt15iterator_traitsISE_E10value_typeEPNSK_ISF_E10value_typeEPSG_NS1_7vsmem_tEENKUlT_SE_SF_SG_E_clIS8_S8_S9_S9_EESD_ST_SE_SF_SG_EUlST_E1_NS1_11comp_targetILNS1_3genE8ELNS1_11target_archE1030ELNS1_3gpuE2ELNS1_3repE0EEENS1_36merge_oddeven_config_static_selectorELNS0_4arch9wavefront6targetE0EEEvSF_.private_seg_size, 0
	.set _ZN7rocprim17ROCPRIM_400000_NS6detail17trampoline_kernelINS0_14default_configENS1_38merge_sort_block_merge_config_selectorIjNS0_10empty_typeEEEZZNS1_27merge_sort_block_merge_implIS3_PjPS5_jNS1_19radix_merge_compareILb1ELb0EjNS0_19identity_decomposerEEEEE10hipError_tT0_T1_T2_jT3_P12ihipStream_tbPNSt15iterator_traitsISE_E10value_typeEPNSK_ISF_E10value_typeEPSG_NS1_7vsmem_tEENKUlT_SE_SF_SG_E_clIS8_S8_S9_S9_EESD_ST_SE_SF_SG_EUlST_E1_NS1_11comp_targetILNS1_3genE8ELNS1_11target_archE1030ELNS1_3gpuE2ELNS1_3repE0EEENS1_36merge_oddeven_config_static_selectorELNS0_4arch9wavefront6targetE0EEEvSF_.uses_vcc, 0
	.set _ZN7rocprim17ROCPRIM_400000_NS6detail17trampoline_kernelINS0_14default_configENS1_38merge_sort_block_merge_config_selectorIjNS0_10empty_typeEEEZZNS1_27merge_sort_block_merge_implIS3_PjPS5_jNS1_19radix_merge_compareILb1ELb0EjNS0_19identity_decomposerEEEEE10hipError_tT0_T1_T2_jT3_P12ihipStream_tbPNSt15iterator_traitsISE_E10value_typeEPNSK_ISF_E10value_typeEPSG_NS1_7vsmem_tEENKUlT_SE_SF_SG_E_clIS8_S8_S9_S9_EESD_ST_SE_SF_SG_EUlST_E1_NS1_11comp_targetILNS1_3genE8ELNS1_11target_archE1030ELNS1_3gpuE2ELNS1_3repE0EEENS1_36merge_oddeven_config_static_selectorELNS0_4arch9wavefront6targetE0EEEvSF_.uses_flat_scratch, 0
	.set _ZN7rocprim17ROCPRIM_400000_NS6detail17trampoline_kernelINS0_14default_configENS1_38merge_sort_block_merge_config_selectorIjNS0_10empty_typeEEEZZNS1_27merge_sort_block_merge_implIS3_PjPS5_jNS1_19radix_merge_compareILb1ELb0EjNS0_19identity_decomposerEEEEE10hipError_tT0_T1_T2_jT3_P12ihipStream_tbPNSt15iterator_traitsISE_E10value_typeEPNSK_ISF_E10value_typeEPSG_NS1_7vsmem_tEENKUlT_SE_SF_SG_E_clIS8_S8_S9_S9_EESD_ST_SE_SF_SG_EUlST_E1_NS1_11comp_targetILNS1_3genE8ELNS1_11target_archE1030ELNS1_3gpuE2ELNS1_3repE0EEENS1_36merge_oddeven_config_static_selectorELNS0_4arch9wavefront6targetE0EEEvSF_.has_dyn_sized_stack, 0
	.set _ZN7rocprim17ROCPRIM_400000_NS6detail17trampoline_kernelINS0_14default_configENS1_38merge_sort_block_merge_config_selectorIjNS0_10empty_typeEEEZZNS1_27merge_sort_block_merge_implIS3_PjPS5_jNS1_19radix_merge_compareILb1ELb0EjNS0_19identity_decomposerEEEEE10hipError_tT0_T1_T2_jT3_P12ihipStream_tbPNSt15iterator_traitsISE_E10value_typeEPNSK_ISF_E10value_typeEPSG_NS1_7vsmem_tEENKUlT_SE_SF_SG_E_clIS8_S8_S9_S9_EESD_ST_SE_SF_SG_EUlST_E1_NS1_11comp_targetILNS1_3genE8ELNS1_11target_archE1030ELNS1_3gpuE2ELNS1_3repE0EEENS1_36merge_oddeven_config_static_selectorELNS0_4arch9wavefront6targetE0EEEvSF_.has_recursion, 0
	.set _ZN7rocprim17ROCPRIM_400000_NS6detail17trampoline_kernelINS0_14default_configENS1_38merge_sort_block_merge_config_selectorIjNS0_10empty_typeEEEZZNS1_27merge_sort_block_merge_implIS3_PjPS5_jNS1_19radix_merge_compareILb1ELb0EjNS0_19identity_decomposerEEEEE10hipError_tT0_T1_T2_jT3_P12ihipStream_tbPNSt15iterator_traitsISE_E10value_typeEPNSK_ISF_E10value_typeEPSG_NS1_7vsmem_tEENKUlT_SE_SF_SG_E_clIS8_S8_S9_S9_EESD_ST_SE_SF_SG_EUlST_E1_NS1_11comp_targetILNS1_3genE8ELNS1_11target_archE1030ELNS1_3gpuE2ELNS1_3repE0EEENS1_36merge_oddeven_config_static_selectorELNS0_4arch9wavefront6targetE0EEEvSF_.has_indirect_call, 0
	.section	.AMDGPU.csdata,"",@progbits
; Kernel info:
; codeLenInByte = 0
; TotalNumSgprs: 0
; NumVgprs: 0
; ScratchSize: 0
; MemoryBound: 0
; FloatMode: 240
; IeeeMode: 1
; LDSByteSize: 0 bytes/workgroup (compile time only)
; SGPRBlocks: 0
; VGPRBlocks: 0
; NumSGPRsForWavesPerEU: 1
; NumVGPRsForWavesPerEU: 1
; NamedBarCnt: 0
; Occupancy: 16
; WaveLimiterHint : 0
; COMPUTE_PGM_RSRC2:SCRATCH_EN: 0
; COMPUTE_PGM_RSRC2:USER_SGPR: 2
; COMPUTE_PGM_RSRC2:TRAP_HANDLER: 0
; COMPUTE_PGM_RSRC2:TGID_X_EN: 1
; COMPUTE_PGM_RSRC2:TGID_Y_EN: 0
; COMPUTE_PGM_RSRC2:TGID_Z_EN: 0
; COMPUTE_PGM_RSRC2:TIDIG_COMP_CNT: 0
	.section	.text._ZN7rocprim17ROCPRIM_400000_NS6detail17trampoline_kernelINS0_14default_configENS1_25transform_config_selectorIjLb1EEEZNS1_14transform_implILb1ES3_S5_PjS7_NS0_8identityIjEEEE10hipError_tT2_T3_mT4_P12ihipStream_tbEUlT_E_NS1_11comp_targetILNS1_3genE0ELNS1_11target_archE4294967295ELNS1_3gpuE0ELNS1_3repE0EEENS1_30default_config_static_selectorELNS0_4arch9wavefront6targetE0EEEvT1_,"axG",@progbits,_ZN7rocprim17ROCPRIM_400000_NS6detail17trampoline_kernelINS0_14default_configENS1_25transform_config_selectorIjLb1EEEZNS1_14transform_implILb1ES3_S5_PjS7_NS0_8identityIjEEEE10hipError_tT2_T3_mT4_P12ihipStream_tbEUlT_E_NS1_11comp_targetILNS1_3genE0ELNS1_11target_archE4294967295ELNS1_3gpuE0ELNS1_3repE0EEENS1_30default_config_static_selectorELNS0_4arch9wavefront6targetE0EEEvT1_,comdat
	.protected	_ZN7rocprim17ROCPRIM_400000_NS6detail17trampoline_kernelINS0_14default_configENS1_25transform_config_selectorIjLb1EEEZNS1_14transform_implILb1ES3_S5_PjS7_NS0_8identityIjEEEE10hipError_tT2_T3_mT4_P12ihipStream_tbEUlT_E_NS1_11comp_targetILNS1_3genE0ELNS1_11target_archE4294967295ELNS1_3gpuE0ELNS1_3repE0EEENS1_30default_config_static_selectorELNS0_4arch9wavefront6targetE0EEEvT1_ ; -- Begin function _ZN7rocprim17ROCPRIM_400000_NS6detail17trampoline_kernelINS0_14default_configENS1_25transform_config_selectorIjLb1EEEZNS1_14transform_implILb1ES3_S5_PjS7_NS0_8identityIjEEEE10hipError_tT2_T3_mT4_P12ihipStream_tbEUlT_E_NS1_11comp_targetILNS1_3genE0ELNS1_11target_archE4294967295ELNS1_3gpuE0ELNS1_3repE0EEENS1_30default_config_static_selectorELNS0_4arch9wavefront6targetE0EEEvT1_
	.globl	_ZN7rocprim17ROCPRIM_400000_NS6detail17trampoline_kernelINS0_14default_configENS1_25transform_config_selectorIjLb1EEEZNS1_14transform_implILb1ES3_S5_PjS7_NS0_8identityIjEEEE10hipError_tT2_T3_mT4_P12ihipStream_tbEUlT_E_NS1_11comp_targetILNS1_3genE0ELNS1_11target_archE4294967295ELNS1_3gpuE0ELNS1_3repE0EEENS1_30default_config_static_selectorELNS0_4arch9wavefront6targetE0EEEvT1_
	.p2align	8
	.type	_ZN7rocprim17ROCPRIM_400000_NS6detail17trampoline_kernelINS0_14default_configENS1_25transform_config_selectorIjLb1EEEZNS1_14transform_implILb1ES3_S5_PjS7_NS0_8identityIjEEEE10hipError_tT2_T3_mT4_P12ihipStream_tbEUlT_E_NS1_11comp_targetILNS1_3genE0ELNS1_11target_archE4294967295ELNS1_3gpuE0ELNS1_3repE0EEENS1_30default_config_static_selectorELNS0_4arch9wavefront6targetE0EEEvT1_,@function
_ZN7rocprim17ROCPRIM_400000_NS6detail17trampoline_kernelINS0_14default_configENS1_25transform_config_selectorIjLb1EEEZNS1_14transform_implILb1ES3_S5_PjS7_NS0_8identityIjEEEE10hipError_tT2_T3_mT4_P12ihipStream_tbEUlT_E_NS1_11comp_targetILNS1_3genE0ELNS1_11target_archE4294967295ELNS1_3gpuE0ELNS1_3repE0EEENS1_30default_config_static_selectorELNS0_4arch9wavefront6targetE0EEEvT1_: ; @_ZN7rocprim17ROCPRIM_400000_NS6detail17trampoline_kernelINS0_14default_configENS1_25transform_config_selectorIjLb1EEEZNS1_14transform_implILb1ES3_S5_PjS7_NS0_8identityIjEEEE10hipError_tT2_T3_mT4_P12ihipStream_tbEUlT_E_NS1_11comp_targetILNS1_3genE0ELNS1_11target_archE4294967295ELNS1_3gpuE0ELNS1_3repE0EEENS1_30default_config_static_selectorELNS0_4arch9wavefront6targetE0EEEvT1_
; %bb.0:
	s_clause 0x1
	s_load_b256 s[4:11], s[0:1], 0x0
	s_load_b32 s12, s[0:1], 0x28
	s_wait_xcnt 0x0
	s_bfe_u32 s0, ttmp6, 0x4000c
	s_and_b32 s2, ttmp6, 15
	s_add_co_i32 s0, s0, 1
	s_wait_kmcnt 0x0
	s_getreg_b32 s9, hwreg(HW_REG_IB_STS2, 6, 4)
	s_mul_i32 s0, ttmp9, s0
	s_mov_b32 s1, 0
	s_add_co_i32 s0, s2, s0
	s_lshl_b64 s[2:3], s[6:7], 2
	s_cmp_eq_u32 s9, 0
	s_add_nc_u64 s[6:7], s[4:5], s[2:3]
	s_cselect_b32 s13, ttmp9, s0
	s_add_co_i32 s12, s12, -1
	s_lshl_b32 s0, s13, 8
	s_add_nc_u64 s[2:3], s[10:11], s[2:3]
	s_lshl_b64 s[4:5], s[0:1], 2
	s_mov_b32 s9, -1
	s_cmp_lg_u32 s13, s12
	s_add_nc_u64 s[6:7], s[6:7], s[4:5]
	s_cbranch_scc0 .LBB2575_2
; %bb.1:
	global_load_b64 v[2:3], v0, s[6:7] scale_offset
	s_add_nc_u64 s[10:11], s[2:3], s[4:5]
	s_mov_b32 s9, 0
	s_wait_loadcnt 0x0
	global_store_b64 v0, v[2:3], s[10:11] scale_offset
.LBB2575_2:
	s_and_not1_b32 vcc_lo, exec_lo, s9
	s_cbranch_vccnz .LBB2575_11
; %bb.3:
	s_sub_co_i32 s1, s8, s0
	s_wait_xcnt 0x0
	v_mov_b64_e32 v[2:3], 0
	v_cmp_gt_u32_e32 vcc_lo, s1, v0
	s_and_saveexec_b32 s0, vcc_lo
	s_cbranch_execz .LBB2575_5
; %bb.4:
	global_load_b32 v2, v0, s[6:7] scale_offset
	v_mov_b32_e32 v3, 0
.LBB2575_5:
	s_wait_xcnt 0x0
	s_or_b32 exec_lo, exec_lo, s0
	v_or_b32_e32 v1, 0x80, v0
	s_delay_alu instid0(VALU_DEP_1) | instskip(SKIP_2) | instid1(SALU_CYCLE_1)
	v_cmp_gt_u32_e64 s0, s1, v1
	v_cmp_le_u32_e64 s1, s1, v1
	s_and_saveexec_b32 s8, s1
	s_xor_b32 s1, exec_lo, s8
	s_delay_alu instid0(SALU_CYCLE_1)
	s_and_not1_saveexec_b32 s1, s1
	s_cbranch_execz .LBB2575_7
; %bb.6:
	global_load_b32 v3, v0, s[6:7] offset:512 scale_offset
.LBB2575_7:
	s_wait_xcnt 0x0
	s_or_b32 exec_lo, exec_lo, s1
	v_dual_mov_b32 v1, 0 :: v_dual_lshlrev_b32 v0, 2, v0
	s_add_nc_u64 s[2:3], s[2:3], s[4:5]
	s_wait_loadcnt 0x0
	v_cndmask_b32_e32 v2, 0, v2, vcc_lo
	s_delay_alu instid0(VALU_DEP_2)
	v_add_nc_u64_e32 v[0:1], s[2:3], v[0:1]
	s_and_saveexec_b32 s1, vcc_lo
	s_cbranch_execz .LBB2575_9
; %bb.8:
	global_store_b32 v[0:1], v2, off
.LBB2575_9:
	s_wait_xcnt 0x0
	s_or_b32 exec_lo, exec_lo, s1
	s_and_saveexec_b32 s1, s0
	s_cbranch_execz .LBB2575_11
; %bb.10:
	v_cndmask_b32_e64 v2, 0, v3, s0
	global_store_b32 v[0:1], v2, off offset:512
.LBB2575_11:
	s_endpgm
	.section	.rodata,"a",@progbits
	.p2align	6, 0x0
	.amdhsa_kernel _ZN7rocprim17ROCPRIM_400000_NS6detail17trampoline_kernelINS0_14default_configENS1_25transform_config_selectorIjLb1EEEZNS1_14transform_implILb1ES3_S5_PjS7_NS0_8identityIjEEEE10hipError_tT2_T3_mT4_P12ihipStream_tbEUlT_E_NS1_11comp_targetILNS1_3genE0ELNS1_11target_archE4294967295ELNS1_3gpuE0ELNS1_3repE0EEENS1_30default_config_static_selectorELNS0_4arch9wavefront6targetE0EEEvT1_
		.amdhsa_group_segment_fixed_size 0
		.amdhsa_private_segment_fixed_size 0
		.amdhsa_kernarg_size 296
		.amdhsa_user_sgpr_count 2
		.amdhsa_user_sgpr_dispatch_ptr 0
		.amdhsa_user_sgpr_queue_ptr 0
		.amdhsa_user_sgpr_kernarg_segment_ptr 1
		.amdhsa_user_sgpr_dispatch_id 0
		.amdhsa_user_sgpr_kernarg_preload_length 0
		.amdhsa_user_sgpr_kernarg_preload_offset 0
		.amdhsa_user_sgpr_private_segment_size 0
		.amdhsa_wavefront_size32 1
		.amdhsa_uses_dynamic_stack 0
		.amdhsa_enable_private_segment 0
		.amdhsa_system_sgpr_workgroup_id_x 1
		.amdhsa_system_sgpr_workgroup_id_y 0
		.amdhsa_system_sgpr_workgroup_id_z 0
		.amdhsa_system_sgpr_workgroup_info 0
		.amdhsa_system_vgpr_workitem_id 0
		.amdhsa_next_free_vgpr 4
		.amdhsa_next_free_sgpr 14
		.amdhsa_named_barrier_count 0
		.amdhsa_reserve_vcc 1
		.amdhsa_float_round_mode_32 0
		.amdhsa_float_round_mode_16_64 0
		.amdhsa_float_denorm_mode_32 3
		.amdhsa_float_denorm_mode_16_64 3
		.amdhsa_fp16_overflow 0
		.amdhsa_memory_ordered 1
		.amdhsa_forward_progress 1
		.amdhsa_inst_pref_size 3
		.amdhsa_round_robin_scheduling 0
		.amdhsa_exception_fp_ieee_invalid_op 0
		.amdhsa_exception_fp_denorm_src 0
		.amdhsa_exception_fp_ieee_div_zero 0
		.amdhsa_exception_fp_ieee_overflow 0
		.amdhsa_exception_fp_ieee_underflow 0
		.amdhsa_exception_fp_ieee_inexact 0
		.amdhsa_exception_int_div_zero 0
	.end_amdhsa_kernel
	.section	.text._ZN7rocprim17ROCPRIM_400000_NS6detail17trampoline_kernelINS0_14default_configENS1_25transform_config_selectorIjLb1EEEZNS1_14transform_implILb1ES3_S5_PjS7_NS0_8identityIjEEEE10hipError_tT2_T3_mT4_P12ihipStream_tbEUlT_E_NS1_11comp_targetILNS1_3genE0ELNS1_11target_archE4294967295ELNS1_3gpuE0ELNS1_3repE0EEENS1_30default_config_static_selectorELNS0_4arch9wavefront6targetE0EEEvT1_,"axG",@progbits,_ZN7rocprim17ROCPRIM_400000_NS6detail17trampoline_kernelINS0_14default_configENS1_25transform_config_selectorIjLb1EEEZNS1_14transform_implILb1ES3_S5_PjS7_NS0_8identityIjEEEE10hipError_tT2_T3_mT4_P12ihipStream_tbEUlT_E_NS1_11comp_targetILNS1_3genE0ELNS1_11target_archE4294967295ELNS1_3gpuE0ELNS1_3repE0EEENS1_30default_config_static_selectorELNS0_4arch9wavefront6targetE0EEEvT1_,comdat
.Lfunc_end2575:
	.size	_ZN7rocprim17ROCPRIM_400000_NS6detail17trampoline_kernelINS0_14default_configENS1_25transform_config_selectorIjLb1EEEZNS1_14transform_implILb1ES3_S5_PjS7_NS0_8identityIjEEEE10hipError_tT2_T3_mT4_P12ihipStream_tbEUlT_E_NS1_11comp_targetILNS1_3genE0ELNS1_11target_archE4294967295ELNS1_3gpuE0ELNS1_3repE0EEENS1_30default_config_static_selectorELNS0_4arch9wavefront6targetE0EEEvT1_, .Lfunc_end2575-_ZN7rocprim17ROCPRIM_400000_NS6detail17trampoline_kernelINS0_14default_configENS1_25transform_config_selectorIjLb1EEEZNS1_14transform_implILb1ES3_S5_PjS7_NS0_8identityIjEEEE10hipError_tT2_T3_mT4_P12ihipStream_tbEUlT_E_NS1_11comp_targetILNS1_3genE0ELNS1_11target_archE4294967295ELNS1_3gpuE0ELNS1_3repE0EEENS1_30default_config_static_selectorELNS0_4arch9wavefront6targetE0EEEvT1_
                                        ; -- End function
	.set _ZN7rocprim17ROCPRIM_400000_NS6detail17trampoline_kernelINS0_14default_configENS1_25transform_config_selectorIjLb1EEEZNS1_14transform_implILb1ES3_S5_PjS7_NS0_8identityIjEEEE10hipError_tT2_T3_mT4_P12ihipStream_tbEUlT_E_NS1_11comp_targetILNS1_3genE0ELNS1_11target_archE4294967295ELNS1_3gpuE0ELNS1_3repE0EEENS1_30default_config_static_selectorELNS0_4arch9wavefront6targetE0EEEvT1_.num_vgpr, 4
	.set _ZN7rocprim17ROCPRIM_400000_NS6detail17trampoline_kernelINS0_14default_configENS1_25transform_config_selectorIjLb1EEEZNS1_14transform_implILb1ES3_S5_PjS7_NS0_8identityIjEEEE10hipError_tT2_T3_mT4_P12ihipStream_tbEUlT_E_NS1_11comp_targetILNS1_3genE0ELNS1_11target_archE4294967295ELNS1_3gpuE0ELNS1_3repE0EEENS1_30default_config_static_selectorELNS0_4arch9wavefront6targetE0EEEvT1_.num_agpr, 0
	.set _ZN7rocprim17ROCPRIM_400000_NS6detail17trampoline_kernelINS0_14default_configENS1_25transform_config_selectorIjLb1EEEZNS1_14transform_implILb1ES3_S5_PjS7_NS0_8identityIjEEEE10hipError_tT2_T3_mT4_P12ihipStream_tbEUlT_E_NS1_11comp_targetILNS1_3genE0ELNS1_11target_archE4294967295ELNS1_3gpuE0ELNS1_3repE0EEENS1_30default_config_static_selectorELNS0_4arch9wavefront6targetE0EEEvT1_.numbered_sgpr, 14
	.set _ZN7rocprim17ROCPRIM_400000_NS6detail17trampoline_kernelINS0_14default_configENS1_25transform_config_selectorIjLb1EEEZNS1_14transform_implILb1ES3_S5_PjS7_NS0_8identityIjEEEE10hipError_tT2_T3_mT4_P12ihipStream_tbEUlT_E_NS1_11comp_targetILNS1_3genE0ELNS1_11target_archE4294967295ELNS1_3gpuE0ELNS1_3repE0EEENS1_30default_config_static_selectorELNS0_4arch9wavefront6targetE0EEEvT1_.num_named_barrier, 0
	.set _ZN7rocprim17ROCPRIM_400000_NS6detail17trampoline_kernelINS0_14default_configENS1_25transform_config_selectorIjLb1EEEZNS1_14transform_implILb1ES3_S5_PjS7_NS0_8identityIjEEEE10hipError_tT2_T3_mT4_P12ihipStream_tbEUlT_E_NS1_11comp_targetILNS1_3genE0ELNS1_11target_archE4294967295ELNS1_3gpuE0ELNS1_3repE0EEENS1_30default_config_static_selectorELNS0_4arch9wavefront6targetE0EEEvT1_.private_seg_size, 0
	.set _ZN7rocprim17ROCPRIM_400000_NS6detail17trampoline_kernelINS0_14default_configENS1_25transform_config_selectorIjLb1EEEZNS1_14transform_implILb1ES3_S5_PjS7_NS0_8identityIjEEEE10hipError_tT2_T3_mT4_P12ihipStream_tbEUlT_E_NS1_11comp_targetILNS1_3genE0ELNS1_11target_archE4294967295ELNS1_3gpuE0ELNS1_3repE0EEENS1_30default_config_static_selectorELNS0_4arch9wavefront6targetE0EEEvT1_.uses_vcc, 1
	.set _ZN7rocprim17ROCPRIM_400000_NS6detail17trampoline_kernelINS0_14default_configENS1_25transform_config_selectorIjLb1EEEZNS1_14transform_implILb1ES3_S5_PjS7_NS0_8identityIjEEEE10hipError_tT2_T3_mT4_P12ihipStream_tbEUlT_E_NS1_11comp_targetILNS1_3genE0ELNS1_11target_archE4294967295ELNS1_3gpuE0ELNS1_3repE0EEENS1_30default_config_static_selectorELNS0_4arch9wavefront6targetE0EEEvT1_.uses_flat_scratch, 0
	.set _ZN7rocprim17ROCPRIM_400000_NS6detail17trampoline_kernelINS0_14default_configENS1_25transform_config_selectorIjLb1EEEZNS1_14transform_implILb1ES3_S5_PjS7_NS0_8identityIjEEEE10hipError_tT2_T3_mT4_P12ihipStream_tbEUlT_E_NS1_11comp_targetILNS1_3genE0ELNS1_11target_archE4294967295ELNS1_3gpuE0ELNS1_3repE0EEENS1_30default_config_static_selectorELNS0_4arch9wavefront6targetE0EEEvT1_.has_dyn_sized_stack, 0
	.set _ZN7rocprim17ROCPRIM_400000_NS6detail17trampoline_kernelINS0_14default_configENS1_25transform_config_selectorIjLb1EEEZNS1_14transform_implILb1ES3_S5_PjS7_NS0_8identityIjEEEE10hipError_tT2_T3_mT4_P12ihipStream_tbEUlT_E_NS1_11comp_targetILNS1_3genE0ELNS1_11target_archE4294967295ELNS1_3gpuE0ELNS1_3repE0EEENS1_30default_config_static_selectorELNS0_4arch9wavefront6targetE0EEEvT1_.has_recursion, 0
	.set _ZN7rocprim17ROCPRIM_400000_NS6detail17trampoline_kernelINS0_14default_configENS1_25transform_config_selectorIjLb1EEEZNS1_14transform_implILb1ES3_S5_PjS7_NS0_8identityIjEEEE10hipError_tT2_T3_mT4_P12ihipStream_tbEUlT_E_NS1_11comp_targetILNS1_3genE0ELNS1_11target_archE4294967295ELNS1_3gpuE0ELNS1_3repE0EEENS1_30default_config_static_selectorELNS0_4arch9wavefront6targetE0EEEvT1_.has_indirect_call, 0
	.section	.AMDGPU.csdata,"",@progbits
; Kernel info:
; codeLenInByte = 356
; TotalNumSgprs: 16
; NumVgprs: 4
; ScratchSize: 0
; MemoryBound: 0
; FloatMode: 240
; IeeeMode: 1
; LDSByteSize: 0 bytes/workgroup (compile time only)
; SGPRBlocks: 0
; VGPRBlocks: 0
; NumSGPRsForWavesPerEU: 16
; NumVGPRsForWavesPerEU: 4
; NamedBarCnt: 0
; Occupancy: 16
; WaveLimiterHint : 0
; COMPUTE_PGM_RSRC2:SCRATCH_EN: 0
; COMPUTE_PGM_RSRC2:USER_SGPR: 2
; COMPUTE_PGM_RSRC2:TRAP_HANDLER: 0
; COMPUTE_PGM_RSRC2:TGID_X_EN: 1
; COMPUTE_PGM_RSRC2:TGID_Y_EN: 0
; COMPUTE_PGM_RSRC2:TGID_Z_EN: 0
; COMPUTE_PGM_RSRC2:TIDIG_COMP_CNT: 0
	.section	.text._ZN7rocprim17ROCPRIM_400000_NS6detail17trampoline_kernelINS0_14default_configENS1_25transform_config_selectorIjLb1EEEZNS1_14transform_implILb1ES3_S5_PjS7_NS0_8identityIjEEEE10hipError_tT2_T3_mT4_P12ihipStream_tbEUlT_E_NS1_11comp_targetILNS1_3genE10ELNS1_11target_archE1201ELNS1_3gpuE5ELNS1_3repE0EEENS1_30default_config_static_selectorELNS0_4arch9wavefront6targetE0EEEvT1_,"axG",@progbits,_ZN7rocprim17ROCPRIM_400000_NS6detail17trampoline_kernelINS0_14default_configENS1_25transform_config_selectorIjLb1EEEZNS1_14transform_implILb1ES3_S5_PjS7_NS0_8identityIjEEEE10hipError_tT2_T3_mT4_P12ihipStream_tbEUlT_E_NS1_11comp_targetILNS1_3genE10ELNS1_11target_archE1201ELNS1_3gpuE5ELNS1_3repE0EEENS1_30default_config_static_selectorELNS0_4arch9wavefront6targetE0EEEvT1_,comdat
	.protected	_ZN7rocprim17ROCPRIM_400000_NS6detail17trampoline_kernelINS0_14default_configENS1_25transform_config_selectorIjLb1EEEZNS1_14transform_implILb1ES3_S5_PjS7_NS0_8identityIjEEEE10hipError_tT2_T3_mT4_P12ihipStream_tbEUlT_E_NS1_11comp_targetILNS1_3genE10ELNS1_11target_archE1201ELNS1_3gpuE5ELNS1_3repE0EEENS1_30default_config_static_selectorELNS0_4arch9wavefront6targetE0EEEvT1_ ; -- Begin function _ZN7rocprim17ROCPRIM_400000_NS6detail17trampoline_kernelINS0_14default_configENS1_25transform_config_selectorIjLb1EEEZNS1_14transform_implILb1ES3_S5_PjS7_NS0_8identityIjEEEE10hipError_tT2_T3_mT4_P12ihipStream_tbEUlT_E_NS1_11comp_targetILNS1_3genE10ELNS1_11target_archE1201ELNS1_3gpuE5ELNS1_3repE0EEENS1_30default_config_static_selectorELNS0_4arch9wavefront6targetE0EEEvT1_
	.globl	_ZN7rocprim17ROCPRIM_400000_NS6detail17trampoline_kernelINS0_14default_configENS1_25transform_config_selectorIjLb1EEEZNS1_14transform_implILb1ES3_S5_PjS7_NS0_8identityIjEEEE10hipError_tT2_T3_mT4_P12ihipStream_tbEUlT_E_NS1_11comp_targetILNS1_3genE10ELNS1_11target_archE1201ELNS1_3gpuE5ELNS1_3repE0EEENS1_30default_config_static_selectorELNS0_4arch9wavefront6targetE0EEEvT1_
	.p2align	8
	.type	_ZN7rocprim17ROCPRIM_400000_NS6detail17trampoline_kernelINS0_14default_configENS1_25transform_config_selectorIjLb1EEEZNS1_14transform_implILb1ES3_S5_PjS7_NS0_8identityIjEEEE10hipError_tT2_T3_mT4_P12ihipStream_tbEUlT_E_NS1_11comp_targetILNS1_3genE10ELNS1_11target_archE1201ELNS1_3gpuE5ELNS1_3repE0EEENS1_30default_config_static_selectorELNS0_4arch9wavefront6targetE0EEEvT1_,@function
_ZN7rocprim17ROCPRIM_400000_NS6detail17trampoline_kernelINS0_14default_configENS1_25transform_config_selectorIjLb1EEEZNS1_14transform_implILb1ES3_S5_PjS7_NS0_8identityIjEEEE10hipError_tT2_T3_mT4_P12ihipStream_tbEUlT_E_NS1_11comp_targetILNS1_3genE10ELNS1_11target_archE1201ELNS1_3gpuE5ELNS1_3repE0EEENS1_30default_config_static_selectorELNS0_4arch9wavefront6targetE0EEEvT1_: ; @_ZN7rocprim17ROCPRIM_400000_NS6detail17trampoline_kernelINS0_14default_configENS1_25transform_config_selectorIjLb1EEEZNS1_14transform_implILb1ES3_S5_PjS7_NS0_8identityIjEEEE10hipError_tT2_T3_mT4_P12ihipStream_tbEUlT_E_NS1_11comp_targetILNS1_3genE10ELNS1_11target_archE1201ELNS1_3gpuE5ELNS1_3repE0EEENS1_30default_config_static_selectorELNS0_4arch9wavefront6targetE0EEEvT1_
; %bb.0:
	.section	.rodata,"a",@progbits
	.p2align	6, 0x0
	.amdhsa_kernel _ZN7rocprim17ROCPRIM_400000_NS6detail17trampoline_kernelINS0_14default_configENS1_25transform_config_selectorIjLb1EEEZNS1_14transform_implILb1ES3_S5_PjS7_NS0_8identityIjEEEE10hipError_tT2_T3_mT4_P12ihipStream_tbEUlT_E_NS1_11comp_targetILNS1_3genE10ELNS1_11target_archE1201ELNS1_3gpuE5ELNS1_3repE0EEENS1_30default_config_static_selectorELNS0_4arch9wavefront6targetE0EEEvT1_
		.amdhsa_group_segment_fixed_size 0
		.amdhsa_private_segment_fixed_size 0
		.amdhsa_kernarg_size 40
		.amdhsa_user_sgpr_count 2
		.amdhsa_user_sgpr_dispatch_ptr 0
		.amdhsa_user_sgpr_queue_ptr 0
		.amdhsa_user_sgpr_kernarg_segment_ptr 1
		.amdhsa_user_sgpr_dispatch_id 0
		.amdhsa_user_sgpr_kernarg_preload_length 0
		.amdhsa_user_sgpr_kernarg_preload_offset 0
		.amdhsa_user_sgpr_private_segment_size 0
		.amdhsa_wavefront_size32 1
		.amdhsa_uses_dynamic_stack 0
		.amdhsa_enable_private_segment 0
		.amdhsa_system_sgpr_workgroup_id_x 1
		.amdhsa_system_sgpr_workgroup_id_y 0
		.amdhsa_system_sgpr_workgroup_id_z 0
		.amdhsa_system_sgpr_workgroup_info 0
		.amdhsa_system_vgpr_workitem_id 0
		.amdhsa_next_free_vgpr 1
		.amdhsa_next_free_sgpr 1
		.amdhsa_named_barrier_count 0
		.amdhsa_reserve_vcc 0
		.amdhsa_float_round_mode_32 0
		.amdhsa_float_round_mode_16_64 0
		.amdhsa_float_denorm_mode_32 3
		.amdhsa_float_denorm_mode_16_64 3
		.amdhsa_fp16_overflow 0
		.amdhsa_memory_ordered 1
		.amdhsa_forward_progress 1
		.amdhsa_inst_pref_size 0
		.amdhsa_round_robin_scheduling 0
		.amdhsa_exception_fp_ieee_invalid_op 0
		.amdhsa_exception_fp_denorm_src 0
		.amdhsa_exception_fp_ieee_div_zero 0
		.amdhsa_exception_fp_ieee_overflow 0
		.amdhsa_exception_fp_ieee_underflow 0
		.amdhsa_exception_fp_ieee_inexact 0
		.amdhsa_exception_int_div_zero 0
	.end_amdhsa_kernel
	.section	.text._ZN7rocprim17ROCPRIM_400000_NS6detail17trampoline_kernelINS0_14default_configENS1_25transform_config_selectorIjLb1EEEZNS1_14transform_implILb1ES3_S5_PjS7_NS0_8identityIjEEEE10hipError_tT2_T3_mT4_P12ihipStream_tbEUlT_E_NS1_11comp_targetILNS1_3genE10ELNS1_11target_archE1201ELNS1_3gpuE5ELNS1_3repE0EEENS1_30default_config_static_selectorELNS0_4arch9wavefront6targetE0EEEvT1_,"axG",@progbits,_ZN7rocprim17ROCPRIM_400000_NS6detail17trampoline_kernelINS0_14default_configENS1_25transform_config_selectorIjLb1EEEZNS1_14transform_implILb1ES3_S5_PjS7_NS0_8identityIjEEEE10hipError_tT2_T3_mT4_P12ihipStream_tbEUlT_E_NS1_11comp_targetILNS1_3genE10ELNS1_11target_archE1201ELNS1_3gpuE5ELNS1_3repE0EEENS1_30default_config_static_selectorELNS0_4arch9wavefront6targetE0EEEvT1_,comdat
.Lfunc_end2576:
	.size	_ZN7rocprim17ROCPRIM_400000_NS6detail17trampoline_kernelINS0_14default_configENS1_25transform_config_selectorIjLb1EEEZNS1_14transform_implILb1ES3_S5_PjS7_NS0_8identityIjEEEE10hipError_tT2_T3_mT4_P12ihipStream_tbEUlT_E_NS1_11comp_targetILNS1_3genE10ELNS1_11target_archE1201ELNS1_3gpuE5ELNS1_3repE0EEENS1_30default_config_static_selectorELNS0_4arch9wavefront6targetE0EEEvT1_, .Lfunc_end2576-_ZN7rocprim17ROCPRIM_400000_NS6detail17trampoline_kernelINS0_14default_configENS1_25transform_config_selectorIjLb1EEEZNS1_14transform_implILb1ES3_S5_PjS7_NS0_8identityIjEEEE10hipError_tT2_T3_mT4_P12ihipStream_tbEUlT_E_NS1_11comp_targetILNS1_3genE10ELNS1_11target_archE1201ELNS1_3gpuE5ELNS1_3repE0EEENS1_30default_config_static_selectorELNS0_4arch9wavefront6targetE0EEEvT1_
                                        ; -- End function
	.set _ZN7rocprim17ROCPRIM_400000_NS6detail17trampoline_kernelINS0_14default_configENS1_25transform_config_selectorIjLb1EEEZNS1_14transform_implILb1ES3_S5_PjS7_NS0_8identityIjEEEE10hipError_tT2_T3_mT4_P12ihipStream_tbEUlT_E_NS1_11comp_targetILNS1_3genE10ELNS1_11target_archE1201ELNS1_3gpuE5ELNS1_3repE0EEENS1_30default_config_static_selectorELNS0_4arch9wavefront6targetE0EEEvT1_.num_vgpr, 0
	.set _ZN7rocprim17ROCPRIM_400000_NS6detail17trampoline_kernelINS0_14default_configENS1_25transform_config_selectorIjLb1EEEZNS1_14transform_implILb1ES3_S5_PjS7_NS0_8identityIjEEEE10hipError_tT2_T3_mT4_P12ihipStream_tbEUlT_E_NS1_11comp_targetILNS1_3genE10ELNS1_11target_archE1201ELNS1_3gpuE5ELNS1_3repE0EEENS1_30default_config_static_selectorELNS0_4arch9wavefront6targetE0EEEvT1_.num_agpr, 0
	.set _ZN7rocprim17ROCPRIM_400000_NS6detail17trampoline_kernelINS0_14default_configENS1_25transform_config_selectorIjLb1EEEZNS1_14transform_implILb1ES3_S5_PjS7_NS0_8identityIjEEEE10hipError_tT2_T3_mT4_P12ihipStream_tbEUlT_E_NS1_11comp_targetILNS1_3genE10ELNS1_11target_archE1201ELNS1_3gpuE5ELNS1_3repE0EEENS1_30default_config_static_selectorELNS0_4arch9wavefront6targetE0EEEvT1_.numbered_sgpr, 0
	.set _ZN7rocprim17ROCPRIM_400000_NS6detail17trampoline_kernelINS0_14default_configENS1_25transform_config_selectorIjLb1EEEZNS1_14transform_implILb1ES3_S5_PjS7_NS0_8identityIjEEEE10hipError_tT2_T3_mT4_P12ihipStream_tbEUlT_E_NS1_11comp_targetILNS1_3genE10ELNS1_11target_archE1201ELNS1_3gpuE5ELNS1_3repE0EEENS1_30default_config_static_selectorELNS0_4arch9wavefront6targetE0EEEvT1_.num_named_barrier, 0
	.set _ZN7rocprim17ROCPRIM_400000_NS6detail17trampoline_kernelINS0_14default_configENS1_25transform_config_selectorIjLb1EEEZNS1_14transform_implILb1ES3_S5_PjS7_NS0_8identityIjEEEE10hipError_tT2_T3_mT4_P12ihipStream_tbEUlT_E_NS1_11comp_targetILNS1_3genE10ELNS1_11target_archE1201ELNS1_3gpuE5ELNS1_3repE0EEENS1_30default_config_static_selectorELNS0_4arch9wavefront6targetE0EEEvT1_.private_seg_size, 0
	.set _ZN7rocprim17ROCPRIM_400000_NS6detail17trampoline_kernelINS0_14default_configENS1_25transform_config_selectorIjLb1EEEZNS1_14transform_implILb1ES3_S5_PjS7_NS0_8identityIjEEEE10hipError_tT2_T3_mT4_P12ihipStream_tbEUlT_E_NS1_11comp_targetILNS1_3genE10ELNS1_11target_archE1201ELNS1_3gpuE5ELNS1_3repE0EEENS1_30default_config_static_selectorELNS0_4arch9wavefront6targetE0EEEvT1_.uses_vcc, 0
	.set _ZN7rocprim17ROCPRIM_400000_NS6detail17trampoline_kernelINS0_14default_configENS1_25transform_config_selectorIjLb1EEEZNS1_14transform_implILb1ES3_S5_PjS7_NS0_8identityIjEEEE10hipError_tT2_T3_mT4_P12ihipStream_tbEUlT_E_NS1_11comp_targetILNS1_3genE10ELNS1_11target_archE1201ELNS1_3gpuE5ELNS1_3repE0EEENS1_30default_config_static_selectorELNS0_4arch9wavefront6targetE0EEEvT1_.uses_flat_scratch, 0
	.set _ZN7rocprim17ROCPRIM_400000_NS6detail17trampoline_kernelINS0_14default_configENS1_25transform_config_selectorIjLb1EEEZNS1_14transform_implILb1ES3_S5_PjS7_NS0_8identityIjEEEE10hipError_tT2_T3_mT4_P12ihipStream_tbEUlT_E_NS1_11comp_targetILNS1_3genE10ELNS1_11target_archE1201ELNS1_3gpuE5ELNS1_3repE0EEENS1_30default_config_static_selectorELNS0_4arch9wavefront6targetE0EEEvT1_.has_dyn_sized_stack, 0
	.set _ZN7rocprim17ROCPRIM_400000_NS6detail17trampoline_kernelINS0_14default_configENS1_25transform_config_selectorIjLb1EEEZNS1_14transform_implILb1ES3_S5_PjS7_NS0_8identityIjEEEE10hipError_tT2_T3_mT4_P12ihipStream_tbEUlT_E_NS1_11comp_targetILNS1_3genE10ELNS1_11target_archE1201ELNS1_3gpuE5ELNS1_3repE0EEENS1_30default_config_static_selectorELNS0_4arch9wavefront6targetE0EEEvT1_.has_recursion, 0
	.set _ZN7rocprim17ROCPRIM_400000_NS6detail17trampoline_kernelINS0_14default_configENS1_25transform_config_selectorIjLb1EEEZNS1_14transform_implILb1ES3_S5_PjS7_NS0_8identityIjEEEE10hipError_tT2_T3_mT4_P12ihipStream_tbEUlT_E_NS1_11comp_targetILNS1_3genE10ELNS1_11target_archE1201ELNS1_3gpuE5ELNS1_3repE0EEENS1_30default_config_static_selectorELNS0_4arch9wavefront6targetE0EEEvT1_.has_indirect_call, 0
	.section	.AMDGPU.csdata,"",@progbits
; Kernel info:
; codeLenInByte = 0
; TotalNumSgprs: 0
; NumVgprs: 0
; ScratchSize: 0
; MemoryBound: 0
; FloatMode: 240
; IeeeMode: 1
; LDSByteSize: 0 bytes/workgroup (compile time only)
; SGPRBlocks: 0
; VGPRBlocks: 0
; NumSGPRsForWavesPerEU: 1
; NumVGPRsForWavesPerEU: 1
; NamedBarCnt: 0
; Occupancy: 16
; WaveLimiterHint : 0
; COMPUTE_PGM_RSRC2:SCRATCH_EN: 0
; COMPUTE_PGM_RSRC2:USER_SGPR: 2
; COMPUTE_PGM_RSRC2:TRAP_HANDLER: 0
; COMPUTE_PGM_RSRC2:TGID_X_EN: 1
; COMPUTE_PGM_RSRC2:TGID_Y_EN: 0
; COMPUTE_PGM_RSRC2:TGID_Z_EN: 0
; COMPUTE_PGM_RSRC2:TIDIG_COMP_CNT: 0
	.section	.text._ZN7rocprim17ROCPRIM_400000_NS6detail17trampoline_kernelINS0_14default_configENS1_25transform_config_selectorIjLb1EEEZNS1_14transform_implILb1ES3_S5_PjS7_NS0_8identityIjEEEE10hipError_tT2_T3_mT4_P12ihipStream_tbEUlT_E_NS1_11comp_targetILNS1_3genE5ELNS1_11target_archE942ELNS1_3gpuE9ELNS1_3repE0EEENS1_30default_config_static_selectorELNS0_4arch9wavefront6targetE0EEEvT1_,"axG",@progbits,_ZN7rocprim17ROCPRIM_400000_NS6detail17trampoline_kernelINS0_14default_configENS1_25transform_config_selectorIjLb1EEEZNS1_14transform_implILb1ES3_S5_PjS7_NS0_8identityIjEEEE10hipError_tT2_T3_mT4_P12ihipStream_tbEUlT_E_NS1_11comp_targetILNS1_3genE5ELNS1_11target_archE942ELNS1_3gpuE9ELNS1_3repE0EEENS1_30default_config_static_selectorELNS0_4arch9wavefront6targetE0EEEvT1_,comdat
	.protected	_ZN7rocprim17ROCPRIM_400000_NS6detail17trampoline_kernelINS0_14default_configENS1_25transform_config_selectorIjLb1EEEZNS1_14transform_implILb1ES3_S5_PjS7_NS0_8identityIjEEEE10hipError_tT2_T3_mT4_P12ihipStream_tbEUlT_E_NS1_11comp_targetILNS1_3genE5ELNS1_11target_archE942ELNS1_3gpuE9ELNS1_3repE0EEENS1_30default_config_static_selectorELNS0_4arch9wavefront6targetE0EEEvT1_ ; -- Begin function _ZN7rocprim17ROCPRIM_400000_NS6detail17trampoline_kernelINS0_14default_configENS1_25transform_config_selectorIjLb1EEEZNS1_14transform_implILb1ES3_S5_PjS7_NS0_8identityIjEEEE10hipError_tT2_T3_mT4_P12ihipStream_tbEUlT_E_NS1_11comp_targetILNS1_3genE5ELNS1_11target_archE942ELNS1_3gpuE9ELNS1_3repE0EEENS1_30default_config_static_selectorELNS0_4arch9wavefront6targetE0EEEvT1_
	.globl	_ZN7rocprim17ROCPRIM_400000_NS6detail17trampoline_kernelINS0_14default_configENS1_25transform_config_selectorIjLb1EEEZNS1_14transform_implILb1ES3_S5_PjS7_NS0_8identityIjEEEE10hipError_tT2_T3_mT4_P12ihipStream_tbEUlT_E_NS1_11comp_targetILNS1_3genE5ELNS1_11target_archE942ELNS1_3gpuE9ELNS1_3repE0EEENS1_30default_config_static_selectorELNS0_4arch9wavefront6targetE0EEEvT1_
	.p2align	8
	.type	_ZN7rocprim17ROCPRIM_400000_NS6detail17trampoline_kernelINS0_14default_configENS1_25transform_config_selectorIjLb1EEEZNS1_14transform_implILb1ES3_S5_PjS7_NS0_8identityIjEEEE10hipError_tT2_T3_mT4_P12ihipStream_tbEUlT_E_NS1_11comp_targetILNS1_3genE5ELNS1_11target_archE942ELNS1_3gpuE9ELNS1_3repE0EEENS1_30default_config_static_selectorELNS0_4arch9wavefront6targetE0EEEvT1_,@function
_ZN7rocprim17ROCPRIM_400000_NS6detail17trampoline_kernelINS0_14default_configENS1_25transform_config_selectorIjLb1EEEZNS1_14transform_implILb1ES3_S5_PjS7_NS0_8identityIjEEEE10hipError_tT2_T3_mT4_P12ihipStream_tbEUlT_E_NS1_11comp_targetILNS1_3genE5ELNS1_11target_archE942ELNS1_3gpuE9ELNS1_3repE0EEENS1_30default_config_static_selectorELNS0_4arch9wavefront6targetE0EEEvT1_: ; @_ZN7rocprim17ROCPRIM_400000_NS6detail17trampoline_kernelINS0_14default_configENS1_25transform_config_selectorIjLb1EEEZNS1_14transform_implILb1ES3_S5_PjS7_NS0_8identityIjEEEE10hipError_tT2_T3_mT4_P12ihipStream_tbEUlT_E_NS1_11comp_targetILNS1_3genE5ELNS1_11target_archE942ELNS1_3gpuE9ELNS1_3repE0EEENS1_30default_config_static_selectorELNS0_4arch9wavefront6targetE0EEEvT1_
; %bb.0:
	.section	.rodata,"a",@progbits
	.p2align	6, 0x0
	.amdhsa_kernel _ZN7rocprim17ROCPRIM_400000_NS6detail17trampoline_kernelINS0_14default_configENS1_25transform_config_selectorIjLb1EEEZNS1_14transform_implILb1ES3_S5_PjS7_NS0_8identityIjEEEE10hipError_tT2_T3_mT4_P12ihipStream_tbEUlT_E_NS1_11comp_targetILNS1_3genE5ELNS1_11target_archE942ELNS1_3gpuE9ELNS1_3repE0EEENS1_30default_config_static_selectorELNS0_4arch9wavefront6targetE0EEEvT1_
		.amdhsa_group_segment_fixed_size 0
		.amdhsa_private_segment_fixed_size 0
		.amdhsa_kernarg_size 40
		.amdhsa_user_sgpr_count 2
		.amdhsa_user_sgpr_dispatch_ptr 0
		.amdhsa_user_sgpr_queue_ptr 0
		.amdhsa_user_sgpr_kernarg_segment_ptr 1
		.amdhsa_user_sgpr_dispatch_id 0
		.amdhsa_user_sgpr_kernarg_preload_length 0
		.amdhsa_user_sgpr_kernarg_preload_offset 0
		.amdhsa_user_sgpr_private_segment_size 0
		.amdhsa_wavefront_size32 1
		.amdhsa_uses_dynamic_stack 0
		.amdhsa_enable_private_segment 0
		.amdhsa_system_sgpr_workgroup_id_x 1
		.amdhsa_system_sgpr_workgroup_id_y 0
		.amdhsa_system_sgpr_workgroup_id_z 0
		.amdhsa_system_sgpr_workgroup_info 0
		.amdhsa_system_vgpr_workitem_id 0
		.amdhsa_next_free_vgpr 1
		.amdhsa_next_free_sgpr 1
		.amdhsa_named_barrier_count 0
		.amdhsa_reserve_vcc 0
		.amdhsa_float_round_mode_32 0
		.amdhsa_float_round_mode_16_64 0
		.amdhsa_float_denorm_mode_32 3
		.amdhsa_float_denorm_mode_16_64 3
		.amdhsa_fp16_overflow 0
		.amdhsa_memory_ordered 1
		.amdhsa_forward_progress 1
		.amdhsa_inst_pref_size 0
		.amdhsa_round_robin_scheduling 0
		.amdhsa_exception_fp_ieee_invalid_op 0
		.amdhsa_exception_fp_denorm_src 0
		.amdhsa_exception_fp_ieee_div_zero 0
		.amdhsa_exception_fp_ieee_overflow 0
		.amdhsa_exception_fp_ieee_underflow 0
		.amdhsa_exception_fp_ieee_inexact 0
		.amdhsa_exception_int_div_zero 0
	.end_amdhsa_kernel
	.section	.text._ZN7rocprim17ROCPRIM_400000_NS6detail17trampoline_kernelINS0_14default_configENS1_25transform_config_selectorIjLb1EEEZNS1_14transform_implILb1ES3_S5_PjS7_NS0_8identityIjEEEE10hipError_tT2_T3_mT4_P12ihipStream_tbEUlT_E_NS1_11comp_targetILNS1_3genE5ELNS1_11target_archE942ELNS1_3gpuE9ELNS1_3repE0EEENS1_30default_config_static_selectorELNS0_4arch9wavefront6targetE0EEEvT1_,"axG",@progbits,_ZN7rocprim17ROCPRIM_400000_NS6detail17trampoline_kernelINS0_14default_configENS1_25transform_config_selectorIjLb1EEEZNS1_14transform_implILb1ES3_S5_PjS7_NS0_8identityIjEEEE10hipError_tT2_T3_mT4_P12ihipStream_tbEUlT_E_NS1_11comp_targetILNS1_3genE5ELNS1_11target_archE942ELNS1_3gpuE9ELNS1_3repE0EEENS1_30default_config_static_selectorELNS0_4arch9wavefront6targetE0EEEvT1_,comdat
.Lfunc_end2577:
	.size	_ZN7rocprim17ROCPRIM_400000_NS6detail17trampoline_kernelINS0_14default_configENS1_25transform_config_selectorIjLb1EEEZNS1_14transform_implILb1ES3_S5_PjS7_NS0_8identityIjEEEE10hipError_tT2_T3_mT4_P12ihipStream_tbEUlT_E_NS1_11comp_targetILNS1_3genE5ELNS1_11target_archE942ELNS1_3gpuE9ELNS1_3repE0EEENS1_30default_config_static_selectorELNS0_4arch9wavefront6targetE0EEEvT1_, .Lfunc_end2577-_ZN7rocprim17ROCPRIM_400000_NS6detail17trampoline_kernelINS0_14default_configENS1_25transform_config_selectorIjLb1EEEZNS1_14transform_implILb1ES3_S5_PjS7_NS0_8identityIjEEEE10hipError_tT2_T3_mT4_P12ihipStream_tbEUlT_E_NS1_11comp_targetILNS1_3genE5ELNS1_11target_archE942ELNS1_3gpuE9ELNS1_3repE0EEENS1_30default_config_static_selectorELNS0_4arch9wavefront6targetE0EEEvT1_
                                        ; -- End function
	.set _ZN7rocprim17ROCPRIM_400000_NS6detail17trampoline_kernelINS0_14default_configENS1_25transform_config_selectorIjLb1EEEZNS1_14transform_implILb1ES3_S5_PjS7_NS0_8identityIjEEEE10hipError_tT2_T3_mT4_P12ihipStream_tbEUlT_E_NS1_11comp_targetILNS1_3genE5ELNS1_11target_archE942ELNS1_3gpuE9ELNS1_3repE0EEENS1_30default_config_static_selectorELNS0_4arch9wavefront6targetE0EEEvT1_.num_vgpr, 0
	.set _ZN7rocprim17ROCPRIM_400000_NS6detail17trampoline_kernelINS0_14default_configENS1_25transform_config_selectorIjLb1EEEZNS1_14transform_implILb1ES3_S5_PjS7_NS0_8identityIjEEEE10hipError_tT2_T3_mT4_P12ihipStream_tbEUlT_E_NS1_11comp_targetILNS1_3genE5ELNS1_11target_archE942ELNS1_3gpuE9ELNS1_3repE0EEENS1_30default_config_static_selectorELNS0_4arch9wavefront6targetE0EEEvT1_.num_agpr, 0
	.set _ZN7rocprim17ROCPRIM_400000_NS6detail17trampoline_kernelINS0_14default_configENS1_25transform_config_selectorIjLb1EEEZNS1_14transform_implILb1ES3_S5_PjS7_NS0_8identityIjEEEE10hipError_tT2_T3_mT4_P12ihipStream_tbEUlT_E_NS1_11comp_targetILNS1_3genE5ELNS1_11target_archE942ELNS1_3gpuE9ELNS1_3repE0EEENS1_30default_config_static_selectorELNS0_4arch9wavefront6targetE0EEEvT1_.numbered_sgpr, 0
	.set _ZN7rocprim17ROCPRIM_400000_NS6detail17trampoline_kernelINS0_14default_configENS1_25transform_config_selectorIjLb1EEEZNS1_14transform_implILb1ES3_S5_PjS7_NS0_8identityIjEEEE10hipError_tT2_T3_mT4_P12ihipStream_tbEUlT_E_NS1_11comp_targetILNS1_3genE5ELNS1_11target_archE942ELNS1_3gpuE9ELNS1_3repE0EEENS1_30default_config_static_selectorELNS0_4arch9wavefront6targetE0EEEvT1_.num_named_barrier, 0
	.set _ZN7rocprim17ROCPRIM_400000_NS6detail17trampoline_kernelINS0_14default_configENS1_25transform_config_selectorIjLb1EEEZNS1_14transform_implILb1ES3_S5_PjS7_NS0_8identityIjEEEE10hipError_tT2_T3_mT4_P12ihipStream_tbEUlT_E_NS1_11comp_targetILNS1_3genE5ELNS1_11target_archE942ELNS1_3gpuE9ELNS1_3repE0EEENS1_30default_config_static_selectorELNS0_4arch9wavefront6targetE0EEEvT1_.private_seg_size, 0
	.set _ZN7rocprim17ROCPRIM_400000_NS6detail17trampoline_kernelINS0_14default_configENS1_25transform_config_selectorIjLb1EEEZNS1_14transform_implILb1ES3_S5_PjS7_NS0_8identityIjEEEE10hipError_tT2_T3_mT4_P12ihipStream_tbEUlT_E_NS1_11comp_targetILNS1_3genE5ELNS1_11target_archE942ELNS1_3gpuE9ELNS1_3repE0EEENS1_30default_config_static_selectorELNS0_4arch9wavefront6targetE0EEEvT1_.uses_vcc, 0
	.set _ZN7rocprim17ROCPRIM_400000_NS6detail17trampoline_kernelINS0_14default_configENS1_25transform_config_selectorIjLb1EEEZNS1_14transform_implILb1ES3_S5_PjS7_NS0_8identityIjEEEE10hipError_tT2_T3_mT4_P12ihipStream_tbEUlT_E_NS1_11comp_targetILNS1_3genE5ELNS1_11target_archE942ELNS1_3gpuE9ELNS1_3repE0EEENS1_30default_config_static_selectorELNS0_4arch9wavefront6targetE0EEEvT1_.uses_flat_scratch, 0
	.set _ZN7rocprim17ROCPRIM_400000_NS6detail17trampoline_kernelINS0_14default_configENS1_25transform_config_selectorIjLb1EEEZNS1_14transform_implILb1ES3_S5_PjS7_NS0_8identityIjEEEE10hipError_tT2_T3_mT4_P12ihipStream_tbEUlT_E_NS1_11comp_targetILNS1_3genE5ELNS1_11target_archE942ELNS1_3gpuE9ELNS1_3repE0EEENS1_30default_config_static_selectorELNS0_4arch9wavefront6targetE0EEEvT1_.has_dyn_sized_stack, 0
	.set _ZN7rocprim17ROCPRIM_400000_NS6detail17trampoline_kernelINS0_14default_configENS1_25transform_config_selectorIjLb1EEEZNS1_14transform_implILb1ES3_S5_PjS7_NS0_8identityIjEEEE10hipError_tT2_T3_mT4_P12ihipStream_tbEUlT_E_NS1_11comp_targetILNS1_3genE5ELNS1_11target_archE942ELNS1_3gpuE9ELNS1_3repE0EEENS1_30default_config_static_selectorELNS0_4arch9wavefront6targetE0EEEvT1_.has_recursion, 0
	.set _ZN7rocprim17ROCPRIM_400000_NS6detail17trampoline_kernelINS0_14default_configENS1_25transform_config_selectorIjLb1EEEZNS1_14transform_implILb1ES3_S5_PjS7_NS0_8identityIjEEEE10hipError_tT2_T3_mT4_P12ihipStream_tbEUlT_E_NS1_11comp_targetILNS1_3genE5ELNS1_11target_archE942ELNS1_3gpuE9ELNS1_3repE0EEENS1_30default_config_static_selectorELNS0_4arch9wavefront6targetE0EEEvT1_.has_indirect_call, 0
	.section	.AMDGPU.csdata,"",@progbits
; Kernel info:
; codeLenInByte = 0
; TotalNumSgprs: 0
; NumVgprs: 0
; ScratchSize: 0
; MemoryBound: 0
; FloatMode: 240
; IeeeMode: 1
; LDSByteSize: 0 bytes/workgroup (compile time only)
; SGPRBlocks: 0
; VGPRBlocks: 0
; NumSGPRsForWavesPerEU: 1
; NumVGPRsForWavesPerEU: 1
; NamedBarCnt: 0
; Occupancy: 16
; WaveLimiterHint : 0
; COMPUTE_PGM_RSRC2:SCRATCH_EN: 0
; COMPUTE_PGM_RSRC2:USER_SGPR: 2
; COMPUTE_PGM_RSRC2:TRAP_HANDLER: 0
; COMPUTE_PGM_RSRC2:TGID_X_EN: 1
; COMPUTE_PGM_RSRC2:TGID_Y_EN: 0
; COMPUTE_PGM_RSRC2:TGID_Z_EN: 0
; COMPUTE_PGM_RSRC2:TIDIG_COMP_CNT: 0
	.section	.text._ZN7rocprim17ROCPRIM_400000_NS6detail17trampoline_kernelINS0_14default_configENS1_25transform_config_selectorIjLb1EEEZNS1_14transform_implILb1ES3_S5_PjS7_NS0_8identityIjEEEE10hipError_tT2_T3_mT4_P12ihipStream_tbEUlT_E_NS1_11comp_targetILNS1_3genE4ELNS1_11target_archE910ELNS1_3gpuE8ELNS1_3repE0EEENS1_30default_config_static_selectorELNS0_4arch9wavefront6targetE0EEEvT1_,"axG",@progbits,_ZN7rocprim17ROCPRIM_400000_NS6detail17trampoline_kernelINS0_14default_configENS1_25transform_config_selectorIjLb1EEEZNS1_14transform_implILb1ES3_S5_PjS7_NS0_8identityIjEEEE10hipError_tT2_T3_mT4_P12ihipStream_tbEUlT_E_NS1_11comp_targetILNS1_3genE4ELNS1_11target_archE910ELNS1_3gpuE8ELNS1_3repE0EEENS1_30default_config_static_selectorELNS0_4arch9wavefront6targetE0EEEvT1_,comdat
	.protected	_ZN7rocprim17ROCPRIM_400000_NS6detail17trampoline_kernelINS0_14default_configENS1_25transform_config_selectorIjLb1EEEZNS1_14transform_implILb1ES3_S5_PjS7_NS0_8identityIjEEEE10hipError_tT2_T3_mT4_P12ihipStream_tbEUlT_E_NS1_11comp_targetILNS1_3genE4ELNS1_11target_archE910ELNS1_3gpuE8ELNS1_3repE0EEENS1_30default_config_static_selectorELNS0_4arch9wavefront6targetE0EEEvT1_ ; -- Begin function _ZN7rocprim17ROCPRIM_400000_NS6detail17trampoline_kernelINS0_14default_configENS1_25transform_config_selectorIjLb1EEEZNS1_14transform_implILb1ES3_S5_PjS7_NS0_8identityIjEEEE10hipError_tT2_T3_mT4_P12ihipStream_tbEUlT_E_NS1_11comp_targetILNS1_3genE4ELNS1_11target_archE910ELNS1_3gpuE8ELNS1_3repE0EEENS1_30default_config_static_selectorELNS0_4arch9wavefront6targetE0EEEvT1_
	.globl	_ZN7rocprim17ROCPRIM_400000_NS6detail17trampoline_kernelINS0_14default_configENS1_25transform_config_selectorIjLb1EEEZNS1_14transform_implILb1ES3_S5_PjS7_NS0_8identityIjEEEE10hipError_tT2_T3_mT4_P12ihipStream_tbEUlT_E_NS1_11comp_targetILNS1_3genE4ELNS1_11target_archE910ELNS1_3gpuE8ELNS1_3repE0EEENS1_30default_config_static_selectorELNS0_4arch9wavefront6targetE0EEEvT1_
	.p2align	8
	.type	_ZN7rocprim17ROCPRIM_400000_NS6detail17trampoline_kernelINS0_14default_configENS1_25transform_config_selectorIjLb1EEEZNS1_14transform_implILb1ES3_S5_PjS7_NS0_8identityIjEEEE10hipError_tT2_T3_mT4_P12ihipStream_tbEUlT_E_NS1_11comp_targetILNS1_3genE4ELNS1_11target_archE910ELNS1_3gpuE8ELNS1_3repE0EEENS1_30default_config_static_selectorELNS0_4arch9wavefront6targetE0EEEvT1_,@function
_ZN7rocprim17ROCPRIM_400000_NS6detail17trampoline_kernelINS0_14default_configENS1_25transform_config_selectorIjLb1EEEZNS1_14transform_implILb1ES3_S5_PjS7_NS0_8identityIjEEEE10hipError_tT2_T3_mT4_P12ihipStream_tbEUlT_E_NS1_11comp_targetILNS1_3genE4ELNS1_11target_archE910ELNS1_3gpuE8ELNS1_3repE0EEENS1_30default_config_static_selectorELNS0_4arch9wavefront6targetE0EEEvT1_: ; @_ZN7rocprim17ROCPRIM_400000_NS6detail17trampoline_kernelINS0_14default_configENS1_25transform_config_selectorIjLb1EEEZNS1_14transform_implILb1ES3_S5_PjS7_NS0_8identityIjEEEE10hipError_tT2_T3_mT4_P12ihipStream_tbEUlT_E_NS1_11comp_targetILNS1_3genE4ELNS1_11target_archE910ELNS1_3gpuE8ELNS1_3repE0EEENS1_30default_config_static_selectorELNS0_4arch9wavefront6targetE0EEEvT1_
; %bb.0:
	.section	.rodata,"a",@progbits
	.p2align	6, 0x0
	.amdhsa_kernel _ZN7rocprim17ROCPRIM_400000_NS6detail17trampoline_kernelINS0_14default_configENS1_25transform_config_selectorIjLb1EEEZNS1_14transform_implILb1ES3_S5_PjS7_NS0_8identityIjEEEE10hipError_tT2_T3_mT4_P12ihipStream_tbEUlT_E_NS1_11comp_targetILNS1_3genE4ELNS1_11target_archE910ELNS1_3gpuE8ELNS1_3repE0EEENS1_30default_config_static_selectorELNS0_4arch9wavefront6targetE0EEEvT1_
		.amdhsa_group_segment_fixed_size 0
		.amdhsa_private_segment_fixed_size 0
		.amdhsa_kernarg_size 40
		.amdhsa_user_sgpr_count 2
		.amdhsa_user_sgpr_dispatch_ptr 0
		.amdhsa_user_sgpr_queue_ptr 0
		.amdhsa_user_sgpr_kernarg_segment_ptr 1
		.amdhsa_user_sgpr_dispatch_id 0
		.amdhsa_user_sgpr_kernarg_preload_length 0
		.amdhsa_user_sgpr_kernarg_preload_offset 0
		.amdhsa_user_sgpr_private_segment_size 0
		.amdhsa_wavefront_size32 1
		.amdhsa_uses_dynamic_stack 0
		.amdhsa_enable_private_segment 0
		.amdhsa_system_sgpr_workgroup_id_x 1
		.amdhsa_system_sgpr_workgroup_id_y 0
		.amdhsa_system_sgpr_workgroup_id_z 0
		.amdhsa_system_sgpr_workgroup_info 0
		.amdhsa_system_vgpr_workitem_id 0
		.amdhsa_next_free_vgpr 1
		.amdhsa_next_free_sgpr 1
		.amdhsa_named_barrier_count 0
		.amdhsa_reserve_vcc 0
		.amdhsa_float_round_mode_32 0
		.amdhsa_float_round_mode_16_64 0
		.amdhsa_float_denorm_mode_32 3
		.amdhsa_float_denorm_mode_16_64 3
		.amdhsa_fp16_overflow 0
		.amdhsa_memory_ordered 1
		.amdhsa_forward_progress 1
		.amdhsa_inst_pref_size 0
		.amdhsa_round_robin_scheduling 0
		.amdhsa_exception_fp_ieee_invalid_op 0
		.amdhsa_exception_fp_denorm_src 0
		.amdhsa_exception_fp_ieee_div_zero 0
		.amdhsa_exception_fp_ieee_overflow 0
		.amdhsa_exception_fp_ieee_underflow 0
		.amdhsa_exception_fp_ieee_inexact 0
		.amdhsa_exception_int_div_zero 0
	.end_amdhsa_kernel
	.section	.text._ZN7rocprim17ROCPRIM_400000_NS6detail17trampoline_kernelINS0_14default_configENS1_25transform_config_selectorIjLb1EEEZNS1_14transform_implILb1ES3_S5_PjS7_NS0_8identityIjEEEE10hipError_tT2_T3_mT4_P12ihipStream_tbEUlT_E_NS1_11comp_targetILNS1_3genE4ELNS1_11target_archE910ELNS1_3gpuE8ELNS1_3repE0EEENS1_30default_config_static_selectorELNS0_4arch9wavefront6targetE0EEEvT1_,"axG",@progbits,_ZN7rocprim17ROCPRIM_400000_NS6detail17trampoline_kernelINS0_14default_configENS1_25transform_config_selectorIjLb1EEEZNS1_14transform_implILb1ES3_S5_PjS7_NS0_8identityIjEEEE10hipError_tT2_T3_mT4_P12ihipStream_tbEUlT_E_NS1_11comp_targetILNS1_3genE4ELNS1_11target_archE910ELNS1_3gpuE8ELNS1_3repE0EEENS1_30default_config_static_selectorELNS0_4arch9wavefront6targetE0EEEvT1_,comdat
.Lfunc_end2578:
	.size	_ZN7rocprim17ROCPRIM_400000_NS6detail17trampoline_kernelINS0_14default_configENS1_25transform_config_selectorIjLb1EEEZNS1_14transform_implILb1ES3_S5_PjS7_NS0_8identityIjEEEE10hipError_tT2_T3_mT4_P12ihipStream_tbEUlT_E_NS1_11comp_targetILNS1_3genE4ELNS1_11target_archE910ELNS1_3gpuE8ELNS1_3repE0EEENS1_30default_config_static_selectorELNS0_4arch9wavefront6targetE0EEEvT1_, .Lfunc_end2578-_ZN7rocprim17ROCPRIM_400000_NS6detail17trampoline_kernelINS0_14default_configENS1_25transform_config_selectorIjLb1EEEZNS1_14transform_implILb1ES3_S5_PjS7_NS0_8identityIjEEEE10hipError_tT2_T3_mT4_P12ihipStream_tbEUlT_E_NS1_11comp_targetILNS1_3genE4ELNS1_11target_archE910ELNS1_3gpuE8ELNS1_3repE0EEENS1_30default_config_static_selectorELNS0_4arch9wavefront6targetE0EEEvT1_
                                        ; -- End function
	.set _ZN7rocprim17ROCPRIM_400000_NS6detail17trampoline_kernelINS0_14default_configENS1_25transform_config_selectorIjLb1EEEZNS1_14transform_implILb1ES3_S5_PjS7_NS0_8identityIjEEEE10hipError_tT2_T3_mT4_P12ihipStream_tbEUlT_E_NS1_11comp_targetILNS1_3genE4ELNS1_11target_archE910ELNS1_3gpuE8ELNS1_3repE0EEENS1_30default_config_static_selectorELNS0_4arch9wavefront6targetE0EEEvT1_.num_vgpr, 0
	.set _ZN7rocprim17ROCPRIM_400000_NS6detail17trampoline_kernelINS0_14default_configENS1_25transform_config_selectorIjLb1EEEZNS1_14transform_implILb1ES3_S5_PjS7_NS0_8identityIjEEEE10hipError_tT2_T3_mT4_P12ihipStream_tbEUlT_E_NS1_11comp_targetILNS1_3genE4ELNS1_11target_archE910ELNS1_3gpuE8ELNS1_3repE0EEENS1_30default_config_static_selectorELNS0_4arch9wavefront6targetE0EEEvT1_.num_agpr, 0
	.set _ZN7rocprim17ROCPRIM_400000_NS6detail17trampoline_kernelINS0_14default_configENS1_25transform_config_selectorIjLb1EEEZNS1_14transform_implILb1ES3_S5_PjS7_NS0_8identityIjEEEE10hipError_tT2_T3_mT4_P12ihipStream_tbEUlT_E_NS1_11comp_targetILNS1_3genE4ELNS1_11target_archE910ELNS1_3gpuE8ELNS1_3repE0EEENS1_30default_config_static_selectorELNS0_4arch9wavefront6targetE0EEEvT1_.numbered_sgpr, 0
	.set _ZN7rocprim17ROCPRIM_400000_NS6detail17trampoline_kernelINS0_14default_configENS1_25transform_config_selectorIjLb1EEEZNS1_14transform_implILb1ES3_S5_PjS7_NS0_8identityIjEEEE10hipError_tT2_T3_mT4_P12ihipStream_tbEUlT_E_NS1_11comp_targetILNS1_3genE4ELNS1_11target_archE910ELNS1_3gpuE8ELNS1_3repE0EEENS1_30default_config_static_selectorELNS0_4arch9wavefront6targetE0EEEvT1_.num_named_barrier, 0
	.set _ZN7rocprim17ROCPRIM_400000_NS6detail17trampoline_kernelINS0_14default_configENS1_25transform_config_selectorIjLb1EEEZNS1_14transform_implILb1ES3_S5_PjS7_NS0_8identityIjEEEE10hipError_tT2_T3_mT4_P12ihipStream_tbEUlT_E_NS1_11comp_targetILNS1_3genE4ELNS1_11target_archE910ELNS1_3gpuE8ELNS1_3repE0EEENS1_30default_config_static_selectorELNS0_4arch9wavefront6targetE0EEEvT1_.private_seg_size, 0
	.set _ZN7rocprim17ROCPRIM_400000_NS6detail17trampoline_kernelINS0_14default_configENS1_25transform_config_selectorIjLb1EEEZNS1_14transform_implILb1ES3_S5_PjS7_NS0_8identityIjEEEE10hipError_tT2_T3_mT4_P12ihipStream_tbEUlT_E_NS1_11comp_targetILNS1_3genE4ELNS1_11target_archE910ELNS1_3gpuE8ELNS1_3repE0EEENS1_30default_config_static_selectorELNS0_4arch9wavefront6targetE0EEEvT1_.uses_vcc, 0
	.set _ZN7rocprim17ROCPRIM_400000_NS6detail17trampoline_kernelINS0_14default_configENS1_25transform_config_selectorIjLb1EEEZNS1_14transform_implILb1ES3_S5_PjS7_NS0_8identityIjEEEE10hipError_tT2_T3_mT4_P12ihipStream_tbEUlT_E_NS1_11comp_targetILNS1_3genE4ELNS1_11target_archE910ELNS1_3gpuE8ELNS1_3repE0EEENS1_30default_config_static_selectorELNS0_4arch9wavefront6targetE0EEEvT1_.uses_flat_scratch, 0
	.set _ZN7rocprim17ROCPRIM_400000_NS6detail17trampoline_kernelINS0_14default_configENS1_25transform_config_selectorIjLb1EEEZNS1_14transform_implILb1ES3_S5_PjS7_NS0_8identityIjEEEE10hipError_tT2_T3_mT4_P12ihipStream_tbEUlT_E_NS1_11comp_targetILNS1_3genE4ELNS1_11target_archE910ELNS1_3gpuE8ELNS1_3repE0EEENS1_30default_config_static_selectorELNS0_4arch9wavefront6targetE0EEEvT1_.has_dyn_sized_stack, 0
	.set _ZN7rocprim17ROCPRIM_400000_NS6detail17trampoline_kernelINS0_14default_configENS1_25transform_config_selectorIjLb1EEEZNS1_14transform_implILb1ES3_S5_PjS7_NS0_8identityIjEEEE10hipError_tT2_T3_mT4_P12ihipStream_tbEUlT_E_NS1_11comp_targetILNS1_3genE4ELNS1_11target_archE910ELNS1_3gpuE8ELNS1_3repE0EEENS1_30default_config_static_selectorELNS0_4arch9wavefront6targetE0EEEvT1_.has_recursion, 0
	.set _ZN7rocprim17ROCPRIM_400000_NS6detail17trampoline_kernelINS0_14default_configENS1_25transform_config_selectorIjLb1EEEZNS1_14transform_implILb1ES3_S5_PjS7_NS0_8identityIjEEEE10hipError_tT2_T3_mT4_P12ihipStream_tbEUlT_E_NS1_11comp_targetILNS1_3genE4ELNS1_11target_archE910ELNS1_3gpuE8ELNS1_3repE0EEENS1_30default_config_static_selectorELNS0_4arch9wavefront6targetE0EEEvT1_.has_indirect_call, 0
	.section	.AMDGPU.csdata,"",@progbits
; Kernel info:
; codeLenInByte = 0
; TotalNumSgprs: 0
; NumVgprs: 0
; ScratchSize: 0
; MemoryBound: 0
; FloatMode: 240
; IeeeMode: 1
; LDSByteSize: 0 bytes/workgroup (compile time only)
; SGPRBlocks: 0
; VGPRBlocks: 0
; NumSGPRsForWavesPerEU: 1
; NumVGPRsForWavesPerEU: 1
; NamedBarCnt: 0
; Occupancy: 16
; WaveLimiterHint : 0
; COMPUTE_PGM_RSRC2:SCRATCH_EN: 0
; COMPUTE_PGM_RSRC2:USER_SGPR: 2
; COMPUTE_PGM_RSRC2:TRAP_HANDLER: 0
; COMPUTE_PGM_RSRC2:TGID_X_EN: 1
; COMPUTE_PGM_RSRC2:TGID_Y_EN: 0
; COMPUTE_PGM_RSRC2:TGID_Z_EN: 0
; COMPUTE_PGM_RSRC2:TIDIG_COMP_CNT: 0
	.section	.text._ZN7rocprim17ROCPRIM_400000_NS6detail17trampoline_kernelINS0_14default_configENS1_25transform_config_selectorIjLb1EEEZNS1_14transform_implILb1ES3_S5_PjS7_NS0_8identityIjEEEE10hipError_tT2_T3_mT4_P12ihipStream_tbEUlT_E_NS1_11comp_targetILNS1_3genE3ELNS1_11target_archE908ELNS1_3gpuE7ELNS1_3repE0EEENS1_30default_config_static_selectorELNS0_4arch9wavefront6targetE0EEEvT1_,"axG",@progbits,_ZN7rocprim17ROCPRIM_400000_NS6detail17trampoline_kernelINS0_14default_configENS1_25transform_config_selectorIjLb1EEEZNS1_14transform_implILb1ES3_S5_PjS7_NS0_8identityIjEEEE10hipError_tT2_T3_mT4_P12ihipStream_tbEUlT_E_NS1_11comp_targetILNS1_3genE3ELNS1_11target_archE908ELNS1_3gpuE7ELNS1_3repE0EEENS1_30default_config_static_selectorELNS0_4arch9wavefront6targetE0EEEvT1_,comdat
	.protected	_ZN7rocprim17ROCPRIM_400000_NS6detail17trampoline_kernelINS0_14default_configENS1_25transform_config_selectorIjLb1EEEZNS1_14transform_implILb1ES3_S5_PjS7_NS0_8identityIjEEEE10hipError_tT2_T3_mT4_P12ihipStream_tbEUlT_E_NS1_11comp_targetILNS1_3genE3ELNS1_11target_archE908ELNS1_3gpuE7ELNS1_3repE0EEENS1_30default_config_static_selectorELNS0_4arch9wavefront6targetE0EEEvT1_ ; -- Begin function _ZN7rocprim17ROCPRIM_400000_NS6detail17trampoline_kernelINS0_14default_configENS1_25transform_config_selectorIjLb1EEEZNS1_14transform_implILb1ES3_S5_PjS7_NS0_8identityIjEEEE10hipError_tT2_T3_mT4_P12ihipStream_tbEUlT_E_NS1_11comp_targetILNS1_3genE3ELNS1_11target_archE908ELNS1_3gpuE7ELNS1_3repE0EEENS1_30default_config_static_selectorELNS0_4arch9wavefront6targetE0EEEvT1_
	.globl	_ZN7rocprim17ROCPRIM_400000_NS6detail17trampoline_kernelINS0_14default_configENS1_25transform_config_selectorIjLb1EEEZNS1_14transform_implILb1ES3_S5_PjS7_NS0_8identityIjEEEE10hipError_tT2_T3_mT4_P12ihipStream_tbEUlT_E_NS1_11comp_targetILNS1_3genE3ELNS1_11target_archE908ELNS1_3gpuE7ELNS1_3repE0EEENS1_30default_config_static_selectorELNS0_4arch9wavefront6targetE0EEEvT1_
	.p2align	8
	.type	_ZN7rocprim17ROCPRIM_400000_NS6detail17trampoline_kernelINS0_14default_configENS1_25transform_config_selectorIjLb1EEEZNS1_14transform_implILb1ES3_S5_PjS7_NS0_8identityIjEEEE10hipError_tT2_T3_mT4_P12ihipStream_tbEUlT_E_NS1_11comp_targetILNS1_3genE3ELNS1_11target_archE908ELNS1_3gpuE7ELNS1_3repE0EEENS1_30default_config_static_selectorELNS0_4arch9wavefront6targetE0EEEvT1_,@function
_ZN7rocprim17ROCPRIM_400000_NS6detail17trampoline_kernelINS0_14default_configENS1_25transform_config_selectorIjLb1EEEZNS1_14transform_implILb1ES3_S5_PjS7_NS0_8identityIjEEEE10hipError_tT2_T3_mT4_P12ihipStream_tbEUlT_E_NS1_11comp_targetILNS1_3genE3ELNS1_11target_archE908ELNS1_3gpuE7ELNS1_3repE0EEENS1_30default_config_static_selectorELNS0_4arch9wavefront6targetE0EEEvT1_: ; @_ZN7rocprim17ROCPRIM_400000_NS6detail17trampoline_kernelINS0_14default_configENS1_25transform_config_selectorIjLb1EEEZNS1_14transform_implILb1ES3_S5_PjS7_NS0_8identityIjEEEE10hipError_tT2_T3_mT4_P12ihipStream_tbEUlT_E_NS1_11comp_targetILNS1_3genE3ELNS1_11target_archE908ELNS1_3gpuE7ELNS1_3repE0EEENS1_30default_config_static_selectorELNS0_4arch9wavefront6targetE0EEEvT1_
; %bb.0:
	.section	.rodata,"a",@progbits
	.p2align	6, 0x0
	.amdhsa_kernel _ZN7rocprim17ROCPRIM_400000_NS6detail17trampoline_kernelINS0_14default_configENS1_25transform_config_selectorIjLb1EEEZNS1_14transform_implILb1ES3_S5_PjS7_NS0_8identityIjEEEE10hipError_tT2_T3_mT4_P12ihipStream_tbEUlT_E_NS1_11comp_targetILNS1_3genE3ELNS1_11target_archE908ELNS1_3gpuE7ELNS1_3repE0EEENS1_30default_config_static_selectorELNS0_4arch9wavefront6targetE0EEEvT1_
		.amdhsa_group_segment_fixed_size 0
		.amdhsa_private_segment_fixed_size 0
		.amdhsa_kernarg_size 40
		.amdhsa_user_sgpr_count 2
		.amdhsa_user_sgpr_dispatch_ptr 0
		.amdhsa_user_sgpr_queue_ptr 0
		.amdhsa_user_sgpr_kernarg_segment_ptr 1
		.amdhsa_user_sgpr_dispatch_id 0
		.amdhsa_user_sgpr_kernarg_preload_length 0
		.amdhsa_user_sgpr_kernarg_preload_offset 0
		.amdhsa_user_sgpr_private_segment_size 0
		.amdhsa_wavefront_size32 1
		.amdhsa_uses_dynamic_stack 0
		.amdhsa_enable_private_segment 0
		.amdhsa_system_sgpr_workgroup_id_x 1
		.amdhsa_system_sgpr_workgroup_id_y 0
		.amdhsa_system_sgpr_workgroup_id_z 0
		.amdhsa_system_sgpr_workgroup_info 0
		.amdhsa_system_vgpr_workitem_id 0
		.amdhsa_next_free_vgpr 1
		.amdhsa_next_free_sgpr 1
		.amdhsa_named_barrier_count 0
		.amdhsa_reserve_vcc 0
		.amdhsa_float_round_mode_32 0
		.amdhsa_float_round_mode_16_64 0
		.amdhsa_float_denorm_mode_32 3
		.amdhsa_float_denorm_mode_16_64 3
		.amdhsa_fp16_overflow 0
		.amdhsa_memory_ordered 1
		.amdhsa_forward_progress 1
		.amdhsa_inst_pref_size 0
		.amdhsa_round_robin_scheduling 0
		.amdhsa_exception_fp_ieee_invalid_op 0
		.amdhsa_exception_fp_denorm_src 0
		.amdhsa_exception_fp_ieee_div_zero 0
		.amdhsa_exception_fp_ieee_overflow 0
		.amdhsa_exception_fp_ieee_underflow 0
		.amdhsa_exception_fp_ieee_inexact 0
		.amdhsa_exception_int_div_zero 0
	.end_amdhsa_kernel
	.section	.text._ZN7rocprim17ROCPRIM_400000_NS6detail17trampoline_kernelINS0_14default_configENS1_25transform_config_selectorIjLb1EEEZNS1_14transform_implILb1ES3_S5_PjS7_NS0_8identityIjEEEE10hipError_tT2_T3_mT4_P12ihipStream_tbEUlT_E_NS1_11comp_targetILNS1_3genE3ELNS1_11target_archE908ELNS1_3gpuE7ELNS1_3repE0EEENS1_30default_config_static_selectorELNS0_4arch9wavefront6targetE0EEEvT1_,"axG",@progbits,_ZN7rocprim17ROCPRIM_400000_NS6detail17trampoline_kernelINS0_14default_configENS1_25transform_config_selectorIjLb1EEEZNS1_14transform_implILb1ES3_S5_PjS7_NS0_8identityIjEEEE10hipError_tT2_T3_mT4_P12ihipStream_tbEUlT_E_NS1_11comp_targetILNS1_3genE3ELNS1_11target_archE908ELNS1_3gpuE7ELNS1_3repE0EEENS1_30default_config_static_selectorELNS0_4arch9wavefront6targetE0EEEvT1_,comdat
.Lfunc_end2579:
	.size	_ZN7rocprim17ROCPRIM_400000_NS6detail17trampoline_kernelINS0_14default_configENS1_25transform_config_selectorIjLb1EEEZNS1_14transform_implILb1ES3_S5_PjS7_NS0_8identityIjEEEE10hipError_tT2_T3_mT4_P12ihipStream_tbEUlT_E_NS1_11comp_targetILNS1_3genE3ELNS1_11target_archE908ELNS1_3gpuE7ELNS1_3repE0EEENS1_30default_config_static_selectorELNS0_4arch9wavefront6targetE0EEEvT1_, .Lfunc_end2579-_ZN7rocprim17ROCPRIM_400000_NS6detail17trampoline_kernelINS0_14default_configENS1_25transform_config_selectorIjLb1EEEZNS1_14transform_implILb1ES3_S5_PjS7_NS0_8identityIjEEEE10hipError_tT2_T3_mT4_P12ihipStream_tbEUlT_E_NS1_11comp_targetILNS1_3genE3ELNS1_11target_archE908ELNS1_3gpuE7ELNS1_3repE0EEENS1_30default_config_static_selectorELNS0_4arch9wavefront6targetE0EEEvT1_
                                        ; -- End function
	.set _ZN7rocprim17ROCPRIM_400000_NS6detail17trampoline_kernelINS0_14default_configENS1_25transform_config_selectorIjLb1EEEZNS1_14transform_implILb1ES3_S5_PjS7_NS0_8identityIjEEEE10hipError_tT2_T3_mT4_P12ihipStream_tbEUlT_E_NS1_11comp_targetILNS1_3genE3ELNS1_11target_archE908ELNS1_3gpuE7ELNS1_3repE0EEENS1_30default_config_static_selectorELNS0_4arch9wavefront6targetE0EEEvT1_.num_vgpr, 0
	.set _ZN7rocprim17ROCPRIM_400000_NS6detail17trampoline_kernelINS0_14default_configENS1_25transform_config_selectorIjLb1EEEZNS1_14transform_implILb1ES3_S5_PjS7_NS0_8identityIjEEEE10hipError_tT2_T3_mT4_P12ihipStream_tbEUlT_E_NS1_11comp_targetILNS1_3genE3ELNS1_11target_archE908ELNS1_3gpuE7ELNS1_3repE0EEENS1_30default_config_static_selectorELNS0_4arch9wavefront6targetE0EEEvT1_.num_agpr, 0
	.set _ZN7rocprim17ROCPRIM_400000_NS6detail17trampoline_kernelINS0_14default_configENS1_25transform_config_selectorIjLb1EEEZNS1_14transform_implILb1ES3_S5_PjS7_NS0_8identityIjEEEE10hipError_tT2_T3_mT4_P12ihipStream_tbEUlT_E_NS1_11comp_targetILNS1_3genE3ELNS1_11target_archE908ELNS1_3gpuE7ELNS1_3repE0EEENS1_30default_config_static_selectorELNS0_4arch9wavefront6targetE0EEEvT1_.numbered_sgpr, 0
	.set _ZN7rocprim17ROCPRIM_400000_NS6detail17trampoline_kernelINS0_14default_configENS1_25transform_config_selectorIjLb1EEEZNS1_14transform_implILb1ES3_S5_PjS7_NS0_8identityIjEEEE10hipError_tT2_T3_mT4_P12ihipStream_tbEUlT_E_NS1_11comp_targetILNS1_3genE3ELNS1_11target_archE908ELNS1_3gpuE7ELNS1_3repE0EEENS1_30default_config_static_selectorELNS0_4arch9wavefront6targetE0EEEvT1_.num_named_barrier, 0
	.set _ZN7rocprim17ROCPRIM_400000_NS6detail17trampoline_kernelINS0_14default_configENS1_25transform_config_selectorIjLb1EEEZNS1_14transform_implILb1ES3_S5_PjS7_NS0_8identityIjEEEE10hipError_tT2_T3_mT4_P12ihipStream_tbEUlT_E_NS1_11comp_targetILNS1_3genE3ELNS1_11target_archE908ELNS1_3gpuE7ELNS1_3repE0EEENS1_30default_config_static_selectorELNS0_4arch9wavefront6targetE0EEEvT1_.private_seg_size, 0
	.set _ZN7rocprim17ROCPRIM_400000_NS6detail17trampoline_kernelINS0_14default_configENS1_25transform_config_selectorIjLb1EEEZNS1_14transform_implILb1ES3_S5_PjS7_NS0_8identityIjEEEE10hipError_tT2_T3_mT4_P12ihipStream_tbEUlT_E_NS1_11comp_targetILNS1_3genE3ELNS1_11target_archE908ELNS1_3gpuE7ELNS1_3repE0EEENS1_30default_config_static_selectorELNS0_4arch9wavefront6targetE0EEEvT1_.uses_vcc, 0
	.set _ZN7rocprim17ROCPRIM_400000_NS6detail17trampoline_kernelINS0_14default_configENS1_25transform_config_selectorIjLb1EEEZNS1_14transform_implILb1ES3_S5_PjS7_NS0_8identityIjEEEE10hipError_tT2_T3_mT4_P12ihipStream_tbEUlT_E_NS1_11comp_targetILNS1_3genE3ELNS1_11target_archE908ELNS1_3gpuE7ELNS1_3repE0EEENS1_30default_config_static_selectorELNS0_4arch9wavefront6targetE0EEEvT1_.uses_flat_scratch, 0
	.set _ZN7rocprim17ROCPRIM_400000_NS6detail17trampoline_kernelINS0_14default_configENS1_25transform_config_selectorIjLb1EEEZNS1_14transform_implILb1ES3_S5_PjS7_NS0_8identityIjEEEE10hipError_tT2_T3_mT4_P12ihipStream_tbEUlT_E_NS1_11comp_targetILNS1_3genE3ELNS1_11target_archE908ELNS1_3gpuE7ELNS1_3repE0EEENS1_30default_config_static_selectorELNS0_4arch9wavefront6targetE0EEEvT1_.has_dyn_sized_stack, 0
	.set _ZN7rocprim17ROCPRIM_400000_NS6detail17trampoline_kernelINS0_14default_configENS1_25transform_config_selectorIjLb1EEEZNS1_14transform_implILb1ES3_S5_PjS7_NS0_8identityIjEEEE10hipError_tT2_T3_mT4_P12ihipStream_tbEUlT_E_NS1_11comp_targetILNS1_3genE3ELNS1_11target_archE908ELNS1_3gpuE7ELNS1_3repE0EEENS1_30default_config_static_selectorELNS0_4arch9wavefront6targetE0EEEvT1_.has_recursion, 0
	.set _ZN7rocprim17ROCPRIM_400000_NS6detail17trampoline_kernelINS0_14default_configENS1_25transform_config_selectorIjLb1EEEZNS1_14transform_implILb1ES3_S5_PjS7_NS0_8identityIjEEEE10hipError_tT2_T3_mT4_P12ihipStream_tbEUlT_E_NS1_11comp_targetILNS1_3genE3ELNS1_11target_archE908ELNS1_3gpuE7ELNS1_3repE0EEENS1_30default_config_static_selectorELNS0_4arch9wavefront6targetE0EEEvT1_.has_indirect_call, 0
	.section	.AMDGPU.csdata,"",@progbits
; Kernel info:
; codeLenInByte = 0
; TotalNumSgprs: 0
; NumVgprs: 0
; ScratchSize: 0
; MemoryBound: 0
; FloatMode: 240
; IeeeMode: 1
; LDSByteSize: 0 bytes/workgroup (compile time only)
; SGPRBlocks: 0
; VGPRBlocks: 0
; NumSGPRsForWavesPerEU: 1
; NumVGPRsForWavesPerEU: 1
; NamedBarCnt: 0
; Occupancy: 16
; WaveLimiterHint : 0
; COMPUTE_PGM_RSRC2:SCRATCH_EN: 0
; COMPUTE_PGM_RSRC2:USER_SGPR: 2
; COMPUTE_PGM_RSRC2:TRAP_HANDLER: 0
; COMPUTE_PGM_RSRC2:TGID_X_EN: 1
; COMPUTE_PGM_RSRC2:TGID_Y_EN: 0
; COMPUTE_PGM_RSRC2:TGID_Z_EN: 0
; COMPUTE_PGM_RSRC2:TIDIG_COMP_CNT: 0
	.section	.text._ZN7rocprim17ROCPRIM_400000_NS6detail17trampoline_kernelINS0_14default_configENS1_25transform_config_selectorIjLb1EEEZNS1_14transform_implILb1ES3_S5_PjS7_NS0_8identityIjEEEE10hipError_tT2_T3_mT4_P12ihipStream_tbEUlT_E_NS1_11comp_targetILNS1_3genE2ELNS1_11target_archE906ELNS1_3gpuE6ELNS1_3repE0EEENS1_30default_config_static_selectorELNS0_4arch9wavefront6targetE0EEEvT1_,"axG",@progbits,_ZN7rocprim17ROCPRIM_400000_NS6detail17trampoline_kernelINS0_14default_configENS1_25transform_config_selectorIjLb1EEEZNS1_14transform_implILb1ES3_S5_PjS7_NS0_8identityIjEEEE10hipError_tT2_T3_mT4_P12ihipStream_tbEUlT_E_NS1_11comp_targetILNS1_3genE2ELNS1_11target_archE906ELNS1_3gpuE6ELNS1_3repE0EEENS1_30default_config_static_selectorELNS0_4arch9wavefront6targetE0EEEvT1_,comdat
	.protected	_ZN7rocprim17ROCPRIM_400000_NS6detail17trampoline_kernelINS0_14default_configENS1_25transform_config_selectorIjLb1EEEZNS1_14transform_implILb1ES3_S5_PjS7_NS0_8identityIjEEEE10hipError_tT2_T3_mT4_P12ihipStream_tbEUlT_E_NS1_11comp_targetILNS1_3genE2ELNS1_11target_archE906ELNS1_3gpuE6ELNS1_3repE0EEENS1_30default_config_static_selectorELNS0_4arch9wavefront6targetE0EEEvT1_ ; -- Begin function _ZN7rocprim17ROCPRIM_400000_NS6detail17trampoline_kernelINS0_14default_configENS1_25transform_config_selectorIjLb1EEEZNS1_14transform_implILb1ES3_S5_PjS7_NS0_8identityIjEEEE10hipError_tT2_T3_mT4_P12ihipStream_tbEUlT_E_NS1_11comp_targetILNS1_3genE2ELNS1_11target_archE906ELNS1_3gpuE6ELNS1_3repE0EEENS1_30default_config_static_selectorELNS0_4arch9wavefront6targetE0EEEvT1_
	.globl	_ZN7rocprim17ROCPRIM_400000_NS6detail17trampoline_kernelINS0_14default_configENS1_25transform_config_selectorIjLb1EEEZNS1_14transform_implILb1ES3_S5_PjS7_NS0_8identityIjEEEE10hipError_tT2_T3_mT4_P12ihipStream_tbEUlT_E_NS1_11comp_targetILNS1_3genE2ELNS1_11target_archE906ELNS1_3gpuE6ELNS1_3repE0EEENS1_30default_config_static_selectorELNS0_4arch9wavefront6targetE0EEEvT1_
	.p2align	8
	.type	_ZN7rocprim17ROCPRIM_400000_NS6detail17trampoline_kernelINS0_14default_configENS1_25transform_config_selectorIjLb1EEEZNS1_14transform_implILb1ES3_S5_PjS7_NS0_8identityIjEEEE10hipError_tT2_T3_mT4_P12ihipStream_tbEUlT_E_NS1_11comp_targetILNS1_3genE2ELNS1_11target_archE906ELNS1_3gpuE6ELNS1_3repE0EEENS1_30default_config_static_selectorELNS0_4arch9wavefront6targetE0EEEvT1_,@function
_ZN7rocprim17ROCPRIM_400000_NS6detail17trampoline_kernelINS0_14default_configENS1_25transform_config_selectorIjLb1EEEZNS1_14transform_implILb1ES3_S5_PjS7_NS0_8identityIjEEEE10hipError_tT2_T3_mT4_P12ihipStream_tbEUlT_E_NS1_11comp_targetILNS1_3genE2ELNS1_11target_archE906ELNS1_3gpuE6ELNS1_3repE0EEENS1_30default_config_static_selectorELNS0_4arch9wavefront6targetE0EEEvT1_: ; @_ZN7rocprim17ROCPRIM_400000_NS6detail17trampoline_kernelINS0_14default_configENS1_25transform_config_selectorIjLb1EEEZNS1_14transform_implILb1ES3_S5_PjS7_NS0_8identityIjEEEE10hipError_tT2_T3_mT4_P12ihipStream_tbEUlT_E_NS1_11comp_targetILNS1_3genE2ELNS1_11target_archE906ELNS1_3gpuE6ELNS1_3repE0EEENS1_30default_config_static_selectorELNS0_4arch9wavefront6targetE0EEEvT1_
; %bb.0:
	.section	.rodata,"a",@progbits
	.p2align	6, 0x0
	.amdhsa_kernel _ZN7rocprim17ROCPRIM_400000_NS6detail17trampoline_kernelINS0_14default_configENS1_25transform_config_selectorIjLb1EEEZNS1_14transform_implILb1ES3_S5_PjS7_NS0_8identityIjEEEE10hipError_tT2_T3_mT4_P12ihipStream_tbEUlT_E_NS1_11comp_targetILNS1_3genE2ELNS1_11target_archE906ELNS1_3gpuE6ELNS1_3repE0EEENS1_30default_config_static_selectorELNS0_4arch9wavefront6targetE0EEEvT1_
		.amdhsa_group_segment_fixed_size 0
		.amdhsa_private_segment_fixed_size 0
		.amdhsa_kernarg_size 40
		.amdhsa_user_sgpr_count 2
		.amdhsa_user_sgpr_dispatch_ptr 0
		.amdhsa_user_sgpr_queue_ptr 0
		.amdhsa_user_sgpr_kernarg_segment_ptr 1
		.amdhsa_user_sgpr_dispatch_id 0
		.amdhsa_user_sgpr_kernarg_preload_length 0
		.amdhsa_user_sgpr_kernarg_preload_offset 0
		.amdhsa_user_sgpr_private_segment_size 0
		.amdhsa_wavefront_size32 1
		.amdhsa_uses_dynamic_stack 0
		.amdhsa_enable_private_segment 0
		.amdhsa_system_sgpr_workgroup_id_x 1
		.amdhsa_system_sgpr_workgroup_id_y 0
		.amdhsa_system_sgpr_workgroup_id_z 0
		.amdhsa_system_sgpr_workgroup_info 0
		.amdhsa_system_vgpr_workitem_id 0
		.amdhsa_next_free_vgpr 1
		.amdhsa_next_free_sgpr 1
		.amdhsa_named_barrier_count 0
		.amdhsa_reserve_vcc 0
		.amdhsa_float_round_mode_32 0
		.amdhsa_float_round_mode_16_64 0
		.amdhsa_float_denorm_mode_32 3
		.amdhsa_float_denorm_mode_16_64 3
		.amdhsa_fp16_overflow 0
		.amdhsa_memory_ordered 1
		.amdhsa_forward_progress 1
		.amdhsa_inst_pref_size 0
		.amdhsa_round_robin_scheduling 0
		.amdhsa_exception_fp_ieee_invalid_op 0
		.amdhsa_exception_fp_denorm_src 0
		.amdhsa_exception_fp_ieee_div_zero 0
		.amdhsa_exception_fp_ieee_overflow 0
		.amdhsa_exception_fp_ieee_underflow 0
		.amdhsa_exception_fp_ieee_inexact 0
		.amdhsa_exception_int_div_zero 0
	.end_amdhsa_kernel
	.section	.text._ZN7rocprim17ROCPRIM_400000_NS6detail17trampoline_kernelINS0_14default_configENS1_25transform_config_selectorIjLb1EEEZNS1_14transform_implILb1ES3_S5_PjS7_NS0_8identityIjEEEE10hipError_tT2_T3_mT4_P12ihipStream_tbEUlT_E_NS1_11comp_targetILNS1_3genE2ELNS1_11target_archE906ELNS1_3gpuE6ELNS1_3repE0EEENS1_30default_config_static_selectorELNS0_4arch9wavefront6targetE0EEEvT1_,"axG",@progbits,_ZN7rocprim17ROCPRIM_400000_NS6detail17trampoline_kernelINS0_14default_configENS1_25transform_config_selectorIjLb1EEEZNS1_14transform_implILb1ES3_S5_PjS7_NS0_8identityIjEEEE10hipError_tT2_T3_mT4_P12ihipStream_tbEUlT_E_NS1_11comp_targetILNS1_3genE2ELNS1_11target_archE906ELNS1_3gpuE6ELNS1_3repE0EEENS1_30default_config_static_selectorELNS0_4arch9wavefront6targetE0EEEvT1_,comdat
.Lfunc_end2580:
	.size	_ZN7rocprim17ROCPRIM_400000_NS6detail17trampoline_kernelINS0_14default_configENS1_25transform_config_selectorIjLb1EEEZNS1_14transform_implILb1ES3_S5_PjS7_NS0_8identityIjEEEE10hipError_tT2_T3_mT4_P12ihipStream_tbEUlT_E_NS1_11comp_targetILNS1_3genE2ELNS1_11target_archE906ELNS1_3gpuE6ELNS1_3repE0EEENS1_30default_config_static_selectorELNS0_4arch9wavefront6targetE0EEEvT1_, .Lfunc_end2580-_ZN7rocprim17ROCPRIM_400000_NS6detail17trampoline_kernelINS0_14default_configENS1_25transform_config_selectorIjLb1EEEZNS1_14transform_implILb1ES3_S5_PjS7_NS0_8identityIjEEEE10hipError_tT2_T3_mT4_P12ihipStream_tbEUlT_E_NS1_11comp_targetILNS1_3genE2ELNS1_11target_archE906ELNS1_3gpuE6ELNS1_3repE0EEENS1_30default_config_static_selectorELNS0_4arch9wavefront6targetE0EEEvT1_
                                        ; -- End function
	.set _ZN7rocprim17ROCPRIM_400000_NS6detail17trampoline_kernelINS0_14default_configENS1_25transform_config_selectorIjLb1EEEZNS1_14transform_implILb1ES3_S5_PjS7_NS0_8identityIjEEEE10hipError_tT2_T3_mT4_P12ihipStream_tbEUlT_E_NS1_11comp_targetILNS1_3genE2ELNS1_11target_archE906ELNS1_3gpuE6ELNS1_3repE0EEENS1_30default_config_static_selectorELNS0_4arch9wavefront6targetE0EEEvT1_.num_vgpr, 0
	.set _ZN7rocprim17ROCPRIM_400000_NS6detail17trampoline_kernelINS0_14default_configENS1_25transform_config_selectorIjLb1EEEZNS1_14transform_implILb1ES3_S5_PjS7_NS0_8identityIjEEEE10hipError_tT2_T3_mT4_P12ihipStream_tbEUlT_E_NS1_11comp_targetILNS1_3genE2ELNS1_11target_archE906ELNS1_3gpuE6ELNS1_3repE0EEENS1_30default_config_static_selectorELNS0_4arch9wavefront6targetE0EEEvT1_.num_agpr, 0
	.set _ZN7rocprim17ROCPRIM_400000_NS6detail17trampoline_kernelINS0_14default_configENS1_25transform_config_selectorIjLb1EEEZNS1_14transform_implILb1ES3_S5_PjS7_NS0_8identityIjEEEE10hipError_tT2_T3_mT4_P12ihipStream_tbEUlT_E_NS1_11comp_targetILNS1_3genE2ELNS1_11target_archE906ELNS1_3gpuE6ELNS1_3repE0EEENS1_30default_config_static_selectorELNS0_4arch9wavefront6targetE0EEEvT1_.numbered_sgpr, 0
	.set _ZN7rocprim17ROCPRIM_400000_NS6detail17trampoline_kernelINS0_14default_configENS1_25transform_config_selectorIjLb1EEEZNS1_14transform_implILb1ES3_S5_PjS7_NS0_8identityIjEEEE10hipError_tT2_T3_mT4_P12ihipStream_tbEUlT_E_NS1_11comp_targetILNS1_3genE2ELNS1_11target_archE906ELNS1_3gpuE6ELNS1_3repE0EEENS1_30default_config_static_selectorELNS0_4arch9wavefront6targetE0EEEvT1_.num_named_barrier, 0
	.set _ZN7rocprim17ROCPRIM_400000_NS6detail17trampoline_kernelINS0_14default_configENS1_25transform_config_selectorIjLb1EEEZNS1_14transform_implILb1ES3_S5_PjS7_NS0_8identityIjEEEE10hipError_tT2_T3_mT4_P12ihipStream_tbEUlT_E_NS1_11comp_targetILNS1_3genE2ELNS1_11target_archE906ELNS1_3gpuE6ELNS1_3repE0EEENS1_30default_config_static_selectorELNS0_4arch9wavefront6targetE0EEEvT1_.private_seg_size, 0
	.set _ZN7rocprim17ROCPRIM_400000_NS6detail17trampoline_kernelINS0_14default_configENS1_25transform_config_selectorIjLb1EEEZNS1_14transform_implILb1ES3_S5_PjS7_NS0_8identityIjEEEE10hipError_tT2_T3_mT4_P12ihipStream_tbEUlT_E_NS1_11comp_targetILNS1_3genE2ELNS1_11target_archE906ELNS1_3gpuE6ELNS1_3repE0EEENS1_30default_config_static_selectorELNS0_4arch9wavefront6targetE0EEEvT1_.uses_vcc, 0
	.set _ZN7rocprim17ROCPRIM_400000_NS6detail17trampoline_kernelINS0_14default_configENS1_25transform_config_selectorIjLb1EEEZNS1_14transform_implILb1ES3_S5_PjS7_NS0_8identityIjEEEE10hipError_tT2_T3_mT4_P12ihipStream_tbEUlT_E_NS1_11comp_targetILNS1_3genE2ELNS1_11target_archE906ELNS1_3gpuE6ELNS1_3repE0EEENS1_30default_config_static_selectorELNS0_4arch9wavefront6targetE0EEEvT1_.uses_flat_scratch, 0
	.set _ZN7rocprim17ROCPRIM_400000_NS6detail17trampoline_kernelINS0_14default_configENS1_25transform_config_selectorIjLb1EEEZNS1_14transform_implILb1ES3_S5_PjS7_NS0_8identityIjEEEE10hipError_tT2_T3_mT4_P12ihipStream_tbEUlT_E_NS1_11comp_targetILNS1_3genE2ELNS1_11target_archE906ELNS1_3gpuE6ELNS1_3repE0EEENS1_30default_config_static_selectorELNS0_4arch9wavefront6targetE0EEEvT1_.has_dyn_sized_stack, 0
	.set _ZN7rocprim17ROCPRIM_400000_NS6detail17trampoline_kernelINS0_14default_configENS1_25transform_config_selectorIjLb1EEEZNS1_14transform_implILb1ES3_S5_PjS7_NS0_8identityIjEEEE10hipError_tT2_T3_mT4_P12ihipStream_tbEUlT_E_NS1_11comp_targetILNS1_3genE2ELNS1_11target_archE906ELNS1_3gpuE6ELNS1_3repE0EEENS1_30default_config_static_selectorELNS0_4arch9wavefront6targetE0EEEvT1_.has_recursion, 0
	.set _ZN7rocprim17ROCPRIM_400000_NS6detail17trampoline_kernelINS0_14default_configENS1_25transform_config_selectorIjLb1EEEZNS1_14transform_implILb1ES3_S5_PjS7_NS0_8identityIjEEEE10hipError_tT2_T3_mT4_P12ihipStream_tbEUlT_E_NS1_11comp_targetILNS1_3genE2ELNS1_11target_archE906ELNS1_3gpuE6ELNS1_3repE0EEENS1_30default_config_static_selectorELNS0_4arch9wavefront6targetE0EEEvT1_.has_indirect_call, 0
	.section	.AMDGPU.csdata,"",@progbits
; Kernel info:
; codeLenInByte = 0
; TotalNumSgprs: 0
; NumVgprs: 0
; ScratchSize: 0
; MemoryBound: 0
; FloatMode: 240
; IeeeMode: 1
; LDSByteSize: 0 bytes/workgroup (compile time only)
; SGPRBlocks: 0
; VGPRBlocks: 0
; NumSGPRsForWavesPerEU: 1
; NumVGPRsForWavesPerEU: 1
; NamedBarCnt: 0
; Occupancy: 16
; WaveLimiterHint : 0
; COMPUTE_PGM_RSRC2:SCRATCH_EN: 0
; COMPUTE_PGM_RSRC2:USER_SGPR: 2
; COMPUTE_PGM_RSRC2:TRAP_HANDLER: 0
; COMPUTE_PGM_RSRC2:TGID_X_EN: 1
; COMPUTE_PGM_RSRC2:TGID_Y_EN: 0
; COMPUTE_PGM_RSRC2:TGID_Z_EN: 0
; COMPUTE_PGM_RSRC2:TIDIG_COMP_CNT: 0
	.section	.text._ZN7rocprim17ROCPRIM_400000_NS6detail17trampoline_kernelINS0_14default_configENS1_25transform_config_selectorIjLb1EEEZNS1_14transform_implILb1ES3_S5_PjS7_NS0_8identityIjEEEE10hipError_tT2_T3_mT4_P12ihipStream_tbEUlT_E_NS1_11comp_targetILNS1_3genE9ELNS1_11target_archE1100ELNS1_3gpuE3ELNS1_3repE0EEENS1_30default_config_static_selectorELNS0_4arch9wavefront6targetE0EEEvT1_,"axG",@progbits,_ZN7rocprim17ROCPRIM_400000_NS6detail17trampoline_kernelINS0_14default_configENS1_25transform_config_selectorIjLb1EEEZNS1_14transform_implILb1ES3_S5_PjS7_NS0_8identityIjEEEE10hipError_tT2_T3_mT4_P12ihipStream_tbEUlT_E_NS1_11comp_targetILNS1_3genE9ELNS1_11target_archE1100ELNS1_3gpuE3ELNS1_3repE0EEENS1_30default_config_static_selectorELNS0_4arch9wavefront6targetE0EEEvT1_,comdat
	.protected	_ZN7rocprim17ROCPRIM_400000_NS6detail17trampoline_kernelINS0_14default_configENS1_25transform_config_selectorIjLb1EEEZNS1_14transform_implILb1ES3_S5_PjS7_NS0_8identityIjEEEE10hipError_tT2_T3_mT4_P12ihipStream_tbEUlT_E_NS1_11comp_targetILNS1_3genE9ELNS1_11target_archE1100ELNS1_3gpuE3ELNS1_3repE0EEENS1_30default_config_static_selectorELNS0_4arch9wavefront6targetE0EEEvT1_ ; -- Begin function _ZN7rocprim17ROCPRIM_400000_NS6detail17trampoline_kernelINS0_14default_configENS1_25transform_config_selectorIjLb1EEEZNS1_14transform_implILb1ES3_S5_PjS7_NS0_8identityIjEEEE10hipError_tT2_T3_mT4_P12ihipStream_tbEUlT_E_NS1_11comp_targetILNS1_3genE9ELNS1_11target_archE1100ELNS1_3gpuE3ELNS1_3repE0EEENS1_30default_config_static_selectorELNS0_4arch9wavefront6targetE0EEEvT1_
	.globl	_ZN7rocprim17ROCPRIM_400000_NS6detail17trampoline_kernelINS0_14default_configENS1_25transform_config_selectorIjLb1EEEZNS1_14transform_implILb1ES3_S5_PjS7_NS0_8identityIjEEEE10hipError_tT2_T3_mT4_P12ihipStream_tbEUlT_E_NS1_11comp_targetILNS1_3genE9ELNS1_11target_archE1100ELNS1_3gpuE3ELNS1_3repE0EEENS1_30default_config_static_selectorELNS0_4arch9wavefront6targetE0EEEvT1_
	.p2align	8
	.type	_ZN7rocprim17ROCPRIM_400000_NS6detail17trampoline_kernelINS0_14default_configENS1_25transform_config_selectorIjLb1EEEZNS1_14transform_implILb1ES3_S5_PjS7_NS0_8identityIjEEEE10hipError_tT2_T3_mT4_P12ihipStream_tbEUlT_E_NS1_11comp_targetILNS1_3genE9ELNS1_11target_archE1100ELNS1_3gpuE3ELNS1_3repE0EEENS1_30default_config_static_selectorELNS0_4arch9wavefront6targetE0EEEvT1_,@function
_ZN7rocprim17ROCPRIM_400000_NS6detail17trampoline_kernelINS0_14default_configENS1_25transform_config_selectorIjLb1EEEZNS1_14transform_implILb1ES3_S5_PjS7_NS0_8identityIjEEEE10hipError_tT2_T3_mT4_P12ihipStream_tbEUlT_E_NS1_11comp_targetILNS1_3genE9ELNS1_11target_archE1100ELNS1_3gpuE3ELNS1_3repE0EEENS1_30default_config_static_selectorELNS0_4arch9wavefront6targetE0EEEvT1_: ; @_ZN7rocprim17ROCPRIM_400000_NS6detail17trampoline_kernelINS0_14default_configENS1_25transform_config_selectorIjLb1EEEZNS1_14transform_implILb1ES3_S5_PjS7_NS0_8identityIjEEEE10hipError_tT2_T3_mT4_P12ihipStream_tbEUlT_E_NS1_11comp_targetILNS1_3genE9ELNS1_11target_archE1100ELNS1_3gpuE3ELNS1_3repE0EEENS1_30default_config_static_selectorELNS0_4arch9wavefront6targetE0EEEvT1_
; %bb.0:
	.section	.rodata,"a",@progbits
	.p2align	6, 0x0
	.amdhsa_kernel _ZN7rocprim17ROCPRIM_400000_NS6detail17trampoline_kernelINS0_14default_configENS1_25transform_config_selectorIjLb1EEEZNS1_14transform_implILb1ES3_S5_PjS7_NS0_8identityIjEEEE10hipError_tT2_T3_mT4_P12ihipStream_tbEUlT_E_NS1_11comp_targetILNS1_3genE9ELNS1_11target_archE1100ELNS1_3gpuE3ELNS1_3repE0EEENS1_30default_config_static_selectorELNS0_4arch9wavefront6targetE0EEEvT1_
		.amdhsa_group_segment_fixed_size 0
		.amdhsa_private_segment_fixed_size 0
		.amdhsa_kernarg_size 40
		.amdhsa_user_sgpr_count 2
		.amdhsa_user_sgpr_dispatch_ptr 0
		.amdhsa_user_sgpr_queue_ptr 0
		.amdhsa_user_sgpr_kernarg_segment_ptr 1
		.amdhsa_user_sgpr_dispatch_id 0
		.amdhsa_user_sgpr_kernarg_preload_length 0
		.amdhsa_user_sgpr_kernarg_preload_offset 0
		.amdhsa_user_sgpr_private_segment_size 0
		.amdhsa_wavefront_size32 1
		.amdhsa_uses_dynamic_stack 0
		.amdhsa_enable_private_segment 0
		.amdhsa_system_sgpr_workgroup_id_x 1
		.amdhsa_system_sgpr_workgroup_id_y 0
		.amdhsa_system_sgpr_workgroup_id_z 0
		.amdhsa_system_sgpr_workgroup_info 0
		.amdhsa_system_vgpr_workitem_id 0
		.amdhsa_next_free_vgpr 1
		.amdhsa_next_free_sgpr 1
		.amdhsa_named_barrier_count 0
		.amdhsa_reserve_vcc 0
		.amdhsa_float_round_mode_32 0
		.amdhsa_float_round_mode_16_64 0
		.amdhsa_float_denorm_mode_32 3
		.amdhsa_float_denorm_mode_16_64 3
		.amdhsa_fp16_overflow 0
		.amdhsa_memory_ordered 1
		.amdhsa_forward_progress 1
		.amdhsa_inst_pref_size 0
		.amdhsa_round_robin_scheduling 0
		.amdhsa_exception_fp_ieee_invalid_op 0
		.amdhsa_exception_fp_denorm_src 0
		.amdhsa_exception_fp_ieee_div_zero 0
		.amdhsa_exception_fp_ieee_overflow 0
		.amdhsa_exception_fp_ieee_underflow 0
		.amdhsa_exception_fp_ieee_inexact 0
		.amdhsa_exception_int_div_zero 0
	.end_amdhsa_kernel
	.section	.text._ZN7rocprim17ROCPRIM_400000_NS6detail17trampoline_kernelINS0_14default_configENS1_25transform_config_selectorIjLb1EEEZNS1_14transform_implILb1ES3_S5_PjS7_NS0_8identityIjEEEE10hipError_tT2_T3_mT4_P12ihipStream_tbEUlT_E_NS1_11comp_targetILNS1_3genE9ELNS1_11target_archE1100ELNS1_3gpuE3ELNS1_3repE0EEENS1_30default_config_static_selectorELNS0_4arch9wavefront6targetE0EEEvT1_,"axG",@progbits,_ZN7rocprim17ROCPRIM_400000_NS6detail17trampoline_kernelINS0_14default_configENS1_25transform_config_selectorIjLb1EEEZNS1_14transform_implILb1ES3_S5_PjS7_NS0_8identityIjEEEE10hipError_tT2_T3_mT4_P12ihipStream_tbEUlT_E_NS1_11comp_targetILNS1_3genE9ELNS1_11target_archE1100ELNS1_3gpuE3ELNS1_3repE0EEENS1_30default_config_static_selectorELNS0_4arch9wavefront6targetE0EEEvT1_,comdat
.Lfunc_end2581:
	.size	_ZN7rocprim17ROCPRIM_400000_NS6detail17trampoline_kernelINS0_14default_configENS1_25transform_config_selectorIjLb1EEEZNS1_14transform_implILb1ES3_S5_PjS7_NS0_8identityIjEEEE10hipError_tT2_T3_mT4_P12ihipStream_tbEUlT_E_NS1_11comp_targetILNS1_3genE9ELNS1_11target_archE1100ELNS1_3gpuE3ELNS1_3repE0EEENS1_30default_config_static_selectorELNS0_4arch9wavefront6targetE0EEEvT1_, .Lfunc_end2581-_ZN7rocprim17ROCPRIM_400000_NS6detail17trampoline_kernelINS0_14default_configENS1_25transform_config_selectorIjLb1EEEZNS1_14transform_implILb1ES3_S5_PjS7_NS0_8identityIjEEEE10hipError_tT2_T3_mT4_P12ihipStream_tbEUlT_E_NS1_11comp_targetILNS1_3genE9ELNS1_11target_archE1100ELNS1_3gpuE3ELNS1_3repE0EEENS1_30default_config_static_selectorELNS0_4arch9wavefront6targetE0EEEvT1_
                                        ; -- End function
	.set _ZN7rocprim17ROCPRIM_400000_NS6detail17trampoline_kernelINS0_14default_configENS1_25transform_config_selectorIjLb1EEEZNS1_14transform_implILb1ES3_S5_PjS7_NS0_8identityIjEEEE10hipError_tT2_T3_mT4_P12ihipStream_tbEUlT_E_NS1_11comp_targetILNS1_3genE9ELNS1_11target_archE1100ELNS1_3gpuE3ELNS1_3repE0EEENS1_30default_config_static_selectorELNS0_4arch9wavefront6targetE0EEEvT1_.num_vgpr, 0
	.set _ZN7rocprim17ROCPRIM_400000_NS6detail17trampoline_kernelINS0_14default_configENS1_25transform_config_selectorIjLb1EEEZNS1_14transform_implILb1ES3_S5_PjS7_NS0_8identityIjEEEE10hipError_tT2_T3_mT4_P12ihipStream_tbEUlT_E_NS1_11comp_targetILNS1_3genE9ELNS1_11target_archE1100ELNS1_3gpuE3ELNS1_3repE0EEENS1_30default_config_static_selectorELNS0_4arch9wavefront6targetE0EEEvT1_.num_agpr, 0
	.set _ZN7rocprim17ROCPRIM_400000_NS6detail17trampoline_kernelINS0_14default_configENS1_25transform_config_selectorIjLb1EEEZNS1_14transform_implILb1ES3_S5_PjS7_NS0_8identityIjEEEE10hipError_tT2_T3_mT4_P12ihipStream_tbEUlT_E_NS1_11comp_targetILNS1_3genE9ELNS1_11target_archE1100ELNS1_3gpuE3ELNS1_3repE0EEENS1_30default_config_static_selectorELNS0_4arch9wavefront6targetE0EEEvT1_.numbered_sgpr, 0
	.set _ZN7rocprim17ROCPRIM_400000_NS6detail17trampoline_kernelINS0_14default_configENS1_25transform_config_selectorIjLb1EEEZNS1_14transform_implILb1ES3_S5_PjS7_NS0_8identityIjEEEE10hipError_tT2_T3_mT4_P12ihipStream_tbEUlT_E_NS1_11comp_targetILNS1_3genE9ELNS1_11target_archE1100ELNS1_3gpuE3ELNS1_3repE0EEENS1_30default_config_static_selectorELNS0_4arch9wavefront6targetE0EEEvT1_.num_named_barrier, 0
	.set _ZN7rocprim17ROCPRIM_400000_NS6detail17trampoline_kernelINS0_14default_configENS1_25transform_config_selectorIjLb1EEEZNS1_14transform_implILb1ES3_S5_PjS7_NS0_8identityIjEEEE10hipError_tT2_T3_mT4_P12ihipStream_tbEUlT_E_NS1_11comp_targetILNS1_3genE9ELNS1_11target_archE1100ELNS1_3gpuE3ELNS1_3repE0EEENS1_30default_config_static_selectorELNS0_4arch9wavefront6targetE0EEEvT1_.private_seg_size, 0
	.set _ZN7rocprim17ROCPRIM_400000_NS6detail17trampoline_kernelINS0_14default_configENS1_25transform_config_selectorIjLb1EEEZNS1_14transform_implILb1ES3_S5_PjS7_NS0_8identityIjEEEE10hipError_tT2_T3_mT4_P12ihipStream_tbEUlT_E_NS1_11comp_targetILNS1_3genE9ELNS1_11target_archE1100ELNS1_3gpuE3ELNS1_3repE0EEENS1_30default_config_static_selectorELNS0_4arch9wavefront6targetE0EEEvT1_.uses_vcc, 0
	.set _ZN7rocprim17ROCPRIM_400000_NS6detail17trampoline_kernelINS0_14default_configENS1_25transform_config_selectorIjLb1EEEZNS1_14transform_implILb1ES3_S5_PjS7_NS0_8identityIjEEEE10hipError_tT2_T3_mT4_P12ihipStream_tbEUlT_E_NS1_11comp_targetILNS1_3genE9ELNS1_11target_archE1100ELNS1_3gpuE3ELNS1_3repE0EEENS1_30default_config_static_selectorELNS0_4arch9wavefront6targetE0EEEvT1_.uses_flat_scratch, 0
	.set _ZN7rocprim17ROCPRIM_400000_NS6detail17trampoline_kernelINS0_14default_configENS1_25transform_config_selectorIjLb1EEEZNS1_14transform_implILb1ES3_S5_PjS7_NS0_8identityIjEEEE10hipError_tT2_T3_mT4_P12ihipStream_tbEUlT_E_NS1_11comp_targetILNS1_3genE9ELNS1_11target_archE1100ELNS1_3gpuE3ELNS1_3repE0EEENS1_30default_config_static_selectorELNS0_4arch9wavefront6targetE0EEEvT1_.has_dyn_sized_stack, 0
	.set _ZN7rocprim17ROCPRIM_400000_NS6detail17trampoline_kernelINS0_14default_configENS1_25transform_config_selectorIjLb1EEEZNS1_14transform_implILb1ES3_S5_PjS7_NS0_8identityIjEEEE10hipError_tT2_T3_mT4_P12ihipStream_tbEUlT_E_NS1_11comp_targetILNS1_3genE9ELNS1_11target_archE1100ELNS1_3gpuE3ELNS1_3repE0EEENS1_30default_config_static_selectorELNS0_4arch9wavefront6targetE0EEEvT1_.has_recursion, 0
	.set _ZN7rocprim17ROCPRIM_400000_NS6detail17trampoline_kernelINS0_14default_configENS1_25transform_config_selectorIjLb1EEEZNS1_14transform_implILb1ES3_S5_PjS7_NS0_8identityIjEEEE10hipError_tT2_T3_mT4_P12ihipStream_tbEUlT_E_NS1_11comp_targetILNS1_3genE9ELNS1_11target_archE1100ELNS1_3gpuE3ELNS1_3repE0EEENS1_30default_config_static_selectorELNS0_4arch9wavefront6targetE0EEEvT1_.has_indirect_call, 0
	.section	.AMDGPU.csdata,"",@progbits
; Kernel info:
; codeLenInByte = 0
; TotalNumSgprs: 0
; NumVgprs: 0
; ScratchSize: 0
; MemoryBound: 0
; FloatMode: 240
; IeeeMode: 1
; LDSByteSize: 0 bytes/workgroup (compile time only)
; SGPRBlocks: 0
; VGPRBlocks: 0
; NumSGPRsForWavesPerEU: 1
; NumVGPRsForWavesPerEU: 1
; NamedBarCnt: 0
; Occupancy: 16
; WaveLimiterHint : 0
; COMPUTE_PGM_RSRC2:SCRATCH_EN: 0
; COMPUTE_PGM_RSRC2:USER_SGPR: 2
; COMPUTE_PGM_RSRC2:TRAP_HANDLER: 0
; COMPUTE_PGM_RSRC2:TGID_X_EN: 1
; COMPUTE_PGM_RSRC2:TGID_Y_EN: 0
; COMPUTE_PGM_RSRC2:TGID_Z_EN: 0
; COMPUTE_PGM_RSRC2:TIDIG_COMP_CNT: 0
	.section	.text._ZN7rocprim17ROCPRIM_400000_NS6detail17trampoline_kernelINS0_14default_configENS1_25transform_config_selectorIjLb1EEEZNS1_14transform_implILb1ES3_S5_PjS7_NS0_8identityIjEEEE10hipError_tT2_T3_mT4_P12ihipStream_tbEUlT_E_NS1_11comp_targetILNS1_3genE8ELNS1_11target_archE1030ELNS1_3gpuE2ELNS1_3repE0EEENS1_30default_config_static_selectorELNS0_4arch9wavefront6targetE0EEEvT1_,"axG",@progbits,_ZN7rocprim17ROCPRIM_400000_NS6detail17trampoline_kernelINS0_14default_configENS1_25transform_config_selectorIjLb1EEEZNS1_14transform_implILb1ES3_S5_PjS7_NS0_8identityIjEEEE10hipError_tT2_T3_mT4_P12ihipStream_tbEUlT_E_NS1_11comp_targetILNS1_3genE8ELNS1_11target_archE1030ELNS1_3gpuE2ELNS1_3repE0EEENS1_30default_config_static_selectorELNS0_4arch9wavefront6targetE0EEEvT1_,comdat
	.protected	_ZN7rocprim17ROCPRIM_400000_NS6detail17trampoline_kernelINS0_14default_configENS1_25transform_config_selectorIjLb1EEEZNS1_14transform_implILb1ES3_S5_PjS7_NS0_8identityIjEEEE10hipError_tT2_T3_mT4_P12ihipStream_tbEUlT_E_NS1_11comp_targetILNS1_3genE8ELNS1_11target_archE1030ELNS1_3gpuE2ELNS1_3repE0EEENS1_30default_config_static_selectorELNS0_4arch9wavefront6targetE0EEEvT1_ ; -- Begin function _ZN7rocprim17ROCPRIM_400000_NS6detail17trampoline_kernelINS0_14default_configENS1_25transform_config_selectorIjLb1EEEZNS1_14transform_implILb1ES3_S5_PjS7_NS0_8identityIjEEEE10hipError_tT2_T3_mT4_P12ihipStream_tbEUlT_E_NS1_11comp_targetILNS1_3genE8ELNS1_11target_archE1030ELNS1_3gpuE2ELNS1_3repE0EEENS1_30default_config_static_selectorELNS0_4arch9wavefront6targetE0EEEvT1_
	.globl	_ZN7rocprim17ROCPRIM_400000_NS6detail17trampoline_kernelINS0_14default_configENS1_25transform_config_selectorIjLb1EEEZNS1_14transform_implILb1ES3_S5_PjS7_NS0_8identityIjEEEE10hipError_tT2_T3_mT4_P12ihipStream_tbEUlT_E_NS1_11comp_targetILNS1_3genE8ELNS1_11target_archE1030ELNS1_3gpuE2ELNS1_3repE0EEENS1_30default_config_static_selectorELNS0_4arch9wavefront6targetE0EEEvT1_
	.p2align	8
	.type	_ZN7rocprim17ROCPRIM_400000_NS6detail17trampoline_kernelINS0_14default_configENS1_25transform_config_selectorIjLb1EEEZNS1_14transform_implILb1ES3_S5_PjS7_NS0_8identityIjEEEE10hipError_tT2_T3_mT4_P12ihipStream_tbEUlT_E_NS1_11comp_targetILNS1_3genE8ELNS1_11target_archE1030ELNS1_3gpuE2ELNS1_3repE0EEENS1_30default_config_static_selectorELNS0_4arch9wavefront6targetE0EEEvT1_,@function
_ZN7rocprim17ROCPRIM_400000_NS6detail17trampoline_kernelINS0_14default_configENS1_25transform_config_selectorIjLb1EEEZNS1_14transform_implILb1ES3_S5_PjS7_NS0_8identityIjEEEE10hipError_tT2_T3_mT4_P12ihipStream_tbEUlT_E_NS1_11comp_targetILNS1_3genE8ELNS1_11target_archE1030ELNS1_3gpuE2ELNS1_3repE0EEENS1_30default_config_static_selectorELNS0_4arch9wavefront6targetE0EEEvT1_: ; @_ZN7rocprim17ROCPRIM_400000_NS6detail17trampoline_kernelINS0_14default_configENS1_25transform_config_selectorIjLb1EEEZNS1_14transform_implILb1ES3_S5_PjS7_NS0_8identityIjEEEE10hipError_tT2_T3_mT4_P12ihipStream_tbEUlT_E_NS1_11comp_targetILNS1_3genE8ELNS1_11target_archE1030ELNS1_3gpuE2ELNS1_3repE0EEENS1_30default_config_static_selectorELNS0_4arch9wavefront6targetE0EEEvT1_
; %bb.0:
	.section	.rodata,"a",@progbits
	.p2align	6, 0x0
	.amdhsa_kernel _ZN7rocprim17ROCPRIM_400000_NS6detail17trampoline_kernelINS0_14default_configENS1_25transform_config_selectorIjLb1EEEZNS1_14transform_implILb1ES3_S5_PjS7_NS0_8identityIjEEEE10hipError_tT2_T3_mT4_P12ihipStream_tbEUlT_E_NS1_11comp_targetILNS1_3genE8ELNS1_11target_archE1030ELNS1_3gpuE2ELNS1_3repE0EEENS1_30default_config_static_selectorELNS0_4arch9wavefront6targetE0EEEvT1_
		.amdhsa_group_segment_fixed_size 0
		.amdhsa_private_segment_fixed_size 0
		.amdhsa_kernarg_size 40
		.amdhsa_user_sgpr_count 2
		.amdhsa_user_sgpr_dispatch_ptr 0
		.amdhsa_user_sgpr_queue_ptr 0
		.amdhsa_user_sgpr_kernarg_segment_ptr 1
		.amdhsa_user_sgpr_dispatch_id 0
		.amdhsa_user_sgpr_kernarg_preload_length 0
		.amdhsa_user_sgpr_kernarg_preload_offset 0
		.amdhsa_user_sgpr_private_segment_size 0
		.amdhsa_wavefront_size32 1
		.amdhsa_uses_dynamic_stack 0
		.amdhsa_enable_private_segment 0
		.amdhsa_system_sgpr_workgroup_id_x 1
		.amdhsa_system_sgpr_workgroup_id_y 0
		.amdhsa_system_sgpr_workgroup_id_z 0
		.amdhsa_system_sgpr_workgroup_info 0
		.amdhsa_system_vgpr_workitem_id 0
		.amdhsa_next_free_vgpr 1
		.amdhsa_next_free_sgpr 1
		.amdhsa_named_barrier_count 0
		.amdhsa_reserve_vcc 0
		.amdhsa_float_round_mode_32 0
		.amdhsa_float_round_mode_16_64 0
		.amdhsa_float_denorm_mode_32 3
		.amdhsa_float_denorm_mode_16_64 3
		.amdhsa_fp16_overflow 0
		.amdhsa_memory_ordered 1
		.amdhsa_forward_progress 1
		.amdhsa_inst_pref_size 0
		.amdhsa_round_robin_scheduling 0
		.amdhsa_exception_fp_ieee_invalid_op 0
		.amdhsa_exception_fp_denorm_src 0
		.amdhsa_exception_fp_ieee_div_zero 0
		.amdhsa_exception_fp_ieee_overflow 0
		.amdhsa_exception_fp_ieee_underflow 0
		.amdhsa_exception_fp_ieee_inexact 0
		.amdhsa_exception_int_div_zero 0
	.end_amdhsa_kernel
	.section	.text._ZN7rocprim17ROCPRIM_400000_NS6detail17trampoline_kernelINS0_14default_configENS1_25transform_config_selectorIjLb1EEEZNS1_14transform_implILb1ES3_S5_PjS7_NS0_8identityIjEEEE10hipError_tT2_T3_mT4_P12ihipStream_tbEUlT_E_NS1_11comp_targetILNS1_3genE8ELNS1_11target_archE1030ELNS1_3gpuE2ELNS1_3repE0EEENS1_30default_config_static_selectorELNS0_4arch9wavefront6targetE0EEEvT1_,"axG",@progbits,_ZN7rocprim17ROCPRIM_400000_NS6detail17trampoline_kernelINS0_14default_configENS1_25transform_config_selectorIjLb1EEEZNS1_14transform_implILb1ES3_S5_PjS7_NS0_8identityIjEEEE10hipError_tT2_T3_mT4_P12ihipStream_tbEUlT_E_NS1_11comp_targetILNS1_3genE8ELNS1_11target_archE1030ELNS1_3gpuE2ELNS1_3repE0EEENS1_30default_config_static_selectorELNS0_4arch9wavefront6targetE0EEEvT1_,comdat
.Lfunc_end2582:
	.size	_ZN7rocprim17ROCPRIM_400000_NS6detail17trampoline_kernelINS0_14default_configENS1_25transform_config_selectorIjLb1EEEZNS1_14transform_implILb1ES3_S5_PjS7_NS0_8identityIjEEEE10hipError_tT2_T3_mT4_P12ihipStream_tbEUlT_E_NS1_11comp_targetILNS1_3genE8ELNS1_11target_archE1030ELNS1_3gpuE2ELNS1_3repE0EEENS1_30default_config_static_selectorELNS0_4arch9wavefront6targetE0EEEvT1_, .Lfunc_end2582-_ZN7rocprim17ROCPRIM_400000_NS6detail17trampoline_kernelINS0_14default_configENS1_25transform_config_selectorIjLb1EEEZNS1_14transform_implILb1ES3_S5_PjS7_NS0_8identityIjEEEE10hipError_tT2_T3_mT4_P12ihipStream_tbEUlT_E_NS1_11comp_targetILNS1_3genE8ELNS1_11target_archE1030ELNS1_3gpuE2ELNS1_3repE0EEENS1_30default_config_static_selectorELNS0_4arch9wavefront6targetE0EEEvT1_
                                        ; -- End function
	.set _ZN7rocprim17ROCPRIM_400000_NS6detail17trampoline_kernelINS0_14default_configENS1_25transform_config_selectorIjLb1EEEZNS1_14transform_implILb1ES3_S5_PjS7_NS0_8identityIjEEEE10hipError_tT2_T3_mT4_P12ihipStream_tbEUlT_E_NS1_11comp_targetILNS1_3genE8ELNS1_11target_archE1030ELNS1_3gpuE2ELNS1_3repE0EEENS1_30default_config_static_selectorELNS0_4arch9wavefront6targetE0EEEvT1_.num_vgpr, 0
	.set _ZN7rocprim17ROCPRIM_400000_NS6detail17trampoline_kernelINS0_14default_configENS1_25transform_config_selectorIjLb1EEEZNS1_14transform_implILb1ES3_S5_PjS7_NS0_8identityIjEEEE10hipError_tT2_T3_mT4_P12ihipStream_tbEUlT_E_NS1_11comp_targetILNS1_3genE8ELNS1_11target_archE1030ELNS1_3gpuE2ELNS1_3repE0EEENS1_30default_config_static_selectorELNS0_4arch9wavefront6targetE0EEEvT1_.num_agpr, 0
	.set _ZN7rocprim17ROCPRIM_400000_NS6detail17trampoline_kernelINS0_14default_configENS1_25transform_config_selectorIjLb1EEEZNS1_14transform_implILb1ES3_S5_PjS7_NS0_8identityIjEEEE10hipError_tT2_T3_mT4_P12ihipStream_tbEUlT_E_NS1_11comp_targetILNS1_3genE8ELNS1_11target_archE1030ELNS1_3gpuE2ELNS1_3repE0EEENS1_30default_config_static_selectorELNS0_4arch9wavefront6targetE0EEEvT1_.numbered_sgpr, 0
	.set _ZN7rocprim17ROCPRIM_400000_NS6detail17trampoline_kernelINS0_14default_configENS1_25transform_config_selectorIjLb1EEEZNS1_14transform_implILb1ES3_S5_PjS7_NS0_8identityIjEEEE10hipError_tT2_T3_mT4_P12ihipStream_tbEUlT_E_NS1_11comp_targetILNS1_3genE8ELNS1_11target_archE1030ELNS1_3gpuE2ELNS1_3repE0EEENS1_30default_config_static_selectorELNS0_4arch9wavefront6targetE0EEEvT1_.num_named_barrier, 0
	.set _ZN7rocprim17ROCPRIM_400000_NS6detail17trampoline_kernelINS0_14default_configENS1_25transform_config_selectorIjLb1EEEZNS1_14transform_implILb1ES3_S5_PjS7_NS0_8identityIjEEEE10hipError_tT2_T3_mT4_P12ihipStream_tbEUlT_E_NS1_11comp_targetILNS1_3genE8ELNS1_11target_archE1030ELNS1_3gpuE2ELNS1_3repE0EEENS1_30default_config_static_selectorELNS0_4arch9wavefront6targetE0EEEvT1_.private_seg_size, 0
	.set _ZN7rocprim17ROCPRIM_400000_NS6detail17trampoline_kernelINS0_14default_configENS1_25transform_config_selectorIjLb1EEEZNS1_14transform_implILb1ES3_S5_PjS7_NS0_8identityIjEEEE10hipError_tT2_T3_mT4_P12ihipStream_tbEUlT_E_NS1_11comp_targetILNS1_3genE8ELNS1_11target_archE1030ELNS1_3gpuE2ELNS1_3repE0EEENS1_30default_config_static_selectorELNS0_4arch9wavefront6targetE0EEEvT1_.uses_vcc, 0
	.set _ZN7rocprim17ROCPRIM_400000_NS6detail17trampoline_kernelINS0_14default_configENS1_25transform_config_selectorIjLb1EEEZNS1_14transform_implILb1ES3_S5_PjS7_NS0_8identityIjEEEE10hipError_tT2_T3_mT4_P12ihipStream_tbEUlT_E_NS1_11comp_targetILNS1_3genE8ELNS1_11target_archE1030ELNS1_3gpuE2ELNS1_3repE0EEENS1_30default_config_static_selectorELNS0_4arch9wavefront6targetE0EEEvT1_.uses_flat_scratch, 0
	.set _ZN7rocprim17ROCPRIM_400000_NS6detail17trampoline_kernelINS0_14default_configENS1_25transform_config_selectorIjLb1EEEZNS1_14transform_implILb1ES3_S5_PjS7_NS0_8identityIjEEEE10hipError_tT2_T3_mT4_P12ihipStream_tbEUlT_E_NS1_11comp_targetILNS1_3genE8ELNS1_11target_archE1030ELNS1_3gpuE2ELNS1_3repE0EEENS1_30default_config_static_selectorELNS0_4arch9wavefront6targetE0EEEvT1_.has_dyn_sized_stack, 0
	.set _ZN7rocprim17ROCPRIM_400000_NS6detail17trampoline_kernelINS0_14default_configENS1_25transform_config_selectorIjLb1EEEZNS1_14transform_implILb1ES3_S5_PjS7_NS0_8identityIjEEEE10hipError_tT2_T3_mT4_P12ihipStream_tbEUlT_E_NS1_11comp_targetILNS1_3genE8ELNS1_11target_archE1030ELNS1_3gpuE2ELNS1_3repE0EEENS1_30default_config_static_selectorELNS0_4arch9wavefront6targetE0EEEvT1_.has_recursion, 0
	.set _ZN7rocprim17ROCPRIM_400000_NS6detail17trampoline_kernelINS0_14default_configENS1_25transform_config_selectorIjLb1EEEZNS1_14transform_implILb1ES3_S5_PjS7_NS0_8identityIjEEEE10hipError_tT2_T3_mT4_P12ihipStream_tbEUlT_E_NS1_11comp_targetILNS1_3genE8ELNS1_11target_archE1030ELNS1_3gpuE2ELNS1_3repE0EEENS1_30default_config_static_selectorELNS0_4arch9wavefront6targetE0EEEvT1_.has_indirect_call, 0
	.section	.AMDGPU.csdata,"",@progbits
; Kernel info:
; codeLenInByte = 0
; TotalNumSgprs: 0
; NumVgprs: 0
; ScratchSize: 0
; MemoryBound: 0
; FloatMode: 240
; IeeeMode: 1
; LDSByteSize: 0 bytes/workgroup (compile time only)
; SGPRBlocks: 0
; VGPRBlocks: 0
; NumSGPRsForWavesPerEU: 1
; NumVGPRsForWavesPerEU: 1
; NamedBarCnt: 0
; Occupancy: 16
; WaveLimiterHint : 0
; COMPUTE_PGM_RSRC2:SCRATCH_EN: 0
; COMPUTE_PGM_RSRC2:USER_SGPR: 2
; COMPUTE_PGM_RSRC2:TRAP_HANDLER: 0
; COMPUTE_PGM_RSRC2:TGID_X_EN: 1
; COMPUTE_PGM_RSRC2:TGID_Y_EN: 0
; COMPUTE_PGM_RSRC2:TGID_Z_EN: 0
; COMPUTE_PGM_RSRC2:TIDIG_COMP_CNT: 0
	.section	.text._ZN7rocprim17ROCPRIM_400000_NS6detail17trampoline_kernelINS0_14default_configENS1_38merge_sort_block_merge_config_selectorIjNS0_10empty_typeEEEZZNS1_27merge_sort_block_merge_implIS3_PjPS5_jNS1_19radix_merge_compareILb1ELb1EjNS0_19identity_decomposerEEEEE10hipError_tT0_T1_T2_jT3_P12ihipStream_tbPNSt15iterator_traitsISE_E10value_typeEPNSK_ISF_E10value_typeEPSG_NS1_7vsmem_tEENKUlT_SE_SF_SG_E_clIS8_S8_S9_S9_EESD_ST_SE_SF_SG_EUlST_E_NS1_11comp_targetILNS1_3genE0ELNS1_11target_archE4294967295ELNS1_3gpuE0ELNS1_3repE0EEENS1_48merge_mergepath_partition_config_static_selectorELNS0_4arch9wavefront6targetE0EEEvSF_,"axG",@progbits,_ZN7rocprim17ROCPRIM_400000_NS6detail17trampoline_kernelINS0_14default_configENS1_38merge_sort_block_merge_config_selectorIjNS0_10empty_typeEEEZZNS1_27merge_sort_block_merge_implIS3_PjPS5_jNS1_19radix_merge_compareILb1ELb1EjNS0_19identity_decomposerEEEEE10hipError_tT0_T1_T2_jT3_P12ihipStream_tbPNSt15iterator_traitsISE_E10value_typeEPNSK_ISF_E10value_typeEPSG_NS1_7vsmem_tEENKUlT_SE_SF_SG_E_clIS8_S8_S9_S9_EESD_ST_SE_SF_SG_EUlST_E_NS1_11comp_targetILNS1_3genE0ELNS1_11target_archE4294967295ELNS1_3gpuE0ELNS1_3repE0EEENS1_48merge_mergepath_partition_config_static_selectorELNS0_4arch9wavefront6targetE0EEEvSF_,comdat
	.protected	_ZN7rocprim17ROCPRIM_400000_NS6detail17trampoline_kernelINS0_14default_configENS1_38merge_sort_block_merge_config_selectorIjNS0_10empty_typeEEEZZNS1_27merge_sort_block_merge_implIS3_PjPS5_jNS1_19radix_merge_compareILb1ELb1EjNS0_19identity_decomposerEEEEE10hipError_tT0_T1_T2_jT3_P12ihipStream_tbPNSt15iterator_traitsISE_E10value_typeEPNSK_ISF_E10value_typeEPSG_NS1_7vsmem_tEENKUlT_SE_SF_SG_E_clIS8_S8_S9_S9_EESD_ST_SE_SF_SG_EUlST_E_NS1_11comp_targetILNS1_3genE0ELNS1_11target_archE4294967295ELNS1_3gpuE0ELNS1_3repE0EEENS1_48merge_mergepath_partition_config_static_selectorELNS0_4arch9wavefront6targetE0EEEvSF_ ; -- Begin function _ZN7rocprim17ROCPRIM_400000_NS6detail17trampoline_kernelINS0_14default_configENS1_38merge_sort_block_merge_config_selectorIjNS0_10empty_typeEEEZZNS1_27merge_sort_block_merge_implIS3_PjPS5_jNS1_19radix_merge_compareILb1ELb1EjNS0_19identity_decomposerEEEEE10hipError_tT0_T1_T2_jT3_P12ihipStream_tbPNSt15iterator_traitsISE_E10value_typeEPNSK_ISF_E10value_typeEPSG_NS1_7vsmem_tEENKUlT_SE_SF_SG_E_clIS8_S8_S9_S9_EESD_ST_SE_SF_SG_EUlST_E_NS1_11comp_targetILNS1_3genE0ELNS1_11target_archE4294967295ELNS1_3gpuE0ELNS1_3repE0EEENS1_48merge_mergepath_partition_config_static_selectorELNS0_4arch9wavefront6targetE0EEEvSF_
	.globl	_ZN7rocprim17ROCPRIM_400000_NS6detail17trampoline_kernelINS0_14default_configENS1_38merge_sort_block_merge_config_selectorIjNS0_10empty_typeEEEZZNS1_27merge_sort_block_merge_implIS3_PjPS5_jNS1_19radix_merge_compareILb1ELb1EjNS0_19identity_decomposerEEEEE10hipError_tT0_T1_T2_jT3_P12ihipStream_tbPNSt15iterator_traitsISE_E10value_typeEPNSK_ISF_E10value_typeEPSG_NS1_7vsmem_tEENKUlT_SE_SF_SG_E_clIS8_S8_S9_S9_EESD_ST_SE_SF_SG_EUlST_E_NS1_11comp_targetILNS1_3genE0ELNS1_11target_archE4294967295ELNS1_3gpuE0ELNS1_3repE0EEENS1_48merge_mergepath_partition_config_static_selectorELNS0_4arch9wavefront6targetE0EEEvSF_
	.p2align	8
	.type	_ZN7rocprim17ROCPRIM_400000_NS6detail17trampoline_kernelINS0_14default_configENS1_38merge_sort_block_merge_config_selectorIjNS0_10empty_typeEEEZZNS1_27merge_sort_block_merge_implIS3_PjPS5_jNS1_19radix_merge_compareILb1ELb1EjNS0_19identity_decomposerEEEEE10hipError_tT0_T1_T2_jT3_P12ihipStream_tbPNSt15iterator_traitsISE_E10value_typeEPNSK_ISF_E10value_typeEPSG_NS1_7vsmem_tEENKUlT_SE_SF_SG_E_clIS8_S8_S9_S9_EESD_ST_SE_SF_SG_EUlST_E_NS1_11comp_targetILNS1_3genE0ELNS1_11target_archE4294967295ELNS1_3gpuE0ELNS1_3repE0EEENS1_48merge_mergepath_partition_config_static_selectorELNS0_4arch9wavefront6targetE0EEEvSF_,@function
_ZN7rocprim17ROCPRIM_400000_NS6detail17trampoline_kernelINS0_14default_configENS1_38merge_sort_block_merge_config_selectorIjNS0_10empty_typeEEEZZNS1_27merge_sort_block_merge_implIS3_PjPS5_jNS1_19radix_merge_compareILb1ELb1EjNS0_19identity_decomposerEEEEE10hipError_tT0_T1_T2_jT3_P12ihipStream_tbPNSt15iterator_traitsISE_E10value_typeEPNSK_ISF_E10value_typeEPSG_NS1_7vsmem_tEENKUlT_SE_SF_SG_E_clIS8_S8_S9_S9_EESD_ST_SE_SF_SG_EUlST_E_NS1_11comp_targetILNS1_3genE0ELNS1_11target_archE4294967295ELNS1_3gpuE0ELNS1_3repE0EEENS1_48merge_mergepath_partition_config_static_selectorELNS0_4arch9wavefront6targetE0EEEvSF_: ; @_ZN7rocprim17ROCPRIM_400000_NS6detail17trampoline_kernelINS0_14default_configENS1_38merge_sort_block_merge_config_selectorIjNS0_10empty_typeEEEZZNS1_27merge_sort_block_merge_implIS3_PjPS5_jNS1_19radix_merge_compareILb1ELb1EjNS0_19identity_decomposerEEEEE10hipError_tT0_T1_T2_jT3_P12ihipStream_tbPNSt15iterator_traitsISE_E10value_typeEPNSK_ISF_E10value_typeEPSG_NS1_7vsmem_tEENKUlT_SE_SF_SG_E_clIS8_S8_S9_S9_EESD_ST_SE_SF_SG_EUlST_E_NS1_11comp_targetILNS1_3genE0ELNS1_11target_archE4294967295ELNS1_3gpuE0ELNS1_3repE0EEENS1_48merge_mergepath_partition_config_static_selectorELNS0_4arch9wavefront6targetE0EEEvSF_
; %bb.0:
	s_load_b32 s2, s[0:1], 0x0
	s_bfe_u32 s3, ttmp6, 0x4000c
	s_and_b32 s4, ttmp6, 15
	s_add_co_i32 s3, s3, 1
	s_getreg_b32 s5, hwreg(HW_REG_IB_STS2, 6, 4)
	s_mul_i32 s3, ttmp9, s3
	s_delay_alu instid0(SALU_CYCLE_1) | instskip(SKIP_2) | instid1(SALU_CYCLE_1)
	s_add_co_i32 s4, s4, s3
	s_cmp_eq_u32 s5, 0
	s_cselect_b32 s3, ttmp9, s4
	v_lshl_or_b32 v8, s3, 7, v0
	s_wait_kmcnt 0x0
	s_delay_alu instid0(VALU_DEP_1)
	v_cmp_gt_u32_e32 vcc_lo, s2, v8
	s_and_saveexec_b32 s2, vcc_lo
	s_cbranch_execz .LBB2583_6
; %bb.1:
	s_load_b64 s[2:3], s[0:1], 0x4
	s_mov_b32 s7, exec_lo
	s_wait_kmcnt 0x0
	s_lshr_b32 s4, s2, 9
	s_delay_alu instid0(SALU_CYCLE_1) | instskip(NEXT) | instid1(SALU_CYCLE_1)
	s_and_b32 s4, s4, 0x7ffffe
	s_sub_co_i32 s5, 0, s4
	s_add_co_i32 s4, s4, -1
	s_delay_alu instid0(SALU_CYCLE_1) | instskip(NEXT) | instid1(VALU_DEP_1)
	v_and_b32_e32 v1, s4, v8
	v_dual_lshlrev_b32 v1, 10, v1 :: v_dual_bitop2_b32 v0, s5, v8 bitop3:0x40
	s_delay_alu instid0(VALU_DEP_1) | instskip(NEXT) | instid1(VALU_DEP_1)
	v_lshlrev_b32_e32 v0, 10, v0
	v_add_min_u32_e64 v2, v0, s2, s3
	v_min_u32_e32 v0, s3, v0
	s_delay_alu instid0(VALU_DEP_2) | instskip(SKIP_1) | instid1(VALU_DEP_1)
	v_add_min_u32_e64 v3, v2, s2, s3
	s_load_b64 s[2:3], s[0:1], 0x20
	v_dual_sub_nc_u32 v4, v3, v0 :: v_dual_sub_nc_u32 v3, v3, v2
	s_delay_alu instid0(VALU_DEP_1) | instskip(SKIP_1) | instid1(VALU_DEP_2)
	v_min_u32_e32 v10, v4, v1
	v_sub_nc_u32_e32 v1, v2, v0
	v_sub_nc_u32_e64 v9, v10, v3 clamp
	s_delay_alu instid0(VALU_DEP_2) | instskip(NEXT) | instid1(VALU_DEP_1)
	v_min_u32_e32 v11, v10, v1
	v_cmpx_lt_u32_e64 v9, v11
	s_cbranch_execz .LBB2583_5
; %bb.2:
	s_load_b96 s[4:6], s[0:1], 0x10
	v_mov_b32_e32 v3, 0
	s_wait_xcnt 0x0
	s_mov_b32 s0, 0
	s_delay_alu instid0(VALU_DEP_1) | instskip(SKIP_1) | instid1(VALU_DEP_1)
	v_mov_b32_e32 v1, v3
	s_wait_kmcnt 0x0
	v_lshl_add_u64 v[4:5], v[0:1], 2, s[4:5]
	v_lshl_add_u64 v[6:7], v[2:3], 2, s[4:5]
.LBB2583_3:                             ; =>This Inner Loop Header: Depth=1
	v_add_nc_u32_e32 v1, v11, v9
	s_delay_alu instid0(VALU_DEP_1) | instskip(NEXT) | instid1(VALU_DEP_1)
	v_dual_mov_b32 v13, v3 :: v_dual_lshrrev_b32 v2, 1, v1
	v_xad_u32 v12, v2, -1, v10
	v_lshl_add_u64 v[14:15], v[2:3], 2, v[4:5]
	s_delay_alu instid0(VALU_DEP_2)
	v_lshl_add_u64 v[12:13], v[12:13], 2, v[6:7]
	s_clause 0x1
	global_load_b32 v1, v[14:15], off
	global_load_b32 v16, v[12:13], off
	s_wait_loadcnt 0x1
	s_wait_xcnt 0x0
	v_dual_add_nc_u32 v13, 1, v2 :: v_dual_bitop2_b32 v1, s6, v1 bitop3:0x40
	s_wait_loadcnt 0x0
	v_and_b32_e32 v12, s6, v16
	s_delay_alu instid0(VALU_DEP_1) | instskip(NEXT) | instid1(VALU_DEP_3)
	v_cmp_gt_u32_e32 vcc_lo, v12, v1
	v_dual_cndmask_b32 v11, v11, v2, vcc_lo :: v_dual_cndmask_b32 v9, v13, v9, vcc_lo
	s_delay_alu instid0(VALU_DEP_1) | instskip(SKIP_1) | instid1(SALU_CYCLE_1)
	v_cmp_ge_u32_e32 vcc_lo, v9, v11
	s_or_b32 s0, vcc_lo, s0
	s_and_not1_b32 exec_lo, exec_lo, s0
	s_cbranch_execnz .LBB2583_3
; %bb.4:
	s_or_b32 exec_lo, exec_lo, s0
.LBB2583_5:
	s_delay_alu instid0(SALU_CYCLE_1)
	s_or_b32 exec_lo, exec_lo, s7
	v_add_nc_u32_e32 v0, v9, v0
	s_wait_kmcnt 0x0
	global_store_b32 v8, v0, s[2:3] scale_offset
.LBB2583_6:
	s_endpgm
	.section	.rodata,"a",@progbits
	.p2align	6, 0x0
	.amdhsa_kernel _ZN7rocprim17ROCPRIM_400000_NS6detail17trampoline_kernelINS0_14default_configENS1_38merge_sort_block_merge_config_selectorIjNS0_10empty_typeEEEZZNS1_27merge_sort_block_merge_implIS3_PjPS5_jNS1_19radix_merge_compareILb1ELb1EjNS0_19identity_decomposerEEEEE10hipError_tT0_T1_T2_jT3_P12ihipStream_tbPNSt15iterator_traitsISE_E10value_typeEPNSK_ISF_E10value_typeEPSG_NS1_7vsmem_tEENKUlT_SE_SF_SG_E_clIS8_S8_S9_S9_EESD_ST_SE_SF_SG_EUlST_E_NS1_11comp_targetILNS1_3genE0ELNS1_11target_archE4294967295ELNS1_3gpuE0ELNS1_3repE0EEENS1_48merge_mergepath_partition_config_static_selectorELNS0_4arch9wavefront6targetE0EEEvSF_
		.amdhsa_group_segment_fixed_size 0
		.amdhsa_private_segment_fixed_size 0
		.amdhsa_kernarg_size 40
		.amdhsa_user_sgpr_count 2
		.amdhsa_user_sgpr_dispatch_ptr 0
		.amdhsa_user_sgpr_queue_ptr 0
		.amdhsa_user_sgpr_kernarg_segment_ptr 1
		.amdhsa_user_sgpr_dispatch_id 0
		.amdhsa_user_sgpr_kernarg_preload_length 0
		.amdhsa_user_sgpr_kernarg_preload_offset 0
		.amdhsa_user_sgpr_private_segment_size 0
		.amdhsa_wavefront_size32 1
		.amdhsa_uses_dynamic_stack 0
		.amdhsa_enable_private_segment 0
		.amdhsa_system_sgpr_workgroup_id_x 1
		.amdhsa_system_sgpr_workgroup_id_y 0
		.amdhsa_system_sgpr_workgroup_id_z 0
		.amdhsa_system_sgpr_workgroup_info 0
		.amdhsa_system_vgpr_workitem_id 0
		.amdhsa_next_free_vgpr 17
		.amdhsa_next_free_sgpr 8
		.amdhsa_named_barrier_count 0
		.amdhsa_reserve_vcc 1
		.amdhsa_float_round_mode_32 0
		.amdhsa_float_round_mode_16_64 0
		.amdhsa_float_denorm_mode_32 3
		.amdhsa_float_denorm_mode_16_64 3
		.amdhsa_fp16_overflow 0
		.amdhsa_memory_ordered 1
		.amdhsa_forward_progress 1
		.amdhsa_inst_pref_size 4
		.amdhsa_round_robin_scheduling 0
		.amdhsa_exception_fp_ieee_invalid_op 0
		.amdhsa_exception_fp_denorm_src 0
		.amdhsa_exception_fp_ieee_div_zero 0
		.amdhsa_exception_fp_ieee_overflow 0
		.amdhsa_exception_fp_ieee_underflow 0
		.amdhsa_exception_fp_ieee_inexact 0
		.amdhsa_exception_int_div_zero 0
	.end_amdhsa_kernel
	.section	.text._ZN7rocprim17ROCPRIM_400000_NS6detail17trampoline_kernelINS0_14default_configENS1_38merge_sort_block_merge_config_selectorIjNS0_10empty_typeEEEZZNS1_27merge_sort_block_merge_implIS3_PjPS5_jNS1_19radix_merge_compareILb1ELb1EjNS0_19identity_decomposerEEEEE10hipError_tT0_T1_T2_jT3_P12ihipStream_tbPNSt15iterator_traitsISE_E10value_typeEPNSK_ISF_E10value_typeEPSG_NS1_7vsmem_tEENKUlT_SE_SF_SG_E_clIS8_S8_S9_S9_EESD_ST_SE_SF_SG_EUlST_E_NS1_11comp_targetILNS1_3genE0ELNS1_11target_archE4294967295ELNS1_3gpuE0ELNS1_3repE0EEENS1_48merge_mergepath_partition_config_static_selectorELNS0_4arch9wavefront6targetE0EEEvSF_,"axG",@progbits,_ZN7rocprim17ROCPRIM_400000_NS6detail17trampoline_kernelINS0_14default_configENS1_38merge_sort_block_merge_config_selectorIjNS0_10empty_typeEEEZZNS1_27merge_sort_block_merge_implIS3_PjPS5_jNS1_19radix_merge_compareILb1ELb1EjNS0_19identity_decomposerEEEEE10hipError_tT0_T1_T2_jT3_P12ihipStream_tbPNSt15iterator_traitsISE_E10value_typeEPNSK_ISF_E10value_typeEPSG_NS1_7vsmem_tEENKUlT_SE_SF_SG_E_clIS8_S8_S9_S9_EESD_ST_SE_SF_SG_EUlST_E_NS1_11comp_targetILNS1_3genE0ELNS1_11target_archE4294967295ELNS1_3gpuE0ELNS1_3repE0EEENS1_48merge_mergepath_partition_config_static_selectorELNS0_4arch9wavefront6targetE0EEEvSF_,comdat
.Lfunc_end2583:
	.size	_ZN7rocprim17ROCPRIM_400000_NS6detail17trampoline_kernelINS0_14default_configENS1_38merge_sort_block_merge_config_selectorIjNS0_10empty_typeEEEZZNS1_27merge_sort_block_merge_implIS3_PjPS5_jNS1_19radix_merge_compareILb1ELb1EjNS0_19identity_decomposerEEEEE10hipError_tT0_T1_T2_jT3_P12ihipStream_tbPNSt15iterator_traitsISE_E10value_typeEPNSK_ISF_E10value_typeEPSG_NS1_7vsmem_tEENKUlT_SE_SF_SG_E_clIS8_S8_S9_S9_EESD_ST_SE_SF_SG_EUlST_E_NS1_11comp_targetILNS1_3genE0ELNS1_11target_archE4294967295ELNS1_3gpuE0ELNS1_3repE0EEENS1_48merge_mergepath_partition_config_static_selectorELNS0_4arch9wavefront6targetE0EEEvSF_, .Lfunc_end2583-_ZN7rocprim17ROCPRIM_400000_NS6detail17trampoline_kernelINS0_14default_configENS1_38merge_sort_block_merge_config_selectorIjNS0_10empty_typeEEEZZNS1_27merge_sort_block_merge_implIS3_PjPS5_jNS1_19radix_merge_compareILb1ELb1EjNS0_19identity_decomposerEEEEE10hipError_tT0_T1_T2_jT3_P12ihipStream_tbPNSt15iterator_traitsISE_E10value_typeEPNSK_ISF_E10value_typeEPSG_NS1_7vsmem_tEENKUlT_SE_SF_SG_E_clIS8_S8_S9_S9_EESD_ST_SE_SF_SG_EUlST_E_NS1_11comp_targetILNS1_3genE0ELNS1_11target_archE4294967295ELNS1_3gpuE0ELNS1_3repE0EEENS1_48merge_mergepath_partition_config_static_selectorELNS0_4arch9wavefront6targetE0EEEvSF_
                                        ; -- End function
	.set _ZN7rocprim17ROCPRIM_400000_NS6detail17trampoline_kernelINS0_14default_configENS1_38merge_sort_block_merge_config_selectorIjNS0_10empty_typeEEEZZNS1_27merge_sort_block_merge_implIS3_PjPS5_jNS1_19radix_merge_compareILb1ELb1EjNS0_19identity_decomposerEEEEE10hipError_tT0_T1_T2_jT3_P12ihipStream_tbPNSt15iterator_traitsISE_E10value_typeEPNSK_ISF_E10value_typeEPSG_NS1_7vsmem_tEENKUlT_SE_SF_SG_E_clIS8_S8_S9_S9_EESD_ST_SE_SF_SG_EUlST_E_NS1_11comp_targetILNS1_3genE0ELNS1_11target_archE4294967295ELNS1_3gpuE0ELNS1_3repE0EEENS1_48merge_mergepath_partition_config_static_selectorELNS0_4arch9wavefront6targetE0EEEvSF_.num_vgpr, 17
	.set _ZN7rocprim17ROCPRIM_400000_NS6detail17trampoline_kernelINS0_14default_configENS1_38merge_sort_block_merge_config_selectorIjNS0_10empty_typeEEEZZNS1_27merge_sort_block_merge_implIS3_PjPS5_jNS1_19radix_merge_compareILb1ELb1EjNS0_19identity_decomposerEEEEE10hipError_tT0_T1_T2_jT3_P12ihipStream_tbPNSt15iterator_traitsISE_E10value_typeEPNSK_ISF_E10value_typeEPSG_NS1_7vsmem_tEENKUlT_SE_SF_SG_E_clIS8_S8_S9_S9_EESD_ST_SE_SF_SG_EUlST_E_NS1_11comp_targetILNS1_3genE0ELNS1_11target_archE4294967295ELNS1_3gpuE0ELNS1_3repE0EEENS1_48merge_mergepath_partition_config_static_selectorELNS0_4arch9wavefront6targetE0EEEvSF_.num_agpr, 0
	.set _ZN7rocprim17ROCPRIM_400000_NS6detail17trampoline_kernelINS0_14default_configENS1_38merge_sort_block_merge_config_selectorIjNS0_10empty_typeEEEZZNS1_27merge_sort_block_merge_implIS3_PjPS5_jNS1_19radix_merge_compareILb1ELb1EjNS0_19identity_decomposerEEEEE10hipError_tT0_T1_T2_jT3_P12ihipStream_tbPNSt15iterator_traitsISE_E10value_typeEPNSK_ISF_E10value_typeEPSG_NS1_7vsmem_tEENKUlT_SE_SF_SG_E_clIS8_S8_S9_S9_EESD_ST_SE_SF_SG_EUlST_E_NS1_11comp_targetILNS1_3genE0ELNS1_11target_archE4294967295ELNS1_3gpuE0ELNS1_3repE0EEENS1_48merge_mergepath_partition_config_static_selectorELNS0_4arch9wavefront6targetE0EEEvSF_.numbered_sgpr, 8
	.set _ZN7rocprim17ROCPRIM_400000_NS6detail17trampoline_kernelINS0_14default_configENS1_38merge_sort_block_merge_config_selectorIjNS0_10empty_typeEEEZZNS1_27merge_sort_block_merge_implIS3_PjPS5_jNS1_19radix_merge_compareILb1ELb1EjNS0_19identity_decomposerEEEEE10hipError_tT0_T1_T2_jT3_P12ihipStream_tbPNSt15iterator_traitsISE_E10value_typeEPNSK_ISF_E10value_typeEPSG_NS1_7vsmem_tEENKUlT_SE_SF_SG_E_clIS8_S8_S9_S9_EESD_ST_SE_SF_SG_EUlST_E_NS1_11comp_targetILNS1_3genE0ELNS1_11target_archE4294967295ELNS1_3gpuE0ELNS1_3repE0EEENS1_48merge_mergepath_partition_config_static_selectorELNS0_4arch9wavefront6targetE0EEEvSF_.num_named_barrier, 0
	.set _ZN7rocprim17ROCPRIM_400000_NS6detail17trampoline_kernelINS0_14default_configENS1_38merge_sort_block_merge_config_selectorIjNS0_10empty_typeEEEZZNS1_27merge_sort_block_merge_implIS3_PjPS5_jNS1_19radix_merge_compareILb1ELb1EjNS0_19identity_decomposerEEEEE10hipError_tT0_T1_T2_jT3_P12ihipStream_tbPNSt15iterator_traitsISE_E10value_typeEPNSK_ISF_E10value_typeEPSG_NS1_7vsmem_tEENKUlT_SE_SF_SG_E_clIS8_S8_S9_S9_EESD_ST_SE_SF_SG_EUlST_E_NS1_11comp_targetILNS1_3genE0ELNS1_11target_archE4294967295ELNS1_3gpuE0ELNS1_3repE0EEENS1_48merge_mergepath_partition_config_static_selectorELNS0_4arch9wavefront6targetE0EEEvSF_.private_seg_size, 0
	.set _ZN7rocprim17ROCPRIM_400000_NS6detail17trampoline_kernelINS0_14default_configENS1_38merge_sort_block_merge_config_selectorIjNS0_10empty_typeEEEZZNS1_27merge_sort_block_merge_implIS3_PjPS5_jNS1_19radix_merge_compareILb1ELb1EjNS0_19identity_decomposerEEEEE10hipError_tT0_T1_T2_jT3_P12ihipStream_tbPNSt15iterator_traitsISE_E10value_typeEPNSK_ISF_E10value_typeEPSG_NS1_7vsmem_tEENKUlT_SE_SF_SG_E_clIS8_S8_S9_S9_EESD_ST_SE_SF_SG_EUlST_E_NS1_11comp_targetILNS1_3genE0ELNS1_11target_archE4294967295ELNS1_3gpuE0ELNS1_3repE0EEENS1_48merge_mergepath_partition_config_static_selectorELNS0_4arch9wavefront6targetE0EEEvSF_.uses_vcc, 1
	.set _ZN7rocprim17ROCPRIM_400000_NS6detail17trampoline_kernelINS0_14default_configENS1_38merge_sort_block_merge_config_selectorIjNS0_10empty_typeEEEZZNS1_27merge_sort_block_merge_implIS3_PjPS5_jNS1_19radix_merge_compareILb1ELb1EjNS0_19identity_decomposerEEEEE10hipError_tT0_T1_T2_jT3_P12ihipStream_tbPNSt15iterator_traitsISE_E10value_typeEPNSK_ISF_E10value_typeEPSG_NS1_7vsmem_tEENKUlT_SE_SF_SG_E_clIS8_S8_S9_S9_EESD_ST_SE_SF_SG_EUlST_E_NS1_11comp_targetILNS1_3genE0ELNS1_11target_archE4294967295ELNS1_3gpuE0ELNS1_3repE0EEENS1_48merge_mergepath_partition_config_static_selectorELNS0_4arch9wavefront6targetE0EEEvSF_.uses_flat_scratch, 0
	.set _ZN7rocprim17ROCPRIM_400000_NS6detail17trampoline_kernelINS0_14default_configENS1_38merge_sort_block_merge_config_selectorIjNS0_10empty_typeEEEZZNS1_27merge_sort_block_merge_implIS3_PjPS5_jNS1_19radix_merge_compareILb1ELb1EjNS0_19identity_decomposerEEEEE10hipError_tT0_T1_T2_jT3_P12ihipStream_tbPNSt15iterator_traitsISE_E10value_typeEPNSK_ISF_E10value_typeEPSG_NS1_7vsmem_tEENKUlT_SE_SF_SG_E_clIS8_S8_S9_S9_EESD_ST_SE_SF_SG_EUlST_E_NS1_11comp_targetILNS1_3genE0ELNS1_11target_archE4294967295ELNS1_3gpuE0ELNS1_3repE0EEENS1_48merge_mergepath_partition_config_static_selectorELNS0_4arch9wavefront6targetE0EEEvSF_.has_dyn_sized_stack, 0
	.set _ZN7rocprim17ROCPRIM_400000_NS6detail17trampoline_kernelINS0_14default_configENS1_38merge_sort_block_merge_config_selectorIjNS0_10empty_typeEEEZZNS1_27merge_sort_block_merge_implIS3_PjPS5_jNS1_19radix_merge_compareILb1ELb1EjNS0_19identity_decomposerEEEEE10hipError_tT0_T1_T2_jT3_P12ihipStream_tbPNSt15iterator_traitsISE_E10value_typeEPNSK_ISF_E10value_typeEPSG_NS1_7vsmem_tEENKUlT_SE_SF_SG_E_clIS8_S8_S9_S9_EESD_ST_SE_SF_SG_EUlST_E_NS1_11comp_targetILNS1_3genE0ELNS1_11target_archE4294967295ELNS1_3gpuE0ELNS1_3repE0EEENS1_48merge_mergepath_partition_config_static_selectorELNS0_4arch9wavefront6targetE0EEEvSF_.has_recursion, 0
	.set _ZN7rocprim17ROCPRIM_400000_NS6detail17trampoline_kernelINS0_14default_configENS1_38merge_sort_block_merge_config_selectorIjNS0_10empty_typeEEEZZNS1_27merge_sort_block_merge_implIS3_PjPS5_jNS1_19radix_merge_compareILb1ELb1EjNS0_19identity_decomposerEEEEE10hipError_tT0_T1_T2_jT3_P12ihipStream_tbPNSt15iterator_traitsISE_E10value_typeEPNSK_ISF_E10value_typeEPSG_NS1_7vsmem_tEENKUlT_SE_SF_SG_E_clIS8_S8_S9_S9_EESD_ST_SE_SF_SG_EUlST_E_NS1_11comp_targetILNS1_3genE0ELNS1_11target_archE4294967295ELNS1_3gpuE0ELNS1_3repE0EEENS1_48merge_mergepath_partition_config_static_selectorELNS0_4arch9wavefront6targetE0EEEvSF_.has_indirect_call, 0
	.section	.AMDGPU.csdata,"",@progbits
; Kernel info:
; codeLenInByte = 452
; TotalNumSgprs: 10
; NumVgprs: 17
; ScratchSize: 0
; MemoryBound: 0
; FloatMode: 240
; IeeeMode: 1
; LDSByteSize: 0 bytes/workgroup (compile time only)
; SGPRBlocks: 0
; VGPRBlocks: 1
; NumSGPRsForWavesPerEU: 10
; NumVGPRsForWavesPerEU: 17
; NamedBarCnt: 0
; Occupancy: 16
; WaveLimiterHint : 0
; COMPUTE_PGM_RSRC2:SCRATCH_EN: 0
; COMPUTE_PGM_RSRC2:USER_SGPR: 2
; COMPUTE_PGM_RSRC2:TRAP_HANDLER: 0
; COMPUTE_PGM_RSRC2:TGID_X_EN: 1
; COMPUTE_PGM_RSRC2:TGID_Y_EN: 0
; COMPUTE_PGM_RSRC2:TGID_Z_EN: 0
; COMPUTE_PGM_RSRC2:TIDIG_COMP_CNT: 0
	.section	.text._ZN7rocprim17ROCPRIM_400000_NS6detail17trampoline_kernelINS0_14default_configENS1_38merge_sort_block_merge_config_selectorIjNS0_10empty_typeEEEZZNS1_27merge_sort_block_merge_implIS3_PjPS5_jNS1_19radix_merge_compareILb1ELb1EjNS0_19identity_decomposerEEEEE10hipError_tT0_T1_T2_jT3_P12ihipStream_tbPNSt15iterator_traitsISE_E10value_typeEPNSK_ISF_E10value_typeEPSG_NS1_7vsmem_tEENKUlT_SE_SF_SG_E_clIS8_S8_S9_S9_EESD_ST_SE_SF_SG_EUlST_E_NS1_11comp_targetILNS1_3genE10ELNS1_11target_archE1201ELNS1_3gpuE5ELNS1_3repE0EEENS1_48merge_mergepath_partition_config_static_selectorELNS0_4arch9wavefront6targetE0EEEvSF_,"axG",@progbits,_ZN7rocprim17ROCPRIM_400000_NS6detail17trampoline_kernelINS0_14default_configENS1_38merge_sort_block_merge_config_selectorIjNS0_10empty_typeEEEZZNS1_27merge_sort_block_merge_implIS3_PjPS5_jNS1_19radix_merge_compareILb1ELb1EjNS0_19identity_decomposerEEEEE10hipError_tT0_T1_T2_jT3_P12ihipStream_tbPNSt15iterator_traitsISE_E10value_typeEPNSK_ISF_E10value_typeEPSG_NS1_7vsmem_tEENKUlT_SE_SF_SG_E_clIS8_S8_S9_S9_EESD_ST_SE_SF_SG_EUlST_E_NS1_11comp_targetILNS1_3genE10ELNS1_11target_archE1201ELNS1_3gpuE5ELNS1_3repE0EEENS1_48merge_mergepath_partition_config_static_selectorELNS0_4arch9wavefront6targetE0EEEvSF_,comdat
	.protected	_ZN7rocprim17ROCPRIM_400000_NS6detail17trampoline_kernelINS0_14default_configENS1_38merge_sort_block_merge_config_selectorIjNS0_10empty_typeEEEZZNS1_27merge_sort_block_merge_implIS3_PjPS5_jNS1_19radix_merge_compareILb1ELb1EjNS0_19identity_decomposerEEEEE10hipError_tT0_T1_T2_jT3_P12ihipStream_tbPNSt15iterator_traitsISE_E10value_typeEPNSK_ISF_E10value_typeEPSG_NS1_7vsmem_tEENKUlT_SE_SF_SG_E_clIS8_S8_S9_S9_EESD_ST_SE_SF_SG_EUlST_E_NS1_11comp_targetILNS1_3genE10ELNS1_11target_archE1201ELNS1_3gpuE5ELNS1_3repE0EEENS1_48merge_mergepath_partition_config_static_selectorELNS0_4arch9wavefront6targetE0EEEvSF_ ; -- Begin function _ZN7rocprim17ROCPRIM_400000_NS6detail17trampoline_kernelINS0_14default_configENS1_38merge_sort_block_merge_config_selectorIjNS0_10empty_typeEEEZZNS1_27merge_sort_block_merge_implIS3_PjPS5_jNS1_19radix_merge_compareILb1ELb1EjNS0_19identity_decomposerEEEEE10hipError_tT0_T1_T2_jT3_P12ihipStream_tbPNSt15iterator_traitsISE_E10value_typeEPNSK_ISF_E10value_typeEPSG_NS1_7vsmem_tEENKUlT_SE_SF_SG_E_clIS8_S8_S9_S9_EESD_ST_SE_SF_SG_EUlST_E_NS1_11comp_targetILNS1_3genE10ELNS1_11target_archE1201ELNS1_3gpuE5ELNS1_3repE0EEENS1_48merge_mergepath_partition_config_static_selectorELNS0_4arch9wavefront6targetE0EEEvSF_
	.globl	_ZN7rocprim17ROCPRIM_400000_NS6detail17trampoline_kernelINS0_14default_configENS1_38merge_sort_block_merge_config_selectorIjNS0_10empty_typeEEEZZNS1_27merge_sort_block_merge_implIS3_PjPS5_jNS1_19radix_merge_compareILb1ELb1EjNS0_19identity_decomposerEEEEE10hipError_tT0_T1_T2_jT3_P12ihipStream_tbPNSt15iterator_traitsISE_E10value_typeEPNSK_ISF_E10value_typeEPSG_NS1_7vsmem_tEENKUlT_SE_SF_SG_E_clIS8_S8_S9_S9_EESD_ST_SE_SF_SG_EUlST_E_NS1_11comp_targetILNS1_3genE10ELNS1_11target_archE1201ELNS1_3gpuE5ELNS1_3repE0EEENS1_48merge_mergepath_partition_config_static_selectorELNS0_4arch9wavefront6targetE0EEEvSF_
	.p2align	8
	.type	_ZN7rocprim17ROCPRIM_400000_NS6detail17trampoline_kernelINS0_14default_configENS1_38merge_sort_block_merge_config_selectorIjNS0_10empty_typeEEEZZNS1_27merge_sort_block_merge_implIS3_PjPS5_jNS1_19radix_merge_compareILb1ELb1EjNS0_19identity_decomposerEEEEE10hipError_tT0_T1_T2_jT3_P12ihipStream_tbPNSt15iterator_traitsISE_E10value_typeEPNSK_ISF_E10value_typeEPSG_NS1_7vsmem_tEENKUlT_SE_SF_SG_E_clIS8_S8_S9_S9_EESD_ST_SE_SF_SG_EUlST_E_NS1_11comp_targetILNS1_3genE10ELNS1_11target_archE1201ELNS1_3gpuE5ELNS1_3repE0EEENS1_48merge_mergepath_partition_config_static_selectorELNS0_4arch9wavefront6targetE0EEEvSF_,@function
_ZN7rocprim17ROCPRIM_400000_NS6detail17trampoline_kernelINS0_14default_configENS1_38merge_sort_block_merge_config_selectorIjNS0_10empty_typeEEEZZNS1_27merge_sort_block_merge_implIS3_PjPS5_jNS1_19radix_merge_compareILb1ELb1EjNS0_19identity_decomposerEEEEE10hipError_tT0_T1_T2_jT3_P12ihipStream_tbPNSt15iterator_traitsISE_E10value_typeEPNSK_ISF_E10value_typeEPSG_NS1_7vsmem_tEENKUlT_SE_SF_SG_E_clIS8_S8_S9_S9_EESD_ST_SE_SF_SG_EUlST_E_NS1_11comp_targetILNS1_3genE10ELNS1_11target_archE1201ELNS1_3gpuE5ELNS1_3repE0EEENS1_48merge_mergepath_partition_config_static_selectorELNS0_4arch9wavefront6targetE0EEEvSF_: ; @_ZN7rocprim17ROCPRIM_400000_NS6detail17trampoline_kernelINS0_14default_configENS1_38merge_sort_block_merge_config_selectorIjNS0_10empty_typeEEEZZNS1_27merge_sort_block_merge_implIS3_PjPS5_jNS1_19radix_merge_compareILb1ELb1EjNS0_19identity_decomposerEEEEE10hipError_tT0_T1_T2_jT3_P12ihipStream_tbPNSt15iterator_traitsISE_E10value_typeEPNSK_ISF_E10value_typeEPSG_NS1_7vsmem_tEENKUlT_SE_SF_SG_E_clIS8_S8_S9_S9_EESD_ST_SE_SF_SG_EUlST_E_NS1_11comp_targetILNS1_3genE10ELNS1_11target_archE1201ELNS1_3gpuE5ELNS1_3repE0EEENS1_48merge_mergepath_partition_config_static_selectorELNS0_4arch9wavefront6targetE0EEEvSF_
; %bb.0:
	.section	.rodata,"a",@progbits
	.p2align	6, 0x0
	.amdhsa_kernel _ZN7rocprim17ROCPRIM_400000_NS6detail17trampoline_kernelINS0_14default_configENS1_38merge_sort_block_merge_config_selectorIjNS0_10empty_typeEEEZZNS1_27merge_sort_block_merge_implIS3_PjPS5_jNS1_19radix_merge_compareILb1ELb1EjNS0_19identity_decomposerEEEEE10hipError_tT0_T1_T2_jT3_P12ihipStream_tbPNSt15iterator_traitsISE_E10value_typeEPNSK_ISF_E10value_typeEPSG_NS1_7vsmem_tEENKUlT_SE_SF_SG_E_clIS8_S8_S9_S9_EESD_ST_SE_SF_SG_EUlST_E_NS1_11comp_targetILNS1_3genE10ELNS1_11target_archE1201ELNS1_3gpuE5ELNS1_3repE0EEENS1_48merge_mergepath_partition_config_static_selectorELNS0_4arch9wavefront6targetE0EEEvSF_
		.amdhsa_group_segment_fixed_size 0
		.amdhsa_private_segment_fixed_size 0
		.amdhsa_kernarg_size 40
		.amdhsa_user_sgpr_count 2
		.amdhsa_user_sgpr_dispatch_ptr 0
		.amdhsa_user_sgpr_queue_ptr 0
		.amdhsa_user_sgpr_kernarg_segment_ptr 1
		.amdhsa_user_sgpr_dispatch_id 0
		.amdhsa_user_sgpr_kernarg_preload_length 0
		.amdhsa_user_sgpr_kernarg_preload_offset 0
		.amdhsa_user_sgpr_private_segment_size 0
		.amdhsa_wavefront_size32 1
		.amdhsa_uses_dynamic_stack 0
		.amdhsa_enable_private_segment 0
		.amdhsa_system_sgpr_workgroup_id_x 1
		.amdhsa_system_sgpr_workgroup_id_y 0
		.amdhsa_system_sgpr_workgroup_id_z 0
		.amdhsa_system_sgpr_workgroup_info 0
		.amdhsa_system_vgpr_workitem_id 0
		.amdhsa_next_free_vgpr 1
		.amdhsa_next_free_sgpr 1
		.amdhsa_named_barrier_count 0
		.amdhsa_reserve_vcc 0
		.amdhsa_float_round_mode_32 0
		.amdhsa_float_round_mode_16_64 0
		.amdhsa_float_denorm_mode_32 3
		.amdhsa_float_denorm_mode_16_64 3
		.amdhsa_fp16_overflow 0
		.amdhsa_memory_ordered 1
		.amdhsa_forward_progress 1
		.amdhsa_inst_pref_size 0
		.amdhsa_round_robin_scheduling 0
		.amdhsa_exception_fp_ieee_invalid_op 0
		.amdhsa_exception_fp_denorm_src 0
		.amdhsa_exception_fp_ieee_div_zero 0
		.amdhsa_exception_fp_ieee_overflow 0
		.amdhsa_exception_fp_ieee_underflow 0
		.amdhsa_exception_fp_ieee_inexact 0
		.amdhsa_exception_int_div_zero 0
	.end_amdhsa_kernel
	.section	.text._ZN7rocprim17ROCPRIM_400000_NS6detail17trampoline_kernelINS0_14default_configENS1_38merge_sort_block_merge_config_selectorIjNS0_10empty_typeEEEZZNS1_27merge_sort_block_merge_implIS3_PjPS5_jNS1_19radix_merge_compareILb1ELb1EjNS0_19identity_decomposerEEEEE10hipError_tT0_T1_T2_jT3_P12ihipStream_tbPNSt15iterator_traitsISE_E10value_typeEPNSK_ISF_E10value_typeEPSG_NS1_7vsmem_tEENKUlT_SE_SF_SG_E_clIS8_S8_S9_S9_EESD_ST_SE_SF_SG_EUlST_E_NS1_11comp_targetILNS1_3genE10ELNS1_11target_archE1201ELNS1_3gpuE5ELNS1_3repE0EEENS1_48merge_mergepath_partition_config_static_selectorELNS0_4arch9wavefront6targetE0EEEvSF_,"axG",@progbits,_ZN7rocprim17ROCPRIM_400000_NS6detail17trampoline_kernelINS0_14default_configENS1_38merge_sort_block_merge_config_selectorIjNS0_10empty_typeEEEZZNS1_27merge_sort_block_merge_implIS3_PjPS5_jNS1_19radix_merge_compareILb1ELb1EjNS0_19identity_decomposerEEEEE10hipError_tT0_T1_T2_jT3_P12ihipStream_tbPNSt15iterator_traitsISE_E10value_typeEPNSK_ISF_E10value_typeEPSG_NS1_7vsmem_tEENKUlT_SE_SF_SG_E_clIS8_S8_S9_S9_EESD_ST_SE_SF_SG_EUlST_E_NS1_11comp_targetILNS1_3genE10ELNS1_11target_archE1201ELNS1_3gpuE5ELNS1_3repE0EEENS1_48merge_mergepath_partition_config_static_selectorELNS0_4arch9wavefront6targetE0EEEvSF_,comdat
.Lfunc_end2584:
	.size	_ZN7rocprim17ROCPRIM_400000_NS6detail17trampoline_kernelINS0_14default_configENS1_38merge_sort_block_merge_config_selectorIjNS0_10empty_typeEEEZZNS1_27merge_sort_block_merge_implIS3_PjPS5_jNS1_19radix_merge_compareILb1ELb1EjNS0_19identity_decomposerEEEEE10hipError_tT0_T1_T2_jT3_P12ihipStream_tbPNSt15iterator_traitsISE_E10value_typeEPNSK_ISF_E10value_typeEPSG_NS1_7vsmem_tEENKUlT_SE_SF_SG_E_clIS8_S8_S9_S9_EESD_ST_SE_SF_SG_EUlST_E_NS1_11comp_targetILNS1_3genE10ELNS1_11target_archE1201ELNS1_3gpuE5ELNS1_3repE0EEENS1_48merge_mergepath_partition_config_static_selectorELNS0_4arch9wavefront6targetE0EEEvSF_, .Lfunc_end2584-_ZN7rocprim17ROCPRIM_400000_NS6detail17trampoline_kernelINS0_14default_configENS1_38merge_sort_block_merge_config_selectorIjNS0_10empty_typeEEEZZNS1_27merge_sort_block_merge_implIS3_PjPS5_jNS1_19radix_merge_compareILb1ELb1EjNS0_19identity_decomposerEEEEE10hipError_tT0_T1_T2_jT3_P12ihipStream_tbPNSt15iterator_traitsISE_E10value_typeEPNSK_ISF_E10value_typeEPSG_NS1_7vsmem_tEENKUlT_SE_SF_SG_E_clIS8_S8_S9_S9_EESD_ST_SE_SF_SG_EUlST_E_NS1_11comp_targetILNS1_3genE10ELNS1_11target_archE1201ELNS1_3gpuE5ELNS1_3repE0EEENS1_48merge_mergepath_partition_config_static_selectorELNS0_4arch9wavefront6targetE0EEEvSF_
                                        ; -- End function
	.set _ZN7rocprim17ROCPRIM_400000_NS6detail17trampoline_kernelINS0_14default_configENS1_38merge_sort_block_merge_config_selectorIjNS0_10empty_typeEEEZZNS1_27merge_sort_block_merge_implIS3_PjPS5_jNS1_19radix_merge_compareILb1ELb1EjNS0_19identity_decomposerEEEEE10hipError_tT0_T1_T2_jT3_P12ihipStream_tbPNSt15iterator_traitsISE_E10value_typeEPNSK_ISF_E10value_typeEPSG_NS1_7vsmem_tEENKUlT_SE_SF_SG_E_clIS8_S8_S9_S9_EESD_ST_SE_SF_SG_EUlST_E_NS1_11comp_targetILNS1_3genE10ELNS1_11target_archE1201ELNS1_3gpuE5ELNS1_3repE0EEENS1_48merge_mergepath_partition_config_static_selectorELNS0_4arch9wavefront6targetE0EEEvSF_.num_vgpr, 0
	.set _ZN7rocprim17ROCPRIM_400000_NS6detail17trampoline_kernelINS0_14default_configENS1_38merge_sort_block_merge_config_selectorIjNS0_10empty_typeEEEZZNS1_27merge_sort_block_merge_implIS3_PjPS5_jNS1_19radix_merge_compareILb1ELb1EjNS0_19identity_decomposerEEEEE10hipError_tT0_T1_T2_jT3_P12ihipStream_tbPNSt15iterator_traitsISE_E10value_typeEPNSK_ISF_E10value_typeEPSG_NS1_7vsmem_tEENKUlT_SE_SF_SG_E_clIS8_S8_S9_S9_EESD_ST_SE_SF_SG_EUlST_E_NS1_11comp_targetILNS1_3genE10ELNS1_11target_archE1201ELNS1_3gpuE5ELNS1_3repE0EEENS1_48merge_mergepath_partition_config_static_selectorELNS0_4arch9wavefront6targetE0EEEvSF_.num_agpr, 0
	.set _ZN7rocprim17ROCPRIM_400000_NS6detail17trampoline_kernelINS0_14default_configENS1_38merge_sort_block_merge_config_selectorIjNS0_10empty_typeEEEZZNS1_27merge_sort_block_merge_implIS3_PjPS5_jNS1_19radix_merge_compareILb1ELb1EjNS0_19identity_decomposerEEEEE10hipError_tT0_T1_T2_jT3_P12ihipStream_tbPNSt15iterator_traitsISE_E10value_typeEPNSK_ISF_E10value_typeEPSG_NS1_7vsmem_tEENKUlT_SE_SF_SG_E_clIS8_S8_S9_S9_EESD_ST_SE_SF_SG_EUlST_E_NS1_11comp_targetILNS1_3genE10ELNS1_11target_archE1201ELNS1_3gpuE5ELNS1_3repE0EEENS1_48merge_mergepath_partition_config_static_selectorELNS0_4arch9wavefront6targetE0EEEvSF_.numbered_sgpr, 0
	.set _ZN7rocprim17ROCPRIM_400000_NS6detail17trampoline_kernelINS0_14default_configENS1_38merge_sort_block_merge_config_selectorIjNS0_10empty_typeEEEZZNS1_27merge_sort_block_merge_implIS3_PjPS5_jNS1_19radix_merge_compareILb1ELb1EjNS0_19identity_decomposerEEEEE10hipError_tT0_T1_T2_jT3_P12ihipStream_tbPNSt15iterator_traitsISE_E10value_typeEPNSK_ISF_E10value_typeEPSG_NS1_7vsmem_tEENKUlT_SE_SF_SG_E_clIS8_S8_S9_S9_EESD_ST_SE_SF_SG_EUlST_E_NS1_11comp_targetILNS1_3genE10ELNS1_11target_archE1201ELNS1_3gpuE5ELNS1_3repE0EEENS1_48merge_mergepath_partition_config_static_selectorELNS0_4arch9wavefront6targetE0EEEvSF_.num_named_barrier, 0
	.set _ZN7rocprim17ROCPRIM_400000_NS6detail17trampoline_kernelINS0_14default_configENS1_38merge_sort_block_merge_config_selectorIjNS0_10empty_typeEEEZZNS1_27merge_sort_block_merge_implIS3_PjPS5_jNS1_19radix_merge_compareILb1ELb1EjNS0_19identity_decomposerEEEEE10hipError_tT0_T1_T2_jT3_P12ihipStream_tbPNSt15iterator_traitsISE_E10value_typeEPNSK_ISF_E10value_typeEPSG_NS1_7vsmem_tEENKUlT_SE_SF_SG_E_clIS8_S8_S9_S9_EESD_ST_SE_SF_SG_EUlST_E_NS1_11comp_targetILNS1_3genE10ELNS1_11target_archE1201ELNS1_3gpuE5ELNS1_3repE0EEENS1_48merge_mergepath_partition_config_static_selectorELNS0_4arch9wavefront6targetE0EEEvSF_.private_seg_size, 0
	.set _ZN7rocprim17ROCPRIM_400000_NS6detail17trampoline_kernelINS0_14default_configENS1_38merge_sort_block_merge_config_selectorIjNS0_10empty_typeEEEZZNS1_27merge_sort_block_merge_implIS3_PjPS5_jNS1_19radix_merge_compareILb1ELb1EjNS0_19identity_decomposerEEEEE10hipError_tT0_T1_T2_jT3_P12ihipStream_tbPNSt15iterator_traitsISE_E10value_typeEPNSK_ISF_E10value_typeEPSG_NS1_7vsmem_tEENKUlT_SE_SF_SG_E_clIS8_S8_S9_S9_EESD_ST_SE_SF_SG_EUlST_E_NS1_11comp_targetILNS1_3genE10ELNS1_11target_archE1201ELNS1_3gpuE5ELNS1_3repE0EEENS1_48merge_mergepath_partition_config_static_selectorELNS0_4arch9wavefront6targetE0EEEvSF_.uses_vcc, 0
	.set _ZN7rocprim17ROCPRIM_400000_NS6detail17trampoline_kernelINS0_14default_configENS1_38merge_sort_block_merge_config_selectorIjNS0_10empty_typeEEEZZNS1_27merge_sort_block_merge_implIS3_PjPS5_jNS1_19radix_merge_compareILb1ELb1EjNS0_19identity_decomposerEEEEE10hipError_tT0_T1_T2_jT3_P12ihipStream_tbPNSt15iterator_traitsISE_E10value_typeEPNSK_ISF_E10value_typeEPSG_NS1_7vsmem_tEENKUlT_SE_SF_SG_E_clIS8_S8_S9_S9_EESD_ST_SE_SF_SG_EUlST_E_NS1_11comp_targetILNS1_3genE10ELNS1_11target_archE1201ELNS1_3gpuE5ELNS1_3repE0EEENS1_48merge_mergepath_partition_config_static_selectorELNS0_4arch9wavefront6targetE0EEEvSF_.uses_flat_scratch, 0
	.set _ZN7rocprim17ROCPRIM_400000_NS6detail17trampoline_kernelINS0_14default_configENS1_38merge_sort_block_merge_config_selectorIjNS0_10empty_typeEEEZZNS1_27merge_sort_block_merge_implIS3_PjPS5_jNS1_19radix_merge_compareILb1ELb1EjNS0_19identity_decomposerEEEEE10hipError_tT0_T1_T2_jT3_P12ihipStream_tbPNSt15iterator_traitsISE_E10value_typeEPNSK_ISF_E10value_typeEPSG_NS1_7vsmem_tEENKUlT_SE_SF_SG_E_clIS8_S8_S9_S9_EESD_ST_SE_SF_SG_EUlST_E_NS1_11comp_targetILNS1_3genE10ELNS1_11target_archE1201ELNS1_3gpuE5ELNS1_3repE0EEENS1_48merge_mergepath_partition_config_static_selectorELNS0_4arch9wavefront6targetE0EEEvSF_.has_dyn_sized_stack, 0
	.set _ZN7rocprim17ROCPRIM_400000_NS6detail17trampoline_kernelINS0_14default_configENS1_38merge_sort_block_merge_config_selectorIjNS0_10empty_typeEEEZZNS1_27merge_sort_block_merge_implIS3_PjPS5_jNS1_19radix_merge_compareILb1ELb1EjNS0_19identity_decomposerEEEEE10hipError_tT0_T1_T2_jT3_P12ihipStream_tbPNSt15iterator_traitsISE_E10value_typeEPNSK_ISF_E10value_typeEPSG_NS1_7vsmem_tEENKUlT_SE_SF_SG_E_clIS8_S8_S9_S9_EESD_ST_SE_SF_SG_EUlST_E_NS1_11comp_targetILNS1_3genE10ELNS1_11target_archE1201ELNS1_3gpuE5ELNS1_3repE0EEENS1_48merge_mergepath_partition_config_static_selectorELNS0_4arch9wavefront6targetE0EEEvSF_.has_recursion, 0
	.set _ZN7rocprim17ROCPRIM_400000_NS6detail17trampoline_kernelINS0_14default_configENS1_38merge_sort_block_merge_config_selectorIjNS0_10empty_typeEEEZZNS1_27merge_sort_block_merge_implIS3_PjPS5_jNS1_19radix_merge_compareILb1ELb1EjNS0_19identity_decomposerEEEEE10hipError_tT0_T1_T2_jT3_P12ihipStream_tbPNSt15iterator_traitsISE_E10value_typeEPNSK_ISF_E10value_typeEPSG_NS1_7vsmem_tEENKUlT_SE_SF_SG_E_clIS8_S8_S9_S9_EESD_ST_SE_SF_SG_EUlST_E_NS1_11comp_targetILNS1_3genE10ELNS1_11target_archE1201ELNS1_3gpuE5ELNS1_3repE0EEENS1_48merge_mergepath_partition_config_static_selectorELNS0_4arch9wavefront6targetE0EEEvSF_.has_indirect_call, 0
	.section	.AMDGPU.csdata,"",@progbits
; Kernel info:
; codeLenInByte = 0
; TotalNumSgprs: 0
; NumVgprs: 0
; ScratchSize: 0
; MemoryBound: 0
; FloatMode: 240
; IeeeMode: 1
; LDSByteSize: 0 bytes/workgroup (compile time only)
; SGPRBlocks: 0
; VGPRBlocks: 0
; NumSGPRsForWavesPerEU: 1
; NumVGPRsForWavesPerEU: 1
; NamedBarCnt: 0
; Occupancy: 16
; WaveLimiterHint : 0
; COMPUTE_PGM_RSRC2:SCRATCH_EN: 0
; COMPUTE_PGM_RSRC2:USER_SGPR: 2
; COMPUTE_PGM_RSRC2:TRAP_HANDLER: 0
; COMPUTE_PGM_RSRC2:TGID_X_EN: 1
; COMPUTE_PGM_RSRC2:TGID_Y_EN: 0
; COMPUTE_PGM_RSRC2:TGID_Z_EN: 0
; COMPUTE_PGM_RSRC2:TIDIG_COMP_CNT: 0
	.section	.text._ZN7rocprim17ROCPRIM_400000_NS6detail17trampoline_kernelINS0_14default_configENS1_38merge_sort_block_merge_config_selectorIjNS0_10empty_typeEEEZZNS1_27merge_sort_block_merge_implIS3_PjPS5_jNS1_19radix_merge_compareILb1ELb1EjNS0_19identity_decomposerEEEEE10hipError_tT0_T1_T2_jT3_P12ihipStream_tbPNSt15iterator_traitsISE_E10value_typeEPNSK_ISF_E10value_typeEPSG_NS1_7vsmem_tEENKUlT_SE_SF_SG_E_clIS8_S8_S9_S9_EESD_ST_SE_SF_SG_EUlST_E_NS1_11comp_targetILNS1_3genE5ELNS1_11target_archE942ELNS1_3gpuE9ELNS1_3repE0EEENS1_48merge_mergepath_partition_config_static_selectorELNS0_4arch9wavefront6targetE0EEEvSF_,"axG",@progbits,_ZN7rocprim17ROCPRIM_400000_NS6detail17trampoline_kernelINS0_14default_configENS1_38merge_sort_block_merge_config_selectorIjNS0_10empty_typeEEEZZNS1_27merge_sort_block_merge_implIS3_PjPS5_jNS1_19radix_merge_compareILb1ELb1EjNS0_19identity_decomposerEEEEE10hipError_tT0_T1_T2_jT3_P12ihipStream_tbPNSt15iterator_traitsISE_E10value_typeEPNSK_ISF_E10value_typeEPSG_NS1_7vsmem_tEENKUlT_SE_SF_SG_E_clIS8_S8_S9_S9_EESD_ST_SE_SF_SG_EUlST_E_NS1_11comp_targetILNS1_3genE5ELNS1_11target_archE942ELNS1_3gpuE9ELNS1_3repE0EEENS1_48merge_mergepath_partition_config_static_selectorELNS0_4arch9wavefront6targetE0EEEvSF_,comdat
	.protected	_ZN7rocprim17ROCPRIM_400000_NS6detail17trampoline_kernelINS0_14default_configENS1_38merge_sort_block_merge_config_selectorIjNS0_10empty_typeEEEZZNS1_27merge_sort_block_merge_implIS3_PjPS5_jNS1_19radix_merge_compareILb1ELb1EjNS0_19identity_decomposerEEEEE10hipError_tT0_T1_T2_jT3_P12ihipStream_tbPNSt15iterator_traitsISE_E10value_typeEPNSK_ISF_E10value_typeEPSG_NS1_7vsmem_tEENKUlT_SE_SF_SG_E_clIS8_S8_S9_S9_EESD_ST_SE_SF_SG_EUlST_E_NS1_11comp_targetILNS1_3genE5ELNS1_11target_archE942ELNS1_3gpuE9ELNS1_3repE0EEENS1_48merge_mergepath_partition_config_static_selectorELNS0_4arch9wavefront6targetE0EEEvSF_ ; -- Begin function _ZN7rocprim17ROCPRIM_400000_NS6detail17trampoline_kernelINS0_14default_configENS1_38merge_sort_block_merge_config_selectorIjNS0_10empty_typeEEEZZNS1_27merge_sort_block_merge_implIS3_PjPS5_jNS1_19radix_merge_compareILb1ELb1EjNS0_19identity_decomposerEEEEE10hipError_tT0_T1_T2_jT3_P12ihipStream_tbPNSt15iterator_traitsISE_E10value_typeEPNSK_ISF_E10value_typeEPSG_NS1_7vsmem_tEENKUlT_SE_SF_SG_E_clIS8_S8_S9_S9_EESD_ST_SE_SF_SG_EUlST_E_NS1_11comp_targetILNS1_3genE5ELNS1_11target_archE942ELNS1_3gpuE9ELNS1_3repE0EEENS1_48merge_mergepath_partition_config_static_selectorELNS0_4arch9wavefront6targetE0EEEvSF_
	.globl	_ZN7rocprim17ROCPRIM_400000_NS6detail17trampoline_kernelINS0_14default_configENS1_38merge_sort_block_merge_config_selectorIjNS0_10empty_typeEEEZZNS1_27merge_sort_block_merge_implIS3_PjPS5_jNS1_19radix_merge_compareILb1ELb1EjNS0_19identity_decomposerEEEEE10hipError_tT0_T1_T2_jT3_P12ihipStream_tbPNSt15iterator_traitsISE_E10value_typeEPNSK_ISF_E10value_typeEPSG_NS1_7vsmem_tEENKUlT_SE_SF_SG_E_clIS8_S8_S9_S9_EESD_ST_SE_SF_SG_EUlST_E_NS1_11comp_targetILNS1_3genE5ELNS1_11target_archE942ELNS1_3gpuE9ELNS1_3repE0EEENS1_48merge_mergepath_partition_config_static_selectorELNS0_4arch9wavefront6targetE0EEEvSF_
	.p2align	8
	.type	_ZN7rocprim17ROCPRIM_400000_NS6detail17trampoline_kernelINS0_14default_configENS1_38merge_sort_block_merge_config_selectorIjNS0_10empty_typeEEEZZNS1_27merge_sort_block_merge_implIS3_PjPS5_jNS1_19radix_merge_compareILb1ELb1EjNS0_19identity_decomposerEEEEE10hipError_tT0_T1_T2_jT3_P12ihipStream_tbPNSt15iterator_traitsISE_E10value_typeEPNSK_ISF_E10value_typeEPSG_NS1_7vsmem_tEENKUlT_SE_SF_SG_E_clIS8_S8_S9_S9_EESD_ST_SE_SF_SG_EUlST_E_NS1_11comp_targetILNS1_3genE5ELNS1_11target_archE942ELNS1_3gpuE9ELNS1_3repE0EEENS1_48merge_mergepath_partition_config_static_selectorELNS0_4arch9wavefront6targetE0EEEvSF_,@function
_ZN7rocprim17ROCPRIM_400000_NS6detail17trampoline_kernelINS0_14default_configENS1_38merge_sort_block_merge_config_selectorIjNS0_10empty_typeEEEZZNS1_27merge_sort_block_merge_implIS3_PjPS5_jNS1_19radix_merge_compareILb1ELb1EjNS0_19identity_decomposerEEEEE10hipError_tT0_T1_T2_jT3_P12ihipStream_tbPNSt15iterator_traitsISE_E10value_typeEPNSK_ISF_E10value_typeEPSG_NS1_7vsmem_tEENKUlT_SE_SF_SG_E_clIS8_S8_S9_S9_EESD_ST_SE_SF_SG_EUlST_E_NS1_11comp_targetILNS1_3genE5ELNS1_11target_archE942ELNS1_3gpuE9ELNS1_3repE0EEENS1_48merge_mergepath_partition_config_static_selectorELNS0_4arch9wavefront6targetE0EEEvSF_: ; @_ZN7rocprim17ROCPRIM_400000_NS6detail17trampoline_kernelINS0_14default_configENS1_38merge_sort_block_merge_config_selectorIjNS0_10empty_typeEEEZZNS1_27merge_sort_block_merge_implIS3_PjPS5_jNS1_19radix_merge_compareILb1ELb1EjNS0_19identity_decomposerEEEEE10hipError_tT0_T1_T2_jT3_P12ihipStream_tbPNSt15iterator_traitsISE_E10value_typeEPNSK_ISF_E10value_typeEPSG_NS1_7vsmem_tEENKUlT_SE_SF_SG_E_clIS8_S8_S9_S9_EESD_ST_SE_SF_SG_EUlST_E_NS1_11comp_targetILNS1_3genE5ELNS1_11target_archE942ELNS1_3gpuE9ELNS1_3repE0EEENS1_48merge_mergepath_partition_config_static_selectorELNS0_4arch9wavefront6targetE0EEEvSF_
; %bb.0:
	.section	.rodata,"a",@progbits
	.p2align	6, 0x0
	.amdhsa_kernel _ZN7rocprim17ROCPRIM_400000_NS6detail17trampoline_kernelINS0_14default_configENS1_38merge_sort_block_merge_config_selectorIjNS0_10empty_typeEEEZZNS1_27merge_sort_block_merge_implIS3_PjPS5_jNS1_19radix_merge_compareILb1ELb1EjNS0_19identity_decomposerEEEEE10hipError_tT0_T1_T2_jT3_P12ihipStream_tbPNSt15iterator_traitsISE_E10value_typeEPNSK_ISF_E10value_typeEPSG_NS1_7vsmem_tEENKUlT_SE_SF_SG_E_clIS8_S8_S9_S9_EESD_ST_SE_SF_SG_EUlST_E_NS1_11comp_targetILNS1_3genE5ELNS1_11target_archE942ELNS1_3gpuE9ELNS1_3repE0EEENS1_48merge_mergepath_partition_config_static_selectorELNS0_4arch9wavefront6targetE0EEEvSF_
		.amdhsa_group_segment_fixed_size 0
		.amdhsa_private_segment_fixed_size 0
		.amdhsa_kernarg_size 40
		.amdhsa_user_sgpr_count 2
		.amdhsa_user_sgpr_dispatch_ptr 0
		.amdhsa_user_sgpr_queue_ptr 0
		.amdhsa_user_sgpr_kernarg_segment_ptr 1
		.amdhsa_user_sgpr_dispatch_id 0
		.amdhsa_user_sgpr_kernarg_preload_length 0
		.amdhsa_user_sgpr_kernarg_preload_offset 0
		.amdhsa_user_sgpr_private_segment_size 0
		.amdhsa_wavefront_size32 1
		.amdhsa_uses_dynamic_stack 0
		.amdhsa_enable_private_segment 0
		.amdhsa_system_sgpr_workgroup_id_x 1
		.amdhsa_system_sgpr_workgroup_id_y 0
		.amdhsa_system_sgpr_workgroup_id_z 0
		.amdhsa_system_sgpr_workgroup_info 0
		.amdhsa_system_vgpr_workitem_id 0
		.amdhsa_next_free_vgpr 1
		.amdhsa_next_free_sgpr 1
		.amdhsa_named_barrier_count 0
		.amdhsa_reserve_vcc 0
		.amdhsa_float_round_mode_32 0
		.amdhsa_float_round_mode_16_64 0
		.amdhsa_float_denorm_mode_32 3
		.amdhsa_float_denorm_mode_16_64 3
		.amdhsa_fp16_overflow 0
		.amdhsa_memory_ordered 1
		.amdhsa_forward_progress 1
		.amdhsa_inst_pref_size 0
		.amdhsa_round_robin_scheduling 0
		.amdhsa_exception_fp_ieee_invalid_op 0
		.amdhsa_exception_fp_denorm_src 0
		.amdhsa_exception_fp_ieee_div_zero 0
		.amdhsa_exception_fp_ieee_overflow 0
		.amdhsa_exception_fp_ieee_underflow 0
		.amdhsa_exception_fp_ieee_inexact 0
		.amdhsa_exception_int_div_zero 0
	.end_amdhsa_kernel
	.section	.text._ZN7rocprim17ROCPRIM_400000_NS6detail17trampoline_kernelINS0_14default_configENS1_38merge_sort_block_merge_config_selectorIjNS0_10empty_typeEEEZZNS1_27merge_sort_block_merge_implIS3_PjPS5_jNS1_19radix_merge_compareILb1ELb1EjNS0_19identity_decomposerEEEEE10hipError_tT0_T1_T2_jT3_P12ihipStream_tbPNSt15iterator_traitsISE_E10value_typeEPNSK_ISF_E10value_typeEPSG_NS1_7vsmem_tEENKUlT_SE_SF_SG_E_clIS8_S8_S9_S9_EESD_ST_SE_SF_SG_EUlST_E_NS1_11comp_targetILNS1_3genE5ELNS1_11target_archE942ELNS1_3gpuE9ELNS1_3repE0EEENS1_48merge_mergepath_partition_config_static_selectorELNS0_4arch9wavefront6targetE0EEEvSF_,"axG",@progbits,_ZN7rocprim17ROCPRIM_400000_NS6detail17trampoline_kernelINS0_14default_configENS1_38merge_sort_block_merge_config_selectorIjNS0_10empty_typeEEEZZNS1_27merge_sort_block_merge_implIS3_PjPS5_jNS1_19radix_merge_compareILb1ELb1EjNS0_19identity_decomposerEEEEE10hipError_tT0_T1_T2_jT3_P12ihipStream_tbPNSt15iterator_traitsISE_E10value_typeEPNSK_ISF_E10value_typeEPSG_NS1_7vsmem_tEENKUlT_SE_SF_SG_E_clIS8_S8_S9_S9_EESD_ST_SE_SF_SG_EUlST_E_NS1_11comp_targetILNS1_3genE5ELNS1_11target_archE942ELNS1_3gpuE9ELNS1_3repE0EEENS1_48merge_mergepath_partition_config_static_selectorELNS0_4arch9wavefront6targetE0EEEvSF_,comdat
.Lfunc_end2585:
	.size	_ZN7rocprim17ROCPRIM_400000_NS6detail17trampoline_kernelINS0_14default_configENS1_38merge_sort_block_merge_config_selectorIjNS0_10empty_typeEEEZZNS1_27merge_sort_block_merge_implIS3_PjPS5_jNS1_19radix_merge_compareILb1ELb1EjNS0_19identity_decomposerEEEEE10hipError_tT0_T1_T2_jT3_P12ihipStream_tbPNSt15iterator_traitsISE_E10value_typeEPNSK_ISF_E10value_typeEPSG_NS1_7vsmem_tEENKUlT_SE_SF_SG_E_clIS8_S8_S9_S9_EESD_ST_SE_SF_SG_EUlST_E_NS1_11comp_targetILNS1_3genE5ELNS1_11target_archE942ELNS1_3gpuE9ELNS1_3repE0EEENS1_48merge_mergepath_partition_config_static_selectorELNS0_4arch9wavefront6targetE0EEEvSF_, .Lfunc_end2585-_ZN7rocprim17ROCPRIM_400000_NS6detail17trampoline_kernelINS0_14default_configENS1_38merge_sort_block_merge_config_selectorIjNS0_10empty_typeEEEZZNS1_27merge_sort_block_merge_implIS3_PjPS5_jNS1_19radix_merge_compareILb1ELb1EjNS0_19identity_decomposerEEEEE10hipError_tT0_T1_T2_jT3_P12ihipStream_tbPNSt15iterator_traitsISE_E10value_typeEPNSK_ISF_E10value_typeEPSG_NS1_7vsmem_tEENKUlT_SE_SF_SG_E_clIS8_S8_S9_S9_EESD_ST_SE_SF_SG_EUlST_E_NS1_11comp_targetILNS1_3genE5ELNS1_11target_archE942ELNS1_3gpuE9ELNS1_3repE0EEENS1_48merge_mergepath_partition_config_static_selectorELNS0_4arch9wavefront6targetE0EEEvSF_
                                        ; -- End function
	.set _ZN7rocprim17ROCPRIM_400000_NS6detail17trampoline_kernelINS0_14default_configENS1_38merge_sort_block_merge_config_selectorIjNS0_10empty_typeEEEZZNS1_27merge_sort_block_merge_implIS3_PjPS5_jNS1_19radix_merge_compareILb1ELb1EjNS0_19identity_decomposerEEEEE10hipError_tT0_T1_T2_jT3_P12ihipStream_tbPNSt15iterator_traitsISE_E10value_typeEPNSK_ISF_E10value_typeEPSG_NS1_7vsmem_tEENKUlT_SE_SF_SG_E_clIS8_S8_S9_S9_EESD_ST_SE_SF_SG_EUlST_E_NS1_11comp_targetILNS1_3genE5ELNS1_11target_archE942ELNS1_3gpuE9ELNS1_3repE0EEENS1_48merge_mergepath_partition_config_static_selectorELNS0_4arch9wavefront6targetE0EEEvSF_.num_vgpr, 0
	.set _ZN7rocprim17ROCPRIM_400000_NS6detail17trampoline_kernelINS0_14default_configENS1_38merge_sort_block_merge_config_selectorIjNS0_10empty_typeEEEZZNS1_27merge_sort_block_merge_implIS3_PjPS5_jNS1_19radix_merge_compareILb1ELb1EjNS0_19identity_decomposerEEEEE10hipError_tT0_T1_T2_jT3_P12ihipStream_tbPNSt15iterator_traitsISE_E10value_typeEPNSK_ISF_E10value_typeEPSG_NS1_7vsmem_tEENKUlT_SE_SF_SG_E_clIS8_S8_S9_S9_EESD_ST_SE_SF_SG_EUlST_E_NS1_11comp_targetILNS1_3genE5ELNS1_11target_archE942ELNS1_3gpuE9ELNS1_3repE0EEENS1_48merge_mergepath_partition_config_static_selectorELNS0_4arch9wavefront6targetE0EEEvSF_.num_agpr, 0
	.set _ZN7rocprim17ROCPRIM_400000_NS6detail17trampoline_kernelINS0_14default_configENS1_38merge_sort_block_merge_config_selectorIjNS0_10empty_typeEEEZZNS1_27merge_sort_block_merge_implIS3_PjPS5_jNS1_19radix_merge_compareILb1ELb1EjNS0_19identity_decomposerEEEEE10hipError_tT0_T1_T2_jT3_P12ihipStream_tbPNSt15iterator_traitsISE_E10value_typeEPNSK_ISF_E10value_typeEPSG_NS1_7vsmem_tEENKUlT_SE_SF_SG_E_clIS8_S8_S9_S9_EESD_ST_SE_SF_SG_EUlST_E_NS1_11comp_targetILNS1_3genE5ELNS1_11target_archE942ELNS1_3gpuE9ELNS1_3repE0EEENS1_48merge_mergepath_partition_config_static_selectorELNS0_4arch9wavefront6targetE0EEEvSF_.numbered_sgpr, 0
	.set _ZN7rocprim17ROCPRIM_400000_NS6detail17trampoline_kernelINS0_14default_configENS1_38merge_sort_block_merge_config_selectorIjNS0_10empty_typeEEEZZNS1_27merge_sort_block_merge_implIS3_PjPS5_jNS1_19radix_merge_compareILb1ELb1EjNS0_19identity_decomposerEEEEE10hipError_tT0_T1_T2_jT3_P12ihipStream_tbPNSt15iterator_traitsISE_E10value_typeEPNSK_ISF_E10value_typeEPSG_NS1_7vsmem_tEENKUlT_SE_SF_SG_E_clIS8_S8_S9_S9_EESD_ST_SE_SF_SG_EUlST_E_NS1_11comp_targetILNS1_3genE5ELNS1_11target_archE942ELNS1_3gpuE9ELNS1_3repE0EEENS1_48merge_mergepath_partition_config_static_selectorELNS0_4arch9wavefront6targetE0EEEvSF_.num_named_barrier, 0
	.set _ZN7rocprim17ROCPRIM_400000_NS6detail17trampoline_kernelINS0_14default_configENS1_38merge_sort_block_merge_config_selectorIjNS0_10empty_typeEEEZZNS1_27merge_sort_block_merge_implIS3_PjPS5_jNS1_19radix_merge_compareILb1ELb1EjNS0_19identity_decomposerEEEEE10hipError_tT0_T1_T2_jT3_P12ihipStream_tbPNSt15iterator_traitsISE_E10value_typeEPNSK_ISF_E10value_typeEPSG_NS1_7vsmem_tEENKUlT_SE_SF_SG_E_clIS8_S8_S9_S9_EESD_ST_SE_SF_SG_EUlST_E_NS1_11comp_targetILNS1_3genE5ELNS1_11target_archE942ELNS1_3gpuE9ELNS1_3repE0EEENS1_48merge_mergepath_partition_config_static_selectorELNS0_4arch9wavefront6targetE0EEEvSF_.private_seg_size, 0
	.set _ZN7rocprim17ROCPRIM_400000_NS6detail17trampoline_kernelINS0_14default_configENS1_38merge_sort_block_merge_config_selectorIjNS0_10empty_typeEEEZZNS1_27merge_sort_block_merge_implIS3_PjPS5_jNS1_19radix_merge_compareILb1ELb1EjNS0_19identity_decomposerEEEEE10hipError_tT0_T1_T2_jT3_P12ihipStream_tbPNSt15iterator_traitsISE_E10value_typeEPNSK_ISF_E10value_typeEPSG_NS1_7vsmem_tEENKUlT_SE_SF_SG_E_clIS8_S8_S9_S9_EESD_ST_SE_SF_SG_EUlST_E_NS1_11comp_targetILNS1_3genE5ELNS1_11target_archE942ELNS1_3gpuE9ELNS1_3repE0EEENS1_48merge_mergepath_partition_config_static_selectorELNS0_4arch9wavefront6targetE0EEEvSF_.uses_vcc, 0
	.set _ZN7rocprim17ROCPRIM_400000_NS6detail17trampoline_kernelINS0_14default_configENS1_38merge_sort_block_merge_config_selectorIjNS0_10empty_typeEEEZZNS1_27merge_sort_block_merge_implIS3_PjPS5_jNS1_19radix_merge_compareILb1ELb1EjNS0_19identity_decomposerEEEEE10hipError_tT0_T1_T2_jT3_P12ihipStream_tbPNSt15iterator_traitsISE_E10value_typeEPNSK_ISF_E10value_typeEPSG_NS1_7vsmem_tEENKUlT_SE_SF_SG_E_clIS8_S8_S9_S9_EESD_ST_SE_SF_SG_EUlST_E_NS1_11comp_targetILNS1_3genE5ELNS1_11target_archE942ELNS1_3gpuE9ELNS1_3repE0EEENS1_48merge_mergepath_partition_config_static_selectorELNS0_4arch9wavefront6targetE0EEEvSF_.uses_flat_scratch, 0
	.set _ZN7rocprim17ROCPRIM_400000_NS6detail17trampoline_kernelINS0_14default_configENS1_38merge_sort_block_merge_config_selectorIjNS0_10empty_typeEEEZZNS1_27merge_sort_block_merge_implIS3_PjPS5_jNS1_19radix_merge_compareILb1ELb1EjNS0_19identity_decomposerEEEEE10hipError_tT0_T1_T2_jT3_P12ihipStream_tbPNSt15iterator_traitsISE_E10value_typeEPNSK_ISF_E10value_typeEPSG_NS1_7vsmem_tEENKUlT_SE_SF_SG_E_clIS8_S8_S9_S9_EESD_ST_SE_SF_SG_EUlST_E_NS1_11comp_targetILNS1_3genE5ELNS1_11target_archE942ELNS1_3gpuE9ELNS1_3repE0EEENS1_48merge_mergepath_partition_config_static_selectorELNS0_4arch9wavefront6targetE0EEEvSF_.has_dyn_sized_stack, 0
	.set _ZN7rocprim17ROCPRIM_400000_NS6detail17trampoline_kernelINS0_14default_configENS1_38merge_sort_block_merge_config_selectorIjNS0_10empty_typeEEEZZNS1_27merge_sort_block_merge_implIS3_PjPS5_jNS1_19radix_merge_compareILb1ELb1EjNS0_19identity_decomposerEEEEE10hipError_tT0_T1_T2_jT3_P12ihipStream_tbPNSt15iterator_traitsISE_E10value_typeEPNSK_ISF_E10value_typeEPSG_NS1_7vsmem_tEENKUlT_SE_SF_SG_E_clIS8_S8_S9_S9_EESD_ST_SE_SF_SG_EUlST_E_NS1_11comp_targetILNS1_3genE5ELNS1_11target_archE942ELNS1_3gpuE9ELNS1_3repE0EEENS1_48merge_mergepath_partition_config_static_selectorELNS0_4arch9wavefront6targetE0EEEvSF_.has_recursion, 0
	.set _ZN7rocprim17ROCPRIM_400000_NS6detail17trampoline_kernelINS0_14default_configENS1_38merge_sort_block_merge_config_selectorIjNS0_10empty_typeEEEZZNS1_27merge_sort_block_merge_implIS3_PjPS5_jNS1_19radix_merge_compareILb1ELb1EjNS0_19identity_decomposerEEEEE10hipError_tT0_T1_T2_jT3_P12ihipStream_tbPNSt15iterator_traitsISE_E10value_typeEPNSK_ISF_E10value_typeEPSG_NS1_7vsmem_tEENKUlT_SE_SF_SG_E_clIS8_S8_S9_S9_EESD_ST_SE_SF_SG_EUlST_E_NS1_11comp_targetILNS1_3genE5ELNS1_11target_archE942ELNS1_3gpuE9ELNS1_3repE0EEENS1_48merge_mergepath_partition_config_static_selectorELNS0_4arch9wavefront6targetE0EEEvSF_.has_indirect_call, 0
	.section	.AMDGPU.csdata,"",@progbits
; Kernel info:
; codeLenInByte = 0
; TotalNumSgprs: 0
; NumVgprs: 0
; ScratchSize: 0
; MemoryBound: 0
; FloatMode: 240
; IeeeMode: 1
; LDSByteSize: 0 bytes/workgroup (compile time only)
; SGPRBlocks: 0
; VGPRBlocks: 0
; NumSGPRsForWavesPerEU: 1
; NumVGPRsForWavesPerEU: 1
; NamedBarCnt: 0
; Occupancy: 16
; WaveLimiterHint : 0
; COMPUTE_PGM_RSRC2:SCRATCH_EN: 0
; COMPUTE_PGM_RSRC2:USER_SGPR: 2
; COMPUTE_PGM_RSRC2:TRAP_HANDLER: 0
; COMPUTE_PGM_RSRC2:TGID_X_EN: 1
; COMPUTE_PGM_RSRC2:TGID_Y_EN: 0
; COMPUTE_PGM_RSRC2:TGID_Z_EN: 0
; COMPUTE_PGM_RSRC2:TIDIG_COMP_CNT: 0
	.section	.text._ZN7rocprim17ROCPRIM_400000_NS6detail17trampoline_kernelINS0_14default_configENS1_38merge_sort_block_merge_config_selectorIjNS0_10empty_typeEEEZZNS1_27merge_sort_block_merge_implIS3_PjPS5_jNS1_19radix_merge_compareILb1ELb1EjNS0_19identity_decomposerEEEEE10hipError_tT0_T1_T2_jT3_P12ihipStream_tbPNSt15iterator_traitsISE_E10value_typeEPNSK_ISF_E10value_typeEPSG_NS1_7vsmem_tEENKUlT_SE_SF_SG_E_clIS8_S8_S9_S9_EESD_ST_SE_SF_SG_EUlST_E_NS1_11comp_targetILNS1_3genE4ELNS1_11target_archE910ELNS1_3gpuE8ELNS1_3repE0EEENS1_48merge_mergepath_partition_config_static_selectorELNS0_4arch9wavefront6targetE0EEEvSF_,"axG",@progbits,_ZN7rocprim17ROCPRIM_400000_NS6detail17trampoline_kernelINS0_14default_configENS1_38merge_sort_block_merge_config_selectorIjNS0_10empty_typeEEEZZNS1_27merge_sort_block_merge_implIS3_PjPS5_jNS1_19radix_merge_compareILb1ELb1EjNS0_19identity_decomposerEEEEE10hipError_tT0_T1_T2_jT3_P12ihipStream_tbPNSt15iterator_traitsISE_E10value_typeEPNSK_ISF_E10value_typeEPSG_NS1_7vsmem_tEENKUlT_SE_SF_SG_E_clIS8_S8_S9_S9_EESD_ST_SE_SF_SG_EUlST_E_NS1_11comp_targetILNS1_3genE4ELNS1_11target_archE910ELNS1_3gpuE8ELNS1_3repE0EEENS1_48merge_mergepath_partition_config_static_selectorELNS0_4arch9wavefront6targetE0EEEvSF_,comdat
	.protected	_ZN7rocprim17ROCPRIM_400000_NS6detail17trampoline_kernelINS0_14default_configENS1_38merge_sort_block_merge_config_selectorIjNS0_10empty_typeEEEZZNS1_27merge_sort_block_merge_implIS3_PjPS5_jNS1_19radix_merge_compareILb1ELb1EjNS0_19identity_decomposerEEEEE10hipError_tT0_T1_T2_jT3_P12ihipStream_tbPNSt15iterator_traitsISE_E10value_typeEPNSK_ISF_E10value_typeEPSG_NS1_7vsmem_tEENKUlT_SE_SF_SG_E_clIS8_S8_S9_S9_EESD_ST_SE_SF_SG_EUlST_E_NS1_11comp_targetILNS1_3genE4ELNS1_11target_archE910ELNS1_3gpuE8ELNS1_3repE0EEENS1_48merge_mergepath_partition_config_static_selectorELNS0_4arch9wavefront6targetE0EEEvSF_ ; -- Begin function _ZN7rocprim17ROCPRIM_400000_NS6detail17trampoline_kernelINS0_14default_configENS1_38merge_sort_block_merge_config_selectorIjNS0_10empty_typeEEEZZNS1_27merge_sort_block_merge_implIS3_PjPS5_jNS1_19radix_merge_compareILb1ELb1EjNS0_19identity_decomposerEEEEE10hipError_tT0_T1_T2_jT3_P12ihipStream_tbPNSt15iterator_traitsISE_E10value_typeEPNSK_ISF_E10value_typeEPSG_NS1_7vsmem_tEENKUlT_SE_SF_SG_E_clIS8_S8_S9_S9_EESD_ST_SE_SF_SG_EUlST_E_NS1_11comp_targetILNS1_3genE4ELNS1_11target_archE910ELNS1_3gpuE8ELNS1_3repE0EEENS1_48merge_mergepath_partition_config_static_selectorELNS0_4arch9wavefront6targetE0EEEvSF_
	.globl	_ZN7rocprim17ROCPRIM_400000_NS6detail17trampoline_kernelINS0_14default_configENS1_38merge_sort_block_merge_config_selectorIjNS0_10empty_typeEEEZZNS1_27merge_sort_block_merge_implIS3_PjPS5_jNS1_19radix_merge_compareILb1ELb1EjNS0_19identity_decomposerEEEEE10hipError_tT0_T1_T2_jT3_P12ihipStream_tbPNSt15iterator_traitsISE_E10value_typeEPNSK_ISF_E10value_typeEPSG_NS1_7vsmem_tEENKUlT_SE_SF_SG_E_clIS8_S8_S9_S9_EESD_ST_SE_SF_SG_EUlST_E_NS1_11comp_targetILNS1_3genE4ELNS1_11target_archE910ELNS1_3gpuE8ELNS1_3repE0EEENS1_48merge_mergepath_partition_config_static_selectorELNS0_4arch9wavefront6targetE0EEEvSF_
	.p2align	8
	.type	_ZN7rocprim17ROCPRIM_400000_NS6detail17trampoline_kernelINS0_14default_configENS1_38merge_sort_block_merge_config_selectorIjNS0_10empty_typeEEEZZNS1_27merge_sort_block_merge_implIS3_PjPS5_jNS1_19radix_merge_compareILb1ELb1EjNS0_19identity_decomposerEEEEE10hipError_tT0_T1_T2_jT3_P12ihipStream_tbPNSt15iterator_traitsISE_E10value_typeEPNSK_ISF_E10value_typeEPSG_NS1_7vsmem_tEENKUlT_SE_SF_SG_E_clIS8_S8_S9_S9_EESD_ST_SE_SF_SG_EUlST_E_NS1_11comp_targetILNS1_3genE4ELNS1_11target_archE910ELNS1_3gpuE8ELNS1_3repE0EEENS1_48merge_mergepath_partition_config_static_selectorELNS0_4arch9wavefront6targetE0EEEvSF_,@function
_ZN7rocprim17ROCPRIM_400000_NS6detail17trampoline_kernelINS0_14default_configENS1_38merge_sort_block_merge_config_selectorIjNS0_10empty_typeEEEZZNS1_27merge_sort_block_merge_implIS3_PjPS5_jNS1_19radix_merge_compareILb1ELb1EjNS0_19identity_decomposerEEEEE10hipError_tT0_T1_T2_jT3_P12ihipStream_tbPNSt15iterator_traitsISE_E10value_typeEPNSK_ISF_E10value_typeEPSG_NS1_7vsmem_tEENKUlT_SE_SF_SG_E_clIS8_S8_S9_S9_EESD_ST_SE_SF_SG_EUlST_E_NS1_11comp_targetILNS1_3genE4ELNS1_11target_archE910ELNS1_3gpuE8ELNS1_3repE0EEENS1_48merge_mergepath_partition_config_static_selectorELNS0_4arch9wavefront6targetE0EEEvSF_: ; @_ZN7rocprim17ROCPRIM_400000_NS6detail17trampoline_kernelINS0_14default_configENS1_38merge_sort_block_merge_config_selectorIjNS0_10empty_typeEEEZZNS1_27merge_sort_block_merge_implIS3_PjPS5_jNS1_19radix_merge_compareILb1ELb1EjNS0_19identity_decomposerEEEEE10hipError_tT0_T1_T2_jT3_P12ihipStream_tbPNSt15iterator_traitsISE_E10value_typeEPNSK_ISF_E10value_typeEPSG_NS1_7vsmem_tEENKUlT_SE_SF_SG_E_clIS8_S8_S9_S9_EESD_ST_SE_SF_SG_EUlST_E_NS1_11comp_targetILNS1_3genE4ELNS1_11target_archE910ELNS1_3gpuE8ELNS1_3repE0EEENS1_48merge_mergepath_partition_config_static_selectorELNS0_4arch9wavefront6targetE0EEEvSF_
; %bb.0:
	.section	.rodata,"a",@progbits
	.p2align	6, 0x0
	.amdhsa_kernel _ZN7rocprim17ROCPRIM_400000_NS6detail17trampoline_kernelINS0_14default_configENS1_38merge_sort_block_merge_config_selectorIjNS0_10empty_typeEEEZZNS1_27merge_sort_block_merge_implIS3_PjPS5_jNS1_19radix_merge_compareILb1ELb1EjNS0_19identity_decomposerEEEEE10hipError_tT0_T1_T2_jT3_P12ihipStream_tbPNSt15iterator_traitsISE_E10value_typeEPNSK_ISF_E10value_typeEPSG_NS1_7vsmem_tEENKUlT_SE_SF_SG_E_clIS8_S8_S9_S9_EESD_ST_SE_SF_SG_EUlST_E_NS1_11comp_targetILNS1_3genE4ELNS1_11target_archE910ELNS1_3gpuE8ELNS1_3repE0EEENS1_48merge_mergepath_partition_config_static_selectorELNS0_4arch9wavefront6targetE0EEEvSF_
		.amdhsa_group_segment_fixed_size 0
		.amdhsa_private_segment_fixed_size 0
		.amdhsa_kernarg_size 40
		.amdhsa_user_sgpr_count 2
		.amdhsa_user_sgpr_dispatch_ptr 0
		.amdhsa_user_sgpr_queue_ptr 0
		.amdhsa_user_sgpr_kernarg_segment_ptr 1
		.amdhsa_user_sgpr_dispatch_id 0
		.amdhsa_user_sgpr_kernarg_preload_length 0
		.amdhsa_user_sgpr_kernarg_preload_offset 0
		.amdhsa_user_sgpr_private_segment_size 0
		.amdhsa_wavefront_size32 1
		.amdhsa_uses_dynamic_stack 0
		.amdhsa_enable_private_segment 0
		.amdhsa_system_sgpr_workgroup_id_x 1
		.amdhsa_system_sgpr_workgroup_id_y 0
		.amdhsa_system_sgpr_workgroup_id_z 0
		.amdhsa_system_sgpr_workgroup_info 0
		.amdhsa_system_vgpr_workitem_id 0
		.amdhsa_next_free_vgpr 1
		.amdhsa_next_free_sgpr 1
		.amdhsa_named_barrier_count 0
		.amdhsa_reserve_vcc 0
		.amdhsa_float_round_mode_32 0
		.amdhsa_float_round_mode_16_64 0
		.amdhsa_float_denorm_mode_32 3
		.amdhsa_float_denorm_mode_16_64 3
		.amdhsa_fp16_overflow 0
		.amdhsa_memory_ordered 1
		.amdhsa_forward_progress 1
		.amdhsa_inst_pref_size 0
		.amdhsa_round_robin_scheduling 0
		.amdhsa_exception_fp_ieee_invalid_op 0
		.amdhsa_exception_fp_denorm_src 0
		.amdhsa_exception_fp_ieee_div_zero 0
		.amdhsa_exception_fp_ieee_overflow 0
		.amdhsa_exception_fp_ieee_underflow 0
		.amdhsa_exception_fp_ieee_inexact 0
		.amdhsa_exception_int_div_zero 0
	.end_amdhsa_kernel
	.section	.text._ZN7rocprim17ROCPRIM_400000_NS6detail17trampoline_kernelINS0_14default_configENS1_38merge_sort_block_merge_config_selectorIjNS0_10empty_typeEEEZZNS1_27merge_sort_block_merge_implIS3_PjPS5_jNS1_19radix_merge_compareILb1ELb1EjNS0_19identity_decomposerEEEEE10hipError_tT0_T1_T2_jT3_P12ihipStream_tbPNSt15iterator_traitsISE_E10value_typeEPNSK_ISF_E10value_typeEPSG_NS1_7vsmem_tEENKUlT_SE_SF_SG_E_clIS8_S8_S9_S9_EESD_ST_SE_SF_SG_EUlST_E_NS1_11comp_targetILNS1_3genE4ELNS1_11target_archE910ELNS1_3gpuE8ELNS1_3repE0EEENS1_48merge_mergepath_partition_config_static_selectorELNS0_4arch9wavefront6targetE0EEEvSF_,"axG",@progbits,_ZN7rocprim17ROCPRIM_400000_NS6detail17trampoline_kernelINS0_14default_configENS1_38merge_sort_block_merge_config_selectorIjNS0_10empty_typeEEEZZNS1_27merge_sort_block_merge_implIS3_PjPS5_jNS1_19radix_merge_compareILb1ELb1EjNS0_19identity_decomposerEEEEE10hipError_tT0_T1_T2_jT3_P12ihipStream_tbPNSt15iterator_traitsISE_E10value_typeEPNSK_ISF_E10value_typeEPSG_NS1_7vsmem_tEENKUlT_SE_SF_SG_E_clIS8_S8_S9_S9_EESD_ST_SE_SF_SG_EUlST_E_NS1_11comp_targetILNS1_3genE4ELNS1_11target_archE910ELNS1_3gpuE8ELNS1_3repE0EEENS1_48merge_mergepath_partition_config_static_selectorELNS0_4arch9wavefront6targetE0EEEvSF_,comdat
.Lfunc_end2586:
	.size	_ZN7rocprim17ROCPRIM_400000_NS6detail17trampoline_kernelINS0_14default_configENS1_38merge_sort_block_merge_config_selectorIjNS0_10empty_typeEEEZZNS1_27merge_sort_block_merge_implIS3_PjPS5_jNS1_19radix_merge_compareILb1ELb1EjNS0_19identity_decomposerEEEEE10hipError_tT0_T1_T2_jT3_P12ihipStream_tbPNSt15iterator_traitsISE_E10value_typeEPNSK_ISF_E10value_typeEPSG_NS1_7vsmem_tEENKUlT_SE_SF_SG_E_clIS8_S8_S9_S9_EESD_ST_SE_SF_SG_EUlST_E_NS1_11comp_targetILNS1_3genE4ELNS1_11target_archE910ELNS1_3gpuE8ELNS1_3repE0EEENS1_48merge_mergepath_partition_config_static_selectorELNS0_4arch9wavefront6targetE0EEEvSF_, .Lfunc_end2586-_ZN7rocprim17ROCPRIM_400000_NS6detail17trampoline_kernelINS0_14default_configENS1_38merge_sort_block_merge_config_selectorIjNS0_10empty_typeEEEZZNS1_27merge_sort_block_merge_implIS3_PjPS5_jNS1_19radix_merge_compareILb1ELb1EjNS0_19identity_decomposerEEEEE10hipError_tT0_T1_T2_jT3_P12ihipStream_tbPNSt15iterator_traitsISE_E10value_typeEPNSK_ISF_E10value_typeEPSG_NS1_7vsmem_tEENKUlT_SE_SF_SG_E_clIS8_S8_S9_S9_EESD_ST_SE_SF_SG_EUlST_E_NS1_11comp_targetILNS1_3genE4ELNS1_11target_archE910ELNS1_3gpuE8ELNS1_3repE0EEENS1_48merge_mergepath_partition_config_static_selectorELNS0_4arch9wavefront6targetE0EEEvSF_
                                        ; -- End function
	.set _ZN7rocprim17ROCPRIM_400000_NS6detail17trampoline_kernelINS0_14default_configENS1_38merge_sort_block_merge_config_selectorIjNS0_10empty_typeEEEZZNS1_27merge_sort_block_merge_implIS3_PjPS5_jNS1_19radix_merge_compareILb1ELb1EjNS0_19identity_decomposerEEEEE10hipError_tT0_T1_T2_jT3_P12ihipStream_tbPNSt15iterator_traitsISE_E10value_typeEPNSK_ISF_E10value_typeEPSG_NS1_7vsmem_tEENKUlT_SE_SF_SG_E_clIS8_S8_S9_S9_EESD_ST_SE_SF_SG_EUlST_E_NS1_11comp_targetILNS1_3genE4ELNS1_11target_archE910ELNS1_3gpuE8ELNS1_3repE0EEENS1_48merge_mergepath_partition_config_static_selectorELNS0_4arch9wavefront6targetE0EEEvSF_.num_vgpr, 0
	.set _ZN7rocprim17ROCPRIM_400000_NS6detail17trampoline_kernelINS0_14default_configENS1_38merge_sort_block_merge_config_selectorIjNS0_10empty_typeEEEZZNS1_27merge_sort_block_merge_implIS3_PjPS5_jNS1_19radix_merge_compareILb1ELb1EjNS0_19identity_decomposerEEEEE10hipError_tT0_T1_T2_jT3_P12ihipStream_tbPNSt15iterator_traitsISE_E10value_typeEPNSK_ISF_E10value_typeEPSG_NS1_7vsmem_tEENKUlT_SE_SF_SG_E_clIS8_S8_S9_S9_EESD_ST_SE_SF_SG_EUlST_E_NS1_11comp_targetILNS1_3genE4ELNS1_11target_archE910ELNS1_3gpuE8ELNS1_3repE0EEENS1_48merge_mergepath_partition_config_static_selectorELNS0_4arch9wavefront6targetE0EEEvSF_.num_agpr, 0
	.set _ZN7rocprim17ROCPRIM_400000_NS6detail17trampoline_kernelINS0_14default_configENS1_38merge_sort_block_merge_config_selectorIjNS0_10empty_typeEEEZZNS1_27merge_sort_block_merge_implIS3_PjPS5_jNS1_19radix_merge_compareILb1ELb1EjNS0_19identity_decomposerEEEEE10hipError_tT0_T1_T2_jT3_P12ihipStream_tbPNSt15iterator_traitsISE_E10value_typeEPNSK_ISF_E10value_typeEPSG_NS1_7vsmem_tEENKUlT_SE_SF_SG_E_clIS8_S8_S9_S9_EESD_ST_SE_SF_SG_EUlST_E_NS1_11comp_targetILNS1_3genE4ELNS1_11target_archE910ELNS1_3gpuE8ELNS1_3repE0EEENS1_48merge_mergepath_partition_config_static_selectorELNS0_4arch9wavefront6targetE0EEEvSF_.numbered_sgpr, 0
	.set _ZN7rocprim17ROCPRIM_400000_NS6detail17trampoline_kernelINS0_14default_configENS1_38merge_sort_block_merge_config_selectorIjNS0_10empty_typeEEEZZNS1_27merge_sort_block_merge_implIS3_PjPS5_jNS1_19radix_merge_compareILb1ELb1EjNS0_19identity_decomposerEEEEE10hipError_tT0_T1_T2_jT3_P12ihipStream_tbPNSt15iterator_traitsISE_E10value_typeEPNSK_ISF_E10value_typeEPSG_NS1_7vsmem_tEENKUlT_SE_SF_SG_E_clIS8_S8_S9_S9_EESD_ST_SE_SF_SG_EUlST_E_NS1_11comp_targetILNS1_3genE4ELNS1_11target_archE910ELNS1_3gpuE8ELNS1_3repE0EEENS1_48merge_mergepath_partition_config_static_selectorELNS0_4arch9wavefront6targetE0EEEvSF_.num_named_barrier, 0
	.set _ZN7rocprim17ROCPRIM_400000_NS6detail17trampoline_kernelINS0_14default_configENS1_38merge_sort_block_merge_config_selectorIjNS0_10empty_typeEEEZZNS1_27merge_sort_block_merge_implIS3_PjPS5_jNS1_19radix_merge_compareILb1ELb1EjNS0_19identity_decomposerEEEEE10hipError_tT0_T1_T2_jT3_P12ihipStream_tbPNSt15iterator_traitsISE_E10value_typeEPNSK_ISF_E10value_typeEPSG_NS1_7vsmem_tEENKUlT_SE_SF_SG_E_clIS8_S8_S9_S9_EESD_ST_SE_SF_SG_EUlST_E_NS1_11comp_targetILNS1_3genE4ELNS1_11target_archE910ELNS1_3gpuE8ELNS1_3repE0EEENS1_48merge_mergepath_partition_config_static_selectorELNS0_4arch9wavefront6targetE0EEEvSF_.private_seg_size, 0
	.set _ZN7rocprim17ROCPRIM_400000_NS6detail17trampoline_kernelINS0_14default_configENS1_38merge_sort_block_merge_config_selectorIjNS0_10empty_typeEEEZZNS1_27merge_sort_block_merge_implIS3_PjPS5_jNS1_19radix_merge_compareILb1ELb1EjNS0_19identity_decomposerEEEEE10hipError_tT0_T1_T2_jT3_P12ihipStream_tbPNSt15iterator_traitsISE_E10value_typeEPNSK_ISF_E10value_typeEPSG_NS1_7vsmem_tEENKUlT_SE_SF_SG_E_clIS8_S8_S9_S9_EESD_ST_SE_SF_SG_EUlST_E_NS1_11comp_targetILNS1_3genE4ELNS1_11target_archE910ELNS1_3gpuE8ELNS1_3repE0EEENS1_48merge_mergepath_partition_config_static_selectorELNS0_4arch9wavefront6targetE0EEEvSF_.uses_vcc, 0
	.set _ZN7rocprim17ROCPRIM_400000_NS6detail17trampoline_kernelINS0_14default_configENS1_38merge_sort_block_merge_config_selectorIjNS0_10empty_typeEEEZZNS1_27merge_sort_block_merge_implIS3_PjPS5_jNS1_19radix_merge_compareILb1ELb1EjNS0_19identity_decomposerEEEEE10hipError_tT0_T1_T2_jT3_P12ihipStream_tbPNSt15iterator_traitsISE_E10value_typeEPNSK_ISF_E10value_typeEPSG_NS1_7vsmem_tEENKUlT_SE_SF_SG_E_clIS8_S8_S9_S9_EESD_ST_SE_SF_SG_EUlST_E_NS1_11comp_targetILNS1_3genE4ELNS1_11target_archE910ELNS1_3gpuE8ELNS1_3repE0EEENS1_48merge_mergepath_partition_config_static_selectorELNS0_4arch9wavefront6targetE0EEEvSF_.uses_flat_scratch, 0
	.set _ZN7rocprim17ROCPRIM_400000_NS6detail17trampoline_kernelINS0_14default_configENS1_38merge_sort_block_merge_config_selectorIjNS0_10empty_typeEEEZZNS1_27merge_sort_block_merge_implIS3_PjPS5_jNS1_19radix_merge_compareILb1ELb1EjNS0_19identity_decomposerEEEEE10hipError_tT0_T1_T2_jT3_P12ihipStream_tbPNSt15iterator_traitsISE_E10value_typeEPNSK_ISF_E10value_typeEPSG_NS1_7vsmem_tEENKUlT_SE_SF_SG_E_clIS8_S8_S9_S9_EESD_ST_SE_SF_SG_EUlST_E_NS1_11comp_targetILNS1_3genE4ELNS1_11target_archE910ELNS1_3gpuE8ELNS1_3repE0EEENS1_48merge_mergepath_partition_config_static_selectorELNS0_4arch9wavefront6targetE0EEEvSF_.has_dyn_sized_stack, 0
	.set _ZN7rocprim17ROCPRIM_400000_NS6detail17trampoline_kernelINS0_14default_configENS1_38merge_sort_block_merge_config_selectorIjNS0_10empty_typeEEEZZNS1_27merge_sort_block_merge_implIS3_PjPS5_jNS1_19radix_merge_compareILb1ELb1EjNS0_19identity_decomposerEEEEE10hipError_tT0_T1_T2_jT3_P12ihipStream_tbPNSt15iterator_traitsISE_E10value_typeEPNSK_ISF_E10value_typeEPSG_NS1_7vsmem_tEENKUlT_SE_SF_SG_E_clIS8_S8_S9_S9_EESD_ST_SE_SF_SG_EUlST_E_NS1_11comp_targetILNS1_3genE4ELNS1_11target_archE910ELNS1_3gpuE8ELNS1_3repE0EEENS1_48merge_mergepath_partition_config_static_selectorELNS0_4arch9wavefront6targetE0EEEvSF_.has_recursion, 0
	.set _ZN7rocprim17ROCPRIM_400000_NS6detail17trampoline_kernelINS0_14default_configENS1_38merge_sort_block_merge_config_selectorIjNS0_10empty_typeEEEZZNS1_27merge_sort_block_merge_implIS3_PjPS5_jNS1_19radix_merge_compareILb1ELb1EjNS0_19identity_decomposerEEEEE10hipError_tT0_T1_T2_jT3_P12ihipStream_tbPNSt15iterator_traitsISE_E10value_typeEPNSK_ISF_E10value_typeEPSG_NS1_7vsmem_tEENKUlT_SE_SF_SG_E_clIS8_S8_S9_S9_EESD_ST_SE_SF_SG_EUlST_E_NS1_11comp_targetILNS1_3genE4ELNS1_11target_archE910ELNS1_3gpuE8ELNS1_3repE0EEENS1_48merge_mergepath_partition_config_static_selectorELNS0_4arch9wavefront6targetE0EEEvSF_.has_indirect_call, 0
	.section	.AMDGPU.csdata,"",@progbits
; Kernel info:
; codeLenInByte = 0
; TotalNumSgprs: 0
; NumVgprs: 0
; ScratchSize: 0
; MemoryBound: 0
; FloatMode: 240
; IeeeMode: 1
; LDSByteSize: 0 bytes/workgroup (compile time only)
; SGPRBlocks: 0
; VGPRBlocks: 0
; NumSGPRsForWavesPerEU: 1
; NumVGPRsForWavesPerEU: 1
; NamedBarCnt: 0
; Occupancy: 16
; WaveLimiterHint : 0
; COMPUTE_PGM_RSRC2:SCRATCH_EN: 0
; COMPUTE_PGM_RSRC2:USER_SGPR: 2
; COMPUTE_PGM_RSRC2:TRAP_HANDLER: 0
; COMPUTE_PGM_RSRC2:TGID_X_EN: 1
; COMPUTE_PGM_RSRC2:TGID_Y_EN: 0
; COMPUTE_PGM_RSRC2:TGID_Z_EN: 0
; COMPUTE_PGM_RSRC2:TIDIG_COMP_CNT: 0
	.section	.text._ZN7rocprim17ROCPRIM_400000_NS6detail17trampoline_kernelINS0_14default_configENS1_38merge_sort_block_merge_config_selectorIjNS0_10empty_typeEEEZZNS1_27merge_sort_block_merge_implIS3_PjPS5_jNS1_19radix_merge_compareILb1ELb1EjNS0_19identity_decomposerEEEEE10hipError_tT0_T1_T2_jT3_P12ihipStream_tbPNSt15iterator_traitsISE_E10value_typeEPNSK_ISF_E10value_typeEPSG_NS1_7vsmem_tEENKUlT_SE_SF_SG_E_clIS8_S8_S9_S9_EESD_ST_SE_SF_SG_EUlST_E_NS1_11comp_targetILNS1_3genE3ELNS1_11target_archE908ELNS1_3gpuE7ELNS1_3repE0EEENS1_48merge_mergepath_partition_config_static_selectorELNS0_4arch9wavefront6targetE0EEEvSF_,"axG",@progbits,_ZN7rocprim17ROCPRIM_400000_NS6detail17trampoline_kernelINS0_14default_configENS1_38merge_sort_block_merge_config_selectorIjNS0_10empty_typeEEEZZNS1_27merge_sort_block_merge_implIS3_PjPS5_jNS1_19radix_merge_compareILb1ELb1EjNS0_19identity_decomposerEEEEE10hipError_tT0_T1_T2_jT3_P12ihipStream_tbPNSt15iterator_traitsISE_E10value_typeEPNSK_ISF_E10value_typeEPSG_NS1_7vsmem_tEENKUlT_SE_SF_SG_E_clIS8_S8_S9_S9_EESD_ST_SE_SF_SG_EUlST_E_NS1_11comp_targetILNS1_3genE3ELNS1_11target_archE908ELNS1_3gpuE7ELNS1_3repE0EEENS1_48merge_mergepath_partition_config_static_selectorELNS0_4arch9wavefront6targetE0EEEvSF_,comdat
	.protected	_ZN7rocprim17ROCPRIM_400000_NS6detail17trampoline_kernelINS0_14default_configENS1_38merge_sort_block_merge_config_selectorIjNS0_10empty_typeEEEZZNS1_27merge_sort_block_merge_implIS3_PjPS5_jNS1_19radix_merge_compareILb1ELb1EjNS0_19identity_decomposerEEEEE10hipError_tT0_T1_T2_jT3_P12ihipStream_tbPNSt15iterator_traitsISE_E10value_typeEPNSK_ISF_E10value_typeEPSG_NS1_7vsmem_tEENKUlT_SE_SF_SG_E_clIS8_S8_S9_S9_EESD_ST_SE_SF_SG_EUlST_E_NS1_11comp_targetILNS1_3genE3ELNS1_11target_archE908ELNS1_3gpuE7ELNS1_3repE0EEENS1_48merge_mergepath_partition_config_static_selectorELNS0_4arch9wavefront6targetE0EEEvSF_ ; -- Begin function _ZN7rocprim17ROCPRIM_400000_NS6detail17trampoline_kernelINS0_14default_configENS1_38merge_sort_block_merge_config_selectorIjNS0_10empty_typeEEEZZNS1_27merge_sort_block_merge_implIS3_PjPS5_jNS1_19radix_merge_compareILb1ELb1EjNS0_19identity_decomposerEEEEE10hipError_tT0_T1_T2_jT3_P12ihipStream_tbPNSt15iterator_traitsISE_E10value_typeEPNSK_ISF_E10value_typeEPSG_NS1_7vsmem_tEENKUlT_SE_SF_SG_E_clIS8_S8_S9_S9_EESD_ST_SE_SF_SG_EUlST_E_NS1_11comp_targetILNS1_3genE3ELNS1_11target_archE908ELNS1_3gpuE7ELNS1_3repE0EEENS1_48merge_mergepath_partition_config_static_selectorELNS0_4arch9wavefront6targetE0EEEvSF_
	.globl	_ZN7rocprim17ROCPRIM_400000_NS6detail17trampoline_kernelINS0_14default_configENS1_38merge_sort_block_merge_config_selectorIjNS0_10empty_typeEEEZZNS1_27merge_sort_block_merge_implIS3_PjPS5_jNS1_19radix_merge_compareILb1ELb1EjNS0_19identity_decomposerEEEEE10hipError_tT0_T1_T2_jT3_P12ihipStream_tbPNSt15iterator_traitsISE_E10value_typeEPNSK_ISF_E10value_typeEPSG_NS1_7vsmem_tEENKUlT_SE_SF_SG_E_clIS8_S8_S9_S9_EESD_ST_SE_SF_SG_EUlST_E_NS1_11comp_targetILNS1_3genE3ELNS1_11target_archE908ELNS1_3gpuE7ELNS1_3repE0EEENS1_48merge_mergepath_partition_config_static_selectorELNS0_4arch9wavefront6targetE0EEEvSF_
	.p2align	8
	.type	_ZN7rocprim17ROCPRIM_400000_NS6detail17trampoline_kernelINS0_14default_configENS1_38merge_sort_block_merge_config_selectorIjNS0_10empty_typeEEEZZNS1_27merge_sort_block_merge_implIS3_PjPS5_jNS1_19radix_merge_compareILb1ELb1EjNS0_19identity_decomposerEEEEE10hipError_tT0_T1_T2_jT3_P12ihipStream_tbPNSt15iterator_traitsISE_E10value_typeEPNSK_ISF_E10value_typeEPSG_NS1_7vsmem_tEENKUlT_SE_SF_SG_E_clIS8_S8_S9_S9_EESD_ST_SE_SF_SG_EUlST_E_NS1_11comp_targetILNS1_3genE3ELNS1_11target_archE908ELNS1_3gpuE7ELNS1_3repE0EEENS1_48merge_mergepath_partition_config_static_selectorELNS0_4arch9wavefront6targetE0EEEvSF_,@function
_ZN7rocprim17ROCPRIM_400000_NS6detail17trampoline_kernelINS0_14default_configENS1_38merge_sort_block_merge_config_selectorIjNS0_10empty_typeEEEZZNS1_27merge_sort_block_merge_implIS3_PjPS5_jNS1_19radix_merge_compareILb1ELb1EjNS0_19identity_decomposerEEEEE10hipError_tT0_T1_T2_jT3_P12ihipStream_tbPNSt15iterator_traitsISE_E10value_typeEPNSK_ISF_E10value_typeEPSG_NS1_7vsmem_tEENKUlT_SE_SF_SG_E_clIS8_S8_S9_S9_EESD_ST_SE_SF_SG_EUlST_E_NS1_11comp_targetILNS1_3genE3ELNS1_11target_archE908ELNS1_3gpuE7ELNS1_3repE0EEENS1_48merge_mergepath_partition_config_static_selectorELNS0_4arch9wavefront6targetE0EEEvSF_: ; @_ZN7rocprim17ROCPRIM_400000_NS6detail17trampoline_kernelINS0_14default_configENS1_38merge_sort_block_merge_config_selectorIjNS0_10empty_typeEEEZZNS1_27merge_sort_block_merge_implIS3_PjPS5_jNS1_19radix_merge_compareILb1ELb1EjNS0_19identity_decomposerEEEEE10hipError_tT0_T1_T2_jT3_P12ihipStream_tbPNSt15iterator_traitsISE_E10value_typeEPNSK_ISF_E10value_typeEPSG_NS1_7vsmem_tEENKUlT_SE_SF_SG_E_clIS8_S8_S9_S9_EESD_ST_SE_SF_SG_EUlST_E_NS1_11comp_targetILNS1_3genE3ELNS1_11target_archE908ELNS1_3gpuE7ELNS1_3repE0EEENS1_48merge_mergepath_partition_config_static_selectorELNS0_4arch9wavefront6targetE0EEEvSF_
; %bb.0:
	.section	.rodata,"a",@progbits
	.p2align	6, 0x0
	.amdhsa_kernel _ZN7rocprim17ROCPRIM_400000_NS6detail17trampoline_kernelINS0_14default_configENS1_38merge_sort_block_merge_config_selectorIjNS0_10empty_typeEEEZZNS1_27merge_sort_block_merge_implIS3_PjPS5_jNS1_19radix_merge_compareILb1ELb1EjNS0_19identity_decomposerEEEEE10hipError_tT0_T1_T2_jT3_P12ihipStream_tbPNSt15iterator_traitsISE_E10value_typeEPNSK_ISF_E10value_typeEPSG_NS1_7vsmem_tEENKUlT_SE_SF_SG_E_clIS8_S8_S9_S9_EESD_ST_SE_SF_SG_EUlST_E_NS1_11comp_targetILNS1_3genE3ELNS1_11target_archE908ELNS1_3gpuE7ELNS1_3repE0EEENS1_48merge_mergepath_partition_config_static_selectorELNS0_4arch9wavefront6targetE0EEEvSF_
		.amdhsa_group_segment_fixed_size 0
		.amdhsa_private_segment_fixed_size 0
		.amdhsa_kernarg_size 40
		.amdhsa_user_sgpr_count 2
		.amdhsa_user_sgpr_dispatch_ptr 0
		.amdhsa_user_sgpr_queue_ptr 0
		.amdhsa_user_sgpr_kernarg_segment_ptr 1
		.amdhsa_user_sgpr_dispatch_id 0
		.amdhsa_user_sgpr_kernarg_preload_length 0
		.amdhsa_user_sgpr_kernarg_preload_offset 0
		.amdhsa_user_sgpr_private_segment_size 0
		.amdhsa_wavefront_size32 1
		.amdhsa_uses_dynamic_stack 0
		.amdhsa_enable_private_segment 0
		.amdhsa_system_sgpr_workgroup_id_x 1
		.amdhsa_system_sgpr_workgroup_id_y 0
		.amdhsa_system_sgpr_workgroup_id_z 0
		.amdhsa_system_sgpr_workgroup_info 0
		.amdhsa_system_vgpr_workitem_id 0
		.amdhsa_next_free_vgpr 1
		.amdhsa_next_free_sgpr 1
		.amdhsa_named_barrier_count 0
		.amdhsa_reserve_vcc 0
		.amdhsa_float_round_mode_32 0
		.amdhsa_float_round_mode_16_64 0
		.amdhsa_float_denorm_mode_32 3
		.amdhsa_float_denorm_mode_16_64 3
		.amdhsa_fp16_overflow 0
		.amdhsa_memory_ordered 1
		.amdhsa_forward_progress 1
		.amdhsa_inst_pref_size 0
		.amdhsa_round_robin_scheduling 0
		.amdhsa_exception_fp_ieee_invalid_op 0
		.amdhsa_exception_fp_denorm_src 0
		.amdhsa_exception_fp_ieee_div_zero 0
		.amdhsa_exception_fp_ieee_overflow 0
		.amdhsa_exception_fp_ieee_underflow 0
		.amdhsa_exception_fp_ieee_inexact 0
		.amdhsa_exception_int_div_zero 0
	.end_amdhsa_kernel
	.section	.text._ZN7rocprim17ROCPRIM_400000_NS6detail17trampoline_kernelINS0_14default_configENS1_38merge_sort_block_merge_config_selectorIjNS0_10empty_typeEEEZZNS1_27merge_sort_block_merge_implIS3_PjPS5_jNS1_19radix_merge_compareILb1ELb1EjNS0_19identity_decomposerEEEEE10hipError_tT0_T1_T2_jT3_P12ihipStream_tbPNSt15iterator_traitsISE_E10value_typeEPNSK_ISF_E10value_typeEPSG_NS1_7vsmem_tEENKUlT_SE_SF_SG_E_clIS8_S8_S9_S9_EESD_ST_SE_SF_SG_EUlST_E_NS1_11comp_targetILNS1_3genE3ELNS1_11target_archE908ELNS1_3gpuE7ELNS1_3repE0EEENS1_48merge_mergepath_partition_config_static_selectorELNS0_4arch9wavefront6targetE0EEEvSF_,"axG",@progbits,_ZN7rocprim17ROCPRIM_400000_NS6detail17trampoline_kernelINS0_14default_configENS1_38merge_sort_block_merge_config_selectorIjNS0_10empty_typeEEEZZNS1_27merge_sort_block_merge_implIS3_PjPS5_jNS1_19radix_merge_compareILb1ELb1EjNS0_19identity_decomposerEEEEE10hipError_tT0_T1_T2_jT3_P12ihipStream_tbPNSt15iterator_traitsISE_E10value_typeEPNSK_ISF_E10value_typeEPSG_NS1_7vsmem_tEENKUlT_SE_SF_SG_E_clIS8_S8_S9_S9_EESD_ST_SE_SF_SG_EUlST_E_NS1_11comp_targetILNS1_3genE3ELNS1_11target_archE908ELNS1_3gpuE7ELNS1_3repE0EEENS1_48merge_mergepath_partition_config_static_selectorELNS0_4arch9wavefront6targetE0EEEvSF_,comdat
.Lfunc_end2587:
	.size	_ZN7rocprim17ROCPRIM_400000_NS6detail17trampoline_kernelINS0_14default_configENS1_38merge_sort_block_merge_config_selectorIjNS0_10empty_typeEEEZZNS1_27merge_sort_block_merge_implIS3_PjPS5_jNS1_19radix_merge_compareILb1ELb1EjNS0_19identity_decomposerEEEEE10hipError_tT0_T1_T2_jT3_P12ihipStream_tbPNSt15iterator_traitsISE_E10value_typeEPNSK_ISF_E10value_typeEPSG_NS1_7vsmem_tEENKUlT_SE_SF_SG_E_clIS8_S8_S9_S9_EESD_ST_SE_SF_SG_EUlST_E_NS1_11comp_targetILNS1_3genE3ELNS1_11target_archE908ELNS1_3gpuE7ELNS1_3repE0EEENS1_48merge_mergepath_partition_config_static_selectorELNS0_4arch9wavefront6targetE0EEEvSF_, .Lfunc_end2587-_ZN7rocprim17ROCPRIM_400000_NS6detail17trampoline_kernelINS0_14default_configENS1_38merge_sort_block_merge_config_selectorIjNS0_10empty_typeEEEZZNS1_27merge_sort_block_merge_implIS3_PjPS5_jNS1_19radix_merge_compareILb1ELb1EjNS0_19identity_decomposerEEEEE10hipError_tT0_T1_T2_jT3_P12ihipStream_tbPNSt15iterator_traitsISE_E10value_typeEPNSK_ISF_E10value_typeEPSG_NS1_7vsmem_tEENKUlT_SE_SF_SG_E_clIS8_S8_S9_S9_EESD_ST_SE_SF_SG_EUlST_E_NS1_11comp_targetILNS1_3genE3ELNS1_11target_archE908ELNS1_3gpuE7ELNS1_3repE0EEENS1_48merge_mergepath_partition_config_static_selectorELNS0_4arch9wavefront6targetE0EEEvSF_
                                        ; -- End function
	.set _ZN7rocprim17ROCPRIM_400000_NS6detail17trampoline_kernelINS0_14default_configENS1_38merge_sort_block_merge_config_selectorIjNS0_10empty_typeEEEZZNS1_27merge_sort_block_merge_implIS3_PjPS5_jNS1_19radix_merge_compareILb1ELb1EjNS0_19identity_decomposerEEEEE10hipError_tT0_T1_T2_jT3_P12ihipStream_tbPNSt15iterator_traitsISE_E10value_typeEPNSK_ISF_E10value_typeEPSG_NS1_7vsmem_tEENKUlT_SE_SF_SG_E_clIS8_S8_S9_S9_EESD_ST_SE_SF_SG_EUlST_E_NS1_11comp_targetILNS1_3genE3ELNS1_11target_archE908ELNS1_3gpuE7ELNS1_3repE0EEENS1_48merge_mergepath_partition_config_static_selectorELNS0_4arch9wavefront6targetE0EEEvSF_.num_vgpr, 0
	.set _ZN7rocprim17ROCPRIM_400000_NS6detail17trampoline_kernelINS0_14default_configENS1_38merge_sort_block_merge_config_selectorIjNS0_10empty_typeEEEZZNS1_27merge_sort_block_merge_implIS3_PjPS5_jNS1_19radix_merge_compareILb1ELb1EjNS0_19identity_decomposerEEEEE10hipError_tT0_T1_T2_jT3_P12ihipStream_tbPNSt15iterator_traitsISE_E10value_typeEPNSK_ISF_E10value_typeEPSG_NS1_7vsmem_tEENKUlT_SE_SF_SG_E_clIS8_S8_S9_S9_EESD_ST_SE_SF_SG_EUlST_E_NS1_11comp_targetILNS1_3genE3ELNS1_11target_archE908ELNS1_3gpuE7ELNS1_3repE0EEENS1_48merge_mergepath_partition_config_static_selectorELNS0_4arch9wavefront6targetE0EEEvSF_.num_agpr, 0
	.set _ZN7rocprim17ROCPRIM_400000_NS6detail17trampoline_kernelINS0_14default_configENS1_38merge_sort_block_merge_config_selectorIjNS0_10empty_typeEEEZZNS1_27merge_sort_block_merge_implIS3_PjPS5_jNS1_19radix_merge_compareILb1ELb1EjNS0_19identity_decomposerEEEEE10hipError_tT0_T1_T2_jT3_P12ihipStream_tbPNSt15iterator_traitsISE_E10value_typeEPNSK_ISF_E10value_typeEPSG_NS1_7vsmem_tEENKUlT_SE_SF_SG_E_clIS8_S8_S9_S9_EESD_ST_SE_SF_SG_EUlST_E_NS1_11comp_targetILNS1_3genE3ELNS1_11target_archE908ELNS1_3gpuE7ELNS1_3repE0EEENS1_48merge_mergepath_partition_config_static_selectorELNS0_4arch9wavefront6targetE0EEEvSF_.numbered_sgpr, 0
	.set _ZN7rocprim17ROCPRIM_400000_NS6detail17trampoline_kernelINS0_14default_configENS1_38merge_sort_block_merge_config_selectorIjNS0_10empty_typeEEEZZNS1_27merge_sort_block_merge_implIS3_PjPS5_jNS1_19radix_merge_compareILb1ELb1EjNS0_19identity_decomposerEEEEE10hipError_tT0_T1_T2_jT3_P12ihipStream_tbPNSt15iterator_traitsISE_E10value_typeEPNSK_ISF_E10value_typeEPSG_NS1_7vsmem_tEENKUlT_SE_SF_SG_E_clIS8_S8_S9_S9_EESD_ST_SE_SF_SG_EUlST_E_NS1_11comp_targetILNS1_3genE3ELNS1_11target_archE908ELNS1_3gpuE7ELNS1_3repE0EEENS1_48merge_mergepath_partition_config_static_selectorELNS0_4arch9wavefront6targetE0EEEvSF_.num_named_barrier, 0
	.set _ZN7rocprim17ROCPRIM_400000_NS6detail17trampoline_kernelINS0_14default_configENS1_38merge_sort_block_merge_config_selectorIjNS0_10empty_typeEEEZZNS1_27merge_sort_block_merge_implIS3_PjPS5_jNS1_19radix_merge_compareILb1ELb1EjNS0_19identity_decomposerEEEEE10hipError_tT0_T1_T2_jT3_P12ihipStream_tbPNSt15iterator_traitsISE_E10value_typeEPNSK_ISF_E10value_typeEPSG_NS1_7vsmem_tEENKUlT_SE_SF_SG_E_clIS8_S8_S9_S9_EESD_ST_SE_SF_SG_EUlST_E_NS1_11comp_targetILNS1_3genE3ELNS1_11target_archE908ELNS1_3gpuE7ELNS1_3repE0EEENS1_48merge_mergepath_partition_config_static_selectorELNS0_4arch9wavefront6targetE0EEEvSF_.private_seg_size, 0
	.set _ZN7rocprim17ROCPRIM_400000_NS6detail17trampoline_kernelINS0_14default_configENS1_38merge_sort_block_merge_config_selectorIjNS0_10empty_typeEEEZZNS1_27merge_sort_block_merge_implIS3_PjPS5_jNS1_19radix_merge_compareILb1ELb1EjNS0_19identity_decomposerEEEEE10hipError_tT0_T1_T2_jT3_P12ihipStream_tbPNSt15iterator_traitsISE_E10value_typeEPNSK_ISF_E10value_typeEPSG_NS1_7vsmem_tEENKUlT_SE_SF_SG_E_clIS8_S8_S9_S9_EESD_ST_SE_SF_SG_EUlST_E_NS1_11comp_targetILNS1_3genE3ELNS1_11target_archE908ELNS1_3gpuE7ELNS1_3repE0EEENS1_48merge_mergepath_partition_config_static_selectorELNS0_4arch9wavefront6targetE0EEEvSF_.uses_vcc, 0
	.set _ZN7rocprim17ROCPRIM_400000_NS6detail17trampoline_kernelINS0_14default_configENS1_38merge_sort_block_merge_config_selectorIjNS0_10empty_typeEEEZZNS1_27merge_sort_block_merge_implIS3_PjPS5_jNS1_19radix_merge_compareILb1ELb1EjNS0_19identity_decomposerEEEEE10hipError_tT0_T1_T2_jT3_P12ihipStream_tbPNSt15iterator_traitsISE_E10value_typeEPNSK_ISF_E10value_typeEPSG_NS1_7vsmem_tEENKUlT_SE_SF_SG_E_clIS8_S8_S9_S9_EESD_ST_SE_SF_SG_EUlST_E_NS1_11comp_targetILNS1_3genE3ELNS1_11target_archE908ELNS1_3gpuE7ELNS1_3repE0EEENS1_48merge_mergepath_partition_config_static_selectorELNS0_4arch9wavefront6targetE0EEEvSF_.uses_flat_scratch, 0
	.set _ZN7rocprim17ROCPRIM_400000_NS6detail17trampoline_kernelINS0_14default_configENS1_38merge_sort_block_merge_config_selectorIjNS0_10empty_typeEEEZZNS1_27merge_sort_block_merge_implIS3_PjPS5_jNS1_19radix_merge_compareILb1ELb1EjNS0_19identity_decomposerEEEEE10hipError_tT0_T1_T2_jT3_P12ihipStream_tbPNSt15iterator_traitsISE_E10value_typeEPNSK_ISF_E10value_typeEPSG_NS1_7vsmem_tEENKUlT_SE_SF_SG_E_clIS8_S8_S9_S9_EESD_ST_SE_SF_SG_EUlST_E_NS1_11comp_targetILNS1_3genE3ELNS1_11target_archE908ELNS1_3gpuE7ELNS1_3repE0EEENS1_48merge_mergepath_partition_config_static_selectorELNS0_4arch9wavefront6targetE0EEEvSF_.has_dyn_sized_stack, 0
	.set _ZN7rocprim17ROCPRIM_400000_NS6detail17trampoline_kernelINS0_14default_configENS1_38merge_sort_block_merge_config_selectorIjNS0_10empty_typeEEEZZNS1_27merge_sort_block_merge_implIS3_PjPS5_jNS1_19radix_merge_compareILb1ELb1EjNS0_19identity_decomposerEEEEE10hipError_tT0_T1_T2_jT3_P12ihipStream_tbPNSt15iterator_traitsISE_E10value_typeEPNSK_ISF_E10value_typeEPSG_NS1_7vsmem_tEENKUlT_SE_SF_SG_E_clIS8_S8_S9_S9_EESD_ST_SE_SF_SG_EUlST_E_NS1_11comp_targetILNS1_3genE3ELNS1_11target_archE908ELNS1_3gpuE7ELNS1_3repE0EEENS1_48merge_mergepath_partition_config_static_selectorELNS0_4arch9wavefront6targetE0EEEvSF_.has_recursion, 0
	.set _ZN7rocprim17ROCPRIM_400000_NS6detail17trampoline_kernelINS0_14default_configENS1_38merge_sort_block_merge_config_selectorIjNS0_10empty_typeEEEZZNS1_27merge_sort_block_merge_implIS3_PjPS5_jNS1_19radix_merge_compareILb1ELb1EjNS0_19identity_decomposerEEEEE10hipError_tT0_T1_T2_jT3_P12ihipStream_tbPNSt15iterator_traitsISE_E10value_typeEPNSK_ISF_E10value_typeEPSG_NS1_7vsmem_tEENKUlT_SE_SF_SG_E_clIS8_S8_S9_S9_EESD_ST_SE_SF_SG_EUlST_E_NS1_11comp_targetILNS1_3genE3ELNS1_11target_archE908ELNS1_3gpuE7ELNS1_3repE0EEENS1_48merge_mergepath_partition_config_static_selectorELNS0_4arch9wavefront6targetE0EEEvSF_.has_indirect_call, 0
	.section	.AMDGPU.csdata,"",@progbits
; Kernel info:
; codeLenInByte = 0
; TotalNumSgprs: 0
; NumVgprs: 0
; ScratchSize: 0
; MemoryBound: 0
; FloatMode: 240
; IeeeMode: 1
; LDSByteSize: 0 bytes/workgroup (compile time only)
; SGPRBlocks: 0
; VGPRBlocks: 0
; NumSGPRsForWavesPerEU: 1
; NumVGPRsForWavesPerEU: 1
; NamedBarCnt: 0
; Occupancy: 16
; WaveLimiterHint : 0
; COMPUTE_PGM_RSRC2:SCRATCH_EN: 0
; COMPUTE_PGM_RSRC2:USER_SGPR: 2
; COMPUTE_PGM_RSRC2:TRAP_HANDLER: 0
; COMPUTE_PGM_RSRC2:TGID_X_EN: 1
; COMPUTE_PGM_RSRC2:TGID_Y_EN: 0
; COMPUTE_PGM_RSRC2:TGID_Z_EN: 0
; COMPUTE_PGM_RSRC2:TIDIG_COMP_CNT: 0
	.section	.text._ZN7rocprim17ROCPRIM_400000_NS6detail17trampoline_kernelINS0_14default_configENS1_38merge_sort_block_merge_config_selectorIjNS0_10empty_typeEEEZZNS1_27merge_sort_block_merge_implIS3_PjPS5_jNS1_19radix_merge_compareILb1ELb1EjNS0_19identity_decomposerEEEEE10hipError_tT0_T1_T2_jT3_P12ihipStream_tbPNSt15iterator_traitsISE_E10value_typeEPNSK_ISF_E10value_typeEPSG_NS1_7vsmem_tEENKUlT_SE_SF_SG_E_clIS8_S8_S9_S9_EESD_ST_SE_SF_SG_EUlST_E_NS1_11comp_targetILNS1_3genE2ELNS1_11target_archE906ELNS1_3gpuE6ELNS1_3repE0EEENS1_48merge_mergepath_partition_config_static_selectorELNS0_4arch9wavefront6targetE0EEEvSF_,"axG",@progbits,_ZN7rocprim17ROCPRIM_400000_NS6detail17trampoline_kernelINS0_14default_configENS1_38merge_sort_block_merge_config_selectorIjNS0_10empty_typeEEEZZNS1_27merge_sort_block_merge_implIS3_PjPS5_jNS1_19radix_merge_compareILb1ELb1EjNS0_19identity_decomposerEEEEE10hipError_tT0_T1_T2_jT3_P12ihipStream_tbPNSt15iterator_traitsISE_E10value_typeEPNSK_ISF_E10value_typeEPSG_NS1_7vsmem_tEENKUlT_SE_SF_SG_E_clIS8_S8_S9_S9_EESD_ST_SE_SF_SG_EUlST_E_NS1_11comp_targetILNS1_3genE2ELNS1_11target_archE906ELNS1_3gpuE6ELNS1_3repE0EEENS1_48merge_mergepath_partition_config_static_selectorELNS0_4arch9wavefront6targetE0EEEvSF_,comdat
	.protected	_ZN7rocprim17ROCPRIM_400000_NS6detail17trampoline_kernelINS0_14default_configENS1_38merge_sort_block_merge_config_selectorIjNS0_10empty_typeEEEZZNS1_27merge_sort_block_merge_implIS3_PjPS5_jNS1_19radix_merge_compareILb1ELb1EjNS0_19identity_decomposerEEEEE10hipError_tT0_T1_T2_jT3_P12ihipStream_tbPNSt15iterator_traitsISE_E10value_typeEPNSK_ISF_E10value_typeEPSG_NS1_7vsmem_tEENKUlT_SE_SF_SG_E_clIS8_S8_S9_S9_EESD_ST_SE_SF_SG_EUlST_E_NS1_11comp_targetILNS1_3genE2ELNS1_11target_archE906ELNS1_3gpuE6ELNS1_3repE0EEENS1_48merge_mergepath_partition_config_static_selectorELNS0_4arch9wavefront6targetE0EEEvSF_ ; -- Begin function _ZN7rocprim17ROCPRIM_400000_NS6detail17trampoline_kernelINS0_14default_configENS1_38merge_sort_block_merge_config_selectorIjNS0_10empty_typeEEEZZNS1_27merge_sort_block_merge_implIS3_PjPS5_jNS1_19radix_merge_compareILb1ELb1EjNS0_19identity_decomposerEEEEE10hipError_tT0_T1_T2_jT3_P12ihipStream_tbPNSt15iterator_traitsISE_E10value_typeEPNSK_ISF_E10value_typeEPSG_NS1_7vsmem_tEENKUlT_SE_SF_SG_E_clIS8_S8_S9_S9_EESD_ST_SE_SF_SG_EUlST_E_NS1_11comp_targetILNS1_3genE2ELNS1_11target_archE906ELNS1_3gpuE6ELNS1_3repE0EEENS1_48merge_mergepath_partition_config_static_selectorELNS0_4arch9wavefront6targetE0EEEvSF_
	.globl	_ZN7rocprim17ROCPRIM_400000_NS6detail17trampoline_kernelINS0_14default_configENS1_38merge_sort_block_merge_config_selectorIjNS0_10empty_typeEEEZZNS1_27merge_sort_block_merge_implIS3_PjPS5_jNS1_19radix_merge_compareILb1ELb1EjNS0_19identity_decomposerEEEEE10hipError_tT0_T1_T2_jT3_P12ihipStream_tbPNSt15iterator_traitsISE_E10value_typeEPNSK_ISF_E10value_typeEPSG_NS1_7vsmem_tEENKUlT_SE_SF_SG_E_clIS8_S8_S9_S9_EESD_ST_SE_SF_SG_EUlST_E_NS1_11comp_targetILNS1_3genE2ELNS1_11target_archE906ELNS1_3gpuE6ELNS1_3repE0EEENS1_48merge_mergepath_partition_config_static_selectorELNS0_4arch9wavefront6targetE0EEEvSF_
	.p2align	8
	.type	_ZN7rocprim17ROCPRIM_400000_NS6detail17trampoline_kernelINS0_14default_configENS1_38merge_sort_block_merge_config_selectorIjNS0_10empty_typeEEEZZNS1_27merge_sort_block_merge_implIS3_PjPS5_jNS1_19radix_merge_compareILb1ELb1EjNS0_19identity_decomposerEEEEE10hipError_tT0_T1_T2_jT3_P12ihipStream_tbPNSt15iterator_traitsISE_E10value_typeEPNSK_ISF_E10value_typeEPSG_NS1_7vsmem_tEENKUlT_SE_SF_SG_E_clIS8_S8_S9_S9_EESD_ST_SE_SF_SG_EUlST_E_NS1_11comp_targetILNS1_3genE2ELNS1_11target_archE906ELNS1_3gpuE6ELNS1_3repE0EEENS1_48merge_mergepath_partition_config_static_selectorELNS0_4arch9wavefront6targetE0EEEvSF_,@function
_ZN7rocprim17ROCPRIM_400000_NS6detail17trampoline_kernelINS0_14default_configENS1_38merge_sort_block_merge_config_selectorIjNS0_10empty_typeEEEZZNS1_27merge_sort_block_merge_implIS3_PjPS5_jNS1_19radix_merge_compareILb1ELb1EjNS0_19identity_decomposerEEEEE10hipError_tT0_T1_T2_jT3_P12ihipStream_tbPNSt15iterator_traitsISE_E10value_typeEPNSK_ISF_E10value_typeEPSG_NS1_7vsmem_tEENKUlT_SE_SF_SG_E_clIS8_S8_S9_S9_EESD_ST_SE_SF_SG_EUlST_E_NS1_11comp_targetILNS1_3genE2ELNS1_11target_archE906ELNS1_3gpuE6ELNS1_3repE0EEENS1_48merge_mergepath_partition_config_static_selectorELNS0_4arch9wavefront6targetE0EEEvSF_: ; @_ZN7rocprim17ROCPRIM_400000_NS6detail17trampoline_kernelINS0_14default_configENS1_38merge_sort_block_merge_config_selectorIjNS0_10empty_typeEEEZZNS1_27merge_sort_block_merge_implIS3_PjPS5_jNS1_19radix_merge_compareILb1ELb1EjNS0_19identity_decomposerEEEEE10hipError_tT0_T1_T2_jT3_P12ihipStream_tbPNSt15iterator_traitsISE_E10value_typeEPNSK_ISF_E10value_typeEPSG_NS1_7vsmem_tEENKUlT_SE_SF_SG_E_clIS8_S8_S9_S9_EESD_ST_SE_SF_SG_EUlST_E_NS1_11comp_targetILNS1_3genE2ELNS1_11target_archE906ELNS1_3gpuE6ELNS1_3repE0EEENS1_48merge_mergepath_partition_config_static_selectorELNS0_4arch9wavefront6targetE0EEEvSF_
; %bb.0:
	.section	.rodata,"a",@progbits
	.p2align	6, 0x0
	.amdhsa_kernel _ZN7rocprim17ROCPRIM_400000_NS6detail17trampoline_kernelINS0_14default_configENS1_38merge_sort_block_merge_config_selectorIjNS0_10empty_typeEEEZZNS1_27merge_sort_block_merge_implIS3_PjPS5_jNS1_19radix_merge_compareILb1ELb1EjNS0_19identity_decomposerEEEEE10hipError_tT0_T1_T2_jT3_P12ihipStream_tbPNSt15iterator_traitsISE_E10value_typeEPNSK_ISF_E10value_typeEPSG_NS1_7vsmem_tEENKUlT_SE_SF_SG_E_clIS8_S8_S9_S9_EESD_ST_SE_SF_SG_EUlST_E_NS1_11comp_targetILNS1_3genE2ELNS1_11target_archE906ELNS1_3gpuE6ELNS1_3repE0EEENS1_48merge_mergepath_partition_config_static_selectorELNS0_4arch9wavefront6targetE0EEEvSF_
		.amdhsa_group_segment_fixed_size 0
		.amdhsa_private_segment_fixed_size 0
		.amdhsa_kernarg_size 40
		.amdhsa_user_sgpr_count 2
		.amdhsa_user_sgpr_dispatch_ptr 0
		.amdhsa_user_sgpr_queue_ptr 0
		.amdhsa_user_sgpr_kernarg_segment_ptr 1
		.amdhsa_user_sgpr_dispatch_id 0
		.amdhsa_user_sgpr_kernarg_preload_length 0
		.amdhsa_user_sgpr_kernarg_preload_offset 0
		.amdhsa_user_sgpr_private_segment_size 0
		.amdhsa_wavefront_size32 1
		.amdhsa_uses_dynamic_stack 0
		.amdhsa_enable_private_segment 0
		.amdhsa_system_sgpr_workgroup_id_x 1
		.amdhsa_system_sgpr_workgroup_id_y 0
		.amdhsa_system_sgpr_workgroup_id_z 0
		.amdhsa_system_sgpr_workgroup_info 0
		.amdhsa_system_vgpr_workitem_id 0
		.amdhsa_next_free_vgpr 1
		.amdhsa_next_free_sgpr 1
		.amdhsa_named_barrier_count 0
		.amdhsa_reserve_vcc 0
		.amdhsa_float_round_mode_32 0
		.amdhsa_float_round_mode_16_64 0
		.amdhsa_float_denorm_mode_32 3
		.amdhsa_float_denorm_mode_16_64 3
		.amdhsa_fp16_overflow 0
		.amdhsa_memory_ordered 1
		.amdhsa_forward_progress 1
		.amdhsa_inst_pref_size 0
		.amdhsa_round_robin_scheduling 0
		.amdhsa_exception_fp_ieee_invalid_op 0
		.amdhsa_exception_fp_denorm_src 0
		.amdhsa_exception_fp_ieee_div_zero 0
		.amdhsa_exception_fp_ieee_overflow 0
		.amdhsa_exception_fp_ieee_underflow 0
		.amdhsa_exception_fp_ieee_inexact 0
		.amdhsa_exception_int_div_zero 0
	.end_amdhsa_kernel
	.section	.text._ZN7rocprim17ROCPRIM_400000_NS6detail17trampoline_kernelINS0_14default_configENS1_38merge_sort_block_merge_config_selectorIjNS0_10empty_typeEEEZZNS1_27merge_sort_block_merge_implIS3_PjPS5_jNS1_19radix_merge_compareILb1ELb1EjNS0_19identity_decomposerEEEEE10hipError_tT0_T1_T2_jT3_P12ihipStream_tbPNSt15iterator_traitsISE_E10value_typeEPNSK_ISF_E10value_typeEPSG_NS1_7vsmem_tEENKUlT_SE_SF_SG_E_clIS8_S8_S9_S9_EESD_ST_SE_SF_SG_EUlST_E_NS1_11comp_targetILNS1_3genE2ELNS1_11target_archE906ELNS1_3gpuE6ELNS1_3repE0EEENS1_48merge_mergepath_partition_config_static_selectorELNS0_4arch9wavefront6targetE0EEEvSF_,"axG",@progbits,_ZN7rocprim17ROCPRIM_400000_NS6detail17trampoline_kernelINS0_14default_configENS1_38merge_sort_block_merge_config_selectorIjNS0_10empty_typeEEEZZNS1_27merge_sort_block_merge_implIS3_PjPS5_jNS1_19radix_merge_compareILb1ELb1EjNS0_19identity_decomposerEEEEE10hipError_tT0_T1_T2_jT3_P12ihipStream_tbPNSt15iterator_traitsISE_E10value_typeEPNSK_ISF_E10value_typeEPSG_NS1_7vsmem_tEENKUlT_SE_SF_SG_E_clIS8_S8_S9_S9_EESD_ST_SE_SF_SG_EUlST_E_NS1_11comp_targetILNS1_3genE2ELNS1_11target_archE906ELNS1_3gpuE6ELNS1_3repE0EEENS1_48merge_mergepath_partition_config_static_selectorELNS0_4arch9wavefront6targetE0EEEvSF_,comdat
.Lfunc_end2588:
	.size	_ZN7rocprim17ROCPRIM_400000_NS6detail17trampoline_kernelINS0_14default_configENS1_38merge_sort_block_merge_config_selectorIjNS0_10empty_typeEEEZZNS1_27merge_sort_block_merge_implIS3_PjPS5_jNS1_19radix_merge_compareILb1ELb1EjNS0_19identity_decomposerEEEEE10hipError_tT0_T1_T2_jT3_P12ihipStream_tbPNSt15iterator_traitsISE_E10value_typeEPNSK_ISF_E10value_typeEPSG_NS1_7vsmem_tEENKUlT_SE_SF_SG_E_clIS8_S8_S9_S9_EESD_ST_SE_SF_SG_EUlST_E_NS1_11comp_targetILNS1_3genE2ELNS1_11target_archE906ELNS1_3gpuE6ELNS1_3repE0EEENS1_48merge_mergepath_partition_config_static_selectorELNS0_4arch9wavefront6targetE0EEEvSF_, .Lfunc_end2588-_ZN7rocprim17ROCPRIM_400000_NS6detail17trampoline_kernelINS0_14default_configENS1_38merge_sort_block_merge_config_selectorIjNS0_10empty_typeEEEZZNS1_27merge_sort_block_merge_implIS3_PjPS5_jNS1_19radix_merge_compareILb1ELb1EjNS0_19identity_decomposerEEEEE10hipError_tT0_T1_T2_jT3_P12ihipStream_tbPNSt15iterator_traitsISE_E10value_typeEPNSK_ISF_E10value_typeEPSG_NS1_7vsmem_tEENKUlT_SE_SF_SG_E_clIS8_S8_S9_S9_EESD_ST_SE_SF_SG_EUlST_E_NS1_11comp_targetILNS1_3genE2ELNS1_11target_archE906ELNS1_3gpuE6ELNS1_3repE0EEENS1_48merge_mergepath_partition_config_static_selectorELNS0_4arch9wavefront6targetE0EEEvSF_
                                        ; -- End function
	.set _ZN7rocprim17ROCPRIM_400000_NS6detail17trampoline_kernelINS0_14default_configENS1_38merge_sort_block_merge_config_selectorIjNS0_10empty_typeEEEZZNS1_27merge_sort_block_merge_implIS3_PjPS5_jNS1_19radix_merge_compareILb1ELb1EjNS0_19identity_decomposerEEEEE10hipError_tT0_T1_T2_jT3_P12ihipStream_tbPNSt15iterator_traitsISE_E10value_typeEPNSK_ISF_E10value_typeEPSG_NS1_7vsmem_tEENKUlT_SE_SF_SG_E_clIS8_S8_S9_S9_EESD_ST_SE_SF_SG_EUlST_E_NS1_11comp_targetILNS1_3genE2ELNS1_11target_archE906ELNS1_3gpuE6ELNS1_3repE0EEENS1_48merge_mergepath_partition_config_static_selectorELNS0_4arch9wavefront6targetE0EEEvSF_.num_vgpr, 0
	.set _ZN7rocprim17ROCPRIM_400000_NS6detail17trampoline_kernelINS0_14default_configENS1_38merge_sort_block_merge_config_selectorIjNS0_10empty_typeEEEZZNS1_27merge_sort_block_merge_implIS3_PjPS5_jNS1_19radix_merge_compareILb1ELb1EjNS0_19identity_decomposerEEEEE10hipError_tT0_T1_T2_jT3_P12ihipStream_tbPNSt15iterator_traitsISE_E10value_typeEPNSK_ISF_E10value_typeEPSG_NS1_7vsmem_tEENKUlT_SE_SF_SG_E_clIS8_S8_S9_S9_EESD_ST_SE_SF_SG_EUlST_E_NS1_11comp_targetILNS1_3genE2ELNS1_11target_archE906ELNS1_3gpuE6ELNS1_3repE0EEENS1_48merge_mergepath_partition_config_static_selectorELNS0_4arch9wavefront6targetE0EEEvSF_.num_agpr, 0
	.set _ZN7rocprim17ROCPRIM_400000_NS6detail17trampoline_kernelINS0_14default_configENS1_38merge_sort_block_merge_config_selectorIjNS0_10empty_typeEEEZZNS1_27merge_sort_block_merge_implIS3_PjPS5_jNS1_19radix_merge_compareILb1ELb1EjNS0_19identity_decomposerEEEEE10hipError_tT0_T1_T2_jT3_P12ihipStream_tbPNSt15iterator_traitsISE_E10value_typeEPNSK_ISF_E10value_typeEPSG_NS1_7vsmem_tEENKUlT_SE_SF_SG_E_clIS8_S8_S9_S9_EESD_ST_SE_SF_SG_EUlST_E_NS1_11comp_targetILNS1_3genE2ELNS1_11target_archE906ELNS1_3gpuE6ELNS1_3repE0EEENS1_48merge_mergepath_partition_config_static_selectorELNS0_4arch9wavefront6targetE0EEEvSF_.numbered_sgpr, 0
	.set _ZN7rocprim17ROCPRIM_400000_NS6detail17trampoline_kernelINS0_14default_configENS1_38merge_sort_block_merge_config_selectorIjNS0_10empty_typeEEEZZNS1_27merge_sort_block_merge_implIS3_PjPS5_jNS1_19radix_merge_compareILb1ELb1EjNS0_19identity_decomposerEEEEE10hipError_tT0_T1_T2_jT3_P12ihipStream_tbPNSt15iterator_traitsISE_E10value_typeEPNSK_ISF_E10value_typeEPSG_NS1_7vsmem_tEENKUlT_SE_SF_SG_E_clIS8_S8_S9_S9_EESD_ST_SE_SF_SG_EUlST_E_NS1_11comp_targetILNS1_3genE2ELNS1_11target_archE906ELNS1_3gpuE6ELNS1_3repE0EEENS1_48merge_mergepath_partition_config_static_selectorELNS0_4arch9wavefront6targetE0EEEvSF_.num_named_barrier, 0
	.set _ZN7rocprim17ROCPRIM_400000_NS6detail17trampoline_kernelINS0_14default_configENS1_38merge_sort_block_merge_config_selectorIjNS0_10empty_typeEEEZZNS1_27merge_sort_block_merge_implIS3_PjPS5_jNS1_19radix_merge_compareILb1ELb1EjNS0_19identity_decomposerEEEEE10hipError_tT0_T1_T2_jT3_P12ihipStream_tbPNSt15iterator_traitsISE_E10value_typeEPNSK_ISF_E10value_typeEPSG_NS1_7vsmem_tEENKUlT_SE_SF_SG_E_clIS8_S8_S9_S9_EESD_ST_SE_SF_SG_EUlST_E_NS1_11comp_targetILNS1_3genE2ELNS1_11target_archE906ELNS1_3gpuE6ELNS1_3repE0EEENS1_48merge_mergepath_partition_config_static_selectorELNS0_4arch9wavefront6targetE0EEEvSF_.private_seg_size, 0
	.set _ZN7rocprim17ROCPRIM_400000_NS6detail17trampoline_kernelINS0_14default_configENS1_38merge_sort_block_merge_config_selectorIjNS0_10empty_typeEEEZZNS1_27merge_sort_block_merge_implIS3_PjPS5_jNS1_19radix_merge_compareILb1ELb1EjNS0_19identity_decomposerEEEEE10hipError_tT0_T1_T2_jT3_P12ihipStream_tbPNSt15iterator_traitsISE_E10value_typeEPNSK_ISF_E10value_typeEPSG_NS1_7vsmem_tEENKUlT_SE_SF_SG_E_clIS8_S8_S9_S9_EESD_ST_SE_SF_SG_EUlST_E_NS1_11comp_targetILNS1_3genE2ELNS1_11target_archE906ELNS1_3gpuE6ELNS1_3repE0EEENS1_48merge_mergepath_partition_config_static_selectorELNS0_4arch9wavefront6targetE0EEEvSF_.uses_vcc, 0
	.set _ZN7rocprim17ROCPRIM_400000_NS6detail17trampoline_kernelINS0_14default_configENS1_38merge_sort_block_merge_config_selectorIjNS0_10empty_typeEEEZZNS1_27merge_sort_block_merge_implIS3_PjPS5_jNS1_19radix_merge_compareILb1ELb1EjNS0_19identity_decomposerEEEEE10hipError_tT0_T1_T2_jT3_P12ihipStream_tbPNSt15iterator_traitsISE_E10value_typeEPNSK_ISF_E10value_typeEPSG_NS1_7vsmem_tEENKUlT_SE_SF_SG_E_clIS8_S8_S9_S9_EESD_ST_SE_SF_SG_EUlST_E_NS1_11comp_targetILNS1_3genE2ELNS1_11target_archE906ELNS1_3gpuE6ELNS1_3repE0EEENS1_48merge_mergepath_partition_config_static_selectorELNS0_4arch9wavefront6targetE0EEEvSF_.uses_flat_scratch, 0
	.set _ZN7rocprim17ROCPRIM_400000_NS6detail17trampoline_kernelINS0_14default_configENS1_38merge_sort_block_merge_config_selectorIjNS0_10empty_typeEEEZZNS1_27merge_sort_block_merge_implIS3_PjPS5_jNS1_19radix_merge_compareILb1ELb1EjNS0_19identity_decomposerEEEEE10hipError_tT0_T1_T2_jT3_P12ihipStream_tbPNSt15iterator_traitsISE_E10value_typeEPNSK_ISF_E10value_typeEPSG_NS1_7vsmem_tEENKUlT_SE_SF_SG_E_clIS8_S8_S9_S9_EESD_ST_SE_SF_SG_EUlST_E_NS1_11comp_targetILNS1_3genE2ELNS1_11target_archE906ELNS1_3gpuE6ELNS1_3repE0EEENS1_48merge_mergepath_partition_config_static_selectorELNS0_4arch9wavefront6targetE0EEEvSF_.has_dyn_sized_stack, 0
	.set _ZN7rocprim17ROCPRIM_400000_NS6detail17trampoline_kernelINS0_14default_configENS1_38merge_sort_block_merge_config_selectorIjNS0_10empty_typeEEEZZNS1_27merge_sort_block_merge_implIS3_PjPS5_jNS1_19radix_merge_compareILb1ELb1EjNS0_19identity_decomposerEEEEE10hipError_tT0_T1_T2_jT3_P12ihipStream_tbPNSt15iterator_traitsISE_E10value_typeEPNSK_ISF_E10value_typeEPSG_NS1_7vsmem_tEENKUlT_SE_SF_SG_E_clIS8_S8_S9_S9_EESD_ST_SE_SF_SG_EUlST_E_NS1_11comp_targetILNS1_3genE2ELNS1_11target_archE906ELNS1_3gpuE6ELNS1_3repE0EEENS1_48merge_mergepath_partition_config_static_selectorELNS0_4arch9wavefront6targetE0EEEvSF_.has_recursion, 0
	.set _ZN7rocprim17ROCPRIM_400000_NS6detail17trampoline_kernelINS0_14default_configENS1_38merge_sort_block_merge_config_selectorIjNS0_10empty_typeEEEZZNS1_27merge_sort_block_merge_implIS3_PjPS5_jNS1_19radix_merge_compareILb1ELb1EjNS0_19identity_decomposerEEEEE10hipError_tT0_T1_T2_jT3_P12ihipStream_tbPNSt15iterator_traitsISE_E10value_typeEPNSK_ISF_E10value_typeEPSG_NS1_7vsmem_tEENKUlT_SE_SF_SG_E_clIS8_S8_S9_S9_EESD_ST_SE_SF_SG_EUlST_E_NS1_11comp_targetILNS1_3genE2ELNS1_11target_archE906ELNS1_3gpuE6ELNS1_3repE0EEENS1_48merge_mergepath_partition_config_static_selectorELNS0_4arch9wavefront6targetE0EEEvSF_.has_indirect_call, 0
	.section	.AMDGPU.csdata,"",@progbits
; Kernel info:
; codeLenInByte = 0
; TotalNumSgprs: 0
; NumVgprs: 0
; ScratchSize: 0
; MemoryBound: 0
; FloatMode: 240
; IeeeMode: 1
; LDSByteSize: 0 bytes/workgroup (compile time only)
; SGPRBlocks: 0
; VGPRBlocks: 0
; NumSGPRsForWavesPerEU: 1
; NumVGPRsForWavesPerEU: 1
; NamedBarCnt: 0
; Occupancy: 16
; WaveLimiterHint : 0
; COMPUTE_PGM_RSRC2:SCRATCH_EN: 0
; COMPUTE_PGM_RSRC2:USER_SGPR: 2
; COMPUTE_PGM_RSRC2:TRAP_HANDLER: 0
; COMPUTE_PGM_RSRC2:TGID_X_EN: 1
; COMPUTE_PGM_RSRC2:TGID_Y_EN: 0
; COMPUTE_PGM_RSRC2:TGID_Z_EN: 0
; COMPUTE_PGM_RSRC2:TIDIG_COMP_CNT: 0
	.section	.text._ZN7rocprim17ROCPRIM_400000_NS6detail17trampoline_kernelINS0_14default_configENS1_38merge_sort_block_merge_config_selectorIjNS0_10empty_typeEEEZZNS1_27merge_sort_block_merge_implIS3_PjPS5_jNS1_19radix_merge_compareILb1ELb1EjNS0_19identity_decomposerEEEEE10hipError_tT0_T1_T2_jT3_P12ihipStream_tbPNSt15iterator_traitsISE_E10value_typeEPNSK_ISF_E10value_typeEPSG_NS1_7vsmem_tEENKUlT_SE_SF_SG_E_clIS8_S8_S9_S9_EESD_ST_SE_SF_SG_EUlST_E_NS1_11comp_targetILNS1_3genE9ELNS1_11target_archE1100ELNS1_3gpuE3ELNS1_3repE0EEENS1_48merge_mergepath_partition_config_static_selectorELNS0_4arch9wavefront6targetE0EEEvSF_,"axG",@progbits,_ZN7rocprim17ROCPRIM_400000_NS6detail17trampoline_kernelINS0_14default_configENS1_38merge_sort_block_merge_config_selectorIjNS0_10empty_typeEEEZZNS1_27merge_sort_block_merge_implIS3_PjPS5_jNS1_19radix_merge_compareILb1ELb1EjNS0_19identity_decomposerEEEEE10hipError_tT0_T1_T2_jT3_P12ihipStream_tbPNSt15iterator_traitsISE_E10value_typeEPNSK_ISF_E10value_typeEPSG_NS1_7vsmem_tEENKUlT_SE_SF_SG_E_clIS8_S8_S9_S9_EESD_ST_SE_SF_SG_EUlST_E_NS1_11comp_targetILNS1_3genE9ELNS1_11target_archE1100ELNS1_3gpuE3ELNS1_3repE0EEENS1_48merge_mergepath_partition_config_static_selectorELNS0_4arch9wavefront6targetE0EEEvSF_,comdat
	.protected	_ZN7rocprim17ROCPRIM_400000_NS6detail17trampoline_kernelINS0_14default_configENS1_38merge_sort_block_merge_config_selectorIjNS0_10empty_typeEEEZZNS1_27merge_sort_block_merge_implIS3_PjPS5_jNS1_19radix_merge_compareILb1ELb1EjNS0_19identity_decomposerEEEEE10hipError_tT0_T1_T2_jT3_P12ihipStream_tbPNSt15iterator_traitsISE_E10value_typeEPNSK_ISF_E10value_typeEPSG_NS1_7vsmem_tEENKUlT_SE_SF_SG_E_clIS8_S8_S9_S9_EESD_ST_SE_SF_SG_EUlST_E_NS1_11comp_targetILNS1_3genE9ELNS1_11target_archE1100ELNS1_3gpuE3ELNS1_3repE0EEENS1_48merge_mergepath_partition_config_static_selectorELNS0_4arch9wavefront6targetE0EEEvSF_ ; -- Begin function _ZN7rocprim17ROCPRIM_400000_NS6detail17trampoline_kernelINS0_14default_configENS1_38merge_sort_block_merge_config_selectorIjNS0_10empty_typeEEEZZNS1_27merge_sort_block_merge_implIS3_PjPS5_jNS1_19radix_merge_compareILb1ELb1EjNS0_19identity_decomposerEEEEE10hipError_tT0_T1_T2_jT3_P12ihipStream_tbPNSt15iterator_traitsISE_E10value_typeEPNSK_ISF_E10value_typeEPSG_NS1_7vsmem_tEENKUlT_SE_SF_SG_E_clIS8_S8_S9_S9_EESD_ST_SE_SF_SG_EUlST_E_NS1_11comp_targetILNS1_3genE9ELNS1_11target_archE1100ELNS1_3gpuE3ELNS1_3repE0EEENS1_48merge_mergepath_partition_config_static_selectorELNS0_4arch9wavefront6targetE0EEEvSF_
	.globl	_ZN7rocprim17ROCPRIM_400000_NS6detail17trampoline_kernelINS0_14default_configENS1_38merge_sort_block_merge_config_selectorIjNS0_10empty_typeEEEZZNS1_27merge_sort_block_merge_implIS3_PjPS5_jNS1_19radix_merge_compareILb1ELb1EjNS0_19identity_decomposerEEEEE10hipError_tT0_T1_T2_jT3_P12ihipStream_tbPNSt15iterator_traitsISE_E10value_typeEPNSK_ISF_E10value_typeEPSG_NS1_7vsmem_tEENKUlT_SE_SF_SG_E_clIS8_S8_S9_S9_EESD_ST_SE_SF_SG_EUlST_E_NS1_11comp_targetILNS1_3genE9ELNS1_11target_archE1100ELNS1_3gpuE3ELNS1_3repE0EEENS1_48merge_mergepath_partition_config_static_selectorELNS0_4arch9wavefront6targetE0EEEvSF_
	.p2align	8
	.type	_ZN7rocprim17ROCPRIM_400000_NS6detail17trampoline_kernelINS0_14default_configENS1_38merge_sort_block_merge_config_selectorIjNS0_10empty_typeEEEZZNS1_27merge_sort_block_merge_implIS3_PjPS5_jNS1_19radix_merge_compareILb1ELb1EjNS0_19identity_decomposerEEEEE10hipError_tT0_T1_T2_jT3_P12ihipStream_tbPNSt15iterator_traitsISE_E10value_typeEPNSK_ISF_E10value_typeEPSG_NS1_7vsmem_tEENKUlT_SE_SF_SG_E_clIS8_S8_S9_S9_EESD_ST_SE_SF_SG_EUlST_E_NS1_11comp_targetILNS1_3genE9ELNS1_11target_archE1100ELNS1_3gpuE3ELNS1_3repE0EEENS1_48merge_mergepath_partition_config_static_selectorELNS0_4arch9wavefront6targetE0EEEvSF_,@function
_ZN7rocprim17ROCPRIM_400000_NS6detail17trampoline_kernelINS0_14default_configENS1_38merge_sort_block_merge_config_selectorIjNS0_10empty_typeEEEZZNS1_27merge_sort_block_merge_implIS3_PjPS5_jNS1_19radix_merge_compareILb1ELb1EjNS0_19identity_decomposerEEEEE10hipError_tT0_T1_T2_jT3_P12ihipStream_tbPNSt15iterator_traitsISE_E10value_typeEPNSK_ISF_E10value_typeEPSG_NS1_7vsmem_tEENKUlT_SE_SF_SG_E_clIS8_S8_S9_S9_EESD_ST_SE_SF_SG_EUlST_E_NS1_11comp_targetILNS1_3genE9ELNS1_11target_archE1100ELNS1_3gpuE3ELNS1_3repE0EEENS1_48merge_mergepath_partition_config_static_selectorELNS0_4arch9wavefront6targetE0EEEvSF_: ; @_ZN7rocprim17ROCPRIM_400000_NS6detail17trampoline_kernelINS0_14default_configENS1_38merge_sort_block_merge_config_selectorIjNS0_10empty_typeEEEZZNS1_27merge_sort_block_merge_implIS3_PjPS5_jNS1_19radix_merge_compareILb1ELb1EjNS0_19identity_decomposerEEEEE10hipError_tT0_T1_T2_jT3_P12ihipStream_tbPNSt15iterator_traitsISE_E10value_typeEPNSK_ISF_E10value_typeEPSG_NS1_7vsmem_tEENKUlT_SE_SF_SG_E_clIS8_S8_S9_S9_EESD_ST_SE_SF_SG_EUlST_E_NS1_11comp_targetILNS1_3genE9ELNS1_11target_archE1100ELNS1_3gpuE3ELNS1_3repE0EEENS1_48merge_mergepath_partition_config_static_selectorELNS0_4arch9wavefront6targetE0EEEvSF_
; %bb.0:
	.section	.rodata,"a",@progbits
	.p2align	6, 0x0
	.amdhsa_kernel _ZN7rocprim17ROCPRIM_400000_NS6detail17trampoline_kernelINS0_14default_configENS1_38merge_sort_block_merge_config_selectorIjNS0_10empty_typeEEEZZNS1_27merge_sort_block_merge_implIS3_PjPS5_jNS1_19radix_merge_compareILb1ELb1EjNS0_19identity_decomposerEEEEE10hipError_tT0_T1_T2_jT3_P12ihipStream_tbPNSt15iterator_traitsISE_E10value_typeEPNSK_ISF_E10value_typeEPSG_NS1_7vsmem_tEENKUlT_SE_SF_SG_E_clIS8_S8_S9_S9_EESD_ST_SE_SF_SG_EUlST_E_NS1_11comp_targetILNS1_3genE9ELNS1_11target_archE1100ELNS1_3gpuE3ELNS1_3repE0EEENS1_48merge_mergepath_partition_config_static_selectorELNS0_4arch9wavefront6targetE0EEEvSF_
		.amdhsa_group_segment_fixed_size 0
		.amdhsa_private_segment_fixed_size 0
		.amdhsa_kernarg_size 40
		.amdhsa_user_sgpr_count 2
		.amdhsa_user_sgpr_dispatch_ptr 0
		.amdhsa_user_sgpr_queue_ptr 0
		.amdhsa_user_sgpr_kernarg_segment_ptr 1
		.amdhsa_user_sgpr_dispatch_id 0
		.amdhsa_user_sgpr_kernarg_preload_length 0
		.amdhsa_user_sgpr_kernarg_preload_offset 0
		.amdhsa_user_sgpr_private_segment_size 0
		.amdhsa_wavefront_size32 1
		.amdhsa_uses_dynamic_stack 0
		.amdhsa_enable_private_segment 0
		.amdhsa_system_sgpr_workgroup_id_x 1
		.amdhsa_system_sgpr_workgroup_id_y 0
		.amdhsa_system_sgpr_workgroup_id_z 0
		.amdhsa_system_sgpr_workgroup_info 0
		.amdhsa_system_vgpr_workitem_id 0
		.amdhsa_next_free_vgpr 1
		.amdhsa_next_free_sgpr 1
		.amdhsa_named_barrier_count 0
		.amdhsa_reserve_vcc 0
		.amdhsa_float_round_mode_32 0
		.amdhsa_float_round_mode_16_64 0
		.amdhsa_float_denorm_mode_32 3
		.amdhsa_float_denorm_mode_16_64 3
		.amdhsa_fp16_overflow 0
		.amdhsa_memory_ordered 1
		.amdhsa_forward_progress 1
		.amdhsa_inst_pref_size 0
		.amdhsa_round_robin_scheduling 0
		.amdhsa_exception_fp_ieee_invalid_op 0
		.amdhsa_exception_fp_denorm_src 0
		.amdhsa_exception_fp_ieee_div_zero 0
		.amdhsa_exception_fp_ieee_overflow 0
		.amdhsa_exception_fp_ieee_underflow 0
		.amdhsa_exception_fp_ieee_inexact 0
		.amdhsa_exception_int_div_zero 0
	.end_amdhsa_kernel
	.section	.text._ZN7rocprim17ROCPRIM_400000_NS6detail17trampoline_kernelINS0_14default_configENS1_38merge_sort_block_merge_config_selectorIjNS0_10empty_typeEEEZZNS1_27merge_sort_block_merge_implIS3_PjPS5_jNS1_19radix_merge_compareILb1ELb1EjNS0_19identity_decomposerEEEEE10hipError_tT0_T1_T2_jT3_P12ihipStream_tbPNSt15iterator_traitsISE_E10value_typeEPNSK_ISF_E10value_typeEPSG_NS1_7vsmem_tEENKUlT_SE_SF_SG_E_clIS8_S8_S9_S9_EESD_ST_SE_SF_SG_EUlST_E_NS1_11comp_targetILNS1_3genE9ELNS1_11target_archE1100ELNS1_3gpuE3ELNS1_3repE0EEENS1_48merge_mergepath_partition_config_static_selectorELNS0_4arch9wavefront6targetE0EEEvSF_,"axG",@progbits,_ZN7rocprim17ROCPRIM_400000_NS6detail17trampoline_kernelINS0_14default_configENS1_38merge_sort_block_merge_config_selectorIjNS0_10empty_typeEEEZZNS1_27merge_sort_block_merge_implIS3_PjPS5_jNS1_19radix_merge_compareILb1ELb1EjNS0_19identity_decomposerEEEEE10hipError_tT0_T1_T2_jT3_P12ihipStream_tbPNSt15iterator_traitsISE_E10value_typeEPNSK_ISF_E10value_typeEPSG_NS1_7vsmem_tEENKUlT_SE_SF_SG_E_clIS8_S8_S9_S9_EESD_ST_SE_SF_SG_EUlST_E_NS1_11comp_targetILNS1_3genE9ELNS1_11target_archE1100ELNS1_3gpuE3ELNS1_3repE0EEENS1_48merge_mergepath_partition_config_static_selectorELNS0_4arch9wavefront6targetE0EEEvSF_,comdat
.Lfunc_end2589:
	.size	_ZN7rocprim17ROCPRIM_400000_NS6detail17trampoline_kernelINS0_14default_configENS1_38merge_sort_block_merge_config_selectorIjNS0_10empty_typeEEEZZNS1_27merge_sort_block_merge_implIS3_PjPS5_jNS1_19radix_merge_compareILb1ELb1EjNS0_19identity_decomposerEEEEE10hipError_tT0_T1_T2_jT3_P12ihipStream_tbPNSt15iterator_traitsISE_E10value_typeEPNSK_ISF_E10value_typeEPSG_NS1_7vsmem_tEENKUlT_SE_SF_SG_E_clIS8_S8_S9_S9_EESD_ST_SE_SF_SG_EUlST_E_NS1_11comp_targetILNS1_3genE9ELNS1_11target_archE1100ELNS1_3gpuE3ELNS1_3repE0EEENS1_48merge_mergepath_partition_config_static_selectorELNS0_4arch9wavefront6targetE0EEEvSF_, .Lfunc_end2589-_ZN7rocprim17ROCPRIM_400000_NS6detail17trampoline_kernelINS0_14default_configENS1_38merge_sort_block_merge_config_selectorIjNS0_10empty_typeEEEZZNS1_27merge_sort_block_merge_implIS3_PjPS5_jNS1_19radix_merge_compareILb1ELb1EjNS0_19identity_decomposerEEEEE10hipError_tT0_T1_T2_jT3_P12ihipStream_tbPNSt15iterator_traitsISE_E10value_typeEPNSK_ISF_E10value_typeEPSG_NS1_7vsmem_tEENKUlT_SE_SF_SG_E_clIS8_S8_S9_S9_EESD_ST_SE_SF_SG_EUlST_E_NS1_11comp_targetILNS1_3genE9ELNS1_11target_archE1100ELNS1_3gpuE3ELNS1_3repE0EEENS1_48merge_mergepath_partition_config_static_selectorELNS0_4arch9wavefront6targetE0EEEvSF_
                                        ; -- End function
	.set _ZN7rocprim17ROCPRIM_400000_NS6detail17trampoline_kernelINS0_14default_configENS1_38merge_sort_block_merge_config_selectorIjNS0_10empty_typeEEEZZNS1_27merge_sort_block_merge_implIS3_PjPS5_jNS1_19radix_merge_compareILb1ELb1EjNS0_19identity_decomposerEEEEE10hipError_tT0_T1_T2_jT3_P12ihipStream_tbPNSt15iterator_traitsISE_E10value_typeEPNSK_ISF_E10value_typeEPSG_NS1_7vsmem_tEENKUlT_SE_SF_SG_E_clIS8_S8_S9_S9_EESD_ST_SE_SF_SG_EUlST_E_NS1_11comp_targetILNS1_3genE9ELNS1_11target_archE1100ELNS1_3gpuE3ELNS1_3repE0EEENS1_48merge_mergepath_partition_config_static_selectorELNS0_4arch9wavefront6targetE0EEEvSF_.num_vgpr, 0
	.set _ZN7rocprim17ROCPRIM_400000_NS6detail17trampoline_kernelINS0_14default_configENS1_38merge_sort_block_merge_config_selectorIjNS0_10empty_typeEEEZZNS1_27merge_sort_block_merge_implIS3_PjPS5_jNS1_19radix_merge_compareILb1ELb1EjNS0_19identity_decomposerEEEEE10hipError_tT0_T1_T2_jT3_P12ihipStream_tbPNSt15iterator_traitsISE_E10value_typeEPNSK_ISF_E10value_typeEPSG_NS1_7vsmem_tEENKUlT_SE_SF_SG_E_clIS8_S8_S9_S9_EESD_ST_SE_SF_SG_EUlST_E_NS1_11comp_targetILNS1_3genE9ELNS1_11target_archE1100ELNS1_3gpuE3ELNS1_3repE0EEENS1_48merge_mergepath_partition_config_static_selectorELNS0_4arch9wavefront6targetE0EEEvSF_.num_agpr, 0
	.set _ZN7rocprim17ROCPRIM_400000_NS6detail17trampoline_kernelINS0_14default_configENS1_38merge_sort_block_merge_config_selectorIjNS0_10empty_typeEEEZZNS1_27merge_sort_block_merge_implIS3_PjPS5_jNS1_19radix_merge_compareILb1ELb1EjNS0_19identity_decomposerEEEEE10hipError_tT0_T1_T2_jT3_P12ihipStream_tbPNSt15iterator_traitsISE_E10value_typeEPNSK_ISF_E10value_typeEPSG_NS1_7vsmem_tEENKUlT_SE_SF_SG_E_clIS8_S8_S9_S9_EESD_ST_SE_SF_SG_EUlST_E_NS1_11comp_targetILNS1_3genE9ELNS1_11target_archE1100ELNS1_3gpuE3ELNS1_3repE0EEENS1_48merge_mergepath_partition_config_static_selectorELNS0_4arch9wavefront6targetE0EEEvSF_.numbered_sgpr, 0
	.set _ZN7rocprim17ROCPRIM_400000_NS6detail17trampoline_kernelINS0_14default_configENS1_38merge_sort_block_merge_config_selectorIjNS0_10empty_typeEEEZZNS1_27merge_sort_block_merge_implIS3_PjPS5_jNS1_19radix_merge_compareILb1ELb1EjNS0_19identity_decomposerEEEEE10hipError_tT0_T1_T2_jT3_P12ihipStream_tbPNSt15iterator_traitsISE_E10value_typeEPNSK_ISF_E10value_typeEPSG_NS1_7vsmem_tEENKUlT_SE_SF_SG_E_clIS8_S8_S9_S9_EESD_ST_SE_SF_SG_EUlST_E_NS1_11comp_targetILNS1_3genE9ELNS1_11target_archE1100ELNS1_3gpuE3ELNS1_3repE0EEENS1_48merge_mergepath_partition_config_static_selectorELNS0_4arch9wavefront6targetE0EEEvSF_.num_named_barrier, 0
	.set _ZN7rocprim17ROCPRIM_400000_NS6detail17trampoline_kernelINS0_14default_configENS1_38merge_sort_block_merge_config_selectorIjNS0_10empty_typeEEEZZNS1_27merge_sort_block_merge_implIS3_PjPS5_jNS1_19radix_merge_compareILb1ELb1EjNS0_19identity_decomposerEEEEE10hipError_tT0_T1_T2_jT3_P12ihipStream_tbPNSt15iterator_traitsISE_E10value_typeEPNSK_ISF_E10value_typeEPSG_NS1_7vsmem_tEENKUlT_SE_SF_SG_E_clIS8_S8_S9_S9_EESD_ST_SE_SF_SG_EUlST_E_NS1_11comp_targetILNS1_3genE9ELNS1_11target_archE1100ELNS1_3gpuE3ELNS1_3repE0EEENS1_48merge_mergepath_partition_config_static_selectorELNS0_4arch9wavefront6targetE0EEEvSF_.private_seg_size, 0
	.set _ZN7rocprim17ROCPRIM_400000_NS6detail17trampoline_kernelINS0_14default_configENS1_38merge_sort_block_merge_config_selectorIjNS0_10empty_typeEEEZZNS1_27merge_sort_block_merge_implIS3_PjPS5_jNS1_19radix_merge_compareILb1ELb1EjNS0_19identity_decomposerEEEEE10hipError_tT0_T1_T2_jT3_P12ihipStream_tbPNSt15iterator_traitsISE_E10value_typeEPNSK_ISF_E10value_typeEPSG_NS1_7vsmem_tEENKUlT_SE_SF_SG_E_clIS8_S8_S9_S9_EESD_ST_SE_SF_SG_EUlST_E_NS1_11comp_targetILNS1_3genE9ELNS1_11target_archE1100ELNS1_3gpuE3ELNS1_3repE0EEENS1_48merge_mergepath_partition_config_static_selectorELNS0_4arch9wavefront6targetE0EEEvSF_.uses_vcc, 0
	.set _ZN7rocprim17ROCPRIM_400000_NS6detail17trampoline_kernelINS0_14default_configENS1_38merge_sort_block_merge_config_selectorIjNS0_10empty_typeEEEZZNS1_27merge_sort_block_merge_implIS3_PjPS5_jNS1_19radix_merge_compareILb1ELb1EjNS0_19identity_decomposerEEEEE10hipError_tT0_T1_T2_jT3_P12ihipStream_tbPNSt15iterator_traitsISE_E10value_typeEPNSK_ISF_E10value_typeEPSG_NS1_7vsmem_tEENKUlT_SE_SF_SG_E_clIS8_S8_S9_S9_EESD_ST_SE_SF_SG_EUlST_E_NS1_11comp_targetILNS1_3genE9ELNS1_11target_archE1100ELNS1_3gpuE3ELNS1_3repE0EEENS1_48merge_mergepath_partition_config_static_selectorELNS0_4arch9wavefront6targetE0EEEvSF_.uses_flat_scratch, 0
	.set _ZN7rocprim17ROCPRIM_400000_NS6detail17trampoline_kernelINS0_14default_configENS1_38merge_sort_block_merge_config_selectorIjNS0_10empty_typeEEEZZNS1_27merge_sort_block_merge_implIS3_PjPS5_jNS1_19radix_merge_compareILb1ELb1EjNS0_19identity_decomposerEEEEE10hipError_tT0_T1_T2_jT3_P12ihipStream_tbPNSt15iterator_traitsISE_E10value_typeEPNSK_ISF_E10value_typeEPSG_NS1_7vsmem_tEENKUlT_SE_SF_SG_E_clIS8_S8_S9_S9_EESD_ST_SE_SF_SG_EUlST_E_NS1_11comp_targetILNS1_3genE9ELNS1_11target_archE1100ELNS1_3gpuE3ELNS1_3repE0EEENS1_48merge_mergepath_partition_config_static_selectorELNS0_4arch9wavefront6targetE0EEEvSF_.has_dyn_sized_stack, 0
	.set _ZN7rocprim17ROCPRIM_400000_NS6detail17trampoline_kernelINS0_14default_configENS1_38merge_sort_block_merge_config_selectorIjNS0_10empty_typeEEEZZNS1_27merge_sort_block_merge_implIS3_PjPS5_jNS1_19radix_merge_compareILb1ELb1EjNS0_19identity_decomposerEEEEE10hipError_tT0_T1_T2_jT3_P12ihipStream_tbPNSt15iterator_traitsISE_E10value_typeEPNSK_ISF_E10value_typeEPSG_NS1_7vsmem_tEENKUlT_SE_SF_SG_E_clIS8_S8_S9_S9_EESD_ST_SE_SF_SG_EUlST_E_NS1_11comp_targetILNS1_3genE9ELNS1_11target_archE1100ELNS1_3gpuE3ELNS1_3repE0EEENS1_48merge_mergepath_partition_config_static_selectorELNS0_4arch9wavefront6targetE0EEEvSF_.has_recursion, 0
	.set _ZN7rocprim17ROCPRIM_400000_NS6detail17trampoline_kernelINS0_14default_configENS1_38merge_sort_block_merge_config_selectorIjNS0_10empty_typeEEEZZNS1_27merge_sort_block_merge_implIS3_PjPS5_jNS1_19radix_merge_compareILb1ELb1EjNS0_19identity_decomposerEEEEE10hipError_tT0_T1_T2_jT3_P12ihipStream_tbPNSt15iterator_traitsISE_E10value_typeEPNSK_ISF_E10value_typeEPSG_NS1_7vsmem_tEENKUlT_SE_SF_SG_E_clIS8_S8_S9_S9_EESD_ST_SE_SF_SG_EUlST_E_NS1_11comp_targetILNS1_3genE9ELNS1_11target_archE1100ELNS1_3gpuE3ELNS1_3repE0EEENS1_48merge_mergepath_partition_config_static_selectorELNS0_4arch9wavefront6targetE0EEEvSF_.has_indirect_call, 0
	.section	.AMDGPU.csdata,"",@progbits
; Kernel info:
; codeLenInByte = 0
; TotalNumSgprs: 0
; NumVgprs: 0
; ScratchSize: 0
; MemoryBound: 0
; FloatMode: 240
; IeeeMode: 1
; LDSByteSize: 0 bytes/workgroup (compile time only)
; SGPRBlocks: 0
; VGPRBlocks: 0
; NumSGPRsForWavesPerEU: 1
; NumVGPRsForWavesPerEU: 1
; NamedBarCnt: 0
; Occupancy: 16
; WaveLimiterHint : 0
; COMPUTE_PGM_RSRC2:SCRATCH_EN: 0
; COMPUTE_PGM_RSRC2:USER_SGPR: 2
; COMPUTE_PGM_RSRC2:TRAP_HANDLER: 0
; COMPUTE_PGM_RSRC2:TGID_X_EN: 1
; COMPUTE_PGM_RSRC2:TGID_Y_EN: 0
; COMPUTE_PGM_RSRC2:TGID_Z_EN: 0
; COMPUTE_PGM_RSRC2:TIDIG_COMP_CNT: 0
	.section	.text._ZN7rocprim17ROCPRIM_400000_NS6detail17trampoline_kernelINS0_14default_configENS1_38merge_sort_block_merge_config_selectorIjNS0_10empty_typeEEEZZNS1_27merge_sort_block_merge_implIS3_PjPS5_jNS1_19radix_merge_compareILb1ELb1EjNS0_19identity_decomposerEEEEE10hipError_tT0_T1_T2_jT3_P12ihipStream_tbPNSt15iterator_traitsISE_E10value_typeEPNSK_ISF_E10value_typeEPSG_NS1_7vsmem_tEENKUlT_SE_SF_SG_E_clIS8_S8_S9_S9_EESD_ST_SE_SF_SG_EUlST_E_NS1_11comp_targetILNS1_3genE8ELNS1_11target_archE1030ELNS1_3gpuE2ELNS1_3repE0EEENS1_48merge_mergepath_partition_config_static_selectorELNS0_4arch9wavefront6targetE0EEEvSF_,"axG",@progbits,_ZN7rocprim17ROCPRIM_400000_NS6detail17trampoline_kernelINS0_14default_configENS1_38merge_sort_block_merge_config_selectorIjNS0_10empty_typeEEEZZNS1_27merge_sort_block_merge_implIS3_PjPS5_jNS1_19radix_merge_compareILb1ELb1EjNS0_19identity_decomposerEEEEE10hipError_tT0_T1_T2_jT3_P12ihipStream_tbPNSt15iterator_traitsISE_E10value_typeEPNSK_ISF_E10value_typeEPSG_NS1_7vsmem_tEENKUlT_SE_SF_SG_E_clIS8_S8_S9_S9_EESD_ST_SE_SF_SG_EUlST_E_NS1_11comp_targetILNS1_3genE8ELNS1_11target_archE1030ELNS1_3gpuE2ELNS1_3repE0EEENS1_48merge_mergepath_partition_config_static_selectorELNS0_4arch9wavefront6targetE0EEEvSF_,comdat
	.protected	_ZN7rocprim17ROCPRIM_400000_NS6detail17trampoline_kernelINS0_14default_configENS1_38merge_sort_block_merge_config_selectorIjNS0_10empty_typeEEEZZNS1_27merge_sort_block_merge_implIS3_PjPS5_jNS1_19radix_merge_compareILb1ELb1EjNS0_19identity_decomposerEEEEE10hipError_tT0_T1_T2_jT3_P12ihipStream_tbPNSt15iterator_traitsISE_E10value_typeEPNSK_ISF_E10value_typeEPSG_NS1_7vsmem_tEENKUlT_SE_SF_SG_E_clIS8_S8_S9_S9_EESD_ST_SE_SF_SG_EUlST_E_NS1_11comp_targetILNS1_3genE8ELNS1_11target_archE1030ELNS1_3gpuE2ELNS1_3repE0EEENS1_48merge_mergepath_partition_config_static_selectorELNS0_4arch9wavefront6targetE0EEEvSF_ ; -- Begin function _ZN7rocprim17ROCPRIM_400000_NS6detail17trampoline_kernelINS0_14default_configENS1_38merge_sort_block_merge_config_selectorIjNS0_10empty_typeEEEZZNS1_27merge_sort_block_merge_implIS3_PjPS5_jNS1_19radix_merge_compareILb1ELb1EjNS0_19identity_decomposerEEEEE10hipError_tT0_T1_T2_jT3_P12ihipStream_tbPNSt15iterator_traitsISE_E10value_typeEPNSK_ISF_E10value_typeEPSG_NS1_7vsmem_tEENKUlT_SE_SF_SG_E_clIS8_S8_S9_S9_EESD_ST_SE_SF_SG_EUlST_E_NS1_11comp_targetILNS1_3genE8ELNS1_11target_archE1030ELNS1_3gpuE2ELNS1_3repE0EEENS1_48merge_mergepath_partition_config_static_selectorELNS0_4arch9wavefront6targetE0EEEvSF_
	.globl	_ZN7rocprim17ROCPRIM_400000_NS6detail17trampoline_kernelINS0_14default_configENS1_38merge_sort_block_merge_config_selectorIjNS0_10empty_typeEEEZZNS1_27merge_sort_block_merge_implIS3_PjPS5_jNS1_19radix_merge_compareILb1ELb1EjNS0_19identity_decomposerEEEEE10hipError_tT0_T1_T2_jT3_P12ihipStream_tbPNSt15iterator_traitsISE_E10value_typeEPNSK_ISF_E10value_typeEPSG_NS1_7vsmem_tEENKUlT_SE_SF_SG_E_clIS8_S8_S9_S9_EESD_ST_SE_SF_SG_EUlST_E_NS1_11comp_targetILNS1_3genE8ELNS1_11target_archE1030ELNS1_3gpuE2ELNS1_3repE0EEENS1_48merge_mergepath_partition_config_static_selectorELNS0_4arch9wavefront6targetE0EEEvSF_
	.p2align	8
	.type	_ZN7rocprim17ROCPRIM_400000_NS6detail17trampoline_kernelINS0_14default_configENS1_38merge_sort_block_merge_config_selectorIjNS0_10empty_typeEEEZZNS1_27merge_sort_block_merge_implIS3_PjPS5_jNS1_19radix_merge_compareILb1ELb1EjNS0_19identity_decomposerEEEEE10hipError_tT0_T1_T2_jT3_P12ihipStream_tbPNSt15iterator_traitsISE_E10value_typeEPNSK_ISF_E10value_typeEPSG_NS1_7vsmem_tEENKUlT_SE_SF_SG_E_clIS8_S8_S9_S9_EESD_ST_SE_SF_SG_EUlST_E_NS1_11comp_targetILNS1_3genE8ELNS1_11target_archE1030ELNS1_3gpuE2ELNS1_3repE0EEENS1_48merge_mergepath_partition_config_static_selectorELNS0_4arch9wavefront6targetE0EEEvSF_,@function
_ZN7rocprim17ROCPRIM_400000_NS6detail17trampoline_kernelINS0_14default_configENS1_38merge_sort_block_merge_config_selectorIjNS0_10empty_typeEEEZZNS1_27merge_sort_block_merge_implIS3_PjPS5_jNS1_19radix_merge_compareILb1ELb1EjNS0_19identity_decomposerEEEEE10hipError_tT0_T1_T2_jT3_P12ihipStream_tbPNSt15iterator_traitsISE_E10value_typeEPNSK_ISF_E10value_typeEPSG_NS1_7vsmem_tEENKUlT_SE_SF_SG_E_clIS8_S8_S9_S9_EESD_ST_SE_SF_SG_EUlST_E_NS1_11comp_targetILNS1_3genE8ELNS1_11target_archE1030ELNS1_3gpuE2ELNS1_3repE0EEENS1_48merge_mergepath_partition_config_static_selectorELNS0_4arch9wavefront6targetE0EEEvSF_: ; @_ZN7rocprim17ROCPRIM_400000_NS6detail17trampoline_kernelINS0_14default_configENS1_38merge_sort_block_merge_config_selectorIjNS0_10empty_typeEEEZZNS1_27merge_sort_block_merge_implIS3_PjPS5_jNS1_19radix_merge_compareILb1ELb1EjNS0_19identity_decomposerEEEEE10hipError_tT0_T1_T2_jT3_P12ihipStream_tbPNSt15iterator_traitsISE_E10value_typeEPNSK_ISF_E10value_typeEPSG_NS1_7vsmem_tEENKUlT_SE_SF_SG_E_clIS8_S8_S9_S9_EESD_ST_SE_SF_SG_EUlST_E_NS1_11comp_targetILNS1_3genE8ELNS1_11target_archE1030ELNS1_3gpuE2ELNS1_3repE0EEENS1_48merge_mergepath_partition_config_static_selectorELNS0_4arch9wavefront6targetE0EEEvSF_
; %bb.0:
	.section	.rodata,"a",@progbits
	.p2align	6, 0x0
	.amdhsa_kernel _ZN7rocprim17ROCPRIM_400000_NS6detail17trampoline_kernelINS0_14default_configENS1_38merge_sort_block_merge_config_selectorIjNS0_10empty_typeEEEZZNS1_27merge_sort_block_merge_implIS3_PjPS5_jNS1_19radix_merge_compareILb1ELb1EjNS0_19identity_decomposerEEEEE10hipError_tT0_T1_T2_jT3_P12ihipStream_tbPNSt15iterator_traitsISE_E10value_typeEPNSK_ISF_E10value_typeEPSG_NS1_7vsmem_tEENKUlT_SE_SF_SG_E_clIS8_S8_S9_S9_EESD_ST_SE_SF_SG_EUlST_E_NS1_11comp_targetILNS1_3genE8ELNS1_11target_archE1030ELNS1_3gpuE2ELNS1_3repE0EEENS1_48merge_mergepath_partition_config_static_selectorELNS0_4arch9wavefront6targetE0EEEvSF_
		.amdhsa_group_segment_fixed_size 0
		.amdhsa_private_segment_fixed_size 0
		.amdhsa_kernarg_size 40
		.amdhsa_user_sgpr_count 2
		.amdhsa_user_sgpr_dispatch_ptr 0
		.amdhsa_user_sgpr_queue_ptr 0
		.amdhsa_user_sgpr_kernarg_segment_ptr 1
		.amdhsa_user_sgpr_dispatch_id 0
		.amdhsa_user_sgpr_kernarg_preload_length 0
		.amdhsa_user_sgpr_kernarg_preload_offset 0
		.amdhsa_user_sgpr_private_segment_size 0
		.amdhsa_wavefront_size32 1
		.amdhsa_uses_dynamic_stack 0
		.amdhsa_enable_private_segment 0
		.amdhsa_system_sgpr_workgroup_id_x 1
		.amdhsa_system_sgpr_workgroup_id_y 0
		.amdhsa_system_sgpr_workgroup_id_z 0
		.amdhsa_system_sgpr_workgroup_info 0
		.amdhsa_system_vgpr_workitem_id 0
		.amdhsa_next_free_vgpr 1
		.amdhsa_next_free_sgpr 1
		.amdhsa_named_barrier_count 0
		.amdhsa_reserve_vcc 0
		.amdhsa_float_round_mode_32 0
		.amdhsa_float_round_mode_16_64 0
		.amdhsa_float_denorm_mode_32 3
		.amdhsa_float_denorm_mode_16_64 3
		.amdhsa_fp16_overflow 0
		.amdhsa_memory_ordered 1
		.amdhsa_forward_progress 1
		.amdhsa_inst_pref_size 0
		.amdhsa_round_robin_scheduling 0
		.amdhsa_exception_fp_ieee_invalid_op 0
		.amdhsa_exception_fp_denorm_src 0
		.amdhsa_exception_fp_ieee_div_zero 0
		.amdhsa_exception_fp_ieee_overflow 0
		.amdhsa_exception_fp_ieee_underflow 0
		.amdhsa_exception_fp_ieee_inexact 0
		.amdhsa_exception_int_div_zero 0
	.end_amdhsa_kernel
	.section	.text._ZN7rocprim17ROCPRIM_400000_NS6detail17trampoline_kernelINS0_14default_configENS1_38merge_sort_block_merge_config_selectorIjNS0_10empty_typeEEEZZNS1_27merge_sort_block_merge_implIS3_PjPS5_jNS1_19radix_merge_compareILb1ELb1EjNS0_19identity_decomposerEEEEE10hipError_tT0_T1_T2_jT3_P12ihipStream_tbPNSt15iterator_traitsISE_E10value_typeEPNSK_ISF_E10value_typeEPSG_NS1_7vsmem_tEENKUlT_SE_SF_SG_E_clIS8_S8_S9_S9_EESD_ST_SE_SF_SG_EUlST_E_NS1_11comp_targetILNS1_3genE8ELNS1_11target_archE1030ELNS1_3gpuE2ELNS1_3repE0EEENS1_48merge_mergepath_partition_config_static_selectorELNS0_4arch9wavefront6targetE0EEEvSF_,"axG",@progbits,_ZN7rocprim17ROCPRIM_400000_NS6detail17trampoline_kernelINS0_14default_configENS1_38merge_sort_block_merge_config_selectorIjNS0_10empty_typeEEEZZNS1_27merge_sort_block_merge_implIS3_PjPS5_jNS1_19radix_merge_compareILb1ELb1EjNS0_19identity_decomposerEEEEE10hipError_tT0_T1_T2_jT3_P12ihipStream_tbPNSt15iterator_traitsISE_E10value_typeEPNSK_ISF_E10value_typeEPSG_NS1_7vsmem_tEENKUlT_SE_SF_SG_E_clIS8_S8_S9_S9_EESD_ST_SE_SF_SG_EUlST_E_NS1_11comp_targetILNS1_3genE8ELNS1_11target_archE1030ELNS1_3gpuE2ELNS1_3repE0EEENS1_48merge_mergepath_partition_config_static_selectorELNS0_4arch9wavefront6targetE0EEEvSF_,comdat
.Lfunc_end2590:
	.size	_ZN7rocprim17ROCPRIM_400000_NS6detail17trampoline_kernelINS0_14default_configENS1_38merge_sort_block_merge_config_selectorIjNS0_10empty_typeEEEZZNS1_27merge_sort_block_merge_implIS3_PjPS5_jNS1_19radix_merge_compareILb1ELb1EjNS0_19identity_decomposerEEEEE10hipError_tT0_T1_T2_jT3_P12ihipStream_tbPNSt15iterator_traitsISE_E10value_typeEPNSK_ISF_E10value_typeEPSG_NS1_7vsmem_tEENKUlT_SE_SF_SG_E_clIS8_S8_S9_S9_EESD_ST_SE_SF_SG_EUlST_E_NS1_11comp_targetILNS1_3genE8ELNS1_11target_archE1030ELNS1_3gpuE2ELNS1_3repE0EEENS1_48merge_mergepath_partition_config_static_selectorELNS0_4arch9wavefront6targetE0EEEvSF_, .Lfunc_end2590-_ZN7rocprim17ROCPRIM_400000_NS6detail17trampoline_kernelINS0_14default_configENS1_38merge_sort_block_merge_config_selectorIjNS0_10empty_typeEEEZZNS1_27merge_sort_block_merge_implIS3_PjPS5_jNS1_19radix_merge_compareILb1ELb1EjNS0_19identity_decomposerEEEEE10hipError_tT0_T1_T2_jT3_P12ihipStream_tbPNSt15iterator_traitsISE_E10value_typeEPNSK_ISF_E10value_typeEPSG_NS1_7vsmem_tEENKUlT_SE_SF_SG_E_clIS8_S8_S9_S9_EESD_ST_SE_SF_SG_EUlST_E_NS1_11comp_targetILNS1_3genE8ELNS1_11target_archE1030ELNS1_3gpuE2ELNS1_3repE0EEENS1_48merge_mergepath_partition_config_static_selectorELNS0_4arch9wavefront6targetE0EEEvSF_
                                        ; -- End function
	.set _ZN7rocprim17ROCPRIM_400000_NS6detail17trampoline_kernelINS0_14default_configENS1_38merge_sort_block_merge_config_selectorIjNS0_10empty_typeEEEZZNS1_27merge_sort_block_merge_implIS3_PjPS5_jNS1_19radix_merge_compareILb1ELb1EjNS0_19identity_decomposerEEEEE10hipError_tT0_T1_T2_jT3_P12ihipStream_tbPNSt15iterator_traitsISE_E10value_typeEPNSK_ISF_E10value_typeEPSG_NS1_7vsmem_tEENKUlT_SE_SF_SG_E_clIS8_S8_S9_S9_EESD_ST_SE_SF_SG_EUlST_E_NS1_11comp_targetILNS1_3genE8ELNS1_11target_archE1030ELNS1_3gpuE2ELNS1_3repE0EEENS1_48merge_mergepath_partition_config_static_selectorELNS0_4arch9wavefront6targetE0EEEvSF_.num_vgpr, 0
	.set _ZN7rocprim17ROCPRIM_400000_NS6detail17trampoline_kernelINS0_14default_configENS1_38merge_sort_block_merge_config_selectorIjNS0_10empty_typeEEEZZNS1_27merge_sort_block_merge_implIS3_PjPS5_jNS1_19radix_merge_compareILb1ELb1EjNS0_19identity_decomposerEEEEE10hipError_tT0_T1_T2_jT3_P12ihipStream_tbPNSt15iterator_traitsISE_E10value_typeEPNSK_ISF_E10value_typeEPSG_NS1_7vsmem_tEENKUlT_SE_SF_SG_E_clIS8_S8_S9_S9_EESD_ST_SE_SF_SG_EUlST_E_NS1_11comp_targetILNS1_3genE8ELNS1_11target_archE1030ELNS1_3gpuE2ELNS1_3repE0EEENS1_48merge_mergepath_partition_config_static_selectorELNS0_4arch9wavefront6targetE0EEEvSF_.num_agpr, 0
	.set _ZN7rocprim17ROCPRIM_400000_NS6detail17trampoline_kernelINS0_14default_configENS1_38merge_sort_block_merge_config_selectorIjNS0_10empty_typeEEEZZNS1_27merge_sort_block_merge_implIS3_PjPS5_jNS1_19radix_merge_compareILb1ELb1EjNS0_19identity_decomposerEEEEE10hipError_tT0_T1_T2_jT3_P12ihipStream_tbPNSt15iterator_traitsISE_E10value_typeEPNSK_ISF_E10value_typeEPSG_NS1_7vsmem_tEENKUlT_SE_SF_SG_E_clIS8_S8_S9_S9_EESD_ST_SE_SF_SG_EUlST_E_NS1_11comp_targetILNS1_3genE8ELNS1_11target_archE1030ELNS1_3gpuE2ELNS1_3repE0EEENS1_48merge_mergepath_partition_config_static_selectorELNS0_4arch9wavefront6targetE0EEEvSF_.numbered_sgpr, 0
	.set _ZN7rocprim17ROCPRIM_400000_NS6detail17trampoline_kernelINS0_14default_configENS1_38merge_sort_block_merge_config_selectorIjNS0_10empty_typeEEEZZNS1_27merge_sort_block_merge_implIS3_PjPS5_jNS1_19radix_merge_compareILb1ELb1EjNS0_19identity_decomposerEEEEE10hipError_tT0_T1_T2_jT3_P12ihipStream_tbPNSt15iterator_traitsISE_E10value_typeEPNSK_ISF_E10value_typeEPSG_NS1_7vsmem_tEENKUlT_SE_SF_SG_E_clIS8_S8_S9_S9_EESD_ST_SE_SF_SG_EUlST_E_NS1_11comp_targetILNS1_3genE8ELNS1_11target_archE1030ELNS1_3gpuE2ELNS1_3repE0EEENS1_48merge_mergepath_partition_config_static_selectorELNS0_4arch9wavefront6targetE0EEEvSF_.num_named_barrier, 0
	.set _ZN7rocprim17ROCPRIM_400000_NS6detail17trampoline_kernelINS0_14default_configENS1_38merge_sort_block_merge_config_selectorIjNS0_10empty_typeEEEZZNS1_27merge_sort_block_merge_implIS3_PjPS5_jNS1_19radix_merge_compareILb1ELb1EjNS0_19identity_decomposerEEEEE10hipError_tT0_T1_T2_jT3_P12ihipStream_tbPNSt15iterator_traitsISE_E10value_typeEPNSK_ISF_E10value_typeEPSG_NS1_7vsmem_tEENKUlT_SE_SF_SG_E_clIS8_S8_S9_S9_EESD_ST_SE_SF_SG_EUlST_E_NS1_11comp_targetILNS1_3genE8ELNS1_11target_archE1030ELNS1_3gpuE2ELNS1_3repE0EEENS1_48merge_mergepath_partition_config_static_selectorELNS0_4arch9wavefront6targetE0EEEvSF_.private_seg_size, 0
	.set _ZN7rocprim17ROCPRIM_400000_NS6detail17trampoline_kernelINS0_14default_configENS1_38merge_sort_block_merge_config_selectorIjNS0_10empty_typeEEEZZNS1_27merge_sort_block_merge_implIS3_PjPS5_jNS1_19radix_merge_compareILb1ELb1EjNS0_19identity_decomposerEEEEE10hipError_tT0_T1_T2_jT3_P12ihipStream_tbPNSt15iterator_traitsISE_E10value_typeEPNSK_ISF_E10value_typeEPSG_NS1_7vsmem_tEENKUlT_SE_SF_SG_E_clIS8_S8_S9_S9_EESD_ST_SE_SF_SG_EUlST_E_NS1_11comp_targetILNS1_3genE8ELNS1_11target_archE1030ELNS1_3gpuE2ELNS1_3repE0EEENS1_48merge_mergepath_partition_config_static_selectorELNS0_4arch9wavefront6targetE0EEEvSF_.uses_vcc, 0
	.set _ZN7rocprim17ROCPRIM_400000_NS6detail17trampoline_kernelINS0_14default_configENS1_38merge_sort_block_merge_config_selectorIjNS0_10empty_typeEEEZZNS1_27merge_sort_block_merge_implIS3_PjPS5_jNS1_19radix_merge_compareILb1ELb1EjNS0_19identity_decomposerEEEEE10hipError_tT0_T1_T2_jT3_P12ihipStream_tbPNSt15iterator_traitsISE_E10value_typeEPNSK_ISF_E10value_typeEPSG_NS1_7vsmem_tEENKUlT_SE_SF_SG_E_clIS8_S8_S9_S9_EESD_ST_SE_SF_SG_EUlST_E_NS1_11comp_targetILNS1_3genE8ELNS1_11target_archE1030ELNS1_3gpuE2ELNS1_3repE0EEENS1_48merge_mergepath_partition_config_static_selectorELNS0_4arch9wavefront6targetE0EEEvSF_.uses_flat_scratch, 0
	.set _ZN7rocprim17ROCPRIM_400000_NS6detail17trampoline_kernelINS0_14default_configENS1_38merge_sort_block_merge_config_selectorIjNS0_10empty_typeEEEZZNS1_27merge_sort_block_merge_implIS3_PjPS5_jNS1_19radix_merge_compareILb1ELb1EjNS0_19identity_decomposerEEEEE10hipError_tT0_T1_T2_jT3_P12ihipStream_tbPNSt15iterator_traitsISE_E10value_typeEPNSK_ISF_E10value_typeEPSG_NS1_7vsmem_tEENKUlT_SE_SF_SG_E_clIS8_S8_S9_S9_EESD_ST_SE_SF_SG_EUlST_E_NS1_11comp_targetILNS1_3genE8ELNS1_11target_archE1030ELNS1_3gpuE2ELNS1_3repE0EEENS1_48merge_mergepath_partition_config_static_selectorELNS0_4arch9wavefront6targetE0EEEvSF_.has_dyn_sized_stack, 0
	.set _ZN7rocprim17ROCPRIM_400000_NS6detail17trampoline_kernelINS0_14default_configENS1_38merge_sort_block_merge_config_selectorIjNS0_10empty_typeEEEZZNS1_27merge_sort_block_merge_implIS3_PjPS5_jNS1_19radix_merge_compareILb1ELb1EjNS0_19identity_decomposerEEEEE10hipError_tT0_T1_T2_jT3_P12ihipStream_tbPNSt15iterator_traitsISE_E10value_typeEPNSK_ISF_E10value_typeEPSG_NS1_7vsmem_tEENKUlT_SE_SF_SG_E_clIS8_S8_S9_S9_EESD_ST_SE_SF_SG_EUlST_E_NS1_11comp_targetILNS1_3genE8ELNS1_11target_archE1030ELNS1_3gpuE2ELNS1_3repE0EEENS1_48merge_mergepath_partition_config_static_selectorELNS0_4arch9wavefront6targetE0EEEvSF_.has_recursion, 0
	.set _ZN7rocprim17ROCPRIM_400000_NS6detail17trampoline_kernelINS0_14default_configENS1_38merge_sort_block_merge_config_selectorIjNS0_10empty_typeEEEZZNS1_27merge_sort_block_merge_implIS3_PjPS5_jNS1_19radix_merge_compareILb1ELb1EjNS0_19identity_decomposerEEEEE10hipError_tT0_T1_T2_jT3_P12ihipStream_tbPNSt15iterator_traitsISE_E10value_typeEPNSK_ISF_E10value_typeEPSG_NS1_7vsmem_tEENKUlT_SE_SF_SG_E_clIS8_S8_S9_S9_EESD_ST_SE_SF_SG_EUlST_E_NS1_11comp_targetILNS1_3genE8ELNS1_11target_archE1030ELNS1_3gpuE2ELNS1_3repE0EEENS1_48merge_mergepath_partition_config_static_selectorELNS0_4arch9wavefront6targetE0EEEvSF_.has_indirect_call, 0
	.section	.AMDGPU.csdata,"",@progbits
; Kernel info:
; codeLenInByte = 0
; TotalNumSgprs: 0
; NumVgprs: 0
; ScratchSize: 0
; MemoryBound: 0
; FloatMode: 240
; IeeeMode: 1
; LDSByteSize: 0 bytes/workgroup (compile time only)
; SGPRBlocks: 0
; VGPRBlocks: 0
; NumSGPRsForWavesPerEU: 1
; NumVGPRsForWavesPerEU: 1
; NamedBarCnt: 0
; Occupancy: 16
; WaveLimiterHint : 0
; COMPUTE_PGM_RSRC2:SCRATCH_EN: 0
; COMPUTE_PGM_RSRC2:USER_SGPR: 2
; COMPUTE_PGM_RSRC2:TRAP_HANDLER: 0
; COMPUTE_PGM_RSRC2:TGID_X_EN: 1
; COMPUTE_PGM_RSRC2:TGID_Y_EN: 0
; COMPUTE_PGM_RSRC2:TGID_Z_EN: 0
; COMPUTE_PGM_RSRC2:TIDIG_COMP_CNT: 0
	.section	.text._ZN7rocprim17ROCPRIM_400000_NS6detail17trampoline_kernelINS0_14default_configENS1_38merge_sort_block_merge_config_selectorIjNS0_10empty_typeEEEZZNS1_27merge_sort_block_merge_implIS3_PjPS5_jNS1_19radix_merge_compareILb1ELb1EjNS0_19identity_decomposerEEEEE10hipError_tT0_T1_T2_jT3_P12ihipStream_tbPNSt15iterator_traitsISE_E10value_typeEPNSK_ISF_E10value_typeEPSG_NS1_7vsmem_tEENKUlT_SE_SF_SG_E_clIS8_S8_S9_S9_EESD_ST_SE_SF_SG_EUlST_E0_NS1_11comp_targetILNS1_3genE0ELNS1_11target_archE4294967295ELNS1_3gpuE0ELNS1_3repE0EEENS1_38merge_mergepath_config_static_selectorELNS0_4arch9wavefront6targetE0EEEvSF_,"axG",@progbits,_ZN7rocprim17ROCPRIM_400000_NS6detail17trampoline_kernelINS0_14default_configENS1_38merge_sort_block_merge_config_selectorIjNS0_10empty_typeEEEZZNS1_27merge_sort_block_merge_implIS3_PjPS5_jNS1_19radix_merge_compareILb1ELb1EjNS0_19identity_decomposerEEEEE10hipError_tT0_T1_T2_jT3_P12ihipStream_tbPNSt15iterator_traitsISE_E10value_typeEPNSK_ISF_E10value_typeEPSG_NS1_7vsmem_tEENKUlT_SE_SF_SG_E_clIS8_S8_S9_S9_EESD_ST_SE_SF_SG_EUlST_E0_NS1_11comp_targetILNS1_3genE0ELNS1_11target_archE4294967295ELNS1_3gpuE0ELNS1_3repE0EEENS1_38merge_mergepath_config_static_selectorELNS0_4arch9wavefront6targetE0EEEvSF_,comdat
	.protected	_ZN7rocprim17ROCPRIM_400000_NS6detail17trampoline_kernelINS0_14default_configENS1_38merge_sort_block_merge_config_selectorIjNS0_10empty_typeEEEZZNS1_27merge_sort_block_merge_implIS3_PjPS5_jNS1_19radix_merge_compareILb1ELb1EjNS0_19identity_decomposerEEEEE10hipError_tT0_T1_T2_jT3_P12ihipStream_tbPNSt15iterator_traitsISE_E10value_typeEPNSK_ISF_E10value_typeEPSG_NS1_7vsmem_tEENKUlT_SE_SF_SG_E_clIS8_S8_S9_S9_EESD_ST_SE_SF_SG_EUlST_E0_NS1_11comp_targetILNS1_3genE0ELNS1_11target_archE4294967295ELNS1_3gpuE0ELNS1_3repE0EEENS1_38merge_mergepath_config_static_selectorELNS0_4arch9wavefront6targetE0EEEvSF_ ; -- Begin function _ZN7rocprim17ROCPRIM_400000_NS6detail17trampoline_kernelINS0_14default_configENS1_38merge_sort_block_merge_config_selectorIjNS0_10empty_typeEEEZZNS1_27merge_sort_block_merge_implIS3_PjPS5_jNS1_19radix_merge_compareILb1ELb1EjNS0_19identity_decomposerEEEEE10hipError_tT0_T1_T2_jT3_P12ihipStream_tbPNSt15iterator_traitsISE_E10value_typeEPNSK_ISF_E10value_typeEPSG_NS1_7vsmem_tEENKUlT_SE_SF_SG_E_clIS8_S8_S9_S9_EESD_ST_SE_SF_SG_EUlST_E0_NS1_11comp_targetILNS1_3genE0ELNS1_11target_archE4294967295ELNS1_3gpuE0ELNS1_3repE0EEENS1_38merge_mergepath_config_static_selectorELNS0_4arch9wavefront6targetE0EEEvSF_
	.globl	_ZN7rocprim17ROCPRIM_400000_NS6detail17trampoline_kernelINS0_14default_configENS1_38merge_sort_block_merge_config_selectorIjNS0_10empty_typeEEEZZNS1_27merge_sort_block_merge_implIS3_PjPS5_jNS1_19radix_merge_compareILb1ELb1EjNS0_19identity_decomposerEEEEE10hipError_tT0_T1_T2_jT3_P12ihipStream_tbPNSt15iterator_traitsISE_E10value_typeEPNSK_ISF_E10value_typeEPSG_NS1_7vsmem_tEENKUlT_SE_SF_SG_E_clIS8_S8_S9_S9_EESD_ST_SE_SF_SG_EUlST_E0_NS1_11comp_targetILNS1_3genE0ELNS1_11target_archE4294967295ELNS1_3gpuE0ELNS1_3repE0EEENS1_38merge_mergepath_config_static_selectorELNS0_4arch9wavefront6targetE0EEEvSF_
	.p2align	8
	.type	_ZN7rocprim17ROCPRIM_400000_NS6detail17trampoline_kernelINS0_14default_configENS1_38merge_sort_block_merge_config_selectorIjNS0_10empty_typeEEEZZNS1_27merge_sort_block_merge_implIS3_PjPS5_jNS1_19radix_merge_compareILb1ELb1EjNS0_19identity_decomposerEEEEE10hipError_tT0_T1_T2_jT3_P12ihipStream_tbPNSt15iterator_traitsISE_E10value_typeEPNSK_ISF_E10value_typeEPSG_NS1_7vsmem_tEENKUlT_SE_SF_SG_E_clIS8_S8_S9_S9_EESD_ST_SE_SF_SG_EUlST_E0_NS1_11comp_targetILNS1_3genE0ELNS1_11target_archE4294967295ELNS1_3gpuE0ELNS1_3repE0EEENS1_38merge_mergepath_config_static_selectorELNS0_4arch9wavefront6targetE0EEEvSF_,@function
_ZN7rocprim17ROCPRIM_400000_NS6detail17trampoline_kernelINS0_14default_configENS1_38merge_sort_block_merge_config_selectorIjNS0_10empty_typeEEEZZNS1_27merge_sort_block_merge_implIS3_PjPS5_jNS1_19radix_merge_compareILb1ELb1EjNS0_19identity_decomposerEEEEE10hipError_tT0_T1_T2_jT3_P12ihipStream_tbPNSt15iterator_traitsISE_E10value_typeEPNSK_ISF_E10value_typeEPSG_NS1_7vsmem_tEENKUlT_SE_SF_SG_E_clIS8_S8_S9_S9_EESD_ST_SE_SF_SG_EUlST_E0_NS1_11comp_targetILNS1_3genE0ELNS1_11target_archE4294967295ELNS1_3gpuE0ELNS1_3repE0EEENS1_38merge_mergepath_config_static_selectorELNS0_4arch9wavefront6targetE0EEEvSF_: ; @_ZN7rocprim17ROCPRIM_400000_NS6detail17trampoline_kernelINS0_14default_configENS1_38merge_sort_block_merge_config_selectorIjNS0_10empty_typeEEEZZNS1_27merge_sort_block_merge_implIS3_PjPS5_jNS1_19radix_merge_compareILb1ELb1EjNS0_19identity_decomposerEEEEE10hipError_tT0_T1_T2_jT3_P12ihipStream_tbPNSt15iterator_traitsISE_E10value_typeEPNSK_ISF_E10value_typeEPSG_NS1_7vsmem_tEENKUlT_SE_SF_SG_E_clIS8_S8_S9_S9_EESD_ST_SE_SF_SG_EUlST_E0_NS1_11comp_targetILNS1_3genE0ELNS1_11target_archE4294967295ELNS1_3gpuE0ELNS1_3repE0EEENS1_38merge_mergepath_config_static_selectorELNS0_4arch9wavefront6targetE0EEEvSF_
; %bb.0:
	s_bfe_u32 s2, ttmp6, 0x40010
	s_and_b32 s4, ttmp7, 0xffff
	s_add_co_i32 s5, s2, 1
	s_clause 0x1
	s_load_b64 s[10:11], s[0:1], 0x30
	s_load_b64 s[2:3], s[0:1], 0x40
	s_bfe_u32 s7, ttmp6, 0x4000c
	s_mul_i32 s5, s4, s5
	s_bfe_u32 s6, ttmp6, 0x40004
	s_add_co_i32 s7, s7, 1
	s_bfe_u32 s8, ttmp6, 0x40014
	s_add_co_i32 s6, s6, s5
	s_and_b32 s5, ttmp6, 15
	s_mul_i32 s7, ttmp9, s7
	s_lshr_b32 s9, ttmp7, 16
	s_add_co_i32 s8, s8, 1
	s_add_co_i32 s5, s5, s7
	s_mul_i32 s7, s9, s8
	s_bfe_u32 s8, ttmp6, 0x40008
	s_getreg_b32 s12, hwreg(HW_REG_IB_STS2, 6, 4)
	s_add_co_i32 s8, s8, s7
	s_cmp_eq_u32 s12, 0
	s_cselect_b32 s7, s9, s8
	s_cselect_b32 s4, s4, s6
	s_wait_kmcnt 0x0
	s_mul_i32 s7, s3, s7
	s_cselect_b32 s3, ttmp9, s5
	s_add_co_i32 s4, s7, s4
	s_mov_b32 s5, 0
	s_mul_i32 s4, s4, s2
	s_delay_alu instid0(SALU_CYCLE_1) | instskip(NEXT) | instid1(SALU_CYCLE_1)
	s_add_co_i32 s4, s4, s3
	s_cmp_ge_u32 s4, s10
	s_cbranch_scc1 .LBB2591_43
; %bb.1:
	v_mov_b32_e32 v11, 0
	s_add_nc_u64 s[6:7], s[0:1], 64
	v_lshlrev_b32_e32 v10, 2, v0
	global_load_b32 v1, v11, s[6:7] offset:14
	s_clause 0x2
	s_load_b64 s[8:9], s[0:1], 0x28
	s_load_b64 s[12:13], s[0:1], 0x38
	;; [unrolled: 1-line block ×3, first 2 shown]
	s_wait_kmcnt 0x0
	s_lshr_b32 s15, s8, 10
	s_delay_alu instid0(SALU_CYCLE_1)
	s_cmp_lg_u32 s4, s15
	s_cselect_b32 s14, -1, 0
	s_lshl_b64 s[16:17], s[4:5], 2
	s_lshr_b32 s10, s9, 9
	s_add_nc_u64 s[12:13], s[12:13], s[16:17]
	s_and_b32 s10, s10, 0x7ffffe
	s_load_b64 s[16:17], s[12:13], 0x0
	s_wait_xcnt 0x0
	s_sub_co_i32 s12, 0, s10
	s_lshl_b32 s10, s4, 10
	s_and_b32 s13, s4, s12
	s_or_b32 s20, s4, s12
	s_lshl_b32 s12, s13, 11
	s_lshl_b32 s13, s13, 10
	s_add_co_i32 s12, s12, s9
	s_sub_co_i32 s21, s10, s13
	s_sub_co_i32 s13, s12, s13
	s_add_co_i32 s12, s12, s21
	s_min_u32 s21, s8, s13
	s_add_co_i32 s9, s13, s9
	s_wait_kmcnt 0x0
	s_sub_co_i32 s13, s12, s16
	s_sub_co_i32 s22, s12, s17
	s_min_u32 s12, s8, s13
	s_addk_co_i32 s22, 0x400
	s_cmp_eq_u32 s20, -1
	s_mov_b32 s13, s5
	s_cselect_b32 s9, s9, s22
	s_cselect_b32 s22, s21, s17
	s_mov_b32 s17, s5
	s_lshl_b64 s[20:21], s[12:13], 2
	s_min_u32 s13, s9, s8
	s_sub_co_i32 s9, s22, s16
	s_lshl_b64 s[22:23], s[16:17], 2
	s_sub_co_i32 s16, s13, s12
	s_cmp_lt_u32 s3, s2
	s_mov_b32 s3, s5
	s_cselect_b32 s2, 12, 18
	s_add_nc_u64 s[12:13], s[18:19], s[22:23]
	s_add_nc_u64 s[2:3], s[6:7], s[2:3]
	s_cmp_eq_u32 s4, s15
	s_load_u16 s2, s[2:3], 0x0
	s_add_nc_u64 s[6:7], s[18:19], s[20:21]
	s_wait_loadcnt 0x0
	v_lshrrev_b32_e32 v2, 16, v1
	v_and_b32_e32 v1, 0xffff, v1
	s_delay_alu instid0(VALU_DEP_1) | instskip(SKIP_1) | instid1(VALU_DEP_1)
	v_mul_lo_u32 v1, v1, v2
	s_wait_kmcnt 0x0
	v_mul_lo_u32 v1, v1, s2
	s_mov_b32 s2, -1
	s_delay_alu instid0(VALU_DEP_1) | instskip(NEXT) | instid1(VALU_DEP_1)
	v_add_nc_u32_e32 v14, v1, v0
	v_add_nc_u32_e32 v12, v14, v1
	s_cbranch_scc1 .LBB2591_3
; %bb.2:
	v_sub_co_u32 v4, vcc_lo, v0, s9
	v_dual_mov_b32 v5, v11 :: v_dual_mov_b32 v15, v11
	v_add_nc_u64_e32 v[2:3], s[12:13], v[10:11]
	v_sub_co_u32 v8, s2, v14, s9
	s_delay_alu instid0(VALU_DEP_3) | instskip(SKIP_3) | instid1(VALU_DEP_4)
	v_lshl_add_u64 v[4:5], v[4:5], 2, s[6:7]
	v_dual_mov_b32 v9, v11 :: v_dual_mov_b32 v13, v11
	v_lshl_add_u64 v[6:7], v[14:15], 2, s[12:13]
	v_dual_mov_b32 v17, v11 :: v_dual_add_nc_u32 v18, v12, v1
	v_dual_cndmask_b32 v3, v5, v3 :: v_dual_cndmask_b32 v2, v4, v2
	s_delay_alu instid0(VALU_DEP_4) | instskip(SKIP_3) | instid1(VALU_DEP_4)
	v_lshl_add_u64 v[4:5], v[8:9], 2, s[6:7]
	v_sub_co_u32 v16, vcc_lo, v12, s9
	v_mov_b32_e32 v19, v11
	v_lshl_add_u64 v[8:9], v[12:13], 2, s[12:13]
	v_dual_cndmask_b32 v5, v5, v7, s2 :: v_dual_cndmask_b32 v4, v4, v6, s2
	v_mov_b32_e32 v21, v11
	v_lshl_add_u64 v[6:7], v[16:17], 2, s[6:7]
	v_lshl_add_u64 v[16:17], v[18:19], 2, s[12:13]
	v_sub_co_u32 v20, s2, v18, s9
	v_dual_mov_b32 v23, v11 :: v_dual_add_nc_u32 v18, v18, v1
	global_load_b32 v2, v[2:3], off
	global_load_b32 v3, v[4:5], off
	s_wait_xcnt 0x0
	v_dual_cndmask_b32 v5, v7, v9 :: v_dual_cndmask_b32 v4, v6, v8
	v_lshl_add_u64 v[6:7], v[20:21], 2, s[6:7]
	v_lshl_add_u64 v[8:9], v[18:19], 2, s[12:13]
	v_sub_co_u32 v20, vcc_lo, v18, s9
	v_dual_mov_b32 v25, v11 :: v_dual_add_nc_u32 v18, v18, v1
	s_delay_alu instid0(VALU_DEP_4) | instskip(NEXT) | instid1(VALU_DEP_3)
	v_dual_cndmask_b32 v17, v7, v17, s2 :: v_dual_cndmask_b32 v16, v6, v16, s2
	v_lshl_add_u64 v[6:7], v[20:21], 2, s[6:7]
	s_delay_alu instid0(VALU_DEP_3) | instskip(SKIP_2) | instid1(VALU_DEP_4)
	v_lshl_add_u64 v[20:21], v[18:19], 2, s[12:13]
	v_add_nc_u32_e32 v22, v18, v1
	v_sub_co_u32 v18, s2, v18, s9
	v_dual_cndmask_b32 v31, v7, v9 :: v_dual_cndmask_b32 v30, v6, v8
	global_load_b32 v4, v[4:5], off
	v_lshl_add_u64 v[18:19], v[18:19], 2, s[6:7]
	s_add_co_i32 s15, s16, s9
	s_delay_alu instid0(VALU_DEP_1) | instskip(SKIP_3) | instid1(VALU_DEP_1)
	v_cndmask_b32_e64 v18, v18, v20, s2
	v_lshl_add_u64 v[26:27], v[22:23], 2, s[12:13]
	v_add_nc_u32_e32 v24, v22, v1
	v_sub_co_u32 v22, s3, v22, s9
	v_lshl_add_u64 v[22:23], v[22:23], 2, s[6:7]
	v_cndmask_b32_e64 v19, v19, v21, s2
	s_delay_alu instid0(VALU_DEP_2) | instskip(SKIP_3) | instid1(VALU_DEP_2)
	v_cndmask_b32_e64 v21, v23, v27, s3
	v_lshl_add_u64 v[28:29], v[24:25], 2, s[12:13]
	v_sub_co_u32 v24, s4, v24, s9
	v_cndmask_b32_e64 v20, v22, v26, s3
	v_lshl_add_u64 v[6:7], v[24:25], 2, s[6:7]
	s_delay_alu instid0(VALU_DEP_1)
	v_dual_cndmask_b32 v23, v7, v29, s4 :: v_dual_cndmask_b32 v22, v6, v28, s4
	global_load_b32 v5, v[16:17], off
	global_load_b32 v6, v[30:31], off
	;; [unrolled: 1-line block ×5, first 2 shown]
	s_cbranch_execz .LBB2591_4
	s_branch .LBB2591_19
.LBB2591_3:
                                        ; implicit-def: $vgpr2_vgpr3_vgpr4_vgpr5_vgpr6_vgpr7_vgpr8_vgpr9
                                        ; implicit-def: $sgpr15
	s_and_not1_b32 vcc_lo, exec_lo, s2
	s_cbranch_vccnz .LBB2591_19
.LBB2591_4:
	s_wait_loadcnt 0x7
	v_mov_b32_e32 v2, 0
	s_add_co_i32 s15, s16, s9
	s_mov_b32 s2, exec_lo
	s_wait_loadcnt 0x5
	s_delay_alu instid0(VALU_DEP_1)
	v_dual_mov_b32 v3, v2 :: v_dual_mov_b32 v4, v2
	s_wait_loadcnt 0x3
	v_dual_mov_b32 v5, v2 :: v_dual_mov_b32 v6, v2
	s_wait_loadcnt 0x1
	;; [unrolled: 2-line block ×3, first 2 shown]
	v_mov_b32_e32 v9, v2
	v_cmpx_gt_u32_e64 s15, v0
	s_cbranch_execnz .LBB2591_44
; %bb.5:
	s_or_b32 exec_lo, exec_lo, s2
	s_delay_alu instid0(SALU_CYCLE_1)
	s_mov_b32 s2, exec_lo
	v_cmpx_gt_u32_e64 s15, v14
	s_cbranch_execnz .LBB2591_45
.LBB2591_6:
	s_or_b32 exec_lo, exec_lo, s2
	s_delay_alu instid0(SALU_CYCLE_1)
	s_mov_b32 s2, exec_lo
	v_cmpx_gt_u32_e64 s15, v12
	s_cbranch_execz .LBB2591_8
.LBB2591_7:
	v_sub_co_u32 v16, vcc_lo, v12, s9
	v_mov_b32_e32 v13, 0
	s_delay_alu instid0(VALU_DEP_1) | instskip(SKIP_1) | instid1(VALU_DEP_1)
	v_lshl_add_u64 v[14:15], v[12:13], 2, s[12:13]
	v_mov_b32_e32 v17, v13
	v_lshl_add_u64 v[16:17], v[16:17], 2, s[6:7]
	s_delay_alu instid0(VALU_DEP_1)
	v_dual_cndmask_b32 v15, v17, v15 :: v_dual_cndmask_b32 v14, v16, v14
	global_load_b32 v4, v[14:15], off
.LBB2591_8:
	s_wait_xcnt 0x0
	s_or_b32 exec_lo, exec_lo, s2
	v_add_nc_u32_e32 v12, v12, v1
	s_mov_b32 s2, exec_lo
	s_delay_alu instid0(VALU_DEP_1)
	v_cmpx_gt_u32_e64 s15, v12
	s_cbranch_execz .LBB2591_10
; %bb.9:
	v_sub_co_u32 v16, vcc_lo, v12, s9
	v_mov_b32_e32 v13, 0
	s_delay_alu instid0(VALU_DEP_1) | instskip(SKIP_1) | instid1(VALU_DEP_1)
	v_lshl_add_u64 v[14:15], v[12:13], 2, s[12:13]
	v_mov_b32_e32 v17, v13
	v_lshl_add_u64 v[16:17], v[16:17], 2, s[6:7]
	s_delay_alu instid0(VALU_DEP_1)
	v_dual_cndmask_b32 v15, v17, v15 :: v_dual_cndmask_b32 v14, v16, v14
	global_load_b32 v5, v[14:15], off
.LBB2591_10:
	s_wait_xcnt 0x0
	s_or_b32 exec_lo, exec_lo, s2
	v_add_nc_u32_e32 v12, v12, v1
	s_mov_b32 s2, exec_lo
	s_delay_alu instid0(VALU_DEP_1)
	v_cmpx_gt_u32_e64 s15, v12
	s_cbranch_execz .LBB2591_12
; %bb.11:
	v_sub_co_u32 v16, vcc_lo, v12, s9
	v_mov_b32_e32 v13, 0
	s_delay_alu instid0(VALU_DEP_1) | instskip(SKIP_1) | instid1(VALU_DEP_1)
	v_lshl_add_u64 v[14:15], v[12:13], 2, s[12:13]
	v_mov_b32_e32 v17, v13
	v_lshl_add_u64 v[16:17], v[16:17], 2, s[6:7]
	s_delay_alu instid0(VALU_DEP_1)
	v_dual_cndmask_b32 v15, v17, v15 :: v_dual_cndmask_b32 v14, v16, v14
	global_load_b32 v6, v[14:15], off
.LBB2591_12:
	;; [unrolled: 18-line block ×4, first 2 shown]
	s_wait_xcnt 0x0
	s_or_b32 exec_lo, exec_lo, s2
	v_add_nc_u32_e32 v12, v12, v1
	s_mov_b32 s2, exec_lo
	s_delay_alu instid0(VALU_DEP_1)
	v_cmpx_gt_u32_e64 s15, v12
	s_cbranch_execz .LBB2591_18
; %bb.17:
	v_mov_b32_e32 v13, 0
	s_delay_alu instid0(VALU_DEP_1) | instskip(SKIP_1) | instid1(VALU_DEP_1)
	v_lshl_add_u64 v[14:15], v[12:13], 2, s[12:13]
	v_sub_co_u32 v12, vcc_lo, v12, s9
	v_lshl_add_u64 v[12:13], v[12:13], 2, s[6:7]
	s_delay_alu instid0(VALU_DEP_1)
	v_dual_cndmask_b32 v13, v13, v15 :: v_dual_cndmask_b32 v12, v12, v14
	global_load_b32 v9, v[12:13], off
.LBB2591_18:
	s_wait_xcnt 0x0
	s_or_b32 exec_lo, exec_lo, s2
.LBB2591_19:
	s_load_b64 s[12:13], s[0:1], 0x10
	v_lshlrev_b32_e32 v1, 3, v0
	s_wait_xcnt 0x0
	s_mov_b32 s0, exec_lo
	s_wait_loadcnt 0x0
	ds_store_2addr_stride64_b32 v10, v2, v3 offset1:2
	ds_store_2addr_stride64_b32 v10, v4, v5 offset0:4 offset1:6
	ds_store_2addr_stride64_b32 v10, v6, v7 offset0:8 offset1:10
	;; [unrolled: 1-line block ×3, first 2 shown]
	s_wait_dscnt 0x0
	s_barrier_signal -1
	v_min_u32_e32 v12, s15, v1
	s_barrier_wait -1
	s_delay_alu instid0(VALU_DEP_1) | instskip(SKIP_1) | instid1(VALU_DEP_1)
	v_sub_nc_u32_e64 v11, v12, s16 clamp
	v_min_u32_e32 v13, s9, v12
	v_cmpx_lt_u32_e64 v11, v13
	s_cbranch_execz .LBB2591_23
; %bb.20:
	v_lshlrev_b32_e32 v14, 2, v12
	s_mov_b32 s1, 0
	s_delay_alu instid0(VALU_DEP_1)
	v_lshl_add_u32 v14, s9, 2, v14
.LBB2591_21:                            ; =>This Inner Loop Header: Depth=1
	v_add_nc_u32_e32 v15, v13, v11
	s_delay_alu instid0(VALU_DEP_1) | instskip(NEXT) | instid1(VALU_DEP_1)
	v_lshrrev_b32_e32 v15, 1, v15
	v_not_b32_e32 v16, v15
	v_lshlrev_b32_e32 v17, 2, v15
	s_delay_alu instid0(VALU_DEP_2)
	v_lshl_add_u32 v16, v16, 2, v14
	ds_load_b32 v17, v17
	ds_load_b32 v16, v16
	s_wait_dscnt 0x1
	v_and_b32_e32 v17, s11, v17
	s_wait_dscnt 0x0
	v_dual_add_nc_u32 v18, 1, v15 :: v_dual_bitop2_b32 v16, s11, v16 bitop3:0x40
	s_delay_alu instid0(VALU_DEP_1) | instskip(SKIP_1) | instid1(VALU_DEP_3)
	v_cmp_gt_u32_e32 vcc_lo, v16, v17
	v_cndmask_b32_e32 v13, v13, v15, vcc_lo
	v_cndmask_b32_e32 v11, v18, v11, vcc_lo
	s_delay_alu instid0(VALU_DEP_1) | instskip(SKIP_1) | instid1(SALU_CYCLE_1)
	v_cmp_ge_u32_e32 vcc_lo, v11, v13
	s_or_b32 s1, vcc_lo, s1
	s_and_not1_b32 exec_lo, exec_lo, s1
	s_cbranch_execnz .LBB2591_21
; %bb.22:
	s_or_b32 exec_lo, exec_lo, s1
.LBB2591_23:
	s_delay_alu instid0(SALU_CYCLE_1) | instskip(SKIP_2) | instid1(VALU_DEP_2)
	s_or_b32 exec_lo, exec_lo, s0
	v_sub_nc_u32_e32 v12, v12, v11
	v_cmp_ge_u32_e32 vcc_lo, s9, v11
	v_add_nc_u32_e32 v12, s9, v12
	s_delay_alu instid0(VALU_DEP_1) | instskip(SKIP_1) | instid1(SALU_CYCLE_1)
	v_cmp_ge_u32_e64 s0, s15, v12
	s_or_b32 s0, vcc_lo, s0
	s_and_saveexec_b32 s16, s0
	s_cbranch_execz .LBB2591_29
; %bb.24:
	v_cmp_gt_u32_e32 vcc_lo, s9, v11
                                        ; implicit-def: $vgpr2
	s_and_saveexec_b32 s0, vcc_lo
; %bb.25:
	v_lshlrev_b32_e32 v2, 2, v11
	ds_load_b32 v2, v2
; %bb.26:
	s_or_b32 exec_lo, exec_lo, s0
	v_cmp_le_u32_e64 s0, s15, v12
	s_mov_b32 s2, exec_lo
                                        ; implicit-def: $vgpr3
	v_cmpx_gt_u32_e64 s15, v12
; %bb.27:
	v_lshlrev_b32_e32 v3, 2, v12
	ds_load_b32 v3, v3
; %bb.28:
	s_or_b32 exec_lo, exec_lo, s2
	s_wait_dscnt 0x0
	v_and_b32_e32 v4, s11, v3
	v_and_b32_e32 v5, s11, v2
	s_delay_alu instid0(VALU_DEP_1) | instskip(SKIP_2) | instid1(SALU_CYCLE_1)
	v_cmp_le_u32_e64 s1, v4, v5
	v_mov_b32_e32 v4, s9
	s_and_b32 s1, vcc_lo, s1
	s_or_b32 vcc_lo, s0, s1
	v_cndmask_b32_e32 v5, v12, v11, vcc_lo
	s_delay_alu instid0(VALU_DEP_1) | instskip(NEXT) | instid1(VALU_DEP_1)
	v_dual_cndmask_b32 v6, s15, v4 :: v_dual_add_nc_u32 v5, 1, v5
	v_add_min_u32_e64 v6, v6, -1, v5
	v_dual_cndmask_b32 v8, v11, v5 :: v_dual_cndmask_b32 v5, v5, v12
	s_delay_alu instid0(VALU_DEP_2) | instskip(NEXT) | instid1(VALU_DEP_2)
	v_lshlrev_b32_e32 v6, 2, v6
	v_cmp_gt_u32_e64 s0, s9, v8
	s_delay_alu instid0(VALU_DEP_3) | instskip(SKIP_4) | instid1(VALU_DEP_2)
	v_cmp_le_u32_e64 s2, s15, v5
	ds_load_b32 v6, v6
	s_wait_dscnt 0x0
	v_cndmask_b32_e32 v7, v6, v3, vcc_lo
	v_cndmask_b32_e32 v6, v2, v6, vcc_lo
	v_dual_cndmask_b32 v2, v3, v2, vcc_lo :: v_dual_bitop2_b32 v9, s11, v7 bitop3:0x40
	s_delay_alu instid0(VALU_DEP_2) | instskip(NEXT) | instid1(VALU_DEP_1)
	v_and_b32_e32 v11, s11, v6
	v_cmp_le_u32_e64 s1, v9, v11
	s_and_b32 s0, s0, s1
	s_delay_alu instid0(SALU_CYCLE_1) | instskip(NEXT) | instid1(SALU_CYCLE_1)
	s_or_b32 s0, s2, s0
	v_cndmask_b32_e64 v9, v5, v8, s0
	s_delay_alu instid0(VALU_DEP_1) | instskip(NEXT) | instid1(VALU_DEP_1)
	v_dual_cndmask_b32 v11, s15, v4, s0 :: v_dual_add_nc_u32 v9, 1, v9
	v_add_min_u32_e64 v11, v11, -1, v9
	v_cndmask_b32_e64 v8, v8, v9, s0
	s_delay_alu instid0(VALU_DEP_2) | instskip(NEXT) | instid1(VALU_DEP_2)
	v_dual_cndmask_b32 v5, v9, v5, s0 :: v_dual_lshlrev_b32 v11, 2, v11
	v_cmp_gt_u32_e64 s1, s9, v8
	s_delay_alu instid0(VALU_DEP_2) | instskip(SKIP_3) | instid1(VALU_DEP_1)
	v_cmp_le_u32_e64 s3, s15, v5
	ds_load_b32 v11, v11
	s_wait_dscnt 0x0
	v_cndmask_b32_e64 v12, v11, v7, s0
	v_dual_cndmask_b32 v11, v6, v11, s0 :: v_dual_bitop2_b32 v13, s11, v12 bitop3:0x40
	s_delay_alu instid0(VALU_DEP_1) | instskip(NEXT) | instid1(VALU_DEP_1)
	v_and_b32_e32 v14, s11, v11
	v_cmp_le_u32_e64 s2, v13, v14
	s_and_b32 s1, s1, s2
	s_delay_alu instid0(SALU_CYCLE_1) | instskip(NEXT) | instid1(SALU_CYCLE_1)
	s_or_b32 s1, s3, s1
	v_cndmask_b32_e64 v9, v5, v8, s1
	s_delay_alu instid0(VALU_DEP_1) | instskip(NEXT) | instid1(VALU_DEP_1)
	v_dual_cndmask_b32 v13, s15, v4, s1 :: v_dual_add_nc_u32 v9, 1, v9
	v_add_min_u32_e64 v13, v13, -1, v9
	v_cndmask_b32_e64 v5, v9, v5, s1
	s_delay_alu instid0(VALU_DEP_2) | instskip(NEXT) | instid1(VALU_DEP_2)
	v_lshlrev_b32_e32 v13, 2, v13
	v_cmp_le_u32_e64 s4, s15, v5
	ds_load_b32 v13, v13
	s_wait_dscnt 0x0
	v_dual_cndmask_b32 v14, v13, v12, s1 :: v_dual_cndmask_b32 v13, v11, v13, s1
	s_delay_alu instid0(VALU_DEP_1) | instskip(NEXT) | instid1(VALU_DEP_2)
	v_dual_cndmask_b32 v8, v8, v9, s1 :: v_dual_bitop2_b32 v15, s11, v14 bitop3:0x40
	v_and_b32_e32 v16, s11, v13
	s_delay_alu instid0(VALU_DEP_2) | instskip(NEXT) | instid1(VALU_DEP_2)
	v_cmp_gt_u32_e64 s2, s9, v8
	v_cmp_le_u32_e64 s3, v15, v16
	s_and_b32 s2, s2, s3
	s_delay_alu instid0(SALU_CYCLE_1) | instskip(NEXT) | instid1(SALU_CYCLE_1)
	s_or_b32 s2, s4, s2
	v_cndmask_b32_e64 v9, v5, v8, s2
	s_delay_alu instid0(VALU_DEP_1) | instskip(NEXT) | instid1(VALU_DEP_1)
	v_dual_cndmask_b32 v15, s15, v4, s2 :: v_dual_add_nc_u32 v9, 1, v9
	v_add_min_u32_e64 v15, v15, -1, v9
	s_delay_alu instid0(VALU_DEP_1) | instskip(SKIP_4) | instid1(VALU_DEP_1)
	v_dual_lshlrev_b32 v15, 2, v15 :: v_dual_cndmask_b32 v5, v9, v5, s2
	ds_load_b32 v15, v15
	v_cmp_le_u32_e64 s5, s15, v5
	s_wait_dscnt 0x0
	v_dual_cndmask_b32 v16, v15, v14, s2 :: v_dual_cndmask_b32 v15, v13, v15, s2
	v_dual_cndmask_b32 v8, v8, v9, s2 :: v_dual_bitop2_b32 v17, s11, v16 bitop3:0x40
	s_delay_alu instid0(VALU_DEP_2) | instskip(NEXT) | instid1(VALU_DEP_2)
	v_and_b32_e32 v18, s11, v15
	v_cmp_gt_u32_e64 s3, s9, v8
	s_delay_alu instid0(VALU_DEP_2) | instskip(SKIP_1) | instid1(SALU_CYCLE_1)
	v_cmp_le_u32_e64 s4, v17, v18
	s_and_b32 s3, s3, s4
	s_or_b32 s3, s5, s3
	s_delay_alu instid0(SALU_CYCLE_1) | instskip(NEXT) | instid1(VALU_DEP_1)
	v_cndmask_b32_e64 v9, v5, v8, s3
	v_dual_cndmask_b32 v17, s15, v4, s3 :: v_dual_add_nc_u32 v9, 1, v9
	s_delay_alu instid0(VALU_DEP_1) | instskip(SKIP_1) | instid1(VALU_DEP_2)
	v_add_min_u32_e64 v17, v17, -1, v9
	v_cndmask_b32_e64 v5, v9, v5, s3
	v_lshlrev_b32_e32 v17, 2, v17
	s_delay_alu instid0(VALU_DEP_2) | instskip(SKIP_3) | instid1(VALU_DEP_1)
	v_cmp_le_u32_e64 s6, s15, v5
	ds_load_b32 v17, v17
	s_wait_dscnt 0x0
	v_dual_cndmask_b32 v18, v17, v16, s3 :: v_dual_cndmask_b32 v17, v15, v17, s3
	v_dual_cndmask_b32 v8, v8, v9, s3 :: v_dual_bitop2_b32 v19, s11, v18 bitop3:0x40
	s_delay_alu instid0(VALU_DEP_2) | instskip(NEXT) | instid1(VALU_DEP_2)
	v_and_b32_e32 v20, s11, v17
	v_cmp_gt_u32_e64 s4, s9, v8
	s_delay_alu instid0(VALU_DEP_2) | instskip(SKIP_1) | instid1(SALU_CYCLE_1)
	v_cmp_le_u32_e64 s5, v19, v20
	s_and_b32 s4, s4, s5
	s_or_b32 s4, s6, s4
	s_delay_alu instid0(SALU_CYCLE_1) | instskip(NEXT) | instid1(VALU_DEP_1)
	v_cndmask_b32_e64 v9, v5, v8, s4
	v_dual_cndmask_b32 v19, s15, v4, s4 :: v_dual_add_nc_u32 v9, 1, v9
	s_delay_alu instid0(VALU_DEP_1) | instskip(NEXT) | instid1(VALU_DEP_1)
	v_add_min_u32_e64 v19, v19, -1, v9
	v_dual_lshlrev_b32 v19, 2, v19 :: v_dual_cndmask_b32 v5, v9, v5, s4
	ds_load_b32 v19, v19
	v_cmp_le_u32_e64 s7, s15, v5
	s_wait_dscnt 0x0
	v_dual_cndmask_b32 v20, v19, v18, s4 :: v_dual_cndmask_b32 v19, v17, v19, s4
	s_delay_alu instid0(VALU_DEP_1) | instskip(NEXT) | instid1(VALU_DEP_2)
	v_dual_cndmask_b32 v8, v8, v9, s4 :: v_dual_bitop2_b32 v21, s11, v20 bitop3:0x40
	v_and_b32_e32 v22, s11, v19
	s_delay_alu instid0(VALU_DEP_2) | instskip(NEXT) | instid1(VALU_DEP_2)
	v_cmp_gt_u32_e64 s5, s9, v8
	v_cmp_le_u32_e64 s6, v21, v22
	s_and_b32 s5, s5, s6
	s_delay_alu instid0(SALU_CYCLE_1) | instskip(NEXT) | instid1(SALU_CYCLE_1)
	s_or_b32 s5, s7, s5
	v_cndmask_b32_e64 v9, v5, v8, s5
	s_delay_alu instid0(VALU_DEP_1) | instskip(SKIP_1) | instid1(VALU_DEP_2)
	v_dual_cndmask_b32 v4, s15, v4, s5 :: v_dual_add_nc_u32 v9, 1, v9
	v_dual_cndmask_b32 v3, v7, v6, s0 :: v_dual_cndmask_b32 v7, v18, v17, s4
	v_add_min_u32_e64 v4, v4, -1, v9
	v_cndmask_b32_e64 v8, v8, v9, s5
	v_cndmask_b32_e64 v6, v9, v5, s5
	s_delay_alu instid0(VALU_DEP_3) | instskip(NEXT) | instid1(VALU_DEP_3)
	v_dual_cndmask_b32 v5, v14, v13, s2 :: v_dual_lshlrev_b32 v4, 2, v4
	v_cmp_gt_u32_e32 vcc_lo, s9, v8
	ds_load_b32 v4, v4
	s_wait_dscnt 0x0
	v_cndmask_b32_e64 v22, v19, v4, s5
	v_cndmask_b32_e64 v21, v4, v20, s5
	;; [unrolled: 1-line block ×3, first 2 shown]
	v_cmp_le_u32_e64 s1, s15, v6
	s_delay_alu instid0(VALU_DEP_4) | instskip(NEXT) | instid1(VALU_DEP_4)
	v_dual_cndmask_b32 v6, v16, v15, s3 :: v_dual_bitop2_b32 v24, s11, v22 bitop3:0x40
	v_and_b32_e32 v23, s11, v21
	s_delay_alu instid0(VALU_DEP_1) | instskip(SKIP_1) | instid1(SALU_CYCLE_1)
	v_cmp_le_u32_e64 s0, v23, v24
	s_and_b32 s0, vcc_lo, s0
	s_or_b32 vcc_lo, s1, s0
	s_delay_alu instid0(SALU_CYCLE_1)
	v_dual_cndmask_b32 v8, v20, v19, s5 :: v_dual_cndmask_b32 v9, v21, v22, vcc_lo
.LBB2591_29:
	s_or_b32 exec_lo, exec_lo, s16
	v_or_b32_e32 v14, 0x80, v0
	v_or_b32_e32 v12, 0x100, v0
	v_and_b32_e32 v11, 0x7c, v0
	v_lshrrev_b32_e32 v13, 3, v0
	s_delay_alu instid0(VALU_DEP_3) | instskip(NEXT) | instid1(VALU_DEP_3)
	v_dual_lshrrev_b32 v15, 3, v14 :: v_dual_lshrrev_b32 v16, 3, v12
	v_lshl_add_u32 v1, v1, 2, v11
	s_delay_alu instid0(VALU_DEP_3)
	v_and_b32_e32 v11, 12, v13
	v_or_b32_e32 v13, 0x180, v0
	s_barrier_signal -1
	s_barrier_wait -1
	s_barrier_signal -1
	s_barrier_wait -1
	v_and_b32_e32 v15, 28, v15
	ds_store_2addr_b32 v1, v2, v3 offset1:1
	ds_store_2addr_b32 v1, v4, v5 offset0:2 offset1:3
	ds_store_2addr_b32 v1, v6, v7 offset0:4 offset1:5
	;; [unrolled: 1-line block ×3, first 2 shown]
	v_dual_add_nc_u32 v8, v11, v10 :: v_dual_bitop2_b32 v16, 44, v16 bitop3:0x40
	v_lshrrev_b32_e32 v1, 3, v13
	v_or_b32_e32 v6, 0x200, v0
	v_or_b32_e32 v5, 0x280, v0
	;; [unrolled: 1-line block ×3, first 2 shown]
	v_dual_add_nc_u32 v9, v15, v10 :: v_dual_add_nc_u32 v15, v16, v10
	s_delay_alu instid0(VALU_DEP_4) | instskip(SKIP_1) | instid1(VALU_DEP_4)
	v_dual_lshrrev_b32 v3, 3, v6 :: v_dual_bitop2_b32 v2, 60, v1 bitop3:0x40
	v_or_b32_e32 v1, 0x380, v0
	v_dual_lshrrev_b32 v7, 3, v5 :: v_dual_lshrrev_b32 v11, 3, v4
	s_delay_alu instid0(VALU_DEP_3) | instskip(SKIP_1) | instid1(VALU_DEP_3)
	v_add_nc_u32_e32 v16, v2, v10
	s_mov_b32 s11, 0
	v_lshrrev_b32_e32 v2, 3, v1
	v_and_b32_e32 v3, 0x4c, v3
	v_and_b32_e32 v19, 0x6c, v11
	v_mov_b32_e32 v11, 0
	s_lshl_b64 s[0:1], s[10:11], 2
	v_and_b32_e32 v7, 0x5c, v7
	v_and_b32_e32 v20, 0x7c, v2
	s_wait_kmcnt 0x0
	s_add_nc_u64 s[0:1], s[12:13], s[0:1]
	v_add_nc_u32_e32 v17, v3, v10
	v_add_nc_u64_e32 v[2:3], s[0:1], v[10:11]
	v_add_nc_u32_e32 v18, v7, v10
	v_dual_add_nc_u32 v19, v19, v10 :: v_dual_add_nc_u32 v10, v20, v10
	s_and_b32 vcc_lo, exec_lo, s14
	s_wait_dscnt 0x0
	s_cbranch_vccz .LBB2591_31
; %bb.30:
	s_barrier_signal -1
	s_barrier_wait -1
	ds_load_b32 v11, v8
	ds_load_b32 v20, v9 offset:512
	ds_load_b32 v21, v15 offset:1024
	;; [unrolled: 1-line block ×7, first 2 shown]
	s_mov_b32 s11, -1
	s_wait_dscnt 0x7
	global_store_b32 v[2:3], v11, off
	s_wait_dscnt 0x6
	global_store_b32 v[2:3], v20, off offset:512
	s_wait_dscnt 0x5
	global_store_b32 v[2:3], v21, off offset:1024
	s_wait_dscnt 0x4
	global_store_b32 v[2:3], v22, off offset:1536
	s_wait_dscnt 0x3
	global_store_b32 v[2:3], v23, off offset:2048
	s_wait_dscnt 0x2
	global_store_b32 v[2:3], v24, off offset:2560
	s_wait_dscnt 0x1
	global_store_b32 v[2:3], v25, off offset:3072
	s_cbranch_execz .LBB2591_32
	s_branch .LBB2591_41
.LBB2591_31:
                                        ; implicit-def: $vgpr7
.LBB2591_32:
	s_barrier_signal -1
	s_barrier_wait -1
	s_wait_storecnt_dscnt 0x0
	s_wait_xcnt 0x4
	ds_load_b32 v21, v9 offset:512
	ds_load_b32 v20, v15 offset:1024
	;; [unrolled: 1-line block ×7, first 2 shown]
	s_sub_co_i32 s0, s8, s10
	s_mov_b32 s1, exec_lo
	s_wait_xcnt 0x0
	v_cmpx_gt_u32_e64 s0, v0
	s_cbranch_execnz .LBB2591_46
; %bb.33:
	s_or_b32 exec_lo, exec_lo, s1
	s_delay_alu instid0(SALU_CYCLE_1)
	s_mov_b32 s1, exec_lo
	v_cmpx_gt_u32_e64 s0, v14
	s_cbranch_execnz .LBB2591_47
.LBB2591_34:
	s_or_b32 exec_lo, exec_lo, s1
	s_delay_alu instid0(SALU_CYCLE_1)
	s_mov_b32 s1, exec_lo
	v_cmpx_gt_u32_e64 s0, v12
	s_cbranch_execnz .LBB2591_48
.LBB2591_35:
	s_or_b32 exec_lo, exec_lo, s1
	s_delay_alu instid0(SALU_CYCLE_1)
	s_mov_b32 s1, exec_lo
	v_cmpx_gt_u32_e64 s0, v13
	s_cbranch_execnz .LBB2591_49
.LBB2591_36:
	s_or_b32 exec_lo, exec_lo, s1
	s_delay_alu instid0(SALU_CYCLE_1)
	s_mov_b32 s1, exec_lo
	v_cmpx_gt_u32_e64 s0, v6
	s_cbranch_execnz .LBB2591_50
.LBB2591_37:
	s_or_b32 exec_lo, exec_lo, s1
	s_delay_alu instid0(SALU_CYCLE_1)
	s_mov_b32 s1, exec_lo
	v_cmpx_gt_u32_e64 s0, v5
	s_cbranch_execnz .LBB2591_51
.LBB2591_38:
	s_or_b32 exec_lo, exec_lo, s1
	s_delay_alu instid0(SALU_CYCLE_1)
	s_mov_b32 s1, exec_lo
	v_cmpx_gt_u32_e64 s0, v4
	s_cbranch_execz .LBB2591_40
.LBB2591_39:
	s_wait_dscnt 0x1
	global_store_b32 v[2:3], v9, off offset:3072
.LBB2591_40:
	s_wait_xcnt 0x0
	s_or_b32 exec_lo, exec_lo, s1
	v_cmp_gt_u32_e64 s11, s0, v1
.LBB2591_41:
	s_wait_xcnt 0x0
	s_delay_alu instid0(VALU_DEP_1)
	s_and_saveexec_b32 s0, s11
	s_cbranch_execz .LBB2591_43
; %bb.42:
	s_wait_dscnt 0x0
	global_store_b32 v[2:3], v7, off offset:3584
.LBB2591_43:
	s_endpgm
.LBB2591_44:
	v_dual_mov_b32 v11, v2 :: v_dual_mov_b32 v5, v2
	v_sub_co_u32 v4, vcc_lo, v0, s9
	v_dual_mov_b32 v17, v2 :: v_dual_mov_b32 v18, v2
	s_delay_alu instid0(VALU_DEP_3) | instskip(NEXT) | instid1(VALU_DEP_3)
	v_add_nc_u64_e32 v[6:7], s[12:13], v[10:11]
	v_lshl_add_u64 v[4:5], v[4:5], 2, s[6:7]
	v_dual_mov_b32 v19, v2 :: v_dual_mov_b32 v20, v2
	v_dual_mov_b32 v21, v2 :: v_dual_mov_b32 v22, v2
	s_delay_alu instid0(VALU_DEP_3) | instskip(NEXT) | instid1(VALU_DEP_4)
	v_dual_mov_b32 v23, v2 :: v_dual_cndmask_b32 v5, v5, v7, vcc_lo
	v_cndmask_b32_e32 v4, v4, v6, vcc_lo
	global_load_b32 v16, v[4:5], off
	s_wait_loadcnt 0x0
	v_mov_b64_e32 v[2:3], v[16:17]
	v_mov_b64_e32 v[4:5], v[18:19]
	;; [unrolled: 1-line block ×4, first 2 shown]
	s_or_b32 exec_lo, exec_lo, s2
	s_delay_alu instid0(SALU_CYCLE_1)
	s_mov_b32 s2, exec_lo
	v_cmpx_gt_u32_e64 s15, v14
	s_cbranch_execz .LBB2591_6
.LBB2591_45:
	v_mov_b32_e32 v15, 0
	s_delay_alu instid0(VALU_DEP_1) | instskip(SKIP_1) | instid1(VALU_DEP_1)
	v_lshl_add_u64 v[16:17], v[14:15], 2, s[12:13]
	v_sub_co_u32 v14, vcc_lo, v14, s9
	v_lshl_add_u64 v[14:15], v[14:15], 2, s[6:7]
	s_delay_alu instid0(VALU_DEP_1) | instskip(SKIP_3) | instid1(SALU_CYCLE_1)
	v_dual_cndmask_b32 v15, v15, v17 :: v_dual_cndmask_b32 v14, v14, v16
	global_load_b32 v3, v[14:15], off
	s_wait_xcnt 0x0
	s_or_b32 exec_lo, exec_lo, s2
	s_mov_b32 s2, exec_lo
	v_cmpx_gt_u32_e64 s15, v12
	s_cbranch_execnz .LBB2591_7
	s_branch .LBB2591_8
.LBB2591_46:
	ds_load_b32 v0, v8
	s_wait_dscnt 0x0
	global_store_b32 v[2:3], v0, off
	s_wait_xcnt 0x0
	s_or_b32 exec_lo, exec_lo, s1
	s_delay_alu instid0(SALU_CYCLE_1)
	s_mov_b32 s1, exec_lo
	v_cmpx_gt_u32_e64 s0, v14
	s_cbranch_execz .LBB2591_34
.LBB2591_47:
	s_wait_dscnt 0x6
	global_store_b32 v[2:3], v21, off offset:512
	s_wait_xcnt 0x0
	s_or_b32 exec_lo, exec_lo, s1
	s_delay_alu instid0(SALU_CYCLE_1)
	s_mov_b32 s1, exec_lo
	v_cmpx_gt_u32_e64 s0, v12
	s_cbranch_execz .LBB2591_35
.LBB2591_48:
	s_wait_dscnt 0x5
	global_store_b32 v[2:3], v20, off offset:1024
	s_wait_xcnt 0x0
	s_or_b32 exec_lo, exec_lo, s1
	s_delay_alu instid0(SALU_CYCLE_1)
	s_mov_b32 s1, exec_lo
	v_cmpx_gt_u32_e64 s0, v13
	s_cbranch_execz .LBB2591_36
.LBB2591_49:
	s_wait_dscnt 0x4
	global_store_b32 v[2:3], v16, off offset:1536
	s_wait_xcnt 0x0
	s_or_b32 exec_lo, exec_lo, s1
	s_delay_alu instid0(SALU_CYCLE_1)
	s_mov_b32 s1, exec_lo
	v_cmpx_gt_u32_e64 s0, v6
	s_cbranch_execz .LBB2591_37
.LBB2591_50:
	s_wait_dscnt 0x3
	global_store_b32 v[2:3], v15, off offset:2048
	s_wait_xcnt 0x0
	s_or_b32 exec_lo, exec_lo, s1
	s_delay_alu instid0(SALU_CYCLE_1)
	s_mov_b32 s1, exec_lo
	v_cmpx_gt_u32_e64 s0, v5
	s_cbranch_execz .LBB2591_38
.LBB2591_51:
	s_wait_dscnt 0x2
	global_store_b32 v[2:3], v11, off offset:2560
	s_wait_xcnt 0x0
	s_or_b32 exec_lo, exec_lo, s1
	s_delay_alu instid0(SALU_CYCLE_1)
	s_mov_b32 s1, exec_lo
	v_cmpx_gt_u32_e64 s0, v4
	s_cbranch_execnz .LBB2591_39
	s_branch .LBB2591_40
	.section	.rodata,"a",@progbits
	.p2align	6, 0x0
	.amdhsa_kernel _ZN7rocprim17ROCPRIM_400000_NS6detail17trampoline_kernelINS0_14default_configENS1_38merge_sort_block_merge_config_selectorIjNS0_10empty_typeEEEZZNS1_27merge_sort_block_merge_implIS3_PjPS5_jNS1_19radix_merge_compareILb1ELb1EjNS0_19identity_decomposerEEEEE10hipError_tT0_T1_T2_jT3_P12ihipStream_tbPNSt15iterator_traitsISE_E10value_typeEPNSK_ISF_E10value_typeEPSG_NS1_7vsmem_tEENKUlT_SE_SF_SG_E_clIS8_S8_S9_S9_EESD_ST_SE_SF_SG_EUlST_E0_NS1_11comp_targetILNS1_3genE0ELNS1_11target_archE4294967295ELNS1_3gpuE0ELNS1_3repE0EEENS1_38merge_mergepath_config_static_selectorELNS0_4arch9wavefront6targetE0EEEvSF_
		.amdhsa_group_segment_fixed_size 4224
		.amdhsa_private_segment_fixed_size 0
		.amdhsa_kernarg_size 320
		.amdhsa_user_sgpr_count 2
		.amdhsa_user_sgpr_dispatch_ptr 0
		.amdhsa_user_sgpr_queue_ptr 0
		.amdhsa_user_sgpr_kernarg_segment_ptr 1
		.amdhsa_user_sgpr_dispatch_id 0
		.amdhsa_user_sgpr_kernarg_preload_length 0
		.amdhsa_user_sgpr_kernarg_preload_offset 0
		.amdhsa_user_sgpr_private_segment_size 0
		.amdhsa_wavefront_size32 1
		.amdhsa_uses_dynamic_stack 0
		.amdhsa_enable_private_segment 0
		.amdhsa_system_sgpr_workgroup_id_x 1
		.amdhsa_system_sgpr_workgroup_id_y 1
		.amdhsa_system_sgpr_workgroup_id_z 1
		.amdhsa_system_sgpr_workgroup_info 0
		.amdhsa_system_vgpr_workitem_id 0
		.amdhsa_next_free_vgpr 32
		.amdhsa_next_free_sgpr 24
		.amdhsa_named_barrier_count 0
		.amdhsa_reserve_vcc 1
		.amdhsa_float_round_mode_32 0
		.amdhsa_float_round_mode_16_64 0
		.amdhsa_float_denorm_mode_32 3
		.amdhsa_float_denorm_mode_16_64 3
		.amdhsa_fp16_overflow 0
		.amdhsa_memory_ordered 1
		.amdhsa_forward_progress 1
		.amdhsa_inst_pref_size 34
		.amdhsa_round_robin_scheduling 0
		.amdhsa_exception_fp_ieee_invalid_op 0
		.amdhsa_exception_fp_denorm_src 0
		.amdhsa_exception_fp_ieee_div_zero 0
		.amdhsa_exception_fp_ieee_overflow 0
		.amdhsa_exception_fp_ieee_underflow 0
		.amdhsa_exception_fp_ieee_inexact 0
		.amdhsa_exception_int_div_zero 0
	.end_amdhsa_kernel
	.section	.text._ZN7rocprim17ROCPRIM_400000_NS6detail17trampoline_kernelINS0_14default_configENS1_38merge_sort_block_merge_config_selectorIjNS0_10empty_typeEEEZZNS1_27merge_sort_block_merge_implIS3_PjPS5_jNS1_19radix_merge_compareILb1ELb1EjNS0_19identity_decomposerEEEEE10hipError_tT0_T1_T2_jT3_P12ihipStream_tbPNSt15iterator_traitsISE_E10value_typeEPNSK_ISF_E10value_typeEPSG_NS1_7vsmem_tEENKUlT_SE_SF_SG_E_clIS8_S8_S9_S9_EESD_ST_SE_SF_SG_EUlST_E0_NS1_11comp_targetILNS1_3genE0ELNS1_11target_archE4294967295ELNS1_3gpuE0ELNS1_3repE0EEENS1_38merge_mergepath_config_static_selectorELNS0_4arch9wavefront6targetE0EEEvSF_,"axG",@progbits,_ZN7rocprim17ROCPRIM_400000_NS6detail17trampoline_kernelINS0_14default_configENS1_38merge_sort_block_merge_config_selectorIjNS0_10empty_typeEEEZZNS1_27merge_sort_block_merge_implIS3_PjPS5_jNS1_19radix_merge_compareILb1ELb1EjNS0_19identity_decomposerEEEEE10hipError_tT0_T1_T2_jT3_P12ihipStream_tbPNSt15iterator_traitsISE_E10value_typeEPNSK_ISF_E10value_typeEPSG_NS1_7vsmem_tEENKUlT_SE_SF_SG_E_clIS8_S8_S9_S9_EESD_ST_SE_SF_SG_EUlST_E0_NS1_11comp_targetILNS1_3genE0ELNS1_11target_archE4294967295ELNS1_3gpuE0ELNS1_3repE0EEENS1_38merge_mergepath_config_static_selectorELNS0_4arch9wavefront6targetE0EEEvSF_,comdat
.Lfunc_end2591:
	.size	_ZN7rocprim17ROCPRIM_400000_NS6detail17trampoline_kernelINS0_14default_configENS1_38merge_sort_block_merge_config_selectorIjNS0_10empty_typeEEEZZNS1_27merge_sort_block_merge_implIS3_PjPS5_jNS1_19radix_merge_compareILb1ELb1EjNS0_19identity_decomposerEEEEE10hipError_tT0_T1_T2_jT3_P12ihipStream_tbPNSt15iterator_traitsISE_E10value_typeEPNSK_ISF_E10value_typeEPSG_NS1_7vsmem_tEENKUlT_SE_SF_SG_E_clIS8_S8_S9_S9_EESD_ST_SE_SF_SG_EUlST_E0_NS1_11comp_targetILNS1_3genE0ELNS1_11target_archE4294967295ELNS1_3gpuE0ELNS1_3repE0EEENS1_38merge_mergepath_config_static_selectorELNS0_4arch9wavefront6targetE0EEEvSF_, .Lfunc_end2591-_ZN7rocprim17ROCPRIM_400000_NS6detail17trampoline_kernelINS0_14default_configENS1_38merge_sort_block_merge_config_selectorIjNS0_10empty_typeEEEZZNS1_27merge_sort_block_merge_implIS3_PjPS5_jNS1_19radix_merge_compareILb1ELb1EjNS0_19identity_decomposerEEEEE10hipError_tT0_T1_T2_jT3_P12ihipStream_tbPNSt15iterator_traitsISE_E10value_typeEPNSK_ISF_E10value_typeEPSG_NS1_7vsmem_tEENKUlT_SE_SF_SG_E_clIS8_S8_S9_S9_EESD_ST_SE_SF_SG_EUlST_E0_NS1_11comp_targetILNS1_3genE0ELNS1_11target_archE4294967295ELNS1_3gpuE0ELNS1_3repE0EEENS1_38merge_mergepath_config_static_selectorELNS0_4arch9wavefront6targetE0EEEvSF_
                                        ; -- End function
	.set _ZN7rocprim17ROCPRIM_400000_NS6detail17trampoline_kernelINS0_14default_configENS1_38merge_sort_block_merge_config_selectorIjNS0_10empty_typeEEEZZNS1_27merge_sort_block_merge_implIS3_PjPS5_jNS1_19radix_merge_compareILb1ELb1EjNS0_19identity_decomposerEEEEE10hipError_tT0_T1_T2_jT3_P12ihipStream_tbPNSt15iterator_traitsISE_E10value_typeEPNSK_ISF_E10value_typeEPSG_NS1_7vsmem_tEENKUlT_SE_SF_SG_E_clIS8_S8_S9_S9_EESD_ST_SE_SF_SG_EUlST_E0_NS1_11comp_targetILNS1_3genE0ELNS1_11target_archE4294967295ELNS1_3gpuE0ELNS1_3repE0EEENS1_38merge_mergepath_config_static_selectorELNS0_4arch9wavefront6targetE0EEEvSF_.num_vgpr, 32
	.set _ZN7rocprim17ROCPRIM_400000_NS6detail17trampoline_kernelINS0_14default_configENS1_38merge_sort_block_merge_config_selectorIjNS0_10empty_typeEEEZZNS1_27merge_sort_block_merge_implIS3_PjPS5_jNS1_19radix_merge_compareILb1ELb1EjNS0_19identity_decomposerEEEEE10hipError_tT0_T1_T2_jT3_P12ihipStream_tbPNSt15iterator_traitsISE_E10value_typeEPNSK_ISF_E10value_typeEPSG_NS1_7vsmem_tEENKUlT_SE_SF_SG_E_clIS8_S8_S9_S9_EESD_ST_SE_SF_SG_EUlST_E0_NS1_11comp_targetILNS1_3genE0ELNS1_11target_archE4294967295ELNS1_3gpuE0ELNS1_3repE0EEENS1_38merge_mergepath_config_static_selectorELNS0_4arch9wavefront6targetE0EEEvSF_.num_agpr, 0
	.set _ZN7rocprim17ROCPRIM_400000_NS6detail17trampoline_kernelINS0_14default_configENS1_38merge_sort_block_merge_config_selectorIjNS0_10empty_typeEEEZZNS1_27merge_sort_block_merge_implIS3_PjPS5_jNS1_19radix_merge_compareILb1ELb1EjNS0_19identity_decomposerEEEEE10hipError_tT0_T1_T2_jT3_P12ihipStream_tbPNSt15iterator_traitsISE_E10value_typeEPNSK_ISF_E10value_typeEPSG_NS1_7vsmem_tEENKUlT_SE_SF_SG_E_clIS8_S8_S9_S9_EESD_ST_SE_SF_SG_EUlST_E0_NS1_11comp_targetILNS1_3genE0ELNS1_11target_archE4294967295ELNS1_3gpuE0ELNS1_3repE0EEENS1_38merge_mergepath_config_static_selectorELNS0_4arch9wavefront6targetE0EEEvSF_.numbered_sgpr, 24
	.set _ZN7rocprim17ROCPRIM_400000_NS6detail17trampoline_kernelINS0_14default_configENS1_38merge_sort_block_merge_config_selectorIjNS0_10empty_typeEEEZZNS1_27merge_sort_block_merge_implIS3_PjPS5_jNS1_19radix_merge_compareILb1ELb1EjNS0_19identity_decomposerEEEEE10hipError_tT0_T1_T2_jT3_P12ihipStream_tbPNSt15iterator_traitsISE_E10value_typeEPNSK_ISF_E10value_typeEPSG_NS1_7vsmem_tEENKUlT_SE_SF_SG_E_clIS8_S8_S9_S9_EESD_ST_SE_SF_SG_EUlST_E0_NS1_11comp_targetILNS1_3genE0ELNS1_11target_archE4294967295ELNS1_3gpuE0ELNS1_3repE0EEENS1_38merge_mergepath_config_static_selectorELNS0_4arch9wavefront6targetE0EEEvSF_.num_named_barrier, 0
	.set _ZN7rocprim17ROCPRIM_400000_NS6detail17trampoline_kernelINS0_14default_configENS1_38merge_sort_block_merge_config_selectorIjNS0_10empty_typeEEEZZNS1_27merge_sort_block_merge_implIS3_PjPS5_jNS1_19radix_merge_compareILb1ELb1EjNS0_19identity_decomposerEEEEE10hipError_tT0_T1_T2_jT3_P12ihipStream_tbPNSt15iterator_traitsISE_E10value_typeEPNSK_ISF_E10value_typeEPSG_NS1_7vsmem_tEENKUlT_SE_SF_SG_E_clIS8_S8_S9_S9_EESD_ST_SE_SF_SG_EUlST_E0_NS1_11comp_targetILNS1_3genE0ELNS1_11target_archE4294967295ELNS1_3gpuE0ELNS1_3repE0EEENS1_38merge_mergepath_config_static_selectorELNS0_4arch9wavefront6targetE0EEEvSF_.private_seg_size, 0
	.set _ZN7rocprim17ROCPRIM_400000_NS6detail17trampoline_kernelINS0_14default_configENS1_38merge_sort_block_merge_config_selectorIjNS0_10empty_typeEEEZZNS1_27merge_sort_block_merge_implIS3_PjPS5_jNS1_19radix_merge_compareILb1ELb1EjNS0_19identity_decomposerEEEEE10hipError_tT0_T1_T2_jT3_P12ihipStream_tbPNSt15iterator_traitsISE_E10value_typeEPNSK_ISF_E10value_typeEPSG_NS1_7vsmem_tEENKUlT_SE_SF_SG_E_clIS8_S8_S9_S9_EESD_ST_SE_SF_SG_EUlST_E0_NS1_11comp_targetILNS1_3genE0ELNS1_11target_archE4294967295ELNS1_3gpuE0ELNS1_3repE0EEENS1_38merge_mergepath_config_static_selectorELNS0_4arch9wavefront6targetE0EEEvSF_.uses_vcc, 1
	.set _ZN7rocprim17ROCPRIM_400000_NS6detail17trampoline_kernelINS0_14default_configENS1_38merge_sort_block_merge_config_selectorIjNS0_10empty_typeEEEZZNS1_27merge_sort_block_merge_implIS3_PjPS5_jNS1_19radix_merge_compareILb1ELb1EjNS0_19identity_decomposerEEEEE10hipError_tT0_T1_T2_jT3_P12ihipStream_tbPNSt15iterator_traitsISE_E10value_typeEPNSK_ISF_E10value_typeEPSG_NS1_7vsmem_tEENKUlT_SE_SF_SG_E_clIS8_S8_S9_S9_EESD_ST_SE_SF_SG_EUlST_E0_NS1_11comp_targetILNS1_3genE0ELNS1_11target_archE4294967295ELNS1_3gpuE0ELNS1_3repE0EEENS1_38merge_mergepath_config_static_selectorELNS0_4arch9wavefront6targetE0EEEvSF_.uses_flat_scratch, 0
	.set _ZN7rocprim17ROCPRIM_400000_NS6detail17trampoline_kernelINS0_14default_configENS1_38merge_sort_block_merge_config_selectorIjNS0_10empty_typeEEEZZNS1_27merge_sort_block_merge_implIS3_PjPS5_jNS1_19radix_merge_compareILb1ELb1EjNS0_19identity_decomposerEEEEE10hipError_tT0_T1_T2_jT3_P12ihipStream_tbPNSt15iterator_traitsISE_E10value_typeEPNSK_ISF_E10value_typeEPSG_NS1_7vsmem_tEENKUlT_SE_SF_SG_E_clIS8_S8_S9_S9_EESD_ST_SE_SF_SG_EUlST_E0_NS1_11comp_targetILNS1_3genE0ELNS1_11target_archE4294967295ELNS1_3gpuE0ELNS1_3repE0EEENS1_38merge_mergepath_config_static_selectorELNS0_4arch9wavefront6targetE0EEEvSF_.has_dyn_sized_stack, 0
	.set _ZN7rocprim17ROCPRIM_400000_NS6detail17trampoline_kernelINS0_14default_configENS1_38merge_sort_block_merge_config_selectorIjNS0_10empty_typeEEEZZNS1_27merge_sort_block_merge_implIS3_PjPS5_jNS1_19radix_merge_compareILb1ELb1EjNS0_19identity_decomposerEEEEE10hipError_tT0_T1_T2_jT3_P12ihipStream_tbPNSt15iterator_traitsISE_E10value_typeEPNSK_ISF_E10value_typeEPSG_NS1_7vsmem_tEENKUlT_SE_SF_SG_E_clIS8_S8_S9_S9_EESD_ST_SE_SF_SG_EUlST_E0_NS1_11comp_targetILNS1_3genE0ELNS1_11target_archE4294967295ELNS1_3gpuE0ELNS1_3repE0EEENS1_38merge_mergepath_config_static_selectorELNS0_4arch9wavefront6targetE0EEEvSF_.has_recursion, 0
	.set _ZN7rocprim17ROCPRIM_400000_NS6detail17trampoline_kernelINS0_14default_configENS1_38merge_sort_block_merge_config_selectorIjNS0_10empty_typeEEEZZNS1_27merge_sort_block_merge_implIS3_PjPS5_jNS1_19radix_merge_compareILb1ELb1EjNS0_19identity_decomposerEEEEE10hipError_tT0_T1_T2_jT3_P12ihipStream_tbPNSt15iterator_traitsISE_E10value_typeEPNSK_ISF_E10value_typeEPSG_NS1_7vsmem_tEENKUlT_SE_SF_SG_E_clIS8_S8_S9_S9_EESD_ST_SE_SF_SG_EUlST_E0_NS1_11comp_targetILNS1_3genE0ELNS1_11target_archE4294967295ELNS1_3gpuE0ELNS1_3repE0EEENS1_38merge_mergepath_config_static_selectorELNS0_4arch9wavefront6targetE0EEEvSF_.has_indirect_call, 0
	.section	.AMDGPU.csdata,"",@progbits
; Kernel info:
; codeLenInByte = 4260
; TotalNumSgprs: 26
; NumVgprs: 32
; ScratchSize: 0
; MemoryBound: 0
; FloatMode: 240
; IeeeMode: 1
; LDSByteSize: 4224 bytes/workgroup (compile time only)
; SGPRBlocks: 0
; VGPRBlocks: 1
; NumSGPRsForWavesPerEU: 26
; NumVGPRsForWavesPerEU: 32
; NamedBarCnt: 0
; Occupancy: 16
; WaveLimiterHint : 1
; COMPUTE_PGM_RSRC2:SCRATCH_EN: 0
; COMPUTE_PGM_RSRC2:USER_SGPR: 2
; COMPUTE_PGM_RSRC2:TRAP_HANDLER: 0
; COMPUTE_PGM_RSRC2:TGID_X_EN: 1
; COMPUTE_PGM_RSRC2:TGID_Y_EN: 1
; COMPUTE_PGM_RSRC2:TGID_Z_EN: 1
; COMPUTE_PGM_RSRC2:TIDIG_COMP_CNT: 0
	.section	.text._ZN7rocprim17ROCPRIM_400000_NS6detail17trampoline_kernelINS0_14default_configENS1_38merge_sort_block_merge_config_selectorIjNS0_10empty_typeEEEZZNS1_27merge_sort_block_merge_implIS3_PjPS5_jNS1_19radix_merge_compareILb1ELb1EjNS0_19identity_decomposerEEEEE10hipError_tT0_T1_T2_jT3_P12ihipStream_tbPNSt15iterator_traitsISE_E10value_typeEPNSK_ISF_E10value_typeEPSG_NS1_7vsmem_tEENKUlT_SE_SF_SG_E_clIS8_S8_S9_S9_EESD_ST_SE_SF_SG_EUlST_E0_NS1_11comp_targetILNS1_3genE10ELNS1_11target_archE1201ELNS1_3gpuE5ELNS1_3repE0EEENS1_38merge_mergepath_config_static_selectorELNS0_4arch9wavefront6targetE0EEEvSF_,"axG",@progbits,_ZN7rocprim17ROCPRIM_400000_NS6detail17trampoline_kernelINS0_14default_configENS1_38merge_sort_block_merge_config_selectorIjNS0_10empty_typeEEEZZNS1_27merge_sort_block_merge_implIS3_PjPS5_jNS1_19radix_merge_compareILb1ELb1EjNS0_19identity_decomposerEEEEE10hipError_tT0_T1_T2_jT3_P12ihipStream_tbPNSt15iterator_traitsISE_E10value_typeEPNSK_ISF_E10value_typeEPSG_NS1_7vsmem_tEENKUlT_SE_SF_SG_E_clIS8_S8_S9_S9_EESD_ST_SE_SF_SG_EUlST_E0_NS1_11comp_targetILNS1_3genE10ELNS1_11target_archE1201ELNS1_3gpuE5ELNS1_3repE0EEENS1_38merge_mergepath_config_static_selectorELNS0_4arch9wavefront6targetE0EEEvSF_,comdat
	.protected	_ZN7rocprim17ROCPRIM_400000_NS6detail17trampoline_kernelINS0_14default_configENS1_38merge_sort_block_merge_config_selectorIjNS0_10empty_typeEEEZZNS1_27merge_sort_block_merge_implIS3_PjPS5_jNS1_19radix_merge_compareILb1ELb1EjNS0_19identity_decomposerEEEEE10hipError_tT0_T1_T2_jT3_P12ihipStream_tbPNSt15iterator_traitsISE_E10value_typeEPNSK_ISF_E10value_typeEPSG_NS1_7vsmem_tEENKUlT_SE_SF_SG_E_clIS8_S8_S9_S9_EESD_ST_SE_SF_SG_EUlST_E0_NS1_11comp_targetILNS1_3genE10ELNS1_11target_archE1201ELNS1_3gpuE5ELNS1_3repE0EEENS1_38merge_mergepath_config_static_selectorELNS0_4arch9wavefront6targetE0EEEvSF_ ; -- Begin function _ZN7rocprim17ROCPRIM_400000_NS6detail17trampoline_kernelINS0_14default_configENS1_38merge_sort_block_merge_config_selectorIjNS0_10empty_typeEEEZZNS1_27merge_sort_block_merge_implIS3_PjPS5_jNS1_19radix_merge_compareILb1ELb1EjNS0_19identity_decomposerEEEEE10hipError_tT0_T1_T2_jT3_P12ihipStream_tbPNSt15iterator_traitsISE_E10value_typeEPNSK_ISF_E10value_typeEPSG_NS1_7vsmem_tEENKUlT_SE_SF_SG_E_clIS8_S8_S9_S9_EESD_ST_SE_SF_SG_EUlST_E0_NS1_11comp_targetILNS1_3genE10ELNS1_11target_archE1201ELNS1_3gpuE5ELNS1_3repE0EEENS1_38merge_mergepath_config_static_selectorELNS0_4arch9wavefront6targetE0EEEvSF_
	.globl	_ZN7rocprim17ROCPRIM_400000_NS6detail17trampoline_kernelINS0_14default_configENS1_38merge_sort_block_merge_config_selectorIjNS0_10empty_typeEEEZZNS1_27merge_sort_block_merge_implIS3_PjPS5_jNS1_19radix_merge_compareILb1ELb1EjNS0_19identity_decomposerEEEEE10hipError_tT0_T1_T2_jT3_P12ihipStream_tbPNSt15iterator_traitsISE_E10value_typeEPNSK_ISF_E10value_typeEPSG_NS1_7vsmem_tEENKUlT_SE_SF_SG_E_clIS8_S8_S9_S9_EESD_ST_SE_SF_SG_EUlST_E0_NS1_11comp_targetILNS1_3genE10ELNS1_11target_archE1201ELNS1_3gpuE5ELNS1_3repE0EEENS1_38merge_mergepath_config_static_selectorELNS0_4arch9wavefront6targetE0EEEvSF_
	.p2align	8
	.type	_ZN7rocprim17ROCPRIM_400000_NS6detail17trampoline_kernelINS0_14default_configENS1_38merge_sort_block_merge_config_selectorIjNS0_10empty_typeEEEZZNS1_27merge_sort_block_merge_implIS3_PjPS5_jNS1_19radix_merge_compareILb1ELb1EjNS0_19identity_decomposerEEEEE10hipError_tT0_T1_T2_jT3_P12ihipStream_tbPNSt15iterator_traitsISE_E10value_typeEPNSK_ISF_E10value_typeEPSG_NS1_7vsmem_tEENKUlT_SE_SF_SG_E_clIS8_S8_S9_S9_EESD_ST_SE_SF_SG_EUlST_E0_NS1_11comp_targetILNS1_3genE10ELNS1_11target_archE1201ELNS1_3gpuE5ELNS1_3repE0EEENS1_38merge_mergepath_config_static_selectorELNS0_4arch9wavefront6targetE0EEEvSF_,@function
_ZN7rocprim17ROCPRIM_400000_NS6detail17trampoline_kernelINS0_14default_configENS1_38merge_sort_block_merge_config_selectorIjNS0_10empty_typeEEEZZNS1_27merge_sort_block_merge_implIS3_PjPS5_jNS1_19radix_merge_compareILb1ELb1EjNS0_19identity_decomposerEEEEE10hipError_tT0_T1_T2_jT3_P12ihipStream_tbPNSt15iterator_traitsISE_E10value_typeEPNSK_ISF_E10value_typeEPSG_NS1_7vsmem_tEENKUlT_SE_SF_SG_E_clIS8_S8_S9_S9_EESD_ST_SE_SF_SG_EUlST_E0_NS1_11comp_targetILNS1_3genE10ELNS1_11target_archE1201ELNS1_3gpuE5ELNS1_3repE0EEENS1_38merge_mergepath_config_static_selectorELNS0_4arch9wavefront6targetE0EEEvSF_: ; @_ZN7rocprim17ROCPRIM_400000_NS6detail17trampoline_kernelINS0_14default_configENS1_38merge_sort_block_merge_config_selectorIjNS0_10empty_typeEEEZZNS1_27merge_sort_block_merge_implIS3_PjPS5_jNS1_19radix_merge_compareILb1ELb1EjNS0_19identity_decomposerEEEEE10hipError_tT0_T1_T2_jT3_P12ihipStream_tbPNSt15iterator_traitsISE_E10value_typeEPNSK_ISF_E10value_typeEPSG_NS1_7vsmem_tEENKUlT_SE_SF_SG_E_clIS8_S8_S9_S9_EESD_ST_SE_SF_SG_EUlST_E0_NS1_11comp_targetILNS1_3genE10ELNS1_11target_archE1201ELNS1_3gpuE5ELNS1_3repE0EEENS1_38merge_mergepath_config_static_selectorELNS0_4arch9wavefront6targetE0EEEvSF_
; %bb.0:
	.section	.rodata,"a",@progbits
	.p2align	6, 0x0
	.amdhsa_kernel _ZN7rocprim17ROCPRIM_400000_NS6detail17trampoline_kernelINS0_14default_configENS1_38merge_sort_block_merge_config_selectorIjNS0_10empty_typeEEEZZNS1_27merge_sort_block_merge_implIS3_PjPS5_jNS1_19radix_merge_compareILb1ELb1EjNS0_19identity_decomposerEEEEE10hipError_tT0_T1_T2_jT3_P12ihipStream_tbPNSt15iterator_traitsISE_E10value_typeEPNSK_ISF_E10value_typeEPSG_NS1_7vsmem_tEENKUlT_SE_SF_SG_E_clIS8_S8_S9_S9_EESD_ST_SE_SF_SG_EUlST_E0_NS1_11comp_targetILNS1_3genE10ELNS1_11target_archE1201ELNS1_3gpuE5ELNS1_3repE0EEENS1_38merge_mergepath_config_static_selectorELNS0_4arch9wavefront6targetE0EEEvSF_
		.amdhsa_group_segment_fixed_size 0
		.amdhsa_private_segment_fixed_size 0
		.amdhsa_kernarg_size 64
		.amdhsa_user_sgpr_count 2
		.amdhsa_user_sgpr_dispatch_ptr 0
		.amdhsa_user_sgpr_queue_ptr 0
		.amdhsa_user_sgpr_kernarg_segment_ptr 1
		.amdhsa_user_sgpr_dispatch_id 0
		.amdhsa_user_sgpr_kernarg_preload_length 0
		.amdhsa_user_sgpr_kernarg_preload_offset 0
		.amdhsa_user_sgpr_private_segment_size 0
		.amdhsa_wavefront_size32 1
		.amdhsa_uses_dynamic_stack 0
		.amdhsa_enable_private_segment 0
		.amdhsa_system_sgpr_workgroup_id_x 1
		.amdhsa_system_sgpr_workgroup_id_y 0
		.amdhsa_system_sgpr_workgroup_id_z 0
		.amdhsa_system_sgpr_workgroup_info 0
		.amdhsa_system_vgpr_workitem_id 0
		.amdhsa_next_free_vgpr 1
		.amdhsa_next_free_sgpr 1
		.amdhsa_named_barrier_count 0
		.amdhsa_reserve_vcc 0
		.amdhsa_float_round_mode_32 0
		.amdhsa_float_round_mode_16_64 0
		.amdhsa_float_denorm_mode_32 3
		.amdhsa_float_denorm_mode_16_64 3
		.amdhsa_fp16_overflow 0
		.amdhsa_memory_ordered 1
		.amdhsa_forward_progress 1
		.amdhsa_inst_pref_size 0
		.amdhsa_round_robin_scheduling 0
		.amdhsa_exception_fp_ieee_invalid_op 0
		.amdhsa_exception_fp_denorm_src 0
		.amdhsa_exception_fp_ieee_div_zero 0
		.amdhsa_exception_fp_ieee_overflow 0
		.amdhsa_exception_fp_ieee_underflow 0
		.amdhsa_exception_fp_ieee_inexact 0
		.amdhsa_exception_int_div_zero 0
	.end_amdhsa_kernel
	.section	.text._ZN7rocprim17ROCPRIM_400000_NS6detail17trampoline_kernelINS0_14default_configENS1_38merge_sort_block_merge_config_selectorIjNS0_10empty_typeEEEZZNS1_27merge_sort_block_merge_implIS3_PjPS5_jNS1_19radix_merge_compareILb1ELb1EjNS0_19identity_decomposerEEEEE10hipError_tT0_T1_T2_jT3_P12ihipStream_tbPNSt15iterator_traitsISE_E10value_typeEPNSK_ISF_E10value_typeEPSG_NS1_7vsmem_tEENKUlT_SE_SF_SG_E_clIS8_S8_S9_S9_EESD_ST_SE_SF_SG_EUlST_E0_NS1_11comp_targetILNS1_3genE10ELNS1_11target_archE1201ELNS1_3gpuE5ELNS1_3repE0EEENS1_38merge_mergepath_config_static_selectorELNS0_4arch9wavefront6targetE0EEEvSF_,"axG",@progbits,_ZN7rocprim17ROCPRIM_400000_NS6detail17trampoline_kernelINS0_14default_configENS1_38merge_sort_block_merge_config_selectorIjNS0_10empty_typeEEEZZNS1_27merge_sort_block_merge_implIS3_PjPS5_jNS1_19radix_merge_compareILb1ELb1EjNS0_19identity_decomposerEEEEE10hipError_tT0_T1_T2_jT3_P12ihipStream_tbPNSt15iterator_traitsISE_E10value_typeEPNSK_ISF_E10value_typeEPSG_NS1_7vsmem_tEENKUlT_SE_SF_SG_E_clIS8_S8_S9_S9_EESD_ST_SE_SF_SG_EUlST_E0_NS1_11comp_targetILNS1_3genE10ELNS1_11target_archE1201ELNS1_3gpuE5ELNS1_3repE0EEENS1_38merge_mergepath_config_static_selectorELNS0_4arch9wavefront6targetE0EEEvSF_,comdat
.Lfunc_end2592:
	.size	_ZN7rocprim17ROCPRIM_400000_NS6detail17trampoline_kernelINS0_14default_configENS1_38merge_sort_block_merge_config_selectorIjNS0_10empty_typeEEEZZNS1_27merge_sort_block_merge_implIS3_PjPS5_jNS1_19radix_merge_compareILb1ELb1EjNS0_19identity_decomposerEEEEE10hipError_tT0_T1_T2_jT3_P12ihipStream_tbPNSt15iterator_traitsISE_E10value_typeEPNSK_ISF_E10value_typeEPSG_NS1_7vsmem_tEENKUlT_SE_SF_SG_E_clIS8_S8_S9_S9_EESD_ST_SE_SF_SG_EUlST_E0_NS1_11comp_targetILNS1_3genE10ELNS1_11target_archE1201ELNS1_3gpuE5ELNS1_3repE0EEENS1_38merge_mergepath_config_static_selectorELNS0_4arch9wavefront6targetE0EEEvSF_, .Lfunc_end2592-_ZN7rocprim17ROCPRIM_400000_NS6detail17trampoline_kernelINS0_14default_configENS1_38merge_sort_block_merge_config_selectorIjNS0_10empty_typeEEEZZNS1_27merge_sort_block_merge_implIS3_PjPS5_jNS1_19radix_merge_compareILb1ELb1EjNS0_19identity_decomposerEEEEE10hipError_tT0_T1_T2_jT3_P12ihipStream_tbPNSt15iterator_traitsISE_E10value_typeEPNSK_ISF_E10value_typeEPSG_NS1_7vsmem_tEENKUlT_SE_SF_SG_E_clIS8_S8_S9_S9_EESD_ST_SE_SF_SG_EUlST_E0_NS1_11comp_targetILNS1_3genE10ELNS1_11target_archE1201ELNS1_3gpuE5ELNS1_3repE0EEENS1_38merge_mergepath_config_static_selectorELNS0_4arch9wavefront6targetE0EEEvSF_
                                        ; -- End function
	.set _ZN7rocprim17ROCPRIM_400000_NS6detail17trampoline_kernelINS0_14default_configENS1_38merge_sort_block_merge_config_selectorIjNS0_10empty_typeEEEZZNS1_27merge_sort_block_merge_implIS3_PjPS5_jNS1_19radix_merge_compareILb1ELb1EjNS0_19identity_decomposerEEEEE10hipError_tT0_T1_T2_jT3_P12ihipStream_tbPNSt15iterator_traitsISE_E10value_typeEPNSK_ISF_E10value_typeEPSG_NS1_7vsmem_tEENKUlT_SE_SF_SG_E_clIS8_S8_S9_S9_EESD_ST_SE_SF_SG_EUlST_E0_NS1_11comp_targetILNS1_3genE10ELNS1_11target_archE1201ELNS1_3gpuE5ELNS1_3repE0EEENS1_38merge_mergepath_config_static_selectorELNS0_4arch9wavefront6targetE0EEEvSF_.num_vgpr, 0
	.set _ZN7rocprim17ROCPRIM_400000_NS6detail17trampoline_kernelINS0_14default_configENS1_38merge_sort_block_merge_config_selectorIjNS0_10empty_typeEEEZZNS1_27merge_sort_block_merge_implIS3_PjPS5_jNS1_19radix_merge_compareILb1ELb1EjNS0_19identity_decomposerEEEEE10hipError_tT0_T1_T2_jT3_P12ihipStream_tbPNSt15iterator_traitsISE_E10value_typeEPNSK_ISF_E10value_typeEPSG_NS1_7vsmem_tEENKUlT_SE_SF_SG_E_clIS8_S8_S9_S9_EESD_ST_SE_SF_SG_EUlST_E0_NS1_11comp_targetILNS1_3genE10ELNS1_11target_archE1201ELNS1_3gpuE5ELNS1_3repE0EEENS1_38merge_mergepath_config_static_selectorELNS0_4arch9wavefront6targetE0EEEvSF_.num_agpr, 0
	.set _ZN7rocprim17ROCPRIM_400000_NS6detail17trampoline_kernelINS0_14default_configENS1_38merge_sort_block_merge_config_selectorIjNS0_10empty_typeEEEZZNS1_27merge_sort_block_merge_implIS3_PjPS5_jNS1_19radix_merge_compareILb1ELb1EjNS0_19identity_decomposerEEEEE10hipError_tT0_T1_T2_jT3_P12ihipStream_tbPNSt15iterator_traitsISE_E10value_typeEPNSK_ISF_E10value_typeEPSG_NS1_7vsmem_tEENKUlT_SE_SF_SG_E_clIS8_S8_S9_S9_EESD_ST_SE_SF_SG_EUlST_E0_NS1_11comp_targetILNS1_3genE10ELNS1_11target_archE1201ELNS1_3gpuE5ELNS1_3repE0EEENS1_38merge_mergepath_config_static_selectorELNS0_4arch9wavefront6targetE0EEEvSF_.numbered_sgpr, 0
	.set _ZN7rocprim17ROCPRIM_400000_NS6detail17trampoline_kernelINS0_14default_configENS1_38merge_sort_block_merge_config_selectorIjNS0_10empty_typeEEEZZNS1_27merge_sort_block_merge_implIS3_PjPS5_jNS1_19radix_merge_compareILb1ELb1EjNS0_19identity_decomposerEEEEE10hipError_tT0_T1_T2_jT3_P12ihipStream_tbPNSt15iterator_traitsISE_E10value_typeEPNSK_ISF_E10value_typeEPSG_NS1_7vsmem_tEENKUlT_SE_SF_SG_E_clIS8_S8_S9_S9_EESD_ST_SE_SF_SG_EUlST_E0_NS1_11comp_targetILNS1_3genE10ELNS1_11target_archE1201ELNS1_3gpuE5ELNS1_3repE0EEENS1_38merge_mergepath_config_static_selectorELNS0_4arch9wavefront6targetE0EEEvSF_.num_named_barrier, 0
	.set _ZN7rocprim17ROCPRIM_400000_NS6detail17trampoline_kernelINS0_14default_configENS1_38merge_sort_block_merge_config_selectorIjNS0_10empty_typeEEEZZNS1_27merge_sort_block_merge_implIS3_PjPS5_jNS1_19radix_merge_compareILb1ELb1EjNS0_19identity_decomposerEEEEE10hipError_tT0_T1_T2_jT3_P12ihipStream_tbPNSt15iterator_traitsISE_E10value_typeEPNSK_ISF_E10value_typeEPSG_NS1_7vsmem_tEENKUlT_SE_SF_SG_E_clIS8_S8_S9_S9_EESD_ST_SE_SF_SG_EUlST_E0_NS1_11comp_targetILNS1_3genE10ELNS1_11target_archE1201ELNS1_3gpuE5ELNS1_3repE0EEENS1_38merge_mergepath_config_static_selectorELNS0_4arch9wavefront6targetE0EEEvSF_.private_seg_size, 0
	.set _ZN7rocprim17ROCPRIM_400000_NS6detail17trampoline_kernelINS0_14default_configENS1_38merge_sort_block_merge_config_selectorIjNS0_10empty_typeEEEZZNS1_27merge_sort_block_merge_implIS3_PjPS5_jNS1_19radix_merge_compareILb1ELb1EjNS0_19identity_decomposerEEEEE10hipError_tT0_T1_T2_jT3_P12ihipStream_tbPNSt15iterator_traitsISE_E10value_typeEPNSK_ISF_E10value_typeEPSG_NS1_7vsmem_tEENKUlT_SE_SF_SG_E_clIS8_S8_S9_S9_EESD_ST_SE_SF_SG_EUlST_E0_NS1_11comp_targetILNS1_3genE10ELNS1_11target_archE1201ELNS1_3gpuE5ELNS1_3repE0EEENS1_38merge_mergepath_config_static_selectorELNS0_4arch9wavefront6targetE0EEEvSF_.uses_vcc, 0
	.set _ZN7rocprim17ROCPRIM_400000_NS6detail17trampoline_kernelINS0_14default_configENS1_38merge_sort_block_merge_config_selectorIjNS0_10empty_typeEEEZZNS1_27merge_sort_block_merge_implIS3_PjPS5_jNS1_19radix_merge_compareILb1ELb1EjNS0_19identity_decomposerEEEEE10hipError_tT0_T1_T2_jT3_P12ihipStream_tbPNSt15iterator_traitsISE_E10value_typeEPNSK_ISF_E10value_typeEPSG_NS1_7vsmem_tEENKUlT_SE_SF_SG_E_clIS8_S8_S9_S9_EESD_ST_SE_SF_SG_EUlST_E0_NS1_11comp_targetILNS1_3genE10ELNS1_11target_archE1201ELNS1_3gpuE5ELNS1_3repE0EEENS1_38merge_mergepath_config_static_selectorELNS0_4arch9wavefront6targetE0EEEvSF_.uses_flat_scratch, 0
	.set _ZN7rocprim17ROCPRIM_400000_NS6detail17trampoline_kernelINS0_14default_configENS1_38merge_sort_block_merge_config_selectorIjNS0_10empty_typeEEEZZNS1_27merge_sort_block_merge_implIS3_PjPS5_jNS1_19radix_merge_compareILb1ELb1EjNS0_19identity_decomposerEEEEE10hipError_tT0_T1_T2_jT3_P12ihipStream_tbPNSt15iterator_traitsISE_E10value_typeEPNSK_ISF_E10value_typeEPSG_NS1_7vsmem_tEENKUlT_SE_SF_SG_E_clIS8_S8_S9_S9_EESD_ST_SE_SF_SG_EUlST_E0_NS1_11comp_targetILNS1_3genE10ELNS1_11target_archE1201ELNS1_3gpuE5ELNS1_3repE0EEENS1_38merge_mergepath_config_static_selectorELNS0_4arch9wavefront6targetE0EEEvSF_.has_dyn_sized_stack, 0
	.set _ZN7rocprim17ROCPRIM_400000_NS6detail17trampoline_kernelINS0_14default_configENS1_38merge_sort_block_merge_config_selectorIjNS0_10empty_typeEEEZZNS1_27merge_sort_block_merge_implIS3_PjPS5_jNS1_19radix_merge_compareILb1ELb1EjNS0_19identity_decomposerEEEEE10hipError_tT0_T1_T2_jT3_P12ihipStream_tbPNSt15iterator_traitsISE_E10value_typeEPNSK_ISF_E10value_typeEPSG_NS1_7vsmem_tEENKUlT_SE_SF_SG_E_clIS8_S8_S9_S9_EESD_ST_SE_SF_SG_EUlST_E0_NS1_11comp_targetILNS1_3genE10ELNS1_11target_archE1201ELNS1_3gpuE5ELNS1_3repE0EEENS1_38merge_mergepath_config_static_selectorELNS0_4arch9wavefront6targetE0EEEvSF_.has_recursion, 0
	.set _ZN7rocprim17ROCPRIM_400000_NS6detail17trampoline_kernelINS0_14default_configENS1_38merge_sort_block_merge_config_selectorIjNS0_10empty_typeEEEZZNS1_27merge_sort_block_merge_implIS3_PjPS5_jNS1_19radix_merge_compareILb1ELb1EjNS0_19identity_decomposerEEEEE10hipError_tT0_T1_T2_jT3_P12ihipStream_tbPNSt15iterator_traitsISE_E10value_typeEPNSK_ISF_E10value_typeEPSG_NS1_7vsmem_tEENKUlT_SE_SF_SG_E_clIS8_S8_S9_S9_EESD_ST_SE_SF_SG_EUlST_E0_NS1_11comp_targetILNS1_3genE10ELNS1_11target_archE1201ELNS1_3gpuE5ELNS1_3repE0EEENS1_38merge_mergepath_config_static_selectorELNS0_4arch9wavefront6targetE0EEEvSF_.has_indirect_call, 0
	.section	.AMDGPU.csdata,"",@progbits
; Kernel info:
; codeLenInByte = 0
; TotalNumSgprs: 0
; NumVgprs: 0
; ScratchSize: 0
; MemoryBound: 0
; FloatMode: 240
; IeeeMode: 1
; LDSByteSize: 0 bytes/workgroup (compile time only)
; SGPRBlocks: 0
; VGPRBlocks: 0
; NumSGPRsForWavesPerEU: 1
; NumVGPRsForWavesPerEU: 1
; NamedBarCnt: 0
; Occupancy: 16
; WaveLimiterHint : 0
; COMPUTE_PGM_RSRC2:SCRATCH_EN: 0
; COMPUTE_PGM_RSRC2:USER_SGPR: 2
; COMPUTE_PGM_RSRC2:TRAP_HANDLER: 0
; COMPUTE_PGM_RSRC2:TGID_X_EN: 1
; COMPUTE_PGM_RSRC2:TGID_Y_EN: 0
; COMPUTE_PGM_RSRC2:TGID_Z_EN: 0
; COMPUTE_PGM_RSRC2:TIDIG_COMP_CNT: 0
	.section	.text._ZN7rocprim17ROCPRIM_400000_NS6detail17trampoline_kernelINS0_14default_configENS1_38merge_sort_block_merge_config_selectorIjNS0_10empty_typeEEEZZNS1_27merge_sort_block_merge_implIS3_PjPS5_jNS1_19radix_merge_compareILb1ELb1EjNS0_19identity_decomposerEEEEE10hipError_tT0_T1_T2_jT3_P12ihipStream_tbPNSt15iterator_traitsISE_E10value_typeEPNSK_ISF_E10value_typeEPSG_NS1_7vsmem_tEENKUlT_SE_SF_SG_E_clIS8_S8_S9_S9_EESD_ST_SE_SF_SG_EUlST_E0_NS1_11comp_targetILNS1_3genE5ELNS1_11target_archE942ELNS1_3gpuE9ELNS1_3repE0EEENS1_38merge_mergepath_config_static_selectorELNS0_4arch9wavefront6targetE0EEEvSF_,"axG",@progbits,_ZN7rocprim17ROCPRIM_400000_NS6detail17trampoline_kernelINS0_14default_configENS1_38merge_sort_block_merge_config_selectorIjNS0_10empty_typeEEEZZNS1_27merge_sort_block_merge_implIS3_PjPS5_jNS1_19radix_merge_compareILb1ELb1EjNS0_19identity_decomposerEEEEE10hipError_tT0_T1_T2_jT3_P12ihipStream_tbPNSt15iterator_traitsISE_E10value_typeEPNSK_ISF_E10value_typeEPSG_NS1_7vsmem_tEENKUlT_SE_SF_SG_E_clIS8_S8_S9_S9_EESD_ST_SE_SF_SG_EUlST_E0_NS1_11comp_targetILNS1_3genE5ELNS1_11target_archE942ELNS1_3gpuE9ELNS1_3repE0EEENS1_38merge_mergepath_config_static_selectorELNS0_4arch9wavefront6targetE0EEEvSF_,comdat
	.protected	_ZN7rocprim17ROCPRIM_400000_NS6detail17trampoline_kernelINS0_14default_configENS1_38merge_sort_block_merge_config_selectorIjNS0_10empty_typeEEEZZNS1_27merge_sort_block_merge_implIS3_PjPS5_jNS1_19radix_merge_compareILb1ELb1EjNS0_19identity_decomposerEEEEE10hipError_tT0_T1_T2_jT3_P12ihipStream_tbPNSt15iterator_traitsISE_E10value_typeEPNSK_ISF_E10value_typeEPSG_NS1_7vsmem_tEENKUlT_SE_SF_SG_E_clIS8_S8_S9_S9_EESD_ST_SE_SF_SG_EUlST_E0_NS1_11comp_targetILNS1_3genE5ELNS1_11target_archE942ELNS1_3gpuE9ELNS1_3repE0EEENS1_38merge_mergepath_config_static_selectorELNS0_4arch9wavefront6targetE0EEEvSF_ ; -- Begin function _ZN7rocprim17ROCPRIM_400000_NS6detail17trampoline_kernelINS0_14default_configENS1_38merge_sort_block_merge_config_selectorIjNS0_10empty_typeEEEZZNS1_27merge_sort_block_merge_implIS3_PjPS5_jNS1_19radix_merge_compareILb1ELb1EjNS0_19identity_decomposerEEEEE10hipError_tT0_T1_T2_jT3_P12ihipStream_tbPNSt15iterator_traitsISE_E10value_typeEPNSK_ISF_E10value_typeEPSG_NS1_7vsmem_tEENKUlT_SE_SF_SG_E_clIS8_S8_S9_S9_EESD_ST_SE_SF_SG_EUlST_E0_NS1_11comp_targetILNS1_3genE5ELNS1_11target_archE942ELNS1_3gpuE9ELNS1_3repE0EEENS1_38merge_mergepath_config_static_selectorELNS0_4arch9wavefront6targetE0EEEvSF_
	.globl	_ZN7rocprim17ROCPRIM_400000_NS6detail17trampoline_kernelINS0_14default_configENS1_38merge_sort_block_merge_config_selectorIjNS0_10empty_typeEEEZZNS1_27merge_sort_block_merge_implIS3_PjPS5_jNS1_19radix_merge_compareILb1ELb1EjNS0_19identity_decomposerEEEEE10hipError_tT0_T1_T2_jT3_P12ihipStream_tbPNSt15iterator_traitsISE_E10value_typeEPNSK_ISF_E10value_typeEPSG_NS1_7vsmem_tEENKUlT_SE_SF_SG_E_clIS8_S8_S9_S9_EESD_ST_SE_SF_SG_EUlST_E0_NS1_11comp_targetILNS1_3genE5ELNS1_11target_archE942ELNS1_3gpuE9ELNS1_3repE0EEENS1_38merge_mergepath_config_static_selectorELNS0_4arch9wavefront6targetE0EEEvSF_
	.p2align	8
	.type	_ZN7rocprim17ROCPRIM_400000_NS6detail17trampoline_kernelINS0_14default_configENS1_38merge_sort_block_merge_config_selectorIjNS0_10empty_typeEEEZZNS1_27merge_sort_block_merge_implIS3_PjPS5_jNS1_19radix_merge_compareILb1ELb1EjNS0_19identity_decomposerEEEEE10hipError_tT0_T1_T2_jT3_P12ihipStream_tbPNSt15iterator_traitsISE_E10value_typeEPNSK_ISF_E10value_typeEPSG_NS1_7vsmem_tEENKUlT_SE_SF_SG_E_clIS8_S8_S9_S9_EESD_ST_SE_SF_SG_EUlST_E0_NS1_11comp_targetILNS1_3genE5ELNS1_11target_archE942ELNS1_3gpuE9ELNS1_3repE0EEENS1_38merge_mergepath_config_static_selectorELNS0_4arch9wavefront6targetE0EEEvSF_,@function
_ZN7rocprim17ROCPRIM_400000_NS6detail17trampoline_kernelINS0_14default_configENS1_38merge_sort_block_merge_config_selectorIjNS0_10empty_typeEEEZZNS1_27merge_sort_block_merge_implIS3_PjPS5_jNS1_19radix_merge_compareILb1ELb1EjNS0_19identity_decomposerEEEEE10hipError_tT0_T1_T2_jT3_P12ihipStream_tbPNSt15iterator_traitsISE_E10value_typeEPNSK_ISF_E10value_typeEPSG_NS1_7vsmem_tEENKUlT_SE_SF_SG_E_clIS8_S8_S9_S9_EESD_ST_SE_SF_SG_EUlST_E0_NS1_11comp_targetILNS1_3genE5ELNS1_11target_archE942ELNS1_3gpuE9ELNS1_3repE0EEENS1_38merge_mergepath_config_static_selectorELNS0_4arch9wavefront6targetE0EEEvSF_: ; @_ZN7rocprim17ROCPRIM_400000_NS6detail17trampoline_kernelINS0_14default_configENS1_38merge_sort_block_merge_config_selectorIjNS0_10empty_typeEEEZZNS1_27merge_sort_block_merge_implIS3_PjPS5_jNS1_19radix_merge_compareILb1ELb1EjNS0_19identity_decomposerEEEEE10hipError_tT0_T1_T2_jT3_P12ihipStream_tbPNSt15iterator_traitsISE_E10value_typeEPNSK_ISF_E10value_typeEPSG_NS1_7vsmem_tEENKUlT_SE_SF_SG_E_clIS8_S8_S9_S9_EESD_ST_SE_SF_SG_EUlST_E0_NS1_11comp_targetILNS1_3genE5ELNS1_11target_archE942ELNS1_3gpuE9ELNS1_3repE0EEENS1_38merge_mergepath_config_static_selectorELNS0_4arch9wavefront6targetE0EEEvSF_
; %bb.0:
	.section	.rodata,"a",@progbits
	.p2align	6, 0x0
	.amdhsa_kernel _ZN7rocprim17ROCPRIM_400000_NS6detail17trampoline_kernelINS0_14default_configENS1_38merge_sort_block_merge_config_selectorIjNS0_10empty_typeEEEZZNS1_27merge_sort_block_merge_implIS3_PjPS5_jNS1_19radix_merge_compareILb1ELb1EjNS0_19identity_decomposerEEEEE10hipError_tT0_T1_T2_jT3_P12ihipStream_tbPNSt15iterator_traitsISE_E10value_typeEPNSK_ISF_E10value_typeEPSG_NS1_7vsmem_tEENKUlT_SE_SF_SG_E_clIS8_S8_S9_S9_EESD_ST_SE_SF_SG_EUlST_E0_NS1_11comp_targetILNS1_3genE5ELNS1_11target_archE942ELNS1_3gpuE9ELNS1_3repE0EEENS1_38merge_mergepath_config_static_selectorELNS0_4arch9wavefront6targetE0EEEvSF_
		.amdhsa_group_segment_fixed_size 0
		.amdhsa_private_segment_fixed_size 0
		.amdhsa_kernarg_size 64
		.amdhsa_user_sgpr_count 2
		.amdhsa_user_sgpr_dispatch_ptr 0
		.amdhsa_user_sgpr_queue_ptr 0
		.amdhsa_user_sgpr_kernarg_segment_ptr 1
		.amdhsa_user_sgpr_dispatch_id 0
		.amdhsa_user_sgpr_kernarg_preload_length 0
		.amdhsa_user_sgpr_kernarg_preload_offset 0
		.amdhsa_user_sgpr_private_segment_size 0
		.amdhsa_wavefront_size32 1
		.amdhsa_uses_dynamic_stack 0
		.amdhsa_enable_private_segment 0
		.amdhsa_system_sgpr_workgroup_id_x 1
		.amdhsa_system_sgpr_workgroup_id_y 0
		.amdhsa_system_sgpr_workgroup_id_z 0
		.amdhsa_system_sgpr_workgroup_info 0
		.amdhsa_system_vgpr_workitem_id 0
		.amdhsa_next_free_vgpr 1
		.amdhsa_next_free_sgpr 1
		.amdhsa_named_barrier_count 0
		.amdhsa_reserve_vcc 0
		.amdhsa_float_round_mode_32 0
		.amdhsa_float_round_mode_16_64 0
		.amdhsa_float_denorm_mode_32 3
		.amdhsa_float_denorm_mode_16_64 3
		.amdhsa_fp16_overflow 0
		.amdhsa_memory_ordered 1
		.amdhsa_forward_progress 1
		.amdhsa_inst_pref_size 0
		.amdhsa_round_robin_scheduling 0
		.amdhsa_exception_fp_ieee_invalid_op 0
		.amdhsa_exception_fp_denorm_src 0
		.amdhsa_exception_fp_ieee_div_zero 0
		.amdhsa_exception_fp_ieee_overflow 0
		.amdhsa_exception_fp_ieee_underflow 0
		.amdhsa_exception_fp_ieee_inexact 0
		.amdhsa_exception_int_div_zero 0
	.end_amdhsa_kernel
	.section	.text._ZN7rocprim17ROCPRIM_400000_NS6detail17trampoline_kernelINS0_14default_configENS1_38merge_sort_block_merge_config_selectorIjNS0_10empty_typeEEEZZNS1_27merge_sort_block_merge_implIS3_PjPS5_jNS1_19radix_merge_compareILb1ELb1EjNS0_19identity_decomposerEEEEE10hipError_tT0_T1_T2_jT3_P12ihipStream_tbPNSt15iterator_traitsISE_E10value_typeEPNSK_ISF_E10value_typeEPSG_NS1_7vsmem_tEENKUlT_SE_SF_SG_E_clIS8_S8_S9_S9_EESD_ST_SE_SF_SG_EUlST_E0_NS1_11comp_targetILNS1_3genE5ELNS1_11target_archE942ELNS1_3gpuE9ELNS1_3repE0EEENS1_38merge_mergepath_config_static_selectorELNS0_4arch9wavefront6targetE0EEEvSF_,"axG",@progbits,_ZN7rocprim17ROCPRIM_400000_NS6detail17trampoline_kernelINS0_14default_configENS1_38merge_sort_block_merge_config_selectorIjNS0_10empty_typeEEEZZNS1_27merge_sort_block_merge_implIS3_PjPS5_jNS1_19radix_merge_compareILb1ELb1EjNS0_19identity_decomposerEEEEE10hipError_tT0_T1_T2_jT3_P12ihipStream_tbPNSt15iterator_traitsISE_E10value_typeEPNSK_ISF_E10value_typeEPSG_NS1_7vsmem_tEENKUlT_SE_SF_SG_E_clIS8_S8_S9_S9_EESD_ST_SE_SF_SG_EUlST_E0_NS1_11comp_targetILNS1_3genE5ELNS1_11target_archE942ELNS1_3gpuE9ELNS1_3repE0EEENS1_38merge_mergepath_config_static_selectorELNS0_4arch9wavefront6targetE0EEEvSF_,comdat
.Lfunc_end2593:
	.size	_ZN7rocprim17ROCPRIM_400000_NS6detail17trampoline_kernelINS0_14default_configENS1_38merge_sort_block_merge_config_selectorIjNS0_10empty_typeEEEZZNS1_27merge_sort_block_merge_implIS3_PjPS5_jNS1_19radix_merge_compareILb1ELb1EjNS0_19identity_decomposerEEEEE10hipError_tT0_T1_T2_jT3_P12ihipStream_tbPNSt15iterator_traitsISE_E10value_typeEPNSK_ISF_E10value_typeEPSG_NS1_7vsmem_tEENKUlT_SE_SF_SG_E_clIS8_S8_S9_S9_EESD_ST_SE_SF_SG_EUlST_E0_NS1_11comp_targetILNS1_3genE5ELNS1_11target_archE942ELNS1_3gpuE9ELNS1_3repE0EEENS1_38merge_mergepath_config_static_selectorELNS0_4arch9wavefront6targetE0EEEvSF_, .Lfunc_end2593-_ZN7rocprim17ROCPRIM_400000_NS6detail17trampoline_kernelINS0_14default_configENS1_38merge_sort_block_merge_config_selectorIjNS0_10empty_typeEEEZZNS1_27merge_sort_block_merge_implIS3_PjPS5_jNS1_19radix_merge_compareILb1ELb1EjNS0_19identity_decomposerEEEEE10hipError_tT0_T1_T2_jT3_P12ihipStream_tbPNSt15iterator_traitsISE_E10value_typeEPNSK_ISF_E10value_typeEPSG_NS1_7vsmem_tEENKUlT_SE_SF_SG_E_clIS8_S8_S9_S9_EESD_ST_SE_SF_SG_EUlST_E0_NS1_11comp_targetILNS1_3genE5ELNS1_11target_archE942ELNS1_3gpuE9ELNS1_3repE0EEENS1_38merge_mergepath_config_static_selectorELNS0_4arch9wavefront6targetE0EEEvSF_
                                        ; -- End function
	.set _ZN7rocprim17ROCPRIM_400000_NS6detail17trampoline_kernelINS0_14default_configENS1_38merge_sort_block_merge_config_selectorIjNS0_10empty_typeEEEZZNS1_27merge_sort_block_merge_implIS3_PjPS5_jNS1_19radix_merge_compareILb1ELb1EjNS0_19identity_decomposerEEEEE10hipError_tT0_T1_T2_jT3_P12ihipStream_tbPNSt15iterator_traitsISE_E10value_typeEPNSK_ISF_E10value_typeEPSG_NS1_7vsmem_tEENKUlT_SE_SF_SG_E_clIS8_S8_S9_S9_EESD_ST_SE_SF_SG_EUlST_E0_NS1_11comp_targetILNS1_3genE5ELNS1_11target_archE942ELNS1_3gpuE9ELNS1_3repE0EEENS1_38merge_mergepath_config_static_selectorELNS0_4arch9wavefront6targetE0EEEvSF_.num_vgpr, 0
	.set _ZN7rocprim17ROCPRIM_400000_NS6detail17trampoline_kernelINS0_14default_configENS1_38merge_sort_block_merge_config_selectorIjNS0_10empty_typeEEEZZNS1_27merge_sort_block_merge_implIS3_PjPS5_jNS1_19radix_merge_compareILb1ELb1EjNS0_19identity_decomposerEEEEE10hipError_tT0_T1_T2_jT3_P12ihipStream_tbPNSt15iterator_traitsISE_E10value_typeEPNSK_ISF_E10value_typeEPSG_NS1_7vsmem_tEENKUlT_SE_SF_SG_E_clIS8_S8_S9_S9_EESD_ST_SE_SF_SG_EUlST_E0_NS1_11comp_targetILNS1_3genE5ELNS1_11target_archE942ELNS1_3gpuE9ELNS1_3repE0EEENS1_38merge_mergepath_config_static_selectorELNS0_4arch9wavefront6targetE0EEEvSF_.num_agpr, 0
	.set _ZN7rocprim17ROCPRIM_400000_NS6detail17trampoline_kernelINS0_14default_configENS1_38merge_sort_block_merge_config_selectorIjNS0_10empty_typeEEEZZNS1_27merge_sort_block_merge_implIS3_PjPS5_jNS1_19radix_merge_compareILb1ELb1EjNS0_19identity_decomposerEEEEE10hipError_tT0_T1_T2_jT3_P12ihipStream_tbPNSt15iterator_traitsISE_E10value_typeEPNSK_ISF_E10value_typeEPSG_NS1_7vsmem_tEENKUlT_SE_SF_SG_E_clIS8_S8_S9_S9_EESD_ST_SE_SF_SG_EUlST_E0_NS1_11comp_targetILNS1_3genE5ELNS1_11target_archE942ELNS1_3gpuE9ELNS1_3repE0EEENS1_38merge_mergepath_config_static_selectorELNS0_4arch9wavefront6targetE0EEEvSF_.numbered_sgpr, 0
	.set _ZN7rocprim17ROCPRIM_400000_NS6detail17trampoline_kernelINS0_14default_configENS1_38merge_sort_block_merge_config_selectorIjNS0_10empty_typeEEEZZNS1_27merge_sort_block_merge_implIS3_PjPS5_jNS1_19radix_merge_compareILb1ELb1EjNS0_19identity_decomposerEEEEE10hipError_tT0_T1_T2_jT3_P12ihipStream_tbPNSt15iterator_traitsISE_E10value_typeEPNSK_ISF_E10value_typeEPSG_NS1_7vsmem_tEENKUlT_SE_SF_SG_E_clIS8_S8_S9_S9_EESD_ST_SE_SF_SG_EUlST_E0_NS1_11comp_targetILNS1_3genE5ELNS1_11target_archE942ELNS1_3gpuE9ELNS1_3repE0EEENS1_38merge_mergepath_config_static_selectorELNS0_4arch9wavefront6targetE0EEEvSF_.num_named_barrier, 0
	.set _ZN7rocprim17ROCPRIM_400000_NS6detail17trampoline_kernelINS0_14default_configENS1_38merge_sort_block_merge_config_selectorIjNS0_10empty_typeEEEZZNS1_27merge_sort_block_merge_implIS3_PjPS5_jNS1_19radix_merge_compareILb1ELb1EjNS0_19identity_decomposerEEEEE10hipError_tT0_T1_T2_jT3_P12ihipStream_tbPNSt15iterator_traitsISE_E10value_typeEPNSK_ISF_E10value_typeEPSG_NS1_7vsmem_tEENKUlT_SE_SF_SG_E_clIS8_S8_S9_S9_EESD_ST_SE_SF_SG_EUlST_E0_NS1_11comp_targetILNS1_3genE5ELNS1_11target_archE942ELNS1_3gpuE9ELNS1_3repE0EEENS1_38merge_mergepath_config_static_selectorELNS0_4arch9wavefront6targetE0EEEvSF_.private_seg_size, 0
	.set _ZN7rocprim17ROCPRIM_400000_NS6detail17trampoline_kernelINS0_14default_configENS1_38merge_sort_block_merge_config_selectorIjNS0_10empty_typeEEEZZNS1_27merge_sort_block_merge_implIS3_PjPS5_jNS1_19radix_merge_compareILb1ELb1EjNS0_19identity_decomposerEEEEE10hipError_tT0_T1_T2_jT3_P12ihipStream_tbPNSt15iterator_traitsISE_E10value_typeEPNSK_ISF_E10value_typeEPSG_NS1_7vsmem_tEENKUlT_SE_SF_SG_E_clIS8_S8_S9_S9_EESD_ST_SE_SF_SG_EUlST_E0_NS1_11comp_targetILNS1_3genE5ELNS1_11target_archE942ELNS1_3gpuE9ELNS1_3repE0EEENS1_38merge_mergepath_config_static_selectorELNS0_4arch9wavefront6targetE0EEEvSF_.uses_vcc, 0
	.set _ZN7rocprim17ROCPRIM_400000_NS6detail17trampoline_kernelINS0_14default_configENS1_38merge_sort_block_merge_config_selectorIjNS0_10empty_typeEEEZZNS1_27merge_sort_block_merge_implIS3_PjPS5_jNS1_19radix_merge_compareILb1ELb1EjNS0_19identity_decomposerEEEEE10hipError_tT0_T1_T2_jT3_P12ihipStream_tbPNSt15iterator_traitsISE_E10value_typeEPNSK_ISF_E10value_typeEPSG_NS1_7vsmem_tEENKUlT_SE_SF_SG_E_clIS8_S8_S9_S9_EESD_ST_SE_SF_SG_EUlST_E0_NS1_11comp_targetILNS1_3genE5ELNS1_11target_archE942ELNS1_3gpuE9ELNS1_3repE0EEENS1_38merge_mergepath_config_static_selectorELNS0_4arch9wavefront6targetE0EEEvSF_.uses_flat_scratch, 0
	.set _ZN7rocprim17ROCPRIM_400000_NS6detail17trampoline_kernelINS0_14default_configENS1_38merge_sort_block_merge_config_selectorIjNS0_10empty_typeEEEZZNS1_27merge_sort_block_merge_implIS3_PjPS5_jNS1_19radix_merge_compareILb1ELb1EjNS0_19identity_decomposerEEEEE10hipError_tT0_T1_T2_jT3_P12ihipStream_tbPNSt15iterator_traitsISE_E10value_typeEPNSK_ISF_E10value_typeEPSG_NS1_7vsmem_tEENKUlT_SE_SF_SG_E_clIS8_S8_S9_S9_EESD_ST_SE_SF_SG_EUlST_E0_NS1_11comp_targetILNS1_3genE5ELNS1_11target_archE942ELNS1_3gpuE9ELNS1_3repE0EEENS1_38merge_mergepath_config_static_selectorELNS0_4arch9wavefront6targetE0EEEvSF_.has_dyn_sized_stack, 0
	.set _ZN7rocprim17ROCPRIM_400000_NS6detail17trampoline_kernelINS0_14default_configENS1_38merge_sort_block_merge_config_selectorIjNS0_10empty_typeEEEZZNS1_27merge_sort_block_merge_implIS3_PjPS5_jNS1_19radix_merge_compareILb1ELb1EjNS0_19identity_decomposerEEEEE10hipError_tT0_T1_T2_jT3_P12ihipStream_tbPNSt15iterator_traitsISE_E10value_typeEPNSK_ISF_E10value_typeEPSG_NS1_7vsmem_tEENKUlT_SE_SF_SG_E_clIS8_S8_S9_S9_EESD_ST_SE_SF_SG_EUlST_E0_NS1_11comp_targetILNS1_3genE5ELNS1_11target_archE942ELNS1_3gpuE9ELNS1_3repE0EEENS1_38merge_mergepath_config_static_selectorELNS0_4arch9wavefront6targetE0EEEvSF_.has_recursion, 0
	.set _ZN7rocprim17ROCPRIM_400000_NS6detail17trampoline_kernelINS0_14default_configENS1_38merge_sort_block_merge_config_selectorIjNS0_10empty_typeEEEZZNS1_27merge_sort_block_merge_implIS3_PjPS5_jNS1_19radix_merge_compareILb1ELb1EjNS0_19identity_decomposerEEEEE10hipError_tT0_T1_T2_jT3_P12ihipStream_tbPNSt15iterator_traitsISE_E10value_typeEPNSK_ISF_E10value_typeEPSG_NS1_7vsmem_tEENKUlT_SE_SF_SG_E_clIS8_S8_S9_S9_EESD_ST_SE_SF_SG_EUlST_E0_NS1_11comp_targetILNS1_3genE5ELNS1_11target_archE942ELNS1_3gpuE9ELNS1_3repE0EEENS1_38merge_mergepath_config_static_selectorELNS0_4arch9wavefront6targetE0EEEvSF_.has_indirect_call, 0
	.section	.AMDGPU.csdata,"",@progbits
; Kernel info:
; codeLenInByte = 0
; TotalNumSgprs: 0
; NumVgprs: 0
; ScratchSize: 0
; MemoryBound: 0
; FloatMode: 240
; IeeeMode: 1
; LDSByteSize: 0 bytes/workgroup (compile time only)
; SGPRBlocks: 0
; VGPRBlocks: 0
; NumSGPRsForWavesPerEU: 1
; NumVGPRsForWavesPerEU: 1
; NamedBarCnt: 0
; Occupancy: 16
; WaveLimiterHint : 0
; COMPUTE_PGM_RSRC2:SCRATCH_EN: 0
; COMPUTE_PGM_RSRC2:USER_SGPR: 2
; COMPUTE_PGM_RSRC2:TRAP_HANDLER: 0
; COMPUTE_PGM_RSRC2:TGID_X_EN: 1
; COMPUTE_PGM_RSRC2:TGID_Y_EN: 0
; COMPUTE_PGM_RSRC2:TGID_Z_EN: 0
; COMPUTE_PGM_RSRC2:TIDIG_COMP_CNT: 0
	.section	.text._ZN7rocprim17ROCPRIM_400000_NS6detail17trampoline_kernelINS0_14default_configENS1_38merge_sort_block_merge_config_selectorIjNS0_10empty_typeEEEZZNS1_27merge_sort_block_merge_implIS3_PjPS5_jNS1_19radix_merge_compareILb1ELb1EjNS0_19identity_decomposerEEEEE10hipError_tT0_T1_T2_jT3_P12ihipStream_tbPNSt15iterator_traitsISE_E10value_typeEPNSK_ISF_E10value_typeEPSG_NS1_7vsmem_tEENKUlT_SE_SF_SG_E_clIS8_S8_S9_S9_EESD_ST_SE_SF_SG_EUlST_E0_NS1_11comp_targetILNS1_3genE4ELNS1_11target_archE910ELNS1_3gpuE8ELNS1_3repE0EEENS1_38merge_mergepath_config_static_selectorELNS0_4arch9wavefront6targetE0EEEvSF_,"axG",@progbits,_ZN7rocprim17ROCPRIM_400000_NS6detail17trampoline_kernelINS0_14default_configENS1_38merge_sort_block_merge_config_selectorIjNS0_10empty_typeEEEZZNS1_27merge_sort_block_merge_implIS3_PjPS5_jNS1_19radix_merge_compareILb1ELb1EjNS0_19identity_decomposerEEEEE10hipError_tT0_T1_T2_jT3_P12ihipStream_tbPNSt15iterator_traitsISE_E10value_typeEPNSK_ISF_E10value_typeEPSG_NS1_7vsmem_tEENKUlT_SE_SF_SG_E_clIS8_S8_S9_S9_EESD_ST_SE_SF_SG_EUlST_E0_NS1_11comp_targetILNS1_3genE4ELNS1_11target_archE910ELNS1_3gpuE8ELNS1_3repE0EEENS1_38merge_mergepath_config_static_selectorELNS0_4arch9wavefront6targetE0EEEvSF_,comdat
	.protected	_ZN7rocprim17ROCPRIM_400000_NS6detail17trampoline_kernelINS0_14default_configENS1_38merge_sort_block_merge_config_selectorIjNS0_10empty_typeEEEZZNS1_27merge_sort_block_merge_implIS3_PjPS5_jNS1_19radix_merge_compareILb1ELb1EjNS0_19identity_decomposerEEEEE10hipError_tT0_T1_T2_jT3_P12ihipStream_tbPNSt15iterator_traitsISE_E10value_typeEPNSK_ISF_E10value_typeEPSG_NS1_7vsmem_tEENKUlT_SE_SF_SG_E_clIS8_S8_S9_S9_EESD_ST_SE_SF_SG_EUlST_E0_NS1_11comp_targetILNS1_3genE4ELNS1_11target_archE910ELNS1_3gpuE8ELNS1_3repE0EEENS1_38merge_mergepath_config_static_selectorELNS0_4arch9wavefront6targetE0EEEvSF_ ; -- Begin function _ZN7rocprim17ROCPRIM_400000_NS6detail17trampoline_kernelINS0_14default_configENS1_38merge_sort_block_merge_config_selectorIjNS0_10empty_typeEEEZZNS1_27merge_sort_block_merge_implIS3_PjPS5_jNS1_19radix_merge_compareILb1ELb1EjNS0_19identity_decomposerEEEEE10hipError_tT0_T1_T2_jT3_P12ihipStream_tbPNSt15iterator_traitsISE_E10value_typeEPNSK_ISF_E10value_typeEPSG_NS1_7vsmem_tEENKUlT_SE_SF_SG_E_clIS8_S8_S9_S9_EESD_ST_SE_SF_SG_EUlST_E0_NS1_11comp_targetILNS1_3genE4ELNS1_11target_archE910ELNS1_3gpuE8ELNS1_3repE0EEENS1_38merge_mergepath_config_static_selectorELNS0_4arch9wavefront6targetE0EEEvSF_
	.globl	_ZN7rocprim17ROCPRIM_400000_NS6detail17trampoline_kernelINS0_14default_configENS1_38merge_sort_block_merge_config_selectorIjNS0_10empty_typeEEEZZNS1_27merge_sort_block_merge_implIS3_PjPS5_jNS1_19radix_merge_compareILb1ELb1EjNS0_19identity_decomposerEEEEE10hipError_tT0_T1_T2_jT3_P12ihipStream_tbPNSt15iterator_traitsISE_E10value_typeEPNSK_ISF_E10value_typeEPSG_NS1_7vsmem_tEENKUlT_SE_SF_SG_E_clIS8_S8_S9_S9_EESD_ST_SE_SF_SG_EUlST_E0_NS1_11comp_targetILNS1_3genE4ELNS1_11target_archE910ELNS1_3gpuE8ELNS1_3repE0EEENS1_38merge_mergepath_config_static_selectorELNS0_4arch9wavefront6targetE0EEEvSF_
	.p2align	8
	.type	_ZN7rocprim17ROCPRIM_400000_NS6detail17trampoline_kernelINS0_14default_configENS1_38merge_sort_block_merge_config_selectorIjNS0_10empty_typeEEEZZNS1_27merge_sort_block_merge_implIS3_PjPS5_jNS1_19radix_merge_compareILb1ELb1EjNS0_19identity_decomposerEEEEE10hipError_tT0_T1_T2_jT3_P12ihipStream_tbPNSt15iterator_traitsISE_E10value_typeEPNSK_ISF_E10value_typeEPSG_NS1_7vsmem_tEENKUlT_SE_SF_SG_E_clIS8_S8_S9_S9_EESD_ST_SE_SF_SG_EUlST_E0_NS1_11comp_targetILNS1_3genE4ELNS1_11target_archE910ELNS1_3gpuE8ELNS1_3repE0EEENS1_38merge_mergepath_config_static_selectorELNS0_4arch9wavefront6targetE0EEEvSF_,@function
_ZN7rocprim17ROCPRIM_400000_NS6detail17trampoline_kernelINS0_14default_configENS1_38merge_sort_block_merge_config_selectorIjNS0_10empty_typeEEEZZNS1_27merge_sort_block_merge_implIS3_PjPS5_jNS1_19radix_merge_compareILb1ELb1EjNS0_19identity_decomposerEEEEE10hipError_tT0_T1_T2_jT3_P12ihipStream_tbPNSt15iterator_traitsISE_E10value_typeEPNSK_ISF_E10value_typeEPSG_NS1_7vsmem_tEENKUlT_SE_SF_SG_E_clIS8_S8_S9_S9_EESD_ST_SE_SF_SG_EUlST_E0_NS1_11comp_targetILNS1_3genE4ELNS1_11target_archE910ELNS1_3gpuE8ELNS1_3repE0EEENS1_38merge_mergepath_config_static_selectorELNS0_4arch9wavefront6targetE0EEEvSF_: ; @_ZN7rocprim17ROCPRIM_400000_NS6detail17trampoline_kernelINS0_14default_configENS1_38merge_sort_block_merge_config_selectorIjNS0_10empty_typeEEEZZNS1_27merge_sort_block_merge_implIS3_PjPS5_jNS1_19radix_merge_compareILb1ELb1EjNS0_19identity_decomposerEEEEE10hipError_tT0_T1_T2_jT3_P12ihipStream_tbPNSt15iterator_traitsISE_E10value_typeEPNSK_ISF_E10value_typeEPSG_NS1_7vsmem_tEENKUlT_SE_SF_SG_E_clIS8_S8_S9_S9_EESD_ST_SE_SF_SG_EUlST_E0_NS1_11comp_targetILNS1_3genE4ELNS1_11target_archE910ELNS1_3gpuE8ELNS1_3repE0EEENS1_38merge_mergepath_config_static_selectorELNS0_4arch9wavefront6targetE0EEEvSF_
; %bb.0:
	.section	.rodata,"a",@progbits
	.p2align	6, 0x0
	.amdhsa_kernel _ZN7rocprim17ROCPRIM_400000_NS6detail17trampoline_kernelINS0_14default_configENS1_38merge_sort_block_merge_config_selectorIjNS0_10empty_typeEEEZZNS1_27merge_sort_block_merge_implIS3_PjPS5_jNS1_19radix_merge_compareILb1ELb1EjNS0_19identity_decomposerEEEEE10hipError_tT0_T1_T2_jT3_P12ihipStream_tbPNSt15iterator_traitsISE_E10value_typeEPNSK_ISF_E10value_typeEPSG_NS1_7vsmem_tEENKUlT_SE_SF_SG_E_clIS8_S8_S9_S9_EESD_ST_SE_SF_SG_EUlST_E0_NS1_11comp_targetILNS1_3genE4ELNS1_11target_archE910ELNS1_3gpuE8ELNS1_3repE0EEENS1_38merge_mergepath_config_static_selectorELNS0_4arch9wavefront6targetE0EEEvSF_
		.amdhsa_group_segment_fixed_size 0
		.amdhsa_private_segment_fixed_size 0
		.amdhsa_kernarg_size 64
		.amdhsa_user_sgpr_count 2
		.amdhsa_user_sgpr_dispatch_ptr 0
		.amdhsa_user_sgpr_queue_ptr 0
		.amdhsa_user_sgpr_kernarg_segment_ptr 1
		.amdhsa_user_sgpr_dispatch_id 0
		.amdhsa_user_sgpr_kernarg_preload_length 0
		.amdhsa_user_sgpr_kernarg_preload_offset 0
		.amdhsa_user_sgpr_private_segment_size 0
		.amdhsa_wavefront_size32 1
		.amdhsa_uses_dynamic_stack 0
		.amdhsa_enable_private_segment 0
		.amdhsa_system_sgpr_workgroup_id_x 1
		.amdhsa_system_sgpr_workgroup_id_y 0
		.amdhsa_system_sgpr_workgroup_id_z 0
		.amdhsa_system_sgpr_workgroup_info 0
		.amdhsa_system_vgpr_workitem_id 0
		.amdhsa_next_free_vgpr 1
		.amdhsa_next_free_sgpr 1
		.amdhsa_named_barrier_count 0
		.amdhsa_reserve_vcc 0
		.amdhsa_float_round_mode_32 0
		.amdhsa_float_round_mode_16_64 0
		.amdhsa_float_denorm_mode_32 3
		.amdhsa_float_denorm_mode_16_64 3
		.amdhsa_fp16_overflow 0
		.amdhsa_memory_ordered 1
		.amdhsa_forward_progress 1
		.amdhsa_inst_pref_size 0
		.amdhsa_round_robin_scheduling 0
		.amdhsa_exception_fp_ieee_invalid_op 0
		.amdhsa_exception_fp_denorm_src 0
		.amdhsa_exception_fp_ieee_div_zero 0
		.amdhsa_exception_fp_ieee_overflow 0
		.amdhsa_exception_fp_ieee_underflow 0
		.amdhsa_exception_fp_ieee_inexact 0
		.amdhsa_exception_int_div_zero 0
	.end_amdhsa_kernel
	.section	.text._ZN7rocprim17ROCPRIM_400000_NS6detail17trampoline_kernelINS0_14default_configENS1_38merge_sort_block_merge_config_selectorIjNS0_10empty_typeEEEZZNS1_27merge_sort_block_merge_implIS3_PjPS5_jNS1_19radix_merge_compareILb1ELb1EjNS0_19identity_decomposerEEEEE10hipError_tT0_T1_T2_jT3_P12ihipStream_tbPNSt15iterator_traitsISE_E10value_typeEPNSK_ISF_E10value_typeEPSG_NS1_7vsmem_tEENKUlT_SE_SF_SG_E_clIS8_S8_S9_S9_EESD_ST_SE_SF_SG_EUlST_E0_NS1_11comp_targetILNS1_3genE4ELNS1_11target_archE910ELNS1_3gpuE8ELNS1_3repE0EEENS1_38merge_mergepath_config_static_selectorELNS0_4arch9wavefront6targetE0EEEvSF_,"axG",@progbits,_ZN7rocprim17ROCPRIM_400000_NS6detail17trampoline_kernelINS0_14default_configENS1_38merge_sort_block_merge_config_selectorIjNS0_10empty_typeEEEZZNS1_27merge_sort_block_merge_implIS3_PjPS5_jNS1_19radix_merge_compareILb1ELb1EjNS0_19identity_decomposerEEEEE10hipError_tT0_T1_T2_jT3_P12ihipStream_tbPNSt15iterator_traitsISE_E10value_typeEPNSK_ISF_E10value_typeEPSG_NS1_7vsmem_tEENKUlT_SE_SF_SG_E_clIS8_S8_S9_S9_EESD_ST_SE_SF_SG_EUlST_E0_NS1_11comp_targetILNS1_3genE4ELNS1_11target_archE910ELNS1_3gpuE8ELNS1_3repE0EEENS1_38merge_mergepath_config_static_selectorELNS0_4arch9wavefront6targetE0EEEvSF_,comdat
.Lfunc_end2594:
	.size	_ZN7rocprim17ROCPRIM_400000_NS6detail17trampoline_kernelINS0_14default_configENS1_38merge_sort_block_merge_config_selectorIjNS0_10empty_typeEEEZZNS1_27merge_sort_block_merge_implIS3_PjPS5_jNS1_19radix_merge_compareILb1ELb1EjNS0_19identity_decomposerEEEEE10hipError_tT0_T1_T2_jT3_P12ihipStream_tbPNSt15iterator_traitsISE_E10value_typeEPNSK_ISF_E10value_typeEPSG_NS1_7vsmem_tEENKUlT_SE_SF_SG_E_clIS8_S8_S9_S9_EESD_ST_SE_SF_SG_EUlST_E0_NS1_11comp_targetILNS1_3genE4ELNS1_11target_archE910ELNS1_3gpuE8ELNS1_3repE0EEENS1_38merge_mergepath_config_static_selectorELNS0_4arch9wavefront6targetE0EEEvSF_, .Lfunc_end2594-_ZN7rocprim17ROCPRIM_400000_NS6detail17trampoline_kernelINS0_14default_configENS1_38merge_sort_block_merge_config_selectorIjNS0_10empty_typeEEEZZNS1_27merge_sort_block_merge_implIS3_PjPS5_jNS1_19radix_merge_compareILb1ELb1EjNS0_19identity_decomposerEEEEE10hipError_tT0_T1_T2_jT3_P12ihipStream_tbPNSt15iterator_traitsISE_E10value_typeEPNSK_ISF_E10value_typeEPSG_NS1_7vsmem_tEENKUlT_SE_SF_SG_E_clIS8_S8_S9_S9_EESD_ST_SE_SF_SG_EUlST_E0_NS1_11comp_targetILNS1_3genE4ELNS1_11target_archE910ELNS1_3gpuE8ELNS1_3repE0EEENS1_38merge_mergepath_config_static_selectorELNS0_4arch9wavefront6targetE0EEEvSF_
                                        ; -- End function
	.set _ZN7rocprim17ROCPRIM_400000_NS6detail17trampoline_kernelINS0_14default_configENS1_38merge_sort_block_merge_config_selectorIjNS0_10empty_typeEEEZZNS1_27merge_sort_block_merge_implIS3_PjPS5_jNS1_19radix_merge_compareILb1ELb1EjNS0_19identity_decomposerEEEEE10hipError_tT0_T1_T2_jT3_P12ihipStream_tbPNSt15iterator_traitsISE_E10value_typeEPNSK_ISF_E10value_typeEPSG_NS1_7vsmem_tEENKUlT_SE_SF_SG_E_clIS8_S8_S9_S9_EESD_ST_SE_SF_SG_EUlST_E0_NS1_11comp_targetILNS1_3genE4ELNS1_11target_archE910ELNS1_3gpuE8ELNS1_3repE0EEENS1_38merge_mergepath_config_static_selectorELNS0_4arch9wavefront6targetE0EEEvSF_.num_vgpr, 0
	.set _ZN7rocprim17ROCPRIM_400000_NS6detail17trampoline_kernelINS0_14default_configENS1_38merge_sort_block_merge_config_selectorIjNS0_10empty_typeEEEZZNS1_27merge_sort_block_merge_implIS3_PjPS5_jNS1_19radix_merge_compareILb1ELb1EjNS0_19identity_decomposerEEEEE10hipError_tT0_T1_T2_jT3_P12ihipStream_tbPNSt15iterator_traitsISE_E10value_typeEPNSK_ISF_E10value_typeEPSG_NS1_7vsmem_tEENKUlT_SE_SF_SG_E_clIS8_S8_S9_S9_EESD_ST_SE_SF_SG_EUlST_E0_NS1_11comp_targetILNS1_3genE4ELNS1_11target_archE910ELNS1_3gpuE8ELNS1_3repE0EEENS1_38merge_mergepath_config_static_selectorELNS0_4arch9wavefront6targetE0EEEvSF_.num_agpr, 0
	.set _ZN7rocprim17ROCPRIM_400000_NS6detail17trampoline_kernelINS0_14default_configENS1_38merge_sort_block_merge_config_selectorIjNS0_10empty_typeEEEZZNS1_27merge_sort_block_merge_implIS3_PjPS5_jNS1_19radix_merge_compareILb1ELb1EjNS0_19identity_decomposerEEEEE10hipError_tT0_T1_T2_jT3_P12ihipStream_tbPNSt15iterator_traitsISE_E10value_typeEPNSK_ISF_E10value_typeEPSG_NS1_7vsmem_tEENKUlT_SE_SF_SG_E_clIS8_S8_S9_S9_EESD_ST_SE_SF_SG_EUlST_E0_NS1_11comp_targetILNS1_3genE4ELNS1_11target_archE910ELNS1_3gpuE8ELNS1_3repE0EEENS1_38merge_mergepath_config_static_selectorELNS0_4arch9wavefront6targetE0EEEvSF_.numbered_sgpr, 0
	.set _ZN7rocprim17ROCPRIM_400000_NS6detail17trampoline_kernelINS0_14default_configENS1_38merge_sort_block_merge_config_selectorIjNS0_10empty_typeEEEZZNS1_27merge_sort_block_merge_implIS3_PjPS5_jNS1_19radix_merge_compareILb1ELb1EjNS0_19identity_decomposerEEEEE10hipError_tT0_T1_T2_jT3_P12ihipStream_tbPNSt15iterator_traitsISE_E10value_typeEPNSK_ISF_E10value_typeEPSG_NS1_7vsmem_tEENKUlT_SE_SF_SG_E_clIS8_S8_S9_S9_EESD_ST_SE_SF_SG_EUlST_E0_NS1_11comp_targetILNS1_3genE4ELNS1_11target_archE910ELNS1_3gpuE8ELNS1_3repE0EEENS1_38merge_mergepath_config_static_selectorELNS0_4arch9wavefront6targetE0EEEvSF_.num_named_barrier, 0
	.set _ZN7rocprim17ROCPRIM_400000_NS6detail17trampoline_kernelINS0_14default_configENS1_38merge_sort_block_merge_config_selectorIjNS0_10empty_typeEEEZZNS1_27merge_sort_block_merge_implIS3_PjPS5_jNS1_19radix_merge_compareILb1ELb1EjNS0_19identity_decomposerEEEEE10hipError_tT0_T1_T2_jT3_P12ihipStream_tbPNSt15iterator_traitsISE_E10value_typeEPNSK_ISF_E10value_typeEPSG_NS1_7vsmem_tEENKUlT_SE_SF_SG_E_clIS8_S8_S9_S9_EESD_ST_SE_SF_SG_EUlST_E0_NS1_11comp_targetILNS1_3genE4ELNS1_11target_archE910ELNS1_3gpuE8ELNS1_3repE0EEENS1_38merge_mergepath_config_static_selectorELNS0_4arch9wavefront6targetE0EEEvSF_.private_seg_size, 0
	.set _ZN7rocprim17ROCPRIM_400000_NS6detail17trampoline_kernelINS0_14default_configENS1_38merge_sort_block_merge_config_selectorIjNS0_10empty_typeEEEZZNS1_27merge_sort_block_merge_implIS3_PjPS5_jNS1_19radix_merge_compareILb1ELb1EjNS0_19identity_decomposerEEEEE10hipError_tT0_T1_T2_jT3_P12ihipStream_tbPNSt15iterator_traitsISE_E10value_typeEPNSK_ISF_E10value_typeEPSG_NS1_7vsmem_tEENKUlT_SE_SF_SG_E_clIS8_S8_S9_S9_EESD_ST_SE_SF_SG_EUlST_E0_NS1_11comp_targetILNS1_3genE4ELNS1_11target_archE910ELNS1_3gpuE8ELNS1_3repE0EEENS1_38merge_mergepath_config_static_selectorELNS0_4arch9wavefront6targetE0EEEvSF_.uses_vcc, 0
	.set _ZN7rocprim17ROCPRIM_400000_NS6detail17trampoline_kernelINS0_14default_configENS1_38merge_sort_block_merge_config_selectorIjNS0_10empty_typeEEEZZNS1_27merge_sort_block_merge_implIS3_PjPS5_jNS1_19radix_merge_compareILb1ELb1EjNS0_19identity_decomposerEEEEE10hipError_tT0_T1_T2_jT3_P12ihipStream_tbPNSt15iterator_traitsISE_E10value_typeEPNSK_ISF_E10value_typeEPSG_NS1_7vsmem_tEENKUlT_SE_SF_SG_E_clIS8_S8_S9_S9_EESD_ST_SE_SF_SG_EUlST_E0_NS1_11comp_targetILNS1_3genE4ELNS1_11target_archE910ELNS1_3gpuE8ELNS1_3repE0EEENS1_38merge_mergepath_config_static_selectorELNS0_4arch9wavefront6targetE0EEEvSF_.uses_flat_scratch, 0
	.set _ZN7rocprim17ROCPRIM_400000_NS6detail17trampoline_kernelINS0_14default_configENS1_38merge_sort_block_merge_config_selectorIjNS0_10empty_typeEEEZZNS1_27merge_sort_block_merge_implIS3_PjPS5_jNS1_19radix_merge_compareILb1ELb1EjNS0_19identity_decomposerEEEEE10hipError_tT0_T1_T2_jT3_P12ihipStream_tbPNSt15iterator_traitsISE_E10value_typeEPNSK_ISF_E10value_typeEPSG_NS1_7vsmem_tEENKUlT_SE_SF_SG_E_clIS8_S8_S9_S9_EESD_ST_SE_SF_SG_EUlST_E0_NS1_11comp_targetILNS1_3genE4ELNS1_11target_archE910ELNS1_3gpuE8ELNS1_3repE0EEENS1_38merge_mergepath_config_static_selectorELNS0_4arch9wavefront6targetE0EEEvSF_.has_dyn_sized_stack, 0
	.set _ZN7rocprim17ROCPRIM_400000_NS6detail17trampoline_kernelINS0_14default_configENS1_38merge_sort_block_merge_config_selectorIjNS0_10empty_typeEEEZZNS1_27merge_sort_block_merge_implIS3_PjPS5_jNS1_19radix_merge_compareILb1ELb1EjNS0_19identity_decomposerEEEEE10hipError_tT0_T1_T2_jT3_P12ihipStream_tbPNSt15iterator_traitsISE_E10value_typeEPNSK_ISF_E10value_typeEPSG_NS1_7vsmem_tEENKUlT_SE_SF_SG_E_clIS8_S8_S9_S9_EESD_ST_SE_SF_SG_EUlST_E0_NS1_11comp_targetILNS1_3genE4ELNS1_11target_archE910ELNS1_3gpuE8ELNS1_3repE0EEENS1_38merge_mergepath_config_static_selectorELNS0_4arch9wavefront6targetE0EEEvSF_.has_recursion, 0
	.set _ZN7rocprim17ROCPRIM_400000_NS6detail17trampoline_kernelINS0_14default_configENS1_38merge_sort_block_merge_config_selectorIjNS0_10empty_typeEEEZZNS1_27merge_sort_block_merge_implIS3_PjPS5_jNS1_19radix_merge_compareILb1ELb1EjNS0_19identity_decomposerEEEEE10hipError_tT0_T1_T2_jT3_P12ihipStream_tbPNSt15iterator_traitsISE_E10value_typeEPNSK_ISF_E10value_typeEPSG_NS1_7vsmem_tEENKUlT_SE_SF_SG_E_clIS8_S8_S9_S9_EESD_ST_SE_SF_SG_EUlST_E0_NS1_11comp_targetILNS1_3genE4ELNS1_11target_archE910ELNS1_3gpuE8ELNS1_3repE0EEENS1_38merge_mergepath_config_static_selectorELNS0_4arch9wavefront6targetE0EEEvSF_.has_indirect_call, 0
	.section	.AMDGPU.csdata,"",@progbits
; Kernel info:
; codeLenInByte = 0
; TotalNumSgprs: 0
; NumVgprs: 0
; ScratchSize: 0
; MemoryBound: 0
; FloatMode: 240
; IeeeMode: 1
; LDSByteSize: 0 bytes/workgroup (compile time only)
; SGPRBlocks: 0
; VGPRBlocks: 0
; NumSGPRsForWavesPerEU: 1
; NumVGPRsForWavesPerEU: 1
; NamedBarCnt: 0
; Occupancy: 16
; WaveLimiterHint : 0
; COMPUTE_PGM_RSRC2:SCRATCH_EN: 0
; COMPUTE_PGM_RSRC2:USER_SGPR: 2
; COMPUTE_PGM_RSRC2:TRAP_HANDLER: 0
; COMPUTE_PGM_RSRC2:TGID_X_EN: 1
; COMPUTE_PGM_RSRC2:TGID_Y_EN: 0
; COMPUTE_PGM_RSRC2:TGID_Z_EN: 0
; COMPUTE_PGM_RSRC2:TIDIG_COMP_CNT: 0
	.section	.text._ZN7rocprim17ROCPRIM_400000_NS6detail17trampoline_kernelINS0_14default_configENS1_38merge_sort_block_merge_config_selectorIjNS0_10empty_typeEEEZZNS1_27merge_sort_block_merge_implIS3_PjPS5_jNS1_19radix_merge_compareILb1ELb1EjNS0_19identity_decomposerEEEEE10hipError_tT0_T1_T2_jT3_P12ihipStream_tbPNSt15iterator_traitsISE_E10value_typeEPNSK_ISF_E10value_typeEPSG_NS1_7vsmem_tEENKUlT_SE_SF_SG_E_clIS8_S8_S9_S9_EESD_ST_SE_SF_SG_EUlST_E0_NS1_11comp_targetILNS1_3genE3ELNS1_11target_archE908ELNS1_3gpuE7ELNS1_3repE0EEENS1_38merge_mergepath_config_static_selectorELNS0_4arch9wavefront6targetE0EEEvSF_,"axG",@progbits,_ZN7rocprim17ROCPRIM_400000_NS6detail17trampoline_kernelINS0_14default_configENS1_38merge_sort_block_merge_config_selectorIjNS0_10empty_typeEEEZZNS1_27merge_sort_block_merge_implIS3_PjPS5_jNS1_19radix_merge_compareILb1ELb1EjNS0_19identity_decomposerEEEEE10hipError_tT0_T1_T2_jT3_P12ihipStream_tbPNSt15iterator_traitsISE_E10value_typeEPNSK_ISF_E10value_typeEPSG_NS1_7vsmem_tEENKUlT_SE_SF_SG_E_clIS8_S8_S9_S9_EESD_ST_SE_SF_SG_EUlST_E0_NS1_11comp_targetILNS1_3genE3ELNS1_11target_archE908ELNS1_3gpuE7ELNS1_3repE0EEENS1_38merge_mergepath_config_static_selectorELNS0_4arch9wavefront6targetE0EEEvSF_,comdat
	.protected	_ZN7rocprim17ROCPRIM_400000_NS6detail17trampoline_kernelINS0_14default_configENS1_38merge_sort_block_merge_config_selectorIjNS0_10empty_typeEEEZZNS1_27merge_sort_block_merge_implIS3_PjPS5_jNS1_19radix_merge_compareILb1ELb1EjNS0_19identity_decomposerEEEEE10hipError_tT0_T1_T2_jT3_P12ihipStream_tbPNSt15iterator_traitsISE_E10value_typeEPNSK_ISF_E10value_typeEPSG_NS1_7vsmem_tEENKUlT_SE_SF_SG_E_clIS8_S8_S9_S9_EESD_ST_SE_SF_SG_EUlST_E0_NS1_11comp_targetILNS1_3genE3ELNS1_11target_archE908ELNS1_3gpuE7ELNS1_3repE0EEENS1_38merge_mergepath_config_static_selectorELNS0_4arch9wavefront6targetE0EEEvSF_ ; -- Begin function _ZN7rocprim17ROCPRIM_400000_NS6detail17trampoline_kernelINS0_14default_configENS1_38merge_sort_block_merge_config_selectorIjNS0_10empty_typeEEEZZNS1_27merge_sort_block_merge_implIS3_PjPS5_jNS1_19radix_merge_compareILb1ELb1EjNS0_19identity_decomposerEEEEE10hipError_tT0_T1_T2_jT3_P12ihipStream_tbPNSt15iterator_traitsISE_E10value_typeEPNSK_ISF_E10value_typeEPSG_NS1_7vsmem_tEENKUlT_SE_SF_SG_E_clIS8_S8_S9_S9_EESD_ST_SE_SF_SG_EUlST_E0_NS1_11comp_targetILNS1_3genE3ELNS1_11target_archE908ELNS1_3gpuE7ELNS1_3repE0EEENS1_38merge_mergepath_config_static_selectorELNS0_4arch9wavefront6targetE0EEEvSF_
	.globl	_ZN7rocprim17ROCPRIM_400000_NS6detail17trampoline_kernelINS0_14default_configENS1_38merge_sort_block_merge_config_selectorIjNS0_10empty_typeEEEZZNS1_27merge_sort_block_merge_implIS3_PjPS5_jNS1_19radix_merge_compareILb1ELb1EjNS0_19identity_decomposerEEEEE10hipError_tT0_T1_T2_jT3_P12ihipStream_tbPNSt15iterator_traitsISE_E10value_typeEPNSK_ISF_E10value_typeEPSG_NS1_7vsmem_tEENKUlT_SE_SF_SG_E_clIS8_S8_S9_S9_EESD_ST_SE_SF_SG_EUlST_E0_NS1_11comp_targetILNS1_3genE3ELNS1_11target_archE908ELNS1_3gpuE7ELNS1_3repE0EEENS1_38merge_mergepath_config_static_selectorELNS0_4arch9wavefront6targetE0EEEvSF_
	.p2align	8
	.type	_ZN7rocprim17ROCPRIM_400000_NS6detail17trampoline_kernelINS0_14default_configENS1_38merge_sort_block_merge_config_selectorIjNS0_10empty_typeEEEZZNS1_27merge_sort_block_merge_implIS3_PjPS5_jNS1_19radix_merge_compareILb1ELb1EjNS0_19identity_decomposerEEEEE10hipError_tT0_T1_T2_jT3_P12ihipStream_tbPNSt15iterator_traitsISE_E10value_typeEPNSK_ISF_E10value_typeEPSG_NS1_7vsmem_tEENKUlT_SE_SF_SG_E_clIS8_S8_S9_S9_EESD_ST_SE_SF_SG_EUlST_E0_NS1_11comp_targetILNS1_3genE3ELNS1_11target_archE908ELNS1_3gpuE7ELNS1_3repE0EEENS1_38merge_mergepath_config_static_selectorELNS0_4arch9wavefront6targetE0EEEvSF_,@function
_ZN7rocprim17ROCPRIM_400000_NS6detail17trampoline_kernelINS0_14default_configENS1_38merge_sort_block_merge_config_selectorIjNS0_10empty_typeEEEZZNS1_27merge_sort_block_merge_implIS3_PjPS5_jNS1_19radix_merge_compareILb1ELb1EjNS0_19identity_decomposerEEEEE10hipError_tT0_T1_T2_jT3_P12ihipStream_tbPNSt15iterator_traitsISE_E10value_typeEPNSK_ISF_E10value_typeEPSG_NS1_7vsmem_tEENKUlT_SE_SF_SG_E_clIS8_S8_S9_S9_EESD_ST_SE_SF_SG_EUlST_E0_NS1_11comp_targetILNS1_3genE3ELNS1_11target_archE908ELNS1_3gpuE7ELNS1_3repE0EEENS1_38merge_mergepath_config_static_selectorELNS0_4arch9wavefront6targetE0EEEvSF_: ; @_ZN7rocprim17ROCPRIM_400000_NS6detail17trampoline_kernelINS0_14default_configENS1_38merge_sort_block_merge_config_selectorIjNS0_10empty_typeEEEZZNS1_27merge_sort_block_merge_implIS3_PjPS5_jNS1_19radix_merge_compareILb1ELb1EjNS0_19identity_decomposerEEEEE10hipError_tT0_T1_T2_jT3_P12ihipStream_tbPNSt15iterator_traitsISE_E10value_typeEPNSK_ISF_E10value_typeEPSG_NS1_7vsmem_tEENKUlT_SE_SF_SG_E_clIS8_S8_S9_S9_EESD_ST_SE_SF_SG_EUlST_E0_NS1_11comp_targetILNS1_3genE3ELNS1_11target_archE908ELNS1_3gpuE7ELNS1_3repE0EEENS1_38merge_mergepath_config_static_selectorELNS0_4arch9wavefront6targetE0EEEvSF_
; %bb.0:
	.section	.rodata,"a",@progbits
	.p2align	6, 0x0
	.amdhsa_kernel _ZN7rocprim17ROCPRIM_400000_NS6detail17trampoline_kernelINS0_14default_configENS1_38merge_sort_block_merge_config_selectorIjNS0_10empty_typeEEEZZNS1_27merge_sort_block_merge_implIS3_PjPS5_jNS1_19radix_merge_compareILb1ELb1EjNS0_19identity_decomposerEEEEE10hipError_tT0_T1_T2_jT3_P12ihipStream_tbPNSt15iterator_traitsISE_E10value_typeEPNSK_ISF_E10value_typeEPSG_NS1_7vsmem_tEENKUlT_SE_SF_SG_E_clIS8_S8_S9_S9_EESD_ST_SE_SF_SG_EUlST_E0_NS1_11comp_targetILNS1_3genE3ELNS1_11target_archE908ELNS1_3gpuE7ELNS1_3repE0EEENS1_38merge_mergepath_config_static_selectorELNS0_4arch9wavefront6targetE0EEEvSF_
		.amdhsa_group_segment_fixed_size 0
		.amdhsa_private_segment_fixed_size 0
		.amdhsa_kernarg_size 64
		.amdhsa_user_sgpr_count 2
		.amdhsa_user_sgpr_dispatch_ptr 0
		.amdhsa_user_sgpr_queue_ptr 0
		.amdhsa_user_sgpr_kernarg_segment_ptr 1
		.amdhsa_user_sgpr_dispatch_id 0
		.amdhsa_user_sgpr_kernarg_preload_length 0
		.amdhsa_user_sgpr_kernarg_preload_offset 0
		.amdhsa_user_sgpr_private_segment_size 0
		.amdhsa_wavefront_size32 1
		.amdhsa_uses_dynamic_stack 0
		.amdhsa_enable_private_segment 0
		.amdhsa_system_sgpr_workgroup_id_x 1
		.amdhsa_system_sgpr_workgroup_id_y 0
		.amdhsa_system_sgpr_workgroup_id_z 0
		.amdhsa_system_sgpr_workgroup_info 0
		.amdhsa_system_vgpr_workitem_id 0
		.amdhsa_next_free_vgpr 1
		.amdhsa_next_free_sgpr 1
		.amdhsa_named_barrier_count 0
		.amdhsa_reserve_vcc 0
		.amdhsa_float_round_mode_32 0
		.amdhsa_float_round_mode_16_64 0
		.amdhsa_float_denorm_mode_32 3
		.amdhsa_float_denorm_mode_16_64 3
		.amdhsa_fp16_overflow 0
		.amdhsa_memory_ordered 1
		.amdhsa_forward_progress 1
		.amdhsa_inst_pref_size 0
		.amdhsa_round_robin_scheduling 0
		.amdhsa_exception_fp_ieee_invalid_op 0
		.amdhsa_exception_fp_denorm_src 0
		.amdhsa_exception_fp_ieee_div_zero 0
		.amdhsa_exception_fp_ieee_overflow 0
		.amdhsa_exception_fp_ieee_underflow 0
		.amdhsa_exception_fp_ieee_inexact 0
		.amdhsa_exception_int_div_zero 0
	.end_amdhsa_kernel
	.section	.text._ZN7rocprim17ROCPRIM_400000_NS6detail17trampoline_kernelINS0_14default_configENS1_38merge_sort_block_merge_config_selectorIjNS0_10empty_typeEEEZZNS1_27merge_sort_block_merge_implIS3_PjPS5_jNS1_19radix_merge_compareILb1ELb1EjNS0_19identity_decomposerEEEEE10hipError_tT0_T1_T2_jT3_P12ihipStream_tbPNSt15iterator_traitsISE_E10value_typeEPNSK_ISF_E10value_typeEPSG_NS1_7vsmem_tEENKUlT_SE_SF_SG_E_clIS8_S8_S9_S9_EESD_ST_SE_SF_SG_EUlST_E0_NS1_11comp_targetILNS1_3genE3ELNS1_11target_archE908ELNS1_3gpuE7ELNS1_3repE0EEENS1_38merge_mergepath_config_static_selectorELNS0_4arch9wavefront6targetE0EEEvSF_,"axG",@progbits,_ZN7rocprim17ROCPRIM_400000_NS6detail17trampoline_kernelINS0_14default_configENS1_38merge_sort_block_merge_config_selectorIjNS0_10empty_typeEEEZZNS1_27merge_sort_block_merge_implIS3_PjPS5_jNS1_19radix_merge_compareILb1ELb1EjNS0_19identity_decomposerEEEEE10hipError_tT0_T1_T2_jT3_P12ihipStream_tbPNSt15iterator_traitsISE_E10value_typeEPNSK_ISF_E10value_typeEPSG_NS1_7vsmem_tEENKUlT_SE_SF_SG_E_clIS8_S8_S9_S9_EESD_ST_SE_SF_SG_EUlST_E0_NS1_11comp_targetILNS1_3genE3ELNS1_11target_archE908ELNS1_3gpuE7ELNS1_3repE0EEENS1_38merge_mergepath_config_static_selectorELNS0_4arch9wavefront6targetE0EEEvSF_,comdat
.Lfunc_end2595:
	.size	_ZN7rocprim17ROCPRIM_400000_NS6detail17trampoline_kernelINS0_14default_configENS1_38merge_sort_block_merge_config_selectorIjNS0_10empty_typeEEEZZNS1_27merge_sort_block_merge_implIS3_PjPS5_jNS1_19radix_merge_compareILb1ELb1EjNS0_19identity_decomposerEEEEE10hipError_tT0_T1_T2_jT3_P12ihipStream_tbPNSt15iterator_traitsISE_E10value_typeEPNSK_ISF_E10value_typeEPSG_NS1_7vsmem_tEENKUlT_SE_SF_SG_E_clIS8_S8_S9_S9_EESD_ST_SE_SF_SG_EUlST_E0_NS1_11comp_targetILNS1_3genE3ELNS1_11target_archE908ELNS1_3gpuE7ELNS1_3repE0EEENS1_38merge_mergepath_config_static_selectorELNS0_4arch9wavefront6targetE0EEEvSF_, .Lfunc_end2595-_ZN7rocprim17ROCPRIM_400000_NS6detail17trampoline_kernelINS0_14default_configENS1_38merge_sort_block_merge_config_selectorIjNS0_10empty_typeEEEZZNS1_27merge_sort_block_merge_implIS3_PjPS5_jNS1_19radix_merge_compareILb1ELb1EjNS0_19identity_decomposerEEEEE10hipError_tT0_T1_T2_jT3_P12ihipStream_tbPNSt15iterator_traitsISE_E10value_typeEPNSK_ISF_E10value_typeEPSG_NS1_7vsmem_tEENKUlT_SE_SF_SG_E_clIS8_S8_S9_S9_EESD_ST_SE_SF_SG_EUlST_E0_NS1_11comp_targetILNS1_3genE3ELNS1_11target_archE908ELNS1_3gpuE7ELNS1_3repE0EEENS1_38merge_mergepath_config_static_selectorELNS0_4arch9wavefront6targetE0EEEvSF_
                                        ; -- End function
	.set _ZN7rocprim17ROCPRIM_400000_NS6detail17trampoline_kernelINS0_14default_configENS1_38merge_sort_block_merge_config_selectorIjNS0_10empty_typeEEEZZNS1_27merge_sort_block_merge_implIS3_PjPS5_jNS1_19radix_merge_compareILb1ELb1EjNS0_19identity_decomposerEEEEE10hipError_tT0_T1_T2_jT3_P12ihipStream_tbPNSt15iterator_traitsISE_E10value_typeEPNSK_ISF_E10value_typeEPSG_NS1_7vsmem_tEENKUlT_SE_SF_SG_E_clIS8_S8_S9_S9_EESD_ST_SE_SF_SG_EUlST_E0_NS1_11comp_targetILNS1_3genE3ELNS1_11target_archE908ELNS1_3gpuE7ELNS1_3repE0EEENS1_38merge_mergepath_config_static_selectorELNS0_4arch9wavefront6targetE0EEEvSF_.num_vgpr, 0
	.set _ZN7rocprim17ROCPRIM_400000_NS6detail17trampoline_kernelINS0_14default_configENS1_38merge_sort_block_merge_config_selectorIjNS0_10empty_typeEEEZZNS1_27merge_sort_block_merge_implIS3_PjPS5_jNS1_19radix_merge_compareILb1ELb1EjNS0_19identity_decomposerEEEEE10hipError_tT0_T1_T2_jT3_P12ihipStream_tbPNSt15iterator_traitsISE_E10value_typeEPNSK_ISF_E10value_typeEPSG_NS1_7vsmem_tEENKUlT_SE_SF_SG_E_clIS8_S8_S9_S9_EESD_ST_SE_SF_SG_EUlST_E0_NS1_11comp_targetILNS1_3genE3ELNS1_11target_archE908ELNS1_3gpuE7ELNS1_3repE0EEENS1_38merge_mergepath_config_static_selectorELNS0_4arch9wavefront6targetE0EEEvSF_.num_agpr, 0
	.set _ZN7rocprim17ROCPRIM_400000_NS6detail17trampoline_kernelINS0_14default_configENS1_38merge_sort_block_merge_config_selectorIjNS0_10empty_typeEEEZZNS1_27merge_sort_block_merge_implIS3_PjPS5_jNS1_19radix_merge_compareILb1ELb1EjNS0_19identity_decomposerEEEEE10hipError_tT0_T1_T2_jT3_P12ihipStream_tbPNSt15iterator_traitsISE_E10value_typeEPNSK_ISF_E10value_typeEPSG_NS1_7vsmem_tEENKUlT_SE_SF_SG_E_clIS8_S8_S9_S9_EESD_ST_SE_SF_SG_EUlST_E0_NS1_11comp_targetILNS1_3genE3ELNS1_11target_archE908ELNS1_3gpuE7ELNS1_3repE0EEENS1_38merge_mergepath_config_static_selectorELNS0_4arch9wavefront6targetE0EEEvSF_.numbered_sgpr, 0
	.set _ZN7rocprim17ROCPRIM_400000_NS6detail17trampoline_kernelINS0_14default_configENS1_38merge_sort_block_merge_config_selectorIjNS0_10empty_typeEEEZZNS1_27merge_sort_block_merge_implIS3_PjPS5_jNS1_19radix_merge_compareILb1ELb1EjNS0_19identity_decomposerEEEEE10hipError_tT0_T1_T2_jT3_P12ihipStream_tbPNSt15iterator_traitsISE_E10value_typeEPNSK_ISF_E10value_typeEPSG_NS1_7vsmem_tEENKUlT_SE_SF_SG_E_clIS8_S8_S9_S9_EESD_ST_SE_SF_SG_EUlST_E0_NS1_11comp_targetILNS1_3genE3ELNS1_11target_archE908ELNS1_3gpuE7ELNS1_3repE0EEENS1_38merge_mergepath_config_static_selectorELNS0_4arch9wavefront6targetE0EEEvSF_.num_named_barrier, 0
	.set _ZN7rocprim17ROCPRIM_400000_NS6detail17trampoline_kernelINS0_14default_configENS1_38merge_sort_block_merge_config_selectorIjNS0_10empty_typeEEEZZNS1_27merge_sort_block_merge_implIS3_PjPS5_jNS1_19radix_merge_compareILb1ELb1EjNS0_19identity_decomposerEEEEE10hipError_tT0_T1_T2_jT3_P12ihipStream_tbPNSt15iterator_traitsISE_E10value_typeEPNSK_ISF_E10value_typeEPSG_NS1_7vsmem_tEENKUlT_SE_SF_SG_E_clIS8_S8_S9_S9_EESD_ST_SE_SF_SG_EUlST_E0_NS1_11comp_targetILNS1_3genE3ELNS1_11target_archE908ELNS1_3gpuE7ELNS1_3repE0EEENS1_38merge_mergepath_config_static_selectorELNS0_4arch9wavefront6targetE0EEEvSF_.private_seg_size, 0
	.set _ZN7rocprim17ROCPRIM_400000_NS6detail17trampoline_kernelINS0_14default_configENS1_38merge_sort_block_merge_config_selectorIjNS0_10empty_typeEEEZZNS1_27merge_sort_block_merge_implIS3_PjPS5_jNS1_19radix_merge_compareILb1ELb1EjNS0_19identity_decomposerEEEEE10hipError_tT0_T1_T2_jT3_P12ihipStream_tbPNSt15iterator_traitsISE_E10value_typeEPNSK_ISF_E10value_typeEPSG_NS1_7vsmem_tEENKUlT_SE_SF_SG_E_clIS8_S8_S9_S9_EESD_ST_SE_SF_SG_EUlST_E0_NS1_11comp_targetILNS1_3genE3ELNS1_11target_archE908ELNS1_3gpuE7ELNS1_3repE0EEENS1_38merge_mergepath_config_static_selectorELNS0_4arch9wavefront6targetE0EEEvSF_.uses_vcc, 0
	.set _ZN7rocprim17ROCPRIM_400000_NS6detail17trampoline_kernelINS0_14default_configENS1_38merge_sort_block_merge_config_selectorIjNS0_10empty_typeEEEZZNS1_27merge_sort_block_merge_implIS3_PjPS5_jNS1_19radix_merge_compareILb1ELb1EjNS0_19identity_decomposerEEEEE10hipError_tT0_T1_T2_jT3_P12ihipStream_tbPNSt15iterator_traitsISE_E10value_typeEPNSK_ISF_E10value_typeEPSG_NS1_7vsmem_tEENKUlT_SE_SF_SG_E_clIS8_S8_S9_S9_EESD_ST_SE_SF_SG_EUlST_E0_NS1_11comp_targetILNS1_3genE3ELNS1_11target_archE908ELNS1_3gpuE7ELNS1_3repE0EEENS1_38merge_mergepath_config_static_selectorELNS0_4arch9wavefront6targetE0EEEvSF_.uses_flat_scratch, 0
	.set _ZN7rocprim17ROCPRIM_400000_NS6detail17trampoline_kernelINS0_14default_configENS1_38merge_sort_block_merge_config_selectorIjNS0_10empty_typeEEEZZNS1_27merge_sort_block_merge_implIS3_PjPS5_jNS1_19radix_merge_compareILb1ELb1EjNS0_19identity_decomposerEEEEE10hipError_tT0_T1_T2_jT3_P12ihipStream_tbPNSt15iterator_traitsISE_E10value_typeEPNSK_ISF_E10value_typeEPSG_NS1_7vsmem_tEENKUlT_SE_SF_SG_E_clIS8_S8_S9_S9_EESD_ST_SE_SF_SG_EUlST_E0_NS1_11comp_targetILNS1_3genE3ELNS1_11target_archE908ELNS1_3gpuE7ELNS1_3repE0EEENS1_38merge_mergepath_config_static_selectorELNS0_4arch9wavefront6targetE0EEEvSF_.has_dyn_sized_stack, 0
	.set _ZN7rocprim17ROCPRIM_400000_NS6detail17trampoline_kernelINS0_14default_configENS1_38merge_sort_block_merge_config_selectorIjNS0_10empty_typeEEEZZNS1_27merge_sort_block_merge_implIS3_PjPS5_jNS1_19radix_merge_compareILb1ELb1EjNS0_19identity_decomposerEEEEE10hipError_tT0_T1_T2_jT3_P12ihipStream_tbPNSt15iterator_traitsISE_E10value_typeEPNSK_ISF_E10value_typeEPSG_NS1_7vsmem_tEENKUlT_SE_SF_SG_E_clIS8_S8_S9_S9_EESD_ST_SE_SF_SG_EUlST_E0_NS1_11comp_targetILNS1_3genE3ELNS1_11target_archE908ELNS1_3gpuE7ELNS1_3repE0EEENS1_38merge_mergepath_config_static_selectorELNS0_4arch9wavefront6targetE0EEEvSF_.has_recursion, 0
	.set _ZN7rocprim17ROCPRIM_400000_NS6detail17trampoline_kernelINS0_14default_configENS1_38merge_sort_block_merge_config_selectorIjNS0_10empty_typeEEEZZNS1_27merge_sort_block_merge_implIS3_PjPS5_jNS1_19radix_merge_compareILb1ELb1EjNS0_19identity_decomposerEEEEE10hipError_tT0_T1_T2_jT3_P12ihipStream_tbPNSt15iterator_traitsISE_E10value_typeEPNSK_ISF_E10value_typeEPSG_NS1_7vsmem_tEENKUlT_SE_SF_SG_E_clIS8_S8_S9_S9_EESD_ST_SE_SF_SG_EUlST_E0_NS1_11comp_targetILNS1_3genE3ELNS1_11target_archE908ELNS1_3gpuE7ELNS1_3repE0EEENS1_38merge_mergepath_config_static_selectorELNS0_4arch9wavefront6targetE0EEEvSF_.has_indirect_call, 0
	.section	.AMDGPU.csdata,"",@progbits
; Kernel info:
; codeLenInByte = 0
; TotalNumSgprs: 0
; NumVgprs: 0
; ScratchSize: 0
; MemoryBound: 0
; FloatMode: 240
; IeeeMode: 1
; LDSByteSize: 0 bytes/workgroup (compile time only)
; SGPRBlocks: 0
; VGPRBlocks: 0
; NumSGPRsForWavesPerEU: 1
; NumVGPRsForWavesPerEU: 1
; NamedBarCnt: 0
; Occupancy: 16
; WaveLimiterHint : 0
; COMPUTE_PGM_RSRC2:SCRATCH_EN: 0
; COMPUTE_PGM_RSRC2:USER_SGPR: 2
; COMPUTE_PGM_RSRC2:TRAP_HANDLER: 0
; COMPUTE_PGM_RSRC2:TGID_X_EN: 1
; COMPUTE_PGM_RSRC2:TGID_Y_EN: 0
; COMPUTE_PGM_RSRC2:TGID_Z_EN: 0
; COMPUTE_PGM_RSRC2:TIDIG_COMP_CNT: 0
	.section	.text._ZN7rocprim17ROCPRIM_400000_NS6detail17trampoline_kernelINS0_14default_configENS1_38merge_sort_block_merge_config_selectorIjNS0_10empty_typeEEEZZNS1_27merge_sort_block_merge_implIS3_PjPS5_jNS1_19radix_merge_compareILb1ELb1EjNS0_19identity_decomposerEEEEE10hipError_tT0_T1_T2_jT3_P12ihipStream_tbPNSt15iterator_traitsISE_E10value_typeEPNSK_ISF_E10value_typeEPSG_NS1_7vsmem_tEENKUlT_SE_SF_SG_E_clIS8_S8_S9_S9_EESD_ST_SE_SF_SG_EUlST_E0_NS1_11comp_targetILNS1_3genE2ELNS1_11target_archE906ELNS1_3gpuE6ELNS1_3repE0EEENS1_38merge_mergepath_config_static_selectorELNS0_4arch9wavefront6targetE0EEEvSF_,"axG",@progbits,_ZN7rocprim17ROCPRIM_400000_NS6detail17trampoline_kernelINS0_14default_configENS1_38merge_sort_block_merge_config_selectorIjNS0_10empty_typeEEEZZNS1_27merge_sort_block_merge_implIS3_PjPS5_jNS1_19radix_merge_compareILb1ELb1EjNS0_19identity_decomposerEEEEE10hipError_tT0_T1_T2_jT3_P12ihipStream_tbPNSt15iterator_traitsISE_E10value_typeEPNSK_ISF_E10value_typeEPSG_NS1_7vsmem_tEENKUlT_SE_SF_SG_E_clIS8_S8_S9_S9_EESD_ST_SE_SF_SG_EUlST_E0_NS1_11comp_targetILNS1_3genE2ELNS1_11target_archE906ELNS1_3gpuE6ELNS1_3repE0EEENS1_38merge_mergepath_config_static_selectorELNS0_4arch9wavefront6targetE0EEEvSF_,comdat
	.protected	_ZN7rocprim17ROCPRIM_400000_NS6detail17trampoline_kernelINS0_14default_configENS1_38merge_sort_block_merge_config_selectorIjNS0_10empty_typeEEEZZNS1_27merge_sort_block_merge_implIS3_PjPS5_jNS1_19radix_merge_compareILb1ELb1EjNS0_19identity_decomposerEEEEE10hipError_tT0_T1_T2_jT3_P12ihipStream_tbPNSt15iterator_traitsISE_E10value_typeEPNSK_ISF_E10value_typeEPSG_NS1_7vsmem_tEENKUlT_SE_SF_SG_E_clIS8_S8_S9_S9_EESD_ST_SE_SF_SG_EUlST_E0_NS1_11comp_targetILNS1_3genE2ELNS1_11target_archE906ELNS1_3gpuE6ELNS1_3repE0EEENS1_38merge_mergepath_config_static_selectorELNS0_4arch9wavefront6targetE0EEEvSF_ ; -- Begin function _ZN7rocprim17ROCPRIM_400000_NS6detail17trampoline_kernelINS0_14default_configENS1_38merge_sort_block_merge_config_selectorIjNS0_10empty_typeEEEZZNS1_27merge_sort_block_merge_implIS3_PjPS5_jNS1_19radix_merge_compareILb1ELb1EjNS0_19identity_decomposerEEEEE10hipError_tT0_T1_T2_jT3_P12ihipStream_tbPNSt15iterator_traitsISE_E10value_typeEPNSK_ISF_E10value_typeEPSG_NS1_7vsmem_tEENKUlT_SE_SF_SG_E_clIS8_S8_S9_S9_EESD_ST_SE_SF_SG_EUlST_E0_NS1_11comp_targetILNS1_3genE2ELNS1_11target_archE906ELNS1_3gpuE6ELNS1_3repE0EEENS1_38merge_mergepath_config_static_selectorELNS0_4arch9wavefront6targetE0EEEvSF_
	.globl	_ZN7rocprim17ROCPRIM_400000_NS6detail17trampoline_kernelINS0_14default_configENS1_38merge_sort_block_merge_config_selectorIjNS0_10empty_typeEEEZZNS1_27merge_sort_block_merge_implIS3_PjPS5_jNS1_19radix_merge_compareILb1ELb1EjNS0_19identity_decomposerEEEEE10hipError_tT0_T1_T2_jT3_P12ihipStream_tbPNSt15iterator_traitsISE_E10value_typeEPNSK_ISF_E10value_typeEPSG_NS1_7vsmem_tEENKUlT_SE_SF_SG_E_clIS8_S8_S9_S9_EESD_ST_SE_SF_SG_EUlST_E0_NS1_11comp_targetILNS1_3genE2ELNS1_11target_archE906ELNS1_3gpuE6ELNS1_3repE0EEENS1_38merge_mergepath_config_static_selectorELNS0_4arch9wavefront6targetE0EEEvSF_
	.p2align	8
	.type	_ZN7rocprim17ROCPRIM_400000_NS6detail17trampoline_kernelINS0_14default_configENS1_38merge_sort_block_merge_config_selectorIjNS0_10empty_typeEEEZZNS1_27merge_sort_block_merge_implIS3_PjPS5_jNS1_19radix_merge_compareILb1ELb1EjNS0_19identity_decomposerEEEEE10hipError_tT0_T1_T2_jT3_P12ihipStream_tbPNSt15iterator_traitsISE_E10value_typeEPNSK_ISF_E10value_typeEPSG_NS1_7vsmem_tEENKUlT_SE_SF_SG_E_clIS8_S8_S9_S9_EESD_ST_SE_SF_SG_EUlST_E0_NS1_11comp_targetILNS1_3genE2ELNS1_11target_archE906ELNS1_3gpuE6ELNS1_3repE0EEENS1_38merge_mergepath_config_static_selectorELNS0_4arch9wavefront6targetE0EEEvSF_,@function
_ZN7rocprim17ROCPRIM_400000_NS6detail17trampoline_kernelINS0_14default_configENS1_38merge_sort_block_merge_config_selectorIjNS0_10empty_typeEEEZZNS1_27merge_sort_block_merge_implIS3_PjPS5_jNS1_19radix_merge_compareILb1ELb1EjNS0_19identity_decomposerEEEEE10hipError_tT0_T1_T2_jT3_P12ihipStream_tbPNSt15iterator_traitsISE_E10value_typeEPNSK_ISF_E10value_typeEPSG_NS1_7vsmem_tEENKUlT_SE_SF_SG_E_clIS8_S8_S9_S9_EESD_ST_SE_SF_SG_EUlST_E0_NS1_11comp_targetILNS1_3genE2ELNS1_11target_archE906ELNS1_3gpuE6ELNS1_3repE0EEENS1_38merge_mergepath_config_static_selectorELNS0_4arch9wavefront6targetE0EEEvSF_: ; @_ZN7rocprim17ROCPRIM_400000_NS6detail17trampoline_kernelINS0_14default_configENS1_38merge_sort_block_merge_config_selectorIjNS0_10empty_typeEEEZZNS1_27merge_sort_block_merge_implIS3_PjPS5_jNS1_19radix_merge_compareILb1ELb1EjNS0_19identity_decomposerEEEEE10hipError_tT0_T1_T2_jT3_P12ihipStream_tbPNSt15iterator_traitsISE_E10value_typeEPNSK_ISF_E10value_typeEPSG_NS1_7vsmem_tEENKUlT_SE_SF_SG_E_clIS8_S8_S9_S9_EESD_ST_SE_SF_SG_EUlST_E0_NS1_11comp_targetILNS1_3genE2ELNS1_11target_archE906ELNS1_3gpuE6ELNS1_3repE0EEENS1_38merge_mergepath_config_static_selectorELNS0_4arch9wavefront6targetE0EEEvSF_
; %bb.0:
	.section	.rodata,"a",@progbits
	.p2align	6, 0x0
	.amdhsa_kernel _ZN7rocprim17ROCPRIM_400000_NS6detail17trampoline_kernelINS0_14default_configENS1_38merge_sort_block_merge_config_selectorIjNS0_10empty_typeEEEZZNS1_27merge_sort_block_merge_implIS3_PjPS5_jNS1_19radix_merge_compareILb1ELb1EjNS0_19identity_decomposerEEEEE10hipError_tT0_T1_T2_jT3_P12ihipStream_tbPNSt15iterator_traitsISE_E10value_typeEPNSK_ISF_E10value_typeEPSG_NS1_7vsmem_tEENKUlT_SE_SF_SG_E_clIS8_S8_S9_S9_EESD_ST_SE_SF_SG_EUlST_E0_NS1_11comp_targetILNS1_3genE2ELNS1_11target_archE906ELNS1_3gpuE6ELNS1_3repE0EEENS1_38merge_mergepath_config_static_selectorELNS0_4arch9wavefront6targetE0EEEvSF_
		.amdhsa_group_segment_fixed_size 0
		.amdhsa_private_segment_fixed_size 0
		.amdhsa_kernarg_size 64
		.amdhsa_user_sgpr_count 2
		.amdhsa_user_sgpr_dispatch_ptr 0
		.amdhsa_user_sgpr_queue_ptr 0
		.amdhsa_user_sgpr_kernarg_segment_ptr 1
		.amdhsa_user_sgpr_dispatch_id 0
		.amdhsa_user_sgpr_kernarg_preload_length 0
		.amdhsa_user_sgpr_kernarg_preload_offset 0
		.amdhsa_user_sgpr_private_segment_size 0
		.amdhsa_wavefront_size32 1
		.amdhsa_uses_dynamic_stack 0
		.amdhsa_enable_private_segment 0
		.amdhsa_system_sgpr_workgroup_id_x 1
		.amdhsa_system_sgpr_workgroup_id_y 0
		.amdhsa_system_sgpr_workgroup_id_z 0
		.amdhsa_system_sgpr_workgroup_info 0
		.amdhsa_system_vgpr_workitem_id 0
		.amdhsa_next_free_vgpr 1
		.amdhsa_next_free_sgpr 1
		.amdhsa_named_barrier_count 0
		.amdhsa_reserve_vcc 0
		.amdhsa_float_round_mode_32 0
		.amdhsa_float_round_mode_16_64 0
		.amdhsa_float_denorm_mode_32 3
		.amdhsa_float_denorm_mode_16_64 3
		.amdhsa_fp16_overflow 0
		.amdhsa_memory_ordered 1
		.amdhsa_forward_progress 1
		.amdhsa_inst_pref_size 0
		.amdhsa_round_robin_scheduling 0
		.amdhsa_exception_fp_ieee_invalid_op 0
		.amdhsa_exception_fp_denorm_src 0
		.amdhsa_exception_fp_ieee_div_zero 0
		.amdhsa_exception_fp_ieee_overflow 0
		.amdhsa_exception_fp_ieee_underflow 0
		.amdhsa_exception_fp_ieee_inexact 0
		.amdhsa_exception_int_div_zero 0
	.end_amdhsa_kernel
	.section	.text._ZN7rocprim17ROCPRIM_400000_NS6detail17trampoline_kernelINS0_14default_configENS1_38merge_sort_block_merge_config_selectorIjNS0_10empty_typeEEEZZNS1_27merge_sort_block_merge_implIS3_PjPS5_jNS1_19radix_merge_compareILb1ELb1EjNS0_19identity_decomposerEEEEE10hipError_tT0_T1_T2_jT3_P12ihipStream_tbPNSt15iterator_traitsISE_E10value_typeEPNSK_ISF_E10value_typeEPSG_NS1_7vsmem_tEENKUlT_SE_SF_SG_E_clIS8_S8_S9_S9_EESD_ST_SE_SF_SG_EUlST_E0_NS1_11comp_targetILNS1_3genE2ELNS1_11target_archE906ELNS1_3gpuE6ELNS1_3repE0EEENS1_38merge_mergepath_config_static_selectorELNS0_4arch9wavefront6targetE0EEEvSF_,"axG",@progbits,_ZN7rocprim17ROCPRIM_400000_NS6detail17trampoline_kernelINS0_14default_configENS1_38merge_sort_block_merge_config_selectorIjNS0_10empty_typeEEEZZNS1_27merge_sort_block_merge_implIS3_PjPS5_jNS1_19radix_merge_compareILb1ELb1EjNS0_19identity_decomposerEEEEE10hipError_tT0_T1_T2_jT3_P12ihipStream_tbPNSt15iterator_traitsISE_E10value_typeEPNSK_ISF_E10value_typeEPSG_NS1_7vsmem_tEENKUlT_SE_SF_SG_E_clIS8_S8_S9_S9_EESD_ST_SE_SF_SG_EUlST_E0_NS1_11comp_targetILNS1_3genE2ELNS1_11target_archE906ELNS1_3gpuE6ELNS1_3repE0EEENS1_38merge_mergepath_config_static_selectorELNS0_4arch9wavefront6targetE0EEEvSF_,comdat
.Lfunc_end2596:
	.size	_ZN7rocprim17ROCPRIM_400000_NS6detail17trampoline_kernelINS0_14default_configENS1_38merge_sort_block_merge_config_selectorIjNS0_10empty_typeEEEZZNS1_27merge_sort_block_merge_implIS3_PjPS5_jNS1_19radix_merge_compareILb1ELb1EjNS0_19identity_decomposerEEEEE10hipError_tT0_T1_T2_jT3_P12ihipStream_tbPNSt15iterator_traitsISE_E10value_typeEPNSK_ISF_E10value_typeEPSG_NS1_7vsmem_tEENKUlT_SE_SF_SG_E_clIS8_S8_S9_S9_EESD_ST_SE_SF_SG_EUlST_E0_NS1_11comp_targetILNS1_3genE2ELNS1_11target_archE906ELNS1_3gpuE6ELNS1_3repE0EEENS1_38merge_mergepath_config_static_selectorELNS0_4arch9wavefront6targetE0EEEvSF_, .Lfunc_end2596-_ZN7rocprim17ROCPRIM_400000_NS6detail17trampoline_kernelINS0_14default_configENS1_38merge_sort_block_merge_config_selectorIjNS0_10empty_typeEEEZZNS1_27merge_sort_block_merge_implIS3_PjPS5_jNS1_19radix_merge_compareILb1ELb1EjNS0_19identity_decomposerEEEEE10hipError_tT0_T1_T2_jT3_P12ihipStream_tbPNSt15iterator_traitsISE_E10value_typeEPNSK_ISF_E10value_typeEPSG_NS1_7vsmem_tEENKUlT_SE_SF_SG_E_clIS8_S8_S9_S9_EESD_ST_SE_SF_SG_EUlST_E0_NS1_11comp_targetILNS1_3genE2ELNS1_11target_archE906ELNS1_3gpuE6ELNS1_3repE0EEENS1_38merge_mergepath_config_static_selectorELNS0_4arch9wavefront6targetE0EEEvSF_
                                        ; -- End function
	.set _ZN7rocprim17ROCPRIM_400000_NS6detail17trampoline_kernelINS0_14default_configENS1_38merge_sort_block_merge_config_selectorIjNS0_10empty_typeEEEZZNS1_27merge_sort_block_merge_implIS3_PjPS5_jNS1_19radix_merge_compareILb1ELb1EjNS0_19identity_decomposerEEEEE10hipError_tT0_T1_T2_jT3_P12ihipStream_tbPNSt15iterator_traitsISE_E10value_typeEPNSK_ISF_E10value_typeEPSG_NS1_7vsmem_tEENKUlT_SE_SF_SG_E_clIS8_S8_S9_S9_EESD_ST_SE_SF_SG_EUlST_E0_NS1_11comp_targetILNS1_3genE2ELNS1_11target_archE906ELNS1_3gpuE6ELNS1_3repE0EEENS1_38merge_mergepath_config_static_selectorELNS0_4arch9wavefront6targetE0EEEvSF_.num_vgpr, 0
	.set _ZN7rocprim17ROCPRIM_400000_NS6detail17trampoline_kernelINS0_14default_configENS1_38merge_sort_block_merge_config_selectorIjNS0_10empty_typeEEEZZNS1_27merge_sort_block_merge_implIS3_PjPS5_jNS1_19radix_merge_compareILb1ELb1EjNS0_19identity_decomposerEEEEE10hipError_tT0_T1_T2_jT3_P12ihipStream_tbPNSt15iterator_traitsISE_E10value_typeEPNSK_ISF_E10value_typeEPSG_NS1_7vsmem_tEENKUlT_SE_SF_SG_E_clIS8_S8_S9_S9_EESD_ST_SE_SF_SG_EUlST_E0_NS1_11comp_targetILNS1_3genE2ELNS1_11target_archE906ELNS1_3gpuE6ELNS1_3repE0EEENS1_38merge_mergepath_config_static_selectorELNS0_4arch9wavefront6targetE0EEEvSF_.num_agpr, 0
	.set _ZN7rocprim17ROCPRIM_400000_NS6detail17trampoline_kernelINS0_14default_configENS1_38merge_sort_block_merge_config_selectorIjNS0_10empty_typeEEEZZNS1_27merge_sort_block_merge_implIS3_PjPS5_jNS1_19radix_merge_compareILb1ELb1EjNS0_19identity_decomposerEEEEE10hipError_tT0_T1_T2_jT3_P12ihipStream_tbPNSt15iterator_traitsISE_E10value_typeEPNSK_ISF_E10value_typeEPSG_NS1_7vsmem_tEENKUlT_SE_SF_SG_E_clIS8_S8_S9_S9_EESD_ST_SE_SF_SG_EUlST_E0_NS1_11comp_targetILNS1_3genE2ELNS1_11target_archE906ELNS1_3gpuE6ELNS1_3repE0EEENS1_38merge_mergepath_config_static_selectorELNS0_4arch9wavefront6targetE0EEEvSF_.numbered_sgpr, 0
	.set _ZN7rocprim17ROCPRIM_400000_NS6detail17trampoline_kernelINS0_14default_configENS1_38merge_sort_block_merge_config_selectorIjNS0_10empty_typeEEEZZNS1_27merge_sort_block_merge_implIS3_PjPS5_jNS1_19radix_merge_compareILb1ELb1EjNS0_19identity_decomposerEEEEE10hipError_tT0_T1_T2_jT3_P12ihipStream_tbPNSt15iterator_traitsISE_E10value_typeEPNSK_ISF_E10value_typeEPSG_NS1_7vsmem_tEENKUlT_SE_SF_SG_E_clIS8_S8_S9_S9_EESD_ST_SE_SF_SG_EUlST_E0_NS1_11comp_targetILNS1_3genE2ELNS1_11target_archE906ELNS1_3gpuE6ELNS1_3repE0EEENS1_38merge_mergepath_config_static_selectorELNS0_4arch9wavefront6targetE0EEEvSF_.num_named_barrier, 0
	.set _ZN7rocprim17ROCPRIM_400000_NS6detail17trampoline_kernelINS0_14default_configENS1_38merge_sort_block_merge_config_selectorIjNS0_10empty_typeEEEZZNS1_27merge_sort_block_merge_implIS3_PjPS5_jNS1_19radix_merge_compareILb1ELb1EjNS0_19identity_decomposerEEEEE10hipError_tT0_T1_T2_jT3_P12ihipStream_tbPNSt15iterator_traitsISE_E10value_typeEPNSK_ISF_E10value_typeEPSG_NS1_7vsmem_tEENKUlT_SE_SF_SG_E_clIS8_S8_S9_S9_EESD_ST_SE_SF_SG_EUlST_E0_NS1_11comp_targetILNS1_3genE2ELNS1_11target_archE906ELNS1_3gpuE6ELNS1_3repE0EEENS1_38merge_mergepath_config_static_selectorELNS0_4arch9wavefront6targetE0EEEvSF_.private_seg_size, 0
	.set _ZN7rocprim17ROCPRIM_400000_NS6detail17trampoline_kernelINS0_14default_configENS1_38merge_sort_block_merge_config_selectorIjNS0_10empty_typeEEEZZNS1_27merge_sort_block_merge_implIS3_PjPS5_jNS1_19radix_merge_compareILb1ELb1EjNS0_19identity_decomposerEEEEE10hipError_tT0_T1_T2_jT3_P12ihipStream_tbPNSt15iterator_traitsISE_E10value_typeEPNSK_ISF_E10value_typeEPSG_NS1_7vsmem_tEENKUlT_SE_SF_SG_E_clIS8_S8_S9_S9_EESD_ST_SE_SF_SG_EUlST_E0_NS1_11comp_targetILNS1_3genE2ELNS1_11target_archE906ELNS1_3gpuE6ELNS1_3repE0EEENS1_38merge_mergepath_config_static_selectorELNS0_4arch9wavefront6targetE0EEEvSF_.uses_vcc, 0
	.set _ZN7rocprim17ROCPRIM_400000_NS6detail17trampoline_kernelINS0_14default_configENS1_38merge_sort_block_merge_config_selectorIjNS0_10empty_typeEEEZZNS1_27merge_sort_block_merge_implIS3_PjPS5_jNS1_19radix_merge_compareILb1ELb1EjNS0_19identity_decomposerEEEEE10hipError_tT0_T1_T2_jT3_P12ihipStream_tbPNSt15iterator_traitsISE_E10value_typeEPNSK_ISF_E10value_typeEPSG_NS1_7vsmem_tEENKUlT_SE_SF_SG_E_clIS8_S8_S9_S9_EESD_ST_SE_SF_SG_EUlST_E0_NS1_11comp_targetILNS1_3genE2ELNS1_11target_archE906ELNS1_3gpuE6ELNS1_3repE0EEENS1_38merge_mergepath_config_static_selectorELNS0_4arch9wavefront6targetE0EEEvSF_.uses_flat_scratch, 0
	.set _ZN7rocprim17ROCPRIM_400000_NS6detail17trampoline_kernelINS0_14default_configENS1_38merge_sort_block_merge_config_selectorIjNS0_10empty_typeEEEZZNS1_27merge_sort_block_merge_implIS3_PjPS5_jNS1_19radix_merge_compareILb1ELb1EjNS0_19identity_decomposerEEEEE10hipError_tT0_T1_T2_jT3_P12ihipStream_tbPNSt15iterator_traitsISE_E10value_typeEPNSK_ISF_E10value_typeEPSG_NS1_7vsmem_tEENKUlT_SE_SF_SG_E_clIS8_S8_S9_S9_EESD_ST_SE_SF_SG_EUlST_E0_NS1_11comp_targetILNS1_3genE2ELNS1_11target_archE906ELNS1_3gpuE6ELNS1_3repE0EEENS1_38merge_mergepath_config_static_selectorELNS0_4arch9wavefront6targetE0EEEvSF_.has_dyn_sized_stack, 0
	.set _ZN7rocprim17ROCPRIM_400000_NS6detail17trampoline_kernelINS0_14default_configENS1_38merge_sort_block_merge_config_selectorIjNS0_10empty_typeEEEZZNS1_27merge_sort_block_merge_implIS3_PjPS5_jNS1_19radix_merge_compareILb1ELb1EjNS0_19identity_decomposerEEEEE10hipError_tT0_T1_T2_jT3_P12ihipStream_tbPNSt15iterator_traitsISE_E10value_typeEPNSK_ISF_E10value_typeEPSG_NS1_7vsmem_tEENKUlT_SE_SF_SG_E_clIS8_S8_S9_S9_EESD_ST_SE_SF_SG_EUlST_E0_NS1_11comp_targetILNS1_3genE2ELNS1_11target_archE906ELNS1_3gpuE6ELNS1_3repE0EEENS1_38merge_mergepath_config_static_selectorELNS0_4arch9wavefront6targetE0EEEvSF_.has_recursion, 0
	.set _ZN7rocprim17ROCPRIM_400000_NS6detail17trampoline_kernelINS0_14default_configENS1_38merge_sort_block_merge_config_selectorIjNS0_10empty_typeEEEZZNS1_27merge_sort_block_merge_implIS3_PjPS5_jNS1_19radix_merge_compareILb1ELb1EjNS0_19identity_decomposerEEEEE10hipError_tT0_T1_T2_jT3_P12ihipStream_tbPNSt15iterator_traitsISE_E10value_typeEPNSK_ISF_E10value_typeEPSG_NS1_7vsmem_tEENKUlT_SE_SF_SG_E_clIS8_S8_S9_S9_EESD_ST_SE_SF_SG_EUlST_E0_NS1_11comp_targetILNS1_3genE2ELNS1_11target_archE906ELNS1_3gpuE6ELNS1_3repE0EEENS1_38merge_mergepath_config_static_selectorELNS0_4arch9wavefront6targetE0EEEvSF_.has_indirect_call, 0
	.section	.AMDGPU.csdata,"",@progbits
; Kernel info:
; codeLenInByte = 0
; TotalNumSgprs: 0
; NumVgprs: 0
; ScratchSize: 0
; MemoryBound: 0
; FloatMode: 240
; IeeeMode: 1
; LDSByteSize: 0 bytes/workgroup (compile time only)
; SGPRBlocks: 0
; VGPRBlocks: 0
; NumSGPRsForWavesPerEU: 1
; NumVGPRsForWavesPerEU: 1
; NamedBarCnt: 0
; Occupancy: 16
; WaveLimiterHint : 0
; COMPUTE_PGM_RSRC2:SCRATCH_EN: 0
; COMPUTE_PGM_RSRC2:USER_SGPR: 2
; COMPUTE_PGM_RSRC2:TRAP_HANDLER: 0
; COMPUTE_PGM_RSRC2:TGID_X_EN: 1
; COMPUTE_PGM_RSRC2:TGID_Y_EN: 0
; COMPUTE_PGM_RSRC2:TGID_Z_EN: 0
; COMPUTE_PGM_RSRC2:TIDIG_COMP_CNT: 0
	.section	.text._ZN7rocprim17ROCPRIM_400000_NS6detail17trampoline_kernelINS0_14default_configENS1_38merge_sort_block_merge_config_selectorIjNS0_10empty_typeEEEZZNS1_27merge_sort_block_merge_implIS3_PjPS5_jNS1_19radix_merge_compareILb1ELb1EjNS0_19identity_decomposerEEEEE10hipError_tT0_T1_T2_jT3_P12ihipStream_tbPNSt15iterator_traitsISE_E10value_typeEPNSK_ISF_E10value_typeEPSG_NS1_7vsmem_tEENKUlT_SE_SF_SG_E_clIS8_S8_S9_S9_EESD_ST_SE_SF_SG_EUlST_E0_NS1_11comp_targetILNS1_3genE9ELNS1_11target_archE1100ELNS1_3gpuE3ELNS1_3repE0EEENS1_38merge_mergepath_config_static_selectorELNS0_4arch9wavefront6targetE0EEEvSF_,"axG",@progbits,_ZN7rocprim17ROCPRIM_400000_NS6detail17trampoline_kernelINS0_14default_configENS1_38merge_sort_block_merge_config_selectorIjNS0_10empty_typeEEEZZNS1_27merge_sort_block_merge_implIS3_PjPS5_jNS1_19radix_merge_compareILb1ELb1EjNS0_19identity_decomposerEEEEE10hipError_tT0_T1_T2_jT3_P12ihipStream_tbPNSt15iterator_traitsISE_E10value_typeEPNSK_ISF_E10value_typeEPSG_NS1_7vsmem_tEENKUlT_SE_SF_SG_E_clIS8_S8_S9_S9_EESD_ST_SE_SF_SG_EUlST_E0_NS1_11comp_targetILNS1_3genE9ELNS1_11target_archE1100ELNS1_3gpuE3ELNS1_3repE0EEENS1_38merge_mergepath_config_static_selectorELNS0_4arch9wavefront6targetE0EEEvSF_,comdat
	.protected	_ZN7rocprim17ROCPRIM_400000_NS6detail17trampoline_kernelINS0_14default_configENS1_38merge_sort_block_merge_config_selectorIjNS0_10empty_typeEEEZZNS1_27merge_sort_block_merge_implIS3_PjPS5_jNS1_19radix_merge_compareILb1ELb1EjNS0_19identity_decomposerEEEEE10hipError_tT0_T1_T2_jT3_P12ihipStream_tbPNSt15iterator_traitsISE_E10value_typeEPNSK_ISF_E10value_typeEPSG_NS1_7vsmem_tEENKUlT_SE_SF_SG_E_clIS8_S8_S9_S9_EESD_ST_SE_SF_SG_EUlST_E0_NS1_11comp_targetILNS1_3genE9ELNS1_11target_archE1100ELNS1_3gpuE3ELNS1_3repE0EEENS1_38merge_mergepath_config_static_selectorELNS0_4arch9wavefront6targetE0EEEvSF_ ; -- Begin function _ZN7rocprim17ROCPRIM_400000_NS6detail17trampoline_kernelINS0_14default_configENS1_38merge_sort_block_merge_config_selectorIjNS0_10empty_typeEEEZZNS1_27merge_sort_block_merge_implIS3_PjPS5_jNS1_19radix_merge_compareILb1ELb1EjNS0_19identity_decomposerEEEEE10hipError_tT0_T1_T2_jT3_P12ihipStream_tbPNSt15iterator_traitsISE_E10value_typeEPNSK_ISF_E10value_typeEPSG_NS1_7vsmem_tEENKUlT_SE_SF_SG_E_clIS8_S8_S9_S9_EESD_ST_SE_SF_SG_EUlST_E0_NS1_11comp_targetILNS1_3genE9ELNS1_11target_archE1100ELNS1_3gpuE3ELNS1_3repE0EEENS1_38merge_mergepath_config_static_selectorELNS0_4arch9wavefront6targetE0EEEvSF_
	.globl	_ZN7rocprim17ROCPRIM_400000_NS6detail17trampoline_kernelINS0_14default_configENS1_38merge_sort_block_merge_config_selectorIjNS0_10empty_typeEEEZZNS1_27merge_sort_block_merge_implIS3_PjPS5_jNS1_19radix_merge_compareILb1ELb1EjNS0_19identity_decomposerEEEEE10hipError_tT0_T1_T2_jT3_P12ihipStream_tbPNSt15iterator_traitsISE_E10value_typeEPNSK_ISF_E10value_typeEPSG_NS1_7vsmem_tEENKUlT_SE_SF_SG_E_clIS8_S8_S9_S9_EESD_ST_SE_SF_SG_EUlST_E0_NS1_11comp_targetILNS1_3genE9ELNS1_11target_archE1100ELNS1_3gpuE3ELNS1_3repE0EEENS1_38merge_mergepath_config_static_selectorELNS0_4arch9wavefront6targetE0EEEvSF_
	.p2align	8
	.type	_ZN7rocprim17ROCPRIM_400000_NS6detail17trampoline_kernelINS0_14default_configENS1_38merge_sort_block_merge_config_selectorIjNS0_10empty_typeEEEZZNS1_27merge_sort_block_merge_implIS3_PjPS5_jNS1_19radix_merge_compareILb1ELb1EjNS0_19identity_decomposerEEEEE10hipError_tT0_T1_T2_jT3_P12ihipStream_tbPNSt15iterator_traitsISE_E10value_typeEPNSK_ISF_E10value_typeEPSG_NS1_7vsmem_tEENKUlT_SE_SF_SG_E_clIS8_S8_S9_S9_EESD_ST_SE_SF_SG_EUlST_E0_NS1_11comp_targetILNS1_3genE9ELNS1_11target_archE1100ELNS1_3gpuE3ELNS1_3repE0EEENS1_38merge_mergepath_config_static_selectorELNS0_4arch9wavefront6targetE0EEEvSF_,@function
_ZN7rocprim17ROCPRIM_400000_NS6detail17trampoline_kernelINS0_14default_configENS1_38merge_sort_block_merge_config_selectorIjNS0_10empty_typeEEEZZNS1_27merge_sort_block_merge_implIS3_PjPS5_jNS1_19radix_merge_compareILb1ELb1EjNS0_19identity_decomposerEEEEE10hipError_tT0_T1_T2_jT3_P12ihipStream_tbPNSt15iterator_traitsISE_E10value_typeEPNSK_ISF_E10value_typeEPSG_NS1_7vsmem_tEENKUlT_SE_SF_SG_E_clIS8_S8_S9_S9_EESD_ST_SE_SF_SG_EUlST_E0_NS1_11comp_targetILNS1_3genE9ELNS1_11target_archE1100ELNS1_3gpuE3ELNS1_3repE0EEENS1_38merge_mergepath_config_static_selectorELNS0_4arch9wavefront6targetE0EEEvSF_: ; @_ZN7rocprim17ROCPRIM_400000_NS6detail17trampoline_kernelINS0_14default_configENS1_38merge_sort_block_merge_config_selectorIjNS0_10empty_typeEEEZZNS1_27merge_sort_block_merge_implIS3_PjPS5_jNS1_19radix_merge_compareILb1ELb1EjNS0_19identity_decomposerEEEEE10hipError_tT0_T1_T2_jT3_P12ihipStream_tbPNSt15iterator_traitsISE_E10value_typeEPNSK_ISF_E10value_typeEPSG_NS1_7vsmem_tEENKUlT_SE_SF_SG_E_clIS8_S8_S9_S9_EESD_ST_SE_SF_SG_EUlST_E0_NS1_11comp_targetILNS1_3genE9ELNS1_11target_archE1100ELNS1_3gpuE3ELNS1_3repE0EEENS1_38merge_mergepath_config_static_selectorELNS0_4arch9wavefront6targetE0EEEvSF_
; %bb.0:
	.section	.rodata,"a",@progbits
	.p2align	6, 0x0
	.amdhsa_kernel _ZN7rocprim17ROCPRIM_400000_NS6detail17trampoline_kernelINS0_14default_configENS1_38merge_sort_block_merge_config_selectorIjNS0_10empty_typeEEEZZNS1_27merge_sort_block_merge_implIS3_PjPS5_jNS1_19radix_merge_compareILb1ELb1EjNS0_19identity_decomposerEEEEE10hipError_tT0_T1_T2_jT3_P12ihipStream_tbPNSt15iterator_traitsISE_E10value_typeEPNSK_ISF_E10value_typeEPSG_NS1_7vsmem_tEENKUlT_SE_SF_SG_E_clIS8_S8_S9_S9_EESD_ST_SE_SF_SG_EUlST_E0_NS1_11comp_targetILNS1_3genE9ELNS1_11target_archE1100ELNS1_3gpuE3ELNS1_3repE0EEENS1_38merge_mergepath_config_static_selectorELNS0_4arch9wavefront6targetE0EEEvSF_
		.amdhsa_group_segment_fixed_size 0
		.amdhsa_private_segment_fixed_size 0
		.amdhsa_kernarg_size 64
		.amdhsa_user_sgpr_count 2
		.amdhsa_user_sgpr_dispatch_ptr 0
		.amdhsa_user_sgpr_queue_ptr 0
		.amdhsa_user_sgpr_kernarg_segment_ptr 1
		.amdhsa_user_sgpr_dispatch_id 0
		.amdhsa_user_sgpr_kernarg_preload_length 0
		.amdhsa_user_sgpr_kernarg_preload_offset 0
		.amdhsa_user_sgpr_private_segment_size 0
		.amdhsa_wavefront_size32 1
		.amdhsa_uses_dynamic_stack 0
		.amdhsa_enable_private_segment 0
		.amdhsa_system_sgpr_workgroup_id_x 1
		.amdhsa_system_sgpr_workgroup_id_y 0
		.amdhsa_system_sgpr_workgroup_id_z 0
		.amdhsa_system_sgpr_workgroup_info 0
		.amdhsa_system_vgpr_workitem_id 0
		.amdhsa_next_free_vgpr 1
		.amdhsa_next_free_sgpr 1
		.amdhsa_named_barrier_count 0
		.amdhsa_reserve_vcc 0
		.amdhsa_float_round_mode_32 0
		.amdhsa_float_round_mode_16_64 0
		.amdhsa_float_denorm_mode_32 3
		.amdhsa_float_denorm_mode_16_64 3
		.amdhsa_fp16_overflow 0
		.amdhsa_memory_ordered 1
		.amdhsa_forward_progress 1
		.amdhsa_inst_pref_size 0
		.amdhsa_round_robin_scheduling 0
		.amdhsa_exception_fp_ieee_invalid_op 0
		.amdhsa_exception_fp_denorm_src 0
		.amdhsa_exception_fp_ieee_div_zero 0
		.amdhsa_exception_fp_ieee_overflow 0
		.amdhsa_exception_fp_ieee_underflow 0
		.amdhsa_exception_fp_ieee_inexact 0
		.amdhsa_exception_int_div_zero 0
	.end_amdhsa_kernel
	.section	.text._ZN7rocprim17ROCPRIM_400000_NS6detail17trampoline_kernelINS0_14default_configENS1_38merge_sort_block_merge_config_selectorIjNS0_10empty_typeEEEZZNS1_27merge_sort_block_merge_implIS3_PjPS5_jNS1_19radix_merge_compareILb1ELb1EjNS0_19identity_decomposerEEEEE10hipError_tT0_T1_T2_jT3_P12ihipStream_tbPNSt15iterator_traitsISE_E10value_typeEPNSK_ISF_E10value_typeEPSG_NS1_7vsmem_tEENKUlT_SE_SF_SG_E_clIS8_S8_S9_S9_EESD_ST_SE_SF_SG_EUlST_E0_NS1_11comp_targetILNS1_3genE9ELNS1_11target_archE1100ELNS1_3gpuE3ELNS1_3repE0EEENS1_38merge_mergepath_config_static_selectorELNS0_4arch9wavefront6targetE0EEEvSF_,"axG",@progbits,_ZN7rocprim17ROCPRIM_400000_NS6detail17trampoline_kernelINS0_14default_configENS1_38merge_sort_block_merge_config_selectorIjNS0_10empty_typeEEEZZNS1_27merge_sort_block_merge_implIS3_PjPS5_jNS1_19radix_merge_compareILb1ELb1EjNS0_19identity_decomposerEEEEE10hipError_tT0_T1_T2_jT3_P12ihipStream_tbPNSt15iterator_traitsISE_E10value_typeEPNSK_ISF_E10value_typeEPSG_NS1_7vsmem_tEENKUlT_SE_SF_SG_E_clIS8_S8_S9_S9_EESD_ST_SE_SF_SG_EUlST_E0_NS1_11comp_targetILNS1_3genE9ELNS1_11target_archE1100ELNS1_3gpuE3ELNS1_3repE0EEENS1_38merge_mergepath_config_static_selectorELNS0_4arch9wavefront6targetE0EEEvSF_,comdat
.Lfunc_end2597:
	.size	_ZN7rocprim17ROCPRIM_400000_NS6detail17trampoline_kernelINS0_14default_configENS1_38merge_sort_block_merge_config_selectorIjNS0_10empty_typeEEEZZNS1_27merge_sort_block_merge_implIS3_PjPS5_jNS1_19radix_merge_compareILb1ELb1EjNS0_19identity_decomposerEEEEE10hipError_tT0_T1_T2_jT3_P12ihipStream_tbPNSt15iterator_traitsISE_E10value_typeEPNSK_ISF_E10value_typeEPSG_NS1_7vsmem_tEENKUlT_SE_SF_SG_E_clIS8_S8_S9_S9_EESD_ST_SE_SF_SG_EUlST_E0_NS1_11comp_targetILNS1_3genE9ELNS1_11target_archE1100ELNS1_3gpuE3ELNS1_3repE0EEENS1_38merge_mergepath_config_static_selectorELNS0_4arch9wavefront6targetE0EEEvSF_, .Lfunc_end2597-_ZN7rocprim17ROCPRIM_400000_NS6detail17trampoline_kernelINS0_14default_configENS1_38merge_sort_block_merge_config_selectorIjNS0_10empty_typeEEEZZNS1_27merge_sort_block_merge_implIS3_PjPS5_jNS1_19radix_merge_compareILb1ELb1EjNS0_19identity_decomposerEEEEE10hipError_tT0_T1_T2_jT3_P12ihipStream_tbPNSt15iterator_traitsISE_E10value_typeEPNSK_ISF_E10value_typeEPSG_NS1_7vsmem_tEENKUlT_SE_SF_SG_E_clIS8_S8_S9_S9_EESD_ST_SE_SF_SG_EUlST_E0_NS1_11comp_targetILNS1_3genE9ELNS1_11target_archE1100ELNS1_3gpuE3ELNS1_3repE0EEENS1_38merge_mergepath_config_static_selectorELNS0_4arch9wavefront6targetE0EEEvSF_
                                        ; -- End function
	.set _ZN7rocprim17ROCPRIM_400000_NS6detail17trampoline_kernelINS0_14default_configENS1_38merge_sort_block_merge_config_selectorIjNS0_10empty_typeEEEZZNS1_27merge_sort_block_merge_implIS3_PjPS5_jNS1_19radix_merge_compareILb1ELb1EjNS0_19identity_decomposerEEEEE10hipError_tT0_T1_T2_jT3_P12ihipStream_tbPNSt15iterator_traitsISE_E10value_typeEPNSK_ISF_E10value_typeEPSG_NS1_7vsmem_tEENKUlT_SE_SF_SG_E_clIS8_S8_S9_S9_EESD_ST_SE_SF_SG_EUlST_E0_NS1_11comp_targetILNS1_3genE9ELNS1_11target_archE1100ELNS1_3gpuE3ELNS1_3repE0EEENS1_38merge_mergepath_config_static_selectorELNS0_4arch9wavefront6targetE0EEEvSF_.num_vgpr, 0
	.set _ZN7rocprim17ROCPRIM_400000_NS6detail17trampoline_kernelINS0_14default_configENS1_38merge_sort_block_merge_config_selectorIjNS0_10empty_typeEEEZZNS1_27merge_sort_block_merge_implIS3_PjPS5_jNS1_19radix_merge_compareILb1ELb1EjNS0_19identity_decomposerEEEEE10hipError_tT0_T1_T2_jT3_P12ihipStream_tbPNSt15iterator_traitsISE_E10value_typeEPNSK_ISF_E10value_typeEPSG_NS1_7vsmem_tEENKUlT_SE_SF_SG_E_clIS8_S8_S9_S9_EESD_ST_SE_SF_SG_EUlST_E0_NS1_11comp_targetILNS1_3genE9ELNS1_11target_archE1100ELNS1_3gpuE3ELNS1_3repE0EEENS1_38merge_mergepath_config_static_selectorELNS0_4arch9wavefront6targetE0EEEvSF_.num_agpr, 0
	.set _ZN7rocprim17ROCPRIM_400000_NS6detail17trampoline_kernelINS0_14default_configENS1_38merge_sort_block_merge_config_selectorIjNS0_10empty_typeEEEZZNS1_27merge_sort_block_merge_implIS3_PjPS5_jNS1_19radix_merge_compareILb1ELb1EjNS0_19identity_decomposerEEEEE10hipError_tT0_T1_T2_jT3_P12ihipStream_tbPNSt15iterator_traitsISE_E10value_typeEPNSK_ISF_E10value_typeEPSG_NS1_7vsmem_tEENKUlT_SE_SF_SG_E_clIS8_S8_S9_S9_EESD_ST_SE_SF_SG_EUlST_E0_NS1_11comp_targetILNS1_3genE9ELNS1_11target_archE1100ELNS1_3gpuE3ELNS1_3repE0EEENS1_38merge_mergepath_config_static_selectorELNS0_4arch9wavefront6targetE0EEEvSF_.numbered_sgpr, 0
	.set _ZN7rocprim17ROCPRIM_400000_NS6detail17trampoline_kernelINS0_14default_configENS1_38merge_sort_block_merge_config_selectorIjNS0_10empty_typeEEEZZNS1_27merge_sort_block_merge_implIS3_PjPS5_jNS1_19radix_merge_compareILb1ELb1EjNS0_19identity_decomposerEEEEE10hipError_tT0_T1_T2_jT3_P12ihipStream_tbPNSt15iterator_traitsISE_E10value_typeEPNSK_ISF_E10value_typeEPSG_NS1_7vsmem_tEENKUlT_SE_SF_SG_E_clIS8_S8_S9_S9_EESD_ST_SE_SF_SG_EUlST_E0_NS1_11comp_targetILNS1_3genE9ELNS1_11target_archE1100ELNS1_3gpuE3ELNS1_3repE0EEENS1_38merge_mergepath_config_static_selectorELNS0_4arch9wavefront6targetE0EEEvSF_.num_named_barrier, 0
	.set _ZN7rocprim17ROCPRIM_400000_NS6detail17trampoline_kernelINS0_14default_configENS1_38merge_sort_block_merge_config_selectorIjNS0_10empty_typeEEEZZNS1_27merge_sort_block_merge_implIS3_PjPS5_jNS1_19radix_merge_compareILb1ELb1EjNS0_19identity_decomposerEEEEE10hipError_tT0_T1_T2_jT3_P12ihipStream_tbPNSt15iterator_traitsISE_E10value_typeEPNSK_ISF_E10value_typeEPSG_NS1_7vsmem_tEENKUlT_SE_SF_SG_E_clIS8_S8_S9_S9_EESD_ST_SE_SF_SG_EUlST_E0_NS1_11comp_targetILNS1_3genE9ELNS1_11target_archE1100ELNS1_3gpuE3ELNS1_3repE0EEENS1_38merge_mergepath_config_static_selectorELNS0_4arch9wavefront6targetE0EEEvSF_.private_seg_size, 0
	.set _ZN7rocprim17ROCPRIM_400000_NS6detail17trampoline_kernelINS0_14default_configENS1_38merge_sort_block_merge_config_selectorIjNS0_10empty_typeEEEZZNS1_27merge_sort_block_merge_implIS3_PjPS5_jNS1_19radix_merge_compareILb1ELb1EjNS0_19identity_decomposerEEEEE10hipError_tT0_T1_T2_jT3_P12ihipStream_tbPNSt15iterator_traitsISE_E10value_typeEPNSK_ISF_E10value_typeEPSG_NS1_7vsmem_tEENKUlT_SE_SF_SG_E_clIS8_S8_S9_S9_EESD_ST_SE_SF_SG_EUlST_E0_NS1_11comp_targetILNS1_3genE9ELNS1_11target_archE1100ELNS1_3gpuE3ELNS1_3repE0EEENS1_38merge_mergepath_config_static_selectorELNS0_4arch9wavefront6targetE0EEEvSF_.uses_vcc, 0
	.set _ZN7rocprim17ROCPRIM_400000_NS6detail17trampoline_kernelINS0_14default_configENS1_38merge_sort_block_merge_config_selectorIjNS0_10empty_typeEEEZZNS1_27merge_sort_block_merge_implIS3_PjPS5_jNS1_19radix_merge_compareILb1ELb1EjNS0_19identity_decomposerEEEEE10hipError_tT0_T1_T2_jT3_P12ihipStream_tbPNSt15iterator_traitsISE_E10value_typeEPNSK_ISF_E10value_typeEPSG_NS1_7vsmem_tEENKUlT_SE_SF_SG_E_clIS8_S8_S9_S9_EESD_ST_SE_SF_SG_EUlST_E0_NS1_11comp_targetILNS1_3genE9ELNS1_11target_archE1100ELNS1_3gpuE3ELNS1_3repE0EEENS1_38merge_mergepath_config_static_selectorELNS0_4arch9wavefront6targetE0EEEvSF_.uses_flat_scratch, 0
	.set _ZN7rocprim17ROCPRIM_400000_NS6detail17trampoline_kernelINS0_14default_configENS1_38merge_sort_block_merge_config_selectorIjNS0_10empty_typeEEEZZNS1_27merge_sort_block_merge_implIS3_PjPS5_jNS1_19radix_merge_compareILb1ELb1EjNS0_19identity_decomposerEEEEE10hipError_tT0_T1_T2_jT3_P12ihipStream_tbPNSt15iterator_traitsISE_E10value_typeEPNSK_ISF_E10value_typeEPSG_NS1_7vsmem_tEENKUlT_SE_SF_SG_E_clIS8_S8_S9_S9_EESD_ST_SE_SF_SG_EUlST_E0_NS1_11comp_targetILNS1_3genE9ELNS1_11target_archE1100ELNS1_3gpuE3ELNS1_3repE0EEENS1_38merge_mergepath_config_static_selectorELNS0_4arch9wavefront6targetE0EEEvSF_.has_dyn_sized_stack, 0
	.set _ZN7rocprim17ROCPRIM_400000_NS6detail17trampoline_kernelINS0_14default_configENS1_38merge_sort_block_merge_config_selectorIjNS0_10empty_typeEEEZZNS1_27merge_sort_block_merge_implIS3_PjPS5_jNS1_19radix_merge_compareILb1ELb1EjNS0_19identity_decomposerEEEEE10hipError_tT0_T1_T2_jT3_P12ihipStream_tbPNSt15iterator_traitsISE_E10value_typeEPNSK_ISF_E10value_typeEPSG_NS1_7vsmem_tEENKUlT_SE_SF_SG_E_clIS8_S8_S9_S9_EESD_ST_SE_SF_SG_EUlST_E0_NS1_11comp_targetILNS1_3genE9ELNS1_11target_archE1100ELNS1_3gpuE3ELNS1_3repE0EEENS1_38merge_mergepath_config_static_selectorELNS0_4arch9wavefront6targetE0EEEvSF_.has_recursion, 0
	.set _ZN7rocprim17ROCPRIM_400000_NS6detail17trampoline_kernelINS0_14default_configENS1_38merge_sort_block_merge_config_selectorIjNS0_10empty_typeEEEZZNS1_27merge_sort_block_merge_implIS3_PjPS5_jNS1_19radix_merge_compareILb1ELb1EjNS0_19identity_decomposerEEEEE10hipError_tT0_T1_T2_jT3_P12ihipStream_tbPNSt15iterator_traitsISE_E10value_typeEPNSK_ISF_E10value_typeEPSG_NS1_7vsmem_tEENKUlT_SE_SF_SG_E_clIS8_S8_S9_S9_EESD_ST_SE_SF_SG_EUlST_E0_NS1_11comp_targetILNS1_3genE9ELNS1_11target_archE1100ELNS1_3gpuE3ELNS1_3repE0EEENS1_38merge_mergepath_config_static_selectorELNS0_4arch9wavefront6targetE0EEEvSF_.has_indirect_call, 0
	.section	.AMDGPU.csdata,"",@progbits
; Kernel info:
; codeLenInByte = 0
; TotalNumSgprs: 0
; NumVgprs: 0
; ScratchSize: 0
; MemoryBound: 0
; FloatMode: 240
; IeeeMode: 1
; LDSByteSize: 0 bytes/workgroup (compile time only)
; SGPRBlocks: 0
; VGPRBlocks: 0
; NumSGPRsForWavesPerEU: 1
; NumVGPRsForWavesPerEU: 1
; NamedBarCnt: 0
; Occupancy: 16
; WaveLimiterHint : 0
; COMPUTE_PGM_RSRC2:SCRATCH_EN: 0
; COMPUTE_PGM_RSRC2:USER_SGPR: 2
; COMPUTE_PGM_RSRC2:TRAP_HANDLER: 0
; COMPUTE_PGM_RSRC2:TGID_X_EN: 1
; COMPUTE_PGM_RSRC2:TGID_Y_EN: 0
; COMPUTE_PGM_RSRC2:TGID_Z_EN: 0
; COMPUTE_PGM_RSRC2:TIDIG_COMP_CNT: 0
	.section	.text._ZN7rocprim17ROCPRIM_400000_NS6detail17trampoline_kernelINS0_14default_configENS1_38merge_sort_block_merge_config_selectorIjNS0_10empty_typeEEEZZNS1_27merge_sort_block_merge_implIS3_PjPS5_jNS1_19radix_merge_compareILb1ELb1EjNS0_19identity_decomposerEEEEE10hipError_tT0_T1_T2_jT3_P12ihipStream_tbPNSt15iterator_traitsISE_E10value_typeEPNSK_ISF_E10value_typeEPSG_NS1_7vsmem_tEENKUlT_SE_SF_SG_E_clIS8_S8_S9_S9_EESD_ST_SE_SF_SG_EUlST_E0_NS1_11comp_targetILNS1_3genE8ELNS1_11target_archE1030ELNS1_3gpuE2ELNS1_3repE0EEENS1_38merge_mergepath_config_static_selectorELNS0_4arch9wavefront6targetE0EEEvSF_,"axG",@progbits,_ZN7rocprim17ROCPRIM_400000_NS6detail17trampoline_kernelINS0_14default_configENS1_38merge_sort_block_merge_config_selectorIjNS0_10empty_typeEEEZZNS1_27merge_sort_block_merge_implIS3_PjPS5_jNS1_19radix_merge_compareILb1ELb1EjNS0_19identity_decomposerEEEEE10hipError_tT0_T1_T2_jT3_P12ihipStream_tbPNSt15iterator_traitsISE_E10value_typeEPNSK_ISF_E10value_typeEPSG_NS1_7vsmem_tEENKUlT_SE_SF_SG_E_clIS8_S8_S9_S9_EESD_ST_SE_SF_SG_EUlST_E0_NS1_11comp_targetILNS1_3genE8ELNS1_11target_archE1030ELNS1_3gpuE2ELNS1_3repE0EEENS1_38merge_mergepath_config_static_selectorELNS0_4arch9wavefront6targetE0EEEvSF_,comdat
	.protected	_ZN7rocprim17ROCPRIM_400000_NS6detail17trampoline_kernelINS0_14default_configENS1_38merge_sort_block_merge_config_selectorIjNS0_10empty_typeEEEZZNS1_27merge_sort_block_merge_implIS3_PjPS5_jNS1_19radix_merge_compareILb1ELb1EjNS0_19identity_decomposerEEEEE10hipError_tT0_T1_T2_jT3_P12ihipStream_tbPNSt15iterator_traitsISE_E10value_typeEPNSK_ISF_E10value_typeEPSG_NS1_7vsmem_tEENKUlT_SE_SF_SG_E_clIS8_S8_S9_S9_EESD_ST_SE_SF_SG_EUlST_E0_NS1_11comp_targetILNS1_3genE8ELNS1_11target_archE1030ELNS1_3gpuE2ELNS1_3repE0EEENS1_38merge_mergepath_config_static_selectorELNS0_4arch9wavefront6targetE0EEEvSF_ ; -- Begin function _ZN7rocprim17ROCPRIM_400000_NS6detail17trampoline_kernelINS0_14default_configENS1_38merge_sort_block_merge_config_selectorIjNS0_10empty_typeEEEZZNS1_27merge_sort_block_merge_implIS3_PjPS5_jNS1_19radix_merge_compareILb1ELb1EjNS0_19identity_decomposerEEEEE10hipError_tT0_T1_T2_jT3_P12ihipStream_tbPNSt15iterator_traitsISE_E10value_typeEPNSK_ISF_E10value_typeEPSG_NS1_7vsmem_tEENKUlT_SE_SF_SG_E_clIS8_S8_S9_S9_EESD_ST_SE_SF_SG_EUlST_E0_NS1_11comp_targetILNS1_3genE8ELNS1_11target_archE1030ELNS1_3gpuE2ELNS1_3repE0EEENS1_38merge_mergepath_config_static_selectorELNS0_4arch9wavefront6targetE0EEEvSF_
	.globl	_ZN7rocprim17ROCPRIM_400000_NS6detail17trampoline_kernelINS0_14default_configENS1_38merge_sort_block_merge_config_selectorIjNS0_10empty_typeEEEZZNS1_27merge_sort_block_merge_implIS3_PjPS5_jNS1_19radix_merge_compareILb1ELb1EjNS0_19identity_decomposerEEEEE10hipError_tT0_T1_T2_jT3_P12ihipStream_tbPNSt15iterator_traitsISE_E10value_typeEPNSK_ISF_E10value_typeEPSG_NS1_7vsmem_tEENKUlT_SE_SF_SG_E_clIS8_S8_S9_S9_EESD_ST_SE_SF_SG_EUlST_E0_NS1_11comp_targetILNS1_3genE8ELNS1_11target_archE1030ELNS1_3gpuE2ELNS1_3repE0EEENS1_38merge_mergepath_config_static_selectorELNS0_4arch9wavefront6targetE0EEEvSF_
	.p2align	8
	.type	_ZN7rocprim17ROCPRIM_400000_NS6detail17trampoline_kernelINS0_14default_configENS1_38merge_sort_block_merge_config_selectorIjNS0_10empty_typeEEEZZNS1_27merge_sort_block_merge_implIS3_PjPS5_jNS1_19radix_merge_compareILb1ELb1EjNS0_19identity_decomposerEEEEE10hipError_tT0_T1_T2_jT3_P12ihipStream_tbPNSt15iterator_traitsISE_E10value_typeEPNSK_ISF_E10value_typeEPSG_NS1_7vsmem_tEENKUlT_SE_SF_SG_E_clIS8_S8_S9_S9_EESD_ST_SE_SF_SG_EUlST_E0_NS1_11comp_targetILNS1_3genE8ELNS1_11target_archE1030ELNS1_3gpuE2ELNS1_3repE0EEENS1_38merge_mergepath_config_static_selectorELNS0_4arch9wavefront6targetE0EEEvSF_,@function
_ZN7rocprim17ROCPRIM_400000_NS6detail17trampoline_kernelINS0_14default_configENS1_38merge_sort_block_merge_config_selectorIjNS0_10empty_typeEEEZZNS1_27merge_sort_block_merge_implIS3_PjPS5_jNS1_19radix_merge_compareILb1ELb1EjNS0_19identity_decomposerEEEEE10hipError_tT0_T1_T2_jT3_P12ihipStream_tbPNSt15iterator_traitsISE_E10value_typeEPNSK_ISF_E10value_typeEPSG_NS1_7vsmem_tEENKUlT_SE_SF_SG_E_clIS8_S8_S9_S9_EESD_ST_SE_SF_SG_EUlST_E0_NS1_11comp_targetILNS1_3genE8ELNS1_11target_archE1030ELNS1_3gpuE2ELNS1_3repE0EEENS1_38merge_mergepath_config_static_selectorELNS0_4arch9wavefront6targetE0EEEvSF_: ; @_ZN7rocprim17ROCPRIM_400000_NS6detail17trampoline_kernelINS0_14default_configENS1_38merge_sort_block_merge_config_selectorIjNS0_10empty_typeEEEZZNS1_27merge_sort_block_merge_implIS3_PjPS5_jNS1_19radix_merge_compareILb1ELb1EjNS0_19identity_decomposerEEEEE10hipError_tT0_T1_T2_jT3_P12ihipStream_tbPNSt15iterator_traitsISE_E10value_typeEPNSK_ISF_E10value_typeEPSG_NS1_7vsmem_tEENKUlT_SE_SF_SG_E_clIS8_S8_S9_S9_EESD_ST_SE_SF_SG_EUlST_E0_NS1_11comp_targetILNS1_3genE8ELNS1_11target_archE1030ELNS1_3gpuE2ELNS1_3repE0EEENS1_38merge_mergepath_config_static_selectorELNS0_4arch9wavefront6targetE0EEEvSF_
; %bb.0:
	.section	.rodata,"a",@progbits
	.p2align	6, 0x0
	.amdhsa_kernel _ZN7rocprim17ROCPRIM_400000_NS6detail17trampoline_kernelINS0_14default_configENS1_38merge_sort_block_merge_config_selectorIjNS0_10empty_typeEEEZZNS1_27merge_sort_block_merge_implIS3_PjPS5_jNS1_19radix_merge_compareILb1ELb1EjNS0_19identity_decomposerEEEEE10hipError_tT0_T1_T2_jT3_P12ihipStream_tbPNSt15iterator_traitsISE_E10value_typeEPNSK_ISF_E10value_typeEPSG_NS1_7vsmem_tEENKUlT_SE_SF_SG_E_clIS8_S8_S9_S9_EESD_ST_SE_SF_SG_EUlST_E0_NS1_11comp_targetILNS1_3genE8ELNS1_11target_archE1030ELNS1_3gpuE2ELNS1_3repE0EEENS1_38merge_mergepath_config_static_selectorELNS0_4arch9wavefront6targetE0EEEvSF_
		.amdhsa_group_segment_fixed_size 0
		.amdhsa_private_segment_fixed_size 0
		.amdhsa_kernarg_size 64
		.amdhsa_user_sgpr_count 2
		.amdhsa_user_sgpr_dispatch_ptr 0
		.amdhsa_user_sgpr_queue_ptr 0
		.amdhsa_user_sgpr_kernarg_segment_ptr 1
		.amdhsa_user_sgpr_dispatch_id 0
		.amdhsa_user_sgpr_kernarg_preload_length 0
		.amdhsa_user_sgpr_kernarg_preload_offset 0
		.amdhsa_user_sgpr_private_segment_size 0
		.amdhsa_wavefront_size32 1
		.amdhsa_uses_dynamic_stack 0
		.amdhsa_enable_private_segment 0
		.amdhsa_system_sgpr_workgroup_id_x 1
		.amdhsa_system_sgpr_workgroup_id_y 0
		.amdhsa_system_sgpr_workgroup_id_z 0
		.amdhsa_system_sgpr_workgroup_info 0
		.amdhsa_system_vgpr_workitem_id 0
		.amdhsa_next_free_vgpr 1
		.amdhsa_next_free_sgpr 1
		.amdhsa_named_barrier_count 0
		.amdhsa_reserve_vcc 0
		.amdhsa_float_round_mode_32 0
		.amdhsa_float_round_mode_16_64 0
		.amdhsa_float_denorm_mode_32 3
		.amdhsa_float_denorm_mode_16_64 3
		.amdhsa_fp16_overflow 0
		.amdhsa_memory_ordered 1
		.amdhsa_forward_progress 1
		.amdhsa_inst_pref_size 0
		.amdhsa_round_robin_scheduling 0
		.amdhsa_exception_fp_ieee_invalid_op 0
		.amdhsa_exception_fp_denorm_src 0
		.amdhsa_exception_fp_ieee_div_zero 0
		.amdhsa_exception_fp_ieee_overflow 0
		.amdhsa_exception_fp_ieee_underflow 0
		.amdhsa_exception_fp_ieee_inexact 0
		.amdhsa_exception_int_div_zero 0
	.end_amdhsa_kernel
	.section	.text._ZN7rocprim17ROCPRIM_400000_NS6detail17trampoline_kernelINS0_14default_configENS1_38merge_sort_block_merge_config_selectorIjNS0_10empty_typeEEEZZNS1_27merge_sort_block_merge_implIS3_PjPS5_jNS1_19radix_merge_compareILb1ELb1EjNS0_19identity_decomposerEEEEE10hipError_tT0_T1_T2_jT3_P12ihipStream_tbPNSt15iterator_traitsISE_E10value_typeEPNSK_ISF_E10value_typeEPSG_NS1_7vsmem_tEENKUlT_SE_SF_SG_E_clIS8_S8_S9_S9_EESD_ST_SE_SF_SG_EUlST_E0_NS1_11comp_targetILNS1_3genE8ELNS1_11target_archE1030ELNS1_3gpuE2ELNS1_3repE0EEENS1_38merge_mergepath_config_static_selectorELNS0_4arch9wavefront6targetE0EEEvSF_,"axG",@progbits,_ZN7rocprim17ROCPRIM_400000_NS6detail17trampoline_kernelINS0_14default_configENS1_38merge_sort_block_merge_config_selectorIjNS0_10empty_typeEEEZZNS1_27merge_sort_block_merge_implIS3_PjPS5_jNS1_19radix_merge_compareILb1ELb1EjNS0_19identity_decomposerEEEEE10hipError_tT0_T1_T2_jT3_P12ihipStream_tbPNSt15iterator_traitsISE_E10value_typeEPNSK_ISF_E10value_typeEPSG_NS1_7vsmem_tEENKUlT_SE_SF_SG_E_clIS8_S8_S9_S9_EESD_ST_SE_SF_SG_EUlST_E0_NS1_11comp_targetILNS1_3genE8ELNS1_11target_archE1030ELNS1_3gpuE2ELNS1_3repE0EEENS1_38merge_mergepath_config_static_selectorELNS0_4arch9wavefront6targetE0EEEvSF_,comdat
.Lfunc_end2598:
	.size	_ZN7rocprim17ROCPRIM_400000_NS6detail17trampoline_kernelINS0_14default_configENS1_38merge_sort_block_merge_config_selectorIjNS0_10empty_typeEEEZZNS1_27merge_sort_block_merge_implIS3_PjPS5_jNS1_19radix_merge_compareILb1ELb1EjNS0_19identity_decomposerEEEEE10hipError_tT0_T1_T2_jT3_P12ihipStream_tbPNSt15iterator_traitsISE_E10value_typeEPNSK_ISF_E10value_typeEPSG_NS1_7vsmem_tEENKUlT_SE_SF_SG_E_clIS8_S8_S9_S9_EESD_ST_SE_SF_SG_EUlST_E0_NS1_11comp_targetILNS1_3genE8ELNS1_11target_archE1030ELNS1_3gpuE2ELNS1_3repE0EEENS1_38merge_mergepath_config_static_selectorELNS0_4arch9wavefront6targetE0EEEvSF_, .Lfunc_end2598-_ZN7rocprim17ROCPRIM_400000_NS6detail17trampoline_kernelINS0_14default_configENS1_38merge_sort_block_merge_config_selectorIjNS0_10empty_typeEEEZZNS1_27merge_sort_block_merge_implIS3_PjPS5_jNS1_19radix_merge_compareILb1ELb1EjNS0_19identity_decomposerEEEEE10hipError_tT0_T1_T2_jT3_P12ihipStream_tbPNSt15iterator_traitsISE_E10value_typeEPNSK_ISF_E10value_typeEPSG_NS1_7vsmem_tEENKUlT_SE_SF_SG_E_clIS8_S8_S9_S9_EESD_ST_SE_SF_SG_EUlST_E0_NS1_11comp_targetILNS1_3genE8ELNS1_11target_archE1030ELNS1_3gpuE2ELNS1_3repE0EEENS1_38merge_mergepath_config_static_selectorELNS0_4arch9wavefront6targetE0EEEvSF_
                                        ; -- End function
	.set _ZN7rocprim17ROCPRIM_400000_NS6detail17trampoline_kernelINS0_14default_configENS1_38merge_sort_block_merge_config_selectorIjNS0_10empty_typeEEEZZNS1_27merge_sort_block_merge_implIS3_PjPS5_jNS1_19radix_merge_compareILb1ELb1EjNS0_19identity_decomposerEEEEE10hipError_tT0_T1_T2_jT3_P12ihipStream_tbPNSt15iterator_traitsISE_E10value_typeEPNSK_ISF_E10value_typeEPSG_NS1_7vsmem_tEENKUlT_SE_SF_SG_E_clIS8_S8_S9_S9_EESD_ST_SE_SF_SG_EUlST_E0_NS1_11comp_targetILNS1_3genE8ELNS1_11target_archE1030ELNS1_3gpuE2ELNS1_3repE0EEENS1_38merge_mergepath_config_static_selectorELNS0_4arch9wavefront6targetE0EEEvSF_.num_vgpr, 0
	.set _ZN7rocprim17ROCPRIM_400000_NS6detail17trampoline_kernelINS0_14default_configENS1_38merge_sort_block_merge_config_selectorIjNS0_10empty_typeEEEZZNS1_27merge_sort_block_merge_implIS3_PjPS5_jNS1_19radix_merge_compareILb1ELb1EjNS0_19identity_decomposerEEEEE10hipError_tT0_T1_T2_jT3_P12ihipStream_tbPNSt15iterator_traitsISE_E10value_typeEPNSK_ISF_E10value_typeEPSG_NS1_7vsmem_tEENKUlT_SE_SF_SG_E_clIS8_S8_S9_S9_EESD_ST_SE_SF_SG_EUlST_E0_NS1_11comp_targetILNS1_3genE8ELNS1_11target_archE1030ELNS1_3gpuE2ELNS1_3repE0EEENS1_38merge_mergepath_config_static_selectorELNS0_4arch9wavefront6targetE0EEEvSF_.num_agpr, 0
	.set _ZN7rocprim17ROCPRIM_400000_NS6detail17trampoline_kernelINS0_14default_configENS1_38merge_sort_block_merge_config_selectorIjNS0_10empty_typeEEEZZNS1_27merge_sort_block_merge_implIS3_PjPS5_jNS1_19radix_merge_compareILb1ELb1EjNS0_19identity_decomposerEEEEE10hipError_tT0_T1_T2_jT3_P12ihipStream_tbPNSt15iterator_traitsISE_E10value_typeEPNSK_ISF_E10value_typeEPSG_NS1_7vsmem_tEENKUlT_SE_SF_SG_E_clIS8_S8_S9_S9_EESD_ST_SE_SF_SG_EUlST_E0_NS1_11comp_targetILNS1_3genE8ELNS1_11target_archE1030ELNS1_3gpuE2ELNS1_3repE0EEENS1_38merge_mergepath_config_static_selectorELNS0_4arch9wavefront6targetE0EEEvSF_.numbered_sgpr, 0
	.set _ZN7rocprim17ROCPRIM_400000_NS6detail17trampoline_kernelINS0_14default_configENS1_38merge_sort_block_merge_config_selectorIjNS0_10empty_typeEEEZZNS1_27merge_sort_block_merge_implIS3_PjPS5_jNS1_19radix_merge_compareILb1ELb1EjNS0_19identity_decomposerEEEEE10hipError_tT0_T1_T2_jT3_P12ihipStream_tbPNSt15iterator_traitsISE_E10value_typeEPNSK_ISF_E10value_typeEPSG_NS1_7vsmem_tEENKUlT_SE_SF_SG_E_clIS8_S8_S9_S9_EESD_ST_SE_SF_SG_EUlST_E0_NS1_11comp_targetILNS1_3genE8ELNS1_11target_archE1030ELNS1_3gpuE2ELNS1_3repE0EEENS1_38merge_mergepath_config_static_selectorELNS0_4arch9wavefront6targetE0EEEvSF_.num_named_barrier, 0
	.set _ZN7rocprim17ROCPRIM_400000_NS6detail17trampoline_kernelINS0_14default_configENS1_38merge_sort_block_merge_config_selectorIjNS0_10empty_typeEEEZZNS1_27merge_sort_block_merge_implIS3_PjPS5_jNS1_19radix_merge_compareILb1ELb1EjNS0_19identity_decomposerEEEEE10hipError_tT0_T1_T2_jT3_P12ihipStream_tbPNSt15iterator_traitsISE_E10value_typeEPNSK_ISF_E10value_typeEPSG_NS1_7vsmem_tEENKUlT_SE_SF_SG_E_clIS8_S8_S9_S9_EESD_ST_SE_SF_SG_EUlST_E0_NS1_11comp_targetILNS1_3genE8ELNS1_11target_archE1030ELNS1_3gpuE2ELNS1_3repE0EEENS1_38merge_mergepath_config_static_selectorELNS0_4arch9wavefront6targetE0EEEvSF_.private_seg_size, 0
	.set _ZN7rocprim17ROCPRIM_400000_NS6detail17trampoline_kernelINS0_14default_configENS1_38merge_sort_block_merge_config_selectorIjNS0_10empty_typeEEEZZNS1_27merge_sort_block_merge_implIS3_PjPS5_jNS1_19radix_merge_compareILb1ELb1EjNS0_19identity_decomposerEEEEE10hipError_tT0_T1_T2_jT3_P12ihipStream_tbPNSt15iterator_traitsISE_E10value_typeEPNSK_ISF_E10value_typeEPSG_NS1_7vsmem_tEENKUlT_SE_SF_SG_E_clIS8_S8_S9_S9_EESD_ST_SE_SF_SG_EUlST_E0_NS1_11comp_targetILNS1_3genE8ELNS1_11target_archE1030ELNS1_3gpuE2ELNS1_3repE0EEENS1_38merge_mergepath_config_static_selectorELNS0_4arch9wavefront6targetE0EEEvSF_.uses_vcc, 0
	.set _ZN7rocprim17ROCPRIM_400000_NS6detail17trampoline_kernelINS0_14default_configENS1_38merge_sort_block_merge_config_selectorIjNS0_10empty_typeEEEZZNS1_27merge_sort_block_merge_implIS3_PjPS5_jNS1_19radix_merge_compareILb1ELb1EjNS0_19identity_decomposerEEEEE10hipError_tT0_T1_T2_jT3_P12ihipStream_tbPNSt15iterator_traitsISE_E10value_typeEPNSK_ISF_E10value_typeEPSG_NS1_7vsmem_tEENKUlT_SE_SF_SG_E_clIS8_S8_S9_S9_EESD_ST_SE_SF_SG_EUlST_E0_NS1_11comp_targetILNS1_3genE8ELNS1_11target_archE1030ELNS1_3gpuE2ELNS1_3repE0EEENS1_38merge_mergepath_config_static_selectorELNS0_4arch9wavefront6targetE0EEEvSF_.uses_flat_scratch, 0
	.set _ZN7rocprim17ROCPRIM_400000_NS6detail17trampoline_kernelINS0_14default_configENS1_38merge_sort_block_merge_config_selectorIjNS0_10empty_typeEEEZZNS1_27merge_sort_block_merge_implIS3_PjPS5_jNS1_19radix_merge_compareILb1ELb1EjNS0_19identity_decomposerEEEEE10hipError_tT0_T1_T2_jT3_P12ihipStream_tbPNSt15iterator_traitsISE_E10value_typeEPNSK_ISF_E10value_typeEPSG_NS1_7vsmem_tEENKUlT_SE_SF_SG_E_clIS8_S8_S9_S9_EESD_ST_SE_SF_SG_EUlST_E0_NS1_11comp_targetILNS1_3genE8ELNS1_11target_archE1030ELNS1_3gpuE2ELNS1_3repE0EEENS1_38merge_mergepath_config_static_selectorELNS0_4arch9wavefront6targetE0EEEvSF_.has_dyn_sized_stack, 0
	.set _ZN7rocprim17ROCPRIM_400000_NS6detail17trampoline_kernelINS0_14default_configENS1_38merge_sort_block_merge_config_selectorIjNS0_10empty_typeEEEZZNS1_27merge_sort_block_merge_implIS3_PjPS5_jNS1_19radix_merge_compareILb1ELb1EjNS0_19identity_decomposerEEEEE10hipError_tT0_T1_T2_jT3_P12ihipStream_tbPNSt15iterator_traitsISE_E10value_typeEPNSK_ISF_E10value_typeEPSG_NS1_7vsmem_tEENKUlT_SE_SF_SG_E_clIS8_S8_S9_S9_EESD_ST_SE_SF_SG_EUlST_E0_NS1_11comp_targetILNS1_3genE8ELNS1_11target_archE1030ELNS1_3gpuE2ELNS1_3repE0EEENS1_38merge_mergepath_config_static_selectorELNS0_4arch9wavefront6targetE0EEEvSF_.has_recursion, 0
	.set _ZN7rocprim17ROCPRIM_400000_NS6detail17trampoline_kernelINS0_14default_configENS1_38merge_sort_block_merge_config_selectorIjNS0_10empty_typeEEEZZNS1_27merge_sort_block_merge_implIS3_PjPS5_jNS1_19radix_merge_compareILb1ELb1EjNS0_19identity_decomposerEEEEE10hipError_tT0_T1_T2_jT3_P12ihipStream_tbPNSt15iterator_traitsISE_E10value_typeEPNSK_ISF_E10value_typeEPSG_NS1_7vsmem_tEENKUlT_SE_SF_SG_E_clIS8_S8_S9_S9_EESD_ST_SE_SF_SG_EUlST_E0_NS1_11comp_targetILNS1_3genE8ELNS1_11target_archE1030ELNS1_3gpuE2ELNS1_3repE0EEENS1_38merge_mergepath_config_static_selectorELNS0_4arch9wavefront6targetE0EEEvSF_.has_indirect_call, 0
	.section	.AMDGPU.csdata,"",@progbits
; Kernel info:
; codeLenInByte = 0
; TotalNumSgprs: 0
; NumVgprs: 0
; ScratchSize: 0
; MemoryBound: 0
; FloatMode: 240
; IeeeMode: 1
; LDSByteSize: 0 bytes/workgroup (compile time only)
; SGPRBlocks: 0
; VGPRBlocks: 0
; NumSGPRsForWavesPerEU: 1
; NumVGPRsForWavesPerEU: 1
; NamedBarCnt: 0
; Occupancy: 16
; WaveLimiterHint : 0
; COMPUTE_PGM_RSRC2:SCRATCH_EN: 0
; COMPUTE_PGM_RSRC2:USER_SGPR: 2
; COMPUTE_PGM_RSRC2:TRAP_HANDLER: 0
; COMPUTE_PGM_RSRC2:TGID_X_EN: 1
; COMPUTE_PGM_RSRC2:TGID_Y_EN: 0
; COMPUTE_PGM_RSRC2:TGID_Z_EN: 0
; COMPUTE_PGM_RSRC2:TIDIG_COMP_CNT: 0
	.section	.text._ZN7rocprim17ROCPRIM_400000_NS6detail17trampoline_kernelINS0_14default_configENS1_38merge_sort_block_merge_config_selectorIjNS0_10empty_typeEEEZZNS1_27merge_sort_block_merge_implIS3_PjPS5_jNS1_19radix_merge_compareILb1ELb1EjNS0_19identity_decomposerEEEEE10hipError_tT0_T1_T2_jT3_P12ihipStream_tbPNSt15iterator_traitsISE_E10value_typeEPNSK_ISF_E10value_typeEPSG_NS1_7vsmem_tEENKUlT_SE_SF_SG_E_clIS8_S8_S9_S9_EESD_ST_SE_SF_SG_EUlST_E1_NS1_11comp_targetILNS1_3genE0ELNS1_11target_archE4294967295ELNS1_3gpuE0ELNS1_3repE0EEENS1_36merge_oddeven_config_static_selectorELNS0_4arch9wavefront6targetE0EEEvSF_,"axG",@progbits,_ZN7rocprim17ROCPRIM_400000_NS6detail17trampoline_kernelINS0_14default_configENS1_38merge_sort_block_merge_config_selectorIjNS0_10empty_typeEEEZZNS1_27merge_sort_block_merge_implIS3_PjPS5_jNS1_19radix_merge_compareILb1ELb1EjNS0_19identity_decomposerEEEEE10hipError_tT0_T1_T2_jT3_P12ihipStream_tbPNSt15iterator_traitsISE_E10value_typeEPNSK_ISF_E10value_typeEPSG_NS1_7vsmem_tEENKUlT_SE_SF_SG_E_clIS8_S8_S9_S9_EESD_ST_SE_SF_SG_EUlST_E1_NS1_11comp_targetILNS1_3genE0ELNS1_11target_archE4294967295ELNS1_3gpuE0ELNS1_3repE0EEENS1_36merge_oddeven_config_static_selectorELNS0_4arch9wavefront6targetE0EEEvSF_,comdat
	.protected	_ZN7rocprim17ROCPRIM_400000_NS6detail17trampoline_kernelINS0_14default_configENS1_38merge_sort_block_merge_config_selectorIjNS0_10empty_typeEEEZZNS1_27merge_sort_block_merge_implIS3_PjPS5_jNS1_19radix_merge_compareILb1ELb1EjNS0_19identity_decomposerEEEEE10hipError_tT0_T1_T2_jT3_P12ihipStream_tbPNSt15iterator_traitsISE_E10value_typeEPNSK_ISF_E10value_typeEPSG_NS1_7vsmem_tEENKUlT_SE_SF_SG_E_clIS8_S8_S9_S9_EESD_ST_SE_SF_SG_EUlST_E1_NS1_11comp_targetILNS1_3genE0ELNS1_11target_archE4294967295ELNS1_3gpuE0ELNS1_3repE0EEENS1_36merge_oddeven_config_static_selectorELNS0_4arch9wavefront6targetE0EEEvSF_ ; -- Begin function _ZN7rocprim17ROCPRIM_400000_NS6detail17trampoline_kernelINS0_14default_configENS1_38merge_sort_block_merge_config_selectorIjNS0_10empty_typeEEEZZNS1_27merge_sort_block_merge_implIS3_PjPS5_jNS1_19radix_merge_compareILb1ELb1EjNS0_19identity_decomposerEEEEE10hipError_tT0_T1_T2_jT3_P12ihipStream_tbPNSt15iterator_traitsISE_E10value_typeEPNSK_ISF_E10value_typeEPSG_NS1_7vsmem_tEENKUlT_SE_SF_SG_E_clIS8_S8_S9_S9_EESD_ST_SE_SF_SG_EUlST_E1_NS1_11comp_targetILNS1_3genE0ELNS1_11target_archE4294967295ELNS1_3gpuE0ELNS1_3repE0EEENS1_36merge_oddeven_config_static_selectorELNS0_4arch9wavefront6targetE0EEEvSF_
	.globl	_ZN7rocprim17ROCPRIM_400000_NS6detail17trampoline_kernelINS0_14default_configENS1_38merge_sort_block_merge_config_selectorIjNS0_10empty_typeEEEZZNS1_27merge_sort_block_merge_implIS3_PjPS5_jNS1_19radix_merge_compareILb1ELb1EjNS0_19identity_decomposerEEEEE10hipError_tT0_T1_T2_jT3_P12ihipStream_tbPNSt15iterator_traitsISE_E10value_typeEPNSK_ISF_E10value_typeEPSG_NS1_7vsmem_tEENKUlT_SE_SF_SG_E_clIS8_S8_S9_S9_EESD_ST_SE_SF_SG_EUlST_E1_NS1_11comp_targetILNS1_3genE0ELNS1_11target_archE4294967295ELNS1_3gpuE0ELNS1_3repE0EEENS1_36merge_oddeven_config_static_selectorELNS0_4arch9wavefront6targetE0EEEvSF_
	.p2align	8
	.type	_ZN7rocprim17ROCPRIM_400000_NS6detail17trampoline_kernelINS0_14default_configENS1_38merge_sort_block_merge_config_selectorIjNS0_10empty_typeEEEZZNS1_27merge_sort_block_merge_implIS3_PjPS5_jNS1_19radix_merge_compareILb1ELb1EjNS0_19identity_decomposerEEEEE10hipError_tT0_T1_T2_jT3_P12ihipStream_tbPNSt15iterator_traitsISE_E10value_typeEPNSK_ISF_E10value_typeEPSG_NS1_7vsmem_tEENKUlT_SE_SF_SG_E_clIS8_S8_S9_S9_EESD_ST_SE_SF_SG_EUlST_E1_NS1_11comp_targetILNS1_3genE0ELNS1_11target_archE4294967295ELNS1_3gpuE0ELNS1_3repE0EEENS1_36merge_oddeven_config_static_selectorELNS0_4arch9wavefront6targetE0EEEvSF_,@function
_ZN7rocprim17ROCPRIM_400000_NS6detail17trampoline_kernelINS0_14default_configENS1_38merge_sort_block_merge_config_selectorIjNS0_10empty_typeEEEZZNS1_27merge_sort_block_merge_implIS3_PjPS5_jNS1_19radix_merge_compareILb1ELb1EjNS0_19identity_decomposerEEEEE10hipError_tT0_T1_T2_jT3_P12ihipStream_tbPNSt15iterator_traitsISE_E10value_typeEPNSK_ISF_E10value_typeEPSG_NS1_7vsmem_tEENKUlT_SE_SF_SG_E_clIS8_S8_S9_S9_EESD_ST_SE_SF_SG_EUlST_E1_NS1_11comp_targetILNS1_3genE0ELNS1_11target_archE4294967295ELNS1_3gpuE0ELNS1_3repE0EEENS1_36merge_oddeven_config_static_selectorELNS0_4arch9wavefront6targetE0EEEvSF_: ; @_ZN7rocprim17ROCPRIM_400000_NS6detail17trampoline_kernelINS0_14default_configENS1_38merge_sort_block_merge_config_selectorIjNS0_10empty_typeEEEZZNS1_27merge_sort_block_merge_implIS3_PjPS5_jNS1_19radix_merge_compareILb1ELb1EjNS0_19identity_decomposerEEEEE10hipError_tT0_T1_T2_jT3_P12ihipStream_tbPNSt15iterator_traitsISE_E10value_typeEPNSK_ISF_E10value_typeEPSG_NS1_7vsmem_tEENKUlT_SE_SF_SG_E_clIS8_S8_S9_S9_EESD_ST_SE_SF_SG_EUlST_E1_NS1_11comp_targetILNS1_3genE0ELNS1_11target_archE4294967295ELNS1_3gpuE0ELNS1_3repE0EEENS1_36merge_oddeven_config_static_selectorELNS0_4arch9wavefront6targetE0EEEvSF_
; %bb.0:
	s_load_b32 s11, s[0:1], 0x20
	s_bfe_u32 s2, ttmp6, 0x4000c
	s_and_b32 s3, ttmp6, 15
	s_add_co_i32 s2, s2, 1
	s_getreg_b32 s4, hwreg(HW_REG_IB_STS2, 6, 4)
	s_mul_i32 s2, ttmp9, s2
	s_mov_b32 s9, 0
	s_add_co_i32 s3, s3, s2
	s_cmp_eq_u32 s4, 0
	s_cselect_b32 s2, ttmp9, s3
	s_wait_kmcnt 0x0
	s_lshr_b32 s3, s11, 8
	s_delay_alu instid0(SALU_CYCLE_1) | instskip(SKIP_4) | instid1(SALU_CYCLE_1)
	s_cmp_lg_u32 s2, s3
	s_cselect_b32 s15, -1, 0
	s_cmp_eq_u32 s2, s3
	s_cselect_b32 s12, -1, 0
	s_lshl_b32 s8, s2, 8
	s_sub_co_i32 s3, s11, s8
	s_delay_alu instid0(SALU_CYCLE_1) | instskip(SKIP_1) | instid1(SALU_CYCLE_1)
	v_cmp_gt_u32_e64 s3, s3, v0
	s_or_b32 s4, s15, s3
	s_and_saveexec_b32 s5, s4
	s_cbranch_execz .LBB2599_20
; %bb.1:
	s_clause 0x1
	s_load_b128 s[4:7], s[0:1], 0x0
	s_load_b32 s13, s[0:1], 0x24
	s_lshl_b64 s[16:17], s[8:9], 2
	v_add_nc_u32_e32 v3, s8, v0
	s_wait_kmcnt 0x0
	s_add_nc_u64 s[16:17], s[4:5], s[16:17]
	s_lshr_b32 s10, s13, 8
	global_load_b32 v1, v0, s[16:17] scale_offset
	s_sub_co_i32 s14, 0, s10
	s_wait_xcnt 0x0
	s_sub_co_i32 s16, 0, s13
	s_and_b32 s2, s2, s14
	s_delay_alu instid0(SALU_CYCLE_1) | instskip(SKIP_3) | instid1(SALU_CYCLE_1)
	s_and_b32 s10, s2, s10
	s_lshl_b32 s14, s2, 8
	s_cmp_eq_u32 s10, 0
	s_cselect_b32 s2, -1, 0
	s_and_b32 s10, s2, exec_lo
	s_cselect_b32 s10, s13, s16
	s_delay_alu instid0(SALU_CYCLE_1) | instskip(NEXT) | instid1(SALU_CYCLE_1)
	s_add_co_i32 s10, s10, s14
	s_cmp_gt_u32 s11, s10
	s_cbranch_scc1 .LBB2599_3
; %bb.2:
	v_cmp_gt_u32_e32 vcc_lo, s11, v3
	s_or_b32 s9, vcc_lo, s15
	s_delay_alu instid0(SALU_CYCLE_1)
	s_and_b32 s9, s9, exec_lo
	s_cbranch_execz .LBB2599_4
	s_branch .LBB2599_18
.LBB2599_3:
.LBB2599_4:
	s_load_b32 s0, s[0:1], 0x28
	s_wait_xcnt 0x0
	s_min_u32 s1, s10, s11
	s_and_b32 vcc_lo, exec_lo, s12
	s_add_co_i32 s8, s14, s1
	s_add_co_i32 s13, s1, s13
	v_subrev_nc_u32_e32 v0, s8, v3
	s_min_u32 s8, s14, s1
	s_delay_alu instid0(VALU_DEP_1) | instid1(SALU_CYCLE_1)
	v_add_nc_u32_e32 v0, s8, v0
	s_min_u32 s8, s13, s11
	s_wait_loadcnt 0x0
	s_wait_kmcnt 0x0
	v_and_b32_e32 v2, s0, v1
	s_cbranch_vccz .LBB2599_12
; %bb.5:
                                        ; implicit-def: $vgpr3
	s_and_saveexec_b32 s11, s3
	s_cbranch_execz .LBB2599_11
; %bb.6:
	v_mov_b32_e32 v3, s1
	s_cmp_ge_u32 s10, s8
	s_cbranch_scc1 .LBB2599_10
; %bb.7:
	v_dual_mov_b32 v4, s8 :: v_dual_mov_b32 v3, s1
	s_mov_b32 s3, 0
.LBB2599_8:                             ; =>This Inner Loop Header: Depth=1
	s_delay_alu instid0(VALU_DEP_1) | instskip(NEXT) | instid1(VALU_DEP_1)
	v_add_nc_u32_e32 v5, v3, v4
	v_lshrrev_b32_e32 v5, 1, v5
	global_load_b32 v6, v5, s[4:5] scale_offset
	s_wait_loadcnt 0x0
	v_and_b32_e32 v6, s0, v6
	s_delay_alu instid0(VALU_DEP_1) | instskip(SKIP_3) | instid1(VALU_DEP_1)
	v_cmp_gt_u32_e32 vcc_lo, v6, v2
	v_cndmask_b32_e64 v7, 0, 1, vcc_lo
	v_cmp_le_u32_e32 vcc_lo, v2, v6
	v_cndmask_b32_e64 v6, 0, 1, vcc_lo
	v_dual_cndmask_b32 v6, v6, v7, s2 :: v_dual_add_nc_u32 v7, 1, v5
	s_delay_alu instid0(VALU_DEP_1) | instskip(NEXT) | instid1(VALU_DEP_1)
	v_and_b32_e32 v6, 1, v6
	v_cmp_eq_u32_e32 vcc_lo, 1, v6
	s_delay_alu instid0(VALU_DEP_3) | instskip(NEXT) | instid1(VALU_DEP_1)
	v_dual_cndmask_b32 v4, v5, v4 :: v_dual_cndmask_b32 v3, v3, v7
	v_cmp_ge_u32_e32 vcc_lo, v3, v4
	s_or_b32 s3, vcc_lo, s3
	s_delay_alu instid0(SALU_CYCLE_1)
	s_and_not1_b32 exec_lo, exec_lo, s3
	s_cbranch_execnz .LBB2599_8
; %bb.9:
	s_or_b32 exec_lo, exec_lo, s3
.LBB2599_10:
	s_delay_alu instid0(VALU_DEP_1)
	v_add_nc_u32_e32 v3, v3, v0
	s_or_b32 s9, s9, exec_lo
.LBB2599_11:
	s_or_b32 exec_lo, exec_lo, s11
	s_branch .LBB2599_18
.LBB2599_12:
                                        ; implicit-def: $vgpr3
	s_cbranch_execz .LBB2599_18
; %bb.13:
	v_mov_b32_e32 v3, s1
	s_cmp_ge_u32 s10, s8
	s_cbranch_scc1 .LBB2599_17
; %bb.14:
	v_dual_mov_b32 v4, s8 :: v_dual_mov_b32 v3, s1
	s_mov_b32 s1, 0
.LBB2599_15:                            ; =>This Inner Loop Header: Depth=1
	s_delay_alu instid0(VALU_DEP_1) | instskip(NEXT) | instid1(VALU_DEP_1)
	v_add_nc_u32_e32 v5, v3, v4
	v_lshrrev_b32_e32 v5, 1, v5
	global_load_b32 v6, v5, s[4:5] scale_offset
	s_wait_loadcnt 0x0
	v_and_b32_e32 v6, s0, v6
	s_delay_alu instid0(VALU_DEP_1) | instskip(SKIP_3) | instid1(VALU_DEP_1)
	v_cmp_gt_u32_e32 vcc_lo, v6, v2
	v_cndmask_b32_e64 v7, 0, 1, vcc_lo
	v_cmp_le_u32_e32 vcc_lo, v2, v6
	v_cndmask_b32_e64 v6, 0, 1, vcc_lo
	v_dual_cndmask_b32 v6, v6, v7, s2 :: v_dual_add_nc_u32 v7, 1, v5
	s_delay_alu instid0(VALU_DEP_1) | instskip(NEXT) | instid1(VALU_DEP_1)
	v_and_b32_e32 v6, 1, v6
	v_cmp_eq_u32_e32 vcc_lo, 1, v6
	s_delay_alu instid0(VALU_DEP_3) | instskip(NEXT) | instid1(VALU_DEP_1)
	v_dual_cndmask_b32 v4, v5, v4 :: v_dual_cndmask_b32 v3, v3, v7
	v_cmp_ge_u32_e32 vcc_lo, v3, v4
	s_or_b32 s1, vcc_lo, s1
	s_delay_alu instid0(SALU_CYCLE_1)
	s_and_not1_b32 exec_lo, exec_lo, s1
	s_cbranch_execnz .LBB2599_15
; %bb.16:
	s_or_b32 exec_lo, exec_lo, s1
.LBB2599_17:
	s_delay_alu instid0(VALU_DEP_1)
	v_add_nc_u32_e32 v3, v3, v0
	s_mov_b32 s9, -1
.LBB2599_18:
	s_delay_alu instid0(SALU_CYCLE_1)
	s_and_b32 exec_lo, exec_lo, s9
	s_cbranch_execz .LBB2599_20
; %bb.19:
	s_wait_loadcnt 0x0
	global_store_b32 v3, v1, s[6:7] scale_offset
.LBB2599_20:
	s_endpgm
	.section	.rodata,"a",@progbits
	.p2align	6, 0x0
	.amdhsa_kernel _ZN7rocprim17ROCPRIM_400000_NS6detail17trampoline_kernelINS0_14default_configENS1_38merge_sort_block_merge_config_selectorIjNS0_10empty_typeEEEZZNS1_27merge_sort_block_merge_implIS3_PjPS5_jNS1_19radix_merge_compareILb1ELb1EjNS0_19identity_decomposerEEEEE10hipError_tT0_T1_T2_jT3_P12ihipStream_tbPNSt15iterator_traitsISE_E10value_typeEPNSK_ISF_E10value_typeEPSG_NS1_7vsmem_tEENKUlT_SE_SF_SG_E_clIS8_S8_S9_S9_EESD_ST_SE_SF_SG_EUlST_E1_NS1_11comp_targetILNS1_3genE0ELNS1_11target_archE4294967295ELNS1_3gpuE0ELNS1_3repE0EEENS1_36merge_oddeven_config_static_selectorELNS0_4arch9wavefront6targetE0EEEvSF_
		.amdhsa_group_segment_fixed_size 0
		.amdhsa_private_segment_fixed_size 0
		.amdhsa_kernarg_size 48
		.amdhsa_user_sgpr_count 2
		.amdhsa_user_sgpr_dispatch_ptr 0
		.amdhsa_user_sgpr_queue_ptr 0
		.amdhsa_user_sgpr_kernarg_segment_ptr 1
		.amdhsa_user_sgpr_dispatch_id 0
		.amdhsa_user_sgpr_kernarg_preload_length 0
		.amdhsa_user_sgpr_kernarg_preload_offset 0
		.amdhsa_user_sgpr_private_segment_size 0
		.amdhsa_wavefront_size32 1
		.amdhsa_uses_dynamic_stack 0
		.amdhsa_enable_private_segment 0
		.amdhsa_system_sgpr_workgroup_id_x 1
		.amdhsa_system_sgpr_workgroup_id_y 0
		.amdhsa_system_sgpr_workgroup_id_z 0
		.amdhsa_system_sgpr_workgroup_info 0
		.amdhsa_system_vgpr_workitem_id 0
		.amdhsa_next_free_vgpr 8
		.amdhsa_next_free_sgpr 18
		.amdhsa_named_barrier_count 0
		.amdhsa_reserve_vcc 1
		.amdhsa_float_round_mode_32 0
		.amdhsa_float_round_mode_16_64 0
		.amdhsa_float_denorm_mode_32 3
		.amdhsa_float_denorm_mode_16_64 3
		.amdhsa_fp16_overflow 0
		.amdhsa_memory_ordered 1
		.amdhsa_forward_progress 1
		.amdhsa_inst_pref_size 6
		.amdhsa_round_robin_scheduling 0
		.amdhsa_exception_fp_ieee_invalid_op 0
		.amdhsa_exception_fp_denorm_src 0
		.amdhsa_exception_fp_ieee_div_zero 0
		.amdhsa_exception_fp_ieee_overflow 0
		.amdhsa_exception_fp_ieee_underflow 0
		.amdhsa_exception_fp_ieee_inexact 0
		.amdhsa_exception_int_div_zero 0
	.end_amdhsa_kernel
	.section	.text._ZN7rocprim17ROCPRIM_400000_NS6detail17trampoline_kernelINS0_14default_configENS1_38merge_sort_block_merge_config_selectorIjNS0_10empty_typeEEEZZNS1_27merge_sort_block_merge_implIS3_PjPS5_jNS1_19radix_merge_compareILb1ELb1EjNS0_19identity_decomposerEEEEE10hipError_tT0_T1_T2_jT3_P12ihipStream_tbPNSt15iterator_traitsISE_E10value_typeEPNSK_ISF_E10value_typeEPSG_NS1_7vsmem_tEENKUlT_SE_SF_SG_E_clIS8_S8_S9_S9_EESD_ST_SE_SF_SG_EUlST_E1_NS1_11comp_targetILNS1_3genE0ELNS1_11target_archE4294967295ELNS1_3gpuE0ELNS1_3repE0EEENS1_36merge_oddeven_config_static_selectorELNS0_4arch9wavefront6targetE0EEEvSF_,"axG",@progbits,_ZN7rocprim17ROCPRIM_400000_NS6detail17trampoline_kernelINS0_14default_configENS1_38merge_sort_block_merge_config_selectorIjNS0_10empty_typeEEEZZNS1_27merge_sort_block_merge_implIS3_PjPS5_jNS1_19radix_merge_compareILb1ELb1EjNS0_19identity_decomposerEEEEE10hipError_tT0_T1_T2_jT3_P12ihipStream_tbPNSt15iterator_traitsISE_E10value_typeEPNSK_ISF_E10value_typeEPSG_NS1_7vsmem_tEENKUlT_SE_SF_SG_E_clIS8_S8_S9_S9_EESD_ST_SE_SF_SG_EUlST_E1_NS1_11comp_targetILNS1_3genE0ELNS1_11target_archE4294967295ELNS1_3gpuE0ELNS1_3repE0EEENS1_36merge_oddeven_config_static_selectorELNS0_4arch9wavefront6targetE0EEEvSF_,comdat
.Lfunc_end2599:
	.size	_ZN7rocprim17ROCPRIM_400000_NS6detail17trampoline_kernelINS0_14default_configENS1_38merge_sort_block_merge_config_selectorIjNS0_10empty_typeEEEZZNS1_27merge_sort_block_merge_implIS3_PjPS5_jNS1_19radix_merge_compareILb1ELb1EjNS0_19identity_decomposerEEEEE10hipError_tT0_T1_T2_jT3_P12ihipStream_tbPNSt15iterator_traitsISE_E10value_typeEPNSK_ISF_E10value_typeEPSG_NS1_7vsmem_tEENKUlT_SE_SF_SG_E_clIS8_S8_S9_S9_EESD_ST_SE_SF_SG_EUlST_E1_NS1_11comp_targetILNS1_3genE0ELNS1_11target_archE4294967295ELNS1_3gpuE0ELNS1_3repE0EEENS1_36merge_oddeven_config_static_selectorELNS0_4arch9wavefront6targetE0EEEvSF_, .Lfunc_end2599-_ZN7rocprim17ROCPRIM_400000_NS6detail17trampoline_kernelINS0_14default_configENS1_38merge_sort_block_merge_config_selectorIjNS0_10empty_typeEEEZZNS1_27merge_sort_block_merge_implIS3_PjPS5_jNS1_19radix_merge_compareILb1ELb1EjNS0_19identity_decomposerEEEEE10hipError_tT0_T1_T2_jT3_P12ihipStream_tbPNSt15iterator_traitsISE_E10value_typeEPNSK_ISF_E10value_typeEPSG_NS1_7vsmem_tEENKUlT_SE_SF_SG_E_clIS8_S8_S9_S9_EESD_ST_SE_SF_SG_EUlST_E1_NS1_11comp_targetILNS1_3genE0ELNS1_11target_archE4294967295ELNS1_3gpuE0ELNS1_3repE0EEENS1_36merge_oddeven_config_static_selectorELNS0_4arch9wavefront6targetE0EEEvSF_
                                        ; -- End function
	.set _ZN7rocprim17ROCPRIM_400000_NS6detail17trampoline_kernelINS0_14default_configENS1_38merge_sort_block_merge_config_selectorIjNS0_10empty_typeEEEZZNS1_27merge_sort_block_merge_implIS3_PjPS5_jNS1_19radix_merge_compareILb1ELb1EjNS0_19identity_decomposerEEEEE10hipError_tT0_T1_T2_jT3_P12ihipStream_tbPNSt15iterator_traitsISE_E10value_typeEPNSK_ISF_E10value_typeEPSG_NS1_7vsmem_tEENKUlT_SE_SF_SG_E_clIS8_S8_S9_S9_EESD_ST_SE_SF_SG_EUlST_E1_NS1_11comp_targetILNS1_3genE0ELNS1_11target_archE4294967295ELNS1_3gpuE0ELNS1_3repE0EEENS1_36merge_oddeven_config_static_selectorELNS0_4arch9wavefront6targetE0EEEvSF_.num_vgpr, 8
	.set _ZN7rocprim17ROCPRIM_400000_NS6detail17trampoline_kernelINS0_14default_configENS1_38merge_sort_block_merge_config_selectorIjNS0_10empty_typeEEEZZNS1_27merge_sort_block_merge_implIS3_PjPS5_jNS1_19radix_merge_compareILb1ELb1EjNS0_19identity_decomposerEEEEE10hipError_tT0_T1_T2_jT3_P12ihipStream_tbPNSt15iterator_traitsISE_E10value_typeEPNSK_ISF_E10value_typeEPSG_NS1_7vsmem_tEENKUlT_SE_SF_SG_E_clIS8_S8_S9_S9_EESD_ST_SE_SF_SG_EUlST_E1_NS1_11comp_targetILNS1_3genE0ELNS1_11target_archE4294967295ELNS1_3gpuE0ELNS1_3repE0EEENS1_36merge_oddeven_config_static_selectorELNS0_4arch9wavefront6targetE0EEEvSF_.num_agpr, 0
	.set _ZN7rocprim17ROCPRIM_400000_NS6detail17trampoline_kernelINS0_14default_configENS1_38merge_sort_block_merge_config_selectorIjNS0_10empty_typeEEEZZNS1_27merge_sort_block_merge_implIS3_PjPS5_jNS1_19radix_merge_compareILb1ELb1EjNS0_19identity_decomposerEEEEE10hipError_tT0_T1_T2_jT3_P12ihipStream_tbPNSt15iterator_traitsISE_E10value_typeEPNSK_ISF_E10value_typeEPSG_NS1_7vsmem_tEENKUlT_SE_SF_SG_E_clIS8_S8_S9_S9_EESD_ST_SE_SF_SG_EUlST_E1_NS1_11comp_targetILNS1_3genE0ELNS1_11target_archE4294967295ELNS1_3gpuE0ELNS1_3repE0EEENS1_36merge_oddeven_config_static_selectorELNS0_4arch9wavefront6targetE0EEEvSF_.numbered_sgpr, 18
	.set _ZN7rocprim17ROCPRIM_400000_NS6detail17trampoline_kernelINS0_14default_configENS1_38merge_sort_block_merge_config_selectorIjNS0_10empty_typeEEEZZNS1_27merge_sort_block_merge_implIS3_PjPS5_jNS1_19radix_merge_compareILb1ELb1EjNS0_19identity_decomposerEEEEE10hipError_tT0_T1_T2_jT3_P12ihipStream_tbPNSt15iterator_traitsISE_E10value_typeEPNSK_ISF_E10value_typeEPSG_NS1_7vsmem_tEENKUlT_SE_SF_SG_E_clIS8_S8_S9_S9_EESD_ST_SE_SF_SG_EUlST_E1_NS1_11comp_targetILNS1_3genE0ELNS1_11target_archE4294967295ELNS1_3gpuE0ELNS1_3repE0EEENS1_36merge_oddeven_config_static_selectorELNS0_4arch9wavefront6targetE0EEEvSF_.num_named_barrier, 0
	.set _ZN7rocprim17ROCPRIM_400000_NS6detail17trampoline_kernelINS0_14default_configENS1_38merge_sort_block_merge_config_selectorIjNS0_10empty_typeEEEZZNS1_27merge_sort_block_merge_implIS3_PjPS5_jNS1_19radix_merge_compareILb1ELb1EjNS0_19identity_decomposerEEEEE10hipError_tT0_T1_T2_jT3_P12ihipStream_tbPNSt15iterator_traitsISE_E10value_typeEPNSK_ISF_E10value_typeEPSG_NS1_7vsmem_tEENKUlT_SE_SF_SG_E_clIS8_S8_S9_S9_EESD_ST_SE_SF_SG_EUlST_E1_NS1_11comp_targetILNS1_3genE0ELNS1_11target_archE4294967295ELNS1_3gpuE0ELNS1_3repE0EEENS1_36merge_oddeven_config_static_selectorELNS0_4arch9wavefront6targetE0EEEvSF_.private_seg_size, 0
	.set _ZN7rocprim17ROCPRIM_400000_NS6detail17trampoline_kernelINS0_14default_configENS1_38merge_sort_block_merge_config_selectorIjNS0_10empty_typeEEEZZNS1_27merge_sort_block_merge_implIS3_PjPS5_jNS1_19radix_merge_compareILb1ELb1EjNS0_19identity_decomposerEEEEE10hipError_tT0_T1_T2_jT3_P12ihipStream_tbPNSt15iterator_traitsISE_E10value_typeEPNSK_ISF_E10value_typeEPSG_NS1_7vsmem_tEENKUlT_SE_SF_SG_E_clIS8_S8_S9_S9_EESD_ST_SE_SF_SG_EUlST_E1_NS1_11comp_targetILNS1_3genE0ELNS1_11target_archE4294967295ELNS1_3gpuE0ELNS1_3repE0EEENS1_36merge_oddeven_config_static_selectorELNS0_4arch9wavefront6targetE0EEEvSF_.uses_vcc, 1
	.set _ZN7rocprim17ROCPRIM_400000_NS6detail17trampoline_kernelINS0_14default_configENS1_38merge_sort_block_merge_config_selectorIjNS0_10empty_typeEEEZZNS1_27merge_sort_block_merge_implIS3_PjPS5_jNS1_19radix_merge_compareILb1ELb1EjNS0_19identity_decomposerEEEEE10hipError_tT0_T1_T2_jT3_P12ihipStream_tbPNSt15iterator_traitsISE_E10value_typeEPNSK_ISF_E10value_typeEPSG_NS1_7vsmem_tEENKUlT_SE_SF_SG_E_clIS8_S8_S9_S9_EESD_ST_SE_SF_SG_EUlST_E1_NS1_11comp_targetILNS1_3genE0ELNS1_11target_archE4294967295ELNS1_3gpuE0ELNS1_3repE0EEENS1_36merge_oddeven_config_static_selectorELNS0_4arch9wavefront6targetE0EEEvSF_.uses_flat_scratch, 0
	.set _ZN7rocprim17ROCPRIM_400000_NS6detail17trampoline_kernelINS0_14default_configENS1_38merge_sort_block_merge_config_selectorIjNS0_10empty_typeEEEZZNS1_27merge_sort_block_merge_implIS3_PjPS5_jNS1_19radix_merge_compareILb1ELb1EjNS0_19identity_decomposerEEEEE10hipError_tT0_T1_T2_jT3_P12ihipStream_tbPNSt15iterator_traitsISE_E10value_typeEPNSK_ISF_E10value_typeEPSG_NS1_7vsmem_tEENKUlT_SE_SF_SG_E_clIS8_S8_S9_S9_EESD_ST_SE_SF_SG_EUlST_E1_NS1_11comp_targetILNS1_3genE0ELNS1_11target_archE4294967295ELNS1_3gpuE0ELNS1_3repE0EEENS1_36merge_oddeven_config_static_selectorELNS0_4arch9wavefront6targetE0EEEvSF_.has_dyn_sized_stack, 0
	.set _ZN7rocprim17ROCPRIM_400000_NS6detail17trampoline_kernelINS0_14default_configENS1_38merge_sort_block_merge_config_selectorIjNS0_10empty_typeEEEZZNS1_27merge_sort_block_merge_implIS3_PjPS5_jNS1_19radix_merge_compareILb1ELb1EjNS0_19identity_decomposerEEEEE10hipError_tT0_T1_T2_jT3_P12ihipStream_tbPNSt15iterator_traitsISE_E10value_typeEPNSK_ISF_E10value_typeEPSG_NS1_7vsmem_tEENKUlT_SE_SF_SG_E_clIS8_S8_S9_S9_EESD_ST_SE_SF_SG_EUlST_E1_NS1_11comp_targetILNS1_3genE0ELNS1_11target_archE4294967295ELNS1_3gpuE0ELNS1_3repE0EEENS1_36merge_oddeven_config_static_selectorELNS0_4arch9wavefront6targetE0EEEvSF_.has_recursion, 0
	.set _ZN7rocprim17ROCPRIM_400000_NS6detail17trampoline_kernelINS0_14default_configENS1_38merge_sort_block_merge_config_selectorIjNS0_10empty_typeEEEZZNS1_27merge_sort_block_merge_implIS3_PjPS5_jNS1_19radix_merge_compareILb1ELb1EjNS0_19identity_decomposerEEEEE10hipError_tT0_T1_T2_jT3_P12ihipStream_tbPNSt15iterator_traitsISE_E10value_typeEPNSK_ISF_E10value_typeEPSG_NS1_7vsmem_tEENKUlT_SE_SF_SG_E_clIS8_S8_S9_S9_EESD_ST_SE_SF_SG_EUlST_E1_NS1_11comp_targetILNS1_3genE0ELNS1_11target_archE4294967295ELNS1_3gpuE0ELNS1_3repE0EEENS1_36merge_oddeven_config_static_selectorELNS0_4arch9wavefront6targetE0EEEvSF_.has_indirect_call, 0
	.section	.AMDGPU.csdata,"",@progbits
; Kernel info:
; codeLenInByte = 672
; TotalNumSgprs: 20
; NumVgprs: 8
; ScratchSize: 0
; MemoryBound: 0
; FloatMode: 240
; IeeeMode: 1
; LDSByteSize: 0 bytes/workgroup (compile time only)
; SGPRBlocks: 0
; VGPRBlocks: 0
; NumSGPRsForWavesPerEU: 20
; NumVGPRsForWavesPerEU: 8
; NamedBarCnt: 0
; Occupancy: 16
; WaveLimiterHint : 0
; COMPUTE_PGM_RSRC2:SCRATCH_EN: 0
; COMPUTE_PGM_RSRC2:USER_SGPR: 2
; COMPUTE_PGM_RSRC2:TRAP_HANDLER: 0
; COMPUTE_PGM_RSRC2:TGID_X_EN: 1
; COMPUTE_PGM_RSRC2:TGID_Y_EN: 0
; COMPUTE_PGM_RSRC2:TGID_Z_EN: 0
; COMPUTE_PGM_RSRC2:TIDIG_COMP_CNT: 0
	.section	.text._ZN7rocprim17ROCPRIM_400000_NS6detail17trampoline_kernelINS0_14default_configENS1_38merge_sort_block_merge_config_selectorIjNS0_10empty_typeEEEZZNS1_27merge_sort_block_merge_implIS3_PjPS5_jNS1_19radix_merge_compareILb1ELb1EjNS0_19identity_decomposerEEEEE10hipError_tT0_T1_T2_jT3_P12ihipStream_tbPNSt15iterator_traitsISE_E10value_typeEPNSK_ISF_E10value_typeEPSG_NS1_7vsmem_tEENKUlT_SE_SF_SG_E_clIS8_S8_S9_S9_EESD_ST_SE_SF_SG_EUlST_E1_NS1_11comp_targetILNS1_3genE10ELNS1_11target_archE1201ELNS1_3gpuE5ELNS1_3repE0EEENS1_36merge_oddeven_config_static_selectorELNS0_4arch9wavefront6targetE0EEEvSF_,"axG",@progbits,_ZN7rocprim17ROCPRIM_400000_NS6detail17trampoline_kernelINS0_14default_configENS1_38merge_sort_block_merge_config_selectorIjNS0_10empty_typeEEEZZNS1_27merge_sort_block_merge_implIS3_PjPS5_jNS1_19radix_merge_compareILb1ELb1EjNS0_19identity_decomposerEEEEE10hipError_tT0_T1_T2_jT3_P12ihipStream_tbPNSt15iterator_traitsISE_E10value_typeEPNSK_ISF_E10value_typeEPSG_NS1_7vsmem_tEENKUlT_SE_SF_SG_E_clIS8_S8_S9_S9_EESD_ST_SE_SF_SG_EUlST_E1_NS1_11comp_targetILNS1_3genE10ELNS1_11target_archE1201ELNS1_3gpuE5ELNS1_3repE0EEENS1_36merge_oddeven_config_static_selectorELNS0_4arch9wavefront6targetE0EEEvSF_,comdat
	.protected	_ZN7rocprim17ROCPRIM_400000_NS6detail17trampoline_kernelINS0_14default_configENS1_38merge_sort_block_merge_config_selectorIjNS0_10empty_typeEEEZZNS1_27merge_sort_block_merge_implIS3_PjPS5_jNS1_19radix_merge_compareILb1ELb1EjNS0_19identity_decomposerEEEEE10hipError_tT0_T1_T2_jT3_P12ihipStream_tbPNSt15iterator_traitsISE_E10value_typeEPNSK_ISF_E10value_typeEPSG_NS1_7vsmem_tEENKUlT_SE_SF_SG_E_clIS8_S8_S9_S9_EESD_ST_SE_SF_SG_EUlST_E1_NS1_11comp_targetILNS1_3genE10ELNS1_11target_archE1201ELNS1_3gpuE5ELNS1_3repE0EEENS1_36merge_oddeven_config_static_selectorELNS0_4arch9wavefront6targetE0EEEvSF_ ; -- Begin function _ZN7rocprim17ROCPRIM_400000_NS6detail17trampoline_kernelINS0_14default_configENS1_38merge_sort_block_merge_config_selectorIjNS0_10empty_typeEEEZZNS1_27merge_sort_block_merge_implIS3_PjPS5_jNS1_19radix_merge_compareILb1ELb1EjNS0_19identity_decomposerEEEEE10hipError_tT0_T1_T2_jT3_P12ihipStream_tbPNSt15iterator_traitsISE_E10value_typeEPNSK_ISF_E10value_typeEPSG_NS1_7vsmem_tEENKUlT_SE_SF_SG_E_clIS8_S8_S9_S9_EESD_ST_SE_SF_SG_EUlST_E1_NS1_11comp_targetILNS1_3genE10ELNS1_11target_archE1201ELNS1_3gpuE5ELNS1_3repE0EEENS1_36merge_oddeven_config_static_selectorELNS0_4arch9wavefront6targetE0EEEvSF_
	.globl	_ZN7rocprim17ROCPRIM_400000_NS6detail17trampoline_kernelINS0_14default_configENS1_38merge_sort_block_merge_config_selectorIjNS0_10empty_typeEEEZZNS1_27merge_sort_block_merge_implIS3_PjPS5_jNS1_19radix_merge_compareILb1ELb1EjNS0_19identity_decomposerEEEEE10hipError_tT0_T1_T2_jT3_P12ihipStream_tbPNSt15iterator_traitsISE_E10value_typeEPNSK_ISF_E10value_typeEPSG_NS1_7vsmem_tEENKUlT_SE_SF_SG_E_clIS8_S8_S9_S9_EESD_ST_SE_SF_SG_EUlST_E1_NS1_11comp_targetILNS1_3genE10ELNS1_11target_archE1201ELNS1_3gpuE5ELNS1_3repE0EEENS1_36merge_oddeven_config_static_selectorELNS0_4arch9wavefront6targetE0EEEvSF_
	.p2align	8
	.type	_ZN7rocprim17ROCPRIM_400000_NS6detail17trampoline_kernelINS0_14default_configENS1_38merge_sort_block_merge_config_selectorIjNS0_10empty_typeEEEZZNS1_27merge_sort_block_merge_implIS3_PjPS5_jNS1_19radix_merge_compareILb1ELb1EjNS0_19identity_decomposerEEEEE10hipError_tT0_T1_T2_jT3_P12ihipStream_tbPNSt15iterator_traitsISE_E10value_typeEPNSK_ISF_E10value_typeEPSG_NS1_7vsmem_tEENKUlT_SE_SF_SG_E_clIS8_S8_S9_S9_EESD_ST_SE_SF_SG_EUlST_E1_NS1_11comp_targetILNS1_3genE10ELNS1_11target_archE1201ELNS1_3gpuE5ELNS1_3repE0EEENS1_36merge_oddeven_config_static_selectorELNS0_4arch9wavefront6targetE0EEEvSF_,@function
_ZN7rocprim17ROCPRIM_400000_NS6detail17trampoline_kernelINS0_14default_configENS1_38merge_sort_block_merge_config_selectorIjNS0_10empty_typeEEEZZNS1_27merge_sort_block_merge_implIS3_PjPS5_jNS1_19radix_merge_compareILb1ELb1EjNS0_19identity_decomposerEEEEE10hipError_tT0_T1_T2_jT3_P12ihipStream_tbPNSt15iterator_traitsISE_E10value_typeEPNSK_ISF_E10value_typeEPSG_NS1_7vsmem_tEENKUlT_SE_SF_SG_E_clIS8_S8_S9_S9_EESD_ST_SE_SF_SG_EUlST_E1_NS1_11comp_targetILNS1_3genE10ELNS1_11target_archE1201ELNS1_3gpuE5ELNS1_3repE0EEENS1_36merge_oddeven_config_static_selectorELNS0_4arch9wavefront6targetE0EEEvSF_: ; @_ZN7rocprim17ROCPRIM_400000_NS6detail17trampoline_kernelINS0_14default_configENS1_38merge_sort_block_merge_config_selectorIjNS0_10empty_typeEEEZZNS1_27merge_sort_block_merge_implIS3_PjPS5_jNS1_19radix_merge_compareILb1ELb1EjNS0_19identity_decomposerEEEEE10hipError_tT0_T1_T2_jT3_P12ihipStream_tbPNSt15iterator_traitsISE_E10value_typeEPNSK_ISF_E10value_typeEPSG_NS1_7vsmem_tEENKUlT_SE_SF_SG_E_clIS8_S8_S9_S9_EESD_ST_SE_SF_SG_EUlST_E1_NS1_11comp_targetILNS1_3genE10ELNS1_11target_archE1201ELNS1_3gpuE5ELNS1_3repE0EEENS1_36merge_oddeven_config_static_selectorELNS0_4arch9wavefront6targetE0EEEvSF_
; %bb.0:
	.section	.rodata,"a",@progbits
	.p2align	6, 0x0
	.amdhsa_kernel _ZN7rocprim17ROCPRIM_400000_NS6detail17trampoline_kernelINS0_14default_configENS1_38merge_sort_block_merge_config_selectorIjNS0_10empty_typeEEEZZNS1_27merge_sort_block_merge_implIS3_PjPS5_jNS1_19radix_merge_compareILb1ELb1EjNS0_19identity_decomposerEEEEE10hipError_tT0_T1_T2_jT3_P12ihipStream_tbPNSt15iterator_traitsISE_E10value_typeEPNSK_ISF_E10value_typeEPSG_NS1_7vsmem_tEENKUlT_SE_SF_SG_E_clIS8_S8_S9_S9_EESD_ST_SE_SF_SG_EUlST_E1_NS1_11comp_targetILNS1_3genE10ELNS1_11target_archE1201ELNS1_3gpuE5ELNS1_3repE0EEENS1_36merge_oddeven_config_static_selectorELNS0_4arch9wavefront6targetE0EEEvSF_
		.amdhsa_group_segment_fixed_size 0
		.amdhsa_private_segment_fixed_size 0
		.amdhsa_kernarg_size 48
		.amdhsa_user_sgpr_count 2
		.amdhsa_user_sgpr_dispatch_ptr 0
		.amdhsa_user_sgpr_queue_ptr 0
		.amdhsa_user_sgpr_kernarg_segment_ptr 1
		.amdhsa_user_sgpr_dispatch_id 0
		.amdhsa_user_sgpr_kernarg_preload_length 0
		.amdhsa_user_sgpr_kernarg_preload_offset 0
		.amdhsa_user_sgpr_private_segment_size 0
		.amdhsa_wavefront_size32 1
		.amdhsa_uses_dynamic_stack 0
		.amdhsa_enable_private_segment 0
		.amdhsa_system_sgpr_workgroup_id_x 1
		.amdhsa_system_sgpr_workgroup_id_y 0
		.amdhsa_system_sgpr_workgroup_id_z 0
		.amdhsa_system_sgpr_workgroup_info 0
		.amdhsa_system_vgpr_workitem_id 0
		.amdhsa_next_free_vgpr 1
		.amdhsa_next_free_sgpr 1
		.amdhsa_named_barrier_count 0
		.amdhsa_reserve_vcc 0
		.amdhsa_float_round_mode_32 0
		.amdhsa_float_round_mode_16_64 0
		.amdhsa_float_denorm_mode_32 3
		.amdhsa_float_denorm_mode_16_64 3
		.amdhsa_fp16_overflow 0
		.amdhsa_memory_ordered 1
		.amdhsa_forward_progress 1
		.amdhsa_inst_pref_size 0
		.amdhsa_round_robin_scheduling 0
		.amdhsa_exception_fp_ieee_invalid_op 0
		.amdhsa_exception_fp_denorm_src 0
		.amdhsa_exception_fp_ieee_div_zero 0
		.amdhsa_exception_fp_ieee_overflow 0
		.amdhsa_exception_fp_ieee_underflow 0
		.amdhsa_exception_fp_ieee_inexact 0
		.amdhsa_exception_int_div_zero 0
	.end_amdhsa_kernel
	.section	.text._ZN7rocprim17ROCPRIM_400000_NS6detail17trampoline_kernelINS0_14default_configENS1_38merge_sort_block_merge_config_selectorIjNS0_10empty_typeEEEZZNS1_27merge_sort_block_merge_implIS3_PjPS5_jNS1_19radix_merge_compareILb1ELb1EjNS0_19identity_decomposerEEEEE10hipError_tT0_T1_T2_jT3_P12ihipStream_tbPNSt15iterator_traitsISE_E10value_typeEPNSK_ISF_E10value_typeEPSG_NS1_7vsmem_tEENKUlT_SE_SF_SG_E_clIS8_S8_S9_S9_EESD_ST_SE_SF_SG_EUlST_E1_NS1_11comp_targetILNS1_3genE10ELNS1_11target_archE1201ELNS1_3gpuE5ELNS1_3repE0EEENS1_36merge_oddeven_config_static_selectorELNS0_4arch9wavefront6targetE0EEEvSF_,"axG",@progbits,_ZN7rocprim17ROCPRIM_400000_NS6detail17trampoline_kernelINS0_14default_configENS1_38merge_sort_block_merge_config_selectorIjNS0_10empty_typeEEEZZNS1_27merge_sort_block_merge_implIS3_PjPS5_jNS1_19radix_merge_compareILb1ELb1EjNS0_19identity_decomposerEEEEE10hipError_tT0_T1_T2_jT3_P12ihipStream_tbPNSt15iterator_traitsISE_E10value_typeEPNSK_ISF_E10value_typeEPSG_NS1_7vsmem_tEENKUlT_SE_SF_SG_E_clIS8_S8_S9_S9_EESD_ST_SE_SF_SG_EUlST_E1_NS1_11comp_targetILNS1_3genE10ELNS1_11target_archE1201ELNS1_3gpuE5ELNS1_3repE0EEENS1_36merge_oddeven_config_static_selectorELNS0_4arch9wavefront6targetE0EEEvSF_,comdat
.Lfunc_end2600:
	.size	_ZN7rocprim17ROCPRIM_400000_NS6detail17trampoline_kernelINS0_14default_configENS1_38merge_sort_block_merge_config_selectorIjNS0_10empty_typeEEEZZNS1_27merge_sort_block_merge_implIS3_PjPS5_jNS1_19radix_merge_compareILb1ELb1EjNS0_19identity_decomposerEEEEE10hipError_tT0_T1_T2_jT3_P12ihipStream_tbPNSt15iterator_traitsISE_E10value_typeEPNSK_ISF_E10value_typeEPSG_NS1_7vsmem_tEENKUlT_SE_SF_SG_E_clIS8_S8_S9_S9_EESD_ST_SE_SF_SG_EUlST_E1_NS1_11comp_targetILNS1_3genE10ELNS1_11target_archE1201ELNS1_3gpuE5ELNS1_3repE0EEENS1_36merge_oddeven_config_static_selectorELNS0_4arch9wavefront6targetE0EEEvSF_, .Lfunc_end2600-_ZN7rocprim17ROCPRIM_400000_NS6detail17trampoline_kernelINS0_14default_configENS1_38merge_sort_block_merge_config_selectorIjNS0_10empty_typeEEEZZNS1_27merge_sort_block_merge_implIS3_PjPS5_jNS1_19radix_merge_compareILb1ELb1EjNS0_19identity_decomposerEEEEE10hipError_tT0_T1_T2_jT3_P12ihipStream_tbPNSt15iterator_traitsISE_E10value_typeEPNSK_ISF_E10value_typeEPSG_NS1_7vsmem_tEENKUlT_SE_SF_SG_E_clIS8_S8_S9_S9_EESD_ST_SE_SF_SG_EUlST_E1_NS1_11comp_targetILNS1_3genE10ELNS1_11target_archE1201ELNS1_3gpuE5ELNS1_3repE0EEENS1_36merge_oddeven_config_static_selectorELNS0_4arch9wavefront6targetE0EEEvSF_
                                        ; -- End function
	.set _ZN7rocprim17ROCPRIM_400000_NS6detail17trampoline_kernelINS0_14default_configENS1_38merge_sort_block_merge_config_selectorIjNS0_10empty_typeEEEZZNS1_27merge_sort_block_merge_implIS3_PjPS5_jNS1_19radix_merge_compareILb1ELb1EjNS0_19identity_decomposerEEEEE10hipError_tT0_T1_T2_jT3_P12ihipStream_tbPNSt15iterator_traitsISE_E10value_typeEPNSK_ISF_E10value_typeEPSG_NS1_7vsmem_tEENKUlT_SE_SF_SG_E_clIS8_S8_S9_S9_EESD_ST_SE_SF_SG_EUlST_E1_NS1_11comp_targetILNS1_3genE10ELNS1_11target_archE1201ELNS1_3gpuE5ELNS1_3repE0EEENS1_36merge_oddeven_config_static_selectorELNS0_4arch9wavefront6targetE0EEEvSF_.num_vgpr, 0
	.set _ZN7rocprim17ROCPRIM_400000_NS6detail17trampoline_kernelINS0_14default_configENS1_38merge_sort_block_merge_config_selectorIjNS0_10empty_typeEEEZZNS1_27merge_sort_block_merge_implIS3_PjPS5_jNS1_19radix_merge_compareILb1ELb1EjNS0_19identity_decomposerEEEEE10hipError_tT0_T1_T2_jT3_P12ihipStream_tbPNSt15iterator_traitsISE_E10value_typeEPNSK_ISF_E10value_typeEPSG_NS1_7vsmem_tEENKUlT_SE_SF_SG_E_clIS8_S8_S9_S9_EESD_ST_SE_SF_SG_EUlST_E1_NS1_11comp_targetILNS1_3genE10ELNS1_11target_archE1201ELNS1_3gpuE5ELNS1_3repE0EEENS1_36merge_oddeven_config_static_selectorELNS0_4arch9wavefront6targetE0EEEvSF_.num_agpr, 0
	.set _ZN7rocprim17ROCPRIM_400000_NS6detail17trampoline_kernelINS0_14default_configENS1_38merge_sort_block_merge_config_selectorIjNS0_10empty_typeEEEZZNS1_27merge_sort_block_merge_implIS3_PjPS5_jNS1_19radix_merge_compareILb1ELb1EjNS0_19identity_decomposerEEEEE10hipError_tT0_T1_T2_jT3_P12ihipStream_tbPNSt15iterator_traitsISE_E10value_typeEPNSK_ISF_E10value_typeEPSG_NS1_7vsmem_tEENKUlT_SE_SF_SG_E_clIS8_S8_S9_S9_EESD_ST_SE_SF_SG_EUlST_E1_NS1_11comp_targetILNS1_3genE10ELNS1_11target_archE1201ELNS1_3gpuE5ELNS1_3repE0EEENS1_36merge_oddeven_config_static_selectorELNS0_4arch9wavefront6targetE0EEEvSF_.numbered_sgpr, 0
	.set _ZN7rocprim17ROCPRIM_400000_NS6detail17trampoline_kernelINS0_14default_configENS1_38merge_sort_block_merge_config_selectorIjNS0_10empty_typeEEEZZNS1_27merge_sort_block_merge_implIS3_PjPS5_jNS1_19radix_merge_compareILb1ELb1EjNS0_19identity_decomposerEEEEE10hipError_tT0_T1_T2_jT3_P12ihipStream_tbPNSt15iterator_traitsISE_E10value_typeEPNSK_ISF_E10value_typeEPSG_NS1_7vsmem_tEENKUlT_SE_SF_SG_E_clIS8_S8_S9_S9_EESD_ST_SE_SF_SG_EUlST_E1_NS1_11comp_targetILNS1_3genE10ELNS1_11target_archE1201ELNS1_3gpuE5ELNS1_3repE0EEENS1_36merge_oddeven_config_static_selectorELNS0_4arch9wavefront6targetE0EEEvSF_.num_named_barrier, 0
	.set _ZN7rocprim17ROCPRIM_400000_NS6detail17trampoline_kernelINS0_14default_configENS1_38merge_sort_block_merge_config_selectorIjNS0_10empty_typeEEEZZNS1_27merge_sort_block_merge_implIS3_PjPS5_jNS1_19radix_merge_compareILb1ELb1EjNS0_19identity_decomposerEEEEE10hipError_tT0_T1_T2_jT3_P12ihipStream_tbPNSt15iterator_traitsISE_E10value_typeEPNSK_ISF_E10value_typeEPSG_NS1_7vsmem_tEENKUlT_SE_SF_SG_E_clIS8_S8_S9_S9_EESD_ST_SE_SF_SG_EUlST_E1_NS1_11comp_targetILNS1_3genE10ELNS1_11target_archE1201ELNS1_3gpuE5ELNS1_3repE0EEENS1_36merge_oddeven_config_static_selectorELNS0_4arch9wavefront6targetE0EEEvSF_.private_seg_size, 0
	.set _ZN7rocprim17ROCPRIM_400000_NS6detail17trampoline_kernelINS0_14default_configENS1_38merge_sort_block_merge_config_selectorIjNS0_10empty_typeEEEZZNS1_27merge_sort_block_merge_implIS3_PjPS5_jNS1_19radix_merge_compareILb1ELb1EjNS0_19identity_decomposerEEEEE10hipError_tT0_T1_T2_jT3_P12ihipStream_tbPNSt15iterator_traitsISE_E10value_typeEPNSK_ISF_E10value_typeEPSG_NS1_7vsmem_tEENKUlT_SE_SF_SG_E_clIS8_S8_S9_S9_EESD_ST_SE_SF_SG_EUlST_E1_NS1_11comp_targetILNS1_3genE10ELNS1_11target_archE1201ELNS1_3gpuE5ELNS1_3repE0EEENS1_36merge_oddeven_config_static_selectorELNS0_4arch9wavefront6targetE0EEEvSF_.uses_vcc, 0
	.set _ZN7rocprim17ROCPRIM_400000_NS6detail17trampoline_kernelINS0_14default_configENS1_38merge_sort_block_merge_config_selectorIjNS0_10empty_typeEEEZZNS1_27merge_sort_block_merge_implIS3_PjPS5_jNS1_19radix_merge_compareILb1ELb1EjNS0_19identity_decomposerEEEEE10hipError_tT0_T1_T2_jT3_P12ihipStream_tbPNSt15iterator_traitsISE_E10value_typeEPNSK_ISF_E10value_typeEPSG_NS1_7vsmem_tEENKUlT_SE_SF_SG_E_clIS8_S8_S9_S9_EESD_ST_SE_SF_SG_EUlST_E1_NS1_11comp_targetILNS1_3genE10ELNS1_11target_archE1201ELNS1_3gpuE5ELNS1_3repE0EEENS1_36merge_oddeven_config_static_selectorELNS0_4arch9wavefront6targetE0EEEvSF_.uses_flat_scratch, 0
	.set _ZN7rocprim17ROCPRIM_400000_NS6detail17trampoline_kernelINS0_14default_configENS1_38merge_sort_block_merge_config_selectorIjNS0_10empty_typeEEEZZNS1_27merge_sort_block_merge_implIS3_PjPS5_jNS1_19radix_merge_compareILb1ELb1EjNS0_19identity_decomposerEEEEE10hipError_tT0_T1_T2_jT3_P12ihipStream_tbPNSt15iterator_traitsISE_E10value_typeEPNSK_ISF_E10value_typeEPSG_NS1_7vsmem_tEENKUlT_SE_SF_SG_E_clIS8_S8_S9_S9_EESD_ST_SE_SF_SG_EUlST_E1_NS1_11comp_targetILNS1_3genE10ELNS1_11target_archE1201ELNS1_3gpuE5ELNS1_3repE0EEENS1_36merge_oddeven_config_static_selectorELNS0_4arch9wavefront6targetE0EEEvSF_.has_dyn_sized_stack, 0
	.set _ZN7rocprim17ROCPRIM_400000_NS6detail17trampoline_kernelINS0_14default_configENS1_38merge_sort_block_merge_config_selectorIjNS0_10empty_typeEEEZZNS1_27merge_sort_block_merge_implIS3_PjPS5_jNS1_19radix_merge_compareILb1ELb1EjNS0_19identity_decomposerEEEEE10hipError_tT0_T1_T2_jT3_P12ihipStream_tbPNSt15iterator_traitsISE_E10value_typeEPNSK_ISF_E10value_typeEPSG_NS1_7vsmem_tEENKUlT_SE_SF_SG_E_clIS8_S8_S9_S9_EESD_ST_SE_SF_SG_EUlST_E1_NS1_11comp_targetILNS1_3genE10ELNS1_11target_archE1201ELNS1_3gpuE5ELNS1_3repE0EEENS1_36merge_oddeven_config_static_selectorELNS0_4arch9wavefront6targetE0EEEvSF_.has_recursion, 0
	.set _ZN7rocprim17ROCPRIM_400000_NS6detail17trampoline_kernelINS0_14default_configENS1_38merge_sort_block_merge_config_selectorIjNS0_10empty_typeEEEZZNS1_27merge_sort_block_merge_implIS3_PjPS5_jNS1_19radix_merge_compareILb1ELb1EjNS0_19identity_decomposerEEEEE10hipError_tT0_T1_T2_jT3_P12ihipStream_tbPNSt15iterator_traitsISE_E10value_typeEPNSK_ISF_E10value_typeEPSG_NS1_7vsmem_tEENKUlT_SE_SF_SG_E_clIS8_S8_S9_S9_EESD_ST_SE_SF_SG_EUlST_E1_NS1_11comp_targetILNS1_3genE10ELNS1_11target_archE1201ELNS1_3gpuE5ELNS1_3repE0EEENS1_36merge_oddeven_config_static_selectorELNS0_4arch9wavefront6targetE0EEEvSF_.has_indirect_call, 0
	.section	.AMDGPU.csdata,"",@progbits
; Kernel info:
; codeLenInByte = 0
; TotalNumSgprs: 0
; NumVgprs: 0
; ScratchSize: 0
; MemoryBound: 0
; FloatMode: 240
; IeeeMode: 1
; LDSByteSize: 0 bytes/workgroup (compile time only)
; SGPRBlocks: 0
; VGPRBlocks: 0
; NumSGPRsForWavesPerEU: 1
; NumVGPRsForWavesPerEU: 1
; NamedBarCnt: 0
; Occupancy: 16
; WaveLimiterHint : 0
; COMPUTE_PGM_RSRC2:SCRATCH_EN: 0
; COMPUTE_PGM_RSRC2:USER_SGPR: 2
; COMPUTE_PGM_RSRC2:TRAP_HANDLER: 0
; COMPUTE_PGM_RSRC2:TGID_X_EN: 1
; COMPUTE_PGM_RSRC2:TGID_Y_EN: 0
; COMPUTE_PGM_RSRC2:TGID_Z_EN: 0
; COMPUTE_PGM_RSRC2:TIDIG_COMP_CNT: 0
	.section	.text._ZN7rocprim17ROCPRIM_400000_NS6detail17trampoline_kernelINS0_14default_configENS1_38merge_sort_block_merge_config_selectorIjNS0_10empty_typeEEEZZNS1_27merge_sort_block_merge_implIS3_PjPS5_jNS1_19radix_merge_compareILb1ELb1EjNS0_19identity_decomposerEEEEE10hipError_tT0_T1_T2_jT3_P12ihipStream_tbPNSt15iterator_traitsISE_E10value_typeEPNSK_ISF_E10value_typeEPSG_NS1_7vsmem_tEENKUlT_SE_SF_SG_E_clIS8_S8_S9_S9_EESD_ST_SE_SF_SG_EUlST_E1_NS1_11comp_targetILNS1_3genE5ELNS1_11target_archE942ELNS1_3gpuE9ELNS1_3repE0EEENS1_36merge_oddeven_config_static_selectorELNS0_4arch9wavefront6targetE0EEEvSF_,"axG",@progbits,_ZN7rocprim17ROCPRIM_400000_NS6detail17trampoline_kernelINS0_14default_configENS1_38merge_sort_block_merge_config_selectorIjNS0_10empty_typeEEEZZNS1_27merge_sort_block_merge_implIS3_PjPS5_jNS1_19radix_merge_compareILb1ELb1EjNS0_19identity_decomposerEEEEE10hipError_tT0_T1_T2_jT3_P12ihipStream_tbPNSt15iterator_traitsISE_E10value_typeEPNSK_ISF_E10value_typeEPSG_NS1_7vsmem_tEENKUlT_SE_SF_SG_E_clIS8_S8_S9_S9_EESD_ST_SE_SF_SG_EUlST_E1_NS1_11comp_targetILNS1_3genE5ELNS1_11target_archE942ELNS1_3gpuE9ELNS1_3repE0EEENS1_36merge_oddeven_config_static_selectorELNS0_4arch9wavefront6targetE0EEEvSF_,comdat
	.protected	_ZN7rocprim17ROCPRIM_400000_NS6detail17trampoline_kernelINS0_14default_configENS1_38merge_sort_block_merge_config_selectorIjNS0_10empty_typeEEEZZNS1_27merge_sort_block_merge_implIS3_PjPS5_jNS1_19radix_merge_compareILb1ELb1EjNS0_19identity_decomposerEEEEE10hipError_tT0_T1_T2_jT3_P12ihipStream_tbPNSt15iterator_traitsISE_E10value_typeEPNSK_ISF_E10value_typeEPSG_NS1_7vsmem_tEENKUlT_SE_SF_SG_E_clIS8_S8_S9_S9_EESD_ST_SE_SF_SG_EUlST_E1_NS1_11comp_targetILNS1_3genE5ELNS1_11target_archE942ELNS1_3gpuE9ELNS1_3repE0EEENS1_36merge_oddeven_config_static_selectorELNS0_4arch9wavefront6targetE0EEEvSF_ ; -- Begin function _ZN7rocprim17ROCPRIM_400000_NS6detail17trampoline_kernelINS0_14default_configENS1_38merge_sort_block_merge_config_selectorIjNS0_10empty_typeEEEZZNS1_27merge_sort_block_merge_implIS3_PjPS5_jNS1_19radix_merge_compareILb1ELb1EjNS0_19identity_decomposerEEEEE10hipError_tT0_T1_T2_jT3_P12ihipStream_tbPNSt15iterator_traitsISE_E10value_typeEPNSK_ISF_E10value_typeEPSG_NS1_7vsmem_tEENKUlT_SE_SF_SG_E_clIS8_S8_S9_S9_EESD_ST_SE_SF_SG_EUlST_E1_NS1_11comp_targetILNS1_3genE5ELNS1_11target_archE942ELNS1_3gpuE9ELNS1_3repE0EEENS1_36merge_oddeven_config_static_selectorELNS0_4arch9wavefront6targetE0EEEvSF_
	.globl	_ZN7rocprim17ROCPRIM_400000_NS6detail17trampoline_kernelINS0_14default_configENS1_38merge_sort_block_merge_config_selectorIjNS0_10empty_typeEEEZZNS1_27merge_sort_block_merge_implIS3_PjPS5_jNS1_19radix_merge_compareILb1ELb1EjNS0_19identity_decomposerEEEEE10hipError_tT0_T1_T2_jT3_P12ihipStream_tbPNSt15iterator_traitsISE_E10value_typeEPNSK_ISF_E10value_typeEPSG_NS1_7vsmem_tEENKUlT_SE_SF_SG_E_clIS8_S8_S9_S9_EESD_ST_SE_SF_SG_EUlST_E1_NS1_11comp_targetILNS1_3genE5ELNS1_11target_archE942ELNS1_3gpuE9ELNS1_3repE0EEENS1_36merge_oddeven_config_static_selectorELNS0_4arch9wavefront6targetE0EEEvSF_
	.p2align	8
	.type	_ZN7rocprim17ROCPRIM_400000_NS6detail17trampoline_kernelINS0_14default_configENS1_38merge_sort_block_merge_config_selectorIjNS0_10empty_typeEEEZZNS1_27merge_sort_block_merge_implIS3_PjPS5_jNS1_19radix_merge_compareILb1ELb1EjNS0_19identity_decomposerEEEEE10hipError_tT0_T1_T2_jT3_P12ihipStream_tbPNSt15iterator_traitsISE_E10value_typeEPNSK_ISF_E10value_typeEPSG_NS1_7vsmem_tEENKUlT_SE_SF_SG_E_clIS8_S8_S9_S9_EESD_ST_SE_SF_SG_EUlST_E1_NS1_11comp_targetILNS1_3genE5ELNS1_11target_archE942ELNS1_3gpuE9ELNS1_3repE0EEENS1_36merge_oddeven_config_static_selectorELNS0_4arch9wavefront6targetE0EEEvSF_,@function
_ZN7rocprim17ROCPRIM_400000_NS6detail17trampoline_kernelINS0_14default_configENS1_38merge_sort_block_merge_config_selectorIjNS0_10empty_typeEEEZZNS1_27merge_sort_block_merge_implIS3_PjPS5_jNS1_19radix_merge_compareILb1ELb1EjNS0_19identity_decomposerEEEEE10hipError_tT0_T1_T2_jT3_P12ihipStream_tbPNSt15iterator_traitsISE_E10value_typeEPNSK_ISF_E10value_typeEPSG_NS1_7vsmem_tEENKUlT_SE_SF_SG_E_clIS8_S8_S9_S9_EESD_ST_SE_SF_SG_EUlST_E1_NS1_11comp_targetILNS1_3genE5ELNS1_11target_archE942ELNS1_3gpuE9ELNS1_3repE0EEENS1_36merge_oddeven_config_static_selectorELNS0_4arch9wavefront6targetE0EEEvSF_: ; @_ZN7rocprim17ROCPRIM_400000_NS6detail17trampoline_kernelINS0_14default_configENS1_38merge_sort_block_merge_config_selectorIjNS0_10empty_typeEEEZZNS1_27merge_sort_block_merge_implIS3_PjPS5_jNS1_19radix_merge_compareILb1ELb1EjNS0_19identity_decomposerEEEEE10hipError_tT0_T1_T2_jT3_P12ihipStream_tbPNSt15iterator_traitsISE_E10value_typeEPNSK_ISF_E10value_typeEPSG_NS1_7vsmem_tEENKUlT_SE_SF_SG_E_clIS8_S8_S9_S9_EESD_ST_SE_SF_SG_EUlST_E1_NS1_11comp_targetILNS1_3genE5ELNS1_11target_archE942ELNS1_3gpuE9ELNS1_3repE0EEENS1_36merge_oddeven_config_static_selectorELNS0_4arch9wavefront6targetE0EEEvSF_
; %bb.0:
	.section	.rodata,"a",@progbits
	.p2align	6, 0x0
	.amdhsa_kernel _ZN7rocprim17ROCPRIM_400000_NS6detail17trampoline_kernelINS0_14default_configENS1_38merge_sort_block_merge_config_selectorIjNS0_10empty_typeEEEZZNS1_27merge_sort_block_merge_implIS3_PjPS5_jNS1_19radix_merge_compareILb1ELb1EjNS0_19identity_decomposerEEEEE10hipError_tT0_T1_T2_jT3_P12ihipStream_tbPNSt15iterator_traitsISE_E10value_typeEPNSK_ISF_E10value_typeEPSG_NS1_7vsmem_tEENKUlT_SE_SF_SG_E_clIS8_S8_S9_S9_EESD_ST_SE_SF_SG_EUlST_E1_NS1_11comp_targetILNS1_3genE5ELNS1_11target_archE942ELNS1_3gpuE9ELNS1_3repE0EEENS1_36merge_oddeven_config_static_selectorELNS0_4arch9wavefront6targetE0EEEvSF_
		.amdhsa_group_segment_fixed_size 0
		.amdhsa_private_segment_fixed_size 0
		.amdhsa_kernarg_size 48
		.amdhsa_user_sgpr_count 2
		.amdhsa_user_sgpr_dispatch_ptr 0
		.amdhsa_user_sgpr_queue_ptr 0
		.amdhsa_user_sgpr_kernarg_segment_ptr 1
		.amdhsa_user_sgpr_dispatch_id 0
		.amdhsa_user_sgpr_kernarg_preload_length 0
		.amdhsa_user_sgpr_kernarg_preload_offset 0
		.amdhsa_user_sgpr_private_segment_size 0
		.amdhsa_wavefront_size32 1
		.amdhsa_uses_dynamic_stack 0
		.amdhsa_enable_private_segment 0
		.amdhsa_system_sgpr_workgroup_id_x 1
		.amdhsa_system_sgpr_workgroup_id_y 0
		.amdhsa_system_sgpr_workgroup_id_z 0
		.amdhsa_system_sgpr_workgroup_info 0
		.amdhsa_system_vgpr_workitem_id 0
		.amdhsa_next_free_vgpr 1
		.amdhsa_next_free_sgpr 1
		.amdhsa_named_barrier_count 0
		.amdhsa_reserve_vcc 0
		.amdhsa_float_round_mode_32 0
		.amdhsa_float_round_mode_16_64 0
		.amdhsa_float_denorm_mode_32 3
		.amdhsa_float_denorm_mode_16_64 3
		.amdhsa_fp16_overflow 0
		.amdhsa_memory_ordered 1
		.amdhsa_forward_progress 1
		.amdhsa_inst_pref_size 0
		.amdhsa_round_robin_scheduling 0
		.amdhsa_exception_fp_ieee_invalid_op 0
		.amdhsa_exception_fp_denorm_src 0
		.amdhsa_exception_fp_ieee_div_zero 0
		.amdhsa_exception_fp_ieee_overflow 0
		.amdhsa_exception_fp_ieee_underflow 0
		.amdhsa_exception_fp_ieee_inexact 0
		.amdhsa_exception_int_div_zero 0
	.end_amdhsa_kernel
	.section	.text._ZN7rocprim17ROCPRIM_400000_NS6detail17trampoline_kernelINS0_14default_configENS1_38merge_sort_block_merge_config_selectorIjNS0_10empty_typeEEEZZNS1_27merge_sort_block_merge_implIS3_PjPS5_jNS1_19radix_merge_compareILb1ELb1EjNS0_19identity_decomposerEEEEE10hipError_tT0_T1_T2_jT3_P12ihipStream_tbPNSt15iterator_traitsISE_E10value_typeEPNSK_ISF_E10value_typeEPSG_NS1_7vsmem_tEENKUlT_SE_SF_SG_E_clIS8_S8_S9_S9_EESD_ST_SE_SF_SG_EUlST_E1_NS1_11comp_targetILNS1_3genE5ELNS1_11target_archE942ELNS1_3gpuE9ELNS1_3repE0EEENS1_36merge_oddeven_config_static_selectorELNS0_4arch9wavefront6targetE0EEEvSF_,"axG",@progbits,_ZN7rocprim17ROCPRIM_400000_NS6detail17trampoline_kernelINS0_14default_configENS1_38merge_sort_block_merge_config_selectorIjNS0_10empty_typeEEEZZNS1_27merge_sort_block_merge_implIS3_PjPS5_jNS1_19radix_merge_compareILb1ELb1EjNS0_19identity_decomposerEEEEE10hipError_tT0_T1_T2_jT3_P12ihipStream_tbPNSt15iterator_traitsISE_E10value_typeEPNSK_ISF_E10value_typeEPSG_NS1_7vsmem_tEENKUlT_SE_SF_SG_E_clIS8_S8_S9_S9_EESD_ST_SE_SF_SG_EUlST_E1_NS1_11comp_targetILNS1_3genE5ELNS1_11target_archE942ELNS1_3gpuE9ELNS1_3repE0EEENS1_36merge_oddeven_config_static_selectorELNS0_4arch9wavefront6targetE0EEEvSF_,comdat
.Lfunc_end2601:
	.size	_ZN7rocprim17ROCPRIM_400000_NS6detail17trampoline_kernelINS0_14default_configENS1_38merge_sort_block_merge_config_selectorIjNS0_10empty_typeEEEZZNS1_27merge_sort_block_merge_implIS3_PjPS5_jNS1_19radix_merge_compareILb1ELb1EjNS0_19identity_decomposerEEEEE10hipError_tT0_T1_T2_jT3_P12ihipStream_tbPNSt15iterator_traitsISE_E10value_typeEPNSK_ISF_E10value_typeEPSG_NS1_7vsmem_tEENKUlT_SE_SF_SG_E_clIS8_S8_S9_S9_EESD_ST_SE_SF_SG_EUlST_E1_NS1_11comp_targetILNS1_3genE5ELNS1_11target_archE942ELNS1_3gpuE9ELNS1_3repE0EEENS1_36merge_oddeven_config_static_selectorELNS0_4arch9wavefront6targetE0EEEvSF_, .Lfunc_end2601-_ZN7rocprim17ROCPRIM_400000_NS6detail17trampoline_kernelINS0_14default_configENS1_38merge_sort_block_merge_config_selectorIjNS0_10empty_typeEEEZZNS1_27merge_sort_block_merge_implIS3_PjPS5_jNS1_19radix_merge_compareILb1ELb1EjNS0_19identity_decomposerEEEEE10hipError_tT0_T1_T2_jT3_P12ihipStream_tbPNSt15iterator_traitsISE_E10value_typeEPNSK_ISF_E10value_typeEPSG_NS1_7vsmem_tEENKUlT_SE_SF_SG_E_clIS8_S8_S9_S9_EESD_ST_SE_SF_SG_EUlST_E1_NS1_11comp_targetILNS1_3genE5ELNS1_11target_archE942ELNS1_3gpuE9ELNS1_3repE0EEENS1_36merge_oddeven_config_static_selectorELNS0_4arch9wavefront6targetE0EEEvSF_
                                        ; -- End function
	.set _ZN7rocprim17ROCPRIM_400000_NS6detail17trampoline_kernelINS0_14default_configENS1_38merge_sort_block_merge_config_selectorIjNS0_10empty_typeEEEZZNS1_27merge_sort_block_merge_implIS3_PjPS5_jNS1_19radix_merge_compareILb1ELb1EjNS0_19identity_decomposerEEEEE10hipError_tT0_T1_T2_jT3_P12ihipStream_tbPNSt15iterator_traitsISE_E10value_typeEPNSK_ISF_E10value_typeEPSG_NS1_7vsmem_tEENKUlT_SE_SF_SG_E_clIS8_S8_S9_S9_EESD_ST_SE_SF_SG_EUlST_E1_NS1_11comp_targetILNS1_3genE5ELNS1_11target_archE942ELNS1_3gpuE9ELNS1_3repE0EEENS1_36merge_oddeven_config_static_selectorELNS0_4arch9wavefront6targetE0EEEvSF_.num_vgpr, 0
	.set _ZN7rocprim17ROCPRIM_400000_NS6detail17trampoline_kernelINS0_14default_configENS1_38merge_sort_block_merge_config_selectorIjNS0_10empty_typeEEEZZNS1_27merge_sort_block_merge_implIS3_PjPS5_jNS1_19radix_merge_compareILb1ELb1EjNS0_19identity_decomposerEEEEE10hipError_tT0_T1_T2_jT3_P12ihipStream_tbPNSt15iterator_traitsISE_E10value_typeEPNSK_ISF_E10value_typeEPSG_NS1_7vsmem_tEENKUlT_SE_SF_SG_E_clIS8_S8_S9_S9_EESD_ST_SE_SF_SG_EUlST_E1_NS1_11comp_targetILNS1_3genE5ELNS1_11target_archE942ELNS1_3gpuE9ELNS1_3repE0EEENS1_36merge_oddeven_config_static_selectorELNS0_4arch9wavefront6targetE0EEEvSF_.num_agpr, 0
	.set _ZN7rocprim17ROCPRIM_400000_NS6detail17trampoline_kernelINS0_14default_configENS1_38merge_sort_block_merge_config_selectorIjNS0_10empty_typeEEEZZNS1_27merge_sort_block_merge_implIS3_PjPS5_jNS1_19radix_merge_compareILb1ELb1EjNS0_19identity_decomposerEEEEE10hipError_tT0_T1_T2_jT3_P12ihipStream_tbPNSt15iterator_traitsISE_E10value_typeEPNSK_ISF_E10value_typeEPSG_NS1_7vsmem_tEENKUlT_SE_SF_SG_E_clIS8_S8_S9_S9_EESD_ST_SE_SF_SG_EUlST_E1_NS1_11comp_targetILNS1_3genE5ELNS1_11target_archE942ELNS1_3gpuE9ELNS1_3repE0EEENS1_36merge_oddeven_config_static_selectorELNS0_4arch9wavefront6targetE0EEEvSF_.numbered_sgpr, 0
	.set _ZN7rocprim17ROCPRIM_400000_NS6detail17trampoline_kernelINS0_14default_configENS1_38merge_sort_block_merge_config_selectorIjNS0_10empty_typeEEEZZNS1_27merge_sort_block_merge_implIS3_PjPS5_jNS1_19radix_merge_compareILb1ELb1EjNS0_19identity_decomposerEEEEE10hipError_tT0_T1_T2_jT3_P12ihipStream_tbPNSt15iterator_traitsISE_E10value_typeEPNSK_ISF_E10value_typeEPSG_NS1_7vsmem_tEENKUlT_SE_SF_SG_E_clIS8_S8_S9_S9_EESD_ST_SE_SF_SG_EUlST_E1_NS1_11comp_targetILNS1_3genE5ELNS1_11target_archE942ELNS1_3gpuE9ELNS1_3repE0EEENS1_36merge_oddeven_config_static_selectorELNS0_4arch9wavefront6targetE0EEEvSF_.num_named_barrier, 0
	.set _ZN7rocprim17ROCPRIM_400000_NS6detail17trampoline_kernelINS0_14default_configENS1_38merge_sort_block_merge_config_selectorIjNS0_10empty_typeEEEZZNS1_27merge_sort_block_merge_implIS3_PjPS5_jNS1_19radix_merge_compareILb1ELb1EjNS0_19identity_decomposerEEEEE10hipError_tT0_T1_T2_jT3_P12ihipStream_tbPNSt15iterator_traitsISE_E10value_typeEPNSK_ISF_E10value_typeEPSG_NS1_7vsmem_tEENKUlT_SE_SF_SG_E_clIS8_S8_S9_S9_EESD_ST_SE_SF_SG_EUlST_E1_NS1_11comp_targetILNS1_3genE5ELNS1_11target_archE942ELNS1_3gpuE9ELNS1_3repE0EEENS1_36merge_oddeven_config_static_selectorELNS0_4arch9wavefront6targetE0EEEvSF_.private_seg_size, 0
	.set _ZN7rocprim17ROCPRIM_400000_NS6detail17trampoline_kernelINS0_14default_configENS1_38merge_sort_block_merge_config_selectorIjNS0_10empty_typeEEEZZNS1_27merge_sort_block_merge_implIS3_PjPS5_jNS1_19radix_merge_compareILb1ELb1EjNS0_19identity_decomposerEEEEE10hipError_tT0_T1_T2_jT3_P12ihipStream_tbPNSt15iterator_traitsISE_E10value_typeEPNSK_ISF_E10value_typeEPSG_NS1_7vsmem_tEENKUlT_SE_SF_SG_E_clIS8_S8_S9_S9_EESD_ST_SE_SF_SG_EUlST_E1_NS1_11comp_targetILNS1_3genE5ELNS1_11target_archE942ELNS1_3gpuE9ELNS1_3repE0EEENS1_36merge_oddeven_config_static_selectorELNS0_4arch9wavefront6targetE0EEEvSF_.uses_vcc, 0
	.set _ZN7rocprim17ROCPRIM_400000_NS6detail17trampoline_kernelINS0_14default_configENS1_38merge_sort_block_merge_config_selectorIjNS0_10empty_typeEEEZZNS1_27merge_sort_block_merge_implIS3_PjPS5_jNS1_19radix_merge_compareILb1ELb1EjNS0_19identity_decomposerEEEEE10hipError_tT0_T1_T2_jT3_P12ihipStream_tbPNSt15iterator_traitsISE_E10value_typeEPNSK_ISF_E10value_typeEPSG_NS1_7vsmem_tEENKUlT_SE_SF_SG_E_clIS8_S8_S9_S9_EESD_ST_SE_SF_SG_EUlST_E1_NS1_11comp_targetILNS1_3genE5ELNS1_11target_archE942ELNS1_3gpuE9ELNS1_3repE0EEENS1_36merge_oddeven_config_static_selectorELNS0_4arch9wavefront6targetE0EEEvSF_.uses_flat_scratch, 0
	.set _ZN7rocprim17ROCPRIM_400000_NS6detail17trampoline_kernelINS0_14default_configENS1_38merge_sort_block_merge_config_selectorIjNS0_10empty_typeEEEZZNS1_27merge_sort_block_merge_implIS3_PjPS5_jNS1_19radix_merge_compareILb1ELb1EjNS0_19identity_decomposerEEEEE10hipError_tT0_T1_T2_jT3_P12ihipStream_tbPNSt15iterator_traitsISE_E10value_typeEPNSK_ISF_E10value_typeEPSG_NS1_7vsmem_tEENKUlT_SE_SF_SG_E_clIS8_S8_S9_S9_EESD_ST_SE_SF_SG_EUlST_E1_NS1_11comp_targetILNS1_3genE5ELNS1_11target_archE942ELNS1_3gpuE9ELNS1_3repE0EEENS1_36merge_oddeven_config_static_selectorELNS0_4arch9wavefront6targetE0EEEvSF_.has_dyn_sized_stack, 0
	.set _ZN7rocprim17ROCPRIM_400000_NS6detail17trampoline_kernelINS0_14default_configENS1_38merge_sort_block_merge_config_selectorIjNS0_10empty_typeEEEZZNS1_27merge_sort_block_merge_implIS3_PjPS5_jNS1_19radix_merge_compareILb1ELb1EjNS0_19identity_decomposerEEEEE10hipError_tT0_T1_T2_jT3_P12ihipStream_tbPNSt15iterator_traitsISE_E10value_typeEPNSK_ISF_E10value_typeEPSG_NS1_7vsmem_tEENKUlT_SE_SF_SG_E_clIS8_S8_S9_S9_EESD_ST_SE_SF_SG_EUlST_E1_NS1_11comp_targetILNS1_3genE5ELNS1_11target_archE942ELNS1_3gpuE9ELNS1_3repE0EEENS1_36merge_oddeven_config_static_selectorELNS0_4arch9wavefront6targetE0EEEvSF_.has_recursion, 0
	.set _ZN7rocprim17ROCPRIM_400000_NS6detail17trampoline_kernelINS0_14default_configENS1_38merge_sort_block_merge_config_selectorIjNS0_10empty_typeEEEZZNS1_27merge_sort_block_merge_implIS3_PjPS5_jNS1_19radix_merge_compareILb1ELb1EjNS0_19identity_decomposerEEEEE10hipError_tT0_T1_T2_jT3_P12ihipStream_tbPNSt15iterator_traitsISE_E10value_typeEPNSK_ISF_E10value_typeEPSG_NS1_7vsmem_tEENKUlT_SE_SF_SG_E_clIS8_S8_S9_S9_EESD_ST_SE_SF_SG_EUlST_E1_NS1_11comp_targetILNS1_3genE5ELNS1_11target_archE942ELNS1_3gpuE9ELNS1_3repE0EEENS1_36merge_oddeven_config_static_selectorELNS0_4arch9wavefront6targetE0EEEvSF_.has_indirect_call, 0
	.section	.AMDGPU.csdata,"",@progbits
; Kernel info:
; codeLenInByte = 0
; TotalNumSgprs: 0
; NumVgprs: 0
; ScratchSize: 0
; MemoryBound: 0
; FloatMode: 240
; IeeeMode: 1
; LDSByteSize: 0 bytes/workgroup (compile time only)
; SGPRBlocks: 0
; VGPRBlocks: 0
; NumSGPRsForWavesPerEU: 1
; NumVGPRsForWavesPerEU: 1
; NamedBarCnt: 0
; Occupancy: 16
; WaveLimiterHint : 0
; COMPUTE_PGM_RSRC2:SCRATCH_EN: 0
; COMPUTE_PGM_RSRC2:USER_SGPR: 2
; COMPUTE_PGM_RSRC2:TRAP_HANDLER: 0
; COMPUTE_PGM_RSRC2:TGID_X_EN: 1
; COMPUTE_PGM_RSRC2:TGID_Y_EN: 0
; COMPUTE_PGM_RSRC2:TGID_Z_EN: 0
; COMPUTE_PGM_RSRC2:TIDIG_COMP_CNT: 0
	.section	.text._ZN7rocprim17ROCPRIM_400000_NS6detail17trampoline_kernelINS0_14default_configENS1_38merge_sort_block_merge_config_selectorIjNS0_10empty_typeEEEZZNS1_27merge_sort_block_merge_implIS3_PjPS5_jNS1_19radix_merge_compareILb1ELb1EjNS0_19identity_decomposerEEEEE10hipError_tT0_T1_T2_jT3_P12ihipStream_tbPNSt15iterator_traitsISE_E10value_typeEPNSK_ISF_E10value_typeEPSG_NS1_7vsmem_tEENKUlT_SE_SF_SG_E_clIS8_S8_S9_S9_EESD_ST_SE_SF_SG_EUlST_E1_NS1_11comp_targetILNS1_3genE4ELNS1_11target_archE910ELNS1_3gpuE8ELNS1_3repE0EEENS1_36merge_oddeven_config_static_selectorELNS0_4arch9wavefront6targetE0EEEvSF_,"axG",@progbits,_ZN7rocprim17ROCPRIM_400000_NS6detail17trampoline_kernelINS0_14default_configENS1_38merge_sort_block_merge_config_selectorIjNS0_10empty_typeEEEZZNS1_27merge_sort_block_merge_implIS3_PjPS5_jNS1_19radix_merge_compareILb1ELb1EjNS0_19identity_decomposerEEEEE10hipError_tT0_T1_T2_jT3_P12ihipStream_tbPNSt15iterator_traitsISE_E10value_typeEPNSK_ISF_E10value_typeEPSG_NS1_7vsmem_tEENKUlT_SE_SF_SG_E_clIS8_S8_S9_S9_EESD_ST_SE_SF_SG_EUlST_E1_NS1_11comp_targetILNS1_3genE4ELNS1_11target_archE910ELNS1_3gpuE8ELNS1_3repE0EEENS1_36merge_oddeven_config_static_selectorELNS0_4arch9wavefront6targetE0EEEvSF_,comdat
	.protected	_ZN7rocprim17ROCPRIM_400000_NS6detail17trampoline_kernelINS0_14default_configENS1_38merge_sort_block_merge_config_selectorIjNS0_10empty_typeEEEZZNS1_27merge_sort_block_merge_implIS3_PjPS5_jNS1_19radix_merge_compareILb1ELb1EjNS0_19identity_decomposerEEEEE10hipError_tT0_T1_T2_jT3_P12ihipStream_tbPNSt15iterator_traitsISE_E10value_typeEPNSK_ISF_E10value_typeEPSG_NS1_7vsmem_tEENKUlT_SE_SF_SG_E_clIS8_S8_S9_S9_EESD_ST_SE_SF_SG_EUlST_E1_NS1_11comp_targetILNS1_3genE4ELNS1_11target_archE910ELNS1_3gpuE8ELNS1_3repE0EEENS1_36merge_oddeven_config_static_selectorELNS0_4arch9wavefront6targetE0EEEvSF_ ; -- Begin function _ZN7rocprim17ROCPRIM_400000_NS6detail17trampoline_kernelINS0_14default_configENS1_38merge_sort_block_merge_config_selectorIjNS0_10empty_typeEEEZZNS1_27merge_sort_block_merge_implIS3_PjPS5_jNS1_19radix_merge_compareILb1ELb1EjNS0_19identity_decomposerEEEEE10hipError_tT0_T1_T2_jT3_P12ihipStream_tbPNSt15iterator_traitsISE_E10value_typeEPNSK_ISF_E10value_typeEPSG_NS1_7vsmem_tEENKUlT_SE_SF_SG_E_clIS8_S8_S9_S9_EESD_ST_SE_SF_SG_EUlST_E1_NS1_11comp_targetILNS1_3genE4ELNS1_11target_archE910ELNS1_3gpuE8ELNS1_3repE0EEENS1_36merge_oddeven_config_static_selectorELNS0_4arch9wavefront6targetE0EEEvSF_
	.globl	_ZN7rocprim17ROCPRIM_400000_NS6detail17trampoline_kernelINS0_14default_configENS1_38merge_sort_block_merge_config_selectorIjNS0_10empty_typeEEEZZNS1_27merge_sort_block_merge_implIS3_PjPS5_jNS1_19radix_merge_compareILb1ELb1EjNS0_19identity_decomposerEEEEE10hipError_tT0_T1_T2_jT3_P12ihipStream_tbPNSt15iterator_traitsISE_E10value_typeEPNSK_ISF_E10value_typeEPSG_NS1_7vsmem_tEENKUlT_SE_SF_SG_E_clIS8_S8_S9_S9_EESD_ST_SE_SF_SG_EUlST_E1_NS1_11comp_targetILNS1_3genE4ELNS1_11target_archE910ELNS1_3gpuE8ELNS1_3repE0EEENS1_36merge_oddeven_config_static_selectorELNS0_4arch9wavefront6targetE0EEEvSF_
	.p2align	8
	.type	_ZN7rocprim17ROCPRIM_400000_NS6detail17trampoline_kernelINS0_14default_configENS1_38merge_sort_block_merge_config_selectorIjNS0_10empty_typeEEEZZNS1_27merge_sort_block_merge_implIS3_PjPS5_jNS1_19radix_merge_compareILb1ELb1EjNS0_19identity_decomposerEEEEE10hipError_tT0_T1_T2_jT3_P12ihipStream_tbPNSt15iterator_traitsISE_E10value_typeEPNSK_ISF_E10value_typeEPSG_NS1_7vsmem_tEENKUlT_SE_SF_SG_E_clIS8_S8_S9_S9_EESD_ST_SE_SF_SG_EUlST_E1_NS1_11comp_targetILNS1_3genE4ELNS1_11target_archE910ELNS1_3gpuE8ELNS1_3repE0EEENS1_36merge_oddeven_config_static_selectorELNS0_4arch9wavefront6targetE0EEEvSF_,@function
_ZN7rocprim17ROCPRIM_400000_NS6detail17trampoline_kernelINS0_14default_configENS1_38merge_sort_block_merge_config_selectorIjNS0_10empty_typeEEEZZNS1_27merge_sort_block_merge_implIS3_PjPS5_jNS1_19radix_merge_compareILb1ELb1EjNS0_19identity_decomposerEEEEE10hipError_tT0_T1_T2_jT3_P12ihipStream_tbPNSt15iterator_traitsISE_E10value_typeEPNSK_ISF_E10value_typeEPSG_NS1_7vsmem_tEENKUlT_SE_SF_SG_E_clIS8_S8_S9_S9_EESD_ST_SE_SF_SG_EUlST_E1_NS1_11comp_targetILNS1_3genE4ELNS1_11target_archE910ELNS1_3gpuE8ELNS1_3repE0EEENS1_36merge_oddeven_config_static_selectorELNS0_4arch9wavefront6targetE0EEEvSF_: ; @_ZN7rocprim17ROCPRIM_400000_NS6detail17trampoline_kernelINS0_14default_configENS1_38merge_sort_block_merge_config_selectorIjNS0_10empty_typeEEEZZNS1_27merge_sort_block_merge_implIS3_PjPS5_jNS1_19radix_merge_compareILb1ELb1EjNS0_19identity_decomposerEEEEE10hipError_tT0_T1_T2_jT3_P12ihipStream_tbPNSt15iterator_traitsISE_E10value_typeEPNSK_ISF_E10value_typeEPSG_NS1_7vsmem_tEENKUlT_SE_SF_SG_E_clIS8_S8_S9_S9_EESD_ST_SE_SF_SG_EUlST_E1_NS1_11comp_targetILNS1_3genE4ELNS1_11target_archE910ELNS1_3gpuE8ELNS1_3repE0EEENS1_36merge_oddeven_config_static_selectorELNS0_4arch9wavefront6targetE0EEEvSF_
; %bb.0:
	.section	.rodata,"a",@progbits
	.p2align	6, 0x0
	.amdhsa_kernel _ZN7rocprim17ROCPRIM_400000_NS6detail17trampoline_kernelINS0_14default_configENS1_38merge_sort_block_merge_config_selectorIjNS0_10empty_typeEEEZZNS1_27merge_sort_block_merge_implIS3_PjPS5_jNS1_19radix_merge_compareILb1ELb1EjNS0_19identity_decomposerEEEEE10hipError_tT0_T1_T2_jT3_P12ihipStream_tbPNSt15iterator_traitsISE_E10value_typeEPNSK_ISF_E10value_typeEPSG_NS1_7vsmem_tEENKUlT_SE_SF_SG_E_clIS8_S8_S9_S9_EESD_ST_SE_SF_SG_EUlST_E1_NS1_11comp_targetILNS1_3genE4ELNS1_11target_archE910ELNS1_3gpuE8ELNS1_3repE0EEENS1_36merge_oddeven_config_static_selectorELNS0_4arch9wavefront6targetE0EEEvSF_
		.amdhsa_group_segment_fixed_size 0
		.amdhsa_private_segment_fixed_size 0
		.amdhsa_kernarg_size 48
		.amdhsa_user_sgpr_count 2
		.amdhsa_user_sgpr_dispatch_ptr 0
		.amdhsa_user_sgpr_queue_ptr 0
		.amdhsa_user_sgpr_kernarg_segment_ptr 1
		.amdhsa_user_sgpr_dispatch_id 0
		.amdhsa_user_sgpr_kernarg_preload_length 0
		.amdhsa_user_sgpr_kernarg_preload_offset 0
		.amdhsa_user_sgpr_private_segment_size 0
		.amdhsa_wavefront_size32 1
		.amdhsa_uses_dynamic_stack 0
		.amdhsa_enable_private_segment 0
		.amdhsa_system_sgpr_workgroup_id_x 1
		.amdhsa_system_sgpr_workgroup_id_y 0
		.amdhsa_system_sgpr_workgroup_id_z 0
		.amdhsa_system_sgpr_workgroup_info 0
		.amdhsa_system_vgpr_workitem_id 0
		.amdhsa_next_free_vgpr 1
		.amdhsa_next_free_sgpr 1
		.amdhsa_named_barrier_count 0
		.amdhsa_reserve_vcc 0
		.amdhsa_float_round_mode_32 0
		.amdhsa_float_round_mode_16_64 0
		.amdhsa_float_denorm_mode_32 3
		.amdhsa_float_denorm_mode_16_64 3
		.amdhsa_fp16_overflow 0
		.amdhsa_memory_ordered 1
		.amdhsa_forward_progress 1
		.amdhsa_inst_pref_size 0
		.amdhsa_round_robin_scheduling 0
		.amdhsa_exception_fp_ieee_invalid_op 0
		.amdhsa_exception_fp_denorm_src 0
		.amdhsa_exception_fp_ieee_div_zero 0
		.amdhsa_exception_fp_ieee_overflow 0
		.amdhsa_exception_fp_ieee_underflow 0
		.amdhsa_exception_fp_ieee_inexact 0
		.amdhsa_exception_int_div_zero 0
	.end_amdhsa_kernel
	.section	.text._ZN7rocprim17ROCPRIM_400000_NS6detail17trampoline_kernelINS0_14default_configENS1_38merge_sort_block_merge_config_selectorIjNS0_10empty_typeEEEZZNS1_27merge_sort_block_merge_implIS3_PjPS5_jNS1_19radix_merge_compareILb1ELb1EjNS0_19identity_decomposerEEEEE10hipError_tT0_T1_T2_jT3_P12ihipStream_tbPNSt15iterator_traitsISE_E10value_typeEPNSK_ISF_E10value_typeEPSG_NS1_7vsmem_tEENKUlT_SE_SF_SG_E_clIS8_S8_S9_S9_EESD_ST_SE_SF_SG_EUlST_E1_NS1_11comp_targetILNS1_3genE4ELNS1_11target_archE910ELNS1_3gpuE8ELNS1_3repE0EEENS1_36merge_oddeven_config_static_selectorELNS0_4arch9wavefront6targetE0EEEvSF_,"axG",@progbits,_ZN7rocprim17ROCPRIM_400000_NS6detail17trampoline_kernelINS0_14default_configENS1_38merge_sort_block_merge_config_selectorIjNS0_10empty_typeEEEZZNS1_27merge_sort_block_merge_implIS3_PjPS5_jNS1_19radix_merge_compareILb1ELb1EjNS0_19identity_decomposerEEEEE10hipError_tT0_T1_T2_jT3_P12ihipStream_tbPNSt15iterator_traitsISE_E10value_typeEPNSK_ISF_E10value_typeEPSG_NS1_7vsmem_tEENKUlT_SE_SF_SG_E_clIS8_S8_S9_S9_EESD_ST_SE_SF_SG_EUlST_E1_NS1_11comp_targetILNS1_3genE4ELNS1_11target_archE910ELNS1_3gpuE8ELNS1_3repE0EEENS1_36merge_oddeven_config_static_selectorELNS0_4arch9wavefront6targetE0EEEvSF_,comdat
.Lfunc_end2602:
	.size	_ZN7rocprim17ROCPRIM_400000_NS6detail17trampoline_kernelINS0_14default_configENS1_38merge_sort_block_merge_config_selectorIjNS0_10empty_typeEEEZZNS1_27merge_sort_block_merge_implIS3_PjPS5_jNS1_19radix_merge_compareILb1ELb1EjNS0_19identity_decomposerEEEEE10hipError_tT0_T1_T2_jT3_P12ihipStream_tbPNSt15iterator_traitsISE_E10value_typeEPNSK_ISF_E10value_typeEPSG_NS1_7vsmem_tEENKUlT_SE_SF_SG_E_clIS8_S8_S9_S9_EESD_ST_SE_SF_SG_EUlST_E1_NS1_11comp_targetILNS1_3genE4ELNS1_11target_archE910ELNS1_3gpuE8ELNS1_3repE0EEENS1_36merge_oddeven_config_static_selectorELNS0_4arch9wavefront6targetE0EEEvSF_, .Lfunc_end2602-_ZN7rocprim17ROCPRIM_400000_NS6detail17trampoline_kernelINS0_14default_configENS1_38merge_sort_block_merge_config_selectorIjNS0_10empty_typeEEEZZNS1_27merge_sort_block_merge_implIS3_PjPS5_jNS1_19radix_merge_compareILb1ELb1EjNS0_19identity_decomposerEEEEE10hipError_tT0_T1_T2_jT3_P12ihipStream_tbPNSt15iterator_traitsISE_E10value_typeEPNSK_ISF_E10value_typeEPSG_NS1_7vsmem_tEENKUlT_SE_SF_SG_E_clIS8_S8_S9_S9_EESD_ST_SE_SF_SG_EUlST_E1_NS1_11comp_targetILNS1_3genE4ELNS1_11target_archE910ELNS1_3gpuE8ELNS1_3repE0EEENS1_36merge_oddeven_config_static_selectorELNS0_4arch9wavefront6targetE0EEEvSF_
                                        ; -- End function
	.set _ZN7rocprim17ROCPRIM_400000_NS6detail17trampoline_kernelINS0_14default_configENS1_38merge_sort_block_merge_config_selectorIjNS0_10empty_typeEEEZZNS1_27merge_sort_block_merge_implIS3_PjPS5_jNS1_19radix_merge_compareILb1ELb1EjNS0_19identity_decomposerEEEEE10hipError_tT0_T1_T2_jT3_P12ihipStream_tbPNSt15iterator_traitsISE_E10value_typeEPNSK_ISF_E10value_typeEPSG_NS1_7vsmem_tEENKUlT_SE_SF_SG_E_clIS8_S8_S9_S9_EESD_ST_SE_SF_SG_EUlST_E1_NS1_11comp_targetILNS1_3genE4ELNS1_11target_archE910ELNS1_3gpuE8ELNS1_3repE0EEENS1_36merge_oddeven_config_static_selectorELNS0_4arch9wavefront6targetE0EEEvSF_.num_vgpr, 0
	.set _ZN7rocprim17ROCPRIM_400000_NS6detail17trampoline_kernelINS0_14default_configENS1_38merge_sort_block_merge_config_selectorIjNS0_10empty_typeEEEZZNS1_27merge_sort_block_merge_implIS3_PjPS5_jNS1_19radix_merge_compareILb1ELb1EjNS0_19identity_decomposerEEEEE10hipError_tT0_T1_T2_jT3_P12ihipStream_tbPNSt15iterator_traitsISE_E10value_typeEPNSK_ISF_E10value_typeEPSG_NS1_7vsmem_tEENKUlT_SE_SF_SG_E_clIS8_S8_S9_S9_EESD_ST_SE_SF_SG_EUlST_E1_NS1_11comp_targetILNS1_3genE4ELNS1_11target_archE910ELNS1_3gpuE8ELNS1_3repE0EEENS1_36merge_oddeven_config_static_selectorELNS0_4arch9wavefront6targetE0EEEvSF_.num_agpr, 0
	.set _ZN7rocprim17ROCPRIM_400000_NS6detail17trampoline_kernelINS0_14default_configENS1_38merge_sort_block_merge_config_selectorIjNS0_10empty_typeEEEZZNS1_27merge_sort_block_merge_implIS3_PjPS5_jNS1_19radix_merge_compareILb1ELb1EjNS0_19identity_decomposerEEEEE10hipError_tT0_T1_T2_jT3_P12ihipStream_tbPNSt15iterator_traitsISE_E10value_typeEPNSK_ISF_E10value_typeEPSG_NS1_7vsmem_tEENKUlT_SE_SF_SG_E_clIS8_S8_S9_S9_EESD_ST_SE_SF_SG_EUlST_E1_NS1_11comp_targetILNS1_3genE4ELNS1_11target_archE910ELNS1_3gpuE8ELNS1_3repE0EEENS1_36merge_oddeven_config_static_selectorELNS0_4arch9wavefront6targetE0EEEvSF_.numbered_sgpr, 0
	.set _ZN7rocprim17ROCPRIM_400000_NS6detail17trampoline_kernelINS0_14default_configENS1_38merge_sort_block_merge_config_selectorIjNS0_10empty_typeEEEZZNS1_27merge_sort_block_merge_implIS3_PjPS5_jNS1_19radix_merge_compareILb1ELb1EjNS0_19identity_decomposerEEEEE10hipError_tT0_T1_T2_jT3_P12ihipStream_tbPNSt15iterator_traitsISE_E10value_typeEPNSK_ISF_E10value_typeEPSG_NS1_7vsmem_tEENKUlT_SE_SF_SG_E_clIS8_S8_S9_S9_EESD_ST_SE_SF_SG_EUlST_E1_NS1_11comp_targetILNS1_3genE4ELNS1_11target_archE910ELNS1_3gpuE8ELNS1_3repE0EEENS1_36merge_oddeven_config_static_selectorELNS0_4arch9wavefront6targetE0EEEvSF_.num_named_barrier, 0
	.set _ZN7rocprim17ROCPRIM_400000_NS6detail17trampoline_kernelINS0_14default_configENS1_38merge_sort_block_merge_config_selectorIjNS0_10empty_typeEEEZZNS1_27merge_sort_block_merge_implIS3_PjPS5_jNS1_19radix_merge_compareILb1ELb1EjNS0_19identity_decomposerEEEEE10hipError_tT0_T1_T2_jT3_P12ihipStream_tbPNSt15iterator_traitsISE_E10value_typeEPNSK_ISF_E10value_typeEPSG_NS1_7vsmem_tEENKUlT_SE_SF_SG_E_clIS8_S8_S9_S9_EESD_ST_SE_SF_SG_EUlST_E1_NS1_11comp_targetILNS1_3genE4ELNS1_11target_archE910ELNS1_3gpuE8ELNS1_3repE0EEENS1_36merge_oddeven_config_static_selectorELNS0_4arch9wavefront6targetE0EEEvSF_.private_seg_size, 0
	.set _ZN7rocprim17ROCPRIM_400000_NS6detail17trampoline_kernelINS0_14default_configENS1_38merge_sort_block_merge_config_selectorIjNS0_10empty_typeEEEZZNS1_27merge_sort_block_merge_implIS3_PjPS5_jNS1_19radix_merge_compareILb1ELb1EjNS0_19identity_decomposerEEEEE10hipError_tT0_T1_T2_jT3_P12ihipStream_tbPNSt15iterator_traitsISE_E10value_typeEPNSK_ISF_E10value_typeEPSG_NS1_7vsmem_tEENKUlT_SE_SF_SG_E_clIS8_S8_S9_S9_EESD_ST_SE_SF_SG_EUlST_E1_NS1_11comp_targetILNS1_3genE4ELNS1_11target_archE910ELNS1_3gpuE8ELNS1_3repE0EEENS1_36merge_oddeven_config_static_selectorELNS0_4arch9wavefront6targetE0EEEvSF_.uses_vcc, 0
	.set _ZN7rocprim17ROCPRIM_400000_NS6detail17trampoline_kernelINS0_14default_configENS1_38merge_sort_block_merge_config_selectorIjNS0_10empty_typeEEEZZNS1_27merge_sort_block_merge_implIS3_PjPS5_jNS1_19radix_merge_compareILb1ELb1EjNS0_19identity_decomposerEEEEE10hipError_tT0_T1_T2_jT3_P12ihipStream_tbPNSt15iterator_traitsISE_E10value_typeEPNSK_ISF_E10value_typeEPSG_NS1_7vsmem_tEENKUlT_SE_SF_SG_E_clIS8_S8_S9_S9_EESD_ST_SE_SF_SG_EUlST_E1_NS1_11comp_targetILNS1_3genE4ELNS1_11target_archE910ELNS1_3gpuE8ELNS1_3repE0EEENS1_36merge_oddeven_config_static_selectorELNS0_4arch9wavefront6targetE0EEEvSF_.uses_flat_scratch, 0
	.set _ZN7rocprim17ROCPRIM_400000_NS6detail17trampoline_kernelINS0_14default_configENS1_38merge_sort_block_merge_config_selectorIjNS0_10empty_typeEEEZZNS1_27merge_sort_block_merge_implIS3_PjPS5_jNS1_19radix_merge_compareILb1ELb1EjNS0_19identity_decomposerEEEEE10hipError_tT0_T1_T2_jT3_P12ihipStream_tbPNSt15iterator_traitsISE_E10value_typeEPNSK_ISF_E10value_typeEPSG_NS1_7vsmem_tEENKUlT_SE_SF_SG_E_clIS8_S8_S9_S9_EESD_ST_SE_SF_SG_EUlST_E1_NS1_11comp_targetILNS1_3genE4ELNS1_11target_archE910ELNS1_3gpuE8ELNS1_3repE0EEENS1_36merge_oddeven_config_static_selectorELNS0_4arch9wavefront6targetE0EEEvSF_.has_dyn_sized_stack, 0
	.set _ZN7rocprim17ROCPRIM_400000_NS6detail17trampoline_kernelINS0_14default_configENS1_38merge_sort_block_merge_config_selectorIjNS0_10empty_typeEEEZZNS1_27merge_sort_block_merge_implIS3_PjPS5_jNS1_19radix_merge_compareILb1ELb1EjNS0_19identity_decomposerEEEEE10hipError_tT0_T1_T2_jT3_P12ihipStream_tbPNSt15iterator_traitsISE_E10value_typeEPNSK_ISF_E10value_typeEPSG_NS1_7vsmem_tEENKUlT_SE_SF_SG_E_clIS8_S8_S9_S9_EESD_ST_SE_SF_SG_EUlST_E1_NS1_11comp_targetILNS1_3genE4ELNS1_11target_archE910ELNS1_3gpuE8ELNS1_3repE0EEENS1_36merge_oddeven_config_static_selectorELNS0_4arch9wavefront6targetE0EEEvSF_.has_recursion, 0
	.set _ZN7rocprim17ROCPRIM_400000_NS6detail17trampoline_kernelINS0_14default_configENS1_38merge_sort_block_merge_config_selectorIjNS0_10empty_typeEEEZZNS1_27merge_sort_block_merge_implIS3_PjPS5_jNS1_19radix_merge_compareILb1ELb1EjNS0_19identity_decomposerEEEEE10hipError_tT0_T1_T2_jT3_P12ihipStream_tbPNSt15iterator_traitsISE_E10value_typeEPNSK_ISF_E10value_typeEPSG_NS1_7vsmem_tEENKUlT_SE_SF_SG_E_clIS8_S8_S9_S9_EESD_ST_SE_SF_SG_EUlST_E1_NS1_11comp_targetILNS1_3genE4ELNS1_11target_archE910ELNS1_3gpuE8ELNS1_3repE0EEENS1_36merge_oddeven_config_static_selectorELNS0_4arch9wavefront6targetE0EEEvSF_.has_indirect_call, 0
	.section	.AMDGPU.csdata,"",@progbits
; Kernel info:
; codeLenInByte = 0
; TotalNumSgprs: 0
; NumVgprs: 0
; ScratchSize: 0
; MemoryBound: 0
; FloatMode: 240
; IeeeMode: 1
; LDSByteSize: 0 bytes/workgroup (compile time only)
; SGPRBlocks: 0
; VGPRBlocks: 0
; NumSGPRsForWavesPerEU: 1
; NumVGPRsForWavesPerEU: 1
; NamedBarCnt: 0
; Occupancy: 16
; WaveLimiterHint : 0
; COMPUTE_PGM_RSRC2:SCRATCH_EN: 0
; COMPUTE_PGM_RSRC2:USER_SGPR: 2
; COMPUTE_PGM_RSRC2:TRAP_HANDLER: 0
; COMPUTE_PGM_RSRC2:TGID_X_EN: 1
; COMPUTE_PGM_RSRC2:TGID_Y_EN: 0
; COMPUTE_PGM_RSRC2:TGID_Z_EN: 0
; COMPUTE_PGM_RSRC2:TIDIG_COMP_CNT: 0
	.section	.text._ZN7rocprim17ROCPRIM_400000_NS6detail17trampoline_kernelINS0_14default_configENS1_38merge_sort_block_merge_config_selectorIjNS0_10empty_typeEEEZZNS1_27merge_sort_block_merge_implIS3_PjPS5_jNS1_19radix_merge_compareILb1ELb1EjNS0_19identity_decomposerEEEEE10hipError_tT0_T1_T2_jT3_P12ihipStream_tbPNSt15iterator_traitsISE_E10value_typeEPNSK_ISF_E10value_typeEPSG_NS1_7vsmem_tEENKUlT_SE_SF_SG_E_clIS8_S8_S9_S9_EESD_ST_SE_SF_SG_EUlST_E1_NS1_11comp_targetILNS1_3genE3ELNS1_11target_archE908ELNS1_3gpuE7ELNS1_3repE0EEENS1_36merge_oddeven_config_static_selectorELNS0_4arch9wavefront6targetE0EEEvSF_,"axG",@progbits,_ZN7rocprim17ROCPRIM_400000_NS6detail17trampoline_kernelINS0_14default_configENS1_38merge_sort_block_merge_config_selectorIjNS0_10empty_typeEEEZZNS1_27merge_sort_block_merge_implIS3_PjPS5_jNS1_19radix_merge_compareILb1ELb1EjNS0_19identity_decomposerEEEEE10hipError_tT0_T1_T2_jT3_P12ihipStream_tbPNSt15iterator_traitsISE_E10value_typeEPNSK_ISF_E10value_typeEPSG_NS1_7vsmem_tEENKUlT_SE_SF_SG_E_clIS8_S8_S9_S9_EESD_ST_SE_SF_SG_EUlST_E1_NS1_11comp_targetILNS1_3genE3ELNS1_11target_archE908ELNS1_3gpuE7ELNS1_3repE0EEENS1_36merge_oddeven_config_static_selectorELNS0_4arch9wavefront6targetE0EEEvSF_,comdat
	.protected	_ZN7rocprim17ROCPRIM_400000_NS6detail17trampoline_kernelINS0_14default_configENS1_38merge_sort_block_merge_config_selectorIjNS0_10empty_typeEEEZZNS1_27merge_sort_block_merge_implIS3_PjPS5_jNS1_19radix_merge_compareILb1ELb1EjNS0_19identity_decomposerEEEEE10hipError_tT0_T1_T2_jT3_P12ihipStream_tbPNSt15iterator_traitsISE_E10value_typeEPNSK_ISF_E10value_typeEPSG_NS1_7vsmem_tEENKUlT_SE_SF_SG_E_clIS8_S8_S9_S9_EESD_ST_SE_SF_SG_EUlST_E1_NS1_11comp_targetILNS1_3genE3ELNS1_11target_archE908ELNS1_3gpuE7ELNS1_3repE0EEENS1_36merge_oddeven_config_static_selectorELNS0_4arch9wavefront6targetE0EEEvSF_ ; -- Begin function _ZN7rocprim17ROCPRIM_400000_NS6detail17trampoline_kernelINS0_14default_configENS1_38merge_sort_block_merge_config_selectorIjNS0_10empty_typeEEEZZNS1_27merge_sort_block_merge_implIS3_PjPS5_jNS1_19radix_merge_compareILb1ELb1EjNS0_19identity_decomposerEEEEE10hipError_tT0_T1_T2_jT3_P12ihipStream_tbPNSt15iterator_traitsISE_E10value_typeEPNSK_ISF_E10value_typeEPSG_NS1_7vsmem_tEENKUlT_SE_SF_SG_E_clIS8_S8_S9_S9_EESD_ST_SE_SF_SG_EUlST_E1_NS1_11comp_targetILNS1_3genE3ELNS1_11target_archE908ELNS1_3gpuE7ELNS1_3repE0EEENS1_36merge_oddeven_config_static_selectorELNS0_4arch9wavefront6targetE0EEEvSF_
	.globl	_ZN7rocprim17ROCPRIM_400000_NS6detail17trampoline_kernelINS0_14default_configENS1_38merge_sort_block_merge_config_selectorIjNS0_10empty_typeEEEZZNS1_27merge_sort_block_merge_implIS3_PjPS5_jNS1_19radix_merge_compareILb1ELb1EjNS0_19identity_decomposerEEEEE10hipError_tT0_T1_T2_jT3_P12ihipStream_tbPNSt15iterator_traitsISE_E10value_typeEPNSK_ISF_E10value_typeEPSG_NS1_7vsmem_tEENKUlT_SE_SF_SG_E_clIS8_S8_S9_S9_EESD_ST_SE_SF_SG_EUlST_E1_NS1_11comp_targetILNS1_3genE3ELNS1_11target_archE908ELNS1_3gpuE7ELNS1_3repE0EEENS1_36merge_oddeven_config_static_selectorELNS0_4arch9wavefront6targetE0EEEvSF_
	.p2align	8
	.type	_ZN7rocprim17ROCPRIM_400000_NS6detail17trampoline_kernelINS0_14default_configENS1_38merge_sort_block_merge_config_selectorIjNS0_10empty_typeEEEZZNS1_27merge_sort_block_merge_implIS3_PjPS5_jNS1_19radix_merge_compareILb1ELb1EjNS0_19identity_decomposerEEEEE10hipError_tT0_T1_T2_jT3_P12ihipStream_tbPNSt15iterator_traitsISE_E10value_typeEPNSK_ISF_E10value_typeEPSG_NS1_7vsmem_tEENKUlT_SE_SF_SG_E_clIS8_S8_S9_S9_EESD_ST_SE_SF_SG_EUlST_E1_NS1_11comp_targetILNS1_3genE3ELNS1_11target_archE908ELNS1_3gpuE7ELNS1_3repE0EEENS1_36merge_oddeven_config_static_selectorELNS0_4arch9wavefront6targetE0EEEvSF_,@function
_ZN7rocprim17ROCPRIM_400000_NS6detail17trampoline_kernelINS0_14default_configENS1_38merge_sort_block_merge_config_selectorIjNS0_10empty_typeEEEZZNS1_27merge_sort_block_merge_implIS3_PjPS5_jNS1_19radix_merge_compareILb1ELb1EjNS0_19identity_decomposerEEEEE10hipError_tT0_T1_T2_jT3_P12ihipStream_tbPNSt15iterator_traitsISE_E10value_typeEPNSK_ISF_E10value_typeEPSG_NS1_7vsmem_tEENKUlT_SE_SF_SG_E_clIS8_S8_S9_S9_EESD_ST_SE_SF_SG_EUlST_E1_NS1_11comp_targetILNS1_3genE3ELNS1_11target_archE908ELNS1_3gpuE7ELNS1_3repE0EEENS1_36merge_oddeven_config_static_selectorELNS0_4arch9wavefront6targetE0EEEvSF_: ; @_ZN7rocprim17ROCPRIM_400000_NS6detail17trampoline_kernelINS0_14default_configENS1_38merge_sort_block_merge_config_selectorIjNS0_10empty_typeEEEZZNS1_27merge_sort_block_merge_implIS3_PjPS5_jNS1_19radix_merge_compareILb1ELb1EjNS0_19identity_decomposerEEEEE10hipError_tT0_T1_T2_jT3_P12ihipStream_tbPNSt15iterator_traitsISE_E10value_typeEPNSK_ISF_E10value_typeEPSG_NS1_7vsmem_tEENKUlT_SE_SF_SG_E_clIS8_S8_S9_S9_EESD_ST_SE_SF_SG_EUlST_E1_NS1_11comp_targetILNS1_3genE3ELNS1_11target_archE908ELNS1_3gpuE7ELNS1_3repE0EEENS1_36merge_oddeven_config_static_selectorELNS0_4arch9wavefront6targetE0EEEvSF_
; %bb.0:
	.section	.rodata,"a",@progbits
	.p2align	6, 0x0
	.amdhsa_kernel _ZN7rocprim17ROCPRIM_400000_NS6detail17trampoline_kernelINS0_14default_configENS1_38merge_sort_block_merge_config_selectorIjNS0_10empty_typeEEEZZNS1_27merge_sort_block_merge_implIS3_PjPS5_jNS1_19radix_merge_compareILb1ELb1EjNS0_19identity_decomposerEEEEE10hipError_tT0_T1_T2_jT3_P12ihipStream_tbPNSt15iterator_traitsISE_E10value_typeEPNSK_ISF_E10value_typeEPSG_NS1_7vsmem_tEENKUlT_SE_SF_SG_E_clIS8_S8_S9_S9_EESD_ST_SE_SF_SG_EUlST_E1_NS1_11comp_targetILNS1_3genE3ELNS1_11target_archE908ELNS1_3gpuE7ELNS1_3repE0EEENS1_36merge_oddeven_config_static_selectorELNS0_4arch9wavefront6targetE0EEEvSF_
		.amdhsa_group_segment_fixed_size 0
		.amdhsa_private_segment_fixed_size 0
		.amdhsa_kernarg_size 48
		.amdhsa_user_sgpr_count 2
		.amdhsa_user_sgpr_dispatch_ptr 0
		.amdhsa_user_sgpr_queue_ptr 0
		.amdhsa_user_sgpr_kernarg_segment_ptr 1
		.amdhsa_user_sgpr_dispatch_id 0
		.amdhsa_user_sgpr_kernarg_preload_length 0
		.amdhsa_user_sgpr_kernarg_preload_offset 0
		.amdhsa_user_sgpr_private_segment_size 0
		.amdhsa_wavefront_size32 1
		.amdhsa_uses_dynamic_stack 0
		.amdhsa_enable_private_segment 0
		.amdhsa_system_sgpr_workgroup_id_x 1
		.amdhsa_system_sgpr_workgroup_id_y 0
		.amdhsa_system_sgpr_workgroup_id_z 0
		.amdhsa_system_sgpr_workgroup_info 0
		.amdhsa_system_vgpr_workitem_id 0
		.amdhsa_next_free_vgpr 1
		.amdhsa_next_free_sgpr 1
		.amdhsa_named_barrier_count 0
		.amdhsa_reserve_vcc 0
		.amdhsa_float_round_mode_32 0
		.amdhsa_float_round_mode_16_64 0
		.amdhsa_float_denorm_mode_32 3
		.amdhsa_float_denorm_mode_16_64 3
		.amdhsa_fp16_overflow 0
		.amdhsa_memory_ordered 1
		.amdhsa_forward_progress 1
		.amdhsa_inst_pref_size 0
		.amdhsa_round_robin_scheduling 0
		.amdhsa_exception_fp_ieee_invalid_op 0
		.amdhsa_exception_fp_denorm_src 0
		.amdhsa_exception_fp_ieee_div_zero 0
		.amdhsa_exception_fp_ieee_overflow 0
		.amdhsa_exception_fp_ieee_underflow 0
		.amdhsa_exception_fp_ieee_inexact 0
		.amdhsa_exception_int_div_zero 0
	.end_amdhsa_kernel
	.section	.text._ZN7rocprim17ROCPRIM_400000_NS6detail17trampoline_kernelINS0_14default_configENS1_38merge_sort_block_merge_config_selectorIjNS0_10empty_typeEEEZZNS1_27merge_sort_block_merge_implIS3_PjPS5_jNS1_19radix_merge_compareILb1ELb1EjNS0_19identity_decomposerEEEEE10hipError_tT0_T1_T2_jT3_P12ihipStream_tbPNSt15iterator_traitsISE_E10value_typeEPNSK_ISF_E10value_typeEPSG_NS1_7vsmem_tEENKUlT_SE_SF_SG_E_clIS8_S8_S9_S9_EESD_ST_SE_SF_SG_EUlST_E1_NS1_11comp_targetILNS1_3genE3ELNS1_11target_archE908ELNS1_3gpuE7ELNS1_3repE0EEENS1_36merge_oddeven_config_static_selectorELNS0_4arch9wavefront6targetE0EEEvSF_,"axG",@progbits,_ZN7rocprim17ROCPRIM_400000_NS6detail17trampoline_kernelINS0_14default_configENS1_38merge_sort_block_merge_config_selectorIjNS0_10empty_typeEEEZZNS1_27merge_sort_block_merge_implIS3_PjPS5_jNS1_19radix_merge_compareILb1ELb1EjNS0_19identity_decomposerEEEEE10hipError_tT0_T1_T2_jT3_P12ihipStream_tbPNSt15iterator_traitsISE_E10value_typeEPNSK_ISF_E10value_typeEPSG_NS1_7vsmem_tEENKUlT_SE_SF_SG_E_clIS8_S8_S9_S9_EESD_ST_SE_SF_SG_EUlST_E1_NS1_11comp_targetILNS1_3genE3ELNS1_11target_archE908ELNS1_3gpuE7ELNS1_3repE0EEENS1_36merge_oddeven_config_static_selectorELNS0_4arch9wavefront6targetE0EEEvSF_,comdat
.Lfunc_end2603:
	.size	_ZN7rocprim17ROCPRIM_400000_NS6detail17trampoline_kernelINS0_14default_configENS1_38merge_sort_block_merge_config_selectorIjNS0_10empty_typeEEEZZNS1_27merge_sort_block_merge_implIS3_PjPS5_jNS1_19radix_merge_compareILb1ELb1EjNS0_19identity_decomposerEEEEE10hipError_tT0_T1_T2_jT3_P12ihipStream_tbPNSt15iterator_traitsISE_E10value_typeEPNSK_ISF_E10value_typeEPSG_NS1_7vsmem_tEENKUlT_SE_SF_SG_E_clIS8_S8_S9_S9_EESD_ST_SE_SF_SG_EUlST_E1_NS1_11comp_targetILNS1_3genE3ELNS1_11target_archE908ELNS1_3gpuE7ELNS1_3repE0EEENS1_36merge_oddeven_config_static_selectorELNS0_4arch9wavefront6targetE0EEEvSF_, .Lfunc_end2603-_ZN7rocprim17ROCPRIM_400000_NS6detail17trampoline_kernelINS0_14default_configENS1_38merge_sort_block_merge_config_selectorIjNS0_10empty_typeEEEZZNS1_27merge_sort_block_merge_implIS3_PjPS5_jNS1_19radix_merge_compareILb1ELb1EjNS0_19identity_decomposerEEEEE10hipError_tT0_T1_T2_jT3_P12ihipStream_tbPNSt15iterator_traitsISE_E10value_typeEPNSK_ISF_E10value_typeEPSG_NS1_7vsmem_tEENKUlT_SE_SF_SG_E_clIS8_S8_S9_S9_EESD_ST_SE_SF_SG_EUlST_E1_NS1_11comp_targetILNS1_3genE3ELNS1_11target_archE908ELNS1_3gpuE7ELNS1_3repE0EEENS1_36merge_oddeven_config_static_selectorELNS0_4arch9wavefront6targetE0EEEvSF_
                                        ; -- End function
	.set _ZN7rocprim17ROCPRIM_400000_NS6detail17trampoline_kernelINS0_14default_configENS1_38merge_sort_block_merge_config_selectorIjNS0_10empty_typeEEEZZNS1_27merge_sort_block_merge_implIS3_PjPS5_jNS1_19radix_merge_compareILb1ELb1EjNS0_19identity_decomposerEEEEE10hipError_tT0_T1_T2_jT3_P12ihipStream_tbPNSt15iterator_traitsISE_E10value_typeEPNSK_ISF_E10value_typeEPSG_NS1_7vsmem_tEENKUlT_SE_SF_SG_E_clIS8_S8_S9_S9_EESD_ST_SE_SF_SG_EUlST_E1_NS1_11comp_targetILNS1_3genE3ELNS1_11target_archE908ELNS1_3gpuE7ELNS1_3repE0EEENS1_36merge_oddeven_config_static_selectorELNS0_4arch9wavefront6targetE0EEEvSF_.num_vgpr, 0
	.set _ZN7rocprim17ROCPRIM_400000_NS6detail17trampoline_kernelINS0_14default_configENS1_38merge_sort_block_merge_config_selectorIjNS0_10empty_typeEEEZZNS1_27merge_sort_block_merge_implIS3_PjPS5_jNS1_19radix_merge_compareILb1ELb1EjNS0_19identity_decomposerEEEEE10hipError_tT0_T1_T2_jT3_P12ihipStream_tbPNSt15iterator_traitsISE_E10value_typeEPNSK_ISF_E10value_typeEPSG_NS1_7vsmem_tEENKUlT_SE_SF_SG_E_clIS8_S8_S9_S9_EESD_ST_SE_SF_SG_EUlST_E1_NS1_11comp_targetILNS1_3genE3ELNS1_11target_archE908ELNS1_3gpuE7ELNS1_3repE0EEENS1_36merge_oddeven_config_static_selectorELNS0_4arch9wavefront6targetE0EEEvSF_.num_agpr, 0
	.set _ZN7rocprim17ROCPRIM_400000_NS6detail17trampoline_kernelINS0_14default_configENS1_38merge_sort_block_merge_config_selectorIjNS0_10empty_typeEEEZZNS1_27merge_sort_block_merge_implIS3_PjPS5_jNS1_19radix_merge_compareILb1ELb1EjNS0_19identity_decomposerEEEEE10hipError_tT0_T1_T2_jT3_P12ihipStream_tbPNSt15iterator_traitsISE_E10value_typeEPNSK_ISF_E10value_typeEPSG_NS1_7vsmem_tEENKUlT_SE_SF_SG_E_clIS8_S8_S9_S9_EESD_ST_SE_SF_SG_EUlST_E1_NS1_11comp_targetILNS1_3genE3ELNS1_11target_archE908ELNS1_3gpuE7ELNS1_3repE0EEENS1_36merge_oddeven_config_static_selectorELNS0_4arch9wavefront6targetE0EEEvSF_.numbered_sgpr, 0
	.set _ZN7rocprim17ROCPRIM_400000_NS6detail17trampoline_kernelINS0_14default_configENS1_38merge_sort_block_merge_config_selectorIjNS0_10empty_typeEEEZZNS1_27merge_sort_block_merge_implIS3_PjPS5_jNS1_19radix_merge_compareILb1ELb1EjNS0_19identity_decomposerEEEEE10hipError_tT0_T1_T2_jT3_P12ihipStream_tbPNSt15iterator_traitsISE_E10value_typeEPNSK_ISF_E10value_typeEPSG_NS1_7vsmem_tEENKUlT_SE_SF_SG_E_clIS8_S8_S9_S9_EESD_ST_SE_SF_SG_EUlST_E1_NS1_11comp_targetILNS1_3genE3ELNS1_11target_archE908ELNS1_3gpuE7ELNS1_3repE0EEENS1_36merge_oddeven_config_static_selectorELNS0_4arch9wavefront6targetE0EEEvSF_.num_named_barrier, 0
	.set _ZN7rocprim17ROCPRIM_400000_NS6detail17trampoline_kernelINS0_14default_configENS1_38merge_sort_block_merge_config_selectorIjNS0_10empty_typeEEEZZNS1_27merge_sort_block_merge_implIS3_PjPS5_jNS1_19radix_merge_compareILb1ELb1EjNS0_19identity_decomposerEEEEE10hipError_tT0_T1_T2_jT3_P12ihipStream_tbPNSt15iterator_traitsISE_E10value_typeEPNSK_ISF_E10value_typeEPSG_NS1_7vsmem_tEENKUlT_SE_SF_SG_E_clIS8_S8_S9_S9_EESD_ST_SE_SF_SG_EUlST_E1_NS1_11comp_targetILNS1_3genE3ELNS1_11target_archE908ELNS1_3gpuE7ELNS1_3repE0EEENS1_36merge_oddeven_config_static_selectorELNS0_4arch9wavefront6targetE0EEEvSF_.private_seg_size, 0
	.set _ZN7rocprim17ROCPRIM_400000_NS6detail17trampoline_kernelINS0_14default_configENS1_38merge_sort_block_merge_config_selectorIjNS0_10empty_typeEEEZZNS1_27merge_sort_block_merge_implIS3_PjPS5_jNS1_19radix_merge_compareILb1ELb1EjNS0_19identity_decomposerEEEEE10hipError_tT0_T1_T2_jT3_P12ihipStream_tbPNSt15iterator_traitsISE_E10value_typeEPNSK_ISF_E10value_typeEPSG_NS1_7vsmem_tEENKUlT_SE_SF_SG_E_clIS8_S8_S9_S9_EESD_ST_SE_SF_SG_EUlST_E1_NS1_11comp_targetILNS1_3genE3ELNS1_11target_archE908ELNS1_3gpuE7ELNS1_3repE0EEENS1_36merge_oddeven_config_static_selectorELNS0_4arch9wavefront6targetE0EEEvSF_.uses_vcc, 0
	.set _ZN7rocprim17ROCPRIM_400000_NS6detail17trampoline_kernelINS0_14default_configENS1_38merge_sort_block_merge_config_selectorIjNS0_10empty_typeEEEZZNS1_27merge_sort_block_merge_implIS3_PjPS5_jNS1_19radix_merge_compareILb1ELb1EjNS0_19identity_decomposerEEEEE10hipError_tT0_T1_T2_jT3_P12ihipStream_tbPNSt15iterator_traitsISE_E10value_typeEPNSK_ISF_E10value_typeEPSG_NS1_7vsmem_tEENKUlT_SE_SF_SG_E_clIS8_S8_S9_S9_EESD_ST_SE_SF_SG_EUlST_E1_NS1_11comp_targetILNS1_3genE3ELNS1_11target_archE908ELNS1_3gpuE7ELNS1_3repE0EEENS1_36merge_oddeven_config_static_selectorELNS0_4arch9wavefront6targetE0EEEvSF_.uses_flat_scratch, 0
	.set _ZN7rocprim17ROCPRIM_400000_NS6detail17trampoline_kernelINS0_14default_configENS1_38merge_sort_block_merge_config_selectorIjNS0_10empty_typeEEEZZNS1_27merge_sort_block_merge_implIS3_PjPS5_jNS1_19radix_merge_compareILb1ELb1EjNS0_19identity_decomposerEEEEE10hipError_tT0_T1_T2_jT3_P12ihipStream_tbPNSt15iterator_traitsISE_E10value_typeEPNSK_ISF_E10value_typeEPSG_NS1_7vsmem_tEENKUlT_SE_SF_SG_E_clIS8_S8_S9_S9_EESD_ST_SE_SF_SG_EUlST_E1_NS1_11comp_targetILNS1_3genE3ELNS1_11target_archE908ELNS1_3gpuE7ELNS1_3repE0EEENS1_36merge_oddeven_config_static_selectorELNS0_4arch9wavefront6targetE0EEEvSF_.has_dyn_sized_stack, 0
	.set _ZN7rocprim17ROCPRIM_400000_NS6detail17trampoline_kernelINS0_14default_configENS1_38merge_sort_block_merge_config_selectorIjNS0_10empty_typeEEEZZNS1_27merge_sort_block_merge_implIS3_PjPS5_jNS1_19radix_merge_compareILb1ELb1EjNS0_19identity_decomposerEEEEE10hipError_tT0_T1_T2_jT3_P12ihipStream_tbPNSt15iterator_traitsISE_E10value_typeEPNSK_ISF_E10value_typeEPSG_NS1_7vsmem_tEENKUlT_SE_SF_SG_E_clIS8_S8_S9_S9_EESD_ST_SE_SF_SG_EUlST_E1_NS1_11comp_targetILNS1_3genE3ELNS1_11target_archE908ELNS1_3gpuE7ELNS1_3repE0EEENS1_36merge_oddeven_config_static_selectorELNS0_4arch9wavefront6targetE0EEEvSF_.has_recursion, 0
	.set _ZN7rocprim17ROCPRIM_400000_NS6detail17trampoline_kernelINS0_14default_configENS1_38merge_sort_block_merge_config_selectorIjNS0_10empty_typeEEEZZNS1_27merge_sort_block_merge_implIS3_PjPS5_jNS1_19radix_merge_compareILb1ELb1EjNS0_19identity_decomposerEEEEE10hipError_tT0_T1_T2_jT3_P12ihipStream_tbPNSt15iterator_traitsISE_E10value_typeEPNSK_ISF_E10value_typeEPSG_NS1_7vsmem_tEENKUlT_SE_SF_SG_E_clIS8_S8_S9_S9_EESD_ST_SE_SF_SG_EUlST_E1_NS1_11comp_targetILNS1_3genE3ELNS1_11target_archE908ELNS1_3gpuE7ELNS1_3repE0EEENS1_36merge_oddeven_config_static_selectorELNS0_4arch9wavefront6targetE0EEEvSF_.has_indirect_call, 0
	.section	.AMDGPU.csdata,"",@progbits
; Kernel info:
; codeLenInByte = 0
; TotalNumSgprs: 0
; NumVgprs: 0
; ScratchSize: 0
; MemoryBound: 0
; FloatMode: 240
; IeeeMode: 1
; LDSByteSize: 0 bytes/workgroup (compile time only)
; SGPRBlocks: 0
; VGPRBlocks: 0
; NumSGPRsForWavesPerEU: 1
; NumVGPRsForWavesPerEU: 1
; NamedBarCnt: 0
; Occupancy: 16
; WaveLimiterHint : 0
; COMPUTE_PGM_RSRC2:SCRATCH_EN: 0
; COMPUTE_PGM_RSRC2:USER_SGPR: 2
; COMPUTE_PGM_RSRC2:TRAP_HANDLER: 0
; COMPUTE_PGM_RSRC2:TGID_X_EN: 1
; COMPUTE_PGM_RSRC2:TGID_Y_EN: 0
; COMPUTE_PGM_RSRC2:TGID_Z_EN: 0
; COMPUTE_PGM_RSRC2:TIDIG_COMP_CNT: 0
	.section	.text._ZN7rocprim17ROCPRIM_400000_NS6detail17trampoline_kernelINS0_14default_configENS1_38merge_sort_block_merge_config_selectorIjNS0_10empty_typeEEEZZNS1_27merge_sort_block_merge_implIS3_PjPS5_jNS1_19radix_merge_compareILb1ELb1EjNS0_19identity_decomposerEEEEE10hipError_tT0_T1_T2_jT3_P12ihipStream_tbPNSt15iterator_traitsISE_E10value_typeEPNSK_ISF_E10value_typeEPSG_NS1_7vsmem_tEENKUlT_SE_SF_SG_E_clIS8_S8_S9_S9_EESD_ST_SE_SF_SG_EUlST_E1_NS1_11comp_targetILNS1_3genE2ELNS1_11target_archE906ELNS1_3gpuE6ELNS1_3repE0EEENS1_36merge_oddeven_config_static_selectorELNS0_4arch9wavefront6targetE0EEEvSF_,"axG",@progbits,_ZN7rocprim17ROCPRIM_400000_NS6detail17trampoline_kernelINS0_14default_configENS1_38merge_sort_block_merge_config_selectorIjNS0_10empty_typeEEEZZNS1_27merge_sort_block_merge_implIS3_PjPS5_jNS1_19radix_merge_compareILb1ELb1EjNS0_19identity_decomposerEEEEE10hipError_tT0_T1_T2_jT3_P12ihipStream_tbPNSt15iterator_traitsISE_E10value_typeEPNSK_ISF_E10value_typeEPSG_NS1_7vsmem_tEENKUlT_SE_SF_SG_E_clIS8_S8_S9_S9_EESD_ST_SE_SF_SG_EUlST_E1_NS1_11comp_targetILNS1_3genE2ELNS1_11target_archE906ELNS1_3gpuE6ELNS1_3repE0EEENS1_36merge_oddeven_config_static_selectorELNS0_4arch9wavefront6targetE0EEEvSF_,comdat
	.protected	_ZN7rocprim17ROCPRIM_400000_NS6detail17trampoline_kernelINS0_14default_configENS1_38merge_sort_block_merge_config_selectorIjNS0_10empty_typeEEEZZNS1_27merge_sort_block_merge_implIS3_PjPS5_jNS1_19radix_merge_compareILb1ELb1EjNS0_19identity_decomposerEEEEE10hipError_tT0_T1_T2_jT3_P12ihipStream_tbPNSt15iterator_traitsISE_E10value_typeEPNSK_ISF_E10value_typeEPSG_NS1_7vsmem_tEENKUlT_SE_SF_SG_E_clIS8_S8_S9_S9_EESD_ST_SE_SF_SG_EUlST_E1_NS1_11comp_targetILNS1_3genE2ELNS1_11target_archE906ELNS1_3gpuE6ELNS1_3repE0EEENS1_36merge_oddeven_config_static_selectorELNS0_4arch9wavefront6targetE0EEEvSF_ ; -- Begin function _ZN7rocprim17ROCPRIM_400000_NS6detail17trampoline_kernelINS0_14default_configENS1_38merge_sort_block_merge_config_selectorIjNS0_10empty_typeEEEZZNS1_27merge_sort_block_merge_implIS3_PjPS5_jNS1_19radix_merge_compareILb1ELb1EjNS0_19identity_decomposerEEEEE10hipError_tT0_T1_T2_jT3_P12ihipStream_tbPNSt15iterator_traitsISE_E10value_typeEPNSK_ISF_E10value_typeEPSG_NS1_7vsmem_tEENKUlT_SE_SF_SG_E_clIS8_S8_S9_S9_EESD_ST_SE_SF_SG_EUlST_E1_NS1_11comp_targetILNS1_3genE2ELNS1_11target_archE906ELNS1_3gpuE6ELNS1_3repE0EEENS1_36merge_oddeven_config_static_selectorELNS0_4arch9wavefront6targetE0EEEvSF_
	.globl	_ZN7rocprim17ROCPRIM_400000_NS6detail17trampoline_kernelINS0_14default_configENS1_38merge_sort_block_merge_config_selectorIjNS0_10empty_typeEEEZZNS1_27merge_sort_block_merge_implIS3_PjPS5_jNS1_19radix_merge_compareILb1ELb1EjNS0_19identity_decomposerEEEEE10hipError_tT0_T1_T2_jT3_P12ihipStream_tbPNSt15iterator_traitsISE_E10value_typeEPNSK_ISF_E10value_typeEPSG_NS1_7vsmem_tEENKUlT_SE_SF_SG_E_clIS8_S8_S9_S9_EESD_ST_SE_SF_SG_EUlST_E1_NS1_11comp_targetILNS1_3genE2ELNS1_11target_archE906ELNS1_3gpuE6ELNS1_3repE0EEENS1_36merge_oddeven_config_static_selectorELNS0_4arch9wavefront6targetE0EEEvSF_
	.p2align	8
	.type	_ZN7rocprim17ROCPRIM_400000_NS6detail17trampoline_kernelINS0_14default_configENS1_38merge_sort_block_merge_config_selectorIjNS0_10empty_typeEEEZZNS1_27merge_sort_block_merge_implIS3_PjPS5_jNS1_19radix_merge_compareILb1ELb1EjNS0_19identity_decomposerEEEEE10hipError_tT0_T1_T2_jT3_P12ihipStream_tbPNSt15iterator_traitsISE_E10value_typeEPNSK_ISF_E10value_typeEPSG_NS1_7vsmem_tEENKUlT_SE_SF_SG_E_clIS8_S8_S9_S9_EESD_ST_SE_SF_SG_EUlST_E1_NS1_11comp_targetILNS1_3genE2ELNS1_11target_archE906ELNS1_3gpuE6ELNS1_3repE0EEENS1_36merge_oddeven_config_static_selectorELNS0_4arch9wavefront6targetE0EEEvSF_,@function
_ZN7rocprim17ROCPRIM_400000_NS6detail17trampoline_kernelINS0_14default_configENS1_38merge_sort_block_merge_config_selectorIjNS0_10empty_typeEEEZZNS1_27merge_sort_block_merge_implIS3_PjPS5_jNS1_19radix_merge_compareILb1ELb1EjNS0_19identity_decomposerEEEEE10hipError_tT0_T1_T2_jT3_P12ihipStream_tbPNSt15iterator_traitsISE_E10value_typeEPNSK_ISF_E10value_typeEPSG_NS1_7vsmem_tEENKUlT_SE_SF_SG_E_clIS8_S8_S9_S9_EESD_ST_SE_SF_SG_EUlST_E1_NS1_11comp_targetILNS1_3genE2ELNS1_11target_archE906ELNS1_3gpuE6ELNS1_3repE0EEENS1_36merge_oddeven_config_static_selectorELNS0_4arch9wavefront6targetE0EEEvSF_: ; @_ZN7rocprim17ROCPRIM_400000_NS6detail17trampoline_kernelINS0_14default_configENS1_38merge_sort_block_merge_config_selectorIjNS0_10empty_typeEEEZZNS1_27merge_sort_block_merge_implIS3_PjPS5_jNS1_19radix_merge_compareILb1ELb1EjNS0_19identity_decomposerEEEEE10hipError_tT0_T1_T2_jT3_P12ihipStream_tbPNSt15iterator_traitsISE_E10value_typeEPNSK_ISF_E10value_typeEPSG_NS1_7vsmem_tEENKUlT_SE_SF_SG_E_clIS8_S8_S9_S9_EESD_ST_SE_SF_SG_EUlST_E1_NS1_11comp_targetILNS1_3genE2ELNS1_11target_archE906ELNS1_3gpuE6ELNS1_3repE0EEENS1_36merge_oddeven_config_static_selectorELNS0_4arch9wavefront6targetE0EEEvSF_
; %bb.0:
	.section	.rodata,"a",@progbits
	.p2align	6, 0x0
	.amdhsa_kernel _ZN7rocprim17ROCPRIM_400000_NS6detail17trampoline_kernelINS0_14default_configENS1_38merge_sort_block_merge_config_selectorIjNS0_10empty_typeEEEZZNS1_27merge_sort_block_merge_implIS3_PjPS5_jNS1_19radix_merge_compareILb1ELb1EjNS0_19identity_decomposerEEEEE10hipError_tT0_T1_T2_jT3_P12ihipStream_tbPNSt15iterator_traitsISE_E10value_typeEPNSK_ISF_E10value_typeEPSG_NS1_7vsmem_tEENKUlT_SE_SF_SG_E_clIS8_S8_S9_S9_EESD_ST_SE_SF_SG_EUlST_E1_NS1_11comp_targetILNS1_3genE2ELNS1_11target_archE906ELNS1_3gpuE6ELNS1_3repE0EEENS1_36merge_oddeven_config_static_selectorELNS0_4arch9wavefront6targetE0EEEvSF_
		.amdhsa_group_segment_fixed_size 0
		.amdhsa_private_segment_fixed_size 0
		.amdhsa_kernarg_size 48
		.amdhsa_user_sgpr_count 2
		.amdhsa_user_sgpr_dispatch_ptr 0
		.amdhsa_user_sgpr_queue_ptr 0
		.amdhsa_user_sgpr_kernarg_segment_ptr 1
		.amdhsa_user_sgpr_dispatch_id 0
		.amdhsa_user_sgpr_kernarg_preload_length 0
		.amdhsa_user_sgpr_kernarg_preload_offset 0
		.amdhsa_user_sgpr_private_segment_size 0
		.amdhsa_wavefront_size32 1
		.amdhsa_uses_dynamic_stack 0
		.amdhsa_enable_private_segment 0
		.amdhsa_system_sgpr_workgroup_id_x 1
		.amdhsa_system_sgpr_workgroup_id_y 0
		.amdhsa_system_sgpr_workgroup_id_z 0
		.amdhsa_system_sgpr_workgroup_info 0
		.amdhsa_system_vgpr_workitem_id 0
		.amdhsa_next_free_vgpr 1
		.amdhsa_next_free_sgpr 1
		.amdhsa_named_barrier_count 0
		.amdhsa_reserve_vcc 0
		.amdhsa_float_round_mode_32 0
		.amdhsa_float_round_mode_16_64 0
		.amdhsa_float_denorm_mode_32 3
		.amdhsa_float_denorm_mode_16_64 3
		.amdhsa_fp16_overflow 0
		.amdhsa_memory_ordered 1
		.amdhsa_forward_progress 1
		.amdhsa_inst_pref_size 0
		.amdhsa_round_robin_scheduling 0
		.amdhsa_exception_fp_ieee_invalid_op 0
		.amdhsa_exception_fp_denorm_src 0
		.amdhsa_exception_fp_ieee_div_zero 0
		.amdhsa_exception_fp_ieee_overflow 0
		.amdhsa_exception_fp_ieee_underflow 0
		.amdhsa_exception_fp_ieee_inexact 0
		.amdhsa_exception_int_div_zero 0
	.end_amdhsa_kernel
	.section	.text._ZN7rocprim17ROCPRIM_400000_NS6detail17trampoline_kernelINS0_14default_configENS1_38merge_sort_block_merge_config_selectorIjNS0_10empty_typeEEEZZNS1_27merge_sort_block_merge_implIS3_PjPS5_jNS1_19radix_merge_compareILb1ELb1EjNS0_19identity_decomposerEEEEE10hipError_tT0_T1_T2_jT3_P12ihipStream_tbPNSt15iterator_traitsISE_E10value_typeEPNSK_ISF_E10value_typeEPSG_NS1_7vsmem_tEENKUlT_SE_SF_SG_E_clIS8_S8_S9_S9_EESD_ST_SE_SF_SG_EUlST_E1_NS1_11comp_targetILNS1_3genE2ELNS1_11target_archE906ELNS1_3gpuE6ELNS1_3repE0EEENS1_36merge_oddeven_config_static_selectorELNS0_4arch9wavefront6targetE0EEEvSF_,"axG",@progbits,_ZN7rocprim17ROCPRIM_400000_NS6detail17trampoline_kernelINS0_14default_configENS1_38merge_sort_block_merge_config_selectorIjNS0_10empty_typeEEEZZNS1_27merge_sort_block_merge_implIS3_PjPS5_jNS1_19radix_merge_compareILb1ELb1EjNS0_19identity_decomposerEEEEE10hipError_tT0_T1_T2_jT3_P12ihipStream_tbPNSt15iterator_traitsISE_E10value_typeEPNSK_ISF_E10value_typeEPSG_NS1_7vsmem_tEENKUlT_SE_SF_SG_E_clIS8_S8_S9_S9_EESD_ST_SE_SF_SG_EUlST_E1_NS1_11comp_targetILNS1_3genE2ELNS1_11target_archE906ELNS1_3gpuE6ELNS1_3repE0EEENS1_36merge_oddeven_config_static_selectorELNS0_4arch9wavefront6targetE0EEEvSF_,comdat
.Lfunc_end2604:
	.size	_ZN7rocprim17ROCPRIM_400000_NS6detail17trampoline_kernelINS0_14default_configENS1_38merge_sort_block_merge_config_selectorIjNS0_10empty_typeEEEZZNS1_27merge_sort_block_merge_implIS3_PjPS5_jNS1_19radix_merge_compareILb1ELb1EjNS0_19identity_decomposerEEEEE10hipError_tT0_T1_T2_jT3_P12ihipStream_tbPNSt15iterator_traitsISE_E10value_typeEPNSK_ISF_E10value_typeEPSG_NS1_7vsmem_tEENKUlT_SE_SF_SG_E_clIS8_S8_S9_S9_EESD_ST_SE_SF_SG_EUlST_E1_NS1_11comp_targetILNS1_3genE2ELNS1_11target_archE906ELNS1_3gpuE6ELNS1_3repE0EEENS1_36merge_oddeven_config_static_selectorELNS0_4arch9wavefront6targetE0EEEvSF_, .Lfunc_end2604-_ZN7rocprim17ROCPRIM_400000_NS6detail17trampoline_kernelINS0_14default_configENS1_38merge_sort_block_merge_config_selectorIjNS0_10empty_typeEEEZZNS1_27merge_sort_block_merge_implIS3_PjPS5_jNS1_19radix_merge_compareILb1ELb1EjNS0_19identity_decomposerEEEEE10hipError_tT0_T1_T2_jT3_P12ihipStream_tbPNSt15iterator_traitsISE_E10value_typeEPNSK_ISF_E10value_typeEPSG_NS1_7vsmem_tEENKUlT_SE_SF_SG_E_clIS8_S8_S9_S9_EESD_ST_SE_SF_SG_EUlST_E1_NS1_11comp_targetILNS1_3genE2ELNS1_11target_archE906ELNS1_3gpuE6ELNS1_3repE0EEENS1_36merge_oddeven_config_static_selectorELNS0_4arch9wavefront6targetE0EEEvSF_
                                        ; -- End function
	.set _ZN7rocprim17ROCPRIM_400000_NS6detail17trampoline_kernelINS0_14default_configENS1_38merge_sort_block_merge_config_selectorIjNS0_10empty_typeEEEZZNS1_27merge_sort_block_merge_implIS3_PjPS5_jNS1_19radix_merge_compareILb1ELb1EjNS0_19identity_decomposerEEEEE10hipError_tT0_T1_T2_jT3_P12ihipStream_tbPNSt15iterator_traitsISE_E10value_typeEPNSK_ISF_E10value_typeEPSG_NS1_7vsmem_tEENKUlT_SE_SF_SG_E_clIS8_S8_S9_S9_EESD_ST_SE_SF_SG_EUlST_E1_NS1_11comp_targetILNS1_3genE2ELNS1_11target_archE906ELNS1_3gpuE6ELNS1_3repE0EEENS1_36merge_oddeven_config_static_selectorELNS0_4arch9wavefront6targetE0EEEvSF_.num_vgpr, 0
	.set _ZN7rocprim17ROCPRIM_400000_NS6detail17trampoline_kernelINS0_14default_configENS1_38merge_sort_block_merge_config_selectorIjNS0_10empty_typeEEEZZNS1_27merge_sort_block_merge_implIS3_PjPS5_jNS1_19radix_merge_compareILb1ELb1EjNS0_19identity_decomposerEEEEE10hipError_tT0_T1_T2_jT3_P12ihipStream_tbPNSt15iterator_traitsISE_E10value_typeEPNSK_ISF_E10value_typeEPSG_NS1_7vsmem_tEENKUlT_SE_SF_SG_E_clIS8_S8_S9_S9_EESD_ST_SE_SF_SG_EUlST_E1_NS1_11comp_targetILNS1_3genE2ELNS1_11target_archE906ELNS1_3gpuE6ELNS1_3repE0EEENS1_36merge_oddeven_config_static_selectorELNS0_4arch9wavefront6targetE0EEEvSF_.num_agpr, 0
	.set _ZN7rocprim17ROCPRIM_400000_NS6detail17trampoline_kernelINS0_14default_configENS1_38merge_sort_block_merge_config_selectorIjNS0_10empty_typeEEEZZNS1_27merge_sort_block_merge_implIS3_PjPS5_jNS1_19radix_merge_compareILb1ELb1EjNS0_19identity_decomposerEEEEE10hipError_tT0_T1_T2_jT3_P12ihipStream_tbPNSt15iterator_traitsISE_E10value_typeEPNSK_ISF_E10value_typeEPSG_NS1_7vsmem_tEENKUlT_SE_SF_SG_E_clIS8_S8_S9_S9_EESD_ST_SE_SF_SG_EUlST_E1_NS1_11comp_targetILNS1_3genE2ELNS1_11target_archE906ELNS1_3gpuE6ELNS1_3repE0EEENS1_36merge_oddeven_config_static_selectorELNS0_4arch9wavefront6targetE0EEEvSF_.numbered_sgpr, 0
	.set _ZN7rocprim17ROCPRIM_400000_NS6detail17trampoline_kernelINS0_14default_configENS1_38merge_sort_block_merge_config_selectorIjNS0_10empty_typeEEEZZNS1_27merge_sort_block_merge_implIS3_PjPS5_jNS1_19radix_merge_compareILb1ELb1EjNS0_19identity_decomposerEEEEE10hipError_tT0_T1_T2_jT3_P12ihipStream_tbPNSt15iterator_traitsISE_E10value_typeEPNSK_ISF_E10value_typeEPSG_NS1_7vsmem_tEENKUlT_SE_SF_SG_E_clIS8_S8_S9_S9_EESD_ST_SE_SF_SG_EUlST_E1_NS1_11comp_targetILNS1_3genE2ELNS1_11target_archE906ELNS1_3gpuE6ELNS1_3repE0EEENS1_36merge_oddeven_config_static_selectorELNS0_4arch9wavefront6targetE0EEEvSF_.num_named_barrier, 0
	.set _ZN7rocprim17ROCPRIM_400000_NS6detail17trampoline_kernelINS0_14default_configENS1_38merge_sort_block_merge_config_selectorIjNS0_10empty_typeEEEZZNS1_27merge_sort_block_merge_implIS3_PjPS5_jNS1_19radix_merge_compareILb1ELb1EjNS0_19identity_decomposerEEEEE10hipError_tT0_T1_T2_jT3_P12ihipStream_tbPNSt15iterator_traitsISE_E10value_typeEPNSK_ISF_E10value_typeEPSG_NS1_7vsmem_tEENKUlT_SE_SF_SG_E_clIS8_S8_S9_S9_EESD_ST_SE_SF_SG_EUlST_E1_NS1_11comp_targetILNS1_3genE2ELNS1_11target_archE906ELNS1_3gpuE6ELNS1_3repE0EEENS1_36merge_oddeven_config_static_selectorELNS0_4arch9wavefront6targetE0EEEvSF_.private_seg_size, 0
	.set _ZN7rocprim17ROCPRIM_400000_NS6detail17trampoline_kernelINS0_14default_configENS1_38merge_sort_block_merge_config_selectorIjNS0_10empty_typeEEEZZNS1_27merge_sort_block_merge_implIS3_PjPS5_jNS1_19radix_merge_compareILb1ELb1EjNS0_19identity_decomposerEEEEE10hipError_tT0_T1_T2_jT3_P12ihipStream_tbPNSt15iterator_traitsISE_E10value_typeEPNSK_ISF_E10value_typeEPSG_NS1_7vsmem_tEENKUlT_SE_SF_SG_E_clIS8_S8_S9_S9_EESD_ST_SE_SF_SG_EUlST_E1_NS1_11comp_targetILNS1_3genE2ELNS1_11target_archE906ELNS1_3gpuE6ELNS1_3repE0EEENS1_36merge_oddeven_config_static_selectorELNS0_4arch9wavefront6targetE0EEEvSF_.uses_vcc, 0
	.set _ZN7rocprim17ROCPRIM_400000_NS6detail17trampoline_kernelINS0_14default_configENS1_38merge_sort_block_merge_config_selectorIjNS0_10empty_typeEEEZZNS1_27merge_sort_block_merge_implIS3_PjPS5_jNS1_19radix_merge_compareILb1ELb1EjNS0_19identity_decomposerEEEEE10hipError_tT0_T1_T2_jT3_P12ihipStream_tbPNSt15iterator_traitsISE_E10value_typeEPNSK_ISF_E10value_typeEPSG_NS1_7vsmem_tEENKUlT_SE_SF_SG_E_clIS8_S8_S9_S9_EESD_ST_SE_SF_SG_EUlST_E1_NS1_11comp_targetILNS1_3genE2ELNS1_11target_archE906ELNS1_3gpuE6ELNS1_3repE0EEENS1_36merge_oddeven_config_static_selectorELNS0_4arch9wavefront6targetE0EEEvSF_.uses_flat_scratch, 0
	.set _ZN7rocprim17ROCPRIM_400000_NS6detail17trampoline_kernelINS0_14default_configENS1_38merge_sort_block_merge_config_selectorIjNS0_10empty_typeEEEZZNS1_27merge_sort_block_merge_implIS3_PjPS5_jNS1_19radix_merge_compareILb1ELb1EjNS0_19identity_decomposerEEEEE10hipError_tT0_T1_T2_jT3_P12ihipStream_tbPNSt15iterator_traitsISE_E10value_typeEPNSK_ISF_E10value_typeEPSG_NS1_7vsmem_tEENKUlT_SE_SF_SG_E_clIS8_S8_S9_S9_EESD_ST_SE_SF_SG_EUlST_E1_NS1_11comp_targetILNS1_3genE2ELNS1_11target_archE906ELNS1_3gpuE6ELNS1_3repE0EEENS1_36merge_oddeven_config_static_selectorELNS0_4arch9wavefront6targetE0EEEvSF_.has_dyn_sized_stack, 0
	.set _ZN7rocprim17ROCPRIM_400000_NS6detail17trampoline_kernelINS0_14default_configENS1_38merge_sort_block_merge_config_selectorIjNS0_10empty_typeEEEZZNS1_27merge_sort_block_merge_implIS3_PjPS5_jNS1_19radix_merge_compareILb1ELb1EjNS0_19identity_decomposerEEEEE10hipError_tT0_T1_T2_jT3_P12ihipStream_tbPNSt15iterator_traitsISE_E10value_typeEPNSK_ISF_E10value_typeEPSG_NS1_7vsmem_tEENKUlT_SE_SF_SG_E_clIS8_S8_S9_S9_EESD_ST_SE_SF_SG_EUlST_E1_NS1_11comp_targetILNS1_3genE2ELNS1_11target_archE906ELNS1_3gpuE6ELNS1_3repE0EEENS1_36merge_oddeven_config_static_selectorELNS0_4arch9wavefront6targetE0EEEvSF_.has_recursion, 0
	.set _ZN7rocprim17ROCPRIM_400000_NS6detail17trampoline_kernelINS0_14default_configENS1_38merge_sort_block_merge_config_selectorIjNS0_10empty_typeEEEZZNS1_27merge_sort_block_merge_implIS3_PjPS5_jNS1_19radix_merge_compareILb1ELb1EjNS0_19identity_decomposerEEEEE10hipError_tT0_T1_T2_jT3_P12ihipStream_tbPNSt15iterator_traitsISE_E10value_typeEPNSK_ISF_E10value_typeEPSG_NS1_7vsmem_tEENKUlT_SE_SF_SG_E_clIS8_S8_S9_S9_EESD_ST_SE_SF_SG_EUlST_E1_NS1_11comp_targetILNS1_3genE2ELNS1_11target_archE906ELNS1_3gpuE6ELNS1_3repE0EEENS1_36merge_oddeven_config_static_selectorELNS0_4arch9wavefront6targetE0EEEvSF_.has_indirect_call, 0
	.section	.AMDGPU.csdata,"",@progbits
; Kernel info:
; codeLenInByte = 0
; TotalNumSgprs: 0
; NumVgprs: 0
; ScratchSize: 0
; MemoryBound: 0
; FloatMode: 240
; IeeeMode: 1
; LDSByteSize: 0 bytes/workgroup (compile time only)
; SGPRBlocks: 0
; VGPRBlocks: 0
; NumSGPRsForWavesPerEU: 1
; NumVGPRsForWavesPerEU: 1
; NamedBarCnt: 0
; Occupancy: 16
; WaveLimiterHint : 0
; COMPUTE_PGM_RSRC2:SCRATCH_EN: 0
; COMPUTE_PGM_RSRC2:USER_SGPR: 2
; COMPUTE_PGM_RSRC2:TRAP_HANDLER: 0
; COMPUTE_PGM_RSRC2:TGID_X_EN: 1
; COMPUTE_PGM_RSRC2:TGID_Y_EN: 0
; COMPUTE_PGM_RSRC2:TGID_Z_EN: 0
; COMPUTE_PGM_RSRC2:TIDIG_COMP_CNT: 0
	.section	.text._ZN7rocprim17ROCPRIM_400000_NS6detail17trampoline_kernelINS0_14default_configENS1_38merge_sort_block_merge_config_selectorIjNS0_10empty_typeEEEZZNS1_27merge_sort_block_merge_implIS3_PjPS5_jNS1_19radix_merge_compareILb1ELb1EjNS0_19identity_decomposerEEEEE10hipError_tT0_T1_T2_jT3_P12ihipStream_tbPNSt15iterator_traitsISE_E10value_typeEPNSK_ISF_E10value_typeEPSG_NS1_7vsmem_tEENKUlT_SE_SF_SG_E_clIS8_S8_S9_S9_EESD_ST_SE_SF_SG_EUlST_E1_NS1_11comp_targetILNS1_3genE9ELNS1_11target_archE1100ELNS1_3gpuE3ELNS1_3repE0EEENS1_36merge_oddeven_config_static_selectorELNS0_4arch9wavefront6targetE0EEEvSF_,"axG",@progbits,_ZN7rocprim17ROCPRIM_400000_NS6detail17trampoline_kernelINS0_14default_configENS1_38merge_sort_block_merge_config_selectorIjNS0_10empty_typeEEEZZNS1_27merge_sort_block_merge_implIS3_PjPS5_jNS1_19radix_merge_compareILb1ELb1EjNS0_19identity_decomposerEEEEE10hipError_tT0_T1_T2_jT3_P12ihipStream_tbPNSt15iterator_traitsISE_E10value_typeEPNSK_ISF_E10value_typeEPSG_NS1_7vsmem_tEENKUlT_SE_SF_SG_E_clIS8_S8_S9_S9_EESD_ST_SE_SF_SG_EUlST_E1_NS1_11comp_targetILNS1_3genE9ELNS1_11target_archE1100ELNS1_3gpuE3ELNS1_3repE0EEENS1_36merge_oddeven_config_static_selectorELNS0_4arch9wavefront6targetE0EEEvSF_,comdat
	.protected	_ZN7rocprim17ROCPRIM_400000_NS6detail17trampoline_kernelINS0_14default_configENS1_38merge_sort_block_merge_config_selectorIjNS0_10empty_typeEEEZZNS1_27merge_sort_block_merge_implIS3_PjPS5_jNS1_19radix_merge_compareILb1ELb1EjNS0_19identity_decomposerEEEEE10hipError_tT0_T1_T2_jT3_P12ihipStream_tbPNSt15iterator_traitsISE_E10value_typeEPNSK_ISF_E10value_typeEPSG_NS1_7vsmem_tEENKUlT_SE_SF_SG_E_clIS8_S8_S9_S9_EESD_ST_SE_SF_SG_EUlST_E1_NS1_11comp_targetILNS1_3genE9ELNS1_11target_archE1100ELNS1_3gpuE3ELNS1_3repE0EEENS1_36merge_oddeven_config_static_selectorELNS0_4arch9wavefront6targetE0EEEvSF_ ; -- Begin function _ZN7rocprim17ROCPRIM_400000_NS6detail17trampoline_kernelINS0_14default_configENS1_38merge_sort_block_merge_config_selectorIjNS0_10empty_typeEEEZZNS1_27merge_sort_block_merge_implIS3_PjPS5_jNS1_19radix_merge_compareILb1ELb1EjNS0_19identity_decomposerEEEEE10hipError_tT0_T1_T2_jT3_P12ihipStream_tbPNSt15iterator_traitsISE_E10value_typeEPNSK_ISF_E10value_typeEPSG_NS1_7vsmem_tEENKUlT_SE_SF_SG_E_clIS8_S8_S9_S9_EESD_ST_SE_SF_SG_EUlST_E1_NS1_11comp_targetILNS1_3genE9ELNS1_11target_archE1100ELNS1_3gpuE3ELNS1_3repE0EEENS1_36merge_oddeven_config_static_selectorELNS0_4arch9wavefront6targetE0EEEvSF_
	.globl	_ZN7rocprim17ROCPRIM_400000_NS6detail17trampoline_kernelINS0_14default_configENS1_38merge_sort_block_merge_config_selectorIjNS0_10empty_typeEEEZZNS1_27merge_sort_block_merge_implIS3_PjPS5_jNS1_19radix_merge_compareILb1ELb1EjNS0_19identity_decomposerEEEEE10hipError_tT0_T1_T2_jT3_P12ihipStream_tbPNSt15iterator_traitsISE_E10value_typeEPNSK_ISF_E10value_typeEPSG_NS1_7vsmem_tEENKUlT_SE_SF_SG_E_clIS8_S8_S9_S9_EESD_ST_SE_SF_SG_EUlST_E1_NS1_11comp_targetILNS1_3genE9ELNS1_11target_archE1100ELNS1_3gpuE3ELNS1_3repE0EEENS1_36merge_oddeven_config_static_selectorELNS0_4arch9wavefront6targetE0EEEvSF_
	.p2align	8
	.type	_ZN7rocprim17ROCPRIM_400000_NS6detail17trampoline_kernelINS0_14default_configENS1_38merge_sort_block_merge_config_selectorIjNS0_10empty_typeEEEZZNS1_27merge_sort_block_merge_implIS3_PjPS5_jNS1_19radix_merge_compareILb1ELb1EjNS0_19identity_decomposerEEEEE10hipError_tT0_T1_T2_jT3_P12ihipStream_tbPNSt15iterator_traitsISE_E10value_typeEPNSK_ISF_E10value_typeEPSG_NS1_7vsmem_tEENKUlT_SE_SF_SG_E_clIS8_S8_S9_S9_EESD_ST_SE_SF_SG_EUlST_E1_NS1_11comp_targetILNS1_3genE9ELNS1_11target_archE1100ELNS1_3gpuE3ELNS1_3repE0EEENS1_36merge_oddeven_config_static_selectorELNS0_4arch9wavefront6targetE0EEEvSF_,@function
_ZN7rocprim17ROCPRIM_400000_NS6detail17trampoline_kernelINS0_14default_configENS1_38merge_sort_block_merge_config_selectorIjNS0_10empty_typeEEEZZNS1_27merge_sort_block_merge_implIS3_PjPS5_jNS1_19radix_merge_compareILb1ELb1EjNS0_19identity_decomposerEEEEE10hipError_tT0_T1_T2_jT3_P12ihipStream_tbPNSt15iterator_traitsISE_E10value_typeEPNSK_ISF_E10value_typeEPSG_NS1_7vsmem_tEENKUlT_SE_SF_SG_E_clIS8_S8_S9_S9_EESD_ST_SE_SF_SG_EUlST_E1_NS1_11comp_targetILNS1_3genE9ELNS1_11target_archE1100ELNS1_3gpuE3ELNS1_3repE0EEENS1_36merge_oddeven_config_static_selectorELNS0_4arch9wavefront6targetE0EEEvSF_: ; @_ZN7rocprim17ROCPRIM_400000_NS6detail17trampoline_kernelINS0_14default_configENS1_38merge_sort_block_merge_config_selectorIjNS0_10empty_typeEEEZZNS1_27merge_sort_block_merge_implIS3_PjPS5_jNS1_19radix_merge_compareILb1ELb1EjNS0_19identity_decomposerEEEEE10hipError_tT0_T1_T2_jT3_P12ihipStream_tbPNSt15iterator_traitsISE_E10value_typeEPNSK_ISF_E10value_typeEPSG_NS1_7vsmem_tEENKUlT_SE_SF_SG_E_clIS8_S8_S9_S9_EESD_ST_SE_SF_SG_EUlST_E1_NS1_11comp_targetILNS1_3genE9ELNS1_11target_archE1100ELNS1_3gpuE3ELNS1_3repE0EEENS1_36merge_oddeven_config_static_selectorELNS0_4arch9wavefront6targetE0EEEvSF_
; %bb.0:
	.section	.rodata,"a",@progbits
	.p2align	6, 0x0
	.amdhsa_kernel _ZN7rocprim17ROCPRIM_400000_NS6detail17trampoline_kernelINS0_14default_configENS1_38merge_sort_block_merge_config_selectorIjNS0_10empty_typeEEEZZNS1_27merge_sort_block_merge_implIS3_PjPS5_jNS1_19radix_merge_compareILb1ELb1EjNS0_19identity_decomposerEEEEE10hipError_tT0_T1_T2_jT3_P12ihipStream_tbPNSt15iterator_traitsISE_E10value_typeEPNSK_ISF_E10value_typeEPSG_NS1_7vsmem_tEENKUlT_SE_SF_SG_E_clIS8_S8_S9_S9_EESD_ST_SE_SF_SG_EUlST_E1_NS1_11comp_targetILNS1_3genE9ELNS1_11target_archE1100ELNS1_3gpuE3ELNS1_3repE0EEENS1_36merge_oddeven_config_static_selectorELNS0_4arch9wavefront6targetE0EEEvSF_
		.amdhsa_group_segment_fixed_size 0
		.amdhsa_private_segment_fixed_size 0
		.amdhsa_kernarg_size 48
		.amdhsa_user_sgpr_count 2
		.amdhsa_user_sgpr_dispatch_ptr 0
		.amdhsa_user_sgpr_queue_ptr 0
		.amdhsa_user_sgpr_kernarg_segment_ptr 1
		.amdhsa_user_sgpr_dispatch_id 0
		.amdhsa_user_sgpr_kernarg_preload_length 0
		.amdhsa_user_sgpr_kernarg_preload_offset 0
		.amdhsa_user_sgpr_private_segment_size 0
		.amdhsa_wavefront_size32 1
		.amdhsa_uses_dynamic_stack 0
		.amdhsa_enable_private_segment 0
		.amdhsa_system_sgpr_workgroup_id_x 1
		.amdhsa_system_sgpr_workgroup_id_y 0
		.amdhsa_system_sgpr_workgroup_id_z 0
		.amdhsa_system_sgpr_workgroup_info 0
		.amdhsa_system_vgpr_workitem_id 0
		.amdhsa_next_free_vgpr 1
		.amdhsa_next_free_sgpr 1
		.amdhsa_named_barrier_count 0
		.amdhsa_reserve_vcc 0
		.amdhsa_float_round_mode_32 0
		.amdhsa_float_round_mode_16_64 0
		.amdhsa_float_denorm_mode_32 3
		.amdhsa_float_denorm_mode_16_64 3
		.amdhsa_fp16_overflow 0
		.amdhsa_memory_ordered 1
		.amdhsa_forward_progress 1
		.amdhsa_inst_pref_size 0
		.amdhsa_round_robin_scheduling 0
		.amdhsa_exception_fp_ieee_invalid_op 0
		.amdhsa_exception_fp_denorm_src 0
		.amdhsa_exception_fp_ieee_div_zero 0
		.amdhsa_exception_fp_ieee_overflow 0
		.amdhsa_exception_fp_ieee_underflow 0
		.amdhsa_exception_fp_ieee_inexact 0
		.amdhsa_exception_int_div_zero 0
	.end_amdhsa_kernel
	.section	.text._ZN7rocprim17ROCPRIM_400000_NS6detail17trampoline_kernelINS0_14default_configENS1_38merge_sort_block_merge_config_selectorIjNS0_10empty_typeEEEZZNS1_27merge_sort_block_merge_implIS3_PjPS5_jNS1_19radix_merge_compareILb1ELb1EjNS0_19identity_decomposerEEEEE10hipError_tT0_T1_T2_jT3_P12ihipStream_tbPNSt15iterator_traitsISE_E10value_typeEPNSK_ISF_E10value_typeEPSG_NS1_7vsmem_tEENKUlT_SE_SF_SG_E_clIS8_S8_S9_S9_EESD_ST_SE_SF_SG_EUlST_E1_NS1_11comp_targetILNS1_3genE9ELNS1_11target_archE1100ELNS1_3gpuE3ELNS1_3repE0EEENS1_36merge_oddeven_config_static_selectorELNS0_4arch9wavefront6targetE0EEEvSF_,"axG",@progbits,_ZN7rocprim17ROCPRIM_400000_NS6detail17trampoline_kernelINS0_14default_configENS1_38merge_sort_block_merge_config_selectorIjNS0_10empty_typeEEEZZNS1_27merge_sort_block_merge_implIS3_PjPS5_jNS1_19radix_merge_compareILb1ELb1EjNS0_19identity_decomposerEEEEE10hipError_tT0_T1_T2_jT3_P12ihipStream_tbPNSt15iterator_traitsISE_E10value_typeEPNSK_ISF_E10value_typeEPSG_NS1_7vsmem_tEENKUlT_SE_SF_SG_E_clIS8_S8_S9_S9_EESD_ST_SE_SF_SG_EUlST_E1_NS1_11comp_targetILNS1_3genE9ELNS1_11target_archE1100ELNS1_3gpuE3ELNS1_3repE0EEENS1_36merge_oddeven_config_static_selectorELNS0_4arch9wavefront6targetE0EEEvSF_,comdat
.Lfunc_end2605:
	.size	_ZN7rocprim17ROCPRIM_400000_NS6detail17trampoline_kernelINS0_14default_configENS1_38merge_sort_block_merge_config_selectorIjNS0_10empty_typeEEEZZNS1_27merge_sort_block_merge_implIS3_PjPS5_jNS1_19radix_merge_compareILb1ELb1EjNS0_19identity_decomposerEEEEE10hipError_tT0_T1_T2_jT3_P12ihipStream_tbPNSt15iterator_traitsISE_E10value_typeEPNSK_ISF_E10value_typeEPSG_NS1_7vsmem_tEENKUlT_SE_SF_SG_E_clIS8_S8_S9_S9_EESD_ST_SE_SF_SG_EUlST_E1_NS1_11comp_targetILNS1_3genE9ELNS1_11target_archE1100ELNS1_3gpuE3ELNS1_3repE0EEENS1_36merge_oddeven_config_static_selectorELNS0_4arch9wavefront6targetE0EEEvSF_, .Lfunc_end2605-_ZN7rocprim17ROCPRIM_400000_NS6detail17trampoline_kernelINS0_14default_configENS1_38merge_sort_block_merge_config_selectorIjNS0_10empty_typeEEEZZNS1_27merge_sort_block_merge_implIS3_PjPS5_jNS1_19radix_merge_compareILb1ELb1EjNS0_19identity_decomposerEEEEE10hipError_tT0_T1_T2_jT3_P12ihipStream_tbPNSt15iterator_traitsISE_E10value_typeEPNSK_ISF_E10value_typeEPSG_NS1_7vsmem_tEENKUlT_SE_SF_SG_E_clIS8_S8_S9_S9_EESD_ST_SE_SF_SG_EUlST_E1_NS1_11comp_targetILNS1_3genE9ELNS1_11target_archE1100ELNS1_3gpuE3ELNS1_3repE0EEENS1_36merge_oddeven_config_static_selectorELNS0_4arch9wavefront6targetE0EEEvSF_
                                        ; -- End function
	.set _ZN7rocprim17ROCPRIM_400000_NS6detail17trampoline_kernelINS0_14default_configENS1_38merge_sort_block_merge_config_selectorIjNS0_10empty_typeEEEZZNS1_27merge_sort_block_merge_implIS3_PjPS5_jNS1_19radix_merge_compareILb1ELb1EjNS0_19identity_decomposerEEEEE10hipError_tT0_T1_T2_jT3_P12ihipStream_tbPNSt15iterator_traitsISE_E10value_typeEPNSK_ISF_E10value_typeEPSG_NS1_7vsmem_tEENKUlT_SE_SF_SG_E_clIS8_S8_S9_S9_EESD_ST_SE_SF_SG_EUlST_E1_NS1_11comp_targetILNS1_3genE9ELNS1_11target_archE1100ELNS1_3gpuE3ELNS1_3repE0EEENS1_36merge_oddeven_config_static_selectorELNS0_4arch9wavefront6targetE0EEEvSF_.num_vgpr, 0
	.set _ZN7rocprim17ROCPRIM_400000_NS6detail17trampoline_kernelINS0_14default_configENS1_38merge_sort_block_merge_config_selectorIjNS0_10empty_typeEEEZZNS1_27merge_sort_block_merge_implIS3_PjPS5_jNS1_19radix_merge_compareILb1ELb1EjNS0_19identity_decomposerEEEEE10hipError_tT0_T1_T2_jT3_P12ihipStream_tbPNSt15iterator_traitsISE_E10value_typeEPNSK_ISF_E10value_typeEPSG_NS1_7vsmem_tEENKUlT_SE_SF_SG_E_clIS8_S8_S9_S9_EESD_ST_SE_SF_SG_EUlST_E1_NS1_11comp_targetILNS1_3genE9ELNS1_11target_archE1100ELNS1_3gpuE3ELNS1_3repE0EEENS1_36merge_oddeven_config_static_selectorELNS0_4arch9wavefront6targetE0EEEvSF_.num_agpr, 0
	.set _ZN7rocprim17ROCPRIM_400000_NS6detail17trampoline_kernelINS0_14default_configENS1_38merge_sort_block_merge_config_selectorIjNS0_10empty_typeEEEZZNS1_27merge_sort_block_merge_implIS3_PjPS5_jNS1_19radix_merge_compareILb1ELb1EjNS0_19identity_decomposerEEEEE10hipError_tT0_T1_T2_jT3_P12ihipStream_tbPNSt15iterator_traitsISE_E10value_typeEPNSK_ISF_E10value_typeEPSG_NS1_7vsmem_tEENKUlT_SE_SF_SG_E_clIS8_S8_S9_S9_EESD_ST_SE_SF_SG_EUlST_E1_NS1_11comp_targetILNS1_3genE9ELNS1_11target_archE1100ELNS1_3gpuE3ELNS1_3repE0EEENS1_36merge_oddeven_config_static_selectorELNS0_4arch9wavefront6targetE0EEEvSF_.numbered_sgpr, 0
	.set _ZN7rocprim17ROCPRIM_400000_NS6detail17trampoline_kernelINS0_14default_configENS1_38merge_sort_block_merge_config_selectorIjNS0_10empty_typeEEEZZNS1_27merge_sort_block_merge_implIS3_PjPS5_jNS1_19radix_merge_compareILb1ELb1EjNS0_19identity_decomposerEEEEE10hipError_tT0_T1_T2_jT3_P12ihipStream_tbPNSt15iterator_traitsISE_E10value_typeEPNSK_ISF_E10value_typeEPSG_NS1_7vsmem_tEENKUlT_SE_SF_SG_E_clIS8_S8_S9_S9_EESD_ST_SE_SF_SG_EUlST_E1_NS1_11comp_targetILNS1_3genE9ELNS1_11target_archE1100ELNS1_3gpuE3ELNS1_3repE0EEENS1_36merge_oddeven_config_static_selectorELNS0_4arch9wavefront6targetE0EEEvSF_.num_named_barrier, 0
	.set _ZN7rocprim17ROCPRIM_400000_NS6detail17trampoline_kernelINS0_14default_configENS1_38merge_sort_block_merge_config_selectorIjNS0_10empty_typeEEEZZNS1_27merge_sort_block_merge_implIS3_PjPS5_jNS1_19radix_merge_compareILb1ELb1EjNS0_19identity_decomposerEEEEE10hipError_tT0_T1_T2_jT3_P12ihipStream_tbPNSt15iterator_traitsISE_E10value_typeEPNSK_ISF_E10value_typeEPSG_NS1_7vsmem_tEENKUlT_SE_SF_SG_E_clIS8_S8_S9_S9_EESD_ST_SE_SF_SG_EUlST_E1_NS1_11comp_targetILNS1_3genE9ELNS1_11target_archE1100ELNS1_3gpuE3ELNS1_3repE0EEENS1_36merge_oddeven_config_static_selectorELNS0_4arch9wavefront6targetE0EEEvSF_.private_seg_size, 0
	.set _ZN7rocprim17ROCPRIM_400000_NS6detail17trampoline_kernelINS0_14default_configENS1_38merge_sort_block_merge_config_selectorIjNS0_10empty_typeEEEZZNS1_27merge_sort_block_merge_implIS3_PjPS5_jNS1_19radix_merge_compareILb1ELb1EjNS0_19identity_decomposerEEEEE10hipError_tT0_T1_T2_jT3_P12ihipStream_tbPNSt15iterator_traitsISE_E10value_typeEPNSK_ISF_E10value_typeEPSG_NS1_7vsmem_tEENKUlT_SE_SF_SG_E_clIS8_S8_S9_S9_EESD_ST_SE_SF_SG_EUlST_E1_NS1_11comp_targetILNS1_3genE9ELNS1_11target_archE1100ELNS1_3gpuE3ELNS1_3repE0EEENS1_36merge_oddeven_config_static_selectorELNS0_4arch9wavefront6targetE0EEEvSF_.uses_vcc, 0
	.set _ZN7rocprim17ROCPRIM_400000_NS6detail17trampoline_kernelINS0_14default_configENS1_38merge_sort_block_merge_config_selectorIjNS0_10empty_typeEEEZZNS1_27merge_sort_block_merge_implIS3_PjPS5_jNS1_19radix_merge_compareILb1ELb1EjNS0_19identity_decomposerEEEEE10hipError_tT0_T1_T2_jT3_P12ihipStream_tbPNSt15iterator_traitsISE_E10value_typeEPNSK_ISF_E10value_typeEPSG_NS1_7vsmem_tEENKUlT_SE_SF_SG_E_clIS8_S8_S9_S9_EESD_ST_SE_SF_SG_EUlST_E1_NS1_11comp_targetILNS1_3genE9ELNS1_11target_archE1100ELNS1_3gpuE3ELNS1_3repE0EEENS1_36merge_oddeven_config_static_selectorELNS0_4arch9wavefront6targetE0EEEvSF_.uses_flat_scratch, 0
	.set _ZN7rocprim17ROCPRIM_400000_NS6detail17trampoline_kernelINS0_14default_configENS1_38merge_sort_block_merge_config_selectorIjNS0_10empty_typeEEEZZNS1_27merge_sort_block_merge_implIS3_PjPS5_jNS1_19radix_merge_compareILb1ELb1EjNS0_19identity_decomposerEEEEE10hipError_tT0_T1_T2_jT3_P12ihipStream_tbPNSt15iterator_traitsISE_E10value_typeEPNSK_ISF_E10value_typeEPSG_NS1_7vsmem_tEENKUlT_SE_SF_SG_E_clIS8_S8_S9_S9_EESD_ST_SE_SF_SG_EUlST_E1_NS1_11comp_targetILNS1_3genE9ELNS1_11target_archE1100ELNS1_3gpuE3ELNS1_3repE0EEENS1_36merge_oddeven_config_static_selectorELNS0_4arch9wavefront6targetE0EEEvSF_.has_dyn_sized_stack, 0
	.set _ZN7rocprim17ROCPRIM_400000_NS6detail17trampoline_kernelINS0_14default_configENS1_38merge_sort_block_merge_config_selectorIjNS0_10empty_typeEEEZZNS1_27merge_sort_block_merge_implIS3_PjPS5_jNS1_19radix_merge_compareILb1ELb1EjNS0_19identity_decomposerEEEEE10hipError_tT0_T1_T2_jT3_P12ihipStream_tbPNSt15iterator_traitsISE_E10value_typeEPNSK_ISF_E10value_typeEPSG_NS1_7vsmem_tEENKUlT_SE_SF_SG_E_clIS8_S8_S9_S9_EESD_ST_SE_SF_SG_EUlST_E1_NS1_11comp_targetILNS1_3genE9ELNS1_11target_archE1100ELNS1_3gpuE3ELNS1_3repE0EEENS1_36merge_oddeven_config_static_selectorELNS0_4arch9wavefront6targetE0EEEvSF_.has_recursion, 0
	.set _ZN7rocprim17ROCPRIM_400000_NS6detail17trampoline_kernelINS0_14default_configENS1_38merge_sort_block_merge_config_selectorIjNS0_10empty_typeEEEZZNS1_27merge_sort_block_merge_implIS3_PjPS5_jNS1_19radix_merge_compareILb1ELb1EjNS0_19identity_decomposerEEEEE10hipError_tT0_T1_T2_jT3_P12ihipStream_tbPNSt15iterator_traitsISE_E10value_typeEPNSK_ISF_E10value_typeEPSG_NS1_7vsmem_tEENKUlT_SE_SF_SG_E_clIS8_S8_S9_S9_EESD_ST_SE_SF_SG_EUlST_E1_NS1_11comp_targetILNS1_3genE9ELNS1_11target_archE1100ELNS1_3gpuE3ELNS1_3repE0EEENS1_36merge_oddeven_config_static_selectorELNS0_4arch9wavefront6targetE0EEEvSF_.has_indirect_call, 0
	.section	.AMDGPU.csdata,"",@progbits
; Kernel info:
; codeLenInByte = 0
; TotalNumSgprs: 0
; NumVgprs: 0
; ScratchSize: 0
; MemoryBound: 0
; FloatMode: 240
; IeeeMode: 1
; LDSByteSize: 0 bytes/workgroup (compile time only)
; SGPRBlocks: 0
; VGPRBlocks: 0
; NumSGPRsForWavesPerEU: 1
; NumVGPRsForWavesPerEU: 1
; NamedBarCnt: 0
; Occupancy: 16
; WaveLimiterHint : 0
; COMPUTE_PGM_RSRC2:SCRATCH_EN: 0
; COMPUTE_PGM_RSRC2:USER_SGPR: 2
; COMPUTE_PGM_RSRC2:TRAP_HANDLER: 0
; COMPUTE_PGM_RSRC2:TGID_X_EN: 1
; COMPUTE_PGM_RSRC2:TGID_Y_EN: 0
; COMPUTE_PGM_RSRC2:TGID_Z_EN: 0
; COMPUTE_PGM_RSRC2:TIDIG_COMP_CNT: 0
	.section	.text._ZN7rocprim17ROCPRIM_400000_NS6detail17trampoline_kernelINS0_14default_configENS1_38merge_sort_block_merge_config_selectorIjNS0_10empty_typeEEEZZNS1_27merge_sort_block_merge_implIS3_PjPS5_jNS1_19radix_merge_compareILb1ELb1EjNS0_19identity_decomposerEEEEE10hipError_tT0_T1_T2_jT3_P12ihipStream_tbPNSt15iterator_traitsISE_E10value_typeEPNSK_ISF_E10value_typeEPSG_NS1_7vsmem_tEENKUlT_SE_SF_SG_E_clIS8_S8_S9_S9_EESD_ST_SE_SF_SG_EUlST_E1_NS1_11comp_targetILNS1_3genE8ELNS1_11target_archE1030ELNS1_3gpuE2ELNS1_3repE0EEENS1_36merge_oddeven_config_static_selectorELNS0_4arch9wavefront6targetE0EEEvSF_,"axG",@progbits,_ZN7rocprim17ROCPRIM_400000_NS6detail17trampoline_kernelINS0_14default_configENS1_38merge_sort_block_merge_config_selectorIjNS0_10empty_typeEEEZZNS1_27merge_sort_block_merge_implIS3_PjPS5_jNS1_19radix_merge_compareILb1ELb1EjNS0_19identity_decomposerEEEEE10hipError_tT0_T1_T2_jT3_P12ihipStream_tbPNSt15iterator_traitsISE_E10value_typeEPNSK_ISF_E10value_typeEPSG_NS1_7vsmem_tEENKUlT_SE_SF_SG_E_clIS8_S8_S9_S9_EESD_ST_SE_SF_SG_EUlST_E1_NS1_11comp_targetILNS1_3genE8ELNS1_11target_archE1030ELNS1_3gpuE2ELNS1_3repE0EEENS1_36merge_oddeven_config_static_selectorELNS0_4arch9wavefront6targetE0EEEvSF_,comdat
	.protected	_ZN7rocprim17ROCPRIM_400000_NS6detail17trampoline_kernelINS0_14default_configENS1_38merge_sort_block_merge_config_selectorIjNS0_10empty_typeEEEZZNS1_27merge_sort_block_merge_implIS3_PjPS5_jNS1_19radix_merge_compareILb1ELb1EjNS0_19identity_decomposerEEEEE10hipError_tT0_T1_T2_jT3_P12ihipStream_tbPNSt15iterator_traitsISE_E10value_typeEPNSK_ISF_E10value_typeEPSG_NS1_7vsmem_tEENKUlT_SE_SF_SG_E_clIS8_S8_S9_S9_EESD_ST_SE_SF_SG_EUlST_E1_NS1_11comp_targetILNS1_3genE8ELNS1_11target_archE1030ELNS1_3gpuE2ELNS1_3repE0EEENS1_36merge_oddeven_config_static_selectorELNS0_4arch9wavefront6targetE0EEEvSF_ ; -- Begin function _ZN7rocprim17ROCPRIM_400000_NS6detail17trampoline_kernelINS0_14default_configENS1_38merge_sort_block_merge_config_selectorIjNS0_10empty_typeEEEZZNS1_27merge_sort_block_merge_implIS3_PjPS5_jNS1_19radix_merge_compareILb1ELb1EjNS0_19identity_decomposerEEEEE10hipError_tT0_T1_T2_jT3_P12ihipStream_tbPNSt15iterator_traitsISE_E10value_typeEPNSK_ISF_E10value_typeEPSG_NS1_7vsmem_tEENKUlT_SE_SF_SG_E_clIS8_S8_S9_S9_EESD_ST_SE_SF_SG_EUlST_E1_NS1_11comp_targetILNS1_3genE8ELNS1_11target_archE1030ELNS1_3gpuE2ELNS1_3repE0EEENS1_36merge_oddeven_config_static_selectorELNS0_4arch9wavefront6targetE0EEEvSF_
	.globl	_ZN7rocprim17ROCPRIM_400000_NS6detail17trampoline_kernelINS0_14default_configENS1_38merge_sort_block_merge_config_selectorIjNS0_10empty_typeEEEZZNS1_27merge_sort_block_merge_implIS3_PjPS5_jNS1_19radix_merge_compareILb1ELb1EjNS0_19identity_decomposerEEEEE10hipError_tT0_T1_T2_jT3_P12ihipStream_tbPNSt15iterator_traitsISE_E10value_typeEPNSK_ISF_E10value_typeEPSG_NS1_7vsmem_tEENKUlT_SE_SF_SG_E_clIS8_S8_S9_S9_EESD_ST_SE_SF_SG_EUlST_E1_NS1_11comp_targetILNS1_3genE8ELNS1_11target_archE1030ELNS1_3gpuE2ELNS1_3repE0EEENS1_36merge_oddeven_config_static_selectorELNS0_4arch9wavefront6targetE0EEEvSF_
	.p2align	8
	.type	_ZN7rocprim17ROCPRIM_400000_NS6detail17trampoline_kernelINS0_14default_configENS1_38merge_sort_block_merge_config_selectorIjNS0_10empty_typeEEEZZNS1_27merge_sort_block_merge_implIS3_PjPS5_jNS1_19radix_merge_compareILb1ELb1EjNS0_19identity_decomposerEEEEE10hipError_tT0_T1_T2_jT3_P12ihipStream_tbPNSt15iterator_traitsISE_E10value_typeEPNSK_ISF_E10value_typeEPSG_NS1_7vsmem_tEENKUlT_SE_SF_SG_E_clIS8_S8_S9_S9_EESD_ST_SE_SF_SG_EUlST_E1_NS1_11comp_targetILNS1_3genE8ELNS1_11target_archE1030ELNS1_3gpuE2ELNS1_3repE0EEENS1_36merge_oddeven_config_static_selectorELNS0_4arch9wavefront6targetE0EEEvSF_,@function
_ZN7rocprim17ROCPRIM_400000_NS6detail17trampoline_kernelINS0_14default_configENS1_38merge_sort_block_merge_config_selectorIjNS0_10empty_typeEEEZZNS1_27merge_sort_block_merge_implIS3_PjPS5_jNS1_19radix_merge_compareILb1ELb1EjNS0_19identity_decomposerEEEEE10hipError_tT0_T1_T2_jT3_P12ihipStream_tbPNSt15iterator_traitsISE_E10value_typeEPNSK_ISF_E10value_typeEPSG_NS1_7vsmem_tEENKUlT_SE_SF_SG_E_clIS8_S8_S9_S9_EESD_ST_SE_SF_SG_EUlST_E1_NS1_11comp_targetILNS1_3genE8ELNS1_11target_archE1030ELNS1_3gpuE2ELNS1_3repE0EEENS1_36merge_oddeven_config_static_selectorELNS0_4arch9wavefront6targetE0EEEvSF_: ; @_ZN7rocprim17ROCPRIM_400000_NS6detail17trampoline_kernelINS0_14default_configENS1_38merge_sort_block_merge_config_selectorIjNS0_10empty_typeEEEZZNS1_27merge_sort_block_merge_implIS3_PjPS5_jNS1_19radix_merge_compareILb1ELb1EjNS0_19identity_decomposerEEEEE10hipError_tT0_T1_T2_jT3_P12ihipStream_tbPNSt15iterator_traitsISE_E10value_typeEPNSK_ISF_E10value_typeEPSG_NS1_7vsmem_tEENKUlT_SE_SF_SG_E_clIS8_S8_S9_S9_EESD_ST_SE_SF_SG_EUlST_E1_NS1_11comp_targetILNS1_3genE8ELNS1_11target_archE1030ELNS1_3gpuE2ELNS1_3repE0EEENS1_36merge_oddeven_config_static_selectorELNS0_4arch9wavefront6targetE0EEEvSF_
; %bb.0:
	.section	.rodata,"a",@progbits
	.p2align	6, 0x0
	.amdhsa_kernel _ZN7rocprim17ROCPRIM_400000_NS6detail17trampoline_kernelINS0_14default_configENS1_38merge_sort_block_merge_config_selectorIjNS0_10empty_typeEEEZZNS1_27merge_sort_block_merge_implIS3_PjPS5_jNS1_19radix_merge_compareILb1ELb1EjNS0_19identity_decomposerEEEEE10hipError_tT0_T1_T2_jT3_P12ihipStream_tbPNSt15iterator_traitsISE_E10value_typeEPNSK_ISF_E10value_typeEPSG_NS1_7vsmem_tEENKUlT_SE_SF_SG_E_clIS8_S8_S9_S9_EESD_ST_SE_SF_SG_EUlST_E1_NS1_11comp_targetILNS1_3genE8ELNS1_11target_archE1030ELNS1_3gpuE2ELNS1_3repE0EEENS1_36merge_oddeven_config_static_selectorELNS0_4arch9wavefront6targetE0EEEvSF_
		.amdhsa_group_segment_fixed_size 0
		.amdhsa_private_segment_fixed_size 0
		.amdhsa_kernarg_size 48
		.amdhsa_user_sgpr_count 2
		.amdhsa_user_sgpr_dispatch_ptr 0
		.amdhsa_user_sgpr_queue_ptr 0
		.amdhsa_user_sgpr_kernarg_segment_ptr 1
		.amdhsa_user_sgpr_dispatch_id 0
		.amdhsa_user_sgpr_kernarg_preload_length 0
		.amdhsa_user_sgpr_kernarg_preload_offset 0
		.amdhsa_user_sgpr_private_segment_size 0
		.amdhsa_wavefront_size32 1
		.amdhsa_uses_dynamic_stack 0
		.amdhsa_enable_private_segment 0
		.amdhsa_system_sgpr_workgroup_id_x 1
		.amdhsa_system_sgpr_workgroup_id_y 0
		.amdhsa_system_sgpr_workgroup_id_z 0
		.amdhsa_system_sgpr_workgroup_info 0
		.amdhsa_system_vgpr_workitem_id 0
		.amdhsa_next_free_vgpr 1
		.amdhsa_next_free_sgpr 1
		.amdhsa_named_barrier_count 0
		.amdhsa_reserve_vcc 0
		.amdhsa_float_round_mode_32 0
		.amdhsa_float_round_mode_16_64 0
		.amdhsa_float_denorm_mode_32 3
		.amdhsa_float_denorm_mode_16_64 3
		.amdhsa_fp16_overflow 0
		.amdhsa_memory_ordered 1
		.amdhsa_forward_progress 1
		.amdhsa_inst_pref_size 0
		.amdhsa_round_robin_scheduling 0
		.amdhsa_exception_fp_ieee_invalid_op 0
		.amdhsa_exception_fp_denorm_src 0
		.amdhsa_exception_fp_ieee_div_zero 0
		.amdhsa_exception_fp_ieee_overflow 0
		.amdhsa_exception_fp_ieee_underflow 0
		.amdhsa_exception_fp_ieee_inexact 0
		.amdhsa_exception_int_div_zero 0
	.end_amdhsa_kernel
	.section	.text._ZN7rocprim17ROCPRIM_400000_NS6detail17trampoline_kernelINS0_14default_configENS1_38merge_sort_block_merge_config_selectorIjNS0_10empty_typeEEEZZNS1_27merge_sort_block_merge_implIS3_PjPS5_jNS1_19radix_merge_compareILb1ELb1EjNS0_19identity_decomposerEEEEE10hipError_tT0_T1_T2_jT3_P12ihipStream_tbPNSt15iterator_traitsISE_E10value_typeEPNSK_ISF_E10value_typeEPSG_NS1_7vsmem_tEENKUlT_SE_SF_SG_E_clIS8_S8_S9_S9_EESD_ST_SE_SF_SG_EUlST_E1_NS1_11comp_targetILNS1_3genE8ELNS1_11target_archE1030ELNS1_3gpuE2ELNS1_3repE0EEENS1_36merge_oddeven_config_static_selectorELNS0_4arch9wavefront6targetE0EEEvSF_,"axG",@progbits,_ZN7rocprim17ROCPRIM_400000_NS6detail17trampoline_kernelINS0_14default_configENS1_38merge_sort_block_merge_config_selectorIjNS0_10empty_typeEEEZZNS1_27merge_sort_block_merge_implIS3_PjPS5_jNS1_19radix_merge_compareILb1ELb1EjNS0_19identity_decomposerEEEEE10hipError_tT0_T1_T2_jT3_P12ihipStream_tbPNSt15iterator_traitsISE_E10value_typeEPNSK_ISF_E10value_typeEPSG_NS1_7vsmem_tEENKUlT_SE_SF_SG_E_clIS8_S8_S9_S9_EESD_ST_SE_SF_SG_EUlST_E1_NS1_11comp_targetILNS1_3genE8ELNS1_11target_archE1030ELNS1_3gpuE2ELNS1_3repE0EEENS1_36merge_oddeven_config_static_selectorELNS0_4arch9wavefront6targetE0EEEvSF_,comdat
.Lfunc_end2606:
	.size	_ZN7rocprim17ROCPRIM_400000_NS6detail17trampoline_kernelINS0_14default_configENS1_38merge_sort_block_merge_config_selectorIjNS0_10empty_typeEEEZZNS1_27merge_sort_block_merge_implIS3_PjPS5_jNS1_19radix_merge_compareILb1ELb1EjNS0_19identity_decomposerEEEEE10hipError_tT0_T1_T2_jT3_P12ihipStream_tbPNSt15iterator_traitsISE_E10value_typeEPNSK_ISF_E10value_typeEPSG_NS1_7vsmem_tEENKUlT_SE_SF_SG_E_clIS8_S8_S9_S9_EESD_ST_SE_SF_SG_EUlST_E1_NS1_11comp_targetILNS1_3genE8ELNS1_11target_archE1030ELNS1_3gpuE2ELNS1_3repE0EEENS1_36merge_oddeven_config_static_selectorELNS0_4arch9wavefront6targetE0EEEvSF_, .Lfunc_end2606-_ZN7rocprim17ROCPRIM_400000_NS6detail17trampoline_kernelINS0_14default_configENS1_38merge_sort_block_merge_config_selectorIjNS0_10empty_typeEEEZZNS1_27merge_sort_block_merge_implIS3_PjPS5_jNS1_19radix_merge_compareILb1ELb1EjNS0_19identity_decomposerEEEEE10hipError_tT0_T1_T2_jT3_P12ihipStream_tbPNSt15iterator_traitsISE_E10value_typeEPNSK_ISF_E10value_typeEPSG_NS1_7vsmem_tEENKUlT_SE_SF_SG_E_clIS8_S8_S9_S9_EESD_ST_SE_SF_SG_EUlST_E1_NS1_11comp_targetILNS1_3genE8ELNS1_11target_archE1030ELNS1_3gpuE2ELNS1_3repE0EEENS1_36merge_oddeven_config_static_selectorELNS0_4arch9wavefront6targetE0EEEvSF_
                                        ; -- End function
	.set _ZN7rocprim17ROCPRIM_400000_NS6detail17trampoline_kernelINS0_14default_configENS1_38merge_sort_block_merge_config_selectorIjNS0_10empty_typeEEEZZNS1_27merge_sort_block_merge_implIS3_PjPS5_jNS1_19radix_merge_compareILb1ELb1EjNS0_19identity_decomposerEEEEE10hipError_tT0_T1_T2_jT3_P12ihipStream_tbPNSt15iterator_traitsISE_E10value_typeEPNSK_ISF_E10value_typeEPSG_NS1_7vsmem_tEENKUlT_SE_SF_SG_E_clIS8_S8_S9_S9_EESD_ST_SE_SF_SG_EUlST_E1_NS1_11comp_targetILNS1_3genE8ELNS1_11target_archE1030ELNS1_3gpuE2ELNS1_3repE0EEENS1_36merge_oddeven_config_static_selectorELNS0_4arch9wavefront6targetE0EEEvSF_.num_vgpr, 0
	.set _ZN7rocprim17ROCPRIM_400000_NS6detail17trampoline_kernelINS0_14default_configENS1_38merge_sort_block_merge_config_selectorIjNS0_10empty_typeEEEZZNS1_27merge_sort_block_merge_implIS3_PjPS5_jNS1_19radix_merge_compareILb1ELb1EjNS0_19identity_decomposerEEEEE10hipError_tT0_T1_T2_jT3_P12ihipStream_tbPNSt15iterator_traitsISE_E10value_typeEPNSK_ISF_E10value_typeEPSG_NS1_7vsmem_tEENKUlT_SE_SF_SG_E_clIS8_S8_S9_S9_EESD_ST_SE_SF_SG_EUlST_E1_NS1_11comp_targetILNS1_3genE8ELNS1_11target_archE1030ELNS1_3gpuE2ELNS1_3repE0EEENS1_36merge_oddeven_config_static_selectorELNS0_4arch9wavefront6targetE0EEEvSF_.num_agpr, 0
	.set _ZN7rocprim17ROCPRIM_400000_NS6detail17trampoline_kernelINS0_14default_configENS1_38merge_sort_block_merge_config_selectorIjNS0_10empty_typeEEEZZNS1_27merge_sort_block_merge_implIS3_PjPS5_jNS1_19radix_merge_compareILb1ELb1EjNS0_19identity_decomposerEEEEE10hipError_tT0_T1_T2_jT3_P12ihipStream_tbPNSt15iterator_traitsISE_E10value_typeEPNSK_ISF_E10value_typeEPSG_NS1_7vsmem_tEENKUlT_SE_SF_SG_E_clIS8_S8_S9_S9_EESD_ST_SE_SF_SG_EUlST_E1_NS1_11comp_targetILNS1_3genE8ELNS1_11target_archE1030ELNS1_3gpuE2ELNS1_3repE0EEENS1_36merge_oddeven_config_static_selectorELNS0_4arch9wavefront6targetE0EEEvSF_.numbered_sgpr, 0
	.set _ZN7rocprim17ROCPRIM_400000_NS6detail17trampoline_kernelINS0_14default_configENS1_38merge_sort_block_merge_config_selectorIjNS0_10empty_typeEEEZZNS1_27merge_sort_block_merge_implIS3_PjPS5_jNS1_19radix_merge_compareILb1ELb1EjNS0_19identity_decomposerEEEEE10hipError_tT0_T1_T2_jT3_P12ihipStream_tbPNSt15iterator_traitsISE_E10value_typeEPNSK_ISF_E10value_typeEPSG_NS1_7vsmem_tEENKUlT_SE_SF_SG_E_clIS8_S8_S9_S9_EESD_ST_SE_SF_SG_EUlST_E1_NS1_11comp_targetILNS1_3genE8ELNS1_11target_archE1030ELNS1_3gpuE2ELNS1_3repE0EEENS1_36merge_oddeven_config_static_selectorELNS0_4arch9wavefront6targetE0EEEvSF_.num_named_barrier, 0
	.set _ZN7rocprim17ROCPRIM_400000_NS6detail17trampoline_kernelINS0_14default_configENS1_38merge_sort_block_merge_config_selectorIjNS0_10empty_typeEEEZZNS1_27merge_sort_block_merge_implIS3_PjPS5_jNS1_19radix_merge_compareILb1ELb1EjNS0_19identity_decomposerEEEEE10hipError_tT0_T1_T2_jT3_P12ihipStream_tbPNSt15iterator_traitsISE_E10value_typeEPNSK_ISF_E10value_typeEPSG_NS1_7vsmem_tEENKUlT_SE_SF_SG_E_clIS8_S8_S9_S9_EESD_ST_SE_SF_SG_EUlST_E1_NS1_11comp_targetILNS1_3genE8ELNS1_11target_archE1030ELNS1_3gpuE2ELNS1_3repE0EEENS1_36merge_oddeven_config_static_selectorELNS0_4arch9wavefront6targetE0EEEvSF_.private_seg_size, 0
	.set _ZN7rocprim17ROCPRIM_400000_NS6detail17trampoline_kernelINS0_14default_configENS1_38merge_sort_block_merge_config_selectorIjNS0_10empty_typeEEEZZNS1_27merge_sort_block_merge_implIS3_PjPS5_jNS1_19radix_merge_compareILb1ELb1EjNS0_19identity_decomposerEEEEE10hipError_tT0_T1_T2_jT3_P12ihipStream_tbPNSt15iterator_traitsISE_E10value_typeEPNSK_ISF_E10value_typeEPSG_NS1_7vsmem_tEENKUlT_SE_SF_SG_E_clIS8_S8_S9_S9_EESD_ST_SE_SF_SG_EUlST_E1_NS1_11comp_targetILNS1_3genE8ELNS1_11target_archE1030ELNS1_3gpuE2ELNS1_3repE0EEENS1_36merge_oddeven_config_static_selectorELNS0_4arch9wavefront6targetE0EEEvSF_.uses_vcc, 0
	.set _ZN7rocprim17ROCPRIM_400000_NS6detail17trampoline_kernelINS0_14default_configENS1_38merge_sort_block_merge_config_selectorIjNS0_10empty_typeEEEZZNS1_27merge_sort_block_merge_implIS3_PjPS5_jNS1_19radix_merge_compareILb1ELb1EjNS0_19identity_decomposerEEEEE10hipError_tT0_T1_T2_jT3_P12ihipStream_tbPNSt15iterator_traitsISE_E10value_typeEPNSK_ISF_E10value_typeEPSG_NS1_7vsmem_tEENKUlT_SE_SF_SG_E_clIS8_S8_S9_S9_EESD_ST_SE_SF_SG_EUlST_E1_NS1_11comp_targetILNS1_3genE8ELNS1_11target_archE1030ELNS1_3gpuE2ELNS1_3repE0EEENS1_36merge_oddeven_config_static_selectorELNS0_4arch9wavefront6targetE0EEEvSF_.uses_flat_scratch, 0
	.set _ZN7rocprim17ROCPRIM_400000_NS6detail17trampoline_kernelINS0_14default_configENS1_38merge_sort_block_merge_config_selectorIjNS0_10empty_typeEEEZZNS1_27merge_sort_block_merge_implIS3_PjPS5_jNS1_19radix_merge_compareILb1ELb1EjNS0_19identity_decomposerEEEEE10hipError_tT0_T1_T2_jT3_P12ihipStream_tbPNSt15iterator_traitsISE_E10value_typeEPNSK_ISF_E10value_typeEPSG_NS1_7vsmem_tEENKUlT_SE_SF_SG_E_clIS8_S8_S9_S9_EESD_ST_SE_SF_SG_EUlST_E1_NS1_11comp_targetILNS1_3genE8ELNS1_11target_archE1030ELNS1_3gpuE2ELNS1_3repE0EEENS1_36merge_oddeven_config_static_selectorELNS0_4arch9wavefront6targetE0EEEvSF_.has_dyn_sized_stack, 0
	.set _ZN7rocprim17ROCPRIM_400000_NS6detail17trampoline_kernelINS0_14default_configENS1_38merge_sort_block_merge_config_selectorIjNS0_10empty_typeEEEZZNS1_27merge_sort_block_merge_implIS3_PjPS5_jNS1_19radix_merge_compareILb1ELb1EjNS0_19identity_decomposerEEEEE10hipError_tT0_T1_T2_jT3_P12ihipStream_tbPNSt15iterator_traitsISE_E10value_typeEPNSK_ISF_E10value_typeEPSG_NS1_7vsmem_tEENKUlT_SE_SF_SG_E_clIS8_S8_S9_S9_EESD_ST_SE_SF_SG_EUlST_E1_NS1_11comp_targetILNS1_3genE8ELNS1_11target_archE1030ELNS1_3gpuE2ELNS1_3repE0EEENS1_36merge_oddeven_config_static_selectorELNS0_4arch9wavefront6targetE0EEEvSF_.has_recursion, 0
	.set _ZN7rocprim17ROCPRIM_400000_NS6detail17trampoline_kernelINS0_14default_configENS1_38merge_sort_block_merge_config_selectorIjNS0_10empty_typeEEEZZNS1_27merge_sort_block_merge_implIS3_PjPS5_jNS1_19radix_merge_compareILb1ELb1EjNS0_19identity_decomposerEEEEE10hipError_tT0_T1_T2_jT3_P12ihipStream_tbPNSt15iterator_traitsISE_E10value_typeEPNSK_ISF_E10value_typeEPSG_NS1_7vsmem_tEENKUlT_SE_SF_SG_E_clIS8_S8_S9_S9_EESD_ST_SE_SF_SG_EUlST_E1_NS1_11comp_targetILNS1_3genE8ELNS1_11target_archE1030ELNS1_3gpuE2ELNS1_3repE0EEENS1_36merge_oddeven_config_static_selectorELNS0_4arch9wavefront6targetE0EEEvSF_.has_indirect_call, 0
	.section	.AMDGPU.csdata,"",@progbits
; Kernel info:
; codeLenInByte = 0
; TotalNumSgprs: 0
; NumVgprs: 0
; ScratchSize: 0
; MemoryBound: 0
; FloatMode: 240
; IeeeMode: 1
; LDSByteSize: 0 bytes/workgroup (compile time only)
; SGPRBlocks: 0
; VGPRBlocks: 0
; NumSGPRsForWavesPerEU: 1
; NumVGPRsForWavesPerEU: 1
; NamedBarCnt: 0
; Occupancy: 16
; WaveLimiterHint : 0
; COMPUTE_PGM_RSRC2:SCRATCH_EN: 0
; COMPUTE_PGM_RSRC2:USER_SGPR: 2
; COMPUTE_PGM_RSRC2:TRAP_HANDLER: 0
; COMPUTE_PGM_RSRC2:TGID_X_EN: 1
; COMPUTE_PGM_RSRC2:TGID_Y_EN: 0
; COMPUTE_PGM_RSRC2:TGID_Z_EN: 0
; COMPUTE_PGM_RSRC2:TIDIG_COMP_CNT: 0
	.section	.text._ZN7rocprim17ROCPRIM_400000_NS6detail17trampoline_kernelINS0_14default_configENS1_35radix_sort_onesweep_config_selectorIjNS0_10empty_typeEEEZNS1_34radix_sort_onesweep_global_offsetsIS3_Lb1EPKjPS5_mNS0_19identity_decomposerEEE10hipError_tT1_T2_PT3_SF_jT4_jjP12ihipStream_tbEUlT_E_NS1_11comp_targetILNS1_3genE0ELNS1_11target_archE4294967295ELNS1_3gpuE0ELNS1_3repE0EEENS1_52radix_sort_onesweep_histogram_config_static_selectorELNS0_4arch9wavefront6targetE0EEEvSD_,"axG",@progbits,_ZN7rocprim17ROCPRIM_400000_NS6detail17trampoline_kernelINS0_14default_configENS1_35radix_sort_onesweep_config_selectorIjNS0_10empty_typeEEEZNS1_34radix_sort_onesweep_global_offsetsIS3_Lb1EPKjPS5_mNS0_19identity_decomposerEEE10hipError_tT1_T2_PT3_SF_jT4_jjP12ihipStream_tbEUlT_E_NS1_11comp_targetILNS1_3genE0ELNS1_11target_archE4294967295ELNS1_3gpuE0ELNS1_3repE0EEENS1_52radix_sort_onesweep_histogram_config_static_selectorELNS0_4arch9wavefront6targetE0EEEvSD_,comdat
	.protected	_ZN7rocprim17ROCPRIM_400000_NS6detail17trampoline_kernelINS0_14default_configENS1_35radix_sort_onesweep_config_selectorIjNS0_10empty_typeEEEZNS1_34radix_sort_onesweep_global_offsetsIS3_Lb1EPKjPS5_mNS0_19identity_decomposerEEE10hipError_tT1_T2_PT3_SF_jT4_jjP12ihipStream_tbEUlT_E_NS1_11comp_targetILNS1_3genE0ELNS1_11target_archE4294967295ELNS1_3gpuE0ELNS1_3repE0EEENS1_52radix_sort_onesweep_histogram_config_static_selectorELNS0_4arch9wavefront6targetE0EEEvSD_ ; -- Begin function _ZN7rocprim17ROCPRIM_400000_NS6detail17trampoline_kernelINS0_14default_configENS1_35radix_sort_onesweep_config_selectorIjNS0_10empty_typeEEEZNS1_34radix_sort_onesweep_global_offsetsIS3_Lb1EPKjPS5_mNS0_19identity_decomposerEEE10hipError_tT1_T2_PT3_SF_jT4_jjP12ihipStream_tbEUlT_E_NS1_11comp_targetILNS1_3genE0ELNS1_11target_archE4294967295ELNS1_3gpuE0ELNS1_3repE0EEENS1_52radix_sort_onesweep_histogram_config_static_selectorELNS0_4arch9wavefront6targetE0EEEvSD_
	.globl	_ZN7rocprim17ROCPRIM_400000_NS6detail17trampoline_kernelINS0_14default_configENS1_35radix_sort_onesweep_config_selectorIjNS0_10empty_typeEEEZNS1_34radix_sort_onesweep_global_offsetsIS3_Lb1EPKjPS5_mNS0_19identity_decomposerEEE10hipError_tT1_T2_PT3_SF_jT4_jjP12ihipStream_tbEUlT_E_NS1_11comp_targetILNS1_3genE0ELNS1_11target_archE4294967295ELNS1_3gpuE0ELNS1_3repE0EEENS1_52radix_sort_onesweep_histogram_config_static_selectorELNS0_4arch9wavefront6targetE0EEEvSD_
	.p2align	8
	.type	_ZN7rocprim17ROCPRIM_400000_NS6detail17trampoline_kernelINS0_14default_configENS1_35radix_sort_onesweep_config_selectorIjNS0_10empty_typeEEEZNS1_34radix_sort_onesweep_global_offsetsIS3_Lb1EPKjPS5_mNS0_19identity_decomposerEEE10hipError_tT1_T2_PT3_SF_jT4_jjP12ihipStream_tbEUlT_E_NS1_11comp_targetILNS1_3genE0ELNS1_11target_archE4294967295ELNS1_3gpuE0ELNS1_3repE0EEENS1_52radix_sort_onesweep_histogram_config_static_selectorELNS0_4arch9wavefront6targetE0EEEvSD_,@function
_ZN7rocprim17ROCPRIM_400000_NS6detail17trampoline_kernelINS0_14default_configENS1_35radix_sort_onesweep_config_selectorIjNS0_10empty_typeEEEZNS1_34radix_sort_onesweep_global_offsetsIS3_Lb1EPKjPS5_mNS0_19identity_decomposerEEE10hipError_tT1_T2_PT3_SF_jT4_jjP12ihipStream_tbEUlT_E_NS1_11comp_targetILNS1_3genE0ELNS1_11target_archE4294967295ELNS1_3gpuE0ELNS1_3repE0EEENS1_52radix_sort_onesweep_histogram_config_static_selectorELNS0_4arch9wavefront6targetE0EEEvSD_: ; @_ZN7rocprim17ROCPRIM_400000_NS6detail17trampoline_kernelINS0_14default_configENS1_35radix_sort_onesweep_config_selectorIjNS0_10empty_typeEEEZNS1_34radix_sort_onesweep_global_offsetsIS3_Lb1EPKjPS5_mNS0_19identity_decomposerEEE10hipError_tT1_T2_PT3_SF_jT4_jjP12ihipStream_tbEUlT_E_NS1_11comp_targetILNS1_3genE0ELNS1_11target_archE4294967295ELNS1_3gpuE0ELNS1_3repE0EEENS1_52radix_sort_onesweep_histogram_config_static_selectorELNS0_4arch9wavefront6targetE0EEEvSD_
; %bb.0:
	s_clause 0x1
	s_load_b64 s[8:9], s[0:1], 0x18
	s_load_b128 s[4:7], s[0:1], 0x0
	s_bfe_u32 s10, ttmp6, 0x4000c
	s_load_b64 s[2:3], s[0:1], 0x24
	s_add_co_i32 s10, s10, 1
	s_and_b32 s11, ttmp6, 15
	s_mul_i32 s10, ttmp9, s10
	s_getreg_b32 s12, hwreg(HW_REG_IB_STS2, 6, 4)
	s_add_co_i32 s10, s11, s10
	s_cmp_eq_u32 s12, 0
	s_mov_b32 s11, 0
	s_cselect_b32 s10, ttmp9, s10
	s_wait_kmcnt 0x0
	v_cmp_le_u64_e64 s9, s[8:9], s[10:11]
	s_mul_u64 s[10:11], s[10:11], 0x6000
	s_delay_alu instid0(SALU_CYCLE_1)
	s_add_nc_u64 s[4:5], s[4:5], s[10:11]
	s_and_b32 vcc_lo, exec_lo, s9
	s_mov_b32 s9, -1
	s_cbranch_vccz .LBB2607_243
; %bb.1:
	s_load_b32 s1, s[0:1], 0x10
	s_wait_xcnt 0x0
	s_mul_i32 s0, s8, 0xffffe800
                                        ; implicit-def: $vgpr25
	s_wait_kmcnt 0x0
	s_add_co_i32 s1, s1, s0
	s_mov_b32 s0, exec_lo
	v_cmpx_gt_u32_e64 s1, v0
	s_cbranch_execz .LBB2607_3
; %bb.2:
	global_load_b32 v1, v0, s[4:5] scale_offset
	s_wait_loadcnt 0x0
	v_not_b32_e32 v25, v1
.LBB2607_3:
	s_or_b32 exec_lo, exec_lo, s0
	v_or_b32_e32 v24, 0x200, v0
	s_mov_b32 s0, exec_lo
                                        ; implicit-def: $vgpr23
	s_delay_alu instid0(VALU_DEP_1)
	v_cmpx_gt_u32_e64 s1, v24
	s_cbranch_execz .LBB2607_5
; %bb.4:
	global_load_b32 v1, v0, s[4:5] offset:2048 scale_offset
	s_wait_loadcnt 0x0
	v_not_b32_e32 v23, v1
.LBB2607_5:
	s_or_b32 exec_lo, exec_lo, s0
	v_or_b32_e32 v22, 0x400, v0
	s_mov_b32 s0, exec_lo
                                        ; implicit-def: $vgpr21
	s_delay_alu instid0(VALU_DEP_1)
	v_cmpx_gt_u32_e64 s1, v22
	s_cbranch_execz .LBB2607_7
; %bb.6:
	global_load_b32 v1, v0, s[4:5] offset:4096 scale_offset
	s_wait_loadcnt 0x0
	v_not_b32_e32 v21, v1
.LBB2607_7:
	s_or_b32 exec_lo, exec_lo, s0
	v_or_b32_e32 v20, 0x600, v0
	s_mov_b32 s0, exec_lo
                                        ; implicit-def: $vgpr19
	s_delay_alu instid0(VALU_DEP_1)
	v_cmpx_gt_u32_e64 s1, v20
	s_cbranch_execz .LBB2607_9
; %bb.8:
	global_load_b32 v1, v0, s[4:5] offset:6144 scale_offset
	s_wait_loadcnt 0x0
	v_not_b32_e32 v19, v1
.LBB2607_9:
	s_or_b32 exec_lo, exec_lo, s0
	v_or_b32_e32 v18, 0x800, v0
	s_mov_b32 s0, exec_lo
                                        ; implicit-def: $vgpr17
	s_delay_alu instid0(VALU_DEP_1)
	v_cmpx_gt_u32_e64 s1, v18
	s_cbranch_execz .LBB2607_11
; %bb.10:
	global_load_b32 v1, v0, s[4:5] offset:8192 scale_offset
	s_wait_loadcnt 0x0
	v_not_b32_e32 v17, v1
.LBB2607_11:
	s_or_b32 exec_lo, exec_lo, s0
	v_or_b32_e32 v16, 0xa00, v0
	s_mov_b32 s0, exec_lo
                                        ; implicit-def: $vgpr15
	s_delay_alu instid0(VALU_DEP_1)
	v_cmpx_gt_u32_e64 s1, v16
	s_cbranch_execz .LBB2607_13
; %bb.12:
	global_load_b32 v1, v0, s[4:5] offset:10240 scale_offset
	s_wait_loadcnt 0x0
	v_not_b32_e32 v15, v1
.LBB2607_13:
	s_or_b32 exec_lo, exec_lo, s0
	v_or_b32_e32 v14, 0xc00, v0
	s_mov_b32 s0, exec_lo
                                        ; implicit-def: $vgpr13
	s_delay_alu instid0(VALU_DEP_1)
	v_cmpx_gt_u32_e64 s1, v14
	s_cbranch_execz .LBB2607_15
; %bb.14:
	global_load_b32 v1, v0, s[4:5] offset:12288 scale_offset
	s_wait_loadcnt 0x0
	v_not_b32_e32 v13, v1
.LBB2607_15:
	s_or_b32 exec_lo, exec_lo, s0
	v_or_b32_e32 v12, 0xe00, v0
	s_mov_b32 s0, exec_lo
                                        ; implicit-def: $vgpr11
	s_delay_alu instid0(VALU_DEP_1)
	v_cmpx_gt_u32_e64 s1, v12
	s_cbranch_execz .LBB2607_17
; %bb.16:
	global_load_b32 v1, v0, s[4:5] offset:14336 scale_offset
	s_wait_loadcnt 0x0
	v_not_b32_e32 v11, v1
.LBB2607_17:
	s_or_b32 exec_lo, exec_lo, s0
	v_or_b32_e32 v10, 0x1000, v0
	s_mov_b32 s0, exec_lo
                                        ; implicit-def: $vgpr9
	s_delay_alu instid0(VALU_DEP_1)
	v_cmpx_gt_u32_e64 s1, v10
	s_cbranch_execz .LBB2607_19
; %bb.18:
	global_load_b32 v1, v0, s[4:5] offset:16384 scale_offset
	s_wait_loadcnt 0x0
	v_not_b32_e32 v9, v1
.LBB2607_19:
	s_or_b32 exec_lo, exec_lo, s0
	v_or_b32_e32 v8, 0x1200, v0
	s_mov_b32 s0, exec_lo
                                        ; implicit-def: $vgpr7
	s_delay_alu instid0(VALU_DEP_1)
	v_cmpx_gt_u32_e64 s1, v8
	s_cbranch_execz .LBB2607_21
; %bb.20:
	global_load_b32 v1, v0, s[4:5] offset:18432 scale_offset
	s_wait_loadcnt 0x0
	v_not_b32_e32 v7, v1
.LBB2607_21:
	s_or_b32 exec_lo, exec_lo, s0
	v_or_b32_e32 v6, 0x1400, v0
	s_mov_b32 s0, exec_lo
                                        ; implicit-def: $vgpr5
	s_delay_alu instid0(VALU_DEP_1)
	v_cmpx_gt_u32_e64 s1, v6
	s_cbranch_execz .LBB2607_23
; %bb.22:
	global_load_b32 v1, v0, s[4:5] offset:20480 scale_offset
	s_wait_loadcnt 0x0
	v_not_b32_e32 v5, v1
.LBB2607_23:
	s_or_b32 exec_lo, exec_lo, s0
	v_or_b32_e32 v4, 0x1600, v0
	s_mov_b32 s0, exec_lo
                                        ; implicit-def: $vgpr2
	s_delay_alu instid0(VALU_DEP_1)
	v_cmpx_gt_u32_e64 s1, v4
	s_cbranch_execz .LBB2607_25
; %bb.24:
	global_load_b32 v1, v0, s[4:5] offset:22528 scale_offset
	s_wait_loadcnt 0x0
	v_not_b32_e32 v2, v1
.LBB2607_25:
	s_or_b32 exec_lo, exec_lo, s0
	v_dual_lshlrev_b32 v1, 2, v0 :: v_dual_mov_b32 v3, 0
	s_mov_b32 s0, -1
	ds_store_2addr_stride64_b32 v1, v3, v3 offset1:8
	ds_store_2addr_stride64_b32 v1, v3, v3 offset0:16 offset1:24
	s_and_saveexec_b32 s8, s0
; %bb.26:
	ds_store_b32 v1, v3 offset:8192
; %bb.27:
	s_or_b32 exec_lo, exec_lo, s8
	s_and_saveexec_b32 s8, s0
; %bb.28:
	v_mov_b32_e32 v3, 0
	ds_store_b32 v1, v3 offset:10240
; %bb.29:
	s_or_b32 exec_lo, exec_lo, s8
	v_cmp_gt_u32_e64 s0, 7, 6
	s_mov_b32 s8, exec_lo
	v_cmpx_gt_u32_e64 7, 5
; %bb.30:
	v_mov_b32_e32 v3, 0
	ds_store_b32 v1, v3 offset:12288
; %bb.31:
	s_or_b32 exec_lo, exec_lo, s8
	s_and_saveexec_b32 s8, s0
; %bb.32:
	v_mov_b32_e32 v3, 0
	ds_store_b32 v1, v3 offset:14336
; %bb.33:
	s_or_b32 exec_lo, exec_lo, s8
	s_cmp_le_u32 s3, s2
	v_cmp_le_u32_e32 vcc_lo, s1, v0
	s_cselect_b32 s8, -1, 0
	s_wait_dscnt 0x0
	s_and_b32 s0, s8, exec_lo
	s_cselect_b32 s9, 8, 10
	s_delay_alu instid0(SALU_CYCLE_1)
	v_dual_mov_b32 v26, s9 :: v_dual_bitop2_b32 v3, 3, v0 bitop3:0x40
	s_nor_b32 s10, s8, vcc_lo
	s_barrier_signal -1
	s_barrier_wait -1
	s_and_saveexec_b32 s0, s10
	s_cbranch_execz .LBB2607_35
; %bb.34:
	v_dual_lshrrev_b32 v26, s2, v25 :: v_dual_lshlrev_b32 v27, 2, v3
	s_sub_co_i32 s10, s3, s2
	s_delay_alu instid0(SALU_CYCLE_1)
	s_min_u32 s10, s10, 8
	s_delay_alu instid0(VALU_DEP_1) | instid1(SALU_CYCLE_1)
	v_bfe_u32 v26, v26, 0, s10
	s_delay_alu instid0(VALU_DEP_1)
	v_lshl_or_b32 v26, v26, 4, v27
	v_mov_b32_e32 v27, 1
	ds_add_u32 v26, v27
	v_mov_b32_e32 v26, 0
.LBB2607_35:
	s_or_b32 exec_lo, exec_lo, s0
	s_mov_b32 s11, -1
	s_mov_b32 s10, exec_lo
	s_delay_alu instid0(VALU_DEP_1)
	v_cmpx_gt_i32_e32 10, v26
; %bb.36:
	v_cmp_eq_u32_e64 s0, 0, v26
	s_or_not1_b32 s11, s0, exec_lo
; %bb.37:
	s_or_b32 exec_lo, exec_lo, s10
	s_and_saveexec_b32 s10, s11
	s_cbranch_execz .LBB2607_50
; %bb.38:
	s_add_co_i32 s11, s2, 8
	s_delay_alu instid0(SALU_CYCLE_1) | instskip(SKIP_1) | instid1(SALU_CYCLE_1)
	s_cmp_le_u32 s3, s11
	s_cselect_b32 s0, -1, 0
	s_and_b32 s12, s0, exec_lo
	s_cselect_b32 s12, 8, 10
	s_delay_alu instid0(SALU_CYCLE_1) | instskip(SKIP_1) | instid1(SALU_CYCLE_1)
	v_mov_b32_e32 v26, s12
	s_nor_b32 s12, s0, vcc_lo
	s_and_saveexec_b32 s0, s12
	s_cbranch_execz .LBB2607_40
; %bb.39:
	v_dual_lshrrev_b32 v26, s11, v25 :: v_dual_lshlrev_b32 v27, 2, v3
	s_sub_co_i32 s11, s3, s11
	s_delay_alu instid0(SALU_CYCLE_1)
	s_min_u32 s11, s11, 8
	s_delay_alu instid0(VALU_DEP_1) | instid1(SALU_CYCLE_1)
	v_bfe_u32 v26, v26, 0, s11
	s_delay_alu instid0(VALU_DEP_1)
	v_lshl_or_b32 v26, v26, 4, v27
	v_mov_b32_e32 v27, 1
	ds_add_u32 v26, v27 offset:4096
	v_mov_b32_e32 v26, 0
.LBB2607_40:
	s_or_b32 exec_lo, exec_lo, s0
	s_mov_b32 s11, -1
	s_mov_b32 s12, exec_lo
	s_delay_alu instid0(VALU_DEP_1)
	v_cmpx_gt_i32_e32 10, v26
; %bb.41:
	v_cmp_eq_u32_e64 s0, 0, v26
	s_or_not1_b32 s11, s0, exec_lo
; %bb.42:
	s_or_b32 exec_lo, exec_lo, s12
	s_delay_alu instid0(SALU_CYCLE_1)
	s_and_b32 exec_lo, exec_lo, s11
	s_cbranch_execz .LBB2607_50
; %bb.43:
	s_add_co_i32 s11, s2, 16
	s_delay_alu instid0(SALU_CYCLE_1) | instskip(SKIP_1) | instid1(SALU_CYCLE_1)
	s_cmp_le_u32 s3, s11
	s_cselect_b32 s0, -1, 0
	s_and_b32 s12, s0, exec_lo
	s_cselect_b32 s12, 8, 10
	s_delay_alu instid0(SALU_CYCLE_1) | instskip(SKIP_1) | instid1(SALU_CYCLE_1)
	v_mov_b32_e32 v26, s12
	s_nor_b32 s12, s0, vcc_lo
	s_and_saveexec_b32 s0, s12
	s_cbranch_execz .LBB2607_45
; %bb.44:
	v_dual_lshrrev_b32 v26, s11, v25 :: v_dual_lshlrev_b32 v27, 2, v3
	s_sub_co_i32 s11, s3, s11
	s_delay_alu instid0(SALU_CYCLE_1)
	s_min_u32 s11, s11, 8
	s_delay_alu instid0(VALU_DEP_1) | instid1(SALU_CYCLE_1)
	v_bfe_u32 v26, v26, 0, s11
	s_delay_alu instid0(VALU_DEP_1)
	v_lshl_or_b32 v26, v26, 4, v27
	v_mov_b32_e32 v27, 1
	ds_add_u32 v26, v27 offset:8192
	v_mov_b32_e32 v26, 0
.LBB2607_45:
	s_or_b32 exec_lo, exec_lo, s0
	s_mov_b32 s11, -1
	s_mov_b32 s12, exec_lo
	s_delay_alu instid0(VALU_DEP_1)
	v_cmpx_gt_i32_e32 10, v26
; %bb.46:
	v_cmp_eq_u32_e64 s0, 0, v26
	s_or_not1_b32 s11, s0, exec_lo
; %bb.47:
	s_or_b32 exec_lo, exec_lo, s12
	s_delay_alu instid0(SALU_CYCLE_1)
	s_and_b32 exec_lo, exec_lo, s11
	s_cbranch_execz .LBB2607_50
; %bb.48:
	s_add_co_i32 s0, s2, 24
	s_delay_alu instid0(SALU_CYCLE_1) | instskip(SKIP_2) | instid1(SALU_CYCLE_1)
	s_cmp_gt_u32 s3, s0
	s_cselect_b32 s11, -1, 0
	s_xor_b32 s12, vcc_lo, -1
	s_and_b32 s11, s11, s12
	s_delay_alu instid0(SALU_CYCLE_1)
	s_and_b32 exec_lo, exec_lo, s11
	s_cbranch_execz .LBB2607_50
; %bb.49:
	v_dual_lshrrev_b32 v25, s0, v25 :: v_dual_lshlrev_b32 v26, 2, v3
	s_sub_co_i32 s0, s3, s0
	s_delay_alu instid0(SALU_CYCLE_1)
	s_min_u32 s0, s0, 8
	s_delay_alu instid0(VALU_DEP_1) | instid1(SALU_CYCLE_1)
	v_bfe_u32 v25, v25, 0, s0
	s_delay_alu instid0(VALU_DEP_1)
	v_lshl_or_b32 v25, v25, 4, v26
	v_mov_b32_e32 v26, 1
	ds_add_u32 v25, v26 offset:12288
.LBB2607_50:
	s_or_b32 exec_lo, exec_lo, s10
	v_cmp_le_u32_e32 vcc_lo, s1, v24
	v_mov_b32_e32 v24, s9
	s_nor_b32 s10, s8, vcc_lo
	s_delay_alu instid0(SALU_CYCLE_1)
	s_and_saveexec_b32 s0, s10
	s_cbranch_execz .LBB2607_52
; %bb.51:
	v_lshrrev_b32_e32 v24, s2, v23
	s_sub_co_i32 s10, s3, s2
	v_lshlrev_b32_e32 v25, 2, v3
	s_min_u32 s10, s10, 8
	s_delay_alu instid0(VALU_DEP_2) | instid1(SALU_CYCLE_1)
	v_bfe_u32 v24, v24, 0, s10
	s_delay_alu instid0(VALU_DEP_1)
	v_lshl_or_b32 v24, v24, 4, v25
	v_mov_b32_e32 v25, 1
	ds_add_u32 v24, v25
	v_mov_b32_e32 v24, 0
.LBB2607_52:
	s_or_b32 exec_lo, exec_lo, s0
	s_mov_b32 s11, -1
	s_mov_b32 s10, exec_lo
	s_delay_alu instid0(VALU_DEP_1)
	v_cmpx_gt_i32_e32 10, v24
; %bb.53:
	v_cmp_eq_u32_e64 s0, 0, v24
	s_or_not1_b32 s11, s0, exec_lo
; %bb.54:
	s_or_b32 exec_lo, exec_lo, s10
	s_and_saveexec_b32 s10, s11
	s_cbranch_execz .LBB2607_67
; %bb.55:
	s_add_co_i32 s11, s2, 8
	s_delay_alu instid0(SALU_CYCLE_1) | instskip(SKIP_1) | instid1(SALU_CYCLE_1)
	s_cmp_le_u32 s3, s11
	s_cselect_b32 s0, -1, 0
	s_and_b32 s12, s0, exec_lo
	s_cselect_b32 s12, 8, 10
	s_delay_alu instid0(SALU_CYCLE_1) | instskip(SKIP_1) | instid1(SALU_CYCLE_1)
	v_mov_b32_e32 v24, s12
	s_nor_b32 s12, s0, vcc_lo
	s_and_saveexec_b32 s0, s12
	s_cbranch_execz .LBB2607_57
; %bb.56:
	v_lshrrev_b32_e32 v24, s11, v23
	s_sub_co_i32 s11, s3, s11
	v_lshlrev_b32_e32 v25, 2, v3
	s_min_u32 s11, s11, 8
	s_delay_alu instid0(VALU_DEP_2) | instid1(SALU_CYCLE_1)
	v_bfe_u32 v24, v24, 0, s11
	s_delay_alu instid0(VALU_DEP_1)
	v_lshl_or_b32 v24, v24, 4, v25
	v_mov_b32_e32 v25, 1
	ds_add_u32 v24, v25 offset:4096
	v_mov_b32_e32 v24, 0
.LBB2607_57:
	s_or_b32 exec_lo, exec_lo, s0
	s_mov_b32 s11, -1
	s_mov_b32 s12, exec_lo
	s_delay_alu instid0(VALU_DEP_1)
	v_cmpx_gt_i32_e32 10, v24
; %bb.58:
	v_cmp_eq_u32_e64 s0, 0, v24
	s_or_not1_b32 s11, s0, exec_lo
; %bb.59:
	s_or_b32 exec_lo, exec_lo, s12
	s_delay_alu instid0(SALU_CYCLE_1)
	s_and_b32 exec_lo, exec_lo, s11
	s_cbranch_execz .LBB2607_67
; %bb.60:
	s_add_co_i32 s11, s2, 16
	s_delay_alu instid0(SALU_CYCLE_1) | instskip(SKIP_1) | instid1(SALU_CYCLE_1)
	s_cmp_le_u32 s3, s11
	s_cselect_b32 s0, -1, 0
	s_and_b32 s12, s0, exec_lo
	s_cselect_b32 s12, 8, 10
	s_delay_alu instid0(SALU_CYCLE_1) | instskip(SKIP_1) | instid1(SALU_CYCLE_1)
	v_mov_b32_e32 v24, s12
	s_nor_b32 s12, s0, vcc_lo
	s_and_saveexec_b32 s0, s12
	s_cbranch_execz .LBB2607_62
; %bb.61:
	v_lshrrev_b32_e32 v24, s11, v23
	s_sub_co_i32 s11, s3, s11
	v_lshlrev_b32_e32 v25, 2, v3
	s_min_u32 s11, s11, 8
	s_delay_alu instid0(VALU_DEP_2) | instid1(SALU_CYCLE_1)
	v_bfe_u32 v24, v24, 0, s11
	s_delay_alu instid0(VALU_DEP_1)
	v_lshl_or_b32 v24, v24, 4, v25
	v_mov_b32_e32 v25, 1
	ds_add_u32 v24, v25 offset:8192
	v_mov_b32_e32 v24, 0
.LBB2607_62:
	s_or_b32 exec_lo, exec_lo, s0
	s_mov_b32 s11, -1
	s_mov_b32 s12, exec_lo
	s_delay_alu instid0(VALU_DEP_1)
	v_cmpx_gt_i32_e32 10, v24
; %bb.63:
	v_cmp_eq_u32_e64 s0, 0, v24
	s_or_not1_b32 s11, s0, exec_lo
; %bb.64:
	s_or_b32 exec_lo, exec_lo, s12
	s_delay_alu instid0(SALU_CYCLE_1)
	s_and_b32 exec_lo, exec_lo, s11
	s_cbranch_execz .LBB2607_67
; %bb.65:
	s_add_co_i32 s0, s2, 24
	s_delay_alu instid0(SALU_CYCLE_1) | instskip(SKIP_2) | instid1(SALU_CYCLE_1)
	s_cmp_gt_u32 s3, s0
	s_cselect_b32 s11, -1, 0
	s_xor_b32 s12, vcc_lo, -1
	s_and_b32 s11, s11, s12
	s_delay_alu instid0(SALU_CYCLE_1)
	s_and_b32 exec_lo, exec_lo, s11
	s_cbranch_execz .LBB2607_67
; %bb.66:
	v_lshrrev_b32_e32 v23, s0, v23
	s_sub_co_i32 s0, s3, s0
	v_lshlrev_b32_e32 v24, 2, v3
	s_min_u32 s0, s0, 8
	s_delay_alu instid0(VALU_DEP_2) | instid1(SALU_CYCLE_1)
	v_bfe_u32 v23, v23, 0, s0
	s_delay_alu instid0(VALU_DEP_1)
	v_lshl_or_b32 v23, v23, 4, v24
	v_mov_b32_e32 v24, 1
	ds_add_u32 v23, v24 offset:12288
.LBB2607_67:
	s_or_b32 exec_lo, exec_lo, s10
	v_cmp_le_u32_e32 vcc_lo, s1, v22
	v_mov_b32_e32 v22, s9
	s_nor_b32 s10, s8, vcc_lo
	s_delay_alu instid0(SALU_CYCLE_1)
	s_and_saveexec_b32 s0, s10
	s_cbranch_execz .LBB2607_69
; %bb.68:
	v_dual_lshrrev_b32 v22, s2, v21 :: v_dual_lshlrev_b32 v23, 2, v3
	s_sub_co_i32 s10, s3, s2
	s_delay_alu instid0(SALU_CYCLE_1)
	s_min_u32 s10, s10, 8
	s_delay_alu instid0(VALU_DEP_1) | instid1(SALU_CYCLE_1)
	v_bfe_u32 v22, v22, 0, s10
	s_delay_alu instid0(VALU_DEP_1)
	v_lshl_or_b32 v22, v22, 4, v23
	v_mov_b32_e32 v23, 1
	ds_add_u32 v22, v23
	v_mov_b32_e32 v22, 0
.LBB2607_69:
	s_or_b32 exec_lo, exec_lo, s0
	s_mov_b32 s11, -1
	s_mov_b32 s10, exec_lo
	s_delay_alu instid0(VALU_DEP_1)
	v_cmpx_gt_i32_e32 10, v22
; %bb.70:
	v_cmp_eq_u32_e64 s0, 0, v22
	s_or_not1_b32 s11, s0, exec_lo
; %bb.71:
	s_or_b32 exec_lo, exec_lo, s10
	s_and_saveexec_b32 s10, s11
	s_cbranch_execz .LBB2607_84
; %bb.72:
	s_add_co_i32 s11, s2, 8
	s_delay_alu instid0(SALU_CYCLE_1) | instskip(SKIP_1) | instid1(SALU_CYCLE_1)
	s_cmp_le_u32 s3, s11
	s_cselect_b32 s0, -1, 0
	s_and_b32 s12, s0, exec_lo
	s_cselect_b32 s12, 8, 10
	s_delay_alu instid0(SALU_CYCLE_1) | instskip(SKIP_1) | instid1(SALU_CYCLE_1)
	v_mov_b32_e32 v22, s12
	s_nor_b32 s12, s0, vcc_lo
	s_and_saveexec_b32 s0, s12
	s_cbranch_execz .LBB2607_74
; %bb.73:
	v_dual_lshrrev_b32 v22, s11, v21 :: v_dual_lshlrev_b32 v23, 2, v3
	s_sub_co_i32 s11, s3, s11
	s_delay_alu instid0(SALU_CYCLE_1)
	s_min_u32 s11, s11, 8
	s_delay_alu instid0(VALU_DEP_1) | instid1(SALU_CYCLE_1)
	v_bfe_u32 v22, v22, 0, s11
	s_delay_alu instid0(VALU_DEP_1)
	v_lshl_or_b32 v22, v22, 4, v23
	v_mov_b32_e32 v23, 1
	ds_add_u32 v22, v23 offset:4096
	v_mov_b32_e32 v22, 0
.LBB2607_74:
	s_or_b32 exec_lo, exec_lo, s0
	s_mov_b32 s11, -1
	s_mov_b32 s12, exec_lo
	s_delay_alu instid0(VALU_DEP_1)
	v_cmpx_gt_i32_e32 10, v22
; %bb.75:
	v_cmp_eq_u32_e64 s0, 0, v22
	s_or_not1_b32 s11, s0, exec_lo
; %bb.76:
	s_or_b32 exec_lo, exec_lo, s12
	s_delay_alu instid0(SALU_CYCLE_1)
	s_and_b32 exec_lo, exec_lo, s11
	s_cbranch_execz .LBB2607_84
; %bb.77:
	s_add_co_i32 s11, s2, 16
	s_delay_alu instid0(SALU_CYCLE_1) | instskip(SKIP_1) | instid1(SALU_CYCLE_1)
	s_cmp_le_u32 s3, s11
	s_cselect_b32 s0, -1, 0
	s_and_b32 s12, s0, exec_lo
	s_cselect_b32 s12, 8, 10
	s_delay_alu instid0(SALU_CYCLE_1) | instskip(SKIP_1) | instid1(SALU_CYCLE_1)
	v_mov_b32_e32 v22, s12
	s_nor_b32 s12, s0, vcc_lo
	s_and_saveexec_b32 s0, s12
	s_cbranch_execz .LBB2607_79
; %bb.78:
	v_dual_lshrrev_b32 v22, s11, v21 :: v_dual_lshlrev_b32 v23, 2, v3
	s_sub_co_i32 s11, s3, s11
	s_delay_alu instid0(SALU_CYCLE_1)
	s_min_u32 s11, s11, 8
	s_delay_alu instid0(VALU_DEP_1) | instid1(SALU_CYCLE_1)
	v_bfe_u32 v22, v22, 0, s11
	s_delay_alu instid0(VALU_DEP_1)
	v_lshl_or_b32 v22, v22, 4, v23
	v_mov_b32_e32 v23, 1
	ds_add_u32 v22, v23 offset:8192
	v_mov_b32_e32 v22, 0
.LBB2607_79:
	s_or_b32 exec_lo, exec_lo, s0
	s_mov_b32 s11, -1
	s_mov_b32 s12, exec_lo
	s_delay_alu instid0(VALU_DEP_1)
	v_cmpx_gt_i32_e32 10, v22
; %bb.80:
	v_cmp_eq_u32_e64 s0, 0, v22
	s_or_not1_b32 s11, s0, exec_lo
; %bb.81:
	s_or_b32 exec_lo, exec_lo, s12
	s_delay_alu instid0(SALU_CYCLE_1)
	s_and_b32 exec_lo, exec_lo, s11
	s_cbranch_execz .LBB2607_84
; %bb.82:
	s_add_co_i32 s0, s2, 24
	s_delay_alu instid0(SALU_CYCLE_1) | instskip(SKIP_2) | instid1(SALU_CYCLE_1)
	s_cmp_gt_u32 s3, s0
	s_cselect_b32 s11, -1, 0
	s_xor_b32 s12, vcc_lo, -1
	s_and_b32 s11, s11, s12
	s_delay_alu instid0(SALU_CYCLE_1)
	s_and_b32 exec_lo, exec_lo, s11
	s_cbranch_execz .LBB2607_84
; %bb.83:
	v_dual_lshrrev_b32 v21, s0, v21 :: v_dual_lshlrev_b32 v22, 2, v3
	s_sub_co_i32 s0, s3, s0
	s_delay_alu instid0(SALU_CYCLE_1)
	s_min_u32 s0, s0, 8
	s_delay_alu instid0(VALU_DEP_1) | instid1(SALU_CYCLE_1)
	v_bfe_u32 v21, v21, 0, s0
	s_delay_alu instid0(VALU_DEP_1)
	v_lshl_or_b32 v21, v21, 4, v22
	v_mov_b32_e32 v22, 1
	ds_add_u32 v21, v22 offset:12288
.LBB2607_84:
	s_or_b32 exec_lo, exec_lo, s10
	v_cmp_le_u32_e32 vcc_lo, s1, v20
	v_mov_b32_e32 v20, s9
	s_nor_b32 s10, s8, vcc_lo
	s_delay_alu instid0(SALU_CYCLE_1)
	s_and_saveexec_b32 s0, s10
	s_cbranch_execz .LBB2607_86
; %bb.85:
	v_lshrrev_b32_e32 v20, s2, v19
	s_sub_co_i32 s10, s3, s2
	v_lshlrev_b32_e32 v21, 2, v3
	s_min_u32 s10, s10, 8
	s_delay_alu instid0(VALU_DEP_2) | instid1(SALU_CYCLE_1)
	v_bfe_u32 v20, v20, 0, s10
	s_delay_alu instid0(VALU_DEP_1)
	v_lshl_or_b32 v20, v20, 4, v21
	v_mov_b32_e32 v21, 1
	ds_add_u32 v20, v21
	v_mov_b32_e32 v20, 0
.LBB2607_86:
	s_or_b32 exec_lo, exec_lo, s0
	s_mov_b32 s11, -1
	s_mov_b32 s10, exec_lo
	s_delay_alu instid0(VALU_DEP_1)
	v_cmpx_gt_i32_e32 10, v20
; %bb.87:
	v_cmp_eq_u32_e64 s0, 0, v20
	s_or_not1_b32 s11, s0, exec_lo
; %bb.88:
	s_or_b32 exec_lo, exec_lo, s10
	s_and_saveexec_b32 s10, s11
	s_cbranch_execz .LBB2607_101
; %bb.89:
	s_add_co_i32 s11, s2, 8
	s_delay_alu instid0(SALU_CYCLE_1) | instskip(SKIP_1) | instid1(SALU_CYCLE_1)
	s_cmp_le_u32 s3, s11
	s_cselect_b32 s0, -1, 0
	s_and_b32 s12, s0, exec_lo
	s_cselect_b32 s12, 8, 10
	s_delay_alu instid0(SALU_CYCLE_1) | instskip(SKIP_1) | instid1(SALU_CYCLE_1)
	v_mov_b32_e32 v20, s12
	s_nor_b32 s12, s0, vcc_lo
	s_and_saveexec_b32 s0, s12
	s_cbranch_execz .LBB2607_91
; %bb.90:
	v_lshrrev_b32_e32 v20, s11, v19
	s_sub_co_i32 s11, s3, s11
	v_lshlrev_b32_e32 v21, 2, v3
	s_min_u32 s11, s11, 8
	s_delay_alu instid0(VALU_DEP_2) | instid1(SALU_CYCLE_1)
	v_bfe_u32 v20, v20, 0, s11
	s_delay_alu instid0(VALU_DEP_1)
	v_lshl_or_b32 v20, v20, 4, v21
	v_mov_b32_e32 v21, 1
	ds_add_u32 v20, v21 offset:4096
	v_mov_b32_e32 v20, 0
.LBB2607_91:
	s_or_b32 exec_lo, exec_lo, s0
	s_mov_b32 s11, -1
	s_mov_b32 s12, exec_lo
	s_delay_alu instid0(VALU_DEP_1)
	v_cmpx_gt_i32_e32 10, v20
; %bb.92:
	v_cmp_eq_u32_e64 s0, 0, v20
	s_or_not1_b32 s11, s0, exec_lo
; %bb.93:
	s_or_b32 exec_lo, exec_lo, s12
	s_delay_alu instid0(SALU_CYCLE_1)
	s_and_b32 exec_lo, exec_lo, s11
	s_cbranch_execz .LBB2607_101
; %bb.94:
	s_add_co_i32 s11, s2, 16
	s_delay_alu instid0(SALU_CYCLE_1) | instskip(SKIP_1) | instid1(SALU_CYCLE_1)
	s_cmp_le_u32 s3, s11
	s_cselect_b32 s0, -1, 0
	s_and_b32 s12, s0, exec_lo
	s_cselect_b32 s12, 8, 10
	s_delay_alu instid0(SALU_CYCLE_1) | instskip(SKIP_1) | instid1(SALU_CYCLE_1)
	v_mov_b32_e32 v20, s12
	s_nor_b32 s12, s0, vcc_lo
	s_and_saveexec_b32 s0, s12
	s_cbranch_execz .LBB2607_96
; %bb.95:
	v_lshrrev_b32_e32 v20, s11, v19
	s_sub_co_i32 s11, s3, s11
	v_lshlrev_b32_e32 v21, 2, v3
	s_min_u32 s11, s11, 8
	s_delay_alu instid0(VALU_DEP_2) | instid1(SALU_CYCLE_1)
	v_bfe_u32 v20, v20, 0, s11
	s_delay_alu instid0(VALU_DEP_1)
	v_lshl_or_b32 v20, v20, 4, v21
	v_mov_b32_e32 v21, 1
	ds_add_u32 v20, v21 offset:8192
	v_mov_b32_e32 v20, 0
.LBB2607_96:
	s_or_b32 exec_lo, exec_lo, s0
	s_mov_b32 s11, -1
	s_mov_b32 s12, exec_lo
	s_delay_alu instid0(VALU_DEP_1)
	v_cmpx_gt_i32_e32 10, v20
; %bb.97:
	v_cmp_eq_u32_e64 s0, 0, v20
	s_or_not1_b32 s11, s0, exec_lo
; %bb.98:
	s_or_b32 exec_lo, exec_lo, s12
	s_delay_alu instid0(SALU_CYCLE_1)
	s_and_b32 exec_lo, exec_lo, s11
	s_cbranch_execz .LBB2607_101
; %bb.99:
	s_add_co_i32 s0, s2, 24
	s_delay_alu instid0(SALU_CYCLE_1) | instskip(SKIP_2) | instid1(SALU_CYCLE_1)
	s_cmp_gt_u32 s3, s0
	s_cselect_b32 s11, -1, 0
	s_xor_b32 s12, vcc_lo, -1
	s_and_b32 s11, s11, s12
	s_delay_alu instid0(SALU_CYCLE_1)
	s_and_b32 exec_lo, exec_lo, s11
	s_cbranch_execz .LBB2607_101
; %bb.100:
	v_lshrrev_b32_e32 v19, s0, v19
	s_sub_co_i32 s0, s3, s0
	v_lshlrev_b32_e32 v20, 2, v3
	s_min_u32 s0, s0, 8
	s_delay_alu instid0(VALU_DEP_2) | instid1(SALU_CYCLE_1)
	v_bfe_u32 v19, v19, 0, s0
	s_delay_alu instid0(VALU_DEP_1)
	v_lshl_or_b32 v19, v19, 4, v20
	v_mov_b32_e32 v20, 1
	ds_add_u32 v19, v20 offset:12288
.LBB2607_101:
	s_or_b32 exec_lo, exec_lo, s10
	v_cmp_le_u32_e32 vcc_lo, s1, v18
	v_mov_b32_e32 v18, s9
	s_nor_b32 s10, s8, vcc_lo
	s_delay_alu instid0(SALU_CYCLE_1)
	s_and_saveexec_b32 s0, s10
	s_cbranch_execz .LBB2607_103
; %bb.102:
	v_dual_lshrrev_b32 v18, s2, v17 :: v_dual_lshlrev_b32 v19, 2, v3
	s_sub_co_i32 s10, s3, s2
	s_delay_alu instid0(SALU_CYCLE_1)
	s_min_u32 s10, s10, 8
	s_delay_alu instid0(VALU_DEP_1) | instid1(SALU_CYCLE_1)
	v_bfe_u32 v18, v18, 0, s10
	s_delay_alu instid0(VALU_DEP_1)
	v_lshl_or_b32 v18, v18, 4, v19
	v_mov_b32_e32 v19, 1
	ds_add_u32 v18, v19
	v_mov_b32_e32 v18, 0
.LBB2607_103:
	s_or_b32 exec_lo, exec_lo, s0
	s_mov_b32 s11, -1
	s_mov_b32 s10, exec_lo
	s_delay_alu instid0(VALU_DEP_1)
	v_cmpx_gt_i32_e32 10, v18
; %bb.104:
	v_cmp_eq_u32_e64 s0, 0, v18
	s_or_not1_b32 s11, s0, exec_lo
; %bb.105:
	s_or_b32 exec_lo, exec_lo, s10
	s_and_saveexec_b32 s10, s11
	s_cbranch_execz .LBB2607_118
; %bb.106:
	s_add_co_i32 s11, s2, 8
	s_delay_alu instid0(SALU_CYCLE_1) | instskip(SKIP_1) | instid1(SALU_CYCLE_1)
	s_cmp_le_u32 s3, s11
	s_cselect_b32 s0, -1, 0
	s_and_b32 s12, s0, exec_lo
	s_cselect_b32 s12, 8, 10
	s_delay_alu instid0(SALU_CYCLE_1) | instskip(SKIP_1) | instid1(SALU_CYCLE_1)
	v_mov_b32_e32 v18, s12
	s_nor_b32 s12, s0, vcc_lo
	s_and_saveexec_b32 s0, s12
	s_cbranch_execz .LBB2607_108
; %bb.107:
	v_dual_lshrrev_b32 v18, s11, v17 :: v_dual_lshlrev_b32 v19, 2, v3
	s_sub_co_i32 s11, s3, s11
	s_delay_alu instid0(SALU_CYCLE_1)
	s_min_u32 s11, s11, 8
	s_delay_alu instid0(VALU_DEP_1) | instid1(SALU_CYCLE_1)
	v_bfe_u32 v18, v18, 0, s11
	s_delay_alu instid0(VALU_DEP_1)
	v_lshl_or_b32 v18, v18, 4, v19
	v_mov_b32_e32 v19, 1
	ds_add_u32 v18, v19 offset:4096
	v_mov_b32_e32 v18, 0
.LBB2607_108:
	s_or_b32 exec_lo, exec_lo, s0
	s_mov_b32 s11, -1
	s_mov_b32 s12, exec_lo
	s_delay_alu instid0(VALU_DEP_1)
	v_cmpx_gt_i32_e32 10, v18
; %bb.109:
	v_cmp_eq_u32_e64 s0, 0, v18
	s_or_not1_b32 s11, s0, exec_lo
; %bb.110:
	s_or_b32 exec_lo, exec_lo, s12
	s_delay_alu instid0(SALU_CYCLE_1)
	s_and_b32 exec_lo, exec_lo, s11
	s_cbranch_execz .LBB2607_118
; %bb.111:
	s_add_co_i32 s11, s2, 16
	s_delay_alu instid0(SALU_CYCLE_1) | instskip(SKIP_1) | instid1(SALU_CYCLE_1)
	s_cmp_le_u32 s3, s11
	s_cselect_b32 s0, -1, 0
	s_and_b32 s12, s0, exec_lo
	s_cselect_b32 s12, 8, 10
	s_delay_alu instid0(SALU_CYCLE_1) | instskip(SKIP_1) | instid1(SALU_CYCLE_1)
	v_mov_b32_e32 v18, s12
	s_nor_b32 s12, s0, vcc_lo
	s_and_saveexec_b32 s0, s12
	s_cbranch_execz .LBB2607_113
; %bb.112:
	v_dual_lshrrev_b32 v18, s11, v17 :: v_dual_lshlrev_b32 v19, 2, v3
	s_sub_co_i32 s11, s3, s11
	s_delay_alu instid0(SALU_CYCLE_1)
	s_min_u32 s11, s11, 8
	s_delay_alu instid0(VALU_DEP_1) | instid1(SALU_CYCLE_1)
	v_bfe_u32 v18, v18, 0, s11
	s_delay_alu instid0(VALU_DEP_1)
	v_lshl_or_b32 v18, v18, 4, v19
	v_mov_b32_e32 v19, 1
	ds_add_u32 v18, v19 offset:8192
	v_mov_b32_e32 v18, 0
.LBB2607_113:
	s_or_b32 exec_lo, exec_lo, s0
	s_mov_b32 s11, -1
	s_mov_b32 s12, exec_lo
	s_delay_alu instid0(VALU_DEP_1)
	v_cmpx_gt_i32_e32 10, v18
; %bb.114:
	v_cmp_eq_u32_e64 s0, 0, v18
	s_or_not1_b32 s11, s0, exec_lo
; %bb.115:
	s_or_b32 exec_lo, exec_lo, s12
	s_delay_alu instid0(SALU_CYCLE_1)
	s_and_b32 exec_lo, exec_lo, s11
	s_cbranch_execz .LBB2607_118
; %bb.116:
	s_add_co_i32 s0, s2, 24
	s_delay_alu instid0(SALU_CYCLE_1) | instskip(SKIP_2) | instid1(SALU_CYCLE_1)
	s_cmp_gt_u32 s3, s0
	s_cselect_b32 s11, -1, 0
	s_xor_b32 s12, vcc_lo, -1
	s_and_b32 s11, s11, s12
	s_delay_alu instid0(SALU_CYCLE_1)
	s_and_b32 exec_lo, exec_lo, s11
	s_cbranch_execz .LBB2607_118
; %bb.117:
	v_dual_lshrrev_b32 v17, s0, v17 :: v_dual_lshlrev_b32 v18, 2, v3
	s_sub_co_i32 s0, s3, s0
	s_delay_alu instid0(SALU_CYCLE_1)
	s_min_u32 s0, s0, 8
	s_delay_alu instid0(VALU_DEP_1) | instid1(SALU_CYCLE_1)
	v_bfe_u32 v17, v17, 0, s0
	s_delay_alu instid0(VALU_DEP_1)
	v_lshl_or_b32 v17, v17, 4, v18
	v_mov_b32_e32 v18, 1
	ds_add_u32 v17, v18 offset:12288
.LBB2607_118:
	s_or_b32 exec_lo, exec_lo, s10
	v_cmp_le_u32_e32 vcc_lo, s1, v16
	v_mov_b32_e32 v16, s9
	s_nor_b32 s10, s8, vcc_lo
	s_delay_alu instid0(SALU_CYCLE_1)
	s_and_saveexec_b32 s0, s10
	s_cbranch_execz .LBB2607_120
; %bb.119:
	v_lshrrev_b32_e32 v16, s2, v15
	s_sub_co_i32 s10, s3, s2
	v_lshlrev_b32_e32 v17, 2, v3
	s_min_u32 s10, s10, 8
	s_delay_alu instid0(VALU_DEP_2) | instid1(SALU_CYCLE_1)
	v_bfe_u32 v16, v16, 0, s10
	s_delay_alu instid0(VALU_DEP_1)
	v_lshl_or_b32 v16, v16, 4, v17
	v_mov_b32_e32 v17, 1
	ds_add_u32 v16, v17
	v_mov_b32_e32 v16, 0
.LBB2607_120:
	s_or_b32 exec_lo, exec_lo, s0
	s_mov_b32 s11, -1
	s_mov_b32 s10, exec_lo
	s_delay_alu instid0(VALU_DEP_1)
	v_cmpx_gt_i32_e32 10, v16
; %bb.121:
	v_cmp_eq_u32_e64 s0, 0, v16
	s_or_not1_b32 s11, s0, exec_lo
; %bb.122:
	s_or_b32 exec_lo, exec_lo, s10
	s_and_saveexec_b32 s10, s11
	s_cbranch_execz .LBB2607_135
; %bb.123:
	s_add_co_i32 s11, s2, 8
	s_delay_alu instid0(SALU_CYCLE_1) | instskip(SKIP_1) | instid1(SALU_CYCLE_1)
	s_cmp_le_u32 s3, s11
	s_cselect_b32 s0, -1, 0
	s_and_b32 s12, s0, exec_lo
	s_cselect_b32 s12, 8, 10
	s_delay_alu instid0(SALU_CYCLE_1) | instskip(SKIP_1) | instid1(SALU_CYCLE_1)
	v_mov_b32_e32 v16, s12
	s_nor_b32 s12, s0, vcc_lo
	s_and_saveexec_b32 s0, s12
	s_cbranch_execz .LBB2607_125
; %bb.124:
	v_lshrrev_b32_e32 v16, s11, v15
	s_sub_co_i32 s11, s3, s11
	v_lshlrev_b32_e32 v17, 2, v3
	s_min_u32 s11, s11, 8
	s_delay_alu instid0(VALU_DEP_2) | instid1(SALU_CYCLE_1)
	v_bfe_u32 v16, v16, 0, s11
	s_delay_alu instid0(VALU_DEP_1)
	v_lshl_or_b32 v16, v16, 4, v17
	v_mov_b32_e32 v17, 1
	ds_add_u32 v16, v17 offset:4096
	v_mov_b32_e32 v16, 0
.LBB2607_125:
	s_or_b32 exec_lo, exec_lo, s0
	s_mov_b32 s11, -1
	s_mov_b32 s12, exec_lo
	s_delay_alu instid0(VALU_DEP_1)
	v_cmpx_gt_i32_e32 10, v16
; %bb.126:
	v_cmp_eq_u32_e64 s0, 0, v16
	s_or_not1_b32 s11, s0, exec_lo
; %bb.127:
	s_or_b32 exec_lo, exec_lo, s12
	s_delay_alu instid0(SALU_CYCLE_1)
	s_and_b32 exec_lo, exec_lo, s11
	s_cbranch_execz .LBB2607_135
; %bb.128:
	s_add_co_i32 s11, s2, 16
	s_delay_alu instid0(SALU_CYCLE_1) | instskip(SKIP_1) | instid1(SALU_CYCLE_1)
	s_cmp_le_u32 s3, s11
	s_cselect_b32 s0, -1, 0
	s_and_b32 s12, s0, exec_lo
	s_cselect_b32 s12, 8, 10
	s_delay_alu instid0(SALU_CYCLE_1) | instskip(SKIP_1) | instid1(SALU_CYCLE_1)
	v_mov_b32_e32 v16, s12
	s_nor_b32 s12, s0, vcc_lo
	s_and_saveexec_b32 s0, s12
	s_cbranch_execz .LBB2607_130
; %bb.129:
	v_lshrrev_b32_e32 v16, s11, v15
	s_sub_co_i32 s11, s3, s11
	v_lshlrev_b32_e32 v17, 2, v3
	s_min_u32 s11, s11, 8
	s_delay_alu instid0(VALU_DEP_2) | instid1(SALU_CYCLE_1)
	v_bfe_u32 v16, v16, 0, s11
	s_delay_alu instid0(VALU_DEP_1)
	v_lshl_or_b32 v16, v16, 4, v17
	v_mov_b32_e32 v17, 1
	ds_add_u32 v16, v17 offset:8192
	v_mov_b32_e32 v16, 0
.LBB2607_130:
	s_or_b32 exec_lo, exec_lo, s0
	s_mov_b32 s11, -1
	s_mov_b32 s12, exec_lo
	s_delay_alu instid0(VALU_DEP_1)
	v_cmpx_gt_i32_e32 10, v16
; %bb.131:
	v_cmp_eq_u32_e64 s0, 0, v16
	s_or_not1_b32 s11, s0, exec_lo
; %bb.132:
	s_or_b32 exec_lo, exec_lo, s12
	s_delay_alu instid0(SALU_CYCLE_1)
	s_and_b32 exec_lo, exec_lo, s11
	s_cbranch_execz .LBB2607_135
; %bb.133:
	s_add_co_i32 s0, s2, 24
	s_delay_alu instid0(SALU_CYCLE_1) | instskip(SKIP_2) | instid1(SALU_CYCLE_1)
	s_cmp_gt_u32 s3, s0
	s_cselect_b32 s11, -1, 0
	s_xor_b32 s12, vcc_lo, -1
	s_and_b32 s11, s11, s12
	s_delay_alu instid0(SALU_CYCLE_1)
	s_and_b32 exec_lo, exec_lo, s11
	s_cbranch_execz .LBB2607_135
; %bb.134:
	v_lshrrev_b32_e32 v15, s0, v15
	s_sub_co_i32 s0, s3, s0
	v_lshlrev_b32_e32 v16, 2, v3
	s_min_u32 s0, s0, 8
	s_delay_alu instid0(VALU_DEP_2) | instid1(SALU_CYCLE_1)
	v_bfe_u32 v15, v15, 0, s0
	s_delay_alu instid0(VALU_DEP_1)
	v_lshl_or_b32 v15, v15, 4, v16
	v_mov_b32_e32 v16, 1
	ds_add_u32 v15, v16 offset:12288
.LBB2607_135:
	s_or_b32 exec_lo, exec_lo, s10
	v_cmp_le_u32_e32 vcc_lo, s1, v14
	v_mov_b32_e32 v14, s9
	s_nor_b32 s10, s8, vcc_lo
	s_delay_alu instid0(SALU_CYCLE_1)
	s_and_saveexec_b32 s0, s10
	s_cbranch_execz .LBB2607_137
; %bb.136:
	v_dual_lshrrev_b32 v14, s2, v13 :: v_dual_lshlrev_b32 v15, 2, v3
	s_sub_co_i32 s10, s3, s2
	s_delay_alu instid0(SALU_CYCLE_1)
	s_min_u32 s10, s10, 8
	s_delay_alu instid0(VALU_DEP_1) | instid1(SALU_CYCLE_1)
	v_bfe_u32 v14, v14, 0, s10
	s_delay_alu instid0(VALU_DEP_1)
	v_lshl_or_b32 v14, v14, 4, v15
	v_mov_b32_e32 v15, 1
	ds_add_u32 v14, v15
	v_mov_b32_e32 v14, 0
.LBB2607_137:
	s_or_b32 exec_lo, exec_lo, s0
	s_mov_b32 s11, -1
	s_mov_b32 s10, exec_lo
	s_delay_alu instid0(VALU_DEP_1)
	v_cmpx_gt_i32_e32 10, v14
; %bb.138:
	v_cmp_eq_u32_e64 s0, 0, v14
	s_or_not1_b32 s11, s0, exec_lo
; %bb.139:
	s_or_b32 exec_lo, exec_lo, s10
	s_and_saveexec_b32 s10, s11
	s_cbranch_execz .LBB2607_152
; %bb.140:
	s_add_co_i32 s11, s2, 8
	s_delay_alu instid0(SALU_CYCLE_1) | instskip(SKIP_1) | instid1(SALU_CYCLE_1)
	s_cmp_le_u32 s3, s11
	s_cselect_b32 s0, -1, 0
	s_and_b32 s12, s0, exec_lo
	s_cselect_b32 s12, 8, 10
	s_delay_alu instid0(SALU_CYCLE_1) | instskip(SKIP_1) | instid1(SALU_CYCLE_1)
	v_mov_b32_e32 v14, s12
	s_nor_b32 s12, s0, vcc_lo
	s_and_saveexec_b32 s0, s12
	s_cbranch_execz .LBB2607_142
; %bb.141:
	v_dual_lshrrev_b32 v14, s11, v13 :: v_dual_lshlrev_b32 v15, 2, v3
	s_sub_co_i32 s11, s3, s11
	s_delay_alu instid0(SALU_CYCLE_1)
	s_min_u32 s11, s11, 8
	s_delay_alu instid0(VALU_DEP_1) | instid1(SALU_CYCLE_1)
	v_bfe_u32 v14, v14, 0, s11
	s_delay_alu instid0(VALU_DEP_1)
	v_lshl_or_b32 v14, v14, 4, v15
	v_mov_b32_e32 v15, 1
	ds_add_u32 v14, v15 offset:4096
	v_mov_b32_e32 v14, 0
.LBB2607_142:
	s_or_b32 exec_lo, exec_lo, s0
	s_mov_b32 s11, -1
	s_mov_b32 s12, exec_lo
	s_delay_alu instid0(VALU_DEP_1)
	v_cmpx_gt_i32_e32 10, v14
; %bb.143:
	v_cmp_eq_u32_e64 s0, 0, v14
	s_or_not1_b32 s11, s0, exec_lo
; %bb.144:
	s_or_b32 exec_lo, exec_lo, s12
	s_delay_alu instid0(SALU_CYCLE_1)
	s_and_b32 exec_lo, exec_lo, s11
	s_cbranch_execz .LBB2607_152
; %bb.145:
	s_add_co_i32 s11, s2, 16
	s_delay_alu instid0(SALU_CYCLE_1) | instskip(SKIP_1) | instid1(SALU_CYCLE_1)
	s_cmp_le_u32 s3, s11
	s_cselect_b32 s0, -1, 0
	s_and_b32 s12, s0, exec_lo
	s_cselect_b32 s12, 8, 10
	s_delay_alu instid0(SALU_CYCLE_1) | instskip(SKIP_1) | instid1(SALU_CYCLE_1)
	v_mov_b32_e32 v14, s12
	s_nor_b32 s12, s0, vcc_lo
	s_and_saveexec_b32 s0, s12
	s_cbranch_execz .LBB2607_147
; %bb.146:
	v_dual_lshrrev_b32 v14, s11, v13 :: v_dual_lshlrev_b32 v15, 2, v3
	s_sub_co_i32 s11, s3, s11
	s_delay_alu instid0(SALU_CYCLE_1)
	s_min_u32 s11, s11, 8
	s_delay_alu instid0(VALU_DEP_1) | instid1(SALU_CYCLE_1)
	v_bfe_u32 v14, v14, 0, s11
	s_delay_alu instid0(VALU_DEP_1)
	v_lshl_or_b32 v14, v14, 4, v15
	v_mov_b32_e32 v15, 1
	ds_add_u32 v14, v15 offset:8192
	v_mov_b32_e32 v14, 0
.LBB2607_147:
	s_or_b32 exec_lo, exec_lo, s0
	s_mov_b32 s11, -1
	s_mov_b32 s12, exec_lo
	s_delay_alu instid0(VALU_DEP_1)
	v_cmpx_gt_i32_e32 10, v14
; %bb.148:
	v_cmp_eq_u32_e64 s0, 0, v14
	s_or_not1_b32 s11, s0, exec_lo
; %bb.149:
	s_or_b32 exec_lo, exec_lo, s12
	s_delay_alu instid0(SALU_CYCLE_1)
	s_and_b32 exec_lo, exec_lo, s11
	s_cbranch_execz .LBB2607_152
; %bb.150:
	s_add_co_i32 s0, s2, 24
	s_delay_alu instid0(SALU_CYCLE_1) | instskip(SKIP_2) | instid1(SALU_CYCLE_1)
	s_cmp_gt_u32 s3, s0
	s_cselect_b32 s11, -1, 0
	s_xor_b32 s12, vcc_lo, -1
	s_and_b32 s11, s11, s12
	s_delay_alu instid0(SALU_CYCLE_1)
	s_and_b32 exec_lo, exec_lo, s11
	s_cbranch_execz .LBB2607_152
; %bb.151:
	v_dual_lshrrev_b32 v13, s0, v13 :: v_dual_lshlrev_b32 v14, 2, v3
	s_sub_co_i32 s0, s3, s0
	s_delay_alu instid0(SALU_CYCLE_1)
	s_min_u32 s0, s0, 8
	s_delay_alu instid0(VALU_DEP_1) | instid1(SALU_CYCLE_1)
	v_bfe_u32 v13, v13, 0, s0
	s_delay_alu instid0(VALU_DEP_1)
	v_lshl_or_b32 v13, v13, 4, v14
	v_mov_b32_e32 v14, 1
	ds_add_u32 v13, v14 offset:12288
.LBB2607_152:
	s_or_b32 exec_lo, exec_lo, s10
	v_cmp_le_u32_e32 vcc_lo, s1, v12
	v_mov_b32_e32 v12, s9
	s_nor_b32 s10, s8, vcc_lo
	s_delay_alu instid0(SALU_CYCLE_1)
	s_and_saveexec_b32 s0, s10
	s_cbranch_execz .LBB2607_154
; %bb.153:
	v_lshrrev_b32_e32 v12, s2, v11
	s_sub_co_i32 s10, s3, s2
	v_lshlrev_b32_e32 v13, 2, v3
	s_min_u32 s10, s10, 8
	s_delay_alu instid0(VALU_DEP_2) | instid1(SALU_CYCLE_1)
	v_bfe_u32 v12, v12, 0, s10
	s_delay_alu instid0(VALU_DEP_1)
	v_lshl_or_b32 v12, v12, 4, v13
	v_mov_b32_e32 v13, 1
	ds_add_u32 v12, v13
	v_mov_b32_e32 v12, 0
.LBB2607_154:
	s_or_b32 exec_lo, exec_lo, s0
	s_mov_b32 s11, -1
	s_mov_b32 s10, exec_lo
	s_delay_alu instid0(VALU_DEP_1)
	v_cmpx_gt_i32_e32 10, v12
; %bb.155:
	v_cmp_eq_u32_e64 s0, 0, v12
	s_or_not1_b32 s11, s0, exec_lo
; %bb.156:
	s_or_b32 exec_lo, exec_lo, s10
	s_and_saveexec_b32 s10, s11
	s_cbranch_execz .LBB2607_169
; %bb.157:
	s_add_co_i32 s11, s2, 8
	s_delay_alu instid0(SALU_CYCLE_1) | instskip(SKIP_1) | instid1(SALU_CYCLE_1)
	s_cmp_le_u32 s3, s11
	s_cselect_b32 s0, -1, 0
	s_and_b32 s12, s0, exec_lo
	s_cselect_b32 s12, 8, 10
	s_delay_alu instid0(SALU_CYCLE_1) | instskip(SKIP_1) | instid1(SALU_CYCLE_1)
	v_mov_b32_e32 v12, s12
	s_nor_b32 s12, s0, vcc_lo
	s_and_saveexec_b32 s0, s12
	s_cbranch_execz .LBB2607_159
; %bb.158:
	v_lshrrev_b32_e32 v12, s11, v11
	s_sub_co_i32 s11, s3, s11
	v_lshlrev_b32_e32 v13, 2, v3
	s_min_u32 s11, s11, 8
	s_delay_alu instid0(VALU_DEP_2) | instid1(SALU_CYCLE_1)
	v_bfe_u32 v12, v12, 0, s11
	s_delay_alu instid0(VALU_DEP_1)
	v_lshl_or_b32 v12, v12, 4, v13
	v_mov_b32_e32 v13, 1
	ds_add_u32 v12, v13 offset:4096
	v_mov_b32_e32 v12, 0
.LBB2607_159:
	s_or_b32 exec_lo, exec_lo, s0
	s_mov_b32 s11, -1
	s_mov_b32 s12, exec_lo
	s_delay_alu instid0(VALU_DEP_1)
	v_cmpx_gt_i32_e32 10, v12
; %bb.160:
	v_cmp_eq_u32_e64 s0, 0, v12
	s_or_not1_b32 s11, s0, exec_lo
; %bb.161:
	s_or_b32 exec_lo, exec_lo, s12
	s_delay_alu instid0(SALU_CYCLE_1)
	s_and_b32 exec_lo, exec_lo, s11
	s_cbranch_execz .LBB2607_169
; %bb.162:
	s_add_co_i32 s11, s2, 16
	s_delay_alu instid0(SALU_CYCLE_1) | instskip(SKIP_1) | instid1(SALU_CYCLE_1)
	s_cmp_le_u32 s3, s11
	s_cselect_b32 s0, -1, 0
	s_and_b32 s12, s0, exec_lo
	s_cselect_b32 s12, 8, 10
	s_delay_alu instid0(SALU_CYCLE_1) | instskip(SKIP_1) | instid1(SALU_CYCLE_1)
	v_mov_b32_e32 v12, s12
	s_nor_b32 s12, s0, vcc_lo
	s_and_saveexec_b32 s0, s12
	s_cbranch_execz .LBB2607_164
; %bb.163:
	v_lshrrev_b32_e32 v12, s11, v11
	s_sub_co_i32 s11, s3, s11
	v_lshlrev_b32_e32 v13, 2, v3
	s_min_u32 s11, s11, 8
	s_delay_alu instid0(VALU_DEP_2) | instid1(SALU_CYCLE_1)
	v_bfe_u32 v12, v12, 0, s11
	s_delay_alu instid0(VALU_DEP_1)
	v_lshl_or_b32 v12, v12, 4, v13
	v_mov_b32_e32 v13, 1
	ds_add_u32 v12, v13 offset:8192
	v_mov_b32_e32 v12, 0
.LBB2607_164:
	s_or_b32 exec_lo, exec_lo, s0
	s_mov_b32 s11, -1
	s_mov_b32 s12, exec_lo
	s_delay_alu instid0(VALU_DEP_1)
	v_cmpx_gt_i32_e32 10, v12
; %bb.165:
	v_cmp_eq_u32_e64 s0, 0, v12
	s_or_not1_b32 s11, s0, exec_lo
; %bb.166:
	s_or_b32 exec_lo, exec_lo, s12
	s_delay_alu instid0(SALU_CYCLE_1)
	s_and_b32 exec_lo, exec_lo, s11
	s_cbranch_execz .LBB2607_169
; %bb.167:
	s_add_co_i32 s0, s2, 24
	s_delay_alu instid0(SALU_CYCLE_1) | instskip(SKIP_2) | instid1(SALU_CYCLE_1)
	s_cmp_gt_u32 s3, s0
	s_cselect_b32 s11, -1, 0
	s_xor_b32 s12, vcc_lo, -1
	s_and_b32 s11, s11, s12
	s_delay_alu instid0(SALU_CYCLE_1)
	s_and_b32 exec_lo, exec_lo, s11
	s_cbranch_execz .LBB2607_169
; %bb.168:
	v_lshrrev_b32_e32 v11, s0, v11
	s_sub_co_i32 s0, s3, s0
	v_lshlrev_b32_e32 v12, 2, v3
	s_min_u32 s0, s0, 8
	s_delay_alu instid0(VALU_DEP_2) | instid1(SALU_CYCLE_1)
	v_bfe_u32 v11, v11, 0, s0
	s_delay_alu instid0(VALU_DEP_1)
	v_lshl_or_b32 v11, v11, 4, v12
	v_mov_b32_e32 v12, 1
	ds_add_u32 v11, v12 offset:12288
.LBB2607_169:
	s_or_b32 exec_lo, exec_lo, s10
	v_cmp_le_u32_e32 vcc_lo, s1, v10
	v_mov_b32_e32 v10, s9
	s_nor_b32 s10, s8, vcc_lo
	s_delay_alu instid0(SALU_CYCLE_1)
	s_and_saveexec_b32 s0, s10
	s_cbranch_execz .LBB2607_171
; %bb.170:
	v_dual_lshrrev_b32 v10, s2, v9 :: v_dual_lshlrev_b32 v11, 2, v3
	s_sub_co_i32 s10, s3, s2
	s_delay_alu instid0(SALU_CYCLE_1)
	s_min_u32 s10, s10, 8
	s_delay_alu instid0(VALU_DEP_1) | instid1(SALU_CYCLE_1)
	v_bfe_u32 v10, v10, 0, s10
	s_delay_alu instid0(VALU_DEP_1)
	v_lshl_or_b32 v10, v10, 4, v11
	v_mov_b32_e32 v11, 1
	ds_add_u32 v10, v11
	v_mov_b32_e32 v10, 0
.LBB2607_171:
	s_or_b32 exec_lo, exec_lo, s0
	s_mov_b32 s11, -1
	s_mov_b32 s10, exec_lo
	s_delay_alu instid0(VALU_DEP_1)
	v_cmpx_gt_i32_e32 10, v10
; %bb.172:
	v_cmp_eq_u32_e64 s0, 0, v10
	s_or_not1_b32 s11, s0, exec_lo
; %bb.173:
	s_or_b32 exec_lo, exec_lo, s10
	s_and_saveexec_b32 s10, s11
	s_cbranch_execz .LBB2607_186
; %bb.174:
	s_add_co_i32 s11, s2, 8
	s_delay_alu instid0(SALU_CYCLE_1) | instskip(SKIP_1) | instid1(SALU_CYCLE_1)
	s_cmp_le_u32 s3, s11
	s_cselect_b32 s0, -1, 0
	s_and_b32 s12, s0, exec_lo
	s_cselect_b32 s12, 8, 10
	s_delay_alu instid0(SALU_CYCLE_1) | instskip(SKIP_1) | instid1(SALU_CYCLE_1)
	v_mov_b32_e32 v10, s12
	s_nor_b32 s12, s0, vcc_lo
	s_and_saveexec_b32 s0, s12
	s_cbranch_execz .LBB2607_176
; %bb.175:
	v_dual_lshrrev_b32 v10, s11, v9 :: v_dual_lshlrev_b32 v11, 2, v3
	s_sub_co_i32 s11, s3, s11
	s_delay_alu instid0(SALU_CYCLE_1)
	s_min_u32 s11, s11, 8
	s_delay_alu instid0(VALU_DEP_1) | instid1(SALU_CYCLE_1)
	v_bfe_u32 v10, v10, 0, s11
	s_delay_alu instid0(VALU_DEP_1)
	v_lshl_or_b32 v10, v10, 4, v11
	v_mov_b32_e32 v11, 1
	ds_add_u32 v10, v11 offset:4096
	v_mov_b32_e32 v10, 0
.LBB2607_176:
	s_or_b32 exec_lo, exec_lo, s0
	s_mov_b32 s11, -1
	s_mov_b32 s12, exec_lo
	s_delay_alu instid0(VALU_DEP_1)
	v_cmpx_gt_i32_e32 10, v10
; %bb.177:
	v_cmp_eq_u32_e64 s0, 0, v10
	s_or_not1_b32 s11, s0, exec_lo
; %bb.178:
	s_or_b32 exec_lo, exec_lo, s12
	s_delay_alu instid0(SALU_CYCLE_1)
	s_and_b32 exec_lo, exec_lo, s11
	s_cbranch_execz .LBB2607_186
; %bb.179:
	s_add_co_i32 s11, s2, 16
	s_delay_alu instid0(SALU_CYCLE_1) | instskip(SKIP_1) | instid1(SALU_CYCLE_1)
	s_cmp_le_u32 s3, s11
	s_cselect_b32 s0, -1, 0
	s_and_b32 s12, s0, exec_lo
	s_cselect_b32 s12, 8, 10
	s_delay_alu instid0(SALU_CYCLE_1) | instskip(SKIP_1) | instid1(SALU_CYCLE_1)
	v_mov_b32_e32 v10, s12
	s_nor_b32 s12, s0, vcc_lo
	s_and_saveexec_b32 s0, s12
	s_cbranch_execz .LBB2607_181
; %bb.180:
	v_dual_lshrrev_b32 v10, s11, v9 :: v_dual_lshlrev_b32 v11, 2, v3
	s_sub_co_i32 s11, s3, s11
	s_delay_alu instid0(SALU_CYCLE_1)
	s_min_u32 s11, s11, 8
	s_delay_alu instid0(VALU_DEP_1) | instid1(SALU_CYCLE_1)
	v_bfe_u32 v10, v10, 0, s11
	s_delay_alu instid0(VALU_DEP_1)
	v_lshl_or_b32 v10, v10, 4, v11
	v_mov_b32_e32 v11, 1
	ds_add_u32 v10, v11 offset:8192
	v_mov_b32_e32 v10, 0
.LBB2607_181:
	s_or_b32 exec_lo, exec_lo, s0
	s_mov_b32 s11, -1
	s_mov_b32 s12, exec_lo
	s_delay_alu instid0(VALU_DEP_1)
	v_cmpx_gt_i32_e32 10, v10
; %bb.182:
	v_cmp_eq_u32_e64 s0, 0, v10
	s_or_not1_b32 s11, s0, exec_lo
; %bb.183:
	s_or_b32 exec_lo, exec_lo, s12
	s_delay_alu instid0(SALU_CYCLE_1)
	s_and_b32 exec_lo, exec_lo, s11
	s_cbranch_execz .LBB2607_186
; %bb.184:
	s_add_co_i32 s0, s2, 24
	s_delay_alu instid0(SALU_CYCLE_1) | instskip(SKIP_2) | instid1(SALU_CYCLE_1)
	s_cmp_gt_u32 s3, s0
	s_cselect_b32 s11, -1, 0
	s_xor_b32 s12, vcc_lo, -1
	s_and_b32 s11, s11, s12
	s_delay_alu instid0(SALU_CYCLE_1)
	s_and_b32 exec_lo, exec_lo, s11
	s_cbranch_execz .LBB2607_186
; %bb.185:
	v_dual_lshrrev_b32 v9, s0, v9 :: v_dual_lshlrev_b32 v10, 2, v3
	s_sub_co_i32 s0, s3, s0
	s_delay_alu instid0(SALU_CYCLE_1)
	s_min_u32 s0, s0, 8
	s_delay_alu instid0(VALU_DEP_1) | instid1(SALU_CYCLE_1)
	v_bfe_u32 v9, v9, 0, s0
	s_delay_alu instid0(VALU_DEP_1)
	v_lshl_or_b32 v9, v9, 4, v10
	v_mov_b32_e32 v10, 1
	ds_add_u32 v9, v10 offset:12288
.LBB2607_186:
	s_or_b32 exec_lo, exec_lo, s10
	v_cmp_le_u32_e32 vcc_lo, s1, v8
	v_mov_b32_e32 v8, s9
	s_nor_b32 s10, s8, vcc_lo
	s_delay_alu instid0(SALU_CYCLE_1)
	s_and_saveexec_b32 s0, s10
	s_cbranch_execz .LBB2607_188
; %bb.187:
	v_lshrrev_b32_e32 v8, s2, v7
	s_sub_co_i32 s10, s3, s2
	v_lshlrev_b32_e32 v9, 2, v3
	s_min_u32 s10, s10, 8
	s_delay_alu instid0(VALU_DEP_2) | instid1(SALU_CYCLE_1)
	v_bfe_u32 v8, v8, 0, s10
	s_delay_alu instid0(VALU_DEP_1)
	v_lshl_or_b32 v8, v8, 4, v9
	v_mov_b32_e32 v9, 1
	ds_add_u32 v8, v9
	v_mov_b32_e32 v8, 0
.LBB2607_188:
	s_or_b32 exec_lo, exec_lo, s0
	s_mov_b32 s11, -1
	s_mov_b32 s10, exec_lo
	s_delay_alu instid0(VALU_DEP_1)
	v_cmpx_gt_i32_e32 10, v8
; %bb.189:
	v_cmp_eq_u32_e64 s0, 0, v8
	s_or_not1_b32 s11, s0, exec_lo
; %bb.190:
	s_or_b32 exec_lo, exec_lo, s10
	s_and_saveexec_b32 s10, s11
	s_cbranch_execz .LBB2607_203
; %bb.191:
	s_add_co_i32 s11, s2, 8
	s_delay_alu instid0(SALU_CYCLE_1) | instskip(SKIP_1) | instid1(SALU_CYCLE_1)
	s_cmp_le_u32 s3, s11
	s_cselect_b32 s0, -1, 0
	s_and_b32 s12, s0, exec_lo
	s_cselect_b32 s12, 8, 10
	s_delay_alu instid0(SALU_CYCLE_1) | instskip(SKIP_1) | instid1(SALU_CYCLE_1)
	v_mov_b32_e32 v8, s12
	s_nor_b32 s12, s0, vcc_lo
	s_and_saveexec_b32 s0, s12
	s_cbranch_execz .LBB2607_193
; %bb.192:
	v_lshrrev_b32_e32 v8, s11, v7
	s_sub_co_i32 s11, s3, s11
	v_lshlrev_b32_e32 v9, 2, v3
	s_min_u32 s11, s11, 8
	s_delay_alu instid0(VALU_DEP_2) | instid1(SALU_CYCLE_1)
	v_bfe_u32 v8, v8, 0, s11
	s_delay_alu instid0(VALU_DEP_1)
	v_lshl_or_b32 v8, v8, 4, v9
	v_mov_b32_e32 v9, 1
	ds_add_u32 v8, v9 offset:4096
	v_mov_b32_e32 v8, 0
.LBB2607_193:
	s_or_b32 exec_lo, exec_lo, s0
	s_mov_b32 s11, -1
	s_mov_b32 s12, exec_lo
	s_delay_alu instid0(VALU_DEP_1)
	v_cmpx_gt_i32_e32 10, v8
; %bb.194:
	v_cmp_eq_u32_e64 s0, 0, v8
	s_or_not1_b32 s11, s0, exec_lo
; %bb.195:
	s_or_b32 exec_lo, exec_lo, s12
	s_delay_alu instid0(SALU_CYCLE_1)
	s_and_b32 exec_lo, exec_lo, s11
	s_cbranch_execz .LBB2607_203
; %bb.196:
	s_add_co_i32 s11, s2, 16
	s_delay_alu instid0(SALU_CYCLE_1) | instskip(SKIP_1) | instid1(SALU_CYCLE_1)
	s_cmp_le_u32 s3, s11
	s_cselect_b32 s0, -1, 0
	s_and_b32 s12, s0, exec_lo
	s_cselect_b32 s12, 8, 10
	s_delay_alu instid0(SALU_CYCLE_1) | instskip(SKIP_1) | instid1(SALU_CYCLE_1)
	v_mov_b32_e32 v8, s12
	s_nor_b32 s12, s0, vcc_lo
	s_and_saveexec_b32 s0, s12
	s_cbranch_execz .LBB2607_198
; %bb.197:
	v_lshrrev_b32_e32 v8, s11, v7
	s_sub_co_i32 s11, s3, s11
	v_lshlrev_b32_e32 v9, 2, v3
	s_min_u32 s11, s11, 8
	s_delay_alu instid0(VALU_DEP_2) | instid1(SALU_CYCLE_1)
	v_bfe_u32 v8, v8, 0, s11
	s_delay_alu instid0(VALU_DEP_1)
	v_lshl_or_b32 v8, v8, 4, v9
	v_mov_b32_e32 v9, 1
	ds_add_u32 v8, v9 offset:8192
	v_mov_b32_e32 v8, 0
.LBB2607_198:
	s_or_b32 exec_lo, exec_lo, s0
	s_mov_b32 s11, -1
	s_mov_b32 s12, exec_lo
	s_delay_alu instid0(VALU_DEP_1)
	v_cmpx_gt_i32_e32 10, v8
; %bb.199:
	v_cmp_eq_u32_e64 s0, 0, v8
	s_or_not1_b32 s11, s0, exec_lo
; %bb.200:
	s_or_b32 exec_lo, exec_lo, s12
	s_delay_alu instid0(SALU_CYCLE_1)
	s_and_b32 exec_lo, exec_lo, s11
	s_cbranch_execz .LBB2607_203
; %bb.201:
	s_add_co_i32 s0, s2, 24
	s_delay_alu instid0(SALU_CYCLE_1) | instskip(SKIP_2) | instid1(SALU_CYCLE_1)
	s_cmp_gt_u32 s3, s0
	s_cselect_b32 s11, -1, 0
	s_xor_b32 s12, vcc_lo, -1
	s_and_b32 s11, s11, s12
	s_delay_alu instid0(SALU_CYCLE_1)
	s_and_b32 exec_lo, exec_lo, s11
	s_cbranch_execz .LBB2607_203
; %bb.202:
	v_lshrrev_b32_e32 v7, s0, v7
	s_sub_co_i32 s0, s3, s0
	v_lshlrev_b32_e32 v8, 2, v3
	s_min_u32 s0, s0, 8
	s_delay_alu instid0(VALU_DEP_2) | instid1(SALU_CYCLE_1)
	v_bfe_u32 v7, v7, 0, s0
	s_delay_alu instid0(VALU_DEP_1)
	v_lshl_or_b32 v7, v7, 4, v8
	v_mov_b32_e32 v8, 1
	ds_add_u32 v7, v8 offset:12288
.LBB2607_203:
	s_or_b32 exec_lo, exec_lo, s10
	v_cmp_le_u32_e32 vcc_lo, s1, v6
	v_mov_b32_e32 v6, s9
	s_nor_b32 s10, s8, vcc_lo
	s_delay_alu instid0(SALU_CYCLE_1)
	s_and_saveexec_b32 s0, s10
	s_cbranch_execz .LBB2607_205
; %bb.204:
	v_dual_lshrrev_b32 v6, s2, v5 :: v_dual_lshlrev_b32 v7, 2, v3
	s_sub_co_i32 s10, s3, s2
	s_delay_alu instid0(SALU_CYCLE_1)
	s_min_u32 s10, s10, 8
	s_delay_alu instid0(VALU_DEP_1) | instid1(SALU_CYCLE_1)
	v_bfe_u32 v6, v6, 0, s10
	s_delay_alu instid0(VALU_DEP_1)
	v_lshl_or_b32 v6, v6, 4, v7
	v_mov_b32_e32 v7, 1
	ds_add_u32 v6, v7
	v_mov_b32_e32 v6, 0
.LBB2607_205:
	s_or_b32 exec_lo, exec_lo, s0
	s_mov_b32 s11, -1
	s_mov_b32 s10, exec_lo
	s_delay_alu instid0(VALU_DEP_1)
	v_cmpx_gt_i32_e32 10, v6
; %bb.206:
	v_cmp_eq_u32_e64 s0, 0, v6
	s_or_not1_b32 s11, s0, exec_lo
; %bb.207:
	s_or_b32 exec_lo, exec_lo, s10
	s_and_saveexec_b32 s10, s11
	s_cbranch_execz .LBB2607_220
; %bb.208:
	s_add_co_i32 s11, s2, 8
	s_delay_alu instid0(SALU_CYCLE_1) | instskip(SKIP_1) | instid1(SALU_CYCLE_1)
	s_cmp_le_u32 s3, s11
	s_cselect_b32 s0, -1, 0
	s_and_b32 s12, s0, exec_lo
	s_cselect_b32 s12, 8, 10
	s_delay_alu instid0(SALU_CYCLE_1) | instskip(SKIP_1) | instid1(SALU_CYCLE_1)
	v_mov_b32_e32 v6, s12
	s_nor_b32 s12, s0, vcc_lo
	s_and_saveexec_b32 s0, s12
	s_cbranch_execz .LBB2607_210
; %bb.209:
	v_dual_lshrrev_b32 v6, s11, v5 :: v_dual_lshlrev_b32 v7, 2, v3
	s_sub_co_i32 s11, s3, s11
	s_delay_alu instid0(SALU_CYCLE_1)
	s_min_u32 s11, s11, 8
	s_delay_alu instid0(VALU_DEP_1) | instid1(SALU_CYCLE_1)
	v_bfe_u32 v6, v6, 0, s11
	s_delay_alu instid0(VALU_DEP_1)
	v_lshl_or_b32 v6, v6, 4, v7
	v_mov_b32_e32 v7, 1
	ds_add_u32 v6, v7 offset:4096
	v_mov_b32_e32 v6, 0
.LBB2607_210:
	s_or_b32 exec_lo, exec_lo, s0
	s_mov_b32 s11, -1
	s_mov_b32 s12, exec_lo
	s_delay_alu instid0(VALU_DEP_1)
	v_cmpx_gt_i32_e32 10, v6
; %bb.211:
	v_cmp_eq_u32_e64 s0, 0, v6
	s_or_not1_b32 s11, s0, exec_lo
; %bb.212:
	s_or_b32 exec_lo, exec_lo, s12
	s_delay_alu instid0(SALU_CYCLE_1)
	s_and_b32 exec_lo, exec_lo, s11
	s_cbranch_execz .LBB2607_220
; %bb.213:
	s_add_co_i32 s11, s2, 16
	s_delay_alu instid0(SALU_CYCLE_1) | instskip(SKIP_1) | instid1(SALU_CYCLE_1)
	s_cmp_le_u32 s3, s11
	s_cselect_b32 s0, -1, 0
	s_and_b32 s12, s0, exec_lo
	s_cselect_b32 s12, 8, 10
	s_delay_alu instid0(SALU_CYCLE_1) | instskip(SKIP_1) | instid1(SALU_CYCLE_1)
	v_mov_b32_e32 v6, s12
	s_nor_b32 s12, s0, vcc_lo
	s_and_saveexec_b32 s0, s12
	s_cbranch_execz .LBB2607_215
; %bb.214:
	v_dual_lshrrev_b32 v6, s11, v5 :: v_dual_lshlrev_b32 v7, 2, v3
	s_sub_co_i32 s11, s3, s11
	s_delay_alu instid0(SALU_CYCLE_1)
	s_min_u32 s11, s11, 8
	s_delay_alu instid0(VALU_DEP_1) | instid1(SALU_CYCLE_1)
	v_bfe_u32 v6, v6, 0, s11
	s_delay_alu instid0(VALU_DEP_1)
	v_lshl_or_b32 v6, v6, 4, v7
	v_mov_b32_e32 v7, 1
	ds_add_u32 v6, v7 offset:8192
	v_mov_b32_e32 v6, 0
.LBB2607_215:
	s_or_b32 exec_lo, exec_lo, s0
	s_mov_b32 s11, -1
	s_mov_b32 s12, exec_lo
	s_delay_alu instid0(VALU_DEP_1)
	v_cmpx_gt_i32_e32 10, v6
; %bb.216:
	v_cmp_eq_u32_e64 s0, 0, v6
	s_or_not1_b32 s11, s0, exec_lo
; %bb.217:
	s_or_b32 exec_lo, exec_lo, s12
	s_delay_alu instid0(SALU_CYCLE_1)
	s_and_b32 exec_lo, exec_lo, s11
	s_cbranch_execz .LBB2607_220
; %bb.218:
	s_add_co_i32 s0, s2, 24
	s_delay_alu instid0(SALU_CYCLE_1) | instskip(SKIP_2) | instid1(SALU_CYCLE_1)
	s_cmp_gt_u32 s3, s0
	s_cselect_b32 s11, -1, 0
	s_xor_b32 s12, vcc_lo, -1
	s_and_b32 s11, s11, s12
	s_delay_alu instid0(SALU_CYCLE_1)
	s_and_b32 exec_lo, exec_lo, s11
	s_cbranch_execz .LBB2607_220
; %bb.219:
	v_dual_lshrrev_b32 v5, s0, v5 :: v_dual_lshlrev_b32 v6, 2, v3
	s_sub_co_i32 s0, s3, s0
	s_delay_alu instid0(SALU_CYCLE_1)
	s_min_u32 s0, s0, 8
	s_delay_alu instid0(VALU_DEP_1) | instid1(SALU_CYCLE_1)
	v_bfe_u32 v5, v5, 0, s0
	s_delay_alu instid0(VALU_DEP_1)
	v_lshl_or_b32 v5, v5, 4, v6
	v_mov_b32_e32 v6, 1
	ds_add_u32 v5, v6 offset:12288
.LBB2607_220:
	s_or_b32 exec_lo, exec_lo, s10
	v_cmp_le_u32_e32 vcc_lo, s1, v4
	v_mov_b32_e32 v4, s9
	s_nor_b32 s1, s8, vcc_lo
	s_delay_alu instid0(SALU_CYCLE_1)
	s_and_saveexec_b32 s0, s1
	s_cbranch_execz .LBB2607_222
; %bb.221:
	v_dual_lshrrev_b32 v4, s2, v2 :: v_dual_lshlrev_b32 v5, 2, v3
	s_sub_co_i32 s1, s3, s2
	s_delay_alu instid0(SALU_CYCLE_1)
	s_min_u32 s1, s1, 8
	s_delay_alu instid0(VALU_DEP_1) | instid1(SALU_CYCLE_1)
	v_bfe_u32 v4, v4, 0, s1
	s_delay_alu instid0(VALU_DEP_1)
	v_lshl_or_b32 v4, v4, 4, v5
	v_mov_b32_e32 v5, 1
	ds_add_u32 v4, v5
	v_mov_b32_e32 v4, 0
.LBB2607_222:
	s_or_b32 exec_lo, exec_lo, s0
	s_mov_b32 s8, -1
	s_mov_b32 s1, exec_lo
	s_delay_alu instid0(VALU_DEP_1)
	v_cmpx_gt_i32_e32 10, v4
; %bb.223:
	v_cmp_eq_u32_e64 s0, 0, v4
	s_or_not1_b32 s8, s0, exec_lo
; %bb.224:
	s_or_b32 exec_lo, exec_lo, s1
	s_and_saveexec_b32 s1, s8
	s_cbranch_execz .LBB2607_237
; %bb.225:
	s_add_co_i32 s8, s2, 8
	s_delay_alu instid0(SALU_CYCLE_1) | instskip(SKIP_1) | instid1(SALU_CYCLE_1)
	s_cmp_le_u32 s3, s8
	s_cselect_b32 s0, -1, 0
	s_and_b32 s9, s0, exec_lo
	s_cselect_b32 s9, 8, 10
	s_delay_alu instid0(SALU_CYCLE_1) | instskip(SKIP_1) | instid1(SALU_CYCLE_1)
	v_mov_b32_e32 v4, s9
	s_nor_b32 s9, s0, vcc_lo
	s_and_saveexec_b32 s0, s9
	s_cbranch_execz .LBB2607_227
; %bb.226:
	v_dual_lshrrev_b32 v4, s8, v2 :: v_dual_lshlrev_b32 v5, 2, v3
	s_sub_co_i32 s8, s3, s8
	s_delay_alu instid0(SALU_CYCLE_1)
	s_min_u32 s8, s8, 8
	s_delay_alu instid0(VALU_DEP_1) | instid1(SALU_CYCLE_1)
	v_bfe_u32 v4, v4, 0, s8
	s_delay_alu instid0(VALU_DEP_1)
	v_lshl_or_b32 v4, v4, 4, v5
	v_mov_b32_e32 v5, 1
	ds_add_u32 v4, v5 offset:4096
	v_mov_b32_e32 v4, 0
.LBB2607_227:
	s_or_b32 exec_lo, exec_lo, s0
	s_mov_b32 s8, -1
	s_mov_b32 s9, exec_lo
	s_delay_alu instid0(VALU_DEP_1)
	v_cmpx_gt_i32_e32 10, v4
; %bb.228:
	v_cmp_eq_u32_e64 s0, 0, v4
	s_or_not1_b32 s8, s0, exec_lo
; %bb.229:
	s_or_b32 exec_lo, exec_lo, s9
	s_delay_alu instid0(SALU_CYCLE_1)
	s_and_b32 exec_lo, exec_lo, s8
	s_cbranch_execz .LBB2607_237
; %bb.230:
	s_add_co_i32 s8, s2, 16
	s_delay_alu instid0(SALU_CYCLE_1) | instskip(SKIP_1) | instid1(SALU_CYCLE_1)
	s_cmp_le_u32 s3, s8
	s_cselect_b32 s0, -1, 0
	s_and_b32 s9, s0, exec_lo
	s_cselect_b32 s9, 8, 10
	s_delay_alu instid0(SALU_CYCLE_1) | instskip(SKIP_1) | instid1(SALU_CYCLE_1)
	v_mov_b32_e32 v4, s9
	s_nor_b32 s9, s0, vcc_lo
	s_and_saveexec_b32 s0, s9
	s_cbranch_execz .LBB2607_232
; %bb.231:
	v_dual_lshrrev_b32 v4, s8, v2 :: v_dual_lshlrev_b32 v5, 2, v3
	s_sub_co_i32 s8, s3, s8
	s_delay_alu instid0(SALU_CYCLE_1)
	s_min_u32 s8, s8, 8
	s_delay_alu instid0(VALU_DEP_1) | instid1(SALU_CYCLE_1)
	v_bfe_u32 v4, v4, 0, s8
	s_delay_alu instid0(VALU_DEP_1)
	v_lshl_or_b32 v4, v4, 4, v5
	v_mov_b32_e32 v5, 1
	ds_add_u32 v4, v5 offset:8192
	v_mov_b32_e32 v4, 0
.LBB2607_232:
	s_or_b32 exec_lo, exec_lo, s0
	s_mov_b32 s8, -1
	s_mov_b32 s9, exec_lo
	s_delay_alu instid0(VALU_DEP_1)
	v_cmpx_gt_i32_e32 10, v4
; %bb.233:
	v_cmp_eq_u32_e64 s0, 0, v4
	s_or_not1_b32 s8, s0, exec_lo
; %bb.234:
	s_or_b32 exec_lo, exec_lo, s9
	s_delay_alu instid0(SALU_CYCLE_1)
	s_and_b32 exec_lo, exec_lo, s8
	s_cbranch_execz .LBB2607_237
; %bb.235:
	s_add_co_i32 s0, s2, 24
	s_delay_alu instid0(SALU_CYCLE_1) | instskip(SKIP_2) | instid1(SALU_CYCLE_1)
	s_cmp_gt_u32 s3, s0
	s_cselect_b32 s8, -1, 0
	s_xor_b32 s9, vcc_lo, -1
	s_and_b32 s8, s8, s9
	s_delay_alu instid0(SALU_CYCLE_1)
	s_and_b32 exec_lo, exec_lo, s8
	s_cbranch_execz .LBB2607_237
; %bb.236:
	v_dual_lshrrev_b32 v2, s0, v2 :: v_dual_lshlrev_b32 v3, 2, v3
	s_sub_co_i32 s0, s3, s0
	s_delay_alu instid0(SALU_CYCLE_1)
	s_min_u32 s0, s0, 8
	s_delay_alu instid0(VALU_DEP_1) | instid1(SALU_CYCLE_1)
	v_bfe_u32 v2, v2, 0, s0
	s_delay_alu instid0(VALU_DEP_1)
	v_lshl_or_b32 v2, v2, 4, v3
	v_mov_b32_e32 v3, 1
	ds_add_u32 v2, v3 offset:12288
.LBB2607_237:
	s_or_b32 exec_lo, exec_lo, s1
	s_cmp_gt_u32 s3, s2
	s_wait_dscnt 0x0
	s_barrier_signal -1
	s_barrier_wait -1
	s_cbranch_scc0 .LBB2607_242
; %bb.238:
	v_mad_u32_u24 v1, v0, 12, v1
	v_dual_mov_b32 v3, 0 :: v_dual_mov_b32 v4, v0
	s_mov_b32 s0, s2
	v_cmp_gt_u32_e32 vcc_lo, 0x100, v0
	s_branch .LBB2607_240
.LBB2607_239:                           ;   in Loop: Header=BB2607_240 Depth=1
	s_wait_xcnt 0x0
	s_or_b32 exec_lo, exec_lo, s1
	v_add_nc_u32_e32 v4, 0x100, v4
	v_add_nc_u32_e32 v1, 0x1000, v1
	s_add_co_i32 s0, s0, 8
	s_delay_alu instid0(SALU_CYCLE_1)
	s_cmp_lt_u32 s0, s3
	s_cbranch_scc0 .LBB2607_242
.LBB2607_240:                           ; =>This Inner Loop Header: Depth=1
	s_and_saveexec_b32 s1, vcc_lo
	s_cbranch_execz .LBB2607_239
; %bb.241:                              ;   in Loop: Header=BB2607_240 Depth=1
	ds_load_2addr_b32 v[6:7], v1 offset1:1
	ds_load_2addr_b32 v[8:9], v1 offset0:2 offset1:3
	s_wait_dscnt 0x1
	v_add_nc_u32_e32 v2, v7, v6
	s_wait_dscnt 0x0
	s_delay_alu instid0(VALU_DEP_1)
	v_add3_u32 v2, v2, v8, v9
	global_atomic_add_u64 v4, v[2:3], s[6:7] scale_offset scope:SCOPE_DEV
	s_branch .LBB2607_239
.LBB2607_242:
	s_mov_b32 s9, 0
.LBB2607_243:
	s_delay_alu instid0(SALU_CYCLE_1)
	s_and_b32 vcc_lo, exec_lo, s9
	s_cbranch_vccz .LBB2607_343
; %bb.244:
	s_clause 0xb
	global_load_b32 v10, v0, s[4:5] scale_offset
	global_load_b32 v11, v0, s[4:5] offset:2048 scale_offset
	global_load_b32 v12, v0, s[4:5] offset:4096 scale_offset
	global_load_b32 v13, v0, s[4:5] offset:6144 scale_offset
	global_load_b32 v14, v0, s[4:5] offset:8192 scale_offset
	global_load_b32 v7, v0, s[4:5] offset:10240 scale_offset
	global_load_b32 v8, v0, s[4:5] offset:12288 scale_offset
	global_load_b32 v9, v0, s[4:5] offset:14336 scale_offset
	global_load_b32 v6, v0, s[4:5] offset:16384 scale_offset
	global_load_b32 v5, v0, s[4:5] offset:18432 scale_offset
	global_load_b32 v1, v0, s[4:5] offset:20480 scale_offset
	global_load_b32 v4, v0, s[4:5] offset:22528 scale_offset
	s_cmp_eq_u32 s2, 0
	v_dual_mov_b32 v2, 0 :: v_dual_lshlrev_b32 v15, 2, v0
	s_cselect_b32 s0, -1, 0
	s_cmp_eq_u32 s3, 32
	s_wait_xcnt 0x0
	v_cmp_gt_u32_e64 s4, 7, 3
	s_cselect_b32 s1, -1, 0
	s_delay_alu instid0(SALU_CYCLE_1)
	s_and_b32 s0, s0, s1
	s_mov_b32 s1, -1
	s_and_b32 vcc_lo, exec_lo, s0
	v_cmp_gt_u32_e64 s0, 7, 4
	s_cbranch_vccnz .LBB2607_332
; %bb.245:
	ds_store_2addr_stride64_b32 v15, v2, v2 offset1:8
	ds_store_2addr_stride64_b32 v15, v2, v2 offset0:16 offset1:24
	s_and_saveexec_b32 s1, s4
; %bb.246:
	v_mov_b32_e32 v2, 0
	ds_store_b32 v15, v2 offset:8192
; %bb.247:
	s_or_b32 exec_lo, exec_lo, s1
	s_and_saveexec_b32 s1, s0
; %bb.248:
	v_mov_b32_e32 v2, 0
	ds_store_b32 v15, v2 offset:10240
; %bb.249:
	s_or_b32 exec_lo, exec_lo, s1
	v_cmp_gt_u32_e64 s0, 7, 6
	s_mov_b32 s1, exec_lo
	v_cmpx_gt_u32_e64 7, 5
; %bb.250:
	v_mov_b32_e32 v2, 0
	ds_store_b32 v15, v2 offset:12288
; %bb.251:
	s_or_b32 exec_lo, exec_lo, s1
	s_and_saveexec_b32 s1, s0
; %bb.252:
	v_mov_b32_e32 v2, 0
	ds_store_b32 v15, v2 offset:14336
; %bb.253:
	s_or_b32 exec_lo, exec_lo, s1
	s_cmp_gt_u32 s3, s2
	s_wait_storecnt 0x0
	s_wait_loadcnt_dscnt 0x0
	s_cselect_b32 s0, -1, 0
	s_barrier_signal -1
	s_and_b32 vcc_lo, exec_lo, s0
	s_barrier_wait -1
	s_cbranch_vccz .LBB2607_326
; %bb.254:
	v_not_b32_e32 v17, v10
	s_sub_co_i32 s1, s3, s2
	v_and_b32_e32 v2, 3, v0
	s_min_u32 s1, s1, 8
	s_mov_b32 s9, -1
	v_lshrrev_b32_e32 v16, s2, v17
	s_lshl_b32 s4, -1, s1
	v_dual_mov_b32 v18, 1 :: v_dual_lshlrev_b32 v3, 2, v2
	s_add_co_i32 s1, s2, 8
	s_delay_alu instid0(VALU_DEP_2) | instskip(SKIP_3) | instid1(VALU_DEP_1)
	v_bitop3_b32 v16, v16, s4, v16 bitop3:0x30
	s_not_b32 s4, s4
	s_cmp_le_u32 s3, s1
	s_cselect_b32 s5, -1, 0
	v_lshl_or_b32 v16, v16, 4, v3
	s_and_b32 vcc_lo, exec_lo, s5
	ds_add_u32 v16, v18
	v_not_b32_e32 v16, v11
	s_delay_alu instid0(VALU_DEP_1) | instskip(NEXT) | instid1(VALU_DEP_1)
	v_lshrrev_b32_e32 v18, s2, v16
	v_and_b32_e32 v18, s4, v18
	s_cbranch_vccz .LBB2607_256
; %bb.255:
	s_delay_alu instid0(VALU_DEP_1)
	v_lshlrev_b32_e32 v19, 4, v18
	s_mov_b32 s8, -1
	s_cbranch_execz .LBB2607_257
	s_branch .LBB2607_264
.LBB2607_256:
	s_mov_b32 s8, 0
                                        ; implicit-def: $vgpr19
	s_and_not1_b32 vcc_lo, exec_lo, s9
	s_cbranch_vccnz .LBB2607_264
.LBB2607_257:
	s_sub_co_i32 s9, s3, s1
	v_lshrrev_b32_e32 v19, s1, v17
	s_min_u32 s9, s9, 8
	s_delay_alu instid0(SALU_CYCLE_1) | instskip(SKIP_1) | instid1(VALU_DEP_1)
	s_lshl_b32 s10, -1, s9
	s_add_co_i32 s9, s2, 16
	v_bitop3_b32 v19, v19, s10, v19 bitop3:0x30
	s_not_b32 s11, s10
	s_cmp_gt_u32 s3, s9
	s_cselect_b32 s10, -1, 0
	s_delay_alu instid0(VALU_DEP_1)
	v_lshl_or_b32 v20, v19, 4, v3
	v_mov_b32_e32 v19, 1
	s_cmp_le_u32 s3, s9
	ds_add_u32 v20, v19 offset:4096
	s_cbranch_scc1 .LBB2607_260
; %bb.258:
	v_lshrrev_b32_e32 v20, s9, v17
	s_sub_co_i32 s12, s3, s9
	s_delay_alu instid0(SALU_CYCLE_1)
	s_min_u32 s12, s12, 8
	s_delay_alu instid0(VALU_DEP_1) | instid1(SALU_CYCLE_1)
	v_bfe_u32 v20, v20, 0, s12
	s_add_co_i32 s12, s2, 24
	s_delay_alu instid0(SALU_CYCLE_1) | instskip(NEXT) | instid1(VALU_DEP_1)
	s_cmp_le_u32 s3, s12
	v_lshl_or_b32 v20, v20, 4, v3
	ds_add_u32 v20, v19 offset:8192
	s_cbranch_scc1 .LBB2607_260
; %bb.259:
	v_dual_mov_b32 v20, 1 :: v_dual_lshrrev_b32 v17, s12, v17
	s_sub_co_i32 s12, s3, s12
	s_delay_alu instid0(SALU_CYCLE_1)
	s_min_u32 s12, s12, 8
	s_delay_alu instid0(VALU_DEP_1) | instid1(SALU_CYCLE_1)
	v_bfe_u32 v17, v17, 0, s12
	s_delay_alu instid0(VALU_DEP_1)
	v_lshl_or_b32 v17, v17, 4, v3
	ds_add_u32 v17, v20 offset:12288
.LBB2607_260:
	v_lshrrev_b32_e32 v17, s1, v16
	v_lshl_or_b32 v18, v18, 4, v3
	s_and_not1_b32 vcc_lo, exec_lo, s10
	s_delay_alu instid0(VALU_DEP_2) | instskip(NEXT) | instid1(VALU_DEP_1)
	v_and_b32_e32 v17, s11, v17
	v_lshl_or_b32 v17, v17, 4, v3
	ds_add_u32 v18, v19
	ds_add_u32 v17, v19 offset:4096
	s_cbranch_vccnz .LBB2607_263
; %bb.261:
	v_dual_mov_b32 v18, 1 :: v_dual_lshrrev_b32 v17, s9, v16
	s_sub_co_i32 s9, s3, s9
                                        ; implicit-def: $vgpr19
	s_delay_alu instid0(SALU_CYCLE_1)
	s_min_u32 s9, s9, 8
	s_delay_alu instid0(VALU_DEP_1) | instid1(SALU_CYCLE_1)
	v_bfe_u32 v17, v17, 0, s9
	s_add_co_i32 s9, s2, 24
	s_delay_alu instid0(SALU_CYCLE_1) | instskip(NEXT) | instid1(VALU_DEP_1)
	s_cmp_gt_u32 s3, s9
	v_lshl_or_b32 v17, v17, 4, v3
	ds_add_u32 v17, v18 offset:8192
	s_cbranch_scc0 .LBB2607_264
; %bb.262:
	v_lshrrev_b32_e32 v16, s9, v16
	s_sub_co_i32 s8, s3, s9
	s_delay_alu instid0(SALU_CYCLE_1)
	s_min_u32 s8, s8, 8
	s_delay_alu instid0(VALU_DEP_1) | instid1(SALU_CYCLE_1)
	v_bfe_u32 v16, v16, 0, s8
	s_mov_b32 s8, -1
	s_delay_alu instid0(VALU_DEP_1)
	v_lshl_add_u32 v19, v16, 4, 0x3000
	s_branch .LBB2607_264
.LBB2607_263:
                                        ; implicit-def: $vgpr19
.LBB2607_264:
	s_and_b32 vcc_lo, exec_lo, s8
	s_cbranch_vccz .LBB2607_266
; %bb.265:
	s_delay_alu instid0(VALU_DEP_1)
	v_lshl_add_u32 v16, v2, 2, v19
	v_mov_b32_e32 v17, 1
	ds_add_u32 v16, v17
.LBB2607_266:
	v_not_b32_e32 v18, v12
	s_and_b32 vcc_lo, exec_lo, s5
	s_delay_alu instid0(VALU_DEP_1) | instskip(NEXT) | instid1(VALU_DEP_1)
	v_dual_mov_b32 v17, 1 :: v_dual_lshrrev_b32 v16, s2, v18
	v_and_b32_e32 v16, s4, v16
	s_delay_alu instid0(VALU_DEP_1) | instskip(SKIP_2) | instid1(VALU_DEP_1)
	v_lshl_or_b32 v16, v16, 4, v3
	ds_add_u32 v16, v17
	v_not_b32_e32 v16, v13
	v_lshrrev_b32_e32 v17, s2, v16
	s_delay_alu instid0(VALU_DEP_1)
	v_and_b32_e32 v17, s4, v17
	s_cbranch_vccz .LBB2607_268
; %bb.267:
	s_delay_alu instid0(VALU_DEP_1)
	v_lshlrev_b32_e32 v19, 4, v17
	s_mov_b32 s8, -1
	s_cbranch_execz .LBB2607_269
	s_branch .LBB2607_276
.LBB2607_268:
	s_mov_b32 s8, 0
                                        ; implicit-def: $vgpr19
.LBB2607_269:
	s_sub_co_i32 s9, s3, s1
	v_lshrrev_b32_e32 v19, s1, v18
	s_min_u32 s9, s9, 8
	s_delay_alu instid0(SALU_CYCLE_1) | instskip(SKIP_1) | instid1(VALU_DEP_1)
	s_lshl_b32 s10, -1, s9
	s_add_co_i32 s9, s2, 16
	v_bitop3_b32 v19, v19, s10, v19 bitop3:0x30
	s_not_b32 s11, s10
	s_cmp_gt_u32 s3, s9
	s_cselect_b32 s10, -1, 0
	s_delay_alu instid0(VALU_DEP_1)
	v_lshl_or_b32 v20, v19, 4, v3
	v_mov_b32_e32 v19, 1
	s_cmp_le_u32 s3, s9
	ds_add_u32 v20, v19 offset:4096
	s_cbranch_scc1 .LBB2607_272
; %bb.270:
	v_lshrrev_b32_e32 v20, s9, v18
	s_sub_co_i32 s12, s3, s9
	s_delay_alu instid0(SALU_CYCLE_1)
	s_min_u32 s12, s12, 8
	s_delay_alu instid0(VALU_DEP_1) | instid1(SALU_CYCLE_1)
	v_bfe_u32 v20, v20, 0, s12
	s_add_co_i32 s12, s2, 24
	s_delay_alu instid0(SALU_CYCLE_1) | instskip(NEXT) | instid1(VALU_DEP_1)
	s_cmp_le_u32 s3, s12
	v_lshl_or_b32 v20, v20, 4, v3
	ds_add_u32 v20, v19 offset:8192
	s_cbranch_scc1 .LBB2607_272
; %bb.271:
	v_dual_lshrrev_b32 v18, s12, v18 :: v_dual_mov_b32 v20, 1
	s_sub_co_i32 s12, s3, s12
	s_delay_alu instid0(SALU_CYCLE_1)
	s_min_u32 s12, s12, 8
	s_delay_alu instid0(VALU_DEP_1) | instid1(SALU_CYCLE_1)
	v_bfe_u32 v18, v18, 0, s12
	s_delay_alu instid0(VALU_DEP_1)
	v_lshl_or_b32 v18, v18, 4, v3
	ds_add_u32 v18, v20 offset:12288
.LBB2607_272:
	v_lshrrev_b32_e32 v18, s1, v16
	v_lshl_or_b32 v17, v17, 4, v3
	s_and_not1_b32 vcc_lo, exec_lo, s10
	s_delay_alu instid0(VALU_DEP_2) | instskip(NEXT) | instid1(VALU_DEP_1)
	v_and_b32_e32 v18, s11, v18
	v_lshl_or_b32 v18, v18, 4, v3
	ds_add_u32 v17, v19
	ds_add_u32 v18, v19 offset:4096
	s_cbranch_vccnz .LBB2607_275
; %bb.273:
	v_dual_mov_b32 v18, 1 :: v_dual_lshrrev_b32 v17, s9, v16
	s_sub_co_i32 s9, s3, s9
                                        ; implicit-def: $vgpr19
	s_delay_alu instid0(SALU_CYCLE_1)
	s_min_u32 s9, s9, 8
	s_delay_alu instid0(VALU_DEP_1) | instid1(SALU_CYCLE_1)
	v_bfe_u32 v17, v17, 0, s9
	s_add_co_i32 s9, s2, 24
	s_delay_alu instid0(SALU_CYCLE_1) | instskip(NEXT) | instid1(VALU_DEP_1)
	s_cmp_gt_u32 s3, s9
	v_lshl_or_b32 v17, v17, 4, v3
	ds_add_u32 v17, v18 offset:8192
	s_cbranch_scc0 .LBB2607_276
; %bb.274:
	v_lshrrev_b32_e32 v16, s9, v16
	s_sub_co_i32 s8, s3, s9
	s_delay_alu instid0(SALU_CYCLE_1)
	s_min_u32 s8, s8, 8
	s_delay_alu instid0(VALU_DEP_1) | instid1(SALU_CYCLE_1)
	v_bfe_u32 v16, v16, 0, s8
	s_mov_b32 s8, -1
	s_delay_alu instid0(VALU_DEP_1)
	v_lshl_add_u32 v19, v16, 4, 0x3000
	s_branch .LBB2607_276
.LBB2607_275:
                                        ; implicit-def: $vgpr19
.LBB2607_276:
	s_and_b32 vcc_lo, exec_lo, s8
	s_cbranch_vccz .LBB2607_278
; %bb.277:
	s_delay_alu instid0(VALU_DEP_1)
	v_lshl_add_u32 v16, v2, 2, v19
	v_mov_b32_e32 v17, 1
	ds_add_u32 v16, v17
.LBB2607_278:
	v_not_b32_e32 v18, v14
	s_and_b32 vcc_lo, exec_lo, s5
	s_delay_alu instid0(VALU_DEP_1) | instskip(NEXT) | instid1(VALU_DEP_1)
	v_dual_mov_b32 v17, 1 :: v_dual_lshrrev_b32 v16, s2, v18
	v_and_b32_e32 v16, s4, v16
	s_delay_alu instid0(VALU_DEP_1) | instskip(SKIP_2) | instid1(VALU_DEP_1)
	v_lshl_or_b32 v16, v16, 4, v3
	ds_add_u32 v16, v17
	v_not_b32_e32 v16, v7
	v_lshrrev_b32_e32 v17, s2, v16
	s_delay_alu instid0(VALU_DEP_1)
	v_and_b32_e32 v17, s4, v17
	s_cbranch_vccz .LBB2607_280
; %bb.279:
	s_delay_alu instid0(VALU_DEP_1)
	v_lshlrev_b32_e32 v19, 4, v17
	s_mov_b32 s8, -1
	s_cbranch_execz .LBB2607_281
	s_branch .LBB2607_288
.LBB2607_280:
	s_mov_b32 s8, 0
                                        ; implicit-def: $vgpr19
.LBB2607_281:
	s_sub_co_i32 s9, s3, s1
	v_lshrrev_b32_e32 v19, s1, v18
	s_min_u32 s9, s9, 8
	s_delay_alu instid0(SALU_CYCLE_1) | instskip(SKIP_1) | instid1(VALU_DEP_1)
	s_lshl_b32 s10, -1, s9
	s_add_co_i32 s9, s2, 16
	v_bitop3_b32 v19, v19, s10, v19 bitop3:0x30
	s_not_b32 s11, s10
	s_cmp_gt_u32 s3, s9
	s_cselect_b32 s10, -1, 0
	s_delay_alu instid0(VALU_DEP_1)
	v_lshl_or_b32 v20, v19, 4, v3
	v_mov_b32_e32 v19, 1
	s_cmp_le_u32 s3, s9
	ds_add_u32 v20, v19 offset:4096
	s_cbranch_scc1 .LBB2607_284
; %bb.282:
	v_lshrrev_b32_e32 v20, s9, v18
	s_sub_co_i32 s12, s3, s9
	s_delay_alu instid0(SALU_CYCLE_1)
	s_min_u32 s12, s12, 8
	s_delay_alu instid0(VALU_DEP_1) | instid1(SALU_CYCLE_1)
	v_bfe_u32 v20, v20, 0, s12
	s_add_co_i32 s12, s2, 24
	s_delay_alu instid0(SALU_CYCLE_1) | instskip(NEXT) | instid1(VALU_DEP_1)
	s_cmp_le_u32 s3, s12
	v_lshl_or_b32 v20, v20, 4, v3
	ds_add_u32 v20, v19 offset:8192
	s_cbranch_scc1 .LBB2607_284
; %bb.283:
	v_dual_lshrrev_b32 v18, s12, v18 :: v_dual_mov_b32 v20, 1
	s_sub_co_i32 s12, s3, s12
	s_delay_alu instid0(SALU_CYCLE_1)
	s_min_u32 s12, s12, 8
	s_delay_alu instid0(VALU_DEP_1) | instid1(SALU_CYCLE_1)
	v_bfe_u32 v18, v18, 0, s12
	s_delay_alu instid0(VALU_DEP_1)
	v_lshl_or_b32 v18, v18, 4, v3
	ds_add_u32 v18, v20 offset:12288
.LBB2607_284:
	v_lshrrev_b32_e32 v18, s1, v16
	v_lshl_or_b32 v17, v17, 4, v3
	s_and_not1_b32 vcc_lo, exec_lo, s10
	s_delay_alu instid0(VALU_DEP_2) | instskip(NEXT) | instid1(VALU_DEP_1)
	v_and_b32_e32 v18, s11, v18
	v_lshl_or_b32 v18, v18, 4, v3
	ds_add_u32 v17, v19
	ds_add_u32 v18, v19 offset:4096
	s_cbranch_vccnz .LBB2607_287
; %bb.285:
	v_dual_mov_b32 v18, 1 :: v_dual_lshrrev_b32 v17, s9, v16
	s_sub_co_i32 s9, s3, s9
                                        ; implicit-def: $vgpr19
	s_delay_alu instid0(SALU_CYCLE_1)
	s_min_u32 s9, s9, 8
	s_delay_alu instid0(VALU_DEP_1) | instid1(SALU_CYCLE_1)
	v_bfe_u32 v17, v17, 0, s9
	s_add_co_i32 s9, s2, 24
	s_delay_alu instid0(SALU_CYCLE_1) | instskip(NEXT) | instid1(VALU_DEP_1)
	s_cmp_gt_u32 s3, s9
	v_lshl_or_b32 v17, v17, 4, v3
	ds_add_u32 v17, v18 offset:8192
	s_cbranch_scc0 .LBB2607_288
; %bb.286:
	v_lshrrev_b32_e32 v16, s9, v16
	s_sub_co_i32 s8, s3, s9
	s_delay_alu instid0(SALU_CYCLE_1)
	s_min_u32 s8, s8, 8
	s_delay_alu instid0(VALU_DEP_1) | instid1(SALU_CYCLE_1)
	v_bfe_u32 v16, v16, 0, s8
	s_mov_b32 s8, -1
	s_delay_alu instid0(VALU_DEP_1)
	v_lshl_add_u32 v19, v16, 4, 0x3000
	s_branch .LBB2607_288
.LBB2607_287:
                                        ; implicit-def: $vgpr19
.LBB2607_288:
	s_and_b32 vcc_lo, exec_lo, s8
	s_cbranch_vccz .LBB2607_290
; %bb.289:
	s_delay_alu instid0(VALU_DEP_1)
	v_lshl_add_u32 v16, v2, 2, v19
	v_mov_b32_e32 v17, 1
	ds_add_u32 v16, v17
.LBB2607_290:
	v_not_b32_e32 v18, v8
	s_and_b32 vcc_lo, exec_lo, s5
	s_delay_alu instid0(VALU_DEP_1) | instskip(NEXT) | instid1(VALU_DEP_1)
	v_dual_mov_b32 v17, 1 :: v_dual_lshrrev_b32 v16, s2, v18
	v_and_b32_e32 v16, s4, v16
	s_delay_alu instid0(VALU_DEP_1) | instskip(SKIP_2) | instid1(VALU_DEP_1)
	v_lshl_or_b32 v16, v16, 4, v3
	ds_add_u32 v16, v17
	v_not_b32_e32 v16, v9
	v_lshrrev_b32_e32 v17, s2, v16
	s_delay_alu instid0(VALU_DEP_1)
	v_and_b32_e32 v17, s4, v17
	s_cbranch_vccz .LBB2607_292
; %bb.291:
	s_delay_alu instid0(VALU_DEP_1)
	v_lshlrev_b32_e32 v19, 4, v17
	s_mov_b32 s8, -1
	s_cbranch_execz .LBB2607_293
	s_branch .LBB2607_300
.LBB2607_292:
	s_mov_b32 s8, 0
                                        ; implicit-def: $vgpr19
.LBB2607_293:
	s_sub_co_i32 s9, s3, s1
	v_lshrrev_b32_e32 v19, s1, v18
	s_min_u32 s9, s9, 8
	s_delay_alu instid0(SALU_CYCLE_1) | instskip(SKIP_1) | instid1(VALU_DEP_1)
	s_lshl_b32 s10, -1, s9
	s_add_co_i32 s9, s2, 16
	v_bitop3_b32 v19, v19, s10, v19 bitop3:0x30
	s_not_b32 s11, s10
	s_cmp_gt_u32 s3, s9
	s_cselect_b32 s10, -1, 0
	s_delay_alu instid0(VALU_DEP_1)
	v_lshl_or_b32 v20, v19, 4, v3
	v_mov_b32_e32 v19, 1
	s_cmp_le_u32 s3, s9
	ds_add_u32 v20, v19 offset:4096
	s_cbranch_scc1 .LBB2607_296
; %bb.294:
	v_lshrrev_b32_e32 v20, s9, v18
	s_sub_co_i32 s12, s3, s9
	s_delay_alu instid0(SALU_CYCLE_1)
	s_min_u32 s12, s12, 8
	s_delay_alu instid0(VALU_DEP_1) | instid1(SALU_CYCLE_1)
	v_bfe_u32 v20, v20, 0, s12
	s_add_co_i32 s12, s2, 24
	s_delay_alu instid0(SALU_CYCLE_1) | instskip(NEXT) | instid1(VALU_DEP_1)
	s_cmp_le_u32 s3, s12
	v_lshl_or_b32 v20, v20, 4, v3
	ds_add_u32 v20, v19 offset:8192
	s_cbranch_scc1 .LBB2607_296
; %bb.295:
	v_dual_lshrrev_b32 v18, s12, v18 :: v_dual_mov_b32 v20, 1
	s_sub_co_i32 s12, s3, s12
	s_delay_alu instid0(SALU_CYCLE_1)
	s_min_u32 s12, s12, 8
	s_delay_alu instid0(VALU_DEP_1) | instid1(SALU_CYCLE_1)
	v_bfe_u32 v18, v18, 0, s12
	s_delay_alu instid0(VALU_DEP_1)
	v_lshl_or_b32 v18, v18, 4, v3
	ds_add_u32 v18, v20 offset:12288
.LBB2607_296:
	v_lshrrev_b32_e32 v18, s1, v16
	v_lshl_or_b32 v17, v17, 4, v3
	s_and_not1_b32 vcc_lo, exec_lo, s10
	s_delay_alu instid0(VALU_DEP_2) | instskip(NEXT) | instid1(VALU_DEP_1)
	v_and_b32_e32 v18, s11, v18
	v_lshl_or_b32 v18, v18, 4, v3
	ds_add_u32 v17, v19
	ds_add_u32 v18, v19 offset:4096
	s_cbranch_vccnz .LBB2607_299
; %bb.297:
	v_dual_mov_b32 v18, 1 :: v_dual_lshrrev_b32 v17, s9, v16
	s_sub_co_i32 s9, s3, s9
                                        ; implicit-def: $vgpr19
	s_delay_alu instid0(SALU_CYCLE_1)
	s_min_u32 s9, s9, 8
	s_delay_alu instid0(VALU_DEP_1) | instid1(SALU_CYCLE_1)
	v_bfe_u32 v17, v17, 0, s9
	s_add_co_i32 s9, s2, 24
	s_delay_alu instid0(SALU_CYCLE_1) | instskip(NEXT) | instid1(VALU_DEP_1)
	s_cmp_gt_u32 s3, s9
	v_lshl_or_b32 v17, v17, 4, v3
	ds_add_u32 v17, v18 offset:8192
	s_cbranch_scc0 .LBB2607_300
; %bb.298:
	v_lshrrev_b32_e32 v16, s9, v16
	s_sub_co_i32 s8, s3, s9
	s_delay_alu instid0(SALU_CYCLE_1)
	s_min_u32 s8, s8, 8
	s_delay_alu instid0(VALU_DEP_1) | instid1(SALU_CYCLE_1)
	v_bfe_u32 v16, v16, 0, s8
	s_mov_b32 s8, -1
	s_delay_alu instid0(VALU_DEP_1)
	v_lshl_add_u32 v19, v16, 4, 0x3000
	s_branch .LBB2607_300
.LBB2607_299:
                                        ; implicit-def: $vgpr19
.LBB2607_300:
	s_and_b32 vcc_lo, exec_lo, s8
	s_cbranch_vccz .LBB2607_302
; %bb.301:
	s_delay_alu instid0(VALU_DEP_1)
	v_lshl_add_u32 v16, v2, 2, v19
	v_mov_b32_e32 v17, 1
	ds_add_u32 v16, v17
.LBB2607_302:
	v_not_b32_e32 v18, v6
	s_and_b32 vcc_lo, exec_lo, s5
	s_delay_alu instid0(VALU_DEP_1) | instskip(NEXT) | instid1(VALU_DEP_1)
	v_dual_mov_b32 v17, 1 :: v_dual_lshrrev_b32 v16, s2, v18
	v_and_b32_e32 v16, s4, v16
	s_delay_alu instid0(VALU_DEP_1) | instskip(SKIP_2) | instid1(VALU_DEP_1)
	v_lshl_or_b32 v16, v16, 4, v3
	ds_add_u32 v16, v17
	v_not_b32_e32 v16, v5
	v_lshrrev_b32_e32 v17, s2, v16
	s_delay_alu instid0(VALU_DEP_1)
	v_and_b32_e32 v17, s4, v17
	s_cbranch_vccz .LBB2607_304
; %bb.303:
	s_delay_alu instid0(VALU_DEP_1)
	v_lshlrev_b32_e32 v19, 4, v17
	s_mov_b32 s8, -1
	s_cbranch_execz .LBB2607_305
	s_branch .LBB2607_312
.LBB2607_304:
	s_mov_b32 s8, 0
                                        ; implicit-def: $vgpr19
.LBB2607_305:
	s_sub_co_i32 s9, s3, s1
	v_lshrrev_b32_e32 v19, s1, v18
	s_min_u32 s9, s9, 8
	s_delay_alu instid0(SALU_CYCLE_1) | instskip(SKIP_1) | instid1(VALU_DEP_1)
	s_lshl_b32 s10, -1, s9
	s_add_co_i32 s9, s2, 16
	v_bitop3_b32 v19, v19, s10, v19 bitop3:0x30
	s_not_b32 s11, s10
	s_cmp_gt_u32 s3, s9
	s_cselect_b32 s10, -1, 0
	s_delay_alu instid0(VALU_DEP_1)
	v_lshl_or_b32 v20, v19, 4, v3
	v_mov_b32_e32 v19, 1
	s_cmp_le_u32 s3, s9
	ds_add_u32 v20, v19 offset:4096
	s_cbranch_scc1 .LBB2607_308
; %bb.306:
	v_lshrrev_b32_e32 v20, s9, v18
	s_sub_co_i32 s12, s3, s9
	s_delay_alu instid0(SALU_CYCLE_1)
	s_min_u32 s12, s12, 8
	s_delay_alu instid0(VALU_DEP_1) | instid1(SALU_CYCLE_1)
	v_bfe_u32 v20, v20, 0, s12
	s_add_co_i32 s12, s2, 24
	s_delay_alu instid0(SALU_CYCLE_1) | instskip(NEXT) | instid1(VALU_DEP_1)
	s_cmp_le_u32 s3, s12
	v_lshl_or_b32 v20, v20, 4, v3
	ds_add_u32 v20, v19 offset:8192
	s_cbranch_scc1 .LBB2607_308
; %bb.307:
	v_dual_lshrrev_b32 v18, s12, v18 :: v_dual_mov_b32 v20, 1
	s_sub_co_i32 s12, s3, s12
	s_delay_alu instid0(SALU_CYCLE_1)
	s_min_u32 s12, s12, 8
	s_delay_alu instid0(VALU_DEP_1) | instid1(SALU_CYCLE_1)
	v_bfe_u32 v18, v18, 0, s12
	s_delay_alu instid0(VALU_DEP_1)
	v_lshl_or_b32 v18, v18, 4, v3
	ds_add_u32 v18, v20 offset:12288
.LBB2607_308:
	v_lshrrev_b32_e32 v18, s1, v16
	v_lshl_or_b32 v17, v17, 4, v3
	s_and_not1_b32 vcc_lo, exec_lo, s10
	s_delay_alu instid0(VALU_DEP_2) | instskip(NEXT) | instid1(VALU_DEP_1)
	v_and_b32_e32 v18, s11, v18
	v_lshl_or_b32 v18, v18, 4, v3
	ds_add_u32 v17, v19
	ds_add_u32 v18, v19 offset:4096
	s_cbranch_vccnz .LBB2607_311
; %bb.309:
	v_dual_mov_b32 v18, 1 :: v_dual_lshrrev_b32 v17, s9, v16
	s_sub_co_i32 s9, s3, s9
                                        ; implicit-def: $vgpr19
	s_delay_alu instid0(SALU_CYCLE_1)
	s_min_u32 s9, s9, 8
	s_delay_alu instid0(VALU_DEP_1) | instid1(SALU_CYCLE_1)
	v_bfe_u32 v17, v17, 0, s9
	s_add_co_i32 s9, s2, 24
	s_delay_alu instid0(SALU_CYCLE_1) | instskip(NEXT) | instid1(VALU_DEP_1)
	s_cmp_gt_u32 s3, s9
	v_lshl_or_b32 v17, v17, 4, v3
	ds_add_u32 v17, v18 offset:8192
	s_cbranch_scc0 .LBB2607_312
; %bb.310:
	v_lshrrev_b32_e32 v16, s9, v16
	s_sub_co_i32 s8, s3, s9
	s_delay_alu instid0(SALU_CYCLE_1)
	s_min_u32 s8, s8, 8
	s_delay_alu instid0(VALU_DEP_1) | instid1(SALU_CYCLE_1)
	v_bfe_u32 v16, v16, 0, s8
	s_mov_b32 s8, -1
	s_delay_alu instid0(VALU_DEP_1)
	v_lshl_add_u32 v19, v16, 4, 0x3000
	s_branch .LBB2607_312
.LBB2607_311:
                                        ; implicit-def: $vgpr19
.LBB2607_312:
	s_and_b32 vcc_lo, exec_lo, s8
	s_cbranch_vccz .LBB2607_314
; %bb.313:
	s_delay_alu instid0(VALU_DEP_1)
	v_lshl_add_u32 v16, v2, 2, v19
	v_mov_b32_e32 v17, 1
	ds_add_u32 v16, v17
.LBB2607_314:
	v_not_b32_e32 v18, v1
	s_and_b32 vcc_lo, exec_lo, s5
	s_delay_alu instid0(VALU_DEP_1) | instskip(NEXT) | instid1(VALU_DEP_1)
	v_dual_mov_b32 v17, 1 :: v_dual_lshrrev_b32 v16, s2, v18
	v_and_b32_e32 v16, s4, v16
	s_delay_alu instid0(VALU_DEP_1) | instskip(SKIP_2) | instid1(VALU_DEP_1)
	v_lshl_or_b32 v16, v16, 4, v3
	ds_add_u32 v16, v17
	v_not_b32_e32 v16, v4
	v_lshrrev_b32_e32 v17, s2, v16
	s_delay_alu instid0(VALU_DEP_1)
	v_and_b32_e32 v17, s4, v17
	s_cbranch_vccz .LBB2607_316
; %bb.315:
	s_delay_alu instid0(VALU_DEP_1)
	v_lshlrev_b32_e32 v19, 4, v17
	s_mov_b32 s4, -1
	s_cbranch_execz .LBB2607_317
	s_branch .LBB2607_324
.LBB2607_316:
	s_mov_b32 s4, 0
                                        ; implicit-def: $vgpr19
.LBB2607_317:
	s_sub_co_i32 s5, s3, s1
	v_lshrrev_b32_e32 v19, s1, v18
	s_min_u32 s5, s5, 8
	s_delay_alu instid0(SALU_CYCLE_1) | instskip(SKIP_1) | instid1(VALU_DEP_1)
	s_lshl_b32 s8, -1, s5
	s_add_co_i32 s5, s2, 16
	v_bitop3_b32 v19, v19, s8, v19 bitop3:0x30
	s_not_b32 s9, s8
	s_cmp_gt_u32 s3, s5
	s_cselect_b32 s8, -1, 0
	s_delay_alu instid0(VALU_DEP_1)
	v_lshl_or_b32 v20, v19, 4, v3
	v_mov_b32_e32 v19, 1
	s_cmp_le_u32 s3, s5
	ds_add_u32 v20, v19 offset:4096
	s_cbranch_scc1 .LBB2607_320
; %bb.318:
	v_lshrrev_b32_e32 v20, s5, v18
	s_sub_co_i32 s10, s3, s5
	s_delay_alu instid0(SALU_CYCLE_1)
	s_min_u32 s10, s10, 8
	s_delay_alu instid0(VALU_DEP_1) | instid1(SALU_CYCLE_1)
	v_bfe_u32 v20, v20, 0, s10
	s_add_co_i32 s10, s2, 24
	s_delay_alu instid0(SALU_CYCLE_1) | instskip(NEXT) | instid1(VALU_DEP_1)
	s_cmp_le_u32 s3, s10
	v_lshl_or_b32 v20, v20, 4, v3
	ds_add_u32 v20, v19 offset:8192
	s_cbranch_scc1 .LBB2607_320
; %bb.319:
	v_dual_lshrrev_b32 v18, s10, v18 :: v_dual_mov_b32 v20, 1
	s_sub_co_i32 s10, s3, s10
	s_delay_alu instid0(SALU_CYCLE_1)
	s_min_u32 s10, s10, 8
	s_delay_alu instid0(VALU_DEP_1) | instid1(SALU_CYCLE_1)
	v_bfe_u32 v18, v18, 0, s10
	s_delay_alu instid0(VALU_DEP_1)
	v_lshl_or_b32 v18, v18, 4, v3
	ds_add_u32 v18, v20 offset:12288
.LBB2607_320:
	v_lshrrev_b32_e32 v18, s1, v16
	v_lshl_or_b32 v17, v17, 4, v3
	s_and_not1_b32 vcc_lo, exec_lo, s8
	s_delay_alu instid0(VALU_DEP_2) | instskip(NEXT) | instid1(VALU_DEP_1)
	v_and_b32_e32 v18, s9, v18
	v_lshl_or_b32 v18, v18, 4, v3
	ds_add_u32 v17, v19
	ds_add_u32 v18, v19 offset:4096
	s_cbranch_vccnz .LBB2607_323
; %bb.321:
	v_lshrrev_b32_e32 v17, s5, v16
	s_sub_co_i32 s1, s3, s5
                                        ; implicit-def: $vgpr19
	s_delay_alu instid0(SALU_CYCLE_1)
	s_min_u32 s1, s1, 8
	s_delay_alu instid0(VALU_DEP_1) | instid1(SALU_CYCLE_1)
	v_bfe_u32 v17, v17, 0, s1
	s_add_co_i32 s1, s2, 24
	s_delay_alu instid0(SALU_CYCLE_1) | instskip(NEXT) | instid1(VALU_DEP_1)
	s_cmp_gt_u32 s3, s1
	v_lshl_or_b32 v3, v17, 4, v3
	v_mov_b32_e32 v17, 1
	ds_add_u32 v3, v17 offset:8192
	s_cbranch_scc0 .LBB2607_324
; %bb.322:
	v_lshrrev_b32_e32 v3, s1, v16
	s_sub_co_i32 s1, s3, s1
	s_mov_b32 s4, -1
	s_min_u32 s1, s1, 8
	s_delay_alu instid0(VALU_DEP_1) | instid1(SALU_CYCLE_1)
	v_bfe_u32 v3, v3, 0, s1
	s_delay_alu instid0(VALU_DEP_1)
	v_lshl_add_u32 v19, v3, 4, 0x3000
	s_branch .LBB2607_324
.LBB2607_323:
                                        ; implicit-def: $vgpr19
.LBB2607_324:
	s_and_b32 vcc_lo, exec_lo, s4
	s_cbranch_vccz .LBB2607_326
; %bb.325:
	s_delay_alu instid0(VALU_DEP_1)
	v_lshl_add_u32 v2, v2, 2, v19
	v_mov_b32_e32 v3, 1
	ds_add_u32 v2, v3
.LBB2607_326:
	s_and_b32 vcc_lo, exec_lo, s0
	s_wait_dscnt 0x0
	s_barrier_signal -1
	s_barrier_wait -1
	s_cbranch_vccz .LBB2607_331
; %bb.327:
	v_dual_mov_b32 v3, 0 :: v_dual_lshlrev_b32 v16, 4, v0
	v_mov_b32_e32 v17, v0
	v_cmp_gt_u32_e32 vcc_lo, 0x100, v0
	s_branch .LBB2607_329
.LBB2607_328:                           ;   in Loop: Header=BB2607_329 Depth=1
	s_wait_xcnt 0x0
	s_or_b32 exec_lo, exec_lo, s0
	v_add_nc_u32_e32 v17, 0x100, v17
	v_add_nc_u32_e32 v16, 0x1000, v16
	s_add_co_i32 s2, s2, 8
	s_delay_alu instid0(SALU_CYCLE_1)
	s_cmp_ge_u32 s2, s3
	s_cbranch_scc1 .LBB2607_331
.LBB2607_329:                           ; =>This Inner Loop Header: Depth=1
	s_and_saveexec_b32 s0, vcc_lo
	s_cbranch_execz .LBB2607_328
; %bb.330:                              ;   in Loop: Header=BB2607_329 Depth=1
	ds_load_2addr_b32 v[18:19], v16 offset1:1
	ds_load_2addr_b32 v[20:21], v16 offset0:2 offset1:3
	s_wait_dscnt 0x1
	v_add_nc_u32_e32 v2, v19, v18
	s_wait_dscnt 0x0
	s_delay_alu instid0(VALU_DEP_1)
	v_add3_u32 v2, v2, v20, v21
	global_atomic_add_u64 v17, v[2:3], s[6:7] scale_offset scope:SCOPE_DEV
	s_branch .LBB2607_328
.LBB2607_331:
	s_mov_b32 s1, 0
.LBB2607_332:
	s_delay_alu instid0(SALU_CYCLE_1)
	s_and_b32 vcc_lo, exec_lo, s1
	s_cbranch_vccz .LBB2607_343
; %bb.333:
	v_mov_b32_e32 v2, 0
	v_cmp_gt_u32_e64 s0, 7, 4
	s_mov_b32 s1, exec_lo
	ds_store_2addr_stride64_b32 v15, v2, v2 offset1:8
	ds_store_2addr_stride64_b32 v15, v2, v2 offset0:16 offset1:24
	v_cmpx_gt_u32_e64 7, 3
; %bb.334:
	ds_store_b32 v15, v2 offset:8192
; %bb.335:
	s_or_b32 exec_lo, exec_lo, s1
	s_and_saveexec_b32 s1, s0
; %bb.336:
	v_mov_b32_e32 v2, 0
	ds_store_b32 v15, v2 offset:10240
; %bb.337:
	s_or_b32 exec_lo, exec_lo, s1
	v_cmp_gt_u32_e64 s0, 7, 6
	s_mov_b32 s1, exec_lo
	v_cmpx_gt_u32_e64 7, 5
; %bb.338:
	v_mov_b32_e32 v2, 0
	ds_store_b32 v15, v2 offset:12288
; %bb.339:
	s_or_b32 exec_lo, exec_lo, s1
	s_and_saveexec_b32 s1, s0
; %bb.340:
	v_mov_b32_e32 v2, 0
	ds_store_b32 v15, v2 offset:14336
; %bb.341:
	s_or_b32 exec_lo, exec_lo, s1
	s_wait_loadcnt 0xb
	v_not_b32_e32 v2, v10
	s_wait_loadcnt 0xa
	v_not_b32_e32 v3, v11
	;; [unrolled: 2-line block ×3, first 2 shown]
	v_and_b32_e32 v13, 3, v0
	v_not_b32_e32 v10, v12
	s_wait_loadcnt 0x7
	v_not_b32_e32 v12, v14
	v_dual_lshlrev_b32 v14, 4, v2 :: v_dual_lshrrev_b32 v15, 4, v2
	v_dual_lshlrev_b32 v13, 2, v13 :: v_dual_lshrrev_b32 v16, 12, v2
	v_dual_mov_b32 v17, 1 :: v_dual_lshrrev_b32 v2, 20, v2
	s_wait_storecnt 0x0
	s_wait_loadcnt_dscnt 0x0
	s_delay_alu instid0(VALU_DEP_2)
	v_and_or_b32 v14, 0xff0, v14, v13
	v_and_or_b32 v15, 0xff0, v15, v13
	;; [unrolled: 1-line block ×3, first 2 shown]
	s_barrier_signal -1
	s_barrier_wait -1
	ds_add_u32 v14, v17
	ds_add_u32 v15, v17 offset:4096
	ds_add_u32 v16, v17 offset:8192
	v_dual_lshlrev_b32 v14, 4, v3 :: v_dual_lshrrev_b32 v15, 4, v3
	v_dual_lshrrev_b32 v16, 12, v3 :: v_dual_lshrrev_b32 v3, 20, v3
	v_and_or_b32 v2, 0xff0, v2, v13
	s_delay_alu instid0(VALU_DEP_3) | instskip(NEXT) | instid1(VALU_DEP_4)
	v_and_or_b32 v14, 0xff0, v14, v13
	v_and_or_b32 v15, 0xff0, v15, v13
	s_delay_alu instid0(VALU_DEP_4)
	v_and_or_b32 v16, 0xff0, v16, v13
	v_and_or_b32 v3, 0xff0, v3, v13
	ds_add_u32 v2, v17 offset:12288
	ds_add_u32 v14, v17
	ds_add_u32 v15, v17 offset:4096
	ds_add_u32 v16, v17 offset:8192
	;; [unrolled: 1-line block ×3, first 2 shown]
	v_dual_lshlrev_b32 v2, 4, v10 :: v_dual_lshrrev_b32 v3, 4, v10
	v_dual_lshrrev_b32 v14, 12, v10 :: v_dual_lshrrev_b32 v10, 20, v10
	v_lshlrev_b32_e32 v15, 4, v11
	s_delay_alu instid0(VALU_DEP_3) | instskip(NEXT) | instid1(VALU_DEP_4)
	v_and_or_b32 v2, 0xff0, v2, v13
	v_and_or_b32 v3, 0xff0, v3, v13
	s_delay_alu instid0(VALU_DEP_4)
	v_and_or_b32 v14, 0xff0, v14, v13
	v_and_or_b32 v10, 0xff0, v10, v13
	v_and_or_b32 v15, 0xff0, v15, v13
	ds_add_u32 v2, v17
	ds_add_u32 v3, v17 offset:4096
	ds_add_u32 v14, v17 offset:8192
	;; [unrolled: 1-line block ×3, first 2 shown]
	ds_add_u32 v15, v17
	v_dual_lshrrev_b32 v2, 4, v11 :: v_dual_lshrrev_b32 v3, 12, v11
	v_dual_lshrrev_b32 v10, 20, v11 :: v_dual_lshlrev_b32 v11, 4, v12
	v_lshrrev_b32_e32 v14, 4, v12
	s_delay_alu instid0(VALU_DEP_3) | instskip(NEXT) | instid1(VALU_DEP_4)
	v_and_or_b32 v2, 0xff0, v2, v13
	v_and_or_b32 v3, 0xff0, v3, v13
	v_not_b32_e32 v7, v7
	v_and_or_b32 v10, 0xff0, v10, v13
	v_and_or_b32 v11, 0xff0, v11, v13
	;; [unrolled: 1-line block ×3, first 2 shown]
	ds_add_u32 v2, v17 offset:4096
	ds_add_u32 v3, v17 offset:8192
	;; [unrolled: 1-line block ×3, first 2 shown]
	ds_add_u32 v11, v17
	ds_add_u32 v14, v17 offset:4096
	v_dual_lshrrev_b32 v2, 12, v12 :: v_dual_lshrrev_b32 v3, 20, v12
	v_dual_lshlrev_b32 v10, 4, v7 :: v_dual_lshrrev_b32 v11, 4, v7
	v_lshrrev_b32_e32 v12, 12, v7
	s_delay_alu instid0(VALU_DEP_3)
	v_and_or_b32 v2, 0xff0, v2, v13
	v_not_b32_e32 v8, v8
	v_and_or_b32 v3, 0xff0, v3, v13
	v_and_or_b32 v10, 0xff0, v10, v13
	v_and_or_b32 v11, 0xff0, v11, v13
	v_and_or_b32 v12, 0xff0, v12, v13
	ds_add_u32 v2, v17 offset:8192
	ds_add_u32 v3, v17 offset:12288
	ds_add_u32 v10, v17
	ds_add_u32 v11, v17 offset:4096
	ds_add_u32 v12, v17 offset:8192
	v_dual_lshrrev_b32 v2, 20, v7 :: v_dual_lshlrev_b32 v3, 4, v8
	v_dual_lshrrev_b32 v7, 4, v8 :: v_dual_lshrrev_b32 v10, 12, v8
	v_not_b32_e32 v9, v9
	v_lshrrev_b32_e32 v8, 20, v8
	s_delay_alu instid0(VALU_DEP_4)
	v_and_or_b32 v2, 0xff0, v2, v13
	v_and_or_b32 v3, 0xff0, v3, v13
	;; [unrolled: 1-line block ×4, first 2 shown]
	v_not_b32_e32 v6, v6
	v_and_or_b32 v8, 0xff0, v8, v13
	ds_add_u32 v2, v17 offset:12288
	ds_add_u32 v3, v17
	ds_add_u32 v7, v17 offset:4096
	ds_add_u32 v10, v17 offset:8192
	;; [unrolled: 1-line block ×3, first 2 shown]
	v_dual_lshlrev_b32 v2, 4, v9 :: v_dual_lshrrev_b32 v3, 4, v9
	v_dual_lshrrev_b32 v7, 12, v9 :: v_dual_lshrrev_b32 v8, 20, v9
	v_lshlrev_b32_e32 v9, 4, v6
	s_delay_alu instid0(VALU_DEP_3) | instskip(NEXT) | instid1(VALU_DEP_4)
	v_and_or_b32 v2, 0xff0, v2, v13
	v_and_or_b32 v3, 0xff0, v3, v13
	s_delay_alu instid0(VALU_DEP_4)
	v_and_or_b32 v7, 0xff0, v7, v13
	v_not_b32_e32 v5, v5
	v_and_or_b32 v8, 0xff0, v8, v13
	v_and_or_b32 v9, 0xff0, v9, v13
	ds_add_u32 v2, v17
	ds_add_u32 v3, v17 offset:4096
	ds_add_u32 v7, v17 offset:8192
	;; [unrolled: 1-line block ×3, first 2 shown]
	ds_add_u32 v9, v17
	v_dual_lshrrev_b32 v2, 4, v6 :: v_dual_lshrrev_b32 v3, 12, v6
	v_dual_lshrrev_b32 v6, 20, v6 :: v_dual_lshlrev_b32 v7, 4, v5
	v_lshrrev_b32_e32 v8, 4, v5
	s_delay_alu instid0(VALU_DEP_3) | instskip(NEXT) | instid1(VALU_DEP_4)
	v_and_or_b32 v2, 0xff0, v2, v13
	v_and_or_b32 v3, 0xff0, v3, v13
	v_not_b32_e32 v1, v1
	v_and_or_b32 v6, 0xff0, v6, v13
	v_and_or_b32 v7, 0xff0, v7, v13
	;; [unrolled: 1-line block ×3, first 2 shown]
	ds_add_u32 v2, v17 offset:4096
	ds_add_u32 v3, v17 offset:8192
	;; [unrolled: 1-line block ×3, first 2 shown]
	ds_add_u32 v7, v17
	ds_add_u32 v8, v17 offset:4096
	v_lshrrev_b32_e32 v2, 12, v5
	v_not_b32_e32 v4, v4
	v_lshrrev_b32_e32 v3, 20, v5
	v_dual_lshlrev_b32 v5, 4, v1 :: v_dual_lshrrev_b32 v6, 4, v1
	v_dual_lshrrev_b32 v7, 12, v1 :: v_dual_lshrrev_b32 v1, 20, v1
	v_and_or_b32 v2, 0xff0, v2, v13
	s_delay_alu instid0(VALU_DEP_4) | instskip(NEXT) | instid1(VALU_DEP_4)
	v_and_or_b32 v3, 0xff0, v3, v13
	v_and_or_b32 v5, 0xff0, v5, v13
	;; [unrolled: 1-line block ×4, first 2 shown]
	ds_add_u32 v2, v17 offset:8192
	ds_add_u32 v3, v17 offset:12288
	ds_add_u32 v5, v17
	ds_add_u32 v6, v17 offset:4096
	ds_add_u32 v7, v17 offset:8192
	v_dual_lshlrev_b32 v2, 4, v4 :: v_dual_lshrrev_b32 v3, 4, v4
	v_dual_lshrrev_b32 v5, 12, v4 :: v_dual_lshrrev_b32 v4, 20, v4
	v_and_or_b32 v1, 0xff0, v1, v13
	s_delay_alu instid0(VALU_DEP_3) | instskip(NEXT) | instid1(VALU_DEP_4)
	v_and_or_b32 v2, 0xff0, v2, v13
	v_and_or_b32 v3, 0xff0, v3, v13
	s_delay_alu instid0(VALU_DEP_4)
	v_and_or_b32 v5, 0xff0, v5, v13
	v_and_or_b32 v4, 0xff0, v4, v13
	ds_add_u32 v1, v17 offset:12288
	ds_add_u32 v2, v17
	ds_add_u32 v3, v17 offset:4096
	ds_add_u32 v5, v17 offset:8192
	;; [unrolled: 1-line block ×3, first 2 shown]
	s_wait_dscnt 0x0
	s_barrier_signal -1
	s_barrier_wait -1
	s_mov_b32 s0, exec_lo
	v_cmpx_gt_u32_e32 0x100, v0
	s_cbranch_execz .LBB2607_343
; %bb.342:
	v_lshlrev_b32_e32 v1, 4, v0
	ds_load_2addr_b32 v[2:3], v1 offset1:1
	ds_load_2addr_b32 v[4:5], v1 offset0:2 offset1:3
	s_wait_dscnt 0x1
	v_dual_mov_b32 v3, 0 :: v_dual_add_nc_u32 v2, v3, v2
	v_add_nc_u32_e32 v6, 0x1008, v1
	s_wait_dscnt 0x0
	s_delay_alu instid0(VALU_DEP_2)
	v_add3_u32 v2, v2, v4, v5
	v_add_nc_u32_e32 v4, 0x1000, v1
	global_atomic_add_u64 v0, v[2:3], s[6:7] scale_offset scope:SCOPE_DEV
	ds_load_2addr_b32 v[4:5], v4 offset1:1
	ds_load_2addr_b32 v[6:7], v6 offset1:1
	s_wait_dscnt 0x1
	s_wait_xcnt 0x0
	v_add_nc_u32_e32 v2, v5, v4
	v_or_b32_e32 v4, 0x2000, v1
	s_wait_dscnt 0x0
	s_delay_alu instid0(VALU_DEP_2)
	v_add3_u32 v2, v2, v6, v7
	v_or_b32_e32 v6, 0x2008, v1
	global_atomic_add_u64 v0, v[2:3], s[6:7] offset:2048 scale_offset scope:SCOPE_DEV
	ds_load_2addr_b32 v[4:5], v4 offset1:1
	ds_load_2addr_b32 v[6:7], v6 offset1:1
	s_wait_dscnt 0x1
	s_wait_xcnt 0x0
	v_add_nc_u32_e32 v2, v5, v4
	v_add_nc_u32_e32 v4, 0x3000, v1
	;; [unrolled: 1-line block ×3, first 2 shown]
	s_wait_dscnt 0x0
	s_delay_alu instid0(VALU_DEP_3)
	v_add3_u32 v2, v2, v6, v7
	global_atomic_add_u64 v0, v[2:3], s[6:7] offset:4096 scale_offset scope:SCOPE_DEV
	ds_load_2addr_b32 v[4:5], v4 offset1:1
	ds_load_2addr_b32 v[6:7], v1 offset1:1
	s_wait_dscnt 0x1
	v_add_nc_u32_e32 v1, v5, v4
	s_wait_dscnt 0x0
	s_wait_xcnt 0x0
	s_delay_alu instid0(VALU_DEP_1)
	v_add3_u32 v2, v1, v6, v7
	global_atomic_add_u64 v0, v[2:3], s[6:7] offset:6144 scale_offset scope:SCOPE_DEV
.LBB2607_343:
	s_endpgm
	.section	.rodata,"a",@progbits
	.p2align	6, 0x0
	.amdhsa_kernel _ZN7rocprim17ROCPRIM_400000_NS6detail17trampoline_kernelINS0_14default_configENS1_35radix_sort_onesweep_config_selectorIjNS0_10empty_typeEEEZNS1_34radix_sort_onesweep_global_offsetsIS3_Lb1EPKjPS5_mNS0_19identity_decomposerEEE10hipError_tT1_T2_PT3_SF_jT4_jjP12ihipStream_tbEUlT_E_NS1_11comp_targetILNS1_3genE0ELNS1_11target_archE4294967295ELNS1_3gpuE0ELNS1_3repE0EEENS1_52radix_sort_onesweep_histogram_config_static_selectorELNS0_4arch9wavefront6targetE0EEEvSD_
		.amdhsa_group_segment_fixed_size 16384
		.amdhsa_private_segment_fixed_size 0
		.amdhsa_kernarg_size 48
		.amdhsa_user_sgpr_count 2
		.amdhsa_user_sgpr_dispatch_ptr 0
		.amdhsa_user_sgpr_queue_ptr 0
		.amdhsa_user_sgpr_kernarg_segment_ptr 1
		.amdhsa_user_sgpr_dispatch_id 0
		.amdhsa_user_sgpr_kernarg_preload_length 0
		.amdhsa_user_sgpr_kernarg_preload_offset 0
		.amdhsa_user_sgpr_private_segment_size 0
		.amdhsa_wavefront_size32 1
		.amdhsa_uses_dynamic_stack 0
		.amdhsa_enable_private_segment 0
		.amdhsa_system_sgpr_workgroup_id_x 1
		.amdhsa_system_sgpr_workgroup_id_y 0
		.amdhsa_system_sgpr_workgroup_id_z 0
		.amdhsa_system_sgpr_workgroup_info 0
		.amdhsa_system_vgpr_workitem_id 0
		.amdhsa_next_free_vgpr 28
		.amdhsa_next_free_sgpr 13
		.amdhsa_named_barrier_count 0
		.amdhsa_reserve_vcc 1
		.amdhsa_float_round_mode_32 0
		.amdhsa_float_round_mode_16_64 0
		.amdhsa_float_denorm_mode_32 3
		.amdhsa_float_denorm_mode_16_64 3
		.amdhsa_fp16_overflow 0
		.amdhsa_memory_ordered 1
		.amdhsa_forward_progress 1
		.amdhsa_inst_pref_size 100
		.amdhsa_round_robin_scheduling 0
		.amdhsa_exception_fp_ieee_invalid_op 0
		.amdhsa_exception_fp_denorm_src 0
		.amdhsa_exception_fp_ieee_div_zero 0
		.amdhsa_exception_fp_ieee_overflow 0
		.amdhsa_exception_fp_ieee_underflow 0
		.amdhsa_exception_fp_ieee_inexact 0
		.amdhsa_exception_int_div_zero 0
	.end_amdhsa_kernel
	.section	.text._ZN7rocprim17ROCPRIM_400000_NS6detail17trampoline_kernelINS0_14default_configENS1_35radix_sort_onesweep_config_selectorIjNS0_10empty_typeEEEZNS1_34radix_sort_onesweep_global_offsetsIS3_Lb1EPKjPS5_mNS0_19identity_decomposerEEE10hipError_tT1_T2_PT3_SF_jT4_jjP12ihipStream_tbEUlT_E_NS1_11comp_targetILNS1_3genE0ELNS1_11target_archE4294967295ELNS1_3gpuE0ELNS1_3repE0EEENS1_52radix_sort_onesweep_histogram_config_static_selectorELNS0_4arch9wavefront6targetE0EEEvSD_,"axG",@progbits,_ZN7rocprim17ROCPRIM_400000_NS6detail17trampoline_kernelINS0_14default_configENS1_35radix_sort_onesweep_config_selectorIjNS0_10empty_typeEEEZNS1_34radix_sort_onesweep_global_offsetsIS3_Lb1EPKjPS5_mNS0_19identity_decomposerEEE10hipError_tT1_T2_PT3_SF_jT4_jjP12ihipStream_tbEUlT_E_NS1_11comp_targetILNS1_3genE0ELNS1_11target_archE4294967295ELNS1_3gpuE0ELNS1_3repE0EEENS1_52radix_sort_onesweep_histogram_config_static_selectorELNS0_4arch9wavefront6targetE0EEEvSD_,comdat
.Lfunc_end2607:
	.size	_ZN7rocprim17ROCPRIM_400000_NS6detail17trampoline_kernelINS0_14default_configENS1_35radix_sort_onesweep_config_selectorIjNS0_10empty_typeEEEZNS1_34radix_sort_onesweep_global_offsetsIS3_Lb1EPKjPS5_mNS0_19identity_decomposerEEE10hipError_tT1_T2_PT3_SF_jT4_jjP12ihipStream_tbEUlT_E_NS1_11comp_targetILNS1_3genE0ELNS1_11target_archE4294967295ELNS1_3gpuE0ELNS1_3repE0EEENS1_52radix_sort_onesweep_histogram_config_static_selectorELNS0_4arch9wavefront6targetE0EEEvSD_, .Lfunc_end2607-_ZN7rocprim17ROCPRIM_400000_NS6detail17trampoline_kernelINS0_14default_configENS1_35radix_sort_onesweep_config_selectorIjNS0_10empty_typeEEEZNS1_34radix_sort_onesweep_global_offsetsIS3_Lb1EPKjPS5_mNS0_19identity_decomposerEEE10hipError_tT1_T2_PT3_SF_jT4_jjP12ihipStream_tbEUlT_E_NS1_11comp_targetILNS1_3genE0ELNS1_11target_archE4294967295ELNS1_3gpuE0ELNS1_3repE0EEENS1_52radix_sort_onesweep_histogram_config_static_selectorELNS0_4arch9wavefront6targetE0EEEvSD_
                                        ; -- End function
	.set _ZN7rocprim17ROCPRIM_400000_NS6detail17trampoline_kernelINS0_14default_configENS1_35radix_sort_onesweep_config_selectorIjNS0_10empty_typeEEEZNS1_34radix_sort_onesweep_global_offsetsIS3_Lb1EPKjPS5_mNS0_19identity_decomposerEEE10hipError_tT1_T2_PT3_SF_jT4_jjP12ihipStream_tbEUlT_E_NS1_11comp_targetILNS1_3genE0ELNS1_11target_archE4294967295ELNS1_3gpuE0ELNS1_3repE0EEENS1_52radix_sort_onesweep_histogram_config_static_selectorELNS0_4arch9wavefront6targetE0EEEvSD_.num_vgpr, 28
	.set _ZN7rocprim17ROCPRIM_400000_NS6detail17trampoline_kernelINS0_14default_configENS1_35radix_sort_onesweep_config_selectorIjNS0_10empty_typeEEEZNS1_34radix_sort_onesweep_global_offsetsIS3_Lb1EPKjPS5_mNS0_19identity_decomposerEEE10hipError_tT1_T2_PT3_SF_jT4_jjP12ihipStream_tbEUlT_E_NS1_11comp_targetILNS1_3genE0ELNS1_11target_archE4294967295ELNS1_3gpuE0ELNS1_3repE0EEENS1_52radix_sort_onesweep_histogram_config_static_selectorELNS0_4arch9wavefront6targetE0EEEvSD_.num_agpr, 0
	.set _ZN7rocprim17ROCPRIM_400000_NS6detail17trampoline_kernelINS0_14default_configENS1_35radix_sort_onesweep_config_selectorIjNS0_10empty_typeEEEZNS1_34radix_sort_onesweep_global_offsetsIS3_Lb1EPKjPS5_mNS0_19identity_decomposerEEE10hipError_tT1_T2_PT3_SF_jT4_jjP12ihipStream_tbEUlT_E_NS1_11comp_targetILNS1_3genE0ELNS1_11target_archE4294967295ELNS1_3gpuE0ELNS1_3repE0EEENS1_52radix_sort_onesweep_histogram_config_static_selectorELNS0_4arch9wavefront6targetE0EEEvSD_.numbered_sgpr, 13
	.set _ZN7rocprim17ROCPRIM_400000_NS6detail17trampoline_kernelINS0_14default_configENS1_35radix_sort_onesweep_config_selectorIjNS0_10empty_typeEEEZNS1_34radix_sort_onesweep_global_offsetsIS3_Lb1EPKjPS5_mNS0_19identity_decomposerEEE10hipError_tT1_T2_PT3_SF_jT4_jjP12ihipStream_tbEUlT_E_NS1_11comp_targetILNS1_3genE0ELNS1_11target_archE4294967295ELNS1_3gpuE0ELNS1_3repE0EEENS1_52radix_sort_onesweep_histogram_config_static_selectorELNS0_4arch9wavefront6targetE0EEEvSD_.num_named_barrier, 0
	.set _ZN7rocprim17ROCPRIM_400000_NS6detail17trampoline_kernelINS0_14default_configENS1_35radix_sort_onesweep_config_selectorIjNS0_10empty_typeEEEZNS1_34radix_sort_onesweep_global_offsetsIS3_Lb1EPKjPS5_mNS0_19identity_decomposerEEE10hipError_tT1_T2_PT3_SF_jT4_jjP12ihipStream_tbEUlT_E_NS1_11comp_targetILNS1_3genE0ELNS1_11target_archE4294967295ELNS1_3gpuE0ELNS1_3repE0EEENS1_52radix_sort_onesweep_histogram_config_static_selectorELNS0_4arch9wavefront6targetE0EEEvSD_.private_seg_size, 0
	.set _ZN7rocprim17ROCPRIM_400000_NS6detail17trampoline_kernelINS0_14default_configENS1_35radix_sort_onesweep_config_selectorIjNS0_10empty_typeEEEZNS1_34radix_sort_onesweep_global_offsetsIS3_Lb1EPKjPS5_mNS0_19identity_decomposerEEE10hipError_tT1_T2_PT3_SF_jT4_jjP12ihipStream_tbEUlT_E_NS1_11comp_targetILNS1_3genE0ELNS1_11target_archE4294967295ELNS1_3gpuE0ELNS1_3repE0EEENS1_52radix_sort_onesweep_histogram_config_static_selectorELNS0_4arch9wavefront6targetE0EEEvSD_.uses_vcc, 1
	.set _ZN7rocprim17ROCPRIM_400000_NS6detail17trampoline_kernelINS0_14default_configENS1_35radix_sort_onesweep_config_selectorIjNS0_10empty_typeEEEZNS1_34radix_sort_onesweep_global_offsetsIS3_Lb1EPKjPS5_mNS0_19identity_decomposerEEE10hipError_tT1_T2_PT3_SF_jT4_jjP12ihipStream_tbEUlT_E_NS1_11comp_targetILNS1_3genE0ELNS1_11target_archE4294967295ELNS1_3gpuE0ELNS1_3repE0EEENS1_52radix_sort_onesweep_histogram_config_static_selectorELNS0_4arch9wavefront6targetE0EEEvSD_.uses_flat_scratch, 0
	.set _ZN7rocprim17ROCPRIM_400000_NS6detail17trampoline_kernelINS0_14default_configENS1_35radix_sort_onesweep_config_selectorIjNS0_10empty_typeEEEZNS1_34radix_sort_onesweep_global_offsetsIS3_Lb1EPKjPS5_mNS0_19identity_decomposerEEE10hipError_tT1_T2_PT3_SF_jT4_jjP12ihipStream_tbEUlT_E_NS1_11comp_targetILNS1_3genE0ELNS1_11target_archE4294967295ELNS1_3gpuE0ELNS1_3repE0EEENS1_52radix_sort_onesweep_histogram_config_static_selectorELNS0_4arch9wavefront6targetE0EEEvSD_.has_dyn_sized_stack, 0
	.set _ZN7rocprim17ROCPRIM_400000_NS6detail17trampoline_kernelINS0_14default_configENS1_35radix_sort_onesweep_config_selectorIjNS0_10empty_typeEEEZNS1_34radix_sort_onesweep_global_offsetsIS3_Lb1EPKjPS5_mNS0_19identity_decomposerEEE10hipError_tT1_T2_PT3_SF_jT4_jjP12ihipStream_tbEUlT_E_NS1_11comp_targetILNS1_3genE0ELNS1_11target_archE4294967295ELNS1_3gpuE0ELNS1_3repE0EEENS1_52radix_sort_onesweep_histogram_config_static_selectorELNS0_4arch9wavefront6targetE0EEEvSD_.has_recursion, 0
	.set _ZN7rocprim17ROCPRIM_400000_NS6detail17trampoline_kernelINS0_14default_configENS1_35radix_sort_onesweep_config_selectorIjNS0_10empty_typeEEEZNS1_34radix_sort_onesweep_global_offsetsIS3_Lb1EPKjPS5_mNS0_19identity_decomposerEEE10hipError_tT1_T2_PT3_SF_jT4_jjP12ihipStream_tbEUlT_E_NS1_11comp_targetILNS1_3genE0ELNS1_11target_archE4294967295ELNS1_3gpuE0ELNS1_3repE0EEENS1_52radix_sort_onesweep_histogram_config_static_selectorELNS0_4arch9wavefront6targetE0EEEvSD_.has_indirect_call, 0
	.section	.AMDGPU.csdata,"",@progbits
; Kernel info:
; codeLenInByte = 12704
; TotalNumSgprs: 15
; NumVgprs: 28
; ScratchSize: 0
; MemoryBound: 0
; FloatMode: 240
; IeeeMode: 1
; LDSByteSize: 16384 bytes/workgroup (compile time only)
; SGPRBlocks: 0
; VGPRBlocks: 1
; NumSGPRsForWavesPerEU: 15
; NumVGPRsForWavesPerEU: 28
; NamedBarCnt: 0
; Occupancy: 16
; WaveLimiterHint : 1
; COMPUTE_PGM_RSRC2:SCRATCH_EN: 0
; COMPUTE_PGM_RSRC2:USER_SGPR: 2
; COMPUTE_PGM_RSRC2:TRAP_HANDLER: 0
; COMPUTE_PGM_RSRC2:TGID_X_EN: 1
; COMPUTE_PGM_RSRC2:TGID_Y_EN: 0
; COMPUTE_PGM_RSRC2:TGID_Z_EN: 0
; COMPUTE_PGM_RSRC2:TIDIG_COMP_CNT: 0
	.section	.text._ZN7rocprim17ROCPRIM_400000_NS6detail17trampoline_kernelINS0_14default_configENS1_35radix_sort_onesweep_config_selectorIjNS0_10empty_typeEEEZNS1_34radix_sort_onesweep_global_offsetsIS3_Lb1EPKjPS5_mNS0_19identity_decomposerEEE10hipError_tT1_T2_PT3_SF_jT4_jjP12ihipStream_tbEUlT_E_NS1_11comp_targetILNS1_3genE6ELNS1_11target_archE950ELNS1_3gpuE13ELNS1_3repE0EEENS1_52radix_sort_onesweep_histogram_config_static_selectorELNS0_4arch9wavefront6targetE0EEEvSD_,"axG",@progbits,_ZN7rocprim17ROCPRIM_400000_NS6detail17trampoline_kernelINS0_14default_configENS1_35radix_sort_onesweep_config_selectorIjNS0_10empty_typeEEEZNS1_34radix_sort_onesweep_global_offsetsIS3_Lb1EPKjPS5_mNS0_19identity_decomposerEEE10hipError_tT1_T2_PT3_SF_jT4_jjP12ihipStream_tbEUlT_E_NS1_11comp_targetILNS1_3genE6ELNS1_11target_archE950ELNS1_3gpuE13ELNS1_3repE0EEENS1_52radix_sort_onesweep_histogram_config_static_selectorELNS0_4arch9wavefront6targetE0EEEvSD_,comdat
	.protected	_ZN7rocprim17ROCPRIM_400000_NS6detail17trampoline_kernelINS0_14default_configENS1_35radix_sort_onesweep_config_selectorIjNS0_10empty_typeEEEZNS1_34radix_sort_onesweep_global_offsetsIS3_Lb1EPKjPS5_mNS0_19identity_decomposerEEE10hipError_tT1_T2_PT3_SF_jT4_jjP12ihipStream_tbEUlT_E_NS1_11comp_targetILNS1_3genE6ELNS1_11target_archE950ELNS1_3gpuE13ELNS1_3repE0EEENS1_52radix_sort_onesweep_histogram_config_static_selectorELNS0_4arch9wavefront6targetE0EEEvSD_ ; -- Begin function _ZN7rocprim17ROCPRIM_400000_NS6detail17trampoline_kernelINS0_14default_configENS1_35radix_sort_onesweep_config_selectorIjNS0_10empty_typeEEEZNS1_34radix_sort_onesweep_global_offsetsIS3_Lb1EPKjPS5_mNS0_19identity_decomposerEEE10hipError_tT1_T2_PT3_SF_jT4_jjP12ihipStream_tbEUlT_E_NS1_11comp_targetILNS1_3genE6ELNS1_11target_archE950ELNS1_3gpuE13ELNS1_3repE0EEENS1_52radix_sort_onesweep_histogram_config_static_selectorELNS0_4arch9wavefront6targetE0EEEvSD_
	.globl	_ZN7rocprim17ROCPRIM_400000_NS6detail17trampoline_kernelINS0_14default_configENS1_35radix_sort_onesweep_config_selectorIjNS0_10empty_typeEEEZNS1_34radix_sort_onesweep_global_offsetsIS3_Lb1EPKjPS5_mNS0_19identity_decomposerEEE10hipError_tT1_T2_PT3_SF_jT4_jjP12ihipStream_tbEUlT_E_NS1_11comp_targetILNS1_3genE6ELNS1_11target_archE950ELNS1_3gpuE13ELNS1_3repE0EEENS1_52radix_sort_onesweep_histogram_config_static_selectorELNS0_4arch9wavefront6targetE0EEEvSD_
	.p2align	8
	.type	_ZN7rocprim17ROCPRIM_400000_NS6detail17trampoline_kernelINS0_14default_configENS1_35radix_sort_onesweep_config_selectorIjNS0_10empty_typeEEEZNS1_34radix_sort_onesweep_global_offsetsIS3_Lb1EPKjPS5_mNS0_19identity_decomposerEEE10hipError_tT1_T2_PT3_SF_jT4_jjP12ihipStream_tbEUlT_E_NS1_11comp_targetILNS1_3genE6ELNS1_11target_archE950ELNS1_3gpuE13ELNS1_3repE0EEENS1_52radix_sort_onesweep_histogram_config_static_selectorELNS0_4arch9wavefront6targetE0EEEvSD_,@function
_ZN7rocprim17ROCPRIM_400000_NS6detail17trampoline_kernelINS0_14default_configENS1_35radix_sort_onesweep_config_selectorIjNS0_10empty_typeEEEZNS1_34radix_sort_onesweep_global_offsetsIS3_Lb1EPKjPS5_mNS0_19identity_decomposerEEE10hipError_tT1_T2_PT3_SF_jT4_jjP12ihipStream_tbEUlT_E_NS1_11comp_targetILNS1_3genE6ELNS1_11target_archE950ELNS1_3gpuE13ELNS1_3repE0EEENS1_52radix_sort_onesweep_histogram_config_static_selectorELNS0_4arch9wavefront6targetE0EEEvSD_: ; @_ZN7rocprim17ROCPRIM_400000_NS6detail17trampoline_kernelINS0_14default_configENS1_35radix_sort_onesweep_config_selectorIjNS0_10empty_typeEEEZNS1_34radix_sort_onesweep_global_offsetsIS3_Lb1EPKjPS5_mNS0_19identity_decomposerEEE10hipError_tT1_T2_PT3_SF_jT4_jjP12ihipStream_tbEUlT_E_NS1_11comp_targetILNS1_3genE6ELNS1_11target_archE950ELNS1_3gpuE13ELNS1_3repE0EEENS1_52radix_sort_onesweep_histogram_config_static_selectorELNS0_4arch9wavefront6targetE0EEEvSD_
; %bb.0:
	.section	.rodata,"a",@progbits
	.p2align	6, 0x0
	.amdhsa_kernel _ZN7rocprim17ROCPRIM_400000_NS6detail17trampoline_kernelINS0_14default_configENS1_35radix_sort_onesweep_config_selectorIjNS0_10empty_typeEEEZNS1_34radix_sort_onesweep_global_offsetsIS3_Lb1EPKjPS5_mNS0_19identity_decomposerEEE10hipError_tT1_T2_PT3_SF_jT4_jjP12ihipStream_tbEUlT_E_NS1_11comp_targetILNS1_3genE6ELNS1_11target_archE950ELNS1_3gpuE13ELNS1_3repE0EEENS1_52radix_sort_onesweep_histogram_config_static_selectorELNS0_4arch9wavefront6targetE0EEEvSD_
		.amdhsa_group_segment_fixed_size 0
		.amdhsa_private_segment_fixed_size 0
		.amdhsa_kernarg_size 48
		.amdhsa_user_sgpr_count 2
		.amdhsa_user_sgpr_dispatch_ptr 0
		.amdhsa_user_sgpr_queue_ptr 0
		.amdhsa_user_sgpr_kernarg_segment_ptr 1
		.amdhsa_user_sgpr_dispatch_id 0
		.amdhsa_user_sgpr_kernarg_preload_length 0
		.amdhsa_user_sgpr_kernarg_preload_offset 0
		.amdhsa_user_sgpr_private_segment_size 0
		.amdhsa_wavefront_size32 1
		.amdhsa_uses_dynamic_stack 0
		.amdhsa_enable_private_segment 0
		.amdhsa_system_sgpr_workgroup_id_x 1
		.amdhsa_system_sgpr_workgroup_id_y 0
		.amdhsa_system_sgpr_workgroup_id_z 0
		.amdhsa_system_sgpr_workgroup_info 0
		.amdhsa_system_vgpr_workitem_id 0
		.amdhsa_next_free_vgpr 1
		.amdhsa_next_free_sgpr 1
		.amdhsa_named_barrier_count 0
		.amdhsa_reserve_vcc 0
		.amdhsa_float_round_mode_32 0
		.amdhsa_float_round_mode_16_64 0
		.amdhsa_float_denorm_mode_32 3
		.amdhsa_float_denorm_mode_16_64 3
		.amdhsa_fp16_overflow 0
		.amdhsa_memory_ordered 1
		.amdhsa_forward_progress 1
		.amdhsa_inst_pref_size 0
		.amdhsa_round_robin_scheduling 0
		.amdhsa_exception_fp_ieee_invalid_op 0
		.amdhsa_exception_fp_denorm_src 0
		.amdhsa_exception_fp_ieee_div_zero 0
		.amdhsa_exception_fp_ieee_overflow 0
		.amdhsa_exception_fp_ieee_underflow 0
		.amdhsa_exception_fp_ieee_inexact 0
		.amdhsa_exception_int_div_zero 0
	.end_amdhsa_kernel
	.section	.text._ZN7rocprim17ROCPRIM_400000_NS6detail17trampoline_kernelINS0_14default_configENS1_35radix_sort_onesweep_config_selectorIjNS0_10empty_typeEEEZNS1_34radix_sort_onesweep_global_offsetsIS3_Lb1EPKjPS5_mNS0_19identity_decomposerEEE10hipError_tT1_T2_PT3_SF_jT4_jjP12ihipStream_tbEUlT_E_NS1_11comp_targetILNS1_3genE6ELNS1_11target_archE950ELNS1_3gpuE13ELNS1_3repE0EEENS1_52radix_sort_onesweep_histogram_config_static_selectorELNS0_4arch9wavefront6targetE0EEEvSD_,"axG",@progbits,_ZN7rocprim17ROCPRIM_400000_NS6detail17trampoline_kernelINS0_14default_configENS1_35radix_sort_onesweep_config_selectorIjNS0_10empty_typeEEEZNS1_34radix_sort_onesweep_global_offsetsIS3_Lb1EPKjPS5_mNS0_19identity_decomposerEEE10hipError_tT1_T2_PT3_SF_jT4_jjP12ihipStream_tbEUlT_E_NS1_11comp_targetILNS1_3genE6ELNS1_11target_archE950ELNS1_3gpuE13ELNS1_3repE0EEENS1_52radix_sort_onesweep_histogram_config_static_selectorELNS0_4arch9wavefront6targetE0EEEvSD_,comdat
.Lfunc_end2608:
	.size	_ZN7rocprim17ROCPRIM_400000_NS6detail17trampoline_kernelINS0_14default_configENS1_35radix_sort_onesweep_config_selectorIjNS0_10empty_typeEEEZNS1_34radix_sort_onesweep_global_offsetsIS3_Lb1EPKjPS5_mNS0_19identity_decomposerEEE10hipError_tT1_T2_PT3_SF_jT4_jjP12ihipStream_tbEUlT_E_NS1_11comp_targetILNS1_3genE6ELNS1_11target_archE950ELNS1_3gpuE13ELNS1_3repE0EEENS1_52radix_sort_onesweep_histogram_config_static_selectorELNS0_4arch9wavefront6targetE0EEEvSD_, .Lfunc_end2608-_ZN7rocprim17ROCPRIM_400000_NS6detail17trampoline_kernelINS0_14default_configENS1_35radix_sort_onesweep_config_selectorIjNS0_10empty_typeEEEZNS1_34radix_sort_onesweep_global_offsetsIS3_Lb1EPKjPS5_mNS0_19identity_decomposerEEE10hipError_tT1_T2_PT3_SF_jT4_jjP12ihipStream_tbEUlT_E_NS1_11comp_targetILNS1_3genE6ELNS1_11target_archE950ELNS1_3gpuE13ELNS1_3repE0EEENS1_52radix_sort_onesweep_histogram_config_static_selectorELNS0_4arch9wavefront6targetE0EEEvSD_
                                        ; -- End function
	.set _ZN7rocprim17ROCPRIM_400000_NS6detail17trampoline_kernelINS0_14default_configENS1_35radix_sort_onesweep_config_selectorIjNS0_10empty_typeEEEZNS1_34radix_sort_onesweep_global_offsetsIS3_Lb1EPKjPS5_mNS0_19identity_decomposerEEE10hipError_tT1_T2_PT3_SF_jT4_jjP12ihipStream_tbEUlT_E_NS1_11comp_targetILNS1_3genE6ELNS1_11target_archE950ELNS1_3gpuE13ELNS1_3repE0EEENS1_52radix_sort_onesweep_histogram_config_static_selectorELNS0_4arch9wavefront6targetE0EEEvSD_.num_vgpr, 0
	.set _ZN7rocprim17ROCPRIM_400000_NS6detail17trampoline_kernelINS0_14default_configENS1_35radix_sort_onesweep_config_selectorIjNS0_10empty_typeEEEZNS1_34radix_sort_onesweep_global_offsetsIS3_Lb1EPKjPS5_mNS0_19identity_decomposerEEE10hipError_tT1_T2_PT3_SF_jT4_jjP12ihipStream_tbEUlT_E_NS1_11comp_targetILNS1_3genE6ELNS1_11target_archE950ELNS1_3gpuE13ELNS1_3repE0EEENS1_52radix_sort_onesweep_histogram_config_static_selectorELNS0_4arch9wavefront6targetE0EEEvSD_.num_agpr, 0
	.set _ZN7rocprim17ROCPRIM_400000_NS6detail17trampoline_kernelINS0_14default_configENS1_35radix_sort_onesweep_config_selectorIjNS0_10empty_typeEEEZNS1_34radix_sort_onesweep_global_offsetsIS3_Lb1EPKjPS5_mNS0_19identity_decomposerEEE10hipError_tT1_T2_PT3_SF_jT4_jjP12ihipStream_tbEUlT_E_NS1_11comp_targetILNS1_3genE6ELNS1_11target_archE950ELNS1_3gpuE13ELNS1_3repE0EEENS1_52radix_sort_onesweep_histogram_config_static_selectorELNS0_4arch9wavefront6targetE0EEEvSD_.numbered_sgpr, 0
	.set _ZN7rocprim17ROCPRIM_400000_NS6detail17trampoline_kernelINS0_14default_configENS1_35radix_sort_onesweep_config_selectorIjNS0_10empty_typeEEEZNS1_34radix_sort_onesweep_global_offsetsIS3_Lb1EPKjPS5_mNS0_19identity_decomposerEEE10hipError_tT1_T2_PT3_SF_jT4_jjP12ihipStream_tbEUlT_E_NS1_11comp_targetILNS1_3genE6ELNS1_11target_archE950ELNS1_3gpuE13ELNS1_3repE0EEENS1_52radix_sort_onesweep_histogram_config_static_selectorELNS0_4arch9wavefront6targetE0EEEvSD_.num_named_barrier, 0
	.set _ZN7rocprim17ROCPRIM_400000_NS6detail17trampoline_kernelINS0_14default_configENS1_35radix_sort_onesweep_config_selectorIjNS0_10empty_typeEEEZNS1_34radix_sort_onesweep_global_offsetsIS3_Lb1EPKjPS5_mNS0_19identity_decomposerEEE10hipError_tT1_T2_PT3_SF_jT4_jjP12ihipStream_tbEUlT_E_NS1_11comp_targetILNS1_3genE6ELNS1_11target_archE950ELNS1_3gpuE13ELNS1_3repE0EEENS1_52radix_sort_onesweep_histogram_config_static_selectorELNS0_4arch9wavefront6targetE0EEEvSD_.private_seg_size, 0
	.set _ZN7rocprim17ROCPRIM_400000_NS6detail17trampoline_kernelINS0_14default_configENS1_35radix_sort_onesweep_config_selectorIjNS0_10empty_typeEEEZNS1_34radix_sort_onesweep_global_offsetsIS3_Lb1EPKjPS5_mNS0_19identity_decomposerEEE10hipError_tT1_T2_PT3_SF_jT4_jjP12ihipStream_tbEUlT_E_NS1_11comp_targetILNS1_3genE6ELNS1_11target_archE950ELNS1_3gpuE13ELNS1_3repE0EEENS1_52radix_sort_onesweep_histogram_config_static_selectorELNS0_4arch9wavefront6targetE0EEEvSD_.uses_vcc, 0
	.set _ZN7rocprim17ROCPRIM_400000_NS6detail17trampoline_kernelINS0_14default_configENS1_35radix_sort_onesweep_config_selectorIjNS0_10empty_typeEEEZNS1_34radix_sort_onesweep_global_offsetsIS3_Lb1EPKjPS5_mNS0_19identity_decomposerEEE10hipError_tT1_T2_PT3_SF_jT4_jjP12ihipStream_tbEUlT_E_NS1_11comp_targetILNS1_3genE6ELNS1_11target_archE950ELNS1_3gpuE13ELNS1_3repE0EEENS1_52radix_sort_onesweep_histogram_config_static_selectorELNS0_4arch9wavefront6targetE0EEEvSD_.uses_flat_scratch, 0
	.set _ZN7rocprim17ROCPRIM_400000_NS6detail17trampoline_kernelINS0_14default_configENS1_35radix_sort_onesweep_config_selectorIjNS0_10empty_typeEEEZNS1_34radix_sort_onesweep_global_offsetsIS3_Lb1EPKjPS5_mNS0_19identity_decomposerEEE10hipError_tT1_T2_PT3_SF_jT4_jjP12ihipStream_tbEUlT_E_NS1_11comp_targetILNS1_3genE6ELNS1_11target_archE950ELNS1_3gpuE13ELNS1_3repE0EEENS1_52radix_sort_onesweep_histogram_config_static_selectorELNS0_4arch9wavefront6targetE0EEEvSD_.has_dyn_sized_stack, 0
	.set _ZN7rocprim17ROCPRIM_400000_NS6detail17trampoline_kernelINS0_14default_configENS1_35radix_sort_onesweep_config_selectorIjNS0_10empty_typeEEEZNS1_34radix_sort_onesweep_global_offsetsIS3_Lb1EPKjPS5_mNS0_19identity_decomposerEEE10hipError_tT1_T2_PT3_SF_jT4_jjP12ihipStream_tbEUlT_E_NS1_11comp_targetILNS1_3genE6ELNS1_11target_archE950ELNS1_3gpuE13ELNS1_3repE0EEENS1_52radix_sort_onesweep_histogram_config_static_selectorELNS0_4arch9wavefront6targetE0EEEvSD_.has_recursion, 0
	.set _ZN7rocprim17ROCPRIM_400000_NS6detail17trampoline_kernelINS0_14default_configENS1_35radix_sort_onesweep_config_selectorIjNS0_10empty_typeEEEZNS1_34radix_sort_onesweep_global_offsetsIS3_Lb1EPKjPS5_mNS0_19identity_decomposerEEE10hipError_tT1_T2_PT3_SF_jT4_jjP12ihipStream_tbEUlT_E_NS1_11comp_targetILNS1_3genE6ELNS1_11target_archE950ELNS1_3gpuE13ELNS1_3repE0EEENS1_52radix_sort_onesweep_histogram_config_static_selectorELNS0_4arch9wavefront6targetE0EEEvSD_.has_indirect_call, 0
	.section	.AMDGPU.csdata,"",@progbits
; Kernel info:
; codeLenInByte = 0
; TotalNumSgprs: 0
; NumVgprs: 0
; ScratchSize: 0
; MemoryBound: 0
; FloatMode: 240
; IeeeMode: 1
; LDSByteSize: 0 bytes/workgroup (compile time only)
; SGPRBlocks: 0
; VGPRBlocks: 0
; NumSGPRsForWavesPerEU: 1
; NumVGPRsForWavesPerEU: 1
; NamedBarCnt: 0
; Occupancy: 16
; WaveLimiterHint : 0
; COMPUTE_PGM_RSRC2:SCRATCH_EN: 0
; COMPUTE_PGM_RSRC2:USER_SGPR: 2
; COMPUTE_PGM_RSRC2:TRAP_HANDLER: 0
; COMPUTE_PGM_RSRC2:TGID_X_EN: 1
; COMPUTE_PGM_RSRC2:TGID_Y_EN: 0
; COMPUTE_PGM_RSRC2:TGID_Z_EN: 0
; COMPUTE_PGM_RSRC2:TIDIG_COMP_CNT: 0
	.section	.text._ZN7rocprim17ROCPRIM_400000_NS6detail17trampoline_kernelINS0_14default_configENS1_35radix_sort_onesweep_config_selectorIjNS0_10empty_typeEEEZNS1_34radix_sort_onesweep_global_offsetsIS3_Lb1EPKjPS5_mNS0_19identity_decomposerEEE10hipError_tT1_T2_PT3_SF_jT4_jjP12ihipStream_tbEUlT_E_NS1_11comp_targetILNS1_3genE5ELNS1_11target_archE942ELNS1_3gpuE9ELNS1_3repE0EEENS1_52radix_sort_onesweep_histogram_config_static_selectorELNS0_4arch9wavefront6targetE0EEEvSD_,"axG",@progbits,_ZN7rocprim17ROCPRIM_400000_NS6detail17trampoline_kernelINS0_14default_configENS1_35radix_sort_onesweep_config_selectorIjNS0_10empty_typeEEEZNS1_34radix_sort_onesweep_global_offsetsIS3_Lb1EPKjPS5_mNS0_19identity_decomposerEEE10hipError_tT1_T2_PT3_SF_jT4_jjP12ihipStream_tbEUlT_E_NS1_11comp_targetILNS1_3genE5ELNS1_11target_archE942ELNS1_3gpuE9ELNS1_3repE0EEENS1_52radix_sort_onesweep_histogram_config_static_selectorELNS0_4arch9wavefront6targetE0EEEvSD_,comdat
	.protected	_ZN7rocprim17ROCPRIM_400000_NS6detail17trampoline_kernelINS0_14default_configENS1_35radix_sort_onesweep_config_selectorIjNS0_10empty_typeEEEZNS1_34radix_sort_onesweep_global_offsetsIS3_Lb1EPKjPS5_mNS0_19identity_decomposerEEE10hipError_tT1_T2_PT3_SF_jT4_jjP12ihipStream_tbEUlT_E_NS1_11comp_targetILNS1_3genE5ELNS1_11target_archE942ELNS1_3gpuE9ELNS1_3repE0EEENS1_52radix_sort_onesweep_histogram_config_static_selectorELNS0_4arch9wavefront6targetE0EEEvSD_ ; -- Begin function _ZN7rocprim17ROCPRIM_400000_NS6detail17trampoline_kernelINS0_14default_configENS1_35radix_sort_onesweep_config_selectorIjNS0_10empty_typeEEEZNS1_34radix_sort_onesweep_global_offsetsIS3_Lb1EPKjPS5_mNS0_19identity_decomposerEEE10hipError_tT1_T2_PT3_SF_jT4_jjP12ihipStream_tbEUlT_E_NS1_11comp_targetILNS1_3genE5ELNS1_11target_archE942ELNS1_3gpuE9ELNS1_3repE0EEENS1_52radix_sort_onesweep_histogram_config_static_selectorELNS0_4arch9wavefront6targetE0EEEvSD_
	.globl	_ZN7rocprim17ROCPRIM_400000_NS6detail17trampoline_kernelINS0_14default_configENS1_35radix_sort_onesweep_config_selectorIjNS0_10empty_typeEEEZNS1_34radix_sort_onesweep_global_offsetsIS3_Lb1EPKjPS5_mNS0_19identity_decomposerEEE10hipError_tT1_T2_PT3_SF_jT4_jjP12ihipStream_tbEUlT_E_NS1_11comp_targetILNS1_3genE5ELNS1_11target_archE942ELNS1_3gpuE9ELNS1_3repE0EEENS1_52radix_sort_onesweep_histogram_config_static_selectorELNS0_4arch9wavefront6targetE0EEEvSD_
	.p2align	8
	.type	_ZN7rocprim17ROCPRIM_400000_NS6detail17trampoline_kernelINS0_14default_configENS1_35radix_sort_onesweep_config_selectorIjNS0_10empty_typeEEEZNS1_34radix_sort_onesweep_global_offsetsIS3_Lb1EPKjPS5_mNS0_19identity_decomposerEEE10hipError_tT1_T2_PT3_SF_jT4_jjP12ihipStream_tbEUlT_E_NS1_11comp_targetILNS1_3genE5ELNS1_11target_archE942ELNS1_3gpuE9ELNS1_3repE0EEENS1_52radix_sort_onesweep_histogram_config_static_selectorELNS0_4arch9wavefront6targetE0EEEvSD_,@function
_ZN7rocprim17ROCPRIM_400000_NS6detail17trampoline_kernelINS0_14default_configENS1_35radix_sort_onesweep_config_selectorIjNS0_10empty_typeEEEZNS1_34radix_sort_onesweep_global_offsetsIS3_Lb1EPKjPS5_mNS0_19identity_decomposerEEE10hipError_tT1_T2_PT3_SF_jT4_jjP12ihipStream_tbEUlT_E_NS1_11comp_targetILNS1_3genE5ELNS1_11target_archE942ELNS1_3gpuE9ELNS1_3repE0EEENS1_52radix_sort_onesweep_histogram_config_static_selectorELNS0_4arch9wavefront6targetE0EEEvSD_: ; @_ZN7rocprim17ROCPRIM_400000_NS6detail17trampoline_kernelINS0_14default_configENS1_35radix_sort_onesweep_config_selectorIjNS0_10empty_typeEEEZNS1_34radix_sort_onesweep_global_offsetsIS3_Lb1EPKjPS5_mNS0_19identity_decomposerEEE10hipError_tT1_T2_PT3_SF_jT4_jjP12ihipStream_tbEUlT_E_NS1_11comp_targetILNS1_3genE5ELNS1_11target_archE942ELNS1_3gpuE9ELNS1_3repE0EEENS1_52radix_sort_onesweep_histogram_config_static_selectorELNS0_4arch9wavefront6targetE0EEEvSD_
; %bb.0:
	.section	.rodata,"a",@progbits
	.p2align	6, 0x0
	.amdhsa_kernel _ZN7rocprim17ROCPRIM_400000_NS6detail17trampoline_kernelINS0_14default_configENS1_35radix_sort_onesweep_config_selectorIjNS0_10empty_typeEEEZNS1_34radix_sort_onesweep_global_offsetsIS3_Lb1EPKjPS5_mNS0_19identity_decomposerEEE10hipError_tT1_T2_PT3_SF_jT4_jjP12ihipStream_tbEUlT_E_NS1_11comp_targetILNS1_3genE5ELNS1_11target_archE942ELNS1_3gpuE9ELNS1_3repE0EEENS1_52radix_sort_onesweep_histogram_config_static_selectorELNS0_4arch9wavefront6targetE0EEEvSD_
		.amdhsa_group_segment_fixed_size 0
		.amdhsa_private_segment_fixed_size 0
		.amdhsa_kernarg_size 48
		.amdhsa_user_sgpr_count 2
		.amdhsa_user_sgpr_dispatch_ptr 0
		.amdhsa_user_sgpr_queue_ptr 0
		.amdhsa_user_sgpr_kernarg_segment_ptr 1
		.amdhsa_user_sgpr_dispatch_id 0
		.amdhsa_user_sgpr_kernarg_preload_length 0
		.amdhsa_user_sgpr_kernarg_preload_offset 0
		.amdhsa_user_sgpr_private_segment_size 0
		.amdhsa_wavefront_size32 1
		.amdhsa_uses_dynamic_stack 0
		.amdhsa_enable_private_segment 0
		.amdhsa_system_sgpr_workgroup_id_x 1
		.amdhsa_system_sgpr_workgroup_id_y 0
		.amdhsa_system_sgpr_workgroup_id_z 0
		.amdhsa_system_sgpr_workgroup_info 0
		.amdhsa_system_vgpr_workitem_id 0
		.amdhsa_next_free_vgpr 1
		.amdhsa_next_free_sgpr 1
		.amdhsa_named_barrier_count 0
		.amdhsa_reserve_vcc 0
		.amdhsa_float_round_mode_32 0
		.amdhsa_float_round_mode_16_64 0
		.amdhsa_float_denorm_mode_32 3
		.amdhsa_float_denorm_mode_16_64 3
		.amdhsa_fp16_overflow 0
		.amdhsa_memory_ordered 1
		.amdhsa_forward_progress 1
		.amdhsa_inst_pref_size 0
		.amdhsa_round_robin_scheduling 0
		.amdhsa_exception_fp_ieee_invalid_op 0
		.amdhsa_exception_fp_denorm_src 0
		.amdhsa_exception_fp_ieee_div_zero 0
		.amdhsa_exception_fp_ieee_overflow 0
		.amdhsa_exception_fp_ieee_underflow 0
		.amdhsa_exception_fp_ieee_inexact 0
		.amdhsa_exception_int_div_zero 0
	.end_amdhsa_kernel
	.section	.text._ZN7rocprim17ROCPRIM_400000_NS6detail17trampoline_kernelINS0_14default_configENS1_35radix_sort_onesweep_config_selectorIjNS0_10empty_typeEEEZNS1_34radix_sort_onesweep_global_offsetsIS3_Lb1EPKjPS5_mNS0_19identity_decomposerEEE10hipError_tT1_T2_PT3_SF_jT4_jjP12ihipStream_tbEUlT_E_NS1_11comp_targetILNS1_3genE5ELNS1_11target_archE942ELNS1_3gpuE9ELNS1_3repE0EEENS1_52radix_sort_onesweep_histogram_config_static_selectorELNS0_4arch9wavefront6targetE0EEEvSD_,"axG",@progbits,_ZN7rocprim17ROCPRIM_400000_NS6detail17trampoline_kernelINS0_14default_configENS1_35radix_sort_onesweep_config_selectorIjNS0_10empty_typeEEEZNS1_34radix_sort_onesweep_global_offsetsIS3_Lb1EPKjPS5_mNS0_19identity_decomposerEEE10hipError_tT1_T2_PT3_SF_jT4_jjP12ihipStream_tbEUlT_E_NS1_11comp_targetILNS1_3genE5ELNS1_11target_archE942ELNS1_3gpuE9ELNS1_3repE0EEENS1_52radix_sort_onesweep_histogram_config_static_selectorELNS0_4arch9wavefront6targetE0EEEvSD_,comdat
.Lfunc_end2609:
	.size	_ZN7rocprim17ROCPRIM_400000_NS6detail17trampoline_kernelINS0_14default_configENS1_35radix_sort_onesweep_config_selectorIjNS0_10empty_typeEEEZNS1_34radix_sort_onesweep_global_offsetsIS3_Lb1EPKjPS5_mNS0_19identity_decomposerEEE10hipError_tT1_T2_PT3_SF_jT4_jjP12ihipStream_tbEUlT_E_NS1_11comp_targetILNS1_3genE5ELNS1_11target_archE942ELNS1_3gpuE9ELNS1_3repE0EEENS1_52radix_sort_onesweep_histogram_config_static_selectorELNS0_4arch9wavefront6targetE0EEEvSD_, .Lfunc_end2609-_ZN7rocprim17ROCPRIM_400000_NS6detail17trampoline_kernelINS0_14default_configENS1_35radix_sort_onesweep_config_selectorIjNS0_10empty_typeEEEZNS1_34radix_sort_onesweep_global_offsetsIS3_Lb1EPKjPS5_mNS0_19identity_decomposerEEE10hipError_tT1_T2_PT3_SF_jT4_jjP12ihipStream_tbEUlT_E_NS1_11comp_targetILNS1_3genE5ELNS1_11target_archE942ELNS1_3gpuE9ELNS1_3repE0EEENS1_52radix_sort_onesweep_histogram_config_static_selectorELNS0_4arch9wavefront6targetE0EEEvSD_
                                        ; -- End function
	.set _ZN7rocprim17ROCPRIM_400000_NS6detail17trampoline_kernelINS0_14default_configENS1_35radix_sort_onesweep_config_selectorIjNS0_10empty_typeEEEZNS1_34radix_sort_onesweep_global_offsetsIS3_Lb1EPKjPS5_mNS0_19identity_decomposerEEE10hipError_tT1_T2_PT3_SF_jT4_jjP12ihipStream_tbEUlT_E_NS1_11comp_targetILNS1_3genE5ELNS1_11target_archE942ELNS1_3gpuE9ELNS1_3repE0EEENS1_52radix_sort_onesweep_histogram_config_static_selectorELNS0_4arch9wavefront6targetE0EEEvSD_.num_vgpr, 0
	.set _ZN7rocprim17ROCPRIM_400000_NS6detail17trampoline_kernelINS0_14default_configENS1_35radix_sort_onesweep_config_selectorIjNS0_10empty_typeEEEZNS1_34radix_sort_onesweep_global_offsetsIS3_Lb1EPKjPS5_mNS0_19identity_decomposerEEE10hipError_tT1_T2_PT3_SF_jT4_jjP12ihipStream_tbEUlT_E_NS1_11comp_targetILNS1_3genE5ELNS1_11target_archE942ELNS1_3gpuE9ELNS1_3repE0EEENS1_52radix_sort_onesweep_histogram_config_static_selectorELNS0_4arch9wavefront6targetE0EEEvSD_.num_agpr, 0
	.set _ZN7rocprim17ROCPRIM_400000_NS6detail17trampoline_kernelINS0_14default_configENS1_35radix_sort_onesweep_config_selectorIjNS0_10empty_typeEEEZNS1_34radix_sort_onesweep_global_offsetsIS3_Lb1EPKjPS5_mNS0_19identity_decomposerEEE10hipError_tT1_T2_PT3_SF_jT4_jjP12ihipStream_tbEUlT_E_NS1_11comp_targetILNS1_3genE5ELNS1_11target_archE942ELNS1_3gpuE9ELNS1_3repE0EEENS1_52radix_sort_onesweep_histogram_config_static_selectorELNS0_4arch9wavefront6targetE0EEEvSD_.numbered_sgpr, 0
	.set _ZN7rocprim17ROCPRIM_400000_NS6detail17trampoline_kernelINS0_14default_configENS1_35radix_sort_onesweep_config_selectorIjNS0_10empty_typeEEEZNS1_34radix_sort_onesweep_global_offsetsIS3_Lb1EPKjPS5_mNS0_19identity_decomposerEEE10hipError_tT1_T2_PT3_SF_jT4_jjP12ihipStream_tbEUlT_E_NS1_11comp_targetILNS1_3genE5ELNS1_11target_archE942ELNS1_3gpuE9ELNS1_3repE0EEENS1_52radix_sort_onesweep_histogram_config_static_selectorELNS0_4arch9wavefront6targetE0EEEvSD_.num_named_barrier, 0
	.set _ZN7rocprim17ROCPRIM_400000_NS6detail17trampoline_kernelINS0_14default_configENS1_35radix_sort_onesweep_config_selectorIjNS0_10empty_typeEEEZNS1_34radix_sort_onesweep_global_offsetsIS3_Lb1EPKjPS5_mNS0_19identity_decomposerEEE10hipError_tT1_T2_PT3_SF_jT4_jjP12ihipStream_tbEUlT_E_NS1_11comp_targetILNS1_3genE5ELNS1_11target_archE942ELNS1_3gpuE9ELNS1_3repE0EEENS1_52radix_sort_onesweep_histogram_config_static_selectorELNS0_4arch9wavefront6targetE0EEEvSD_.private_seg_size, 0
	.set _ZN7rocprim17ROCPRIM_400000_NS6detail17trampoline_kernelINS0_14default_configENS1_35radix_sort_onesweep_config_selectorIjNS0_10empty_typeEEEZNS1_34radix_sort_onesweep_global_offsetsIS3_Lb1EPKjPS5_mNS0_19identity_decomposerEEE10hipError_tT1_T2_PT3_SF_jT4_jjP12ihipStream_tbEUlT_E_NS1_11comp_targetILNS1_3genE5ELNS1_11target_archE942ELNS1_3gpuE9ELNS1_3repE0EEENS1_52radix_sort_onesweep_histogram_config_static_selectorELNS0_4arch9wavefront6targetE0EEEvSD_.uses_vcc, 0
	.set _ZN7rocprim17ROCPRIM_400000_NS6detail17trampoline_kernelINS0_14default_configENS1_35radix_sort_onesweep_config_selectorIjNS0_10empty_typeEEEZNS1_34radix_sort_onesweep_global_offsetsIS3_Lb1EPKjPS5_mNS0_19identity_decomposerEEE10hipError_tT1_T2_PT3_SF_jT4_jjP12ihipStream_tbEUlT_E_NS1_11comp_targetILNS1_3genE5ELNS1_11target_archE942ELNS1_3gpuE9ELNS1_3repE0EEENS1_52radix_sort_onesweep_histogram_config_static_selectorELNS0_4arch9wavefront6targetE0EEEvSD_.uses_flat_scratch, 0
	.set _ZN7rocprim17ROCPRIM_400000_NS6detail17trampoline_kernelINS0_14default_configENS1_35radix_sort_onesweep_config_selectorIjNS0_10empty_typeEEEZNS1_34radix_sort_onesweep_global_offsetsIS3_Lb1EPKjPS5_mNS0_19identity_decomposerEEE10hipError_tT1_T2_PT3_SF_jT4_jjP12ihipStream_tbEUlT_E_NS1_11comp_targetILNS1_3genE5ELNS1_11target_archE942ELNS1_3gpuE9ELNS1_3repE0EEENS1_52radix_sort_onesweep_histogram_config_static_selectorELNS0_4arch9wavefront6targetE0EEEvSD_.has_dyn_sized_stack, 0
	.set _ZN7rocprim17ROCPRIM_400000_NS6detail17trampoline_kernelINS0_14default_configENS1_35radix_sort_onesweep_config_selectorIjNS0_10empty_typeEEEZNS1_34radix_sort_onesweep_global_offsetsIS3_Lb1EPKjPS5_mNS0_19identity_decomposerEEE10hipError_tT1_T2_PT3_SF_jT4_jjP12ihipStream_tbEUlT_E_NS1_11comp_targetILNS1_3genE5ELNS1_11target_archE942ELNS1_3gpuE9ELNS1_3repE0EEENS1_52radix_sort_onesweep_histogram_config_static_selectorELNS0_4arch9wavefront6targetE0EEEvSD_.has_recursion, 0
	.set _ZN7rocprim17ROCPRIM_400000_NS6detail17trampoline_kernelINS0_14default_configENS1_35radix_sort_onesweep_config_selectorIjNS0_10empty_typeEEEZNS1_34radix_sort_onesweep_global_offsetsIS3_Lb1EPKjPS5_mNS0_19identity_decomposerEEE10hipError_tT1_T2_PT3_SF_jT4_jjP12ihipStream_tbEUlT_E_NS1_11comp_targetILNS1_3genE5ELNS1_11target_archE942ELNS1_3gpuE9ELNS1_3repE0EEENS1_52radix_sort_onesweep_histogram_config_static_selectorELNS0_4arch9wavefront6targetE0EEEvSD_.has_indirect_call, 0
	.section	.AMDGPU.csdata,"",@progbits
; Kernel info:
; codeLenInByte = 0
; TotalNumSgprs: 0
; NumVgprs: 0
; ScratchSize: 0
; MemoryBound: 0
; FloatMode: 240
; IeeeMode: 1
; LDSByteSize: 0 bytes/workgroup (compile time only)
; SGPRBlocks: 0
; VGPRBlocks: 0
; NumSGPRsForWavesPerEU: 1
; NumVGPRsForWavesPerEU: 1
; NamedBarCnt: 0
; Occupancy: 16
; WaveLimiterHint : 0
; COMPUTE_PGM_RSRC2:SCRATCH_EN: 0
; COMPUTE_PGM_RSRC2:USER_SGPR: 2
; COMPUTE_PGM_RSRC2:TRAP_HANDLER: 0
; COMPUTE_PGM_RSRC2:TGID_X_EN: 1
; COMPUTE_PGM_RSRC2:TGID_Y_EN: 0
; COMPUTE_PGM_RSRC2:TGID_Z_EN: 0
; COMPUTE_PGM_RSRC2:TIDIG_COMP_CNT: 0
	.section	.text._ZN7rocprim17ROCPRIM_400000_NS6detail17trampoline_kernelINS0_14default_configENS1_35radix_sort_onesweep_config_selectorIjNS0_10empty_typeEEEZNS1_34radix_sort_onesweep_global_offsetsIS3_Lb1EPKjPS5_mNS0_19identity_decomposerEEE10hipError_tT1_T2_PT3_SF_jT4_jjP12ihipStream_tbEUlT_E_NS1_11comp_targetILNS1_3genE2ELNS1_11target_archE906ELNS1_3gpuE6ELNS1_3repE0EEENS1_52radix_sort_onesweep_histogram_config_static_selectorELNS0_4arch9wavefront6targetE0EEEvSD_,"axG",@progbits,_ZN7rocprim17ROCPRIM_400000_NS6detail17trampoline_kernelINS0_14default_configENS1_35radix_sort_onesweep_config_selectorIjNS0_10empty_typeEEEZNS1_34radix_sort_onesweep_global_offsetsIS3_Lb1EPKjPS5_mNS0_19identity_decomposerEEE10hipError_tT1_T2_PT3_SF_jT4_jjP12ihipStream_tbEUlT_E_NS1_11comp_targetILNS1_3genE2ELNS1_11target_archE906ELNS1_3gpuE6ELNS1_3repE0EEENS1_52radix_sort_onesweep_histogram_config_static_selectorELNS0_4arch9wavefront6targetE0EEEvSD_,comdat
	.protected	_ZN7rocprim17ROCPRIM_400000_NS6detail17trampoline_kernelINS0_14default_configENS1_35radix_sort_onesweep_config_selectorIjNS0_10empty_typeEEEZNS1_34radix_sort_onesweep_global_offsetsIS3_Lb1EPKjPS5_mNS0_19identity_decomposerEEE10hipError_tT1_T2_PT3_SF_jT4_jjP12ihipStream_tbEUlT_E_NS1_11comp_targetILNS1_3genE2ELNS1_11target_archE906ELNS1_3gpuE6ELNS1_3repE0EEENS1_52radix_sort_onesweep_histogram_config_static_selectorELNS0_4arch9wavefront6targetE0EEEvSD_ ; -- Begin function _ZN7rocprim17ROCPRIM_400000_NS6detail17trampoline_kernelINS0_14default_configENS1_35radix_sort_onesweep_config_selectorIjNS0_10empty_typeEEEZNS1_34radix_sort_onesweep_global_offsetsIS3_Lb1EPKjPS5_mNS0_19identity_decomposerEEE10hipError_tT1_T2_PT3_SF_jT4_jjP12ihipStream_tbEUlT_E_NS1_11comp_targetILNS1_3genE2ELNS1_11target_archE906ELNS1_3gpuE6ELNS1_3repE0EEENS1_52radix_sort_onesweep_histogram_config_static_selectorELNS0_4arch9wavefront6targetE0EEEvSD_
	.globl	_ZN7rocprim17ROCPRIM_400000_NS6detail17trampoline_kernelINS0_14default_configENS1_35radix_sort_onesweep_config_selectorIjNS0_10empty_typeEEEZNS1_34radix_sort_onesweep_global_offsetsIS3_Lb1EPKjPS5_mNS0_19identity_decomposerEEE10hipError_tT1_T2_PT3_SF_jT4_jjP12ihipStream_tbEUlT_E_NS1_11comp_targetILNS1_3genE2ELNS1_11target_archE906ELNS1_3gpuE6ELNS1_3repE0EEENS1_52radix_sort_onesweep_histogram_config_static_selectorELNS0_4arch9wavefront6targetE0EEEvSD_
	.p2align	8
	.type	_ZN7rocprim17ROCPRIM_400000_NS6detail17trampoline_kernelINS0_14default_configENS1_35radix_sort_onesweep_config_selectorIjNS0_10empty_typeEEEZNS1_34radix_sort_onesweep_global_offsetsIS3_Lb1EPKjPS5_mNS0_19identity_decomposerEEE10hipError_tT1_T2_PT3_SF_jT4_jjP12ihipStream_tbEUlT_E_NS1_11comp_targetILNS1_3genE2ELNS1_11target_archE906ELNS1_3gpuE6ELNS1_3repE0EEENS1_52radix_sort_onesweep_histogram_config_static_selectorELNS0_4arch9wavefront6targetE0EEEvSD_,@function
_ZN7rocprim17ROCPRIM_400000_NS6detail17trampoline_kernelINS0_14default_configENS1_35radix_sort_onesweep_config_selectorIjNS0_10empty_typeEEEZNS1_34radix_sort_onesweep_global_offsetsIS3_Lb1EPKjPS5_mNS0_19identity_decomposerEEE10hipError_tT1_T2_PT3_SF_jT4_jjP12ihipStream_tbEUlT_E_NS1_11comp_targetILNS1_3genE2ELNS1_11target_archE906ELNS1_3gpuE6ELNS1_3repE0EEENS1_52radix_sort_onesweep_histogram_config_static_selectorELNS0_4arch9wavefront6targetE0EEEvSD_: ; @_ZN7rocprim17ROCPRIM_400000_NS6detail17trampoline_kernelINS0_14default_configENS1_35radix_sort_onesweep_config_selectorIjNS0_10empty_typeEEEZNS1_34radix_sort_onesweep_global_offsetsIS3_Lb1EPKjPS5_mNS0_19identity_decomposerEEE10hipError_tT1_T2_PT3_SF_jT4_jjP12ihipStream_tbEUlT_E_NS1_11comp_targetILNS1_3genE2ELNS1_11target_archE906ELNS1_3gpuE6ELNS1_3repE0EEENS1_52radix_sort_onesweep_histogram_config_static_selectorELNS0_4arch9wavefront6targetE0EEEvSD_
; %bb.0:
	.section	.rodata,"a",@progbits
	.p2align	6, 0x0
	.amdhsa_kernel _ZN7rocprim17ROCPRIM_400000_NS6detail17trampoline_kernelINS0_14default_configENS1_35radix_sort_onesweep_config_selectorIjNS0_10empty_typeEEEZNS1_34radix_sort_onesweep_global_offsetsIS3_Lb1EPKjPS5_mNS0_19identity_decomposerEEE10hipError_tT1_T2_PT3_SF_jT4_jjP12ihipStream_tbEUlT_E_NS1_11comp_targetILNS1_3genE2ELNS1_11target_archE906ELNS1_3gpuE6ELNS1_3repE0EEENS1_52radix_sort_onesweep_histogram_config_static_selectorELNS0_4arch9wavefront6targetE0EEEvSD_
		.amdhsa_group_segment_fixed_size 0
		.amdhsa_private_segment_fixed_size 0
		.amdhsa_kernarg_size 48
		.amdhsa_user_sgpr_count 2
		.amdhsa_user_sgpr_dispatch_ptr 0
		.amdhsa_user_sgpr_queue_ptr 0
		.amdhsa_user_sgpr_kernarg_segment_ptr 1
		.amdhsa_user_sgpr_dispatch_id 0
		.amdhsa_user_sgpr_kernarg_preload_length 0
		.amdhsa_user_sgpr_kernarg_preload_offset 0
		.amdhsa_user_sgpr_private_segment_size 0
		.amdhsa_wavefront_size32 1
		.amdhsa_uses_dynamic_stack 0
		.amdhsa_enable_private_segment 0
		.amdhsa_system_sgpr_workgroup_id_x 1
		.amdhsa_system_sgpr_workgroup_id_y 0
		.amdhsa_system_sgpr_workgroup_id_z 0
		.amdhsa_system_sgpr_workgroup_info 0
		.amdhsa_system_vgpr_workitem_id 0
		.amdhsa_next_free_vgpr 1
		.amdhsa_next_free_sgpr 1
		.amdhsa_named_barrier_count 0
		.amdhsa_reserve_vcc 0
		.amdhsa_float_round_mode_32 0
		.amdhsa_float_round_mode_16_64 0
		.amdhsa_float_denorm_mode_32 3
		.amdhsa_float_denorm_mode_16_64 3
		.amdhsa_fp16_overflow 0
		.amdhsa_memory_ordered 1
		.amdhsa_forward_progress 1
		.amdhsa_inst_pref_size 0
		.amdhsa_round_robin_scheduling 0
		.amdhsa_exception_fp_ieee_invalid_op 0
		.amdhsa_exception_fp_denorm_src 0
		.amdhsa_exception_fp_ieee_div_zero 0
		.amdhsa_exception_fp_ieee_overflow 0
		.amdhsa_exception_fp_ieee_underflow 0
		.amdhsa_exception_fp_ieee_inexact 0
		.amdhsa_exception_int_div_zero 0
	.end_amdhsa_kernel
	.section	.text._ZN7rocprim17ROCPRIM_400000_NS6detail17trampoline_kernelINS0_14default_configENS1_35radix_sort_onesweep_config_selectorIjNS0_10empty_typeEEEZNS1_34radix_sort_onesweep_global_offsetsIS3_Lb1EPKjPS5_mNS0_19identity_decomposerEEE10hipError_tT1_T2_PT3_SF_jT4_jjP12ihipStream_tbEUlT_E_NS1_11comp_targetILNS1_3genE2ELNS1_11target_archE906ELNS1_3gpuE6ELNS1_3repE0EEENS1_52radix_sort_onesweep_histogram_config_static_selectorELNS0_4arch9wavefront6targetE0EEEvSD_,"axG",@progbits,_ZN7rocprim17ROCPRIM_400000_NS6detail17trampoline_kernelINS0_14default_configENS1_35radix_sort_onesweep_config_selectorIjNS0_10empty_typeEEEZNS1_34radix_sort_onesweep_global_offsetsIS3_Lb1EPKjPS5_mNS0_19identity_decomposerEEE10hipError_tT1_T2_PT3_SF_jT4_jjP12ihipStream_tbEUlT_E_NS1_11comp_targetILNS1_3genE2ELNS1_11target_archE906ELNS1_3gpuE6ELNS1_3repE0EEENS1_52radix_sort_onesweep_histogram_config_static_selectorELNS0_4arch9wavefront6targetE0EEEvSD_,comdat
.Lfunc_end2610:
	.size	_ZN7rocprim17ROCPRIM_400000_NS6detail17trampoline_kernelINS0_14default_configENS1_35radix_sort_onesweep_config_selectorIjNS0_10empty_typeEEEZNS1_34radix_sort_onesweep_global_offsetsIS3_Lb1EPKjPS5_mNS0_19identity_decomposerEEE10hipError_tT1_T2_PT3_SF_jT4_jjP12ihipStream_tbEUlT_E_NS1_11comp_targetILNS1_3genE2ELNS1_11target_archE906ELNS1_3gpuE6ELNS1_3repE0EEENS1_52radix_sort_onesweep_histogram_config_static_selectorELNS0_4arch9wavefront6targetE0EEEvSD_, .Lfunc_end2610-_ZN7rocprim17ROCPRIM_400000_NS6detail17trampoline_kernelINS0_14default_configENS1_35radix_sort_onesweep_config_selectorIjNS0_10empty_typeEEEZNS1_34radix_sort_onesweep_global_offsetsIS3_Lb1EPKjPS5_mNS0_19identity_decomposerEEE10hipError_tT1_T2_PT3_SF_jT4_jjP12ihipStream_tbEUlT_E_NS1_11comp_targetILNS1_3genE2ELNS1_11target_archE906ELNS1_3gpuE6ELNS1_3repE0EEENS1_52radix_sort_onesweep_histogram_config_static_selectorELNS0_4arch9wavefront6targetE0EEEvSD_
                                        ; -- End function
	.set _ZN7rocprim17ROCPRIM_400000_NS6detail17trampoline_kernelINS0_14default_configENS1_35radix_sort_onesweep_config_selectorIjNS0_10empty_typeEEEZNS1_34radix_sort_onesweep_global_offsetsIS3_Lb1EPKjPS5_mNS0_19identity_decomposerEEE10hipError_tT1_T2_PT3_SF_jT4_jjP12ihipStream_tbEUlT_E_NS1_11comp_targetILNS1_3genE2ELNS1_11target_archE906ELNS1_3gpuE6ELNS1_3repE0EEENS1_52radix_sort_onesweep_histogram_config_static_selectorELNS0_4arch9wavefront6targetE0EEEvSD_.num_vgpr, 0
	.set _ZN7rocprim17ROCPRIM_400000_NS6detail17trampoline_kernelINS0_14default_configENS1_35radix_sort_onesweep_config_selectorIjNS0_10empty_typeEEEZNS1_34radix_sort_onesweep_global_offsetsIS3_Lb1EPKjPS5_mNS0_19identity_decomposerEEE10hipError_tT1_T2_PT3_SF_jT4_jjP12ihipStream_tbEUlT_E_NS1_11comp_targetILNS1_3genE2ELNS1_11target_archE906ELNS1_3gpuE6ELNS1_3repE0EEENS1_52radix_sort_onesweep_histogram_config_static_selectorELNS0_4arch9wavefront6targetE0EEEvSD_.num_agpr, 0
	.set _ZN7rocprim17ROCPRIM_400000_NS6detail17trampoline_kernelINS0_14default_configENS1_35radix_sort_onesweep_config_selectorIjNS0_10empty_typeEEEZNS1_34radix_sort_onesweep_global_offsetsIS3_Lb1EPKjPS5_mNS0_19identity_decomposerEEE10hipError_tT1_T2_PT3_SF_jT4_jjP12ihipStream_tbEUlT_E_NS1_11comp_targetILNS1_3genE2ELNS1_11target_archE906ELNS1_3gpuE6ELNS1_3repE0EEENS1_52radix_sort_onesweep_histogram_config_static_selectorELNS0_4arch9wavefront6targetE0EEEvSD_.numbered_sgpr, 0
	.set _ZN7rocprim17ROCPRIM_400000_NS6detail17trampoline_kernelINS0_14default_configENS1_35radix_sort_onesweep_config_selectorIjNS0_10empty_typeEEEZNS1_34radix_sort_onesweep_global_offsetsIS3_Lb1EPKjPS5_mNS0_19identity_decomposerEEE10hipError_tT1_T2_PT3_SF_jT4_jjP12ihipStream_tbEUlT_E_NS1_11comp_targetILNS1_3genE2ELNS1_11target_archE906ELNS1_3gpuE6ELNS1_3repE0EEENS1_52radix_sort_onesweep_histogram_config_static_selectorELNS0_4arch9wavefront6targetE0EEEvSD_.num_named_barrier, 0
	.set _ZN7rocprim17ROCPRIM_400000_NS6detail17trampoline_kernelINS0_14default_configENS1_35radix_sort_onesweep_config_selectorIjNS0_10empty_typeEEEZNS1_34radix_sort_onesweep_global_offsetsIS3_Lb1EPKjPS5_mNS0_19identity_decomposerEEE10hipError_tT1_T2_PT3_SF_jT4_jjP12ihipStream_tbEUlT_E_NS1_11comp_targetILNS1_3genE2ELNS1_11target_archE906ELNS1_3gpuE6ELNS1_3repE0EEENS1_52radix_sort_onesweep_histogram_config_static_selectorELNS0_4arch9wavefront6targetE0EEEvSD_.private_seg_size, 0
	.set _ZN7rocprim17ROCPRIM_400000_NS6detail17trampoline_kernelINS0_14default_configENS1_35radix_sort_onesweep_config_selectorIjNS0_10empty_typeEEEZNS1_34radix_sort_onesweep_global_offsetsIS3_Lb1EPKjPS5_mNS0_19identity_decomposerEEE10hipError_tT1_T2_PT3_SF_jT4_jjP12ihipStream_tbEUlT_E_NS1_11comp_targetILNS1_3genE2ELNS1_11target_archE906ELNS1_3gpuE6ELNS1_3repE0EEENS1_52radix_sort_onesweep_histogram_config_static_selectorELNS0_4arch9wavefront6targetE0EEEvSD_.uses_vcc, 0
	.set _ZN7rocprim17ROCPRIM_400000_NS6detail17trampoline_kernelINS0_14default_configENS1_35radix_sort_onesweep_config_selectorIjNS0_10empty_typeEEEZNS1_34radix_sort_onesweep_global_offsetsIS3_Lb1EPKjPS5_mNS0_19identity_decomposerEEE10hipError_tT1_T2_PT3_SF_jT4_jjP12ihipStream_tbEUlT_E_NS1_11comp_targetILNS1_3genE2ELNS1_11target_archE906ELNS1_3gpuE6ELNS1_3repE0EEENS1_52radix_sort_onesweep_histogram_config_static_selectorELNS0_4arch9wavefront6targetE0EEEvSD_.uses_flat_scratch, 0
	.set _ZN7rocprim17ROCPRIM_400000_NS6detail17trampoline_kernelINS0_14default_configENS1_35radix_sort_onesweep_config_selectorIjNS0_10empty_typeEEEZNS1_34radix_sort_onesweep_global_offsetsIS3_Lb1EPKjPS5_mNS0_19identity_decomposerEEE10hipError_tT1_T2_PT3_SF_jT4_jjP12ihipStream_tbEUlT_E_NS1_11comp_targetILNS1_3genE2ELNS1_11target_archE906ELNS1_3gpuE6ELNS1_3repE0EEENS1_52radix_sort_onesweep_histogram_config_static_selectorELNS0_4arch9wavefront6targetE0EEEvSD_.has_dyn_sized_stack, 0
	.set _ZN7rocprim17ROCPRIM_400000_NS6detail17trampoline_kernelINS0_14default_configENS1_35radix_sort_onesweep_config_selectorIjNS0_10empty_typeEEEZNS1_34radix_sort_onesweep_global_offsetsIS3_Lb1EPKjPS5_mNS0_19identity_decomposerEEE10hipError_tT1_T2_PT3_SF_jT4_jjP12ihipStream_tbEUlT_E_NS1_11comp_targetILNS1_3genE2ELNS1_11target_archE906ELNS1_3gpuE6ELNS1_3repE0EEENS1_52radix_sort_onesweep_histogram_config_static_selectorELNS0_4arch9wavefront6targetE0EEEvSD_.has_recursion, 0
	.set _ZN7rocprim17ROCPRIM_400000_NS6detail17trampoline_kernelINS0_14default_configENS1_35radix_sort_onesweep_config_selectorIjNS0_10empty_typeEEEZNS1_34radix_sort_onesweep_global_offsetsIS3_Lb1EPKjPS5_mNS0_19identity_decomposerEEE10hipError_tT1_T2_PT3_SF_jT4_jjP12ihipStream_tbEUlT_E_NS1_11comp_targetILNS1_3genE2ELNS1_11target_archE906ELNS1_3gpuE6ELNS1_3repE0EEENS1_52radix_sort_onesweep_histogram_config_static_selectorELNS0_4arch9wavefront6targetE0EEEvSD_.has_indirect_call, 0
	.section	.AMDGPU.csdata,"",@progbits
; Kernel info:
; codeLenInByte = 0
; TotalNumSgprs: 0
; NumVgprs: 0
; ScratchSize: 0
; MemoryBound: 0
; FloatMode: 240
; IeeeMode: 1
; LDSByteSize: 0 bytes/workgroup (compile time only)
; SGPRBlocks: 0
; VGPRBlocks: 0
; NumSGPRsForWavesPerEU: 1
; NumVGPRsForWavesPerEU: 1
; NamedBarCnt: 0
; Occupancy: 16
; WaveLimiterHint : 0
; COMPUTE_PGM_RSRC2:SCRATCH_EN: 0
; COMPUTE_PGM_RSRC2:USER_SGPR: 2
; COMPUTE_PGM_RSRC2:TRAP_HANDLER: 0
; COMPUTE_PGM_RSRC2:TGID_X_EN: 1
; COMPUTE_PGM_RSRC2:TGID_Y_EN: 0
; COMPUTE_PGM_RSRC2:TGID_Z_EN: 0
; COMPUTE_PGM_RSRC2:TIDIG_COMP_CNT: 0
	.section	.text._ZN7rocprim17ROCPRIM_400000_NS6detail17trampoline_kernelINS0_14default_configENS1_35radix_sort_onesweep_config_selectorIjNS0_10empty_typeEEEZNS1_34radix_sort_onesweep_global_offsetsIS3_Lb1EPKjPS5_mNS0_19identity_decomposerEEE10hipError_tT1_T2_PT3_SF_jT4_jjP12ihipStream_tbEUlT_E_NS1_11comp_targetILNS1_3genE4ELNS1_11target_archE910ELNS1_3gpuE8ELNS1_3repE0EEENS1_52radix_sort_onesweep_histogram_config_static_selectorELNS0_4arch9wavefront6targetE0EEEvSD_,"axG",@progbits,_ZN7rocprim17ROCPRIM_400000_NS6detail17trampoline_kernelINS0_14default_configENS1_35radix_sort_onesweep_config_selectorIjNS0_10empty_typeEEEZNS1_34radix_sort_onesweep_global_offsetsIS3_Lb1EPKjPS5_mNS0_19identity_decomposerEEE10hipError_tT1_T2_PT3_SF_jT4_jjP12ihipStream_tbEUlT_E_NS1_11comp_targetILNS1_3genE4ELNS1_11target_archE910ELNS1_3gpuE8ELNS1_3repE0EEENS1_52radix_sort_onesweep_histogram_config_static_selectorELNS0_4arch9wavefront6targetE0EEEvSD_,comdat
	.protected	_ZN7rocprim17ROCPRIM_400000_NS6detail17trampoline_kernelINS0_14default_configENS1_35radix_sort_onesweep_config_selectorIjNS0_10empty_typeEEEZNS1_34radix_sort_onesweep_global_offsetsIS3_Lb1EPKjPS5_mNS0_19identity_decomposerEEE10hipError_tT1_T2_PT3_SF_jT4_jjP12ihipStream_tbEUlT_E_NS1_11comp_targetILNS1_3genE4ELNS1_11target_archE910ELNS1_3gpuE8ELNS1_3repE0EEENS1_52radix_sort_onesweep_histogram_config_static_selectorELNS0_4arch9wavefront6targetE0EEEvSD_ ; -- Begin function _ZN7rocprim17ROCPRIM_400000_NS6detail17trampoline_kernelINS0_14default_configENS1_35radix_sort_onesweep_config_selectorIjNS0_10empty_typeEEEZNS1_34radix_sort_onesweep_global_offsetsIS3_Lb1EPKjPS5_mNS0_19identity_decomposerEEE10hipError_tT1_T2_PT3_SF_jT4_jjP12ihipStream_tbEUlT_E_NS1_11comp_targetILNS1_3genE4ELNS1_11target_archE910ELNS1_3gpuE8ELNS1_3repE0EEENS1_52radix_sort_onesweep_histogram_config_static_selectorELNS0_4arch9wavefront6targetE0EEEvSD_
	.globl	_ZN7rocprim17ROCPRIM_400000_NS6detail17trampoline_kernelINS0_14default_configENS1_35radix_sort_onesweep_config_selectorIjNS0_10empty_typeEEEZNS1_34radix_sort_onesweep_global_offsetsIS3_Lb1EPKjPS5_mNS0_19identity_decomposerEEE10hipError_tT1_T2_PT3_SF_jT4_jjP12ihipStream_tbEUlT_E_NS1_11comp_targetILNS1_3genE4ELNS1_11target_archE910ELNS1_3gpuE8ELNS1_3repE0EEENS1_52radix_sort_onesweep_histogram_config_static_selectorELNS0_4arch9wavefront6targetE0EEEvSD_
	.p2align	8
	.type	_ZN7rocprim17ROCPRIM_400000_NS6detail17trampoline_kernelINS0_14default_configENS1_35radix_sort_onesweep_config_selectorIjNS0_10empty_typeEEEZNS1_34radix_sort_onesweep_global_offsetsIS3_Lb1EPKjPS5_mNS0_19identity_decomposerEEE10hipError_tT1_T2_PT3_SF_jT4_jjP12ihipStream_tbEUlT_E_NS1_11comp_targetILNS1_3genE4ELNS1_11target_archE910ELNS1_3gpuE8ELNS1_3repE0EEENS1_52radix_sort_onesweep_histogram_config_static_selectorELNS0_4arch9wavefront6targetE0EEEvSD_,@function
_ZN7rocprim17ROCPRIM_400000_NS6detail17trampoline_kernelINS0_14default_configENS1_35radix_sort_onesweep_config_selectorIjNS0_10empty_typeEEEZNS1_34radix_sort_onesweep_global_offsetsIS3_Lb1EPKjPS5_mNS0_19identity_decomposerEEE10hipError_tT1_T2_PT3_SF_jT4_jjP12ihipStream_tbEUlT_E_NS1_11comp_targetILNS1_3genE4ELNS1_11target_archE910ELNS1_3gpuE8ELNS1_3repE0EEENS1_52radix_sort_onesweep_histogram_config_static_selectorELNS0_4arch9wavefront6targetE0EEEvSD_: ; @_ZN7rocprim17ROCPRIM_400000_NS6detail17trampoline_kernelINS0_14default_configENS1_35radix_sort_onesweep_config_selectorIjNS0_10empty_typeEEEZNS1_34radix_sort_onesweep_global_offsetsIS3_Lb1EPKjPS5_mNS0_19identity_decomposerEEE10hipError_tT1_T2_PT3_SF_jT4_jjP12ihipStream_tbEUlT_E_NS1_11comp_targetILNS1_3genE4ELNS1_11target_archE910ELNS1_3gpuE8ELNS1_3repE0EEENS1_52radix_sort_onesweep_histogram_config_static_selectorELNS0_4arch9wavefront6targetE0EEEvSD_
; %bb.0:
	.section	.rodata,"a",@progbits
	.p2align	6, 0x0
	.amdhsa_kernel _ZN7rocprim17ROCPRIM_400000_NS6detail17trampoline_kernelINS0_14default_configENS1_35radix_sort_onesweep_config_selectorIjNS0_10empty_typeEEEZNS1_34radix_sort_onesweep_global_offsetsIS3_Lb1EPKjPS5_mNS0_19identity_decomposerEEE10hipError_tT1_T2_PT3_SF_jT4_jjP12ihipStream_tbEUlT_E_NS1_11comp_targetILNS1_3genE4ELNS1_11target_archE910ELNS1_3gpuE8ELNS1_3repE0EEENS1_52radix_sort_onesweep_histogram_config_static_selectorELNS0_4arch9wavefront6targetE0EEEvSD_
		.amdhsa_group_segment_fixed_size 0
		.amdhsa_private_segment_fixed_size 0
		.amdhsa_kernarg_size 48
		.amdhsa_user_sgpr_count 2
		.amdhsa_user_sgpr_dispatch_ptr 0
		.amdhsa_user_sgpr_queue_ptr 0
		.amdhsa_user_sgpr_kernarg_segment_ptr 1
		.amdhsa_user_sgpr_dispatch_id 0
		.amdhsa_user_sgpr_kernarg_preload_length 0
		.amdhsa_user_sgpr_kernarg_preload_offset 0
		.amdhsa_user_sgpr_private_segment_size 0
		.amdhsa_wavefront_size32 1
		.amdhsa_uses_dynamic_stack 0
		.amdhsa_enable_private_segment 0
		.amdhsa_system_sgpr_workgroup_id_x 1
		.amdhsa_system_sgpr_workgroup_id_y 0
		.amdhsa_system_sgpr_workgroup_id_z 0
		.amdhsa_system_sgpr_workgroup_info 0
		.amdhsa_system_vgpr_workitem_id 0
		.amdhsa_next_free_vgpr 1
		.amdhsa_next_free_sgpr 1
		.amdhsa_named_barrier_count 0
		.amdhsa_reserve_vcc 0
		.amdhsa_float_round_mode_32 0
		.amdhsa_float_round_mode_16_64 0
		.amdhsa_float_denorm_mode_32 3
		.amdhsa_float_denorm_mode_16_64 3
		.amdhsa_fp16_overflow 0
		.amdhsa_memory_ordered 1
		.amdhsa_forward_progress 1
		.amdhsa_inst_pref_size 0
		.amdhsa_round_robin_scheduling 0
		.amdhsa_exception_fp_ieee_invalid_op 0
		.amdhsa_exception_fp_denorm_src 0
		.amdhsa_exception_fp_ieee_div_zero 0
		.amdhsa_exception_fp_ieee_overflow 0
		.amdhsa_exception_fp_ieee_underflow 0
		.amdhsa_exception_fp_ieee_inexact 0
		.amdhsa_exception_int_div_zero 0
	.end_amdhsa_kernel
	.section	.text._ZN7rocprim17ROCPRIM_400000_NS6detail17trampoline_kernelINS0_14default_configENS1_35radix_sort_onesweep_config_selectorIjNS0_10empty_typeEEEZNS1_34radix_sort_onesweep_global_offsetsIS3_Lb1EPKjPS5_mNS0_19identity_decomposerEEE10hipError_tT1_T2_PT3_SF_jT4_jjP12ihipStream_tbEUlT_E_NS1_11comp_targetILNS1_3genE4ELNS1_11target_archE910ELNS1_3gpuE8ELNS1_3repE0EEENS1_52radix_sort_onesweep_histogram_config_static_selectorELNS0_4arch9wavefront6targetE0EEEvSD_,"axG",@progbits,_ZN7rocprim17ROCPRIM_400000_NS6detail17trampoline_kernelINS0_14default_configENS1_35radix_sort_onesweep_config_selectorIjNS0_10empty_typeEEEZNS1_34radix_sort_onesweep_global_offsetsIS3_Lb1EPKjPS5_mNS0_19identity_decomposerEEE10hipError_tT1_T2_PT3_SF_jT4_jjP12ihipStream_tbEUlT_E_NS1_11comp_targetILNS1_3genE4ELNS1_11target_archE910ELNS1_3gpuE8ELNS1_3repE0EEENS1_52radix_sort_onesweep_histogram_config_static_selectorELNS0_4arch9wavefront6targetE0EEEvSD_,comdat
.Lfunc_end2611:
	.size	_ZN7rocprim17ROCPRIM_400000_NS6detail17trampoline_kernelINS0_14default_configENS1_35radix_sort_onesweep_config_selectorIjNS0_10empty_typeEEEZNS1_34radix_sort_onesweep_global_offsetsIS3_Lb1EPKjPS5_mNS0_19identity_decomposerEEE10hipError_tT1_T2_PT3_SF_jT4_jjP12ihipStream_tbEUlT_E_NS1_11comp_targetILNS1_3genE4ELNS1_11target_archE910ELNS1_3gpuE8ELNS1_3repE0EEENS1_52radix_sort_onesweep_histogram_config_static_selectorELNS0_4arch9wavefront6targetE0EEEvSD_, .Lfunc_end2611-_ZN7rocprim17ROCPRIM_400000_NS6detail17trampoline_kernelINS0_14default_configENS1_35radix_sort_onesweep_config_selectorIjNS0_10empty_typeEEEZNS1_34radix_sort_onesweep_global_offsetsIS3_Lb1EPKjPS5_mNS0_19identity_decomposerEEE10hipError_tT1_T2_PT3_SF_jT4_jjP12ihipStream_tbEUlT_E_NS1_11comp_targetILNS1_3genE4ELNS1_11target_archE910ELNS1_3gpuE8ELNS1_3repE0EEENS1_52radix_sort_onesweep_histogram_config_static_selectorELNS0_4arch9wavefront6targetE0EEEvSD_
                                        ; -- End function
	.set _ZN7rocprim17ROCPRIM_400000_NS6detail17trampoline_kernelINS0_14default_configENS1_35radix_sort_onesweep_config_selectorIjNS0_10empty_typeEEEZNS1_34radix_sort_onesweep_global_offsetsIS3_Lb1EPKjPS5_mNS0_19identity_decomposerEEE10hipError_tT1_T2_PT3_SF_jT4_jjP12ihipStream_tbEUlT_E_NS1_11comp_targetILNS1_3genE4ELNS1_11target_archE910ELNS1_3gpuE8ELNS1_3repE0EEENS1_52radix_sort_onesweep_histogram_config_static_selectorELNS0_4arch9wavefront6targetE0EEEvSD_.num_vgpr, 0
	.set _ZN7rocprim17ROCPRIM_400000_NS6detail17trampoline_kernelINS0_14default_configENS1_35radix_sort_onesweep_config_selectorIjNS0_10empty_typeEEEZNS1_34radix_sort_onesweep_global_offsetsIS3_Lb1EPKjPS5_mNS0_19identity_decomposerEEE10hipError_tT1_T2_PT3_SF_jT4_jjP12ihipStream_tbEUlT_E_NS1_11comp_targetILNS1_3genE4ELNS1_11target_archE910ELNS1_3gpuE8ELNS1_3repE0EEENS1_52radix_sort_onesweep_histogram_config_static_selectorELNS0_4arch9wavefront6targetE0EEEvSD_.num_agpr, 0
	.set _ZN7rocprim17ROCPRIM_400000_NS6detail17trampoline_kernelINS0_14default_configENS1_35radix_sort_onesweep_config_selectorIjNS0_10empty_typeEEEZNS1_34radix_sort_onesweep_global_offsetsIS3_Lb1EPKjPS5_mNS0_19identity_decomposerEEE10hipError_tT1_T2_PT3_SF_jT4_jjP12ihipStream_tbEUlT_E_NS1_11comp_targetILNS1_3genE4ELNS1_11target_archE910ELNS1_3gpuE8ELNS1_3repE0EEENS1_52radix_sort_onesweep_histogram_config_static_selectorELNS0_4arch9wavefront6targetE0EEEvSD_.numbered_sgpr, 0
	.set _ZN7rocprim17ROCPRIM_400000_NS6detail17trampoline_kernelINS0_14default_configENS1_35radix_sort_onesweep_config_selectorIjNS0_10empty_typeEEEZNS1_34radix_sort_onesweep_global_offsetsIS3_Lb1EPKjPS5_mNS0_19identity_decomposerEEE10hipError_tT1_T2_PT3_SF_jT4_jjP12ihipStream_tbEUlT_E_NS1_11comp_targetILNS1_3genE4ELNS1_11target_archE910ELNS1_3gpuE8ELNS1_3repE0EEENS1_52radix_sort_onesweep_histogram_config_static_selectorELNS0_4arch9wavefront6targetE0EEEvSD_.num_named_barrier, 0
	.set _ZN7rocprim17ROCPRIM_400000_NS6detail17trampoline_kernelINS0_14default_configENS1_35radix_sort_onesweep_config_selectorIjNS0_10empty_typeEEEZNS1_34radix_sort_onesweep_global_offsetsIS3_Lb1EPKjPS5_mNS0_19identity_decomposerEEE10hipError_tT1_T2_PT3_SF_jT4_jjP12ihipStream_tbEUlT_E_NS1_11comp_targetILNS1_3genE4ELNS1_11target_archE910ELNS1_3gpuE8ELNS1_3repE0EEENS1_52radix_sort_onesweep_histogram_config_static_selectorELNS0_4arch9wavefront6targetE0EEEvSD_.private_seg_size, 0
	.set _ZN7rocprim17ROCPRIM_400000_NS6detail17trampoline_kernelINS0_14default_configENS1_35radix_sort_onesweep_config_selectorIjNS0_10empty_typeEEEZNS1_34radix_sort_onesweep_global_offsetsIS3_Lb1EPKjPS5_mNS0_19identity_decomposerEEE10hipError_tT1_T2_PT3_SF_jT4_jjP12ihipStream_tbEUlT_E_NS1_11comp_targetILNS1_3genE4ELNS1_11target_archE910ELNS1_3gpuE8ELNS1_3repE0EEENS1_52radix_sort_onesweep_histogram_config_static_selectorELNS0_4arch9wavefront6targetE0EEEvSD_.uses_vcc, 0
	.set _ZN7rocprim17ROCPRIM_400000_NS6detail17trampoline_kernelINS0_14default_configENS1_35radix_sort_onesweep_config_selectorIjNS0_10empty_typeEEEZNS1_34radix_sort_onesweep_global_offsetsIS3_Lb1EPKjPS5_mNS0_19identity_decomposerEEE10hipError_tT1_T2_PT3_SF_jT4_jjP12ihipStream_tbEUlT_E_NS1_11comp_targetILNS1_3genE4ELNS1_11target_archE910ELNS1_3gpuE8ELNS1_3repE0EEENS1_52radix_sort_onesweep_histogram_config_static_selectorELNS0_4arch9wavefront6targetE0EEEvSD_.uses_flat_scratch, 0
	.set _ZN7rocprim17ROCPRIM_400000_NS6detail17trampoline_kernelINS0_14default_configENS1_35radix_sort_onesweep_config_selectorIjNS0_10empty_typeEEEZNS1_34radix_sort_onesweep_global_offsetsIS3_Lb1EPKjPS5_mNS0_19identity_decomposerEEE10hipError_tT1_T2_PT3_SF_jT4_jjP12ihipStream_tbEUlT_E_NS1_11comp_targetILNS1_3genE4ELNS1_11target_archE910ELNS1_3gpuE8ELNS1_3repE0EEENS1_52radix_sort_onesweep_histogram_config_static_selectorELNS0_4arch9wavefront6targetE0EEEvSD_.has_dyn_sized_stack, 0
	.set _ZN7rocprim17ROCPRIM_400000_NS6detail17trampoline_kernelINS0_14default_configENS1_35radix_sort_onesweep_config_selectorIjNS0_10empty_typeEEEZNS1_34radix_sort_onesweep_global_offsetsIS3_Lb1EPKjPS5_mNS0_19identity_decomposerEEE10hipError_tT1_T2_PT3_SF_jT4_jjP12ihipStream_tbEUlT_E_NS1_11comp_targetILNS1_3genE4ELNS1_11target_archE910ELNS1_3gpuE8ELNS1_3repE0EEENS1_52radix_sort_onesweep_histogram_config_static_selectorELNS0_4arch9wavefront6targetE0EEEvSD_.has_recursion, 0
	.set _ZN7rocprim17ROCPRIM_400000_NS6detail17trampoline_kernelINS0_14default_configENS1_35radix_sort_onesweep_config_selectorIjNS0_10empty_typeEEEZNS1_34radix_sort_onesweep_global_offsetsIS3_Lb1EPKjPS5_mNS0_19identity_decomposerEEE10hipError_tT1_T2_PT3_SF_jT4_jjP12ihipStream_tbEUlT_E_NS1_11comp_targetILNS1_3genE4ELNS1_11target_archE910ELNS1_3gpuE8ELNS1_3repE0EEENS1_52radix_sort_onesweep_histogram_config_static_selectorELNS0_4arch9wavefront6targetE0EEEvSD_.has_indirect_call, 0
	.section	.AMDGPU.csdata,"",@progbits
; Kernel info:
; codeLenInByte = 0
; TotalNumSgprs: 0
; NumVgprs: 0
; ScratchSize: 0
; MemoryBound: 0
; FloatMode: 240
; IeeeMode: 1
; LDSByteSize: 0 bytes/workgroup (compile time only)
; SGPRBlocks: 0
; VGPRBlocks: 0
; NumSGPRsForWavesPerEU: 1
; NumVGPRsForWavesPerEU: 1
; NamedBarCnt: 0
; Occupancy: 16
; WaveLimiterHint : 0
; COMPUTE_PGM_RSRC2:SCRATCH_EN: 0
; COMPUTE_PGM_RSRC2:USER_SGPR: 2
; COMPUTE_PGM_RSRC2:TRAP_HANDLER: 0
; COMPUTE_PGM_RSRC2:TGID_X_EN: 1
; COMPUTE_PGM_RSRC2:TGID_Y_EN: 0
; COMPUTE_PGM_RSRC2:TGID_Z_EN: 0
; COMPUTE_PGM_RSRC2:TIDIG_COMP_CNT: 0
	.section	.text._ZN7rocprim17ROCPRIM_400000_NS6detail17trampoline_kernelINS0_14default_configENS1_35radix_sort_onesweep_config_selectorIjNS0_10empty_typeEEEZNS1_34radix_sort_onesweep_global_offsetsIS3_Lb1EPKjPS5_mNS0_19identity_decomposerEEE10hipError_tT1_T2_PT3_SF_jT4_jjP12ihipStream_tbEUlT_E_NS1_11comp_targetILNS1_3genE3ELNS1_11target_archE908ELNS1_3gpuE7ELNS1_3repE0EEENS1_52radix_sort_onesweep_histogram_config_static_selectorELNS0_4arch9wavefront6targetE0EEEvSD_,"axG",@progbits,_ZN7rocprim17ROCPRIM_400000_NS6detail17trampoline_kernelINS0_14default_configENS1_35radix_sort_onesweep_config_selectorIjNS0_10empty_typeEEEZNS1_34radix_sort_onesweep_global_offsetsIS3_Lb1EPKjPS5_mNS0_19identity_decomposerEEE10hipError_tT1_T2_PT3_SF_jT4_jjP12ihipStream_tbEUlT_E_NS1_11comp_targetILNS1_3genE3ELNS1_11target_archE908ELNS1_3gpuE7ELNS1_3repE0EEENS1_52radix_sort_onesweep_histogram_config_static_selectorELNS0_4arch9wavefront6targetE0EEEvSD_,comdat
	.protected	_ZN7rocprim17ROCPRIM_400000_NS6detail17trampoline_kernelINS0_14default_configENS1_35radix_sort_onesweep_config_selectorIjNS0_10empty_typeEEEZNS1_34radix_sort_onesweep_global_offsetsIS3_Lb1EPKjPS5_mNS0_19identity_decomposerEEE10hipError_tT1_T2_PT3_SF_jT4_jjP12ihipStream_tbEUlT_E_NS1_11comp_targetILNS1_3genE3ELNS1_11target_archE908ELNS1_3gpuE7ELNS1_3repE0EEENS1_52radix_sort_onesweep_histogram_config_static_selectorELNS0_4arch9wavefront6targetE0EEEvSD_ ; -- Begin function _ZN7rocprim17ROCPRIM_400000_NS6detail17trampoline_kernelINS0_14default_configENS1_35radix_sort_onesweep_config_selectorIjNS0_10empty_typeEEEZNS1_34radix_sort_onesweep_global_offsetsIS3_Lb1EPKjPS5_mNS0_19identity_decomposerEEE10hipError_tT1_T2_PT3_SF_jT4_jjP12ihipStream_tbEUlT_E_NS1_11comp_targetILNS1_3genE3ELNS1_11target_archE908ELNS1_3gpuE7ELNS1_3repE0EEENS1_52radix_sort_onesweep_histogram_config_static_selectorELNS0_4arch9wavefront6targetE0EEEvSD_
	.globl	_ZN7rocprim17ROCPRIM_400000_NS6detail17trampoline_kernelINS0_14default_configENS1_35radix_sort_onesweep_config_selectorIjNS0_10empty_typeEEEZNS1_34radix_sort_onesweep_global_offsetsIS3_Lb1EPKjPS5_mNS0_19identity_decomposerEEE10hipError_tT1_T2_PT3_SF_jT4_jjP12ihipStream_tbEUlT_E_NS1_11comp_targetILNS1_3genE3ELNS1_11target_archE908ELNS1_3gpuE7ELNS1_3repE0EEENS1_52radix_sort_onesweep_histogram_config_static_selectorELNS0_4arch9wavefront6targetE0EEEvSD_
	.p2align	8
	.type	_ZN7rocprim17ROCPRIM_400000_NS6detail17trampoline_kernelINS0_14default_configENS1_35radix_sort_onesweep_config_selectorIjNS0_10empty_typeEEEZNS1_34radix_sort_onesweep_global_offsetsIS3_Lb1EPKjPS5_mNS0_19identity_decomposerEEE10hipError_tT1_T2_PT3_SF_jT4_jjP12ihipStream_tbEUlT_E_NS1_11comp_targetILNS1_3genE3ELNS1_11target_archE908ELNS1_3gpuE7ELNS1_3repE0EEENS1_52radix_sort_onesweep_histogram_config_static_selectorELNS0_4arch9wavefront6targetE0EEEvSD_,@function
_ZN7rocprim17ROCPRIM_400000_NS6detail17trampoline_kernelINS0_14default_configENS1_35radix_sort_onesweep_config_selectorIjNS0_10empty_typeEEEZNS1_34radix_sort_onesweep_global_offsetsIS3_Lb1EPKjPS5_mNS0_19identity_decomposerEEE10hipError_tT1_T2_PT3_SF_jT4_jjP12ihipStream_tbEUlT_E_NS1_11comp_targetILNS1_3genE3ELNS1_11target_archE908ELNS1_3gpuE7ELNS1_3repE0EEENS1_52radix_sort_onesweep_histogram_config_static_selectorELNS0_4arch9wavefront6targetE0EEEvSD_: ; @_ZN7rocprim17ROCPRIM_400000_NS6detail17trampoline_kernelINS0_14default_configENS1_35radix_sort_onesweep_config_selectorIjNS0_10empty_typeEEEZNS1_34radix_sort_onesweep_global_offsetsIS3_Lb1EPKjPS5_mNS0_19identity_decomposerEEE10hipError_tT1_T2_PT3_SF_jT4_jjP12ihipStream_tbEUlT_E_NS1_11comp_targetILNS1_3genE3ELNS1_11target_archE908ELNS1_3gpuE7ELNS1_3repE0EEENS1_52radix_sort_onesweep_histogram_config_static_selectorELNS0_4arch9wavefront6targetE0EEEvSD_
; %bb.0:
	.section	.rodata,"a",@progbits
	.p2align	6, 0x0
	.amdhsa_kernel _ZN7rocprim17ROCPRIM_400000_NS6detail17trampoline_kernelINS0_14default_configENS1_35radix_sort_onesweep_config_selectorIjNS0_10empty_typeEEEZNS1_34radix_sort_onesweep_global_offsetsIS3_Lb1EPKjPS5_mNS0_19identity_decomposerEEE10hipError_tT1_T2_PT3_SF_jT4_jjP12ihipStream_tbEUlT_E_NS1_11comp_targetILNS1_3genE3ELNS1_11target_archE908ELNS1_3gpuE7ELNS1_3repE0EEENS1_52radix_sort_onesweep_histogram_config_static_selectorELNS0_4arch9wavefront6targetE0EEEvSD_
		.amdhsa_group_segment_fixed_size 0
		.amdhsa_private_segment_fixed_size 0
		.amdhsa_kernarg_size 48
		.amdhsa_user_sgpr_count 2
		.amdhsa_user_sgpr_dispatch_ptr 0
		.amdhsa_user_sgpr_queue_ptr 0
		.amdhsa_user_sgpr_kernarg_segment_ptr 1
		.amdhsa_user_sgpr_dispatch_id 0
		.amdhsa_user_sgpr_kernarg_preload_length 0
		.amdhsa_user_sgpr_kernarg_preload_offset 0
		.amdhsa_user_sgpr_private_segment_size 0
		.amdhsa_wavefront_size32 1
		.amdhsa_uses_dynamic_stack 0
		.amdhsa_enable_private_segment 0
		.amdhsa_system_sgpr_workgroup_id_x 1
		.amdhsa_system_sgpr_workgroup_id_y 0
		.amdhsa_system_sgpr_workgroup_id_z 0
		.amdhsa_system_sgpr_workgroup_info 0
		.amdhsa_system_vgpr_workitem_id 0
		.amdhsa_next_free_vgpr 1
		.amdhsa_next_free_sgpr 1
		.amdhsa_named_barrier_count 0
		.amdhsa_reserve_vcc 0
		.amdhsa_float_round_mode_32 0
		.amdhsa_float_round_mode_16_64 0
		.amdhsa_float_denorm_mode_32 3
		.amdhsa_float_denorm_mode_16_64 3
		.amdhsa_fp16_overflow 0
		.amdhsa_memory_ordered 1
		.amdhsa_forward_progress 1
		.amdhsa_inst_pref_size 0
		.amdhsa_round_robin_scheduling 0
		.amdhsa_exception_fp_ieee_invalid_op 0
		.amdhsa_exception_fp_denorm_src 0
		.amdhsa_exception_fp_ieee_div_zero 0
		.amdhsa_exception_fp_ieee_overflow 0
		.amdhsa_exception_fp_ieee_underflow 0
		.amdhsa_exception_fp_ieee_inexact 0
		.amdhsa_exception_int_div_zero 0
	.end_amdhsa_kernel
	.section	.text._ZN7rocprim17ROCPRIM_400000_NS6detail17trampoline_kernelINS0_14default_configENS1_35radix_sort_onesweep_config_selectorIjNS0_10empty_typeEEEZNS1_34radix_sort_onesweep_global_offsetsIS3_Lb1EPKjPS5_mNS0_19identity_decomposerEEE10hipError_tT1_T2_PT3_SF_jT4_jjP12ihipStream_tbEUlT_E_NS1_11comp_targetILNS1_3genE3ELNS1_11target_archE908ELNS1_3gpuE7ELNS1_3repE0EEENS1_52radix_sort_onesweep_histogram_config_static_selectorELNS0_4arch9wavefront6targetE0EEEvSD_,"axG",@progbits,_ZN7rocprim17ROCPRIM_400000_NS6detail17trampoline_kernelINS0_14default_configENS1_35radix_sort_onesweep_config_selectorIjNS0_10empty_typeEEEZNS1_34radix_sort_onesweep_global_offsetsIS3_Lb1EPKjPS5_mNS0_19identity_decomposerEEE10hipError_tT1_T2_PT3_SF_jT4_jjP12ihipStream_tbEUlT_E_NS1_11comp_targetILNS1_3genE3ELNS1_11target_archE908ELNS1_3gpuE7ELNS1_3repE0EEENS1_52radix_sort_onesweep_histogram_config_static_selectorELNS0_4arch9wavefront6targetE0EEEvSD_,comdat
.Lfunc_end2612:
	.size	_ZN7rocprim17ROCPRIM_400000_NS6detail17trampoline_kernelINS0_14default_configENS1_35radix_sort_onesweep_config_selectorIjNS0_10empty_typeEEEZNS1_34radix_sort_onesweep_global_offsetsIS3_Lb1EPKjPS5_mNS0_19identity_decomposerEEE10hipError_tT1_T2_PT3_SF_jT4_jjP12ihipStream_tbEUlT_E_NS1_11comp_targetILNS1_3genE3ELNS1_11target_archE908ELNS1_3gpuE7ELNS1_3repE0EEENS1_52radix_sort_onesweep_histogram_config_static_selectorELNS0_4arch9wavefront6targetE0EEEvSD_, .Lfunc_end2612-_ZN7rocprim17ROCPRIM_400000_NS6detail17trampoline_kernelINS0_14default_configENS1_35radix_sort_onesweep_config_selectorIjNS0_10empty_typeEEEZNS1_34radix_sort_onesweep_global_offsetsIS3_Lb1EPKjPS5_mNS0_19identity_decomposerEEE10hipError_tT1_T2_PT3_SF_jT4_jjP12ihipStream_tbEUlT_E_NS1_11comp_targetILNS1_3genE3ELNS1_11target_archE908ELNS1_3gpuE7ELNS1_3repE0EEENS1_52radix_sort_onesweep_histogram_config_static_selectorELNS0_4arch9wavefront6targetE0EEEvSD_
                                        ; -- End function
	.set _ZN7rocprim17ROCPRIM_400000_NS6detail17trampoline_kernelINS0_14default_configENS1_35radix_sort_onesweep_config_selectorIjNS0_10empty_typeEEEZNS1_34radix_sort_onesweep_global_offsetsIS3_Lb1EPKjPS5_mNS0_19identity_decomposerEEE10hipError_tT1_T2_PT3_SF_jT4_jjP12ihipStream_tbEUlT_E_NS1_11comp_targetILNS1_3genE3ELNS1_11target_archE908ELNS1_3gpuE7ELNS1_3repE0EEENS1_52radix_sort_onesweep_histogram_config_static_selectorELNS0_4arch9wavefront6targetE0EEEvSD_.num_vgpr, 0
	.set _ZN7rocprim17ROCPRIM_400000_NS6detail17trampoline_kernelINS0_14default_configENS1_35radix_sort_onesweep_config_selectorIjNS0_10empty_typeEEEZNS1_34radix_sort_onesweep_global_offsetsIS3_Lb1EPKjPS5_mNS0_19identity_decomposerEEE10hipError_tT1_T2_PT3_SF_jT4_jjP12ihipStream_tbEUlT_E_NS1_11comp_targetILNS1_3genE3ELNS1_11target_archE908ELNS1_3gpuE7ELNS1_3repE0EEENS1_52radix_sort_onesweep_histogram_config_static_selectorELNS0_4arch9wavefront6targetE0EEEvSD_.num_agpr, 0
	.set _ZN7rocprim17ROCPRIM_400000_NS6detail17trampoline_kernelINS0_14default_configENS1_35radix_sort_onesweep_config_selectorIjNS0_10empty_typeEEEZNS1_34radix_sort_onesweep_global_offsetsIS3_Lb1EPKjPS5_mNS0_19identity_decomposerEEE10hipError_tT1_T2_PT3_SF_jT4_jjP12ihipStream_tbEUlT_E_NS1_11comp_targetILNS1_3genE3ELNS1_11target_archE908ELNS1_3gpuE7ELNS1_3repE0EEENS1_52radix_sort_onesweep_histogram_config_static_selectorELNS0_4arch9wavefront6targetE0EEEvSD_.numbered_sgpr, 0
	.set _ZN7rocprim17ROCPRIM_400000_NS6detail17trampoline_kernelINS0_14default_configENS1_35radix_sort_onesweep_config_selectorIjNS0_10empty_typeEEEZNS1_34radix_sort_onesweep_global_offsetsIS3_Lb1EPKjPS5_mNS0_19identity_decomposerEEE10hipError_tT1_T2_PT3_SF_jT4_jjP12ihipStream_tbEUlT_E_NS1_11comp_targetILNS1_3genE3ELNS1_11target_archE908ELNS1_3gpuE7ELNS1_3repE0EEENS1_52radix_sort_onesweep_histogram_config_static_selectorELNS0_4arch9wavefront6targetE0EEEvSD_.num_named_barrier, 0
	.set _ZN7rocprim17ROCPRIM_400000_NS6detail17trampoline_kernelINS0_14default_configENS1_35radix_sort_onesweep_config_selectorIjNS0_10empty_typeEEEZNS1_34radix_sort_onesweep_global_offsetsIS3_Lb1EPKjPS5_mNS0_19identity_decomposerEEE10hipError_tT1_T2_PT3_SF_jT4_jjP12ihipStream_tbEUlT_E_NS1_11comp_targetILNS1_3genE3ELNS1_11target_archE908ELNS1_3gpuE7ELNS1_3repE0EEENS1_52radix_sort_onesweep_histogram_config_static_selectorELNS0_4arch9wavefront6targetE0EEEvSD_.private_seg_size, 0
	.set _ZN7rocprim17ROCPRIM_400000_NS6detail17trampoline_kernelINS0_14default_configENS1_35radix_sort_onesweep_config_selectorIjNS0_10empty_typeEEEZNS1_34radix_sort_onesweep_global_offsetsIS3_Lb1EPKjPS5_mNS0_19identity_decomposerEEE10hipError_tT1_T2_PT3_SF_jT4_jjP12ihipStream_tbEUlT_E_NS1_11comp_targetILNS1_3genE3ELNS1_11target_archE908ELNS1_3gpuE7ELNS1_3repE0EEENS1_52radix_sort_onesweep_histogram_config_static_selectorELNS0_4arch9wavefront6targetE0EEEvSD_.uses_vcc, 0
	.set _ZN7rocprim17ROCPRIM_400000_NS6detail17trampoline_kernelINS0_14default_configENS1_35radix_sort_onesweep_config_selectorIjNS0_10empty_typeEEEZNS1_34radix_sort_onesweep_global_offsetsIS3_Lb1EPKjPS5_mNS0_19identity_decomposerEEE10hipError_tT1_T2_PT3_SF_jT4_jjP12ihipStream_tbEUlT_E_NS1_11comp_targetILNS1_3genE3ELNS1_11target_archE908ELNS1_3gpuE7ELNS1_3repE0EEENS1_52radix_sort_onesweep_histogram_config_static_selectorELNS0_4arch9wavefront6targetE0EEEvSD_.uses_flat_scratch, 0
	.set _ZN7rocprim17ROCPRIM_400000_NS6detail17trampoline_kernelINS0_14default_configENS1_35radix_sort_onesweep_config_selectorIjNS0_10empty_typeEEEZNS1_34radix_sort_onesweep_global_offsetsIS3_Lb1EPKjPS5_mNS0_19identity_decomposerEEE10hipError_tT1_T2_PT3_SF_jT4_jjP12ihipStream_tbEUlT_E_NS1_11comp_targetILNS1_3genE3ELNS1_11target_archE908ELNS1_3gpuE7ELNS1_3repE0EEENS1_52radix_sort_onesweep_histogram_config_static_selectorELNS0_4arch9wavefront6targetE0EEEvSD_.has_dyn_sized_stack, 0
	.set _ZN7rocprim17ROCPRIM_400000_NS6detail17trampoline_kernelINS0_14default_configENS1_35radix_sort_onesweep_config_selectorIjNS0_10empty_typeEEEZNS1_34radix_sort_onesweep_global_offsetsIS3_Lb1EPKjPS5_mNS0_19identity_decomposerEEE10hipError_tT1_T2_PT3_SF_jT4_jjP12ihipStream_tbEUlT_E_NS1_11comp_targetILNS1_3genE3ELNS1_11target_archE908ELNS1_3gpuE7ELNS1_3repE0EEENS1_52radix_sort_onesweep_histogram_config_static_selectorELNS0_4arch9wavefront6targetE0EEEvSD_.has_recursion, 0
	.set _ZN7rocprim17ROCPRIM_400000_NS6detail17trampoline_kernelINS0_14default_configENS1_35radix_sort_onesweep_config_selectorIjNS0_10empty_typeEEEZNS1_34radix_sort_onesweep_global_offsetsIS3_Lb1EPKjPS5_mNS0_19identity_decomposerEEE10hipError_tT1_T2_PT3_SF_jT4_jjP12ihipStream_tbEUlT_E_NS1_11comp_targetILNS1_3genE3ELNS1_11target_archE908ELNS1_3gpuE7ELNS1_3repE0EEENS1_52radix_sort_onesweep_histogram_config_static_selectorELNS0_4arch9wavefront6targetE0EEEvSD_.has_indirect_call, 0
	.section	.AMDGPU.csdata,"",@progbits
; Kernel info:
; codeLenInByte = 0
; TotalNumSgprs: 0
; NumVgprs: 0
; ScratchSize: 0
; MemoryBound: 0
; FloatMode: 240
; IeeeMode: 1
; LDSByteSize: 0 bytes/workgroup (compile time only)
; SGPRBlocks: 0
; VGPRBlocks: 0
; NumSGPRsForWavesPerEU: 1
; NumVGPRsForWavesPerEU: 1
; NamedBarCnt: 0
; Occupancy: 16
; WaveLimiterHint : 0
; COMPUTE_PGM_RSRC2:SCRATCH_EN: 0
; COMPUTE_PGM_RSRC2:USER_SGPR: 2
; COMPUTE_PGM_RSRC2:TRAP_HANDLER: 0
; COMPUTE_PGM_RSRC2:TGID_X_EN: 1
; COMPUTE_PGM_RSRC2:TGID_Y_EN: 0
; COMPUTE_PGM_RSRC2:TGID_Z_EN: 0
; COMPUTE_PGM_RSRC2:TIDIG_COMP_CNT: 0
	.section	.text._ZN7rocprim17ROCPRIM_400000_NS6detail17trampoline_kernelINS0_14default_configENS1_35radix_sort_onesweep_config_selectorIjNS0_10empty_typeEEEZNS1_34radix_sort_onesweep_global_offsetsIS3_Lb1EPKjPS5_mNS0_19identity_decomposerEEE10hipError_tT1_T2_PT3_SF_jT4_jjP12ihipStream_tbEUlT_E_NS1_11comp_targetILNS1_3genE10ELNS1_11target_archE1201ELNS1_3gpuE5ELNS1_3repE0EEENS1_52radix_sort_onesweep_histogram_config_static_selectorELNS0_4arch9wavefront6targetE0EEEvSD_,"axG",@progbits,_ZN7rocprim17ROCPRIM_400000_NS6detail17trampoline_kernelINS0_14default_configENS1_35radix_sort_onesweep_config_selectorIjNS0_10empty_typeEEEZNS1_34radix_sort_onesweep_global_offsetsIS3_Lb1EPKjPS5_mNS0_19identity_decomposerEEE10hipError_tT1_T2_PT3_SF_jT4_jjP12ihipStream_tbEUlT_E_NS1_11comp_targetILNS1_3genE10ELNS1_11target_archE1201ELNS1_3gpuE5ELNS1_3repE0EEENS1_52radix_sort_onesweep_histogram_config_static_selectorELNS0_4arch9wavefront6targetE0EEEvSD_,comdat
	.protected	_ZN7rocprim17ROCPRIM_400000_NS6detail17trampoline_kernelINS0_14default_configENS1_35radix_sort_onesweep_config_selectorIjNS0_10empty_typeEEEZNS1_34radix_sort_onesweep_global_offsetsIS3_Lb1EPKjPS5_mNS0_19identity_decomposerEEE10hipError_tT1_T2_PT3_SF_jT4_jjP12ihipStream_tbEUlT_E_NS1_11comp_targetILNS1_3genE10ELNS1_11target_archE1201ELNS1_3gpuE5ELNS1_3repE0EEENS1_52radix_sort_onesweep_histogram_config_static_selectorELNS0_4arch9wavefront6targetE0EEEvSD_ ; -- Begin function _ZN7rocprim17ROCPRIM_400000_NS6detail17trampoline_kernelINS0_14default_configENS1_35radix_sort_onesweep_config_selectorIjNS0_10empty_typeEEEZNS1_34radix_sort_onesweep_global_offsetsIS3_Lb1EPKjPS5_mNS0_19identity_decomposerEEE10hipError_tT1_T2_PT3_SF_jT4_jjP12ihipStream_tbEUlT_E_NS1_11comp_targetILNS1_3genE10ELNS1_11target_archE1201ELNS1_3gpuE5ELNS1_3repE0EEENS1_52radix_sort_onesweep_histogram_config_static_selectorELNS0_4arch9wavefront6targetE0EEEvSD_
	.globl	_ZN7rocprim17ROCPRIM_400000_NS6detail17trampoline_kernelINS0_14default_configENS1_35radix_sort_onesweep_config_selectorIjNS0_10empty_typeEEEZNS1_34radix_sort_onesweep_global_offsetsIS3_Lb1EPKjPS5_mNS0_19identity_decomposerEEE10hipError_tT1_T2_PT3_SF_jT4_jjP12ihipStream_tbEUlT_E_NS1_11comp_targetILNS1_3genE10ELNS1_11target_archE1201ELNS1_3gpuE5ELNS1_3repE0EEENS1_52radix_sort_onesweep_histogram_config_static_selectorELNS0_4arch9wavefront6targetE0EEEvSD_
	.p2align	8
	.type	_ZN7rocprim17ROCPRIM_400000_NS6detail17trampoline_kernelINS0_14default_configENS1_35radix_sort_onesweep_config_selectorIjNS0_10empty_typeEEEZNS1_34radix_sort_onesweep_global_offsetsIS3_Lb1EPKjPS5_mNS0_19identity_decomposerEEE10hipError_tT1_T2_PT3_SF_jT4_jjP12ihipStream_tbEUlT_E_NS1_11comp_targetILNS1_3genE10ELNS1_11target_archE1201ELNS1_3gpuE5ELNS1_3repE0EEENS1_52radix_sort_onesweep_histogram_config_static_selectorELNS0_4arch9wavefront6targetE0EEEvSD_,@function
_ZN7rocprim17ROCPRIM_400000_NS6detail17trampoline_kernelINS0_14default_configENS1_35radix_sort_onesweep_config_selectorIjNS0_10empty_typeEEEZNS1_34radix_sort_onesweep_global_offsetsIS3_Lb1EPKjPS5_mNS0_19identity_decomposerEEE10hipError_tT1_T2_PT3_SF_jT4_jjP12ihipStream_tbEUlT_E_NS1_11comp_targetILNS1_3genE10ELNS1_11target_archE1201ELNS1_3gpuE5ELNS1_3repE0EEENS1_52radix_sort_onesweep_histogram_config_static_selectorELNS0_4arch9wavefront6targetE0EEEvSD_: ; @_ZN7rocprim17ROCPRIM_400000_NS6detail17trampoline_kernelINS0_14default_configENS1_35radix_sort_onesweep_config_selectorIjNS0_10empty_typeEEEZNS1_34radix_sort_onesweep_global_offsetsIS3_Lb1EPKjPS5_mNS0_19identity_decomposerEEE10hipError_tT1_T2_PT3_SF_jT4_jjP12ihipStream_tbEUlT_E_NS1_11comp_targetILNS1_3genE10ELNS1_11target_archE1201ELNS1_3gpuE5ELNS1_3repE0EEENS1_52radix_sort_onesweep_histogram_config_static_selectorELNS0_4arch9wavefront6targetE0EEEvSD_
; %bb.0:
	.section	.rodata,"a",@progbits
	.p2align	6, 0x0
	.amdhsa_kernel _ZN7rocprim17ROCPRIM_400000_NS6detail17trampoline_kernelINS0_14default_configENS1_35radix_sort_onesweep_config_selectorIjNS0_10empty_typeEEEZNS1_34radix_sort_onesweep_global_offsetsIS3_Lb1EPKjPS5_mNS0_19identity_decomposerEEE10hipError_tT1_T2_PT3_SF_jT4_jjP12ihipStream_tbEUlT_E_NS1_11comp_targetILNS1_3genE10ELNS1_11target_archE1201ELNS1_3gpuE5ELNS1_3repE0EEENS1_52radix_sort_onesweep_histogram_config_static_selectorELNS0_4arch9wavefront6targetE0EEEvSD_
		.amdhsa_group_segment_fixed_size 0
		.amdhsa_private_segment_fixed_size 0
		.amdhsa_kernarg_size 48
		.amdhsa_user_sgpr_count 2
		.amdhsa_user_sgpr_dispatch_ptr 0
		.amdhsa_user_sgpr_queue_ptr 0
		.amdhsa_user_sgpr_kernarg_segment_ptr 1
		.amdhsa_user_sgpr_dispatch_id 0
		.amdhsa_user_sgpr_kernarg_preload_length 0
		.amdhsa_user_sgpr_kernarg_preload_offset 0
		.amdhsa_user_sgpr_private_segment_size 0
		.amdhsa_wavefront_size32 1
		.amdhsa_uses_dynamic_stack 0
		.amdhsa_enable_private_segment 0
		.amdhsa_system_sgpr_workgroup_id_x 1
		.amdhsa_system_sgpr_workgroup_id_y 0
		.amdhsa_system_sgpr_workgroup_id_z 0
		.amdhsa_system_sgpr_workgroup_info 0
		.amdhsa_system_vgpr_workitem_id 0
		.amdhsa_next_free_vgpr 1
		.amdhsa_next_free_sgpr 1
		.amdhsa_named_barrier_count 0
		.amdhsa_reserve_vcc 0
		.amdhsa_float_round_mode_32 0
		.amdhsa_float_round_mode_16_64 0
		.amdhsa_float_denorm_mode_32 3
		.amdhsa_float_denorm_mode_16_64 3
		.amdhsa_fp16_overflow 0
		.amdhsa_memory_ordered 1
		.amdhsa_forward_progress 1
		.amdhsa_inst_pref_size 0
		.amdhsa_round_robin_scheduling 0
		.amdhsa_exception_fp_ieee_invalid_op 0
		.amdhsa_exception_fp_denorm_src 0
		.amdhsa_exception_fp_ieee_div_zero 0
		.amdhsa_exception_fp_ieee_overflow 0
		.amdhsa_exception_fp_ieee_underflow 0
		.amdhsa_exception_fp_ieee_inexact 0
		.amdhsa_exception_int_div_zero 0
	.end_amdhsa_kernel
	.section	.text._ZN7rocprim17ROCPRIM_400000_NS6detail17trampoline_kernelINS0_14default_configENS1_35radix_sort_onesweep_config_selectorIjNS0_10empty_typeEEEZNS1_34radix_sort_onesweep_global_offsetsIS3_Lb1EPKjPS5_mNS0_19identity_decomposerEEE10hipError_tT1_T2_PT3_SF_jT4_jjP12ihipStream_tbEUlT_E_NS1_11comp_targetILNS1_3genE10ELNS1_11target_archE1201ELNS1_3gpuE5ELNS1_3repE0EEENS1_52radix_sort_onesweep_histogram_config_static_selectorELNS0_4arch9wavefront6targetE0EEEvSD_,"axG",@progbits,_ZN7rocprim17ROCPRIM_400000_NS6detail17trampoline_kernelINS0_14default_configENS1_35radix_sort_onesweep_config_selectorIjNS0_10empty_typeEEEZNS1_34radix_sort_onesweep_global_offsetsIS3_Lb1EPKjPS5_mNS0_19identity_decomposerEEE10hipError_tT1_T2_PT3_SF_jT4_jjP12ihipStream_tbEUlT_E_NS1_11comp_targetILNS1_3genE10ELNS1_11target_archE1201ELNS1_3gpuE5ELNS1_3repE0EEENS1_52radix_sort_onesweep_histogram_config_static_selectorELNS0_4arch9wavefront6targetE0EEEvSD_,comdat
.Lfunc_end2613:
	.size	_ZN7rocprim17ROCPRIM_400000_NS6detail17trampoline_kernelINS0_14default_configENS1_35radix_sort_onesweep_config_selectorIjNS0_10empty_typeEEEZNS1_34radix_sort_onesweep_global_offsetsIS3_Lb1EPKjPS5_mNS0_19identity_decomposerEEE10hipError_tT1_T2_PT3_SF_jT4_jjP12ihipStream_tbEUlT_E_NS1_11comp_targetILNS1_3genE10ELNS1_11target_archE1201ELNS1_3gpuE5ELNS1_3repE0EEENS1_52radix_sort_onesweep_histogram_config_static_selectorELNS0_4arch9wavefront6targetE0EEEvSD_, .Lfunc_end2613-_ZN7rocprim17ROCPRIM_400000_NS6detail17trampoline_kernelINS0_14default_configENS1_35radix_sort_onesweep_config_selectorIjNS0_10empty_typeEEEZNS1_34radix_sort_onesweep_global_offsetsIS3_Lb1EPKjPS5_mNS0_19identity_decomposerEEE10hipError_tT1_T2_PT3_SF_jT4_jjP12ihipStream_tbEUlT_E_NS1_11comp_targetILNS1_3genE10ELNS1_11target_archE1201ELNS1_3gpuE5ELNS1_3repE0EEENS1_52radix_sort_onesweep_histogram_config_static_selectorELNS0_4arch9wavefront6targetE0EEEvSD_
                                        ; -- End function
	.set _ZN7rocprim17ROCPRIM_400000_NS6detail17trampoline_kernelINS0_14default_configENS1_35radix_sort_onesweep_config_selectorIjNS0_10empty_typeEEEZNS1_34radix_sort_onesweep_global_offsetsIS3_Lb1EPKjPS5_mNS0_19identity_decomposerEEE10hipError_tT1_T2_PT3_SF_jT4_jjP12ihipStream_tbEUlT_E_NS1_11comp_targetILNS1_3genE10ELNS1_11target_archE1201ELNS1_3gpuE5ELNS1_3repE0EEENS1_52radix_sort_onesweep_histogram_config_static_selectorELNS0_4arch9wavefront6targetE0EEEvSD_.num_vgpr, 0
	.set _ZN7rocprim17ROCPRIM_400000_NS6detail17trampoline_kernelINS0_14default_configENS1_35radix_sort_onesweep_config_selectorIjNS0_10empty_typeEEEZNS1_34radix_sort_onesweep_global_offsetsIS3_Lb1EPKjPS5_mNS0_19identity_decomposerEEE10hipError_tT1_T2_PT3_SF_jT4_jjP12ihipStream_tbEUlT_E_NS1_11comp_targetILNS1_3genE10ELNS1_11target_archE1201ELNS1_3gpuE5ELNS1_3repE0EEENS1_52radix_sort_onesweep_histogram_config_static_selectorELNS0_4arch9wavefront6targetE0EEEvSD_.num_agpr, 0
	.set _ZN7rocprim17ROCPRIM_400000_NS6detail17trampoline_kernelINS0_14default_configENS1_35radix_sort_onesweep_config_selectorIjNS0_10empty_typeEEEZNS1_34radix_sort_onesweep_global_offsetsIS3_Lb1EPKjPS5_mNS0_19identity_decomposerEEE10hipError_tT1_T2_PT3_SF_jT4_jjP12ihipStream_tbEUlT_E_NS1_11comp_targetILNS1_3genE10ELNS1_11target_archE1201ELNS1_3gpuE5ELNS1_3repE0EEENS1_52radix_sort_onesweep_histogram_config_static_selectorELNS0_4arch9wavefront6targetE0EEEvSD_.numbered_sgpr, 0
	.set _ZN7rocprim17ROCPRIM_400000_NS6detail17trampoline_kernelINS0_14default_configENS1_35radix_sort_onesweep_config_selectorIjNS0_10empty_typeEEEZNS1_34radix_sort_onesweep_global_offsetsIS3_Lb1EPKjPS5_mNS0_19identity_decomposerEEE10hipError_tT1_T2_PT3_SF_jT4_jjP12ihipStream_tbEUlT_E_NS1_11comp_targetILNS1_3genE10ELNS1_11target_archE1201ELNS1_3gpuE5ELNS1_3repE0EEENS1_52radix_sort_onesweep_histogram_config_static_selectorELNS0_4arch9wavefront6targetE0EEEvSD_.num_named_barrier, 0
	.set _ZN7rocprim17ROCPRIM_400000_NS6detail17trampoline_kernelINS0_14default_configENS1_35radix_sort_onesweep_config_selectorIjNS0_10empty_typeEEEZNS1_34radix_sort_onesweep_global_offsetsIS3_Lb1EPKjPS5_mNS0_19identity_decomposerEEE10hipError_tT1_T2_PT3_SF_jT4_jjP12ihipStream_tbEUlT_E_NS1_11comp_targetILNS1_3genE10ELNS1_11target_archE1201ELNS1_3gpuE5ELNS1_3repE0EEENS1_52radix_sort_onesweep_histogram_config_static_selectorELNS0_4arch9wavefront6targetE0EEEvSD_.private_seg_size, 0
	.set _ZN7rocprim17ROCPRIM_400000_NS6detail17trampoline_kernelINS0_14default_configENS1_35radix_sort_onesweep_config_selectorIjNS0_10empty_typeEEEZNS1_34radix_sort_onesweep_global_offsetsIS3_Lb1EPKjPS5_mNS0_19identity_decomposerEEE10hipError_tT1_T2_PT3_SF_jT4_jjP12ihipStream_tbEUlT_E_NS1_11comp_targetILNS1_3genE10ELNS1_11target_archE1201ELNS1_3gpuE5ELNS1_3repE0EEENS1_52radix_sort_onesweep_histogram_config_static_selectorELNS0_4arch9wavefront6targetE0EEEvSD_.uses_vcc, 0
	.set _ZN7rocprim17ROCPRIM_400000_NS6detail17trampoline_kernelINS0_14default_configENS1_35radix_sort_onesweep_config_selectorIjNS0_10empty_typeEEEZNS1_34radix_sort_onesweep_global_offsetsIS3_Lb1EPKjPS5_mNS0_19identity_decomposerEEE10hipError_tT1_T2_PT3_SF_jT4_jjP12ihipStream_tbEUlT_E_NS1_11comp_targetILNS1_3genE10ELNS1_11target_archE1201ELNS1_3gpuE5ELNS1_3repE0EEENS1_52radix_sort_onesweep_histogram_config_static_selectorELNS0_4arch9wavefront6targetE0EEEvSD_.uses_flat_scratch, 0
	.set _ZN7rocprim17ROCPRIM_400000_NS6detail17trampoline_kernelINS0_14default_configENS1_35radix_sort_onesweep_config_selectorIjNS0_10empty_typeEEEZNS1_34radix_sort_onesweep_global_offsetsIS3_Lb1EPKjPS5_mNS0_19identity_decomposerEEE10hipError_tT1_T2_PT3_SF_jT4_jjP12ihipStream_tbEUlT_E_NS1_11comp_targetILNS1_3genE10ELNS1_11target_archE1201ELNS1_3gpuE5ELNS1_3repE0EEENS1_52radix_sort_onesweep_histogram_config_static_selectorELNS0_4arch9wavefront6targetE0EEEvSD_.has_dyn_sized_stack, 0
	.set _ZN7rocprim17ROCPRIM_400000_NS6detail17trampoline_kernelINS0_14default_configENS1_35radix_sort_onesweep_config_selectorIjNS0_10empty_typeEEEZNS1_34radix_sort_onesweep_global_offsetsIS3_Lb1EPKjPS5_mNS0_19identity_decomposerEEE10hipError_tT1_T2_PT3_SF_jT4_jjP12ihipStream_tbEUlT_E_NS1_11comp_targetILNS1_3genE10ELNS1_11target_archE1201ELNS1_3gpuE5ELNS1_3repE0EEENS1_52radix_sort_onesweep_histogram_config_static_selectorELNS0_4arch9wavefront6targetE0EEEvSD_.has_recursion, 0
	.set _ZN7rocprim17ROCPRIM_400000_NS6detail17trampoline_kernelINS0_14default_configENS1_35radix_sort_onesweep_config_selectorIjNS0_10empty_typeEEEZNS1_34radix_sort_onesweep_global_offsetsIS3_Lb1EPKjPS5_mNS0_19identity_decomposerEEE10hipError_tT1_T2_PT3_SF_jT4_jjP12ihipStream_tbEUlT_E_NS1_11comp_targetILNS1_3genE10ELNS1_11target_archE1201ELNS1_3gpuE5ELNS1_3repE0EEENS1_52radix_sort_onesweep_histogram_config_static_selectorELNS0_4arch9wavefront6targetE0EEEvSD_.has_indirect_call, 0
	.section	.AMDGPU.csdata,"",@progbits
; Kernel info:
; codeLenInByte = 0
; TotalNumSgprs: 0
; NumVgprs: 0
; ScratchSize: 0
; MemoryBound: 0
; FloatMode: 240
; IeeeMode: 1
; LDSByteSize: 0 bytes/workgroup (compile time only)
; SGPRBlocks: 0
; VGPRBlocks: 0
; NumSGPRsForWavesPerEU: 1
; NumVGPRsForWavesPerEU: 1
; NamedBarCnt: 0
; Occupancy: 16
; WaveLimiterHint : 0
; COMPUTE_PGM_RSRC2:SCRATCH_EN: 0
; COMPUTE_PGM_RSRC2:USER_SGPR: 2
; COMPUTE_PGM_RSRC2:TRAP_HANDLER: 0
; COMPUTE_PGM_RSRC2:TGID_X_EN: 1
; COMPUTE_PGM_RSRC2:TGID_Y_EN: 0
; COMPUTE_PGM_RSRC2:TGID_Z_EN: 0
; COMPUTE_PGM_RSRC2:TIDIG_COMP_CNT: 0
	.section	.text._ZN7rocprim17ROCPRIM_400000_NS6detail17trampoline_kernelINS0_14default_configENS1_35radix_sort_onesweep_config_selectorIjNS0_10empty_typeEEEZNS1_34radix_sort_onesweep_global_offsetsIS3_Lb1EPKjPS5_mNS0_19identity_decomposerEEE10hipError_tT1_T2_PT3_SF_jT4_jjP12ihipStream_tbEUlT_E_NS1_11comp_targetILNS1_3genE9ELNS1_11target_archE1100ELNS1_3gpuE3ELNS1_3repE0EEENS1_52radix_sort_onesweep_histogram_config_static_selectorELNS0_4arch9wavefront6targetE0EEEvSD_,"axG",@progbits,_ZN7rocprim17ROCPRIM_400000_NS6detail17trampoline_kernelINS0_14default_configENS1_35radix_sort_onesweep_config_selectorIjNS0_10empty_typeEEEZNS1_34radix_sort_onesweep_global_offsetsIS3_Lb1EPKjPS5_mNS0_19identity_decomposerEEE10hipError_tT1_T2_PT3_SF_jT4_jjP12ihipStream_tbEUlT_E_NS1_11comp_targetILNS1_3genE9ELNS1_11target_archE1100ELNS1_3gpuE3ELNS1_3repE0EEENS1_52radix_sort_onesweep_histogram_config_static_selectorELNS0_4arch9wavefront6targetE0EEEvSD_,comdat
	.protected	_ZN7rocprim17ROCPRIM_400000_NS6detail17trampoline_kernelINS0_14default_configENS1_35radix_sort_onesweep_config_selectorIjNS0_10empty_typeEEEZNS1_34radix_sort_onesweep_global_offsetsIS3_Lb1EPKjPS5_mNS0_19identity_decomposerEEE10hipError_tT1_T2_PT3_SF_jT4_jjP12ihipStream_tbEUlT_E_NS1_11comp_targetILNS1_3genE9ELNS1_11target_archE1100ELNS1_3gpuE3ELNS1_3repE0EEENS1_52radix_sort_onesweep_histogram_config_static_selectorELNS0_4arch9wavefront6targetE0EEEvSD_ ; -- Begin function _ZN7rocprim17ROCPRIM_400000_NS6detail17trampoline_kernelINS0_14default_configENS1_35radix_sort_onesweep_config_selectorIjNS0_10empty_typeEEEZNS1_34radix_sort_onesweep_global_offsetsIS3_Lb1EPKjPS5_mNS0_19identity_decomposerEEE10hipError_tT1_T2_PT3_SF_jT4_jjP12ihipStream_tbEUlT_E_NS1_11comp_targetILNS1_3genE9ELNS1_11target_archE1100ELNS1_3gpuE3ELNS1_3repE0EEENS1_52radix_sort_onesweep_histogram_config_static_selectorELNS0_4arch9wavefront6targetE0EEEvSD_
	.globl	_ZN7rocprim17ROCPRIM_400000_NS6detail17trampoline_kernelINS0_14default_configENS1_35radix_sort_onesweep_config_selectorIjNS0_10empty_typeEEEZNS1_34radix_sort_onesweep_global_offsetsIS3_Lb1EPKjPS5_mNS0_19identity_decomposerEEE10hipError_tT1_T2_PT3_SF_jT4_jjP12ihipStream_tbEUlT_E_NS1_11comp_targetILNS1_3genE9ELNS1_11target_archE1100ELNS1_3gpuE3ELNS1_3repE0EEENS1_52radix_sort_onesweep_histogram_config_static_selectorELNS0_4arch9wavefront6targetE0EEEvSD_
	.p2align	8
	.type	_ZN7rocprim17ROCPRIM_400000_NS6detail17trampoline_kernelINS0_14default_configENS1_35radix_sort_onesweep_config_selectorIjNS0_10empty_typeEEEZNS1_34radix_sort_onesweep_global_offsetsIS3_Lb1EPKjPS5_mNS0_19identity_decomposerEEE10hipError_tT1_T2_PT3_SF_jT4_jjP12ihipStream_tbEUlT_E_NS1_11comp_targetILNS1_3genE9ELNS1_11target_archE1100ELNS1_3gpuE3ELNS1_3repE0EEENS1_52radix_sort_onesweep_histogram_config_static_selectorELNS0_4arch9wavefront6targetE0EEEvSD_,@function
_ZN7rocprim17ROCPRIM_400000_NS6detail17trampoline_kernelINS0_14default_configENS1_35radix_sort_onesweep_config_selectorIjNS0_10empty_typeEEEZNS1_34radix_sort_onesweep_global_offsetsIS3_Lb1EPKjPS5_mNS0_19identity_decomposerEEE10hipError_tT1_T2_PT3_SF_jT4_jjP12ihipStream_tbEUlT_E_NS1_11comp_targetILNS1_3genE9ELNS1_11target_archE1100ELNS1_3gpuE3ELNS1_3repE0EEENS1_52radix_sort_onesweep_histogram_config_static_selectorELNS0_4arch9wavefront6targetE0EEEvSD_: ; @_ZN7rocprim17ROCPRIM_400000_NS6detail17trampoline_kernelINS0_14default_configENS1_35radix_sort_onesweep_config_selectorIjNS0_10empty_typeEEEZNS1_34radix_sort_onesweep_global_offsetsIS3_Lb1EPKjPS5_mNS0_19identity_decomposerEEE10hipError_tT1_T2_PT3_SF_jT4_jjP12ihipStream_tbEUlT_E_NS1_11comp_targetILNS1_3genE9ELNS1_11target_archE1100ELNS1_3gpuE3ELNS1_3repE0EEENS1_52radix_sort_onesweep_histogram_config_static_selectorELNS0_4arch9wavefront6targetE0EEEvSD_
; %bb.0:
	.section	.rodata,"a",@progbits
	.p2align	6, 0x0
	.amdhsa_kernel _ZN7rocprim17ROCPRIM_400000_NS6detail17trampoline_kernelINS0_14default_configENS1_35radix_sort_onesweep_config_selectorIjNS0_10empty_typeEEEZNS1_34radix_sort_onesweep_global_offsetsIS3_Lb1EPKjPS5_mNS0_19identity_decomposerEEE10hipError_tT1_T2_PT3_SF_jT4_jjP12ihipStream_tbEUlT_E_NS1_11comp_targetILNS1_3genE9ELNS1_11target_archE1100ELNS1_3gpuE3ELNS1_3repE0EEENS1_52radix_sort_onesweep_histogram_config_static_selectorELNS0_4arch9wavefront6targetE0EEEvSD_
		.amdhsa_group_segment_fixed_size 0
		.amdhsa_private_segment_fixed_size 0
		.amdhsa_kernarg_size 48
		.amdhsa_user_sgpr_count 2
		.amdhsa_user_sgpr_dispatch_ptr 0
		.amdhsa_user_sgpr_queue_ptr 0
		.amdhsa_user_sgpr_kernarg_segment_ptr 1
		.amdhsa_user_sgpr_dispatch_id 0
		.amdhsa_user_sgpr_kernarg_preload_length 0
		.amdhsa_user_sgpr_kernarg_preload_offset 0
		.amdhsa_user_sgpr_private_segment_size 0
		.amdhsa_wavefront_size32 1
		.amdhsa_uses_dynamic_stack 0
		.amdhsa_enable_private_segment 0
		.amdhsa_system_sgpr_workgroup_id_x 1
		.amdhsa_system_sgpr_workgroup_id_y 0
		.amdhsa_system_sgpr_workgroup_id_z 0
		.amdhsa_system_sgpr_workgroup_info 0
		.amdhsa_system_vgpr_workitem_id 0
		.amdhsa_next_free_vgpr 1
		.amdhsa_next_free_sgpr 1
		.amdhsa_named_barrier_count 0
		.amdhsa_reserve_vcc 0
		.amdhsa_float_round_mode_32 0
		.amdhsa_float_round_mode_16_64 0
		.amdhsa_float_denorm_mode_32 3
		.amdhsa_float_denorm_mode_16_64 3
		.amdhsa_fp16_overflow 0
		.amdhsa_memory_ordered 1
		.amdhsa_forward_progress 1
		.amdhsa_inst_pref_size 0
		.amdhsa_round_robin_scheduling 0
		.amdhsa_exception_fp_ieee_invalid_op 0
		.amdhsa_exception_fp_denorm_src 0
		.amdhsa_exception_fp_ieee_div_zero 0
		.amdhsa_exception_fp_ieee_overflow 0
		.amdhsa_exception_fp_ieee_underflow 0
		.amdhsa_exception_fp_ieee_inexact 0
		.amdhsa_exception_int_div_zero 0
	.end_amdhsa_kernel
	.section	.text._ZN7rocprim17ROCPRIM_400000_NS6detail17trampoline_kernelINS0_14default_configENS1_35radix_sort_onesweep_config_selectorIjNS0_10empty_typeEEEZNS1_34radix_sort_onesweep_global_offsetsIS3_Lb1EPKjPS5_mNS0_19identity_decomposerEEE10hipError_tT1_T2_PT3_SF_jT4_jjP12ihipStream_tbEUlT_E_NS1_11comp_targetILNS1_3genE9ELNS1_11target_archE1100ELNS1_3gpuE3ELNS1_3repE0EEENS1_52radix_sort_onesweep_histogram_config_static_selectorELNS0_4arch9wavefront6targetE0EEEvSD_,"axG",@progbits,_ZN7rocprim17ROCPRIM_400000_NS6detail17trampoline_kernelINS0_14default_configENS1_35radix_sort_onesweep_config_selectorIjNS0_10empty_typeEEEZNS1_34radix_sort_onesweep_global_offsetsIS3_Lb1EPKjPS5_mNS0_19identity_decomposerEEE10hipError_tT1_T2_PT3_SF_jT4_jjP12ihipStream_tbEUlT_E_NS1_11comp_targetILNS1_3genE9ELNS1_11target_archE1100ELNS1_3gpuE3ELNS1_3repE0EEENS1_52radix_sort_onesweep_histogram_config_static_selectorELNS0_4arch9wavefront6targetE0EEEvSD_,comdat
.Lfunc_end2614:
	.size	_ZN7rocprim17ROCPRIM_400000_NS6detail17trampoline_kernelINS0_14default_configENS1_35radix_sort_onesweep_config_selectorIjNS0_10empty_typeEEEZNS1_34radix_sort_onesweep_global_offsetsIS3_Lb1EPKjPS5_mNS0_19identity_decomposerEEE10hipError_tT1_T2_PT3_SF_jT4_jjP12ihipStream_tbEUlT_E_NS1_11comp_targetILNS1_3genE9ELNS1_11target_archE1100ELNS1_3gpuE3ELNS1_3repE0EEENS1_52radix_sort_onesweep_histogram_config_static_selectorELNS0_4arch9wavefront6targetE0EEEvSD_, .Lfunc_end2614-_ZN7rocprim17ROCPRIM_400000_NS6detail17trampoline_kernelINS0_14default_configENS1_35radix_sort_onesweep_config_selectorIjNS0_10empty_typeEEEZNS1_34radix_sort_onesweep_global_offsetsIS3_Lb1EPKjPS5_mNS0_19identity_decomposerEEE10hipError_tT1_T2_PT3_SF_jT4_jjP12ihipStream_tbEUlT_E_NS1_11comp_targetILNS1_3genE9ELNS1_11target_archE1100ELNS1_3gpuE3ELNS1_3repE0EEENS1_52radix_sort_onesweep_histogram_config_static_selectorELNS0_4arch9wavefront6targetE0EEEvSD_
                                        ; -- End function
	.set _ZN7rocprim17ROCPRIM_400000_NS6detail17trampoline_kernelINS0_14default_configENS1_35radix_sort_onesweep_config_selectorIjNS0_10empty_typeEEEZNS1_34radix_sort_onesweep_global_offsetsIS3_Lb1EPKjPS5_mNS0_19identity_decomposerEEE10hipError_tT1_T2_PT3_SF_jT4_jjP12ihipStream_tbEUlT_E_NS1_11comp_targetILNS1_3genE9ELNS1_11target_archE1100ELNS1_3gpuE3ELNS1_3repE0EEENS1_52radix_sort_onesweep_histogram_config_static_selectorELNS0_4arch9wavefront6targetE0EEEvSD_.num_vgpr, 0
	.set _ZN7rocprim17ROCPRIM_400000_NS6detail17trampoline_kernelINS0_14default_configENS1_35radix_sort_onesweep_config_selectorIjNS0_10empty_typeEEEZNS1_34radix_sort_onesweep_global_offsetsIS3_Lb1EPKjPS5_mNS0_19identity_decomposerEEE10hipError_tT1_T2_PT3_SF_jT4_jjP12ihipStream_tbEUlT_E_NS1_11comp_targetILNS1_3genE9ELNS1_11target_archE1100ELNS1_3gpuE3ELNS1_3repE0EEENS1_52radix_sort_onesweep_histogram_config_static_selectorELNS0_4arch9wavefront6targetE0EEEvSD_.num_agpr, 0
	.set _ZN7rocprim17ROCPRIM_400000_NS6detail17trampoline_kernelINS0_14default_configENS1_35radix_sort_onesweep_config_selectorIjNS0_10empty_typeEEEZNS1_34radix_sort_onesweep_global_offsetsIS3_Lb1EPKjPS5_mNS0_19identity_decomposerEEE10hipError_tT1_T2_PT3_SF_jT4_jjP12ihipStream_tbEUlT_E_NS1_11comp_targetILNS1_3genE9ELNS1_11target_archE1100ELNS1_3gpuE3ELNS1_3repE0EEENS1_52radix_sort_onesweep_histogram_config_static_selectorELNS0_4arch9wavefront6targetE0EEEvSD_.numbered_sgpr, 0
	.set _ZN7rocprim17ROCPRIM_400000_NS6detail17trampoline_kernelINS0_14default_configENS1_35radix_sort_onesweep_config_selectorIjNS0_10empty_typeEEEZNS1_34radix_sort_onesweep_global_offsetsIS3_Lb1EPKjPS5_mNS0_19identity_decomposerEEE10hipError_tT1_T2_PT3_SF_jT4_jjP12ihipStream_tbEUlT_E_NS1_11comp_targetILNS1_3genE9ELNS1_11target_archE1100ELNS1_3gpuE3ELNS1_3repE0EEENS1_52radix_sort_onesweep_histogram_config_static_selectorELNS0_4arch9wavefront6targetE0EEEvSD_.num_named_barrier, 0
	.set _ZN7rocprim17ROCPRIM_400000_NS6detail17trampoline_kernelINS0_14default_configENS1_35radix_sort_onesweep_config_selectorIjNS0_10empty_typeEEEZNS1_34radix_sort_onesweep_global_offsetsIS3_Lb1EPKjPS5_mNS0_19identity_decomposerEEE10hipError_tT1_T2_PT3_SF_jT4_jjP12ihipStream_tbEUlT_E_NS1_11comp_targetILNS1_3genE9ELNS1_11target_archE1100ELNS1_3gpuE3ELNS1_3repE0EEENS1_52radix_sort_onesweep_histogram_config_static_selectorELNS0_4arch9wavefront6targetE0EEEvSD_.private_seg_size, 0
	.set _ZN7rocprim17ROCPRIM_400000_NS6detail17trampoline_kernelINS0_14default_configENS1_35radix_sort_onesweep_config_selectorIjNS0_10empty_typeEEEZNS1_34radix_sort_onesweep_global_offsetsIS3_Lb1EPKjPS5_mNS0_19identity_decomposerEEE10hipError_tT1_T2_PT3_SF_jT4_jjP12ihipStream_tbEUlT_E_NS1_11comp_targetILNS1_3genE9ELNS1_11target_archE1100ELNS1_3gpuE3ELNS1_3repE0EEENS1_52radix_sort_onesweep_histogram_config_static_selectorELNS0_4arch9wavefront6targetE0EEEvSD_.uses_vcc, 0
	.set _ZN7rocprim17ROCPRIM_400000_NS6detail17trampoline_kernelINS0_14default_configENS1_35radix_sort_onesweep_config_selectorIjNS0_10empty_typeEEEZNS1_34radix_sort_onesweep_global_offsetsIS3_Lb1EPKjPS5_mNS0_19identity_decomposerEEE10hipError_tT1_T2_PT3_SF_jT4_jjP12ihipStream_tbEUlT_E_NS1_11comp_targetILNS1_3genE9ELNS1_11target_archE1100ELNS1_3gpuE3ELNS1_3repE0EEENS1_52radix_sort_onesweep_histogram_config_static_selectorELNS0_4arch9wavefront6targetE0EEEvSD_.uses_flat_scratch, 0
	.set _ZN7rocprim17ROCPRIM_400000_NS6detail17trampoline_kernelINS0_14default_configENS1_35radix_sort_onesweep_config_selectorIjNS0_10empty_typeEEEZNS1_34radix_sort_onesweep_global_offsetsIS3_Lb1EPKjPS5_mNS0_19identity_decomposerEEE10hipError_tT1_T2_PT3_SF_jT4_jjP12ihipStream_tbEUlT_E_NS1_11comp_targetILNS1_3genE9ELNS1_11target_archE1100ELNS1_3gpuE3ELNS1_3repE0EEENS1_52radix_sort_onesweep_histogram_config_static_selectorELNS0_4arch9wavefront6targetE0EEEvSD_.has_dyn_sized_stack, 0
	.set _ZN7rocprim17ROCPRIM_400000_NS6detail17trampoline_kernelINS0_14default_configENS1_35radix_sort_onesweep_config_selectorIjNS0_10empty_typeEEEZNS1_34radix_sort_onesweep_global_offsetsIS3_Lb1EPKjPS5_mNS0_19identity_decomposerEEE10hipError_tT1_T2_PT3_SF_jT4_jjP12ihipStream_tbEUlT_E_NS1_11comp_targetILNS1_3genE9ELNS1_11target_archE1100ELNS1_3gpuE3ELNS1_3repE0EEENS1_52radix_sort_onesweep_histogram_config_static_selectorELNS0_4arch9wavefront6targetE0EEEvSD_.has_recursion, 0
	.set _ZN7rocprim17ROCPRIM_400000_NS6detail17trampoline_kernelINS0_14default_configENS1_35radix_sort_onesweep_config_selectorIjNS0_10empty_typeEEEZNS1_34radix_sort_onesweep_global_offsetsIS3_Lb1EPKjPS5_mNS0_19identity_decomposerEEE10hipError_tT1_T2_PT3_SF_jT4_jjP12ihipStream_tbEUlT_E_NS1_11comp_targetILNS1_3genE9ELNS1_11target_archE1100ELNS1_3gpuE3ELNS1_3repE0EEENS1_52radix_sort_onesweep_histogram_config_static_selectorELNS0_4arch9wavefront6targetE0EEEvSD_.has_indirect_call, 0
	.section	.AMDGPU.csdata,"",@progbits
; Kernel info:
; codeLenInByte = 0
; TotalNumSgprs: 0
; NumVgprs: 0
; ScratchSize: 0
; MemoryBound: 0
; FloatMode: 240
; IeeeMode: 1
; LDSByteSize: 0 bytes/workgroup (compile time only)
; SGPRBlocks: 0
; VGPRBlocks: 0
; NumSGPRsForWavesPerEU: 1
; NumVGPRsForWavesPerEU: 1
; NamedBarCnt: 0
; Occupancy: 16
; WaveLimiterHint : 0
; COMPUTE_PGM_RSRC2:SCRATCH_EN: 0
; COMPUTE_PGM_RSRC2:USER_SGPR: 2
; COMPUTE_PGM_RSRC2:TRAP_HANDLER: 0
; COMPUTE_PGM_RSRC2:TGID_X_EN: 1
; COMPUTE_PGM_RSRC2:TGID_Y_EN: 0
; COMPUTE_PGM_RSRC2:TGID_Z_EN: 0
; COMPUTE_PGM_RSRC2:TIDIG_COMP_CNT: 0
	.section	.text._ZN7rocprim17ROCPRIM_400000_NS6detail17trampoline_kernelINS0_14default_configENS1_35radix_sort_onesweep_config_selectorIjNS0_10empty_typeEEEZNS1_34radix_sort_onesweep_global_offsetsIS3_Lb1EPKjPS5_mNS0_19identity_decomposerEEE10hipError_tT1_T2_PT3_SF_jT4_jjP12ihipStream_tbEUlT_E_NS1_11comp_targetILNS1_3genE8ELNS1_11target_archE1030ELNS1_3gpuE2ELNS1_3repE0EEENS1_52radix_sort_onesweep_histogram_config_static_selectorELNS0_4arch9wavefront6targetE0EEEvSD_,"axG",@progbits,_ZN7rocprim17ROCPRIM_400000_NS6detail17trampoline_kernelINS0_14default_configENS1_35radix_sort_onesweep_config_selectorIjNS0_10empty_typeEEEZNS1_34radix_sort_onesweep_global_offsetsIS3_Lb1EPKjPS5_mNS0_19identity_decomposerEEE10hipError_tT1_T2_PT3_SF_jT4_jjP12ihipStream_tbEUlT_E_NS1_11comp_targetILNS1_3genE8ELNS1_11target_archE1030ELNS1_3gpuE2ELNS1_3repE0EEENS1_52radix_sort_onesweep_histogram_config_static_selectorELNS0_4arch9wavefront6targetE0EEEvSD_,comdat
	.protected	_ZN7rocprim17ROCPRIM_400000_NS6detail17trampoline_kernelINS0_14default_configENS1_35radix_sort_onesweep_config_selectorIjNS0_10empty_typeEEEZNS1_34radix_sort_onesweep_global_offsetsIS3_Lb1EPKjPS5_mNS0_19identity_decomposerEEE10hipError_tT1_T2_PT3_SF_jT4_jjP12ihipStream_tbEUlT_E_NS1_11comp_targetILNS1_3genE8ELNS1_11target_archE1030ELNS1_3gpuE2ELNS1_3repE0EEENS1_52radix_sort_onesweep_histogram_config_static_selectorELNS0_4arch9wavefront6targetE0EEEvSD_ ; -- Begin function _ZN7rocprim17ROCPRIM_400000_NS6detail17trampoline_kernelINS0_14default_configENS1_35radix_sort_onesweep_config_selectorIjNS0_10empty_typeEEEZNS1_34radix_sort_onesweep_global_offsetsIS3_Lb1EPKjPS5_mNS0_19identity_decomposerEEE10hipError_tT1_T2_PT3_SF_jT4_jjP12ihipStream_tbEUlT_E_NS1_11comp_targetILNS1_3genE8ELNS1_11target_archE1030ELNS1_3gpuE2ELNS1_3repE0EEENS1_52radix_sort_onesweep_histogram_config_static_selectorELNS0_4arch9wavefront6targetE0EEEvSD_
	.globl	_ZN7rocprim17ROCPRIM_400000_NS6detail17trampoline_kernelINS0_14default_configENS1_35radix_sort_onesweep_config_selectorIjNS0_10empty_typeEEEZNS1_34radix_sort_onesweep_global_offsetsIS3_Lb1EPKjPS5_mNS0_19identity_decomposerEEE10hipError_tT1_T2_PT3_SF_jT4_jjP12ihipStream_tbEUlT_E_NS1_11comp_targetILNS1_3genE8ELNS1_11target_archE1030ELNS1_3gpuE2ELNS1_3repE0EEENS1_52radix_sort_onesweep_histogram_config_static_selectorELNS0_4arch9wavefront6targetE0EEEvSD_
	.p2align	8
	.type	_ZN7rocprim17ROCPRIM_400000_NS6detail17trampoline_kernelINS0_14default_configENS1_35radix_sort_onesweep_config_selectorIjNS0_10empty_typeEEEZNS1_34radix_sort_onesweep_global_offsetsIS3_Lb1EPKjPS5_mNS0_19identity_decomposerEEE10hipError_tT1_T2_PT3_SF_jT4_jjP12ihipStream_tbEUlT_E_NS1_11comp_targetILNS1_3genE8ELNS1_11target_archE1030ELNS1_3gpuE2ELNS1_3repE0EEENS1_52radix_sort_onesweep_histogram_config_static_selectorELNS0_4arch9wavefront6targetE0EEEvSD_,@function
_ZN7rocprim17ROCPRIM_400000_NS6detail17trampoline_kernelINS0_14default_configENS1_35radix_sort_onesweep_config_selectorIjNS0_10empty_typeEEEZNS1_34radix_sort_onesweep_global_offsetsIS3_Lb1EPKjPS5_mNS0_19identity_decomposerEEE10hipError_tT1_T2_PT3_SF_jT4_jjP12ihipStream_tbEUlT_E_NS1_11comp_targetILNS1_3genE8ELNS1_11target_archE1030ELNS1_3gpuE2ELNS1_3repE0EEENS1_52radix_sort_onesweep_histogram_config_static_selectorELNS0_4arch9wavefront6targetE0EEEvSD_: ; @_ZN7rocprim17ROCPRIM_400000_NS6detail17trampoline_kernelINS0_14default_configENS1_35radix_sort_onesweep_config_selectorIjNS0_10empty_typeEEEZNS1_34radix_sort_onesweep_global_offsetsIS3_Lb1EPKjPS5_mNS0_19identity_decomposerEEE10hipError_tT1_T2_PT3_SF_jT4_jjP12ihipStream_tbEUlT_E_NS1_11comp_targetILNS1_3genE8ELNS1_11target_archE1030ELNS1_3gpuE2ELNS1_3repE0EEENS1_52radix_sort_onesweep_histogram_config_static_selectorELNS0_4arch9wavefront6targetE0EEEvSD_
; %bb.0:
	.section	.rodata,"a",@progbits
	.p2align	6, 0x0
	.amdhsa_kernel _ZN7rocprim17ROCPRIM_400000_NS6detail17trampoline_kernelINS0_14default_configENS1_35radix_sort_onesweep_config_selectorIjNS0_10empty_typeEEEZNS1_34radix_sort_onesweep_global_offsetsIS3_Lb1EPKjPS5_mNS0_19identity_decomposerEEE10hipError_tT1_T2_PT3_SF_jT4_jjP12ihipStream_tbEUlT_E_NS1_11comp_targetILNS1_3genE8ELNS1_11target_archE1030ELNS1_3gpuE2ELNS1_3repE0EEENS1_52radix_sort_onesweep_histogram_config_static_selectorELNS0_4arch9wavefront6targetE0EEEvSD_
		.amdhsa_group_segment_fixed_size 0
		.amdhsa_private_segment_fixed_size 0
		.amdhsa_kernarg_size 48
		.amdhsa_user_sgpr_count 2
		.amdhsa_user_sgpr_dispatch_ptr 0
		.amdhsa_user_sgpr_queue_ptr 0
		.amdhsa_user_sgpr_kernarg_segment_ptr 1
		.amdhsa_user_sgpr_dispatch_id 0
		.amdhsa_user_sgpr_kernarg_preload_length 0
		.amdhsa_user_sgpr_kernarg_preload_offset 0
		.amdhsa_user_sgpr_private_segment_size 0
		.amdhsa_wavefront_size32 1
		.amdhsa_uses_dynamic_stack 0
		.amdhsa_enable_private_segment 0
		.amdhsa_system_sgpr_workgroup_id_x 1
		.amdhsa_system_sgpr_workgroup_id_y 0
		.amdhsa_system_sgpr_workgroup_id_z 0
		.amdhsa_system_sgpr_workgroup_info 0
		.amdhsa_system_vgpr_workitem_id 0
		.amdhsa_next_free_vgpr 1
		.amdhsa_next_free_sgpr 1
		.amdhsa_named_barrier_count 0
		.amdhsa_reserve_vcc 0
		.amdhsa_float_round_mode_32 0
		.amdhsa_float_round_mode_16_64 0
		.amdhsa_float_denorm_mode_32 3
		.amdhsa_float_denorm_mode_16_64 3
		.amdhsa_fp16_overflow 0
		.amdhsa_memory_ordered 1
		.amdhsa_forward_progress 1
		.amdhsa_inst_pref_size 0
		.amdhsa_round_robin_scheduling 0
		.amdhsa_exception_fp_ieee_invalid_op 0
		.amdhsa_exception_fp_denorm_src 0
		.amdhsa_exception_fp_ieee_div_zero 0
		.amdhsa_exception_fp_ieee_overflow 0
		.amdhsa_exception_fp_ieee_underflow 0
		.amdhsa_exception_fp_ieee_inexact 0
		.amdhsa_exception_int_div_zero 0
	.end_amdhsa_kernel
	.section	.text._ZN7rocprim17ROCPRIM_400000_NS6detail17trampoline_kernelINS0_14default_configENS1_35radix_sort_onesweep_config_selectorIjNS0_10empty_typeEEEZNS1_34radix_sort_onesweep_global_offsetsIS3_Lb1EPKjPS5_mNS0_19identity_decomposerEEE10hipError_tT1_T2_PT3_SF_jT4_jjP12ihipStream_tbEUlT_E_NS1_11comp_targetILNS1_3genE8ELNS1_11target_archE1030ELNS1_3gpuE2ELNS1_3repE0EEENS1_52radix_sort_onesweep_histogram_config_static_selectorELNS0_4arch9wavefront6targetE0EEEvSD_,"axG",@progbits,_ZN7rocprim17ROCPRIM_400000_NS6detail17trampoline_kernelINS0_14default_configENS1_35radix_sort_onesweep_config_selectorIjNS0_10empty_typeEEEZNS1_34radix_sort_onesweep_global_offsetsIS3_Lb1EPKjPS5_mNS0_19identity_decomposerEEE10hipError_tT1_T2_PT3_SF_jT4_jjP12ihipStream_tbEUlT_E_NS1_11comp_targetILNS1_3genE8ELNS1_11target_archE1030ELNS1_3gpuE2ELNS1_3repE0EEENS1_52radix_sort_onesweep_histogram_config_static_selectorELNS0_4arch9wavefront6targetE0EEEvSD_,comdat
.Lfunc_end2615:
	.size	_ZN7rocprim17ROCPRIM_400000_NS6detail17trampoline_kernelINS0_14default_configENS1_35radix_sort_onesweep_config_selectorIjNS0_10empty_typeEEEZNS1_34radix_sort_onesweep_global_offsetsIS3_Lb1EPKjPS5_mNS0_19identity_decomposerEEE10hipError_tT1_T2_PT3_SF_jT4_jjP12ihipStream_tbEUlT_E_NS1_11comp_targetILNS1_3genE8ELNS1_11target_archE1030ELNS1_3gpuE2ELNS1_3repE0EEENS1_52radix_sort_onesweep_histogram_config_static_selectorELNS0_4arch9wavefront6targetE0EEEvSD_, .Lfunc_end2615-_ZN7rocprim17ROCPRIM_400000_NS6detail17trampoline_kernelINS0_14default_configENS1_35radix_sort_onesweep_config_selectorIjNS0_10empty_typeEEEZNS1_34radix_sort_onesweep_global_offsetsIS3_Lb1EPKjPS5_mNS0_19identity_decomposerEEE10hipError_tT1_T2_PT3_SF_jT4_jjP12ihipStream_tbEUlT_E_NS1_11comp_targetILNS1_3genE8ELNS1_11target_archE1030ELNS1_3gpuE2ELNS1_3repE0EEENS1_52radix_sort_onesweep_histogram_config_static_selectorELNS0_4arch9wavefront6targetE0EEEvSD_
                                        ; -- End function
	.set _ZN7rocprim17ROCPRIM_400000_NS6detail17trampoline_kernelINS0_14default_configENS1_35radix_sort_onesweep_config_selectorIjNS0_10empty_typeEEEZNS1_34radix_sort_onesweep_global_offsetsIS3_Lb1EPKjPS5_mNS0_19identity_decomposerEEE10hipError_tT1_T2_PT3_SF_jT4_jjP12ihipStream_tbEUlT_E_NS1_11comp_targetILNS1_3genE8ELNS1_11target_archE1030ELNS1_3gpuE2ELNS1_3repE0EEENS1_52radix_sort_onesweep_histogram_config_static_selectorELNS0_4arch9wavefront6targetE0EEEvSD_.num_vgpr, 0
	.set _ZN7rocprim17ROCPRIM_400000_NS6detail17trampoline_kernelINS0_14default_configENS1_35radix_sort_onesweep_config_selectorIjNS0_10empty_typeEEEZNS1_34radix_sort_onesweep_global_offsetsIS3_Lb1EPKjPS5_mNS0_19identity_decomposerEEE10hipError_tT1_T2_PT3_SF_jT4_jjP12ihipStream_tbEUlT_E_NS1_11comp_targetILNS1_3genE8ELNS1_11target_archE1030ELNS1_3gpuE2ELNS1_3repE0EEENS1_52radix_sort_onesweep_histogram_config_static_selectorELNS0_4arch9wavefront6targetE0EEEvSD_.num_agpr, 0
	.set _ZN7rocprim17ROCPRIM_400000_NS6detail17trampoline_kernelINS0_14default_configENS1_35radix_sort_onesweep_config_selectorIjNS0_10empty_typeEEEZNS1_34radix_sort_onesweep_global_offsetsIS3_Lb1EPKjPS5_mNS0_19identity_decomposerEEE10hipError_tT1_T2_PT3_SF_jT4_jjP12ihipStream_tbEUlT_E_NS1_11comp_targetILNS1_3genE8ELNS1_11target_archE1030ELNS1_3gpuE2ELNS1_3repE0EEENS1_52radix_sort_onesweep_histogram_config_static_selectorELNS0_4arch9wavefront6targetE0EEEvSD_.numbered_sgpr, 0
	.set _ZN7rocprim17ROCPRIM_400000_NS6detail17trampoline_kernelINS0_14default_configENS1_35radix_sort_onesweep_config_selectorIjNS0_10empty_typeEEEZNS1_34radix_sort_onesweep_global_offsetsIS3_Lb1EPKjPS5_mNS0_19identity_decomposerEEE10hipError_tT1_T2_PT3_SF_jT4_jjP12ihipStream_tbEUlT_E_NS1_11comp_targetILNS1_3genE8ELNS1_11target_archE1030ELNS1_3gpuE2ELNS1_3repE0EEENS1_52radix_sort_onesweep_histogram_config_static_selectorELNS0_4arch9wavefront6targetE0EEEvSD_.num_named_barrier, 0
	.set _ZN7rocprim17ROCPRIM_400000_NS6detail17trampoline_kernelINS0_14default_configENS1_35radix_sort_onesweep_config_selectorIjNS0_10empty_typeEEEZNS1_34radix_sort_onesweep_global_offsetsIS3_Lb1EPKjPS5_mNS0_19identity_decomposerEEE10hipError_tT1_T2_PT3_SF_jT4_jjP12ihipStream_tbEUlT_E_NS1_11comp_targetILNS1_3genE8ELNS1_11target_archE1030ELNS1_3gpuE2ELNS1_3repE0EEENS1_52radix_sort_onesweep_histogram_config_static_selectorELNS0_4arch9wavefront6targetE0EEEvSD_.private_seg_size, 0
	.set _ZN7rocprim17ROCPRIM_400000_NS6detail17trampoline_kernelINS0_14default_configENS1_35radix_sort_onesweep_config_selectorIjNS0_10empty_typeEEEZNS1_34radix_sort_onesweep_global_offsetsIS3_Lb1EPKjPS5_mNS0_19identity_decomposerEEE10hipError_tT1_T2_PT3_SF_jT4_jjP12ihipStream_tbEUlT_E_NS1_11comp_targetILNS1_3genE8ELNS1_11target_archE1030ELNS1_3gpuE2ELNS1_3repE0EEENS1_52radix_sort_onesweep_histogram_config_static_selectorELNS0_4arch9wavefront6targetE0EEEvSD_.uses_vcc, 0
	.set _ZN7rocprim17ROCPRIM_400000_NS6detail17trampoline_kernelINS0_14default_configENS1_35radix_sort_onesweep_config_selectorIjNS0_10empty_typeEEEZNS1_34radix_sort_onesweep_global_offsetsIS3_Lb1EPKjPS5_mNS0_19identity_decomposerEEE10hipError_tT1_T2_PT3_SF_jT4_jjP12ihipStream_tbEUlT_E_NS1_11comp_targetILNS1_3genE8ELNS1_11target_archE1030ELNS1_3gpuE2ELNS1_3repE0EEENS1_52radix_sort_onesweep_histogram_config_static_selectorELNS0_4arch9wavefront6targetE0EEEvSD_.uses_flat_scratch, 0
	.set _ZN7rocprim17ROCPRIM_400000_NS6detail17trampoline_kernelINS0_14default_configENS1_35radix_sort_onesweep_config_selectorIjNS0_10empty_typeEEEZNS1_34radix_sort_onesweep_global_offsetsIS3_Lb1EPKjPS5_mNS0_19identity_decomposerEEE10hipError_tT1_T2_PT3_SF_jT4_jjP12ihipStream_tbEUlT_E_NS1_11comp_targetILNS1_3genE8ELNS1_11target_archE1030ELNS1_3gpuE2ELNS1_3repE0EEENS1_52radix_sort_onesweep_histogram_config_static_selectorELNS0_4arch9wavefront6targetE0EEEvSD_.has_dyn_sized_stack, 0
	.set _ZN7rocprim17ROCPRIM_400000_NS6detail17trampoline_kernelINS0_14default_configENS1_35radix_sort_onesweep_config_selectorIjNS0_10empty_typeEEEZNS1_34radix_sort_onesweep_global_offsetsIS3_Lb1EPKjPS5_mNS0_19identity_decomposerEEE10hipError_tT1_T2_PT3_SF_jT4_jjP12ihipStream_tbEUlT_E_NS1_11comp_targetILNS1_3genE8ELNS1_11target_archE1030ELNS1_3gpuE2ELNS1_3repE0EEENS1_52radix_sort_onesweep_histogram_config_static_selectorELNS0_4arch9wavefront6targetE0EEEvSD_.has_recursion, 0
	.set _ZN7rocprim17ROCPRIM_400000_NS6detail17trampoline_kernelINS0_14default_configENS1_35radix_sort_onesweep_config_selectorIjNS0_10empty_typeEEEZNS1_34radix_sort_onesweep_global_offsetsIS3_Lb1EPKjPS5_mNS0_19identity_decomposerEEE10hipError_tT1_T2_PT3_SF_jT4_jjP12ihipStream_tbEUlT_E_NS1_11comp_targetILNS1_3genE8ELNS1_11target_archE1030ELNS1_3gpuE2ELNS1_3repE0EEENS1_52radix_sort_onesweep_histogram_config_static_selectorELNS0_4arch9wavefront6targetE0EEEvSD_.has_indirect_call, 0
	.section	.AMDGPU.csdata,"",@progbits
; Kernel info:
; codeLenInByte = 0
; TotalNumSgprs: 0
; NumVgprs: 0
; ScratchSize: 0
; MemoryBound: 0
; FloatMode: 240
; IeeeMode: 1
; LDSByteSize: 0 bytes/workgroup (compile time only)
; SGPRBlocks: 0
; VGPRBlocks: 0
; NumSGPRsForWavesPerEU: 1
; NumVGPRsForWavesPerEU: 1
; NamedBarCnt: 0
; Occupancy: 16
; WaveLimiterHint : 0
; COMPUTE_PGM_RSRC2:SCRATCH_EN: 0
; COMPUTE_PGM_RSRC2:USER_SGPR: 2
; COMPUTE_PGM_RSRC2:TRAP_HANDLER: 0
; COMPUTE_PGM_RSRC2:TGID_X_EN: 1
; COMPUTE_PGM_RSRC2:TGID_Y_EN: 0
; COMPUTE_PGM_RSRC2:TGID_Z_EN: 0
; COMPUTE_PGM_RSRC2:TIDIG_COMP_CNT: 0
	.section	.text._ZN7rocprim17ROCPRIM_400000_NS6detail17trampoline_kernelINS0_14default_configENS1_35radix_sort_onesweep_config_selectorIjNS0_10empty_typeEEEZNS1_34radix_sort_onesweep_global_offsetsIS3_Lb1EPKjPS5_mNS0_19identity_decomposerEEE10hipError_tT1_T2_PT3_SF_jT4_jjP12ihipStream_tbEUlT_E0_NS1_11comp_targetILNS1_3genE0ELNS1_11target_archE4294967295ELNS1_3gpuE0ELNS1_3repE0EEENS1_52radix_sort_onesweep_histogram_config_static_selectorELNS0_4arch9wavefront6targetE0EEEvSD_,"axG",@progbits,_ZN7rocprim17ROCPRIM_400000_NS6detail17trampoline_kernelINS0_14default_configENS1_35radix_sort_onesweep_config_selectorIjNS0_10empty_typeEEEZNS1_34radix_sort_onesweep_global_offsetsIS3_Lb1EPKjPS5_mNS0_19identity_decomposerEEE10hipError_tT1_T2_PT3_SF_jT4_jjP12ihipStream_tbEUlT_E0_NS1_11comp_targetILNS1_3genE0ELNS1_11target_archE4294967295ELNS1_3gpuE0ELNS1_3repE0EEENS1_52radix_sort_onesweep_histogram_config_static_selectorELNS0_4arch9wavefront6targetE0EEEvSD_,comdat
	.protected	_ZN7rocprim17ROCPRIM_400000_NS6detail17trampoline_kernelINS0_14default_configENS1_35radix_sort_onesweep_config_selectorIjNS0_10empty_typeEEEZNS1_34radix_sort_onesweep_global_offsetsIS3_Lb1EPKjPS5_mNS0_19identity_decomposerEEE10hipError_tT1_T2_PT3_SF_jT4_jjP12ihipStream_tbEUlT_E0_NS1_11comp_targetILNS1_3genE0ELNS1_11target_archE4294967295ELNS1_3gpuE0ELNS1_3repE0EEENS1_52radix_sort_onesweep_histogram_config_static_selectorELNS0_4arch9wavefront6targetE0EEEvSD_ ; -- Begin function _ZN7rocprim17ROCPRIM_400000_NS6detail17trampoline_kernelINS0_14default_configENS1_35radix_sort_onesweep_config_selectorIjNS0_10empty_typeEEEZNS1_34radix_sort_onesweep_global_offsetsIS3_Lb1EPKjPS5_mNS0_19identity_decomposerEEE10hipError_tT1_T2_PT3_SF_jT4_jjP12ihipStream_tbEUlT_E0_NS1_11comp_targetILNS1_3genE0ELNS1_11target_archE4294967295ELNS1_3gpuE0ELNS1_3repE0EEENS1_52radix_sort_onesweep_histogram_config_static_selectorELNS0_4arch9wavefront6targetE0EEEvSD_
	.globl	_ZN7rocprim17ROCPRIM_400000_NS6detail17trampoline_kernelINS0_14default_configENS1_35radix_sort_onesweep_config_selectorIjNS0_10empty_typeEEEZNS1_34radix_sort_onesweep_global_offsetsIS3_Lb1EPKjPS5_mNS0_19identity_decomposerEEE10hipError_tT1_T2_PT3_SF_jT4_jjP12ihipStream_tbEUlT_E0_NS1_11comp_targetILNS1_3genE0ELNS1_11target_archE4294967295ELNS1_3gpuE0ELNS1_3repE0EEENS1_52radix_sort_onesweep_histogram_config_static_selectorELNS0_4arch9wavefront6targetE0EEEvSD_
	.p2align	8
	.type	_ZN7rocprim17ROCPRIM_400000_NS6detail17trampoline_kernelINS0_14default_configENS1_35radix_sort_onesweep_config_selectorIjNS0_10empty_typeEEEZNS1_34radix_sort_onesweep_global_offsetsIS3_Lb1EPKjPS5_mNS0_19identity_decomposerEEE10hipError_tT1_T2_PT3_SF_jT4_jjP12ihipStream_tbEUlT_E0_NS1_11comp_targetILNS1_3genE0ELNS1_11target_archE4294967295ELNS1_3gpuE0ELNS1_3repE0EEENS1_52radix_sort_onesweep_histogram_config_static_selectorELNS0_4arch9wavefront6targetE0EEEvSD_,@function
_ZN7rocprim17ROCPRIM_400000_NS6detail17trampoline_kernelINS0_14default_configENS1_35radix_sort_onesweep_config_selectorIjNS0_10empty_typeEEEZNS1_34radix_sort_onesweep_global_offsetsIS3_Lb1EPKjPS5_mNS0_19identity_decomposerEEE10hipError_tT1_T2_PT3_SF_jT4_jjP12ihipStream_tbEUlT_E0_NS1_11comp_targetILNS1_3genE0ELNS1_11target_archE4294967295ELNS1_3gpuE0ELNS1_3repE0EEENS1_52radix_sort_onesweep_histogram_config_static_selectorELNS0_4arch9wavefront6targetE0EEEvSD_: ; @_ZN7rocprim17ROCPRIM_400000_NS6detail17trampoline_kernelINS0_14default_configENS1_35radix_sort_onesweep_config_selectorIjNS0_10empty_typeEEEZNS1_34radix_sort_onesweep_global_offsetsIS3_Lb1EPKjPS5_mNS0_19identity_decomposerEEE10hipError_tT1_T2_PT3_SF_jT4_jjP12ihipStream_tbEUlT_E0_NS1_11comp_targetILNS1_3genE0ELNS1_11target_archE4294967295ELNS1_3gpuE0ELNS1_3repE0EEENS1_52radix_sort_onesweep_histogram_config_static_selectorELNS0_4arch9wavefront6targetE0EEEvSD_
; %bb.0:
	s_load_b64 s[0:1], s[0:1], 0x0
	s_bfe_u32 s2, ttmp6, 0x4000c
	s_and_b32 s3, ttmp6, 15
	s_add_co_i32 s2, s2, 1
	s_getreg_b32 s4, hwreg(HW_REG_IB_STS2, 6, 4)
	s_mul_i32 s2, ttmp9, s2
	v_cmp_gt_u32_e32 vcc_lo, 0x100, v0
	s_add_co_i32 s3, s3, s2
	s_cmp_eq_u32 s4, 0
                                        ; implicit-def: $vgpr2_vgpr3
	s_cselect_b32 s2, ttmp9, s3
	s_mov_b32 s3, 0
	s_lshl_b32 s2, s2, 8
	s_delay_alu instid0(SALU_CYCLE_1)
	s_lshl_b64 s[2:3], s[2:3], 3
	s_wait_kmcnt 0x0
	s_add_nc_u64 s[6:7], s[0:1], s[2:3]
	s_and_saveexec_b32 s0, vcc_lo
	s_cbranch_execz .LBB2616_2
; %bb.1:
	global_load_b64 v[2:3], v0, s[6:7] scale_offset
.LBB2616_2:
	s_wait_xcnt 0x0
	s_or_b32 exec_lo, exec_lo, s0
	v_mbcnt_lo_u32_b32 v1, -1, 0
	s_wait_loadcnt 0x0
	v_mov_b32_dpp v6, v2 row_shr:1 row_mask:0xf bank_mask:0xf
	v_mov_b32_dpp v9, v3 row_shr:1 row_mask:0xf bank_mask:0xf
	s_delay_alu instid0(VALU_DEP_3) | instskip(NEXT) | instid1(VALU_DEP_1)
	v_dual_mov_b32 v4, v2 :: v_dual_bitop2_b32 v10, 15, v1 bitop3:0x40
	v_cmp_ne_u32_e64 s0, 0, v10
	s_and_saveexec_b32 s1, s0
; %bb.3:
	v_mov_b32_e32 v8, 0
	s_delay_alu instid0(VALU_DEP_1) | instskip(NEXT) | instid1(VALU_DEP_1)
	v_mov_b32_e32 v7, v8
	v_add_nc_u64_e32 v[4:5], v[2:3], v[6:7]
	s_delay_alu instid0(VALU_DEP_1)
	v_add_nc_u64_e32 v[2:3], v[8:9], v[4:5]
; %bb.4:
	s_or_b32 exec_lo, exec_lo, s1
	v_mov_b32_dpp v6, v4 row_shr:2 row_mask:0xf bank_mask:0xf
	s_delay_alu instid0(VALU_DEP_2)
	v_mov_b32_dpp v9, v3 row_shr:2 row_mask:0xf bank_mask:0xf
	v_cmp_lt_u32_e64 s1, 1, v10
	s_and_saveexec_b32 s2, s1
; %bb.5:
	v_mov_b32_e32 v8, 0
	s_delay_alu instid0(VALU_DEP_1) | instskip(NEXT) | instid1(VALU_DEP_1)
	v_mov_b32_e32 v7, v8
	v_add_nc_u64_e32 v[4:5], v[2:3], v[6:7]
	s_delay_alu instid0(VALU_DEP_1)
	v_add_nc_u64_e32 v[2:3], v[8:9], v[4:5]
; %bb.6:
	s_or_b32 exec_lo, exec_lo, s2
	v_mov_b32_dpp v6, v4 row_shr:4 row_mask:0xf bank_mask:0xf
	s_delay_alu instid0(VALU_DEP_2)
	v_mov_b32_dpp v9, v3 row_shr:4 row_mask:0xf bank_mask:0xf
	v_cmp_lt_u32_e64 s2, 3, v10
	;; [unrolled: 14-line block ×3, first 2 shown]
	s_and_saveexec_b32 s4, s3
; %bb.9:
	v_mov_b32_e32 v8, 0
	s_delay_alu instid0(VALU_DEP_1) | instskip(NEXT) | instid1(VALU_DEP_1)
	v_mov_b32_e32 v7, v8
	v_add_nc_u64_e32 v[4:5], v[2:3], v[6:7]
	s_delay_alu instid0(VALU_DEP_1)
	v_add_nc_u64_e32 v[2:3], v[8:9], v[4:5]
; %bb.10:
	s_or_b32 exec_lo, exec_lo, s4
	ds_swizzle_b32 v4, v4 offset:swizzle(BROADCAST,32,15)
	ds_swizzle_b32 v7, v3 offset:swizzle(BROADCAST,32,15)
	v_and_b32_e32 v5, 16, v1
	s_mov_b32 s5, exec_lo
	s_delay_alu instid0(VALU_DEP_1)
	v_cmpx_ne_u32_e32 0, v5
	s_cbranch_execz .LBB2616_12
; %bb.11:
	v_mov_b32_e32 v6, 0
	s_delay_alu instid0(VALU_DEP_1) | instskip(SKIP_1) | instid1(VALU_DEP_1)
	v_mov_b32_e32 v5, v6
	s_wait_dscnt 0x1
	v_add_nc_u64_e32 v[2:3], v[2:3], v[4:5]
	s_wait_dscnt 0x0
	s_delay_alu instid0(VALU_DEP_1)
	v_add_nc_u64_e32 v[2:3], v[2:3], v[6:7]
.LBB2616_12:
	s_or_b32 exec_lo, exec_lo, s5
	s_wait_dscnt 0x1
	v_dual_lshrrev_b32 v12, 5, v0 :: v_dual_bitop2_b32 v4, 31, v0 bitop3:0x54
	s_mov_b32 s5, exec_lo
	s_delay_alu instid0(VALU_DEP_1)
	v_cmpx_eq_u32_e64 v0, v4
; %bb.13:
	s_delay_alu instid0(VALU_DEP_2)
	v_lshlrev_b32_e32 v4, 3, v12
	ds_store_b64 v4, v[2:3]
; %bb.14:
	s_or_b32 exec_lo, exec_lo, s5
	s_delay_alu instid0(SALU_CYCLE_1)
	s_mov_b32 s5, exec_lo
	s_wait_dscnt 0x0
	s_barrier_signal -1
	s_barrier_wait -1
	v_cmpx_gt_u32_e32 16, v0
	s_cbranch_execz .LBB2616_24
; %bb.15:
	v_lshlrev_b32_e32 v13, 3, v0
	ds_load_b64 v[4:5], v13
	s_wait_dscnt 0x0
	v_mov_b32_dpp v8, v4 row_shr:1 row_mask:0xf bank_mask:0xf
	v_mov_b32_dpp v11, v5 row_shr:1 row_mask:0xf bank_mask:0xf
	v_mov_b32_e32 v6, v4
	s_and_saveexec_b32 s4, s0
; %bb.16:
	v_mov_b32_e32 v10, 0
	s_delay_alu instid0(VALU_DEP_1) | instskip(NEXT) | instid1(VALU_DEP_1)
	v_mov_b32_e32 v9, v10
	v_add_nc_u64_e32 v[6:7], v[4:5], v[8:9]
	s_delay_alu instid0(VALU_DEP_1)
	v_add_nc_u64_e32 v[4:5], v[10:11], v[6:7]
; %bb.17:
	s_or_b32 exec_lo, exec_lo, s4
	v_mov_b32_dpp v8, v6 row_shr:2 row_mask:0xf bank_mask:0xf
	s_delay_alu instid0(VALU_DEP_2)
	v_mov_b32_dpp v11, v5 row_shr:2 row_mask:0xf bank_mask:0xf
	s_and_saveexec_b32 s0, s1
; %bb.18:
	v_mov_b32_e32 v10, 0
	s_delay_alu instid0(VALU_DEP_1) | instskip(NEXT) | instid1(VALU_DEP_1)
	v_mov_b32_e32 v9, v10
	v_add_nc_u64_e32 v[6:7], v[4:5], v[8:9]
	s_delay_alu instid0(VALU_DEP_1)
	v_add_nc_u64_e32 v[4:5], v[10:11], v[6:7]
; %bb.19:
	s_or_b32 exec_lo, exec_lo, s0
	v_mov_b32_dpp v8, v6 row_shr:4 row_mask:0xf bank_mask:0xf
	s_delay_alu instid0(VALU_DEP_2)
	v_mov_b32_dpp v11, v5 row_shr:4 row_mask:0xf bank_mask:0xf
	;; [unrolled: 13-line block ×3, first 2 shown]
	s_and_saveexec_b32 s0, s3
; %bb.22:
	v_mov_b32_e32 v8, 0
	s_delay_alu instid0(VALU_DEP_1) | instskip(NEXT) | instid1(VALU_DEP_1)
	v_mov_b32_e32 v7, v8
	v_add_nc_u64_e32 v[4:5], v[4:5], v[6:7]
	s_delay_alu instid0(VALU_DEP_1)
	v_add_nc_u64_e32 v[4:5], v[4:5], v[8:9]
; %bb.23:
	s_or_b32 exec_lo, exec_lo, s0
	ds_store_b64 v13, v[4:5]
.LBB2616_24:
	s_or_b32 exec_lo, exec_lo, s5
	v_mov_b64_e32 v[4:5], 0
	s_mov_b32 s1, exec_lo
	s_wait_dscnt 0x0
	s_barrier_signal -1
	s_barrier_wait -1
	v_cmpx_lt_u32_e32 31, v0
; %bb.25:
	v_lshl_add_u32 v4, v12, 3, -8
	ds_load_b64 v[4:5], v4
; %bb.26:
	s_or_b32 exec_lo, exec_lo, s1
	v_add_nc_u32_e32 v6, -1, v1
	s_wait_dscnt 0x0
	v_add_nc_u64_e32 v[2:3], v[4:5], v[2:3]
	s_delay_alu instid0(VALU_DEP_2) | instskip(NEXT) | instid1(VALU_DEP_1)
	v_cmp_gt_i32_e64 s0, 0, v6
	v_cndmask_b32_e64 v6, v6, v1, s0
	s_delay_alu instid0(VALU_DEP_1)
	v_lshlrev_b32_e32 v6, 2, v6
	ds_bpermute_b32 v2, v6, v2
	ds_bpermute_b32 v3, v6, v3
	s_and_saveexec_b32 s0, vcc_lo
	s_cbranch_execz .LBB2616_28
; %bb.27:
	v_cmp_eq_u32_e32 vcc_lo, 0, v1
	s_wait_dscnt 0x0
	v_dual_cndmask_b32 v3, v3, v5 :: v_dual_cndmask_b32 v2, v2, v4
	global_store_b64 v0, v[2:3], s[6:7] scale_offset
.LBB2616_28:
	s_endpgm
	.section	.rodata,"a",@progbits
	.p2align	6, 0x0
	.amdhsa_kernel _ZN7rocprim17ROCPRIM_400000_NS6detail17trampoline_kernelINS0_14default_configENS1_35radix_sort_onesweep_config_selectorIjNS0_10empty_typeEEEZNS1_34radix_sort_onesweep_global_offsetsIS3_Lb1EPKjPS5_mNS0_19identity_decomposerEEE10hipError_tT1_T2_PT3_SF_jT4_jjP12ihipStream_tbEUlT_E0_NS1_11comp_targetILNS1_3genE0ELNS1_11target_archE4294967295ELNS1_3gpuE0ELNS1_3repE0EEENS1_52radix_sort_onesweep_histogram_config_static_selectorELNS0_4arch9wavefront6targetE0EEEvSD_
		.amdhsa_group_segment_fixed_size 128
		.amdhsa_private_segment_fixed_size 0
		.amdhsa_kernarg_size 8
		.amdhsa_user_sgpr_count 2
		.amdhsa_user_sgpr_dispatch_ptr 0
		.amdhsa_user_sgpr_queue_ptr 0
		.amdhsa_user_sgpr_kernarg_segment_ptr 1
		.amdhsa_user_sgpr_dispatch_id 0
		.amdhsa_user_sgpr_kernarg_preload_length 0
		.amdhsa_user_sgpr_kernarg_preload_offset 0
		.amdhsa_user_sgpr_private_segment_size 0
		.amdhsa_wavefront_size32 1
		.amdhsa_uses_dynamic_stack 0
		.amdhsa_enable_private_segment 0
		.amdhsa_system_sgpr_workgroup_id_x 1
		.amdhsa_system_sgpr_workgroup_id_y 0
		.amdhsa_system_sgpr_workgroup_id_z 0
		.amdhsa_system_sgpr_workgroup_info 0
		.amdhsa_system_vgpr_workitem_id 0
		.amdhsa_next_free_vgpr 14
		.amdhsa_next_free_sgpr 8
		.amdhsa_named_barrier_count 0
		.amdhsa_reserve_vcc 1
		.amdhsa_float_round_mode_32 0
		.amdhsa_float_round_mode_16_64 0
		.amdhsa_float_denorm_mode_32 3
		.amdhsa_float_denorm_mode_16_64 3
		.amdhsa_fp16_overflow 0
		.amdhsa_memory_ordered 1
		.amdhsa_forward_progress 1
		.amdhsa_inst_pref_size 7
		.amdhsa_round_robin_scheduling 0
		.amdhsa_exception_fp_ieee_invalid_op 0
		.amdhsa_exception_fp_denorm_src 0
		.amdhsa_exception_fp_ieee_div_zero 0
		.amdhsa_exception_fp_ieee_overflow 0
		.amdhsa_exception_fp_ieee_underflow 0
		.amdhsa_exception_fp_ieee_inexact 0
		.amdhsa_exception_int_div_zero 0
	.end_amdhsa_kernel
	.section	.text._ZN7rocprim17ROCPRIM_400000_NS6detail17trampoline_kernelINS0_14default_configENS1_35radix_sort_onesweep_config_selectorIjNS0_10empty_typeEEEZNS1_34radix_sort_onesweep_global_offsetsIS3_Lb1EPKjPS5_mNS0_19identity_decomposerEEE10hipError_tT1_T2_PT3_SF_jT4_jjP12ihipStream_tbEUlT_E0_NS1_11comp_targetILNS1_3genE0ELNS1_11target_archE4294967295ELNS1_3gpuE0ELNS1_3repE0EEENS1_52radix_sort_onesweep_histogram_config_static_selectorELNS0_4arch9wavefront6targetE0EEEvSD_,"axG",@progbits,_ZN7rocprim17ROCPRIM_400000_NS6detail17trampoline_kernelINS0_14default_configENS1_35radix_sort_onesweep_config_selectorIjNS0_10empty_typeEEEZNS1_34radix_sort_onesweep_global_offsetsIS3_Lb1EPKjPS5_mNS0_19identity_decomposerEEE10hipError_tT1_T2_PT3_SF_jT4_jjP12ihipStream_tbEUlT_E0_NS1_11comp_targetILNS1_3genE0ELNS1_11target_archE4294967295ELNS1_3gpuE0ELNS1_3repE0EEENS1_52radix_sort_onesweep_histogram_config_static_selectorELNS0_4arch9wavefront6targetE0EEEvSD_,comdat
.Lfunc_end2616:
	.size	_ZN7rocprim17ROCPRIM_400000_NS6detail17trampoline_kernelINS0_14default_configENS1_35radix_sort_onesweep_config_selectorIjNS0_10empty_typeEEEZNS1_34radix_sort_onesweep_global_offsetsIS3_Lb1EPKjPS5_mNS0_19identity_decomposerEEE10hipError_tT1_T2_PT3_SF_jT4_jjP12ihipStream_tbEUlT_E0_NS1_11comp_targetILNS1_3genE0ELNS1_11target_archE4294967295ELNS1_3gpuE0ELNS1_3repE0EEENS1_52radix_sort_onesweep_histogram_config_static_selectorELNS0_4arch9wavefront6targetE0EEEvSD_, .Lfunc_end2616-_ZN7rocprim17ROCPRIM_400000_NS6detail17trampoline_kernelINS0_14default_configENS1_35radix_sort_onesweep_config_selectorIjNS0_10empty_typeEEEZNS1_34radix_sort_onesweep_global_offsetsIS3_Lb1EPKjPS5_mNS0_19identity_decomposerEEE10hipError_tT1_T2_PT3_SF_jT4_jjP12ihipStream_tbEUlT_E0_NS1_11comp_targetILNS1_3genE0ELNS1_11target_archE4294967295ELNS1_3gpuE0ELNS1_3repE0EEENS1_52radix_sort_onesweep_histogram_config_static_selectorELNS0_4arch9wavefront6targetE0EEEvSD_
                                        ; -- End function
	.set _ZN7rocprim17ROCPRIM_400000_NS6detail17trampoline_kernelINS0_14default_configENS1_35radix_sort_onesweep_config_selectorIjNS0_10empty_typeEEEZNS1_34radix_sort_onesweep_global_offsetsIS3_Lb1EPKjPS5_mNS0_19identity_decomposerEEE10hipError_tT1_T2_PT3_SF_jT4_jjP12ihipStream_tbEUlT_E0_NS1_11comp_targetILNS1_3genE0ELNS1_11target_archE4294967295ELNS1_3gpuE0ELNS1_3repE0EEENS1_52radix_sort_onesweep_histogram_config_static_selectorELNS0_4arch9wavefront6targetE0EEEvSD_.num_vgpr, 14
	.set _ZN7rocprim17ROCPRIM_400000_NS6detail17trampoline_kernelINS0_14default_configENS1_35radix_sort_onesweep_config_selectorIjNS0_10empty_typeEEEZNS1_34radix_sort_onesweep_global_offsetsIS3_Lb1EPKjPS5_mNS0_19identity_decomposerEEE10hipError_tT1_T2_PT3_SF_jT4_jjP12ihipStream_tbEUlT_E0_NS1_11comp_targetILNS1_3genE0ELNS1_11target_archE4294967295ELNS1_3gpuE0ELNS1_3repE0EEENS1_52radix_sort_onesweep_histogram_config_static_selectorELNS0_4arch9wavefront6targetE0EEEvSD_.num_agpr, 0
	.set _ZN7rocprim17ROCPRIM_400000_NS6detail17trampoline_kernelINS0_14default_configENS1_35radix_sort_onesweep_config_selectorIjNS0_10empty_typeEEEZNS1_34radix_sort_onesweep_global_offsetsIS3_Lb1EPKjPS5_mNS0_19identity_decomposerEEE10hipError_tT1_T2_PT3_SF_jT4_jjP12ihipStream_tbEUlT_E0_NS1_11comp_targetILNS1_3genE0ELNS1_11target_archE4294967295ELNS1_3gpuE0ELNS1_3repE0EEENS1_52radix_sort_onesweep_histogram_config_static_selectorELNS0_4arch9wavefront6targetE0EEEvSD_.numbered_sgpr, 8
	.set _ZN7rocprim17ROCPRIM_400000_NS6detail17trampoline_kernelINS0_14default_configENS1_35radix_sort_onesweep_config_selectorIjNS0_10empty_typeEEEZNS1_34radix_sort_onesweep_global_offsetsIS3_Lb1EPKjPS5_mNS0_19identity_decomposerEEE10hipError_tT1_T2_PT3_SF_jT4_jjP12ihipStream_tbEUlT_E0_NS1_11comp_targetILNS1_3genE0ELNS1_11target_archE4294967295ELNS1_3gpuE0ELNS1_3repE0EEENS1_52radix_sort_onesweep_histogram_config_static_selectorELNS0_4arch9wavefront6targetE0EEEvSD_.num_named_barrier, 0
	.set _ZN7rocprim17ROCPRIM_400000_NS6detail17trampoline_kernelINS0_14default_configENS1_35radix_sort_onesweep_config_selectorIjNS0_10empty_typeEEEZNS1_34radix_sort_onesweep_global_offsetsIS3_Lb1EPKjPS5_mNS0_19identity_decomposerEEE10hipError_tT1_T2_PT3_SF_jT4_jjP12ihipStream_tbEUlT_E0_NS1_11comp_targetILNS1_3genE0ELNS1_11target_archE4294967295ELNS1_3gpuE0ELNS1_3repE0EEENS1_52radix_sort_onesweep_histogram_config_static_selectorELNS0_4arch9wavefront6targetE0EEEvSD_.private_seg_size, 0
	.set _ZN7rocprim17ROCPRIM_400000_NS6detail17trampoline_kernelINS0_14default_configENS1_35radix_sort_onesweep_config_selectorIjNS0_10empty_typeEEEZNS1_34radix_sort_onesweep_global_offsetsIS3_Lb1EPKjPS5_mNS0_19identity_decomposerEEE10hipError_tT1_T2_PT3_SF_jT4_jjP12ihipStream_tbEUlT_E0_NS1_11comp_targetILNS1_3genE0ELNS1_11target_archE4294967295ELNS1_3gpuE0ELNS1_3repE0EEENS1_52radix_sort_onesweep_histogram_config_static_selectorELNS0_4arch9wavefront6targetE0EEEvSD_.uses_vcc, 1
	.set _ZN7rocprim17ROCPRIM_400000_NS6detail17trampoline_kernelINS0_14default_configENS1_35radix_sort_onesweep_config_selectorIjNS0_10empty_typeEEEZNS1_34radix_sort_onesweep_global_offsetsIS3_Lb1EPKjPS5_mNS0_19identity_decomposerEEE10hipError_tT1_T2_PT3_SF_jT4_jjP12ihipStream_tbEUlT_E0_NS1_11comp_targetILNS1_3genE0ELNS1_11target_archE4294967295ELNS1_3gpuE0ELNS1_3repE0EEENS1_52radix_sort_onesweep_histogram_config_static_selectorELNS0_4arch9wavefront6targetE0EEEvSD_.uses_flat_scratch, 0
	.set _ZN7rocprim17ROCPRIM_400000_NS6detail17trampoline_kernelINS0_14default_configENS1_35radix_sort_onesweep_config_selectorIjNS0_10empty_typeEEEZNS1_34radix_sort_onesweep_global_offsetsIS3_Lb1EPKjPS5_mNS0_19identity_decomposerEEE10hipError_tT1_T2_PT3_SF_jT4_jjP12ihipStream_tbEUlT_E0_NS1_11comp_targetILNS1_3genE0ELNS1_11target_archE4294967295ELNS1_3gpuE0ELNS1_3repE0EEENS1_52radix_sort_onesweep_histogram_config_static_selectorELNS0_4arch9wavefront6targetE0EEEvSD_.has_dyn_sized_stack, 0
	.set _ZN7rocprim17ROCPRIM_400000_NS6detail17trampoline_kernelINS0_14default_configENS1_35radix_sort_onesweep_config_selectorIjNS0_10empty_typeEEEZNS1_34radix_sort_onesweep_global_offsetsIS3_Lb1EPKjPS5_mNS0_19identity_decomposerEEE10hipError_tT1_T2_PT3_SF_jT4_jjP12ihipStream_tbEUlT_E0_NS1_11comp_targetILNS1_3genE0ELNS1_11target_archE4294967295ELNS1_3gpuE0ELNS1_3repE0EEENS1_52radix_sort_onesweep_histogram_config_static_selectorELNS0_4arch9wavefront6targetE0EEEvSD_.has_recursion, 0
	.set _ZN7rocprim17ROCPRIM_400000_NS6detail17trampoline_kernelINS0_14default_configENS1_35radix_sort_onesweep_config_selectorIjNS0_10empty_typeEEEZNS1_34radix_sort_onesweep_global_offsetsIS3_Lb1EPKjPS5_mNS0_19identity_decomposerEEE10hipError_tT1_T2_PT3_SF_jT4_jjP12ihipStream_tbEUlT_E0_NS1_11comp_targetILNS1_3genE0ELNS1_11target_archE4294967295ELNS1_3gpuE0ELNS1_3repE0EEENS1_52radix_sort_onesweep_histogram_config_static_selectorELNS0_4arch9wavefront6targetE0EEEvSD_.has_indirect_call, 0
	.section	.AMDGPU.csdata,"",@progbits
; Kernel info:
; codeLenInByte = 896
; TotalNumSgprs: 10
; NumVgprs: 14
; ScratchSize: 0
; MemoryBound: 0
; FloatMode: 240
; IeeeMode: 1
; LDSByteSize: 128 bytes/workgroup (compile time only)
; SGPRBlocks: 0
; VGPRBlocks: 0
; NumSGPRsForWavesPerEU: 10
; NumVGPRsForWavesPerEU: 14
; NamedBarCnt: 0
; Occupancy: 16
; WaveLimiterHint : 0
; COMPUTE_PGM_RSRC2:SCRATCH_EN: 0
; COMPUTE_PGM_RSRC2:USER_SGPR: 2
; COMPUTE_PGM_RSRC2:TRAP_HANDLER: 0
; COMPUTE_PGM_RSRC2:TGID_X_EN: 1
; COMPUTE_PGM_RSRC2:TGID_Y_EN: 0
; COMPUTE_PGM_RSRC2:TGID_Z_EN: 0
; COMPUTE_PGM_RSRC2:TIDIG_COMP_CNT: 0
	.section	.text._ZN7rocprim17ROCPRIM_400000_NS6detail17trampoline_kernelINS0_14default_configENS1_35radix_sort_onesweep_config_selectorIjNS0_10empty_typeEEEZNS1_34radix_sort_onesweep_global_offsetsIS3_Lb1EPKjPS5_mNS0_19identity_decomposerEEE10hipError_tT1_T2_PT3_SF_jT4_jjP12ihipStream_tbEUlT_E0_NS1_11comp_targetILNS1_3genE6ELNS1_11target_archE950ELNS1_3gpuE13ELNS1_3repE0EEENS1_52radix_sort_onesweep_histogram_config_static_selectorELNS0_4arch9wavefront6targetE0EEEvSD_,"axG",@progbits,_ZN7rocprim17ROCPRIM_400000_NS6detail17trampoline_kernelINS0_14default_configENS1_35radix_sort_onesweep_config_selectorIjNS0_10empty_typeEEEZNS1_34radix_sort_onesweep_global_offsetsIS3_Lb1EPKjPS5_mNS0_19identity_decomposerEEE10hipError_tT1_T2_PT3_SF_jT4_jjP12ihipStream_tbEUlT_E0_NS1_11comp_targetILNS1_3genE6ELNS1_11target_archE950ELNS1_3gpuE13ELNS1_3repE0EEENS1_52radix_sort_onesweep_histogram_config_static_selectorELNS0_4arch9wavefront6targetE0EEEvSD_,comdat
	.protected	_ZN7rocprim17ROCPRIM_400000_NS6detail17trampoline_kernelINS0_14default_configENS1_35radix_sort_onesweep_config_selectorIjNS0_10empty_typeEEEZNS1_34radix_sort_onesweep_global_offsetsIS3_Lb1EPKjPS5_mNS0_19identity_decomposerEEE10hipError_tT1_T2_PT3_SF_jT4_jjP12ihipStream_tbEUlT_E0_NS1_11comp_targetILNS1_3genE6ELNS1_11target_archE950ELNS1_3gpuE13ELNS1_3repE0EEENS1_52radix_sort_onesweep_histogram_config_static_selectorELNS0_4arch9wavefront6targetE0EEEvSD_ ; -- Begin function _ZN7rocprim17ROCPRIM_400000_NS6detail17trampoline_kernelINS0_14default_configENS1_35radix_sort_onesweep_config_selectorIjNS0_10empty_typeEEEZNS1_34radix_sort_onesweep_global_offsetsIS3_Lb1EPKjPS5_mNS0_19identity_decomposerEEE10hipError_tT1_T2_PT3_SF_jT4_jjP12ihipStream_tbEUlT_E0_NS1_11comp_targetILNS1_3genE6ELNS1_11target_archE950ELNS1_3gpuE13ELNS1_3repE0EEENS1_52radix_sort_onesweep_histogram_config_static_selectorELNS0_4arch9wavefront6targetE0EEEvSD_
	.globl	_ZN7rocprim17ROCPRIM_400000_NS6detail17trampoline_kernelINS0_14default_configENS1_35radix_sort_onesweep_config_selectorIjNS0_10empty_typeEEEZNS1_34radix_sort_onesweep_global_offsetsIS3_Lb1EPKjPS5_mNS0_19identity_decomposerEEE10hipError_tT1_T2_PT3_SF_jT4_jjP12ihipStream_tbEUlT_E0_NS1_11comp_targetILNS1_3genE6ELNS1_11target_archE950ELNS1_3gpuE13ELNS1_3repE0EEENS1_52radix_sort_onesweep_histogram_config_static_selectorELNS0_4arch9wavefront6targetE0EEEvSD_
	.p2align	8
	.type	_ZN7rocprim17ROCPRIM_400000_NS6detail17trampoline_kernelINS0_14default_configENS1_35radix_sort_onesweep_config_selectorIjNS0_10empty_typeEEEZNS1_34radix_sort_onesweep_global_offsetsIS3_Lb1EPKjPS5_mNS0_19identity_decomposerEEE10hipError_tT1_T2_PT3_SF_jT4_jjP12ihipStream_tbEUlT_E0_NS1_11comp_targetILNS1_3genE6ELNS1_11target_archE950ELNS1_3gpuE13ELNS1_3repE0EEENS1_52radix_sort_onesweep_histogram_config_static_selectorELNS0_4arch9wavefront6targetE0EEEvSD_,@function
_ZN7rocprim17ROCPRIM_400000_NS6detail17trampoline_kernelINS0_14default_configENS1_35radix_sort_onesweep_config_selectorIjNS0_10empty_typeEEEZNS1_34radix_sort_onesweep_global_offsetsIS3_Lb1EPKjPS5_mNS0_19identity_decomposerEEE10hipError_tT1_T2_PT3_SF_jT4_jjP12ihipStream_tbEUlT_E0_NS1_11comp_targetILNS1_3genE6ELNS1_11target_archE950ELNS1_3gpuE13ELNS1_3repE0EEENS1_52radix_sort_onesweep_histogram_config_static_selectorELNS0_4arch9wavefront6targetE0EEEvSD_: ; @_ZN7rocprim17ROCPRIM_400000_NS6detail17trampoline_kernelINS0_14default_configENS1_35radix_sort_onesweep_config_selectorIjNS0_10empty_typeEEEZNS1_34radix_sort_onesweep_global_offsetsIS3_Lb1EPKjPS5_mNS0_19identity_decomposerEEE10hipError_tT1_T2_PT3_SF_jT4_jjP12ihipStream_tbEUlT_E0_NS1_11comp_targetILNS1_3genE6ELNS1_11target_archE950ELNS1_3gpuE13ELNS1_3repE0EEENS1_52radix_sort_onesweep_histogram_config_static_selectorELNS0_4arch9wavefront6targetE0EEEvSD_
; %bb.0:
	.section	.rodata,"a",@progbits
	.p2align	6, 0x0
	.amdhsa_kernel _ZN7rocprim17ROCPRIM_400000_NS6detail17trampoline_kernelINS0_14default_configENS1_35radix_sort_onesweep_config_selectorIjNS0_10empty_typeEEEZNS1_34radix_sort_onesweep_global_offsetsIS3_Lb1EPKjPS5_mNS0_19identity_decomposerEEE10hipError_tT1_T2_PT3_SF_jT4_jjP12ihipStream_tbEUlT_E0_NS1_11comp_targetILNS1_3genE6ELNS1_11target_archE950ELNS1_3gpuE13ELNS1_3repE0EEENS1_52radix_sort_onesweep_histogram_config_static_selectorELNS0_4arch9wavefront6targetE0EEEvSD_
		.amdhsa_group_segment_fixed_size 0
		.amdhsa_private_segment_fixed_size 0
		.amdhsa_kernarg_size 8
		.amdhsa_user_sgpr_count 2
		.amdhsa_user_sgpr_dispatch_ptr 0
		.amdhsa_user_sgpr_queue_ptr 0
		.amdhsa_user_sgpr_kernarg_segment_ptr 1
		.amdhsa_user_sgpr_dispatch_id 0
		.amdhsa_user_sgpr_kernarg_preload_length 0
		.amdhsa_user_sgpr_kernarg_preload_offset 0
		.amdhsa_user_sgpr_private_segment_size 0
		.amdhsa_wavefront_size32 1
		.amdhsa_uses_dynamic_stack 0
		.amdhsa_enable_private_segment 0
		.amdhsa_system_sgpr_workgroup_id_x 1
		.amdhsa_system_sgpr_workgroup_id_y 0
		.amdhsa_system_sgpr_workgroup_id_z 0
		.amdhsa_system_sgpr_workgroup_info 0
		.amdhsa_system_vgpr_workitem_id 0
		.amdhsa_next_free_vgpr 1
		.amdhsa_next_free_sgpr 1
		.amdhsa_named_barrier_count 0
		.amdhsa_reserve_vcc 0
		.amdhsa_float_round_mode_32 0
		.amdhsa_float_round_mode_16_64 0
		.amdhsa_float_denorm_mode_32 3
		.amdhsa_float_denorm_mode_16_64 3
		.amdhsa_fp16_overflow 0
		.amdhsa_memory_ordered 1
		.amdhsa_forward_progress 1
		.amdhsa_inst_pref_size 0
		.amdhsa_round_robin_scheduling 0
		.amdhsa_exception_fp_ieee_invalid_op 0
		.amdhsa_exception_fp_denorm_src 0
		.amdhsa_exception_fp_ieee_div_zero 0
		.amdhsa_exception_fp_ieee_overflow 0
		.amdhsa_exception_fp_ieee_underflow 0
		.amdhsa_exception_fp_ieee_inexact 0
		.amdhsa_exception_int_div_zero 0
	.end_amdhsa_kernel
	.section	.text._ZN7rocprim17ROCPRIM_400000_NS6detail17trampoline_kernelINS0_14default_configENS1_35radix_sort_onesweep_config_selectorIjNS0_10empty_typeEEEZNS1_34radix_sort_onesweep_global_offsetsIS3_Lb1EPKjPS5_mNS0_19identity_decomposerEEE10hipError_tT1_T2_PT3_SF_jT4_jjP12ihipStream_tbEUlT_E0_NS1_11comp_targetILNS1_3genE6ELNS1_11target_archE950ELNS1_3gpuE13ELNS1_3repE0EEENS1_52radix_sort_onesweep_histogram_config_static_selectorELNS0_4arch9wavefront6targetE0EEEvSD_,"axG",@progbits,_ZN7rocprim17ROCPRIM_400000_NS6detail17trampoline_kernelINS0_14default_configENS1_35radix_sort_onesweep_config_selectorIjNS0_10empty_typeEEEZNS1_34radix_sort_onesweep_global_offsetsIS3_Lb1EPKjPS5_mNS0_19identity_decomposerEEE10hipError_tT1_T2_PT3_SF_jT4_jjP12ihipStream_tbEUlT_E0_NS1_11comp_targetILNS1_3genE6ELNS1_11target_archE950ELNS1_3gpuE13ELNS1_3repE0EEENS1_52radix_sort_onesweep_histogram_config_static_selectorELNS0_4arch9wavefront6targetE0EEEvSD_,comdat
.Lfunc_end2617:
	.size	_ZN7rocprim17ROCPRIM_400000_NS6detail17trampoline_kernelINS0_14default_configENS1_35radix_sort_onesweep_config_selectorIjNS0_10empty_typeEEEZNS1_34radix_sort_onesweep_global_offsetsIS3_Lb1EPKjPS5_mNS0_19identity_decomposerEEE10hipError_tT1_T2_PT3_SF_jT4_jjP12ihipStream_tbEUlT_E0_NS1_11comp_targetILNS1_3genE6ELNS1_11target_archE950ELNS1_3gpuE13ELNS1_3repE0EEENS1_52radix_sort_onesweep_histogram_config_static_selectorELNS0_4arch9wavefront6targetE0EEEvSD_, .Lfunc_end2617-_ZN7rocprim17ROCPRIM_400000_NS6detail17trampoline_kernelINS0_14default_configENS1_35radix_sort_onesweep_config_selectorIjNS0_10empty_typeEEEZNS1_34radix_sort_onesweep_global_offsetsIS3_Lb1EPKjPS5_mNS0_19identity_decomposerEEE10hipError_tT1_T2_PT3_SF_jT4_jjP12ihipStream_tbEUlT_E0_NS1_11comp_targetILNS1_3genE6ELNS1_11target_archE950ELNS1_3gpuE13ELNS1_3repE0EEENS1_52radix_sort_onesweep_histogram_config_static_selectorELNS0_4arch9wavefront6targetE0EEEvSD_
                                        ; -- End function
	.set _ZN7rocprim17ROCPRIM_400000_NS6detail17trampoline_kernelINS0_14default_configENS1_35radix_sort_onesweep_config_selectorIjNS0_10empty_typeEEEZNS1_34radix_sort_onesweep_global_offsetsIS3_Lb1EPKjPS5_mNS0_19identity_decomposerEEE10hipError_tT1_T2_PT3_SF_jT4_jjP12ihipStream_tbEUlT_E0_NS1_11comp_targetILNS1_3genE6ELNS1_11target_archE950ELNS1_3gpuE13ELNS1_3repE0EEENS1_52radix_sort_onesweep_histogram_config_static_selectorELNS0_4arch9wavefront6targetE0EEEvSD_.num_vgpr, 0
	.set _ZN7rocprim17ROCPRIM_400000_NS6detail17trampoline_kernelINS0_14default_configENS1_35radix_sort_onesweep_config_selectorIjNS0_10empty_typeEEEZNS1_34radix_sort_onesweep_global_offsetsIS3_Lb1EPKjPS5_mNS0_19identity_decomposerEEE10hipError_tT1_T2_PT3_SF_jT4_jjP12ihipStream_tbEUlT_E0_NS1_11comp_targetILNS1_3genE6ELNS1_11target_archE950ELNS1_3gpuE13ELNS1_3repE0EEENS1_52radix_sort_onesweep_histogram_config_static_selectorELNS0_4arch9wavefront6targetE0EEEvSD_.num_agpr, 0
	.set _ZN7rocprim17ROCPRIM_400000_NS6detail17trampoline_kernelINS0_14default_configENS1_35radix_sort_onesweep_config_selectorIjNS0_10empty_typeEEEZNS1_34radix_sort_onesweep_global_offsetsIS3_Lb1EPKjPS5_mNS0_19identity_decomposerEEE10hipError_tT1_T2_PT3_SF_jT4_jjP12ihipStream_tbEUlT_E0_NS1_11comp_targetILNS1_3genE6ELNS1_11target_archE950ELNS1_3gpuE13ELNS1_3repE0EEENS1_52radix_sort_onesweep_histogram_config_static_selectorELNS0_4arch9wavefront6targetE0EEEvSD_.numbered_sgpr, 0
	.set _ZN7rocprim17ROCPRIM_400000_NS6detail17trampoline_kernelINS0_14default_configENS1_35radix_sort_onesweep_config_selectorIjNS0_10empty_typeEEEZNS1_34radix_sort_onesweep_global_offsetsIS3_Lb1EPKjPS5_mNS0_19identity_decomposerEEE10hipError_tT1_T2_PT3_SF_jT4_jjP12ihipStream_tbEUlT_E0_NS1_11comp_targetILNS1_3genE6ELNS1_11target_archE950ELNS1_3gpuE13ELNS1_3repE0EEENS1_52radix_sort_onesweep_histogram_config_static_selectorELNS0_4arch9wavefront6targetE0EEEvSD_.num_named_barrier, 0
	.set _ZN7rocprim17ROCPRIM_400000_NS6detail17trampoline_kernelINS0_14default_configENS1_35radix_sort_onesweep_config_selectorIjNS0_10empty_typeEEEZNS1_34radix_sort_onesweep_global_offsetsIS3_Lb1EPKjPS5_mNS0_19identity_decomposerEEE10hipError_tT1_T2_PT3_SF_jT4_jjP12ihipStream_tbEUlT_E0_NS1_11comp_targetILNS1_3genE6ELNS1_11target_archE950ELNS1_3gpuE13ELNS1_3repE0EEENS1_52radix_sort_onesweep_histogram_config_static_selectorELNS0_4arch9wavefront6targetE0EEEvSD_.private_seg_size, 0
	.set _ZN7rocprim17ROCPRIM_400000_NS6detail17trampoline_kernelINS0_14default_configENS1_35radix_sort_onesweep_config_selectorIjNS0_10empty_typeEEEZNS1_34radix_sort_onesweep_global_offsetsIS3_Lb1EPKjPS5_mNS0_19identity_decomposerEEE10hipError_tT1_T2_PT3_SF_jT4_jjP12ihipStream_tbEUlT_E0_NS1_11comp_targetILNS1_3genE6ELNS1_11target_archE950ELNS1_3gpuE13ELNS1_3repE0EEENS1_52radix_sort_onesweep_histogram_config_static_selectorELNS0_4arch9wavefront6targetE0EEEvSD_.uses_vcc, 0
	.set _ZN7rocprim17ROCPRIM_400000_NS6detail17trampoline_kernelINS0_14default_configENS1_35radix_sort_onesweep_config_selectorIjNS0_10empty_typeEEEZNS1_34radix_sort_onesweep_global_offsetsIS3_Lb1EPKjPS5_mNS0_19identity_decomposerEEE10hipError_tT1_T2_PT3_SF_jT4_jjP12ihipStream_tbEUlT_E0_NS1_11comp_targetILNS1_3genE6ELNS1_11target_archE950ELNS1_3gpuE13ELNS1_3repE0EEENS1_52radix_sort_onesweep_histogram_config_static_selectorELNS0_4arch9wavefront6targetE0EEEvSD_.uses_flat_scratch, 0
	.set _ZN7rocprim17ROCPRIM_400000_NS6detail17trampoline_kernelINS0_14default_configENS1_35radix_sort_onesweep_config_selectorIjNS0_10empty_typeEEEZNS1_34radix_sort_onesweep_global_offsetsIS3_Lb1EPKjPS5_mNS0_19identity_decomposerEEE10hipError_tT1_T2_PT3_SF_jT4_jjP12ihipStream_tbEUlT_E0_NS1_11comp_targetILNS1_3genE6ELNS1_11target_archE950ELNS1_3gpuE13ELNS1_3repE0EEENS1_52radix_sort_onesweep_histogram_config_static_selectorELNS0_4arch9wavefront6targetE0EEEvSD_.has_dyn_sized_stack, 0
	.set _ZN7rocprim17ROCPRIM_400000_NS6detail17trampoline_kernelINS0_14default_configENS1_35radix_sort_onesweep_config_selectorIjNS0_10empty_typeEEEZNS1_34radix_sort_onesweep_global_offsetsIS3_Lb1EPKjPS5_mNS0_19identity_decomposerEEE10hipError_tT1_T2_PT3_SF_jT4_jjP12ihipStream_tbEUlT_E0_NS1_11comp_targetILNS1_3genE6ELNS1_11target_archE950ELNS1_3gpuE13ELNS1_3repE0EEENS1_52radix_sort_onesweep_histogram_config_static_selectorELNS0_4arch9wavefront6targetE0EEEvSD_.has_recursion, 0
	.set _ZN7rocprim17ROCPRIM_400000_NS6detail17trampoline_kernelINS0_14default_configENS1_35radix_sort_onesweep_config_selectorIjNS0_10empty_typeEEEZNS1_34radix_sort_onesweep_global_offsetsIS3_Lb1EPKjPS5_mNS0_19identity_decomposerEEE10hipError_tT1_T2_PT3_SF_jT4_jjP12ihipStream_tbEUlT_E0_NS1_11comp_targetILNS1_3genE6ELNS1_11target_archE950ELNS1_3gpuE13ELNS1_3repE0EEENS1_52radix_sort_onesweep_histogram_config_static_selectorELNS0_4arch9wavefront6targetE0EEEvSD_.has_indirect_call, 0
	.section	.AMDGPU.csdata,"",@progbits
; Kernel info:
; codeLenInByte = 0
; TotalNumSgprs: 0
; NumVgprs: 0
; ScratchSize: 0
; MemoryBound: 0
; FloatMode: 240
; IeeeMode: 1
; LDSByteSize: 0 bytes/workgroup (compile time only)
; SGPRBlocks: 0
; VGPRBlocks: 0
; NumSGPRsForWavesPerEU: 1
; NumVGPRsForWavesPerEU: 1
; NamedBarCnt: 0
; Occupancy: 16
; WaveLimiterHint : 0
; COMPUTE_PGM_RSRC2:SCRATCH_EN: 0
; COMPUTE_PGM_RSRC2:USER_SGPR: 2
; COMPUTE_PGM_RSRC2:TRAP_HANDLER: 0
; COMPUTE_PGM_RSRC2:TGID_X_EN: 1
; COMPUTE_PGM_RSRC2:TGID_Y_EN: 0
; COMPUTE_PGM_RSRC2:TGID_Z_EN: 0
; COMPUTE_PGM_RSRC2:TIDIG_COMP_CNT: 0
	.section	.text._ZN7rocprim17ROCPRIM_400000_NS6detail17trampoline_kernelINS0_14default_configENS1_35radix_sort_onesweep_config_selectorIjNS0_10empty_typeEEEZNS1_34radix_sort_onesweep_global_offsetsIS3_Lb1EPKjPS5_mNS0_19identity_decomposerEEE10hipError_tT1_T2_PT3_SF_jT4_jjP12ihipStream_tbEUlT_E0_NS1_11comp_targetILNS1_3genE5ELNS1_11target_archE942ELNS1_3gpuE9ELNS1_3repE0EEENS1_52radix_sort_onesweep_histogram_config_static_selectorELNS0_4arch9wavefront6targetE0EEEvSD_,"axG",@progbits,_ZN7rocprim17ROCPRIM_400000_NS6detail17trampoline_kernelINS0_14default_configENS1_35radix_sort_onesweep_config_selectorIjNS0_10empty_typeEEEZNS1_34radix_sort_onesweep_global_offsetsIS3_Lb1EPKjPS5_mNS0_19identity_decomposerEEE10hipError_tT1_T2_PT3_SF_jT4_jjP12ihipStream_tbEUlT_E0_NS1_11comp_targetILNS1_3genE5ELNS1_11target_archE942ELNS1_3gpuE9ELNS1_3repE0EEENS1_52radix_sort_onesweep_histogram_config_static_selectorELNS0_4arch9wavefront6targetE0EEEvSD_,comdat
	.protected	_ZN7rocprim17ROCPRIM_400000_NS6detail17trampoline_kernelINS0_14default_configENS1_35radix_sort_onesweep_config_selectorIjNS0_10empty_typeEEEZNS1_34radix_sort_onesweep_global_offsetsIS3_Lb1EPKjPS5_mNS0_19identity_decomposerEEE10hipError_tT1_T2_PT3_SF_jT4_jjP12ihipStream_tbEUlT_E0_NS1_11comp_targetILNS1_3genE5ELNS1_11target_archE942ELNS1_3gpuE9ELNS1_3repE0EEENS1_52radix_sort_onesweep_histogram_config_static_selectorELNS0_4arch9wavefront6targetE0EEEvSD_ ; -- Begin function _ZN7rocprim17ROCPRIM_400000_NS6detail17trampoline_kernelINS0_14default_configENS1_35radix_sort_onesweep_config_selectorIjNS0_10empty_typeEEEZNS1_34radix_sort_onesweep_global_offsetsIS3_Lb1EPKjPS5_mNS0_19identity_decomposerEEE10hipError_tT1_T2_PT3_SF_jT4_jjP12ihipStream_tbEUlT_E0_NS1_11comp_targetILNS1_3genE5ELNS1_11target_archE942ELNS1_3gpuE9ELNS1_3repE0EEENS1_52radix_sort_onesweep_histogram_config_static_selectorELNS0_4arch9wavefront6targetE0EEEvSD_
	.globl	_ZN7rocprim17ROCPRIM_400000_NS6detail17trampoline_kernelINS0_14default_configENS1_35radix_sort_onesweep_config_selectorIjNS0_10empty_typeEEEZNS1_34radix_sort_onesweep_global_offsetsIS3_Lb1EPKjPS5_mNS0_19identity_decomposerEEE10hipError_tT1_T2_PT3_SF_jT4_jjP12ihipStream_tbEUlT_E0_NS1_11comp_targetILNS1_3genE5ELNS1_11target_archE942ELNS1_3gpuE9ELNS1_3repE0EEENS1_52radix_sort_onesweep_histogram_config_static_selectorELNS0_4arch9wavefront6targetE0EEEvSD_
	.p2align	8
	.type	_ZN7rocprim17ROCPRIM_400000_NS6detail17trampoline_kernelINS0_14default_configENS1_35radix_sort_onesweep_config_selectorIjNS0_10empty_typeEEEZNS1_34radix_sort_onesweep_global_offsetsIS3_Lb1EPKjPS5_mNS0_19identity_decomposerEEE10hipError_tT1_T2_PT3_SF_jT4_jjP12ihipStream_tbEUlT_E0_NS1_11comp_targetILNS1_3genE5ELNS1_11target_archE942ELNS1_3gpuE9ELNS1_3repE0EEENS1_52radix_sort_onesweep_histogram_config_static_selectorELNS0_4arch9wavefront6targetE0EEEvSD_,@function
_ZN7rocprim17ROCPRIM_400000_NS6detail17trampoline_kernelINS0_14default_configENS1_35radix_sort_onesweep_config_selectorIjNS0_10empty_typeEEEZNS1_34radix_sort_onesweep_global_offsetsIS3_Lb1EPKjPS5_mNS0_19identity_decomposerEEE10hipError_tT1_T2_PT3_SF_jT4_jjP12ihipStream_tbEUlT_E0_NS1_11comp_targetILNS1_3genE5ELNS1_11target_archE942ELNS1_3gpuE9ELNS1_3repE0EEENS1_52radix_sort_onesweep_histogram_config_static_selectorELNS0_4arch9wavefront6targetE0EEEvSD_: ; @_ZN7rocprim17ROCPRIM_400000_NS6detail17trampoline_kernelINS0_14default_configENS1_35radix_sort_onesweep_config_selectorIjNS0_10empty_typeEEEZNS1_34radix_sort_onesweep_global_offsetsIS3_Lb1EPKjPS5_mNS0_19identity_decomposerEEE10hipError_tT1_T2_PT3_SF_jT4_jjP12ihipStream_tbEUlT_E0_NS1_11comp_targetILNS1_3genE5ELNS1_11target_archE942ELNS1_3gpuE9ELNS1_3repE0EEENS1_52radix_sort_onesweep_histogram_config_static_selectorELNS0_4arch9wavefront6targetE0EEEvSD_
; %bb.0:
	.section	.rodata,"a",@progbits
	.p2align	6, 0x0
	.amdhsa_kernel _ZN7rocprim17ROCPRIM_400000_NS6detail17trampoline_kernelINS0_14default_configENS1_35radix_sort_onesweep_config_selectorIjNS0_10empty_typeEEEZNS1_34radix_sort_onesweep_global_offsetsIS3_Lb1EPKjPS5_mNS0_19identity_decomposerEEE10hipError_tT1_T2_PT3_SF_jT4_jjP12ihipStream_tbEUlT_E0_NS1_11comp_targetILNS1_3genE5ELNS1_11target_archE942ELNS1_3gpuE9ELNS1_3repE0EEENS1_52radix_sort_onesweep_histogram_config_static_selectorELNS0_4arch9wavefront6targetE0EEEvSD_
		.amdhsa_group_segment_fixed_size 0
		.amdhsa_private_segment_fixed_size 0
		.amdhsa_kernarg_size 8
		.amdhsa_user_sgpr_count 2
		.amdhsa_user_sgpr_dispatch_ptr 0
		.amdhsa_user_sgpr_queue_ptr 0
		.amdhsa_user_sgpr_kernarg_segment_ptr 1
		.amdhsa_user_sgpr_dispatch_id 0
		.amdhsa_user_sgpr_kernarg_preload_length 0
		.amdhsa_user_sgpr_kernarg_preload_offset 0
		.amdhsa_user_sgpr_private_segment_size 0
		.amdhsa_wavefront_size32 1
		.amdhsa_uses_dynamic_stack 0
		.amdhsa_enable_private_segment 0
		.amdhsa_system_sgpr_workgroup_id_x 1
		.amdhsa_system_sgpr_workgroup_id_y 0
		.amdhsa_system_sgpr_workgroup_id_z 0
		.amdhsa_system_sgpr_workgroup_info 0
		.amdhsa_system_vgpr_workitem_id 0
		.amdhsa_next_free_vgpr 1
		.amdhsa_next_free_sgpr 1
		.amdhsa_named_barrier_count 0
		.amdhsa_reserve_vcc 0
		.amdhsa_float_round_mode_32 0
		.amdhsa_float_round_mode_16_64 0
		.amdhsa_float_denorm_mode_32 3
		.amdhsa_float_denorm_mode_16_64 3
		.amdhsa_fp16_overflow 0
		.amdhsa_memory_ordered 1
		.amdhsa_forward_progress 1
		.amdhsa_inst_pref_size 0
		.amdhsa_round_robin_scheduling 0
		.amdhsa_exception_fp_ieee_invalid_op 0
		.amdhsa_exception_fp_denorm_src 0
		.amdhsa_exception_fp_ieee_div_zero 0
		.amdhsa_exception_fp_ieee_overflow 0
		.amdhsa_exception_fp_ieee_underflow 0
		.amdhsa_exception_fp_ieee_inexact 0
		.amdhsa_exception_int_div_zero 0
	.end_amdhsa_kernel
	.section	.text._ZN7rocprim17ROCPRIM_400000_NS6detail17trampoline_kernelINS0_14default_configENS1_35radix_sort_onesweep_config_selectorIjNS0_10empty_typeEEEZNS1_34radix_sort_onesweep_global_offsetsIS3_Lb1EPKjPS5_mNS0_19identity_decomposerEEE10hipError_tT1_T2_PT3_SF_jT4_jjP12ihipStream_tbEUlT_E0_NS1_11comp_targetILNS1_3genE5ELNS1_11target_archE942ELNS1_3gpuE9ELNS1_3repE0EEENS1_52radix_sort_onesweep_histogram_config_static_selectorELNS0_4arch9wavefront6targetE0EEEvSD_,"axG",@progbits,_ZN7rocprim17ROCPRIM_400000_NS6detail17trampoline_kernelINS0_14default_configENS1_35radix_sort_onesweep_config_selectorIjNS0_10empty_typeEEEZNS1_34radix_sort_onesweep_global_offsetsIS3_Lb1EPKjPS5_mNS0_19identity_decomposerEEE10hipError_tT1_T2_PT3_SF_jT4_jjP12ihipStream_tbEUlT_E0_NS1_11comp_targetILNS1_3genE5ELNS1_11target_archE942ELNS1_3gpuE9ELNS1_3repE0EEENS1_52radix_sort_onesweep_histogram_config_static_selectorELNS0_4arch9wavefront6targetE0EEEvSD_,comdat
.Lfunc_end2618:
	.size	_ZN7rocprim17ROCPRIM_400000_NS6detail17trampoline_kernelINS0_14default_configENS1_35radix_sort_onesweep_config_selectorIjNS0_10empty_typeEEEZNS1_34radix_sort_onesweep_global_offsetsIS3_Lb1EPKjPS5_mNS0_19identity_decomposerEEE10hipError_tT1_T2_PT3_SF_jT4_jjP12ihipStream_tbEUlT_E0_NS1_11comp_targetILNS1_3genE5ELNS1_11target_archE942ELNS1_3gpuE9ELNS1_3repE0EEENS1_52radix_sort_onesweep_histogram_config_static_selectorELNS0_4arch9wavefront6targetE0EEEvSD_, .Lfunc_end2618-_ZN7rocprim17ROCPRIM_400000_NS6detail17trampoline_kernelINS0_14default_configENS1_35radix_sort_onesweep_config_selectorIjNS0_10empty_typeEEEZNS1_34radix_sort_onesweep_global_offsetsIS3_Lb1EPKjPS5_mNS0_19identity_decomposerEEE10hipError_tT1_T2_PT3_SF_jT4_jjP12ihipStream_tbEUlT_E0_NS1_11comp_targetILNS1_3genE5ELNS1_11target_archE942ELNS1_3gpuE9ELNS1_3repE0EEENS1_52radix_sort_onesweep_histogram_config_static_selectorELNS0_4arch9wavefront6targetE0EEEvSD_
                                        ; -- End function
	.set _ZN7rocprim17ROCPRIM_400000_NS6detail17trampoline_kernelINS0_14default_configENS1_35radix_sort_onesweep_config_selectorIjNS0_10empty_typeEEEZNS1_34radix_sort_onesweep_global_offsetsIS3_Lb1EPKjPS5_mNS0_19identity_decomposerEEE10hipError_tT1_T2_PT3_SF_jT4_jjP12ihipStream_tbEUlT_E0_NS1_11comp_targetILNS1_3genE5ELNS1_11target_archE942ELNS1_3gpuE9ELNS1_3repE0EEENS1_52radix_sort_onesweep_histogram_config_static_selectorELNS0_4arch9wavefront6targetE0EEEvSD_.num_vgpr, 0
	.set _ZN7rocprim17ROCPRIM_400000_NS6detail17trampoline_kernelINS0_14default_configENS1_35radix_sort_onesweep_config_selectorIjNS0_10empty_typeEEEZNS1_34radix_sort_onesweep_global_offsetsIS3_Lb1EPKjPS5_mNS0_19identity_decomposerEEE10hipError_tT1_T2_PT3_SF_jT4_jjP12ihipStream_tbEUlT_E0_NS1_11comp_targetILNS1_3genE5ELNS1_11target_archE942ELNS1_3gpuE9ELNS1_3repE0EEENS1_52radix_sort_onesweep_histogram_config_static_selectorELNS0_4arch9wavefront6targetE0EEEvSD_.num_agpr, 0
	.set _ZN7rocprim17ROCPRIM_400000_NS6detail17trampoline_kernelINS0_14default_configENS1_35radix_sort_onesweep_config_selectorIjNS0_10empty_typeEEEZNS1_34radix_sort_onesweep_global_offsetsIS3_Lb1EPKjPS5_mNS0_19identity_decomposerEEE10hipError_tT1_T2_PT3_SF_jT4_jjP12ihipStream_tbEUlT_E0_NS1_11comp_targetILNS1_3genE5ELNS1_11target_archE942ELNS1_3gpuE9ELNS1_3repE0EEENS1_52radix_sort_onesweep_histogram_config_static_selectorELNS0_4arch9wavefront6targetE0EEEvSD_.numbered_sgpr, 0
	.set _ZN7rocprim17ROCPRIM_400000_NS6detail17trampoline_kernelINS0_14default_configENS1_35radix_sort_onesweep_config_selectorIjNS0_10empty_typeEEEZNS1_34radix_sort_onesweep_global_offsetsIS3_Lb1EPKjPS5_mNS0_19identity_decomposerEEE10hipError_tT1_T2_PT3_SF_jT4_jjP12ihipStream_tbEUlT_E0_NS1_11comp_targetILNS1_3genE5ELNS1_11target_archE942ELNS1_3gpuE9ELNS1_3repE0EEENS1_52radix_sort_onesweep_histogram_config_static_selectorELNS0_4arch9wavefront6targetE0EEEvSD_.num_named_barrier, 0
	.set _ZN7rocprim17ROCPRIM_400000_NS6detail17trampoline_kernelINS0_14default_configENS1_35radix_sort_onesweep_config_selectorIjNS0_10empty_typeEEEZNS1_34radix_sort_onesweep_global_offsetsIS3_Lb1EPKjPS5_mNS0_19identity_decomposerEEE10hipError_tT1_T2_PT3_SF_jT4_jjP12ihipStream_tbEUlT_E0_NS1_11comp_targetILNS1_3genE5ELNS1_11target_archE942ELNS1_3gpuE9ELNS1_3repE0EEENS1_52radix_sort_onesweep_histogram_config_static_selectorELNS0_4arch9wavefront6targetE0EEEvSD_.private_seg_size, 0
	.set _ZN7rocprim17ROCPRIM_400000_NS6detail17trampoline_kernelINS0_14default_configENS1_35radix_sort_onesweep_config_selectorIjNS0_10empty_typeEEEZNS1_34radix_sort_onesweep_global_offsetsIS3_Lb1EPKjPS5_mNS0_19identity_decomposerEEE10hipError_tT1_T2_PT3_SF_jT4_jjP12ihipStream_tbEUlT_E0_NS1_11comp_targetILNS1_3genE5ELNS1_11target_archE942ELNS1_3gpuE9ELNS1_3repE0EEENS1_52radix_sort_onesweep_histogram_config_static_selectorELNS0_4arch9wavefront6targetE0EEEvSD_.uses_vcc, 0
	.set _ZN7rocprim17ROCPRIM_400000_NS6detail17trampoline_kernelINS0_14default_configENS1_35radix_sort_onesweep_config_selectorIjNS0_10empty_typeEEEZNS1_34radix_sort_onesweep_global_offsetsIS3_Lb1EPKjPS5_mNS0_19identity_decomposerEEE10hipError_tT1_T2_PT3_SF_jT4_jjP12ihipStream_tbEUlT_E0_NS1_11comp_targetILNS1_3genE5ELNS1_11target_archE942ELNS1_3gpuE9ELNS1_3repE0EEENS1_52radix_sort_onesweep_histogram_config_static_selectorELNS0_4arch9wavefront6targetE0EEEvSD_.uses_flat_scratch, 0
	.set _ZN7rocprim17ROCPRIM_400000_NS6detail17trampoline_kernelINS0_14default_configENS1_35radix_sort_onesweep_config_selectorIjNS0_10empty_typeEEEZNS1_34radix_sort_onesweep_global_offsetsIS3_Lb1EPKjPS5_mNS0_19identity_decomposerEEE10hipError_tT1_T2_PT3_SF_jT4_jjP12ihipStream_tbEUlT_E0_NS1_11comp_targetILNS1_3genE5ELNS1_11target_archE942ELNS1_3gpuE9ELNS1_3repE0EEENS1_52radix_sort_onesweep_histogram_config_static_selectorELNS0_4arch9wavefront6targetE0EEEvSD_.has_dyn_sized_stack, 0
	.set _ZN7rocprim17ROCPRIM_400000_NS6detail17trampoline_kernelINS0_14default_configENS1_35radix_sort_onesweep_config_selectorIjNS0_10empty_typeEEEZNS1_34radix_sort_onesweep_global_offsetsIS3_Lb1EPKjPS5_mNS0_19identity_decomposerEEE10hipError_tT1_T2_PT3_SF_jT4_jjP12ihipStream_tbEUlT_E0_NS1_11comp_targetILNS1_3genE5ELNS1_11target_archE942ELNS1_3gpuE9ELNS1_3repE0EEENS1_52radix_sort_onesweep_histogram_config_static_selectorELNS0_4arch9wavefront6targetE0EEEvSD_.has_recursion, 0
	.set _ZN7rocprim17ROCPRIM_400000_NS6detail17trampoline_kernelINS0_14default_configENS1_35radix_sort_onesweep_config_selectorIjNS0_10empty_typeEEEZNS1_34radix_sort_onesweep_global_offsetsIS3_Lb1EPKjPS5_mNS0_19identity_decomposerEEE10hipError_tT1_T2_PT3_SF_jT4_jjP12ihipStream_tbEUlT_E0_NS1_11comp_targetILNS1_3genE5ELNS1_11target_archE942ELNS1_3gpuE9ELNS1_3repE0EEENS1_52radix_sort_onesweep_histogram_config_static_selectorELNS0_4arch9wavefront6targetE0EEEvSD_.has_indirect_call, 0
	.section	.AMDGPU.csdata,"",@progbits
; Kernel info:
; codeLenInByte = 0
; TotalNumSgprs: 0
; NumVgprs: 0
; ScratchSize: 0
; MemoryBound: 0
; FloatMode: 240
; IeeeMode: 1
; LDSByteSize: 0 bytes/workgroup (compile time only)
; SGPRBlocks: 0
; VGPRBlocks: 0
; NumSGPRsForWavesPerEU: 1
; NumVGPRsForWavesPerEU: 1
; NamedBarCnt: 0
; Occupancy: 16
; WaveLimiterHint : 0
; COMPUTE_PGM_RSRC2:SCRATCH_EN: 0
; COMPUTE_PGM_RSRC2:USER_SGPR: 2
; COMPUTE_PGM_RSRC2:TRAP_HANDLER: 0
; COMPUTE_PGM_RSRC2:TGID_X_EN: 1
; COMPUTE_PGM_RSRC2:TGID_Y_EN: 0
; COMPUTE_PGM_RSRC2:TGID_Z_EN: 0
; COMPUTE_PGM_RSRC2:TIDIG_COMP_CNT: 0
	.section	.text._ZN7rocprim17ROCPRIM_400000_NS6detail17trampoline_kernelINS0_14default_configENS1_35radix_sort_onesweep_config_selectorIjNS0_10empty_typeEEEZNS1_34radix_sort_onesweep_global_offsetsIS3_Lb1EPKjPS5_mNS0_19identity_decomposerEEE10hipError_tT1_T2_PT3_SF_jT4_jjP12ihipStream_tbEUlT_E0_NS1_11comp_targetILNS1_3genE2ELNS1_11target_archE906ELNS1_3gpuE6ELNS1_3repE0EEENS1_52radix_sort_onesweep_histogram_config_static_selectorELNS0_4arch9wavefront6targetE0EEEvSD_,"axG",@progbits,_ZN7rocprim17ROCPRIM_400000_NS6detail17trampoline_kernelINS0_14default_configENS1_35radix_sort_onesweep_config_selectorIjNS0_10empty_typeEEEZNS1_34radix_sort_onesweep_global_offsetsIS3_Lb1EPKjPS5_mNS0_19identity_decomposerEEE10hipError_tT1_T2_PT3_SF_jT4_jjP12ihipStream_tbEUlT_E0_NS1_11comp_targetILNS1_3genE2ELNS1_11target_archE906ELNS1_3gpuE6ELNS1_3repE0EEENS1_52radix_sort_onesweep_histogram_config_static_selectorELNS0_4arch9wavefront6targetE0EEEvSD_,comdat
	.protected	_ZN7rocprim17ROCPRIM_400000_NS6detail17trampoline_kernelINS0_14default_configENS1_35radix_sort_onesweep_config_selectorIjNS0_10empty_typeEEEZNS1_34radix_sort_onesweep_global_offsetsIS3_Lb1EPKjPS5_mNS0_19identity_decomposerEEE10hipError_tT1_T2_PT3_SF_jT4_jjP12ihipStream_tbEUlT_E0_NS1_11comp_targetILNS1_3genE2ELNS1_11target_archE906ELNS1_3gpuE6ELNS1_3repE0EEENS1_52radix_sort_onesweep_histogram_config_static_selectorELNS0_4arch9wavefront6targetE0EEEvSD_ ; -- Begin function _ZN7rocprim17ROCPRIM_400000_NS6detail17trampoline_kernelINS0_14default_configENS1_35radix_sort_onesweep_config_selectorIjNS0_10empty_typeEEEZNS1_34radix_sort_onesweep_global_offsetsIS3_Lb1EPKjPS5_mNS0_19identity_decomposerEEE10hipError_tT1_T2_PT3_SF_jT4_jjP12ihipStream_tbEUlT_E0_NS1_11comp_targetILNS1_3genE2ELNS1_11target_archE906ELNS1_3gpuE6ELNS1_3repE0EEENS1_52radix_sort_onesweep_histogram_config_static_selectorELNS0_4arch9wavefront6targetE0EEEvSD_
	.globl	_ZN7rocprim17ROCPRIM_400000_NS6detail17trampoline_kernelINS0_14default_configENS1_35radix_sort_onesweep_config_selectorIjNS0_10empty_typeEEEZNS1_34radix_sort_onesweep_global_offsetsIS3_Lb1EPKjPS5_mNS0_19identity_decomposerEEE10hipError_tT1_T2_PT3_SF_jT4_jjP12ihipStream_tbEUlT_E0_NS1_11comp_targetILNS1_3genE2ELNS1_11target_archE906ELNS1_3gpuE6ELNS1_3repE0EEENS1_52radix_sort_onesweep_histogram_config_static_selectorELNS0_4arch9wavefront6targetE0EEEvSD_
	.p2align	8
	.type	_ZN7rocprim17ROCPRIM_400000_NS6detail17trampoline_kernelINS0_14default_configENS1_35radix_sort_onesweep_config_selectorIjNS0_10empty_typeEEEZNS1_34radix_sort_onesweep_global_offsetsIS3_Lb1EPKjPS5_mNS0_19identity_decomposerEEE10hipError_tT1_T2_PT3_SF_jT4_jjP12ihipStream_tbEUlT_E0_NS1_11comp_targetILNS1_3genE2ELNS1_11target_archE906ELNS1_3gpuE6ELNS1_3repE0EEENS1_52radix_sort_onesweep_histogram_config_static_selectorELNS0_4arch9wavefront6targetE0EEEvSD_,@function
_ZN7rocprim17ROCPRIM_400000_NS6detail17trampoline_kernelINS0_14default_configENS1_35radix_sort_onesweep_config_selectorIjNS0_10empty_typeEEEZNS1_34radix_sort_onesweep_global_offsetsIS3_Lb1EPKjPS5_mNS0_19identity_decomposerEEE10hipError_tT1_T2_PT3_SF_jT4_jjP12ihipStream_tbEUlT_E0_NS1_11comp_targetILNS1_3genE2ELNS1_11target_archE906ELNS1_3gpuE6ELNS1_3repE0EEENS1_52radix_sort_onesweep_histogram_config_static_selectorELNS0_4arch9wavefront6targetE0EEEvSD_: ; @_ZN7rocprim17ROCPRIM_400000_NS6detail17trampoline_kernelINS0_14default_configENS1_35radix_sort_onesweep_config_selectorIjNS0_10empty_typeEEEZNS1_34radix_sort_onesweep_global_offsetsIS3_Lb1EPKjPS5_mNS0_19identity_decomposerEEE10hipError_tT1_T2_PT3_SF_jT4_jjP12ihipStream_tbEUlT_E0_NS1_11comp_targetILNS1_3genE2ELNS1_11target_archE906ELNS1_3gpuE6ELNS1_3repE0EEENS1_52radix_sort_onesweep_histogram_config_static_selectorELNS0_4arch9wavefront6targetE0EEEvSD_
; %bb.0:
	.section	.rodata,"a",@progbits
	.p2align	6, 0x0
	.amdhsa_kernel _ZN7rocprim17ROCPRIM_400000_NS6detail17trampoline_kernelINS0_14default_configENS1_35radix_sort_onesweep_config_selectorIjNS0_10empty_typeEEEZNS1_34radix_sort_onesweep_global_offsetsIS3_Lb1EPKjPS5_mNS0_19identity_decomposerEEE10hipError_tT1_T2_PT3_SF_jT4_jjP12ihipStream_tbEUlT_E0_NS1_11comp_targetILNS1_3genE2ELNS1_11target_archE906ELNS1_3gpuE6ELNS1_3repE0EEENS1_52radix_sort_onesweep_histogram_config_static_selectorELNS0_4arch9wavefront6targetE0EEEvSD_
		.amdhsa_group_segment_fixed_size 0
		.amdhsa_private_segment_fixed_size 0
		.amdhsa_kernarg_size 8
		.amdhsa_user_sgpr_count 2
		.amdhsa_user_sgpr_dispatch_ptr 0
		.amdhsa_user_sgpr_queue_ptr 0
		.amdhsa_user_sgpr_kernarg_segment_ptr 1
		.amdhsa_user_sgpr_dispatch_id 0
		.amdhsa_user_sgpr_kernarg_preload_length 0
		.amdhsa_user_sgpr_kernarg_preload_offset 0
		.amdhsa_user_sgpr_private_segment_size 0
		.amdhsa_wavefront_size32 1
		.amdhsa_uses_dynamic_stack 0
		.amdhsa_enable_private_segment 0
		.amdhsa_system_sgpr_workgroup_id_x 1
		.amdhsa_system_sgpr_workgroup_id_y 0
		.amdhsa_system_sgpr_workgroup_id_z 0
		.amdhsa_system_sgpr_workgroup_info 0
		.amdhsa_system_vgpr_workitem_id 0
		.amdhsa_next_free_vgpr 1
		.amdhsa_next_free_sgpr 1
		.amdhsa_named_barrier_count 0
		.amdhsa_reserve_vcc 0
		.amdhsa_float_round_mode_32 0
		.amdhsa_float_round_mode_16_64 0
		.amdhsa_float_denorm_mode_32 3
		.amdhsa_float_denorm_mode_16_64 3
		.amdhsa_fp16_overflow 0
		.amdhsa_memory_ordered 1
		.amdhsa_forward_progress 1
		.amdhsa_inst_pref_size 0
		.amdhsa_round_robin_scheduling 0
		.amdhsa_exception_fp_ieee_invalid_op 0
		.amdhsa_exception_fp_denorm_src 0
		.amdhsa_exception_fp_ieee_div_zero 0
		.amdhsa_exception_fp_ieee_overflow 0
		.amdhsa_exception_fp_ieee_underflow 0
		.amdhsa_exception_fp_ieee_inexact 0
		.amdhsa_exception_int_div_zero 0
	.end_amdhsa_kernel
	.section	.text._ZN7rocprim17ROCPRIM_400000_NS6detail17trampoline_kernelINS0_14default_configENS1_35radix_sort_onesweep_config_selectorIjNS0_10empty_typeEEEZNS1_34radix_sort_onesweep_global_offsetsIS3_Lb1EPKjPS5_mNS0_19identity_decomposerEEE10hipError_tT1_T2_PT3_SF_jT4_jjP12ihipStream_tbEUlT_E0_NS1_11comp_targetILNS1_3genE2ELNS1_11target_archE906ELNS1_3gpuE6ELNS1_3repE0EEENS1_52radix_sort_onesweep_histogram_config_static_selectorELNS0_4arch9wavefront6targetE0EEEvSD_,"axG",@progbits,_ZN7rocprim17ROCPRIM_400000_NS6detail17trampoline_kernelINS0_14default_configENS1_35radix_sort_onesweep_config_selectorIjNS0_10empty_typeEEEZNS1_34radix_sort_onesweep_global_offsetsIS3_Lb1EPKjPS5_mNS0_19identity_decomposerEEE10hipError_tT1_T2_PT3_SF_jT4_jjP12ihipStream_tbEUlT_E0_NS1_11comp_targetILNS1_3genE2ELNS1_11target_archE906ELNS1_3gpuE6ELNS1_3repE0EEENS1_52radix_sort_onesweep_histogram_config_static_selectorELNS0_4arch9wavefront6targetE0EEEvSD_,comdat
.Lfunc_end2619:
	.size	_ZN7rocprim17ROCPRIM_400000_NS6detail17trampoline_kernelINS0_14default_configENS1_35radix_sort_onesweep_config_selectorIjNS0_10empty_typeEEEZNS1_34radix_sort_onesweep_global_offsetsIS3_Lb1EPKjPS5_mNS0_19identity_decomposerEEE10hipError_tT1_T2_PT3_SF_jT4_jjP12ihipStream_tbEUlT_E0_NS1_11comp_targetILNS1_3genE2ELNS1_11target_archE906ELNS1_3gpuE6ELNS1_3repE0EEENS1_52radix_sort_onesweep_histogram_config_static_selectorELNS0_4arch9wavefront6targetE0EEEvSD_, .Lfunc_end2619-_ZN7rocprim17ROCPRIM_400000_NS6detail17trampoline_kernelINS0_14default_configENS1_35radix_sort_onesweep_config_selectorIjNS0_10empty_typeEEEZNS1_34radix_sort_onesweep_global_offsetsIS3_Lb1EPKjPS5_mNS0_19identity_decomposerEEE10hipError_tT1_T2_PT3_SF_jT4_jjP12ihipStream_tbEUlT_E0_NS1_11comp_targetILNS1_3genE2ELNS1_11target_archE906ELNS1_3gpuE6ELNS1_3repE0EEENS1_52radix_sort_onesweep_histogram_config_static_selectorELNS0_4arch9wavefront6targetE0EEEvSD_
                                        ; -- End function
	.set _ZN7rocprim17ROCPRIM_400000_NS6detail17trampoline_kernelINS0_14default_configENS1_35radix_sort_onesweep_config_selectorIjNS0_10empty_typeEEEZNS1_34radix_sort_onesweep_global_offsetsIS3_Lb1EPKjPS5_mNS0_19identity_decomposerEEE10hipError_tT1_T2_PT3_SF_jT4_jjP12ihipStream_tbEUlT_E0_NS1_11comp_targetILNS1_3genE2ELNS1_11target_archE906ELNS1_3gpuE6ELNS1_3repE0EEENS1_52radix_sort_onesweep_histogram_config_static_selectorELNS0_4arch9wavefront6targetE0EEEvSD_.num_vgpr, 0
	.set _ZN7rocprim17ROCPRIM_400000_NS6detail17trampoline_kernelINS0_14default_configENS1_35radix_sort_onesweep_config_selectorIjNS0_10empty_typeEEEZNS1_34radix_sort_onesweep_global_offsetsIS3_Lb1EPKjPS5_mNS0_19identity_decomposerEEE10hipError_tT1_T2_PT3_SF_jT4_jjP12ihipStream_tbEUlT_E0_NS1_11comp_targetILNS1_3genE2ELNS1_11target_archE906ELNS1_3gpuE6ELNS1_3repE0EEENS1_52radix_sort_onesweep_histogram_config_static_selectorELNS0_4arch9wavefront6targetE0EEEvSD_.num_agpr, 0
	.set _ZN7rocprim17ROCPRIM_400000_NS6detail17trampoline_kernelINS0_14default_configENS1_35radix_sort_onesweep_config_selectorIjNS0_10empty_typeEEEZNS1_34radix_sort_onesweep_global_offsetsIS3_Lb1EPKjPS5_mNS0_19identity_decomposerEEE10hipError_tT1_T2_PT3_SF_jT4_jjP12ihipStream_tbEUlT_E0_NS1_11comp_targetILNS1_3genE2ELNS1_11target_archE906ELNS1_3gpuE6ELNS1_3repE0EEENS1_52radix_sort_onesweep_histogram_config_static_selectorELNS0_4arch9wavefront6targetE0EEEvSD_.numbered_sgpr, 0
	.set _ZN7rocprim17ROCPRIM_400000_NS6detail17trampoline_kernelINS0_14default_configENS1_35radix_sort_onesweep_config_selectorIjNS0_10empty_typeEEEZNS1_34radix_sort_onesweep_global_offsetsIS3_Lb1EPKjPS5_mNS0_19identity_decomposerEEE10hipError_tT1_T2_PT3_SF_jT4_jjP12ihipStream_tbEUlT_E0_NS1_11comp_targetILNS1_3genE2ELNS1_11target_archE906ELNS1_3gpuE6ELNS1_3repE0EEENS1_52radix_sort_onesweep_histogram_config_static_selectorELNS0_4arch9wavefront6targetE0EEEvSD_.num_named_barrier, 0
	.set _ZN7rocprim17ROCPRIM_400000_NS6detail17trampoline_kernelINS0_14default_configENS1_35radix_sort_onesweep_config_selectorIjNS0_10empty_typeEEEZNS1_34radix_sort_onesweep_global_offsetsIS3_Lb1EPKjPS5_mNS0_19identity_decomposerEEE10hipError_tT1_T2_PT3_SF_jT4_jjP12ihipStream_tbEUlT_E0_NS1_11comp_targetILNS1_3genE2ELNS1_11target_archE906ELNS1_3gpuE6ELNS1_3repE0EEENS1_52radix_sort_onesweep_histogram_config_static_selectorELNS0_4arch9wavefront6targetE0EEEvSD_.private_seg_size, 0
	.set _ZN7rocprim17ROCPRIM_400000_NS6detail17trampoline_kernelINS0_14default_configENS1_35radix_sort_onesweep_config_selectorIjNS0_10empty_typeEEEZNS1_34radix_sort_onesweep_global_offsetsIS3_Lb1EPKjPS5_mNS0_19identity_decomposerEEE10hipError_tT1_T2_PT3_SF_jT4_jjP12ihipStream_tbEUlT_E0_NS1_11comp_targetILNS1_3genE2ELNS1_11target_archE906ELNS1_3gpuE6ELNS1_3repE0EEENS1_52radix_sort_onesweep_histogram_config_static_selectorELNS0_4arch9wavefront6targetE0EEEvSD_.uses_vcc, 0
	.set _ZN7rocprim17ROCPRIM_400000_NS6detail17trampoline_kernelINS0_14default_configENS1_35radix_sort_onesweep_config_selectorIjNS0_10empty_typeEEEZNS1_34radix_sort_onesweep_global_offsetsIS3_Lb1EPKjPS5_mNS0_19identity_decomposerEEE10hipError_tT1_T2_PT3_SF_jT4_jjP12ihipStream_tbEUlT_E0_NS1_11comp_targetILNS1_3genE2ELNS1_11target_archE906ELNS1_3gpuE6ELNS1_3repE0EEENS1_52radix_sort_onesweep_histogram_config_static_selectorELNS0_4arch9wavefront6targetE0EEEvSD_.uses_flat_scratch, 0
	.set _ZN7rocprim17ROCPRIM_400000_NS6detail17trampoline_kernelINS0_14default_configENS1_35radix_sort_onesweep_config_selectorIjNS0_10empty_typeEEEZNS1_34radix_sort_onesweep_global_offsetsIS3_Lb1EPKjPS5_mNS0_19identity_decomposerEEE10hipError_tT1_T2_PT3_SF_jT4_jjP12ihipStream_tbEUlT_E0_NS1_11comp_targetILNS1_3genE2ELNS1_11target_archE906ELNS1_3gpuE6ELNS1_3repE0EEENS1_52radix_sort_onesweep_histogram_config_static_selectorELNS0_4arch9wavefront6targetE0EEEvSD_.has_dyn_sized_stack, 0
	.set _ZN7rocprim17ROCPRIM_400000_NS6detail17trampoline_kernelINS0_14default_configENS1_35radix_sort_onesweep_config_selectorIjNS0_10empty_typeEEEZNS1_34radix_sort_onesweep_global_offsetsIS3_Lb1EPKjPS5_mNS0_19identity_decomposerEEE10hipError_tT1_T2_PT3_SF_jT4_jjP12ihipStream_tbEUlT_E0_NS1_11comp_targetILNS1_3genE2ELNS1_11target_archE906ELNS1_3gpuE6ELNS1_3repE0EEENS1_52radix_sort_onesweep_histogram_config_static_selectorELNS0_4arch9wavefront6targetE0EEEvSD_.has_recursion, 0
	.set _ZN7rocprim17ROCPRIM_400000_NS6detail17trampoline_kernelINS0_14default_configENS1_35radix_sort_onesweep_config_selectorIjNS0_10empty_typeEEEZNS1_34radix_sort_onesweep_global_offsetsIS3_Lb1EPKjPS5_mNS0_19identity_decomposerEEE10hipError_tT1_T2_PT3_SF_jT4_jjP12ihipStream_tbEUlT_E0_NS1_11comp_targetILNS1_3genE2ELNS1_11target_archE906ELNS1_3gpuE6ELNS1_3repE0EEENS1_52radix_sort_onesweep_histogram_config_static_selectorELNS0_4arch9wavefront6targetE0EEEvSD_.has_indirect_call, 0
	.section	.AMDGPU.csdata,"",@progbits
; Kernel info:
; codeLenInByte = 0
; TotalNumSgprs: 0
; NumVgprs: 0
; ScratchSize: 0
; MemoryBound: 0
; FloatMode: 240
; IeeeMode: 1
; LDSByteSize: 0 bytes/workgroup (compile time only)
; SGPRBlocks: 0
; VGPRBlocks: 0
; NumSGPRsForWavesPerEU: 1
; NumVGPRsForWavesPerEU: 1
; NamedBarCnt: 0
; Occupancy: 16
; WaveLimiterHint : 0
; COMPUTE_PGM_RSRC2:SCRATCH_EN: 0
; COMPUTE_PGM_RSRC2:USER_SGPR: 2
; COMPUTE_PGM_RSRC2:TRAP_HANDLER: 0
; COMPUTE_PGM_RSRC2:TGID_X_EN: 1
; COMPUTE_PGM_RSRC2:TGID_Y_EN: 0
; COMPUTE_PGM_RSRC2:TGID_Z_EN: 0
; COMPUTE_PGM_RSRC2:TIDIG_COMP_CNT: 0
	.section	.text._ZN7rocprim17ROCPRIM_400000_NS6detail17trampoline_kernelINS0_14default_configENS1_35radix_sort_onesweep_config_selectorIjNS0_10empty_typeEEEZNS1_34radix_sort_onesweep_global_offsetsIS3_Lb1EPKjPS5_mNS0_19identity_decomposerEEE10hipError_tT1_T2_PT3_SF_jT4_jjP12ihipStream_tbEUlT_E0_NS1_11comp_targetILNS1_3genE4ELNS1_11target_archE910ELNS1_3gpuE8ELNS1_3repE0EEENS1_52radix_sort_onesweep_histogram_config_static_selectorELNS0_4arch9wavefront6targetE0EEEvSD_,"axG",@progbits,_ZN7rocprim17ROCPRIM_400000_NS6detail17trampoline_kernelINS0_14default_configENS1_35radix_sort_onesweep_config_selectorIjNS0_10empty_typeEEEZNS1_34radix_sort_onesweep_global_offsetsIS3_Lb1EPKjPS5_mNS0_19identity_decomposerEEE10hipError_tT1_T2_PT3_SF_jT4_jjP12ihipStream_tbEUlT_E0_NS1_11comp_targetILNS1_3genE4ELNS1_11target_archE910ELNS1_3gpuE8ELNS1_3repE0EEENS1_52radix_sort_onesweep_histogram_config_static_selectorELNS0_4arch9wavefront6targetE0EEEvSD_,comdat
	.protected	_ZN7rocprim17ROCPRIM_400000_NS6detail17trampoline_kernelINS0_14default_configENS1_35radix_sort_onesweep_config_selectorIjNS0_10empty_typeEEEZNS1_34radix_sort_onesweep_global_offsetsIS3_Lb1EPKjPS5_mNS0_19identity_decomposerEEE10hipError_tT1_T2_PT3_SF_jT4_jjP12ihipStream_tbEUlT_E0_NS1_11comp_targetILNS1_3genE4ELNS1_11target_archE910ELNS1_3gpuE8ELNS1_3repE0EEENS1_52radix_sort_onesweep_histogram_config_static_selectorELNS0_4arch9wavefront6targetE0EEEvSD_ ; -- Begin function _ZN7rocprim17ROCPRIM_400000_NS6detail17trampoline_kernelINS0_14default_configENS1_35radix_sort_onesweep_config_selectorIjNS0_10empty_typeEEEZNS1_34radix_sort_onesweep_global_offsetsIS3_Lb1EPKjPS5_mNS0_19identity_decomposerEEE10hipError_tT1_T2_PT3_SF_jT4_jjP12ihipStream_tbEUlT_E0_NS1_11comp_targetILNS1_3genE4ELNS1_11target_archE910ELNS1_3gpuE8ELNS1_3repE0EEENS1_52radix_sort_onesweep_histogram_config_static_selectorELNS0_4arch9wavefront6targetE0EEEvSD_
	.globl	_ZN7rocprim17ROCPRIM_400000_NS6detail17trampoline_kernelINS0_14default_configENS1_35radix_sort_onesweep_config_selectorIjNS0_10empty_typeEEEZNS1_34radix_sort_onesweep_global_offsetsIS3_Lb1EPKjPS5_mNS0_19identity_decomposerEEE10hipError_tT1_T2_PT3_SF_jT4_jjP12ihipStream_tbEUlT_E0_NS1_11comp_targetILNS1_3genE4ELNS1_11target_archE910ELNS1_3gpuE8ELNS1_3repE0EEENS1_52radix_sort_onesweep_histogram_config_static_selectorELNS0_4arch9wavefront6targetE0EEEvSD_
	.p2align	8
	.type	_ZN7rocprim17ROCPRIM_400000_NS6detail17trampoline_kernelINS0_14default_configENS1_35radix_sort_onesweep_config_selectorIjNS0_10empty_typeEEEZNS1_34radix_sort_onesweep_global_offsetsIS3_Lb1EPKjPS5_mNS0_19identity_decomposerEEE10hipError_tT1_T2_PT3_SF_jT4_jjP12ihipStream_tbEUlT_E0_NS1_11comp_targetILNS1_3genE4ELNS1_11target_archE910ELNS1_3gpuE8ELNS1_3repE0EEENS1_52radix_sort_onesweep_histogram_config_static_selectorELNS0_4arch9wavefront6targetE0EEEvSD_,@function
_ZN7rocprim17ROCPRIM_400000_NS6detail17trampoline_kernelINS0_14default_configENS1_35radix_sort_onesweep_config_selectorIjNS0_10empty_typeEEEZNS1_34radix_sort_onesweep_global_offsetsIS3_Lb1EPKjPS5_mNS0_19identity_decomposerEEE10hipError_tT1_T2_PT3_SF_jT4_jjP12ihipStream_tbEUlT_E0_NS1_11comp_targetILNS1_3genE4ELNS1_11target_archE910ELNS1_3gpuE8ELNS1_3repE0EEENS1_52radix_sort_onesweep_histogram_config_static_selectorELNS0_4arch9wavefront6targetE0EEEvSD_: ; @_ZN7rocprim17ROCPRIM_400000_NS6detail17trampoline_kernelINS0_14default_configENS1_35radix_sort_onesweep_config_selectorIjNS0_10empty_typeEEEZNS1_34radix_sort_onesweep_global_offsetsIS3_Lb1EPKjPS5_mNS0_19identity_decomposerEEE10hipError_tT1_T2_PT3_SF_jT4_jjP12ihipStream_tbEUlT_E0_NS1_11comp_targetILNS1_3genE4ELNS1_11target_archE910ELNS1_3gpuE8ELNS1_3repE0EEENS1_52radix_sort_onesweep_histogram_config_static_selectorELNS0_4arch9wavefront6targetE0EEEvSD_
; %bb.0:
	.section	.rodata,"a",@progbits
	.p2align	6, 0x0
	.amdhsa_kernel _ZN7rocprim17ROCPRIM_400000_NS6detail17trampoline_kernelINS0_14default_configENS1_35radix_sort_onesweep_config_selectorIjNS0_10empty_typeEEEZNS1_34radix_sort_onesweep_global_offsetsIS3_Lb1EPKjPS5_mNS0_19identity_decomposerEEE10hipError_tT1_T2_PT3_SF_jT4_jjP12ihipStream_tbEUlT_E0_NS1_11comp_targetILNS1_3genE4ELNS1_11target_archE910ELNS1_3gpuE8ELNS1_3repE0EEENS1_52radix_sort_onesweep_histogram_config_static_selectorELNS0_4arch9wavefront6targetE0EEEvSD_
		.amdhsa_group_segment_fixed_size 0
		.amdhsa_private_segment_fixed_size 0
		.amdhsa_kernarg_size 8
		.amdhsa_user_sgpr_count 2
		.amdhsa_user_sgpr_dispatch_ptr 0
		.amdhsa_user_sgpr_queue_ptr 0
		.amdhsa_user_sgpr_kernarg_segment_ptr 1
		.amdhsa_user_sgpr_dispatch_id 0
		.amdhsa_user_sgpr_kernarg_preload_length 0
		.amdhsa_user_sgpr_kernarg_preload_offset 0
		.amdhsa_user_sgpr_private_segment_size 0
		.amdhsa_wavefront_size32 1
		.amdhsa_uses_dynamic_stack 0
		.amdhsa_enable_private_segment 0
		.amdhsa_system_sgpr_workgroup_id_x 1
		.amdhsa_system_sgpr_workgroup_id_y 0
		.amdhsa_system_sgpr_workgroup_id_z 0
		.amdhsa_system_sgpr_workgroup_info 0
		.amdhsa_system_vgpr_workitem_id 0
		.amdhsa_next_free_vgpr 1
		.amdhsa_next_free_sgpr 1
		.amdhsa_named_barrier_count 0
		.amdhsa_reserve_vcc 0
		.amdhsa_float_round_mode_32 0
		.amdhsa_float_round_mode_16_64 0
		.amdhsa_float_denorm_mode_32 3
		.amdhsa_float_denorm_mode_16_64 3
		.amdhsa_fp16_overflow 0
		.amdhsa_memory_ordered 1
		.amdhsa_forward_progress 1
		.amdhsa_inst_pref_size 0
		.amdhsa_round_robin_scheduling 0
		.amdhsa_exception_fp_ieee_invalid_op 0
		.amdhsa_exception_fp_denorm_src 0
		.amdhsa_exception_fp_ieee_div_zero 0
		.amdhsa_exception_fp_ieee_overflow 0
		.amdhsa_exception_fp_ieee_underflow 0
		.amdhsa_exception_fp_ieee_inexact 0
		.amdhsa_exception_int_div_zero 0
	.end_amdhsa_kernel
	.section	.text._ZN7rocprim17ROCPRIM_400000_NS6detail17trampoline_kernelINS0_14default_configENS1_35radix_sort_onesweep_config_selectorIjNS0_10empty_typeEEEZNS1_34radix_sort_onesweep_global_offsetsIS3_Lb1EPKjPS5_mNS0_19identity_decomposerEEE10hipError_tT1_T2_PT3_SF_jT4_jjP12ihipStream_tbEUlT_E0_NS1_11comp_targetILNS1_3genE4ELNS1_11target_archE910ELNS1_3gpuE8ELNS1_3repE0EEENS1_52radix_sort_onesweep_histogram_config_static_selectorELNS0_4arch9wavefront6targetE0EEEvSD_,"axG",@progbits,_ZN7rocprim17ROCPRIM_400000_NS6detail17trampoline_kernelINS0_14default_configENS1_35radix_sort_onesweep_config_selectorIjNS0_10empty_typeEEEZNS1_34radix_sort_onesweep_global_offsetsIS3_Lb1EPKjPS5_mNS0_19identity_decomposerEEE10hipError_tT1_T2_PT3_SF_jT4_jjP12ihipStream_tbEUlT_E0_NS1_11comp_targetILNS1_3genE4ELNS1_11target_archE910ELNS1_3gpuE8ELNS1_3repE0EEENS1_52radix_sort_onesweep_histogram_config_static_selectorELNS0_4arch9wavefront6targetE0EEEvSD_,comdat
.Lfunc_end2620:
	.size	_ZN7rocprim17ROCPRIM_400000_NS6detail17trampoline_kernelINS0_14default_configENS1_35radix_sort_onesweep_config_selectorIjNS0_10empty_typeEEEZNS1_34radix_sort_onesweep_global_offsetsIS3_Lb1EPKjPS5_mNS0_19identity_decomposerEEE10hipError_tT1_T2_PT3_SF_jT4_jjP12ihipStream_tbEUlT_E0_NS1_11comp_targetILNS1_3genE4ELNS1_11target_archE910ELNS1_3gpuE8ELNS1_3repE0EEENS1_52radix_sort_onesweep_histogram_config_static_selectorELNS0_4arch9wavefront6targetE0EEEvSD_, .Lfunc_end2620-_ZN7rocprim17ROCPRIM_400000_NS6detail17trampoline_kernelINS0_14default_configENS1_35radix_sort_onesweep_config_selectorIjNS0_10empty_typeEEEZNS1_34radix_sort_onesweep_global_offsetsIS3_Lb1EPKjPS5_mNS0_19identity_decomposerEEE10hipError_tT1_T2_PT3_SF_jT4_jjP12ihipStream_tbEUlT_E0_NS1_11comp_targetILNS1_3genE4ELNS1_11target_archE910ELNS1_3gpuE8ELNS1_3repE0EEENS1_52radix_sort_onesweep_histogram_config_static_selectorELNS0_4arch9wavefront6targetE0EEEvSD_
                                        ; -- End function
	.set _ZN7rocprim17ROCPRIM_400000_NS6detail17trampoline_kernelINS0_14default_configENS1_35radix_sort_onesweep_config_selectorIjNS0_10empty_typeEEEZNS1_34radix_sort_onesweep_global_offsetsIS3_Lb1EPKjPS5_mNS0_19identity_decomposerEEE10hipError_tT1_T2_PT3_SF_jT4_jjP12ihipStream_tbEUlT_E0_NS1_11comp_targetILNS1_3genE4ELNS1_11target_archE910ELNS1_3gpuE8ELNS1_3repE0EEENS1_52radix_sort_onesweep_histogram_config_static_selectorELNS0_4arch9wavefront6targetE0EEEvSD_.num_vgpr, 0
	.set _ZN7rocprim17ROCPRIM_400000_NS6detail17trampoline_kernelINS0_14default_configENS1_35radix_sort_onesweep_config_selectorIjNS0_10empty_typeEEEZNS1_34radix_sort_onesweep_global_offsetsIS3_Lb1EPKjPS5_mNS0_19identity_decomposerEEE10hipError_tT1_T2_PT3_SF_jT4_jjP12ihipStream_tbEUlT_E0_NS1_11comp_targetILNS1_3genE4ELNS1_11target_archE910ELNS1_3gpuE8ELNS1_3repE0EEENS1_52radix_sort_onesweep_histogram_config_static_selectorELNS0_4arch9wavefront6targetE0EEEvSD_.num_agpr, 0
	.set _ZN7rocprim17ROCPRIM_400000_NS6detail17trampoline_kernelINS0_14default_configENS1_35radix_sort_onesweep_config_selectorIjNS0_10empty_typeEEEZNS1_34radix_sort_onesweep_global_offsetsIS3_Lb1EPKjPS5_mNS0_19identity_decomposerEEE10hipError_tT1_T2_PT3_SF_jT4_jjP12ihipStream_tbEUlT_E0_NS1_11comp_targetILNS1_3genE4ELNS1_11target_archE910ELNS1_3gpuE8ELNS1_3repE0EEENS1_52radix_sort_onesweep_histogram_config_static_selectorELNS0_4arch9wavefront6targetE0EEEvSD_.numbered_sgpr, 0
	.set _ZN7rocprim17ROCPRIM_400000_NS6detail17trampoline_kernelINS0_14default_configENS1_35radix_sort_onesweep_config_selectorIjNS0_10empty_typeEEEZNS1_34radix_sort_onesweep_global_offsetsIS3_Lb1EPKjPS5_mNS0_19identity_decomposerEEE10hipError_tT1_T2_PT3_SF_jT4_jjP12ihipStream_tbEUlT_E0_NS1_11comp_targetILNS1_3genE4ELNS1_11target_archE910ELNS1_3gpuE8ELNS1_3repE0EEENS1_52radix_sort_onesweep_histogram_config_static_selectorELNS0_4arch9wavefront6targetE0EEEvSD_.num_named_barrier, 0
	.set _ZN7rocprim17ROCPRIM_400000_NS6detail17trampoline_kernelINS0_14default_configENS1_35radix_sort_onesweep_config_selectorIjNS0_10empty_typeEEEZNS1_34radix_sort_onesweep_global_offsetsIS3_Lb1EPKjPS5_mNS0_19identity_decomposerEEE10hipError_tT1_T2_PT3_SF_jT4_jjP12ihipStream_tbEUlT_E0_NS1_11comp_targetILNS1_3genE4ELNS1_11target_archE910ELNS1_3gpuE8ELNS1_3repE0EEENS1_52radix_sort_onesweep_histogram_config_static_selectorELNS0_4arch9wavefront6targetE0EEEvSD_.private_seg_size, 0
	.set _ZN7rocprim17ROCPRIM_400000_NS6detail17trampoline_kernelINS0_14default_configENS1_35radix_sort_onesweep_config_selectorIjNS0_10empty_typeEEEZNS1_34radix_sort_onesweep_global_offsetsIS3_Lb1EPKjPS5_mNS0_19identity_decomposerEEE10hipError_tT1_T2_PT3_SF_jT4_jjP12ihipStream_tbEUlT_E0_NS1_11comp_targetILNS1_3genE4ELNS1_11target_archE910ELNS1_3gpuE8ELNS1_3repE0EEENS1_52radix_sort_onesweep_histogram_config_static_selectorELNS0_4arch9wavefront6targetE0EEEvSD_.uses_vcc, 0
	.set _ZN7rocprim17ROCPRIM_400000_NS6detail17trampoline_kernelINS0_14default_configENS1_35radix_sort_onesweep_config_selectorIjNS0_10empty_typeEEEZNS1_34radix_sort_onesweep_global_offsetsIS3_Lb1EPKjPS5_mNS0_19identity_decomposerEEE10hipError_tT1_T2_PT3_SF_jT4_jjP12ihipStream_tbEUlT_E0_NS1_11comp_targetILNS1_3genE4ELNS1_11target_archE910ELNS1_3gpuE8ELNS1_3repE0EEENS1_52radix_sort_onesweep_histogram_config_static_selectorELNS0_4arch9wavefront6targetE0EEEvSD_.uses_flat_scratch, 0
	.set _ZN7rocprim17ROCPRIM_400000_NS6detail17trampoline_kernelINS0_14default_configENS1_35radix_sort_onesweep_config_selectorIjNS0_10empty_typeEEEZNS1_34radix_sort_onesweep_global_offsetsIS3_Lb1EPKjPS5_mNS0_19identity_decomposerEEE10hipError_tT1_T2_PT3_SF_jT4_jjP12ihipStream_tbEUlT_E0_NS1_11comp_targetILNS1_3genE4ELNS1_11target_archE910ELNS1_3gpuE8ELNS1_3repE0EEENS1_52radix_sort_onesweep_histogram_config_static_selectorELNS0_4arch9wavefront6targetE0EEEvSD_.has_dyn_sized_stack, 0
	.set _ZN7rocprim17ROCPRIM_400000_NS6detail17trampoline_kernelINS0_14default_configENS1_35radix_sort_onesweep_config_selectorIjNS0_10empty_typeEEEZNS1_34radix_sort_onesweep_global_offsetsIS3_Lb1EPKjPS5_mNS0_19identity_decomposerEEE10hipError_tT1_T2_PT3_SF_jT4_jjP12ihipStream_tbEUlT_E0_NS1_11comp_targetILNS1_3genE4ELNS1_11target_archE910ELNS1_3gpuE8ELNS1_3repE0EEENS1_52radix_sort_onesweep_histogram_config_static_selectorELNS0_4arch9wavefront6targetE0EEEvSD_.has_recursion, 0
	.set _ZN7rocprim17ROCPRIM_400000_NS6detail17trampoline_kernelINS0_14default_configENS1_35radix_sort_onesweep_config_selectorIjNS0_10empty_typeEEEZNS1_34radix_sort_onesweep_global_offsetsIS3_Lb1EPKjPS5_mNS0_19identity_decomposerEEE10hipError_tT1_T2_PT3_SF_jT4_jjP12ihipStream_tbEUlT_E0_NS1_11comp_targetILNS1_3genE4ELNS1_11target_archE910ELNS1_3gpuE8ELNS1_3repE0EEENS1_52radix_sort_onesweep_histogram_config_static_selectorELNS0_4arch9wavefront6targetE0EEEvSD_.has_indirect_call, 0
	.section	.AMDGPU.csdata,"",@progbits
; Kernel info:
; codeLenInByte = 0
; TotalNumSgprs: 0
; NumVgprs: 0
; ScratchSize: 0
; MemoryBound: 0
; FloatMode: 240
; IeeeMode: 1
; LDSByteSize: 0 bytes/workgroup (compile time only)
; SGPRBlocks: 0
; VGPRBlocks: 0
; NumSGPRsForWavesPerEU: 1
; NumVGPRsForWavesPerEU: 1
; NamedBarCnt: 0
; Occupancy: 16
; WaveLimiterHint : 0
; COMPUTE_PGM_RSRC2:SCRATCH_EN: 0
; COMPUTE_PGM_RSRC2:USER_SGPR: 2
; COMPUTE_PGM_RSRC2:TRAP_HANDLER: 0
; COMPUTE_PGM_RSRC2:TGID_X_EN: 1
; COMPUTE_PGM_RSRC2:TGID_Y_EN: 0
; COMPUTE_PGM_RSRC2:TGID_Z_EN: 0
; COMPUTE_PGM_RSRC2:TIDIG_COMP_CNT: 0
	.section	.text._ZN7rocprim17ROCPRIM_400000_NS6detail17trampoline_kernelINS0_14default_configENS1_35radix_sort_onesweep_config_selectorIjNS0_10empty_typeEEEZNS1_34radix_sort_onesweep_global_offsetsIS3_Lb1EPKjPS5_mNS0_19identity_decomposerEEE10hipError_tT1_T2_PT3_SF_jT4_jjP12ihipStream_tbEUlT_E0_NS1_11comp_targetILNS1_3genE3ELNS1_11target_archE908ELNS1_3gpuE7ELNS1_3repE0EEENS1_52radix_sort_onesweep_histogram_config_static_selectorELNS0_4arch9wavefront6targetE0EEEvSD_,"axG",@progbits,_ZN7rocprim17ROCPRIM_400000_NS6detail17trampoline_kernelINS0_14default_configENS1_35radix_sort_onesweep_config_selectorIjNS0_10empty_typeEEEZNS1_34radix_sort_onesweep_global_offsetsIS3_Lb1EPKjPS5_mNS0_19identity_decomposerEEE10hipError_tT1_T2_PT3_SF_jT4_jjP12ihipStream_tbEUlT_E0_NS1_11comp_targetILNS1_3genE3ELNS1_11target_archE908ELNS1_3gpuE7ELNS1_3repE0EEENS1_52radix_sort_onesweep_histogram_config_static_selectorELNS0_4arch9wavefront6targetE0EEEvSD_,comdat
	.protected	_ZN7rocprim17ROCPRIM_400000_NS6detail17trampoline_kernelINS0_14default_configENS1_35radix_sort_onesweep_config_selectorIjNS0_10empty_typeEEEZNS1_34radix_sort_onesweep_global_offsetsIS3_Lb1EPKjPS5_mNS0_19identity_decomposerEEE10hipError_tT1_T2_PT3_SF_jT4_jjP12ihipStream_tbEUlT_E0_NS1_11comp_targetILNS1_3genE3ELNS1_11target_archE908ELNS1_3gpuE7ELNS1_3repE0EEENS1_52radix_sort_onesweep_histogram_config_static_selectorELNS0_4arch9wavefront6targetE0EEEvSD_ ; -- Begin function _ZN7rocprim17ROCPRIM_400000_NS6detail17trampoline_kernelINS0_14default_configENS1_35radix_sort_onesweep_config_selectorIjNS0_10empty_typeEEEZNS1_34radix_sort_onesweep_global_offsetsIS3_Lb1EPKjPS5_mNS0_19identity_decomposerEEE10hipError_tT1_T2_PT3_SF_jT4_jjP12ihipStream_tbEUlT_E0_NS1_11comp_targetILNS1_3genE3ELNS1_11target_archE908ELNS1_3gpuE7ELNS1_3repE0EEENS1_52radix_sort_onesweep_histogram_config_static_selectorELNS0_4arch9wavefront6targetE0EEEvSD_
	.globl	_ZN7rocprim17ROCPRIM_400000_NS6detail17trampoline_kernelINS0_14default_configENS1_35radix_sort_onesweep_config_selectorIjNS0_10empty_typeEEEZNS1_34radix_sort_onesweep_global_offsetsIS3_Lb1EPKjPS5_mNS0_19identity_decomposerEEE10hipError_tT1_T2_PT3_SF_jT4_jjP12ihipStream_tbEUlT_E0_NS1_11comp_targetILNS1_3genE3ELNS1_11target_archE908ELNS1_3gpuE7ELNS1_3repE0EEENS1_52radix_sort_onesweep_histogram_config_static_selectorELNS0_4arch9wavefront6targetE0EEEvSD_
	.p2align	8
	.type	_ZN7rocprim17ROCPRIM_400000_NS6detail17trampoline_kernelINS0_14default_configENS1_35radix_sort_onesweep_config_selectorIjNS0_10empty_typeEEEZNS1_34radix_sort_onesweep_global_offsetsIS3_Lb1EPKjPS5_mNS0_19identity_decomposerEEE10hipError_tT1_T2_PT3_SF_jT4_jjP12ihipStream_tbEUlT_E0_NS1_11comp_targetILNS1_3genE3ELNS1_11target_archE908ELNS1_3gpuE7ELNS1_3repE0EEENS1_52radix_sort_onesweep_histogram_config_static_selectorELNS0_4arch9wavefront6targetE0EEEvSD_,@function
_ZN7rocprim17ROCPRIM_400000_NS6detail17trampoline_kernelINS0_14default_configENS1_35radix_sort_onesweep_config_selectorIjNS0_10empty_typeEEEZNS1_34radix_sort_onesweep_global_offsetsIS3_Lb1EPKjPS5_mNS0_19identity_decomposerEEE10hipError_tT1_T2_PT3_SF_jT4_jjP12ihipStream_tbEUlT_E0_NS1_11comp_targetILNS1_3genE3ELNS1_11target_archE908ELNS1_3gpuE7ELNS1_3repE0EEENS1_52radix_sort_onesweep_histogram_config_static_selectorELNS0_4arch9wavefront6targetE0EEEvSD_: ; @_ZN7rocprim17ROCPRIM_400000_NS6detail17trampoline_kernelINS0_14default_configENS1_35radix_sort_onesweep_config_selectorIjNS0_10empty_typeEEEZNS1_34radix_sort_onesweep_global_offsetsIS3_Lb1EPKjPS5_mNS0_19identity_decomposerEEE10hipError_tT1_T2_PT3_SF_jT4_jjP12ihipStream_tbEUlT_E0_NS1_11comp_targetILNS1_3genE3ELNS1_11target_archE908ELNS1_3gpuE7ELNS1_3repE0EEENS1_52radix_sort_onesweep_histogram_config_static_selectorELNS0_4arch9wavefront6targetE0EEEvSD_
; %bb.0:
	.section	.rodata,"a",@progbits
	.p2align	6, 0x0
	.amdhsa_kernel _ZN7rocprim17ROCPRIM_400000_NS6detail17trampoline_kernelINS0_14default_configENS1_35radix_sort_onesweep_config_selectorIjNS0_10empty_typeEEEZNS1_34radix_sort_onesweep_global_offsetsIS3_Lb1EPKjPS5_mNS0_19identity_decomposerEEE10hipError_tT1_T2_PT3_SF_jT4_jjP12ihipStream_tbEUlT_E0_NS1_11comp_targetILNS1_3genE3ELNS1_11target_archE908ELNS1_3gpuE7ELNS1_3repE0EEENS1_52radix_sort_onesweep_histogram_config_static_selectorELNS0_4arch9wavefront6targetE0EEEvSD_
		.amdhsa_group_segment_fixed_size 0
		.amdhsa_private_segment_fixed_size 0
		.amdhsa_kernarg_size 8
		.amdhsa_user_sgpr_count 2
		.amdhsa_user_sgpr_dispatch_ptr 0
		.amdhsa_user_sgpr_queue_ptr 0
		.amdhsa_user_sgpr_kernarg_segment_ptr 1
		.amdhsa_user_sgpr_dispatch_id 0
		.amdhsa_user_sgpr_kernarg_preload_length 0
		.amdhsa_user_sgpr_kernarg_preload_offset 0
		.amdhsa_user_sgpr_private_segment_size 0
		.amdhsa_wavefront_size32 1
		.amdhsa_uses_dynamic_stack 0
		.amdhsa_enable_private_segment 0
		.amdhsa_system_sgpr_workgroup_id_x 1
		.amdhsa_system_sgpr_workgroup_id_y 0
		.amdhsa_system_sgpr_workgroup_id_z 0
		.amdhsa_system_sgpr_workgroup_info 0
		.amdhsa_system_vgpr_workitem_id 0
		.amdhsa_next_free_vgpr 1
		.amdhsa_next_free_sgpr 1
		.amdhsa_named_barrier_count 0
		.amdhsa_reserve_vcc 0
		.amdhsa_float_round_mode_32 0
		.amdhsa_float_round_mode_16_64 0
		.amdhsa_float_denorm_mode_32 3
		.amdhsa_float_denorm_mode_16_64 3
		.amdhsa_fp16_overflow 0
		.amdhsa_memory_ordered 1
		.amdhsa_forward_progress 1
		.amdhsa_inst_pref_size 0
		.amdhsa_round_robin_scheduling 0
		.amdhsa_exception_fp_ieee_invalid_op 0
		.amdhsa_exception_fp_denorm_src 0
		.amdhsa_exception_fp_ieee_div_zero 0
		.amdhsa_exception_fp_ieee_overflow 0
		.amdhsa_exception_fp_ieee_underflow 0
		.amdhsa_exception_fp_ieee_inexact 0
		.amdhsa_exception_int_div_zero 0
	.end_amdhsa_kernel
	.section	.text._ZN7rocprim17ROCPRIM_400000_NS6detail17trampoline_kernelINS0_14default_configENS1_35radix_sort_onesweep_config_selectorIjNS0_10empty_typeEEEZNS1_34radix_sort_onesweep_global_offsetsIS3_Lb1EPKjPS5_mNS0_19identity_decomposerEEE10hipError_tT1_T2_PT3_SF_jT4_jjP12ihipStream_tbEUlT_E0_NS1_11comp_targetILNS1_3genE3ELNS1_11target_archE908ELNS1_3gpuE7ELNS1_3repE0EEENS1_52radix_sort_onesweep_histogram_config_static_selectorELNS0_4arch9wavefront6targetE0EEEvSD_,"axG",@progbits,_ZN7rocprim17ROCPRIM_400000_NS6detail17trampoline_kernelINS0_14default_configENS1_35radix_sort_onesweep_config_selectorIjNS0_10empty_typeEEEZNS1_34radix_sort_onesweep_global_offsetsIS3_Lb1EPKjPS5_mNS0_19identity_decomposerEEE10hipError_tT1_T2_PT3_SF_jT4_jjP12ihipStream_tbEUlT_E0_NS1_11comp_targetILNS1_3genE3ELNS1_11target_archE908ELNS1_3gpuE7ELNS1_3repE0EEENS1_52radix_sort_onesweep_histogram_config_static_selectorELNS0_4arch9wavefront6targetE0EEEvSD_,comdat
.Lfunc_end2621:
	.size	_ZN7rocprim17ROCPRIM_400000_NS6detail17trampoline_kernelINS0_14default_configENS1_35radix_sort_onesweep_config_selectorIjNS0_10empty_typeEEEZNS1_34radix_sort_onesweep_global_offsetsIS3_Lb1EPKjPS5_mNS0_19identity_decomposerEEE10hipError_tT1_T2_PT3_SF_jT4_jjP12ihipStream_tbEUlT_E0_NS1_11comp_targetILNS1_3genE3ELNS1_11target_archE908ELNS1_3gpuE7ELNS1_3repE0EEENS1_52radix_sort_onesweep_histogram_config_static_selectorELNS0_4arch9wavefront6targetE0EEEvSD_, .Lfunc_end2621-_ZN7rocprim17ROCPRIM_400000_NS6detail17trampoline_kernelINS0_14default_configENS1_35radix_sort_onesweep_config_selectorIjNS0_10empty_typeEEEZNS1_34radix_sort_onesweep_global_offsetsIS3_Lb1EPKjPS5_mNS0_19identity_decomposerEEE10hipError_tT1_T2_PT3_SF_jT4_jjP12ihipStream_tbEUlT_E0_NS1_11comp_targetILNS1_3genE3ELNS1_11target_archE908ELNS1_3gpuE7ELNS1_3repE0EEENS1_52radix_sort_onesweep_histogram_config_static_selectorELNS0_4arch9wavefront6targetE0EEEvSD_
                                        ; -- End function
	.set _ZN7rocprim17ROCPRIM_400000_NS6detail17trampoline_kernelINS0_14default_configENS1_35radix_sort_onesweep_config_selectorIjNS0_10empty_typeEEEZNS1_34radix_sort_onesweep_global_offsetsIS3_Lb1EPKjPS5_mNS0_19identity_decomposerEEE10hipError_tT1_T2_PT3_SF_jT4_jjP12ihipStream_tbEUlT_E0_NS1_11comp_targetILNS1_3genE3ELNS1_11target_archE908ELNS1_3gpuE7ELNS1_3repE0EEENS1_52radix_sort_onesweep_histogram_config_static_selectorELNS0_4arch9wavefront6targetE0EEEvSD_.num_vgpr, 0
	.set _ZN7rocprim17ROCPRIM_400000_NS6detail17trampoline_kernelINS0_14default_configENS1_35radix_sort_onesweep_config_selectorIjNS0_10empty_typeEEEZNS1_34radix_sort_onesweep_global_offsetsIS3_Lb1EPKjPS5_mNS0_19identity_decomposerEEE10hipError_tT1_T2_PT3_SF_jT4_jjP12ihipStream_tbEUlT_E0_NS1_11comp_targetILNS1_3genE3ELNS1_11target_archE908ELNS1_3gpuE7ELNS1_3repE0EEENS1_52radix_sort_onesweep_histogram_config_static_selectorELNS0_4arch9wavefront6targetE0EEEvSD_.num_agpr, 0
	.set _ZN7rocprim17ROCPRIM_400000_NS6detail17trampoline_kernelINS0_14default_configENS1_35radix_sort_onesweep_config_selectorIjNS0_10empty_typeEEEZNS1_34radix_sort_onesweep_global_offsetsIS3_Lb1EPKjPS5_mNS0_19identity_decomposerEEE10hipError_tT1_T2_PT3_SF_jT4_jjP12ihipStream_tbEUlT_E0_NS1_11comp_targetILNS1_3genE3ELNS1_11target_archE908ELNS1_3gpuE7ELNS1_3repE0EEENS1_52radix_sort_onesweep_histogram_config_static_selectorELNS0_4arch9wavefront6targetE0EEEvSD_.numbered_sgpr, 0
	.set _ZN7rocprim17ROCPRIM_400000_NS6detail17trampoline_kernelINS0_14default_configENS1_35radix_sort_onesweep_config_selectorIjNS0_10empty_typeEEEZNS1_34radix_sort_onesweep_global_offsetsIS3_Lb1EPKjPS5_mNS0_19identity_decomposerEEE10hipError_tT1_T2_PT3_SF_jT4_jjP12ihipStream_tbEUlT_E0_NS1_11comp_targetILNS1_3genE3ELNS1_11target_archE908ELNS1_3gpuE7ELNS1_3repE0EEENS1_52radix_sort_onesweep_histogram_config_static_selectorELNS0_4arch9wavefront6targetE0EEEvSD_.num_named_barrier, 0
	.set _ZN7rocprim17ROCPRIM_400000_NS6detail17trampoline_kernelINS0_14default_configENS1_35radix_sort_onesweep_config_selectorIjNS0_10empty_typeEEEZNS1_34radix_sort_onesweep_global_offsetsIS3_Lb1EPKjPS5_mNS0_19identity_decomposerEEE10hipError_tT1_T2_PT3_SF_jT4_jjP12ihipStream_tbEUlT_E0_NS1_11comp_targetILNS1_3genE3ELNS1_11target_archE908ELNS1_3gpuE7ELNS1_3repE0EEENS1_52radix_sort_onesweep_histogram_config_static_selectorELNS0_4arch9wavefront6targetE0EEEvSD_.private_seg_size, 0
	.set _ZN7rocprim17ROCPRIM_400000_NS6detail17trampoline_kernelINS0_14default_configENS1_35radix_sort_onesweep_config_selectorIjNS0_10empty_typeEEEZNS1_34radix_sort_onesweep_global_offsetsIS3_Lb1EPKjPS5_mNS0_19identity_decomposerEEE10hipError_tT1_T2_PT3_SF_jT4_jjP12ihipStream_tbEUlT_E0_NS1_11comp_targetILNS1_3genE3ELNS1_11target_archE908ELNS1_3gpuE7ELNS1_3repE0EEENS1_52radix_sort_onesweep_histogram_config_static_selectorELNS0_4arch9wavefront6targetE0EEEvSD_.uses_vcc, 0
	.set _ZN7rocprim17ROCPRIM_400000_NS6detail17trampoline_kernelINS0_14default_configENS1_35radix_sort_onesweep_config_selectorIjNS0_10empty_typeEEEZNS1_34radix_sort_onesweep_global_offsetsIS3_Lb1EPKjPS5_mNS0_19identity_decomposerEEE10hipError_tT1_T2_PT3_SF_jT4_jjP12ihipStream_tbEUlT_E0_NS1_11comp_targetILNS1_3genE3ELNS1_11target_archE908ELNS1_3gpuE7ELNS1_3repE0EEENS1_52radix_sort_onesweep_histogram_config_static_selectorELNS0_4arch9wavefront6targetE0EEEvSD_.uses_flat_scratch, 0
	.set _ZN7rocprim17ROCPRIM_400000_NS6detail17trampoline_kernelINS0_14default_configENS1_35radix_sort_onesweep_config_selectorIjNS0_10empty_typeEEEZNS1_34radix_sort_onesweep_global_offsetsIS3_Lb1EPKjPS5_mNS0_19identity_decomposerEEE10hipError_tT1_T2_PT3_SF_jT4_jjP12ihipStream_tbEUlT_E0_NS1_11comp_targetILNS1_3genE3ELNS1_11target_archE908ELNS1_3gpuE7ELNS1_3repE0EEENS1_52radix_sort_onesweep_histogram_config_static_selectorELNS0_4arch9wavefront6targetE0EEEvSD_.has_dyn_sized_stack, 0
	.set _ZN7rocprim17ROCPRIM_400000_NS6detail17trampoline_kernelINS0_14default_configENS1_35radix_sort_onesweep_config_selectorIjNS0_10empty_typeEEEZNS1_34radix_sort_onesweep_global_offsetsIS3_Lb1EPKjPS5_mNS0_19identity_decomposerEEE10hipError_tT1_T2_PT3_SF_jT4_jjP12ihipStream_tbEUlT_E0_NS1_11comp_targetILNS1_3genE3ELNS1_11target_archE908ELNS1_3gpuE7ELNS1_3repE0EEENS1_52radix_sort_onesweep_histogram_config_static_selectorELNS0_4arch9wavefront6targetE0EEEvSD_.has_recursion, 0
	.set _ZN7rocprim17ROCPRIM_400000_NS6detail17trampoline_kernelINS0_14default_configENS1_35radix_sort_onesweep_config_selectorIjNS0_10empty_typeEEEZNS1_34radix_sort_onesweep_global_offsetsIS3_Lb1EPKjPS5_mNS0_19identity_decomposerEEE10hipError_tT1_T2_PT3_SF_jT4_jjP12ihipStream_tbEUlT_E0_NS1_11comp_targetILNS1_3genE3ELNS1_11target_archE908ELNS1_3gpuE7ELNS1_3repE0EEENS1_52radix_sort_onesweep_histogram_config_static_selectorELNS0_4arch9wavefront6targetE0EEEvSD_.has_indirect_call, 0
	.section	.AMDGPU.csdata,"",@progbits
; Kernel info:
; codeLenInByte = 0
; TotalNumSgprs: 0
; NumVgprs: 0
; ScratchSize: 0
; MemoryBound: 0
; FloatMode: 240
; IeeeMode: 1
; LDSByteSize: 0 bytes/workgroup (compile time only)
; SGPRBlocks: 0
; VGPRBlocks: 0
; NumSGPRsForWavesPerEU: 1
; NumVGPRsForWavesPerEU: 1
; NamedBarCnt: 0
; Occupancy: 16
; WaveLimiterHint : 0
; COMPUTE_PGM_RSRC2:SCRATCH_EN: 0
; COMPUTE_PGM_RSRC2:USER_SGPR: 2
; COMPUTE_PGM_RSRC2:TRAP_HANDLER: 0
; COMPUTE_PGM_RSRC2:TGID_X_EN: 1
; COMPUTE_PGM_RSRC2:TGID_Y_EN: 0
; COMPUTE_PGM_RSRC2:TGID_Z_EN: 0
; COMPUTE_PGM_RSRC2:TIDIG_COMP_CNT: 0
	.section	.text._ZN7rocprim17ROCPRIM_400000_NS6detail17trampoline_kernelINS0_14default_configENS1_35radix_sort_onesweep_config_selectorIjNS0_10empty_typeEEEZNS1_34radix_sort_onesweep_global_offsetsIS3_Lb1EPKjPS5_mNS0_19identity_decomposerEEE10hipError_tT1_T2_PT3_SF_jT4_jjP12ihipStream_tbEUlT_E0_NS1_11comp_targetILNS1_3genE10ELNS1_11target_archE1201ELNS1_3gpuE5ELNS1_3repE0EEENS1_52radix_sort_onesweep_histogram_config_static_selectorELNS0_4arch9wavefront6targetE0EEEvSD_,"axG",@progbits,_ZN7rocprim17ROCPRIM_400000_NS6detail17trampoline_kernelINS0_14default_configENS1_35radix_sort_onesweep_config_selectorIjNS0_10empty_typeEEEZNS1_34radix_sort_onesweep_global_offsetsIS3_Lb1EPKjPS5_mNS0_19identity_decomposerEEE10hipError_tT1_T2_PT3_SF_jT4_jjP12ihipStream_tbEUlT_E0_NS1_11comp_targetILNS1_3genE10ELNS1_11target_archE1201ELNS1_3gpuE5ELNS1_3repE0EEENS1_52radix_sort_onesweep_histogram_config_static_selectorELNS0_4arch9wavefront6targetE0EEEvSD_,comdat
	.protected	_ZN7rocprim17ROCPRIM_400000_NS6detail17trampoline_kernelINS0_14default_configENS1_35radix_sort_onesweep_config_selectorIjNS0_10empty_typeEEEZNS1_34radix_sort_onesweep_global_offsetsIS3_Lb1EPKjPS5_mNS0_19identity_decomposerEEE10hipError_tT1_T2_PT3_SF_jT4_jjP12ihipStream_tbEUlT_E0_NS1_11comp_targetILNS1_3genE10ELNS1_11target_archE1201ELNS1_3gpuE5ELNS1_3repE0EEENS1_52radix_sort_onesweep_histogram_config_static_selectorELNS0_4arch9wavefront6targetE0EEEvSD_ ; -- Begin function _ZN7rocprim17ROCPRIM_400000_NS6detail17trampoline_kernelINS0_14default_configENS1_35radix_sort_onesweep_config_selectorIjNS0_10empty_typeEEEZNS1_34radix_sort_onesweep_global_offsetsIS3_Lb1EPKjPS5_mNS0_19identity_decomposerEEE10hipError_tT1_T2_PT3_SF_jT4_jjP12ihipStream_tbEUlT_E0_NS1_11comp_targetILNS1_3genE10ELNS1_11target_archE1201ELNS1_3gpuE5ELNS1_3repE0EEENS1_52radix_sort_onesweep_histogram_config_static_selectorELNS0_4arch9wavefront6targetE0EEEvSD_
	.globl	_ZN7rocprim17ROCPRIM_400000_NS6detail17trampoline_kernelINS0_14default_configENS1_35radix_sort_onesweep_config_selectorIjNS0_10empty_typeEEEZNS1_34radix_sort_onesweep_global_offsetsIS3_Lb1EPKjPS5_mNS0_19identity_decomposerEEE10hipError_tT1_T2_PT3_SF_jT4_jjP12ihipStream_tbEUlT_E0_NS1_11comp_targetILNS1_3genE10ELNS1_11target_archE1201ELNS1_3gpuE5ELNS1_3repE0EEENS1_52radix_sort_onesweep_histogram_config_static_selectorELNS0_4arch9wavefront6targetE0EEEvSD_
	.p2align	8
	.type	_ZN7rocprim17ROCPRIM_400000_NS6detail17trampoline_kernelINS0_14default_configENS1_35radix_sort_onesweep_config_selectorIjNS0_10empty_typeEEEZNS1_34radix_sort_onesweep_global_offsetsIS3_Lb1EPKjPS5_mNS0_19identity_decomposerEEE10hipError_tT1_T2_PT3_SF_jT4_jjP12ihipStream_tbEUlT_E0_NS1_11comp_targetILNS1_3genE10ELNS1_11target_archE1201ELNS1_3gpuE5ELNS1_3repE0EEENS1_52radix_sort_onesweep_histogram_config_static_selectorELNS0_4arch9wavefront6targetE0EEEvSD_,@function
_ZN7rocprim17ROCPRIM_400000_NS6detail17trampoline_kernelINS0_14default_configENS1_35radix_sort_onesweep_config_selectorIjNS0_10empty_typeEEEZNS1_34radix_sort_onesweep_global_offsetsIS3_Lb1EPKjPS5_mNS0_19identity_decomposerEEE10hipError_tT1_T2_PT3_SF_jT4_jjP12ihipStream_tbEUlT_E0_NS1_11comp_targetILNS1_3genE10ELNS1_11target_archE1201ELNS1_3gpuE5ELNS1_3repE0EEENS1_52radix_sort_onesweep_histogram_config_static_selectorELNS0_4arch9wavefront6targetE0EEEvSD_: ; @_ZN7rocprim17ROCPRIM_400000_NS6detail17trampoline_kernelINS0_14default_configENS1_35radix_sort_onesweep_config_selectorIjNS0_10empty_typeEEEZNS1_34radix_sort_onesweep_global_offsetsIS3_Lb1EPKjPS5_mNS0_19identity_decomposerEEE10hipError_tT1_T2_PT3_SF_jT4_jjP12ihipStream_tbEUlT_E0_NS1_11comp_targetILNS1_3genE10ELNS1_11target_archE1201ELNS1_3gpuE5ELNS1_3repE0EEENS1_52radix_sort_onesweep_histogram_config_static_selectorELNS0_4arch9wavefront6targetE0EEEvSD_
; %bb.0:
	.section	.rodata,"a",@progbits
	.p2align	6, 0x0
	.amdhsa_kernel _ZN7rocprim17ROCPRIM_400000_NS6detail17trampoline_kernelINS0_14default_configENS1_35radix_sort_onesweep_config_selectorIjNS0_10empty_typeEEEZNS1_34radix_sort_onesweep_global_offsetsIS3_Lb1EPKjPS5_mNS0_19identity_decomposerEEE10hipError_tT1_T2_PT3_SF_jT4_jjP12ihipStream_tbEUlT_E0_NS1_11comp_targetILNS1_3genE10ELNS1_11target_archE1201ELNS1_3gpuE5ELNS1_3repE0EEENS1_52radix_sort_onesweep_histogram_config_static_selectorELNS0_4arch9wavefront6targetE0EEEvSD_
		.amdhsa_group_segment_fixed_size 0
		.amdhsa_private_segment_fixed_size 0
		.amdhsa_kernarg_size 8
		.amdhsa_user_sgpr_count 2
		.amdhsa_user_sgpr_dispatch_ptr 0
		.amdhsa_user_sgpr_queue_ptr 0
		.amdhsa_user_sgpr_kernarg_segment_ptr 1
		.amdhsa_user_sgpr_dispatch_id 0
		.amdhsa_user_sgpr_kernarg_preload_length 0
		.amdhsa_user_sgpr_kernarg_preload_offset 0
		.amdhsa_user_sgpr_private_segment_size 0
		.amdhsa_wavefront_size32 1
		.amdhsa_uses_dynamic_stack 0
		.amdhsa_enable_private_segment 0
		.amdhsa_system_sgpr_workgroup_id_x 1
		.amdhsa_system_sgpr_workgroup_id_y 0
		.amdhsa_system_sgpr_workgroup_id_z 0
		.amdhsa_system_sgpr_workgroup_info 0
		.amdhsa_system_vgpr_workitem_id 0
		.amdhsa_next_free_vgpr 1
		.amdhsa_next_free_sgpr 1
		.amdhsa_named_barrier_count 0
		.amdhsa_reserve_vcc 0
		.amdhsa_float_round_mode_32 0
		.amdhsa_float_round_mode_16_64 0
		.amdhsa_float_denorm_mode_32 3
		.amdhsa_float_denorm_mode_16_64 3
		.amdhsa_fp16_overflow 0
		.amdhsa_memory_ordered 1
		.amdhsa_forward_progress 1
		.amdhsa_inst_pref_size 0
		.amdhsa_round_robin_scheduling 0
		.amdhsa_exception_fp_ieee_invalid_op 0
		.amdhsa_exception_fp_denorm_src 0
		.amdhsa_exception_fp_ieee_div_zero 0
		.amdhsa_exception_fp_ieee_overflow 0
		.amdhsa_exception_fp_ieee_underflow 0
		.amdhsa_exception_fp_ieee_inexact 0
		.amdhsa_exception_int_div_zero 0
	.end_amdhsa_kernel
	.section	.text._ZN7rocprim17ROCPRIM_400000_NS6detail17trampoline_kernelINS0_14default_configENS1_35radix_sort_onesweep_config_selectorIjNS0_10empty_typeEEEZNS1_34radix_sort_onesweep_global_offsetsIS3_Lb1EPKjPS5_mNS0_19identity_decomposerEEE10hipError_tT1_T2_PT3_SF_jT4_jjP12ihipStream_tbEUlT_E0_NS1_11comp_targetILNS1_3genE10ELNS1_11target_archE1201ELNS1_3gpuE5ELNS1_3repE0EEENS1_52radix_sort_onesweep_histogram_config_static_selectorELNS0_4arch9wavefront6targetE0EEEvSD_,"axG",@progbits,_ZN7rocprim17ROCPRIM_400000_NS6detail17trampoline_kernelINS0_14default_configENS1_35radix_sort_onesweep_config_selectorIjNS0_10empty_typeEEEZNS1_34radix_sort_onesweep_global_offsetsIS3_Lb1EPKjPS5_mNS0_19identity_decomposerEEE10hipError_tT1_T2_PT3_SF_jT4_jjP12ihipStream_tbEUlT_E0_NS1_11comp_targetILNS1_3genE10ELNS1_11target_archE1201ELNS1_3gpuE5ELNS1_3repE0EEENS1_52radix_sort_onesweep_histogram_config_static_selectorELNS0_4arch9wavefront6targetE0EEEvSD_,comdat
.Lfunc_end2622:
	.size	_ZN7rocprim17ROCPRIM_400000_NS6detail17trampoline_kernelINS0_14default_configENS1_35radix_sort_onesweep_config_selectorIjNS0_10empty_typeEEEZNS1_34radix_sort_onesweep_global_offsetsIS3_Lb1EPKjPS5_mNS0_19identity_decomposerEEE10hipError_tT1_T2_PT3_SF_jT4_jjP12ihipStream_tbEUlT_E0_NS1_11comp_targetILNS1_3genE10ELNS1_11target_archE1201ELNS1_3gpuE5ELNS1_3repE0EEENS1_52radix_sort_onesweep_histogram_config_static_selectorELNS0_4arch9wavefront6targetE0EEEvSD_, .Lfunc_end2622-_ZN7rocprim17ROCPRIM_400000_NS6detail17trampoline_kernelINS0_14default_configENS1_35radix_sort_onesweep_config_selectorIjNS0_10empty_typeEEEZNS1_34radix_sort_onesweep_global_offsetsIS3_Lb1EPKjPS5_mNS0_19identity_decomposerEEE10hipError_tT1_T2_PT3_SF_jT4_jjP12ihipStream_tbEUlT_E0_NS1_11comp_targetILNS1_3genE10ELNS1_11target_archE1201ELNS1_3gpuE5ELNS1_3repE0EEENS1_52radix_sort_onesweep_histogram_config_static_selectorELNS0_4arch9wavefront6targetE0EEEvSD_
                                        ; -- End function
	.set _ZN7rocprim17ROCPRIM_400000_NS6detail17trampoline_kernelINS0_14default_configENS1_35radix_sort_onesweep_config_selectorIjNS0_10empty_typeEEEZNS1_34radix_sort_onesweep_global_offsetsIS3_Lb1EPKjPS5_mNS0_19identity_decomposerEEE10hipError_tT1_T2_PT3_SF_jT4_jjP12ihipStream_tbEUlT_E0_NS1_11comp_targetILNS1_3genE10ELNS1_11target_archE1201ELNS1_3gpuE5ELNS1_3repE0EEENS1_52radix_sort_onesweep_histogram_config_static_selectorELNS0_4arch9wavefront6targetE0EEEvSD_.num_vgpr, 0
	.set _ZN7rocprim17ROCPRIM_400000_NS6detail17trampoline_kernelINS0_14default_configENS1_35radix_sort_onesweep_config_selectorIjNS0_10empty_typeEEEZNS1_34radix_sort_onesweep_global_offsetsIS3_Lb1EPKjPS5_mNS0_19identity_decomposerEEE10hipError_tT1_T2_PT3_SF_jT4_jjP12ihipStream_tbEUlT_E0_NS1_11comp_targetILNS1_3genE10ELNS1_11target_archE1201ELNS1_3gpuE5ELNS1_3repE0EEENS1_52radix_sort_onesweep_histogram_config_static_selectorELNS0_4arch9wavefront6targetE0EEEvSD_.num_agpr, 0
	.set _ZN7rocprim17ROCPRIM_400000_NS6detail17trampoline_kernelINS0_14default_configENS1_35radix_sort_onesweep_config_selectorIjNS0_10empty_typeEEEZNS1_34radix_sort_onesweep_global_offsetsIS3_Lb1EPKjPS5_mNS0_19identity_decomposerEEE10hipError_tT1_T2_PT3_SF_jT4_jjP12ihipStream_tbEUlT_E0_NS1_11comp_targetILNS1_3genE10ELNS1_11target_archE1201ELNS1_3gpuE5ELNS1_3repE0EEENS1_52radix_sort_onesweep_histogram_config_static_selectorELNS0_4arch9wavefront6targetE0EEEvSD_.numbered_sgpr, 0
	.set _ZN7rocprim17ROCPRIM_400000_NS6detail17trampoline_kernelINS0_14default_configENS1_35radix_sort_onesweep_config_selectorIjNS0_10empty_typeEEEZNS1_34radix_sort_onesweep_global_offsetsIS3_Lb1EPKjPS5_mNS0_19identity_decomposerEEE10hipError_tT1_T2_PT3_SF_jT4_jjP12ihipStream_tbEUlT_E0_NS1_11comp_targetILNS1_3genE10ELNS1_11target_archE1201ELNS1_3gpuE5ELNS1_3repE0EEENS1_52radix_sort_onesweep_histogram_config_static_selectorELNS0_4arch9wavefront6targetE0EEEvSD_.num_named_barrier, 0
	.set _ZN7rocprim17ROCPRIM_400000_NS6detail17trampoline_kernelINS0_14default_configENS1_35radix_sort_onesweep_config_selectorIjNS0_10empty_typeEEEZNS1_34radix_sort_onesweep_global_offsetsIS3_Lb1EPKjPS5_mNS0_19identity_decomposerEEE10hipError_tT1_T2_PT3_SF_jT4_jjP12ihipStream_tbEUlT_E0_NS1_11comp_targetILNS1_3genE10ELNS1_11target_archE1201ELNS1_3gpuE5ELNS1_3repE0EEENS1_52radix_sort_onesweep_histogram_config_static_selectorELNS0_4arch9wavefront6targetE0EEEvSD_.private_seg_size, 0
	.set _ZN7rocprim17ROCPRIM_400000_NS6detail17trampoline_kernelINS0_14default_configENS1_35radix_sort_onesweep_config_selectorIjNS0_10empty_typeEEEZNS1_34radix_sort_onesweep_global_offsetsIS3_Lb1EPKjPS5_mNS0_19identity_decomposerEEE10hipError_tT1_T2_PT3_SF_jT4_jjP12ihipStream_tbEUlT_E0_NS1_11comp_targetILNS1_3genE10ELNS1_11target_archE1201ELNS1_3gpuE5ELNS1_3repE0EEENS1_52radix_sort_onesweep_histogram_config_static_selectorELNS0_4arch9wavefront6targetE0EEEvSD_.uses_vcc, 0
	.set _ZN7rocprim17ROCPRIM_400000_NS6detail17trampoline_kernelINS0_14default_configENS1_35radix_sort_onesweep_config_selectorIjNS0_10empty_typeEEEZNS1_34radix_sort_onesweep_global_offsetsIS3_Lb1EPKjPS5_mNS0_19identity_decomposerEEE10hipError_tT1_T2_PT3_SF_jT4_jjP12ihipStream_tbEUlT_E0_NS1_11comp_targetILNS1_3genE10ELNS1_11target_archE1201ELNS1_3gpuE5ELNS1_3repE0EEENS1_52radix_sort_onesweep_histogram_config_static_selectorELNS0_4arch9wavefront6targetE0EEEvSD_.uses_flat_scratch, 0
	.set _ZN7rocprim17ROCPRIM_400000_NS6detail17trampoline_kernelINS0_14default_configENS1_35radix_sort_onesweep_config_selectorIjNS0_10empty_typeEEEZNS1_34radix_sort_onesweep_global_offsetsIS3_Lb1EPKjPS5_mNS0_19identity_decomposerEEE10hipError_tT1_T2_PT3_SF_jT4_jjP12ihipStream_tbEUlT_E0_NS1_11comp_targetILNS1_3genE10ELNS1_11target_archE1201ELNS1_3gpuE5ELNS1_3repE0EEENS1_52radix_sort_onesweep_histogram_config_static_selectorELNS0_4arch9wavefront6targetE0EEEvSD_.has_dyn_sized_stack, 0
	.set _ZN7rocprim17ROCPRIM_400000_NS6detail17trampoline_kernelINS0_14default_configENS1_35radix_sort_onesweep_config_selectorIjNS0_10empty_typeEEEZNS1_34radix_sort_onesweep_global_offsetsIS3_Lb1EPKjPS5_mNS0_19identity_decomposerEEE10hipError_tT1_T2_PT3_SF_jT4_jjP12ihipStream_tbEUlT_E0_NS1_11comp_targetILNS1_3genE10ELNS1_11target_archE1201ELNS1_3gpuE5ELNS1_3repE0EEENS1_52radix_sort_onesweep_histogram_config_static_selectorELNS0_4arch9wavefront6targetE0EEEvSD_.has_recursion, 0
	.set _ZN7rocprim17ROCPRIM_400000_NS6detail17trampoline_kernelINS0_14default_configENS1_35radix_sort_onesweep_config_selectorIjNS0_10empty_typeEEEZNS1_34radix_sort_onesweep_global_offsetsIS3_Lb1EPKjPS5_mNS0_19identity_decomposerEEE10hipError_tT1_T2_PT3_SF_jT4_jjP12ihipStream_tbEUlT_E0_NS1_11comp_targetILNS1_3genE10ELNS1_11target_archE1201ELNS1_3gpuE5ELNS1_3repE0EEENS1_52radix_sort_onesweep_histogram_config_static_selectorELNS0_4arch9wavefront6targetE0EEEvSD_.has_indirect_call, 0
	.section	.AMDGPU.csdata,"",@progbits
; Kernel info:
; codeLenInByte = 0
; TotalNumSgprs: 0
; NumVgprs: 0
; ScratchSize: 0
; MemoryBound: 0
; FloatMode: 240
; IeeeMode: 1
; LDSByteSize: 0 bytes/workgroup (compile time only)
; SGPRBlocks: 0
; VGPRBlocks: 0
; NumSGPRsForWavesPerEU: 1
; NumVGPRsForWavesPerEU: 1
; NamedBarCnt: 0
; Occupancy: 16
; WaveLimiterHint : 0
; COMPUTE_PGM_RSRC2:SCRATCH_EN: 0
; COMPUTE_PGM_RSRC2:USER_SGPR: 2
; COMPUTE_PGM_RSRC2:TRAP_HANDLER: 0
; COMPUTE_PGM_RSRC2:TGID_X_EN: 1
; COMPUTE_PGM_RSRC2:TGID_Y_EN: 0
; COMPUTE_PGM_RSRC2:TGID_Z_EN: 0
; COMPUTE_PGM_RSRC2:TIDIG_COMP_CNT: 0
	.section	.text._ZN7rocprim17ROCPRIM_400000_NS6detail17trampoline_kernelINS0_14default_configENS1_35radix_sort_onesweep_config_selectorIjNS0_10empty_typeEEEZNS1_34radix_sort_onesweep_global_offsetsIS3_Lb1EPKjPS5_mNS0_19identity_decomposerEEE10hipError_tT1_T2_PT3_SF_jT4_jjP12ihipStream_tbEUlT_E0_NS1_11comp_targetILNS1_3genE9ELNS1_11target_archE1100ELNS1_3gpuE3ELNS1_3repE0EEENS1_52radix_sort_onesweep_histogram_config_static_selectorELNS0_4arch9wavefront6targetE0EEEvSD_,"axG",@progbits,_ZN7rocprim17ROCPRIM_400000_NS6detail17trampoline_kernelINS0_14default_configENS1_35radix_sort_onesweep_config_selectorIjNS0_10empty_typeEEEZNS1_34radix_sort_onesweep_global_offsetsIS3_Lb1EPKjPS5_mNS0_19identity_decomposerEEE10hipError_tT1_T2_PT3_SF_jT4_jjP12ihipStream_tbEUlT_E0_NS1_11comp_targetILNS1_3genE9ELNS1_11target_archE1100ELNS1_3gpuE3ELNS1_3repE0EEENS1_52radix_sort_onesweep_histogram_config_static_selectorELNS0_4arch9wavefront6targetE0EEEvSD_,comdat
	.protected	_ZN7rocprim17ROCPRIM_400000_NS6detail17trampoline_kernelINS0_14default_configENS1_35radix_sort_onesweep_config_selectorIjNS0_10empty_typeEEEZNS1_34radix_sort_onesweep_global_offsetsIS3_Lb1EPKjPS5_mNS0_19identity_decomposerEEE10hipError_tT1_T2_PT3_SF_jT4_jjP12ihipStream_tbEUlT_E0_NS1_11comp_targetILNS1_3genE9ELNS1_11target_archE1100ELNS1_3gpuE3ELNS1_3repE0EEENS1_52radix_sort_onesweep_histogram_config_static_selectorELNS0_4arch9wavefront6targetE0EEEvSD_ ; -- Begin function _ZN7rocprim17ROCPRIM_400000_NS6detail17trampoline_kernelINS0_14default_configENS1_35radix_sort_onesweep_config_selectorIjNS0_10empty_typeEEEZNS1_34radix_sort_onesweep_global_offsetsIS3_Lb1EPKjPS5_mNS0_19identity_decomposerEEE10hipError_tT1_T2_PT3_SF_jT4_jjP12ihipStream_tbEUlT_E0_NS1_11comp_targetILNS1_3genE9ELNS1_11target_archE1100ELNS1_3gpuE3ELNS1_3repE0EEENS1_52radix_sort_onesweep_histogram_config_static_selectorELNS0_4arch9wavefront6targetE0EEEvSD_
	.globl	_ZN7rocprim17ROCPRIM_400000_NS6detail17trampoline_kernelINS0_14default_configENS1_35radix_sort_onesweep_config_selectorIjNS0_10empty_typeEEEZNS1_34radix_sort_onesweep_global_offsetsIS3_Lb1EPKjPS5_mNS0_19identity_decomposerEEE10hipError_tT1_T2_PT3_SF_jT4_jjP12ihipStream_tbEUlT_E0_NS1_11comp_targetILNS1_3genE9ELNS1_11target_archE1100ELNS1_3gpuE3ELNS1_3repE0EEENS1_52radix_sort_onesweep_histogram_config_static_selectorELNS0_4arch9wavefront6targetE0EEEvSD_
	.p2align	8
	.type	_ZN7rocprim17ROCPRIM_400000_NS6detail17trampoline_kernelINS0_14default_configENS1_35radix_sort_onesweep_config_selectorIjNS0_10empty_typeEEEZNS1_34radix_sort_onesweep_global_offsetsIS3_Lb1EPKjPS5_mNS0_19identity_decomposerEEE10hipError_tT1_T2_PT3_SF_jT4_jjP12ihipStream_tbEUlT_E0_NS1_11comp_targetILNS1_3genE9ELNS1_11target_archE1100ELNS1_3gpuE3ELNS1_3repE0EEENS1_52radix_sort_onesweep_histogram_config_static_selectorELNS0_4arch9wavefront6targetE0EEEvSD_,@function
_ZN7rocprim17ROCPRIM_400000_NS6detail17trampoline_kernelINS0_14default_configENS1_35radix_sort_onesweep_config_selectorIjNS0_10empty_typeEEEZNS1_34radix_sort_onesweep_global_offsetsIS3_Lb1EPKjPS5_mNS0_19identity_decomposerEEE10hipError_tT1_T2_PT3_SF_jT4_jjP12ihipStream_tbEUlT_E0_NS1_11comp_targetILNS1_3genE9ELNS1_11target_archE1100ELNS1_3gpuE3ELNS1_3repE0EEENS1_52radix_sort_onesweep_histogram_config_static_selectorELNS0_4arch9wavefront6targetE0EEEvSD_: ; @_ZN7rocprim17ROCPRIM_400000_NS6detail17trampoline_kernelINS0_14default_configENS1_35radix_sort_onesweep_config_selectorIjNS0_10empty_typeEEEZNS1_34radix_sort_onesweep_global_offsetsIS3_Lb1EPKjPS5_mNS0_19identity_decomposerEEE10hipError_tT1_T2_PT3_SF_jT4_jjP12ihipStream_tbEUlT_E0_NS1_11comp_targetILNS1_3genE9ELNS1_11target_archE1100ELNS1_3gpuE3ELNS1_3repE0EEENS1_52radix_sort_onesweep_histogram_config_static_selectorELNS0_4arch9wavefront6targetE0EEEvSD_
; %bb.0:
	.section	.rodata,"a",@progbits
	.p2align	6, 0x0
	.amdhsa_kernel _ZN7rocprim17ROCPRIM_400000_NS6detail17trampoline_kernelINS0_14default_configENS1_35radix_sort_onesweep_config_selectorIjNS0_10empty_typeEEEZNS1_34radix_sort_onesweep_global_offsetsIS3_Lb1EPKjPS5_mNS0_19identity_decomposerEEE10hipError_tT1_T2_PT3_SF_jT4_jjP12ihipStream_tbEUlT_E0_NS1_11comp_targetILNS1_3genE9ELNS1_11target_archE1100ELNS1_3gpuE3ELNS1_3repE0EEENS1_52radix_sort_onesweep_histogram_config_static_selectorELNS0_4arch9wavefront6targetE0EEEvSD_
		.amdhsa_group_segment_fixed_size 0
		.amdhsa_private_segment_fixed_size 0
		.amdhsa_kernarg_size 8
		.amdhsa_user_sgpr_count 2
		.amdhsa_user_sgpr_dispatch_ptr 0
		.amdhsa_user_sgpr_queue_ptr 0
		.amdhsa_user_sgpr_kernarg_segment_ptr 1
		.amdhsa_user_sgpr_dispatch_id 0
		.amdhsa_user_sgpr_kernarg_preload_length 0
		.amdhsa_user_sgpr_kernarg_preload_offset 0
		.amdhsa_user_sgpr_private_segment_size 0
		.amdhsa_wavefront_size32 1
		.amdhsa_uses_dynamic_stack 0
		.amdhsa_enable_private_segment 0
		.amdhsa_system_sgpr_workgroup_id_x 1
		.amdhsa_system_sgpr_workgroup_id_y 0
		.amdhsa_system_sgpr_workgroup_id_z 0
		.amdhsa_system_sgpr_workgroup_info 0
		.amdhsa_system_vgpr_workitem_id 0
		.amdhsa_next_free_vgpr 1
		.amdhsa_next_free_sgpr 1
		.amdhsa_named_barrier_count 0
		.amdhsa_reserve_vcc 0
		.amdhsa_float_round_mode_32 0
		.amdhsa_float_round_mode_16_64 0
		.amdhsa_float_denorm_mode_32 3
		.amdhsa_float_denorm_mode_16_64 3
		.amdhsa_fp16_overflow 0
		.amdhsa_memory_ordered 1
		.amdhsa_forward_progress 1
		.amdhsa_inst_pref_size 0
		.amdhsa_round_robin_scheduling 0
		.amdhsa_exception_fp_ieee_invalid_op 0
		.amdhsa_exception_fp_denorm_src 0
		.amdhsa_exception_fp_ieee_div_zero 0
		.amdhsa_exception_fp_ieee_overflow 0
		.amdhsa_exception_fp_ieee_underflow 0
		.amdhsa_exception_fp_ieee_inexact 0
		.amdhsa_exception_int_div_zero 0
	.end_amdhsa_kernel
	.section	.text._ZN7rocprim17ROCPRIM_400000_NS6detail17trampoline_kernelINS0_14default_configENS1_35radix_sort_onesweep_config_selectorIjNS0_10empty_typeEEEZNS1_34radix_sort_onesweep_global_offsetsIS3_Lb1EPKjPS5_mNS0_19identity_decomposerEEE10hipError_tT1_T2_PT3_SF_jT4_jjP12ihipStream_tbEUlT_E0_NS1_11comp_targetILNS1_3genE9ELNS1_11target_archE1100ELNS1_3gpuE3ELNS1_3repE0EEENS1_52radix_sort_onesweep_histogram_config_static_selectorELNS0_4arch9wavefront6targetE0EEEvSD_,"axG",@progbits,_ZN7rocprim17ROCPRIM_400000_NS6detail17trampoline_kernelINS0_14default_configENS1_35radix_sort_onesweep_config_selectorIjNS0_10empty_typeEEEZNS1_34radix_sort_onesweep_global_offsetsIS3_Lb1EPKjPS5_mNS0_19identity_decomposerEEE10hipError_tT1_T2_PT3_SF_jT4_jjP12ihipStream_tbEUlT_E0_NS1_11comp_targetILNS1_3genE9ELNS1_11target_archE1100ELNS1_3gpuE3ELNS1_3repE0EEENS1_52radix_sort_onesweep_histogram_config_static_selectorELNS0_4arch9wavefront6targetE0EEEvSD_,comdat
.Lfunc_end2623:
	.size	_ZN7rocprim17ROCPRIM_400000_NS6detail17trampoline_kernelINS0_14default_configENS1_35radix_sort_onesweep_config_selectorIjNS0_10empty_typeEEEZNS1_34radix_sort_onesweep_global_offsetsIS3_Lb1EPKjPS5_mNS0_19identity_decomposerEEE10hipError_tT1_T2_PT3_SF_jT4_jjP12ihipStream_tbEUlT_E0_NS1_11comp_targetILNS1_3genE9ELNS1_11target_archE1100ELNS1_3gpuE3ELNS1_3repE0EEENS1_52radix_sort_onesweep_histogram_config_static_selectorELNS0_4arch9wavefront6targetE0EEEvSD_, .Lfunc_end2623-_ZN7rocprim17ROCPRIM_400000_NS6detail17trampoline_kernelINS0_14default_configENS1_35radix_sort_onesweep_config_selectorIjNS0_10empty_typeEEEZNS1_34radix_sort_onesweep_global_offsetsIS3_Lb1EPKjPS5_mNS0_19identity_decomposerEEE10hipError_tT1_T2_PT3_SF_jT4_jjP12ihipStream_tbEUlT_E0_NS1_11comp_targetILNS1_3genE9ELNS1_11target_archE1100ELNS1_3gpuE3ELNS1_3repE0EEENS1_52radix_sort_onesweep_histogram_config_static_selectorELNS0_4arch9wavefront6targetE0EEEvSD_
                                        ; -- End function
	.set _ZN7rocprim17ROCPRIM_400000_NS6detail17trampoline_kernelINS0_14default_configENS1_35radix_sort_onesweep_config_selectorIjNS0_10empty_typeEEEZNS1_34radix_sort_onesweep_global_offsetsIS3_Lb1EPKjPS5_mNS0_19identity_decomposerEEE10hipError_tT1_T2_PT3_SF_jT4_jjP12ihipStream_tbEUlT_E0_NS1_11comp_targetILNS1_3genE9ELNS1_11target_archE1100ELNS1_3gpuE3ELNS1_3repE0EEENS1_52radix_sort_onesweep_histogram_config_static_selectorELNS0_4arch9wavefront6targetE0EEEvSD_.num_vgpr, 0
	.set _ZN7rocprim17ROCPRIM_400000_NS6detail17trampoline_kernelINS0_14default_configENS1_35radix_sort_onesweep_config_selectorIjNS0_10empty_typeEEEZNS1_34radix_sort_onesweep_global_offsetsIS3_Lb1EPKjPS5_mNS0_19identity_decomposerEEE10hipError_tT1_T2_PT3_SF_jT4_jjP12ihipStream_tbEUlT_E0_NS1_11comp_targetILNS1_3genE9ELNS1_11target_archE1100ELNS1_3gpuE3ELNS1_3repE0EEENS1_52radix_sort_onesweep_histogram_config_static_selectorELNS0_4arch9wavefront6targetE0EEEvSD_.num_agpr, 0
	.set _ZN7rocprim17ROCPRIM_400000_NS6detail17trampoline_kernelINS0_14default_configENS1_35radix_sort_onesweep_config_selectorIjNS0_10empty_typeEEEZNS1_34radix_sort_onesweep_global_offsetsIS3_Lb1EPKjPS5_mNS0_19identity_decomposerEEE10hipError_tT1_T2_PT3_SF_jT4_jjP12ihipStream_tbEUlT_E0_NS1_11comp_targetILNS1_3genE9ELNS1_11target_archE1100ELNS1_3gpuE3ELNS1_3repE0EEENS1_52radix_sort_onesweep_histogram_config_static_selectorELNS0_4arch9wavefront6targetE0EEEvSD_.numbered_sgpr, 0
	.set _ZN7rocprim17ROCPRIM_400000_NS6detail17trampoline_kernelINS0_14default_configENS1_35radix_sort_onesweep_config_selectorIjNS0_10empty_typeEEEZNS1_34radix_sort_onesweep_global_offsetsIS3_Lb1EPKjPS5_mNS0_19identity_decomposerEEE10hipError_tT1_T2_PT3_SF_jT4_jjP12ihipStream_tbEUlT_E0_NS1_11comp_targetILNS1_3genE9ELNS1_11target_archE1100ELNS1_3gpuE3ELNS1_3repE0EEENS1_52radix_sort_onesweep_histogram_config_static_selectorELNS0_4arch9wavefront6targetE0EEEvSD_.num_named_barrier, 0
	.set _ZN7rocprim17ROCPRIM_400000_NS6detail17trampoline_kernelINS0_14default_configENS1_35radix_sort_onesweep_config_selectorIjNS0_10empty_typeEEEZNS1_34radix_sort_onesweep_global_offsetsIS3_Lb1EPKjPS5_mNS0_19identity_decomposerEEE10hipError_tT1_T2_PT3_SF_jT4_jjP12ihipStream_tbEUlT_E0_NS1_11comp_targetILNS1_3genE9ELNS1_11target_archE1100ELNS1_3gpuE3ELNS1_3repE0EEENS1_52radix_sort_onesweep_histogram_config_static_selectorELNS0_4arch9wavefront6targetE0EEEvSD_.private_seg_size, 0
	.set _ZN7rocprim17ROCPRIM_400000_NS6detail17trampoline_kernelINS0_14default_configENS1_35radix_sort_onesweep_config_selectorIjNS0_10empty_typeEEEZNS1_34radix_sort_onesweep_global_offsetsIS3_Lb1EPKjPS5_mNS0_19identity_decomposerEEE10hipError_tT1_T2_PT3_SF_jT4_jjP12ihipStream_tbEUlT_E0_NS1_11comp_targetILNS1_3genE9ELNS1_11target_archE1100ELNS1_3gpuE3ELNS1_3repE0EEENS1_52radix_sort_onesweep_histogram_config_static_selectorELNS0_4arch9wavefront6targetE0EEEvSD_.uses_vcc, 0
	.set _ZN7rocprim17ROCPRIM_400000_NS6detail17trampoline_kernelINS0_14default_configENS1_35radix_sort_onesweep_config_selectorIjNS0_10empty_typeEEEZNS1_34radix_sort_onesweep_global_offsetsIS3_Lb1EPKjPS5_mNS0_19identity_decomposerEEE10hipError_tT1_T2_PT3_SF_jT4_jjP12ihipStream_tbEUlT_E0_NS1_11comp_targetILNS1_3genE9ELNS1_11target_archE1100ELNS1_3gpuE3ELNS1_3repE0EEENS1_52radix_sort_onesweep_histogram_config_static_selectorELNS0_4arch9wavefront6targetE0EEEvSD_.uses_flat_scratch, 0
	.set _ZN7rocprim17ROCPRIM_400000_NS6detail17trampoline_kernelINS0_14default_configENS1_35radix_sort_onesweep_config_selectorIjNS0_10empty_typeEEEZNS1_34radix_sort_onesweep_global_offsetsIS3_Lb1EPKjPS5_mNS0_19identity_decomposerEEE10hipError_tT1_T2_PT3_SF_jT4_jjP12ihipStream_tbEUlT_E0_NS1_11comp_targetILNS1_3genE9ELNS1_11target_archE1100ELNS1_3gpuE3ELNS1_3repE0EEENS1_52radix_sort_onesweep_histogram_config_static_selectorELNS0_4arch9wavefront6targetE0EEEvSD_.has_dyn_sized_stack, 0
	.set _ZN7rocprim17ROCPRIM_400000_NS6detail17trampoline_kernelINS0_14default_configENS1_35radix_sort_onesweep_config_selectorIjNS0_10empty_typeEEEZNS1_34radix_sort_onesweep_global_offsetsIS3_Lb1EPKjPS5_mNS0_19identity_decomposerEEE10hipError_tT1_T2_PT3_SF_jT4_jjP12ihipStream_tbEUlT_E0_NS1_11comp_targetILNS1_3genE9ELNS1_11target_archE1100ELNS1_3gpuE3ELNS1_3repE0EEENS1_52radix_sort_onesweep_histogram_config_static_selectorELNS0_4arch9wavefront6targetE0EEEvSD_.has_recursion, 0
	.set _ZN7rocprim17ROCPRIM_400000_NS6detail17trampoline_kernelINS0_14default_configENS1_35radix_sort_onesweep_config_selectorIjNS0_10empty_typeEEEZNS1_34radix_sort_onesweep_global_offsetsIS3_Lb1EPKjPS5_mNS0_19identity_decomposerEEE10hipError_tT1_T2_PT3_SF_jT4_jjP12ihipStream_tbEUlT_E0_NS1_11comp_targetILNS1_3genE9ELNS1_11target_archE1100ELNS1_3gpuE3ELNS1_3repE0EEENS1_52radix_sort_onesweep_histogram_config_static_selectorELNS0_4arch9wavefront6targetE0EEEvSD_.has_indirect_call, 0
	.section	.AMDGPU.csdata,"",@progbits
; Kernel info:
; codeLenInByte = 0
; TotalNumSgprs: 0
; NumVgprs: 0
; ScratchSize: 0
; MemoryBound: 0
; FloatMode: 240
; IeeeMode: 1
; LDSByteSize: 0 bytes/workgroup (compile time only)
; SGPRBlocks: 0
; VGPRBlocks: 0
; NumSGPRsForWavesPerEU: 1
; NumVGPRsForWavesPerEU: 1
; NamedBarCnt: 0
; Occupancy: 16
; WaveLimiterHint : 0
; COMPUTE_PGM_RSRC2:SCRATCH_EN: 0
; COMPUTE_PGM_RSRC2:USER_SGPR: 2
; COMPUTE_PGM_RSRC2:TRAP_HANDLER: 0
; COMPUTE_PGM_RSRC2:TGID_X_EN: 1
; COMPUTE_PGM_RSRC2:TGID_Y_EN: 0
; COMPUTE_PGM_RSRC2:TGID_Z_EN: 0
; COMPUTE_PGM_RSRC2:TIDIG_COMP_CNT: 0
	.section	.text._ZN7rocprim17ROCPRIM_400000_NS6detail17trampoline_kernelINS0_14default_configENS1_35radix_sort_onesweep_config_selectorIjNS0_10empty_typeEEEZNS1_34radix_sort_onesweep_global_offsetsIS3_Lb1EPKjPS5_mNS0_19identity_decomposerEEE10hipError_tT1_T2_PT3_SF_jT4_jjP12ihipStream_tbEUlT_E0_NS1_11comp_targetILNS1_3genE8ELNS1_11target_archE1030ELNS1_3gpuE2ELNS1_3repE0EEENS1_52radix_sort_onesweep_histogram_config_static_selectorELNS0_4arch9wavefront6targetE0EEEvSD_,"axG",@progbits,_ZN7rocprim17ROCPRIM_400000_NS6detail17trampoline_kernelINS0_14default_configENS1_35radix_sort_onesweep_config_selectorIjNS0_10empty_typeEEEZNS1_34radix_sort_onesweep_global_offsetsIS3_Lb1EPKjPS5_mNS0_19identity_decomposerEEE10hipError_tT1_T2_PT3_SF_jT4_jjP12ihipStream_tbEUlT_E0_NS1_11comp_targetILNS1_3genE8ELNS1_11target_archE1030ELNS1_3gpuE2ELNS1_3repE0EEENS1_52radix_sort_onesweep_histogram_config_static_selectorELNS0_4arch9wavefront6targetE0EEEvSD_,comdat
	.protected	_ZN7rocprim17ROCPRIM_400000_NS6detail17trampoline_kernelINS0_14default_configENS1_35radix_sort_onesweep_config_selectorIjNS0_10empty_typeEEEZNS1_34radix_sort_onesweep_global_offsetsIS3_Lb1EPKjPS5_mNS0_19identity_decomposerEEE10hipError_tT1_T2_PT3_SF_jT4_jjP12ihipStream_tbEUlT_E0_NS1_11comp_targetILNS1_3genE8ELNS1_11target_archE1030ELNS1_3gpuE2ELNS1_3repE0EEENS1_52radix_sort_onesweep_histogram_config_static_selectorELNS0_4arch9wavefront6targetE0EEEvSD_ ; -- Begin function _ZN7rocprim17ROCPRIM_400000_NS6detail17trampoline_kernelINS0_14default_configENS1_35radix_sort_onesweep_config_selectorIjNS0_10empty_typeEEEZNS1_34radix_sort_onesweep_global_offsetsIS3_Lb1EPKjPS5_mNS0_19identity_decomposerEEE10hipError_tT1_T2_PT3_SF_jT4_jjP12ihipStream_tbEUlT_E0_NS1_11comp_targetILNS1_3genE8ELNS1_11target_archE1030ELNS1_3gpuE2ELNS1_3repE0EEENS1_52radix_sort_onesweep_histogram_config_static_selectorELNS0_4arch9wavefront6targetE0EEEvSD_
	.globl	_ZN7rocprim17ROCPRIM_400000_NS6detail17trampoline_kernelINS0_14default_configENS1_35radix_sort_onesweep_config_selectorIjNS0_10empty_typeEEEZNS1_34radix_sort_onesweep_global_offsetsIS3_Lb1EPKjPS5_mNS0_19identity_decomposerEEE10hipError_tT1_T2_PT3_SF_jT4_jjP12ihipStream_tbEUlT_E0_NS1_11comp_targetILNS1_3genE8ELNS1_11target_archE1030ELNS1_3gpuE2ELNS1_3repE0EEENS1_52radix_sort_onesweep_histogram_config_static_selectorELNS0_4arch9wavefront6targetE0EEEvSD_
	.p2align	8
	.type	_ZN7rocprim17ROCPRIM_400000_NS6detail17trampoline_kernelINS0_14default_configENS1_35radix_sort_onesweep_config_selectorIjNS0_10empty_typeEEEZNS1_34radix_sort_onesweep_global_offsetsIS3_Lb1EPKjPS5_mNS0_19identity_decomposerEEE10hipError_tT1_T2_PT3_SF_jT4_jjP12ihipStream_tbEUlT_E0_NS1_11comp_targetILNS1_3genE8ELNS1_11target_archE1030ELNS1_3gpuE2ELNS1_3repE0EEENS1_52radix_sort_onesweep_histogram_config_static_selectorELNS0_4arch9wavefront6targetE0EEEvSD_,@function
_ZN7rocprim17ROCPRIM_400000_NS6detail17trampoline_kernelINS0_14default_configENS1_35radix_sort_onesweep_config_selectorIjNS0_10empty_typeEEEZNS1_34radix_sort_onesweep_global_offsetsIS3_Lb1EPKjPS5_mNS0_19identity_decomposerEEE10hipError_tT1_T2_PT3_SF_jT4_jjP12ihipStream_tbEUlT_E0_NS1_11comp_targetILNS1_3genE8ELNS1_11target_archE1030ELNS1_3gpuE2ELNS1_3repE0EEENS1_52radix_sort_onesweep_histogram_config_static_selectorELNS0_4arch9wavefront6targetE0EEEvSD_: ; @_ZN7rocprim17ROCPRIM_400000_NS6detail17trampoline_kernelINS0_14default_configENS1_35radix_sort_onesweep_config_selectorIjNS0_10empty_typeEEEZNS1_34radix_sort_onesweep_global_offsetsIS3_Lb1EPKjPS5_mNS0_19identity_decomposerEEE10hipError_tT1_T2_PT3_SF_jT4_jjP12ihipStream_tbEUlT_E0_NS1_11comp_targetILNS1_3genE8ELNS1_11target_archE1030ELNS1_3gpuE2ELNS1_3repE0EEENS1_52radix_sort_onesweep_histogram_config_static_selectorELNS0_4arch9wavefront6targetE0EEEvSD_
; %bb.0:
	.section	.rodata,"a",@progbits
	.p2align	6, 0x0
	.amdhsa_kernel _ZN7rocprim17ROCPRIM_400000_NS6detail17trampoline_kernelINS0_14default_configENS1_35radix_sort_onesweep_config_selectorIjNS0_10empty_typeEEEZNS1_34radix_sort_onesweep_global_offsetsIS3_Lb1EPKjPS5_mNS0_19identity_decomposerEEE10hipError_tT1_T2_PT3_SF_jT4_jjP12ihipStream_tbEUlT_E0_NS1_11comp_targetILNS1_3genE8ELNS1_11target_archE1030ELNS1_3gpuE2ELNS1_3repE0EEENS1_52radix_sort_onesweep_histogram_config_static_selectorELNS0_4arch9wavefront6targetE0EEEvSD_
		.amdhsa_group_segment_fixed_size 0
		.amdhsa_private_segment_fixed_size 0
		.amdhsa_kernarg_size 8
		.amdhsa_user_sgpr_count 2
		.amdhsa_user_sgpr_dispatch_ptr 0
		.amdhsa_user_sgpr_queue_ptr 0
		.amdhsa_user_sgpr_kernarg_segment_ptr 1
		.amdhsa_user_sgpr_dispatch_id 0
		.amdhsa_user_sgpr_kernarg_preload_length 0
		.amdhsa_user_sgpr_kernarg_preload_offset 0
		.amdhsa_user_sgpr_private_segment_size 0
		.amdhsa_wavefront_size32 1
		.amdhsa_uses_dynamic_stack 0
		.amdhsa_enable_private_segment 0
		.amdhsa_system_sgpr_workgroup_id_x 1
		.amdhsa_system_sgpr_workgroup_id_y 0
		.amdhsa_system_sgpr_workgroup_id_z 0
		.amdhsa_system_sgpr_workgroup_info 0
		.amdhsa_system_vgpr_workitem_id 0
		.amdhsa_next_free_vgpr 1
		.amdhsa_next_free_sgpr 1
		.amdhsa_named_barrier_count 0
		.amdhsa_reserve_vcc 0
		.amdhsa_float_round_mode_32 0
		.amdhsa_float_round_mode_16_64 0
		.amdhsa_float_denorm_mode_32 3
		.amdhsa_float_denorm_mode_16_64 3
		.amdhsa_fp16_overflow 0
		.amdhsa_memory_ordered 1
		.amdhsa_forward_progress 1
		.amdhsa_inst_pref_size 0
		.amdhsa_round_robin_scheduling 0
		.amdhsa_exception_fp_ieee_invalid_op 0
		.amdhsa_exception_fp_denorm_src 0
		.amdhsa_exception_fp_ieee_div_zero 0
		.amdhsa_exception_fp_ieee_overflow 0
		.amdhsa_exception_fp_ieee_underflow 0
		.amdhsa_exception_fp_ieee_inexact 0
		.amdhsa_exception_int_div_zero 0
	.end_amdhsa_kernel
	.section	.text._ZN7rocprim17ROCPRIM_400000_NS6detail17trampoline_kernelINS0_14default_configENS1_35radix_sort_onesweep_config_selectorIjNS0_10empty_typeEEEZNS1_34radix_sort_onesweep_global_offsetsIS3_Lb1EPKjPS5_mNS0_19identity_decomposerEEE10hipError_tT1_T2_PT3_SF_jT4_jjP12ihipStream_tbEUlT_E0_NS1_11comp_targetILNS1_3genE8ELNS1_11target_archE1030ELNS1_3gpuE2ELNS1_3repE0EEENS1_52radix_sort_onesweep_histogram_config_static_selectorELNS0_4arch9wavefront6targetE0EEEvSD_,"axG",@progbits,_ZN7rocprim17ROCPRIM_400000_NS6detail17trampoline_kernelINS0_14default_configENS1_35radix_sort_onesweep_config_selectorIjNS0_10empty_typeEEEZNS1_34radix_sort_onesweep_global_offsetsIS3_Lb1EPKjPS5_mNS0_19identity_decomposerEEE10hipError_tT1_T2_PT3_SF_jT4_jjP12ihipStream_tbEUlT_E0_NS1_11comp_targetILNS1_3genE8ELNS1_11target_archE1030ELNS1_3gpuE2ELNS1_3repE0EEENS1_52radix_sort_onesweep_histogram_config_static_selectorELNS0_4arch9wavefront6targetE0EEEvSD_,comdat
.Lfunc_end2624:
	.size	_ZN7rocprim17ROCPRIM_400000_NS6detail17trampoline_kernelINS0_14default_configENS1_35radix_sort_onesweep_config_selectorIjNS0_10empty_typeEEEZNS1_34radix_sort_onesweep_global_offsetsIS3_Lb1EPKjPS5_mNS0_19identity_decomposerEEE10hipError_tT1_T2_PT3_SF_jT4_jjP12ihipStream_tbEUlT_E0_NS1_11comp_targetILNS1_3genE8ELNS1_11target_archE1030ELNS1_3gpuE2ELNS1_3repE0EEENS1_52radix_sort_onesweep_histogram_config_static_selectorELNS0_4arch9wavefront6targetE0EEEvSD_, .Lfunc_end2624-_ZN7rocprim17ROCPRIM_400000_NS6detail17trampoline_kernelINS0_14default_configENS1_35radix_sort_onesweep_config_selectorIjNS0_10empty_typeEEEZNS1_34radix_sort_onesweep_global_offsetsIS3_Lb1EPKjPS5_mNS0_19identity_decomposerEEE10hipError_tT1_T2_PT3_SF_jT4_jjP12ihipStream_tbEUlT_E0_NS1_11comp_targetILNS1_3genE8ELNS1_11target_archE1030ELNS1_3gpuE2ELNS1_3repE0EEENS1_52radix_sort_onesweep_histogram_config_static_selectorELNS0_4arch9wavefront6targetE0EEEvSD_
                                        ; -- End function
	.set _ZN7rocprim17ROCPRIM_400000_NS6detail17trampoline_kernelINS0_14default_configENS1_35radix_sort_onesweep_config_selectorIjNS0_10empty_typeEEEZNS1_34radix_sort_onesweep_global_offsetsIS3_Lb1EPKjPS5_mNS0_19identity_decomposerEEE10hipError_tT1_T2_PT3_SF_jT4_jjP12ihipStream_tbEUlT_E0_NS1_11comp_targetILNS1_3genE8ELNS1_11target_archE1030ELNS1_3gpuE2ELNS1_3repE0EEENS1_52radix_sort_onesweep_histogram_config_static_selectorELNS0_4arch9wavefront6targetE0EEEvSD_.num_vgpr, 0
	.set _ZN7rocprim17ROCPRIM_400000_NS6detail17trampoline_kernelINS0_14default_configENS1_35radix_sort_onesweep_config_selectorIjNS0_10empty_typeEEEZNS1_34radix_sort_onesweep_global_offsetsIS3_Lb1EPKjPS5_mNS0_19identity_decomposerEEE10hipError_tT1_T2_PT3_SF_jT4_jjP12ihipStream_tbEUlT_E0_NS1_11comp_targetILNS1_3genE8ELNS1_11target_archE1030ELNS1_3gpuE2ELNS1_3repE0EEENS1_52radix_sort_onesweep_histogram_config_static_selectorELNS0_4arch9wavefront6targetE0EEEvSD_.num_agpr, 0
	.set _ZN7rocprim17ROCPRIM_400000_NS6detail17trampoline_kernelINS0_14default_configENS1_35radix_sort_onesweep_config_selectorIjNS0_10empty_typeEEEZNS1_34radix_sort_onesweep_global_offsetsIS3_Lb1EPKjPS5_mNS0_19identity_decomposerEEE10hipError_tT1_T2_PT3_SF_jT4_jjP12ihipStream_tbEUlT_E0_NS1_11comp_targetILNS1_3genE8ELNS1_11target_archE1030ELNS1_3gpuE2ELNS1_3repE0EEENS1_52radix_sort_onesweep_histogram_config_static_selectorELNS0_4arch9wavefront6targetE0EEEvSD_.numbered_sgpr, 0
	.set _ZN7rocprim17ROCPRIM_400000_NS6detail17trampoline_kernelINS0_14default_configENS1_35radix_sort_onesweep_config_selectorIjNS0_10empty_typeEEEZNS1_34radix_sort_onesweep_global_offsetsIS3_Lb1EPKjPS5_mNS0_19identity_decomposerEEE10hipError_tT1_T2_PT3_SF_jT4_jjP12ihipStream_tbEUlT_E0_NS1_11comp_targetILNS1_3genE8ELNS1_11target_archE1030ELNS1_3gpuE2ELNS1_3repE0EEENS1_52radix_sort_onesweep_histogram_config_static_selectorELNS0_4arch9wavefront6targetE0EEEvSD_.num_named_barrier, 0
	.set _ZN7rocprim17ROCPRIM_400000_NS6detail17trampoline_kernelINS0_14default_configENS1_35radix_sort_onesweep_config_selectorIjNS0_10empty_typeEEEZNS1_34radix_sort_onesweep_global_offsetsIS3_Lb1EPKjPS5_mNS0_19identity_decomposerEEE10hipError_tT1_T2_PT3_SF_jT4_jjP12ihipStream_tbEUlT_E0_NS1_11comp_targetILNS1_3genE8ELNS1_11target_archE1030ELNS1_3gpuE2ELNS1_3repE0EEENS1_52radix_sort_onesweep_histogram_config_static_selectorELNS0_4arch9wavefront6targetE0EEEvSD_.private_seg_size, 0
	.set _ZN7rocprim17ROCPRIM_400000_NS6detail17trampoline_kernelINS0_14default_configENS1_35radix_sort_onesweep_config_selectorIjNS0_10empty_typeEEEZNS1_34radix_sort_onesweep_global_offsetsIS3_Lb1EPKjPS5_mNS0_19identity_decomposerEEE10hipError_tT1_T2_PT3_SF_jT4_jjP12ihipStream_tbEUlT_E0_NS1_11comp_targetILNS1_3genE8ELNS1_11target_archE1030ELNS1_3gpuE2ELNS1_3repE0EEENS1_52radix_sort_onesweep_histogram_config_static_selectorELNS0_4arch9wavefront6targetE0EEEvSD_.uses_vcc, 0
	.set _ZN7rocprim17ROCPRIM_400000_NS6detail17trampoline_kernelINS0_14default_configENS1_35radix_sort_onesweep_config_selectorIjNS0_10empty_typeEEEZNS1_34radix_sort_onesweep_global_offsetsIS3_Lb1EPKjPS5_mNS0_19identity_decomposerEEE10hipError_tT1_T2_PT3_SF_jT4_jjP12ihipStream_tbEUlT_E0_NS1_11comp_targetILNS1_3genE8ELNS1_11target_archE1030ELNS1_3gpuE2ELNS1_3repE0EEENS1_52radix_sort_onesweep_histogram_config_static_selectorELNS0_4arch9wavefront6targetE0EEEvSD_.uses_flat_scratch, 0
	.set _ZN7rocprim17ROCPRIM_400000_NS6detail17trampoline_kernelINS0_14default_configENS1_35radix_sort_onesweep_config_selectorIjNS0_10empty_typeEEEZNS1_34radix_sort_onesweep_global_offsetsIS3_Lb1EPKjPS5_mNS0_19identity_decomposerEEE10hipError_tT1_T2_PT3_SF_jT4_jjP12ihipStream_tbEUlT_E0_NS1_11comp_targetILNS1_3genE8ELNS1_11target_archE1030ELNS1_3gpuE2ELNS1_3repE0EEENS1_52radix_sort_onesweep_histogram_config_static_selectorELNS0_4arch9wavefront6targetE0EEEvSD_.has_dyn_sized_stack, 0
	.set _ZN7rocprim17ROCPRIM_400000_NS6detail17trampoline_kernelINS0_14default_configENS1_35radix_sort_onesweep_config_selectorIjNS0_10empty_typeEEEZNS1_34radix_sort_onesweep_global_offsetsIS3_Lb1EPKjPS5_mNS0_19identity_decomposerEEE10hipError_tT1_T2_PT3_SF_jT4_jjP12ihipStream_tbEUlT_E0_NS1_11comp_targetILNS1_3genE8ELNS1_11target_archE1030ELNS1_3gpuE2ELNS1_3repE0EEENS1_52radix_sort_onesweep_histogram_config_static_selectorELNS0_4arch9wavefront6targetE0EEEvSD_.has_recursion, 0
	.set _ZN7rocprim17ROCPRIM_400000_NS6detail17trampoline_kernelINS0_14default_configENS1_35radix_sort_onesweep_config_selectorIjNS0_10empty_typeEEEZNS1_34radix_sort_onesweep_global_offsetsIS3_Lb1EPKjPS5_mNS0_19identity_decomposerEEE10hipError_tT1_T2_PT3_SF_jT4_jjP12ihipStream_tbEUlT_E0_NS1_11comp_targetILNS1_3genE8ELNS1_11target_archE1030ELNS1_3gpuE2ELNS1_3repE0EEENS1_52radix_sort_onesweep_histogram_config_static_selectorELNS0_4arch9wavefront6targetE0EEEvSD_.has_indirect_call, 0
	.section	.AMDGPU.csdata,"",@progbits
; Kernel info:
; codeLenInByte = 0
; TotalNumSgprs: 0
; NumVgprs: 0
; ScratchSize: 0
; MemoryBound: 0
; FloatMode: 240
; IeeeMode: 1
; LDSByteSize: 0 bytes/workgroup (compile time only)
; SGPRBlocks: 0
; VGPRBlocks: 0
; NumSGPRsForWavesPerEU: 1
; NumVGPRsForWavesPerEU: 1
; NamedBarCnt: 0
; Occupancy: 16
; WaveLimiterHint : 0
; COMPUTE_PGM_RSRC2:SCRATCH_EN: 0
; COMPUTE_PGM_RSRC2:USER_SGPR: 2
; COMPUTE_PGM_RSRC2:TRAP_HANDLER: 0
; COMPUTE_PGM_RSRC2:TGID_X_EN: 1
; COMPUTE_PGM_RSRC2:TGID_Y_EN: 0
; COMPUTE_PGM_RSRC2:TGID_Z_EN: 0
; COMPUTE_PGM_RSRC2:TIDIG_COMP_CNT: 0
	.section	.text._ZN7rocprim17ROCPRIM_400000_NS6detail17trampoline_kernelINS0_14default_configENS1_25transform_config_selectorIjLb1EEEZNS1_14transform_implILb1ES3_S5_PKjPjNS0_8identityIjEEEE10hipError_tT2_T3_mT4_P12ihipStream_tbEUlT_E_NS1_11comp_targetILNS1_3genE0ELNS1_11target_archE4294967295ELNS1_3gpuE0ELNS1_3repE0EEENS1_30default_config_static_selectorELNS0_4arch9wavefront6targetE0EEEvT1_,"axG",@progbits,_ZN7rocprim17ROCPRIM_400000_NS6detail17trampoline_kernelINS0_14default_configENS1_25transform_config_selectorIjLb1EEEZNS1_14transform_implILb1ES3_S5_PKjPjNS0_8identityIjEEEE10hipError_tT2_T3_mT4_P12ihipStream_tbEUlT_E_NS1_11comp_targetILNS1_3genE0ELNS1_11target_archE4294967295ELNS1_3gpuE0ELNS1_3repE0EEENS1_30default_config_static_selectorELNS0_4arch9wavefront6targetE0EEEvT1_,comdat
	.protected	_ZN7rocprim17ROCPRIM_400000_NS6detail17trampoline_kernelINS0_14default_configENS1_25transform_config_selectorIjLb1EEEZNS1_14transform_implILb1ES3_S5_PKjPjNS0_8identityIjEEEE10hipError_tT2_T3_mT4_P12ihipStream_tbEUlT_E_NS1_11comp_targetILNS1_3genE0ELNS1_11target_archE4294967295ELNS1_3gpuE0ELNS1_3repE0EEENS1_30default_config_static_selectorELNS0_4arch9wavefront6targetE0EEEvT1_ ; -- Begin function _ZN7rocprim17ROCPRIM_400000_NS6detail17trampoline_kernelINS0_14default_configENS1_25transform_config_selectorIjLb1EEEZNS1_14transform_implILb1ES3_S5_PKjPjNS0_8identityIjEEEE10hipError_tT2_T3_mT4_P12ihipStream_tbEUlT_E_NS1_11comp_targetILNS1_3genE0ELNS1_11target_archE4294967295ELNS1_3gpuE0ELNS1_3repE0EEENS1_30default_config_static_selectorELNS0_4arch9wavefront6targetE0EEEvT1_
	.globl	_ZN7rocprim17ROCPRIM_400000_NS6detail17trampoline_kernelINS0_14default_configENS1_25transform_config_selectorIjLb1EEEZNS1_14transform_implILb1ES3_S5_PKjPjNS0_8identityIjEEEE10hipError_tT2_T3_mT4_P12ihipStream_tbEUlT_E_NS1_11comp_targetILNS1_3genE0ELNS1_11target_archE4294967295ELNS1_3gpuE0ELNS1_3repE0EEENS1_30default_config_static_selectorELNS0_4arch9wavefront6targetE0EEEvT1_
	.p2align	8
	.type	_ZN7rocprim17ROCPRIM_400000_NS6detail17trampoline_kernelINS0_14default_configENS1_25transform_config_selectorIjLb1EEEZNS1_14transform_implILb1ES3_S5_PKjPjNS0_8identityIjEEEE10hipError_tT2_T3_mT4_P12ihipStream_tbEUlT_E_NS1_11comp_targetILNS1_3genE0ELNS1_11target_archE4294967295ELNS1_3gpuE0ELNS1_3repE0EEENS1_30default_config_static_selectorELNS0_4arch9wavefront6targetE0EEEvT1_,@function
_ZN7rocprim17ROCPRIM_400000_NS6detail17trampoline_kernelINS0_14default_configENS1_25transform_config_selectorIjLb1EEEZNS1_14transform_implILb1ES3_S5_PKjPjNS0_8identityIjEEEE10hipError_tT2_T3_mT4_P12ihipStream_tbEUlT_E_NS1_11comp_targetILNS1_3genE0ELNS1_11target_archE4294967295ELNS1_3gpuE0ELNS1_3repE0EEENS1_30default_config_static_selectorELNS0_4arch9wavefront6targetE0EEEvT1_: ; @_ZN7rocprim17ROCPRIM_400000_NS6detail17trampoline_kernelINS0_14default_configENS1_25transform_config_selectorIjLb1EEEZNS1_14transform_implILb1ES3_S5_PKjPjNS0_8identityIjEEEE10hipError_tT2_T3_mT4_P12ihipStream_tbEUlT_E_NS1_11comp_targetILNS1_3genE0ELNS1_11target_archE4294967295ELNS1_3gpuE0ELNS1_3repE0EEENS1_30default_config_static_selectorELNS0_4arch9wavefront6targetE0EEEvT1_
; %bb.0:
	s_clause 0x1
	s_load_b256 s[4:11], s[0:1], 0x0
	s_load_b32 s12, s[0:1], 0x28
	s_wait_xcnt 0x0
	s_bfe_u32 s0, ttmp6, 0x4000c
	s_and_b32 s2, ttmp6, 15
	s_add_co_i32 s0, s0, 1
	s_wait_kmcnt 0x0
	s_getreg_b32 s9, hwreg(HW_REG_IB_STS2, 6, 4)
	s_mul_i32 s0, ttmp9, s0
	s_mov_b32 s1, 0
	s_add_co_i32 s0, s2, s0
	s_lshl_b64 s[2:3], s[6:7], 2
	s_cmp_eq_u32 s9, 0
	s_add_nc_u64 s[6:7], s[4:5], s[2:3]
	s_cselect_b32 s13, ttmp9, s0
	s_add_co_i32 s12, s12, -1
	s_lshl_b32 s0, s13, 8
	s_add_nc_u64 s[2:3], s[10:11], s[2:3]
	s_lshl_b64 s[4:5], s[0:1], 2
	s_mov_b32 s9, -1
	s_cmp_lg_u32 s13, s12
	s_add_nc_u64 s[6:7], s[6:7], s[4:5]
	s_cbranch_scc0 .LBB2625_2
; %bb.1:
	global_load_b64 v[2:3], v0, s[6:7] scale_offset
	s_add_nc_u64 s[10:11], s[2:3], s[4:5]
	s_mov_b32 s9, 0
	s_wait_loadcnt 0x0
	global_store_b64 v0, v[2:3], s[10:11] scale_offset
.LBB2625_2:
	s_and_not1_b32 vcc_lo, exec_lo, s9
	s_cbranch_vccnz .LBB2625_11
; %bb.3:
	s_sub_co_i32 s1, s8, s0
	s_wait_xcnt 0x0
	v_mov_b64_e32 v[2:3], 0
	v_cmp_gt_u32_e32 vcc_lo, s1, v0
	s_and_saveexec_b32 s0, vcc_lo
	s_cbranch_execz .LBB2625_5
; %bb.4:
	global_load_b32 v2, v0, s[6:7] scale_offset
	v_mov_b32_e32 v3, 0
.LBB2625_5:
	s_wait_xcnt 0x0
	s_or_b32 exec_lo, exec_lo, s0
	v_or_b32_e32 v1, 0x80, v0
	s_delay_alu instid0(VALU_DEP_1) | instskip(SKIP_2) | instid1(SALU_CYCLE_1)
	v_cmp_gt_u32_e64 s0, s1, v1
	v_cmp_le_u32_e64 s1, s1, v1
	s_and_saveexec_b32 s8, s1
	s_xor_b32 s1, exec_lo, s8
	s_delay_alu instid0(SALU_CYCLE_1)
	s_and_not1_saveexec_b32 s1, s1
	s_cbranch_execz .LBB2625_7
; %bb.6:
	global_load_b32 v3, v0, s[6:7] offset:512 scale_offset
.LBB2625_7:
	s_wait_xcnt 0x0
	s_or_b32 exec_lo, exec_lo, s1
	v_dual_mov_b32 v1, 0 :: v_dual_lshlrev_b32 v0, 2, v0
	s_add_nc_u64 s[2:3], s[2:3], s[4:5]
	s_wait_loadcnt 0x0
	v_cndmask_b32_e32 v2, 0, v2, vcc_lo
	s_delay_alu instid0(VALU_DEP_2)
	v_add_nc_u64_e32 v[0:1], s[2:3], v[0:1]
	s_and_saveexec_b32 s1, vcc_lo
	s_cbranch_execz .LBB2625_9
; %bb.8:
	global_store_b32 v[0:1], v2, off
.LBB2625_9:
	s_wait_xcnt 0x0
	s_or_b32 exec_lo, exec_lo, s1
	s_and_saveexec_b32 s1, s0
	s_cbranch_execz .LBB2625_11
; %bb.10:
	v_cndmask_b32_e64 v2, 0, v3, s0
	global_store_b32 v[0:1], v2, off offset:512
.LBB2625_11:
	s_endpgm
	.section	.rodata,"a",@progbits
	.p2align	6, 0x0
	.amdhsa_kernel _ZN7rocprim17ROCPRIM_400000_NS6detail17trampoline_kernelINS0_14default_configENS1_25transform_config_selectorIjLb1EEEZNS1_14transform_implILb1ES3_S5_PKjPjNS0_8identityIjEEEE10hipError_tT2_T3_mT4_P12ihipStream_tbEUlT_E_NS1_11comp_targetILNS1_3genE0ELNS1_11target_archE4294967295ELNS1_3gpuE0ELNS1_3repE0EEENS1_30default_config_static_selectorELNS0_4arch9wavefront6targetE0EEEvT1_
		.amdhsa_group_segment_fixed_size 0
		.amdhsa_private_segment_fixed_size 0
		.amdhsa_kernarg_size 296
		.amdhsa_user_sgpr_count 2
		.amdhsa_user_sgpr_dispatch_ptr 0
		.amdhsa_user_sgpr_queue_ptr 0
		.amdhsa_user_sgpr_kernarg_segment_ptr 1
		.amdhsa_user_sgpr_dispatch_id 0
		.amdhsa_user_sgpr_kernarg_preload_length 0
		.amdhsa_user_sgpr_kernarg_preload_offset 0
		.amdhsa_user_sgpr_private_segment_size 0
		.amdhsa_wavefront_size32 1
		.amdhsa_uses_dynamic_stack 0
		.amdhsa_enable_private_segment 0
		.amdhsa_system_sgpr_workgroup_id_x 1
		.amdhsa_system_sgpr_workgroup_id_y 0
		.amdhsa_system_sgpr_workgroup_id_z 0
		.amdhsa_system_sgpr_workgroup_info 0
		.amdhsa_system_vgpr_workitem_id 0
		.amdhsa_next_free_vgpr 4
		.amdhsa_next_free_sgpr 14
		.amdhsa_named_barrier_count 0
		.amdhsa_reserve_vcc 1
		.amdhsa_float_round_mode_32 0
		.amdhsa_float_round_mode_16_64 0
		.amdhsa_float_denorm_mode_32 3
		.amdhsa_float_denorm_mode_16_64 3
		.amdhsa_fp16_overflow 0
		.amdhsa_memory_ordered 1
		.amdhsa_forward_progress 1
		.amdhsa_inst_pref_size 3
		.amdhsa_round_robin_scheduling 0
		.amdhsa_exception_fp_ieee_invalid_op 0
		.amdhsa_exception_fp_denorm_src 0
		.amdhsa_exception_fp_ieee_div_zero 0
		.amdhsa_exception_fp_ieee_overflow 0
		.amdhsa_exception_fp_ieee_underflow 0
		.amdhsa_exception_fp_ieee_inexact 0
		.amdhsa_exception_int_div_zero 0
	.end_amdhsa_kernel
	.section	.text._ZN7rocprim17ROCPRIM_400000_NS6detail17trampoline_kernelINS0_14default_configENS1_25transform_config_selectorIjLb1EEEZNS1_14transform_implILb1ES3_S5_PKjPjNS0_8identityIjEEEE10hipError_tT2_T3_mT4_P12ihipStream_tbEUlT_E_NS1_11comp_targetILNS1_3genE0ELNS1_11target_archE4294967295ELNS1_3gpuE0ELNS1_3repE0EEENS1_30default_config_static_selectorELNS0_4arch9wavefront6targetE0EEEvT1_,"axG",@progbits,_ZN7rocprim17ROCPRIM_400000_NS6detail17trampoline_kernelINS0_14default_configENS1_25transform_config_selectorIjLb1EEEZNS1_14transform_implILb1ES3_S5_PKjPjNS0_8identityIjEEEE10hipError_tT2_T3_mT4_P12ihipStream_tbEUlT_E_NS1_11comp_targetILNS1_3genE0ELNS1_11target_archE4294967295ELNS1_3gpuE0ELNS1_3repE0EEENS1_30default_config_static_selectorELNS0_4arch9wavefront6targetE0EEEvT1_,comdat
.Lfunc_end2625:
	.size	_ZN7rocprim17ROCPRIM_400000_NS6detail17trampoline_kernelINS0_14default_configENS1_25transform_config_selectorIjLb1EEEZNS1_14transform_implILb1ES3_S5_PKjPjNS0_8identityIjEEEE10hipError_tT2_T3_mT4_P12ihipStream_tbEUlT_E_NS1_11comp_targetILNS1_3genE0ELNS1_11target_archE4294967295ELNS1_3gpuE0ELNS1_3repE0EEENS1_30default_config_static_selectorELNS0_4arch9wavefront6targetE0EEEvT1_, .Lfunc_end2625-_ZN7rocprim17ROCPRIM_400000_NS6detail17trampoline_kernelINS0_14default_configENS1_25transform_config_selectorIjLb1EEEZNS1_14transform_implILb1ES3_S5_PKjPjNS0_8identityIjEEEE10hipError_tT2_T3_mT4_P12ihipStream_tbEUlT_E_NS1_11comp_targetILNS1_3genE0ELNS1_11target_archE4294967295ELNS1_3gpuE0ELNS1_3repE0EEENS1_30default_config_static_selectorELNS0_4arch9wavefront6targetE0EEEvT1_
                                        ; -- End function
	.set _ZN7rocprim17ROCPRIM_400000_NS6detail17trampoline_kernelINS0_14default_configENS1_25transform_config_selectorIjLb1EEEZNS1_14transform_implILb1ES3_S5_PKjPjNS0_8identityIjEEEE10hipError_tT2_T3_mT4_P12ihipStream_tbEUlT_E_NS1_11comp_targetILNS1_3genE0ELNS1_11target_archE4294967295ELNS1_3gpuE0ELNS1_3repE0EEENS1_30default_config_static_selectorELNS0_4arch9wavefront6targetE0EEEvT1_.num_vgpr, 4
	.set _ZN7rocprim17ROCPRIM_400000_NS6detail17trampoline_kernelINS0_14default_configENS1_25transform_config_selectorIjLb1EEEZNS1_14transform_implILb1ES3_S5_PKjPjNS0_8identityIjEEEE10hipError_tT2_T3_mT4_P12ihipStream_tbEUlT_E_NS1_11comp_targetILNS1_3genE0ELNS1_11target_archE4294967295ELNS1_3gpuE0ELNS1_3repE0EEENS1_30default_config_static_selectorELNS0_4arch9wavefront6targetE0EEEvT1_.num_agpr, 0
	.set _ZN7rocprim17ROCPRIM_400000_NS6detail17trampoline_kernelINS0_14default_configENS1_25transform_config_selectorIjLb1EEEZNS1_14transform_implILb1ES3_S5_PKjPjNS0_8identityIjEEEE10hipError_tT2_T3_mT4_P12ihipStream_tbEUlT_E_NS1_11comp_targetILNS1_3genE0ELNS1_11target_archE4294967295ELNS1_3gpuE0ELNS1_3repE0EEENS1_30default_config_static_selectorELNS0_4arch9wavefront6targetE0EEEvT1_.numbered_sgpr, 14
	.set _ZN7rocprim17ROCPRIM_400000_NS6detail17trampoline_kernelINS0_14default_configENS1_25transform_config_selectorIjLb1EEEZNS1_14transform_implILb1ES3_S5_PKjPjNS0_8identityIjEEEE10hipError_tT2_T3_mT4_P12ihipStream_tbEUlT_E_NS1_11comp_targetILNS1_3genE0ELNS1_11target_archE4294967295ELNS1_3gpuE0ELNS1_3repE0EEENS1_30default_config_static_selectorELNS0_4arch9wavefront6targetE0EEEvT1_.num_named_barrier, 0
	.set _ZN7rocprim17ROCPRIM_400000_NS6detail17trampoline_kernelINS0_14default_configENS1_25transform_config_selectorIjLb1EEEZNS1_14transform_implILb1ES3_S5_PKjPjNS0_8identityIjEEEE10hipError_tT2_T3_mT4_P12ihipStream_tbEUlT_E_NS1_11comp_targetILNS1_3genE0ELNS1_11target_archE4294967295ELNS1_3gpuE0ELNS1_3repE0EEENS1_30default_config_static_selectorELNS0_4arch9wavefront6targetE0EEEvT1_.private_seg_size, 0
	.set _ZN7rocprim17ROCPRIM_400000_NS6detail17trampoline_kernelINS0_14default_configENS1_25transform_config_selectorIjLb1EEEZNS1_14transform_implILb1ES3_S5_PKjPjNS0_8identityIjEEEE10hipError_tT2_T3_mT4_P12ihipStream_tbEUlT_E_NS1_11comp_targetILNS1_3genE0ELNS1_11target_archE4294967295ELNS1_3gpuE0ELNS1_3repE0EEENS1_30default_config_static_selectorELNS0_4arch9wavefront6targetE0EEEvT1_.uses_vcc, 1
	.set _ZN7rocprim17ROCPRIM_400000_NS6detail17trampoline_kernelINS0_14default_configENS1_25transform_config_selectorIjLb1EEEZNS1_14transform_implILb1ES3_S5_PKjPjNS0_8identityIjEEEE10hipError_tT2_T3_mT4_P12ihipStream_tbEUlT_E_NS1_11comp_targetILNS1_3genE0ELNS1_11target_archE4294967295ELNS1_3gpuE0ELNS1_3repE0EEENS1_30default_config_static_selectorELNS0_4arch9wavefront6targetE0EEEvT1_.uses_flat_scratch, 0
	.set _ZN7rocprim17ROCPRIM_400000_NS6detail17trampoline_kernelINS0_14default_configENS1_25transform_config_selectorIjLb1EEEZNS1_14transform_implILb1ES3_S5_PKjPjNS0_8identityIjEEEE10hipError_tT2_T3_mT4_P12ihipStream_tbEUlT_E_NS1_11comp_targetILNS1_3genE0ELNS1_11target_archE4294967295ELNS1_3gpuE0ELNS1_3repE0EEENS1_30default_config_static_selectorELNS0_4arch9wavefront6targetE0EEEvT1_.has_dyn_sized_stack, 0
	.set _ZN7rocprim17ROCPRIM_400000_NS6detail17trampoline_kernelINS0_14default_configENS1_25transform_config_selectorIjLb1EEEZNS1_14transform_implILb1ES3_S5_PKjPjNS0_8identityIjEEEE10hipError_tT2_T3_mT4_P12ihipStream_tbEUlT_E_NS1_11comp_targetILNS1_3genE0ELNS1_11target_archE4294967295ELNS1_3gpuE0ELNS1_3repE0EEENS1_30default_config_static_selectorELNS0_4arch9wavefront6targetE0EEEvT1_.has_recursion, 0
	.set _ZN7rocprim17ROCPRIM_400000_NS6detail17trampoline_kernelINS0_14default_configENS1_25transform_config_selectorIjLb1EEEZNS1_14transform_implILb1ES3_S5_PKjPjNS0_8identityIjEEEE10hipError_tT2_T3_mT4_P12ihipStream_tbEUlT_E_NS1_11comp_targetILNS1_3genE0ELNS1_11target_archE4294967295ELNS1_3gpuE0ELNS1_3repE0EEENS1_30default_config_static_selectorELNS0_4arch9wavefront6targetE0EEEvT1_.has_indirect_call, 0
	.section	.AMDGPU.csdata,"",@progbits
; Kernel info:
; codeLenInByte = 356
; TotalNumSgprs: 16
; NumVgprs: 4
; ScratchSize: 0
; MemoryBound: 0
; FloatMode: 240
; IeeeMode: 1
; LDSByteSize: 0 bytes/workgroup (compile time only)
; SGPRBlocks: 0
; VGPRBlocks: 0
; NumSGPRsForWavesPerEU: 16
; NumVGPRsForWavesPerEU: 4
; NamedBarCnt: 0
; Occupancy: 16
; WaveLimiterHint : 0
; COMPUTE_PGM_RSRC2:SCRATCH_EN: 0
; COMPUTE_PGM_RSRC2:USER_SGPR: 2
; COMPUTE_PGM_RSRC2:TRAP_HANDLER: 0
; COMPUTE_PGM_RSRC2:TGID_X_EN: 1
; COMPUTE_PGM_RSRC2:TGID_Y_EN: 0
; COMPUTE_PGM_RSRC2:TGID_Z_EN: 0
; COMPUTE_PGM_RSRC2:TIDIG_COMP_CNT: 0
	.section	.text._ZN7rocprim17ROCPRIM_400000_NS6detail17trampoline_kernelINS0_14default_configENS1_25transform_config_selectorIjLb1EEEZNS1_14transform_implILb1ES3_S5_PKjPjNS0_8identityIjEEEE10hipError_tT2_T3_mT4_P12ihipStream_tbEUlT_E_NS1_11comp_targetILNS1_3genE10ELNS1_11target_archE1201ELNS1_3gpuE5ELNS1_3repE0EEENS1_30default_config_static_selectorELNS0_4arch9wavefront6targetE0EEEvT1_,"axG",@progbits,_ZN7rocprim17ROCPRIM_400000_NS6detail17trampoline_kernelINS0_14default_configENS1_25transform_config_selectorIjLb1EEEZNS1_14transform_implILb1ES3_S5_PKjPjNS0_8identityIjEEEE10hipError_tT2_T3_mT4_P12ihipStream_tbEUlT_E_NS1_11comp_targetILNS1_3genE10ELNS1_11target_archE1201ELNS1_3gpuE5ELNS1_3repE0EEENS1_30default_config_static_selectorELNS0_4arch9wavefront6targetE0EEEvT1_,comdat
	.protected	_ZN7rocprim17ROCPRIM_400000_NS6detail17trampoline_kernelINS0_14default_configENS1_25transform_config_selectorIjLb1EEEZNS1_14transform_implILb1ES3_S5_PKjPjNS0_8identityIjEEEE10hipError_tT2_T3_mT4_P12ihipStream_tbEUlT_E_NS1_11comp_targetILNS1_3genE10ELNS1_11target_archE1201ELNS1_3gpuE5ELNS1_3repE0EEENS1_30default_config_static_selectorELNS0_4arch9wavefront6targetE0EEEvT1_ ; -- Begin function _ZN7rocprim17ROCPRIM_400000_NS6detail17trampoline_kernelINS0_14default_configENS1_25transform_config_selectorIjLb1EEEZNS1_14transform_implILb1ES3_S5_PKjPjNS0_8identityIjEEEE10hipError_tT2_T3_mT4_P12ihipStream_tbEUlT_E_NS1_11comp_targetILNS1_3genE10ELNS1_11target_archE1201ELNS1_3gpuE5ELNS1_3repE0EEENS1_30default_config_static_selectorELNS0_4arch9wavefront6targetE0EEEvT1_
	.globl	_ZN7rocprim17ROCPRIM_400000_NS6detail17trampoline_kernelINS0_14default_configENS1_25transform_config_selectorIjLb1EEEZNS1_14transform_implILb1ES3_S5_PKjPjNS0_8identityIjEEEE10hipError_tT2_T3_mT4_P12ihipStream_tbEUlT_E_NS1_11comp_targetILNS1_3genE10ELNS1_11target_archE1201ELNS1_3gpuE5ELNS1_3repE0EEENS1_30default_config_static_selectorELNS0_4arch9wavefront6targetE0EEEvT1_
	.p2align	8
	.type	_ZN7rocprim17ROCPRIM_400000_NS6detail17trampoline_kernelINS0_14default_configENS1_25transform_config_selectorIjLb1EEEZNS1_14transform_implILb1ES3_S5_PKjPjNS0_8identityIjEEEE10hipError_tT2_T3_mT4_P12ihipStream_tbEUlT_E_NS1_11comp_targetILNS1_3genE10ELNS1_11target_archE1201ELNS1_3gpuE5ELNS1_3repE0EEENS1_30default_config_static_selectorELNS0_4arch9wavefront6targetE0EEEvT1_,@function
_ZN7rocprim17ROCPRIM_400000_NS6detail17trampoline_kernelINS0_14default_configENS1_25transform_config_selectorIjLb1EEEZNS1_14transform_implILb1ES3_S5_PKjPjNS0_8identityIjEEEE10hipError_tT2_T3_mT4_P12ihipStream_tbEUlT_E_NS1_11comp_targetILNS1_3genE10ELNS1_11target_archE1201ELNS1_3gpuE5ELNS1_3repE0EEENS1_30default_config_static_selectorELNS0_4arch9wavefront6targetE0EEEvT1_: ; @_ZN7rocprim17ROCPRIM_400000_NS6detail17trampoline_kernelINS0_14default_configENS1_25transform_config_selectorIjLb1EEEZNS1_14transform_implILb1ES3_S5_PKjPjNS0_8identityIjEEEE10hipError_tT2_T3_mT4_P12ihipStream_tbEUlT_E_NS1_11comp_targetILNS1_3genE10ELNS1_11target_archE1201ELNS1_3gpuE5ELNS1_3repE0EEENS1_30default_config_static_selectorELNS0_4arch9wavefront6targetE0EEEvT1_
; %bb.0:
	.section	.rodata,"a",@progbits
	.p2align	6, 0x0
	.amdhsa_kernel _ZN7rocprim17ROCPRIM_400000_NS6detail17trampoline_kernelINS0_14default_configENS1_25transform_config_selectorIjLb1EEEZNS1_14transform_implILb1ES3_S5_PKjPjNS0_8identityIjEEEE10hipError_tT2_T3_mT4_P12ihipStream_tbEUlT_E_NS1_11comp_targetILNS1_3genE10ELNS1_11target_archE1201ELNS1_3gpuE5ELNS1_3repE0EEENS1_30default_config_static_selectorELNS0_4arch9wavefront6targetE0EEEvT1_
		.amdhsa_group_segment_fixed_size 0
		.amdhsa_private_segment_fixed_size 0
		.amdhsa_kernarg_size 40
		.amdhsa_user_sgpr_count 2
		.amdhsa_user_sgpr_dispatch_ptr 0
		.amdhsa_user_sgpr_queue_ptr 0
		.amdhsa_user_sgpr_kernarg_segment_ptr 1
		.amdhsa_user_sgpr_dispatch_id 0
		.amdhsa_user_sgpr_kernarg_preload_length 0
		.amdhsa_user_sgpr_kernarg_preload_offset 0
		.amdhsa_user_sgpr_private_segment_size 0
		.amdhsa_wavefront_size32 1
		.amdhsa_uses_dynamic_stack 0
		.amdhsa_enable_private_segment 0
		.amdhsa_system_sgpr_workgroup_id_x 1
		.amdhsa_system_sgpr_workgroup_id_y 0
		.amdhsa_system_sgpr_workgroup_id_z 0
		.amdhsa_system_sgpr_workgroup_info 0
		.amdhsa_system_vgpr_workitem_id 0
		.amdhsa_next_free_vgpr 1
		.amdhsa_next_free_sgpr 1
		.amdhsa_named_barrier_count 0
		.amdhsa_reserve_vcc 0
		.amdhsa_float_round_mode_32 0
		.amdhsa_float_round_mode_16_64 0
		.amdhsa_float_denorm_mode_32 3
		.amdhsa_float_denorm_mode_16_64 3
		.amdhsa_fp16_overflow 0
		.amdhsa_memory_ordered 1
		.amdhsa_forward_progress 1
		.amdhsa_inst_pref_size 0
		.amdhsa_round_robin_scheduling 0
		.amdhsa_exception_fp_ieee_invalid_op 0
		.amdhsa_exception_fp_denorm_src 0
		.amdhsa_exception_fp_ieee_div_zero 0
		.amdhsa_exception_fp_ieee_overflow 0
		.amdhsa_exception_fp_ieee_underflow 0
		.amdhsa_exception_fp_ieee_inexact 0
		.amdhsa_exception_int_div_zero 0
	.end_amdhsa_kernel
	.section	.text._ZN7rocprim17ROCPRIM_400000_NS6detail17trampoline_kernelINS0_14default_configENS1_25transform_config_selectorIjLb1EEEZNS1_14transform_implILb1ES3_S5_PKjPjNS0_8identityIjEEEE10hipError_tT2_T3_mT4_P12ihipStream_tbEUlT_E_NS1_11comp_targetILNS1_3genE10ELNS1_11target_archE1201ELNS1_3gpuE5ELNS1_3repE0EEENS1_30default_config_static_selectorELNS0_4arch9wavefront6targetE0EEEvT1_,"axG",@progbits,_ZN7rocprim17ROCPRIM_400000_NS6detail17trampoline_kernelINS0_14default_configENS1_25transform_config_selectorIjLb1EEEZNS1_14transform_implILb1ES3_S5_PKjPjNS0_8identityIjEEEE10hipError_tT2_T3_mT4_P12ihipStream_tbEUlT_E_NS1_11comp_targetILNS1_3genE10ELNS1_11target_archE1201ELNS1_3gpuE5ELNS1_3repE0EEENS1_30default_config_static_selectorELNS0_4arch9wavefront6targetE0EEEvT1_,comdat
.Lfunc_end2626:
	.size	_ZN7rocprim17ROCPRIM_400000_NS6detail17trampoline_kernelINS0_14default_configENS1_25transform_config_selectorIjLb1EEEZNS1_14transform_implILb1ES3_S5_PKjPjNS0_8identityIjEEEE10hipError_tT2_T3_mT4_P12ihipStream_tbEUlT_E_NS1_11comp_targetILNS1_3genE10ELNS1_11target_archE1201ELNS1_3gpuE5ELNS1_3repE0EEENS1_30default_config_static_selectorELNS0_4arch9wavefront6targetE0EEEvT1_, .Lfunc_end2626-_ZN7rocprim17ROCPRIM_400000_NS6detail17trampoline_kernelINS0_14default_configENS1_25transform_config_selectorIjLb1EEEZNS1_14transform_implILb1ES3_S5_PKjPjNS0_8identityIjEEEE10hipError_tT2_T3_mT4_P12ihipStream_tbEUlT_E_NS1_11comp_targetILNS1_3genE10ELNS1_11target_archE1201ELNS1_3gpuE5ELNS1_3repE0EEENS1_30default_config_static_selectorELNS0_4arch9wavefront6targetE0EEEvT1_
                                        ; -- End function
	.set _ZN7rocprim17ROCPRIM_400000_NS6detail17trampoline_kernelINS0_14default_configENS1_25transform_config_selectorIjLb1EEEZNS1_14transform_implILb1ES3_S5_PKjPjNS0_8identityIjEEEE10hipError_tT2_T3_mT4_P12ihipStream_tbEUlT_E_NS1_11comp_targetILNS1_3genE10ELNS1_11target_archE1201ELNS1_3gpuE5ELNS1_3repE0EEENS1_30default_config_static_selectorELNS0_4arch9wavefront6targetE0EEEvT1_.num_vgpr, 0
	.set _ZN7rocprim17ROCPRIM_400000_NS6detail17trampoline_kernelINS0_14default_configENS1_25transform_config_selectorIjLb1EEEZNS1_14transform_implILb1ES3_S5_PKjPjNS0_8identityIjEEEE10hipError_tT2_T3_mT4_P12ihipStream_tbEUlT_E_NS1_11comp_targetILNS1_3genE10ELNS1_11target_archE1201ELNS1_3gpuE5ELNS1_3repE0EEENS1_30default_config_static_selectorELNS0_4arch9wavefront6targetE0EEEvT1_.num_agpr, 0
	.set _ZN7rocprim17ROCPRIM_400000_NS6detail17trampoline_kernelINS0_14default_configENS1_25transform_config_selectorIjLb1EEEZNS1_14transform_implILb1ES3_S5_PKjPjNS0_8identityIjEEEE10hipError_tT2_T3_mT4_P12ihipStream_tbEUlT_E_NS1_11comp_targetILNS1_3genE10ELNS1_11target_archE1201ELNS1_3gpuE5ELNS1_3repE0EEENS1_30default_config_static_selectorELNS0_4arch9wavefront6targetE0EEEvT1_.numbered_sgpr, 0
	.set _ZN7rocprim17ROCPRIM_400000_NS6detail17trampoline_kernelINS0_14default_configENS1_25transform_config_selectorIjLb1EEEZNS1_14transform_implILb1ES3_S5_PKjPjNS0_8identityIjEEEE10hipError_tT2_T3_mT4_P12ihipStream_tbEUlT_E_NS1_11comp_targetILNS1_3genE10ELNS1_11target_archE1201ELNS1_3gpuE5ELNS1_3repE0EEENS1_30default_config_static_selectorELNS0_4arch9wavefront6targetE0EEEvT1_.num_named_barrier, 0
	.set _ZN7rocprim17ROCPRIM_400000_NS6detail17trampoline_kernelINS0_14default_configENS1_25transform_config_selectorIjLb1EEEZNS1_14transform_implILb1ES3_S5_PKjPjNS0_8identityIjEEEE10hipError_tT2_T3_mT4_P12ihipStream_tbEUlT_E_NS1_11comp_targetILNS1_3genE10ELNS1_11target_archE1201ELNS1_3gpuE5ELNS1_3repE0EEENS1_30default_config_static_selectorELNS0_4arch9wavefront6targetE0EEEvT1_.private_seg_size, 0
	.set _ZN7rocprim17ROCPRIM_400000_NS6detail17trampoline_kernelINS0_14default_configENS1_25transform_config_selectorIjLb1EEEZNS1_14transform_implILb1ES3_S5_PKjPjNS0_8identityIjEEEE10hipError_tT2_T3_mT4_P12ihipStream_tbEUlT_E_NS1_11comp_targetILNS1_3genE10ELNS1_11target_archE1201ELNS1_3gpuE5ELNS1_3repE0EEENS1_30default_config_static_selectorELNS0_4arch9wavefront6targetE0EEEvT1_.uses_vcc, 0
	.set _ZN7rocprim17ROCPRIM_400000_NS6detail17trampoline_kernelINS0_14default_configENS1_25transform_config_selectorIjLb1EEEZNS1_14transform_implILb1ES3_S5_PKjPjNS0_8identityIjEEEE10hipError_tT2_T3_mT4_P12ihipStream_tbEUlT_E_NS1_11comp_targetILNS1_3genE10ELNS1_11target_archE1201ELNS1_3gpuE5ELNS1_3repE0EEENS1_30default_config_static_selectorELNS0_4arch9wavefront6targetE0EEEvT1_.uses_flat_scratch, 0
	.set _ZN7rocprim17ROCPRIM_400000_NS6detail17trampoline_kernelINS0_14default_configENS1_25transform_config_selectorIjLb1EEEZNS1_14transform_implILb1ES3_S5_PKjPjNS0_8identityIjEEEE10hipError_tT2_T3_mT4_P12ihipStream_tbEUlT_E_NS1_11comp_targetILNS1_3genE10ELNS1_11target_archE1201ELNS1_3gpuE5ELNS1_3repE0EEENS1_30default_config_static_selectorELNS0_4arch9wavefront6targetE0EEEvT1_.has_dyn_sized_stack, 0
	.set _ZN7rocprim17ROCPRIM_400000_NS6detail17trampoline_kernelINS0_14default_configENS1_25transform_config_selectorIjLb1EEEZNS1_14transform_implILb1ES3_S5_PKjPjNS0_8identityIjEEEE10hipError_tT2_T3_mT4_P12ihipStream_tbEUlT_E_NS1_11comp_targetILNS1_3genE10ELNS1_11target_archE1201ELNS1_3gpuE5ELNS1_3repE0EEENS1_30default_config_static_selectorELNS0_4arch9wavefront6targetE0EEEvT1_.has_recursion, 0
	.set _ZN7rocprim17ROCPRIM_400000_NS6detail17trampoline_kernelINS0_14default_configENS1_25transform_config_selectorIjLb1EEEZNS1_14transform_implILb1ES3_S5_PKjPjNS0_8identityIjEEEE10hipError_tT2_T3_mT4_P12ihipStream_tbEUlT_E_NS1_11comp_targetILNS1_3genE10ELNS1_11target_archE1201ELNS1_3gpuE5ELNS1_3repE0EEENS1_30default_config_static_selectorELNS0_4arch9wavefront6targetE0EEEvT1_.has_indirect_call, 0
	.section	.AMDGPU.csdata,"",@progbits
; Kernel info:
; codeLenInByte = 0
; TotalNumSgprs: 0
; NumVgprs: 0
; ScratchSize: 0
; MemoryBound: 0
; FloatMode: 240
; IeeeMode: 1
; LDSByteSize: 0 bytes/workgroup (compile time only)
; SGPRBlocks: 0
; VGPRBlocks: 0
; NumSGPRsForWavesPerEU: 1
; NumVGPRsForWavesPerEU: 1
; NamedBarCnt: 0
; Occupancy: 16
; WaveLimiterHint : 0
; COMPUTE_PGM_RSRC2:SCRATCH_EN: 0
; COMPUTE_PGM_RSRC2:USER_SGPR: 2
; COMPUTE_PGM_RSRC2:TRAP_HANDLER: 0
; COMPUTE_PGM_RSRC2:TGID_X_EN: 1
; COMPUTE_PGM_RSRC2:TGID_Y_EN: 0
; COMPUTE_PGM_RSRC2:TGID_Z_EN: 0
; COMPUTE_PGM_RSRC2:TIDIG_COMP_CNT: 0
	.section	.text._ZN7rocprim17ROCPRIM_400000_NS6detail17trampoline_kernelINS0_14default_configENS1_25transform_config_selectorIjLb1EEEZNS1_14transform_implILb1ES3_S5_PKjPjNS0_8identityIjEEEE10hipError_tT2_T3_mT4_P12ihipStream_tbEUlT_E_NS1_11comp_targetILNS1_3genE5ELNS1_11target_archE942ELNS1_3gpuE9ELNS1_3repE0EEENS1_30default_config_static_selectorELNS0_4arch9wavefront6targetE0EEEvT1_,"axG",@progbits,_ZN7rocprim17ROCPRIM_400000_NS6detail17trampoline_kernelINS0_14default_configENS1_25transform_config_selectorIjLb1EEEZNS1_14transform_implILb1ES3_S5_PKjPjNS0_8identityIjEEEE10hipError_tT2_T3_mT4_P12ihipStream_tbEUlT_E_NS1_11comp_targetILNS1_3genE5ELNS1_11target_archE942ELNS1_3gpuE9ELNS1_3repE0EEENS1_30default_config_static_selectorELNS0_4arch9wavefront6targetE0EEEvT1_,comdat
	.protected	_ZN7rocprim17ROCPRIM_400000_NS6detail17trampoline_kernelINS0_14default_configENS1_25transform_config_selectorIjLb1EEEZNS1_14transform_implILb1ES3_S5_PKjPjNS0_8identityIjEEEE10hipError_tT2_T3_mT4_P12ihipStream_tbEUlT_E_NS1_11comp_targetILNS1_3genE5ELNS1_11target_archE942ELNS1_3gpuE9ELNS1_3repE0EEENS1_30default_config_static_selectorELNS0_4arch9wavefront6targetE0EEEvT1_ ; -- Begin function _ZN7rocprim17ROCPRIM_400000_NS6detail17trampoline_kernelINS0_14default_configENS1_25transform_config_selectorIjLb1EEEZNS1_14transform_implILb1ES3_S5_PKjPjNS0_8identityIjEEEE10hipError_tT2_T3_mT4_P12ihipStream_tbEUlT_E_NS1_11comp_targetILNS1_3genE5ELNS1_11target_archE942ELNS1_3gpuE9ELNS1_3repE0EEENS1_30default_config_static_selectorELNS0_4arch9wavefront6targetE0EEEvT1_
	.globl	_ZN7rocprim17ROCPRIM_400000_NS6detail17trampoline_kernelINS0_14default_configENS1_25transform_config_selectorIjLb1EEEZNS1_14transform_implILb1ES3_S5_PKjPjNS0_8identityIjEEEE10hipError_tT2_T3_mT4_P12ihipStream_tbEUlT_E_NS1_11comp_targetILNS1_3genE5ELNS1_11target_archE942ELNS1_3gpuE9ELNS1_3repE0EEENS1_30default_config_static_selectorELNS0_4arch9wavefront6targetE0EEEvT1_
	.p2align	8
	.type	_ZN7rocprim17ROCPRIM_400000_NS6detail17trampoline_kernelINS0_14default_configENS1_25transform_config_selectorIjLb1EEEZNS1_14transform_implILb1ES3_S5_PKjPjNS0_8identityIjEEEE10hipError_tT2_T3_mT4_P12ihipStream_tbEUlT_E_NS1_11comp_targetILNS1_3genE5ELNS1_11target_archE942ELNS1_3gpuE9ELNS1_3repE0EEENS1_30default_config_static_selectorELNS0_4arch9wavefront6targetE0EEEvT1_,@function
_ZN7rocprim17ROCPRIM_400000_NS6detail17trampoline_kernelINS0_14default_configENS1_25transform_config_selectorIjLb1EEEZNS1_14transform_implILb1ES3_S5_PKjPjNS0_8identityIjEEEE10hipError_tT2_T3_mT4_P12ihipStream_tbEUlT_E_NS1_11comp_targetILNS1_3genE5ELNS1_11target_archE942ELNS1_3gpuE9ELNS1_3repE0EEENS1_30default_config_static_selectorELNS0_4arch9wavefront6targetE0EEEvT1_: ; @_ZN7rocprim17ROCPRIM_400000_NS6detail17trampoline_kernelINS0_14default_configENS1_25transform_config_selectorIjLb1EEEZNS1_14transform_implILb1ES3_S5_PKjPjNS0_8identityIjEEEE10hipError_tT2_T3_mT4_P12ihipStream_tbEUlT_E_NS1_11comp_targetILNS1_3genE5ELNS1_11target_archE942ELNS1_3gpuE9ELNS1_3repE0EEENS1_30default_config_static_selectorELNS0_4arch9wavefront6targetE0EEEvT1_
; %bb.0:
	.section	.rodata,"a",@progbits
	.p2align	6, 0x0
	.amdhsa_kernel _ZN7rocprim17ROCPRIM_400000_NS6detail17trampoline_kernelINS0_14default_configENS1_25transform_config_selectorIjLb1EEEZNS1_14transform_implILb1ES3_S5_PKjPjNS0_8identityIjEEEE10hipError_tT2_T3_mT4_P12ihipStream_tbEUlT_E_NS1_11comp_targetILNS1_3genE5ELNS1_11target_archE942ELNS1_3gpuE9ELNS1_3repE0EEENS1_30default_config_static_selectorELNS0_4arch9wavefront6targetE0EEEvT1_
		.amdhsa_group_segment_fixed_size 0
		.amdhsa_private_segment_fixed_size 0
		.amdhsa_kernarg_size 40
		.amdhsa_user_sgpr_count 2
		.amdhsa_user_sgpr_dispatch_ptr 0
		.amdhsa_user_sgpr_queue_ptr 0
		.amdhsa_user_sgpr_kernarg_segment_ptr 1
		.amdhsa_user_sgpr_dispatch_id 0
		.amdhsa_user_sgpr_kernarg_preload_length 0
		.amdhsa_user_sgpr_kernarg_preload_offset 0
		.amdhsa_user_sgpr_private_segment_size 0
		.amdhsa_wavefront_size32 1
		.amdhsa_uses_dynamic_stack 0
		.amdhsa_enable_private_segment 0
		.amdhsa_system_sgpr_workgroup_id_x 1
		.amdhsa_system_sgpr_workgroup_id_y 0
		.amdhsa_system_sgpr_workgroup_id_z 0
		.amdhsa_system_sgpr_workgroup_info 0
		.amdhsa_system_vgpr_workitem_id 0
		.amdhsa_next_free_vgpr 1
		.amdhsa_next_free_sgpr 1
		.amdhsa_named_barrier_count 0
		.amdhsa_reserve_vcc 0
		.amdhsa_float_round_mode_32 0
		.amdhsa_float_round_mode_16_64 0
		.amdhsa_float_denorm_mode_32 3
		.amdhsa_float_denorm_mode_16_64 3
		.amdhsa_fp16_overflow 0
		.amdhsa_memory_ordered 1
		.amdhsa_forward_progress 1
		.amdhsa_inst_pref_size 0
		.amdhsa_round_robin_scheduling 0
		.amdhsa_exception_fp_ieee_invalid_op 0
		.amdhsa_exception_fp_denorm_src 0
		.amdhsa_exception_fp_ieee_div_zero 0
		.amdhsa_exception_fp_ieee_overflow 0
		.amdhsa_exception_fp_ieee_underflow 0
		.amdhsa_exception_fp_ieee_inexact 0
		.amdhsa_exception_int_div_zero 0
	.end_amdhsa_kernel
	.section	.text._ZN7rocprim17ROCPRIM_400000_NS6detail17trampoline_kernelINS0_14default_configENS1_25transform_config_selectorIjLb1EEEZNS1_14transform_implILb1ES3_S5_PKjPjNS0_8identityIjEEEE10hipError_tT2_T3_mT4_P12ihipStream_tbEUlT_E_NS1_11comp_targetILNS1_3genE5ELNS1_11target_archE942ELNS1_3gpuE9ELNS1_3repE0EEENS1_30default_config_static_selectorELNS0_4arch9wavefront6targetE0EEEvT1_,"axG",@progbits,_ZN7rocprim17ROCPRIM_400000_NS6detail17trampoline_kernelINS0_14default_configENS1_25transform_config_selectorIjLb1EEEZNS1_14transform_implILb1ES3_S5_PKjPjNS0_8identityIjEEEE10hipError_tT2_T3_mT4_P12ihipStream_tbEUlT_E_NS1_11comp_targetILNS1_3genE5ELNS1_11target_archE942ELNS1_3gpuE9ELNS1_3repE0EEENS1_30default_config_static_selectorELNS0_4arch9wavefront6targetE0EEEvT1_,comdat
.Lfunc_end2627:
	.size	_ZN7rocprim17ROCPRIM_400000_NS6detail17trampoline_kernelINS0_14default_configENS1_25transform_config_selectorIjLb1EEEZNS1_14transform_implILb1ES3_S5_PKjPjNS0_8identityIjEEEE10hipError_tT2_T3_mT4_P12ihipStream_tbEUlT_E_NS1_11comp_targetILNS1_3genE5ELNS1_11target_archE942ELNS1_3gpuE9ELNS1_3repE0EEENS1_30default_config_static_selectorELNS0_4arch9wavefront6targetE0EEEvT1_, .Lfunc_end2627-_ZN7rocprim17ROCPRIM_400000_NS6detail17trampoline_kernelINS0_14default_configENS1_25transform_config_selectorIjLb1EEEZNS1_14transform_implILb1ES3_S5_PKjPjNS0_8identityIjEEEE10hipError_tT2_T3_mT4_P12ihipStream_tbEUlT_E_NS1_11comp_targetILNS1_3genE5ELNS1_11target_archE942ELNS1_3gpuE9ELNS1_3repE0EEENS1_30default_config_static_selectorELNS0_4arch9wavefront6targetE0EEEvT1_
                                        ; -- End function
	.set _ZN7rocprim17ROCPRIM_400000_NS6detail17trampoline_kernelINS0_14default_configENS1_25transform_config_selectorIjLb1EEEZNS1_14transform_implILb1ES3_S5_PKjPjNS0_8identityIjEEEE10hipError_tT2_T3_mT4_P12ihipStream_tbEUlT_E_NS1_11comp_targetILNS1_3genE5ELNS1_11target_archE942ELNS1_3gpuE9ELNS1_3repE0EEENS1_30default_config_static_selectorELNS0_4arch9wavefront6targetE0EEEvT1_.num_vgpr, 0
	.set _ZN7rocprim17ROCPRIM_400000_NS6detail17trampoline_kernelINS0_14default_configENS1_25transform_config_selectorIjLb1EEEZNS1_14transform_implILb1ES3_S5_PKjPjNS0_8identityIjEEEE10hipError_tT2_T3_mT4_P12ihipStream_tbEUlT_E_NS1_11comp_targetILNS1_3genE5ELNS1_11target_archE942ELNS1_3gpuE9ELNS1_3repE0EEENS1_30default_config_static_selectorELNS0_4arch9wavefront6targetE0EEEvT1_.num_agpr, 0
	.set _ZN7rocprim17ROCPRIM_400000_NS6detail17trampoline_kernelINS0_14default_configENS1_25transform_config_selectorIjLb1EEEZNS1_14transform_implILb1ES3_S5_PKjPjNS0_8identityIjEEEE10hipError_tT2_T3_mT4_P12ihipStream_tbEUlT_E_NS1_11comp_targetILNS1_3genE5ELNS1_11target_archE942ELNS1_3gpuE9ELNS1_3repE0EEENS1_30default_config_static_selectorELNS0_4arch9wavefront6targetE0EEEvT1_.numbered_sgpr, 0
	.set _ZN7rocprim17ROCPRIM_400000_NS6detail17trampoline_kernelINS0_14default_configENS1_25transform_config_selectorIjLb1EEEZNS1_14transform_implILb1ES3_S5_PKjPjNS0_8identityIjEEEE10hipError_tT2_T3_mT4_P12ihipStream_tbEUlT_E_NS1_11comp_targetILNS1_3genE5ELNS1_11target_archE942ELNS1_3gpuE9ELNS1_3repE0EEENS1_30default_config_static_selectorELNS0_4arch9wavefront6targetE0EEEvT1_.num_named_barrier, 0
	.set _ZN7rocprim17ROCPRIM_400000_NS6detail17trampoline_kernelINS0_14default_configENS1_25transform_config_selectorIjLb1EEEZNS1_14transform_implILb1ES3_S5_PKjPjNS0_8identityIjEEEE10hipError_tT2_T3_mT4_P12ihipStream_tbEUlT_E_NS1_11comp_targetILNS1_3genE5ELNS1_11target_archE942ELNS1_3gpuE9ELNS1_3repE0EEENS1_30default_config_static_selectorELNS0_4arch9wavefront6targetE0EEEvT1_.private_seg_size, 0
	.set _ZN7rocprim17ROCPRIM_400000_NS6detail17trampoline_kernelINS0_14default_configENS1_25transform_config_selectorIjLb1EEEZNS1_14transform_implILb1ES3_S5_PKjPjNS0_8identityIjEEEE10hipError_tT2_T3_mT4_P12ihipStream_tbEUlT_E_NS1_11comp_targetILNS1_3genE5ELNS1_11target_archE942ELNS1_3gpuE9ELNS1_3repE0EEENS1_30default_config_static_selectorELNS0_4arch9wavefront6targetE0EEEvT1_.uses_vcc, 0
	.set _ZN7rocprim17ROCPRIM_400000_NS6detail17trampoline_kernelINS0_14default_configENS1_25transform_config_selectorIjLb1EEEZNS1_14transform_implILb1ES3_S5_PKjPjNS0_8identityIjEEEE10hipError_tT2_T3_mT4_P12ihipStream_tbEUlT_E_NS1_11comp_targetILNS1_3genE5ELNS1_11target_archE942ELNS1_3gpuE9ELNS1_3repE0EEENS1_30default_config_static_selectorELNS0_4arch9wavefront6targetE0EEEvT1_.uses_flat_scratch, 0
	.set _ZN7rocprim17ROCPRIM_400000_NS6detail17trampoline_kernelINS0_14default_configENS1_25transform_config_selectorIjLb1EEEZNS1_14transform_implILb1ES3_S5_PKjPjNS0_8identityIjEEEE10hipError_tT2_T3_mT4_P12ihipStream_tbEUlT_E_NS1_11comp_targetILNS1_3genE5ELNS1_11target_archE942ELNS1_3gpuE9ELNS1_3repE0EEENS1_30default_config_static_selectorELNS0_4arch9wavefront6targetE0EEEvT1_.has_dyn_sized_stack, 0
	.set _ZN7rocprim17ROCPRIM_400000_NS6detail17trampoline_kernelINS0_14default_configENS1_25transform_config_selectorIjLb1EEEZNS1_14transform_implILb1ES3_S5_PKjPjNS0_8identityIjEEEE10hipError_tT2_T3_mT4_P12ihipStream_tbEUlT_E_NS1_11comp_targetILNS1_3genE5ELNS1_11target_archE942ELNS1_3gpuE9ELNS1_3repE0EEENS1_30default_config_static_selectorELNS0_4arch9wavefront6targetE0EEEvT1_.has_recursion, 0
	.set _ZN7rocprim17ROCPRIM_400000_NS6detail17trampoline_kernelINS0_14default_configENS1_25transform_config_selectorIjLb1EEEZNS1_14transform_implILb1ES3_S5_PKjPjNS0_8identityIjEEEE10hipError_tT2_T3_mT4_P12ihipStream_tbEUlT_E_NS1_11comp_targetILNS1_3genE5ELNS1_11target_archE942ELNS1_3gpuE9ELNS1_3repE0EEENS1_30default_config_static_selectorELNS0_4arch9wavefront6targetE0EEEvT1_.has_indirect_call, 0
	.section	.AMDGPU.csdata,"",@progbits
; Kernel info:
; codeLenInByte = 0
; TotalNumSgprs: 0
; NumVgprs: 0
; ScratchSize: 0
; MemoryBound: 0
; FloatMode: 240
; IeeeMode: 1
; LDSByteSize: 0 bytes/workgroup (compile time only)
; SGPRBlocks: 0
; VGPRBlocks: 0
; NumSGPRsForWavesPerEU: 1
; NumVGPRsForWavesPerEU: 1
; NamedBarCnt: 0
; Occupancy: 16
; WaveLimiterHint : 0
; COMPUTE_PGM_RSRC2:SCRATCH_EN: 0
; COMPUTE_PGM_RSRC2:USER_SGPR: 2
; COMPUTE_PGM_RSRC2:TRAP_HANDLER: 0
; COMPUTE_PGM_RSRC2:TGID_X_EN: 1
; COMPUTE_PGM_RSRC2:TGID_Y_EN: 0
; COMPUTE_PGM_RSRC2:TGID_Z_EN: 0
; COMPUTE_PGM_RSRC2:TIDIG_COMP_CNT: 0
	.section	.text._ZN7rocprim17ROCPRIM_400000_NS6detail17trampoline_kernelINS0_14default_configENS1_25transform_config_selectorIjLb1EEEZNS1_14transform_implILb1ES3_S5_PKjPjNS0_8identityIjEEEE10hipError_tT2_T3_mT4_P12ihipStream_tbEUlT_E_NS1_11comp_targetILNS1_3genE4ELNS1_11target_archE910ELNS1_3gpuE8ELNS1_3repE0EEENS1_30default_config_static_selectorELNS0_4arch9wavefront6targetE0EEEvT1_,"axG",@progbits,_ZN7rocprim17ROCPRIM_400000_NS6detail17trampoline_kernelINS0_14default_configENS1_25transform_config_selectorIjLb1EEEZNS1_14transform_implILb1ES3_S5_PKjPjNS0_8identityIjEEEE10hipError_tT2_T3_mT4_P12ihipStream_tbEUlT_E_NS1_11comp_targetILNS1_3genE4ELNS1_11target_archE910ELNS1_3gpuE8ELNS1_3repE0EEENS1_30default_config_static_selectorELNS0_4arch9wavefront6targetE0EEEvT1_,comdat
	.protected	_ZN7rocprim17ROCPRIM_400000_NS6detail17trampoline_kernelINS0_14default_configENS1_25transform_config_selectorIjLb1EEEZNS1_14transform_implILb1ES3_S5_PKjPjNS0_8identityIjEEEE10hipError_tT2_T3_mT4_P12ihipStream_tbEUlT_E_NS1_11comp_targetILNS1_3genE4ELNS1_11target_archE910ELNS1_3gpuE8ELNS1_3repE0EEENS1_30default_config_static_selectorELNS0_4arch9wavefront6targetE0EEEvT1_ ; -- Begin function _ZN7rocprim17ROCPRIM_400000_NS6detail17trampoline_kernelINS0_14default_configENS1_25transform_config_selectorIjLb1EEEZNS1_14transform_implILb1ES3_S5_PKjPjNS0_8identityIjEEEE10hipError_tT2_T3_mT4_P12ihipStream_tbEUlT_E_NS1_11comp_targetILNS1_3genE4ELNS1_11target_archE910ELNS1_3gpuE8ELNS1_3repE0EEENS1_30default_config_static_selectorELNS0_4arch9wavefront6targetE0EEEvT1_
	.globl	_ZN7rocprim17ROCPRIM_400000_NS6detail17trampoline_kernelINS0_14default_configENS1_25transform_config_selectorIjLb1EEEZNS1_14transform_implILb1ES3_S5_PKjPjNS0_8identityIjEEEE10hipError_tT2_T3_mT4_P12ihipStream_tbEUlT_E_NS1_11comp_targetILNS1_3genE4ELNS1_11target_archE910ELNS1_3gpuE8ELNS1_3repE0EEENS1_30default_config_static_selectorELNS0_4arch9wavefront6targetE0EEEvT1_
	.p2align	8
	.type	_ZN7rocprim17ROCPRIM_400000_NS6detail17trampoline_kernelINS0_14default_configENS1_25transform_config_selectorIjLb1EEEZNS1_14transform_implILb1ES3_S5_PKjPjNS0_8identityIjEEEE10hipError_tT2_T3_mT4_P12ihipStream_tbEUlT_E_NS1_11comp_targetILNS1_3genE4ELNS1_11target_archE910ELNS1_3gpuE8ELNS1_3repE0EEENS1_30default_config_static_selectorELNS0_4arch9wavefront6targetE0EEEvT1_,@function
_ZN7rocprim17ROCPRIM_400000_NS6detail17trampoline_kernelINS0_14default_configENS1_25transform_config_selectorIjLb1EEEZNS1_14transform_implILb1ES3_S5_PKjPjNS0_8identityIjEEEE10hipError_tT2_T3_mT4_P12ihipStream_tbEUlT_E_NS1_11comp_targetILNS1_3genE4ELNS1_11target_archE910ELNS1_3gpuE8ELNS1_3repE0EEENS1_30default_config_static_selectorELNS0_4arch9wavefront6targetE0EEEvT1_: ; @_ZN7rocprim17ROCPRIM_400000_NS6detail17trampoline_kernelINS0_14default_configENS1_25transform_config_selectorIjLb1EEEZNS1_14transform_implILb1ES3_S5_PKjPjNS0_8identityIjEEEE10hipError_tT2_T3_mT4_P12ihipStream_tbEUlT_E_NS1_11comp_targetILNS1_3genE4ELNS1_11target_archE910ELNS1_3gpuE8ELNS1_3repE0EEENS1_30default_config_static_selectorELNS0_4arch9wavefront6targetE0EEEvT1_
; %bb.0:
	.section	.rodata,"a",@progbits
	.p2align	6, 0x0
	.amdhsa_kernel _ZN7rocprim17ROCPRIM_400000_NS6detail17trampoline_kernelINS0_14default_configENS1_25transform_config_selectorIjLb1EEEZNS1_14transform_implILb1ES3_S5_PKjPjNS0_8identityIjEEEE10hipError_tT2_T3_mT4_P12ihipStream_tbEUlT_E_NS1_11comp_targetILNS1_3genE4ELNS1_11target_archE910ELNS1_3gpuE8ELNS1_3repE0EEENS1_30default_config_static_selectorELNS0_4arch9wavefront6targetE0EEEvT1_
		.amdhsa_group_segment_fixed_size 0
		.amdhsa_private_segment_fixed_size 0
		.amdhsa_kernarg_size 40
		.amdhsa_user_sgpr_count 2
		.amdhsa_user_sgpr_dispatch_ptr 0
		.amdhsa_user_sgpr_queue_ptr 0
		.amdhsa_user_sgpr_kernarg_segment_ptr 1
		.amdhsa_user_sgpr_dispatch_id 0
		.amdhsa_user_sgpr_kernarg_preload_length 0
		.amdhsa_user_sgpr_kernarg_preload_offset 0
		.amdhsa_user_sgpr_private_segment_size 0
		.amdhsa_wavefront_size32 1
		.amdhsa_uses_dynamic_stack 0
		.amdhsa_enable_private_segment 0
		.amdhsa_system_sgpr_workgroup_id_x 1
		.amdhsa_system_sgpr_workgroup_id_y 0
		.amdhsa_system_sgpr_workgroup_id_z 0
		.amdhsa_system_sgpr_workgroup_info 0
		.amdhsa_system_vgpr_workitem_id 0
		.amdhsa_next_free_vgpr 1
		.amdhsa_next_free_sgpr 1
		.amdhsa_named_barrier_count 0
		.amdhsa_reserve_vcc 0
		.amdhsa_float_round_mode_32 0
		.amdhsa_float_round_mode_16_64 0
		.amdhsa_float_denorm_mode_32 3
		.amdhsa_float_denorm_mode_16_64 3
		.amdhsa_fp16_overflow 0
		.amdhsa_memory_ordered 1
		.amdhsa_forward_progress 1
		.amdhsa_inst_pref_size 0
		.amdhsa_round_robin_scheduling 0
		.amdhsa_exception_fp_ieee_invalid_op 0
		.amdhsa_exception_fp_denorm_src 0
		.amdhsa_exception_fp_ieee_div_zero 0
		.amdhsa_exception_fp_ieee_overflow 0
		.amdhsa_exception_fp_ieee_underflow 0
		.amdhsa_exception_fp_ieee_inexact 0
		.amdhsa_exception_int_div_zero 0
	.end_amdhsa_kernel
	.section	.text._ZN7rocprim17ROCPRIM_400000_NS6detail17trampoline_kernelINS0_14default_configENS1_25transform_config_selectorIjLb1EEEZNS1_14transform_implILb1ES3_S5_PKjPjNS0_8identityIjEEEE10hipError_tT2_T3_mT4_P12ihipStream_tbEUlT_E_NS1_11comp_targetILNS1_3genE4ELNS1_11target_archE910ELNS1_3gpuE8ELNS1_3repE0EEENS1_30default_config_static_selectorELNS0_4arch9wavefront6targetE0EEEvT1_,"axG",@progbits,_ZN7rocprim17ROCPRIM_400000_NS6detail17trampoline_kernelINS0_14default_configENS1_25transform_config_selectorIjLb1EEEZNS1_14transform_implILb1ES3_S5_PKjPjNS0_8identityIjEEEE10hipError_tT2_T3_mT4_P12ihipStream_tbEUlT_E_NS1_11comp_targetILNS1_3genE4ELNS1_11target_archE910ELNS1_3gpuE8ELNS1_3repE0EEENS1_30default_config_static_selectorELNS0_4arch9wavefront6targetE0EEEvT1_,comdat
.Lfunc_end2628:
	.size	_ZN7rocprim17ROCPRIM_400000_NS6detail17trampoline_kernelINS0_14default_configENS1_25transform_config_selectorIjLb1EEEZNS1_14transform_implILb1ES3_S5_PKjPjNS0_8identityIjEEEE10hipError_tT2_T3_mT4_P12ihipStream_tbEUlT_E_NS1_11comp_targetILNS1_3genE4ELNS1_11target_archE910ELNS1_3gpuE8ELNS1_3repE0EEENS1_30default_config_static_selectorELNS0_4arch9wavefront6targetE0EEEvT1_, .Lfunc_end2628-_ZN7rocprim17ROCPRIM_400000_NS6detail17trampoline_kernelINS0_14default_configENS1_25transform_config_selectorIjLb1EEEZNS1_14transform_implILb1ES3_S5_PKjPjNS0_8identityIjEEEE10hipError_tT2_T3_mT4_P12ihipStream_tbEUlT_E_NS1_11comp_targetILNS1_3genE4ELNS1_11target_archE910ELNS1_3gpuE8ELNS1_3repE0EEENS1_30default_config_static_selectorELNS0_4arch9wavefront6targetE0EEEvT1_
                                        ; -- End function
	.set _ZN7rocprim17ROCPRIM_400000_NS6detail17trampoline_kernelINS0_14default_configENS1_25transform_config_selectorIjLb1EEEZNS1_14transform_implILb1ES3_S5_PKjPjNS0_8identityIjEEEE10hipError_tT2_T3_mT4_P12ihipStream_tbEUlT_E_NS1_11comp_targetILNS1_3genE4ELNS1_11target_archE910ELNS1_3gpuE8ELNS1_3repE0EEENS1_30default_config_static_selectorELNS0_4arch9wavefront6targetE0EEEvT1_.num_vgpr, 0
	.set _ZN7rocprim17ROCPRIM_400000_NS6detail17trampoline_kernelINS0_14default_configENS1_25transform_config_selectorIjLb1EEEZNS1_14transform_implILb1ES3_S5_PKjPjNS0_8identityIjEEEE10hipError_tT2_T3_mT4_P12ihipStream_tbEUlT_E_NS1_11comp_targetILNS1_3genE4ELNS1_11target_archE910ELNS1_3gpuE8ELNS1_3repE0EEENS1_30default_config_static_selectorELNS0_4arch9wavefront6targetE0EEEvT1_.num_agpr, 0
	.set _ZN7rocprim17ROCPRIM_400000_NS6detail17trampoline_kernelINS0_14default_configENS1_25transform_config_selectorIjLb1EEEZNS1_14transform_implILb1ES3_S5_PKjPjNS0_8identityIjEEEE10hipError_tT2_T3_mT4_P12ihipStream_tbEUlT_E_NS1_11comp_targetILNS1_3genE4ELNS1_11target_archE910ELNS1_3gpuE8ELNS1_3repE0EEENS1_30default_config_static_selectorELNS0_4arch9wavefront6targetE0EEEvT1_.numbered_sgpr, 0
	.set _ZN7rocprim17ROCPRIM_400000_NS6detail17trampoline_kernelINS0_14default_configENS1_25transform_config_selectorIjLb1EEEZNS1_14transform_implILb1ES3_S5_PKjPjNS0_8identityIjEEEE10hipError_tT2_T3_mT4_P12ihipStream_tbEUlT_E_NS1_11comp_targetILNS1_3genE4ELNS1_11target_archE910ELNS1_3gpuE8ELNS1_3repE0EEENS1_30default_config_static_selectorELNS0_4arch9wavefront6targetE0EEEvT1_.num_named_barrier, 0
	.set _ZN7rocprim17ROCPRIM_400000_NS6detail17trampoline_kernelINS0_14default_configENS1_25transform_config_selectorIjLb1EEEZNS1_14transform_implILb1ES3_S5_PKjPjNS0_8identityIjEEEE10hipError_tT2_T3_mT4_P12ihipStream_tbEUlT_E_NS1_11comp_targetILNS1_3genE4ELNS1_11target_archE910ELNS1_3gpuE8ELNS1_3repE0EEENS1_30default_config_static_selectorELNS0_4arch9wavefront6targetE0EEEvT1_.private_seg_size, 0
	.set _ZN7rocprim17ROCPRIM_400000_NS6detail17trampoline_kernelINS0_14default_configENS1_25transform_config_selectorIjLb1EEEZNS1_14transform_implILb1ES3_S5_PKjPjNS0_8identityIjEEEE10hipError_tT2_T3_mT4_P12ihipStream_tbEUlT_E_NS1_11comp_targetILNS1_3genE4ELNS1_11target_archE910ELNS1_3gpuE8ELNS1_3repE0EEENS1_30default_config_static_selectorELNS0_4arch9wavefront6targetE0EEEvT1_.uses_vcc, 0
	.set _ZN7rocprim17ROCPRIM_400000_NS6detail17trampoline_kernelINS0_14default_configENS1_25transform_config_selectorIjLb1EEEZNS1_14transform_implILb1ES3_S5_PKjPjNS0_8identityIjEEEE10hipError_tT2_T3_mT4_P12ihipStream_tbEUlT_E_NS1_11comp_targetILNS1_3genE4ELNS1_11target_archE910ELNS1_3gpuE8ELNS1_3repE0EEENS1_30default_config_static_selectorELNS0_4arch9wavefront6targetE0EEEvT1_.uses_flat_scratch, 0
	.set _ZN7rocprim17ROCPRIM_400000_NS6detail17trampoline_kernelINS0_14default_configENS1_25transform_config_selectorIjLb1EEEZNS1_14transform_implILb1ES3_S5_PKjPjNS0_8identityIjEEEE10hipError_tT2_T3_mT4_P12ihipStream_tbEUlT_E_NS1_11comp_targetILNS1_3genE4ELNS1_11target_archE910ELNS1_3gpuE8ELNS1_3repE0EEENS1_30default_config_static_selectorELNS0_4arch9wavefront6targetE0EEEvT1_.has_dyn_sized_stack, 0
	.set _ZN7rocprim17ROCPRIM_400000_NS6detail17trampoline_kernelINS0_14default_configENS1_25transform_config_selectorIjLb1EEEZNS1_14transform_implILb1ES3_S5_PKjPjNS0_8identityIjEEEE10hipError_tT2_T3_mT4_P12ihipStream_tbEUlT_E_NS1_11comp_targetILNS1_3genE4ELNS1_11target_archE910ELNS1_3gpuE8ELNS1_3repE0EEENS1_30default_config_static_selectorELNS0_4arch9wavefront6targetE0EEEvT1_.has_recursion, 0
	.set _ZN7rocprim17ROCPRIM_400000_NS6detail17trampoline_kernelINS0_14default_configENS1_25transform_config_selectorIjLb1EEEZNS1_14transform_implILb1ES3_S5_PKjPjNS0_8identityIjEEEE10hipError_tT2_T3_mT4_P12ihipStream_tbEUlT_E_NS1_11comp_targetILNS1_3genE4ELNS1_11target_archE910ELNS1_3gpuE8ELNS1_3repE0EEENS1_30default_config_static_selectorELNS0_4arch9wavefront6targetE0EEEvT1_.has_indirect_call, 0
	.section	.AMDGPU.csdata,"",@progbits
; Kernel info:
; codeLenInByte = 0
; TotalNumSgprs: 0
; NumVgprs: 0
; ScratchSize: 0
; MemoryBound: 0
; FloatMode: 240
; IeeeMode: 1
; LDSByteSize: 0 bytes/workgroup (compile time only)
; SGPRBlocks: 0
; VGPRBlocks: 0
; NumSGPRsForWavesPerEU: 1
; NumVGPRsForWavesPerEU: 1
; NamedBarCnt: 0
; Occupancy: 16
; WaveLimiterHint : 0
; COMPUTE_PGM_RSRC2:SCRATCH_EN: 0
; COMPUTE_PGM_RSRC2:USER_SGPR: 2
; COMPUTE_PGM_RSRC2:TRAP_HANDLER: 0
; COMPUTE_PGM_RSRC2:TGID_X_EN: 1
; COMPUTE_PGM_RSRC2:TGID_Y_EN: 0
; COMPUTE_PGM_RSRC2:TGID_Z_EN: 0
; COMPUTE_PGM_RSRC2:TIDIG_COMP_CNT: 0
	.section	.text._ZN7rocprim17ROCPRIM_400000_NS6detail17trampoline_kernelINS0_14default_configENS1_25transform_config_selectorIjLb1EEEZNS1_14transform_implILb1ES3_S5_PKjPjNS0_8identityIjEEEE10hipError_tT2_T3_mT4_P12ihipStream_tbEUlT_E_NS1_11comp_targetILNS1_3genE3ELNS1_11target_archE908ELNS1_3gpuE7ELNS1_3repE0EEENS1_30default_config_static_selectorELNS0_4arch9wavefront6targetE0EEEvT1_,"axG",@progbits,_ZN7rocprim17ROCPRIM_400000_NS6detail17trampoline_kernelINS0_14default_configENS1_25transform_config_selectorIjLb1EEEZNS1_14transform_implILb1ES3_S5_PKjPjNS0_8identityIjEEEE10hipError_tT2_T3_mT4_P12ihipStream_tbEUlT_E_NS1_11comp_targetILNS1_3genE3ELNS1_11target_archE908ELNS1_3gpuE7ELNS1_3repE0EEENS1_30default_config_static_selectorELNS0_4arch9wavefront6targetE0EEEvT1_,comdat
	.protected	_ZN7rocprim17ROCPRIM_400000_NS6detail17trampoline_kernelINS0_14default_configENS1_25transform_config_selectorIjLb1EEEZNS1_14transform_implILb1ES3_S5_PKjPjNS0_8identityIjEEEE10hipError_tT2_T3_mT4_P12ihipStream_tbEUlT_E_NS1_11comp_targetILNS1_3genE3ELNS1_11target_archE908ELNS1_3gpuE7ELNS1_3repE0EEENS1_30default_config_static_selectorELNS0_4arch9wavefront6targetE0EEEvT1_ ; -- Begin function _ZN7rocprim17ROCPRIM_400000_NS6detail17trampoline_kernelINS0_14default_configENS1_25transform_config_selectorIjLb1EEEZNS1_14transform_implILb1ES3_S5_PKjPjNS0_8identityIjEEEE10hipError_tT2_T3_mT4_P12ihipStream_tbEUlT_E_NS1_11comp_targetILNS1_3genE3ELNS1_11target_archE908ELNS1_3gpuE7ELNS1_3repE0EEENS1_30default_config_static_selectorELNS0_4arch9wavefront6targetE0EEEvT1_
	.globl	_ZN7rocprim17ROCPRIM_400000_NS6detail17trampoline_kernelINS0_14default_configENS1_25transform_config_selectorIjLb1EEEZNS1_14transform_implILb1ES3_S5_PKjPjNS0_8identityIjEEEE10hipError_tT2_T3_mT4_P12ihipStream_tbEUlT_E_NS1_11comp_targetILNS1_3genE3ELNS1_11target_archE908ELNS1_3gpuE7ELNS1_3repE0EEENS1_30default_config_static_selectorELNS0_4arch9wavefront6targetE0EEEvT1_
	.p2align	8
	.type	_ZN7rocprim17ROCPRIM_400000_NS6detail17trampoline_kernelINS0_14default_configENS1_25transform_config_selectorIjLb1EEEZNS1_14transform_implILb1ES3_S5_PKjPjNS0_8identityIjEEEE10hipError_tT2_T3_mT4_P12ihipStream_tbEUlT_E_NS1_11comp_targetILNS1_3genE3ELNS1_11target_archE908ELNS1_3gpuE7ELNS1_3repE0EEENS1_30default_config_static_selectorELNS0_4arch9wavefront6targetE0EEEvT1_,@function
_ZN7rocprim17ROCPRIM_400000_NS6detail17trampoline_kernelINS0_14default_configENS1_25transform_config_selectorIjLb1EEEZNS1_14transform_implILb1ES3_S5_PKjPjNS0_8identityIjEEEE10hipError_tT2_T3_mT4_P12ihipStream_tbEUlT_E_NS1_11comp_targetILNS1_3genE3ELNS1_11target_archE908ELNS1_3gpuE7ELNS1_3repE0EEENS1_30default_config_static_selectorELNS0_4arch9wavefront6targetE0EEEvT1_: ; @_ZN7rocprim17ROCPRIM_400000_NS6detail17trampoline_kernelINS0_14default_configENS1_25transform_config_selectorIjLb1EEEZNS1_14transform_implILb1ES3_S5_PKjPjNS0_8identityIjEEEE10hipError_tT2_T3_mT4_P12ihipStream_tbEUlT_E_NS1_11comp_targetILNS1_3genE3ELNS1_11target_archE908ELNS1_3gpuE7ELNS1_3repE0EEENS1_30default_config_static_selectorELNS0_4arch9wavefront6targetE0EEEvT1_
; %bb.0:
	.section	.rodata,"a",@progbits
	.p2align	6, 0x0
	.amdhsa_kernel _ZN7rocprim17ROCPRIM_400000_NS6detail17trampoline_kernelINS0_14default_configENS1_25transform_config_selectorIjLb1EEEZNS1_14transform_implILb1ES3_S5_PKjPjNS0_8identityIjEEEE10hipError_tT2_T3_mT4_P12ihipStream_tbEUlT_E_NS1_11comp_targetILNS1_3genE3ELNS1_11target_archE908ELNS1_3gpuE7ELNS1_3repE0EEENS1_30default_config_static_selectorELNS0_4arch9wavefront6targetE0EEEvT1_
		.amdhsa_group_segment_fixed_size 0
		.amdhsa_private_segment_fixed_size 0
		.amdhsa_kernarg_size 40
		.amdhsa_user_sgpr_count 2
		.amdhsa_user_sgpr_dispatch_ptr 0
		.amdhsa_user_sgpr_queue_ptr 0
		.amdhsa_user_sgpr_kernarg_segment_ptr 1
		.amdhsa_user_sgpr_dispatch_id 0
		.amdhsa_user_sgpr_kernarg_preload_length 0
		.amdhsa_user_sgpr_kernarg_preload_offset 0
		.amdhsa_user_sgpr_private_segment_size 0
		.amdhsa_wavefront_size32 1
		.amdhsa_uses_dynamic_stack 0
		.amdhsa_enable_private_segment 0
		.amdhsa_system_sgpr_workgroup_id_x 1
		.amdhsa_system_sgpr_workgroup_id_y 0
		.amdhsa_system_sgpr_workgroup_id_z 0
		.amdhsa_system_sgpr_workgroup_info 0
		.amdhsa_system_vgpr_workitem_id 0
		.amdhsa_next_free_vgpr 1
		.amdhsa_next_free_sgpr 1
		.amdhsa_named_barrier_count 0
		.amdhsa_reserve_vcc 0
		.amdhsa_float_round_mode_32 0
		.amdhsa_float_round_mode_16_64 0
		.amdhsa_float_denorm_mode_32 3
		.amdhsa_float_denorm_mode_16_64 3
		.amdhsa_fp16_overflow 0
		.amdhsa_memory_ordered 1
		.amdhsa_forward_progress 1
		.amdhsa_inst_pref_size 0
		.amdhsa_round_robin_scheduling 0
		.amdhsa_exception_fp_ieee_invalid_op 0
		.amdhsa_exception_fp_denorm_src 0
		.amdhsa_exception_fp_ieee_div_zero 0
		.amdhsa_exception_fp_ieee_overflow 0
		.amdhsa_exception_fp_ieee_underflow 0
		.amdhsa_exception_fp_ieee_inexact 0
		.amdhsa_exception_int_div_zero 0
	.end_amdhsa_kernel
	.section	.text._ZN7rocprim17ROCPRIM_400000_NS6detail17trampoline_kernelINS0_14default_configENS1_25transform_config_selectorIjLb1EEEZNS1_14transform_implILb1ES3_S5_PKjPjNS0_8identityIjEEEE10hipError_tT2_T3_mT4_P12ihipStream_tbEUlT_E_NS1_11comp_targetILNS1_3genE3ELNS1_11target_archE908ELNS1_3gpuE7ELNS1_3repE0EEENS1_30default_config_static_selectorELNS0_4arch9wavefront6targetE0EEEvT1_,"axG",@progbits,_ZN7rocprim17ROCPRIM_400000_NS6detail17trampoline_kernelINS0_14default_configENS1_25transform_config_selectorIjLb1EEEZNS1_14transform_implILb1ES3_S5_PKjPjNS0_8identityIjEEEE10hipError_tT2_T3_mT4_P12ihipStream_tbEUlT_E_NS1_11comp_targetILNS1_3genE3ELNS1_11target_archE908ELNS1_3gpuE7ELNS1_3repE0EEENS1_30default_config_static_selectorELNS0_4arch9wavefront6targetE0EEEvT1_,comdat
.Lfunc_end2629:
	.size	_ZN7rocprim17ROCPRIM_400000_NS6detail17trampoline_kernelINS0_14default_configENS1_25transform_config_selectorIjLb1EEEZNS1_14transform_implILb1ES3_S5_PKjPjNS0_8identityIjEEEE10hipError_tT2_T3_mT4_P12ihipStream_tbEUlT_E_NS1_11comp_targetILNS1_3genE3ELNS1_11target_archE908ELNS1_3gpuE7ELNS1_3repE0EEENS1_30default_config_static_selectorELNS0_4arch9wavefront6targetE0EEEvT1_, .Lfunc_end2629-_ZN7rocprim17ROCPRIM_400000_NS6detail17trampoline_kernelINS0_14default_configENS1_25transform_config_selectorIjLb1EEEZNS1_14transform_implILb1ES3_S5_PKjPjNS0_8identityIjEEEE10hipError_tT2_T3_mT4_P12ihipStream_tbEUlT_E_NS1_11comp_targetILNS1_3genE3ELNS1_11target_archE908ELNS1_3gpuE7ELNS1_3repE0EEENS1_30default_config_static_selectorELNS0_4arch9wavefront6targetE0EEEvT1_
                                        ; -- End function
	.set _ZN7rocprim17ROCPRIM_400000_NS6detail17trampoline_kernelINS0_14default_configENS1_25transform_config_selectorIjLb1EEEZNS1_14transform_implILb1ES3_S5_PKjPjNS0_8identityIjEEEE10hipError_tT2_T3_mT4_P12ihipStream_tbEUlT_E_NS1_11comp_targetILNS1_3genE3ELNS1_11target_archE908ELNS1_3gpuE7ELNS1_3repE0EEENS1_30default_config_static_selectorELNS0_4arch9wavefront6targetE0EEEvT1_.num_vgpr, 0
	.set _ZN7rocprim17ROCPRIM_400000_NS6detail17trampoline_kernelINS0_14default_configENS1_25transform_config_selectorIjLb1EEEZNS1_14transform_implILb1ES3_S5_PKjPjNS0_8identityIjEEEE10hipError_tT2_T3_mT4_P12ihipStream_tbEUlT_E_NS1_11comp_targetILNS1_3genE3ELNS1_11target_archE908ELNS1_3gpuE7ELNS1_3repE0EEENS1_30default_config_static_selectorELNS0_4arch9wavefront6targetE0EEEvT1_.num_agpr, 0
	.set _ZN7rocprim17ROCPRIM_400000_NS6detail17trampoline_kernelINS0_14default_configENS1_25transform_config_selectorIjLb1EEEZNS1_14transform_implILb1ES3_S5_PKjPjNS0_8identityIjEEEE10hipError_tT2_T3_mT4_P12ihipStream_tbEUlT_E_NS1_11comp_targetILNS1_3genE3ELNS1_11target_archE908ELNS1_3gpuE7ELNS1_3repE0EEENS1_30default_config_static_selectorELNS0_4arch9wavefront6targetE0EEEvT1_.numbered_sgpr, 0
	.set _ZN7rocprim17ROCPRIM_400000_NS6detail17trampoline_kernelINS0_14default_configENS1_25transform_config_selectorIjLb1EEEZNS1_14transform_implILb1ES3_S5_PKjPjNS0_8identityIjEEEE10hipError_tT2_T3_mT4_P12ihipStream_tbEUlT_E_NS1_11comp_targetILNS1_3genE3ELNS1_11target_archE908ELNS1_3gpuE7ELNS1_3repE0EEENS1_30default_config_static_selectorELNS0_4arch9wavefront6targetE0EEEvT1_.num_named_barrier, 0
	.set _ZN7rocprim17ROCPRIM_400000_NS6detail17trampoline_kernelINS0_14default_configENS1_25transform_config_selectorIjLb1EEEZNS1_14transform_implILb1ES3_S5_PKjPjNS0_8identityIjEEEE10hipError_tT2_T3_mT4_P12ihipStream_tbEUlT_E_NS1_11comp_targetILNS1_3genE3ELNS1_11target_archE908ELNS1_3gpuE7ELNS1_3repE0EEENS1_30default_config_static_selectorELNS0_4arch9wavefront6targetE0EEEvT1_.private_seg_size, 0
	.set _ZN7rocprim17ROCPRIM_400000_NS6detail17trampoline_kernelINS0_14default_configENS1_25transform_config_selectorIjLb1EEEZNS1_14transform_implILb1ES3_S5_PKjPjNS0_8identityIjEEEE10hipError_tT2_T3_mT4_P12ihipStream_tbEUlT_E_NS1_11comp_targetILNS1_3genE3ELNS1_11target_archE908ELNS1_3gpuE7ELNS1_3repE0EEENS1_30default_config_static_selectorELNS0_4arch9wavefront6targetE0EEEvT1_.uses_vcc, 0
	.set _ZN7rocprim17ROCPRIM_400000_NS6detail17trampoline_kernelINS0_14default_configENS1_25transform_config_selectorIjLb1EEEZNS1_14transform_implILb1ES3_S5_PKjPjNS0_8identityIjEEEE10hipError_tT2_T3_mT4_P12ihipStream_tbEUlT_E_NS1_11comp_targetILNS1_3genE3ELNS1_11target_archE908ELNS1_3gpuE7ELNS1_3repE0EEENS1_30default_config_static_selectorELNS0_4arch9wavefront6targetE0EEEvT1_.uses_flat_scratch, 0
	.set _ZN7rocprim17ROCPRIM_400000_NS6detail17trampoline_kernelINS0_14default_configENS1_25transform_config_selectorIjLb1EEEZNS1_14transform_implILb1ES3_S5_PKjPjNS0_8identityIjEEEE10hipError_tT2_T3_mT4_P12ihipStream_tbEUlT_E_NS1_11comp_targetILNS1_3genE3ELNS1_11target_archE908ELNS1_3gpuE7ELNS1_3repE0EEENS1_30default_config_static_selectorELNS0_4arch9wavefront6targetE0EEEvT1_.has_dyn_sized_stack, 0
	.set _ZN7rocprim17ROCPRIM_400000_NS6detail17trampoline_kernelINS0_14default_configENS1_25transform_config_selectorIjLb1EEEZNS1_14transform_implILb1ES3_S5_PKjPjNS0_8identityIjEEEE10hipError_tT2_T3_mT4_P12ihipStream_tbEUlT_E_NS1_11comp_targetILNS1_3genE3ELNS1_11target_archE908ELNS1_3gpuE7ELNS1_3repE0EEENS1_30default_config_static_selectorELNS0_4arch9wavefront6targetE0EEEvT1_.has_recursion, 0
	.set _ZN7rocprim17ROCPRIM_400000_NS6detail17trampoline_kernelINS0_14default_configENS1_25transform_config_selectorIjLb1EEEZNS1_14transform_implILb1ES3_S5_PKjPjNS0_8identityIjEEEE10hipError_tT2_T3_mT4_P12ihipStream_tbEUlT_E_NS1_11comp_targetILNS1_3genE3ELNS1_11target_archE908ELNS1_3gpuE7ELNS1_3repE0EEENS1_30default_config_static_selectorELNS0_4arch9wavefront6targetE0EEEvT1_.has_indirect_call, 0
	.section	.AMDGPU.csdata,"",@progbits
; Kernel info:
; codeLenInByte = 0
; TotalNumSgprs: 0
; NumVgprs: 0
; ScratchSize: 0
; MemoryBound: 0
; FloatMode: 240
; IeeeMode: 1
; LDSByteSize: 0 bytes/workgroup (compile time only)
; SGPRBlocks: 0
; VGPRBlocks: 0
; NumSGPRsForWavesPerEU: 1
; NumVGPRsForWavesPerEU: 1
; NamedBarCnt: 0
; Occupancy: 16
; WaveLimiterHint : 0
; COMPUTE_PGM_RSRC2:SCRATCH_EN: 0
; COMPUTE_PGM_RSRC2:USER_SGPR: 2
; COMPUTE_PGM_RSRC2:TRAP_HANDLER: 0
; COMPUTE_PGM_RSRC2:TGID_X_EN: 1
; COMPUTE_PGM_RSRC2:TGID_Y_EN: 0
; COMPUTE_PGM_RSRC2:TGID_Z_EN: 0
; COMPUTE_PGM_RSRC2:TIDIG_COMP_CNT: 0
	.section	.text._ZN7rocprim17ROCPRIM_400000_NS6detail17trampoline_kernelINS0_14default_configENS1_25transform_config_selectorIjLb1EEEZNS1_14transform_implILb1ES3_S5_PKjPjNS0_8identityIjEEEE10hipError_tT2_T3_mT4_P12ihipStream_tbEUlT_E_NS1_11comp_targetILNS1_3genE2ELNS1_11target_archE906ELNS1_3gpuE6ELNS1_3repE0EEENS1_30default_config_static_selectorELNS0_4arch9wavefront6targetE0EEEvT1_,"axG",@progbits,_ZN7rocprim17ROCPRIM_400000_NS6detail17trampoline_kernelINS0_14default_configENS1_25transform_config_selectorIjLb1EEEZNS1_14transform_implILb1ES3_S5_PKjPjNS0_8identityIjEEEE10hipError_tT2_T3_mT4_P12ihipStream_tbEUlT_E_NS1_11comp_targetILNS1_3genE2ELNS1_11target_archE906ELNS1_3gpuE6ELNS1_3repE0EEENS1_30default_config_static_selectorELNS0_4arch9wavefront6targetE0EEEvT1_,comdat
	.protected	_ZN7rocprim17ROCPRIM_400000_NS6detail17trampoline_kernelINS0_14default_configENS1_25transform_config_selectorIjLb1EEEZNS1_14transform_implILb1ES3_S5_PKjPjNS0_8identityIjEEEE10hipError_tT2_T3_mT4_P12ihipStream_tbEUlT_E_NS1_11comp_targetILNS1_3genE2ELNS1_11target_archE906ELNS1_3gpuE6ELNS1_3repE0EEENS1_30default_config_static_selectorELNS0_4arch9wavefront6targetE0EEEvT1_ ; -- Begin function _ZN7rocprim17ROCPRIM_400000_NS6detail17trampoline_kernelINS0_14default_configENS1_25transform_config_selectorIjLb1EEEZNS1_14transform_implILb1ES3_S5_PKjPjNS0_8identityIjEEEE10hipError_tT2_T3_mT4_P12ihipStream_tbEUlT_E_NS1_11comp_targetILNS1_3genE2ELNS1_11target_archE906ELNS1_3gpuE6ELNS1_3repE0EEENS1_30default_config_static_selectorELNS0_4arch9wavefront6targetE0EEEvT1_
	.globl	_ZN7rocprim17ROCPRIM_400000_NS6detail17trampoline_kernelINS0_14default_configENS1_25transform_config_selectorIjLb1EEEZNS1_14transform_implILb1ES3_S5_PKjPjNS0_8identityIjEEEE10hipError_tT2_T3_mT4_P12ihipStream_tbEUlT_E_NS1_11comp_targetILNS1_3genE2ELNS1_11target_archE906ELNS1_3gpuE6ELNS1_3repE0EEENS1_30default_config_static_selectorELNS0_4arch9wavefront6targetE0EEEvT1_
	.p2align	8
	.type	_ZN7rocprim17ROCPRIM_400000_NS6detail17trampoline_kernelINS0_14default_configENS1_25transform_config_selectorIjLb1EEEZNS1_14transform_implILb1ES3_S5_PKjPjNS0_8identityIjEEEE10hipError_tT2_T3_mT4_P12ihipStream_tbEUlT_E_NS1_11comp_targetILNS1_3genE2ELNS1_11target_archE906ELNS1_3gpuE6ELNS1_3repE0EEENS1_30default_config_static_selectorELNS0_4arch9wavefront6targetE0EEEvT1_,@function
_ZN7rocprim17ROCPRIM_400000_NS6detail17trampoline_kernelINS0_14default_configENS1_25transform_config_selectorIjLb1EEEZNS1_14transform_implILb1ES3_S5_PKjPjNS0_8identityIjEEEE10hipError_tT2_T3_mT4_P12ihipStream_tbEUlT_E_NS1_11comp_targetILNS1_3genE2ELNS1_11target_archE906ELNS1_3gpuE6ELNS1_3repE0EEENS1_30default_config_static_selectorELNS0_4arch9wavefront6targetE0EEEvT1_: ; @_ZN7rocprim17ROCPRIM_400000_NS6detail17trampoline_kernelINS0_14default_configENS1_25transform_config_selectorIjLb1EEEZNS1_14transform_implILb1ES3_S5_PKjPjNS0_8identityIjEEEE10hipError_tT2_T3_mT4_P12ihipStream_tbEUlT_E_NS1_11comp_targetILNS1_3genE2ELNS1_11target_archE906ELNS1_3gpuE6ELNS1_3repE0EEENS1_30default_config_static_selectorELNS0_4arch9wavefront6targetE0EEEvT1_
; %bb.0:
	.section	.rodata,"a",@progbits
	.p2align	6, 0x0
	.amdhsa_kernel _ZN7rocprim17ROCPRIM_400000_NS6detail17trampoline_kernelINS0_14default_configENS1_25transform_config_selectorIjLb1EEEZNS1_14transform_implILb1ES3_S5_PKjPjNS0_8identityIjEEEE10hipError_tT2_T3_mT4_P12ihipStream_tbEUlT_E_NS1_11comp_targetILNS1_3genE2ELNS1_11target_archE906ELNS1_3gpuE6ELNS1_3repE0EEENS1_30default_config_static_selectorELNS0_4arch9wavefront6targetE0EEEvT1_
		.amdhsa_group_segment_fixed_size 0
		.amdhsa_private_segment_fixed_size 0
		.amdhsa_kernarg_size 40
		.amdhsa_user_sgpr_count 2
		.amdhsa_user_sgpr_dispatch_ptr 0
		.amdhsa_user_sgpr_queue_ptr 0
		.amdhsa_user_sgpr_kernarg_segment_ptr 1
		.amdhsa_user_sgpr_dispatch_id 0
		.amdhsa_user_sgpr_kernarg_preload_length 0
		.amdhsa_user_sgpr_kernarg_preload_offset 0
		.amdhsa_user_sgpr_private_segment_size 0
		.amdhsa_wavefront_size32 1
		.amdhsa_uses_dynamic_stack 0
		.amdhsa_enable_private_segment 0
		.amdhsa_system_sgpr_workgroup_id_x 1
		.amdhsa_system_sgpr_workgroup_id_y 0
		.amdhsa_system_sgpr_workgroup_id_z 0
		.amdhsa_system_sgpr_workgroup_info 0
		.amdhsa_system_vgpr_workitem_id 0
		.amdhsa_next_free_vgpr 1
		.amdhsa_next_free_sgpr 1
		.amdhsa_named_barrier_count 0
		.amdhsa_reserve_vcc 0
		.amdhsa_float_round_mode_32 0
		.amdhsa_float_round_mode_16_64 0
		.amdhsa_float_denorm_mode_32 3
		.amdhsa_float_denorm_mode_16_64 3
		.amdhsa_fp16_overflow 0
		.amdhsa_memory_ordered 1
		.amdhsa_forward_progress 1
		.amdhsa_inst_pref_size 0
		.amdhsa_round_robin_scheduling 0
		.amdhsa_exception_fp_ieee_invalid_op 0
		.amdhsa_exception_fp_denorm_src 0
		.amdhsa_exception_fp_ieee_div_zero 0
		.amdhsa_exception_fp_ieee_overflow 0
		.amdhsa_exception_fp_ieee_underflow 0
		.amdhsa_exception_fp_ieee_inexact 0
		.amdhsa_exception_int_div_zero 0
	.end_amdhsa_kernel
	.section	.text._ZN7rocprim17ROCPRIM_400000_NS6detail17trampoline_kernelINS0_14default_configENS1_25transform_config_selectorIjLb1EEEZNS1_14transform_implILb1ES3_S5_PKjPjNS0_8identityIjEEEE10hipError_tT2_T3_mT4_P12ihipStream_tbEUlT_E_NS1_11comp_targetILNS1_3genE2ELNS1_11target_archE906ELNS1_3gpuE6ELNS1_3repE0EEENS1_30default_config_static_selectorELNS0_4arch9wavefront6targetE0EEEvT1_,"axG",@progbits,_ZN7rocprim17ROCPRIM_400000_NS6detail17trampoline_kernelINS0_14default_configENS1_25transform_config_selectorIjLb1EEEZNS1_14transform_implILb1ES3_S5_PKjPjNS0_8identityIjEEEE10hipError_tT2_T3_mT4_P12ihipStream_tbEUlT_E_NS1_11comp_targetILNS1_3genE2ELNS1_11target_archE906ELNS1_3gpuE6ELNS1_3repE0EEENS1_30default_config_static_selectorELNS0_4arch9wavefront6targetE0EEEvT1_,comdat
.Lfunc_end2630:
	.size	_ZN7rocprim17ROCPRIM_400000_NS6detail17trampoline_kernelINS0_14default_configENS1_25transform_config_selectorIjLb1EEEZNS1_14transform_implILb1ES3_S5_PKjPjNS0_8identityIjEEEE10hipError_tT2_T3_mT4_P12ihipStream_tbEUlT_E_NS1_11comp_targetILNS1_3genE2ELNS1_11target_archE906ELNS1_3gpuE6ELNS1_3repE0EEENS1_30default_config_static_selectorELNS0_4arch9wavefront6targetE0EEEvT1_, .Lfunc_end2630-_ZN7rocprim17ROCPRIM_400000_NS6detail17trampoline_kernelINS0_14default_configENS1_25transform_config_selectorIjLb1EEEZNS1_14transform_implILb1ES3_S5_PKjPjNS0_8identityIjEEEE10hipError_tT2_T3_mT4_P12ihipStream_tbEUlT_E_NS1_11comp_targetILNS1_3genE2ELNS1_11target_archE906ELNS1_3gpuE6ELNS1_3repE0EEENS1_30default_config_static_selectorELNS0_4arch9wavefront6targetE0EEEvT1_
                                        ; -- End function
	.set _ZN7rocprim17ROCPRIM_400000_NS6detail17trampoline_kernelINS0_14default_configENS1_25transform_config_selectorIjLb1EEEZNS1_14transform_implILb1ES3_S5_PKjPjNS0_8identityIjEEEE10hipError_tT2_T3_mT4_P12ihipStream_tbEUlT_E_NS1_11comp_targetILNS1_3genE2ELNS1_11target_archE906ELNS1_3gpuE6ELNS1_3repE0EEENS1_30default_config_static_selectorELNS0_4arch9wavefront6targetE0EEEvT1_.num_vgpr, 0
	.set _ZN7rocprim17ROCPRIM_400000_NS6detail17trampoline_kernelINS0_14default_configENS1_25transform_config_selectorIjLb1EEEZNS1_14transform_implILb1ES3_S5_PKjPjNS0_8identityIjEEEE10hipError_tT2_T3_mT4_P12ihipStream_tbEUlT_E_NS1_11comp_targetILNS1_3genE2ELNS1_11target_archE906ELNS1_3gpuE6ELNS1_3repE0EEENS1_30default_config_static_selectorELNS0_4arch9wavefront6targetE0EEEvT1_.num_agpr, 0
	.set _ZN7rocprim17ROCPRIM_400000_NS6detail17trampoline_kernelINS0_14default_configENS1_25transform_config_selectorIjLb1EEEZNS1_14transform_implILb1ES3_S5_PKjPjNS0_8identityIjEEEE10hipError_tT2_T3_mT4_P12ihipStream_tbEUlT_E_NS1_11comp_targetILNS1_3genE2ELNS1_11target_archE906ELNS1_3gpuE6ELNS1_3repE0EEENS1_30default_config_static_selectorELNS0_4arch9wavefront6targetE0EEEvT1_.numbered_sgpr, 0
	.set _ZN7rocprim17ROCPRIM_400000_NS6detail17trampoline_kernelINS0_14default_configENS1_25transform_config_selectorIjLb1EEEZNS1_14transform_implILb1ES3_S5_PKjPjNS0_8identityIjEEEE10hipError_tT2_T3_mT4_P12ihipStream_tbEUlT_E_NS1_11comp_targetILNS1_3genE2ELNS1_11target_archE906ELNS1_3gpuE6ELNS1_3repE0EEENS1_30default_config_static_selectorELNS0_4arch9wavefront6targetE0EEEvT1_.num_named_barrier, 0
	.set _ZN7rocprim17ROCPRIM_400000_NS6detail17trampoline_kernelINS0_14default_configENS1_25transform_config_selectorIjLb1EEEZNS1_14transform_implILb1ES3_S5_PKjPjNS0_8identityIjEEEE10hipError_tT2_T3_mT4_P12ihipStream_tbEUlT_E_NS1_11comp_targetILNS1_3genE2ELNS1_11target_archE906ELNS1_3gpuE6ELNS1_3repE0EEENS1_30default_config_static_selectorELNS0_4arch9wavefront6targetE0EEEvT1_.private_seg_size, 0
	.set _ZN7rocprim17ROCPRIM_400000_NS6detail17trampoline_kernelINS0_14default_configENS1_25transform_config_selectorIjLb1EEEZNS1_14transform_implILb1ES3_S5_PKjPjNS0_8identityIjEEEE10hipError_tT2_T3_mT4_P12ihipStream_tbEUlT_E_NS1_11comp_targetILNS1_3genE2ELNS1_11target_archE906ELNS1_3gpuE6ELNS1_3repE0EEENS1_30default_config_static_selectorELNS0_4arch9wavefront6targetE0EEEvT1_.uses_vcc, 0
	.set _ZN7rocprim17ROCPRIM_400000_NS6detail17trampoline_kernelINS0_14default_configENS1_25transform_config_selectorIjLb1EEEZNS1_14transform_implILb1ES3_S5_PKjPjNS0_8identityIjEEEE10hipError_tT2_T3_mT4_P12ihipStream_tbEUlT_E_NS1_11comp_targetILNS1_3genE2ELNS1_11target_archE906ELNS1_3gpuE6ELNS1_3repE0EEENS1_30default_config_static_selectorELNS0_4arch9wavefront6targetE0EEEvT1_.uses_flat_scratch, 0
	.set _ZN7rocprim17ROCPRIM_400000_NS6detail17trampoline_kernelINS0_14default_configENS1_25transform_config_selectorIjLb1EEEZNS1_14transform_implILb1ES3_S5_PKjPjNS0_8identityIjEEEE10hipError_tT2_T3_mT4_P12ihipStream_tbEUlT_E_NS1_11comp_targetILNS1_3genE2ELNS1_11target_archE906ELNS1_3gpuE6ELNS1_3repE0EEENS1_30default_config_static_selectorELNS0_4arch9wavefront6targetE0EEEvT1_.has_dyn_sized_stack, 0
	.set _ZN7rocprim17ROCPRIM_400000_NS6detail17trampoline_kernelINS0_14default_configENS1_25transform_config_selectorIjLb1EEEZNS1_14transform_implILb1ES3_S5_PKjPjNS0_8identityIjEEEE10hipError_tT2_T3_mT4_P12ihipStream_tbEUlT_E_NS1_11comp_targetILNS1_3genE2ELNS1_11target_archE906ELNS1_3gpuE6ELNS1_3repE0EEENS1_30default_config_static_selectorELNS0_4arch9wavefront6targetE0EEEvT1_.has_recursion, 0
	.set _ZN7rocprim17ROCPRIM_400000_NS6detail17trampoline_kernelINS0_14default_configENS1_25transform_config_selectorIjLb1EEEZNS1_14transform_implILb1ES3_S5_PKjPjNS0_8identityIjEEEE10hipError_tT2_T3_mT4_P12ihipStream_tbEUlT_E_NS1_11comp_targetILNS1_3genE2ELNS1_11target_archE906ELNS1_3gpuE6ELNS1_3repE0EEENS1_30default_config_static_selectorELNS0_4arch9wavefront6targetE0EEEvT1_.has_indirect_call, 0
	.section	.AMDGPU.csdata,"",@progbits
; Kernel info:
; codeLenInByte = 0
; TotalNumSgprs: 0
; NumVgprs: 0
; ScratchSize: 0
; MemoryBound: 0
; FloatMode: 240
; IeeeMode: 1
; LDSByteSize: 0 bytes/workgroup (compile time only)
; SGPRBlocks: 0
; VGPRBlocks: 0
; NumSGPRsForWavesPerEU: 1
; NumVGPRsForWavesPerEU: 1
; NamedBarCnt: 0
; Occupancy: 16
; WaveLimiterHint : 0
; COMPUTE_PGM_RSRC2:SCRATCH_EN: 0
; COMPUTE_PGM_RSRC2:USER_SGPR: 2
; COMPUTE_PGM_RSRC2:TRAP_HANDLER: 0
; COMPUTE_PGM_RSRC2:TGID_X_EN: 1
; COMPUTE_PGM_RSRC2:TGID_Y_EN: 0
; COMPUTE_PGM_RSRC2:TGID_Z_EN: 0
; COMPUTE_PGM_RSRC2:TIDIG_COMP_CNT: 0
	.section	.text._ZN7rocprim17ROCPRIM_400000_NS6detail17trampoline_kernelINS0_14default_configENS1_25transform_config_selectorIjLb1EEEZNS1_14transform_implILb1ES3_S5_PKjPjNS0_8identityIjEEEE10hipError_tT2_T3_mT4_P12ihipStream_tbEUlT_E_NS1_11comp_targetILNS1_3genE9ELNS1_11target_archE1100ELNS1_3gpuE3ELNS1_3repE0EEENS1_30default_config_static_selectorELNS0_4arch9wavefront6targetE0EEEvT1_,"axG",@progbits,_ZN7rocprim17ROCPRIM_400000_NS6detail17trampoline_kernelINS0_14default_configENS1_25transform_config_selectorIjLb1EEEZNS1_14transform_implILb1ES3_S5_PKjPjNS0_8identityIjEEEE10hipError_tT2_T3_mT4_P12ihipStream_tbEUlT_E_NS1_11comp_targetILNS1_3genE9ELNS1_11target_archE1100ELNS1_3gpuE3ELNS1_3repE0EEENS1_30default_config_static_selectorELNS0_4arch9wavefront6targetE0EEEvT1_,comdat
	.protected	_ZN7rocprim17ROCPRIM_400000_NS6detail17trampoline_kernelINS0_14default_configENS1_25transform_config_selectorIjLb1EEEZNS1_14transform_implILb1ES3_S5_PKjPjNS0_8identityIjEEEE10hipError_tT2_T3_mT4_P12ihipStream_tbEUlT_E_NS1_11comp_targetILNS1_3genE9ELNS1_11target_archE1100ELNS1_3gpuE3ELNS1_3repE0EEENS1_30default_config_static_selectorELNS0_4arch9wavefront6targetE0EEEvT1_ ; -- Begin function _ZN7rocprim17ROCPRIM_400000_NS6detail17trampoline_kernelINS0_14default_configENS1_25transform_config_selectorIjLb1EEEZNS1_14transform_implILb1ES3_S5_PKjPjNS0_8identityIjEEEE10hipError_tT2_T3_mT4_P12ihipStream_tbEUlT_E_NS1_11comp_targetILNS1_3genE9ELNS1_11target_archE1100ELNS1_3gpuE3ELNS1_3repE0EEENS1_30default_config_static_selectorELNS0_4arch9wavefront6targetE0EEEvT1_
	.globl	_ZN7rocprim17ROCPRIM_400000_NS6detail17trampoline_kernelINS0_14default_configENS1_25transform_config_selectorIjLb1EEEZNS1_14transform_implILb1ES3_S5_PKjPjNS0_8identityIjEEEE10hipError_tT2_T3_mT4_P12ihipStream_tbEUlT_E_NS1_11comp_targetILNS1_3genE9ELNS1_11target_archE1100ELNS1_3gpuE3ELNS1_3repE0EEENS1_30default_config_static_selectorELNS0_4arch9wavefront6targetE0EEEvT1_
	.p2align	8
	.type	_ZN7rocprim17ROCPRIM_400000_NS6detail17trampoline_kernelINS0_14default_configENS1_25transform_config_selectorIjLb1EEEZNS1_14transform_implILb1ES3_S5_PKjPjNS0_8identityIjEEEE10hipError_tT2_T3_mT4_P12ihipStream_tbEUlT_E_NS1_11comp_targetILNS1_3genE9ELNS1_11target_archE1100ELNS1_3gpuE3ELNS1_3repE0EEENS1_30default_config_static_selectorELNS0_4arch9wavefront6targetE0EEEvT1_,@function
_ZN7rocprim17ROCPRIM_400000_NS6detail17trampoline_kernelINS0_14default_configENS1_25transform_config_selectorIjLb1EEEZNS1_14transform_implILb1ES3_S5_PKjPjNS0_8identityIjEEEE10hipError_tT2_T3_mT4_P12ihipStream_tbEUlT_E_NS1_11comp_targetILNS1_3genE9ELNS1_11target_archE1100ELNS1_3gpuE3ELNS1_3repE0EEENS1_30default_config_static_selectorELNS0_4arch9wavefront6targetE0EEEvT1_: ; @_ZN7rocprim17ROCPRIM_400000_NS6detail17trampoline_kernelINS0_14default_configENS1_25transform_config_selectorIjLb1EEEZNS1_14transform_implILb1ES3_S5_PKjPjNS0_8identityIjEEEE10hipError_tT2_T3_mT4_P12ihipStream_tbEUlT_E_NS1_11comp_targetILNS1_3genE9ELNS1_11target_archE1100ELNS1_3gpuE3ELNS1_3repE0EEENS1_30default_config_static_selectorELNS0_4arch9wavefront6targetE0EEEvT1_
; %bb.0:
	.section	.rodata,"a",@progbits
	.p2align	6, 0x0
	.amdhsa_kernel _ZN7rocprim17ROCPRIM_400000_NS6detail17trampoline_kernelINS0_14default_configENS1_25transform_config_selectorIjLb1EEEZNS1_14transform_implILb1ES3_S5_PKjPjNS0_8identityIjEEEE10hipError_tT2_T3_mT4_P12ihipStream_tbEUlT_E_NS1_11comp_targetILNS1_3genE9ELNS1_11target_archE1100ELNS1_3gpuE3ELNS1_3repE0EEENS1_30default_config_static_selectorELNS0_4arch9wavefront6targetE0EEEvT1_
		.amdhsa_group_segment_fixed_size 0
		.amdhsa_private_segment_fixed_size 0
		.amdhsa_kernarg_size 40
		.amdhsa_user_sgpr_count 2
		.amdhsa_user_sgpr_dispatch_ptr 0
		.amdhsa_user_sgpr_queue_ptr 0
		.amdhsa_user_sgpr_kernarg_segment_ptr 1
		.amdhsa_user_sgpr_dispatch_id 0
		.amdhsa_user_sgpr_kernarg_preload_length 0
		.amdhsa_user_sgpr_kernarg_preload_offset 0
		.amdhsa_user_sgpr_private_segment_size 0
		.amdhsa_wavefront_size32 1
		.amdhsa_uses_dynamic_stack 0
		.amdhsa_enable_private_segment 0
		.amdhsa_system_sgpr_workgroup_id_x 1
		.amdhsa_system_sgpr_workgroup_id_y 0
		.amdhsa_system_sgpr_workgroup_id_z 0
		.amdhsa_system_sgpr_workgroup_info 0
		.amdhsa_system_vgpr_workitem_id 0
		.amdhsa_next_free_vgpr 1
		.amdhsa_next_free_sgpr 1
		.amdhsa_named_barrier_count 0
		.amdhsa_reserve_vcc 0
		.amdhsa_float_round_mode_32 0
		.amdhsa_float_round_mode_16_64 0
		.amdhsa_float_denorm_mode_32 3
		.amdhsa_float_denorm_mode_16_64 3
		.amdhsa_fp16_overflow 0
		.amdhsa_memory_ordered 1
		.amdhsa_forward_progress 1
		.amdhsa_inst_pref_size 0
		.amdhsa_round_robin_scheduling 0
		.amdhsa_exception_fp_ieee_invalid_op 0
		.amdhsa_exception_fp_denorm_src 0
		.amdhsa_exception_fp_ieee_div_zero 0
		.amdhsa_exception_fp_ieee_overflow 0
		.amdhsa_exception_fp_ieee_underflow 0
		.amdhsa_exception_fp_ieee_inexact 0
		.amdhsa_exception_int_div_zero 0
	.end_amdhsa_kernel
	.section	.text._ZN7rocprim17ROCPRIM_400000_NS6detail17trampoline_kernelINS0_14default_configENS1_25transform_config_selectorIjLb1EEEZNS1_14transform_implILb1ES3_S5_PKjPjNS0_8identityIjEEEE10hipError_tT2_T3_mT4_P12ihipStream_tbEUlT_E_NS1_11comp_targetILNS1_3genE9ELNS1_11target_archE1100ELNS1_3gpuE3ELNS1_3repE0EEENS1_30default_config_static_selectorELNS0_4arch9wavefront6targetE0EEEvT1_,"axG",@progbits,_ZN7rocprim17ROCPRIM_400000_NS6detail17trampoline_kernelINS0_14default_configENS1_25transform_config_selectorIjLb1EEEZNS1_14transform_implILb1ES3_S5_PKjPjNS0_8identityIjEEEE10hipError_tT2_T3_mT4_P12ihipStream_tbEUlT_E_NS1_11comp_targetILNS1_3genE9ELNS1_11target_archE1100ELNS1_3gpuE3ELNS1_3repE0EEENS1_30default_config_static_selectorELNS0_4arch9wavefront6targetE0EEEvT1_,comdat
.Lfunc_end2631:
	.size	_ZN7rocprim17ROCPRIM_400000_NS6detail17trampoline_kernelINS0_14default_configENS1_25transform_config_selectorIjLb1EEEZNS1_14transform_implILb1ES3_S5_PKjPjNS0_8identityIjEEEE10hipError_tT2_T3_mT4_P12ihipStream_tbEUlT_E_NS1_11comp_targetILNS1_3genE9ELNS1_11target_archE1100ELNS1_3gpuE3ELNS1_3repE0EEENS1_30default_config_static_selectorELNS0_4arch9wavefront6targetE0EEEvT1_, .Lfunc_end2631-_ZN7rocprim17ROCPRIM_400000_NS6detail17trampoline_kernelINS0_14default_configENS1_25transform_config_selectorIjLb1EEEZNS1_14transform_implILb1ES3_S5_PKjPjNS0_8identityIjEEEE10hipError_tT2_T3_mT4_P12ihipStream_tbEUlT_E_NS1_11comp_targetILNS1_3genE9ELNS1_11target_archE1100ELNS1_3gpuE3ELNS1_3repE0EEENS1_30default_config_static_selectorELNS0_4arch9wavefront6targetE0EEEvT1_
                                        ; -- End function
	.set _ZN7rocprim17ROCPRIM_400000_NS6detail17trampoline_kernelINS0_14default_configENS1_25transform_config_selectorIjLb1EEEZNS1_14transform_implILb1ES3_S5_PKjPjNS0_8identityIjEEEE10hipError_tT2_T3_mT4_P12ihipStream_tbEUlT_E_NS1_11comp_targetILNS1_3genE9ELNS1_11target_archE1100ELNS1_3gpuE3ELNS1_3repE0EEENS1_30default_config_static_selectorELNS0_4arch9wavefront6targetE0EEEvT1_.num_vgpr, 0
	.set _ZN7rocprim17ROCPRIM_400000_NS6detail17trampoline_kernelINS0_14default_configENS1_25transform_config_selectorIjLb1EEEZNS1_14transform_implILb1ES3_S5_PKjPjNS0_8identityIjEEEE10hipError_tT2_T3_mT4_P12ihipStream_tbEUlT_E_NS1_11comp_targetILNS1_3genE9ELNS1_11target_archE1100ELNS1_3gpuE3ELNS1_3repE0EEENS1_30default_config_static_selectorELNS0_4arch9wavefront6targetE0EEEvT1_.num_agpr, 0
	.set _ZN7rocprim17ROCPRIM_400000_NS6detail17trampoline_kernelINS0_14default_configENS1_25transform_config_selectorIjLb1EEEZNS1_14transform_implILb1ES3_S5_PKjPjNS0_8identityIjEEEE10hipError_tT2_T3_mT4_P12ihipStream_tbEUlT_E_NS1_11comp_targetILNS1_3genE9ELNS1_11target_archE1100ELNS1_3gpuE3ELNS1_3repE0EEENS1_30default_config_static_selectorELNS0_4arch9wavefront6targetE0EEEvT1_.numbered_sgpr, 0
	.set _ZN7rocprim17ROCPRIM_400000_NS6detail17trampoline_kernelINS0_14default_configENS1_25transform_config_selectorIjLb1EEEZNS1_14transform_implILb1ES3_S5_PKjPjNS0_8identityIjEEEE10hipError_tT2_T3_mT4_P12ihipStream_tbEUlT_E_NS1_11comp_targetILNS1_3genE9ELNS1_11target_archE1100ELNS1_3gpuE3ELNS1_3repE0EEENS1_30default_config_static_selectorELNS0_4arch9wavefront6targetE0EEEvT1_.num_named_barrier, 0
	.set _ZN7rocprim17ROCPRIM_400000_NS6detail17trampoline_kernelINS0_14default_configENS1_25transform_config_selectorIjLb1EEEZNS1_14transform_implILb1ES3_S5_PKjPjNS0_8identityIjEEEE10hipError_tT2_T3_mT4_P12ihipStream_tbEUlT_E_NS1_11comp_targetILNS1_3genE9ELNS1_11target_archE1100ELNS1_3gpuE3ELNS1_3repE0EEENS1_30default_config_static_selectorELNS0_4arch9wavefront6targetE0EEEvT1_.private_seg_size, 0
	.set _ZN7rocprim17ROCPRIM_400000_NS6detail17trampoline_kernelINS0_14default_configENS1_25transform_config_selectorIjLb1EEEZNS1_14transform_implILb1ES3_S5_PKjPjNS0_8identityIjEEEE10hipError_tT2_T3_mT4_P12ihipStream_tbEUlT_E_NS1_11comp_targetILNS1_3genE9ELNS1_11target_archE1100ELNS1_3gpuE3ELNS1_3repE0EEENS1_30default_config_static_selectorELNS0_4arch9wavefront6targetE0EEEvT1_.uses_vcc, 0
	.set _ZN7rocprim17ROCPRIM_400000_NS6detail17trampoline_kernelINS0_14default_configENS1_25transform_config_selectorIjLb1EEEZNS1_14transform_implILb1ES3_S5_PKjPjNS0_8identityIjEEEE10hipError_tT2_T3_mT4_P12ihipStream_tbEUlT_E_NS1_11comp_targetILNS1_3genE9ELNS1_11target_archE1100ELNS1_3gpuE3ELNS1_3repE0EEENS1_30default_config_static_selectorELNS0_4arch9wavefront6targetE0EEEvT1_.uses_flat_scratch, 0
	.set _ZN7rocprim17ROCPRIM_400000_NS6detail17trampoline_kernelINS0_14default_configENS1_25transform_config_selectorIjLb1EEEZNS1_14transform_implILb1ES3_S5_PKjPjNS0_8identityIjEEEE10hipError_tT2_T3_mT4_P12ihipStream_tbEUlT_E_NS1_11comp_targetILNS1_3genE9ELNS1_11target_archE1100ELNS1_3gpuE3ELNS1_3repE0EEENS1_30default_config_static_selectorELNS0_4arch9wavefront6targetE0EEEvT1_.has_dyn_sized_stack, 0
	.set _ZN7rocprim17ROCPRIM_400000_NS6detail17trampoline_kernelINS0_14default_configENS1_25transform_config_selectorIjLb1EEEZNS1_14transform_implILb1ES3_S5_PKjPjNS0_8identityIjEEEE10hipError_tT2_T3_mT4_P12ihipStream_tbEUlT_E_NS1_11comp_targetILNS1_3genE9ELNS1_11target_archE1100ELNS1_3gpuE3ELNS1_3repE0EEENS1_30default_config_static_selectorELNS0_4arch9wavefront6targetE0EEEvT1_.has_recursion, 0
	.set _ZN7rocprim17ROCPRIM_400000_NS6detail17trampoline_kernelINS0_14default_configENS1_25transform_config_selectorIjLb1EEEZNS1_14transform_implILb1ES3_S5_PKjPjNS0_8identityIjEEEE10hipError_tT2_T3_mT4_P12ihipStream_tbEUlT_E_NS1_11comp_targetILNS1_3genE9ELNS1_11target_archE1100ELNS1_3gpuE3ELNS1_3repE0EEENS1_30default_config_static_selectorELNS0_4arch9wavefront6targetE0EEEvT1_.has_indirect_call, 0
	.section	.AMDGPU.csdata,"",@progbits
; Kernel info:
; codeLenInByte = 0
; TotalNumSgprs: 0
; NumVgprs: 0
; ScratchSize: 0
; MemoryBound: 0
; FloatMode: 240
; IeeeMode: 1
; LDSByteSize: 0 bytes/workgroup (compile time only)
; SGPRBlocks: 0
; VGPRBlocks: 0
; NumSGPRsForWavesPerEU: 1
; NumVGPRsForWavesPerEU: 1
; NamedBarCnt: 0
; Occupancy: 16
; WaveLimiterHint : 0
; COMPUTE_PGM_RSRC2:SCRATCH_EN: 0
; COMPUTE_PGM_RSRC2:USER_SGPR: 2
; COMPUTE_PGM_RSRC2:TRAP_HANDLER: 0
; COMPUTE_PGM_RSRC2:TGID_X_EN: 1
; COMPUTE_PGM_RSRC2:TGID_Y_EN: 0
; COMPUTE_PGM_RSRC2:TGID_Z_EN: 0
; COMPUTE_PGM_RSRC2:TIDIG_COMP_CNT: 0
	.section	.text._ZN7rocprim17ROCPRIM_400000_NS6detail17trampoline_kernelINS0_14default_configENS1_25transform_config_selectorIjLb1EEEZNS1_14transform_implILb1ES3_S5_PKjPjNS0_8identityIjEEEE10hipError_tT2_T3_mT4_P12ihipStream_tbEUlT_E_NS1_11comp_targetILNS1_3genE8ELNS1_11target_archE1030ELNS1_3gpuE2ELNS1_3repE0EEENS1_30default_config_static_selectorELNS0_4arch9wavefront6targetE0EEEvT1_,"axG",@progbits,_ZN7rocprim17ROCPRIM_400000_NS6detail17trampoline_kernelINS0_14default_configENS1_25transform_config_selectorIjLb1EEEZNS1_14transform_implILb1ES3_S5_PKjPjNS0_8identityIjEEEE10hipError_tT2_T3_mT4_P12ihipStream_tbEUlT_E_NS1_11comp_targetILNS1_3genE8ELNS1_11target_archE1030ELNS1_3gpuE2ELNS1_3repE0EEENS1_30default_config_static_selectorELNS0_4arch9wavefront6targetE0EEEvT1_,comdat
	.protected	_ZN7rocprim17ROCPRIM_400000_NS6detail17trampoline_kernelINS0_14default_configENS1_25transform_config_selectorIjLb1EEEZNS1_14transform_implILb1ES3_S5_PKjPjNS0_8identityIjEEEE10hipError_tT2_T3_mT4_P12ihipStream_tbEUlT_E_NS1_11comp_targetILNS1_3genE8ELNS1_11target_archE1030ELNS1_3gpuE2ELNS1_3repE0EEENS1_30default_config_static_selectorELNS0_4arch9wavefront6targetE0EEEvT1_ ; -- Begin function _ZN7rocprim17ROCPRIM_400000_NS6detail17trampoline_kernelINS0_14default_configENS1_25transform_config_selectorIjLb1EEEZNS1_14transform_implILb1ES3_S5_PKjPjNS0_8identityIjEEEE10hipError_tT2_T3_mT4_P12ihipStream_tbEUlT_E_NS1_11comp_targetILNS1_3genE8ELNS1_11target_archE1030ELNS1_3gpuE2ELNS1_3repE0EEENS1_30default_config_static_selectorELNS0_4arch9wavefront6targetE0EEEvT1_
	.globl	_ZN7rocprim17ROCPRIM_400000_NS6detail17trampoline_kernelINS0_14default_configENS1_25transform_config_selectorIjLb1EEEZNS1_14transform_implILb1ES3_S5_PKjPjNS0_8identityIjEEEE10hipError_tT2_T3_mT4_P12ihipStream_tbEUlT_E_NS1_11comp_targetILNS1_3genE8ELNS1_11target_archE1030ELNS1_3gpuE2ELNS1_3repE0EEENS1_30default_config_static_selectorELNS0_4arch9wavefront6targetE0EEEvT1_
	.p2align	8
	.type	_ZN7rocprim17ROCPRIM_400000_NS6detail17trampoline_kernelINS0_14default_configENS1_25transform_config_selectorIjLb1EEEZNS1_14transform_implILb1ES3_S5_PKjPjNS0_8identityIjEEEE10hipError_tT2_T3_mT4_P12ihipStream_tbEUlT_E_NS1_11comp_targetILNS1_3genE8ELNS1_11target_archE1030ELNS1_3gpuE2ELNS1_3repE0EEENS1_30default_config_static_selectorELNS0_4arch9wavefront6targetE0EEEvT1_,@function
_ZN7rocprim17ROCPRIM_400000_NS6detail17trampoline_kernelINS0_14default_configENS1_25transform_config_selectorIjLb1EEEZNS1_14transform_implILb1ES3_S5_PKjPjNS0_8identityIjEEEE10hipError_tT2_T3_mT4_P12ihipStream_tbEUlT_E_NS1_11comp_targetILNS1_3genE8ELNS1_11target_archE1030ELNS1_3gpuE2ELNS1_3repE0EEENS1_30default_config_static_selectorELNS0_4arch9wavefront6targetE0EEEvT1_: ; @_ZN7rocprim17ROCPRIM_400000_NS6detail17trampoline_kernelINS0_14default_configENS1_25transform_config_selectorIjLb1EEEZNS1_14transform_implILb1ES3_S5_PKjPjNS0_8identityIjEEEE10hipError_tT2_T3_mT4_P12ihipStream_tbEUlT_E_NS1_11comp_targetILNS1_3genE8ELNS1_11target_archE1030ELNS1_3gpuE2ELNS1_3repE0EEENS1_30default_config_static_selectorELNS0_4arch9wavefront6targetE0EEEvT1_
; %bb.0:
	.section	.rodata,"a",@progbits
	.p2align	6, 0x0
	.amdhsa_kernel _ZN7rocprim17ROCPRIM_400000_NS6detail17trampoline_kernelINS0_14default_configENS1_25transform_config_selectorIjLb1EEEZNS1_14transform_implILb1ES3_S5_PKjPjNS0_8identityIjEEEE10hipError_tT2_T3_mT4_P12ihipStream_tbEUlT_E_NS1_11comp_targetILNS1_3genE8ELNS1_11target_archE1030ELNS1_3gpuE2ELNS1_3repE0EEENS1_30default_config_static_selectorELNS0_4arch9wavefront6targetE0EEEvT1_
		.amdhsa_group_segment_fixed_size 0
		.amdhsa_private_segment_fixed_size 0
		.amdhsa_kernarg_size 40
		.amdhsa_user_sgpr_count 2
		.amdhsa_user_sgpr_dispatch_ptr 0
		.amdhsa_user_sgpr_queue_ptr 0
		.amdhsa_user_sgpr_kernarg_segment_ptr 1
		.amdhsa_user_sgpr_dispatch_id 0
		.amdhsa_user_sgpr_kernarg_preload_length 0
		.amdhsa_user_sgpr_kernarg_preload_offset 0
		.amdhsa_user_sgpr_private_segment_size 0
		.amdhsa_wavefront_size32 1
		.amdhsa_uses_dynamic_stack 0
		.amdhsa_enable_private_segment 0
		.amdhsa_system_sgpr_workgroup_id_x 1
		.amdhsa_system_sgpr_workgroup_id_y 0
		.amdhsa_system_sgpr_workgroup_id_z 0
		.amdhsa_system_sgpr_workgroup_info 0
		.amdhsa_system_vgpr_workitem_id 0
		.amdhsa_next_free_vgpr 1
		.amdhsa_next_free_sgpr 1
		.amdhsa_named_barrier_count 0
		.amdhsa_reserve_vcc 0
		.amdhsa_float_round_mode_32 0
		.amdhsa_float_round_mode_16_64 0
		.amdhsa_float_denorm_mode_32 3
		.amdhsa_float_denorm_mode_16_64 3
		.amdhsa_fp16_overflow 0
		.amdhsa_memory_ordered 1
		.amdhsa_forward_progress 1
		.amdhsa_inst_pref_size 0
		.amdhsa_round_robin_scheduling 0
		.amdhsa_exception_fp_ieee_invalid_op 0
		.amdhsa_exception_fp_denorm_src 0
		.amdhsa_exception_fp_ieee_div_zero 0
		.amdhsa_exception_fp_ieee_overflow 0
		.amdhsa_exception_fp_ieee_underflow 0
		.amdhsa_exception_fp_ieee_inexact 0
		.amdhsa_exception_int_div_zero 0
	.end_amdhsa_kernel
	.section	.text._ZN7rocprim17ROCPRIM_400000_NS6detail17trampoline_kernelINS0_14default_configENS1_25transform_config_selectorIjLb1EEEZNS1_14transform_implILb1ES3_S5_PKjPjNS0_8identityIjEEEE10hipError_tT2_T3_mT4_P12ihipStream_tbEUlT_E_NS1_11comp_targetILNS1_3genE8ELNS1_11target_archE1030ELNS1_3gpuE2ELNS1_3repE0EEENS1_30default_config_static_selectorELNS0_4arch9wavefront6targetE0EEEvT1_,"axG",@progbits,_ZN7rocprim17ROCPRIM_400000_NS6detail17trampoline_kernelINS0_14default_configENS1_25transform_config_selectorIjLb1EEEZNS1_14transform_implILb1ES3_S5_PKjPjNS0_8identityIjEEEE10hipError_tT2_T3_mT4_P12ihipStream_tbEUlT_E_NS1_11comp_targetILNS1_3genE8ELNS1_11target_archE1030ELNS1_3gpuE2ELNS1_3repE0EEENS1_30default_config_static_selectorELNS0_4arch9wavefront6targetE0EEEvT1_,comdat
.Lfunc_end2632:
	.size	_ZN7rocprim17ROCPRIM_400000_NS6detail17trampoline_kernelINS0_14default_configENS1_25transform_config_selectorIjLb1EEEZNS1_14transform_implILb1ES3_S5_PKjPjNS0_8identityIjEEEE10hipError_tT2_T3_mT4_P12ihipStream_tbEUlT_E_NS1_11comp_targetILNS1_3genE8ELNS1_11target_archE1030ELNS1_3gpuE2ELNS1_3repE0EEENS1_30default_config_static_selectorELNS0_4arch9wavefront6targetE0EEEvT1_, .Lfunc_end2632-_ZN7rocprim17ROCPRIM_400000_NS6detail17trampoline_kernelINS0_14default_configENS1_25transform_config_selectorIjLb1EEEZNS1_14transform_implILb1ES3_S5_PKjPjNS0_8identityIjEEEE10hipError_tT2_T3_mT4_P12ihipStream_tbEUlT_E_NS1_11comp_targetILNS1_3genE8ELNS1_11target_archE1030ELNS1_3gpuE2ELNS1_3repE0EEENS1_30default_config_static_selectorELNS0_4arch9wavefront6targetE0EEEvT1_
                                        ; -- End function
	.set _ZN7rocprim17ROCPRIM_400000_NS6detail17trampoline_kernelINS0_14default_configENS1_25transform_config_selectorIjLb1EEEZNS1_14transform_implILb1ES3_S5_PKjPjNS0_8identityIjEEEE10hipError_tT2_T3_mT4_P12ihipStream_tbEUlT_E_NS1_11comp_targetILNS1_3genE8ELNS1_11target_archE1030ELNS1_3gpuE2ELNS1_3repE0EEENS1_30default_config_static_selectorELNS0_4arch9wavefront6targetE0EEEvT1_.num_vgpr, 0
	.set _ZN7rocprim17ROCPRIM_400000_NS6detail17trampoline_kernelINS0_14default_configENS1_25transform_config_selectorIjLb1EEEZNS1_14transform_implILb1ES3_S5_PKjPjNS0_8identityIjEEEE10hipError_tT2_T3_mT4_P12ihipStream_tbEUlT_E_NS1_11comp_targetILNS1_3genE8ELNS1_11target_archE1030ELNS1_3gpuE2ELNS1_3repE0EEENS1_30default_config_static_selectorELNS0_4arch9wavefront6targetE0EEEvT1_.num_agpr, 0
	.set _ZN7rocprim17ROCPRIM_400000_NS6detail17trampoline_kernelINS0_14default_configENS1_25transform_config_selectorIjLb1EEEZNS1_14transform_implILb1ES3_S5_PKjPjNS0_8identityIjEEEE10hipError_tT2_T3_mT4_P12ihipStream_tbEUlT_E_NS1_11comp_targetILNS1_3genE8ELNS1_11target_archE1030ELNS1_3gpuE2ELNS1_3repE0EEENS1_30default_config_static_selectorELNS0_4arch9wavefront6targetE0EEEvT1_.numbered_sgpr, 0
	.set _ZN7rocprim17ROCPRIM_400000_NS6detail17trampoline_kernelINS0_14default_configENS1_25transform_config_selectorIjLb1EEEZNS1_14transform_implILb1ES3_S5_PKjPjNS0_8identityIjEEEE10hipError_tT2_T3_mT4_P12ihipStream_tbEUlT_E_NS1_11comp_targetILNS1_3genE8ELNS1_11target_archE1030ELNS1_3gpuE2ELNS1_3repE0EEENS1_30default_config_static_selectorELNS0_4arch9wavefront6targetE0EEEvT1_.num_named_barrier, 0
	.set _ZN7rocprim17ROCPRIM_400000_NS6detail17trampoline_kernelINS0_14default_configENS1_25transform_config_selectorIjLb1EEEZNS1_14transform_implILb1ES3_S5_PKjPjNS0_8identityIjEEEE10hipError_tT2_T3_mT4_P12ihipStream_tbEUlT_E_NS1_11comp_targetILNS1_3genE8ELNS1_11target_archE1030ELNS1_3gpuE2ELNS1_3repE0EEENS1_30default_config_static_selectorELNS0_4arch9wavefront6targetE0EEEvT1_.private_seg_size, 0
	.set _ZN7rocprim17ROCPRIM_400000_NS6detail17trampoline_kernelINS0_14default_configENS1_25transform_config_selectorIjLb1EEEZNS1_14transform_implILb1ES3_S5_PKjPjNS0_8identityIjEEEE10hipError_tT2_T3_mT4_P12ihipStream_tbEUlT_E_NS1_11comp_targetILNS1_3genE8ELNS1_11target_archE1030ELNS1_3gpuE2ELNS1_3repE0EEENS1_30default_config_static_selectorELNS0_4arch9wavefront6targetE0EEEvT1_.uses_vcc, 0
	.set _ZN7rocprim17ROCPRIM_400000_NS6detail17trampoline_kernelINS0_14default_configENS1_25transform_config_selectorIjLb1EEEZNS1_14transform_implILb1ES3_S5_PKjPjNS0_8identityIjEEEE10hipError_tT2_T3_mT4_P12ihipStream_tbEUlT_E_NS1_11comp_targetILNS1_3genE8ELNS1_11target_archE1030ELNS1_3gpuE2ELNS1_3repE0EEENS1_30default_config_static_selectorELNS0_4arch9wavefront6targetE0EEEvT1_.uses_flat_scratch, 0
	.set _ZN7rocprim17ROCPRIM_400000_NS6detail17trampoline_kernelINS0_14default_configENS1_25transform_config_selectorIjLb1EEEZNS1_14transform_implILb1ES3_S5_PKjPjNS0_8identityIjEEEE10hipError_tT2_T3_mT4_P12ihipStream_tbEUlT_E_NS1_11comp_targetILNS1_3genE8ELNS1_11target_archE1030ELNS1_3gpuE2ELNS1_3repE0EEENS1_30default_config_static_selectorELNS0_4arch9wavefront6targetE0EEEvT1_.has_dyn_sized_stack, 0
	.set _ZN7rocprim17ROCPRIM_400000_NS6detail17trampoline_kernelINS0_14default_configENS1_25transform_config_selectorIjLb1EEEZNS1_14transform_implILb1ES3_S5_PKjPjNS0_8identityIjEEEE10hipError_tT2_T3_mT4_P12ihipStream_tbEUlT_E_NS1_11comp_targetILNS1_3genE8ELNS1_11target_archE1030ELNS1_3gpuE2ELNS1_3repE0EEENS1_30default_config_static_selectorELNS0_4arch9wavefront6targetE0EEEvT1_.has_recursion, 0
	.set _ZN7rocprim17ROCPRIM_400000_NS6detail17trampoline_kernelINS0_14default_configENS1_25transform_config_selectorIjLb1EEEZNS1_14transform_implILb1ES3_S5_PKjPjNS0_8identityIjEEEE10hipError_tT2_T3_mT4_P12ihipStream_tbEUlT_E_NS1_11comp_targetILNS1_3genE8ELNS1_11target_archE1030ELNS1_3gpuE2ELNS1_3repE0EEENS1_30default_config_static_selectorELNS0_4arch9wavefront6targetE0EEEvT1_.has_indirect_call, 0
	.section	.AMDGPU.csdata,"",@progbits
; Kernel info:
; codeLenInByte = 0
; TotalNumSgprs: 0
; NumVgprs: 0
; ScratchSize: 0
; MemoryBound: 0
; FloatMode: 240
; IeeeMode: 1
; LDSByteSize: 0 bytes/workgroup (compile time only)
; SGPRBlocks: 0
; VGPRBlocks: 0
; NumSGPRsForWavesPerEU: 1
; NumVGPRsForWavesPerEU: 1
; NamedBarCnt: 0
; Occupancy: 16
; WaveLimiterHint : 0
; COMPUTE_PGM_RSRC2:SCRATCH_EN: 0
; COMPUTE_PGM_RSRC2:USER_SGPR: 2
; COMPUTE_PGM_RSRC2:TRAP_HANDLER: 0
; COMPUTE_PGM_RSRC2:TGID_X_EN: 1
; COMPUTE_PGM_RSRC2:TGID_Y_EN: 0
; COMPUTE_PGM_RSRC2:TGID_Z_EN: 0
; COMPUTE_PGM_RSRC2:TIDIG_COMP_CNT: 0
	.section	.text._ZN7rocprim17ROCPRIM_400000_NS6detail17trampoline_kernelINS0_14default_configENS1_35radix_sort_onesweep_config_selectorIjNS0_10empty_typeEEEZZNS1_29radix_sort_onesweep_iterationIS3_Lb1EPKjPjPS5_SB_mNS0_19identity_decomposerENS1_16block_id_wrapperIjLb1EEEEE10hipError_tT1_PNSt15iterator_traitsISG_E10value_typeET2_T3_PNSH_ISM_E10value_typeET4_T5_PSR_SS_PNS1_23onesweep_lookback_stateEbbT6_jjT7_P12ihipStream_tbENKUlT_T0_SG_SL_E_clIS9_SA_SB_SB_EEDaSZ_S10_SG_SL_EUlSZ_E_NS1_11comp_targetILNS1_3genE0ELNS1_11target_archE4294967295ELNS1_3gpuE0ELNS1_3repE0EEENS1_47radix_sort_onesweep_sort_config_static_selectorELNS0_4arch9wavefront6targetE0EEEvSG_,"axG",@progbits,_ZN7rocprim17ROCPRIM_400000_NS6detail17trampoline_kernelINS0_14default_configENS1_35radix_sort_onesweep_config_selectorIjNS0_10empty_typeEEEZZNS1_29radix_sort_onesweep_iterationIS3_Lb1EPKjPjPS5_SB_mNS0_19identity_decomposerENS1_16block_id_wrapperIjLb1EEEEE10hipError_tT1_PNSt15iterator_traitsISG_E10value_typeET2_T3_PNSH_ISM_E10value_typeET4_T5_PSR_SS_PNS1_23onesweep_lookback_stateEbbT6_jjT7_P12ihipStream_tbENKUlT_T0_SG_SL_E_clIS9_SA_SB_SB_EEDaSZ_S10_SG_SL_EUlSZ_E_NS1_11comp_targetILNS1_3genE0ELNS1_11target_archE4294967295ELNS1_3gpuE0ELNS1_3repE0EEENS1_47radix_sort_onesweep_sort_config_static_selectorELNS0_4arch9wavefront6targetE0EEEvSG_,comdat
	.protected	_ZN7rocprim17ROCPRIM_400000_NS6detail17trampoline_kernelINS0_14default_configENS1_35radix_sort_onesweep_config_selectorIjNS0_10empty_typeEEEZZNS1_29radix_sort_onesweep_iterationIS3_Lb1EPKjPjPS5_SB_mNS0_19identity_decomposerENS1_16block_id_wrapperIjLb1EEEEE10hipError_tT1_PNSt15iterator_traitsISG_E10value_typeET2_T3_PNSH_ISM_E10value_typeET4_T5_PSR_SS_PNS1_23onesweep_lookback_stateEbbT6_jjT7_P12ihipStream_tbENKUlT_T0_SG_SL_E_clIS9_SA_SB_SB_EEDaSZ_S10_SG_SL_EUlSZ_E_NS1_11comp_targetILNS1_3genE0ELNS1_11target_archE4294967295ELNS1_3gpuE0ELNS1_3repE0EEENS1_47radix_sort_onesweep_sort_config_static_selectorELNS0_4arch9wavefront6targetE0EEEvSG_ ; -- Begin function _ZN7rocprim17ROCPRIM_400000_NS6detail17trampoline_kernelINS0_14default_configENS1_35radix_sort_onesweep_config_selectorIjNS0_10empty_typeEEEZZNS1_29radix_sort_onesweep_iterationIS3_Lb1EPKjPjPS5_SB_mNS0_19identity_decomposerENS1_16block_id_wrapperIjLb1EEEEE10hipError_tT1_PNSt15iterator_traitsISG_E10value_typeET2_T3_PNSH_ISM_E10value_typeET4_T5_PSR_SS_PNS1_23onesweep_lookback_stateEbbT6_jjT7_P12ihipStream_tbENKUlT_T0_SG_SL_E_clIS9_SA_SB_SB_EEDaSZ_S10_SG_SL_EUlSZ_E_NS1_11comp_targetILNS1_3genE0ELNS1_11target_archE4294967295ELNS1_3gpuE0ELNS1_3repE0EEENS1_47radix_sort_onesweep_sort_config_static_selectorELNS0_4arch9wavefront6targetE0EEEvSG_
	.globl	_ZN7rocprim17ROCPRIM_400000_NS6detail17trampoline_kernelINS0_14default_configENS1_35radix_sort_onesweep_config_selectorIjNS0_10empty_typeEEEZZNS1_29radix_sort_onesweep_iterationIS3_Lb1EPKjPjPS5_SB_mNS0_19identity_decomposerENS1_16block_id_wrapperIjLb1EEEEE10hipError_tT1_PNSt15iterator_traitsISG_E10value_typeET2_T3_PNSH_ISM_E10value_typeET4_T5_PSR_SS_PNS1_23onesweep_lookback_stateEbbT6_jjT7_P12ihipStream_tbENKUlT_T0_SG_SL_E_clIS9_SA_SB_SB_EEDaSZ_S10_SG_SL_EUlSZ_E_NS1_11comp_targetILNS1_3genE0ELNS1_11target_archE4294967295ELNS1_3gpuE0ELNS1_3repE0EEENS1_47radix_sort_onesweep_sort_config_static_selectorELNS0_4arch9wavefront6targetE0EEEvSG_
	.p2align	8
	.type	_ZN7rocprim17ROCPRIM_400000_NS6detail17trampoline_kernelINS0_14default_configENS1_35radix_sort_onesweep_config_selectorIjNS0_10empty_typeEEEZZNS1_29radix_sort_onesweep_iterationIS3_Lb1EPKjPjPS5_SB_mNS0_19identity_decomposerENS1_16block_id_wrapperIjLb1EEEEE10hipError_tT1_PNSt15iterator_traitsISG_E10value_typeET2_T3_PNSH_ISM_E10value_typeET4_T5_PSR_SS_PNS1_23onesweep_lookback_stateEbbT6_jjT7_P12ihipStream_tbENKUlT_T0_SG_SL_E_clIS9_SA_SB_SB_EEDaSZ_S10_SG_SL_EUlSZ_E_NS1_11comp_targetILNS1_3genE0ELNS1_11target_archE4294967295ELNS1_3gpuE0ELNS1_3repE0EEENS1_47radix_sort_onesweep_sort_config_static_selectorELNS0_4arch9wavefront6targetE0EEEvSG_,@function
_ZN7rocprim17ROCPRIM_400000_NS6detail17trampoline_kernelINS0_14default_configENS1_35radix_sort_onesweep_config_selectorIjNS0_10empty_typeEEEZZNS1_29radix_sort_onesweep_iterationIS3_Lb1EPKjPjPS5_SB_mNS0_19identity_decomposerENS1_16block_id_wrapperIjLb1EEEEE10hipError_tT1_PNSt15iterator_traitsISG_E10value_typeET2_T3_PNSH_ISM_E10value_typeET4_T5_PSR_SS_PNS1_23onesweep_lookback_stateEbbT6_jjT7_P12ihipStream_tbENKUlT_T0_SG_SL_E_clIS9_SA_SB_SB_EEDaSZ_S10_SG_SL_EUlSZ_E_NS1_11comp_targetILNS1_3genE0ELNS1_11target_archE4294967295ELNS1_3gpuE0ELNS1_3repE0EEENS1_47radix_sort_onesweep_sort_config_static_selectorELNS0_4arch9wavefront6targetE0EEEvSG_: ; @_ZN7rocprim17ROCPRIM_400000_NS6detail17trampoline_kernelINS0_14default_configENS1_35radix_sort_onesweep_config_selectorIjNS0_10empty_typeEEEZZNS1_29radix_sort_onesweep_iterationIS3_Lb1EPKjPjPS5_SB_mNS0_19identity_decomposerENS1_16block_id_wrapperIjLb1EEEEE10hipError_tT1_PNSt15iterator_traitsISG_E10value_typeET2_T3_PNSH_ISM_E10value_typeET4_T5_PSR_SS_PNS1_23onesweep_lookback_stateEbbT6_jjT7_P12ihipStream_tbENKUlT_T0_SG_SL_E_clIS9_SA_SB_SB_EEDaSZ_S10_SG_SL_EUlSZ_E_NS1_11comp_targetILNS1_3genE0ELNS1_11target_archE4294967295ELNS1_3gpuE0ELNS1_3repE0EEENS1_47radix_sort_onesweep_sort_config_static_selectorELNS0_4arch9wavefront6targetE0EEEvSG_
; %bb.0:
	s_clause 0x1
	s_load_b128 s[8:11], s[0:1], 0x28
	s_load_b64 s[20:21], s[0:1], 0x38
	v_and_b32_e32 v14, 0x3ff, v0
	s_delay_alu instid0(VALU_DEP_1)
	v_cmp_eq_u32_e64 s2, 0, v14
	s_and_saveexec_b32 s3, s2
	s_cbranch_execz .LBB2633_4
; %bb.1:
	s_mov_b32 s5, exec_lo
	s_mov_b32 s4, exec_lo
	v_mbcnt_lo_u32_b32 v1, s5, 0
                                        ; implicit-def: $vgpr2
	s_delay_alu instid0(VALU_DEP_1)
	v_cmpx_eq_u32_e32 0, v1
	s_cbranch_execz .LBB2633_3
; %bb.2:
	s_load_b64 s[6:7], s[0:1], 0x50
	s_bcnt1_i32_b32 s5, s5
	s_delay_alu instid0(SALU_CYCLE_1)
	v_dual_mov_b32 v2, 0 :: v_dual_mov_b32 v3, s5
	s_wait_xcnt 0x0
	s_wait_kmcnt 0x0
	global_atomic_add_u32 v2, v2, v3, s[6:7] th:TH_ATOMIC_RETURN scope:SCOPE_DEV
.LBB2633_3:
	s_wait_xcnt 0x0
	s_or_b32 exec_lo, exec_lo, s4
	s_wait_loadcnt 0x0
	v_readfirstlane_b32 s4, v2
	s_delay_alu instid0(VALU_DEP_1)
	v_dual_mov_b32 v2, 0 :: v_dual_add_nc_u32 v1, s4, v1
	ds_store_b32 v2, v1 offset:18496
.LBB2633_4:
	s_or_b32 exec_lo, exec_lo, s3
	v_mov_b32_e32 v3, 0
	s_clause 0x2
	s_load_b128 s[12:15], s[0:1], 0x0
	s_load_b32 s3, s[0:1], 0x20
	s_load_b96 s[16:18], s[0:1], 0x44
	s_wait_dscnt 0x0
	s_barrier_signal -1
	s_barrier_wait -1
	ds_load_b32 v1, v3 offset:18496
	v_mbcnt_lo_u32_b32 v15, -1, 0
	v_and_b32_e32 v16, 0x3e0, v14
	s_mov_b32 s4, -1
	s_add_nc_u64 s[24:25], s[0:1], 0x58
	s_getreg_b32 s7, hwreg(HW_REG_IB_STS2, 6, 4)
	s_wait_dscnt 0x0
	s_barrier_signal -1
	s_barrier_wait -1
	s_wait_kmcnt 0x0
	v_cmp_le_u32_e32 vcc_lo, s18, v1
	v_readfirstlane_b32 s19, v1
	s_mul_i32 s22, s19, 0x1800
	s_cbranch_vccz .LBB2633_94
; %bb.5:
	s_mov_b32 s23, 0
	v_mul_u32_u24_e32 v1, 12, v16
	v_lshlrev_b32_e32 v2, 2, v15
	s_lshl_b64 s[4:5], s[22:23], 2
	v_mov_b32_e32 v17, -1
	s_add_nc_u64 s[4:5], s[12:13], s[4:5]
	v_or_b32_e32 v4, v15, v1
	v_add_nc_u64_e32 v[6:7], s[4:5], v[2:3]
	v_dual_mov_b32 v1, -1 :: v_dual_lshlrev_b32 v2, 2, v1
	s_mulk_i32 s18, 0xe800
	s_delay_alu instid0(SALU_CYCLE_1) | instskip(SKIP_1) | instid1(VALU_DEP_1)
	s_add_co_i32 s18, s18, s3
	s_mov_b32 s3, exec_lo
	v_add_nc_u64_e32 v[2:3], v[6:7], v[2:3]
	v_cmpx_gt_u32_e64 s18, v4
	s_cbranch_execz .LBB2633_7
; %bb.6:
	global_load_b32 v5, v[2:3], off
	s_wait_loadcnt 0x0
	v_not_b32_e32 v17, v5
.LBB2633_7:
	s_or_b32 exec_lo, exec_lo, s3
	v_or_b32_e32 v5, 32, v4
	s_mov_b32 s3, exec_lo
	s_delay_alu instid0(VALU_DEP_1)
	v_cmpx_gt_u32_e64 s18, v5
	s_cbranch_execz .LBB2633_9
; %bb.8:
	global_load_b32 v1, v[2:3], off offset:128
	s_wait_loadcnt 0x0
	v_not_b32_e32 v1, v1
.LBB2633_9:
	s_or_b32 exec_lo, exec_lo, s3
	v_dual_mov_b32 v18, -1 :: v_dual_bitop2_b32 v5, 64, v4 bitop3:0x54
	v_mov_b32_e32 v19, -1
	s_mov_b32 s3, exec_lo
	s_delay_alu instid0(VALU_DEP_2)
	v_cmpx_gt_u32_e64 s18, v5
	s_cbranch_execz .LBB2633_11
; %bb.10:
	global_load_b32 v5, v[2:3], off offset:256
	s_wait_loadcnt 0x0
	v_not_b32_e32 v19, v5
.LBB2633_11:
	s_or_b32 exec_lo, exec_lo, s3
	v_or_b32_e32 v5, 0x60, v4
	s_mov_b32 s3, exec_lo
	s_delay_alu instid0(VALU_DEP_1)
	v_cmpx_gt_u32_e64 s18, v5
	s_cbranch_execz .LBB2633_13
; %bb.12:
	global_load_b32 v5, v[2:3], off offset:384
	s_wait_loadcnt 0x0
	v_not_b32_e32 v18, v5
.LBB2633_13:
	s_or_b32 exec_lo, exec_lo, s3
	v_dual_mov_b32 v20, -1 :: v_dual_add_nc_u32 v5, 0x80, v4
	v_mov_b32_e32 v21, -1
	s_mov_b32 s3, exec_lo
	s_delay_alu instid0(VALU_DEP_2)
	v_cmpx_gt_u32_e64 s18, v5
	s_cbranch_execz .LBB2633_15
; %bb.14:
	global_load_b32 v5, v[2:3], off offset:512
	s_wait_loadcnt 0x0
	v_not_b32_e32 v21, v5
.LBB2633_15:
	s_or_b32 exec_lo, exec_lo, s3
	v_add_nc_u32_e32 v5, 0xa0, v4
	s_mov_b32 s3, exec_lo
	s_delay_alu instid0(VALU_DEP_1)
	v_cmpx_gt_u32_e64 s18, v5
	s_cbranch_execz .LBB2633_17
; %bb.16:
	global_load_b32 v5, v[2:3], off offset:640
	s_wait_loadcnt 0x0
	v_not_b32_e32 v20, v5
.LBB2633_17:
	s_or_b32 exec_lo, exec_lo, s3
	v_dual_mov_b32 v22, -1 :: v_dual_add_nc_u32 v5, 0xc0, v4
	v_mov_b32_e32 v23, -1
	s_mov_b32 s3, exec_lo
	s_delay_alu instid0(VALU_DEP_2)
	v_cmpx_gt_u32_e64 s18, v5
	s_cbranch_execz .LBB2633_19
; %bb.18:
	global_load_b32 v5, v[2:3], off offset:768
	s_wait_loadcnt 0x0
	v_not_b32_e32 v23, v5
.LBB2633_19:
	s_or_b32 exec_lo, exec_lo, s3
	v_add_nc_u32_e32 v5, 0xe0, v4
	;; [unrolled: 23-line block ×4, first 2 shown]
	s_mov_b32 s3, exec_lo
	s_delay_alu instid0(VALU_DEP_1)
	v_cmpx_gt_u32_e64 s18, v4
	s_cbranch_execz .LBB2633_29
; %bb.28:
	global_load_b32 v2, v[2:3], off offset:1408
	s_wait_loadcnt 0x0
	v_not_b32_e32 v26, v2
.LBB2633_29:
	s_or_b32 exec_lo, exec_lo, s3
	s_clause 0x1
	s_load_b32 s23, s[0:1], 0x58
	s_load_u16 s3, s[0:1], 0x66
	s_bfe_u32 s4, ttmp6, 0x4000c
	s_and_b32 s5, ttmp6, 15
	s_add_co_i32 s4, s4, 1
	v_bfe_u32 v2, v0, 10, 10
	s_mul_i32 s4, ttmp9, s4
	v_bfe_u32 v3, v0, 20, 10
	s_add_co_i32 s5, s5, s4
	s_cmp_eq_u32 s7, 0
	v_lshrrev_b32_e32 v4, s16, v17
	s_cselect_b32 s4, ttmp9, s5
	s_mov_b32 s5, 0
	s_wait_kmcnt 0x0
	s_cmp_lt_u32 s4, s23
	v_mad_u32_u24 v2, v3, s3, v2
	s_cselect_b32 s4, 12, 18
	s_lshl_b32 s26, -1, s17
	s_add_nc_u64 s[4:5], s[24:25], s[4:5]
	v_bitop3_b32 v3, v4, 1, s26 bitop3:0x40
	s_load_u16 s27, s[4:5], 0x0
	s_delay_alu instid0(VALU_DEP_1) | instskip(NEXT) | instid1(VALU_DEP_1)
	v_add_co_u32 v3, s3, v3, -1
	v_cndmask_b32_e64 v5, 0, 1, s3
	s_delay_alu instid0(VALU_DEP_1) | instskip(NEXT) | instid1(VALU_DEP_3)
	v_cmp_ne_u32_e32 vcc_lo, 0, v5
	v_xor_b32_e32 v3, vcc_lo, v3
	v_bitop3_b32 v4, v4, s26, v4 bitop3:0x30
	s_not_b32 s26, s26
	s_wait_kmcnt 0x0
	v_mad_u32 v2, v2, s27, v14
	s_delay_alu instid0(VALU_DEP_2) | instskip(SKIP_2) | instid1(VALU_DEP_3)
	v_dual_lshlrev_b32 v6, 30, v4 :: v_dual_lshlrev_b32 v7, 29, v4
	v_dual_lshlrev_b32 v8, 28, v4 :: v_dual_lshlrev_b32 v9, 27, v4
	;; [unrolled: 1-line block ×3, first 2 shown]
	v_not_b32_e32 v5, v6
	v_lshlrev_b32_e32 v12, 24, v4
	v_cmp_gt_i32_e64 s3, 0, v6
	v_cmp_gt_i32_e64 s4, 0, v7
	v_not_b32_e32 v6, v7
	v_not_b32_e32 v7, v8
	v_ashrrev_i32_e32 v5, 31, v5
	v_cmp_gt_i32_e64 s5, 0, v8
	v_cmp_gt_i32_e64 s6, 0, v9
	s_delay_alu instid0(VALU_DEP_4) | instskip(NEXT) | instid1(VALU_DEP_4)
	v_dual_ashrrev_i32 v6, 31, v6 :: v_dual_ashrrev_i32 v7, 31, v7
	v_xor_b32_e32 v5, s3, v5
	v_not_b32_e32 v8, v9
	v_not_b32_e32 v9, v10
	s_delay_alu instid0(VALU_DEP_4)
	v_xor_b32_e32 v6, s4, v6
	v_xor_b32_e32 v7, s5, v7
	v_bitop3_b32 v3, v3, v5, exec_lo bitop3:0x80
	v_cmp_gt_i32_e32 vcc_lo, 0, v10
	v_dual_ashrrev_i32 v5, 31, v8 :: v_dual_ashrrev_i32 v8, 31, v9
	v_not_b32_e32 v9, v11
	s_delay_alu instid0(VALU_DEP_4) | instskip(SKIP_1) | instid1(VALU_DEP_4)
	v_bitop3_b32 v3, v3, v7, v6 bitop3:0x80
	v_not_b32_e32 v6, v12
	v_dual_lshrrev_b32 v2, 5, v2 :: v_dual_bitop2_b32 v5, s6, v5 bitop3:0x14
	s_delay_alu instid0(VALU_DEP_4) | instskip(SKIP_3) | instid1(VALU_DEP_4)
	v_dual_ashrrev_i32 v8, 31, v9 :: v_dual_bitop2_b32 v7, vcc_lo, v8 bitop3:0x14
	v_cmp_gt_i32_e32 vcc_lo, 0, v11
	v_cmp_gt_i32_e64 s3, 0, v12
	v_ashrrev_i32_e32 v6, 31, v6
	v_bitop3_b32 v3, v3, v7, v5 bitop3:0x80
	v_dual_mov_b32 v7, 0 :: v_dual_bitop2_b32 v5, vcc_lo, v8 bitop3:0x14
	v_lshlrev_b32_e32 v2, 2, v2
	s_delay_alu instid0(VALU_DEP_4)
	v_xor_b32_e32 v6, s3, v6
	v_mul_u32_u24_e32 v10, 36, v14
	ds_store_2addr_b32 v10, v7, v7 offset0:16 offset1:17
	ds_store_2addr_b32 v10, v7, v7 offset0:18 offset1:19
	;; [unrolled: 1-line block ×4, first 2 shown]
	v_bitop3_b32 v3, v3, v6, v5 bitop3:0x80
	v_mad_u32 v11, 0x44, v4, v2
	ds_store_b32 v10, v7 offset:96
	s_wait_dscnt 0x0
	s_barrier_signal -1
	v_mbcnt_lo_u32_b32 v28, v3, 0
	v_cmp_ne_u32_e64 s3, 0, v3
	s_barrier_wait -1
	s_delay_alu instid0(VALU_DEP_2) | instskip(SKIP_1) | instid1(SALU_CYCLE_1)
	v_cmp_eq_u32_e32 vcc_lo, 0, v28
	; wave barrier
	s_and_b32 s4, s3, vcc_lo
	s_and_saveexec_b32 s3, s4
; %bb.30:
	v_bcnt_u32_b32 v3, v3, 0
	ds_store_b32 v11, v3 offset:64
; %bb.31:
	s_or_b32 exec_lo, exec_lo, s3
	v_lshrrev_b32_e32 v3, s16, v1
	; wave barrier
	s_delay_alu instid0(VALU_DEP_1) | instskip(NEXT) | instid1(VALU_DEP_1)
	v_and_b32_e32 v4, s26, v3
	v_lshlrev_b32_e32 v6, 30, v4
	v_bitop3_b32 v3, v3, 1, s26 bitop3:0x80
	s_delay_alu instid0(VALU_DEP_1) | instskip(NEXT) | instid1(VALU_DEP_1)
	v_add_co_u32 v3, s3, v3, -1
	v_cndmask_b32_e64 v5, 0, 1, s3
	s_delay_alu instid0(VALU_DEP_4) | instskip(NEXT) | instid1(VALU_DEP_2)
	v_cmp_gt_i32_e64 s3, 0, v6
	v_cmp_ne_u32_e32 vcc_lo, 0, v5
	v_not_b32_e32 v5, v6
	s_delay_alu instid0(VALU_DEP_1) | instskip(SKIP_3) | instid1(VALU_DEP_4)
	v_dual_ashrrev_i32 v5, 31, v5 :: v_dual_lshlrev_b32 v7, 29, v4
	v_dual_lshlrev_b32 v8, 28, v4 :: v_dual_lshlrev_b32 v9, 27, v4
	v_lshlrev_b32_e32 v13, 26, v4
	v_mad_u32 v12, 0x44, v4, v2
	v_cmp_gt_i32_e64 s4, 0, v7
	v_not_b32_e32 v6, v7
	v_not_b32_e32 v7, v8
	v_cmp_gt_i32_e64 s5, 0, v8
	v_xor_b32_e32 v3, vcc_lo, v3
	s_delay_alu instid0(VALU_DEP_4) | instskip(NEXT) | instid1(VALU_DEP_4)
	v_dual_ashrrev_i32 v6, 31, v6 :: v_dual_bitop2_b32 v5, s3, v5 bitop3:0x14
	v_dual_ashrrev_i32 v7, 31, v7 :: v_dual_lshlrev_b32 v29, 25, v4
	v_lshlrev_b32_e32 v4, 24, v4
	v_not_b32_e32 v8, v9
	v_not_b32_e32 v30, v13
	v_xor_b32_e32 v6, s4, v6
	v_xor_b32_e32 v7, s5, v7
	v_bitop3_b32 v3, v3, v5, exec_lo bitop3:0x80
	v_cmp_gt_i32_e32 vcc_lo, 0, v9
	v_ashrrev_i32_e32 v5, 31, v8
	v_cmp_gt_i32_e64 s3, 0, v13
	v_ashrrev_i32_e32 v8, 31, v30
	v_bitop3_b32 v3, v3, v7, v6 bitop3:0x80
	v_not_b32_e32 v6, v29
	v_not_b32_e32 v7, v4
	v_xor_b32_e32 v5, vcc_lo, v5
	v_xor_b32_e32 v8, s3, v8
	v_cmp_gt_i32_e32 vcc_lo, 0, v29
	v_ashrrev_i32_e32 v6, 31, v6
	v_cmp_gt_i32_e64 s3, 0, v4
	v_ashrrev_i32_e32 v4, 31, v7
	v_bitop3_b32 v3, v3, v8, v5 bitop3:0x80
	ds_load_b32 v29, v12 offset:64
	v_xor_b32_e32 v5, vcc_lo, v6
	v_xor_b32_e32 v4, s3, v4
	; wave barrier
	s_delay_alu instid0(VALU_DEP_1) | instskip(NEXT) | instid1(VALU_DEP_1)
	v_bitop3_b32 v3, v3, v4, v5 bitop3:0x80
	v_mbcnt_lo_u32_b32 v30, v3, 0
	v_cmp_ne_u32_e64 s3, 0, v3
	s_delay_alu instid0(VALU_DEP_2) | instskip(SKIP_1) | instid1(SALU_CYCLE_1)
	v_cmp_eq_u32_e32 vcc_lo, 0, v30
	s_and_b32 s4, s3, vcc_lo
	s_and_saveexec_b32 s3, s4
	s_cbranch_execz .LBB2633_33
; %bb.32:
	s_wait_dscnt 0x0
	v_bcnt_u32_b32 v3, v3, v29
	ds_store_b32 v12, v3 offset:64
.LBB2633_33:
	s_or_b32 exec_lo, exec_lo, s3
	v_lshrrev_b32_e32 v3, s16, v19
	; wave barrier
	s_delay_alu instid0(VALU_DEP_1) | instskip(NEXT) | instid1(VALU_DEP_1)
	v_and_b32_e32 v4, s26, v3
	v_lshlrev_b32_e32 v6, 30, v4
	v_bitop3_b32 v3, v3, 1, s26 bitop3:0x80
	s_delay_alu instid0(VALU_DEP_1) | instskip(NEXT) | instid1(VALU_DEP_1)
	v_add_co_u32 v3, s3, v3, -1
	v_cndmask_b32_e64 v5, 0, 1, s3
	s_delay_alu instid0(VALU_DEP_4) | instskip(NEXT) | instid1(VALU_DEP_2)
	v_cmp_gt_i32_e64 s3, 0, v6
	v_cmp_ne_u32_e32 vcc_lo, 0, v5
	v_not_b32_e32 v5, v6
	s_delay_alu instid0(VALU_DEP_1) | instskip(SKIP_3) | instid1(VALU_DEP_4)
	v_dual_ashrrev_i32 v5, 31, v5 :: v_dual_lshlrev_b32 v7, 29, v4
	v_dual_lshlrev_b32 v8, 28, v4 :: v_dual_lshlrev_b32 v9, 27, v4
	v_lshlrev_b32_e32 v31, 26, v4
	v_mad_u32 v13, 0x44, v4, v2
	v_cmp_gt_i32_e64 s4, 0, v7
	v_not_b32_e32 v6, v7
	v_not_b32_e32 v7, v8
	v_cmp_gt_i32_e64 s5, 0, v8
	v_xor_b32_e32 v3, vcc_lo, v3
	s_delay_alu instid0(VALU_DEP_4) | instskip(NEXT) | instid1(VALU_DEP_4)
	v_dual_ashrrev_i32 v6, 31, v6 :: v_dual_bitop2_b32 v5, s3, v5 bitop3:0x14
	v_dual_ashrrev_i32 v7, 31, v7 :: v_dual_lshlrev_b32 v32, 25, v4
	v_lshlrev_b32_e32 v4, 24, v4
	v_not_b32_e32 v8, v9
	v_not_b32_e32 v33, v31
	v_xor_b32_e32 v6, s4, v6
	v_xor_b32_e32 v7, s5, v7
	v_bitop3_b32 v3, v3, v5, exec_lo bitop3:0x80
	v_cmp_gt_i32_e32 vcc_lo, 0, v9
	v_ashrrev_i32_e32 v5, 31, v8
	v_cmp_gt_i32_e64 s3, 0, v31
	v_ashrrev_i32_e32 v8, 31, v33
	v_bitop3_b32 v3, v3, v7, v6 bitop3:0x80
	v_not_b32_e32 v6, v32
	v_not_b32_e32 v7, v4
	v_xor_b32_e32 v5, vcc_lo, v5
	v_xor_b32_e32 v8, s3, v8
	v_cmp_gt_i32_e32 vcc_lo, 0, v32
	v_ashrrev_i32_e32 v6, 31, v6
	v_cmp_gt_i32_e64 s3, 0, v4
	v_ashrrev_i32_e32 v4, 31, v7
	v_bitop3_b32 v3, v3, v8, v5 bitop3:0x80
	ds_load_b32 v31, v13 offset:64
	v_xor_b32_e32 v5, vcc_lo, v6
	v_xor_b32_e32 v4, s3, v4
	; wave barrier
	s_delay_alu instid0(VALU_DEP_1) | instskip(NEXT) | instid1(VALU_DEP_1)
	v_bitop3_b32 v3, v3, v4, v5 bitop3:0x80
	v_mbcnt_lo_u32_b32 v32, v3, 0
	v_cmp_ne_u32_e64 s3, 0, v3
	s_delay_alu instid0(VALU_DEP_2) | instskip(SKIP_1) | instid1(SALU_CYCLE_1)
	v_cmp_eq_u32_e32 vcc_lo, 0, v32
	s_and_b32 s4, s3, vcc_lo
	s_and_saveexec_b32 s3, s4
	s_cbranch_execz .LBB2633_35
; %bb.34:
	s_wait_dscnt 0x0
	v_bcnt_u32_b32 v3, v3, v31
	ds_store_b32 v13, v3 offset:64
.LBB2633_35:
	s_or_b32 exec_lo, exec_lo, s3
	v_lshrrev_b32_e32 v3, s16, v18
	; wave barrier
	s_delay_alu instid0(VALU_DEP_1) | instskip(NEXT) | instid1(VALU_DEP_1)
	v_and_b32_e32 v4, s26, v3
	v_lshlrev_b32_e32 v6, 30, v4
	v_bitop3_b32 v3, v3, 1, s26 bitop3:0x80
	s_delay_alu instid0(VALU_DEP_1) | instskip(NEXT) | instid1(VALU_DEP_1)
	v_add_co_u32 v3, s3, v3, -1
	v_cndmask_b32_e64 v5, 0, 1, s3
	s_delay_alu instid0(VALU_DEP_4) | instskip(NEXT) | instid1(VALU_DEP_2)
	v_cmp_gt_i32_e64 s3, 0, v6
	v_cmp_ne_u32_e32 vcc_lo, 0, v5
	v_not_b32_e32 v5, v6
	s_delay_alu instid0(VALU_DEP_1) | instskip(SKIP_3) | instid1(VALU_DEP_4)
	v_dual_ashrrev_i32 v5, 31, v5 :: v_dual_lshlrev_b32 v7, 29, v4
	v_dual_lshlrev_b32 v8, 28, v4 :: v_dual_lshlrev_b32 v9, 27, v4
	v_lshlrev_b32_e32 v33, 26, v4
	v_mad_u32 v37, 0x44, v4, v2
	v_cmp_gt_i32_e64 s4, 0, v7
	v_not_b32_e32 v6, v7
	v_not_b32_e32 v7, v8
	v_cmp_gt_i32_e64 s5, 0, v8
	v_xor_b32_e32 v3, vcc_lo, v3
	s_delay_alu instid0(VALU_DEP_4) | instskip(NEXT) | instid1(VALU_DEP_4)
	v_dual_ashrrev_i32 v6, 31, v6 :: v_dual_bitop2_b32 v5, s3, v5 bitop3:0x14
	v_dual_ashrrev_i32 v7, 31, v7 :: v_dual_lshlrev_b32 v34, 25, v4
	v_lshlrev_b32_e32 v4, 24, v4
	v_not_b32_e32 v8, v9
	v_not_b32_e32 v35, v33
	v_xor_b32_e32 v6, s4, v6
	v_xor_b32_e32 v7, s5, v7
	v_bitop3_b32 v3, v3, v5, exec_lo bitop3:0x80
	v_cmp_gt_i32_e32 vcc_lo, 0, v9
	v_ashrrev_i32_e32 v5, 31, v8
	v_cmp_gt_i32_e64 s3, 0, v33
	v_ashrrev_i32_e32 v8, 31, v35
	v_bitop3_b32 v3, v3, v7, v6 bitop3:0x80
	v_not_b32_e32 v6, v34
	v_not_b32_e32 v7, v4
	v_xor_b32_e32 v5, vcc_lo, v5
	v_xor_b32_e32 v8, s3, v8
	v_cmp_gt_i32_e32 vcc_lo, 0, v34
	v_ashrrev_i32_e32 v6, 31, v6
	v_cmp_gt_i32_e64 s3, 0, v4
	v_ashrrev_i32_e32 v4, 31, v7
	v_bitop3_b32 v3, v3, v8, v5 bitop3:0x80
	ds_load_b32 v33, v37 offset:64
	v_xor_b32_e32 v5, vcc_lo, v6
	v_xor_b32_e32 v4, s3, v4
	; wave barrier
	s_delay_alu instid0(VALU_DEP_1) | instskip(NEXT) | instid1(VALU_DEP_1)
	v_bitop3_b32 v3, v3, v4, v5 bitop3:0x80
	v_mbcnt_lo_u32_b32 v34, v3, 0
	v_cmp_ne_u32_e64 s3, 0, v3
	s_delay_alu instid0(VALU_DEP_2) | instskip(SKIP_1) | instid1(SALU_CYCLE_1)
	v_cmp_eq_u32_e32 vcc_lo, 0, v34
	s_and_b32 s4, s3, vcc_lo
	s_and_saveexec_b32 s3, s4
	s_cbranch_execz .LBB2633_37
; %bb.36:
	s_wait_dscnt 0x0
	v_bcnt_u32_b32 v3, v3, v33
	ds_store_b32 v37, v3 offset:64
.LBB2633_37:
	s_or_b32 exec_lo, exec_lo, s3
	v_lshrrev_b32_e32 v3, s16, v21
	; wave barrier
	s_delay_alu instid0(VALU_DEP_1) | instskip(NEXT) | instid1(VALU_DEP_1)
	v_and_b32_e32 v4, s26, v3
	v_lshlrev_b32_e32 v6, 30, v4
	v_bitop3_b32 v3, v3, 1, s26 bitop3:0x80
	s_delay_alu instid0(VALU_DEP_1) | instskip(NEXT) | instid1(VALU_DEP_1)
	v_add_co_u32 v3, s3, v3, -1
	v_cndmask_b32_e64 v5, 0, 1, s3
	s_delay_alu instid0(VALU_DEP_4) | instskip(NEXT) | instid1(VALU_DEP_2)
	v_cmp_gt_i32_e64 s3, 0, v6
	v_cmp_ne_u32_e32 vcc_lo, 0, v5
	v_not_b32_e32 v5, v6
	s_delay_alu instid0(VALU_DEP_1) | instskip(SKIP_3) | instid1(VALU_DEP_4)
	v_dual_ashrrev_i32 v5, 31, v5 :: v_dual_lshlrev_b32 v7, 29, v4
	v_dual_lshlrev_b32 v8, 28, v4 :: v_dual_lshlrev_b32 v9, 27, v4
	v_lshlrev_b32_e32 v35, 26, v4
	v_mad_u32 v40, 0x44, v4, v2
	v_cmp_gt_i32_e64 s4, 0, v7
	v_not_b32_e32 v6, v7
	v_not_b32_e32 v7, v8
	v_cmp_gt_i32_e64 s5, 0, v8
	v_xor_b32_e32 v3, vcc_lo, v3
	s_delay_alu instid0(VALU_DEP_4) | instskip(NEXT) | instid1(VALU_DEP_4)
	v_dual_ashrrev_i32 v6, 31, v6 :: v_dual_bitop2_b32 v5, s3, v5 bitop3:0x14
	v_dual_ashrrev_i32 v7, 31, v7 :: v_dual_lshlrev_b32 v36, 25, v4
	v_lshlrev_b32_e32 v4, 24, v4
	v_not_b32_e32 v8, v9
	v_not_b32_e32 v38, v35
	v_xor_b32_e32 v6, s4, v6
	v_xor_b32_e32 v7, s5, v7
	v_bitop3_b32 v3, v3, v5, exec_lo bitop3:0x80
	v_cmp_gt_i32_e32 vcc_lo, 0, v9
	v_ashrrev_i32_e32 v5, 31, v8
	v_cmp_gt_i32_e64 s3, 0, v35
	v_ashrrev_i32_e32 v8, 31, v38
	v_bitop3_b32 v3, v3, v7, v6 bitop3:0x80
	v_not_b32_e32 v6, v36
	v_not_b32_e32 v7, v4
	v_xor_b32_e32 v5, vcc_lo, v5
	v_xor_b32_e32 v8, s3, v8
	v_cmp_gt_i32_e32 vcc_lo, 0, v36
	v_ashrrev_i32_e32 v6, 31, v6
	v_cmp_gt_i32_e64 s3, 0, v4
	v_ashrrev_i32_e32 v4, 31, v7
	v_bitop3_b32 v3, v3, v8, v5 bitop3:0x80
	ds_load_b32 v35, v40 offset:64
	v_xor_b32_e32 v5, vcc_lo, v6
	v_xor_b32_e32 v4, s3, v4
	; wave barrier
	s_delay_alu instid0(VALU_DEP_1) | instskip(NEXT) | instid1(VALU_DEP_1)
	v_bitop3_b32 v3, v3, v4, v5 bitop3:0x80
	v_mbcnt_lo_u32_b32 v36, v3, 0
	v_cmp_ne_u32_e64 s3, 0, v3
	s_delay_alu instid0(VALU_DEP_2) | instskip(SKIP_1) | instid1(SALU_CYCLE_1)
	v_cmp_eq_u32_e32 vcc_lo, 0, v36
	s_and_b32 s4, s3, vcc_lo
	s_and_saveexec_b32 s3, s4
	s_cbranch_execz .LBB2633_39
; %bb.38:
	s_wait_dscnt 0x0
	v_bcnt_u32_b32 v3, v3, v35
	ds_store_b32 v40, v3 offset:64
.LBB2633_39:
	s_or_b32 exec_lo, exec_lo, s3
	v_lshrrev_b32_e32 v3, s16, v20
	; wave barrier
	s_delay_alu instid0(VALU_DEP_1) | instskip(SKIP_1) | instid1(VALU_DEP_2)
	v_and_b32_e32 v4, s26, v3
	v_bitop3_b32 v3, v3, 1, s26 bitop3:0x80
	v_dual_lshlrev_b32 v6, 30, v4 :: v_dual_lshlrev_b32 v7, 29, v4
	s_delay_alu instid0(VALU_DEP_2) | instskip(NEXT) | instid1(VALU_DEP_1)
	v_add_co_u32 v3, s3, v3, -1
	v_cndmask_b32_e64 v5, 0, 1, s3
	s_delay_alu instid0(VALU_DEP_3) | instskip(NEXT) | instid1(VALU_DEP_4)
	v_cmp_gt_i32_e64 s3, 0, v6
	v_cmp_gt_i32_e64 s4, 0, v7
	s_delay_alu instid0(VALU_DEP_3) | instskip(SKIP_2) | instid1(VALU_DEP_2)
	v_cmp_ne_u32_e32 vcc_lo, 0, v5
	v_not_b32_e32 v5, v6
	v_not_b32_e32 v6, v7
	v_dual_ashrrev_i32 v5, 31, v5 :: v_dual_bitop2_b32 v3, vcc_lo, v3 bitop3:0x14
	s_delay_alu instid0(VALU_DEP_2) | instskip(SKIP_3) | instid1(VALU_DEP_4)
	v_dual_ashrrev_i32 v6, 31, v6 :: v_dual_lshlrev_b32 v8, 28, v4
	v_lshlrev_b32_e32 v9, 27, v4
	v_mad_u32 v43, 0x44, v4, v2
	v_dual_lshlrev_b32 v38, 26, v4 :: v_dual_lshlrev_b32 v39, 25, v4
	v_not_b32_e32 v7, v8
	v_lshlrev_b32_e32 v4, 24, v4
	v_cmp_gt_i32_e64 s5, 0, v8
	v_xor_b32_e32 v5, s3, v5
	v_not_b32_e32 v8, v9
	v_ashrrev_i32_e32 v7, 31, v7
	v_not_b32_e32 v41, v38
	v_xor_b32_e32 v6, s4, v6
	v_bitop3_b32 v3, v3, v5, exec_lo bitop3:0x80
	v_cmp_gt_i32_e32 vcc_lo, 0, v9
	v_dual_ashrrev_i32 v5, 31, v8 :: v_dual_bitop2_b32 v7, s5, v7 bitop3:0x14
	v_cmp_gt_i32_e64 s3, 0, v38
	v_ashrrev_i32_e32 v8, 31, v41
	ds_load_b32 v38, v43 offset:64
	v_bitop3_b32 v3, v3, v7, v6 bitop3:0x80
	v_not_b32_e32 v6, v39
	v_not_b32_e32 v7, v4
	v_xor_b32_e32 v5, vcc_lo, v5
	v_xor_b32_e32 v8, s3, v8
	v_cmp_gt_i32_e32 vcc_lo, 0, v39
	v_ashrrev_i32_e32 v6, 31, v6
	v_cmp_gt_i32_e64 s3, 0, v4
	v_ashrrev_i32_e32 v4, 31, v7
	v_bitop3_b32 v3, v3, v8, v5 bitop3:0x80
	s_delay_alu instid0(VALU_DEP_4) | instskip(NEXT) | instid1(VALU_DEP_3)
	v_xor_b32_e32 v5, vcc_lo, v6
	; wave barrier
	v_xor_b32_e32 v4, s3, v4
	s_delay_alu instid0(VALU_DEP_1) | instskip(NEXT) | instid1(VALU_DEP_1)
	v_bitop3_b32 v3, v3, v4, v5 bitop3:0x80
	v_mbcnt_lo_u32_b32 v39, v3, 0
	v_cmp_ne_u32_e64 s3, 0, v3
	s_delay_alu instid0(VALU_DEP_2) | instskip(SKIP_1) | instid1(SALU_CYCLE_1)
	v_cmp_eq_u32_e32 vcc_lo, 0, v39
	s_and_b32 s4, s3, vcc_lo
	s_and_saveexec_b32 s3, s4
	s_cbranch_execz .LBB2633_41
; %bb.40:
	s_wait_dscnt 0x0
	v_bcnt_u32_b32 v3, v3, v38
	ds_store_b32 v43, v3 offset:64
.LBB2633_41:
	s_or_b32 exec_lo, exec_lo, s3
	v_lshrrev_b32_e32 v3, s16, v23
	; wave barrier
	s_delay_alu instid0(VALU_DEP_1) | instskip(NEXT) | instid1(VALU_DEP_1)
	v_and_b32_e32 v4, s26, v3
	v_lshlrev_b32_e32 v6, 30, v4
	v_bitop3_b32 v3, v3, 1, s26 bitop3:0x80
	s_delay_alu instid0(VALU_DEP_1) | instskip(NEXT) | instid1(VALU_DEP_1)
	v_add_co_u32 v3, s3, v3, -1
	v_cndmask_b32_e64 v5, 0, 1, s3
	s_delay_alu instid0(VALU_DEP_4) | instskip(NEXT) | instid1(VALU_DEP_2)
	v_cmp_gt_i32_e64 s3, 0, v6
	v_cmp_ne_u32_e32 vcc_lo, 0, v5
	v_not_b32_e32 v5, v6
	s_delay_alu instid0(VALU_DEP_1) | instskip(SKIP_3) | instid1(VALU_DEP_4)
	v_dual_ashrrev_i32 v5, 31, v5 :: v_dual_lshlrev_b32 v7, 29, v4
	v_dual_lshlrev_b32 v8, 28, v4 :: v_dual_lshlrev_b32 v9, 27, v4
	v_lshlrev_b32_e32 v41, 26, v4
	v_mad_u32 v46, 0x44, v4, v2
	v_cmp_gt_i32_e64 s4, 0, v7
	v_not_b32_e32 v6, v7
	v_not_b32_e32 v7, v8
	v_cmp_gt_i32_e64 s5, 0, v8
	v_xor_b32_e32 v3, vcc_lo, v3
	s_delay_alu instid0(VALU_DEP_4) | instskip(NEXT) | instid1(VALU_DEP_4)
	v_dual_ashrrev_i32 v6, 31, v6 :: v_dual_bitop2_b32 v5, s3, v5 bitop3:0x14
	v_dual_ashrrev_i32 v7, 31, v7 :: v_dual_lshlrev_b32 v42, 25, v4
	v_lshlrev_b32_e32 v4, 24, v4
	v_not_b32_e32 v8, v9
	v_not_b32_e32 v44, v41
	v_xor_b32_e32 v6, s4, v6
	v_xor_b32_e32 v7, s5, v7
	v_bitop3_b32 v3, v3, v5, exec_lo bitop3:0x80
	v_cmp_gt_i32_e32 vcc_lo, 0, v9
	v_ashrrev_i32_e32 v5, 31, v8
	v_cmp_gt_i32_e64 s3, 0, v41
	v_ashrrev_i32_e32 v8, 31, v44
	v_bitop3_b32 v3, v3, v7, v6 bitop3:0x80
	v_not_b32_e32 v6, v42
	v_not_b32_e32 v7, v4
	v_xor_b32_e32 v5, vcc_lo, v5
	v_xor_b32_e32 v8, s3, v8
	v_cmp_gt_i32_e32 vcc_lo, 0, v42
	v_ashrrev_i32_e32 v6, 31, v6
	v_cmp_gt_i32_e64 s3, 0, v4
	v_ashrrev_i32_e32 v4, 31, v7
	v_bitop3_b32 v3, v3, v8, v5 bitop3:0x80
	ds_load_b32 v41, v46 offset:64
	v_xor_b32_e32 v5, vcc_lo, v6
	v_xor_b32_e32 v4, s3, v4
	; wave barrier
	s_delay_alu instid0(VALU_DEP_1) | instskip(NEXT) | instid1(VALU_DEP_1)
	v_bitop3_b32 v3, v3, v4, v5 bitop3:0x80
	v_mbcnt_lo_u32_b32 v42, v3, 0
	v_cmp_ne_u32_e64 s3, 0, v3
	s_delay_alu instid0(VALU_DEP_2) | instskip(SKIP_1) | instid1(SALU_CYCLE_1)
	v_cmp_eq_u32_e32 vcc_lo, 0, v42
	s_and_b32 s4, s3, vcc_lo
	s_and_saveexec_b32 s3, s4
	s_cbranch_execz .LBB2633_43
; %bb.42:
	s_wait_dscnt 0x0
	v_bcnt_u32_b32 v3, v3, v41
	ds_store_b32 v46, v3 offset:64
.LBB2633_43:
	s_or_b32 exec_lo, exec_lo, s3
	v_lshrrev_b32_e32 v3, s16, v22
	; wave barrier
	s_delay_alu instid0(VALU_DEP_1) | instskip(NEXT) | instid1(VALU_DEP_1)
	v_and_b32_e32 v4, s26, v3
	v_lshlrev_b32_e32 v6, 30, v4
	v_bitop3_b32 v3, v3, 1, s26 bitop3:0x80
	s_delay_alu instid0(VALU_DEP_1) | instskip(NEXT) | instid1(VALU_DEP_1)
	v_add_co_u32 v3, s3, v3, -1
	v_cndmask_b32_e64 v5, 0, 1, s3
	s_delay_alu instid0(VALU_DEP_4) | instskip(NEXT) | instid1(VALU_DEP_2)
	v_cmp_gt_i32_e64 s3, 0, v6
	v_cmp_ne_u32_e32 vcc_lo, 0, v5
	v_not_b32_e32 v5, v6
	s_delay_alu instid0(VALU_DEP_1) | instskip(SKIP_3) | instid1(VALU_DEP_4)
	v_dual_ashrrev_i32 v5, 31, v5 :: v_dual_lshlrev_b32 v7, 29, v4
	v_dual_lshlrev_b32 v8, 28, v4 :: v_dual_lshlrev_b32 v9, 27, v4
	v_lshlrev_b32_e32 v44, 26, v4
	v_mad_u32 v49, 0x44, v4, v2
	v_cmp_gt_i32_e64 s4, 0, v7
	v_not_b32_e32 v6, v7
	v_not_b32_e32 v7, v8
	v_cmp_gt_i32_e64 s5, 0, v8
	v_xor_b32_e32 v3, vcc_lo, v3
	s_delay_alu instid0(VALU_DEP_4) | instskip(NEXT) | instid1(VALU_DEP_4)
	v_dual_ashrrev_i32 v6, 31, v6 :: v_dual_bitop2_b32 v5, s3, v5 bitop3:0x14
	v_dual_ashrrev_i32 v7, 31, v7 :: v_dual_lshlrev_b32 v45, 25, v4
	v_lshlrev_b32_e32 v4, 24, v4
	v_not_b32_e32 v8, v9
	v_not_b32_e32 v47, v44
	v_xor_b32_e32 v6, s4, v6
	v_xor_b32_e32 v7, s5, v7
	v_bitop3_b32 v3, v3, v5, exec_lo bitop3:0x80
	v_cmp_gt_i32_e32 vcc_lo, 0, v9
	v_ashrrev_i32_e32 v5, 31, v8
	v_cmp_gt_i32_e64 s3, 0, v44
	v_ashrrev_i32_e32 v8, 31, v47
	v_bitop3_b32 v3, v3, v7, v6 bitop3:0x80
	v_not_b32_e32 v6, v45
	v_not_b32_e32 v7, v4
	v_xor_b32_e32 v5, vcc_lo, v5
	v_xor_b32_e32 v8, s3, v8
	v_cmp_gt_i32_e32 vcc_lo, 0, v45
	v_ashrrev_i32_e32 v6, 31, v6
	v_cmp_gt_i32_e64 s3, 0, v4
	v_ashrrev_i32_e32 v4, 31, v7
	v_bitop3_b32 v3, v3, v8, v5 bitop3:0x80
	ds_load_b32 v44, v49 offset:64
	v_xor_b32_e32 v5, vcc_lo, v6
	v_xor_b32_e32 v4, s3, v4
	; wave barrier
	s_delay_alu instid0(VALU_DEP_1) | instskip(NEXT) | instid1(VALU_DEP_1)
	v_bitop3_b32 v3, v3, v4, v5 bitop3:0x80
	v_mbcnt_lo_u32_b32 v45, v3, 0
	v_cmp_ne_u32_e64 s3, 0, v3
	s_delay_alu instid0(VALU_DEP_2) | instskip(SKIP_1) | instid1(SALU_CYCLE_1)
	v_cmp_eq_u32_e32 vcc_lo, 0, v45
	s_and_b32 s4, s3, vcc_lo
	s_and_saveexec_b32 s3, s4
	s_cbranch_execz .LBB2633_45
; %bb.44:
	s_wait_dscnt 0x0
	v_bcnt_u32_b32 v3, v3, v44
	ds_store_b32 v49, v3 offset:64
.LBB2633_45:
	s_or_b32 exec_lo, exec_lo, s3
	v_lshrrev_b32_e32 v3, s16, v25
	; wave barrier
	s_delay_alu instid0(VALU_DEP_1) | instskip(NEXT) | instid1(VALU_DEP_1)
	v_and_b32_e32 v4, s26, v3
	v_lshlrev_b32_e32 v6, 30, v4
	v_bitop3_b32 v3, v3, 1, s26 bitop3:0x80
	s_delay_alu instid0(VALU_DEP_1) | instskip(NEXT) | instid1(VALU_DEP_1)
	v_add_co_u32 v3, s3, v3, -1
	v_cndmask_b32_e64 v5, 0, 1, s3
	s_delay_alu instid0(VALU_DEP_4) | instskip(NEXT) | instid1(VALU_DEP_2)
	v_cmp_gt_i32_e64 s3, 0, v6
	v_cmp_ne_u32_e32 vcc_lo, 0, v5
	v_not_b32_e32 v5, v6
	s_delay_alu instid0(VALU_DEP_1) | instskip(SKIP_3) | instid1(VALU_DEP_4)
	v_dual_ashrrev_i32 v5, 31, v5 :: v_dual_lshlrev_b32 v7, 29, v4
	v_dual_lshlrev_b32 v8, 28, v4 :: v_dual_lshlrev_b32 v9, 27, v4
	v_lshlrev_b32_e32 v47, 26, v4
	v_mad_u32 v52, 0x44, v4, v2
	v_cmp_gt_i32_e64 s4, 0, v7
	v_not_b32_e32 v6, v7
	v_not_b32_e32 v7, v8
	v_cmp_gt_i32_e64 s5, 0, v8
	v_xor_b32_e32 v3, vcc_lo, v3
	s_delay_alu instid0(VALU_DEP_4) | instskip(NEXT) | instid1(VALU_DEP_4)
	v_dual_ashrrev_i32 v6, 31, v6 :: v_dual_bitop2_b32 v5, s3, v5 bitop3:0x14
	v_dual_ashrrev_i32 v7, 31, v7 :: v_dual_lshlrev_b32 v48, 25, v4
	v_lshlrev_b32_e32 v4, 24, v4
	v_not_b32_e32 v8, v9
	v_not_b32_e32 v50, v47
	v_xor_b32_e32 v6, s4, v6
	v_xor_b32_e32 v7, s5, v7
	v_bitop3_b32 v3, v3, v5, exec_lo bitop3:0x80
	v_cmp_gt_i32_e32 vcc_lo, 0, v9
	v_ashrrev_i32_e32 v5, 31, v8
	v_cmp_gt_i32_e64 s3, 0, v47
	v_ashrrev_i32_e32 v8, 31, v50
	v_bitop3_b32 v3, v3, v7, v6 bitop3:0x80
	v_not_b32_e32 v6, v48
	v_not_b32_e32 v7, v4
	v_xor_b32_e32 v5, vcc_lo, v5
	v_xor_b32_e32 v8, s3, v8
	v_cmp_gt_i32_e32 vcc_lo, 0, v48
	v_ashrrev_i32_e32 v6, 31, v6
	v_cmp_gt_i32_e64 s3, 0, v4
	v_ashrrev_i32_e32 v4, 31, v7
	v_bitop3_b32 v3, v3, v8, v5 bitop3:0x80
	ds_load_b32 v47, v52 offset:64
	v_xor_b32_e32 v5, vcc_lo, v6
	v_xor_b32_e32 v4, s3, v4
	; wave barrier
	s_delay_alu instid0(VALU_DEP_1) | instskip(NEXT) | instid1(VALU_DEP_1)
	v_bitop3_b32 v3, v3, v4, v5 bitop3:0x80
	v_mbcnt_lo_u32_b32 v48, v3, 0
	v_cmp_ne_u32_e64 s3, 0, v3
	s_delay_alu instid0(VALU_DEP_2) | instskip(SKIP_1) | instid1(SALU_CYCLE_1)
	v_cmp_eq_u32_e32 vcc_lo, 0, v48
	s_and_b32 s4, s3, vcc_lo
	s_and_saveexec_b32 s3, s4
	s_cbranch_execz .LBB2633_47
; %bb.46:
	s_wait_dscnt 0x0
	v_bcnt_u32_b32 v3, v3, v47
	ds_store_b32 v52, v3 offset:64
.LBB2633_47:
	s_or_b32 exec_lo, exec_lo, s3
	v_lshrrev_b32_e32 v3, s16, v24
	; wave barrier
	s_delay_alu instid0(VALU_DEP_1) | instskip(SKIP_1) | instid1(VALU_DEP_2)
	v_and_b32_e32 v4, s26, v3
	v_bitop3_b32 v3, v3, 1, s26 bitop3:0x80
	v_dual_lshlrev_b32 v6, 30, v4 :: v_dual_lshlrev_b32 v7, 29, v4
	s_delay_alu instid0(VALU_DEP_2) | instskip(NEXT) | instid1(VALU_DEP_1)
	v_add_co_u32 v3, s3, v3, -1
	v_cndmask_b32_e64 v5, 0, 1, s3
	s_delay_alu instid0(VALU_DEP_3) | instskip(NEXT) | instid1(VALU_DEP_4)
	v_cmp_gt_i32_e64 s3, 0, v6
	v_cmp_gt_i32_e64 s4, 0, v7
	s_delay_alu instid0(VALU_DEP_3) | instskip(SKIP_2) | instid1(VALU_DEP_2)
	v_cmp_ne_u32_e32 vcc_lo, 0, v5
	v_not_b32_e32 v5, v6
	v_not_b32_e32 v6, v7
	v_dual_ashrrev_i32 v5, 31, v5 :: v_dual_bitop2_b32 v3, vcc_lo, v3 bitop3:0x14
	s_delay_alu instid0(VALU_DEP_2) | instskip(SKIP_3) | instid1(VALU_DEP_4)
	v_dual_ashrrev_i32 v6, 31, v6 :: v_dual_lshlrev_b32 v8, 28, v4
	v_lshlrev_b32_e32 v9, 27, v4
	v_mad_u32 v53, 0x44, v4, v2
	v_dual_lshlrev_b32 v50, 26, v4 :: v_dual_lshlrev_b32 v51, 25, v4
	v_not_b32_e32 v7, v8
	v_lshlrev_b32_e32 v4, 24, v4
	v_cmp_gt_i32_e64 s5, 0, v8
	v_xor_b32_e32 v5, s3, v5
	v_not_b32_e32 v8, v9
	v_ashrrev_i32_e32 v7, 31, v7
	v_not_b32_e32 v54, v50
	v_xor_b32_e32 v6, s4, v6
	v_bitop3_b32 v3, v3, v5, exec_lo bitop3:0x80
	v_cmp_gt_i32_e32 vcc_lo, 0, v9
	v_dual_ashrrev_i32 v5, 31, v8 :: v_dual_bitop2_b32 v7, s5, v7 bitop3:0x14
	v_cmp_gt_i32_e64 s3, 0, v50
	v_ashrrev_i32_e32 v8, 31, v54
	ds_load_b32 v50, v53 offset:64
	v_bitop3_b32 v3, v3, v7, v6 bitop3:0x80
	v_not_b32_e32 v6, v51
	v_not_b32_e32 v7, v4
	v_xor_b32_e32 v5, vcc_lo, v5
	v_xor_b32_e32 v8, s3, v8
	v_cmp_gt_i32_e32 vcc_lo, 0, v51
	v_ashrrev_i32_e32 v6, 31, v6
	v_cmp_gt_i32_e64 s3, 0, v4
	v_ashrrev_i32_e32 v4, 31, v7
	v_bitop3_b32 v3, v3, v8, v5 bitop3:0x80
	s_delay_alu instid0(VALU_DEP_4) | instskip(NEXT) | instid1(VALU_DEP_3)
	v_xor_b32_e32 v5, vcc_lo, v6
	; wave barrier
	v_xor_b32_e32 v4, s3, v4
	s_delay_alu instid0(VALU_DEP_1) | instskip(NEXT) | instid1(VALU_DEP_1)
	v_bitop3_b32 v3, v3, v4, v5 bitop3:0x80
	v_mbcnt_lo_u32_b32 v51, v3, 0
	v_cmp_ne_u32_e64 s3, 0, v3
	s_delay_alu instid0(VALU_DEP_2) | instskip(SKIP_1) | instid1(SALU_CYCLE_1)
	v_cmp_eq_u32_e32 vcc_lo, 0, v51
	s_and_b32 s4, s3, vcc_lo
	s_and_saveexec_b32 s3, s4
	s_cbranch_execz .LBB2633_49
; %bb.48:
	s_wait_dscnt 0x0
	v_bcnt_u32_b32 v3, v3, v50
	ds_store_b32 v53, v3 offset:64
.LBB2633_49:
	s_or_b32 exec_lo, exec_lo, s3
	v_lshrrev_b32_e32 v3, s16, v27
	; wave barrier
	s_delay_alu instid0(VALU_DEP_1) | instskip(NEXT) | instid1(VALU_DEP_1)
	v_and_b32_e32 v4, s26, v3
	v_lshlrev_b32_e32 v6, 30, v4
	v_bitop3_b32 v3, v3, 1, s26 bitop3:0x80
	s_delay_alu instid0(VALU_DEP_1) | instskip(NEXT) | instid1(VALU_DEP_1)
	v_add_co_u32 v3, s3, v3, -1
	v_cndmask_b32_e64 v5, 0, 1, s3
	s_delay_alu instid0(VALU_DEP_4) | instskip(NEXT) | instid1(VALU_DEP_2)
	v_cmp_gt_i32_e64 s3, 0, v6
	v_cmp_ne_u32_e32 vcc_lo, 0, v5
	v_not_b32_e32 v5, v6
	s_delay_alu instid0(VALU_DEP_1) | instskip(SKIP_3) | instid1(VALU_DEP_4)
	v_dual_ashrrev_i32 v5, 31, v5 :: v_dual_lshlrev_b32 v7, 29, v4
	v_dual_lshlrev_b32 v8, 28, v4 :: v_dual_lshlrev_b32 v9, 27, v4
	v_lshlrev_b32_e32 v54, 26, v4
	v_mad_u32 v56, 0x44, v4, v2
	v_cmp_gt_i32_e64 s4, 0, v7
	v_not_b32_e32 v6, v7
	v_not_b32_e32 v7, v8
	v_cmp_gt_i32_e64 s5, 0, v8
	v_xor_b32_e32 v3, vcc_lo, v3
	s_delay_alu instid0(VALU_DEP_4) | instskip(NEXT) | instid1(VALU_DEP_4)
	v_dual_ashrrev_i32 v6, 31, v6 :: v_dual_bitop2_b32 v5, s3, v5 bitop3:0x14
	v_dual_ashrrev_i32 v7, 31, v7 :: v_dual_lshlrev_b32 v55, 25, v4
	v_lshlrev_b32_e32 v4, 24, v4
	v_not_b32_e32 v8, v9
	v_not_b32_e32 v57, v54
	v_xor_b32_e32 v6, s4, v6
	v_xor_b32_e32 v7, s5, v7
	v_bitop3_b32 v3, v3, v5, exec_lo bitop3:0x80
	v_cmp_gt_i32_e32 vcc_lo, 0, v9
	v_ashrrev_i32_e32 v5, 31, v8
	v_cmp_gt_i32_e64 s3, 0, v54
	v_ashrrev_i32_e32 v8, 31, v57
	v_bitop3_b32 v3, v3, v7, v6 bitop3:0x80
	v_not_b32_e32 v6, v55
	v_not_b32_e32 v7, v4
	v_xor_b32_e32 v5, vcc_lo, v5
	v_xor_b32_e32 v8, s3, v8
	v_cmp_gt_i32_e32 vcc_lo, 0, v55
	v_ashrrev_i32_e32 v6, 31, v6
	v_cmp_gt_i32_e64 s3, 0, v4
	v_ashrrev_i32_e32 v4, 31, v7
	v_bitop3_b32 v3, v3, v8, v5 bitop3:0x80
	ds_load_b32 v54, v56 offset:64
	v_xor_b32_e32 v5, vcc_lo, v6
	v_xor_b32_e32 v4, s3, v4
	; wave barrier
	s_delay_alu instid0(VALU_DEP_1) | instskip(NEXT) | instid1(VALU_DEP_1)
	v_bitop3_b32 v3, v3, v4, v5 bitop3:0x80
	v_mbcnt_lo_u32_b32 v55, v3, 0
	v_cmp_ne_u32_e64 s3, 0, v3
	s_delay_alu instid0(VALU_DEP_2) | instskip(SKIP_1) | instid1(SALU_CYCLE_1)
	v_cmp_eq_u32_e32 vcc_lo, 0, v55
	s_and_b32 s4, s3, vcc_lo
	s_and_saveexec_b32 s3, s4
	s_cbranch_execz .LBB2633_51
; %bb.50:
	s_wait_dscnt 0x0
	v_bcnt_u32_b32 v3, v3, v54
	ds_store_b32 v56, v3 offset:64
.LBB2633_51:
	s_or_b32 exec_lo, exec_lo, s3
	v_lshrrev_b32_e32 v3, s16, v26
	; wave barrier
	s_delay_alu instid0(VALU_DEP_1) | instskip(NEXT) | instid1(VALU_DEP_1)
	v_and_b32_e32 v4, s26, v3
	v_lshlrev_b32_e32 v5, 30, v4
	v_bitop3_b32 v3, v3, 1, s26 bitop3:0x80
	v_mad_u32 v59, 0x44, v4, v2
	s_delay_alu instid0(VALU_DEP_2) | instskip(NEXT) | instid1(VALU_DEP_1)
	v_add_co_u32 v2, s3, v3, -1
	v_cndmask_b32_e64 v3, 0, 1, s3
	v_cmp_gt_i32_e64 s3, 0, v5
	s_delay_alu instid0(VALU_DEP_2) | instskip(SKIP_1) | instid1(VALU_DEP_1)
	v_cmp_ne_u32_e32 vcc_lo, 0, v3
	v_not_b32_e32 v3, v5
	v_dual_ashrrev_i32 v3, 31, v3 :: v_dual_lshlrev_b32 v6, 29, v4
	v_dual_lshlrev_b32 v7, 28, v4 :: v_dual_lshlrev_b32 v8, 27, v4
	v_dual_lshlrev_b32 v9, 26, v4 :: v_dual_lshlrev_b32 v57, 25, v4
	v_lshlrev_b32_e32 v4, 24, v4
	s_delay_alu instid0(VALU_DEP_4) | instskip(SKIP_4) | instid1(VALU_DEP_4)
	v_cmp_gt_i32_e64 s4, 0, v6
	v_not_b32_e32 v5, v6
	v_not_b32_e32 v6, v7
	v_cmp_gt_i32_e64 s5, 0, v7
	v_xor_b32_e32 v2, vcc_lo, v2
	v_dual_ashrrev_i32 v5, 31, v5 :: v_dual_bitop2_b32 v3, s3, v3 bitop3:0x14
	s_delay_alu instid0(VALU_DEP_4) | instskip(SKIP_2) | instid1(VALU_DEP_4)
	v_ashrrev_i32_e32 v6, 31, v6
	v_not_b32_e32 v7, v8
	v_not_b32_e32 v58, v9
	v_bitop3_b32 v2, v2, v3, exec_lo bitop3:0x80
	v_xor_b32_e32 v5, s4, v5
	v_xor_b32_e32 v6, s5, v6
	v_cmp_gt_i32_e32 vcc_lo, 0, v8
	v_ashrrev_i32_e32 v3, 31, v7
	v_cmp_gt_i32_e64 s3, 0, v9
	v_ashrrev_i32_e32 v7, 31, v58
	v_bitop3_b32 v2, v2, v6, v5 bitop3:0x80
	v_not_b32_e32 v5, v57
	v_not_b32_e32 v6, v4
	v_xor_b32_e32 v3, vcc_lo, v3
	v_xor_b32_e32 v7, s3, v7
	v_cmp_gt_i32_e32 vcc_lo, 0, v57
	v_ashrrev_i32_e32 v5, 31, v5
	v_cmp_gt_i32_e64 s3, 0, v4
	v_ashrrev_i32_e32 v4, 31, v6
	v_bitop3_b32 v2, v2, v7, v3 bitop3:0x80
	ds_load_b32 v57, v59 offset:64
	v_xor_b32_e32 v3, vcc_lo, v5
	v_xor_b32_e32 v4, s3, v4
	; wave barrier
	s_delay_alu instid0(VALU_DEP_1) | instskip(NEXT) | instid1(VALU_DEP_1)
	v_bitop3_b32 v2, v2, v4, v3 bitop3:0x80
	v_mbcnt_lo_u32_b32 v58, v2, 0
	v_cmp_ne_u32_e64 s3, 0, v2
	s_delay_alu instid0(VALU_DEP_2) | instskip(SKIP_1) | instid1(SALU_CYCLE_1)
	v_cmp_eq_u32_e32 vcc_lo, 0, v58
	s_and_b32 s4, s3, vcc_lo
	s_and_saveexec_b32 s3, s4
	s_cbranch_execz .LBB2633_53
; %bb.52:
	s_wait_dscnt 0x0
	v_bcnt_u32_b32 v2, v2, v57
	ds_store_b32 v59, v2 offset:64
.LBB2633_53:
	s_or_b32 exec_lo, exec_lo, s3
	; wave barrier
	s_wait_dscnt 0x0
	s_barrier_signal -1
	s_barrier_wait -1
	ds_load_2addr_b32 v[8:9], v10 offset0:16 offset1:17
	ds_load_2addr_b32 v[6:7], v10 offset0:18 offset1:19
	;; [unrolled: 1-line block ×4, first 2 shown]
	ds_load_b32 v60, v10 offset:96
	v_min_u32_e32 v63, 0x1e0, v16
	s_mov_b32 s27, exec_lo
	s_wait_dscnt 0x3
	v_add3_u32 v61, v9, v8, v6
	s_wait_dscnt 0x2
	s_delay_alu instid0(VALU_DEP_1) | instskip(SKIP_1) | instid1(VALU_DEP_1)
	v_add3_u32 v61, v61, v7, v4
	s_wait_dscnt 0x1
	v_add3_u32 v61, v61, v5, v2
	s_wait_dscnt 0x0
	s_delay_alu instid0(VALU_DEP_1) | instskip(SKIP_1) | instid1(VALU_DEP_2)
	v_add3_u32 v60, v61, v3, v60
	v_and_b32_e32 v61, 15, v15
	v_mov_b32_dpp v62, v60 row_shr:1 row_mask:0xf bank_mask:0xf
	s_delay_alu instid0(VALU_DEP_2) | instskip(NEXT) | instid1(VALU_DEP_2)
	v_cmp_eq_u32_e32 vcc_lo, 0, v61
	v_cndmask_b32_e64 v62, v62, 0, vcc_lo
	s_delay_alu instid0(VALU_DEP_1) | instskip(SKIP_3) | instid1(VALU_DEP_4)
	v_add_nc_u32_e32 v60, v62, v60
	v_cmp_lt_u32_e64 s3, 1, v61
	v_cmp_lt_u32_e64 s4, 3, v61
	;; [unrolled: 1-line block ×3, first 2 shown]
	v_mov_b32_dpp v62, v60 row_shr:2 row_mask:0xf bank_mask:0xf
	s_delay_alu instid0(VALU_DEP_1) | instskip(NEXT) | instid1(VALU_DEP_1)
	v_cndmask_b32_e64 v62, 0, v62, s3
	v_add_nc_u32_e32 v60, v60, v62
	s_delay_alu instid0(VALU_DEP_1) | instskip(NEXT) | instid1(VALU_DEP_1)
	v_mov_b32_dpp v62, v60 row_shr:4 row_mask:0xf bank_mask:0xf
	v_cndmask_b32_e64 v62, 0, v62, s4
	s_delay_alu instid0(VALU_DEP_1) | instskip(NEXT) | instid1(VALU_DEP_1)
	v_add_nc_u32_e32 v60, v60, v62
	v_mov_b32_dpp v62, v60 row_shr:8 row_mask:0xf bank_mask:0xf
	s_delay_alu instid0(VALU_DEP_1) | instskip(SKIP_1) | instid1(VALU_DEP_2)
	v_cndmask_b32_e64 v61, 0, v62, s5
	v_bfe_i32 v62, v15, 4, 1
	v_add_nc_u32_e32 v60, v60, v61
	ds_swizzle_b32 v61, v60 offset:swizzle(BROADCAST,32,15)
	s_wait_dscnt 0x0
	v_dual_lshrrev_b32 v61, 5, v14 :: v_dual_bitop2_b32 v62, v62, v61 bitop3:0x40
	s_delay_alu instid0(VALU_DEP_1) | instskip(NEXT) | instid1(VALU_DEP_1)
	v_dual_add_nc_u32 v60, v60, v62 :: v_dual_bitop2_b32 v63, 31, v63 bitop3:0x54
	v_cmpx_eq_u32_e64 v14, v63
; %bb.54:
	s_delay_alu instid0(VALU_DEP_3)
	v_lshlrev_b32_e32 v62, 2, v61
	ds_store_b32 v62, v60
; %bb.55:
	s_or_b32 exec_lo, exec_lo, s27
	s_delay_alu instid0(SALU_CYCLE_1)
	s_mov_b32 s27, exec_lo
	s_wait_dscnt 0x0
	s_barrier_signal -1
	s_barrier_wait -1
	v_cmpx_gt_u32_e32 16, v14
	s_cbranch_execz .LBB2633_57
; %bb.56:
	v_lshlrev_b32_e32 v62, 2, v14
	ds_load_b32 v63, v62
	s_wait_dscnt 0x0
	v_mov_b32_dpp v64, v63 row_shr:1 row_mask:0xf bank_mask:0xf
	s_delay_alu instid0(VALU_DEP_1) | instskip(NEXT) | instid1(VALU_DEP_1)
	v_cndmask_b32_e64 v64, v64, 0, vcc_lo
	v_add_nc_u32_e32 v63, v64, v63
	s_delay_alu instid0(VALU_DEP_1) | instskip(NEXT) | instid1(VALU_DEP_1)
	v_mov_b32_dpp v64, v63 row_shr:2 row_mask:0xf bank_mask:0xf
	v_cndmask_b32_e64 v64, 0, v64, s3
	s_delay_alu instid0(VALU_DEP_1) | instskip(NEXT) | instid1(VALU_DEP_1)
	v_add_nc_u32_e32 v63, v63, v64
	v_mov_b32_dpp v64, v63 row_shr:4 row_mask:0xf bank_mask:0xf
	s_delay_alu instid0(VALU_DEP_1) | instskip(NEXT) | instid1(VALU_DEP_1)
	v_cndmask_b32_e64 v64, 0, v64, s4
	v_add_nc_u32_e32 v63, v63, v64
	s_delay_alu instid0(VALU_DEP_1) | instskip(NEXT) | instid1(VALU_DEP_1)
	v_mov_b32_dpp v64, v63 row_shr:8 row_mask:0xf bank_mask:0xf
	v_cndmask_b32_e64 v64, 0, v64, s5
	s_delay_alu instid0(VALU_DEP_1)
	v_add_nc_u32_e32 v63, v63, v64
	ds_store_b32 v62, v63
.LBB2633_57:
	s_or_b32 exec_lo, exec_lo, s27
	v_mov_b32_e32 v62, 0
	s_mov_b32 s3, exec_lo
	s_wait_dscnt 0x0
	s_barrier_signal -1
	s_barrier_wait -1
	v_cmpx_lt_u32_e32 31, v14
; %bb.58:
	v_lshl_add_u32 v61, v61, 2, -4
	ds_load_b32 v62, v61
; %bb.59:
	s_or_b32 exec_lo, exec_lo, s3
	v_sub_co_u32 v61, vcc_lo, v15, 1
	s_wait_dscnt 0x0
	v_add_nc_u32_e32 v60, v62, v60
	s_delay_alu instid0(VALU_DEP_2) | instskip(NEXT) | instid1(VALU_DEP_1)
	v_cmp_gt_i32_e64 s3, 0, v61
	v_cndmask_b32_e64 v61, v61, v15, s3
	v_cmp_lt_u32_e64 s3, 0xff, v14
	s_delay_alu instid0(VALU_DEP_2) | instskip(SKIP_4) | instid1(VALU_DEP_2)
	v_lshlrev_b32_e32 v61, 2, v61
	ds_bpermute_b32 v60, v61, v60
	s_wait_dscnt 0x0
	v_cndmask_b32_e32 v60, v60, v62, vcc_lo
	v_cmp_gt_u32_e32 vcc_lo, 0x100, v14
	v_cndmask_b32_e64 v60, v60, 0, s2
	s_delay_alu instid0(VALU_DEP_1) | instskip(NEXT) | instid1(VALU_DEP_1)
	v_add_nc_u32_e32 v8, v60, v8
	v_add_nc_u32_e32 v9, v8, v9
	s_delay_alu instid0(VALU_DEP_1) | instskip(NEXT) | instid1(VALU_DEP_1)
	v_add_nc_u32_e32 v6, v9, v6
	v_add_nc_u32_e32 v7, v6, v7
	;; [unrolled: 3-line block ×4, first 2 shown]
	ds_store_2addr_b32 v10, v60, v8 offset0:16 offset1:17
	ds_store_2addr_b32 v10, v9, v6 offset0:18 offset1:19
	;; [unrolled: 1-line block ×4, first 2 shown]
	ds_store_b32 v10, v3 offset:96
	s_wait_dscnt 0x0
	s_barrier_signal -1
	s_barrier_wait -1
	ds_load_b32 v63, v11 offset:64
	ds_load_b32 v60, v12 offset:64
	;; [unrolled: 1-line block ×12, first 2 shown]
	v_mov_b64_e32 v[2:3], 0
                                        ; implicit-def: $vgpr4
	s_and_saveexec_b32 s5, vcc_lo
	s_cbranch_execz .LBB2633_63
; %bb.60:
	v_mul_u32_u24_e32 v2, 0x44, v14
	v_dual_mov_b32 v3, 0x1800 :: v_dual_add_nc_u32 v4, 1, v14
	s_mov_b32 s6, exec_lo
	ds_load_b32 v2, v2 offset:64
	v_cmpx_ne_u32_e32 0x100, v4
; %bb.61:
	v_mul_u32_u24_e32 v3, 0x44, v4
	ds_load_b32 v3, v3 offset:64
; %bb.62:
	s_or_b32 exec_lo, exec_lo, s6
	s_wait_dscnt 0x0
	v_dual_mov_b32 v3, 0 :: v_dual_sub_nc_u32 v4, v3, v2
.LBB2633_63:
	s_or_b32 exec_lo, exec_lo, s5
	v_dual_mov_b32 v7, 0 :: v_dual_lshlrev_b32 v5, 3, v14
	s_wait_dscnt 0x0
	s_barrier_signal -1
	s_barrier_wait -1
	s_and_saveexec_b32 s4, vcc_lo
	s_cbranch_execz .LBB2633_73
; %bb.64:
	v_lshl_add_u32 v6, s19, 8, v14
	v_dual_mov_b32 v10, 0 :: v_dual_bitop2_b32 v11, 2.0, v4 bitop3:0x54
	s_mov_b32 s5, 0
	s_mov_b32 s6, s19
	s_delay_alu instid0(VALU_DEP_2)
	v_lshl_add_u64 v[8:9], v[6:7], 2, s[20:21]
	global_store_b32 v6, v11, s[20:21] scale_offset scope:SCOPE_DEV
                                        ; implicit-def: $sgpr27
	s_branch .LBB2633_67
.LBB2633_65:                            ;   in Loop: Header=BB2633_67 Depth=1
	s_or_b32 exec_lo, exec_lo, s28
.LBB2633_66:                            ;   in Loop: Header=BB2633_67 Depth=1
	s_delay_alu instid0(SALU_CYCLE_1) | instskip(SKIP_2) | instid1(VALU_DEP_2)
	s_or_b32 exec_lo, exec_lo, s27
	v_and_b32_e32 v6, 0x3fffffff, v11
	v_cmp_gt_i32_e64 s27, -2.0, v11
	v_add_nc_u32_e32 v10, v6, v10
	s_and_b32 s28, exec_lo, s27
	s_delay_alu instid0(SALU_CYCLE_1) | instskip(NEXT) | instid1(SALU_CYCLE_1)
	s_or_b32 s5, s28, s5
	s_and_not1_b32 exec_lo, exec_lo, s5
	s_cbranch_execz .LBB2633_72
.LBB2633_67:                            ; =>This Loop Header: Depth=1
                                        ;     Child Loop BB2633_70 Depth 2
	s_or_b32 s27, s27, exec_lo
	s_cmp_eq_u32 s6, 0
	s_cbranch_scc1 .LBB2633_71
; %bb.68:                               ;   in Loop: Header=BB2633_67 Depth=1
	s_add_co_i32 s6, s6, -1
	s_mov_b32 s27, exec_lo
	s_wait_xcnt 0x0
	v_lshl_or_b32 v6, s6, 8, v14
	global_load_b32 v11, v6, s[20:21] scale_offset scope:SCOPE_DEV
	s_wait_loadcnt 0x0
	v_cmpx_gt_u32_e32 2.0, v11
	s_cbranch_execz .LBB2633_66
; %bb.69:                               ;   in Loop: Header=BB2633_67 Depth=1
	v_lshl_add_u64 v[12:13], v[6:7], 2, s[20:21]
	s_mov_b32 s28, 0
.LBB2633_70:                            ;   Parent Loop BB2633_67 Depth=1
                                        ; =>  This Inner Loop Header: Depth=2
	global_load_b32 v11, v[12:13], off scope:SCOPE_DEV
	s_wait_loadcnt 0x0
	v_cmp_lt_u32_e32 vcc_lo, 0x3fffffff, v11
	s_or_b32 s28, vcc_lo, s28
	s_wait_xcnt 0x0
	s_and_not1_b32 exec_lo, exec_lo, s28
	s_cbranch_execnz .LBB2633_70
	s_branch .LBB2633_65
.LBB2633_71:                            ;   in Loop: Header=BB2633_67 Depth=1
                                        ; implicit-def: $sgpr6
	s_and_b32 s28, exec_lo, s27
	s_delay_alu instid0(SALU_CYCLE_1)
	s_or_b32 s5, s28, s5
	s_wait_xcnt 0x0
	s_and_not1_b32 exec_lo, exec_lo, s5
	s_cbranch_execnz .LBB2633_67
.LBB2633_72:
	s_or_b32 exec_lo, exec_lo, s5
	v_dual_mov_b32 v11, 0 :: v_dual_add_nc_u32 v6, v10, v4
	s_delay_alu instid0(VALU_DEP_1) | instskip(SKIP_4) | instid1(VALU_DEP_1)
	v_or_b32_e32 v6, 0x80000000, v6
	global_store_b32 v[8:9], v6, off scope:SCOPE_DEV
	global_load_b64 v[6:7], v14, s[8:9] scale_offset
	v_sub_nc_u64_e32 v[8:9], v[10:11], v[2:3]
	s_wait_loadcnt 0x0
	v_add_nc_u64_e32 v[6:7], v[8:9], v[6:7]
	ds_store_b64 v5, v[6:7]
.LBB2633_73:
	s_wait_xcnt 0x0
	s_or_b32 exec_lo, exec_lo, s4
	v_dual_lshlrev_b32 v6, 2, v14 :: v_dual_add_nc_u32 v8, v63, v28
	v_mov_b32_e32 v7, 0
	v_add3_u32 v10, v55, v53, v54
	v_add3_u32 v9, v58, v56, v57
	s_delay_alu instid0(VALU_DEP_4)
	v_sub_nc_u32_e32 v53, 0, v6
	v_add3_u32 v11, v51, v52, v50
	v_add_nc_u64_e32 v[6:7], s[14:15], v[6:7]
	v_add3_u32 v12, v48, v49, v47
	v_add3_u32 v13, v45, v46, v44
	v_add3_u32 v28, v42, v43, v41
	v_add3_u32 v37, v39, v37, v38
	v_add3_u32 v35, v36, v40, v35
	v_add3_u32 v33, v34, v62, v33
	v_add_nc_u64_e32 v[6:7], 0x3800, v[6:7]
	v_add3_u32 v31, v32, v61, v31
	v_add3_u32 v29, v30, v60, v29
	v_add_nc_u32_e32 v30, 0xe00, v14
	v_add_nc_u32_e32 v32, v5, v53
	s_mov_b32 s4, 0
	s_mov_b32 s5, -1
	s_branch .LBB2633_75
.LBB2633_74:                            ;   in Loop: Header=BB2633_75 Depth=1
	s_wait_xcnt 0x0
	s_or_b32 exec_lo, exec_lo, s6
	v_add_nc_u64_e32 v[6:7], 0x4000, v[6:7]
	v_add_nc_u32_e32 v30, 0x1000, v30
	s_xor_b32 s5, s5, -1
	s_addk_co_i32 s4, 0xf000
	s_and_b32 vcc_lo, exec_lo, s5
	s_mov_b32 s5, 0
	s_wait_storecnt 0x0
	s_barrier_signal -1
	s_barrier_wait -1
	s_cbranch_vccnz .LBB2633_91
.LBB2633_75:                            ; =>This Inner Loop Header: Depth=1
	v_add_min_u32_e64 v34, v8, s4, 0x1000
	v_add_min_u32_e64 v36, v29, s4, 0x1000
	;; [unrolled: 1-line block ×5, first 2 shown]
	s_delay_alu instid0(VALU_DEP_4) | instskip(NEXT) | instid1(VALU_DEP_4)
	v_dual_lshlrev_b32 v34, 2, v34 :: v_dual_lshlrev_b32 v36, 2, v36
	v_lshlrev_b32_e32 v38, 2, v38
	v_add_min_u32_e64 v41, v37, s4, 0x1000
	s_mov_b32 s6, exec_lo
	ds_store_b32 v34, v17 offset:2048
	ds_store_b32 v36, v1 offset:2048
	v_add_min_u32_e64 v34, v28, s4, 0x1000
	v_lshlrev_b32_e32 v36, 2, v39
	ds_store_b32 v38, v19 offset:2048
	v_dual_lshlrev_b32 v38, 2, v40 :: v_dual_lshlrev_b32 v39, 2, v41
	v_add_min_u32_e64 v40, v13, s4, 0x1000
	v_lshlrev_b32_e32 v34, 2, v34
	ds_store_b32 v36, v18 offset:2048
	ds_store_b32 v38, v21 offset:2048
	;; [unrolled: 1-line block ×4, first 2 shown]
	v_add_min_u32_e64 v36, v12, s4, 0x1000
	v_add_min_u32_e64 v38, v11, s4, 0x1000
	v_lshlrev_b32_e32 v34, 2, v40
	v_add_min_u32_e64 v39, v10, s4, 0x1000
	v_add_min_u32_e64 v40, v9, s4, 0x1000
	ds_store_b32 v34, v22 offset:2048
	v_dual_lshlrev_b32 v34, 2, v36 :: v_dual_lshlrev_b32 v36, 2, v38
	v_dual_lshlrev_b32 v38, 2, v39 :: v_dual_lshlrev_b32 v39, 2, v40
	v_add_nc_u32_e32 v40, 0xfffff200, v30
	ds_store_b32 v34, v25 offset:2048
	ds_store_b32 v36, v24 offset:2048
	;; [unrolled: 1-line block ×4, first 2 shown]
	s_wait_storecnt_dscnt 0x0
	s_barrier_signal -1
	s_barrier_wait -1
	v_cmpx_gt_u32_e64 s18, v40
	s_cbranch_execz .LBB2633_77
; %bb.76:                               ;   in Loop: Header=BB2633_75 Depth=1
	ds_load_b32 v34, v32 offset:2048
	s_wait_dscnt 0x0
	v_lshrrev_b32_e32 v36, s16, v34
	v_not_b32_e32 v34, v34
	s_delay_alu instid0(VALU_DEP_2) | instskip(NEXT) | instid1(VALU_DEP_1)
	v_and_b32_e32 v36, s26, v36
	v_lshlrev_b32_e32 v36, 3, v36
	ds_load_b64 v[38:39], v36
	s_wait_dscnt 0x0
	v_lshl_add_u64 v[38:39], v[38:39], 2, v[6:7]
	global_store_b32 v[38:39], v34, off offset:-14336
.LBB2633_77:                            ;   in Loop: Header=BB2633_75 Depth=1
	s_wait_xcnt 0x0
	s_or_b32 exec_lo, exec_lo, s6
	v_add_nc_u32_e32 v34, 0xfffff400, v30
	s_mov_b32 s6, exec_lo
	s_delay_alu instid0(VALU_DEP_1)
	v_cmpx_gt_u32_e64 s18, v34
	s_cbranch_execz .LBB2633_79
; %bb.78:                               ;   in Loop: Header=BB2633_75 Depth=1
	ds_load_b32 v34, v32 offset:4096
	s_wait_dscnt 0x0
	v_lshrrev_b32_e32 v36, s16, v34
	v_not_b32_e32 v34, v34
	s_delay_alu instid0(VALU_DEP_2) | instskip(NEXT) | instid1(VALU_DEP_1)
	v_and_b32_e32 v36, s26, v36
	v_lshlrev_b32_e32 v36, 3, v36
	ds_load_b64 v[38:39], v36
	s_wait_dscnt 0x0
	v_lshl_add_u64 v[38:39], v[38:39], 2, v[6:7]
	global_store_b32 v[38:39], v34, off offset:-12288
.LBB2633_79:                            ;   in Loop: Header=BB2633_75 Depth=1
	s_wait_xcnt 0x0
	s_or_b32 exec_lo, exec_lo, s6
	v_add_nc_u32_e32 v34, 0xfffff600, v30
	s_mov_b32 s6, exec_lo
	s_delay_alu instid0(VALU_DEP_1)
	;; [unrolled: 20-line block ×6, first 2 shown]
	v_cmpx_gt_u32_e64 s18, v34
	s_cbranch_execz .LBB2633_89
; %bb.88:                               ;   in Loop: Header=BB2633_75 Depth=1
	ds_load_b32 v34, v32 offset:14336
	s_wait_dscnt 0x0
	v_lshrrev_b32_e32 v36, s16, v34
	v_not_b32_e32 v34, v34
	s_delay_alu instid0(VALU_DEP_2) | instskip(NEXT) | instid1(VALU_DEP_1)
	v_and_b32_e32 v36, s26, v36
	v_lshlrev_b32_e32 v36, 3, v36
	ds_load_b64 v[38:39], v36
	s_wait_dscnt 0x0
	v_lshl_add_u64 v[38:39], v[38:39], 2, v[6:7]
	global_store_b32 v[38:39], v34, off offset:-2048
.LBB2633_89:                            ;   in Loop: Header=BB2633_75 Depth=1
	s_wait_xcnt 0x0
	s_or_b32 exec_lo, exec_lo, s6
	s_delay_alu instid0(SALU_CYCLE_1)
	s_mov_b32 s6, exec_lo
	v_cmpx_gt_u32_e64 s18, v30
	s_cbranch_execz .LBB2633_74
; %bb.90:                               ;   in Loop: Header=BB2633_75 Depth=1
	ds_load_b32 v34, v32 offset:16384
	s_wait_dscnt 0x0
	v_lshrrev_b32_e32 v36, s16, v34
	v_not_b32_e32 v34, v34
	s_delay_alu instid0(VALU_DEP_2) | instskip(NEXT) | instid1(VALU_DEP_1)
	v_and_b32_e32 v36, s26, v36
	v_lshlrev_b32_e32 v36, 3, v36
	ds_load_b64 v[38:39], v36
	s_wait_dscnt 0x0
	v_lshl_add_u64 v[38:39], v[38:39], 2, v[6:7]
	global_store_b32 v[38:39], v34, off
	s_branch .LBB2633_74
.LBB2633_91:
	s_add_co_i32 s23, s23, -1
	s_delay_alu instid0(SALU_CYCLE_1) | instskip(SKIP_2) | instid1(SALU_CYCLE_1)
	s_cmp_eq_u32 s19, s23
	s_cselect_b32 s4, -1, 0
	s_xor_b32 s3, s3, -1
	s_and_b32 s4, s3, s4
	s_delay_alu instid0(SALU_CYCLE_1)
	s_and_saveexec_b32 s3, s4
	s_cbranch_execz .LBB2633_93
; %bb.92:
	ds_load_b64 v[6:7], v5
	v_mov_b32_e32 v5, 0
	s_delay_alu instid0(VALU_DEP_1) | instskip(SKIP_1) | instid1(VALU_DEP_1)
	v_add_nc_u64_e32 v[2:3], v[2:3], v[4:5]
	s_wait_dscnt 0x0
	v_add_nc_u64_e32 v[2:3], v[2:3], v[6:7]
	global_store_b64 v14, v[2:3], s[10:11] scale_offset
.LBB2633_93:
	s_wait_xcnt 0x0
	s_or_b32 exec_lo, exec_lo, s3
	s_mov_b32 s4, 0
.LBB2633_94:
	s_delay_alu instid0(SALU_CYCLE_1)
	s_and_b32 vcc_lo, exec_lo, s4
	s_cbranch_vccz .LBB2633_153
; %bb.95:
	s_mov_b32 s23, 0
	v_dual_mov_b32 v11, 0 :: v_dual_lshlrev_b32 v10, 2, v15
	s_lshl_b64 s[4:5], s[22:23], 2
	v_mul_u32_u24_e32 v1, 12, v16
	s_add_nc_u64 s[4:5], s[12:13], s[4:5]
	s_bfe_u32 s3, ttmp6, 0x4000c
	v_add_nc_u64_e32 v[2:3], s[4:5], v[10:11]
	s_add_co_i32 s3, s3, 1
	v_lshlrev_b32_e32 v10, 2, v1
	s_and_b32 s4, ttmp6, 15
	s_mul_i32 s3, ttmp9, s3
	s_delay_alu instid0(SALU_CYCLE_1) | instskip(NEXT) | instid1(VALU_DEP_1)
	s_add_co_i32 s4, s4, s3
	v_add_nc_u64_e32 v[18:19], v[2:3], v[10:11]
	s_cmp_eq_u32 s7, 0
	s_clause 0xb
	global_load_b32 v5, v[18:19], off
	global_load_b32 v12, v[18:19], off offset:128
	global_load_b32 v13, v[18:19], off offset:256
	;; [unrolled: 1-line block ×11, first 2 shown]
	s_load_b32 s12, s[0:1], 0x58
	s_cselect_b32 s3, ttmp9, s4
	s_load_u16 s4, s[0:1], 0x66
	s_wait_kmcnt 0x0
	s_cmp_lt_u32 s3, s12
	s_cselect_b32 s22, 12, 18
	s_lshl_b32 s13, -1, s17
	s_add_nc_u64 s[0:1], s[24:25], s[22:23]
	s_load_u16 s0, s[0:1], 0x0
	s_wait_loadcnt 0xb
	v_not_b32_e32 v17, v5
	v_bfe_u32 v5, v0, 10, 10
	v_bfe_u32 v0, v0, 20, 10
	s_delay_alu instid0(VALU_DEP_3) | instskip(NEXT) | instid1(VALU_DEP_2)
	v_lshrrev_b32_e32 v10, s16, v17
	v_mad_u32_u24 v0, v0, s4, v5
	s_delay_alu instid0(VALU_DEP_2) | instskip(SKIP_1) | instid1(VALU_DEP_2)
	v_bitop3_b32 v19, v10, s13, v10 bitop3:0x30
	s_wait_kmcnt 0x0
	v_mad_u32 v0, v0, s0, v14
	s_delay_alu instid0(VALU_DEP_2) | instskip(SKIP_4) | instid1(VALU_DEP_4)
	v_lshlrev_b32_e32 v21, 29, v19
	v_bitop3_b32 v5, v10, 1, s13 bitop3:0x40
	v_dual_lshlrev_b32 v18, 30, v19 :: v_dual_lshlrev_b32 v22, 28, v19
	v_dual_lshlrev_b32 v23, 27, v19 :: v_dual_lshlrev_b32 v24, 26, v19
	v_lshlrev_b32_e32 v25, 25, v19
	v_add_co_u32 v5, s0, v5, -1
	s_delay_alu instid0(VALU_DEP_1)
	v_cndmask_b32_e64 v10, 0, 1, s0
	v_cmp_gt_i32_e64 s0, 0, v18
	v_cmp_gt_i32_e64 s1, 0, v21
	;; [unrolled: 1-line block ×4, first 2 shown]
	v_cmp_ne_u32_e32 vcc_lo, 0, v10
	v_not_b32_e32 v10, v18
	v_lshlrev_b32_e32 v26, 24, v19
	v_not_b32_e32 v18, v21
	v_not_b32_e32 v21, v22
	;; [unrolled: 1-line block ×3, first 2 shown]
	v_ashrrev_i32_e32 v10, 31, v10
	v_not_b32_e32 v23, v24
	v_dual_ashrrev_i32 v18, 31, v18 :: v_dual_bitop2_b32 v5, vcc_lo, v5 bitop3:0x14
	s_delay_alu instid0(VALU_DEP_3)
	v_dual_ashrrev_i32 v21, 31, v21 :: v_dual_bitop2_b32 v10, s0, v10 bitop3:0x14
	v_cmp_gt_i32_e64 s5, 0, v24
	v_cmp_gt_i32_e64 s6, 0, v25
	v_not_b32_e32 v24, v25
	v_not_b32_e32 v25, v26
	v_dual_ashrrev_i32 v22, 31, v22 :: v_dual_ashrrev_i32 v23, 31, v23
	v_xor_b32_e32 v18, s1, v18
	v_dual_lshrrev_b32 v0, 5, v0 :: v_dual_bitop2_b32 v21, s3, v21 bitop3:0x14
	v_bitop3_b32 v5, v5, v10, exec_lo bitop3:0x80
	v_cmp_gt_i32_e64 s7, 0, v26
	v_dual_ashrrev_i32 v10, 31, v24 :: v_dual_ashrrev_i32 v24, 31, v25
	v_xor_b32_e32 v22, s4, v22
	v_dual_lshlrev_b32 v0, 2, v0 :: v_dual_bitop2_b32 v23, s5, v23 bitop3:0x14
	v_bitop3_b32 v5, v5, v21, v18 bitop3:0x80
	s_delay_alu instid0(VALU_DEP_4)
	v_xor_b32_e32 v18, s6, v10
	v_xor_b32_e32 v21, s7, v24
	v_mul_u32_u24_e32 v10, 36, v14
	ds_store_2addr_b32 v10, v11, v11 offset0:16 offset1:17
	ds_store_2addr_b32 v10, v11, v11 offset0:18 offset1:19
	ds_store_2addr_b32 v10, v11, v11 offset0:20 offset1:21
	ds_store_2addr_b32 v10, v11, v11 offset0:22 offset1:23
	v_bitop3_b32 v5, v5, v23, v22 bitop3:0x80
	ds_store_b32 v10, v11 offset:96
	v_mad_u32 v11, 0x44, v19, v0
	s_not_b32 s6, s13
	s_wait_storecnt 0x0
	s_wait_loadcnt_dscnt 0x0
	v_bitop3_b32 v18, v5, v21, v18 bitop3:0x80
	s_barrier_signal -1
	s_barrier_wait -1
	s_delay_alu instid0(VALU_DEP_1) | instskip(SKIP_1) | instid1(VALU_DEP_2)
	v_mbcnt_lo_u32_b32 v5, v18, 0
	v_cmp_ne_u32_e64 s0, 0, v18
	; wave barrier
	v_cmp_eq_u32_e32 vcc_lo, 0, v5
	s_and_b32 s1, s0, vcc_lo
	s_delay_alu instid0(SALU_CYCLE_1)
	s_and_saveexec_b32 s0, s1
; %bb.96:
	v_bcnt_u32_b32 v18, v18, 0
	ds_store_b32 v11, v18 offset:64
; %bb.97:
	s_or_b32 exec_lo, exec_lo, s0
	v_not_b32_e32 v18, v12
	; wave barrier
	s_delay_alu instid0(VALU_DEP_1) | instskip(NEXT) | instid1(VALU_DEP_1)
	v_lshrrev_b32_e32 v12, s16, v18
	v_and_b32_e32 v19, s6, v12
	s_delay_alu instid0(VALU_DEP_1) | instskip(SKIP_1) | instid1(VALU_DEP_1)
	v_lshlrev_b32_e32 v23, 30, v19
	v_bitop3_b32 v21, v12, 1, s6 bitop3:0x80
	v_add_co_u32 v21, s0, v21, -1
	s_delay_alu instid0(VALU_DEP_1) | instskip(NEXT) | instid1(VALU_DEP_4)
	v_cndmask_b32_e64 v22, 0, 1, s0
	v_cmp_gt_i32_e64 s0, 0, v23
	s_delay_alu instid0(VALU_DEP_2) | instskip(SKIP_1) | instid1(VALU_DEP_1)
	v_cmp_ne_u32_e32 vcc_lo, 0, v22
	v_not_b32_e32 v22, v23
	v_dual_ashrrev_i32 v22, 31, v22 :: v_dual_lshlrev_b32 v24, 29, v19
	v_dual_lshlrev_b32 v25, 28, v19 :: v_dual_lshlrev_b32 v26, 27, v19
	v_lshlrev_b32_e32 v27, 26, v19
	v_mad_u32 v12, 0x44, v19, v0
	s_delay_alu instid0(VALU_DEP_4)
	v_cmp_gt_i32_e64 s1, 0, v24
	v_not_b32_e32 v23, v24
	v_not_b32_e32 v24, v25
	v_dual_lshlrev_b32 v28, 25, v19 :: v_dual_lshlrev_b32 v19, 24, v19
	v_cmp_gt_i32_e64 s3, 0, v25
	v_cmp_gt_i32_e64 s4, 0, v26
	v_not_b32_e32 v25, v26
	v_not_b32_e32 v26, v27
	v_dual_ashrrev_i32 v23, 31, v23 :: v_dual_bitop2_b32 v21, vcc_lo, v21 bitop3:0x14
	v_dual_ashrrev_i32 v24, 31, v24 :: v_dual_bitop2_b32 v22, s0, v22 bitop3:0x14
	v_cmp_gt_i32_e64 s5, 0, v27
	s_delay_alu instid0(VALU_DEP_4) | instskip(SKIP_1) | instid1(VALU_DEP_4)
	v_dual_ashrrev_i32 v25, 31, v25 :: v_dual_ashrrev_i32 v26, 31, v26
	v_not_b32_e32 v27, v19
	v_xor_b32_e32 v24, s3, v24
	v_bitop3_b32 v21, v21, v22, exec_lo bitop3:0x80
	v_not_b32_e32 v22, v28
	v_xor_b32_e32 v23, s1, v23
	v_xor_b32_e32 v25, s4, v25
	;; [unrolled: 1-line block ×3, first 2 shown]
	v_cmp_gt_i32_e32 vcc_lo, 0, v28
	v_ashrrev_i32_e32 v22, 31, v22
	v_cmp_gt_i32_e64 s0, 0, v19
	v_ashrrev_i32_e32 v19, 31, v27
	v_bitop3_b32 v21, v21, v24, v23 bitop3:0x80
	s_delay_alu instid0(VALU_DEP_4) | instskip(NEXT) | instid1(VALU_DEP_3)
	v_xor_b32_e32 v22, vcc_lo, v22
	v_xor_b32_e32 v19, s0, v19
	s_delay_alu instid0(VALU_DEP_3) | instskip(SKIP_2) | instid1(VALU_DEP_1)
	v_bitop3_b32 v23, v21, v26, v25 bitop3:0x80
	ds_load_b32 v21, v12 offset:64
	; wave barrier
	v_bitop3_b32 v19, v23, v19, v22 bitop3:0x80
	v_mbcnt_lo_u32_b32 v22, v19, 0
	v_cmp_ne_u32_e64 s0, 0, v19
	s_delay_alu instid0(VALU_DEP_2) | instskip(SKIP_1) | instid1(SALU_CYCLE_1)
	v_cmp_eq_u32_e32 vcc_lo, 0, v22
	s_and_b32 s1, s0, vcc_lo
	s_and_saveexec_b32 s0, s1
	s_cbranch_execz .LBB2633_99
; %bb.98:
	s_wait_dscnt 0x0
	v_bcnt_u32_b32 v19, v19, v21
	ds_store_b32 v12, v19 offset:64
.LBB2633_99:
	s_or_b32 exec_lo, exec_lo, s0
	v_not_b32_e32 v19, v13
	; wave barrier
	s_delay_alu instid0(VALU_DEP_1) | instskip(NEXT) | instid1(VALU_DEP_1)
	v_lshrrev_b32_e32 v13, s16, v19
	v_bitop3_b32 v24, v13, 1, s6 bitop3:0x80
	v_and_b32_e32 v23, s6, v13
	s_delay_alu instid0(VALU_DEP_2) | instskip(NEXT) | instid1(VALU_DEP_1)
	v_add_co_u32 v24, s0, v24, -1
	v_cndmask_b32_e64 v25, 0, 1, s0
	s_delay_alu instid0(VALU_DEP_3) | instskip(NEXT) | instid1(VALU_DEP_2)
	v_dual_lshlrev_b32 v26, 30, v23 :: v_dual_lshlrev_b32 v27, 29, v23
	v_cmp_ne_u32_e32 vcc_lo, 0, v25
	s_delay_alu instid0(VALU_DEP_2) | instskip(SKIP_1) | instid1(VALU_DEP_4)
	v_cmp_gt_i32_e64 s0, 0, v26
	v_not_b32_e32 v25, v26
	v_not_b32_e32 v26, v27
	v_cmp_gt_i32_e64 s1, 0, v27
	s_delay_alu instid0(VALU_DEP_3) | instskip(NEXT) | instid1(VALU_DEP_3)
	v_dual_ashrrev_i32 v25, 31, v25 :: v_dual_bitop2_b32 v24, vcc_lo, v24 bitop3:0x14
	v_dual_ashrrev_i32 v26, 31, v26 :: v_dual_lshlrev_b32 v28, 28, v23
	v_dual_lshlrev_b32 v29, 27, v23 :: v_dual_lshlrev_b32 v30, 26, v23
	v_lshlrev_b32_e32 v31, 25, v23
	v_mad_u32 v13, 0x44, v23, v0
	s_delay_alu instid0(VALU_DEP_4)
	v_not_b32_e32 v27, v28
	v_lshlrev_b32_e32 v23, 24, v23
	v_cmp_gt_i32_e64 s3, 0, v28
	v_cmp_gt_i32_e64 s4, 0, v29
	v_not_b32_e32 v28, v29
	v_not_b32_e32 v29, v30
	v_dual_ashrrev_i32 v27, 31, v27 :: v_dual_bitop2_b32 v25, s0, v25 bitop3:0x14
	v_cmp_gt_i32_e64 s5, 0, v30
	s_delay_alu instid0(VALU_DEP_3) | instskip(SKIP_1) | instid1(VALU_DEP_4)
	v_dual_ashrrev_i32 v28, 31, v28 :: v_dual_ashrrev_i32 v29, 31, v29
	v_not_b32_e32 v30, v23
	v_xor_b32_e32 v27, s3, v27
	v_bitop3_b32 v24, v24, v25, exec_lo bitop3:0x80
	v_not_b32_e32 v25, v31
	v_xor_b32_e32 v26, s1, v26
	v_xor_b32_e32 v28, s4, v28
	;; [unrolled: 1-line block ×3, first 2 shown]
	v_cmp_gt_i32_e32 vcc_lo, 0, v31
	v_ashrrev_i32_e32 v25, 31, v25
	v_cmp_gt_i32_e64 s0, 0, v23
	v_ashrrev_i32_e32 v23, 31, v30
	v_bitop3_b32 v24, v24, v27, v26 bitop3:0x80
	s_delay_alu instid0(VALU_DEP_4) | instskip(NEXT) | instid1(VALU_DEP_3)
	v_xor_b32_e32 v25, vcc_lo, v25
	v_xor_b32_e32 v23, s0, v23
	s_delay_alu instid0(VALU_DEP_3) | instskip(SKIP_2) | instid1(VALU_DEP_1)
	v_bitop3_b32 v26, v24, v29, v28 bitop3:0x80
	ds_load_b32 v24, v13 offset:64
	; wave barrier
	v_bitop3_b32 v23, v26, v23, v25 bitop3:0x80
	v_mbcnt_lo_u32_b32 v25, v23, 0
	v_cmp_ne_u32_e64 s0, 0, v23
	s_delay_alu instid0(VALU_DEP_2) | instskip(SKIP_1) | instid1(SALU_CYCLE_1)
	v_cmp_eq_u32_e32 vcc_lo, 0, v25
	s_and_b32 s1, s0, vcc_lo
	s_and_saveexec_b32 s0, s1
	s_cbranch_execz .LBB2633_101
; %bb.100:
	s_wait_dscnt 0x0
	v_bcnt_u32_b32 v23, v23, v24
	ds_store_b32 v13, v23 offset:64
.LBB2633_101:
	s_or_b32 exec_lo, exec_lo, s0
	v_not_b32_e32 v20, v20
	; wave barrier
	s_delay_alu instid0(VALU_DEP_1) | instskip(NEXT) | instid1(VALU_DEP_1)
	v_lshrrev_b32_e32 v23, s16, v20
	v_and_b32_e32 v26, s6, v23
	s_delay_alu instid0(VALU_DEP_1) | instskip(SKIP_2) | instid1(VALU_DEP_2)
	v_lshlrev_b32_e32 v28, 30, v26
	v_bitop3_b32 v23, v23, 1, s6 bitop3:0x80
	v_lshlrev_b32_e32 v29, 29, v26
	v_add_co_u32 v23, s0, v23, -1
	s_delay_alu instid0(VALU_DEP_1) | instskip(SKIP_1) | instid1(VALU_DEP_2)
	v_cndmask_b32_e64 v27, 0, 1, s0
	v_cmp_gt_i32_e64 s0, 0, v28
	v_cmp_ne_u32_e32 vcc_lo, 0, v27
	v_not_b32_e32 v27, v28
	v_not_b32_e32 v28, v29
	s_delay_alu instid0(VALU_DEP_1)
	v_dual_ashrrev_i32 v28, 31, v28 :: v_dual_lshlrev_b32 v30, 28, v26
	v_mad_u32 v33, 0x44, v26, v0
	v_dual_lshlrev_b32 v31, 27, v26 :: v_dual_lshlrev_b32 v32, 26, v26
	v_dual_lshlrev_b32 v34, 25, v26 :: v_dual_lshlrev_b32 v26, 24, v26
	v_cmp_gt_i32_e64 s1, 0, v29
	v_not_b32_e32 v29, v30
	v_ashrrev_i32_e32 v27, 31, v27
	v_cmp_gt_i32_e64 s3, 0, v30
	v_cmp_gt_i32_e64 s4, 0, v31
	v_not_b32_e32 v30, v31
	v_cmp_gt_i32_e64 s5, 0, v32
	v_not_b32_e32 v31, v32
	v_dual_ashrrev_i32 v29, 31, v29 :: v_dual_bitop2_b32 v23, vcc_lo, v23 bitop3:0x14
	v_not_b32_e32 v32, v26
	v_dual_ashrrev_i32 v30, 31, v30 :: v_dual_bitop2_b32 v27, s0, v27 bitop3:0x14
	s_delay_alu instid0(VALU_DEP_4) | instskip(SKIP_1) | instid1(VALU_DEP_4)
	v_dual_ashrrev_i32 v31, 31, v31 :: v_dual_bitop2_b32 v28, s1, v28 bitop3:0x14
	v_cmp_gt_i32_e64 s0, 0, v26
	v_ashrrev_i32_e32 v26, 31, v32
	s_delay_alu instid0(VALU_DEP_4)
	v_bitop3_b32 v23, v23, v27, exec_lo bitop3:0x80
	v_not_b32_e32 v27, v34
	v_xor_b32_e32 v29, s3, v29
	v_xor_b32_e32 v30, s4, v30
	;; [unrolled: 1-line block ×3, first 2 shown]
	v_cmp_gt_i32_e32 vcc_lo, 0, v34
	v_ashrrev_i32_e32 v27, 31, v27
	v_bitop3_b32 v23, v23, v29, v28 bitop3:0x80
	v_xor_b32_e32 v26, s0, v26
	s_delay_alu instid0(VALU_DEP_3) | instskip(NEXT) | instid1(VALU_DEP_3)
	v_xor_b32_e32 v28, vcc_lo, v27
	v_bitop3_b32 v23, v23, v31, v30 bitop3:0x80
	ds_load_b32 v27, v33 offset:64
	; wave barrier
	v_bitop3_b32 v23, v23, v26, v28 bitop3:0x80
	s_delay_alu instid0(VALU_DEP_1) | instskip(SKIP_1) | instid1(VALU_DEP_2)
	v_mbcnt_lo_u32_b32 v28, v23, 0
	v_cmp_ne_u32_e64 s0, 0, v23
	v_cmp_eq_u32_e32 vcc_lo, 0, v28
	s_and_b32 s1, s0, vcc_lo
	s_delay_alu instid0(SALU_CYCLE_1)
	s_and_saveexec_b32 s0, s1
	s_cbranch_execz .LBB2633_103
; %bb.102:
	s_wait_dscnt 0x0
	v_bcnt_u32_b32 v23, v23, v27
	ds_store_b32 v33, v23 offset:64
.LBB2633_103:
	s_or_b32 exec_lo, exec_lo, s0
	v_not_b32_e32 v23, v9
	; wave barrier
	s_delay_alu instid0(VALU_DEP_1) | instskip(NEXT) | instid1(VALU_DEP_1)
	v_lshrrev_b32_e32 v9, s16, v23
	v_and_b32_e32 v26, s6, v9
	s_delay_alu instid0(VALU_DEP_1) | instskip(SKIP_2) | instid1(VALU_DEP_2)
	v_lshlrev_b32_e32 v30, 30, v26
	v_bitop3_b32 v9, v9, 1, s6 bitop3:0x80
	v_lshlrev_b32_e32 v31, 29, v26
	v_add_co_u32 v9, s0, v9, -1
	s_delay_alu instid0(VALU_DEP_1) | instskip(SKIP_1) | instid1(VALU_DEP_2)
	v_cndmask_b32_e64 v29, 0, 1, s0
	v_cmp_gt_i32_e64 s0, 0, v30
	v_cmp_ne_u32_e32 vcc_lo, 0, v29
	v_not_b32_e32 v29, v30
	v_not_b32_e32 v30, v31
	s_delay_alu instid0(VALU_DEP_1) | instskip(SKIP_4) | instid1(VALU_DEP_4)
	v_ashrrev_i32_e32 v30, 31, v30
	v_dual_lshlrev_b32 v32, 28, v26 :: v_dual_lshlrev_b32 v34, 27, v26
	v_lshlrev_b32_e32 v35, 26, v26
	v_cmp_gt_i32_e64 s1, 0, v31
	v_mad_u32 v37, 0x44, v26, v0
	v_not_b32_e32 v31, v32
	v_dual_ashrrev_i32 v29, 31, v29 :: v_dual_lshlrev_b32 v36, 25, v26
	v_lshlrev_b32_e32 v26, 24, v26
	v_cmp_gt_i32_e64 s3, 0, v32
	v_cmp_gt_i32_e64 s4, 0, v34
	v_not_b32_e32 v32, v34
	v_not_b32_e32 v34, v35
	v_dual_ashrrev_i32 v31, 31, v31 :: v_dual_bitop2_b32 v9, vcc_lo, v9 bitop3:0x14
	v_xor_b32_e32 v29, s0, v29
	v_cmp_gt_i32_e64 s5, 0, v35
	s_delay_alu instid0(VALU_DEP_4) | instskip(NEXT) | instid1(VALU_DEP_4)
	v_dual_ashrrev_i32 v32, 31, v32 :: v_dual_ashrrev_i32 v34, 31, v34
	v_xor_b32_e32 v31, s3, v31
	s_delay_alu instid0(VALU_DEP_4)
	v_bitop3_b32 v9, v9, v29, exec_lo bitop3:0x80
	v_not_b32_e32 v29, v36
	v_xor_b32_e32 v30, s1, v30
	v_not_b32_e32 v35, v26
	v_xor_b32_e32 v32, s4, v32
	v_xor_b32_e32 v34, s5, v34
	v_cmp_gt_i32_e32 vcc_lo, 0, v36
	v_ashrrev_i32_e32 v29, 31, v29
	v_bitop3_b32 v9, v9, v31, v30 bitop3:0x80
	v_cmp_gt_i32_e64 s0, 0, v26
	v_ashrrev_i32_e32 v26, 31, v35
	ds_load_b32 v30, v37 offset:64
	v_xor_b32_e32 v29, vcc_lo, v29
	v_bitop3_b32 v9, v9, v34, v32 bitop3:0x80
	v_xor_b32_e32 v26, s0, v26
	; wave barrier
	s_delay_alu instid0(VALU_DEP_1) | instskip(NEXT) | instid1(VALU_DEP_1)
	v_bitop3_b32 v9, v9, v26, v29 bitop3:0x80
	v_mbcnt_lo_u32_b32 v31, v9, 0
	v_cmp_ne_u32_e64 s0, 0, v9
	s_delay_alu instid0(VALU_DEP_2) | instskip(SKIP_1) | instid1(SALU_CYCLE_1)
	v_cmp_eq_u32_e32 vcc_lo, 0, v31
	s_and_b32 s1, s0, vcc_lo
	s_and_saveexec_b32 s0, s1
	s_cbranch_execz .LBB2633_105
; %bb.104:
	s_wait_dscnt 0x0
	v_bcnt_u32_b32 v9, v9, v30
	ds_store_b32 v37, v9 offset:64
.LBB2633_105:
	s_or_b32 exec_lo, exec_lo, s0
	v_not_b32_e32 v26, v8
	; wave barrier
	s_delay_alu instid0(VALU_DEP_1) | instskip(NEXT) | instid1(VALU_DEP_1)
	v_lshrrev_b32_e32 v8, s16, v26
	v_and_b32_e32 v9, s6, v8
	s_delay_alu instid0(VALU_DEP_1) | instskip(SKIP_1) | instid1(VALU_DEP_1)
	v_lshlrev_b32_e32 v32, 30, v9
	v_bitop3_b32 v8, v8, 1, s6 bitop3:0x80
	v_add_co_u32 v8, s0, v8, -1
	s_delay_alu instid0(VALU_DEP_1) | instskip(NEXT) | instid1(VALU_DEP_4)
	v_cndmask_b32_e64 v29, 0, 1, s0
	v_cmp_gt_i32_e64 s0, 0, v32
	s_delay_alu instid0(VALU_DEP_2) | instskip(SKIP_1) | instid1(VALU_DEP_1)
	v_cmp_ne_u32_e32 vcc_lo, 0, v29
	v_not_b32_e32 v29, v32
	v_ashrrev_i32_e32 v29, 31, v29
	v_dual_lshlrev_b32 v34, 29, v9 :: v_dual_lshlrev_b32 v35, 28, v9
	v_dual_lshlrev_b32 v36, 27, v9 :: v_dual_lshlrev_b32 v38, 26, v9
	v_mad_u32 v40, 0x44, v9, v0
	s_delay_alu instid0(VALU_DEP_3)
	v_cmp_gt_i32_e64 s1, 0, v34
	v_not_b32_e32 v32, v34
	v_not_b32_e32 v34, v35
	v_dual_lshlrev_b32 v39, 25, v9 :: v_dual_lshlrev_b32 v9, 24, v9
	v_cmp_gt_i32_e64 s3, 0, v35
	v_cmp_gt_i32_e64 s4, 0, v36
	v_not_b32_e32 v35, v36
	v_not_b32_e32 v36, v38
	v_dual_ashrrev_i32 v34, 31, v34 :: v_dual_bitop2_b32 v8, vcc_lo, v8 bitop3:0x14
	v_dual_ashrrev_i32 v32, 31, v32 :: v_dual_bitop2_b32 v29, s0, v29 bitop3:0x14
	v_cmp_gt_i32_e64 s5, 0, v38
	s_delay_alu instid0(VALU_DEP_4) | instskip(NEXT) | instid1(VALU_DEP_4)
	v_dual_ashrrev_i32 v35, 31, v35 :: v_dual_ashrrev_i32 v36, 31, v36
	v_xor_b32_e32 v34, s3, v34
	s_delay_alu instid0(VALU_DEP_4)
	v_bitop3_b32 v8, v8, v29, exec_lo bitop3:0x80
	v_not_b32_e32 v29, v39
	v_xor_b32_e32 v32, s1, v32
	v_not_b32_e32 v38, v9
	v_xor_b32_e32 v35, s4, v35
	v_xor_b32_e32 v36, s5, v36
	v_cmp_gt_i32_e32 vcc_lo, 0, v39
	v_ashrrev_i32_e32 v29, 31, v29
	v_bitop3_b32 v8, v8, v34, v32 bitop3:0x80
	v_cmp_gt_i32_e64 s0, 0, v9
	v_ashrrev_i32_e32 v9, 31, v38
	ds_load_b32 v34, v40 offset:64
	v_xor_b32_e32 v29, vcc_lo, v29
	v_bitop3_b32 v8, v8, v36, v35 bitop3:0x80
	v_xor_b32_e32 v9, s0, v9
	; wave barrier
	s_delay_alu instid0(VALU_DEP_1) | instskip(NEXT) | instid1(VALU_DEP_1)
	v_bitop3_b32 v8, v8, v9, v29 bitop3:0x80
	v_mbcnt_lo_u32_b32 v35, v8, 0
	v_cmp_ne_u32_e64 s0, 0, v8
	s_delay_alu instid0(VALU_DEP_2) | instskip(SKIP_1) | instid1(SALU_CYCLE_1)
	v_cmp_eq_u32_e32 vcc_lo, 0, v35
	s_and_b32 s1, s0, vcc_lo
	s_and_saveexec_b32 s0, s1
	s_cbranch_execz .LBB2633_107
; %bb.106:
	s_wait_dscnt 0x0
	v_bcnt_u32_b32 v8, v8, v34
	ds_store_b32 v40, v8 offset:64
.LBB2633_107:
	s_or_b32 exec_lo, exec_lo, s0
	v_not_b32_e32 v29, v7
	; wave barrier
	s_delay_alu instid0(VALU_DEP_1) | instskip(NEXT) | instid1(VALU_DEP_1)
	v_lshrrev_b32_e32 v7, s16, v29
	v_and_b32_e32 v8, s6, v7
	s_delay_alu instid0(VALU_DEP_1) | instskip(SKIP_1) | instid1(VALU_DEP_1)
	v_lshlrev_b32_e32 v32, 30, v8
	v_bitop3_b32 v7, v7, 1, s6 bitop3:0x80
	v_add_co_u32 v7, s0, v7, -1
	s_delay_alu instid0(VALU_DEP_1) | instskip(NEXT) | instid1(VALU_DEP_4)
	v_cndmask_b32_e64 v9, 0, 1, s0
	v_cmp_gt_i32_e64 s0, 0, v32
	s_delay_alu instid0(VALU_DEP_2) | instskip(SKIP_1) | instid1(VALU_DEP_1)
	v_cmp_ne_u32_e32 vcc_lo, 0, v9
	v_not_b32_e32 v9, v32
	v_dual_ashrrev_i32 v9, 31, v9 :: v_dual_lshlrev_b32 v36, 29, v8
	v_dual_lshlrev_b32 v38, 28, v8 :: v_dual_lshlrev_b32 v39, 27, v8
	v_lshlrev_b32_e32 v41, 26, v8
	v_mad_u32 v44, 0x44, v8, v0
	s_delay_alu instid0(VALU_DEP_4)
	v_cmp_gt_i32_e64 s1, 0, v36
	v_not_b32_e32 v32, v36
	v_not_b32_e32 v36, v38
	v_dual_lshlrev_b32 v42, 25, v8 :: v_dual_lshlrev_b32 v8, 24, v8
	v_cmp_gt_i32_e64 s3, 0, v38
	v_cmp_gt_i32_e64 s4, 0, v39
	v_not_b32_e32 v38, v39
	v_not_b32_e32 v39, v41
	v_dual_ashrrev_i32 v32, 31, v32 :: v_dual_bitop2_b32 v7, vcc_lo, v7 bitop3:0x14
	v_dual_ashrrev_i32 v36, 31, v36 :: v_dual_bitop2_b32 v9, s0, v9 bitop3:0x14
	v_cmp_gt_i32_e64 s5, 0, v41
	s_delay_alu instid0(VALU_DEP_4) | instskip(SKIP_1) | instid1(VALU_DEP_4)
	v_dual_ashrrev_i32 v38, 31, v38 :: v_dual_ashrrev_i32 v39, 31, v39
	v_not_b32_e32 v41, v8
	v_xor_b32_e32 v36, s3, v36
	v_bitop3_b32 v7, v7, v9, exec_lo bitop3:0x80
	v_not_b32_e32 v9, v42
	v_xor_b32_e32 v32, s1, v32
	v_xor_b32_e32 v38, s4, v38
	;; [unrolled: 1-line block ×3, first 2 shown]
	v_cmp_gt_i32_e32 vcc_lo, 0, v42
	v_ashrrev_i32_e32 v9, 31, v9
	v_cmp_gt_i32_e64 s0, 0, v8
	v_ashrrev_i32_e32 v8, 31, v41
	v_bitop3_b32 v7, v7, v36, v32 bitop3:0x80
	s_delay_alu instid0(VALU_DEP_4) | instskip(NEXT) | instid1(VALU_DEP_3)
	v_xor_b32_e32 v9, vcc_lo, v9
	v_xor_b32_e32 v8, s0, v8
	s_delay_alu instid0(VALU_DEP_3) | instskip(SKIP_2) | instid1(VALU_DEP_1)
	v_bitop3_b32 v7, v7, v39, v38 bitop3:0x80
	ds_load_b32 v38, v44 offset:64
	; wave barrier
	v_bitop3_b32 v7, v7, v8, v9 bitop3:0x80
	v_mbcnt_lo_u32_b32 v39, v7, 0
	v_cmp_ne_u32_e64 s0, 0, v7
	s_delay_alu instid0(VALU_DEP_2) | instskip(SKIP_1) | instid1(SALU_CYCLE_1)
	v_cmp_eq_u32_e32 vcc_lo, 0, v39
	s_and_b32 s1, s0, vcc_lo
	s_and_saveexec_b32 s0, s1
	s_cbranch_execz .LBB2633_109
; %bb.108:
	s_wait_dscnt 0x0
	v_bcnt_u32_b32 v7, v7, v38
	ds_store_b32 v44, v7 offset:64
.LBB2633_109:
	s_or_b32 exec_lo, exec_lo, s0
	v_not_b32_e32 v32, v6
	; wave barrier
	s_delay_alu instid0(VALU_DEP_1) | instskip(NEXT) | instid1(VALU_DEP_1)
	v_lshrrev_b32_e32 v6, s16, v32
	v_and_b32_e32 v7, s6, v6
	s_delay_alu instid0(VALU_DEP_1) | instskip(SKIP_1) | instid1(VALU_DEP_1)
	v_lshlrev_b32_e32 v9, 30, v7
	v_bitop3_b32 v6, v6, 1, s6 bitop3:0x80
	v_add_co_u32 v6, s0, v6, -1
	s_delay_alu instid0(VALU_DEP_1) | instskip(NEXT) | instid1(VALU_DEP_4)
	v_cndmask_b32_e64 v8, 0, 1, s0
	v_cmp_gt_i32_e64 s0, 0, v9
	s_delay_alu instid0(VALU_DEP_2) | instskip(SKIP_1) | instid1(VALU_DEP_1)
	v_cmp_ne_u32_e32 vcc_lo, 0, v8
	v_not_b32_e32 v8, v9
	v_dual_ashrrev_i32 v8, 31, v8 :: v_dual_lshlrev_b32 v36, 29, v7
	v_dual_lshlrev_b32 v41, 28, v7 :: v_dual_lshlrev_b32 v42, 27, v7
	v_lshlrev_b32_e32 v43, 26, v7
	v_mad_u32 v47, 0x44, v7, v0
	s_delay_alu instid0(VALU_DEP_4)
	v_cmp_gt_i32_e64 s1, 0, v36
	v_not_b32_e32 v9, v36
	v_not_b32_e32 v36, v41
	v_dual_lshlrev_b32 v45, 25, v7 :: v_dual_lshlrev_b32 v7, 24, v7
	v_cmp_gt_i32_e64 s3, 0, v41
	v_cmp_gt_i32_e64 s4, 0, v42
	v_not_b32_e32 v41, v42
	v_not_b32_e32 v42, v43
	v_dual_ashrrev_i32 v9, 31, v9 :: v_dual_bitop2_b32 v6, vcc_lo, v6 bitop3:0x14
	s_delay_alu instid0(VALU_DEP_3) | instskip(NEXT) | instid1(VALU_DEP_3)
	v_dual_ashrrev_i32 v36, 31, v36 :: v_dual_ashrrev_i32 v41, 31, v41
	v_dual_ashrrev_i32 v42, 31, v42 :: v_dual_bitop2_b32 v8, s0, v8 bitop3:0x14
	v_cmp_gt_i32_e64 s5, 0, v43
	v_not_b32_e32 v43, v7
	s_delay_alu instid0(VALU_DEP_4) | instskip(NEXT) | instid1(VALU_DEP_4)
	v_xor_b32_e32 v36, s3, v36
	v_bitop3_b32 v6, v6, v8, exec_lo bitop3:0x80
	v_not_b32_e32 v8, v45
	v_xor_b32_e32 v9, s1, v9
	v_xor_b32_e32 v41, s4, v41
	;; [unrolled: 1-line block ×3, first 2 shown]
	v_cmp_gt_i32_e32 vcc_lo, 0, v45
	v_ashrrev_i32_e32 v8, 31, v8
	v_cmp_gt_i32_e64 s0, 0, v7
	v_ashrrev_i32_e32 v7, 31, v43
	v_bitop3_b32 v6, v6, v36, v9 bitop3:0x80
	s_delay_alu instid0(VALU_DEP_4) | instskip(NEXT) | instid1(VALU_DEP_3)
	v_xor_b32_e32 v8, vcc_lo, v8
	v_xor_b32_e32 v7, s0, v7
	s_delay_alu instid0(VALU_DEP_3) | instskip(SKIP_2) | instid1(VALU_DEP_1)
	v_bitop3_b32 v6, v6, v42, v41 bitop3:0x80
	ds_load_b32 v42, v47 offset:64
	; wave barrier
	v_bitop3_b32 v6, v6, v7, v8 bitop3:0x80
	v_mbcnt_lo_u32_b32 v43, v6, 0
	v_cmp_ne_u32_e64 s0, 0, v6
	s_delay_alu instid0(VALU_DEP_2) | instskip(SKIP_1) | instid1(SALU_CYCLE_1)
	v_cmp_eq_u32_e32 vcc_lo, 0, v43
	s_and_b32 s1, s0, vcc_lo
	s_and_saveexec_b32 s0, s1
	s_cbranch_execz .LBB2633_111
; %bb.110:
	s_wait_dscnt 0x0
	v_bcnt_u32_b32 v6, v6, v42
	ds_store_b32 v47, v6 offset:64
.LBB2633_111:
	s_or_b32 exec_lo, exec_lo, s0
	v_not_b32_e32 v36, v4
	; wave barrier
	s_delay_alu instid0(VALU_DEP_1) | instskip(NEXT) | instid1(VALU_DEP_1)
	v_lshrrev_b32_e32 v4, s16, v36
	v_and_b32_e32 v6, s6, v4
	s_delay_alu instid0(VALU_DEP_1) | instskip(SKIP_1) | instid1(VALU_DEP_1)
	v_lshlrev_b32_e32 v8, 30, v6
	v_bitop3_b32 v4, v4, 1, s6 bitop3:0x80
	v_add_co_u32 v4, s0, v4, -1
	s_delay_alu instid0(VALU_DEP_1) | instskip(NEXT) | instid1(VALU_DEP_4)
	v_cndmask_b32_e64 v7, 0, 1, s0
	v_cmp_gt_i32_e64 s0, 0, v8
	s_delay_alu instid0(VALU_DEP_2) | instskip(SKIP_1) | instid1(VALU_DEP_1)
	v_cmp_ne_u32_e32 vcc_lo, 0, v7
	v_not_b32_e32 v7, v8
	v_dual_ashrrev_i32 v7, 31, v7 :: v_dual_lshlrev_b32 v9, 29, v6
	v_dual_lshlrev_b32 v41, 28, v6 :: v_dual_lshlrev_b32 v45, 27, v6
	v_lshlrev_b32_e32 v46, 26, v6
	v_mad_u32 v51, 0x44, v6, v0
	s_delay_alu instid0(VALU_DEP_4)
	v_cmp_gt_i32_e64 s1, 0, v9
	v_not_b32_e32 v8, v9
	v_not_b32_e32 v9, v41
	v_dual_lshlrev_b32 v48, 25, v6 :: v_dual_lshlrev_b32 v6, 24, v6
	v_cmp_gt_i32_e64 s3, 0, v41
	v_cmp_gt_i32_e64 s4, 0, v45
	v_not_b32_e32 v41, v45
	v_not_b32_e32 v45, v46
	v_dual_ashrrev_i32 v9, 31, v9 :: v_dual_bitop2_b32 v4, vcc_lo, v4 bitop3:0x14
	v_dual_ashrrev_i32 v8, 31, v8 :: v_dual_bitop2_b32 v7, s0, v7 bitop3:0x14
	v_cmp_gt_i32_e64 s5, 0, v46
	v_ashrrev_i32_e32 v41, 31, v41
	v_not_b32_e32 v46, v6
	s_delay_alu instid0(VALU_DEP_4)
	v_xor_b32_e32 v8, s1, v8
	v_xor_b32_e32 v9, s3, v9
	v_bitop3_b32 v4, v4, v7, exec_lo bitop3:0x80
	v_not_b32_e32 v7, v48
	v_ashrrev_i32_e32 v45, 31, v45
	v_xor_b32_e32 v41, s4, v41
	v_cmp_gt_i32_e32 vcc_lo, 0, v48
	v_cmp_gt_i32_e64 s0, 0, v6
	s_delay_alu instid0(VALU_DEP_4)
	v_dual_ashrrev_i32 v7, 31, v7 :: v_dual_bitop2_b32 v45, s5, v45 bitop3:0x14
	v_ashrrev_i32_e32 v6, 31, v46
	v_bitop3_b32 v4, v4, v9, v8 bitop3:0x80
	ds_load_b32 v46, v51 offset:64
	v_xor_b32_e32 v7, vcc_lo, v7
	v_xor_b32_e32 v6, s0, v6
	v_bitop3_b32 v4, v4, v45, v41 bitop3:0x80
	; wave barrier
	s_delay_alu instid0(VALU_DEP_1) | instskip(NEXT) | instid1(VALU_DEP_1)
	v_bitop3_b32 v4, v4, v6, v7 bitop3:0x80
	v_mbcnt_lo_u32_b32 v48, v4, 0
	v_cmp_ne_u32_e64 s0, 0, v4
	s_delay_alu instid0(VALU_DEP_2) | instskip(SKIP_1) | instid1(SALU_CYCLE_1)
	v_cmp_eq_u32_e32 vcc_lo, 0, v48
	s_and_b32 s1, s0, vcc_lo
	s_and_saveexec_b32 s0, s1
	s_cbranch_execz .LBB2633_113
; %bb.112:
	s_wait_dscnt 0x0
	v_bcnt_u32_b32 v4, v4, v46
	ds_store_b32 v51, v4 offset:64
.LBB2633_113:
	s_or_b32 exec_lo, exec_lo, s0
	v_not_b32_e32 v41, v3
	; wave barrier
	s_delay_alu instid0(VALU_DEP_1) | instskip(NEXT) | instid1(VALU_DEP_1)
	v_lshrrev_b32_e32 v3, s16, v41
	v_and_b32_e32 v4, s6, v3
	s_delay_alu instid0(VALU_DEP_1) | instskip(SKIP_1) | instid1(VALU_DEP_1)
	v_lshlrev_b32_e32 v7, 30, v4
	v_bitop3_b32 v3, v3, 1, s6 bitop3:0x80
	v_add_co_u32 v3, s0, v3, -1
	s_delay_alu instid0(VALU_DEP_1) | instskip(NEXT) | instid1(VALU_DEP_4)
	v_cndmask_b32_e64 v6, 0, 1, s0
	v_cmp_gt_i32_e64 s0, 0, v7
	s_delay_alu instid0(VALU_DEP_2) | instskip(SKIP_1) | instid1(VALU_DEP_1)
	v_cmp_ne_u32_e32 vcc_lo, 0, v6
	v_not_b32_e32 v6, v7
	v_dual_ashrrev_i32 v6, 31, v6 :: v_dual_lshlrev_b32 v8, 29, v4
	v_dual_lshlrev_b32 v9, 28, v4 :: v_dual_lshlrev_b32 v45, 27, v4
	v_lshlrev_b32_e32 v49, 26, v4
	v_mad_u32 v54, 0x44, v4, v0
	s_delay_alu instid0(VALU_DEP_4)
	v_cmp_gt_i32_e64 s1, 0, v8
	v_not_b32_e32 v7, v8
	v_not_b32_e32 v8, v9
	v_dual_lshlrev_b32 v50, 25, v4 :: v_dual_lshlrev_b32 v4, 24, v4
	v_cmp_gt_i32_e64 s3, 0, v9
	v_cmp_gt_i32_e64 s4, 0, v45
	v_not_b32_e32 v9, v45
	v_not_b32_e32 v45, v49
	v_dual_ashrrev_i32 v8, 31, v8 :: v_dual_bitop2_b32 v3, vcc_lo, v3 bitop3:0x14
	v_dual_ashrrev_i32 v7, 31, v7 :: v_dual_bitop2_b32 v6, s0, v6 bitop3:0x14
	v_cmp_gt_i32_e64 s5, 0, v49
	v_ashrrev_i32_e32 v9, 31, v9
	s_delay_alu instid0(VALU_DEP_4) | instskip(NEXT) | instid1(VALU_DEP_4)
	v_dual_ashrrev_i32 v45, 31, v45 :: v_dual_bitop2_b32 v8, s3, v8 bitop3:0x14
	v_xor_b32_e32 v7, s1, v7
	v_bitop3_b32 v3, v3, v6, exec_lo bitop3:0x80
	v_not_b32_e32 v6, v50
	v_not_b32_e32 v49, v4
	v_xor_b32_e32 v9, s4, v9
	v_xor_b32_e32 v45, s5, v45
	v_bitop3_b32 v3, v3, v8, v7 bitop3:0x80
	v_cmp_gt_i32_e32 vcc_lo, 0, v50
	v_ashrrev_i32_e32 v6, 31, v6
	v_cmp_gt_i32_e64 s0, 0, v4
	v_ashrrev_i32_e32 v4, 31, v49
	v_bitop3_b32 v3, v3, v45, v9 bitop3:0x80
	ds_load_b32 v50, v54 offset:64
	v_xor_b32_e32 v6, vcc_lo, v6
	v_xor_b32_e32 v4, s0, v4
	; wave barrier
	s_delay_alu instid0(VALU_DEP_1) | instskip(NEXT) | instid1(VALU_DEP_1)
	v_bitop3_b32 v3, v3, v4, v6 bitop3:0x80
	v_mbcnt_lo_u32_b32 v52, v3, 0
	v_cmp_ne_u32_e64 s0, 0, v3
	s_delay_alu instid0(VALU_DEP_2) | instskip(SKIP_1) | instid1(SALU_CYCLE_1)
	v_cmp_eq_u32_e32 vcc_lo, 0, v52
	s_and_b32 s1, s0, vcc_lo
	s_and_saveexec_b32 s0, s1
	s_cbranch_execz .LBB2633_115
; %bb.114:
	s_wait_dscnt 0x0
	v_bcnt_u32_b32 v3, v3, v50
	ds_store_b32 v54, v3 offset:64
.LBB2633_115:
	s_or_b32 exec_lo, exec_lo, s0
	v_not_b32_e32 v45, v2
	; wave barrier
	s_delay_alu instid0(VALU_DEP_1) | instskip(NEXT) | instid1(VALU_DEP_1)
	v_lshrrev_b32_e32 v2, s16, v45
	v_and_b32_e32 v3, s6, v2
	s_delay_alu instid0(VALU_DEP_1) | instskip(SKIP_1) | instid1(VALU_DEP_1)
	v_lshlrev_b32_e32 v6, 30, v3
	v_bitop3_b32 v2, v2, 1, s6 bitop3:0x80
	v_add_co_u32 v2, s0, v2, -1
	s_delay_alu instid0(VALU_DEP_1) | instskip(NEXT) | instid1(VALU_DEP_4)
	v_cndmask_b32_e64 v4, 0, 1, s0
	v_cmp_gt_i32_e64 s0, 0, v6
	s_delay_alu instid0(VALU_DEP_2) | instskip(SKIP_1) | instid1(VALU_DEP_1)
	v_cmp_ne_u32_e32 vcc_lo, 0, v4
	v_not_b32_e32 v4, v6
	v_dual_ashrrev_i32 v4, 31, v4 :: v_dual_lshlrev_b32 v7, 29, v3
	v_dual_lshlrev_b32 v8, 28, v3 :: v_dual_lshlrev_b32 v9, 27, v3
	v_lshlrev_b32_e32 v49, 26, v3
	v_mad_u32 v56, 0x44, v3, v0
	s_delay_alu instid0(VALU_DEP_4)
	v_cmp_gt_i32_e64 s1, 0, v7
	v_not_b32_e32 v6, v7
	v_not_b32_e32 v7, v8
	v_dual_lshlrev_b32 v53, 25, v3 :: v_dual_lshlrev_b32 v3, 24, v3
	v_cmp_gt_i32_e64 s3, 0, v8
	v_cmp_gt_i32_e64 s4, 0, v9
	v_not_b32_e32 v8, v9
	v_not_b32_e32 v9, v49
	v_dual_ashrrev_i32 v7, 31, v7 :: v_dual_bitop2_b32 v2, vcc_lo, v2 bitop3:0x14
	v_dual_ashrrev_i32 v6, 31, v6 :: v_dual_bitop2_b32 v4, s0, v4 bitop3:0x14
	v_cmp_gt_i32_e64 s5, 0, v49
	s_delay_alu instid0(VALU_DEP_4)
	v_dual_ashrrev_i32 v8, 31, v8 :: v_dual_ashrrev_i32 v9, 31, v9
	v_not_b32_e32 v49, v3
	v_xor_b32_e32 v7, s3, v7
	v_bitop3_b32 v2, v2, v4, exec_lo bitop3:0x80
	v_not_b32_e32 v4, v53
	v_xor_b32_e32 v6, s1, v6
	v_xor_b32_e32 v8, s4, v8
	;; [unrolled: 1-line block ×3, first 2 shown]
	v_cmp_gt_i32_e32 vcc_lo, 0, v53
	v_ashrrev_i32_e32 v4, 31, v4
	v_cmp_gt_i32_e64 s0, 0, v3
	v_ashrrev_i32_e32 v3, 31, v49
	v_bitop3_b32 v2, v2, v7, v6 bitop3:0x80
	ds_load_b32 v53, v56 offset:64
	v_xor_b32_e32 v4, vcc_lo, v4
	v_xor_b32_e32 v3, s0, v3
	v_bitop3_b32 v2, v2, v9, v8 bitop3:0x80
	; wave barrier
	s_delay_alu instid0(VALU_DEP_1) | instskip(NEXT) | instid1(VALU_DEP_1)
	v_bitop3_b32 v2, v2, v3, v4 bitop3:0x80
	v_mbcnt_lo_u32_b32 v55, v2, 0
	v_cmp_ne_u32_e64 s0, 0, v2
	s_delay_alu instid0(VALU_DEP_2) | instskip(SKIP_1) | instid1(SALU_CYCLE_1)
	v_cmp_eq_u32_e32 vcc_lo, 0, v55
	s_and_b32 s1, s0, vcc_lo
	s_and_saveexec_b32 s0, s1
	s_cbranch_execz .LBB2633_117
; %bb.116:
	s_wait_dscnt 0x0
	v_bcnt_u32_b32 v2, v2, v53
	ds_store_b32 v56, v2 offset:64
.LBB2633_117:
	s_or_b32 exec_lo, exec_lo, s0
	v_not_b32_e32 v49, v1
	; wave barrier
	s_delay_alu instid0(VALU_DEP_1) | instskip(NEXT) | instid1(VALU_DEP_1)
	v_lshrrev_b32_e32 v1, s16, v49
	v_and_b32_e32 v2, s6, v1
	s_delay_alu instid0(VALU_DEP_1) | instskip(SKIP_2) | instid1(VALU_DEP_2)
	v_lshlrev_b32_e32 v3, 30, v2
	v_bitop3_b32 v1, v1, 1, s6 bitop3:0x80
	v_mad_u32 v59, 0x44, v2, v0
	v_add_co_u32 v0, s0, v1, -1
	s_delay_alu instid0(VALU_DEP_1) | instskip(SKIP_4) | instid1(VALU_DEP_1)
	v_cndmask_b32_e64 v1, 0, 1, s0
	v_cmp_gt_i32_e64 s0, 0, v3
	ds_load_b32 v57, v59 offset:64
	v_cmp_ne_u32_e32 vcc_lo, 0, v1
	v_not_b32_e32 v1, v3
	; wave barrier
	v_dual_ashrrev_i32 v1, 31, v1 :: v_dual_lshlrev_b32 v4, 29, v2
	v_dual_lshlrev_b32 v6, 28, v2 :: v_dual_lshlrev_b32 v7, 27, v2
	v_dual_lshlrev_b32 v8, 26, v2 :: v_dual_lshlrev_b32 v9, 25, v2
	v_lshlrev_b32_e32 v2, 24, v2
	s_delay_alu instid0(VALU_DEP_4)
	v_cmp_gt_i32_e64 s1, 0, v4
	v_not_b32_e32 v3, v4
	v_not_b32_e32 v4, v6
	v_cmp_gt_i32_e64 s3, 0, v6
	v_cmp_gt_i32_e64 s4, 0, v7
	v_not_b32_e32 v6, v7
	v_not_b32_e32 v7, v8
	v_dual_ashrrev_i32 v3, 31, v3 :: v_dual_bitop2_b32 v0, vcc_lo, v0 bitop3:0x14
	v_dual_ashrrev_i32 v4, 31, v4 :: v_dual_bitop2_b32 v1, s0, v1 bitop3:0x14
	v_cmp_gt_i32_e64 s5, 0, v8
	s_delay_alu instid0(VALU_DEP_4) | instskip(NEXT) | instid1(VALU_DEP_3)
	v_dual_ashrrev_i32 v6, 31, v6 :: v_dual_ashrrev_i32 v7, 31, v7
	v_xor_b32_e32 v4, s3, v4
	s_delay_alu instid0(VALU_DEP_4)
	v_bitop3_b32 v0, v0, v1, exec_lo bitop3:0x80
	v_not_b32_e32 v1, v9
	v_xor_b32_e32 v3, s1, v3
	v_not_b32_e32 v8, v2
	v_xor_b32_e32 v6, s4, v6
	v_xor_b32_e32 v7, s5, v7
	v_cmp_gt_i32_e32 vcc_lo, 0, v9
	v_ashrrev_i32_e32 v1, 31, v1
	v_bitop3_b32 v0, v0, v4, v3 bitop3:0x80
	v_cmp_gt_i32_e64 s0, 0, v2
	s_delay_alu instid0(VALU_DEP_3) | instskip(NEXT) | instid1(VALU_DEP_3)
	v_dual_ashrrev_i32 v2, 31, v8 :: v_dual_bitop2_b32 v1, vcc_lo, v1 bitop3:0x14
	v_bitop3_b32 v0, v0, v7, v6 bitop3:0x80
	s_delay_alu instid0(VALU_DEP_2) | instskip(NEXT) | instid1(VALU_DEP_1)
	v_xor_b32_e32 v2, s0, v2
	v_bitop3_b32 v0, v0, v2, v1 bitop3:0x80
	s_delay_alu instid0(VALU_DEP_1) | instskip(SKIP_1) | instid1(VALU_DEP_2)
	v_mbcnt_lo_u32_b32 v58, v0, 0
	v_cmp_ne_u32_e64 s0, 0, v0
	v_cmp_eq_u32_e32 vcc_lo, 0, v58
	s_and_b32 s1, s0, vcc_lo
	s_delay_alu instid0(SALU_CYCLE_1)
	s_and_saveexec_b32 s0, s1
	s_cbranch_execz .LBB2633_119
; %bb.118:
	s_wait_dscnt 0x0
	v_bcnt_u32_b32 v0, v0, v57
	ds_store_b32 v59, v0 offset:64
.LBB2633_119:
	s_or_b32 exec_lo, exec_lo, s0
	; wave barrier
	s_wait_dscnt 0x0
	s_barrier_signal -1
	s_barrier_wait -1
	ds_load_2addr_b32 v[8:9], v10 offset0:16 offset1:17
	ds_load_2addr_b32 v[6:7], v10 offset0:18 offset1:19
	;; [unrolled: 1-line block ×4, first 2 shown]
	ds_load_b32 v4, v10 offset:96
	v_min_u32_e32 v16, 0x1e0, v16
	s_mov_b32 s5, exec_lo
	s_wait_dscnt 0x3
	v_add3_u32 v60, v9, v8, v6
	s_wait_dscnt 0x2
	s_delay_alu instid0(VALU_DEP_1) | instskip(SKIP_1) | instid1(VALU_DEP_1)
	v_add3_u32 v60, v60, v7, v2
	s_wait_dscnt 0x1
	v_add3_u32 v60, v60, v3, v0
	s_wait_dscnt 0x0
	s_delay_alu instid0(VALU_DEP_1) | instskip(SKIP_1) | instid1(VALU_DEP_2)
	v_add3_u32 v4, v60, v1, v4
	v_and_b32_e32 v60, 15, v15
	v_mov_b32_dpp v61, v4 row_shr:1 row_mask:0xf bank_mask:0xf
	s_delay_alu instid0(VALU_DEP_2) | instskip(NEXT) | instid1(VALU_DEP_2)
	v_cmp_eq_u32_e32 vcc_lo, 0, v60
	v_cndmask_b32_e64 v61, v61, 0, vcc_lo
	s_delay_alu instid0(VALU_DEP_1) | instskip(SKIP_3) | instid1(VALU_DEP_4)
	v_add_nc_u32_e32 v4, v61, v4
	v_cmp_lt_u32_e64 s0, 1, v60
	v_cmp_lt_u32_e64 s1, 3, v60
	;; [unrolled: 1-line block ×3, first 2 shown]
	v_mov_b32_dpp v61, v4 row_shr:2 row_mask:0xf bank_mask:0xf
	s_delay_alu instid0(VALU_DEP_1) | instskip(NEXT) | instid1(VALU_DEP_1)
	v_cndmask_b32_e64 v61, 0, v61, s0
	v_add_nc_u32_e32 v4, v4, v61
	s_delay_alu instid0(VALU_DEP_1) | instskip(NEXT) | instid1(VALU_DEP_1)
	v_mov_b32_dpp v61, v4 row_shr:4 row_mask:0xf bank_mask:0xf
	v_cndmask_b32_e64 v61, 0, v61, s1
	s_delay_alu instid0(VALU_DEP_1) | instskip(NEXT) | instid1(VALU_DEP_1)
	v_add_nc_u32_e32 v4, v4, v61
	v_mov_b32_dpp v61, v4 row_shr:8 row_mask:0xf bank_mask:0xf
	s_delay_alu instid0(VALU_DEP_1) | instskip(SKIP_1) | instid1(VALU_DEP_2)
	v_cndmask_b32_e64 v60, 0, v61, s3
	v_bfe_i32 v61, v15, 4, 1
	v_add_nc_u32_e32 v4, v4, v60
	ds_swizzle_b32 v60, v4 offset:swizzle(BROADCAST,32,15)
	s_wait_dscnt 0x0
	v_dual_lshrrev_b32 v60, 5, v14 :: v_dual_bitop2_b32 v61, v61, v60 bitop3:0x40
	s_delay_alu instid0(VALU_DEP_1) | instskip(NEXT) | instid1(VALU_DEP_1)
	v_dual_add_nc_u32 v16, v4, v61 :: v_dual_bitop2_b32 v62, 31, v16 bitop3:0x54
	v_cmpx_eq_u32_e64 v14, v62
; %bb.120:
	s_delay_alu instid0(VALU_DEP_3)
	v_lshlrev_b32_e32 v4, 2, v60
	ds_store_b32 v4, v16
; %bb.121:
	s_or_b32 exec_lo, exec_lo, s5
	v_lshlrev_b32_e32 v4, 2, v14
	s_mov_b32 s5, exec_lo
	s_wait_dscnt 0x0
	s_barrier_signal -1
	s_barrier_wait -1
	v_cmpx_gt_u32_e32 16, v14
	s_cbranch_execz .LBB2633_123
; %bb.122:
	ds_load_b32 v61, v4
	s_wait_dscnt 0x0
	v_mov_b32_dpp v62, v61 row_shr:1 row_mask:0xf bank_mask:0xf
	s_delay_alu instid0(VALU_DEP_1) | instskip(NEXT) | instid1(VALU_DEP_1)
	v_cndmask_b32_e64 v62, v62, 0, vcc_lo
	v_add_nc_u32_e32 v61, v62, v61
	s_delay_alu instid0(VALU_DEP_1) | instskip(NEXT) | instid1(VALU_DEP_1)
	v_mov_b32_dpp v62, v61 row_shr:2 row_mask:0xf bank_mask:0xf
	v_cndmask_b32_e64 v62, 0, v62, s0
	s_delay_alu instid0(VALU_DEP_1) | instskip(NEXT) | instid1(VALU_DEP_1)
	v_add_nc_u32_e32 v61, v61, v62
	v_mov_b32_dpp v62, v61 row_shr:4 row_mask:0xf bank_mask:0xf
	s_delay_alu instid0(VALU_DEP_1) | instskip(NEXT) | instid1(VALU_DEP_1)
	v_cndmask_b32_e64 v62, 0, v62, s1
	v_add_nc_u32_e32 v61, v61, v62
	s_delay_alu instid0(VALU_DEP_1) | instskip(NEXT) | instid1(VALU_DEP_1)
	v_mov_b32_dpp v62, v61 row_shr:8 row_mask:0xf bank_mask:0xf
	v_cndmask_b32_e64 v62, 0, v62, s3
	s_delay_alu instid0(VALU_DEP_1)
	v_add_nc_u32_e32 v61, v61, v62
	ds_store_b32 v4, v61
.LBB2633_123:
	s_or_b32 exec_lo, exec_lo, s5
	v_mov_b32_e32 v61, 0
	s_mov_b32 s0, exec_lo
	s_wait_dscnt 0x0
	s_barrier_signal -1
	s_barrier_wait -1
	v_cmpx_lt_u32_e32 31, v14
; %bb.124:
	v_lshl_add_u32 v60, v60, 2, -4
	ds_load_b32 v61, v60
; %bb.125:
	s_or_b32 exec_lo, exec_lo, s0
	v_sub_co_u32 v60, vcc_lo, v15, 1
	s_wait_dscnt 0x0
	v_add_nc_u32_e32 v16, v61, v16
	s_delay_alu instid0(VALU_DEP_2) | instskip(NEXT) | instid1(VALU_DEP_1)
	v_cmp_gt_i32_e64 s0, 0, v60
	v_cndmask_b32_e64 v15, v60, v15, s0
	v_cmp_lt_u32_e64 s0, 0xff, v14
	s_delay_alu instid0(VALU_DEP_2) | instskip(SKIP_4) | instid1(VALU_DEP_2)
	v_lshlrev_b32_e32 v15, 2, v15
	ds_bpermute_b32 v15, v15, v16
	s_wait_dscnt 0x0
	v_cndmask_b32_e32 v15, v15, v61, vcc_lo
	v_cmp_gt_u32_e32 vcc_lo, 0x100, v14
	v_cndmask_b32_e64 v15, v15, 0, s2
	s_delay_alu instid0(VALU_DEP_1) | instskip(NEXT) | instid1(VALU_DEP_1)
	v_add_nc_u32_e32 v8, v15, v8
	v_add_nc_u32_e32 v9, v8, v9
	s_delay_alu instid0(VALU_DEP_1) | instskip(NEXT) | instid1(VALU_DEP_1)
	v_add_nc_u32_e32 v6, v9, v6
	v_add_nc_u32_e32 v7, v6, v7
	;; [unrolled: 3-line block ×4, first 2 shown]
	ds_store_2addr_b32 v10, v15, v8 offset0:16 offset1:17
	ds_store_2addr_b32 v10, v9, v6 offset0:18 offset1:19
	;; [unrolled: 1-line block ×4, first 2 shown]
	ds_store_b32 v10, v1 offset:96
	s_wait_dscnt 0x0
	s_barrier_signal -1
	s_barrier_wait -1
	ds_load_b32 v62, v11 offset:64
	ds_load_b32 v60, v12 offset:64
	;; [unrolled: 1-line block ×12, first 2 shown]
	v_mov_b64_e32 v[0:1], 0
                                        ; implicit-def: $vgpr2
	s_and_saveexec_b32 s2, vcc_lo
	s_cbranch_execz .LBB2633_129
; %bb.126:
	v_mul_u32_u24_e32 v0, 0x44, v14
	v_dual_mov_b32 v1, 0x1800 :: v_dual_add_nc_u32 v2, 1, v14
	s_mov_b32 s3, exec_lo
	ds_load_b32 v0, v0 offset:64
	v_cmpx_ne_u32_e32 0x100, v2
; %bb.127:
	v_mul_u32_u24_e32 v1, 0x44, v2
	ds_load_b32 v1, v1 offset:64
; %bb.128:
	s_or_b32 exec_lo, exec_lo, s3
	s_wait_dscnt 0x0
	v_dual_mov_b32 v1, 0 :: v_dual_sub_nc_u32 v2, v1, v0
.LBB2633_129:
	s_or_b32 exec_lo, exec_lo, s2
	v_dual_mov_b32 v7, 0 :: v_dual_lshlrev_b32 v3, 3, v14
	s_wait_dscnt 0x0
	s_barrier_signal -1
	s_barrier_wait -1
	s_and_saveexec_b32 s1, vcc_lo
	s_cbranch_execz .LBB2633_139
; %bb.130:
	v_lshl_add_u32 v6, s19, 8, v14
	v_dual_mov_b32 v10, 0 :: v_dual_bitop2_b32 v11, 2.0, v2 bitop3:0x54
	s_mov_b32 s2, 0
	s_mov_b32 s3, s19
	s_delay_alu instid0(VALU_DEP_2)
	v_lshl_add_u64 v[8:9], v[6:7], 2, s[20:21]
	global_store_b32 v6, v11, s[20:21] scale_offset scope:SCOPE_DEV
                                        ; implicit-def: $sgpr4
	s_branch .LBB2633_133
.LBB2633_131:                           ;   in Loop: Header=BB2633_133 Depth=1
	s_or_b32 exec_lo, exec_lo, s5
.LBB2633_132:                           ;   in Loop: Header=BB2633_133 Depth=1
	s_delay_alu instid0(SALU_CYCLE_1) | instskip(SKIP_2) | instid1(VALU_DEP_2)
	s_or_b32 exec_lo, exec_lo, s4
	v_and_b32_e32 v6, 0x3fffffff, v11
	v_cmp_gt_i32_e64 s4, -2.0, v11
	v_add_nc_u32_e32 v10, v6, v10
	s_and_b32 s5, exec_lo, s4
	s_delay_alu instid0(SALU_CYCLE_1) | instskip(NEXT) | instid1(SALU_CYCLE_1)
	s_or_b32 s2, s5, s2
	s_and_not1_b32 exec_lo, exec_lo, s2
	s_cbranch_execz .LBB2633_138
.LBB2633_133:                           ; =>This Loop Header: Depth=1
                                        ;     Child Loop BB2633_136 Depth 2
	s_or_b32 s4, s4, exec_lo
	s_cmp_eq_u32 s3, 0
	s_cbranch_scc1 .LBB2633_137
; %bb.134:                              ;   in Loop: Header=BB2633_133 Depth=1
	s_add_co_i32 s3, s3, -1
	s_mov_b32 s4, exec_lo
	s_wait_xcnt 0x0
	v_lshl_or_b32 v6, s3, 8, v14
	global_load_b32 v11, v6, s[20:21] scale_offset scope:SCOPE_DEV
	s_wait_loadcnt 0x0
	v_cmpx_gt_u32_e32 2.0, v11
	s_cbranch_execz .LBB2633_132
; %bb.135:                              ;   in Loop: Header=BB2633_133 Depth=1
	v_lshl_add_u64 v[12:13], v[6:7], 2, s[20:21]
	s_mov_b32 s5, 0
.LBB2633_136:                           ;   Parent Loop BB2633_133 Depth=1
                                        ; =>  This Inner Loop Header: Depth=2
	global_load_b32 v11, v[12:13], off scope:SCOPE_DEV
	s_wait_loadcnt 0x0
	v_cmp_lt_u32_e32 vcc_lo, 0x3fffffff, v11
	s_or_b32 s5, vcc_lo, s5
	s_wait_xcnt 0x0
	s_and_not1_b32 exec_lo, exec_lo, s5
	s_cbranch_execnz .LBB2633_136
	s_branch .LBB2633_131
.LBB2633_137:                           ;   in Loop: Header=BB2633_133 Depth=1
                                        ; implicit-def: $sgpr3
	s_and_b32 s5, exec_lo, s4
	s_delay_alu instid0(SALU_CYCLE_1)
	s_or_b32 s2, s5, s2
	s_wait_xcnt 0x0
	s_and_not1_b32 exec_lo, exec_lo, s2
	s_cbranch_execnz .LBB2633_133
.LBB2633_138:
	s_or_b32 exec_lo, exec_lo, s2
	v_dual_mov_b32 v11, 0 :: v_dual_add_nc_u32 v6, v10, v2
	s_delay_alu instid0(VALU_DEP_1) | instskip(SKIP_4) | instid1(VALU_DEP_1)
	v_or_b32_e32 v6, 0x80000000, v6
	global_store_b32 v[8:9], v6, off scope:SCOPE_DEV
	global_load_b64 v[6:7], v14, s[8:9] scale_offset
	v_sub_nc_u64_e32 v[8:9], v[10:11], v[0:1]
	s_wait_loadcnt 0x0
	v_add_nc_u64_e32 v[6:7], v[8:9], v[6:7]
	ds_store_b64 v3, v[6:7]
.LBB2633_139:
	s_wait_xcnt 0x0
	s_or_b32 exec_lo, exec_lo, s1
	v_dual_add_nc_u32 v6, v62, v5 :: v_dual_sub_nc_u32 v56, 0, v4
	v_mov_b32_e32 v5, 0
	v_add3_u32 v21, v22, v60, v21
	v_add3_u32 v7, v58, v54, v57
	;; [unrolled: 1-line block ×3, first 2 shown]
	v_add_nc_u32_e32 v22, v3, v56
	v_add_nc_u64_e32 v[4:5], s[14:15], v[4:5]
	v_add3_u32 v9, v52, v47, v50
	v_add3_u32 v10, v48, v44, v46
	;; [unrolled: 1-line block ×6, first 2 shown]
	v_add_nc_u64_e32 v[4:5], 0x2000, v[4:5]
	v_add3_u32 v16, v28, v16, v27
	v_add3_u32 v24, v25, v61, v24
	v_mov_b32_e32 v25, v14
	s_mov_b32 s1, 0
	s_mov_b32 s2, -1
	s_branch .LBB2633_141
.LBB2633_140:                           ;   in Loop: Header=BB2633_141 Depth=1
	s_wait_xcnt 0x0
	s_or_b32 exec_lo, exec_lo, s3
	v_add_nc_u64_e32 v[4:5], 0x4000, v[4:5]
	v_add_nc_u32_e32 v25, 0x1000, v25
	s_xor_b32 s2, s2, -1
	s_addk_co_i32 s1, 0xf000
	s_and_b32 vcc_lo, exec_lo, s2
	s_mov_b32 s2, 0
	s_wait_storecnt 0x0
	s_barrier_signal -1
	s_barrier_wait -1
	s_cbranch_vccnz .LBB2633_151
.LBB2633_141:                           ; =>This Inner Loop Header: Depth=1
	v_add_min_u32_e64 v27, v6, s1, 0x1000
	v_add_min_u32_e64 v28, v21, s1, 0x1000
	;; [unrolled: 1-line block ×5, first 2 shown]
	s_delay_alu instid0(VALU_DEP_4)
	v_dual_lshlrev_b32 v27, 2, v27 :: v_dual_lshlrev_b32 v28, 2, v28
	v_add_min_u32_e64 v34, v13, s1, 0x1000
	v_add_min_u32_e64 v35, v12, s1, 0x1000
	s_mov_b32 s3, exec_lo
	ds_store_b32 v27, v17 offset:2048
	ds_store_b32 v28, v18 offset:2048
	v_dual_lshlrev_b32 v27, 2, v30 :: v_dual_lshlrev_b32 v28, 2, v31
	v_dual_lshlrev_b32 v30, 2, v33 :: v_dual_lshlrev_b32 v31, 2, v34
	v_lshlrev_b32_e32 v33, 2, v35
	ds_store_b32 v27, v19 offset:2048
	ds_store_b32 v28, v20 offset:2048
	;; [unrolled: 1-line block ×5, first 2 shown]
	v_add_min_u32_e64 v27, v11, s1, 0x1000
	v_add_min_u32_e64 v28, v10, s1, 0x1000
	;; [unrolled: 1-line block ×5, first 2 shown]
	s_delay_alu instid0(VALU_DEP_4) | instskip(NEXT) | instid1(VALU_DEP_3)
	v_dual_lshlrev_b32 v27, 2, v27 :: v_dual_lshlrev_b32 v28, 2, v28
	v_dual_lshlrev_b32 v30, 2, v30 :: v_dual_lshlrev_b32 v31, 2, v31
	s_delay_alu instid0(VALU_DEP_3)
	v_lshlrev_b32_e32 v33, 2, v33
	ds_store_b32 v27, v32 offset:2048
	ds_store_b32 v28, v36 offset:2048
	;; [unrolled: 1-line block ×5, first 2 shown]
	s_wait_storecnt_dscnt 0x0
	s_barrier_signal -1
	s_barrier_wait -1
	ds_load_2addr_stride64_b32 v[30:31], v22 offset0:8 offset1:16
	s_wait_dscnt 0x0
	v_dual_lshrrev_b32 v27, s16, v31 :: v_dual_lshrrev_b32 v28, s16, v30
	s_delay_alu instid0(VALU_DEP_1) | instskip(NEXT) | instid1(VALU_DEP_1)
	v_and_b32_e32 v28, s6, v28
	v_dual_lshlrev_b32 v28, 3, v28 :: v_dual_bitop2_b32 v27, s6, v27 bitop3:0x40
	s_delay_alu instid0(VALU_DEP_1)
	v_lshlrev_b32_e32 v27, 3, v27
	ds_load_b64 v[34:35], v27
	ds_load_b32 v27, v22 offset:6144
	s_wait_dscnt 0x0
	v_lshrrev_b32_e32 v33, s16, v27
	v_not_b32_e32 v27, v27
	s_delay_alu instid0(VALU_DEP_2) | instskip(NEXT) | instid1(VALU_DEP_1)
	v_and_b32_e32 v33, s6, v33
	v_lshlrev_b32_e32 v33, 3, v33
	ds_load_b64 v[38:39], v28
	ds_load_b64 v[42:43], v33
	v_not_b32_e32 v28, v30
	v_not_b32_e32 v33, v31
	v_lshl_add_u64 v[30:31], v[34:35], 2, v[4:5]
	s_wait_dscnt 0x1
	v_lshl_add_u64 v[38:39], v[38:39], 2, v[4:5]
	s_wait_dscnt 0x0
	v_lshl_add_u64 v[34:35], v[42:43], 2, v[4:5]
	s_clause 0x2
	global_store_b32 v[38:39], v28, off offset:-8192
	global_store_b32 v[30:31], v33, off offset:-6144
	;; [unrolled: 1-line block ×3, first 2 shown]
	s_wait_xcnt 0x0
	v_cmpx_gt_u32_e32 0x1200, v25
	s_cbranch_execz .LBB2633_143
; %bb.142:                              ;   in Loop: Header=BB2633_141 Depth=1
	ds_load_b32 v27, v22 offset:8192
	s_wait_dscnt 0x0
	v_lshrrev_b32_e32 v28, s16, v27
	v_not_b32_e32 v27, v27
	s_delay_alu instid0(VALU_DEP_2) | instskip(NEXT) | instid1(VALU_DEP_1)
	v_and_b32_e32 v28, s6, v28
	v_lshlrev_b32_e32 v28, 3, v28
	ds_load_b64 v[30:31], v28
	s_wait_dscnt 0x0
	v_lshl_add_u64 v[30:31], v[30:31], 2, v[4:5]
	global_store_b32 v[30:31], v27, off offset:-2048
.LBB2633_143:                           ;   in Loop: Header=BB2633_141 Depth=1
	s_wait_xcnt 0x0
	s_or_b32 exec_lo, exec_lo, s3
	v_add_nc_u32_e32 v27, 0x800, v25
	s_mov_b32 s3, exec_lo
	s_delay_alu instid0(VALU_DEP_1)
	v_cmpx_gt_u32_e32 0x1800, v27
	s_cbranch_execz .LBB2633_145
; %bb.144:                              ;   in Loop: Header=BB2633_141 Depth=1
	ds_load_b32 v27, v22 offset:10240
	s_wait_dscnt 0x0
	v_lshrrev_b32_e32 v28, s16, v27
	v_not_b32_e32 v27, v27
	s_delay_alu instid0(VALU_DEP_2) | instskip(NEXT) | instid1(VALU_DEP_1)
	v_and_b32_e32 v28, s6, v28
	v_lshlrev_b32_e32 v28, 3, v28
	ds_load_b64 v[30:31], v28
	s_wait_dscnt 0x0
	v_lshl_add_u64 v[30:31], v[30:31], 2, v[4:5]
	global_store_b32 v[30:31], v27, off
.LBB2633_145:                           ;   in Loop: Header=BB2633_141 Depth=1
	s_wait_xcnt 0x0
	s_or_b32 exec_lo, exec_lo, s3
	s_delay_alu instid0(SALU_CYCLE_1)
	s_mov_b32 s3, exec_lo
	v_cmpx_gt_u32_e32 0xe00, v25
	s_cbranch_execz .LBB2633_147
; %bb.146:                              ;   in Loop: Header=BB2633_141 Depth=1
	ds_load_b32 v27, v22 offset:12288
	s_wait_dscnt 0x0
	v_lshrrev_b32_e32 v28, s16, v27
	v_not_b32_e32 v27, v27
	s_delay_alu instid0(VALU_DEP_2) | instskip(NEXT) | instid1(VALU_DEP_1)
	v_and_b32_e32 v28, s6, v28
	v_lshlrev_b32_e32 v28, 3, v28
	ds_load_b64 v[30:31], v28
	s_wait_dscnt 0x0
	v_lshl_add_u64 v[30:31], v[30:31], 2, v[4:5]
	global_store_b32 v[30:31], v27, off offset:2048
.LBB2633_147:                           ;   in Loop: Header=BB2633_141 Depth=1
	s_wait_xcnt 0x0
	s_or_b32 exec_lo, exec_lo, s3
	v_add_nc_u32_e32 v27, 0xc00, v25
	s_mov_b32 s3, exec_lo
	s_delay_alu instid0(VALU_DEP_1)
	v_cmpx_gt_u32_e32 0x1800, v27
	s_cbranch_execz .LBB2633_149
; %bb.148:                              ;   in Loop: Header=BB2633_141 Depth=1
	ds_load_b32 v27, v22 offset:14336
	s_wait_dscnt 0x0
	v_lshrrev_b32_e32 v28, s16, v27
	v_not_b32_e32 v27, v27
	s_delay_alu instid0(VALU_DEP_2) | instskip(NEXT) | instid1(VALU_DEP_1)
	v_and_b32_e32 v28, s6, v28
	v_lshlrev_b32_e32 v28, 3, v28
	ds_load_b64 v[30:31], v28
	s_wait_dscnt 0x0
	v_lshl_add_u64 v[30:31], v[30:31], 2, v[4:5]
	global_store_b32 v[30:31], v27, off offset:4096
.LBB2633_149:                           ;   in Loop: Header=BB2633_141 Depth=1
	s_wait_xcnt 0x0
	s_or_b32 exec_lo, exec_lo, s3
	s_delay_alu instid0(SALU_CYCLE_1)
	s_mov_b32 s3, exec_lo
	v_cmpx_gt_u32_e32 0xa00, v25
	s_cbranch_execz .LBB2633_140
; %bb.150:                              ;   in Loop: Header=BB2633_141 Depth=1
	ds_load_b32 v27, v22 offset:16384
	s_wait_dscnt 0x0
	v_lshrrev_b32_e32 v28, s16, v27
	v_not_b32_e32 v27, v27
	s_delay_alu instid0(VALU_DEP_2) | instskip(NEXT) | instid1(VALU_DEP_1)
	v_and_b32_e32 v28, s6, v28
	v_lshlrev_b32_e32 v28, 3, v28
	ds_load_b64 v[30:31], v28
	s_wait_dscnt 0x0
	v_lshl_add_u64 v[30:31], v[30:31], 2, v[4:5]
	global_store_b32 v[30:31], v27, off offset:6144
	s_branch .LBB2633_140
.LBB2633_151:
	s_add_co_i32 s12, s12, -1
	s_delay_alu instid0(SALU_CYCLE_1) | instskip(SKIP_2) | instid1(SALU_CYCLE_1)
	s_cmp_eq_u32 s19, s12
	s_cselect_b32 s1, -1, 0
	s_xor_b32 s0, s0, -1
	s_and_b32 s0, s0, s1
	s_delay_alu instid0(SALU_CYCLE_1)
	s_and_saveexec_b32 s1, s0
	s_cbranch_execz .LBB2633_153
; %bb.152:
	ds_load_b64 v[4:5], v3
	v_mov_b32_e32 v3, 0
	s_delay_alu instid0(VALU_DEP_1) | instskip(SKIP_1) | instid1(VALU_DEP_1)
	v_add_nc_u64_e32 v[0:1], v[0:1], v[2:3]
	s_wait_dscnt 0x0
	v_add_nc_u64_e32 v[0:1], v[0:1], v[4:5]
	global_store_b64 v14, v[0:1], s[10:11] scale_offset
.LBB2633_153:
	s_sendmsg sendmsg(MSG_DEALLOC_VGPRS)
	s_endpgm
	.section	.rodata,"a",@progbits
	.p2align	6, 0x0
	.amdhsa_kernel _ZN7rocprim17ROCPRIM_400000_NS6detail17trampoline_kernelINS0_14default_configENS1_35radix_sort_onesweep_config_selectorIjNS0_10empty_typeEEEZZNS1_29radix_sort_onesweep_iterationIS3_Lb1EPKjPjPS5_SB_mNS0_19identity_decomposerENS1_16block_id_wrapperIjLb1EEEEE10hipError_tT1_PNSt15iterator_traitsISG_E10value_typeET2_T3_PNSH_ISM_E10value_typeET4_T5_PSR_SS_PNS1_23onesweep_lookback_stateEbbT6_jjT7_P12ihipStream_tbENKUlT_T0_SG_SL_E_clIS9_SA_SB_SB_EEDaSZ_S10_SG_SL_EUlSZ_E_NS1_11comp_targetILNS1_3genE0ELNS1_11target_archE4294967295ELNS1_3gpuE0ELNS1_3repE0EEENS1_47radix_sort_onesweep_sort_config_static_selectorELNS0_4arch9wavefront6targetE0EEEvSG_
		.amdhsa_group_segment_fixed_size 18504
		.amdhsa_private_segment_fixed_size 0
		.amdhsa_kernarg_size 344
		.amdhsa_user_sgpr_count 2
		.amdhsa_user_sgpr_dispatch_ptr 0
		.amdhsa_user_sgpr_queue_ptr 0
		.amdhsa_user_sgpr_kernarg_segment_ptr 1
		.amdhsa_user_sgpr_dispatch_id 0
		.amdhsa_user_sgpr_kernarg_preload_length 0
		.amdhsa_user_sgpr_kernarg_preload_offset 0
		.amdhsa_user_sgpr_private_segment_size 0
		.amdhsa_wavefront_size32 1
		.amdhsa_uses_dynamic_stack 0
		.amdhsa_enable_private_segment 0
		.amdhsa_system_sgpr_workgroup_id_x 1
		.amdhsa_system_sgpr_workgroup_id_y 0
		.amdhsa_system_sgpr_workgroup_id_z 0
		.amdhsa_system_sgpr_workgroup_info 0
		.amdhsa_system_vgpr_workitem_id 2
		.amdhsa_next_free_vgpr 65
		.amdhsa_next_free_sgpr 29
		.amdhsa_named_barrier_count 0
		.amdhsa_reserve_vcc 1
		.amdhsa_float_round_mode_32 0
		.amdhsa_float_round_mode_16_64 0
		.amdhsa_float_denorm_mode_32 3
		.amdhsa_float_denorm_mode_16_64 3
		.amdhsa_fp16_overflow 0
		.amdhsa_memory_ordered 1
		.amdhsa_forward_progress 1
		.amdhsa_inst_pref_size 122
		.amdhsa_round_robin_scheduling 0
		.amdhsa_exception_fp_ieee_invalid_op 0
		.amdhsa_exception_fp_denorm_src 0
		.amdhsa_exception_fp_ieee_div_zero 0
		.amdhsa_exception_fp_ieee_overflow 0
		.amdhsa_exception_fp_ieee_underflow 0
		.amdhsa_exception_fp_ieee_inexact 0
		.amdhsa_exception_int_div_zero 0
	.end_amdhsa_kernel
	.section	.text._ZN7rocprim17ROCPRIM_400000_NS6detail17trampoline_kernelINS0_14default_configENS1_35radix_sort_onesweep_config_selectorIjNS0_10empty_typeEEEZZNS1_29radix_sort_onesweep_iterationIS3_Lb1EPKjPjPS5_SB_mNS0_19identity_decomposerENS1_16block_id_wrapperIjLb1EEEEE10hipError_tT1_PNSt15iterator_traitsISG_E10value_typeET2_T3_PNSH_ISM_E10value_typeET4_T5_PSR_SS_PNS1_23onesweep_lookback_stateEbbT6_jjT7_P12ihipStream_tbENKUlT_T0_SG_SL_E_clIS9_SA_SB_SB_EEDaSZ_S10_SG_SL_EUlSZ_E_NS1_11comp_targetILNS1_3genE0ELNS1_11target_archE4294967295ELNS1_3gpuE0ELNS1_3repE0EEENS1_47radix_sort_onesweep_sort_config_static_selectorELNS0_4arch9wavefront6targetE0EEEvSG_,"axG",@progbits,_ZN7rocprim17ROCPRIM_400000_NS6detail17trampoline_kernelINS0_14default_configENS1_35radix_sort_onesweep_config_selectorIjNS0_10empty_typeEEEZZNS1_29radix_sort_onesweep_iterationIS3_Lb1EPKjPjPS5_SB_mNS0_19identity_decomposerENS1_16block_id_wrapperIjLb1EEEEE10hipError_tT1_PNSt15iterator_traitsISG_E10value_typeET2_T3_PNSH_ISM_E10value_typeET4_T5_PSR_SS_PNS1_23onesweep_lookback_stateEbbT6_jjT7_P12ihipStream_tbENKUlT_T0_SG_SL_E_clIS9_SA_SB_SB_EEDaSZ_S10_SG_SL_EUlSZ_E_NS1_11comp_targetILNS1_3genE0ELNS1_11target_archE4294967295ELNS1_3gpuE0ELNS1_3repE0EEENS1_47radix_sort_onesweep_sort_config_static_selectorELNS0_4arch9wavefront6targetE0EEEvSG_,comdat
.Lfunc_end2633:
	.size	_ZN7rocprim17ROCPRIM_400000_NS6detail17trampoline_kernelINS0_14default_configENS1_35radix_sort_onesweep_config_selectorIjNS0_10empty_typeEEEZZNS1_29radix_sort_onesweep_iterationIS3_Lb1EPKjPjPS5_SB_mNS0_19identity_decomposerENS1_16block_id_wrapperIjLb1EEEEE10hipError_tT1_PNSt15iterator_traitsISG_E10value_typeET2_T3_PNSH_ISM_E10value_typeET4_T5_PSR_SS_PNS1_23onesweep_lookback_stateEbbT6_jjT7_P12ihipStream_tbENKUlT_T0_SG_SL_E_clIS9_SA_SB_SB_EEDaSZ_S10_SG_SL_EUlSZ_E_NS1_11comp_targetILNS1_3genE0ELNS1_11target_archE4294967295ELNS1_3gpuE0ELNS1_3repE0EEENS1_47radix_sort_onesweep_sort_config_static_selectorELNS0_4arch9wavefront6targetE0EEEvSG_, .Lfunc_end2633-_ZN7rocprim17ROCPRIM_400000_NS6detail17trampoline_kernelINS0_14default_configENS1_35radix_sort_onesweep_config_selectorIjNS0_10empty_typeEEEZZNS1_29radix_sort_onesweep_iterationIS3_Lb1EPKjPjPS5_SB_mNS0_19identity_decomposerENS1_16block_id_wrapperIjLb1EEEEE10hipError_tT1_PNSt15iterator_traitsISG_E10value_typeET2_T3_PNSH_ISM_E10value_typeET4_T5_PSR_SS_PNS1_23onesweep_lookback_stateEbbT6_jjT7_P12ihipStream_tbENKUlT_T0_SG_SL_E_clIS9_SA_SB_SB_EEDaSZ_S10_SG_SL_EUlSZ_E_NS1_11comp_targetILNS1_3genE0ELNS1_11target_archE4294967295ELNS1_3gpuE0ELNS1_3repE0EEENS1_47radix_sort_onesweep_sort_config_static_selectorELNS0_4arch9wavefront6targetE0EEEvSG_
                                        ; -- End function
	.set _ZN7rocprim17ROCPRIM_400000_NS6detail17trampoline_kernelINS0_14default_configENS1_35radix_sort_onesweep_config_selectorIjNS0_10empty_typeEEEZZNS1_29radix_sort_onesweep_iterationIS3_Lb1EPKjPjPS5_SB_mNS0_19identity_decomposerENS1_16block_id_wrapperIjLb1EEEEE10hipError_tT1_PNSt15iterator_traitsISG_E10value_typeET2_T3_PNSH_ISM_E10value_typeET4_T5_PSR_SS_PNS1_23onesweep_lookback_stateEbbT6_jjT7_P12ihipStream_tbENKUlT_T0_SG_SL_E_clIS9_SA_SB_SB_EEDaSZ_S10_SG_SL_EUlSZ_E_NS1_11comp_targetILNS1_3genE0ELNS1_11target_archE4294967295ELNS1_3gpuE0ELNS1_3repE0EEENS1_47radix_sort_onesweep_sort_config_static_selectorELNS0_4arch9wavefront6targetE0EEEvSG_.num_vgpr, 65
	.set _ZN7rocprim17ROCPRIM_400000_NS6detail17trampoline_kernelINS0_14default_configENS1_35radix_sort_onesweep_config_selectorIjNS0_10empty_typeEEEZZNS1_29radix_sort_onesweep_iterationIS3_Lb1EPKjPjPS5_SB_mNS0_19identity_decomposerENS1_16block_id_wrapperIjLb1EEEEE10hipError_tT1_PNSt15iterator_traitsISG_E10value_typeET2_T3_PNSH_ISM_E10value_typeET4_T5_PSR_SS_PNS1_23onesweep_lookback_stateEbbT6_jjT7_P12ihipStream_tbENKUlT_T0_SG_SL_E_clIS9_SA_SB_SB_EEDaSZ_S10_SG_SL_EUlSZ_E_NS1_11comp_targetILNS1_3genE0ELNS1_11target_archE4294967295ELNS1_3gpuE0ELNS1_3repE0EEENS1_47radix_sort_onesweep_sort_config_static_selectorELNS0_4arch9wavefront6targetE0EEEvSG_.num_agpr, 0
	.set _ZN7rocprim17ROCPRIM_400000_NS6detail17trampoline_kernelINS0_14default_configENS1_35radix_sort_onesweep_config_selectorIjNS0_10empty_typeEEEZZNS1_29radix_sort_onesweep_iterationIS3_Lb1EPKjPjPS5_SB_mNS0_19identity_decomposerENS1_16block_id_wrapperIjLb1EEEEE10hipError_tT1_PNSt15iterator_traitsISG_E10value_typeET2_T3_PNSH_ISM_E10value_typeET4_T5_PSR_SS_PNS1_23onesweep_lookback_stateEbbT6_jjT7_P12ihipStream_tbENKUlT_T0_SG_SL_E_clIS9_SA_SB_SB_EEDaSZ_S10_SG_SL_EUlSZ_E_NS1_11comp_targetILNS1_3genE0ELNS1_11target_archE4294967295ELNS1_3gpuE0ELNS1_3repE0EEENS1_47radix_sort_onesweep_sort_config_static_selectorELNS0_4arch9wavefront6targetE0EEEvSG_.numbered_sgpr, 29
	.set _ZN7rocprim17ROCPRIM_400000_NS6detail17trampoline_kernelINS0_14default_configENS1_35radix_sort_onesweep_config_selectorIjNS0_10empty_typeEEEZZNS1_29radix_sort_onesweep_iterationIS3_Lb1EPKjPjPS5_SB_mNS0_19identity_decomposerENS1_16block_id_wrapperIjLb1EEEEE10hipError_tT1_PNSt15iterator_traitsISG_E10value_typeET2_T3_PNSH_ISM_E10value_typeET4_T5_PSR_SS_PNS1_23onesweep_lookback_stateEbbT6_jjT7_P12ihipStream_tbENKUlT_T0_SG_SL_E_clIS9_SA_SB_SB_EEDaSZ_S10_SG_SL_EUlSZ_E_NS1_11comp_targetILNS1_3genE0ELNS1_11target_archE4294967295ELNS1_3gpuE0ELNS1_3repE0EEENS1_47radix_sort_onesweep_sort_config_static_selectorELNS0_4arch9wavefront6targetE0EEEvSG_.num_named_barrier, 0
	.set _ZN7rocprim17ROCPRIM_400000_NS6detail17trampoline_kernelINS0_14default_configENS1_35radix_sort_onesweep_config_selectorIjNS0_10empty_typeEEEZZNS1_29radix_sort_onesweep_iterationIS3_Lb1EPKjPjPS5_SB_mNS0_19identity_decomposerENS1_16block_id_wrapperIjLb1EEEEE10hipError_tT1_PNSt15iterator_traitsISG_E10value_typeET2_T3_PNSH_ISM_E10value_typeET4_T5_PSR_SS_PNS1_23onesweep_lookback_stateEbbT6_jjT7_P12ihipStream_tbENKUlT_T0_SG_SL_E_clIS9_SA_SB_SB_EEDaSZ_S10_SG_SL_EUlSZ_E_NS1_11comp_targetILNS1_3genE0ELNS1_11target_archE4294967295ELNS1_3gpuE0ELNS1_3repE0EEENS1_47radix_sort_onesweep_sort_config_static_selectorELNS0_4arch9wavefront6targetE0EEEvSG_.private_seg_size, 0
	.set _ZN7rocprim17ROCPRIM_400000_NS6detail17trampoline_kernelINS0_14default_configENS1_35radix_sort_onesweep_config_selectorIjNS0_10empty_typeEEEZZNS1_29radix_sort_onesweep_iterationIS3_Lb1EPKjPjPS5_SB_mNS0_19identity_decomposerENS1_16block_id_wrapperIjLb1EEEEE10hipError_tT1_PNSt15iterator_traitsISG_E10value_typeET2_T3_PNSH_ISM_E10value_typeET4_T5_PSR_SS_PNS1_23onesweep_lookback_stateEbbT6_jjT7_P12ihipStream_tbENKUlT_T0_SG_SL_E_clIS9_SA_SB_SB_EEDaSZ_S10_SG_SL_EUlSZ_E_NS1_11comp_targetILNS1_3genE0ELNS1_11target_archE4294967295ELNS1_3gpuE0ELNS1_3repE0EEENS1_47radix_sort_onesweep_sort_config_static_selectorELNS0_4arch9wavefront6targetE0EEEvSG_.uses_vcc, 1
	.set _ZN7rocprim17ROCPRIM_400000_NS6detail17trampoline_kernelINS0_14default_configENS1_35radix_sort_onesweep_config_selectorIjNS0_10empty_typeEEEZZNS1_29radix_sort_onesweep_iterationIS3_Lb1EPKjPjPS5_SB_mNS0_19identity_decomposerENS1_16block_id_wrapperIjLb1EEEEE10hipError_tT1_PNSt15iterator_traitsISG_E10value_typeET2_T3_PNSH_ISM_E10value_typeET4_T5_PSR_SS_PNS1_23onesweep_lookback_stateEbbT6_jjT7_P12ihipStream_tbENKUlT_T0_SG_SL_E_clIS9_SA_SB_SB_EEDaSZ_S10_SG_SL_EUlSZ_E_NS1_11comp_targetILNS1_3genE0ELNS1_11target_archE4294967295ELNS1_3gpuE0ELNS1_3repE0EEENS1_47radix_sort_onesweep_sort_config_static_selectorELNS0_4arch9wavefront6targetE0EEEvSG_.uses_flat_scratch, 0
	.set _ZN7rocprim17ROCPRIM_400000_NS6detail17trampoline_kernelINS0_14default_configENS1_35radix_sort_onesweep_config_selectorIjNS0_10empty_typeEEEZZNS1_29radix_sort_onesweep_iterationIS3_Lb1EPKjPjPS5_SB_mNS0_19identity_decomposerENS1_16block_id_wrapperIjLb1EEEEE10hipError_tT1_PNSt15iterator_traitsISG_E10value_typeET2_T3_PNSH_ISM_E10value_typeET4_T5_PSR_SS_PNS1_23onesweep_lookback_stateEbbT6_jjT7_P12ihipStream_tbENKUlT_T0_SG_SL_E_clIS9_SA_SB_SB_EEDaSZ_S10_SG_SL_EUlSZ_E_NS1_11comp_targetILNS1_3genE0ELNS1_11target_archE4294967295ELNS1_3gpuE0ELNS1_3repE0EEENS1_47radix_sort_onesweep_sort_config_static_selectorELNS0_4arch9wavefront6targetE0EEEvSG_.has_dyn_sized_stack, 0
	.set _ZN7rocprim17ROCPRIM_400000_NS6detail17trampoline_kernelINS0_14default_configENS1_35radix_sort_onesweep_config_selectorIjNS0_10empty_typeEEEZZNS1_29radix_sort_onesweep_iterationIS3_Lb1EPKjPjPS5_SB_mNS0_19identity_decomposerENS1_16block_id_wrapperIjLb1EEEEE10hipError_tT1_PNSt15iterator_traitsISG_E10value_typeET2_T3_PNSH_ISM_E10value_typeET4_T5_PSR_SS_PNS1_23onesweep_lookback_stateEbbT6_jjT7_P12ihipStream_tbENKUlT_T0_SG_SL_E_clIS9_SA_SB_SB_EEDaSZ_S10_SG_SL_EUlSZ_E_NS1_11comp_targetILNS1_3genE0ELNS1_11target_archE4294967295ELNS1_3gpuE0ELNS1_3repE0EEENS1_47radix_sort_onesweep_sort_config_static_selectorELNS0_4arch9wavefront6targetE0EEEvSG_.has_recursion, 0
	.set _ZN7rocprim17ROCPRIM_400000_NS6detail17trampoline_kernelINS0_14default_configENS1_35radix_sort_onesweep_config_selectorIjNS0_10empty_typeEEEZZNS1_29radix_sort_onesweep_iterationIS3_Lb1EPKjPjPS5_SB_mNS0_19identity_decomposerENS1_16block_id_wrapperIjLb1EEEEE10hipError_tT1_PNSt15iterator_traitsISG_E10value_typeET2_T3_PNSH_ISM_E10value_typeET4_T5_PSR_SS_PNS1_23onesweep_lookback_stateEbbT6_jjT7_P12ihipStream_tbENKUlT_T0_SG_SL_E_clIS9_SA_SB_SB_EEDaSZ_S10_SG_SL_EUlSZ_E_NS1_11comp_targetILNS1_3genE0ELNS1_11target_archE4294967295ELNS1_3gpuE0ELNS1_3repE0EEENS1_47radix_sort_onesweep_sort_config_static_selectorELNS0_4arch9wavefront6targetE0EEEvSG_.has_indirect_call, 0
	.section	.AMDGPU.csdata,"",@progbits
; Kernel info:
; codeLenInByte = 15500
; TotalNumSgprs: 31
; NumVgprs: 65
; ScratchSize: 0
; MemoryBound: 0
; FloatMode: 240
; IeeeMode: 1
; LDSByteSize: 18504 bytes/workgroup (compile time only)
; SGPRBlocks: 0
; VGPRBlocks: 4
; NumSGPRsForWavesPerEU: 31
; NumVGPRsForWavesPerEU: 65
; NamedBarCnt: 0
; Occupancy: 12
; WaveLimiterHint : 1
; COMPUTE_PGM_RSRC2:SCRATCH_EN: 0
; COMPUTE_PGM_RSRC2:USER_SGPR: 2
; COMPUTE_PGM_RSRC2:TRAP_HANDLER: 0
; COMPUTE_PGM_RSRC2:TGID_X_EN: 1
; COMPUTE_PGM_RSRC2:TGID_Y_EN: 0
; COMPUTE_PGM_RSRC2:TGID_Z_EN: 0
; COMPUTE_PGM_RSRC2:TIDIG_COMP_CNT: 2
	.section	.text._ZN7rocprim17ROCPRIM_400000_NS6detail17trampoline_kernelINS0_14default_configENS1_35radix_sort_onesweep_config_selectorIjNS0_10empty_typeEEEZZNS1_29radix_sort_onesweep_iterationIS3_Lb1EPKjPjPS5_SB_mNS0_19identity_decomposerENS1_16block_id_wrapperIjLb1EEEEE10hipError_tT1_PNSt15iterator_traitsISG_E10value_typeET2_T3_PNSH_ISM_E10value_typeET4_T5_PSR_SS_PNS1_23onesweep_lookback_stateEbbT6_jjT7_P12ihipStream_tbENKUlT_T0_SG_SL_E_clIS9_SA_SB_SB_EEDaSZ_S10_SG_SL_EUlSZ_E_NS1_11comp_targetILNS1_3genE6ELNS1_11target_archE950ELNS1_3gpuE13ELNS1_3repE0EEENS1_47radix_sort_onesweep_sort_config_static_selectorELNS0_4arch9wavefront6targetE0EEEvSG_,"axG",@progbits,_ZN7rocprim17ROCPRIM_400000_NS6detail17trampoline_kernelINS0_14default_configENS1_35radix_sort_onesweep_config_selectorIjNS0_10empty_typeEEEZZNS1_29radix_sort_onesweep_iterationIS3_Lb1EPKjPjPS5_SB_mNS0_19identity_decomposerENS1_16block_id_wrapperIjLb1EEEEE10hipError_tT1_PNSt15iterator_traitsISG_E10value_typeET2_T3_PNSH_ISM_E10value_typeET4_T5_PSR_SS_PNS1_23onesweep_lookback_stateEbbT6_jjT7_P12ihipStream_tbENKUlT_T0_SG_SL_E_clIS9_SA_SB_SB_EEDaSZ_S10_SG_SL_EUlSZ_E_NS1_11comp_targetILNS1_3genE6ELNS1_11target_archE950ELNS1_3gpuE13ELNS1_3repE0EEENS1_47radix_sort_onesweep_sort_config_static_selectorELNS0_4arch9wavefront6targetE0EEEvSG_,comdat
	.protected	_ZN7rocprim17ROCPRIM_400000_NS6detail17trampoline_kernelINS0_14default_configENS1_35radix_sort_onesweep_config_selectorIjNS0_10empty_typeEEEZZNS1_29radix_sort_onesweep_iterationIS3_Lb1EPKjPjPS5_SB_mNS0_19identity_decomposerENS1_16block_id_wrapperIjLb1EEEEE10hipError_tT1_PNSt15iterator_traitsISG_E10value_typeET2_T3_PNSH_ISM_E10value_typeET4_T5_PSR_SS_PNS1_23onesweep_lookback_stateEbbT6_jjT7_P12ihipStream_tbENKUlT_T0_SG_SL_E_clIS9_SA_SB_SB_EEDaSZ_S10_SG_SL_EUlSZ_E_NS1_11comp_targetILNS1_3genE6ELNS1_11target_archE950ELNS1_3gpuE13ELNS1_3repE0EEENS1_47radix_sort_onesweep_sort_config_static_selectorELNS0_4arch9wavefront6targetE0EEEvSG_ ; -- Begin function _ZN7rocprim17ROCPRIM_400000_NS6detail17trampoline_kernelINS0_14default_configENS1_35radix_sort_onesweep_config_selectorIjNS0_10empty_typeEEEZZNS1_29radix_sort_onesweep_iterationIS3_Lb1EPKjPjPS5_SB_mNS0_19identity_decomposerENS1_16block_id_wrapperIjLb1EEEEE10hipError_tT1_PNSt15iterator_traitsISG_E10value_typeET2_T3_PNSH_ISM_E10value_typeET4_T5_PSR_SS_PNS1_23onesweep_lookback_stateEbbT6_jjT7_P12ihipStream_tbENKUlT_T0_SG_SL_E_clIS9_SA_SB_SB_EEDaSZ_S10_SG_SL_EUlSZ_E_NS1_11comp_targetILNS1_3genE6ELNS1_11target_archE950ELNS1_3gpuE13ELNS1_3repE0EEENS1_47radix_sort_onesweep_sort_config_static_selectorELNS0_4arch9wavefront6targetE0EEEvSG_
	.globl	_ZN7rocprim17ROCPRIM_400000_NS6detail17trampoline_kernelINS0_14default_configENS1_35radix_sort_onesweep_config_selectorIjNS0_10empty_typeEEEZZNS1_29radix_sort_onesweep_iterationIS3_Lb1EPKjPjPS5_SB_mNS0_19identity_decomposerENS1_16block_id_wrapperIjLb1EEEEE10hipError_tT1_PNSt15iterator_traitsISG_E10value_typeET2_T3_PNSH_ISM_E10value_typeET4_T5_PSR_SS_PNS1_23onesweep_lookback_stateEbbT6_jjT7_P12ihipStream_tbENKUlT_T0_SG_SL_E_clIS9_SA_SB_SB_EEDaSZ_S10_SG_SL_EUlSZ_E_NS1_11comp_targetILNS1_3genE6ELNS1_11target_archE950ELNS1_3gpuE13ELNS1_3repE0EEENS1_47radix_sort_onesweep_sort_config_static_selectorELNS0_4arch9wavefront6targetE0EEEvSG_
	.p2align	8
	.type	_ZN7rocprim17ROCPRIM_400000_NS6detail17trampoline_kernelINS0_14default_configENS1_35radix_sort_onesweep_config_selectorIjNS0_10empty_typeEEEZZNS1_29radix_sort_onesweep_iterationIS3_Lb1EPKjPjPS5_SB_mNS0_19identity_decomposerENS1_16block_id_wrapperIjLb1EEEEE10hipError_tT1_PNSt15iterator_traitsISG_E10value_typeET2_T3_PNSH_ISM_E10value_typeET4_T5_PSR_SS_PNS1_23onesweep_lookback_stateEbbT6_jjT7_P12ihipStream_tbENKUlT_T0_SG_SL_E_clIS9_SA_SB_SB_EEDaSZ_S10_SG_SL_EUlSZ_E_NS1_11comp_targetILNS1_3genE6ELNS1_11target_archE950ELNS1_3gpuE13ELNS1_3repE0EEENS1_47radix_sort_onesweep_sort_config_static_selectorELNS0_4arch9wavefront6targetE0EEEvSG_,@function
_ZN7rocprim17ROCPRIM_400000_NS6detail17trampoline_kernelINS0_14default_configENS1_35radix_sort_onesweep_config_selectorIjNS0_10empty_typeEEEZZNS1_29radix_sort_onesweep_iterationIS3_Lb1EPKjPjPS5_SB_mNS0_19identity_decomposerENS1_16block_id_wrapperIjLb1EEEEE10hipError_tT1_PNSt15iterator_traitsISG_E10value_typeET2_T3_PNSH_ISM_E10value_typeET4_T5_PSR_SS_PNS1_23onesweep_lookback_stateEbbT6_jjT7_P12ihipStream_tbENKUlT_T0_SG_SL_E_clIS9_SA_SB_SB_EEDaSZ_S10_SG_SL_EUlSZ_E_NS1_11comp_targetILNS1_3genE6ELNS1_11target_archE950ELNS1_3gpuE13ELNS1_3repE0EEENS1_47radix_sort_onesweep_sort_config_static_selectorELNS0_4arch9wavefront6targetE0EEEvSG_: ; @_ZN7rocprim17ROCPRIM_400000_NS6detail17trampoline_kernelINS0_14default_configENS1_35radix_sort_onesweep_config_selectorIjNS0_10empty_typeEEEZZNS1_29radix_sort_onesweep_iterationIS3_Lb1EPKjPjPS5_SB_mNS0_19identity_decomposerENS1_16block_id_wrapperIjLb1EEEEE10hipError_tT1_PNSt15iterator_traitsISG_E10value_typeET2_T3_PNSH_ISM_E10value_typeET4_T5_PSR_SS_PNS1_23onesweep_lookback_stateEbbT6_jjT7_P12ihipStream_tbENKUlT_T0_SG_SL_E_clIS9_SA_SB_SB_EEDaSZ_S10_SG_SL_EUlSZ_E_NS1_11comp_targetILNS1_3genE6ELNS1_11target_archE950ELNS1_3gpuE13ELNS1_3repE0EEENS1_47radix_sort_onesweep_sort_config_static_selectorELNS0_4arch9wavefront6targetE0EEEvSG_
; %bb.0:
	.section	.rodata,"a",@progbits
	.p2align	6, 0x0
	.amdhsa_kernel _ZN7rocprim17ROCPRIM_400000_NS6detail17trampoline_kernelINS0_14default_configENS1_35radix_sort_onesweep_config_selectorIjNS0_10empty_typeEEEZZNS1_29radix_sort_onesweep_iterationIS3_Lb1EPKjPjPS5_SB_mNS0_19identity_decomposerENS1_16block_id_wrapperIjLb1EEEEE10hipError_tT1_PNSt15iterator_traitsISG_E10value_typeET2_T3_PNSH_ISM_E10value_typeET4_T5_PSR_SS_PNS1_23onesweep_lookback_stateEbbT6_jjT7_P12ihipStream_tbENKUlT_T0_SG_SL_E_clIS9_SA_SB_SB_EEDaSZ_S10_SG_SL_EUlSZ_E_NS1_11comp_targetILNS1_3genE6ELNS1_11target_archE950ELNS1_3gpuE13ELNS1_3repE0EEENS1_47radix_sort_onesweep_sort_config_static_selectorELNS0_4arch9wavefront6targetE0EEEvSG_
		.amdhsa_group_segment_fixed_size 0
		.amdhsa_private_segment_fixed_size 0
		.amdhsa_kernarg_size 88
		.amdhsa_user_sgpr_count 2
		.amdhsa_user_sgpr_dispatch_ptr 0
		.amdhsa_user_sgpr_queue_ptr 0
		.amdhsa_user_sgpr_kernarg_segment_ptr 1
		.amdhsa_user_sgpr_dispatch_id 0
		.amdhsa_user_sgpr_kernarg_preload_length 0
		.amdhsa_user_sgpr_kernarg_preload_offset 0
		.amdhsa_user_sgpr_private_segment_size 0
		.amdhsa_wavefront_size32 1
		.amdhsa_uses_dynamic_stack 0
		.amdhsa_enable_private_segment 0
		.amdhsa_system_sgpr_workgroup_id_x 1
		.amdhsa_system_sgpr_workgroup_id_y 0
		.amdhsa_system_sgpr_workgroup_id_z 0
		.amdhsa_system_sgpr_workgroup_info 0
		.amdhsa_system_vgpr_workitem_id 0
		.amdhsa_next_free_vgpr 1
		.amdhsa_next_free_sgpr 1
		.amdhsa_named_barrier_count 0
		.amdhsa_reserve_vcc 0
		.amdhsa_float_round_mode_32 0
		.amdhsa_float_round_mode_16_64 0
		.amdhsa_float_denorm_mode_32 3
		.amdhsa_float_denorm_mode_16_64 3
		.amdhsa_fp16_overflow 0
		.amdhsa_memory_ordered 1
		.amdhsa_forward_progress 1
		.amdhsa_inst_pref_size 0
		.amdhsa_round_robin_scheduling 0
		.amdhsa_exception_fp_ieee_invalid_op 0
		.amdhsa_exception_fp_denorm_src 0
		.amdhsa_exception_fp_ieee_div_zero 0
		.amdhsa_exception_fp_ieee_overflow 0
		.amdhsa_exception_fp_ieee_underflow 0
		.amdhsa_exception_fp_ieee_inexact 0
		.amdhsa_exception_int_div_zero 0
	.end_amdhsa_kernel
	.section	.text._ZN7rocprim17ROCPRIM_400000_NS6detail17trampoline_kernelINS0_14default_configENS1_35radix_sort_onesweep_config_selectorIjNS0_10empty_typeEEEZZNS1_29radix_sort_onesweep_iterationIS3_Lb1EPKjPjPS5_SB_mNS0_19identity_decomposerENS1_16block_id_wrapperIjLb1EEEEE10hipError_tT1_PNSt15iterator_traitsISG_E10value_typeET2_T3_PNSH_ISM_E10value_typeET4_T5_PSR_SS_PNS1_23onesweep_lookback_stateEbbT6_jjT7_P12ihipStream_tbENKUlT_T0_SG_SL_E_clIS9_SA_SB_SB_EEDaSZ_S10_SG_SL_EUlSZ_E_NS1_11comp_targetILNS1_3genE6ELNS1_11target_archE950ELNS1_3gpuE13ELNS1_3repE0EEENS1_47radix_sort_onesweep_sort_config_static_selectorELNS0_4arch9wavefront6targetE0EEEvSG_,"axG",@progbits,_ZN7rocprim17ROCPRIM_400000_NS6detail17trampoline_kernelINS0_14default_configENS1_35radix_sort_onesweep_config_selectorIjNS0_10empty_typeEEEZZNS1_29radix_sort_onesweep_iterationIS3_Lb1EPKjPjPS5_SB_mNS0_19identity_decomposerENS1_16block_id_wrapperIjLb1EEEEE10hipError_tT1_PNSt15iterator_traitsISG_E10value_typeET2_T3_PNSH_ISM_E10value_typeET4_T5_PSR_SS_PNS1_23onesweep_lookback_stateEbbT6_jjT7_P12ihipStream_tbENKUlT_T0_SG_SL_E_clIS9_SA_SB_SB_EEDaSZ_S10_SG_SL_EUlSZ_E_NS1_11comp_targetILNS1_3genE6ELNS1_11target_archE950ELNS1_3gpuE13ELNS1_3repE0EEENS1_47radix_sort_onesweep_sort_config_static_selectorELNS0_4arch9wavefront6targetE0EEEvSG_,comdat
.Lfunc_end2634:
	.size	_ZN7rocprim17ROCPRIM_400000_NS6detail17trampoline_kernelINS0_14default_configENS1_35radix_sort_onesweep_config_selectorIjNS0_10empty_typeEEEZZNS1_29radix_sort_onesweep_iterationIS3_Lb1EPKjPjPS5_SB_mNS0_19identity_decomposerENS1_16block_id_wrapperIjLb1EEEEE10hipError_tT1_PNSt15iterator_traitsISG_E10value_typeET2_T3_PNSH_ISM_E10value_typeET4_T5_PSR_SS_PNS1_23onesweep_lookback_stateEbbT6_jjT7_P12ihipStream_tbENKUlT_T0_SG_SL_E_clIS9_SA_SB_SB_EEDaSZ_S10_SG_SL_EUlSZ_E_NS1_11comp_targetILNS1_3genE6ELNS1_11target_archE950ELNS1_3gpuE13ELNS1_3repE0EEENS1_47radix_sort_onesweep_sort_config_static_selectorELNS0_4arch9wavefront6targetE0EEEvSG_, .Lfunc_end2634-_ZN7rocprim17ROCPRIM_400000_NS6detail17trampoline_kernelINS0_14default_configENS1_35radix_sort_onesweep_config_selectorIjNS0_10empty_typeEEEZZNS1_29radix_sort_onesweep_iterationIS3_Lb1EPKjPjPS5_SB_mNS0_19identity_decomposerENS1_16block_id_wrapperIjLb1EEEEE10hipError_tT1_PNSt15iterator_traitsISG_E10value_typeET2_T3_PNSH_ISM_E10value_typeET4_T5_PSR_SS_PNS1_23onesweep_lookback_stateEbbT6_jjT7_P12ihipStream_tbENKUlT_T0_SG_SL_E_clIS9_SA_SB_SB_EEDaSZ_S10_SG_SL_EUlSZ_E_NS1_11comp_targetILNS1_3genE6ELNS1_11target_archE950ELNS1_3gpuE13ELNS1_3repE0EEENS1_47radix_sort_onesweep_sort_config_static_selectorELNS0_4arch9wavefront6targetE0EEEvSG_
                                        ; -- End function
	.set _ZN7rocprim17ROCPRIM_400000_NS6detail17trampoline_kernelINS0_14default_configENS1_35radix_sort_onesweep_config_selectorIjNS0_10empty_typeEEEZZNS1_29radix_sort_onesweep_iterationIS3_Lb1EPKjPjPS5_SB_mNS0_19identity_decomposerENS1_16block_id_wrapperIjLb1EEEEE10hipError_tT1_PNSt15iterator_traitsISG_E10value_typeET2_T3_PNSH_ISM_E10value_typeET4_T5_PSR_SS_PNS1_23onesweep_lookback_stateEbbT6_jjT7_P12ihipStream_tbENKUlT_T0_SG_SL_E_clIS9_SA_SB_SB_EEDaSZ_S10_SG_SL_EUlSZ_E_NS1_11comp_targetILNS1_3genE6ELNS1_11target_archE950ELNS1_3gpuE13ELNS1_3repE0EEENS1_47radix_sort_onesweep_sort_config_static_selectorELNS0_4arch9wavefront6targetE0EEEvSG_.num_vgpr, 0
	.set _ZN7rocprim17ROCPRIM_400000_NS6detail17trampoline_kernelINS0_14default_configENS1_35radix_sort_onesweep_config_selectorIjNS0_10empty_typeEEEZZNS1_29radix_sort_onesweep_iterationIS3_Lb1EPKjPjPS5_SB_mNS0_19identity_decomposerENS1_16block_id_wrapperIjLb1EEEEE10hipError_tT1_PNSt15iterator_traitsISG_E10value_typeET2_T3_PNSH_ISM_E10value_typeET4_T5_PSR_SS_PNS1_23onesweep_lookback_stateEbbT6_jjT7_P12ihipStream_tbENKUlT_T0_SG_SL_E_clIS9_SA_SB_SB_EEDaSZ_S10_SG_SL_EUlSZ_E_NS1_11comp_targetILNS1_3genE6ELNS1_11target_archE950ELNS1_3gpuE13ELNS1_3repE0EEENS1_47radix_sort_onesweep_sort_config_static_selectorELNS0_4arch9wavefront6targetE0EEEvSG_.num_agpr, 0
	.set _ZN7rocprim17ROCPRIM_400000_NS6detail17trampoline_kernelINS0_14default_configENS1_35radix_sort_onesweep_config_selectorIjNS0_10empty_typeEEEZZNS1_29radix_sort_onesweep_iterationIS3_Lb1EPKjPjPS5_SB_mNS0_19identity_decomposerENS1_16block_id_wrapperIjLb1EEEEE10hipError_tT1_PNSt15iterator_traitsISG_E10value_typeET2_T3_PNSH_ISM_E10value_typeET4_T5_PSR_SS_PNS1_23onesweep_lookback_stateEbbT6_jjT7_P12ihipStream_tbENKUlT_T0_SG_SL_E_clIS9_SA_SB_SB_EEDaSZ_S10_SG_SL_EUlSZ_E_NS1_11comp_targetILNS1_3genE6ELNS1_11target_archE950ELNS1_3gpuE13ELNS1_3repE0EEENS1_47radix_sort_onesweep_sort_config_static_selectorELNS0_4arch9wavefront6targetE0EEEvSG_.numbered_sgpr, 0
	.set _ZN7rocprim17ROCPRIM_400000_NS6detail17trampoline_kernelINS0_14default_configENS1_35radix_sort_onesweep_config_selectorIjNS0_10empty_typeEEEZZNS1_29radix_sort_onesweep_iterationIS3_Lb1EPKjPjPS5_SB_mNS0_19identity_decomposerENS1_16block_id_wrapperIjLb1EEEEE10hipError_tT1_PNSt15iterator_traitsISG_E10value_typeET2_T3_PNSH_ISM_E10value_typeET4_T5_PSR_SS_PNS1_23onesweep_lookback_stateEbbT6_jjT7_P12ihipStream_tbENKUlT_T0_SG_SL_E_clIS9_SA_SB_SB_EEDaSZ_S10_SG_SL_EUlSZ_E_NS1_11comp_targetILNS1_3genE6ELNS1_11target_archE950ELNS1_3gpuE13ELNS1_3repE0EEENS1_47radix_sort_onesweep_sort_config_static_selectorELNS0_4arch9wavefront6targetE0EEEvSG_.num_named_barrier, 0
	.set _ZN7rocprim17ROCPRIM_400000_NS6detail17trampoline_kernelINS0_14default_configENS1_35radix_sort_onesweep_config_selectorIjNS0_10empty_typeEEEZZNS1_29radix_sort_onesweep_iterationIS3_Lb1EPKjPjPS5_SB_mNS0_19identity_decomposerENS1_16block_id_wrapperIjLb1EEEEE10hipError_tT1_PNSt15iterator_traitsISG_E10value_typeET2_T3_PNSH_ISM_E10value_typeET4_T5_PSR_SS_PNS1_23onesweep_lookback_stateEbbT6_jjT7_P12ihipStream_tbENKUlT_T0_SG_SL_E_clIS9_SA_SB_SB_EEDaSZ_S10_SG_SL_EUlSZ_E_NS1_11comp_targetILNS1_3genE6ELNS1_11target_archE950ELNS1_3gpuE13ELNS1_3repE0EEENS1_47radix_sort_onesweep_sort_config_static_selectorELNS0_4arch9wavefront6targetE0EEEvSG_.private_seg_size, 0
	.set _ZN7rocprim17ROCPRIM_400000_NS6detail17trampoline_kernelINS0_14default_configENS1_35radix_sort_onesweep_config_selectorIjNS0_10empty_typeEEEZZNS1_29radix_sort_onesweep_iterationIS3_Lb1EPKjPjPS5_SB_mNS0_19identity_decomposerENS1_16block_id_wrapperIjLb1EEEEE10hipError_tT1_PNSt15iterator_traitsISG_E10value_typeET2_T3_PNSH_ISM_E10value_typeET4_T5_PSR_SS_PNS1_23onesweep_lookback_stateEbbT6_jjT7_P12ihipStream_tbENKUlT_T0_SG_SL_E_clIS9_SA_SB_SB_EEDaSZ_S10_SG_SL_EUlSZ_E_NS1_11comp_targetILNS1_3genE6ELNS1_11target_archE950ELNS1_3gpuE13ELNS1_3repE0EEENS1_47radix_sort_onesweep_sort_config_static_selectorELNS0_4arch9wavefront6targetE0EEEvSG_.uses_vcc, 0
	.set _ZN7rocprim17ROCPRIM_400000_NS6detail17trampoline_kernelINS0_14default_configENS1_35radix_sort_onesweep_config_selectorIjNS0_10empty_typeEEEZZNS1_29radix_sort_onesweep_iterationIS3_Lb1EPKjPjPS5_SB_mNS0_19identity_decomposerENS1_16block_id_wrapperIjLb1EEEEE10hipError_tT1_PNSt15iterator_traitsISG_E10value_typeET2_T3_PNSH_ISM_E10value_typeET4_T5_PSR_SS_PNS1_23onesweep_lookback_stateEbbT6_jjT7_P12ihipStream_tbENKUlT_T0_SG_SL_E_clIS9_SA_SB_SB_EEDaSZ_S10_SG_SL_EUlSZ_E_NS1_11comp_targetILNS1_3genE6ELNS1_11target_archE950ELNS1_3gpuE13ELNS1_3repE0EEENS1_47radix_sort_onesweep_sort_config_static_selectorELNS0_4arch9wavefront6targetE0EEEvSG_.uses_flat_scratch, 0
	.set _ZN7rocprim17ROCPRIM_400000_NS6detail17trampoline_kernelINS0_14default_configENS1_35radix_sort_onesweep_config_selectorIjNS0_10empty_typeEEEZZNS1_29radix_sort_onesweep_iterationIS3_Lb1EPKjPjPS5_SB_mNS0_19identity_decomposerENS1_16block_id_wrapperIjLb1EEEEE10hipError_tT1_PNSt15iterator_traitsISG_E10value_typeET2_T3_PNSH_ISM_E10value_typeET4_T5_PSR_SS_PNS1_23onesweep_lookback_stateEbbT6_jjT7_P12ihipStream_tbENKUlT_T0_SG_SL_E_clIS9_SA_SB_SB_EEDaSZ_S10_SG_SL_EUlSZ_E_NS1_11comp_targetILNS1_3genE6ELNS1_11target_archE950ELNS1_3gpuE13ELNS1_3repE0EEENS1_47radix_sort_onesweep_sort_config_static_selectorELNS0_4arch9wavefront6targetE0EEEvSG_.has_dyn_sized_stack, 0
	.set _ZN7rocprim17ROCPRIM_400000_NS6detail17trampoline_kernelINS0_14default_configENS1_35radix_sort_onesweep_config_selectorIjNS0_10empty_typeEEEZZNS1_29radix_sort_onesweep_iterationIS3_Lb1EPKjPjPS5_SB_mNS0_19identity_decomposerENS1_16block_id_wrapperIjLb1EEEEE10hipError_tT1_PNSt15iterator_traitsISG_E10value_typeET2_T3_PNSH_ISM_E10value_typeET4_T5_PSR_SS_PNS1_23onesweep_lookback_stateEbbT6_jjT7_P12ihipStream_tbENKUlT_T0_SG_SL_E_clIS9_SA_SB_SB_EEDaSZ_S10_SG_SL_EUlSZ_E_NS1_11comp_targetILNS1_3genE6ELNS1_11target_archE950ELNS1_3gpuE13ELNS1_3repE0EEENS1_47radix_sort_onesweep_sort_config_static_selectorELNS0_4arch9wavefront6targetE0EEEvSG_.has_recursion, 0
	.set _ZN7rocprim17ROCPRIM_400000_NS6detail17trampoline_kernelINS0_14default_configENS1_35radix_sort_onesweep_config_selectorIjNS0_10empty_typeEEEZZNS1_29radix_sort_onesweep_iterationIS3_Lb1EPKjPjPS5_SB_mNS0_19identity_decomposerENS1_16block_id_wrapperIjLb1EEEEE10hipError_tT1_PNSt15iterator_traitsISG_E10value_typeET2_T3_PNSH_ISM_E10value_typeET4_T5_PSR_SS_PNS1_23onesweep_lookback_stateEbbT6_jjT7_P12ihipStream_tbENKUlT_T0_SG_SL_E_clIS9_SA_SB_SB_EEDaSZ_S10_SG_SL_EUlSZ_E_NS1_11comp_targetILNS1_3genE6ELNS1_11target_archE950ELNS1_3gpuE13ELNS1_3repE0EEENS1_47radix_sort_onesweep_sort_config_static_selectorELNS0_4arch9wavefront6targetE0EEEvSG_.has_indirect_call, 0
	.section	.AMDGPU.csdata,"",@progbits
; Kernel info:
; codeLenInByte = 0
; TotalNumSgprs: 0
; NumVgprs: 0
; ScratchSize: 0
; MemoryBound: 0
; FloatMode: 240
; IeeeMode: 1
; LDSByteSize: 0 bytes/workgroup (compile time only)
; SGPRBlocks: 0
; VGPRBlocks: 0
; NumSGPRsForWavesPerEU: 1
; NumVGPRsForWavesPerEU: 1
; NamedBarCnt: 0
; Occupancy: 16
; WaveLimiterHint : 0
; COMPUTE_PGM_RSRC2:SCRATCH_EN: 0
; COMPUTE_PGM_RSRC2:USER_SGPR: 2
; COMPUTE_PGM_RSRC2:TRAP_HANDLER: 0
; COMPUTE_PGM_RSRC2:TGID_X_EN: 1
; COMPUTE_PGM_RSRC2:TGID_Y_EN: 0
; COMPUTE_PGM_RSRC2:TGID_Z_EN: 0
; COMPUTE_PGM_RSRC2:TIDIG_COMP_CNT: 0
	.section	.text._ZN7rocprim17ROCPRIM_400000_NS6detail17trampoline_kernelINS0_14default_configENS1_35radix_sort_onesweep_config_selectorIjNS0_10empty_typeEEEZZNS1_29radix_sort_onesweep_iterationIS3_Lb1EPKjPjPS5_SB_mNS0_19identity_decomposerENS1_16block_id_wrapperIjLb1EEEEE10hipError_tT1_PNSt15iterator_traitsISG_E10value_typeET2_T3_PNSH_ISM_E10value_typeET4_T5_PSR_SS_PNS1_23onesweep_lookback_stateEbbT6_jjT7_P12ihipStream_tbENKUlT_T0_SG_SL_E_clIS9_SA_SB_SB_EEDaSZ_S10_SG_SL_EUlSZ_E_NS1_11comp_targetILNS1_3genE5ELNS1_11target_archE942ELNS1_3gpuE9ELNS1_3repE0EEENS1_47radix_sort_onesweep_sort_config_static_selectorELNS0_4arch9wavefront6targetE0EEEvSG_,"axG",@progbits,_ZN7rocprim17ROCPRIM_400000_NS6detail17trampoline_kernelINS0_14default_configENS1_35radix_sort_onesweep_config_selectorIjNS0_10empty_typeEEEZZNS1_29radix_sort_onesweep_iterationIS3_Lb1EPKjPjPS5_SB_mNS0_19identity_decomposerENS1_16block_id_wrapperIjLb1EEEEE10hipError_tT1_PNSt15iterator_traitsISG_E10value_typeET2_T3_PNSH_ISM_E10value_typeET4_T5_PSR_SS_PNS1_23onesweep_lookback_stateEbbT6_jjT7_P12ihipStream_tbENKUlT_T0_SG_SL_E_clIS9_SA_SB_SB_EEDaSZ_S10_SG_SL_EUlSZ_E_NS1_11comp_targetILNS1_3genE5ELNS1_11target_archE942ELNS1_3gpuE9ELNS1_3repE0EEENS1_47radix_sort_onesweep_sort_config_static_selectorELNS0_4arch9wavefront6targetE0EEEvSG_,comdat
	.protected	_ZN7rocprim17ROCPRIM_400000_NS6detail17trampoline_kernelINS0_14default_configENS1_35radix_sort_onesweep_config_selectorIjNS0_10empty_typeEEEZZNS1_29radix_sort_onesweep_iterationIS3_Lb1EPKjPjPS5_SB_mNS0_19identity_decomposerENS1_16block_id_wrapperIjLb1EEEEE10hipError_tT1_PNSt15iterator_traitsISG_E10value_typeET2_T3_PNSH_ISM_E10value_typeET4_T5_PSR_SS_PNS1_23onesweep_lookback_stateEbbT6_jjT7_P12ihipStream_tbENKUlT_T0_SG_SL_E_clIS9_SA_SB_SB_EEDaSZ_S10_SG_SL_EUlSZ_E_NS1_11comp_targetILNS1_3genE5ELNS1_11target_archE942ELNS1_3gpuE9ELNS1_3repE0EEENS1_47radix_sort_onesweep_sort_config_static_selectorELNS0_4arch9wavefront6targetE0EEEvSG_ ; -- Begin function _ZN7rocprim17ROCPRIM_400000_NS6detail17trampoline_kernelINS0_14default_configENS1_35radix_sort_onesweep_config_selectorIjNS0_10empty_typeEEEZZNS1_29radix_sort_onesweep_iterationIS3_Lb1EPKjPjPS5_SB_mNS0_19identity_decomposerENS1_16block_id_wrapperIjLb1EEEEE10hipError_tT1_PNSt15iterator_traitsISG_E10value_typeET2_T3_PNSH_ISM_E10value_typeET4_T5_PSR_SS_PNS1_23onesweep_lookback_stateEbbT6_jjT7_P12ihipStream_tbENKUlT_T0_SG_SL_E_clIS9_SA_SB_SB_EEDaSZ_S10_SG_SL_EUlSZ_E_NS1_11comp_targetILNS1_3genE5ELNS1_11target_archE942ELNS1_3gpuE9ELNS1_3repE0EEENS1_47radix_sort_onesweep_sort_config_static_selectorELNS0_4arch9wavefront6targetE0EEEvSG_
	.globl	_ZN7rocprim17ROCPRIM_400000_NS6detail17trampoline_kernelINS0_14default_configENS1_35radix_sort_onesweep_config_selectorIjNS0_10empty_typeEEEZZNS1_29radix_sort_onesweep_iterationIS3_Lb1EPKjPjPS5_SB_mNS0_19identity_decomposerENS1_16block_id_wrapperIjLb1EEEEE10hipError_tT1_PNSt15iterator_traitsISG_E10value_typeET2_T3_PNSH_ISM_E10value_typeET4_T5_PSR_SS_PNS1_23onesweep_lookback_stateEbbT6_jjT7_P12ihipStream_tbENKUlT_T0_SG_SL_E_clIS9_SA_SB_SB_EEDaSZ_S10_SG_SL_EUlSZ_E_NS1_11comp_targetILNS1_3genE5ELNS1_11target_archE942ELNS1_3gpuE9ELNS1_3repE0EEENS1_47radix_sort_onesweep_sort_config_static_selectorELNS0_4arch9wavefront6targetE0EEEvSG_
	.p2align	8
	.type	_ZN7rocprim17ROCPRIM_400000_NS6detail17trampoline_kernelINS0_14default_configENS1_35radix_sort_onesweep_config_selectorIjNS0_10empty_typeEEEZZNS1_29radix_sort_onesweep_iterationIS3_Lb1EPKjPjPS5_SB_mNS0_19identity_decomposerENS1_16block_id_wrapperIjLb1EEEEE10hipError_tT1_PNSt15iterator_traitsISG_E10value_typeET2_T3_PNSH_ISM_E10value_typeET4_T5_PSR_SS_PNS1_23onesweep_lookback_stateEbbT6_jjT7_P12ihipStream_tbENKUlT_T0_SG_SL_E_clIS9_SA_SB_SB_EEDaSZ_S10_SG_SL_EUlSZ_E_NS1_11comp_targetILNS1_3genE5ELNS1_11target_archE942ELNS1_3gpuE9ELNS1_3repE0EEENS1_47radix_sort_onesweep_sort_config_static_selectorELNS0_4arch9wavefront6targetE0EEEvSG_,@function
_ZN7rocprim17ROCPRIM_400000_NS6detail17trampoline_kernelINS0_14default_configENS1_35radix_sort_onesweep_config_selectorIjNS0_10empty_typeEEEZZNS1_29radix_sort_onesweep_iterationIS3_Lb1EPKjPjPS5_SB_mNS0_19identity_decomposerENS1_16block_id_wrapperIjLb1EEEEE10hipError_tT1_PNSt15iterator_traitsISG_E10value_typeET2_T3_PNSH_ISM_E10value_typeET4_T5_PSR_SS_PNS1_23onesweep_lookback_stateEbbT6_jjT7_P12ihipStream_tbENKUlT_T0_SG_SL_E_clIS9_SA_SB_SB_EEDaSZ_S10_SG_SL_EUlSZ_E_NS1_11comp_targetILNS1_3genE5ELNS1_11target_archE942ELNS1_3gpuE9ELNS1_3repE0EEENS1_47radix_sort_onesweep_sort_config_static_selectorELNS0_4arch9wavefront6targetE0EEEvSG_: ; @_ZN7rocprim17ROCPRIM_400000_NS6detail17trampoline_kernelINS0_14default_configENS1_35radix_sort_onesweep_config_selectorIjNS0_10empty_typeEEEZZNS1_29radix_sort_onesweep_iterationIS3_Lb1EPKjPjPS5_SB_mNS0_19identity_decomposerENS1_16block_id_wrapperIjLb1EEEEE10hipError_tT1_PNSt15iterator_traitsISG_E10value_typeET2_T3_PNSH_ISM_E10value_typeET4_T5_PSR_SS_PNS1_23onesweep_lookback_stateEbbT6_jjT7_P12ihipStream_tbENKUlT_T0_SG_SL_E_clIS9_SA_SB_SB_EEDaSZ_S10_SG_SL_EUlSZ_E_NS1_11comp_targetILNS1_3genE5ELNS1_11target_archE942ELNS1_3gpuE9ELNS1_3repE0EEENS1_47radix_sort_onesweep_sort_config_static_selectorELNS0_4arch9wavefront6targetE0EEEvSG_
; %bb.0:
	.section	.rodata,"a",@progbits
	.p2align	6, 0x0
	.amdhsa_kernel _ZN7rocprim17ROCPRIM_400000_NS6detail17trampoline_kernelINS0_14default_configENS1_35radix_sort_onesweep_config_selectorIjNS0_10empty_typeEEEZZNS1_29radix_sort_onesweep_iterationIS3_Lb1EPKjPjPS5_SB_mNS0_19identity_decomposerENS1_16block_id_wrapperIjLb1EEEEE10hipError_tT1_PNSt15iterator_traitsISG_E10value_typeET2_T3_PNSH_ISM_E10value_typeET4_T5_PSR_SS_PNS1_23onesweep_lookback_stateEbbT6_jjT7_P12ihipStream_tbENKUlT_T0_SG_SL_E_clIS9_SA_SB_SB_EEDaSZ_S10_SG_SL_EUlSZ_E_NS1_11comp_targetILNS1_3genE5ELNS1_11target_archE942ELNS1_3gpuE9ELNS1_3repE0EEENS1_47radix_sort_onesweep_sort_config_static_selectorELNS0_4arch9wavefront6targetE0EEEvSG_
		.amdhsa_group_segment_fixed_size 0
		.amdhsa_private_segment_fixed_size 0
		.amdhsa_kernarg_size 88
		.amdhsa_user_sgpr_count 2
		.amdhsa_user_sgpr_dispatch_ptr 0
		.amdhsa_user_sgpr_queue_ptr 0
		.amdhsa_user_sgpr_kernarg_segment_ptr 1
		.amdhsa_user_sgpr_dispatch_id 0
		.amdhsa_user_sgpr_kernarg_preload_length 0
		.amdhsa_user_sgpr_kernarg_preload_offset 0
		.amdhsa_user_sgpr_private_segment_size 0
		.amdhsa_wavefront_size32 1
		.amdhsa_uses_dynamic_stack 0
		.amdhsa_enable_private_segment 0
		.amdhsa_system_sgpr_workgroup_id_x 1
		.amdhsa_system_sgpr_workgroup_id_y 0
		.amdhsa_system_sgpr_workgroup_id_z 0
		.amdhsa_system_sgpr_workgroup_info 0
		.amdhsa_system_vgpr_workitem_id 0
		.amdhsa_next_free_vgpr 1
		.amdhsa_next_free_sgpr 1
		.amdhsa_named_barrier_count 0
		.amdhsa_reserve_vcc 0
		.amdhsa_float_round_mode_32 0
		.amdhsa_float_round_mode_16_64 0
		.amdhsa_float_denorm_mode_32 3
		.amdhsa_float_denorm_mode_16_64 3
		.amdhsa_fp16_overflow 0
		.amdhsa_memory_ordered 1
		.amdhsa_forward_progress 1
		.amdhsa_inst_pref_size 0
		.amdhsa_round_robin_scheduling 0
		.amdhsa_exception_fp_ieee_invalid_op 0
		.amdhsa_exception_fp_denorm_src 0
		.amdhsa_exception_fp_ieee_div_zero 0
		.amdhsa_exception_fp_ieee_overflow 0
		.amdhsa_exception_fp_ieee_underflow 0
		.amdhsa_exception_fp_ieee_inexact 0
		.amdhsa_exception_int_div_zero 0
	.end_amdhsa_kernel
	.section	.text._ZN7rocprim17ROCPRIM_400000_NS6detail17trampoline_kernelINS0_14default_configENS1_35radix_sort_onesweep_config_selectorIjNS0_10empty_typeEEEZZNS1_29radix_sort_onesweep_iterationIS3_Lb1EPKjPjPS5_SB_mNS0_19identity_decomposerENS1_16block_id_wrapperIjLb1EEEEE10hipError_tT1_PNSt15iterator_traitsISG_E10value_typeET2_T3_PNSH_ISM_E10value_typeET4_T5_PSR_SS_PNS1_23onesweep_lookback_stateEbbT6_jjT7_P12ihipStream_tbENKUlT_T0_SG_SL_E_clIS9_SA_SB_SB_EEDaSZ_S10_SG_SL_EUlSZ_E_NS1_11comp_targetILNS1_3genE5ELNS1_11target_archE942ELNS1_3gpuE9ELNS1_3repE0EEENS1_47radix_sort_onesweep_sort_config_static_selectorELNS0_4arch9wavefront6targetE0EEEvSG_,"axG",@progbits,_ZN7rocprim17ROCPRIM_400000_NS6detail17trampoline_kernelINS0_14default_configENS1_35radix_sort_onesweep_config_selectorIjNS0_10empty_typeEEEZZNS1_29radix_sort_onesweep_iterationIS3_Lb1EPKjPjPS5_SB_mNS0_19identity_decomposerENS1_16block_id_wrapperIjLb1EEEEE10hipError_tT1_PNSt15iterator_traitsISG_E10value_typeET2_T3_PNSH_ISM_E10value_typeET4_T5_PSR_SS_PNS1_23onesweep_lookback_stateEbbT6_jjT7_P12ihipStream_tbENKUlT_T0_SG_SL_E_clIS9_SA_SB_SB_EEDaSZ_S10_SG_SL_EUlSZ_E_NS1_11comp_targetILNS1_3genE5ELNS1_11target_archE942ELNS1_3gpuE9ELNS1_3repE0EEENS1_47radix_sort_onesweep_sort_config_static_selectorELNS0_4arch9wavefront6targetE0EEEvSG_,comdat
.Lfunc_end2635:
	.size	_ZN7rocprim17ROCPRIM_400000_NS6detail17trampoline_kernelINS0_14default_configENS1_35radix_sort_onesweep_config_selectorIjNS0_10empty_typeEEEZZNS1_29radix_sort_onesweep_iterationIS3_Lb1EPKjPjPS5_SB_mNS0_19identity_decomposerENS1_16block_id_wrapperIjLb1EEEEE10hipError_tT1_PNSt15iterator_traitsISG_E10value_typeET2_T3_PNSH_ISM_E10value_typeET4_T5_PSR_SS_PNS1_23onesweep_lookback_stateEbbT6_jjT7_P12ihipStream_tbENKUlT_T0_SG_SL_E_clIS9_SA_SB_SB_EEDaSZ_S10_SG_SL_EUlSZ_E_NS1_11comp_targetILNS1_3genE5ELNS1_11target_archE942ELNS1_3gpuE9ELNS1_3repE0EEENS1_47radix_sort_onesweep_sort_config_static_selectorELNS0_4arch9wavefront6targetE0EEEvSG_, .Lfunc_end2635-_ZN7rocprim17ROCPRIM_400000_NS6detail17trampoline_kernelINS0_14default_configENS1_35radix_sort_onesweep_config_selectorIjNS0_10empty_typeEEEZZNS1_29radix_sort_onesweep_iterationIS3_Lb1EPKjPjPS5_SB_mNS0_19identity_decomposerENS1_16block_id_wrapperIjLb1EEEEE10hipError_tT1_PNSt15iterator_traitsISG_E10value_typeET2_T3_PNSH_ISM_E10value_typeET4_T5_PSR_SS_PNS1_23onesweep_lookback_stateEbbT6_jjT7_P12ihipStream_tbENKUlT_T0_SG_SL_E_clIS9_SA_SB_SB_EEDaSZ_S10_SG_SL_EUlSZ_E_NS1_11comp_targetILNS1_3genE5ELNS1_11target_archE942ELNS1_3gpuE9ELNS1_3repE0EEENS1_47radix_sort_onesweep_sort_config_static_selectorELNS0_4arch9wavefront6targetE0EEEvSG_
                                        ; -- End function
	.set _ZN7rocprim17ROCPRIM_400000_NS6detail17trampoline_kernelINS0_14default_configENS1_35radix_sort_onesweep_config_selectorIjNS0_10empty_typeEEEZZNS1_29radix_sort_onesweep_iterationIS3_Lb1EPKjPjPS5_SB_mNS0_19identity_decomposerENS1_16block_id_wrapperIjLb1EEEEE10hipError_tT1_PNSt15iterator_traitsISG_E10value_typeET2_T3_PNSH_ISM_E10value_typeET4_T5_PSR_SS_PNS1_23onesweep_lookback_stateEbbT6_jjT7_P12ihipStream_tbENKUlT_T0_SG_SL_E_clIS9_SA_SB_SB_EEDaSZ_S10_SG_SL_EUlSZ_E_NS1_11comp_targetILNS1_3genE5ELNS1_11target_archE942ELNS1_3gpuE9ELNS1_3repE0EEENS1_47radix_sort_onesweep_sort_config_static_selectorELNS0_4arch9wavefront6targetE0EEEvSG_.num_vgpr, 0
	.set _ZN7rocprim17ROCPRIM_400000_NS6detail17trampoline_kernelINS0_14default_configENS1_35radix_sort_onesweep_config_selectorIjNS0_10empty_typeEEEZZNS1_29radix_sort_onesweep_iterationIS3_Lb1EPKjPjPS5_SB_mNS0_19identity_decomposerENS1_16block_id_wrapperIjLb1EEEEE10hipError_tT1_PNSt15iterator_traitsISG_E10value_typeET2_T3_PNSH_ISM_E10value_typeET4_T5_PSR_SS_PNS1_23onesweep_lookback_stateEbbT6_jjT7_P12ihipStream_tbENKUlT_T0_SG_SL_E_clIS9_SA_SB_SB_EEDaSZ_S10_SG_SL_EUlSZ_E_NS1_11comp_targetILNS1_3genE5ELNS1_11target_archE942ELNS1_3gpuE9ELNS1_3repE0EEENS1_47radix_sort_onesweep_sort_config_static_selectorELNS0_4arch9wavefront6targetE0EEEvSG_.num_agpr, 0
	.set _ZN7rocprim17ROCPRIM_400000_NS6detail17trampoline_kernelINS0_14default_configENS1_35radix_sort_onesweep_config_selectorIjNS0_10empty_typeEEEZZNS1_29radix_sort_onesweep_iterationIS3_Lb1EPKjPjPS5_SB_mNS0_19identity_decomposerENS1_16block_id_wrapperIjLb1EEEEE10hipError_tT1_PNSt15iterator_traitsISG_E10value_typeET2_T3_PNSH_ISM_E10value_typeET4_T5_PSR_SS_PNS1_23onesweep_lookback_stateEbbT6_jjT7_P12ihipStream_tbENKUlT_T0_SG_SL_E_clIS9_SA_SB_SB_EEDaSZ_S10_SG_SL_EUlSZ_E_NS1_11comp_targetILNS1_3genE5ELNS1_11target_archE942ELNS1_3gpuE9ELNS1_3repE0EEENS1_47radix_sort_onesweep_sort_config_static_selectorELNS0_4arch9wavefront6targetE0EEEvSG_.numbered_sgpr, 0
	.set _ZN7rocprim17ROCPRIM_400000_NS6detail17trampoline_kernelINS0_14default_configENS1_35radix_sort_onesweep_config_selectorIjNS0_10empty_typeEEEZZNS1_29radix_sort_onesweep_iterationIS3_Lb1EPKjPjPS5_SB_mNS0_19identity_decomposerENS1_16block_id_wrapperIjLb1EEEEE10hipError_tT1_PNSt15iterator_traitsISG_E10value_typeET2_T3_PNSH_ISM_E10value_typeET4_T5_PSR_SS_PNS1_23onesweep_lookback_stateEbbT6_jjT7_P12ihipStream_tbENKUlT_T0_SG_SL_E_clIS9_SA_SB_SB_EEDaSZ_S10_SG_SL_EUlSZ_E_NS1_11comp_targetILNS1_3genE5ELNS1_11target_archE942ELNS1_3gpuE9ELNS1_3repE0EEENS1_47radix_sort_onesweep_sort_config_static_selectorELNS0_4arch9wavefront6targetE0EEEvSG_.num_named_barrier, 0
	.set _ZN7rocprim17ROCPRIM_400000_NS6detail17trampoline_kernelINS0_14default_configENS1_35radix_sort_onesweep_config_selectorIjNS0_10empty_typeEEEZZNS1_29radix_sort_onesweep_iterationIS3_Lb1EPKjPjPS5_SB_mNS0_19identity_decomposerENS1_16block_id_wrapperIjLb1EEEEE10hipError_tT1_PNSt15iterator_traitsISG_E10value_typeET2_T3_PNSH_ISM_E10value_typeET4_T5_PSR_SS_PNS1_23onesweep_lookback_stateEbbT6_jjT7_P12ihipStream_tbENKUlT_T0_SG_SL_E_clIS9_SA_SB_SB_EEDaSZ_S10_SG_SL_EUlSZ_E_NS1_11comp_targetILNS1_3genE5ELNS1_11target_archE942ELNS1_3gpuE9ELNS1_3repE0EEENS1_47radix_sort_onesweep_sort_config_static_selectorELNS0_4arch9wavefront6targetE0EEEvSG_.private_seg_size, 0
	.set _ZN7rocprim17ROCPRIM_400000_NS6detail17trampoline_kernelINS0_14default_configENS1_35radix_sort_onesweep_config_selectorIjNS0_10empty_typeEEEZZNS1_29radix_sort_onesweep_iterationIS3_Lb1EPKjPjPS5_SB_mNS0_19identity_decomposerENS1_16block_id_wrapperIjLb1EEEEE10hipError_tT1_PNSt15iterator_traitsISG_E10value_typeET2_T3_PNSH_ISM_E10value_typeET4_T5_PSR_SS_PNS1_23onesweep_lookback_stateEbbT6_jjT7_P12ihipStream_tbENKUlT_T0_SG_SL_E_clIS9_SA_SB_SB_EEDaSZ_S10_SG_SL_EUlSZ_E_NS1_11comp_targetILNS1_3genE5ELNS1_11target_archE942ELNS1_3gpuE9ELNS1_3repE0EEENS1_47radix_sort_onesweep_sort_config_static_selectorELNS0_4arch9wavefront6targetE0EEEvSG_.uses_vcc, 0
	.set _ZN7rocprim17ROCPRIM_400000_NS6detail17trampoline_kernelINS0_14default_configENS1_35radix_sort_onesweep_config_selectorIjNS0_10empty_typeEEEZZNS1_29radix_sort_onesweep_iterationIS3_Lb1EPKjPjPS5_SB_mNS0_19identity_decomposerENS1_16block_id_wrapperIjLb1EEEEE10hipError_tT1_PNSt15iterator_traitsISG_E10value_typeET2_T3_PNSH_ISM_E10value_typeET4_T5_PSR_SS_PNS1_23onesweep_lookback_stateEbbT6_jjT7_P12ihipStream_tbENKUlT_T0_SG_SL_E_clIS9_SA_SB_SB_EEDaSZ_S10_SG_SL_EUlSZ_E_NS1_11comp_targetILNS1_3genE5ELNS1_11target_archE942ELNS1_3gpuE9ELNS1_3repE0EEENS1_47radix_sort_onesweep_sort_config_static_selectorELNS0_4arch9wavefront6targetE0EEEvSG_.uses_flat_scratch, 0
	.set _ZN7rocprim17ROCPRIM_400000_NS6detail17trampoline_kernelINS0_14default_configENS1_35radix_sort_onesweep_config_selectorIjNS0_10empty_typeEEEZZNS1_29radix_sort_onesweep_iterationIS3_Lb1EPKjPjPS5_SB_mNS0_19identity_decomposerENS1_16block_id_wrapperIjLb1EEEEE10hipError_tT1_PNSt15iterator_traitsISG_E10value_typeET2_T3_PNSH_ISM_E10value_typeET4_T5_PSR_SS_PNS1_23onesweep_lookback_stateEbbT6_jjT7_P12ihipStream_tbENKUlT_T0_SG_SL_E_clIS9_SA_SB_SB_EEDaSZ_S10_SG_SL_EUlSZ_E_NS1_11comp_targetILNS1_3genE5ELNS1_11target_archE942ELNS1_3gpuE9ELNS1_3repE0EEENS1_47radix_sort_onesweep_sort_config_static_selectorELNS0_4arch9wavefront6targetE0EEEvSG_.has_dyn_sized_stack, 0
	.set _ZN7rocprim17ROCPRIM_400000_NS6detail17trampoline_kernelINS0_14default_configENS1_35radix_sort_onesweep_config_selectorIjNS0_10empty_typeEEEZZNS1_29radix_sort_onesweep_iterationIS3_Lb1EPKjPjPS5_SB_mNS0_19identity_decomposerENS1_16block_id_wrapperIjLb1EEEEE10hipError_tT1_PNSt15iterator_traitsISG_E10value_typeET2_T3_PNSH_ISM_E10value_typeET4_T5_PSR_SS_PNS1_23onesweep_lookback_stateEbbT6_jjT7_P12ihipStream_tbENKUlT_T0_SG_SL_E_clIS9_SA_SB_SB_EEDaSZ_S10_SG_SL_EUlSZ_E_NS1_11comp_targetILNS1_3genE5ELNS1_11target_archE942ELNS1_3gpuE9ELNS1_3repE0EEENS1_47radix_sort_onesweep_sort_config_static_selectorELNS0_4arch9wavefront6targetE0EEEvSG_.has_recursion, 0
	.set _ZN7rocprim17ROCPRIM_400000_NS6detail17trampoline_kernelINS0_14default_configENS1_35radix_sort_onesweep_config_selectorIjNS0_10empty_typeEEEZZNS1_29radix_sort_onesweep_iterationIS3_Lb1EPKjPjPS5_SB_mNS0_19identity_decomposerENS1_16block_id_wrapperIjLb1EEEEE10hipError_tT1_PNSt15iterator_traitsISG_E10value_typeET2_T3_PNSH_ISM_E10value_typeET4_T5_PSR_SS_PNS1_23onesweep_lookback_stateEbbT6_jjT7_P12ihipStream_tbENKUlT_T0_SG_SL_E_clIS9_SA_SB_SB_EEDaSZ_S10_SG_SL_EUlSZ_E_NS1_11comp_targetILNS1_3genE5ELNS1_11target_archE942ELNS1_3gpuE9ELNS1_3repE0EEENS1_47radix_sort_onesweep_sort_config_static_selectorELNS0_4arch9wavefront6targetE0EEEvSG_.has_indirect_call, 0
	.section	.AMDGPU.csdata,"",@progbits
; Kernel info:
; codeLenInByte = 0
; TotalNumSgprs: 0
; NumVgprs: 0
; ScratchSize: 0
; MemoryBound: 0
; FloatMode: 240
; IeeeMode: 1
; LDSByteSize: 0 bytes/workgroup (compile time only)
; SGPRBlocks: 0
; VGPRBlocks: 0
; NumSGPRsForWavesPerEU: 1
; NumVGPRsForWavesPerEU: 1
; NamedBarCnt: 0
; Occupancy: 16
; WaveLimiterHint : 0
; COMPUTE_PGM_RSRC2:SCRATCH_EN: 0
; COMPUTE_PGM_RSRC2:USER_SGPR: 2
; COMPUTE_PGM_RSRC2:TRAP_HANDLER: 0
; COMPUTE_PGM_RSRC2:TGID_X_EN: 1
; COMPUTE_PGM_RSRC2:TGID_Y_EN: 0
; COMPUTE_PGM_RSRC2:TGID_Z_EN: 0
; COMPUTE_PGM_RSRC2:TIDIG_COMP_CNT: 0
	.section	.text._ZN7rocprim17ROCPRIM_400000_NS6detail17trampoline_kernelINS0_14default_configENS1_35radix_sort_onesweep_config_selectorIjNS0_10empty_typeEEEZZNS1_29radix_sort_onesweep_iterationIS3_Lb1EPKjPjPS5_SB_mNS0_19identity_decomposerENS1_16block_id_wrapperIjLb1EEEEE10hipError_tT1_PNSt15iterator_traitsISG_E10value_typeET2_T3_PNSH_ISM_E10value_typeET4_T5_PSR_SS_PNS1_23onesweep_lookback_stateEbbT6_jjT7_P12ihipStream_tbENKUlT_T0_SG_SL_E_clIS9_SA_SB_SB_EEDaSZ_S10_SG_SL_EUlSZ_E_NS1_11comp_targetILNS1_3genE2ELNS1_11target_archE906ELNS1_3gpuE6ELNS1_3repE0EEENS1_47radix_sort_onesweep_sort_config_static_selectorELNS0_4arch9wavefront6targetE0EEEvSG_,"axG",@progbits,_ZN7rocprim17ROCPRIM_400000_NS6detail17trampoline_kernelINS0_14default_configENS1_35radix_sort_onesweep_config_selectorIjNS0_10empty_typeEEEZZNS1_29radix_sort_onesweep_iterationIS3_Lb1EPKjPjPS5_SB_mNS0_19identity_decomposerENS1_16block_id_wrapperIjLb1EEEEE10hipError_tT1_PNSt15iterator_traitsISG_E10value_typeET2_T3_PNSH_ISM_E10value_typeET4_T5_PSR_SS_PNS1_23onesweep_lookback_stateEbbT6_jjT7_P12ihipStream_tbENKUlT_T0_SG_SL_E_clIS9_SA_SB_SB_EEDaSZ_S10_SG_SL_EUlSZ_E_NS1_11comp_targetILNS1_3genE2ELNS1_11target_archE906ELNS1_3gpuE6ELNS1_3repE0EEENS1_47radix_sort_onesweep_sort_config_static_selectorELNS0_4arch9wavefront6targetE0EEEvSG_,comdat
	.protected	_ZN7rocprim17ROCPRIM_400000_NS6detail17trampoline_kernelINS0_14default_configENS1_35radix_sort_onesweep_config_selectorIjNS0_10empty_typeEEEZZNS1_29radix_sort_onesweep_iterationIS3_Lb1EPKjPjPS5_SB_mNS0_19identity_decomposerENS1_16block_id_wrapperIjLb1EEEEE10hipError_tT1_PNSt15iterator_traitsISG_E10value_typeET2_T3_PNSH_ISM_E10value_typeET4_T5_PSR_SS_PNS1_23onesweep_lookback_stateEbbT6_jjT7_P12ihipStream_tbENKUlT_T0_SG_SL_E_clIS9_SA_SB_SB_EEDaSZ_S10_SG_SL_EUlSZ_E_NS1_11comp_targetILNS1_3genE2ELNS1_11target_archE906ELNS1_3gpuE6ELNS1_3repE0EEENS1_47radix_sort_onesweep_sort_config_static_selectorELNS0_4arch9wavefront6targetE0EEEvSG_ ; -- Begin function _ZN7rocprim17ROCPRIM_400000_NS6detail17trampoline_kernelINS0_14default_configENS1_35radix_sort_onesweep_config_selectorIjNS0_10empty_typeEEEZZNS1_29radix_sort_onesweep_iterationIS3_Lb1EPKjPjPS5_SB_mNS0_19identity_decomposerENS1_16block_id_wrapperIjLb1EEEEE10hipError_tT1_PNSt15iterator_traitsISG_E10value_typeET2_T3_PNSH_ISM_E10value_typeET4_T5_PSR_SS_PNS1_23onesweep_lookback_stateEbbT6_jjT7_P12ihipStream_tbENKUlT_T0_SG_SL_E_clIS9_SA_SB_SB_EEDaSZ_S10_SG_SL_EUlSZ_E_NS1_11comp_targetILNS1_3genE2ELNS1_11target_archE906ELNS1_3gpuE6ELNS1_3repE0EEENS1_47radix_sort_onesweep_sort_config_static_selectorELNS0_4arch9wavefront6targetE0EEEvSG_
	.globl	_ZN7rocprim17ROCPRIM_400000_NS6detail17trampoline_kernelINS0_14default_configENS1_35radix_sort_onesweep_config_selectorIjNS0_10empty_typeEEEZZNS1_29radix_sort_onesweep_iterationIS3_Lb1EPKjPjPS5_SB_mNS0_19identity_decomposerENS1_16block_id_wrapperIjLb1EEEEE10hipError_tT1_PNSt15iterator_traitsISG_E10value_typeET2_T3_PNSH_ISM_E10value_typeET4_T5_PSR_SS_PNS1_23onesweep_lookback_stateEbbT6_jjT7_P12ihipStream_tbENKUlT_T0_SG_SL_E_clIS9_SA_SB_SB_EEDaSZ_S10_SG_SL_EUlSZ_E_NS1_11comp_targetILNS1_3genE2ELNS1_11target_archE906ELNS1_3gpuE6ELNS1_3repE0EEENS1_47radix_sort_onesweep_sort_config_static_selectorELNS0_4arch9wavefront6targetE0EEEvSG_
	.p2align	8
	.type	_ZN7rocprim17ROCPRIM_400000_NS6detail17trampoline_kernelINS0_14default_configENS1_35radix_sort_onesweep_config_selectorIjNS0_10empty_typeEEEZZNS1_29radix_sort_onesweep_iterationIS3_Lb1EPKjPjPS5_SB_mNS0_19identity_decomposerENS1_16block_id_wrapperIjLb1EEEEE10hipError_tT1_PNSt15iterator_traitsISG_E10value_typeET2_T3_PNSH_ISM_E10value_typeET4_T5_PSR_SS_PNS1_23onesweep_lookback_stateEbbT6_jjT7_P12ihipStream_tbENKUlT_T0_SG_SL_E_clIS9_SA_SB_SB_EEDaSZ_S10_SG_SL_EUlSZ_E_NS1_11comp_targetILNS1_3genE2ELNS1_11target_archE906ELNS1_3gpuE6ELNS1_3repE0EEENS1_47radix_sort_onesweep_sort_config_static_selectorELNS0_4arch9wavefront6targetE0EEEvSG_,@function
_ZN7rocprim17ROCPRIM_400000_NS6detail17trampoline_kernelINS0_14default_configENS1_35radix_sort_onesweep_config_selectorIjNS0_10empty_typeEEEZZNS1_29radix_sort_onesweep_iterationIS3_Lb1EPKjPjPS5_SB_mNS0_19identity_decomposerENS1_16block_id_wrapperIjLb1EEEEE10hipError_tT1_PNSt15iterator_traitsISG_E10value_typeET2_T3_PNSH_ISM_E10value_typeET4_T5_PSR_SS_PNS1_23onesweep_lookback_stateEbbT6_jjT7_P12ihipStream_tbENKUlT_T0_SG_SL_E_clIS9_SA_SB_SB_EEDaSZ_S10_SG_SL_EUlSZ_E_NS1_11comp_targetILNS1_3genE2ELNS1_11target_archE906ELNS1_3gpuE6ELNS1_3repE0EEENS1_47radix_sort_onesweep_sort_config_static_selectorELNS0_4arch9wavefront6targetE0EEEvSG_: ; @_ZN7rocprim17ROCPRIM_400000_NS6detail17trampoline_kernelINS0_14default_configENS1_35radix_sort_onesweep_config_selectorIjNS0_10empty_typeEEEZZNS1_29radix_sort_onesweep_iterationIS3_Lb1EPKjPjPS5_SB_mNS0_19identity_decomposerENS1_16block_id_wrapperIjLb1EEEEE10hipError_tT1_PNSt15iterator_traitsISG_E10value_typeET2_T3_PNSH_ISM_E10value_typeET4_T5_PSR_SS_PNS1_23onesweep_lookback_stateEbbT6_jjT7_P12ihipStream_tbENKUlT_T0_SG_SL_E_clIS9_SA_SB_SB_EEDaSZ_S10_SG_SL_EUlSZ_E_NS1_11comp_targetILNS1_3genE2ELNS1_11target_archE906ELNS1_3gpuE6ELNS1_3repE0EEENS1_47radix_sort_onesweep_sort_config_static_selectorELNS0_4arch9wavefront6targetE0EEEvSG_
; %bb.0:
	.section	.rodata,"a",@progbits
	.p2align	6, 0x0
	.amdhsa_kernel _ZN7rocprim17ROCPRIM_400000_NS6detail17trampoline_kernelINS0_14default_configENS1_35radix_sort_onesweep_config_selectorIjNS0_10empty_typeEEEZZNS1_29radix_sort_onesweep_iterationIS3_Lb1EPKjPjPS5_SB_mNS0_19identity_decomposerENS1_16block_id_wrapperIjLb1EEEEE10hipError_tT1_PNSt15iterator_traitsISG_E10value_typeET2_T3_PNSH_ISM_E10value_typeET4_T5_PSR_SS_PNS1_23onesweep_lookback_stateEbbT6_jjT7_P12ihipStream_tbENKUlT_T0_SG_SL_E_clIS9_SA_SB_SB_EEDaSZ_S10_SG_SL_EUlSZ_E_NS1_11comp_targetILNS1_3genE2ELNS1_11target_archE906ELNS1_3gpuE6ELNS1_3repE0EEENS1_47radix_sort_onesweep_sort_config_static_selectorELNS0_4arch9wavefront6targetE0EEEvSG_
		.amdhsa_group_segment_fixed_size 0
		.amdhsa_private_segment_fixed_size 0
		.amdhsa_kernarg_size 88
		.amdhsa_user_sgpr_count 2
		.amdhsa_user_sgpr_dispatch_ptr 0
		.amdhsa_user_sgpr_queue_ptr 0
		.amdhsa_user_sgpr_kernarg_segment_ptr 1
		.amdhsa_user_sgpr_dispatch_id 0
		.amdhsa_user_sgpr_kernarg_preload_length 0
		.amdhsa_user_sgpr_kernarg_preload_offset 0
		.amdhsa_user_sgpr_private_segment_size 0
		.amdhsa_wavefront_size32 1
		.amdhsa_uses_dynamic_stack 0
		.amdhsa_enable_private_segment 0
		.amdhsa_system_sgpr_workgroup_id_x 1
		.amdhsa_system_sgpr_workgroup_id_y 0
		.amdhsa_system_sgpr_workgroup_id_z 0
		.amdhsa_system_sgpr_workgroup_info 0
		.amdhsa_system_vgpr_workitem_id 0
		.amdhsa_next_free_vgpr 1
		.amdhsa_next_free_sgpr 1
		.amdhsa_named_barrier_count 0
		.amdhsa_reserve_vcc 0
		.amdhsa_float_round_mode_32 0
		.amdhsa_float_round_mode_16_64 0
		.amdhsa_float_denorm_mode_32 3
		.amdhsa_float_denorm_mode_16_64 3
		.amdhsa_fp16_overflow 0
		.amdhsa_memory_ordered 1
		.amdhsa_forward_progress 1
		.amdhsa_inst_pref_size 0
		.amdhsa_round_robin_scheduling 0
		.amdhsa_exception_fp_ieee_invalid_op 0
		.amdhsa_exception_fp_denorm_src 0
		.amdhsa_exception_fp_ieee_div_zero 0
		.amdhsa_exception_fp_ieee_overflow 0
		.amdhsa_exception_fp_ieee_underflow 0
		.amdhsa_exception_fp_ieee_inexact 0
		.amdhsa_exception_int_div_zero 0
	.end_amdhsa_kernel
	.section	.text._ZN7rocprim17ROCPRIM_400000_NS6detail17trampoline_kernelINS0_14default_configENS1_35radix_sort_onesweep_config_selectorIjNS0_10empty_typeEEEZZNS1_29radix_sort_onesweep_iterationIS3_Lb1EPKjPjPS5_SB_mNS0_19identity_decomposerENS1_16block_id_wrapperIjLb1EEEEE10hipError_tT1_PNSt15iterator_traitsISG_E10value_typeET2_T3_PNSH_ISM_E10value_typeET4_T5_PSR_SS_PNS1_23onesweep_lookback_stateEbbT6_jjT7_P12ihipStream_tbENKUlT_T0_SG_SL_E_clIS9_SA_SB_SB_EEDaSZ_S10_SG_SL_EUlSZ_E_NS1_11comp_targetILNS1_3genE2ELNS1_11target_archE906ELNS1_3gpuE6ELNS1_3repE0EEENS1_47radix_sort_onesweep_sort_config_static_selectorELNS0_4arch9wavefront6targetE0EEEvSG_,"axG",@progbits,_ZN7rocprim17ROCPRIM_400000_NS6detail17trampoline_kernelINS0_14default_configENS1_35radix_sort_onesweep_config_selectorIjNS0_10empty_typeEEEZZNS1_29radix_sort_onesweep_iterationIS3_Lb1EPKjPjPS5_SB_mNS0_19identity_decomposerENS1_16block_id_wrapperIjLb1EEEEE10hipError_tT1_PNSt15iterator_traitsISG_E10value_typeET2_T3_PNSH_ISM_E10value_typeET4_T5_PSR_SS_PNS1_23onesweep_lookback_stateEbbT6_jjT7_P12ihipStream_tbENKUlT_T0_SG_SL_E_clIS9_SA_SB_SB_EEDaSZ_S10_SG_SL_EUlSZ_E_NS1_11comp_targetILNS1_3genE2ELNS1_11target_archE906ELNS1_3gpuE6ELNS1_3repE0EEENS1_47radix_sort_onesweep_sort_config_static_selectorELNS0_4arch9wavefront6targetE0EEEvSG_,comdat
.Lfunc_end2636:
	.size	_ZN7rocprim17ROCPRIM_400000_NS6detail17trampoline_kernelINS0_14default_configENS1_35radix_sort_onesweep_config_selectorIjNS0_10empty_typeEEEZZNS1_29radix_sort_onesweep_iterationIS3_Lb1EPKjPjPS5_SB_mNS0_19identity_decomposerENS1_16block_id_wrapperIjLb1EEEEE10hipError_tT1_PNSt15iterator_traitsISG_E10value_typeET2_T3_PNSH_ISM_E10value_typeET4_T5_PSR_SS_PNS1_23onesweep_lookback_stateEbbT6_jjT7_P12ihipStream_tbENKUlT_T0_SG_SL_E_clIS9_SA_SB_SB_EEDaSZ_S10_SG_SL_EUlSZ_E_NS1_11comp_targetILNS1_3genE2ELNS1_11target_archE906ELNS1_3gpuE6ELNS1_3repE0EEENS1_47radix_sort_onesweep_sort_config_static_selectorELNS0_4arch9wavefront6targetE0EEEvSG_, .Lfunc_end2636-_ZN7rocprim17ROCPRIM_400000_NS6detail17trampoline_kernelINS0_14default_configENS1_35radix_sort_onesweep_config_selectorIjNS0_10empty_typeEEEZZNS1_29radix_sort_onesweep_iterationIS3_Lb1EPKjPjPS5_SB_mNS0_19identity_decomposerENS1_16block_id_wrapperIjLb1EEEEE10hipError_tT1_PNSt15iterator_traitsISG_E10value_typeET2_T3_PNSH_ISM_E10value_typeET4_T5_PSR_SS_PNS1_23onesweep_lookback_stateEbbT6_jjT7_P12ihipStream_tbENKUlT_T0_SG_SL_E_clIS9_SA_SB_SB_EEDaSZ_S10_SG_SL_EUlSZ_E_NS1_11comp_targetILNS1_3genE2ELNS1_11target_archE906ELNS1_3gpuE6ELNS1_3repE0EEENS1_47radix_sort_onesweep_sort_config_static_selectorELNS0_4arch9wavefront6targetE0EEEvSG_
                                        ; -- End function
	.set _ZN7rocprim17ROCPRIM_400000_NS6detail17trampoline_kernelINS0_14default_configENS1_35radix_sort_onesweep_config_selectorIjNS0_10empty_typeEEEZZNS1_29radix_sort_onesweep_iterationIS3_Lb1EPKjPjPS5_SB_mNS0_19identity_decomposerENS1_16block_id_wrapperIjLb1EEEEE10hipError_tT1_PNSt15iterator_traitsISG_E10value_typeET2_T3_PNSH_ISM_E10value_typeET4_T5_PSR_SS_PNS1_23onesweep_lookback_stateEbbT6_jjT7_P12ihipStream_tbENKUlT_T0_SG_SL_E_clIS9_SA_SB_SB_EEDaSZ_S10_SG_SL_EUlSZ_E_NS1_11comp_targetILNS1_3genE2ELNS1_11target_archE906ELNS1_3gpuE6ELNS1_3repE0EEENS1_47radix_sort_onesweep_sort_config_static_selectorELNS0_4arch9wavefront6targetE0EEEvSG_.num_vgpr, 0
	.set _ZN7rocprim17ROCPRIM_400000_NS6detail17trampoline_kernelINS0_14default_configENS1_35radix_sort_onesweep_config_selectorIjNS0_10empty_typeEEEZZNS1_29radix_sort_onesweep_iterationIS3_Lb1EPKjPjPS5_SB_mNS0_19identity_decomposerENS1_16block_id_wrapperIjLb1EEEEE10hipError_tT1_PNSt15iterator_traitsISG_E10value_typeET2_T3_PNSH_ISM_E10value_typeET4_T5_PSR_SS_PNS1_23onesweep_lookback_stateEbbT6_jjT7_P12ihipStream_tbENKUlT_T0_SG_SL_E_clIS9_SA_SB_SB_EEDaSZ_S10_SG_SL_EUlSZ_E_NS1_11comp_targetILNS1_3genE2ELNS1_11target_archE906ELNS1_3gpuE6ELNS1_3repE0EEENS1_47radix_sort_onesweep_sort_config_static_selectorELNS0_4arch9wavefront6targetE0EEEvSG_.num_agpr, 0
	.set _ZN7rocprim17ROCPRIM_400000_NS6detail17trampoline_kernelINS0_14default_configENS1_35radix_sort_onesweep_config_selectorIjNS0_10empty_typeEEEZZNS1_29radix_sort_onesweep_iterationIS3_Lb1EPKjPjPS5_SB_mNS0_19identity_decomposerENS1_16block_id_wrapperIjLb1EEEEE10hipError_tT1_PNSt15iterator_traitsISG_E10value_typeET2_T3_PNSH_ISM_E10value_typeET4_T5_PSR_SS_PNS1_23onesweep_lookback_stateEbbT6_jjT7_P12ihipStream_tbENKUlT_T0_SG_SL_E_clIS9_SA_SB_SB_EEDaSZ_S10_SG_SL_EUlSZ_E_NS1_11comp_targetILNS1_3genE2ELNS1_11target_archE906ELNS1_3gpuE6ELNS1_3repE0EEENS1_47radix_sort_onesweep_sort_config_static_selectorELNS0_4arch9wavefront6targetE0EEEvSG_.numbered_sgpr, 0
	.set _ZN7rocprim17ROCPRIM_400000_NS6detail17trampoline_kernelINS0_14default_configENS1_35radix_sort_onesweep_config_selectorIjNS0_10empty_typeEEEZZNS1_29radix_sort_onesweep_iterationIS3_Lb1EPKjPjPS5_SB_mNS0_19identity_decomposerENS1_16block_id_wrapperIjLb1EEEEE10hipError_tT1_PNSt15iterator_traitsISG_E10value_typeET2_T3_PNSH_ISM_E10value_typeET4_T5_PSR_SS_PNS1_23onesweep_lookback_stateEbbT6_jjT7_P12ihipStream_tbENKUlT_T0_SG_SL_E_clIS9_SA_SB_SB_EEDaSZ_S10_SG_SL_EUlSZ_E_NS1_11comp_targetILNS1_3genE2ELNS1_11target_archE906ELNS1_3gpuE6ELNS1_3repE0EEENS1_47radix_sort_onesweep_sort_config_static_selectorELNS0_4arch9wavefront6targetE0EEEvSG_.num_named_barrier, 0
	.set _ZN7rocprim17ROCPRIM_400000_NS6detail17trampoline_kernelINS0_14default_configENS1_35radix_sort_onesweep_config_selectorIjNS0_10empty_typeEEEZZNS1_29radix_sort_onesweep_iterationIS3_Lb1EPKjPjPS5_SB_mNS0_19identity_decomposerENS1_16block_id_wrapperIjLb1EEEEE10hipError_tT1_PNSt15iterator_traitsISG_E10value_typeET2_T3_PNSH_ISM_E10value_typeET4_T5_PSR_SS_PNS1_23onesweep_lookback_stateEbbT6_jjT7_P12ihipStream_tbENKUlT_T0_SG_SL_E_clIS9_SA_SB_SB_EEDaSZ_S10_SG_SL_EUlSZ_E_NS1_11comp_targetILNS1_3genE2ELNS1_11target_archE906ELNS1_3gpuE6ELNS1_3repE0EEENS1_47radix_sort_onesweep_sort_config_static_selectorELNS0_4arch9wavefront6targetE0EEEvSG_.private_seg_size, 0
	.set _ZN7rocprim17ROCPRIM_400000_NS6detail17trampoline_kernelINS0_14default_configENS1_35radix_sort_onesweep_config_selectorIjNS0_10empty_typeEEEZZNS1_29radix_sort_onesweep_iterationIS3_Lb1EPKjPjPS5_SB_mNS0_19identity_decomposerENS1_16block_id_wrapperIjLb1EEEEE10hipError_tT1_PNSt15iterator_traitsISG_E10value_typeET2_T3_PNSH_ISM_E10value_typeET4_T5_PSR_SS_PNS1_23onesweep_lookback_stateEbbT6_jjT7_P12ihipStream_tbENKUlT_T0_SG_SL_E_clIS9_SA_SB_SB_EEDaSZ_S10_SG_SL_EUlSZ_E_NS1_11comp_targetILNS1_3genE2ELNS1_11target_archE906ELNS1_3gpuE6ELNS1_3repE0EEENS1_47radix_sort_onesweep_sort_config_static_selectorELNS0_4arch9wavefront6targetE0EEEvSG_.uses_vcc, 0
	.set _ZN7rocprim17ROCPRIM_400000_NS6detail17trampoline_kernelINS0_14default_configENS1_35radix_sort_onesweep_config_selectorIjNS0_10empty_typeEEEZZNS1_29radix_sort_onesweep_iterationIS3_Lb1EPKjPjPS5_SB_mNS0_19identity_decomposerENS1_16block_id_wrapperIjLb1EEEEE10hipError_tT1_PNSt15iterator_traitsISG_E10value_typeET2_T3_PNSH_ISM_E10value_typeET4_T5_PSR_SS_PNS1_23onesweep_lookback_stateEbbT6_jjT7_P12ihipStream_tbENKUlT_T0_SG_SL_E_clIS9_SA_SB_SB_EEDaSZ_S10_SG_SL_EUlSZ_E_NS1_11comp_targetILNS1_3genE2ELNS1_11target_archE906ELNS1_3gpuE6ELNS1_3repE0EEENS1_47radix_sort_onesweep_sort_config_static_selectorELNS0_4arch9wavefront6targetE0EEEvSG_.uses_flat_scratch, 0
	.set _ZN7rocprim17ROCPRIM_400000_NS6detail17trampoline_kernelINS0_14default_configENS1_35radix_sort_onesweep_config_selectorIjNS0_10empty_typeEEEZZNS1_29radix_sort_onesweep_iterationIS3_Lb1EPKjPjPS5_SB_mNS0_19identity_decomposerENS1_16block_id_wrapperIjLb1EEEEE10hipError_tT1_PNSt15iterator_traitsISG_E10value_typeET2_T3_PNSH_ISM_E10value_typeET4_T5_PSR_SS_PNS1_23onesweep_lookback_stateEbbT6_jjT7_P12ihipStream_tbENKUlT_T0_SG_SL_E_clIS9_SA_SB_SB_EEDaSZ_S10_SG_SL_EUlSZ_E_NS1_11comp_targetILNS1_3genE2ELNS1_11target_archE906ELNS1_3gpuE6ELNS1_3repE0EEENS1_47radix_sort_onesweep_sort_config_static_selectorELNS0_4arch9wavefront6targetE0EEEvSG_.has_dyn_sized_stack, 0
	.set _ZN7rocprim17ROCPRIM_400000_NS6detail17trampoline_kernelINS0_14default_configENS1_35radix_sort_onesweep_config_selectorIjNS0_10empty_typeEEEZZNS1_29radix_sort_onesweep_iterationIS3_Lb1EPKjPjPS5_SB_mNS0_19identity_decomposerENS1_16block_id_wrapperIjLb1EEEEE10hipError_tT1_PNSt15iterator_traitsISG_E10value_typeET2_T3_PNSH_ISM_E10value_typeET4_T5_PSR_SS_PNS1_23onesweep_lookback_stateEbbT6_jjT7_P12ihipStream_tbENKUlT_T0_SG_SL_E_clIS9_SA_SB_SB_EEDaSZ_S10_SG_SL_EUlSZ_E_NS1_11comp_targetILNS1_3genE2ELNS1_11target_archE906ELNS1_3gpuE6ELNS1_3repE0EEENS1_47radix_sort_onesweep_sort_config_static_selectorELNS0_4arch9wavefront6targetE0EEEvSG_.has_recursion, 0
	.set _ZN7rocprim17ROCPRIM_400000_NS6detail17trampoline_kernelINS0_14default_configENS1_35radix_sort_onesweep_config_selectorIjNS0_10empty_typeEEEZZNS1_29radix_sort_onesweep_iterationIS3_Lb1EPKjPjPS5_SB_mNS0_19identity_decomposerENS1_16block_id_wrapperIjLb1EEEEE10hipError_tT1_PNSt15iterator_traitsISG_E10value_typeET2_T3_PNSH_ISM_E10value_typeET4_T5_PSR_SS_PNS1_23onesweep_lookback_stateEbbT6_jjT7_P12ihipStream_tbENKUlT_T0_SG_SL_E_clIS9_SA_SB_SB_EEDaSZ_S10_SG_SL_EUlSZ_E_NS1_11comp_targetILNS1_3genE2ELNS1_11target_archE906ELNS1_3gpuE6ELNS1_3repE0EEENS1_47radix_sort_onesweep_sort_config_static_selectorELNS0_4arch9wavefront6targetE0EEEvSG_.has_indirect_call, 0
	.section	.AMDGPU.csdata,"",@progbits
; Kernel info:
; codeLenInByte = 0
; TotalNumSgprs: 0
; NumVgprs: 0
; ScratchSize: 0
; MemoryBound: 0
; FloatMode: 240
; IeeeMode: 1
; LDSByteSize: 0 bytes/workgroup (compile time only)
; SGPRBlocks: 0
; VGPRBlocks: 0
; NumSGPRsForWavesPerEU: 1
; NumVGPRsForWavesPerEU: 1
; NamedBarCnt: 0
; Occupancy: 16
; WaveLimiterHint : 0
; COMPUTE_PGM_RSRC2:SCRATCH_EN: 0
; COMPUTE_PGM_RSRC2:USER_SGPR: 2
; COMPUTE_PGM_RSRC2:TRAP_HANDLER: 0
; COMPUTE_PGM_RSRC2:TGID_X_EN: 1
; COMPUTE_PGM_RSRC2:TGID_Y_EN: 0
; COMPUTE_PGM_RSRC2:TGID_Z_EN: 0
; COMPUTE_PGM_RSRC2:TIDIG_COMP_CNT: 0
	.section	.text._ZN7rocprim17ROCPRIM_400000_NS6detail17trampoline_kernelINS0_14default_configENS1_35radix_sort_onesweep_config_selectorIjNS0_10empty_typeEEEZZNS1_29radix_sort_onesweep_iterationIS3_Lb1EPKjPjPS5_SB_mNS0_19identity_decomposerENS1_16block_id_wrapperIjLb1EEEEE10hipError_tT1_PNSt15iterator_traitsISG_E10value_typeET2_T3_PNSH_ISM_E10value_typeET4_T5_PSR_SS_PNS1_23onesweep_lookback_stateEbbT6_jjT7_P12ihipStream_tbENKUlT_T0_SG_SL_E_clIS9_SA_SB_SB_EEDaSZ_S10_SG_SL_EUlSZ_E_NS1_11comp_targetILNS1_3genE4ELNS1_11target_archE910ELNS1_3gpuE8ELNS1_3repE0EEENS1_47radix_sort_onesweep_sort_config_static_selectorELNS0_4arch9wavefront6targetE0EEEvSG_,"axG",@progbits,_ZN7rocprim17ROCPRIM_400000_NS6detail17trampoline_kernelINS0_14default_configENS1_35radix_sort_onesweep_config_selectorIjNS0_10empty_typeEEEZZNS1_29radix_sort_onesweep_iterationIS3_Lb1EPKjPjPS5_SB_mNS0_19identity_decomposerENS1_16block_id_wrapperIjLb1EEEEE10hipError_tT1_PNSt15iterator_traitsISG_E10value_typeET2_T3_PNSH_ISM_E10value_typeET4_T5_PSR_SS_PNS1_23onesweep_lookback_stateEbbT6_jjT7_P12ihipStream_tbENKUlT_T0_SG_SL_E_clIS9_SA_SB_SB_EEDaSZ_S10_SG_SL_EUlSZ_E_NS1_11comp_targetILNS1_3genE4ELNS1_11target_archE910ELNS1_3gpuE8ELNS1_3repE0EEENS1_47radix_sort_onesweep_sort_config_static_selectorELNS0_4arch9wavefront6targetE0EEEvSG_,comdat
	.protected	_ZN7rocprim17ROCPRIM_400000_NS6detail17trampoline_kernelINS0_14default_configENS1_35radix_sort_onesweep_config_selectorIjNS0_10empty_typeEEEZZNS1_29radix_sort_onesweep_iterationIS3_Lb1EPKjPjPS5_SB_mNS0_19identity_decomposerENS1_16block_id_wrapperIjLb1EEEEE10hipError_tT1_PNSt15iterator_traitsISG_E10value_typeET2_T3_PNSH_ISM_E10value_typeET4_T5_PSR_SS_PNS1_23onesweep_lookback_stateEbbT6_jjT7_P12ihipStream_tbENKUlT_T0_SG_SL_E_clIS9_SA_SB_SB_EEDaSZ_S10_SG_SL_EUlSZ_E_NS1_11comp_targetILNS1_3genE4ELNS1_11target_archE910ELNS1_3gpuE8ELNS1_3repE0EEENS1_47radix_sort_onesweep_sort_config_static_selectorELNS0_4arch9wavefront6targetE0EEEvSG_ ; -- Begin function _ZN7rocprim17ROCPRIM_400000_NS6detail17trampoline_kernelINS0_14default_configENS1_35radix_sort_onesweep_config_selectorIjNS0_10empty_typeEEEZZNS1_29radix_sort_onesweep_iterationIS3_Lb1EPKjPjPS5_SB_mNS0_19identity_decomposerENS1_16block_id_wrapperIjLb1EEEEE10hipError_tT1_PNSt15iterator_traitsISG_E10value_typeET2_T3_PNSH_ISM_E10value_typeET4_T5_PSR_SS_PNS1_23onesweep_lookback_stateEbbT6_jjT7_P12ihipStream_tbENKUlT_T0_SG_SL_E_clIS9_SA_SB_SB_EEDaSZ_S10_SG_SL_EUlSZ_E_NS1_11comp_targetILNS1_3genE4ELNS1_11target_archE910ELNS1_3gpuE8ELNS1_3repE0EEENS1_47radix_sort_onesweep_sort_config_static_selectorELNS0_4arch9wavefront6targetE0EEEvSG_
	.globl	_ZN7rocprim17ROCPRIM_400000_NS6detail17trampoline_kernelINS0_14default_configENS1_35radix_sort_onesweep_config_selectorIjNS0_10empty_typeEEEZZNS1_29radix_sort_onesweep_iterationIS3_Lb1EPKjPjPS5_SB_mNS0_19identity_decomposerENS1_16block_id_wrapperIjLb1EEEEE10hipError_tT1_PNSt15iterator_traitsISG_E10value_typeET2_T3_PNSH_ISM_E10value_typeET4_T5_PSR_SS_PNS1_23onesweep_lookback_stateEbbT6_jjT7_P12ihipStream_tbENKUlT_T0_SG_SL_E_clIS9_SA_SB_SB_EEDaSZ_S10_SG_SL_EUlSZ_E_NS1_11comp_targetILNS1_3genE4ELNS1_11target_archE910ELNS1_3gpuE8ELNS1_3repE0EEENS1_47radix_sort_onesweep_sort_config_static_selectorELNS0_4arch9wavefront6targetE0EEEvSG_
	.p2align	8
	.type	_ZN7rocprim17ROCPRIM_400000_NS6detail17trampoline_kernelINS0_14default_configENS1_35radix_sort_onesweep_config_selectorIjNS0_10empty_typeEEEZZNS1_29radix_sort_onesweep_iterationIS3_Lb1EPKjPjPS5_SB_mNS0_19identity_decomposerENS1_16block_id_wrapperIjLb1EEEEE10hipError_tT1_PNSt15iterator_traitsISG_E10value_typeET2_T3_PNSH_ISM_E10value_typeET4_T5_PSR_SS_PNS1_23onesweep_lookback_stateEbbT6_jjT7_P12ihipStream_tbENKUlT_T0_SG_SL_E_clIS9_SA_SB_SB_EEDaSZ_S10_SG_SL_EUlSZ_E_NS1_11comp_targetILNS1_3genE4ELNS1_11target_archE910ELNS1_3gpuE8ELNS1_3repE0EEENS1_47radix_sort_onesweep_sort_config_static_selectorELNS0_4arch9wavefront6targetE0EEEvSG_,@function
_ZN7rocprim17ROCPRIM_400000_NS6detail17trampoline_kernelINS0_14default_configENS1_35radix_sort_onesweep_config_selectorIjNS0_10empty_typeEEEZZNS1_29radix_sort_onesweep_iterationIS3_Lb1EPKjPjPS5_SB_mNS0_19identity_decomposerENS1_16block_id_wrapperIjLb1EEEEE10hipError_tT1_PNSt15iterator_traitsISG_E10value_typeET2_T3_PNSH_ISM_E10value_typeET4_T5_PSR_SS_PNS1_23onesweep_lookback_stateEbbT6_jjT7_P12ihipStream_tbENKUlT_T0_SG_SL_E_clIS9_SA_SB_SB_EEDaSZ_S10_SG_SL_EUlSZ_E_NS1_11comp_targetILNS1_3genE4ELNS1_11target_archE910ELNS1_3gpuE8ELNS1_3repE0EEENS1_47radix_sort_onesweep_sort_config_static_selectorELNS0_4arch9wavefront6targetE0EEEvSG_: ; @_ZN7rocprim17ROCPRIM_400000_NS6detail17trampoline_kernelINS0_14default_configENS1_35radix_sort_onesweep_config_selectorIjNS0_10empty_typeEEEZZNS1_29radix_sort_onesweep_iterationIS3_Lb1EPKjPjPS5_SB_mNS0_19identity_decomposerENS1_16block_id_wrapperIjLb1EEEEE10hipError_tT1_PNSt15iterator_traitsISG_E10value_typeET2_T3_PNSH_ISM_E10value_typeET4_T5_PSR_SS_PNS1_23onesweep_lookback_stateEbbT6_jjT7_P12ihipStream_tbENKUlT_T0_SG_SL_E_clIS9_SA_SB_SB_EEDaSZ_S10_SG_SL_EUlSZ_E_NS1_11comp_targetILNS1_3genE4ELNS1_11target_archE910ELNS1_3gpuE8ELNS1_3repE0EEENS1_47radix_sort_onesweep_sort_config_static_selectorELNS0_4arch9wavefront6targetE0EEEvSG_
; %bb.0:
	.section	.rodata,"a",@progbits
	.p2align	6, 0x0
	.amdhsa_kernel _ZN7rocprim17ROCPRIM_400000_NS6detail17trampoline_kernelINS0_14default_configENS1_35radix_sort_onesweep_config_selectorIjNS0_10empty_typeEEEZZNS1_29radix_sort_onesweep_iterationIS3_Lb1EPKjPjPS5_SB_mNS0_19identity_decomposerENS1_16block_id_wrapperIjLb1EEEEE10hipError_tT1_PNSt15iterator_traitsISG_E10value_typeET2_T3_PNSH_ISM_E10value_typeET4_T5_PSR_SS_PNS1_23onesweep_lookback_stateEbbT6_jjT7_P12ihipStream_tbENKUlT_T0_SG_SL_E_clIS9_SA_SB_SB_EEDaSZ_S10_SG_SL_EUlSZ_E_NS1_11comp_targetILNS1_3genE4ELNS1_11target_archE910ELNS1_3gpuE8ELNS1_3repE0EEENS1_47radix_sort_onesweep_sort_config_static_selectorELNS0_4arch9wavefront6targetE0EEEvSG_
		.amdhsa_group_segment_fixed_size 0
		.amdhsa_private_segment_fixed_size 0
		.amdhsa_kernarg_size 88
		.amdhsa_user_sgpr_count 2
		.amdhsa_user_sgpr_dispatch_ptr 0
		.amdhsa_user_sgpr_queue_ptr 0
		.amdhsa_user_sgpr_kernarg_segment_ptr 1
		.amdhsa_user_sgpr_dispatch_id 0
		.amdhsa_user_sgpr_kernarg_preload_length 0
		.amdhsa_user_sgpr_kernarg_preload_offset 0
		.amdhsa_user_sgpr_private_segment_size 0
		.amdhsa_wavefront_size32 1
		.amdhsa_uses_dynamic_stack 0
		.amdhsa_enable_private_segment 0
		.amdhsa_system_sgpr_workgroup_id_x 1
		.amdhsa_system_sgpr_workgroup_id_y 0
		.amdhsa_system_sgpr_workgroup_id_z 0
		.amdhsa_system_sgpr_workgroup_info 0
		.amdhsa_system_vgpr_workitem_id 0
		.amdhsa_next_free_vgpr 1
		.amdhsa_next_free_sgpr 1
		.amdhsa_named_barrier_count 0
		.amdhsa_reserve_vcc 0
		.amdhsa_float_round_mode_32 0
		.amdhsa_float_round_mode_16_64 0
		.amdhsa_float_denorm_mode_32 3
		.amdhsa_float_denorm_mode_16_64 3
		.amdhsa_fp16_overflow 0
		.amdhsa_memory_ordered 1
		.amdhsa_forward_progress 1
		.amdhsa_inst_pref_size 0
		.amdhsa_round_robin_scheduling 0
		.amdhsa_exception_fp_ieee_invalid_op 0
		.amdhsa_exception_fp_denorm_src 0
		.amdhsa_exception_fp_ieee_div_zero 0
		.amdhsa_exception_fp_ieee_overflow 0
		.amdhsa_exception_fp_ieee_underflow 0
		.amdhsa_exception_fp_ieee_inexact 0
		.amdhsa_exception_int_div_zero 0
	.end_amdhsa_kernel
	.section	.text._ZN7rocprim17ROCPRIM_400000_NS6detail17trampoline_kernelINS0_14default_configENS1_35radix_sort_onesweep_config_selectorIjNS0_10empty_typeEEEZZNS1_29radix_sort_onesweep_iterationIS3_Lb1EPKjPjPS5_SB_mNS0_19identity_decomposerENS1_16block_id_wrapperIjLb1EEEEE10hipError_tT1_PNSt15iterator_traitsISG_E10value_typeET2_T3_PNSH_ISM_E10value_typeET4_T5_PSR_SS_PNS1_23onesweep_lookback_stateEbbT6_jjT7_P12ihipStream_tbENKUlT_T0_SG_SL_E_clIS9_SA_SB_SB_EEDaSZ_S10_SG_SL_EUlSZ_E_NS1_11comp_targetILNS1_3genE4ELNS1_11target_archE910ELNS1_3gpuE8ELNS1_3repE0EEENS1_47radix_sort_onesweep_sort_config_static_selectorELNS0_4arch9wavefront6targetE0EEEvSG_,"axG",@progbits,_ZN7rocprim17ROCPRIM_400000_NS6detail17trampoline_kernelINS0_14default_configENS1_35radix_sort_onesweep_config_selectorIjNS0_10empty_typeEEEZZNS1_29radix_sort_onesweep_iterationIS3_Lb1EPKjPjPS5_SB_mNS0_19identity_decomposerENS1_16block_id_wrapperIjLb1EEEEE10hipError_tT1_PNSt15iterator_traitsISG_E10value_typeET2_T3_PNSH_ISM_E10value_typeET4_T5_PSR_SS_PNS1_23onesweep_lookback_stateEbbT6_jjT7_P12ihipStream_tbENKUlT_T0_SG_SL_E_clIS9_SA_SB_SB_EEDaSZ_S10_SG_SL_EUlSZ_E_NS1_11comp_targetILNS1_3genE4ELNS1_11target_archE910ELNS1_3gpuE8ELNS1_3repE0EEENS1_47radix_sort_onesweep_sort_config_static_selectorELNS0_4arch9wavefront6targetE0EEEvSG_,comdat
.Lfunc_end2637:
	.size	_ZN7rocprim17ROCPRIM_400000_NS6detail17trampoline_kernelINS0_14default_configENS1_35radix_sort_onesweep_config_selectorIjNS0_10empty_typeEEEZZNS1_29radix_sort_onesweep_iterationIS3_Lb1EPKjPjPS5_SB_mNS0_19identity_decomposerENS1_16block_id_wrapperIjLb1EEEEE10hipError_tT1_PNSt15iterator_traitsISG_E10value_typeET2_T3_PNSH_ISM_E10value_typeET4_T5_PSR_SS_PNS1_23onesweep_lookback_stateEbbT6_jjT7_P12ihipStream_tbENKUlT_T0_SG_SL_E_clIS9_SA_SB_SB_EEDaSZ_S10_SG_SL_EUlSZ_E_NS1_11comp_targetILNS1_3genE4ELNS1_11target_archE910ELNS1_3gpuE8ELNS1_3repE0EEENS1_47radix_sort_onesweep_sort_config_static_selectorELNS0_4arch9wavefront6targetE0EEEvSG_, .Lfunc_end2637-_ZN7rocprim17ROCPRIM_400000_NS6detail17trampoline_kernelINS0_14default_configENS1_35radix_sort_onesweep_config_selectorIjNS0_10empty_typeEEEZZNS1_29radix_sort_onesweep_iterationIS3_Lb1EPKjPjPS5_SB_mNS0_19identity_decomposerENS1_16block_id_wrapperIjLb1EEEEE10hipError_tT1_PNSt15iterator_traitsISG_E10value_typeET2_T3_PNSH_ISM_E10value_typeET4_T5_PSR_SS_PNS1_23onesweep_lookback_stateEbbT6_jjT7_P12ihipStream_tbENKUlT_T0_SG_SL_E_clIS9_SA_SB_SB_EEDaSZ_S10_SG_SL_EUlSZ_E_NS1_11comp_targetILNS1_3genE4ELNS1_11target_archE910ELNS1_3gpuE8ELNS1_3repE0EEENS1_47radix_sort_onesweep_sort_config_static_selectorELNS0_4arch9wavefront6targetE0EEEvSG_
                                        ; -- End function
	.set _ZN7rocprim17ROCPRIM_400000_NS6detail17trampoline_kernelINS0_14default_configENS1_35radix_sort_onesweep_config_selectorIjNS0_10empty_typeEEEZZNS1_29radix_sort_onesweep_iterationIS3_Lb1EPKjPjPS5_SB_mNS0_19identity_decomposerENS1_16block_id_wrapperIjLb1EEEEE10hipError_tT1_PNSt15iterator_traitsISG_E10value_typeET2_T3_PNSH_ISM_E10value_typeET4_T5_PSR_SS_PNS1_23onesweep_lookback_stateEbbT6_jjT7_P12ihipStream_tbENKUlT_T0_SG_SL_E_clIS9_SA_SB_SB_EEDaSZ_S10_SG_SL_EUlSZ_E_NS1_11comp_targetILNS1_3genE4ELNS1_11target_archE910ELNS1_3gpuE8ELNS1_3repE0EEENS1_47radix_sort_onesweep_sort_config_static_selectorELNS0_4arch9wavefront6targetE0EEEvSG_.num_vgpr, 0
	.set _ZN7rocprim17ROCPRIM_400000_NS6detail17trampoline_kernelINS0_14default_configENS1_35radix_sort_onesweep_config_selectorIjNS0_10empty_typeEEEZZNS1_29radix_sort_onesweep_iterationIS3_Lb1EPKjPjPS5_SB_mNS0_19identity_decomposerENS1_16block_id_wrapperIjLb1EEEEE10hipError_tT1_PNSt15iterator_traitsISG_E10value_typeET2_T3_PNSH_ISM_E10value_typeET4_T5_PSR_SS_PNS1_23onesweep_lookback_stateEbbT6_jjT7_P12ihipStream_tbENKUlT_T0_SG_SL_E_clIS9_SA_SB_SB_EEDaSZ_S10_SG_SL_EUlSZ_E_NS1_11comp_targetILNS1_3genE4ELNS1_11target_archE910ELNS1_3gpuE8ELNS1_3repE0EEENS1_47radix_sort_onesweep_sort_config_static_selectorELNS0_4arch9wavefront6targetE0EEEvSG_.num_agpr, 0
	.set _ZN7rocprim17ROCPRIM_400000_NS6detail17trampoline_kernelINS0_14default_configENS1_35radix_sort_onesweep_config_selectorIjNS0_10empty_typeEEEZZNS1_29radix_sort_onesweep_iterationIS3_Lb1EPKjPjPS5_SB_mNS0_19identity_decomposerENS1_16block_id_wrapperIjLb1EEEEE10hipError_tT1_PNSt15iterator_traitsISG_E10value_typeET2_T3_PNSH_ISM_E10value_typeET4_T5_PSR_SS_PNS1_23onesweep_lookback_stateEbbT6_jjT7_P12ihipStream_tbENKUlT_T0_SG_SL_E_clIS9_SA_SB_SB_EEDaSZ_S10_SG_SL_EUlSZ_E_NS1_11comp_targetILNS1_3genE4ELNS1_11target_archE910ELNS1_3gpuE8ELNS1_3repE0EEENS1_47radix_sort_onesweep_sort_config_static_selectorELNS0_4arch9wavefront6targetE0EEEvSG_.numbered_sgpr, 0
	.set _ZN7rocprim17ROCPRIM_400000_NS6detail17trampoline_kernelINS0_14default_configENS1_35radix_sort_onesweep_config_selectorIjNS0_10empty_typeEEEZZNS1_29radix_sort_onesweep_iterationIS3_Lb1EPKjPjPS5_SB_mNS0_19identity_decomposerENS1_16block_id_wrapperIjLb1EEEEE10hipError_tT1_PNSt15iterator_traitsISG_E10value_typeET2_T3_PNSH_ISM_E10value_typeET4_T5_PSR_SS_PNS1_23onesweep_lookback_stateEbbT6_jjT7_P12ihipStream_tbENKUlT_T0_SG_SL_E_clIS9_SA_SB_SB_EEDaSZ_S10_SG_SL_EUlSZ_E_NS1_11comp_targetILNS1_3genE4ELNS1_11target_archE910ELNS1_3gpuE8ELNS1_3repE0EEENS1_47radix_sort_onesweep_sort_config_static_selectorELNS0_4arch9wavefront6targetE0EEEvSG_.num_named_barrier, 0
	.set _ZN7rocprim17ROCPRIM_400000_NS6detail17trampoline_kernelINS0_14default_configENS1_35radix_sort_onesweep_config_selectorIjNS0_10empty_typeEEEZZNS1_29radix_sort_onesweep_iterationIS3_Lb1EPKjPjPS5_SB_mNS0_19identity_decomposerENS1_16block_id_wrapperIjLb1EEEEE10hipError_tT1_PNSt15iterator_traitsISG_E10value_typeET2_T3_PNSH_ISM_E10value_typeET4_T5_PSR_SS_PNS1_23onesweep_lookback_stateEbbT6_jjT7_P12ihipStream_tbENKUlT_T0_SG_SL_E_clIS9_SA_SB_SB_EEDaSZ_S10_SG_SL_EUlSZ_E_NS1_11comp_targetILNS1_3genE4ELNS1_11target_archE910ELNS1_3gpuE8ELNS1_3repE0EEENS1_47radix_sort_onesweep_sort_config_static_selectorELNS0_4arch9wavefront6targetE0EEEvSG_.private_seg_size, 0
	.set _ZN7rocprim17ROCPRIM_400000_NS6detail17trampoline_kernelINS0_14default_configENS1_35radix_sort_onesweep_config_selectorIjNS0_10empty_typeEEEZZNS1_29radix_sort_onesweep_iterationIS3_Lb1EPKjPjPS5_SB_mNS0_19identity_decomposerENS1_16block_id_wrapperIjLb1EEEEE10hipError_tT1_PNSt15iterator_traitsISG_E10value_typeET2_T3_PNSH_ISM_E10value_typeET4_T5_PSR_SS_PNS1_23onesweep_lookback_stateEbbT6_jjT7_P12ihipStream_tbENKUlT_T0_SG_SL_E_clIS9_SA_SB_SB_EEDaSZ_S10_SG_SL_EUlSZ_E_NS1_11comp_targetILNS1_3genE4ELNS1_11target_archE910ELNS1_3gpuE8ELNS1_3repE0EEENS1_47radix_sort_onesweep_sort_config_static_selectorELNS0_4arch9wavefront6targetE0EEEvSG_.uses_vcc, 0
	.set _ZN7rocprim17ROCPRIM_400000_NS6detail17trampoline_kernelINS0_14default_configENS1_35radix_sort_onesweep_config_selectorIjNS0_10empty_typeEEEZZNS1_29radix_sort_onesweep_iterationIS3_Lb1EPKjPjPS5_SB_mNS0_19identity_decomposerENS1_16block_id_wrapperIjLb1EEEEE10hipError_tT1_PNSt15iterator_traitsISG_E10value_typeET2_T3_PNSH_ISM_E10value_typeET4_T5_PSR_SS_PNS1_23onesweep_lookback_stateEbbT6_jjT7_P12ihipStream_tbENKUlT_T0_SG_SL_E_clIS9_SA_SB_SB_EEDaSZ_S10_SG_SL_EUlSZ_E_NS1_11comp_targetILNS1_3genE4ELNS1_11target_archE910ELNS1_3gpuE8ELNS1_3repE0EEENS1_47radix_sort_onesweep_sort_config_static_selectorELNS0_4arch9wavefront6targetE0EEEvSG_.uses_flat_scratch, 0
	.set _ZN7rocprim17ROCPRIM_400000_NS6detail17trampoline_kernelINS0_14default_configENS1_35radix_sort_onesweep_config_selectorIjNS0_10empty_typeEEEZZNS1_29radix_sort_onesweep_iterationIS3_Lb1EPKjPjPS5_SB_mNS0_19identity_decomposerENS1_16block_id_wrapperIjLb1EEEEE10hipError_tT1_PNSt15iterator_traitsISG_E10value_typeET2_T3_PNSH_ISM_E10value_typeET4_T5_PSR_SS_PNS1_23onesweep_lookback_stateEbbT6_jjT7_P12ihipStream_tbENKUlT_T0_SG_SL_E_clIS9_SA_SB_SB_EEDaSZ_S10_SG_SL_EUlSZ_E_NS1_11comp_targetILNS1_3genE4ELNS1_11target_archE910ELNS1_3gpuE8ELNS1_3repE0EEENS1_47radix_sort_onesweep_sort_config_static_selectorELNS0_4arch9wavefront6targetE0EEEvSG_.has_dyn_sized_stack, 0
	.set _ZN7rocprim17ROCPRIM_400000_NS6detail17trampoline_kernelINS0_14default_configENS1_35radix_sort_onesweep_config_selectorIjNS0_10empty_typeEEEZZNS1_29radix_sort_onesweep_iterationIS3_Lb1EPKjPjPS5_SB_mNS0_19identity_decomposerENS1_16block_id_wrapperIjLb1EEEEE10hipError_tT1_PNSt15iterator_traitsISG_E10value_typeET2_T3_PNSH_ISM_E10value_typeET4_T5_PSR_SS_PNS1_23onesweep_lookback_stateEbbT6_jjT7_P12ihipStream_tbENKUlT_T0_SG_SL_E_clIS9_SA_SB_SB_EEDaSZ_S10_SG_SL_EUlSZ_E_NS1_11comp_targetILNS1_3genE4ELNS1_11target_archE910ELNS1_3gpuE8ELNS1_3repE0EEENS1_47radix_sort_onesweep_sort_config_static_selectorELNS0_4arch9wavefront6targetE0EEEvSG_.has_recursion, 0
	.set _ZN7rocprim17ROCPRIM_400000_NS6detail17trampoline_kernelINS0_14default_configENS1_35radix_sort_onesweep_config_selectorIjNS0_10empty_typeEEEZZNS1_29radix_sort_onesweep_iterationIS3_Lb1EPKjPjPS5_SB_mNS0_19identity_decomposerENS1_16block_id_wrapperIjLb1EEEEE10hipError_tT1_PNSt15iterator_traitsISG_E10value_typeET2_T3_PNSH_ISM_E10value_typeET4_T5_PSR_SS_PNS1_23onesweep_lookback_stateEbbT6_jjT7_P12ihipStream_tbENKUlT_T0_SG_SL_E_clIS9_SA_SB_SB_EEDaSZ_S10_SG_SL_EUlSZ_E_NS1_11comp_targetILNS1_3genE4ELNS1_11target_archE910ELNS1_3gpuE8ELNS1_3repE0EEENS1_47radix_sort_onesweep_sort_config_static_selectorELNS0_4arch9wavefront6targetE0EEEvSG_.has_indirect_call, 0
	.section	.AMDGPU.csdata,"",@progbits
; Kernel info:
; codeLenInByte = 0
; TotalNumSgprs: 0
; NumVgprs: 0
; ScratchSize: 0
; MemoryBound: 0
; FloatMode: 240
; IeeeMode: 1
; LDSByteSize: 0 bytes/workgroup (compile time only)
; SGPRBlocks: 0
; VGPRBlocks: 0
; NumSGPRsForWavesPerEU: 1
; NumVGPRsForWavesPerEU: 1
; NamedBarCnt: 0
; Occupancy: 16
; WaveLimiterHint : 0
; COMPUTE_PGM_RSRC2:SCRATCH_EN: 0
; COMPUTE_PGM_RSRC2:USER_SGPR: 2
; COMPUTE_PGM_RSRC2:TRAP_HANDLER: 0
; COMPUTE_PGM_RSRC2:TGID_X_EN: 1
; COMPUTE_PGM_RSRC2:TGID_Y_EN: 0
; COMPUTE_PGM_RSRC2:TGID_Z_EN: 0
; COMPUTE_PGM_RSRC2:TIDIG_COMP_CNT: 0
	.section	.text._ZN7rocprim17ROCPRIM_400000_NS6detail17trampoline_kernelINS0_14default_configENS1_35radix_sort_onesweep_config_selectorIjNS0_10empty_typeEEEZZNS1_29radix_sort_onesweep_iterationIS3_Lb1EPKjPjPS5_SB_mNS0_19identity_decomposerENS1_16block_id_wrapperIjLb1EEEEE10hipError_tT1_PNSt15iterator_traitsISG_E10value_typeET2_T3_PNSH_ISM_E10value_typeET4_T5_PSR_SS_PNS1_23onesweep_lookback_stateEbbT6_jjT7_P12ihipStream_tbENKUlT_T0_SG_SL_E_clIS9_SA_SB_SB_EEDaSZ_S10_SG_SL_EUlSZ_E_NS1_11comp_targetILNS1_3genE3ELNS1_11target_archE908ELNS1_3gpuE7ELNS1_3repE0EEENS1_47radix_sort_onesweep_sort_config_static_selectorELNS0_4arch9wavefront6targetE0EEEvSG_,"axG",@progbits,_ZN7rocprim17ROCPRIM_400000_NS6detail17trampoline_kernelINS0_14default_configENS1_35radix_sort_onesweep_config_selectorIjNS0_10empty_typeEEEZZNS1_29radix_sort_onesweep_iterationIS3_Lb1EPKjPjPS5_SB_mNS0_19identity_decomposerENS1_16block_id_wrapperIjLb1EEEEE10hipError_tT1_PNSt15iterator_traitsISG_E10value_typeET2_T3_PNSH_ISM_E10value_typeET4_T5_PSR_SS_PNS1_23onesweep_lookback_stateEbbT6_jjT7_P12ihipStream_tbENKUlT_T0_SG_SL_E_clIS9_SA_SB_SB_EEDaSZ_S10_SG_SL_EUlSZ_E_NS1_11comp_targetILNS1_3genE3ELNS1_11target_archE908ELNS1_3gpuE7ELNS1_3repE0EEENS1_47radix_sort_onesweep_sort_config_static_selectorELNS0_4arch9wavefront6targetE0EEEvSG_,comdat
	.protected	_ZN7rocprim17ROCPRIM_400000_NS6detail17trampoline_kernelINS0_14default_configENS1_35radix_sort_onesweep_config_selectorIjNS0_10empty_typeEEEZZNS1_29radix_sort_onesweep_iterationIS3_Lb1EPKjPjPS5_SB_mNS0_19identity_decomposerENS1_16block_id_wrapperIjLb1EEEEE10hipError_tT1_PNSt15iterator_traitsISG_E10value_typeET2_T3_PNSH_ISM_E10value_typeET4_T5_PSR_SS_PNS1_23onesweep_lookback_stateEbbT6_jjT7_P12ihipStream_tbENKUlT_T0_SG_SL_E_clIS9_SA_SB_SB_EEDaSZ_S10_SG_SL_EUlSZ_E_NS1_11comp_targetILNS1_3genE3ELNS1_11target_archE908ELNS1_3gpuE7ELNS1_3repE0EEENS1_47radix_sort_onesweep_sort_config_static_selectorELNS0_4arch9wavefront6targetE0EEEvSG_ ; -- Begin function _ZN7rocprim17ROCPRIM_400000_NS6detail17trampoline_kernelINS0_14default_configENS1_35radix_sort_onesweep_config_selectorIjNS0_10empty_typeEEEZZNS1_29radix_sort_onesweep_iterationIS3_Lb1EPKjPjPS5_SB_mNS0_19identity_decomposerENS1_16block_id_wrapperIjLb1EEEEE10hipError_tT1_PNSt15iterator_traitsISG_E10value_typeET2_T3_PNSH_ISM_E10value_typeET4_T5_PSR_SS_PNS1_23onesweep_lookback_stateEbbT6_jjT7_P12ihipStream_tbENKUlT_T0_SG_SL_E_clIS9_SA_SB_SB_EEDaSZ_S10_SG_SL_EUlSZ_E_NS1_11comp_targetILNS1_3genE3ELNS1_11target_archE908ELNS1_3gpuE7ELNS1_3repE0EEENS1_47radix_sort_onesweep_sort_config_static_selectorELNS0_4arch9wavefront6targetE0EEEvSG_
	.globl	_ZN7rocprim17ROCPRIM_400000_NS6detail17trampoline_kernelINS0_14default_configENS1_35radix_sort_onesweep_config_selectorIjNS0_10empty_typeEEEZZNS1_29radix_sort_onesweep_iterationIS3_Lb1EPKjPjPS5_SB_mNS0_19identity_decomposerENS1_16block_id_wrapperIjLb1EEEEE10hipError_tT1_PNSt15iterator_traitsISG_E10value_typeET2_T3_PNSH_ISM_E10value_typeET4_T5_PSR_SS_PNS1_23onesweep_lookback_stateEbbT6_jjT7_P12ihipStream_tbENKUlT_T0_SG_SL_E_clIS9_SA_SB_SB_EEDaSZ_S10_SG_SL_EUlSZ_E_NS1_11comp_targetILNS1_3genE3ELNS1_11target_archE908ELNS1_3gpuE7ELNS1_3repE0EEENS1_47radix_sort_onesweep_sort_config_static_selectorELNS0_4arch9wavefront6targetE0EEEvSG_
	.p2align	8
	.type	_ZN7rocprim17ROCPRIM_400000_NS6detail17trampoline_kernelINS0_14default_configENS1_35radix_sort_onesweep_config_selectorIjNS0_10empty_typeEEEZZNS1_29radix_sort_onesweep_iterationIS3_Lb1EPKjPjPS5_SB_mNS0_19identity_decomposerENS1_16block_id_wrapperIjLb1EEEEE10hipError_tT1_PNSt15iterator_traitsISG_E10value_typeET2_T3_PNSH_ISM_E10value_typeET4_T5_PSR_SS_PNS1_23onesweep_lookback_stateEbbT6_jjT7_P12ihipStream_tbENKUlT_T0_SG_SL_E_clIS9_SA_SB_SB_EEDaSZ_S10_SG_SL_EUlSZ_E_NS1_11comp_targetILNS1_3genE3ELNS1_11target_archE908ELNS1_3gpuE7ELNS1_3repE0EEENS1_47radix_sort_onesweep_sort_config_static_selectorELNS0_4arch9wavefront6targetE0EEEvSG_,@function
_ZN7rocprim17ROCPRIM_400000_NS6detail17trampoline_kernelINS0_14default_configENS1_35radix_sort_onesweep_config_selectorIjNS0_10empty_typeEEEZZNS1_29radix_sort_onesweep_iterationIS3_Lb1EPKjPjPS5_SB_mNS0_19identity_decomposerENS1_16block_id_wrapperIjLb1EEEEE10hipError_tT1_PNSt15iterator_traitsISG_E10value_typeET2_T3_PNSH_ISM_E10value_typeET4_T5_PSR_SS_PNS1_23onesweep_lookback_stateEbbT6_jjT7_P12ihipStream_tbENKUlT_T0_SG_SL_E_clIS9_SA_SB_SB_EEDaSZ_S10_SG_SL_EUlSZ_E_NS1_11comp_targetILNS1_3genE3ELNS1_11target_archE908ELNS1_3gpuE7ELNS1_3repE0EEENS1_47radix_sort_onesweep_sort_config_static_selectorELNS0_4arch9wavefront6targetE0EEEvSG_: ; @_ZN7rocprim17ROCPRIM_400000_NS6detail17trampoline_kernelINS0_14default_configENS1_35radix_sort_onesweep_config_selectorIjNS0_10empty_typeEEEZZNS1_29radix_sort_onesweep_iterationIS3_Lb1EPKjPjPS5_SB_mNS0_19identity_decomposerENS1_16block_id_wrapperIjLb1EEEEE10hipError_tT1_PNSt15iterator_traitsISG_E10value_typeET2_T3_PNSH_ISM_E10value_typeET4_T5_PSR_SS_PNS1_23onesweep_lookback_stateEbbT6_jjT7_P12ihipStream_tbENKUlT_T0_SG_SL_E_clIS9_SA_SB_SB_EEDaSZ_S10_SG_SL_EUlSZ_E_NS1_11comp_targetILNS1_3genE3ELNS1_11target_archE908ELNS1_3gpuE7ELNS1_3repE0EEENS1_47radix_sort_onesweep_sort_config_static_selectorELNS0_4arch9wavefront6targetE0EEEvSG_
; %bb.0:
	.section	.rodata,"a",@progbits
	.p2align	6, 0x0
	.amdhsa_kernel _ZN7rocprim17ROCPRIM_400000_NS6detail17trampoline_kernelINS0_14default_configENS1_35radix_sort_onesweep_config_selectorIjNS0_10empty_typeEEEZZNS1_29radix_sort_onesweep_iterationIS3_Lb1EPKjPjPS5_SB_mNS0_19identity_decomposerENS1_16block_id_wrapperIjLb1EEEEE10hipError_tT1_PNSt15iterator_traitsISG_E10value_typeET2_T3_PNSH_ISM_E10value_typeET4_T5_PSR_SS_PNS1_23onesweep_lookback_stateEbbT6_jjT7_P12ihipStream_tbENKUlT_T0_SG_SL_E_clIS9_SA_SB_SB_EEDaSZ_S10_SG_SL_EUlSZ_E_NS1_11comp_targetILNS1_3genE3ELNS1_11target_archE908ELNS1_3gpuE7ELNS1_3repE0EEENS1_47radix_sort_onesweep_sort_config_static_selectorELNS0_4arch9wavefront6targetE0EEEvSG_
		.amdhsa_group_segment_fixed_size 0
		.amdhsa_private_segment_fixed_size 0
		.amdhsa_kernarg_size 88
		.amdhsa_user_sgpr_count 2
		.amdhsa_user_sgpr_dispatch_ptr 0
		.amdhsa_user_sgpr_queue_ptr 0
		.amdhsa_user_sgpr_kernarg_segment_ptr 1
		.amdhsa_user_sgpr_dispatch_id 0
		.amdhsa_user_sgpr_kernarg_preload_length 0
		.amdhsa_user_sgpr_kernarg_preload_offset 0
		.amdhsa_user_sgpr_private_segment_size 0
		.amdhsa_wavefront_size32 1
		.amdhsa_uses_dynamic_stack 0
		.amdhsa_enable_private_segment 0
		.amdhsa_system_sgpr_workgroup_id_x 1
		.amdhsa_system_sgpr_workgroup_id_y 0
		.amdhsa_system_sgpr_workgroup_id_z 0
		.amdhsa_system_sgpr_workgroup_info 0
		.amdhsa_system_vgpr_workitem_id 0
		.amdhsa_next_free_vgpr 1
		.amdhsa_next_free_sgpr 1
		.amdhsa_named_barrier_count 0
		.amdhsa_reserve_vcc 0
		.amdhsa_float_round_mode_32 0
		.amdhsa_float_round_mode_16_64 0
		.amdhsa_float_denorm_mode_32 3
		.amdhsa_float_denorm_mode_16_64 3
		.amdhsa_fp16_overflow 0
		.amdhsa_memory_ordered 1
		.amdhsa_forward_progress 1
		.amdhsa_inst_pref_size 0
		.amdhsa_round_robin_scheduling 0
		.amdhsa_exception_fp_ieee_invalid_op 0
		.amdhsa_exception_fp_denorm_src 0
		.amdhsa_exception_fp_ieee_div_zero 0
		.amdhsa_exception_fp_ieee_overflow 0
		.amdhsa_exception_fp_ieee_underflow 0
		.amdhsa_exception_fp_ieee_inexact 0
		.amdhsa_exception_int_div_zero 0
	.end_amdhsa_kernel
	.section	.text._ZN7rocprim17ROCPRIM_400000_NS6detail17trampoline_kernelINS0_14default_configENS1_35radix_sort_onesweep_config_selectorIjNS0_10empty_typeEEEZZNS1_29radix_sort_onesweep_iterationIS3_Lb1EPKjPjPS5_SB_mNS0_19identity_decomposerENS1_16block_id_wrapperIjLb1EEEEE10hipError_tT1_PNSt15iterator_traitsISG_E10value_typeET2_T3_PNSH_ISM_E10value_typeET4_T5_PSR_SS_PNS1_23onesweep_lookback_stateEbbT6_jjT7_P12ihipStream_tbENKUlT_T0_SG_SL_E_clIS9_SA_SB_SB_EEDaSZ_S10_SG_SL_EUlSZ_E_NS1_11comp_targetILNS1_3genE3ELNS1_11target_archE908ELNS1_3gpuE7ELNS1_3repE0EEENS1_47radix_sort_onesweep_sort_config_static_selectorELNS0_4arch9wavefront6targetE0EEEvSG_,"axG",@progbits,_ZN7rocprim17ROCPRIM_400000_NS6detail17trampoline_kernelINS0_14default_configENS1_35radix_sort_onesweep_config_selectorIjNS0_10empty_typeEEEZZNS1_29radix_sort_onesweep_iterationIS3_Lb1EPKjPjPS5_SB_mNS0_19identity_decomposerENS1_16block_id_wrapperIjLb1EEEEE10hipError_tT1_PNSt15iterator_traitsISG_E10value_typeET2_T3_PNSH_ISM_E10value_typeET4_T5_PSR_SS_PNS1_23onesweep_lookback_stateEbbT6_jjT7_P12ihipStream_tbENKUlT_T0_SG_SL_E_clIS9_SA_SB_SB_EEDaSZ_S10_SG_SL_EUlSZ_E_NS1_11comp_targetILNS1_3genE3ELNS1_11target_archE908ELNS1_3gpuE7ELNS1_3repE0EEENS1_47radix_sort_onesweep_sort_config_static_selectorELNS0_4arch9wavefront6targetE0EEEvSG_,comdat
.Lfunc_end2638:
	.size	_ZN7rocprim17ROCPRIM_400000_NS6detail17trampoline_kernelINS0_14default_configENS1_35radix_sort_onesweep_config_selectorIjNS0_10empty_typeEEEZZNS1_29radix_sort_onesweep_iterationIS3_Lb1EPKjPjPS5_SB_mNS0_19identity_decomposerENS1_16block_id_wrapperIjLb1EEEEE10hipError_tT1_PNSt15iterator_traitsISG_E10value_typeET2_T3_PNSH_ISM_E10value_typeET4_T5_PSR_SS_PNS1_23onesweep_lookback_stateEbbT6_jjT7_P12ihipStream_tbENKUlT_T0_SG_SL_E_clIS9_SA_SB_SB_EEDaSZ_S10_SG_SL_EUlSZ_E_NS1_11comp_targetILNS1_3genE3ELNS1_11target_archE908ELNS1_3gpuE7ELNS1_3repE0EEENS1_47radix_sort_onesweep_sort_config_static_selectorELNS0_4arch9wavefront6targetE0EEEvSG_, .Lfunc_end2638-_ZN7rocprim17ROCPRIM_400000_NS6detail17trampoline_kernelINS0_14default_configENS1_35radix_sort_onesweep_config_selectorIjNS0_10empty_typeEEEZZNS1_29radix_sort_onesweep_iterationIS3_Lb1EPKjPjPS5_SB_mNS0_19identity_decomposerENS1_16block_id_wrapperIjLb1EEEEE10hipError_tT1_PNSt15iterator_traitsISG_E10value_typeET2_T3_PNSH_ISM_E10value_typeET4_T5_PSR_SS_PNS1_23onesweep_lookback_stateEbbT6_jjT7_P12ihipStream_tbENKUlT_T0_SG_SL_E_clIS9_SA_SB_SB_EEDaSZ_S10_SG_SL_EUlSZ_E_NS1_11comp_targetILNS1_3genE3ELNS1_11target_archE908ELNS1_3gpuE7ELNS1_3repE0EEENS1_47radix_sort_onesweep_sort_config_static_selectorELNS0_4arch9wavefront6targetE0EEEvSG_
                                        ; -- End function
	.set _ZN7rocprim17ROCPRIM_400000_NS6detail17trampoline_kernelINS0_14default_configENS1_35radix_sort_onesweep_config_selectorIjNS0_10empty_typeEEEZZNS1_29radix_sort_onesweep_iterationIS3_Lb1EPKjPjPS5_SB_mNS0_19identity_decomposerENS1_16block_id_wrapperIjLb1EEEEE10hipError_tT1_PNSt15iterator_traitsISG_E10value_typeET2_T3_PNSH_ISM_E10value_typeET4_T5_PSR_SS_PNS1_23onesweep_lookback_stateEbbT6_jjT7_P12ihipStream_tbENKUlT_T0_SG_SL_E_clIS9_SA_SB_SB_EEDaSZ_S10_SG_SL_EUlSZ_E_NS1_11comp_targetILNS1_3genE3ELNS1_11target_archE908ELNS1_3gpuE7ELNS1_3repE0EEENS1_47radix_sort_onesweep_sort_config_static_selectorELNS0_4arch9wavefront6targetE0EEEvSG_.num_vgpr, 0
	.set _ZN7rocprim17ROCPRIM_400000_NS6detail17trampoline_kernelINS0_14default_configENS1_35radix_sort_onesweep_config_selectorIjNS0_10empty_typeEEEZZNS1_29radix_sort_onesweep_iterationIS3_Lb1EPKjPjPS5_SB_mNS0_19identity_decomposerENS1_16block_id_wrapperIjLb1EEEEE10hipError_tT1_PNSt15iterator_traitsISG_E10value_typeET2_T3_PNSH_ISM_E10value_typeET4_T5_PSR_SS_PNS1_23onesweep_lookback_stateEbbT6_jjT7_P12ihipStream_tbENKUlT_T0_SG_SL_E_clIS9_SA_SB_SB_EEDaSZ_S10_SG_SL_EUlSZ_E_NS1_11comp_targetILNS1_3genE3ELNS1_11target_archE908ELNS1_3gpuE7ELNS1_3repE0EEENS1_47radix_sort_onesweep_sort_config_static_selectorELNS0_4arch9wavefront6targetE0EEEvSG_.num_agpr, 0
	.set _ZN7rocprim17ROCPRIM_400000_NS6detail17trampoline_kernelINS0_14default_configENS1_35radix_sort_onesweep_config_selectorIjNS0_10empty_typeEEEZZNS1_29radix_sort_onesweep_iterationIS3_Lb1EPKjPjPS5_SB_mNS0_19identity_decomposerENS1_16block_id_wrapperIjLb1EEEEE10hipError_tT1_PNSt15iterator_traitsISG_E10value_typeET2_T3_PNSH_ISM_E10value_typeET4_T5_PSR_SS_PNS1_23onesweep_lookback_stateEbbT6_jjT7_P12ihipStream_tbENKUlT_T0_SG_SL_E_clIS9_SA_SB_SB_EEDaSZ_S10_SG_SL_EUlSZ_E_NS1_11comp_targetILNS1_3genE3ELNS1_11target_archE908ELNS1_3gpuE7ELNS1_3repE0EEENS1_47radix_sort_onesweep_sort_config_static_selectorELNS0_4arch9wavefront6targetE0EEEvSG_.numbered_sgpr, 0
	.set _ZN7rocprim17ROCPRIM_400000_NS6detail17trampoline_kernelINS0_14default_configENS1_35radix_sort_onesweep_config_selectorIjNS0_10empty_typeEEEZZNS1_29radix_sort_onesweep_iterationIS3_Lb1EPKjPjPS5_SB_mNS0_19identity_decomposerENS1_16block_id_wrapperIjLb1EEEEE10hipError_tT1_PNSt15iterator_traitsISG_E10value_typeET2_T3_PNSH_ISM_E10value_typeET4_T5_PSR_SS_PNS1_23onesweep_lookback_stateEbbT6_jjT7_P12ihipStream_tbENKUlT_T0_SG_SL_E_clIS9_SA_SB_SB_EEDaSZ_S10_SG_SL_EUlSZ_E_NS1_11comp_targetILNS1_3genE3ELNS1_11target_archE908ELNS1_3gpuE7ELNS1_3repE0EEENS1_47radix_sort_onesweep_sort_config_static_selectorELNS0_4arch9wavefront6targetE0EEEvSG_.num_named_barrier, 0
	.set _ZN7rocprim17ROCPRIM_400000_NS6detail17trampoline_kernelINS0_14default_configENS1_35radix_sort_onesweep_config_selectorIjNS0_10empty_typeEEEZZNS1_29radix_sort_onesweep_iterationIS3_Lb1EPKjPjPS5_SB_mNS0_19identity_decomposerENS1_16block_id_wrapperIjLb1EEEEE10hipError_tT1_PNSt15iterator_traitsISG_E10value_typeET2_T3_PNSH_ISM_E10value_typeET4_T5_PSR_SS_PNS1_23onesweep_lookback_stateEbbT6_jjT7_P12ihipStream_tbENKUlT_T0_SG_SL_E_clIS9_SA_SB_SB_EEDaSZ_S10_SG_SL_EUlSZ_E_NS1_11comp_targetILNS1_3genE3ELNS1_11target_archE908ELNS1_3gpuE7ELNS1_3repE0EEENS1_47radix_sort_onesweep_sort_config_static_selectorELNS0_4arch9wavefront6targetE0EEEvSG_.private_seg_size, 0
	.set _ZN7rocprim17ROCPRIM_400000_NS6detail17trampoline_kernelINS0_14default_configENS1_35radix_sort_onesweep_config_selectorIjNS0_10empty_typeEEEZZNS1_29radix_sort_onesweep_iterationIS3_Lb1EPKjPjPS5_SB_mNS0_19identity_decomposerENS1_16block_id_wrapperIjLb1EEEEE10hipError_tT1_PNSt15iterator_traitsISG_E10value_typeET2_T3_PNSH_ISM_E10value_typeET4_T5_PSR_SS_PNS1_23onesweep_lookback_stateEbbT6_jjT7_P12ihipStream_tbENKUlT_T0_SG_SL_E_clIS9_SA_SB_SB_EEDaSZ_S10_SG_SL_EUlSZ_E_NS1_11comp_targetILNS1_3genE3ELNS1_11target_archE908ELNS1_3gpuE7ELNS1_3repE0EEENS1_47radix_sort_onesweep_sort_config_static_selectorELNS0_4arch9wavefront6targetE0EEEvSG_.uses_vcc, 0
	.set _ZN7rocprim17ROCPRIM_400000_NS6detail17trampoline_kernelINS0_14default_configENS1_35radix_sort_onesweep_config_selectorIjNS0_10empty_typeEEEZZNS1_29radix_sort_onesweep_iterationIS3_Lb1EPKjPjPS5_SB_mNS0_19identity_decomposerENS1_16block_id_wrapperIjLb1EEEEE10hipError_tT1_PNSt15iterator_traitsISG_E10value_typeET2_T3_PNSH_ISM_E10value_typeET4_T5_PSR_SS_PNS1_23onesweep_lookback_stateEbbT6_jjT7_P12ihipStream_tbENKUlT_T0_SG_SL_E_clIS9_SA_SB_SB_EEDaSZ_S10_SG_SL_EUlSZ_E_NS1_11comp_targetILNS1_3genE3ELNS1_11target_archE908ELNS1_3gpuE7ELNS1_3repE0EEENS1_47radix_sort_onesweep_sort_config_static_selectorELNS0_4arch9wavefront6targetE0EEEvSG_.uses_flat_scratch, 0
	.set _ZN7rocprim17ROCPRIM_400000_NS6detail17trampoline_kernelINS0_14default_configENS1_35radix_sort_onesweep_config_selectorIjNS0_10empty_typeEEEZZNS1_29radix_sort_onesweep_iterationIS3_Lb1EPKjPjPS5_SB_mNS0_19identity_decomposerENS1_16block_id_wrapperIjLb1EEEEE10hipError_tT1_PNSt15iterator_traitsISG_E10value_typeET2_T3_PNSH_ISM_E10value_typeET4_T5_PSR_SS_PNS1_23onesweep_lookback_stateEbbT6_jjT7_P12ihipStream_tbENKUlT_T0_SG_SL_E_clIS9_SA_SB_SB_EEDaSZ_S10_SG_SL_EUlSZ_E_NS1_11comp_targetILNS1_3genE3ELNS1_11target_archE908ELNS1_3gpuE7ELNS1_3repE0EEENS1_47radix_sort_onesweep_sort_config_static_selectorELNS0_4arch9wavefront6targetE0EEEvSG_.has_dyn_sized_stack, 0
	.set _ZN7rocprim17ROCPRIM_400000_NS6detail17trampoline_kernelINS0_14default_configENS1_35radix_sort_onesweep_config_selectorIjNS0_10empty_typeEEEZZNS1_29radix_sort_onesweep_iterationIS3_Lb1EPKjPjPS5_SB_mNS0_19identity_decomposerENS1_16block_id_wrapperIjLb1EEEEE10hipError_tT1_PNSt15iterator_traitsISG_E10value_typeET2_T3_PNSH_ISM_E10value_typeET4_T5_PSR_SS_PNS1_23onesweep_lookback_stateEbbT6_jjT7_P12ihipStream_tbENKUlT_T0_SG_SL_E_clIS9_SA_SB_SB_EEDaSZ_S10_SG_SL_EUlSZ_E_NS1_11comp_targetILNS1_3genE3ELNS1_11target_archE908ELNS1_3gpuE7ELNS1_3repE0EEENS1_47radix_sort_onesweep_sort_config_static_selectorELNS0_4arch9wavefront6targetE0EEEvSG_.has_recursion, 0
	.set _ZN7rocprim17ROCPRIM_400000_NS6detail17trampoline_kernelINS0_14default_configENS1_35radix_sort_onesweep_config_selectorIjNS0_10empty_typeEEEZZNS1_29radix_sort_onesweep_iterationIS3_Lb1EPKjPjPS5_SB_mNS0_19identity_decomposerENS1_16block_id_wrapperIjLb1EEEEE10hipError_tT1_PNSt15iterator_traitsISG_E10value_typeET2_T3_PNSH_ISM_E10value_typeET4_T5_PSR_SS_PNS1_23onesweep_lookback_stateEbbT6_jjT7_P12ihipStream_tbENKUlT_T0_SG_SL_E_clIS9_SA_SB_SB_EEDaSZ_S10_SG_SL_EUlSZ_E_NS1_11comp_targetILNS1_3genE3ELNS1_11target_archE908ELNS1_3gpuE7ELNS1_3repE0EEENS1_47radix_sort_onesweep_sort_config_static_selectorELNS0_4arch9wavefront6targetE0EEEvSG_.has_indirect_call, 0
	.section	.AMDGPU.csdata,"",@progbits
; Kernel info:
; codeLenInByte = 0
; TotalNumSgprs: 0
; NumVgprs: 0
; ScratchSize: 0
; MemoryBound: 0
; FloatMode: 240
; IeeeMode: 1
; LDSByteSize: 0 bytes/workgroup (compile time only)
; SGPRBlocks: 0
; VGPRBlocks: 0
; NumSGPRsForWavesPerEU: 1
; NumVGPRsForWavesPerEU: 1
; NamedBarCnt: 0
; Occupancy: 16
; WaveLimiterHint : 0
; COMPUTE_PGM_RSRC2:SCRATCH_EN: 0
; COMPUTE_PGM_RSRC2:USER_SGPR: 2
; COMPUTE_PGM_RSRC2:TRAP_HANDLER: 0
; COMPUTE_PGM_RSRC2:TGID_X_EN: 1
; COMPUTE_PGM_RSRC2:TGID_Y_EN: 0
; COMPUTE_PGM_RSRC2:TGID_Z_EN: 0
; COMPUTE_PGM_RSRC2:TIDIG_COMP_CNT: 0
	.section	.text._ZN7rocprim17ROCPRIM_400000_NS6detail17trampoline_kernelINS0_14default_configENS1_35radix_sort_onesweep_config_selectorIjNS0_10empty_typeEEEZZNS1_29radix_sort_onesweep_iterationIS3_Lb1EPKjPjPS5_SB_mNS0_19identity_decomposerENS1_16block_id_wrapperIjLb1EEEEE10hipError_tT1_PNSt15iterator_traitsISG_E10value_typeET2_T3_PNSH_ISM_E10value_typeET4_T5_PSR_SS_PNS1_23onesweep_lookback_stateEbbT6_jjT7_P12ihipStream_tbENKUlT_T0_SG_SL_E_clIS9_SA_SB_SB_EEDaSZ_S10_SG_SL_EUlSZ_E_NS1_11comp_targetILNS1_3genE10ELNS1_11target_archE1201ELNS1_3gpuE5ELNS1_3repE0EEENS1_47radix_sort_onesweep_sort_config_static_selectorELNS0_4arch9wavefront6targetE0EEEvSG_,"axG",@progbits,_ZN7rocprim17ROCPRIM_400000_NS6detail17trampoline_kernelINS0_14default_configENS1_35radix_sort_onesweep_config_selectorIjNS0_10empty_typeEEEZZNS1_29radix_sort_onesweep_iterationIS3_Lb1EPKjPjPS5_SB_mNS0_19identity_decomposerENS1_16block_id_wrapperIjLb1EEEEE10hipError_tT1_PNSt15iterator_traitsISG_E10value_typeET2_T3_PNSH_ISM_E10value_typeET4_T5_PSR_SS_PNS1_23onesweep_lookback_stateEbbT6_jjT7_P12ihipStream_tbENKUlT_T0_SG_SL_E_clIS9_SA_SB_SB_EEDaSZ_S10_SG_SL_EUlSZ_E_NS1_11comp_targetILNS1_3genE10ELNS1_11target_archE1201ELNS1_3gpuE5ELNS1_3repE0EEENS1_47radix_sort_onesweep_sort_config_static_selectorELNS0_4arch9wavefront6targetE0EEEvSG_,comdat
	.protected	_ZN7rocprim17ROCPRIM_400000_NS6detail17trampoline_kernelINS0_14default_configENS1_35radix_sort_onesweep_config_selectorIjNS0_10empty_typeEEEZZNS1_29radix_sort_onesweep_iterationIS3_Lb1EPKjPjPS5_SB_mNS0_19identity_decomposerENS1_16block_id_wrapperIjLb1EEEEE10hipError_tT1_PNSt15iterator_traitsISG_E10value_typeET2_T3_PNSH_ISM_E10value_typeET4_T5_PSR_SS_PNS1_23onesweep_lookback_stateEbbT6_jjT7_P12ihipStream_tbENKUlT_T0_SG_SL_E_clIS9_SA_SB_SB_EEDaSZ_S10_SG_SL_EUlSZ_E_NS1_11comp_targetILNS1_3genE10ELNS1_11target_archE1201ELNS1_3gpuE5ELNS1_3repE0EEENS1_47radix_sort_onesweep_sort_config_static_selectorELNS0_4arch9wavefront6targetE0EEEvSG_ ; -- Begin function _ZN7rocprim17ROCPRIM_400000_NS6detail17trampoline_kernelINS0_14default_configENS1_35radix_sort_onesweep_config_selectorIjNS0_10empty_typeEEEZZNS1_29radix_sort_onesweep_iterationIS3_Lb1EPKjPjPS5_SB_mNS0_19identity_decomposerENS1_16block_id_wrapperIjLb1EEEEE10hipError_tT1_PNSt15iterator_traitsISG_E10value_typeET2_T3_PNSH_ISM_E10value_typeET4_T5_PSR_SS_PNS1_23onesweep_lookback_stateEbbT6_jjT7_P12ihipStream_tbENKUlT_T0_SG_SL_E_clIS9_SA_SB_SB_EEDaSZ_S10_SG_SL_EUlSZ_E_NS1_11comp_targetILNS1_3genE10ELNS1_11target_archE1201ELNS1_3gpuE5ELNS1_3repE0EEENS1_47radix_sort_onesweep_sort_config_static_selectorELNS0_4arch9wavefront6targetE0EEEvSG_
	.globl	_ZN7rocprim17ROCPRIM_400000_NS6detail17trampoline_kernelINS0_14default_configENS1_35radix_sort_onesweep_config_selectorIjNS0_10empty_typeEEEZZNS1_29radix_sort_onesweep_iterationIS3_Lb1EPKjPjPS5_SB_mNS0_19identity_decomposerENS1_16block_id_wrapperIjLb1EEEEE10hipError_tT1_PNSt15iterator_traitsISG_E10value_typeET2_T3_PNSH_ISM_E10value_typeET4_T5_PSR_SS_PNS1_23onesweep_lookback_stateEbbT6_jjT7_P12ihipStream_tbENKUlT_T0_SG_SL_E_clIS9_SA_SB_SB_EEDaSZ_S10_SG_SL_EUlSZ_E_NS1_11comp_targetILNS1_3genE10ELNS1_11target_archE1201ELNS1_3gpuE5ELNS1_3repE0EEENS1_47radix_sort_onesweep_sort_config_static_selectorELNS0_4arch9wavefront6targetE0EEEvSG_
	.p2align	8
	.type	_ZN7rocprim17ROCPRIM_400000_NS6detail17trampoline_kernelINS0_14default_configENS1_35radix_sort_onesweep_config_selectorIjNS0_10empty_typeEEEZZNS1_29radix_sort_onesweep_iterationIS3_Lb1EPKjPjPS5_SB_mNS0_19identity_decomposerENS1_16block_id_wrapperIjLb1EEEEE10hipError_tT1_PNSt15iterator_traitsISG_E10value_typeET2_T3_PNSH_ISM_E10value_typeET4_T5_PSR_SS_PNS1_23onesweep_lookback_stateEbbT6_jjT7_P12ihipStream_tbENKUlT_T0_SG_SL_E_clIS9_SA_SB_SB_EEDaSZ_S10_SG_SL_EUlSZ_E_NS1_11comp_targetILNS1_3genE10ELNS1_11target_archE1201ELNS1_3gpuE5ELNS1_3repE0EEENS1_47radix_sort_onesweep_sort_config_static_selectorELNS0_4arch9wavefront6targetE0EEEvSG_,@function
_ZN7rocprim17ROCPRIM_400000_NS6detail17trampoline_kernelINS0_14default_configENS1_35radix_sort_onesweep_config_selectorIjNS0_10empty_typeEEEZZNS1_29radix_sort_onesweep_iterationIS3_Lb1EPKjPjPS5_SB_mNS0_19identity_decomposerENS1_16block_id_wrapperIjLb1EEEEE10hipError_tT1_PNSt15iterator_traitsISG_E10value_typeET2_T3_PNSH_ISM_E10value_typeET4_T5_PSR_SS_PNS1_23onesweep_lookback_stateEbbT6_jjT7_P12ihipStream_tbENKUlT_T0_SG_SL_E_clIS9_SA_SB_SB_EEDaSZ_S10_SG_SL_EUlSZ_E_NS1_11comp_targetILNS1_3genE10ELNS1_11target_archE1201ELNS1_3gpuE5ELNS1_3repE0EEENS1_47radix_sort_onesweep_sort_config_static_selectorELNS0_4arch9wavefront6targetE0EEEvSG_: ; @_ZN7rocprim17ROCPRIM_400000_NS6detail17trampoline_kernelINS0_14default_configENS1_35radix_sort_onesweep_config_selectorIjNS0_10empty_typeEEEZZNS1_29radix_sort_onesweep_iterationIS3_Lb1EPKjPjPS5_SB_mNS0_19identity_decomposerENS1_16block_id_wrapperIjLb1EEEEE10hipError_tT1_PNSt15iterator_traitsISG_E10value_typeET2_T3_PNSH_ISM_E10value_typeET4_T5_PSR_SS_PNS1_23onesweep_lookback_stateEbbT6_jjT7_P12ihipStream_tbENKUlT_T0_SG_SL_E_clIS9_SA_SB_SB_EEDaSZ_S10_SG_SL_EUlSZ_E_NS1_11comp_targetILNS1_3genE10ELNS1_11target_archE1201ELNS1_3gpuE5ELNS1_3repE0EEENS1_47radix_sort_onesweep_sort_config_static_selectorELNS0_4arch9wavefront6targetE0EEEvSG_
; %bb.0:
	.section	.rodata,"a",@progbits
	.p2align	6, 0x0
	.amdhsa_kernel _ZN7rocprim17ROCPRIM_400000_NS6detail17trampoline_kernelINS0_14default_configENS1_35radix_sort_onesweep_config_selectorIjNS0_10empty_typeEEEZZNS1_29radix_sort_onesweep_iterationIS3_Lb1EPKjPjPS5_SB_mNS0_19identity_decomposerENS1_16block_id_wrapperIjLb1EEEEE10hipError_tT1_PNSt15iterator_traitsISG_E10value_typeET2_T3_PNSH_ISM_E10value_typeET4_T5_PSR_SS_PNS1_23onesweep_lookback_stateEbbT6_jjT7_P12ihipStream_tbENKUlT_T0_SG_SL_E_clIS9_SA_SB_SB_EEDaSZ_S10_SG_SL_EUlSZ_E_NS1_11comp_targetILNS1_3genE10ELNS1_11target_archE1201ELNS1_3gpuE5ELNS1_3repE0EEENS1_47radix_sort_onesweep_sort_config_static_selectorELNS0_4arch9wavefront6targetE0EEEvSG_
		.amdhsa_group_segment_fixed_size 0
		.amdhsa_private_segment_fixed_size 0
		.amdhsa_kernarg_size 88
		.amdhsa_user_sgpr_count 2
		.amdhsa_user_sgpr_dispatch_ptr 0
		.amdhsa_user_sgpr_queue_ptr 0
		.amdhsa_user_sgpr_kernarg_segment_ptr 1
		.amdhsa_user_sgpr_dispatch_id 0
		.amdhsa_user_sgpr_kernarg_preload_length 0
		.amdhsa_user_sgpr_kernarg_preload_offset 0
		.amdhsa_user_sgpr_private_segment_size 0
		.amdhsa_wavefront_size32 1
		.amdhsa_uses_dynamic_stack 0
		.amdhsa_enable_private_segment 0
		.amdhsa_system_sgpr_workgroup_id_x 1
		.amdhsa_system_sgpr_workgroup_id_y 0
		.amdhsa_system_sgpr_workgroup_id_z 0
		.amdhsa_system_sgpr_workgroup_info 0
		.amdhsa_system_vgpr_workitem_id 0
		.amdhsa_next_free_vgpr 1
		.amdhsa_next_free_sgpr 1
		.amdhsa_named_barrier_count 0
		.amdhsa_reserve_vcc 0
		.amdhsa_float_round_mode_32 0
		.amdhsa_float_round_mode_16_64 0
		.amdhsa_float_denorm_mode_32 3
		.amdhsa_float_denorm_mode_16_64 3
		.amdhsa_fp16_overflow 0
		.amdhsa_memory_ordered 1
		.amdhsa_forward_progress 1
		.amdhsa_inst_pref_size 0
		.amdhsa_round_robin_scheduling 0
		.amdhsa_exception_fp_ieee_invalid_op 0
		.amdhsa_exception_fp_denorm_src 0
		.amdhsa_exception_fp_ieee_div_zero 0
		.amdhsa_exception_fp_ieee_overflow 0
		.amdhsa_exception_fp_ieee_underflow 0
		.amdhsa_exception_fp_ieee_inexact 0
		.amdhsa_exception_int_div_zero 0
	.end_amdhsa_kernel
	.section	.text._ZN7rocprim17ROCPRIM_400000_NS6detail17trampoline_kernelINS0_14default_configENS1_35radix_sort_onesweep_config_selectorIjNS0_10empty_typeEEEZZNS1_29radix_sort_onesweep_iterationIS3_Lb1EPKjPjPS5_SB_mNS0_19identity_decomposerENS1_16block_id_wrapperIjLb1EEEEE10hipError_tT1_PNSt15iterator_traitsISG_E10value_typeET2_T3_PNSH_ISM_E10value_typeET4_T5_PSR_SS_PNS1_23onesweep_lookback_stateEbbT6_jjT7_P12ihipStream_tbENKUlT_T0_SG_SL_E_clIS9_SA_SB_SB_EEDaSZ_S10_SG_SL_EUlSZ_E_NS1_11comp_targetILNS1_3genE10ELNS1_11target_archE1201ELNS1_3gpuE5ELNS1_3repE0EEENS1_47radix_sort_onesweep_sort_config_static_selectorELNS0_4arch9wavefront6targetE0EEEvSG_,"axG",@progbits,_ZN7rocprim17ROCPRIM_400000_NS6detail17trampoline_kernelINS0_14default_configENS1_35radix_sort_onesweep_config_selectorIjNS0_10empty_typeEEEZZNS1_29radix_sort_onesweep_iterationIS3_Lb1EPKjPjPS5_SB_mNS0_19identity_decomposerENS1_16block_id_wrapperIjLb1EEEEE10hipError_tT1_PNSt15iterator_traitsISG_E10value_typeET2_T3_PNSH_ISM_E10value_typeET4_T5_PSR_SS_PNS1_23onesweep_lookback_stateEbbT6_jjT7_P12ihipStream_tbENKUlT_T0_SG_SL_E_clIS9_SA_SB_SB_EEDaSZ_S10_SG_SL_EUlSZ_E_NS1_11comp_targetILNS1_3genE10ELNS1_11target_archE1201ELNS1_3gpuE5ELNS1_3repE0EEENS1_47radix_sort_onesweep_sort_config_static_selectorELNS0_4arch9wavefront6targetE0EEEvSG_,comdat
.Lfunc_end2639:
	.size	_ZN7rocprim17ROCPRIM_400000_NS6detail17trampoline_kernelINS0_14default_configENS1_35radix_sort_onesweep_config_selectorIjNS0_10empty_typeEEEZZNS1_29radix_sort_onesweep_iterationIS3_Lb1EPKjPjPS5_SB_mNS0_19identity_decomposerENS1_16block_id_wrapperIjLb1EEEEE10hipError_tT1_PNSt15iterator_traitsISG_E10value_typeET2_T3_PNSH_ISM_E10value_typeET4_T5_PSR_SS_PNS1_23onesweep_lookback_stateEbbT6_jjT7_P12ihipStream_tbENKUlT_T0_SG_SL_E_clIS9_SA_SB_SB_EEDaSZ_S10_SG_SL_EUlSZ_E_NS1_11comp_targetILNS1_3genE10ELNS1_11target_archE1201ELNS1_3gpuE5ELNS1_3repE0EEENS1_47radix_sort_onesweep_sort_config_static_selectorELNS0_4arch9wavefront6targetE0EEEvSG_, .Lfunc_end2639-_ZN7rocprim17ROCPRIM_400000_NS6detail17trampoline_kernelINS0_14default_configENS1_35radix_sort_onesweep_config_selectorIjNS0_10empty_typeEEEZZNS1_29radix_sort_onesweep_iterationIS3_Lb1EPKjPjPS5_SB_mNS0_19identity_decomposerENS1_16block_id_wrapperIjLb1EEEEE10hipError_tT1_PNSt15iterator_traitsISG_E10value_typeET2_T3_PNSH_ISM_E10value_typeET4_T5_PSR_SS_PNS1_23onesweep_lookback_stateEbbT6_jjT7_P12ihipStream_tbENKUlT_T0_SG_SL_E_clIS9_SA_SB_SB_EEDaSZ_S10_SG_SL_EUlSZ_E_NS1_11comp_targetILNS1_3genE10ELNS1_11target_archE1201ELNS1_3gpuE5ELNS1_3repE0EEENS1_47radix_sort_onesweep_sort_config_static_selectorELNS0_4arch9wavefront6targetE0EEEvSG_
                                        ; -- End function
	.set _ZN7rocprim17ROCPRIM_400000_NS6detail17trampoline_kernelINS0_14default_configENS1_35radix_sort_onesweep_config_selectorIjNS0_10empty_typeEEEZZNS1_29radix_sort_onesweep_iterationIS3_Lb1EPKjPjPS5_SB_mNS0_19identity_decomposerENS1_16block_id_wrapperIjLb1EEEEE10hipError_tT1_PNSt15iterator_traitsISG_E10value_typeET2_T3_PNSH_ISM_E10value_typeET4_T5_PSR_SS_PNS1_23onesweep_lookback_stateEbbT6_jjT7_P12ihipStream_tbENKUlT_T0_SG_SL_E_clIS9_SA_SB_SB_EEDaSZ_S10_SG_SL_EUlSZ_E_NS1_11comp_targetILNS1_3genE10ELNS1_11target_archE1201ELNS1_3gpuE5ELNS1_3repE0EEENS1_47radix_sort_onesweep_sort_config_static_selectorELNS0_4arch9wavefront6targetE0EEEvSG_.num_vgpr, 0
	.set _ZN7rocprim17ROCPRIM_400000_NS6detail17trampoline_kernelINS0_14default_configENS1_35radix_sort_onesweep_config_selectorIjNS0_10empty_typeEEEZZNS1_29radix_sort_onesweep_iterationIS3_Lb1EPKjPjPS5_SB_mNS0_19identity_decomposerENS1_16block_id_wrapperIjLb1EEEEE10hipError_tT1_PNSt15iterator_traitsISG_E10value_typeET2_T3_PNSH_ISM_E10value_typeET4_T5_PSR_SS_PNS1_23onesweep_lookback_stateEbbT6_jjT7_P12ihipStream_tbENKUlT_T0_SG_SL_E_clIS9_SA_SB_SB_EEDaSZ_S10_SG_SL_EUlSZ_E_NS1_11comp_targetILNS1_3genE10ELNS1_11target_archE1201ELNS1_3gpuE5ELNS1_3repE0EEENS1_47radix_sort_onesweep_sort_config_static_selectorELNS0_4arch9wavefront6targetE0EEEvSG_.num_agpr, 0
	.set _ZN7rocprim17ROCPRIM_400000_NS6detail17trampoline_kernelINS0_14default_configENS1_35radix_sort_onesweep_config_selectorIjNS0_10empty_typeEEEZZNS1_29radix_sort_onesweep_iterationIS3_Lb1EPKjPjPS5_SB_mNS0_19identity_decomposerENS1_16block_id_wrapperIjLb1EEEEE10hipError_tT1_PNSt15iterator_traitsISG_E10value_typeET2_T3_PNSH_ISM_E10value_typeET4_T5_PSR_SS_PNS1_23onesweep_lookback_stateEbbT6_jjT7_P12ihipStream_tbENKUlT_T0_SG_SL_E_clIS9_SA_SB_SB_EEDaSZ_S10_SG_SL_EUlSZ_E_NS1_11comp_targetILNS1_3genE10ELNS1_11target_archE1201ELNS1_3gpuE5ELNS1_3repE0EEENS1_47radix_sort_onesweep_sort_config_static_selectorELNS0_4arch9wavefront6targetE0EEEvSG_.numbered_sgpr, 0
	.set _ZN7rocprim17ROCPRIM_400000_NS6detail17trampoline_kernelINS0_14default_configENS1_35radix_sort_onesweep_config_selectorIjNS0_10empty_typeEEEZZNS1_29radix_sort_onesweep_iterationIS3_Lb1EPKjPjPS5_SB_mNS0_19identity_decomposerENS1_16block_id_wrapperIjLb1EEEEE10hipError_tT1_PNSt15iterator_traitsISG_E10value_typeET2_T3_PNSH_ISM_E10value_typeET4_T5_PSR_SS_PNS1_23onesweep_lookback_stateEbbT6_jjT7_P12ihipStream_tbENKUlT_T0_SG_SL_E_clIS9_SA_SB_SB_EEDaSZ_S10_SG_SL_EUlSZ_E_NS1_11comp_targetILNS1_3genE10ELNS1_11target_archE1201ELNS1_3gpuE5ELNS1_3repE0EEENS1_47radix_sort_onesweep_sort_config_static_selectorELNS0_4arch9wavefront6targetE0EEEvSG_.num_named_barrier, 0
	.set _ZN7rocprim17ROCPRIM_400000_NS6detail17trampoline_kernelINS0_14default_configENS1_35radix_sort_onesweep_config_selectorIjNS0_10empty_typeEEEZZNS1_29radix_sort_onesweep_iterationIS3_Lb1EPKjPjPS5_SB_mNS0_19identity_decomposerENS1_16block_id_wrapperIjLb1EEEEE10hipError_tT1_PNSt15iterator_traitsISG_E10value_typeET2_T3_PNSH_ISM_E10value_typeET4_T5_PSR_SS_PNS1_23onesweep_lookback_stateEbbT6_jjT7_P12ihipStream_tbENKUlT_T0_SG_SL_E_clIS9_SA_SB_SB_EEDaSZ_S10_SG_SL_EUlSZ_E_NS1_11comp_targetILNS1_3genE10ELNS1_11target_archE1201ELNS1_3gpuE5ELNS1_3repE0EEENS1_47radix_sort_onesweep_sort_config_static_selectorELNS0_4arch9wavefront6targetE0EEEvSG_.private_seg_size, 0
	.set _ZN7rocprim17ROCPRIM_400000_NS6detail17trampoline_kernelINS0_14default_configENS1_35radix_sort_onesweep_config_selectorIjNS0_10empty_typeEEEZZNS1_29radix_sort_onesweep_iterationIS3_Lb1EPKjPjPS5_SB_mNS0_19identity_decomposerENS1_16block_id_wrapperIjLb1EEEEE10hipError_tT1_PNSt15iterator_traitsISG_E10value_typeET2_T3_PNSH_ISM_E10value_typeET4_T5_PSR_SS_PNS1_23onesweep_lookback_stateEbbT6_jjT7_P12ihipStream_tbENKUlT_T0_SG_SL_E_clIS9_SA_SB_SB_EEDaSZ_S10_SG_SL_EUlSZ_E_NS1_11comp_targetILNS1_3genE10ELNS1_11target_archE1201ELNS1_3gpuE5ELNS1_3repE0EEENS1_47radix_sort_onesweep_sort_config_static_selectorELNS0_4arch9wavefront6targetE0EEEvSG_.uses_vcc, 0
	.set _ZN7rocprim17ROCPRIM_400000_NS6detail17trampoline_kernelINS0_14default_configENS1_35radix_sort_onesweep_config_selectorIjNS0_10empty_typeEEEZZNS1_29radix_sort_onesweep_iterationIS3_Lb1EPKjPjPS5_SB_mNS0_19identity_decomposerENS1_16block_id_wrapperIjLb1EEEEE10hipError_tT1_PNSt15iterator_traitsISG_E10value_typeET2_T3_PNSH_ISM_E10value_typeET4_T5_PSR_SS_PNS1_23onesweep_lookback_stateEbbT6_jjT7_P12ihipStream_tbENKUlT_T0_SG_SL_E_clIS9_SA_SB_SB_EEDaSZ_S10_SG_SL_EUlSZ_E_NS1_11comp_targetILNS1_3genE10ELNS1_11target_archE1201ELNS1_3gpuE5ELNS1_3repE0EEENS1_47radix_sort_onesweep_sort_config_static_selectorELNS0_4arch9wavefront6targetE0EEEvSG_.uses_flat_scratch, 0
	.set _ZN7rocprim17ROCPRIM_400000_NS6detail17trampoline_kernelINS0_14default_configENS1_35radix_sort_onesweep_config_selectorIjNS0_10empty_typeEEEZZNS1_29radix_sort_onesweep_iterationIS3_Lb1EPKjPjPS5_SB_mNS0_19identity_decomposerENS1_16block_id_wrapperIjLb1EEEEE10hipError_tT1_PNSt15iterator_traitsISG_E10value_typeET2_T3_PNSH_ISM_E10value_typeET4_T5_PSR_SS_PNS1_23onesweep_lookback_stateEbbT6_jjT7_P12ihipStream_tbENKUlT_T0_SG_SL_E_clIS9_SA_SB_SB_EEDaSZ_S10_SG_SL_EUlSZ_E_NS1_11comp_targetILNS1_3genE10ELNS1_11target_archE1201ELNS1_3gpuE5ELNS1_3repE0EEENS1_47radix_sort_onesweep_sort_config_static_selectorELNS0_4arch9wavefront6targetE0EEEvSG_.has_dyn_sized_stack, 0
	.set _ZN7rocprim17ROCPRIM_400000_NS6detail17trampoline_kernelINS0_14default_configENS1_35radix_sort_onesweep_config_selectorIjNS0_10empty_typeEEEZZNS1_29radix_sort_onesweep_iterationIS3_Lb1EPKjPjPS5_SB_mNS0_19identity_decomposerENS1_16block_id_wrapperIjLb1EEEEE10hipError_tT1_PNSt15iterator_traitsISG_E10value_typeET2_T3_PNSH_ISM_E10value_typeET4_T5_PSR_SS_PNS1_23onesweep_lookback_stateEbbT6_jjT7_P12ihipStream_tbENKUlT_T0_SG_SL_E_clIS9_SA_SB_SB_EEDaSZ_S10_SG_SL_EUlSZ_E_NS1_11comp_targetILNS1_3genE10ELNS1_11target_archE1201ELNS1_3gpuE5ELNS1_3repE0EEENS1_47radix_sort_onesweep_sort_config_static_selectorELNS0_4arch9wavefront6targetE0EEEvSG_.has_recursion, 0
	.set _ZN7rocprim17ROCPRIM_400000_NS6detail17trampoline_kernelINS0_14default_configENS1_35radix_sort_onesweep_config_selectorIjNS0_10empty_typeEEEZZNS1_29radix_sort_onesweep_iterationIS3_Lb1EPKjPjPS5_SB_mNS0_19identity_decomposerENS1_16block_id_wrapperIjLb1EEEEE10hipError_tT1_PNSt15iterator_traitsISG_E10value_typeET2_T3_PNSH_ISM_E10value_typeET4_T5_PSR_SS_PNS1_23onesweep_lookback_stateEbbT6_jjT7_P12ihipStream_tbENKUlT_T0_SG_SL_E_clIS9_SA_SB_SB_EEDaSZ_S10_SG_SL_EUlSZ_E_NS1_11comp_targetILNS1_3genE10ELNS1_11target_archE1201ELNS1_3gpuE5ELNS1_3repE0EEENS1_47radix_sort_onesweep_sort_config_static_selectorELNS0_4arch9wavefront6targetE0EEEvSG_.has_indirect_call, 0
	.section	.AMDGPU.csdata,"",@progbits
; Kernel info:
; codeLenInByte = 0
; TotalNumSgprs: 0
; NumVgprs: 0
; ScratchSize: 0
; MemoryBound: 0
; FloatMode: 240
; IeeeMode: 1
; LDSByteSize: 0 bytes/workgroup (compile time only)
; SGPRBlocks: 0
; VGPRBlocks: 0
; NumSGPRsForWavesPerEU: 1
; NumVGPRsForWavesPerEU: 1
; NamedBarCnt: 0
; Occupancy: 16
; WaveLimiterHint : 0
; COMPUTE_PGM_RSRC2:SCRATCH_EN: 0
; COMPUTE_PGM_RSRC2:USER_SGPR: 2
; COMPUTE_PGM_RSRC2:TRAP_HANDLER: 0
; COMPUTE_PGM_RSRC2:TGID_X_EN: 1
; COMPUTE_PGM_RSRC2:TGID_Y_EN: 0
; COMPUTE_PGM_RSRC2:TGID_Z_EN: 0
; COMPUTE_PGM_RSRC2:TIDIG_COMP_CNT: 0
	.section	.text._ZN7rocprim17ROCPRIM_400000_NS6detail17trampoline_kernelINS0_14default_configENS1_35radix_sort_onesweep_config_selectorIjNS0_10empty_typeEEEZZNS1_29radix_sort_onesweep_iterationIS3_Lb1EPKjPjPS5_SB_mNS0_19identity_decomposerENS1_16block_id_wrapperIjLb1EEEEE10hipError_tT1_PNSt15iterator_traitsISG_E10value_typeET2_T3_PNSH_ISM_E10value_typeET4_T5_PSR_SS_PNS1_23onesweep_lookback_stateEbbT6_jjT7_P12ihipStream_tbENKUlT_T0_SG_SL_E_clIS9_SA_SB_SB_EEDaSZ_S10_SG_SL_EUlSZ_E_NS1_11comp_targetILNS1_3genE9ELNS1_11target_archE1100ELNS1_3gpuE3ELNS1_3repE0EEENS1_47radix_sort_onesweep_sort_config_static_selectorELNS0_4arch9wavefront6targetE0EEEvSG_,"axG",@progbits,_ZN7rocprim17ROCPRIM_400000_NS6detail17trampoline_kernelINS0_14default_configENS1_35radix_sort_onesweep_config_selectorIjNS0_10empty_typeEEEZZNS1_29radix_sort_onesweep_iterationIS3_Lb1EPKjPjPS5_SB_mNS0_19identity_decomposerENS1_16block_id_wrapperIjLb1EEEEE10hipError_tT1_PNSt15iterator_traitsISG_E10value_typeET2_T3_PNSH_ISM_E10value_typeET4_T5_PSR_SS_PNS1_23onesweep_lookback_stateEbbT6_jjT7_P12ihipStream_tbENKUlT_T0_SG_SL_E_clIS9_SA_SB_SB_EEDaSZ_S10_SG_SL_EUlSZ_E_NS1_11comp_targetILNS1_3genE9ELNS1_11target_archE1100ELNS1_3gpuE3ELNS1_3repE0EEENS1_47radix_sort_onesweep_sort_config_static_selectorELNS0_4arch9wavefront6targetE0EEEvSG_,comdat
	.protected	_ZN7rocprim17ROCPRIM_400000_NS6detail17trampoline_kernelINS0_14default_configENS1_35radix_sort_onesweep_config_selectorIjNS0_10empty_typeEEEZZNS1_29radix_sort_onesweep_iterationIS3_Lb1EPKjPjPS5_SB_mNS0_19identity_decomposerENS1_16block_id_wrapperIjLb1EEEEE10hipError_tT1_PNSt15iterator_traitsISG_E10value_typeET2_T3_PNSH_ISM_E10value_typeET4_T5_PSR_SS_PNS1_23onesweep_lookback_stateEbbT6_jjT7_P12ihipStream_tbENKUlT_T0_SG_SL_E_clIS9_SA_SB_SB_EEDaSZ_S10_SG_SL_EUlSZ_E_NS1_11comp_targetILNS1_3genE9ELNS1_11target_archE1100ELNS1_3gpuE3ELNS1_3repE0EEENS1_47radix_sort_onesweep_sort_config_static_selectorELNS0_4arch9wavefront6targetE0EEEvSG_ ; -- Begin function _ZN7rocprim17ROCPRIM_400000_NS6detail17trampoline_kernelINS0_14default_configENS1_35radix_sort_onesweep_config_selectorIjNS0_10empty_typeEEEZZNS1_29radix_sort_onesweep_iterationIS3_Lb1EPKjPjPS5_SB_mNS0_19identity_decomposerENS1_16block_id_wrapperIjLb1EEEEE10hipError_tT1_PNSt15iterator_traitsISG_E10value_typeET2_T3_PNSH_ISM_E10value_typeET4_T5_PSR_SS_PNS1_23onesweep_lookback_stateEbbT6_jjT7_P12ihipStream_tbENKUlT_T0_SG_SL_E_clIS9_SA_SB_SB_EEDaSZ_S10_SG_SL_EUlSZ_E_NS1_11comp_targetILNS1_3genE9ELNS1_11target_archE1100ELNS1_3gpuE3ELNS1_3repE0EEENS1_47radix_sort_onesweep_sort_config_static_selectorELNS0_4arch9wavefront6targetE0EEEvSG_
	.globl	_ZN7rocprim17ROCPRIM_400000_NS6detail17trampoline_kernelINS0_14default_configENS1_35radix_sort_onesweep_config_selectorIjNS0_10empty_typeEEEZZNS1_29radix_sort_onesweep_iterationIS3_Lb1EPKjPjPS5_SB_mNS0_19identity_decomposerENS1_16block_id_wrapperIjLb1EEEEE10hipError_tT1_PNSt15iterator_traitsISG_E10value_typeET2_T3_PNSH_ISM_E10value_typeET4_T5_PSR_SS_PNS1_23onesweep_lookback_stateEbbT6_jjT7_P12ihipStream_tbENKUlT_T0_SG_SL_E_clIS9_SA_SB_SB_EEDaSZ_S10_SG_SL_EUlSZ_E_NS1_11comp_targetILNS1_3genE9ELNS1_11target_archE1100ELNS1_3gpuE3ELNS1_3repE0EEENS1_47radix_sort_onesweep_sort_config_static_selectorELNS0_4arch9wavefront6targetE0EEEvSG_
	.p2align	8
	.type	_ZN7rocprim17ROCPRIM_400000_NS6detail17trampoline_kernelINS0_14default_configENS1_35radix_sort_onesweep_config_selectorIjNS0_10empty_typeEEEZZNS1_29radix_sort_onesweep_iterationIS3_Lb1EPKjPjPS5_SB_mNS0_19identity_decomposerENS1_16block_id_wrapperIjLb1EEEEE10hipError_tT1_PNSt15iterator_traitsISG_E10value_typeET2_T3_PNSH_ISM_E10value_typeET4_T5_PSR_SS_PNS1_23onesweep_lookback_stateEbbT6_jjT7_P12ihipStream_tbENKUlT_T0_SG_SL_E_clIS9_SA_SB_SB_EEDaSZ_S10_SG_SL_EUlSZ_E_NS1_11comp_targetILNS1_3genE9ELNS1_11target_archE1100ELNS1_3gpuE3ELNS1_3repE0EEENS1_47radix_sort_onesweep_sort_config_static_selectorELNS0_4arch9wavefront6targetE0EEEvSG_,@function
_ZN7rocprim17ROCPRIM_400000_NS6detail17trampoline_kernelINS0_14default_configENS1_35radix_sort_onesweep_config_selectorIjNS0_10empty_typeEEEZZNS1_29radix_sort_onesweep_iterationIS3_Lb1EPKjPjPS5_SB_mNS0_19identity_decomposerENS1_16block_id_wrapperIjLb1EEEEE10hipError_tT1_PNSt15iterator_traitsISG_E10value_typeET2_T3_PNSH_ISM_E10value_typeET4_T5_PSR_SS_PNS1_23onesweep_lookback_stateEbbT6_jjT7_P12ihipStream_tbENKUlT_T0_SG_SL_E_clIS9_SA_SB_SB_EEDaSZ_S10_SG_SL_EUlSZ_E_NS1_11comp_targetILNS1_3genE9ELNS1_11target_archE1100ELNS1_3gpuE3ELNS1_3repE0EEENS1_47radix_sort_onesweep_sort_config_static_selectorELNS0_4arch9wavefront6targetE0EEEvSG_: ; @_ZN7rocprim17ROCPRIM_400000_NS6detail17trampoline_kernelINS0_14default_configENS1_35radix_sort_onesweep_config_selectorIjNS0_10empty_typeEEEZZNS1_29radix_sort_onesweep_iterationIS3_Lb1EPKjPjPS5_SB_mNS0_19identity_decomposerENS1_16block_id_wrapperIjLb1EEEEE10hipError_tT1_PNSt15iterator_traitsISG_E10value_typeET2_T3_PNSH_ISM_E10value_typeET4_T5_PSR_SS_PNS1_23onesweep_lookback_stateEbbT6_jjT7_P12ihipStream_tbENKUlT_T0_SG_SL_E_clIS9_SA_SB_SB_EEDaSZ_S10_SG_SL_EUlSZ_E_NS1_11comp_targetILNS1_3genE9ELNS1_11target_archE1100ELNS1_3gpuE3ELNS1_3repE0EEENS1_47radix_sort_onesweep_sort_config_static_selectorELNS0_4arch9wavefront6targetE0EEEvSG_
; %bb.0:
	.section	.rodata,"a",@progbits
	.p2align	6, 0x0
	.amdhsa_kernel _ZN7rocprim17ROCPRIM_400000_NS6detail17trampoline_kernelINS0_14default_configENS1_35radix_sort_onesweep_config_selectorIjNS0_10empty_typeEEEZZNS1_29radix_sort_onesweep_iterationIS3_Lb1EPKjPjPS5_SB_mNS0_19identity_decomposerENS1_16block_id_wrapperIjLb1EEEEE10hipError_tT1_PNSt15iterator_traitsISG_E10value_typeET2_T3_PNSH_ISM_E10value_typeET4_T5_PSR_SS_PNS1_23onesweep_lookback_stateEbbT6_jjT7_P12ihipStream_tbENKUlT_T0_SG_SL_E_clIS9_SA_SB_SB_EEDaSZ_S10_SG_SL_EUlSZ_E_NS1_11comp_targetILNS1_3genE9ELNS1_11target_archE1100ELNS1_3gpuE3ELNS1_3repE0EEENS1_47radix_sort_onesweep_sort_config_static_selectorELNS0_4arch9wavefront6targetE0EEEvSG_
		.amdhsa_group_segment_fixed_size 0
		.amdhsa_private_segment_fixed_size 0
		.amdhsa_kernarg_size 88
		.amdhsa_user_sgpr_count 2
		.amdhsa_user_sgpr_dispatch_ptr 0
		.amdhsa_user_sgpr_queue_ptr 0
		.amdhsa_user_sgpr_kernarg_segment_ptr 1
		.amdhsa_user_sgpr_dispatch_id 0
		.amdhsa_user_sgpr_kernarg_preload_length 0
		.amdhsa_user_sgpr_kernarg_preload_offset 0
		.amdhsa_user_sgpr_private_segment_size 0
		.amdhsa_wavefront_size32 1
		.amdhsa_uses_dynamic_stack 0
		.amdhsa_enable_private_segment 0
		.amdhsa_system_sgpr_workgroup_id_x 1
		.amdhsa_system_sgpr_workgroup_id_y 0
		.amdhsa_system_sgpr_workgroup_id_z 0
		.amdhsa_system_sgpr_workgroup_info 0
		.amdhsa_system_vgpr_workitem_id 0
		.amdhsa_next_free_vgpr 1
		.amdhsa_next_free_sgpr 1
		.amdhsa_named_barrier_count 0
		.amdhsa_reserve_vcc 0
		.amdhsa_float_round_mode_32 0
		.amdhsa_float_round_mode_16_64 0
		.amdhsa_float_denorm_mode_32 3
		.amdhsa_float_denorm_mode_16_64 3
		.amdhsa_fp16_overflow 0
		.amdhsa_memory_ordered 1
		.amdhsa_forward_progress 1
		.amdhsa_inst_pref_size 0
		.amdhsa_round_robin_scheduling 0
		.amdhsa_exception_fp_ieee_invalid_op 0
		.amdhsa_exception_fp_denorm_src 0
		.amdhsa_exception_fp_ieee_div_zero 0
		.amdhsa_exception_fp_ieee_overflow 0
		.amdhsa_exception_fp_ieee_underflow 0
		.amdhsa_exception_fp_ieee_inexact 0
		.amdhsa_exception_int_div_zero 0
	.end_amdhsa_kernel
	.section	.text._ZN7rocprim17ROCPRIM_400000_NS6detail17trampoline_kernelINS0_14default_configENS1_35radix_sort_onesweep_config_selectorIjNS0_10empty_typeEEEZZNS1_29radix_sort_onesweep_iterationIS3_Lb1EPKjPjPS5_SB_mNS0_19identity_decomposerENS1_16block_id_wrapperIjLb1EEEEE10hipError_tT1_PNSt15iterator_traitsISG_E10value_typeET2_T3_PNSH_ISM_E10value_typeET4_T5_PSR_SS_PNS1_23onesweep_lookback_stateEbbT6_jjT7_P12ihipStream_tbENKUlT_T0_SG_SL_E_clIS9_SA_SB_SB_EEDaSZ_S10_SG_SL_EUlSZ_E_NS1_11comp_targetILNS1_3genE9ELNS1_11target_archE1100ELNS1_3gpuE3ELNS1_3repE0EEENS1_47radix_sort_onesweep_sort_config_static_selectorELNS0_4arch9wavefront6targetE0EEEvSG_,"axG",@progbits,_ZN7rocprim17ROCPRIM_400000_NS6detail17trampoline_kernelINS0_14default_configENS1_35radix_sort_onesweep_config_selectorIjNS0_10empty_typeEEEZZNS1_29radix_sort_onesweep_iterationIS3_Lb1EPKjPjPS5_SB_mNS0_19identity_decomposerENS1_16block_id_wrapperIjLb1EEEEE10hipError_tT1_PNSt15iterator_traitsISG_E10value_typeET2_T3_PNSH_ISM_E10value_typeET4_T5_PSR_SS_PNS1_23onesweep_lookback_stateEbbT6_jjT7_P12ihipStream_tbENKUlT_T0_SG_SL_E_clIS9_SA_SB_SB_EEDaSZ_S10_SG_SL_EUlSZ_E_NS1_11comp_targetILNS1_3genE9ELNS1_11target_archE1100ELNS1_3gpuE3ELNS1_3repE0EEENS1_47radix_sort_onesweep_sort_config_static_selectorELNS0_4arch9wavefront6targetE0EEEvSG_,comdat
.Lfunc_end2640:
	.size	_ZN7rocprim17ROCPRIM_400000_NS6detail17trampoline_kernelINS0_14default_configENS1_35radix_sort_onesweep_config_selectorIjNS0_10empty_typeEEEZZNS1_29radix_sort_onesweep_iterationIS3_Lb1EPKjPjPS5_SB_mNS0_19identity_decomposerENS1_16block_id_wrapperIjLb1EEEEE10hipError_tT1_PNSt15iterator_traitsISG_E10value_typeET2_T3_PNSH_ISM_E10value_typeET4_T5_PSR_SS_PNS1_23onesweep_lookback_stateEbbT6_jjT7_P12ihipStream_tbENKUlT_T0_SG_SL_E_clIS9_SA_SB_SB_EEDaSZ_S10_SG_SL_EUlSZ_E_NS1_11comp_targetILNS1_3genE9ELNS1_11target_archE1100ELNS1_3gpuE3ELNS1_3repE0EEENS1_47radix_sort_onesweep_sort_config_static_selectorELNS0_4arch9wavefront6targetE0EEEvSG_, .Lfunc_end2640-_ZN7rocprim17ROCPRIM_400000_NS6detail17trampoline_kernelINS0_14default_configENS1_35radix_sort_onesweep_config_selectorIjNS0_10empty_typeEEEZZNS1_29radix_sort_onesweep_iterationIS3_Lb1EPKjPjPS5_SB_mNS0_19identity_decomposerENS1_16block_id_wrapperIjLb1EEEEE10hipError_tT1_PNSt15iterator_traitsISG_E10value_typeET2_T3_PNSH_ISM_E10value_typeET4_T5_PSR_SS_PNS1_23onesweep_lookback_stateEbbT6_jjT7_P12ihipStream_tbENKUlT_T0_SG_SL_E_clIS9_SA_SB_SB_EEDaSZ_S10_SG_SL_EUlSZ_E_NS1_11comp_targetILNS1_3genE9ELNS1_11target_archE1100ELNS1_3gpuE3ELNS1_3repE0EEENS1_47radix_sort_onesweep_sort_config_static_selectorELNS0_4arch9wavefront6targetE0EEEvSG_
                                        ; -- End function
	.set _ZN7rocprim17ROCPRIM_400000_NS6detail17trampoline_kernelINS0_14default_configENS1_35radix_sort_onesweep_config_selectorIjNS0_10empty_typeEEEZZNS1_29radix_sort_onesweep_iterationIS3_Lb1EPKjPjPS5_SB_mNS0_19identity_decomposerENS1_16block_id_wrapperIjLb1EEEEE10hipError_tT1_PNSt15iterator_traitsISG_E10value_typeET2_T3_PNSH_ISM_E10value_typeET4_T5_PSR_SS_PNS1_23onesweep_lookback_stateEbbT6_jjT7_P12ihipStream_tbENKUlT_T0_SG_SL_E_clIS9_SA_SB_SB_EEDaSZ_S10_SG_SL_EUlSZ_E_NS1_11comp_targetILNS1_3genE9ELNS1_11target_archE1100ELNS1_3gpuE3ELNS1_3repE0EEENS1_47radix_sort_onesweep_sort_config_static_selectorELNS0_4arch9wavefront6targetE0EEEvSG_.num_vgpr, 0
	.set _ZN7rocprim17ROCPRIM_400000_NS6detail17trampoline_kernelINS0_14default_configENS1_35radix_sort_onesweep_config_selectorIjNS0_10empty_typeEEEZZNS1_29radix_sort_onesweep_iterationIS3_Lb1EPKjPjPS5_SB_mNS0_19identity_decomposerENS1_16block_id_wrapperIjLb1EEEEE10hipError_tT1_PNSt15iterator_traitsISG_E10value_typeET2_T3_PNSH_ISM_E10value_typeET4_T5_PSR_SS_PNS1_23onesweep_lookback_stateEbbT6_jjT7_P12ihipStream_tbENKUlT_T0_SG_SL_E_clIS9_SA_SB_SB_EEDaSZ_S10_SG_SL_EUlSZ_E_NS1_11comp_targetILNS1_3genE9ELNS1_11target_archE1100ELNS1_3gpuE3ELNS1_3repE0EEENS1_47radix_sort_onesweep_sort_config_static_selectorELNS0_4arch9wavefront6targetE0EEEvSG_.num_agpr, 0
	.set _ZN7rocprim17ROCPRIM_400000_NS6detail17trampoline_kernelINS0_14default_configENS1_35radix_sort_onesweep_config_selectorIjNS0_10empty_typeEEEZZNS1_29radix_sort_onesweep_iterationIS3_Lb1EPKjPjPS5_SB_mNS0_19identity_decomposerENS1_16block_id_wrapperIjLb1EEEEE10hipError_tT1_PNSt15iterator_traitsISG_E10value_typeET2_T3_PNSH_ISM_E10value_typeET4_T5_PSR_SS_PNS1_23onesweep_lookback_stateEbbT6_jjT7_P12ihipStream_tbENKUlT_T0_SG_SL_E_clIS9_SA_SB_SB_EEDaSZ_S10_SG_SL_EUlSZ_E_NS1_11comp_targetILNS1_3genE9ELNS1_11target_archE1100ELNS1_3gpuE3ELNS1_3repE0EEENS1_47radix_sort_onesweep_sort_config_static_selectorELNS0_4arch9wavefront6targetE0EEEvSG_.numbered_sgpr, 0
	.set _ZN7rocprim17ROCPRIM_400000_NS6detail17trampoline_kernelINS0_14default_configENS1_35radix_sort_onesweep_config_selectorIjNS0_10empty_typeEEEZZNS1_29radix_sort_onesweep_iterationIS3_Lb1EPKjPjPS5_SB_mNS0_19identity_decomposerENS1_16block_id_wrapperIjLb1EEEEE10hipError_tT1_PNSt15iterator_traitsISG_E10value_typeET2_T3_PNSH_ISM_E10value_typeET4_T5_PSR_SS_PNS1_23onesweep_lookback_stateEbbT6_jjT7_P12ihipStream_tbENKUlT_T0_SG_SL_E_clIS9_SA_SB_SB_EEDaSZ_S10_SG_SL_EUlSZ_E_NS1_11comp_targetILNS1_3genE9ELNS1_11target_archE1100ELNS1_3gpuE3ELNS1_3repE0EEENS1_47radix_sort_onesweep_sort_config_static_selectorELNS0_4arch9wavefront6targetE0EEEvSG_.num_named_barrier, 0
	.set _ZN7rocprim17ROCPRIM_400000_NS6detail17trampoline_kernelINS0_14default_configENS1_35radix_sort_onesweep_config_selectorIjNS0_10empty_typeEEEZZNS1_29radix_sort_onesweep_iterationIS3_Lb1EPKjPjPS5_SB_mNS0_19identity_decomposerENS1_16block_id_wrapperIjLb1EEEEE10hipError_tT1_PNSt15iterator_traitsISG_E10value_typeET2_T3_PNSH_ISM_E10value_typeET4_T5_PSR_SS_PNS1_23onesweep_lookback_stateEbbT6_jjT7_P12ihipStream_tbENKUlT_T0_SG_SL_E_clIS9_SA_SB_SB_EEDaSZ_S10_SG_SL_EUlSZ_E_NS1_11comp_targetILNS1_3genE9ELNS1_11target_archE1100ELNS1_3gpuE3ELNS1_3repE0EEENS1_47radix_sort_onesweep_sort_config_static_selectorELNS0_4arch9wavefront6targetE0EEEvSG_.private_seg_size, 0
	.set _ZN7rocprim17ROCPRIM_400000_NS6detail17trampoline_kernelINS0_14default_configENS1_35radix_sort_onesweep_config_selectorIjNS0_10empty_typeEEEZZNS1_29radix_sort_onesweep_iterationIS3_Lb1EPKjPjPS5_SB_mNS0_19identity_decomposerENS1_16block_id_wrapperIjLb1EEEEE10hipError_tT1_PNSt15iterator_traitsISG_E10value_typeET2_T3_PNSH_ISM_E10value_typeET4_T5_PSR_SS_PNS1_23onesweep_lookback_stateEbbT6_jjT7_P12ihipStream_tbENKUlT_T0_SG_SL_E_clIS9_SA_SB_SB_EEDaSZ_S10_SG_SL_EUlSZ_E_NS1_11comp_targetILNS1_3genE9ELNS1_11target_archE1100ELNS1_3gpuE3ELNS1_3repE0EEENS1_47radix_sort_onesweep_sort_config_static_selectorELNS0_4arch9wavefront6targetE0EEEvSG_.uses_vcc, 0
	.set _ZN7rocprim17ROCPRIM_400000_NS6detail17trampoline_kernelINS0_14default_configENS1_35radix_sort_onesweep_config_selectorIjNS0_10empty_typeEEEZZNS1_29radix_sort_onesweep_iterationIS3_Lb1EPKjPjPS5_SB_mNS0_19identity_decomposerENS1_16block_id_wrapperIjLb1EEEEE10hipError_tT1_PNSt15iterator_traitsISG_E10value_typeET2_T3_PNSH_ISM_E10value_typeET4_T5_PSR_SS_PNS1_23onesweep_lookback_stateEbbT6_jjT7_P12ihipStream_tbENKUlT_T0_SG_SL_E_clIS9_SA_SB_SB_EEDaSZ_S10_SG_SL_EUlSZ_E_NS1_11comp_targetILNS1_3genE9ELNS1_11target_archE1100ELNS1_3gpuE3ELNS1_3repE0EEENS1_47radix_sort_onesweep_sort_config_static_selectorELNS0_4arch9wavefront6targetE0EEEvSG_.uses_flat_scratch, 0
	.set _ZN7rocprim17ROCPRIM_400000_NS6detail17trampoline_kernelINS0_14default_configENS1_35radix_sort_onesweep_config_selectorIjNS0_10empty_typeEEEZZNS1_29radix_sort_onesweep_iterationIS3_Lb1EPKjPjPS5_SB_mNS0_19identity_decomposerENS1_16block_id_wrapperIjLb1EEEEE10hipError_tT1_PNSt15iterator_traitsISG_E10value_typeET2_T3_PNSH_ISM_E10value_typeET4_T5_PSR_SS_PNS1_23onesweep_lookback_stateEbbT6_jjT7_P12ihipStream_tbENKUlT_T0_SG_SL_E_clIS9_SA_SB_SB_EEDaSZ_S10_SG_SL_EUlSZ_E_NS1_11comp_targetILNS1_3genE9ELNS1_11target_archE1100ELNS1_3gpuE3ELNS1_3repE0EEENS1_47radix_sort_onesweep_sort_config_static_selectorELNS0_4arch9wavefront6targetE0EEEvSG_.has_dyn_sized_stack, 0
	.set _ZN7rocprim17ROCPRIM_400000_NS6detail17trampoline_kernelINS0_14default_configENS1_35radix_sort_onesweep_config_selectorIjNS0_10empty_typeEEEZZNS1_29radix_sort_onesweep_iterationIS3_Lb1EPKjPjPS5_SB_mNS0_19identity_decomposerENS1_16block_id_wrapperIjLb1EEEEE10hipError_tT1_PNSt15iterator_traitsISG_E10value_typeET2_T3_PNSH_ISM_E10value_typeET4_T5_PSR_SS_PNS1_23onesweep_lookback_stateEbbT6_jjT7_P12ihipStream_tbENKUlT_T0_SG_SL_E_clIS9_SA_SB_SB_EEDaSZ_S10_SG_SL_EUlSZ_E_NS1_11comp_targetILNS1_3genE9ELNS1_11target_archE1100ELNS1_3gpuE3ELNS1_3repE0EEENS1_47radix_sort_onesweep_sort_config_static_selectorELNS0_4arch9wavefront6targetE0EEEvSG_.has_recursion, 0
	.set _ZN7rocprim17ROCPRIM_400000_NS6detail17trampoline_kernelINS0_14default_configENS1_35radix_sort_onesweep_config_selectorIjNS0_10empty_typeEEEZZNS1_29radix_sort_onesweep_iterationIS3_Lb1EPKjPjPS5_SB_mNS0_19identity_decomposerENS1_16block_id_wrapperIjLb1EEEEE10hipError_tT1_PNSt15iterator_traitsISG_E10value_typeET2_T3_PNSH_ISM_E10value_typeET4_T5_PSR_SS_PNS1_23onesweep_lookback_stateEbbT6_jjT7_P12ihipStream_tbENKUlT_T0_SG_SL_E_clIS9_SA_SB_SB_EEDaSZ_S10_SG_SL_EUlSZ_E_NS1_11comp_targetILNS1_3genE9ELNS1_11target_archE1100ELNS1_3gpuE3ELNS1_3repE0EEENS1_47radix_sort_onesweep_sort_config_static_selectorELNS0_4arch9wavefront6targetE0EEEvSG_.has_indirect_call, 0
	.section	.AMDGPU.csdata,"",@progbits
; Kernel info:
; codeLenInByte = 0
; TotalNumSgprs: 0
; NumVgprs: 0
; ScratchSize: 0
; MemoryBound: 0
; FloatMode: 240
; IeeeMode: 1
; LDSByteSize: 0 bytes/workgroup (compile time only)
; SGPRBlocks: 0
; VGPRBlocks: 0
; NumSGPRsForWavesPerEU: 1
; NumVGPRsForWavesPerEU: 1
; NamedBarCnt: 0
; Occupancy: 16
; WaveLimiterHint : 0
; COMPUTE_PGM_RSRC2:SCRATCH_EN: 0
; COMPUTE_PGM_RSRC2:USER_SGPR: 2
; COMPUTE_PGM_RSRC2:TRAP_HANDLER: 0
; COMPUTE_PGM_RSRC2:TGID_X_EN: 1
; COMPUTE_PGM_RSRC2:TGID_Y_EN: 0
; COMPUTE_PGM_RSRC2:TGID_Z_EN: 0
; COMPUTE_PGM_RSRC2:TIDIG_COMP_CNT: 0
	.section	.text._ZN7rocprim17ROCPRIM_400000_NS6detail17trampoline_kernelINS0_14default_configENS1_35radix_sort_onesweep_config_selectorIjNS0_10empty_typeEEEZZNS1_29radix_sort_onesweep_iterationIS3_Lb1EPKjPjPS5_SB_mNS0_19identity_decomposerENS1_16block_id_wrapperIjLb1EEEEE10hipError_tT1_PNSt15iterator_traitsISG_E10value_typeET2_T3_PNSH_ISM_E10value_typeET4_T5_PSR_SS_PNS1_23onesweep_lookback_stateEbbT6_jjT7_P12ihipStream_tbENKUlT_T0_SG_SL_E_clIS9_SA_SB_SB_EEDaSZ_S10_SG_SL_EUlSZ_E_NS1_11comp_targetILNS1_3genE8ELNS1_11target_archE1030ELNS1_3gpuE2ELNS1_3repE0EEENS1_47radix_sort_onesweep_sort_config_static_selectorELNS0_4arch9wavefront6targetE0EEEvSG_,"axG",@progbits,_ZN7rocprim17ROCPRIM_400000_NS6detail17trampoline_kernelINS0_14default_configENS1_35radix_sort_onesweep_config_selectorIjNS0_10empty_typeEEEZZNS1_29radix_sort_onesweep_iterationIS3_Lb1EPKjPjPS5_SB_mNS0_19identity_decomposerENS1_16block_id_wrapperIjLb1EEEEE10hipError_tT1_PNSt15iterator_traitsISG_E10value_typeET2_T3_PNSH_ISM_E10value_typeET4_T5_PSR_SS_PNS1_23onesweep_lookback_stateEbbT6_jjT7_P12ihipStream_tbENKUlT_T0_SG_SL_E_clIS9_SA_SB_SB_EEDaSZ_S10_SG_SL_EUlSZ_E_NS1_11comp_targetILNS1_3genE8ELNS1_11target_archE1030ELNS1_3gpuE2ELNS1_3repE0EEENS1_47radix_sort_onesweep_sort_config_static_selectorELNS0_4arch9wavefront6targetE0EEEvSG_,comdat
	.protected	_ZN7rocprim17ROCPRIM_400000_NS6detail17trampoline_kernelINS0_14default_configENS1_35radix_sort_onesweep_config_selectorIjNS0_10empty_typeEEEZZNS1_29radix_sort_onesweep_iterationIS3_Lb1EPKjPjPS5_SB_mNS0_19identity_decomposerENS1_16block_id_wrapperIjLb1EEEEE10hipError_tT1_PNSt15iterator_traitsISG_E10value_typeET2_T3_PNSH_ISM_E10value_typeET4_T5_PSR_SS_PNS1_23onesweep_lookback_stateEbbT6_jjT7_P12ihipStream_tbENKUlT_T0_SG_SL_E_clIS9_SA_SB_SB_EEDaSZ_S10_SG_SL_EUlSZ_E_NS1_11comp_targetILNS1_3genE8ELNS1_11target_archE1030ELNS1_3gpuE2ELNS1_3repE0EEENS1_47radix_sort_onesweep_sort_config_static_selectorELNS0_4arch9wavefront6targetE0EEEvSG_ ; -- Begin function _ZN7rocprim17ROCPRIM_400000_NS6detail17trampoline_kernelINS0_14default_configENS1_35radix_sort_onesweep_config_selectorIjNS0_10empty_typeEEEZZNS1_29radix_sort_onesweep_iterationIS3_Lb1EPKjPjPS5_SB_mNS0_19identity_decomposerENS1_16block_id_wrapperIjLb1EEEEE10hipError_tT1_PNSt15iterator_traitsISG_E10value_typeET2_T3_PNSH_ISM_E10value_typeET4_T5_PSR_SS_PNS1_23onesweep_lookback_stateEbbT6_jjT7_P12ihipStream_tbENKUlT_T0_SG_SL_E_clIS9_SA_SB_SB_EEDaSZ_S10_SG_SL_EUlSZ_E_NS1_11comp_targetILNS1_3genE8ELNS1_11target_archE1030ELNS1_3gpuE2ELNS1_3repE0EEENS1_47radix_sort_onesweep_sort_config_static_selectorELNS0_4arch9wavefront6targetE0EEEvSG_
	.globl	_ZN7rocprim17ROCPRIM_400000_NS6detail17trampoline_kernelINS0_14default_configENS1_35radix_sort_onesweep_config_selectorIjNS0_10empty_typeEEEZZNS1_29radix_sort_onesweep_iterationIS3_Lb1EPKjPjPS5_SB_mNS0_19identity_decomposerENS1_16block_id_wrapperIjLb1EEEEE10hipError_tT1_PNSt15iterator_traitsISG_E10value_typeET2_T3_PNSH_ISM_E10value_typeET4_T5_PSR_SS_PNS1_23onesweep_lookback_stateEbbT6_jjT7_P12ihipStream_tbENKUlT_T0_SG_SL_E_clIS9_SA_SB_SB_EEDaSZ_S10_SG_SL_EUlSZ_E_NS1_11comp_targetILNS1_3genE8ELNS1_11target_archE1030ELNS1_3gpuE2ELNS1_3repE0EEENS1_47radix_sort_onesweep_sort_config_static_selectorELNS0_4arch9wavefront6targetE0EEEvSG_
	.p2align	8
	.type	_ZN7rocprim17ROCPRIM_400000_NS6detail17trampoline_kernelINS0_14default_configENS1_35radix_sort_onesweep_config_selectorIjNS0_10empty_typeEEEZZNS1_29radix_sort_onesweep_iterationIS3_Lb1EPKjPjPS5_SB_mNS0_19identity_decomposerENS1_16block_id_wrapperIjLb1EEEEE10hipError_tT1_PNSt15iterator_traitsISG_E10value_typeET2_T3_PNSH_ISM_E10value_typeET4_T5_PSR_SS_PNS1_23onesweep_lookback_stateEbbT6_jjT7_P12ihipStream_tbENKUlT_T0_SG_SL_E_clIS9_SA_SB_SB_EEDaSZ_S10_SG_SL_EUlSZ_E_NS1_11comp_targetILNS1_3genE8ELNS1_11target_archE1030ELNS1_3gpuE2ELNS1_3repE0EEENS1_47radix_sort_onesweep_sort_config_static_selectorELNS0_4arch9wavefront6targetE0EEEvSG_,@function
_ZN7rocprim17ROCPRIM_400000_NS6detail17trampoline_kernelINS0_14default_configENS1_35radix_sort_onesweep_config_selectorIjNS0_10empty_typeEEEZZNS1_29radix_sort_onesweep_iterationIS3_Lb1EPKjPjPS5_SB_mNS0_19identity_decomposerENS1_16block_id_wrapperIjLb1EEEEE10hipError_tT1_PNSt15iterator_traitsISG_E10value_typeET2_T3_PNSH_ISM_E10value_typeET4_T5_PSR_SS_PNS1_23onesweep_lookback_stateEbbT6_jjT7_P12ihipStream_tbENKUlT_T0_SG_SL_E_clIS9_SA_SB_SB_EEDaSZ_S10_SG_SL_EUlSZ_E_NS1_11comp_targetILNS1_3genE8ELNS1_11target_archE1030ELNS1_3gpuE2ELNS1_3repE0EEENS1_47radix_sort_onesweep_sort_config_static_selectorELNS0_4arch9wavefront6targetE0EEEvSG_: ; @_ZN7rocprim17ROCPRIM_400000_NS6detail17trampoline_kernelINS0_14default_configENS1_35radix_sort_onesweep_config_selectorIjNS0_10empty_typeEEEZZNS1_29radix_sort_onesweep_iterationIS3_Lb1EPKjPjPS5_SB_mNS0_19identity_decomposerENS1_16block_id_wrapperIjLb1EEEEE10hipError_tT1_PNSt15iterator_traitsISG_E10value_typeET2_T3_PNSH_ISM_E10value_typeET4_T5_PSR_SS_PNS1_23onesweep_lookback_stateEbbT6_jjT7_P12ihipStream_tbENKUlT_T0_SG_SL_E_clIS9_SA_SB_SB_EEDaSZ_S10_SG_SL_EUlSZ_E_NS1_11comp_targetILNS1_3genE8ELNS1_11target_archE1030ELNS1_3gpuE2ELNS1_3repE0EEENS1_47radix_sort_onesweep_sort_config_static_selectorELNS0_4arch9wavefront6targetE0EEEvSG_
; %bb.0:
	.section	.rodata,"a",@progbits
	.p2align	6, 0x0
	.amdhsa_kernel _ZN7rocprim17ROCPRIM_400000_NS6detail17trampoline_kernelINS0_14default_configENS1_35radix_sort_onesweep_config_selectorIjNS0_10empty_typeEEEZZNS1_29radix_sort_onesweep_iterationIS3_Lb1EPKjPjPS5_SB_mNS0_19identity_decomposerENS1_16block_id_wrapperIjLb1EEEEE10hipError_tT1_PNSt15iterator_traitsISG_E10value_typeET2_T3_PNSH_ISM_E10value_typeET4_T5_PSR_SS_PNS1_23onesweep_lookback_stateEbbT6_jjT7_P12ihipStream_tbENKUlT_T0_SG_SL_E_clIS9_SA_SB_SB_EEDaSZ_S10_SG_SL_EUlSZ_E_NS1_11comp_targetILNS1_3genE8ELNS1_11target_archE1030ELNS1_3gpuE2ELNS1_3repE0EEENS1_47radix_sort_onesweep_sort_config_static_selectorELNS0_4arch9wavefront6targetE0EEEvSG_
		.amdhsa_group_segment_fixed_size 0
		.amdhsa_private_segment_fixed_size 0
		.amdhsa_kernarg_size 88
		.amdhsa_user_sgpr_count 2
		.amdhsa_user_sgpr_dispatch_ptr 0
		.amdhsa_user_sgpr_queue_ptr 0
		.amdhsa_user_sgpr_kernarg_segment_ptr 1
		.amdhsa_user_sgpr_dispatch_id 0
		.amdhsa_user_sgpr_kernarg_preload_length 0
		.amdhsa_user_sgpr_kernarg_preload_offset 0
		.amdhsa_user_sgpr_private_segment_size 0
		.amdhsa_wavefront_size32 1
		.amdhsa_uses_dynamic_stack 0
		.amdhsa_enable_private_segment 0
		.amdhsa_system_sgpr_workgroup_id_x 1
		.amdhsa_system_sgpr_workgroup_id_y 0
		.amdhsa_system_sgpr_workgroup_id_z 0
		.amdhsa_system_sgpr_workgroup_info 0
		.amdhsa_system_vgpr_workitem_id 0
		.amdhsa_next_free_vgpr 1
		.amdhsa_next_free_sgpr 1
		.amdhsa_named_barrier_count 0
		.amdhsa_reserve_vcc 0
		.amdhsa_float_round_mode_32 0
		.amdhsa_float_round_mode_16_64 0
		.amdhsa_float_denorm_mode_32 3
		.amdhsa_float_denorm_mode_16_64 3
		.amdhsa_fp16_overflow 0
		.amdhsa_memory_ordered 1
		.amdhsa_forward_progress 1
		.amdhsa_inst_pref_size 0
		.amdhsa_round_robin_scheduling 0
		.amdhsa_exception_fp_ieee_invalid_op 0
		.amdhsa_exception_fp_denorm_src 0
		.amdhsa_exception_fp_ieee_div_zero 0
		.amdhsa_exception_fp_ieee_overflow 0
		.amdhsa_exception_fp_ieee_underflow 0
		.amdhsa_exception_fp_ieee_inexact 0
		.amdhsa_exception_int_div_zero 0
	.end_amdhsa_kernel
	.section	.text._ZN7rocprim17ROCPRIM_400000_NS6detail17trampoline_kernelINS0_14default_configENS1_35radix_sort_onesweep_config_selectorIjNS0_10empty_typeEEEZZNS1_29radix_sort_onesweep_iterationIS3_Lb1EPKjPjPS5_SB_mNS0_19identity_decomposerENS1_16block_id_wrapperIjLb1EEEEE10hipError_tT1_PNSt15iterator_traitsISG_E10value_typeET2_T3_PNSH_ISM_E10value_typeET4_T5_PSR_SS_PNS1_23onesweep_lookback_stateEbbT6_jjT7_P12ihipStream_tbENKUlT_T0_SG_SL_E_clIS9_SA_SB_SB_EEDaSZ_S10_SG_SL_EUlSZ_E_NS1_11comp_targetILNS1_3genE8ELNS1_11target_archE1030ELNS1_3gpuE2ELNS1_3repE0EEENS1_47radix_sort_onesweep_sort_config_static_selectorELNS0_4arch9wavefront6targetE0EEEvSG_,"axG",@progbits,_ZN7rocprim17ROCPRIM_400000_NS6detail17trampoline_kernelINS0_14default_configENS1_35radix_sort_onesweep_config_selectorIjNS0_10empty_typeEEEZZNS1_29radix_sort_onesweep_iterationIS3_Lb1EPKjPjPS5_SB_mNS0_19identity_decomposerENS1_16block_id_wrapperIjLb1EEEEE10hipError_tT1_PNSt15iterator_traitsISG_E10value_typeET2_T3_PNSH_ISM_E10value_typeET4_T5_PSR_SS_PNS1_23onesweep_lookback_stateEbbT6_jjT7_P12ihipStream_tbENKUlT_T0_SG_SL_E_clIS9_SA_SB_SB_EEDaSZ_S10_SG_SL_EUlSZ_E_NS1_11comp_targetILNS1_3genE8ELNS1_11target_archE1030ELNS1_3gpuE2ELNS1_3repE0EEENS1_47radix_sort_onesweep_sort_config_static_selectorELNS0_4arch9wavefront6targetE0EEEvSG_,comdat
.Lfunc_end2641:
	.size	_ZN7rocprim17ROCPRIM_400000_NS6detail17trampoline_kernelINS0_14default_configENS1_35radix_sort_onesweep_config_selectorIjNS0_10empty_typeEEEZZNS1_29radix_sort_onesweep_iterationIS3_Lb1EPKjPjPS5_SB_mNS0_19identity_decomposerENS1_16block_id_wrapperIjLb1EEEEE10hipError_tT1_PNSt15iterator_traitsISG_E10value_typeET2_T3_PNSH_ISM_E10value_typeET4_T5_PSR_SS_PNS1_23onesweep_lookback_stateEbbT6_jjT7_P12ihipStream_tbENKUlT_T0_SG_SL_E_clIS9_SA_SB_SB_EEDaSZ_S10_SG_SL_EUlSZ_E_NS1_11comp_targetILNS1_3genE8ELNS1_11target_archE1030ELNS1_3gpuE2ELNS1_3repE0EEENS1_47radix_sort_onesweep_sort_config_static_selectorELNS0_4arch9wavefront6targetE0EEEvSG_, .Lfunc_end2641-_ZN7rocprim17ROCPRIM_400000_NS6detail17trampoline_kernelINS0_14default_configENS1_35radix_sort_onesweep_config_selectorIjNS0_10empty_typeEEEZZNS1_29radix_sort_onesweep_iterationIS3_Lb1EPKjPjPS5_SB_mNS0_19identity_decomposerENS1_16block_id_wrapperIjLb1EEEEE10hipError_tT1_PNSt15iterator_traitsISG_E10value_typeET2_T3_PNSH_ISM_E10value_typeET4_T5_PSR_SS_PNS1_23onesweep_lookback_stateEbbT6_jjT7_P12ihipStream_tbENKUlT_T0_SG_SL_E_clIS9_SA_SB_SB_EEDaSZ_S10_SG_SL_EUlSZ_E_NS1_11comp_targetILNS1_3genE8ELNS1_11target_archE1030ELNS1_3gpuE2ELNS1_3repE0EEENS1_47radix_sort_onesweep_sort_config_static_selectorELNS0_4arch9wavefront6targetE0EEEvSG_
                                        ; -- End function
	.set _ZN7rocprim17ROCPRIM_400000_NS6detail17trampoline_kernelINS0_14default_configENS1_35radix_sort_onesweep_config_selectorIjNS0_10empty_typeEEEZZNS1_29radix_sort_onesweep_iterationIS3_Lb1EPKjPjPS5_SB_mNS0_19identity_decomposerENS1_16block_id_wrapperIjLb1EEEEE10hipError_tT1_PNSt15iterator_traitsISG_E10value_typeET2_T3_PNSH_ISM_E10value_typeET4_T5_PSR_SS_PNS1_23onesweep_lookback_stateEbbT6_jjT7_P12ihipStream_tbENKUlT_T0_SG_SL_E_clIS9_SA_SB_SB_EEDaSZ_S10_SG_SL_EUlSZ_E_NS1_11comp_targetILNS1_3genE8ELNS1_11target_archE1030ELNS1_3gpuE2ELNS1_3repE0EEENS1_47radix_sort_onesweep_sort_config_static_selectorELNS0_4arch9wavefront6targetE0EEEvSG_.num_vgpr, 0
	.set _ZN7rocprim17ROCPRIM_400000_NS6detail17trampoline_kernelINS0_14default_configENS1_35radix_sort_onesweep_config_selectorIjNS0_10empty_typeEEEZZNS1_29radix_sort_onesweep_iterationIS3_Lb1EPKjPjPS5_SB_mNS0_19identity_decomposerENS1_16block_id_wrapperIjLb1EEEEE10hipError_tT1_PNSt15iterator_traitsISG_E10value_typeET2_T3_PNSH_ISM_E10value_typeET4_T5_PSR_SS_PNS1_23onesweep_lookback_stateEbbT6_jjT7_P12ihipStream_tbENKUlT_T0_SG_SL_E_clIS9_SA_SB_SB_EEDaSZ_S10_SG_SL_EUlSZ_E_NS1_11comp_targetILNS1_3genE8ELNS1_11target_archE1030ELNS1_3gpuE2ELNS1_3repE0EEENS1_47radix_sort_onesweep_sort_config_static_selectorELNS0_4arch9wavefront6targetE0EEEvSG_.num_agpr, 0
	.set _ZN7rocprim17ROCPRIM_400000_NS6detail17trampoline_kernelINS0_14default_configENS1_35radix_sort_onesweep_config_selectorIjNS0_10empty_typeEEEZZNS1_29radix_sort_onesweep_iterationIS3_Lb1EPKjPjPS5_SB_mNS0_19identity_decomposerENS1_16block_id_wrapperIjLb1EEEEE10hipError_tT1_PNSt15iterator_traitsISG_E10value_typeET2_T3_PNSH_ISM_E10value_typeET4_T5_PSR_SS_PNS1_23onesweep_lookback_stateEbbT6_jjT7_P12ihipStream_tbENKUlT_T0_SG_SL_E_clIS9_SA_SB_SB_EEDaSZ_S10_SG_SL_EUlSZ_E_NS1_11comp_targetILNS1_3genE8ELNS1_11target_archE1030ELNS1_3gpuE2ELNS1_3repE0EEENS1_47radix_sort_onesweep_sort_config_static_selectorELNS0_4arch9wavefront6targetE0EEEvSG_.numbered_sgpr, 0
	.set _ZN7rocprim17ROCPRIM_400000_NS6detail17trampoline_kernelINS0_14default_configENS1_35radix_sort_onesweep_config_selectorIjNS0_10empty_typeEEEZZNS1_29radix_sort_onesweep_iterationIS3_Lb1EPKjPjPS5_SB_mNS0_19identity_decomposerENS1_16block_id_wrapperIjLb1EEEEE10hipError_tT1_PNSt15iterator_traitsISG_E10value_typeET2_T3_PNSH_ISM_E10value_typeET4_T5_PSR_SS_PNS1_23onesweep_lookback_stateEbbT6_jjT7_P12ihipStream_tbENKUlT_T0_SG_SL_E_clIS9_SA_SB_SB_EEDaSZ_S10_SG_SL_EUlSZ_E_NS1_11comp_targetILNS1_3genE8ELNS1_11target_archE1030ELNS1_3gpuE2ELNS1_3repE0EEENS1_47radix_sort_onesweep_sort_config_static_selectorELNS0_4arch9wavefront6targetE0EEEvSG_.num_named_barrier, 0
	.set _ZN7rocprim17ROCPRIM_400000_NS6detail17trampoline_kernelINS0_14default_configENS1_35radix_sort_onesweep_config_selectorIjNS0_10empty_typeEEEZZNS1_29radix_sort_onesweep_iterationIS3_Lb1EPKjPjPS5_SB_mNS0_19identity_decomposerENS1_16block_id_wrapperIjLb1EEEEE10hipError_tT1_PNSt15iterator_traitsISG_E10value_typeET2_T3_PNSH_ISM_E10value_typeET4_T5_PSR_SS_PNS1_23onesweep_lookback_stateEbbT6_jjT7_P12ihipStream_tbENKUlT_T0_SG_SL_E_clIS9_SA_SB_SB_EEDaSZ_S10_SG_SL_EUlSZ_E_NS1_11comp_targetILNS1_3genE8ELNS1_11target_archE1030ELNS1_3gpuE2ELNS1_3repE0EEENS1_47radix_sort_onesweep_sort_config_static_selectorELNS0_4arch9wavefront6targetE0EEEvSG_.private_seg_size, 0
	.set _ZN7rocprim17ROCPRIM_400000_NS6detail17trampoline_kernelINS0_14default_configENS1_35radix_sort_onesweep_config_selectorIjNS0_10empty_typeEEEZZNS1_29radix_sort_onesweep_iterationIS3_Lb1EPKjPjPS5_SB_mNS0_19identity_decomposerENS1_16block_id_wrapperIjLb1EEEEE10hipError_tT1_PNSt15iterator_traitsISG_E10value_typeET2_T3_PNSH_ISM_E10value_typeET4_T5_PSR_SS_PNS1_23onesweep_lookback_stateEbbT6_jjT7_P12ihipStream_tbENKUlT_T0_SG_SL_E_clIS9_SA_SB_SB_EEDaSZ_S10_SG_SL_EUlSZ_E_NS1_11comp_targetILNS1_3genE8ELNS1_11target_archE1030ELNS1_3gpuE2ELNS1_3repE0EEENS1_47radix_sort_onesweep_sort_config_static_selectorELNS0_4arch9wavefront6targetE0EEEvSG_.uses_vcc, 0
	.set _ZN7rocprim17ROCPRIM_400000_NS6detail17trampoline_kernelINS0_14default_configENS1_35radix_sort_onesweep_config_selectorIjNS0_10empty_typeEEEZZNS1_29radix_sort_onesweep_iterationIS3_Lb1EPKjPjPS5_SB_mNS0_19identity_decomposerENS1_16block_id_wrapperIjLb1EEEEE10hipError_tT1_PNSt15iterator_traitsISG_E10value_typeET2_T3_PNSH_ISM_E10value_typeET4_T5_PSR_SS_PNS1_23onesweep_lookback_stateEbbT6_jjT7_P12ihipStream_tbENKUlT_T0_SG_SL_E_clIS9_SA_SB_SB_EEDaSZ_S10_SG_SL_EUlSZ_E_NS1_11comp_targetILNS1_3genE8ELNS1_11target_archE1030ELNS1_3gpuE2ELNS1_3repE0EEENS1_47radix_sort_onesweep_sort_config_static_selectorELNS0_4arch9wavefront6targetE0EEEvSG_.uses_flat_scratch, 0
	.set _ZN7rocprim17ROCPRIM_400000_NS6detail17trampoline_kernelINS0_14default_configENS1_35radix_sort_onesweep_config_selectorIjNS0_10empty_typeEEEZZNS1_29radix_sort_onesweep_iterationIS3_Lb1EPKjPjPS5_SB_mNS0_19identity_decomposerENS1_16block_id_wrapperIjLb1EEEEE10hipError_tT1_PNSt15iterator_traitsISG_E10value_typeET2_T3_PNSH_ISM_E10value_typeET4_T5_PSR_SS_PNS1_23onesweep_lookback_stateEbbT6_jjT7_P12ihipStream_tbENKUlT_T0_SG_SL_E_clIS9_SA_SB_SB_EEDaSZ_S10_SG_SL_EUlSZ_E_NS1_11comp_targetILNS1_3genE8ELNS1_11target_archE1030ELNS1_3gpuE2ELNS1_3repE0EEENS1_47radix_sort_onesweep_sort_config_static_selectorELNS0_4arch9wavefront6targetE0EEEvSG_.has_dyn_sized_stack, 0
	.set _ZN7rocprim17ROCPRIM_400000_NS6detail17trampoline_kernelINS0_14default_configENS1_35radix_sort_onesweep_config_selectorIjNS0_10empty_typeEEEZZNS1_29radix_sort_onesweep_iterationIS3_Lb1EPKjPjPS5_SB_mNS0_19identity_decomposerENS1_16block_id_wrapperIjLb1EEEEE10hipError_tT1_PNSt15iterator_traitsISG_E10value_typeET2_T3_PNSH_ISM_E10value_typeET4_T5_PSR_SS_PNS1_23onesweep_lookback_stateEbbT6_jjT7_P12ihipStream_tbENKUlT_T0_SG_SL_E_clIS9_SA_SB_SB_EEDaSZ_S10_SG_SL_EUlSZ_E_NS1_11comp_targetILNS1_3genE8ELNS1_11target_archE1030ELNS1_3gpuE2ELNS1_3repE0EEENS1_47radix_sort_onesweep_sort_config_static_selectorELNS0_4arch9wavefront6targetE0EEEvSG_.has_recursion, 0
	.set _ZN7rocprim17ROCPRIM_400000_NS6detail17trampoline_kernelINS0_14default_configENS1_35radix_sort_onesweep_config_selectorIjNS0_10empty_typeEEEZZNS1_29radix_sort_onesweep_iterationIS3_Lb1EPKjPjPS5_SB_mNS0_19identity_decomposerENS1_16block_id_wrapperIjLb1EEEEE10hipError_tT1_PNSt15iterator_traitsISG_E10value_typeET2_T3_PNSH_ISM_E10value_typeET4_T5_PSR_SS_PNS1_23onesweep_lookback_stateEbbT6_jjT7_P12ihipStream_tbENKUlT_T0_SG_SL_E_clIS9_SA_SB_SB_EEDaSZ_S10_SG_SL_EUlSZ_E_NS1_11comp_targetILNS1_3genE8ELNS1_11target_archE1030ELNS1_3gpuE2ELNS1_3repE0EEENS1_47radix_sort_onesweep_sort_config_static_selectorELNS0_4arch9wavefront6targetE0EEEvSG_.has_indirect_call, 0
	.section	.AMDGPU.csdata,"",@progbits
; Kernel info:
; codeLenInByte = 0
; TotalNumSgprs: 0
; NumVgprs: 0
; ScratchSize: 0
; MemoryBound: 0
; FloatMode: 240
; IeeeMode: 1
; LDSByteSize: 0 bytes/workgroup (compile time only)
; SGPRBlocks: 0
; VGPRBlocks: 0
; NumSGPRsForWavesPerEU: 1
; NumVGPRsForWavesPerEU: 1
; NamedBarCnt: 0
; Occupancy: 16
; WaveLimiterHint : 0
; COMPUTE_PGM_RSRC2:SCRATCH_EN: 0
; COMPUTE_PGM_RSRC2:USER_SGPR: 2
; COMPUTE_PGM_RSRC2:TRAP_HANDLER: 0
; COMPUTE_PGM_RSRC2:TGID_X_EN: 1
; COMPUTE_PGM_RSRC2:TGID_Y_EN: 0
; COMPUTE_PGM_RSRC2:TGID_Z_EN: 0
; COMPUTE_PGM_RSRC2:TIDIG_COMP_CNT: 0
	.section	.text._ZN7rocprim17ROCPRIM_400000_NS6detail17trampoline_kernelINS0_14default_configENS1_35radix_sort_onesweep_config_selectorIjNS0_10empty_typeEEEZZNS1_29radix_sort_onesweep_iterationIS3_Lb1EPKjPjPS5_SB_mNS0_19identity_decomposerENS1_16block_id_wrapperIjLb1EEEEE10hipError_tT1_PNSt15iterator_traitsISG_E10value_typeET2_T3_PNSH_ISM_E10value_typeET4_T5_PSR_SS_PNS1_23onesweep_lookback_stateEbbT6_jjT7_P12ihipStream_tbENKUlT_T0_SG_SL_E_clISA_SA_SB_SB_EEDaSZ_S10_SG_SL_EUlSZ_E_NS1_11comp_targetILNS1_3genE0ELNS1_11target_archE4294967295ELNS1_3gpuE0ELNS1_3repE0EEENS1_47radix_sort_onesweep_sort_config_static_selectorELNS0_4arch9wavefront6targetE0EEEvSG_,"axG",@progbits,_ZN7rocprim17ROCPRIM_400000_NS6detail17trampoline_kernelINS0_14default_configENS1_35radix_sort_onesweep_config_selectorIjNS0_10empty_typeEEEZZNS1_29radix_sort_onesweep_iterationIS3_Lb1EPKjPjPS5_SB_mNS0_19identity_decomposerENS1_16block_id_wrapperIjLb1EEEEE10hipError_tT1_PNSt15iterator_traitsISG_E10value_typeET2_T3_PNSH_ISM_E10value_typeET4_T5_PSR_SS_PNS1_23onesweep_lookback_stateEbbT6_jjT7_P12ihipStream_tbENKUlT_T0_SG_SL_E_clISA_SA_SB_SB_EEDaSZ_S10_SG_SL_EUlSZ_E_NS1_11comp_targetILNS1_3genE0ELNS1_11target_archE4294967295ELNS1_3gpuE0ELNS1_3repE0EEENS1_47radix_sort_onesweep_sort_config_static_selectorELNS0_4arch9wavefront6targetE0EEEvSG_,comdat
	.protected	_ZN7rocprim17ROCPRIM_400000_NS6detail17trampoline_kernelINS0_14default_configENS1_35radix_sort_onesweep_config_selectorIjNS0_10empty_typeEEEZZNS1_29radix_sort_onesweep_iterationIS3_Lb1EPKjPjPS5_SB_mNS0_19identity_decomposerENS1_16block_id_wrapperIjLb1EEEEE10hipError_tT1_PNSt15iterator_traitsISG_E10value_typeET2_T3_PNSH_ISM_E10value_typeET4_T5_PSR_SS_PNS1_23onesweep_lookback_stateEbbT6_jjT7_P12ihipStream_tbENKUlT_T0_SG_SL_E_clISA_SA_SB_SB_EEDaSZ_S10_SG_SL_EUlSZ_E_NS1_11comp_targetILNS1_3genE0ELNS1_11target_archE4294967295ELNS1_3gpuE0ELNS1_3repE0EEENS1_47radix_sort_onesweep_sort_config_static_selectorELNS0_4arch9wavefront6targetE0EEEvSG_ ; -- Begin function _ZN7rocprim17ROCPRIM_400000_NS6detail17trampoline_kernelINS0_14default_configENS1_35radix_sort_onesweep_config_selectorIjNS0_10empty_typeEEEZZNS1_29radix_sort_onesweep_iterationIS3_Lb1EPKjPjPS5_SB_mNS0_19identity_decomposerENS1_16block_id_wrapperIjLb1EEEEE10hipError_tT1_PNSt15iterator_traitsISG_E10value_typeET2_T3_PNSH_ISM_E10value_typeET4_T5_PSR_SS_PNS1_23onesweep_lookback_stateEbbT6_jjT7_P12ihipStream_tbENKUlT_T0_SG_SL_E_clISA_SA_SB_SB_EEDaSZ_S10_SG_SL_EUlSZ_E_NS1_11comp_targetILNS1_3genE0ELNS1_11target_archE4294967295ELNS1_3gpuE0ELNS1_3repE0EEENS1_47radix_sort_onesweep_sort_config_static_selectorELNS0_4arch9wavefront6targetE0EEEvSG_
	.globl	_ZN7rocprim17ROCPRIM_400000_NS6detail17trampoline_kernelINS0_14default_configENS1_35radix_sort_onesweep_config_selectorIjNS0_10empty_typeEEEZZNS1_29radix_sort_onesweep_iterationIS3_Lb1EPKjPjPS5_SB_mNS0_19identity_decomposerENS1_16block_id_wrapperIjLb1EEEEE10hipError_tT1_PNSt15iterator_traitsISG_E10value_typeET2_T3_PNSH_ISM_E10value_typeET4_T5_PSR_SS_PNS1_23onesweep_lookback_stateEbbT6_jjT7_P12ihipStream_tbENKUlT_T0_SG_SL_E_clISA_SA_SB_SB_EEDaSZ_S10_SG_SL_EUlSZ_E_NS1_11comp_targetILNS1_3genE0ELNS1_11target_archE4294967295ELNS1_3gpuE0ELNS1_3repE0EEENS1_47radix_sort_onesweep_sort_config_static_selectorELNS0_4arch9wavefront6targetE0EEEvSG_
	.p2align	8
	.type	_ZN7rocprim17ROCPRIM_400000_NS6detail17trampoline_kernelINS0_14default_configENS1_35radix_sort_onesweep_config_selectorIjNS0_10empty_typeEEEZZNS1_29radix_sort_onesweep_iterationIS3_Lb1EPKjPjPS5_SB_mNS0_19identity_decomposerENS1_16block_id_wrapperIjLb1EEEEE10hipError_tT1_PNSt15iterator_traitsISG_E10value_typeET2_T3_PNSH_ISM_E10value_typeET4_T5_PSR_SS_PNS1_23onesweep_lookback_stateEbbT6_jjT7_P12ihipStream_tbENKUlT_T0_SG_SL_E_clISA_SA_SB_SB_EEDaSZ_S10_SG_SL_EUlSZ_E_NS1_11comp_targetILNS1_3genE0ELNS1_11target_archE4294967295ELNS1_3gpuE0ELNS1_3repE0EEENS1_47radix_sort_onesweep_sort_config_static_selectorELNS0_4arch9wavefront6targetE0EEEvSG_,@function
_ZN7rocprim17ROCPRIM_400000_NS6detail17trampoline_kernelINS0_14default_configENS1_35radix_sort_onesweep_config_selectorIjNS0_10empty_typeEEEZZNS1_29radix_sort_onesweep_iterationIS3_Lb1EPKjPjPS5_SB_mNS0_19identity_decomposerENS1_16block_id_wrapperIjLb1EEEEE10hipError_tT1_PNSt15iterator_traitsISG_E10value_typeET2_T3_PNSH_ISM_E10value_typeET4_T5_PSR_SS_PNS1_23onesweep_lookback_stateEbbT6_jjT7_P12ihipStream_tbENKUlT_T0_SG_SL_E_clISA_SA_SB_SB_EEDaSZ_S10_SG_SL_EUlSZ_E_NS1_11comp_targetILNS1_3genE0ELNS1_11target_archE4294967295ELNS1_3gpuE0ELNS1_3repE0EEENS1_47radix_sort_onesweep_sort_config_static_selectorELNS0_4arch9wavefront6targetE0EEEvSG_: ; @_ZN7rocprim17ROCPRIM_400000_NS6detail17trampoline_kernelINS0_14default_configENS1_35radix_sort_onesweep_config_selectorIjNS0_10empty_typeEEEZZNS1_29radix_sort_onesweep_iterationIS3_Lb1EPKjPjPS5_SB_mNS0_19identity_decomposerENS1_16block_id_wrapperIjLb1EEEEE10hipError_tT1_PNSt15iterator_traitsISG_E10value_typeET2_T3_PNSH_ISM_E10value_typeET4_T5_PSR_SS_PNS1_23onesweep_lookback_stateEbbT6_jjT7_P12ihipStream_tbENKUlT_T0_SG_SL_E_clISA_SA_SB_SB_EEDaSZ_S10_SG_SL_EUlSZ_E_NS1_11comp_targetILNS1_3genE0ELNS1_11target_archE4294967295ELNS1_3gpuE0ELNS1_3repE0EEENS1_47radix_sort_onesweep_sort_config_static_selectorELNS0_4arch9wavefront6targetE0EEEvSG_
; %bb.0:
	s_clause 0x1
	s_load_b128 s[8:11], s[0:1], 0x28
	s_load_b64 s[20:21], s[0:1], 0x38
	v_and_b32_e32 v14, 0x3ff, v0
	s_delay_alu instid0(VALU_DEP_1)
	v_cmp_eq_u32_e64 s2, 0, v14
	s_and_saveexec_b32 s3, s2
	s_cbranch_execz .LBB2642_4
; %bb.1:
	s_mov_b32 s5, exec_lo
	s_mov_b32 s4, exec_lo
	v_mbcnt_lo_u32_b32 v1, s5, 0
                                        ; implicit-def: $vgpr2
	s_delay_alu instid0(VALU_DEP_1)
	v_cmpx_eq_u32_e32 0, v1
	s_cbranch_execz .LBB2642_3
; %bb.2:
	s_load_b64 s[6:7], s[0:1], 0x50
	s_bcnt1_i32_b32 s5, s5
	s_delay_alu instid0(SALU_CYCLE_1)
	v_dual_mov_b32 v2, 0 :: v_dual_mov_b32 v3, s5
	s_wait_xcnt 0x0
	s_wait_kmcnt 0x0
	global_atomic_add_u32 v2, v2, v3, s[6:7] th:TH_ATOMIC_RETURN scope:SCOPE_DEV
.LBB2642_3:
	s_wait_xcnt 0x0
	s_or_b32 exec_lo, exec_lo, s4
	s_wait_loadcnt 0x0
	v_readfirstlane_b32 s4, v2
	s_delay_alu instid0(VALU_DEP_1)
	v_dual_mov_b32 v2, 0 :: v_dual_add_nc_u32 v1, s4, v1
	ds_store_b32 v2, v1 offset:18496
.LBB2642_4:
	s_or_b32 exec_lo, exec_lo, s3
	v_mov_b32_e32 v3, 0
	s_clause 0x2
	s_load_b128 s[12:15], s[0:1], 0x0
	s_load_b32 s3, s[0:1], 0x20
	s_load_b96 s[16:18], s[0:1], 0x44
	s_wait_dscnt 0x0
	s_barrier_signal -1
	s_barrier_wait -1
	ds_load_b32 v1, v3 offset:18496
	v_mbcnt_lo_u32_b32 v15, -1, 0
	v_and_b32_e32 v16, 0x3e0, v14
	s_mov_b32 s4, -1
	s_add_nc_u64 s[24:25], s[0:1], 0x58
	s_getreg_b32 s7, hwreg(HW_REG_IB_STS2, 6, 4)
	s_wait_dscnt 0x0
	s_barrier_signal -1
	s_barrier_wait -1
	s_wait_kmcnt 0x0
	v_cmp_le_u32_e32 vcc_lo, s18, v1
	v_readfirstlane_b32 s19, v1
	s_mul_i32 s22, s19, 0x1800
	s_cbranch_vccz .LBB2642_94
; %bb.5:
	s_mov_b32 s23, 0
	v_mul_u32_u24_e32 v1, 12, v16
	v_lshlrev_b32_e32 v2, 2, v15
	s_lshl_b64 s[4:5], s[22:23], 2
	v_mov_b32_e32 v17, -1
	s_add_nc_u64 s[4:5], s[12:13], s[4:5]
	v_or_b32_e32 v4, v15, v1
	v_add_nc_u64_e32 v[6:7], s[4:5], v[2:3]
	v_dual_mov_b32 v1, -1 :: v_dual_lshlrev_b32 v2, 2, v1
	s_mulk_i32 s18, 0xe800
	s_delay_alu instid0(SALU_CYCLE_1) | instskip(SKIP_1) | instid1(VALU_DEP_1)
	s_add_co_i32 s18, s18, s3
	s_mov_b32 s3, exec_lo
	v_add_nc_u64_e32 v[2:3], v[6:7], v[2:3]
	v_cmpx_gt_u32_e64 s18, v4
	s_cbranch_execz .LBB2642_7
; %bb.6:
	global_load_b32 v5, v[2:3], off
	s_wait_loadcnt 0x0
	v_not_b32_e32 v17, v5
.LBB2642_7:
	s_or_b32 exec_lo, exec_lo, s3
	v_or_b32_e32 v5, 32, v4
	s_mov_b32 s3, exec_lo
	s_delay_alu instid0(VALU_DEP_1)
	v_cmpx_gt_u32_e64 s18, v5
	s_cbranch_execz .LBB2642_9
; %bb.8:
	global_load_b32 v1, v[2:3], off offset:128
	s_wait_loadcnt 0x0
	v_not_b32_e32 v1, v1
.LBB2642_9:
	s_or_b32 exec_lo, exec_lo, s3
	v_dual_mov_b32 v18, -1 :: v_dual_bitop2_b32 v5, 64, v4 bitop3:0x54
	v_mov_b32_e32 v19, -1
	s_mov_b32 s3, exec_lo
	s_delay_alu instid0(VALU_DEP_2)
	v_cmpx_gt_u32_e64 s18, v5
	s_cbranch_execz .LBB2642_11
; %bb.10:
	global_load_b32 v5, v[2:3], off offset:256
	s_wait_loadcnt 0x0
	v_not_b32_e32 v19, v5
.LBB2642_11:
	s_or_b32 exec_lo, exec_lo, s3
	v_or_b32_e32 v5, 0x60, v4
	s_mov_b32 s3, exec_lo
	s_delay_alu instid0(VALU_DEP_1)
	v_cmpx_gt_u32_e64 s18, v5
	s_cbranch_execz .LBB2642_13
; %bb.12:
	global_load_b32 v5, v[2:3], off offset:384
	s_wait_loadcnt 0x0
	v_not_b32_e32 v18, v5
.LBB2642_13:
	s_or_b32 exec_lo, exec_lo, s3
	v_dual_mov_b32 v20, -1 :: v_dual_add_nc_u32 v5, 0x80, v4
	v_mov_b32_e32 v21, -1
	s_mov_b32 s3, exec_lo
	s_delay_alu instid0(VALU_DEP_2)
	v_cmpx_gt_u32_e64 s18, v5
	s_cbranch_execz .LBB2642_15
; %bb.14:
	global_load_b32 v5, v[2:3], off offset:512
	s_wait_loadcnt 0x0
	v_not_b32_e32 v21, v5
.LBB2642_15:
	s_or_b32 exec_lo, exec_lo, s3
	v_add_nc_u32_e32 v5, 0xa0, v4
	s_mov_b32 s3, exec_lo
	s_delay_alu instid0(VALU_DEP_1)
	v_cmpx_gt_u32_e64 s18, v5
	s_cbranch_execz .LBB2642_17
; %bb.16:
	global_load_b32 v5, v[2:3], off offset:640
	s_wait_loadcnt 0x0
	v_not_b32_e32 v20, v5
.LBB2642_17:
	s_or_b32 exec_lo, exec_lo, s3
	v_dual_mov_b32 v22, -1 :: v_dual_add_nc_u32 v5, 0xc0, v4
	v_mov_b32_e32 v23, -1
	s_mov_b32 s3, exec_lo
	s_delay_alu instid0(VALU_DEP_2)
	v_cmpx_gt_u32_e64 s18, v5
	s_cbranch_execz .LBB2642_19
; %bb.18:
	global_load_b32 v5, v[2:3], off offset:768
	s_wait_loadcnt 0x0
	v_not_b32_e32 v23, v5
.LBB2642_19:
	s_or_b32 exec_lo, exec_lo, s3
	v_add_nc_u32_e32 v5, 0xe0, v4
	;; [unrolled: 23-line block ×4, first 2 shown]
	s_mov_b32 s3, exec_lo
	s_delay_alu instid0(VALU_DEP_1)
	v_cmpx_gt_u32_e64 s18, v4
	s_cbranch_execz .LBB2642_29
; %bb.28:
	global_load_b32 v2, v[2:3], off offset:1408
	s_wait_loadcnt 0x0
	v_not_b32_e32 v26, v2
.LBB2642_29:
	s_or_b32 exec_lo, exec_lo, s3
	s_clause 0x1
	s_load_b32 s23, s[0:1], 0x58
	s_load_u16 s3, s[0:1], 0x66
	s_bfe_u32 s4, ttmp6, 0x4000c
	s_and_b32 s5, ttmp6, 15
	s_add_co_i32 s4, s4, 1
	v_bfe_u32 v2, v0, 10, 10
	s_mul_i32 s4, ttmp9, s4
	v_bfe_u32 v3, v0, 20, 10
	s_add_co_i32 s5, s5, s4
	s_cmp_eq_u32 s7, 0
	v_lshrrev_b32_e32 v4, s16, v17
	s_cselect_b32 s4, ttmp9, s5
	s_mov_b32 s5, 0
	s_wait_kmcnt 0x0
	s_cmp_lt_u32 s4, s23
	v_mad_u32_u24 v2, v3, s3, v2
	s_cselect_b32 s4, 12, 18
	s_lshl_b32 s26, -1, s17
	s_add_nc_u64 s[4:5], s[24:25], s[4:5]
	v_bitop3_b32 v3, v4, 1, s26 bitop3:0x40
	s_load_u16 s27, s[4:5], 0x0
	s_delay_alu instid0(VALU_DEP_1) | instskip(NEXT) | instid1(VALU_DEP_1)
	v_add_co_u32 v3, s3, v3, -1
	v_cndmask_b32_e64 v5, 0, 1, s3
	s_delay_alu instid0(VALU_DEP_1) | instskip(NEXT) | instid1(VALU_DEP_3)
	v_cmp_ne_u32_e32 vcc_lo, 0, v5
	v_xor_b32_e32 v3, vcc_lo, v3
	v_bitop3_b32 v4, v4, s26, v4 bitop3:0x30
	s_not_b32 s26, s26
	s_wait_kmcnt 0x0
	v_mad_u32 v2, v2, s27, v14
	s_delay_alu instid0(VALU_DEP_2) | instskip(SKIP_2) | instid1(VALU_DEP_3)
	v_dual_lshlrev_b32 v6, 30, v4 :: v_dual_lshlrev_b32 v7, 29, v4
	v_dual_lshlrev_b32 v8, 28, v4 :: v_dual_lshlrev_b32 v9, 27, v4
	;; [unrolled: 1-line block ×3, first 2 shown]
	v_not_b32_e32 v5, v6
	v_lshlrev_b32_e32 v12, 24, v4
	v_cmp_gt_i32_e64 s3, 0, v6
	v_cmp_gt_i32_e64 s4, 0, v7
	v_not_b32_e32 v6, v7
	v_not_b32_e32 v7, v8
	v_ashrrev_i32_e32 v5, 31, v5
	v_cmp_gt_i32_e64 s5, 0, v8
	v_cmp_gt_i32_e64 s6, 0, v9
	s_delay_alu instid0(VALU_DEP_4) | instskip(NEXT) | instid1(VALU_DEP_4)
	v_dual_ashrrev_i32 v6, 31, v6 :: v_dual_ashrrev_i32 v7, 31, v7
	v_xor_b32_e32 v5, s3, v5
	v_not_b32_e32 v8, v9
	v_not_b32_e32 v9, v10
	s_delay_alu instid0(VALU_DEP_4)
	v_xor_b32_e32 v6, s4, v6
	v_xor_b32_e32 v7, s5, v7
	v_bitop3_b32 v3, v3, v5, exec_lo bitop3:0x80
	v_cmp_gt_i32_e32 vcc_lo, 0, v10
	v_dual_ashrrev_i32 v5, 31, v8 :: v_dual_ashrrev_i32 v8, 31, v9
	v_not_b32_e32 v9, v11
	s_delay_alu instid0(VALU_DEP_4) | instskip(SKIP_1) | instid1(VALU_DEP_4)
	v_bitop3_b32 v3, v3, v7, v6 bitop3:0x80
	v_not_b32_e32 v6, v12
	v_dual_lshrrev_b32 v2, 5, v2 :: v_dual_bitop2_b32 v5, s6, v5 bitop3:0x14
	s_delay_alu instid0(VALU_DEP_4) | instskip(SKIP_3) | instid1(VALU_DEP_4)
	v_dual_ashrrev_i32 v8, 31, v9 :: v_dual_bitop2_b32 v7, vcc_lo, v8 bitop3:0x14
	v_cmp_gt_i32_e32 vcc_lo, 0, v11
	v_cmp_gt_i32_e64 s3, 0, v12
	v_ashrrev_i32_e32 v6, 31, v6
	v_bitop3_b32 v3, v3, v7, v5 bitop3:0x80
	v_dual_mov_b32 v7, 0 :: v_dual_bitop2_b32 v5, vcc_lo, v8 bitop3:0x14
	v_lshlrev_b32_e32 v2, 2, v2
	s_delay_alu instid0(VALU_DEP_4)
	v_xor_b32_e32 v6, s3, v6
	v_mul_u32_u24_e32 v10, 36, v14
	ds_store_2addr_b32 v10, v7, v7 offset0:16 offset1:17
	ds_store_2addr_b32 v10, v7, v7 offset0:18 offset1:19
	;; [unrolled: 1-line block ×4, first 2 shown]
	v_bitop3_b32 v3, v3, v6, v5 bitop3:0x80
	v_mad_u32 v11, 0x44, v4, v2
	ds_store_b32 v10, v7 offset:96
	s_wait_dscnt 0x0
	s_barrier_signal -1
	v_mbcnt_lo_u32_b32 v28, v3, 0
	v_cmp_ne_u32_e64 s3, 0, v3
	s_barrier_wait -1
	s_delay_alu instid0(VALU_DEP_2) | instskip(SKIP_1) | instid1(SALU_CYCLE_1)
	v_cmp_eq_u32_e32 vcc_lo, 0, v28
	; wave barrier
	s_and_b32 s4, s3, vcc_lo
	s_and_saveexec_b32 s3, s4
; %bb.30:
	v_bcnt_u32_b32 v3, v3, 0
	ds_store_b32 v11, v3 offset:64
; %bb.31:
	s_or_b32 exec_lo, exec_lo, s3
	v_lshrrev_b32_e32 v3, s16, v1
	; wave barrier
	s_delay_alu instid0(VALU_DEP_1) | instskip(NEXT) | instid1(VALU_DEP_1)
	v_and_b32_e32 v4, s26, v3
	v_lshlrev_b32_e32 v6, 30, v4
	v_bitop3_b32 v3, v3, 1, s26 bitop3:0x80
	s_delay_alu instid0(VALU_DEP_1) | instskip(NEXT) | instid1(VALU_DEP_1)
	v_add_co_u32 v3, s3, v3, -1
	v_cndmask_b32_e64 v5, 0, 1, s3
	s_delay_alu instid0(VALU_DEP_4) | instskip(NEXT) | instid1(VALU_DEP_2)
	v_cmp_gt_i32_e64 s3, 0, v6
	v_cmp_ne_u32_e32 vcc_lo, 0, v5
	v_not_b32_e32 v5, v6
	s_delay_alu instid0(VALU_DEP_1) | instskip(SKIP_3) | instid1(VALU_DEP_4)
	v_dual_ashrrev_i32 v5, 31, v5 :: v_dual_lshlrev_b32 v7, 29, v4
	v_dual_lshlrev_b32 v8, 28, v4 :: v_dual_lshlrev_b32 v9, 27, v4
	v_lshlrev_b32_e32 v13, 26, v4
	v_mad_u32 v12, 0x44, v4, v2
	v_cmp_gt_i32_e64 s4, 0, v7
	v_not_b32_e32 v6, v7
	v_not_b32_e32 v7, v8
	v_cmp_gt_i32_e64 s5, 0, v8
	v_xor_b32_e32 v3, vcc_lo, v3
	s_delay_alu instid0(VALU_DEP_4) | instskip(NEXT) | instid1(VALU_DEP_4)
	v_dual_ashrrev_i32 v6, 31, v6 :: v_dual_bitop2_b32 v5, s3, v5 bitop3:0x14
	v_dual_ashrrev_i32 v7, 31, v7 :: v_dual_lshlrev_b32 v29, 25, v4
	v_lshlrev_b32_e32 v4, 24, v4
	v_not_b32_e32 v8, v9
	v_not_b32_e32 v30, v13
	v_xor_b32_e32 v6, s4, v6
	v_xor_b32_e32 v7, s5, v7
	v_bitop3_b32 v3, v3, v5, exec_lo bitop3:0x80
	v_cmp_gt_i32_e32 vcc_lo, 0, v9
	v_ashrrev_i32_e32 v5, 31, v8
	v_cmp_gt_i32_e64 s3, 0, v13
	v_ashrrev_i32_e32 v8, 31, v30
	v_bitop3_b32 v3, v3, v7, v6 bitop3:0x80
	v_not_b32_e32 v6, v29
	v_not_b32_e32 v7, v4
	v_xor_b32_e32 v5, vcc_lo, v5
	v_xor_b32_e32 v8, s3, v8
	v_cmp_gt_i32_e32 vcc_lo, 0, v29
	v_ashrrev_i32_e32 v6, 31, v6
	v_cmp_gt_i32_e64 s3, 0, v4
	v_ashrrev_i32_e32 v4, 31, v7
	v_bitop3_b32 v3, v3, v8, v5 bitop3:0x80
	ds_load_b32 v29, v12 offset:64
	v_xor_b32_e32 v5, vcc_lo, v6
	v_xor_b32_e32 v4, s3, v4
	; wave barrier
	s_delay_alu instid0(VALU_DEP_1) | instskip(NEXT) | instid1(VALU_DEP_1)
	v_bitop3_b32 v3, v3, v4, v5 bitop3:0x80
	v_mbcnt_lo_u32_b32 v30, v3, 0
	v_cmp_ne_u32_e64 s3, 0, v3
	s_delay_alu instid0(VALU_DEP_2) | instskip(SKIP_1) | instid1(SALU_CYCLE_1)
	v_cmp_eq_u32_e32 vcc_lo, 0, v30
	s_and_b32 s4, s3, vcc_lo
	s_and_saveexec_b32 s3, s4
	s_cbranch_execz .LBB2642_33
; %bb.32:
	s_wait_dscnt 0x0
	v_bcnt_u32_b32 v3, v3, v29
	ds_store_b32 v12, v3 offset:64
.LBB2642_33:
	s_or_b32 exec_lo, exec_lo, s3
	v_lshrrev_b32_e32 v3, s16, v19
	; wave barrier
	s_delay_alu instid0(VALU_DEP_1) | instskip(NEXT) | instid1(VALU_DEP_1)
	v_and_b32_e32 v4, s26, v3
	v_lshlrev_b32_e32 v6, 30, v4
	v_bitop3_b32 v3, v3, 1, s26 bitop3:0x80
	s_delay_alu instid0(VALU_DEP_1) | instskip(NEXT) | instid1(VALU_DEP_1)
	v_add_co_u32 v3, s3, v3, -1
	v_cndmask_b32_e64 v5, 0, 1, s3
	s_delay_alu instid0(VALU_DEP_4) | instskip(NEXT) | instid1(VALU_DEP_2)
	v_cmp_gt_i32_e64 s3, 0, v6
	v_cmp_ne_u32_e32 vcc_lo, 0, v5
	v_not_b32_e32 v5, v6
	s_delay_alu instid0(VALU_DEP_1) | instskip(SKIP_3) | instid1(VALU_DEP_4)
	v_dual_ashrrev_i32 v5, 31, v5 :: v_dual_lshlrev_b32 v7, 29, v4
	v_dual_lshlrev_b32 v8, 28, v4 :: v_dual_lshlrev_b32 v9, 27, v4
	v_lshlrev_b32_e32 v31, 26, v4
	v_mad_u32 v13, 0x44, v4, v2
	v_cmp_gt_i32_e64 s4, 0, v7
	v_not_b32_e32 v6, v7
	v_not_b32_e32 v7, v8
	v_cmp_gt_i32_e64 s5, 0, v8
	v_xor_b32_e32 v3, vcc_lo, v3
	s_delay_alu instid0(VALU_DEP_4) | instskip(NEXT) | instid1(VALU_DEP_4)
	v_dual_ashrrev_i32 v6, 31, v6 :: v_dual_bitop2_b32 v5, s3, v5 bitop3:0x14
	v_dual_ashrrev_i32 v7, 31, v7 :: v_dual_lshlrev_b32 v32, 25, v4
	v_lshlrev_b32_e32 v4, 24, v4
	v_not_b32_e32 v8, v9
	v_not_b32_e32 v33, v31
	v_xor_b32_e32 v6, s4, v6
	v_xor_b32_e32 v7, s5, v7
	v_bitop3_b32 v3, v3, v5, exec_lo bitop3:0x80
	v_cmp_gt_i32_e32 vcc_lo, 0, v9
	v_ashrrev_i32_e32 v5, 31, v8
	v_cmp_gt_i32_e64 s3, 0, v31
	v_ashrrev_i32_e32 v8, 31, v33
	v_bitop3_b32 v3, v3, v7, v6 bitop3:0x80
	v_not_b32_e32 v6, v32
	v_not_b32_e32 v7, v4
	v_xor_b32_e32 v5, vcc_lo, v5
	v_xor_b32_e32 v8, s3, v8
	v_cmp_gt_i32_e32 vcc_lo, 0, v32
	v_ashrrev_i32_e32 v6, 31, v6
	v_cmp_gt_i32_e64 s3, 0, v4
	v_ashrrev_i32_e32 v4, 31, v7
	v_bitop3_b32 v3, v3, v8, v5 bitop3:0x80
	ds_load_b32 v31, v13 offset:64
	v_xor_b32_e32 v5, vcc_lo, v6
	v_xor_b32_e32 v4, s3, v4
	; wave barrier
	s_delay_alu instid0(VALU_DEP_1) | instskip(NEXT) | instid1(VALU_DEP_1)
	v_bitop3_b32 v3, v3, v4, v5 bitop3:0x80
	v_mbcnt_lo_u32_b32 v32, v3, 0
	v_cmp_ne_u32_e64 s3, 0, v3
	s_delay_alu instid0(VALU_DEP_2) | instskip(SKIP_1) | instid1(SALU_CYCLE_1)
	v_cmp_eq_u32_e32 vcc_lo, 0, v32
	s_and_b32 s4, s3, vcc_lo
	s_and_saveexec_b32 s3, s4
	s_cbranch_execz .LBB2642_35
; %bb.34:
	s_wait_dscnt 0x0
	v_bcnt_u32_b32 v3, v3, v31
	ds_store_b32 v13, v3 offset:64
.LBB2642_35:
	s_or_b32 exec_lo, exec_lo, s3
	v_lshrrev_b32_e32 v3, s16, v18
	; wave barrier
	s_delay_alu instid0(VALU_DEP_1) | instskip(NEXT) | instid1(VALU_DEP_1)
	v_and_b32_e32 v4, s26, v3
	v_lshlrev_b32_e32 v6, 30, v4
	v_bitop3_b32 v3, v3, 1, s26 bitop3:0x80
	s_delay_alu instid0(VALU_DEP_1) | instskip(NEXT) | instid1(VALU_DEP_1)
	v_add_co_u32 v3, s3, v3, -1
	v_cndmask_b32_e64 v5, 0, 1, s3
	s_delay_alu instid0(VALU_DEP_4) | instskip(NEXT) | instid1(VALU_DEP_2)
	v_cmp_gt_i32_e64 s3, 0, v6
	v_cmp_ne_u32_e32 vcc_lo, 0, v5
	v_not_b32_e32 v5, v6
	s_delay_alu instid0(VALU_DEP_1) | instskip(SKIP_3) | instid1(VALU_DEP_4)
	v_dual_ashrrev_i32 v5, 31, v5 :: v_dual_lshlrev_b32 v7, 29, v4
	v_dual_lshlrev_b32 v8, 28, v4 :: v_dual_lshlrev_b32 v9, 27, v4
	v_lshlrev_b32_e32 v33, 26, v4
	v_mad_u32 v37, 0x44, v4, v2
	v_cmp_gt_i32_e64 s4, 0, v7
	v_not_b32_e32 v6, v7
	v_not_b32_e32 v7, v8
	v_cmp_gt_i32_e64 s5, 0, v8
	v_xor_b32_e32 v3, vcc_lo, v3
	s_delay_alu instid0(VALU_DEP_4) | instskip(NEXT) | instid1(VALU_DEP_4)
	v_dual_ashrrev_i32 v6, 31, v6 :: v_dual_bitop2_b32 v5, s3, v5 bitop3:0x14
	v_dual_ashrrev_i32 v7, 31, v7 :: v_dual_lshlrev_b32 v34, 25, v4
	v_lshlrev_b32_e32 v4, 24, v4
	v_not_b32_e32 v8, v9
	v_not_b32_e32 v35, v33
	v_xor_b32_e32 v6, s4, v6
	v_xor_b32_e32 v7, s5, v7
	v_bitop3_b32 v3, v3, v5, exec_lo bitop3:0x80
	v_cmp_gt_i32_e32 vcc_lo, 0, v9
	v_ashrrev_i32_e32 v5, 31, v8
	v_cmp_gt_i32_e64 s3, 0, v33
	v_ashrrev_i32_e32 v8, 31, v35
	v_bitop3_b32 v3, v3, v7, v6 bitop3:0x80
	v_not_b32_e32 v6, v34
	v_not_b32_e32 v7, v4
	v_xor_b32_e32 v5, vcc_lo, v5
	v_xor_b32_e32 v8, s3, v8
	v_cmp_gt_i32_e32 vcc_lo, 0, v34
	v_ashrrev_i32_e32 v6, 31, v6
	v_cmp_gt_i32_e64 s3, 0, v4
	v_ashrrev_i32_e32 v4, 31, v7
	v_bitop3_b32 v3, v3, v8, v5 bitop3:0x80
	ds_load_b32 v33, v37 offset:64
	v_xor_b32_e32 v5, vcc_lo, v6
	v_xor_b32_e32 v4, s3, v4
	; wave barrier
	s_delay_alu instid0(VALU_DEP_1) | instskip(NEXT) | instid1(VALU_DEP_1)
	v_bitop3_b32 v3, v3, v4, v5 bitop3:0x80
	v_mbcnt_lo_u32_b32 v34, v3, 0
	v_cmp_ne_u32_e64 s3, 0, v3
	s_delay_alu instid0(VALU_DEP_2) | instskip(SKIP_1) | instid1(SALU_CYCLE_1)
	v_cmp_eq_u32_e32 vcc_lo, 0, v34
	s_and_b32 s4, s3, vcc_lo
	s_and_saveexec_b32 s3, s4
	s_cbranch_execz .LBB2642_37
; %bb.36:
	s_wait_dscnt 0x0
	v_bcnt_u32_b32 v3, v3, v33
	ds_store_b32 v37, v3 offset:64
.LBB2642_37:
	s_or_b32 exec_lo, exec_lo, s3
	v_lshrrev_b32_e32 v3, s16, v21
	; wave barrier
	s_delay_alu instid0(VALU_DEP_1) | instskip(NEXT) | instid1(VALU_DEP_1)
	v_and_b32_e32 v4, s26, v3
	v_lshlrev_b32_e32 v6, 30, v4
	v_bitop3_b32 v3, v3, 1, s26 bitop3:0x80
	s_delay_alu instid0(VALU_DEP_1) | instskip(NEXT) | instid1(VALU_DEP_1)
	v_add_co_u32 v3, s3, v3, -1
	v_cndmask_b32_e64 v5, 0, 1, s3
	s_delay_alu instid0(VALU_DEP_4) | instskip(NEXT) | instid1(VALU_DEP_2)
	v_cmp_gt_i32_e64 s3, 0, v6
	v_cmp_ne_u32_e32 vcc_lo, 0, v5
	v_not_b32_e32 v5, v6
	s_delay_alu instid0(VALU_DEP_1) | instskip(SKIP_3) | instid1(VALU_DEP_4)
	v_dual_ashrrev_i32 v5, 31, v5 :: v_dual_lshlrev_b32 v7, 29, v4
	v_dual_lshlrev_b32 v8, 28, v4 :: v_dual_lshlrev_b32 v9, 27, v4
	v_lshlrev_b32_e32 v35, 26, v4
	v_mad_u32 v40, 0x44, v4, v2
	v_cmp_gt_i32_e64 s4, 0, v7
	v_not_b32_e32 v6, v7
	v_not_b32_e32 v7, v8
	v_cmp_gt_i32_e64 s5, 0, v8
	v_xor_b32_e32 v3, vcc_lo, v3
	s_delay_alu instid0(VALU_DEP_4) | instskip(NEXT) | instid1(VALU_DEP_4)
	v_dual_ashrrev_i32 v6, 31, v6 :: v_dual_bitop2_b32 v5, s3, v5 bitop3:0x14
	v_dual_ashrrev_i32 v7, 31, v7 :: v_dual_lshlrev_b32 v36, 25, v4
	v_lshlrev_b32_e32 v4, 24, v4
	v_not_b32_e32 v8, v9
	v_not_b32_e32 v38, v35
	v_xor_b32_e32 v6, s4, v6
	v_xor_b32_e32 v7, s5, v7
	v_bitop3_b32 v3, v3, v5, exec_lo bitop3:0x80
	v_cmp_gt_i32_e32 vcc_lo, 0, v9
	v_ashrrev_i32_e32 v5, 31, v8
	v_cmp_gt_i32_e64 s3, 0, v35
	v_ashrrev_i32_e32 v8, 31, v38
	v_bitop3_b32 v3, v3, v7, v6 bitop3:0x80
	v_not_b32_e32 v6, v36
	v_not_b32_e32 v7, v4
	v_xor_b32_e32 v5, vcc_lo, v5
	v_xor_b32_e32 v8, s3, v8
	v_cmp_gt_i32_e32 vcc_lo, 0, v36
	v_ashrrev_i32_e32 v6, 31, v6
	v_cmp_gt_i32_e64 s3, 0, v4
	v_ashrrev_i32_e32 v4, 31, v7
	v_bitop3_b32 v3, v3, v8, v5 bitop3:0x80
	ds_load_b32 v35, v40 offset:64
	v_xor_b32_e32 v5, vcc_lo, v6
	v_xor_b32_e32 v4, s3, v4
	; wave barrier
	s_delay_alu instid0(VALU_DEP_1) | instskip(NEXT) | instid1(VALU_DEP_1)
	v_bitop3_b32 v3, v3, v4, v5 bitop3:0x80
	v_mbcnt_lo_u32_b32 v36, v3, 0
	v_cmp_ne_u32_e64 s3, 0, v3
	s_delay_alu instid0(VALU_DEP_2) | instskip(SKIP_1) | instid1(SALU_CYCLE_1)
	v_cmp_eq_u32_e32 vcc_lo, 0, v36
	s_and_b32 s4, s3, vcc_lo
	s_and_saveexec_b32 s3, s4
	s_cbranch_execz .LBB2642_39
; %bb.38:
	s_wait_dscnt 0x0
	v_bcnt_u32_b32 v3, v3, v35
	ds_store_b32 v40, v3 offset:64
.LBB2642_39:
	s_or_b32 exec_lo, exec_lo, s3
	v_lshrrev_b32_e32 v3, s16, v20
	; wave barrier
	s_delay_alu instid0(VALU_DEP_1) | instskip(SKIP_1) | instid1(VALU_DEP_2)
	v_and_b32_e32 v4, s26, v3
	v_bitop3_b32 v3, v3, 1, s26 bitop3:0x80
	v_dual_lshlrev_b32 v6, 30, v4 :: v_dual_lshlrev_b32 v7, 29, v4
	s_delay_alu instid0(VALU_DEP_2) | instskip(NEXT) | instid1(VALU_DEP_1)
	v_add_co_u32 v3, s3, v3, -1
	v_cndmask_b32_e64 v5, 0, 1, s3
	s_delay_alu instid0(VALU_DEP_3) | instskip(NEXT) | instid1(VALU_DEP_4)
	v_cmp_gt_i32_e64 s3, 0, v6
	v_cmp_gt_i32_e64 s4, 0, v7
	s_delay_alu instid0(VALU_DEP_3) | instskip(SKIP_2) | instid1(VALU_DEP_2)
	v_cmp_ne_u32_e32 vcc_lo, 0, v5
	v_not_b32_e32 v5, v6
	v_not_b32_e32 v6, v7
	v_dual_ashrrev_i32 v5, 31, v5 :: v_dual_bitop2_b32 v3, vcc_lo, v3 bitop3:0x14
	s_delay_alu instid0(VALU_DEP_2) | instskip(SKIP_3) | instid1(VALU_DEP_4)
	v_dual_ashrrev_i32 v6, 31, v6 :: v_dual_lshlrev_b32 v8, 28, v4
	v_lshlrev_b32_e32 v9, 27, v4
	v_mad_u32 v43, 0x44, v4, v2
	v_dual_lshlrev_b32 v38, 26, v4 :: v_dual_lshlrev_b32 v39, 25, v4
	v_not_b32_e32 v7, v8
	v_lshlrev_b32_e32 v4, 24, v4
	v_cmp_gt_i32_e64 s5, 0, v8
	v_xor_b32_e32 v5, s3, v5
	v_not_b32_e32 v8, v9
	v_ashrrev_i32_e32 v7, 31, v7
	v_not_b32_e32 v41, v38
	v_xor_b32_e32 v6, s4, v6
	v_bitop3_b32 v3, v3, v5, exec_lo bitop3:0x80
	v_cmp_gt_i32_e32 vcc_lo, 0, v9
	v_dual_ashrrev_i32 v5, 31, v8 :: v_dual_bitop2_b32 v7, s5, v7 bitop3:0x14
	v_cmp_gt_i32_e64 s3, 0, v38
	v_ashrrev_i32_e32 v8, 31, v41
	ds_load_b32 v38, v43 offset:64
	v_bitop3_b32 v3, v3, v7, v6 bitop3:0x80
	v_not_b32_e32 v6, v39
	v_not_b32_e32 v7, v4
	v_xor_b32_e32 v5, vcc_lo, v5
	v_xor_b32_e32 v8, s3, v8
	v_cmp_gt_i32_e32 vcc_lo, 0, v39
	v_ashrrev_i32_e32 v6, 31, v6
	v_cmp_gt_i32_e64 s3, 0, v4
	v_ashrrev_i32_e32 v4, 31, v7
	v_bitop3_b32 v3, v3, v8, v5 bitop3:0x80
	s_delay_alu instid0(VALU_DEP_4) | instskip(NEXT) | instid1(VALU_DEP_3)
	v_xor_b32_e32 v5, vcc_lo, v6
	; wave barrier
	v_xor_b32_e32 v4, s3, v4
	s_delay_alu instid0(VALU_DEP_1) | instskip(NEXT) | instid1(VALU_DEP_1)
	v_bitop3_b32 v3, v3, v4, v5 bitop3:0x80
	v_mbcnt_lo_u32_b32 v39, v3, 0
	v_cmp_ne_u32_e64 s3, 0, v3
	s_delay_alu instid0(VALU_DEP_2) | instskip(SKIP_1) | instid1(SALU_CYCLE_1)
	v_cmp_eq_u32_e32 vcc_lo, 0, v39
	s_and_b32 s4, s3, vcc_lo
	s_and_saveexec_b32 s3, s4
	s_cbranch_execz .LBB2642_41
; %bb.40:
	s_wait_dscnt 0x0
	v_bcnt_u32_b32 v3, v3, v38
	ds_store_b32 v43, v3 offset:64
.LBB2642_41:
	s_or_b32 exec_lo, exec_lo, s3
	v_lshrrev_b32_e32 v3, s16, v23
	; wave barrier
	s_delay_alu instid0(VALU_DEP_1) | instskip(NEXT) | instid1(VALU_DEP_1)
	v_and_b32_e32 v4, s26, v3
	v_lshlrev_b32_e32 v6, 30, v4
	v_bitop3_b32 v3, v3, 1, s26 bitop3:0x80
	s_delay_alu instid0(VALU_DEP_1) | instskip(NEXT) | instid1(VALU_DEP_1)
	v_add_co_u32 v3, s3, v3, -1
	v_cndmask_b32_e64 v5, 0, 1, s3
	s_delay_alu instid0(VALU_DEP_4) | instskip(NEXT) | instid1(VALU_DEP_2)
	v_cmp_gt_i32_e64 s3, 0, v6
	v_cmp_ne_u32_e32 vcc_lo, 0, v5
	v_not_b32_e32 v5, v6
	s_delay_alu instid0(VALU_DEP_1) | instskip(SKIP_3) | instid1(VALU_DEP_4)
	v_dual_ashrrev_i32 v5, 31, v5 :: v_dual_lshlrev_b32 v7, 29, v4
	v_dual_lshlrev_b32 v8, 28, v4 :: v_dual_lshlrev_b32 v9, 27, v4
	v_lshlrev_b32_e32 v41, 26, v4
	v_mad_u32 v46, 0x44, v4, v2
	v_cmp_gt_i32_e64 s4, 0, v7
	v_not_b32_e32 v6, v7
	v_not_b32_e32 v7, v8
	v_cmp_gt_i32_e64 s5, 0, v8
	v_xor_b32_e32 v3, vcc_lo, v3
	s_delay_alu instid0(VALU_DEP_4) | instskip(NEXT) | instid1(VALU_DEP_4)
	v_dual_ashrrev_i32 v6, 31, v6 :: v_dual_bitop2_b32 v5, s3, v5 bitop3:0x14
	v_dual_ashrrev_i32 v7, 31, v7 :: v_dual_lshlrev_b32 v42, 25, v4
	v_lshlrev_b32_e32 v4, 24, v4
	v_not_b32_e32 v8, v9
	v_not_b32_e32 v44, v41
	v_xor_b32_e32 v6, s4, v6
	v_xor_b32_e32 v7, s5, v7
	v_bitop3_b32 v3, v3, v5, exec_lo bitop3:0x80
	v_cmp_gt_i32_e32 vcc_lo, 0, v9
	v_ashrrev_i32_e32 v5, 31, v8
	v_cmp_gt_i32_e64 s3, 0, v41
	v_ashrrev_i32_e32 v8, 31, v44
	v_bitop3_b32 v3, v3, v7, v6 bitop3:0x80
	v_not_b32_e32 v6, v42
	v_not_b32_e32 v7, v4
	v_xor_b32_e32 v5, vcc_lo, v5
	v_xor_b32_e32 v8, s3, v8
	v_cmp_gt_i32_e32 vcc_lo, 0, v42
	v_ashrrev_i32_e32 v6, 31, v6
	v_cmp_gt_i32_e64 s3, 0, v4
	v_ashrrev_i32_e32 v4, 31, v7
	v_bitop3_b32 v3, v3, v8, v5 bitop3:0x80
	ds_load_b32 v41, v46 offset:64
	v_xor_b32_e32 v5, vcc_lo, v6
	v_xor_b32_e32 v4, s3, v4
	; wave barrier
	s_delay_alu instid0(VALU_DEP_1) | instskip(NEXT) | instid1(VALU_DEP_1)
	v_bitop3_b32 v3, v3, v4, v5 bitop3:0x80
	v_mbcnt_lo_u32_b32 v42, v3, 0
	v_cmp_ne_u32_e64 s3, 0, v3
	s_delay_alu instid0(VALU_DEP_2) | instskip(SKIP_1) | instid1(SALU_CYCLE_1)
	v_cmp_eq_u32_e32 vcc_lo, 0, v42
	s_and_b32 s4, s3, vcc_lo
	s_and_saveexec_b32 s3, s4
	s_cbranch_execz .LBB2642_43
; %bb.42:
	s_wait_dscnt 0x0
	v_bcnt_u32_b32 v3, v3, v41
	ds_store_b32 v46, v3 offset:64
.LBB2642_43:
	s_or_b32 exec_lo, exec_lo, s3
	v_lshrrev_b32_e32 v3, s16, v22
	; wave barrier
	s_delay_alu instid0(VALU_DEP_1) | instskip(NEXT) | instid1(VALU_DEP_1)
	v_and_b32_e32 v4, s26, v3
	v_lshlrev_b32_e32 v6, 30, v4
	v_bitop3_b32 v3, v3, 1, s26 bitop3:0x80
	s_delay_alu instid0(VALU_DEP_1) | instskip(NEXT) | instid1(VALU_DEP_1)
	v_add_co_u32 v3, s3, v3, -1
	v_cndmask_b32_e64 v5, 0, 1, s3
	s_delay_alu instid0(VALU_DEP_4) | instskip(NEXT) | instid1(VALU_DEP_2)
	v_cmp_gt_i32_e64 s3, 0, v6
	v_cmp_ne_u32_e32 vcc_lo, 0, v5
	v_not_b32_e32 v5, v6
	s_delay_alu instid0(VALU_DEP_1) | instskip(SKIP_3) | instid1(VALU_DEP_4)
	v_dual_ashrrev_i32 v5, 31, v5 :: v_dual_lshlrev_b32 v7, 29, v4
	v_dual_lshlrev_b32 v8, 28, v4 :: v_dual_lshlrev_b32 v9, 27, v4
	v_lshlrev_b32_e32 v44, 26, v4
	v_mad_u32 v49, 0x44, v4, v2
	v_cmp_gt_i32_e64 s4, 0, v7
	v_not_b32_e32 v6, v7
	v_not_b32_e32 v7, v8
	v_cmp_gt_i32_e64 s5, 0, v8
	v_xor_b32_e32 v3, vcc_lo, v3
	s_delay_alu instid0(VALU_DEP_4) | instskip(NEXT) | instid1(VALU_DEP_4)
	v_dual_ashrrev_i32 v6, 31, v6 :: v_dual_bitop2_b32 v5, s3, v5 bitop3:0x14
	v_dual_ashrrev_i32 v7, 31, v7 :: v_dual_lshlrev_b32 v45, 25, v4
	v_lshlrev_b32_e32 v4, 24, v4
	v_not_b32_e32 v8, v9
	v_not_b32_e32 v47, v44
	v_xor_b32_e32 v6, s4, v6
	v_xor_b32_e32 v7, s5, v7
	v_bitop3_b32 v3, v3, v5, exec_lo bitop3:0x80
	v_cmp_gt_i32_e32 vcc_lo, 0, v9
	v_ashrrev_i32_e32 v5, 31, v8
	v_cmp_gt_i32_e64 s3, 0, v44
	v_ashrrev_i32_e32 v8, 31, v47
	v_bitop3_b32 v3, v3, v7, v6 bitop3:0x80
	v_not_b32_e32 v6, v45
	v_not_b32_e32 v7, v4
	v_xor_b32_e32 v5, vcc_lo, v5
	v_xor_b32_e32 v8, s3, v8
	v_cmp_gt_i32_e32 vcc_lo, 0, v45
	v_ashrrev_i32_e32 v6, 31, v6
	v_cmp_gt_i32_e64 s3, 0, v4
	v_ashrrev_i32_e32 v4, 31, v7
	v_bitop3_b32 v3, v3, v8, v5 bitop3:0x80
	ds_load_b32 v44, v49 offset:64
	v_xor_b32_e32 v5, vcc_lo, v6
	v_xor_b32_e32 v4, s3, v4
	; wave barrier
	s_delay_alu instid0(VALU_DEP_1) | instskip(NEXT) | instid1(VALU_DEP_1)
	v_bitop3_b32 v3, v3, v4, v5 bitop3:0x80
	v_mbcnt_lo_u32_b32 v45, v3, 0
	v_cmp_ne_u32_e64 s3, 0, v3
	s_delay_alu instid0(VALU_DEP_2) | instskip(SKIP_1) | instid1(SALU_CYCLE_1)
	v_cmp_eq_u32_e32 vcc_lo, 0, v45
	s_and_b32 s4, s3, vcc_lo
	s_and_saveexec_b32 s3, s4
	s_cbranch_execz .LBB2642_45
; %bb.44:
	s_wait_dscnt 0x0
	v_bcnt_u32_b32 v3, v3, v44
	ds_store_b32 v49, v3 offset:64
.LBB2642_45:
	s_or_b32 exec_lo, exec_lo, s3
	v_lshrrev_b32_e32 v3, s16, v25
	; wave barrier
	s_delay_alu instid0(VALU_DEP_1) | instskip(NEXT) | instid1(VALU_DEP_1)
	v_and_b32_e32 v4, s26, v3
	v_lshlrev_b32_e32 v6, 30, v4
	v_bitop3_b32 v3, v3, 1, s26 bitop3:0x80
	s_delay_alu instid0(VALU_DEP_1) | instskip(NEXT) | instid1(VALU_DEP_1)
	v_add_co_u32 v3, s3, v3, -1
	v_cndmask_b32_e64 v5, 0, 1, s3
	s_delay_alu instid0(VALU_DEP_4) | instskip(NEXT) | instid1(VALU_DEP_2)
	v_cmp_gt_i32_e64 s3, 0, v6
	v_cmp_ne_u32_e32 vcc_lo, 0, v5
	v_not_b32_e32 v5, v6
	s_delay_alu instid0(VALU_DEP_1) | instskip(SKIP_3) | instid1(VALU_DEP_4)
	v_dual_ashrrev_i32 v5, 31, v5 :: v_dual_lshlrev_b32 v7, 29, v4
	v_dual_lshlrev_b32 v8, 28, v4 :: v_dual_lshlrev_b32 v9, 27, v4
	v_lshlrev_b32_e32 v47, 26, v4
	v_mad_u32 v52, 0x44, v4, v2
	v_cmp_gt_i32_e64 s4, 0, v7
	v_not_b32_e32 v6, v7
	v_not_b32_e32 v7, v8
	v_cmp_gt_i32_e64 s5, 0, v8
	v_xor_b32_e32 v3, vcc_lo, v3
	s_delay_alu instid0(VALU_DEP_4) | instskip(NEXT) | instid1(VALU_DEP_4)
	v_dual_ashrrev_i32 v6, 31, v6 :: v_dual_bitop2_b32 v5, s3, v5 bitop3:0x14
	v_dual_ashrrev_i32 v7, 31, v7 :: v_dual_lshlrev_b32 v48, 25, v4
	v_lshlrev_b32_e32 v4, 24, v4
	v_not_b32_e32 v8, v9
	v_not_b32_e32 v50, v47
	v_xor_b32_e32 v6, s4, v6
	v_xor_b32_e32 v7, s5, v7
	v_bitop3_b32 v3, v3, v5, exec_lo bitop3:0x80
	v_cmp_gt_i32_e32 vcc_lo, 0, v9
	v_ashrrev_i32_e32 v5, 31, v8
	v_cmp_gt_i32_e64 s3, 0, v47
	v_ashrrev_i32_e32 v8, 31, v50
	v_bitop3_b32 v3, v3, v7, v6 bitop3:0x80
	v_not_b32_e32 v6, v48
	v_not_b32_e32 v7, v4
	v_xor_b32_e32 v5, vcc_lo, v5
	v_xor_b32_e32 v8, s3, v8
	v_cmp_gt_i32_e32 vcc_lo, 0, v48
	v_ashrrev_i32_e32 v6, 31, v6
	v_cmp_gt_i32_e64 s3, 0, v4
	v_ashrrev_i32_e32 v4, 31, v7
	v_bitop3_b32 v3, v3, v8, v5 bitop3:0x80
	ds_load_b32 v47, v52 offset:64
	v_xor_b32_e32 v5, vcc_lo, v6
	v_xor_b32_e32 v4, s3, v4
	; wave barrier
	s_delay_alu instid0(VALU_DEP_1) | instskip(NEXT) | instid1(VALU_DEP_1)
	v_bitop3_b32 v3, v3, v4, v5 bitop3:0x80
	v_mbcnt_lo_u32_b32 v48, v3, 0
	v_cmp_ne_u32_e64 s3, 0, v3
	s_delay_alu instid0(VALU_DEP_2) | instskip(SKIP_1) | instid1(SALU_CYCLE_1)
	v_cmp_eq_u32_e32 vcc_lo, 0, v48
	s_and_b32 s4, s3, vcc_lo
	s_and_saveexec_b32 s3, s4
	s_cbranch_execz .LBB2642_47
; %bb.46:
	s_wait_dscnt 0x0
	v_bcnt_u32_b32 v3, v3, v47
	ds_store_b32 v52, v3 offset:64
.LBB2642_47:
	s_or_b32 exec_lo, exec_lo, s3
	v_lshrrev_b32_e32 v3, s16, v24
	; wave barrier
	s_delay_alu instid0(VALU_DEP_1) | instskip(SKIP_1) | instid1(VALU_DEP_2)
	v_and_b32_e32 v4, s26, v3
	v_bitop3_b32 v3, v3, 1, s26 bitop3:0x80
	v_dual_lshlrev_b32 v6, 30, v4 :: v_dual_lshlrev_b32 v7, 29, v4
	s_delay_alu instid0(VALU_DEP_2) | instskip(NEXT) | instid1(VALU_DEP_1)
	v_add_co_u32 v3, s3, v3, -1
	v_cndmask_b32_e64 v5, 0, 1, s3
	s_delay_alu instid0(VALU_DEP_3) | instskip(NEXT) | instid1(VALU_DEP_4)
	v_cmp_gt_i32_e64 s3, 0, v6
	v_cmp_gt_i32_e64 s4, 0, v7
	s_delay_alu instid0(VALU_DEP_3) | instskip(SKIP_2) | instid1(VALU_DEP_2)
	v_cmp_ne_u32_e32 vcc_lo, 0, v5
	v_not_b32_e32 v5, v6
	v_not_b32_e32 v6, v7
	v_dual_ashrrev_i32 v5, 31, v5 :: v_dual_bitop2_b32 v3, vcc_lo, v3 bitop3:0x14
	s_delay_alu instid0(VALU_DEP_2) | instskip(SKIP_3) | instid1(VALU_DEP_4)
	v_dual_ashrrev_i32 v6, 31, v6 :: v_dual_lshlrev_b32 v8, 28, v4
	v_lshlrev_b32_e32 v9, 27, v4
	v_mad_u32 v53, 0x44, v4, v2
	v_dual_lshlrev_b32 v50, 26, v4 :: v_dual_lshlrev_b32 v51, 25, v4
	v_not_b32_e32 v7, v8
	v_lshlrev_b32_e32 v4, 24, v4
	v_cmp_gt_i32_e64 s5, 0, v8
	v_xor_b32_e32 v5, s3, v5
	v_not_b32_e32 v8, v9
	v_ashrrev_i32_e32 v7, 31, v7
	v_not_b32_e32 v54, v50
	v_xor_b32_e32 v6, s4, v6
	v_bitop3_b32 v3, v3, v5, exec_lo bitop3:0x80
	v_cmp_gt_i32_e32 vcc_lo, 0, v9
	v_dual_ashrrev_i32 v5, 31, v8 :: v_dual_bitop2_b32 v7, s5, v7 bitop3:0x14
	v_cmp_gt_i32_e64 s3, 0, v50
	v_ashrrev_i32_e32 v8, 31, v54
	ds_load_b32 v50, v53 offset:64
	v_bitop3_b32 v3, v3, v7, v6 bitop3:0x80
	v_not_b32_e32 v6, v51
	v_not_b32_e32 v7, v4
	v_xor_b32_e32 v5, vcc_lo, v5
	v_xor_b32_e32 v8, s3, v8
	v_cmp_gt_i32_e32 vcc_lo, 0, v51
	v_ashrrev_i32_e32 v6, 31, v6
	v_cmp_gt_i32_e64 s3, 0, v4
	v_ashrrev_i32_e32 v4, 31, v7
	v_bitop3_b32 v3, v3, v8, v5 bitop3:0x80
	s_delay_alu instid0(VALU_DEP_4) | instskip(NEXT) | instid1(VALU_DEP_3)
	v_xor_b32_e32 v5, vcc_lo, v6
	; wave barrier
	v_xor_b32_e32 v4, s3, v4
	s_delay_alu instid0(VALU_DEP_1) | instskip(NEXT) | instid1(VALU_DEP_1)
	v_bitop3_b32 v3, v3, v4, v5 bitop3:0x80
	v_mbcnt_lo_u32_b32 v51, v3, 0
	v_cmp_ne_u32_e64 s3, 0, v3
	s_delay_alu instid0(VALU_DEP_2) | instskip(SKIP_1) | instid1(SALU_CYCLE_1)
	v_cmp_eq_u32_e32 vcc_lo, 0, v51
	s_and_b32 s4, s3, vcc_lo
	s_and_saveexec_b32 s3, s4
	s_cbranch_execz .LBB2642_49
; %bb.48:
	s_wait_dscnt 0x0
	v_bcnt_u32_b32 v3, v3, v50
	ds_store_b32 v53, v3 offset:64
.LBB2642_49:
	s_or_b32 exec_lo, exec_lo, s3
	v_lshrrev_b32_e32 v3, s16, v27
	; wave barrier
	s_delay_alu instid0(VALU_DEP_1) | instskip(NEXT) | instid1(VALU_DEP_1)
	v_and_b32_e32 v4, s26, v3
	v_lshlrev_b32_e32 v6, 30, v4
	v_bitop3_b32 v3, v3, 1, s26 bitop3:0x80
	s_delay_alu instid0(VALU_DEP_1) | instskip(NEXT) | instid1(VALU_DEP_1)
	v_add_co_u32 v3, s3, v3, -1
	v_cndmask_b32_e64 v5, 0, 1, s3
	s_delay_alu instid0(VALU_DEP_4) | instskip(NEXT) | instid1(VALU_DEP_2)
	v_cmp_gt_i32_e64 s3, 0, v6
	v_cmp_ne_u32_e32 vcc_lo, 0, v5
	v_not_b32_e32 v5, v6
	s_delay_alu instid0(VALU_DEP_1) | instskip(SKIP_3) | instid1(VALU_DEP_4)
	v_dual_ashrrev_i32 v5, 31, v5 :: v_dual_lshlrev_b32 v7, 29, v4
	v_dual_lshlrev_b32 v8, 28, v4 :: v_dual_lshlrev_b32 v9, 27, v4
	v_lshlrev_b32_e32 v54, 26, v4
	v_mad_u32 v56, 0x44, v4, v2
	v_cmp_gt_i32_e64 s4, 0, v7
	v_not_b32_e32 v6, v7
	v_not_b32_e32 v7, v8
	v_cmp_gt_i32_e64 s5, 0, v8
	v_xor_b32_e32 v3, vcc_lo, v3
	s_delay_alu instid0(VALU_DEP_4) | instskip(NEXT) | instid1(VALU_DEP_4)
	v_dual_ashrrev_i32 v6, 31, v6 :: v_dual_bitop2_b32 v5, s3, v5 bitop3:0x14
	v_dual_ashrrev_i32 v7, 31, v7 :: v_dual_lshlrev_b32 v55, 25, v4
	v_lshlrev_b32_e32 v4, 24, v4
	v_not_b32_e32 v8, v9
	v_not_b32_e32 v57, v54
	v_xor_b32_e32 v6, s4, v6
	v_xor_b32_e32 v7, s5, v7
	v_bitop3_b32 v3, v3, v5, exec_lo bitop3:0x80
	v_cmp_gt_i32_e32 vcc_lo, 0, v9
	v_ashrrev_i32_e32 v5, 31, v8
	v_cmp_gt_i32_e64 s3, 0, v54
	v_ashrrev_i32_e32 v8, 31, v57
	v_bitop3_b32 v3, v3, v7, v6 bitop3:0x80
	v_not_b32_e32 v6, v55
	v_not_b32_e32 v7, v4
	v_xor_b32_e32 v5, vcc_lo, v5
	v_xor_b32_e32 v8, s3, v8
	v_cmp_gt_i32_e32 vcc_lo, 0, v55
	v_ashrrev_i32_e32 v6, 31, v6
	v_cmp_gt_i32_e64 s3, 0, v4
	v_ashrrev_i32_e32 v4, 31, v7
	v_bitop3_b32 v3, v3, v8, v5 bitop3:0x80
	ds_load_b32 v54, v56 offset:64
	v_xor_b32_e32 v5, vcc_lo, v6
	v_xor_b32_e32 v4, s3, v4
	; wave barrier
	s_delay_alu instid0(VALU_DEP_1) | instskip(NEXT) | instid1(VALU_DEP_1)
	v_bitop3_b32 v3, v3, v4, v5 bitop3:0x80
	v_mbcnt_lo_u32_b32 v55, v3, 0
	v_cmp_ne_u32_e64 s3, 0, v3
	s_delay_alu instid0(VALU_DEP_2) | instskip(SKIP_1) | instid1(SALU_CYCLE_1)
	v_cmp_eq_u32_e32 vcc_lo, 0, v55
	s_and_b32 s4, s3, vcc_lo
	s_and_saveexec_b32 s3, s4
	s_cbranch_execz .LBB2642_51
; %bb.50:
	s_wait_dscnt 0x0
	v_bcnt_u32_b32 v3, v3, v54
	ds_store_b32 v56, v3 offset:64
.LBB2642_51:
	s_or_b32 exec_lo, exec_lo, s3
	v_lshrrev_b32_e32 v3, s16, v26
	; wave barrier
	s_delay_alu instid0(VALU_DEP_1) | instskip(NEXT) | instid1(VALU_DEP_1)
	v_and_b32_e32 v4, s26, v3
	v_lshlrev_b32_e32 v5, 30, v4
	v_bitop3_b32 v3, v3, 1, s26 bitop3:0x80
	v_mad_u32 v59, 0x44, v4, v2
	s_delay_alu instid0(VALU_DEP_2) | instskip(NEXT) | instid1(VALU_DEP_1)
	v_add_co_u32 v2, s3, v3, -1
	v_cndmask_b32_e64 v3, 0, 1, s3
	v_cmp_gt_i32_e64 s3, 0, v5
	s_delay_alu instid0(VALU_DEP_2) | instskip(SKIP_1) | instid1(VALU_DEP_1)
	v_cmp_ne_u32_e32 vcc_lo, 0, v3
	v_not_b32_e32 v3, v5
	v_dual_ashrrev_i32 v3, 31, v3 :: v_dual_lshlrev_b32 v6, 29, v4
	v_dual_lshlrev_b32 v7, 28, v4 :: v_dual_lshlrev_b32 v8, 27, v4
	v_dual_lshlrev_b32 v9, 26, v4 :: v_dual_lshlrev_b32 v57, 25, v4
	v_lshlrev_b32_e32 v4, 24, v4
	s_delay_alu instid0(VALU_DEP_4) | instskip(SKIP_4) | instid1(VALU_DEP_4)
	v_cmp_gt_i32_e64 s4, 0, v6
	v_not_b32_e32 v5, v6
	v_not_b32_e32 v6, v7
	v_cmp_gt_i32_e64 s5, 0, v7
	v_xor_b32_e32 v2, vcc_lo, v2
	v_dual_ashrrev_i32 v5, 31, v5 :: v_dual_bitop2_b32 v3, s3, v3 bitop3:0x14
	s_delay_alu instid0(VALU_DEP_4) | instskip(SKIP_2) | instid1(VALU_DEP_4)
	v_ashrrev_i32_e32 v6, 31, v6
	v_not_b32_e32 v7, v8
	v_not_b32_e32 v58, v9
	v_bitop3_b32 v2, v2, v3, exec_lo bitop3:0x80
	v_xor_b32_e32 v5, s4, v5
	v_xor_b32_e32 v6, s5, v6
	v_cmp_gt_i32_e32 vcc_lo, 0, v8
	v_ashrrev_i32_e32 v3, 31, v7
	v_cmp_gt_i32_e64 s3, 0, v9
	v_ashrrev_i32_e32 v7, 31, v58
	v_bitop3_b32 v2, v2, v6, v5 bitop3:0x80
	v_not_b32_e32 v5, v57
	v_not_b32_e32 v6, v4
	v_xor_b32_e32 v3, vcc_lo, v3
	v_xor_b32_e32 v7, s3, v7
	v_cmp_gt_i32_e32 vcc_lo, 0, v57
	v_ashrrev_i32_e32 v5, 31, v5
	v_cmp_gt_i32_e64 s3, 0, v4
	v_ashrrev_i32_e32 v4, 31, v6
	v_bitop3_b32 v2, v2, v7, v3 bitop3:0x80
	ds_load_b32 v57, v59 offset:64
	v_xor_b32_e32 v3, vcc_lo, v5
	v_xor_b32_e32 v4, s3, v4
	; wave barrier
	s_delay_alu instid0(VALU_DEP_1) | instskip(NEXT) | instid1(VALU_DEP_1)
	v_bitop3_b32 v2, v2, v4, v3 bitop3:0x80
	v_mbcnt_lo_u32_b32 v58, v2, 0
	v_cmp_ne_u32_e64 s3, 0, v2
	s_delay_alu instid0(VALU_DEP_2) | instskip(SKIP_1) | instid1(SALU_CYCLE_1)
	v_cmp_eq_u32_e32 vcc_lo, 0, v58
	s_and_b32 s4, s3, vcc_lo
	s_and_saveexec_b32 s3, s4
	s_cbranch_execz .LBB2642_53
; %bb.52:
	s_wait_dscnt 0x0
	v_bcnt_u32_b32 v2, v2, v57
	ds_store_b32 v59, v2 offset:64
.LBB2642_53:
	s_or_b32 exec_lo, exec_lo, s3
	; wave barrier
	s_wait_dscnt 0x0
	s_barrier_signal -1
	s_barrier_wait -1
	ds_load_2addr_b32 v[8:9], v10 offset0:16 offset1:17
	ds_load_2addr_b32 v[6:7], v10 offset0:18 offset1:19
	;; [unrolled: 1-line block ×4, first 2 shown]
	ds_load_b32 v60, v10 offset:96
	v_min_u32_e32 v63, 0x1e0, v16
	s_mov_b32 s27, exec_lo
	s_wait_dscnt 0x3
	v_add3_u32 v61, v9, v8, v6
	s_wait_dscnt 0x2
	s_delay_alu instid0(VALU_DEP_1) | instskip(SKIP_1) | instid1(VALU_DEP_1)
	v_add3_u32 v61, v61, v7, v4
	s_wait_dscnt 0x1
	v_add3_u32 v61, v61, v5, v2
	s_wait_dscnt 0x0
	s_delay_alu instid0(VALU_DEP_1) | instskip(SKIP_1) | instid1(VALU_DEP_2)
	v_add3_u32 v60, v61, v3, v60
	v_and_b32_e32 v61, 15, v15
	v_mov_b32_dpp v62, v60 row_shr:1 row_mask:0xf bank_mask:0xf
	s_delay_alu instid0(VALU_DEP_2) | instskip(NEXT) | instid1(VALU_DEP_2)
	v_cmp_eq_u32_e32 vcc_lo, 0, v61
	v_cndmask_b32_e64 v62, v62, 0, vcc_lo
	s_delay_alu instid0(VALU_DEP_1) | instskip(SKIP_3) | instid1(VALU_DEP_4)
	v_add_nc_u32_e32 v60, v62, v60
	v_cmp_lt_u32_e64 s3, 1, v61
	v_cmp_lt_u32_e64 s4, 3, v61
	;; [unrolled: 1-line block ×3, first 2 shown]
	v_mov_b32_dpp v62, v60 row_shr:2 row_mask:0xf bank_mask:0xf
	s_delay_alu instid0(VALU_DEP_1) | instskip(NEXT) | instid1(VALU_DEP_1)
	v_cndmask_b32_e64 v62, 0, v62, s3
	v_add_nc_u32_e32 v60, v60, v62
	s_delay_alu instid0(VALU_DEP_1) | instskip(NEXT) | instid1(VALU_DEP_1)
	v_mov_b32_dpp v62, v60 row_shr:4 row_mask:0xf bank_mask:0xf
	v_cndmask_b32_e64 v62, 0, v62, s4
	s_delay_alu instid0(VALU_DEP_1) | instskip(NEXT) | instid1(VALU_DEP_1)
	v_add_nc_u32_e32 v60, v60, v62
	v_mov_b32_dpp v62, v60 row_shr:8 row_mask:0xf bank_mask:0xf
	s_delay_alu instid0(VALU_DEP_1) | instskip(SKIP_1) | instid1(VALU_DEP_2)
	v_cndmask_b32_e64 v61, 0, v62, s5
	v_bfe_i32 v62, v15, 4, 1
	v_add_nc_u32_e32 v60, v60, v61
	ds_swizzle_b32 v61, v60 offset:swizzle(BROADCAST,32,15)
	s_wait_dscnt 0x0
	v_dual_lshrrev_b32 v61, 5, v14 :: v_dual_bitop2_b32 v62, v62, v61 bitop3:0x40
	s_delay_alu instid0(VALU_DEP_1) | instskip(NEXT) | instid1(VALU_DEP_1)
	v_dual_add_nc_u32 v60, v60, v62 :: v_dual_bitop2_b32 v63, 31, v63 bitop3:0x54
	v_cmpx_eq_u32_e64 v14, v63
; %bb.54:
	s_delay_alu instid0(VALU_DEP_3)
	v_lshlrev_b32_e32 v62, 2, v61
	ds_store_b32 v62, v60
; %bb.55:
	s_or_b32 exec_lo, exec_lo, s27
	s_delay_alu instid0(SALU_CYCLE_1)
	s_mov_b32 s27, exec_lo
	s_wait_dscnt 0x0
	s_barrier_signal -1
	s_barrier_wait -1
	v_cmpx_gt_u32_e32 16, v14
	s_cbranch_execz .LBB2642_57
; %bb.56:
	v_lshlrev_b32_e32 v62, 2, v14
	ds_load_b32 v63, v62
	s_wait_dscnt 0x0
	v_mov_b32_dpp v64, v63 row_shr:1 row_mask:0xf bank_mask:0xf
	s_delay_alu instid0(VALU_DEP_1) | instskip(NEXT) | instid1(VALU_DEP_1)
	v_cndmask_b32_e64 v64, v64, 0, vcc_lo
	v_add_nc_u32_e32 v63, v64, v63
	s_delay_alu instid0(VALU_DEP_1) | instskip(NEXT) | instid1(VALU_DEP_1)
	v_mov_b32_dpp v64, v63 row_shr:2 row_mask:0xf bank_mask:0xf
	v_cndmask_b32_e64 v64, 0, v64, s3
	s_delay_alu instid0(VALU_DEP_1) | instskip(NEXT) | instid1(VALU_DEP_1)
	v_add_nc_u32_e32 v63, v63, v64
	v_mov_b32_dpp v64, v63 row_shr:4 row_mask:0xf bank_mask:0xf
	s_delay_alu instid0(VALU_DEP_1) | instskip(NEXT) | instid1(VALU_DEP_1)
	v_cndmask_b32_e64 v64, 0, v64, s4
	v_add_nc_u32_e32 v63, v63, v64
	s_delay_alu instid0(VALU_DEP_1) | instskip(NEXT) | instid1(VALU_DEP_1)
	v_mov_b32_dpp v64, v63 row_shr:8 row_mask:0xf bank_mask:0xf
	v_cndmask_b32_e64 v64, 0, v64, s5
	s_delay_alu instid0(VALU_DEP_1)
	v_add_nc_u32_e32 v63, v63, v64
	ds_store_b32 v62, v63
.LBB2642_57:
	s_or_b32 exec_lo, exec_lo, s27
	v_mov_b32_e32 v62, 0
	s_mov_b32 s3, exec_lo
	s_wait_dscnt 0x0
	s_barrier_signal -1
	s_barrier_wait -1
	v_cmpx_lt_u32_e32 31, v14
; %bb.58:
	v_lshl_add_u32 v61, v61, 2, -4
	ds_load_b32 v62, v61
; %bb.59:
	s_or_b32 exec_lo, exec_lo, s3
	v_sub_co_u32 v61, vcc_lo, v15, 1
	s_wait_dscnt 0x0
	v_add_nc_u32_e32 v60, v62, v60
	s_delay_alu instid0(VALU_DEP_2) | instskip(NEXT) | instid1(VALU_DEP_1)
	v_cmp_gt_i32_e64 s3, 0, v61
	v_cndmask_b32_e64 v61, v61, v15, s3
	v_cmp_lt_u32_e64 s3, 0xff, v14
	s_delay_alu instid0(VALU_DEP_2) | instskip(SKIP_4) | instid1(VALU_DEP_2)
	v_lshlrev_b32_e32 v61, 2, v61
	ds_bpermute_b32 v60, v61, v60
	s_wait_dscnt 0x0
	v_cndmask_b32_e32 v60, v60, v62, vcc_lo
	v_cmp_gt_u32_e32 vcc_lo, 0x100, v14
	v_cndmask_b32_e64 v60, v60, 0, s2
	s_delay_alu instid0(VALU_DEP_1) | instskip(NEXT) | instid1(VALU_DEP_1)
	v_add_nc_u32_e32 v8, v60, v8
	v_add_nc_u32_e32 v9, v8, v9
	s_delay_alu instid0(VALU_DEP_1) | instskip(NEXT) | instid1(VALU_DEP_1)
	v_add_nc_u32_e32 v6, v9, v6
	v_add_nc_u32_e32 v7, v6, v7
	;; [unrolled: 3-line block ×4, first 2 shown]
	ds_store_2addr_b32 v10, v60, v8 offset0:16 offset1:17
	ds_store_2addr_b32 v10, v9, v6 offset0:18 offset1:19
	ds_store_2addr_b32 v10, v7, v4 offset0:20 offset1:21
	ds_store_2addr_b32 v10, v5, v2 offset0:22 offset1:23
	ds_store_b32 v10, v3 offset:96
	s_wait_dscnt 0x0
	s_barrier_signal -1
	s_barrier_wait -1
	ds_load_b32 v63, v11 offset:64
	ds_load_b32 v60, v12 offset:64
	ds_load_b32 v61, v13 offset:64
	ds_load_b32 v62, v37 offset:64
	ds_load_b32 v40, v40 offset:64
	ds_load_b32 v37, v43 offset:64
	ds_load_b32 v43, v46 offset:64
	ds_load_b32 v46, v49 offset:64
	ds_load_b32 v49, v52 offset:64
	ds_load_b32 v52, v53 offset:64
	ds_load_b32 v53, v56 offset:64
	ds_load_b32 v56, v59 offset:64
	v_mov_b64_e32 v[2:3], 0
                                        ; implicit-def: $vgpr4
	s_and_saveexec_b32 s5, vcc_lo
	s_cbranch_execz .LBB2642_63
; %bb.60:
	v_mul_u32_u24_e32 v2, 0x44, v14
	v_dual_mov_b32 v3, 0x1800 :: v_dual_add_nc_u32 v4, 1, v14
	s_mov_b32 s6, exec_lo
	ds_load_b32 v2, v2 offset:64
	v_cmpx_ne_u32_e32 0x100, v4
; %bb.61:
	v_mul_u32_u24_e32 v3, 0x44, v4
	ds_load_b32 v3, v3 offset:64
; %bb.62:
	s_or_b32 exec_lo, exec_lo, s6
	s_wait_dscnt 0x0
	v_dual_mov_b32 v3, 0 :: v_dual_sub_nc_u32 v4, v3, v2
.LBB2642_63:
	s_or_b32 exec_lo, exec_lo, s5
	v_dual_mov_b32 v7, 0 :: v_dual_lshlrev_b32 v5, 3, v14
	s_wait_dscnt 0x0
	s_barrier_signal -1
	s_barrier_wait -1
	s_and_saveexec_b32 s4, vcc_lo
	s_cbranch_execz .LBB2642_73
; %bb.64:
	v_lshl_add_u32 v6, s19, 8, v14
	v_dual_mov_b32 v10, 0 :: v_dual_bitop2_b32 v11, 2.0, v4 bitop3:0x54
	s_mov_b32 s5, 0
	s_mov_b32 s6, s19
	s_delay_alu instid0(VALU_DEP_2)
	v_lshl_add_u64 v[8:9], v[6:7], 2, s[20:21]
	global_store_b32 v6, v11, s[20:21] scale_offset scope:SCOPE_DEV
                                        ; implicit-def: $sgpr27
	s_branch .LBB2642_67
.LBB2642_65:                            ;   in Loop: Header=BB2642_67 Depth=1
	s_or_b32 exec_lo, exec_lo, s28
.LBB2642_66:                            ;   in Loop: Header=BB2642_67 Depth=1
	s_delay_alu instid0(SALU_CYCLE_1) | instskip(SKIP_2) | instid1(VALU_DEP_2)
	s_or_b32 exec_lo, exec_lo, s27
	v_and_b32_e32 v6, 0x3fffffff, v11
	v_cmp_gt_i32_e64 s27, -2.0, v11
	v_add_nc_u32_e32 v10, v6, v10
	s_and_b32 s28, exec_lo, s27
	s_delay_alu instid0(SALU_CYCLE_1) | instskip(NEXT) | instid1(SALU_CYCLE_1)
	s_or_b32 s5, s28, s5
	s_and_not1_b32 exec_lo, exec_lo, s5
	s_cbranch_execz .LBB2642_72
.LBB2642_67:                            ; =>This Loop Header: Depth=1
                                        ;     Child Loop BB2642_70 Depth 2
	s_or_b32 s27, s27, exec_lo
	s_cmp_eq_u32 s6, 0
	s_cbranch_scc1 .LBB2642_71
; %bb.68:                               ;   in Loop: Header=BB2642_67 Depth=1
	s_add_co_i32 s6, s6, -1
	s_mov_b32 s27, exec_lo
	s_wait_xcnt 0x0
	v_lshl_or_b32 v6, s6, 8, v14
	global_load_b32 v11, v6, s[20:21] scale_offset scope:SCOPE_DEV
	s_wait_loadcnt 0x0
	v_cmpx_gt_u32_e32 2.0, v11
	s_cbranch_execz .LBB2642_66
; %bb.69:                               ;   in Loop: Header=BB2642_67 Depth=1
	v_lshl_add_u64 v[12:13], v[6:7], 2, s[20:21]
	s_mov_b32 s28, 0
.LBB2642_70:                            ;   Parent Loop BB2642_67 Depth=1
                                        ; =>  This Inner Loop Header: Depth=2
	global_load_b32 v11, v[12:13], off scope:SCOPE_DEV
	s_wait_loadcnt 0x0
	v_cmp_lt_u32_e32 vcc_lo, 0x3fffffff, v11
	s_or_b32 s28, vcc_lo, s28
	s_wait_xcnt 0x0
	s_and_not1_b32 exec_lo, exec_lo, s28
	s_cbranch_execnz .LBB2642_70
	s_branch .LBB2642_65
.LBB2642_71:                            ;   in Loop: Header=BB2642_67 Depth=1
                                        ; implicit-def: $sgpr6
	s_and_b32 s28, exec_lo, s27
	s_delay_alu instid0(SALU_CYCLE_1)
	s_or_b32 s5, s28, s5
	s_wait_xcnt 0x0
	s_and_not1_b32 exec_lo, exec_lo, s5
	s_cbranch_execnz .LBB2642_67
.LBB2642_72:
	s_or_b32 exec_lo, exec_lo, s5
	v_dual_mov_b32 v11, 0 :: v_dual_add_nc_u32 v6, v10, v4
	s_delay_alu instid0(VALU_DEP_1) | instskip(SKIP_4) | instid1(VALU_DEP_1)
	v_or_b32_e32 v6, 0x80000000, v6
	global_store_b32 v[8:9], v6, off scope:SCOPE_DEV
	global_load_b64 v[6:7], v14, s[8:9] scale_offset
	v_sub_nc_u64_e32 v[8:9], v[10:11], v[2:3]
	s_wait_loadcnt 0x0
	v_add_nc_u64_e32 v[6:7], v[8:9], v[6:7]
	ds_store_b64 v5, v[6:7]
.LBB2642_73:
	s_wait_xcnt 0x0
	s_or_b32 exec_lo, exec_lo, s4
	v_dual_lshlrev_b32 v6, 2, v14 :: v_dual_add_nc_u32 v8, v63, v28
	v_mov_b32_e32 v7, 0
	v_add3_u32 v10, v55, v53, v54
	v_add3_u32 v9, v58, v56, v57
	s_delay_alu instid0(VALU_DEP_4)
	v_sub_nc_u32_e32 v53, 0, v6
	v_add3_u32 v11, v51, v52, v50
	v_add_nc_u64_e32 v[6:7], s[14:15], v[6:7]
	v_add3_u32 v12, v48, v49, v47
	v_add3_u32 v13, v45, v46, v44
	;; [unrolled: 1-line block ×6, first 2 shown]
	v_add_nc_u64_e32 v[6:7], 0x3800, v[6:7]
	v_add3_u32 v31, v32, v61, v31
	v_add3_u32 v29, v30, v60, v29
	v_add_nc_u32_e32 v30, 0xe00, v14
	v_add_nc_u32_e32 v32, v5, v53
	s_mov_b32 s4, 0
	s_mov_b32 s5, -1
	s_branch .LBB2642_75
.LBB2642_74:                            ;   in Loop: Header=BB2642_75 Depth=1
	s_wait_xcnt 0x0
	s_or_b32 exec_lo, exec_lo, s6
	v_add_nc_u64_e32 v[6:7], 0x4000, v[6:7]
	v_add_nc_u32_e32 v30, 0x1000, v30
	s_xor_b32 s5, s5, -1
	s_addk_co_i32 s4, 0xf000
	s_and_b32 vcc_lo, exec_lo, s5
	s_mov_b32 s5, 0
	s_wait_storecnt 0x0
	s_barrier_signal -1
	s_barrier_wait -1
	s_cbranch_vccnz .LBB2642_91
.LBB2642_75:                            ; =>This Inner Loop Header: Depth=1
	v_add_min_u32_e64 v34, v8, s4, 0x1000
	v_add_min_u32_e64 v36, v29, s4, 0x1000
	;; [unrolled: 1-line block ×5, first 2 shown]
	s_delay_alu instid0(VALU_DEP_4) | instskip(NEXT) | instid1(VALU_DEP_4)
	v_dual_lshlrev_b32 v34, 2, v34 :: v_dual_lshlrev_b32 v36, 2, v36
	v_lshlrev_b32_e32 v38, 2, v38
	v_add_min_u32_e64 v41, v37, s4, 0x1000
	s_mov_b32 s6, exec_lo
	ds_store_b32 v34, v17 offset:2048
	ds_store_b32 v36, v1 offset:2048
	v_add_min_u32_e64 v34, v28, s4, 0x1000
	v_lshlrev_b32_e32 v36, 2, v39
	ds_store_b32 v38, v19 offset:2048
	v_dual_lshlrev_b32 v38, 2, v40 :: v_dual_lshlrev_b32 v39, 2, v41
	v_add_min_u32_e64 v40, v13, s4, 0x1000
	v_lshlrev_b32_e32 v34, 2, v34
	ds_store_b32 v36, v18 offset:2048
	ds_store_b32 v38, v21 offset:2048
	;; [unrolled: 1-line block ×4, first 2 shown]
	v_add_min_u32_e64 v36, v12, s4, 0x1000
	v_add_min_u32_e64 v38, v11, s4, 0x1000
	v_lshlrev_b32_e32 v34, 2, v40
	v_add_min_u32_e64 v39, v10, s4, 0x1000
	v_add_min_u32_e64 v40, v9, s4, 0x1000
	ds_store_b32 v34, v22 offset:2048
	v_dual_lshlrev_b32 v34, 2, v36 :: v_dual_lshlrev_b32 v36, 2, v38
	v_dual_lshlrev_b32 v38, 2, v39 :: v_dual_lshlrev_b32 v39, 2, v40
	v_add_nc_u32_e32 v40, 0xfffff200, v30
	ds_store_b32 v34, v25 offset:2048
	ds_store_b32 v36, v24 offset:2048
	;; [unrolled: 1-line block ×4, first 2 shown]
	s_wait_storecnt_dscnt 0x0
	s_barrier_signal -1
	s_barrier_wait -1
	v_cmpx_gt_u32_e64 s18, v40
	s_cbranch_execz .LBB2642_77
; %bb.76:                               ;   in Loop: Header=BB2642_75 Depth=1
	ds_load_b32 v34, v32 offset:2048
	s_wait_dscnt 0x0
	v_lshrrev_b32_e32 v36, s16, v34
	v_not_b32_e32 v34, v34
	s_delay_alu instid0(VALU_DEP_2) | instskip(NEXT) | instid1(VALU_DEP_1)
	v_and_b32_e32 v36, s26, v36
	v_lshlrev_b32_e32 v36, 3, v36
	ds_load_b64 v[38:39], v36
	s_wait_dscnt 0x0
	v_lshl_add_u64 v[38:39], v[38:39], 2, v[6:7]
	global_store_b32 v[38:39], v34, off offset:-14336
.LBB2642_77:                            ;   in Loop: Header=BB2642_75 Depth=1
	s_wait_xcnt 0x0
	s_or_b32 exec_lo, exec_lo, s6
	v_add_nc_u32_e32 v34, 0xfffff400, v30
	s_mov_b32 s6, exec_lo
	s_delay_alu instid0(VALU_DEP_1)
	v_cmpx_gt_u32_e64 s18, v34
	s_cbranch_execz .LBB2642_79
; %bb.78:                               ;   in Loop: Header=BB2642_75 Depth=1
	ds_load_b32 v34, v32 offset:4096
	s_wait_dscnt 0x0
	v_lshrrev_b32_e32 v36, s16, v34
	v_not_b32_e32 v34, v34
	s_delay_alu instid0(VALU_DEP_2) | instskip(NEXT) | instid1(VALU_DEP_1)
	v_and_b32_e32 v36, s26, v36
	v_lshlrev_b32_e32 v36, 3, v36
	ds_load_b64 v[38:39], v36
	s_wait_dscnt 0x0
	v_lshl_add_u64 v[38:39], v[38:39], 2, v[6:7]
	global_store_b32 v[38:39], v34, off offset:-12288
.LBB2642_79:                            ;   in Loop: Header=BB2642_75 Depth=1
	s_wait_xcnt 0x0
	s_or_b32 exec_lo, exec_lo, s6
	v_add_nc_u32_e32 v34, 0xfffff600, v30
	s_mov_b32 s6, exec_lo
	s_delay_alu instid0(VALU_DEP_1)
	;; [unrolled: 20-line block ×6, first 2 shown]
	v_cmpx_gt_u32_e64 s18, v34
	s_cbranch_execz .LBB2642_89
; %bb.88:                               ;   in Loop: Header=BB2642_75 Depth=1
	ds_load_b32 v34, v32 offset:14336
	s_wait_dscnt 0x0
	v_lshrrev_b32_e32 v36, s16, v34
	v_not_b32_e32 v34, v34
	s_delay_alu instid0(VALU_DEP_2) | instskip(NEXT) | instid1(VALU_DEP_1)
	v_and_b32_e32 v36, s26, v36
	v_lshlrev_b32_e32 v36, 3, v36
	ds_load_b64 v[38:39], v36
	s_wait_dscnt 0x0
	v_lshl_add_u64 v[38:39], v[38:39], 2, v[6:7]
	global_store_b32 v[38:39], v34, off offset:-2048
.LBB2642_89:                            ;   in Loop: Header=BB2642_75 Depth=1
	s_wait_xcnt 0x0
	s_or_b32 exec_lo, exec_lo, s6
	s_delay_alu instid0(SALU_CYCLE_1)
	s_mov_b32 s6, exec_lo
	v_cmpx_gt_u32_e64 s18, v30
	s_cbranch_execz .LBB2642_74
; %bb.90:                               ;   in Loop: Header=BB2642_75 Depth=1
	ds_load_b32 v34, v32 offset:16384
	s_wait_dscnt 0x0
	v_lshrrev_b32_e32 v36, s16, v34
	v_not_b32_e32 v34, v34
	s_delay_alu instid0(VALU_DEP_2) | instskip(NEXT) | instid1(VALU_DEP_1)
	v_and_b32_e32 v36, s26, v36
	v_lshlrev_b32_e32 v36, 3, v36
	ds_load_b64 v[38:39], v36
	s_wait_dscnt 0x0
	v_lshl_add_u64 v[38:39], v[38:39], 2, v[6:7]
	global_store_b32 v[38:39], v34, off
	s_branch .LBB2642_74
.LBB2642_91:
	s_add_co_i32 s23, s23, -1
	s_delay_alu instid0(SALU_CYCLE_1) | instskip(SKIP_2) | instid1(SALU_CYCLE_1)
	s_cmp_eq_u32 s19, s23
	s_cselect_b32 s4, -1, 0
	s_xor_b32 s3, s3, -1
	s_and_b32 s4, s3, s4
	s_delay_alu instid0(SALU_CYCLE_1)
	s_and_saveexec_b32 s3, s4
	s_cbranch_execz .LBB2642_93
; %bb.92:
	ds_load_b64 v[6:7], v5
	v_mov_b32_e32 v5, 0
	s_delay_alu instid0(VALU_DEP_1) | instskip(SKIP_1) | instid1(VALU_DEP_1)
	v_add_nc_u64_e32 v[2:3], v[2:3], v[4:5]
	s_wait_dscnt 0x0
	v_add_nc_u64_e32 v[2:3], v[2:3], v[6:7]
	global_store_b64 v14, v[2:3], s[10:11] scale_offset
.LBB2642_93:
	s_wait_xcnt 0x0
	s_or_b32 exec_lo, exec_lo, s3
	s_mov_b32 s4, 0
.LBB2642_94:
	s_delay_alu instid0(SALU_CYCLE_1)
	s_and_b32 vcc_lo, exec_lo, s4
	s_cbranch_vccz .LBB2642_153
; %bb.95:
	s_mov_b32 s23, 0
	v_dual_mov_b32 v11, 0 :: v_dual_lshlrev_b32 v10, 2, v15
	s_lshl_b64 s[4:5], s[22:23], 2
	v_mul_u32_u24_e32 v1, 12, v16
	s_add_nc_u64 s[4:5], s[12:13], s[4:5]
	s_bfe_u32 s3, ttmp6, 0x4000c
	v_add_nc_u64_e32 v[2:3], s[4:5], v[10:11]
	s_add_co_i32 s3, s3, 1
	v_lshlrev_b32_e32 v10, 2, v1
	s_and_b32 s4, ttmp6, 15
	s_mul_i32 s3, ttmp9, s3
	s_delay_alu instid0(SALU_CYCLE_1) | instskip(NEXT) | instid1(VALU_DEP_1)
	s_add_co_i32 s4, s4, s3
	v_add_nc_u64_e32 v[18:19], v[2:3], v[10:11]
	s_cmp_eq_u32 s7, 0
	s_clause 0xb
	global_load_b32 v5, v[18:19], off
	global_load_b32 v12, v[18:19], off offset:128
	global_load_b32 v13, v[18:19], off offset:256
	;; [unrolled: 1-line block ×11, first 2 shown]
	s_load_b32 s12, s[0:1], 0x58
	s_cselect_b32 s3, ttmp9, s4
	s_load_u16 s4, s[0:1], 0x66
	s_wait_kmcnt 0x0
	s_cmp_lt_u32 s3, s12
	s_cselect_b32 s22, 12, 18
	s_lshl_b32 s13, -1, s17
	s_add_nc_u64 s[0:1], s[24:25], s[22:23]
	s_load_u16 s0, s[0:1], 0x0
	s_wait_loadcnt 0xb
	v_not_b32_e32 v17, v5
	v_bfe_u32 v5, v0, 10, 10
	v_bfe_u32 v0, v0, 20, 10
	s_delay_alu instid0(VALU_DEP_3) | instskip(NEXT) | instid1(VALU_DEP_2)
	v_lshrrev_b32_e32 v10, s16, v17
	v_mad_u32_u24 v0, v0, s4, v5
	s_delay_alu instid0(VALU_DEP_2) | instskip(SKIP_1) | instid1(VALU_DEP_2)
	v_bitop3_b32 v19, v10, s13, v10 bitop3:0x30
	s_wait_kmcnt 0x0
	v_mad_u32 v0, v0, s0, v14
	s_delay_alu instid0(VALU_DEP_2) | instskip(SKIP_4) | instid1(VALU_DEP_4)
	v_lshlrev_b32_e32 v21, 29, v19
	v_bitop3_b32 v5, v10, 1, s13 bitop3:0x40
	v_dual_lshlrev_b32 v18, 30, v19 :: v_dual_lshlrev_b32 v22, 28, v19
	v_dual_lshlrev_b32 v23, 27, v19 :: v_dual_lshlrev_b32 v24, 26, v19
	v_lshlrev_b32_e32 v25, 25, v19
	v_add_co_u32 v5, s0, v5, -1
	s_delay_alu instid0(VALU_DEP_1)
	v_cndmask_b32_e64 v10, 0, 1, s0
	v_cmp_gt_i32_e64 s0, 0, v18
	v_cmp_gt_i32_e64 s1, 0, v21
	;; [unrolled: 1-line block ×4, first 2 shown]
	v_cmp_ne_u32_e32 vcc_lo, 0, v10
	v_not_b32_e32 v10, v18
	v_lshlrev_b32_e32 v26, 24, v19
	v_not_b32_e32 v18, v21
	v_not_b32_e32 v21, v22
	;; [unrolled: 1-line block ×3, first 2 shown]
	v_ashrrev_i32_e32 v10, 31, v10
	v_not_b32_e32 v23, v24
	v_dual_ashrrev_i32 v18, 31, v18 :: v_dual_bitop2_b32 v5, vcc_lo, v5 bitop3:0x14
	s_delay_alu instid0(VALU_DEP_3)
	v_dual_ashrrev_i32 v21, 31, v21 :: v_dual_bitop2_b32 v10, s0, v10 bitop3:0x14
	v_cmp_gt_i32_e64 s5, 0, v24
	v_cmp_gt_i32_e64 s6, 0, v25
	v_not_b32_e32 v24, v25
	v_not_b32_e32 v25, v26
	v_dual_ashrrev_i32 v22, 31, v22 :: v_dual_ashrrev_i32 v23, 31, v23
	v_xor_b32_e32 v18, s1, v18
	v_dual_lshrrev_b32 v0, 5, v0 :: v_dual_bitop2_b32 v21, s3, v21 bitop3:0x14
	v_bitop3_b32 v5, v5, v10, exec_lo bitop3:0x80
	v_cmp_gt_i32_e64 s7, 0, v26
	v_dual_ashrrev_i32 v10, 31, v24 :: v_dual_ashrrev_i32 v24, 31, v25
	v_xor_b32_e32 v22, s4, v22
	v_dual_lshlrev_b32 v0, 2, v0 :: v_dual_bitop2_b32 v23, s5, v23 bitop3:0x14
	v_bitop3_b32 v5, v5, v21, v18 bitop3:0x80
	s_delay_alu instid0(VALU_DEP_4)
	v_xor_b32_e32 v18, s6, v10
	v_xor_b32_e32 v21, s7, v24
	v_mul_u32_u24_e32 v10, 36, v14
	ds_store_2addr_b32 v10, v11, v11 offset0:16 offset1:17
	ds_store_2addr_b32 v10, v11, v11 offset0:18 offset1:19
	;; [unrolled: 1-line block ×4, first 2 shown]
	v_bitop3_b32 v5, v5, v23, v22 bitop3:0x80
	ds_store_b32 v10, v11 offset:96
	v_mad_u32 v11, 0x44, v19, v0
	s_not_b32 s6, s13
	s_wait_storecnt 0x0
	s_wait_loadcnt_dscnt 0x0
	v_bitop3_b32 v18, v5, v21, v18 bitop3:0x80
	s_barrier_signal -1
	s_barrier_wait -1
	s_delay_alu instid0(VALU_DEP_1) | instskip(SKIP_1) | instid1(VALU_DEP_2)
	v_mbcnt_lo_u32_b32 v5, v18, 0
	v_cmp_ne_u32_e64 s0, 0, v18
	; wave barrier
	v_cmp_eq_u32_e32 vcc_lo, 0, v5
	s_and_b32 s1, s0, vcc_lo
	s_delay_alu instid0(SALU_CYCLE_1)
	s_and_saveexec_b32 s0, s1
; %bb.96:
	v_bcnt_u32_b32 v18, v18, 0
	ds_store_b32 v11, v18 offset:64
; %bb.97:
	s_or_b32 exec_lo, exec_lo, s0
	v_not_b32_e32 v18, v12
	; wave barrier
	s_delay_alu instid0(VALU_DEP_1) | instskip(NEXT) | instid1(VALU_DEP_1)
	v_lshrrev_b32_e32 v12, s16, v18
	v_and_b32_e32 v19, s6, v12
	s_delay_alu instid0(VALU_DEP_1) | instskip(SKIP_1) | instid1(VALU_DEP_1)
	v_lshlrev_b32_e32 v23, 30, v19
	v_bitop3_b32 v21, v12, 1, s6 bitop3:0x80
	v_add_co_u32 v21, s0, v21, -1
	s_delay_alu instid0(VALU_DEP_1) | instskip(NEXT) | instid1(VALU_DEP_4)
	v_cndmask_b32_e64 v22, 0, 1, s0
	v_cmp_gt_i32_e64 s0, 0, v23
	s_delay_alu instid0(VALU_DEP_2) | instskip(SKIP_1) | instid1(VALU_DEP_1)
	v_cmp_ne_u32_e32 vcc_lo, 0, v22
	v_not_b32_e32 v22, v23
	v_dual_ashrrev_i32 v22, 31, v22 :: v_dual_lshlrev_b32 v24, 29, v19
	v_dual_lshlrev_b32 v25, 28, v19 :: v_dual_lshlrev_b32 v26, 27, v19
	v_lshlrev_b32_e32 v27, 26, v19
	v_mad_u32 v12, 0x44, v19, v0
	s_delay_alu instid0(VALU_DEP_4)
	v_cmp_gt_i32_e64 s1, 0, v24
	v_not_b32_e32 v23, v24
	v_not_b32_e32 v24, v25
	v_dual_lshlrev_b32 v28, 25, v19 :: v_dual_lshlrev_b32 v19, 24, v19
	v_cmp_gt_i32_e64 s3, 0, v25
	v_cmp_gt_i32_e64 s4, 0, v26
	v_not_b32_e32 v25, v26
	v_not_b32_e32 v26, v27
	v_dual_ashrrev_i32 v23, 31, v23 :: v_dual_bitop2_b32 v21, vcc_lo, v21 bitop3:0x14
	v_dual_ashrrev_i32 v24, 31, v24 :: v_dual_bitop2_b32 v22, s0, v22 bitop3:0x14
	v_cmp_gt_i32_e64 s5, 0, v27
	s_delay_alu instid0(VALU_DEP_4) | instskip(SKIP_1) | instid1(VALU_DEP_4)
	v_dual_ashrrev_i32 v25, 31, v25 :: v_dual_ashrrev_i32 v26, 31, v26
	v_not_b32_e32 v27, v19
	v_xor_b32_e32 v24, s3, v24
	v_bitop3_b32 v21, v21, v22, exec_lo bitop3:0x80
	v_not_b32_e32 v22, v28
	v_xor_b32_e32 v23, s1, v23
	v_xor_b32_e32 v25, s4, v25
	;; [unrolled: 1-line block ×3, first 2 shown]
	v_cmp_gt_i32_e32 vcc_lo, 0, v28
	v_ashrrev_i32_e32 v22, 31, v22
	v_cmp_gt_i32_e64 s0, 0, v19
	v_ashrrev_i32_e32 v19, 31, v27
	v_bitop3_b32 v21, v21, v24, v23 bitop3:0x80
	s_delay_alu instid0(VALU_DEP_4) | instskip(NEXT) | instid1(VALU_DEP_3)
	v_xor_b32_e32 v22, vcc_lo, v22
	v_xor_b32_e32 v19, s0, v19
	s_delay_alu instid0(VALU_DEP_3) | instskip(SKIP_2) | instid1(VALU_DEP_1)
	v_bitop3_b32 v23, v21, v26, v25 bitop3:0x80
	ds_load_b32 v21, v12 offset:64
	; wave barrier
	v_bitop3_b32 v19, v23, v19, v22 bitop3:0x80
	v_mbcnt_lo_u32_b32 v22, v19, 0
	v_cmp_ne_u32_e64 s0, 0, v19
	s_delay_alu instid0(VALU_DEP_2) | instskip(SKIP_1) | instid1(SALU_CYCLE_1)
	v_cmp_eq_u32_e32 vcc_lo, 0, v22
	s_and_b32 s1, s0, vcc_lo
	s_and_saveexec_b32 s0, s1
	s_cbranch_execz .LBB2642_99
; %bb.98:
	s_wait_dscnt 0x0
	v_bcnt_u32_b32 v19, v19, v21
	ds_store_b32 v12, v19 offset:64
.LBB2642_99:
	s_or_b32 exec_lo, exec_lo, s0
	v_not_b32_e32 v19, v13
	; wave barrier
	s_delay_alu instid0(VALU_DEP_1) | instskip(NEXT) | instid1(VALU_DEP_1)
	v_lshrrev_b32_e32 v13, s16, v19
	v_bitop3_b32 v24, v13, 1, s6 bitop3:0x80
	v_and_b32_e32 v23, s6, v13
	s_delay_alu instid0(VALU_DEP_2) | instskip(NEXT) | instid1(VALU_DEP_1)
	v_add_co_u32 v24, s0, v24, -1
	v_cndmask_b32_e64 v25, 0, 1, s0
	s_delay_alu instid0(VALU_DEP_3) | instskip(NEXT) | instid1(VALU_DEP_2)
	v_dual_lshlrev_b32 v26, 30, v23 :: v_dual_lshlrev_b32 v27, 29, v23
	v_cmp_ne_u32_e32 vcc_lo, 0, v25
	s_delay_alu instid0(VALU_DEP_2) | instskip(SKIP_1) | instid1(VALU_DEP_4)
	v_cmp_gt_i32_e64 s0, 0, v26
	v_not_b32_e32 v25, v26
	v_not_b32_e32 v26, v27
	v_cmp_gt_i32_e64 s1, 0, v27
	s_delay_alu instid0(VALU_DEP_3) | instskip(NEXT) | instid1(VALU_DEP_3)
	v_dual_ashrrev_i32 v25, 31, v25 :: v_dual_bitop2_b32 v24, vcc_lo, v24 bitop3:0x14
	v_dual_ashrrev_i32 v26, 31, v26 :: v_dual_lshlrev_b32 v28, 28, v23
	v_dual_lshlrev_b32 v29, 27, v23 :: v_dual_lshlrev_b32 v30, 26, v23
	v_lshlrev_b32_e32 v31, 25, v23
	v_mad_u32 v13, 0x44, v23, v0
	s_delay_alu instid0(VALU_DEP_4)
	v_not_b32_e32 v27, v28
	v_lshlrev_b32_e32 v23, 24, v23
	v_cmp_gt_i32_e64 s3, 0, v28
	v_cmp_gt_i32_e64 s4, 0, v29
	v_not_b32_e32 v28, v29
	v_not_b32_e32 v29, v30
	v_dual_ashrrev_i32 v27, 31, v27 :: v_dual_bitop2_b32 v25, s0, v25 bitop3:0x14
	v_cmp_gt_i32_e64 s5, 0, v30
	s_delay_alu instid0(VALU_DEP_3) | instskip(SKIP_1) | instid1(VALU_DEP_4)
	v_dual_ashrrev_i32 v28, 31, v28 :: v_dual_ashrrev_i32 v29, 31, v29
	v_not_b32_e32 v30, v23
	v_xor_b32_e32 v27, s3, v27
	v_bitop3_b32 v24, v24, v25, exec_lo bitop3:0x80
	v_not_b32_e32 v25, v31
	v_xor_b32_e32 v26, s1, v26
	v_xor_b32_e32 v28, s4, v28
	;; [unrolled: 1-line block ×3, first 2 shown]
	v_cmp_gt_i32_e32 vcc_lo, 0, v31
	v_ashrrev_i32_e32 v25, 31, v25
	v_cmp_gt_i32_e64 s0, 0, v23
	v_ashrrev_i32_e32 v23, 31, v30
	v_bitop3_b32 v24, v24, v27, v26 bitop3:0x80
	s_delay_alu instid0(VALU_DEP_4) | instskip(NEXT) | instid1(VALU_DEP_3)
	v_xor_b32_e32 v25, vcc_lo, v25
	v_xor_b32_e32 v23, s0, v23
	s_delay_alu instid0(VALU_DEP_3) | instskip(SKIP_2) | instid1(VALU_DEP_1)
	v_bitop3_b32 v26, v24, v29, v28 bitop3:0x80
	ds_load_b32 v24, v13 offset:64
	; wave barrier
	v_bitop3_b32 v23, v26, v23, v25 bitop3:0x80
	v_mbcnt_lo_u32_b32 v25, v23, 0
	v_cmp_ne_u32_e64 s0, 0, v23
	s_delay_alu instid0(VALU_DEP_2) | instskip(SKIP_1) | instid1(SALU_CYCLE_1)
	v_cmp_eq_u32_e32 vcc_lo, 0, v25
	s_and_b32 s1, s0, vcc_lo
	s_and_saveexec_b32 s0, s1
	s_cbranch_execz .LBB2642_101
; %bb.100:
	s_wait_dscnt 0x0
	v_bcnt_u32_b32 v23, v23, v24
	ds_store_b32 v13, v23 offset:64
.LBB2642_101:
	s_or_b32 exec_lo, exec_lo, s0
	v_not_b32_e32 v20, v20
	; wave barrier
	s_delay_alu instid0(VALU_DEP_1) | instskip(NEXT) | instid1(VALU_DEP_1)
	v_lshrrev_b32_e32 v23, s16, v20
	v_and_b32_e32 v26, s6, v23
	s_delay_alu instid0(VALU_DEP_1) | instskip(SKIP_2) | instid1(VALU_DEP_2)
	v_lshlrev_b32_e32 v28, 30, v26
	v_bitop3_b32 v23, v23, 1, s6 bitop3:0x80
	v_lshlrev_b32_e32 v29, 29, v26
	v_add_co_u32 v23, s0, v23, -1
	s_delay_alu instid0(VALU_DEP_1) | instskip(SKIP_1) | instid1(VALU_DEP_2)
	v_cndmask_b32_e64 v27, 0, 1, s0
	v_cmp_gt_i32_e64 s0, 0, v28
	v_cmp_ne_u32_e32 vcc_lo, 0, v27
	v_not_b32_e32 v27, v28
	v_not_b32_e32 v28, v29
	s_delay_alu instid0(VALU_DEP_1)
	v_dual_ashrrev_i32 v28, 31, v28 :: v_dual_lshlrev_b32 v30, 28, v26
	v_mad_u32 v33, 0x44, v26, v0
	v_dual_lshlrev_b32 v31, 27, v26 :: v_dual_lshlrev_b32 v32, 26, v26
	v_dual_lshlrev_b32 v34, 25, v26 :: v_dual_lshlrev_b32 v26, 24, v26
	v_cmp_gt_i32_e64 s1, 0, v29
	v_not_b32_e32 v29, v30
	v_ashrrev_i32_e32 v27, 31, v27
	v_cmp_gt_i32_e64 s3, 0, v30
	v_cmp_gt_i32_e64 s4, 0, v31
	v_not_b32_e32 v30, v31
	v_cmp_gt_i32_e64 s5, 0, v32
	v_not_b32_e32 v31, v32
	v_dual_ashrrev_i32 v29, 31, v29 :: v_dual_bitop2_b32 v23, vcc_lo, v23 bitop3:0x14
	v_not_b32_e32 v32, v26
	v_dual_ashrrev_i32 v30, 31, v30 :: v_dual_bitop2_b32 v27, s0, v27 bitop3:0x14
	s_delay_alu instid0(VALU_DEP_4) | instskip(SKIP_1) | instid1(VALU_DEP_4)
	v_dual_ashrrev_i32 v31, 31, v31 :: v_dual_bitop2_b32 v28, s1, v28 bitop3:0x14
	v_cmp_gt_i32_e64 s0, 0, v26
	v_ashrrev_i32_e32 v26, 31, v32
	s_delay_alu instid0(VALU_DEP_4)
	v_bitop3_b32 v23, v23, v27, exec_lo bitop3:0x80
	v_not_b32_e32 v27, v34
	v_xor_b32_e32 v29, s3, v29
	v_xor_b32_e32 v30, s4, v30
	;; [unrolled: 1-line block ×3, first 2 shown]
	v_cmp_gt_i32_e32 vcc_lo, 0, v34
	v_ashrrev_i32_e32 v27, 31, v27
	v_bitop3_b32 v23, v23, v29, v28 bitop3:0x80
	v_xor_b32_e32 v26, s0, v26
	s_delay_alu instid0(VALU_DEP_3) | instskip(NEXT) | instid1(VALU_DEP_3)
	v_xor_b32_e32 v28, vcc_lo, v27
	v_bitop3_b32 v23, v23, v31, v30 bitop3:0x80
	ds_load_b32 v27, v33 offset:64
	; wave barrier
	v_bitop3_b32 v23, v23, v26, v28 bitop3:0x80
	s_delay_alu instid0(VALU_DEP_1) | instskip(SKIP_1) | instid1(VALU_DEP_2)
	v_mbcnt_lo_u32_b32 v28, v23, 0
	v_cmp_ne_u32_e64 s0, 0, v23
	v_cmp_eq_u32_e32 vcc_lo, 0, v28
	s_and_b32 s1, s0, vcc_lo
	s_delay_alu instid0(SALU_CYCLE_1)
	s_and_saveexec_b32 s0, s1
	s_cbranch_execz .LBB2642_103
; %bb.102:
	s_wait_dscnt 0x0
	v_bcnt_u32_b32 v23, v23, v27
	ds_store_b32 v33, v23 offset:64
.LBB2642_103:
	s_or_b32 exec_lo, exec_lo, s0
	v_not_b32_e32 v23, v9
	; wave barrier
	s_delay_alu instid0(VALU_DEP_1) | instskip(NEXT) | instid1(VALU_DEP_1)
	v_lshrrev_b32_e32 v9, s16, v23
	v_and_b32_e32 v26, s6, v9
	s_delay_alu instid0(VALU_DEP_1) | instskip(SKIP_2) | instid1(VALU_DEP_2)
	v_lshlrev_b32_e32 v30, 30, v26
	v_bitop3_b32 v9, v9, 1, s6 bitop3:0x80
	v_lshlrev_b32_e32 v31, 29, v26
	v_add_co_u32 v9, s0, v9, -1
	s_delay_alu instid0(VALU_DEP_1) | instskip(SKIP_1) | instid1(VALU_DEP_2)
	v_cndmask_b32_e64 v29, 0, 1, s0
	v_cmp_gt_i32_e64 s0, 0, v30
	v_cmp_ne_u32_e32 vcc_lo, 0, v29
	v_not_b32_e32 v29, v30
	v_not_b32_e32 v30, v31
	s_delay_alu instid0(VALU_DEP_1) | instskip(SKIP_4) | instid1(VALU_DEP_4)
	v_ashrrev_i32_e32 v30, 31, v30
	v_dual_lshlrev_b32 v32, 28, v26 :: v_dual_lshlrev_b32 v34, 27, v26
	v_lshlrev_b32_e32 v35, 26, v26
	v_cmp_gt_i32_e64 s1, 0, v31
	v_mad_u32 v37, 0x44, v26, v0
	v_not_b32_e32 v31, v32
	v_dual_ashrrev_i32 v29, 31, v29 :: v_dual_lshlrev_b32 v36, 25, v26
	v_lshlrev_b32_e32 v26, 24, v26
	v_cmp_gt_i32_e64 s3, 0, v32
	v_cmp_gt_i32_e64 s4, 0, v34
	v_not_b32_e32 v32, v34
	v_not_b32_e32 v34, v35
	v_dual_ashrrev_i32 v31, 31, v31 :: v_dual_bitop2_b32 v9, vcc_lo, v9 bitop3:0x14
	v_xor_b32_e32 v29, s0, v29
	v_cmp_gt_i32_e64 s5, 0, v35
	s_delay_alu instid0(VALU_DEP_4) | instskip(NEXT) | instid1(VALU_DEP_4)
	v_dual_ashrrev_i32 v32, 31, v32 :: v_dual_ashrrev_i32 v34, 31, v34
	v_xor_b32_e32 v31, s3, v31
	s_delay_alu instid0(VALU_DEP_4)
	v_bitop3_b32 v9, v9, v29, exec_lo bitop3:0x80
	v_not_b32_e32 v29, v36
	v_xor_b32_e32 v30, s1, v30
	v_not_b32_e32 v35, v26
	v_xor_b32_e32 v32, s4, v32
	v_xor_b32_e32 v34, s5, v34
	v_cmp_gt_i32_e32 vcc_lo, 0, v36
	v_ashrrev_i32_e32 v29, 31, v29
	v_bitop3_b32 v9, v9, v31, v30 bitop3:0x80
	v_cmp_gt_i32_e64 s0, 0, v26
	v_ashrrev_i32_e32 v26, 31, v35
	ds_load_b32 v30, v37 offset:64
	v_xor_b32_e32 v29, vcc_lo, v29
	v_bitop3_b32 v9, v9, v34, v32 bitop3:0x80
	v_xor_b32_e32 v26, s0, v26
	; wave barrier
	s_delay_alu instid0(VALU_DEP_1) | instskip(NEXT) | instid1(VALU_DEP_1)
	v_bitop3_b32 v9, v9, v26, v29 bitop3:0x80
	v_mbcnt_lo_u32_b32 v31, v9, 0
	v_cmp_ne_u32_e64 s0, 0, v9
	s_delay_alu instid0(VALU_DEP_2) | instskip(SKIP_1) | instid1(SALU_CYCLE_1)
	v_cmp_eq_u32_e32 vcc_lo, 0, v31
	s_and_b32 s1, s0, vcc_lo
	s_and_saveexec_b32 s0, s1
	s_cbranch_execz .LBB2642_105
; %bb.104:
	s_wait_dscnt 0x0
	v_bcnt_u32_b32 v9, v9, v30
	ds_store_b32 v37, v9 offset:64
.LBB2642_105:
	s_or_b32 exec_lo, exec_lo, s0
	v_not_b32_e32 v26, v8
	; wave barrier
	s_delay_alu instid0(VALU_DEP_1) | instskip(NEXT) | instid1(VALU_DEP_1)
	v_lshrrev_b32_e32 v8, s16, v26
	v_and_b32_e32 v9, s6, v8
	s_delay_alu instid0(VALU_DEP_1) | instskip(SKIP_1) | instid1(VALU_DEP_1)
	v_lshlrev_b32_e32 v32, 30, v9
	v_bitop3_b32 v8, v8, 1, s6 bitop3:0x80
	v_add_co_u32 v8, s0, v8, -1
	s_delay_alu instid0(VALU_DEP_1) | instskip(NEXT) | instid1(VALU_DEP_4)
	v_cndmask_b32_e64 v29, 0, 1, s0
	v_cmp_gt_i32_e64 s0, 0, v32
	s_delay_alu instid0(VALU_DEP_2) | instskip(SKIP_1) | instid1(VALU_DEP_1)
	v_cmp_ne_u32_e32 vcc_lo, 0, v29
	v_not_b32_e32 v29, v32
	v_ashrrev_i32_e32 v29, 31, v29
	v_dual_lshlrev_b32 v34, 29, v9 :: v_dual_lshlrev_b32 v35, 28, v9
	v_dual_lshlrev_b32 v36, 27, v9 :: v_dual_lshlrev_b32 v38, 26, v9
	v_mad_u32 v40, 0x44, v9, v0
	s_delay_alu instid0(VALU_DEP_3)
	v_cmp_gt_i32_e64 s1, 0, v34
	v_not_b32_e32 v32, v34
	v_not_b32_e32 v34, v35
	v_dual_lshlrev_b32 v39, 25, v9 :: v_dual_lshlrev_b32 v9, 24, v9
	v_cmp_gt_i32_e64 s3, 0, v35
	v_cmp_gt_i32_e64 s4, 0, v36
	v_not_b32_e32 v35, v36
	v_not_b32_e32 v36, v38
	v_dual_ashrrev_i32 v34, 31, v34 :: v_dual_bitop2_b32 v8, vcc_lo, v8 bitop3:0x14
	v_dual_ashrrev_i32 v32, 31, v32 :: v_dual_bitop2_b32 v29, s0, v29 bitop3:0x14
	v_cmp_gt_i32_e64 s5, 0, v38
	s_delay_alu instid0(VALU_DEP_4) | instskip(NEXT) | instid1(VALU_DEP_4)
	v_dual_ashrrev_i32 v35, 31, v35 :: v_dual_ashrrev_i32 v36, 31, v36
	v_xor_b32_e32 v34, s3, v34
	s_delay_alu instid0(VALU_DEP_4)
	v_bitop3_b32 v8, v8, v29, exec_lo bitop3:0x80
	v_not_b32_e32 v29, v39
	v_xor_b32_e32 v32, s1, v32
	v_not_b32_e32 v38, v9
	v_xor_b32_e32 v35, s4, v35
	v_xor_b32_e32 v36, s5, v36
	v_cmp_gt_i32_e32 vcc_lo, 0, v39
	v_ashrrev_i32_e32 v29, 31, v29
	v_bitop3_b32 v8, v8, v34, v32 bitop3:0x80
	v_cmp_gt_i32_e64 s0, 0, v9
	v_ashrrev_i32_e32 v9, 31, v38
	ds_load_b32 v34, v40 offset:64
	v_xor_b32_e32 v29, vcc_lo, v29
	v_bitop3_b32 v8, v8, v36, v35 bitop3:0x80
	v_xor_b32_e32 v9, s0, v9
	; wave barrier
	s_delay_alu instid0(VALU_DEP_1) | instskip(NEXT) | instid1(VALU_DEP_1)
	v_bitop3_b32 v8, v8, v9, v29 bitop3:0x80
	v_mbcnt_lo_u32_b32 v35, v8, 0
	v_cmp_ne_u32_e64 s0, 0, v8
	s_delay_alu instid0(VALU_DEP_2) | instskip(SKIP_1) | instid1(SALU_CYCLE_1)
	v_cmp_eq_u32_e32 vcc_lo, 0, v35
	s_and_b32 s1, s0, vcc_lo
	s_and_saveexec_b32 s0, s1
	s_cbranch_execz .LBB2642_107
; %bb.106:
	s_wait_dscnt 0x0
	v_bcnt_u32_b32 v8, v8, v34
	ds_store_b32 v40, v8 offset:64
.LBB2642_107:
	s_or_b32 exec_lo, exec_lo, s0
	v_not_b32_e32 v29, v7
	; wave barrier
	s_delay_alu instid0(VALU_DEP_1) | instskip(NEXT) | instid1(VALU_DEP_1)
	v_lshrrev_b32_e32 v7, s16, v29
	v_and_b32_e32 v8, s6, v7
	s_delay_alu instid0(VALU_DEP_1) | instskip(SKIP_1) | instid1(VALU_DEP_1)
	v_lshlrev_b32_e32 v32, 30, v8
	v_bitop3_b32 v7, v7, 1, s6 bitop3:0x80
	v_add_co_u32 v7, s0, v7, -1
	s_delay_alu instid0(VALU_DEP_1) | instskip(NEXT) | instid1(VALU_DEP_4)
	v_cndmask_b32_e64 v9, 0, 1, s0
	v_cmp_gt_i32_e64 s0, 0, v32
	s_delay_alu instid0(VALU_DEP_2) | instskip(SKIP_1) | instid1(VALU_DEP_1)
	v_cmp_ne_u32_e32 vcc_lo, 0, v9
	v_not_b32_e32 v9, v32
	v_dual_ashrrev_i32 v9, 31, v9 :: v_dual_lshlrev_b32 v36, 29, v8
	v_dual_lshlrev_b32 v38, 28, v8 :: v_dual_lshlrev_b32 v39, 27, v8
	v_lshlrev_b32_e32 v41, 26, v8
	v_mad_u32 v44, 0x44, v8, v0
	s_delay_alu instid0(VALU_DEP_4)
	v_cmp_gt_i32_e64 s1, 0, v36
	v_not_b32_e32 v32, v36
	v_not_b32_e32 v36, v38
	v_dual_lshlrev_b32 v42, 25, v8 :: v_dual_lshlrev_b32 v8, 24, v8
	v_cmp_gt_i32_e64 s3, 0, v38
	v_cmp_gt_i32_e64 s4, 0, v39
	v_not_b32_e32 v38, v39
	v_not_b32_e32 v39, v41
	v_dual_ashrrev_i32 v32, 31, v32 :: v_dual_bitop2_b32 v7, vcc_lo, v7 bitop3:0x14
	v_dual_ashrrev_i32 v36, 31, v36 :: v_dual_bitop2_b32 v9, s0, v9 bitop3:0x14
	v_cmp_gt_i32_e64 s5, 0, v41
	s_delay_alu instid0(VALU_DEP_4) | instskip(SKIP_1) | instid1(VALU_DEP_4)
	v_dual_ashrrev_i32 v38, 31, v38 :: v_dual_ashrrev_i32 v39, 31, v39
	v_not_b32_e32 v41, v8
	v_xor_b32_e32 v36, s3, v36
	v_bitop3_b32 v7, v7, v9, exec_lo bitop3:0x80
	v_not_b32_e32 v9, v42
	v_xor_b32_e32 v32, s1, v32
	v_xor_b32_e32 v38, s4, v38
	;; [unrolled: 1-line block ×3, first 2 shown]
	v_cmp_gt_i32_e32 vcc_lo, 0, v42
	v_ashrrev_i32_e32 v9, 31, v9
	v_cmp_gt_i32_e64 s0, 0, v8
	v_ashrrev_i32_e32 v8, 31, v41
	v_bitop3_b32 v7, v7, v36, v32 bitop3:0x80
	s_delay_alu instid0(VALU_DEP_4) | instskip(NEXT) | instid1(VALU_DEP_3)
	v_xor_b32_e32 v9, vcc_lo, v9
	v_xor_b32_e32 v8, s0, v8
	s_delay_alu instid0(VALU_DEP_3) | instskip(SKIP_2) | instid1(VALU_DEP_1)
	v_bitop3_b32 v7, v7, v39, v38 bitop3:0x80
	ds_load_b32 v38, v44 offset:64
	; wave barrier
	v_bitop3_b32 v7, v7, v8, v9 bitop3:0x80
	v_mbcnt_lo_u32_b32 v39, v7, 0
	v_cmp_ne_u32_e64 s0, 0, v7
	s_delay_alu instid0(VALU_DEP_2) | instskip(SKIP_1) | instid1(SALU_CYCLE_1)
	v_cmp_eq_u32_e32 vcc_lo, 0, v39
	s_and_b32 s1, s0, vcc_lo
	s_and_saveexec_b32 s0, s1
	s_cbranch_execz .LBB2642_109
; %bb.108:
	s_wait_dscnt 0x0
	v_bcnt_u32_b32 v7, v7, v38
	ds_store_b32 v44, v7 offset:64
.LBB2642_109:
	s_or_b32 exec_lo, exec_lo, s0
	v_not_b32_e32 v32, v6
	; wave barrier
	s_delay_alu instid0(VALU_DEP_1) | instskip(NEXT) | instid1(VALU_DEP_1)
	v_lshrrev_b32_e32 v6, s16, v32
	v_and_b32_e32 v7, s6, v6
	s_delay_alu instid0(VALU_DEP_1) | instskip(SKIP_1) | instid1(VALU_DEP_1)
	v_lshlrev_b32_e32 v9, 30, v7
	v_bitop3_b32 v6, v6, 1, s6 bitop3:0x80
	v_add_co_u32 v6, s0, v6, -1
	s_delay_alu instid0(VALU_DEP_1) | instskip(NEXT) | instid1(VALU_DEP_4)
	v_cndmask_b32_e64 v8, 0, 1, s0
	v_cmp_gt_i32_e64 s0, 0, v9
	s_delay_alu instid0(VALU_DEP_2) | instskip(SKIP_1) | instid1(VALU_DEP_1)
	v_cmp_ne_u32_e32 vcc_lo, 0, v8
	v_not_b32_e32 v8, v9
	v_dual_ashrrev_i32 v8, 31, v8 :: v_dual_lshlrev_b32 v36, 29, v7
	v_dual_lshlrev_b32 v41, 28, v7 :: v_dual_lshlrev_b32 v42, 27, v7
	v_lshlrev_b32_e32 v43, 26, v7
	v_mad_u32 v47, 0x44, v7, v0
	s_delay_alu instid0(VALU_DEP_4)
	v_cmp_gt_i32_e64 s1, 0, v36
	v_not_b32_e32 v9, v36
	v_not_b32_e32 v36, v41
	v_dual_lshlrev_b32 v45, 25, v7 :: v_dual_lshlrev_b32 v7, 24, v7
	v_cmp_gt_i32_e64 s3, 0, v41
	v_cmp_gt_i32_e64 s4, 0, v42
	v_not_b32_e32 v41, v42
	v_not_b32_e32 v42, v43
	v_dual_ashrrev_i32 v9, 31, v9 :: v_dual_bitop2_b32 v6, vcc_lo, v6 bitop3:0x14
	s_delay_alu instid0(VALU_DEP_3) | instskip(NEXT) | instid1(VALU_DEP_3)
	v_dual_ashrrev_i32 v36, 31, v36 :: v_dual_ashrrev_i32 v41, 31, v41
	v_dual_ashrrev_i32 v42, 31, v42 :: v_dual_bitop2_b32 v8, s0, v8 bitop3:0x14
	v_cmp_gt_i32_e64 s5, 0, v43
	v_not_b32_e32 v43, v7
	s_delay_alu instid0(VALU_DEP_4) | instskip(NEXT) | instid1(VALU_DEP_4)
	v_xor_b32_e32 v36, s3, v36
	v_bitop3_b32 v6, v6, v8, exec_lo bitop3:0x80
	v_not_b32_e32 v8, v45
	v_xor_b32_e32 v9, s1, v9
	v_xor_b32_e32 v41, s4, v41
	;; [unrolled: 1-line block ×3, first 2 shown]
	v_cmp_gt_i32_e32 vcc_lo, 0, v45
	v_ashrrev_i32_e32 v8, 31, v8
	v_cmp_gt_i32_e64 s0, 0, v7
	v_ashrrev_i32_e32 v7, 31, v43
	v_bitop3_b32 v6, v6, v36, v9 bitop3:0x80
	s_delay_alu instid0(VALU_DEP_4) | instskip(NEXT) | instid1(VALU_DEP_3)
	v_xor_b32_e32 v8, vcc_lo, v8
	v_xor_b32_e32 v7, s0, v7
	s_delay_alu instid0(VALU_DEP_3) | instskip(SKIP_2) | instid1(VALU_DEP_1)
	v_bitop3_b32 v6, v6, v42, v41 bitop3:0x80
	ds_load_b32 v42, v47 offset:64
	; wave barrier
	v_bitop3_b32 v6, v6, v7, v8 bitop3:0x80
	v_mbcnt_lo_u32_b32 v43, v6, 0
	v_cmp_ne_u32_e64 s0, 0, v6
	s_delay_alu instid0(VALU_DEP_2) | instskip(SKIP_1) | instid1(SALU_CYCLE_1)
	v_cmp_eq_u32_e32 vcc_lo, 0, v43
	s_and_b32 s1, s0, vcc_lo
	s_and_saveexec_b32 s0, s1
	s_cbranch_execz .LBB2642_111
; %bb.110:
	s_wait_dscnt 0x0
	v_bcnt_u32_b32 v6, v6, v42
	ds_store_b32 v47, v6 offset:64
.LBB2642_111:
	s_or_b32 exec_lo, exec_lo, s0
	v_not_b32_e32 v36, v4
	; wave barrier
	s_delay_alu instid0(VALU_DEP_1) | instskip(NEXT) | instid1(VALU_DEP_1)
	v_lshrrev_b32_e32 v4, s16, v36
	v_and_b32_e32 v6, s6, v4
	s_delay_alu instid0(VALU_DEP_1) | instskip(SKIP_1) | instid1(VALU_DEP_1)
	v_lshlrev_b32_e32 v8, 30, v6
	v_bitop3_b32 v4, v4, 1, s6 bitop3:0x80
	v_add_co_u32 v4, s0, v4, -1
	s_delay_alu instid0(VALU_DEP_1) | instskip(NEXT) | instid1(VALU_DEP_4)
	v_cndmask_b32_e64 v7, 0, 1, s0
	v_cmp_gt_i32_e64 s0, 0, v8
	s_delay_alu instid0(VALU_DEP_2) | instskip(SKIP_1) | instid1(VALU_DEP_1)
	v_cmp_ne_u32_e32 vcc_lo, 0, v7
	v_not_b32_e32 v7, v8
	v_dual_ashrrev_i32 v7, 31, v7 :: v_dual_lshlrev_b32 v9, 29, v6
	v_dual_lshlrev_b32 v41, 28, v6 :: v_dual_lshlrev_b32 v45, 27, v6
	v_lshlrev_b32_e32 v46, 26, v6
	v_mad_u32 v51, 0x44, v6, v0
	s_delay_alu instid0(VALU_DEP_4)
	v_cmp_gt_i32_e64 s1, 0, v9
	v_not_b32_e32 v8, v9
	v_not_b32_e32 v9, v41
	v_dual_lshlrev_b32 v48, 25, v6 :: v_dual_lshlrev_b32 v6, 24, v6
	v_cmp_gt_i32_e64 s3, 0, v41
	v_cmp_gt_i32_e64 s4, 0, v45
	v_not_b32_e32 v41, v45
	v_not_b32_e32 v45, v46
	v_dual_ashrrev_i32 v9, 31, v9 :: v_dual_bitop2_b32 v4, vcc_lo, v4 bitop3:0x14
	v_dual_ashrrev_i32 v8, 31, v8 :: v_dual_bitop2_b32 v7, s0, v7 bitop3:0x14
	v_cmp_gt_i32_e64 s5, 0, v46
	v_ashrrev_i32_e32 v41, 31, v41
	v_not_b32_e32 v46, v6
	s_delay_alu instid0(VALU_DEP_4)
	v_xor_b32_e32 v8, s1, v8
	v_xor_b32_e32 v9, s3, v9
	v_bitop3_b32 v4, v4, v7, exec_lo bitop3:0x80
	v_not_b32_e32 v7, v48
	v_ashrrev_i32_e32 v45, 31, v45
	v_xor_b32_e32 v41, s4, v41
	v_cmp_gt_i32_e32 vcc_lo, 0, v48
	v_cmp_gt_i32_e64 s0, 0, v6
	s_delay_alu instid0(VALU_DEP_4)
	v_dual_ashrrev_i32 v7, 31, v7 :: v_dual_bitop2_b32 v45, s5, v45 bitop3:0x14
	v_ashrrev_i32_e32 v6, 31, v46
	v_bitop3_b32 v4, v4, v9, v8 bitop3:0x80
	ds_load_b32 v46, v51 offset:64
	v_xor_b32_e32 v7, vcc_lo, v7
	v_xor_b32_e32 v6, s0, v6
	v_bitop3_b32 v4, v4, v45, v41 bitop3:0x80
	; wave barrier
	s_delay_alu instid0(VALU_DEP_1) | instskip(NEXT) | instid1(VALU_DEP_1)
	v_bitop3_b32 v4, v4, v6, v7 bitop3:0x80
	v_mbcnt_lo_u32_b32 v48, v4, 0
	v_cmp_ne_u32_e64 s0, 0, v4
	s_delay_alu instid0(VALU_DEP_2) | instskip(SKIP_1) | instid1(SALU_CYCLE_1)
	v_cmp_eq_u32_e32 vcc_lo, 0, v48
	s_and_b32 s1, s0, vcc_lo
	s_and_saveexec_b32 s0, s1
	s_cbranch_execz .LBB2642_113
; %bb.112:
	s_wait_dscnt 0x0
	v_bcnt_u32_b32 v4, v4, v46
	ds_store_b32 v51, v4 offset:64
.LBB2642_113:
	s_or_b32 exec_lo, exec_lo, s0
	v_not_b32_e32 v41, v3
	; wave barrier
	s_delay_alu instid0(VALU_DEP_1) | instskip(NEXT) | instid1(VALU_DEP_1)
	v_lshrrev_b32_e32 v3, s16, v41
	v_and_b32_e32 v4, s6, v3
	s_delay_alu instid0(VALU_DEP_1) | instskip(SKIP_1) | instid1(VALU_DEP_1)
	v_lshlrev_b32_e32 v7, 30, v4
	v_bitop3_b32 v3, v3, 1, s6 bitop3:0x80
	v_add_co_u32 v3, s0, v3, -1
	s_delay_alu instid0(VALU_DEP_1) | instskip(NEXT) | instid1(VALU_DEP_4)
	v_cndmask_b32_e64 v6, 0, 1, s0
	v_cmp_gt_i32_e64 s0, 0, v7
	s_delay_alu instid0(VALU_DEP_2) | instskip(SKIP_1) | instid1(VALU_DEP_1)
	v_cmp_ne_u32_e32 vcc_lo, 0, v6
	v_not_b32_e32 v6, v7
	v_dual_ashrrev_i32 v6, 31, v6 :: v_dual_lshlrev_b32 v8, 29, v4
	v_dual_lshlrev_b32 v9, 28, v4 :: v_dual_lshlrev_b32 v45, 27, v4
	v_lshlrev_b32_e32 v49, 26, v4
	v_mad_u32 v54, 0x44, v4, v0
	s_delay_alu instid0(VALU_DEP_4)
	v_cmp_gt_i32_e64 s1, 0, v8
	v_not_b32_e32 v7, v8
	v_not_b32_e32 v8, v9
	v_dual_lshlrev_b32 v50, 25, v4 :: v_dual_lshlrev_b32 v4, 24, v4
	v_cmp_gt_i32_e64 s3, 0, v9
	v_cmp_gt_i32_e64 s4, 0, v45
	v_not_b32_e32 v9, v45
	v_not_b32_e32 v45, v49
	v_dual_ashrrev_i32 v8, 31, v8 :: v_dual_bitop2_b32 v3, vcc_lo, v3 bitop3:0x14
	v_dual_ashrrev_i32 v7, 31, v7 :: v_dual_bitop2_b32 v6, s0, v6 bitop3:0x14
	v_cmp_gt_i32_e64 s5, 0, v49
	v_ashrrev_i32_e32 v9, 31, v9
	s_delay_alu instid0(VALU_DEP_4) | instskip(NEXT) | instid1(VALU_DEP_4)
	v_dual_ashrrev_i32 v45, 31, v45 :: v_dual_bitop2_b32 v8, s3, v8 bitop3:0x14
	v_xor_b32_e32 v7, s1, v7
	v_bitop3_b32 v3, v3, v6, exec_lo bitop3:0x80
	v_not_b32_e32 v6, v50
	v_not_b32_e32 v49, v4
	v_xor_b32_e32 v9, s4, v9
	v_xor_b32_e32 v45, s5, v45
	v_bitop3_b32 v3, v3, v8, v7 bitop3:0x80
	v_cmp_gt_i32_e32 vcc_lo, 0, v50
	v_ashrrev_i32_e32 v6, 31, v6
	v_cmp_gt_i32_e64 s0, 0, v4
	v_ashrrev_i32_e32 v4, 31, v49
	v_bitop3_b32 v3, v3, v45, v9 bitop3:0x80
	ds_load_b32 v50, v54 offset:64
	v_xor_b32_e32 v6, vcc_lo, v6
	v_xor_b32_e32 v4, s0, v4
	; wave barrier
	s_delay_alu instid0(VALU_DEP_1) | instskip(NEXT) | instid1(VALU_DEP_1)
	v_bitop3_b32 v3, v3, v4, v6 bitop3:0x80
	v_mbcnt_lo_u32_b32 v52, v3, 0
	v_cmp_ne_u32_e64 s0, 0, v3
	s_delay_alu instid0(VALU_DEP_2) | instskip(SKIP_1) | instid1(SALU_CYCLE_1)
	v_cmp_eq_u32_e32 vcc_lo, 0, v52
	s_and_b32 s1, s0, vcc_lo
	s_and_saveexec_b32 s0, s1
	s_cbranch_execz .LBB2642_115
; %bb.114:
	s_wait_dscnt 0x0
	v_bcnt_u32_b32 v3, v3, v50
	ds_store_b32 v54, v3 offset:64
.LBB2642_115:
	s_or_b32 exec_lo, exec_lo, s0
	v_not_b32_e32 v45, v2
	; wave barrier
	s_delay_alu instid0(VALU_DEP_1) | instskip(NEXT) | instid1(VALU_DEP_1)
	v_lshrrev_b32_e32 v2, s16, v45
	v_and_b32_e32 v3, s6, v2
	s_delay_alu instid0(VALU_DEP_1) | instskip(SKIP_1) | instid1(VALU_DEP_1)
	v_lshlrev_b32_e32 v6, 30, v3
	v_bitop3_b32 v2, v2, 1, s6 bitop3:0x80
	v_add_co_u32 v2, s0, v2, -1
	s_delay_alu instid0(VALU_DEP_1) | instskip(NEXT) | instid1(VALU_DEP_4)
	v_cndmask_b32_e64 v4, 0, 1, s0
	v_cmp_gt_i32_e64 s0, 0, v6
	s_delay_alu instid0(VALU_DEP_2) | instskip(SKIP_1) | instid1(VALU_DEP_1)
	v_cmp_ne_u32_e32 vcc_lo, 0, v4
	v_not_b32_e32 v4, v6
	v_dual_ashrrev_i32 v4, 31, v4 :: v_dual_lshlrev_b32 v7, 29, v3
	v_dual_lshlrev_b32 v8, 28, v3 :: v_dual_lshlrev_b32 v9, 27, v3
	v_lshlrev_b32_e32 v49, 26, v3
	v_mad_u32 v56, 0x44, v3, v0
	s_delay_alu instid0(VALU_DEP_4)
	v_cmp_gt_i32_e64 s1, 0, v7
	v_not_b32_e32 v6, v7
	v_not_b32_e32 v7, v8
	v_dual_lshlrev_b32 v53, 25, v3 :: v_dual_lshlrev_b32 v3, 24, v3
	v_cmp_gt_i32_e64 s3, 0, v8
	v_cmp_gt_i32_e64 s4, 0, v9
	v_not_b32_e32 v8, v9
	v_not_b32_e32 v9, v49
	v_dual_ashrrev_i32 v7, 31, v7 :: v_dual_bitop2_b32 v2, vcc_lo, v2 bitop3:0x14
	v_dual_ashrrev_i32 v6, 31, v6 :: v_dual_bitop2_b32 v4, s0, v4 bitop3:0x14
	v_cmp_gt_i32_e64 s5, 0, v49
	s_delay_alu instid0(VALU_DEP_4)
	v_dual_ashrrev_i32 v8, 31, v8 :: v_dual_ashrrev_i32 v9, 31, v9
	v_not_b32_e32 v49, v3
	v_xor_b32_e32 v7, s3, v7
	v_bitop3_b32 v2, v2, v4, exec_lo bitop3:0x80
	v_not_b32_e32 v4, v53
	v_xor_b32_e32 v6, s1, v6
	v_xor_b32_e32 v8, s4, v8
	v_xor_b32_e32 v9, s5, v9
	v_cmp_gt_i32_e32 vcc_lo, 0, v53
	v_ashrrev_i32_e32 v4, 31, v4
	v_cmp_gt_i32_e64 s0, 0, v3
	v_ashrrev_i32_e32 v3, 31, v49
	v_bitop3_b32 v2, v2, v7, v6 bitop3:0x80
	ds_load_b32 v53, v56 offset:64
	v_xor_b32_e32 v4, vcc_lo, v4
	v_xor_b32_e32 v3, s0, v3
	v_bitop3_b32 v2, v2, v9, v8 bitop3:0x80
	; wave barrier
	s_delay_alu instid0(VALU_DEP_1) | instskip(NEXT) | instid1(VALU_DEP_1)
	v_bitop3_b32 v2, v2, v3, v4 bitop3:0x80
	v_mbcnt_lo_u32_b32 v55, v2, 0
	v_cmp_ne_u32_e64 s0, 0, v2
	s_delay_alu instid0(VALU_DEP_2) | instskip(SKIP_1) | instid1(SALU_CYCLE_1)
	v_cmp_eq_u32_e32 vcc_lo, 0, v55
	s_and_b32 s1, s0, vcc_lo
	s_and_saveexec_b32 s0, s1
	s_cbranch_execz .LBB2642_117
; %bb.116:
	s_wait_dscnt 0x0
	v_bcnt_u32_b32 v2, v2, v53
	ds_store_b32 v56, v2 offset:64
.LBB2642_117:
	s_or_b32 exec_lo, exec_lo, s0
	v_not_b32_e32 v49, v1
	; wave barrier
	s_delay_alu instid0(VALU_DEP_1) | instskip(NEXT) | instid1(VALU_DEP_1)
	v_lshrrev_b32_e32 v1, s16, v49
	v_and_b32_e32 v2, s6, v1
	s_delay_alu instid0(VALU_DEP_1) | instskip(SKIP_2) | instid1(VALU_DEP_2)
	v_lshlrev_b32_e32 v3, 30, v2
	v_bitop3_b32 v1, v1, 1, s6 bitop3:0x80
	v_mad_u32 v59, 0x44, v2, v0
	v_add_co_u32 v0, s0, v1, -1
	s_delay_alu instid0(VALU_DEP_1) | instskip(SKIP_4) | instid1(VALU_DEP_1)
	v_cndmask_b32_e64 v1, 0, 1, s0
	v_cmp_gt_i32_e64 s0, 0, v3
	ds_load_b32 v57, v59 offset:64
	v_cmp_ne_u32_e32 vcc_lo, 0, v1
	v_not_b32_e32 v1, v3
	; wave barrier
	v_dual_ashrrev_i32 v1, 31, v1 :: v_dual_lshlrev_b32 v4, 29, v2
	v_dual_lshlrev_b32 v6, 28, v2 :: v_dual_lshlrev_b32 v7, 27, v2
	v_dual_lshlrev_b32 v8, 26, v2 :: v_dual_lshlrev_b32 v9, 25, v2
	v_lshlrev_b32_e32 v2, 24, v2
	s_delay_alu instid0(VALU_DEP_4)
	v_cmp_gt_i32_e64 s1, 0, v4
	v_not_b32_e32 v3, v4
	v_not_b32_e32 v4, v6
	v_cmp_gt_i32_e64 s3, 0, v6
	v_cmp_gt_i32_e64 s4, 0, v7
	v_not_b32_e32 v6, v7
	v_not_b32_e32 v7, v8
	v_dual_ashrrev_i32 v3, 31, v3 :: v_dual_bitop2_b32 v0, vcc_lo, v0 bitop3:0x14
	v_dual_ashrrev_i32 v4, 31, v4 :: v_dual_bitop2_b32 v1, s0, v1 bitop3:0x14
	v_cmp_gt_i32_e64 s5, 0, v8
	s_delay_alu instid0(VALU_DEP_4) | instskip(NEXT) | instid1(VALU_DEP_3)
	v_dual_ashrrev_i32 v6, 31, v6 :: v_dual_ashrrev_i32 v7, 31, v7
	v_xor_b32_e32 v4, s3, v4
	s_delay_alu instid0(VALU_DEP_4)
	v_bitop3_b32 v0, v0, v1, exec_lo bitop3:0x80
	v_not_b32_e32 v1, v9
	v_xor_b32_e32 v3, s1, v3
	v_not_b32_e32 v8, v2
	v_xor_b32_e32 v6, s4, v6
	v_xor_b32_e32 v7, s5, v7
	v_cmp_gt_i32_e32 vcc_lo, 0, v9
	v_ashrrev_i32_e32 v1, 31, v1
	v_bitop3_b32 v0, v0, v4, v3 bitop3:0x80
	v_cmp_gt_i32_e64 s0, 0, v2
	s_delay_alu instid0(VALU_DEP_3) | instskip(NEXT) | instid1(VALU_DEP_3)
	v_dual_ashrrev_i32 v2, 31, v8 :: v_dual_bitop2_b32 v1, vcc_lo, v1 bitop3:0x14
	v_bitop3_b32 v0, v0, v7, v6 bitop3:0x80
	s_delay_alu instid0(VALU_DEP_2) | instskip(NEXT) | instid1(VALU_DEP_1)
	v_xor_b32_e32 v2, s0, v2
	v_bitop3_b32 v0, v0, v2, v1 bitop3:0x80
	s_delay_alu instid0(VALU_DEP_1) | instskip(SKIP_1) | instid1(VALU_DEP_2)
	v_mbcnt_lo_u32_b32 v58, v0, 0
	v_cmp_ne_u32_e64 s0, 0, v0
	v_cmp_eq_u32_e32 vcc_lo, 0, v58
	s_and_b32 s1, s0, vcc_lo
	s_delay_alu instid0(SALU_CYCLE_1)
	s_and_saveexec_b32 s0, s1
	s_cbranch_execz .LBB2642_119
; %bb.118:
	s_wait_dscnt 0x0
	v_bcnt_u32_b32 v0, v0, v57
	ds_store_b32 v59, v0 offset:64
.LBB2642_119:
	s_or_b32 exec_lo, exec_lo, s0
	; wave barrier
	s_wait_dscnt 0x0
	s_barrier_signal -1
	s_barrier_wait -1
	ds_load_2addr_b32 v[8:9], v10 offset0:16 offset1:17
	ds_load_2addr_b32 v[6:7], v10 offset0:18 offset1:19
	;; [unrolled: 1-line block ×4, first 2 shown]
	ds_load_b32 v4, v10 offset:96
	v_min_u32_e32 v16, 0x1e0, v16
	s_mov_b32 s5, exec_lo
	s_wait_dscnt 0x3
	v_add3_u32 v60, v9, v8, v6
	s_wait_dscnt 0x2
	s_delay_alu instid0(VALU_DEP_1) | instskip(SKIP_1) | instid1(VALU_DEP_1)
	v_add3_u32 v60, v60, v7, v2
	s_wait_dscnt 0x1
	v_add3_u32 v60, v60, v3, v0
	s_wait_dscnt 0x0
	s_delay_alu instid0(VALU_DEP_1) | instskip(SKIP_1) | instid1(VALU_DEP_2)
	v_add3_u32 v4, v60, v1, v4
	v_and_b32_e32 v60, 15, v15
	v_mov_b32_dpp v61, v4 row_shr:1 row_mask:0xf bank_mask:0xf
	s_delay_alu instid0(VALU_DEP_2) | instskip(NEXT) | instid1(VALU_DEP_2)
	v_cmp_eq_u32_e32 vcc_lo, 0, v60
	v_cndmask_b32_e64 v61, v61, 0, vcc_lo
	s_delay_alu instid0(VALU_DEP_1) | instskip(SKIP_3) | instid1(VALU_DEP_4)
	v_add_nc_u32_e32 v4, v61, v4
	v_cmp_lt_u32_e64 s0, 1, v60
	v_cmp_lt_u32_e64 s1, 3, v60
	;; [unrolled: 1-line block ×3, first 2 shown]
	v_mov_b32_dpp v61, v4 row_shr:2 row_mask:0xf bank_mask:0xf
	s_delay_alu instid0(VALU_DEP_1) | instskip(NEXT) | instid1(VALU_DEP_1)
	v_cndmask_b32_e64 v61, 0, v61, s0
	v_add_nc_u32_e32 v4, v4, v61
	s_delay_alu instid0(VALU_DEP_1) | instskip(NEXT) | instid1(VALU_DEP_1)
	v_mov_b32_dpp v61, v4 row_shr:4 row_mask:0xf bank_mask:0xf
	v_cndmask_b32_e64 v61, 0, v61, s1
	s_delay_alu instid0(VALU_DEP_1) | instskip(NEXT) | instid1(VALU_DEP_1)
	v_add_nc_u32_e32 v4, v4, v61
	v_mov_b32_dpp v61, v4 row_shr:8 row_mask:0xf bank_mask:0xf
	s_delay_alu instid0(VALU_DEP_1) | instskip(SKIP_1) | instid1(VALU_DEP_2)
	v_cndmask_b32_e64 v60, 0, v61, s3
	v_bfe_i32 v61, v15, 4, 1
	v_add_nc_u32_e32 v4, v4, v60
	ds_swizzle_b32 v60, v4 offset:swizzle(BROADCAST,32,15)
	s_wait_dscnt 0x0
	v_dual_lshrrev_b32 v60, 5, v14 :: v_dual_bitop2_b32 v61, v61, v60 bitop3:0x40
	s_delay_alu instid0(VALU_DEP_1) | instskip(NEXT) | instid1(VALU_DEP_1)
	v_dual_add_nc_u32 v16, v4, v61 :: v_dual_bitop2_b32 v62, 31, v16 bitop3:0x54
	v_cmpx_eq_u32_e64 v14, v62
; %bb.120:
	s_delay_alu instid0(VALU_DEP_3)
	v_lshlrev_b32_e32 v4, 2, v60
	ds_store_b32 v4, v16
; %bb.121:
	s_or_b32 exec_lo, exec_lo, s5
	v_lshlrev_b32_e32 v4, 2, v14
	s_mov_b32 s5, exec_lo
	s_wait_dscnt 0x0
	s_barrier_signal -1
	s_barrier_wait -1
	v_cmpx_gt_u32_e32 16, v14
	s_cbranch_execz .LBB2642_123
; %bb.122:
	ds_load_b32 v61, v4
	s_wait_dscnt 0x0
	v_mov_b32_dpp v62, v61 row_shr:1 row_mask:0xf bank_mask:0xf
	s_delay_alu instid0(VALU_DEP_1) | instskip(NEXT) | instid1(VALU_DEP_1)
	v_cndmask_b32_e64 v62, v62, 0, vcc_lo
	v_add_nc_u32_e32 v61, v62, v61
	s_delay_alu instid0(VALU_DEP_1) | instskip(NEXT) | instid1(VALU_DEP_1)
	v_mov_b32_dpp v62, v61 row_shr:2 row_mask:0xf bank_mask:0xf
	v_cndmask_b32_e64 v62, 0, v62, s0
	s_delay_alu instid0(VALU_DEP_1) | instskip(NEXT) | instid1(VALU_DEP_1)
	v_add_nc_u32_e32 v61, v61, v62
	v_mov_b32_dpp v62, v61 row_shr:4 row_mask:0xf bank_mask:0xf
	s_delay_alu instid0(VALU_DEP_1) | instskip(NEXT) | instid1(VALU_DEP_1)
	v_cndmask_b32_e64 v62, 0, v62, s1
	v_add_nc_u32_e32 v61, v61, v62
	s_delay_alu instid0(VALU_DEP_1) | instskip(NEXT) | instid1(VALU_DEP_1)
	v_mov_b32_dpp v62, v61 row_shr:8 row_mask:0xf bank_mask:0xf
	v_cndmask_b32_e64 v62, 0, v62, s3
	s_delay_alu instid0(VALU_DEP_1)
	v_add_nc_u32_e32 v61, v61, v62
	ds_store_b32 v4, v61
.LBB2642_123:
	s_or_b32 exec_lo, exec_lo, s5
	v_mov_b32_e32 v61, 0
	s_mov_b32 s0, exec_lo
	s_wait_dscnt 0x0
	s_barrier_signal -1
	s_barrier_wait -1
	v_cmpx_lt_u32_e32 31, v14
; %bb.124:
	v_lshl_add_u32 v60, v60, 2, -4
	ds_load_b32 v61, v60
; %bb.125:
	s_or_b32 exec_lo, exec_lo, s0
	v_sub_co_u32 v60, vcc_lo, v15, 1
	s_wait_dscnt 0x0
	v_add_nc_u32_e32 v16, v61, v16
	s_delay_alu instid0(VALU_DEP_2) | instskip(NEXT) | instid1(VALU_DEP_1)
	v_cmp_gt_i32_e64 s0, 0, v60
	v_cndmask_b32_e64 v15, v60, v15, s0
	v_cmp_lt_u32_e64 s0, 0xff, v14
	s_delay_alu instid0(VALU_DEP_2) | instskip(SKIP_4) | instid1(VALU_DEP_2)
	v_lshlrev_b32_e32 v15, 2, v15
	ds_bpermute_b32 v15, v15, v16
	s_wait_dscnt 0x0
	v_cndmask_b32_e32 v15, v15, v61, vcc_lo
	v_cmp_gt_u32_e32 vcc_lo, 0x100, v14
	v_cndmask_b32_e64 v15, v15, 0, s2
	s_delay_alu instid0(VALU_DEP_1) | instskip(NEXT) | instid1(VALU_DEP_1)
	v_add_nc_u32_e32 v8, v15, v8
	v_add_nc_u32_e32 v9, v8, v9
	s_delay_alu instid0(VALU_DEP_1) | instskip(NEXT) | instid1(VALU_DEP_1)
	v_add_nc_u32_e32 v6, v9, v6
	v_add_nc_u32_e32 v7, v6, v7
	s_delay_alu instid0(VALU_DEP_1) | instskip(NEXT) | instid1(VALU_DEP_1)
	v_add_nc_u32_e32 v2, v7, v2
	v_add_nc_u32_e32 v3, v2, v3
	s_delay_alu instid0(VALU_DEP_1) | instskip(NEXT) | instid1(VALU_DEP_1)
	v_add_nc_u32_e32 v0, v3, v0
	v_add_nc_u32_e32 v1, v0, v1
	ds_store_2addr_b32 v10, v15, v8 offset0:16 offset1:17
	ds_store_2addr_b32 v10, v9, v6 offset0:18 offset1:19
	;; [unrolled: 1-line block ×4, first 2 shown]
	ds_store_b32 v10, v1 offset:96
	s_wait_dscnt 0x0
	s_barrier_signal -1
	s_barrier_wait -1
	ds_load_b32 v62, v11 offset:64
	ds_load_b32 v60, v12 offset:64
	;; [unrolled: 1-line block ×12, first 2 shown]
	v_mov_b64_e32 v[0:1], 0
                                        ; implicit-def: $vgpr2
	s_and_saveexec_b32 s2, vcc_lo
	s_cbranch_execz .LBB2642_129
; %bb.126:
	v_mul_u32_u24_e32 v0, 0x44, v14
	v_dual_mov_b32 v1, 0x1800 :: v_dual_add_nc_u32 v2, 1, v14
	s_mov_b32 s3, exec_lo
	ds_load_b32 v0, v0 offset:64
	v_cmpx_ne_u32_e32 0x100, v2
; %bb.127:
	v_mul_u32_u24_e32 v1, 0x44, v2
	ds_load_b32 v1, v1 offset:64
; %bb.128:
	s_or_b32 exec_lo, exec_lo, s3
	s_wait_dscnt 0x0
	v_dual_mov_b32 v1, 0 :: v_dual_sub_nc_u32 v2, v1, v0
.LBB2642_129:
	s_or_b32 exec_lo, exec_lo, s2
	v_dual_mov_b32 v7, 0 :: v_dual_lshlrev_b32 v3, 3, v14
	s_wait_dscnt 0x0
	s_barrier_signal -1
	s_barrier_wait -1
	s_and_saveexec_b32 s1, vcc_lo
	s_cbranch_execz .LBB2642_139
; %bb.130:
	v_lshl_add_u32 v6, s19, 8, v14
	v_dual_mov_b32 v10, 0 :: v_dual_bitop2_b32 v11, 2.0, v2 bitop3:0x54
	s_mov_b32 s2, 0
	s_mov_b32 s3, s19
	s_delay_alu instid0(VALU_DEP_2)
	v_lshl_add_u64 v[8:9], v[6:7], 2, s[20:21]
	global_store_b32 v6, v11, s[20:21] scale_offset scope:SCOPE_DEV
                                        ; implicit-def: $sgpr4
	s_branch .LBB2642_133
.LBB2642_131:                           ;   in Loop: Header=BB2642_133 Depth=1
	s_or_b32 exec_lo, exec_lo, s5
.LBB2642_132:                           ;   in Loop: Header=BB2642_133 Depth=1
	s_delay_alu instid0(SALU_CYCLE_1) | instskip(SKIP_2) | instid1(VALU_DEP_2)
	s_or_b32 exec_lo, exec_lo, s4
	v_and_b32_e32 v6, 0x3fffffff, v11
	v_cmp_gt_i32_e64 s4, -2.0, v11
	v_add_nc_u32_e32 v10, v6, v10
	s_and_b32 s5, exec_lo, s4
	s_delay_alu instid0(SALU_CYCLE_1) | instskip(NEXT) | instid1(SALU_CYCLE_1)
	s_or_b32 s2, s5, s2
	s_and_not1_b32 exec_lo, exec_lo, s2
	s_cbranch_execz .LBB2642_138
.LBB2642_133:                           ; =>This Loop Header: Depth=1
                                        ;     Child Loop BB2642_136 Depth 2
	s_or_b32 s4, s4, exec_lo
	s_cmp_eq_u32 s3, 0
	s_cbranch_scc1 .LBB2642_137
; %bb.134:                              ;   in Loop: Header=BB2642_133 Depth=1
	s_add_co_i32 s3, s3, -1
	s_mov_b32 s4, exec_lo
	s_wait_xcnt 0x0
	v_lshl_or_b32 v6, s3, 8, v14
	global_load_b32 v11, v6, s[20:21] scale_offset scope:SCOPE_DEV
	s_wait_loadcnt 0x0
	v_cmpx_gt_u32_e32 2.0, v11
	s_cbranch_execz .LBB2642_132
; %bb.135:                              ;   in Loop: Header=BB2642_133 Depth=1
	v_lshl_add_u64 v[12:13], v[6:7], 2, s[20:21]
	s_mov_b32 s5, 0
.LBB2642_136:                           ;   Parent Loop BB2642_133 Depth=1
                                        ; =>  This Inner Loop Header: Depth=2
	global_load_b32 v11, v[12:13], off scope:SCOPE_DEV
	s_wait_loadcnt 0x0
	v_cmp_lt_u32_e32 vcc_lo, 0x3fffffff, v11
	s_or_b32 s5, vcc_lo, s5
	s_wait_xcnt 0x0
	s_and_not1_b32 exec_lo, exec_lo, s5
	s_cbranch_execnz .LBB2642_136
	s_branch .LBB2642_131
.LBB2642_137:                           ;   in Loop: Header=BB2642_133 Depth=1
                                        ; implicit-def: $sgpr3
	s_and_b32 s5, exec_lo, s4
	s_delay_alu instid0(SALU_CYCLE_1)
	s_or_b32 s2, s5, s2
	s_wait_xcnt 0x0
	s_and_not1_b32 exec_lo, exec_lo, s2
	s_cbranch_execnz .LBB2642_133
.LBB2642_138:
	s_or_b32 exec_lo, exec_lo, s2
	v_dual_mov_b32 v11, 0 :: v_dual_add_nc_u32 v6, v10, v2
	s_delay_alu instid0(VALU_DEP_1) | instskip(SKIP_4) | instid1(VALU_DEP_1)
	v_or_b32_e32 v6, 0x80000000, v6
	global_store_b32 v[8:9], v6, off scope:SCOPE_DEV
	global_load_b64 v[6:7], v14, s[8:9] scale_offset
	v_sub_nc_u64_e32 v[8:9], v[10:11], v[0:1]
	s_wait_loadcnt 0x0
	v_add_nc_u64_e32 v[6:7], v[8:9], v[6:7]
	ds_store_b64 v3, v[6:7]
.LBB2642_139:
	s_wait_xcnt 0x0
	s_or_b32 exec_lo, exec_lo, s1
	v_dual_add_nc_u32 v6, v62, v5 :: v_dual_sub_nc_u32 v56, 0, v4
	v_mov_b32_e32 v5, 0
	v_add3_u32 v21, v22, v60, v21
	v_add3_u32 v7, v58, v54, v57
	;; [unrolled: 1-line block ×3, first 2 shown]
	v_add_nc_u32_e32 v22, v3, v56
	v_add_nc_u64_e32 v[4:5], s[14:15], v[4:5]
	v_add3_u32 v9, v52, v47, v50
	v_add3_u32 v10, v48, v44, v46
	;; [unrolled: 1-line block ×6, first 2 shown]
	v_add_nc_u64_e32 v[4:5], 0x2000, v[4:5]
	v_add3_u32 v16, v28, v16, v27
	v_add3_u32 v24, v25, v61, v24
	v_mov_b32_e32 v25, v14
	s_mov_b32 s1, 0
	s_mov_b32 s2, -1
	s_branch .LBB2642_141
.LBB2642_140:                           ;   in Loop: Header=BB2642_141 Depth=1
	s_wait_xcnt 0x0
	s_or_b32 exec_lo, exec_lo, s3
	v_add_nc_u64_e32 v[4:5], 0x4000, v[4:5]
	v_add_nc_u32_e32 v25, 0x1000, v25
	s_xor_b32 s2, s2, -1
	s_addk_co_i32 s1, 0xf000
	s_and_b32 vcc_lo, exec_lo, s2
	s_mov_b32 s2, 0
	s_wait_storecnt 0x0
	s_barrier_signal -1
	s_barrier_wait -1
	s_cbranch_vccnz .LBB2642_151
.LBB2642_141:                           ; =>This Inner Loop Header: Depth=1
	v_add_min_u32_e64 v27, v6, s1, 0x1000
	v_add_min_u32_e64 v28, v21, s1, 0x1000
	;; [unrolled: 1-line block ×5, first 2 shown]
	s_delay_alu instid0(VALU_DEP_4)
	v_dual_lshlrev_b32 v27, 2, v27 :: v_dual_lshlrev_b32 v28, 2, v28
	v_add_min_u32_e64 v34, v13, s1, 0x1000
	v_add_min_u32_e64 v35, v12, s1, 0x1000
	s_mov_b32 s3, exec_lo
	ds_store_b32 v27, v17 offset:2048
	ds_store_b32 v28, v18 offset:2048
	v_dual_lshlrev_b32 v27, 2, v30 :: v_dual_lshlrev_b32 v28, 2, v31
	v_dual_lshlrev_b32 v30, 2, v33 :: v_dual_lshlrev_b32 v31, 2, v34
	v_lshlrev_b32_e32 v33, 2, v35
	ds_store_b32 v27, v19 offset:2048
	ds_store_b32 v28, v20 offset:2048
	;; [unrolled: 1-line block ×5, first 2 shown]
	v_add_min_u32_e64 v27, v11, s1, 0x1000
	v_add_min_u32_e64 v28, v10, s1, 0x1000
	;; [unrolled: 1-line block ×5, first 2 shown]
	s_delay_alu instid0(VALU_DEP_4) | instskip(NEXT) | instid1(VALU_DEP_3)
	v_dual_lshlrev_b32 v27, 2, v27 :: v_dual_lshlrev_b32 v28, 2, v28
	v_dual_lshlrev_b32 v30, 2, v30 :: v_dual_lshlrev_b32 v31, 2, v31
	s_delay_alu instid0(VALU_DEP_3)
	v_lshlrev_b32_e32 v33, 2, v33
	ds_store_b32 v27, v32 offset:2048
	ds_store_b32 v28, v36 offset:2048
	;; [unrolled: 1-line block ×5, first 2 shown]
	s_wait_storecnt_dscnt 0x0
	s_barrier_signal -1
	s_barrier_wait -1
	ds_load_2addr_stride64_b32 v[30:31], v22 offset0:8 offset1:16
	s_wait_dscnt 0x0
	v_dual_lshrrev_b32 v27, s16, v31 :: v_dual_lshrrev_b32 v28, s16, v30
	s_delay_alu instid0(VALU_DEP_1) | instskip(NEXT) | instid1(VALU_DEP_1)
	v_and_b32_e32 v28, s6, v28
	v_dual_lshlrev_b32 v28, 3, v28 :: v_dual_bitop2_b32 v27, s6, v27 bitop3:0x40
	s_delay_alu instid0(VALU_DEP_1)
	v_lshlrev_b32_e32 v27, 3, v27
	ds_load_b64 v[34:35], v27
	ds_load_b32 v27, v22 offset:6144
	s_wait_dscnt 0x0
	v_lshrrev_b32_e32 v33, s16, v27
	v_not_b32_e32 v27, v27
	s_delay_alu instid0(VALU_DEP_2) | instskip(NEXT) | instid1(VALU_DEP_1)
	v_and_b32_e32 v33, s6, v33
	v_lshlrev_b32_e32 v33, 3, v33
	ds_load_b64 v[38:39], v28
	ds_load_b64 v[42:43], v33
	v_not_b32_e32 v28, v30
	v_not_b32_e32 v33, v31
	v_lshl_add_u64 v[30:31], v[34:35], 2, v[4:5]
	s_wait_dscnt 0x1
	v_lshl_add_u64 v[38:39], v[38:39], 2, v[4:5]
	s_wait_dscnt 0x0
	v_lshl_add_u64 v[34:35], v[42:43], 2, v[4:5]
	s_clause 0x2
	global_store_b32 v[38:39], v28, off offset:-8192
	global_store_b32 v[30:31], v33, off offset:-6144
	;; [unrolled: 1-line block ×3, first 2 shown]
	s_wait_xcnt 0x0
	v_cmpx_gt_u32_e32 0x1200, v25
	s_cbranch_execz .LBB2642_143
; %bb.142:                              ;   in Loop: Header=BB2642_141 Depth=1
	ds_load_b32 v27, v22 offset:8192
	s_wait_dscnt 0x0
	v_lshrrev_b32_e32 v28, s16, v27
	v_not_b32_e32 v27, v27
	s_delay_alu instid0(VALU_DEP_2) | instskip(NEXT) | instid1(VALU_DEP_1)
	v_and_b32_e32 v28, s6, v28
	v_lshlrev_b32_e32 v28, 3, v28
	ds_load_b64 v[30:31], v28
	s_wait_dscnt 0x0
	v_lshl_add_u64 v[30:31], v[30:31], 2, v[4:5]
	global_store_b32 v[30:31], v27, off offset:-2048
.LBB2642_143:                           ;   in Loop: Header=BB2642_141 Depth=1
	s_wait_xcnt 0x0
	s_or_b32 exec_lo, exec_lo, s3
	v_add_nc_u32_e32 v27, 0x800, v25
	s_mov_b32 s3, exec_lo
	s_delay_alu instid0(VALU_DEP_1)
	v_cmpx_gt_u32_e32 0x1800, v27
	s_cbranch_execz .LBB2642_145
; %bb.144:                              ;   in Loop: Header=BB2642_141 Depth=1
	ds_load_b32 v27, v22 offset:10240
	s_wait_dscnt 0x0
	v_lshrrev_b32_e32 v28, s16, v27
	v_not_b32_e32 v27, v27
	s_delay_alu instid0(VALU_DEP_2) | instskip(NEXT) | instid1(VALU_DEP_1)
	v_and_b32_e32 v28, s6, v28
	v_lshlrev_b32_e32 v28, 3, v28
	ds_load_b64 v[30:31], v28
	s_wait_dscnt 0x0
	v_lshl_add_u64 v[30:31], v[30:31], 2, v[4:5]
	global_store_b32 v[30:31], v27, off
.LBB2642_145:                           ;   in Loop: Header=BB2642_141 Depth=1
	s_wait_xcnt 0x0
	s_or_b32 exec_lo, exec_lo, s3
	s_delay_alu instid0(SALU_CYCLE_1)
	s_mov_b32 s3, exec_lo
	v_cmpx_gt_u32_e32 0xe00, v25
	s_cbranch_execz .LBB2642_147
; %bb.146:                              ;   in Loop: Header=BB2642_141 Depth=1
	ds_load_b32 v27, v22 offset:12288
	s_wait_dscnt 0x0
	v_lshrrev_b32_e32 v28, s16, v27
	v_not_b32_e32 v27, v27
	s_delay_alu instid0(VALU_DEP_2) | instskip(NEXT) | instid1(VALU_DEP_1)
	v_and_b32_e32 v28, s6, v28
	v_lshlrev_b32_e32 v28, 3, v28
	ds_load_b64 v[30:31], v28
	s_wait_dscnt 0x0
	v_lshl_add_u64 v[30:31], v[30:31], 2, v[4:5]
	global_store_b32 v[30:31], v27, off offset:2048
.LBB2642_147:                           ;   in Loop: Header=BB2642_141 Depth=1
	s_wait_xcnt 0x0
	s_or_b32 exec_lo, exec_lo, s3
	v_add_nc_u32_e32 v27, 0xc00, v25
	s_mov_b32 s3, exec_lo
	s_delay_alu instid0(VALU_DEP_1)
	v_cmpx_gt_u32_e32 0x1800, v27
	s_cbranch_execz .LBB2642_149
; %bb.148:                              ;   in Loop: Header=BB2642_141 Depth=1
	ds_load_b32 v27, v22 offset:14336
	s_wait_dscnt 0x0
	v_lshrrev_b32_e32 v28, s16, v27
	v_not_b32_e32 v27, v27
	s_delay_alu instid0(VALU_DEP_2) | instskip(NEXT) | instid1(VALU_DEP_1)
	v_and_b32_e32 v28, s6, v28
	v_lshlrev_b32_e32 v28, 3, v28
	ds_load_b64 v[30:31], v28
	s_wait_dscnt 0x0
	v_lshl_add_u64 v[30:31], v[30:31], 2, v[4:5]
	global_store_b32 v[30:31], v27, off offset:4096
.LBB2642_149:                           ;   in Loop: Header=BB2642_141 Depth=1
	s_wait_xcnt 0x0
	s_or_b32 exec_lo, exec_lo, s3
	s_delay_alu instid0(SALU_CYCLE_1)
	s_mov_b32 s3, exec_lo
	v_cmpx_gt_u32_e32 0xa00, v25
	s_cbranch_execz .LBB2642_140
; %bb.150:                              ;   in Loop: Header=BB2642_141 Depth=1
	ds_load_b32 v27, v22 offset:16384
	s_wait_dscnt 0x0
	v_lshrrev_b32_e32 v28, s16, v27
	v_not_b32_e32 v27, v27
	s_delay_alu instid0(VALU_DEP_2) | instskip(NEXT) | instid1(VALU_DEP_1)
	v_and_b32_e32 v28, s6, v28
	v_lshlrev_b32_e32 v28, 3, v28
	ds_load_b64 v[30:31], v28
	s_wait_dscnt 0x0
	v_lshl_add_u64 v[30:31], v[30:31], 2, v[4:5]
	global_store_b32 v[30:31], v27, off offset:6144
	s_branch .LBB2642_140
.LBB2642_151:
	s_add_co_i32 s12, s12, -1
	s_delay_alu instid0(SALU_CYCLE_1) | instskip(SKIP_2) | instid1(SALU_CYCLE_1)
	s_cmp_eq_u32 s19, s12
	s_cselect_b32 s1, -1, 0
	s_xor_b32 s0, s0, -1
	s_and_b32 s0, s0, s1
	s_delay_alu instid0(SALU_CYCLE_1)
	s_and_saveexec_b32 s1, s0
	s_cbranch_execz .LBB2642_153
; %bb.152:
	ds_load_b64 v[4:5], v3
	v_mov_b32_e32 v3, 0
	s_delay_alu instid0(VALU_DEP_1) | instskip(SKIP_1) | instid1(VALU_DEP_1)
	v_add_nc_u64_e32 v[0:1], v[0:1], v[2:3]
	s_wait_dscnt 0x0
	v_add_nc_u64_e32 v[0:1], v[0:1], v[4:5]
	global_store_b64 v14, v[0:1], s[10:11] scale_offset
.LBB2642_153:
	s_sendmsg sendmsg(MSG_DEALLOC_VGPRS)
	s_endpgm
	.section	.rodata,"a",@progbits
	.p2align	6, 0x0
	.amdhsa_kernel _ZN7rocprim17ROCPRIM_400000_NS6detail17trampoline_kernelINS0_14default_configENS1_35radix_sort_onesweep_config_selectorIjNS0_10empty_typeEEEZZNS1_29radix_sort_onesweep_iterationIS3_Lb1EPKjPjPS5_SB_mNS0_19identity_decomposerENS1_16block_id_wrapperIjLb1EEEEE10hipError_tT1_PNSt15iterator_traitsISG_E10value_typeET2_T3_PNSH_ISM_E10value_typeET4_T5_PSR_SS_PNS1_23onesweep_lookback_stateEbbT6_jjT7_P12ihipStream_tbENKUlT_T0_SG_SL_E_clISA_SA_SB_SB_EEDaSZ_S10_SG_SL_EUlSZ_E_NS1_11comp_targetILNS1_3genE0ELNS1_11target_archE4294967295ELNS1_3gpuE0ELNS1_3repE0EEENS1_47radix_sort_onesweep_sort_config_static_selectorELNS0_4arch9wavefront6targetE0EEEvSG_
		.amdhsa_group_segment_fixed_size 18504
		.amdhsa_private_segment_fixed_size 0
		.amdhsa_kernarg_size 344
		.amdhsa_user_sgpr_count 2
		.amdhsa_user_sgpr_dispatch_ptr 0
		.amdhsa_user_sgpr_queue_ptr 0
		.amdhsa_user_sgpr_kernarg_segment_ptr 1
		.amdhsa_user_sgpr_dispatch_id 0
		.amdhsa_user_sgpr_kernarg_preload_length 0
		.amdhsa_user_sgpr_kernarg_preload_offset 0
		.amdhsa_user_sgpr_private_segment_size 0
		.amdhsa_wavefront_size32 1
		.amdhsa_uses_dynamic_stack 0
		.amdhsa_enable_private_segment 0
		.amdhsa_system_sgpr_workgroup_id_x 1
		.amdhsa_system_sgpr_workgroup_id_y 0
		.amdhsa_system_sgpr_workgroup_id_z 0
		.amdhsa_system_sgpr_workgroup_info 0
		.amdhsa_system_vgpr_workitem_id 2
		.amdhsa_next_free_vgpr 65
		.amdhsa_next_free_sgpr 29
		.amdhsa_named_barrier_count 0
		.amdhsa_reserve_vcc 1
		.amdhsa_float_round_mode_32 0
		.amdhsa_float_round_mode_16_64 0
		.amdhsa_float_denorm_mode_32 3
		.amdhsa_float_denorm_mode_16_64 3
		.amdhsa_fp16_overflow 0
		.amdhsa_memory_ordered 1
		.amdhsa_forward_progress 1
		.amdhsa_inst_pref_size 122
		.amdhsa_round_robin_scheduling 0
		.amdhsa_exception_fp_ieee_invalid_op 0
		.amdhsa_exception_fp_denorm_src 0
		.amdhsa_exception_fp_ieee_div_zero 0
		.amdhsa_exception_fp_ieee_overflow 0
		.amdhsa_exception_fp_ieee_underflow 0
		.amdhsa_exception_fp_ieee_inexact 0
		.amdhsa_exception_int_div_zero 0
	.end_amdhsa_kernel
	.section	.text._ZN7rocprim17ROCPRIM_400000_NS6detail17trampoline_kernelINS0_14default_configENS1_35radix_sort_onesweep_config_selectorIjNS0_10empty_typeEEEZZNS1_29radix_sort_onesweep_iterationIS3_Lb1EPKjPjPS5_SB_mNS0_19identity_decomposerENS1_16block_id_wrapperIjLb1EEEEE10hipError_tT1_PNSt15iterator_traitsISG_E10value_typeET2_T3_PNSH_ISM_E10value_typeET4_T5_PSR_SS_PNS1_23onesweep_lookback_stateEbbT6_jjT7_P12ihipStream_tbENKUlT_T0_SG_SL_E_clISA_SA_SB_SB_EEDaSZ_S10_SG_SL_EUlSZ_E_NS1_11comp_targetILNS1_3genE0ELNS1_11target_archE4294967295ELNS1_3gpuE0ELNS1_3repE0EEENS1_47radix_sort_onesweep_sort_config_static_selectorELNS0_4arch9wavefront6targetE0EEEvSG_,"axG",@progbits,_ZN7rocprim17ROCPRIM_400000_NS6detail17trampoline_kernelINS0_14default_configENS1_35radix_sort_onesweep_config_selectorIjNS0_10empty_typeEEEZZNS1_29radix_sort_onesweep_iterationIS3_Lb1EPKjPjPS5_SB_mNS0_19identity_decomposerENS1_16block_id_wrapperIjLb1EEEEE10hipError_tT1_PNSt15iterator_traitsISG_E10value_typeET2_T3_PNSH_ISM_E10value_typeET4_T5_PSR_SS_PNS1_23onesweep_lookback_stateEbbT6_jjT7_P12ihipStream_tbENKUlT_T0_SG_SL_E_clISA_SA_SB_SB_EEDaSZ_S10_SG_SL_EUlSZ_E_NS1_11comp_targetILNS1_3genE0ELNS1_11target_archE4294967295ELNS1_3gpuE0ELNS1_3repE0EEENS1_47radix_sort_onesweep_sort_config_static_selectorELNS0_4arch9wavefront6targetE0EEEvSG_,comdat
.Lfunc_end2642:
	.size	_ZN7rocprim17ROCPRIM_400000_NS6detail17trampoline_kernelINS0_14default_configENS1_35radix_sort_onesweep_config_selectorIjNS0_10empty_typeEEEZZNS1_29radix_sort_onesweep_iterationIS3_Lb1EPKjPjPS5_SB_mNS0_19identity_decomposerENS1_16block_id_wrapperIjLb1EEEEE10hipError_tT1_PNSt15iterator_traitsISG_E10value_typeET2_T3_PNSH_ISM_E10value_typeET4_T5_PSR_SS_PNS1_23onesweep_lookback_stateEbbT6_jjT7_P12ihipStream_tbENKUlT_T0_SG_SL_E_clISA_SA_SB_SB_EEDaSZ_S10_SG_SL_EUlSZ_E_NS1_11comp_targetILNS1_3genE0ELNS1_11target_archE4294967295ELNS1_3gpuE0ELNS1_3repE0EEENS1_47radix_sort_onesweep_sort_config_static_selectorELNS0_4arch9wavefront6targetE0EEEvSG_, .Lfunc_end2642-_ZN7rocprim17ROCPRIM_400000_NS6detail17trampoline_kernelINS0_14default_configENS1_35radix_sort_onesweep_config_selectorIjNS0_10empty_typeEEEZZNS1_29radix_sort_onesweep_iterationIS3_Lb1EPKjPjPS5_SB_mNS0_19identity_decomposerENS1_16block_id_wrapperIjLb1EEEEE10hipError_tT1_PNSt15iterator_traitsISG_E10value_typeET2_T3_PNSH_ISM_E10value_typeET4_T5_PSR_SS_PNS1_23onesweep_lookback_stateEbbT6_jjT7_P12ihipStream_tbENKUlT_T0_SG_SL_E_clISA_SA_SB_SB_EEDaSZ_S10_SG_SL_EUlSZ_E_NS1_11comp_targetILNS1_3genE0ELNS1_11target_archE4294967295ELNS1_3gpuE0ELNS1_3repE0EEENS1_47radix_sort_onesweep_sort_config_static_selectorELNS0_4arch9wavefront6targetE0EEEvSG_
                                        ; -- End function
	.set _ZN7rocprim17ROCPRIM_400000_NS6detail17trampoline_kernelINS0_14default_configENS1_35radix_sort_onesweep_config_selectorIjNS0_10empty_typeEEEZZNS1_29radix_sort_onesweep_iterationIS3_Lb1EPKjPjPS5_SB_mNS0_19identity_decomposerENS1_16block_id_wrapperIjLb1EEEEE10hipError_tT1_PNSt15iterator_traitsISG_E10value_typeET2_T3_PNSH_ISM_E10value_typeET4_T5_PSR_SS_PNS1_23onesweep_lookback_stateEbbT6_jjT7_P12ihipStream_tbENKUlT_T0_SG_SL_E_clISA_SA_SB_SB_EEDaSZ_S10_SG_SL_EUlSZ_E_NS1_11comp_targetILNS1_3genE0ELNS1_11target_archE4294967295ELNS1_3gpuE0ELNS1_3repE0EEENS1_47radix_sort_onesweep_sort_config_static_selectorELNS0_4arch9wavefront6targetE0EEEvSG_.num_vgpr, 65
	.set _ZN7rocprim17ROCPRIM_400000_NS6detail17trampoline_kernelINS0_14default_configENS1_35radix_sort_onesweep_config_selectorIjNS0_10empty_typeEEEZZNS1_29radix_sort_onesweep_iterationIS3_Lb1EPKjPjPS5_SB_mNS0_19identity_decomposerENS1_16block_id_wrapperIjLb1EEEEE10hipError_tT1_PNSt15iterator_traitsISG_E10value_typeET2_T3_PNSH_ISM_E10value_typeET4_T5_PSR_SS_PNS1_23onesweep_lookback_stateEbbT6_jjT7_P12ihipStream_tbENKUlT_T0_SG_SL_E_clISA_SA_SB_SB_EEDaSZ_S10_SG_SL_EUlSZ_E_NS1_11comp_targetILNS1_3genE0ELNS1_11target_archE4294967295ELNS1_3gpuE0ELNS1_3repE0EEENS1_47radix_sort_onesweep_sort_config_static_selectorELNS0_4arch9wavefront6targetE0EEEvSG_.num_agpr, 0
	.set _ZN7rocprim17ROCPRIM_400000_NS6detail17trampoline_kernelINS0_14default_configENS1_35radix_sort_onesweep_config_selectorIjNS0_10empty_typeEEEZZNS1_29radix_sort_onesweep_iterationIS3_Lb1EPKjPjPS5_SB_mNS0_19identity_decomposerENS1_16block_id_wrapperIjLb1EEEEE10hipError_tT1_PNSt15iterator_traitsISG_E10value_typeET2_T3_PNSH_ISM_E10value_typeET4_T5_PSR_SS_PNS1_23onesweep_lookback_stateEbbT6_jjT7_P12ihipStream_tbENKUlT_T0_SG_SL_E_clISA_SA_SB_SB_EEDaSZ_S10_SG_SL_EUlSZ_E_NS1_11comp_targetILNS1_3genE0ELNS1_11target_archE4294967295ELNS1_3gpuE0ELNS1_3repE0EEENS1_47radix_sort_onesweep_sort_config_static_selectorELNS0_4arch9wavefront6targetE0EEEvSG_.numbered_sgpr, 29
	.set _ZN7rocprim17ROCPRIM_400000_NS6detail17trampoline_kernelINS0_14default_configENS1_35radix_sort_onesweep_config_selectorIjNS0_10empty_typeEEEZZNS1_29radix_sort_onesweep_iterationIS3_Lb1EPKjPjPS5_SB_mNS0_19identity_decomposerENS1_16block_id_wrapperIjLb1EEEEE10hipError_tT1_PNSt15iterator_traitsISG_E10value_typeET2_T3_PNSH_ISM_E10value_typeET4_T5_PSR_SS_PNS1_23onesweep_lookback_stateEbbT6_jjT7_P12ihipStream_tbENKUlT_T0_SG_SL_E_clISA_SA_SB_SB_EEDaSZ_S10_SG_SL_EUlSZ_E_NS1_11comp_targetILNS1_3genE0ELNS1_11target_archE4294967295ELNS1_3gpuE0ELNS1_3repE0EEENS1_47radix_sort_onesweep_sort_config_static_selectorELNS0_4arch9wavefront6targetE0EEEvSG_.num_named_barrier, 0
	.set _ZN7rocprim17ROCPRIM_400000_NS6detail17trampoline_kernelINS0_14default_configENS1_35radix_sort_onesweep_config_selectorIjNS0_10empty_typeEEEZZNS1_29radix_sort_onesweep_iterationIS3_Lb1EPKjPjPS5_SB_mNS0_19identity_decomposerENS1_16block_id_wrapperIjLb1EEEEE10hipError_tT1_PNSt15iterator_traitsISG_E10value_typeET2_T3_PNSH_ISM_E10value_typeET4_T5_PSR_SS_PNS1_23onesweep_lookback_stateEbbT6_jjT7_P12ihipStream_tbENKUlT_T0_SG_SL_E_clISA_SA_SB_SB_EEDaSZ_S10_SG_SL_EUlSZ_E_NS1_11comp_targetILNS1_3genE0ELNS1_11target_archE4294967295ELNS1_3gpuE0ELNS1_3repE0EEENS1_47radix_sort_onesweep_sort_config_static_selectorELNS0_4arch9wavefront6targetE0EEEvSG_.private_seg_size, 0
	.set _ZN7rocprim17ROCPRIM_400000_NS6detail17trampoline_kernelINS0_14default_configENS1_35radix_sort_onesweep_config_selectorIjNS0_10empty_typeEEEZZNS1_29radix_sort_onesweep_iterationIS3_Lb1EPKjPjPS5_SB_mNS0_19identity_decomposerENS1_16block_id_wrapperIjLb1EEEEE10hipError_tT1_PNSt15iterator_traitsISG_E10value_typeET2_T3_PNSH_ISM_E10value_typeET4_T5_PSR_SS_PNS1_23onesweep_lookback_stateEbbT6_jjT7_P12ihipStream_tbENKUlT_T0_SG_SL_E_clISA_SA_SB_SB_EEDaSZ_S10_SG_SL_EUlSZ_E_NS1_11comp_targetILNS1_3genE0ELNS1_11target_archE4294967295ELNS1_3gpuE0ELNS1_3repE0EEENS1_47radix_sort_onesweep_sort_config_static_selectorELNS0_4arch9wavefront6targetE0EEEvSG_.uses_vcc, 1
	.set _ZN7rocprim17ROCPRIM_400000_NS6detail17trampoline_kernelINS0_14default_configENS1_35radix_sort_onesweep_config_selectorIjNS0_10empty_typeEEEZZNS1_29radix_sort_onesweep_iterationIS3_Lb1EPKjPjPS5_SB_mNS0_19identity_decomposerENS1_16block_id_wrapperIjLb1EEEEE10hipError_tT1_PNSt15iterator_traitsISG_E10value_typeET2_T3_PNSH_ISM_E10value_typeET4_T5_PSR_SS_PNS1_23onesweep_lookback_stateEbbT6_jjT7_P12ihipStream_tbENKUlT_T0_SG_SL_E_clISA_SA_SB_SB_EEDaSZ_S10_SG_SL_EUlSZ_E_NS1_11comp_targetILNS1_3genE0ELNS1_11target_archE4294967295ELNS1_3gpuE0ELNS1_3repE0EEENS1_47radix_sort_onesweep_sort_config_static_selectorELNS0_4arch9wavefront6targetE0EEEvSG_.uses_flat_scratch, 0
	.set _ZN7rocprim17ROCPRIM_400000_NS6detail17trampoline_kernelINS0_14default_configENS1_35radix_sort_onesweep_config_selectorIjNS0_10empty_typeEEEZZNS1_29radix_sort_onesweep_iterationIS3_Lb1EPKjPjPS5_SB_mNS0_19identity_decomposerENS1_16block_id_wrapperIjLb1EEEEE10hipError_tT1_PNSt15iterator_traitsISG_E10value_typeET2_T3_PNSH_ISM_E10value_typeET4_T5_PSR_SS_PNS1_23onesweep_lookback_stateEbbT6_jjT7_P12ihipStream_tbENKUlT_T0_SG_SL_E_clISA_SA_SB_SB_EEDaSZ_S10_SG_SL_EUlSZ_E_NS1_11comp_targetILNS1_3genE0ELNS1_11target_archE4294967295ELNS1_3gpuE0ELNS1_3repE0EEENS1_47radix_sort_onesweep_sort_config_static_selectorELNS0_4arch9wavefront6targetE0EEEvSG_.has_dyn_sized_stack, 0
	.set _ZN7rocprim17ROCPRIM_400000_NS6detail17trampoline_kernelINS0_14default_configENS1_35radix_sort_onesweep_config_selectorIjNS0_10empty_typeEEEZZNS1_29radix_sort_onesweep_iterationIS3_Lb1EPKjPjPS5_SB_mNS0_19identity_decomposerENS1_16block_id_wrapperIjLb1EEEEE10hipError_tT1_PNSt15iterator_traitsISG_E10value_typeET2_T3_PNSH_ISM_E10value_typeET4_T5_PSR_SS_PNS1_23onesweep_lookback_stateEbbT6_jjT7_P12ihipStream_tbENKUlT_T0_SG_SL_E_clISA_SA_SB_SB_EEDaSZ_S10_SG_SL_EUlSZ_E_NS1_11comp_targetILNS1_3genE0ELNS1_11target_archE4294967295ELNS1_3gpuE0ELNS1_3repE0EEENS1_47radix_sort_onesweep_sort_config_static_selectorELNS0_4arch9wavefront6targetE0EEEvSG_.has_recursion, 0
	.set _ZN7rocprim17ROCPRIM_400000_NS6detail17trampoline_kernelINS0_14default_configENS1_35radix_sort_onesweep_config_selectorIjNS0_10empty_typeEEEZZNS1_29radix_sort_onesweep_iterationIS3_Lb1EPKjPjPS5_SB_mNS0_19identity_decomposerENS1_16block_id_wrapperIjLb1EEEEE10hipError_tT1_PNSt15iterator_traitsISG_E10value_typeET2_T3_PNSH_ISM_E10value_typeET4_T5_PSR_SS_PNS1_23onesweep_lookback_stateEbbT6_jjT7_P12ihipStream_tbENKUlT_T0_SG_SL_E_clISA_SA_SB_SB_EEDaSZ_S10_SG_SL_EUlSZ_E_NS1_11comp_targetILNS1_3genE0ELNS1_11target_archE4294967295ELNS1_3gpuE0ELNS1_3repE0EEENS1_47radix_sort_onesweep_sort_config_static_selectorELNS0_4arch9wavefront6targetE0EEEvSG_.has_indirect_call, 0
	.section	.AMDGPU.csdata,"",@progbits
; Kernel info:
; codeLenInByte = 15500
; TotalNumSgprs: 31
; NumVgprs: 65
; ScratchSize: 0
; MemoryBound: 0
; FloatMode: 240
; IeeeMode: 1
; LDSByteSize: 18504 bytes/workgroup (compile time only)
; SGPRBlocks: 0
; VGPRBlocks: 4
; NumSGPRsForWavesPerEU: 31
; NumVGPRsForWavesPerEU: 65
; NamedBarCnt: 0
; Occupancy: 12
; WaveLimiterHint : 1
; COMPUTE_PGM_RSRC2:SCRATCH_EN: 0
; COMPUTE_PGM_RSRC2:USER_SGPR: 2
; COMPUTE_PGM_RSRC2:TRAP_HANDLER: 0
; COMPUTE_PGM_RSRC2:TGID_X_EN: 1
; COMPUTE_PGM_RSRC2:TGID_Y_EN: 0
; COMPUTE_PGM_RSRC2:TGID_Z_EN: 0
; COMPUTE_PGM_RSRC2:TIDIG_COMP_CNT: 2
	.section	.text._ZN7rocprim17ROCPRIM_400000_NS6detail17trampoline_kernelINS0_14default_configENS1_35radix_sort_onesweep_config_selectorIjNS0_10empty_typeEEEZZNS1_29radix_sort_onesweep_iterationIS3_Lb1EPKjPjPS5_SB_mNS0_19identity_decomposerENS1_16block_id_wrapperIjLb1EEEEE10hipError_tT1_PNSt15iterator_traitsISG_E10value_typeET2_T3_PNSH_ISM_E10value_typeET4_T5_PSR_SS_PNS1_23onesweep_lookback_stateEbbT6_jjT7_P12ihipStream_tbENKUlT_T0_SG_SL_E_clISA_SA_SB_SB_EEDaSZ_S10_SG_SL_EUlSZ_E_NS1_11comp_targetILNS1_3genE6ELNS1_11target_archE950ELNS1_3gpuE13ELNS1_3repE0EEENS1_47radix_sort_onesweep_sort_config_static_selectorELNS0_4arch9wavefront6targetE0EEEvSG_,"axG",@progbits,_ZN7rocprim17ROCPRIM_400000_NS6detail17trampoline_kernelINS0_14default_configENS1_35radix_sort_onesweep_config_selectorIjNS0_10empty_typeEEEZZNS1_29radix_sort_onesweep_iterationIS3_Lb1EPKjPjPS5_SB_mNS0_19identity_decomposerENS1_16block_id_wrapperIjLb1EEEEE10hipError_tT1_PNSt15iterator_traitsISG_E10value_typeET2_T3_PNSH_ISM_E10value_typeET4_T5_PSR_SS_PNS1_23onesweep_lookback_stateEbbT6_jjT7_P12ihipStream_tbENKUlT_T0_SG_SL_E_clISA_SA_SB_SB_EEDaSZ_S10_SG_SL_EUlSZ_E_NS1_11comp_targetILNS1_3genE6ELNS1_11target_archE950ELNS1_3gpuE13ELNS1_3repE0EEENS1_47radix_sort_onesweep_sort_config_static_selectorELNS0_4arch9wavefront6targetE0EEEvSG_,comdat
	.protected	_ZN7rocprim17ROCPRIM_400000_NS6detail17trampoline_kernelINS0_14default_configENS1_35radix_sort_onesweep_config_selectorIjNS0_10empty_typeEEEZZNS1_29radix_sort_onesweep_iterationIS3_Lb1EPKjPjPS5_SB_mNS0_19identity_decomposerENS1_16block_id_wrapperIjLb1EEEEE10hipError_tT1_PNSt15iterator_traitsISG_E10value_typeET2_T3_PNSH_ISM_E10value_typeET4_T5_PSR_SS_PNS1_23onesweep_lookback_stateEbbT6_jjT7_P12ihipStream_tbENKUlT_T0_SG_SL_E_clISA_SA_SB_SB_EEDaSZ_S10_SG_SL_EUlSZ_E_NS1_11comp_targetILNS1_3genE6ELNS1_11target_archE950ELNS1_3gpuE13ELNS1_3repE0EEENS1_47radix_sort_onesweep_sort_config_static_selectorELNS0_4arch9wavefront6targetE0EEEvSG_ ; -- Begin function _ZN7rocprim17ROCPRIM_400000_NS6detail17trampoline_kernelINS0_14default_configENS1_35radix_sort_onesweep_config_selectorIjNS0_10empty_typeEEEZZNS1_29radix_sort_onesweep_iterationIS3_Lb1EPKjPjPS5_SB_mNS0_19identity_decomposerENS1_16block_id_wrapperIjLb1EEEEE10hipError_tT1_PNSt15iterator_traitsISG_E10value_typeET2_T3_PNSH_ISM_E10value_typeET4_T5_PSR_SS_PNS1_23onesweep_lookback_stateEbbT6_jjT7_P12ihipStream_tbENKUlT_T0_SG_SL_E_clISA_SA_SB_SB_EEDaSZ_S10_SG_SL_EUlSZ_E_NS1_11comp_targetILNS1_3genE6ELNS1_11target_archE950ELNS1_3gpuE13ELNS1_3repE0EEENS1_47radix_sort_onesweep_sort_config_static_selectorELNS0_4arch9wavefront6targetE0EEEvSG_
	.globl	_ZN7rocprim17ROCPRIM_400000_NS6detail17trampoline_kernelINS0_14default_configENS1_35radix_sort_onesweep_config_selectorIjNS0_10empty_typeEEEZZNS1_29radix_sort_onesweep_iterationIS3_Lb1EPKjPjPS5_SB_mNS0_19identity_decomposerENS1_16block_id_wrapperIjLb1EEEEE10hipError_tT1_PNSt15iterator_traitsISG_E10value_typeET2_T3_PNSH_ISM_E10value_typeET4_T5_PSR_SS_PNS1_23onesweep_lookback_stateEbbT6_jjT7_P12ihipStream_tbENKUlT_T0_SG_SL_E_clISA_SA_SB_SB_EEDaSZ_S10_SG_SL_EUlSZ_E_NS1_11comp_targetILNS1_3genE6ELNS1_11target_archE950ELNS1_3gpuE13ELNS1_3repE0EEENS1_47radix_sort_onesweep_sort_config_static_selectorELNS0_4arch9wavefront6targetE0EEEvSG_
	.p2align	8
	.type	_ZN7rocprim17ROCPRIM_400000_NS6detail17trampoline_kernelINS0_14default_configENS1_35radix_sort_onesweep_config_selectorIjNS0_10empty_typeEEEZZNS1_29radix_sort_onesweep_iterationIS3_Lb1EPKjPjPS5_SB_mNS0_19identity_decomposerENS1_16block_id_wrapperIjLb1EEEEE10hipError_tT1_PNSt15iterator_traitsISG_E10value_typeET2_T3_PNSH_ISM_E10value_typeET4_T5_PSR_SS_PNS1_23onesweep_lookback_stateEbbT6_jjT7_P12ihipStream_tbENKUlT_T0_SG_SL_E_clISA_SA_SB_SB_EEDaSZ_S10_SG_SL_EUlSZ_E_NS1_11comp_targetILNS1_3genE6ELNS1_11target_archE950ELNS1_3gpuE13ELNS1_3repE0EEENS1_47radix_sort_onesweep_sort_config_static_selectorELNS0_4arch9wavefront6targetE0EEEvSG_,@function
_ZN7rocprim17ROCPRIM_400000_NS6detail17trampoline_kernelINS0_14default_configENS1_35radix_sort_onesweep_config_selectorIjNS0_10empty_typeEEEZZNS1_29radix_sort_onesweep_iterationIS3_Lb1EPKjPjPS5_SB_mNS0_19identity_decomposerENS1_16block_id_wrapperIjLb1EEEEE10hipError_tT1_PNSt15iterator_traitsISG_E10value_typeET2_T3_PNSH_ISM_E10value_typeET4_T5_PSR_SS_PNS1_23onesweep_lookback_stateEbbT6_jjT7_P12ihipStream_tbENKUlT_T0_SG_SL_E_clISA_SA_SB_SB_EEDaSZ_S10_SG_SL_EUlSZ_E_NS1_11comp_targetILNS1_3genE6ELNS1_11target_archE950ELNS1_3gpuE13ELNS1_3repE0EEENS1_47radix_sort_onesweep_sort_config_static_selectorELNS0_4arch9wavefront6targetE0EEEvSG_: ; @_ZN7rocprim17ROCPRIM_400000_NS6detail17trampoline_kernelINS0_14default_configENS1_35radix_sort_onesweep_config_selectorIjNS0_10empty_typeEEEZZNS1_29radix_sort_onesweep_iterationIS3_Lb1EPKjPjPS5_SB_mNS0_19identity_decomposerENS1_16block_id_wrapperIjLb1EEEEE10hipError_tT1_PNSt15iterator_traitsISG_E10value_typeET2_T3_PNSH_ISM_E10value_typeET4_T5_PSR_SS_PNS1_23onesweep_lookback_stateEbbT6_jjT7_P12ihipStream_tbENKUlT_T0_SG_SL_E_clISA_SA_SB_SB_EEDaSZ_S10_SG_SL_EUlSZ_E_NS1_11comp_targetILNS1_3genE6ELNS1_11target_archE950ELNS1_3gpuE13ELNS1_3repE0EEENS1_47radix_sort_onesweep_sort_config_static_selectorELNS0_4arch9wavefront6targetE0EEEvSG_
; %bb.0:
	.section	.rodata,"a",@progbits
	.p2align	6, 0x0
	.amdhsa_kernel _ZN7rocprim17ROCPRIM_400000_NS6detail17trampoline_kernelINS0_14default_configENS1_35radix_sort_onesweep_config_selectorIjNS0_10empty_typeEEEZZNS1_29radix_sort_onesweep_iterationIS3_Lb1EPKjPjPS5_SB_mNS0_19identity_decomposerENS1_16block_id_wrapperIjLb1EEEEE10hipError_tT1_PNSt15iterator_traitsISG_E10value_typeET2_T3_PNSH_ISM_E10value_typeET4_T5_PSR_SS_PNS1_23onesweep_lookback_stateEbbT6_jjT7_P12ihipStream_tbENKUlT_T0_SG_SL_E_clISA_SA_SB_SB_EEDaSZ_S10_SG_SL_EUlSZ_E_NS1_11comp_targetILNS1_3genE6ELNS1_11target_archE950ELNS1_3gpuE13ELNS1_3repE0EEENS1_47radix_sort_onesweep_sort_config_static_selectorELNS0_4arch9wavefront6targetE0EEEvSG_
		.amdhsa_group_segment_fixed_size 0
		.amdhsa_private_segment_fixed_size 0
		.amdhsa_kernarg_size 88
		.amdhsa_user_sgpr_count 2
		.amdhsa_user_sgpr_dispatch_ptr 0
		.amdhsa_user_sgpr_queue_ptr 0
		.amdhsa_user_sgpr_kernarg_segment_ptr 1
		.amdhsa_user_sgpr_dispatch_id 0
		.amdhsa_user_sgpr_kernarg_preload_length 0
		.amdhsa_user_sgpr_kernarg_preload_offset 0
		.amdhsa_user_sgpr_private_segment_size 0
		.amdhsa_wavefront_size32 1
		.amdhsa_uses_dynamic_stack 0
		.amdhsa_enable_private_segment 0
		.amdhsa_system_sgpr_workgroup_id_x 1
		.amdhsa_system_sgpr_workgroup_id_y 0
		.amdhsa_system_sgpr_workgroup_id_z 0
		.amdhsa_system_sgpr_workgroup_info 0
		.amdhsa_system_vgpr_workitem_id 0
		.amdhsa_next_free_vgpr 1
		.amdhsa_next_free_sgpr 1
		.amdhsa_named_barrier_count 0
		.amdhsa_reserve_vcc 0
		.amdhsa_float_round_mode_32 0
		.amdhsa_float_round_mode_16_64 0
		.amdhsa_float_denorm_mode_32 3
		.amdhsa_float_denorm_mode_16_64 3
		.amdhsa_fp16_overflow 0
		.amdhsa_memory_ordered 1
		.amdhsa_forward_progress 1
		.amdhsa_inst_pref_size 0
		.amdhsa_round_robin_scheduling 0
		.amdhsa_exception_fp_ieee_invalid_op 0
		.amdhsa_exception_fp_denorm_src 0
		.amdhsa_exception_fp_ieee_div_zero 0
		.amdhsa_exception_fp_ieee_overflow 0
		.amdhsa_exception_fp_ieee_underflow 0
		.amdhsa_exception_fp_ieee_inexact 0
		.amdhsa_exception_int_div_zero 0
	.end_amdhsa_kernel
	.section	.text._ZN7rocprim17ROCPRIM_400000_NS6detail17trampoline_kernelINS0_14default_configENS1_35radix_sort_onesweep_config_selectorIjNS0_10empty_typeEEEZZNS1_29radix_sort_onesweep_iterationIS3_Lb1EPKjPjPS5_SB_mNS0_19identity_decomposerENS1_16block_id_wrapperIjLb1EEEEE10hipError_tT1_PNSt15iterator_traitsISG_E10value_typeET2_T3_PNSH_ISM_E10value_typeET4_T5_PSR_SS_PNS1_23onesweep_lookback_stateEbbT6_jjT7_P12ihipStream_tbENKUlT_T0_SG_SL_E_clISA_SA_SB_SB_EEDaSZ_S10_SG_SL_EUlSZ_E_NS1_11comp_targetILNS1_3genE6ELNS1_11target_archE950ELNS1_3gpuE13ELNS1_3repE0EEENS1_47radix_sort_onesweep_sort_config_static_selectorELNS0_4arch9wavefront6targetE0EEEvSG_,"axG",@progbits,_ZN7rocprim17ROCPRIM_400000_NS6detail17trampoline_kernelINS0_14default_configENS1_35radix_sort_onesweep_config_selectorIjNS0_10empty_typeEEEZZNS1_29radix_sort_onesweep_iterationIS3_Lb1EPKjPjPS5_SB_mNS0_19identity_decomposerENS1_16block_id_wrapperIjLb1EEEEE10hipError_tT1_PNSt15iterator_traitsISG_E10value_typeET2_T3_PNSH_ISM_E10value_typeET4_T5_PSR_SS_PNS1_23onesweep_lookback_stateEbbT6_jjT7_P12ihipStream_tbENKUlT_T0_SG_SL_E_clISA_SA_SB_SB_EEDaSZ_S10_SG_SL_EUlSZ_E_NS1_11comp_targetILNS1_3genE6ELNS1_11target_archE950ELNS1_3gpuE13ELNS1_3repE0EEENS1_47radix_sort_onesweep_sort_config_static_selectorELNS0_4arch9wavefront6targetE0EEEvSG_,comdat
.Lfunc_end2643:
	.size	_ZN7rocprim17ROCPRIM_400000_NS6detail17trampoline_kernelINS0_14default_configENS1_35radix_sort_onesweep_config_selectorIjNS0_10empty_typeEEEZZNS1_29radix_sort_onesweep_iterationIS3_Lb1EPKjPjPS5_SB_mNS0_19identity_decomposerENS1_16block_id_wrapperIjLb1EEEEE10hipError_tT1_PNSt15iterator_traitsISG_E10value_typeET2_T3_PNSH_ISM_E10value_typeET4_T5_PSR_SS_PNS1_23onesweep_lookback_stateEbbT6_jjT7_P12ihipStream_tbENKUlT_T0_SG_SL_E_clISA_SA_SB_SB_EEDaSZ_S10_SG_SL_EUlSZ_E_NS1_11comp_targetILNS1_3genE6ELNS1_11target_archE950ELNS1_3gpuE13ELNS1_3repE0EEENS1_47radix_sort_onesweep_sort_config_static_selectorELNS0_4arch9wavefront6targetE0EEEvSG_, .Lfunc_end2643-_ZN7rocprim17ROCPRIM_400000_NS6detail17trampoline_kernelINS0_14default_configENS1_35radix_sort_onesweep_config_selectorIjNS0_10empty_typeEEEZZNS1_29radix_sort_onesweep_iterationIS3_Lb1EPKjPjPS5_SB_mNS0_19identity_decomposerENS1_16block_id_wrapperIjLb1EEEEE10hipError_tT1_PNSt15iterator_traitsISG_E10value_typeET2_T3_PNSH_ISM_E10value_typeET4_T5_PSR_SS_PNS1_23onesweep_lookback_stateEbbT6_jjT7_P12ihipStream_tbENKUlT_T0_SG_SL_E_clISA_SA_SB_SB_EEDaSZ_S10_SG_SL_EUlSZ_E_NS1_11comp_targetILNS1_3genE6ELNS1_11target_archE950ELNS1_3gpuE13ELNS1_3repE0EEENS1_47radix_sort_onesweep_sort_config_static_selectorELNS0_4arch9wavefront6targetE0EEEvSG_
                                        ; -- End function
	.set _ZN7rocprim17ROCPRIM_400000_NS6detail17trampoline_kernelINS0_14default_configENS1_35radix_sort_onesweep_config_selectorIjNS0_10empty_typeEEEZZNS1_29radix_sort_onesweep_iterationIS3_Lb1EPKjPjPS5_SB_mNS0_19identity_decomposerENS1_16block_id_wrapperIjLb1EEEEE10hipError_tT1_PNSt15iterator_traitsISG_E10value_typeET2_T3_PNSH_ISM_E10value_typeET4_T5_PSR_SS_PNS1_23onesweep_lookback_stateEbbT6_jjT7_P12ihipStream_tbENKUlT_T0_SG_SL_E_clISA_SA_SB_SB_EEDaSZ_S10_SG_SL_EUlSZ_E_NS1_11comp_targetILNS1_3genE6ELNS1_11target_archE950ELNS1_3gpuE13ELNS1_3repE0EEENS1_47radix_sort_onesweep_sort_config_static_selectorELNS0_4arch9wavefront6targetE0EEEvSG_.num_vgpr, 0
	.set _ZN7rocprim17ROCPRIM_400000_NS6detail17trampoline_kernelINS0_14default_configENS1_35radix_sort_onesweep_config_selectorIjNS0_10empty_typeEEEZZNS1_29radix_sort_onesweep_iterationIS3_Lb1EPKjPjPS5_SB_mNS0_19identity_decomposerENS1_16block_id_wrapperIjLb1EEEEE10hipError_tT1_PNSt15iterator_traitsISG_E10value_typeET2_T3_PNSH_ISM_E10value_typeET4_T5_PSR_SS_PNS1_23onesweep_lookback_stateEbbT6_jjT7_P12ihipStream_tbENKUlT_T0_SG_SL_E_clISA_SA_SB_SB_EEDaSZ_S10_SG_SL_EUlSZ_E_NS1_11comp_targetILNS1_3genE6ELNS1_11target_archE950ELNS1_3gpuE13ELNS1_3repE0EEENS1_47radix_sort_onesweep_sort_config_static_selectorELNS0_4arch9wavefront6targetE0EEEvSG_.num_agpr, 0
	.set _ZN7rocprim17ROCPRIM_400000_NS6detail17trampoline_kernelINS0_14default_configENS1_35radix_sort_onesweep_config_selectorIjNS0_10empty_typeEEEZZNS1_29radix_sort_onesweep_iterationIS3_Lb1EPKjPjPS5_SB_mNS0_19identity_decomposerENS1_16block_id_wrapperIjLb1EEEEE10hipError_tT1_PNSt15iterator_traitsISG_E10value_typeET2_T3_PNSH_ISM_E10value_typeET4_T5_PSR_SS_PNS1_23onesweep_lookback_stateEbbT6_jjT7_P12ihipStream_tbENKUlT_T0_SG_SL_E_clISA_SA_SB_SB_EEDaSZ_S10_SG_SL_EUlSZ_E_NS1_11comp_targetILNS1_3genE6ELNS1_11target_archE950ELNS1_3gpuE13ELNS1_3repE0EEENS1_47radix_sort_onesweep_sort_config_static_selectorELNS0_4arch9wavefront6targetE0EEEvSG_.numbered_sgpr, 0
	.set _ZN7rocprim17ROCPRIM_400000_NS6detail17trampoline_kernelINS0_14default_configENS1_35radix_sort_onesweep_config_selectorIjNS0_10empty_typeEEEZZNS1_29radix_sort_onesweep_iterationIS3_Lb1EPKjPjPS5_SB_mNS0_19identity_decomposerENS1_16block_id_wrapperIjLb1EEEEE10hipError_tT1_PNSt15iterator_traitsISG_E10value_typeET2_T3_PNSH_ISM_E10value_typeET4_T5_PSR_SS_PNS1_23onesweep_lookback_stateEbbT6_jjT7_P12ihipStream_tbENKUlT_T0_SG_SL_E_clISA_SA_SB_SB_EEDaSZ_S10_SG_SL_EUlSZ_E_NS1_11comp_targetILNS1_3genE6ELNS1_11target_archE950ELNS1_3gpuE13ELNS1_3repE0EEENS1_47radix_sort_onesweep_sort_config_static_selectorELNS0_4arch9wavefront6targetE0EEEvSG_.num_named_barrier, 0
	.set _ZN7rocprim17ROCPRIM_400000_NS6detail17trampoline_kernelINS0_14default_configENS1_35radix_sort_onesweep_config_selectorIjNS0_10empty_typeEEEZZNS1_29radix_sort_onesweep_iterationIS3_Lb1EPKjPjPS5_SB_mNS0_19identity_decomposerENS1_16block_id_wrapperIjLb1EEEEE10hipError_tT1_PNSt15iterator_traitsISG_E10value_typeET2_T3_PNSH_ISM_E10value_typeET4_T5_PSR_SS_PNS1_23onesweep_lookback_stateEbbT6_jjT7_P12ihipStream_tbENKUlT_T0_SG_SL_E_clISA_SA_SB_SB_EEDaSZ_S10_SG_SL_EUlSZ_E_NS1_11comp_targetILNS1_3genE6ELNS1_11target_archE950ELNS1_3gpuE13ELNS1_3repE0EEENS1_47radix_sort_onesweep_sort_config_static_selectorELNS0_4arch9wavefront6targetE0EEEvSG_.private_seg_size, 0
	.set _ZN7rocprim17ROCPRIM_400000_NS6detail17trampoline_kernelINS0_14default_configENS1_35radix_sort_onesweep_config_selectorIjNS0_10empty_typeEEEZZNS1_29radix_sort_onesweep_iterationIS3_Lb1EPKjPjPS5_SB_mNS0_19identity_decomposerENS1_16block_id_wrapperIjLb1EEEEE10hipError_tT1_PNSt15iterator_traitsISG_E10value_typeET2_T3_PNSH_ISM_E10value_typeET4_T5_PSR_SS_PNS1_23onesweep_lookback_stateEbbT6_jjT7_P12ihipStream_tbENKUlT_T0_SG_SL_E_clISA_SA_SB_SB_EEDaSZ_S10_SG_SL_EUlSZ_E_NS1_11comp_targetILNS1_3genE6ELNS1_11target_archE950ELNS1_3gpuE13ELNS1_3repE0EEENS1_47radix_sort_onesweep_sort_config_static_selectorELNS0_4arch9wavefront6targetE0EEEvSG_.uses_vcc, 0
	.set _ZN7rocprim17ROCPRIM_400000_NS6detail17trampoline_kernelINS0_14default_configENS1_35radix_sort_onesweep_config_selectorIjNS0_10empty_typeEEEZZNS1_29radix_sort_onesweep_iterationIS3_Lb1EPKjPjPS5_SB_mNS0_19identity_decomposerENS1_16block_id_wrapperIjLb1EEEEE10hipError_tT1_PNSt15iterator_traitsISG_E10value_typeET2_T3_PNSH_ISM_E10value_typeET4_T5_PSR_SS_PNS1_23onesweep_lookback_stateEbbT6_jjT7_P12ihipStream_tbENKUlT_T0_SG_SL_E_clISA_SA_SB_SB_EEDaSZ_S10_SG_SL_EUlSZ_E_NS1_11comp_targetILNS1_3genE6ELNS1_11target_archE950ELNS1_3gpuE13ELNS1_3repE0EEENS1_47radix_sort_onesweep_sort_config_static_selectorELNS0_4arch9wavefront6targetE0EEEvSG_.uses_flat_scratch, 0
	.set _ZN7rocprim17ROCPRIM_400000_NS6detail17trampoline_kernelINS0_14default_configENS1_35radix_sort_onesweep_config_selectorIjNS0_10empty_typeEEEZZNS1_29radix_sort_onesweep_iterationIS3_Lb1EPKjPjPS5_SB_mNS0_19identity_decomposerENS1_16block_id_wrapperIjLb1EEEEE10hipError_tT1_PNSt15iterator_traitsISG_E10value_typeET2_T3_PNSH_ISM_E10value_typeET4_T5_PSR_SS_PNS1_23onesweep_lookback_stateEbbT6_jjT7_P12ihipStream_tbENKUlT_T0_SG_SL_E_clISA_SA_SB_SB_EEDaSZ_S10_SG_SL_EUlSZ_E_NS1_11comp_targetILNS1_3genE6ELNS1_11target_archE950ELNS1_3gpuE13ELNS1_3repE0EEENS1_47radix_sort_onesweep_sort_config_static_selectorELNS0_4arch9wavefront6targetE0EEEvSG_.has_dyn_sized_stack, 0
	.set _ZN7rocprim17ROCPRIM_400000_NS6detail17trampoline_kernelINS0_14default_configENS1_35radix_sort_onesweep_config_selectorIjNS0_10empty_typeEEEZZNS1_29radix_sort_onesweep_iterationIS3_Lb1EPKjPjPS5_SB_mNS0_19identity_decomposerENS1_16block_id_wrapperIjLb1EEEEE10hipError_tT1_PNSt15iterator_traitsISG_E10value_typeET2_T3_PNSH_ISM_E10value_typeET4_T5_PSR_SS_PNS1_23onesweep_lookback_stateEbbT6_jjT7_P12ihipStream_tbENKUlT_T0_SG_SL_E_clISA_SA_SB_SB_EEDaSZ_S10_SG_SL_EUlSZ_E_NS1_11comp_targetILNS1_3genE6ELNS1_11target_archE950ELNS1_3gpuE13ELNS1_3repE0EEENS1_47radix_sort_onesweep_sort_config_static_selectorELNS0_4arch9wavefront6targetE0EEEvSG_.has_recursion, 0
	.set _ZN7rocprim17ROCPRIM_400000_NS6detail17trampoline_kernelINS0_14default_configENS1_35radix_sort_onesweep_config_selectorIjNS0_10empty_typeEEEZZNS1_29radix_sort_onesweep_iterationIS3_Lb1EPKjPjPS5_SB_mNS0_19identity_decomposerENS1_16block_id_wrapperIjLb1EEEEE10hipError_tT1_PNSt15iterator_traitsISG_E10value_typeET2_T3_PNSH_ISM_E10value_typeET4_T5_PSR_SS_PNS1_23onesweep_lookback_stateEbbT6_jjT7_P12ihipStream_tbENKUlT_T0_SG_SL_E_clISA_SA_SB_SB_EEDaSZ_S10_SG_SL_EUlSZ_E_NS1_11comp_targetILNS1_3genE6ELNS1_11target_archE950ELNS1_3gpuE13ELNS1_3repE0EEENS1_47radix_sort_onesweep_sort_config_static_selectorELNS0_4arch9wavefront6targetE0EEEvSG_.has_indirect_call, 0
	.section	.AMDGPU.csdata,"",@progbits
; Kernel info:
; codeLenInByte = 0
; TotalNumSgprs: 0
; NumVgprs: 0
; ScratchSize: 0
; MemoryBound: 0
; FloatMode: 240
; IeeeMode: 1
; LDSByteSize: 0 bytes/workgroup (compile time only)
; SGPRBlocks: 0
; VGPRBlocks: 0
; NumSGPRsForWavesPerEU: 1
; NumVGPRsForWavesPerEU: 1
; NamedBarCnt: 0
; Occupancy: 16
; WaveLimiterHint : 0
; COMPUTE_PGM_RSRC2:SCRATCH_EN: 0
; COMPUTE_PGM_RSRC2:USER_SGPR: 2
; COMPUTE_PGM_RSRC2:TRAP_HANDLER: 0
; COMPUTE_PGM_RSRC2:TGID_X_EN: 1
; COMPUTE_PGM_RSRC2:TGID_Y_EN: 0
; COMPUTE_PGM_RSRC2:TGID_Z_EN: 0
; COMPUTE_PGM_RSRC2:TIDIG_COMP_CNT: 0
	.section	.text._ZN7rocprim17ROCPRIM_400000_NS6detail17trampoline_kernelINS0_14default_configENS1_35radix_sort_onesweep_config_selectorIjNS0_10empty_typeEEEZZNS1_29radix_sort_onesweep_iterationIS3_Lb1EPKjPjPS5_SB_mNS0_19identity_decomposerENS1_16block_id_wrapperIjLb1EEEEE10hipError_tT1_PNSt15iterator_traitsISG_E10value_typeET2_T3_PNSH_ISM_E10value_typeET4_T5_PSR_SS_PNS1_23onesweep_lookback_stateEbbT6_jjT7_P12ihipStream_tbENKUlT_T0_SG_SL_E_clISA_SA_SB_SB_EEDaSZ_S10_SG_SL_EUlSZ_E_NS1_11comp_targetILNS1_3genE5ELNS1_11target_archE942ELNS1_3gpuE9ELNS1_3repE0EEENS1_47radix_sort_onesweep_sort_config_static_selectorELNS0_4arch9wavefront6targetE0EEEvSG_,"axG",@progbits,_ZN7rocprim17ROCPRIM_400000_NS6detail17trampoline_kernelINS0_14default_configENS1_35radix_sort_onesweep_config_selectorIjNS0_10empty_typeEEEZZNS1_29radix_sort_onesweep_iterationIS3_Lb1EPKjPjPS5_SB_mNS0_19identity_decomposerENS1_16block_id_wrapperIjLb1EEEEE10hipError_tT1_PNSt15iterator_traitsISG_E10value_typeET2_T3_PNSH_ISM_E10value_typeET4_T5_PSR_SS_PNS1_23onesweep_lookback_stateEbbT6_jjT7_P12ihipStream_tbENKUlT_T0_SG_SL_E_clISA_SA_SB_SB_EEDaSZ_S10_SG_SL_EUlSZ_E_NS1_11comp_targetILNS1_3genE5ELNS1_11target_archE942ELNS1_3gpuE9ELNS1_3repE0EEENS1_47radix_sort_onesweep_sort_config_static_selectorELNS0_4arch9wavefront6targetE0EEEvSG_,comdat
	.protected	_ZN7rocprim17ROCPRIM_400000_NS6detail17trampoline_kernelINS0_14default_configENS1_35radix_sort_onesweep_config_selectorIjNS0_10empty_typeEEEZZNS1_29radix_sort_onesweep_iterationIS3_Lb1EPKjPjPS5_SB_mNS0_19identity_decomposerENS1_16block_id_wrapperIjLb1EEEEE10hipError_tT1_PNSt15iterator_traitsISG_E10value_typeET2_T3_PNSH_ISM_E10value_typeET4_T5_PSR_SS_PNS1_23onesweep_lookback_stateEbbT6_jjT7_P12ihipStream_tbENKUlT_T0_SG_SL_E_clISA_SA_SB_SB_EEDaSZ_S10_SG_SL_EUlSZ_E_NS1_11comp_targetILNS1_3genE5ELNS1_11target_archE942ELNS1_3gpuE9ELNS1_3repE0EEENS1_47radix_sort_onesweep_sort_config_static_selectorELNS0_4arch9wavefront6targetE0EEEvSG_ ; -- Begin function _ZN7rocprim17ROCPRIM_400000_NS6detail17trampoline_kernelINS0_14default_configENS1_35radix_sort_onesweep_config_selectorIjNS0_10empty_typeEEEZZNS1_29radix_sort_onesweep_iterationIS3_Lb1EPKjPjPS5_SB_mNS0_19identity_decomposerENS1_16block_id_wrapperIjLb1EEEEE10hipError_tT1_PNSt15iterator_traitsISG_E10value_typeET2_T3_PNSH_ISM_E10value_typeET4_T5_PSR_SS_PNS1_23onesweep_lookback_stateEbbT6_jjT7_P12ihipStream_tbENKUlT_T0_SG_SL_E_clISA_SA_SB_SB_EEDaSZ_S10_SG_SL_EUlSZ_E_NS1_11comp_targetILNS1_3genE5ELNS1_11target_archE942ELNS1_3gpuE9ELNS1_3repE0EEENS1_47radix_sort_onesweep_sort_config_static_selectorELNS0_4arch9wavefront6targetE0EEEvSG_
	.globl	_ZN7rocprim17ROCPRIM_400000_NS6detail17trampoline_kernelINS0_14default_configENS1_35radix_sort_onesweep_config_selectorIjNS0_10empty_typeEEEZZNS1_29radix_sort_onesweep_iterationIS3_Lb1EPKjPjPS5_SB_mNS0_19identity_decomposerENS1_16block_id_wrapperIjLb1EEEEE10hipError_tT1_PNSt15iterator_traitsISG_E10value_typeET2_T3_PNSH_ISM_E10value_typeET4_T5_PSR_SS_PNS1_23onesweep_lookback_stateEbbT6_jjT7_P12ihipStream_tbENKUlT_T0_SG_SL_E_clISA_SA_SB_SB_EEDaSZ_S10_SG_SL_EUlSZ_E_NS1_11comp_targetILNS1_3genE5ELNS1_11target_archE942ELNS1_3gpuE9ELNS1_3repE0EEENS1_47radix_sort_onesweep_sort_config_static_selectorELNS0_4arch9wavefront6targetE0EEEvSG_
	.p2align	8
	.type	_ZN7rocprim17ROCPRIM_400000_NS6detail17trampoline_kernelINS0_14default_configENS1_35radix_sort_onesweep_config_selectorIjNS0_10empty_typeEEEZZNS1_29radix_sort_onesweep_iterationIS3_Lb1EPKjPjPS5_SB_mNS0_19identity_decomposerENS1_16block_id_wrapperIjLb1EEEEE10hipError_tT1_PNSt15iterator_traitsISG_E10value_typeET2_T3_PNSH_ISM_E10value_typeET4_T5_PSR_SS_PNS1_23onesweep_lookback_stateEbbT6_jjT7_P12ihipStream_tbENKUlT_T0_SG_SL_E_clISA_SA_SB_SB_EEDaSZ_S10_SG_SL_EUlSZ_E_NS1_11comp_targetILNS1_3genE5ELNS1_11target_archE942ELNS1_3gpuE9ELNS1_3repE0EEENS1_47radix_sort_onesweep_sort_config_static_selectorELNS0_4arch9wavefront6targetE0EEEvSG_,@function
_ZN7rocprim17ROCPRIM_400000_NS6detail17trampoline_kernelINS0_14default_configENS1_35radix_sort_onesweep_config_selectorIjNS0_10empty_typeEEEZZNS1_29radix_sort_onesweep_iterationIS3_Lb1EPKjPjPS5_SB_mNS0_19identity_decomposerENS1_16block_id_wrapperIjLb1EEEEE10hipError_tT1_PNSt15iterator_traitsISG_E10value_typeET2_T3_PNSH_ISM_E10value_typeET4_T5_PSR_SS_PNS1_23onesweep_lookback_stateEbbT6_jjT7_P12ihipStream_tbENKUlT_T0_SG_SL_E_clISA_SA_SB_SB_EEDaSZ_S10_SG_SL_EUlSZ_E_NS1_11comp_targetILNS1_3genE5ELNS1_11target_archE942ELNS1_3gpuE9ELNS1_3repE0EEENS1_47radix_sort_onesweep_sort_config_static_selectorELNS0_4arch9wavefront6targetE0EEEvSG_: ; @_ZN7rocprim17ROCPRIM_400000_NS6detail17trampoline_kernelINS0_14default_configENS1_35radix_sort_onesweep_config_selectorIjNS0_10empty_typeEEEZZNS1_29radix_sort_onesweep_iterationIS3_Lb1EPKjPjPS5_SB_mNS0_19identity_decomposerENS1_16block_id_wrapperIjLb1EEEEE10hipError_tT1_PNSt15iterator_traitsISG_E10value_typeET2_T3_PNSH_ISM_E10value_typeET4_T5_PSR_SS_PNS1_23onesweep_lookback_stateEbbT6_jjT7_P12ihipStream_tbENKUlT_T0_SG_SL_E_clISA_SA_SB_SB_EEDaSZ_S10_SG_SL_EUlSZ_E_NS1_11comp_targetILNS1_3genE5ELNS1_11target_archE942ELNS1_3gpuE9ELNS1_3repE0EEENS1_47radix_sort_onesweep_sort_config_static_selectorELNS0_4arch9wavefront6targetE0EEEvSG_
; %bb.0:
	.section	.rodata,"a",@progbits
	.p2align	6, 0x0
	.amdhsa_kernel _ZN7rocprim17ROCPRIM_400000_NS6detail17trampoline_kernelINS0_14default_configENS1_35radix_sort_onesweep_config_selectorIjNS0_10empty_typeEEEZZNS1_29radix_sort_onesweep_iterationIS3_Lb1EPKjPjPS5_SB_mNS0_19identity_decomposerENS1_16block_id_wrapperIjLb1EEEEE10hipError_tT1_PNSt15iterator_traitsISG_E10value_typeET2_T3_PNSH_ISM_E10value_typeET4_T5_PSR_SS_PNS1_23onesweep_lookback_stateEbbT6_jjT7_P12ihipStream_tbENKUlT_T0_SG_SL_E_clISA_SA_SB_SB_EEDaSZ_S10_SG_SL_EUlSZ_E_NS1_11comp_targetILNS1_3genE5ELNS1_11target_archE942ELNS1_3gpuE9ELNS1_3repE0EEENS1_47radix_sort_onesweep_sort_config_static_selectorELNS0_4arch9wavefront6targetE0EEEvSG_
		.amdhsa_group_segment_fixed_size 0
		.amdhsa_private_segment_fixed_size 0
		.amdhsa_kernarg_size 88
		.amdhsa_user_sgpr_count 2
		.amdhsa_user_sgpr_dispatch_ptr 0
		.amdhsa_user_sgpr_queue_ptr 0
		.amdhsa_user_sgpr_kernarg_segment_ptr 1
		.amdhsa_user_sgpr_dispatch_id 0
		.amdhsa_user_sgpr_kernarg_preload_length 0
		.amdhsa_user_sgpr_kernarg_preload_offset 0
		.amdhsa_user_sgpr_private_segment_size 0
		.amdhsa_wavefront_size32 1
		.amdhsa_uses_dynamic_stack 0
		.amdhsa_enable_private_segment 0
		.amdhsa_system_sgpr_workgroup_id_x 1
		.amdhsa_system_sgpr_workgroup_id_y 0
		.amdhsa_system_sgpr_workgroup_id_z 0
		.amdhsa_system_sgpr_workgroup_info 0
		.amdhsa_system_vgpr_workitem_id 0
		.amdhsa_next_free_vgpr 1
		.amdhsa_next_free_sgpr 1
		.amdhsa_named_barrier_count 0
		.amdhsa_reserve_vcc 0
		.amdhsa_float_round_mode_32 0
		.amdhsa_float_round_mode_16_64 0
		.amdhsa_float_denorm_mode_32 3
		.amdhsa_float_denorm_mode_16_64 3
		.amdhsa_fp16_overflow 0
		.amdhsa_memory_ordered 1
		.amdhsa_forward_progress 1
		.amdhsa_inst_pref_size 0
		.amdhsa_round_robin_scheduling 0
		.amdhsa_exception_fp_ieee_invalid_op 0
		.amdhsa_exception_fp_denorm_src 0
		.amdhsa_exception_fp_ieee_div_zero 0
		.amdhsa_exception_fp_ieee_overflow 0
		.amdhsa_exception_fp_ieee_underflow 0
		.amdhsa_exception_fp_ieee_inexact 0
		.amdhsa_exception_int_div_zero 0
	.end_amdhsa_kernel
	.section	.text._ZN7rocprim17ROCPRIM_400000_NS6detail17trampoline_kernelINS0_14default_configENS1_35radix_sort_onesweep_config_selectorIjNS0_10empty_typeEEEZZNS1_29radix_sort_onesweep_iterationIS3_Lb1EPKjPjPS5_SB_mNS0_19identity_decomposerENS1_16block_id_wrapperIjLb1EEEEE10hipError_tT1_PNSt15iterator_traitsISG_E10value_typeET2_T3_PNSH_ISM_E10value_typeET4_T5_PSR_SS_PNS1_23onesweep_lookback_stateEbbT6_jjT7_P12ihipStream_tbENKUlT_T0_SG_SL_E_clISA_SA_SB_SB_EEDaSZ_S10_SG_SL_EUlSZ_E_NS1_11comp_targetILNS1_3genE5ELNS1_11target_archE942ELNS1_3gpuE9ELNS1_3repE0EEENS1_47radix_sort_onesweep_sort_config_static_selectorELNS0_4arch9wavefront6targetE0EEEvSG_,"axG",@progbits,_ZN7rocprim17ROCPRIM_400000_NS6detail17trampoline_kernelINS0_14default_configENS1_35radix_sort_onesweep_config_selectorIjNS0_10empty_typeEEEZZNS1_29radix_sort_onesweep_iterationIS3_Lb1EPKjPjPS5_SB_mNS0_19identity_decomposerENS1_16block_id_wrapperIjLb1EEEEE10hipError_tT1_PNSt15iterator_traitsISG_E10value_typeET2_T3_PNSH_ISM_E10value_typeET4_T5_PSR_SS_PNS1_23onesweep_lookback_stateEbbT6_jjT7_P12ihipStream_tbENKUlT_T0_SG_SL_E_clISA_SA_SB_SB_EEDaSZ_S10_SG_SL_EUlSZ_E_NS1_11comp_targetILNS1_3genE5ELNS1_11target_archE942ELNS1_3gpuE9ELNS1_3repE0EEENS1_47radix_sort_onesweep_sort_config_static_selectorELNS0_4arch9wavefront6targetE0EEEvSG_,comdat
.Lfunc_end2644:
	.size	_ZN7rocprim17ROCPRIM_400000_NS6detail17trampoline_kernelINS0_14default_configENS1_35radix_sort_onesweep_config_selectorIjNS0_10empty_typeEEEZZNS1_29radix_sort_onesweep_iterationIS3_Lb1EPKjPjPS5_SB_mNS0_19identity_decomposerENS1_16block_id_wrapperIjLb1EEEEE10hipError_tT1_PNSt15iterator_traitsISG_E10value_typeET2_T3_PNSH_ISM_E10value_typeET4_T5_PSR_SS_PNS1_23onesweep_lookback_stateEbbT6_jjT7_P12ihipStream_tbENKUlT_T0_SG_SL_E_clISA_SA_SB_SB_EEDaSZ_S10_SG_SL_EUlSZ_E_NS1_11comp_targetILNS1_3genE5ELNS1_11target_archE942ELNS1_3gpuE9ELNS1_3repE0EEENS1_47radix_sort_onesweep_sort_config_static_selectorELNS0_4arch9wavefront6targetE0EEEvSG_, .Lfunc_end2644-_ZN7rocprim17ROCPRIM_400000_NS6detail17trampoline_kernelINS0_14default_configENS1_35radix_sort_onesweep_config_selectorIjNS0_10empty_typeEEEZZNS1_29radix_sort_onesweep_iterationIS3_Lb1EPKjPjPS5_SB_mNS0_19identity_decomposerENS1_16block_id_wrapperIjLb1EEEEE10hipError_tT1_PNSt15iterator_traitsISG_E10value_typeET2_T3_PNSH_ISM_E10value_typeET4_T5_PSR_SS_PNS1_23onesweep_lookback_stateEbbT6_jjT7_P12ihipStream_tbENKUlT_T0_SG_SL_E_clISA_SA_SB_SB_EEDaSZ_S10_SG_SL_EUlSZ_E_NS1_11comp_targetILNS1_3genE5ELNS1_11target_archE942ELNS1_3gpuE9ELNS1_3repE0EEENS1_47radix_sort_onesweep_sort_config_static_selectorELNS0_4arch9wavefront6targetE0EEEvSG_
                                        ; -- End function
	.set _ZN7rocprim17ROCPRIM_400000_NS6detail17trampoline_kernelINS0_14default_configENS1_35radix_sort_onesweep_config_selectorIjNS0_10empty_typeEEEZZNS1_29radix_sort_onesweep_iterationIS3_Lb1EPKjPjPS5_SB_mNS0_19identity_decomposerENS1_16block_id_wrapperIjLb1EEEEE10hipError_tT1_PNSt15iterator_traitsISG_E10value_typeET2_T3_PNSH_ISM_E10value_typeET4_T5_PSR_SS_PNS1_23onesweep_lookback_stateEbbT6_jjT7_P12ihipStream_tbENKUlT_T0_SG_SL_E_clISA_SA_SB_SB_EEDaSZ_S10_SG_SL_EUlSZ_E_NS1_11comp_targetILNS1_3genE5ELNS1_11target_archE942ELNS1_3gpuE9ELNS1_3repE0EEENS1_47radix_sort_onesweep_sort_config_static_selectorELNS0_4arch9wavefront6targetE0EEEvSG_.num_vgpr, 0
	.set _ZN7rocprim17ROCPRIM_400000_NS6detail17trampoline_kernelINS0_14default_configENS1_35radix_sort_onesweep_config_selectorIjNS0_10empty_typeEEEZZNS1_29radix_sort_onesweep_iterationIS3_Lb1EPKjPjPS5_SB_mNS0_19identity_decomposerENS1_16block_id_wrapperIjLb1EEEEE10hipError_tT1_PNSt15iterator_traitsISG_E10value_typeET2_T3_PNSH_ISM_E10value_typeET4_T5_PSR_SS_PNS1_23onesweep_lookback_stateEbbT6_jjT7_P12ihipStream_tbENKUlT_T0_SG_SL_E_clISA_SA_SB_SB_EEDaSZ_S10_SG_SL_EUlSZ_E_NS1_11comp_targetILNS1_3genE5ELNS1_11target_archE942ELNS1_3gpuE9ELNS1_3repE0EEENS1_47radix_sort_onesweep_sort_config_static_selectorELNS0_4arch9wavefront6targetE0EEEvSG_.num_agpr, 0
	.set _ZN7rocprim17ROCPRIM_400000_NS6detail17trampoline_kernelINS0_14default_configENS1_35radix_sort_onesweep_config_selectorIjNS0_10empty_typeEEEZZNS1_29radix_sort_onesweep_iterationIS3_Lb1EPKjPjPS5_SB_mNS0_19identity_decomposerENS1_16block_id_wrapperIjLb1EEEEE10hipError_tT1_PNSt15iterator_traitsISG_E10value_typeET2_T3_PNSH_ISM_E10value_typeET4_T5_PSR_SS_PNS1_23onesweep_lookback_stateEbbT6_jjT7_P12ihipStream_tbENKUlT_T0_SG_SL_E_clISA_SA_SB_SB_EEDaSZ_S10_SG_SL_EUlSZ_E_NS1_11comp_targetILNS1_3genE5ELNS1_11target_archE942ELNS1_3gpuE9ELNS1_3repE0EEENS1_47radix_sort_onesweep_sort_config_static_selectorELNS0_4arch9wavefront6targetE0EEEvSG_.numbered_sgpr, 0
	.set _ZN7rocprim17ROCPRIM_400000_NS6detail17trampoline_kernelINS0_14default_configENS1_35radix_sort_onesweep_config_selectorIjNS0_10empty_typeEEEZZNS1_29radix_sort_onesweep_iterationIS3_Lb1EPKjPjPS5_SB_mNS0_19identity_decomposerENS1_16block_id_wrapperIjLb1EEEEE10hipError_tT1_PNSt15iterator_traitsISG_E10value_typeET2_T3_PNSH_ISM_E10value_typeET4_T5_PSR_SS_PNS1_23onesweep_lookback_stateEbbT6_jjT7_P12ihipStream_tbENKUlT_T0_SG_SL_E_clISA_SA_SB_SB_EEDaSZ_S10_SG_SL_EUlSZ_E_NS1_11comp_targetILNS1_3genE5ELNS1_11target_archE942ELNS1_3gpuE9ELNS1_3repE0EEENS1_47radix_sort_onesweep_sort_config_static_selectorELNS0_4arch9wavefront6targetE0EEEvSG_.num_named_barrier, 0
	.set _ZN7rocprim17ROCPRIM_400000_NS6detail17trampoline_kernelINS0_14default_configENS1_35radix_sort_onesweep_config_selectorIjNS0_10empty_typeEEEZZNS1_29radix_sort_onesweep_iterationIS3_Lb1EPKjPjPS5_SB_mNS0_19identity_decomposerENS1_16block_id_wrapperIjLb1EEEEE10hipError_tT1_PNSt15iterator_traitsISG_E10value_typeET2_T3_PNSH_ISM_E10value_typeET4_T5_PSR_SS_PNS1_23onesweep_lookback_stateEbbT6_jjT7_P12ihipStream_tbENKUlT_T0_SG_SL_E_clISA_SA_SB_SB_EEDaSZ_S10_SG_SL_EUlSZ_E_NS1_11comp_targetILNS1_3genE5ELNS1_11target_archE942ELNS1_3gpuE9ELNS1_3repE0EEENS1_47radix_sort_onesweep_sort_config_static_selectorELNS0_4arch9wavefront6targetE0EEEvSG_.private_seg_size, 0
	.set _ZN7rocprim17ROCPRIM_400000_NS6detail17trampoline_kernelINS0_14default_configENS1_35radix_sort_onesweep_config_selectorIjNS0_10empty_typeEEEZZNS1_29radix_sort_onesweep_iterationIS3_Lb1EPKjPjPS5_SB_mNS0_19identity_decomposerENS1_16block_id_wrapperIjLb1EEEEE10hipError_tT1_PNSt15iterator_traitsISG_E10value_typeET2_T3_PNSH_ISM_E10value_typeET4_T5_PSR_SS_PNS1_23onesweep_lookback_stateEbbT6_jjT7_P12ihipStream_tbENKUlT_T0_SG_SL_E_clISA_SA_SB_SB_EEDaSZ_S10_SG_SL_EUlSZ_E_NS1_11comp_targetILNS1_3genE5ELNS1_11target_archE942ELNS1_3gpuE9ELNS1_3repE0EEENS1_47radix_sort_onesweep_sort_config_static_selectorELNS0_4arch9wavefront6targetE0EEEvSG_.uses_vcc, 0
	.set _ZN7rocprim17ROCPRIM_400000_NS6detail17trampoline_kernelINS0_14default_configENS1_35radix_sort_onesweep_config_selectorIjNS0_10empty_typeEEEZZNS1_29radix_sort_onesweep_iterationIS3_Lb1EPKjPjPS5_SB_mNS0_19identity_decomposerENS1_16block_id_wrapperIjLb1EEEEE10hipError_tT1_PNSt15iterator_traitsISG_E10value_typeET2_T3_PNSH_ISM_E10value_typeET4_T5_PSR_SS_PNS1_23onesweep_lookback_stateEbbT6_jjT7_P12ihipStream_tbENKUlT_T0_SG_SL_E_clISA_SA_SB_SB_EEDaSZ_S10_SG_SL_EUlSZ_E_NS1_11comp_targetILNS1_3genE5ELNS1_11target_archE942ELNS1_3gpuE9ELNS1_3repE0EEENS1_47radix_sort_onesweep_sort_config_static_selectorELNS0_4arch9wavefront6targetE0EEEvSG_.uses_flat_scratch, 0
	.set _ZN7rocprim17ROCPRIM_400000_NS6detail17trampoline_kernelINS0_14default_configENS1_35radix_sort_onesweep_config_selectorIjNS0_10empty_typeEEEZZNS1_29radix_sort_onesweep_iterationIS3_Lb1EPKjPjPS5_SB_mNS0_19identity_decomposerENS1_16block_id_wrapperIjLb1EEEEE10hipError_tT1_PNSt15iterator_traitsISG_E10value_typeET2_T3_PNSH_ISM_E10value_typeET4_T5_PSR_SS_PNS1_23onesweep_lookback_stateEbbT6_jjT7_P12ihipStream_tbENKUlT_T0_SG_SL_E_clISA_SA_SB_SB_EEDaSZ_S10_SG_SL_EUlSZ_E_NS1_11comp_targetILNS1_3genE5ELNS1_11target_archE942ELNS1_3gpuE9ELNS1_3repE0EEENS1_47radix_sort_onesweep_sort_config_static_selectorELNS0_4arch9wavefront6targetE0EEEvSG_.has_dyn_sized_stack, 0
	.set _ZN7rocprim17ROCPRIM_400000_NS6detail17trampoline_kernelINS0_14default_configENS1_35radix_sort_onesweep_config_selectorIjNS0_10empty_typeEEEZZNS1_29radix_sort_onesweep_iterationIS3_Lb1EPKjPjPS5_SB_mNS0_19identity_decomposerENS1_16block_id_wrapperIjLb1EEEEE10hipError_tT1_PNSt15iterator_traitsISG_E10value_typeET2_T3_PNSH_ISM_E10value_typeET4_T5_PSR_SS_PNS1_23onesweep_lookback_stateEbbT6_jjT7_P12ihipStream_tbENKUlT_T0_SG_SL_E_clISA_SA_SB_SB_EEDaSZ_S10_SG_SL_EUlSZ_E_NS1_11comp_targetILNS1_3genE5ELNS1_11target_archE942ELNS1_3gpuE9ELNS1_3repE0EEENS1_47radix_sort_onesweep_sort_config_static_selectorELNS0_4arch9wavefront6targetE0EEEvSG_.has_recursion, 0
	.set _ZN7rocprim17ROCPRIM_400000_NS6detail17trampoline_kernelINS0_14default_configENS1_35radix_sort_onesweep_config_selectorIjNS0_10empty_typeEEEZZNS1_29radix_sort_onesweep_iterationIS3_Lb1EPKjPjPS5_SB_mNS0_19identity_decomposerENS1_16block_id_wrapperIjLb1EEEEE10hipError_tT1_PNSt15iterator_traitsISG_E10value_typeET2_T3_PNSH_ISM_E10value_typeET4_T5_PSR_SS_PNS1_23onesweep_lookback_stateEbbT6_jjT7_P12ihipStream_tbENKUlT_T0_SG_SL_E_clISA_SA_SB_SB_EEDaSZ_S10_SG_SL_EUlSZ_E_NS1_11comp_targetILNS1_3genE5ELNS1_11target_archE942ELNS1_3gpuE9ELNS1_3repE0EEENS1_47radix_sort_onesweep_sort_config_static_selectorELNS0_4arch9wavefront6targetE0EEEvSG_.has_indirect_call, 0
	.section	.AMDGPU.csdata,"",@progbits
; Kernel info:
; codeLenInByte = 0
; TotalNumSgprs: 0
; NumVgprs: 0
; ScratchSize: 0
; MemoryBound: 0
; FloatMode: 240
; IeeeMode: 1
; LDSByteSize: 0 bytes/workgroup (compile time only)
; SGPRBlocks: 0
; VGPRBlocks: 0
; NumSGPRsForWavesPerEU: 1
; NumVGPRsForWavesPerEU: 1
; NamedBarCnt: 0
; Occupancy: 16
; WaveLimiterHint : 0
; COMPUTE_PGM_RSRC2:SCRATCH_EN: 0
; COMPUTE_PGM_RSRC2:USER_SGPR: 2
; COMPUTE_PGM_RSRC2:TRAP_HANDLER: 0
; COMPUTE_PGM_RSRC2:TGID_X_EN: 1
; COMPUTE_PGM_RSRC2:TGID_Y_EN: 0
; COMPUTE_PGM_RSRC2:TGID_Z_EN: 0
; COMPUTE_PGM_RSRC2:TIDIG_COMP_CNT: 0
	.section	.text._ZN7rocprim17ROCPRIM_400000_NS6detail17trampoline_kernelINS0_14default_configENS1_35radix_sort_onesweep_config_selectorIjNS0_10empty_typeEEEZZNS1_29radix_sort_onesweep_iterationIS3_Lb1EPKjPjPS5_SB_mNS0_19identity_decomposerENS1_16block_id_wrapperIjLb1EEEEE10hipError_tT1_PNSt15iterator_traitsISG_E10value_typeET2_T3_PNSH_ISM_E10value_typeET4_T5_PSR_SS_PNS1_23onesweep_lookback_stateEbbT6_jjT7_P12ihipStream_tbENKUlT_T0_SG_SL_E_clISA_SA_SB_SB_EEDaSZ_S10_SG_SL_EUlSZ_E_NS1_11comp_targetILNS1_3genE2ELNS1_11target_archE906ELNS1_3gpuE6ELNS1_3repE0EEENS1_47radix_sort_onesweep_sort_config_static_selectorELNS0_4arch9wavefront6targetE0EEEvSG_,"axG",@progbits,_ZN7rocprim17ROCPRIM_400000_NS6detail17trampoline_kernelINS0_14default_configENS1_35radix_sort_onesweep_config_selectorIjNS0_10empty_typeEEEZZNS1_29radix_sort_onesweep_iterationIS3_Lb1EPKjPjPS5_SB_mNS0_19identity_decomposerENS1_16block_id_wrapperIjLb1EEEEE10hipError_tT1_PNSt15iterator_traitsISG_E10value_typeET2_T3_PNSH_ISM_E10value_typeET4_T5_PSR_SS_PNS1_23onesweep_lookback_stateEbbT6_jjT7_P12ihipStream_tbENKUlT_T0_SG_SL_E_clISA_SA_SB_SB_EEDaSZ_S10_SG_SL_EUlSZ_E_NS1_11comp_targetILNS1_3genE2ELNS1_11target_archE906ELNS1_3gpuE6ELNS1_3repE0EEENS1_47radix_sort_onesweep_sort_config_static_selectorELNS0_4arch9wavefront6targetE0EEEvSG_,comdat
	.protected	_ZN7rocprim17ROCPRIM_400000_NS6detail17trampoline_kernelINS0_14default_configENS1_35radix_sort_onesweep_config_selectorIjNS0_10empty_typeEEEZZNS1_29radix_sort_onesweep_iterationIS3_Lb1EPKjPjPS5_SB_mNS0_19identity_decomposerENS1_16block_id_wrapperIjLb1EEEEE10hipError_tT1_PNSt15iterator_traitsISG_E10value_typeET2_T3_PNSH_ISM_E10value_typeET4_T5_PSR_SS_PNS1_23onesweep_lookback_stateEbbT6_jjT7_P12ihipStream_tbENKUlT_T0_SG_SL_E_clISA_SA_SB_SB_EEDaSZ_S10_SG_SL_EUlSZ_E_NS1_11comp_targetILNS1_3genE2ELNS1_11target_archE906ELNS1_3gpuE6ELNS1_3repE0EEENS1_47radix_sort_onesweep_sort_config_static_selectorELNS0_4arch9wavefront6targetE0EEEvSG_ ; -- Begin function _ZN7rocprim17ROCPRIM_400000_NS6detail17trampoline_kernelINS0_14default_configENS1_35radix_sort_onesweep_config_selectorIjNS0_10empty_typeEEEZZNS1_29radix_sort_onesweep_iterationIS3_Lb1EPKjPjPS5_SB_mNS0_19identity_decomposerENS1_16block_id_wrapperIjLb1EEEEE10hipError_tT1_PNSt15iterator_traitsISG_E10value_typeET2_T3_PNSH_ISM_E10value_typeET4_T5_PSR_SS_PNS1_23onesweep_lookback_stateEbbT6_jjT7_P12ihipStream_tbENKUlT_T0_SG_SL_E_clISA_SA_SB_SB_EEDaSZ_S10_SG_SL_EUlSZ_E_NS1_11comp_targetILNS1_3genE2ELNS1_11target_archE906ELNS1_3gpuE6ELNS1_3repE0EEENS1_47radix_sort_onesweep_sort_config_static_selectorELNS0_4arch9wavefront6targetE0EEEvSG_
	.globl	_ZN7rocprim17ROCPRIM_400000_NS6detail17trampoline_kernelINS0_14default_configENS1_35radix_sort_onesweep_config_selectorIjNS0_10empty_typeEEEZZNS1_29radix_sort_onesweep_iterationIS3_Lb1EPKjPjPS5_SB_mNS0_19identity_decomposerENS1_16block_id_wrapperIjLb1EEEEE10hipError_tT1_PNSt15iterator_traitsISG_E10value_typeET2_T3_PNSH_ISM_E10value_typeET4_T5_PSR_SS_PNS1_23onesweep_lookback_stateEbbT6_jjT7_P12ihipStream_tbENKUlT_T0_SG_SL_E_clISA_SA_SB_SB_EEDaSZ_S10_SG_SL_EUlSZ_E_NS1_11comp_targetILNS1_3genE2ELNS1_11target_archE906ELNS1_3gpuE6ELNS1_3repE0EEENS1_47radix_sort_onesweep_sort_config_static_selectorELNS0_4arch9wavefront6targetE0EEEvSG_
	.p2align	8
	.type	_ZN7rocprim17ROCPRIM_400000_NS6detail17trampoline_kernelINS0_14default_configENS1_35radix_sort_onesweep_config_selectorIjNS0_10empty_typeEEEZZNS1_29radix_sort_onesweep_iterationIS3_Lb1EPKjPjPS5_SB_mNS0_19identity_decomposerENS1_16block_id_wrapperIjLb1EEEEE10hipError_tT1_PNSt15iterator_traitsISG_E10value_typeET2_T3_PNSH_ISM_E10value_typeET4_T5_PSR_SS_PNS1_23onesweep_lookback_stateEbbT6_jjT7_P12ihipStream_tbENKUlT_T0_SG_SL_E_clISA_SA_SB_SB_EEDaSZ_S10_SG_SL_EUlSZ_E_NS1_11comp_targetILNS1_3genE2ELNS1_11target_archE906ELNS1_3gpuE6ELNS1_3repE0EEENS1_47radix_sort_onesweep_sort_config_static_selectorELNS0_4arch9wavefront6targetE0EEEvSG_,@function
_ZN7rocprim17ROCPRIM_400000_NS6detail17trampoline_kernelINS0_14default_configENS1_35radix_sort_onesweep_config_selectorIjNS0_10empty_typeEEEZZNS1_29radix_sort_onesweep_iterationIS3_Lb1EPKjPjPS5_SB_mNS0_19identity_decomposerENS1_16block_id_wrapperIjLb1EEEEE10hipError_tT1_PNSt15iterator_traitsISG_E10value_typeET2_T3_PNSH_ISM_E10value_typeET4_T5_PSR_SS_PNS1_23onesweep_lookback_stateEbbT6_jjT7_P12ihipStream_tbENKUlT_T0_SG_SL_E_clISA_SA_SB_SB_EEDaSZ_S10_SG_SL_EUlSZ_E_NS1_11comp_targetILNS1_3genE2ELNS1_11target_archE906ELNS1_3gpuE6ELNS1_3repE0EEENS1_47radix_sort_onesweep_sort_config_static_selectorELNS0_4arch9wavefront6targetE0EEEvSG_: ; @_ZN7rocprim17ROCPRIM_400000_NS6detail17trampoline_kernelINS0_14default_configENS1_35radix_sort_onesweep_config_selectorIjNS0_10empty_typeEEEZZNS1_29radix_sort_onesweep_iterationIS3_Lb1EPKjPjPS5_SB_mNS0_19identity_decomposerENS1_16block_id_wrapperIjLb1EEEEE10hipError_tT1_PNSt15iterator_traitsISG_E10value_typeET2_T3_PNSH_ISM_E10value_typeET4_T5_PSR_SS_PNS1_23onesweep_lookback_stateEbbT6_jjT7_P12ihipStream_tbENKUlT_T0_SG_SL_E_clISA_SA_SB_SB_EEDaSZ_S10_SG_SL_EUlSZ_E_NS1_11comp_targetILNS1_3genE2ELNS1_11target_archE906ELNS1_3gpuE6ELNS1_3repE0EEENS1_47radix_sort_onesweep_sort_config_static_selectorELNS0_4arch9wavefront6targetE0EEEvSG_
; %bb.0:
	.section	.rodata,"a",@progbits
	.p2align	6, 0x0
	.amdhsa_kernel _ZN7rocprim17ROCPRIM_400000_NS6detail17trampoline_kernelINS0_14default_configENS1_35radix_sort_onesweep_config_selectorIjNS0_10empty_typeEEEZZNS1_29radix_sort_onesweep_iterationIS3_Lb1EPKjPjPS5_SB_mNS0_19identity_decomposerENS1_16block_id_wrapperIjLb1EEEEE10hipError_tT1_PNSt15iterator_traitsISG_E10value_typeET2_T3_PNSH_ISM_E10value_typeET4_T5_PSR_SS_PNS1_23onesweep_lookback_stateEbbT6_jjT7_P12ihipStream_tbENKUlT_T0_SG_SL_E_clISA_SA_SB_SB_EEDaSZ_S10_SG_SL_EUlSZ_E_NS1_11comp_targetILNS1_3genE2ELNS1_11target_archE906ELNS1_3gpuE6ELNS1_3repE0EEENS1_47radix_sort_onesweep_sort_config_static_selectorELNS0_4arch9wavefront6targetE0EEEvSG_
		.amdhsa_group_segment_fixed_size 0
		.amdhsa_private_segment_fixed_size 0
		.amdhsa_kernarg_size 88
		.amdhsa_user_sgpr_count 2
		.amdhsa_user_sgpr_dispatch_ptr 0
		.amdhsa_user_sgpr_queue_ptr 0
		.amdhsa_user_sgpr_kernarg_segment_ptr 1
		.amdhsa_user_sgpr_dispatch_id 0
		.amdhsa_user_sgpr_kernarg_preload_length 0
		.amdhsa_user_sgpr_kernarg_preload_offset 0
		.amdhsa_user_sgpr_private_segment_size 0
		.amdhsa_wavefront_size32 1
		.amdhsa_uses_dynamic_stack 0
		.amdhsa_enable_private_segment 0
		.amdhsa_system_sgpr_workgroup_id_x 1
		.amdhsa_system_sgpr_workgroup_id_y 0
		.amdhsa_system_sgpr_workgroup_id_z 0
		.amdhsa_system_sgpr_workgroup_info 0
		.amdhsa_system_vgpr_workitem_id 0
		.amdhsa_next_free_vgpr 1
		.amdhsa_next_free_sgpr 1
		.amdhsa_named_barrier_count 0
		.amdhsa_reserve_vcc 0
		.amdhsa_float_round_mode_32 0
		.amdhsa_float_round_mode_16_64 0
		.amdhsa_float_denorm_mode_32 3
		.amdhsa_float_denorm_mode_16_64 3
		.amdhsa_fp16_overflow 0
		.amdhsa_memory_ordered 1
		.amdhsa_forward_progress 1
		.amdhsa_inst_pref_size 0
		.amdhsa_round_robin_scheduling 0
		.amdhsa_exception_fp_ieee_invalid_op 0
		.amdhsa_exception_fp_denorm_src 0
		.amdhsa_exception_fp_ieee_div_zero 0
		.amdhsa_exception_fp_ieee_overflow 0
		.amdhsa_exception_fp_ieee_underflow 0
		.amdhsa_exception_fp_ieee_inexact 0
		.amdhsa_exception_int_div_zero 0
	.end_amdhsa_kernel
	.section	.text._ZN7rocprim17ROCPRIM_400000_NS6detail17trampoline_kernelINS0_14default_configENS1_35radix_sort_onesweep_config_selectorIjNS0_10empty_typeEEEZZNS1_29radix_sort_onesweep_iterationIS3_Lb1EPKjPjPS5_SB_mNS0_19identity_decomposerENS1_16block_id_wrapperIjLb1EEEEE10hipError_tT1_PNSt15iterator_traitsISG_E10value_typeET2_T3_PNSH_ISM_E10value_typeET4_T5_PSR_SS_PNS1_23onesweep_lookback_stateEbbT6_jjT7_P12ihipStream_tbENKUlT_T0_SG_SL_E_clISA_SA_SB_SB_EEDaSZ_S10_SG_SL_EUlSZ_E_NS1_11comp_targetILNS1_3genE2ELNS1_11target_archE906ELNS1_3gpuE6ELNS1_3repE0EEENS1_47radix_sort_onesweep_sort_config_static_selectorELNS0_4arch9wavefront6targetE0EEEvSG_,"axG",@progbits,_ZN7rocprim17ROCPRIM_400000_NS6detail17trampoline_kernelINS0_14default_configENS1_35radix_sort_onesweep_config_selectorIjNS0_10empty_typeEEEZZNS1_29radix_sort_onesweep_iterationIS3_Lb1EPKjPjPS5_SB_mNS0_19identity_decomposerENS1_16block_id_wrapperIjLb1EEEEE10hipError_tT1_PNSt15iterator_traitsISG_E10value_typeET2_T3_PNSH_ISM_E10value_typeET4_T5_PSR_SS_PNS1_23onesweep_lookback_stateEbbT6_jjT7_P12ihipStream_tbENKUlT_T0_SG_SL_E_clISA_SA_SB_SB_EEDaSZ_S10_SG_SL_EUlSZ_E_NS1_11comp_targetILNS1_3genE2ELNS1_11target_archE906ELNS1_3gpuE6ELNS1_3repE0EEENS1_47radix_sort_onesweep_sort_config_static_selectorELNS0_4arch9wavefront6targetE0EEEvSG_,comdat
.Lfunc_end2645:
	.size	_ZN7rocprim17ROCPRIM_400000_NS6detail17trampoline_kernelINS0_14default_configENS1_35radix_sort_onesweep_config_selectorIjNS0_10empty_typeEEEZZNS1_29radix_sort_onesweep_iterationIS3_Lb1EPKjPjPS5_SB_mNS0_19identity_decomposerENS1_16block_id_wrapperIjLb1EEEEE10hipError_tT1_PNSt15iterator_traitsISG_E10value_typeET2_T3_PNSH_ISM_E10value_typeET4_T5_PSR_SS_PNS1_23onesweep_lookback_stateEbbT6_jjT7_P12ihipStream_tbENKUlT_T0_SG_SL_E_clISA_SA_SB_SB_EEDaSZ_S10_SG_SL_EUlSZ_E_NS1_11comp_targetILNS1_3genE2ELNS1_11target_archE906ELNS1_3gpuE6ELNS1_3repE0EEENS1_47radix_sort_onesweep_sort_config_static_selectorELNS0_4arch9wavefront6targetE0EEEvSG_, .Lfunc_end2645-_ZN7rocprim17ROCPRIM_400000_NS6detail17trampoline_kernelINS0_14default_configENS1_35radix_sort_onesweep_config_selectorIjNS0_10empty_typeEEEZZNS1_29radix_sort_onesweep_iterationIS3_Lb1EPKjPjPS5_SB_mNS0_19identity_decomposerENS1_16block_id_wrapperIjLb1EEEEE10hipError_tT1_PNSt15iterator_traitsISG_E10value_typeET2_T3_PNSH_ISM_E10value_typeET4_T5_PSR_SS_PNS1_23onesweep_lookback_stateEbbT6_jjT7_P12ihipStream_tbENKUlT_T0_SG_SL_E_clISA_SA_SB_SB_EEDaSZ_S10_SG_SL_EUlSZ_E_NS1_11comp_targetILNS1_3genE2ELNS1_11target_archE906ELNS1_3gpuE6ELNS1_3repE0EEENS1_47radix_sort_onesweep_sort_config_static_selectorELNS0_4arch9wavefront6targetE0EEEvSG_
                                        ; -- End function
	.set _ZN7rocprim17ROCPRIM_400000_NS6detail17trampoline_kernelINS0_14default_configENS1_35radix_sort_onesweep_config_selectorIjNS0_10empty_typeEEEZZNS1_29radix_sort_onesweep_iterationIS3_Lb1EPKjPjPS5_SB_mNS0_19identity_decomposerENS1_16block_id_wrapperIjLb1EEEEE10hipError_tT1_PNSt15iterator_traitsISG_E10value_typeET2_T3_PNSH_ISM_E10value_typeET4_T5_PSR_SS_PNS1_23onesweep_lookback_stateEbbT6_jjT7_P12ihipStream_tbENKUlT_T0_SG_SL_E_clISA_SA_SB_SB_EEDaSZ_S10_SG_SL_EUlSZ_E_NS1_11comp_targetILNS1_3genE2ELNS1_11target_archE906ELNS1_3gpuE6ELNS1_3repE0EEENS1_47radix_sort_onesweep_sort_config_static_selectorELNS0_4arch9wavefront6targetE0EEEvSG_.num_vgpr, 0
	.set _ZN7rocprim17ROCPRIM_400000_NS6detail17trampoline_kernelINS0_14default_configENS1_35radix_sort_onesweep_config_selectorIjNS0_10empty_typeEEEZZNS1_29radix_sort_onesweep_iterationIS3_Lb1EPKjPjPS5_SB_mNS0_19identity_decomposerENS1_16block_id_wrapperIjLb1EEEEE10hipError_tT1_PNSt15iterator_traitsISG_E10value_typeET2_T3_PNSH_ISM_E10value_typeET4_T5_PSR_SS_PNS1_23onesweep_lookback_stateEbbT6_jjT7_P12ihipStream_tbENKUlT_T0_SG_SL_E_clISA_SA_SB_SB_EEDaSZ_S10_SG_SL_EUlSZ_E_NS1_11comp_targetILNS1_3genE2ELNS1_11target_archE906ELNS1_3gpuE6ELNS1_3repE0EEENS1_47radix_sort_onesweep_sort_config_static_selectorELNS0_4arch9wavefront6targetE0EEEvSG_.num_agpr, 0
	.set _ZN7rocprim17ROCPRIM_400000_NS6detail17trampoline_kernelINS0_14default_configENS1_35radix_sort_onesweep_config_selectorIjNS0_10empty_typeEEEZZNS1_29radix_sort_onesweep_iterationIS3_Lb1EPKjPjPS5_SB_mNS0_19identity_decomposerENS1_16block_id_wrapperIjLb1EEEEE10hipError_tT1_PNSt15iterator_traitsISG_E10value_typeET2_T3_PNSH_ISM_E10value_typeET4_T5_PSR_SS_PNS1_23onesweep_lookback_stateEbbT6_jjT7_P12ihipStream_tbENKUlT_T0_SG_SL_E_clISA_SA_SB_SB_EEDaSZ_S10_SG_SL_EUlSZ_E_NS1_11comp_targetILNS1_3genE2ELNS1_11target_archE906ELNS1_3gpuE6ELNS1_3repE0EEENS1_47radix_sort_onesweep_sort_config_static_selectorELNS0_4arch9wavefront6targetE0EEEvSG_.numbered_sgpr, 0
	.set _ZN7rocprim17ROCPRIM_400000_NS6detail17trampoline_kernelINS0_14default_configENS1_35radix_sort_onesweep_config_selectorIjNS0_10empty_typeEEEZZNS1_29radix_sort_onesweep_iterationIS3_Lb1EPKjPjPS5_SB_mNS0_19identity_decomposerENS1_16block_id_wrapperIjLb1EEEEE10hipError_tT1_PNSt15iterator_traitsISG_E10value_typeET2_T3_PNSH_ISM_E10value_typeET4_T5_PSR_SS_PNS1_23onesweep_lookback_stateEbbT6_jjT7_P12ihipStream_tbENKUlT_T0_SG_SL_E_clISA_SA_SB_SB_EEDaSZ_S10_SG_SL_EUlSZ_E_NS1_11comp_targetILNS1_3genE2ELNS1_11target_archE906ELNS1_3gpuE6ELNS1_3repE0EEENS1_47radix_sort_onesweep_sort_config_static_selectorELNS0_4arch9wavefront6targetE0EEEvSG_.num_named_barrier, 0
	.set _ZN7rocprim17ROCPRIM_400000_NS6detail17trampoline_kernelINS0_14default_configENS1_35radix_sort_onesweep_config_selectorIjNS0_10empty_typeEEEZZNS1_29radix_sort_onesweep_iterationIS3_Lb1EPKjPjPS5_SB_mNS0_19identity_decomposerENS1_16block_id_wrapperIjLb1EEEEE10hipError_tT1_PNSt15iterator_traitsISG_E10value_typeET2_T3_PNSH_ISM_E10value_typeET4_T5_PSR_SS_PNS1_23onesweep_lookback_stateEbbT6_jjT7_P12ihipStream_tbENKUlT_T0_SG_SL_E_clISA_SA_SB_SB_EEDaSZ_S10_SG_SL_EUlSZ_E_NS1_11comp_targetILNS1_3genE2ELNS1_11target_archE906ELNS1_3gpuE6ELNS1_3repE0EEENS1_47radix_sort_onesweep_sort_config_static_selectorELNS0_4arch9wavefront6targetE0EEEvSG_.private_seg_size, 0
	.set _ZN7rocprim17ROCPRIM_400000_NS6detail17trampoline_kernelINS0_14default_configENS1_35radix_sort_onesweep_config_selectorIjNS0_10empty_typeEEEZZNS1_29radix_sort_onesweep_iterationIS3_Lb1EPKjPjPS5_SB_mNS0_19identity_decomposerENS1_16block_id_wrapperIjLb1EEEEE10hipError_tT1_PNSt15iterator_traitsISG_E10value_typeET2_T3_PNSH_ISM_E10value_typeET4_T5_PSR_SS_PNS1_23onesweep_lookback_stateEbbT6_jjT7_P12ihipStream_tbENKUlT_T0_SG_SL_E_clISA_SA_SB_SB_EEDaSZ_S10_SG_SL_EUlSZ_E_NS1_11comp_targetILNS1_3genE2ELNS1_11target_archE906ELNS1_3gpuE6ELNS1_3repE0EEENS1_47radix_sort_onesweep_sort_config_static_selectorELNS0_4arch9wavefront6targetE0EEEvSG_.uses_vcc, 0
	.set _ZN7rocprim17ROCPRIM_400000_NS6detail17trampoline_kernelINS0_14default_configENS1_35radix_sort_onesweep_config_selectorIjNS0_10empty_typeEEEZZNS1_29radix_sort_onesweep_iterationIS3_Lb1EPKjPjPS5_SB_mNS0_19identity_decomposerENS1_16block_id_wrapperIjLb1EEEEE10hipError_tT1_PNSt15iterator_traitsISG_E10value_typeET2_T3_PNSH_ISM_E10value_typeET4_T5_PSR_SS_PNS1_23onesweep_lookback_stateEbbT6_jjT7_P12ihipStream_tbENKUlT_T0_SG_SL_E_clISA_SA_SB_SB_EEDaSZ_S10_SG_SL_EUlSZ_E_NS1_11comp_targetILNS1_3genE2ELNS1_11target_archE906ELNS1_3gpuE6ELNS1_3repE0EEENS1_47radix_sort_onesweep_sort_config_static_selectorELNS0_4arch9wavefront6targetE0EEEvSG_.uses_flat_scratch, 0
	.set _ZN7rocprim17ROCPRIM_400000_NS6detail17trampoline_kernelINS0_14default_configENS1_35radix_sort_onesweep_config_selectorIjNS0_10empty_typeEEEZZNS1_29radix_sort_onesweep_iterationIS3_Lb1EPKjPjPS5_SB_mNS0_19identity_decomposerENS1_16block_id_wrapperIjLb1EEEEE10hipError_tT1_PNSt15iterator_traitsISG_E10value_typeET2_T3_PNSH_ISM_E10value_typeET4_T5_PSR_SS_PNS1_23onesweep_lookback_stateEbbT6_jjT7_P12ihipStream_tbENKUlT_T0_SG_SL_E_clISA_SA_SB_SB_EEDaSZ_S10_SG_SL_EUlSZ_E_NS1_11comp_targetILNS1_3genE2ELNS1_11target_archE906ELNS1_3gpuE6ELNS1_3repE0EEENS1_47radix_sort_onesweep_sort_config_static_selectorELNS0_4arch9wavefront6targetE0EEEvSG_.has_dyn_sized_stack, 0
	.set _ZN7rocprim17ROCPRIM_400000_NS6detail17trampoline_kernelINS0_14default_configENS1_35radix_sort_onesweep_config_selectorIjNS0_10empty_typeEEEZZNS1_29radix_sort_onesweep_iterationIS3_Lb1EPKjPjPS5_SB_mNS0_19identity_decomposerENS1_16block_id_wrapperIjLb1EEEEE10hipError_tT1_PNSt15iterator_traitsISG_E10value_typeET2_T3_PNSH_ISM_E10value_typeET4_T5_PSR_SS_PNS1_23onesweep_lookback_stateEbbT6_jjT7_P12ihipStream_tbENKUlT_T0_SG_SL_E_clISA_SA_SB_SB_EEDaSZ_S10_SG_SL_EUlSZ_E_NS1_11comp_targetILNS1_3genE2ELNS1_11target_archE906ELNS1_3gpuE6ELNS1_3repE0EEENS1_47radix_sort_onesweep_sort_config_static_selectorELNS0_4arch9wavefront6targetE0EEEvSG_.has_recursion, 0
	.set _ZN7rocprim17ROCPRIM_400000_NS6detail17trampoline_kernelINS0_14default_configENS1_35radix_sort_onesweep_config_selectorIjNS0_10empty_typeEEEZZNS1_29radix_sort_onesweep_iterationIS3_Lb1EPKjPjPS5_SB_mNS0_19identity_decomposerENS1_16block_id_wrapperIjLb1EEEEE10hipError_tT1_PNSt15iterator_traitsISG_E10value_typeET2_T3_PNSH_ISM_E10value_typeET4_T5_PSR_SS_PNS1_23onesweep_lookback_stateEbbT6_jjT7_P12ihipStream_tbENKUlT_T0_SG_SL_E_clISA_SA_SB_SB_EEDaSZ_S10_SG_SL_EUlSZ_E_NS1_11comp_targetILNS1_3genE2ELNS1_11target_archE906ELNS1_3gpuE6ELNS1_3repE0EEENS1_47radix_sort_onesweep_sort_config_static_selectorELNS0_4arch9wavefront6targetE0EEEvSG_.has_indirect_call, 0
	.section	.AMDGPU.csdata,"",@progbits
; Kernel info:
; codeLenInByte = 0
; TotalNumSgprs: 0
; NumVgprs: 0
; ScratchSize: 0
; MemoryBound: 0
; FloatMode: 240
; IeeeMode: 1
; LDSByteSize: 0 bytes/workgroup (compile time only)
; SGPRBlocks: 0
; VGPRBlocks: 0
; NumSGPRsForWavesPerEU: 1
; NumVGPRsForWavesPerEU: 1
; NamedBarCnt: 0
; Occupancy: 16
; WaveLimiterHint : 0
; COMPUTE_PGM_RSRC2:SCRATCH_EN: 0
; COMPUTE_PGM_RSRC2:USER_SGPR: 2
; COMPUTE_PGM_RSRC2:TRAP_HANDLER: 0
; COMPUTE_PGM_RSRC2:TGID_X_EN: 1
; COMPUTE_PGM_RSRC2:TGID_Y_EN: 0
; COMPUTE_PGM_RSRC2:TGID_Z_EN: 0
; COMPUTE_PGM_RSRC2:TIDIG_COMP_CNT: 0
	.section	.text._ZN7rocprim17ROCPRIM_400000_NS6detail17trampoline_kernelINS0_14default_configENS1_35radix_sort_onesweep_config_selectorIjNS0_10empty_typeEEEZZNS1_29radix_sort_onesweep_iterationIS3_Lb1EPKjPjPS5_SB_mNS0_19identity_decomposerENS1_16block_id_wrapperIjLb1EEEEE10hipError_tT1_PNSt15iterator_traitsISG_E10value_typeET2_T3_PNSH_ISM_E10value_typeET4_T5_PSR_SS_PNS1_23onesweep_lookback_stateEbbT6_jjT7_P12ihipStream_tbENKUlT_T0_SG_SL_E_clISA_SA_SB_SB_EEDaSZ_S10_SG_SL_EUlSZ_E_NS1_11comp_targetILNS1_3genE4ELNS1_11target_archE910ELNS1_3gpuE8ELNS1_3repE0EEENS1_47radix_sort_onesweep_sort_config_static_selectorELNS0_4arch9wavefront6targetE0EEEvSG_,"axG",@progbits,_ZN7rocprim17ROCPRIM_400000_NS6detail17trampoline_kernelINS0_14default_configENS1_35radix_sort_onesweep_config_selectorIjNS0_10empty_typeEEEZZNS1_29radix_sort_onesweep_iterationIS3_Lb1EPKjPjPS5_SB_mNS0_19identity_decomposerENS1_16block_id_wrapperIjLb1EEEEE10hipError_tT1_PNSt15iterator_traitsISG_E10value_typeET2_T3_PNSH_ISM_E10value_typeET4_T5_PSR_SS_PNS1_23onesweep_lookback_stateEbbT6_jjT7_P12ihipStream_tbENKUlT_T0_SG_SL_E_clISA_SA_SB_SB_EEDaSZ_S10_SG_SL_EUlSZ_E_NS1_11comp_targetILNS1_3genE4ELNS1_11target_archE910ELNS1_3gpuE8ELNS1_3repE0EEENS1_47radix_sort_onesweep_sort_config_static_selectorELNS0_4arch9wavefront6targetE0EEEvSG_,comdat
	.protected	_ZN7rocprim17ROCPRIM_400000_NS6detail17trampoline_kernelINS0_14default_configENS1_35radix_sort_onesweep_config_selectorIjNS0_10empty_typeEEEZZNS1_29radix_sort_onesweep_iterationIS3_Lb1EPKjPjPS5_SB_mNS0_19identity_decomposerENS1_16block_id_wrapperIjLb1EEEEE10hipError_tT1_PNSt15iterator_traitsISG_E10value_typeET2_T3_PNSH_ISM_E10value_typeET4_T5_PSR_SS_PNS1_23onesweep_lookback_stateEbbT6_jjT7_P12ihipStream_tbENKUlT_T0_SG_SL_E_clISA_SA_SB_SB_EEDaSZ_S10_SG_SL_EUlSZ_E_NS1_11comp_targetILNS1_3genE4ELNS1_11target_archE910ELNS1_3gpuE8ELNS1_3repE0EEENS1_47radix_sort_onesweep_sort_config_static_selectorELNS0_4arch9wavefront6targetE0EEEvSG_ ; -- Begin function _ZN7rocprim17ROCPRIM_400000_NS6detail17trampoline_kernelINS0_14default_configENS1_35radix_sort_onesweep_config_selectorIjNS0_10empty_typeEEEZZNS1_29radix_sort_onesweep_iterationIS3_Lb1EPKjPjPS5_SB_mNS0_19identity_decomposerENS1_16block_id_wrapperIjLb1EEEEE10hipError_tT1_PNSt15iterator_traitsISG_E10value_typeET2_T3_PNSH_ISM_E10value_typeET4_T5_PSR_SS_PNS1_23onesweep_lookback_stateEbbT6_jjT7_P12ihipStream_tbENKUlT_T0_SG_SL_E_clISA_SA_SB_SB_EEDaSZ_S10_SG_SL_EUlSZ_E_NS1_11comp_targetILNS1_3genE4ELNS1_11target_archE910ELNS1_3gpuE8ELNS1_3repE0EEENS1_47radix_sort_onesweep_sort_config_static_selectorELNS0_4arch9wavefront6targetE0EEEvSG_
	.globl	_ZN7rocprim17ROCPRIM_400000_NS6detail17trampoline_kernelINS0_14default_configENS1_35radix_sort_onesweep_config_selectorIjNS0_10empty_typeEEEZZNS1_29radix_sort_onesweep_iterationIS3_Lb1EPKjPjPS5_SB_mNS0_19identity_decomposerENS1_16block_id_wrapperIjLb1EEEEE10hipError_tT1_PNSt15iterator_traitsISG_E10value_typeET2_T3_PNSH_ISM_E10value_typeET4_T5_PSR_SS_PNS1_23onesweep_lookback_stateEbbT6_jjT7_P12ihipStream_tbENKUlT_T0_SG_SL_E_clISA_SA_SB_SB_EEDaSZ_S10_SG_SL_EUlSZ_E_NS1_11comp_targetILNS1_3genE4ELNS1_11target_archE910ELNS1_3gpuE8ELNS1_3repE0EEENS1_47radix_sort_onesweep_sort_config_static_selectorELNS0_4arch9wavefront6targetE0EEEvSG_
	.p2align	8
	.type	_ZN7rocprim17ROCPRIM_400000_NS6detail17trampoline_kernelINS0_14default_configENS1_35radix_sort_onesweep_config_selectorIjNS0_10empty_typeEEEZZNS1_29radix_sort_onesweep_iterationIS3_Lb1EPKjPjPS5_SB_mNS0_19identity_decomposerENS1_16block_id_wrapperIjLb1EEEEE10hipError_tT1_PNSt15iterator_traitsISG_E10value_typeET2_T3_PNSH_ISM_E10value_typeET4_T5_PSR_SS_PNS1_23onesweep_lookback_stateEbbT6_jjT7_P12ihipStream_tbENKUlT_T0_SG_SL_E_clISA_SA_SB_SB_EEDaSZ_S10_SG_SL_EUlSZ_E_NS1_11comp_targetILNS1_3genE4ELNS1_11target_archE910ELNS1_3gpuE8ELNS1_3repE0EEENS1_47radix_sort_onesweep_sort_config_static_selectorELNS0_4arch9wavefront6targetE0EEEvSG_,@function
_ZN7rocprim17ROCPRIM_400000_NS6detail17trampoline_kernelINS0_14default_configENS1_35radix_sort_onesweep_config_selectorIjNS0_10empty_typeEEEZZNS1_29radix_sort_onesweep_iterationIS3_Lb1EPKjPjPS5_SB_mNS0_19identity_decomposerENS1_16block_id_wrapperIjLb1EEEEE10hipError_tT1_PNSt15iterator_traitsISG_E10value_typeET2_T3_PNSH_ISM_E10value_typeET4_T5_PSR_SS_PNS1_23onesweep_lookback_stateEbbT6_jjT7_P12ihipStream_tbENKUlT_T0_SG_SL_E_clISA_SA_SB_SB_EEDaSZ_S10_SG_SL_EUlSZ_E_NS1_11comp_targetILNS1_3genE4ELNS1_11target_archE910ELNS1_3gpuE8ELNS1_3repE0EEENS1_47radix_sort_onesweep_sort_config_static_selectorELNS0_4arch9wavefront6targetE0EEEvSG_: ; @_ZN7rocprim17ROCPRIM_400000_NS6detail17trampoline_kernelINS0_14default_configENS1_35radix_sort_onesweep_config_selectorIjNS0_10empty_typeEEEZZNS1_29radix_sort_onesweep_iterationIS3_Lb1EPKjPjPS5_SB_mNS0_19identity_decomposerENS1_16block_id_wrapperIjLb1EEEEE10hipError_tT1_PNSt15iterator_traitsISG_E10value_typeET2_T3_PNSH_ISM_E10value_typeET4_T5_PSR_SS_PNS1_23onesweep_lookback_stateEbbT6_jjT7_P12ihipStream_tbENKUlT_T0_SG_SL_E_clISA_SA_SB_SB_EEDaSZ_S10_SG_SL_EUlSZ_E_NS1_11comp_targetILNS1_3genE4ELNS1_11target_archE910ELNS1_3gpuE8ELNS1_3repE0EEENS1_47radix_sort_onesweep_sort_config_static_selectorELNS0_4arch9wavefront6targetE0EEEvSG_
; %bb.0:
	.section	.rodata,"a",@progbits
	.p2align	6, 0x0
	.amdhsa_kernel _ZN7rocprim17ROCPRIM_400000_NS6detail17trampoline_kernelINS0_14default_configENS1_35radix_sort_onesweep_config_selectorIjNS0_10empty_typeEEEZZNS1_29radix_sort_onesweep_iterationIS3_Lb1EPKjPjPS5_SB_mNS0_19identity_decomposerENS1_16block_id_wrapperIjLb1EEEEE10hipError_tT1_PNSt15iterator_traitsISG_E10value_typeET2_T3_PNSH_ISM_E10value_typeET4_T5_PSR_SS_PNS1_23onesweep_lookback_stateEbbT6_jjT7_P12ihipStream_tbENKUlT_T0_SG_SL_E_clISA_SA_SB_SB_EEDaSZ_S10_SG_SL_EUlSZ_E_NS1_11comp_targetILNS1_3genE4ELNS1_11target_archE910ELNS1_3gpuE8ELNS1_3repE0EEENS1_47radix_sort_onesweep_sort_config_static_selectorELNS0_4arch9wavefront6targetE0EEEvSG_
		.amdhsa_group_segment_fixed_size 0
		.amdhsa_private_segment_fixed_size 0
		.amdhsa_kernarg_size 88
		.amdhsa_user_sgpr_count 2
		.amdhsa_user_sgpr_dispatch_ptr 0
		.amdhsa_user_sgpr_queue_ptr 0
		.amdhsa_user_sgpr_kernarg_segment_ptr 1
		.amdhsa_user_sgpr_dispatch_id 0
		.amdhsa_user_sgpr_kernarg_preload_length 0
		.amdhsa_user_sgpr_kernarg_preload_offset 0
		.amdhsa_user_sgpr_private_segment_size 0
		.amdhsa_wavefront_size32 1
		.amdhsa_uses_dynamic_stack 0
		.amdhsa_enable_private_segment 0
		.amdhsa_system_sgpr_workgroup_id_x 1
		.amdhsa_system_sgpr_workgroup_id_y 0
		.amdhsa_system_sgpr_workgroup_id_z 0
		.amdhsa_system_sgpr_workgroup_info 0
		.amdhsa_system_vgpr_workitem_id 0
		.amdhsa_next_free_vgpr 1
		.amdhsa_next_free_sgpr 1
		.amdhsa_named_barrier_count 0
		.amdhsa_reserve_vcc 0
		.amdhsa_float_round_mode_32 0
		.amdhsa_float_round_mode_16_64 0
		.amdhsa_float_denorm_mode_32 3
		.amdhsa_float_denorm_mode_16_64 3
		.amdhsa_fp16_overflow 0
		.amdhsa_memory_ordered 1
		.amdhsa_forward_progress 1
		.amdhsa_inst_pref_size 0
		.amdhsa_round_robin_scheduling 0
		.amdhsa_exception_fp_ieee_invalid_op 0
		.amdhsa_exception_fp_denorm_src 0
		.amdhsa_exception_fp_ieee_div_zero 0
		.amdhsa_exception_fp_ieee_overflow 0
		.amdhsa_exception_fp_ieee_underflow 0
		.amdhsa_exception_fp_ieee_inexact 0
		.amdhsa_exception_int_div_zero 0
	.end_amdhsa_kernel
	.section	.text._ZN7rocprim17ROCPRIM_400000_NS6detail17trampoline_kernelINS0_14default_configENS1_35radix_sort_onesweep_config_selectorIjNS0_10empty_typeEEEZZNS1_29radix_sort_onesweep_iterationIS3_Lb1EPKjPjPS5_SB_mNS0_19identity_decomposerENS1_16block_id_wrapperIjLb1EEEEE10hipError_tT1_PNSt15iterator_traitsISG_E10value_typeET2_T3_PNSH_ISM_E10value_typeET4_T5_PSR_SS_PNS1_23onesweep_lookback_stateEbbT6_jjT7_P12ihipStream_tbENKUlT_T0_SG_SL_E_clISA_SA_SB_SB_EEDaSZ_S10_SG_SL_EUlSZ_E_NS1_11comp_targetILNS1_3genE4ELNS1_11target_archE910ELNS1_3gpuE8ELNS1_3repE0EEENS1_47radix_sort_onesweep_sort_config_static_selectorELNS0_4arch9wavefront6targetE0EEEvSG_,"axG",@progbits,_ZN7rocprim17ROCPRIM_400000_NS6detail17trampoline_kernelINS0_14default_configENS1_35radix_sort_onesweep_config_selectorIjNS0_10empty_typeEEEZZNS1_29radix_sort_onesweep_iterationIS3_Lb1EPKjPjPS5_SB_mNS0_19identity_decomposerENS1_16block_id_wrapperIjLb1EEEEE10hipError_tT1_PNSt15iterator_traitsISG_E10value_typeET2_T3_PNSH_ISM_E10value_typeET4_T5_PSR_SS_PNS1_23onesweep_lookback_stateEbbT6_jjT7_P12ihipStream_tbENKUlT_T0_SG_SL_E_clISA_SA_SB_SB_EEDaSZ_S10_SG_SL_EUlSZ_E_NS1_11comp_targetILNS1_3genE4ELNS1_11target_archE910ELNS1_3gpuE8ELNS1_3repE0EEENS1_47radix_sort_onesweep_sort_config_static_selectorELNS0_4arch9wavefront6targetE0EEEvSG_,comdat
.Lfunc_end2646:
	.size	_ZN7rocprim17ROCPRIM_400000_NS6detail17trampoline_kernelINS0_14default_configENS1_35radix_sort_onesweep_config_selectorIjNS0_10empty_typeEEEZZNS1_29radix_sort_onesweep_iterationIS3_Lb1EPKjPjPS5_SB_mNS0_19identity_decomposerENS1_16block_id_wrapperIjLb1EEEEE10hipError_tT1_PNSt15iterator_traitsISG_E10value_typeET2_T3_PNSH_ISM_E10value_typeET4_T5_PSR_SS_PNS1_23onesweep_lookback_stateEbbT6_jjT7_P12ihipStream_tbENKUlT_T0_SG_SL_E_clISA_SA_SB_SB_EEDaSZ_S10_SG_SL_EUlSZ_E_NS1_11comp_targetILNS1_3genE4ELNS1_11target_archE910ELNS1_3gpuE8ELNS1_3repE0EEENS1_47radix_sort_onesweep_sort_config_static_selectorELNS0_4arch9wavefront6targetE0EEEvSG_, .Lfunc_end2646-_ZN7rocprim17ROCPRIM_400000_NS6detail17trampoline_kernelINS0_14default_configENS1_35radix_sort_onesweep_config_selectorIjNS0_10empty_typeEEEZZNS1_29radix_sort_onesweep_iterationIS3_Lb1EPKjPjPS5_SB_mNS0_19identity_decomposerENS1_16block_id_wrapperIjLb1EEEEE10hipError_tT1_PNSt15iterator_traitsISG_E10value_typeET2_T3_PNSH_ISM_E10value_typeET4_T5_PSR_SS_PNS1_23onesweep_lookback_stateEbbT6_jjT7_P12ihipStream_tbENKUlT_T0_SG_SL_E_clISA_SA_SB_SB_EEDaSZ_S10_SG_SL_EUlSZ_E_NS1_11comp_targetILNS1_3genE4ELNS1_11target_archE910ELNS1_3gpuE8ELNS1_3repE0EEENS1_47radix_sort_onesweep_sort_config_static_selectorELNS0_4arch9wavefront6targetE0EEEvSG_
                                        ; -- End function
	.set _ZN7rocprim17ROCPRIM_400000_NS6detail17trampoline_kernelINS0_14default_configENS1_35radix_sort_onesweep_config_selectorIjNS0_10empty_typeEEEZZNS1_29radix_sort_onesweep_iterationIS3_Lb1EPKjPjPS5_SB_mNS0_19identity_decomposerENS1_16block_id_wrapperIjLb1EEEEE10hipError_tT1_PNSt15iterator_traitsISG_E10value_typeET2_T3_PNSH_ISM_E10value_typeET4_T5_PSR_SS_PNS1_23onesweep_lookback_stateEbbT6_jjT7_P12ihipStream_tbENKUlT_T0_SG_SL_E_clISA_SA_SB_SB_EEDaSZ_S10_SG_SL_EUlSZ_E_NS1_11comp_targetILNS1_3genE4ELNS1_11target_archE910ELNS1_3gpuE8ELNS1_3repE0EEENS1_47radix_sort_onesweep_sort_config_static_selectorELNS0_4arch9wavefront6targetE0EEEvSG_.num_vgpr, 0
	.set _ZN7rocprim17ROCPRIM_400000_NS6detail17trampoline_kernelINS0_14default_configENS1_35radix_sort_onesweep_config_selectorIjNS0_10empty_typeEEEZZNS1_29radix_sort_onesweep_iterationIS3_Lb1EPKjPjPS5_SB_mNS0_19identity_decomposerENS1_16block_id_wrapperIjLb1EEEEE10hipError_tT1_PNSt15iterator_traitsISG_E10value_typeET2_T3_PNSH_ISM_E10value_typeET4_T5_PSR_SS_PNS1_23onesweep_lookback_stateEbbT6_jjT7_P12ihipStream_tbENKUlT_T0_SG_SL_E_clISA_SA_SB_SB_EEDaSZ_S10_SG_SL_EUlSZ_E_NS1_11comp_targetILNS1_3genE4ELNS1_11target_archE910ELNS1_3gpuE8ELNS1_3repE0EEENS1_47radix_sort_onesweep_sort_config_static_selectorELNS0_4arch9wavefront6targetE0EEEvSG_.num_agpr, 0
	.set _ZN7rocprim17ROCPRIM_400000_NS6detail17trampoline_kernelINS0_14default_configENS1_35radix_sort_onesweep_config_selectorIjNS0_10empty_typeEEEZZNS1_29radix_sort_onesweep_iterationIS3_Lb1EPKjPjPS5_SB_mNS0_19identity_decomposerENS1_16block_id_wrapperIjLb1EEEEE10hipError_tT1_PNSt15iterator_traitsISG_E10value_typeET2_T3_PNSH_ISM_E10value_typeET4_T5_PSR_SS_PNS1_23onesweep_lookback_stateEbbT6_jjT7_P12ihipStream_tbENKUlT_T0_SG_SL_E_clISA_SA_SB_SB_EEDaSZ_S10_SG_SL_EUlSZ_E_NS1_11comp_targetILNS1_3genE4ELNS1_11target_archE910ELNS1_3gpuE8ELNS1_3repE0EEENS1_47radix_sort_onesweep_sort_config_static_selectorELNS0_4arch9wavefront6targetE0EEEvSG_.numbered_sgpr, 0
	.set _ZN7rocprim17ROCPRIM_400000_NS6detail17trampoline_kernelINS0_14default_configENS1_35radix_sort_onesweep_config_selectorIjNS0_10empty_typeEEEZZNS1_29radix_sort_onesweep_iterationIS3_Lb1EPKjPjPS5_SB_mNS0_19identity_decomposerENS1_16block_id_wrapperIjLb1EEEEE10hipError_tT1_PNSt15iterator_traitsISG_E10value_typeET2_T3_PNSH_ISM_E10value_typeET4_T5_PSR_SS_PNS1_23onesweep_lookback_stateEbbT6_jjT7_P12ihipStream_tbENKUlT_T0_SG_SL_E_clISA_SA_SB_SB_EEDaSZ_S10_SG_SL_EUlSZ_E_NS1_11comp_targetILNS1_3genE4ELNS1_11target_archE910ELNS1_3gpuE8ELNS1_3repE0EEENS1_47radix_sort_onesweep_sort_config_static_selectorELNS0_4arch9wavefront6targetE0EEEvSG_.num_named_barrier, 0
	.set _ZN7rocprim17ROCPRIM_400000_NS6detail17trampoline_kernelINS0_14default_configENS1_35radix_sort_onesweep_config_selectorIjNS0_10empty_typeEEEZZNS1_29radix_sort_onesweep_iterationIS3_Lb1EPKjPjPS5_SB_mNS0_19identity_decomposerENS1_16block_id_wrapperIjLb1EEEEE10hipError_tT1_PNSt15iterator_traitsISG_E10value_typeET2_T3_PNSH_ISM_E10value_typeET4_T5_PSR_SS_PNS1_23onesweep_lookback_stateEbbT6_jjT7_P12ihipStream_tbENKUlT_T0_SG_SL_E_clISA_SA_SB_SB_EEDaSZ_S10_SG_SL_EUlSZ_E_NS1_11comp_targetILNS1_3genE4ELNS1_11target_archE910ELNS1_3gpuE8ELNS1_3repE0EEENS1_47radix_sort_onesweep_sort_config_static_selectorELNS0_4arch9wavefront6targetE0EEEvSG_.private_seg_size, 0
	.set _ZN7rocprim17ROCPRIM_400000_NS6detail17trampoline_kernelINS0_14default_configENS1_35radix_sort_onesweep_config_selectorIjNS0_10empty_typeEEEZZNS1_29radix_sort_onesweep_iterationIS3_Lb1EPKjPjPS5_SB_mNS0_19identity_decomposerENS1_16block_id_wrapperIjLb1EEEEE10hipError_tT1_PNSt15iterator_traitsISG_E10value_typeET2_T3_PNSH_ISM_E10value_typeET4_T5_PSR_SS_PNS1_23onesweep_lookback_stateEbbT6_jjT7_P12ihipStream_tbENKUlT_T0_SG_SL_E_clISA_SA_SB_SB_EEDaSZ_S10_SG_SL_EUlSZ_E_NS1_11comp_targetILNS1_3genE4ELNS1_11target_archE910ELNS1_3gpuE8ELNS1_3repE0EEENS1_47radix_sort_onesweep_sort_config_static_selectorELNS0_4arch9wavefront6targetE0EEEvSG_.uses_vcc, 0
	.set _ZN7rocprim17ROCPRIM_400000_NS6detail17trampoline_kernelINS0_14default_configENS1_35radix_sort_onesweep_config_selectorIjNS0_10empty_typeEEEZZNS1_29radix_sort_onesweep_iterationIS3_Lb1EPKjPjPS5_SB_mNS0_19identity_decomposerENS1_16block_id_wrapperIjLb1EEEEE10hipError_tT1_PNSt15iterator_traitsISG_E10value_typeET2_T3_PNSH_ISM_E10value_typeET4_T5_PSR_SS_PNS1_23onesweep_lookback_stateEbbT6_jjT7_P12ihipStream_tbENKUlT_T0_SG_SL_E_clISA_SA_SB_SB_EEDaSZ_S10_SG_SL_EUlSZ_E_NS1_11comp_targetILNS1_3genE4ELNS1_11target_archE910ELNS1_3gpuE8ELNS1_3repE0EEENS1_47radix_sort_onesweep_sort_config_static_selectorELNS0_4arch9wavefront6targetE0EEEvSG_.uses_flat_scratch, 0
	.set _ZN7rocprim17ROCPRIM_400000_NS6detail17trampoline_kernelINS0_14default_configENS1_35radix_sort_onesweep_config_selectorIjNS0_10empty_typeEEEZZNS1_29radix_sort_onesweep_iterationIS3_Lb1EPKjPjPS5_SB_mNS0_19identity_decomposerENS1_16block_id_wrapperIjLb1EEEEE10hipError_tT1_PNSt15iterator_traitsISG_E10value_typeET2_T3_PNSH_ISM_E10value_typeET4_T5_PSR_SS_PNS1_23onesweep_lookback_stateEbbT6_jjT7_P12ihipStream_tbENKUlT_T0_SG_SL_E_clISA_SA_SB_SB_EEDaSZ_S10_SG_SL_EUlSZ_E_NS1_11comp_targetILNS1_3genE4ELNS1_11target_archE910ELNS1_3gpuE8ELNS1_3repE0EEENS1_47radix_sort_onesweep_sort_config_static_selectorELNS0_4arch9wavefront6targetE0EEEvSG_.has_dyn_sized_stack, 0
	.set _ZN7rocprim17ROCPRIM_400000_NS6detail17trampoline_kernelINS0_14default_configENS1_35radix_sort_onesweep_config_selectorIjNS0_10empty_typeEEEZZNS1_29radix_sort_onesweep_iterationIS3_Lb1EPKjPjPS5_SB_mNS0_19identity_decomposerENS1_16block_id_wrapperIjLb1EEEEE10hipError_tT1_PNSt15iterator_traitsISG_E10value_typeET2_T3_PNSH_ISM_E10value_typeET4_T5_PSR_SS_PNS1_23onesweep_lookback_stateEbbT6_jjT7_P12ihipStream_tbENKUlT_T0_SG_SL_E_clISA_SA_SB_SB_EEDaSZ_S10_SG_SL_EUlSZ_E_NS1_11comp_targetILNS1_3genE4ELNS1_11target_archE910ELNS1_3gpuE8ELNS1_3repE0EEENS1_47radix_sort_onesweep_sort_config_static_selectorELNS0_4arch9wavefront6targetE0EEEvSG_.has_recursion, 0
	.set _ZN7rocprim17ROCPRIM_400000_NS6detail17trampoline_kernelINS0_14default_configENS1_35radix_sort_onesweep_config_selectorIjNS0_10empty_typeEEEZZNS1_29radix_sort_onesweep_iterationIS3_Lb1EPKjPjPS5_SB_mNS0_19identity_decomposerENS1_16block_id_wrapperIjLb1EEEEE10hipError_tT1_PNSt15iterator_traitsISG_E10value_typeET2_T3_PNSH_ISM_E10value_typeET4_T5_PSR_SS_PNS1_23onesweep_lookback_stateEbbT6_jjT7_P12ihipStream_tbENKUlT_T0_SG_SL_E_clISA_SA_SB_SB_EEDaSZ_S10_SG_SL_EUlSZ_E_NS1_11comp_targetILNS1_3genE4ELNS1_11target_archE910ELNS1_3gpuE8ELNS1_3repE0EEENS1_47radix_sort_onesweep_sort_config_static_selectorELNS0_4arch9wavefront6targetE0EEEvSG_.has_indirect_call, 0
	.section	.AMDGPU.csdata,"",@progbits
; Kernel info:
; codeLenInByte = 0
; TotalNumSgprs: 0
; NumVgprs: 0
; ScratchSize: 0
; MemoryBound: 0
; FloatMode: 240
; IeeeMode: 1
; LDSByteSize: 0 bytes/workgroup (compile time only)
; SGPRBlocks: 0
; VGPRBlocks: 0
; NumSGPRsForWavesPerEU: 1
; NumVGPRsForWavesPerEU: 1
; NamedBarCnt: 0
; Occupancy: 16
; WaveLimiterHint : 0
; COMPUTE_PGM_RSRC2:SCRATCH_EN: 0
; COMPUTE_PGM_RSRC2:USER_SGPR: 2
; COMPUTE_PGM_RSRC2:TRAP_HANDLER: 0
; COMPUTE_PGM_RSRC2:TGID_X_EN: 1
; COMPUTE_PGM_RSRC2:TGID_Y_EN: 0
; COMPUTE_PGM_RSRC2:TGID_Z_EN: 0
; COMPUTE_PGM_RSRC2:TIDIG_COMP_CNT: 0
	.section	.text._ZN7rocprim17ROCPRIM_400000_NS6detail17trampoline_kernelINS0_14default_configENS1_35radix_sort_onesweep_config_selectorIjNS0_10empty_typeEEEZZNS1_29radix_sort_onesweep_iterationIS3_Lb1EPKjPjPS5_SB_mNS0_19identity_decomposerENS1_16block_id_wrapperIjLb1EEEEE10hipError_tT1_PNSt15iterator_traitsISG_E10value_typeET2_T3_PNSH_ISM_E10value_typeET4_T5_PSR_SS_PNS1_23onesweep_lookback_stateEbbT6_jjT7_P12ihipStream_tbENKUlT_T0_SG_SL_E_clISA_SA_SB_SB_EEDaSZ_S10_SG_SL_EUlSZ_E_NS1_11comp_targetILNS1_3genE3ELNS1_11target_archE908ELNS1_3gpuE7ELNS1_3repE0EEENS1_47radix_sort_onesweep_sort_config_static_selectorELNS0_4arch9wavefront6targetE0EEEvSG_,"axG",@progbits,_ZN7rocprim17ROCPRIM_400000_NS6detail17trampoline_kernelINS0_14default_configENS1_35radix_sort_onesweep_config_selectorIjNS0_10empty_typeEEEZZNS1_29radix_sort_onesweep_iterationIS3_Lb1EPKjPjPS5_SB_mNS0_19identity_decomposerENS1_16block_id_wrapperIjLb1EEEEE10hipError_tT1_PNSt15iterator_traitsISG_E10value_typeET2_T3_PNSH_ISM_E10value_typeET4_T5_PSR_SS_PNS1_23onesweep_lookback_stateEbbT6_jjT7_P12ihipStream_tbENKUlT_T0_SG_SL_E_clISA_SA_SB_SB_EEDaSZ_S10_SG_SL_EUlSZ_E_NS1_11comp_targetILNS1_3genE3ELNS1_11target_archE908ELNS1_3gpuE7ELNS1_3repE0EEENS1_47radix_sort_onesweep_sort_config_static_selectorELNS0_4arch9wavefront6targetE0EEEvSG_,comdat
	.protected	_ZN7rocprim17ROCPRIM_400000_NS6detail17trampoline_kernelINS0_14default_configENS1_35radix_sort_onesweep_config_selectorIjNS0_10empty_typeEEEZZNS1_29radix_sort_onesweep_iterationIS3_Lb1EPKjPjPS5_SB_mNS0_19identity_decomposerENS1_16block_id_wrapperIjLb1EEEEE10hipError_tT1_PNSt15iterator_traitsISG_E10value_typeET2_T3_PNSH_ISM_E10value_typeET4_T5_PSR_SS_PNS1_23onesweep_lookback_stateEbbT6_jjT7_P12ihipStream_tbENKUlT_T0_SG_SL_E_clISA_SA_SB_SB_EEDaSZ_S10_SG_SL_EUlSZ_E_NS1_11comp_targetILNS1_3genE3ELNS1_11target_archE908ELNS1_3gpuE7ELNS1_3repE0EEENS1_47radix_sort_onesweep_sort_config_static_selectorELNS0_4arch9wavefront6targetE0EEEvSG_ ; -- Begin function _ZN7rocprim17ROCPRIM_400000_NS6detail17trampoline_kernelINS0_14default_configENS1_35radix_sort_onesweep_config_selectorIjNS0_10empty_typeEEEZZNS1_29radix_sort_onesweep_iterationIS3_Lb1EPKjPjPS5_SB_mNS0_19identity_decomposerENS1_16block_id_wrapperIjLb1EEEEE10hipError_tT1_PNSt15iterator_traitsISG_E10value_typeET2_T3_PNSH_ISM_E10value_typeET4_T5_PSR_SS_PNS1_23onesweep_lookback_stateEbbT6_jjT7_P12ihipStream_tbENKUlT_T0_SG_SL_E_clISA_SA_SB_SB_EEDaSZ_S10_SG_SL_EUlSZ_E_NS1_11comp_targetILNS1_3genE3ELNS1_11target_archE908ELNS1_3gpuE7ELNS1_3repE0EEENS1_47radix_sort_onesweep_sort_config_static_selectorELNS0_4arch9wavefront6targetE0EEEvSG_
	.globl	_ZN7rocprim17ROCPRIM_400000_NS6detail17trampoline_kernelINS0_14default_configENS1_35radix_sort_onesweep_config_selectorIjNS0_10empty_typeEEEZZNS1_29radix_sort_onesweep_iterationIS3_Lb1EPKjPjPS5_SB_mNS0_19identity_decomposerENS1_16block_id_wrapperIjLb1EEEEE10hipError_tT1_PNSt15iterator_traitsISG_E10value_typeET2_T3_PNSH_ISM_E10value_typeET4_T5_PSR_SS_PNS1_23onesweep_lookback_stateEbbT6_jjT7_P12ihipStream_tbENKUlT_T0_SG_SL_E_clISA_SA_SB_SB_EEDaSZ_S10_SG_SL_EUlSZ_E_NS1_11comp_targetILNS1_3genE3ELNS1_11target_archE908ELNS1_3gpuE7ELNS1_3repE0EEENS1_47radix_sort_onesweep_sort_config_static_selectorELNS0_4arch9wavefront6targetE0EEEvSG_
	.p2align	8
	.type	_ZN7rocprim17ROCPRIM_400000_NS6detail17trampoline_kernelINS0_14default_configENS1_35radix_sort_onesweep_config_selectorIjNS0_10empty_typeEEEZZNS1_29radix_sort_onesweep_iterationIS3_Lb1EPKjPjPS5_SB_mNS0_19identity_decomposerENS1_16block_id_wrapperIjLb1EEEEE10hipError_tT1_PNSt15iterator_traitsISG_E10value_typeET2_T3_PNSH_ISM_E10value_typeET4_T5_PSR_SS_PNS1_23onesweep_lookback_stateEbbT6_jjT7_P12ihipStream_tbENKUlT_T0_SG_SL_E_clISA_SA_SB_SB_EEDaSZ_S10_SG_SL_EUlSZ_E_NS1_11comp_targetILNS1_3genE3ELNS1_11target_archE908ELNS1_3gpuE7ELNS1_3repE0EEENS1_47radix_sort_onesweep_sort_config_static_selectorELNS0_4arch9wavefront6targetE0EEEvSG_,@function
_ZN7rocprim17ROCPRIM_400000_NS6detail17trampoline_kernelINS0_14default_configENS1_35radix_sort_onesweep_config_selectorIjNS0_10empty_typeEEEZZNS1_29radix_sort_onesweep_iterationIS3_Lb1EPKjPjPS5_SB_mNS0_19identity_decomposerENS1_16block_id_wrapperIjLb1EEEEE10hipError_tT1_PNSt15iterator_traitsISG_E10value_typeET2_T3_PNSH_ISM_E10value_typeET4_T5_PSR_SS_PNS1_23onesweep_lookback_stateEbbT6_jjT7_P12ihipStream_tbENKUlT_T0_SG_SL_E_clISA_SA_SB_SB_EEDaSZ_S10_SG_SL_EUlSZ_E_NS1_11comp_targetILNS1_3genE3ELNS1_11target_archE908ELNS1_3gpuE7ELNS1_3repE0EEENS1_47radix_sort_onesweep_sort_config_static_selectorELNS0_4arch9wavefront6targetE0EEEvSG_: ; @_ZN7rocprim17ROCPRIM_400000_NS6detail17trampoline_kernelINS0_14default_configENS1_35radix_sort_onesweep_config_selectorIjNS0_10empty_typeEEEZZNS1_29radix_sort_onesweep_iterationIS3_Lb1EPKjPjPS5_SB_mNS0_19identity_decomposerENS1_16block_id_wrapperIjLb1EEEEE10hipError_tT1_PNSt15iterator_traitsISG_E10value_typeET2_T3_PNSH_ISM_E10value_typeET4_T5_PSR_SS_PNS1_23onesweep_lookback_stateEbbT6_jjT7_P12ihipStream_tbENKUlT_T0_SG_SL_E_clISA_SA_SB_SB_EEDaSZ_S10_SG_SL_EUlSZ_E_NS1_11comp_targetILNS1_3genE3ELNS1_11target_archE908ELNS1_3gpuE7ELNS1_3repE0EEENS1_47radix_sort_onesweep_sort_config_static_selectorELNS0_4arch9wavefront6targetE0EEEvSG_
; %bb.0:
	.section	.rodata,"a",@progbits
	.p2align	6, 0x0
	.amdhsa_kernel _ZN7rocprim17ROCPRIM_400000_NS6detail17trampoline_kernelINS0_14default_configENS1_35radix_sort_onesweep_config_selectorIjNS0_10empty_typeEEEZZNS1_29radix_sort_onesweep_iterationIS3_Lb1EPKjPjPS5_SB_mNS0_19identity_decomposerENS1_16block_id_wrapperIjLb1EEEEE10hipError_tT1_PNSt15iterator_traitsISG_E10value_typeET2_T3_PNSH_ISM_E10value_typeET4_T5_PSR_SS_PNS1_23onesweep_lookback_stateEbbT6_jjT7_P12ihipStream_tbENKUlT_T0_SG_SL_E_clISA_SA_SB_SB_EEDaSZ_S10_SG_SL_EUlSZ_E_NS1_11comp_targetILNS1_3genE3ELNS1_11target_archE908ELNS1_3gpuE7ELNS1_3repE0EEENS1_47radix_sort_onesweep_sort_config_static_selectorELNS0_4arch9wavefront6targetE0EEEvSG_
		.amdhsa_group_segment_fixed_size 0
		.amdhsa_private_segment_fixed_size 0
		.amdhsa_kernarg_size 88
		.amdhsa_user_sgpr_count 2
		.amdhsa_user_sgpr_dispatch_ptr 0
		.amdhsa_user_sgpr_queue_ptr 0
		.amdhsa_user_sgpr_kernarg_segment_ptr 1
		.amdhsa_user_sgpr_dispatch_id 0
		.amdhsa_user_sgpr_kernarg_preload_length 0
		.amdhsa_user_sgpr_kernarg_preload_offset 0
		.amdhsa_user_sgpr_private_segment_size 0
		.amdhsa_wavefront_size32 1
		.amdhsa_uses_dynamic_stack 0
		.amdhsa_enable_private_segment 0
		.amdhsa_system_sgpr_workgroup_id_x 1
		.amdhsa_system_sgpr_workgroup_id_y 0
		.amdhsa_system_sgpr_workgroup_id_z 0
		.amdhsa_system_sgpr_workgroup_info 0
		.amdhsa_system_vgpr_workitem_id 0
		.amdhsa_next_free_vgpr 1
		.amdhsa_next_free_sgpr 1
		.amdhsa_named_barrier_count 0
		.amdhsa_reserve_vcc 0
		.amdhsa_float_round_mode_32 0
		.amdhsa_float_round_mode_16_64 0
		.amdhsa_float_denorm_mode_32 3
		.amdhsa_float_denorm_mode_16_64 3
		.amdhsa_fp16_overflow 0
		.amdhsa_memory_ordered 1
		.amdhsa_forward_progress 1
		.amdhsa_inst_pref_size 0
		.amdhsa_round_robin_scheduling 0
		.amdhsa_exception_fp_ieee_invalid_op 0
		.amdhsa_exception_fp_denorm_src 0
		.amdhsa_exception_fp_ieee_div_zero 0
		.amdhsa_exception_fp_ieee_overflow 0
		.amdhsa_exception_fp_ieee_underflow 0
		.amdhsa_exception_fp_ieee_inexact 0
		.amdhsa_exception_int_div_zero 0
	.end_amdhsa_kernel
	.section	.text._ZN7rocprim17ROCPRIM_400000_NS6detail17trampoline_kernelINS0_14default_configENS1_35radix_sort_onesweep_config_selectorIjNS0_10empty_typeEEEZZNS1_29radix_sort_onesweep_iterationIS3_Lb1EPKjPjPS5_SB_mNS0_19identity_decomposerENS1_16block_id_wrapperIjLb1EEEEE10hipError_tT1_PNSt15iterator_traitsISG_E10value_typeET2_T3_PNSH_ISM_E10value_typeET4_T5_PSR_SS_PNS1_23onesweep_lookback_stateEbbT6_jjT7_P12ihipStream_tbENKUlT_T0_SG_SL_E_clISA_SA_SB_SB_EEDaSZ_S10_SG_SL_EUlSZ_E_NS1_11comp_targetILNS1_3genE3ELNS1_11target_archE908ELNS1_3gpuE7ELNS1_3repE0EEENS1_47radix_sort_onesweep_sort_config_static_selectorELNS0_4arch9wavefront6targetE0EEEvSG_,"axG",@progbits,_ZN7rocprim17ROCPRIM_400000_NS6detail17trampoline_kernelINS0_14default_configENS1_35radix_sort_onesweep_config_selectorIjNS0_10empty_typeEEEZZNS1_29radix_sort_onesweep_iterationIS3_Lb1EPKjPjPS5_SB_mNS0_19identity_decomposerENS1_16block_id_wrapperIjLb1EEEEE10hipError_tT1_PNSt15iterator_traitsISG_E10value_typeET2_T3_PNSH_ISM_E10value_typeET4_T5_PSR_SS_PNS1_23onesweep_lookback_stateEbbT6_jjT7_P12ihipStream_tbENKUlT_T0_SG_SL_E_clISA_SA_SB_SB_EEDaSZ_S10_SG_SL_EUlSZ_E_NS1_11comp_targetILNS1_3genE3ELNS1_11target_archE908ELNS1_3gpuE7ELNS1_3repE0EEENS1_47radix_sort_onesweep_sort_config_static_selectorELNS0_4arch9wavefront6targetE0EEEvSG_,comdat
.Lfunc_end2647:
	.size	_ZN7rocprim17ROCPRIM_400000_NS6detail17trampoline_kernelINS0_14default_configENS1_35radix_sort_onesweep_config_selectorIjNS0_10empty_typeEEEZZNS1_29radix_sort_onesweep_iterationIS3_Lb1EPKjPjPS5_SB_mNS0_19identity_decomposerENS1_16block_id_wrapperIjLb1EEEEE10hipError_tT1_PNSt15iterator_traitsISG_E10value_typeET2_T3_PNSH_ISM_E10value_typeET4_T5_PSR_SS_PNS1_23onesweep_lookback_stateEbbT6_jjT7_P12ihipStream_tbENKUlT_T0_SG_SL_E_clISA_SA_SB_SB_EEDaSZ_S10_SG_SL_EUlSZ_E_NS1_11comp_targetILNS1_3genE3ELNS1_11target_archE908ELNS1_3gpuE7ELNS1_3repE0EEENS1_47radix_sort_onesweep_sort_config_static_selectorELNS0_4arch9wavefront6targetE0EEEvSG_, .Lfunc_end2647-_ZN7rocprim17ROCPRIM_400000_NS6detail17trampoline_kernelINS0_14default_configENS1_35radix_sort_onesweep_config_selectorIjNS0_10empty_typeEEEZZNS1_29radix_sort_onesweep_iterationIS3_Lb1EPKjPjPS5_SB_mNS0_19identity_decomposerENS1_16block_id_wrapperIjLb1EEEEE10hipError_tT1_PNSt15iterator_traitsISG_E10value_typeET2_T3_PNSH_ISM_E10value_typeET4_T5_PSR_SS_PNS1_23onesweep_lookback_stateEbbT6_jjT7_P12ihipStream_tbENKUlT_T0_SG_SL_E_clISA_SA_SB_SB_EEDaSZ_S10_SG_SL_EUlSZ_E_NS1_11comp_targetILNS1_3genE3ELNS1_11target_archE908ELNS1_3gpuE7ELNS1_3repE0EEENS1_47radix_sort_onesweep_sort_config_static_selectorELNS0_4arch9wavefront6targetE0EEEvSG_
                                        ; -- End function
	.set _ZN7rocprim17ROCPRIM_400000_NS6detail17trampoline_kernelINS0_14default_configENS1_35radix_sort_onesweep_config_selectorIjNS0_10empty_typeEEEZZNS1_29radix_sort_onesweep_iterationIS3_Lb1EPKjPjPS5_SB_mNS0_19identity_decomposerENS1_16block_id_wrapperIjLb1EEEEE10hipError_tT1_PNSt15iterator_traitsISG_E10value_typeET2_T3_PNSH_ISM_E10value_typeET4_T5_PSR_SS_PNS1_23onesweep_lookback_stateEbbT6_jjT7_P12ihipStream_tbENKUlT_T0_SG_SL_E_clISA_SA_SB_SB_EEDaSZ_S10_SG_SL_EUlSZ_E_NS1_11comp_targetILNS1_3genE3ELNS1_11target_archE908ELNS1_3gpuE7ELNS1_3repE0EEENS1_47radix_sort_onesweep_sort_config_static_selectorELNS0_4arch9wavefront6targetE0EEEvSG_.num_vgpr, 0
	.set _ZN7rocprim17ROCPRIM_400000_NS6detail17trampoline_kernelINS0_14default_configENS1_35radix_sort_onesweep_config_selectorIjNS0_10empty_typeEEEZZNS1_29radix_sort_onesweep_iterationIS3_Lb1EPKjPjPS5_SB_mNS0_19identity_decomposerENS1_16block_id_wrapperIjLb1EEEEE10hipError_tT1_PNSt15iterator_traitsISG_E10value_typeET2_T3_PNSH_ISM_E10value_typeET4_T5_PSR_SS_PNS1_23onesweep_lookback_stateEbbT6_jjT7_P12ihipStream_tbENKUlT_T0_SG_SL_E_clISA_SA_SB_SB_EEDaSZ_S10_SG_SL_EUlSZ_E_NS1_11comp_targetILNS1_3genE3ELNS1_11target_archE908ELNS1_3gpuE7ELNS1_3repE0EEENS1_47radix_sort_onesweep_sort_config_static_selectorELNS0_4arch9wavefront6targetE0EEEvSG_.num_agpr, 0
	.set _ZN7rocprim17ROCPRIM_400000_NS6detail17trampoline_kernelINS0_14default_configENS1_35radix_sort_onesweep_config_selectorIjNS0_10empty_typeEEEZZNS1_29radix_sort_onesweep_iterationIS3_Lb1EPKjPjPS5_SB_mNS0_19identity_decomposerENS1_16block_id_wrapperIjLb1EEEEE10hipError_tT1_PNSt15iterator_traitsISG_E10value_typeET2_T3_PNSH_ISM_E10value_typeET4_T5_PSR_SS_PNS1_23onesweep_lookback_stateEbbT6_jjT7_P12ihipStream_tbENKUlT_T0_SG_SL_E_clISA_SA_SB_SB_EEDaSZ_S10_SG_SL_EUlSZ_E_NS1_11comp_targetILNS1_3genE3ELNS1_11target_archE908ELNS1_3gpuE7ELNS1_3repE0EEENS1_47radix_sort_onesweep_sort_config_static_selectorELNS0_4arch9wavefront6targetE0EEEvSG_.numbered_sgpr, 0
	.set _ZN7rocprim17ROCPRIM_400000_NS6detail17trampoline_kernelINS0_14default_configENS1_35radix_sort_onesweep_config_selectorIjNS0_10empty_typeEEEZZNS1_29radix_sort_onesweep_iterationIS3_Lb1EPKjPjPS5_SB_mNS0_19identity_decomposerENS1_16block_id_wrapperIjLb1EEEEE10hipError_tT1_PNSt15iterator_traitsISG_E10value_typeET2_T3_PNSH_ISM_E10value_typeET4_T5_PSR_SS_PNS1_23onesweep_lookback_stateEbbT6_jjT7_P12ihipStream_tbENKUlT_T0_SG_SL_E_clISA_SA_SB_SB_EEDaSZ_S10_SG_SL_EUlSZ_E_NS1_11comp_targetILNS1_3genE3ELNS1_11target_archE908ELNS1_3gpuE7ELNS1_3repE0EEENS1_47radix_sort_onesweep_sort_config_static_selectorELNS0_4arch9wavefront6targetE0EEEvSG_.num_named_barrier, 0
	.set _ZN7rocprim17ROCPRIM_400000_NS6detail17trampoline_kernelINS0_14default_configENS1_35radix_sort_onesweep_config_selectorIjNS0_10empty_typeEEEZZNS1_29radix_sort_onesweep_iterationIS3_Lb1EPKjPjPS5_SB_mNS0_19identity_decomposerENS1_16block_id_wrapperIjLb1EEEEE10hipError_tT1_PNSt15iterator_traitsISG_E10value_typeET2_T3_PNSH_ISM_E10value_typeET4_T5_PSR_SS_PNS1_23onesweep_lookback_stateEbbT6_jjT7_P12ihipStream_tbENKUlT_T0_SG_SL_E_clISA_SA_SB_SB_EEDaSZ_S10_SG_SL_EUlSZ_E_NS1_11comp_targetILNS1_3genE3ELNS1_11target_archE908ELNS1_3gpuE7ELNS1_3repE0EEENS1_47radix_sort_onesweep_sort_config_static_selectorELNS0_4arch9wavefront6targetE0EEEvSG_.private_seg_size, 0
	.set _ZN7rocprim17ROCPRIM_400000_NS6detail17trampoline_kernelINS0_14default_configENS1_35radix_sort_onesweep_config_selectorIjNS0_10empty_typeEEEZZNS1_29radix_sort_onesweep_iterationIS3_Lb1EPKjPjPS5_SB_mNS0_19identity_decomposerENS1_16block_id_wrapperIjLb1EEEEE10hipError_tT1_PNSt15iterator_traitsISG_E10value_typeET2_T3_PNSH_ISM_E10value_typeET4_T5_PSR_SS_PNS1_23onesweep_lookback_stateEbbT6_jjT7_P12ihipStream_tbENKUlT_T0_SG_SL_E_clISA_SA_SB_SB_EEDaSZ_S10_SG_SL_EUlSZ_E_NS1_11comp_targetILNS1_3genE3ELNS1_11target_archE908ELNS1_3gpuE7ELNS1_3repE0EEENS1_47radix_sort_onesweep_sort_config_static_selectorELNS0_4arch9wavefront6targetE0EEEvSG_.uses_vcc, 0
	.set _ZN7rocprim17ROCPRIM_400000_NS6detail17trampoline_kernelINS0_14default_configENS1_35radix_sort_onesweep_config_selectorIjNS0_10empty_typeEEEZZNS1_29radix_sort_onesweep_iterationIS3_Lb1EPKjPjPS5_SB_mNS0_19identity_decomposerENS1_16block_id_wrapperIjLb1EEEEE10hipError_tT1_PNSt15iterator_traitsISG_E10value_typeET2_T3_PNSH_ISM_E10value_typeET4_T5_PSR_SS_PNS1_23onesweep_lookback_stateEbbT6_jjT7_P12ihipStream_tbENKUlT_T0_SG_SL_E_clISA_SA_SB_SB_EEDaSZ_S10_SG_SL_EUlSZ_E_NS1_11comp_targetILNS1_3genE3ELNS1_11target_archE908ELNS1_3gpuE7ELNS1_3repE0EEENS1_47radix_sort_onesweep_sort_config_static_selectorELNS0_4arch9wavefront6targetE0EEEvSG_.uses_flat_scratch, 0
	.set _ZN7rocprim17ROCPRIM_400000_NS6detail17trampoline_kernelINS0_14default_configENS1_35radix_sort_onesweep_config_selectorIjNS0_10empty_typeEEEZZNS1_29radix_sort_onesweep_iterationIS3_Lb1EPKjPjPS5_SB_mNS0_19identity_decomposerENS1_16block_id_wrapperIjLb1EEEEE10hipError_tT1_PNSt15iterator_traitsISG_E10value_typeET2_T3_PNSH_ISM_E10value_typeET4_T5_PSR_SS_PNS1_23onesweep_lookback_stateEbbT6_jjT7_P12ihipStream_tbENKUlT_T0_SG_SL_E_clISA_SA_SB_SB_EEDaSZ_S10_SG_SL_EUlSZ_E_NS1_11comp_targetILNS1_3genE3ELNS1_11target_archE908ELNS1_3gpuE7ELNS1_3repE0EEENS1_47radix_sort_onesweep_sort_config_static_selectorELNS0_4arch9wavefront6targetE0EEEvSG_.has_dyn_sized_stack, 0
	.set _ZN7rocprim17ROCPRIM_400000_NS6detail17trampoline_kernelINS0_14default_configENS1_35radix_sort_onesweep_config_selectorIjNS0_10empty_typeEEEZZNS1_29radix_sort_onesweep_iterationIS3_Lb1EPKjPjPS5_SB_mNS0_19identity_decomposerENS1_16block_id_wrapperIjLb1EEEEE10hipError_tT1_PNSt15iterator_traitsISG_E10value_typeET2_T3_PNSH_ISM_E10value_typeET4_T5_PSR_SS_PNS1_23onesweep_lookback_stateEbbT6_jjT7_P12ihipStream_tbENKUlT_T0_SG_SL_E_clISA_SA_SB_SB_EEDaSZ_S10_SG_SL_EUlSZ_E_NS1_11comp_targetILNS1_3genE3ELNS1_11target_archE908ELNS1_3gpuE7ELNS1_3repE0EEENS1_47radix_sort_onesweep_sort_config_static_selectorELNS0_4arch9wavefront6targetE0EEEvSG_.has_recursion, 0
	.set _ZN7rocprim17ROCPRIM_400000_NS6detail17trampoline_kernelINS0_14default_configENS1_35radix_sort_onesweep_config_selectorIjNS0_10empty_typeEEEZZNS1_29radix_sort_onesweep_iterationIS3_Lb1EPKjPjPS5_SB_mNS0_19identity_decomposerENS1_16block_id_wrapperIjLb1EEEEE10hipError_tT1_PNSt15iterator_traitsISG_E10value_typeET2_T3_PNSH_ISM_E10value_typeET4_T5_PSR_SS_PNS1_23onesweep_lookback_stateEbbT6_jjT7_P12ihipStream_tbENKUlT_T0_SG_SL_E_clISA_SA_SB_SB_EEDaSZ_S10_SG_SL_EUlSZ_E_NS1_11comp_targetILNS1_3genE3ELNS1_11target_archE908ELNS1_3gpuE7ELNS1_3repE0EEENS1_47radix_sort_onesweep_sort_config_static_selectorELNS0_4arch9wavefront6targetE0EEEvSG_.has_indirect_call, 0
	.section	.AMDGPU.csdata,"",@progbits
; Kernel info:
; codeLenInByte = 0
; TotalNumSgprs: 0
; NumVgprs: 0
; ScratchSize: 0
; MemoryBound: 0
; FloatMode: 240
; IeeeMode: 1
; LDSByteSize: 0 bytes/workgroup (compile time only)
; SGPRBlocks: 0
; VGPRBlocks: 0
; NumSGPRsForWavesPerEU: 1
; NumVGPRsForWavesPerEU: 1
; NamedBarCnt: 0
; Occupancy: 16
; WaveLimiterHint : 0
; COMPUTE_PGM_RSRC2:SCRATCH_EN: 0
; COMPUTE_PGM_RSRC2:USER_SGPR: 2
; COMPUTE_PGM_RSRC2:TRAP_HANDLER: 0
; COMPUTE_PGM_RSRC2:TGID_X_EN: 1
; COMPUTE_PGM_RSRC2:TGID_Y_EN: 0
; COMPUTE_PGM_RSRC2:TGID_Z_EN: 0
; COMPUTE_PGM_RSRC2:TIDIG_COMP_CNT: 0
	.section	.text._ZN7rocprim17ROCPRIM_400000_NS6detail17trampoline_kernelINS0_14default_configENS1_35radix_sort_onesweep_config_selectorIjNS0_10empty_typeEEEZZNS1_29radix_sort_onesweep_iterationIS3_Lb1EPKjPjPS5_SB_mNS0_19identity_decomposerENS1_16block_id_wrapperIjLb1EEEEE10hipError_tT1_PNSt15iterator_traitsISG_E10value_typeET2_T3_PNSH_ISM_E10value_typeET4_T5_PSR_SS_PNS1_23onesweep_lookback_stateEbbT6_jjT7_P12ihipStream_tbENKUlT_T0_SG_SL_E_clISA_SA_SB_SB_EEDaSZ_S10_SG_SL_EUlSZ_E_NS1_11comp_targetILNS1_3genE10ELNS1_11target_archE1201ELNS1_3gpuE5ELNS1_3repE0EEENS1_47radix_sort_onesweep_sort_config_static_selectorELNS0_4arch9wavefront6targetE0EEEvSG_,"axG",@progbits,_ZN7rocprim17ROCPRIM_400000_NS6detail17trampoline_kernelINS0_14default_configENS1_35radix_sort_onesweep_config_selectorIjNS0_10empty_typeEEEZZNS1_29radix_sort_onesweep_iterationIS3_Lb1EPKjPjPS5_SB_mNS0_19identity_decomposerENS1_16block_id_wrapperIjLb1EEEEE10hipError_tT1_PNSt15iterator_traitsISG_E10value_typeET2_T3_PNSH_ISM_E10value_typeET4_T5_PSR_SS_PNS1_23onesweep_lookback_stateEbbT6_jjT7_P12ihipStream_tbENKUlT_T0_SG_SL_E_clISA_SA_SB_SB_EEDaSZ_S10_SG_SL_EUlSZ_E_NS1_11comp_targetILNS1_3genE10ELNS1_11target_archE1201ELNS1_3gpuE5ELNS1_3repE0EEENS1_47radix_sort_onesweep_sort_config_static_selectorELNS0_4arch9wavefront6targetE0EEEvSG_,comdat
	.protected	_ZN7rocprim17ROCPRIM_400000_NS6detail17trampoline_kernelINS0_14default_configENS1_35radix_sort_onesweep_config_selectorIjNS0_10empty_typeEEEZZNS1_29radix_sort_onesweep_iterationIS3_Lb1EPKjPjPS5_SB_mNS0_19identity_decomposerENS1_16block_id_wrapperIjLb1EEEEE10hipError_tT1_PNSt15iterator_traitsISG_E10value_typeET2_T3_PNSH_ISM_E10value_typeET4_T5_PSR_SS_PNS1_23onesweep_lookback_stateEbbT6_jjT7_P12ihipStream_tbENKUlT_T0_SG_SL_E_clISA_SA_SB_SB_EEDaSZ_S10_SG_SL_EUlSZ_E_NS1_11comp_targetILNS1_3genE10ELNS1_11target_archE1201ELNS1_3gpuE5ELNS1_3repE0EEENS1_47radix_sort_onesweep_sort_config_static_selectorELNS0_4arch9wavefront6targetE0EEEvSG_ ; -- Begin function _ZN7rocprim17ROCPRIM_400000_NS6detail17trampoline_kernelINS0_14default_configENS1_35radix_sort_onesweep_config_selectorIjNS0_10empty_typeEEEZZNS1_29radix_sort_onesweep_iterationIS3_Lb1EPKjPjPS5_SB_mNS0_19identity_decomposerENS1_16block_id_wrapperIjLb1EEEEE10hipError_tT1_PNSt15iterator_traitsISG_E10value_typeET2_T3_PNSH_ISM_E10value_typeET4_T5_PSR_SS_PNS1_23onesweep_lookback_stateEbbT6_jjT7_P12ihipStream_tbENKUlT_T0_SG_SL_E_clISA_SA_SB_SB_EEDaSZ_S10_SG_SL_EUlSZ_E_NS1_11comp_targetILNS1_3genE10ELNS1_11target_archE1201ELNS1_3gpuE5ELNS1_3repE0EEENS1_47radix_sort_onesweep_sort_config_static_selectorELNS0_4arch9wavefront6targetE0EEEvSG_
	.globl	_ZN7rocprim17ROCPRIM_400000_NS6detail17trampoline_kernelINS0_14default_configENS1_35radix_sort_onesweep_config_selectorIjNS0_10empty_typeEEEZZNS1_29radix_sort_onesweep_iterationIS3_Lb1EPKjPjPS5_SB_mNS0_19identity_decomposerENS1_16block_id_wrapperIjLb1EEEEE10hipError_tT1_PNSt15iterator_traitsISG_E10value_typeET2_T3_PNSH_ISM_E10value_typeET4_T5_PSR_SS_PNS1_23onesweep_lookback_stateEbbT6_jjT7_P12ihipStream_tbENKUlT_T0_SG_SL_E_clISA_SA_SB_SB_EEDaSZ_S10_SG_SL_EUlSZ_E_NS1_11comp_targetILNS1_3genE10ELNS1_11target_archE1201ELNS1_3gpuE5ELNS1_3repE0EEENS1_47radix_sort_onesweep_sort_config_static_selectorELNS0_4arch9wavefront6targetE0EEEvSG_
	.p2align	8
	.type	_ZN7rocprim17ROCPRIM_400000_NS6detail17trampoline_kernelINS0_14default_configENS1_35radix_sort_onesweep_config_selectorIjNS0_10empty_typeEEEZZNS1_29radix_sort_onesweep_iterationIS3_Lb1EPKjPjPS5_SB_mNS0_19identity_decomposerENS1_16block_id_wrapperIjLb1EEEEE10hipError_tT1_PNSt15iterator_traitsISG_E10value_typeET2_T3_PNSH_ISM_E10value_typeET4_T5_PSR_SS_PNS1_23onesweep_lookback_stateEbbT6_jjT7_P12ihipStream_tbENKUlT_T0_SG_SL_E_clISA_SA_SB_SB_EEDaSZ_S10_SG_SL_EUlSZ_E_NS1_11comp_targetILNS1_3genE10ELNS1_11target_archE1201ELNS1_3gpuE5ELNS1_3repE0EEENS1_47radix_sort_onesweep_sort_config_static_selectorELNS0_4arch9wavefront6targetE0EEEvSG_,@function
_ZN7rocprim17ROCPRIM_400000_NS6detail17trampoline_kernelINS0_14default_configENS1_35radix_sort_onesweep_config_selectorIjNS0_10empty_typeEEEZZNS1_29radix_sort_onesweep_iterationIS3_Lb1EPKjPjPS5_SB_mNS0_19identity_decomposerENS1_16block_id_wrapperIjLb1EEEEE10hipError_tT1_PNSt15iterator_traitsISG_E10value_typeET2_T3_PNSH_ISM_E10value_typeET4_T5_PSR_SS_PNS1_23onesweep_lookback_stateEbbT6_jjT7_P12ihipStream_tbENKUlT_T0_SG_SL_E_clISA_SA_SB_SB_EEDaSZ_S10_SG_SL_EUlSZ_E_NS1_11comp_targetILNS1_3genE10ELNS1_11target_archE1201ELNS1_3gpuE5ELNS1_3repE0EEENS1_47radix_sort_onesweep_sort_config_static_selectorELNS0_4arch9wavefront6targetE0EEEvSG_: ; @_ZN7rocprim17ROCPRIM_400000_NS6detail17trampoline_kernelINS0_14default_configENS1_35radix_sort_onesweep_config_selectorIjNS0_10empty_typeEEEZZNS1_29radix_sort_onesweep_iterationIS3_Lb1EPKjPjPS5_SB_mNS0_19identity_decomposerENS1_16block_id_wrapperIjLb1EEEEE10hipError_tT1_PNSt15iterator_traitsISG_E10value_typeET2_T3_PNSH_ISM_E10value_typeET4_T5_PSR_SS_PNS1_23onesweep_lookback_stateEbbT6_jjT7_P12ihipStream_tbENKUlT_T0_SG_SL_E_clISA_SA_SB_SB_EEDaSZ_S10_SG_SL_EUlSZ_E_NS1_11comp_targetILNS1_3genE10ELNS1_11target_archE1201ELNS1_3gpuE5ELNS1_3repE0EEENS1_47radix_sort_onesweep_sort_config_static_selectorELNS0_4arch9wavefront6targetE0EEEvSG_
; %bb.0:
	.section	.rodata,"a",@progbits
	.p2align	6, 0x0
	.amdhsa_kernel _ZN7rocprim17ROCPRIM_400000_NS6detail17trampoline_kernelINS0_14default_configENS1_35radix_sort_onesweep_config_selectorIjNS0_10empty_typeEEEZZNS1_29radix_sort_onesweep_iterationIS3_Lb1EPKjPjPS5_SB_mNS0_19identity_decomposerENS1_16block_id_wrapperIjLb1EEEEE10hipError_tT1_PNSt15iterator_traitsISG_E10value_typeET2_T3_PNSH_ISM_E10value_typeET4_T5_PSR_SS_PNS1_23onesweep_lookback_stateEbbT6_jjT7_P12ihipStream_tbENKUlT_T0_SG_SL_E_clISA_SA_SB_SB_EEDaSZ_S10_SG_SL_EUlSZ_E_NS1_11comp_targetILNS1_3genE10ELNS1_11target_archE1201ELNS1_3gpuE5ELNS1_3repE0EEENS1_47radix_sort_onesweep_sort_config_static_selectorELNS0_4arch9wavefront6targetE0EEEvSG_
		.amdhsa_group_segment_fixed_size 0
		.amdhsa_private_segment_fixed_size 0
		.amdhsa_kernarg_size 88
		.amdhsa_user_sgpr_count 2
		.amdhsa_user_sgpr_dispatch_ptr 0
		.amdhsa_user_sgpr_queue_ptr 0
		.amdhsa_user_sgpr_kernarg_segment_ptr 1
		.amdhsa_user_sgpr_dispatch_id 0
		.amdhsa_user_sgpr_kernarg_preload_length 0
		.amdhsa_user_sgpr_kernarg_preload_offset 0
		.amdhsa_user_sgpr_private_segment_size 0
		.amdhsa_wavefront_size32 1
		.amdhsa_uses_dynamic_stack 0
		.amdhsa_enable_private_segment 0
		.amdhsa_system_sgpr_workgroup_id_x 1
		.amdhsa_system_sgpr_workgroup_id_y 0
		.amdhsa_system_sgpr_workgroup_id_z 0
		.amdhsa_system_sgpr_workgroup_info 0
		.amdhsa_system_vgpr_workitem_id 0
		.amdhsa_next_free_vgpr 1
		.amdhsa_next_free_sgpr 1
		.amdhsa_named_barrier_count 0
		.amdhsa_reserve_vcc 0
		.amdhsa_float_round_mode_32 0
		.amdhsa_float_round_mode_16_64 0
		.amdhsa_float_denorm_mode_32 3
		.amdhsa_float_denorm_mode_16_64 3
		.amdhsa_fp16_overflow 0
		.amdhsa_memory_ordered 1
		.amdhsa_forward_progress 1
		.amdhsa_inst_pref_size 0
		.amdhsa_round_robin_scheduling 0
		.amdhsa_exception_fp_ieee_invalid_op 0
		.amdhsa_exception_fp_denorm_src 0
		.amdhsa_exception_fp_ieee_div_zero 0
		.amdhsa_exception_fp_ieee_overflow 0
		.amdhsa_exception_fp_ieee_underflow 0
		.amdhsa_exception_fp_ieee_inexact 0
		.amdhsa_exception_int_div_zero 0
	.end_amdhsa_kernel
	.section	.text._ZN7rocprim17ROCPRIM_400000_NS6detail17trampoline_kernelINS0_14default_configENS1_35radix_sort_onesweep_config_selectorIjNS0_10empty_typeEEEZZNS1_29radix_sort_onesweep_iterationIS3_Lb1EPKjPjPS5_SB_mNS0_19identity_decomposerENS1_16block_id_wrapperIjLb1EEEEE10hipError_tT1_PNSt15iterator_traitsISG_E10value_typeET2_T3_PNSH_ISM_E10value_typeET4_T5_PSR_SS_PNS1_23onesweep_lookback_stateEbbT6_jjT7_P12ihipStream_tbENKUlT_T0_SG_SL_E_clISA_SA_SB_SB_EEDaSZ_S10_SG_SL_EUlSZ_E_NS1_11comp_targetILNS1_3genE10ELNS1_11target_archE1201ELNS1_3gpuE5ELNS1_3repE0EEENS1_47radix_sort_onesweep_sort_config_static_selectorELNS0_4arch9wavefront6targetE0EEEvSG_,"axG",@progbits,_ZN7rocprim17ROCPRIM_400000_NS6detail17trampoline_kernelINS0_14default_configENS1_35radix_sort_onesweep_config_selectorIjNS0_10empty_typeEEEZZNS1_29radix_sort_onesweep_iterationIS3_Lb1EPKjPjPS5_SB_mNS0_19identity_decomposerENS1_16block_id_wrapperIjLb1EEEEE10hipError_tT1_PNSt15iterator_traitsISG_E10value_typeET2_T3_PNSH_ISM_E10value_typeET4_T5_PSR_SS_PNS1_23onesweep_lookback_stateEbbT6_jjT7_P12ihipStream_tbENKUlT_T0_SG_SL_E_clISA_SA_SB_SB_EEDaSZ_S10_SG_SL_EUlSZ_E_NS1_11comp_targetILNS1_3genE10ELNS1_11target_archE1201ELNS1_3gpuE5ELNS1_3repE0EEENS1_47radix_sort_onesweep_sort_config_static_selectorELNS0_4arch9wavefront6targetE0EEEvSG_,comdat
.Lfunc_end2648:
	.size	_ZN7rocprim17ROCPRIM_400000_NS6detail17trampoline_kernelINS0_14default_configENS1_35radix_sort_onesweep_config_selectorIjNS0_10empty_typeEEEZZNS1_29radix_sort_onesweep_iterationIS3_Lb1EPKjPjPS5_SB_mNS0_19identity_decomposerENS1_16block_id_wrapperIjLb1EEEEE10hipError_tT1_PNSt15iterator_traitsISG_E10value_typeET2_T3_PNSH_ISM_E10value_typeET4_T5_PSR_SS_PNS1_23onesweep_lookback_stateEbbT6_jjT7_P12ihipStream_tbENKUlT_T0_SG_SL_E_clISA_SA_SB_SB_EEDaSZ_S10_SG_SL_EUlSZ_E_NS1_11comp_targetILNS1_3genE10ELNS1_11target_archE1201ELNS1_3gpuE5ELNS1_3repE0EEENS1_47radix_sort_onesweep_sort_config_static_selectorELNS0_4arch9wavefront6targetE0EEEvSG_, .Lfunc_end2648-_ZN7rocprim17ROCPRIM_400000_NS6detail17trampoline_kernelINS0_14default_configENS1_35radix_sort_onesweep_config_selectorIjNS0_10empty_typeEEEZZNS1_29radix_sort_onesweep_iterationIS3_Lb1EPKjPjPS5_SB_mNS0_19identity_decomposerENS1_16block_id_wrapperIjLb1EEEEE10hipError_tT1_PNSt15iterator_traitsISG_E10value_typeET2_T3_PNSH_ISM_E10value_typeET4_T5_PSR_SS_PNS1_23onesweep_lookback_stateEbbT6_jjT7_P12ihipStream_tbENKUlT_T0_SG_SL_E_clISA_SA_SB_SB_EEDaSZ_S10_SG_SL_EUlSZ_E_NS1_11comp_targetILNS1_3genE10ELNS1_11target_archE1201ELNS1_3gpuE5ELNS1_3repE0EEENS1_47radix_sort_onesweep_sort_config_static_selectorELNS0_4arch9wavefront6targetE0EEEvSG_
                                        ; -- End function
	.set _ZN7rocprim17ROCPRIM_400000_NS6detail17trampoline_kernelINS0_14default_configENS1_35radix_sort_onesweep_config_selectorIjNS0_10empty_typeEEEZZNS1_29radix_sort_onesweep_iterationIS3_Lb1EPKjPjPS5_SB_mNS0_19identity_decomposerENS1_16block_id_wrapperIjLb1EEEEE10hipError_tT1_PNSt15iterator_traitsISG_E10value_typeET2_T3_PNSH_ISM_E10value_typeET4_T5_PSR_SS_PNS1_23onesweep_lookback_stateEbbT6_jjT7_P12ihipStream_tbENKUlT_T0_SG_SL_E_clISA_SA_SB_SB_EEDaSZ_S10_SG_SL_EUlSZ_E_NS1_11comp_targetILNS1_3genE10ELNS1_11target_archE1201ELNS1_3gpuE5ELNS1_3repE0EEENS1_47radix_sort_onesweep_sort_config_static_selectorELNS0_4arch9wavefront6targetE0EEEvSG_.num_vgpr, 0
	.set _ZN7rocprim17ROCPRIM_400000_NS6detail17trampoline_kernelINS0_14default_configENS1_35radix_sort_onesweep_config_selectorIjNS0_10empty_typeEEEZZNS1_29radix_sort_onesweep_iterationIS3_Lb1EPKjPjPS5_SB_mNS0_19identity_decomposerENS1_16block_id_wrapperIjLb1EEEEE10hipError_tT1_PNSt15iterator_traitsISG_E10value_typeET2_T3_PNSH_ISM_E10value_typeET4_T5_PSR_SS_PNS1_23onesweep_lookback_stateEbbT6_jjT7_P12ihipStream_tbENKUlT_T0_SG_SL_E_clISA_SA_SB_SB_EEDaSZ_S10_SG_SL_EUlSZ_E_NS1_11comp_targetILNS1_3genE10ELNS1_11target_archE1201ELNS1_3gpuE5ELNS1_3repE0EEENS1_47radix_sort_onesweep_sort_config_static_selectorELNS0_4arch9wavefront6targetE0EEEvSG_.num_agpr, 0
	.set _ZN7rocprim17ROCPRIM_400000_NS6detail17trampoline_kernelINS0_14default_configENS1_35radix_sort_onesweep_config_selectorIjNS0_10empty_typeEEEZZNS1_29radix_sort_onesweep_iterationIS3_Lb1EPKjPjPS5_SB_mNS0_19identity_decomposerENS1_16block_id_wrapperIjLb1EEEEE10hipError_tT1_PNSt15iterator_traitsISG_E10value_typeET2_T3_PNSH_ISM_E10value_typeET4_T5_PSR_SS_PNS1_23onesweep_lookback_stateEbbT6_jjT7_P12ihipStream_tbENKUlT_T0_SG_SL_E_clISA_SA_SB_SB_EEDaSZ_S10_SG_SL_EUlSZ_E_NS1_11comp_targetILNS1_3genE10ELNS1_11target_archE1201ELNS1_3gpuE5ELNS1_3repE0EEENS1_47radix_sort_onesweep_sort_config_static_selectorELNS0_4arch9wavefront6targetE0EEEvSG_.numbered_sgpr, 0
	.set _ZN7rocprim17ROCPRIM_400000_NS6detail17trampoline_kernelINS0_14default_configENS1_35radix_sort_onesweep_config_selectorIjNS0_10empty_typeEEEZZNS1_29radix_sort_onesweep_iterationIS3_Lb1EPKjPjPS5_SB_mNS0_19identity_decomposerENS1_16block_id_wrapperIjLb1EEEEE10hipError_tT1_PNSt15iterator_traitsISG_E10value_typeET2_T3_PNSH_ISM_E10value_typeET4_T5_PSR_SS_PNS1_23onesweep_lookback_stateEbbT6_jjT7_P12ihipStream_tbENKUlT_T0_SG_SL_E_clISA_SA_SB_SB_EEDaSZ_S10_SG_SL_EUlSZ_E_NS1_11comp_targetILNS1_3genE10ELNS1_11target_archE1201ELNS1_3gpuE5ELNS1_3repE0EEENS1_47radix_sort_onesweep_sort_config_static_selectorELNS0_4arch9wavefront6targetE0EEEvSG_.num_named_barrier, 0
	.set _ZN7rocprim17ROCPRIM_400000_NS6detail17trampoline_kernelINS0_14default_configENS1_35radix_sort_onesweep_config_selectorIjNS0_10empty_typeEEEZZNS1_29radix_sort_onesweep_iterationIS3_Lb1EPKjPjPS5_SB_mNS0_19identity_decomposerENS1_16block_id_wrapperIjLb1EEEEE10hipError_tT1_PNSt15iterator_traitsISG_E10value_typeET2_T3_PNSH_ISM_E10value_typeET4_T5_PSR_SS_PNS1_23onesweep_lookback_stateEbbT6_jjT7_P12ihipStream_tbENKUlT_T0_SG_SL_E_clISA_SA_SB_SB_EEDaSZ_S10_SG_SL_EUlSZ_E_NS1_11comp_targetILNS1_3genE10ELNS1_11target_archE1201ELNS1_3gpuE5ELNS1_3repE0EEENS1_47radix_sort_onesweep_sort_config_static_selectorELNS0_4arch9wavefront6targetE0EEEvSG_.private_seg_size, 0
	.set _ZN7rocprim17ROCPRIM_400000_NS6detail17trampoline_kernelINS0_14default_configENS1_35radix_sort_onesweep_config_selectorIjNS0_10empty_typeEEEZZNS1_29radix_sort_onesweep_iterationIS3_Lb1EPKjPjPS5_SB_mNS0_19identity_decomposerENS1_16block_id_wrapperIjLb1EEEEE10hipError_tT1_PNSt15iterator_traitsISG_E10value_typeET2_T3_PNSH_ISM_E10value_typeET4_T5_PSR_SS_PNS1_23onesweep_lookback_stateEbbT6_jjT7_P12ihipStream_tbENKUlT_T0_SG_SL_E_clISA_SA_SB_SB_EEDaSZ_S10_SG_SL_EUlSZ_E_NS1_11comp_targetILNS1_3genE10ELNS1_11target_archE1201ELNS1_3gpuE5ELNS1_3repE0EEENS1_47radix_sort_onesweep_sort_config_static_selectorELNS0_4arch9wavefront6targetE0EEEvSG_.uses_vcc, 0
	.set _ZN7rocprim17ROCPRIM_400000_NS6detail17trampoline_kernelINS0_14default_configENS1_35radix_sort_onesweep_config_selectorIjNS0_10empty_typeEEEZZNS1_29radix_sort_onesweep_iterationIS3_Lb1EPKjPjPS5_SB_mNS0_19identity_decomposerENS1_16block_id_wrapperIjLb1EEEEE10hipError_tT1_PNSt15iterator_traitsISG_E10value_typeET2_T3_PNSH_ISM_E10value_typeET4_T5_PSR_SS_PNS1_23onesweep_lookback_stateEbbT6_jjT7_P12ihipStream_tbENKUlT_T0_SG_SL_E_clISA_SA_SB_SB_EEDaSZ_S10_SG_SL_EUlSZ_E_NS1_11comp_targetILNS1_3genE10ELNS1_11target_archE1201ELNS1_3gpuE5ELNS1_3repE0EEENS1_47radix_sort_onesweep_sort_config_static_selectorELNS0_4arch9wavefront6targetE0EEEvSG_.uses_flat_scratch, 0
	.set _ZN7rocprim17ROCPRIM_400000_NS6detail17trampoline_kernelINS0_14default_configENS1_35radix_sort_onesweep_config_selectorIjNS0_10empty_typeEEEZZNS1_29radix_sort_onesweep_iterationIS3_Lb1EPKjPjPS5_SB_mNS0_19identity_decomposerENS1_16block_id_wrapperIjLb1EEEEE10hipError_tT1_PNSt15iterator_traitsISG_E10value_typeET2_T3_PNSH_ISM_E10value_typeET4_T5_PSR_SS_PNS1_23onesweep_lookback_stateEbbT6_jjT7_P12ihipStream_tbENKUlT_T0_SG_SL_E_clISA_SA_SB_SB_EEDaSZ_S10_SG_SL_EUlSZ_E_NS1_11comp_targetILNS1_3genE10ELNS1_11target_archE1201ELNS1_3gpuE5ELNS1_3repE0EEENS1_47radix_sort_onesweep_sort_config_static_selectorELNS0_4arch9wavefront6targetE0EEEvSG_.has_dyn_sized_stack, 0
	.set _ZN7rocprim17ROCPRIM_400000_NS6detail17trampoline_kernelINS0_14default_configENS1_35radix_sort_onesweep_config_selectorIjNS0_10empty_typeEEEZZNS1_29radix_sort_onesweep_iterationIS3_Lb1EPKjPjPS5_SB_mNS0_19identity_decomposerENS1_16block_id_wrapperIjLb1EEEEE10hipError_tT1_PNSt15iterator_traitsISG_E10value_typeET2_T3_PNSH_ISM_E10value_typeET4_T5_PSR_SS_PNS1_23onesweep_lookback_stateEbbT6_jjT7_P12ihipStream_tbENKUlT_T0_SG_SL_E_clISA_SA_SB_SB_EEDaSZ_S10_SG_SL_EUlSZ_E_NS1_11comp_targetILNS1_3genE10ELNS1_11target_archE1201ELNS1_3gpuE5ELNS1_3repE0EEENS1_47radix_sort_onesweep_sort_config_static_selectorELNS0_4arch9wavefront6targetE0EEEvSG_.has_recursion, 0
	.set _ZN7rocprim17ROCPRIM_400000_NS6detail17trampoline_kernelINS0_14default_configENS1_35radix_sort_onesweep_config_selectorIjNS0_10empty_typeEEEZZNS1_29radix_sort_onesweep_iterationIS3_Lb1EPKjPjPS5_SB_mNS0_19identity_decomposerENS1_16block_id_wrapperIjLb1EEEEE10hipError_tT1_PNSt15iterator_traitsISG_E10value_typeET2_T3_PNSH_ISM_E10value_typeET4_T5_PSR_SS_PNS1_23onesweep_lookback_stateEbbT6_jjT7_P12ihipStream_tbENKUlT_T0_SG_SL_E_clISA_SA_SB_SB_EEDaSZ_S10_SG_SL_EUlSZ_E_NS1_11comp_targetILNS1_3genE10ELNS1_11target_archE1201ELNS1_3gpuE5ELNS1_3repE0EEENS1_47radix_sort_onesweep_sort_config_static_selectorELNS0_4arch9wavefront6targetE0EEEvSG_.has_indirect_call, 0
	.section	.AMDGPU.csdata,"",@progbits
; Kernel info:
; codeLenInByte = 0
; TotalNumSgprs: 0
; NumVgprs: 0
; ScratchSize: 0
; MemoryBound: 0
; FloatMode: 240
; IeeeMode: 1
; LDSByteSize: 0 bytes/workgroup (compile time only)
; SGPRBlocks: 0
; VGPRBlocks: 0
; NumSGPRsForWavesPerEU: 1
; NumVGPRsForWavesPerEU: 1
; NamedBarCnt: 0
; Occupancy: 16
; WaveLimiterHint : 0
; COMPUTE_PGM_RSRC2:SCRATCH_EN: 0
; COMPUTE_PGM_RSRC2:USER_SGPR: 2
; COMPUTE_PGM_RSRC2:TRAP_HANDLER: 0
; COMPUTE_PGM_RSRC2:TGID_X_EN: 1
; COMPUTE_PGM_RSRC2:TGID_Y_EN: 0
; COMPUTE_PGM_RSRC2:TGID_Z_EN: 0
; COMPUTE_PGM_RSRC2:TIDIG_COMP_CNT: 0
	.section	.text._ZN7rocprim17ROCPRIM_400000_NS6detail17trampoline_kernelINS0_14default_configENS1_35radix_sort_onesweep_config_selectorIjNS0_10empty_typeEEEZZNS1_29radix_sort_onesweep_iterationIS3_Lb1EPKjPjPS5_SB_mNS0_19identity_decomposerENS1_16block_id_wrapperIjLb1EEEEE10hipError_tT1_PNSt15iterator_traitsISG_E10value_typeET2_T3_PNSH_ISM_E10value_typeET4_T5_PSR_SS_PNS1_23onesweep_lookback_stateEbbT6_jjT7_P12ihipStream_tbENKUlT_T0_SG_SL_E_clISA_SA_SB_SB_EEDaSZ_S10_SG_SL_EUlSZ_E_NS1_11comp_targetILNS1_3genE9ELNS1_11target_archE1100ELNS1_3gpuE3ELNS1_3repE0EEENS1_47radix_sort_onesweep_sort_config_static_selectorELNS0_4arch9wavefront6targetE0EEEvSG_,"axG",@progbits,_ZN7rocprim17ROCPRIM_400000_NS6detail17trampoline_kernelINS0_14default_configENS1_35radix_sort_onesweep_config_selectorIjNS0_10empty_typeEEEZZNS1_29radix_sort_onesweep_iterationIS3_Lb1EPKjPjPS5_SB_mNS0_19identity_decomposerENS1_16block_id_wrapperIjLb1EEEEE10hipError_tT1_PNSt15iterator_traitsISG_E10value_typeET2_T3_PNSH_ISM_E10value_typeET4_T5_PSR_SS_PNS1_23onesweep_lookback_stateEbbT6_jjT7_P12ihipStream_tbENKUlT_T0_SG_SL_E_clISA_SA_SB_SB_EEDaSZ_S10_SG_SL_EUlSZ_E_NS1_11comp_targetILNS1_3genE9ELNS1_11target_archE1100ELNS1_3gpuE3ELNS1_3repE0EEENS1_47radix_sort_onesweep_sort_config_static_selectorELNS0_4arch9wavefront6targetE0EEEvSG_,comdat
	.protected	_ZN7rocprim17ROCPRIM_400000_NS6detail17trampoline_kernelINS0_14default_configENS1_35radix_sort_onesweep_config_selectorIjNS0_10empty_typeEEEZZNS1_29radix_sort_onesweep_iterationIS3_Lb1EPKjPjPS5_SB_mNS0_19identity_decomposerENS1_16block_id_wrapperIjLb1EEEEE10hipError_tT1_PNSt15iterator_traitsISG_E10value_typeET2_T3_PNSH_ISM_E10value_typeET4_T5_PSR_SS_PNS1_23onesweep_lookback_stateEbbT6_jjT7_P12ihipStream_tbENKUlT_T0_SG_SL_E_clISA_SA_SB_SB_EEDaSZ_S10_SG_SL_EUlSZ_E_NS1_11comp_targetILNS1_3genE9ELNS1_11target_archE1100ELNS1_3gpuE3ELNS1_3repE0EEENS1_47radix_sort_onesweep_sort_config_static_selectorELNS0_4arch9wavefront6targetE0EEEvSG_ ; -- Begin function _ZN7rocprim17ROCPRIM_400000_NS6detail17trampoline_kernelINS0_14default_configENS1_35radix_sort_onesweep_config_selectorIjNS0_10empty_typeEEEZZNS1_29radix_sort_onesweep_iterationIS3_Lb1EPKjPjPS5_SB_mNS0_19identity_decomposerENS1_16block_id_wrapperIjLb1EEEEE10hipError_tT1_PNSt15iterator_traitsISG_E10value_typeET2_T3_PNSH_ISM_E10value_typeET4_T5_PSR_SS_PNS1_23onesweep_lookback_stateEbbT6_jjT7_P12ihipStream_tbENKUlT_T0_SG_SL_E_clISA_SA_SB_SB_EEDaSZ_S10_SG_SL_EUlSZ_E_NS1_11comp_targetILNS1_3genE9ELNS1_11target_archE1100ELNS1_3gpuE3ELNS1_3repE0EEENS1_47radix_sort_onesweep_sort_config_static_selectorELNS0_4arch9wavefront6targetE0EEEvSG_
	.globl	_ZN7rocprim17ROCPRIM_400000_NS6detail17trampoline_kernelINS0_14default_configENS1_35radix_sort_onesweep_config_selectorIjNS0_10empty_typeEEEZZNS1_29radix_sort_onesweep_iterationIS3_Lb1EPKjPjPS5_SB_mNS0_19identity_decomposerENS1_16block_id_wrapperIjLb1EEEEE10hipError_tT1_PNSt15iterator_traitsISG_E10value_typeET2_T3_PNSH_ISM_E10value_typeET4_T5_PSR_SS_PNS1_23onesweep_lookback_stateEbbT6_jjT7_P12ihipStream_tbENKUlT_T0_SG_SL_E_clISA_SA_SB_SB_EEDaSZ_S10_SG_SL_EUlSZ_E_NS1_11comp_targetILNS1_3genE9ELNS1_11target_archE1100ELNS1_3gpuE3ELNS1_3repE0EEENS1_47radix_sort_onesweep_sort_config_static_selectorELNS0_4arch9wavefront6targetE0EEEvSG_
	.p2align	8
	.type	_ZN7rocprim17ROCPRIM_400000_NS6detail17trampoline_kernelINS0_14default_configENS1_35radix_sort_onesweep_config_selectorIjNS0_10empty_typeEEEZZNS1_29radix_sort_onesweep_iterationIS3_Lb1EPKjPjPS5_SB_mNS0_19identity_decomposerENS1_16block_id_wrapperIjLb1EEEEE10hipError_tT1_PNSt15iterator_traitsISG_E10value_typeET2_T3_PNSH_ISM_E10value_typeET4_T5_PSR_SS_PNS1_23onesweep_lookback_stateEbbT6_jjT7_P12ihipStream_tbENKUlT_T0_SG_SL_E_clISA_SA_SB_SB_EEDaSZ_S10_SG_SL_EUlSZ_E_NS1_11comp_targetILNS1_3genE9ELNS1_11target_archE1100ELNS1_3gpuE3ELNS1_3repE0EEENS1_47radix_sort_onesweep_sort_config_static_selectorELNS0_4arch9wavefront6targetE0EEEvSG_,@function
_ZN7rocprim17ROCPRIM_400000_NS6detail17trampoline_kernelINS0_14default_configENS1_35radix_sort_onesweep_config_selectorIjNS0_10empty_typeEEEZZNS1_29radix_sort_onesweep_iterationIS3_Lb1EPKjPjPS5_SB_mNS0_19identity_decomposerENS1_16block_id_wrapperIjLb1EEEEE10hipError_tT1_PNSt15iterator_traitsISG_E10value_typeET2_T3_PNSH_ISM_E10value_typeET4_T5_PSR_SS_PNS1_23onesweep_lookback_stateEbbT6_jjT7_P12ihipStream_tbENKUlT_T0_SG_SL_E_clISA_SA_SB_SB_EEDaSZ_S10_SG_SL_EUlSZ_E_NS1_11comp_targetILNS1_3genE9ELNS1_11target_archE1100ELNS1_3gpuE3ELNS1_3repE0EEENS1_47radix_sort_onesweep_sort_config_static_selectorELNS0_4arch9wavefront6targetE0EEEvSG_: ; @_ZN7rocprim17ROCPRIM_400000_NS6detail17trampoline_kernelINS0_14default_configENS1_35radix_sort_onesweep_config_selectorIjNS0_10empty_typeEEEZZNS1_29radix_sort_onesweep_iterationIS3_Lb1EPKjPjPS5_SB_mNS0_19identity_decomposerENS1_16block_id_wrapperIjLb1EEEEE10hipError_tT1_PNSt15iterator_traitsISG_E10value_typeET2_T3_PNSH_ISM_E10value_typeET4_T5_PSR_SS_PNS1_23onesweep_lookback_stateEbbT6_jjT7_P12ihipStream_tbENKUlT_T0_SG_SL_E_clISA_SA_SB_SB_EEDaSZ_S10_SG_SL_EUlSZ_E_NS1_11comp_targetILNS1_3genE9ELNS1_11target_archE1100ELNS1_3gpuE3ELNS1_3repE0EEENS1_47radix_sort_onesweep_sort_config_static_selectorELNS0_4arch9wavefront6targetE0EEEvSG_
; %bb.0:
	.section	.rodata,"a",@progbits
	.p2align	6, 0x0
	.amdhsa_kernel _ZN7rocprim17ROCPRIM_400000_NS6detail17trampoline_kernelINS0_14default_configENS1_35radix_sort_onesweep_config_selectorIjNS0_10empty_typeEEEZZNS1_29radix_sort_onesweep_iterationIS3_Lb1EPKjPjPS5_SB_mNS0_19identity_decomposerENS1_16block_id_wrapperIjLb1EEEEE10hipError_tT1_PNSt15iterator_traitsISG_E10value_typeET2_T3_PNSH_ISM_E10value_typeET4_T5_PSR_SS_PNS1_23onesweep_lookback_stateEbbT6_jjT7_P12ihipStream_tbENKUlT_T0_SG_SL_E_clISA_SA_SB_SB_EEDaSZ_S10_SG_SL_EUlSZ_E_NS1_11comp_targetILNS1_3genE9ELNS1_11target_archE1100ELNS1_3gpuE3ELNS1_3repE0EEENS1_47radix_sort_onesweep_sort_config_static_selectorELNS0_4arch9wavefront6targetE0EEEvSG_
		.amdhsa_group_segment_fixed_size 0
		.amdhsa_private_segment_fixed_size 0
		.amdhsa_kernarg_size 88
		.amdhsa_user_sgpr_count 2
		.amdhsa_user_sgpr_dispatch_ptr 0
		.amdhsa_user_sgpr_queue_ptr 0
		.amdhsa_user_sgpr_kernarg_segment_ptr 1
		.amdhsa_user_sgpr_dispatch_id 0
		.amdhsa_user_sgpr_kernarg_preload_length 0
		.amdhsa_user_sgpr_kernarg_preload_offset 0
		.amdhsa_user_sgpr_private_segment_size 0
		.amdhsa_wavefront_size32 1
		.amdhsa_uses_dynamic_stack 0
		.amdhsa_enable_private_segment 0
		.amdhsa_system_sgpr_workgroup_id_x 1
		.amdhsa_system_sgpr_workgroup_id_y 0
		.amdhsa_system_sgpr_workgroup_id_z 0
		.amdhsa_system_sgpr_workgroup_info 0
		.amdhsa_system_vgpr_workitem_id 0
		.amdhsa_next_free_vgpr 1
		.amdhsa_next_free_sgpr 1
		.amdhsa_named_barrier_count 0
		.amdhsa_reserve_vcc 0
		.amdhsa_float_round_mode_32 0
		.amdhsa_float_round_mode_16_64 0
		.amdhsa_float_denorm_mode_32 3
		.amdhsa_float_denorm_mode_16_64 3
		.amdhsa_fp16_overflow 0
		.amdhsa_memory_ordered 1
		.amdhsa_forward_progress 1
		.amdhsa_inst_pref_size 0
		.amdhsa_round_robin_scheduling 0
		.amdhsa_exception_fp_ieee_invalid_op 0
		.amdhsa_exception_fp_denorm_src 0
		.amdhsa_exception_fp_ieee_div_zero 0
		.amdhsa_exception_fp_ieee_overflow 0
		.amdhsa_exception_fp_ieee_underflow 0
		.amdhsa_exception_fp_ieee_inexact 0
		.amdhsa_exception_int_div_zero 0
	.end_amdhsa_kernel
	.section	.text._ZN7rocprim17ROCPRIM_400000_NS6detail17trampoline_kernelINS0_14default_configENS1_35radix_sort_onesweep_config_selectorIjNS0_10empty_typeEEEZZNS1_29radix_sort_onesweep_iterationIS3_Lb1EPKjPjPS5_SB_mNS0_19identity_decomposerENS1_16block_id_wrapperIjLb1EEEEE10hipError_tT1_PNSt15iterator_traitsISG_E10value_typeET2_T3_PNSH_ISM_E10value_typeET4_T5_PSR_SS_PNS1_23onesweep_lookback_stateEbbT6_jjT7_P12ihipStream_tbENKUlT_T0_SG_SL_E_clISA_SA_SB_SB_EEDaSZ_S10_SG_SL_EUlSZ_E_NS1_11comp_targetILNS1_3genE9ELNS1_11target_archE1100ELNS1_3gpuE3ELNS1_3repE0EEENS1_47radix_sort_onesweep_sort_config_static_selectorELNS0_4arch9wavefront6targetE0EEEvSG_,"axG",@progbits,_ZN7rocprim17ROCPRIM_400000_NS6detail17trampoline_kernelINS0_14default_configENS1_35radix_sort_onesweep_config_selectorIjNS0_10empty_typeEEEZZNS1_29radix_sort_onesweep_iterationIS3_Lb1EPKjPjPS5_SB_mNS0_19identity_decomposerENS1_16block_id_wrapperIjLb1EEEEE10hipError_tT1_PNSt15iterator_traitsISG_E10value_typeET2_T3_PNSH_ISM_E10value_typeET4_T5_PSR_SS_PNS1_23onesweep_lookback_stateEbbT6_jjT7_P12ihipStream_tbENKUlT_T0_SG_SL_E_clISA_SA_SB_SB_EEDaSZ_S10_SG_SL_EUlSZ_E_NS1_11comp_targetILNS1_3genE9ELNS1_11target_archE1100ELNS1_3gpuE3ELNS1_3repE0EEENS1_47radix_sort_onesweep_sort_config_static_selectorELNS0_4arch9wavefront6targetE0EEEvSG_,comdat
.Lfunc_end2649:
	.size	_ZN7rocprim17ROCPRIM_400000_NS6detail17trampoline_kernelINS0_14default_configENS1_35radix_sort_onesweep_config_selectorIjNS0_10empty_typeEEEZZNS1_29radix_sort_onesweep_iterationIS3_Lb1EPKjPjPS5_SB_mNS0_19identity_decomposerENS1_16block_id_wrapperIjLb1EEEEE10hipError_tT1_PNSt15iterator_traitsISG_E10value_typeET2_T3_PNSH_ISM_E10value_typeET4_T5_PSR_SS_PNS1_23onesweep_lookback_stateEbbT6_jjT7_P12ihipStream_tbENKUlT_T0_SG_SL_E_clISA_SA_SB_SB_EEDaSZ_S10_SG_SL_EUlSZ_E_NS1_11comp_targetILNS1_3genE9ELNS1_11target_archE1100ELNS1_3gpuE3ELNS1_3repE0EEENS1_47radix_sort_onesweep_sort_config_static_selectorELNS0_4arch9wavefront6targetE0EEEvSG_, .Lfunc_end2649-_ZN7rocprim17ROCPRIM_400000_NS6detail17trampoline_kernelINS0_14default_configENS1_35radix_sort_onesweep_config_selectorIjNS0_10empty_typeEEEZZNS1_29radix_sort_onesweep_iterationIS3_Lb1EPKjPjPS5_SB_mNS0_19identity_decomposerENS1_16block_id_wrapperIjLb1EEEEE10hipError_tT1_PNSt15iterator_traitsISG_E10value_typeET2_T3_PNSH_ISM_E10value_typeET4_T5_PSR_SS_PNS1_23onesweep_lookback_stateEbbT6_jjT7_P12ihipStream_tbENKUlT_T0_SG_SL_E_clISA_SA_SB_SB_EEDaSZ_S10_SG_SL_EUlSZ_E_NS1_11comp_targetILNS1_3genE9ELNS1_11target_archE1100ELNS1_3gpuE3ELNS1_3repE0EEENS1_47radix_sort_onesweep_sort_config_static_selectorELNS0_4arch9wavefront6targetE0EEEvSG_
                                        ; -- End function
	.set _ZN7rocprim17ROCPRIM_400000_NS6detail17trampoline_kernelINS0_14default_configENS1_35radix_sort_onesweep_config_selectorIjNS0_10empty_typeEEEZZNS1_29radix_sort_onesweep_iterationIS3_Lb1EPKjPjPS5_SB_mNS0_19identity_decomposerENS1_16block_id_wrapperIjLb1EEEEE10hipError_tT1_PNSt15iterator_traitsISG_E10value_typeET2_T3_PNSH_ISM_E10value_typeET4_T5_PSR_SS_PNS1_23onesweep_lookback_stateEbbT6_jjT7_P12ihipStream_tbENKUlT_T0_SG_SL_E_clISA_SA_SB_SB_EEDaSZ_S10_SG_SL_EUlSZ_E_NS1_11comp_targetILNS1_3genE9ELNS1_11target_archE1100ELNS1_3gpuE3ELNS1_3repE0EEENS1_47radix_sort_onesweep_sort_config_static_selectorELNS0_4arch9wavefront6targetE0EEEvSG_.num_vgpr, 0
	.set _ZN7rocprim17ROCPRIM_400000_NS6detail17trampoline_kernelINS0_14default_configENS1_35radix_sort_onesweep_config_selectorIjNS0_10empty_typeEEEZZNS1_29radix_sort_onesweep_iterationIS3_Lb1EPKjPjPS5_SB_mNS0_19identity_decomposerENS1_16block_id_wrapperIjLb1EEEEE10hipError_tT1_PNSt15iterator_traitsISG_E10value_typeET2_T3_PNSH_ISM_E10value_typeET4_T5_PSR_SS_PNS1_23onesweep_lookback_stateEbbT6_jjT7_P12ihipStream_tbENKUlT_T0_SG_SL_E_clISA_SA_SB_SB_EEDaSZ_S10_SG_SL_EUlSZ_E_NS1_11comp_targetILNS1_3genE9ELNS1_11target_archE1100ELNS1_3gpuE3ELNS1_3repE0EEENS1_47radix_sort_onesweep_sort_config_static_selectorELNS0_4arch9wavefront6targetE0EEEvSG_.num_agpr, 0
	.set _ZN7rocprim17ROCPRIM_400000_NS6detail17trampoline_kernelINS0_14default_configENS1_35radix_sort_onesweep_config_selectorIjNS0_10empty_typeEEEZZNS1_29radix_sort_onesweep_iterationIS3_Lb1EPKjPjPS5_SB_mNS0_19identity_decomposerENS1_16block_id_wrapperIjLb1EEEEE10hipError_tT1_PNSt15iterator_traitsISG_E10value_typeET2_T3_PNSH_ISM_E10value_typeET4_T5_PSR_SS_PNS1_23onesweep_lookback_stateEbbT6_jjT7_P12ihipStream_tbENKUlT_T0_SG_SL_E_clISA_SA_SB_SB_EEDaSZ_S10_SG_SL_EUlSZ_E_NS1_11comp_targetILNS1_3genE9ELNS1_11target_archE1100ELNS1_3gpuE3ELNS1_3repE0EEENS1_47radix_sort_onesweep_sort_config_static_selectorELNS0_4arch9wavefront6targetE0EEEvSG_.numbered_sgpr, 0
	.set _ZN7rocprim17ROCPRIM_400000_NS6detail17trampoline_kernelINS0_14default_configENS1_35radix_sort_onesweep_config_selectorIjNS0_10empty_typeEEEZZNS1_29radix_sort_onesweep_iterationIS3_Lb1EPKjPjPS5_SB_mNS0_19identity_decomposerENS1_16block_id_wrapperIjLb1EEEEE10hipError_tT1_PNSt15iterator_traitsISG_E10value_typeET2_T3_PNSH_ISM_E10value_typeET4_T5_PSR_SS_PNS1_23onesweep_lookback_stateEbbT6_jjT7_P12ihipStream_tbENKUlT_T0_SG_SL_E_clISA_SA_SB_SB_EEDaSZ_S10_SG_SL_EUlSZ_E_NS1_11comp_targetILNS1_3genE9ELNS1_11target_archE1100ELNS1_3gpuE3ELNS1_3repE0EEENS1_47radix_sort_onesweep_sort_config_static_selectorELNS0_4arch9wavefront6targetE0EEEvSG_.num_named_barrier, 0
	.set _ZN7rocprim17ROCPRIM_400000_NS6detail17trampoline_kernelINS0_14default_configENS1_35radix_sort_onesweep_config_selectorIjNS0_10empty_typeEEEZZNS1_29radix_sort_onesweep_iterationIS3_Lb1EPKjPjPS5_SB_mNS0_19identity_decomposerENS1_16block_id_wrapperIjLb1EEEEE10hipError_tT1_PNSt15iterator_traitsISG_E10value_typeET2_T3_PNSH_ISM_E10value_typeET4_T5_PSR_SS_PNS1_23onesweep_lookback_stateEbbT6_jjT7_P12ihipStream_tbENKUlT_T0_SG_SL_E_clISA_SA_SB_SB_EEDaSZ_S10_SG_SL_EUlSZ_E_NS1_11comp_targetILNS1_3genE9ELNS1_11target_archE1100ELNS1_3gpuE3ELNS1_3repE0EEENS1_47radix_sort_onesweep_sort_config_static_selectorELNS0_4arch9wavefront6targetE0EEEvSG_.private_seg_size, 0
	.set _ZN7rocprim17ROCPRIM_400000_NS6detail17trampoline_kernelINS0_14default_configENS1_35radix_sort_onesweep_config_selectorIjNS0_10empty_typeEEEZZNS1_29radix_sort_onesweep_iterationIS3_Lb1EPKjPjPS5_SB_mNS0_19identity_decomposerENS1_16block_id_wrapperIjLb1EEEEE10hipError_tT1_PNSt15iterator_traitsISG_E10value_typeET2_T3_PNSH_ISM_E10value_typeET4_T5_PSR_SS_PNS1_23onesweep_lookback_stateEbbT6_jjT7_P12ihipStream_tbENKUlT_T0_SG_SL_E_clISA_SA_SB_SB_EEDaSZ_S10_SG_SL_EUlSZ_E_NS1_11comp_targetILNS1_3genE9ELNS1_11target_archE1100ELNS1_3gpuE3ELNS1_3repE0EEENS1_47radix_sort_onesweep_sort_config_static_selectorELNS0_4arch9wavefront6targetE0EEEvSG_.uses_vcc, 0
	.set _ZN7rocprim17ROCPRIM_400000_NS6detail17trampoline_kernelINS0_14default_configENS1_35radix_sort_onesweep_config_selectorIjNS0_10empty_typeEEEZZNS1_29radix_sort_onesweep_iterationIS3_Lb1EPKjPjPS5_SB_mNS0_19identity_decomposerENS1_16block_id_wrapperIjLb1EEEEE10hipError_tT1_PNSt15iterator_traitsISG_E10value_typeET2_T3_PNSH_ISM_E10value_typeET4_T5_PSR_SS_PNS1_23onesweep_lookback_stateEbbT6_jjT7_P12ihipStream_tbENKUlT_T0_SG_SL_E_clISA_SA_SB_SB_EEDaSZ_S10_SG_SL_EUlSZ_E_NS1_11comp_targetILNS1_3genE9ELNS1_11target_archE1100ELNS1_3gpuE3ELNS1_3repE0EEENS1_47radix_sort_onesweep_sort_config_static_selectorELNS0_4arch9wavefront6targetE0EEEvSG_.uses_flat_scratch, 0
	.set _ZN7rocprim17ROCPRIM_400000_NS6detail17trampoline_kernelINS0_14default_configENS1_35radix_sort_onesweep_config_selectorIjNS0_10empty_typeEEEZZNS1_29radix_sort_onesweep_iterationIS3_Lb1EPKjPjPS5_SB_mNS0_19identity_decomposerENS1_16block_id_wrapperIjLb1EEEEE10hipError_tT1_PNSt15iterator_traitsISG_E10value_typeET2_T3_PNSH_ISM_E10value_typeET4_T5_PSR_SS_PNS1_23onesweep_lookback_stateEbbT6_jjT7_P12ihipStream_tbENKUlT_T0_SG_SL_E_clISA_SA_SB_SB_EEDaSZ_S10_SG_SL_EUlSZ_E_NS1_11comp_targetILNS1_3genE9ELNS1_11target_archE1100ELNS1_3gpuE3ELNS1_3repE0EEENS1_47radix_sort_onesweep_sort_config_static_selectorELNS0_4arch9wavefront6targetE0EEEvSG_.has_dyn_sized_stack, 0
	.set _ZN7rocprim17ROCPRIM_400000_NS6detail17trampoline_kernelINS0_14default_configENS1_35radix_sort_onesweep_config_selectorIjNS0_10empty_typeEEEZZNS1_29radix_sort_onesweep_iterationIS3_Lb1EPKjPjPS5_SB_mNS0_19identity_decomposerENS1_16block_id_wrapperIjLb1EEEEE10hipError_tT1_PNSt15iterator_traitsISG_E10value_typeET2_T3_PNSH_ISM_E10value_typeET4_T5_PSR_SS_PNS1_23onesweep_lookback_stateEbbT6_jjT7_P12ihipStream_tbENKUlT_T0_SG_SL_E_clISA_SA_SB_SB_EEDaSZ_S10_SG_SL_EUlSZ_E_NS1_11comp_targetILNS1_3genE9ELNS1_11target_archE1100ELNS1_3gpuE3ELNS1_3repE0EEENS1_47radix_sort_onesweep_sort_config_static_selectorELNS0_4arch9wavefront6targetE0EEEvSG_.has_recursion, 0
	.set _ZN7rocprim17ROCPRIM_400000_NS6detail17trampoline_kernelINS0_14default_configENS1_35radix_sort_onesweep_config_selectorIjNS0_10empty_typeEEEZZNS1_29radix_sort_onesweep_iterationIS3_Lb1EPKjPjPS5_SB_mNS0_19identity_decomposerENS1_16block_id_wrapperIjLb1EEEEE10hipError_tT1_PNSt15iterator_traitsISG_E10value_typeET2_T3_PNSH_ISM_E10value_typeET4_T5_PSR_SS_PNS1_23onesweep_lookback_stateEbbT6_jjT7_P12ihipStream_tbENKUlT_T0_SG_SL_E_clISA_SA_SB_SB_EEDaSZ_S10_SG_SL_EUlSZ_E_NS1_11comp_targetILNS1_3genE9ELNS1_11target_archE1100ELNS1_3gpuE3ELNS1_3repE0EEENS1_47radix_sort_onesweep_sort_config_static_selectorELNS0_4arch9wavefront6targetE0EEEvSG_.has_indirect_call, 0
	.section	.AMDGPU.csdata,"",@progbits
; Kernel info:
; codeLenInByte = 0
; TotalNumSgprs: 0
; NumVgprs: 0
; ScratchSize: 0
; MemoryBound: 0
; FloatMode: 240
; IeeeMode: 1
; LDSByteSize: 0 bytes/workgroup (compile time only)
; SGPRBlocks: 0
; VGPRBlocks: 0
; NumSGPRsForWavesPerEU: 1
; NumVGPRsForWavesPerEU: 1
; NamedBarCnt: 0
; Occupancy: 16
; WaveLimiterHint : 0
; COMPUTE_PGM_RSRC2:SCRATCH_EN: 0
; COMPUTE_PGM_RSRC2:USER_SGPR: 2
; COMPUTE_PGM_RSRC2:TRAP_HANDLER: 0
; COMPUTE_PGM_RSRC2:TGID_X_EN: 1
; COMPUTE_PGM_RSRC2:TGID_Y_EN: 0
; COMPUTE_PGM_RSRC2:TGID_Z_EN: 0
; COMPUTE_PGM_RSRC2:TIDIG_COMP_CNT: 0
	.section	.text._ZN7rocprim17ROCPRIM_400000_NS6detail17trampoline_kernelINS0_14default_configENS1_35radix_sort_onesweep_config_selectorIjNS0_10empty_typeEEEZZNS1_29radix_sort_onesweep_iterationIS3_Lb1EPKjPjPS5_SB_mNS0_19identity_decomposerENS1_16block_id_wrapperIjLb1EEEEE10hipError_tT1_PNSt15iterator_traitsISG_E10value_typeET2_T3_PNSH_ISM_E10value_typeET4_T5_PSR_SS_PNS1_23onesweep_lookback_stateEbbT6_jjT7_P12ihipStream_tbENKUlT_T0_SG_SL_E_clISA_SA_SB_SB_EEDaSZ_S10_SG_SL_EUlSZ_E_NS1_11comp_targetILNS1_3genE8ELNS1_11target_archE1030ELNS1_3gpuE2ELNS1_3repE0EEENS1_47radix_sort_onesweep_sort_config_static_selectorELNS0_4arch9wavefront6targetE0EEEvSG_,"axG",@progbits,_ZN7rocprim17ROCPRIM_400000_NS6detail17trampoline_kernelINS0_14default_configENS1_35radix_sort_onesweep_config_selectorIjNS0_10empty_typeEEEZZNS1_29radix_sort_onesweep_iterationIS3_Lb1EPKjPjPS5_SB_mNS0_19identity_decomposerENS1_16block_id_wrapperIjLb1EEEEE10hipError_tT1_PNSt15iterator_traitsISG_E10value_typeET2_T3_PNSH_ISM_E10value_typeET4_T5_PSR_SS_PNS1_23onesweep_lookback_stateEbbT6_jjT7_P12ihipStream_tbENKUlT_T0_SG_SL_E_clISA_SA_SB_SB_EEDaSZ_S10_SG_SL_EUlSZ_E_NS1_11comp_targetILNS1_3genE8ELNS1_11target_archE1030ELNS1_3gpuE2ELNS1_3repE0EEENS1_47radix_sort_onesweep_sort_config_static_selectorELNS0_4arch9wavefront6targetE0EEEvSG_,comdat
	.protected	_ZN7rocprim17ROCPRIM_400000_NS6detail17trampoline_kernelINS0_14default_configENS1_35radix_sort_onesweep_config_selectorIjNS0_10empty_typeEEEZZNS1_29radix_sort_onesweep_iterationIS3_Lb1EPKjPjPS5_SB_mNS0_19identity_decomposerENS1_16block_id_wrapperIjLb1EEEEE10hipError_tT1_PNSt15iterator_traitsISG_E10value_typeET2_T3_PNSH_ISM_E10value_typeET4_T5_PSR_SS_PNS1_23onesweep_lookback_stateEbbT6_jjT7_P12ihipStream_tbENKUlT_T0_SG_SL_E_clISA_SA_SB_SB_EEDaSZ_S10_SG_SL_EUlSZ_E_NS1_11comp_targetILNS1_3genE8ELNS1_11target_archE1030ELNS1_3gpuE2ELNS1_3repE0EEENS1_47radix_sort_onesweep_sort_config_static_selectorELNS0_4arch9wavefront6targetE0EEEvSG_ ; -- Begin function _ZN7rocprim17ROCPRIM_400000_NS6detail17trampoline_kernelINS0_14default_configENS1_35radix_sort_onesweep_config_selectorIjNS0_10empty_typeEEEZZNS1_29radix_sort_onesweep_iterationIS3_Lb1EPKjPjPS5_SB_mNS0_19identity_decomposerENS1_16block_id_wrapperIjLb1EEEEE10hipError_tT1_PNSt15iterator_traitsISG_E10value_typeET2_T3_PNSH_ISM_E10value_typeET4_T5_PSR_SS_PNS1_23onesweep_lookback_stateEbbT6_jjT7_P12ihipStream_tbENKUlT_T0_SG_SL_E_clISA_SA_SB_SB_EEDaSZ_S10_SG_SL_EUlSZ_E_NS1_11comp_targetILNS1_3genE8ELNS1_11target_archE1030ELNS1_3gpuE2ELNS1_3repE0EEENS1_47radix_sort_onesweep_sort_config_static_selectorELNS0_4arch9wavefront6targetE0EEEvSG_
	.globl	_ZN7rocprim17ROCPRIM_400000_NS6detail17trampoline_kernelINS0_14default_configENS1_35radix_sort_onesweep_config_selectorIjNS0_10empty_typeEEEZZNS1_29radix_sort_onesweep_iterationIS3_Lb1EPKjPjPS5_SB_mNS0_19identity_decomposerENS1_16block_id_wrapperIjLb1EEEEE10hipError_tT1_PNSt15iterator_traitsISG_E10value_typeET2_T3_PNSH_ISM_E10value_typeET4_T5_PSR_SS_PNS1_23onesweep_lookback_stateEbbT6_jjT7_P12ihipStream_tbENKUlT_T0_SG_SL_E_clISA_SA_SB_SB_EEDaSZ_S10_SG_SL_EUlSZ_E_NS1_11comp_targetILNS1_3genE8ELNS1_11target_archE1030ELNS1_3gpuE2ELNS1_3repE0EEENS1_47radix_sort_onesweep_sort_config_static_selectorELNS0_4arch9wavefront6targetE0EEEvSG_
	.p2align	8
	.type	_ZN7rocprim17ROCPRIM_400000_NS6detail17trampoline_kernelINS0_14default_configENS1_35radix_sort_onesweep_config_selectorIjNS0_10empty_typeEEEZZNS1_29radix_sort_onesweep_iterationIS3_Lb1EPKjPjPS5_SB_mNS0_19identity_decomposerENS1_16block_id_wrapperIjLb1EEEEE10hipError_tT1_PNSt15iterator_traitsISG_E10value_typeET2_T3_PNSH_ISM_E10value_typeET4_T5_PSR_SS_PNS1_23onesweep_lookback_stateEbbT6_jjT7_P12ihipStream_tbENKUlT_T0_SG_SL_E_clISA_SA_SB_SB_EEDaSZ_S10_SG_SL_EUlSZ_E_NS1_11comp_targetILNS1_3genE8ELNS1_11target_archE1030ELNS1_3gpuE2ELNS1_3repE0EEENS1_47radix_sort_onesweep_sort_config_static_selectorELNS0_4arch9wavefront6targetE0EEEvSG_,@function
_ZN7rocprim17ROCPRIM_400000_NS6detail17trampoline_kernelINS0_14default_configENS1_35radix_sort_onesweep_config_selectorIjNS0_10empty_typeEEEZZNS1_29radix_sort_onesweep_iterationIS3_Lb1EPKjPjPS5_SB_mNS0_19identity_decomposerENS1_16block_id_wrapperIjLb1EEEEE10hipError_tT1_PNSt15iterator_traitsISG_E10value_typeET2_T3_PNSH_ISM_E10value_typeET4_T5_PSR_SS_PNS1_23onesweep_lookback_stateEbbT6_jjT7_P12ihipStream_tbENKUlT_T0_SG_SL_E_clISA_SA_SB_SB_EEDaSZ_S10_SG_SL_EUlSZ_E_NS1_11comp_targetILNS1_3genE8ELNS1_11target_archE1030ELNS1_3gpuE2ELNS1_3repE0EEENS1_47radix_sort_onesweep_sort_config_static_selectorELNS0_4arch9wavefront6targetE0EEEvSG_: ; @_ZN7rocprim17ROCPRIM_400000_NS6detail17trampoline_kernelINS0_14default_configENS1_35radix_sort_onesweep_config_selectorIjNS0_10empty_typeEEEZZNS1_29radix_sort_onesweep_iterationIS3_Lb1EPKjPjPS5_SB_mNS0_19identity_decomposerENS1_16block_id_wrapperIjLb1EEEEE10hipError_tT1_PNSt15iterator_traitsISG_E10value_typeET2_T3_PNSH_ISM_E10value_typeET4_T5_PSR_SS_PNS1_23onesweep_lookback_stateEbbT6_jjT7_P12ihipStream_tbENKUlT_T0_SG_SL_E_clISA_SA_SB_SB_EEDaSZ_S10_SG_SL_EUlSZ_E_NS1_11comp_targetILNS1_3genE8ELNS1_11target_archE1030ELNS1_3gpuE2ELNS1_3repE0EEENS1_47radix_sort_onesweep_sort_config_static_selectorELNS0_4arch9wavefront6targetE0EEEvSG_
; %bb.0:
	.section	.rodata,"a",@progbits
	.p2align	6, 0x0
	.amdhsa_kernel _ZN7rocprim17ROCPRIM_400000_NS6detail17trampoline_kernelINS0_14default_configENS1_35radix_sort_onesweep_config_selectorIjNS0_10empty_typeEEEZZNS1_29radix_sort_onesweep_iterationIS3_Lb1EPKjPjPS5_SB_mNS0_19identity_decomposerENS1_16block_id_wrapperIjLb1EEEEE10hipError_tT1_PNSt15iterator_traitsISG_E10value_typeET2_T3_PNSH_ISM_E10value_typeET4_T5_PSR_SS_PNS1_23onesweep_lookback_stateEbbT6_jjT7_P12ihipStream_tbENKUlT_T0_SG_SL_E_clISA_SA_SB_SB_EEDaSZ_S10_SG_SL_EUlSZ_E_NS1_11comp_targetILNS1_3genE8ELNS1_11target_archE1030ELNS1_3gpuE2ELNS1_3repE0EEENS1_47radix_sort_onesweep_sort_config_static_selectorELNS0_4arch9wavefront6targetE0EEEvSG_
		.amdhsa_group_segment_fixed_size 0
		.amdhsa_private_segment_fixed_size 0
		.amdhsa_kernarg_size 88
		.amdhsa_user_sgpr_count 2
		.amdhsa_user_sgpr_dispatch_ptr 0
		.amdhsa_user_sgpr_queue_ptr 0
		.amdhsa_user_sgpr_kernarg_segment_ptr 1
		.amdhsa_user_sgpr_dispatch_id 0
		.amdhsa_user_sgpr_kernarg_preload_length 0
		.amdhsa_user_sgpr_kernarg_preload_offset 0
		.amdhsa_user_sgpr_private_segment_size 0
		.amdhsa_wavefront_size32 1
		.amdhsa_uses_dynamic_stack 0
		.amdhsa_enable_private_segment 0
		.amdhsa_system_sgpr_workgroup_id_x 1
		.amdhsa_system_sgpr_workgroup_id_y 0
		.amdhsa_system_sgpr_workgroup_id_z 0
		.amdhsa_system_sgpr_workgroup_info 0
		.amdhsa_system_vgpr_workitem_id 0
		.amdhsa_next_free_vgpr 1
		.amdhsa_next_free_sgpr 1
		.amdhsa_named_barrier_count 0
		.amdhsa_reserve_vcc 0
		.amdhsa_float_round_mode_32 0
		.amdhsa_float_round_mode_16_64 0
		.amdhsa_float_denorm_mode_32 3
		.amdhsa_float_denorm_mode_16_64 3
		.amdhsa_fp16_overflow 0
		.amdhsa_memory_ordered 1
		.amdhsa_forward_progress 1
		.amdhsa_inst_pref_size 0
		.amdhsa_round_robin_scheduling 0
		.amdhsa_exception_fp_ieee_invalid_op 0
		.amdhsa_exception_fp_denorm_src 0
		.amdhsa_exception_fp_ieee_div_zero 0
		.amdhsa_exception_fp_ieee_overflow 0
		.amdhsa_exception_fp_ieee_underflow 0
		.amdhsa_exception_fp_ieee_inexact 0
		.amdhsa_exception_int_div_zero 0
	.end_amdhsa_kernel
	.section	.text._ZN7rocprim17ROCPRIM_400000_NS6detail17trampoline_kernelINS0_14default_configENS1_35radix_sort_onesweep_config_selectorIjNS0_10empty_typeEEEZZNS1_29radix_sort_onesweep_iterationIS3_Lb1EPKjPjPS5_SB_mNS0_19identity_decomposerENS1_16block_id_wrapperIjLb1EEEEE10hipError_tT1_PNSt15iterator_traitsISG_E10value_typeET2_T3_PNSH_ISM_E10value_typeET4_T5_PSR_SS_PNS1_23onesweep_lookback_stateEbbT6_jjT7_P12ihipStream_tbENKUlT_T0_SG_SL_E_clISA_SA_SB_SB_EEDaSZ_S10_SG_SL_EUlSZ_E_NS1_11comp_targetILNS1_3genE8ELNS1_11target_archE1030ELNS1_3gpuE2ELNS1_3repE0EEENS1_47radix_sort_onesweep_sort_config_static_selectorELNS0_4arch9wavefront6targetE0EEEvSG_,"axG",@progbits,_ZN7rocprim17ROCPRIM_400000_NS6detail17trampoline_kernelINS0_14default_configENS1_35radix_sort_onesweep_config_selectorIjNS0_10empty_typeEEEZZNS1_29radix_sort_onesweep_iterationIS3_Lb1EPKjPjPS5_SB_mNS0_19identity_decomposerENS1_16block_id_wrapperIjLb1EEEEE10hipError_tT1_PNSt15iterator_traitsISG_E10value_typeET2_T3_PNSH_ISM_E10value_typeET4_T5_PSR_SS_PNS1_23onesweep_lookback_stateEbbT6_jjT7_P12ihipStream_tbENKUlT_T0_SG_SL_E_clISA_SA_SB_SB_EEDaSZ_S10_SG_SL_EUlSZ_E_NS1_11comp_targetILNS1_3genE8ELNS1_11target_archE1030ELNS1_3gpuE2ELNS1_3repE0EEENS1_47radix_sort_onesweep_sort_config_static_selectorELNS0_4arch9wavefront6targetE0EEEvSG_,comdat
.Lfunc_end2650:
	.size	_ZN7rocprim17ROCPRIM_400000_NS6detail17trampoline_kernelINS0_14default_configENS1_35radix_sort_onesweep_config_selectorIjNS0_10empty_typeEEEZZNS1_29radix_sort_onesweep_iterationIS3_Lb1EPKjPjPS5_SB_mNS0_19identity_decomposerENS1_16block_id_wrapperIjLb1EEEEE10hipError_tT1_PNSt15iterator_traitsISG_E10value_typeET2_T3_PNSH_ISM_E10value_typeET4_T5_PSR_SS_PNS1_23onesweep_lookback_stateEbbT6_jjT7_P12ihipStream_tbENKUlT_T0_SG_SL_E_clISA_SA_SB_SB_EEDaSZ_S10_SG_SL_EUlSZ_E_NS1_11comp_targetILNS1_3genE8ELNS1_11target_archE1030ELNS1_3gpuE2ELNS1_3repE0EEENS1_47radix_sort_onesweep_sort_config_static_selectorELNS0_4arch9wavefront6targetE0EEEvSG_, .Lfunc_end2650-_ZN7rocprim17ROCPRIM_400000_NS6detail17trampoline_kernelINS0_14default_configENS1_35radix_sort_onesweep_config_selectorIjNS0_10empty_typeEEEZZNS1_29radix_sort_onesweep_iterationIS3_Lb1EPKjPjPS5_SB_mNS0_19identity_decomposerENS1_16block_id_wrapperIjLb1EEEEE10hipError_tT1_PNSt15iterator_traitsISG_E10value_typeET2_T3_PNSH_ISM_E10value_typeET4_T5_PSR_SS_PNS1_23onesweep_lookback_stateEbbT6_jjT7_P12ihipStream_tbENKUlT_T0_SG_SL_E_clISA_SA_SB_SB_EEDaSZ_S10_SG_SL_EUlSZ_E_NS1_11comp_targetILNS1_3genE8ELNS1_11target_archE1030ELNS1_3gpuE2ELNS1_3repE0EEENS1_47radix_sort_onesweep_sort_config_static_selectorELNS0_4arch9wavefront6targetE0EEEvSG_
                                        ; -- End function
	.set _ZN7rocprim17ROCPRIM_400000_NS6detail17trampoline_kernelINS0_14default_configENS1_35radix_sort_onesweep_config_selectorIjNS0_10empty_typeEEEZZNS1_29radix_sort_onesweep_iterationIS3_Lb1EPKjPjPS5_SB_mNS0_19identity_decomposerENS1_16block_id_wrapperIjLb1EEEEE10hipError_tT1_PNSt15iterator_traitsISG_E10value_typeET2_T3_PNSH_ISM_E10value_typeET4_T5_PSR_SS_PNS1_23onesweep_lookback_stateEbbT6_jjT7_P12ihipStream_tbENKUlT_T0_SG_SL_E_clISA_SA_SB_SB_EEDaSZ_S10_SG_SL_EUlSZ_E_NS1_11comp_targetILNS1_3genE8ELNS1_11target_archE1030ELNS1_3gpuE2ELNS1_3repE0EEENS1_47radix_sort_onesweep_sort_config_static_selectorELNS0_4arch9wavefront6targetE0EEEvSG_.num_vgpr, 0
	.set _ZN7rocprim17ROCPRIM_400000_NS6detail17trampoline_kernelINS0_14default_configENS1_35radix_sort_onesweep_config_selectorIjNS0_10empty_typeEEEZZNS1_29radix_sort_onesweep_iterationIS3_Lb1EPKjPjPS5_SB_mNS0_19identity_decomposerENS1_16block_id_wrapperIjLb1EEEEE10hipError_tT1_PNSt15iterator_traitsISG_E10value_typeET2_T3_PNSH_ISM_E10value_typeET4_T5_PSR_SS_PNS1_23onesweep_lookback_stateEbbT6_jjT7_P12ihipStream_tbENKUlT_T0_SG_SL_E_clISA_SA_SB_SB_EEDaSZ_S10_SG_SL_EUlSZ_E_NS1_11comp_targetILNS1_3genE8ELNS1_11target_archE1030ELNS1_3gpuE2ELNS1_3repE0EEENS1_47radix_sort_onesweep_sort_config_static_selectorELNS0_4arch9wavefront6targetE0EEEvSG_.num_agpr, 0
	.set _ZN7rocprim17ROCPRIM_400000_NS6detail17trampoline_kernelINS0_14default_configENS1_35radix_sort_onesweep_config_selectorIjNS0_10empty_typeEEEZZNS1_29radix_sort_onesweep_iterationIS3_Lb1EPKjPjPS5_SB_mNS0_19identity_decomposerENS1_16block_id_wrapperIjLb1EEEEE10hipError_tT1_PNSt15iterator_traitsISG_E10value_typeET2_T3_PNSH_ISM_E10value_typeET4_T5_PSR_SS_PNS1_23onesweep_lookback_stateEbbT6_jjT7_P12ihipStream_tbENKUlT_T0_SG_SL_E_clISA_SA_SB_SB_EEDaSZ_S10_SG_SL_EUlSZ_E_NS1_11comp_targetILNS1_3genE8ELNS1_11target_archE1030ELNS1_3gpuE2ELNS1_3repE0EEENS1_47radix_sort_onesweep_sort_config_static_selectorELNS0_4arch9wavefront6targetE0EEEvSG_.numbered_sgpr, 0
	.set _ZN7rocprim17ROCPRIM_400000_NS6detail17trampoline_kernelINS0_14default_configENS1_35radix_sort_onesweep_config_selectorIjNS0_10empty_typeEEEZZNS1_29radix_sort_onesweep_iterationIS3_Lb1EPKjPjPS5_SB_mNS0_19identity_decomposerENS1_16block_id_wrapperIjLb1EEEEE10hipError_tT1_PNSt15iterator_traitsISG_E10value_typeET2_T3_PNSH_ISM_E10value_typeET4_T5_PSR_SS_PNS1_23onesweep_lookback_stateEbbT6_jjT7_P12ihipStream_tbENKUlT_T0_SG_SL_E_clISA_SA_SB_SB_EEDaSZ_S10_SG_SL_EUlSZ_E_NS1_11comp_targetILNS1_3genE8ELNS1_11target_archE1030ELNS1_3gpuE2ELNS1_3repE0EEENS1_47radix_sort_onesweep_sort_config_static_selectorELNS0_4arch9wavefront6targetE0EEEvSG_.num_named_barrier, 0
	.set _ZN7rocprim17ROCPRIM_400000_NS6detail17trampoline_kernelINS0_14default_configENS1_35radix_sort_onesweep_config_selectorIjNS0_10empty_typeEEEZZNS1_29radix_sort_onesweep_iterationIS3_Lb1EPKjPjPS5_SB_mNS0_19identity_decomposerENS1_16block_id_wrapperIjLb1EEEEE10hipError_tT1_PNSt15iterator_traitsISG_E10value_typeET2_T3_PNSH_ISM_E10value_typeET4_T5_PSR_SS_PNS1_23onesweep_lookback_stateEbbT6_jjT7_P12ihipStream_tbENKUlT_T0_SG_SL_E_clISA_SA_SB_SB_EEDaSZ_S10_SG_SL_EUlSZ_E_NS1_11comp_targetILNS1_3genE8ELNS1_11target_archE1030ELNS1_3gpuE2ELNS1_3repE0EEENS1_47radix_sort_onesweep_sort_config_static_selectorELNS0_4arch9wavefront6targetE0EEEvSG_.private_seg_size, 0
	.set _ZN7rocprim17ROCPRIM_400000_NS6detail17trampoline_kernelINS0_14default_configENS1_35radix_sort_onesweep_config_selectorIjNS0_10empty_typeEEEZZNS1_29radix_sort_onesweep_iterationIS3_Lb1EPKjPjPS5_SB_mNS0_19identity_decomposerENS1_16block_id_wrapperIjLb1EEEEE10hipError_tT1_PNSt15iterator_traitsISG_E10value_typeET2_T3_PNSH_ISM_E10value_typeET4_T5_PSR_SS_PNS1_23onesweep_lookback_stateEbbT6_jjT7_P12ihipStream_tbENKUlT_T0_SG_SL_E_clISA_SA_SB_SB_EEDaSZ_S10_SG_SL_EUlSZ_E_NS1_11comp_targetILNS1_3genE8ELNS1_11target_archE1030ELNS1_3gpuE2ELNS1_3repE0EEENS1_47radix_sort_onesweep_sort_config_static_selectorELNS0_4arch9wavefront6targetE0EEEvSG_.uses_vcc, 0
	.set _ZN7rocprim17ROCPRIM_400000_NS6detail17trampoline_kernelINS0_14default_configENS1_35radix_sort_onesweep_config_selectorIjNS0_10empty_typeEEEZZNS1_29radix_sort_onesweep_iterationIS3_Lb1EPKjPjPS5_SB_mNS0_19identity_decomposerENS1_16block_id_wrapperIjLb1EEEEE10hipError_tT1_PNSt15iterator_traitsISG_E10value_typeET2_T3_PNSH_ISM_E10value_typeET4_T5_PSR_SS_PNS1_23onesweep_lookback_stateEbbT6_jjT7_P12ihipStream_tbENKUlT_T0_SG_SL_E_clISA_SA_SB_SB_EEDaSZ_S10_SG_SL_EUlSZ_E_NS1_11comp_targetILNS1_3genE8ELNS1_11target_archE1030ELNS1_3gpuE2ELNS1_3repE0EEENS1_47radix_sort_onesweep_sort_config_static_selectorELNS0_4arch9wavefront6targetE0EEEvSG_.uses_flat_scratch, 0
	.set _ZN7rocprim17ROCPRIM_400000_NS6detail17trampoline_kernelINS0_14default_configENS1_35radix_sort_onesweep_config_selectorIjNS0_10empty_typeEEEZZNS1_29radix_sort_onesweep_iterationIS3_Lb1EPKjPjPS5_SB_mNS0_19identity_decomposerENS1_16block_id_wrapperIjLb1EEEEE10hipError_tT1_PNSt15iterator_traitsISG_E10value_typeET2_T3_PNSH_ISM_E10value_typeET4_T5_PSR_SS_PNS1_23onesweep_lookback_stateEbbT6_jjT7_P12ihipStream_tbENKUlT_T0_SG_SL_E_clISA_SA_SB_SB_EEDaSZ_S10_SG_SL_EUlSZ_E_NS1_11comp_targetILNS1_3genE8ELNS1_11target_archE1030ELNS1_3gpuE2ELNS1_3repE0EEENS1_47radix_sort_onesweep_sort_config_static_selectorELNS0_4arch9wavefront6targetE0EEEvSG_.has_dyn_sized_stack, 0
	.set _ZN7rocprim17ROCPRIM_400000_NS6detail17trampoline_kernelINS0_14default_configENS1_35radix_sort_onesweep_config_selectorIjNS0_10empty_typeEEEZZNS1_29radix_sort_onesweep_iterationIS3_Lb1EPKjPjPS5_SB_mNS0_19identity_decomposerENS1_16block_id_wrapperIjLb1EEEEE10hipError_tT1_PNSt15iterator_traitsISG_E10value_typeET2_T3_PNSH_ISM_E10value_typeET4_T5_PSR_SS_PNS1_23onesweep_lookback_stateEbbT6_jjT7_P12ihipStream_tbENKUlT_T0_SG_SL_E_clISA_SA_SB_SB_EEDaSZ_S10_SG_SL_EUlSZ_E_NS1_11comp_targetILNS1_3genE8ELNS1_11target_archE1030ELNS1_3gpuE2ELNS1_3repE0EEENS1_47radix_sort_onesweep_sort_config_static_selectorELNS0_4arch9wavefront6targetE0EEEvSG_.has_recursion, 0
	.set _ZN7rocprim17ROCPRIM_400000_NS6detail17trampoline_kernelINS0_14default_configENS1_35radix_sort_onesweep_config_selectorIjNS0_10empty_typeEEEZZNS1_29radix_sort_onesweep_iterationIS3_Lb1EPKjPjPS5_SB_mNS0_19identity_decomposerENS1_16block_id_wrapperIjLb1EEEEE10hipError_tT1_PNSt15iterator_traitsISG_E10value_typeET2_T3_PNSH_ISM_E10value_typeET4_T5_PSR_SS_PNS1_23onesweep_lookback_stateEbbT6_jjT7_P12ihipStream_tbENKUlT_T0_SG_SL_E_clISA_SA_SB_SB_EEDaSZ_S10_SG_SL_EUlSZ_E_NS1_11comp_targetILNS1_3genE8ELNS1_11target_archE1030ELNS1_3gpuE2ELNS1_3repE0EEENS1_47radix_sort_onesweep_sort_config_static_selectorELNS0_4arch9wavefront6targetE0EEEvSG_.has_indirect_call, 0
	.section	.AMDGPU.csdata,"",@progbits
; Kernel info:
; codeLenInByte = 0
; TotalNumSgprs: 0
; NumVgprs: 0
; ScratchSize: 0
; MemoryBound: 0
; FloatMode: 240
; IeeeMode: 1
; LDSByteSize: 0 bytes/workgroup (compile time only)
; SGPRBlocks: 0
; VGPRBlocks: 0
; NumSGPRsForWavesPerEU: 1
; NumVGPRsForWavesPerEU: 1
; NamedBarCnt: 0
; Occupancy: 16
; WaveLimiterHint : 0
; COMPUTE_PGM_RSRC2:SCRATCH_EN: 0
; COMPUTE_PGM_RSRC2:USER_SGPR: 2
; COMPUTE_PGM_RSRC2:TRAP_HANDLER: 0
; COMPUTE_PGM_RSRC2:TGID_X_EN: 1
; COMPUTE_PGM_RSRC2:TGID_Y_EN: 0
; COMPUTE_PGM_RSRC2:TGID_Z_EN: 0
; COMPUTE_PGM_RSRC2:TIDIG_COMP_CNT: 0
	.section	.text._ZN7rocprim17ROCPRIM_400000_NS6detail17trampoline_kernelINS0_14default_configENS1_35radix_sort_onesweep_config_selectorIjNS0_10empty_typeEEEZZNS1_29radix_sort_onesweep_iterationIS3_Lb1EPKjPjPS5_SB_mNS0_19identity_decomposerENS1_16block_id_wrapperIjLb0EEEEE10hipError_tT1_PNSt15iterator_traitsISG_E10value_typeET2_T3_PNSH_ISM_E10value_typeET4_T5_PSR_SS_PNS1_23onesweep_lookback_stateEbbT6_jjT7_P12ihipStream_tbENKUlT_T0_SG_SL_E_clIS9_SA_SB_SB_EEDaSZ_S10_SG_SL_EUlSZ_E_NS1_11comp_targetILNS1_3genE0ELNS1_11target_archE4294967295ELNS1_3gpuE0ELNS1_3repE0EEENS1_47radix_sort_onesweep_sort_config_static_selectorELNS0_4arch9wavefront6targetE0EEEvSG_,"axG",@progbits,_ZN7rocprim17ROCPRIM_400000_NS6detail17trampoline_kernelINS0_14default_configENS1_35radix_sort_onesweep_config_selectorIjNS0_10empty_typeEEEZZNS1_29radix_sort_onesweep_iterationIS3_Lb1EPKjPjPS5_SB_mNS0_19identity_decomposerENS1_16block_id_wrapperIjLb0EEEEE10hipError_tT1_PNSt15iterator_traitsISG_E10value_typeET2_T3_PNSH_ISM_E10value_typeET4_T5_PSR_SS_PNS1_23onesweep_lookback_stateEbbT6_jjT7_P12ihipStream_tbENKUlT_T0_SG_SL_E_clIS9_SA_SB_SB_EEDaSZ_S10_SG_SL_EUlSZ_E_NS1_11comp_targetILNS1_3genE0ELNS1_11target_archE4294967295ELNS1_3gpuE0ELNS1_3repE0EEENS1_47radix_sort_onesweep_sort_config_static_selectorELNS0_4arch9wavefront6targetE0EEEvSG_,comdat
	.protected	_ZN7rocprim17ROCPRIM_400000_NS6detail17trampoline_kernelINS0_14default_configENS1_35radix_sort_onesweep_config_selectorIjNS0_10empty_typeEEEZZNS1_29radix_sort_onesweep_iterationIS3_Lb1EPKjPjPS5_SB_mNS0_19identity_decomposerENS1_16block_id_wrapperIjLb0EEEEE10hipError_tT1_PNSt15iterator_traitsISG_E10value_typeET2_T3_PNSH_ISM_E10value_typeET4_T5_PSR_SS_PNS1_23onesweep_lookback_stateEbbT6_jjT7_P12ihipStream_tbENKUlT_T0_SG_SL_E_clIS9_SA_SB_SB_EEDaSZ_S10_SG_SL_EUlSZ_E_NS1_11comp_targetILNS1_3genE0ELNS1_11target_archE4294967295ELNS1_3gpuE0ELNS1_3repE0EEENS1_47radix_sort_onesweep_sort_config_static_selectorELNS0_4arch9wavefront6targetE0EEEvSG_ ; -- Begin function _ZN7rocprim17ROCPRIM_400000_NS6detail17trampoline_kernelINS0_14default_configENS1_35radix_sort_onesweep_config_selectorIjNS0_10empty_typeEEEZZNS1_29radix_sort_onesweep_iterationIS3_Lb1EPKjPjPS5_SB_mNS0_19identity_decomposerENS1_16block_id_wrapperIjLb0EEEEE10hipError_tT1_PNSt15iterator_traitsISG_E10value_typeET2_T3_PNSH_ISM_E10value_typeET4_T5_PSR_SS_PNS1_23onesweep_lookback_stateEbbT6_jjT7_P12ihipStream_tbENKUlT_T0_SG_SL_E_clIS9_SA_SB_SB_EEDaSZ_S10_SG_SL_EUlSZ_E_NS1_11comp_targetILNS1_3genE0ELNS1_11target_archE4294967295ELNS1_3gpuE0ELNS1_3repE0EEENS1_47radix_sort_onesweep_sort_config_static_selectorELNS0_4arch9wavefront6targetE0EEEvSG_
	.globl	_ZN7rocprim17ROCPRIM_400000_NS6detail17trampoline_kernelINS0_14default_configENS1_35radix_sort_onesweep_config_selectorIjNS0_10empty_typeEEEZZNS1_29radix_sort_onesweep_iterationIS3_Lb1EPKjPjPS5_SB_mNS0_19identity_decomposerENS1_16block_id_wrapperIjLb0EEEEE10hipError_tT1_PNSt15iterator_traitsISG_E10value_typeET2_T3_PNSH_ISM_E10value_typeET4_T5_PSR_SS_PNS1_23onesweep_lookback_stateEbbT6_jjT7_P12ihipStream_tbENKUlT_T0_SG_SL_E_clIS9_SA_SB_SB_EEDaSZ_S10_SG_SL_EUlSZ_E_NS1_11comp_targetILNS1_3genE0ELNS1_11target_archE4294967295ELNS1_3gpuE0ELNS1_3repE0EEENS1_47radix_sort_onesweep_sort_config_static_selectorELNS0_4arch9wavefront6targetE0EEEvSG_
	.p2align	8
	.type	_ZN7rocprim17ROCPRIM_400000_NS6detail17trampoline_kernelINS0_14default_configENS1_35radix_sort_onesweep_config_selectorIjNS0_10empty_typeEEEZZNS1_29radix_sort_onesweep_iterationIS3_Lb1EPKjPjPS5_SB_mNS0_19identity_decomposerENS1_16block_id_wrapperIjLb0EEEEE10hipError_tT1_PNSt15iterator_traitsISG_E10value_typeET2_T3_PNSH_ISM_E10value_typeET4_T5_PSR_SS_PNS1_23onesweep_lookback_stateEbbT6_jjT7_P12ihipStream_tbENKUlT_T0_SG_SL_E_clIS9_SA_SB_SB_EEDaSZ_S10_SG_SL_EUlSZ_E_NS1_11comp_targetILNS1_3genE0ELNS1_11target_archE4294967295ELNS1_3gpuE0ELNS1_3repE0EEENS1_47radix_sort_onesweep_sort_config_static_selectorELNS0_4arch9wavefront6targetE0EEEvSG_,@function
_ZN7rocprim17ROCPRIM_400000_NS6detail17trampoline_kernelINS0_14default_configENS1_35radix_sort_onesweep_config_selectorIjNS0_10empty_typeEEEZZNS1_29radix_sort_onesweep_iterationIS3_Lb1EPKjPjPS5_SB_mNS0_19identity_decomposerENS1_16block_id_wrapperIjLb0EEEEE10hipError_tT1_PNSt15iterator_traitsISG_E10value_typeET2_T3_PNSH_ISM_E10value_typeET4_T5_PSR_SS_PNS1_23onesweep_lookback_stateEbbT6_jjT7_P12ihipStream_tbENKUlT_T0_SG_SL_E_clIS9_SA_SB_SB_EEDaSZ_S10_SG_SL_EUlSZ_E_NS1_11comp_targetILNS1_3genE0ELNS1_11target_archE4294967295ELNS1_3gpuE0ELNS1_3repE0EEENS1_47radix_sort_onesweep_sort_config_static_selectorELNS0_4arch9wavefront6targetE0EEEvSG_: ; @_ZN7rocprim17ROCPRIM_400000_NS6detail17trampoline_kernelINS0_14default_configENS1_35radix_sort_onesweep_config_selectorIjNS0_10empty_typeEEEZZNS1_29radix_sort_onesweep_iterationIS3_Lb1EPKjPjPS5_SB_mNS0_19identity_decomposerENS1_16block_id_wrapperIjLb0EEEEE10hipError_tT1_PNSt15iterator_traitsISG_E10value_typeET2_T3_PNSH_ISM_E10value_typeET4_T5_PSR_SS_PNS1_23onesweep_lookback_stateEbbT6_jjT7_P12ihipStream_tbENKUlT_T0_SG_SL_E_clIS9_SA_SB_SB_EEDaSZ_S10_SG_SL_EUlSZ_E_NS1_11comp_targetILNS1_3genE0ELNS1_11target_archE4294967295ELNS1_3gpuE0ELNS1_3repE0EEENS1_47radix_sort_onesweep_sort_config_static_selectorELNS0_4arch9wavefront6targetE0EEEvSG_
; %bb.0:
	s_clause 0x3
	s_load_b96 s[20:22], s[0:1], 0x44
	s_load_b64 s[10:11], s[0:1], 0x38
	s_load_b128 s[16:19], s[0:1], 0x0
	s_load_b128 s[12:15], s[0:1], 0x28
	s_bfe_u32 s2, ttmp6, 0x4000c
	s_and_b32 s3, ttmp6, 15
	s_add_co_i32 s2, s2, 1
	s_getreg_b32 s4, hwreg(HW_REG_IB_STS2, 6, 4)
	s_mul_i32 s5, ttmp9, s2
	v_mbcnt_lo_u32_b32 v16, -1, 0
	s_add_co_i32 s3, s3, s5
	s_cmp_eq_u32 s4, 0
	v_and_b32_e32 v17, 0x1e0, v0
	s_cselect_b32 s9, ttmp9, s3
	s_mov_b32 s25, 0
	s_mov_b32 s2, -1
	s_mul_i32 s24, s9, 0x1800
	s_add_nc_u64 s[26:27], s[0:1], 0x58
	s_wait_kmcnt 0x0
	s_cmp_ge_u32 s9, s22
	s_cbranch_scc0 .LBB2651_90
; %bb.1:
	s_load_b32 s4, s[0:1], 0x20
	v_dual_mov_b32 v3, 0 :: v_dual_lshlrev_b32 v2, 2, v16
	s_lshl_b64 s[2:3], s[24:25], 2
	v_mul_u32_u24_e32 v1, 12, v17
	s_add_nc_u64 s[2:3], s[16:17], s[2:3]
	v_mov_b32_e32 v18, -1
	v_add_nc_u64_e32 v[6:7], s[2:3], v[2:3]
	s_mul_i32 s2, s22, 0xffffe800
	v_dual_lshlrev_b32 v2, 2, v1 :: v_dual_bitop2_b32 v4, v16, v1 bitop3:0x54
	v_mov_b32_e32 v1, -1
	s_delay_alu instid0(VALU_DEP_2)
	v_add_nc_u64_e32 v[2:3], v[6:7], v[2:3]
	s_wait_kmcnt 0x0
	s_add_co_i32 s22, s4, s2
	s_mov_b32 s2, exec_lo
	v_cmpx_gt_u32_e64 s22, v4
	s_cbranch_execz .LBB2651_3
; %bb.2:
	global_load_b32 v5, v[2:3], off
	s_wait_loadcnt 0x0
	v_not_b32_e32 v18, v5
.LBB2651_3:
	s_or_b32 exec_lo, exec_lo, s2
	v_or_b32_e32 v5, 32, v4
	s_mov_b32 s2, exec_lo
	s_delay_alu instid0(VALU_DEP_1)
	v_cmpx_gt_u32_e64 s22, v5
	s_cbranch_execz .LBB2651_5
; %bb.4:
	global_load_b32 v1, v[2:3], off offset:128
	s_wait_loadcnt 0x0
	v_not_b32_e32 v1, v1
.LBB2651_5:
	s_or_b32 exec_lo, exec_lo, s2
	v_dual_mov_b32 v19, -1 :: v_dual_bitop2_b32 v5, 64, v4 bitop3:0x54
	v_mov_b32_e32 v20, -1
	s_mov_b32 s2, exec_lo
	s_delay_alu instid0(VALU_DEP_2)
	v_cmpx_gt_u32_e64 s22, v5
	s_cbranch_execz .LBB2651_7
; %bb.6:
	global_load_b32 v5, v[2:3], off offset:256
	s_wait_loadcnt 0x0
	v_not_b32_e32 v20, v5
.LBB2651_7:
	s_or_b32 exec_lo, exec_lo, s2
	v_or_b32_e32 v5, 0x60, v4
	s_mov_b32 s2, exec_lo
	s_delay_alu instid0(VALU_DEP_1)
	v_cmpx_gt_u32_e64 s22, v5
	s_cbranch_execz .LBB2651_9
; %bb.8:
	global_load_b32 v5, v[2:3], off offset:384
	s_wait_loadcnt 0x0
	v_not_b32_e32 v19, v5
.LBB2651_9:
	s_or_b32 exec_lo, exec_lo, s2
	v_dual_mov_b32 v22, -1 :: v_dual_add_nc_u32 v5, 0x80, v4
	v_mov_b32_e32 v21, -1
	s_mov_b32 s2, exec_lo
	s_delay_alu instid0(VALU_DEP_2)
	v_cmpx_gt_u32_e64 s22, v5
	s_cbranch_execz .LBB2651_11
; %bb.10:
	global_load_b32 v5, v[2:3], off offset:512
	s_wait_loadcnt 0x0
	v_not_b32_e32 v22, v5
.LBB2651_11:
	s_or_b32 exec_lo, exec_lo, s2
	v_add_nc_u32_e32 v5, 0xa0, v4
	s_mov_b32 s2, exec_lo
	s_delay_alu instid0(VALU_DEP_1)
	v_cmpx_gt_u32_e64 s22, v5
	s_cbranch_execz .LBB2651_13
; %bb.12:
	global_load_b32 v5, v[2:3], off offset:640
	s_wait_loadcnt 0x0
	v_not_b32_e32 v21, v5
.LBB2651_13:
	s_or_b32 exec_lo, exec_lo, s2
	v_dual_mov_b32 v24, -1 :: v_dual_add_nc_u32 v5, 0xc0, v4
	v_mov_b32_e32 v23, -1
	s_mov_b32 s2, exec_lo
	s_delay_alu instid0(VALU_DEP_2)
	v_cmpx_gt_u32_e64 s22, v5
	s_cbranch_execz .LBB2651_15
; %bb.14:
	global_load_b32 v5, v[2:3], off offset:768
	s_wait_loadcnt 0x0
	v_not_b32_e32 v24, v5
.LBB2651_15:
	s_or_b32 exec_lo, exec_lo, s2
	v_add_nc_u32_e32 v5, 0xe0, v4
	;; [unrolled: 23-line block ×4, first 2 shown]
	v_and_b32_e32 v27, 0x3ff, v0
	s_mov_b32 s2, exec_lo
	s_delay_alu instid0(VALU_DEP_2)
	v_cmpx_gt_u32_e64 s22, v4
	s_cbranch_execz .LBB2651_25
; %bb.24:
	global_load_b32 v2, v[2:3], off offset:1408
	s_wait_loadcnt 0x0
	v_not_b32_e32 v28, v2
.LBB2651_25:
	s_or_b32 exec_lo, exec_lo, s2
	s_clause 0x1
	s_load_b32 s23, s[0:1], 0x58
	s_load_u16 s4, s[0:1], 0x66
	v_bfe_u32 v2, v0, 10, 10
	v_bfe_u32 v3, v0, 20, 10
	v_lshrrev_b32_e32 v4, s20, v18
	s_mov_b32 s3, 0
	s_wait_kmcnt 0x0
	s_cmp_lt_u32 s9, s23
	v_mad_u32_u24 v2, v3, s4, v2
	s_cselect_b32 s2, 12, 18
	s_lshl_b32 s25, -1, s21
	s_add_nc_u64 s[2:3], s[26:27], s[2:3]
	v_bitop3_b32 v3, v4, 1, s25 bitop3:0x40
	v_bitop3_b32 v4, v4, s25, v4 bitop3:0x30
	s_load_u16 s28, s[2:3], 0x0
	s_wait_xcnt 0x0
	s_delay_alu instid0(VALU_DEP_2) | instskip(NEXT) | instid1(VALU_DEP_1)
	v_add_co_u32 v3, s2, v3, -1
	v_cndmask_b32_e64 v5, 0, 1, s2
	v_dual_lshlrev_b32 v6, 30, v4 :: v_dual_lshlrev_b32 v7, 29, v4
	v_dual_lshlrev_b32 v8, 28, v4 :: v_dual_lshlrev_b32 v9, 27, v4
	s_delay_alu instid0(VALU_DEP_3) | instskip(NEXT) | instid1(VALU_DEP_3)
	v_cmp_ne_u32_e32 vcc_lo, 0, v5
	v_not_b32_e32 v5, v6
	v_dual_lshlrev_b32 v10, 26, v4 :: v_dual_lshlrev_b32 v11, 25, v4
	v_cmp_gt_i32_e64 s2, 0, v6
	v_cmp_gt_i32_e64 s3, 0, v7
	v_not_b32_e32 v6, v7
	v_cmp_gt_i32_e64 s4, 0, v8
	v_not_b32_e32 v7, v8
	v_not_b32_e32 v8, v9
	v_dual_ashrrev_i32 v5, 31, v5 :: v_dual_lshlrev_b32 v12, 24, v4
	v_xor_b32_e32 v3, vcc_lo, v3
	v_cmp_gt_i32_e64 s5, 0, v9
	v_not_b32_e32 v9, v10
	v_dual_ashrrev_i32 v6, 31, v6 :: v_dual_ashrrev_i32 v7, 31, v7
	v_dual_ashrrev_i32 v8, 31, v8 :: v_dual_bitop2_b32 v5, s2, v5 bitop3:0x14
	v_cmp_gt_i32_e64 s6, 0, v10
	v_cmp_gt_i32_e64 s7, 0, v11
	v_not_b32_e32 v10, v11
	v_not_b32_e32 v11, v12
	v_dual_ashrrev_i32 v9, 31, v9 :: v_dual_bitop2_b32 v6, s3, v6 bitop3:0x14
	s_wait_kmcnt 0x0
	v_mad_u32 v2, v2, s28, v27
	v_xor_b32_e32 v7, s4, v7
	v_bitop3_b32 v3, v3, v5, exec_lo bitop3:0x80
	v_cmp_gt_i32_e64 s8, 0, v12
	v_dual_ashrrev_i32 v5, 31, v10 :: v_dual_ashrrev_i32 v10, 31, v11
	v_xor_b32_e32 v8, s5, v8
	v_xor_b32_e32 v9, s6, v9
	v_bitop3_b32 v3, v3, v7, v6 bitop3:0x80
	s_delay_alu instid0(VALU_DEP_4) | instskip(SKIP_2) | instid1(VALU_DEP_4)
	v_dual_mov_b32 v6, 0 :: v_dual_bitop2_b32 v5, s7, v5 bitop3:0x14
	v_lshrrev_b32_e32 v2, 5, v2
	v_xor_b32_e32 v7, s8, v10
	v_bitop3_b32 v3, v3, v9, v8 bitop3:0x80
	v_mul_u32_u24_e32 v12, 36, v27
	s_not_b32 s6, s25
	v_lshlrev_b32_e32 v2, 2, v2
	ds_store_2addr_b32 v12, v6, v6 offset0:16 offset1:17
	ds_store_2addr_b32 v12, v6, v6 offset0:18 offset1:19
	;; [unrolled: 1-line block ×4, first 2 shown]
	v_bitop3_b32 v3, v3, v7, v5 bitop3:0x80
	v_mad_u32 v13, 0x44, v4, v2
	ds_store_b32 v12, v6 offset:96
	s_wait_dscnt 0x0
	s_barrier_signal -1
	v_mbcnt_lo_u32_b32 v7, v3, 0
	v_cmp_ne_u32_e64 s2, 0, v3
	s_barrier_wait -1
	s_delay_alu instid0(VALU_DEP_2) | instskip(SKIP_1) | instid1(SALU_CYCLE_1)
	v_cmp_eq_u32_e32 vcc_lo, 0, v7
	; wave barrier
	s_and_b32 s3, s2, vcc_lo
	s_and_saveexec_b32 s2, s3
; %bb.26:
	v_bcnt_u32_b32 v3, v3, 0
	ds_store_b32 v13, v3 offset:64
; %bb.27:
	s_or_b32 exec_lo, exec_lo, s2
	v_lshrrev_b32_e32 v3, s20, v1
	; wave barrier
	s_delay_alu instid0(VALU_DEP_1) | instskip(NEXT) | instid1(VALU_DEP_1)
	v_and_b32_e32 v4, s6, v3
	v_lshlrev_b32_e32 v6, 30, v4
	v_bitop3_b32 v3, v3, 1, s6 bitop3:0x80
	s_delay_alu instid0(VALU_DEP_1) | instskip(NEXT) | instid1(VALU_DEP_1)
	v_add_co_u32 v3, s2, v3, -1
	v_cndmask_b32_e64 v5, 0, 1, s2
	s_delay_alu instid0(VALU_DEP_4) | instskip(NEXT) | instid1(VALU_DEP_2)
	v_cmp_gt_i32_e64 s2, 0, v6
	v_cmp_ne_u32_e32 vcc_lo, 0, v5
	v_not_b32_e32 v5, v6
	s_delay_alu instid0(VALU_DEP_1) | instskip(SKIP_3) | instid1(VALU_DEP_4)
	v_dual_ashrrev_i32 v5, 31, v5 :: v_dual_lshlrev_b32 v8, 29, v4
	v_dual_lshlrev_b32 v9, 28, v4 :: v_dual_lshlrev_b32 v10, 27, v4
	v_lshlrev_b32_e32 v11, 26, v4
	v_mad_u32 v14, 0x44, v4, v2
	v_cmp_gt_i32_e64 s3, 0, v8
	v_not_b32_e32 v6, v8
	v_not_b32_e32 v8, v9
	v_cmp_gt_i32_e64 s4, 0, v9
	v_xor_b32_e32 v3, vcc_lo, v3
	s_delay_alu instid0(VALU_DEP_4) | instskip(NEXT) | instid1(VALU_DEP_4)
	v_dual_ashrrev_i32 v6, 31, v6 :: v_dual_bitop2_b32 v5, s2, v5 bitop3:0x14
	v_ashrrev_i32_e32 v8, 31, v8
	v_dual_lshlrev_b32 v15, 25, v4 :: v_dual_lshlrev_b32 v4, 24, v4
	v_not_b32_e32 v9, v10
	v_not_b32_e32 v30, v11
	v_xor_b32_e32 v6, s3, v6
	v_xor_b32_e32 v8, s4, v8
	v_bitop3_b32 v3, v3, v5, exec_lo bitop3:0x80
	v_cmp_gt_i32_e32 vcc_lo, 0, v10
	v_ashrrev_i32_e32 v5, 31, v9
	v_cmp_gt_i32_e64 s2, 0, v11
	v_ashrrev_i32_e32 v9, 31, v30
	v_bitop3_b32 v3, v3, v8, v6 bitop3:0x80
	v_not_b32_e32 v6, v15
	v_not_b32_e32 v8, v4
	v_xor_b32_e32 v5, vcc_lo, v5
	v_xor_b32_e32 v9, s2, v9
	v_cmp_gt_i32_e32 vcc_lo, 0, v15
	v_ashrrev_i32_e32 v6, 31, v6
	v_cmp_gt_i32_e64 s2, 0, v4
	v_ashrrev_i32_e32 v4, 31, v8
	v_bitop3_b32 v3, v3, v9, v5 bitop3:0x80
	ds_load_b32 v30, v14 offset:64
	v_xor_b32_e32 v5, vcc_lo, v6
	v_xor_b32_e32 v4, s2, v4
	; wave barrier
	s_delay_alu instid0(VALU_DEP_1) | instskip(NEXT) | instid1(VALU_DEP_1)
	v_bitop3_b32 v3, v3, v4, v5 bitop3:0x80
	v_mbcnt_lo_u32_b32 v31, v3, 0
	v_cmp_ne_u32_e64 s2, 0, v3
	s_delay_alu instid0(VALU_DEP_2) | instskip(SKIP_1) | instid1(SALU_CYCLE_1)
	v_cmp_eq_u32_e32 vcc_lo, 0, v31
	s_and_b32 s3, s2, vcc_lo
	s_and_saveexec_b32 s2, s3
	s_cbranch_execz .LBB2651_29
; %bb.28:
	s_wait_dscnt 0x0
	v_bcnt_u32_b32 v3, v3, v30
	ds_store_b32 v14, v3 offset:64
.LBB2651_29:
	s_or_b32 exec_lo, exec_lo, s2
	v_lshrrev_b32_e32 v3, s20, v20
	; wave barrier
	s_delay_alu instid0(VALU_DEP_1) | instskip(SKIP_1) | instid1(VALU_DEP_2)
	v_and_b32_e32 v4, s6, v3
	v_bitop3_b32 v3, v3, 1, s6 bitop3:0x80
	v_dual_lshlrev_b32 v6, 30, v4 :: v_dual_lshlrev_b32 v8, 29, v4
	s_delay_alu instid0(VALU_DEP_2) | instskip(NEXT) | instid1(VALU_DEP_1)
	v_add_co_u32 v3, s2, v3, -1
	v_cndmask_b32_e64 v5, 0, 1, s2
	s_delay_alu instid0(VALU_DEP_3) | instskip(NEXT) | instid1(VALU_DEP_4)
	v_cmp_gt_i32_e64 s2, 0, v6
	v_cmp_gt_i32_e64 s3, 0, v8
	s_delay_alu instid0(VALU_DEP_3) | instskip(SKIP_2) | instid1(VALU_DEP_2)
	v_cmp_ne_u32_e32 vcc_lo, 0, v5
	v_not_b32_e32 v5, v6
	v_not_b32_e32 v6, v8
	v_dual_ashrrev_i32 v5, 31, v5 :: v_dual_bitop2_b32 v3, vcc_lo, v3 bitop3:0x14
	s_delay_alu instid0(VALU_DEP_2) | instskip(SKIP_3) | instid1(VALU_DEP_4)
	v_dual_ashrrev_i32 v6, 31, v6 :: v_dual_lshlrev_b32 v9, 28, v4
	v_lshlrev_b32_e32 v10, 27, v4
	v_mad_u32 v15, 0x44, v4, v2
	v_dual_lshlrev_b32 v11, 26, v4 :: v_dual_lshlrev_b32 v32, 25, v4
	v_not_b32_e32 v8, v9
	v_lshlrev_b32_e32 v4, 24, v4
	v_cmp_gt_i32_e64 s4, 0, v9
	v_xor_b32_e32 v5, s2, v5
	v_not_b32_e32 v9, v10
	v_ashrrev_i32_e32 v8, 31, v8
	v_not_b32_e32 v33, v11
	v_xor_b32_e32 v6, s3, v6
	v_bitop3_b32 v3, v3, v5, exec_lo bitop3:0x80
	v_cmp_gt_i32_e32 vcc_lo, 0, v10
	v_dual_ashrrev_i32 v5, 31, v9 :: v_dual_bitop2_b32 v8, s4, v8 bitop3:0x14
	v_cmp_gt_i32_e64 s2, 0, v11
	v_ashrrev_i32_e32 v9, 31, v33
	s_delay_alu instid0(VALU_DEP_3)
	v_bitop3_b32 v3, v3, v8, v6 bitop3:0x80
	v_not_b32_e32 v6, v32
	v_not_b32_e32 v8, v4
	v_xor_b32_e32 v5, vcc_lo, v5
	v_xor_b32_e32 v9, s2, v9
	v_cmp_gt_i32_e32 vcc_lo, 0, v32
	v_ashrrev_i32_e32 v6, 31, v6
	v_cmp_gt_i32_e64 s2, 0, v4
	v_ashrrev_i32_e32 v4, 31, v8
	v_bitop3_b32 v3, v3, v9, v5 bitop3:0x80
	ds_load_b32 v32, v15 offset:64
	v_xor_b32_e32 v5, vcc_lo, v6
	v_xor_b32_e32 v4, s2, v4
	; wave barrier
	s_delay_alu instid0(VALU_DEP_1) | instskip(NEXT) | instid1(VALU_DEP_1)
	v_bitop3_b32 v3, v3, v4, v5 bitop3:0x80
	v_mbcnt_lo_u32_b32 v33, v3, 0
	v_cmp_ne_u32_e64 s2, 0, v3
	s_delay_alu instid0(VALU_DEP_2) | instskip(SKIP_1) | instid1(SALU_CYCLE_1)
	v_cmp_eq_u32_e32 vcc_lo, 0, v33
	s_and_b32 s3, s2, vcc_lo
	s_and_saveexec_b32 s2, s3
	s_cbranch_execz .LBB2651_31
; %bb.30:
	s_wait_dscnt 0x0
	v_bcnt_u32_b32 v3, v3, v32
	ds_store_b32 v15, v3 offset:64
.LBB2651_31:
	s_or_b32 exec_lo, exec_lo, s2
	v_lshrrev_b32_e32 v3, s20, v19
	; wave barrier
	s_delay_alu instid0(VALU_DEP_1) | instskip(NEXT) | instid1(VALU_DEP_1)
	v_and_b32_e32 v4, s6, v3
	v_lshlrev_b32_e32 v6, 30, v4
	v_bitop3_b32 v3, v3, 1, s6 bitop3:0x80
	s_delay_alu instid0(VALU_DEP_1) | instskip(NEXT) | instid1(VALU_DEP_1)
	v_add_co_u32 v3, s2, v3, -1
	v_cndmask_b32_e64 v5, 0, 1, s2
	s_delay_alu instid0(VALU_DEP_4) | instskip(NEXT) | instid1(VALU_DEP_2)
	v_cmp_gt_i32_e64 s2, 0, v6
	v_cmp_ne_u32_e32 vcc_lo, 0, v5
	v_not_b32_e32 v5, v6
	s_delay_alu instid0(VALU_DEP_1) | instskip(SKIP_3) | instid1(VALU_DEP_4)
	v_dual_ashrrev_i32 v5, 31, v5 :: v_dual_lshlrev_b32 v8, 29, v4
	v_dual_lshlrev_b32 v9, 28, v4 :: v_dual_lshlrev_b32 v10, 27, v4
	v_lshlrev_b32_e32 v11, 26, v4
	v_mad_u32 v38, 0x44, v4, v2
	v_cmp_gt_i32_e64 s3, 0, v8
	v_not_b32_e32 v6, v8
	v_not_b32_e32 v8, v9
	v_cmp_gt_i32_e64 s4, 0, v9
	v_xor_b32_e32 v3, vcc_lo, v3
	s_delay_alu instid0(VALU_DEP_4) | instskip(NEXT) | instid1(VALU_DEP_4)
	v_dual_ashrrev_i32 v6, 31, v6 :: v_dual_bitop2_b32 v5, s2, v5 bitop3:0x14
	v_ashrrev_i32_e32 v8, 31, v8
	v_dual_lshlrev_b32 v34, 25, v4 :: v_dual_lshlrev_b32 v4, 24, v4
	v_not_b32_e32 v9, v10
	v_not_b32_e32 v35, v11
	v_xor_b32_e32 v6, s3, v6
	v_xor_b32_e32 v8, s4, v8
	v_bitop3_b32 v3, v3, v5, exec_lo bitop3:0x80
	v_cmp_gt_i32_e32 vcc_lo, 0, v10
	v_ashrrev_i32_e32 v5, 31, v9
	v_cmp_gt_i32_e64 s2, 0, v11
	v_ashrrev_i32_e32 v9, 31, v35
	v_bitop3_b32 v3, v3, v8, v6 bitop3:0x80
	v_not_b32_e32 v6, v34
	v_not_b32_e32 v8, v4
	v_xor_b32_e32 v5, vcc_lo, v5
	v_xor_b32_e32 v9, s2, v9
	v_cmp_gt_i32_e32 vcc_lo, 0, v34
	v_ashrrev_i32_e32 v6, 31, v6
	v_cmp_gt_i32_e64 s2, 0, v4
	v_ashrrev_i32_e32 v4, 31, v8
	v_bitop3_b32 v3, v3, v9, v5 bitop3:0x80
	ds_load_b32 v34, v38 offset:64
	v_xor_b32_e32 v5, vcc_lo, v6
	v_xor_b32_e32 v4, s2, v4
	; wave barrier
	s_delay_alu instid0(VALU_DEP_1) | instskip(NEXT) | instid1(VALU_DEP_1)
	v_bitop3_b32 v3, v3, v4, v5 bitop3:0x80
	v_mbcnt_lo_u32_b32 v35, v3, 0
	v_cmp_ne_u32_e64 s2, 0, v3
	s_delay_alu instid0(VALU_DEP_2) | instskip(SKIP_1) | instid1(SALU_CYCLE_1)
	v_cmp_eq_u32_e32 vcc_lo, 0, v35
	s_and_b32 s3, s2, vcc_lo
	s_and_saveexec_b32 s2, s3
	s_cbranch_execz .LBB2651_33
; %bb.32:
	s_wait_dscnt 0x0
	v_bcnt_u32_b32 v3, v3, v34
	ds_store_b32 v38, v3 offset:64
.LBB2651_33:
	s_or_b32 exec_lo, exec_lo, s2
	v_lshrrev_b32_e32 v3, s20, v22
	; wave barrier
	s_delay_alu instid0(VALU_DEP_1) | instskip(NEXT) | instid1(VALU_DEP_1)
	v_and_b32_e32 v4, s6, v3
	v_lshlrev_b32_e32 v6, 30, v4
	v_bitop3_b32 v3, v3, 1, s6 bitop3:0x80
	s_delay_alu instid0(VALU_DEP_1) | instskip(NEXT) | instid1(VALU_DEP_1)
	v_add_co_u32 v3, s2, v3, -1
	v_cndmask_b32_e64 v5, 0, 1, s2
	s_delay_alu instid0(VALU_DEP_4) | instskip(NEXT) | instid1(VALU_DEP_2)
	v_cmp_gt_i32_e64 s2, 0, v6
	v_cmp_ne_u32_e32 vcc_lo, 0, v5
	v_not_b32_e32 v5, v6
	s_delay_alu instid0(VALU_DEP_1) | instskip(SKIP_3) | instid1(VALU_DEP_4)
	v_dual_ashrrev_i32 v5, 31, v5 :: v_dual_lshlrev_b32 v8, 29, v4
	v_dual_lshlrev_b32 v9, 28, v4 :: v_dual_lshlrev_b32 v10, 27, v4
	v_lshlrev_b32_e32 v11, 26, v4
	v_mad_u32 v41, 0x44, v4, v2
	v_cmp_gt_i32_e64 s3, 0, v8
	v_not_b32_e32 v6, v8
	v_not_b32_e32 v8, v9
	v_cmp_gt_i32_e64 s4, 0, v9
	v_xor_b32_e32 v3, vcc_lo, v3
	s_delay_alu instid0(VALU_DEP_4) | instskip(NEXT) | instid1(VALU_DEP_4)
	v_dual_ashrrev_i32 v6, 31, v6 :: v_dual_bitop2_b32 v5, s2, v5 bitop3:0x14
	v_ashrrev_i32_e32 v8, 31, v8
	v_dual_lshlrev_b32 v36, 25, v4 :: v_dual_lshlrev_b32 v4, 24, v4
	v_not_b32_e32 v9, v10
	v_not_b32_e32 v37, v11
	v_xor_b32_e32 v6, s3, v6
	v_xor_b32_e32 v8, s4, v8
	v_bitop3_b32 v3, v3, v5, exec_lo bitop3:0x80
	v_cmp_gt_i32_e32 vcc_lo, 0, v10
	v_ashrrev_i32_e32 v5, 31, v9
	v_cmp_gt_i32_e64 s2, 0, v11
	v_ashrrev_i32_e32 v9, 31, v37
	v_bitop3_b32 v3, v3, v8, v6 bitop3:0x80
	v_not_b32_e32 v6, v36
	v_not_b32_e32 v8, v4
	v_xor_b32_e32 v5, vcc_lo, v5
	v_xor_b32_e32 v9, s2, v9
	v_cmp_gt_i32_e32 vcc_lo, 0, v36
	v_ashrrev_i32_e32 v6, 31, v6
	v_cmp_gt_i32_e64 s2, 0, v4
	v_ashrrev_i32_e32 v4, 31, v8
	v_bitop3_b32 v3, v3, v9, v5 bitop3:0x80
	ds_load_b32 v36, v41 offset:64
	v_xor_b32_e32 v5, vcc_lo, v6
	v_xor_b32_e32 v4, s2, v4
	; wave barrier
	s_delay_alu instid0(VALU_DEP_1) | instskip(NEXT) | instid1(VALU_DEP_1)
	v_bitop3_b32 v3, v3, v4, v5 bitop3:0x80
	v_mbcnt_lo_u32_b32 v37, v3, 0
	v_cmp_ne_u32_e64 s2, 0, v3
	s_delay_alu instid0(VALU_DEP_2) | instskip(SKIP_1) | instid1(SALU_CYCLE_1)
	v_cmp_eq_u32_e32 vcc_lo, 0, v37
	s_and_b32 s3, s2, vcc_lo
	s_and_saveexec_b32 s2, s3
	s_cbranch_execz .LBB2651_35
; %bb.34:
	s_wait_dscnt 0x0
	v_bcnt_u32_b32 v3, v3, v36
	ds_store_b32 v41, v3 offset:64
.LBB2651_35:
	s_or_b32 exec_lo, exec_lo, s2
	v_lshrrev_b32_e32 v3, s20, v21
	; wave barrier
	s_delay_alu instid0(VALU_DEP_1) | instskip(NEXT) | instid1(VALU_DEP_1)
	v_and_b32_e32 v4, s6, v3
	v_lshlrev_b32_e32 v6, 30, v4
	v_bitop3_b32 v3, v3, 1, s6 bitop3:0x80
	s_delay_alu instid0(VALU_DEP_1) | instskip(NEXT) | instid1(VALU_DEP_1)
	v_add_co_u32 v3, s2, v3, -1
	v_cndmask_b32_e64 v5, 0, 1, s2
	s_delay_alu instid0(VALU_DEP_4) | instskip(NEXT) | instid1(VALU_DEP_2)
	v_cmp_gt_i32_e64 s2, 0, v6
	v_cmp_ne_u32_e32 vcc_lo, 0, v5
	v_not_b32_e32 v5, v6
	s_delay_alu instid0(VALU_DEP_1) | instskip(SKIP_3) | instid1(VALU_DEP_4)
	v_dual_ashrrev_i32 v5, 31, v5 :: v_dual_lshlrev_b32 v8, 29, v4
	v_dual_lshlrev_b32 v9, 28, v4 :: v_dual_lshlrev_b32 v10, 27, v4
	v_lshlrev_b32_e32 v11, 26, v4
	v_mad_u32 v44, 0x44, v4, v2
	v_cmp_gt_i32_e64 s3, 0, v8
	v_not_b32_e32 v6, v8
	v_not_b32_e32 v8, v9
	v_cmp_gt_i32_e64 s4, 0, v9
	v_xor_b32_e32 v3, vcc_lo, v3
	s_delay_alu instid0(VALU_DEP_4) | instskip(NEXT) | instid1(VALU_DEP_4)
	v_dual_ashrrev_i32 v6, 31, v6 :: v_dual_bitop2_b32 v5, s2, v5 bitop3:0x14
	v_ashrrev_i32_e32 v8, 31, v8
	v_dual_lshlrev_b32 v39, 25, v4 :: v_dual_lshlrev_b32 v4, 24, v4
	v_not_b32_e32 v9, v10
	v_not_b32_e32 v40, v11
	v_xor_b32_e32 v6, s3, v6
	v_xor_b32_e32 v8, s4, v8
	v_bitop3_b32 v3, v3, v5, exec_lo bitop3:0x80
	v_cmp_gt_i32_e32 vcc_lo, 0, v10
	v_ashrrev_i32_e32 v5, 31, v9
	v_cmp_gt_i32_e64 s2, 0, v11
	v_ashrrev_i32_e32 v9, 31, v40
	v_bitop3_b32 v3, v3, v8, v6 bitop3:0x80
	v_not_b32_e32 v6, v39
	v_not_b32_e32 v8, v4
	v_xor_b32_e32 v5, vcc_lo, v5
	v_xor_b32_e32 v9, s2, v9
	v_cmp_gt_i32_e32 vcc_lo, 0, v39
	v_ashrrev_i32_e32 v6, 31, v6
	v_cmp_gt_i32_e64 s2, 0, v4
	v_ashrrev_i32_e32 v4, 31, v8
	v_bitop3_b32 v3, v3, v9, v5 bitop3:0x80
	ds_load_b32 v39, v44 offset:64
	v_xor_b32_e32 v5, vcc_lo, v6
	v_xor_b32_e32 v4, s2, v4
	; wave barrier
	s_delay_alu instid0(VALU_DEP_1) | instskip(NEXT) | instid1(VALU_DEP_1)
	v_bitop3_b32 v3, v3, v4, v5 bitop3:0x80
	v_mbcnt_lo_u32_b32 v40, v3, 0
	v_cmp_ne_u32_e64 s2, 0, v3
	s_delay_alu instid0(VALU_DEP_2) | instskip(SKIP_1) | instid1(SALU_CYCLE_1)
	v_cmp_eq_u32_e32 vcc_lo, 0, v40
	s_and_b32 s3, s2, vcc_lo
	s_and_saveexec_b32 s2, s3
	s_cbranch_execz .LBB2651_37
; %bb.36:
	s_wait_dscnt 0x0
	v_bcnt_u32_b32 v3, v3, v39
	ds_store_b32 v44, v3 offset:64
.LBB2651_37:
	s_or_b32 exec_lo, exec_lo, s2
	v_lshrrev_b32_e32 v3, s20, v24
	; wave barrier
	s_delay_alu instid0(VALU_DEP_1) | instskip(SKIP_1) | instid1(VALU_DEP_2)
	v_and_b32_e32 v4, s6, v3
	v_bitop3_b32 v3, v3, 1, s6 bitop3:0x80
	v_dual_lshlrev_b32 v6, 30, v4 :: v_dual_lshlrev_b32 v8, 29, v4
	s_delay_alu instid0(VALU_DEP_2) | instskip(NEXT) | instid1(VALU_DEP_1)
	v_add_co_u32 v3, s2, v3, -1
	v_cndmask_b32_e64 v5, 0, 1, s2
	s_delay_alu instid0(VALU_DEP_3) | instskip(NEXT) | instid1(VALU_DEP_4)
	v_cmp_gt_i32_e64 s2, 0, v6
	v_cmp_gt_i32_e64 s3, 0, v8
	s_delay_alu instid0(VALU_DEP_3) | instskip(SKIP_2) | instid1(VALU_DEP_2)
	v_cmp_ne_u32_e32 vcc_lo, 0, v5
	v_not_b32_e32 v5, v6
	v_not_b32_e32 v6, v8
	v_dual_ashrrev_i32 v5, 31, v5 :: v_dual_bitop2_b32 v3, vcc_lo, v3 bitop3:0x14
	s_delay_alu instid0(VALU_DEP_2) | instskip(SKIP_3) | instid1(VALU_DEP_4)
	v_dual_ashrrev_i32 v6, 31, v6 :: v_dual_lshlrev_b32 v9, 28, v4
	v_lshlrev_b32_e32 v10, 27, v4
	v_mad_u32 v47, 0x44, v4, v2
	v_dual_lshlrev_b32 v11, 26, v4 :: v_dual_lshlrev_b32 v42, 25, v4
	v_not_b32_e32 v8, v9
	v_lshlrev_b32_e32 v4, 24, v4
	v_cmp_gt_i32_e64 s4, 0, v9
	v_xor_b32_e32 v5, s2, v5
	v_not_b32_e32 v9, v10
	v_ashrrev_i32_e32 v8, 31, v8
	v_not_b32_e32 v43, v11
	v_xor_b32_e32 v6, s3, v6
	v_bitop3_b32 v3, v3, v5, exec_lo bitop3:0x80
	v_cmp_gt_i32_e32 vcc_lo, 0, v10
	v_dual_ashrrev_i32 v5, 31, v9 :: v_dual_bitop2_b32 v8, s4, v8 bitop3:0x14
	v_cmp_gt_i32_e64 s2, 0, v11
	v_ashrrev_i32_e32 v9, 31, v43
	s_delay_alu instid0(VALU_DEP_3)
	v_bitop3_b32 v3, v3, v8, v6 bitop3:0x80
	v_not_b32_e32 v6, v42
	v_not_b32_e32 v8, v4
	v_xor_b32_e32 v5, vcc_lo, v5
	v_xor_b32_e32 v9, s2, v9
	v_cmp_gt_i32_e32 vcc_lo, 0, v42
	v_ashrrev_i32_e32 v6, 31, v6
	v_cmp_gt_i32_e64 s2, 0, v4
	v_ashrrev_i32_e32 v4, 31, v8
	v_bitop3_b32 v3, v3, v9, v5 bitop3:0x80
	ds_load_b32 v42, v47 offset:64
	v_xor_b32_e32 v5, vcc_lo, v6
	v_xor_b32_e32 v4, s2, v4
	; wave barrier
	s_delay_alu instid0(VALU_DEP_1) | instskip(NEXT) | instid1(VALU_DEP_1)
	v_bitop3_b32 v3, v3, v4, v5 bitop3:0x80
	v_mbcnt_lo_u32_b32 v43, v3, 0
	v_cmp_ne_u32_e64 s2, 0, v3
	s_delay_alu instid0(VALU_DEP_2) | instskip(SKIP_1) | instid1(SALU_CYCLE_1)
	v_cmp_eq_u32_e32 vcc_lo, 0, v43
	s_and_b32 s3, s2, vcc_lo
	s_and_saveexec_b32 s2, s3
	s_cbranch_execz .LBB2651_39
; %bb.38:
	s_wait_dscnt 0x0
	v_bcnt_u32_b32 v3, v3, v42
	ds_store_b32 v47, v3 offset:64
.LBB2651_39:
	s_or_b32 exec_lo, exec_lo, s2
	v_lshrrev_b32_e32 v3, s20, v23
	; wave barrier
	s_delay_alu instid0(VALU_DEP_1) | instskip(NEXT) | instid1(VALU_DEP_1)
	v_and_b32_e32 v4, s6, v3
	v_lshlrev_b32_e32 v6, 30, v4
	v_bitop3_b32 v3, v3, 1, s6 bitop3:0x80
	s_delay_alu instid0(VALU_DEP_1) | instskip(NEXT) | instid1(VALU_DEP_1)
	v_add_co_u32 v3, s2, v3, -1
	v_cndmask_b32_e64 v5, 0, 1, s2
	s_delay_alu instid0(VALU_DEP_4) | instskip(NEXT) | instid1(VALU_DEP_2)
	v_cmp_gt_i32_e64 s2, 0, v6
	v_cmp_ne_u32_e32 vcc_lo, 0, v5
	v_not_b32_e32 v5, v6
	s_delay_alu instid0(VALU_DEP_1) | instskip(SKIP_3) | instid1(VALU_DEP_4)
	v_dual_ashrrev_i32 v5, 31, v5 :: v_dual_lshlrev_b32 v8, 29, v4
	v_dual_lshlrev_b32 v9, 28, v4 :: v_dual_lshlrev_b32 v10, 27, v4
	v_lshlrev_b32_e32 v11, 26, v4
	v_mad_u32 v50, 0x44, v4, v2
	v_cmp_gt_i32_e64 s3, 0, v8
	v_not_b32_e32 v6, v8
	v_not_b32_e32 v8, v9
	v_cmp_gt_i32_e64 s4, 0, v9
	v_xor_b32_e32 v3, vcc_lo, v3
	s_delay_alu instid0(VALU_DEP_4) | instskip(NEXT) | instid1(VALU_DEP_4)
	v_dual_ashrrev_i32 v6, 31, v6 :: v_dual_bitop2_b32 v5, s2, v5 bitop3:0x14
	v_ashrrev_i32_e32 v8, 31, v8
	v_dual_lshlrev_b32 v45, 25, v4 :: v_dual_lshlrev_b32 v4, 24, v4
	v_not_b32_e32 v9, v10
	v_not_b32_e32 v46, v11
	v_xor_b32_e32 v6, s3, v6
	v_xor_b32_e32 v8, s4, v8
	v_bitop3_b32 v3, v3, v5, exec_lo bitop3:0x80
	v_cmp_gt_i32_e32 vcc_lo, 0, v10
	v_ashrrev_i32_e32 v5, 31, v9
	v_cmp_gt_i32_e64 s2, 0, v11
	v_ashrrev_i32_e32 v9, 31, v46
	v_bitop3_b32 v3, v3, v8, v6 bitop3:0x80
	v_not_b32_e32 v6, v45
	v_not_b32_e32 v8, v4
	v_xor_b32_e32 v5, vcc_lo, v5
	v_xor_b32_e32 v9, s2, v9
	v_cmp_gt_i32_e32 vcc_lo, 0, v45
	v_ashrrev_i32_e32 v6, 31, v6
	v_cmp_gt_i32_e64 s2, 0, v4
	v_ashrrev_i32_e32 v4, 31, v8
	v_bitop3_b32 v3, v3, v9, v5 bitop3:0x80
	ds_load_b32 v45, v50 offset:64
	v_xor_b32_e32 v5, vcc_lo, v6
	v_xor_b32_e32 v4, s2, v4
	; wave barrier
	s_delay_alu instid0(VALU_DEP_1) | instskip(NEXT) | instid1(VALU_DEP_1)
	v_bitop3_b32 v3, v3, v4, v5 bitop3:0x80
	v_mbcnt_lo_u32_b32 v46, v3, 0
	v_cmp_ne_u32_e64 s2, 0, v3
	s_delay_alu instid0(VALU_DEP_2) | instskip(SKIP_1) | instid1(SALU_CYCLE_1)
	v_cmp_eq_u32_e32 vcc_lo, 0, v46
	s_and_b32 s3, s2, vcc_lo
	s_and_saveexec_b32 s2, s3
	s_cbranch_execz .LBB2651_41
; %bb.40:
	s_wait_dscnt 0x0
	v_bcnt_u32_b32 v3, v3, v45
	ds_store_b32 v50, v3 offset:64
.LBB2651_41:
	s_or_b32 exec_lo, exec_lo, s2
	v_lshrrev_b32_e32 v3, s20, v26
	; wave barrier
	s_delay_alu instid0(VALU_DEP_1) | instskip(NEXT) | instid1(VALU_DEP_1)
	v_and_b32_e32 v4, s6, v3
	v_lshlrev_b32_e32 v6, 30, v4
	v_bitop3_b32 v3, v3, 1, s6 bitop3:0x80
	s_delay_alu instid0(VALU_DEP_1) | instskip(NEXT) | instid1(VALU_DEP_1)
	v_add_co_u32 v3, s2, v3, -1
	v_cndmask_b32_e64 v5, 0, 1, s2
	s_delay_alu instid0(VALU_DEP_4) | instskip(NEXT) | instid1(VALU_DEP_2)
	v_cmp_gt_i32_e64 s2, 0, v6
	v_cmp_ne_u32_e32 vcc_lo, 0, v5
	v_not_b32_e32 v5, v6
	s_delay_alu instid0(VALU_DEP_1) | instskip(SKIP_3) | instid1(VALU_DEP_4)
	v_dual_ashrrev_i32 v5, 31, v5 :: v_dual_lshlrev_b32 v8, 29, v4
	v_dual_lshlrev_b32 v9, 28, v4 :: v_dual_lshlrev_b32 v10, 27, v4
	v_lshlrev_b32_e32 v11, 26, v4
	v_mad_u32 v52, 0x44, v4, v2
	v_cmp_gt_i32_e64 s3, 0, v8
	v_not_b32_e32 v6, v8
	v_not_b32_e32 v8, v9
	v_cmp_gt_i32_e64 s4, 0, v9
	v_xor_b32_e32 v3, vcc_lo, v3
	s_delay_alu instid0(VALU_DEP_4) | instskip(NEXT) | instid1(VALU_DEP_4)
	v_dual_ashrrev_i32 v6, 31, v6 :: v_dual_bitop2_b32 v5, s2, v5 bitop3:0x14
	v_ashrrev_i32_e32 v8, 31, v8
	v_dual_lshlrev_b32 v48, 25, v4 :: v_dual_lshlrev_b32 v4, 24, v4
	v_not_b32_e32 v9, v10
	v_not_b32_e32 v49, v11
	v_xor_b32_e32 v6, s3, v6
	v_xor_b32_e32 v8, s4, v8
	v_bitop3_b32 v3, v3, v5, exec_lo bitop3:0x80
	v_cmp_gt_i32_e32 vcc_lo, 0, v10
	v_ashrrev_i32_e32 v5, 31, v9
	v_cmp_gt_i32_e64 s2, 0, v11
	v_ashrrev_i32_e32 v9, 31, v49
	v_bitop3_b32 v3, v3, v8, v6 bitop3:0x80
	v_not_b32_e32 v6, v48
	v_not_b32_e32 v8, v4
	v_xor_b32_e32 v5, vcc_lo, v5
	v_xor_b32_e32 v9, s2, v9
	v_cmp_gt_i32_e32 vcc_lo, 0, v48
	v_ashrrev_i32_e32 v6, 31, v6
	v_cmp_gt_i32_e64 s2, 0, v4
	v_ashrrev_i32_e32 v4, 31, v8
	v_bitop3_b32 v3, v3, v9, v5 bitop3:0x80
	ds_load_b32 v48, v52 offset:64
	v_xor_b32_e32 v5, vcc_lo, v6
	v_xor_b32_e32 v4, s2, v4
	; wave barrier
	s_delay_alu instid0(VALU_DEP_1) | instskip(NEXT) | instid1(VALU_DEP_1)
	v_bitop3_b32 v3, v3, v4, v5 bitop3:0x80
	v_mbcnt_lo_u32_b32 v49, v3, 0
	v_cmp_ne_u32_e64 s2, 0, v3
	s_delay_alu instid0(VALU_DEP_2) | instskip(SKIP_1) | instid1(SALU_CYCLE_1)
	v_cmp_eq_u32_e32 vcc_lo, 0, v49
	s_and_b32 s3, s2, vcc_lo
	s_and_saveexec_b32 s2, s3
	s_cbranch_execz .LBB2651_43
; %bb.42:
	s_wait_dscnt 0x0
	v_bcnt_u32_b32 v3, v3, v48
	ds_store_b32 v52, v3 offset:64
.LBB2651_43:
	s_or_b32 exec_lo, exec_lo, s2
	v_lshrrev_b32_e32 v3, s20, v25
	; wave barrier
	s_delay_alu instid0(VALU_DEP_1) | instskip(NEXT) | instid1(VALU_DEP_1)
	v_and_b32_e32 v4, s6, v3
	v_lshlrev_b32_e32 v6, 30, v4
	v_bitop3_b32 v3, v3, 1, s6 bitop3:0x80
	s_delay_alu instid0(VALU_DEP_1) | instskip(NEXT) | instid1(VALU_DEP_1)
	v_add_co_u32 v3, s2, v3, -1
	v_cndmask_b32_e64 v5, 0, 1, s2
	s_delay_alu instid0(VALU_DEP_4) | instskip(NEXT) | instid1(VALU_DEP_2)
	v_cmp_gt_i32_e64 s2, 0, v6
	v_cmp_ne_u32_e32 vcc_lo, 0, v5
	v_not_b32_e32 v5, v6
	s_delay_alu instid0(VALU_DEP_1) | instskip(SKIP_3) | instid1(VALU_DEP_4)
	v_dual_ashrrev_i32 v5, 31, v5 :: v_dual_lshlrev_b32 v8, 29, v4
	v_dual_lshlrev_b32 v9, 28, v4 :: v_dual_lshlrev_b32 v10, 27, v4
	v_lshlrev_b32_e32 v11, 26, v4
	v_mad_u32 v55, 0x44, v4, v2
	v_cmp_gt_i32_e64 s3, 0, v8
	v_not_b32_e32 v6, v8
	v_not_b32_e32 v8, v9
	v_cmp_gt_i32_e64 s4, 0, v9
	v_xor_b32_e32 v3, vcc_lo, v3
	s_delay_alu instid0(VALU_DEP_4) | instskip(NEXT) | instid1(VALU_DEP_4)
	v_dual_ashrrev_i32 v6, 31, v6 :: v_dual_bitop2_b32 v5, s2, v5 bitop3:0x14
	v_ashrrev_i32_e32 v8, 31, v8
	v_dual_lshlrev_b32 v51, 25, v4 :: v_dual_lshlrev_b32 v4, 24, v4
	v_not_b32_e32 v9, v10
	v_not_b32_e32 v53, v11
	v_xor_b32_e32 v6, s3, v6
	v_xor_b32_e32 v8, s4, v8
	v_bitop3_b32 v3, v3, v5, exec_lo bitop3:0x80
	v_cmp_gt_i32_e32 vcc_lo, 0, v10
	v_ashrrev_i32_e32 v5, 31, v9
	v_cmp_gt_i32_e64 s2, 0, v11
	v_ashrrev_i32_e32 v9, 31, v53
	v_bitop3_b32 v3, v3, v8, v6 bitop3:0x80
	v_not_b32_e32 v6, v51
	v_not_b32_e32 v8, v4
	v_xor_b32_e32 v5, vcc_lo, v5
	v_xor_b32_e32 v9, s2, v9
	v_cmp_gt_i32_e32 vcc_lo, 0, v51
	v_ashrrev_i32_e32 v6, 31, v6
	v_cmp_gt_i32_e64 s2, 0, v4
	v_ashrrev_i32_e32 v4, 31, v8
	v_bitop3_b32 v3, v3, v9, v5 bitop3:0x80
	ds_load_b32 v51, v55 offset:64
	v_xor_b32_e32 v5, vcc_lo, v6
	v_xor_b32_e32 v4, s2, v4
	; wave barrier
	s_delay_alu instid0(VALU_DEP_1) | instskip(NEXT) | instid1(VALU_DEP_1)
	v_bitop3_b32 v3, v3, v4, v5 bitop3:0x80
	v_mbcnt_lo_u32_b32 v53, v3, 0
	v_cmp_ne_u32_e64 s2, 0, v3
	s_delay_alu instid0(VALU_DEP_2) | instskip(SKIP_1) | instid1(SALU_CYCLE_1)
	v_cmp_eq_u32_e32 vcc_lo, 0, v53
	s_and_b32 s3, s2, vcc_lo
	s_and_saveexec_b32 s2, s3
	s_cbranch_execz .LBB2651_45
; %bb.44:
	s_wait_dscnt 0x0
	v_bcnt_u32_b32 v3, v3, v51
	ds_store_b32 v55, v3 offset:64
.LBB2651_45:
	s_or_b32 exec_lo, exec_lo, s2
	v_lshrrev_b32_e32 v3, s20, v29
	; wave barrier
	s_delay_alu instid0(VALU_DEP_1) | instskip(NEXT) | instid1(VALU_DEP_1)
	v_and_b32_e32 v4, s6, v3
	v_lshlrev_b32_e32 v6, 30, v4
	v_bitop3_b32 v3, v3, 1, s6 bitop3:0x80
	s_delay_alu instid0(VALU_DEP_1) | instskip(NEXT) | instid1(VALU_DEP_1)
	v_add_co_u32 v3, s2, v3, -1
	v_cndmask_b32_e64 v5, 0, 1, s2
	s_delay_alu instid0(VALU_DEP_4) | instskip(NEXT) | instid1(VALU_DEP_2)
	v_cmp_gt_i32_e64 s2, 0, v6
	v_cmp_ne_u32_e32 vcc_lo, 0, v5
	v_not_b32_e32 v5, v6
	s_delay_alu instid0(VALU_DEP_1) | instskip(SKIP_3) | instid1(VALU_DEP_4)
	v_dual_ashrrev_i32 v5, 31, v5 :: v_dual_lshlrev_b32 v8, 29, v4
	v_dual_lshlrev_b32 v9, 28, v4 :: v_dual_lshlrev_b32 v10, 27, v4
	v_lshlrev_b32_e32 v11, 26, v4
	v_mad_u32 v57, 0x44, v4, v2
	v_cmp_gt_i32_e64 s3, 0, v8
	v_not_b32_e32 v6, v8
	v_not_b32_e32 v8, v9
	v_cmp_gt_i32_e64 s4, 0, v9
	v_xor_b32_e32 v3, vcc_lo, v3
	s_delay_alu instid0(VALU_DEP_4) | instskip(NEXT) | instid1(VALU_DEP_4)
	v_dual_ashrrev_i32 v6, 31, v6 :: v_dual_bitop2_b32 v5, s2, v5 bitop3:0x14
	v_ashrrev_i32_e32 v8, 31, v8
	v_dual_lshlrev_b32 v54, 25, v4 :: v_dual_lshlrev_b32 v4, 24, v4
	v_not_b32_e32 v9, v10
	v_not_b32_e32 v56, v11
	v_xor_b32_e32 v6, s3, v6
	v_xor_b32_e32 v8, s4, v8
	v_bitop3_b32 v3, v3, v5, exec_lo bitop3:0x80
	v_cmp_gt_i32_e32 vcc_lo, 0, v10
	v_ashrrev_i32_e32 v5, 31, v9
	v_cmp_gt_i32_e64 s2, 0, v11
	v_ashrrev_i32_e32 v9, 31, v56
	v_bitop3_b32 v3, v3, v8, v6 bitop3:0x80
	v_not_b32_e32 v6, v54
	v_not_b32_e32 v8, v4
	v_xor_b32_e32 v5, vcc_lo, v5
	v_xor_b32_e32 v9, s2, v9
	v_cmp_gt_i32_e32 vcc_lo, 0, v54
	v_ashrrev_i32_e32 v6, 31, v6
	v_cmp_gt_i32_e64 s2, 0, v4
	v_ashrrev_i32_e32 v4, 31, v8
	v_bitop3_b32 v3, v3, v9, v5 bitop3:0x80
	ds_load_b32 v54, v57 offset:64
	v_xor_b32_e32 v5, vcc_lo, v6
	v_xor_b32_e32 v4, s2, v4
	; wave barrier
	s_delay_alu instid0(VALU_DEP_1) | instskip(NEXT) | instid1(VALU_DEP_1)
	v_bitop3_b32 v3, v3, v4, v5 bitop3:0x80
	v_mbcnt_lo_u32_b32 v56, v3, 0
	v_cmp_ne_u32_e64 s2, 0, v3
	s_delay_alu instid0(VALU_DEP_2) | instskip(SKIP_1) | instid1(SALU_CYCLE_1)
	v_cmp_eq_u32_e32 vcc_lo, 0, v56
	s_and_b32 s3, s2, vcc_lo
	s_and_saveexec_b32 s2, s3
	s_cbranch_execz .LBB2651_47
; %bb.46:
	s_wait_dscnt 0x0
	v_bcnt_u32_b32 v3, v3, v54
	ds_store_b32 v57, v3 offset:64
.LBB2651_47:
	s_or_b32 exec_lo, exec_lo, s2
	v_lshrrev_b32_e32 v3, s20, v28
	; wave barrier
	s_delay_alu instid0(VALU_DEP_1) | instskip(SKIP_1) | instid1(VALU_DEP_2)
	v_and_b32_e32 v4, s6, v3
	v_bitop3_b32 v3, v3, 1, s6 bitop3:0x80
	v_mad_u32 v60, 0x44, v4, v2
	s_delay_alu instid0(VALU_DEP_2) | instskip(NEXT) | instid1(VALU_DEP_1)
	v_add_co_u32 v2, s2, v3, -1
	v_cndmask_b32_e64 v3, 0, 1, s2
	v_lshlrev_b32_e32 v5, 30, v4
	s_delay_alu instid0(VALU_DEP_2) | instskip(NEXT) | instid1(VALU_DEP_2)
	v_cmp_ne_u32_e32 vcc_lo, 0, v3
	v_not_b32_e32 v3, v5
	s_delay_alu instid0(VALU_DEP_1) | instskip(SKIP_4) | instid1(VALU_DEP_4)
	v_dual_ashrrev_i32 v3, 31, v3 :: v_dual_bitop2_b32 v2, vcc_lo, v2 bitop3:0x14
	v_dual_lshlrev_b32 v6, 29, v4 :: v_dual_lshlrev_b32 v8, 28, v4
	v_lshlrev_b32_e32 v9, 27, v4
	v_cmp_gt_i32_e64 s2, 0, v5
	v_dual_lshlrev_b32 v10, 26, v4 :: v_dual_lshlrev_b32 v11, 25, v4
	v_cmp_gt_i32_e64 s3, 0, v6
	v_not_b32_e32 v5, v6
	v_not_b32_e32 v6, v8
	v_lshlrev_b32_e32 v4, 24, v4
	v_cmp_gt_i32_e64 s4, 0, v8
	s_delay_alu instid0(VALU_DEP_4) | instskip(NEXT) | instid1(VALU_DEP_4)
	v_dual_ashrrev_i32 v5, 31, v5 :: v_dual_bitop2_b32 v3, s2, v3 bitop3:0x14
	v_ashrrev_i32_e32 v6, 31, v6
	v_not_b32_e32 v8, v9
	v_not_b32_e32 v58, v10
	s_delay_alu instid0(VALU_DEP_4)
	v_bitop3_b32 v2, v2, v3, exec_lo bitop3:0x80
	v_xor_b32_e32 v5, s3, v5
	v_xor_b32_e32 v6, s4, v6
	v_cmp_gt_i32_e32 vcc_lo, 0, v9
	v_ashrrev_i32_e32 v3, 31, v8
	v_cmp_gt_i32_e64 s2, 0, v10
	v_ashrrev_i32_e32 v8, 31, v58
	v_bitop3_b32 v2, v2, v6, v5 bitop3:0x80
	v_not_b32_e32 v5, v11
	v_not_b32_e32 v6, v4
	v_xor_b32_e32 v3, vcc_lo, v3
	v_xor_b32_e32 v8, s2, v8
	v_cmp_gt_i32_e32 vcc_lo, 0, v11
	v_ashrrev_i32_e32 v5, 31, v5
	v_cmp_gt_i32_e64 s2, 0, v4
	v_ashrrev_i32_e32 v4, 31, v6
	v_bitop3_b32 v2, v2, v8, v3 bitop3:0x80
	ds_load_b32 v58, v60 offset:64
	v_xor_b32_e32 v3, vcc_lo, v5
	v_xor_b32_e32 v4, s2, v4
	; wave barrier
	s_delay_alu instid0(VALU_DEP_1) | instskip(NEXT) | instid1(VALU_DEP_1)
	v_bitop3_b32 v2, v2, v4, v3 bitop3:0x80
	v_mbcnt_lo_u32_b32 v59, v2, 0
	v_cmp_ne_u32_e64 s2, 0, v2
	s_delay_alu instid0(VALU_DEP_2) | instskip(SKIP_1) | instid1(SALU_CYCLE_1)
	v_cmp_eq_u32_e32 vcc_lo, 0, v59
	s_and_b32 s3, s2, vcc_lo
	s_and_saveexec_b32 s2, s3
	s_cbranch_execz .LBB2651_49
; %bb.48:
	s_wait_dscnt 0x0
	v_bcnt_u32_b32 v2, v2, v58
	ds_store_b32 v60, v2 offset:64
.LBB2651_49:
	s_or_b32 exec_lo, exec_lo, s2
	; wave barrier
	s_wait_dscnt 0x0
	s_barrier_signal -1
	s_barrier_wait -1
	ds_load_2addr_b32 v[10:11], v12 offset0:16 offset1:17
	ds_load_2addr_b32 v[8:9], v12 offset0:18 offset1:19
	;; [unrolled: 1-line block ×4, first 2 shown]
	ds_load_b32 v6, v12 offset:96
	v_min_u32_e32 v63, 0x1e0, v17
	s_mov_b32 s7, exec_lo
	s_wait_dscnt 0x3
	v_add3_u32 v61, v11, v10, v8
	s_wait_dscnt 0x2
	s_delay_alu instid0(VALU_DEP_1) | instskip(SKIP_1) | instid1(VALU_DEP_1)
	v_add3_u32 v61, v61, v9, v4
	s_wait_dscnt 0x1
	v_add3_u32 v61, v61, v5, v2
	s_wait_dscnt 0x0
	s_delay_alu instid0(VALU_DEP_1) | instskip(SKIP_1) | instid1(VALU_DEP_2)
	v_add3_u32 v6, v61, v3, v6
	v_and_b32_e32 v61, 15, v16
	v_mov_b32_dpp v62, v6 row_shr:1 row_mask:0xf bank_mask:0xf
	s_delay_alu instid0(VALU_DEP_2) | instskip(NEXT) | instid1(VALU_DEP_2)
	v_cmp_eq_u32_e32 vcc_lo, 0, v61
	v_cndmask_b32_e64 v62, v62, 0, vcc_lo
	s_delay_alu instid0(VALU_DEP_1) | instskip(SKIP_3) | instid1(VALU_DEP_4)
	v_add_nc_u32_e32 v6, v62, v6
	v_cmp_lt_u32_e64 s2, 1, v61
	v_cmp_lt_u32_e64 s3, 3, v61
	;; [unrolled: 1-line block ×3, first 2 shown]
	v_mov_b32_dpp v62, v6 row_shr:2 row_mask:0xf bank_mask:0xf
	s_delay_alu instid0(VALU_DEP_1) | instskip(NEXT) | instid1(VALU_DEP_1)
	v_cndmask_b32_e64 v62, 0, v62, s2
	v_add_nc_u32_e32 v6, v6, v62
	s_delay_alu instid0(VALU_DEP_1) | instskip(NEXT) | instid1(VALU_DEP_1)
	v_mov_b32_dpp v62, v6 row_shr:4 row_mask:0xf bank_mask:0xf
	v_cndmask_b32_e64 v62, 0, v62, s3
	s_delay_alu instid0(VALU_DEP_1) | instskip(NEXT) | instid1(VALU_DEP_1)
	v_add_nc_u32_e32 v6, v6, v62
	v_mov_b32_dpp v62, v6 row_shr:8 row_mask:0xf bank_mask:0xf
	s_delay_alu instid0(VALU_DEP_1) | instskip(SKIP_1) | instid1(VALU_DEP_2)
	v_cndmask_b32_e64 v61, 0, v62, s4
	v_bfe_i32 v62, v16, 4, 1
	v_add_nc_u32_e32 v6, v6, v61
	ds_swizzle_b32 v61, v6 offset:swizzle(BROADCAST,32,15)
	s_wait_dscnt 0x0
	v_dual_lshrrev_b32 v62, 5, v27 :: v_dual_bitop2_b32 v61, v62, v61 bitop3:0x40
	s_delay_alu instid0(VALU_DEP_1) | instskip(NEXT) | instid1(VALU_DEP_1)
	v_dual_add_nc_u32 v61, v6, v61 :: v_dual_bitop2_b32 v63, 31, v63 bitop3:0x54
	v_cmpx_eq_u32_e64 v27, v63
; %bb.50:
	s_delay_alu instid0(VALU_DEP_3)
	v_lshlrev_b32_e32 v6, 2, v62
	ds_store_b32 v6, v61
; %bb.51:
	s_or_b32 exec_lo, exec_lo, s7
	v_lshlrev_b32_e32 v6, 2, v27
	s_mov_b32 s7, exec_lo
	s_wait_dscnt 0x0
	s_barrier_signal -1
	s_barrier_wait -1
	v_cmpx_gt_u32_e32 16, v27
	s_cbranch_execz .LBB2651_53
; %bb.52:
	ds_load_b32 v63, v6
	s_wait_dscnt 0x0
	v_mov_b32_dpp v64, v63 row_shr:1 row_mask:0xf bank_mask:0xf
	s_delay_alu instid0(VALU_DEP_1) | instskip(NEXT) | instid1(VALU_DEP_1)
	v_cndmask_b32_e64 v64, v64, 0, vcc_lo
	v_add_nc_u32_e32 v63, v64, v63
	s_delay_alu instid0(VALU_DEP_1) | instskip(NEXT) | instid1(VALU_DEP_1)
	v_mov_b32_dpp v64, v63 row_shr:2 row_mask:0xf bank_mask:0xf
	v_cndmask_b32_e64 v64, 0, v64, s2
	s_delay_alu instid0(VALU_DEP_1) | instskip(NEXT) | instid1(VALU_DEP_1)
	v_add_nc_u32_e32 v63, v63, v64
	v_mov_b32_dpp v64, v63 row_shr:4 row_mask:0xf bank_mask:0xf
	s_delay_alu instid0(VALU_DEP_1) | instskip(NEXT) | instid1(VALU_DEP_1)
	v_cndmask_b32_e64 v64, 0, v64, s3
	v_add_nc_u32_e32 v63, v63, v64
	s_delay_alu instid0(VALU_DEP_1) | instskip(NEXT) | instid1(VALU_DEP_1)
	v_mov_b32_dpp v64, v63 row_shr:8 row_mask:0xf bank_mask:0xf
	v_cndmask_b32_e64 v64, 0, v64, s4
	s_delay_alu instid0(VALU_DEP_1)
	v_add_nc_u32_e32 v63, v63, v64
	ds_store_b32 v6, v63
.LBB2651_53:
	s_or_b32 exec_lo, exec_lo, s7
	v_mov_b32_e32 v63, 0
	s_mov_b32 s2, exec_lo
	s_wait_dscnt 0x0
	s_barrier_signal -1
	s_barrier_wait -1
	v_cmpx_lt_u32_e32 31, v27
; %bb.54:
	v_lshl_add_u32 v62, v62, 2, -4
	ds_load_b32 v63, v62
; %bb.55:
	s_or_b32 exec_lo, exec_lo, s2
	v_sub_co_u32 v62, vcc_lo, v16, 1
	s_wait_dscnt 0x0
	v_add_nc_u32_e32 v61, v63, v61
	s_delay_alu instid0(VALU_DEP_2) | instskip(NEXT) | instid1(VALU_DEP_1)
	v_cmp_gt_i32_e64 s2, 0, v62
	v_cndmask_b32_e64 v62, v62, v16, s2
	v_cmp_lt_u32_e64 s2, 0xff, v27
	s_delay_alu instid0(VALU_DEP_2) | instskip(SKIP_4) | instid1(VALU_DEP_2)
	v_lshlrev_b32_e32 v62, 2, v62
	ds_bpermute_b32 v61, v62, v61
	s_wait_dscnt 0x0
	v_cndmask_b32_e32 v61, v61, v63, vcc_lo
	v_cmp_ne_u32_e32 vcc_lo, 0, v27
	v_cndmask_b32_e32 v61, 0, v61, vcc_lo
	v_cmp_gt_u32_e32 vcc_lo, 0x100, v27
	s_delay_alu instid0(VALU_DEP_2) | instskip(NEXT) | instid1(VALU_DEP_1)
	v_add_nc_u32_e32 v10, v61, v10
	v_add_nc_u32_e32 v11, v10, v11
	s_delay_alu instid0(VALU_DEP_1) | instskip(NEXT) | instid1(VALU_DEP_1)
	v_add_nc_u32_e32 v8, v11, v8
	v_add_nc_u32_e32 v9, v8, v9
	s_delay_alu instid0(VALU_DEP_1) | instskip(NEXT) | instid1(VALU_DEP_1)
	;; [unrolled: 3-line block ×3, first 2 shown]
	v_add_nc_u32_e32 v2, v5, v2
	v_add_nc_u32_e32 v3, v2, v3
	ds_store_2addr_b32 v12, v61, v10 offset0:16 offset1:17
	ds_store_2addr_b32 v12, v11, v8 offset0:18 offset1:19
	;; [unrolled: 1-line block ×4, first 2 shown]
	ds_store_b32 v12, v3 offset:96
	s_wait_dscnt 0x0
	s_barrier_signal -1
	s_barrier_wait -1
	ds_load_b32 v63, v13 offset:64
	ds_load_b32 v61, v14 offset:64
	;; [unrolled: 1-line block ×12, first 2 shown]
	v_mov_b64_e32 v[2:3], 0
                                        ; implicit-def: $vgpr4
	s_and_saveexec_b32 s4, vcc_lo
	s_cbranch_execz .LBB2651_59
; %bb.56:
	v_mul_u32_u24_e32 v2, 0x44, v27
	v_dual_mov_b32 v3, 0x1800 :: v_dual_add_nc_u32 v4, 1, v27
	s_mov_b32 s5, exec_lo
	ds_load_b32 v2, v2 offset:64
	v_cmpx_ne_u32_e32 0x100, v4
; %bb.57:
	v_mul_u32_u24_e32 v3, 0x44, v4
	ds_load_b32 v3, v3 offset:64
; %bb.58:
	s_or_b32 exec_lo, exec_lo, s5
	s_wait_dscnt 0x0
	v_dual_mov_b32 v3, 0 :: v_dual_sub_nc_u32 v4, v3, v2
.LBB2651_59:
	s_or_b32 exec_lo, exec_lo, s4
	v_dual_mov_b32 v9, 0 :: v_dual_lshlrev_b32 v5, 3, v27
	s_wait_dscnt 0x0
	s_barrier_signal -1
	s_barrier_wait -1
	s_and_saveexec_b32 s3, vcc_lo
	s_cbranch_execz .LBB2651_69
; %bb.60:
	v_lshl_add_u32 v8, s9, 8, v27
	v_dual_mov_b32 v12, 0 :: v_dual_bitop2_b32 v13, 2.0, v4 bitop3:0x54
	s_mov_b32 s4, 0
	s_mov_b32 s5, s9
	s_delay_alu instid0(VALU_DEP_2)
	v_lshl_add_u64 v[10:11], v[8:9], 2, s[10:11]
	global_store_b32 v8, v13, s[10:11] scale_offset scope:SCOPE_DEV
                                        ; implicit-def: $sgpr7
	s_branch .LBB2651_63
.LBB2651_61:                            ;   in Loop: Header=BB2651_63 Depth=1
	s_or_b32 exec_lo, exec_lo, s8
.LBB2651_62:                            ;   in Loop: Header=BB2651_63 Depth=1
	s_delay_alu instid0(SALU_CYCLE_1) | instskip(SKIP_2) | instid1(VALU_DEP_2)
	s_or_b32 exec_lo, exec_lo, s7
	v_and_b32_e32 v8, 0x3fffffff, v13
	v_cmp_gt_i32_e64 s7, -2.0, v13
	v_add_nc_u32_e32 v12, v8, v12
	s_and_b32 s8, exec_lo, s7
	s_delay_alu instid0(SALU_CYCLE_1) | instskip(NEXT) | instid1(SALU_CYCLE_1)
	s_or_b32 s4, s8, s4
	s_and_not1_b32 exec_lo, exec_lo, s4
	s_cbranch_execz .LBB2651_68
.LBB2651_63:                            ; =>This Loop Header: Depth=1
                                        ;     Child Loop BB2651_66 Depth 2
	s_or_b32 s7, s7, exec_lo
	s_cmp_eq_u32 s5, 0
	s_cbranch_scc1 .LBB2651_67
; %bb.64:                               ;   in Loop: Header=BB2651_63 Depth=1
	s_add_co_i32 s5, s5, -1
	s_mov_b32 s7, exec_lo
	s_wait_xcnt 0x0
	v_lshl_or_b32 v8, s5, 8, v27
	global_load_b32 v13, v8, s[10:11] scale_offset scope:SCOPE_DEV
	s_wait_loadcnt 0x0
	v_cmpx_gt_u32_e32 2.0, v13
	s_cbranch_execz .LBB2651_62
; %bb.65:                               ;   in Loop: Header=BB2651_63 Depth=1
	v_lshl_add_u64 v[14:15], v[8:9], 2, s[10:11]
	s_mov_b32 s8, 0
.LBB2651_66:                            ;   Parent Loop BB2651_63 Depth=1
                                        ; =>  This Inner Loop Header: Depth=2
	global_load_b32 v13, v[14:15], off scope:SCOPE_DEV
	s_wait_loadcnt 0x0
	v_cmp_lt_u32_e32 vcc_lo, 0x3fffffff, v13
	s_or_b32 s8, vcc_lo, s8
	s_wait_xcnt 0x0
	s_and_not1_b32 exec_lo, exec_lo, s8
	s_cbranch_execnz .LBB2651_66
	s_branch .LBB2651_61
.LBB2651_67:                            ;   in Loop: Header=BB2651_63 Depth=1
                                        ; implicit-def: $sgpr5
	s_and_b32 s8, exec_lo, s7
	s_delay_alu instid0(SALU_CYCLE_1)
	s_or_b32 s4, s8, s4
	s_wait_xcnt 0x0
	s_and_not1_b32 exec_lo, exec_lo, s4
	s_cbranch_execnz .LBB2651_63
.LBB2651_68:
	s_or_b32 exec_lo, exec_lo, s4
	v_dual_mov_b32 v13, 0 :: v_dual_add_nc_u32 v8, v12, v4
	s_delay_alu instid0(VALU_DEP_1) | instskip(SKIP_4) | instid1(VALU_DEP_1)
	v_or_b32_e32 v8, 0x80000000, v8
	global_store_b32 v[10:11], v8, off scope:SCOPE_DEV
	global_load_b64 v[8:9], v27, s[12:13] scale_offset
	v_sub_nc_u64_e32 v[10:11], v[12:13], v[2:3]
	s_wait_loadcnt 0x0
	v_add_nc_u64_e32 v[8:9], v[10:11], v[8:9]
	ds_store_b64 v5, v[8:9]
.LBB2651_69:
	s_wait_xcnt 0x0
	s_or_b32 exec_lo, exec_lo, s3
	v_dual_add_nc_u32 v8, v63, v7 :: v_dual_sub_nc_u32 v63, 0, v6
	v_mov_b32_e32 v7, 0
	v_add3_u32 v32, v33, v62, v32
	v_add3_u32 v9, v59, v60, v58
	;; [unrolled: 1-line block ×3, first 2 shown]
	v_add_nc_u32_e32 v33, v5, v63
	v_add_nc_u64_e32 v[6:7], s[18:19], v[6:7]
	v_add3_u32 v11, v53, v55, v51
	v_add3_u32 v12, v49, v52, v48
	;; [unrolled: 1-line block ×6, first 2 shown]
	v_add_nc_u64_e32 v[6:7], 0x3800, v[6:7]
	v_add3_u32 v34, v35, v38, v34
	v_add3_u32 v30, v31, v61, v30
	v_add_nc_u32_e32 v31, 0xe00, v27
	s_mov_b32 s3, 0
	s_mov_b32 s4, -1
	s_branch .LBB2651_71
.LBB2651_70:                            ;   in Loop: Header=BB2651_71 Depth=1
	s_wait_xcnt 0x0
	s_or_b32 exec_lo, exec_lo, s5
	v_add_nc_u64_e32 v[6:7], 0x4000, v[6:7]
	v_add_nc_u32_e32 v31, 0x1000, v31
	s_xor_b32 s4, s4, -1
	s_addk_co_i32 s3, 0xf000
	s_and_b32 vcc_lo, exec_lo, s4
	s_mov_b32 s4, 0
	s_wait_storecnt 0x0
	s_barrier_signal -1
	s_barrier_wait -1
	s_cbranch_vccnz .LBB2651_87
.LBB2651_71:                            ; =>This Inner Loop Header: Depth=1
	v_add_min_u32_e64 v35, v8, s3, 0x1000
	v_add_min_u32_e64 v37, v30, s3, 0x1000
	;; [unrolled: 1-line block ×5, first 2 shown]
	s_delay_alu instid0(VALU_DEP_4) | instskip(NEXT) | instid1(VALU_DEP_4)
	v_dual_lshlrev_b32 v35, 2, v35 :: v_dual_lshlrev_b32 v37, 2, v37
	v_lshlrev_b32_e32 v38, 2, v38
	v_add_min_u32_e64 v41, v15, s3, 0x1000
	s_mov_b32 s5, exec_lo
	ds_store_b32 v35, v18 offset:2048
	ds_store_b32 v37, v1 offset:2048
	v_add_min_u32_e64 v35, v14, s3, 0x1000
	v_lshlrev_b32_e32 v37, 2, v39
	ds_store_b32 v38, v20 offset:2048
	v_dual_lshlrev_b32 v38, 2, v40 :: v_dual_lshlrev_b32 v39, 2, v41
	v_add_min_u32_e64 v40, v13, s3, 0x1000
	v_lshlrev_b32_e32 v35, 2, v35
	ds_store_b32 v37, v19 offset:2048
	ds_store_b32 v38, v22 offset:2048
	;; [unrolled: 1-line block ×4, first 2 shown]
	v_add_min_u32_e64 v37, v12, s3, 0x1000
	v_add_min_u32_e64 v38, v11, s3, 0x1000
	;; [unrolled: 1-line block ×3, first 2 shown]
	v_lshlrev_b32_e32 v35, 2, v40
	v_add_min_u32_e64 v40, v9, s3, 0x1000
	ds_store_b32 v35, v23 offset:2048
	v_dual_lshlrev_b32 v35, 2, v37 :: v_dual_lshlrev_b32 v37, 2, v38
	v_dual_lshlrev_b32 v38, 2, v39 :: v_dual_lshlrev_b32 v39, 2, v40
	v_add_nc_u32_e32 v40, 0xfffff200, v31
	ds_store_b32 v35, v26 offset:2048
	ds_store_b32 v37, v25 offset:2048
	;; [unrolled: 1-line block ×4, first 2 shown]
	s_wait_storecnt_dscnt 0x0
	s_barrier_signal -1
	s_barrier_wait -1
	v_cmpx_gt_u32_e64 s22, v40
	s_cbranch_execz .LBB2651_73
; %bb.72:                               ;   in Loop: Header=BB2651_71 Depth=1
	ds_load_b32 v35, v33 offset:2048
	s_wait_dscnt 0x0
	v_lshrrev_b32_e32 v37, s20, v35
	v_not_b32_e32 v35, v35
	s_delay_alu instid0(VALU_DEP_2) | instskip(NEXT) | instid1(VALU_DEP_1)
	v_and_b32_e32 v37, s6, v37
	v_lshlrev_b32_e32 v37, 3, v37
	ds_load_b64 v[38:39], v37
	s_wait_dscnt 0x0
	v_lshl_add_u64 v[38:39], v[38:39], 2, v[6:7]
	global_store_b32 v[38:39], v35, off offset:-14336
.LBB2651_73:                            ;   in Loop: Header=BB2651_71 Depth=1
	s_wait_xcnt 0x0
	s_or_b32 exec_lo, exec_lo, s5
	v_add_nc_u32_e32 v35, 0xfffff400, v31
	s_mov_b32 s5, exec_lo
	s_delay_alu instid0(VALU_DEP_1)
	v_cmpx_gt_u32_e64 s22, v35
	s_cbranch_execz .LBB2651_75
; %bb.74:                               ;   in Loop: Header=BB2651_71 Depth=1
	ds_load_b32 v35, v33 offset:4096
	s_wait_dscnt 0x0
	v_lshrrev_b32_e32 v37, s20, v35
	v_not_b32_e32 v35, v35
	s_delay_alu instid0(VALU_DEP_2) | instskip(NEXT) | instid1(VALU_DEP_1)
	v_and_b32_e32 v37, s6, v37
	v_lshlrev_b32_e32 v37, 3, v37
	ds_load_b64 v[38:39], v37
	s_wait_dscnt 0x0
	v_lshl_add_u64 v[38:39], v[38:39], 2, v[6:7]
	global_store_b32 v[38:39], v35, off offset:-12288
.LBB2651_75:                            ;   in Loop: Header=BB2651_71 Depth=1
	s_wait_xcnt 0x0
	s_or_b32 exec_lo, exec_lo, s5
	v_add_nc_u32_e32 v35, 0xfffff600, v31
	s_mov_b32 s5, exec_lo
	s_delay_alu instid0(VALU_DEP_1)
	;; [unrolled: 20-line block ×6, first 2 shown]
	v_cmpx_gt_u32_e64 s22, v35
	s_cbranch_execz .LBB2651_85
; %bb.84:                               ;   in Loop: Header=BB2651_71 Depth=1
	ds_load_b32 v35, v33 offset:14336
	s_wait_dscnt 0x0
	v_lshrrev_b32_e32 v37, s20, v35
	v_not_b32_e32 v35, v35
	s_delay_alu instid0(VALU_DEP_2) | instskip(NEXT) | instid1(VALU_DEP_1)
	v_and_b32_e32 v37, s6, v37
	v_lshlrev_b32_e32 v37, 3, v37
	ds_load_b64 v[38:39], v37
	s_wait_dscnt 0x0
	v_lshl_add_u64 v[38:39], v[38:39], 2, v[6:7]
	global_store_b32 v[38:39], v35, off offset:-2048
.LBB2651_85:                            ;   in Loop: Header=BB2651_71 Depth=1
	s_wait_xcnt 0x0
	s_or_b32 exec_lo, exec_lo, s5
	s_delay_alu instid0(SALU_CYCLE_1)
	s_mov_b32 s5, exec_lo
	v_cmpx_gt_u32_e64 s22, v31
	s_cbranch_execz .LBB2651_70
; %bb.86:                               ;   in Loop: Header=BB2651_71 Depth=1
	ds_load_b32 v35, v33 offset:16384
	s_wait_dscnt 0x0
	v_lshrrev_b32_e32 v37, s20, v35
	v_not_b32_e32 v35, v35
	s_delay_alu instid0(VALU_DEP_2) | instskip(NEXT) | instid1(VALU_DEP_1)
	v_and_b32_e32 v37, s6, v37
	v_lshlrev_b32_e32 v37, 3, v37
	ds_load_b64 v[38:39], v37
	s_wait_dscnt 0x0
	v_lshl_add_u64 v[38:39], v[38:39], 2, v[6:7]
	global_store_b32 v[38:39], v35, off
	s_branch .LBB2651_70
.LBB2651_87:
	s_add_co_i32 s23, s23, -1
	s_delay_alu instid0(SALU_CYCLE_1) | instskip(SKIP_2) | instid1(SALU_CYCLE_1)
	s_cmp_eq_u32 s9, s23
	s_cselect_b32 s3, -1, 0
	s_xor_b32 s2, s2, -1
	s_and_b32 s3, s2, s3
	s_delay_alu instid0(SALU_CYCLE_1)
	s_and_saveexec_b32 s2, s3
	s_cbranch_execz .LBB2651_89
; %bb.88:
	ds_load_b64 v[6:7], v5
	v_mov_b32_e32 v5, 0
	s_delay_alu instid0(VALU_DEP_1) | instskip(SKIP_1) | instid1(VALU_DEP_1)
	v_add_nc_u64_e32 v[2:3], v[2:3], v[4:5]
	s_wait_dscnt 0x0
	v_add_nc_u64_e32 v[2:3], v[2:3], v[6:7]
	global_store_b64 v27, v[2:3], s[14:15] scale_offset
.LBB2651_89:
	s_wait_xcnt 0x0
	s_or_b32 exec_lo, exec_lo, s2
	s_mov_b32 s2, 0
.LBB2651_90:
	s_delay_alu instid0(SALU_CYCLE_1)
	s_and_b32 vcc_lo, exec_lo, s2
	s_cbranch_vccz .LBB2651_149
; %bb.91:
	s_mov_b32 s25, 0
	v_dual_mov_b32 v11, 0 :: v_dual_lshlrev_b32 v10, 2, v16
	s_lshl_b64 s[2:3], s[24:25], 2
	v_mul_u32_u24_e32 v1, 12, v17
	s_add_nc_u64 s[2:3], s[16:17], s[2:3]
	s_delay_alu instid0(VALU_DEP_2) | instid1(SALU_CYCLE_1)
	v_add_nc_u64_e32 v[2:3], s[2:3], v[10:11]
	s_delay_alu instid0(VALU_DEP_2) | instskip(NEXT) | instid1(VALU_DEP_1)
	v_lshlrev_b32_e32 v10, 2, v1
	v_add_nc_u64_e32 v[14:15], v[2:3], v[10:11]
	v_bfe_u32 v10, v0, 20, 10
	s_clause 0xb
	global_load_b32 v5, v[14:15], off
	global_load_b32 v12, v[14:15], off offset:128
	global_load_b32 v13, v[14:15], off offset:256
	;; [unrolled: 1-line block ×11, first 2 shown]
	s_clause 0x1
	s_load_b32 s7, s[0:1], 0x58
	s_load_u16 s2, s[0:1], 0x66
	v_and_b32_e32 v14, 0x3ff, v0
	s_wait_kmcnt 0x0
	s_cmp_lt_u32 s9, s7
	s_cselect_b32 s24, 12, 18
	s_lshl_b32 s8, -1, s21
	s_add_nc_u64 s[0:1], s[26:27], s[24:25]
	s_load_u16 s0, s[0:1], 0x0
	s_wait_loadcnt 0xb
	v_not_b32_e32 v15, v5
	v_bfe_u32 v5, v0, 10, 10
	s_delay_alu instid0(VALU_DEP_2) | instskip(NEXT) | instid1(VALU_DEP_2)
	v_lshrrev_b32_e32 v18, s20, v15
	v_mad_u32_u24 v0, v10, s2, v5
	s_delay_alu instid0(VALU_DEP_2) | instskip(SKIP_2) | instid1(VALU_DEP_3)
	v_bitop3_b32 v5, v18, 1, s8 bitop3:0x40
	v_bitop3_b32 v19, v18, s8, v18 bitop3:0x30
	s_wait_kmcnt 0x0
	v_mad_u32 v0, v0, s0, v14
	s_delay_alu instid0(VALU_DEP_3) | instskip(NEXT) | instid1(VALU_DEP_1)
	v_add_co_u32 v5, s0, v5, -1
	v_cndmask_b32_e64 v10, 0, 1, s0
	v_dual_lshlrev_b32 v18, 30, v19 :: v_dual_lshlrev_b32 v21, 29, v19
	v_dual_lshlrev_b32 v22, 28, v19 :: v_dual_lshlrev_b32 v23, 27, v19
	s_delay_alu instid0(VALU_DEP_3) | instskip(NEXT) | instid1(VALU_DEP_3)
	v_cmp_ne_u32_e32 vcc_lo, 0, v10
	v_not_b32_e32 v10, v18
	v_dual_lshlrev_b32 v24, 26, v19 :: v_dual_lshlrev_b32 v25, 25, v19
	v_lshlrev_b32_e32 v26, 24, v19
	v_cmp_gt_i32_e64 s0, 0, v18
	v_cmp_gt_i32_e64 s1, 0, v21
	v_not_b32_e32 v18, v21
	v_not_b32_e32 v21, v22
	v_ashrrev_i32_e32 v10, 31, v10
	v_cmp_gt_i32_e64 s2, 0, v22
	v_cmp_gt_i32_e64 s3, 0, v23
	v_not_b32_e32 v22, v23
	v_not_b32_e32 v23, v24
	v_dual_ashrrev_i32 v18, 31, v18 :: v_dual_bitop2_b32 v5, vcc_lo, v5 bitop3:0x14
	v_dual_ashrrev_i32 v21, 31, v21 :: v_dual_bitop2_b32 v10, s0, v10 bitop3:0x14
	v_cmp_gt_i32_e64 s4, 0, v24
	v_cmp_gt_i32_e64 s5, 0, v25
	v_not_b32_e32 v24, v25
	v_not_b32_e32 v25, v26
	v_dual_ashrrev_i32 v22, 31, v22 :: v_dual_ashrrev_i32 v23, 31, v23
	v_xor_b32_e32 v18, s1, v18
	v_dual_lshrrev_b32 v0, 5, v0 :: v_dual_bitop2_b32 v21, s2, v21 bitop3:0x14
	v_bitop3_b32 v5, v5, v10, exec_lo bitop3:0x80
	v_cmp_gt_i32_e64 s6, 0, v26
	v_dual_ashrrev_i32 v10, 31, v24 :: v_dual_ashrrev_i32 v24, 31, v25
	v_xor_b32_e32 v22, s3, v22
	v_dual_lshlrev_b32 v0, 2, v0 :: v_dual_bitop2_b32 v23, s4, v23 bitop3:0x14
	v_bitop3_b32 v5, v5, v21, v18 bitop3:0x80
	s_delay_alu instid0(VALU_DEP_4)
	v_xor_b32_e32 v18, s5, v10
	v_xor_b32_e32 v21, s6, v24
	v_mul_u32_u24_e32 v10, 36, v14
	ds_store_2addr_b32 v10, v11, v11 offset0:16 offset1:17
	ds_store_2addr_b32 v10, v11, v11 offset0:18 offset1:19
	;; [unrolled: 1-line block ×4, first 2 shown]
	v_bitop3_b32 v5, v5, v23, v22 bitop3:0x80
	ds_store_b32 v10, v11 offset:96
	v_mad_u32 v11, 0x44, v19, v0
	s_not_b32 s5, s8
	s_wait_storecnt 0x0
	s_wait_loadcnt_dscnt 0x0
	v_bitop3_b32 v18, v5, v21, v18 bitop3:0x80
	s_barrier_signal -1
	s_barrier_wait -1
	s_delay_alu instid0(VALU_DEP_1) | instskip(SKIP_1) | instid1(VALU_DEP_2)
	v_mbcnt_lo_u32_b32 v5, v18, 0
	v_cmp_ne_u32_e64 s0, 0, v18
	; wave barrier
	v_cmp_eq_u32_e32 vcc_lo, 0, v5
	s_and_b32 s1, s0, vcc_lo
	s_delay_alu instid0(SALU_CYCLE_1)
	s_and_saveexec_b32 s0, s1
; %bb.92:
	v_bcnt_u32_b32 v18, v18, 0
	ds_store_b32 v11, v18 offset:64
; %bb.93:
	s_or_b32 exec_lo, exec_lo, s0
	v_not_b32_e32 v18, v12
	; wave barrier
	s_delay_alu instid0(VALU_DEP_1) | instskip(NEXT) | instid1(VALU_DEP_1)
	v_lshrrev_b32_e32 v12, s20, v18
	v_and_b32_e32 v19, s5, v12
	s_delay_alu instid0(VALU_DEP_1) | instskip(SKIP_1) | instid1(VALU_DEP_1)
	v_lshlrev_b32_e32 v23, 30, v19
	v_bitop3_b32 v21, v12, 1, s5 bitop3:0x80
	v_add_co_u32 v21, s0, v21, -1
	s_delay_alu instid0(VALU_DEP_1) | instskip(NEXT) | instid1(VALU_DEP_4)
	v_cndmask_b32_e64 v22, 0, 1, s0
	v_cmp_gt_i32_e64 s0, 0, v23
	s_delay_alu instid0(VALU_DEP_2) | instskip(SKIP_1) | instid1(VALU_DEP_1)
	v_cmp_ne_u32_e32 vcc_lo, 0, v22
	v_not_b32_e32 v22, v23
	v_dual_ashrrev_i32 v22, 31, v22 :: v_dual_lshlrev_b32 v24, 29, v19
	v_dual_lshlrev_b32 v25, 28, v19 :: v_dual_lshlrev_b32 v26, 27, v19
	v_lshlrev_b32_e32 v27, 26, v19
	v_mad_u32 v12, 0x44, v19, v0
	s_delay_alu instid0(VALU_DEP_4)
	v_cmp_gt_i32_e64 s1, 0, v24
	v_not_b32_e32 v23, v24
	v_not_b32_e32 v24, v25
	v_dual_lshlrev_b32 v28, 25, v19 :: v_dual_lshlrev_b32 v19, 24, v19
	v_cmp_gt_i32_e64 s2, 0, v25
	v_cmp_gt_i32_e64 s3, 0, v26
	v_not_b32_e32 v25, v26
	v_not_b32_e32 v26, v27
	v_dual_ashrrev_i32 v23, 31, v23 :: v_dual_bitop2_b32 v21, vcc_lo, v21 bitop3:0x14
	v_dual_ashrrev_i32 v24, 31, v24 :: v_dual_bitop2_b32 v22, s0, v22 bitop3:0x14
	v_cmp_gt_i32_e64 s4, 0, v27
	s_delay_alu instid0(VALU_DEP_4) | instskip(SKIP_1) | instid1(VALU_DEP_4)
	v_dual_ashrrev_i32 v25, 31, v25 :: v_dual_ashrrev_i32 v26, 31, v26
	v_not_b32_e32 v27, v19
	v_xor_b32_e32 v24, s2, v24
	v_bitop3_b32 v21, v21, v22, exec_lo bitop3:0x80
	v_not_b32_e32 v22, v28
	v_xor_b32_e32 v23, s1, v23
	v_xor_b32_e32 v25, s3, v25
	;; [unrolled: 1-line block ×3, first 2 shown]
	v_cmp_gt_i32_e32 vcc_lo, 0, v28
	v_ashrrev_i32_e32 v22, 31, v22
	v_cmp_gt_i32_e64 s0, 0, v19
	v_ashrrev_i32_e32 v19, 31, v27
	v_bitop3_b32 v21, v21, v24, v23 bitop3:0x80
	s_delay_alu instid0(VALU_DEP_4) | instskip(NEXT) | instid1(VALU_DEP_3)
	v_xor_b32_e32 v22, vcc_lo, v22
	v_xor_b32_e32 v19, s0, v19
	s_delay_alu instid0(VALU_DEP_3) | instskip(SKIP_2) | instid1(VALU_DEP_1)
	v_bitop3_b32 v23, v21, v26, v25 bitop3:0x80
	ds_load_b32 v21, v12 offset:64
	; wave barrier
	v_bitop3_b32 v19, v23, v19, v22 bitop3:0x80
	v_mbcnt_lo_u32_b32 v22, v19, 0
	v_cmp_ne_u32_e64 s0, 0, v19
	s_delay_alu instid0(VALU_DEP_2) | instskip(SKIP_1) | instid1(SALU_CYCLE_1)
	v_cmp_eq_u32_e32 vcc_lo, 0, v22
	s_and_b32 s1, s0, vcc_lo
	s_and_saveexec_b32 s0, s1
	s_cbranch_execz .LBB2651_95
; %bb.94:
	s_wait_dscnt 0x0
	v_bcnt_u32_b32 v19, v19, v21
	ds_store_b32 v12, v19 offset:64
.LBB2651_95:
	s_or_b32 exec_lo, exec_lo, s0
	v_not_b32_e32 v19, v13
	; wave barrier
	s_delay_alu instid0(VALU_DEP_1) | instskip(NEXT) | instid1(VALU_DEP_1)
	v_lshrrev_b32_e32 v13, s20, v19
	v_bitop3_b32 v24, v13, 1, s5 bitop3:0x80
	v_and_b32_e32 v23, s5, v13
	s_delay_alu instid0(VALU_DEP_2) | instskip(NEXT) | instid1(VALU_DEP_1)
	v_add_co_u32 v24, s0, v24, -1
	v_cndmask_b32_e64 v25, 0, 1, s0
	s_delay_alu instid0(VALU_DEP_3) | instskip(NEXT) | instid1(VALU_DEP_2)
	v_dual_lshlrev_b32 v26, 30, v23 :: v_dual_lshlrev_b32 v27, 29, v23
	v_cmp_ne_u32_e32 vcc_lo, 0, v25
	s_delay_alu instid0(VALU_DEP_2) | instskip(SKIP_1) | instid1(VALU_DEP_4)
	v_cmp_gt_i32_e64 s0, 0, v26
	v_not_b32_e32 v25, v26
	v_not_b32_e32 v26, v27
	v_cmp_gt_i32_e64 s1, 0, v27
	s_delay_alu instid0(VALU_DEP_3) | instskip(NEXT) | instid1(VALU_DEP_3)
	v_dual_ashrrev_i32 v25, 31, v25 :: v_dual_bitop2_b32 v24, vcc_lo, v24 bitop3:0x14
	v_dual_ashrrev_i32 v26, 31, v26 :: v_dual_lshlrev_b32 v28, 28, v23
	v_dual_lshlrev_b32 v29, 27, v23 :: v_dual_lshlrev_b32 v30, 26, v23
	v_lshlrev_b32_e32 v31, 25, v23
	v_mad_u32 v13, 0x44, v23, v0
	s_delay_alu instid0(VALU_DEP_4)
	v_not_b32_e32 v27, v28
	v_lshlrev_b32_e32 v23, 24, v23
	v_cmp_gt_i32_e64 s2, 0, v28
	v_cmp_gt_i32_e64 s3, 0, v29
	v_not_b32_e32 v28, v29
	v_not_b32_e32 v29, v30
	v_dual_ashrrev_i32 v27, 31, v27 :: v_dual_bitop2_b32 v25, s0, v25 bitop3:0x14
	v_cmp_gt_i32_e64 s4, 0, v30
	s_delay_alu instid0(VALU_DEP_3) | instskip(SKIP_1) | instid1(VALU_DEP_4)
	v_dual_ashrrev_i32 v28, 31, v28 :: v_dual_ashrrev_i32 v29, 31, v29
	v_not_b32_e32 v30, v23
	v_xor_b32_e32 v27, s2, v27
	v_bitop3_b32 v24, v24, v25, exec_lo bitop3:0x80
	v_not_b32_e32 v25, v31
	v_xor_b32_e32 v26, s1, v26
	v_xor_b32_e32 v28, s3, v28
	;; [unrolled: 1-line block ×3, first 2 shown]
	v_cmp_gt_i32_e32 vcc_lo, 0, v31
	v_ashrrev_i32_e32 v25, 31, v25
	v_cmp_gt_i32_e64 s0, 0, v23
	v_ashrrev_i32_e32 v23, 31, v30
	v_bitop3_b32 v24, v24, v27, v26 bitop3:0x80
	s_delay_alu instid0(VALU_DEP_4) | instskip(NEXT) | instid1(VALU_DEP_3)
	v_xor_b32_e32 v25, vcc_lo, v25
	v_xor_b32_e32 v23, s0, v23
	s_delay_alu instid0(VALU_DEP_3) | instskip(SKIP_2) | instid1(VALU_DEP_1)
	v_bitop3_b32 v26, v24, v29, v28 bitop3:0x80
	ds_load_b32 v24, v13 offset:64
	; wave barrier
	v_bitop3_b32 v23, v26, v23, v25 bitop3:0x80
	v_mbcnt_lo_u32_b32 v25, v23, 0
	v_cmp_ne_u32_e64 s0, 0, v23
	s_delay_alu instid0(VALU_DEP_2) | instskip(SKIP_1) | instid1(SALU_CYCLE_1)
	v_cmp_eq_u32_e32 vcc_lo, 0, v25
	s_and_b32 s1, s0, vcc_lo
	s_and_saveexec_b32 s0, s1
	s_cbranch_execz .LBB2651_97
; %bb.96:
	s_wait_dscnt 0x0
	v_bcnt_u32_b32 v23, v23, v24
	ds_store_b32 v13, v23 offset:64
.LBB2651_97:
	s_or_b32 exec_lo, exec_lo, s0
	v_not_b32_e32 v20, v20
	; wave barrier
	s_delay_alu instid0(VALU_DEP_1) | instskip(NEXT) | instid1(VALU_DEP_1)
	v_lshrrev_b32_e32 v23, s20, v20
	v_and_b32_e32 v26, s5, v23
	s_delay_alu instid0(VALU_DEP_1) | instskip(SKIP_2) | instid1(VALU_DEP_2)
	v_lshlrev_b32_e32 v28, 30, v26
	v_bitop3_b32 v23, v23, 1, s5 bitop3:0x80
	v_lshlrev_b32_e32 v29, 29, v26
	v_add_co_u32 v23, s0, v23, -1
	s_delay_alu instid0(VALU_DEP_1) | instskip(SKIP_1) | instid1(VALU_DEP_2)
	v_cndmask_b32_e64 v27, 0, 1, s0
	v_cmp_gt_i32_e64 s0, 0, v28
	v_cmp_ne_u32_e32 vcc_lo, 0, v27
	v_not_b32_e32 v27, v28
	v_not_b32_e32 v28, v29
	s_delay_alu instid0(VALU_DEP_1)
	v_dual_ashrrev_i32 v28, 31, v28 :: v_dual_lshlrev_b32 v30, 28, v26
	v_mad_u32 v33, 0x44, v26, v0
	v_dual_lshlrev_b32 v31, 27, v26 :: v_dual_lshlrev_b32 v32, 26, v26
	v_dual_lshlrev_b32 v34, 25, v26 :: v_dual_lshlrev_b32 v26, 24, v26
	v_cmp_gt_i32_e64 s1, 0, v29
	v_not_b32_e32 v29, v30
	v_ashrrev_i32_e32 v27, 31, v27
	v_cmp_gt_i32_e64 s2, 0, v30
	v_cmp_gt_i32_e64 s3, 0, v31
	v_not_b32_e32 v30, v31
	v_cmp_gt_i32_e64 s4, 0, v32
	v_not_b32_e32 v31, v32
	v_dual_ashrrev_i32 v29, 31, v29 :: v_dual_bitop2_b32 v23, vcc_lo, v23 bitop3:0x14
	v_not_b32_e32 v32, v26
	v_dual_ashrrev_i32 v30, 31, v30 :: v_dual_bitop2_b32 v27, s0, v27 bitop3:0x14
	s_delay_alu instid0(VALU_DEP_4) | instskip(SKIP_1) | instid1(VALU_DEP_4)
	v_dual_ashrrev_i32 v31, 31, v31 :: v_dual_bitop2_b32 v28, s1, v28 bitop3:0x14
	v_cmp_gt_i32_e64 s0, 0, v26
	v_ashrrev_i32_e32 v26, 31, v32
	s_delay_alu instid0(VALU_DEP_4)
	v_bitop3_b32 v23, v23, v27, exec_lo bitop3:0x80
	v_not_b32_e32 v27, v34
	v_xor_b32_e32 v29, s2, v29
	v_xor_b32_e32 v30, s3, v30
	;; [unrolled: 1-line block ×3, first 2 shown]
	v_cmp_gt_i32_e32 vcc_lo, 0, v34
	v_ashrrev_i32_e32 v27, 31, v27
	v_bitop3_b32 v23, v23, v29, v28 bitop3:0x80
	v_xor_b32_e32 v26, s0, v26
	s_delay_alu instid0(VALU_DEP_3) | instskip(NEXT) | instid1(VALU_DEP_3)
	v_xor_b32_e32 v28, vcc_lo, v27
	v_bitop3_b32 v23, v23, v31, v30 bitop3:0x80
	ds_load_b32 v27, v33 offset:64
	; wave barrier
	v_bitop3_b32 v23, v23, v26, v28 bitop3:0x80
	s_delay_alu instid0(VALU_DEP_1) | instskip(SKIP_1) | instid1(VALU_DEP_2)
	v_mbcnt_lo_u32_b32 v28, v23, 0
	v_cmp_ne_u32_e64 s0, 0, v23
	v_cmp_eq_u32_e32 vcc_lo, 0, v28
	s_and_b32 s1, s0, vcc_lo
	s_delay_alu instid0(SALU_CYCLE_1)
	s_and_saveexec_b32 s0, s1
	s_cbranch_execz .LBB2651_99
; %bb.98:
	s_wait_dscnt 0x0
	v_bcnt_u32_b32 v23, v23, v27
	ds_store_b32 v33, v23 offset:64
.LBB2651_99:
	s_or_b32 exec_lo, exec_lo, s0
	v_not_b32_e32 v23, v9
	; wave barrier
	s_delay_alu instid0(VALU_DEP_1) | instskip(NEXT) | instid1(VALU_DEP_1)
	v_lshrrev_b32_e32 v9, s20, v23
	v_and_b32_e32 v26, s5, v9
	s_delay_alu instid0(VALU_DEP_1) | instskip(SKIP_2) | instid1(VALU_DEP_2)
	v_lshlrev_b32_e32 v30, 30, v26
	v_bitop3_b32 v9, v9, 1, s5 bitop3:0x80
	v_lshlrev_b32_e32 v31, 29, v26
	v_add_co_u32 v9, s0, v9, -1
	s_delay_alu instid0(VALU_DEP_1) | instskip(SKIP_1) | instid1(VALU_DEP_2)
	v_cndmask_b32_e64 v29, 0, 1, s0
	v_cmp_gt_i32_e64 s0, 0, v30
	v_cmp_ne_u32_e32 vcc_lo, 0, v29
	v_not_b32_e32 v29, v30
	v_not_b32_e32 v30, v31
	s_delay_alu instid0(VALU_DEP_1) | instskip(SKIP_4) | instid1(VALU_DEP_4)
	v_ashrrev_i32_e32 v30, 31, v30
	v_dual_lshlrev_b32 v32, 28, v26 :: v_dual_lshlrev_b32 v34, 27, v26
	v_lshlrev_b32_e32 v35, 26, v26
	v_cmp_gt_i32_e64 s1, 0, v31
	v_mad_u32 v37, 0x44, v26, v0
	v_not_b32_e32 v31, v32
	v_dual_ashrrev_i32 v29, 31, v29 :: v_dual_lshlrev_b32 v36, 25, v26
	v_lshlrev_b32_e32 v26, 24, v26
	v_cmp_gt_i32_e64 s2, 0, v32
	v_cmp_gt_i32_e64 s3, 0, v34
	v_not_b32_e32 v32, v34
	v_not_b32_e32 v34, v35
	v_dual_ashrrev_i32 v31, 31, v31 :: v_dual_bitop2_b32 v9, vcc_lo, v9 bitop3:0x14
	v_xor_b32_e32 v29, s0, v29
	v_cmp_gt_i32_e64 s4, 0, v35
	s_delay_alu instid0(VALU_DEP_4) | instskip(NEXT) | instid1(VALU_DEP_4)
	v_dual_ashrrev_i32 v32, 31, v32 :: v_dual_ashrrev_i32 v34, 31, v34
	v_xor_b32_e32 v31, s2, v31
	s_delay_alu instid0(VALU_DEP_4)
	v_bitop3_b32 v9, v9, v29, exec_lo bitop3:0x80
	v_not_b32_e32 v29, v36
	v_xor_b32_e32 v30, s1, v30
	v_not_b32_e32 v35, v26
	v_xor_b32_e32 v32, s3, v32
	v_xor_b32_e32 v34, s4, v34
	v_cmp_gt_i32_e32 vcc_lo, 0, v36
	v_ashrrev_i32_e32 v29, 31, v29
	v_bitop3_b32 v9, v9, v31, v30 bitop3:0x80
	v_cmp_gt_i32_e64 s0, 0, v26
	v_ashrrev_i32_e32 v26, 31, v35
	ds_load_b32 v30, v37 offset:64
	v_xor_b32_e32 v29, vcc_lo, v29
	v_bitop3_b32 v9, v9, v34, v32 bitop3:0x80
	v_xor_b32_e32 v26, s0, v26
	; wave barrier
	s_delay_alu instid0(VALU_DEP_1) | instskip(NEXT) | instid1(VALU_DEP_1)
	v_bitop3_b32 v9, v9, v26, v29 bitop3:0x80
	v_mbcnt_lo_u32_b32 v31, v9, 0
	v_cmp_ne_u32_e64 s0, 0, v9
	s_delay_alu instid0(VALU_DEP_2) | instskip(SKIP_1) | instid1(SALU_CYCLE_1)
	v_cmp_eq_u32_e32 vcc_lo, 0, v31
	s_and_b32 s1, s0, vcc_lo
	s_and_saveexec_b32 s0, s1
	s_cbranch_execz .LBB2651_101
; %bb.100:
	s_wait_dscnt 0x0
	v_bcnt_u32_b32 v9, v9, v30
	ds_store_b32 v37, v9 offset:64
.LBB2651_101:
	s_or_b32 exec_lo, exec_lo, s0
	v_not_b32_e32 v26, v8
	; wave barrier
	s_delay_alu instid0(VALU_DEP_1) | instskip(NEXT) | instid1(VALU_DEP_1)
	v_lshrrev_b32_e32 v8, s20, v26
	v_and_b32_e32 v9, s5, v8
	s_delay_alu instid0(VALU_DEP_1) | instskip(SKIP_1) | instid1(VALU_DEP_1)
	v_lshlrev_b32_e32 v32, 30, v9
	v_bitop3_b32 v8, v8, 1, s5 bitop3:0x80
	v_add_co_u32 v8, s0, v8, -1
	s_delay_alu instid0(VALU_DEP_1) | instskip(NEXT) | instid1(VALU_DEP_4)
	v_cndmask_b32_e64 v29, 0, 1, s0
	v_cmp_gt_i32_e64 s0, 0, v32
	s_delay_alu instid0(VALU_DEP_2) | instskip(SKIP_1) | instid1(VALU_DEP_1)
	v_cmp_ne_u32_e32 vcc_lo, 0, v29
	v_not_b32_e32 v29, v32
	v_ashrrev_i32_e32 v29, 31, v29
	v_dual_lshlrev_b32 v34, 29, v9 :: v_dual_lshlrev_b32 v35, 28, v9
	v_dual_lshlrev_b32 v36, 27, v9 :: v_dual_lshlrev_b32 v38, 26, v9
	v_mad_u32 v40, 0x44, v9, v0
	s_delay_alu instid0(VALU_DEP_3)
	v_cmp_gt_i32_e64 s1, 0, v34
	v_not_b32_e32 v32, v34
	v_not_b32_e32 v34, v35
	v_dual_lshlrev_b32 v39, 25, v9 :: v_dual_lshlrev_b32 v9, 24, v9
	v_cmp_gt_i32_e64 s2, 0, v35
	v_cmp_gt_i32_e64 s3, 0, v36
	v_not_b32_e32 v35, v36
	v_not_b32_e32 v36, v38
	v_dual_ashrrev_i32 v34, 31, v34 :: v_dual_bitop2_b32 v8, vcc_lo, v8 bitop3:0x14
	v_dual_ashrrev_i32 v32, 31, v32 :: v_dual_bitop2_b32 v29, s0, v29 bitop3:0x14
	v_cmp_gt_i32_e64 s4, 0, v38
	s_delay_alu instid0(VALU_DEP_4) | instskip(NEXT) | instid1(VALU_DEP_4)
	v_dual_ashrrev_i32 v35, 31, v35 :: v_dual_ashrrev_i32 v36, 31, v36
	v_xor_b32_e32 v34, s2, v34
	s_delay_alu instid0(VALU_DEP_4)
	v_bitop3_b32 v8, v8, v29, exec_lo bitop3:0x80
	v_not_b32_e32 v29, v39
	v_xor_b32_e32 v32, s1, v32
	v_not_b32_e32 v38, v9
	v_xor_b32_e32 v35, s3, v35
	v_xor_b32_e32 v36, s4, v36
	v_cmp_gt_i32_e32 vcc_lo, 0, v39
	v_ashrrev_i32_e32 v29, 31, v29
	v_bitop3_b32 v8, v8, v34, v32 bitop3:0x80
	v_cmp_gt_i32_e64 s0, 0, v9
	v_ashrrev_i32_e32 v9, 31, v38
	ds_load_b32 v34, v40 offset:64
	v_xor_b32_e32 v29, vcc_lo, v29
	v_bitop3_b32 v8, v8, v36, v35 bitop3:0x80
	v_xor_b32_e32 v9, s0, v9
	; wave barrier
	s_delay_alu instid0(VALU_DEP_1) | instskip(NEXT) | instid1(VALU_DEP_1)
	v_bitop3_b32 v8, v8, v9, v29 bitop3:0x80
	v_mbcnt_lo_u32_b32 v35, v8, 0
	v_cmp_ne_u32_e64 s0, 0, v8
	s_delay_alu instid0(VALU_DEP_2) | instskip(SKIP_1) | instid1(SALU_CYCLE_1)
	v_cmp_eq_u32_e32 vcc_lo, 0, v35
	s_and_b32 s1, s0, vcc_lo
	s_and_saveexec_b32 s0, s1
	s_cbranch_execz .LBB2651_103
; %bb.102:
	s_wait_dscnt 0x0
	v_bcnt_u32_b32 v8, v8, v34
	ds_store_b32 v40, v8 offset:64
.LBB2651_103:
	s_or_b32 exec_lo, exec_lo, s0
	v_not_b32_e32 v29, v7
	; wave barrier
	s_delay_alu instid0(VALU_DEP_1) | instskip(NEXT) | instid1(VALU_DEP_1)
	v_lshrrev_b32_e32 v7, s20, v29
	v_and_b32_e32 v8, s5, v7
	s_delay_alu instid0(VALU_DEP_1) | instskip(SKIP_1) | instid1(VALU_DEP_1)
	v_lshlrev_b32_e32 v32, 30, v8
	v_bitop3_b32 v7, v7, 1, s5 bitop3:0x80
	v_add_co_u32 v7, s0, v7, -1
	s_delay_alu instid0(VALU_DEP_1) | instskip(NEXT) | instid1(VALU_DEP_4)
	v_cndmask_b32_e64 v9, 0, 1, s0
	v_cmp_gt_i32_e64 s0, 0, v32
	s_delay_alu instid0(VALU_DEP_2) | instskip(SKIP_1) | instid1(VALU_DEP_1)
	v_cmp_ne_u32_e32 vcc_lo, 0, v9
	v_not_b32_e32 v9, v32
	v_dual_ashrrev_i32 v9, 31, v9 :: v_dual_lshlrev_b32 v36, 29, v8
	v_dual_lshlrev_b32 v38, 28, v8 :: v_dual_lshlrev_b32 v39, 27, v8
	v_lshlrev_b32_e32 v41, 26, v8
	v_mad_u32 v44, 0x44, v8, v0
	s_delay_alu instid0(VALU_DEP_4)
	v_cmp_gt_i32_e64 s1, 0, v36
	v_not_b32_e32 v32, v36
	v_not_b32_e32 v36, v38
	v_dual_lshlrev_b32 v42, 25, v8 :: v_dual_lshlrev_b32 v8, 24, v8
	v_cmp_gt_i32_e64 s2, 0, v38
	v_cmp_gt_i32_e64 s3, 0, v39
	v_not_b32_e32 v38, v39
	v_not_b32_e32 v39, v41
	v_dual_ashrrev_i32 v32, 31, v32 :: v_dual_bitop2_b32 v7, vcc_lo, v7 bitop3:0x14
	v_dual_ashrrev_i32 v36, 31, v36 :: v_dual_bitop2_b32 v9, s0, v9 bitop3:0x14
	v_cmp_gt_i32_e64 s4, 0, v41
	s_delay_alu instid0(VALU_DEP_4) | instskip(SKIP_1) | instid1(VALU_DEP_4)
	v_dual_ashrrev_i32 v38, 31, v38 :: v_dual_ashrrev_i32 v39, 31, v39
	v_not_b32_e32 v41, v8
	v_xor_b32_e32 v36, s2, v36
	v_bitop3_b32 v7, v7, v9, exec_lo bitop3:0x80
	v_not_b32_e32 v9, v42
	v_xor_b32_e32 v32, s1, v32
	v_xor_b32_e32 v38, s3, v38
	;; [unrolled: 1-line block ×3, first 2 shown]
	v_cmp_gt_i32_e32 vcc_lo, 0, v42
	v_ashrrev_i32_e32 v9, 31, v9
	v_cmp_gt_i32_e64 s0, 0, v8
	v_ashrrev_i32_e32 v8, 31, v41
	v_bitop3_b32 v7, v7, v36, v32 bitop3:0x80
	s_delay_alu instid0(VALU_DEP_4) | instskip(NEXT) | instid1(VALU_DEP_3)
	v_xor_b32_e32 v9, vcc_lo, v9
	v_xor_b32_e32 v8, s0, v8
	s_delay_alu instid0(VALU_DEP_3) | instskip(SKIP_2) | instid1(VALU_DEP_1)
	v_bitop3_b32 v7, v7, v39, v38 bitop3:0x80
	ds_load_b32 v38, v44 offset:64
	; wave barrier
	v_bitop3_b32 v7, v7, v8, v9 bitop3:0x80
	v_mbcnt_lo_u32_b32 v39, v7, 0
	v_cmp_ne_u32_e64 s0, 0, v7
	s_delay_alu instid0(VALU_DEP_2) | instskip(SKIP_1) | instid1(SALU_CYCLE_1)
	v_cmp_eq_u32_e32 vcc_lo, 0, v39
	s_and_b32 s1, s0, vcc_lo
	s_and_saveexec_b32 s0, s1
	s_cbranch_execz .LBB2651_105
; %bb.104:
	s_wait_dscnt 0x0
	v_bcnt_u32_b32 v7, v7, v38
	ds_store_b32 v44, v7 offset:64
.LBB2651_105:
	s_or_b32 exec_lo, exec_lo, s0
	v_not_b32_e32 v32, v6
	; wave barrier
	s_delay_alu instid0(VALU_DEP_1) | instskip(NEXT) | instid1(VALU_DEP_1)
	v_lshrrev_b32_e32 v6, s20, v32
	v_and_b32_e32 v7, s5, v6
	s_delay_alu instid0(VALU_DEP_1) | instskip(SKIP_1) | instid1(VALU_DEP_1)
	v_lshlrev_b32_e32 v9, 30, v7
	v_bitop3_b32 v6, v6, 1, s5 bitop3:0x80
	v_add_co_u32 v6, s0, v6, -1
	s_delay_alu instid0(VALU_DEP_1) | instskip(NEXT) | instid1(VALU_DEP_4)
	v_cndmask_b32_e64 v8, 0, 1, s0
	v_cmp_gt_i32_e64 s0, 0, v9
	s_delay_alu instid0(VALU_DEP_2) | instskip(SKIP_1) | instid1(VALU_DEP_1)
	v_cmp_ne_u32_e32 vcc_lo, 0, v8
	v_not_b32_e32 v8, v9
	v_dual_ashrrev_i32 v8, 31, v8 :: v_dual_lshlrev_b32 v36, 29, v7
	v_dual_lshlrev_b32 v41, 28, v7 :: v_dual_lshlrev_b32 v42, 27, v7
	v_lshlrev_b32_e32 v43, 26, v7
	v_mad_u32 v47, 0x44, v7, v0
	s_delay_alu instid0(VALU_DEP_4)
	v_cmp_gt_i32_e64 s1, 0, v36
	v_not_b32_e32 v9, v36
	v_not_b32_e32 v36, v41
	v_dual_lshlrev_b32 v45, 25, v7 :: v_dual_lshlrev_b32 v7, 24, v7
	v_cmp_gt_i32_e64 s2, 0, v41
	v_cmp_gt_i32_e64 s3, 0, v42
	v_not_b32_e32 v41, v42
	v_not_b32_e32 v42, v43
	v_dual_ashrrev_i32 v9, 31, v9 :: v_dual_bitop2_b32 v6, vcc_lo, v6 bitop3:0x14
	s_delay_alu instid0(VALU_DEP_3) | instskip(NEXT) | instid1(VALU_DEP_3)
	v_dual_ashrrev_i32 v36, 31, v36 :: v_dual_ashrrev_i32 v41, 31, v41
	v_dual_ashrrev_i32 v42, 31, v42 :: v_dual_bitop2_b32 v8, s0, v8 bitop3:0x14
	v_cmp_gt_i32_e64 s4, 0, v43
	v_not_b32_e32 v43, v7
	s_delay_alu instid0(VALU_DEP_4) | instskip(NEXT) | instid1(VALU_DEP_4)
	v_xor_b32_e32 v36, s2, v36
	v_bitop3_b32 v6, v6, v8, exec_lo bitop3:0x80
	v_not_b32_e32 v8, v45
	v_xor_b32_e32 v9, s1, v9
	v_xor_b32_e32 v41, s3, v41
	;; [unrolled: 1-line block ×3, first 2 shown]
	v_cmp_gt_i32_e32 vcc_lo, 0, v45
	v_ashrrev_i32_e32 v8, 31, v8
	v_cmp_gt_i32_e64 s0, 0, v7
	v_ashrrev_i32_e32 v7, 31, v43
	v_bitop3_b32 v6, v6, v36, v9 bitop3:0x80
	s_delay_alu instid0(VALU_DEP_4) | instskip(NEXT) | instid1(VALU_DEP_3)
	v_xor_b32_e32 v8, vcc_lo, v8
	v_xor_b32_e32 v7, s0, v7
	s_delay_alu instid0(VALU_DEP_3) | instskip(SKIP_2) | instid1(VALU_DEP_1)
	v_bitop3_b32 v6, v6, v42, v41 bitop3:0x80
	ds_load_b32 v42, v47 offset:64
	; wave barrier
	v_bitop3_b32 v6, v6, v7, v8 bitop3:0x80
	v_mbcnt_lo_u32_b32 v43, v6, 0
	v_cmp_ne_u32_e64 s0, 0, v6
	s_delay_alu instid0(VALU_DEP_2) | instskip(SKIP_1) | instid1(SALU_CYCLE_1)
	v_cmp_eq_u32_e32 vcc_lo, 0, v43
	s_and_b32 s1, s0, vcc_lo
	s_and_saveexec_b32 s0, s1
	s_cbranch_execz .LBB2651_107
; %bb.106:
	s_wait_dscnt 0x0
	v_bcnt_u32_b32 v6, v6, v42
	ds_store_b32 v47, v6 offset:64
.LBB2651_107:
	s_or_b32 exec_lo, exec_lo, s0
	v_not_b32_e32 v36, v4
	; wave barrier
	s_delay_alu instid0(VALU_DEP_1) | instskip(NEXT) | instid1(VALU_DEP_1)
	v_lshrrev_b32_e32 v4, s20, v36
	v_and_b32_e32 v6, s5, v4
	s_delay_alu instid0(VALU_DEP_1) | instskip(SKIP_1) | instid1(VALU_DEP_1)
	v_lshlrev_b32_e32 v8, 30, v6
	v_bitop3_b32 v4, v4, 1, s5 bitop3:0x80
	v_add_co_u32 v4, s0, v4, -1
	s_delay_alu instid0(VALU_DEP_1) | instskip(NEXT) | instid1(VALU_DEP_4)
	v_cndmask_b32_e64 v7, 0, 1, s0
	v_cmp_gt_i32_e64 s0, 0, v8
	s_delay_alu instid0(VALU_DEP_2) | instskip(SKIP_1) | instid1(VALU_DEP_1)
	v_cmp_ne_u32_e32 vcc_lo, 0, v7
	v_not_b32_e32 v7, v8
	v_dual_ashrrev_i32 v7, 31, v7 :: v_dual_lshlrev_b32 v9, 29, v6
	v_dual_lshlrev_b32 v41, 28, v6 :: v_dual_lshlrev_b32 v45, 27, v6
	v_lshlrev_b32_e32 v46, 26, v6
	v_mad_u32 v51, 0x44, v6, v0
	s_delay_alu instid0(VALU_DEP_4)
	v_cmp_gt_i32_e64 s1, 0, v9
	v_not_b32_e32 v8, v9
	v_not_b32_e32 v9, v41
	v_dual_lshlrev_b32 v48, 25, v6 :: v_dual_lshlrev_b32 v6, 24, v6
	v_cmp_gt_i32_e64 s2, 0, v41
	v_cmp_gt_i32_e64 s3, 0, v45
	v_not_b32_e32 v41, v45
	v_not_b32_e32 v45, v46
	v_dual_ashrrev_i32 v9, 31, v9 :: v_dual_bitop2_b32 v4, vcc_lo, v4 bitop3:0x14
	v_dual_ashrrev_i32 v8, 31, v8 :: v_dual_bitop2_b32 v7, s0, v7 bitop3:0x14
	v_cmp_gt_i32_e64 s4, 0, v46
	v_ashrrev_i32_e32 v41, 31, v41
	v_not_b32_e32 v46, v6
	s_delay_alu instid0(VALU_DEP_4)
	v_xor_b32_e32 v8, s1, v8
	v_xor_b32_e32 v9, s2, v9
	v_bitop3_b32 v4, v4, v7, exec_lo bitop3:0x80
	v_not_b32_e32 v7, v48
	v_ashrrev_i32_e32 v45, 31, v45
	v_xor_b32_e32 v41, s3, v41
	v_cmp_gt_i32_e32 vcc_lo, 0, v48
	v_cmp_gt_i32_e64 s0, 0, v6
	s_delay_alu instid0(VALU_DEP_4)
	v_dual_ashrrev_i32 v7, 31, v7 :: v_dual_bitop2_b32 v45, s4, v45 bitop3:0x14
	v_ashrrev_i32_e32 v6, 31, v46
	v_bitop3_b32 v4, v4, v9, v8 bitop3:0x80
	ds_load_b32 v46, v51 offset:64
	v_xor_b32_e32 v7, vcc_lo, v7
	v_xor_b32_e32 v6, s0, v6
	v_bitop3_b32 v4, v4, v45, v41 bitop3:0x80
	; wave barrier
	s_delay_alu instid0(VALU_DEP_1) | instskip(NEXT) | instid1(VALU_DEP_1)
	v_bitop3_b32 v4, v4, v6, v7 bitop3:0x80
	v_mbcnt_lo_u32_b32 v48, v4, 0
	v_cmp_ne_u32_e64 s0, 0, v4
	s_delay_alu instid0(VALU_DEP_2) | instskip(SKIP_1) | instid1(SALU_CYCLE_1)
	v_cmp_eq_u32_e32 vcc_lo, 0, v48
	s_and_b32 s1, s0, vcc_lo
	s_and_saveexec_b32 s0, s1
	s_cbranch_execz .LBB2651_109
; %bb.108:
	s_wait_dscnt 0x0
	v_bcnt_u32_b32 v4, v4, v46
	ds_store_b32 v51, v4 offset:64
.LBB2651_109:
	s_or_b32 exec_lo, exec_lo, s0
	v_not_b32_e32 v41, v3
	; wave barrier
	s_delay_alu instid0(VALU_DEP_1) | instskip(NEXT) | instid1(VALU_DEP_1)
	v_lshrrev_b32_e32 v3, s20, v41
	v_and_b32_e32 v4, s5, v3
	s_delay_alu instid0(VALU_DEP_1) | instskip(SKIP_1) | instid1(VALU_DEP_1)
	v_lshlrev_b32_e32 v7, 30, v4
	v_bitop3_b32 v3, v3, 1, s5 bitop3:0x80
	v_add_co_u32 v3, s0, v3, -1
	s_delay_alu instid0(VALU_DEP_1) | instskip(NEXT) | instid1(VALU_DEP_4)
	v_cndmask_b32_e64 v6, 0, 1, s0
	v_cmp_gt_i32_e64 s0, 0, v7
	s_delay_alu instid0(VALU_DEP_2) | instskip(SKIP_1) | instid1(VALU_DEP_1)
	v_cmp_ne_u32_e32 vcc_lo, 0, v6
	v_not_b32_e32 v6, v7
	v_dual_ashrrev_i32 v6, 31, v6 :: v_dual_lshlrev_b32 v8, 29, v4
	v_dual_lshlrev_b32 v9, 28, v4 :: v_dual_lshlrev_b32 v45, 27, v4
	v_lshlrev_b32_e32 v49, 26, v4
	v_mad_u32 v54, 0x44, v4, v0
	s_delay_alu instid0(VALU_DEP_4)
	v_cmp_gt_i32_e64 s1, 0, v8
	v_not_b32_e32 v7, v8
	v_not_b32_e32 v8, v9
	v_dual_lshlrev_b32 v50, 25, v4 :: v_dual_lshlrev_b32 v4, 24, v4
	v_cmp_gt_i32_e64 s2, 0, v9
	v_cmp_gt_i32_e64 s3, 0, v45
	v_not_b32_e32 v9, v45
	v_not_b32_e32 v45, v49
	v_dual_ashrrev_i32 v8, 31, v8 :: v_dual_bitop2_b32 v3, vcc_lo, v3 bitop3:0x14
	v_dual_ashrrev_i32 v7, 31, v7 :: v_dual_bitop2_b32 v6, s0, v6 bitop3:0x14
	v_cmp_gt_i32_e64 s4, 0, v49
	v_ashrrev_i32_e32 v9, 31, v9
	s_delay_alu instid0(VALU_DEP_4) | instskip(NEXT) | instid1(VALU_DEP_4)
	v_dual_ashrrev_i32 v45, 31, v45 :: v_dual_bitop2_b32 v8, s2, v8 bitop3:0x14
	v_xor_b32_e32 v7, s1, v7
	v_bitop3_b32 v3, v3, v6, exec_lo bitop3:0x80
	v_not_b32_e32 v6, v50
	v_not_b32_e32 v49, v4
	v_xor_b32_e32 v9, s3, v9
	v_xor_b32_e32 v45, s4, v45
	v_bitop3_b32 v3, v3, v8, v7 bitop3:0x80
	v_cmp_gt_i32_e32 vcc_lo, 0, v50
	v_ashrrev_i32_e32 v6, 31, v6
	v_cmp_gt_i32_e64 s0, 0, v4
	v_ashrrev_i32_e32 v4, 31, v49
	v_bitop3_b32 v3, v3, v45, v9 bitop3:0x80
	ds_load_b32 v50, v54 offset:64
	v_xor_b32_e32 v6, vcc_lo, v6
	v_xor_b32_e32 v4, s0, v4
	; wave barrier
	s_delay_alu instid0(VALU_DEP_1) | instskip(NEXT) | instid1(VALU_DEP_1)
	v_bitop3_b32 v3, v3, v4, v6 bitop3:0x80
	v_mbcnt_lo_u32_b32 v52, v3, 0
	v_cmp_ne_u32_e64 s0, 0, v3
	s_delay_alu instid0(VALU_DEP_2) | instskip(SKIP_1) | instid1(SALU_CYCLE_1)
	v_cmp_eq_u32_e32 vcc_lo, 0, v52
	s_and_b32 s1, s0, vcc_lo
	s_and_saveexec_b32 s0, s1
	s_cbranch_execz .LBB2651_111
; %bb.110:
	s_wait_dscnt 0x0
	v_bcnt_u32_b32 v3, v3, v50
	ds_store_b32 v54, v3 offset:64
.LBB2651_111:
	s_or_b32 exec_lo, exec_lo, s0
	v_not_b32_e32 v45, v2
	; wave barrier
	s_delay_alu instid0(VALU_DEP_1) | instskip(NEXT) | instid1(VALU_DEP_1)
	v_lshrrev_b32_e32 v2, s20, v45
	v_and_b32_e32 v3, s5, v2
	s_delay_alu instid0(VALU_DEP_1) | instskip(SKIP_1) | instid1(VALU_DEP_1)
	v_lshlrev_b32_e32 v6, 30, v3
	v_bitop3_b32 v2, v2, 1, s5 bitop3:0x80
	v_add_co_u32 v2, s0, v2, -1
	s_delay_alu instid0(VALU_DEP_1) | instskip(NEXT) | instid1(VALU_DEP_4)
	v_cndmask_b32_e64 v4, 0, 1, s0
	v_cmp_gt_i32_e64 s0, 0, v6
	s_delay_alu instid0(VALU_DEP_2) | instskip(SKIP_1) | instid1(VALU_DEP_1)
	v_cmp_ne_u32_e32 vcc_lo, 0, v4
	v_not_b32_e32 v4, v6
	v_dual_ashrrev_i32 v4, 31, v4 :: v_dual_lshlrev_b32 v7, 29, v3
	v_dual_lshlrev_b32 v8, 28, v3 :: v_dual_lshlrev_b32 v9, 27, v3
	v_lshlrev_b32_e32 v49, 26, v3
	v_mad_u32 v56, 0x44, v3, v0
	s_delay_alu instid0(VALU_DEP_4)
	v_cmp_gt_i32_e64 s1, 0, v7
	v_not_b32_e32 v6, v7
	v_not_b32_e32 v7, v8
	v_dual_lshlrev_b32 v53, 25, v3 :: v_dual_lshlrev_b32 v3, 24, v3
	v_cmp_gt_i32_e64 s2, 0, v8
	v_cmp_gt_i32_e64 s3, 0, v9
	v_not_b32_e32 v8, v9
	v_not_b32_e32 v9, v49
	v_dual_ashrrev_i32 v7, 31, v7 :: v_dual_bitop2_b32 v2, vcc_lo, v2 bitop3:0x14
	v_dual_ashrrev_i32 v6, 31, v6 :: v_dual_bitop2_b32 v4, s0, v4 bitop3:0x14
	v_cmp_gt_i32_e64 s4, 0, v49
	s_delay_alu instid0(VALU_DEP_4)
	v_dual_ashrrev_i32 v8, 31, v8 :: v_dual_ashrrev_i32 v9, 31, v9
	v_not_b32_e32 v49, v3
	v_xor_b32_e32 v7, s2, v7
	v_bitop3_b32 v2, v2, v4, exec_lo bitop3:0x80
	v_not_b32_e32 v4, v53
	v_xor_b32_e32 v6, s1, v6
	v_xor_b32_e32 v8, s3, v8
	;; [unrolled: 1-line block ×3, first 2 shown]
	v_cmp_gt_i32_e32 vcc_lo, 0, v53
	v_ashrrev_i32_e32 v4, 31, v4
	v_cmp_gt_i32_e64 s0, 0, v3
	v_ashrrev_i32_e32 v3, 31, v49
	v_bitop3_b32 v2, v2, v7, v6 bitop3:0x80
	ds_load_b32 v53, v56 offset:64
	v_xor_b32_e32 v4, vcc_lo, v4
	v_xor_b32_e32 v3, s0, v3
	v_bitop3_b32 v2, v2, v9, v8 bitop3:0x80
	; wave barrier
	s_delay_alu instid0(VALU_DEP_1) | instskip(NEXT) | instid1(VALU_DEP_1)
	v_bitop3_b32 v2, v2, v3, v4 bitop3:0x80
	v_mbcnt_lo_u32_b32 v55, v2, 0
	v_cmp_ne_u32_e64 s0, 0, v2
	s_delay_alu instid0(VALU_DEP_2) | instskip(SKIP_1) | instid1(SALU_CYCLE_1)
	v_cmp_eq_u32_e32 vcc_lo, 0, v55
	s_and_b32 s1, s0, vcc_lo
	s_and_saveexec_b32 s0, s1
	s_cbranch_execz .LBB2651_113
; %bb.112:
	s_wait_dscnt 0x0
	v_bcnt_u32_b32 v2, v2, v53
	ds_store_b32 v56, v2 offset:64
.LBB2651_113:
	s_or_b32 exec_lo, exec_lo, s0
	v_not_b32_e32 v49, v1
	; wave barrier
	s_delay_alu instid0(VALU_DEP_1) | instskip(NEXT) | instid1(VALU_DEP_1)
	v_lshrrev_b32_e32 v1, s20, v49
	v_and_b32_e32 v2, s5, v1
	s_delay_alu instid0(VALU_DEP_1) | instskip(SKIP_2) | instid1(VALU_DEP_2)
	v_lshlrev_b32_e32 v3, 30, v2
	v_bitop3_b32 v1, v1, 1, s5 bitop3:0x80
	v_mad_u32 v59, 0x44, v2, v0
	v_add_co_u32 v0, s0, v1, -1
	s_delay_alu instid0(VALU_DEP_1) | instskip(SKIP_4) | instid1(VALU_DEP_1)
	v_cndmask_b32_e64 v1, 0, 1, s0
	v_cmp_gt_i32_e64 s0, 0, v3
	ds_load_b32 v57, v59 offset:64
	v_cmp_ne_u32_e32 vcc_lo, 0, v1
	v_not_b32_e32 v1, v3
	; wave barrier
	v_dual_ashrrev_i32 v1, 31, v1 :: v_dual_lshlrev_b32 v4, 29, v2
	v_dual_lshlrev_b32 v6, 28, v2 :: v_dual_lshlrev_b32 v7, 27, v2
	v_dual_lshlrev_b32 v8, 26, v2 :: v_dual_lshlrev_b32 v9, 25, v2
	v_lshlrev_b32_e32 v2, 24, v2
	s_delay_alu instid0(VALU_DEP_4)
	v_cmp_gt_i32_e64 s1, 0, v4
	v_not_b32_e32 v3, v4
	v_not_b32_e32 v4, v6
	v_cmp_gt_i32_e64 s2, 0, v6
	v_cmp_gt_i32_e64 s3, 0, v7
	v_not_b32_e32 v6, v7
	v_not_b32_e32 v7, v8
	v_dual_ashrrev_i32 v3, 31, v3 :: v_dual_bitop2_b32 v0, vcc_lo, v0 bitop3:0x14
	v_dual_ashrrev_i32 v4, 31, v4 :: v_dual_bitop2_b32 v1, s0, v1 bitop3:0x14
	v_cmp_gt_i32_e64 s4, 0, v8
	s_delay_alu instid0(VALU_DEP_4) | instskip(NEXT) | instid1(VALU_DEP_3)
	v_dual_ashrrev_i32 v6, 31, v6 :: v_dual_ashrrev_i32 v7, 31, v7
	v_xor_b32_e32 v4, s2, v4
	s_delay_alu instid0(VALU_DEP_4)
	v_bitop3_b32 v0, v0, v1, exec_lo bitop3:0x80
	v_not_b32_e32 v1, v9
	v_xor_b32_e32 v3, s1, v3
	v_not_b32_e32 v8, v2
	v_xor_b32_e32 v6, s3, v6
	v_xor_b32_e32 v7, s4, v7
	v_cmp_gt_i32_e32 vcc_lo, 0, v9
	v_ashrrev_i32_e32 v1, 31, v1
	v_bitop3_b32 v0, v0, v4, v3 bitop3:0x80
	v_cmp_gt_i32_e64 s0, 0, v2
	s_delay_alu instid0(VALU_DEP_3) | instskip(NEXT) | instid1(VALU_DEP_3)
	v_dual_ashrrev_i32 v2, 31, v8 :: v_dual_bitop2_b32 v1, vcc_lo, v1 bitop3:0x14
	v_bitop3_b32 v0, v0, v7, v6 bitop3:0x80
	s_delay_alu instid0(VALU_DEP_2) | instskip(NEXT) | instid1(VALU_DEP_1)
	v_xor_b32_e32 v2, s0, v2
	v_bitop3_b32 v0, v0, v2, v1 bitop3:0x80
	s_delay_alu instid0(VALU_DEP_1) | instskip(SKIP_1) | instid1(VALU_DEP_2)
	v_mbcnt_lo_u32_b32 v58, v0, 0
	v_cmp_ne_u32_e64 s0, 0, v0
	v_cmp_eq_u32_e32 vcc_lo, 0, v58
	s_and_b32 s1, s0, vcc_lo
	s_delay_alu instid0(SALU_CYCLE_1)
	s_and_saveexec_b32 s0, s1
	s_cbranch_execz .LBB2651_115
; %bb.114:
	s_wait_dscnt 0x0
	v_bcnt_u32_b32 v0, v0, v57
	ds_store_b32 v59, v0 offset:64
.LBB2651_115:
	s_or_b32 exec_lo, exec_lo, s0
	; wave barrier
	s_wait_dscnt 0x0
	s_barrier_signal -1
	s_barrier_wait -1
	ds_load_2addr_b32 v[8:9], v10 offset0:16 offset1:17
	ds_load_2addr_b32 v[6:7], v10 offset0:18 offset1:19
	;; [unrolled: 1-line block ×4, first 2 shown]
	ds_load_b32 v4, v10 offset:96
	v_min_u32_e32 v17, 0x1e0, v17
	s_mov_b32 s4, exec_lo
	s_delay_alu instid0(VALU_DEP_1) | instskip(SKIP_3) | instid1(VALU_DEP_1)
	v_or_b32_e32 v62, 31, v17
	s_wait_dscnt 0x3
	v_add3_u32 v60, v9, v8, v6
	s_wait_dscnt 0x2
	v_add3_u32 v60, v60, v7, v2
	s_wait_dscnt 0x1
	s_delay_alu instid0(VALU_DEP_1) | instskip(SKIP_1) | instid1(VALU_DEP_1)
	v_add3_u32 v60, v60, v3, v0
	s_wait_dscnt 0x0
	v_add3_u32 v4, v60, v1, v4
	v_and_b32_e32 v60, 15, v16
	s_delay_alu instid0(VALU_DEP_2) | instskip(NEXT) | instid1(VALU_DEP_2)
	v_mov_b32_dpp v61, v4 row_shr:1 row_mask:0xf bank_mask:0xf
	v_cmp_eq_u32_e32 vcc_lo, 0, v60
	v_cmp_lt_u32_e64 s0, 1, v60
	s_delay_alu instid0(VALU_DEP_3) | instskip(NEXT) | instid1(VALU_DEP_1)
	v_cndmask_b32_e64 v61, v61, 0, vcc_lo
	v_add_nc_u32_e32 v4, v61, v4
	s_delay_alu instid0(VALU_DEP_1) | instskip(NEXT) | instid1(VALU_DEP_1)
	v_mov_b32_dpp v61, v4 row_shr:2 row_mask:0xf bank_mask:0xf
	v_cndmask_b32_e64 v61, 0, v61, s0
	v_cmp_lt_u32_e64 s2, 7, v60
	v_cmp_lt_u32_e64 s1, 3, v60
	s_delay_alu instid0(VALU_DEP_3) | instskip(NEXT) | instid1(VALU_DEP_1)
	v_add_nc_u32_e32 v4, v4, v61
	v_mov_b32_dpp v61, v4 row_shr:4 row_mask:0xf bank_mask:0xf
	s_delay_alu instid0(VALU_DEP_1) | instskip(NEXT) | instid1(VALU_DEP_1)
	v_cndmask_b32_e64 v61, 0, v61, s1
	v_add_nc_u32_e32 v4, v4, v61
	s_delay_alu instid0(VALU_DEP_1) | instskip(NEXT) | instid1(VALU_DEP_1)
	v_mov_b32_dpp v61, v4 row_shr:8 row_mask:0xf bank_mask:0xf
	v_cndmask_b32_e64 v60, 0, v61, s2
	v_bfe_i32 v61, v16, 4, 1
	s_delay_alu instid0(VALU_DEP_2) | instskip(SKIP_3) | instid1(VALU_DEP_1)
	v_add_nc_u32_e32 v4, v4, v60
	ds_swizzle_b32 v60, v4 offset:swizzle(BROADCAST,32,15)
	s_wait_dscnt 0x0
	v_dual_lshrrev_b32 v60, 5, v14 :: v_dual_bitop2_b32 v61, v61, v60 bitop3:0x40
	v_add_nc_u32_e32 v17, v4, v61
	v_cmpx_eq_u32_e64 v14, v62
; %bb.116:
	s_delay_alu instid0(VALU_DEP_3)
	v_lshlrev_b32_e32 v4, 2, v60
	ds_store_b32 v4, v17
; %bb.117:
	s_or_b32 exec_lo, exec_lo, s4
	v_lshlrev_b32_e32 v4, 2, v14
	s_mov_b32 s4, exec_lo
	s_wait_dscnt 0x0
	s_barrier_signal -1
	s_barrier_wait -1
	v_cmpx_gt_u32_e32 16, v14
	s_cbranch_execz .LBB2651_119
; %bb.118:
	ds_load_b32 v61, v4
	s_wait_dscnt 0x0
	v_mov_b32_dpp v62, v61 row_shr:1 row_mask:0xf bank_mask:0xf
	s_delay_alu instid0(VALU_DEP_1) | instskip(NEXT) | instid1(VALU_DEP_1)
	v_cndmask_b32_e64 v62, v62, 0, vcc_lo
	v_add_nc_u32_e32 v61, v62, v61
	s_delay_alu instid0(VALU_DEP_1) | instskip(NEXT) | instid1(VALU_DEP_1)
	v_mov_b32_dpp v62, v61 row_shr:2 row_mask:0xf bank_mask:0xf
	v_cndmask_b32_e64 v62, 0, v62, s0
	s_delay_alu instid0(VALU_DEP_1) | instskip(NEXT) | instid1(VALU_DEP_1)
	v_add_nc_u32_e32 v61, v61, v62
	v_mov_b32_dpp v62, v61 row_shr:4 row_mask:0xf bank_mask:0xf
	s_delay_alu instid0(VALU_DEP_1) | instskip(NEXT) | instid1(VALU_DEP_1)
	v_cndmask_b32_e64 v62, 0, v62, s1
	v_add_nc_u32_e32 v61, v61, v62
	s_delay_alu instid0(VALU_DEP_1) | instskip(NEXT) | instid1(VALU_DEP_1)
	v_mov_b32_dpp v62, v61 row_shr:8 row_mask:0xf bank_mask:0xf
	v_cndmask_b32_e64 v62, 0, v62, s2
	s_delay_alu instid0(VALU_DEP_1)
	v_add_nc_u32_e32 v61, v61, v62
	ds_store_b32 v4, v61
.LBB2651_119:
	s_or_b32 exec_lo, exec_lo, s4
	v_mov_b32_e32 v61, 0
	s_mov_b32 s0, exec_lo
	s_wait_dscnt 0x0
	s_barrier_signal -1
	s_barrier_wait -1
	v_cmpx_lt_u32_e32 31, v14
; %bb.120:
	v_lshl_add_u32 v60, v60, 2, -4
	ds_load_b32 v61, v60
; %bb.121:
	s_or_b32 exec_lo, exec_lo, s0
	v_sub_co_u32 v60, vcc_lo, v16, 1
	s_wait_dscnt 0x0
	v_add_nc_u32_e32 v17, v61, v17
	s_delay_alu instid0(VALU_DEP_2) | instskip(NEXT) | instid1(VALU_DEP_1)
	v_cmp_gt_i32_e64 s0, 0, v60
	v_cndmask_b32_e64 v16, v60, v16, s0
	v_cmp_lt_u32_e64 s0, 0xff, v14
	s_delay_alu instid0(VALU_DEP_2) | instskip(SKIP_4) | instid1(VALU_DEP_2)
	v_lshlrev_b32_e32 v16, 2, v16
	ds_bpermute_b32 v16, v16, v17
	s_wait_dscnt 0x0
	v_cndmask_b32_e32 v16, v16, v61, vcc_lo
	v_cmp_ne_u32_e32 vcc_lo, 0, v14
	v_cndmask_b32_e32 v16, 0, v16, vcc_lo
	v_cmp_gt_u32_e32 vcc_lo, 0x100, v14
	s_delay_alu instid0(VALU_DEP_2) | instskip(NEXT) | instid1(VALU_DEP_1)
	v_add_nc_u32_e32 v8, v16, v8
	v_add_nc_u32_e32 v9, v8, v9
	s_delay_alu instid0(VALU_DEP_1) | instskip(NEXT) | instid1(VALU_DEP_1)
	v_add_nc_u32_e32 v6, v9, v6
	v_add_nc_u32_e32 v7, v6, v7
	s_delay_alu instid0(VALU_DEP_1) | instskip(NEXT) | instid1(VALU_DEP_1)
	;; [unrolled: 3-line block ×3, first 2 shown]
	v_add_nc_u32_e32 v0, v3, v0
	v_add_nc_u32_e32 v1, v0, v1
	ds_store_2addr_b32 v10, v16, v8 offset0:16 offset1:17
	ds_store_2addr_b32 v10, v9, v6 offset0:18 offset1:19
	;; [unrolled: 1-line block ×4, first 2 shown]
	ds_store_b32 v10, v1 offset:96
	s_wait_dscnt 0x0
	s_barrier_signal -1
	s_barrier_wait -1
	ds_load_b32 v62, v11 offset:64
	ds_load_b32 v60, v12 offset:64
	;; [unrolled: 1-line block ×12, first 2 shown]
	v_mov_b64_e32 v[0:1], 0
                                        ; implicit-def: $vgpr2
	s_and_saveexec_b32 s2, vcc_lo
	s_cbranch_execz .LBB2651_125
; %bb.122:
	v_mul_u32_u24_e32 v0, 0x44, v14
	v_dual_mov_b32 v1, 0x1800 :: v_dual_add_nc_u32 v2, 1, v14
	s_mov_b32 s3, exec_lo
	ds_load_b32 v0, v0 offset:64
	v_cmpx_ne_u32_e32 0x100, v2
; %bb.123:
	v_mul_u32_u24_e32 v1, 0x44, v2
	ds_load_b32 v1, v1 offset:64
; %bb.124:
	s_or_b32 exec_lo, exec_lo, s3
	s_wait_dscnt 0x0
	v_dual_mov_b32 v1, 0 :: v_dual_sub_nc_u32 v2, v1, v0
.LBB2651_125:
	s_or_b32 exec_lo, exec_lo, s2
	v_dual_mov_b32 v7, 0 :: v_dual_lshlrev_b32 v3, 3, v14
	s_wait_dscnt 0x0
	s_barrier_signal -1
	s_barrier_wait -1
	s_and_saveexec_b32 s1, vcc_lo
	s_cbranch_execz .LBB2651_135
; %bb.126:
	v_lshl_add_u32 v6, s9, 8, v14
	v_dual_mov_b32 v10, 0 :: v_dual_bitop2_b32 v11, 2.0, v2 bitop3:0x54
	s_mov_b32 s2, 0
	s_mov_b32 s3, s9
	s_delay_alu instid0(VALU_DEP_2)
	v_lshl_add_u64 v[8:9], v[6:7], 2, s[10:11]
	global_store_b32 v6, v11, s[10:11] scale_offset scope:SCOPE_DEV
                                        ; implicit-def: $sgpr4
	s_branch .LBB2651_129
.LBB2651_127:                           ;   in Loop: Header=BB2651_129 Depth=1
	s_or_b32 exec_lo, exec_lo, s6
.LBB2651_128:                           ;   in Loop: Header=BB2651_129 Depth=1
	s_delay_alu instid0(SALU_CYCLE_1) | instskip(SKIP_2) | instid1(VALU_DEP_2)
	s_or_b32 exec_lo, exec_lo, s4
	v_and_b32_e32 v6, 0x3fffffff, v11
	v_cmp_gt_i32_e64 s4, -2.0, v11
	v_add_nc_u32_e32 v10, v6, v10
	s_and_b32 s6, exec_lo, s4
	s_delay_alu instid0(SALU_CYCLE_1) | instskip(NEXT) | instid1(SALU_CYCLE_1)
	s_or_b32 s2, s6, s2
	s_and_not1_b32 exec_lo, exec_lo, s2
	s_cbranch_execz .LBB2651_134
.LBB2651_129:                           ; =>This Loop Header: Depth=1
                                        ;     Child Loop BB2651_132 Depth 2
	s_or_b32 s4, s4, exec_lo
	s_cmp_eq_u32 s3, 0
	s_cbranch_scc1 .LBB2651_133
; %bb.130:                              ;   in Loop: Header=BB2651_129 Depth=1
	s_add_co_i32 s3, s3, -1
	s_mov_b32 s4, exec_lo
	s_wait_xcnt 0x0
	v_lshl_or_b32 v6, s3, 8, v14
	global_load_b32 v11, v6, s[10:11] scale_offset scope:SCOPE_DEV
	s_wait_loadcnt 0x0
	v_cmpx_gt_u32_e32 2.0, v11
	s_cbranch_execz .LBB2651_128
; %bb.131:                              ;   in Loop: Header=BB2651_129 Depth=1
	v_lshl_add_u64 v[12:13], v[6:7], 2, s[10:11]
	s_mov_b32 s6, 0
.LBB2651_132:                           ;   Parent Loop BB2651_129 Depth=1
                                        ; =>  This Inner Loop Header: Depth=2
	global_load_b32 v11, v[12:13], off scope:SCOPE_DEV
	s_wait_loadcnt 0x0
	v_cmp_lt_u32_e32 vcc_lo, 0x3fffffff, v11
	s_or_b32 s6, vcc_lo, s6
	s_wait_xcnt 0x0
	s_and_not1_b32 exec_lo, exec_lo, s6
	s_cbranch_execnz .LBB2651_132
	s_branch .LBB2651_127
.LBB2651_133:                           ;   in Loop: Header=BB2651_129 Depth=1
                                        ; implicit-def: $sgpr3
	s_and_b32 s6, exec_lo, s4
	s_delay_alu instid0(SALU_CYCLE_1)
	s_or_b32 s2, s6, s2
	s_wait_xcnt 0x0
	s_and_not1_b32 exec_lo, exec_lo, s2
	s_cbranch_execnz .LBB2651_129
.LBB2651_134:
	s_or_b32 exec_lo, exec_lo, s2
	v_dual_mov_b32 v11, 0 :: v_dual_add_nc_u32 v6, v10, v2
	s_delay_alu instid0(VALU_DEP_1) | instskip(SKIP_4) | instid1(VALU_DEP_1)
	v_or_b32_e32 v6, 0x80000000, v6
	global_store_b32 v[8:9], v6, off scope:SCOPE_DEV
	global_load_b64 v[6:7], v14, s[12:13] scale_offset
	v_sub_nc_u64_e32 v[8:9], v[10:11], v[0:1]
	s_wait_loadcnt 0x0
	v_add_nc_u64_e32 v[6:7], v[8:9], v[6:7]
	ds_store_b64 v3, v[6:7]
.LBB2651_135:
	s_wait_xcnt 0x0
	s_or_b32 exec_lo, exec_lo, s1
	v_dual_add_nc_u32 v6, v62, v5 :: v_dual_sub_nc_u32 v56, 0, v4
	v_mov_b32_e32 v5, 0
	v_add3_u32 v21, v22, v60, v21
	v_add3_u32 v7, v58, v54, v57
	;; [unrolled: 1-line block ×3, first 2 shown]
	v_add_nc_u32_e32 v22, v3, v56
	v_add_nc_u64_e32 v[4:5], s[18:19], v[4:5]
	v_add3_u32 v9, v52, v47, v50
	v_add3_u32 v10, v48, v44, v46
	;; [unrolled: 1-line block ×6, first 2 shown]
	v_add_nc_u64_e32 v[4:5], 0x2000, v[4:5]
	v_add3_u32 v17, v28, v17, v27
	v_add3_u32 v24, v25, v61, v24
	v_mov_b32_e32 v25, v14
	s_mov_b32 s1, 0
	s_mov_b32 s2, -1
	s_branch .LBB2651_137
.LBB2651_136:                           ;   in Loop: Header=BB2651_137 Depth=1
	s_wait_xcnt 0x0
	s_or_b32 exec_lo, exec_lo, s3
	v_add_nc_u64_e32 v[4:5], 0x4000, v[4:5]
	v_add_nc_u32_e32 v25, 0x1000, v25
	s_xor_b32 s2, s2, -1
	s_addk_co_i32 s1, 0xf000
	s_and_b32 vcc_lo, exec_lo, s2
	s_mov_b32 s2, 0
	s_wait_storecnt 0x0
	s_barrier_signal -1
	s_barrier_wait -1
	s_cbranch_vccnz .LBB2651_147
.LBB2651_137:                           ; =>This Inner Loop Header: Depth=1
	v_add_min_u32_e64 v27, v6, s1, 0x1000
	v_add_min_u32_e64 v28, v21, s1, 0x1000
	;; [unrolled: 1-line block ×5, first 2 shown]
	s_delay_alu instid0(VALU_DEP_4)
	v_dual_lshlrev_b32 v27, 2, v27 :: v_dual_lshlrev_b32 v28, 2, v28
	v_add_min_u32_e64 v34, v13, s1, 0x1000
	v_add_min_u32_e64 v35, v12, s1, 0x1000
	s_mov_b32 s3, exec_lo
	ds_store_b32 v27, v15 offset:2048
	ds_store_b32 v28, v18 offset:2048
	v_dual_lshlrev_b32 v27, 2, v30 :: v_dual_lshlrev_b32 v28, 2, v31
	v_dual_lshlrev_b32 v30, 2, v33 :: v_dual_lshlrev_b32 v31, 2, v34
	v_lshlrev_b32_e32 v33, 2, v35
	ds_store_b32 v27, v19 offset:2048
	ds_store_b32 v28, v20 offset:2048
	;; [unrolled: 1-line block ×5, first 2 shown]
	v_add_min_u32_e64 v27, v11, s1, 0x1000
	v_add_min_u32_e64 v28, v10, s1, 0x1000
	;; [unrolled: 1-line block ×5, first 2 shown]
	s_delay_alu instid0(VALU_DEP_4) | instskip(NEXT) | instid1(VALU_DEP_3)
	v_dual_lshlrev_b32 v27, 2, v27 :: v_dual_lshlrev_b32 v28, 2, v28
	v_dual_lshlrev_b32 v30, 2, v30 :: v_dual_lshlrev_b32 v31, 2, v31
	s_delay_alu instid0(VALU_DEP_3)
	v_lshlrev_b32_e32 v33, 2, v33
	ds_store_b32 v27, v32 offset:2048
	ds_store_b32 v28, v36 offset:2048
	;; [unrolled: 1-line block ×5, first 2 shown]
	s_wait_storecnt_dscnt 0x0
	s_barrier_signal -1
	s_barrier_wait -1
	ds_load_2addr_stride64_b32 v[30:31], v22 offset0:8 offset1:16
	s_wait_dscnt 0x0
	v_dual_lshrrev_b32 v27, s20, v31 :: v_dual_lshrrev_b32 v28, s20, v30
	s_delay_alu instid0(VALU_DEP_1) | instskip(NEXT) | instid1(VALU_DEP_1)
	v_and_b32_e32 v28, s5, v28
	v_dual_lshlrev_b32 v28, 3, v28 :: v_dual_bitop2_b32 v27, s5, v27 bitop3:0x40
	s_delay_alu instid0(VALU_DEP_1)
	v_lshlrev_b32_e32 v27, 3, v27
	ds_load_b64 v[34:35], v27
	ds_load_b32 v27, v22 offset:6144
	s_wait_dscnt 0x0
	v_lshrrev_b32_e32 v33, s20, v27
	v_not_b32_e32 v27, v27
	s_delay_alu instid0(VALU_DEP_2) | instskip(NEXT) | instid1(VALU_DEP_1)
	v_and_b32_e32 v33, s5, v33
	v_lshlrev_b32_e32 v33, 3, v33
	ds_load_b64 v[38:39], v28
	ds_load_b64 v[42:43], v33
	v_not_b32_e32 v28, v30
	v_not_b32_e32 v33, v31
	v_lshl_add_u64 v[30:31], v[34:35], 2, v[4:5]
	s_wait_dscnt 0x1
	v_lshl_add_u64 v[38:39], v[38:39], 2, v[4:5]
	s_wait_dscnt 0x0
	v_lshl_add_u64 v[34:35], v[42:43], 2, v[4:5]
	s_clause 0x2
	global_store_b32 v[38:39], v28, off offset:-8192
	global_store_b32 v[30:31], v33, off offset:-6144
	global_store_b32 v[34:35], v27, off offset:-4096
	s_wait_xcnt 0x0
	v_cmpx_gt_u32_e32 0x1200, v25
	s_cbranch_execz .LBB2651_139
; %bb.138:                              ;   in Loop: Header=BB2651_137 Depth=1
	ds_load_b32 v27, v22 offset:8192
	s_wait_dscnt 0x0
	v_lshrrev_b32_e32 v28, s20, v27
	v_not_b32_e32 v27, v27
	s_delay_alu instid0(VALU_DEP_2) | instskip(NEXT) | instid1(VALU_DEP_1)
	v_and_b32_e32 v28, s5, v28
	v_lshlrev_b32_e32 v28, 3, v28
	ds_load_b64 v[30:31], v28
	s_wait_dscnt 0x0
	v_lshl_add_u64 v[30:31], v[30:31], 2, v[4:5]
	global_store_b32 v[30:31], v27, off offset:-2048
.LBB2651_139:                           ;   in Loop: Header=BB2651_137 Depth=1
	s_wait_xcnt 0x0
	s_or_b32 exec_lo, exec_lo, s3
	v_add_nc_u32_e32 v27, 0x800, v25
	s_mov_b32 s3, exec_lo
	s_delay_alu instid0(VALU_DEP_1)
	v_cmpx_gt_u32_e32 0x1800, v27
	s_cbranch_execz .LBB2651_141
; %bb.140:                              ;   in Loop: Header=BB2651_137 Depth=1
	ds_load_b32 v27, v22 offset:10240
	s_wait_dscnt 0x0
	v_lshrrev_b32_e32 v28, s20, v27
	v_not_b32_e32 v27, v27
	s_delay_alu instid0(VALU_DEP_2) | instskip(NEXT) | instid1(VALU_DEP_1)
	v_and_b32_e32 v28, s5, v28
	v_lshlrev_b32_e32 v28, 3, v28
	ds_load_b64 v[30:31], v28
	s_wait_dscnt 0x0
	v_lshl_add_u64 v[30:31], v[30:31], 2, v[4:5]
	global_store_b32 v[30:31], v27, off
.LBB2651_141:                           ;   in Loop: Header=BB2651_137 Depth=1
	s_wait_xcnt 0x0
	s_or_b32 exec_lo, exec_lo, s3
	s_delay_alu instid0(SALU_CYCLE_1)
	s_mov_b32 s3, exec_lo
	v_cmpx_gt_u32_e32 0xe00, v25
	s_cbranch_execz .LBB2651_143
; %bb.142:                              ;   in Loop: Header=BB2651_137 Depth=1
	ds_load_b32 v27, v22 offset:12288
	s_wait_dscnt 0x0
	v_lshrrev_b32_e32 v28, s20, v27
	v_not_b32_e32 v27, v27
	s_delay_alu instid0(VALU_DEP_2) | instskip(NEXT) | instid1(VALU_DEP_1)
	v_and_b32_e32 v28, s5, v28
	v_lshlrev_b32_e32 v28, 3, v28
	ds_load_b64 v[30:31], v28
	s_wait_dscnt 0x0
	v_lshl_add_u64 v[30:31], v[30:31], 2, v[4:5]
	global_store_b32 v[30:31], v27, off offset:2048
.LBB2651_143:                           ;   in Loop: Header=BB2651_137 Depth=1
	s_wait_xcnt 0x0
	s_or_b32 exec_lo, exec_lo, s3
	v_add_nc_u32_e32 v27, 0xc00, v25
	s_mov_b32 s3, exec_lo
	s_delay_alu instid0(VALU_DEP_1)
	v_cmpx_gt_u32_e32 0x1800, v27
	s_cbranch_execz .LBB2651_145
; %bb.144:                              ;   in Loop: Header=BB2651_137 Depth=1
	ds_load_b32 v27, v22 offset:14336
	s_wait_dscnt 0x0
	v_lshrrev_b32_e32 v28, s20, v27
	v_not_b32_e32 v27, v27
	s_delay_alu instid0(VALU_DEP_2) | instskip(NEXT) | instid1(VALU_DEP_1)
	v_and_b32_e32 v28, s5, v28
	v_lshlrev_b32_e32 v28, 3, v28
	ds_load_b64 v[30:31], v28
	s_wait_dscnt 0x0
	v_lshl_add_u64 v[30:31], v[30:31], 2, v[4:5]
	global_store_b32 v[30:31], v27, off offset:4096
.LBB2651_145:                           ;   in Loop: Header=BB2651_137 Depth=1
	s_wait_xcnt 0x0
	s_or_b32 exec_lo, exec_lo, s3
	s_delay_alu instid0(SALU_CYCLE_1)
	s_mov_b32 s3, exec_lo
	v_cmpx_gt_u32_e32 0xa00, v25
	s_cbranch_execz .LBB2651_136
; %bb.146:                              ;   in Loop: Header=BB2651_137 Depth=1
	ds_load_b32 v27, v22 offset:16384
	s_wait_dscnt 0x0
	v_lshrrev_b32_e32 v28, s20, v27
	v_not_b32_e32 v27, v27
	s_delay_alu instid0(VALU_DEP_2) | instskip(NEXT) | instid1(VALU_DEP_1)
	v_and_b32_e32 v28, s5, v28
	v_lshlrev_b32_e32 v28, 3, v28
	ds_load_b64 v[30:31], v28
	s_wait_dscnt 0x0
	v_lshl_add_u64 v[30:31], v[30:31], 2, v[4:5]
	global_store_b32 v[30:31], v27, off offset:6144
	s_branch .LBB2651_136
.LBB2651_147:
	s_add_co_i32 s7, s7, -1
	s_delay_alu instid0(SALU_CYCLE_1) | instskip(SKIP_2) | instid1(SALU_CYCLE_1)
	s_cmp_eq_u32 s9, s7
	s_cselect_b32 s1, -1, 0
	s_xor_b32 s0, s0, -1
	s_and_b32 s0, s0, s1
	s_delay_alu instid0(SALU_CYCLE_1)
	s_and_saveexec_b32 s1, s0
	s_cbranch_execz .LBB2651_149
; %bb.148:
	ds_load_b64 v[4:5], v3
	v_mov_b32_e32 v3, 0
	s_delay_alu instid0(VALU_DEP_1) | instskip(SKIP_1) | instid1(VALU_DEP_1)
	v_add_nc_u64_e32 v[0:1], v[0:1], v[2:3]
	s_wait_dscnt 0x0
	v_add_nc_u64_e32 v[0:1], v[0:1], v[4:5]
	global_store_b64 v14, v[0:1], s[14:15] scale_offset
.LBB2651_149:
	s_sendmsg sendmsg(MSG_DEALLOC_VGPRS)
	s_endpgm
	.section	.rodata,"a",@progbits
	.p2align	6, 0x0
	.amdhsa_kernel _ZN7rocprim17ROCPRIM_400000_NS6detail17trampoline_kernelINS0_14default_configENS1_35radix_sort_onesweep_config_selectorIjNS0_10empty_typeEEEZZNS1_29radix_sort_onesweep_iterationIS3_Lb1EPKjPjPS5_SB_mNS0_19identity_decomposerENS1_16block_id_wrapperIjLb0EEEEE10hipError_tT1_PNSt15iterator_traitsISG_E10value_typeET2_T3_PNSH_ISM_E10value_typeET4_T5_PSR_SS_PNS1_23onesweep_lookback_stateEbbT6_jjT7_P12ihipStream_tbENKUlT_T0_SG_SL_E_clIS9_SA_SB_SB_EEDaSZ_S10_SG_SL_EUlSZ_E_NS1_11comp_targetILNS1_3genE0ELNS1_11target_archE4294967295ELNS1_3gpuE0ELNS1_3repE0EEENS1_47radix_sort_onesweep_sort_config_static_selectorELNS0_4arch9wavefront6targetE0EEEvSG_
		.amdhsa_group_segment_fixed_size 18504
		.amdhsa_private_segment_fixed_size 0
		.amdhsa_kernarg_size 344
		.amdhsa_user_sgpr_count 2
		.amdhsa_user_sgpr_dispatch_ptr 0
		.amdhsa_user_sgpr_queue_ptr 0
		.amdhsa_user_sgpr_kernarg_segment_ptr 1
		.amdhsa_user_sgpr_dispatch_id 0
		.amdhsa_user_sgpr_kernarg_preload_length 0
		.amdhsa_user_sgpr_kernarg_preload_offset 0
		.amdhsa_user_sgpr_private_segment_size 0
		.amdhsa_wavefront_size32 1
		.amdhsa_uses_dynamic_stack 0
		.amdhsa_enable_private_segment 0
		.amdhsa_system_sgpr_workgroup_id_x 1
		.amdhsa_system_sgpr_workgroup_id_y 0
		.amdhsa_system_sgpr_workgroup_id_z 0
		.amdhsa_system_sgpr_workgroup_info 0
		.amdhsa_system_vgpr_workitem_id 2
		.amdhsa_next_free_vgpr 65
		.amdhsa_next_free_sgpr 29
		.amdhsa_named_barrier_count 0
		.amdhsa_reserve_vcc 1
		.amdhsa_float_round_mode_32 0
		.amdhsa_float_round_mode_16_64 0
		.amdhsa_float_denorm_mode_32 3
		.amdhsa_float_denorm_mode_16_64 3
		.amdhsa_fp16_overflow 0
		.amdhsa_memory_ordered 1
		.amdhsa_forward_progress 1
		.amdhsa_inst_pref_size 120
		.amdhsa_round_robin_scheduling 0
		.amdhsa_exception_fp_ieee_invalid_op 0
		.amdhsa_exception_fp_denorm_src 0
		.amdhsa_exception_fp_ieee_div_zero 0
		.amdhsa_exception_fp_ieee_overflow 0
		.amdhsa_exception_fp_ieee_underflow 0
		.amdhsa_exception_fp_ieee_inexact 0
		.amdhsa_exception_int_div_zero 0
	.end_amdhsa_kernel
	.section	.text._ZN7rocprim17ROCPRIM_400000_NS6detail17trampoline_kernelINS0_14default_configENS1_35radix_sort_onesweep_config_selectorIjNS0_10empty_typeEEEZZNS1_29radix_sort_onesweep_iterationIS3_Lb1EPKjPjPS5_SB_mNS0_19identity_decomposerENS1_16block_id_wrapperIjLb0EEEEE10hipError_tT1_PNSt15iterator_traitsISG_E10value_typeET2_T3_PNSH_ISM_E10value_typeET4_T5_PSR_SS_PNS1_23onesweep_lookback_stateEbbT6_jjT7_P12ihipStream_tbENKUlT_T0_SG_SL_E_clIS9_SA_SB_SB_EEDaSZ_S10_SG_SL_EUlSZ_E_NS1_11comp_targetILNS1_3genE0ELNS1_11target_archE4294967295ELNS1_3gpuE0ELNS1_3repE0EEENS1_47radix_sort_onesweep_sort_config_static_selectorELNS0_4arch9wavefront6targetE0EEEvSG_,"axG",@progbits,_ZN7rocprim17ROCPRIM_400000_NS6detail17trampoline_kernelINS0_14default_configENS1_35radix_sort_onesweep_config_selectorIjNS0_10empty_typeEEEZZNS1_29radix_sort_onesweep_iterationIS3_Lb1EPKjPjPS5_SB_mNS0_19identity_decomposerENS1_16block_id_wrapperIjLb0EEEEE10hipError_tT1_PNSt15iterator_traitsISG_E10value_typeET2_T3_PNSH_ISM_E10value_typeET4_T5_PSR_SS_PNS1_23onesweep_lookback_stateEbbT6_jjT7_P12ihipStream_tbENKUlT_T0_SG_SL_E_clIS9_SA_SB_SB_EEDaSZ_S10_SG_SL_EUlSZ_E_NS1_11comp_targetILNS1_3genE0ELNS1_11target_archE4294967295ELNS1_3gpuE0ELNS1_3repE0EEENS1_47radix_sort_onesweep_sort_config_static_selectorELNS0_4arch9wavefront6targetE0EEEvSG_,comdat
.Lfunc_end2651:
	.size	_ZN7rocprim17ROCPRIM_400000_NS6detail17trampoline_kernelINS0_14default_configENS1_35radix_sort_onesweep_config_selectorIjNS0_10empty_typeEEEZZNS1_29radix_sort_onesweep_iterationIS3_Lb1EPKjPjPS5_SB_mNS0_19identity_decomposerENS1_16block_id_wrapperIjLb0EEEEE10hipError_tT1_PNSt15iterator_traitsISG_E10value_typeET2_T3_PNSH_ISM_E10value_typeET4_T5_PSR_SS_PNS1_23onesweep_lookback_stateEbbT6_jjT7_P12ihipStream_tbENKUlT_T0_SG_SL_E_clIS9_SA_SB_SB_EEDaSZ_S10_SG_SL_EUlSZ_E_NS1_11comp_targetILNS1_3genE0ELNS1_11target_archE4294967295ELNS1_3gpuE0ELNS1_3repE0EEENS1_47radix_sort_onesweep_sort_config_static_selectorELNS0_4arch9wavefront6targetE0EEEvSG_, .Lfunc_end2651-_ZN7rocprim17ROCPRIM_400000_NS6detail17trampoline_kernelINS0_14default_configENS1_35radix_sort_onesweep_config_selectorIjNS0_10empty_typeEEEZZNS1_29radix_sort_onesweep_iterationIS3_Lb1EPKjPjPS5_SB_mNS0_19identity_decomposerENS1_16block_id_wrapperIjLb0EEEEE10hipError_tT1_PNSt15iterator_traitsISG_E10value_typeET2_T3_PNSH_ISM_E10value_typeET4_T5_PSR_SS_PNS1_23onesweep_lookback_stateEbbT6_jjT7_P12ihipStream_tbENKUlT_T0_SG_SL_E_clIS9_SA_SB_SB_EEDaSZ_S10_SG_SL_EUlSZ_E_NS1_11comp_targetILNS1_3genE0ELNS1_11target_archE4294967295ELNS1_3gpuE0ELNS1_3repE0EEENS1_47radix_sort_onesweep_sort_config_static_selectorELNS0_4arch9wavefront6targetE0EEEvSG_
                                        ; -- End function
	.set _ZN7rocprim17ROCPRIM_400000_NS6detail17trampoline_kernelINS0_14default_configENS1_35radix_sort_onesweep_config_selectorIjNS0_10empty_typeEEEZZNS1_29radix_sort_onesweep_iterationIS3_Lb1EPKjPjPS5_SB_mNS0_19identity_decomposerENS1_16block_id_wrapperIjLb0EEEEE10hipError_tT1_PNSt15iterator_traitsISG_E10value_typeET2_T3_PNSH_ISM_E10value_typeET4_T5_PSR_SS_PNS1_23onesweep_lookback_stateEbbT6_jjT7_P12ihipStream_tbENKUlT_T0_SG_SL_E_clIS9_SA_SB_SB_EEDaSZ_S10_SG_SL_EUlSZ_E_NS1_11comp_targetILNS1_3genE0ELNS1_11target_archE4294967295ELNS1_3gpuE0ELNS1_3repE0EEENS1_47radix_sort_onesweep_sort_config_static_selectorELNS0_4arch9wavefront6targetE0EEEvSG_.num_vgpr, 65
	.set _ZN7rocprim17ROCPRIM_400000_NS6detail17trampoline_kernelINS0_14default_configENS1_35radix_sort_onesweep_config_selectorIjNS0_10empty_typeEEEZZNS1_29radix_sort_onesweep_iterationIS3_Lb1EPKjPjPS5_SB_mNS0_19identity_decomposerENS1_16block_id_wrapperIjLb0EEEEE10hipError_tT1_PNSt15iterator_traitsISG_E10value_typeET2_T3_PNSH_ISM_E10value_typeET4_T5_PSR_SS_PNS1_23onesweep_lookback_stateEbbT6_jjT7_P12ihipStream_tbENKUlT_T0_SG_SL_E_clIS9_SA_SB_SB_EEDaSZ_S10_SG_SL_EUlSZ_E_NS1_11comp_targetILNS1_3genE0ELNS1_11target_archE4294967295ELNS1_3gpuE0ELNS1_3repE0EEENS1_47radix_sort_onesweep_sort_config_static_selectorELNS0_4arch9wavefront6targetE0EEEvSG_.num_agpr, 0
	.set _ZN7rocprim17ROCPRIM_400000_NS6detail17trampoline_kernelINS0_14default_configENS1_35radix_sort_onesweep_config_selectorIjNS0_10empty_typeEEEZZNS1_29radix_sort_onesweep_iterationIS3_Lb1EPKjPjPS5_SB_mNS0_19identity_decomposerENS1_16block_id_wrapperIjLb0EEEEE10hipError_tT1_PNSt15iterator_traitsISG_E10value_typeET2_T3_PNSH_ISM_E10value_typeET4_T5_PSR_SS_PNS1_23onesweep_lookback_stateEbbT6_jjT7_P12ihipStream_tbENKUlT_T0_SG_SL_E_clIS9_SA_SB_SB_EEDaSZ_S10_SG_SL_EUlSZ_E_NS1_11comp_targetILNS1_3genE0ELNS1_11target_archE4294967295ELNS1_3gpuE0ELNS1_3repE0EEENS1_47radix_sort_onesweep_sort_config_static_selectorELNS0_4arch9wavefront6targetE0EEEvSG_.numbered_sgpr, 29
	.set _ZN7rocprim17ROCPRIM_400000_NS6detail17trampoline_kernelINS0_14default_configENS1_35radix_sort_onesweep_config_selectorIjNS0_10empty_typeEEEZZNS1_29radix_sort_onesweep_iterationIS3_Lb1EPKjPjPS5_SB_mNS0_19identity_decomposerENS1_16block_id_wrapperIjLb0EEEEE10hipError_tT1_PNSt15iterator_traitsISG_E10value_typeET2_T3_PNSH_ISM_E10value_typeET4_T5_PSR_SS_PNS1_23onesweep_lookback_stateEbbT6_jjT7_P12ihipStream_tbENKUlT_T0_SG_SL_E_clIS9_SA_SB_SB_EEDaSZ_S10_SG_SL_EUlSZ_E_NS1_11comp_targetILNS1_3genE0ELNS1_11target_archE4294967295ELNS1_3gpuE0ELNS1_3repE0EEENS1_47radix_sort_onesweep_sort_config_static_selectorELNS0_4arch9wavefront6targetE0EEEvSG_.num_named_barrier, 0
	.set _ZN7rocprim17ROCPRIM_400000_NS6detail17trampoline_kernelINS0_14default_configENS1_35radix_sort_onesweep_config_selectorIjNS0_10empty_typeEEEZZNS1_29radix_sort_onesweep_iterationIS3_Lb1EPKjPjPS5_SB_mNS0_19identity_decomposerENS1_16block_id_wrapperIjLb0EEEEE10hipError_tT1_PNSt15iterator_traitsISG_E10value_typeET2_T3_PNSH_ISM_E10value_typeET4_T5_PSR_SS_PNS1_23onesweep_lookback_stateEbbT6_jjT7_P12ihipStream_tbENKUlT_T0_SG_SL_E_clIS9_SA_SB_SB_EEDaSZ_S10_SG_SL_EUlSZ_E_NS1_11comp_targetILNS1_3genE0ELNS1_11target_archE4294967295ELNS1_3gpuE0ELNS1_3repE0EEENS1_47radix_sort_onesweep_sort_config_static_selectorELNS0_4arch9wavefront6targetE0EEEvSG_.private_seg_size, 0
	.set _ZN7rocprim17ROCPRIM_400000_NS6detail17trampoline_kernelINS0_14default_configENS1_35radix_sort_onesweep_config_selectorIjNS0_10empty_typeEEEZZNS1_29radix_sort_onesweep_iterationIS3_Lb1EPKjPjPS5_SB_mNS0_19identity_decomposerENS1_16block_id_wrapperIjLb0EEEEE10hipError_tT1_PNSt15iterator_traitsISG_E10value_typeET2_T3_PNSH_ISM_E10value_typeET4_T5_PSR_SS_PNS1_23onesweep_lookback_stateEbbT6_jjT7_P12ihipStream_tbENKUlT_T0_SG_SL_E_clIS9_SA_SB_SB_EEDaSZ_S10_SG_SL_EUlSZ_E_NS1_11comp_targetILNS1_3genE0ELNS1_11target_archE4294967295ELNS1_3gpuE0ELNS1_3repE0EEENS1_47radix_sort_onesweep_sort_config_static_selectorELNS0_4arch9wavefront6targetE0EEEvSG_.uses_vcc, 1
	.set _ZN7rocprim17ROCPRIM_400000_NS6detail17trampoline_kernelINS0_14default_configENS1_35radix_sort_onesweep_config_selectorIjNS0_10empty_typeEEEZZNS1_29radix_sort_onesweep_iterationIS3_Lb1EPKjPjPS5_SB_mNS0_19identity_decomposerENS1_16block_id_wrapperIjLb0EEEEE10hipError_tT1_PNSt15iterator_traitsISG_E10value_typeET2_T3_PNSH_ISM_E10value_typeET4_T5_PSR_SS_PNS1_23onesweep_lookback_stateEbbT6_jjT7_P12ihipStream_tbENKUlT_T0_SG_SL_E_clIS9_SA_SB_SB_EEDaSZ_S10_SG_SL_EUlSZ_E_NS1_11comp_targetILNS1_3genE0ELNS1_11target_archE4294967295ELNS1_3gpuE0ELNS1_3repE0EEENS1_47radix_sort_onesweep_sort_config_static_selectorELNS0_4arch9wavefront6targetE0EEEvSG_.uses_flat_scratch, 0
	.set _ZN7rocprim17ROCPRIM_400000_NS6detail17trampoline_kernelINS0_14default_configENS1_35radix_sort_onesweep_config_selectorIjNS0_10empty_typeEEEZZNS1_29radix_sort_onesweep_iterationIS3_Lb1EPKjPjPS5_SB_mNS0_19identity_decomposerENS1_16block_id_wrapperIjLb0EEEEE10hipError_tT1_PNSt15iterator_traitsISG_E10value_typeET2_T3_PNSH_ISM_E10value_typeET4_T5_PSR_SS_PNS1_23onesweep_lookback_stateEbbT6_jjT7_P12ihipStream_tbENKUlT_T0_SG_SL_E_clIS9_SA_SB_SB_EEDaSZ_S10_SG_SL_EUlSZ_E_NS1_11comp_targetILNS1_3genE0ELNS1_11target_archE4294967295ELNS1_3gpuE0ELNS1_3repE0EEENS1_47radix_sort_onesweep_sort_config_static_selectorELNS0_4arch9wavefront6targetE0EEEvSG_.has_dyn_sized_stack, 0
	.set _ZN7rocprim17ROCPRIM_400000_NS6detail17trampoline_kernelINS0_14default_configENS1_35radix_sort_onesweep_config_selectorIjNS0_10empty_typeEEEZZNS1_29radix_sort_onesweep_iterationIS3_Lb1EPKjPjPS5_SB_mNS0_19identity_decomposerENS1_16block_id_wrapperIjLb0EEEEE10hipError_tT1_PNSt15iterator_traitsISG_E10value_typeET2_T3_PNSH_ISM_E10value_typeET4_T5_PSR_SS_PNS1_23onesweep_lookback_stateEbbT6_jjT7_P12ihipStream_tbENKUlT_T0_SG_SL_E_clIS9_SA_SB_SB_EEDaSZ_S10_SG_SL_EUlSZ_E_NS1_11comp_targetILNS1_3genE0ELNS1_11target_archE4294967295ELNS1_3gpuE0ELNS1_3repE0EEENS1_47radix_sort_onesweep_sort_config_static_selectorELNS0_4arch9wavefront6targetE0EEEvSG_.has_recursion, 0
	.set _ZN7rocprim17ROCPRIM_400000_NS6detail17trampoline_kernelINS0_14default_configENS1_35radix_sort_onesweep_config_selectorIjNS0_10empty_typeEEEZZNS1_29radix_sort_onesweep_iterationIS3_Lb1EPKjPjPS5_SB_mNS0_19identity_decomposerENS1_16block_id_wrapperIjLb0EEEEE10hipError_tT1_PNSt15iterator_traitsISG_E10value_typeET2_T3_PNSH_ISM_E10value_typeET4_T5_PSR_SS_PNS1_23onesweep_lookback_stateEbbT6_jjT7_P12ihipStream_tbENKUlT_T0_SG_SL_E_clIS9_SA_SB_SB_EEDaSZ_S10_SG_SL_EUlSZ_E_NS1_11comp_targetILNS1_3genE0ELNS1_11target_archE4294967295ELNS1_3gpuE0ELNS1_3repE0EEENS1_47radix_sort_onesweep_sort_config_static_selectorELNS0_4arch9wavefront6targetE0EEEvSG_.has_indirect_call, 0
	.section	.AMDGPU.csdata,"",@progbits
; Kernel info:
; codeLenInByte = 15308
; TotalNumSgprs: 31
; NumVgprs: 65
; ScratchSize: 0
; MemoryBound: 0
; FloatMode: 240
; IeeeMode: 1
; LDSByteSize: 18504 bytes/workgroup (compile time only)
; SGPRBlocks: 0
; VGPRBlocks: 4
; NumSGPRsForWavesPerEU: 31
; NumVGPRsForWavesPerEU: 65
; NamedBarCnt: 0
; Occupancy: 12
; WaveLimiterHint : 1
; COMPUTE_PGM_RSRC2:SCRATCH_EN: 0
; COMPUTE_PGM_RSRC2:USER_SGPR: 2
; COMPUTE_PGM_RSRC2:TRAP_HANDLER: 0
; COMPUTE_PGM_RSRC2:TGID_X_EN: 1
; COMPUTE_PGM_RSRC2:TGID_Y_EN: 0
; COMPUTE_PGM_RSRC2:TGID_Z_EN: 0
; COMPUTE_PGM_RSRC2:TIDIG_COMP_CNT: 2
	.section	.text._ZN7rocprim17ROCPRIM_400000_NS6detail17trampoline_kernelINS0_14default_configENS1_35radix_sort_onesweep_config_selectorIjNS0_10empty_typeEEEZZNS1_29radix_sort_onesweep_iterationIS3_Lb1EPKjPjPS5_SB_mNS0_19identity_decomposerENS1_16block_id_wrapperIjLb0EEEEE10hipError_tT1_PNSt15iterator_traitsISG_E10value_typeET2_T3_PNSH_ISM_E10value_typeET4_T5_PSR_SS_PNS1_23onesweep_lookback_stateEbbT6_jjT7_P12ihipStream_tbENKUlT_T0_SG_SL_E_clIS9_SA_SB_SB_EEDaSZ_S10_SG_SL_EUlSZ_E_NS1_11comp_targetILNS1_3genE6ELNS1_11target_archE950ELNS1_3gpuE13ELNS1_3repE0EEENS1_47radix_sort_onesweep_sort_config_static_selectorELNS0_4arch9wavefront6targetE0EEEvSG_,"axG",@progbits,_ZN7rocprim17ROCPRIM_400000_NS6detail17trampoline_kernelINS0_14default_configENS1_35radix_sort_onesweep_config_selectorIjNS0_10empty_typeEEEZZNS1_29radix_sort_onesweep_iterationIS3_Lb1EPKjPjPS5_SB_mNS0_19identity_decomposerENS1_16block_id_wrapperIjLb0EEEEE10hipError_tT1_PNSt15iterator_traitsISG_E10value_typeET2_T3_PNSH_ISM_E10value_typeET4_T5_PSR_SS_PNS1_23onesweep_lookback_stateEbbT6_jjT7_P12ihipStream_tbENKUlT_T0_SG_SL_E_clIS9_SA_SB_SB_EEDaSZ_S10_SG_SL_EUlSZ_E_NS1_11comp_targetILNS1_3genE6ELNS1_11target_archE950ELNS1_3gpuE13ELNS1_3repE0EEENS1_47radix_sort_onesweep_sort_config_static_selectorELNS0_4arch9wavefront6targetE0EEEvSG_,comdat
	.protected	_ZN7rocprim17ROCPRIM_400000_NS6detail17trampoline_kernelINS0_14default_configENS1_35radix_sort_onesweep_config_selectorIjNS0_10empty_typeEEEZZNS1_29radix_sort_onesweep_iterationIS3_Lb1EPKjPjPS5_SB_mNS0_19identity_decomposerENS1_16block_id_wrapperIjLb0EEEEE10hipError_tT1_PNSt15iterator_traitsISG_E10value_typeET2_T3_PNSH_ISM_E10value_typeET4_T5_PSR_SS_PNS1_23onesweep_lookback_stateEbbT6_jjT7_P12ihipStream_tbENKUlT_T0_SG_SL_E_clIS9_SA_SB_SB_EEDaSZ_S10_SG_SL_EUlSZ_E_NS1_11comp_targetILNS1_3genE6ELNS1_11target_archE950ELNS1_3gpuE13ELNS1_3repE0EEENS1_47radix_sort_onesweep_sort_config_static_selectorELNS0_4arch9wavefront6targetE0EEEvSG_ ; -- Begin function _ZN7rocprim17ROCPRIM_400000_NS6detail17trampoline_kernelINS0_14default_configENS1_35radix_sort_onesweep_config_selectorIjNS0_10empty_typeEEEZZNS1_29radix_sort_onesweep_iterationIS3_Lb1EPKjPjPS5_SB_mNS0_19identity_decomposerENS1_16block_id_wrapperIjLb0EEEEE10hipError_tT1_PNSt15iterator_traitsISG_E10value_typeET2_T3_PNSH_ISM_E10value_typeET4_T5_PSR_SS_PNS1_23onesweep_lookback_stateEbbT6_jjT7_P12ihipStream_tbENKUlT_T0_SG_SL_E_clIS9_SA_SB_SB_EEDaSZ_S10_SG_SL_EUlSZ_E_NS1_11comp_targetILNS1_3genE6ELNS1_11target_archE950ELNS1_3gpuE13ELNS1_3repE0EEENS1_47radix_sort_onesweep_sort_config_static_selectorELNS0_4arch9wavefront6targetE0EEEvSG_
	.globl	_ZN7rocprim17ROCPRIM_400000_NS6detail17trampoline_kernelINS0_14default_configENS1_35radix_sort_onesweep_config_selectorIjNS0_10empty_typeEEEZZNS1_29radix_sort_onesweep_iterationIS3_Lb1EPKjPjPS5_SB_mNS0_19identity_decomposerENS1_16block_id_wrapperIjLb0EEEEE10hipError_tT1_PNSt15iterator_traitsISG_E10value_typeET2_T3_PNSH_ISM_E10value_typeET4_T5_PSR_SS_PNS1_23onesweep_lookback_stateEbbT6_jjT7_P12ihipStream_tbENKUlT_T0_SG_SL_E_clIS9_SA_SB_SB_EEDaSZ_S10_SG_SL_EUlSZ_E_NS1_11comp_targetILNS1_3genE6ELNS1_11target_archE950ELNS1_3gpuE13ELNS1_3repE0EEENS1_47radix_sort_onesweep_sort_config_static_selectorELNS0_4arch9wavefront6targetE0EEEvSG_
	.p2align	8
	.type	_ZN7rocprim17ROCPRIM_400000_NS6detail17trampoline_kernelINS0_14default_configENS1_35radix_sort_onesweep_config_selectorIjNS0_10empty_typeEEEZZNS1_29radix_sort_onesweep_iterationIS3_Lb1EPKjPjPS5_SB_mNS0_19identity_decomposerENS1_16block_id_wrapperIjLb0EEEEE10hipError_tT1_PNSt15iterator_traitsISG_E10value_typeET2_T3_PNSH_ISM_E10value_typeET4_T5_PSR_SS_PNS1_23onesweep_lookback_stateEbbT6_jjT7_P12ihipStream_tbENKUlT_T0_SG_SL_E_clIS9_SA_SB_SB_EEDaSZ_S10_SG_SL_EUlSZ_E_NS1_11comp_targetILNS1_3genE6ELNS1_11target_archE950ELNS1_3gpuE13ELNS1_3repE0EEENS1_47radix_sort_onesweep_sort_config_static_selectorELNS0_4arch9wavefront6targetE0EEEvSG_,@function
_ZN7rocprim17ROCPRIM_400000_NS6detail17trampoline_kernelINS0_14default_configENS1_35radix_sort_onesweep_config_selectorIjNS0_10empty_typeEEEZZNS1_29radix_sort_onesweep_iterationIS3_Lb1EPKjPjPS5_SB_mNS0_19identity_decomposerENS1_16block_id_wrapperIjLb0EEEEE10hipError_tT1_PNSt15iterator_traitsISG_E10value_typeET2_T3_PNSH_ISM_E10value_typeET4_T5_PSR_SS_PNS1_23onesweep_lookback_stateEbbT6_jjT7_P12ihipStream_tbENKUlT_T0_SG_SL_E_clIS9_SA_SB_SB_EEDaSZ_S10_SG_SL_EUlSZ_E_NS1_11comp_targetILNS1_3genE6ELNS1_11target_archE950ELNS1_3gpuE13ELNS1_3repE0EEENS1_47radix_sort_onesweep_sort_config_static_selectorELNS0_4arch9wavefront6targetE0EEEvSG_: ; @_ZN7rocprim17ROCPRIM_400000_NS6detail17trampoline_kernelINS0_14default_configENS1_35radix_sort_onesweep_config_selectorIjNS0_10empty_typeEEEZZNS1_29radix_sort_onesweep_iterationIS3_Lb1EPKjPjPS5_SB_mNS0_19identity_decomposerENS1_16block_id_wrapperIjLb0EEEEE10hipError_tT1_PNSt15iterator_traitsISG_E10value_typeET2_T3_PNSH_ISM_E10value_typeET4_T5_PSR_SS_PNS1_23onesweep_lookback_stateEbbT6_jjT7_P12ihipStream_tbENKUlT_T0_SG_SL_E_clIS9_SA_SB_SB_EEDaSZ_S10_SG_SL_EUlSZ_E_NS1_11comp_targetILNS1_3genE6ELNS1_11target_archE950ELNS1_3gpuE13ELNS1_3repE0EEENS1_47radix_sort_onesweep_sort_config_static_selectorELNS0_4arch9wavefront6targetE0EEEvSG_
; %bb.0:
	.section	.rodata,"a",@progbits
	.p2align	6, 0x0
	.amdhsa_kernel _ZN7rocprim17ROCPRIM_400000_NS6detail17trampoline_kernelINS0_14default_configENS1_35radix_sort_onesweep_config_selectorIjNS0_10empty_typeEEEZZNS1_29radix_sort_onesweep_iterationIS3_Lb1EPKjPjPS5_SB_mNS0_19identity_decomposerENS1_16block_id_wrapperIjLb0EEEEE10hipError_tT1_PNSt15iterator_traitsISG_E10value_typeET2_T3_PNSH_ISM_E10value_typeET4_T5_PSR_SS_PNS1_23onesweep_lookback_stateEbbT6_jjT7_P12ihipStream_tbENKUlT_T0_SG_SL_E_clIS9_SA_SB_SB_EEDaSZ_S10_SG_SL_EUlSZ_E_NS1_11comp_targetILNS1_3genE6ELNS1_11target_archE950ELNS1_3gpuE13ELNS1_3repE0EEENS1_47radix_sort_onesweep_sort_config_static_selectorELNS0_4arch9wavefront6targetE0EEEvSG_
		.amdhsa_group_segment_fixed_size 0
		.amdhsa_private_segment_fixed_size 0
		.amdhsa_kernarg_size 88
		.amdhsa_user_sgpr_count 2
		.amdhsa_user_sgpr_dispatch_ptr 0
		.amdhsa_user_sgpr_queue_ptr 0
		.amdhsa_user_sgpr_kernarg_segment_ptr 1
		.amdhsa_user_sgpr_dispatch_id 0
		.amdhsa_user_sgpr_kernarg_preload_length 0
		.amdhsa_user_sgpr_kernarg_preload_offset 0
		.amdhsa_user_sgpr_private_segment_size 0
		.amdhsa_wavefront_size32 1
		.amdhsa_uses_dynamic_stack 0
		.amdhsa_enable_private_segment 0
		.amdhsa_system_sgpr_workgroup_id_x 1
		.amdhsa_system_sgpr_workgroup_id_y 0
		.amdhsa_system_sgpr_workgroup_id_z 0
		.amdhsa_system_sgpr_workgroup_info 0
		.amdhsa_system_vgpr_workitem_id 0
		.amdhsa_next_free_vgpr 1
		.amdhsa_next_free_sgpr 1
		.amdhsa_named_barrier_count 0
		.amdhsa_reserve_vcc 0
		.amdhsa_float_round_mode_32 0
		.amdhsa_float_round_mode_16_64 0
		.amdhsa_float_denorm_mode_32 3
		.amdhsa_float_denorm_mode_16_64 3
		.amdhsa_fp16_overflow 0
		.amdhsa_memory_ordered 1
		.amdhsa_forward_progress 1
		.amdhsa_inst_pref_size 0
		.amdhsa_round_robin_scheduling 0
		.amdhsa_exception_fp_ieee_invalid_op 0
		.amdhsa_exception_fp_denorm_src 0
		.amdhsa_exception_fp_ieee_div_zero 0
		.amdhsa_exception_fp_ieee_overflow 0
		.amdhsa_exception_fp_ieee_underflow 0
		.amdhsa_exception_fp_ieee_inexact 0
		.amdhsa_exception_int_div_zero 0
	.end_amdhsa_kernel
	.section	.text._ZN7rocprim17ROCPRIM_400000_NS6detail17trampoline_kernelINS0_14default_configENS1_35radix_sort_onesweep_config_selectorIjNS0_10empty_typeEEEZZNS1_29radix_sort_onesweep_iterationIS3_Lb1EPKjPjPS5_SB_mNS0_19identity_decomposerENS1_16block_id_wrapperIjLb0EEEEE10hipError_tT1_PNSt15iterator_traitsISG_E10value_typeET2_T3_PNSH_ISM_E10value_typeET4_T5_PSR_SS_PNS1_23onesweep_lookback_stateEbbT6_jjT7_P12ihipStream_tbENKUlT_T0_SG_SL_E_clIS9_SA_SB_SB_EEDaSZ_S10_SG_SL_EUlSZ_E_NS1_11comp_targetILNS1_3genE6ELNS1_11target_archE950ELNS1_3gpuE13ELNS1_3repE0EEENS1_47radix_sort_onesweep_sort_config_static_selectorELNS0_4arch9wavefront6targetE0EEEvSG_,"axG",@progbits,_ZN7rocprim17ROCPRIM_400000_NS6detail17trampoline_kernelINS0_14default_configENS1_35radix_sort_onesweep_config_selectorIjNS0_10empty_typeEEEZZNS1_29radix_sort_onesweep_iterationIS3_Lb1EPKjPjPS5_SB_mNS0_19identity_decomposerENS1_16block_id_wrapperIjLb0EEEEE10hipError_tT1_PNSt15iterator_traitsISG_E10value_typeET2_T3_PNSH_ISM_E10value_typeET4_T5_PSR_SS_PNS1_23onesweep_lookback_stateEbbT6_jjT7_P12ihipStream_tbENKUlT_T0_SG_SL_E_clIS9_SA_SB_SB_EEDaSZ_S10_SG_SL_EUlSZ_E_NS1_11comp_targetILNS1_3genE6ELNS1_11target_archE950ELNS1_3gpuE13ELNS1_3repE0EEENS1_47radix_sort_onesweep_sort_config_static_selectorELNS0_4arch9wavefront6targetE0EEEvSG_,comdat
.Lfunc_end2652:
	.size	_ZN7rocprim17ROCPRIM_400000_NS6detail17trampoline_kernelINS0_14default_configENS1_35radix_sort_onesweep_config_selectorIjNS0_10empty_typeEEEZZNS1_29radix_sort_onesweep_iterationIS3_Lb1EPKjPjPS5_SB_mNS0_19identity_decomposerENS1_16block_id_wrapperIjLb0EEEEE10hipError_tT1_PNSt15iterator_traitsISG_E10value_typeET2_T3_PNSH_ISM_E10value_typeET4_T5_PSR_SS_PNS1_23onesweep_lookback_stateEbbT6_jjT7_P12ihipStream_tbENKUlT_T0_SG_SL_E_clIS9_SA_SB_SB_EEDaSZ_S10_SG_SL_EUlSZ_E_NS1_11comp_targetILNS1_3genE6ELNS1_11target_archE950ELNS1_3gpuE13ELNS1_3repE0EEENS1_47radix_sort_onesweep_sort_config_static_selectorELNS0_4arch9wavefront6targetE0EEEvSG_, .Lfunc_end2652-_ZN7rocprim17ROCPRIM_400000_NS6detail17trampoline_kernelINS0_14default_configENS1_35radix_sort_onesweep_config_selectorIjNS0_10empty_typeEEEZZNS1_29radix_sort_onesweep_iterationIS3_Lb1EPKjPjPS5_SB_mNS0_19identity_decomposerENS1_16block_id_wrapperIjLb0EEEEE10hipError_tT1_PNSt15iterator_traitsISG_E10value_typeET2_T3_PNSH_ISM_E10value_typeET4_T5_PSR_SS_PNS1_23onesweep_lookback_stateEbbT6_jjT7_P12ihipStream_tbENKUlT_T0_SG_SL_E_clIS9_SA_SB_SB_EEDaSZ_S10_SG_SL_EUlSZ_E_NS1_11comp_targetILNS1_3genE6ELNS1_11target_archE950ELNS1_3gpuE13ELNS1_3repE0EEENS1_47radix_sort_onesweep_sort_config_static_selectorELNS0_4arch9wavefront6targetE0EEEvSG_
                                        ; -- End function
	.set _ZN7rocprim17ROCPRIM_400000_NS6detail17trampoline_kernelINS0_14default_configENS1_35radix_sort_onesweep_config_selectorIjNS0_10empty_typeEEEZZNS1_29radix_sort_onesweep_iterationIS3_Lb1EPKjPjPS5_SB_mNS0_19identity_decomposerENS1_16block_id_wrapperIjLb0EEEEE10hipError_tT1_PNSt15iterator_traitsISG_E10value_typeET2_T3_PNSH_ISM_E10value_typeET4_T5_PSR_SS_PNS1_23onesweep_lookback_stateEbbT6_jjT7_P12ihipStream_tbENKUlT_T0_SG_SL_E_clIS9_SA_SB_SB_EEDaSZ_S10_SG_SL_EUlSZ_E_NS1_11comp_targetILNS1_3genE6ELNS1_11target_archE950ELNS1_3gpuE13ELNS1_3repE0EEENS1_47radix_sort_onesweep_sort_config_static_selectorELNS0_4arch9wavefront6targetE0EEEvSG_.num_vgpr, 0
	.set _ZN7rocprim17ROCPRIM_400000_NS6detail17trampoline_kernelINS0_14default_configENS1_35radix_sort_onesweep_config_selectorIjNS0_10empty_typeEEEZZNS1_29radix_sort_onesweep_iterationIS3_Lb1EPKjPjPS5_SB_mNS0_19identity_decomposerENS1_16block_id_wrapperIjLb0EEEEE10hipError_tT1_PNSt15iterator_traitsISG_E10value_typeET2_T3_PNSH_ISM_E10value_typeET4_T5_PSR_SS_PNS1_23onesweep_lookback_stateEbbT6_jjT7_P12ihipStream_tbENKUlT_T0_SG_SL_E_clIS9_SA_SB_SB_EEDaSZ_S10_SG_SL_EUlSZ_E_NS1_11comp_targetILNS1_3genE6ELNS1_11target_archE950ELNS1_3gpuE13ELNS1_3repE0EEENS1_47radix_sort_onesweep_sort_config_static_selectorELNS0_4arch9wavefront6targetE0EEEvSG_.num_agpr, 0
	.set _ZN7rocprim17ROCPRIM_400000_NS6detail17trampoline_kernelINS0_14default_configENS1_35radix_sort_onesweep_config_selectorIjNS0_10empty_typeEEEZZNS1_29radix_sort_onesweep_iterationIS3_Lb1EPKjPjPS5_SB_mNS0_19identity_decomposerENS1_16block_id_wrapperIjLb0EEEEE10hipError_tT1_PNSt15iterator_traitsISG_E10value_typeET2_T3_PNSH_ISM_E10value_typeET4_T5_PSR_SS_PNS1_23onesweep_lookback_stateEbbT6_jjT7_P12ihipStream_tbENKUlT_T0_SG_SL_E_clIS9_SA_SB_SB_EEDaSZ_S10_SG_SL_EUlSZ_E_NS1_11comp_targetILNS1_3genE6ELNS1_11target_archE950ELNS1_3gpuE13ELNS1_3repE0EEENS1_47radix_sort_onesweep_sort_config_static_selectorELNS0_4arch9wavefront6targetE0EEEvSG_.numbered_sgpr, 0
	.set _ZN7rocprim17ROCPRIM_400000_NS6detail17trampoline_kernelINS0_14default_configENS1_35radix_sort_onesweep_config_selectorIjNS0_10empty_typeEEEZZNS1_29radix_sort_onesweep_iterationIS3_Lb1EPKjPjPS5_SB_mNS0_19identity_decomposerENS1_16block_id_wrapperIjLb0EEEEE10hipError_tT1_PNSt15iterator_traitsISG_E10value_typeET2_T3_PNSH_ISM_E10value_typeET4_T5_PSR_SS_PNS1_23onesweep_lookback_stateEbbT6_jjT7_P12ihipStream_tbENKUlT_T0_SG_SL_E_clIS9_SA_SB_SB_EEDaSZ_S10_SG_SL_EUlSZ_E_NS1_11comp_targetILNS1_3genE6ELNS1_11target_archE950ELNS1_3gpuE13ELNS1_3repE0EEENS1_47radix_sort_onesweep_sort_config_static_selectorELNS0_4arch9wavefront6targetE0EEEvSG_.num_named_barrier, 0
	.set _ZN7rocprim17ROCPRIM_400000_NS6detail17trampoline_kernelINS0_14default_configENS1_35radix_sort_onesweep_config_selectorIjNS0_10empty_typeEEEZZNS1_29radix_sort_onesweep_iterationIS3_Lb1EPKjPjPS5_SB_mNS0_19identity_decomposerENS1_16block_id_wrapperIjLb0EEEEE10hipError_tT1_PNSt15iterator_traitsISG_E10value_typeET2_T3_PNSH_ISM_E10value_typeET4_T5_PSR_SS_PNS1_23onesweep_lookback_stateEbbT6_jjT7_P12ihipStream_tbENKUlT_T0_SG_SL_E_clIS9_SA_SB_SB_EEDaSZ_S10_SG_SL_EUlSZ_E_NS1_11comp_targetILNS1_3genE6ELNS1_11target_archE950ELNS1_3gpuE13ELNS1_3repE0EEENS1_47radix_sort_onesweep_sort_config_static_selectorELNS0_4arch9wavefront6targetE0EEEvSG_.private_seg_size, 0
	.set _ZN7rocprim17ROCPRIM_400000_NS6detail17trampoline_kernelINS0_14default_configENS1_35radix_sort_onesweep_config_selectorIjNS0_10empty_typeEEEZZNS1_29radix_sort_onesweep_iterationIS3_Lb1EPKjPjPS5_SB_mNS0_19identity_decomposerENS1_16block_id_wrapperIjLb0EEEEE10hipError_tT1_PNSt15iterator_traitsISG_E10value_typeET2_T3_PNSH_ISM_E10value_typeET4_T5_PSR_SS_PNS1_23onesweep_lookback_stateEbbT6_jjT7_P12ihipStream_tbENKUlT_T0_SG_SL_E_clIS9_SA_SB_SB_EEDaSZ_S10_SG_SL_EUlSZ_E_NS1_11comp_targetILNS1_3genE6ELNS1_11target_archE950ELNS1_3gpuE13ELNS1_3repE0EEENS1_47radix_sort_onesweep_sort_config_static_selectorELNS0_4arch9wavefront6targetE0EEEvSG_.uses_vcc, 0
	.set _ZN7rocprim17ROCPRIM_400000_NS6detail17trampoline_kernelINS0_14default_configENS1_35radix_sort_onesweep_config_selectorIjNS0_10empty_typeEEEZZNS1_29radix_sort_onesweep_iterationIS3_Lb1EPKjPjPS5_SB_mNS0_19identity_decomposerENS1_16block_id_wrapperIjLb0EEEEE10hipError_tT1_PNSt15iterator_traitsISG_E10value_typeET2_T3_PNSH_ISM_E10value_typeET4_T5_PSR_SS_PNS1_23onesweep_lookback_stateEbbT6_jjT7_P12ihipStream_tbENKUlT_T0_SG_SL_E_clIS9_SA_SB_SB_EEDaSZ_S10_SG_SL_EUlSZ_E_NS1_11comp_targetILNS1_3genE6ELNS1_11target_archE950ELNS1_3gpuE13ELNS1_3repE0EEENS1_47radix_sort_onesweep_sort_config_static_selectorELNS0_4arch9wavefront6targetE0EEEvSG_.uses_flat_scratch, 0
	.set _ZN7rocprim17ROCPRIM_400000_NS6detail17trampoline_kernelINS0_14default_configENS1_35radix_sort_onesweep_config_selectorIjNS0_10empty_typeEEEZZNS1_29radix_sort_onesweep_iterationIS3_Lb1EPKjPjPS5_SB_mNS0_19identity_decomposerENS1_16block_id_wrapperIjLb0EEEEE10hipError_tT1_PNSt15iterator_traitsISG_E10value_typeET2_T3_PNSH_ISM_E10value_typeET4_T5_PSR_SS_PNS1_23onesweep_lookback_stateEbbT6_jjT7_P12ihipStream_tbENKUlT_T0_SG_SL_E_clIS9_SA_SB_SB_EEDaSZ_S10_SG_SL_EUlSZ_E_NS1_11comp_targetILNS1_3genE6ELNS1_11target_archE950ELNS1_3gpuE13ELNS1_3repE0EEENS1_47radix_sort_onesweep_sort_config_static_selectorELNS0_4arch9wavefront6targetE0EEEvSG_.has_dyn_sized_stack, 0
	.set _ZN7rocprim17ROCPRIM_400000_NS6detail17trampoline_kernelINS0_14default_configENS1_35radix_sort_onesweep_config_selectorIjNS0_10empty_typeEEEZZNS1_29radix_sort_onesweep_iterationIS3_Lb1EPKjPjPS5_SB_mNS0_19identity_decomposerENS1_16block_id_wrapperIjLb0EEEEE10hipError_tT1_PNSt15iterator_traitsISG_E10value_typeET2_T3_PNSH_ISM_E10value_typeET4_T5_PSR_SS_PNS1_23onesweep_lookback_stateEbbT6_jjT7_P12ihipStream_tbENKUlT_T0_SG_SL_E_clIS9_SA_SB_SB_EEDaSZ_S10_SG_SL_EUlSZ_E_NS1_11comp_targetILNS1_3genE6ELNS1_11target_archE950ELNS1_3gpuE13ELNS1_3repE0EEENS1_47radix_sort_onesweep_sort_config_static_selectorELNS0_4arch9wavefront6targetE0EEEvSG_.has_recursion, 0
	.set _ZN7rocprim17ROCPRIM_400000_NS6detail17trampoline_kernelINS0_14default_configENS1_35radix_sort_onesweep_config_selectorIjNS0_10empty_typeEEEZZNS1_29radix_sort_onesweep_iterationIS3_Lb1EPKjPjPS5_SB_mNS0_19identity_decomposerENS1_16block_id_wrapperIjLb0EEEEE10hipError_tT1_PNSt15iterator_traitsISG_E10value_typeET2_T3_PNSH_ISM_E10value_typeET4_T5_PSR_SS_PNS1_23onesweep_lookback_stateEbbT6_jjT7_P12ihipStream_tbENKUlT_T0_SG_SL_E_clIS9_SA_SB_SB_EEDaSZ_S10_SG_SL_EUlSZ_E_NS1_11comp_targetILNS1_3genE6ELNS1_11target_archE950ELNS1_3gpuE13ELNS1_3repE0EEENS1_47radix_sort_onesweep_sort_config_static_selectorELNS0_4arch9wavefront6targetE0EEEvSG_.has_indirect_call, 0
	.section	.AMDGPU.csdata,"",@progbits
; Kernel info:
; codeLenInByte = 0
; TotalNumSgprs: 0
; NumVgprs: 0
; ScratchSize: 0
; MemoryBound: 0
; FloatMode: 240
; IeeeMode: 1
; LDSByteSize: 0 bytes/workgroup (compile time only)
; SGPRBlocks: 0
; VGPRBlocks: 0
; NumSGPRsForWavesPerEU: 1
; NumVGPRsForWavesPerEU: 1
; NamedBarCnt: 0
; Occupancy: 16
; WaveLimiterHint : 0
; COMPUTE_PGM_RSRC2:SCRATCH_EN: 0
; COMPUTE_PGM_RSRC2:USER_SGPR: 2
; COMPUTE_PGM_RSRC2:TRAP_HANDLER: 0
; COMPUTE_PGM_RSRC2:TGID_X_EN: 1
; COMPUTE_PGM_RSRC2:TGID_Y_EN: 0
; COMPUTE_PGM_RSRC2:TGID_Z_EN: 0
; COMPUTE_PGM_RSRC2:TIDIG_COMP_CNT: 0
	.section	.text._ZN7rocprim17ROCPRIM_400000_NS6detail17trampoline_kernelINS0_14default_configENS1_35radix_sort_onesweep_config_selectorIjNS0_10empty_typeEEEZZNS1_29radix_sort_onesweep_iterationIS3_Lb1EPKjPjPS5_SB_mNS0_19identity_decomposerENS1_16block_id_wrapperIjLb0EEEEE10hipError_tT1_PNSt15iterator_traitsISG_E10value_typeET2_T3_PNSH_ISM_E10value_typeET4_T5_PSR_SS_PNS1_23onesweep_lookback_stateEbbT6_jjT7_P12ihipStream_tbENKUlT_T0_SG_SL_E_clIS9_SA_SB_SB_EEDaSZ_S10_SG_SL_EUlSZ_E_NS1_11comp_targetILNS1_3genE5ELNS1_11target_archE942ELNS1_3gpuE9ELNS1_3repE0EEENS1_47radix_sort_onesweep_sort_config_static_selectorELNS0_4arch9wavefront6targetE0EEEvSG_,"axG",@progbits,_ZN7rocprim17ROCPRIM_400000_NS6detail17trampoline_kernelINS0_14default_configENS1_35radix_sort_onesweep_config_selectorIjNS0_10empty_typeEEEZZNS1_29radix_sort_onesweep_iterationIS3_Lb1EPKjPjPS5_SB_mNS0_19identity_decomposerENS1_16block_id_wrapperIjLb0EEEEE10hipError_tT1_PNSt15iterator_traitsISG_E10value_typeET2_T3_PNSH_ISM_E10value_typeET4_T5_PSR_SS_PNS1_23onesweep_lookback_stateEbbT6_jjT7_P12ihipStream_tbENKUlT_T0_SG_SL_E_clIS9_SA_SB_SB_EEDaSZ_S10_SG_SL_EUlSZ_E_NS1_11comp_targetILNS1_3genE5ELNS1_11target_archE942ELNS1_3gpuE9ELNS1_3repE0EEENS1_47radix_sort_onesweep_sort_config_static_selectorELNS0_4arch9wavefront6targetE0EEEvSG_,comdat
	.protected	_ZN7rocprim17ROCPRIM_400000_NS6detail17trampoline_kernelINS0_14default_configENS1_35radix_sort_onesweep_config_selectorIjNS0_10empty_typeEEEZZNS1_29radix_sort_onesweep_iterationIS3_Lb1EPKjPjPS5_SB_mNS0_19identity_decomposerENS1_16block_id_wrapperIjLb0EEEEE10hipError_tT1_PNSt15iterator_traitsISG_E10value_typeET2_T3_PNSH_ISM_E10value_typeET4_T5_PSR_SS_PNS1_23onesweep_lookback_stateEbbT6_jjT7_P12ihipStream_tbENKUlT_T0_SG_SL_E_clIS9_SA_SB_SB_EEDaSZ_S10_SG_SL_EUlSZ_E_NS1_11comp_targetILNS1_3genE5ELNS1_11target_archE942ELNS1_3gpuE9ELNS1_3repE0EEENS1_47radix_sort_onesweep_sort_config_static_selectorELNS0_4arch9wavefront6targetE0EEEvSG_ ; -- Begin function _ZN7rocprim17ROCPRIM_400000_NS6detail17trampoline_kernelINS0_14default_configENS1_35radix_sort_onesweep_config_selectorIjNS0_10empty_typeEEEZZNS1_29radix_sort_onesweep_iterationIS3_Lb1EPKjPjPS5_SB_mNS0_19identity_decomposerENS1_16block_id_wrapperIjLb0EEEEE10hipError_tT1_PNSt15iterator_traitsISG_E10value_typeET2_T3_PNSH_ISM_E10value_typeET4_T5_PSR_SS_PNS1_23onesweep_lookback_stateEbbT6_jjT7_P12ihipStream_tbENKUlT_T0_SG_SL_E_clIS9_SA_SB_SB_EEDaSZ_S10_SG_SL_EUlSZ_E_NS1_11comp_targetILNS1_3genE5ELNS1_11target_archE942ELNS1_3gpuE9ELNS1_3repE0EEENS1_47radix_sort_onesweep_sort_config_static_selectorELNS0_4arch9wavefront6targetE0EEEvSG_
	.globl	_ZN7rocprim17ROCPRIM_400000_NS6detail17trampoline_kernelINS0_14default_configENS1_35radix_sort_onesweep_config_selectorIjNS0_10empty_typeEEEZZNS1_29radix_sort_onesweep_iterationIS3_Lb1EPKjPjPS5_SB_mNS0_19identity_decomposerENS1_16block_id_wrapperIjLb0EEEEE10hipError_tT1_PNSt15iterator_traitsISG_E10value_typeET2_T3_PNSH_ISM_E10value_typeET4_T5_PSR_SS_PNS1_23onesweep_lookback_stateEbbT6_jjT7_P12ihipStream_tbENKUlT_T0_SG_SL_E_clIS9_SA_SB_SB_EEDaSZ_S10_SG_SL_EUlSZ_E_NS1_11comp_targetILNS1_3genE5ELNS1_11target_archE942ELNS1_3gpuE9ELNS1_3repE0EEENS1_47radix_sort_onesweep_sort_config_static_selectorELNS0_4arch9wavefront6targetE0EEEvSG_
	.p2align	8
	.type	_ZN7rocprim17ROCPRIM_400000_NS6detail17trampoline_kernelINS0_14default_configENS1_35radix_sort_onesweep_config_selectorIjNS0_10empty_typeEEEZZNS1_29radix_sort_onesweep_iterationIS3_Lb1EPKjPjPS5_SB_mNS0_19identity_decomposerENS1_16block_id_wrapperIjLb0EEEEE10hipError_tT1_PNSt15iterator_traitsISG_E10value_typeET2_T3_PNSH_ISM_E10value_typeET4_T5_PSR_SS_PNS1_23onesweep_lookback_stateEbbT6_jjT7_P12ihipStream_tbENKUlT_T0_SG_SL_E_clIS9_SA_SB_SB_EEDaSZ_S10_SG_SL_EUlSZ_E_NS1_11comp_targetILNS1_3genE5ELNS1_11target_archE942ELNS1_3gpuE9ELNS1_3repE0EEENS1_47radix_sort_onesweep_sort_config_static_selectorELNS0_4arch9wavefront6targetE0EEEvSG_,@function
_ZN7rocprim17ROCPRIM_400000_NS6detail17trampoline_kernelINS0_14default_configENS1_35radix_sort_onesweep_config_selectorIjNS0_10empty_typeEEEZZNS1_29radix_sort_onesweep_iterationIS3_Lb1EPKjPjPS5_SB_mNS0_19identity_decomposerENS1_16block_id_wrapperIjLb0EEEEE10hipError_tT1_PNSt15iterator_traitsISG_E10value_typeET2_T3_PNSH_ISM_E10value_typeET4_T5_PSR_SS_PNS1_23onesweep_lookback_stateEbbT6_jjT7_P12ihipStream_tbENKUlT_T0_SG_SL_E_clIS9_SA_SB_SB_EEDaSZ_S10_SG_SL_EUlSZ_E_NS1_11comp_targetILNS1_3genE5ELNS1_11target_archE942ELNS1_3gpuE9ELNS1_3repE0EEENS1_47radix_sort_onesweep_sort_config_static_selectorELNS0_4arch9wavefront6targetE0EEEvSG_: ; @_ZN7rocprim17ROCPRIM_400000_NS6detail17trampoline_kernelINS0_14default_configENS1_35radix_sort_onesweep_config_selectorIjNS0_10empty_typeEEEZZNS1_29radix_sort_onesweep_iterationIS3_Lb1EPKjPjPS5_SB_mNS0_19identity_decomposerENS1_16block_id_wrapperIjLb0EEEEE10hipError_tT1_PNSt15iterator_traitsISG_E10value_typeET2_T3_PNSH_ISM_E10value_typeET4_T5_PSR_SS_PNS1_23onesweep_lookback_stateEbbT6_jjT7_P12ihipStream_tbENKUlT_T0_SG_SL_E_clIS9_SA_SB_SB_EEDaSZ_S10_SG_SL_EUlSZ_E_NS1_11comp_targetILNS1_3genE5ELNS1_11target_archE942ELNS1_3gpuE9ELNS1_3repE0EEENS1_47radix_sort_onesweep_sort_config_static_selectorELNS0_4arch9wavefront6targetE0EEEvSG_
; %bb.0:
	.section	.rodata,"a",@progbits
	.p2align	6, 0x0
	.amdhsa_kernel _ZN7rocprim17ROCPRIM_400000_NS6detail17trampoline_kernelINS0_14default_configENS1_35radix_sort_onesweep_config_selectorIjNS0_10empty_typeEEEZZNS1_29radix_sort_onesweep_iterationIS3_Lb1EPKjPjPS5_SB_mNS0_19identity_decomposerENS1_16block_id_wrapperIjLb0EEEEE10hipError_tT1_PNSt15iterator_traitsISG_E10value_typeET2_T3_PNSH_ISM_E10value_typeET4_T5_PSR_SS_PNS1_23onesweep_lookback_stateEbbT6_jjT7_P12ihipStream_tbENKUlT_T0_SG_SL_E_clIS9_SA_SB_SB_EEDaSZ_S10_SG_SL_EUlSZ_E_NS1_11comp_targetILNS1_3genE5ELNS1_11target_archE942ELNS1_3gpuE9ELNS1_3repE0EEENS1_47radix_sort_onesweep_sort_config_static_selectorELNS0_4arch9wavefront6targetE0EEEvSG_
		.amdhsa_group_segment_fixed_size 0
		.amdhsa_private_segment_fixed_size 0
		.amdhsa_kernarg_size 88
		.amdhsa_user_sgpr_count 2
		.amdhsa_user_sgpr_dispatch_ptr 0
		.amdhsa_user_sgpr_queue_ptr 0
		.amdhsa_user_sgpr_kernarg_segment_ptr 1
		.amdhsa_user_sgpr_dispatch_id 0
		.amdhsa_user_sgpr_kernarg_preload_length 0
		.amdhsa_user_sgpr_kernarg_preload_offset 0
		.amdhsa_user_sgpr_private_segment_size 0
		.amdhsa_wavefront_size32 1
		.amdhsa_uses_dynamic_stack 0
		.amdhsa_enable_private_segment 0
		.amdhsa_system_sgpr_workgroup_id_x 1
		.amdhsa_system_sgpr_workgroup_id_y 0
		.amdhsa_system_sgpr_workgroup_id_z 0
		.amdhsa_system_sgpr_workgroup_info 0
		.amdhsa_system_vgpr_workitem_id 0
		.amdhsa_next_free_vgpr 1
		.amdhsa_next_free_sgpr 1
		.amdhsa_named_barrier_count 0
		.amdhsa_reserve_vcc 0
		.amdhsa_float_round_mode_32 0
		.amdhsa_float_round_mode_16_64 0
		.amdhsa_float_denorm_mode_32 3
		.amdhsa_float_denorm_mode_16_64 3
		.amdhsa_fp16_overflow 0
		.amdhsa_memory_ordered 1
		.amdhsa_forward_progress 1
		.amdhsa_inst_pref_size 0
		.amdhsa_round_robin_scheduling 0
		.amdhsa_exception_fp_ieee_invalid_op 0
		.amdhsa_exception_fp_denorm_src 0
		.amdhsa_exception_fp_ieee_div_zero 0
		.amdhsa_exception_fp_ieee_overflow 0
		.amdhsa_exception_fp_ieee_underflow 0
		.amdhsa_exception_fp_ieee_inexact 0
		.amdhsa_exception_int_div_zero 0
	.end_amdhsa_kernel
	.section	.text._ZN7rocprim17ROCPRIM_400000_NS6detail17trampoline_kernelINS0_14default_configENS1_35radix_sort_onesweep_config_selectorIjNS0_10empty_typeEEEZZNS1_29radix_sort_onesweep_iterationIS3_Lb1EPKjPjPS5_SB_mNS0_19identity_decomposerENS1_16block_id_wrapperIjLb0EEEEE10hipError_tT1_PNSt15iterator_traitsISG_E10value_typeET2_T3_PNSH_ISM_E10value_typeET4_T5_PSR_SS_PNS1_23onesweep_lookback_stateEbbT6_jjT7_P12ihipStream_tbENKUlT_T0_SG_SL_E_clIS9_SA_SB_SB_EEDaSZ_S10_SG_SL_EUlSZ_E_NS1_11comp_targetILNS1_3genE5ELNS1_11target_archE942ELNS1_3gpuE9ELNS1_3repE0EEENS1_47radix_sort_onesweep_sort_config_static_selectorELNS0_4arch9wavefront6targetE0EEEvSG_,"axG",@progbits,_ZN7rocprim17ROCPRIM_400000_NS6detail17trampoline_kernelINS0_14default_configENS1_35radix_sort_onesweep_config_selectorIjNS0_10empty_typeEEEZZNS1_29radix_sort_onesweep_iterationIS3_Lb1EPKjPjPS5_SB_mNS0_19identity_decomposerENS1_16block_id_wrapperIjLb0EEEEE10hipError_tT1_PNSt15iterator_traitsISG_E10value_typeET2_T3_PNSH_ISM_E10value_typeET4_T5_PSR_SS_PNS1_23onesweep_lookback_stateEbbT6_jjT7_P12ihipStream_tbENKUlT_T0_SG_SL_E_clIS9_SA_SB_SB_EEDaSZ_S10_SG_SL_EUlSZ_E_NS1_11comp_targetILNS1_3genE5ELNS1_11target_archE942ELNS1_3gpuE9ELNS1_3repE0EEENS1_47radix_sort_onesweep_sort_config_static_selectorELNS0_4arch9wavefront6targetE0EEEvSG_,comdat
.Lfunc_end2653:
	.size	_ZN7rocprim17ROCPRIM_400000_NS6detail17trampoline_kernelINS0_14default_configENS1_35radix_sort_onesweep_config_selectorIjNS0_10empty_typeEEEZZNS1_29radix_sort_onesweep_iterationIS3_Lb1EPKjPjPS5_SB_mNS0_19identity_decomposerENS1_16block_id_wrapperIjLb0EEEEE10hipError_tT1_PNSt15iterator_traitsISG_E10value_typeET2_T3_PNSH_ISM_E10value_typeET4_T5_PSR_SS_PNS1_23onesweep_lookback_stateEbbT6_jjT7_P12ihipStream_tbENKUlT_T0_SG_SL_E_clIS9_SA_SB_SB_EEDaSZ_S10_SG_SL_EUlSZ_E_NS1_11comp_targetILNS1_3genE5ELNS1_11target_archE942ELNS1_3gpuE9ELNS1_3repE0EEENS1_47radix_sort_onesweep_sort_config_static_selectorELNS0_4arch9wavefront6targetE0EEEvSG_, .Lfunc_end2653-_ZN7rocprim17ROCPRIM_400000_NS6detail17trampoline_kernelINS0_14default_configENS1_35radix_sort_onesweep_config_selectorIjNS0_10empty_typeEEEZZNS1_29radix_sort_onesweep_iterationIS3_Lb1EPKjPjPS5_SB_mNS0_19identity_decomposerENS1_16block_id_wrapperIjLb0EEEEE10hipError_tT1_PNSt15iterator_traitsISG_E10value_typeET2_T3_PNSH_ISM_E10value_typeET4_T5_PSR_SS_PNS1_23onesweep_lookback_stateEbbT6_jjT7_P12ihipStream_tbENKUlT_T0_SG_SL_E_clIS9_SA_SB_SB_EEDaSZ_S10_SG_SL_EUlSZ_E_NS1_11comp_targetILNS1_3genE5ELNS1_11target_archE942ELNS1_3gpuE9ELNS1_3repE0EEENS1_47radix_sort_onesweep_sort_config_static_selectorELNS0_4arch9wavefront6targetE0EEEvSG_
                                        ; -- End function
	.set _ZN7rocprim17ROCPRIM_400000_NS6detail17trampoline_kernelINS0_14default_configENS1_35radix_sort_onesweep_config_selectorIjNS0_10empty_typeEEEZZNS1_29radix_sort_onesweep_iterationIS3_Lb1EPKjPjPS5_SB_mNS0_19identity_decomposerENS1_16block_id_wrapperIjLb0EEEEE10hipError_tT1_PNSt15iterator_traitsISG_E10value_typeET2_T3_PNSH_ISM_E10value_typeET4_T5_PSR_SS_PNS1_23onesweep_lookback_stateEbbT6_jjT7_P12ihipStream_tbENKUlT_T0_SG_SL_E_clIS9_SA_SB_SB_EEDaSZ_S10_SG_SL_EUlSZ_E_NS1_11comp_targetILNS1_3genE5ELNS1_11target_archE942ELNS1_3gpuE9ELNS1_3repE0EEENS1_47radix_sort_onesweep_sort_config_static_selectorELNS0_4arch9wavefront6targetE0EEEvSG_.num_vgpr, 0
	.set _ZN7rocprim17ROCPRIM_400000_NS6detail17trampoline_kernelINS0_14default_configENS1_35radix_sort_onesweep_config_selectorIjNS0_10empty_typeEEEZZNS1_29radix_sort_onesweep_iterationIS3_Lb1EPKjPjPS5_SB_mNS0_19identity_decomposerENS1_16block_id_wrapperIjLb0EEEEE10hipError_tT1_PNSt15iterator_traitsISG_E10value_typeET2_T3_PNSH_ISM_E10value_typeET4_T5_PSR_SS_PNS1_23onesweep_lookback_stateEbbT6_jjT7_P12ihipStream_tbENKUlT_T0_SG_SL_E_clIS9_SA_SB_SB_EEDaSZ_S10_SG_SL_EUlSZ_E_NS1_11comp_targetILNS1_3genE5ELNS1_11target_archE942ELNS1_3gpuE9ELNS1_3repE0EEENS1_47radix_sort_onesweep_sort_config_static_selectorELNS0_4arch9wavefront6targetE0EEEvSG_.num_agpr, 0
	.set _ZN7rocprim17ROCPRIM_400000_NS6detail17trampoline_kernelINS0_14default_configENS1_35radix_sort_onesweep_config_selectorIjNS0_10empty_typeEEEZZNS1_29radix_sort_onesweep_iterationIS3_Lb1EPKjPjPS5_SB_mNS0_19identity_decomposerENS1_16block_id_wrapperIjLb0EEEEE10hipError_tT1_PNSt15iterator_traitsISG_E10value_typeET2_T3_PNSH_ISM_E10value_typeET4_T5_PSR_SS_PNS1_23onesweep_lookback_stateEbbT6_jjT7_P12ihipStream_tbENKUlT_T0_SG_SL_E_clIS9_SA_SB_SB_EEDaSZ_S10_SG_SL_EUlSZ_E_NS1_11comp_targetILNS1_3genE5ELNS1_11target_archE942ELNS1_3gpuE9ELNS1_3repE0EEENS1_47radix_sort_onesweep_sort_config_static_selectorELNS0_4arch9wavefront6targetE0EEEvSG_.numbered_sgpr, 0
	.set _ZN7rocprim17ROCPRIM_400000_NS6detail17trampoline_kernelINS0_14default_configENS1_35radix_sort_onesweep_config_selectorIjNS0_10empty_typeEEEZZNS1_29radix_sort_onesweep_iterationIS3_Lb1EPKjPjPS5_SB_mNS0_19identity_decomposerENS1_16block_id_wrapperIjLb0EEEEE10hipError_tT1_PNSt15iterator_traitsISG_E10value_typeET2_T3_PNSH_ISM_E10value_typeET4_T5_PSR_SS_PNS1_23onesweep_lookback_stateEbbT6_jjT7_P12ihipStream_tbENKUlT_T0_SG_SL_E_clIS9_SA_SB_SB_EEDaSZ_S10_SG_SL_EUlSZ_E_NS1_11comp_targetILNS1_3genE5ELNS1_11target_archE942ELNS1_3gpuE9ELNS1_3repE0EEENS1_47radix_sort_onesweep_sort_config_static_selectorELNS0_4arch9wavefront6targetE0EEEvSG_.num_named_barrier, 0
	.set _ZN7rocprim17ROCPRIM_400000_NS6detail17trampoline_kernelINS0_14default_configENS1_35radix_sort_onesweep_config_selectorIjNS0_10empty_typeEEEZZNS1_29radix_sort_onesweep_iterationIS3_Lb1EPKjPjPS5_SB_mNS0_19identity_decomposerENS1_16block_id_wrapperIjLb0EEEEE10hipError_tT1_PNSt15iterator_traitsISG_E10value_typeET2_T3_PNSH_ISM_E10value_typeET4_T5_PSR_SS_PNS1_23onesweep_lookback_stateEbbT6_jjT7_P12ihipStream_tbENKUlT_T0_SG_SL_E_clIS9_SA_SB_SB_EEDaSZ_S10_SG_SL_EUlSZ_E_NS1_11comp_targetILNS1_3genE5ELNS1_11target_archE942ELNS1_3gpuE9ELNS1_3repE0EEENS1_47radix_sort_onesweep_sort_config_static_selectorELNS0_4arch9wavefront6targetE0EEEvSG_.private_seg_size, 0
	.set _ZN7rocprim17ROCPRIM_400000_NS6detail17trampoline_kernelINS0_14default_configENS1_35radix_sort_onesweep_config_selectorIjNS0_10empty_typeEEEZZNS1_29radix_sort_onesweep_iterationIS3_Lb1EPKjPjPS5_SB_mNS0_19identity_decomposerENS1_16block_id_wrapperIjLb0EEEEE10hipError_tT1_PNSt15iterator_traitsISG_E10value_typeET2_T3_PNSH_ISM_E10value_typeET4_T5_PSR_SS_PNS1_23onesweep_lookback_stateEbbT6_jjT7_P12ihipStream_tbENKUlT_T0_SG_SL_E_clIS9_SA_SB_SB_EEDaSZ_S10_SG_SL_EUlSZ_E_NS1_11comp_targetILNS1_3genE5ELNS1_11target_archE942ELNS1_3gpuE9ELNS1_3repE0EEENS1_47radix_sort_onesweep_sort_config_static_selectorELNS0_4arch9wavefront6targetE0EEEvSG_.uses_vcc, 0
	.set _ZN7rocprim17ROCPRIM_400000_NS6detail17trampoline_kernelINS0_14default_configENS1_35radix_sort_onesweep_config_selectorIjNS0_10empty_typeEEEZZNS1_29radix_sort_onesweep_iterationIS3_Lb1EPKjPjPS5_SB_mNS0_19identity_decomposerENS1_16block_id_wrapperIjLb0EEEEE10hipError_tT1_PNSt15iterator_traitsISG_E10value_typeET2_T3_PNSH_ISM_E10value_typeET4_T5_PSR_SS_PNS1_23onesweep_lookback_stateEbbT6_jjT7_P12ihipStream_tbENKUlT_T0_SG_SL_E_clIS9_SA_SB_SB_EEDaSZ_S10_SG_SL_EUlSZ_E_NS1_11comp_targetILNS1_3genE5ELNS1_11target_archE942ELNS1_3gpuE9ELNS1_3repE0EEENS1_47radix_sort_onesweep_sort_config_static_selectorELNS0_4arch9wavefront6targetE0EEEvSG_.uses_flat_scratch, 0
	.set _ZN7rocprim17ROCPRIM_400000_NS6detail17trampoline_kernelINS0_14default_configENS1_35radix_sort_onesweep_config_selectorIjNS0_10empty_typeEEEZZNS1_29radix_sort_onesweep_iterationIS3_Lb1EPKjPjPS5_SB_mNS0_19identity_decomposerENS1_16block_id_wrapperIjLb0EEEEE10hipError_tT1_PNSt15iterator_traitsISG_E10value_typeET2_T3_PNSH_ISM_E10value_typeET4_T5_PSR_SS_PNS1_23onesweep_lookback_stateEbbT6_jjT7_P12ihipStream_tbENKUlT_T0_SG_SL_E_clIS9_SA_SB_SB_EEDaSZ_S10_SG_SL_EUlSZ_E_NS1_11comp_targetILNS1_3genE5ELNS1_11target_archE942ELNS1_3gpuE9ELNS1_3repE0EEENS1_47radix_sort_onesweep_sort_config_static_selectorELNS0_4arch9wavefront6targetE0EEEvSG_.has_dyn_sized_stack, 0
	.set _ZN7rocprim17ROCPRIM_400000_NS6detail17trampoline_kernelINS0_14default_configENS1_35radix_sort_onesweep_config_selectorIjNS0_10empty_typeEEEZZNS1_29radix_sort_onesweep_iterationIS3_Lb1EPKjPjPS5_SB_mNS0_19identity_decomposerENS1_16block_id_wrapperIjLb0EEEEE10hipError_tT1_PNSt15iterator_traitsISG_E10value_typeET2_T3_PNSH_ISM_E10value_typeET4_T5_PSR_SS_PNS1_23onesweep_lookback_stateEbbT6_jjT7_P12ihipStream_tbENKUlT_T0_SG_SL_E_clIS9_SA_SB_SB_EEDaSZ_S10_SG_SL_EUlSZ_E_NS1_11comp_targetILNS1_3genE5ELNS1_11target_archE942ELNS1_3gpuE9ELNS1_3repE0EEENS1_47radix_sort_onesweep_sort_config_static_selectorELNS0_4arch9wavefront6targetE0EEEvSG_.has_recursion, 0
	.set _ZN7rocprim17ROCPRIM_400000_NS6detail17trampoline_kernelINS0_14default_configENS1_35radix_sort_onesweep_config_selectorIjNS0_10empty_typeEEEZZNS1_29radix_sort_onesweep_iterationIS3_Lb1EPKjPjPS5_SB_mNS0_19identity_decomposerENS1_16block_id_wrapperIjLb0EEEEE10hipError_tT1_PNSt15iterator_traitsISG_E10value_typeET2_T3_PNSH_ISM_E10value_typeET4_T5_PSR_SS_PNS1_23onesweep_lookback_stateEbbT6_jjT7_P12ihipStream_tbENKUlT_T0_SG_SL_E_clIS9_SA_SB_SB_EEDaSZ_S10_SG_SL_EUlSZ_E_NS1_11comp_targetILNS1_3genE5ELNS1_11target_archE942ELNS1_3gpuE9ELNS1_3repE0EEENS1_47radix_sort_onesweep_sort_config_static_selectorELNS0_4arch9wavefront6targetE0EEEvSG_.has_indirect_call, 0
	.section	.AMDGPU.csdata,"",@progbits
; Kernel info:
; codeLenInByte = 0
; TotalNumSgprs: 0
; NumVgprs: 0
; ScratchSize: 0
; MemoryBound: 0
; FloatMode: 240
; IeeeMode: 1
; LDSByteSize: 0 bytes/workgroup (compile time only)
; SGPRBlocks: 0
; VGPRBlocks: 0
; NumSGPRsForWavesPerEU: 1
; NumVGPRsForWavesPerEU: 1
; NamedBarCnt: 0
; Occupancy: 16
; WaveLimiterHint : 0
; COMPUTE_PGM_RSRC2:SCRATCH_EN: 0
; COMPUTE_PGM_RSRC2:USER_SGPR: 2
; COMPUTE_PGM_RSRC2:TRAP_HANDLER: 0
; COMPUTE_PGM_RSRC2:TGID_X_EN: 1
; COMPUTE_PGM_RSRC2:TGID_Y_EN: 0
; COMPUTE_PGM_RSRC2:TGID_Z_EN: 0
; COMPUTE_PGM_RSRC2:TIDIG_COMP_CNT: 0
	.section	.text._ZN7rocprim17ROCPRIM_400000_NS6detail17trampoline_kernelINS0_14default_configENS1_35radix_sort_onesweep_config_selectorIjNS0_10empty_typeEEEZZNS1_29radix_sort_onesweep_iterationIS3_Lb1EPKjPjPS5_SB_mNS0_19identity_decomposerENS1_16block_id_wrapperIjLb0EEEEE10hipError_tT1_PNSt15iterator_traitsISG_E10value_typeET2_T3_PNSH_ISM_E10value_typeET4_T5_PSR_SS_PNS1_23onesweep_lookback_stateEbbT6_jjT7_P12ihipStream_tbENKUlT_T0_SG_SL_E_clIS9_SA_SB_SB_EEDaSZ_S10_SG_SL_EUlSZ_E_NS1_11comp_targetILNS1_3genE2ELNS1_11target_archE906ELNS1_3gpuE6ELNS1_3repE0EEENS1_47radix_sort_onesweep_sort_config_static_selectorELNS0_4arch9wavefront6targetE0EEEvSG_,"axG",@progbits,_ZN7rocprim17ROCPRIM_400000_NS6detail17trampoline_kernelINS0_14default_configENS1_35radix_sort_onesweep_config_selectorIjNS0_10empty_typeEEEZZNS1_29radix_sort_onesweep_iterationIS3_Lb1EPKjPjPS5_SB_mNS0_19identity_decomposerENS1_16block_id_wrapperIjLb0EEEEE10hipError_tT1_PNSt15iterator_traitsISG_E10value_typeET2_T3_PNSH_ISM_E10value_typeET4_T5_PSR_SS_PNS1_23onesweep_lookback_stateEbbT6_jjT7_P12ihipStream_tbENKUlT_T0_SG_SL_E_clIS9_SA_SB_SB_EEDaSZ_S10_SG_SL_EUlSZ_E_NS1_11comp_targetILNS1_3genE2ELNS1_11target_archE906ELNS1_3gpuE6ELNS1_3repE0EEENS1_47radix_sort_onesweep_sort_config_static_selectorELNS0_4arch9wavefront6targetE0EEEvSG_,comdat
	.protected	_ZN7rocprim17ROCPRIM_400000_NS6detail17trampoline_kernelINS0_14default_configENS1_35radix_sort_onesweep_config_selectorIjNS0_10empty_typeEEEZZNS1_29radix_sort_onesweep_iterationIS3_Lb1EPKjPjPS5_SB_mNS0_19identity_decomposerENS1_16block_id_wrapperIjLb0EEEEE10hipError_tT1_PNSt15iterator_traitsISG_E10value_typeET2_T3_PNSH_ISM_E10value_typeET4_T5_PSR_SS_PNS1_23onesweep_lookback_stateEbbT6_jjT7_P12ihipStream_tbENKUlT_T0_SG_SL_E_clIS9_SA_SB_SB_EEDaSZ_S10_SG_SL_EUlSZ_E_NS1_11comp_targetILNS1_3genE2ELNS1_11target_archE906ELNS1_3gpuE6ELNS1_3repE0EEENS1_47radix_sort_onesweep_sort_config_static_selectorELNS0_4arch9wavefront6targetE0EEEvSG_ ; -- Begin function _ZN7rocprim17ROCPRIM_400000_NS6detail17trampoline_kernelINS0_14default_configENS1_35radix_sort_onesweep_config_selectorIjNS0_10empty_typeEEEZZNS1_29radix_sort_onesweep_iterationIS3_Lb1EPKjPjPS5_SB_mNS0_19identity_decomposerENS1_16block_id_wrapperIjLb0EEEEE10hipError_tT1_PNSt15iterator_traitsISG_E10value_typeET2_T3_PNSH_ISM_E10value_typeET4_T5_PSR_SS_PNS1_23onesweep_lookback_stateEbbT6_jjT7_P12ihipStream_tbENKUlT_T0_SG_SL_E_clIS9_SA_SB_SB_EEDaSZ_S10_SG_SL_EUlSZ_E_NS1_11comp_targetILNS1_3genE2ELNS1_11target_archE906ELNS1_3gpuE6ELNS1_3repE0EEENS1_47radix_sort_onesweep_sort_config_static_selectorELNS0_4arch9wavefront6targetE0EEEvSG_
	.globl	_ZN7rocprim17ROCPRIM_400000_NS6detail17trampoline_kernelINS0_14default_configENS1_35radix_sort_onesweep_config_selectorIjNS0_10empty_typeEEEZZNS1_29radix_sort_onesweep_iterationIS3_Lb1EPKjPjPS5_SB_mNS0_19identity_decomposerENS1_16block_id_wrapperIjLb0EEEEE10hipError_tT1_PNSt15iterator_traitsISG_E10value_typeET2_T3_PNSH_ISM_E10value_typeET4_T5_PSR_SS_PNS1_23onesweep_lookback_stateEbbT6_jjT7_P12ihipStream_tbENKUlT_T0_SG_SL_E_clIS9_SA_SB_SB_EEDaSZ_S10_SG_SL_EUlSZ_E_NS1_11comp_targetILNS1_3genE2ELNS1_11target_archE906ELNS1_3gpuE6ELNS1_3repE0EEENS1_47radix_sort_onesweep_sort_config_static_selectorELNS0_4arch9wavefront6targetE0EEEvSG_
	.p2align	8
	.type	_ZN7rocprim17ROCPRIM_400000_NS6detail17trampoline_kernelINS0_14default_configENS1_35radix_sort_onesweep_config_selectorIjNS0_10empty_typeEEEZZNS1_29radix_sort_onesweep_iterationIS3_Lb1EPKjPjPS5_SB_mNS0_19identity_decomposerENS1_16block_id_wrapperIjLb0EEEEE10hipError_tT1_PNSt15iterator_traitsISG_E10value_typeET2_T3_PNSH_ISM_E10value_typeET4_T5_PSR_SS_PNS1_23onesweep_lookback_stateEbbT6_jjT7_P12ihipStream_tbENKUlT_T0_SG_SL_E_clIS9_SA_SB_SB_EEDaSZ_S10_SG_SL_EUlSZ_E_NS1_11comp_targetILNS1_3genE2ELNS1_11target_archE906ELNS1_3gpuE6ELNS1_3repE0EEENS1_47radix_sort_onesweep_sort_config_static_selectorELNS0_4arch9wavefront6targetE0EEEvSG_,@function
_ZN7rocprim17ROCPRIM_400000_NS6detail17trampoline_kernelINS0_14default_configENS1_35radix_sort_onesweep_config_selectorIjNS0_10empty_typeEEEZZNS1_29radix_sort_onesweep_iterationIS3_Lb1EPKjPjPS5_SB_mNS0_19identity_decomposerENS1_16block_id_wrapperIjLb0EEEEE10hipError_tT1_PNSt15iterator_traitsISG_E10value_typeET2_T3_PNSH_ISM_E10value_typeET4_T5_PSR_SS_PNS1_23onesweep_lookback_stateEbbT6_jjT7_P12ihipStream_tbENKUlT_T0_SG_SL_E_clIS9_SA_SB_SB_EEDaSZ_S10_SG_SL_EUlSZ_E_NS1_11comp_targetILNS1_3genE2ELNS1_11target_archE906ELNS1_3gpuE6ELNS1_3repE0EEENS1_47radix_sort_onesweep_sort_config_static_selectorELNS0_4arch9wavefront6targetE0EEEvSG_: ; @_ZN7rocprim17ROCPRIM_400000_NS6detail17trampoline_kernelINS0_14default_configENS1_35radix_sort_onesweep_config_selectorIjNS0_10empty_typeEEEZZNS1_29radix_sort_onesweep_iterationIS3_Lb1EPKjPjPS5_SB_mNS0_19identity_decomposerENS1_16block_id_wrapperIjLb0EEEEE10hipError_tT1_PNSt15iterator_traitsISG_E10value_typeET2_T3_PNSH_ISM_E10value_typeET4_T5_PSR_SS_PNS1_23onesweep_lookback_stateEbbT6_jjT7_P12ihipStream_tbENKUlT_T0_SG_SL_E_clIS9_SA_SB_SB_EEDaSZ_S10_SG_SL_EUlSZ_E_NS1_11comp_targetILNS1_3genE2ELNS1_11target_archE906ELNS1_3gpuE6ELNS1_3repE0EEENS1_47radix_sort_onesweep_sort_config_static_selectorELNS0_4arch9wavefront6targetE0EEEvSG_
; %bb.0:
	.section	.rodata,"a",@progbits
	.p2align	6, 0x0
	.amdhsa_kernel _ZN7rocprim17ROCPRIM_400000_NS6detail17trampoline_kernelINS0_14default_configENS1_35radix_sort_onesweep_config_selectorIjNS0_10empty_typeEEEZZNS1_29radix_sort_onesweep_iterationIS3_Lb1EPKjPjPS5_SB_mNS0_19identity_decomposerENS1_16block_id_wrapperIjLb0EEEEE10hipError_tT1_PNSt15iterator_traitsISG_E10value_typeET2_T3_PNSH_ISM_E10value_typeET4_T5_PSR_SS_PNS1_23onesweep_lookback_stateEbbT6_jjT7_P12ihipStream_tbENKUlT_T0_SG_SL_E_clIS9_SA_SB_SB_EEDaSZ_S10_SG_SL_EUlSZ_E_NS1_11comp_targetILNS1_3genE2ELNS1_11target_archE906ELNS1_3gpuE6ELNS1_3repE0EEENS1_47radix_sort_onesweep_sort_config_static_selectorELNS0_4arch9wavefront6targetE0EEEvSG_
		.amdhsa_group_segment_fixed_size 0
		.amdhsa_private_segment_fixed_size 0
		.amdhsa_kernarg_size 88
		.amdhsa_user_sgpr_count 2
		.amdhsa_user_sgpr_dispatch_ptr 0
		.amdhsa_user_sgpr_queue_ptr 0
		.amdhsa_user_sgpr_kernarg_segment_ptr 1
		.amdhsa_user_sgpr_dispatch_id 0
		.amdhsa_user_sgpr_kernarg_preload_length 0
		.amdhsa_user_sgpr_kernarg_preload_offset 0
		.amdhsa_user_sgpr_private_segment_size 0
		.amdhsa_wavefront_size32 1
		.amdhsa_uses_dynamic_stack 0
		.amdhsa_enable_private_segment 0
		.amdhsa_system_sgpr_workgroup_id_x 1
		.amdhsa_system_sgpr_workgroup_id_y 0
		.amdhsa_system_sgpr_workgroup_id_z 0
		.amdhsa_system_sgpr_workgroup_info 0
		.amdhsa_system_vgpr_workitem_id 0
		.amdhsa_next_free_vgpr 1
		.amdhsa_next_free_sgpr 1
		.amdhsa_named_barrier_count 0
		.amdhsa_reserve_vcc 0
		.amdhsa_float_round_mode_32 0
		.amdhsa_float_round_mode_16_64 0
		.amdhsa_float_denorm_mode_32 3
		.amdhsa_float_denorm_mode_16_64 3
		.amdhsa_fp16_overflow 0
		.amdhsa_memory_ordered 1
		.amdhsa_forward_progress 1
		.amdhsa_inst_pref_size 0
		.amdhsa_round_robin_scheduling 0
		.amdhsa_exception_fp_ieee_invalid_op 0
		.amdhsa_exception_fp_denorm_src 0
		.amdhsa_exception_fp_ieee_div_zero 0
		.amdhsa_exception_fp_ieee_overflow 0
		.amdhsa_exception_fp_ieee_underflow 0
		.amdhsa_exception_fp_ieee_inexact 0
		.amdhsa_exception_int_div_zero 0
	.end_amdhsa_kernel
	.section	.text._ZN7rocprim17ROCPRIM_400000_NS6detail17trampoline_kernelINS0_14default_configENS1_35radix_sort_onesweep_config_selectorIjNS0_10empty_typeEEEZZNS1_29radix_sort_onesweep_iterationIS3_Lb1EPKjPjPS5_SB_mNS0_19identity_decomposerENS1_16block_id_wrapperIjLb0EEEEE10hipError_tT1_PNSt15iterator_traitsISG_E10value_typeET2_T3_PNSH_ISM_E10value_typeET4_T5_PSR_SS_PNS1_23onesweep_lookback_stateEbbT6_jjT7_P12ihipStream_tbENKUlT_T0_SG_SL_E_clIS9_SA_SB_SB_EEDaSZ_S10_SG_SL_EUlSZ_E_NS1_11comp_targetILNS1_3genE2ELNS1_11target_archE906ELNS1_3gpuE6ELNS1_3repE0EEENS1_47radix_sort_onesweep_sort_config_static_selectorELNS0_4arch9wavefront6targetE0EEEvSG_,"axG",@progbits,_ZN7rocprim17ROCPRIM_400000_NS6detail17trampoline_kernelINS0_14default_configENS1_35radix_sort_onesweep_config_selectorIjNS0_10empty_typeEEEZZNS1_29radix_sort_onesweep_iterationIS3_Lb1EPKjPjPS5_SB_mNS0_19identity_decomposerENS1_16block_id_wrapperIjLb0EEEEE10hipError_tT1_PNSt15iterator_traitsISG_E10value_typeET2_T3_PNSH_ISM_E10value_typeET4_T5_PSR_SS_PNS1_23onesweep_lookback_stateEbbT6_jjT7_P12ihipStream_tbENKUlT_T0_SG_SL_E_clIS9_SA_SB_SB_EEDaSZ_S10_SG_SL_EUlSZ_E_NS1_11comp_targetILNS1_3genE2ELNS1_11target_archE906ELNS1_3gpuE6ELNS1_3repE0EEENS1_47radix_sort_onesweep_sort_config_static_selectorELNS0_4arch9wavefront6targetE0EEEvSG_,comdat
.Lfunc_end2654:
	.size	_ZN7rocprim17ROCPRIM_400000_NS6detail17trampoline_kernelINS0_14default_configENS1_35radix_sort_onesweep_config_selectorIjNS0_10empty_typeEEEZZNS1_29radix_sort_onesweep_iterationIS3_Lb1EPKjPjPS5_SB_mNS0_19identity_decomposerENS1_16block_id_wrapperIjLb0EEEEE10hipError_tT1_PNSt15iterator_traitsISG_E10value_typeET2_T3_PNSH_ISM_E10value_typeET4_T5_PSR_SS_PNS1_23onesweep_lookback_stateEbbT6_jjT7_P12ihipStream_tbENKUlT_T0_SG_SL_E_clIS9_SA_SB_SB_EEDaSZ_S10_SG_SL_EUlSZ_E_NS1_11comp_targetILNS1_3genE2ELNS1_11target_archE906ELNS1_3gpuE6ELNS1_3repE0EEENS1_47radix_sort_onesweep_sort_config_static_selectorELNS0_4arch9wavefront6targetE0EEEvSG_, .Lfunc_end2654-_ZN7rocprim17ROCPRIM_400000_NS6detail17trampoline_kernelINS0_14default_configENS1_35radix_sort_onesweep_config_selectorIjNS0_10empty_typeEEEZZNS1_29radix_sort_onesweep_iterationIS3_Lb1EPKjPjPS5_SB_mNS0_19identity_decomposerENS1_16block_id_wrapperIjLb0EEEEE10hipError_tT1_PNSt15iterator_traitsISG_E10value_typeET2_T3_PNSH_ISM_E10value_typeET4_T5_PSR_SS_PNS1_23onesweep_lookback_stateEbbT6_jjT7_P12ihipStream_tbENKUlT_T0_SG_SL_E_clIS9_SA_SB_SB_EEDaSZ_S10_SG_SL_EUlSZ_E_NS1_11comp_targetILNS1_3genE2ELNS1_11target_archE906ELNS1_3gpuE6ELNS1_3repE0EEENS1_47radix_sort_onesweep_sort_config_static_selectorELNS0_4arch9wavefront6targetE0EEEvSG_
                                        ; -- End function
	.set _ZN7rocprim17ROCPRIM_400000_NS6detail17trampoline_kernelINS0_14default_configENS1_35radix_sort_onesweep_config_selectorIjNS0_10empty_typeEEEZZNS1_29radix_sort_onesweep_iterationIS3_Lb1EPKjPjPS5_SB_mNS0_19identity_decomposerENS1_16block_id_wrapperIjLb0EEEEE10hipError_tT1_PNSt15iterator_traitsISG_E10value_typeET2_T3_PNSH_ISM_E10value_typeET4_T5_PSR_SS_PNS1_23onesweep_lookback_stateEbbT6_jjT7_P12ihipStream_tbENKUlT_T0_SG_SL_E_clIS9_SA_SB_SB_EEDaSZ_S10_SG_SL_EUlSZ_E_NS1_11comp_targetILNS1_3genE2ELNS1_11target_archE906ELNS1_3gpuE6ELNS1_3repE0EEENS1_47radix_sort_onesweep_sort_config_static_selectorELNS0_4arch9wavefront6targetE0EEEvSG_.num_vgpr, 0
	.set _ZN7rocprim17ROCPRIM_400000_NS6detail17trampoline_kernelINS0_14default_configENS1_35radix_sort_onesweep_config_selectorIjNS0_10empty_typeEEEZZNS1_29radix_sort_onesweep_iterationIS3_Lb1EPKjPjPS5_SB_mNS0_19identity_decomposerENS1_16block_id_wrapperIjLb0EEEEE10hipError_tT1_PNSt15iterator_traitsISG_E10value_typeET2_T3_PNSH_ISM_E10value_typeET4_T5_PSR_SS_PNS1_23onesweep_lookback_stateEbbT6_jjT7_P12ihipStream_tbENKUlT_T0_SG_SL_E_clIS9_SA_SB_SB_EEDaSZ_S10_SG_SL_EUlSZ_E_NS1_11comp_targetILNS1_3genE2ELNS1_11target_archE906ELNS1_3gpuE6ELNS1_3repE0EEENS1_47radix_sort_onesweep_sort_config_static_selectorELNS0_4arch9wavefront6targetE0EEEvSG_.num_agpr, 0
	.set _ZN7rocprim17ROCPRIM_400000_NS6detail17trampoline_kernelINS0_14default_configENS1_35radix_sort_onesweep_config_selectorIjNS0_10empty_typeEEEZZNS1_29radix_sort_onesweep_iterationIS3_Lb1EPKjPjPS5_SB_mNS0_19identity_decomposerENS1_16block_id_wrapperIjLb0EEEEE10hipError_tT1_PNSt15iterator_traitsISG_E10value_typeET2_T3_PNSH_ISM_E10value_typeET4_T5_PSR_SS_PNS1_23onesweep_lookback_stateEbbT6_jjT7_P12ihipStream_tbENKUlT_T0_SG_SL_E_clIS9_SA_SB_SB_EEDaSZ_S10_SG_SL_EUlSZ_E_NS1_11comp_targetILNS1_3genE2ELNS1_11target_archE906ELNS1_3gpuE6ELNS1_3repE0EEENS1_47radix_sort_onesweep_sort_config_static_selectorELNS0_4arch9wavefront6targetE0EEEvSG_.numbered_sgpr, 0
	.set _ZN7rocprim17ROCPRIM_400000_NS6detail17trampoline_kernelINS0_14default_configENS1_35radix_sort_onesweep_config_selectorIjNS0_10empty_typeEEEZZNS1_29radix_sort_onesweep_iterationIS3_Lb1EPKjPjPS5_SB_mNS0_19identity_decomposerENS1_16block_id_wrapperIjLb0EEEEE10hipError_tT1_PNSt15iterator_traitsISG_E10value_typeET2_T3_PNSH_ISM_E10value_typeET4_T5_PSR_SS_PNS1_23onesweep_lookback_stateEbbT6_jjT7_P12ihipStream_tbENKUlT_T0_SG_SL_E_clIS9_SA_SB_SB_EEDaSZ_S10_SG_SL_EUlSZ_E_NS1_11comp_targetILNS1_3genE2ELNS1_11target_archE906ELNS1_3gpuE6ELNS1_3repE0EEENS1_47radix_sort_onesweep_sort_config_static_selectorELNS0_4arch9wavefront6targetE0EEEvSG_.num_named_barrier, 0
	.set _ZN7rocprim17ROCPRIM_400000_NS6detail17trampoline_kernelINS0_14default_configENS1_35radix_sort_onesweep_config_selectorIjNS0_10empty_typeEEEZZNS1_29radix_sort_onesweep_iterationIS3_Lb1EPKjPjPS5_SB_mNS0_19identity_decomposerENS1_16block_id_wrapperIjLb0EEEEE10hipError_tT1_PNSt15iterator_traitsISG_E10value_typeET2_T3_PNSH_ISM_E10value_typeET4_T5_PSR_SS_PNS1_23onesweep_lookback_stateEbbT6_jjT7_P12ihipStream_tbENKUlT_T0_SG_SL_E_clIS9_SA_SB_SB_EEDaSZ_S10_SG_SL_EUlSZ_E_NS1_11comp_targetILNS1_3genE2ELNS1_11target_archE906ELNS1_3gpuE6ELNS1_3repE0EEENS1_47radix_sort_onesweep_sort_config_static_selectorELNS0_4arch9wavefront6targetE0EEEvSG_.private_seg_size, 0
	.set _ZN7rocprim17ROCPRIM_400000_NS6detail17trampoline_kernelINS0_14default_configENS1_35radix_sort_onesweep_config_selectorIjNS0_10empty_typeEEEZZNS1_29radix_sort_onesweep_iterationIS3_Lb1EPKjPjPS5_SB_mNS0_19identity_decomposerENS1_16block_id_wrapperIjLb0EEEEE10hipError_tT1_PNSt15iterator_traitsISG_E10value_typeET2_T3_PNSH_ISM_E10value_typeET4_T5_PSR_SS_PNS1_23onesweep_lookback_stateEbbT6_jjT7_P12ihipStream_tbENKUlT_T0_SG_SL_E_clIS9_SA_SB_SB_EEDaSZ_S10_SG_SL_EUlSZ_E_NS1_11comp_targetILNS1_3genE2ELNS1_11target_archE906ELNS1_3gpuE6ELNS1_3repE0EEENS1_47radix_sort_onesweep_sort_config_static_selectorELNS0_4arch9wavefront6targetE0EEEvSG_.uses_vcc, 0
	.set _ZN7rocprim17ROCPRIM_400000_NS6detail17trampoline_kernelINS0_14default_configENS1_35radix_sort_onesweep_config_selectorIjNS0_10empty_typeEEEZZNS1_29radix_sort_onesweep_iterationIS3_Lb1EPKjPjPS5_SB_mNS0_19identity_decomposerENS1_16block_id_wrapperIjLb0EEEEE10hipError_tT1_PNSt15iterator_traitsISG_E10value_typeET2_T3_PNSH_ISM_E10value_typeET4_T5_PSR_SS_PNS1_23onesweep_lookback_stateEbbT6_jjT7_P12ihipStream_tbENKUlT_T0_SG_SL_E_clIS9_SA_SB_SB_EEDaSZ_S10_SG_SL_EUlSZ_E_NS1_11comp_targetILNS1_3genE2ELNS1_11target_archE906ELNS1_3gpuE6ELNS1_3repE0EEENS1_47radix_sort_onesweep_sort_config_static_selectorELNS0_4arch9wavefront6targetE0EEEvSG_.uses_flat_scratch, 0
	.set _ZN7rocprim17ROCPRIM_400000_NS6detail17trampoline_kernelINS0_14default_configENS1_35radix_sort_onesweep_config_selectorIjNS0_10empty_typeEEEZZNS1_29radix_sort_onesweep_iterationIS3_Lb1EPKjPjPS5_SB_mNS0_19identity_decomposerENS1_16block_id_wrapperIjLb0EEEEE10hipError_tT1_PNSt15iterator_traitsISG_E10value_typeET2_T3_PNSH_ISM_E10value_typeET4_T5_PSR_SS_PNS1_23onesweep_lookback_stateEbbT6_jjT7_P12ihipStream_tbENKUlT_T0_SG_SL_E_clIS9_SA_SB_SB_EEDaSZ_S10_SG_SL_EUlSZ_E_NS1_11comp_targetILNS1_3genE2ELNS1_11target_archE906ELNS1_3gpuE6ELNS1_3repE0EEENS1_47radix_sort_onesweep_sort_config_static_selectorELNS0_4arch9wavefront6targetE0EEEvSG_.has_dyn_sized_stack, 0
	.set _ZN7rocprim17ROCPRIM_400000_NS6detail17trampoline_kernelINS0_14default_configENS1_35radix_sort_onesweep_config_selectorIjNS0_10empty_typeEEEZZNS1_29radix_sort_onesweep_iterationIS3_Lb1EPKjPjPS5_SB_mNS0_19identity_decomposerENS1_16block_id_wrapperIjLb0EEEEE10hipError_tT1_PNSt15iterator_traitsISG_E10value_typeET2_T3_PNSH_ISM_E10value_typeET4_T5_PSR_SS_PNS1_23onesweep_lookback_stateEbbT6_jjT7_P12ihipStream_tbENKUlT_T0_SG_SL_E_clIS9_SA_SB_SB_EEDaSZ_S10_SG_SL_EUlSZ_E_NS1_11comp_targetILNS1_3genE2ELNS1_11target_archE906ELNS1_3gpuE6ELNS1_3repE0EEENS1_47radix_sort_onesweep_sort_config_static_selectorELNS0_4arch9wavefront6targetE0EEEvSG_.has_recursion, 0
	.set _ZN7rocprim17ROCPRIM_400000_NS6detail17trampoline_kernelINS0_14default_configENS1_35radix_sort_onesweep_config_selectorIjNS0_10empty_typeEEEZZNS1_29radix_sort_onesweep_iterationIS3_Lb1EPKjPjPS5_SB_mNS0_19identity_decomposerENS1_16block_id_wrapperIjLb0EEEEE10hipError_tT1_PNSt15iterator_traitsISG_E10value_typeET2_T3_PNSH_ISM_E10value_typeET4_T5_PSR_SS_PNS1_23onesweep_lookback_stateEbbT6_jjT7_P12ihipStream_tbENKUlT_T0_SG_SL_E_clIS9_SA_SB_SB_EEDaSZ_S10_SG_SL_EUlSZ_E_NS1_11comp_targetILNS1_3genE2ELNS1_11target_archE906ELNS1_3gpuE6ELNS1_3repE0EEENS1_47radix_sort_onesweep_sort_config_static_selectorELNS0_4arch9wavefront6targetE0EEEvSG_.has_indirect_call, 0
	.section	.AMDGPU.csdata,"",@progbits
; Kernel info:
; codeLenInByte = 0
; TotalNumSgprs: 0
; NumVgprs: 0
; ScratchSize: 0
; MemoryBound: 0
; FloatMode: 240
; IeeeMode: 1
; LDSByteSize: 0 bytes/workgroup (compile time only)
; SGPRBlocks: 0
; VGPRBlocks: 0
; NumSGPRsForWavesPerEU: 1
; NumVGPRsForWavesPerEU: 1
; NamedBarCnt: 0
; Occupancy: 16
; WaveLimiterHint : 0
; COMPUTE_PGM_RSRC2:SCRATCH_EN: 0
; COMPUTE_PGM_RSRC2:USER_SGPR: 2
; COMPUTE_PGM_RSRC2:TRAP_HANDLER: 0
; COMPUTE_PGM_RSRC2:TGID_X_EN: 1
; COMPUTE_PGM_RSRC2:TGID_Y_EN: 0
; COMPUTE_PGM_RSRC2:TGID_Z_EN: 0
; COMPUTE_PGM_RSRC2:TIDIG_COMP_CNT: 0
	.section	.text._ZN7rocprim17ROCPRIM_400000_NS6detail17trampoline_kernelINS0_14default_configENS1_35radix_sort_onesweep_config_selectorIjNS0_10empty_typeEEEZZNS1_29radix_sort_onesweep_iterationIS3_Lb1EPKjPjPS5_SB_mNS0_19identity_decomposerENS1_16block_id_wrapperIjLb0EEEEE10hipError_tT1_PNSt15iterator_traitsISG_E10value_typeET2_T3_PNSH_ISM_E10value_typeET4_T5_PSR_SS_PNS1_23onesweep_lookback_stateEbbT6_jjT7_P12ihipStream_tbENKUlT_T0_SG_SL_E_clIS9_SA_SB_SB_EEDaSZ_S10_SG_SL_EUlSZ_E_NS1_11comp_targetILNS1_3genE4ELNS1_11target_archE910ELNS1_3gpuE8ELNS1_3repE0EEENS1_47radix_sort_onesweep_sort_config_static_selectorELNS0_4arch9wavefront6targetE0EEEvSG_,"axG",@progbits,_ZN7rocprim17ROCPRIM_400000_NS6detail17trampoline_kernelINS0_14default_configENS1_35radix_sort_onesweep_config_selectorIjNS0_10empty_typeEEEZZNS1_29radix_sort_onesweep_iterationIS3_Lb1EPKjPjPS5_SB_mNS0_19identity_decomposerENS1_16block_id_wrapperIjLb0EEEEE10hipError_tT1_PNSt15iterator_traitsISG_E10value_typeET2_T3_PNSH_ISM_E10value_typeET4_T5_PSR_SS_PNS1_23onesweep_lookback_stateEbbT6_jjT7_P12ihipStream_tbENKUlT_T0_SG_SL_E_clIS9_SA_SB_SB_EEDaSZ_S10_SG_SL_EUlSZ_E_NS1_11comp_targetILNS1_3genE4ELNS1_11target_archE910ELNS1_3gpuE8ELNS1_3repE0EEENS1_47radix_sort_onesweep_sort_config_static_selectorELNS0_4arch9wavefront6targetE0EEEvSG_,comdat
	.protected	_ZN7rocprim17ROCPRIM_400000_NS6detail17trampoline_kernelINS0_14default_configENS1_35radix_sort_onesweep_config_selectorIjNS0_10empty_typeEEEZZNS1_29radix_sort_onesweep_iterationIS3_Lb1EPKjPjPS5_SB_mNS0_19identity_decomposerENS1_16block_id_wrapperIjLb0EEEEE10hipError_tT1_PNSt15iterator_traitsISG_E10value_typeET2_T3_PNSH_ISM_E10value_typeET4_T5_PSR_SS_PNS1_23onesweep_lookback_stateEbbT6_jjT7_P12ihipStream_tbENKUlT_T0_SG_SL_E_clIS9_SA_SB_SB_EEDaSZ_S10_SG_SL_EUlSZ_E_NS1_11comp_targetILNS1_3genE4ELNS1_11target_archE910ELNS1_3gpuE8ELNS1_3repE0EEENS1_47radix_sort_onesweep_sort_config_static_selectorELNS0_4arch9wavefront6targetE0EEEvSG_ ; -- Begin function _ZN7rocprim17ROCPRIM_400000_NS6detail17trampoline_kernelINS0_14default_configENS1_35radix_sort_onesweep_config_selectorIjNS0_10empty_typeEEEZZNS1_29radix_sort_onesweep_iterationIS3_Lb1EPKjPjPS5_SB_mNS0_19identity_decomposerENS1_16block_id_wrapperIjLb0EEEEE10hipError_tT1_PNSt15iterator_traitsISG_E10value_typeET2_T3_PNSH_ISM_E10value_typeET4_T5_PSR_SS_PNS1_23onesweep_lookback_stateEbbT6_jjT7_P12ihipStream_tbENKUlT_T0_SG_SL_E_clIS9_SA_SB_SB_EEDaSZ_S10_SG_SL_EUlSZ_E_NS1_11comp_targetILNS1_3genE4ELNS1_11target_archE910ELNS1_3gpuE8ELNS1_3repE0EEENS1_47radix_sort_onesweep_sort_config_static_selectorELNS0_4arch9wavefront6targetE0EEEvSG_
	.globl	_ZN7rocprim17ROCPRIM_400000_NS6detail17trampoline_kernelINS0_14default_configENS1_35radix_sort_onesweep_config_selectorIjNS0_10empty_typeEEEZZNS1_29radix_sort_onesweep_iterationIS3_Lb1EPKjPjPS5_SB_mNS0_19identity_decomposerENS1_16block_id_wrapperIjLb0EEEEE10hipError_tT1_PNSt15iterator_traitsISG_E10value_typeET2_T3_PNSH_ISM_E10value_typeET4_T5_PSR_SS_PNS1_23onesweep_lookback_stateEbbT6_jjT7_P12ihipStream_tbENKUlT_T0_SG_SL_E_clIS9_SA_SB_SB_EEDaSZ_S10_SG_SL_EUlSZ_E_NS1_11comp_targetILNS1_3genE4ELNS1_11target_archE910ELNS1_3gpuE8ELNS1_3repE0EEENS1_47radix_sort_onesweep_sort_config_static_selectorELNS0_4arch9wavefront6targetE0EEEvSG_
	.p2align	8
	.type	_ZN7rocprim17ROCPRIM_400000_NS6detail17trampoline_kernelINS0_14default_configENS1_35radix_sort_onesweep_config_selectorIjNS0_10empty_typeEEEZZNS1_29radix_sort_onesweep_iterationIS3_Lb1EPKjPjPS5_SB_mNS0_19identity_decomposerENS1_16block_id_wrapperIjLb0EEEEE10hipError_tT1_PNSt15iterator_traitsISG_E10value_typeET2_T3_PNSH_ISM_E10value_typeET4_T5_PSR_SS_PNS1_23onesweep_lookback_stateEbbT6_jjT7_P12ihipStream_tbENKUlT_T0_SG_SL_E_clIS9_SA_SB_SB_EEDaSZ_S10_SG_SL_EUlSZ_E_NS1_11comp_targetILNS1_3genE4ELNS1_11target_archE910ELNS1_3gpuE8ELNS1_3repE0EEENS1_47radix_sort_onesweep_sort_config_static_selectorELNS0_4arch9wavefront6targetE0EEEvSG_,@function
_ZN7rocprim17ROCPRIM_400000_NS6detail17trampoline_kernelINS0_14default_configENS1_35radix_sort_onesweep_config_selectorIjNS0_10empty_typeEEEZZNS1_29radix_sort_onesweep_iterationIS3_Lb1EPKjPjPS5_SB_mNS0_19identity_decomposerENS1_16block_id_wrapperIjLb0EEEEE10hipError_tT1_PNSt15iterator_traitsISG_E10value_typeET2_T3_PNSH_ISM_E10value_typeET4_T5_PSR_SS_PNS1_23onesweep_lookback_stateEbbT6_jjT7_P12ihipStream_tbENKUlT_T0_SG_SL_E_clIS9_SA_SB_SB_EEDaSZ_S10_SG_SL_EUlSZ_E_NS1_11comp_targetILNS1_3genE4ELNS1_11target_archE910ELNS1_3gpuE8ELNS1_3repE0EEENS1_47radix_sort_onesweep_sort_config_static_selectorELNS0_4arch9wavefront6targetE0EEEvSG_: ; @_ZN7rocprim17ROCPRIM_400000_NS6detail17trampoline_kernelINS0_14default_configENS1_35radix_sort_onesweep_config_selectorIjNS0_10empty_typeEEEZZNS1_29radix_sort_onesweep_iterationIS3_Lb1EPKjPjPS5_SB_mNS0_19identity_decomposerENS1_16block_id_wrapperIjLb0EEEEE10hipError_tT1_PNSt15iterator_traitsISG_E10value_typeET2_T3_PNSH_ISM_E10value_typeET4_T5_PSR_SS_PNS1_23onesweep_lookback_stateEbbT6_jjT7_P12ihipStream_tbENKUlT_T0_SG_SL_E_clIS9_SA_SB_SB_EEDaSZ_S10_SG_SL_EUlSZ_E_NS1_11comp_targetILNS1_3genE4ELNS1_11target_archE910ELNS1_3gpuE8ELNS1_3repE0EEENS1_47radix_sort_onesweep_sort_config_static_selectorELNS0_4arch9wavefront6targetE0EEEvSG_
; %bb.0:
	.section	.rodata,"a",@progbits
	.p2align	6, 0x0
	.amdhsa_kernel _ZN7rocprim17ROCPRIM_400000_NS6detail17trampoline_kernelINS0_14default_configENS1_35radix_sort_onesweep_config_selectorIjNS0_10empty_typeEEEZZNS1_29radix_sort_onesweep_iterationIS3_Lb1EPKjPjPS5_SB_mNS0_19identity_decomposerENS1_16block_id_wrapperIjLb0EEEEE10hipError_tT1_PNSt15iterator_traitsISG_E10value_typeET2_T3_PNSH_ISM_E10value_typeET4_T5_PSR_SS_PNS1_23onesweep_lookback_stateEbbT6_jjT7_P12ihipStream_tbENKUlT_T0_SG_SL_E_clIS9_SA_SB_SB_EEDaSZ_S10_SG_SL_EUlSZ_E_NS1_11comp_targetILNS1_3genE4ELNS1_11target_archE910ELNS1_3gpuE8ELNS1_3repE0EEENS1_47radix_sort_onesweep_sort_config_static_selectorELNS0_4arch9wavefront6targetE0EEEvSG_
		.amdhsa_group_segment_fixed_size 0
		.amdhsa_private_segment_fixed_size 0
		.amdhsa_kernarg_size 88
		.amdhsa_user_sgpr_count 2
		.amdhsa_user_sgpr_dispatch_ptr 0
		.amdhsa_user_sgpr_queue_ptr 0
		.amdhsa_user_sgpr_kernarg_segment_ptr 1
		.amdhsa_user_sgpr_dispatch_id 0
		.amdhsa_user_sgpr_kernarg_preload_length 0
		.amdhsa_user_sgpr_kernarg_preload_offset 0
		.amdhsa_user_sgpr_private_segment_size 0
		.amdhsa_wavefront_size32 1
		.amdhsa_uses_dynamic_stack 0
		.amdhsa_enable_private_segment 0
		.amdhsa_system_sgpr_workgroup_id_x 1
		.amdhsa_system_sgpr_workgroup_id_y 0
		.amdhsa_system_sgpr_workgroup_id_z 0
		.amdhsa_system_sgpr_workgroup_info 0
		.amdhsa_system_vgpr_workitem_id 0
		.amdhsa_next_free_vgpr 1
		.amdhsa_next_free_sgpr 1
		.amdhsa_named_barrier_count 0
		.amdhsa_reserve_vcc 0
		.amdhsa_float_round_mode_32 0
		.amdhsa_float_round_mode_16_64 0
		.amdhsa_float_denorm_mode_32 3
		.amdhsa_float_denorm_mode_16_64 3
		.amdhsa_fp16_overflow 0
		.amdhsa_memory_ordered 1
		.amdhsa_forward_progress 1
		.amdhsa_inst_pref_size 0
		.amdhsa_round_robin_scheduling 0
		.amdhsa_exception_fp_ieee_invalid_op 0
		.amdhsa_exception_fp_denorm_src 0
		.amdhsa_exception_fp_ieee_div_zero 0
		.amdhsa_exception_fp_ieee_overflow 0
		.amdhsa_exception_fp_ieee_underflow 0
		.amdhsa_exception_fp_ieee_inexact 0
		.amdhsa_exception_int_div_zero 0
	.end_amdhsa_kernel
	.section	.text._ZN7rocprim17ROCPRIM_400000_NS6detail17trampoline_kernelINS0_14default_configENS1_35radix_sort_onesweep_config_selectorIjNS0_10empty_typeEEEZZNS1_29radix_sort_onesweep_iterationIS3_Lb1EPKjPjPS5_SB_mNS0_19identity_decomposerENS1_16block_id_wrapperIjLb0EEEEE10hipError_tT1_PNSt15iterator_traitsISG_E10value_typeET2_T3_PNSH_ISM_E10value_typeET4_T5_PSR_SS_PNS1_23onesweep_lookback_stateEbbT6_jjT7_P12ihipStream_tbENKUlT_T0_SG_SL_E_clIS9_SA_SB_SB_EEDaSZ_S10_SG_SL_EUlSZ_E_NS1_11comp_targetILNS1_3genE4ELNS1_11target_archE910ELNS1_3gpuE8ELNS1_3repE0EEENS1_47radix_sort_onesweep_sort_config_static_selectorELNS0_4arch9wavefront6targetE0EEEvSG_,"axG",@progbits,_ZN7rocprim17ROCPRIM_400000_NS6detail17trampoline_kernelINS0_14default_configENS1_35radix_sort_onesweep_config_selectorIjNS0_10empty_typeEEEZZNS1_29radix_sort_onesweep_iterationIS3_Lb1EPKjPjPS5_SB_mNS0_19identity_decomposerENS1_16block_id_wrapperIjLb0EEEEE10hipError_tT1_PNSt15iterator_traitsISG_E10value_typeET2_T3_PNSH_ISM_E10value_typeET4_T5_PSR_SS_PNS1_23onesweep_lookback_stateEbbT6_jjT7_P12ihipStream_tbENKUlT_T0_SG_SL_E_clIS9_SA_SB_SB_EEDaSZ_S10_SG_SL_EUlSZ_E_NS1_11comp_targetILNS1_3genE4ELNS1_11target_archE910ELNS1_3gpuE8ELNS1_3repE0EEENS1_47radix_sort_onesweep_sort_config_static_selectorELNS0_4arch9wavefront6targetE0EEEvSG_,comdat
.Lfunc_end2655:
	.size	_ZN7rocprim17ROCPRIM_400000_NS6detail17trampoline_kernelINS0_14default_configENS1_35radix_sort_onesweep_config_selectorIjNS0_10empty_typeEEEZZNS1_29radix_sort_onesweep_iterationIS3_Lb1EPKjPjPS5_SB_mNS0_19identity_decomposerENS1_16block_id_wrapperIjLb0EEEEE10hipError_tT1_PNSt15iterator_traitsISG_E10value_typeET2_T3_PNSH_ISM_E10value_typeET4_T5_PSR_SS_PNS1_23onesweep_lookback_stateEbbT6_jjT7_P12ihipStream_tbENKUlT_T0_SG_SL_E_clIS9_SA_SB_SB_EEDaSZ_S10_SG_SL_EUlSZ_E_NS1_11comp_targetILNS1_3genE4ELNS1_11target_archE910ELNS1_3gpuE8ELNS1_3repE0EEENS1_47radix_sort_onesweep_sort_config_static_selectorELNS0_4arch9wavefront6targetE0EEEvSG_, .Lfunc_end2655-_ZN7rocprim17ROCPRIM_400000_NS6detail17trampoline_kernelINS0_14default_configENS1_35radix_sort_onesweep_config_selectorIjNS0_10empty_typeEEEZZNS1_29radix_sort_onesweep_iterationIS3_Lb1EPKjPjPS5_SB_mNS0_19identity_decomposerENS1_16block_id_wrapperIjLb0EEEEE10hipError_tT1_PNSt15iterator_traitsISG_E10value_typeET2_T3_PNSH_ISM_E10value_typeET4_T5_PSR_SS_PNS1_23onesweep_lookback_stateEbbT6_jjT7_P12ihipStream_tbENKUlT_T0_SG_SL_E_clIS9_SA_SB_SB_EEDaSZ_S10_SG_SL_EUlSZ_E_NS1_11comp_targetILNS1_3genE4ELNS1_11target_archE910ELNS1_3gpuE8ELNS1_3repE0EEENS1_47radix_sort_onesweep_sort_config_static_selectorELNS0_4arch9wavefront6targetE0EEEvSG_
                                        ; -- End function
	.set _ZN7rocprim17ROCPRIM_400000_NS6detail17trampoline_kernelINS0_14default_configENS1_35radix_sort_onesweep_config_selectorIjNS0_10empty_typeEEEZZNS1_29radix_sort_onesweep_iterationIS3_Lb1EPKjPjPS5_SB_mNS0_19identity_decomposerENS1_16block_id_wrapperIjLb0EEEEE10hipError_tT1_PNSt15iterator_traitsISG_E10value_typeET2_T3_PNSH_ISM_E10value_typeET4_T5_PSR_SS_PNS1_23onesweep_lookback_stateEbbT6_jjT7_P12ihipStream_tbENKUlT_T0_SG_SL_E_clIS9_SA_SB_SB_EEDaSZ_S10_SG_SL_EUlSZ_E_NS1_11comp_targetILNS1_3genE4ELNS1_11target_archE910ELNS1_3gpuE8ELNS1_3repE0EEENS1_47radix_sort_onesweep_sort_config_static_selectorELNS0_4arch9wavefront6targetE0EEEvSG_.num_vgpr, 0
	.set _ZN7rocprim17ROCPRIM_400000_NS6detail17trampoline_kernelINS0_14default_configENS1_35radix_sort_onesweep_config_selectorIjNS0_10empty_typeEEEZZNS1_29radix_sort_onesweep_iterationIS3_Lb1EPKjPjPS5_SB_mNS0_19identity_decomposerENS1_16block_id_wrapperIjLb0EEEEE10hipError_tT1_PNSt15iterator_traitsISG_E10value_typeET2_T3_PNSH_ISM_E10value_typeET4_T5_PSR_SS_PNS1_23onesweep_lookback_stateEbbT6_jjT7_P12ihipStream_tbENKUlT_T0_SG_SL_E_clIS9_SA_SB_SB_EEDaSZ_S10_SG_SL_EUlSZ_E_NS1_11comp_targetILNS1_3genE4ELNS1_11target_archE910ELNS1_3gpuE8ELNS1_3repE0EEENS1_47radix_sort_onesweep_sort_config_static_selectorELNS0_4arch9wavefront6targetE0EEEvSG_.num_agpr, 0
	.set _ZN7rocprim17ROCPRIM_400000_NS6detail17trampoline_kernelINS0_14default_configENS1_35radix_sort_onesweep_config_selectorIjNS0_10empty_typeEEEZZNS1_29radix_sort_onesweep_iterationIS3_Lb1EPKjPjPS5_SB_mNS0_19identity_decomposerENS1_16block_id_wrapperIjLb0EEEEE10hipError_tT1_PNSt15iterator_traitsISG_E10value_typeET2_T3_PNSH_ISM_E10value_typeET4_T5_PSR_SS_PNS1_23onesweep_lookback_stateEbbT6_jjT7_P12ihipStream_tbENKUlT_T0_SG_SL_E_clIS9_SA_SB_SB_EEDaSZ_S10_SG_SL_EUlSZ_E_NS1_11comp_targetILNS1_3genE4ELNS1_11target_archE910ELNS1_3gpuE8ELNS1_3repE0EEENS1_47radix_sort_onesweep_sort_config_static_selectorELNS0_4arch9wavefront6targetE0EEEvSG_.numbered_sgpr, 0
	.set _ZN7rocprim17ROCPRIM_400000_NS6detail17trampoline_kernelINS0_14default_configENS1_35radix_sort_onesweep_config_selectorIjNS0_10empty_typeEEEZZNS1_29radix_sort_onesweep_iterationIS3_Lb1EPKjPjPS5_SB_mNS0_19identity_decomposerENS1_16block_id_wrapperIjLb0EEEEE10hipError_tT1_PNSt15iterator_traitsISG_E10value_typeET2_T3_PNSH_ISM_E10value_typeET4_T5_PSR_SS_PNS1_23onesweep_lookback_stateEbbT6_jjT7_P12ihipStream_tbENKUlT_T0_SG_SL_E_clIS9_SA_SB_SB_EEDaSZ_S10_SG_SL_EUlSZ_E_NS1_11comp_targetILNS1_3genE4ELNS1_11target_archE910ELNS1_3gpuE8ELNS1_3repE0EEENS1_47radix_sort_onesweep_sort_config_static_selectorELNS0_4arch9wavefront6targetE0EEEvSG_.num_named_barrier, 0
	.set _ZN7rocprim17ROCPRIM_400000_NS6detail17trampoline_kernelINS0_14default_configENS1_35radix_sort_onesweep_config_selectorIjNS0_10empty_typeEEEZZNS1_29radix_sort_onesweep_iterationIS3_Lb1EPKjPjPS5_SB_mNS0_19identity_decomposerENS1_16block_id_wrapperIjLb0EEEEE10hipError_tT1_PNSt15iterator_traitsISG_E10value_typeET2_T3_PNSH_ISM_E10value_typeET4_T5_PSR_SS_PNS1_23onesweep_lookback_stateEbbT6_jjT7_P12ihipStream_tbENKUlT_T0_SG_SL_E_clIS9_SA_SB_SB_EEDaSZ_S10_SG_SL_EUlSZ_E_NS1_11comp_targetILNS1_3genE4ELNS1_11target_archE910ELNS1_3gpuE8ELNS1_3repE0EEENS1_47radix_sort_onesweep_sort_config_static_selectorELNS0_4arch9wavefront6targetE0EEEvSG_.private_seg_size, 0
	.set _ZN7rocprim17ROCPRIM_400000_NS6detail17trampoline_kernelINS0_14default_configENS1_35radix_sort_onesweep_config_selectorIjNS0_10empty_typeEEEZZNS1_29radix_sort_onesweep_iterationIS3_Lb1EPKjPjPS5_SB_mNS0_19identity_decomposerENS1_16block_id_wrapperIjLb0EEEEE10hipError_tT1_PNSt15iterator_traitsISG_E10value_typeET2_T3_PNSH_ISM_E10value_typeET4_T5_PSR_SS_PNS1_23onesweep_lookback_stateEbbT6_jjT7_P12ihipStream_tbENKUlT_T0_SG_SL_E_clIS9_SA_SB_SB_EEDaSZ_S10_SG_SL_EUlSZ_E_NS1_11comp_targetILNS1_3genE4ELNS1_11target_archE910ELNS1_3gpuE8ELNS1_3repE0EEENS1_47radix_sort_onesweep_sort_config_static_selectorELNS0_4arch9wavefront6targetE0EEEvSG_.uses_vcc, 0
	.set _ZN7rocprim17ROCPRIM_400000_NS6detail17trampoline_kernelINS0_14default_configENS1_35radix_sort_onesweep_config_selectorIjNS0_10empty_typeEEEZZNS1_29radix_sort_onesweep_iterationIS3_Lb1EPKjPjPS5_SB_mNS0_19identity_decomposerENS1_16block_id_wrapperIjLb0EEEEE10hipError_tT1_PNSt15iterator_traitsISG_E10value_typeET2_T3_PNSH_ISM_E10value_typeET4_T5_PSR_SS_PNS1_23onesweep_lookback_stateEbbT6_jjT7_P12ihipStream_tbENKUlT_T0_SG_SL_E_clIS9_SA_SB_SB_EEDaSZ_S10_SG_SL_EUlSZ_E_NS1_11comp_targetILNS1_3genE4ELNS1_11target_archE910ELNS1_3gpuE8ELNS1_3repE0EEENS1_47radix_sort_onesweep_sort_config_static_selectorELNS0_4arch9wavefront6targetE0EEEvSG_.uses_flat_scratch, 0
	.set _ZN7rocprim17ROCPRIM_400000_NS6detail17trampoline_kernelINS0_14default_configENS1_35radix_sort_onesweep_config_selectorIjNS0_10empty_typeEEEZZNS1_29radix_sort_onesweep_iterationIS3_Lb1EPKjPjPS5_SB_mNS0_19identity_decomposerENS1_16block_id_wrapperIjLb0EEEEE10hipError_tT1_PNSt15iterator_traitsISG_E10value_typeET2_T3_PNSH_ISM_E10value_typeET4_T5_PSR_SS_PNS1_23onesweep_lookback_stateEbbT6_jjT7_P12ihipStream_tbENKUlT_T0_SG_SL_E_clIS9_SA_SB_SB_EEDaSZ_S10_SG_SL_EUlSZ_E_NS1_11comp_targetILNS1_3genE4ELNS1_11target_archE910ELNS1_3gpuE8ELNS1_3repE0EEENS1_47radix_sort_onesweep_sort_config_static_selectorELNS0_4arch9wavefront6targetE0EEEvSG_.has_dyn_sized_stack, 0
	.set _ZN7rocprim17ROCPRIM_400000_NS6detail17trampoline_kernelINS0_14default_configENS1_35radix_sort_onesweep_config_selectorIjNS0_10empty_typeEEEZZNS1_29radix_sort_onesweep_iterationIS3_Lb1EPKjPjPS5_SB_mNS0_19identity_decomposerENS1_16block_id_wrapperIjLb0EEEEE10hipError_tT1_PNSt15iterator_traitsISG_E10value_typeET2_T3_PNSH_ISM_E10value_typeET4_T5_PSR_SS_PNS1_23onesweep_lookback_stateEbbT6_jjT7_P12ihipStream_tbENKUlT_T0_SG_SL_E_clIS9_SA_SB_SB_EEDaSZ_S10_SG_SL_EUlSZ_E_NS1_11comp_targetILNS1_3genE4ELNS1_11target_archE910ELNS1_3gpuE8ELNS1_3repE0EEENS1_47radix_sort_onesweep_sort_config_static_selectorELNS0_4arch9wavefront6targetE0EEEvSG_.has_recursion, 0
	.set _ZN7rocprim17ROCPRIM_400000_NS6detail17trampoline_kernelINS0_14default_configENS1_35radix_sort_onesweep_config_selectorIjNS0_10empty_typeEEEZZNS1_29radix_sort_onesweep_iterationIS3_Lb1EPKjPjPS5_SB_mNS0_19identity_decomposerENS1_16block_id_wrapperIjLb0EEEEE10hipError_tT1_PNSt15iterator_traitsISG_E10value_typeET2_T3_PNSH_ISM_E10value_typeET4_T5_PSR_SS_PNS1_23onesweep_lookback_stateEbbT6_jjT7_P12ihipStream_tbENKUlT_T0_SG_SL_E_clIS9_SA_SB_SB_EEDaSZ_S10_SG_SL_EUlSZ_E_NS1_11comp_targetILNS1_3genE4ELNS1_11target_archE910ELNS1_3gpuE8ELNS1_3repE0EEENS1_47radix_sort_onesweep_sort_config_static_selectorELNS0_4arch9wavefront6targetE0EEEvSG_.has_indirect_call, 0
	.section	.AMDGPU.csdata,"",@progbits
; Kernel info:
; codeLenInByte = 0
; TotalNumSgprs: 0
; NumVgprs: 0
; ScratchSize: 0
; MemoryBound: 0
; FloatMode: 240
; IeeeMode: 1
; LDSByteSize: 0 bytes/workgroup (compile time only)
; SGPRBlocks: 0
; VGPRBlocks: 0
; NumSGPRsForWavesPerEU: 1
; NumVGPRsForWavesPerEU: 1
; NamedBarCnt: 0
; Occupancy: 16
; WaveLimiterHint : 0
; COMPUTE_PGM_RSRC2:SCRATCH_EN: 0
; COMPUTE_PGM_RSRC2:USER_SGPR: 2
; COMPUTE_PGM_RSRC2:TRAP_HANDLER: 0
; COMPUTE_PGM_RSRC2:TGID_X_EN: 1
; COMPUTE_PGM_RSRC2:TGID_Y_EN: 0
; COMPUTE_PGM_RSRC2:TGID_Z_EN: 0
; COMPUTE_PGM_RSRC2:TIDIG_COMP_CNT: 0
	.section	.text._ZN7rocprim17ROCPRIM_400000_NS6detail17trampoline_kernelINS0_14default_configENS1_35radix_sort_onesweep_config_selectorIjNS0_10empty_typeEEEZZNS1_29radix_sort_onesweep_iterationIS3_Lb1EPKjPjPS5_SB_mNS0_19identity_decomposerENS1_16block_id_wrapperIjLb0EEEEE10hipError_tT1_PNSt15iterator_traitsISG_E10value_typeET2_T3_PNSH_ISM_E10value_typeET4_T5_PSR_SS_PNS1_23onesweep_lookback_stateEbbT6_jjT7_P12ihipStream_tbENKUlT_T0_SG_SL_E_clIS9_SA_SB_SB_EEDaSZ_S10_SG_SL_EUlSZ_E_NS1_11comp_targetILNS1_3genE3ELNS1_11target_archE908ELNS1_3gpuE7ELNS1_3repE0EEENS1_47radix_sort_onesweep_sort_config_static_selectorELNS0_4arch9wavefront6targetE0EEEvSG_,"axG",@progbits,_ZN7rocprim17ROCPRIM_400000_NS6detail17trampoline_kernelINS0_14default_configENS1_35radix_sort_onesweep_config_selectorIjNS0_10empty_typeEEEZZNS1_29radix_sort_onesweep_iterationIS3_Lb1EPKjPjPS5_SB_mNS0_19identity_decomposerENS1_16block_id_wrapperIjLb0EEEEE10hipError_tT1_PNSt15iterator_traitsISG_E10value_typeET2_T3_PNSH_ISM_E10value_typeET4_T5_PSR_SS_PNS1_23onesweep_lookback_stateEbbT6_jjT7_P12ihipStream_tbENKUlT_T0_SG_SL_E_clIS9_SA_SB_SB_EEDaSZ_S10_SG_SL_EUlSZ_E_NS1_11comp_targetILNS1_3genE3ELNS1_11target_archE908ELNS1_3gpuE7ELNS1_3repE0EEENS1_47radix_sort_onesweep_sort_config_static_selectorELNS0_4arch9wavefront6targetE0EEEvSG_,comdat
	.protected	_ZN7rocprim17ROCPRIM_400000_NS6detail17trampoline_kernelINS0_14default_configENS1_35radix_sort_onesweep_config_selectorIjNS0_10empty_typeEEEZZNS1_29radix_sort_onesweep_iterationIS3_Lb1EPKjPjPS5_SB_mNS0_19identity_decomposerENS1_16block_id_wrapperIjLb0EEEEE10hipError_tT1_PNSt15iterator_traitsISG_E10value_typeET2_T3_PNSH_ISM_E10value_typeET4_T5_PSR_SS_PNS1_23onesweep_lookback_stateEbbT6_jjT7_P12ihipStream_tbENKUlT_T0_SG_SL_E_clIS9_SA_SB_SB_EEDaSZ_S10_SG_SL_EUlSZ_E_NS1_11comp_targetILNS1_3genE3ELNS1_11target_archE908ELNS1_3gpuE7ELNS1_3repE0EEENS1_47radix_sort_onesweep_sort_config_static_selectorELNS0_4arch9wavefront6targetE0EEEvSG_ ; -- Begin function _ZN7rocprim17ROCPRIM_400000_NS6detail17trampoline_kernelINS0_14default_configENS1_35radix_sort_onesweep_config_selectorIjNS0_10empty_typeEEEZZNS1_29radix_sort_onesweep_iterationIS3_Lb1EPKjPjPS5_SB_mNS0_19identity_decomposerENS1_16block_id_wrapperIjLb0EEEEE10hipError_tT1_PNSt15iterator_traitsISG_E10value_typeET2_T3_PNSH_ISM_E10value_typeET4_T5_PSR_SS_PNS1_23onesweep_lookback_stateEbbT6_jjT7_P12ihipStream_tbENKUlT_T0_SG_SL_E_clIS9_SA_SB_SB_EEDaSZ_S10_SG_SL_EUlSZ_E_NS1_11comp_targetILNS1_3genE3ELNS1_11target_archE908ELNS1_3gpuE7ELNS1_3repE0EEENS1_47radix_sort_onesweep_sort_config_static_selectorELNS0_4arch9wavefront6targetE0EEEvSG_
	.globl	_ZN7rocprim17ROCPRIM_400000_NS6detail17trampoline_kernelINS0_14default_configENS1_35radix_sort_onesweep_config_selectorIjNS0_10empty_typeEEEZZNS1_29radix_sort_onesweep_iterationIS3_Lb1EPKjPjPS5_SB_mNS0_19identity_decomposerENS1_16block_id_wrapperIjLb0EEEEE10hipError_tT1_PNSt15iterator_traitsISG_E10value_typeET2_T3_PNSH_ISM_E10value_typeET4_T5_PSR_SS_PNS1_23onesweep_lookback_stateEbbT6_jjT7_P12ihipStream_tbENKUlT_T0_SG_SL_E_clIS9_SA_SB_SB_EEDaSZ_S10_SG_SL_EUlSZ_E_NS1_11comp_targetILNS1_3genE3ELNS1_11target_archE908ELNS1_3gpuE7ELNS1_3repE0EEENS1_47radix_sort_onesweep_sort_config_static_selectorELNS0_4arch9wavefront6targetE0EEEvSG_
	.p2align	8
	.type	_ZN7rocprim17ROCPRIM_400000_NS6detail17trampoline_kernelINS0_14default_configENS1_35radix_sort_onesweep_config_selectorIjNS0_10empty_typeEEEZZNS1_29radix_sort_onesweep_iterationIS3_Lb1EPKjPjPS5_SB_mNS0_19identity_decomposerENS1_16block_id_wrapperIjLb0EEEEE10hipError_tT1_PNSt15iterator_traitsISG_E10value_typeET2_T3_PNSH_ISM_E10value_typeET4_T5_PSR_SS_PNS1_23onesweep_lookback_stateEbbT6_jjT7_P12ihipStream_tbENKUlT_T0_SG_SL_E_clIS9_SA_SB_SB_EEDaSZ_S10_SG_SL_EUlSZ_E_NS1_11comp_targetILNS1_3genE3ELNS1_11target_archE908ELNS1_3gpuE7ELNS1_3repE0EEENS1_47radix_sort_onesweep_sort_config_static_selectorELNS0_4arch9wavefront6targetE0EEEvSG_,@function
_ZN7rocprim17ROCPRIM_400000_NS6detail17trampoline_kernelINS0_14default_configENS1_35radix_sort_onesweep_config_selectorIjNS0_10empty_typeEEEZZNS1_29radix_sort_onesweep_iterationIS3_Lb1EPKjPjPS5_SB_mNS0_19identity_decomposerENS1_16block_id_wrapperIjLb0EEEEE10hipError_tT1_PNSt15iterator_traitsISG_E10value_typeET2_T3_PNSH_ISM_E10value_typeET4_T5_PSR_SS_PNS1_23onesweep_lookback_stateEbbT6_jjT7_P12ihipStream_tbENKUlT_T0_SG_SL_E_clIS9_SA_SB_SB_EEDaSZ_S10_SG_SL_EUlSZ_E_NS1_11comp_targetILNS1_3genE3ELNS1_11target_archE908ELNS1_3gpuE7ELNS1_3repE0EEENS1_47radix_sort_onesweep_sort_config_static_selectorELNS0_4arch9wavefront6targetE0EEEvSG_: ; @_ZN7rocprim17ROCPRIM_400000_NS6detail17trampoline_kernelINS0_14default_configENS1_35radix_sort_onesweep_config_selectorIjNS0_10empty_typeEEEZZNS1_29radix_sort_onesweep_iterationIS3_Lb1EPKjPjPS5_SB_mNS0_19identity_decomposerENS1_16block_id_wrapperIjLb0EEEEE10hipError_tT1_PNSt15iterator_traitsISG_E10value_typeET2_T3_PNSH_ISM_E10value_typeET4_T5_PSR_SS_PNS1_23onesweep_lookback_stateEbbT6_jjT7_P12ihipStream_tbENKUlT_T0_SG_SL_E_clIS9_SA_SB_SB_EEDaSZ_S10_SG_SL_EUlSZ_E_NS1_11comp_targetILNS1_3genE3ELNS1_11target_archE908ELNS1_3gpuE7ELNS1_3repE0EEENS1_47radix_sort_onesweep_sort_config_static_selectorELNS0_4arch9wavefront6targetE0EEEvSG_
; %bb.0:
	.section	.rodata,"a",@progbits
	.p2align	6, 0x0
	.amdhsa_kernel _ZN7rocprim17ROCPRIM_400000_NS6detail17trampoline_kernelINS0_14default_configENS1_35radix_sort_onesweep_config_selectorIjNS0_10empty_typeEEEZZNS1_29radix_sort_onesweep_iterationIS3_Lb1EPKjPjPS5_SB_mNS0_19identity_decomposerENS1_16block_id_wrapperIjLb0EEEEE10hipError_tT1_PNSt15iterator_traitsISG_E10value_typeET2_T3_PNSH_ISM_E10value_typeET4_T5_PSR_SS_PNS1_23onesweep_lookback_stateEbbT6_jjT7_P12ihipStream_tbENKUlT_T0_SG_SL_E_clIS9_SA_SB_SB_EEDaSZ_S10_SG_SL_EUlSZ_E_NS1_11comp_targetILNS1_3genE3ELNS1_11target_archE908ELNS1_3gpuE7ELNS1_3repE0EEENS1_47radix_sort_onesweep_sort_config_static_selectorELNS0_4arch9wavefront6targetE0EEEvSG_
		.amdhsa_group_segment_fixed_size 0
		.amdhsa_private_segment_fixed_size 0
		.amdhsa_kernarg_size 88
		.amdhsa_user_sgpr_count 2
		.amdhsa_user_sgpr_dispatch_ptr 0
		.amdhsa_user_sgpr_queue_ptr 0
		.amdhsa_user_sgpr_kernarg_segment_ptr 1
		.amdhsa_user_sgpr_dispatch_id 0
		.amdhsa_user_sgpr_kernarg_preload_length 0
		.amdhsa_user_sgpr_kernarg_preload_offset 0
		.amdhsa_user_sgpr_private_segment_size 0
		.amdhsa_wavefront_size32 1
		.amdhsa_uses_dynamic_stack 0
		.amdhsa_enable_private_segment 0
		.amdhsa_system_sgpr_workgroup_id_x 1
		.amdhsa_system_sgpr_workgroup_id_y 0
		.amdhsa_system_sgpr_workgroup_id_z 0
		.amdhsa_system_sgpr_workgroup_info 0
		.amdhsa_system_vgpr_workitem_id 0
		.amdhsa_next_free_vgpr 1
		.amdhsa_next_free_sgpr 1
		.amdhsa_named_barrier_count 0
		.amdhsa_reserve_vcc 0
		.amdhsa_float_round_mode_32 0
		.amdhsa_float_round_mode_16_64 0
		.amdhsa_float_denorm_mode_32 3
		.amdhsa_float_denorm_mode_16_64 3
		.amdhsa_fp16_overflow 0
		.amdhsa_memory_ordered 1
		.amdhsa_forward_progress 1
		.amdhsa_inst_pref_size 0
		.amdhsa_round_robin_scheduling 0
		.amdhsa_exception_fp_ieee_invalid_op 0
		.amdhsa_exception_fp_denorm_src 0
		.amdhsa_exception_fp_ieee_div_zero 0
		.amdhsa_exception_fp_ieee_overflow 0
		.amdhsa_exception_fp_ieee_underflow 0
		.amdhsa_exception_fp_ieee_inexact 0
		.amdhsa_exception_int_div_zero 0
	.end_amdhsa_kernel
	.section	.text._ZN7rocprim17ROCPRIM_400000_NS6detail17trampoline_kernelINS0_14default_configENS1_35radix_sort_onesweep_config_selectorIjNS0_10empty_typeEEEZZNS1_29radix_sort_onesweep_iterationIS3_Lb1EPKjPjPS5_SB_mNS0_19identity_decomposerENS1_16block_id_wrapperIjLb0EEEEE10hipError_tT1_PNSt15iterator_traitsISG_E10value_typeET2_T3_PNSH_ISM_E10value_typeET4_T5_PSR_SS_PNS1_23onesweep_lookback_stateEbbT6_jjT7_P12ihipStream_tbENKUlT_T0_SG_SL_E_clIS9_SA_SB_SB_EEDaSZ_S10_SG_SL_EUlSZ_E_NS1_11comp_targetILNS1_3genE3ELNS1_11target_archE908ELNS1_3gpuE7ELNS1_3repE0EEENS1_47radix_sort_onesweep_sort_config_static_selectorELNS0_4arch9wavefront6targetE0EEEvSG_,"axG",@progbits,_ZN7rocprim17ROCPRIM_400000_NS6detail17trampoline_kernelINS0_14default_configENS1_35radix_sort_onesweep_config_selectorIjNS0_10empty_typeEEEZZNS1_29radix_sort_onesweep_iterationIS3_Lb1EPKjPjPS5_SB_mNS0_19identity_decomposerENS1_16block_id_wrapperIjLb0EEEEE10hipError_tT1_PNSt15iterator_traitsISG_E10value_typeET2_T3_PNSH_ISM_E10value_typeET4_T5_PSR_SS_PNS1_23onesweep_lookback_stateEbbT6_jjT7_P12ihipStream_tbENKUlT_T0_SG_SL_E_clIS9_SA_SB_SB_EEDaSZ_S10_SG_SL_EUlSZ_E_NS1_11comp_targetILNS1_3genE3ELNS1_11target_archE908ELNS1_3gpuE7ELNS1_3repE0EEENS1_47radix_sort_onesweep_sort_config_static_selectorELNS0_4arch9wavefront6targetE0EEEvSG_,comdat
.Lfunc_end2656:
	.size	_ZN7rocprim17ROCPRIM_400000_NS6detail17trampoline_kernelINS0_14default_configENS1_35radix_sort_onesweep_config_selectorIjNS0_10empty_typeEEEZZNS1_29radix_sort_onesweep_iterationIS3_Lb1EPKjPjPS5_SB_mNS0_19identity_decomposerENS1_16block_id_wrapperIjLb0EEEEE10hipError_tT1_PNSt15iterator_traitsISG_E10value_typeET2_T3_PNSH_ISM_E10value_typeET4_T5_PSR_SS_PNS1_23onesweep_lookback_stateEbbT6_jjT7_P12ihipStream_tbENKUlT_T0_SG_SL_E_clIS9_SA_SB_SB_EEDaSZ_S10_SG_SL_EUlSZ_E_NS1_11comp_targetILNS1_3genE3ELNS1_11target_archE908ELNS1_3gpuE7ELNS1_3repE0EEENS1_47radix_sort_onesweep_sort_config_static_selectorELNS0_4arch9wavefront6targetE0EEEvSG_, .Lfunc_end2656-_ZN7rocprim17ROCPRIM_400000_NS6detail17trampoline_kernelINS0_14default_configENS1_35radix_sort_onesweep_config_selectorIjNS0_10empty_typeEEEZZNS1_29radix_sort_onesweep_iterationIS3_Lb1EPKjPjPS5_SB_mNS0_19identity_decomposerENS1_16block_id_wrapperIjLb0EEEEE10hipError_tT1_PNSt15iterator_traitsISG_E10value_typeET2_T3_PNSH_ISM_E10value_typeET4_T5_PSR_SS_PNS1_23onesweep_lookback_stateEbbT6_jjT7_P12ihipStream_tbENKUlT_T0_SG_SL_E_clIS9_SA_SB_SB_EEDaSZ_S10_SG_SL_EUlSZ_E_NS1_11comp_targetILNS1_3genE3ELNS1_11target_archE908ELNS1_3gpuE7ELNS1_3repE0EEENS1_47radix_sort_onesweep_sort_config_static_selectorELNS0_4arch9wavefront6targetE0EEEvSG_
                                        ; -- End function
	.set _ZN7rocprim17ROCPRIM_400000_NS6detail17trampoline_kernelINS0_14default_configENS1_35radix_sort_onesweep_config_selectorIjNS0_10empty_typeEEEZZNS1_29radix_sort_onesweep_iterationIS3_Lb1EPKjPjPS5_SB_mNS0_19identity_decomposerENS1_16block_id_wrapperIjLb0EEEEE10hipError_tT1_PNSt15iterator_traitsISG_E10value_typeET2_T3_PNSH_ISM_E10value_typeET4_T5_PSR_SS_PNS1_23onesweep_lookback_stateEbbT6_jjT7_P12ihipStream_tbENKUlT_T0_SG_SL_E_clIS9_SA_SB_SB_EEDaSZ_S10_SG_SL_EUlSZ_E_NS1_11comp_targetILNS1_3genE3ELNS1_11target_archE908ELNS1_3gpuE7ELNS1_3repE0EEENS1_47radix_sort_onesweep_sort_config_static_selectorELNS0_4arch9wavefront6targetE0EEEvSG_.num_vgpr, 0
	.set _ZN7rocprim17ROCPRIM_400000_NS6detail17trampoline_kernelINS0_14default_configENS1_35radix_sort_onesweep_config_selectorIjNS0_10empty_typeEEEZZNS1_29radix_sort_onesweep_iterationIS3_Lb1EPKjPjPS5_SB_mNS0_19identity_decomposerENS1_16block_id_wrapperIjLb0EEEEE10hipError_tT1_PNSt15iterator_traitsISG_E10value_typeET2_T3_PNSH_ISM_E10value_typeET4_T5_PSR_SS_PNS1_23onesweep_lookback_stateEbbT6_jjT7_P12ihipStream_tbENKUlT_T0_SG_SL_E_clIS9_SA_SB_SB_EEDaSZ_S10_SG_SL_EUlSZ_E_NS1_11comp_targetILNS1_3genE3ELNS1_11target_archE908ELNS1_3gpuE7ELNS1_3repE0EEENS1_47radix_sort_onesweep_sort_config_static_selectorELNS0_4arch9wavefront6targetE0EEEvSG_.num_agpr, 0
	.set _ZN7rocprim17ROCPRIM_400000_NS6detail17trampoline_kernelINS0_14default_configENS1_35radix_sort_onesweep_config_selectorIjNS0_10empty_typeEEEZZNS1_29radix_sort_onesweep_iterationIS3_Lb1EPKjPjPS5_SB_mNS0_19identity_decomposerENS1_16block_id_wrapperIjLb0EEEEE10hipError_tT1_PNSt15iterator_traitsISG_E10value_typeET2_T3_PNSH_ISM_E10value_typeET4_T5_PSR_SS_PNS1_23onesweep_lookback_stateEbbT6_jjT7_P12ihipStream_tbENKUlT_T0_SG_SL_E_clIS9_SA_SB_SB_EEDaSZ_S10_SG_SL_EUlSZ_E_NS1_11comp_targetILNS1_3genE3ELNS1_11target_archE908ELNS1_3gpuE7ELNS1_3repE0EEENS1_47radix_sort_onesweep_sort_config_static_selectorELNS0_4arch9wavefront6targetE0EEEvSG_.numbered_sgpr, 0
	.set _ZN7rocprim17ROCPRIM_400000_NS6detail17trampoline_kernelINS0_14default_configENS1_35radix_sort_onesweep_config_selectorIjNS0_10empty_typeEEEZZNS1_29radix_sort_onesweep_iterationIS3_Lb1EPKjPjPS5_SB_mNS0_19identity_decomposerENS1_16block_id_wrapperIjLb0EEEEE10hipError_tT1_PNSt15iterator_traitsISG_E10value_typeET2_T3_PNSH_ISM_E10value_typeET4_T5_PSR_SS_PNS1_23onesweep_lookback_stateEbbT6_jjT7_P12ihipStream_tbENKUlT_T0_SG_SL_E_clIS9_SA_SB_SB_EEDaSZ_S10_SG_SL_EUlSZ_E_NS1_11comp_targetILNS1_3genE3ELNS1_11target_archE908ELNS1_3gpuE7ELNS1_3repE0EEENS1_47radix_sort_onesweep_sort_config_static_selectorELNS0_4arch9wavefront6targetE0EEEvSG_.num_named_barrier, 0
	.set _ZN7rocprim17ROCPRIM_400000_NS6detail17trampoline_kernelINS0_14default_configENS1_35radix_sort_onesweep_config_selectorIjNS0_10empty_typeEEEZZNS1_29radix_sort_onesweep_iterationIS3_Lb1EPKjPjPS5_SB_mNS0_19identity_decomposerENS1_16block_id_wrapperIjLb0EEEEE10hipError_tT1_PNSt15iterator_traitsISG_E10value_typeET2_T3_PNSH_ISM_E10value_typeET4_T5_PSR_SS_PNS1_23onesweep_lookback_stateEbbT6_jjT7_P12ihipStream_tbENKUlT_T0_SG_SL_E_clIS9_SA_SB_SB_EEDaSZ_S10_SG_SL_EUlSZ_E_NS1_11comp_targetILNS1_3genE3ELNS1_11target_archE908ELNS1_3gpuE7ELNS1_3repE0EEENS1_47radix_sort_onesweep_sort_config_static_selectorELNS0_4arch9wavefront6targetE0EEEvSG_.private_seg_size, 0
	.set _ZN7rocprim17ROCPRIM_400000_NS6detail17trampoline_kernelINS0_14default_configENS1_35radix_sort_onesweep_config_selectorIjNS0_10empty_typeEEEZZNS1_29radix_sort_onesweep_iterationIS3_Lb1EPKjPjPS5_SB_mNS0_19identity_decomposerENS1_16block_id_wrapperIjLb0EEEEE10hipError_tT1_PNSt15iterator_traitsISG_E10value_typeET2_T3_PNSH_ISM_E10value_typeET4_T5_PSR_SS_PNS1_23onesweep_lookback_stateEbbT6_jjT7_P12ihipStream_tbENKUlT_T0_SG_SL_E_clIS9_SA_SB_SB_EEDaSZ_S10_SG_SL_EUlSZ_E_NS1_11comp_targetILNS1_3genE3ELNS1_11target_archE908ELNS1_3gpuE7ELNS1_3repE0EEENS1_47radix_sort_onesweep_sort_config_static_selectorELNS0_4arch9wavefront6targetE0EEEvSG_.uses_vcc, 0
	.set _ZN7rocprim17ROCPRIM_400000_NS6detail17trampoline_kernelINS0_14default_configENS1_35radix_sort_onesweep_config_selectorIjNS0_10empty_typeEEEZZNS1_29radix_sort_onesweep_iterationIS3_Lb1EPKjPjPS5_SB_mNS0_19identity_decomposerENS1_16block_id_wrapperIjLb0EEEEE10hipError_tT1_PNSt15iterator_traitsISG_E10value_typeET2_T3_PNSH_ISM_E10value_typeET4_T5_PSR_SS_PNS1_23onesweep_lookback_stateEbbT6_jjT7_P12ihipStream_tbENKUlT_T0_SG_SL_E_clIS9_SA_SB_SB_EEDaSZ_S10_SG_SL_EUlSZ_E_NS1_11comp_targetILNS1_3genE3ELNS1_11target_archE908ELNS1_3gpuE7ELNS1_3repE0EEENS1_47radix_sort_onesweep_sort_config_static_selectorELNS0_4arch9wavefront6targetE0EEEvSG_.uses_flat_scratch, 0
	.set _ZN7rocprim17ROCPRIM_400000_NS6detail17trampoline_kernelINS0_14default_configENS1_35radix_sort_onesweep_config_selectorIjNS0_10empty_typeEEEZZNS1_29radix_sort_onesweep_iterationIS3_Lb1EPKjPjPS5_SB_mNS0_19identity_decomposerENS1_16block_id_wrapperIjLb0EEEEE10hipError_tT1_PNSt15iterator_traitsISG_E10value_typeET2_T3_PNSH_ISM_E10value_typeET4_T5_PSR_SS_PNS1_23onesweep_lookback_stateEbbT6_jjT7_P12ihipStream_tbENKUlT_T0_SG_SL_E_clIS9_SA_SB_SB_EEDaSZ_S10_SG_SL_EUlSZ_E_NS1_11comp_targetILNS1_3genE3ELNS1_11target_archE908ELNS1_3gpuE7ELNS1_3repE0EEENS1_47radix_sort_onesweep_sort_config_static_selectorELNS0_4arch9wavefront6targetE0EEEvSG_.has_dyn_sized_stack, 0
	.set _ZN7rocprim17ROCPRIM_400000_NS6detail17trampoline_kernelINS0_14default_configENS1_35radix_sort_onesweep_config_selectorIjNS0_10empty_typeEEEZZNS1_29radix_sort_onesweep_iterationIS3_Lb1EPKjPjPS5_SB_mNS0_19identity_decomposerENS1_16block_id_wrapperIjLb0EEEEE10hipError_tT1_PNSt15iterator_traitsISG_E10value_typeET2_T3_PNSH_ISM_E10value_typeET4_T5_PSR_SS_PNS1_23onesweep_lookback_stateEbbT6_jjT7_P12ihipStream_tbENKUlT_T0_SG_SL_E_clIS9_SA_SB_SB_EEDaSZ_S10_SG_SL_EUlSZ_E_NS1_11comp_targetILNS1_3genE3ELNS1_11target_archE908ELNS1_3gpuE7ELNS1_3repE0EEENS1_47radix_sort_onesweep_sort_config_static_selectorELNS0_4arch9wavefront6targetE0EEEvSG_.has_recursion, 0
	.set _ZN7rocprim17ROCPRIM_400000_NS6detail17trampoline_kernelINS0_14default_configENS1_35radix_sort_onesweep_config_selectorIjNS0_10empty_typeEEEZZNS1_29radix_sort_onesweep_iterationIS3_Lb1EPKjPjPS5_SB_mNS0_19identity_decomposerENS1_16block_id_wrapperIjLb0EEEEE10hipError_tT1_PNSt15iterator_traitsISG_E10value_typeET2_T3_PNSH_ISM_E10value_typeET4_T5_PSR_SS_PNS1_23onesweep_lookback_stateEbbT6_jjT7_P12ihipStream_tbENKUlT_T0_SG_SL_E_clIS9_SA_SB_SB_EEDaSZ_S10_SG_SL_EUlSZ_E_NS1_11comp_targetILNS1_3genE3ELNS1_11target_archE908ELNS1_3gpuE7ELNS1_3repE0EEENS1_47radix_sort_onesweep_sort_config_static_selectorELNS0_4arch9wavefront6targetE0EEEvSG_.has_indirect_call, 0
	.section	.AMDGPU.csdata,"",@progbits
; Kernel info:
; codeLenInByte = 0
; TotalNumSgprs: 0
; NumVgprs: 0
; ScratchSize: 0
; MemoryBound: 0
; FloatMode: 240
; IeeeMode: 1
; LDSByteSize: 0 bytes/workgroup (compile time only)
; SGPRBlocks: 0
; VGPRBlocks: 0
; NumSGPRsForWavesPerEU: 1
; NumVGPRsForWavesPerEU: 1
; NamedBarCnt: 0
; Occupancy: 16
; WaveLimiterHint : 0
; COMPUTE_PGM_RSRC2:SCRATCH_EN: 0
; COMPUTE_PGM_RSRC2:USER_SGPR: 2
; COMPUTE_PGM_RSRC2:TRAP_HANDLER: 0
; COMPUTE_PGM_RSRC2:TGID_X_EN: 1
; COMPUTE_PGM_RSRC2:TGID_Y_EN: 0
; COMPUTE_PGM_RSRC2:TGID_Z_EN: 0
; COMPUTE_PGM_RSRC2:TIDIG_COMP_CNT: 0
	.section	.text._ZN7rocprim17ROCPRIM_400000_NS6detail17trampoline_kernelINS0_14default_configENS1_35radix_sort_onesweep_config_selectorIjNS0_10empty_typeEEEZZNS1_29radix_sort_onesweep_iterationIS3_Lb1EPKjPjPS5_SB_mNS0_19identity_decomposerENS1_16block_id_wrapperIjLb0EEEEE10hipError_tT1_PNSt15iterator_traitsISG_E10value_typeET2_T3_PNSH_ISM_E10value_typeET4_T5_PSR_SS_PNS1_23onesweep_lookback_stateEbbT6_jjT7_P12ihipStream_tbENKUlT_T0_SG_SL_E_clIS9_SA_SB_SB_EEDaSZ_S10_SG_SL_EUlSZ_E_NS1_11comp_targetILNS1_3genE10ELNS1_11target_archE1201ELNS1_3gpuE5ELNS1_3repE0EEENS1_47radix_sort_onesweep_sort_config_static_selectorELNS0_4arch9wavefront6targetE0EEEvSG_,"axG",@progbits,_ZN7rocprim17ROCPRIM_400000_NS6detail17trampoline_kernelINS0_14default_configENS1_35radix_sort_onesweep_config_selectorIjNS0_10empty_typeEEEZZNS1_29radix_sort_onesweep_iterationIS3_Lb1EPKjPjPS5_SB_mNS0_19identity_decomposerENS1_16block_id_wrapperIjLb0EEEEE10hipError_tT1_PNSt15iterator_traitsISG_E10value_typeET2_T3_PNSH_ISM_E10value_typeET4_T5_PSR_SS_PNS1_23onesweep_lookback_stateEbbT6_jjT7_P12ihipStream_tbENKUlT_T0_SG_SL_E_clIS9_SA_SB_SB_EEDaSZ_S10_SG_SL_EUlSZ_E_NS1_11comp_targetILNS1_3genE10ELNS1_11target_archE1201ELNS1_3gpuE5ELNS1_3repE0EEENS1_47radix_sort_onesweep_sort_config_static_selectorELNS0_4arch9wavefront6targetE0EEEvSG_,comdat
	.protected	_ZN7rocprim17ROCPRIM_400000_NS6detail17trampoline_kernelINS0_14default_configENS1_35radix_sort_onesweep_config_selectorIjNS0_10empty_typeEEEZZNS1_29radix_sort_onesweep_iterationIS3_Lb1EPKjPjPS5_SB_mNS0_19identity_decomposerENS1_16block_id_wrapperIjLb0EEEEE10hipError_tT1_PNSt15iterator_traitsISG_E10value_typeET2_T3_PNSH_ISM_E10value_typeET4_T5_PSR_SS_PNS1_23onesweep_lookback_stateEbbT6_jjT7_P12ihipStream_tbENKUlT_T0_SG_SL_E_clIS9_SA_SB_SB_EEDaSZ_S10_SG_SL_EUlSZ_E_NS1_11comp_targetILNS1_3genE10ELNS1_11target_archE1201ELNS1_3gpuE5ELNS1_3repE0EEENS1_47radix_sort_onesweep_sort_config_static_selectorELNS0_4arch9wavefront6targetE0EEEvSG_ ; -- Begin function _ZN7rocprim17ROCPRIM_400000_NS6detail17trampoline_kernelINS0_14default_configENS1_35radix_sort_onesweep_config_selectorIjNS0_10empty_typeEEEZZNS1_29radix_sort_onesweep_iterationIS3_Lb1EPKjPjPS5_SB_mNS0_19identity_decomposerENS1_16block_id_wrapperIjLb0EEEEE10hipError_tT1_PNSt15iterator_traitsISG_E10value_typeET2_T3_PNSH_ISM_E10value_typeET4_T5_PSR_SS_PNS1_23onesweep_lookback_stateEbbT6_jjT7_P12ihipStream_tbENKUlT_T0_SG_SL_E_clIS9_SA_SB_SB_EEDaSZ_S10_SG_SL_EUlSZ_E_NS1_11comp_targetILNS1_3genE10ELNS1_11target_archE1201ELNS1_3gpuE5ELNS1_3repE0EEENS1_47radix_sort_onesweep_sort_config_static_selectorELNS0_4arch9wavefront6targetE0EEEvSG_
	.globl	_ZN7rocprim17ROCPRIM_400000_NS6detail17trampoline_kernelINS0_14default_configENS1_35radix_sort_onesweep_config_selectorIjNS0_10empty_typeEEEZZNS1_29radix_sort_onesweep_iterationIS3_Lb1EPKjPjPS5_SB_mNS0_19identity_decomposerENS1_16block_id_wrapperIjLb0EEEEE10hipError_tT1_PNSt15iterator_traitsISG_E10value_typeET2_T3_PNSH_ISM_E10value_typeET4_T5_PSR_SS_PNS1_23onesweep_lookback_stateEbbT6_jjT7_P12ihipStream_tbENKUlT_T0_SG_SL_E_clIS9_SA_SB_SB_EEDaSZ_S10_SG_SL_EUlSZ_E_NS1_11comp_targetILNS1_3genE10ELNS1_11target_archE1201ELNS1_3gpuE5ELNS1_3repE0EEENS1_47radix_sort_onesweep_sort_config_static_selectorELNS0_4arch9wavefront6targetE0EEEvSG_
	.p2align	8
	.type	_ZN7rocprim17ROCPRIM_400000_NS6detail17trampoline_kernelINS0_14default_configENS1_35radix_sort_onesweep_config_selectorIjNS0_10empty_typeEEEZZNS1_29radix_sort_onesweep_iterationIS3_Lb1EPKjPjPS5_SB_mNS0_19identity_decomposerENS1_16block_id_wrapperIjLb0EEEEE10hipError_tT1_PNSt15iterator_traitsISG_E10value_typeET2_T3_PNSH_ISM_E10value_typeET4_T5_PSR_SS_PNS1_23onesweep_lookback_stateEbbT6_jjT7_P12ihipStream_tbENKUlT_T0_SG_SL_E_clIS9_SA_SB_SB_EEDaSZ_S10_SG_SL_EUlSZ_E_NS1_11comp_targetILNS1_3genE10ELNS1_11target_archE1201ELNS1_3gpuE5ELNS1_3repE0EEENS1_47radix_sort_onesweep_sort_config_static_selectorELNS0_4arch9wavefront6targetE0EEEvSG_,@function
_ZN7rocprim17ROCPRIM_400000_NS6detail17trampoline_kernelINS0_14default_configENS1_35radix_sort_onesweep_config_selectorIjNS0_10empty_typeEEEZZNS1_29radix_sort_onesweep_iterationIS3_Lb1EPKjPjPS5_SB_mNS0_19identity_decomposerENS1_16block_id_wrapperIjLb0EEEEE10hipError_tT1_PNSt15iterator_traitsISG_E10value_typeET2_T3_PNSH_ISM_E10value_typeET4_T5_PSR_SS_PNS1_23onesweep_lookback_stateEbbT6_jjT7_P12ihipStream_tbENKUlT_T0_SG_SL_E_clIS9_SA_SB_SB_EEDaSZ_S10_SG_SL_EUlSZ_E_NS1_11comp_targetILNS1_3genE10ELNS1_11target_archE1201ELNS1_3gpuE5ELNS1_3repE0EEENS1_47radix_sort_onesweep_sort_config_static_selectorELNS0_4arch9wavefront6targetE0EEEvSG_: ; @_ZN7rocprim17ROCPRIM_400000_NS6detail17trampoline_kernelINS0_14default_configENS1_35radix_sort_onesweep_config_selectorIjNS0_10empty_typeEEEZZNS1_29radix_sort_onesweep_iterationIS3_Lb1EPKjPjPS5_SB_mNS0_19identity_decomposerENS1_16block_id_wrapperIjLb0EEEEE10hipError_tT1_PNSt15iterator_traitsISG_E10value_typeET2_T3_PNSH_ISM_E10value_typeET4_T5_PSR_SS_PNS1_23onesweep_lookback_stateEbbT6_jjT7_P12ihipStream_tbENKUlT_T0_SG_SL_E_clIS9_SA_SB_SB_EEDaSZ_S10_SG_SL_EUlSZ_E_NS1_11comp_targetILNS1_3genE10ELNS1_11target_archE1201ELNS1_3gpuE5ELNS1_3repE0EEENS1_47radix_sort_onesweep_sort_config_static_selectorELNS0_4arch9wavefront6targetE0EEEvSG_
; %bb.0:
	.section	.rodata,"a",@progbits
	.p2align	6, 0x0
	.amdhsa_kernel _ZN7rocprim17ROCPRIM_400000_NS6detail17trampoline_kernelINS0_14default_configENS1_35radix_sort_onesweep_config_selectorIjNS0_10empty_typeEEEZZNS1_29radix_sort_onesweep_iterationIS3_Lb1EPKjPjPS5_SB_mNS0_19identity_decomposerENS1_16block_id_wrapperIjLb0EEEEE10hipError_tT1_PNSt15iterator_traitsISG_E10value_typeET2_T3_PNSH_ISM_E10value_typeET4_T5_PSR_SS_PNS1_23onesweep_lookback_stateEbbT6_jjT7_P12ihipStream_tbENKUlT_T0_SG_SL_E_clIS9_SA_SB_SB_EEDaSZ_S10_SG_SL_EUlSZ_E_NS1_11comp_targetILNS1_3genE10ELNS1_11target_archE1201ELNS1_3gpuE5ELNS1_3repE0EEENS1_47radix_sort_onesweep_sort_config_static_selectorELNS0_4arch9wavefront6targetE0EEEvSG_
		.amdhsa_group_segment_fixed_size 0
		.amdhsa_private_segment_fixed_size 0
		.amdhsa_kernarg_size 88
		.amdhsa_user_sgpr_count 2
		.amdhsa_user_sgpr_dispatch_ptr 0
		.amdhsa_user_sgpr_queue_ptr 0
		.amdhsa_user_sgpr_kernarg_segment_ptr 1
		.amdhsa_user_sgpr_dispatch_id 0
		.amdhsa_user_sgpr_kernarg_preload_length 0
		.amdhsa_user_sgpr_kernarg_preload_offset 0
		.amdhsa_user_sgpr_private_segment_size 0
		.amdhsa_wavefront_size32 1
		.amdhsa_uses_dynamic_stack 0
		.amdhsa_enable_private_segment 0
		.amdhsa_system_sgpr_workgroup_id_x 1
		.amdhsa_system_sgpr_workgroup_id_y 0
		.amdhsa_system_sgpr_workgroup_id_z 0
		.amdhsa_system_sgpr_workgroup_info 0
		.amdhsa_system_vgpr_workitem_id 0
		.amdhsa_next_free_vgpr 1
		.amdhsa_next_free_sgpr 1
		.amdhsa_named_barrier_count 0
		.amdhsa_reserve_vcc 0
		.amdhsa_float_round_mode_32 0
		.amdhsa_float_round_mode_16_64 0
		.amdhsa_float_denorm_mode_32 3
		.amdhsa_float_denorm_mode_16_64 3
		.amdhsa_fp16_overflow 0
		.amdhsa_memory_ordered 1
		.amdhsa_forward_progress 1
		.amdhsa_inst_pref_size 0
		.amdhsa_round_robin_scheduling 0
		.amdhsa_exception_fp_ieee_invalid_op 0
		.amdhsa_exception_fp_denorm_src 0
		.amdhsa_exception_fp_ieee_div_zero 0
		.amdhsa_exception_fp_ieee_overflow 0
		.amdhsa_exception_fp_ieee_underflow 0
		.amdhsa_exception_fp_ieee_inexact 0
		.amdhsa_exception_int_div_zero 0
	.end_amdhsa_kernel
	.section	.text._ZN7rocprim17ROCPRIM_400000_NS6detail17trampoline_kernelINS0_14default_configENS1_35radix_sort_onesweep_config_selectorIjNS0_10empty_typeEEEZZNS1_29radix_sort_onesweep_iterationIS3_Lb1EPKjPjPS5_SB_mNS0_19identity_decomposerENS1_16block_id_wrapperIjLb0EEEEE10hipError_tT1_PNSt15iterator_traitsISG_E10value_typeET2_T3_PNSH_ISM_E10value_typeET4_T5_PSR_SS_PNS1_23onesweep_lookback_stateEbbT6_jjT7_P12ihipStream_tbENKUlT_T0_SG_SL_E_clIS9_SA_SB_SB_EEDaSZ_S10_SG_SL_EUlSZ_E_NS1_11comp_targetILNS1_3genE10ELNS1_11target_archE1201ELNS1_3gpuE5ELNS1_3repE0EEENS1_47radix_sort_onesweep_sort_config_static_selectorELNS0_4arch9wavefront6targetE0EEEvSG_,"axG",@progbits,_ZN7rocprim17ROCPRIM_400000_NS6detail17trampoline_kernelINS0_14default_configENS1_35radix_sort_onesweep_config_selectorIjNS0_10empty_typeEEEZZNS1_29radix_sort_onesweep_iterationIS3_Lb1EPKjPjPS5_SB_mNS0_19identity_decomposerENS1_16block_id_wrapperIjLb0EEEEE10hipError_tT1_PNSt15iterator_traitsISG_E10value_typeET2_T3_PNSH_ISM_E10value_typeET4_T5_PSR_SS_PNS1_23onesweep_lookback_stateEbbT6_jjT7_P12ihipStream_tbENKUlT_T0_SG_SL_E_clIS9_SA_SB_SB_EEDaSZ_S10_SG_SL_EUlSZ_E_NS1_11comp_targetILNS1_3genE10ELNS1_11target_archE1201ELNS1_3gpuE5ELNS1_3repE0EEENS1_47radix_sort_onesweep_sort_config_static_selectorELNS0_4arch9wavefront6targetE0EEEvSG_,comdat
.Lfunc_end2657:
	.size	_ZN7rocprim17ROCPRIM_400000_NS6detail17trampoline_kernelINS0_14default_configENS1_35radix_sort_onesweep_config_selectorIjNS0_10empty_typeEEEZZNS1_29radix_sort_onesweep_iterationIS3_Lb1EPKjPjPS5_SB_mNS0_19identity_decomposerENS1_16block_id_wrapperIjLb0EEEEE10hipError_tT1_PNSt15iterator_traitsISG_E10value_typeET2_T3_PNSH_ISM_E10value_typeET4_T5_PSR_SS_PNS1_23onesweep_lookback_stateEbbT6_jjT7_P12ihipStream_tbENKUlT_T0_SG_SL_E_clIS9_SA_SB_SB_EEDaSZ_S10_SG_SL_EUlSZ_E_NS1_11comp_targetILNS1_3genE10ELNS1_11target_archE1201ELNS1_3gpuE5ELNS1_3repE0EEENS1_47radix_sort_onesweep_sort_config_static_selectorELNS0_4arch9wavefront6targetE0EEEvSG_, .Lfunc_end2657-_ZN7rocprim17ROCPRIM_400000_NS6detail17trampoline_kernelINS0_14default_configENS1_35radix_sort_onesweep_config_selectorIjNS0_10empty_typeEEEZZNS1_29radix_sort_onesweep_iterationIS3_Lb1EPKjPjPS5_SB_mNS0_19identity_decomposerENS1_16block_id_wrapperIjLb0EEEEE10hipError_tT1_PNSt15iterator_traitsISG_E10value_typeET2_T3_PNSH_ISM_E10value_typeET4_T5_PSR_SS_PNS1_23onesweep_lookback_stateEbbT6_jjT7_P12ihipStream_tbENKUlT_T0_SG_SL_E_clIS9_SA_SB_SB_EEDaSZ_S10_SG_SL_EUlSZ_E_NS1_11comp_targetILNS1_3genE10ELNS1_11target_archE1201ELNS1_3gpuE5ELNS1_3repE0EEENS1_47radix_sort_onesweep_sort_config_static_selectorELNS0_4arch9wavefront6targetE0EEEvSG_
                                        ; -- End function
	.set _ZN7rocprim17ROCPRIM_400000_NS6detail17trampoline_kernelINS0_14default_configENS1_35radix_sort_onesweep_config_selectorIjNS0_10empty_typeEEEZZNS1_29radix_sort_onesweep_iterationIS3_Lb1EPKjPjPS5_SB_mNS0_19identity_decomposerENS1_16block_id_wrapperIjLb0EEEEE10hipError_tT1_PNSt15iterator_traitsISG_E10value_typeET2_T3_PNSH_ISM_E10value_typeET4_T5_PSR_SS_PNS1_23onesweep_lookback_stateEbbT6_jjT7_P12ihipStream_tbENKUlT_T0_SG_SL_E_clIS9_SA_SB_SB_EEDaSZ_S10_SG_SL_EUlSZ_E_NS1_11comp_targetILNS1_3genE10ELNS1_11target_archE1201ELNS1_3gpuE5ELNS1_3repE0EEENS1_47radix_sort_onesweep_sort_config_static_selectorELNS0_4arch9wavefront6targetE0EEEvSG_.num_vgpr, 0
	.set _ZN7rocprim17ROCPRIM_400000_NS6detail17trampoline_kernelINS0_14default_configENS1_35radix_sort_onesweep_config_selectorIjNS0_10empty_typeEEEZZNS1_29radix_sort_onesweep_iterationIS3_Lb1EPKjPjPS5_SB_mNS0_19identity_decomposerENS1_16block_id_wrapperIjLb0EEEEE10hipError_tT1_PNSt15iterator_traitsISG_E10value_typeET2_T3_PNSH_ISM_E10value_typeET4_T5_PSR_SS_PNS1_23onesweep_lookback_stateEbbT6_jjT7_P12ihipStream_tbENKUlT_T0_SG_SL_E_clIS9_SA_SB_SB_EEDaSZ_S10_SG_SL_EUlSZ_E_NS1_11comp_targetILNS1_3genE10ELNS1_11target_archE1201ELNS1_3gpuE5ELNS1_3repE0EEENS1_47radix_sort_onesweep_sort_config_static_selectorELNS0_4arch9wavefront6targetE0EEEvSG_.num_agpr, 0
	.set _ZN7rocprim17ROCPRIM_400000_NS6detail17trampoline_kernelINS0_14default_configENS1_35radix_sort_onesweep_config_selectorIjNS0_10empty_typeEEEZZNS1_29radix_sort_onesweep_iterationIS3_Lb1EPKjPjPS5_SB_mNS0_19identity_decomposerENS1_16block_id_wrapperIjLb0EEEEE10hipError_tT1_PNSt15iterator_traitsISG_E10value_typeET2_T3_PNSH_ISM_E10value_typeET4_T5_PSR_SS_PNS1_23onesweep_lookback_stateEbbT6_jjT7_P12ihipStream_tbENKUlT_T0_SG_SL_E_clIS9_SA_SB_SB_EEDaSZ_S10_SG_SL_EUlSZ_E_NS1_11comp_targetILNS1_3genE10ELNS1_11target_archE1201ELNS1_3gpuE5ELNS1_3repE0EEENS1_47radix_sort_onesweep_sort_config_static_selectorELNS0_4arch9wavefront6targetE0EEEvSG_.numbered_sgpr, 0
	.set _ZN7rocprim17ROCPRIM_400000_NS6detail17trampoline_kernelINS0_14default_configENS1_35radix_sort_onesweep_config_selectorIjNS0_10empty_typeEEEZZNS1_29radix_sort_onesweep_iterationIS3_Lb1EPKjPjPS5_SB_mNS0_19identity_decomposerENS1_16block_id_wrapperIjLb0EEEEE10hipError_tT1_PNSt15iterator_traitsISG_E10value_typeET2_T3_PNSH_ISM_E10value_typeET4_T5_PSR_SS_PNS1_23onesweep_lookback_stateEbbT6_jjT7_P12ihipStream_tbENKUlT_T0_SG_SL_E_clIS9_SA_SB_SB_EEDaSZ_S10_SG_SL_EUlSZ_E_NS1_11comp_targetILNS1_3genE10ELNS1_11target_archE1201ELNS1_3gpuE5ELNS1_3repE0EEENS1_47radix_sort_onesweep_sort_config_static_selectorELNS0_4arch9wavefront6targetE0EEEvSG_.num_named_barrier, 0
	.set _ZN7rocprim17ROCPRIM_400000_NS6detail17trampoline_kernelINS0_14default_configENS1_35radix_sort_onesweep_config_selectorIjNS0_10empty_typeEEEZZNS1_29radix_sort_onesweep_iterationIS3_Lb1EPKjPjPS5_SB_mNS0_19identity_decomposerENS1_16block_id_wrapperIjLb0EEEEE10hipError_tT1_PNSt15iterator_traitsISG_E10value_typeET2_T3_PNSH_ISM_E10value_typeET4_T5_PSR_SS_PNS1_23onesweep_lookback_stateEbbT6_jjT7_P12ihipStream_tbENKUlT_T0_SG_SL_E_clIS9_SA_SB_SB_EEDaSZ_S10_SG_SL_EUlSZ_E_NS1_11comp_targetILNS1_3genE10ELNS1_11target_archE1201ELNS1_3gpuE5ELNS1_3repE0EEENS1_47radix_sort_onesweep_sort_config_static_selectorELNS0_4arch9wavefront6targetE0EEEvSG_.private_seg_size, 0
	.set _ZN7rocprim17ROCPRIM_400000_NS6detail17trampoline_kernelINS0_14default_configENS1_35radix_sort_onesweep_config_selectorIjNS0_10empty_typeEEEZZNS1_29radix_sort_onesweep_iterationIS3_Lb1EPKjPjPS5_SB_mNS0_19identity_decomposerENS1_16block_id_wrapperIjLb0EEEEE10hipError_tT1_PNSt15iterator_traitsISG_E10value_typeET2_T3_PNSH_ISM_E10value_typeET4_T5_PSR_SS_PNS1_23onesweep_lookback_stateEbbT6_jjT7_P12ihipStream_tbENKUlT_T0_SG_SL_E_clIS9_SA_SB_SB_EEDaSZ_S10_SG_SL_EUlSZ_E_NS1_11comp_targetILNS1_3genE10ELNS1_11target_archE1201ELNS1_3gpuE5ELNS1_3repE0EEENS1_47radix_sort_onesweep_sort_config_static_selectorELNS0_4arch9wavefront6targetE0EEEvSG_.uses_vcc, 0
	.set _ZN7rocprim17ROCPRIM_400000_NS6detail17trampoline_kernelINS0_14default_configENS1_35radix_sort_onesweep_config_selectorIjNS0_10empty_typeEEEZZNS1_29radix_sort_onesweep_iterationIS3_Lb1EPKjPjPS5_SB_mNS0_19identity_decomposerENS1_16block_id_wrapperIjLb0EEEEE10hipError_tT1_PNSt15iterator_traitsISG_E10value_typeET2_T3_PNSH_ISM_E10value_typeET4_T5_PSR_SS_PNS1_23onesweep_lookback_stateEbbT6_jjT7_P12ihipStream_tbENKUlT_T0_SG_SL_E_clIS9_SA_SB_SB_EEDaSZ_S10_SG_SL_EUlSZ_E_NS1_11comp_targetILNS1_3genE10ELNS1_11target_archE1201ELNS1_3gpuE5ELNS1_3repE0EEENS1_47radix_sort_onesweep_sort_config_static_selectorELNS0_4arch9wavefront6targetE0EEEvSG_.uses_flat_scratch, 0
	.set _ZN7rocprim17ROCPRIM_400000_NS6detail17trampoline_kernelINS0_14default_configENS1_35radix_sort_onesweep_config_selectorIjNS0_10empty_typeEEEZZNS1_29radix_sort_onesweep_iterationIS3_Lb1EPKjPjPS5_SB_mNS0_19identity_decomposerENS1_16block_id_wrapperIjLb0EEEEE10hipError_tT1_PNSt15iterator_traitsISG_E10value_typeET2_T3_PNSH_ISM_E10value_typeET4_T5_PSR_SS_PNS1_23onesweep_lookback_stateEbbT6_jjT7_P12ihipStream_tbENKUlT_T0_SG_SL_E_clIS9_SA_SB_SB_EEDaSZ_S10_SG_SL_EUlSZ_E_NS1_11comp_targetILNS1_3genE10ELNS1_11target_archE1201ELNS1_3gpuE5ELNS1_3repE0EEENS1_47radix_sort_onesweep_sort_config_static_selectorELNS0_4arch9wavefront6targetE0EEEvSG_.has_dyn_sized_stack, 0
	.set _ZN7rocprim17ROCPRIM_400000_NS6detail17trampoline_kernelINS0_14default_configENS1_35radix_sort_onesweep_config_selectorIjNS0_10empty_typeEEEZZNS1_29radix_sort_onesweep_iterationIS3_Lb1EPKjPjPS5_SB_mNS0_19identity_decomposerENS1_16block_id_wrapperIjLb0EEEEE10hipError_tT1_PNSt15iterator_traitsISG_E10value_typeET2_T3_PNSH_ISM_E10value_typeET4_T5_PSR_SS_PNS1_23onesweep_lookback_stateEbbT6_jjT7_P12ihipStream_tbENKUlT_T0_SG_SL_E_clIS9_SA_SB_SB_EEDaSZ_S10_SG_SL_EUlSZ_E_NS1_11comp_targetILNS1_3genE10ELNS1_11target_archE1201ELNS1_3gpuE5ELNS1_3repE0EEENS1_47radix_sort_onesweep_sort_config_static_selectorELNS0_4arch9wavefront6targetE0EEEvSG_.has_recursion, 0
	.set _ZN7rocprim17ROCPRIM_400000_NS6detail17trampoline_kernelINS0_14default_configENS1_35radix_sort_onesweep_config_selectorIjNS0_10empty_typeEEEZZNS1_29radix_sort_onesweep_iterationIS3_Lb1EPKjPjPS5_SB_mNS0_19identity_decomposerENS1_16block_id_wrapperIjLb0EEEEE10hipError_tT1_PNSt15iterator_traitsISG_E10value_typeET2_T3_PNSH_ISM_E10value_typeET4_T5_PSR_SS_PNS1_23onesweep_lookback_stateEbbT6_jjT7_P12ihipStream_tbENKUlT_T0_SG_SL_E_clIS9_SA_SB_SB_EEDaSZ_S10_SG_SL_EUlSZ_E_NS1_11comp_targetILNS1_3genE10ELNS1_11target_archE1201ELNS1_3gpuE5ELNS1_3repE0EEENS1_47radix_sort_onesweep_sort_config_static_selectorELNS0_4arch9wavefront6targetE0EEEvSG_.has_indirect_call, 0
	.section	.AMDGPU.csdata,"",@progbits
; Kernel info:
; codeLenInByte = 0
; TotalNumSgprs: 0
; NumVgprs: 0
; ScratchSize: 0
; MemoryBound: 0
; FloatMode: 240
; IeeeMode: 1
; LDSByteSize: 0 bytes/workgroup (compile time only)
; SGPRBlocks: 0
; VGPRBlocks: 0
; NumSGPRsForWavesPerEU: 1
; NumVGPRsForWavesPerEU: 1
; NamedBarCnt: 0
; Occupancy: 16
; WaveLimiterHint : 0
; COMPUTE_PGM_RSRC2:SCRATCH_EN: 0
; COMPUTE_PGM_RSRC2:USER_SGPR: 2
; COMPUTE_PGM_RSRC2:TRAP_HANDLER: 0
; COMPUTE_PGM_RSRC2:TGID_X_EN: 1
; COMPUTE_PGM_RSRC2:TGID_Y_EN: 0
; COMPUTE_PGM_RSRC2:TGID_Z_EN: 0
; COMPUTE_PGM_RSRC2:TIDIG_COMP_CNT: 0
	.section	.text._ZN7rocprim17ROCPRIM_400000_NS6detail17trampoline_kernelINS0_14default_configENS1_35radix_sort_onesweep_config_selectorIjNS0_10empty_typeEEEZZNS1_29radix_sort_onesweep_iterationIS3_Lb1EPKjPjPS5_SB_mNS0_19identity_decomposerENS1_16block_id_wrapperIjLb0EEEEE10hipError_tT1_PNSt15iterator_traitsISG_E10value_typeET2_T3_PNSH_ISM_E10value_typeET4_T5_PSR_SS_PNS1_23onesweep_lookback_stateEbbT6_jjT7_P12ihipStream_tbENKUlT_T0_SG_SL_E_clIS9_SA_SB_SB_EEDaSZ_S10_SG_SL_EUlSZ_E_NS1_11comp_targetILNS1_3genE9ELNS1_11target_archE1100ELNS1_3gpuE3ELNS1_3repE0EEENS1_47radix_sort_onesweep_sort_config_static_selectorELNS0_4arch9wavefront6targetE0EEEvSG_,"axG",@progbits,_ZN7rocprim17ROCPRIM_400000_NS6detail17trampoline_kernelINS0_14default_configENS1_35radix_sort_onesweep_config_selectorIjNS0_10empty_typeEEEZZNS1_29radix_sort_onesweep_iterationIS3_Lb1EPKjPjPS5_SB_mNS0_19identity_decomposerENS1_16block_id_wrapperIjLb0EEEEE10hipError_tT1_PNSt15iterator_traitsISG_E10value_typeET2_T3_PNSH_ISM_E10value_typeET4_T5_PSR_SS_PNS1_23onesweep_lookback_stateEbbT6_jjT7_P12ihipStream_tbENKUlT_T0_SG_SL_E_clIS9_SA_SB_SB_EEDaSZ_S10_SG_SL_EUlSZ_E_NS1_11comp_targetILNS1_3genE9ELNS1_11target_archE1100ELNS1_3gpuE3ELNS1_3repE0EEENS1_47radix_sort_onesweep_sort_config_static_selectorELNS0_4arch9wavefront6targetE0EEEvSG_,comdat
	.protected	_ZN7rocprim17ROCPRIM_400000_NS6detail17trampoline_kernelINS0_14default_configENS1_35radix_sort_onesweep_config_selectorIjNS0_10empty_typeEEEZZNS1_29radix_sort_onesweep_iterationIS3_Lb1EPKjPjPS5_SB_mNS0_19identity_decomposerENS1_16block_id_wrapperIjLb0EEEEE10hipError_tT1_PNSt15iterator_traitsISG_E10value_typeET2_T3_PNSH_ISM_E10value_typeET4_T5_PSR_SS_PNS1_23onesweep_lookback_stateEbbT6_jjT7_P12ihipStream_tbENKUlT_T0_SG_SL_E_clIS9_SA_SB_SB_EEDaSZ_S10_SG_SL_EUlSZ_E_NS1_11comp_targetILNS1_3genE9ELNS1_11target_archE1100ELNS1_3gpuE3ELNS1_3repE0EEENS1_47radix_sort_onesweep_sort_config_static_selectorELNS0_4arch9wavefront6targetE0EEEvSG_ ; -- Begin function _ZN7rocprim17ROCPRIM_400000_NS6detail17trampoline_kernelINS0_14default_configENS1_35radix_sort_onesweep_config_selectorIjNS0_10empty_typeEEEZZNS1_29radix_sort_onesweep_iterationIS3_Lb1EPKjPjPS5_SB_mNS0_19identity_decomposerENS1_16block_id_wrapperIjLb0EEEEE10hipError_tT1_PNSt15iterator_traitsISG_E10value_typeET2_T3_PNSH_ISM_E10value_typeET4_T5_PSR_SS_PNS1_23onesweep_lookback_stateEbbT6_jjT7_P12ihipStream_tbENKUlT_T0_SG_SL_E_clIS9_SA_SB_SB_EEDaSZ_S10_SG_SL_EUlSZ_E_NS1_11comp_targetILNS1_3genE9ELNS1_11target_archE1100ELNS1_3gpuE3ELNS1_3repE0EEENS1_47radix_sort_onesweep_sort_config_static_selectorELNS0_4arch9wavefront6targetE0EEEvSG_
	.globl	_ZN7rocprim17ROCPRIM_400000_NS6detail17trampoline_kernelINS0_14default_configENS1_35radix_sort_onesweep_config_selectorIjNS0_10empty_typeEEEZZNS1_29radix_sort_onesweep_iterationIS3_Lb1EPKjPjPS5_SB_mNS0_19identity_decomposerENS1_16block_id_wrapperIjLb0EEEEE10hipError_tT1_PNSt15iterator_traitsISG_E10value_typeET2_T3_PNSH_ISM_E10value_typeET4_T5_PSR_SS_PNS1_23onesweep_lookback_stateEbbT6_jjT7_P12ihipStream_tbENKUlT_T0_SG_SL_E_clIS9_SA_SB_SB_EEDaSZ_S10_SG_SL_EUlSZ_E_NS1_11comp_targetILNS1_3genE9ELNS1_11target_archE1100ELNS1_3gpuE3ELNS1_3repE0EEENS1_47radix_sort_onesweep_sort_config_static_selectorELNS0_4arch9wavefront6targetE0EEEvSG_
	.p2align	8
	.type	_ZN7rocprim17ROCPRIM_400000_NS6detail17trampoline_kernelINS0_14default_configENS1_35radix_sort_onesweep_config_selectorIjNS0_10empty_typeEEEZZNS1_29radix_sort_onesweep_iterationIS3_Lb1EPKjPjPS5_SB_mNS0_19identity_decomposerENS1_16block_id_wrapperIjLb0EEEEE10hipError_tT1_PNSt15iterator_traitsISG_E10value_typeET2_T3_PNSH_ISM_E10value_typeET4_T5_PSR_SS_PNS1_23onesweep_lookback_stateEbbT6_jjT7_P12ihipStream_tbENKUlT_T0_SG_SL_E_clIS9_SA_SB_SB_EEDaSZ_S10_SG_SL_EUlSZ_E_NS1_11comp_targetILNS1_3genE9ELNS1_11target_archE1100ELNS1_3gpuE3ELNS1_3repE0EEENS1_47radix_sort_onesweep_sort_config_static_selectorELNS0_4arch9wavefront6targetE0EEEvSG_,@function
_ZN7rocprim17ROCPRIM_400000_NS6detail17trampoline_kernelINS0_14default_configENS1_35radix_sort_onesweep_config_selectorIjNS0_10empty_typeEEEZZNS1_29radix_sort_onesweep_iterationIS3_Lb1EPKjPjPS5_SB_mNS0_19identity_decomposerENS1_16block_id_wrapperIjLb0EEEEE10hipError_tT1_PNSt15iterator_traitsISG_E10value_typeET2_T3_PNSH_ISM_E10value_typeET4_T5_PSR_SS_PNS1_23onesweep_lookback_stateEbbT6_jjT7_P12ihipStream_tbENKUlT_T0_SG_SL_E_clIS9_SA_SB_SB_EEDaSZ_S10_SG_SL_EUlSZ_E_NS1_11comp_targetILNS1_3genE9ELNS1_11target_archE1100ELNS1_3gpuE3ELNS1_3repE0EEENS1_47radix_sort_onesweep_sort_config_static_selectorELNS0_4arch9wavefront6targetE0EEEvSG_: ; @_ZN7rocprim17ROCPRIM_400000_NS6detail17trampoline_kernelINS0_14default_configENS1_35radix_sort_onesweep_config_selectorIjNS0_10empty_typeEEEZZNS1_29radix_sort_onesweep_iterationIS3_Lb1EPKjPjPS5_SB_mNS0_19identity_decomposerENS1_16block_id_wrapperIjLb0EEEEE10hipError_tT1_PNSt15iterator_traitsISG_E10value_typeET2_T3_PNSH_ISM_E10value_typeET4_T5_PSR_SS_PNS1_23onesweep_lookback_stateEbbT6_jjT7_P12ihipStream_tbENKUlT_T0_SG_SL_E_clIS9_SA_SB_SB_EEDaSZ_S10_SG_SL_EUlSZ_E_NS1_11comp_targetILNS1_3genE9ELNS1_11target_archE1100ELNS1_3gpuE3ELNS1_3repE0EEENS1_47radix_sort_onesweep_sort_config_static_selectorELNS0_4arch9wavefront6targetE0EEEvSG_
; %bb.0:
	.section	.rodata,"a",@progbits
	.p2align	6, 0x0
	.amdhsa_kernel _ZN7rocprim17ROCPRIM_400000_NS6detail17trampoline_kernelINS0_14default_configENS1_35radix_sort_onesweep_config_selectorIjNS0_10empty_typeEEEZZNS1_29radix_sort_onesweep_iterationIS3_Lb1EPKjPjPS5_SB_mNS0_19identity_decomposerENS1_16block_id_wrapperIjLb0EEEEE10hipError_tT1_PNSt15iterator_traitsISG_E10value_typeET2_T3_PNSH_ISM_E10value_typeET4_T5_PSR_SS_PNS1_23onesweep_lookback_stateEbbT6_jjT7_P12ihipStream_tbENKUlT_T0_SG_SL_E_clIS9_SA_SB_SB_EEDaSZ_S10_SG_SL_EUlSZ_E_NS1_11comp_targetILNS1_3genE9ELNS1_11target_archE1100ELNS1_3gpuE3ELNS1_3repE0EEENS1_47radix_sort_onesweep_sort_config_static_selectorELNS0_4arch9wavefront6targetE0EEEvSG_
		.amdhsa_group_segment_fixed_size 0
		.amdhsa_private_segment_fixed_size 0
		.amdhsa_kernarg_size 88
		.amdhsa_user_sgpr_count 2
		.amdhsa_user_sgpr_dispatch_ptr 0
		.amdhsa_user_sgpr_queue_ptr 0
		.amdhsa_user_sgpr_kernarg_segment_ptr 1
		.amdhsa_user_sgpr_dispatch_id 0
		.amdhsa_user_sgpr_kernarg_preload_length 0
		.amdhsa_user_sgpr_kernarg_preload_offset 0
		.amdhsa_user_sgpr_private_segment_size 0
		.amdhsa_wavefront_size32 1
		.amdhsa_uses_dynamic_stack 0
		.amdhsa_enable_private_segment 0
		.amdhsa_system_sgpr_workgroup_id_x 1
		.amdhsa_system_sgpr_workgroup_id_y 0
		.amdhsa_system_sgpr_workgroup_id_z 0
		.amdhsa_system_sgpr_workgroup_info 0
		.amdhsa_system_vgpr_workitem_id 0
		.amdhsa_next_free_vgpr 1
		.amdhsa_next_free_sgpr 1
		.amdhsa_named_barrier_count 0
		.amdhsa_reserve_vcc 0
		.amdhsa_float_round_mode_32 0
		.amdhsa_float_round_mode_16_64 0
		.amdhsa_float_denorm_mode_32 3
		.amdhsa_float_denorm_mode_16_64 3
		.amdhsa_fp16_overflow 0
		.amdhsa_memory_ordered 1
		.amdhsa_forward_progress 1
		.amdhsa_inst_pref_size 0
		.amdhsa_round_robin_scheduling 0
		.amdhsa_exception_fp_ieee_invalid_op 0
		.amdhsa_exception_fp_denorm_src 0
		.amdhsa_exception_fp_ieee_div_zero 0
		.amdhsa_exception_fp_ieee_overflow 0
		.amdhsa_exception_fp_ieee_underflow 0
		.amdhsa_exception_fp_ieee_inexact 0
		.amdhsa_exception_int_div_zero 0
	.end_amdhsa_kernel
	.section	.text._ZN7rocprim17ROCPRIM_400000_NS6detail17trampoline_kernelINS0_14default_configENS1_35radix_sort_onesweep_config_selectorIjNS0_10empty_typeEEEZZNS1_29radix_sort_onesweep_iterationIS3_Lb1EPKjPjPS5_SB_mNS0_19identity_decomposerENS1_16block_id_wrapperIjLb0EEEEE10hipError_tT1_PNSt15iterator_traitsISG_E10value_typeET2_T3_PNSH_ISM_E10value_typeET4_T5_PSR_SS_PNS1_23onesweep_lookback_stateEbbT6_jjT7_P12ihipStream_tbENKUlT_T0_SG_SL_E_clIS9_SA_SB_SB_EEDaSZ_S10_SG_SL_EUlSZ_E_NS1_11comp_targetILNS1_3genE9ELNS1_11target_archE1100ELNS1_3gpuE3ELNS1_3repE0EEENS1_47radix_sort_onesweep_sort_config_static_selectorELNS0_4arch9wavefront6targetE0EEEvSG_,"axG",@progbits,_ZN7rocprim17ROCPRIM_400000_NS6detail17trampoline_kernelINS0_14default_configENS1_35radix_sort_onesweep_config_selectorIjNS0_10empty_typeEEEZZNS1_29radix_sort_onesweep_iterationIS3_Lb1EPKjPjPS5_SB_mNS0_19identity_decomposerENS1_16block_id_wrapperIjLb0EEEEE10hipError_tT1_PNSt15iterator_traitsISG_E10value_typeET2_T3_PNSH_ISM_E10value_typeET4_T5_PSR_SS_PNS1_23onesweep_lookback_stateEbbT6_jjT7_P12ihipStream_tbENKUlT_T0_SG_SL_E_clIS9_SA_SB_SB_EEDaSZ_S10_SG_SL_EUlSZ_E_NS1_11comp_targetILNS1_3genE9ELNS1_11target_archE1100ELNS1_3gpuE3ELNS1_3repE0EEENS1_47radix_sort_onesweep_sort_config_static_selectorELNS0_4arch9wavefront6targetE0EEEvSG_,comdat
.Lfunc_end2658:
	.size	_ZN7rocprim17ROCPRIM_400000_NS6detail17trampoline_kernelINS0_14default_configENS1_35radix_sort_onesweep_config_selectorIjNS0_10empty_typeEEEZZNS1_29radix_sort_onesweep_iterationIS3_Lb1EPKjPjPS5_SB_mNS0_19identity_decomposerENS1_16block_id_wrapperIjLb0EEEEE10hipError_tT1_PNSt15iterator_traitsISG_E10value_typeET2_T3_PNSH_ISM_E10value_typeET4_T5_PSR_SS_PNS1_23onesweep_lookback_stateEbbT6_jjT7_P12ihipStream_tbENKUlT_T0_SG_SL_E_clIS9_SA_SB_SB_EEDaSZ_S10_SG_SL_EUlSZ_E_NS1_11comp_targetILNS1_3genE9ELNS1_11target_archE1100ELNS1_3gpuE3ELNS1_3repE0EEENS1_47radix_sort_onesweep_sort_config_static_selectorELNS0_4arch9wavefront6targetE0EEEvSG_, .Lfunc_end2658-_ZN7rocprim17ROCPRIM_400000_NS6detail17trampoline_kernelINS0_14default_configENS1_35radix_sort_onesweep_config_selectorIjNS0_10empty_typeEEEZZNS1_29radix_sort_onesweep_iterationIS3_Lb1EPKjPjPS5_SB_mNS0_19identity_decomposerENS1_16block_id_wrapperIjLb0EEEEE10hipError_tT1_PNSt15iterator_traitsISG_E10value_typeET2_T3_PNSH_ISM_E10value_typeET4_T5_PSR_SS_PNS1_23onesweep_lookback_stateEbbT6_jjT7_P12ihipStream_tbENKUlT_T0_SG_SL_E_clIS9_SA_SB_SB_EEDaSZ_S10_SG_SL_EUlSZ_E_NS1_11comp_targetILNS1_3genE9ELNS1_11target_archE1100ELNS1_3gpuE3ELNS1_3repE0EEENS1_47radix_sort_onesweep_sort_config_static_selectorELNS0_4arch9wavefront6targetE0EEEvSG_
                                        ; -- End function
	.set _ZN7rocprim17ROCPRIM_400000_NS6detail17trampoline_kernelINS0_14default_configENS1_35radix_sort_onesweep_config_selectorIjNS0_10empty_typeEEEZZNS1_29radix_sort_onesweep_iterationIS3_Lb1EPKjPjPS5_SB_mNS0_19identity_decomposerENS1_16block_id_wrapperIjLb0EEEEE10hipError_tT1_PNSt15iterator_traitsISG_E10value_typeET2_T3_PNSH_ISM_E10value_typeET4_T5_PSR_SS_PNS1_23onesweep_lookback_stateEbbT6_jjT7_P12ihipStream_tbENKUlT_T0_SG_SL_E_clIS9_SA_SB_SB_EEDaSZ_S10_SG_SL_EUlSZ_E_NS1_11comp_targetILNS1_3genE9ELNS1_11target_archE1100ELNS1_3gpuE3ELNS1_3repE0EEENS1_47radix_sort_onesweep_sort_config_static_selectorELNS0_4arch9wavefront6targetE0EEEvSG_.num_vgpr, 0
	.set _ZN7rocprim17ROCPRIM_400000_NS6detail17trampoline_kernelINS0_14default_configENS1_35radix_sort_onesweep_config_selectorIjNS0_10empty_typeEEEZZNS1_29radix_sort_onesweep_iterationIS3_Lb1EPKjPjPS5_SB_mNS0_19identity_decomposerENS1_16block_id_wrapperIjLb0EEEEE10hipError_tT1_PNSt15iterator_traitsISG_E10value_typeET2_T3_PNSH_ISM_E10value_typeET4_T5_PSR_SS_PNS1_23onesweep_lookback_stateEbbT6_jjT7_P12ihipStream_tbENKUlT_T0_SG_SL_E_clIS9_SA_SB_SB_EEDaSZ_S10_SG_SL_EUlSZ_E_NS1_11comp_targetILNS1_3genE9ELNS1_11target_archE1100ELNS1_3gpuE3ELNS1_3repE0EEENS1_47radix_sort_onesweep_sort_config_static_selectorELNS0_4arch9wavefront6targetE0EEEvSG_.num_agpr, 0
	.set _ZN7rocprim17ROCPRIM_400000_NS6detail17trampoline_kernelINS0_14default_configENS1_35radix_sort_onesweep_config_selectorIjNS0_10empty_typeEEEZZNS1_29radix_sort_onesweep_iterationIS3_Lb1EPKjPjPS5_SB_mNS0_19identity_decomposerENS1_16block_id_wrapperIjLb0EEEEE10hipError_tT1_PNSt15iterator_traitsISG_E10value_typeET2_T3_PNSH_ISM_E10value_typeET4_T5_PSR_SS_PNS1_23onesweep_lookback_stateEbbT6_jjT7_P12ihipStream_tbENKUlT_T0_SG_SL_E_clIS9_SA_SB_SB_EEDaSZ_S10_SG_SL_EUlSZ_E_NS1_11comp_targetILNS1_3genE9ELNS1_11target_archE1100ELNS1_3gpuE3ELNS1_3repE0EEENS1_47radix_sort_onesweep_sort_config_static_selectorELNS0_4arch9wavefront6targetE0EEEvSG_.numbered_sgpr, 0
	.set _ZN7rocprim17ROCPRIM_400000_NS6detail17trampoline_kernelINS0_14default_configENS1_35radix_sort_onesweep_config_selectorIjNS0_10empty_typeEEEZZNS1_29radix_sort_onesweep_iterationIS3_Lb1EPKjPjPS5_SB_mNS0_19identity_decomposerENS1_16block_id_wrapperIjLb0EEEEE10hipError_tT1_PNSt15iterator_traitsISG_E10value_typeET2_T3_PNSH_ISM_E10value_typeET4_T5_PSR_SS_PNS1_23onesweep_lookback_stateEbbT6_jjT7_P12ihipStream_tbENKUlT_T0_SG_SL_E_clIS9_SA_SB_SB_EEDaSZ_S10_SG_SL_EUlSZ_E_NS1_11comp_targetILNS1_3genE9ELNS1_11target_archE1100ELNS1_3gpuE3ELNS1_3repE0EEENS1_47radix_sort_onesweep_sort_config_static_selectorELNS0_4arch9wavefront6targetE0EEEvSG_.num_named_barrier, 0
	.set _ZN7rocprim17ROCPRIM_400000_NS6detail17trampoline_kernelINS0_14default_configENS1_35radix_sort_onesweep_config_selectorIjNS0_10empty_typeEEEZZNS1_29radix_sort_onesweep_iterationIS3_Lb1EPKjPjPS5_SB_mNS0_19identity_decomposerENS1_16block_id_wrapperIjLb0EEEEE10hipError_tT1_PNSt15iterator_traitsISG_E10value_typeET2_T3_PNSH_ISM_E10value_typeET4_T5_PSR_SS_PNS1_23onesweep_lookback_stateEbbT6_jjT7_P12ihipStream_tbENKUlT_T0_SG_SL_E_clIS9_SA_SB_SB_EEDaSZ_S10_SG_SL_EUlSZ_E_NS1_11comp_targetILNS1_3genE9ELNS1_11target_archE1100ELNS1_3gpuE3ELNS1_3repE0EEENS1_47radix_sort_onesweep_sort_config_static_selectorELNS0_4arch9wavefront6targetE0EEEvSG_.private_seg_size, 0
	.set _ZN7rocprim17ROCPRIM_400000_NS6detail17trampoline_kernelINS0_14default_configENS1_35radix_sort_onesweep_config_selectorIjNS0_10empty_typeEEEZZNS1_29radix_sort_onesweep_iterationIS3_Lb1EPKjPjPS5_SB_mNS0_19identity_decomposerENS1_16block_id_wrapperIjLb0EEEEE10hipError_tT1_PNSt15iterator_traitsISG_E10value_typeET2_T3_PNSH_ISM_E10value_typeET4_T5_PSR_SS_PNS1_23onesweep_lookback_stateEbbT6_jjT7_P12ihipStream_tbENKUlT_T0_SG_SL_E_clIS9_SA_SB_SB_EEDaSZ_S10_SG_SL_EUlSZ_E_NS1_11comp_targetILNS1_3genE9ELNS1_11target_archE1100ELNS1_3gpuE3ELNS1_3repE0EEENS1_47radix_sort_onesweep_sort_config_static_selectorELNS0_4arch9wavefront6targetE0EEEvSG_.uses_vcc, 0
	.set _ZN7rocprim17ROCPRIM_400000_NS6detail17trampoline_kernelINS0_14default_configENS1_35radix_sort_onesweep_config_selectorIjNS0_10empty_typeEEEZZNS1_29radix_sort_onesweep_iterationIS3_Lb1EPKjPjPS5_SB_mNS0_19identity_decomposerENS1_16block_id_wrapperIjLb0EEEEE10hipError_tT1_PNSt15iterator_traitsISG_E10value_typeET2_T3_PNSH_ISM_E10value_typeET4_T5_PSR_SS_PNS1_23onesweep_lookback_stateEbbT6_jjT7_P12ihipStream_tbENKUlT_T0_SG_SL_E_clIS9_SA_SB_SB_EEDaSZ_S10_SG_SL_EUlSZ_E_NS1_11comp_targetILNS1_3genE9ELNS1_11target_archE1100ELNS1_3gpuE3ELNS1_3repE0EEENS1_47radix_sort_onesweep_sort_config_static_selectorELNS0_4arch9wavefront6targetE0EEEvSG_.uses_flat_scratch, 0
	.set _ZN7rocprim17ROCPRIM_400000_NS6detail17trampoline_kernelINS0_14default_configENS1_35radix_sort_onesweep_config_selectorIjNS0_10empty_typeEEEZZNS1_29radix_sort_onesweep_iterationIS3_Lb1EPKjPjPS5_SB_mNS0_19identity_decomposerENS1_16block_id_wrapperIjLb0EEEEE10hipError_tT1_PNSt15iterator_traitsISG_E10value_typeET2_T3_PNSH_ISM_E10value_typeET4_T5_PSR_SS_PNS1_23onesweep_lookback_stateEbbT6_jjT7_P12ihipStream_tbENKUlT_T0_SG_SL_E_clIS9_SA_SB_SB_EEDaSZ_S10_SG_SL_EUlSZ_E_NS1_11comp_targetILNS1_3genE9ELNS1_11target_archE1100ELNS1_3gpuE3ELNS1_3repE0EEENS1_47radix_sort_onesweep_sort_config_static_selectorELNS0_4arch9wavefront6targetE0EEEvSG_.has_dyn_sized_stack, 0
	.set _ZN7rocprim17ROCPRIM_400000_NS6detail17trampoline_kernelINS0_14default_configENS1_35radix_sort_onesweep_config_selectorIjNS0_10empty_typeEEEZZNS1_29radix_sort_onesweep_iterationIS3_Lb1EPKjPjPS5_SB_mNS0_19identity_decomposerENS1_16block_id_wrapperIjLb0EEEEE10hipError_tT1_PNSt15iterator_traitsISG_E10value_typeET2_T3_PNSH_ISM_E10value_typeET4_T5_PSR_SS_PNS1_23onesweep_lookback_stateEbbT6_jjT7_P12ihipStream_tbENKUlT_T0_SG_SL_E_clIS9_SA_SB_SB_EEDaSZ_S10_SG_SL_EUlSZ_E_NS1_11comp_targetILNS1_3genE9ELNS1_11target_archE1100ELNS1_3gpuE3ELNS1_3repE0EEENS1_47radix_sort_onesweep_sort_config_static_selectorELNS0_4arch9wavefront6targetE0EEEvSG_.has_recursion, 0
	.set _ZN7rocprim17ROCPRIM_400000_NS6detail17trampoline_kernelINS0_14default_configENS1_35radix_sort_onesweep_config_selectorIjNS0_10empty_typeEEEZZNS1_29radix_sort_onesweep_iterationIS3_Lb1EPKjPjPS5_SB_mNS0_19identity_decomposerENS1_16block_id_wrapperIjLb0EEEEE10hipError_tT1_PNSt15iterator_traitsISG_E10value_typeET2_T3_PNSH_ISM_E10value_typeET4_T5_PSR_SS_PNS1_23onesweep_lookback_stateEbbT6_jjT7_P12ihipStream_tbENKUlT_T0_SG_SL_E_clIS9_SA_SB_SB_EEDaSZ_S10_SG_SL_EUlSZ_E_NS1_11comp_targetILNS1_3genE9ELNS1_11target_archE1100ELNS1_3gpuE3ELNS1_3repE0EEENS1_47radix_sort_onesweep_sort_config_static_selectorELNS0_4arch9wavefront6targetE0EEEvSG_.has_indirect_call, 0
	.section	.AMDGPU.csdata,"",@progbits
; Kernel info:
; codeLenInByte = 0
; TotalNumSgprs: 0
; NumVgprs: 0
; ScratchSize: 0
; MemoryBound: 0
; FloatMode: 240
; IeeeMode: 1
; LDSByteSize: 0 bytes/workgroup (compile time only)
; SGPRBlocks: 0
; VGPRBlocks: 0
; NumSGPRsForWavesPerEU: 1
; NumVGPRsForWavesPerEU: 1
; NamedBarCnt: 0
; Occupancy: 16
; WaveLimiterHint : 0
; COMPUTE_PGM_RSRC2:SCRATCH_EN: 0
; COMPUTE_PGM_RSRC2:USER_SGPR: 2
; COMPUTE_PGM_RSRC2:TRAP_HANDLER: 0
; COMPUTE_PGM_RSRC2:TGID_X_EN: 1
; COMPUTE_PGM_RSRC2:TGID_Y_EN: 0
; COMPUTE_PGM_RSRC2:TGID_Z_EN: 0
; COMPUTE_PGM_RSRC2:TIDIG_COMP_CNT: 0
	.section	.text._ZN7rocprim17ROCPRIM_400000_NS6detail17trampoline_kernelINS0_14default_configENS1_35radix_sort_onesweep_config_selectorIjNS0_10empty_typeEEEZZNS1_29radix_sort_onesweep_iterationIS3_Lb1EPKjPjPS5_SB_mNS0_19identity_decomposerENS1_16block_id_wrapperIjLb0EEEEE10hipError_tT1_PNSt15iterator_traitsISG_E10value_typeET2_T3_PNSH_ISM_E10value_typeET4_T5_PSR_SS_PNS1_23onesweep_lookback_stateEbbT6_jjT7_P12ihipStream_tbENKUlT_T0_SG_SL_E_clIS9_SA_SB_SB_EEDaSZ_S10_SG_SL_EUlSZ_E_NS1_11comp_targetILNS1_3genE8ELNS1_11target_archE1030ELNS1_3gpuE2ELNS1_3repE0EEENS1_47radix_sort_onesweep_sort_config_static_selectorELNS0_4arch9wavefront6targetE0EEEvSG_,"axG",@progbits,_ZN7rocprim17ROCPRIM_400000_NS6detail17trampoline_kernelINS0_14default_configENS1_35radix_sort_onesweep_config_selectorIjNS0_10empty_typeEEEZZNS1_29radix_sort_onesweep_iterationIS3_Lb1EPKjPjPS5_SB_mNS0_19identity_decomposerENS1_16block_id_wrapperIjLb0EEEEE10hipError_tT1_PNSt15iterator_traitsISG_E10value_typeET2_T3_PNSH_ISM_E10value_typeET4_T5_PSR_SS_PNS1_23onesweep_lookback_stateEbbT6_jjT7_P12ihipStream_tbENKUlT_T0_SG_SL_E_clIS9_SA_SB_SB_EEDaSZ_S10_SG_SL_EUlSZ_E_NS1_11comp_targetILNS1_3genE8ELNS1_11target_archE1030ELNS1_3gpuE2ELNS1_3repE0EEENS1_47radix_sort_onesweep_sort_config_static_selectorELNS0_4arch9wavefront6targetE0EEEvSG_,comdat
	.protected	_ZN7rocprim17ROCPRIM_400000_NS6detail17trampoline_kernelINS0_14default_configENS1_35radix_sort_onesweep_config_selectorIjNS0_10empty_typeEEEZZNS1_29radix_sort_onesweep_iterationIS3_Lb1EPKjPjPS5_SB_mNS0_19identity_decomposerENS1_16block_id_wrapperIjLb0EEEEE10hipError_tT1_PNSt15iterator_traitsISG_E10value_typeET2_T3_PNSH_ISM_E10value_typeET4_T5_PSR_SS_PNS1_23onesweep_lookback_stateEbbT6_jjT7_P12ihipStream_tbENKUlT_T0_SG_SL_E_clIS9_SA_SB_SB_EEDaSZ_S10_SG_SL_EUlSZ_E_NS1_11comp_targetILNS1_3genE8ELNS1_11target_archE1030ELNS1_3gpuE2ELNS1_3repE0EEENS1_47radix_sort_onesweep_sort_config_static_selectorELNS0_4arch9wavefront6targetE0EEEvSG_ ; -- Begin function _ZN7rocprim17ROCPRIM_400000_NS6detail17trampoline_kernelINS0_14default_configENS1_35radix_sort_onesweep_config_selectorIjNS0_10empty_typeEEEZZNS1_29radix_sort_onesweep_iterationIS3_Lb1EPKjPjPS5_SB_mNS0_19identity_decomposerENS1_16block_id_wrapperIjLb0EEEEE10hipError_tT1_PNSt15iterator_traitsISG_E10value_typeET2_T3_PNSH_ISM_E10value_typeET4_T5_PSR_SS_PNS1_23onesweep_lookback_stateEbbT6_jjT7_P12ihipStream_tbENKUlT_T0_SG_SL_E_clIS9_SA_SB_SB_EEDaSZ_S10_SG_SL_EUlSZ_E_NS1_11comp_targetILNS1_3genE8ELNS1_11target_archE1030ELNS1_3gpuE2ELNS1_3repE0EEENS1_47radix_sort_onesweep_sort_config_static_selectorELNS0_4arch9wavefront6targetE0EEEvSG_
	.globl	_ZN7rocprim17ROCPRIM_400000_NS6detail17trampoline_kernelINS0_14default_configENS1_35radix_sort_onesweep_config_selectorIjNS0_10empty_typeEEEZZNS1_29radix_sort_onesweep_iterationIS3_Lb1EPKjPjPS5_SB_mNS0_19identity_decomposerENS1_16block_id_wrapperIjLb0EEEEE10hipError_tT1_PNSt15iterator_traitsISG_E10value_typeET2_T3_PNSH_ISM_E10value_typeET4_T5_PSR_SS_PNS1_23onesweep_lookback_stateEbbT6_jjT7_P12ihipStream_tbENKUlT_T0_SG_SL_E_clIS9_SA_SB_SB_EEDaSZ_S10_SG_SL_EUlSZ_E_NS1_11comp_targetILNS1_3genE8ELNS1_11target_archE1030ELNS1_3gpuE2ELNS1_3repE0EEENS1_47radix_sort_onesweep_sort_config_static_selectorELNS0_4arch9wavefront6targetE0EEEvSG_
	.p2align	8
	.type	_ZN7rocprim17ROCPRIM_400000_NS6detail17trampoline_kernelINS0_14default_configENS1_35radix_sort_onesweep_config_selectorIjNS0_10empty_typeEEEZZNS1_29radix_sort_onesweep_iterationIS3_Lb1EPKjPjPS5_SB_mNS0_19identity_decomposerENS1_16block_id_wrapperIjLb0EEEEE10hipError_tT1_PNSt15iterator_traitsISG_E10value_typeET2_T3_PNSH_ISM_E10value_typeET4_T5_PSR_SS_PNS1_23onesweep_lookback_stateEbbT6_jjT7_P12ihipStream_tbENKUlT_T0_SG_SL_E_clIS9_SA_SB_SB_EEDaSZ_S10_SG_SL_EUlSZ_E_NS1_11comp_targetILNS1_3genE8ELNS1_11target_archE1030ELNS1_3gpuE2ELNS1_3repE0EEENS1_47radix_sort_onesweep_sort_config_static_selectorELNS0_4arch9wavefront6targetE0EEEvSG_,@function
_ZN7rocprim17ROCPRIM_400000_NS6detail17trampoline_kernelINS0_14default_configENS1_35radix_sort_onesweep_config_selectorIjNS0_10empty_typeEEEZZNS1_29radix_sort_onesweep_iterationIS3_Lb1EPKjPjPS5_SB_mNS0_19identity_decomposerENS1_16block_id_wrapperIjLb0EEEEE10hipError_tT1_PNSt15iterator_traitsISG_E10value_typeET2_T3_PNSH_ISM_E10value_typeET4_T5_PSR_SS_PNS1_23onesweep_lookback_stateEbbT6_jjT7_P12ihipStream_tbENKUlT_T0_SG_SL_E_clIS9_SA_SB_SB_EEDaSZ_S10_SG_SL_EUlSZ_E_NS1_11comp_targetILNS1_3genE8ELNS1_11target_archE1030ELNS1_3gpuE2ELNS1_3repE0EEENS1_47radix_sort_onesweep_sort_config_static_selectorELNS0_4arch9wavefront6targetE0EEEvSG_: ; @_ZN7rocprim17ROCPRIM_400000_NS6detail17trampoline_kernelINS0_14default_configENS1_35radix_sort_onesweep_config_selectorIjNS0_10empty_typeEEEZZNS1_29radix_sort_onesweep_iterationIS3_Lb1EPKjPjPS5_SB_mNS0_19identity_decomposerENS1_16block_id_wrapperIjLb0EEEEE10hipError_tT1_PNSt15iterator_traitsISG_E10value_typeET2_T3_PNSH_ISM_E10value_typeET4_T5_PSR_SS_PNS1_23onesweep_lookback_stateEbbT6_jjT7_P12ihipStream_tbENKUlT_T0_SG_SL_E_clIS9_SA_SB_SB_EEDaSZ_S10_SG_SL_EUlSZ_E_NS1_11comp_targetILNS1_3genE8ELNS1_11target_archE1030ELNS1_3gpuE2ELNS1_3repE0EEENS1_47radix_sort_onesweep_sort_config_static_selectorELNS0_4arch9wavefront6targetE0EEEvSG_
; %bb.0:
	.section	.rodata,"a",@progbits
	.p2align	6, 0x0
	.amdhsa_kernel _ZN7rocprim17ROCPRIM_400000_NS6detail17trampoline_kernelINS0_14default_configENS1_35radix_sort_onesweep_config_selectorIjNS0_10empty_typeEEEZZNS1_29radix_sort_onesweep_iterationIS3_Lb1EPKjPjPS5_SB_mNS0_19identity_decomposerENS1_16block_id_wrapperIjLb0EEEEE10hipError_tT1_PNSt15iterator_traitsISG_E10value_typeET2_T3_PNSH_ISM_E10value_typeET4_T5_PSR_SS_PNS1_23onesweep_lookback_stateEbbT6_jjT7_P12ihipStream_tbENKUlT_T0_SG_SL_E_clIS9_SA_SB_SB_EEDaSZ_S10_SG_SL_EUlSZ_E_NS1_11comp_targetILNS1_3genE8ELNS1_11target_archE1030ELNS1_3gpuE2ELNS1_3repE0EEENS1_47radix_sort_onesweep_sort_config_static_selectorELNS0_4arch9wavefront6targetE0EEEvSG_
		.amdhsa_group_segment_fixed_size 0
		.amdhsa_private_segment_fixed_size 0
		.amdhsa_kernarg_size 88
		.amdhsa_user_sgpr_count 2
		.amdhsa_user_sgpr_dispatch_ptr 0
		.amdhsa_user_sgpr_queue_ptr 0
		.amdhsa_user_sgpr_kernarg_segment_ptr 1
		.amdhsa_user_sgpr_dispatch_id 0
		.amdhsa_user_sgpr_kernarg_preload_length 0
		.amdhsa_user_sgpr_kernarg_preload_offset 0
		.amdhsa_user_sgpr_private_segment_size 0
		.amdhsa_wavefront_size32 1
		.amdhsa_uses_dynamic_stack 0
		.amdhsa_enable_private_segment 0
		.amdhsa_system_sgpr_workgroup_id_x 1
		.amdhsa_system_sgpr_workgroup_id_y 0
		.amdhsa_system_sgpr_workgroup_id_z 0
		.amdhsa_system_sgpr_workgroup_info 0
		.amdhsa_system_vgpr_workitem_id 0
		.amdhsa_next_free_vgpr 1
		.amdhsa_next_free_sgpr 1
		.amdhsa_named_barrier_count 0
		.amdhsa_reserve_vcc 0
		.amdhsa_float_round_mode_32 0
		.amdhsa_float_round_mode_16_64 0
		.amdhsa_float_denorm_mode_32 3
		.amdhsa_float_denorm_mode_16_64 3
		.amdhsa_fp16_overflow 0
		.amdhsa_memory_ordered 1
		.amdhsa_forward_progress 1
		.amdhsa_inst_pref_size 0
		.amdhsa_round_robin_scheduling 0
		.amdhsa_exception_fp_ieee_invalid_op 0
		.amdhsa_exception_fp_denorm_src 0
		.amdhsa_exception_fp_ieee_div_zero 0
		.amdhsa_exception_fp_ieee_overflow 0
		.amdhsa_exception_fp_ieee_underflow 0
		.amdhsa_exception_fp_ieee_inexact 0
		.amdhsa_exception_int_div_zero 0
	.end_amdhsa_kernel
	.section	.text._ZN7rocprim17ROCPRIM_400000_NS6detail17trampoline_kernelINS0_14default_configENS1_35radix_sort_onesweep_config_selectorIjNS0_10empty_typeEEEZZNS1_29radix_sort_onesweep_iterationIS3_Lb1EPKjPjPS5_SB_mNS0_19identity_decomposerENS1_16block_id_wrapperIjLb0EEEEE10hipError_tT1_PNSt15iterator_traitsISG_E10value_typeET2_T3_PNSH_ISM_E10value_typeET4_T5_PSR_SS_PNS1_23onesweep_lookback_stateEbbT6_jjT7_P12ihipStream_tbENKUlT_T0_SG_SL_E_clIS9_SA_SB_SB_EEDaSZ_S10_SG_SL_EUlSZ_E_NS1_11comp_targetILNS1_3genE8ELNS1_11target_archE1030ELNS1_3gpuE2ELNS1_3repE0EEENS1_47radix_sort_onesweep_sort_config_static_selectorELNS0_4arch9wavefront6targetE0EEEvSG_,"axG",@progbits,_ZN7rocprim17ROCPRIM_400000_NS6detail17trampoline_kernelINS0_14default_configENS1_35radix_sort_onesweep_config_selectorIjNS0_10empty_typeEEEZZNS1_29radix_sort_onesweep_iterationIS3_Lb1EPKjPjPS5_SB_mNS0_19identity_decomposerENS1_16block_id_wrapperIjLb0EEEEE10hipError_tT1_PNSt15iterator_traitsISG_E10value_typeET2_T3_PNSH_ISM_E10value_typeET4_T5_PSR_SS_PNS1_23onesweep_lookback_stateEbbT6_jjT7_P12ihipStream_tbENKUlT_T0_SG_SL_E_clIS9_SA_SB_SB_EEDaSZ_S10_SG_SL_EUlSZ_E_NS1_11comp_targetILNS1_3genE8ELNS1_11target_archE1030ELNS1_3gpuE2ELNS1_3repE0EEENS1_47radix_sort_onesweep_sort_config_static_selectorELNS0_4arch9wavefront6targetE0EEEvSG_,comdat
.Lfunc_end2659:
	.size	_ZN7rocprim17ROCPRIM_400000_NS6detail17trampoline_kernelINS0_14default_configENS1_35radix_sort_onesweep_config_selectorIjNS0_10empty_typeEEEZZNS1_29radix_sort_onesweep_iterationIS3_Lb1EPKjPjPS5_SB_mNS0_19identity_decomposerENS1_16block_id_wrapperIjLb0EEEEE10hipError_tT1_PNSt15iterator_traitsISG_E10value_typeET2_T3_PNSH_ISM_E10value_typeET4_T5_PSR_SS_PNS1_23onesweep_lookback_stateEbbT6_jjT7_P12ihipStream_tbENKUlT_T0_SG_SL_E_clIS9_SA_SB_SB_EEDaSZ_S10_SG_SL_EUlSZ_E_NS1_11comp_targetILNS1_3genE8ELNS1_11target_archE1030ELNS1_3gpuE2ELNS1_3repE0EEENS1_47radix_sort_onesweep_sort_config_static_selectorELNS0_4arch9wavefront6targetE0EEEvSG_, .Lfunc_end2659-_ZN7rocprim17ROCPRIM_400000_NS6detail17trampoline_kernelINS0_14default_configENS1_35radix_sort_onesweep_config_selectorIjNS0_10empty_typeEEEZZNS1_29radix_sort_onesweep_iterationIS3_Lb1EPKjPjPS5_SB_mNS0_19identity_decomposerENS1_16block_id_wrapperIjLb0EEEEE10hipError_tT1_PNSt15iterator_traitsISG_E10value_typeET2_T3_PNSH_ISM_E10value_typeET4_T5_PSR_SS_PNS1_23onesweep_lookback_stateEbbT6_jjT7_P12ihipStream_tbENKUlT_T0_SG_SL_E_clIS9_SA_SB_SB_EEDaSZ_S10_SG_SL_EUlSZ_E_NS1_11comp_targetILNS1_3genE8ELNS1_11target_archE1030ELNS1_3gpuE2ELNS1_3repE0EEENS1_47radix_sort_onesweep_sort_config_static_selectorELNS0_4arch9wavefront6targetE0EEEvSG_
                                        ; -- End function
	.set _ZN7rocprim17ROCPRIM_400000_NS6detail17trampoline_kernelINS0_14default_configENS1_35radix_sort_onesweep_config_selectorIjNS0_10empty_typeEEEZZNS1_29radix_sort_onesweep_iterationIS3_Lb1EPKjPjPS5_SB_mNS0_19identity_decomposerENS1_16block_id_wrapperIjLb0EEEEE10hipError_tT1_PNSt15iterator_traitsISG_E10value_typeET2_T3_PNSH_ISM_E10value_typeET4_T5_PSR_SS_PNS1_23onesweep_lookback_stateEbbT6_jjT7_P12ihipStream_tbENKUlT_T0_SG_SL_E_clIS9_SA_SB_SB_EEDaSZ_S10_SG_SL_EUlSZ_E_NS1_11comp_targetILNS1_3genE8ELNS1_11target_archE1030ELNS1_3gpuE2ELNS1_3repE0EEENS1_47radix_sort_onesweep_sort_config_static_selectorELNS0_4arch9wavefront6targetE0EEEvSG_.num_vgpr, 0
	.set _ZN7rocprim17ROCPRIM_400000_NS6detail17trampoline_kernelINS0_14default_configENS1_35radix_sort_onesweep_config_selectorIjNS0_10empty_typeEEEZZNS1_29radix_sort_onesweep_iterationIS3_Lb1EPKjPjPS5_SB_mNS0_19identity_decomposerENS1_16block_id_wrapperIjLb0EEEEE10hipError_tT1_PNSt15iterator_traitsISG_E10value_typeET2_T3_PNSH_ISM_E10value_typeET4_T5_PSR_SS_PNS1_23onesweep_lookback_stateEbbT6_jjT7_P12ihipStream_tbENKUlT_T0_SG_SL_E_clIS9_SA_SB_SB_EEDaSZ_S10_SG_SL_EUlSZ_E_NS1_11comp_targetILNS1_3genE8ELNS1_11target_archE1030ELNS1_3gpuE2ELNS1_3repE0EEENS1_47radix_sort_onesweep_sort_config_static_selectorELNS0_4arch9wavefront6targetE0EEEvSG_.num_agpr, 0
	.set _ZN7rocprim17ROCPRIM_400000_NS6detail17trampoline_kernelINS0_14default_configENS1_35radix_sort_onesweep_config_selectorIjNS0_10empty_typeEEEZZNS1_29radix_sort_onesweep_iterationIS3_Lb1EPKjPjPS5_SB_mNS0_19identity_decomposerENS1_16block_id_wrapperIjLb0EEEEE10hipError_tT1_PNSt15iterator_traitsISG_E10value_typeET2_T3_PNSH_ISM_E10value_typeET4_T5_PSR_SS_PNS1_23onesweep_lookback_stateEbbT6_jjT7_P12ihipStream_tbENKUlT_T0_SG_SL_E_clIS9_SA_SB_SB_EEDaSZ_S10_SG_SL_EUlSZ_E_NS1_11comp_targetILNS1_3genE8ELNS1_11target_archE1030ELNS1_3gpuE2ELNS1_3repE0EEENS1_47radix_sort_onesweep_sort_config_static_selectorELNS0_4arch9wavefront6targetE0EEEvSG_.numbered_sgpr, 0
	.set _ZN7rocprim17ROCPRIM_400000_NS6detail17trampoline_kernelINS0_14default_configENS1_35radix_sort_onesweep_config_selectorIjNS0_10empty_typeEEEZZNS1_29radix_sort_onesweep_iterationIS3_Lb1EPKjPjPS5_SB_mNS0_19identity_decomposerENS1_16block_id_wrapperIjLb0EEEEE10hipError_tT1_PNSt15iterator_traitsISG_E10value_typeET2_T3_PNSH_ISM_E10value_typeET4_T5_PSR_SS_PNS1_23onesweep_lookback_stateEbbT6_jjT7_P12ihipStream_tbENKUlT_T0_SG_SL_E_clIS9_SA_SB_SB_EEDaSZ_S10_SG_SL_EUlSZ_E_NS1_11comp_targetILNS1_3genE8ELNS1_11target_archE1030ELNS1_3gpuE2ELNS1_3repE0EEENS1_47radix_sort_onesweep_sort_config_static_selectorELNS0_4arch9wavefront6targetE0EEEvSG_.num_named_barrier, 0
	.set _ZN7rocprim17ROCPRIM_400000_NS6detail17trampoline_kernelINS0_14default_configENS1_35radix_sort_onesweep_config_selectorIjNS0_10empty_typeEEEZZNS1_29radix_sort_onesweep_iterationIS3_Lb1EPKjPjPS5_SB_mNS0_19identity_decomposerENS1_16block_id_wrapperIjLb0EEEEE10hipError_tT1_PNSt15iterator_traitsISG_E10value_typeET2_T3_PNSH_ISM_E10value_typeET4_T5_PSR_SS_PNS1_23onesweep_lookback_stateEbbT6_jjT7_P12ihipStream_tbENKUlT_T0_SG_SL_E_clIS9_SA_SB_SB_EEDaSZ_S10_SG_SL_EUlSZ_E_NS1_11comp_targetILNS1_3genE8ELNS1_11target_archE1030ELNS1_3gpuE2ELNS1_3repE0EEENS1_47radix_sort_onesweep_sort_config_static_selectorELNS0_4arch9wavefront6targetE0EEEvSG_.private_seg_size, 0
	.set _ZN7rocprim17ROCPRIM_400000_NS6detail17trampoline_kernelINS0_14default_configENS1_35radix_sort_onesweep_config_selectorIjNS0_10empty_typeEEEZZNS1_29radix_sort_onesweep_iterationIS3_Lb1EPKjPjPS5_SB_mNS0_19identity_decomposerENS1_16block_id_wrapperIjLb0EEEEE10hipError_tT1_PNSt15iterator_traitsISG_E10value_typeET2_T3_PNSH_ISM_E10value_typeET4_T5_PSR_SS_PNS1_23onesweep_lookback_stateEbbT6_jjT7_P12ihipStream_tbENKUlT_T0_SG_SL_E_clIS9_SA_SB_SB_EEDaSZ_S10_SG_SL_EUlSZ_E_NS1_11comp_targetILNS1_3genE8ELNS1_11target_archE1030ELNS1_3gpuE2ELNS1_3repE0EEENS1_47radix_sort_onesweep_sort_config_static_selectorELNS0_4arch9wavefront6targetE0EEEvSG_.uses_vcc, 0
	.set _ZN7rocprim17ROCPRIM_400000_NS6detail17trampoline_kernelINS0_14default_configENS1_35radix_sort_onesweep_config_selectorIjNS0_10empty_typeEEEZZNS1_29radix_sort_onesweep_iterationIS3_Lb1EPKjPjPS5_SB_mNS0_19identity_decomposerENS1_16block_id_wrapperIjLb0EEEEE10hipError_tT1_PNSt15iterator_traitsISG_E10value_typeET2_T3_PNSH_ISM_E10value_typeET4_T5_PSR_SS_PNS1_23onesweep_lookback_stateEbbT6_jjT7_P12ihipStream_tbENKUlT_T0_SG_SL_E_clIS9_SA_SB_SB_EEDaSZ_S10_SG_SL_EUlSZ_E_NS1_11comp_targetILNS1_3genE8ELNS1_11target_archE1030ELNS1_3gpuE2ELNS1_3repE0EEENS1_47radix_sort_onesweep_sort_config_static_selectorELNS0_4arch9wavefront6targetE0EEEvSG_.uses_flat_scratch, 0
	.set _ZN7rocprim17ROCPRIM_400000_NS6detail17trampoline_kernelINS0_14default_configENS1_35radix_sort_onesweep_config_selectorIjNS0_10empty_typeEEEZZNS1_29radix_sort_onesweep_iterationIS3_Lb1EPKjPjPS5_SB_mNS0_19identity_decomposerENS1_16block_id_wrapperIjLb0EEEEE10hipError_tT1_PNSt15iterator_traitsISG_E10value_typeET2_T3_PNSH_ISM_E10value_typeET4_T5_PSR_SS_PNS1_23onesweep_lookback_stateEbbT6_jjT7_P12ihipStream_tbENKUlT_T0_SG_SL_E_clIS9_SA_SB_SB_EEDaSZ_S10_SG_SL_EUlSZ_E_NS1_11comp_targetILNS1_3genE8ELNS1_11target_archE1030ELNS1_3gpuE2ELNS1_3repE0EEENS1_47radix_sort_onesweep_sort_config_static_selectorELNS0_4arch9wavefront6targetE0EEEvSG_.has_dyn_sized_stack, 0
	.set _ZN7rocprim17ROCPRIM_400000_NS6detail17trampoline_kernelINS0_14default_configENS1_35radix_sort_onesweep_config_selectorIjNS0_10empty_typeEEEZZNS1_29radix_sort_onesweep_iterationIS3_Lb1EPKjPjPS5_SB_mNS0_19identity_decomposerENS1_16block_id_wrapperIjLb0EEEEE10hipError_tT1_PNSt15iterator_traitsISG_E10value_typeET2_T3_PNSH_ISM_E10value_typeET4_T5_PSR_SS_PNS1_23onesweep_lookback_stateEbbT6_jjT7_P12ihipStream_tbENKUlT_T0_SG_SL_E_clIS9_SA_SB_SB_EEDaSZ_S10_SG_SL_EUlSZ_E_NS1_11comp_targetILNS1_3genE8ELNS1_11target_archE1030ELNS1_3gpuE2ELNS1_3repE0EEENS1_47radix_sort_onesweep_sort_config_static_selectorELNS0_4arch9wavefront6targetE0EEEvSG_.has_recursion, 0
	.set _ZN7rocprim17ROCPRIM_400000_NS6detail17trampoline_kernelINS0_14default_configENS1_35radix_sort_onesweep_config_selectorIjNS0_10empty_typeEEEZZNS1_29radix_sort_onesweep_iterationIS3_Lb1EPKjPjPS5_SB_mNS0_19identity_decomposerENS1_16block_id_wrapperIjLb0EEEEE10hipError_tT1_PNSt15iterator_traitsISG_E10value_typeET2_T3_PNSH_ISM_E10value_typeET4_T5_PSR_SS_PNS1_23onesweep_lookback_stateEbbT6_jjT7_P12ihipStream_tbENKUlT_T0_SG_SL_E_clIS9_SA_SB_SB_EEDaSZ_S10_SG_SL_EUlSZ_E_NS1_11comp_targetILNS1_3genE8ELNS1_11target_archE1030ELNS1_3gpuE2ELNS1_3repE0EEENS1_47radix_sort_onesweep_sort_config_static_selectorELNS0_4arch9wavefront6targetE0EEEvSG_.has_indirect_call, 0
	.section	.AMDGPU.csdata,"",@progbits
; Kernel info:
; codeLenInByte = 0
; TotalNumSgprs: 0
; NumVgprs: 0
; ScratchSize: 0
; MemoryBound: 0
; FloatMode: 240
; IeeeMode: 1
; LDSByteSize: 0 bytes/workgroup (compile time only)
; SGPRBlocks: 0
; VGPRBlocks: 0
; NumSGPRsForWavesPerEU: 1
; NumVGPRsForWavesPerEU: 1
; NamedBarCnt: 0
; Occupancy: 16
; WaveLimiterHint : 0
; COMPUTE_PGM_RSRC2:SCRATCH_EN: 0
; COMPUTE_PGM_RSRC2:USER_SGPR: 2
; COMPUTE_PGM_RSRC2:TRAP_HANDLER: 0
; COMPUTE_PGM_RSRC2:TGID_X_EN: 1
; COMPUTE_PGM_RSRC2:TGID_Y_EN: 0
; COMPUTE_PGM_RSRC2:TGID_Z_EN: 0
; COMPUTE_PGM_RSRC2:TIDIG_COMP_CNT: 0
	.section	.text._ZN7rocprim17ROCPRIM_400000_NS6detail17trampoline_kernelINS0_14default_configENS1_35radix_sort_onesweep_config_selectorIjNS0_10empty_typeEEEZZNS1_29radix_sort_onesweep_iterationIS3_Lb1EPKjPjPS5_SB_mNS0_19identity_decomposerENS1_16block_id_wrapperIjLb0EEEEE10hipError_tT1_PNSt15iterator_traitsISG_E10value_typeET2_T3_PNSH_ISM_E10value_typeET4_T5_PSR_SS_PNS1_23onesweep_lookback_stateEbbT6_jjT7_P12ihipStream_tbENKUlT_T0_SG_SL_E_clISA_SA_SB_SB_EEDaSZ_S10_SG_SL_EUlSZ_E_NS1_11comp_targetILNS1_3genE0ELNS1_11target_archE4294967295ELNS1_3gpuE0ELNS1_3repE0EEENS1_47radix_sort_onesweep_sort_config_static_selectorELNS0_4arch9wavefront6targetE0EEEvSG_,"axG",@progbits,_ZN7rocprim17ROCPRIM_400000_NS6detail17trampoline_kernelINS0_14default_configENS1_35radix_sort_onesweep_config_selectorIjNS0_10empty_typeEEEZZNS1_29radix_sort_onesweep_iterationIS3_Lb1EPKjPjPS5_SB_mNS0_19identity_decomposerENS1_16block_id_wrapperIjLb0EEEEE10hipError_tT1_PNSt15iterator_traitsISG_E10value_typeET2_T3_PNSH_ISM_E10value_typeET4_T5_PSR_SS_PNS1_23onesweep_lookback_stateEbbT6_jjT7_P12ihipStream_tbENKUlT_T0_SG_SL_E_clISA_SA_SB_SB_EEDaSZ_S10_SG_SL_EUlSZ_E_NS1_11comp_targetILNS1_3genE0ELNS1_11target_archE4294967295ELNS1_3gpuE0ELNS1_3repE0EEENS1_47radix_sort_onesweep_sort_config_static_selectorELNS0_4arch9wavefront6targetE0EEEvSG_,comdat
	.protected	_ZN7rocprim17ROCPRIM_400000_NS6detail17trampoline_kernelINS0_14default_configENS1_35radix_sort_onesweep_config_selectorIjNS0_10empty_typeEEEZZNS1_29radix_sort_onesweep_iterationIS3_Lb1EPKjPjPS5_SB_mNS0_19identity_decomposerENS1_16block_id_wrapperIjLb0EEEEE10hipError_tT1_PNSt15iterator_traitsISG_E10value_typeET2_T3_PNSH_ISM_E10value_typeET4_T5_PSR_SS_PNS1_23onesweep_lookback_stateEbbT6_jjT7_P12ihipStream_tbENKUlT_T0_SG_SL_E_clISA_SA_SB_SB_EEDaSZ_S10_SG_SL_EUlSZ_E_NS1_11comp_targetILNS1_3genE0ELNS1_11target_archE4294967295ELNS1_3gpuE0ELNS1_3repE0EEENS1_47radix_sort_onesweep_sort_config_static_selectorELNS0_4arch9wavefront6targetE0EEEvSG_ ; -- Begin function _ZN7rocprim17ROCPRIM_400000_NS6detail17trampoline_kernelINS0_14default_configENS1_35radix_sort_onesweep_config_selectorIjNS0_10empty_typeEEEZZNS1_29radix_sort_onesweep_iterationIS3_Lb1EPKjPjPS5_SB_mNS0_19identity_decomposerENS1_16block_id_wrapperIjLb0EEEEE10hipError_tT1_PNSt15iterator_traitsISG_E10value_typeET2_T3_PNSH_ISM_E10value_typeET4_T5_PSR_SS_PNS1_23onesweep_lookback_stateEbbT6_jjT7_P12ihipStream_tbENKUlT_T0_SG_SL_E_clISA_SA_SB_SB_EEDaSZ_S10_SG_SL_EUlSZ_E_NS1_11comp_targetILNS1_3genE0ELNS1_11target_archE4294967295ELNS1_3gpuE0ELNS1_3repE0EEENS1_47radix_sort_onesweep_sort_config_static_selectorELNS0_4arch9wavefront6targetE0EEEvSG_
	.globl	_ZN7rocprim17ROCPRIM_400000_NS6detail17trampoline_kernelINS0_14default_configENS1_35radix_sort_onesweep_config_selectorIjNS0_10empty_typeEEEZZNS1_29radix_sort_onesweep_iterationIS3_Lb1EPKjPjPS5_SB_mNS0_19identity_decomposerENS1_16block_id_wrapperIjLb0EEEEE10hipError_tT1_PNSt15iterator_traitsISG_E10value_typeET2_T3_PNSH_ISM_E10value_typeET4_T5_PSR_SS_PNS1_23onesweep_lookback_stateEbbT6_jjT7_P12ihipStream_tbENKUlT_T0_SG_SL_E_clISA_SA_SB_SB_EEDaSZ_S10_SG_SL_EUlSZ_E_NS1_11comp_targetILNS1_3genE0ELNS1_11target_archE4294967295ELNS1_3gpuE0ELNS1_3repE0EEENS1_47radix_sort_onesweep_sort_config_static_selectorELNS0_4arch9wavefront6targetE0EEEvSG_
	.p2align	8
	.type	_ZN7rocprim17ROCPRIM_400000_NS6detail17trampoline_kernelINS0_14default_configENS1_35radix_sort_onesweep_config_selectorIjNS0_10empty_typeEEEZZNS1_29radix_sort_onesweep_iterationIS3_Lb1EPKjPjPS5_SB_mNS0_19identity_decomposerENS1_16block_id_wrapperIjLb0EEEEE10hipError_tT1_PNSt15iterator_traitsISG_E10value_typeET2_T3_PNSH_ISM_E10value_typeET4_T5_PSR_SS_PNS1_23onesweep_lookback_stateEbbT6_jjT7_P12ihipStream_tbENKUlT_T0_SG_SL_E_clISA_SA_SB_SB_EEDaSZ_S10_SG_SL_EUlSZ_E_NS1_11comp_targetILNS1_3genE0ELNS1_11target_archE4294967295ELNS1_3gpuE0ELNS1_3repE0EEENS1_47radix_sort_onesweep_sort_config_static_selectorELNS0_4arch9wavefront6targetE0EEEvSG_,@function
_ZN7rocprim17ROCPRIM_400000_NS6detail17trampoline_kernelINS0_14default_configENS1_35radix_sort_onesweep_config_selectorIjNS0_10empty_typeEEEZZNS1_29radix_sort_onesweep_iterationIS3_Lb1EPKjPjPS5_SB_mNS0_19identity_decomposerENS1_16block_id_wrapperIjLb0EEEEE10hipError_tT1_PNSt15iterator_traitsISG_E10value_typeET2_T3_PNSH_ISM_E10value_typeET4_T5_PSR_SS_PNS1_23onesweep_lookback_stateEbbT6_jjT7_P12ihipStream_tbENKUlT_T0_SG_SL_E_clISA_SA_SB_SB_EEDaSZ_S10_SG_SL_EUlSZ_E_NS1_11comp_targetILNS1_3genE0ELNS1_11target_archE4294967295ELNS1_3gpuE0ELNS1_3repE0EEENS1_47radix_sort_onesweep_sort_config_static_selectorELNS0_4arch9wavefront6targetE0EEEvSG_: ; @_ZN7rocprim17ROCPRIM_400000_NS6detail17trampoline_kernelINS0_14default_configENS1_35radix_sort_onesweep_config_selectorIjNS0_10empty_typeEEEZZNS1_29radix_sort_onesweep_iterationIS3_Lb1EPKjPjPS5_SB_mNS0_19identity_decomposerENS1_16block_id_wrapperIjLb0EEEEE10hipError_tT1_PNSt15iterator_traitsISG_E10value_typeET2_T3_PNSH_ISM_E10value_typeET4_T5_PSR_SS_PNS1_23onesweep_lookback_stateEbbT6_jjT7_P12ihipStream_tbENKUlT_T0_SG_SL_E_clISA_SA_SB_SB_EEDaSZ_S10_SG_SL_EUlSZ_E_NS1_11comp_targetILNS1_3genE0ELNS1_11target_archE4294967295ELNS1_3gpuE0ELNS1_3repE0EEENS1_47radix_sort_onesweep_sort_config_static_selectorELNS0_4arch9wavefront6targetE0EEEvSG_
; %bb.0:
	s_clause 0x3
	s_load_b96 s[20:22], s[0:1], 0x44
	s_load_b64 s[10:11], s[0:1], 0x38
	s_load_b128 s[16:19], s[0:1], 0x0
	s_load_b128 s[12:15], s[0:1], 0x28
	s_bfe_u32 s2, ttmp6, 0x4000c
	s_and_b32 s3, ttmp6, 15
	s_add_co_i32 s2, s2, 1
	s_getreg_b32 s4, hwreg(HW_REG_IB_STS2, 6, 4)
	s_mul_i32 s5, ttmp9, s2
	v_mbcnt_lo_u32_b32 v16, -1, 0
	s_add_co_i32 s3, s3, s5
	s_cmp_eq_u32 s4, 0
	v_and_b32_e32 v17, 0x1e0, v0
	s_cselect_b32 s9, ttmp9, s3
	s_mov_b32 s25, 0
	s_mov_b32 s2, -1
	s_mul_i32 s24, s9, 0x1800
	s_add_nc_u64 s[26:27], s[0:1], 0x58
	s_wait_kmcnt 0x0
	s_cmp_ge_u32 s9, s22
	s_cbranch_scc0 .LBB2660_90
; %bb.1:
	s_load_b32 s4, s[0:1], 0x20
	v_dual_mov_b32 v3, 0 :: v_dual_lshlrev_b32 v2, 2, v16
	s_lshl_b64 s[2:3], s[24:25], 2
	v_mul_u32_u24_e32 v1, 12, v17
	s_add_nc_u64 s[2:3], s[16:17], s[2:3]
	v_mov_b32_e32 v18, -1
	v_add_nc_u64_e32 v[6:7], s[2:3], v[2:3]
	s_mul_i32 s2, s22, 0xffffe800
	v_dual_lshlrev_b32 v2, 2, v1 :: v_dual_bitop2_b32 v4, v16, v1 bitop3:0x54
	v_mov_b32_e32 v1, -1
	s_delay_alu instid0(VALU_DEP_2)
	v_add_nc_u64_e32 v[2:3], v[6:7], v[2:3]
	s_wait_kmcnt 0x0
	s_add_co_i32 s22, s4, s2
	s_mov_b32 s2, exec_lo
	v_cmpx_gt_u32_e64 s22, v4
	s_cbranch_execz .LBB2660_3
; %bb.2:
	global_load_b32 v5, v[2:3], off
	s_wait_loadcnt 0x0
	v_not_b32_e32 v18, v5
.LBB2660_3:
	s_or_b32 exec_lo, exec_lo, s2
	v_or_b32_e32 v5, 32, v4
	s_mov_b32 s2, exec_lo
	s_delay_alu instid0(VALU_DEP_1)
	v_cmpx_gt_u32_e64 s22, v5
	s_cbranch_execz .LBB2660_5
; %bb.4:
	global_load_b32 v1, v[2:3], off offset:128
	s_wait_loadcnt 0x0
	v_not_b32_e32 v1, v1
.LBB2660_5:
	s_or_b32 exec_lo, exec_lo, s2
	v_dual_mov_b32 v19, -1 :: v_dual_bitop2_b32 v5, 64, v4 bitop3:0x54
	v_mov_b32_e32 v20, -1
	s_mov_b32 s2, exec_lo
	s_delay_alu instid0(VALU_DEP_2)
	v_cmpx_gt_u32_e64 s22, v5
	s_cbranch_execz .LBB2660_7
; %bb.6:
	global_load_b32 v5, v[2:3], off offset:256
	s_wait_loadcnt 0x0
	v_not_b32_e32 v20, v5
.LBB2660_7:
	s_or_b32 exec_lo, exec_lo, s2
	v_or_b32_e32 v5, 0x60, v4
	s_mov_b32 s2, exec_lo
	s_delay_alu instid0(VALU_DEP_1)
	v_cmpx_gt_u32_e64 s22, v5
	s_cbranch_execz .LBB2660_9
; %bb.8:
	global_load_b32 v5, v[2:3], off offset:384
	s_wait_loadcnt 0x0
	v_not_b32_e32 v19, v5
.LBB2660_9:
	s_or_b32 exec_lo, exec_lo, s2
	v_dual_mov_b32 v22, -1 :: v_dual_add_nc_u32 v5, 0x80, v4
	v_mov_b32_e32 v21, -1
	s_mov_b32 s2, exec_lo
	s_delay_alu instid0(VALU_DEP_2)
	v_cmpx_gt_u32_e64 s22, v5
	s_cbranch_execz .LBB2660_11
; %bb.10:
	global_load_b32 v5, v[2:3], off offset:512
	s_wait_loadcnt 0x0
	v_not_b32_e32 v22, v5
.LBB2660_11:
	s_or_b32 exec_lo, exec_lo, s2
	v_add_nc_u32_e32 v5, 0xa0, v4
	s_mov_b32 s2, exec_lo
	s_delay_alu instid0(VALU_DEP_1)
	v_cmpx_gt_u32_e64 s22, v5
	s_cbranch_execz .LBB2660_13
; %bb.12:
	global_load_b32 v5, v[2:3], off offset:640
	s_wait_loadcnt 0x0
	v_not_b32_e32 v21, v5
.LBB2660_13:
	s_or_b32 exec_lo, exec_lo, s2
	v_dual_mov_b32 v24, -1 :: v_dual_add_nc_u32 v5, 0xc0, v4
	v_mov_b32_e32 v23, -1
	s_mov_b32 s2, exec_lo
	s_delay_alu instid0(VALU_DEP_2)
	v_cmpx_gt_u32_e64 s22, v5
	s_cbranch_execz .LBB2660_15
; %bb.14:
	global_load_b32 v5, v[2:3], off offset:768
	s_wait_loadcnt 0x0
	v_not_b32_e32 v24, v5
.LBB2660_15:
	s_or_b32 exec_lo, exec_lo, s2
	v_add_nc_u32_e32 v5, 0xe0, v4
	s_mov_b32 s2, exec_lo
	s_delay_alu instid0(VALU_DEP_1)
	v_cmpx_gt_u32_e64 s22, v5
	s_cbranch_execz .LBB2660_17
; %bb.16:
	global_load_b32 v5, v[2:3], off offset:896
	s_wait_loadcnt 0x0
	v_not_b32_e32 v23, v5
.LBB2660_17:
	s_or_b32 exec_lo, exec_lo, s2
	v_dual_mov_b32 v26, -1 :: v_dual_add_nc_u32 v5, 0x100, v4
	v_mov_b32_e32 v25, -1
	s_mov_b32 s2, exec_lo
	s_delay_alu instid0(VALU_DEP_2)
	v_cmpx_gt_u32_e64 s22, v5
	s_cbranch_execz .LBB2660_19
; %bb.18:
	global_load_b32 v5, v[2:3], off offset:1024
	s_wait_loadcnt 0x0
	v_not_b32_e32 v26, v5
.LBB2660_19:
	s_or_b32 exec_lo, exec_lo, s2
	v_add_nc_u32_e32 v5, 0x120, v4
	s_mov_b32 s2, exec_lo
	s_delay_alu instid0(VALU_DEP_1)
	v_cmpx_gt_u32_e64 s22, v5
	s_cbranch_execz .LBB2660_21
; %bb.20:
	global_load_b32 v5, v[2:3], off offset:1152
	s_wait_loadcnt 0x0
	v_not_b32_e32 v25, v5
.LBB2660_21:
	s_or_b32 exec_lo, exec_lo, s2
	v_dual_mov_b32 v28, -1 :: v_dual_add_nc_u32 v5, 0x140, v4
	v_mov_b32_e32 v29, -1
	s_mov_b32 s2, exec_lo
	s_delay_alu instid0(VALU_DEP_2)
	v_cmpx_gt_u32_e64 s22, v5
	s_cbranch_execz .LBB2660_23
; %bb.22:
	global_load_b32 v5, v[2:3], off offset:1280
	s_wait_loadcnt 0x0
	v_not_b32_e32 v29, v5
.LBB2660_23:
	s_or_b32 exec_lo, exec_lo, s2
	v_add_nc_u32_e32 v4, 0x160, v4
	v_and_b32_e32 v27, 0x3ff, v0
	s_mov_b32 s2, exec_lo
	s_delay_alu instid0(VALU_DEP_2)
	v_cmpx_gt_u32_e64 s22, v4
	s_cbranch_execz .LBB2660_25
; %bb.24:
	global_load_b32 v2, v[2:3], off offset:1408
	s_wait_loadcnt 0x0
	v_not_b32_e32 v28, v2
.LBB2660_25:
	s_or_b32 exec_lo, exec_lo, s2
	s_clause 0x1
	s_load_b32 s23, s[0:1], 0x58
	s_load_u16 s4, s[0:1], 0x66
	v_bfe_u32 v2, v0, 10, 10
	v_bfe_u32 v3, v0, 20, 10
	v_lshrrev_b32_e32 v4, s20, v18
	s_mov_b32 s3, 0
	s_wait_kmcnt 0x0
	s_cmp_lt_u32 s9, s23
	v_mad_u32_u24 v2, v3, s4, v2
	s_cselect_b32 s2, 12, 18
	s_lshl_b32 s25, -1, s21
	s_add_nc_u64 s[2:3], s[26:27], s[2:3]
	v_bitop3_b32 v3, v4, 1, s25 bitop3:0x40
	v_bitop3_b32 v4, v4, s25, v4 bitop3:0x30
	s_load_u16 s28, s[2:3], 0x0
	s_wait_xcnt 0x0
	s_delay_alu instid0(VALU_DEP_2) | instskip(NEXT) | instid1(VALU_DEP_1)
	v_add_co_u32 v3, s2, v3, -1
	v_cndmask_b32_e64 v5, 0, 1, s2
	v_dual_lshlrev_b32 v6, 30, v4 :: v_dual_lshlrev_b32 v7, 29, v4
	v_dual_lshlrev_b32 v8, 28, v4 :: v_dual_lshlrev_b32 v9, 27, v4
	s_delay_alu instid0(VALU_DEP_3) | instskip(NEXT) | instid1(VALU_DEP_3)
	v_cmp_ne_u32_e32 vcc_lo, 0, v5
	v_not_b32_e32 v5, v6
	v_dual_lshlrev_b32 v10, 26, v4 :: v_dual_lshlrev_b32 v11, 25, v4
	v_cmp_gt_i32_e64 s2, 0, v6
	v_cmp_gt_i32_e64 s3, 0, v7
	v_not_b32_e32 v6, v7
	v_cmp_gt_i32_e64 s4, 0, v8
	v_not_b32_e32 v7, v8
	v_not_b32_e32 v8, v9
	v_dual_ashrrev_i32 v5, 31, v5 :: v_dual_lshlrev_b32 v12, 24, v4
	v_xor_b32_e32 v3, vcc_lo, v3
	v_cmp_gt_i32_e64 s5, 0, v9
	v_not_b32_e32 v9, v10
	v_dual_ashrrev_i32 v6, 31, v6 :: v_dual_ashrrev_i32 v7, 31, v7
	v_dual_ashrrev_i32 v8, 31, v8 :: v_dual_bitop2_b32 v5, s2, v5 bitop3:0x14
	v_cmp_gt_i32_e64 s6, 0, v10
	v_cmp_gt_i32_e64 s7, 0, v11
	v_not_b32_e32 v10, v11
	v_not_b32_e32 v11, v12
	v_dual_ashrrev_i32 v9, 31, v9 :: v_dual_bitop2_b32 v6, s3, v6 bitop3:0x14
	s_wait_kmcnt 0x0
	v_mad_u32 v2, v2, s28, v27
	v_xor_b32_e32 v7, s4, v7
	v_bitop3_b32 v3, v3, v5, exec_lo bitop3:0x80
	v_cmp_gt_i32_e64 s8, 0, v12
	v_dual_ashrrev_i32 v5, 31, v10 :: v_dual_ashrrev_i32 v10, 31, v11
	v_xor_b32_e32 v8, s5, v8
	v_xor_b32_e32 v9, s6, v9
	v_bitop3_b32 v3, v3, v7, v6 bitop3:0x80
	s_delay_alu instid0(VALU_DEP_4) | instskip(SKIP_2) | instid1(VALU_DEP_4)
	v_dual_mov_b32 v6, 0 :: v_dual_bitop2_b32 v5, s7, v5 bitop3:0x14
	v_lshrrev_b32_e32 v2, 5, v2
	v_xor_b32_e32 v7, s8, v10
	v_bitop3_b32 v3, v3, v9, v8 bitop3:0x80
	v_mul_u32_u24_e32 v12, 36, v27
	s_not_b32 s6, s25
	v_lshlrev_b32_e32 v2, 2, v2
	ds_store_2addr_b32 v12, v6, v6 offset0:16 offset1:17
	ds_store_2addr_b32 v12, v6, v6 offset0:18 offset1:19
	;; [unrolled: 1-line block ×4, first 2 shown]
	v_bitop3_b32 v3, v3, v7, v5 bitop3:0x80
	v_mad_u32 v13, 0x44, v4, v2
	ds_store_b32 v12, v6 offset:96
	s_wait_dscnt 0x0
	s_barrier_signal -1
	v_mbcnt_lo_u32_b32 v7, v3, 0
	v_cmp_ne_u32_e64 s2, 0, v3
	s_barrier_wait -1
	s_delay_alu instid0(VALU_DEP_2) | instskip(SKIP_1) | instid1(SALU_CYCLE_1)
	v_cmp_eq_u32_e32 vcc_lo, 0, v7
	; wave barrier
	s_and_b32 s3, s2, vcc_lo
	s_and_saveexec_b32 s2, s3
; %bb.26:
	v_bcnt_u32_b32 v3, v3, 0
	ds_store_b32 v13, v3 offset:64
; %bb.27:
	s_or_b32 exec_lo, exec_lo, s2
	v_lshrrev_b32_e32 v3, s20, v1
	; wave barrier
	s_delay_alu instid0(VALU_DEP_1) | instskip(NEXT) | instid1(VALU_DEP_1)
	v_and_b32_e32 v4, s6, v3
	v_lshlrev_b32_e32 v6, 30, v4
	v_bitop3_b32 v3, v3, 1, s6 bitop3:0x80
	s_delay_alu instid0(VALU_DEP_1) | instskip(NEXT) | instid1(VALU_DEP_1)
	v_add_co_u32 v3, s2, v3, -1
	v_cndmask_b32_e64 v5, 0, 1, s2
	s_delay_alu instid0(VALU_DEP_4) | instskip(NEXT) | instid1(VALU_DEP_2)
	v_cmp_gt_i32_e64 s2, 0, v6
	v_cmp_ne_u32_e32 vcc_lo, 0, v5
	v_not_b32_e32 v5, v6
	s_delay_alu instid0(VALU_DEP_1) | instskip(SKIP_3) | instid1(VALU_DEP_4)
	v_dual_ashrrev_i32 v5, 31, v5 :: v_dual_lshlrev_b32 v8, 29, v4
	v_dual_lshlrev_b32 v9, 28, v4 :: v_dual_lshlrev_b32 v10, 27, v4
	v_lshlrev_b32_e32 v11, 26, v4
	v_mad_u32 v14, 0x44, v4, v2
	v_cmp_gt_i32_e64 s3, 0, v8
	v_not_b32_e32 v6, v8
	v_not_b32_e32 v8, v9
	v_cmp_gt_i32_e64 s4, 0, v9
	v_xor_b32_e32 v3, vcc_lo, v3
	s_delay_alu instid0(VALU_DEP_4) | instskip(NEXT) | instid1(VALU_DEP_4)
	v_dual_ashrrev_i32 v6, 31, v6 :: v_dual_bitop2_b32 v5, s2, v5 bitop3:0x14
	v_ashrrev_i32_e32 v8, 31, v8
	v_dual_lshlrev_b32 v15, 25, v4 :: v_dual_lshlrev_b32 v4, 24, v4
	v_not_b32_e32 v9, v10
	v_not_b32_e32 v30, v11
	v_xor_b32_e32 v6, s3, v6
	v_xor_b32_e32 v8, s4, v8
	v_bitop3_b32 v3, v3, v5, exec_lo bitop3:0x80
	v_cmp_gt_i32_e32 vcc_lo, 0, v10
	v_ashrrev_i32_e32 v5, 31, v9
	v_cmp_gt_i32_e64 s2, 0, v11
	v_ashrrev_i32_e32 v9, 31, v30
	v_bitop3_b32 v3, v3, v8, v6 bitop3:0x80
	v_not_b32_e32 v6, v15
	v_not_b32_e32 v8, v4
	v_xor_b32_e32 v5, vcc_lo, v5
	v_xor_b32_e32 v9, s2, v9
	v_cmp_gt_i32_e32 vcc_lo, 0, v15
	v_ashrrev_i32_e32 v6, 31, v6
	v_cmp_gt_i32_e64 s2, 0, v4
	v_ashrrev_i32_e32 v4, 31, v8
	v_bitop3_b32 v3, v3, v9, v5 bitop3:0x80
	ds_load_b32 v30, v14 offset:64
	v_xor_b32_e32 v5, vcc_lo, v6
	v_xor_b32_e32 v4, s2, v4
	; wave barrier
	s_delay_alu instid0(VALU_DEP_1) | instskip(NEXT) | instid1(VALU_DEP_1)
	v_bitop3_b32 v3, v3, v4, v5 bitop3:0x80
	v_mbcnt_lo_u32_b32 v31, v3, 0
	v_cmp_ne_u32_e64 s2, 0, v3
	s_delay_alu instid0(VALU_DEP_2) | instskip(SKIP_1) | instid1(SALU_CYCLE_1)
	v_cmp_eq_u32_e32 vcc_lo, 0, v31
	s_and_b32 s3, s2, vcc_lo
	s_and_saveexec_b32 s2, s3
	s_cbranch_execz .LBB2660_29
; %bb.28:
	s_wait_dscnt 0x0
	v_bcnt_u32_b32 v3, v3, v30
	ds_store_b32 v14, v3 offset:64
.LBB2660_29:
	s_or_b32 exec_lo, exec_lo, s2
	v_lshrrev_b32_e32 v3, s20, v20
	; wave barrier
	s_delay_alu instid0(VALU_DEP_1) | instskip(SKIP_1) | instid1(VALU_DEP_2)
	v_and_b32_e32 v4, s6, v3
	v_bitop3_b32 v3, v3, 1, s6 bitop3:0x80
	v_dual_lshlrev_b32 v6, 30, v4 :: v_dual_lshlrev_b32 v8, 29, v4
	s_delay_alu instid0(VALU_DEP_2) | instskip(NEXT) | instid1(VALU_DEP_1)
	v_add_co_u32 v3, s2, v3, -1
	v_cndmask_b32_e64 v5, 0, 1, s2
	s_delay_alu instid0(VALU_DEP_3) | instskip(NEXT) | instid1(VALU_DEP_4)
	v_cmp_gt_i32_e64 s2, 0, v6
	v_cmp_gt_i32_e64 s3, 0, v8
	s_delay_alu instid0(VALU_DEP_3) | instskip(SKIP_2) | instid1(VALU_DEP_2)
	v_cmp_ne_u32_e32 vcc_lo, 0, v5
	v_not_b32_e32 v5, v6
	v_not_b32_e32 v6, v8
	v_dual_ashrrev_i32 v5, 31, v5 :: v_dual_bitop2_b32 v3, vcc_lo, v3 bitop3:0x14
	s_delay_alu instid0(VALU_DEP_2) | instskip(SKIP_3) | instid1(VALU_DEP_4)
	v_dual_ashrrev_i32 v6, 31, v6 :: v_dual_lshlrev_b32 v9, 28, v4
	v_lshlrev_b32_e32 v10, 27, v4
	v_mad_u32 v15, 0x44, v4, v2
	v_dual_lshlrev_b32 v11, 26, v4 :: v_dual_lshlrev_b32 v32, 25, v4
	v_not_b32_e32 v8, v9
	v_lshlrev_b32_e32 v4, 24, v4
	v_cmp_gt_i32_e64 s4, 0, v9
	v_xor_b32_e32 v5, s2, v5
	v_not_b32_e32 v9, v10
	v_ashrrev_i32_e32 v8, 31, v8
	v_not_b32_e32 v33, v11
	v_xor_b32_e32 v6, s3, v6
	v_bitop3_b32 v3, v3, v5, exec_lo bitop3:0x80
	v_cmp_gt_i32_e32 vcc_lo, 0, v10
	v_dual_ashrrev_i32 v5, 31, v9 :: v_dual_bitop2_b32 v8, s4, v8 bitop3:0x14
	v_cmp_gt_i32_e64 s2, 0, v11
	v_ashrrev_i32_e32 v9, 31, v33
	s_delay_alu instid0(VALU_DEP_3)
	v_bitop3_b32 v3, v3, v8, v6 bitop3:0x80
	v_not_b32_e32 v6, v32
	v_not_b32_e32 v8, v4
	v_xor_b32_e32 v5, vcc_lo, v5
	v_xor_b32_e32 v9, s2, v9
	v_cmp_gt_i32_e32 vcc_lo, 0, v32
	v_ashrrev_i32_e32 v6, 31, v6
	v_cmp_gt_i32_e64 s2, 0, v4
	v_ashrrev_i32_e32 v4, 31, v8
	v_bitop3_b32 v3, v3, v9, v5 bitop3:0x80
	ds_load_b32 v32, v15 offset:64
	v_xor_b32_e32 v5, vcc_lo, v6
	v_xor_b32_e32 v4, s2, v4
	; wave barrier
	s_delay_alu instid0(VALU_DEP_1) | instskip(NEXT) | instid1(VALU_DEP_1)
	v_bitop3_b32 v3, v3, v4, v5 bitop3:0x80
	v_mbcnt_lo_u32_b32 v33, v3, 0
	v_cmp_ne_u32_e64 s2, 0, v3
	s_delay_alu instid0(VALU_DEP_2) | instskip(SKIP_1) | instid1(SALU_CYCLE_1)
	v_cmp_eq_u32_e32 vcc_lo, 0, v33
	s_and_b32 s3, s2, vcc_lo
	s_and_saveexec_b32 s2, s3
	s_cbranch_execz .LBB2660_31
; %bb.30:
	s_wait_dscnt 0x0
	v_bcnt_u32_b32 v3, v3, v32
	ds_store_b32 v15, v3 offset:64
.LBB2660_31:
	s_or_b32 exec_lo, exec_lo, s2
	v_lshrrev_b32_e32 v3, s20, v19
	; wave barrier
	s_delay_alu instid0(VALU_DEP_1) | instskip(NEXT) | instid1(VALU_DEP_1)
	v_and_b32_e32 v4, s6, v3
	v_lshlrev_b32_e32 v6, 30, v4
	v_bitop3_b32 v3, v3, 1, s6 bitop3:0x80
	s_delay_alu instid0(VALU_DEP_1) | instskip(NEXT) | instid1(VALU_DEP_1)
	v_add_co_u32 v3, s2, v3, -1
	v_cndmask_b32_e64 v5, 0, 1, s2
	s_delay_alu instid0(VALU_DEP_4) | instskip(NEXT) | instid1(VALU_DEP_2)
	v_cmp_gt_i32_e64 s2, 0, v6
	v_cmp_ne_u32_e32 vcc_lo, 0, v5
	v_not_b32_e32 v5, v6
	s_delay_alu instid0(VALU_DEP_1) | instskip(SKIP_3) | instid1(VALU_DEP_4)
	v_dual_ashrrev_i32 v5, 31, v5 :: v_dual_lshlrev_b32 v8, 29, v4
	v_dual_lshlrev_b32 v9, 28, v4 :: v_dual_lshlrev_b32 v10, 27, v4
	v_lshlrev_b32_e32 v11, 26, v4
	v_mad_u32 v38, 0x44, v4, v2
	v_cmp_gt_i32_e64 s3, 0, v8
	v_not_b32_e32 v6, v8
	v_not_b32_e32 v8, v9
	v_cmp_gt_i32_e64 s4, 0, v9
	v_xor_b32_e32 v3, vcc_lo, v3
	s_delay_alu instid0(VALU_DEP_4) | instskip(NEXT) | instid1(VALU_DEP_4)
	v_dual_ashrrev_i32 v6, 31, v6 :: v_dual_bitop2_b32 v5, s2, v5 bitop3:0x14
	v_ashrrev_i32_e32 v8, 31, v8
	v_dual_lshlrev_b32 v34, 25, v4 :: v_dual_lshlrev_b32 v4, 24, v4
	v_not_b32_e32 v9, v10
	v_not_b32_e32 v35, v11
	v_xor_b32_e32 v6, s3, v6
	v_xor_b32_e32 v8, s4, v8
	v_bitop3_b32 v3, v3, v5, exec_lo bitop3:0x80
	v_cmp_gt_i32_e32 vcc_lo, 0, v10
	v_ashrrev_i32_e32 v5, 31, v9
	v_cmp_gt_i32_e64 s2, 0, v11
	v_ashrrev_i32_e32 v9, 31, v35
	v_bitop3_b32 v3, v3, v8, v6 bitop3:0x80
	v_not_b32_e32 v6, v34
	v_not_b32_e32 v8, v4
	v_xor_b32_e32 v5, vcc_lo, v5
	v_xor_b32_e32 v9, s2, v9
	v_cmp_gt_i32_e32 vcc_lo, 0, v34
	v_ashrrev_i32_e32 v6, 31, v6
	v_cmp_gt_i32_e64 s2, 0, v4
	v_ashrrev_i32_e32 v4, 31, v8
	v_bitop3_b32 v3, v3, v9, v5 bitop3:0x80
	ds_load_b32 v34, v38 offset:64
	v_xor_b32_e32 v5, vcc_lo, v6
	v_xor_b32_e32 v4, s2, v4
	; wave barrier
	s_delay_alu instid0(VALU_DEP_1) | instskip(NEXT) | instid1(VALU_DEP_1)
	v_bitop3_b32 v3, v3, v4, v5 bitop3:0x80
	v_mbcnt_lo_u32_b32 v35, v3, 0
	v_cmp_ne_u32_e64 s2, 0, v3
	s_delay_alu instid0(VALU_DEP_2) | instskip(SKIP_1) | instid1(SALU_CYCLE_1)
	v_cmp_eq_u32_e32 vcc_lo, 0, v35
	s_and_b32 s3, s2, vcc_lo
	s_and_saveexec_b32 s2, s3
	s_cbranch_execz .LBB2660_33
; %bb.32:
	s_wait_dscnt 0x0
	v_bcnt_u32_b32 v3, v3, v34
	ds_store_b32 v38, v3 offset:64
.LBB2660_33:
	s_or_b32 exec_lo, exec_lo, s2
	v_lshrrev_b32_e32 v3, s20, v22
	; wave barrier
	s_delay_alu instid0(VALU_DEP_1) | instskip(NEXT) | instid1(VALU_DEP_1)
	v_and_b32_e32 v4, s6, v3
	v_lshlrev_b32_e32 v6, 30, v4
	v_bitop3_b32 v3, v3, 1, s6 bitop3:0x80
	s_delay_alu instid0(VALU_DEP_1) | instskip(NEXT) | instid1(VALU_DEP_1)
	v_add_co_u32 v3, s2, v3, -1
	v_cndmask_b32_e64 v5, 0, 1, s2
	s_delay_alu instid0(VALU_DEP_4) | instskip(NEXT) | instid1(VALU_DEP_2)
	v_cmp_gt_i32_e64 s2, 0, v6
	v_cmp_ne_u32_e32 vcc_lo, 0, v5
	v_not_b32_e32 v5, v6
	s_delay_alu instid0(VALU_DEP_1) | instskip(SKIP_3) | instid1(VALU_DEP_4)
	v_dual_ashrrev_i32 v5, 31, v5 :: v_dual_lshlrev_b32 v8, 29, v4
	v_dual_lshlrev_b32 v9, 28, v4 :: v_dual_lshlrev_b32 v10, 27, v4
	v_lshlrev_b32_e32 v11, 26, v4
	v_mad_u32 v41, 0x44, v4, v2
	v_cmp_gt_i32_e64 s3, 0, v8
	v_not_b32_e32 v6, v8
	v_not_b32_e32 v8, v9
	v_cmp_gt_i32_e64 s4, 0, v9
	v_xor_b32_e32 v3, vcc_lo, v3
	s_delay_alu instid0(VALU_DEP_4) | instskip(NEXT) | instid1(VALU_DEP_4)
	v_dual_ashrrev_i32 v6, 31, v6 :: v_dual_bitop2_b32 v5, s2, v5 bitop3:0x14
	v_ashrrev_i32_e32 v8, 31, v8
	v_dual_lshlrev_b32 v36, 25, v4 :: v_dual_lshlrev_b32 v4, 24, v4
	v_not_b32_e32 v9, v10
	v_not_b32_e32 v37, v11
	v_xor_b32_e32 v6, s3, v6
	v_xor_b32_e32 v8, s4, v8
	v_bitop3_b32 v3, v3, v5, exec_lo bitop3:0x80
	v_cmp_gt_i32_e32 vcc_lo, 0, v10
	v_ashrrev_i32_e32 v5, 31, v9
	v_cmp_gt_i32_e64 s2, 0, v11
	v_ashrrev_i32_e32 v9, 31, v37
	v_bitop3_b32 v3, v3, v8, v6 bitop3:0x80
	v_not_b32_e32 v6, v36
	v_not_b32_e32 v8, v4
	v_xor_b32_e32 v5, vcc_lo, v5
	v_xor_b32_e32 v9, s2, v9
	v_cmp_gt_i32_e32 vcc_lo, 0, v36
	v_ashrrev_i32_e32 v6, 31, v6
	v_cmp_gt_i32_e64 s2, 0, v4
	v_ashrrev_i32_e32 v4, 31, v8
	v_bitop3_b32 v3, v3, v9, v5 bitop3:0x80
	ds_load_b32 v36, v41 offset:64
	v_xor_b32_e32 v5, vcc_lo, v6
	v_xor_b32_e32 v4, s2, v4
	; wave barrier
	s_delay_alu instid0(VALU_DEP_1) | instskip(NEXT) | instid1(VALU_DEP_1)
	v_bitop3_b32 v3, v3, v4, v5 bitop3:0x80
	v_mbcnt_lo_u32_b32 v37, v3, 0
	v_cmp_ne_u32_e64 s2, 0, v3
	s_delay_alu instid0(VALU_DEP_2) | instskip(SKIP_1) | instid1(SALU_CYCLE_1)
	v_cmp_eq_u32_e32 vcc_lo, 0, v37
	s_and_b32 s3, s2, vcc_lo
	s_and_saveexec_b32 s2, s3
	s_cbranch_execz .LBB2660_35
; %bb.34:
	s_wait_dscnt 0x0
	v_bcnt_u32_b32 v3, v3, v36
	ds_store_b32 v41, v3 offset:64
.LBB2660_35:
	s_or_b32 exec_lo, exec_lo, s2
	v_lshrrev_b32_e32 v3, s20, v21
	; wave barrier
	s_delay_alu instid0(VALU_DEP_1) | instskip(NEXT) | instid1(VALU_DEP_1)
	v_and_b32_e32 v4, s6, v3
	v_lshlrev_b32_e32 v6, 30, v4
	v_bitop3_b32 v3, v3, 1, s6 bitop3:0x80
	s_delay_alu instid0(VALU_DEP_1) | instskip(NEXT) | instid1(VALU_DEP_1)
	v_add_co_u32 v3, s2, v3, -1
	v_cndmask_b32_e64 v5, 0, 1, s2
	s_delay_alu instid0(VALU_DEP_4) | instskip(NEXT) | instid1(VALU_DEP_2)
	v_cmp_gt_i32_e64 s2, 0, v6
	v_cmp_ne_u32_e32 vcc_lo, 0, v5
	v_not_b32_e32 v5, v6
	s_delay_alu instid0(VALU_DEP_1) | instskip(SKIP_3) | instid1(VALU_DEP_4)
	v_dual_ashrrev_i32 v5, 31, v5 :: v_dual_lshlrev_b32 v8, 29, v4
	v_dual_lshlrev_b32 v9, 28, v4 :: v_dual_lshlrev_b32 v10, 27, v4
	v_lshlrev_b32_e32 v11, 26, v4
	v_mad_u32 v44, 0x44, v4, v2
	v_cmp_gt_i32_e64 s3, 0, v8
	v_not_b32_e32 v6, v8
	v_not_b32_e32 v8, v9
	v_cmp_gt_i32_e64 s4, 0, v9
	v_xor_b32_e32 v3, vcc_lo, v3
	s_delay_alu instid0(VALU_DEP_4) | instskip(NEXT) | instid1(VALU_DEP_4)
	v_dual_ashrrev_i32 v6, 31, v6 :: v_dual_bitop2_b32 v5, s2, v5 bitop3:0x14
	v_ashrrev_i32_e32 v8, 31, v8
	v_dual_lshlrev_b32 v39, 25, v4 :: v_dual_lshlrev_b32 v4, 24, v4
	v_not_b32_e32 v9, v10
	v_not_b32_e32 v40, v11
	v_xor_b32_e32 v6, s3, v6
	v_xor_b32_e32 v8, s4, v8
	v_bitop3_b32 v3, v3, v5, exec_lo bitop3:0x80
	v_cmp_gt_i32_e32 vcc_lo, 0, v10
	v_ashrrev_i32_e32 v5, 31, v9
	v_cmp_gt_i32_e64 s2, 0, v11
	v_ashrrev_i32_e32 v9, 31, v40
	v_bitop3_b32 v3, v3, v8, v6 bitop3:0x80
	v_not_b32_e32 v6, v39
	v_not_b32_e32 v8, v4
	v_xor_b32_e32 v5, vcc_lo, v5
	v_xor_b32_e32 v9, s2, v9
	v_cmp_gt_i32_e32 vcc_lo, 0, v39
	v_ashrrev_i32_e32 v6, 31, v6
	v_cmp_gt_i32_e64 s2, 0, v4
	v_ashrrev_i32_e32 v4, 31, v8
	v_bitop3_b32 v3, v3, v9, v5 bitop3:0x80
	ds_load_b32 v39, v44 offset:64
	v_xor_b32_e32 v5, vcc_lo, v6
	v_xor_b32_e32 v4, s2, v4
	; wave barrier
	s_delay_alu instid0(VALU_DEP_1) | instskip(NEXT) | instid1(VALU_DEP_1)
	v_bitop3_b32 v3, v3, v4, v5 bitop3:0x80
	v_mbcnt_lo_u32_b32 v40, v3, 0
	v_cmp_ne_u32_e64 s2, 0, v3
	s_delay_alu instid0(VALU_DEP_2) | instskip(SKIP_1) | instid1(SALU_CYCLE_1)
	v_cmp_eq_u32_e32 vcc_lo, 0, v40
	s_and_b32 s3, s2, vcc_lo
	s_and_saveexec_b32 s2, s3
	s_cbranch_execz .LBB2660_37
; %bb.36:
	s_wait_dscnt 0x0
	v_bcnt_u32_b32 v3, v3, v39
	ds_store_b32 v44, v3 offset:64
.LBB2660_37:
	s_or_b32 exec_lo, exec_lo, s2
	v_lshrrev_b32_e32 v3, s20, v24
	; wave barrier
	s_delay_alu instid0(VALU_DEP_1) | instskip(SKIP_1) | instid1(VALU_DEP_2)
	v_and_b32_e32 v4, s6, v3
	v_bitop3_b32 v3, v3, 1, s6 bitop3:0x80
	v_dual_lshlrev_b32 v6, 30, v4 :: v_dual_lshlrev_b32 v8, 29, v4
	s_delay_alu instid0(VALU_DEP_2) | instskip(NEXT) | instid1(VALU_DEP_1)
	v_add_co_u32 v3, s2, v3, -1
	v_cndmask_b32_e64 v5, 0, 1, s2
	s_delay_alu instid0(VALU_DEP_3) | instskip(NEXT) | instid1(VALU_DEP_4)
	v_cmp_gt_i32_e64 s2, 0, v6
	v_cmp_gt_i32_e64 s3, 0, v8
	s_delay_alu instid0(VALU_DEP_3) | instskip(SKIP_2) | instid1(VALU_DEP_2)
	v_cmp_ne_u32_e32 vcc_lo, 0, v5
	v_not_b32_e32 v5, v6
	v_not_b32_e32 v6, v8
	v_dual_ashrrev_i32 v5, 31, v5 :: v_dual_bitop2_b32 v3, vcc_lo, v3 bitop3:0x14
	s_delay_alu instid0(VALU_DEP_2) | instskip(SKIP_3) | instid1(VALU_DEP_4)
	v_dual_ashrrev_i32 v6, 31, v6 :: v_dual_lshlrev_b32 v9, 28, v4
	v_lshlrev_b32_e32 v10, 27, v4
	v_mad_u32 v47, 0x44, v4, v2
	v_dual_lshlrev_b32 v11, 26, v4 :: v_dual_lshlrev_b32 v42, 25, v4
	v_not_b32_e32 v8, v9
	v_lshlrev_b32_e32 v4, 24, v4
	v_cmp_gt_i32_e64 s4, 0, v9
	v_xor_b32_e32 v5, s2, v5
	v_not_b32_e32 v9, v10
	v_ashrrev_i32_e32 v8, 31, v8
	v_not_b32_e32 v43, v11
	v_xor_b32_e32 v6, s3, v6
	v_bitop3_b32 v3, v3, v5, exec_lo bitop3:0x80
	v_cmp_gt_i32_e32 vcc_lo, 0, v10
	v_dual_ashrrev_i32 v5, 31, v9 :: v_dual_bitop2_b32 v8, s4, v8 bitop3:0x14
	v_cmp_gt_i32_e64 s2, 0, v11
	v_ashrrev_i32_e32 v9, 31, v43
	s_delay_alu instid0(VALU_DEP_3)
	v_bitop3_b32 v3, v3, v8, v6 bitop3:0x80
	v_not_b32_e32 v6, v42
	v_not_b32_e32 v8, v4
	v_xor_b32_e32 v5, vcc_lo, v5
	v_xor_b32_e32 v9, s2, v9
	v_cmp_gt_i32_e32 vcc_lo, 0, v42
	v_ashrrev_i32_e32 v6, 31, v6
	v_cmp_gt_i32_e64 s2, 0, v4
	v_ashrrev_i32_e32 v4, 31, v8
	v_bitop3_b32 v3, v3, v9, v5 bitop3:0x80
	ds_load_b32 v42, v47 offset:64
	v_xor_b32_e32 v5, vcc_lo, v6
	v_xor_b32_e32 v4, s2, v4
	; wave barrier
	s_delay_alu instid0(VALU_DEP_1) | instskip(NEXT) | instid1(VALU_DEP_1)
	v_bitop3_b32 v3, v3, v4, v5 bitop3:0x80
	v_mbcnt_lo_u32_b32 v43, v3, 0
	v_cmp_ne_u32_e64 s2, 0, v3
	s_delay_alu instid0(VALU_DEP_2) | instskip(SKIP_1) | instid1(SALU_CYCLE_1)
	v_cmp_eq_u32_e32 vcc_lo, 0, v43
	s_and_b32 s3, s2, vcc_lo
	s_and_saveexec_b32 s2, s3
	s_cbranch_execz .LBB2660_39
; %bb.38:
	s_wait_dscnt 0x0
	v_bcnt_u32_b32 v3, v3, v42
	ds_store_b32 v47, v3 offset:64
.LBB2660_39:
	s_or_b32 exec_lo, exec_lo, s2
	v_lshrrev_b32_e32 v3, s20, v23
	; wave barrier
	s_delay_alu instid0(VALU_DEP_1) | instskip(NEXT) | instid1(VALU_DEP_1)
	v_and_b32_e32 v4, s6, v3
	v_lshlrev_b32_e32 v6, 30, v4
	v_bitop3_b32 v3, v3, 1, s6 bitop3:0x80
	s_delay_alu instid0(VALU_DEP_1) | instskip(NEXT) | instid1(VALU_DEP_1)
	v_add_co_u32 v3, s2, v3, -1
	v_cndmask_b32_e64 v5, 0, 1, s2
	s_delay_alu instid0(VALU_DEP_4) | instskip(NEXT) | instid1(VALU_DEP_2)
	v_cmp_gt_i32_e64 s2, 0, v6
	v_cmp_ne_u32_e32 vcc_lo, 0, v5
	v_not_b32_e32 v5, v6
	s_delay_alu instid0(VALU_DEP_1) | instskip(SKIP_3) | instid1(VALU_DEP_4)
	v_dual_ashrrev_i32 v5, 31, v5 :: v_dual_lshlrev_b32 v8, 29, v4
	v_dual_lshlrev_b32 v9, 28, v4 :: v_dual_lshlrev_b32 v10, 27, v4
	v_lshlrev_b32_e32 v11, 26, v4
	v_mad_u32 v50, 0x44, v4, v2
	v_cmp_gt_i32_e64 s3, 0, v8
	v_not_b32_e32 v6, v8
	v_not_b32_e32 v8, v9
	v_cmp_gt_i32_e64 s4, 0, v9
	v_xor_b32_e32 v3, vcc_lo, v3
	s_delay_alu instid0(VALU_DEP_4) | instskip(NEXT) | instid1(VALU_DEP_4)
	v_dual_ashrrev_i32 v6, 31, v6 :: v_dual_bitop2_b32 v5, s2, v5 bitop3:0x14
	v_ashrrev_i32_e32 v8, 31, v8
	v_dual_lshlrev_b32 v45, 25, v4 :: v_dual_lshlrev_b32 v4, 24, v4
	v_not_b32_e32 v9, v10
	v_not_b32_e32 v46, v11
	v_xor_b32_e32 v6, s3, v6
	v_xor_b32_e32 v8, s4, v8
	v_bitop3_b32 v3, v3, v5, exec_lo bitop3:0x80
	v_cmp_gt_i32_e32 vcc_lo, 0, v10
	v_ashrrev_i32_e32 v5, 31, v9
	v_cmp_gt_i32_e64 s2, 0, v11
	v_ashrrev_i32_e32 v9, 31, v46
	v_bitop3_b32 v3, v3, v8, v6 bitop3:0x80
	v_not_b32_e32 v6, v45
	v_not_b32_e32 v8, v4
	v_xor_b32_e32 v5, vcc_lo, v5
	v_xor_b32_e32 v9, s2, v9
	v_cmp_gt_i32_e32 vcc_lo, 0, v45
	v_ashrrev_i32_e32 v6, 31, v6
	v_cmp_gt_i32_e64 s2, 0, v4
	v_ashrrev_i32_e32 v4, 31, v8
	v_bitop3_b32 v3, v3, v9, v5 bitop3:0x80
	ds_load_b32 v45, v50 offset:64
	v_xor_b32_e32 v5, vcc_lo, v6
	v_xor_b32_e32 v4, s2, v4
	; wave barrier
	s_delay_alu instid0(VALU_DEP_1) | instskip(NEXT) | instid1(VALU_DEP_1)
	v_bitop3_b32 v3, v3, v4, v5 bitop3:0x80
	v_mbcnt_lo_u32_b32 v46, v3, 0
	v_cmp_ne_u32_e64 s2, 0, v3
	s_delay_alu instid0(VALU_DEP_2) | instskip(SKIP_1) | instid1(SALU_CYCLE_1)
	v_cmp_eq_u32_e32 vcc_lo, 0, v46
	s_and_b32 s3, s2, vcc_lo
	s_and_saveexec_b32 s2, s3
	s_cbranch_execz .LBB2660_41
; %bb.40:
	s_wait_dscnt 0x0
	v_bcnt_u32_b32 v3, v3, v45
	ds_store_b32 v50, v3 offset:64
.LBB2660_41:
	s_or_b32 exec_lo, exec_lo, s2
	v_lshrrev_b32_e32 v3, s20, v26
	; wave barrier
	s_delay_alu instid0(VALU_DEP_1) | instskip(NEXT) | instid1(VALU_DEP_1)
	v_and_b32_e32 v4, s6, v3
	v_lshlrev_b32_e32 v6, 30, v4
	v_bitop3_b32 v3, v3, 1, s6 bitop3:0x80
	s_delay_alu instid0(VALU_DEP_1) | instskip(NEXT) | instid1(VALU_DEP_1)
	v_add_co_u32 v3, s2, v3, -1
	v_cndmask_b32_e64 v5, 0, 1, s2
	s_delay_alu instid0(VALU_DEP_4) | instskip(NEXT) | instid1(VALU_DEP_2)
	v_cmp_gt_i32_e64 s2, 0, v6
	v_cmp_ne_u32_e32 vcc_lo, 0, v5
	v_not_b32_e32 v5, v6
	s_delay_alu instid0(VALU_DEP_1) | instskip(SKIP_3) | instid1(VALU_DEP_4)
	v_dual_ashrrev_i32 v5, 31, v5 :: v_dual_lshlrev_b32 v8, 29, v4
	v_dual_lshlrev_b32 v9, 28, v4 :: v_dual_lshlrev_b32 v10, 27, v4
	v_lshlrev_b32_e32 v11, 26, v4
	v_mad_u32 v52, 0x44, v4, v2
	v_cmp_gt_i32_e64 s3, 0, v8
	v_not_b32_e32 v6, v8
	v_not_b32_e32 v8, v9
	v_cmp_gt_i32_e64 s4, 0, v9
	v_xor_b32_e32 v3, vcc_lo, v3
	s_delay_alu instid0(VALU_DEP_4) | instskip(NEXT) | instid1(VALU_DEP_4)
	v_dual_ashrrev_i32 v6, 31, v6 :: v_dual_bitop2_b32 v5, s2, v5 bitop3:0x14
	v_ashrrev_i32_e32 v8, 31, v8
	v_dual_lshlrev_b32 v48, 25, v4 :: v_dual_lshlrev_b32 v4, 24, v4
	v_not_b32_e32 v9, v10
	v_not_b32_e32 v49, v11
	v_xor_b32_e32 v6, s3, v6
	v_xor_b32_e32 v8, s4, v8
	v_bitop3_b32 v3, v3, v5, exec_lo bitop3:0x80
	v_cmp_gt_i32_e32 vcc_lo, 0, v10
	v_ashrrev_i32_e32 v5, 31, v9
	v_cmp_gt_i32_e64 s2, 0, v11
	v_ashrrev_i32_e32 v9, 31, v49
	v_bitop3_b32 v3, v3, v8, v6 bitop3:0x80
	v_not_b32_e32 v6, v48
	v_not_b32_e32 v8, v4
	v_xor_b32_e32 v5, vcc_lo, v5
	v_xor_b32_e32 v9, s2, v9
	v_cmp_gt_i32_e32 vcc_lo, 0, v48
	v_ashrrev_i32_e32 v6, 31, v6
	v_cmp_gt_i32_e64 s2, 0, v4
	v_ashrrev_i32_e32 v4, 31, v8
	v_bitop3_b32 v3, v3, v9, v5 bitop3:0x80
	ds_load_b32 v48, v52 offset:64
	v_xor_b32_e32 v5, vcc_lo, v6
	v_xor_b32_e32 v4, s2, v4
	; wave barrier
	s_delay_alu instid0(VALU_DEP_1) | instskip(NEXT) | instid1(VALU_DEP_1)
	v_bitop3_b32 v3, v3, v4, v5 bitop3:0x80
	v_mbcnt_lo_u32_b32 v49, v3, 0
	v_cmp_ne_u32_e64 s2, 0, v3
	s_delay_alu instid0(VALU_DEP_2) | instskip(SKIP_1) | instid1(SALU_CYCLE_1)
	v_cmp_eq_u32_e32 vcc_lo, 0, v49
	s_and_b32 s3, s2, vcc_lo
	s_and_saveexec_b32 s2, s3
	s_cbranch_execz .LBB2660_43
; %bb.42:
	s_wait_dscnt 0x0
	v_bcnt_u32_b32 v3, v3, v48
	ds_store_b32 v52, v3 offset:64
.LBB2660_43:
	s_or_b32 exec_lo, exec_lo, s2
	v_lshrrev_b32_e32 v3, s20, v25
	; wave barrier
	s_delay_alu instid0(VALU_DEP_1) | instskip(NEXT) | instid1(VALU_DEP_1)
	v_and_b32_e32 v4, s6, v3
	v_lshlrev_b32_e32 v6, 30, v4
	v_bitop3_b32 v3, v3, 1, s6 bitop3:0x80
	s_delay_alu instid0(VALU_DEP_1) | instskip(NEXT) | instid1(VALU_DEP_1)
	v_add_co_u32 v3, s2, v3, -1
	v_cndmask_b32_e64 v5, 0, 1, s2
	s_delay_alu instid0(VALU_DEP_4) | instskip(NEXT) | instid1(VALU_DEP_2)
	v_cmp_gt_i32_e64 s2, 0, v6
	v_cmp_ne_u32_e32 vcc_lo, 0, v5
	v_not_b32_e32 v5, v6
	s_delay_alu instid0(VALU_DEP_1) | instskip(SKIP_3) | instid1(VALU_DEP_4)
	v_dual_ashrrev_i32 v5, 31, v5 :: v_dual_lshlrev_b32 v8, 29, v4
	v_dual_lshlrev_b32 v9, 28, v4 :: v_dual_lshlrev_b32 v10, 27, v4
	v_lshlrev_b32_e32 v11, 26, v4
	v_mad_u32 v55, 0x44, v4, v2
	v_cmp_gt_i32_e64 s3, 0, v8
	v_not_b32_e32 v6, v8
	v_not_b32_e32 v8, v9
	v_cmp_gt_i32_e64 s4, 0, v9
	v_xor_b32_e32 v3, vcc_lo, v3
	s_delay_alu instid0(VALU_DEP_4) | instskip(NEXT) | instid1(VALU_DEP_4)
	v_dual_ashrrev_i32 v6, 31, v6 :: v_dual_bitop2_b32 v5, s2, v5 bitop3:0x14
	v_ashrrev_i32_e32 v8, 31, v8
	v_dual_lshlrev_b32 v51, 25, v4 :: v_dual_lshlrev_b32 v4, 24, v4
	v_not_b32_e32 v9, v10
	v_not_b32_e32 v53, v11
	v_xor_b32_e32 v6, s3, v6
	v_xor_b32_e32 v8, s4, v8
	v_bitop3_b32 v3, v3, v5, exec_lo bitop3:0x80
	v_cmp_gt_i32_e32 vcc_lo, 0, v10
	v_ashrrev_i32_e32 v5, 31, v9
	v_cmp_gt_i32_e64 s2, 0, v11
	v_ashrrev_i32_e32 v9, 31, v53
	v_bitop3_b32 v3, v3, v8, v6 bitop3:0x80
	v_not_b32_e32 v6, v51
	v_not_b32_e32 v8, v4
	v_xor_b32_e32 v5, vcc_lo, v5
	v_xor_b32_e32 v9, s2, v9
	v_cmp_gt_i32_e32 vcc_lo, 0, v51
	v_ashrrev_i32_e32 v6, 31, v6
	v_cmp_gt_i32_e64 s2, 0, v4
	v_ashrrev_i32_e32 v4, 31, v8
	v_bitop3_b32 v3, v3, v9, v5 bitop3:0x80
	ds_load_b32 v51, v55 offset:64
	v_xor_b32_e32 v5, vcc_lo, v6
	v_xor_b32_e32 v4, s2, v4
	; wave barrier
	s_delay_alu instid0(VALU_DEP_1) | instskip(NEXT) | instid1(VALU_DEP_1)
	v_bitop3_b32 v3, v3, v4, v5 bitop3:0x80
	v_mbcnt_lo_u32_b32 v53, v3, 0
	v_cmp_ne_u32_e64 s2, 0, v3
	s_delay_alu instid0(VALU_DEP_2) | instskip(SKIP_1) | instid1(SALU_CYCLE_1)
	v_cmp_eq_u32_e32 vcc_lo, 0, v53
	s_and_b32 s3, s2, vcc_lo
	s_and_saveexec_b32 s2, s3
	s_cbranch_execz .LBB2660_45
; %bb.44:
	s_wait_dscnt 0x0
	v_bcnt_u32_b32 v3, v3, v51
	ds_store_b32 v55, v3 offset:64
.LBB2660_45:
	s_or_b32 exec_lo, exec_lo, s2
	v_lshrrev_b32_e32 v3, s20, v29
	; wave barrier
	s_delay_alu instid0(VALU_DEP_1) | instskip(NEXT) | instid1(VALU_DEP_1)
	v_and_b32_e32 v4, s6, v3
	v_lshlrev_b32_e32 v6, 30, v4
	v_bitop3_b32 v3, v3, 1, s6 bitop3:0x80
	s_delay_alu instid0(VALU_DEP_1) | instskip(NEXT) | instid1(VALU_DEP_1)
	v_add_co_u32 v3, s2, v3, -1
	v_cndmask_b32_e64 v5, 0, 1, s2
	s_delay_alu instid0(VALU_DEP_4) | instskip(NEXT) | instid1(VALU_DEP_2)
	v_cmp_gt_i32_e64 s2, 0, v6
	v_cmp_ne_u32_e32 vcc_lo, 0, v5
	v_not_b32_e32 v5, v6
	s_delay_alu instid0(VALU_DEP_1) | instskip(SKIP_3) | instid1(VALU_DEP_4)
	v_dual_ashrrev_i32 v5, 31, v5 :: v_dual_lshlrev_b32 v8, 29, v4
	v_dual_lshlrev_b32 v9, 28, v4 :: v_dual_lshlrev_b32 v10, 27, v4
	v_lshlrev_b32_e32 v11, 26, v4
	v_mad_u32 v57, 0x44, v4, v2
	v_cmp_gt_i32_e64 s3, 0, v8
	v_not_b32_e32 v6, v8
	v_not_b32_e32 v8, v9
	v_cmp_gt_i32_e64 s4, 0, v9
	v_xor_b32_e32 v3, vcc_lo, v3
	s_delay_alu instid0(VALU_DEP_4) | instskip(NEXT) | instid1(VALU_DEP_4)
	v_dual_ashrrev_i32 v6, 31, v6 :: v_dual_bitop2_b32 v5, s2, v5 bitop3:0x14
	v_ashrrev_i32_e32 v8, 31, v8
	v_dual_lshlrev_b32 v54, 25, v4 :: v_dual_lshlrev_b32 v4, 24, v4
	v_not_b32_e32 v9, v10
	v_not_b32_e32 v56, v11
	v_xor_b32_e32 v6, s3, v6
	v_xor_b32_e32 v8, s4, v8
	v_bitop3_b32 v3, v3, v5, exec_lo bitop3:0x80
	v_cmp_gt_i32_e32 vcc_lo, 0, v10
	v_ashrrev_i32_e32 v5, 31, v9
	v_cmp_gt_i32_e64 s2, 0, v11
	v_ashrrev_i32_e32 v9, 31, v56
	v_bitop3_b32 v3, v3, v8, v6 bitop3:0x80
	v_not_b32_e32 v6, v54
	v_not_b32_e32 v8, v4
	v_xor_b32_e32 v5, vcc_lo, v5
	v_xor_b32_e32 v9, s2, v9
	v_cmp_gt_i32_e32 vcc_lo, 0, v54
	v_ashrrev_i32_e32 v6, 31, v6
	v_cmp_gt_i32_e64 s2, 0, v4
	v_ashrrev_i32_e32 v4, 31, v8
	v_bitop3_b32 v3, v3, v9, v5 bitop3:0x80
	ds_load_b32 v54, v57 offset:64
	v_xor_b32_e32 v5, vcc_lo, v6
	v_xor_b32_e32 v4, s2, v4
	; wave barrier
	s_delay_alu instid0(VALU_DEP_1) | instskip(NEXT) | instid1(VALU_DEP_1)
	v_bitop3_b32 v3, v3, v4, v5 bitop3:0x80
	v_mbcnt_lo_u32_b32 v56, v3, 0
	v_cmp_ne_u32_e64 s2, 0, v3
	s_delay_alu instid0(VALU_DEP_2) | instskip(SKIP_1) | instid1(SALU_CYCLE_1)
	v_cmp_eq_u32_e32 vcc_lo, 0, v56
	s_and_b32 s3, s2, vcc_lo
	s_and_saveexec_b32 s2, s3
	s_cbranch_execz .LBB2660_47
; %bb.46:
	s_wait_dscnt 0x0
	v_bcnt_u32_b32 v3, v3, v54
	ds_store_b32 v57, v3 offset:64
.LBB2660_47:
	s_or_b32 exec_lo, exec_lo, s2
	v_lshrrev_b32_e32 v3, s20, v28
	; wave barrier
	s_delay_alu instid0(VALU_DEP_1) | instskip(SKIP_1) | instid1(VALU_DEP_2)
	v_and_b32_e32 v4, s6, v3
	v_bitop3_b32 v3, v3, 1, s6 bitop3:0x80
	v_mad_u32 v60, 0x44, v4, v2
	s_delay_alu instid0(VALU_DEP_2) | instskip(NEXT) | instid1(VALU_DEP_1)
	v_add_co_u32 v2, s2, v3, -1
	v_cndmask_b32_e64 v3, 0, 1, s2
	v_lshlrev_b32_e32 v5, 30, v4
	s_delay_alu instid0(VALU_DEP_2) | instskip(NEXT) | instid1(VALU_DEP_2)
	v_cmp_ne_u32_e32 vcc_lo, 0, v3
	v_not_b32_e32 v3, v5
	s_delay_alu instid0(VALU_DEP_1) | instskip(SKIP_4) | instid1(VALU_DEP_4)
	v_dual_ashrrev_i32 v3, 31, v3 :: v_dual_bitop2_b32 v2, vcc_lo, v2 bitop3:0x14
	v_dual_lshlrev_b32 v6, 29, v4 :: v_dual_lshlrev_b32 v8, 28, v4
	v_lshlrev_b32_e32 v9, 27, v4
	v_cmp_gt_i32_e64 s2, 0, v5
	v_dual_lshlrev_b32 v10, 26, v4 :: v_dual_lshlrev_b32 v11, 25, v4
	v_cmp_gt_i32_e64 s3, 0, v6
	v_not_b32_e32 v5, v6
	v_not_b32_e32 v6, v8
	v_lshlrev_b32_e32 v4, 24, v4
	v_cmp_gt_i32_e64 s4, 0, v8
	s_delay_alu instid0(VALU_DEP_4) | instskip(NEXT) | instid1(VALU_DEP_4)
	v_dual_ashrrev_i32 v5, 31, v5 :: v_dual_bitop2_b32 v3, s2, v3 bitop3:0x14
	v_ashrrev_i32_e32 v6, 31, v6
	v_not_b32_e32 v8, v9
	v_not_b32_e32 v58, v10
	s_delay_alu instid0(VALU_DEP_4)
	v_bitop3_b32 v2, v2, v3, exec_lo bitop3:0x80
	v_xor_b32_e32 v5, s3, v5
	v_xor_b32_e32 v6, s4, v6
	v_cmp_gt_i32_e32 vcc_lo, 0, v9
	v_ashrrev_i32_e32 v3, 31, v8
	v_cmp_gt_i32_e64 s2, 0, v10
	v_ashrrev_i32_e32 v8, 31, v58
	v_bitop3_b32 v2, v2, v6, v5 bitop3:0x80
	v_not_b32_e32 v5, v11
	v_not_b32_e32 v6, v4
	v_xor_b32_e32 v3, vcc_lo, v3
	v_xor_b32_e32 v8, s2, v8
	v_cmp_gt_i32_e32 vcc_lo, 0, v11
	v_ashrrev_i32_e32 v5, 31, v5
	v_cmp_gt_i32_e64 s2, 0, v4
	v_ashrrev_i32_e32 v4, 31, v6
	v_bitop3_b32 v2, v2, v8, v3 bitop3:0x80
	ds_load_b32 v58, v60 offset:64
	v_xor_b32_e32 v3, vcc_lo, v5
	v_xor_b32_e32 v4, s2, v4
	; wave barrier
	s_delay_alu instid0(VALU_DEP_1) | instskip(NEXT) | instid1(VALU_DEP_1)
	v_bitop3_b32 v2, v2, v4, v3 bitop3:0x80
	v_mbcnt_lo_u32_b32 v59, v2, 0
	v_cmp_ne_u32_e64 s2, 0, v2
	s_delay_alu instid0(VALU_DEP_2) | instskip(SKIP_1) | instid1(SALU_CYCLE_1)
	v_cmp_eq_u32_e32 vcc_lo, 0, v59
	s_and_b32 s3, s2, vcc_lo
	s_and_saveexec_b32 s2, s3
	s_cbranch_execz .LBB2660_49
; %bb.48:
	s_wait_dscnt 0x0
	v_bcnt_u32_b32 v2, v2, v58
	ds_store_b32 v60, v2 offset:64
.LBB2660_49:
	s_or_b32 exec_lo, exec_lo, s2
	; wave barrier
	s_wait_dscnt 0x0
	s_barrier_signal -1
	s_barrier_wait -1
	ds_load_2addr_b32 v[10:11], v12 offset0:16 offset1:17
	ds_load_2addr_b32 v[8:9], v12 offset0:18 offset1:19
	;; [unrolled: 1-line block ×4, first 2 shown]
	ds_load_b32 v6, v12 offset:96
	v_min_u32_e32 v63, 0x1e0, v17
	s_mov_b32 s7, exec_lo
	s_wait_dscnt 0x3
	v_add3_u32 v61, v11, v10, v8
	s_wait_dscnt 0x2
	s_delay_alu instid0(VALU_DEP_1) | instskip(SKIP_1) | instid1(VALU_DEP_1)
	v_add3_u32 v61, v61, v9, v4
	s_wait_dscnt 0x1
	v_add3_u32 v61, v61, v5, v2
	s_wait_dscnt 0x0
	s_delay_alu instid0(VALU_DEP_1) | instskip(SKIP_1) | instid1(VALU_DEP_2)
	v_add3_u32 v6, v61, v3, v6
	v_and_b32_e32 v61, 15, v16
	v_mov_b32_dpp v62, v6 row_shr:1 row_mask:0xf bank_mask:0xf
	s_delay_alu instid0(VALU_DEP_2) | instskip(NEXT) | instid1(VALU_DEP_2)
	v_cmp_eq_u32_e32 vcc_lo, 0, v61
	v_cndmask_b32_e64 v62, v62, 0, vcc_lo
	s_delay_alu instid0(VALU_DEP_1) | instskip(SKIP_3) | instid1(VALU_DEP_4)
	v_add_nc_u32_e32 v6, v62, v6
	v_cmp_lt_u32_e64 s2, 1, v61
	v_cmp_lt_u32_e64 s3, 3, v61
	;; [unrolled: 1-line block ×3, first 2 shown]
	v_mov_b32_dpp v62, v6 row_shr:2 row_mask:0xf bank_mask:0xf
	s_delay_alu instid0(VALU_DEP_1) | instskip(NEXT) | instid1(VALU_DEP_1)
	v_cndmask_b32_e64 v62, 0, v62, s2
	v_add_nc_u32_e32 v6, v6, v62
	s_delay_alu instid0(VALU_DEP_1) | instskip(NEXT) | instid1(VALU_DEP_1)
	v_mov_b32_dpp v62, v6 row_shr:4 row_mask:0xf bank_mask:0xf
	v_cndmask_b32_e64 v62, 0, v62, s3
	s_delay_alu instid0(VALU_DEP_1) | instskip(NEXT) | instid1(VALU_DEP_1)
	v_add_nc_u32_e32 v6, v6, v62
	v_mov_b32_dpp v62, v6 row_shr:8 row_mask:0xf bank_mask:0xf
	s_delay_alu instid0(VALU_DEP_1) | instskip(SKIP_1) | instid1(VALU_DEP_2)
	v_cndmask_b32_e64 v61, 0, v62, s4
	v_bfe_i32 v62, v16, 4, 1
	v_add_nc_u32_e32 v6, v6, v61
	ds_swizzle_b32 v61, v6 offset:swizzle(BROADCAST,32,15)
	s_wait_dscnt 0x0
	v_dual_lshrrev_b32 v62, 5, v27 :: v_dual_bitop2_b32 v61, v62, v61 bitop3:0x40
	s_delay_alu instid0(VALU_DEP_1) | instskip(NEXT) | instid1(VALU_DEP_1)
	v_dual_add_nc_u32 v61, v6, v61 :: v_dual_bitop2_b32 v63, 31, v63 bitop3:0x54
	v_cmpx_eq_u32_e64 v27, v63
; %bb.50:
	s_delay_alu instid0(VALU_DEP_3)
	v_lshlrev_b32_e32 v6, 2, v62
	ds_store_b32 v6, v61
; %bb.51:
	s_or_b32 exec_lo, exec_lo, s7
	v_lshlrev_b32_e32 v6, 2, v27
	s_mov_b32 s7, exec_lo
	s_wait_dscnt 0x0
	s_barrier_signal -1
	s_barrier_wait -1
	v_cmpx_gt_u32_e32 16, v27
	s_cbranch_execz .LBB2660_53
; %bb.52:
	ds_load_b32 v63, v6
	s_wait_dscnt 0x0
	v_mov_b32_dpp v64, v63 row_shr:1 row_mask:0xf bank_mask:0xf
	s_delay_alu instid0(VALU_DEP_1) | instskip(NEXT) | instid1(VALU_DEP_1)
	v_cndmask_b32_e64 v64, v64, 0, vcc_lo
	v_add_nc_u32_e32 v63, v64, v63
	s_delay_alu instid0(VALU_DEP_1) | instskip(NEXT) | instid1(VALU_DEP_1)
	v_mov_b32_dpp v64, v63 row_shr:2 row_mask:0xf bank_mask:0xf
	v_cndmask_b32_e64 v64, 0, v64, s2
	s_delay_alu instid0(VALU_DEP_1) | instskip(NEXT) | instid1(VALU_DEP_1)
	v_add_nc_u32_e32 v63, v63, v64
	v_mov_b32_dpp v64, v63 row_shr:4 row_mask:0xf bank_mask:0xf
	s_delay_alu instid0(VALU_DEP_1) | instskip(NEXT) | instid1(VALU_DEP_1)
	v_cndmask_b32_e64 v64, 0, v64, s3
	v_add_nc_u32_e32 v63, v63, v64
	s_delay_alu instid0(VALU_DEP_1) | instskip(NEXT) | instid1(VALU_DEP_1)
	v_mov_b32_dpp v64, v63 row_shr:8 row_mask:0xf bank_mask:0xf
	v_cndmask_b32_e64 v64, 0, v64, s4
	s_delay_alu instid0(VALU_DEP_1)
	v_add_nc_u32_e32 v63, v63, v64
	ds_store_b32 v6, v63
.LBB2660_53:
	s_or_b32 exec_lo, exec_lo, s7
	v_mov_b32_e32 v63, 0
	s_mov_b32 s2, exec_lo
	s_wait_dscnt 0x0
	s_barrier_signal -1
	s_barrier_wait -1
	v_cmpx_lt_u32_e32 31, v27
; %bb.54:
	v_lshl_add_u32 v62, v62, 2, -4
	ds_load_b32 v63, v62
; %bb.55:
	s_or_b32 exec_lo, exec_lo, s2
	v_sub_co_u32 v62, vcc_lo, v16, 1
	s_wait_dscnt 0x0
	v_add_nc_u32_e32 v61, v63, v61
	s_delay_alu instid0(VALU_DEP_2) | instskip(NEXT) | instid1(VALU_DEP_1)
	v_cmp_gt_i32_e64 s2, 0, v62
	v_cndmask_b32_e64 v62, v62, v16, s2
	v_cmp_lt_u32_e64 s2, 0xff, v27
	s_delay_alu instid0(VALU_DEP_2) | instskip(SKIP_4) | instid1(VALU_DEP_2)
	v_lshlrev_b32_e32 v62, 2, v62
	ds_bpermute_b32 v61, v62, v61
	s_wait_dscnt 0x0
	v_cndmask_b32_e32 v61, v61, v63, vcc_lo
	v_cmp_ne_u32_e32 vcc_lo, 0, v27
	v_cndmask_b32_e32 v61, 0, v61, vcc_lo
	v_cmp_gt_u32_e32 vcc_lo, 0x100, v27
	s_delay_alu instid0(VALU_DEP_2) | instskip(NEXT) | instid1(VALU_DEP_1)
	v_add_nc_u32_e32 v10, v61, v10
	v_add_nc_u32_e32 v11, v10, v11
	s_delay_alu instid0(VALU_DEP_1) | instskip(NEXT) | instid1(VALU_DEP_1)
	v_add_nc_u32_e32 v8, v11, v8
	v_add_nc_u32_e32 v9, v8, v9
	s_delay_alu instid0(VALU_DEP_1) | instskip(NEXT) | instid1(VALU_DEP_1)
	;; [unrolled: 3-line block ×3, first 2 shown]
	v_add_nc_u32_e32 v2, v5, v2
	v_add_nc_u32_e32 v3, v2, v3
	ds_store_2addr_b32 v12, v61, v10 offset0:16 offset1:17
	ds_store_2addr_b32 v12, v11, v8 offset0:18 offset1:19
	ds_store_2addr_b32 v12, v9, v4 offset0:20 offset1:21
	ds_store_2addr_b32 v12, v5, v2 offset0:22 offset1:23
	ds_store_b32 v12, v3 offset:96
	s_wait_dscnt 0x0
	s_barrier_signal -1
	s_barrier_wait -1
	ds_load_b32 v63, v13 offset:64
	ds_load_b32 v61, v14 offset:64
	;; [unrolled: 1-line block ×12, first 2 shown]
	v_mov_b64_e32 v[2:3], 0
                                        ; implicit-def: $vgpr4
	s_and_saveexec_b32 s4, vcc_lo
	s_cbranch_execz .LBB2660_59
; %bb.56:
	v_mul_u32_u24_e32 v2, 0x44, v27
	v_dual_mov_b32 v3, 0x1800 :: v_dual_add_nc_u32 v4, 1, v27
	s_mov_b32 s5, exec_lo
	ds_load_b32 v2, v2 offset:64
	v_cmpx_ne_u32_e32 0x100, v4
; %bb.57:
	v_mul_u32_u24_e32 v3, 0x44, v4
	ds_load_b32 v3, v3 offset:64
; %bb.58:
	s_or_b32 exec_lo, exec_lo, s5
	s_wait_dscnt 0x0
	v_dual_mov_b32 v3, 0 :: v_dual_sub_nc_u32 v4, v3, v2
.LBB2660_59:
	s_or_b32 exec_lo, exec_lo, s4
	v_dual_mov_b32 v9, 0 :: v_dual_lshlrev_b32 v5, 3, v27
	s_wait_dscnt 0x0
	s_barrier_signal -1
	s_barrier_wait -1
	s_and_saveexec_b32 s3, vcc_lo
	s_cbranch_execz .LBB2660_69
; %bb.60:
	v_lshl_add_u32 v8, s9, 8, v27
	v_dual_mov_b32 v12, 0 :: v_dual_bitop2_b32 v13, 2.0, v4 bitop3:0x54
	s_mov_b32 s4, 0
	s_mov_b32 s5, s9
	s_delay_alu instid0(VALU_DEP_2)
	v_lshl_add_u64 v[10:11], v[8:9], 2, s[10:11]
	global_store_b32 v8, v13, s[10:11] scale_offset scope:SCOPE_DEV
                                        ; implicit-def: $sgpr7
	s_branch .LBB2660_63
.LBB2660_61:                            ;   in Loop: Header=BB2660_63 Depth=1
	s_or_b32 exec_lo, exec_lo, s8
.LBB2660_62:                            ;   in Loop: Header=BB2660_63 Depth=1
	s_delay_alu instid0(SALU_CYCLE_1) | instskip(SKIP_2) | instid1(VALU_DEP_2)
	s_or_b32 exec_lo, exec_lo, s7
	v_and_b32_e32 v8, 0x3fffffff, v13
	v_cmp_gt_i32_e64 s7, -2.0, v13
	v_add_nc_u32_e32 v12, v8, v12
	s_and_b32 s8, exec_lo, s7
	s_delay_alu instid0(SALU_CYCLE_1) | instskip(NEXT) | instid1(SALU_CYCLE_1)
	s_or_b32 s4, s8, s4
	s_and_not1_b32 exec_lo, exec_lo, s4
	s_cbranch_execz .LBB2660_68
.LBB2660_63:                            ; =>This Loop Header: Depth=1
                                        ;     Child Loop BB2660_66 Depth 2
	s_or_b32 s7, s7, exec_lo
	s_cmp_eq_u32 s5, 0
	s_cbranch_scc1 .LBB2660_67
; %bb.64:                               ;   in Loop: Header=BB2660_63 Depth=1
	s_add_co_i32 s5, s5, -1
	s_mov_b32 s7, exec_lo
	s_wait_xcnt 0x0
	v_lshl_or_b32 v8, s5, 8, v27
	global_load_b32 v13, v8, s[10:11] scale_offset scope:SCOPE_DEV
	s_wait_loadcnt 0x0
	v_cmpx_gt_u32_e32 2.0, v13
	s_cbranch_execz .LBB2660_62
; %bb.65:                               ;   in Loop: Header=BB2660_63 Depth=1
	v_lshl_add_u64 v[14:15], v[8:9], 2, s[10:11]
	s_mov_b32 s8, 0
.LBB2660_66:                            ;   Parent Loop BB2660_63 Depth=1
                                        ; =>  This Inner Loop Header: Depth=2
	global_load_b32 v13, v[14:15], off scope:SCOPE_DEV
	s_wait_loadcnt 0x0
	v_cmp_lt_u32_e32 vcc_lo, 0x3fffffff, v13
	s_or_b32 s8, vcc_lo, s8
	s_wait_xcnt 0x0
	s_and_not1_b32 exec_lo, exec_lo, s8
	s_cbranch_execnz .LBB2660_66
	s_branch .LBB2660_61
.LBB2660_67:                            ;   in Loop: Header=BB2660_63 Depth=1
                                        ; implicit-def: $sgpr5
	s_and_b32 s8, exec_lo, s7
	s_delay_alu instid0(SALU_CYCLE_1)
	s_or_b32 s4, s8, s4
	s_wait_xcnt 0x0
	s_and_not1_b32 exec_lo, exec_lo, s4
	s_cbranch_execnz .LBB2660_63
.LBB2660_68:
	s_or_b32 exec_lo, exec_lo, s4
	v_dual_mov_b32 v13, 0 :: v_dual_add_nc_u32 v8, v12, v4
	s_delay_alu instid0(VALU_DEP_1) | instskip(SKIP_4) | instid1(VALU_DEP_1)
	v_or_b32_e32 v8, 0x80000000, v8
	global_store_b32 v[10:11], v8, off scope:SCOPE_DEV
	global_load_b64 v[8:9], v27, s[12:13] scale_offset
	v_sub_nc_u64_e32 v[10:11], v[12:13], v[2:3]
	s_wait_loadcnt 0x0
	v_add_nc_u64_e32 v[8:9], v[10:11], v[8:9]
	ds_store_b64 v5, v[8:9]
.LBB2660_69:
	s_wait_xcnt 0x0
	s_or_b32 exec_lo, exec_lo, s3
	v_dual_add_nc_u32 v8, v63, v7 :: v_dual_sub_nc_u32 v63, 0, v6
	v_mov_b32_e32 v7, 0
	v_add3_u32 v32, v33, v62, v32
	v_add3_u32 v9, v59, v60, v58
	;; [unrolled: 1-line block ×3, first 2 shown]
	v_add_nc_u32_e32 v33, v5, v63
	v_add_nc_u64_e32 v[6:7], s[18:19], v[6:7]
	v_add3_u32 v11, v53, v55, v51
	v_add3_u32 v12, v49, v52, v48
	;; [unrolled: 1-line block ×6, first 2 shown]
	v_add_nc_u64_e32 v[6:7], 0x3800, v[6:7]
	v_add3_u32 v34, v35, v38, v34
	v_add3_u32 v30, v31, v61, v30
	v_add_nc_u32_e32 v31, 0xe00, v27
	s_mov_b32 s3, 0
	s_mov_b32 s4, -1
	s_branch .LBB2660_71
.LBB2660_70:                            ;   in Loop: Header=BB2660_71 Depth=1
	s_wait_xcnt 0x0
	s_or_b32 exec_lo, exec_lo, s5
	v_add_nc_u64_e32 v[6:7], 0x4000, v[6:7]
	v_add_nc_u32_e32 v31, 0x1000, v31
	s_xor_b32 s4, s4, -1
	s_addk_co_i32 s3, 0xf000
	s_and_b32 vcc_lo, exec_lo, s4
	s_mov_b32 s4, 0
	s_wait_storecnt 0x0
	s_barrier_signal -1
	s_barrier_wait -1
	s_cbranch_vccnz .LBB2660_87
.LBB2660_71:                            ; =>This Inner Loop Header: Depth=1
	v_add_min_u32_e64 v35, v8, s3, 0x1000
	v_add_min_u32_e64 v37, v30, s3, 0x1000
	;; [unrolled: 1-line block ×5, first 2 shown]
	s_delay_alu instid0(VALU_DEP_4) | instskip(NEXT) | instid1(VALU_DEP_4)
	v_dual_lshlrev_b32 v35, 2, v35 :: v_dual_lshlrev_b32 v37, 2, v37
	v_lshlrev_b32_e32 v38, 2, v38
	v_add_min_u32_e64 v41, v15, s3, 0x1000
	s_mov_b32 s5, exec_lo
	ds_store_b32 v35, v18 offset:2048
	ds_store_b32 v37, v1 offset:2048
	v_add_min_u32_e64 v35, v14, s3, 0x1000
	v_lshlrev_b32_e32 v37, 2, v39
	ds_store_b32 v38, v20 offset:2048
	v_dual_lshlrev_b32 v38, 2, v40 :: v_dual_lshlrev_b32 v39, 2, v41
	v_add_min_u32_e64 v40, v13, s3, 0x1000
	v_lshlrev_b32_e32 v35, 2, v35
	ds_store_b32 v37, v19 offset:2048
	ds_store_b32 v38, v22 offset:2048
	;; [unrolled: 1-line block ×4, first 2 shown]
	v_add_min_u32_e64 v37, v12, s3, 0x1000
	v_add_min_u32_e64 v38, v11, s3, 0x1000
	;; [unrolled: 1-line block ×3, first 2 shown]
	v_lshlrev_b32_e32 v35, 2, v40
	v_add_min_u32_e64 v40, v9, s3, 0x1000
	ds_store_b32 v35, v23 offset:2048
	v_dual_lshlrev_b32 v35, 2, v37 :: v_dual_lshlrev_b32 v37, 2, v38
	v_dual_lshlrev_b32 v38, 2, v39 :: v_dual_lshlrev_b32 v39, 2, v40
	v_add_nc_u32_e32 v40, 0xfffff200, v31
	ds_store_b32 v35, v26 offset:2048
	ds_store_b32 v37, v25 offset:2048
	;; [unrolled: 1-line block ×4, first 2 shown]
	s_wait_storecnt_dscnt 0x0
	s_barrier_signal -1
	s_barrier_wait -1
	v_cmpx_gt_u32_e64 s22, v40
	s_cbranch_execz .LBB2660_73
; %bb.72:                               ;   in Loop: Header=BB2660_71 Depth=1
	ds_load_b32 v35, v33 offset:2048
	s_wait_dscnt 0x0
	v_lshrrev_b32_e32 v37, s20, v35
	v_not_b32_e32 v35, v35
	s_delay_alu instid0(VALU_DEP_2) | instskip(NEXT) | instid1(VALU_DEP_1)
	v_and_b32_e32 v37, s6, v37
	v_lshlrev_b32_e32 v37, 3, v37
	ds_load_b64 v[38:39], v37
	s_wait_dscnt 0x0
	v_lshl_add_u64 v[38:39], v[38:39], 2, v[6:7]
	global_store_b32 v[38:39], v35, off offset:-14336
.LBB2660_73:                            ;   in Loop: Header=BB2660_71 Depth=1
	s_wait_xcnt 0x0
	s_or_b32 exec_lo, exec_lo, s5
	v_add_nc_u32_e32 v35, 0xfffff400, v31
	s_mov_b32 s5, exec_lo
	s_delay_alu instid0(VALU_DEP_1)
	v_cmpx_gt_u32_e64 s22, v35
	s_cbranch_execz .LBB2660_75
; %bb.74:                               ;   in Loop: Header=BB2660_71 Depth=1
	ds_load_b32 v35, v33 offset:4096
	s_wait_dscnt 0x0
	v_lshrrev_b32_e32 v37, s20, v35
	v_not_b32_e32 v35, v35
	s_delay_alu instid0(VALU_DEP_2) | instskip(NEXT) | instid1(VALU_DEP_1)
	v_and_b32_e32 v37, s6, v37
	v_lshlrev_b32_e32 v37, 3, v37
	ds_load_b64 v[38:39], v37
	s_wait_dscnt 0x0
	v_lshl_add_u64 v[38:39], v[38:39], 2, v[6:7]
	global_store_b32 v[38:39], v35, off offset:-12288
.LBB2660_75:                            ;   in Loop: Header=BB2660_71 Depth=1
	s_wait_xcnt 0x0
	s_or_b32 exec_lo, exec_lo, s5
	v_add_nc_u32_e32 v35, 0xfffff600, v31
	s_mov_b32 s5, exec_lo
	s_delay_alu instid0(VALU_DEP_1)
	;; [unrolled: 20-line block ×6, first 2 shown]
	v_cmpx_gt_u32_e64 s22, v35
	s_cbranch_execz .LBB2660_85
; %bb.84:                               ;   in Loop: Header=BB2660_71 Depth=1
	ds_load_b32 v35, v33 offset:14336
	s_wait_dscnt 0x0
	v_lshrrev_b32_e32 v37, s20, v35
	v_not_b32_e32 v35, v35
	s_delay_alu instid0(VALU_DEP_2) | instskip(NEXT) | instid1(VALU_DEP_1)
	v_and_b32_e32 v37, s6, v37
	v_lshlrev_b32_e32 v37, 3, v37
	ds_load_b64 v[38:39], v37
	s_wait_dscnt 0x0
	v_lshl_add_u64 v[38:39], v[38:39], 2, v[6:7]
	global_store_b32 v[38:39], v35, off offset:-2048
.LBB2660_85:                            ;   in Loop: Header=BB2660_71 Depth=1
	s_wait_xcnt 0x0
	s_or_b32 exec_lo, exec_lo, s5
	s_delay_alu instid0(SALU_CYCLE_1)
	s_mov_b32 s5, exec_lo
	v_cmpx_gt_u32_e64 s22, v31
	s_cbranch_execz .LBB2660_70
; %bb.86:                               ;   in Loop: Header=BB2660_71 Depth=1
	ds_load_b32 v35, v33 offset:16384
	s_wait_dscnt 0x0
	v_lshrrev_b32_e32 v37, s20, v35
	v_not_b32_e32 v35, v35
	s_delay_alu instid0(VALU_DEP_2) | instskip(NEXT) | instid1(VALU_DEP_1)
	v_and_b32_e32 v37, s6, v37
	v_lshlrev_b32_e32 v37, 3, v37
	ds_load_b64 v[38:39], v37
	s_wait_dscnt 0x0
	v_lshl_add_u64 v[38:39], v[38:39], 2, v[6:7]
	global_store_b32 v[38:39], v35, off
	s_branch .LBB2660_70
.LBB2660_87:
	s_add_co_i32 s23, s23, -1
	s_delay_alu instid0(SALU_CYCLE_1) | instskip(SKIP_2) | instid1(SALU_CYCLE_1)
	s_cmp_eq_u32 s9, s23
	s_cselect_b32 s3, -1, 0
	s_xor_b32 s2, s2, -1
	s_and_b32 s3, s2, s3
	s_delay_alu instid0(SALU_CYCLE_1)
	s_and_saveexec_b32 s2, s3
	s_cbranch_execz .LBB2660_89
; %bb.88:
	ds_load_b64 v[6:7], v5
	v_mov_b32_e32 v5, 0
	s_delay_alu instid0(VALU_DEP_1) | instskip(SKIP_1) | instid1(VALU_DEP_1)
	v_add_nc_u64_e32 v[2:3], v[2:3], v[4:5]
	s_wait_dscnt 0x0
	v_add_nc_u64_e32 v[2:3], v[2:3], v[6:7]
	global_store_b64 v27, v[2:3], s[14:15] scale_offset
.LBB2660_89:
	s_wait_xcnt 0x0
	s_or_b32 exec_lo, exec_lo, s2
	s_mov_b32 s2, 0
.LBB2660_90:
	s_delay_alu instid0(SALU_CYCLE_1)
	s_and_b32 vcc_lo, exec_lo, s2
	s_cbranch_vccz .LBB2660_149
; %bb.91:
	s_mov_b32 s25, 0
	v_dual_mov_b32 v11, 0 :: v_dual_lshlrev_b32 v10, 2, v16
	s_lshl_b64 s[2:3], s[24:25], 2
	v_mul_u32_u24_e32 v1, 12, v17
	s_add_nc_u64 s[2:3], s[16:17], s[2:3]
	s_delay_alu instid0(VALU_DEP_2) | instid1(SALU_CYCLE_1)
	v_add_nc_u64_e32 v[2:3], s[2:3], v[10:11]
	s_delay_alu instid0(VALU_DEP_2) | instskip(NEXT) | instid1(VALU_DEP_1)
	v_lshlrev_b32_e32 v10, 2, v1
	v_add_nc_u64_e32 v[14:15], v[2:3], v[10:11]
	v_bfe_u32 v10, v0, 20, 10
	s_clause 0xb
	global_load_b32 v5, v[14:15], off
	global_load_b32 v12, v[14:15], off offset:128
	global_load_b32 v13, v[14:15], off offset:256
	;; [unrolled: 1-line block ×11, first 2 shown]
	s_clause 0x1
	s_load_b32 s7, s[0:1], 0x58
	s_load_u16 s2, s[0:1], 0x66
	v_and_b32_e32 v14, 0x3ff, v0
	s_wait_kmcnt 0x0
	s_cmp_lt_u32 s9, s7
	s_cselect_b32 s24, 12, 18
	s_lshl_b32 s8, -1, s21
	s_add_nc_u64 s[0:1], s[26:27], s[24:25]
	s_load_u16 s0, s[0:1], 0x0
	s_wait_loadcnt 0xb
	v_not_b32_e32 v15, v5
	v_bfe_u32 v5, v0, 10, 10
	s_delay_alu instid0(VALU_DEP_2) | instskip(NEXT) | instid1(VALU_DEP_2)
	v_lshrrev_b32_e32 v18, s20, v15
	v_mad_u32_u24 v0, v10, s2, v5
	s_delay_alu instid0(VALU_DEP_2) | instskip(SKIP_2) | instid1(VALU_DEP_3)
	v_bitop3_b32 v5, v18, 1, s8 bitop3:0x40
	v_bitop3_b32 v19, v18, s8, v18 bitop3:0x30
	s_wait_kmcnt 0x0
	v_mad_u32 v0, v0, s0, v14
	s_delay_alu instid0(VALU_DEP_3) | instskip(NEXT) | instid1(VALU_DEP_1)
	v_add_co_u32 v5, s0, v5, -1
	v_cndmask_b32_e64 v10, 0, 1, s0
	v_dual_lshlrev_b32 v18, 30, v19 :: v_dual_lshlrev_b32 v21, 29, v19
	v_dual_lshlrev_b32 v22, 28, v19 :: v_dual_lshlrev_b32 v23, 27, v19
	s_delay_alu instid0(VALU_DEP_3) | instskip(NEXT) | instid1(VALU_DEP_3)
	v_cmp_ne_u32_e32 vcc_lo, 0, v10
	v_not_b32_e32 v10, v18
	v_dual_lshlrev_b32 v24, 26, v19 :: v_dual_lshlrev_b32 v25, 25, v19
	v_lshlrev_b32_e32 v26, 24, v19
	v_cmp_gt_i32_e64 s0, 0, v18
	v_cmp_gt_i32_e64 s1, 0, v21
	v_not_b32_e32 v18, v21
	v_not_b32_e32 v21, v22
	v_ashrrev_i32_e32 v10, 31, v10
	v_cmp_gt_i32_e64 s2, 0, v22
	v_cmp_gt_i32_e64 s3, 0, v23
	v_not_b32_e32 v22, v23
	v_not_b32_e32 v23, v24
	v_dual_ashrrev_i32 v18, 31, v18 :: v_dual_bitop2_b32 v5, vcc_lo, v5 bitop3:0x14
	v_dual_ashrrev_i32 v21, 31, v21 :: v_dual_bitop2_b32 v10, s0, v10 bitop3:0x14
	v_cmp_gt_i32_e64 s4, 0, v24
	v_cmp_gt_i32_e64 s5, 0, v25
	v_not_b32_e32 v24, v25
	v_not_b32_e32 v25, v26
	v_dual_ashrrev_i32 v22, 31, v22 :: v_dual_ashrrev_i32 v23, 31, v23
	v_xor_b32_e32 v18, s1, v18
	v_dual_lshrrev_b32 v0, 5, v0 :: v_dual_bitop2_b32 v21, s2, v21 bitop3:0x14
	v_bitop3_b32 v5, v5, v10, exec_lo bitop3:0x80
	v_cmp_gt_i32_e64 s6, 0, v26
	v_dual_ashrrev_i32 v10, 31, v24 :: v_dual_ashrrev_i32 v24, 31, v25
	v_xor_b32_e32 v22, s3, v22
	v_dual_lshlrev_b32 v0, 2, v0 :: v_dual_bitop2_b32 v23, s4, v23 bitop3:0x14
	v_bitop3_b32 v5, v5, v21, v18 bitop3:0x80
	s_delay_alu instid0(VALU_DEP_4)
	v_xor_b32_e32 v18, s5, v10
	v_xor_b32_e32 v21, s6, v24
	v_mul_u32_u24_e32 v10, 36, v14
	ds_store_2addr_b32 v10, v11, v11 offset0:16 offset1:17
	ds_store_2addr_b32 v10, v11, v11 offset0:18 offset1:19
	ds_store_2addr_b32 v10, v11, v11 offset0:20 offset1:21
	ds_store_2addr_b32 v10, v11, v11 offset0:22 offset1:23
	v_bitop3_b32 v5, v5, v23, v22 bitop3:0x80
	ds_store_b32 v10, v11 offset:96
	v_mad_u32 v11, 0x44, v19, v0
	s_not_b32 s5, s8
	s_wait_storecnt 0x0
	s_wait_loadcnt_dscnt 0x0
	v_bitop3_b32 v18, v5, v21, v18 bitop3:0x80
	s_barrier_signal -1
	s_barrier_wait -1
	s_delay_alu instid0(VALU_DEP_1) | instskip(SKIP_1) | instid1(VALU_DEP_2)
	v_mbcnt_lo_u32_b32 v5, v18, 0
	v_cmp_ne_u32_e64 s0, 0, v18
	; wave barrier
	v_cmp_eq_u32_e32 vcc_lo, 0, v5
	s_and_b32 s1, s0, vcc_lo
	s_delay_alu instid0(SALU_CYCLE_1)
	s_and_saveexec_b32 s0, s1
; %bb.92:
	v_bcnt_u32_b32 v18, v18, 0
	ds_store_b32 v11, v18 offset:64
; %bb.93:
	s_or_b32 exec_lo, exec_lo, s0
	v_not_b32_e32 v18, v12
	; wave barrier
	s_delay_alu instid0(VALU_DEP_1) | instskip(NEXT) | instid1(VALU_DEP_1)
	v_lshrrev_b32_e32 v12, s20, v18
	v_and_b32_e32 v19, s5, v12
	s_delay_alu instid0(VALU_DEP_1) | instskip(SKIP_1) | instid1(VALU_DEP_1)
	v_lshlrev_b32_e32 v23, 30, v19
	v_bitop3_b32 v21, v12, 1, s5 bitop3:0x80
	v_add_co_u32 v21, s0, v21, -1
	s_delay_alu instid0(VALU_DEP_1) | instskip(NEXT) | instid1(VALU_DEP_4)
	v_cndmask_b32_e64 v22, 0, 1, s0
	v_cmp_gt_i32_e64 s0, 0, v23
	s_delay_alu instid0(VALU_DEP_2) | instskip(SKIP_1) | instid1(VALU_DEP_1)
	v_cmp_ne_u32_e32 vcc_lo, 0, v22
	v_not_b32_e32 v22, v23
	v_dual_ashrrev_i32 v22, 31, v22 :: v_dual_lshlrev_b32 v24, 29, v19
	v_dual_lshlrev_b32 v25, 28, v19 :: v_dual_lshlrev_b32 v26, 27, v19
	v_lshlrev_b32_e32 v27, 26, v19
	v_mad_u32 v12, 0x44, v19, v0
	s_delay_alu instid0(VALU_DEP_4)
	v_cmp_gt_i32_e64 s1, 0, v24
	v_not_b32_e32 v23, v24
	v_not_b32_e32 v24, v25
	v_dual_lshlrev_b32 v28, 25, v19 :: v_dual_lshlrev_b32 v19, 24, v19
	v_cmp_gt_i32_e64 s2, 0, v25
	v_cmp_gt_i32_e64 s3, 0, v26
	v_not_b32_e32 v25, v26
	v_not_b32_e32 v26, v27
	v_dual_ashrrev_i32 v23, 31, v23 :: v_dual_bitop2_b32 v21, vcc_lo, v21 bitop3:0x14
	v_dual_ashrrev_i32 v24, 31, v24 :: v_dual_bitop2_b32 v22, s0, v22 bitop3:0x14
	v_cmp_gt_i32_e64 s4, 0, v27
	s_delay_alu instid0(VALU_DEP_4) | instskip(SKIP_1) | instid1(VALU_DEP_4)
	v_dual_ashrrev_i32 v25, 31, v25 :: v_dual_ashrrev_i32 v26, 31, v26
	v_not_b32_e32 v27, v19
	v_xor_b32_e32 v24, s2, v24
	v_bitop3_b32 v21, v21, v22, exec_lo bitop3:0x80
	v_not_b32_e32 v22, v28
	v_xor_b32_e32 v23, s1, v23
	v_xor_b32_e32 v25, s3, v25
	;; [unrolled: 1-line block ×3, first 2 shown]
	v_cmp_gt_i32_e32 vcc_lo, 0, v28
	v_ashrrev_i32_e32 v22, 31, v22
	v_cmp_gt_i32_e64 s0, 0, v19
	v_ashrrev_i32_e32 v19, 31, v27
	v_bitop3_b32 v21, v21, v24, v23 bitop3:0x80
	s_delay_alu instid0(VALU_DEP_4) | instskip(NEXT) | instid1(VALU_DEP_3)
	v_xor_b32_e32 v22, vcc_lo, v22
	v_xor_b32_e32 v19, s0, v19
	s_delay_alu instid0(VALU_DEP_3) | instskip(SKIP_2) | instid1(VALU_DEP_1)
	v_bitop3_b32 v23, v21, v26, v25 bitop3:0x80
	ds_load_b32 v21, v12 offset:64
	; wave barrier
	v_bitop3_b32 v19, v23, v19, v22 bitop3:0x80
	v_mbcnt_lo_u32_b32 v22, v19, 0
	v_cmp_ne_u32_e64 s0, 0, v19
	s_delay_alu instid0(VALU_DEP_2) | instskip(SKIP_1) | instid1(SALU_CYCLE_1)
	v_cmp_eq_u32_e32 vcc_lo, 0, v22
	s_and_b32 s1, s0, vcc_lo
	s_and_saveexec_b32 s0, s1
	s_cbranch_execz .LBB2660_95
; %bb.94:
	s_wait_dscnt 0x0
	v_bcnt_u32_b32 v19, v19, v21
	ds_store_b32 v12, v19 offset:64
.LBB2660_95:
	s_or_b32 exec_lo, exec_lo, s0
	v_not_b32_e32 v19, v13
	; wave barrier
	s_delay_alu instid0(VALU_DEP_1) | instskip(NEXT) | instid1(VALU_DEP_1)
	v_lshrrev_b32_e32 v13, s20, v19
	v_bitop3_b32 v24, v13, 1, s5 bitop3:0x80
	v_and_b32_e32 v23, s5, v13
	s_delay_alu instid0(VALU_DEP_2) | instskip(NEXT) | instid1(VALU_DEP_1)
	v_add_co_u32 v24, s0, v24, -1
	v_cndmask_b32_e64 v25, 0, 1, s0
	s_delay_alu instid0(VALU_DEP_3) | instskip(NEXT) | instid1(VALU_DEP_2)
	v_dual_lshlrev_b32 v26, 30, v23 :: v_dual_lshlrev_b32 v27, 29, v23
	v_cmp_ne_u32_e32 vcc_lo, 0, v25
	s_delay_alu instid0(VALU_DEP_2) | instskip(SKIP_1) | instid1(VALU_DEP_4)
	v_cmp_gt_i32_e64 s0, 0, v26
	v_not_b32_e32 v25, v26
	v_not_b32_e32 v26, v27
	v_cmp_gt_i32_e64 s1, 0, v27
	s_delay_alu instid0(VALU_DEP_3) | instskip(NEXT) | instid1(VALU_DEP_3)
	v_dual_ashrrev_i32 v25, 31, v25 :: v_dual_bitop2_b32 v24, vcc_lo, v24 bitop3:0x14
	v_dual_ashrrev_i32 v26, 31, v26 :: v_dual_lshlrev_b32 v28, 28, v23
	v_dual_lshlrev_b32 v29, 27, v23 :: v_dual_lshlrev_b32 v30, 26, v23
	v_lshlrev_b32_e32 v31, 25, v23
	v_mad_u32 v13, 0x44, v23, v0
	s_delay_alu instid0(VALU_DEP_4)
	v_not_b32_e32 v27, v28
	v_lshlrev_b32_e32 v23, 24, v23
	v_cmp_gt_i32_e64 s2, 0, v28
	v_cmp_gt_i32_e64 s3, 0, v29
	v_not_b32_e32 v28, v29
	v_not_b32_e32 v29, v30
	v_dual_ashrrev_i32 v27, 31, v27 :: v_dual_bitop2_b32 v25, s0, v25 bitop3:0x14
	v_cmp_gt_i32_e64 s4, 0, v30
	s_delay_alu instid0(VALU_DEP_3) | instskip(SKIP_1) | instid1(VALU_DEP_4)
	v_dual_ashrrev_i32 v28, 31, v28 :: v_dual_ashrrev_i32 v29, 31, v29
	v_not_b32_e32 v30, v23
	v_xor_b32_e32 v27, s2, v27
	v_bitop3_b32 v24, v24, v25, exec_lo bitop3:0x80
	v_not_b32_e32 v25, v31
	v_xor_b32_e32 v26, s1, v26
	v_xor_b32_e32 v28, s3, v28
	;; [unrolled: 1-line block ×3, first 2 shown]
	v_cmp_gt_i32_e32 vcc_lo, 0, v31
	v_ashrrev_i32_e32 v25, 31, v25
	v_cmp_gt_i32_e64 s0, 0, v23
	v_ashrrev_i32_e32 v23, 31, v30
	v_bitop3_b32 v24, v24, v27, v26 bitop3:0x80
	s_delay_alu instid0(VALU_DEP_4) | instskip(NEXT) | instid1(VALU_DEP_3)
	v_xor_b32_e32 v25, vcc_lo, v25
	v_xor_b32_e32 v23, s0, v23
	s_delay_alu instid0(VALU_DEP_3) | instskip(SKIP_2) | instid1(VALU_DEP_1)
	v_bitop3_b32 v26, v24, v29, v28 bitop3:0x80
	ds_load_b32 v24, v13 offset:64
	; wave barrier
	v_bitop3_b32 v23, v26, v23, v25 bitop3:0x80
	v_mbcnt_lo_u32_b32 v25, v23, 0
	v_cmp_ne_u32_e64 s0, 0, v23
	s_delay_alu instid0(VALU_DEP_2) | instskip(SKIP_1) | instid1(SALU_CYCLE_1)
	v_cmp_eq_u32_e32 vcc_lo, 0, v25
	s_and_b32 s1, s0, vcc_lo
	s_and_saveexec_b32 s0, s1
	s_cbranch_execz .LBB2660_97
; %bb.96:
	s_wait_dscnt 0x0
	v_bcnt_u32_b32 v23, v23, v24
	ds_store_b32 v13, v23 offset:64
.LBB2660_97:
	s_or_b32 exec_lo, exec_lo, s0
	v_not_b32_e32 v20, v20
	; wave barrier
	s_delay_alu instid0(VALU_DEP_1) | instskip(NEXT) | instid1(VALU_DEP_1)
	v_lshrrev_b32_e32 v23, s20, v20
	v_and_b32_e32 v26, s5, v23
	s_delay_alu instid0(VALU_DEP_1) | instskip(SKIP_2) | instid1(VALU_DEP_2)
	v_lshlrev_b32_e32 v28, 30, v26
	v_bitop3_b32 v23, v23, 1, s5 bitop3:0x80
	v_lshlrev_b32_e32 v29, 29, v26
	v_add_co_u32 v23, s0, v23, -1
	s_delay_alu instid0(VALU_DEP_1) | instskip(SKIP_1) | instid1(VALU_DEP_2)
	v_cndmask_b32_e64 v27, 0, 1, s0
	v_cmp_gt_i32_e64 s0, 0, v28
	v_cmp_ne_u32_e32 vcc_lo, 0, v27
	v_not_b32_e32 v27, v28
	v_not_b32_e32 v28, v29
	s_delay_alu instid0(VALU_DEP_1)
	v_dual_ashrrev_i32 v28, 31, v28 :: v_dual_lshlrev_b32 v30, 28, v26
	v_mad_u32 v33, 0x44, v26, v0
	v_dual_lshlrev_b32 v31, 27, v26 :: v_dual_lshlrev_b32 v32, 26, v26
	v_dual_lshlrev_b32 v34, 25, v26 :: v_dual_lshlrev_b32 v26, 24, v26
	v_cmp_gt_i32_e64 s1, 0, v29
	v_not_b32_e32 v29, v30
	v_ashrrev_i32_e32 v27, 31, v27
	v_cmp_gt_i32_e64 s2, 0, v30
	v_cmp_gt_i32_e64 s3, 0, v31
	v_not_b32_e32 v30, v31
	v_cmp_gt_i32_e64 s4, 0, v32
	v_not_b32_e32 v31, v32
	v_dual_ashrrev_i32 v29, 31, v29 :: v_dual_bitop2_b32 v23, vcc_lo, v23 bitop3:0x14
	v_not_b32_e32 v32, v26
	v_dual_ashrrev_i32 v30, 31, v30 :: v_dual_bitop2_b32 v27, s0, v27 bitop3:0x14
	s_delay_alu instid0(VALU_DEP_4) | instskip(SKIP_1) | instid1(VALU_DEP_4)
	v_dual_ashrrev_i32 v31, 31, v31 :: v_dual_bitop2_b32 v28, s1, v28 bitop3:0x14
	v_cmp_gt_i32_e64 s0, 0, v26
	v_ashrrev_i32_e32 v26, 31, v32
	s_delay_alu instid0(VALU_DEP_4)
	v_bitop3_b32 v23, v23, v27, exec_lo bitop3:0x80
	v_not_b32_e32 v27, v34
	v_xor_b32_e32 v29, s2, v29
	v_xor_b32_e32 v30, s3, v30
	;; [unrolled: 1-line block ×3, first 2 shown]
	v_cmp_gt_i32_e32 vcc_lo, 0, v34
	v_ashrrev_i32_e32 v27, 31, v27
	v_bitop3_b32 v23, v23, v29, v28 bitop3:0x80
	v_xor_b32_e32 v26, s0, v26
	s_delay_alu instid0(VALU_DEP_3) | instskip(NEXT) | instid1(VALU_DEP_3)
	v_xor_b32_e32 v28, vcc_lo, v27
	v_bitop3_b32 v23, v23, v31, v30 bitop3:0x80
	ds_load_b32 v27, v33 offset:64
	; wave barrier
	v_bitop3_b32 v23, v23, v26, v28 bitop3:0x80
	s_delay_alu instid0(VALU_DEP_1) | instskip(SKIP_1) | instid1(VALU_DEP_2)
	v_mbcnt_lo_u32_b32 v28, v23, 0
	v_cmp_ne_u32_e64 s0, 0, v23
	v_cmp_eq_u32_e32 vcc_lo, 0, v28
	s_and_b32 s1, s0, vcc_lo
	s_delay_alu instid0(SALU_CYCLE_1)
	s_and_saveexec_b32 s0, s1
	s_cbranch_execz .LBB2660_99
; %bb.98:
	s_wait_dscnt 0x0
	v_bcnt_u32_b32 v23, v23, v27
	ds_store_b32 v33, v23 offset:64
.LBB2660_99:
	s_or_b32 exec_lo, exec_lo, s0
	v_not_b32_e32 v23, v9
	; wave barrier
	s_delay_alu instid0(VALU_DEP_1) | instskip(NEXT) | instid1(VALU_DEP_1)
	v_lshrrev_b32_e32 v9, s20, v23
	v_and_b32_e32 v26, s5, v9
	s_delay_alu instid0(VALU_DEP_1) | instskip(SKIP_2) | instid1(VALU_DEP_2)
	v_lshlrev_b32_e32 v30, 30, v26
	v_bitop3_b32 v9, v9, 1, s5 bitop3:0x80
	v_lshlrev_b32_e32 v31, 29, v26
	v_add_co_u32 v9, s0, v9, -1
	s_delay_alu instid0(VALU_DEP_1) | instskip(SKIP_1) | instid1(VALU_DEP_2)
	v_cndmask_b32_e64 v29, 0, 1, s0
	v_cmp_gt_i32_e64 s0, 0, v30
	v_cmp_ne_u32_e32 vcc_lo, 0, v29
	v_not_b32_e32 v29, v30
	v_not_b32_e32 v30, v31
	s_delay_alu instid0(VALU_DEP_1) | instskip(SKIP_4) | instid1(VALU_DEP_4)
	v_ashrrev_i32_e32 v30, 31, v30
	v_dual_lshlrev_b32 v32, 28, v26 :: v_dual_lshlrev_b32 v34, 27, v26
	v_lshlrev_b32_e32 v35, 26, v26
	v_cmp_gt_i32_e64 s1, 0, v31
	v_mad_u32 v37, 0x44, v26, v0
	v_not_b32_e32 v31, v32
	v_dual_ashrrev_i32 v29, 31, v29 :: v_dual_lshlrev_b32 v36, 25, v26
	v_lshlrev_b32_e32 v26, 24, v26
	v_cmp_gt_i32_e64 s2, 0, v32
	v_cmp_gt_i32_e64 s3, 0, v34
	v_not_b32_e32 v32, v34
	v_not_b32_e32 v34, v35
	v_dual_ashrrev_i32 v31, 31, v31 :: v_dual_bitop2_b32 v9, vcc_lo, v9 bitop3:0x14
	v_xor_b32_e32 v29, s0, v29
	v_cmp_gt_i32_e64 s4, 0, v35
	s_delay_alu instid0(VALU_DEP_4) | instskip(NEXT) | instid1(VALU_DEP_4)
	v_dual_ashrrev_i32 v32, 31, v32 :: v_dual_ashrrev_i32 v34, 31, v34
	v_xor_b32_e32 v31, s2, v31
	s_delay_alu instid0(VALU_DEP_4)
	v_bitop3_b32 v9, v9, v29, exec_lo bitop3:0x80
	v_not_b32_e32 v29, v36
	v_xor_b32_e32 v30, s1, v30
	v_not_b32_e32 v35, v26
	v_xor_b32_e32 v32, s3, v32
	v_xor_b32_e32 v34, s4, v34
	v_cmp_gt_i32_e32 vcc_lo, 0, v36
	v_ashrrev_i32_e32 v29, 31, v29
	v_bitop3_b32 v9, v9, v31, v30 bitop3:0x80
	v_cmp_gt_i32_e64 s0, 0, v26
	v_ashrrev_i32_e32 v26, 31, v35
	ds_load_b32 v30, v37 offset:64
	v_xor_b32_e32 v29, vcc_lo, v29
	v_bitop3_b32 v9, v9, v34, v32 bitop3:0x80
	v_xor_b32_e32 v26, s0, v26
	; wave barrier
	s_delay_alu instid0(VALU_DEP_1) | instskip(NEXT) | instid1(VALU_DEP_1)
	v_bitop3_b32 v9, v9, v26, v29 bitop3:0x80
	v_mbcnt_lo_u32_b32 v31, v9, 0
	v_cmp_ne_u32_e64 s0, 0, v9
	s_delay_alu instid0(VALU_DEP_2) | instskip(SKIP_1) | instid1(SALU_CYCLE_1)
	v_cmp_eq_u32_e32 vcc_lo, 0, v31
	s_and_b32 s1, s0, vcc_lo
	s_and_saveexec_b32 s0, s1
	s_cbranch_execz .LBB2660_101
; %bb.100:
	s_wait_dscnt 0x0
	v_bcnt_u32_b32 v9, v9, v30
	ds_store_b32 v37, v9 offset:64
.LBB2660_101:
	s_or_b32 exec_lo, exec_lo, s0
	v_not_b32_e32 v26, v8
	; wave barrier
	s_delay_alu instid0(VALU_DEP_1) | instskip(NEXT) | instid1(VALU_DEP_1)
	v_lshrrev_b32_e32 v8, s20, v26
	v_and_b32_e32 v9, s5, v8
	s_delay_alu instid0(VALU_DEP_1) | instskip(SKIP_1) | instid1(VALU_DEP_1)
	v_lshlrev_b32_e32 v32, 30, v9
	v_bitop3_b32 v8, v8, 1, s5 bitop3:0x80
	v_add_co_u32 v8, s0, v8, -1
	s_delay_alu instid0(VALU_DEP_1) | instskip(NEXT) | instid1(VALU_DEP_4)
	v_cndmask_b32_e64 v29, 0, 1, s0
	v_cmp_gt_i32_e64 s0, 0, v32
	s_delay_alu instid0(VALU_DEP_2) | instskip(SKIP_1) | instid1(VALU_DEP_1)
	v_cmp_ne_u32_e32 vcc_lo, 0, v29
	v_not_b32_e32 v29, v32
	v_ashrrev_i32_e32 v29, 31, v29
	v_dual_lshlrev_b32 v34, 29, v9 :: v_dual_lshlrev_b32 v35, 28, v9
	v_dual_lshlrev_b32 v36, 27, v9 :: v_dual_lshlrev_b32 v38, 26, v9
	v_mad_u32 v40, 0x44, v9, v0
	s_delay_alu instid0(VALU_DEP_3)
	v_cmp_gt_i32_e64 s1, 0, v34
	v_not_b32_e32 v32, v34
	v_not_b32_e32 v34, v35
	v_dual_lshlrev_b32 v39, 25, v9 :: v_dual_lshlrev_b32 v9, 24, v9
	v_cmp_gt_i32_e64 s2, 0, v35
	v_cmp_gt_i32_e64 s3, 0, v36
	v_not_b32_e32 v35, v36
	v_not_b32_e32 v36, v38
	v_dual_ashrrev_i32 v34, 31, v34 :: v_dual_bitop2_b32 v8, vcc_lo, v8 bitop3:0x14
	v_dual_ashrrev_i32 v32, 31, v32 :: v_dual_bitop2_b32 v29, s0, v29 bitop3:0x14
	v_cmp_gt_i32_e64 s4, 0, v38
	s_delay_alu instid0(VALU_DEP_4) | instskip(NEXT) | instid1(VALU_DEP_4)
	v_dual_ashrrev_i32 v35, 31, v35 :: v_dual_ashrrev_i32 v36, 31, v36
	v_xor_b32_e32 v34, s2, v34
	s_delay_alu instid0(VALU_DEP_4)
	v_bitop3_b32 v8, v8, v29, exec_lo bitop3:0x80
	v_not_b32_e32 v29, v39
	v_xor_b32_e32 v32, s1, v32
	v_not_b32_e32 v38, v9
	v_xor_b32_e32 v35, s3, v35
	v_xor_b32_e32 v36, s4, v36
	v_cmp_gt_i32_e32 vcc_lo, 0, v39
	v_ashrrev_i32_e32 v29, 31, v29
	v_bitop3_b32 v8, v8, v34, v32 bitop3:0x80
	v_cmp_gt_i32_e64 s0, 0, v9
	v_ashrrev_i32_e32 v9, 31, v38
	ds_load_b32 v34, v40 offset:64
	v_xor_b32_e32 v29, vcc_lo, v29
	v_bitop3_b32 v8, v8, v36, v35 bitop3:0x80
	v_xor_b32_e32 v9, s0, v9
	; wave barrier
	s_delay_alu instid0(VALU_DEP_1) | instskip(NEXT) | instid1(VALU_DEP_1)
	v_bitop3_b32 v8, v8, v9, v29 bitop3:0x80
	v_mbcnt_lo_u32_b32 v35, v8, 0
	v_cmp_ne_u32_e64 s0, 0, v8
	s_delay_alu instid0(VALU_DEP_2) | instskip(SKIP_1) | instid1(SALU_CYCLE_1)
	v_cmp_eq_u32_e32 vcc_lo, 0, v35
	s_and_b32 s1, s0, vcc_lo
	s_and_saveexec_b32 s0, s1
	s_cbranch_execz .LBB2660_103
; %bb.102:
	s_wait_dscnt 0x0
	v_bcnt_u32_b32 v8, v8, v34
	ds_store_b32 v40, v8 offset:64
.LBB2660_103:
	s_or_b32 exec_lo, exec_lo, s0
	v_not_b32_e32 v29, v7
	; wave barrier
	s_delay_alu instid0(VALU_DEP_1) | instskip(NEXT) | instid1(VALU_DEP_1)
	v_lshrrev_b32_e32 v7, s20, v29
	v_and_b32_e32 v8, s5, v7
	s_delay_alu instid0(VALU_DEP_1) | instskip(SKIP_1) | instid1(VALU_DEP_1)
	v_lshlrev_b32_e32 v32, 30, v8
	v_bitop3_b32 v7, v7, 1, s5 bitop3:0x80
	v_add_co_u32 v7, s0, v7, -1
	s_delay_alu instid0(VALU_DEP_1) | instskip(NEXT) | instid1(VALU_DEP_4)
	v_cndmask_b32_e64 v9, 0, 1, s0
	v_cmp_gt_i32_e64 s0, 0, v32
	s_delay_alu instid0(VALU_DEP_2) | instskip(SKIP_1) | instid1(VALU_DEP_1)
	v_cmp_ne_u32_e32 vcc_lo, 0, v9
	v_not_b32_e32 v9, v32
	v_dual_ashrrev_i32 v9, 31, v9 :: v_dual_lshlrev_b32 v36, 29, v8
	v_dual_lshlrev_b32 v38, 28, v8 :: v_dual_lshlrev_b32 v39, 27, v8
	v_lshlrev_b32_e32 v41, 26, v8
	v_mad_u32 v44, 0x44, v8, v0
	s_delay_alu instid0(VALU_DEP_4)
	v_cmp_gt_i32_e64 s1, 0, v36
	v_not_b32_e32 v32, v36
	v_not_b32_e32 v36, v38
	v_dual_lshlrev_b32 v42, 25, v8 :: v_dual_lshlrev_b32 v8, 24, v8
	v_cmp_gt_i32_e64 s2, 0, v38
	v_cmp_gt_i32_e64 s3, 0, v39
	v_not_b32_e32 v38, v39
	v_not_b32_e32 v39, v41
	v_dual_ashrrev_i32 v32, 31, v32 :: v_dual_bitop2_b32 v7, vcc_lo, v7 bitop3:0x14
	v_dual_ashrrev_i32 v36, 31, v36 :: v_dual_bitop2_b32 v9, s0, v9 bitop3:0x14
	v_cmp_gt_i32_e64 s4, 0, v41
	s_delay_alu instid0(VALU_DEP_4) | instskip(SKIP_1) | instid1(VALU_DEP_4)
	v_dual_ashrrev_i32 v38, 31, v38 :: v_dual_ashrrev_i32 v39, 31, v39
	v_not_b32_e32 v41, v8
	v_xor_b32_e32 v36, s2, v36
	v_bitop3_b32 v7, v7, v9, exec_lo bitop3:0x80
	v_not_b32_e32 v9, v42
	v_xor_b32_e32 v32, s1, v32
	v_xor_b32_e32 v38, s3, v38
	;; [unrolled: 1-line block ×3, first 2 shown]
	v_cmp_gt_i32_e32 vcc_lo, 0, v42
	v_ashrrev_i32_e32 v9, 31, v9
	v_cmp_gt_i32_e64 s0, 0, v8
	v_ashrrev_i32_e32 v8, 31, v41
	v_bitop3_b32 v7, v7, v36, v32 bitop3:0x80
	s_delay_alu instid0(VALU_DEP_4) | instskip(NEXT) | instid1(VALU_DEP_3)
	v_xor_b32_e32 v9, vcc_lo, v9
	v_xor_b32_e32 v8, s0, v8
	s_delay_alu instid0(VALU_DEP_3) | instskip(SKIP_2) | instid1(VALU_DEP_1)
	v_bitop3_b32 v7, v7, v39, v38 bitop3:0x80
	ds_load_b32 v38, v44 offset:64
	; wave barrier
	v_bitop3_b32 v7, v7, v8, v9 bitop3:0x80
	v_mbcnt_lo_u32_b32 v39, v7, 0
	v_cmp_ne_u32_e64 s0, 0, v7
	s_delay_alu instid0(VALU_DEP_2) | instskip(SKIP_1) | instid1(SALU_CYCLE_1)
	v_cmp_eq_u32_e32 vcc_lo, 0, v39
	s_and_b32 s1, s0, vcc_lo
	s_and_saveexec_b32 s0, s1
	s_cbranch_execz .LBB2660_105
; %bb.104:
	s_wait_dscnt 0x0
	v_bcnt_u32_b32 v7, v7, v38
	ds_store_b32 v44, v7 offset:64
.LBB2660_105:
	s_or_b32 exec_lo, exec_lo, s0
	v_not_b32_e32 v32, v6
	; wave barrier
	s_delay_alu instid0(VALU_DEP_1) | instskip(NEXT) | instid1(VALU_DEP_1)
	v_lshrrev_b32_e32 v6, s20, v32
	v_and_b32_e32 v7, s5, v6
	s_delay_alu instid0(VALU_DEP_1) | instskip(SKIP_1) | instid1(VALU_DEP_1)
	v_lshlrev_b32_e32 v9, 30, v7
	v_bitop3_b32 v6, v6, 1, s5 bitop3:0x80
	v_add_co_u32 v6, s0, v6, -1
	s_delay_alu instid0(VALU_DEP_1) | instskip(NEXT) | instid1(VALU_DEP_4)
	v_cndmask_b32_e64 v8, 0, 1, s0
	v_cmp_gt_i32_e64 s0, 0, v9
	s_delay_alu instid0(VALU_DEP_2) | instskip(SKIP_1) | instid1(VALU_DEP_1)
	v_cmp_ne_u32_e32 vcc_lo, 0, v8
	v_not_b32_e32 v8, v9
	v_dual_ashrrev_i32 v8, 31, v8 :: v_dual_lshlrev_b32 v36, 29, v7
	v_dual_lshlrev_b32 v41, 28, v7 :: v_dual_lshlrev_b32 v42, 27, v7
	v_lshlrev_b32_e32 v43, 26, v7
	v_mad_u32 v47, 0x44, v7, v0
	s_delay_alu instid0(VALU_DEP_4)
	v_cmp_gt_i32_e64 s1, 0, v36
	v_not_b32_e32 v9, v36
	v_not_b32_e32 v36, v41
	v_dual_lshlrev_b32 v45, 25, v7 :: v_dual_lshlrev_b32 v7, 24, v7
	v_cmp_gt_i32_e64 s2, 0, v41
	v_cmp_gt_i32_e64 s3, 0, v42
	v_not_b32_e32 v41, v42
	v_not_b32_e32 v42, v43
	v_dual_ashrrev_i32 v9, 31, v9 :: v_dual_bitop2_b32 v6, vcc_lo, v6 bitop3:0x14
	s_delay_alu instid0(VALU_DEP_3) | instskip(NEXT) | instid1(VALU_DEP_3)
	v_dual_ashrrev_i32 v36, 31, v36 :: v_dual_ashrrev_i32 v41, 31, v41
	v_dual_ashrrev_i32 v42, 31, v42 :: v_dual_bitop2_b32 v8, s0, v8 bitop3:0x14
	v_cmp_gt_i32_e64 s4, 0, v43
	v_not_b32_e32 v43, v7
	s_delay_alu instid0(VALU_DEP_4) | instskip(NEXT) | instid1(VALU_DEP_4)
	v_xor_b32_e32 v36, s2, v36
	v_bitop3_b32 v6, v6, v8, exec_lo bitop3:0x80
	v_not_b32_e32 v8, v45
	v_xor_b32_e32 v9, s1, v9
	v_xor_b32_e32 v41, s3, v41
	;; [unrolled: 1-line block ×3, first 2 shown]
	v_cmp_gt_i32_e32 vcc_lo, 0, v45
	v_ashrrev_i32_e32 v8, 31, v8
	v_cmp_gt_i32_e64 s0, 0, v7
	v_ashrrev_i32_e32 v7, 31, v43
	v_bitop3_b32 v6, v6, v36, v9 bitop3:0x80
	s_delay_alu instid0(VALU_DEP_4) | instskip(NEXT) | instid1(VALU_DEP_3)
	v_xor_b32_e32 v8, vcc_lo, v8
	v_xor_b32_e32 v7, s0, v7
	s_delay_alu instid0(VALU_DEP_3) | instskip(SKIP_2) | instid1(VALU_DEP_1)
	v_bitop3_b32 v6, v6, v42, v41 bitop3:0x80
	ds_load_b32 v42, v47 offset:64
	; wave barrier
	v_bitop3_b32 v6, v6, v7, v8 bitop3:0x80
	v_mbcnt_lo_u32_b32 v43, v6, 0
	v_cmp_ne_u32_e64 s0, 0, v6
	s_delay_alu instid0(VALU_DEP_2) | instskip(SKIP_1) | instid1(SALU_CYCLE_1)
	v_cmp_eq_u32_e32 vcc_lo, 0, v43
	s_and_b32 s1, s0, vcc_lo
	s_and_saveexec_b32 s0, s1
	s_cbranch_execz .LBB2660_107
; %bb.106:
	s_wait_dscnt 0x0
	v_bcnt_u32_b32 v6, v6, v42
	ds_store_b32 v47, v6 offset:64
.LBB2660_107:
	s_or_b32 exec_lo, exec_lo, s0
	v_not_b32_e32 v36, v4
	; wave barrier
	s_delay_alu instid0(VALU_DEP_1) | instskip(NEXT) | instid1(VALU_DEP_1)
	v_lshrrev_b32_e32 v4, s20, v36
	v_and_b32_e32 v6, s5, v4
	s_delay_alu instid0(VALU_DEP_1) | instskip(SKIP_1) | instid1(VALU_DEP_1)
	v_lshlrev_b32_e32 v8, 30, v6
	v_bitop3_b32 v4, v4, 1, s5 bitop3:0x80
	v_add_co_u32 v4, s0, v4, -1
	s_delay_alu instid0(VALU_DEP_1) | instskip(NEXT) | instid1(VALU_DEP_4)
	v_cndmask_b32_e64 v7, 0, 1, s0
	v_cmp_gt_i32_e64 s0, 0, v8
	s_delay_alu instid0(VALU_DEP_2) | instskip(SKIP_1) | instid1(VALU_DEP_1)
	v_cmp_ne_u32_e32 vcc_lo, 0, v7
	v_not_b32_e32 v7, v8
	v_dual_ashrrev_i32 v7, 31, v7 :: v_dual_lshlrev_b32 v9, 29, v6
	v_dual_lshlrev_b32 v41, 28, v6 :: v_dual_lshlrev_b32 v45, 27, v6
	v_lshlrev_b32_e32 v46, 26, v6
	v_mad_u32 v51, 0x44, v6, v0
	s_delay_alu instid0(VALU_DEP_4)
	v_cmp_gt_i32_e64 s1, 0, v9
	v_not_b32_e32 v8, v9
	v_not_b32_e32 v9, v41
	v_dual_lshlrev_b32 v48, 25, v6 :: v_dual_lshlrev_b32 v6, 24, v6
	v_cmp_gt_i32_e64 s2, 0, v41
	v_cmp_gt_i32_e64 s3, 0, v45
	v_not_b32_e32 v41, v45
	v_not_b32_e32 v45, v46
	v_dual_ashrrev_i32 v9, 31, v9 :: v_dual_bitop2_b32 v4, vcc_lo, v4 bitop3:0x14
	v_dual_ashrrev_i32 v8, 31, v8 :: v_dual_bitop2_b32 v7, s0, v7 bitop3:0x14
	v_cmp_gt_i32_e64 s4, 0, v46
	v_ashrrev_i32_e32 v41, 31, v41
	v_not_b32_e32 v46, v6
	s_delay_alu instid0(VALU_DEP_4)
	v_xor_b32_e32 v8, s1, v8
	v_xor_b32_e32 v9, s2, v9
	v_bitop3_b32 v4, v4, v7, exec_lo bitop3:0x80
	v_not_b32_e32 v7, v48
	v_ashrrev_i32_e32 v45, 31, v45
	v_xor_b32_e32 v41, s3, v41
	v_cmp_gt_i32_e32 vcc_lo, 0, v48
	v_cmp_gt_i32_e64 s0, 0, v6
	s_delay_alu instid0(VALU_DEP_4)
	v_dual_ashrrev_i32 v7, 31, v7 :: v_dual_bitop2_b32 v45, s4, v45 bitop3:0x14
	v_ashrrev_i32_e32 v6, 31, v46
	v_bitop3_b32 v4, v4, v9, v8 bitop3:0x80
	ds_load_b32 v46, v51 offset:64
	v_xor_b32_e32 v7, vcc_lo, v7
	v_xor_b32_e32 v6, s0, v6
	v_bitop3_b32 v4, v4, v45, v41 bitop3:0x80
	; wave barrier
	s_delay_alu instid0(VALU_DEP_1) | instskip(NEXT) | instid1(VALU_DEP_1)
	v_bitop3_b32 v4, v4, v6, v7 bitop3:0x80
	v_mbcnt_lo_u32_b32 v48, v4, 0
	v_cmp_ne_u32_e64 s0, 0, v4
	s_delay_alu instid0(VALU_DEP_2) | instskip(SKIP_1) | instid1(SALU_CYCLE_1)
	v_cmp_eq_u32_e32 vcc_lo, 0, v48
	s_and_b32 s1, s0, vcc_lo
	s_and_saveexec_b32 s0, s1
	s_cbranch_execz .LBB2660_109
; %bb.108:
	s_wait_dscnt 0x0
	v_bcnt_u32_b32 v4, v4, v46
	ds_store_b32 v51, v4 offset:64
.LBB2660_109:
	s_or_b32 exec_lo, exec_lo, s0
	v_not_b32_e32 v41, v3
	; wave barrier
	s_delay_alu instid0(VALU_DEP_1) | instskip(NEXT) | instid1(VALU_DEP_1)
	v_lshrrev_b32_e32 v3, s20, v41
	v_and_b32_e32 v4, s5, v3
	s_delay_alu instid0(VALU_DEP_1) | instskip(SKIP_1) | instid1(VALU_DEP_1)
	v_lshlrev_b32_e32 v7, 30, v4
	v_bitop3_b32 v3, v3, 1, s5 bitop3:0x80
	v_add_co_u32 v3, s0, v3, -1
	s_delay_alu instid0(VALU_DEP_1) | instskip(NEXT) | instid1(VALU_DEP_4)
	v_cndmask_b32_e64 v6, 0, 1, s0
	v_cmp_gt_i32_e64 s0, 0, v7
	s_delay_alu instid0(VALU_DEP_2) | instskip(SKIP_1) | instid1(VALU_DEP_1)
	v_cmp_ne_u32_e32 vcc_lo, 0, v6
	v_not_b32_e32 v6, v7
	v_dual_ashrrev_i32 v6, 31, v6 :: v_dual_lshlrev_b32 v8, 29, v4
	v_dual_lshlrev_b32 v9, 28, v4 :: v_dual_lshlrev_b32 v45, 27, v4
	v_lshlrev_b32_e32 v49, 26, v4
	v_mad_u32 v54, 0x44, v4, v0
	s_delay_alu instid0(VALU_DEP_4)
	v_cmp_gt_i32_e64 s1, 0, v8
	v_not_b32_e32 v7, v8
	v_not_b32_e32 v8, v9
	v_dual_lshlrev_b32 v50, 25, v4 :: v_dual_lshlrev_b32 v4, 24, v4
	v_cmp_gt_i32_e64 s2, 0, v9
	v_cmp_gt_i32_e64 s3, 0, v45
	v_not_b32_e32 v9, v45
	v_not_b32_e32 v45, v49
	v_dual_ashrrev_i32 v8, 31, v8 :: v_dual_bitop2_b32 v3, vcc_lo, v3 bitop3:0x14
	v_dual_ashrrev_i32 v7, 31, v7 :: v_dual_bitop2_b32 v6, s0, v6 bitop3:0x14
	v_cmp_gt_i32_e64 s4, 0, v49
	v_ashrrev_i32_e32 v9, 31, v9
	s_delay_alu instid0(VALU_DEP_4) | instskip(NEXT) | instid1(VALU_DEP_4)
	v_dual_ashrrev_i32 v45, 31, v45 :: v_dual_bitop2_b32 v8, s2, v8 bitop3:0x14
	v_xor_b32_e32 v7, s1, v7
	v_bitop3_b32 v3, v3, v6, exec_lo bitop3:0x80
	v_not_b32_e32 v6, v50
	v_not_b32_e32 v49, v4
	v_xor_b32_e32 v9, s3, v9
	v_xor_b32_e32 v45, s4, v45
	v_bitop3_b32 v3, v3, v8, v7 bitop3:0x80
	v_cmp_gt_i32_e32 vcc_lo, 0, v50
	v_ashrrev_i32_e32 v6, 31, v6
	v_cmp_gt_i32_e64 s0, 0, v4
	v_ashrrev_i32_e32 v4, 31, v49
	v_bitop3_b32 v3, v3, v45, v9 bitop3:0x80
	ds_load_b32 v50, v54 offset:64
	v_xor_b32_e32 v6, vcc_lo, v6
	v_xor_b32_e32 v4, s0, v4
	; wave barrier
	s_delay_alu instid0(VALU_DEP_1) | instskip(NEXT) | instid1(VALU_DEP_1)
	v_bitop3_b32 v3, v3, v4, v6 bitop3:0x80
	v_mbcnt_lo_u32_b32 v52, v3, 0
	v_cmp_ne_u32_e64 s0, 0, v3
	s_delay_alu instid0(VALU_DEP_2) | instskip(SKIP_1) | instid1(SALU_CYCLE_1)
	v_cmp_eq_u32_e32 vcc_lo, 0, v52
	s_and_b32 s1, s0, vcc_lo
	s_and_saveexec_b32 s0, s1
	s_cbranch_execz .LBB2660_111
; %bb.110:
	s_wait_dscnt 0x0
	v_bcnt_u32_b32 v3, v3, v50
	ds_store_b32 v54, v3 offset:64
.LBB2660_111:
	s_or_b32 exec_lo, exec_lo, s0
	v_not_b32_e32 v45, v2
	; wave barrier
	s_delay_alu instid0(VALU_DEP_1) | instskip(NEXT) | instid1(VALU_DEP_1)
	v_lshrrev_b32_e32 v2, s20, v45
	v_and_b32_e32 v3, s5, v2
	s_delay_alu instid0(VALU_DEP_1) | instskip(SKIP_1) | instid1(VALU_DEP_1)
	v_lshlrev_b32_e32 v6, 30, v3
	v_bitop3_b32 v2, v2, 1, s5 bitop3:0x80
	v_add_co_u32 v2, s0, v2, -1
	s_delay_alu instid0(VALU_DEP_1) | instskip(NEXT) | instid1(VALU_DEP_4)
	v_cndmask_b32_e64 v4, 0, 1, s0
	v_cmp_gt_i32_e64 s0, 0, v6
	s_delay_alu instid0(VALU_DEP_2) | instskip(SKIP_1) | instid1(VALU_DEP_1)
	v_cmp_ne_u32_e32 vcc_lo, 0, v4
	v_not_b32_e32 v4, v6
	v_dual_ashrrev_i32 v4, 31, v4 :: v_dual_lshlrev_b32 v7, 29, v3
	v_dual_lshlrev_b32 v8, 28, v3 :: v_dual_lshlrev_b32 v9, 27, v3
	v_lshlrev_b32_e32 v49, 26, v3
	v_mad_u32 v56, 0x44, v3, v0
	s_delay_alu instid0(VALU_DEP_4)
	v_cmp_gt_i32_e64 s1, 0, v7
	v_not_b32_e32 v6, v7
	v_not_b32_e32 v7, v8
	v_dual_lshlrev_b32 v53, 25, v3 :: v_dual_lshlrev_b32 v3, 24, v3
	v_cmp_gt_i32_e64 s2, 0, v8
	v_cmp_gt_i32_e64 s3, 0, v9
	v_not_b32_e32 v8, v9
	v_not_b32_e32 v9, v49
	v_dual_ashrrev_i32 v7, 31, v7 :: v_dual_bitop2_b32 v2, vcc_lo, v2 bitop3:0x14
	v_dual_ashrrev_i32 v6, 31, v6 :: v_dual_bitop2_b32 v4, s0, v4 bitop3:0x14
	v_cmp_gt_i32_e64 s4, 0, v49
	s_delay_alu instid0(VALU_DEP_4)
	v_dual_ashrrev_i32 v8, 31, v8 :: v_dual_ashrrev_i32 v9, 31, v9
	v_not_b32_e32 v49, v3
	v_xor_b32_e32 v7, s2, v7
	v_bitop3_b32 v2, v2, v4, exec_lo bitop3:0x80
	v_not_b32_e32 v4, v53
	v_xor_b32_e32 v6, s1, v6
	v_xor_b32_e32 v8, s3, v8
	;; [unrolled: 1-line block ×3, first 2 shown]
	v_cmp_gt_i32_e32 vcc_lo, 0, v53
	v_ashrrev_i32_e32 v4, 31, v4
	v_cmp_gt_i32_e64 s0, 0, v3
	v_ashrrev_i32_e32 v3, 31, v49
	v_bitop3_b32 v2, v2, v7, v6 bitop3:0x80
	ds_load_b32 v53, v56 offset:64
	v_xor_b32_e32 v4, vcc_lo, v4
	v_xor_b32_e32 v3, s0, v3
	v_bitop3_b32 v2, v2, v9, v8 bitop3:0x80
	; wave barrier
	s_delay_alu instid0(VALU_DEP_1) | instskip(NEXT) | instid1(VALU_DEP_1)
	v_bitop3_b32 v2, v2, v3, v4 bitop3:0x80
	v_mbcnt_lo_u32_b32 v55, v2, 0
	v_cmp_ne_u32_e64 s0, 0, v2
	s_delay_alu instid0(VALU_DEP_2) | instskip(SKIP_1) | instid1(SALU_CYCLE_1)
	v_cmp_eq_u32_e32 vcc_lo, 0, v55
	s_and_b32 s1, s0, vcc_lo
	s_and_saveexec_b32 s0, s1
	s_cbranch_execz .LBB2660_113
; %bb.112:
	s_wait_dscnt 0x0
	v_bcnt_u32_b32 v2, v2, v53
	ds_store_b32 v56, v2 offset:64
.LBB2660_113:
	s_or_b32 exec_lo, exec_lo, s0
	v_not_b32_e32 v49, v1
	; wave barrier
	s_delay_alu instid0(VALU_DEP_1) | instskip(NEXT) | instid1(VALU_DEP_1)
	v_lshrrev_b32_e32 v1, s20, v49
	v_and_b32_e32 v2, s5, v1
	s_delay_alu instid0(VALU_DEP_1) | instskip(SKIP_2) | instid1(VALU_DEP_2)
	v_lshlrev_b32_e32 v3, 30, v2
	v_bitop3_b32 v1, v1, 1, s5 bitop3:0x80
	v_mad_u32 v59, 0x44, v2, v0
	v_add_co_u32 v0, s0, v1, -1
	s_delay_alu instid0(VALU_DEP_1) | instskip(SKIP_4) | instid1(VALU_DEP_1)
	v_cndmask_b32_e64 v1, 0, 1, s0
	v_cmp_gt_i32_e64 s0, 0, v3
	ds_load_b32 v57, v59 offset:64
	v_cmp_ne_u32_e32 vcc_lo, 0, v1
	v_not_b32_e32 v1, v3
	; wave barrier
	v_dual_ashrrev_i32 v1, 31, v1 :: v_dual_lshlrev_b32 v4, 29, v2
	v_dual_lshlrev_b32 v6, 28, v2 :: v_dual_lshlrev_b32 v7, 27, v2
	v_dual_lshlrev_b32 v8, 26, v2 :: v_dual_lshlrev_b32 v9, 25, v2
	v_lshlrev_b32_e32 v2, 24, v2
	s_delay_alu instid0(VALU_DEP_4)
	v_cmp_gt_i32_e64 s1, 0, v4
	v_not_b32_e32 v3, v4
	v_not_b32_e32 v4, v6
	v_cmp_gt_i32_e64 s2, 0, v6
	v_cmp_gt_i32_e64 s3, 0, v7
	v_not_b32_e32 v6, v7
	v_not_b32_e32 v7, v8
	v_dual_ashrrev_i32 v3, 31, v3 :: v_dual_bitop2_b32 v0, vcc_lo, v0 bitop3:0x14
	v_dual_ashrrev_i32 v4, 31, v4 :: v_dual_bitop2_b32 v1, s0, v1 bitop3:0x14
	v_cmp_gt_i32_e64 s4, 0, v8
	s_delay_alu instid0(VALU_DEP_4) | instskip(NEXT) | instid1(VALU_DEP_3)
	v_dual_ashrrev_i32 v6, 31, v6 :: v_dual_ashrrev_i32 v7, 31, v7
	v_xor_b32_e32 v4, s2, v4
	s_delay_alu instid0(VALU_DEP_4)
	v_bitop3_b32 v0, v0, v1, exec_lo bitop3:0x80
	v_not_b32_e32 v1, v9
	v_xor_b32_e32 v3, s1, v3
	v_not_b32_e32 v8, v2
	v_xor_b32_e32 v6, s3, v6
	v_xor_b32_e32 v7, s4, v7
	v_cmp_gt_i32_e32 vcc_lo, 0, v9
	v_ashrrev_i32_e32 v1, 31, v1
	v_bitop3_b32 v0, v0, v4, v3 bitop3:0x80
	v_cmp_gt_i32_e64 s0, 0, v2
	s_delay_alu instid0(VALU_DEP_3) | instskip(NEXT) | instid1(VALU_DEP_3)
	v_dual_ashrrev_i32 v2, 31, v8 :: v_dual_bitop2_b32 v1, vcc_lo, v1 bitop3:0x14
	v_bitop3_b32 v0, v0, v7, v6 bitop3:0x80
	s_delay_alu instid0(VALU_DEP_2) | instskip(NEXT) | instid1(VALU_DEP_1)
	v_xor_b32_e32 v2, s0, v2
	v_bitop3_b32 v0, v0, v2, v1 bitop3:0x80
	s_delay_alu instid0(VALU_DEP_1) | instskip(SKIP_1) | instid1(VALU_DEP_2)
	v_mbcnt_lo_u32_b32 v58, v0, 0
	v_cmp_ne_u32_e64 s0, 0, v0
	v_cmp_eq_u32_e32 vcc_lo, 0, v58
	s_and_b32 s1, s0, vcc_lo
	s_delay_alu instid0(SALU_CYCLE_1)
	s_and_saveexec_b32 s0, s1
	s_cbranch_execz .LBB2660_115
; %bb.114:
	s_wait_dscnt 0x0
	v_bcnt_u32_b32 v0, v0, v57
	ds_store_b32 v59, v0 offset:64
.LBB2660_115:
	s_or_b32 exec_lo, exec_lo, s0
	; wave barrier
	s_wait_dscnt 0x0
	s_barrier_signal -1
	s_barrier_wait -1
	ds_load_2addr_b32 v[8:9], v10 offset0:16 offset1:17
	ds_load_2addr_b32 v[6:7], v10 offset0:18 offset1:19
	;; [unrolled: 1-line block ×4, first 2 shown]
	ds_load_b32 v4, v10 offset:96
	v_min_u32_e32 v17, 0x1e0, v17
	s_mov_b32 s4, exec_lo
	s_delay_alu instid0(VALU_DEP_1) | instskip(SKIP_3) | instid1(VALU_DEP_1)
	v_or_b32_e32 v62, 31, v17
	s_wait_dscnt 0x3
	v_add3_u32 v60, v9, v8, v6
	s_wait_dscnt 0x2
	v_add3_u32 v60, v60, v7, v2
	s_wait_dscnt 0x1
	s_delay_alu instid0(VALU_DEP_1) | instskip(SKIP_1) | instid1(VALU_DEP_1)
	v_add3_u32 v60, v60, v3, v0
	s_wait_dscnt 0x0
	v_add3_u32 v4, v60, v1, v4
	v_and_b32_e32 v60, 15, v16
	s_delay_alu instid0(VALU_DEP_2) | instskip(NEXT) | instid1(VALU_DEP_2)
	v_mov_b32_dpp v61, v4 row_shr:1 row_mask:0xf bank_mask:0xf
	v_cmp_eq_u32_e32 vcc_lo, 0, v60
	v_cmp_lt_u32_e64 s0, 1, v60
	s_delay_alu instid0(VALU_DEP_3) | instskip(NEXT) | instid1(VALU_DEP_1)
	v_cndmask_b32_e64 v61, v61, 0, vcc_lo
	v_add_nc_u32_e32 v4, v61, v4
	s_delay_alu instid0(VALU_DEP_1) | instskip(NEXT) | instid1(VALU_DEP_1)
	v_mov_b32_dpp v61, v4 row_shr:2 row_mask:0xf bank_mask:0xf
	v_cndmask_b32_e64 v61, 0, v61, s0
	v_cmp_lt_u32_e64 s2, 7, v60
	v_cmp_lt_u32_e64 s1, 3, v60
	s_delay_alu instid0(VALU_DEP_3) | instskip(NEXT) | instid1(VALU_DEP_1)
	v_add_nc_u32_e32 v4, v4, v61
	v_mov_b32_dpp v61, v4 row_shr:4 row_mask:0xf bank_mask:0xf
	s_delay_alu instid0(VALU_DEP_1) | instskip(NEXT) | instid1(VALU_DEP_1)
	v_cndmask_b32_e64 v61, 0, v61, s1
	v_add_nc_u32_e32 v4, v4, v61
	s_delay_alu instid0(VALU_DEP_1) | instskip(NEXT) | instid1(VALU_DEP_1)
	v_mov_b32_dpp v61, v4 row_shr:8 row_mask:0xf bank_mask:0xf
	v_cndmask_b32_e64 v60, 0, v61, s2
	v_bfe_i32 v61, v16, 4, 1
	s_delay_alu instid0(VALU_DEP_2) | instskip(SKIP_3) | instid1(VALU_DEP_1)
	v_add_nc_u32_e32 v4, v4, v60
	ds_swizzle_b32 v60, v4 offset:swizzle(BROADCAST,32,15)
	s_wait_dscnt 0x0
	v_dual_lshrrev_b32 v60, 5, v14 :: v_dual_bitop2_b32 v61, v61, v60 bitop3:0x40
	v_add_nc_u32_e32 v17, v4, v61
	v_cmpx_eq_u32_e64 v14, v62
; %bb.116:
	s_delay_alu instid0(VALU_DEP_3)
	v_lshlrev_b32_e32 v4, 2, v60
	ds_store_b32 v4, v17
; %bb.117:
	s_or_b32 exec_lo, exec_lo, s4
	v_lshlrev_b32_e32 v4, 2, v14
	s_mov_b32 s4, exec_lo
	s_wait_dscnt 0x0
	s_barrier_signal -1
	s_barrier_wait -1
	v_cmpx_gt_u32_e32 16, v14
	s_cbranch_execz .LBB2660_119
; %bb.118:
	ds_load_b32 v61, v4
	s_wait_dscnt 0x0
	v_mov_b32_dpp v62, v61 row_shr:1 row_mask:0xf bank_mask:0xf
	s_delay_alu instid0(VALU_DEP_1) | instskip(NEXT) | instid1(VALU_DEP_1)
	v_cndmask_b32_e64 v62, v62, 0, vcc_lo
	v_add_nc_u32_e32 v61, v62, v61
	s_delay_alu instid0(VALU_DEP_1) | instskip(NEXT) | instid1(VALU_DEP_1)
	v_mov_b32_dpp v62, v61 row_shr:2 row_mask:0xf bank_mask:0xf
	v_cndmask_b32_e64 v62, 0, v62, s0
	s_delay_alu instid0(VALU_DEP_1) | instskip(NEXT) | instid1(VALU_DEP_1)
	v_add_nc_u32_e32 v61, v61, v62
	v_mov_b32_dpp v62, v61 row_shr:4 row_mask:0xf bank_mask:0xf
	s_delay_alu instid0(VALU_DEP_1) | instskip(NEXT) | instid1(VALU_DEP_1)
	v_cndmask_b32_e64 v62, 0, v62, s1
	v_add_nc_u32_e32 v61, v61, v62
	s_delay_alu instid0(VALU_DEP_1) | instskip(NEXT) | instid1(VALU_DEP_1)
	v_mov_b32_dpp v62, v61 row_shr:8 row_mask:0xf bank_mask:0xf
	v_cndmask_b32_e64 v62, 0, v62, s2
	s_delay_alu instid0(VALU_DEP_1)
	v_add_nc_u32_e32 v61, v61, v62
	ds_store_b32 v4, v61
.LBB2660_119:
	s_or_b32 exec_lo, exec_lo, s4
	v_mov_b32_e32 v61, 0
	s_mov_b32 s0, exec_lo
	s_wait_dscnt 0x0
	s_barrier_signal -1
	s_barrier_wait -1
	v_cmpx_lt_u32_e32 31, v14
; %bb.120:
	v_lshl_add_u32 v60, v60, 2, -4
	ds_load_b32 v61, v60
; %bb.121:
	s_or_b32 exec_lo, exec_lo, s0
	v_sub_co_u32 v60, vcc_lo, v16, 1
	s_wait_dscnt 0x0
	v_add_nc_u32_e32 v17, v61, v17
	s_delay_alu instid0(VALU_DEP_2) | instskip(NEXT) | instid1(VALU_DEP_1)
	v_cmp_gt_i32_e64 s0, 0, v60
	v_cndmask_b32_e64 v16, v60, v16, s0
	v_cmp_lt_u32_e64 s0, 0xff, v14
	s_delay_alu instid0(VALU_DEP_2) | instskip(SKIP_4) | instid1(VALU_DEP_2)
	v_lshlrev_b32_e32 v16, 2, v16
	ds_bpermute_b32 v16, v16, v17
	s_wait_dscnt 0x0
	v_cndmask_b32_e32 v16, v16, v61, vcc_lo
	v_cmp_ne_u32_e32 vcc_lo, 0, v14
	v_cndmask_b32_e32 v16, 0, v16, vcc_lo
	v_cmp_gt_u32_e32 vcc_lo, 0x100, v14
	s_delay_alu instid0(VALU_DEP_2) | instskip(NEXT) | instid1(VALU_DEP_1)
	v_add_nc_u32_e32 v8, v16, v8
	v_add_nc_u32_e32 v9, v8, v9
	s_delay_alu instid0(VALU_DEP_1) | instskip(NEXT) | instid1(VALU_DEP_1)
	v_add_nc_u32_e32 v6, v9, v6
	v_add_nc_u32_e32 v7, v6, v7
	s_delay_alu instid0(VALU_DEP_1) | instskip(NEXT) | instid1(VALU_DEP_1)
	;; [unrolled: 3-line block ×3, first 2 shown]
	v_add_nc_u32_e32 v0, v3, v0
	v_add_nc_u32_e32 v1, v0, v1
	ds_store_2addr_b32 v10, v16, v8 offset0:16 offset1:17
	ds_store_2addr_b32 v10, v9, v6 offset0:18 offset1:19
	;; [unrolled: 1-line block ×4, first 2 shown]
	ds_store_b32 v10, v1 offset:96
	s_wait_dscnt 0x0
	s_barrier_signal -1
	s_barrier_wait -1
	ds_load_b32 v62, v11 offset:64
	ds_load_b32 v60, v12 offset:64
	;; [unrolled: 1-line block ×12, first 2 shown]
	v_mov_b64_e32 v[0:1], 0
                                        ; implicit-def: $vgpr2
	s_and_saveexec_b32 s2, vcc_lo
	s_cbranch_execz .LBB2660_125
; %bb.122:
	v_mul_u32_u24_e32 v0, 0x44, v14
	v_dual_mov_b32 v1, 0x1800 :: v_dual_add_nc_u32 v2, 1, v14
	s_mov_b32 s3, exec_lo
	ds_load_b32 v0, v0 offset:64
	v_cmpx_ne_u32_e32 0x100, v2
; %bb.123:
	v_mul_u32_u24_e32 v1, 0x44, v2
	ds_load_b32 v1, v1 offset:64
; %bb.124:
	s_or_b32 exec_lo, exec_lo, s3
	s_wait_dscnt 0x0
	v_dual_mov_b32 v1, 0 :: v_dual_sub_nc_u32 v2, v1, v0
.LBB2660_125:
	s_or_b32 exec_lo, exec_lo, s2
	v_dual_mov_b32 v7, 0 :: v_dual_lshlrev_b32 v3, 3, v14
	s_wait_dscnt 0x0
	s_barrier_signal -1
	s_barrier_wait -1
	s_and_saveexec_b32 s1, vcc_lo
	s_cbranch_execz .LBB2660_135
; %bb.126:
	v_lshl_add_u32 v6, s9, 8, v14
	v_dual_mov_b32 v10, 0 :: v_dual_bitop2_b32 v11, 2.0, v2 bitop3:0x54
	s_mov_b32 s2, 0
	s_mov_b32 s3, s9
	s_delay_alu instid0(VALU_DEP_2)
	v_lshl_add_u64 v[8:9], v[6:7], 2, s[10:11]
	global_store_b32 v6, v11, s[10:11] scale_offset scope:SCOPE_DEV
                                        ; implicit-def: $sgpr4
	s_branch .LBB2660_129
.LBB2660_127:                           ;   in Loop: Header=BB2660_129 Depth=1
	s_or_b32 exec_lo, exec_lo, s6
.LBB2660_128:                           ;   in Loop: Header=BB2660_129 Depth=1
	s_delay_alu instid0(SALU_CYCLE_1) | instskip(SKIP_2) | instid1(VALU_DEP_2)
	s_or_b32 exec_lo, exec_lo, s4
	v_and_b32_e32 v6, 0x3fffffff, v11
	v_cmp_gt_i32_e64 s4, -2.0, v11
	v_add_nc_u32_e32 v10, v6, v10
	s_and_b32 s6, exec_lo, s4
	s_delay_alu instid0(SALU_CYCLE_1) | instskip(NEXT) | instid1(SALU_CYCLE_1)
	s_or_b32 s2, s6, s2
	s_and_not1_b32 exec_lo, exec_lo, s2
	s_cbranch_execz .LBB2660_134
.LBB2660_129:                           ; =>This Loop Header: Depth=1
                                        ;     Child Loop BB2660_132 Depth 2
	s_or_b32 s4, s4, exec_lo
	s_cmp_eq_u32 s3, 0
	s_cbranch_scc1 .LBB2660_133
; %bb.130:                              ;   in Loop: Header=BB2660_129 Depth=1
	s_add_co_i32 s3, s3, -1
	s_mov_b32 s4, exec_lo
	s_wait_xcnt 0x0
	v_lshl_or_b32 v6, s3, 8, v14
	global_load_b32 v11, v6, s[10:11] scale_offset scope:SCOPE_DEV
	s_wait_loadcnt 0x0
	v_cmpx_gt_u32_e32 2.0, v11
	s_cbranch_execz .LBB2660_128
; %bb.131:                              ;   in Loop: Header=BB2660_129 Depth=1
	v_lshl_add_u64 v[12:13], v[6:7], 2, s[10:11]
	s_mov_b32 s6, 0
.LBB2660_132:                           ;   Parent Loop BB2660_129 Depth=1
                                        ; =>  This Inner Loop Header: Depth=2
	global_load_b32 v11, v[12:13], off scope:SCOPE_DEV
	s_wait_loadcnt 0x0
	v_cmp_lt_u32_e32 vcc_lo, 0x3fffffff, v11
	s_or_b32 s6, vcc_lo, s6
	s_wait_xcnt 0x0
	s_and_not1_b32 exec_lo, exec_lo, s6
	s_cbranch_execnz .LBB2660_132
	s_branch .LBB2660_127
.LBB2660_133:                           ;   in Loop: Header=BB2660_129 Depth=1
                                        ; implicit-def: $sgpr3
	s_and_b32 s6, exec_lo, s4
	s_delay_alu instid0(SALU_CYCLE_1)
	s_or_b32 s2, s6, s2
	s_wait_xcnt 0x0
	s_and_not1_b32 exec_lo, exec_lo, s2
	s_cbranch_execnz .LBB2660_129
.LBB2660_134:
	s_or_b32 exec_lo, exec_lo, s2
	v_dual_mov_b32 v11, 0 :: v_dual_add_nc_u32 v6, v10, v2
	s_delay_alu instid0(VALU_DEP_1) | instskip(SKIP_4) | instid1(VALU_DEP_1)
	v_or_b32_e32 v6, 0x80000000, v6
	global_store_b32 v[8:9], v6, off scope:SCOPE_DEV
	global_load_b64 v[6:7], v14, s[12:13] scale_offset
	v_sub_nc_u64_e32 v[8:9], v[10:11], v[0:1]
	s_wait_loadcnt 0x0
	v_add_nc_u64_e32 v[6:7], v[8:9], v[6:7]
	ds_store_b64 v3, v[6:7]
.LBB2660_135:
	s_wait_xcnt 0x0
	s_or_b32 exec_lo, exec_lo, s1
	v_dual_add_nc_u32 v6, v62, v5 :: v_dual_sub_nc_u32 v56, 0, v4
	v_mov_b32_e32 v5, 0
	v_add3_u32 v21, v22, v60, v21
	v_add3_u32 v7, v58, v54, v57
	;; [unrolled: 1-line block ×3, first 2 shown]
	v_add_nc_u32_e32 v22, v3, v56
	v_add_nc_u64_e32 v[4:5], s[18:19], v[4:5]
	v_add3_u32 v9, v52, v47, v50
	v_add3_u32 v10, v48, v44, v46
	v_add3_u32 v11, v43, v40, v42
	v_add3_u32 v12, v39, v37, v38
	v_add3_u32 v13, v35, v33, v34
	v_add3_u32 v16, v31, v16, v30
	v_add_nc_u64_e32 v[4:5], 0x2000, v[4:5]
	v_add3_u32 v17, v28, v17, v27
	v_add3_u32 v24, v25, v61, v24
	v_mov_b32_e32 v25, v14
	s_mov_b32 s1, 0
	s_mov_b32 s2, -1
	s_branch .LBB2660_137
.LBB2660_136:                           ;   in Loop: Header=BB2660_137 Depth=1
	s_wait_xcnt 0x0
	s_or_b32 exec_lo, exec_lo, s3
	v_add_nc_u64_e32 v[4:5], 0x4000, v[4:5]
	v_add_nc_u32_e32 v25, 0x1000, v25
	s_xor_b32 s2, s2, -1
	s_addk_co_i32 s1, 0xf000
	s_and_b32 vcc_lo, exec_lo, s2
	s_mov_b32 s2, 0
	s_wait_storecnt 0x0
	s_barrier_signal -1
	s_barrier_wait -1
	s_cbranch_vccnz .LBB2660_147
.LBB2660_137:                           ; =>This Inner Loop Header: Depth=1
	v_add_min_u32_e64 v27, v6, s1, 0x1000
	v_add_min_u32_e64 v28, v21, s1, 0x1000
	;; [unrolled: 1-line block ×5, first 2 shown]
	s_delay_alu instid0(VALU_DEP_4)
	v_dual_lshlrev_b32 v27, 2, v27 :: v_dual_lshlrev_b32 v28, 2, v28
	v_add_min_u32_e64 v34, v13, s1, 0x1000
	v_add_min_u32_e64 v35, v12, s1, 0x1000
	s_mov_b32 s3, exec_lo
	ds_store_b32 v27, v15 offset:2048
	ds_store_b32 v28, v18 offset:2048
	v_dual_lshlrev_b32 v27, 2, v30 :: v_dual_lshlrev_b32 v28, 2, v31
	v_dual_lshlrev_b32 v30, 2, v33 :: v_dual_lshlrev_b32 v31, 2, v34
	v_lshlrev_b32_e32 v33, 2, v35
	ds_store_b32 v27, v19 offset:2048
	ds_store_b32 v28, v20 offset:2048
	;; [unrolled: 1-line block ×5, first 2 shown]
	v_add_min_u32_e64 v27, v11, s1, 0x1000
	v_add_min_u32_e64 v28, v10, s1, 0x1000
	;; [unrolled: 1-line block ×5, first 2 shown]
	s_delay_alu instid0(VALU_DEP_4) | instskip(NEXT) | instid1(VALU_DEP_3)
	v_dual_lshlrev_b32 v27, 2, v27 :: v_dual_lshlrev_b32 v28, 2, v28
	v_dual_lshlrev_b32 v30, 2, v30 :: v_dual_lshlrev_b32 v31, 2, v31
	s_delay_alu instid0(VALU_DEP_3)
	v_lshlrev_b32_e32 v33, 2, v33
	ds_store_b32 v27, v32 offset:2048
	ds_store_b32 v28, v36 offset:2048
	;; [unrolled: 1-line block ×5, first 2 shown]
	s_wait_storecnt_dscnt 0x0
	s_barrier_signal -1
	s_barrier_wait -1
	ds_load_2addr_stride64_b32 v[30:31], v22 offset0:8 offset1:16
	s_wait_dscnt 0x0
	v_dual_lshrrev_b32 v27, s20, v31 :: v_dual_lshrrev_b32 v28, s20, v30
	s_delay_alu instid0(VALU_DEP_1) | instskip(NEXT) | instid1(VALU_DEP_1)
	v_and_b32_e32 v28, s5, v28
	v_dual_lshlrev_b32 v28, 3, v28 :: v_dual_bitop2_b32 v27, s5, v27 bitop3:0x40
	s_delay_alu instid0(VALU_DEP_1)
	v_lshlrev_b32_e32 v27, 3, v27
	ds_load_b64 v[34:35], v27
	ds_load_b32 v27, v22 offset:6144
	s_wait_dscnt 0x0
	v_lshrrev_b32_e32 v33, s20, v27
	v_not_b32_e32 v27, v27
	s_delay_alu instid0(VALU_DEP_2) | instskip(NEXT) | instid1(VALU_DEP_1)
	v_and_b32_e32 v33, s5, v33
	v_lshlrev_b32_e32 v33, 3, v33
	ds_load_b64 v[38:39], v28
	ds_load_b64 v[42:43], v33
	v_not_b32_e32 v28, v30
	v_not_b32_e32 v33, v31
	v_lshl_add_u64 v[30:31], v[34:35], 2, v[4:5]
	s_wait_dscnt 0x1
	v_lshl_add_u64 v[38:39], v[38:39], 2, v[4:5]
	s_wait_dscnt 0x0
	v_lshl_add_u64 v[34:35], v[42:43], 2, v[4:5]
	s_clause 0x2
	global_store_b32 v[38:39], v28, off offset:-8192
	global_store_b32 v[30:31], v33, off offset:-6144
	;; [unrolled: 1-line block ×3, first 2 shown]
	s_wait_xcnt 0x0
	v_cmpx_gt_u32_e32 0x1200, v25
	s_cbranch_execz .LBB2660_139
; %bb.138:                              ;   in Loop: Header=BB2660_137 Depth=1
	ds_load_b32 v27, v22 offset:8192
	s_wait_dscnt 0x0
	v_lshrrev_b32_e32 v28, s20, v27
	v_not_b32_e32 v27, v27
	s_delay_alu instid0(VALU_DEP_2) | instskip(NEXT) | instid1(VALU_DEP_1)
	v_and_b32_e32 v28, s5, v28
	v_lshlrev_b32_e32 v28, 3, v28
	ds_load_b64 v[30:31], v28
	s_wait_dscnt 0x0
	v_lshl_add_u64 v[30:31], v[30:31], 2, v[4:5]
	global_store_b32 v[30:31], v27, off offset:-2048
.LBB2660_139:                           ;   in Loop: Header=BB2660_137 Depth=1
	s_wait_xcnt 0x0
	s_or_b32 exec_lo, exec_lo, s3
	v_add_nc_u32_e32 v27, 0x800, v25
	s_mov_b32 s3, exec_lo
	s_delay_alu instid0(VALU_DEP_1)
	v_cmpx_gt_u32_e32 0x1800, v27
	s_cbranch_execz .LBB2660_141
; %bb.140:                              ;   in Loop: Header=BB2660_137 Depth=1
	ds_load_b32 v27, v22 offset:10240
	s_wait_dscnt 0x0
	v_lshrrev_b32_e32 v28, s20, v27
	v_not_b32_e32 v27, v27
	s_delay_alu instid0(VALU_DEP_2) | instskip(NEXT) | instid1(VALU_DEP_1)
	v_and_b32_e32 v28, s5, v28
	v_lshlrev_b32_e32 v28, 3, v28
	ds_load_b64 v[30:31], v28
	s_wait_dscnt 0x0
	v_lshl_add_u64 v[30:31], v[30:31], 2, v[4:5]
	global_store_b32 v[30:31], v27, off
.LBB2660_141:                           ;   in Loop: Header=BB2660_137 Depth=1
	s_wait_xcnt 0x0
	s_or_b32 exec_lo, exec_lo, s3
	s_delay_alu instid0(SALU_CYCLE_1)
	s_mov_b32 s3, exec_lo
	v_cmpx_gt_u32_e32 0xe00, v25
	s_cbranch_execz .LBB2660_143
; %bb.142:                              ;   in Loop: Header=BB2660_137 Depth=1
	ds_load_b32 v27, v22 offset:12288
	s_wait_dscnt 0x0
	v_lshrrev_b32_e32 v28, s20, v27
	v_not_b32_e32 v27, v27
	s_delay_alu instid0(VALU_DEP_2) | instskip(NEXT) | instid1(VALU_DEP_1)
	v_and_b32_e32 v28, s5, v28
	v_lshlrev_b32_e32 v28, 3, v28
	ds_load_b64 v[30:31], v28
	s_wait_dscnt 0x0
	v_lshl_add_u64 v[30:31], v[30:31], 2, v[4:5]
	global_store_b32 v[30:31], v27, off offset:2048
.LBB2660_143:                           ;   in Loop: Header=BB2660_137 Depth=1
	s_wait_xcnt 0x0
	s_or_b32 exec_lo, exec_lo, s3
	v_add_nc_u32_e32 v27, 0xc00, v25
	s_mov_b32 s3, exec_lo
	s_delay_alu instid0(VALU_DEP_1)
	v_cmpx_gt_u32_e32 0x1800, v27
	s_cbranch_execz .LBB2660_145
; %bb.144:                              ;   in Loop: Header=BB2660_137 Depth=1
	ds_load_b32 v27, v22 offset:14336
	s_wait_dscnt 0x0
	v_lshrrev_b32_e32 v28, s20, v27
	v_not_b32_e32 v27, v27
	s_delay_alu instid0(VALU_DEP_2) | instskip(NEXT) | instid1(VALU_DEP_1)
	v_and_b32_e32 v28, s5, v28
	v_lshlrev_b32_e32 v28, 3, v28
	ds_load_b64 v[30:31], v28
	s_wait_dscnt 0x0
	v_lshl_add_u64 v[30:31], v[30:31], 2, v[4:5]
	global_store_b32 v[30:31], v27, off offset:4096
.LBB2660_145:                           ;   in Loop: Header=BB2660_137 Depth=1
	s_wait_xcnt 0x0
	s_or_b32 exec_lo, exec_lo, s3
	s_delay_alu instid0(SALU_CYCLE_1)
	s_mov_b32 s3, exec_lo
	v_cmpx_gt_u32_e32 0xa00, v25
	s_cbranch_execz .LBB2660_136
; %bb.146:                              ;   in Loop: Header=BB2660_137 Depth=1
	ds_load_b32 v27, v22 offset:16384
	s_wait_dscnt 0x0
	v_lshrrev_b32_e32 v28, s20, v27
	v_not_b32_e32 v27, v27
	s_delay_alu instid0(VALU_DEP_2) | instskip(NEXT) | instid1(VALU_DEP_1)
	v_and_b32_e32 v28, s5, v28
	v_lshlrev_b32_e32 v28, 3, v28
	ds_load_b64 v[30:31], v28
	s_wait_dscnt 0x0
	v_lshl_add_u64 v[30:31], v[30:31], 2, v[4:5]
	global_store_b32 v[30:31], v27, off offset:6144
	s_branch .LBB2660_136
.LBB2660_147:
	s_add_co_i32 s7, s7, -1
	s_delay_alu instid0(SALU_CYCLE_1) | instskip(SKIP_2) | instid1(SALU_CYCLE_1)
	s_cmp_eq_u32 s9, s7
	s_cselect_b32 s1, -1, 0
	s_xor_b32 s0, s0, -1
	s_and_b32 s0, s0, s1
	s_delay_alu instid0(SALU_CYCLE_1)
	s_and_saveexec_b32 s1, s0
	s_cbranch_execz .LBB2660_149
; %bb.148:
	ds_load_b64 v[4:5], v3
	v_mov_b32_e32 v3, 0
	s_delay_alu instid0(VALU_DEP_1) | instskip(SKIP_1) | instid1(VALU_DEP_1)
	v_add_nc_u64_e32 v[0:1], v[0:1], v[2:3]
	s_wait_dscnt 0x0
	v_add_nc_u64_e32 v[0:1], v[0:1], v[4:5]
	global_store_b64 v14, v[0:1], s[14:15] scale_offset
.LBB2660_149:
	s_sendmsg sendmsg(MSG_DEALLOC_VGPRS)
	s_endpgm
	.section	.rodata,"a",@progbits
	.p2align	6, 0x0
	.amdhsa_kernel _ZN7rocprim17ROCPRIM_400000_NS6detail17trampoline_kernelINS0_14default_configENS1_35radix_sort_onesweep_config_selectorIjNS0_10empty_typeEEEZZNS1_29radix_sort_onesweep_iterationIS3_Lb1EPKjPjPS5_SB_mNS0_19identity_decomposerENS1_16block_id_wrapperIjLb0EEEEE10hipError_tT1_PNSt15iterator_traitsISG_E10value_typeET2_T3_PNSH_ISM_E10value_typeET4_T5_PSR_SS_PNS1_23onesweep_lookback_stateEbbT6_jjT7_P12ihipStream_tbENKUlT_T0_SG_SL_E_clISA_SA_SB_SB_EEDaSZ_S10_SG_SL_EUlSZ_E_NS1_11comp_targetILNS1_3genE0ELNS1_11target_archE4294967295ELNS1_3gpuE0ELNS1_3repE0EEENS1_47radix_sort_onesweep_sort_config_static_selectorELNS0_4arch9wavefront6targetE0EEEvSG_
		.amdhsa_group_segment_fixed_size 18504
		.amdhsa_private_segment_fixed_size 0
		.amdhsa_kernarg_size 344
		.amdhsa_user_sgpr_count 2
		.amdhsa_user_sgpr_dispatch_ptr 0
		.amdhsa_user_sgpr_queue_ptr 0
		.amdhsa_user_sgpr_kernarg_segment_ptr 1
		.amdhsa_user_sgpr_dispatch_id 0
		.amdhsa_user_sgpr_kernarg_preload_length 0
		.amdhsa_user_sgpr_kernarg_preload_offset 0
		.amdhsa_user_sgpr_private_segment_size 0
		.amdhsa_wavefront_size32 1
		.amdhsa_uses_dynamic_stack 0
		.amdhsa_enable_private_segment 0
		.amdhsa_system_sgpr_workgroup_id_x 1
		.amdhsa_system_sgpr_workgroup_id_y 0
		.amdhsa_system_sgpr_workgroup_id_z 0
		.amdhsa_system_sgpr_workgroup_info 0
		.amdhsa_system_vgpr_workitem_id 2
		.amdhsa_next_free_vgpr 65
		.amdhsa_next_free_sgpr 29
		.amdhsa_named_barrier_count 0
		.amdhsa_reserve_vcc 1
		.amdhsa_float_round_mode_32 0
		.amdhsa_float_round_mode_16_64 0
		.amdhsa_float_denorm_mode_32 3
		.amdhsa_float_denorm_mode_16_64 3
		.amdhsa_fp16_overflow 0
		.amdhsa_memory_ordered 1
		.amdhsa_forward_progress 1
		.amdhsa_inst_pref_size 120
		.amdhsa_round_robin_scheduling 0
		.amdhsa_exception_fp_ieee_invalid_op 0
		.amdhsa_exception_fp_denorm_src 0
		.amdhsa_exception_fp_ieee_div_zero 0
		.amdhsa_exception_fp_ieee_overflow 0
		.amdhsa_exception_fp_ieee_underflow 0
		.amdhsa_exception_fp_ieee_inexact 0
		.amdhsa_exception_int_div_zero 0
	.end_amdhsa_kernel
	.section	.text._ZN7rocprim17ROCPRIM_400000_NS6detail17trampoline_kernelINS0_14default_configENS1_35radix_sort_onesweep_config_selectorIjNS0_10empty_typeEEEZZNS1_29radix_sort_onesweep_iterationIS3_Lb1EPKjPjPS5_SB_mNS0_19identity_decomposerENS1_16block_id_wrapperIjLb0EEEEE10hipError_tT1_PNSt15iterator_traitsISG_E10value_typeET2_T3_PNSH_ISM_E10value_typeET4_T5_PSR_SS_PNS1_23onesweep_lookback_stateEbbT6_jjT7_P12ihipStream_tbENKUlT_T0_SG_SL_E_clISA_SA_SB_SB_EEDaSZ_S10_SG_SL_EUlSZ_E_NS1_11comp_targetILNS1_3genE0ELNS1_11target_archE4294967295ELNS1_3gpuE0ELNS1_3repE0EEENS1_47radix_sort_onesweep_sort_config_static_selectorELNS0_4arch9wavefront6targetE0EEEvSG_,"axG",@progbits,_ZN7rocprim17ROCPRIM_400000_NS6detail17trampoline_kernelINS0_14default_configENS1_35radix_sort_onesweep_config_selectorIjNS0_10empty_typeEEEZZNS1_29radix_sort_onesweep_iterationIS3_Lb1EPKjPjPS5_SB_mNS0_19identity_decomposerENS1_16block_id_wrapperIjLb0EEEEE10hipError_tT1_PNSt15iterator_traitsISG_E10value_typeET2_T3_PNSH_ISM_E10value_typeET4_T5_PSR_SS_PNS1_23onesweep_lookback_stateEbbT6_jjT7_P12ihipStream_tbENKUlT_T0_SG_SL_E_clISA_SA_SB_SB_EEDaSZ_S10_SG_SL_EUlSZ_E_NS1_11comp_targetILNS1_3genE0ELNS1_11target_archE4294967295ELNS1_3gpuE0ELNS1_3repE0EEENS1_47radix_sort_onesweep_sort_config_static_selectorELNS0_4arch9wavefront6targetE0EEEvSG_,comdat
.Lfunc_end2660:
	.size	_ZN7rocprim17ROCPRIM_400000_NS6detail17trampoline_kernelINS0_14default_configENS1_35radix_sort_onesweep_config_selectorIjNS0_10empty_typeEEEZZNS1_29radix_sort_onesweep_iterationIS3_Lb1EPKjPjPS5_SB_mNS0_19identity_decomposerENS1_16block_id_wrapperIjLb0EEEEE10hipError_tT1_PNSt15iterator_traitsISG_E10value_typeET2_T3_PNSH_ISM_E10value_typeET4_T5_PSR_SS_PNS1_23onesweep_lookback_stateEbbT6_jjT7_P12ihipStream_tbENKUlT_T0_SG_SL_E_clISA_SA_SB_SB_EEDaSZ_S10_SG_SL_EUlSZ_E_NS1_11comp_targetILNS1_3genE0ELNS1_11target_archE4294967295ELNS1_3gpuE0ELNS1_3repE0EEENS1_47radix_sort_onesweep_sort_config_static_selectorELNS0_4arch9wavefront6targetE0EEEvSG_, .Lfunc_end2660-_ZN7rocprim17ROCPRIM_400000_NS6detail17trampoline_kernelINS0_14default_configENS1_35radix_sort_onesweep_config_selectorIjNS0_10empty_typeEEEZZNS1_29radix_sort_onesweep_iterationIS3_Lb1EPKjPjPS5_SB_mNS0_19identity_decomposerENS1_16block_id_wrapperIjLb0EEEEE10hipError_tT1_PNSt15iterator_traitsISG_E10value_typeET2_T3_PNSH_ISM_E10value_typeET4_T5_PSR_SS_PNS1_23onesweep_lookback_stateEbbT6_jjT7_P12ihipStream_tbENKUlT_T0_SG_SL_E_clISA_SA_SB_SB_EEDaSZ_S10_SG_SL_EUlSZ_E_NS1_11comp_targetILNS1_3genE0ELNS1_11target_archE4294967295ELNS1_3gpuE0ELNS1_3repE0EEENS1_47radix_sort_onesweep_sort_config_static_selectorELNS0_4arch9wavefront6targetE0EEEvSG_
                                        ; -- End function
	.set _ZN7rocprim17ROCPRIM_400000_NS6detail17trampoline_kernelINS0_14default_configENS1_35radix_sort_onesweep_config_selectorIjNS0_10empty_typeEEEZZNS1_29radix_sort_onesweep_iterationIS3_Lb1EPKjPjPS5_SB_mNS0_19identity_decomposerENS1_16block_id_wrapperIjLb0EEEEE10hipError_tT1_PNSt15iterator_traitsISG_E10value_typeET2_T3_PNSH_ISM_E10value_typeET4_T5_PSR_SS_PNS1_23onesweep_lookback_stateEbbT6_jjT7_P12ihipStream_tbENKUlT_T0_SG_SL_E_clISA_SA_SB_SB_EEDaSZ_S10_SG_SL_EUlSZ_E_NS1_11comp_targetILNS1_3genE0ELNS1_11target_archE4294967295ELNS1_3gpuE0ELNS1_3repE0EEENS1_47radix_sort_onesweep_sort_config_static_selectorELNS0_4arch9wavefront6targetE0EEEvSG_.num_vgpr, 65
	.set _ZN7rocprim17ROCPRIM_400000_NS6detail17trampoline_kernelINS0_14default_configENS1_35radix_sort_onesweep_config_selectorIjNS0_10empty_typeEEEZZNS1_29radix_sort_onesweep_iterationIS3_Lb1EPKjPjPS5_SB_mNS0_19identity_decomposerENS1_16block_id_wrapperIjLb0EEEEE10hipError_tT1_PNSt15iterator_traitsISG_E10value_typeET2_T3_PNSH_ISM_E10value_typeET4_T5_PSR_SS_PNS1_23onesweep_lookback_stateEbbT6_jjT7_P12ihipStream_tbENKUlT_T0_SG_SL_E_clISA_SA_SB_SB_EEDaSZ_S10_SG_SL_EUlSZ_E_NS1_11comp_targetILNS1_3genE0ELNS1_11target_archE4294967295ELNS1_3gpuE0ELNS1_3repE0EEENS1_47radix_sort_onesweep_sort_config_static_selectorELNS0_4arch9wavefront6targetE0EEEvSG_.num_agpr, 0
	.set _ZN7rocprim17ROCPRIM_400000_NS6detail17trampoline_kernelINS0_14default_configENS1_35radix_sort_onesweep_config_selectorIjNS0_10empty_typeEEEZZNS1_29radix_sort_onesweep_iterationIS3_Lb1EPKjPjPS5_SB_mNS0_19identity_decomposerENS1_16block_id_wrapperIjLb0EEEEE10hipError_tT1_PNSt15iterator_traitsISG_E10value_typeET2_T3_PNSH_ISM_E10value_typeET4_T5_PSR_SS_PNS1_23onesweep_lookback_stateEbbT6_jjT7_P12ihipStream_tbENKUlT_T0_SG_SL_E_clISA_SA_SB_SB_EEDaSZ_S10_SG_SL_EUlSZ_E_NS1_11comp_targetILNS1_3genE0ELNS1_11target_archE4294967295ELNS1_3gpuE0ELNS1_3repE0EEENS1_47radix_sort_onesweep_sort_config_static_selectorELNS0_4arch9wavefront6targetE0EEEvSG_.numbered_sgpr, 29
	.set _ZN7rocprim17ROCPRIM_400000_NS6detail17trampoline_kernelINS0_14default_configENS1_35radix_sort_onesweep_config_selectorIjNS0_10empty_typeEEEZZNS1_29radix_sort_onesweep_iterationIS3_Lb1EPKjPjPS5_SB_mNS0_19identity_decomposerENS1_16block_id_wrapperIjLb0EEEEE10hipError_tT1_PNSt15iterator_traitsISG_E10value_typeET2_T3_PNSH_ISM_E10value_typeET4_T5_PSR_SS_PNS1_23onesweep_lookback_stateEbbT6_jjT7_P12ihipStream_tbENKUlT_T0_SG_SL_E_clISA_SA_SB_SB_EEDaSZ_S10_SG_SL_EUlSZ_E_NS1_11comp_targetILNS1_3genE0ELNS1_11target_archE4294967295ELNS1_3gpuE0ELNS1_3repE0EEENS1_47radix_sort_onesweep_sort_config_static_selectorELNS0_4arch9wavefront6targetE0EEEvSG_.num_named_barrier, 0
	.set _ZN7rocprim17ROCPRIM_400000_NS6detail17trampoline_kernelINS0_14default_configENS1_35radix_sort_onesweep_config_selectorIjNS0_10empty_typeEEEZZNS1_29radix_sort_onesweep_iterationIS3_Lb1EPKjPjPS5_SB_mNS0_19identity_decomposerENS1_16block_id_wrapperIjLb0EEEEE10hipError_tT1_PNSt15iterator_traitsISG_E10value_typeET2_T3_PNSH_ISM_E10value_typeET4_T5_PSR_SS_PNS1_23onesweep_lookback_stateEbbT6_jjT7_P12ihipStream_tbENKUlT_T0_SG_SL_E_clISA_SA_SB_SB_EEDaSZ_S10_SG_SL_EUlSZ_E_NS1_11comp_targetILNS1_3genE0ELNS1_11target_archE4294967295ELNS1_3gpuE0ELNS1_3repE0EEENS1_47radix_sort_onesweep_sort_config_static_selectorELNS0_4arch9wavefront6targetE0EEEvSG_.private_seg_size, 0
	.set _ZN7rocprim17ROCPRIM_400000_NS6detail17trampoline_kernelINS0_14default_configENS1_35radix_sort_onesweep_config_selectorIjNS0_10empty_typeEEEZZNS1_29radix_sort_onesweep_iterationIS3_Lb1EPKjPjPS5_SB_mNS0_19identity_decomposerENS1_16block_id_wrapperIjLb0EEEEE10hipError_tT1_PNSt15iterator_traitsISG_E10value_typeET2_T3_PNSH_ISM_E10value_typeET4_T5_PSR_SS_PNS1_23onesweep_lookback_stateEbbT6_jjT7_P12ihipStream_tbENKUlT_T0_SG_SL_E_clISA_SA_SB_SB_EEDaSZ_S10_SG_SL_EUlSZ_E_NS1_11comp_targetILNS1_3genE0ELNS1_11target_archE4294967295ELNS1_3gpuE0ELNS1_3repE0EEENS1_47radix_sort_onesweep_sort_config_static_selectorELNS0_4arch9wavefront6targetE0EEEvSG_.uses_vcc, 1
	.set _ZN7rocprim17ROCPRIM_400000_NS6detail17trampoline_kernelINS0_14default_configENS1_35radix_sort_onesweep_config_selectorIjNS0_10empty_typeEEEZZNS1_29radix_sort_onesweep_iterationIS3_Lb1EPKjPjPS5_SB_mNS0_19identity_decomposerENS1_16block_id_wrapperIjLb0EEEEE10hipError_tT1_PNSt15iterator_traitsISG_E10value_typeET2_T3_PNSH_ISM_E10value_typeET4_T5_PSR_SS_PNS1_23onesweep_lookback_stateEbbT6_jjT7_P12ihipStream_tbENKUlT_T0_SG_SL_E_clISA_SA_SB_SB_EEDaSZ_S10_SG_SL_EUlSZ_E_NS1_11comp_targetILNS1_3genE0ELNS1_11target_archE4294967295ELNS1_3gpuE0ELNS1_3repE0EEENS1_47radix_sort_onesweep_sort_config_static_selectorELNS0_4arch9wavefront6targetE0EEEvSG_.uses_flat_scratch, 0
	.set _ZN7rocprim17ROCPRIM_400000_NS6detail17trampoline_kernelINS0_14default_configENS1_35radix_sort_onesweep_config_selectorIjNS0_10empty_typeEEEZZNS1_29radix_sort_onesweep_iterationIS3_Lb1EPKjPjPS5_SB_mNS0_19identity_decomposerENS1_16block_id_wrapperIjLb0EEEEE10hipError_tT1_PNSt15iterator_traitsISG_E10value_typeET2_T3_PNSH_ISM_E10value_typeET4_T5_PSR_SS_PNS1_23onesweep_lookback_stateEbbT6_jjT7_P12ihipStream_tbENKUlT_T0_SG_SL_E_clISA_SA_SB_SB_EEDaSZ_S10_SG_SL_EUlSZ_E_NS1_11comp_targetILNS1_3genE0ELNS1_11target_archE4294967295ELNS1_3gpuE0ELNS1_3repE0EEENS1_47radix_sort_onesweep_sort_config_static_selectorELNS0_4arch9wavefront6targetE0EEEvSG_.has_dyn_sized_stack, 0
	.set _ZN7rocprim17ROCPRIM_400000_NS6detail17trampoline_kernelINS0_14default_configENS1_35radix_sort_onesweep_config_selectorIjNS0_10empty_typeEEEZZNS1_29radix_sort_onesweep_iterationIS3_Lb1EPKjPjPS5_SB_mNS0_19identity_decomposerENS1_16block_id_wrapperIjLb0EEEEE10hipError_tT1_PNSt15iterator_traitsISG_E10value_typeET2_T3_PNSH_ISM_E10value_typeET4_T5_PSR_SS_PNS1_23onesweep_lookback_stateEbbT6_jjT7_P12ihipStream_tbENKUlT_T0_SG_SL_E_clISA_SA_SB_SB_EEDaSZ_S10_SG_SL_EUlSZ_E_NS1_11comp_targetILNS1_3genE0ELNS1_11target_archE4294967295ELNS1_3gpuE0ELNS1_3repE0EEENS1_47radix_sort_onesweep_sort_config_static_selectorELNS0_4arch9wavefront6targetE0EEEvSG_.has_recursion, 0
	.set _ZN7rocprim17ROCPRIM_400000_NS6detail17trampoline_kernelINS0_14default_configENS1_35radix_sort_onesweep_config_selectorIjNS0_10empty_typeEEEZZNS1_29radix_sort_onesweep_iterationIS3_Lb1EPKjPjPS5_SB_mNS0_19identity_decomposerENS1_16block_id_wrapperIjLb0EEEEE10hipError_tT1_PNSt15iterator_traitsISG_E10value_typeET2_T3_PNSH_ISM_E10value_typeET4_T5_PSR_SS_PNS1_23onesweep_lookback_stateEbbT6_jjT7_P12ihipStream_tbENKUlT_T0_SG_SL_E_clISA_SA_SB_SB_EEDaSZ_S10_SG_SL_EUlSZ_E_NS1_11comp_targetILNS1_3genE0ELNS1_11target_archE4294967295ELNS1_3gpuE0ELNS1_3repE0EEENS1_47radix_sort_onesweep_sort_config_static_selectorELNS0_4arch9wavefront6targetE0EEEvSG_.has_indirect_call, 0
	.section	.AMDGPU.csdata,"",@progbits
; Kernel info:
; codeLenInByte = 15308
; TotalNumSgprs: 31
; NumVgprs: 65
; ScratchSize: 0
; MemoryBound: 0
; FloatMode: 240
; IeeeMode: 1
; LDSByteSize: 18504 bytes/workgroup (compile time only)
; SGPRBlocks: 0
; VGPRBlocks: 4
; NumSGPRsForWavesPerEU: 31
; NumVGPRsForWavesPerEU: 65
; NamedBarCnt: 0
; Occupancy: 12
; WaveLimiterHint : 1
; COMPUTE_PGM_RSRC2:SCRATCH_EN: 0
; COMPUTE_PGM_RSRC2:USER_SGPR: 2
; COMPUTE_PGM_RSRC2:TRAP_HANDLER: 0
; COMPUTE_PGM_RSRC2:TGID_X_EN: 1
; COMPUTE_PGM_RSRC2:TGID_Y_EN: 0
; COMPUTE_PGM_RSRC2:TGID_Z_EN: 0
; COMPUTE_PGM_RSRC2:TIDIG_COMP_CNT: 2
	.section	.text._ZN7rocprim17ROCPRIM_400000_NS6detail17trampoline_kernelINS0_14default_configENS1_35radix_sort_onesweep_config_selectorIjNS0_10empty_typeEEEZZNS1_29radix_sort_onesweep_iterationIS3_Lb1EPKjPjPS5_SB_mNS0_19identity_decomposerENS1_16block_id_wrapperIjLb0EEEEE10hipError_tT1_PNSt15iterator_traitsISG_E10value_typeET2_T3_PNSH_ISM_E10value_typeET4_T5_PSR_SS_PNS1_23onesweep_lookback_stateEbbT6_jjT7_P12ihipStream_tbENKUlT_T0_SG_SL_E_clISA_SA_SB_SB_EEDaSZ_S10_SG_SL_EUlSZ_E_NS1_11comp_targetILNS1_3genE6ELNS1_11target_archE950ELNS1_3gpuE13ELNS1_3repE0EEENS1_47radix_sort_onesweep_sort_config_static_selectorELNS0_4arch9wavefront6targetE0EEEvSG_,"axG",@progbits,_ZN7rocprim17ROCPRIM_400000_NS6detail17trampoline_kernelINS0_14default_configENS1_35radix_sort_onesweep_config_selectorIjNS0_10empty_typeEEEZZNS1_29radix_sort_onesweep_iterationIS3_Lb1EPKjPjPS5_SB_mNS0_19identity_decomposerENS1_16block_id_wrapperIjLb0EEEEE10hipError_tT1_PNSt15iterator_traitsISG_E10value_typeET2_T3_PNSH_ISM_E10value_typeET4_T5_PSR_SS_PNS1_23onesweep_lookback_stateEbbT6_jjT7_P12ihipStream_tbENKUlT_T0_SG_SL_E_clISA_SA_SB_SB_EEDaSZ_S10_SG_SL_EUlSZ_E_NS1_11comp_targetILNS1_3genE6ELNS1_11target_archE950ELNS1_3gpuE13ELNS1_3repE0EEENS1_47radix_sort_onesweep_sort_config_static_selectorELNS0_4arch9wavefront6targetE0EEEvSG_,comdat
	.protected	_ZN7rocprim17ROCPRIM_400000_NS6detail17trampoline_kernelINS0_14default_configENS1_35radix_sort_onesweep_config_selectorIjNS0_10empty_typeEEEZZNS1_29radix_sort_onesweep_iterationIS3_Lb1EPKjPjPS5_SB_mNS0_19identity_decomposerENS1_16block_id_wrapperIjLb0EEEEE10hipError_tT1_PNSt15iterator_traitsISG_E10value_typeET2_T3_PNSH_ISM_E10value_typeET4_T5_PSR_SS_PNS1_23onesweep_lookback_stateEbbT6_jjT7_P12ihipStream_tbENKUlT_T0_SG_SL_E_clISA_SA_SB_SB_EEDaSZ_S10_SG_SL_EUlSZ_E_NS1_11comp_targetILNS1_3genE6ELNS1_11target_archE950ELNS1_3gpuE13ELNS1_3repE0EEENS1_47radix_sort_onesweep_sort_config_static_selectorELNS0_4arch9wavefront6targetE0EEEvSG_ ; -- Begin function _ZN7rocprim17ROCPRIM_400000_NS6detail17trampoline_kernelINS0_14default_configENS1_35radix_sort_onesweep_config_selectorIjNS0_10empty_typeEEEZZNS1_29radix_sort_onesweep_iterationIS3_Lb1EPKjPjPS5_SB_mNS0_19identity_decomposerENS1_16block_id_wrapperIjLb0EEEEE10hipError_tT1_PNSt15iterator_traitsISG_E10value_typeET2_T3_PNSH_ISM_E10value_typeET4_T5_PSR_SS_PNS1_23onesweep_lookback_stateEbbT6_jjT7_P12ihipStream_tbENKUlT_T0_SG_SL_E_clISA_SA_SB_SB_EEDaSZ_S10_SG_SL_EUlSZ_E_NS1_11comp_targetILNS1_3genE6ELNS1_11target_archE950ELNS1_3gpuE13ELNS1_3repE0EEENS1_47radix_sort_onesweep_sort_config_static_selectorELNS0_4arch9wavefront6targetE0EEEvSG_
	.globl	_ZN7rocprim17ROCPRIM_400000_NS6detail17trampoline_kernelINS0_14default_configENS1_35radix_sort_onesweep_config_selectorIjNS0_10empty_typeEEEZZNS1_29radix_sort_onesweep_iterationIS3_Lb1EPKjPjPS5_SB_mNS0_19identity_decomposerENS1_16block_id_wrapperIjLb0EEEEE10hipError_tT1_PNSt15iterator_traitsISG_E10value_typeET2_T3_PNSH_ISM_E10value_typeET4_T5_PSR_SS_PNS1_23onesweep_lookback_stateEbbT6_jjT7_P12ihipStream_tbENKUlT_T0_SG_SL_E_clISA_SA_SB_SB_EEDaSZ_S10_SG_SL_EUlSZ_E_NS1_11comp_targetILNS1_3genE6ELNS1_11target_archE950ELNS1_3gpuE13ELNS1_3repE0EEENS1_47radix_sort_onesweep_sort_config_static_selectorELNS0_4arch9wavefront6targetE0EEEvSG_
	.p2align	8
	.type	_ZN7rocprim17ROCPRIM_400000_NS6detail17trampoline_kernelINS0_14default_configENS1_35radix_sort_onesweep_config_selectorIjNS0_10empty_typeEEEZZNS1_29radix_sort_onesweep_iterationIS3_Lb1EPKjPjPS5_SB_mNS0_19identity_decomposerENS1_16block_id_wrapperIjLb0EEEEE10hipError_tT1_PNSt15iterator_traitsISG_E10value_typeET2_T3_PNSH_ISM_E10value_typeET4_T5_PSR_SS_PNS1_23onesweep_lookback_stateEbbT6_jjT7_P12ihipStream_tbENKUlT_T0_SG_SL_E_clISA_SA_SB_SB_EEDaSZ_S10_SG_SL_EUlSZ_E_NS1_11comp_targetILNS1_3genE6ELNS1_11target_archE950ELNS1_3gpuE13ELNS1_3repE0EEENS1_47radix_sort_onesweep_sort_config_static_selectorELNS0_4arch9wavefront6targetE0EEEvSG_,@function
_ZN7rocprim17ROCPRIM_400000_NS6detail17trampoline_kernelINS0_14default_configENS1_35radix_sort_onesweep_config_selectorIjNS0_10empty_typeEEEZZNS1_29radix_sort_onesweep_iterationIS3_Lb1EPKjPjPS5_SB_mNS0_19identity_decomposerENS1_16block_id_wrapperIjLb0EEEEE10hipError_tT1_PNSt15iterator_traitsISG_E10value_typeET2_T3_PNSH_ISM_E10value_typeET4_T5_PSR_SS_PNS1_23onesweep_lookback_stateEbbT6_jjT7_P12ihipStream_tbENKUlT_T0_SG_SL_E_clISA_SA_SB_SB_EEDaSZ_S10_SG_SL_EUlSZ_E_NS1_11comp_targetILNS1_3genE6ELNS1_11target_archE950ELNS1_3gpuE13ELNS1_3repE0EEENS1_47radix_sort_onesweep_sort_config_static_selectorELNS0_4arch9wavefront6targetE0EEEvSG_: ; @_ZN7rocprim17ROCPRIM_400000_NS6detail17trampoline_kernelINS0_14default_configENS1_35radix_sort_onesweep_config_selectorIjNS0_10empty_typeEEEZZNS1_29radix_sort_onesweep_iterationIS3_Lb1EPKjPjPS5_SB_mNS0_19identity_decomposerENS1_16block_id_wrapperIjLb0EEEEE10hipError_tT1_PNSt15iterator_traitsISG_E10value_typeET2_T3_PNSH_ISM_E10value_typeET4_T5_PSR_SS_PNS1_23onesweep_lookback_stateEbbT6_jjT7_P12ihipStream_tbENKUlT_T0_SG_SL_E_clISA_SA_SB_SB_EEDaSZ_S10_SG_SL_EUlSZ_E_NS1_11comp_targetILNS1_3genE6ELNS1_11target_archE950ELNS1_3gpuE13ELNS1_3repE0EEENS1_47radix_sort_onesweep_sort_config_static_selectorELNS0_4arch9wavefront6targetE0EEEvSG_
; %bb.0:
	.section	.rodata,"a",@progbits
	.p2align	6, 0x0
	.amdhsa_kernel _ZN7rocprim17ROCPRIM_400000_NS6detail17trampoline_kernelINS0_14default_configENS1_35radix_sort_onesweep_config_selectorIjNS0_10empty_typeEEEZZNS1_29radix_sort_onesweep_iterationIS3_Lb1EPKjPjPS5_SB_mNS0_19identity_decomposerENS1_16block_id_wrapperIjLb0EEEEE10hipError_tT1_PNSt15iterator_traitsISG_E10value_typeET2_T3_PNSH_ISM_E10value_typeET4_T5_PSR_SS_PNS1_23onesweep_lookback_stateEbbT6_jjT7_P12ihipStream_tbENKUlT_T0_SG_SL_E_clISA_SA_SB_SB_EEDaSZ_S10_SG_SL_EUlSZ_E_NS1_11comp_targetILNS1_3genE6ELNS1_11target_archE950ELNS1_3gpuE13ELNS1_3repE0EEENS1_47radix_sort_onesweep_sort_config_static_selectorELNS0_4arch9wavefront6targetE0EEEvSG_
		.amdhsa_group_segment_fixed_size 0
		.amdhsa_private_segment_fixed_size 0
		.amdhsa_kernarg_size 88
		.amdhsa_user_sgpr_count 2
		.amdhsa_user_sgpr_dispatch_ptr 0
		.amdhsa_user_sgpr_queue_ptr 0
		.amdhsa_user_sgpr_kernarg_segment_ptr 1
		.amdhsa_user_sgpr_dispatch_id 0
		.amdhsa_user_sgpr_kernarg_preload_length 0
		.amdhsa_user_sgpr_kernarg_preload_offset 0
		.amdhsa_user_sgpr_private_segment_size 0
		.amdhsa_wavefront_size32 1
		.amdhsa_uses_dynamic_stack 0
		.amdhsa_enable_private_segment 0
		.amdhsa_system_sgpr_workgroup_id_x 1
		.amdhsa_system_sgpr_workgroup_id_y 0
		.amdhsa_system_sgpr_workgroup_id_z 0
		.amdhsa_system_sgpr_workgroup_info 0
		.amdhsa_system_vgpr_workitem_id 0
		.amdhsa_next_free_vgpr 1
		.amdhsa_next_free_sgpr 1
		.amdhsa_named_barrier_count 0
		.amdhsa_reserve_vcc 0
		.amdhsa_float_round_mode_32 0
		.amdhsa_float_round_mode_16_64 0
		.amdhsa_float_denorm_mode_32 3
		.amdhsa_float_denorm_mode_16_64 3
		.amdhsa_fp16_overflow 0
		.amdhsa_memory_ordered 1
		.amdhsa_forward_progress 1
		.amdhsa_inst_pref_size 0
		.amdhsa_round_robin_scheduling 0
		.amdhsa_exception_fp_ieee_invalid_op 0
		.amdhsa_exception_fp_denorm_src 0
		.amdhsa_exception_fp_ieee_div_zero 0
		.amdhsa_exception_fp_ieee_overflow 0
		.amdhsa_exception_fp_ieee_underflow 0
		.amdhsa_exception_fp_ieee_inexact 0
		.amdhsa_exception_int_div_zero 0
	.end_amdhsa_kernel
	.section	.text._ZN7rocprim17ROCPRIM_400000_NS6detail17trampoline_kernelINS0_14default_configENS1_35radix_sort_onesweep_config_selectorIjNS0_10empty_typeEEEZZNS1_29radix_sort_onesweep_iterationIS3_Lb1EPKjPjPS5_SB_mNS0_19identity_decomposerENS1_16block_id_wrapperIjLb0EEEEE10hipError_tT1_PNSt15iterator_traitsISG_E10value_typeET2_T3_PNSH_ISM_E10value_typeET4_T5_PSR_SS_PNS1_23onesweep_lookback_stateEbbT6_jjT7_P12ihipStream_tbENKUlT_T0_SG_SL_E_clISA_SA_SB_SB_EEDaSZ_S10_SG_SL_EUlSZ_E_NS1_11comp_targetILNS1_3genE6ELNS1_11target_archE950ELNS1_3gpuE13ELNS1_3repE0EEENS1_47radix_sort_onesweep_sort_config_static_selectorELNS0_4arch9wavefront6targetE0EEEvSG_,"axG",@progbits,_ZN7rocprim17ROCPRIM_400000_NS6detail17trampoline_kernelINS0_14default_configENS1_35radix_sort_onesweep_config_selectorIjNS0_10empty_typeEEEZZNS1_29radix_sort_onesweep_iterationIS3_Lb1EPKjPjPS5_SB_mNS0_19identity_decomposerENS1_16block_id_wrapperIjLb0EEEEE10hipError_tT1_PNSt15iterator_traitsISG_E10value_typeET2_T3_PNSH_ISM_E10value_typeET4_T5_PSR_SS_PNS1_23onesweep_lookback_stateEbbT6_jjT7_P12ihipStream_tbENKUlT_T0_SG_SL_E_clISA_SA_SB_SB_EEDaSZ_S10_SG_SL_EUlSZ_E_NS1_11comp_targetILNS1_3genE6ELNS1_11target_archE950ELNS1_3gpuE13ELNS1_3repE0EEENS1_47radix_sort_onesweep_sort_config_static_selectorELNS0_4arch9wavefront6targetE0EEEvSG_,comdat
.Lfunc_end2661:
	.size	_ZN7rocprim17ROCPRIM_400000_NS6detail17trampoline_kernelINS0_14default_configENS1_35radix_sort_onesweep_config_selectorIjNS0_10empty_typeEEEZZNS1_29radix_sort_onesweep_iterationIS3_Lb1EPKjPjPS5_SB_mNS0_19identity_decomposerENS1_16block_id_wrapperIjLb0EEEEE10hipError_tT1_PNSt15iterator_traitsISG_E10value_typeET2_T3_PNSH_ISM_E10value_typeET4_T5_PSR_SS_PNS1_23onesweep_lookback_stateEbbT6_jjT7_P12ihipStream_tbENKUlT_T0_SG_SL_E_clISA_SA_SB_SB_EEDaSZ_S10_SG_SL_EUlSZ_E_NS1_11comp_targetILNS1_3genE6ELNS1_11target_archE950ELNS1_3gpuE13ELNS1_3repE0EEENS1_47radix_sort_onesweep_sort_config_static_selectorELNS0_4arch9wavefront6targetE0EEEvSG_, .Lfunc_end2661-_ZN7rocprim17ROCPRIM_400000_NS6detail17trampoline_kernelINS0_14default_configENS1_35radix_sort_onesweep_config_selectorIjNS0_10empty_typeEEEZZNS1_29radix_sort_onesweep_iterationIS3_Lb1EPKjPjPS5_SB_mNS0_19identity_decomposerENS1_16block_id_wrapperIjLb0EEEEE10hipError_tT1_PNSt15iterator_traitsISG_E10value_typeET2_T3_PNSH_ISM_E10value_typeET4_T5_PSR_SS_PNS1_23onesweep_lookback_stateEbbT6_jjT7_P12ihipStream_tbENKUlT_T0_SG_SL_E_clISA_SA_SB_SB_EEDaSZ_S10_SG_SL_EUlSZ_E_NS1_11comp_targetILNS1_3genE6ELNS1_11target_archE950ELNS1_3gpuE13ELNS1_3repE0EEENS1_47radix_sort_onesweep_sort_config_static_selectorELNS0_4arch9wavefront6targetE0EEEvSG_
                                        ; -- End function
	.set _ZN7rocprim17ROCPRIM_400000_NS6detail17trampoline_kernelINS0_14default_configENS1_35radix_sort_onesweep_config_selectorIjNS0_10empty_typeEEEZZNS1_29radix_sort_onesweep_iterationIS3_Lb1EPKjPjPS5_SB_mNS0_19identity_decomposerENS1_16block_id_wrapperIjLb0EEEEE10hipError_tT1_PNSt15iterator_traitsISG_E10value_typeET2_T3_PNSH_ISM_E10value_typeET4_T5_PSR_SS_PNS1_23onesweep_lookback_stateEbbT6_jjT7_P12ihipStream_tbENKUlT_T0_SG_SL_E_clISA_SA_SB_SB_EEDaSZ_S10_SG_SL_EUlSZ_E_NS1_11comp_targetILNS1_3genE6ELNS1_11target_archE950ELNS1_3gpuE13ELNS1_3repE0EEENS1_47radix_sort_onesweep_sort_config_static_selectorELNS0_4arch9wavefront6targetE0EEEvSG_.num_vgpr, 0
	.set _ZN7rocprim17ROCPRIM_400000_NS6detail17trampoline_kernelINS0_14default_configENS1_35radix_sort_onesweep_config_selectorIjNS0_10empty_typeEEEZZNS1_29radix_sort_onesweep_iterationIS3_Lb1EPKjPjPS5_SB_mNS0_19identity_decomposerENS1_16block_id_wrapperIjLb0EEEEE10hipError_tT1_PNSt15iterator_traitsISG_E10value_typeET2_T3_PNSH_ISM_E10value_typeET4_T5_PSR_SS_PNS1_23onesweep_lookback_stateEbbT6_jjT7_P12ihipStream_tbENKUlT_T0_SG_SL_E_clISA_SA_SB_SB_EEDaSZ_S10_SG_SL_EUlSZ_E_NS1_11comp_targetILNS1_3genE6ELNS1_11target_archE950ELNS1_3gpuE13ELNS1_3repE0EEENS1_47radix_sort_onesweep_sort_config_static_selectorELNS0_4arch9wavefront6targetE0EEEvSG_.num_agpr, 0
	.set _ZN7rocprim17ROCPRIM_400000_NS6detail17trampoline_kernelINS0_14default_configENS1_35radix_sort_onesweep_config_selectorIjNS0_10empty_typeEEEZZNS1_29radix_sort_onesweep_iterationIS3_Lb1EPKjPjPS5_SB_mNS0_19identity_decomposerENS1_16block_id_wrapperIjLb0EEEEE10hipError_tT1_PNSt15iterator_traitsISG_E10value_typeET2_T3_PNSH_ISM_E10value_typeET4_T5_PSR_SS_PNS1_23onesweep_lookback_stateEbbT6_jjT7_P12ihipStream_tbENKUlT_T0_SG_SL_E_clISA_SA_SB_SB_EEDaSZ_S10_SG_SL_EUlSZ_E_NS1_11comp_targetILNS1_3genE6ELNS1_11target_archE950ELNS1_3gpuE13ELNS1_3repE0EEENS1_47radix_sort_onesweep_sort_config_static_selectorELNS0_4arch9wavefront6targetE0EEEvSG_.numbered_sgpr, 0
	.set _ZN7rocprim17ROCPRIM_400000_NS6detail17trampoline_kernelINS0_14default_configENS1_35radix_sort_onesweep_config_selectorIjNS0_10empty_typeEEEZZNS1_29radix_sort_onesweep_iterationIS3_Lb1EPKjPjPS5_SB_mNS0_19identity_decomposerENS1_16block_id_wrapperIjLb0EEEEE10hipError_tT1_PNSt15iterator_traitsISG_E10value_typeET2_T3_PNSH_ISM_E10value_typeET4_T5_PSR_SS_PNS1_23onesweep_lookback_stateEbbT6_jjT7_P12ihipStream_tbENKUlT_T0_SG_SL_E_clISA_SA_SB_SB_EEDaSZ_S10_SG_SL_EUlSZ_E_NS1_11comp_targetILNS1_3genE6ELNS1_11target_archE950ELNS1_3gpuE13ELNS1_3repE0EEENS1_47radix_sort_onesweep_sort_config_static_selectorELNS0_4arch9wavefront6targetE0EEEvSG_.num_named_barrier, 0
	.set _ZN7rocprim17ROCPRIM_400000_NS6detail17trampoline_kernelINS0_14default_configENS1_35radix_sort_onesweep_config_selectorIjNS0_10empty_typeEEEZZNS1_29radix_sort_onesweep_iterationIS3_Lb1EPKjPjPS5_SB_mNS0_19identity_decomposerENS1_16block_id_wrapperIjLb0EEEEE10hipError_tT1_PNSt15iterator_traitsISG_E10value_typeET2_T3_PNSH_ISM_E10value_typeET4_T5_PSR_SS_PNS1_23onesweep_lookback_stateEbbT6_jjT7_P12ihipStream_tbENKUlT_T0_SG_SL_E_clISA_SA_SB_SB_EEDaSZ_S10_SG_SL_EUlSZ_E_NS1_11comp_targetILNS1_3genE6ELNS1_11target_archE950ELNS1_3gpuE13ELNS1_3repE0EEENS1_47radix_sort_onesweep_sort_config_static_selectorELNS0_4arch9wavefront6targetE0EEEvSG_.private_seg_size, 0
	.set _ZN7rocprim17ROCPRIM_400000_NS6detail17trampoline_kernelINS0_14default_configENS1_35radix_sort_onesweep_config_selectorIjNS0_10empty_typeEEEZZNS1_29radix_sort_onesweep_iterationIS3_Lb1EPKjPjPS5_SB_mNS0_19identity_decomposerENS1_16block_id_wrapperIjLb0EEEEE10hipError_tT1_PNSt15iterator_traitsISG_E10value_typeET2_T3_PNSH_ISM_E10value_typeET4_T5_PSR_SS_PNS1_23onesweep_lookback_stateEbbT6_jjT7_P12ihipStream_tbENKUlT_T0_SG_SL_E_clISA_SA_SB_SB_EEDaSZ_S10_SG_SL_EUlSZ_E_NS1_11comp_targetILNS1_3genE6ELNS1_11target_archE950ELNS1_3gpuE13ELNS1_3repE0EEENS1_47radix_sort_onesweep_sort_config_static_selectorELNS0_4arch9wavefront6targetE0EEEvSG_.uses_vcc, 0
	.set _ZN7rocprim17ROCPRIM_400000_NS6detail17trampoline_kernelINS0_14default_configENS1_35radix_sort_onesweep_config_selectorIjNS0_10empty_typeEEEZZNS1_29radix_sort_onesweep_iterationIS3_Lb1EPKjPjPS5_SB_mNS0_19identity_decomposerENS1_16block_id_wrapperIjLb0EEEEE10hipError_tT1_PNSt15iterator_traitsISG_E10value_typeET2_T3_PNSH_ISM_E10value_typeET4_T5_PSR_SS_PNS1_23onesweep_lookback_stateEbbT6_jjT7_P12ihipStream_tbENKUlT_T0_SG_SL_E_clISA_SA_SB_SB_EEDaSZ_S10_SG_SL_EUlSZ_E_NS1_11comp_targetILNS1_3genE6ELNS1_11target_archE950ELNS1_3gpuE13ELNS1_3repE0EEENS1_47radix_sort_onesweep_sort_config_static_selectorELNS0_4arch9wavefront6targetE0EEEvSG_.uses_flat_scratch, 0
	.set _ZN7rocprim17ROCPRIM_400000_NS6detail17trampoline_kernelINS0_14default_configENS1_35radix_sort_onesweep_config_selectorIjNS0_10empty_typeEEEZZNS1_29radix_sort_onesweep_iterationIS3_Lb1EPKjPjPS5_SB_mNS0_19identity_decomposerENS1_16block_id_wrapperIjLb0EEEEE10hipError_tT1_PNSt15iterator_traitsISG_E10value_typeET2_T3_PNSH_ISM_E10value_typeET4_T5_PSR_SS_PNS1_23onesweep_lookback_stateEbbT6_jjT7_P12ihipStream_tbENKUlT_T0_SG_SL_E_clISA_SA_SB_SB_EEDaSZ_S10_SG_SL_EUlSZ_E_NS1_11comp_targetILNS1_3genE6ELNS1_11target_archE950ELNS1_3gpuE13ELNS1_3repE0EEENS1_47radix_sort_onesweep_sort_config_static_selectorELNS0_4arch9wavefront6targetE0EEEvSG_.has_dyn_sized_stack, 0
	.set _ZN7rocprim17ROCPRIM_400000_NS6detail17trampoline_kernelINS0_14default_configENS1_35radix_sort_onesweep_config_selectorIjNS0_10empty_typeEEEZZNS1_29radix_sort_onesweep_iterationIS3_Lb1EPKjPjPS5_SB_mNS0_19identity_decomposerENS1_16block_id_wrapperIjLb0EEEEE10hipError_tT1_PNSt15iterator_traitsISG_E10value_typeET2_T3_PNSH_ISM_E10value_typeET4_T5_PSR_SS_PNS1_23onesweep_lookback_stateEbbT6_jjT7_P12ihipStream_tbENKUlT_T0_SG_SL_E_clISA_SA_SB_SB_EEDaSZ_S10_SG_SL_EUlSZ_E_NS1_11comp_targetILNS1_3genE6ELNS1_11target_archE950ELNS1_3gpuE13ELNS1_3repE0EEENS1_47radix_sort_onesweep_sort_config_static_selectorELNS0_4arch9wavefront6targetE0EEEvSG_.has_recursion, 0
	.set _ZN7rocprim17ROCPRIM_400000_NS6detail17trampoline_kernelINS0_14default_configENS1_35radix_sort_onesweep_config_selectorIjNS0_10empty_typeEEEZZNS1_29radix_sort_onesweep_iterationIS3_Lb1EPKjPjPS5_SB_mNS0_19identity_decomposerENS1_16block_id_wrapperIjLb0EEEEE10hipError_tT1_PNSt15iterator_traitsISG_E10value_typeET2_T3_PNSH_ISM_E10value_typeET4_T5_PSR_SS_PNS1_23onesweep_lookback_stateEbbT6_jjT7_P12ihipStream_tbENKUlT_T0_SG_SL_E_clISA_SA_SB_SB_EEDaSZ_S10_SG_SL_EUlSZ_E_NS1_11comp_targetILNS1_3genE6ELNS1_11target_archE950ELNS1_3gpuE13ELNS1_3repE0EEENS1_47radix_sort_onesweep_sort_config_static_selectorELNS0_4arch9wavefront6targetE0EEEvSG_.has_indirect_call, 0
	.section	.AMDGPU.csdata,"",@progbits
; Kernel info:
; codeLenInByte = 0
; TotalNumSgprs: 0
; NumVgprs: 0
; ScratchSize: 0
; MemoryBound: 0
; FloatMode: 240
; IeeeMode: 1
; LDSByteSize: 0 bytes/workgroup (compile time only)
; SGPRBlocks: 0
; VGPRBlocks: 0
; NumSGPRsForWavesPerEU: 1
; NumVGPRsForWavesPerEU: 1
; NamedBarCnt: 0
; Occupancy: 16
; WaveLimiterHint : 0
; COMPUTE_PGM_RSRC2:SCRATCH_EN: 0
; COMPUTE_PGM_RSRC2:USER_SGPR: 2
; COMPUTE_PGM_RSRC2:TRAP_HANDLER: 0
; COMPUTE_PGM_RSRC2:TGID_X_EN: 1
; COMPUTE_PGM_RSRC2:TGID_Y_EN: 0
; COMPUTE_PGM_RSRC2:TGID_Z_EN: 0
; COMPUTE_PGM_RSRC2:TIDIG_COMP_CNT: 0
	.section	.text._ZN7rocprim17ROCPRIM_400000_NS6detail17trampoline_kernelINS0_14default_configENS1_35radix_sort_onesweep_config_selectorIjNS0_10empty_typeEEEZZNS1_29radix_sort_onesweep_iterationIS3_Lb1EPKjPjPS5_SB_mNS0_19identity_decomposerENS1_16block_id_wrapperIjLb0EEEEE10hipError_tT1_PNSt15iterator_traitsISG_E10value_typeET2_T3_PNSH_ISM_E10value_typeET4_T5_PSR_SS_PNS1_23onesweep_lookback_stateEbbT6_jjT7_P12ihipStream_tbENKUlT_T0_SG_SL_E_clISA_SA_SB_SB_EEDaSZ_S10_SG_SL_EUlSZ_E_NS1_11comp_targetILNS1_3genE5ELNS1_11target_archE942ELNS1_3gpuE9ELNS1_3repE0EEENS1_47radix_sort_onesweep_sort_config_static_selectorELNS0_4arch9wavefront6targetE0EEEvSG_,"axG",@progbits,_ZN7rocprim17ROCPRIM_400000_NS6detail17trampoline_kernelINS0_14default_configENS1_35radix_sort_onesweep_config_selectorIjNS0_10empty_typeEEEZZNS1_29radix_sort_onesweep_iterationIS3_Lb1EPKjPjPS5_SB_mNS0_19identity_decomposerENS1_16block_id_wrapperIjLb0EEEEE10hipError_tT1_PNSt15iterator_traitsISG_E10value_typeET2_T3_PNSH_ISM_E10value_typeET4_T5_PSR_SS_PNS1_23onesweep_lookback_stateEbbT6_jjT7_P12ihipStream_tbENKUlT_T0_SG_SL_E_clISA_SA_SB_SB_EEDaSZ_S10_SG_SL_EUlSZ_E_NS1_11comp_targetILNS1_3genE5ELNS1_11target_archE942ELNS1_3gpuE9ELNS1_3repE0EEENS1_47radix_sort_onesweep_sort_config_static_selectorELNS0_4arch9wavefront6targetE0EEEvSG_,comdat
	.protected	_ZN7rocprim17ROCPRIM_400000_NS6detail17trampoline_kernelINS0_14default_configENS1_35radix_sort_onesweep_config_selectorIjNS0_10empty_typeEEEZZNS1_29radix_sort_onesweep_iterationIS3_Lb1EPKjPjPS5_SB_mNS0_19identity_decomposerENS1_16block_id_wrapperIjLb0EEEEE10hipError_tT1_PNSt15iterator_traitsISG_E10value_typeET2_T3_PNSH_ISM_E10value_typeET4_T5_PSR_SS_PNS1_23onesweep_lookback_stateEbbT6_jjT7_P12ihipStream_tbENKUlT_T0_SG_SL_E_clISA_SA_SB_SB_EEDaSZ_S10_SG_SL_EUlSZ_E_NS1_11comp_targetILNS1_3genE5ELNS1_11target_archE942ELNS1_3gpuE9ELNS1_3repE0EEENS1_47radix_sort_onesweep_sort_config_static_selectorELNS0_4arch9wavefront6targetE0EEEvSG_ ; -- Begin function _ZN7rocprim17ROCPRIM_400000_NS6detail17trampoline_kernelINS0_14default_configENS1_35radix_sort_onesweep_config_selectorIjNS0_10empty_typeEEEZZNS1_29radix_sort_onesweep_iterationIS3_Lb1EPKjPjPS5_SB_mNS0_19identity_decomposerENS1_16block_id_wrapperIjLb0EEEEE10hipError_tT1_PNSt15iterator_traitsISG_E10value_typeET2_T3_PNSH_ISM_E10value_typeET4_T5_PSR_SS_PNS1_23onesweep_lookback_stateEbbT6_jjT7_P12ihipStream_tbENKUlT_T0_SG_SL_E_clISA_SA_SB_SB_EEDaSZ_S10_SG_SL_EUlSZ_E_NS1_11comp_targetILNS1_3genE5ELNS1_11target_archE942ELNS1_3gpuE9ELNS1_3repE0EEENS1_47radix_sort_onesweep_sort_config_static_selectorELNS0_4arch9wavefront6targetE0EEEvSG_
	.globl	_ZN7rocprim17ROCPRIM_400000_NS6detail17trampoline_kernelINS0_14default_configENS1_35radix_sort_onesweep_config_selectorIjNS0_10empty_typeEEEZZNS1_29radix_sort_onesweep_iterationIS3_Lb1EPKjPjPS5_SB_mNS0_19identity_decomposerENS1_16block_id_wrapperIjLb0EEEEE10hipError_tT1_PNSt15iterator_traitsISG_E10value_typeET2_T3_PNSH_ISM_E10value_typeET4_T5_PSR_SS_PNS1_23onesweep_lookback_stateEbbT6_jjT7_P12ihipStream_tbENKUlT_T0_SG_SL_E_clISA_SA_SB_SB_EEDaSZ_S10_SG_SL_EUlSZ_E_NS1_11comp_targetILNS1_3genE5ELNS1_11target_archE942ELNS1_3gpuE9ELNS1_3repE0EEENS1_47radix_sort_onesweep_sort_config_static_selectorELNS0_4arch9wavefront6targetE0EEEvSG_
	.p2align	8
	.type	_ZN7rocprim17ROCPRIM_400000_NS6detail17trampoline_kernelINS0_14default_configENS1_35radix_sort_onesweep_config_selectorIjNS0_10empty_typeEEEZZNS1_29radix_sort_onesweep_iterationIS3_Lb1EPKjPjPS5_SB_mNS0_19identity_decomposerENS1_16block_id_wrapperIjLb0EEEEE10hipError_tT1_PNSt15iterator_traitsISG_E10value_typeET2_T3_PNSH_ISM_E10value_typeET4_T5_PSR_SS_PNS1_23onesweep_lookback_stateEbbT6_jjT7_P12ihipStream_tbENKUlT_T0_SG_SL_E_clISA_SA_SB_SB_EEDaSZ_S10_SG_SL_EUlSZ_E_NS1_11comp_targetILNS1_3genE5ELNS1_11target_archE942ELNS1_3gpuE9ELNS1_3repE0EEENS1_47radix_sort_onesweep_sort_config_static_selectorELNS0_4arch9wavefront6targetE0EEEvSG_,@function
_ZN7rocprim17ROCPRIM_400000_NS6detail17trampoline_kernelINS0_14default_configENS1_35radix_sort_onesweep_config_selectorIjNS0_10empty_typeEEEZZNS1_29radix_sort_onesweep_iterationIS3_Lb1EPKjPjPS5_SB_mNS0_19identity_decomposerENS1_16block_id_wrapperIjLb0EEEEE10hipError_tT1_PNSt15iterator_traitsISG_E10value_typeET2_T3_PNSH_ISM_E10value_typeET4_T5_PSR_SS_PNS1_23onesweep_lookback_stateEbbT6_jjT7_P12ihipStream_tbENKUlT_T0_SG_SL_E_clISA_SA_SB_SB_EEDaSZ_S10_SG_SL_EUlSZ_E_NS1_11comp_targetILNS1_3genE5ELNS1_11target_archE942ELNS1_3gpuE9ELNS1_3repE0EEENS1_47radix_sort_onesweep_sort_config_static_selectorELNS0_4arch9wavefront6targetE0EEEvSG_: ; @_ZN7rocprim17ROCPRIM_400000_NS6detail17trampoline_kernelINS0_14default_configENS1_35radix_sort_onesweep_config_selectorIjNS0_10empty_typeEEEZZNS1_29radix_sort_onesweep_iterationIS3_Lb1EPKjPjPS5_SB_mNS0_19identity_decomposerENS1_16block_id_wrapperIjLb0EEEEE10hipError_tT1_PNSt15iterator_traitsISG_E10value_typeET2_T3_PNSH_ISM_E10value_typeET4_T5_PSR_SS_PNS1_23onesweep_lookback_stateEbbT6_jjT7_P12ihipStream_tbENKUlT_T0_SG_SL_E_clISA_SA_SB_SB_EEDaSZ_S10_SG_SL_EUlSZ_E_NS1_11comp_targetILNS1_3genE5ELNS1_11target_archE942ELNS1_3gpuE9ELNS1_3repE0EEENS1_47radix_sort_onesweep_sort_config_static_selectorELNS0_4arch9wavefront6targetE0EEEvSG_
; %bb.0:
	.section	.rodata,"a",@progbits
	.p2align	6, 0x0
	.amdhsa_kernel _ZN7rocprim17ROCPRIM_400000_NS6detail17trampoline_kernelINS0_14default_configENS1_35radix_sort_onesweep_config_selectorIjNS0_10empty_typeEEEZZNS1_29radix_sort_onesweep_iterationIS3_Lb1EPKjPjPS5_SB_mNS0_19identity_decomposerENS1_16block_id_wrapperIjLb0EEEEE10hipError_tT1_PNSt15iterator_traitsISG_E10value_typeET2_T3_PNSH_ISM_E10value_typeET4_T5_PSR_SS_PNS1_23onesweep_lookback_stateEbbT6_jjT7_P12ihipStream_tbENKUlT_T0_SG_SL_E_clISA_SA_SB_SB_EEDaSZ_S10_SG_SL_EUlSZ_E_NS1_11comp_targetILNS1_3genE5ELNS1_11target_archE942ELNS1_3gpuE9ELNS1_3repE0EEENS1_47radix_sort_onesweep_sort_config_static_selectorELNS0_4arch9wavefront6targetE0EEEvSG_
		.amdhsa_group_segment_fixed_size 0
		.amdhsa_private_segment_fixed_size 0
		.amdhsa_kernarg_size 88
		.amdhsa_user_sgpr_count 2
		.amdhsa_user_sgpr_dispatch_ptr 0
		.amdhsa_user_sgpr_queue_ptr 0
		.amdhsa_user_sgpr_kernarg_segment_ptr 1
		.amdhsa_user_sgpr_dispatch_id 0
		.amdhsa_user_sgpr_kernarg_preload_length 0
		.amdhsa_user_sgpr_kernarg_preload_offset 0
		.amdhsa_user_sgpr_private_segment_size 0
		.amdhsa_wavefront_size32 1
		.amdhsa_uses_dynamic_stack 0
		.amdhsa_enable_private_segment 0
		.amdhsa_system_sgpr_workgroup_id_x 1
		.amdhsa_system_sgpr_workgroup_id_y 0
		.amdhsa_system_sgpr_workgroup_id_z 0
		.amdhsa_system_sgpr_workgroup_info 0
		.amdhsa_system_vgpr_workitem_id 0
		.amdhsa_next_free_vgpr 1
		.amdhsa_next_free_sgpr 1
		.amdhsa_named_barrier_count 0
		.amdhsa_reserve_vcc 0
		.amdhsa_float_round_mode_32 0
		.amdhsa_float_round_mode_16_64 0
		.amdhsa_float_denorm_mode_32 3
		.amdhsa_float_denorm_mode_16_64 3
		.amdhsa_fp16_overflow 0
		.amdhsa_memory_ordered 1
		.amdhsa_forward_progress 1
		.amdhsa_inst_pref_size 0
		.amdhsa_round_robin_scheduling 0
		.amdhsa_exception_fp_ieee_invalid_op 0
		.amdhsa_exception_fp_denorm_src 0
		.amdhsa_exception_fp_ieee_div_zero 0
		.amdhsa_exception_fp_ieee_overflow 0
		.amdhsa_exception_fp_ieee_underflow 0
		.amdhsa_exception_fp_ieee_inexact 0
		.amdhsa_exception_int_div_zero 0
	.end_amdhsa_kernel
	.section	.text._ZN7rocprim17ROCPRIM_400000_NS6detail17trampoline_kernelINS0_14default_configENS1_35radix_sort_onesweep_config_selectorIjNS0_10empty_typeEEEZZNS1_29radix_sort_onesweep_iterationIS3_Lb1EPKjPjPS5_SB_mNS0_19identity_decomposerENS1_16block_id_wrapperIjLb0EEEEE10hipError_tT1_PNSt15iterator_traitsISG_E10value_typeET2_T3_PNSH_ISM_E10value_typeET4_T5_PSR_SS_PNS1_23onesweep_lookback_stateEbbT6_jjT7_P12ihipStream_tbENKUlT_T0_SG_SL_E_clISA_SA_SB_SB_EEDaSZ_S10_SG_SL_EUlSZ_E_NS1_11comp_targetILNS1_3genE5ELNS1_11target_archE942ELNS1_3gpuE9ELNS1_3repE0EEENS1_47radix_sort_onesweep_sort_config_static_selectorELNS0_4arch9wavefront6targetE0EEEvSG_,"axG",@progbits,_ZN7rocprim17ROCPRIM_400000_NS6detail17trampoline_kernelINS0_14default_configENS1_35radix_sort_onesweep_config_selectorIjNS0_10empty_typeEEEZZNS1_29radix_sort_onesweep_iterationIS3_Lb1EPKjPjPS5_SB_mNS0_19identity_decomposerENS1_16block_id_wrapperIjLb0EEEEE10hipError_tT1_PNSt15iterator_traitsISG_E10value_typeET2_T3_PNSH_ISM_E10value_typeET4_T5_PSR_SS_PNS1_23onesweep_lookback_stateEbbT6_jjT7_P12ihipStream_tbENKUlT_T0_SG_SL_E_clISA_SA_SB_SB_EEDaSZ_S10_SG_SL_EUlSZ_E_NS1_11comp_targetILNS1_3genE5ELNS1_11target_archE942ELNS1_3gpuE9ELNS1_3repE0EEENS1_47radix_sort_onesweep_sort_config_static_selectorELNS0_4arch9wavefront6targetE0EEEvSG_,comdat
.Lfunc_end2662:
	.size	_ZN7rocprim17ROCPRIM_400000_NS6detail17trampoline_kernelINS0_14default_configENS1_35radix_sort_onesweep_config_selectorIjNS0_10empty_typeEEEZZNS1_29radix_sort_onesweep_iterationIS3_Lb1EPKjPjPS5_SB_mNS0_19identity_decomposerENS1_16block_id_wrapperIjLb0EEEEE10hipError_tT1_PNSt15iterator_traitsISG_E10value_typeET2_T3_PNSH_ISM_E10value_typeET4_T5_PSR_SS_PNS1_23onesweep_lookback_stateEbbT6_jjT7_P12ihipStream_tbENKUlT_T0_SG_SL_E_clISA_SA_SB_SB_EEDaSZ_S10_SG_SL_EUlSZ_E_NS1_11comp_targetILNS1_3genE5ELNS1_11target_archE942ELNS1_3gpuE9ELNS1_3repE0EEENS1_47radix_sort_onesweep_sort_config_static_selectorELNS0_4arch9wavefront6targetE0EEEvSG_, .Lfunc_end2662-_ZN7rocprim17ROCPRIM_400000_NS6detail17trampoline_kernelINS0_14default_configENS1_35radix_sort_onesweep_config_selectorIjNS0_10empty_typeEEEZZNS1_29radix_sort_onesweep_iterationIS3_Lb1EPKjPjPS5_SB_mNS0_19identity_decomposerENS1_16block_id_wrapperIjLb0EEEEE10hipError_tT1_PNSt15iterator_traitsISG_E10value_typeET2_T3_PNSH_ISM_E10value_typeET4_T5_PSR_SS_PNS1_23onesweep_lookback_stateEbbT6_jjT7_P12ihipStream_tbENKUlT_T0_SG_SL_E_clISA_SA_SB_SB_EEDaSZ_S10_SG_SL_EUlSZ_E_NS1_11comp_targetILNS1_3genE5ELNS1_11target_archE942ELNS1_3gpuE9ELNS1_3repE0EEENS1_47radix_sort_onesweep_sort_config_static_selectorELNS0_4arch9wavefront6targetE0EEEvSG_
                                        ; -- End function
	.set _ZN7rocprim17ROCPRIM_400000_NS6detail17trampoline_kernelINS0_14default_configENS1_35radix_sort_onesweep_config_selectorIjNS0_10empty_typeEEEZZNS1_29radix_sort_onesweep_iterationIS3_Lb1EPKjPjPS5_SB_mNS0_19identity_decomposerENS1_16block_id_wrapperIjLb0EEEEE10hipError_tT1_PNSt15iterator_traitsISG_E10value_typeET2_T3_PNSH_ISM_E10value_typeET4_T5_PSR_SS_PNS1_23onesweep_lookback_stateEbbT6_jjT7_P12ihipStream_tbENKUlT_T0_SG_SL_E_clISA_SA_SB_SB_EEDaSZ_S10_SG_SL_EUlSZ_E_NS1_11comp_targetILNS1_3genE5ELNS1_11target_archE942ELNS1_3gpuE9ELNS1_3repE0EEENS1_47radix_sort_onesweep_sort_config_static_selectorELNS0_4arch9wavefront6targetE0EEEvSG_.num_vgpr, 0
	.set _ZN7rocprim17ROCPRIM_400000_NS6detail17trampoline_kernelINS0_14default_configENS1_35radix_sort_onesweep_config_selectorIjNS0_10empty_typeEEEZZNS1_29radix_sort_onesweep_iterationIS3_Lb1EPKjPjPS5_SB_mNS0_19identity_decomposerENS1_16block_id_wrapperIjLb0EEEEE10hipError_tT1_PNSt15iterator_traitsISG_E10value_typeET2_T3_PNSH_ISM_E10value_typeET4_T5_PSR_SS_PNS1_23onesweep_lookback_stateEbbT6_jjT7_P12ihipStream_tbENKUlT_T0_SG_SL_E_clISA_SA_SB_SB_EEDaSZ_S10_SG_SL_EUlSZ_E_NS1_11comp_targetILNS1_3genE5ELNS1_11target_archE942ELNS1_3gpuE9ELNS1_3repE0EEENS1_47radix_sort_onesweep_sort_config_static_selectorELNS0_4arch9wavefront6targetE0EEEvSG_.num_agpr, 0
	.set _ZN7rocprim17ROCPRIM_400000_NS6detail17trampoline_kernelINS0_14default_configENS1_35radix_sort_onesweep_config_selectorIjNS0_10empty_typeEEEZZNS1_29radix_sort_onesweep_iterationIS3_Lb1EPKjPjPS5_SB_mNS0_19identity_decomposerENS1_16block_id_wrapperIjLb0EEEEE10hipError_tT1_PNSt15iterator_traitsISG_E10value_typeET2_T3_PNSH_ISM_E10value_typeET4_T5_PSR_SS_PNS1_23onesweep_lookback_stateEbbT6_jjT7_P12ihipStream_tbENKUlT_T0_SG_SL_E_clISA_SA_SB_SB_EEDaSZ_S10_SG_SL_EUlSZ_E_NS1_11comp_targetILNS1_3genE5ELNS1_11target_archE942ELNS1_3gpuE9ELNS1_3repE0EEENS1_47radix_sort_onesweep_sort_config_static_selectorELNS0_4arch9wavefront6targetE0EEEvSG_.numbered_sgpr, 0
	.set _ZN7rocprim17ROCPRIM_400000_NS6detail17trampoline_kernelINS0_14default_configENS1_35radix_sort_onesweep_config_selectorIjNS0_10empty_typeEEEZZNS1_29radix_sort_onesweep_iterationIS3_Lb1EPKjPjPS5_SB_mNS0_19identity_decomposerENS1_16block_id_wrapperIjLb0EEEEE10hipError_tT1_PNSt15iterator_traitsISG_E10value_typeET2_T3_PNSH_ISM_E10value_typeET4_T5_PSR_SS_PNS1_23onesweep_lookback_stateEbbT6_jjT7_P12ihipStream_tbENKUlT_T0_SG_SL_E_clISA_SA_SB_SB_EEDaSZ_S10_SG_SL_EUlSZ_E_NS1_11comp_targetILNS1_3genE5ELNS1_11target_archE942ELNS1_3gpuE9ELNS1_3repE0EEENS1_47radix_sort_onesweep_sort_config_static_selectorELNS0_4arch9wavefront6targetE0EEEvSG_.num_named_barrier, 0
	.set _ZN7rocprim17ROCPRIM_400000_NS6detail17trampoline_kernelINS0_14default_configENS1_35radix_sort_onesweep_config_selectorIjNS0_10empty_typeEEEZZNS1_29radix_sort_onesweep_iterationIS3_Lb1EPKjPjPS5_SB_mNS0_19identity_decomposerENS1_16block_id_wrapperIjLb0EEEEE10hipError_tT1_PNSt15iterator_traitsISG_E10value_typeET2_T3_PNSH_ISM_E10value_typeET4_T5_PSR_SS_PNS1_23onesweep_lookback_stateEbbT6_jjT7_P12ihipStream_tbENKUlT_T0_SG_SL_E_clISA_SA_SB_SB_EEDaSZ_S10_SG_SL_EUlSZ_E_NS1_11comp_targetILNS1_3genE5ELNS1_11target_archE942ELNS1_3gpuE9ELNS1_3repE0EEENS1_47radix_sort_onesweep_sort_config_static_selectorELNS0_4arch9wavefront6targetE0EEEvSG_.private_seg_size, 0
	.set _ZN7rocprim17ROCPRIM_400000_NS6detail17trampoline_kernelINS0_14default_configENS1_35radix_sort_onesweep_config_selectorIjNS0_10empty_typeEEEZZNS1_29radix_sort_onesweep_iterationIS3_Lb1EPKjPjPS5_SB_mNS0_19identity_decomposerENS1_16block_id_wrapperIjLb0EEEEE10hipError_tT1_PNSt15iterator_traitsISG_E10value_typeET2_T3_PNSH_ISM_E10value_typeET4_T5_PSR_SS_PNS1_23onesweep_lookback_stateEbbT6_jjT7_P12ihipStream_tbENKUlT_T0_SG_SL_E_clISA_SA_SB_SB_EEDaSZ_S10_SG_SL_EUlSZ_E_NS1_11comp_targetILNS1_3genE5ELNS1_11target_archE942ELNS1_3gpuE9ELNS1_3repE0EEENS1_47radix_sort_onesweep_sort_config_static_selectorELNS0_4arch9wavefront6targetE0EEEvSG_.uses_vcc, 0
	.set _ZN7rocprim17ROCPRIM_400000_NS6detail17trampoline_kernelINS0_14default_configENS1_35radix_sort_onesweep_config_selectorIjNS0_10empty_typeEEEZZNS1_29radix_sort_onesweep_iterationIS3_Lb1EPKjPjPS5_SB_mNS0_19identity_decomposerENS1_16block_id_wrapperIjLb0EEEEE10hipError_tT1_PNSt15iterator_traitsISG_E10value_typeET2_T3_PNSH_ISM_E10value_typeET4_T5_PSR_SS_PNS1_23onesweep_lookback_stateEbbT6_jjT7_P12ihipStream_tbENKUlT_T0_SG_SL_E_clISA_SA_SB_SB_EEDaSZ_S10_SG_SL_EUlSZ_E_NS1_11comp_targetILNS1_3genE5ELNS1_11target_archE942ELNS1_3gpuE9ELNS1_3repE0EEENS1_47radix_sort_onesweep_sort_config_static_selectorELNS0_4arch9wavefront6targetE0EEEvSG_.uses_flat_scratch, 0
	.set _ZN7rocprim17ROCPRIM_400000_NS6detail17trampoline_kernelINS0_14default_configENS1_35radix_sort_onesweep_config_selectorIjNS0_10empty_typeEEEZZNS1_29radix_sort_onesweep_iterationIS3_Lb1EPKjPjPS5_SB_mNS0_19identity_decomposerENS1_16block_id_wrapperIjLb0EEEEE10hipError_tT1_PNSt15iterator_traitsISG_E10value_typeET2_T3_PNSH_ISM_E10value_typeET4_T5_PSR_SS_PNS1_23onesweep_lookback_stateEbbT6_jjT7_P12ihipStream_tbENKUlT_T0_SG_SL_E_clISA_SA_SB_SB_EEDaSZ_S10_SG_SL_EUlSZ_E_NS1_11comp_targetILNS1_3genE5ELNS1_11target_archE942ELNS1_3gpuE9ELNS1_3repE0EEENS1_47radix_sort_onesweep_sort_config_static_selectorELNS0_4arch9wavefront6targetE0EEEvSG_.has_dyn_sized_stack, 0
	.set _ZN7rocprim17ROCPRIM_400000_NS6detail17trampoline_kernelINS0_14default_configENS1_35radix_sort_onesweep_config_selectorIjNS0_10empty_typeEEEZZNS1_29radix_sort_onesweep_iterationIS3_Lb1EPKjPjPS5_SB_mNS0_19identity_decomposerENS1_16block_id_wrapperIjLb0EEEEE10hipError_tT1_PNSt15iterator_traitsISG_E10value_typeET2_T3_PNSH_ISM_E10value_typeET4_T5_PSR_SS_PNS1_23onesweep_lookback_stateEbbT6_jjT7_P12ihipStream_tbENKUlT_T0_SG_SL_E_clISA_SA_SB_SB_EEDaSZ_S10_SG_SL_EUlSZ_E_NS1_11comp_targetILNS1_3genE5ELNS1_11target_archE942ELNS1_3gpuE9ELNS1_3repE0EEENS1_47radix_sort_onesweep_sort_config_static_selectorELNS0_4arch9wavefront6targetE0EEEvSG_.has_recursion, 0
	.set _ZN7rocprim17ROCPRIM_400000_NS6detail17trampoline_kernelINS0_14default_configENS1_35radix_sort_onesweep_config_selectorIjNS0_10empty_typeEEEZZNS1_29radix_sort_onesweep_iterationIS3_Lb1EPKjPjPS5_SB_mNS0_19identity_decomposerENS1_16block_id_wrapperIjLb0EEEEE10hipError_tT1_PNSt15iterator_traitsISG_E10value_typeET2_T3_PNSH_ISM_E10value_typeET4_T5_PSR_SS_PNS1_23onesweep_lookback_stateEbbT6_jjT7_P12ihipStream_tbENKUlT_T0_SG_SL_E_clISA_SA_SB_SB_EEDaSZ_S10_SG_SL_EUlSZ_E_NS1_11comp_targetILNS1_3genE5ELNS1_11target_archE942ELNS1_3gpuE9ELNS1_3repE0EEENS1_47radix_sort_onesweep_sort_config_static_selectorELNS0_4arch9wavefront6targetE0EEEvSG_.has_indirect_call, 0
	.section	.AMDGPU.csdata,"",@progbits
; Kernel info:
; codeLenInByte = 0
; TotalNumSgprs: 0
; NumVgprs: 0
; ScratchSize: 0
; MemoryBound: 0
; FloatMode: 240
; IeeeMode: 1
; LDSByteSize: 0 bytes/workgroup (compile time only)
; SGPRBlocks: 0
; VGPRBlocks: 0
; NumSGPRsForWavesPerEU: 1
; NumVGPRsForWavesPerEU: 1
; NamedBarCnt: 0
; Occupancy: 16
; WaveLimiterHint : 0
; COMPUTE_PGM_RSRC2:SCRATCH_EN: 0
; COMPUTE_PGM_RSRC2:USER_SGPR: 2
; COMPUTE_PGM_RSRC2:TRAP_HANDLER: 0
; COMPUTE_PGM_RSRC2:TGID_X_EN: 1
; COMPUTE_PGM_RSRC2:TGID_Y_EN: 0
; COMPUTE_PGM_RSRC2:TGID_Z_EN: 0
; COMPUTE_PGM_RSRC2:TIDIG_COMP_CNT: 0
	.section	.text._ZN7rocprim17ROCPRIM_400000_NS6detail17trampoline_kernelINS0_14default_configENS1_35radix_sort_onesweep_config_selectorIjNS0_10empty_typeEEEZZNS1_29radix_sort_onesweep_iterationIS3_Lb1EPKjPjPS5_SB_mNS0_19identity_decomposerENS1_16block_id_wrapperIjLb0EEEEE10hipError_tT1_PNSt15iterator_traitsISG_E10value_typeET2_T3_PNSH_ISM_E10value_typeET4_T5_PSR_SS_PNS1_23onesweep_lookback_stateEbbT6_jjT7_P12ihipStream_tbENKUlT_T0_SG_SL_E_clISA_SA_SB_SB_EEDaSZ_S10_SG_SL_EUlSZ_E_NS1_11comp_targetILNS1_3genE2ELNS1_11target_archE906ELNS1_3gpuE6ELNS1_3repE0EEENS1_47radix_sort_onesweep_sort_config_static_selectorELNS0_4arch9wavefront6targetE0EEEvSG_,"axG",@progbits,_ZN7rocprim17ROCPRIM_400000_NS6detail17trampoline_kernelINS0_14default_configENS1_35radix_sort_onesweep_config_selectorIjNS0_10empty_typeEEEZZNS1_29radix_sort_onesweep_iterationIS3_Lb1EPKjPjPS5_SB_mNS0_19identity_decomposerENS1_16block_id_wrapperIjLb0EEEEE10hipError_tT1_PNSt15iterator_traitsISG_E10value_typeET2_T3_PNSH_ISM_E10value_typeET4_T5_PSR_SS_PNS1_23onesweep_lookback_stateEbbT6_jjT7_P12ihipStream_tbENKUlT_T0_SG_SL_E_clISA_SA_SB_SB_EEDaSZ_S10_SG_SL_EUlSZ_E_NS1_11comp_targetILNS1_3genE2ELNS1_11target_archE906ELNS1_3gpuE6ELNS1_3repE0EEENS1_47radix_sort_onesweep_sort_config_static_selectorELNS0_4arch9wavefront6targetE0EEEvSG_,comdat
	.protected	_ZN7rocprim17ROCPRIM_400000_NS6detail17trampoline_kernelINS0_14default_configENS1_35radix_sort_onesweep_config_selectorIjNS0_10empty_typeEEEZZNS1_29radix_sort_onesweep_iterationIS3_Lb1EPKjPjPS5_SB_mNS0_19identity_decomposerENS1_16block_id_wrapperIjLb0EEEEE10hipError_tT1_PNSt15iterator_traitsISG_E10value_typeET2_T3_PNSH_ISM_E10value_typeET4_T5_PSR_SS_PNS1_23onesweep_lookback_stateEbbT6_jjT7_P12ihipStream_tbENKUlT_T0_SG_SL_E_clISA_SA_SB_SB_EEDaSZ_S10_SG_SL_EUlSZ_E_NS1_11comp_targetILNS1_3genE2ELNS1_11target_archE906ELNS1_3gpuE6ELNS1_3repE0EEENS1_47radix_sort_onesweep_sort_config_static_selectorELNS0_4arch9wavefront6targetE0EEEvSG_ ; -- Begin function _ZN7rocprim17ROCPRIM_400000_NS6detail17trampoline_kernelINS0_14default_configENS1_35radix_sort_onesweep_config_selectorIjNS0_10empty_typeEEEZZNS1_29radix_sort_onesweep_iterationIS3_Lb1EPKjPjPS5_SB_mNS0_19identity_decomposerENS1_16block_id_wrapperIjLb0EEEEE10hipError_tT1_PNSt15iterator_traitsISG_E10value_typeET2_T3_PNSH_ISM_E10value_typeET4_T5_PSR_SS_PNS1_23onesweep_lookback_stateEbbT6_jjT7_P12ihipStream_tbENKUlT_T0_SG_SL_E_clISA_SA_SB_SB_EEDaSZ_S10_SG_SL_EUlSZ_E_NS1_11comp_targetILNS1_3genE2ELNS1_11target_archE906ELNS1_3gpuE6ELNS1_3repE0EEENS1_47radix_sort_onesweep_sort_config_static_selectorELNS0_4arch9wavefront6targetE0EEEvSG_
	.globl	_ZN7rocprim17ROCPRIM_400000_NS6detail17trampoline_kernelINS0_14default_configENS1_35radix_sort_onesweep_config_selectorIjNS0_10empty_typeEEEZZNS1_29radix_sort_onesweep_iterationIS3_Lb1EPKjPjPS5_SB_mNS0_19identity_decomposerENS1_16block_id_wrapperIjLb0EEEEE10hipError_tT1_PNSt15iterator_traitsISG_E10value_typeET2_T3_PNSH_ISM_E10value_typeET4_T5_PSR_SS_PNS1_23onesweep_lookback_stateEbbT6_jjT7_P12ihipStream_tbENKUlT_T0_SG_SL_E_clISA_SA_SB_SB_EEDaSZ_S10_SG_SL_EUlSZ_E_NS1_11comp_targetILNS1_3genE2ELNS1_11target_archE906ELNS1_3gpuE6ELNS1_3repE0EEENS1_47radix_sort_onesweep_sort_config_static_selectorELNS0_4arch9wavefront6targetE0EEEvSG_
	.p2align	8
	.type	_ZN7rocprim17ROCPRIM_400000_NS6detail17trampoline_kernelINS0_14default_configENS1_35radix_sort_onesweep_config_selectorIjNS0_10empty_typeEEEZZNS1_29radix_sort_onesweep_iterationIS3_Lb1EPKjPjPS5_SB_mNS0_19identity_decomposerENS1_16block_id_wrapperIjLb0EEEEE10hipError_tT1_PNSt15iterator_traitsISG_E10value_typeET2_T3_PNSH_ISM_E10value_typeET4_T5_PSR_SS_PNS1_23onesweep_lookback_stateEbbT6_jjT7_P12ihipStream_tbENKUlT_T0_SG_SL_E_clISA_SA_SB_SB_EEDaSZ_S10_SG_SL_EUlSZ_E_NS1_11comp_targetILNS1_3genE2ELNS1_11target_archE906ELNS1_3gpuE6ELNS1_3repE0EEENS1_47radix_sort_onesweep_sort_config_static_selectorELNS0_4arch9wavefront6targetE0EEEvSG_,@function
_ZN7rocprim17ROCPRIM_400000_NS6detail17trampoline_kernelINS0_14default_configENS1_35radix_sort_onesweep_config_selectorIjNS0_10empty_typeEEEZZNS1_29radix_sort_onesweep_iterationIS3_Lb1EPKjPjPS5_SB_mNS0_19identity_decomposerENS1_16block_id_wrapperIjLb0EEEEE10hipError_tT1_PNSt15iterator_traitsISG_E10value_typeET2_T3_PNSH_ISM_E10value_typeET4_T5_PSR_SS_PNS1_23onesweep_lookback_stateEbbT6_jjT7_P12ihipStream_tbENKUlT_T0_SG_SL_E_clISA_SA_SB_SB_EEDaSZ_S10_SG_SL_EUlSZ_E_NS1_11comp_targetILNS1_3genE2ELNS1_11target_archE906ELNS1_3gpuE6ELNS1_3repE0EEENS1_47radix_sort_onesweep_sort_config_static_selectorELNS0_4arch9wavefront6targetE0EEEvSG_: ; @_ZN7rocprim17ROCPRIM_400000_NS6detail17trampoline_kernelINS0_14default_configENS1_35radix_sort_onesweep_config_selectorIjNS0_10empty_typeEEEZZNS1_29radix_sort_onesweep_iterationIS3_Lb1EPKjPjPS5_SB_mNS0_19identity_decomposerENS1_16block_id_wrapperIjLb0EEEEE10hipError_tT1_PNSt15iterator_traitsISG_E10value_typeET2_T3_PNSH_ISM_E10value_typeET4_T5_PSR_SS_PNS1_23onesweep_lookback_stateEbbT6_jjT7_P12ihipStream_tbENKUlT_T0_SG_SL_E_clISA_SA_SB_SB_EEDaSZ_S10_SG_SL_EUlSZ_E_NS1_11comp_targetILNS1_3genE2ELNS1_11target_archE906ELNS1_3gpuE6ELNS1_3repE0EEENS1_47radix_sort_onesweep_sort_config_static_selectorELNS0_4arch9wavefront6targetE0EEEvSG_
; %bb.0:
	.section	.rodata,"a",@progbits
	.p2align	6, 0x0
	.amdhsa_kernel _ZN7rocprim17ROCPRIM_400000_NS6detail17trampoline_kernelINS0_14default_configENS1_35radix_sort_onesweep_config_selectorIjNS0_10empty_typeEEEZZNS1_29radix_sort_onesweep_iterationIS3_Lb1EPKjPjPS5_SB_mNS0_19identity_decomposerENS1_16block_id_wrapperIjLb0EEEEE10hipError_tT1_PNSt15iterator_traitsISG_E10value_typeET2_T3_PNSH_ISM_E10value_typeET4_T5_PSR_SS_PNS1_23onesweep_lookback_stateEbbT6_jjT7_P12ihipStream_tbENKUlT_T0_SG_SL_E_clISA_SA_SB_SB_EEDaSZ_S10_SG_SL_EUlSZ_E_NS1_11comp_targetILNS1_3genE2ELNS1_11target_archE906ELNS1_3gpuE6ELNS1_3repE0EEENS1_47radix_sort_onesweep_sort_config_static_selectorELNS0_4arch9wavefront6targetE0EEEvSG_
		.amdhsa_group_segment_fixed_size 0
		.amdhsa_private_segment_fixed_size 0
		.amdhsa_kernarg_size 88
		.amdhsa_user_sgpr_count 2
		.amdhsa_user_sgpr_dispatch_ptr 0
		.amdhsa_user_sgpr_queue_ptr 0
		.amdhsa_user_sgpr_kernarg_segment_ptr 1
		.amdhsa_user_sgpr_dispatch_id 0
		.amdhsa_user_sgpr_kernarg_preload_length 0
		.amdhsa_user_sgpr_kernarg_preload_offset 0
		.amdhsa_user_sgpr_private_segment_size 0
		.amdhsa_wavefront_size32 1
		.amdhsa_uses_dynamic_stack 0
		.amdhsa_enable_private_segment 0
		.amdhsa_system_sgpr_workgroup_id_x 1
		.amdhsa_system_sgpr_workgroup_id_y 0
		.amdhsa_system_sgpr_workgroup_id_z 0
		.amdhsa_system_sgpr_workgroup_info 0
		.amdhsa_system_vgpr_workitem_id 0
		.amdhsa_next_free_vgpr 1
		.amdhsa_next_free_sgpr 1
		.amdhsa_named_barrier_count 0
		.amdhsa_reserve_vcc 0
		.amdhsa_float_round_mode_32 0
		.amdhsa_float_round_mode_16_64 0
		.amdhsa_float_denorm_mode_32 3
		.amdhsa_float_denorm_mode_16_64 3
		.amdhsa_fp16_overflow 0
		.amdhsa_memory_ordered 1
		.amdhsa_forward_progress 1
		.amdhsa_inst_pref_size 0
		.amdhsa_round_robin_scheduling 0
		.amdhsa_exception_fp_ieee_invalid_op 0
		.amdhsa_exception_fp_denorm_src 0
		.amdhsa_exception_fp_ieee_div_zero 0
		.amdhsa_exception_fp_ieee_overflow 0
		.amdhsa_exception_fp_ieee_underflow 0
		.amdhsa_exception_fp_ieee_inexact 0
		.amdhsa_exception_int_div_zero 0
	.end_amdhsa_kernel
	.section	.text._ZN7rocprim17ROCPRIM_400000_NS6detail17trampoline_kernelINS0_14default_configENS1_35radix_sort_onesweep_config_selectorIjNS0_10empty_typeEEEZZNS1_29radix_sort_onesweep_iterationIS3_Lb1EPKjPjPS5_SB_mNS0_19identity_decomposerENS1_16block_id_wrapperIjLb0EEEEE10hipError_tT1_PNSt15iterator_traitsISG_E10value_typeET2_T3_PNSH_ISM_E10value_typeET4_T5_PSR_SS_PNS1_23onesweep_lookback_stateEbbT6_jjT7_P12ihipStream_tbENKUlT_T0_SG_SL_E_clISA_SA_SB_SB_EEDaSZ_S10_SG_SL_EUlSZ_E_NS1_11comp_targetILNS1_3genE2ELNS1_11target_archE906ELNS1_3gpuE6ELNS1_3repE0EEENS1_47radix_sort_onesweep_sort_config_static_selectorELNS0_4arch9wavefront6targetE0EEEvSG_,"axG",@progbits,_ZN7rocprim17ROCPRIM_400000_NS6detail17trampoline_kernelINS0_14default_configENS1_35radix_sort_onesweep_config_selectorIjNS0_10empty_typeEEEZZNS1_29radix_sort_onesweep_iterationIS3_Lb1EPKjPjPS5_SB_mNS0_19identity_decomposerENS1_16block_id_wrapperIjLb0EEEEE10hipError_tT1_PNSt15iterator_traitsISG_E10value_typeET2_T3_PNSH_ISM_E10value_typeET4_T5_PSR_SS_PNS1_23onesweep_lookback_stateEbbT6_jjT7_P12ihipStream_tbENKUlT_T0_SG_SL_E_clISA_SA_SB_SB_EEDaSZ_S10_SG_SL_EUlSZ_E_NS1_11comp_targetILNS1_3genE2ELNS1_11target_archE906ELNS1_3gpuE6ELNS1_3repE0EEENS1_47radix_sort_onesweep_sort_config_static_selectorELNS0_4arch9wavefront6targetE0EEEvSG_,comdat
.Lfunc_end2663:
	.size	_ZN7rocprim17ROCPRIM_400000_NS6detail17trampoline_kernelINS0_14default_configENS1_35radix_sort_onesweep_config_selectorIjNS0_10empty_typeEEEZZNS1_29radix_sort_onesweep_iterationIS3_Lb1EPKjPjPS5_SB_mNS0_19identity_decomposerENS1_16block_id_wrapperIjLb0EEEEE10hipError_tT1_PNSt15iterator_traitsISG_E10value_typeET2_T3_PNSH_ISM_E10value_typeET4_T5_PSR_SS_PNS1_23onesweep_lookback_stateEbbT6_jjT7_P12ihipStream_tbENKUlT_T0_SG_SL_E_clISA_SA_SB_SB_EEDaSZ_S10_SG_SL_EUlSZ_E_NS1_11comp_targetILNS1_3genE2ELNS1_11target_archE906ELNS1_3gpuE6ELNS1_3repE0EEENS1_47radix_sort_onesweep_sort_config_static_selectorELNS0_4arch9wavefront6targetE0EEEvSG_, .Lfunc_end2663-_ZN7rocprim17ROCPRIM_400000_NS6detail17trampoline_kernelINS0_14default_configENS1_35radix_sort_onesweep_config_selectorIjNS0_10empty_typeEEEZZNS1_29radix_sort_onesweep_iterationIS3_Lb1EPKjPjPS5_SB_mNS0_19identity_decomposerENS1_16block_id_wrapperIjLb0EEEEE10hipError_tT1_PNSt15iterator_traitsISG_E10value_typeET2_T3_PNSH_ISM_E10value_typeET4_T5_PSR_SS_PNS1_23onesweep_lookback_stateEbbT6_jjT7_P12ihipStream_tbENKUlT_T0_SG_SL_E_clISA_SA_SB_SB_EEDaSZ_S10_SG_SL_EUlSZ_E_NS1_11comp_targetILNS1_3genE2ELNS1_11target_archE906ELNS1_3gpuE6ELNS1_3repE0EEENS1_47radix_sort_onesweep_sort_config_static_selectorELNS0_4arch9wavefront6targetE0EEEvSG_
                                        ; -- End function
	.set _ZN7rocprim17ROCPRIM_400000_NS6detail17trampoline_kernelINS0_14default_configENS1_35radix_sort_onesweep_config_selectorIjNS0_10empty_typeEEEZZNS1_29radix_sort_onesweep_iterationIS3_Lb1EPKjPjPS5_SB_mNS0_19identity_decomposerENS1_16block_id_wrapperIjLb0EEEEE10hipError_tT1_PNSt15iterator_traitsISG_E10value_typeET2_T3_PNSH_ISM_E10value_typeET4_T5_PSR_SS_PNS1_23onesweep_lookback_stateEbbT6_jjT7_P12ihipStream_tbENKUlT_T0_SG_SL_E_clISA_SA_SB_SB_EEDaSZ_S10_SG_SL_EUlSZ_E_NS1_11comp_targetILNS1_3genE2ELNS1_11target_archE906ELNS1_3gpuE6ELNS1_3repE0EEENS1_47radix_sort_onesweep_sort_config_static_selectorELNS0_4arch9wavefront6targetE0EEEvSG_.num_vgpr, 0
	.set _ZN7rocprim17ROCPRIM_400000_NS6detail17trampoline_kernelINS0_14default_configENS1_35radix_sort_onesweep_config_selectorIjNS0_10empty_typeEEEZZNS1_29radix_sort_onesweep_iterationIS3_Lb1EPKjPjPS5_SB_mNS0_19identity_decomposerENS1_16block_id_wrapperIjLb0EEEEE10hipError_tT1_PNSt15iterator_traitsISG_E10value_typeET2_T3_PNSH_ISM_E10value_typeET4_T5_PSR_SS_PNS1_23onesweep_lookback_stateEbbT6_jjT7_P12ihipStream_tbENKUlT_T0_SG_SL_E_clISA_SA_SB_SB_EEDaSZ_S10_SG_SL_EUlSZ_E_NS1_11comp_targetILNS1_3genE2ELNS1_11target_archE906ELNS1_3gpuE6ELNS1_3repE0EEENS1_47radix_sort_onesweep_sort_config_static_selectorELNS0_4arch9wavefront6targetE0EEEvSG_.num_agpr, 0
	.set _ZN7rocprim17ROCPRIM_400000_NS6detail17trampoline_kernelINS0_14default_configENS1_35radix_sort_onesweep_config_selectorIjNS0_10empty_typeEEEZZNS1_29radix_sort_onesweep_iterationIS3_Lb1EPKjPjPS5_SB_mNS0_19identity_decomposerENS1_16block_id_wrapperIjLb0EEEEE10hipError_tT1_PNSt15iterator_traitsISG_E10value_typeET2_T3_PNSH_ISM_E10value_typeET4_T5_PSR_SS_PNS1_23onesweep_lookback_stateEbbT6_jjT7_P12ihipStream_tbENKUlT_T0_SG_SL_E_clISA_SA_SB_SB_EEDaSZ_S10_SG_SL_EUlSZ_E_NS1_11comp_targetILNS1_3genE2ELNS1_11target_archE906ELNS1_3gpuE6ELNS1_3repE0EEENS1_47radix_sort_onesweep_sort_config_static_selectorELNS0_4arch9wavefront6targetE0EEEvSG_.numbered_sgpr, 0
	.set _ZN7rocprim17ROCPRIM_400000_NS6detail17trampoline_kernelINS0_14default_configENS1_35radix_sort_onesweep_config_selectorIjNS0_10empty_typeEEEZZNS1_29radix_sort_onesweep_iterationIS3_Lb1EPKjPjPS5_SB_mNS0_19identity_decomposerENS1_16block_id_wrapperIjLb0EEEEE10hipError_tT1_PNSt15iterator_traitsISG_E10value_typeET2_T3_PNSH_ISM_E10value_typeET4_T5_PSR_SS_PNS1_23onesweep_lookback_stateEbbT6_jjT7_P12ihipStream_tbENKUlT_T0_SG_SL_E_clISA_SA_SB_SB_EEDaSZ_S10_SG_SL_EUlSZ_E_NS1_11comp_targetILNS1_3genE2ELNS1_11target_archE906ELNS1_3gpuE6ELNS1_3repE0EEENS1_47radix_sort_onesweep_sort_config_static_selectorELNS0_4arch9wavefront6targetE0EEEvSG_.num_named_barrier, 0
	.set _ZN7rocprim17ROCPRIM_400000_NS6detail17trampoline_kernelINS0_14default_configENS1_35radix_sort_onesweep_config_selectorIjNS0_10empty_typeEEEZZNS1_29radix_sort_onesweep_iterationIS3_Lb1EPKjPjPS5_SB_mNS0_19identity_decomposerENS1_16block_id_wrapperIjLb0EEEEE10hipError_tT1_PNSt15iterator_traitsISG_E10value_typeET2_T3_PNSH_ISM_E10value_typeET4_T5_PSR_SS_PNS1_23onesweep_lookback_stateEbbT6_jjT7_P12ihipStream_tbENKUlT_T0_SG_SL_E_clISA_SA_SB_SB_EEDaSZ_S10_SG_SL_EUlSZ_E_NS1_11comp_targetILNS1_3genE2ELNS1_11target_archE906ELNS1_3gpuE6ELNS1_3repE0EEENS1_47radix_sort_onesweep_sort_config_static_selectorELNS0_4arch9wavefront6targetE0EEEvSG_.private_seg_size, 0
	.set _ZN7rocprim17ROCPRIM_400000_NS6detail17trampoline_kernelINS0_14default_configENS1_35radix_sort_onesweep_config_selectorIjNS0_10empty_typeEEEZZNS1_29radix_sort_onesweep_iterationIS3_Lb1EPKjPjPS5_SB_mNS0_19identity_decomposerENS1_16block_id_wrapperIjLb0EEEEE10hipError_tT1_PNSt15iterator_traitsISG_E10value_typeET2_T3_PNSH_ISM_E10value_typeET4_T5_PSR_SS_PNS1_23onesweep_lookback_stateEbbT6_jjT7_P12ihipStream_tbENKUlT_T0_SG_SL_E_clISA_SA_SB_SB_EEDaSZ_S10_SG_SL_EUlSZ_E_NS1_11comp_targetILNS1_3genE2ELNS1_11target_archE906ELNS1_3gpuE6ELNS1_3repE0EEENS1_47radix_sort_onesweep_sort_config_static_selectorELNS0_4arch9wavefront6targetE0EEEvSG_.uses_vcc, 0
	.set _ZN7rocprim17ROCPRIM_400000_NS6detail17trampoline_kernelINS0_14default_configENS1_35radix_sort_onesweep_config_selectorIjNS0_10empty_typeEEEZZNS1_29radix_sort_onesweep_iterationIS3_Lb1EPKjPjPS5_SB_mNS0_19identity_decomposerENS1_16block_id_wrapperIjLb0EEEEE10hipError_tT1_PNSt15iterator_traitsISG_E10value_typeET2_T3_PNSH_ISM_E10value_typeET4_T5_PSR_SS_PNS1_23onesweep_lookback_stateEbbT6_jjT7_P12ihipStream_tbENKUlT_T0_SG_SL_E_clISA_SA_SB_SB_EEDaSZ_S10_SG_SL_EUlSZ_E_NS1_11comp_targetILNS1_3genE2ELNS1_11target_archE906ELNS1_3gpuE6ELNS1_3repE0EEENS1_47radix_sort_onesweep_sort_config_static_selectorELNS0_4arch9wavefront6targetE0EEEvSG_.uses_flat_scratch, 0
	.set _ZN7rocprim17ROCPRIM_400000_NS6detail17trampoline_kernelINS0_14default_configENS1_35radix_sort_onesweep_config_selectorIjNS0_10empty_typeEEEZZNS1_29radix_sort_onesweep_iterationIS3_Lb1EPKjPjPS5_SB_mNS0_19identity_decomposerENS1_16block_id_wrapperIjLb0EEEEE10hipError_tT1_PNSt15iterator_traitsISG_E10value_typeET2_T3_PNSH_ISM_E10value_typeET4_T5_PSR_SS_PNS1_23onesweep_lookback_stateEbbT6_jjT7_P12ihipStream_tbENKUlT_T0_SG_SL_E_clISA_SA_SB_SB_EEDaSZ_S10_SG_SL_EUlSZ_E_NS1_11comp_targetILNS1_3genE2ELNS1_11target_archE906ELNS1_3gpuE6ELNS1_3repE0EEENS1_47radix_sort_onesweep_sort_config_static_selectorELNS0_4arch9wavefront6targetE0EEEvSG_.has_dyn_sized_stack, 0
	.set _ZN7rocprim17ROCPRIM_400000_NS6detail17trampoline_kernelINS0_14default_configENS1_35radix_sort_onesweep_config_selectorIjNS0_10empty_typeEEEZZNS1_29radix_sort_onesweep_iterationIS3_Lb1EPKjPjPS5_SB_mNS0_19identity_decomposerENS1_16block_id_wrapperIjLb0EEEEE10hipError_tT1_PNSt15iterator_traitsISG_E10value_typeET2_T3_PNSH_ISM_E10value_typeET4_T5_PSR_SS_PNS1_23onesweep_lookback_stateEbbT6_jjT7_P12ihipStream_tbENKUlT_T0_SG_SL_E_clISA_SA_SB_SB_EEDaSZ_S10_SG_SL_EUlSZ_E_NS1_11comp_targetILNS1_3genE2ELNS1_11target_archE906ELNS1_3gpuE6ELNS1_3repE0EEENS1_47radix_sort_onesweep_sort_config_static_selectorELNS0_4arch9wavefront6targetE0EEEvSG_.has_recursion, 0
	.set _ZN7rocprim17ROCPRIM_400000_NS6detail17trampoline_kernelINS0_14default_configENS1_35radix_sort_onesweep_config_selectorIjNS0_10empty_typeEEEZZNS1_29radix_sort_onesweep_iterationIS3_Lb1EPKjPjPS5_SB_mNS0_19identity_decomposerENS1_16block_id_wrapperIjLb0EEEEE10hipError_tT1_PNSt15iterator_traitsISG_E10value_typeET2_T3_PNSH_ISM_E10value_typeET4_T5_PSR_SS_PNS1_23onesweep_lookback_stateEbbT6_jjT7_P12ihipStream_tbENKUlT_T0_SG_SL_E_clISA_SA_SB_SB_EEDaSZ_S10_SG_SL_EUlSZ_E_NS1_11comp_targetILNS1_3genE2ELNS1_11target_archE906ELNS1_3gpuE6ELNS1_3repE0EEENS1_47radix_sort_onesweep_sort_config_static_selectorELNS0_4arch9wavefront6targetE0EEEvSG_.has_indirect_call, 0
	.section	.AMDGPU.csdata,"",@progbits
; Kernel info:
; codeLenInByte = 0
; TotalNumSgprs: 0
; NumVgprs: 0
; ScratchSize: 0
; MemoryBound: 0
; FloatMode: 240
; IeeeMode: 1
; LDSByteSize: 0 bytes/workgroup (compile time only)
; SGPRBlocks: 0
; VGPRBlocks: 0
; NumSGPRsForWavesPerEU: 1
; NumVGPRsForWavesPerEU: 1
; NamedBarCnt: 0
; Occupancy: 16
; WaveLimiterHint : 0
; COMPUTE_PGM_RSRC2:SCRATCH_EN: 0
; COMPUTE_PGM_RSRC2:USER_SGPR: 2
; COMPUTE_PGM_RSRC2:TRAP_HANDLER: 0
; COMPUTE_PGM_RSRC2:TGID_X_EN: 1
; COMPUTE_PGM_RSRC2:TGID_Y_EN: 0
; COMPUTE_PGM_RSRC2:TGID_Z_EN: 0
; COMPUTE_PGM_RSRC2:TIDIG_COMP_CNT: 0
	.section	.text._ZN7rocprim17ROCPRIM_400000_NS6detail17trampoline_kernelINS0_14default_configENS1_35radix_sort_onesweep_config_selectorIjNS0_10empty_typeEEEZZNS1_29radix_sort_onesweep_iterationIS3_Lb1EPKjPjPS5_SB_mNS0_19identity_decomposerENS1_16block_id_wrapperIjLb0EEEEE10hipError_tT1_PNSt15iterator_traitsISG_E10value_typeET2_T3_PNSH_ISM_E10value_typeET4_T5_PSR_SS_PNS1_23onesweep_lookback_stateEbbT6_jjT7_P12ihipStream_tbENKUlT_T0_SG_SL_E_clISA_SA_SB_SB_EEDaSZ_S10_SG_SL_EUlSZ_E_NS1_11comp_targetILNS1_3genE4ELNS1_11target_archE910ELNS1_3gpuE8ELNS1_3repE0EEENS1_47radix_sort_onesweep_sort_config_static_selectorELNS0_4arch9wavefront6targetE0EEEvSG_,"axG",@progbits,_ZN7rocprim17ROCPRIM_400000_NS6detail17trampoline_kernelINS0_14default_configENS1_35radix_sort_onesweep_config_selectorIjNS0_10empty_typeEEEZZNS1_29radix_sort_onesweep_iterationIS3_Lb1EPKjPjPS5_SB_mNS0_19identity_decomposerENS1_16block_id_wrapperIjLb0EEEEE10hipError_tT1_PNSt15iterator_traitsISG_E10value_typeET2_T3_PNSH_ISM_E10value_typeET4_T5_PSR_SS_PNS1_23onesweep_lookback_stateEbbT6_jjT7_P12ihipStream_tbENKUlT_T0_SG_SL_E_clISA_SA_SB_SB_EEDaSZ_S10_SG_SL_EUlSZ_E_NS1_11comp_targetILNS1_3genE4ELNS1_11target_archE910ELNS1_3gpuE8ELNS1_3repE0EEENS1_47radix_sort_onesweep_sort_config_static_selectorELNS0_4arch9wavefront6targetE0EEEvSG_,comdat
	.protected	_ZN7rocprim17ROCPRIM_400000_NS6detail17trampoline_kernelINS0_14default_configENS1_35radix_sort_onesweep_config_selectorIjNS0_10empty_typeEEEZZNS1_29radix_sort_onesweep_iterationIS3_Lb1EPKjPjPS5_SB_mNS0_19identity_decomposerENS1_16block_id_wrapperIjLb0EEEEE10hipError_tT1_PNSt15iterator_traitsISG_E10value_typeET2_T3_PNSH_ISM_E10value_typeET4_T5_PSR_SS_PNS1_23onesweep_lookback_stateEbbT6_jjT7_P12ihipStream_tbENKUlT_T0_SG_SL_E_clISA_SA_SB_SB_EEDaSZ_S10_SG_SL_EUlSZ_E_NS1_11comp_targetILNS1_3genE4ELNS1_11target_archE910ELNS1_3gpuE8ELNS1_3repE0EEENS1_47radix_sort_onesweep_sort_config_static_selectorELNS0_4arch9wavefront6targetE0EEEvSG_ ; -- Begin function _ZN7rocprim17ROCPRIM_400000_NS6detail17trampoline_kernelINS0_14default_configENS1_35radix_sort_onesweep_config_selectorIjNS0_10empty_typeEEEZZNS1_29radix_sort_onesweep_iterationIS3_Lb1EPKjPjPS5_SB_mNS0_19identity_decomposerENS1_16block_id_wrapperIjLb0EEEEE10hipError_tT1_PNSt15iterator_traitsISG_E10value_typeET2_T3_PNSH_ISM_E10value_typeET4_T5_PSR_SS_PNS1_23onesweep_lookback_stateEbbT6_jjT7_P12ihipStream_tbENKUlT_T0_SG_SL_E_clISA_SA_SB_SB_EEDaSZ_S10_SG_SL_EUlSZ_E_NS1_11comp_targetILNS1_3genE4ELNS1_11target_archE910ELNS1_3gpuE8ELNS1_3repE0EEENS1_47radix_sort_onesweep_sort_config_static_selectorELNS0_4arch9wavefront6targetE0EEEvSG_
	.globl	_ZN7rocprim17ROCPRIM_400000_NS6detail17trampoline_kernelINS0_14default_configENS1_35radix_sort_onesweep_config_selectorIjNS0_10empty_typeEEEZZNS1_29radix_sort_onesweep_iterationIS3_Lb1EPKjPjPS5_SB_mNS0_19identity_decomposerENS1_16block_id_wrapperIjLb0EEEEE10hipError_tT1_PNSt15iterator_traitsISG_E10value_typeET2_T3_PNSH_ISM_E10value_typeET4_T5_PSR_SS_PNS1_23onesweep_lookback_stateEbbT6_jjT7_P12ihipStream_tbENKUlT_T0_SG_SL_E_clISA_SA_SB_SB_EEDaSZ_S10_SG_SL_EUlSZ_E_NS1_11comp_targetILNS1_3genE4ELNS1_11target_archE910ELNS1_3gpuE8ELNS1_3repE0EEENS1_47radix_sort_onesweep_sort_config_static_selectorELNS0_4arch9wavefront6targetE0EEEvSG_
	.p2align	8
	.type	_ZN7rocprim17ROCPRIM_400000_NS6detail17trampoline_kernelINS0_14default_configENS1_35radix_sort_onesweep_config_selectorIjNS0_10empty_typeEEEZZNS1_29radix_sort_onesweep_iterationIS3_Lb1EPKjPjPS5_SB_mNS0_19identity_decomposerENS1_16block_id_wrapperIjLb0EEEEE10hipError_tT1_PNSt15iterator_traitsISG_E10value_typeET2_T3_PNSH_ISM_E10value_typeET4_T5_PSR_SS_PNS1_23onesweep_lookback_stateEbbT6_jjT7_P12ihipStream_tbENKUlT_T0_SG_SL_E_clISA_SA_SB_SB_EEDaSZ_S10_SG_SL_EUlSZ_E_NS1_11comp_targetILNS1_3genE4ELNS1_11target_archE910ELNS1_3gpuE8ELNS1_3repE0EEENS1_47radix_sort_onesweep_sort_config_static_selectorELNS0_4arch9wavefront6targetE0EEEvSG_,@function
_ZN7rocprim17ROCPRIM_400000_NS6detail17trampoline_kernelINS0_14default_configENS1_35radix_sort_onesweep_config_selectorIjNS0_10empty_typeEEEZZNS1_29radix_sort_onesweep_iterationIS3_Lb1EPKjPjPS5_SB_mNS0_19identity_decomposerENS1_16block_id_wrapperIjLb0EEEEE10hipError_tT1_PNSt15iterator_traitsISG_E10value_typeET2_T3_PNSH_ISM_E10value_typeET4_T5_PSR_SS_PNS1_23onesweep_lookback_stateEbbT6_jjT7_P12ihipStream_tbENKUlT_T0_SG_SL_E_clISA_SA_SB_SB_EEDaSZ_S10_SG_SL_EUlSZ_E_NS1_11comp_targetILNS1_3genE4ELNS1_11target_archE910ELNS1_3gpuE8ELNS1_3repE0EEENS1_47radix_sort_onesweep_sort_config_static_selectorELNS0_4arch9wavefront6targetE0EEEvSG_: ; @_ZN7rocprim17ROCPRIM_400000_NS6detail17trampoline_kernelINS0_14default_configENS1_35radix_sort_onesweep_config_selectorIjNS0_10empty_typeEEEZZNS1_29radix_sort_onesweep_iterationIS3_Lb1EPKjPjPS5_SB_mNS0_19identity_decomposerENS1_16block_id_wrapperIjLb0EEEEE10hipError_tT1_PNSt15iterator_traitsISG_E10value_typeET2_T3_PNSH_ISM_E10value_typeET4_T5_PSR_SS_PNS1_23onesweep_lookback_stateEbbT6_jjT7_P12ihipStream_tbENKUlT_T0_SG_SL_E_clISA_SA_SB_SB_EEDaSZ_S10_SG_SL_EUlSZ_E_NS1_11comp_targetILNS1_3genE4ELNS1_11target_archE910ELNS1_3gpuE8ELNS1_3repE0EEENS1_47radix_sort_onesweep_sort_config_static_selectorELNS0_4arch9wavefront6targetE0EEEvSG_
; %bb.0:
	.section	.rodata,"a",@progbits
	.p2align	6, 0x0
	.amdhsa_kernel _ZN7rocprim17ROCPRIM_400000_NS6detail17trampoline_kernelINS0_14default_configENS1_35radix_sort_onesweep_config_selectorIjNS0_10empty_typeEEEZZNS1_29radix_sort_onesweep_iterationIS3_Lb1EPKjPjPS5_SB_mNS0_19identity_decomposerENS1_16block_id_wrapperIjLb0EEEEE10hipError_tT1_PNSt15iterator_traitsISG_E10value_typeET2_T3_PNSH_ISM_E10value_typeET4_T5_PSR_SS_PNS1_23onesweep_lookback_stateEbbT6_jjT7_P12ihipStream_tbENKUlT_T0_SG_SL_E_clISA_SA_SB_SB_EEDaSZ_S10_SG_SL_EUlSZ_E_NS1_11comp_targetILNS1_3genE4ELNS1_11target_archE910ELNS1_3gpuE8ELNS1_3repE0EEENS1_47radix_sort_onesweep_sort_config_static_selectorELNS0_4arch9wavefront6targetE0EEEvSG_
		.amdhsa_group_segment_fixed_size 0
		.amdhsa_private_segment_fixed_size 0
		.amdhsa_kernarg_size 88
		.amdhsa_user_sgpr_count 2
		.amdhsa_user_sgpr_dispatch_ptr 0
		.amdhsa_user_sgpr_queue_ptr 0
		.amdhsa_user_sgpr_kernarg_segment_ptr 1
		.amdhsa_user_sgpr_dispatch_id 0
		.amdhsa_user_sgpr_kernarg_preload_length 0
		.amdhsa_user_sgpr_kernarg_preload_offset 0
		.amdhsa_user_sgpr_private_segment_size 0
		.amdhsa_wavefront_size32 1
		.amdhsa_uses_dynamic_stack 0
		.amdhsa_enable_private_segment 0
		.amdhsa_system_sgpr_workgroup_id_x 1
		.amdhsa_system_sgpr_workgroup_id_y 0
		.amdhsa_system_sgpr_workgroup_id_z 0
		.amdhsa_system_sgpr_workgroup_info 0
		.amdhsa_system_vgpr_workitem_id 0
		.amdhsa_next_free_vgpr 1
		.amdhsa_next_free_sgpr 1
		.amdhsa_named_barrier_count 0
		.amdhsa_reserve_vcc 0
		.amdhsa_float_round_mode_32 0
		.amdhsa_float_round_mode_16_64 0
		.amdhsa_float_denorm_mode_32 3
		.amdhsa_float_denorm_mode_16_64 3
		.amdhsa_fp16_overflow 0
		.amdhsa_memory_ordered 1
		.amdhsa_forward_progress 1
		.amdhsa_inst_pref_size 0
		.amdhsa_round_robin_scheduling 0
		.amdhsa_exception_fp_ieee_invalid_op 0
		.amdhsa_exception_fp_denorm_src 0
		.amdhsa_exception_fp_ieee_div_zero 0
		.amdhsa_exception_fp_ieee_overflow 0
		.amdhsa_exception_fp_ieee_underflow 0
		.amdhsa_exception_fp_ieee_inexact 0
		.amdhsa_exception_int_div_zero 0
	.end_amdhsa_kernel
	.section	.text._ZN7rocprim17ROCPRIM_400000_NS6detail17trampoline_kernelINS0_14default_configENS1_35radix_sort_onesweep_config_selectorIjNS0_10empty_typeEEEZZNS1_29radix_sort_onesweep_iterationIS3_Lb1EPKjPjPS5_SB_mNS0_19identity_decomposerENS1_16block_id_wrapperIjLb0EEEEE10hipError_tT1_PNSt15iterator_traitsISG_E10value_typeET2_T3_PNSH_ISM_E10value_typeET4_T5_PSR_SS_PNS1_23onesweep_lookback_stateEbbT6_jjT7_P12ihipStream_tbENKUlT_T0_SG_SL_E_clISA_SA_SB_SB_EEDaSZ_S10_SG_SL_EUlSZ_E_NS1_11comp_targetILNS1_3genE4ELNS1_11target_archE910ELNS1_3gpuE8ELNS1_3repE0EEENS1_47radix_sort_onesweep_sort_config_static_selectorELNS0_4arch9wavefront6targetE0EEEvSG_,"axG",@progbits,_ZN7rocprim17ROCPRIM_400000_NS6detail17trampoline_kernelINS0_14default_configENS1_35radix_sort_onesweep_config_selectorIjNS0_10empty_typeEEEZZNS1_29radix_sort_onesweep_iterationIS3_Lb1EPKjPjPS5_SB_mNS0_19identity_decomposerENS1_16block_id_wrapperIjLb0EEEEE10hipError_tT1_PNSt15iterator_traitsISG_E10value_typeET2_T3_PNSH_ISM_E10value_typeET4_T5_PSR_SS_PNS1_23onesweep_lookback_stateEbbT6_jjT7_P12ihipStream_tbENKUlT_T0_SG_SL_E_clISA_SA_SB_SB_EEDaSZ_S10_SG_SL_EUlSZ_E_NS1_11comp_targetILNS1_3genE4ELNS1_11target_archE910ELNS1_3gpuE8ELNS1_3repE0EEENS1_47radix_sort_onesweep_sort_config_static_selectorELNS0_4arch9wavefront6targetE0EEEvSG_,comdat
.Lfunc_end2664:
	.size	_ZN7rocprim17ROCPRIM_400000_NS6detail17trampoline_kernelINS0_14default_configENS1_35radix_sort_onesweep_config_selectorIjNS0_10empty_typeEEEZZNS1_29radix_sort_onesweep_iterationIS3_Lb1EPKjPjPS5_SB_mNS0_19identity_decomposerENS1_16block_id_wrapperIjLb0EEEEE10hipError_tT1_PNSt15iterator_traitsISG_E10value_typeET2_T3_PNSH_ISM_E10value_typeET4_T5_PSR_SS_PNS1_23onesweep_lookback_stateEbbT6_jjT7_P12ihipStream_tbENKUlT_T0_SG_SL_E_clISA_SA_SB_SB_EEDaSZ_S10_SG_SL_EUlSZ_E_NS1_11comp_targetILNS1_3genE4ELNS1_11target_archE910ELNS1_3gpuE8ELNS1_3repE0EEENS1_47radix_sort_onesweep_sort_config_static_selectorELNS0_4arch9wavefront6targetE0EEEvSG_, .Lfunc_end2664-_ZN7rocprim17ROCPRIM_400000_NS6detail17trampoline_kernelINS0_14default_configENS1_35radix_sort_onesweep_config_selectorIjNS0_10empty_typeEEEZZNS1_29radix_sort_onesweep_iterationIS3_Lb1EPKjPjPS5_SB_mNS0_19identity_decomposerENS1_16block_id_wrapperIjLb0EEEEE10hipError_tT1_PNSt15iterator_traitsISG_E10value_typeET2_T3_PNSH_ISM_E10value_typeET4_T5_PSR_SS_PNS1_23onesweep_lookback_stateEbbT6_jjT7_P12ihipStream_tbENKUlT_T0_SG_SL_E_clISA_SA_SB_SB_EEDaSZ_S10_SG_SL_EUlSZ_E_NS1_11comp_targetILNS1_3genE4ELNS1_11target_archE910ELNS1_3gpuE8ELNS1_3repE0EEENS1_47radix_sort_onesweep_sort_config_static_selectorELNS0_4arch9wavefront6targetE0EEEvSG_
                                        ; -- End function
	.set _ZN7rocprim17ROCPRIM_400000_NS6detail17trampoline_kernelINS0_14default_configENS1_35radix_sort_onesweep_config_selectorIjNS0_10empty_typeEEEZZNS1_29radix_sort_onesweep_iterationIS3_Lb1EPKjPjPS5_SB_mNS0_19identity_decomposerENS1_16block_id_wrapperIjLb0EEEEE10hipError_tT1_PNSt15iterator_traitsISG_E10value_typeET2_T3_PNSH_ISM_E10value_typeET4_T5_PSR_SS_PNS1_23onesweep_lookback_stateEbbT6_jjT7_P12ihipStream_tbENKUlT_T0_SG_SL_E_clISA_SA_SB_SB_EEDaSZ_S10_SG_SL_EUlSZ_E_NS1_11comp_targetILNS1_3genE4ELNS1_11target_archE910ELNS1_3gpuE8ELNS1_3repE0EEENS1_47radix_sort_onesweep_sort_config_static_selectorELNS0_4arch9wavefront6targetE0EEEvSG_.num_vgpr, 0
	.set _ZN7rocprim17ROCPRIM_400000_NS6detail17trampoline_kernelINS0_14default_configENS1_35radix_sort_onesweep_config_selectorIjNS0_10empty_typeEEEZZNS1_29radix_sort_onesweep_iterationIS3_Lb1EPKjPjPS5_SB_mNS0_19identity_decomposerENS1_16block_id_wrapperIjLb0EEEEE10hipError_tT1_PNSt15iterator_traitsISG_E10value_typeET2_T3_PNSH_ISM_E10value_typeET4_T5_PSR_SS_PNS1_23onesweep_lookback_stateEbbT6_jjT7_P12ihipStream_tbENKUlT_T0_SG_SL_E_clISA_SA_SB_SB_EEDaSZ_S10_SG_SL_EUlSZ_E_NS1_11comp_targetILNS1_3genE4ELNS1_11target_archE910ELNS1_3gpuE8ELNS1_3repE0EEENS1_47radix_sort_onesweep_sort_config_static_selectorELNS0_4arch9wavefront6targetE0EEEvSG_.num_agpr, 0
	.set _ZN7rocprim17ROCPRIM_400000_NS6detail17trampoline_kernelINS0_14default_configENS1_35radix_sort_onesweep_config_selectorIjNS0_10empty_typeEEEZZNS1_29radix_sort_onesweep_iterationIS3_Lb1EPKjPjPS5_SB_mNS0_19identity_decomposerENS1_16block_id_wrapperIjLb0EEEEE10hipError_tT1_PNSt15iterator_traitsISG_E10value_typeET2_T3_PNSH_ISM_E10value_typeET4_T5_PSR_SS_PNS1_23onesweep_lookback_stateEbbT6_jjT7_P12ihipStream_tbENKUlT_T0_SG_SL_E_clISA_SA_SB_SB_EEDaSZ_S10_SG_SL_EUlSZ_E_NS1_11comp_targetILNS1_3genE4ELNS1_11target_archE910ELNS1_3gpuE8ELNS1_3repE0EEENS1_47radix_sort_onesweep_sort_config_static_selectorELNS0_4arch9wavefront6targetE0EEEvSG_.numbered_sgpr, 0
	.set _ZN7rocprim17ROCPRIM_400000_NS6detail17trampoline_kernelINS0_14default_configENS1_35radix_sort_onesweep_config_selectorIjNS0_10empty_typeEEEZZNS1_29radix_sort_onesweep_iterationIS3_Lb1EPKjPjPS5_SB_mNS0_19identity_decomposerENS1_16block_id_wrapperIjLb0EEEEE10hipError_tT1_PNSt15iterator_traitsISG_E10value_typeET2_T3_PNSH_ISM_E10value_typeET4_T5_PSR_SS_PNS1_23onesweep_lookback_stateEbbT6_jjT7_P12ihipStream_tbENKUlT_T0_SG_SL_E_clISA_SA_SB_SB_EEDaSZ_S10_SG_SL_EUlSZ_E_NS1_11comp_targetILNS1_3genE4ELNS1_11target_archE910ELNS1_3gpuE8ELNS1_3repE0EEENS1_47radix_sort_onesweep_sort_config_static_selectorELNS0_4arch9wavefront6targetE0EEEvSG_.num_named_barrier, 0
	.set _ZN7rocprim17ROCPRIM_400000_NS6detail17trampoline_kernelINS0_14default_configENS1_35radix_sort_onesweep_config_selectorIjNS0_10empty_typeEEEZZNS1_29radix_sort_onesweep_iterationIS3_Lb1EPKjPjPS5_SB_mNS0_19identity_decomposerENS1_16block_id_wrapperIjLb0EEEEE10hipError_tT1_PNSt15iterator_traitsISG_E10value_typeET2_T3_PNSH_ISM_E10value_typeET4_T5_PSR_SS_PNS1_23onesweep_lookback_stateEbbT6_jjT7_P12ihipStream_tbENKUlT_T0_SG_SL_E_clISA_SA_SB_SB_EEDaSZ_S10_SG_SL_EUlSZ_E_NS1_11comp_targetILNS1_3genE4ELNS1_11target_archE910ELNS1_3gpuE8ELNS1_3repE0EEENS1_47radix_sort_onesweep_sort_config_static_selectorELNS0_4arch9wavefront6targetE0EEEvSG_.private_seg_size, 0
	.set _ZN7rocprim17ROCPRIM_400000_NS6detail17trampoline_kernelINS0_14default_configENS1_35radix_sort_onesweep_config_selectorIjNS0_10empty_typeEEEZZNS1_29radix_sort_onesweep_iterationIS3_Lb1EPKjPjPS5_SB_mNS0_19identity_decomposerENS1_16block_id_wrapperIjLb0EEEEE10hipError_tT1_PNSt15iterator_traitsISG_E10value_typeET2_T3_PNSH_ISM_E10value_typeET4_T5_PSR_SS_PNS1_23onesweep_lookback_stateEbbT6_jjT7_P12ihipStream_tbENKUlT_T0_SG_SL_E_clISA_SA_SB_SB_EEDaSZ_S10_SG_SL_EUlSZ_E_NS1_11comp_targetILNS1_3genE4ELNS1_11target_archE910ELNS1_3gpuE8ELNS1_3repE0EEENS1_47radix_sort_onesweep_sort_config_static_selectorELNS0_4arch9wavefront6targetE0EEEvSG_.uses_vcc, 0
	.set _ZN7rocprim17ROCPRIM_400000_NS6detail17trampoline_kernelINS0_14default_configENS1_35radix_sort_onesweep_config_selectorIjNS0_10empty_typeEEEZZNS1_29radix_sort_onesweep_iterationIS3_Lb1EPKjPjPS5_SB_mNS0_19identity_decomposerENS1_16block_id_wrapperIjLb0EEEEE10hipError_tT1_PNSt15iterator_traitsISG_E10value_typeET2_T3_PNSH_ISM_E10value_typeET4_T5_PSR_SS_PNS1_23onesweep_lookback_stateEbbT6_jjT7_P12ihipStream_tbENKUlT_T0_SG_SL_E_clISA_SA_SB_SB_EEDaSZ_S10_SG_SL_EUlSZ_E_NS1_11comp_targetILNS1_3genE4ELNS1_11target_archE910ELNS1_3gpuE8ELNS1_3repE0EEENS1_47radix_sort_onesweep_sort_config_static_selectorELNS0_4arch9wavefront6targetE0EEEvSG_.uses_flat_scratch, 0
	.set _ZN7rocprim17ROCPRIM_400000_NS6detail17trampoline_kernelINS0_14default_configENS1_35radix_sort_onesweep_config_selectorIjNS0_10empty_typeEEEZZNS1_29radix_sort_onesweep_iterationIS3_Lb1EPKjPjPS5_SB_mNS0_19identity_decomposerENS1_16block_id_wrapperIjLb0EEEEE10hipError_tT1_PNSt15iterator_traitsISG_E10value_typeET2_T3_PNSH_ISM_E10value_typeET4_T5_PSR_SS_PNS1_23onesweep_lookback_stateEbbT6_jjT7_P12ihipStream_tbENKUlT_T0_SG_SL_E_clISA_SA_SB_SB_EEDaSZ_S10_SG_SL_EUlSZ_E_NS1_11comp_targetILNS1_3genE4ELNS1_11target_archE910ELNS1_3gpuE8ELNS1_3repE0EEENS1_47radix_sort_onesweep_sort_config_static_selectorELNS0_4arch9wavefront6targetE0EEEvSG_.has_dyn_sized_stack, 0
	.set _ZN7rocprim17ROCPRIM_400000_NS6detail17trampoline_kernelINS0_14default_configENS1_35radix_sort_onesweep_config_selectorIjNS0_10empty_typeEEEZZNS1_29radix_sort_onesweep_iterationIS3_Lb1EPKjPjPS5_SB_mNS0_19identity_decomposerENS1_16block_id_wrapperIjLb0EEEEE10hipError_tT1_PNSt15iterator_traitsISG_E10value_typeET2_T3_PNSH_ISM_E10value_typeET4_T5_PSR_SS_PNS1_23onesweep_lookback_stateEbbT6_jjT7_P12ihipStream_tbENKUlT_T0_SG_SL_E_clISA_SA_SB_SB_EEDaSZ_S10_SG_SL_EUlSZ_E_NS1_11comp_targetILNS1_3genE4ELNS1_11target_archE910ELNS1_3gpuE8ELNS1_3repE0EEENS1_47radix_sort_onesweep_sort_config_static_selectorELNS0_4arch9wavefront6targetE0EEEvSG_.has_recursion, 0
	.set _ZN7rocprim17ROCPRIM_400000_NS6detail17trampoline_kernelINS0_14default_configENS1_35radix_sort_onesweep_config_selectorIjNS0_10empty_typeEEEZZNS1_29radix_sort_onesweep_iterationIS3_Lb1EPKjPjPS5_SB_mNS0_19identity_decomposerENS1_16block_id_wrapperIjLb0EEEEE10hipError_tT1_PNSt15iterator_traitsISG_E10value_typeET2_T3_PNSH_ISM_E10value_typeET4_T5_PSR_SS_PNS1_23onesweep_lookback_stateEbbT6_jjT7_P12ihipStream_tbENKUlT_T0_SG_SL_E_clISA_SA_SB_SB_EEDaSZ_S10_SG_SL_EUlSZ_E_NS1_11comp_targetILNS1_3genE4ELNS1_11target_archE910ELNS1_3gpuE8ELNS1_3repE0EEENS1_47radix_sort_onesweep_sort_config_static_selectorELNS0_4arch9wavefront6targetE0EEEvSG_.has_indirect_call, 0
	.section	.AMDGPU.csdata,"",@progbits
; Kernel info:
; codeLenInByte = 0
; TotalNumSgprs: 0
; NumVgprs: 0
; ScratchSize: 0
; MemoryBound: 0
; FloatMode: 240
; IeeeMode: 1
; LDSByteSize: 0 bytes/workgroup (compile time only)
; SGPRBlocks: 0
; VGPRBlocks: 0
; NumSGPRsForWavesPerEU: 1
; NumVGPRsForWavesPerEU: 1
; NamedBarCnt: 0
; Occupancy: 16
; WaveLimiterHint : 0
; COMPUTE_PGM_RSRC2:SCRATCH_EN: 0
; COMPUTE_PGM_RSRC2:USER_SGPR: 2
; COMPUTE_PGM_RSRC2:TRAP_HANDLER: 0
; COMPUTE_PGM_RSRC2:TGID_X_EN: 1
; COMPUTE_PGM_RSRC2:TGID_Y_EN: 0
; COMPUTE_PGM_RSRC2:TGID_Z_EN: 0
; COMPUTE_PGM_RSRC2:TIDIG_COMP_CNT: 0
	.section	.text._ZN7rocprim17ROCPRIM_400000_NS6detail17trampoline_kernelINS0_14default_configENS1_35radix_sort_onesweep_config_selectorIjNS0_10empty_typeEEEZZNS1_29radix_sort_onesweep_iterationIS3_Lb1EPKjPjPS5_SB_mNS0_19identity_decomposerENS1_16block_id_wrapperIjLb0EEEEE10hipError_tT1_PNSt15iterator_traitsISG_E10value_typeET2_T3_PNSH_ISM_E10value_typeET4_T5_PSR_SS_PNS1_23onesweep_lookback_stateEbbT6_jjT7_P12ihipStream_tbENKUlT_T0_SG_SL_E_clISA_SA_SB_SB_EEDaSZ_S10_SG_SL_EUlSZ_E_NS1_11comp_targetILNS1_3genE3ELNS1_11target_archE908ELNS1_3gpuE7ELNS1_3repE0EEENS1_47radix_sort_onesweep_sort_config_static_selectorELNS0_4arch9wavefront6targetE0EEEvSG_,"axG",@progbits,_ZN7rocprim17ROCPRIM_400000_NS6detail17trampoline_kernelINS0_14default_configENS1_35radix_sort_onesweep_config_selectorIjNS0_10empty_typeEEEZZNS1_29radix_sort_onesweep_iterationIS3_Lb1EPKjPjPS5_SB_mNS0_19identity_decomposerENS1_16block_id_wrapperIjLb0EEEEE10hipError_tT1_PNSt15iterator_traitsISG_E10value_typeET2_T3_PNSH_ISM_E10value_typeET4_T5_PSR_SS_PNS1_23onesweep_lookback_stateEbbT6_jjT7_P12ihipStream_tbENKUlT_T0_SG_SL_E_clISA_SA_SB_SB_EEDaSZ_S10_SG_SL_EUlSZ_E_NS1_11comp_targetILNS1_3genE3ELNS1_11target_archE908ELNS1_3gpuE7ELNS1_3repE0EEENS1_47radix_sort_onesweep_sort_config_static_selectorELNS0_4arch9wavefront6targetE0EEEvSG_,comdat
	.protected	_ZN7rocprim17ROCPRIM_400000_NS6detail17trampoline_kernelINS0_14default_configENS1_35radix_sort_onesweep_config_selectorIjNS0_10empty_typeEEEZZNS1_29radix_sort_onesweep_iterationIS3_Lb1EPKjPjPS5_SB_mNS0_19identity_decomposerENS1_16block_id_wrapperIjLb0EEEEE10hipError_tT1_PNSt15iterator_traitsISG_E10value_typeET2_T3_PNSH_ISM_E10value_typeET4_T5_PSR_SS_PNS1_23onesweep_lookback_stateEbbT6_jjT7_P12ihipStream_tbENKUlT_T0_SG_SL_E_clISA_SA_SB_SB_EEDaSZ_S10_SG_SL_EUlSZ_E_NS1_11comp_targetILNS1_3genE3ELNS1_11target_archE908ELNS1_3gpuE7ELNS1_3repE0EEENS1_47radix_sort_onesweep_sort_config_static_selectorELNS0_4arch9wavefront6targetE0EEEvSG_ ; -- Begin function _ZN7rocprim17ROCPRIM_400000_NS6detail17trampoline_kernelINS0_14default_configENS1_35radix_sort_onesweep_config_selectorIjNS0_10empty_typeEEEZZNS1_29radix_sort_onesweep_iterationIS3_Lb1EPKjPjPS5_SB_mNS0_19identity_decomposerENS1_16block_id_wrapperIjLb0EEEEE10hipError_tT1_PNSt15iterator_traitsISG_E10value_typeET2_T3_PNSH_ISM_E10value_typeET4_T5_PSR_SS_PNS1_23onesweep_lookback_stateEbbT6_jjT7_P12ihipStream_tbENKUlT_T0_SG_SL_E_clISA_SA_SB_SB_EEDaSZ_S10_SG_SL_EUlSZ_E_NS1_11comp_targetILNS1_3genE3ELNS1_11target_archE908ELNS1_3gpuE7ELNS1_3repE0EEENS1_47radix_sort_onesweep_sort_config_static_selectorELNS0_4arch9wavefront6targetE0EEEvSG_
	.globl	_ZN7rocprim17ROCPRIM_400000_NS6detail17trampoline_kernelINS0_14default_configENS1_35radix_sort_onesweep_config_selectorIjNS0_10empty_typeEEEZZNS1_29radix_sort_onesweep_iterationIS3_Lb1EPKjPjPS5_SB_mNS0_19identity_decomposerENS1_16block_id_wrapperIjLb0EEEEE10hipError_tT1_PNSt15iterator_traitsISG_E10value_typeET2_T3_PNSH_ISM_E10value_typeET4_T5_PSR_SS_PNS1_23onesweep_lookback_stateEbbT6_jjT7_P12ihipStream_tbENKUlT_T0_SG_SL_E_clISA_SA_SB_SB_EEDaSZ_S10_SG_SL_EUlSZ_E_NS1_11comp_targetILNS1_3genE3ELNS1_11target_archE908ELNS1_3gpuE7ELNS1_3repE0EEENS1_47radix_sort_onesweep_sort_config_static_selectorELNS0_4arch9wavefront6targetE0EEEvSG_
	.p2align	8
	.type	_ZN7rocprim17ROCPRIM_400000_NS6detail17trampoline_kernelINS0_14default_configENS1_35radix_sort_onesweep_config_selectorIjNS0_10empty_typeEEEZZNS1_29radix_sort_onesweep_iterationIS3_Lb1EPKjPjPS5_SB_mNS0_19identity_decomposerENS1_16block_id_wrapperIjLb0EEEEE10hipError_tT1_PNSt15iterator_traitsISG_E10value_typeET2_T3_PNSH_ISM_E10value_typeET4_T5_PSR_SS_PNS1_23onesweep_lookback_stateEbbT6_jjT7_P12ihipStream_tbENKUlT_T0_SG_SL_E_clISA_SA_SB_SB_EEDaSZ_S10_SG_SL_EUlSZ_E_NS1_11comp_targetILNS1_3genE3ELNS1_11target_archE908ELNS1_3gpuE7ELNS1_3repE0EEENS1_47radix_sort_onesweep_sort_config_static_selectorELNS0_4arch9wavefront6targetE0EEEvSG_,@function
_ZN7rocprim17ROCPRIM_400000_NS6detail17trampoline_kernelINS0_14default_configENS1_35radix_sort_onesweep_config_selectorIjNS0_10empty_typeEEEZZNS1_29radix_sort_onesweep_iterationIS3_Lb1EPKjPjPS5_SB_mNS0_19identity_decomposerENS1_16block_id_wrapperIjLb0EEEEE10hipError_tT1_PNSt15iterator_traitsISG_E10value_typeET2_T3_PNSH_ISM_E10value_typeET4_T5_PSR_SS_PNS1_23onesweep_lookback_stateEbbT6_jjT7_P12ihipStream_tbENKUlT_T0_SG_SL_E_clISA_SA_SB_SB_EEDaSZ_S10_SG_SL_EUlSZ_E_NS1_11comp_targetILNS1_3genE3ELNS1_11target_archE908ELNS1_3gpuE7ELNS1_3repE0EEENS1_47radix_sort_onesweep_sort_config_static_selectorELNS0_4arch9wavefront6targetE0EEEvSG_: ; @_ZN7rocprim17ROCPRIM_400000_NS6detail17trampoline_kernelINS0_14default_configENS1_35radix_sort_onesweep_config_selectorIjNS0_10empty_typeEEEZZNS1_29radix_sort_onesweep_iterationIS3_Lb1EPKjPjPS5_SB_mNS0_19identity_decomposerENS1_16block_id_wrapperIjLb0EEEEE10hipError_tT1_PNSt15iterator_traitsISG_E10value_typeET2_T3_PNSH_ISM_E10value_typeET4_T5_PSR_SS_PNS1_23onesweep_lookback_stateEbbT6_jjT7_P12ihipStream_tbENKUlT_T0_SG_SL_E_clISA_SA_SB_SB_EEDaSZ_S10_SG_SL_EUlSZ_E_NS1_11comp_targetILNS1_3genE3ELNS1_11target_archE908ELNS1_3gpuE7ELNS1_3repE0EEENS1_47radix_sort_onesweep_sort_config_static_selectorELNS0_4arch9wavefront6targetE0EEEvSG_
; %bb.0:
	.section	.rodata,"a",@progbits
	.p2align	6, 0x0
	.amdhsa_kernel _ZN7rocprim17ROCPRIM_400000_NS6detail17trampoline_kernelINS0_14default_configENS1_35radix_sort_onesweep_config_selectorIjNS0_10empty_typeEEEZZNS1_29radix_sort_onesweep_iterationIS3_Lb1EPKjPjPS5_SB_mNS0_19identity_decomposerENS1_16block_id_wrapperIjLb0EEEEE10hipError_tT1_PNSt15iterator_traitsISG_E10value_typeET2_T3_PNSH_ISM_E10value_typeET4_T5_PSR_SS_PNS1_23onesweep_lookback_stateEbbT6_jjT7_P12ihipStream_tbENKUlT_T0_SG_SL_E_clISA_SA_SB_SB_EEDaSZ_S10_SG_SL_EUlSZ_E_NS1_11comp_targetILNS1_3genE3ELNS1_11target_archE908ELNS1_3gpuE7ELNS1_3repE0EEENS1_47radix_sort_onesweep_sort_config_static_selectorELNS0_4arch9wavefront6targetE0EEEvSG_
		.amdhsa_group_segment_fixed_size 0
		.amdhsa_private_segment_fixed_size 0
		.amdhsa_kernarg_size 88
		.amdhsa_user_sgpr_count 2
		.amdhsa_user_sgpr_dispatch_ptr 0
		.amdhsa_user_sgpr_queue_ptr 0
		.amdhsa_user_sgpr_kernarg_segment_ptr 1
		.amdhsa_user_sgpr_dispatch_id 0
		.amdhsa_user_sgpr_kernarg_preload_length 0
		.amdhsa_user_sgpr_kernarg_preload_offset 0
		.amdhsa_user_sgpr_private_segment_size 0
		.amdhsa_wavefront_size32 1
		.amdhsa_uses_dynamic_stack 0
		.amdhsa_enable_private_segment 0
		.amdhsa_system_sgpr_workgroup_id_x 1
		.amdhsa_system_sgpr_workgroup_id_y 0
		.amdhsa_system_sgpr_workgroup_id_z 0
		.amdhsa_system_sgpr_workgroup_info 0
		.amdhsa_system_vgpr_workitem_id 0
		.amdhsa_next_free_vgpr 1
		.amdhsa_next_free_sgpr 1
		.amdhsa_named_barrier_count 0
		.amdhsa_reserve_vcc 0
		.amdhsa_float_round_mode_32 0
		.amdhsa_float_round_mode_16_64 0
		.amdhsa_float_denorm_mode_32 3
		.amdhsa_float_denorm_mode_16_64 3
		.amdhsa_fp16_overflow 0
		.amdhsa_memory_ordered 1
		.amdhsa_forward_progress 1
		.amdhsa_inst_pref_size 0
		.amdhsa_round_robin_scheduling 0
		.amdhsa_exception_fp_ieee_invalid_op 0
		.amdhsa_exception_fp_denorm_src 0
		.amdhsa_exception_fp_ieee_div_zero 0
		.amdhsa_exception_fp_ieee_overflow 0
		.amdhsa_exception_fp_ieee_underflow 0
		.amdhsa_exception_fp_ieee_inexact 0
		.amdhsa_exception_int_div_zero 0
	.end_amdhsa_kernel
	.section	.text._ZN7rocprim17ROCPRIM_400000_NS6detail17trampoline_kernelINS0_14default_configENS1_35radix_sort_onesweep_config_selectorIjNS0_10empty_typeEEEZZNS1_29radix_sort_onesweep_iterationIS3_Lb1EPKjPjPS5_SB_mNS0_19identity_decomposerENS1_16block_id_wrapperIjLb0EEEEE10hipError_tT1_PNSt15iterator_traitsISG_E10value_typeET2_T3_PNSH_ISM_E10value_typeET4_T5_PSR_SS_PNS1_23onesweep_lookback_stateEbbT6_jjT7_P12ihipStream_tbENKUlT_T0_SG_SL_E_clISA_SA_SB_SB_EEDaSZ_S10_SG_SL_EUlSZ_E_NS1_11comp_targetILNS1_3genE3ELNS1_11target_archE908ELNS1_3gpuE7ELNS1_3repE0EEENS1_47radix_sort_onesweep_sort_config_static_selectorELNS0_4arch9wavefront6targetE0EEEvSG_,"axG",@progbits,_ZN7rocprim17ROCPRIM_400000_NS6detail17trampoline_kernelINS0_14default_configENS1_35radix_sort_onesweep_config_selectorIjNS0_10empty_typeEEEZZNS1_29radix_sort_onesweep_iterationIS3_Lb1EPKjPjPS5_SB_mNS0_19identity_decomposerENS1_16block_id_wrapperIjLb0EEEEE10hipError_tT1_PNSt15iterator_traitsISG_E10value_typeET2_T3_PNSH_ISM_E10value_typeET4_T5_PSR_SS_PNS1_23onesweep_lookback_stateEbbT6_jjT7_P12ihipStream_tbENKUlT_T0_SG_SL_E_clISA_SA_SB_SB_EEDaSZ_S10_SG_SL_EUlSZ_E_NS1_11comp_targetILNS1_3genE3ELNS1_11target_archE908ELNS1_3gpuE7ELNS1_3repE0EEENS1_47radix_sort_onesweep_sort_config_static_selectorELNS0_4arch9wavefront6targetE0EEEvSG_,comdat
.Lfunc_end2665:
	.size	_ZN7rocprim17ROCPRIM_400000_NS6detail17trampoline_kernelINS0_14default_configENS1_35radix_sort_onesweep_config_selectorIjNS0_10empty_typeEEEZZNS1_29radix_sort_onesweep_iterationIS3_Lb1EPKjPjPS5_SB_mNS0_19identity_decomposerENS1_16block_id_wrapperIjLb0EEEEE10hipError_tT1_PNSt15iterator_traitsISG_E10value_typeET2_T3_PNSH_ISM_E10value_typeET4_T5_PSR_SS_PNS1_23onesweep_lookback_stateEbbT6_jjT7_P12ihipStream_tbENKUlT_T0_SG_SL_E_clISA_SA_SB_SB_EEDaSZ_S10_SG_SL_EUlSZ_E_NS1_11comp_targetILNS1_3genE3ELNS1_11target_archE908ELNS1_3gpuE7ELNS1_3repE0EEENS1_47radix_sort_onesweep_sort_config_static_selectorELNS0_4arch9wavefront6targetE0EEEvSG_, .Lfunc_end2665-_ZN7rocprim17ROCPRIM_400000_NS6detail17trampoline_kernelINS0_14default_configENS1_35radix_sort_onesweep_config_selectorIjNS0_10empty_typeEEEZZNS1_29radix_sort_onesweep_iterationIS3_Lb1EPKjPjPS5_SB_mNS0_19identity_decomposerENS1_16block_id_wrapperIjLb0EEEEE10hipError_tT1_PNSt15iterator_traitsISG_E10value_typeET2_T3_PNSH_ISM_E10value_typeET4_T5_PSR_SS_PNS1_23onesweep_lookback_stateEbbT6_jjT7_P12ihipStream_tbENKUlT_T0_SG_SL_E_clISA_SA_SB_SB_EEDaSZ_S10_SG_SL_EUlSZ_E_NS1_11comp_targetILNS1_3genE3ELNS1_11target_archE908ELNS1_3gpuE7ELNS1_3repE0EEENS1_47radix_sort_onesweep_sort_config_static_selectorELNS0_4arch9wavefront6targetE0EEEvSG_
                                        ; -- End function
	.set _ZN7rocprim17ROCPRIM_400000_NS6detail17trampoline_kernelINS0_14default_configENS1_35radix_sort_onesweep_config_selectorIjNS0_10empty_typeEEEZZNS1_29radix_sort_onesweep_iterationIS3_Lb1EPKjPjPS5_SB_mNS0_19identity_decomposerENS1_16block_id_wrapperIjLb0EEEEE10hipError_tT1_PNSt15iterator_traitsISG_E10value_typeET2_T3_PNSH_ISM_E10value_typeET4_T5_PSR_SS_PNS1_23onesweep_lookback_stateEbbT6_jjT7_P12ihipStream_tbENKUlT_T0_SG_SL_E_clISA_SA_SB_SB_EEDaSZ_S10_SG_SL_EUlSZ_E_NS1_11comp_targetILNS1_3genE3ELNS1_11target_archE908ELNS1_3gpuE7ELNS1_3repE0EEENS1_47radix_sort_onesweep_sort_config_static_selectorELNS0_4arch9wavefront6targetE0EEEvSG_.num_vgpr, 0
	.set _ZN7rocprim17ROCPRIM_400000_NS6detail17trampoline_kernelINS0_14default_configENS1_35radix_sort_onesweep_config_selectorIjNS0_10empty_typeEEEZZNS1_29radix_sort_onesweep_iterationIS3_Lb1EPKjPjPS5_SB_mNS0_19identity_decomposerENS1_16block_id_wrapperIjLb0EEEEE10hipError_tT1_PNSt15iterator_traitsISG_E10value_typeET2_T3_PNSH_ISM_E10value_typeET4_T5_PSR_SS_PNS1_23onesweep_lookback_stateEbbT6_jjT7_P12ihipStream_tbENKUlT_T0_SG_SL_E_clISA_SA_SB_SB_EEDaSZ_S10_SG_SL_EUlSZ_E_NS1_11comp_targetILNS1_3genE3ELNS1_11target_archE908ELNS1_3gpuE7ELNS1_3repE0EEENS1_47radix_sort_onesweep_sort_config_static_selectorELNS0_4arch9wavefront6targetE0EEEvSG_.num_agpr, 0
	.set _ZN7rocprim17ROCPRIM_400000_NS6detail17trampoline_kernelINS0_14default_configENS1_35radix_sort_onesweep_config_selectorIjNS0_10empty_typeEEEZZNS1_29radix_sort_onesweep_iterationIS3_Lb1EPKjPjPS5_SB_mNS0_19identity_decomposerENS1_16block_id_wrapperIjLb0EEEEE10hipError_tT1_PNSt15iterator_traitsISG_E10value_typeET2_T3_PNSH_ISM_E10value_typeET4_T5_PSR_SS_PNS1_23onesweep_lookback_stateEbbT6_jjT7_P12ihipStream_tbENKUlT_T0_SG_SL_E_clISA_SA_SB_SB_EEDaSZ_S10_SG_SL_EUlSZ_E_NS1_11comp_targetILNS1_3genE3ELNS1_11target_archE908ELNS1_3gpuE7ELNS1_3repE0EEENS1_47radix_sort_onesweep_sort_config_static_selectorELNS0_4arch9wavefront6targetE0EEEvSG_.numbered_sgpr, 0
	.set _ZN7rocprim17ROCPRIM_400000_NS6detail17trampoline_kernelINS0_14default_configENS1_35radix_sort_onesweep_config_selectorIjNS0_10empty_typeEEEZZNS1_29radix_sort_onesweep_iterationIS3_Lb1EPKjPjPS5_SB_mNS0_19identity_decomposerENS1_16block_id_wrapperIjLb0EEEEE10hipError_tT1_PNSt15iterator_traitsISG_E10value_typeET2_T3_PNSH_ISM_E10value_typeET4_T5_PSR_SS_PNS1_23onesweep_lookback_stateEbbT6_jjT7_P12ihipStream_tbENKUlT_T0_SG_SL_E_clISA_SA_SB_SB_EEDaSZ_S10_SG_SL_EUlSZ_E_NS1_11comp_targetILNS1_3genE3ELNS1_11target_archE908ELNS1_3gpuE7ELNS1_3repE0EEENS1_47radix_sort_onesweep_sort_config_static_selectorELNS0_4arch9wavefront6targetE0EEEvSG_.num_named_barrier, 0
	.set _ZN7rocprim17ROCPRIM_400000_NS6detail17trampoline_kernelINS0_14default_configENS1_35radix_sort_onesweep_config_selectorIjNS0_10empty_typeEEEZZNS1_29radix_sort_onesweep_iterationIS3_Lb1EPKjPjPS5_SB_mNS0_19identity_decomposerENS1_16block_id_wrapperIjLb0EEEEE10hipError_tT1_PNSt15iterator_traitsISG_E10value_typeET2_T3_PNSH_ISM_E10value_typeET4_T5_PSR_SS_PNS1_23onesweep_lookback_stateEbbT6_jjT7_P12ihipStream_tbENKUlT_T0_SG_SL_E_clISA_SA_SB_SB_EEDaSZ_S10_SG_SL_EUlSZ_E_NS1_11comp_targetILNS1_3genE3ELNS1_11target_archE908ELNS1_3gpuE7ELNS1_3repE0EEENS1_47radix_sort_onesweep_sort_config_static_selectorELNS0_4arch9wavefront6targetE0EEEvSG_.private_seg_size, 0
	.set _ZN7rocprim17ROCPRIM_400000_NS6detail17trampoline_kernelINS0_14default_configENS1_35radix_sort_onesweep_config_selectorIjNS0_10empty_typeEEEZZNS1_29radix_sort_onesweep_iterationIS3_Lb1EPKjPjPS5_SB_mNS0_19identity_decomposerENS1_16block_id_wrapperIjLb0EEEEE10hipError_tT1_PNSt15iterator_traitsISG_E10value_typeET2_T3_PNSH_ISM_E10value_typeET4_T5_PSR_SS_PNS1_23onesweep_lookback_stateEbbT6_jjT7_P12ihipStream_tbENKUlT_T0_SG_SL_E_clISA_SA_SB_SB_EEDaSZ_S10_SG_SL_EUlSZ_E_NS1_11comp_targetILNS1_3genE3ELNS1_11target_archE908ELNS1_3gpuE7ELNS1_3repE0EEENS1_47radix_sort_onesweep_sort_config_static_selectorELNS0_4arch9wavefront6targetE0EEEvSG_.uses_vcc, 0
	.set _ZN7rocprim17ROCPRIM_400000_NS6detail17trampoline_kernelINS0_14default_configENS1_35radix_sort_onesweep_config_selectorIjNS0_10empty_typeEEEZZNS1_29radix_sort_onesweep_iterationIS3_Lb1EPKjPjPS5_SB_mNS0_19identity_decomposerENS1_16block_id_wrapperIjLb0EEEEE10hipError_tT1_PNSt15iterator_traitsISG_E10value_typeET2_T3_PNSH_ISM_E10value_typeET4_T5_PSR_SS_PNS1_23onesweep_lookback_stateEbbT6_jjT7_P12ihipStream_tbENKUlT_T0_SG_SL_E_clISA_SA_SB_SB_EEDaSZ_S10_SG_SL_EUlSZ_E_NS1_11comp_targetILNS1_3genE3ELNS1_11target_archE908ELNS1_3gpuE7ELNS1_3repE0EEENS1_47radix_sort_onesweep_sort_config_static_selectorELNS0_4arch9wavefront6targetE0EEEvSG_.uses_flat_scratch, 0
	.set _ZN7rocprim17ROCPRIM_400000_NS6detail17trampoline_kernelINS0_14default_configENS1_35radix_sort_onesweep_config_selectorIjNS0_10empty_typeEEEZZNS1_29radix_sort_onesweep_iterationIS3_Lb1EPKjPjPS5_SB_mNS0_19identity_decomposerENS1_16block_id_wrapperIjLb0EEEEE10hipError_tT1_PNSt15iterator_traitsISG_E10value_typeET2_T3_PNSH_ISM_E10value_typeET4_T5_PSR_SS_PNS1_23onesweep_lookback_stateEbbT6_jjT7_P12ihipStream_tbENKUlT_T0_SG_SL_E_clISA_SA_SB_SB_EEDaSZ_S10_SG_SL_EUlSZ_E_NS1_11comp_targetILNS1_3genE3ELNS1_11target_archE908ELNS1_3gpuE7ELNS1_3repE0EEENS1_47radix_sort_onesweep_sort_config_static_selectorELNS0_4arch9wavefront6targetE0EEEvSG_.has_dyn_sized_stack, 0
	.set _ZN7rocprim17ROCPRIM_400000_NS6detail17trampoline_kernelINS0_14default_configENS1_35radix_sort_onesweep_config_selectorIjNS0_10empty_typeEEEZZNS1_29radix_sort_onesweep_iterationIS3_Lb1EPKjPjPS5_SB_mNS0_19identity_decomposerENS1_16block_id_wrapperIjLb0EEEEE10hipError_tT1_PNSt15iterator_traitsISG_E10value_typeET2_T3_PNSH_ISM_E10value_typeET4_T5_PSR_SS_PNS1_23onesweep_lookback_stateEbbT6_jjT7_P12ihipStream_tbENKUlT_T0_SG_SL_E_clISA_SA_SB_SB_EEDaSZ_S10_SG_SL_EUlSZ_E_NS1_11comp_targetILNS1_3genE3ELNS1_11target_archE908ELNS1_3gpuE7ELNS1_3repE0EEENS1_47radix_sort_onesweep_sort_config_static_selectorELNS0_4arch9wavefront6targetE0EEEvSG_.has_recursion, 0
	.set _ZN7rocprim17ROCPRIM_400000_NS6detail17trampoline_kernelINS0_14default_configENS1_35radix_sort_onesweep_config_selectorIjNS0_10empty_typeEEEZZNS1_29radix_sort_onesweep_iterationIS3_Lb1EPKjPjPS5_SB_mNS0_19identity_decomposerENS1_16block_id_wrapperIjLb0EEEEE10hipError_tT1_PNSt15iterator_traitsISG_E10value_typeET2_T3_PNSH_ISM_E10value_typeET4_T5_PSR_SS_PNS1_23onesweep_lookback_stateEbbT6_jjT7_P12ihipStream_tbENKUlT_T0_SG_SL_E_clISA_SA_SB_SB_EEDaSZ_S10_SG_SL_EUlSZ_E_NS1_11comp_targetILNS1_3genE3ELNS1_11target_archE908ELNS1_3gpuE7ELNS1_3repE0EEENS1_47radix_sort_onesweep_sort_config_static_selectorELNS0_4arch9wavefront6targetE0EEEvSG_.has_indirect_call, 0
	.section	.AMDGPU.csdata,"",@progbits
; Kernel info:
; codeLenInByte = 0
; TotalNumSgprs: 0
; NumVgprs: 0
; ScratchSize: 0
; MemoryBound: 0
; FloatMode: 240
; IeeeMode: 1
; LDSByteSize: 0 bytes/workgroup (compile time only)
; SGPRBlocks: 0
; VGPRBlocks: 0
; NumSGPRsForWavesPerEU: 1
; NumVGPRsForWavesPerEU: 1
; NamedBarCnt: 0
; Occupancy: 16
; WaveLimiterHint : 0
; COMPUTE_PGM_RSRC2:SCRATCH_EN: 0
; COMPUTE_PGM_RSRC2:USER_SGPR: 2
; COMPUTE_PGM_RSRC2:TRAP_HANDLER: 0
; COMPUTE_PGM_RSRC2:TGID_X_EN: 1
; COMPUTE_PGM_RSRC2:TGID_Y_EN: 0
; COMPUTE_PGM_RSRC2:TGID_Z_EN: 0
; COMPUTE_PGM_RSRC2:TIDIG_COMP_CNT: 0
	.section	.text._ZN7rocprim17ROCPRIM_400000_NS6detail17trampoline_kernelINS0_14default_configENS1_35radix_sort_onesweep_config_selectorIjNS0_10empty_typeEEEZZNS1_29radix_sort_onesweep_iterationIS3_Lb1EPKjPjPS5_SB_mNS0_19identity_decomposerENS1_16block_id_wrapperIjLb0EEEEE10hipError_tT1_PNSt15iterator_traitsISG_E10value_typeET2_T3_PNSH_ISM_E10value_typeET4_T5_PSR_SS_PNS1_23onesweep_lookback_stateEbbT6_jjT7_P12ihipStream_tbENKUlT_T0_SG_SL_E_clISA_SA_SB_SB_EEDaSZ_S10_SG_SL_EUlSZ_E_NS1_11comp_targetILNS1_3genE10ELNS1_11target_archE1201ELNS1_3gpuE5ELNS1_3repE0EEENS1_47radix_sort_onesweep_sort_config_static_selectorELNS0_4arch9wavefront6targetE0EEEvSG_,"axG",@progbits,_ZN7rocprim17ROCPRIM_400000_NS6detail17trampoline_kernelINS0_14default_configENS1_35radix_sort_onesweep_config_selectorIjNS0_10empty_typeEEEZZNS1_29radix_sort_onesweep_iterationIS3_Lb1EPKjPjPS5_SB_mNS0_19identity_decomposerENS1_16block_id_wrapperIjLb0EEEEE10hipError_tT1_PNSt15iterator_traitsISG_E10value_typeET2_T3_PNSH_ISM_E10value_typeET4_T5_PSR_SS_PNS1_23onesweep_lookback_stateEbbT6_jjT7_P12ihipStream_tbENKUlT_T0_SG_SL_E_clISA_SA_SB_SB_EEDaSZ_S10_SG_SL_EUlSZ_E_NS1_11comp_targetILNS1_3genE10ELNS1_11target_archE1201ELNS1_3gpuE5ELNS1_3repE0EEENS1_47radix_sort_onesweep_sort_config_static_selectorELNS0_4arch9wavefront6targetE0EEEvSG_,comdat
	.protected	_ZN7rocprim17ROCPRIM_400000_NS6detail17trampoline_kernelINS0_14default_configENS1_35radix_sort_onesweep_config_selectorIjNS0_10empty_typeEEEZZNS1_29radix_sort_onesweep_iterationIS3_Lb1EPKjPjPS5_SB_mNS0_19identity_decomposerENS1_16block_id_wrapperIjLb0EEEEE10hipError_tT1_PNSt15iterator_traitsISG_E10value_typeET2_T3_PNSH_ISM_E10value_typeET4_T5_PSR_SS_PNS1_23onesweep_lookback_stateEbbT6_jjT7_P12ihipStream_tbENKUlT_T0_SG_SL_E_clISA_SA_SB_SB_EEDaSZ_S10_SG_SL_EUlSZ_E_NS1_11comp_targetILNS1_3genE10ELNS1_11target_archE1201ELNS1_3gpuE5ELNS1_3repE0EEENS1_47radix_sort_onesweep_sort_config_static_selectorELNS0_4arch9wavefront6targetE0EEEvSG_ ; -- Begin function _ZN7rocprim17ROCPRIM_400000_NS6detail17trampoline_kernelINS0_14default_configENS1_35radix_sort_onesweep_config_selectorIjNS0_10empty_typeEEEZZNS1_29radix_sort_onesweep_iterationIS3_Lb1EPKjPjPS5_SB_mNS0_19identity_decomposerENS1_16block_id_wrapperIjLb0EEEEE10hipError_tT1_PNSt15iterator_traitsISG_E10value_typeET2_T3_PNSH_ISM_E10value_typeET4_T5_PSR_SS_PNS1_23onesweep_lookback_stateEbbT6_jjT7_P12ihipStream_tbENKUlT_T0_SG_SL_E_clISA_SA_SB_SB_EEDaSZ_S10_SG_SL_EUlSZ_E_NS1_11comp_targetILNS1_3genE10ELNS1_11target_archE1201ELNS1_3gpuE5ELNS1_3repE0EEENS1_47radix_sort_onesweep_sort_config_static_selectorELNS0_4arch9wavefront6targetE0EEEvSG_
	.globl	_ZN7rocprim17ROCPRIM_400000_NS6detail17trampoline_kernelINS0_14default_configENS1_35radix_sort_onesweep_config_selectorIjNS0_10empty_typeEEEZZNS1_29radix_sort_onesweep_iterationIS3_Lb1EPKjPjPS5_SB_mNS0_19identity_decomposerENS1_16block_id_wrapperIjLb0EEEEE10hipError_tT1_PNSt15iterator_traitsISG_E10value_typeET2_T3_PNSH_ISM_E10value_typeET4_T5_PSR_SS_PNS1_23onesweep_lookback_stateEbbT6_jjT7_P12ihipStream_tbENKUlT_T0_SG_SL_E_clISA_SA_SB_SB_EEDaSZ_S10_SG_SL_EUlSZ_E_NS1_11comp_targetILNS1_3genE10ELNS1_11target_archE1201ELNS1_3gpuE5ELNS1_3repE0EEENS1_47radix_sort_onesweep_sort_config_static_selectorELNS0_4arch9wavefront6targetE0EEEvSG_
	.p2align	8
	.type	_ZN7rocprim17ROCPRIM_400000_NS6detail17trampoline_kernelINS0_14default_configENS1_35radix_sort_onesweep_config_selectorIjNS0_10empty_typeEEEZZNS1_29radix_sort_onesweep_iterationIS3_Lb1EPKjPjPS5_SB_mNS0_19identity_decomposerENS1_16block_id_wrapperIjLb0EEEEE10hipError_tT1_PNSt15iterator_traitsISG_E10value_typeET2_T3_PNSH_ISM_E10value_typeET4_T5_PSR_SS_PNS1_23onesweep_lookback_stateEbbT6_jjT7_P12ihipStream_tbENKUlT_T0_SG_SL_E_clISA_SA_SB_SB_EEDaSZ_S10_SG_SL_EUlSZ_E_NS1_11comp_targetILNS1_3genE10ELNS1_11target_archE1201ELNS1_3gpuE5ELNS1_3repE0EEENS1_47radix_sort_onesweep_sort_config_static_selectorELNS0_4arch9wavefront6targetE0EEEvSG_,@function
_ZN7rocprim17ROCPRIM_400000_NS6detail17trampoline_kernelINS0_14default_configENS1_35radix_sort_onesweep_config_selectorIjNS0_10empty_typeEEEZZNS1_29radix_sort_onesweep_iterationIS3_Lb1EPKjPjPS5_SB_mNS0_19identity_decomposerENS1_16block_id_wrapperIjLb0EEEEE10hipError_tT1_PNSt15iterator_traitsISG_E10value_typeET2_T3_PNSH_ISM_E10value_typeET4_T5_PSR_SS_PNS1_23onesweep_lookback_stateEbbT6_jjT7_P12ihipStream_tbENKUlT_T0_SG_SL_E_clISA_SA_SB_SB_EEDaSZ_S10_SG_SL_EUlSZ_E_NS1_11comp_targetILNS1_3genE10ELNS1_11target_archE1201ELNS1_3gpuE5ELNS1_3repE0EEENS1_47radix_sort_onesweep_sort_config_static_selectorELNS0_4arch9wavefront6targetE0EEEvSG_: ; @_ZN7rocprim17ROCPRIM_400000_NS6detail17trampoline_kernelINS0_14default_configENS1_35radix_sort_onesweep_config_selectorIjNS0_10empty_typeEEEZZNS1_29radix_sort_onesweep_iterationIS3_Lb1EPKjPjPS5_SB_mNS0_19identity_decomposerENS1_16block_id_wrapperIjLb0EEEEE10hipError_tT1_PNSt15iterator_traitsISG_E10value_typeET2_T3_PNSH_ISM_E10value_typeET4_T5_PSR_SS_PNS1_23onesweep_lookback_stateEbbT6_jjT7_P12ihipStream_tbENKUlT_T0_SG_SL_E_clISA_SA_SB_SB_EEDaSZ_S10_SG_SL_EUlSZ_E_NS1_11comp_targetILNS1_3genE10ELNS1_11target_archE1201ELNS1_3gpuE5ELNS1_3repE0EEENS1_47radix_sort_onesweep_sort_config_static_selectorELNS0_4arch9wavefront6targetE0EEEvSG_
; %bb.0:
	.section	.rodata,"a",@progbits
	.p2align	6, 0x0
	.amdhsa_kernel _ZN7rocprim17ROCPRIM_400000_NS6detail17trampoline_kernelINS0_14default_configENS1_35radix_sort_onesweep_config_selectorIjNS0_10empty_typeEEEZZNS1_29radix_sort_onesweep_iterationIS3_Lb1EPKjPjPS5_SB_mNS0_19identity_decomposerENS1_16block_id_wrapperIjLb0EEEEE10hipError_tT1_PNSt15iterator_traitsISG_E10value_typeET2_T3_PNSH_ISM_E10value_typeET4_T5_PSR_SS_PNS1_23onesweep_lookback_stateEbbT6_jjT7_P12ihipStream_tbENKUlT_T0_SG_SL_E_clISA_SA_SB_SB_EEDaSZ_S10_SG_SL_EUlSZ_E_NS1_11comp_targetILNS1_3genE10ELNS1_11target_archE1201ELNS1_3gpuE5ELNS1_3repE0EEENS1_47radix_sort_onesweep_sort_config_static_selectorELNS0_4arch9wavefront6targetE0EEEvSG_
		.amdhsa_group_segment_fixed_size 0
		.amdhsa_private_segment_fixed_size 0
		.amdhsa_kernarg_size 88
		.amdhsa_user_sgpr_count 2
		.amdhsa_user_sgpr_dispatch_ptr 0
		.amdhsa_user_sgpr_queue_ptr 0
		.amdhsa_user_sgpr_kernarg_segment_ptr 1
		.amdhsa_user_sgpr_dispatch_id 0
		.amdhsa_user_sgpr_kernarg_preload_length 0
		.amdhsa_user_sgpr_kernarg_preload_offset 0
		.amdhsa_user_sgpr_private_segment_size 0
		.amdhsa_wavefront_size32 1
		.amdhsa_uses_dynamic_stack 0
		.amdhsa_enable_private_segment 0
		.amdhsa_system_sgpr_workgroup_id_x 1
		.amdhsa_system_sgpr_workgroup_id_y 0
		.amdhsa_system_sgpr_workgroup_id_z 0
		.amdhsa_system_sgpr_workgroup_info 0
		.amdhsa_system_vgpr_workitem_id 0
		.amdhsa_next_free_vgpr 1
		.amdhsa_next_free_sgpr 1
		.amdhsa_named_barrier_count 0
		.amdhsa_reserve_vcc 0
		.amdhsa_float_round_mode_32 0
		.amdhsa_float_round_mode_16_64 0
		.amdhsa_float_denorm_mode_32 3
		.amdhsa_float_denorm_mode_16_64 3
		.amdhsa_fp16_overflow 0
		.amdhsa_memory_ordered 1
		.amdhsa_forward_progress 1
		.amdhsa_inst_pref_size 0
		.amdhsa_round_robin_scheduling 0
		.amdhsa_exception_fp_ieee_invalid_op 0
		.amdhsa_exception_fp_denorm_src 0
		.amdhsa_exception_fp_ieee_div_zero 0
		.amdhsa_exception_fp_ieee_overflow 0
		.amdhsa_exception_fp_ieee_underflow 0
		.amdhsa_exception_fp_ieee_inexact 0
		.amdhsa_exception_int_div_zero 0
	.end_amdhsa_kernel
	.section	.text._ZN7rocprim17ROCPRIM_400000_NS6detail17trampoline_kernelINS0_14default_configENS1_35radix_sort_onesweep_config_selectorIjNS0_10empty_typeEEEZZNS1_29radix_sort_onesweep_iterationIS3_Lb1EPKjPjPS5_SB_mNS0_19identity_decomposerENS1_16block_id_wrapperIjLb0EEEEE10hipError_tT1_PNSt15iterator_traitsISG_E10value_typeET2_T3_PNSH_ISM_E10value_typeET4_T5_PSR_SS_PNS1_23onesweep_lookback_stateEbbT6_jjT7_P12ihipStream_tbENKUlT_T0_SG_SL_E_clISA_SA_SB_SB_EEDaSZ_S10_SG_SL_EUlSZ_E_NS1_11comp_targetILNS1_3genE10ELNS1_11target_archE1201ELNS1_3gpuE5ELNS1_3repE0EEENS1_47radix_sort_onesweep_sort_config_static_selectorELNS0_4arch9wavefront6targetE0EEEvSG_,"axG",@progbits,_ZN7rocprim17ROCPRIM_400000_NS6detail17trampoline_kernelINS0_14default_configENS1_35radix_sort_onesweep_config_selectorIjNS0_10empty_typeEEEZZNS1_29radix_sort_onesweep_iterationIS3_Lb1EPKjPjPS5_SB_mNS0_19identity_decomposerENS1_16block_id_wrapperIjLb0EEEEE10hipError_tT1_PNSt15iterator_traitsISG_E10value_typeET2_T3_PNSH_ISM_E10value_typeET4_T5_PSR_SS_PNS1_23onesweep_lookback_stateEbbT6_jjT7_P12ihipStream_tbENKUlT_T0_SG_SL_E_clISA_SA_SB_SB_EEDaSZ_S10_SG_SL_EUlSZ_E_NS1_11comp_targetILNS1_3genE10ELNS1_11target_archE1201ELNS1_3gpuE5ELNS1_3repE0EEENS1_47radix_sort_onesweep_sort_config_static_selectorELNS0_4arch9wavefront6targetE0EEEvSG_,comdat
.Lfunc_end2666:
	.size	_ZN7rocprim17ROCPRIM_400000_NS6detail17trampoline_kernelINS0_14default_configENS1_35radix_sort_onesweep_config_selectorIjNS0_10empty_typeEEEZZNS1_29radix_sort_onesweep_iterationIS3_Lb1EPKjPjPS5_SB_mNS0_19identity_decomposerENS1_16block_id_wrapperIjLb0EEEEE10hipError_tT1_PNSt15iterator_traitsISG_E10value_typeET2_T3_PNSH_ISM_E10value_typeET4_T5_PSR_SS_PNS1_23onesweep_lookback_stateEbbT6_jjT7_P12ihipStream_tbENKUlT_T0_SG_SL_E_clISA_SA_SB_SB_EEDaSZ_S10_SG_SL_EUlSZ_E_NS1_11comp_targetILNS1_3genE10ELNS1_11target_archE1201ELNS1_3gpuE5ELNS1_3repE0EEENS1_47radix_sort_onesweep_sort_config_static_selectorELNS0_4arch9wavefront6targetE0EEEvSG_, .Lfunc_end2666-_ZN7rocprim17ROCPRIM_400000_NS6detail17trampoline_kernelINS0_14default_configENS1_35radix_sort_onesweep_config_selectorIjNS0_10empty_typeEEEZZNS1_29radix_sort_onesweep_iterationIS3_Lb1EPKjPjPS5_SB_mNS0_19identity_decomposerENS1_16block_id_wrapperIjLb0EEEEE10hipError_tT1_PNSt15iterator_traitsISG_E10value_typeET2_T3_PNSH_ISM_E10value_typeET4_T5_PSR_SS_PNS1_23onesweep_lookback_stateEbbT6_jjT7_P12ihipStream_tbENKUlT_T0_SG_SL_E_clISA_SA_SB_SB_EEDaSZ_S10_SG_SL_EUlSZ_E_NS1_11comp_targetILNS1_3genE10ELNS1_11target_archE1201ELNS1_3gpuE5ELNS1_3repE0EEENS1_47radix_sort_onesweep_sort_config_static_selectorELNS0_4arch9wavefront6targetE0EEEvSG_
                                        ; -- End function
	.set _ZN7rocprim17ROCPRIM_400000_NS6detail17trampoline_kernelINS0_14default_configENS1_35radix_sort_onesweep_config_selectorIjNS0_10empty_typeEEEZZNS1_29radix_sort_onesweep_iterationIS3_Lb1EPKjPjPS5_SB_mNS0_19identity_decomposerENS1_16block_id_wrapperIjLb0EEEEE10hipError_tT1_PNSt15iterator_traitsISG_E10value_typeET2_T3_PNSH_ISM_E10value_typeET4_T5_PSR_SS_PNS1_23onesweep_lookback_stateEbbT6_jjT7_P12ihipStream_tbENKUlT_T0_SG_SL_E_clISA_SA_SB_SB_EEDaSZ_S10_SG_SL_EUlSZ_E_NS1_11comp_targetILNS1_3genE10ELNS1_11target_archE1201ELNS1_3gpuE5ELNS1_3repE0EEENS1_47radix_sort_onesweep_sort_config_static_selectorELNS0_4arch9wavefront6targetE0EEEvSG_.num_vgpr, 0
	.set _ZN7rocprim17ROCPRIM_400000_NS6detail17trampoline_kernelINS0_14default_configENS1_35radix_sort_onesweep_config_selectorIjNS0_10empty_typeEEEZZNS1_29radix_sort_onesweep_iterationIS3_Lb1EPKjPjPS5_SB_mNS0_19identity_decomposerENS1_16block_id_wrapperIjLb0EEEEE10hipError_tT1_PNSt15iterator_traitsISG_E10value_typeET2_T3_PNSH_ISM_E10value_typeET4_T5_PSR_SS_PNS1_23onesweep_lookback_stateEbbT6_jjT7_P12ihipStream_tbENKUlT_T0_SG_SL_E_clISA_SA_SB_SB_EEDaSZ_S10_SG_SL_EUlSZ_E_NS1_11comp_targetILNS1_3genE10ELNS1_11target_archE1201ELNS1_3gpuE5ELNS1_3repE0EEENS1_47radix_sort_onesweep_sort_config_static_selectorELNS0_4arch9wavefront6targetE0EEEvSG_.num_agpr, 0
	.set _ZN7rocprim17ROCPRIM_400000_NS6detail17trampoline_kernelINS0_14default_configENS1_35radix_sort_onesweep_config_selectorIjNS0_10empty_typeEEEZZNS1_29radix_sort_onesweep_iterationIS3_Lb1EPKjPjPS5_SB_mNS0_19identity_decomposerENS1_16block_id_wrapperIjLb0EEEEE10hipError_tT1_PNSt15iterator_traitsISG_E10value_typeET2_T3_PNSH_ISM_E10value_typeET4_T5_PSR_SS_PNS1_23onesweep_lookback_stateEbbT6_jjT7_P12ihipStream_tbENKUlT_T0_SG_SL_E_clISA_SA_SB_SB_EEDaSZ_S10_SG_SL_EUlSZ_E_NS1_11comp_targetILNS1_3genE10ELNS1_11target_archE1201ELNS1_3gpuE5ELNS1_3repE0EEENS1_47radix_sort_onesweep_sort_config_static_selectorELNS0_4arch9wavefront6targetE0EEEvSG_.numbered_sgpr, 0
	.set _ZN7rocprim17ROCPRIM_400000_NS6detail17trampoline_kernelINS0_14default_configENS1_35radix_sort_onesweep_config_selectorIjNS0_10empty_typeEEEZZNS1_29radix_sort_onesweep_iterationIS3_Lb1EPKjPjPS5_SB_mNS0_19identity_decomposerENS1_16block_id_wrapperIjLb0EEEEE10hipError_tT1_PNSt15iterator_traitsISG_E10value_typeET2_T3_PNSH_ISM_E10value_typeET4_T5_PSR_SS_PNS1_23onesweep_lookback_stateEbbT6_jjT7_P12ihipStream_tbENKUlT_T0_SG_SL_E_clISA_SA_SB_SB_EEDaSZ_S10_SG_SL_EUlSZ_E_NS1_11comp_targetILNS1_3genE10ELNS1_11target_archE1201ELNS1_3gpuE5ELNS1_3repE0EEENS1_47radix_sort_onesweep_sort_config_static_selectorELNS0_4arch9wavefront6targetE0EEEvSG_.num_named_barrier, 0
	.set _ZN7rocprim17ROCPRIM_400000_NS6detail17trampoline_kernelINS0_14default_configENS1_35radix_sort_onesweep_config_selectorIjNS0_10empty_typeEEEZZNS1_29radix_sort_onesweep_iterationIS3_Lb1EPKjPjPS5_SB_mNS0_19identity_decomposerENS1_16block_id_wrapperIjLb0EEEEE10hipError_tT1_PNSt15iterator_traitsISG_E10value_typeET2_T3_PNSH_ISM_E10value_typeET4_T5_PSR_SS_PNS1_23onesweep_lookback_stateEbbT6_jjT7_P12ihipStream_tbENKUlT_T0_SG_SL_E_clISA_SA_SB_SB_EEDaSZ_S10_SG_SL_EUlSZ_E_NS1_11comp_targetILNS1_3genE10ELNS1_11target_archE1201ELNS1_3gpuE5ELNS1_3repE0EEENS1_47radix_sort_onesweep_sort_config_static_selectorELNS0_4arch9wavefront6targetE0EEEvSG_.private_seg_size, 0
	.set _ZN7rocprim17ROCPRIM_400000_NS6detail17trampoline_kernelINS0_14default_configENS1_35radix_sort_onesweep_config_selectorIjNS0_10empty_typeEEEZZNS1_29radix_sort_onesweep_iterationIS3_Lb1EPKjPjPS5_SB_mNS0_19identity_decomposerENS1_16block_id_wrapperIjLb0EEEEE10hipError_tT1_PNSt15iterator_traitsISG_E10value_typeET2_T3_PNSH_ISM_E10value_typeET4_T5_PSR_SS_PNS1_23onesweep_lookback_stateEbbT6_jjT7_P12ihipStream_tbENKUlT_T0_SG_SL_E_clISA_SA_SB_SB_EEDaSZ_S10_SG_SL_EUlSZ_E_NS1_11comp_targetILNS1_3genE10ELNS1_11target_archE1201ELNS1_3gpuE5ELNS1_3repE0EEENS1_47radix_sort_onesweep_sort_config_static_selectorELNS0_4arch9wavefront6targetE0EEEvSG_.uses_vcc, 0
	.set _ZN7rocprim17ROCPRIM_400000_NS6detail17trampoline_kernelINS0_14default_configENS1_35radix_sort_onesweep_config_selectorIjNS0_10empty_typeEEEZZNS1_29radix_sort_onesweep_iterationIS3_Lb1EPKjPjPS5_SB_mNS0_19identity_decomposerENS1_16block_id_wrapperIjLb0EEEEE10hipError_tT1_PNSt15iterator_traitsISG_E10value_typeET2_T3_PNSH_ISM_E10value_typeET4_T5_PSR_SS_PNS1_23onesweep_lookback_stateEbbT6_jjT7_P12ihipStream_tbENKUlT_T0_SG_SL_E_clISA_SA_SB_SB_EEDaSZ_S10_SG_SL_EUlSZ_E_NS1_11comp_targetILNS1_3genE10ELNS1_11target_archE1201ELNS1_3gpuE5ELNS1_3repE0EEENS1_47radix_sort_onesweep_sort_config_static_selectorELNS0_4arch9wavefront6targetE0EEEvSG_.uses_flat_scratch, 0
	.set _ZN7rocprim17ROCPRIM_400000_NS6detail17trampoline_kernelINS0_14default_configENS1_35radix_sort_onesweep_config_selectorIjNS0_10empty_typeEEEZZNS1_29radix_sort_onesweep_iterationIS3_Lb1EPKjPjPS5_SB_mNS0_19identity_decomposerENS1_16block_id_wrapperIjLb0EEEEE10hipError_tT1_PNSt15iterator_traitsISG_E10value_typeET2_T3_PNSH_ISM_E10value_typeET4_T5_PSR_SS_PNS1_23onesweep_lookback_stateEbbT6_jjT7_P12ihipStream_tbENKUlT_T0_SG_SL_E_clISA_SA_SB_SB_EEDaSZ_S10_SG_SL_EUlSZ_E_NS1_11comp_targetILNS1_3genE10ELNS1_11target_archE1201ELNS1_3gpuE5ELNS1_3repE0EEENS1_47radix_sort_onesweep_sort_config_static_selectorELNS0_4arch9wavefront6targetE0EEEvSG_.has_dyn_sized_stack, 0
	.set _ZN7rocprim17ROCPRIM_400000_NS6detail17trampoline_kernelINS0_14default_configENS1_35radix_sort_onesweep_config_selectorIjNS0_10empty_typeEEEZZNS1_29radix_sort_onesweep_iterationIS3_Lb1EPKjPjPS5_SB_mNS0_19identity_decomposerENS1_16block_id_wrapperIjLb0EEEEE10hipError_tT1_PNSt15iterator_traitsISG_E10value_typeET2_T3_PNSH_ISM_E10value_typeET4_T5_PSR_SS_PNS1_23onesweep_lookback_stateEbbT6_jjT7_P12ihipStream_tbENKUlT_T0_SG_SL_E_clISA_SA_SB_SB_EEDaSZ_S10_SG_SL_EUlSZ_E_NS1_11comp_targetILNS1_3genE10ELNS1_11target_archE1201ELNS1_3gpuE5ELNS1_3repE0EEENS1_47radix_sort_onesweep_sort_config_static_selectorELNS0_4arch9wavefront6targetE0EEEvSG_.has_recursion, 0
	.set _ZN7rocprim17ROCPRIM_400000_NS6detail17trampoline_kernelINS0_14default_configENS1_35radix_sort_onesweep_config_selectorIjNS0_10empty_typeEEEZZNS1_29radix_sort_onesweep_iterationIS3_Lb1EPKjPjPS5_SB_mNS0_19identity_decomposerENS1_16block_id_wrapperIjLb0EEEEE10hipError_tT1_PNSt15iterator_traitsISG_E10value_typeET2_T3_PNSH_ISM_E10value_typeET4_T5_PSR_SS_PNS1_23onesweep_lookback_stateEbbT6_jjT7_P12ihipStream_tbENKUlT_T0_SG_SL_E_clISA_SA_SB_SB_EEDaSZ_S10_SG_SL_EUlSZ_E_NS1_11comp_targetILNS1_3genE10ELNS1_11target_archE1201ELNS1_3gpuE5ELNS1_3repE0EEENS1_47radix_sort_onesweep_sort_config_static_selectorELNS0_4arch9wavefront6targetE0EEEvSG_.has_indirect_call, 0
	.section	.AMDGPU.csdata,"",@progbits
; Kernel info:
; codeLenInByte = 0
; TotalNumSgprs: 0
; NumVgprs: 0
; ScratchSize: 0
; MemoryBound: 0
; FloatMode: 240
; IeeeMode: 1
; LDSByteSize: 0 bytes/workgroup (compile time only)
; SGPRBlocks: 0
; VGPRBlocks: 0
; NumSGPRsForWavesPerEU: 1
; NumVGPRsForWavesPerEU: 1
; NamedBarCnt: 0
; Occupancy: 16
; WaveLimiterHint : 0
; COMPUTE_PGM_RSRC2:SCRATCH_EN: 0
; COMPUTE_PGM_RSRC2:USER_SGPR: 2
; COMPUTE_PGM_RSRC2:TRAP_HANDLER: 0
; COMPUTE_PGM_RSRC2:TGID_X_EN: 1
; COMPUTE_PGM_RSRC2:TGID_Y_EN: 0
; COMPUTE_PGM_RSRC2:TGID_Z_EN: 0
; COMPUTE_PGM_RSRC2:TIDIG_COMP_CNT: 0
	.section	.text._ZN7rocprim17ROCPRIM_400000_NS6detail17trampoline_kernelINS0_14default_configENS1_35radix_sort_onesweep_config_selectorIjNS0_10empty_typeEEEZZNS1_29radix_sort_onesweep_iterationIS3_Lb1EPKjPjPS5_SB_mNS0_19identity_decomposerENS1_16block_id_wrapperIjLb0EEEEE10hipError_tT1_PNSt15iterator_traitsISG_E10value_typeET2_T3_PNSH_ISM_E10value_typeET4_T5_PSR_SS_PNS1_23onesweep_lookback_stateEbbT6_jjT7_P12ihipStream_tbENKUlT_T0_SG_SL_E_clISA_SA_SB_SB_EEDaSZ_S10_SG_SL_EUlSZ_E_NS1_11comp_targetILNS1_3genE9ELNS1_11target_archE1100ELNS1_3gpuE3ELNS1_3repE0EEENS1_47radix_sort_onesweep_sort_config_static_selectorELNS0_4arch9wavefront6targetE0EEEvSG_,"axG",@progbits,_ZN7rocprim17ROCPRIM_400000_NS6detail17trampoline_kernelINS0_14default_configENS1_35radix_sort_onesweep_config_selectorIjNS0_10empty_typeEEEZZNS1_29radix_sort_onesweep_iterationIS3_Lb1EPKjPjPS5_SB_mNS0_19identity_decomposerENS1_16block_id_wrapperIjLb0EEEEE10hipError_tT1_PNSt15iterator_traitsISG_E10value_typeET2_T3_PNSH_ISM_E10value_typeET4_T5_PSR_SS_PNS1_23onesweep_lookback_stateEbbT6_jjT7_P12ihipStream_tbENKUlT_T0_SG_SL_E_clISA_SA_SB_SB_EEDaSZ_S10_SG_SL_EUlSZ_E_NS1_11comp_targetILNS1_3genE9ELNS1_11target_archE1100ELNS1_3gpuE3ELNS1_3repE0EEENS1_47radix_sort_onesweep_sort_config_static_selectorELNS0_4arch9wavefront6targetE0EEEvSG_,comdat
	.protected	_ZN7rocprim17ROCPRIM_400000_NS6detail17trampoline_kernelINS0_14default_configENS1_35radix_sort_onesweep_config_selectorIjNS0_10empty_typeEEEZZNS1_29radix_sort_onesweep_iterationIS3_Lb1EPKjPjPS5_SB_mNS0_19identity_decomposerENS1_16block_id_wrapperIjLb0EEEEE10hipError_tT1_PNSt15iterator_traitsISG_E10value_typeET2_T3_PNSH_ISM_E10value_typeET4_T5_PSR_SS_PNS1_23onesweep_lookback_stateEbbT6_jjT7_P12ihipStream_tbENKUlT_T0_SG_SL_E_clISA_SA_SB_SB_EEDaSZ_S10_SG_SL_EUlSZ_E_NS1_11comp_targetILNS1_3genE9ELNS1_11target_archE1100ELNS1_3gpuE3ELNS1_3repE0EEENS1_47radix_sort_onesweep_sort_config_static_selectorELNS0_4arch9wavefront6targetE0EEEvSG_ ; -- Begin function _ZN7rocprim17ROCPRIM_400000_NS6detail17trampoline_kernelINS0_14default_configENS1_35radix_sort_onesweep_config_selectorIjNS0_10empty_typeEEEZZNS1_29radix_sort_onesweep_iterationIS3_Lb1EPKjPjPS5_SB_mNS0_19identity_decomposerENS1_16block_id_wrapperIjLb0EEEEE10hipError_tT1_PNSt15iterator_traitsISG_E10value_typeET2_T3_PNSH_ISM_E10value_typeET4_T5_PSR_SS_PNS1_23onesweep_lookback_stateEbbT6_jjT7_P12ihipStream_tbENKUlT_T0_SG_SL_E_clISA_SA_SB_SB_EEDaSZ_S10_SG_SL_EUlSZ_E_NS1_11comp_targetILNS1_3genE9ELNS1_11target_archE1100ELNS1_3gpuE3ELNS1_3repE0EEENS1_47radix_sort_onesweep_sort_config_static_selectorELNS0_4arch9wavefront6targetE0EEEvSG_
	.globl	_ZN7rocprim17ROCPRIM_400000_NS6detail17trampoline_kernelINS0_14default_configENS1_35radix_sort_onesweep_config_selectorIjNS0_10empty_typeEEEZZNS1_29radix_sort_onesweep_iterationIS3_Lb1EPKjPjPS5_SB_mNS0_19identity_decomposerENS1_16block_id_wrapperIjLb0EEEEE10hipError_tT1_PNSt15iterator_traitsISG_E10value_typeET2_T3_PNSH_ISM_E10value_typeET4_T5_PSR_SS_PNS1_23onesweep_lookback_stateEbbT6_jjT7_P12ihipStream_tbENKUlT_T0_SG_SL_E_clISA_SA_SB_SB_EEDaSZ_S10_SG_SL_EUlSZ_E_NS1_11comp_targetILNS1_3genE9ELNS1_11target_archE1100ELNS1_3gpuE3ELNS1_3repE0EEENS1_47radix_sort_onesweep_sort_config_static_selectorELNS0_4arch9wavefront6targetE0EEEvSG_
	.p2align	8
	.type	_ZN7rocprim17ROCPRIM_400000_NS6detail17trampoline_kernelINS0_14default_configENS1_35radix_sort_onesweep_config_selectorIjNS0_10empty_typeEEEZZNS1_29radix_sort_onesweep_iterationIS3_Lb1EPKjPjPS5_SB_mNS0_19identity_decomposerENS1_16block_id_wrapperIjLb0EEEEE10hipError_tT1_PNSt15iterator_traitsISG_E10value_typeET2_T3_PNSH_ISM_E10value_typeET4_T5_PSR_SS_PNS1_23onesweep_lookback_stateEbbT6_jjT7_P12ihipStream_tbENKUlT_T0_SG_SL_E_clISA_SA_SB_SB_EEDaSZ_S10_SG_SL_EUlSZ_E_NS1_11comp_targetILNS1_3genE9ELNS1_11target_archE1100ELNS1_3gpuE3ELNS1_3repE0EEENS1_47radix_sort_onesweep_sort_config_static_selectorELNS0_4arch9wavefront6targetE0EEEvSG_,@function
_ZN7rocprim17ROCPRIM_400000_NS6detail17trampoline_kernelINS0_14default_configENS1_35radix_sort_onesweep_config_selectorIjNS0_10empty_typeEEEZZNS1_29radix_sort_onesweep_iterationIS3_Lb1EPKjPjPS5_SB_mNS0_19identity_decomposerENS1_16block_id_wrapperIjLb0EEEEE10hipError_tT1_PNSt15iterator_traitsISG_E10value_typeET2_T3_PNSH_ISM_E10value_typeET4_T5_PSR_SS_PNS1_23onesweep_lookback_stateEbbT6_jjT7_P12ihipStream_tbENKUlT_T0_SG_SL_E_clISA_SA_SB_SB_EEDaSZ_S10_SG_SL_EUlSZ_E_NS1_11comp_targetILNS1_3genE9ELNS1_11target_archE1100ELNS1_3gpuE3ELNS1_3repE0EEENS1_47radix_sort_onesweep_sort_config_static_selectorELNS0_4arch9wavefront6targetE0EEEvSG_: ; @_ZN7rocprim17ROCPRIM_400000_NS6detail17trampoline_kernelINS0_14default_configENS1_35radix_sort_onesweep_config_selectorIjNS0_10empty_typeEEEZZNS1_29radix_sort_onesweep_iterationIS3_Lb1EPKjPjPS5_SB_mNS0_19identity_decomposerENS1_16block_id_wrapperIjLb0EEEEE10hipError_tT1_PNSt15iterator_traitsISG_E10value_typeET2_T3_PNSH_ISM_E10value_typeET4_T5_PSR_SS_PNS1_23onesweep_lookback_stateEbbT6_jjT7_P12ihipStream_tbENKUlT_T0_SG_SL_E_clISA_SA_SB_SB_EEDaSZ_S10_SG_SL_EUlSZ_E_NS1_11comp_targetILNS1_3genE9ELNS1_11target_archE1100ELNS1_3gpuE3ELNS1_3repE0EEENS1_47radix_sort_onesweep_sort_config_static_selectorELNS0_4arch9wavefront6targetE0EEEvSG_
; %bb.0:
	.section	.rodata,"a",@progbits
	.p2align	6, 0x0
	.amdhsa_kernel _ZN7rocprim17ROCPRIM_400000_NS6detail17trampoline_kernelINS0_14default_configENS1_35radix_sort_onesweep_config_selectorIjNS0_10empty_typeEEEZZNS1_29radix_sort_onesweep_iterationIS3_Lb1EPKjPjPS5_SB_mNS0_19identity_decomposerENS1_16block_id_wrapperIjLb0EEEEE10hipError_tT1_PNSt15iterator_traitsISG_E10value_typeET2_T3_PNSH_ISM_E10value_typeET4_T5_PSR_SS_PNS1_23onesweep_lookback_stateEbbT6_jjT7_P12ihipStream_tbENKUlT_T0_SG_SL_E_clISA_SA_SB_SB_EEDaSZ_S10_SG_SL_EUlSZ_E_NS1_11comp_targetILNS1_3genE9ELNS1_11target_archE1100ELNS1_3gpuE3ELNS1_3repE0EEENS1_47radix_sort_onesweep_sort_config_static_selectorELNS0_4arch9wavefront6targetE0EEEvSG_
		.amdhsa_group_segment_fixed_size 0
		.amdhsa_private_segment_fixed_size 0
		.amdhsa_kernarg_size 88
		.amdhsa_user_sgpr_count 2
		.amdhsa_user_sgpr_dispatch_ptr 0
		.amdhsa_user_sgpr_queue_ptr 0
		.amdhsa_user_sgpr_kernarg_segment_ptr 1
		.amdhsa_user_sgpr_dispatch_id 0
		.amdhsa_user_sgpr_kernarg_preload_length 0
		.amdhsa_user_sgpr_kernarg_preload_offset 0
		.amdhsa_user_sgpr_private_segment_size 0
		.amdhsa_wavefront_size32 1
		.amdhsa_uses_dynamic_stack 0
		.amdhsa_enable_private_segment 0
		.amdhsa_system_sgpr_workgroup_id_x 1
		.amdhsa_system_sgpr_workgroup_id_y 0
		.amdhsa_system_sgpr_workgroup_id_z 0
		.amdhsa_system_sgpr_workgroup_info 0
		.amdhsa_system_vgpr_workitem_id 0
		.amdhsa_next_free_vgpr 1
		.amdhsa_next_free_sgpr 1
		.amdhsa_named_barrier_count 0
		.amdhsa_reserve_vcc 0
		.amdhsa_float_round_mode_32 0
		.amdhsa_float_round_mode_16_64 0
		.amdhsa_float_denorm_mode_32 3
		.amdhsa_float_denorm_mode_16_64 3
		.amdhsa_fp16_overflow 0
		.amdhsa_memory_ordered 1
		.amdhsa_forward_progress 1
		.amdhsa_inst_pref_size 0
		.amdhsa_round_robin_scheduling 0
		.amdhsa_exception_fp_ieee_invalid_op 0
		.amdhsa_exception_fp_denorm_src 0
		.amdhsa_exception_fp_ieee_div_zero 0
		.amdhsa_exception_fp_ieee_overflow 0
		.amdhsa_exception_fp_ieee_underflow 0
		.amdhsa_exception_fp_ieee_inexact 0
		.amdhsa_exception_int_div_zero 0
	.end_amdhsa_kernel
	.section	.text._ZN7rocprim17ROCPRIM_400000_NS6detail17trampoline_kernelINS0_14default_configENS1_35radix_sort_onesweep_config_selectorIjNS0_10empty_typeEEEZZNS1_29radix_sort_onesweep_iterationIS3_Lb1EPKjPjPS5_SB_mNS0_19identity_decomposerENS1_16block_id_wrapperIjLb0EEEEE10hipError_tT1_PNSt15iterator_traitsISG_E10value_typeET2_T3_PNSH_ISM_E10value_typeET4_T5_PSR_SS_PNS1_23onesweep_lookback_stateEbbT6_jjT7_P12ihipStream_tbENKUlT_T0_SG_SL_E_clISA_SA_SB_SB_EEDaSZ_S10_SG_SL_EUlSZ_E_NS1_11comp_targetILNS1_3genE9ELNS1_11target_archE1100ELNS1_3gpuE3ELNS1_3repE0EEENS1_47radix_sort_onesweep_sort_config_static_selectorELNS0_4arch9wavefront6targetE0EEEvSG_,"axG",@progbits,_ZN7rocprim17ROCPRIM_400000_NS6detail17trampoline_kernelINS0_14default_configENS1_35radix_sort_onesweep_config_selectorIjNS0_10empty_typeEEEZZNS1_29radix_sort_onesweep_iterationIS3_Lb1EPKjPjPS5_SB_mNS0_19identity_decomposerENS1_16block_id_wrapperIjLb0EEEEE10hipError_tT1_PNSt15iterator_traitsISG_E10value_typeET2_T3_PNSH_ISM_E10value_typeET4_T5_PSR_SS_PNS1_23onesweep_lookback_stateEbbT6_jjT7_P12ihipStream_tbENKUlT_T0_SG_SL_E_clISA_SA_SB_SB_EEDaSZ_S10_SG_SL_EUlSZ_E_NS1_11comp_targetILNS1_3genE9ELNS1_11target_archE1100ELNS1_3gpuE3ELNS1_3repE0EEENS1_47radix_sort_onesweep_sort_config_static_selectorELNS0_4arch9wavefront6targetE0EEEvSG_,comdat
.Lfunc_end2667:
	.size	_ZN7rocprim17ROCPRIM_400000_NS6detail17trampoline_kernelINS0_14default_configENS1_35radix_sort_onesweep_config_selectorIjNS0_10empty_typeEEEZZNS1_29radix_sort_onesweep_iterationIS3_Lb1EPKjPjPS5_SB_mNS0_19identity_decomposerENS1_16block_id_wrapperIjLb0EEEEE10hipError_tT1_PNSt15iterator_traitsISG_E10value_typeET2_T3_PNSH_ISM_E10value_typeET4_T5_PSR_SS_PNS1_23onesweep_lookback_stateEbbT6_jjT7_P12ihipStream_tbENKUlT_T0_SG_SL_E_clISA_SA_SB_SB_EEDaSZ_S10_SG_SL_EUlSZ_E_NS1_11comp_targetILNS1_3genE9ELNS1_11target_archE1100ELNS1_3gpuE3ELNS1_3repE0EEENS1_47radix_sort_onesweep_sort_config_static_selectorELNS0_4arch9wavefront6targetE0EEEvSG_, .Lfunc_end2667-_ZN7rocprim17ROCPRIM_400000_NS6detail17trampoline_kernelINS0_14default_configENS1_35radix_sort_onesweep_config_selectorIjNS0_10empty_typeEEEZZNS1_29radix_sort_onesweep_iterationIS3_Lb1EPKjPjPS5_SB_mNS0_19identity_decomposerENS1_16block_id_wrapperIjLb0EEEEE10hipError_tT1_PNSt15iterator_traitsISG_E10value_typeET2_T3_PNSH_ISM_E10value_typeET4_T5_PSR_SS_PNS1_23onesweep_lookback_stateEbbT6_jjT7_P12ihipStream_tbENKUlT_T0_SG_SL_E_clISA_SA_SB_SB_EEDaSZ_S10_SG_SL_EUlSZ_E_NS1_11comp_targetILNS1_3genE9ELNS1_11target_archE1100ELNS1_3gpuE3ELNS1_3repE0EEENS1_47radix_sort_onesweep_sort_config_static_selectorELNS0_4arch9wavefront6targetE0EEEvSG_
                                        ; -- End function
	.set _ZN7rocprim17ROCPRIM_400000_NS6detail17trampoline_kernelINS0_14default_configENS1_35radix_sort_onesweep_config_selectorIjNS0_10empty_typeEEEZZNS1_29radix_sort_onesweep_iterationIS3_Lb1EPKjPjPS5_SB_mNS0_19identity_decomposerENS1_16block_id_wrapperIjLb0EEEEE10hipError_tT1_PNSt15iterator_traitsISG_E10value_typeET2_T3_PNSH_ISM_E10value_typeET4_T5_PSR_SS_PNS1_23onesweep_lookback_stateEbbT6_jjT7_P12ihipStream_tbENKUlT_T0_SG_SL_E_clISA_SA_SB_SB_EEDaSZ_S10_SG_SL_EUlSZ_E_NS1_11comp_targetILNS1_3genE9ELNS1_11target_archE1100ELNS1_3gpuE3ELNS1_3repE0EEENS1_47radix_sort_onesweep_sort_config_static_selectorELNS0_4arch9wavefront6targetE0EEEvSG_.num_vgpr, 0
	.set _ZN7rocprim17ROCPRIM_400000_NS6detail17trampoline_kernelINS0_14default_configENS1_35radix_sort_onesweep_config_selectorIjNS0_10empty_typeEEEZZNS1_29radix_sort_onesweep_iterationIS3_Lb1EPKjPjPS5_SB_mNS0_19identity_decomposerENS1_16block_id_wrapperIjLb0EEEEE10hipError_tT1_PNSt15iterator_traitsISG_E10value_typeET2_T3_PNSH_ISM_E10value_typeET4_T5_PSR_SS_PNS1_23onesweep_lookback_stateEbbT6_jjT7_P12ihipStream_tbENKUlT_T0_SG_SL_E_clISA_SA_SB_SB_EEDaSZ_S10_SG_SL_EUlSZ_E_NS1_11comp_targetILNS1_3genE9ELNS1_11target_archE1100ELNS1_3gpuE3ELNS1_3repE0EEENS1_47radix_sort_onesweep_sort_config_static_selectorELNS0_4arch9wavefront6targetE0EEEvSG_.num_agpr, 0
	.set _ZN7rocprim17ROCPRIM_400000_NS6detail17trampoline_kernelINS0_14default_configENS1_35radix_sort_onesweep_config_selectorIjNS0_10empty_typeEEEZZNS1_29radix_sort_onesweep_iterationIS3_Lb1EPKjPjPS5_SB_mNS0_19identity_decomposerENS1_16block_id_wrapperIjLb0EEEEE10hipError_tT1_PNSt15iterator_traitsISG_E10value_typeET2_T3_PNSH_ISM_E10value_typeET4_T5_PSR_SS_PNS1_23onesweep_lookback_stateEbbT6_jjT7_P12ihipStream_tbENKUlT_T0_SG_SL_E_clISA_SA_SB_SB_EEDaSZ_S10_SG_SL_EUlSZ_E_NS1_11comp_targetILNS1_3genE9ELNS1_11target_archE1100ELNS1_3gpuE3ELNS1_3repE0EEENS1_47radix_sort_onesweep_sort_config_static_selectorELNS0_4arch9wavefront6targetE0EEEvSG_.numbered_sgpr, 0
	.set _ZN7rocprim17ROCPRIM_400000_NS6detail17trampoline_kernelINS0_14default_configENS1_35radix_sort_onesweep_config_selectorIjNS0_10empty_typeEEEZZNS1_29radix_sort_onesweep_iterationIS3_Lb1EPKjPjPS5_SB_mNS0_19identity_decomposerENS1_16block_id_wrapperIjLb0EEEEE10hipError_tT1_PNSt15iterator_traitsISG_E10value_typeET2_T3_PNSH_ISM_E10value_typeET4_T5_PSR_SS_PNS1_23onesweep_lookback_stateEbbT6_jjT7_P12ihipStream_tbENKUlT_T0_SG_SL_E_clISA_SA_SB_SB_EEDaSZ_S10_SG_SL_EUlSZ_E_NS1_11comp_targetILNS1_3genE9ELNS1_11target_archE1100ELNS1_3gpuE3ELNS1_3repE0EEENS1_47radix_sort_onesweep_sort_config_static_selectorELNS0_4arch9wavefront6targetE0EEEvSG_.num_named_barrier, 0
	.set _ZN7rocprim17ROCPRIM_400000_NS6detail17trampoline_kernelINS0_14default_configENS1_35radix_sort_onesweep_config_selectorIjNS0_10empty_typeEEEZZNS1_29radix_sort_onesweep_iterationIS3_Lb1EPKjPjPS5_SB_mNS0_19identity_decomposerENS1_16block_id_wrapperIjLb0EEEEE10hipError_tT1_PNSt15iterator_traitsISG_E10value_typeET2_T3_PNSH_ISM_E10value_typeET4_T5_PSR_SS_PNS1_23onesweep_lookback_stateEbbT6_jjT7_P12ihipStream_tbENKUlT_T0_SG_SL_E_clISA_SA_SB_SB_EEDaSZ_S10_SG_SL_EUlSZ_E_NS1_11comp_targetILNS1_3genE9ELNS1_11target_archE1100ELNS1_3gpuE3ELNS1_3repE0EEENS1_47radix_sort_onesweep_sort_config_static_selectorELNS0_4arch9wavefront6targetE0EEEvSG_.private_seg_size, 0
	.set _ZN7rocprim17ROCPRIM_400000_NS6detail17trampoline_kernelINS0_14default_configENS1_35radix_sort_onesweep_config_selectorIjNS0_10empty_typeEEEZZNS1_29radix_sort_onesweep_iterationIS3_Lb1EPKjPjPS5_SB_mNS0_19identity_decomposerENS1_16block_id_wrapperIjLb0EEEEE10hipError_tT1_PNSt15iterator_traitsISG_E10value_typeET2_T3_PNSH_ISM_E10value_typeET4_T5_PSR_SS_PNS1_23onesweep_lookback_stateEbbT6_jjT7_P12ihipStream_tbENKUlT_T0_SG_SL_E_clISA_SA_SB_SB_EEDaSZ_S10_SG_SL_EUlSZ_E_NS1_11comp_targetILNS1_3genE9ELNS1_11target_archE1100ELNS1_3gpuE3ELNS1_3repE0EEENS1_47radix_sort_onesweep_sort_config_static_selectorELNS0_4arch9wavefront6targetE0EEEvSG_.uses_vcc, 0
	.set _ZN7rocprim17ROCPRIM_400000_NS6detail17trampoline_kernelINS0_14default_configENS1_35radix_sort_onesweep_config_selectorIjNS0_10empty_typeEEEZZNS1_29radix_sort_onesweep_iterationIS3_Lb1EPKjPjPS5_SB_mNS0_19identity_decomposerENS1_16block_id_wrapperIjLb0EEEEE10hipError_tT1_PNSt15iterator_traitsISG_E10value_typeET2_T3_PNSH_ISM_E10value_typeET4_T5_PSR_SS_PNS1_23onesweep_lookback_stateEbbT6_jjT7_P12ihipStream_tbENKUlT_T0_SG_SL_E_clISA_SA_SB_SB_EEDaSZ_S10_SG_SL_EUlSZ_E_NS1_11comp_targetILNS1_3genE9ELNS1_11target_archE1100ELNS1_3gpuE3ELNS1_3repE0EEENS1_47radix_sort_onesweep_sort_config_static_selectorELNS0_4arch9wavefront6targetE0EEEvSG_.uses_flat_scratch, 0
	.set _ZN7rocprim17ROCPRIM_400000_NS6detail17trampoline_kernelINS0_14default_configENS1_35radix_sort_onesweep_config_selectorIjNS0_10empty_typeEEEZZNS1_29radix_sort_onesweep_iterationIS3_Lb1EPKjPjPS5_SB_mNS0_19identity_decomposerENS1_16block_id_wrapperIjLb0EEEEE10hipError_tT1_PNSt15iterator_traitsISG_E10value_typeET2_T3_PNSH_ISM_E10value_typeET4_T5_PSR_SS_PNS1_23onesweep_lookback_stateEbbT6_jjT7_P12ihipStream_tbENKUlT_T0_SG_SL_E_clISA_SA_SB_SB_EEDaSZ_S10_SG_SL_EUlSZ_E_NS1_11comp_targetILNS1_3genE9ELNS1_11target_archE1100ELNS1_3gpuE3ELNS1_3repE0EEENS1_47radix_sort_onesweep_sort_config_static_selectorELNS0_4arch9wavefront6targetE0EEEvSG_.has_dyn_sized_stack, 0
	.set _ZN7rocprim17ROCPRIM_400000_NS6detail17trampoline_kernelINS0_14default_configENS1_35radix_sort_onesweep_config_selectorIjNS0_10empty_typeEEEZZNS1_29radix_sort_onesweep_iterationIS3_Lb1EPKjPjPS5_SB_mNS0_19identity_decomposerENS1_16block_id_wrapperIjLb0EEEEE10hipError_tT1_PNSt15iterator_traitsISG_E10value_typeET2_T3_PNSH_ISM_E10value_typeET4_T5_PSR_SS_PNS1_23onesweep_lookback_stateEbbT6_jjT7_P12ihipStream_tbENKUlT_T0_SG_SL_E_clISA_SA_SB_SB_EEDaSZ_S10_SG_SL_EUlSZ_E_NS1_11comp_targetILNS1_3genE9ELNS1_11target_archE1100ELNS1_3gpuE3ELNS1_3repE0EEENS1_47radix_sort_onesweep_sort_config_static_selectorELNS0_4arch9wavefront6targetE0EEEvSG_.has_recursion, 0
	.set _ZN7rocprim17ROCPRIM_400000_NS6detail17trampoline_kernelINS0_14default_configENS1_35radix_sort_onesweep_config_selectorIjNS0_10empty_typeEEEZZNS1_29radix_sort_onesweep_iterationIS3_Lb1EPKjPjPS5_SB_mNS0_19identity_decomposerENS1_16block_id_wrapperIjLb0EEEEE10hipError_tT1_PNSt15iterator_traitsISG_E10value_typeET2_T3_PNSH_ISM_E10value_typeET4_T5_PSR_SS_PNS1_23onesweep_lookback_stateEbbT6_jjT7_P12ihipStream_tbENKUlT_T0_SG_SL_E_clISA_SA_SB_SB_EEDaSZ_S10_SG_SL_EUlSZ_E_NS1_11comp_targetILNS1_3genE9ELNS1_11target_archE1100ELNS1_3gpuE3ELNS1_3repE0EEENS1_47radix_sort_onesweep_sort_config_static_selectorELNS0_4arch9wavefront6targetE0EEEvSG_.has_indirect_call, 0
	.section	.AMDGPU.csdata,"",@progbits
; Kernel info:
; codeLenInByte = 0
; TotalNumSgprs: 0
; NumVgprs: 0
; ScratchSize: 0
; MemoryBound: 0
; FloatMode: 240
; IeeeMode: 1
; LDSByteSize: 0 bytes/workgroup (compile time only)
; SGPRBlocks: 0
; VGPRBlocks: 0
; NumSGPRsForWavesPerEU: 1
; NumVGPRsForWavesPerEU: 1
; NamedBarCnt: 0
; Occupancy: 16
; WaveLimiterHint : 0
; COMPUTE_PGM_RSRC2:SCRATCH_EN: 0
; COMPUTE_PGM_RSRC2:USER_SGPR: 2
; COMPUTE_PGM_RSRC2:TRAP_HANDLER: 0
; COMPUTE_PGM_RSRC2:TGID_X_EN: 1
; COMPUTE_PGM_RSRC2:TGID_Y_EN: 0
; COMPUTE_PGM_RSRC2:TGID_Z_EN: 0
; COMPUTE_PGM_RSRC2:TIDIG_COMP_CNT: 0
	.section	.text._ZN7rocprim17ROCPRIM_400000_NS6detail17trampoline_kernelINS0_14default_configENS1_35radix_sort_onesweep_config_selectorIjNS0_10empty_typeEEEZZNS1_29radix_sort_onesweep_iterationIS3_Lb1EPKjPjPS5_SB_mNS0_19identity_decomposerENS1_16block_id_wrapperIjLb0EEEEE10hipError_tT1_PNSt15iterator_traitsISG_E10value_typeET2_T3_PNSH_ISM_E10value_typeET4_T5_PSR_SS_PNS1_23onesweep_lookback_stateEbbT6_jjT7_P12ihipStream_tbENKUlT_T0_SG_SL_E_clISA_SA_SB_SB_EEDaSZ_S10_SG_SL_EUlSZ_E_NS1_11comp_targetILNS1_3genE8ELNS1_11target_archE1030ELNS1_3gpuE2ELNS1_3repE0EEENS1_47radix_sort_onesweep_sort_config_static_selectorELNS0_4arch9wavefront6targetE0EEEvSG_,"axG",@progbits,_ZN7rocprim17ROCPRIM_400000_NS6detail17trampoline_kernelINS0_14default_configENS1_35radix_sort_onesweep_config_selectorIjNS0_10empty_typeEEEZZNS1_29radix_sort_onesweep_iterationIS3_Lb1EPKjPjPS5_SB_mNS0_19identity_decomposerENS1_16block_id_wrapperIjLb0EEEEE10hipError_tT1_PNSt15iterator_traitsISG_E10value_typeET2_T3_PNSH_ISM_E10value_typeET4_T5_PSR_SS_PNS1_23onesweep_lookback_stateEbbT6_jjT7_P12ihipStream_tbENKUlT_T0_SG_SL_E_clISA_SA_SB_SB_EEDaSZ_S10_SG_SL_EUlSZ_E_NS1_11comp_targetILNS1_3genE8ELNS1_11target_archE1030ELNS1_3gpuE2ELNS1_3repE0EEENS1_47radix_sort_onesweep_sort_config_static_selectorELNS0_4arch9wavefront6targetE0EEEvSG_,comdat
	.protected	_ZN7rocprim17ROCPRIM_400000_NS6detail17trampoline_kernelINS0_14default_configENS1_35radix_sort_onesweep_config_selectorIjNS0_10empty_typeEEEZZNS1_29radix_sort_onesweep_iterationIS3_Lb1EPKjPjPS5_SB_mNS0_19identity_decomposerENS1_16block_id_wrapperIjLb0EEEEE10hipError_tT1_PNSt15iterator_traitsISG_E10value_typeET2_T3_PNSH_ISM_E10value_typeET4_T5_PSR_SS_PNS1_23onesweep_lookback_stateEbbT6_jjT7_P12ihipStream_tbENKUlT_T0_SG_SL_E_clISA_SA_SB_SB_EEDaSZ_S10_SG_SL_EUlSZ_E_NS1_11comp_targetILNS1_3genE8ELNS1_11target_archE1030ELNS1_3gpuE2ELNS1_3repE0EEENS1_47radix_sort_onesweep_sort_config_static_selectorELNS0_4arch9wavefront6targetE0EEEvSG_ ; -- Begin function _ZN7rocprim17ROCPRIM_400000_NS6detail17trampoline_kernelINS0_14default_configENS1_35radix_sort_onesweep_config_selectorIjNS0_10empty_typeEEEZZNS1_29radix_sort_onesweep_iterationIS3_Lb1EPKjPjPS5_SB_mNS0_19identity_decomposerENS1_16block_id_wrapperIjLb0EEEEE10hipError_tT1_PNSt15iterator_traitsISG_E10value_typeET2_T3_PNSH_ISM_E10value_typeET4_T5_PSR_SS_PNS1_23onesweep_lookback_stateEbbT6_jjT7_P12ihipStream_tbENKUlT_T0_SG_SL_E_clISA_SA_SB_SB_EEDaSZ_S10_SG_SL_EUlSZ_E_NS1_11comp_targetILNS1_3genE8ELNS1_11target_archE1030ELNS1_3gpuE2ELNS1_3repE0EEENS1_47radix_sort_onesweep_sort_config_static_selectorELNS0_4arch9wavefront6targetE0EEEvSG_
	.globl	_ZN7rocprim17ROCPRIM_400000_NS6detail17trampoline_kernelINS0_14default_configENS1_35radix_sort_onesweep_config_selectorIjNS0_10empty_typeEEEZZNS1_29radix_sort_onesweep_iterationIS3_Lb1EPKjPjPS5_SB_mNS0_19identity_decomposerENS1_16block_id_wrapperIjLb0EEEEE10hipError_tT1_PNSt15iterator_traitsISG_E10value_typeET2_T3_PNSH_ISM_E10value_typeET4_T5_PSR_SS_PNS1_23onesweep_lookback_stateEbbT6_jjT7_P12ihipStream_tbENKUlT_T0_SG_SL_E_clISA_SA_SB_SB_EEDaSZ_S10_SG_SL_EUlSZ_E_NS1_11comp_targetILNS1_3genE8ELNS1_11target_archE1030ELNS1_3gpuE2ELNS1_3repE0EEENS1_47radix_sort_onesweep_sort_config_static_selectorELNS0_4arch9wavefront6targetE0EEEvSG_
	.p2align	8
	.type	_ZN7rocprim17ROCPRIM_400000_NS6detail17trampoline_kernelINS0_14default_configENS1_35radix_sort_onesweep_config_selectorIjNS0_10empty_typeEEEZZNS1_29radix_sort_onesweep_iterationIS3_Lb1EPKjPjPS5_SB_mNS0_19identity_decomposerENS1_16block_id_wrapperIjLb0EEEEE10hipError_tT1_PNSt15iterator_traitsISG_E10value_typeET2_T3_PNSH_ISM_E10value_typeET4_T5_PSR_SS_PNS1_23onesweep_lookback_stateEbbT6_jjT7_P12ihipStream_tbENKUlT_T0_SG_SL_E_clISA_SA_SB_SB_EEDaSZ_S10_SG_SL_EUlSZ_E_NS1_11comp_targetILNS1_3genE8ELNS1_11target_archE1030ELNS1_3gpuE2ELNS1_3repE0EEENS1_47radix_sort_onesweep_sort_config_static_selectorELNS0_4arch9wavefront6targetE0EEEvSG_,@function
_ZN7rocprim17ROCPRIM_400000_NS6detail17trampoline_kernelINS0_14default_configENS1_35radix_sort_onesweep_config_selectorIjNS0_10empty_typeEEEZZNS1_29radix_sort_onesweep_iterationIS3_Lb1EPKjPjPS5_SB_mNS0_19identity_decomposerENS1_16block_id_wrapperIjLb0EEEEE10hipError_tT1_PNSt15iterator_traitsISG_E10value_typeET2_T3_PNSH_ISM_E10value_typeET4_T5_PSR_SS_PNS1_23onesweep_lookback_stateEbbT6_jjT7_P12ihipStream_tbENKUlT_T0_SG_SL_E_clISA_SA_SB_SB_EEDaSZ_S10_SG_SL_EUlSZ_E_NS1_11comp_targetILNS1_3genE8ELNS1_11target_archE1030ELNS1_3gpuE2ELNS1_3repE0EEENS1_47radix_sort_onesweep_sort_config_static_selectorELNS0_4arch9wavefront6targetE0EEEvSG_: ; @_ZN7rocprim17ROCPRIM_400000_NS6detail17trampoline_kernelINS0_14default_configENS1_35radix_sort_onesweep_config_selectorIjNS0_10empty_typeEEEZZNS1_29radix_sort_onesweep_iterationIS3_Lb1EPKjPjPS5_SB_mNS0_19identity_decomposerENS1_16block_id_wrapperIjLb0EEEEE10hipError_tT1_PNSt15iterator_traitsISG_E10value_typeET2_T3_PNSH_ISM_E10value_typeET4_T5_PSR_SS_PNS1_23onesweep_lookback_stateEbbT6_jjT7_P12ihipStream_tbENKUlT_T0_SG_SL_E_clISA_SA_SB_SB_EEDaSZ_S10_SG_SL_EUlSZ_E_NS1_11comp_targetILNS1_3genE8ELNS1_11target_archE1030ELNS1_3gpuE2ELNS1_3repE0EEENS1_47radix_sort_onesweep_sort_config_static_selectorELNS0_4arch9wavefront6targetE0EEEvSG_
; %bb.0:
	.section	.rodata,"a",@progbits
	.p2align	6, 0x0
	.amdhsa_kernel _ZN7rocprim17ROCPRIM_400000_NS6detail17trampoline_kernelINS0_14default_configENS1_35radix_sort_onesweep_config_selectorIjNS0_10empty_typeEEEZZNS1_29radix_sort_onesweep_iterationIS3_Lb1EPKjPjPS5_SB_mNS0_19identity_decomposerENS1_16block_id_wrapperIjLb0EEEEE10hipError_tT1_PNSt15iterator_traitsISG_E10value_typeET2_T3_PNSH_ISM_E10value_typeET4_T5_PSR_SS_PNS1_23onesweep_lookback_stateEbbT6_jjT7_P12ihipStream_tbENKUlT_T0_SG_SL_E_clISA_SA_SB_SB_EEDaSZ_S10_SG_SL_EUlSZ_E_NS1_11comp_targetILNS1_3genE8ELNS1_11target_archE1030ELNS1_3gpuE2ELNS1_3repE0EEENS1_47radix_sort_onesweep_sort_config_static_selectorELNS0_4arch9wavefront6targetE0EEEvSG_
		.amdhsa_group_segment_fixed_size 0
		.amdhsa_private_segment_fixed_size 0
		.amdhsa_kernarg_size 88
		.amdhsa_user_sgpr_count 2
		.amdhsa_user_sgpr_dispatch_ptr 0
		.amdhsa_user_sgpr_queue_ptr 0
		.amdhsa_user_sgpr_kernarg_segment_ptr 1
		.amdhsa_user_sgpr_dispatch_id 0
		.amdhsa_user_sgpr_kernarg_preload_length 0
		.amdhsa_user_sgpr_kernarg_preload_offset 0
		.amdhsa_user_sgpr_private_segment_size 0
		.amdhsa_wavefront_size32 1
		.amdhsa_uses_dynamic_stack 0
		.amdhsa_enable_private_segment 0
		.amdhsa_system_sgpr_workgroup_id_x 1
		.amdhsa_system_sgpr_workgroup_id_y 0
		.amdhsa_system_sgpr_workgroup_id_z 0
		.amdhsa_system_sgpr_workgroup_info 0
		.amdhsa_system_vgpr_workitem_id 0
		.amdhsa_next_free_vgpr 1
		.amdhsa_next_free_sgpr 1
		.amdhsa_named_barrier_count 0
		.amdhsa_reserve_vcc 0
		.amdhsa_float_round_mode_32 0
		.amdhsa_float_round_mode_16_64 0
		.amdhsa_float_denorm_mode_32 3
		.amdhsa_float_denorm_mode_16_64 3
		.amdhsa_fp16_overflow 0
		.amdhsa_memory_ordered 1
		.amdhsa_forward_progress 1
		.amdhsa_inst_pref_size 0
		.amdhsa_round_robin_scheduling 0
		.amdhsa_exception_fp_ieee_invalid_op 0
		.amdhsa_exception_fp_denorm_src 0
		.amdhsa_exception_fp_ieee_div_zero 0
		.amdhsa_exception_fp_ieee_overflow 0
		.amdhsa_exception_fp_ieee_underflow 0
		.amdhsa_exception_fp_ieee_inexact 0
		.amdhsa_exception_int_div_zero 0
	.end_amdhsa_kernel
	.section	.text._ZN7rocprim17ROCPRIM_400000_NS6detail17trampoline_kernelINS0_14default_configENS1_35radix_sort_onesweep_config_selectorIjNS0_10empty_typeEEEZZNS1_29radix_sort_onesweep_iterationIS3_Lb1EPKjPjPS5_SB_mNS0_19identity_decomposerENS1_16block_id_wrapperIjLb0EEEEE10hipError_tT1_PNSt15iterator_traitsISG_E10value_typeET2_T3_PNSH_ISM_E10value_typeET4_T5_PSR_SS_PNS1_23onesweep_lookback_stateEbbT6_jjT7_P12ihipStream_tbENKUlT_T0_SG_SL_E_clISA_SA_SB_SB_EEDaSZ_S10_SG_SL_EUlSZ_E_NS1_11comp_targetILNS1_3genE8ELNS1_11target_archE1030ELNS1_3gpuE2ELNS1_3repE0EEENS1_47radix_sort_onesweep_sort_config_static_selectorELNS0_4arch9wavefront6targetE0EEEvSG_,"axG",@progbits,_ZN7rocprim17ROCPRIM_400000_NS6detail17trampoline_kernelINS0_14default_configENS1_35radix_sort_onesweep_config_selectorIjNS0_10empty_typeEEEZZNS1_29radix_sort_onesweep_iterationIS3_Lb1EPKjPjPS5_SB_mNS0_19identity_decomposerENS1_16block_id_wrapperIjLb0EEEEE10hipError_tT1_PNSt15iterator_traitsISG_E10value_typeET2_T3_PNSH_ISM_E10value_typeET4_T5_PSR_SS_PNS1_23onesweep_lookback_stateEbbT6_jjT7_P12ihipStream_tbENKUlT_T0_SG_SL_E_clISA_SA_SB_SB_EEDaSZ_S10_SG_SL_EUlSZ_E_NS1_11comp_targetILNS1_3genE8ELNS1_11target_archE1030ELNS1_3gpuE2ELNS1_3repE0EEENS1_47radix_sort_onesweep_sort_config_static_selectorELNS0_4arch9wavefront6targetE0EEEvSG_,comdat
.Lfunc_end2668:
	.size	_ZN7rocprim17ROCPRIM_400000_NS6detail17trampoline_kernelINS0_14default_configENS1_35radix_sort_onesweep_config_selectorIjNS0_10empty_typeEEEZZNS1_29radix_sort_onesweep_iterationIS3_Lb1EPKjPjPS5_SB_mNS0_19identity_decomposerENS1_16block_id_wrapperIjLb0EEEEE10hipError_tT1_PNSt15iterator_traitsISG_E10value_typeET2_T3_PNSH_ISM_E10value_typeET4_T5_PSR_SS_PNS1_23onesweep_lookback_stateEbbT6_jjT7_P12ihipStream_tbENKUlT_T0_SG_SL_E_clISA_SA_SB_SB_EEDaSZ_S10_SG_SL_EUlSZ_E_NS1_11comp_targetILNS1_3genE8ELNS1_11target_archE1030ELNS1_3gpuE2ELNS1_3repE0EEENS1_47radix_sort_onesweep_sort_config_static_selectorELNS0_4arch9wavefront6targetE0EEEvSG_, .Lfunc_end2668-_ZN7rocprim17ROCPRIM_400000_NS6detail17trampoline_kernelINS0_14default_configENS1_35radix_sort_onesweep_config_selectorIjNS0_10empty_typeEEEZZNS1_29radix_sort_onesweep_iterationIS3_Lb1EPKjPjPS5_SB_mNS0_19identity_decomposerENS1_16block_id_wrapperIjLb0EEEEE10hipError_tT1_PNSt15iterator_traitsISG_E10value_typeET2_T3_PNSH_ISM_E10value_typeET4_T5_PSR_SS_PNS1_23onesweep_lookback_stateEbbT6_jjT7_P12ihipStream_tbENKUlT_T0_SG_SL_E_clISA_SA_SB_SB_EEDaSZ_S10_SG_SL_EUlSZ_E_NS1_11comp_targetILNS1_3genE8ELNS1_11target_archE1030ELNS1_3gpuE2ELNS1_3repE0EEENS1_47radix_sort_onesweep_sort_config_static_selectorELNS0_4arch9wavefront6targetE0EEEvSG_
                                        ; -- End function
	.set _ZN7rocprim17ROCPRIM_400000_NS6detail17trampoline_kernelINS0_14default_configENS1_35radix_sort_onesweep_config_selectorIjNS0_10empty_typeEEEZZNS1_29radix_sort_onesweep_iterationIS3_Lb1EPKjPjPS5_SB_mNS0_19identity_decomposerENS1_16block_id_wrapperIjLb0EEEEE10hipError_tT1_PNSt15iterator_traitsISG_E10value_typeET2_T3_PNSH_ISM_E10value_typeET4_T5_PSR_SS_PNS1_23onesweep_lookback_stateEbbT6_jjT7_P12ihipStream_tbENKUlT_T0_SG_SL_E_clISA_SA_SB_SB_EEDaSZ_S10_SG_SL_EUlSZ_E_NS1_11comp_targetILNS1_3genE8ELNS1_11target_archE1030ELNS1_3gpuE2ELNS1_3repE0EEENS1_47radix_sort_onesweep_sort_config_static_selectorELNS0_4arch9wavefront6targetE0EEEvSG_.num_vgpr, 0
	.set _ZN7rocprim17ROCPRIM_400000_NS6detail17trampoline_kernelINS0_14default_configENS1_35radix_sort_onesweep_config_selectorIjNS0_10empty_typeEEEZZNS1_29radix_sort_onesweep_iterationIS3_Lb1EPKjPjPS5_SB_mNS0_19identity_decomposerENS1_16block_id_wrapperIjLb0EEEEE10hipError_tT1_PNSt15iterator_traitsISG_E10value_typeET2_T3_PNSH_ISM_E10value_typeET4_T5_PSR_SS_PNS1_23onesweep_lookback_stateEbbT6_jjT7_P12ihipStream_tbENKUlT_T0_SG_SL_E_clISA_SA_SB_SB_EEDaSZ_S10_SG_SL_EUlSZ_E_NS1_11comp_targetILNS1_3genE8ELNS1_11target_archE1030ELNS1_3gpuE2ELNS1_3repE0EEENS1_47radix_sort_onesweep_sort_config_static_selectorELNS0_4arch9wavefront6targetE0EEEvSG_.num_agpr, 0
	.set _ZN7rocprim17ROCPRIM_400000_NS6detail17trampoline_kernelINS0_14default_configENS1_35radix_sort_onesweep_config_selectorIjNS0_10empty_typeEEEZZNS1_29radix_sort_onesweep_iterationIS3_Lb1EPKjPjPS5_SB_mNS0_19identity_decomposerENS1_16block_id_wrapperIjLb0EEEEE10hipError_tT1_PNSt15iterator_traitsISG_E10value_typeET2_T3_PNSH_ISM_E10value_typeET4_T5_PSR_SS_PNS1_23onesweep_lookback_stateEbbT6_jjT7_P12ihipStream_tbENKUlT_T0_SG_SL_E_clISA_SA_SB_SB_EEDaSZ_S10_SG_SL_EUlSZ_E_NS1_11comp_targetILNS1_3genE8ELNS1_11target_archE1030ELNS1_3gpuE2ELNS1_3repE0EEENS1_47radix_sort_onesweep_sort_config_static_selectorELNS0_4arch9wavefront6targetE0EEEvSG_.numbered_sgpr, 0
	.set _ZN7rocprim17ROCPRIM_400000_NS6detail17trampoline_kernelINS0_14default_configENS1_35radix_sort_onesweep_config_selectorIjNS0_10empty_typeEEEZZNS1_29radix_sort_onesweep_iterationIS3_Lb1EPKjPjPS5_SB_mNS0_19identity_decomposerENS1_16block_id_wrapperIjLb0EEEEE10hipError_tT1_PNSt15iterator_traitsISG_E10value_typeET2_T3_PNSH_ISM_E10value_typeET4_T5_PSR_SS_PNS1_23onesweep_lookback_stateEbbT6_jjT7_P12ihipStream_tbENKUlT_T0_SG_SL_E_clISA_SA_SB_SB_EEDaSZ_S10_SG_SL_EUlSZ_E_NS1_11comp_targetILNS1_3genE8ELNS1_11target_archE1030ELNS1_3gpuE2ELNS1_3repE0EEENS1_47radix_sort_onesweep_sort_config_static_selectorELNS0_4arch9wavefront6targetE0EEEvSG_.num_named_barrier, 0
	.set _ZN7rocprim17ROCPRIM_400000_NS6detail17trampoline_kernelINS0_14default_configENS1_35radix_sort_onesweep_config_selectorIjNS0_10empty_typeEEEZZNS1_29radix_sort_onesweep_iterationIS3_Lb1EPKjPjPS5_SB_mNS0_19identity_decomposerENS1_16block_id_wrapperIjLb0EEEEE10hipError_tT1_PNSt15iterator_traitsISG_E10value_typeET2_T3_PNSH_ISM_E10value_typeET4_T5_PSR_SS_PNS1_23onesweep_lookback_stateEbbT6_jjT7_P12ihipStream_tbENKUlT_T0_SG_SL_E_clISA_SA_SB_SB_EEDaSZ_S10_SG_SL_EUlSZ_E_NS1_11comp_targetILNS1_3genE8ELNS1_11target_archE1030ELNS1_3gpuE2ELNS1_3repE0EEENS1_47radix_sort_onesweep_sort_config_static_selectorELNS0_4arch9wavefront6targetE0EEEvSG_.private_seg_size, 0
	.set _ZN7rocprim17ROCPRIM_400000_NS6detail17trampoline_kernelINS0_14default_configENS1_35radix_sort_onesweep_config_selectorIjNS0_10empty_typeEEEZZNS1_29radix_sort_onesweep_iterationIS3_Lb1EPKjPjPS5_SB_mNS0_19identity_decomposerENS1_16block_id_wrapperIjLb0EEEEE10hipError_tT1_PNSt15iterator_traitsISG_E10value_typeET2_T3_PNSH_ISM_E10value_typeET4_T5_PSR_SS_PNS1_23onesweep_lookback_stateEbbT6_jjT7_P12ihipStream_tbENKUlT_T0_SG_SL_E_clISA_SA_SB_SB_EEDaSZ_S10_SG_SL_EUlSZ_E_NS1_11comp_targetILNS1_3genE8ELNS1_11target_archE1030ELNS1_3gpuE2ELNS1_3repE0EEENS1_47radix_sort_onesweep_sort_config_static_selectorELNS0_4arch9wavefront6targetE0EEEvSG_.uses_vcc, 0
	.set _ZN7rocprim17ROCPRIM_400000_NS6detail17trampoline_kernelINS0_14default_configENS1_35radix_sort_onesweep_config_selectorIjNS0_10empty_typeEEEZZNS1_29radix_sort_onesweep_iterationIS3_Lb1EPKjPjPS5_SB_mNS0_19identity_decomposerENS1_16block_id_wrapperIjLb0EEEEE10hipError_tT1_PNSt15iterator_traitsISG_E10value_typeET2_T3_PNSH_ISM_E10value_typeET4_T5_PSR_SS_PNS1_23onesweep_lookback_stateEbbT6_jjT7_P12ihipStream_tbENKUlT_T0_SG_SL_E_clISA_SA_SB_SB_EEDaSZ_S10_SG_SL_EUlSZ_E_NS1_11comp_targetILNS1_3genE8ELNS1_11target_archE1030ELNS1_3gpuE2ELNS1_3repE0EEENS1_47radix_sort_onesweep_sort_config_static_selectorELNS0_4arch9wavefront6targetE0EEEvSG_.uses_flat_scratch, 0
	.set _ZN7rocprim17ROCPRIM_400000_NS6detail17trampoline_kernelINS0_14default_configENS1_35radix_sort_onesweep_config_selectorIjNS0_10empty_typeEEEZZNS1_29radix_sort_onesweep_iterationIS3_Lb1EPKjPjPS5_SB_mNS0_19identity_decomposerENS1_16block_id_wrapperIjLb0EEEEE10hipError_tT1_PNSt15iterator_traitsISG_E10value_typeET2_T3_PNSH_ISM_E10value_typeET4_T5_PSR_SS_PNS1_23onesweep_lookback_stateEbbT6_jjT7_P12ihipStream_tbENKUlT_T0_SG_SL_E_clISA_SA_SB_SB_EEDaSZ_S10_SG_SL_EUlSZ_E_NS1_11comp_targetILNS1_3genE8ELNS1_11target_archE1030ELNS1_3gpuE2ELNS1_3repE0EEENS1_47radix_sort_onesweep_sort_config_static_selectorELNS0_4arch9wavefront6targetE0EEEvSG_.has_dyn_sized_stack, 0
	.set _ZN7rocprim17ROCPRIM_400000_NS6detail17trampoline_kernelINS0_14default_configENS1_35radix_sort_onesweep_config_selectorIjNS0_10empty_typeEEEZZNS1_29radix_sort_onesweep_iterationIS3_Lb1EPKjPjPS5_SB_mNS0_19identity_decomposerENS1_16block_id_wrapperIjLb0EEEEE10hipError_tT1_PNSt15iterator_traitsISG_E10value_typeET2_T3_PNSH_ISM_E10value_typeET4_T5_PSR_SS_PNS1_23onesweep_lookback_stateEbbT6_jjT7_P12ihipStream_tbENKUlT_T0_SG_SL_E_clISA_SA_SB_SB_EEDaSZ_S10_SG_SL_EUlSZ_E_NS1_11comp_targetILNS1_3genE8ELNS1_11target_archE1030ELNS1_3gpuE2ELNS1_3repE0EEENS1_47radix_sort_onesweep_sort_config_static_selectorELNS0_4arch9wavefront6targetE0EEEvSG_.has_recursion, 0
	.set _ZN7rocprim17ROCPRIM_400000_NS6detail17trampoline_kernelINS0_14default_configENS1_35radix_sort_onesweep_config_selectorIjNS0_10empty_typeEEEZZNS1_29radix_sort_onesweep_iterationIS3_Lb1EPKjPjPS5_SB_mNS0_19identity_decomposerENS1_16block_id_wrapperIjLb0EEEEE10hipError_tT1_PNSt15iterator_traitsISG_E10value_typeET2_T3_PNSH_ISM_E10value_typeET4_T5_PSR_SS_PNS1_23onesweep_lookback_stateEbbT6_jjT7_P12ihipStream_tbENKUlT_T0_SG_SL_E_clISA_SA_SB_SB_EEDaSZ_S10_SG_SL_EUlSZ_E_NS1_11comp_targetILNS1_3genE8ELNS1_11target_archE1030ELNS1_3gpuE2ELNS1_3repE0EEENS1_47radix_sort_onesweep_sort_config_static_selectorELNS0_4arch9wavefront6targetE0EEEvSG_.has_indirect_call, 0
	.section	.AMDGPU.csdata,"",@progbits
; Kernel info:
; codeLenInByte = 0
; TotalNumSgprs: 0
; NumVgprs: 0
; ScratchSize: 0
; MemoryBound: 0
; FloatMode: 240
; IeeeMode: 1
; LDSByteSize: 0 bytes/workgroup (compile time only)
; SGPRBlocks: 0
; VGPRBlocks: 0
; NumSGPRsForWavesPerEU: 1
; NumVGPRsForWavesPerEU: 1
; NamedBarCnt: 0
; Occupancy: 16
; WaveLimiterHint : 0
; COMPUTE_PGM_RSRC2:SCRATCH_EN: 0
; COMPUTE_PGM_RSRC2:USER_SGPR: 2
; COMPUTE_PGM_RSRC2:TRAP_HANDLER: 0
; COMPUTE_PGM_RSRC2:TGID_X_EN: 1
; COMPUTE_PGM_RSRC2:TGID_Y_EN: 0
; COMPUTE_PGM_RSRC2:TGID_Z_EN: 0
; COMPUTE_PGM_RSRC2:TIDIG_COMP_CNT: 0
	.section	.text._ZN7rocprim17ROCPRIM_400000_NS6detail17trampoline_kernelINS0_13kernel_configILj256ELj4ELj4294967295EEENS1_37radix_sort_block_sort_config_selectorIjNS0_10empty_typeEEEZNS1_21radix_sort_block_sortIS4_Lb0EPKjPjPS6_SC_NS0_19identity_decomposerEEE10hipError_tT1_T2_T3_T4_jRjT5_jjP12ihipStream_tbEUlT_E_NS1_11comp_targetILNS1_3genE0ELNS1_11target_archE4294967295ELNS1_3gpuE0ELNS1_3repE0EEENS1_44radix_sort_block_sort_config_static_selectorELNS0_4arch9wavefront6targetE0EEEvSF_,"axG",@progbits,_ZN7rocprim17ROCPRIM_400000_NS6detail17trampoline_kernelINS0_13kernel_configILj256ELj4ELj4294967295EEENS1_37radix_sort_block_sort_config_selectorIjNS0_10empty_typeEEEZNS1_21radix_sort_block_sortIS4_Lb0EPKjPjPS6_SC_NS0_19identity_decomposerEEE10hipError_tT1_T2_T3_T4_jRjT5_jjP12ihipStream_tbEUlT_E_NS1_11comp_targetILNS1_3genE0ELNS1_11target_archE4294967295ELNS1_3gpuE0ELNS1_3repE0EEENS1_44radix_sort_block_sort_config_static_selectorELNS0_4arch9wavefront6targetE0EEEvSF_,comdat
	.protected	_ZN7rocprim17ROCPRIM_400000_NS6detail17trampoline_kernelINS0_13kernel_configILj256ELj4ELj4294967295EEENS1_37radix_sort_block_sort_config_selectorIjNS0_10empty_typeEEEZNS1_21radix_sort_block_sortIS4_Lb0EPKjPjPS6_SC_NS0_19identity_decomposerEEE10hipError_tT1_T2_T3_T4_jRjT5_jjP12ihipStream_tbEUlT_E_NS1_11comp_targetILNS1_3genE0ELNS1_11target_archE4294967295ELNS1_3gpuE0ELNS1_3repE0EEENS1_44radix_sort_block_sort_config_static_selectorELNS0_4arch9wavefront6targetE0EEEvSF_ ; -- Begin function _ZN7rocprim17ROCPRIM_400000_NS6detail17trampoline_kernelINS0_13kernel_configILj256ELj4ELj4294967295EEENS1_37radix_sort_block_sort_config_selectorIjNS0_10empty_typeEEEZNS1_21radix_sort_block_sortIS4_Lb0EPKjPjPS6_SC_NS0_19identity_decomposerEEE10hipError_tT1_T2_T3_T4_jRjT5_jjP12ihipStream_tbEUlT_E_NS1_11comp_targetILNS1_3genE0ELNS1_11target_archE4294967295ELNS1_3gpuE0ELNS1_3repE0EEENS1_44radix_sort_block_sort_config_static_selectorELNS0_4arch9wavefront6targetE0EEEvSF_
	.globl	_ZN7rocprim17ROCPRIM_400000_NS6detail17trampoline_kernelINS0_13kernel_configILj256ELj4ELj4294967295EEENS1_37radix_sort_block_sort_config_selectorIjNS0_10empty_typeEEEZNS1_21radix_sort_block_sortIS4_Lb0EPKjPjPS6_SC_NS0_19identity_decomposerEEE10hipError_tT1_T2_T3_T4_jRjT5_jjP12ihipStream_tbEUlT_E_NS1_11comp_targetILNS1_3genE0ELNS1_11target_archE4294967295ELNS1_3gpuE0ELNS1_3repE0EEENS1_44radix_sort_block_sort_config_static_selectorELNS0_4arch9wavefront6targetE0EEEvSF_
	.p2align	8
	.type	_ZN7rocprim17ROCPRIM_400000_NS6detail17trampoline_kernelINS0_13kernel_configILj256ELj4ELj4294967295EEENS1_37radix_sort_block_sort_config_selectorIjNS0_10empty_typeEEEZNS1_21radix_sort_block_sortIS4_Lb0EPKjPjPS6_SC_NS0_19identity_decomposerEEE10hipError_tT1_T2_T3_T4_jRjT5_jjP12ihipStream_tbEUlT_E_NS1_11comp_targetILNS1_3genE0ELNS1_11target_archE4294967295ELNS1_3gpuE0ELNS1_3repE0EEENS1_44radix_sort_block_sort_config_static_selectorELNS0_4arch9wavefront6targetE0EEEvSF_,@function
_ZN7rocprim17ROCPRIM_400000_NS6detail17trampoline_kernelINS0_13kernel_configILj256ELj4ELj4294967295EEENS1_37radix_sort_block_sort_config_selectorIjNS0_10empty_typeEEEZNS1_21radix_sort_block_sortIS4_Lb0EPKjPjPS6_SC_NS0_19identity_decomposerEEE10hipError_tT1_T2_T3_T4_jRjT5_jjP12ihipStream_tbEUlT_E_NS1_11comp_targetILNS1_3genE0ELNS1_11target_archE4294967295ELNS1_3gpuE0ELNS1_3repE0EEENS1_44radix_sort_block_sort_config_static_selectorELNS0_4arch9wavefront6targetE0EEEvSF_: ; @_ZN7rocprim17ROCPRIM_400000_NS6detail17trampoline_kernelINS0_13kernel_configILj256ELj4ELj4294967295EEENS1_37radix_sort_block_sort_config_selectorIjNS0_10empty_typeEEEZNS1_21radix_sort_block_sortIS4_Lb0EPKjPjPS6_SC_NS0_19identity_decomposerEEE10hipError_tT1_T2_T3_T4_jRjT5_jjP12ihipStream_tbEUlT_E_NS1_11comp_targetILNS1_3genE0ELNS1_11target_archE4294967295ELNS1_3gpuE0ELNS1_3repE0EEENS1_44radix_sort_block_sort_config_static_selectorELNS0_4arch9wavefront6targetE0EEEvSF_
; %bb.0:
	s_clause 0x1
	s_load_b32 s4, s[0:1], 0x20
	s_load_b128 s[16:19], s[0:1], 0x0
	s_bfe_u32 s5, ttmp6, 0x4000c
	s_and_b32 s2, ttmp6, 15
	s_add_co_i32 s5, s5, 1
	s_getreg_b32 s6, hwreg(HW_REG_IB_STS2, 6, 4)
	s_mul_i32 s5, ttmp9, s5
	v_and_b32_e32 v18, 0x3ff, v0
	s_add_co_i32 s2, s2, s5
	s_cmp_eq_u32 s6, 0
	v_mbcnt_lo_u32_b32 v1, -1, 0
	s_cselect_b32 s5, ttmp9, s2
	v_dual_mov_b32 v3, 0 :: v_dual_lshlrev_b32 v12, 2, v18
	s_lshl_b32 s2, s5, 10
	s_mov_b32 s3, 0
	v_lshlrev_b32_e32 v2, 2, v1
	s_delay_alu instid0(VALU_DEP_2) | instskip(SKIP_2) | instid1(SALU_CYCLE_1)
	v_and_b32_e32 v10, 0x380, v12
	s_wait_kmcnt 0x0
	s_lshr_b32 s8, s4, 10
	s_cmp_lg_u32 s5, s8
	s_cselect_b32 s25, -1, 0
	s_lshl_b64 s[20:21], s[2:3], 2
	s_cmp_eq_u32 s5, s8
	s_add_nc_u64 s[6:7], s[16:17], s[20:21]
	s_mov_b32 s5, -1
	v_add_nc_u64_e32 v[4:5], s[6:7], v[2:3]
	v_lshlrev_b32_e32 v2, 2, v10
	s_delay_alu instid0(VALU_DEP_1)
	v_add_nc_u64_e32 v[8:9], v[4:5], v[2:3]
                                        ; implicit-def: $vgpr4_vgpr5_vgpr6_vgpr7
	s_cbranch_scc0 .LBB2669_24
; %bb.1:
	s_load_b64 s[22:23], s[0:1], 0x28
	s_and_not1_b32 vcc_lo, exec_lo, s5
	s_sub_co_i32 s24, s4, s2
	s_cbranch_vccz .LBB2669_25
.LBB2669_2:
	s_and_saveexec_b32 s2, s3
	s_cbranch_execz .LBB2669_4
.LBB2669_3:
	global_load_b32 v7, v[8:9], off offset:384
.LBB2669_4:
	s_wait_xcnt 0x0
	s_or_b32 exec_lo, exec_lo, s2
	s_load_b32 s6, s[0:1], 0x3c
	v_bfe_u32 v3, v0, 10, 10
	v_bfe_u32 v0, v0, 20, 10
	s_get_pc_i64 s[4:5]
	s_add_nc_u64 s[4:5], s[4:5], _ZN7rocprim17ROCPRIM_400000_NS16block_radix_sortIjLj256ELj4ENS0_10empty_typeELj1ELj1ELj0ELNS0_26block_radix_rank_algorithmE1ELNS0_18block_padding_hintE2ELNS0_4arch9wavefront6targetE0EE19radix_bits_per_passE@rel64+4
	v_and_b32_e32 v10, 0x3e0, v18
	v_sub_co_u32 v11, s2, v1, 1
	s_load_b32 s26, s[4:5], 0x0
	v_dual_lshrrev_b32 v14, 3, v18 :: v_dual_bitop2_b32 v9, 16, v1 bitop3:0x40
	v_lshl_add_u32 v19, v1, 2, v2
	v_min_u32_e32 v2, 0xe0, v10
	v_cmp_gt_i32_e32 vcc_lo, 0, v11
	v_and_b32_e32 v15, 7, v1
	s_mov_b32 s14, 0
	v_dual_lshlrev_b32 v13, 5, v18 :: v_dual_bitop2_b32 v8, 15, v1 bitop3:0x40
	v_mul_i32_i24_e32 v20, 0xffffffe4, v18
	v_cndmask_b32_e32 v1, v11, v1, vcc_lo
	v_and_b32_e32 v21, 0x7c, v14
	s_wait_kmcnt 0x0
	s_lshr_b32 s7, s6, 16
	s_and_b32 s6, s6, 0xffff
	v_mad_u32_u24 v0, v0, s7, v3
	s_mov_b32 s15, s14
	s_mov_b32 s16, s14
	;; [unrolled: 1-line block ×3, first 2 shown]
	v_cmp_eq_u32_e64 s9, 0, v15
	v_mad_u32 v0, v0, s6, v18
	v_or_b32_e32 v2, 31, v2
	v_cmp_lt_u32_e64 s10, 1, v15
	v_cmp_lt_u32_e64 s11, 3, v15
	v_mov_b64_e32 v[14:15], s[14:15]
	v_mov_b64_e32 v[16:17], s[16:17]
	v_cmp_gt_u32_e64 s0, 8, v18
	v_cmp_lt_u32_e64 s1, 31, v18
	v_cmp_eq_u32_e64 s3, 0, v18
	v_cmp_eq_u32_e64 s4, 0, v8
	v_cmp_lt_u32_e64 s5, 1, v8
	v_lshrrev_b32_e32 v0, 3, v0
	v_cmp_lt_u32_e64 s6, 3, v8
	v_cmp_lt_u32_e64 s7, 7, v8
	v_cmp_eq_u32_e64 s8, 0, v9
	v_dual_lshlrev_b32 v22, 2, v1 :: v_dual_add_nc_u32 v20, v13, v20
	v_add_nc_u32_e32 v23, -4, v21
	v_cmp_eq_u32_e64 s12, v18, v2
	v_and_b32_e32 v24, 0x1ffffffc, v0
	s_add_co_i32 s27, s23, s22
	s_branch .LBB2669_6
.LBB2669_5:                             ;   in Loop: Header=BB2669_6 Depth=1
	s_and_not1_b32 vcc_lo, exec_lo, s13
	s_cbranch_vccz .LBB2669_22
.LBB2669_6:                             ; =>This Inner Loop Header: Depth=1
	s_wait_loadcnt 0x0
	v_mov_b64_e32 v[0:1], v[4:5]
	v_mov_b64_e32 v[2:3], v[6:7]
	s_min_u32 s13, s26, s23
	ds_store_2addr_b64 v13, v[14:15], v[16:17] offset0:4 offset1:5
	ds_store_2addr_b64 v13, v[14:15], v[16:17] offset0:6 offset1:7
	s_lshl_b32 s28, -1, s13
	s_wait_dscnt 0x0
	s_barrier_signal -1
	v_lshrrev_b32_e32 v4, s22, v0
	s_barrier_wait -1
	; wave barrier
	s_delay_alu instid0(VALU_DEP_1) | instskip(NEXT) | instid1(VALU_DEP_1)
	v_bitop3_b32 v6, v4, s28, v4 bitop3:0x30
	v_lshlrev_b32_e32 v7, 30, v6
	v_bitop3_b32 v5, v4, 1, s28 bitop3:0x40
	v_dual_lshlrev_b32 v8, 29, v6 :: v_dual_lshlrev_b32 v9, 28, v6
	v_dual_lshlrev_b32 v10, 27, v6 :: v_dual_lshlrev_b32 v11, 26, v6
	s_delay_alu instid0(VALU_DEP_3) | instskip(NEXT) | instid1(VALU_DEP_1)
	v_add_co_u32 v4, s13, v5, -1
	v_cndmask_b32_e64 v5, 0, 1, s13
	v_cmp_gt_i32_e64 s13, 0, v7
	v_cmp_gt_i32_e64 s14, 0, v8
	v_dual_lshlrev_b32 v25, 25, v6 :: v_dual_lshlrev_b32 v26, 24, v6
	s_delay_alu instid0(VALU_DEP_4)
	v_cmp_ne_u32_e32 vcc_lo, 0, v5
	v_not_b32_e32 v5, v7
	v_not_b32_e32 v7, v8
	;; [unrolled: 1-line block ×3, first 2 shown]
	v_cmp_gt_i32_e64 s15, 0, v9
	v_cmp_gt_i32_e64 s16, 0, v10
	v_dual_ashrrev_i32 v5, 31, v5 :: v_dual_bitop2_b32 v4, vcc_lo, v4 bitop3:0x14
	v_not_b32_e32 v9, v10
	v_dual_ashrrev_i32 v7, 31, v7 :: v_dual_ashrrev_i32 v8, 31, v8
	v_not_b32_e32 v10, v11
	s_delay_alu instid0(VALU_DEP_4) | instskip(SKIP_1) | instid1(VALU_DEP_4)
	v_xor_b32_e32 v5, s13, v5
	v_cmp_gt_i32_e64 s17, 0, v11
	v_dual_ashrrev_i32 v9, 31, v9 :: v_dual_bitop2_b32 v7, s14, v7 bitop3:0x14
	v_not_b32_e32 v11, v26
	v_ashrrev_i32_e32 v10, 31, v10
	v_bitop3_b32 v4, v4, v5, exec_lo bitop3:0x80
	v_not_b32_e32 v5, v25
	v_xor_b32_e32 v8, s15, v8
	v_xor_b32_e32 v9, s16, v9
	v_cmp_gt_i32_e32 vcc_lo, 0, v25
	v_cmp_gt_i32_e64 s13, 0, v26
	v_ashrrev_i32_e32 v5, 31, v5
	v_bitop3_b32 v4, v4, v8, v7 bitop3:0x80
	v_dual_ashrrev_i32 v7, 31, v11 :: v_dual_bitop2_b32 v8, s17, v10 bitop3:0x14
	s_delay_alu instid0(VALU_DEP_3) | instskip(NEXT) | instid1(VALU_DEP_2)
	v_xor_b32_e32 v5, vcc_lo, v5
	v_xor_b32_e32 v7, s13, v7
	s_delay_alu instid0(VALU_DEP_3) | instskip(NEXT) | instid1(VALU_DEP_1)
	v_bitop3_b32 v4, v4, v8, v9 bitop3:0x80
	v_bitop3_b32 v4, v4, v7, v5 bitop3:0x80
	v_lshlrev_b32_e32 v5, 5, v6
	s_delay_alu instid0(VALU_DEP_2) | instskip(SKIP_1) | instid1(VALU_DEP_3)
	v_mbcnt_lo_u32_b32 v25, v4, 0
	v_cmp_ne_u32_e64 s13, 0, v4
	v_add_nc_u32_e32 v26, v24, v5
	s_delay_alu instid0(VALU_DEP_3) | instskip(SKIP_1) | instid1(SALU_CYCLE_1)
	v_cmp_eq_u32_e32 vcc_lo, 0, v25
	s_and_b32 s14, s13, vcc_lo
	s_and_saveexec_b32 s13, s14
; %bb.7:                                ;   in Loop: Header=BB2669_6 Depth=1
	v_bcnt_u32_b32 v4, v4, 0
	ds_store_b32 v26, v4 offset:32
; %bb.8:                                ;   in Loop: Header=BB2669_6 Depth=1
	s_or_b32 exec_lo, exec_lo, s13
	v_lshrrev_b32_e32 v4, s22, v1
	s_not_b32 s17, s28
	; wave barrier
	s_delay_alu instid0(VALU_DEP_1) | instid1(SALU_CYCLE_1)
	v_and_b32_e32 v5, s17, v4
	v_bitop3_b32 v4, v4, 1, s17 bitop3:0x80
	s_delay_alu instid0(VALU_DEP_2) | instskip(NEXT) | instid1(VALU_DEP_2)
	v_dual_lshlrev_b32 v8, 30, v5 :: v_dual_lshlrev_b32 v9, 29, v5
	v_add_co_u32 v4, s13, v4, -1
	s_delay_alu instid0(VALU_DEP_1) | instskip(SKIP_1) | instid1(VALU_DEP_4)
	v_cndmask_b32_e64 v7, 0, 1, s13
	v_lshlrev_b32_e32 v10, 28, v5
	v_cmp_gt_i32_e64 s13, 0, v8
	v_cmp_gt_i32_e64 s14, 0, v9
	s_delay_alu instid0(VALU_DEP_4) | instskip(SKIP_3) | instid1(VALU_DEP_2)
	v_cmp_ne_u32_e32 vcc_lo, 0, v7
	v_not_b32_e32 v7, v8
	v_not_b32_e32 v8, v9
	;; [unrolled: 1-line block ×3, first 2 shown]
	v_dual_ashrrev_i32 v7, 31, v7 :: v_dual_ashrrev_i32 v8, 31, v8
	s_delay_alu instid0(VALU_DEP_2)
	v_ashrrev_i32_e32 v9, 31, v9
	v_dual_lshlrev_b32 v6, 5, v5 :: v_dual_lshlrev_b32 v11, 27, v5
	v_lshlrev_b32_e32 v27, 26, v5
	v_cmp_gt_i32_e64 s15, 0, v10
	v_xor_b32_e32 v7, s13, v7
	v_xor_b32_e32 v8, s14, v8
	v_not_b32_e32 v10, v11
	v_xor_b32_e32 v4, vcc_lo, v4
	v_cmp_gt_i32_e64 s16, 0, v11
	v_not_b32_e32 v11, v27
	v_xor_b32_e32 v9, s15, v9
	v_cmp_gt_i32_e32 vcc_lo, 0, v27
	v_bitop3_b32 v4, v4, v7, exec_lo bitop3:0x80
	v_dual_ashrrev_i32 v7, 31, v10 :: v_dual_lshlrev_b32 v10, 25, v5
	v_dual_lshlrev_b32 v5, 24, v5 :: v_dual_ashrrev_i32 v11, 31, v11
	s_delay_alu instid0(VALU_DEP_3) | instskip(NEXT) | instid1(VALU_DEP_3)
	v_bitop3_b32 v4, v4, v9, v8 bitop3:0x80
	v_xor_b32_e32 v7, s16, v7
	s_delay_alu instid0(VALU_DEP_4) | instskip(NEXT) | instid1(VALU_DEP_4)
	v_not_b32_e32 v8, v10
	v_not_b32_e32 v9, v5
	v_xor_b32_e32 v11, vcc_lo, v11
	v_cmp_gt_i32_e32 vcc_lo, 0, v10
	v_cmp_gt_i32_e64 s13, 0, v5
	s_delay_alu instid0(VALU_DEP_4) | instskip(SKIP_2) | instid1(VALU_DEP_3)
	v_dual_ashrrev_i32 v8, 31, v8 :: v_dual_ashrrev_i32 v5, 31, v9
	v_add_nc_u32_e32 v28, v24, v6
	v_bitop3_b32 v4, v4, v11, v7 bitop3:0x80
	v_xor_b32_e32 v6, vcc_lo, v8
	s_delay_alu instid0(VALU_DEP_4) | instskip(SKIP_2) | instid1(VALU_DEP_1)
	v_xor_b32_e32 v5, s13, v5
	ds_load_b32 v27, v28 offset:32
	; wave barrier
	v_bitop3_b32 v4, v4, v5, v6 bitop3:0x80
	v_mbcnt_lo_u32_b32 v29, v4, 0
	v_cmp_ne_u32_e64 s13, 0, v4
	s_delay_alu instid0(VALU_DEP_2) | instskip(SKIP_1) | instid1(SALU_CYCLE_1)
	v_cmp_eq_u32_e32 vcc_lo, 0, v29
	s_and_b32 s14, s13, vcc_lo
	s_and_saveexec_b32 s13, s14
	s_cbranch_execz .LBB2669_10
; %bb.9:                                ;   in Loop: Header=BB2669_6 Depth=1
	s_wait_dscnt 0x0
	v_bcnt_u32_b32 v4, v4, v27
	ds_store_b32 v28, v4 offset:32
.LBB2669_10:                            ;   in Loop: Header=BB2669_6 Depth=1
	s_or_b32 exec_lo, exec_lo, s13
	v_lshrrev_b32_e32 v4, s22, v2
	; wave barrier
	s_delay_alu instid0(VALU_DEP_1) | instskip(NEXT) | instid1(VALU_DEP_1)
	v_and_b32_e32 v5, s17, v4
	v_lshlrev_b32_e32 v6, 5, v5
	v_bitop3_b32 v4, v4, 1, s17 bitop3:0x80
	v_lshlrev_b32_e32 v8, 30, v5
	s_delay_alu instid0(VALU_DEP_2) | instskip(NEXT) | instid1(VALU_DEP_1)
	v_add_co_u32 v4, s13, v4, -1
	v_cndmask_b32_e64 v7, 0, 1, s13
	s_delay_alu instid0(VALU_DEP_1) | instskip(NEXT) | instid1(VALU_DEP_4)
	v_cmp_ne_u32_e32 vcc_lo, 0, v7
	v_not_b32_e32 v7, v8
	s_delay_alu instid0(VALU_DEP_1) | instskip(SKIP_4) | instid1(VALU_DEP_4)
	v_dual_ashrrev_i32 v7, 31, v7 :: v_dual_bitop2_b32 v4, vcc_lo, v4 bitop3:0x14
	v_dual_lshlrev_b32 v9, 29, v5 :: v_dual_lshlrev_b32 v10, 28, v5
	v_dual_lshlrev_b32 v11, 27, v5 :: v_dual_lshlrev_b32 v30, 26, v5
	v_lshlrev_b32_e32 v31, 25, v5
	v_cmp_gt_i32_e64 s13, 0, v8
	v_cmp_gt_i32_e64 s14, 0, v9
	v_not_b32_e32 v8, v9
	v_not_b32_e32 v9, v10
	v_lshlrev_b32_e32 v5, 24, v5
	v_cmp_gt_i32_e64 s15, 0, v10
	v_not_b32_e32 v32, v30
	s_delay_alu instid0(VALU_DEP_4) | instskip(SKIP_3) | instid1(VALU_DEP_4)
	v_dual_ashrrev_i32 v8, 31, v8 :: v_dual_ashrrev_i32 v9, 31, v9
	v_xor_b32_e32 v7, s13, v7
	v_not_b32_e32 v10, v11
	v_cmp_gt_i32_e32 vcc_lo, 0, v11
	v_xor_b32_e32 v8, s14, v8
	v_xor_b32_e32 v9, s15, v9
	v_bitop3_b32 v4, v4, v7, exec_lo bitop3:0x80
	v_ashrrev_i32_e32 v7, 31, v10
	v_cmp_gt_i32_e64 s13, 0, v30
	v_ashrrev_i32_e32 v10, 31, v32
	s_delay_alu instid0(VALU_DEP_4)
	v_bitop3_b32 v4, v4, v9, v8 bitop3:0x80
	v_not_b32_e32 v8, v31
	v_not_b32_e32 v9, v5
	v_xor_b32_e32 v7, vcc_lo, v7
	v_xor_b32_e32 v10, s13, v10
	v_cmp_gt_i32_e32 vcc_lo, 0, v31
	v_ashrrev_i32_e32 v8, 31, v8
	v_cmp_gt_i32_e64 s13, 0, v5
	v_dual_ashrrev_i32 v5, 31, v9 :: v_dual_add_nc_u32 v32, v24, v6
	v_bitop3_b32 v4, v4, v10, v7 bitop3:0x80
	s_delay_alu instid0(VALU_DEP_4) | instskip(NEXT) | instid1(VALU_DEP_3)
	v_xor_b32_e32 v6, vcc_lo, v8
	v_xor_b32_e32 v5, s13, v5
	ds_load_b32 v30, v32 offset:32
	; wave barrier
	v_bitop3_b32 v4, v4, v5, v6 bitop3:0x80
	s_delay_alu instid0(VALU_DEP_1) | instskip(SKIP_1) | instid1(VALU_DEP_2)
	v_mbcnt_lo_u32_b32 v31, v4, 0
	v_cmp_ne_u32_e64 s13, 0, v4
	v_cmp_eq_u32_e32 vcc_lo, 0, v31
	s_and_b32 s14, s13, vcc_lo
	s_delay_alu instid0(SALU_CYCLE_1)
	s_and_saveexec_b32 s13, s14
	s_cbranch_execz .LBB2669_12
; %bb.11:                               ;   in Loop: Header=BB2669_6 Depth=1
	s_wait_dscnt 0x0
	v_bcnt_u32_b32 v4, v4, v30
	ds_store_b32 v32, v4 offset:32
.LBB2669_12:                            ;   in Loop: Header=BB2669_6 Depth=1
	s_or_b32 exec_lo, exec_lo, s13
	v_lshrrev_b32_e32 v4, s22, v3
	; wave barrier
	s_delay_alu instid0(VALU_DEP_1) | instskip(NEXT) | instid1(VALU_DEP_1)
	v_and_b32_e32 v5, s17, v4
	v_lshlrev_b32_e32 v6, 5, v5
	v_bitop3_b32 v4, v4, 1, s17 bitop3:0x80
	v_lshlrev_b32_e32 v8, 30, v5
	s_delay_alu instid0(VALU_DEP_2) | instskip(NEXT) | instid1(VALU_DEP_1)
	v_add_co_u32 v4, s13, v4, -1
	v_cndmask_b32_e64 v7, 0, 1, s13
	s_delay_alu instid0(VALU_DEP_1) | instskip(NEXT) | instid1(VALU_DEP_4)
	v_cmp_ne_u32_e32 vcc_lo, 0, v7
	v_not_b32_e32 v7, v8
	s_delay_alu instid0(VALU_DEP_1) | instskip(SKIP_4) | instid1(VALU_DEP_4)
	v_dual_ashrrev_i32 v7, 31, v7 :: v_dual_bitop2_b32 v4, vcc_lo, v4 bitop3:0x14
	v_dual_lshlrev_b32 v9, 29, v5 :: v_dual_lshlrev_b32 v10, 28, v5
	v_lshlrev_b32_e32 v11, 27, v5
	v_cmp_gt_i32_e64 s13, 0, v8
	v_dual_lshlrev_b32 v33, 26, v5 :: v_dual_lshlrev_b32 v34, 25, v5
	v_cmp_gt_i32_e64 s14, 0, v9
	v_not_b32_e32 v8, v9
	v_not_b32_e32 v9, v10
	v_lshlrev_b32_e32 v5, 24, v5
	v_cmp_gt_i32_e64 s15, 0, v10
	s_delay_alu instid0(VALU_DEP_4) | instskip(NEXT) | instid1(VALU_DEP_4)
	v_dual_ashrrev_i32 v8, 31, v8 :: v_dual_bitop2_b32 v7, s13, v7 bitop3:0x14
	v_ashrrev_i32_e32 v9, 31, v9
	v_not_b32_e32 v10, v11
	v_not_b32_e32 v35, v33
	s_delay_alu instid0(VALU_DEP_4)
	v_bitop3_b32 v4, v4, v7, exec_lo bitop3:0x80
	v_xor_b32_e32 v8, s14, v8
	v_xor_b32_e32 v9, s15, v9
	v_cmp_gt_i32_e32 vcc_lo, 0, v11
	v_ashrrev_i32_e32 v7, 31, v10
	v_cmp_gt_i32_e64 s13, 0, v33
	v_ashrrev_i32_e32 v10, 31, v35
	v_bitop3_b32 v4, v4, v9, v8 bitop3:0x80
	v_not_b32_e32 v8, v34
	v_not_b32_e32 v9, v5
	v_xor_b32_e32 v7, vcc_lo, v7
	v_xor_b32_e32 v10, s13, v10
	v_cmp_gt_i32_e32 vcc_lo, 0, v34
	v_ashrrev_i32_e32 v8, 31, v8
	v_cmp_gt_i32_e64 s13, 0, v5
	v_dual_ashrrev_i32 v5, 31, v9 :: v_dual_add_nc_u32 v35, v24, v6
	v_bitop3_b32 v4, v4, v10, v7 bitop3:0x80
	s_delay_alu instid0(VALU_DEP_4) | instskip(NEXT) | instid1(VALU_DEP_3)
	v_xor_b32_e32 v6, vcc_lo, v8
	v_xor_b32_e32 v5, s13, v5
	ds_load_b32 v33, v35 offset:32
	; wave barrier
	v_bitop3_b32 v4, v4, v5, v6 bitop3:0x80
	s_delay_alu instid0(VALU_DEP_1) | instskip(SKIP_1) | instid1(VALU_DEP_2)
	v_mbcnt_lo_u32_b32 v34, v4, 0
	v_cmp_ne_u32_e64 s13, 0, v4
	v_cmp_eq_u32_e32 vcc_lo, 0, v34
	s_and_b32 s14, s13, vcc_lo
	s_delay_alu instid0(SALU_CYCLE_1)
	s_and_saveexec_b32 s13, s14
	s_cbranch_execz .LBB2669_14
; %bb.13:                               ;   in Loop: Header=BB2669_6 Depth=1
	s_wait_dscnt 0x0
	v_bcnt_u32_b32 v4, v4, v33
	ds_store_b32 v35, v4 offset:32
.LBB2669_14:                            ;   in Loop: Header=BB2669_6 Depth=1
	s_or_b32 exec_lo, exec_lo, s13
	; wave barrier
	s_wait_dscnt 0x0
	s_barrier_signal -1
	s_barrier_wait -1
	ds_load_2addr_b64 v[8:11], v13 offset0:4 offset1:5
	ds_load_2addr_b64 v[4:7], v13 offset0:6 offset1:7
	s_wait_dscnt 0x1
	v_add_nc_u32_e32 v36, v9, v8
	s_delay_alu instid0(VALU_DEP_1) | instskip(SKIP_1) | instid1(VALU_DEP_1)
	v_add3_u32 v36, v36, v10, v11
	s_wait_dscnt 0x0
	v_add3_u32 v36, v36, v4, v5
	s_delay_alu instid0(VALU_DEP_1) | instskip(NEXT) | instid1(VALU_DEP_1)
	v_add3_u32 v7, v36, v6, v7
	v_mov_b32_dpp v36, v7 row_shr:1 row_mask:0xf bank_mask:0xf
	s_delay_alu instid0(VALU_DEP_1) | instskip(NEXT) | instid1(VALU_DEP_1)
	v_cndmask_b32_e64 v36, v36, 0, s4
	v_add_nc_u32_e32 v7, v36, v7
	s_delay_alu instid0(VALU_DEP_1) | instskip(NEXT) | instid1(VALU_DEP_1)
	v_mov_b32_dpp v36, v7 row_shr:2 row_mask:0xf bank_mask:0xf
	v_cndmask_b32_e64 v36, 0, v36, s5
	s_delay_alu instid0(VALU_DEP_1) | instskip(NEXT) | instid1(VALU_DEP_1)
	v_add_nc_u32_e32 v7, v7, v36
	v_mov_b32_dpp v36, v7 row_shr:4 row_mask:0xf bank_mask:0xf
	s_delay_alu instid0(VALU_DEP_1) | instskip(NEXT) | instid1(VALU_DEP_1)
	v_cndmask_b32_e64 v36, 0, v36, s6
	v_add_nc_u32_e32 v7, v7, v36
	s_delay_alu instid0(VALU_DEP_1) | instskip(NEXT) | instid1(VALU_DEP_1)
	v_mov_b32_dpp v36, v7 row_shr:8 row_mask:0xf bank_mask:0xf
	v_cndmask_b32_e64 v36, 0, v36, s7
	s_delay_alu instid0(VALU_DEP_1) | instskip(SKIP_3) | instid1(VALU_DEP_1)
	v_add_nc_u32_e32 v7, v7, v36
	ds_swizzle_b32 v36, v7 offset:swizzle(BROADCAST,32,15)
	s_wait_dscnt 0x0
	v_cndmask_b32_e64 v36, v36, 0, s8
	v_add_nc_u32_e32 v7, v7, v36
	s_and_saveexec_b32 s13, s12
; %bb.15:                               ;   in Loop: Header=BB2669_6 Depth=1
	ds_store_b32 v21, v7
; %bb.16:                               ;   in Loop: Header=BB2669_6 Depth=1
	s_or_b32 exec_lo, exec_lo, s13
	s_wait_dscnt 0x0
	s_barrier_signal -1
	s_barrier_wait -1
	s_and_saveexec_b32 s13, s0
	s_cbranch_execz .LBB2669_18
; %bb.17:                               ;   in Loop: Header=BB2669_6 Depth=1
	ds_load_b32 v36, v20
	s_wait_dscnt 0x0
	v_mov_b32_dpp v37, v36 row_shr:1 row_mask:0xf bank_mask:0xf
	s_delay_alu instid0(VALU_DEP_1) | instskip(NEXT) | instid1(VALU_DEP_1)
	v_cndmask_b32_e64 v37, v37, 0, s9
	v_add_nc_u32_e32 v36, v37, v36
	s_delay_alu instid0(VALU_DEP_1) | instskip(NEXT) | instid1(VALU_DEP_1)
	v_mov_b32_dpp v37, v36 row_shr:2 row_mask:0xf bank_mask:0xf
	v_cndmask_b32_e64 v37, 0, v37, s10
	s_delay_alu instid0(VALU_DEP_1) | instskip(NEXT) | instid1(VALU_DEP_1)
	v_add_nc_u32_e32 v36, v36, v37
	v_mov_b32_dpp v37, v36 row_shr:4 row_mask:0xf bank_mask:0xf
	s_delay_alu instid0(VALU_DEP_1) | instskip(NEXT) | instid1(VALU_DEP_1)
	v_cndmask_b32_e64 v37, 0, v37, s11
	v_add_nc_u32_e32 v36, v36, v37
	ds_store_b32 v20, v36
.LBB2669_18:                            ;   in Loop: Header=BB2669_6 Depth=1
	s_or_b32 exec_lo, exec_lo, s13
	v_mov_b32_e32 v36, 0
	s_wait_dscnt 0x0
	s_barrier_signal -1
	s_barrier_wait -1
	s_and_saveexec_b32 s13, s1
; %bb.19:                               ;   in Loop: Header=BB2669_6 Depth=1
	ds_load_b32 v36, v23
; %bb.20:                               ;   in Loop: Header=BB2669_6 Depth=1
	s_or_b32 exec_lo, exec_lo, s13
	s_wait_dscnt 0x0
	v_add_nc_u32_e32 v7, v36, v7
	s_add_co_i32 s22, s22, 8
	s_mov_b32 s13, -1
	s_cmp_ge_u32 s22, s27
	ds_bpermute_b32 v7, v22, v7
	s_wait_dscnt 0x0
	v_cndmask_b32_e64 v7, v7, v36, s2
	s_delay_alu instid0(VALU_DEP_1) | instskip(NEXT) | instid1(VALU_DEP_1)
	v_cndmask_b32_e64 v36, v7, 0, s3
	v_add_nc_u32_e32 v37, v36, v8
	s_delay_alu instid0(VALU_DEP_1) | instskip(NEXT) | instid1(VALU_DEP_1)
	v_add_nc_u32_e32 v8, v37, v9
	v_add_nc_u32_e32 v9, v8, v10
	s_delay_alu instid0(VALU_DEP_1) | instskip(NEXT) | instid1(VALU_DEP_1)
	v_add_nc_u32_e32 v10, v9, v11
	;; [unrolled: 3-line block ×3, first 2 shown]
	v_add_nc_u32_e32 v5, v4, v6
	ds_store_2addr_b64 v13, v[36:37], v[8:9] offset0:4 offset1:5
	ds_store_2addr_b64 v13, v[10:11], v[4:5] offset0:6 offset1:7
	s_wait_dscnt 0x0
	s_barrier_signal -1
	s_barrier_wait -1
	ds_load_b32 v4, v28 offset:32
	ds_load_b32 v5, v32 offset:32
	;; [unrolled: 1-line block ×4, first 2 shown]
	v_lshlrev_b32_e32 v8, 2, v25
	v_dual_lshlrev_b32 v9, 2, v29 :: v_dual_lshlrev_b32 v10, 2, v27
	v_dual_lshlrev_b32 v11, 2, v31 :: v_dual_lshlrev_b32 v25, 2, v30
	;; [unrolled: 1-line block ×3, first 2 shown]
	s_wait_dscnt 0x0
	v_dual_lshlrev_b32 v4, 2, v4 :: v_dual_lshlrev_b32 v5, 2, v5
	v_lshlrev_b32_e32 v6, 2, v6
	v_lshl_add_u32 v8, v7, 2, v8
	s_delay_alu instid0(VALU_DEP_3) | instskip(NEXT) | instid1(VALU_DEP_4)
	v_add3_u32 v9, v9, v10, v4
	v_add3_u32 v10, v11, v25, v5
	s_delay_alu instid0(VALU_DEP_4)
	v_add3_u32 v11, v26, v27, v6
                                        ; implicit-def: $vgpr4_vgpr5_vgpr6_vgpr7
	s_cbranch_scc1 .LBB2669_5
; %bb.21:                               ;   in Loop: Header=BB2669_6 Depth=1
	s_barrier_signal -1
	s_barrier_wait -1
	ds_store_b32 v8, v0
	ds_store_b32 v9, v1
	;; [unrolled: 1-line block ×4, first 2 shown]
	s_wait_dscnt 0x0
	s_barrier_signal -1
	s_barrier_wait -1
	ds_load_2addr_b32 v[4:5], v19 offset1:32
	ds_load_2addr_b32 v[6:7], v19 offset0:64 offset1:96
	s_add_co_i32 s23, s23, -8
	s_mov_b32 s13, 0
	s_wait_dscnt 0x0
	s_barrier_signal -1
	s_barrier_wait -1
	s_branch .LBB2669_5
.LBB2669_22:
	s_barrier_signal -1
	s_barrier_wait -1
	ds_store_b32 v8, v0
	ds_store_b32 v9, v1
	;; [unrolled: 1-line block ×4, first 2 shown]
	s_wait_dscnt 0x0
	s_barrier_signal -1
	s_barrier_wait -1
	ds_load_2addr_stride64_b32 v[4:5], v20 offset1:4
	ds_load_2addr_stride64_b32 v[0:1], v20 offset0:8 offset1:12
	v_mov_b32_e32 v13, 0
	s_add_nc_u64 s[0:1], s[18:19], s[20:21]
	s_and_not1_b32 vcc_lo, exec_lo, s25
	s_delay_alu instid0(VALU_DEP_1)
	v_add_nc_u64_e32 v[2:3], s[0:1], v[12:13]
	s_cbranch_vccnz .LBB2669_32
; %bb.23:
	s_mov_b32 s0, -1
	s_wait_dscnt 0x1
	s_clause 0x1
	global_store_b32 v[2:3], v4, off
	global_store_b32 v[2:3], v5, off offset:1024
	s_wait_dscnt 0x0
	global_store_b32 v[2:3], v0, off offset:2048
	s_cbranch_execz .LBB2669_33
	s_branch .LBB2669_40
.LBB2669_24:
	s_clause 0x2
	global_load_b32 v4, v[8:9], off
	global_load_b32 v5, v[8:9], off offset:128
	global_load_b32 v6, v[8:9], off offset:256
	s_mov_b32 s3, -1
	s_load_b64 s[22:23], s[0:1], 0x28
	s_sub_co_i32 s24, s4, s2
	s_cbranch_execnz .LBB2669_2
.LBB2669_25:
	s_wait_loadcnt 0x2
	v_dual_mov_b32 v4, -1 :: v_dual_bitop2_b32 v3, v1, v10 bitop3:0x54
	s_mov_b32 s2, exec_lo
	s_wait_loadcnt 0x0
	s_delay_alu instid0(VALU_DEP_1)
	v_dual_mov_b32 v5, v4 :: v_dual_mov_b32 v6, v4
	v_mov_b32_e32 v7, v4
	v_cmpx_gt_u32_e64 s24, v3
	s_cbranch_execz .LBB2669_27
; %bb.26:
	global_load_b32 v14, v[8:9], off
	v_dual_mov_b32 v15, v4 :: v_dual_mov_b32 v16, v4
	v_mov_b32_e32 v17, v4
	s_wait_loadcnt 0x0
	s_delay_alu instid0(VALU_DEP_2) | instskip(NEXT) | instid1(VALU_DEP_2)
	v_mov_b64_e32 v[4:5], v[14:15]
	v_mov_b64_e32 v[6:7], v[16:17]
.LBB2669_27:
	s_or_b32 exec_lo, exec_lo, s2
	v_or_b32_e32 v10, 32, v3
	s_mov_b32 s2, exec_lo
	s_delay_alu instid0(VALU_DEP_1)
	v_cmpx_gt_u32_e64 s24, v10
	s_cbranch_execz .LBB2669_29
; %bb.28:
	global_load_b32 v5, v[8:9], off offset:128
.LBB2669_29:
	s_wait_xcnt 0x0
	s_or_b32 exec_lo, exec_lo, s2
	v_or_b32_e32 v10, 64, v3
	s_mov_b32 s2, exec_lo
	s_delay_alu instid0(VALU_DEP_1)
	v_cmpx_gt_u32_e64 s24, v10
	s_cbranch_execz .LBB2669_31
; %bb.30:
	global_load_b32 v6, v[8:9], off offset:256
.LBB2669_31:
	s_wait_xcnt 0x0
	s_or_b32 exec_lo, exec_lo, s2
	v_or_b32_e32 v3, 0x60, v3
	s_delay_alu instid0(VALU_DEP_1)
	v_cmp_gt_u32_e64 s3, s24, v3
	s_and_saveexec_b32 s2, s3
	s_cbranch_execnz .LBB2669_3
	s_branch .LBB2669_4
.LBB2669_32:
	s_mov_b32 s0, 0
.LBB2669_33:
	s_mov_b32 s0, exec_lo
	s_wait_xcnt 0x0
	v_cmpx_gt_u32_e64 s24, v18
	s_cbranch_execz .LBB2669_35
; %bb.34:
	s_wait_dscnt 0x1
	global_store_b32 v[2:3], v4, off
.LBB2669_35:
	s_wait_xcnt 0x0
	s_or_b32 exec_lo, exec_lo, s0
	s_wait_dscnt 0x1
	v_add_nc_u32_e32 v4, 0x100, v18
	s_mov_b32 s0, exec_lo
	s_delay_alu instid0(VALU_DEP_1)
	v_cmpx_gt_u32_e64 s24, v4
	s_cbranch_execz .LBB2669_37
; %bb.36:
	global_store_b32 v[2:3], v5, off offset:1024
.LBB2669_37:
	s_wait_xcnt 0x0
	s_or_b32 exec_lo, exec_lo, s0
	v_add_nc_u32_e32 v4, 0x200, v18
	s_mov_b32 s0, exec_lo
	s_delay_alu instid0(VALU_DEP_1)
	v_cmpx_gt_u32_e64 s24, v4
	s_cbranch_execz .LBB2669_39
; %bb.38:
	s_wait_dscnt 0x0
	global_store_b32 v[2:3], v0, off offset:2048
.LBB2669_39:
	s_wait_xcnt 0x0
	s_or_b32 exec_lo, exec_lo, s0
	s_wait_dscnt 0x0
	v_add_nc_u32_e32 v0, 0x300, v18
	s_delay_alu instid0(VALU_DEP_1)
	v_cmp_gt_u32_e64 s0, s24, v0
.LBB2669_40:
	s_wait_xcnt 0x0
	s_delay_alu instid0(VALU_DEP_1)
	s_and_saveexec_b32 s1, s0
	s_cbranch_execnz .LBB2669_42
; %bb.41:
	s_endpgm
.LBB2669_42:
	s_wait_dscnt 0x0
	global_store_b32 v[2:3], v1, off offset:3072
	s_endpgm
	.section	.rodata,"a",@progbits
	.p2align	6, 0x0
	.amdhsa_kernel _ZN7rocprim17ROCPRIM_400000_NS6detail17trampoline_kernelINS0_13kernel_configILj256ELj4ELj4294967295EEENS1_37radix_sort_block_sort_config_selectorIjNS0_10empty_typeEEEZNS1_21radix_sort_block_sortIS4_Lb0EPKjPjPS6_SC_NS0_19identity_decomposerEEE10hipError_tT1_T2_T3_T4_jRjT5_jjP12ihipStream_tbEUlT_E_NS1_11comp_targetILNS1_3genE0ELNS1_11target_archE4294967295ELNS1_3gpuE0ELNS1_3repE0EEENS1_44radix_sort_block_sort_config_static_selectorELNS0_4arch9wavefront6targetE0EEEvSF_
		.amdhsa_group_segment_fixed_size 8224
		.amdhsa_private_segment_fixed_size 0
		.amdhsa_kernarg_size 304
		.amdhsa_user_sgpr_count 2
		.amdhsa_user_sgpr_dispatch_ptr 0
		.amdhsa_user_sgpr_queue_ptr 0
		.amdhsa_user_sgpr_kernarg_segment_ptr 1
		.amdhsa_user_sgpr_dispatch_id 0
		.amdhsa_user_sgpr_kernarg_preload_length 0
		.amdhsa_user_sgpr_kernarg_preload_offset 0
		.amdhsa_user_sgpr_private_segment_size 0
		.amdhsa_wavefront_size32 1
		.amdhsa_uses_dynamic_stack 0
		.amdhsa_enable_private_segment 0
		.amdhsa_system_sgpr_workgroup_id_x 1
		.amdhsa_system_sgpr_workgroup_id_y 0
		.amdhsa_system_sgpr_workgroup_id_z 0
		.amdhsa_system_sgpr_workgroup_info 0
		.amdhsa_system_vgpr_workitem_id 2
		.amdhsa_next_free_vgpr 38
		.amdhsa_next_free_sgpr 29
		.amdhsa_named_barrier_count 0
		.amdhsa_reserve_vcc 1
		.amdhsa_float_round_mode_32 0
		.amdhsa_float_round_mode_16_64 0
		.amdhsa_float_denorm_mode_32 3
		.amdhsa_float_denorm_mode_16_64 3
		.amdhsa_fp16_overflow 0
		.amdhsa_memory_ordered 1
		.amdhsa_forward_progress 1
		.amdhsa_inst_pref_size 27
		.amdhsa_round_robin_scheduling 0
		.amdhsa_exception_fp_ieee_invalid_op 0
		.amdhsa_exception_fp_denorm_src 0
		.amdhsa_exception_fp_ieee_div_zero 0
		.amdhsa_exception_fp_ieee_overflow 0
		.amdhsa_exception_fp_ieee_underflow 0
		.amdhsa_exception_fp_ieee_inexact 0
		.amdhsa_exception_int_div_zero 0
	.end_amdhsa_kernel
	.section	.text._ZN7rocprim17ROCPRIM_400000_NS6detail17trampoline_kernelINS0_13kernel_configILj256ELj4ELj4294967295EEENS1_37radix_sort_block_sort_config_selectorIjNS0_10empty_typeEEEZNS1_21radix_sort_block_sortIS4_Lb0EPKjPjPS6_SC_NS0_19identity_decomposerEEE10hipError_tT1_T2_T3_T4_jRjT5_jjP12ihipStream_tbEUlT_E_NS1_11comp_targetILNS1_3genE0ELNS1_11target_archE4294967295ELNS1_3gpuE0ELNS1_3repE0EEENS1_44radix_sort_block_sort_config_static_selectorELNS0_4arch9wavefront6targetE0EEEvSF_,"axG",@progbits,_ZN7rocprim17ROCPRIM_400000_NS6detail17trampoline_kernelINS0_13kernel_configILj256ELj4ELj4294967295EEENS1_37radix_sort_block_sort_config_selectorIjNS0_10empty_typeEEEZNS1_21radix_sort_block_sortIS4_Lb0EPKjPjPS6_SC_NS0_19identity_decomposerEEE10hipError_tT1_T2_T3_T4_jRjT5_jjP12ihipStream_tbEUlT_E_NS1_11comp_targetILNS1_3genE0ELNS1_11target_archE4294967295ELNS1_3gpuE0ELNS1_3repE0EEENS1_44radix_sort_block_sort_config_static_selectorELNS0_4arch9wavefront6targetE0EEEvSF_,comdat
.Lfunc_end2669:
	.size	_ZN7rocprim17ROCPRIM_400000_NS6detail17trampoline_kernelINS0_13kernel_configILj256ELj4ELj4294967295EEENS1_37radix_sort_block_sort_config_selectorIjNS0_10empty_typeEEEZNS1_21radix_sort_block_sortIS4_Lb0EPKjPjPS6_SC_NS0_19identity_decomposerEEE10hipError_tT1_T2_T3_T4_jRjT5_jjP12ihipStream_tbEUlT_E_NS1_11comp_targetILNS1_3genE0ELNS1_11target_archE4294967295ELNS1_3gpuE0ELNS1_3repE0EEENS1_44radix_sort_block_sort_config_static_selectorELNS0_4arch9wavefront6targetE0EEEvSF_, .Lfunc_end2669-_ZN7rocprim17ROCPRIM_400000_NS6detail17trampoline_kernelINS0_13kernel_configILj256ELj4ELj4294967295EEENS1_37radix_sort_block_sort_config_selectorIjNS0_10empty_typeEEEZNS1_21radix_sort_block_sortIS4_Lb0EPKjPjPS6_SC_NS0_19identity_decomposerEEE10hipError_tT1_T2_T3_T4_jRjT5_jjP12ihipStream_tbEUlT_E_NS1_11comp_targetILNS1_3genE0ELNS1_11target_archE4294967295ELNS1_3gpuE0ELNS1_3repE0EEENS1_44radix_sort_block_sort_config_static_selectorELNS0_4arch9wavefront6targetE0EEEvSF_
                                        ; -- End function
	.set _ZN7rocprim17ROCPRIM_400000_NS6detail17trampoline_kernelINS0_13kernel_configILj256ELj4ELj4294967295EEENS1_37radix_sort_block_sort_config_selectorIjNS0_10empty_typeEEEZNS1_21radix_sort_block_sortIS4_Lb0EPKjPjPS6_SC_NS0_19identity_decomposerEEE10hipError_tT1_T2_T3_T4_jRjT5_jjP12ihipStream_tbEUlT_E_NS1_11comp_targetILNS1_3genE0ELNS1_11target_archE4294967295ELNS1_3gpuE0ELNS1_3repE0EEENS1_44radix_sort_block_sort_config_static_selectorELNS0_4arch9wavefront6targetE0EEEvSF_.num_vgpr, 38
	.set _ZN7rocprim17ROCPRIM_400000_NS6detail17trampoline_kernelINS0_13kernel_configILj256ELj4ELj4294967295EEENS1_37radix_sort_block_sort_config_selectorIjNS0_10empty_typeEEEZNS1_21radix_sort_block_sortIS4_Lb0EPKjPjPS6_SC_NS0_19identity_decomposerEEE10hipError_tT1_T2_T3_T4_jRjT5_jjP12ihipStream_tbEUlT_E_NS1_11comp_targetILNS1_3genE0ELNS1_11target_archE4294967295ELNS1_3gpuE0ELNS1_3repE0EEENS1_44radix_sort_block_sort_config_static_selectorELNS0_4arch9wavefront6targetE0EEEvSF_.num_agpr, 0
	.set _ZN7rocprim17ROCPRIM_400000_NS6detail17trampoline_kernelINS0_13kernel_configILj256ELj4ELj4294967295EEENS1_37radix_sort_block_sort_config_selectorIjNS0_10empty_typeEEEZNS1_21radix_sort_block_sortIS4_Lb0EPKjPjPS6_SC_NS0_19identity_decomposerEEE10hipError_tT1_T2_T3_T4_jRjT5_jjP12ihipStream_tbEUlT_E_NS1_11comp_targetILNS1_3genE0ELNS1_11target_archE4294967295ELNS1_3gpuE0ELNS1_3repE0EEENS1_44radix_sort_block_sort_config_static_selectorELNS0_4arch9wavefront6targetE0EEEvSF_.numbered_sgpr, 29
	.set _ZN7rocprim17ROCPRIM_400000_NS6detail17trampoline_kernelINS0_13kernel_configILj256ELj4ELj4294967295EEENS1_37radix_sort_block_sort_config_selectorIjNS0_10empty_typeEEEZNS1_21radix_sort_block_sortIS4_Lb0EPKjPjPS6_SC_NS0_19identity_decomposerEEE10hipError_tT1_T2_T3_T4_jRjT5_jjP12ihipStream_tbEUlT_E_NS1_11comp_targetILNS1_3genE0ELNS1_11target_archE4294967295ELNS1_3gpuE0ELNS1_3repE0EEENS1_44radix_sort_block_sort_config_static_selectorELNS0_4arch9wavefront6targetE0EEEvSF_.num_named_barrier, 0
	.set _ZN7rocprim17ROCPRIM_400000_NS6detail17trampoline_kernelINS0_13kernel_configILj256ELj4ELj4294967295EEENS1_37radix_sort_block_sort_config_selectorIjNS0_10empty_typeEEEZNS1_21radix_sort_block_sortIS4_Lb0EPKjPjPS6_SC_NS0_19identity_decomposerEEE10hipError_tT1_T2_T3_T4_jRjT5_jjP12ihipStream_tbEUlT_E_NS1_11comp_targetILNS1_3genE0ELNS1_11target_archE4294967295ELNS1_3gpuE0ELNS1_3repE0EEENS1_44radix_sort_block_sort_config_static_selectorELNS0_4arch9wavefront6targetE0EEEvSF_.private_seg_size, 0
	.set _ZN7rocprim17ROCPRIM_400000_NS6detail17trampoline_kernelINS0_13kernel_configILj256ELj4ELj4294967295EEENS1_37radix_sort_block_sort_config_selectorIjNS0_10empty_typeEEEZNS1_21radix_sort_block_sortIS4_Lb0EPKjPjPS6_SC_NS0_19identity_decomposerEEE10hipError_tT1_T2_T3_T4_jRjT5_jjP12ihipStream_tbEUlT_E_NS1_11comp_targetILNS1_3genE0ELNS1_11target_archE4294967295ELNS1_3gpuE0ELNS1_3repE0EEENS1_44radix_sort_block_sort_config_static_selectorELNS0_4arch9wavefront6targetE0EEEvSF_.uses_vcc, 1
	.set _ZN7rocprim17ROCPRIM_400000_NS6detail17trampoline_kernelINS0_13kernel_configILj256ELj4ELj4294967295EEENS1_37radix_sort_block_sort_config_selectorIjNS0_10empty_typeEEEZNS1_21radix_sort_block_sortIS4_Lb0EPKjPjPS6_SC_NS0_19identity_decomposerEEE10hipError_tT1_T2_T3_T4_jRjT5_jjP12ihipStream_tbEUlT_E_NS1_11comp_targetILNS1_3genE0ELNS1_11target_archE4294967295ELNS1_3gpuE0ELNS1_3repE0EEENS1_44radix_sort_block_sort_config_static_selectorELNS0_4arch9wavefront6targetE0EEEvSF_.uses_flat_scratch, 0
	.set _ZN7rocprim17ROCPRIM_400000_NS6detail17trampoline_kernelINS0_13kernel_configILj256ELj4ELj4294967295EEENS1_37radix_sort_block_sort_config_selectorIjNS0_10empty_typeEEEZNS1_21radix_sort_block_sortIS4_Lb0EPKjPjPS6_SC_NS0_19identity_decomposerEEE10hipError_tT1_T2_T3_T4_jRjT5_jjP12ihipStream_tbEUlT_E_NS1_11comp_targetILNS1_3genE0ELNS1_11target_archE4294967295ELNS1_3gpuE0ELNS1_3repE0EEENS1_44radix_sort_block_sort_config_static_selectorELNS0_4arch9wavefront6targetE0EEEvSF_.has_dyn_sized_stack, 0
	.set _ZN7rocprim17ROCPRIM_400000_NS6detail17trampoline_kernelINS0_13kernel_configILj256ELj4ELj4294967295EEENS1_37radix_sort_block_sort_config_selectorIjNS0_10empty_typeEEEZNS1_21radix_sort_block_sortIS4_Lb0EPKjPjPS6_SC_NS0_19identity_decomposerEEE10hipError_tT1_T2_T3_T4_jRjT5_jjP12ihipStream_tbEUlT_E_NS1_11comp_targetILNS1_3genE0ELNS1_11target_archE4294967295ELNS1_3gpuE0ELNS1_3repE0EEENS1_44radix_sort_block_sort_config_static_selectorELNS0_4arch9wavefront6targetE0EEEvSF_.has_recursion, 0
	.set _ZN7rocprim17ROCPRIM_400000_NS6detail17trampoline_kernelINS0_13kernel_configILj256ELj4ELj4294967295EEENS1_37radix_sort_block_sort_config_selectorIjNS0_10empty_typeEEEZNS1_21radix_sort_block_sortIS4_Lb0EPKjPjPS6_SC_NS0_19identity_decomposerEEE10hipError_tT1_T2_T3_T4_jRjT5_jjP12ihipStream_tbEUlT_E_NS1_11comp_targetILNS1_3genE0ELNS1_11target_archE4294967295ELNS1_3gpuE0ELNS1_3repE0EEENS1_44radix_sort_block_sort_config_static_selectorELNS0_4arch9wavefront6targetE0EEEvSF_.has_indirect_call, 0
	.section	.AMDGPU.csdata,"",@progbits
; Kernel info:
; codeLenInByte = 3392
; TotalNumSgprs: 31
; NumVgprs: 38
; ScratchSize: 0
; MemoryBound: 0
; FloatMode: 240
; IeeeMode: 1
; LDSByteSize: 8224 bytes/workgroup (compile time only)
; SGPRBlocks: 0
; VGPRBlocks: 2
; NumSGPRsForWavesPerEU: 31
; NumVGPRsForWavesPerEU: 38
; NamedBarCnt: 0
; Occupancy: 16
; WaveLimiterHint : 1
; COMPUTE_PGM_RSRC2:SCRATCH_EN: 0
; COMPUTE_PGM_RSRC2:USER_SGPR: 2
; COMPUTE_PGM_RSRC2:TRAP_HANDLER: 0
; COMPUTE_PGM_RSRC2:TGID_X_EN: 1
; COMPUTE_PGM_RSRC2:TGID_Y_EN: 0
; COMPUTE_PGM_RSRC2:TGID_Z_EN: 0
; COMPUTE_PGM_RSRC2:TIDIG_COMP_CNT: 2
	.section	.text._ZN7rocprim17ROCPRIM_400000_NS6detail17trampoline_kernelINS0_13kernel_configILj256ELj4ELj4294967295EEENS1_37radix_sort_block_sort_config_selectorIjNS0_10empty_typeEEEZNS1_21radix_sort_block_sortIS4_Lb0EPKjPjPS6_SC_NS0_19identity_decomposerEEE10hipError_tT1_T2_T3_T4_jRjT5_jjP12ihipStream_tbEUlT_E_NS1_11comp_targetILNS1_3genE5ELNS1_11target_archE942ELNS1_3gpuE9ELNS1_3repE0EEENS1_44radix_sort_block_sort_config_static_selectorELNS0_4arch9wavefront6targetE0EEEvSF_,"axG",@progbits,_ZN7rocprim17ROCPRIM_400000_NS6detail17trampoline_kernelINS0_13kernel_configILj256ELj4ELj4294967295EEENS1_37radix_sort_block_sort_config_selectorIjNS0_10empty_typeEEEZNS1_21radix_sort_block_sortIS4_Lb0EPKjPjPS6_SC_NS0_19identity_decomposerEEE10hipError_tT1_T2_T3_T4_jRjT5_jjP12ihipStream_tbEUlT_E_NS1_11comp_targetILNS1_3genE5ELNS1_11target_archE942ELNS1_3gpuE9ELNS1_3repE0EEENS1_44radix_sort_block_sort_config_static_selectorELNS0_4arch9wavefront6targetE0EEEvSF_,comdat
	.protected	_ZN7rocprim17ROCPRIM_400000_NS6detail17trampoline_kernelINS0_13kernel_configILj256ELj4ELj4294967295EEENS1_37radix_sort_block_sort_config_selectorIjNS0_10empty_typeEEEZNS1_21radix_sort_block_sortIS4_Lb0EPKjPjPS6_SC_NS0_19identity_decomposerEEE10hipError_tT1_T2_T3_T4_jRjT5_jjP12ihipStream_tbEUlT_E_NS1_11comp_targetILNS1_3genE5ELNS1_11target_archE942ELNS1_3gpuE9ELNS1_3repE0EEENS1_44radix_sort_block_sort_config_static_selectorELNS0_4arch9wavefront6targetE0EEEvSF_ ; -- Begin function _ZN7rocprim17ROCPRIM_400000_NS6detail17trampoline_kernelINS0_13kernel_configILj256ELj4ELj4294967295EEENS1_37radix_sort_block_sort_config_selectorIjNS0_10empty_typeEEEZNS1_21radix_sort_block_sortIS4_Lb0EPKjPjPS6_SC_NS0_19identity_decomposerEEE10hipError_tT1_T2_T3_T4_jRjT5_jjP12ihipStream_tbEUlT_E_NS1_11comp_targetILNS1_3genE5ELNS1_11target_archE942ELNS1_3gpuE9ELNS1_3repE0EEENS1_44radix_sort_block_sort_config_static_selectorELNS0_4arch9wavefront6targetE0EEEvSF_
	.globl	_ZN7rocprim17ROCPRIM_400000_NS6detail17trampoline_kernelINS0_13kernel_configILj256ELj4ELj4294967295EEENS1_37radix_sort_block_sort_config_selectorIjNS0_10empty_typeEEEZNS1_21radix_sort_block_sortIS4_Lb0EPKjPjPS6_SC_NS0_19identity_decomposerEEE10hipError_tT1_T2_T3_T4_jRjT5_jjP12ihipStream_tbEUlT_E_NS1_11comp_targetILNS1_3genE5ELNS1_11target_archE942ELNS1_3gpuE9ELNS1_3repE0EEENS1_44radix_sort_block_sort_config_static_selectorELNS0_4arch9wavefront6targetE0EEEvSF_
	.p2align	8
	.type	_ZN7rocprim17ROCPRIM_400000_NS6detail17trampoline_kernelINS0_13kernel_configILj256ELj4ELj4294967295EEENS1_37radix_sort_block_sort_config_selectorIjNS0_10empty_typeEEEZNS1_21radix_sort_block_sortIS4_Lb0EPKjPjPS6_SC_NS0_19identity_decomposerEEE10hipError_tT1_T2_T3_T4_jRjT5_jjP12ihipStream_tbEUlT_E_NS1_11comp_targetILNS1_3genE5ELNS1_11target_archE942ELNS1_3gpuE9ELNS1_3repE0EEENS1_44radix_sort_block_sort_config_static_selectorELNS0_4arch9wavefront6targetE0EEEvSF_,@function
_ZN7rocprim17ROCPRIM_400000_NS6detail17trampoline_kernelINS0_13kernel_configILj256ELj4ELj4294967295EEENS1_37radix_sort_block_sort_config_selectorIjNS0_10empty_typeEEEZNS1_21radix_sort_block_sortIS4_Lb0EPKjPjPS6_SC_NS0_19identity_decomposerEEE10hipError_tT1_T2_T3_T4_jRjT5_jjP12ihipStream_tbEUlT_E_NS1_11comp_targetILNS1_3genE5ELNS1_11target_archE942ELNS1_3gpuE9ELNS1_3repE0EEENS1_44radix_sort_block_sort_config_static_selectorELNS0_4arch9wavefront6targetE0EEEvSF_: ; @_ZN7rocprim17ROCPRIM_400000_NS6detail17trampoline_kernelINS0_13kernel_configILj256ELj4ELj4294967295EEENS1_37radix_sort_block_sort_config_selectorIjNS0_10empty_typeEEEZNS1_21radix_sort_block_sortIS4_Lb0EPKjPjPS6_SC_NS0_19identity_decomposerEEE10hipError_tT1_T2_T3_T4_jRjT5_jjP12ihipStream_tbEUlT_E_NS1_11comp_targetILNS1_3genE5ELNS1_11target_archE942ELNS1_3gpuE9ELNS1_3repE0EEENS1_44radix_sort_block_sort_config_static_selectorELNS0_4arch9wavefront6targetE0EEEvSF_
; %bb.0:
	.section	.rodata,"a",@progbits
	.p2align	6, 0x0
	.amdhsa_kernel _ZN7rocprim17ROCPRIM_400000_NS6detail17trampoline_kernelINS0_13kernel_configILj256ELj4ELj4294967295EEENS1_37radix_sort_block_sort_config_selectorIjNS0_10empty_typeEEEZNS1_21radix_sort_block_sortIS4_Lb0EPKjPjPS6_SC_NS0_19identity_decomposerEEE10hipError_tT1_T2_T3_T4_jRjT5_jjP12ihipStream_tbEUlT_E_NS1_11comp_targetILNS1_3genE5ELNS1_11target_archE942ELNS1_3gpuE9ELNS1_3repE0EEENS1_44radix_sort_block_sort_config_static_selectorELNS0_4arch9wavefront6targetE0EEEvSF_
		.amdhsa_group_segment_fixed_size 0
		.amdhsa_private_segment_fixed_size 0
		.amdhsa_kernarg_size 48
		.amdhsa_user_sgpr_count 2
		.amdhsa_user_sgpr_dispatch_ptr 0
		.amdhsa_user_sgpr_queue_ptr 0
		.amdhsa_user_sgpr_kernarg_segment_ptr 1
		.amdhsa_user_sgpr_dispatch_id 0
		.amdhsa_user_sgpr_kernarg_preload_length 0
		.amdhsa_user_sgpr_kernarg_preload_offset 0
		.amdhsa_user_sgpr_private_segment_size 0
		.amdhsa_wavefront_size32 1
		.amdhsa_uses_dynamic_stack 0
		.amdhsa_enable_private_segment 0
		.amdhsa_system_sgpr_workgroup_id_x 1
		.amdhsa_system_sgpr_workgroup_id_y 0
		.amdhsa_system_sgpr_workgroup_id_z 0
		.amdhsa_system_sgpr_workgroup_info 0
		.amdhsa_system_vgpr_workitem_id 0
		.amdhsa_next_free_vgpr 1
		.amdhsa_next_free_sgpr 1
		.amdhsa_named_barrier_count 0
		.amdhsa_reserve_vcc 0
		.amdhsa_float_round_mode_32 0
		.amdhsa_float_round_mode_16_64 0
		.amdhsa_float_denorm_mode_32 3
		.amdhsa_float_denorm_mode_16_64 3
		.amdhsa_fp16_overflow 0
		.amdhsa_memory_ordered 1
		.amdhsa_forward_progress 1
		.amdhsa_inst_pref_size 0
		.amdhsa_round_robin_scheduling 0
		.amdhsa_exception_fp_ieee_invalid_op 0
		.amdhsa_exception_fp_denorm_src 0
		.amdhsa_exception_fp_ieee_div_zero 0
		.amdhsa_exception_fp_ieee_overflow 0
		.amdhsa_exception_fp_ieee_underflow 0
		.amdhsa_exception_fp_ieee_inexact 0
		.amdhsa_exception_int_div_zero 0
	.end_amdhsa_kernel
	.section	.text._ZN7rocprim17ROCPRIM_400000_NS6detail17trampoline_kernelINS0_13kernel_configILj256ELj4ELj4294967295EEENS1_37radix_sort_block_sort_config_selectorIjNS0_10empty_typeEEEZNS1_21radix_sort_block_sortIS4_Lb0EPKjPjPS6_SC_NS0_19identity_decomposerEEE10hipError_tT1_T2_T3_T4_jRjT5_jjP12ihipStream_tbEUlT_E_NS1_11comp_targetILNS1_3genE5ELNS1_11target_archE942ELNS1_3gpuE9ELNS1_3repE0EEENS1_44radix_sort_block_sort_config_static_selectorELNS0_4arch9wavefront6targetE0EEEvSF_,"axG",@progbits,_ZN7rocprim17ROCPRIM_400000_NS6detail17trampoline_kernelINS0_13kernel_configILj256ELj4ELj4294967295EEENS1_37radix_sort_block_sort_config_selectorIjNS0_10empty_typeEEEZNS1_21radix_sort_block_sortIS4_Lb0EPKjPjPS6_SC_NS0_19identity_decomposerEEE10hipError_tT1_T2_T3_T4_jRjT5_jjP12ihipStream_tbEUlT_E_NS1_11comp_targetILNS1_3genE5ELNS1_11target_archE942ELNS1_3gpuE9ELNS1_3repE0EEENS1_44radix_sort_block_sort_config_static_selectorELNS0_4arch9wavefront6targetE0EEEvSF_,comdat
.Lfunc_end2670:
	.size	_ZN7rocprim17ROCPRIM_400000_NS6detail17trampoline_kernelINS0_13kernel_configILj256ELj4ELj4294967295EEENS1_37radix_sort_block_sort_config_selectorIjNS0_10empty_typeEEEZNS1_21radix_sort_block_sortIS4_Lb0EPKjPjPS6_SC_NS0_19identity_decomposerEEE10hipError_tT1_T2_T3_T4_jRjT5_jjP12ihipStream_tbEUlT_E_NS1_11comp_targetILNS1_3genE5ELNS1_11target_archE942ELNS1_3gpuE9ELNS1_3repE0EEENS1_44radix_sort_block_sort_config_static_selectorELNS0_4arch9wavefront6targetE0EEEvSF_, .Lfunc_end2670-_ZN7rocprim17ROCPRIM_400000_NS6detail17trampoline_kernelINS0_13kernel_configILj256ELj4ELj4294967295EEENS1_37radix_sort_block_sort_config_selectorIjNS0_10empty_typeEEEZNS1_21radix_sort_block_sortIS4_Lb0EPKjPjPS6_SC_NS0_19identity_decomposerEEE10hipError_tT1_T2_T3_T4_jRjT5_jjP12ihipStream_tbEUlT_E_NS1_11comp_targetILNS1_3genE5ELNS1_11target_archE942ELNS1_3gpuE9ELNS1_3repE0EEENS1_44radix_sort_block_sort_config_static_selectorELNS0_4arch9wavefront6targetE0EEEvSF_
                                        ; -- End function
	.set _ZN7rocprim17ROCPRIM_400000_NS6detail17trampoline_kernelINS0_13kernel_configILj256ELj4ELj4294967295EEENS1_37radix_sort_block_sort_config_selectorIjNS0_10empty_typeEEEZNS1_21radix_sort_block_sortIS4_Lb0EPKjPjPS6_SC_NS0_19identity_decomposerEEE10hipError_tT1_T2_T3_T4_jRjT5_jjP12ihipStream_tbEUlT_E_NS1_11comp_targetILNS1_3genE5ELNS1_11target_archE942ELNS1_3gpuE9ELNS1_3repE0EEENS1_44radix_sort_block_sort_config_static_selectorELNS0_4arch9wavefront6targetE0EEEvSF_.num_vgpr, 0
	.set _ZN7rocprim17ROCPRIM_400000_NS6detail17trampoline_kernelINS0_13kernel_configILj256ELj4ELj4294967295EEENS1_37radix_sort_block_sort_config_selectorIjNS0_10empty_typeEEEZNS1_21radix_sort_block_sortIS4_Lb0EPKjPjPS6_SC_NS0_19identity_decomposerEEE10hipError_tT1_T2_T3_T4_jRjT5_jjP12ihipStream_tbEUlT_E_NS1_11comp_targetILNS1_3genE5ELNS1_11target_archE942ELNS1_3gpuE9ELNS1_3repE0EEENS1_44radix_sort_block_sort_config_static_selectorELNS0_4arch9wavefront6targetE0EEEvSF_.num_agpr, 0
	.set _ZN7rocprim17ROCPRIM_400000_NS6detail17trampoline_kernelINS0_13kernel_configILj256ELj4ELj4294967295EEENS1_37radix_sort_block_sort_config_selectorIjNS0_10empty_typeEEEZNS1_21radix_sort_block_sortIS4_Lb0EPKjPjPS6_SC_NS0_19identity_decomposerEEE10hipError_tT1_T2_T3_T4_jRjT5_jjP12ihipStream_tbEUlT_E_NS1_11comp_targetILNS1_3genE5ELNS1_11target_archE942ELNS1_3gpuE9ELNS1_3repE0EEENS1_44radix_sort_block_sort_config_static_selectorELNS0_4arch9wavefront6targetE0EEEvSF_.numbered_sgpr, 0
	.set _ZN7rocprim17ROCPRIM_400000_NS6detail17trampoline_kernelINS0_13kernel_configILj256ELj4ELj4294967295EEENS1_37radix_sort_block_sort_config_selectorIjNS0_10empty_typeEEEZNS1_21radix_sort_block_sortIS4_Lb0EPKjPjPS6_SC_NS0_19identity_decomposerEEE10hipError_tT1_T2_T3_T4_jRjT5_jjP12ihipStream_tbEUlT_E_NS1_11comp_targetILNS1_3genE5ELNS1_11target_archE942ELNS1_3gpuE9ELNS1_3repE0EEENS1_44radix_sort_block_sort_config_static_selectorELNS0_4arch9wavefront6targetE0EEEvSF_.num_named_barrier, 0
	.set _ZN7rocprim17ROCPRIM_400000_NS6detail17trampoline_kernelINS0_13kernel_configILj256ELj4ELj4294967295EEENS1_37radix_sort_block_sort_config_selectorIjNS0_10empty_typeEEEZNS1_21radix_sort_block_sortIS4_Lb0EPKjPjPS6_SC_NS0_19identity_decomposerEEE10hipError_tT1_T2_T3_T4_jRjT5_jjP12ihipStream_tbEUlT_E_NS1_11comp_targetILNS1_3genE5ELNS1_11target_archE942ELNS1_3gpuE9ELNS1_3repE0EEENS1_44radix_sort_block_sort_config_static_selectorELNS0_4arch9wavefront6targetE0EEEvSF_.private_seg_size, 0
	.set _ZN7rocprim17ROCPRIM_400000_NS6detail17trampoline_kernelINS0_13kernel_configILj256ELj4ELj4294967295EEENS1_37radix_sort_block_sort_config_selectorIjNS0_10empty_typeEEEZNS1_21radix_sort_block_sortIS4_Lb0EPKjPjPS6_SC_NS0_19identity_decomposerEEE10hipError_tT1_T2_T3_T4_jRjT5_jjP12ihipStream_tbEUlT_E_NS1_11comp_targetILNS1_3genE5ELNS1_11target_archE942ELNS1_3gpuE9ELNS1_3repE0EEENS1_44radix_sort_block_sort_config_static_selectorELNS0_4arch9wavefront6targetE0EEEvSF_.uses_vcc, 0
	.set _ZN7rocprim17ROCPRIM_400000_NS6detail17trampoline_kernelINS0_13kernel_configILj256ELj4ELj4294967295EEENS1_37radix_sort_block_sort_config_selectorIjNS0_10empty_typeEEEZNS1_21radix_sort_block_sortIS4_Lb0EPKjPjPS6_SC_NS0_19identity_decomposerEEE10hipError_tT1_T2_T3_T4_jRjT5_jjP12ihipStream_tbEUlT_E_NS1_11comp_targetILNS1_3genE5ELNS1_11target_archE942ELNS1_3gpuE9ELNS1_3repE0EEENS1_44radix_sort_block_sort_config_static_selectorELNS0_4arch9wavefront6targetE0EEEvSF_.uses_flat_scratch, 0
	.set _ZN7rocprim17ROCPRIM_400000_NS6detail17trampoline_kernelINS0_13kernel_configILj256ELj4ELj4294967295EEENS1_37radix_sort_block_sort_config_selectorIjNS0_10empty_typeEEEZNS1_21radix_sort_block_sortIS4_Lb0EPKjPjPS6_SC_NS0_19identity_decomposerEEE10hipError_tT1_T2_T3_T4_jRjT5_jjP12ihipStream_tbEUlT_E_NS1_11comp_targetILNS1_3genE5ELNS1_11target_archE942ELNS1_3gpuE9ELNS1_3repE0EEENS1_44radix_sort_block_sort_config_static_selectorELNS0_4arch9wavefront6targetE0EEEvSF_.has_dyn_sized_stack, 0
	.set _ZN7rocprim17ROCPRIM_400000_NS6detail17trampoline_kernelINS0_13kernel_configILj256ELj4ELj4294967295EEENS1_37radix_sort_block_sort_config_selectorIjNS0_10empty_typeEEEZNS1_21radix_sort_block_sortIS4_Lb0EPKjPjPS6_SC_NS0_19identity_decomposerEEE10hipError_tT1_T2_T3_T4_jRjT5_jjP12ihipStream_tbEUlT_E_NS1_11comp_targetILNS1_3genE5ELNS1_11target_archE942ELNS1_3gpuE9ELNS1_3repE0EEENS1_44radix_sort_block_sort_config_static_selectorELNS0_4arch9wavefront6targetE0EEEvSF_.has_recursion, 0
	.set _ZN7rocprim17ROCPRIM_400000_NS6detail17trampoline_kernelINS0_13kernel_configILj256ELj4ELj4294967295EEENS1_37radix_sort_block_sort_config_selectorIjNS0_10empty_typeEEEZNS1_21radix_sort_block_sortIS4_Lb0EPKjPjPS6_SC_NS0_19identity_decomposerEEE10hipError_tT1_T2_T3_T4_jRjT5_jjP12ihipStream_tbEUlT_E_NS1_11comp_targetILNS1_3genE5ELNS1_11target_archE942ELNS1_3gpuE9ELNS1_3repE0EEENS1_44radix_sort_block_sort_config_static_selectorELNS0_4arch9wavefront6targetE0EEEvSF_.has_indirect_call, 0
	.section	.AMDGPU.csdata,"",@progbits
; Kernel info:
; codeLenInByte = 0
; TotalNumSgprs: 0
; NumVgprs: 0
; ScratchSize: 0
; MemoryBound: 0
; FloatMode: 240
; IeeeMode: 1
; LDSByteSize: 0 bytes/workgroup (compile time only)
; SGPRBlocks: 0
; VGPRBlocks: 0
; NumSGPRsForWavesPerEU: 1
; NumVGPRsForWavesPerEU: 1
; NamedBarCnt: 0
; Occupancy: 16
; WaveLimiterHint : 0
; COMPUTE_PGM_RSRC2:SCRATCH_EN: 0
; COMPUTE_PGM_RSRC2:USER_SGPR: 2
; COMPUTE_PGM_RSRC2:TRAP_HANDLER: 0
; COMPUTE_PGM_RSRC2:TGID_X_EN: 1
; COMPUTE_PGM_RSRC2:TGID_Y_EN: 0
; COMPUTE_PGM_RSRC2:TGID_Z_EN: 0
; COMPUTE_PGM_RSRC2:TIDIG_COMP_CNT: 0
	.section	.text._ZN7rocprim17ROCPRIM_400000_NS6detail17trampoline_kernelINS0_13kernel_configILj256ELj4ELj4294967295EEENS1_37radix_sort_block_sort_config_selectorIjNS0_10empty_typeEEEZNS1_21radix_sort_block_sortIS4_Lb0EPKjPjPS6_SC_NS0_19identity_decomposerEEE10hipError_tT1_T2_T3_T4_jRjT5_jjP12ihipStream_tbEUlT_E_NS1_11comp_targetILNS1_3genE4ELNS1_11target_archE910ELNS1_3gpuE8ELNS1_3repE0EEENS1_44radix_sort_block_sort_config_static_selectorELNS0_4arch9wavefront6targetE0EEEvSF_,"axG",@progbits,_ZN7rocprim17ROCPRIM_400000_NS6detail17trampoline_kernelINS0_13kernel_configILj256ELj4ELj4294967295EEENS1_37radix_sort_block_sort_config_selectorIjNS0_10empty_typeEEEZNS1_21radix_sort_block_sortIS4_Lb0EPKjPjPS6_SC_NS0_19identity_decomposerEEE10hipError_tT1_T2_T3_T4_jRjT5_jjP12ihipStream_tbEUlT_E_NS1_11comp_targetILNS1_3genE4ELNS1_11target_archE910ELNS1_3gpuE8ELNS1_3repE0EEENS1_44radix_sort_block_sort_config_static_selectorELNS0_4arch9wavefront6targetE0EEEvSF_,comdat
	.protected	_ZN7rocprim17ROCPRIM_400000_NS6detail17trampoline_kernelINS0_13kernel_configILj256ELj4ELj4294967295EEENS1_37radix_sort_block_sort_config_selectorIjNS0_10empty_typeEEEZNS1_21radix_sort_block_sortIS4_Lb0EPKjPjPS6_SC_NS0_19identity_decomposerEEE10hipError_tT1_T2_T3_T4_jRjT5_jjP12ihipStream_tbEUlT_E_NS1_11comp_targetILNS1_3genE4ELNS1_11target_archE910ELNS1_3gpuE8ELNS1_3repE0EEENS1_44radix_sort_block_sort_config_static_selectorELNS0_4arch9wavefront6targetE0EEEvSF_ ; -- Begin function _ZN7rocprim17ROCPRIM_400000_NS6detail17trampoline_kernelINS0_13kernel_configILj256ELj4ELj4294967295EEENS1_37radix_sort_block_sort_config_selectorIjNS0_10empty_typeEEEZNS1_21radix_sort_block_sortIS4_Lb0EPKjPjPS6_SC_NS0_19identity_decomposerEEE10hipError_tT1_T2_T3_T4_jRjT5_jjP12ihipStream_tbEUlT_E_NS1_11comp_targetILNS1_3genE4ELNS1_11target_archE910ELNS1_3gpuE8ELNS1_3repE0EEENS1_44radix_sort_block_sort_config_static_selectorELNS0_4arch9wavefront6targetE0EEEvSF_
	.globl	_ZN7rocprim17ROCPRIM_400000_NS6detail17trampoline_kernelINS0_13kernel_configILj256ELj4ELj4294967295EEENS1_37radix_sort_block_sort_config_selectorIjNS0_10empty_typeEEEZNS1_21radix_sort_block_sortIS4_Lb0EPKjPjPS6_SC_NS0_19identity_decomposerEEE10hipError_tT1_T2_T3_T4_jRjT5_jjP12ihipStream_tbEUlT_E_NS1_11comp_targetILNS1_3genE4ELNS1_11target_archE910ELNS1_3gpuE8ELNS1_3repE0EEENS1_44radix_sort_block_sort_config_static_selectorELNS0_4arch9wavefront6targetE0EEEvSF_
	.p2align	8
	.type	_ZN7rocprim17ROCPRIM_400000_NS6detail17trampoline_kernelINS0_13kernel_configILj256ELj4ELj4294967295EEENS1_37radix_sort_block_sort_config_selectorIjNS0_10empty_typeEEEZNS1_21radix_sort_block_sortIS4_Lb0EPKjPjPS6_SC_NS0_19identity_decomposerEEE10hipError_tT1_T2_T3_T4_jRjT5_jjP12ihipStream_tbEUlT_E_NS1_11comp_targetILNS1_3genE4ELNS1_11target_archE910ELNS1_3gpuE8ELNS1_3repE0EEENS1_44radix_sort_block_sort_config_static_selectorELNS0_4arch9wavefront6targetE0EEEvSF_,@function
_ZN7rocprim17ROCPRIM_400000_NS6detail17trampoline_kernelINS0_13kernel_configILj256ELj4ELj4294967295EEENS1_37radix_sort_block_sort_config_selectorIjNS0_10empty_typeEEEZNS1_21radix_sort_block_sortIS4_Lb0EPKjPjPS6_SC_NS0_19identity_decomposerEEE10hipError_tT1_T2_T3_T4_jRjT5_jjP12ihipStream_tbEUlT_E_NS1_11comp_targetILNS1_3genE4ELNS1_11target_archE910ELNS1_3gpuE8ELNS1_3repE0EEENS1_44radix_sort_block_sort_config_static_selectorELNS0_4arch9wavefront6targetE0EEEvSF_: ; @_ZN7rocprim17ROCPRIM_400000_NS6detail17trampoline_kernelINS0_13kernel_configILj256ELj4ELj4294967295EEENS1_37radix_sort_block_sort_config_selectorIjNS0_10empty_typeEEEZNS1_21radix_sort_block_sortIS4_Lb0EPKjPjPS6_SC_NS0_19identity_decomposerEEE10hipError_tT1_T2_T3_T4_jRjT5_jjP12ihipStream_tbEUlT_E_NS1_11comp_targetILNS1_3genE4ELNS1_11target_archE910ELNS1_3gpuE8ELNS1_3repE0EEENS1_44radix_sort_block_sort_config_static_selectorELNS0_4arch9wavefront6targetE0EEEvSF_
; %bb.0:
	.section	.rodata,"a",@progbits
	.p2align	6, 0x0
	.amdhsa_kernel _ZN7rocprim17ROCPRIM_400000_NS6detail17trampoline_kernelINS0_13kernel_configILj256ELj4ELj4294967295EEENS1_37radix_sort_block_sort_config_selectorIjNS0_10empty_typeEEEZNS1_21radix_sort_block_sortIS4_Lb0EPKjPjPS6_SC_NS0_19identity_decomposerEEE10hipError_tT1_T2_T3_T4_jRjT5_jjP12ihipStream_tbEUlT_E_NS1_11comp_targetILNS1_3genE4ELNS1_11target_archE910ELNS1_3gpuE8ELNS1_3repE0EEENS1_44radix_sort_block_sort_config_static_selectorELNS0_4arch9wavefront6targetE0EEEvSF_
		.amdhsa_group_segment_fixed_size 0
		.amdhsa_private_segment_fixed_size 0
		.amdhsa_kernarg_size 48
		.amdhsa_user_sgpr_count 2
		.amdhsa_user_sgpr_dispatch_ptr 0
		.amdhsa_user_sgpr_queue_ptr 0
		.amdhsa_user_sgpr_kernarg_segment_ptr 1
		.amdhsa_user_sgpr_dispatch_id 0
		.amdhsa_user_sgpr_kernarg_preload_length 0
		.amdhsa_user_sgpr_kernarg_preload_offset 0
		.amdhsa_user_sgpr_private_segment_size 0
		.amdhsa_wavefront_size32 1
		.amdhsa_uses_dynamic_stack 0
		.amdhsa_enable_private_segment 0
		.amdhsa_system_sgpr_workgroup_id_x 1
		.amdhsa_system_sgpr_workgroup_id_y 0
		.amdhsa_system_sgpr_workgroup_id_z 0
		.amdhsa_system_sgpr_workgroup_info 0
		.amdhsa_system_vgpr_workitem_id 0
		.amdhsa_next_free_vgpr 1
		.amdhsa_next_free_sgpr 1
		.amdhsa_named_barrier_count 0
		.amdhsa_reserve_vcc 0
		.amdhsa_float_round_mode_32 0
		.amdhsa_float_round_mode_16_64 0
		.amdhsa_float_denorm_mode_32 3
		.amdhsa_float_denorm_mode_16_64 3
		.amdhsa_fp16_overflow 0
		.amdhsa_memory_ordered 1
		.amdhsa_forward_progress 1
		.amdhsa_inst_pref_size 0
		.amdhsa_round_robin_scheduling 0
		.amdhsa_exception_fp_ieee_invalid_op 0
		.amdhsa_exception_fp_denorm_src 0
		.amdhsa_exception_fp_ieee_div_zero 0
		.amdhsa_exception_fp_ieee_overflow 0
		.amdhsa_exception_fp_ieee_underflow 0
		.amdhsa_exception_fp_ieee_inexact 0
		.amdhsa_exception_int_div_zero 0
	.end_amdhsa_kernel
	.section	.text._ZN7rocprim17ROCPRIM_400000_NS6detail17trampoline_kernelINS0_13kernel_configILj256ELj4ELj4294967295EEENS1_37radix_sort_block_sort_config_selectorIjNS0_10empty_typeEEEZNS1_21radix_sort_block_sortIS4_Lb0EPKjPjPS6_SC_NS0_19identity_decomposerEEE10hipError_tT1_T2_T3_T4_jRjT5_jjP12ihipStream_tbEUlT_E_NS1_11comp_targetILNS1_3genE4ELNS1_11target_archE910ELNS1_3gpuE8ELNS1_3repE0EEENS1_44radix_sort_block_sort_config_static_selectorELNS0_4arch9wavefront6targetE0EEEvSF_,"axG",@progbits,_ZN7rocprim17ROCPRIM_400000_NS6detail17trampoline_kernelINS0_13kernel_configILj256ELj4ELj4294967295EEENS1_37radix_sort_block_sort_config_selectorIjNS0_10empty_typeEEEZNS1_21radix_sort_block_sortIS4_Lb0EPKjPjPS6_SC_NS0_19identity_decomposerEEE10hipError_tT1_T2_T3_T4_jRjT5_jjP12ihipStream_tbEUlT_E_NS1_11comp_targetILNS1_3genE4ELNS1_11target_archE910ELNS1_3gpuE8ELNS1_3repE0EEENS1_44radix_sort_block_sort_config_static_selectorELNS0_4arch9wavefront6targetE0EEEvSF_,comdat
.Lfunc_end2671:
	.size	_ZN7rocprim17ROCPRIM_400000_NS6detail17trampoline_kernelINS0_13kernel_configILj256ELj4ELj4294967295EEENS1_37radix_sort_block_sort_config_selectorIjNS0_10empty_typeEEEZNS1_21radix_sort_block_sortIS4_Lb0EPKjPjPS6_SC_NS0_19identity_decomposerEEE10hipError_tT1_T2_T3_T4_jRjT5_jjP12ihipStream_tbEUlT_E_NS1_11comp_targetILNS1_3genE4ELNS1_11target_archE910ELNS1_3gpuE8ELNS1_3repE0EEENS1_44radix_sort_block_sort_config_static_selectorELNS0_4arch9wavefront6targetE0EEEvSF_, .Lfunc_end2671-_ZN7rocprim17ROCPRIM_400000_NS6detail17trampoline_kernelINS0_13kernel_configILj256ELj4ELj4294967295EEENS1_37radix_sort_block_sort_config_selectorIjNS0_10empty_typeEEEZNS1_21radix_sort_block_sortIS4_Lb0EPKjPjPS6_SC_NS0_19identity_decomposerEEE10hipError_tT1_T2_T3_T4_jRjT5_jjP12ihipStream_tbEUlT_E_NS1_11comp_targetILNS1_3genE4ELNS1_11target_archE910ELNS1_3gpuE8ELNS1_3repE0EEENS1_44radix_sort_block_sort_config_static_selectorELNS0_4arch9wavefront6targetE0EEEvSF_
                                        ; -- End function
	.set _ZN7rocprim17ROCPRIM_400000_NS6detail17trampoline_kernelINS0_13kernel_configILj256ELj4ELj4294967295EEENS1_37radix_sort_block_sort_config_selectorIjNS0_10empty_typeEEEZNS1_21radix_sort_block_sortIS4_Lb0EPKjPjPS6_SC_NS0_19identity_decomposerEEE10hipError_tT1_T2_T3_T4_jRjT5_jjP12ihipStream_tbEUlT_E_NS1_11comp_targetILNS1_3genE4ELNS1_11target_archE910ELNS1_3gpuE8ELNS1_3repE0EEENS1_44radix_sort_block_sort_config_static_selectorELNS0_4arch9wavefront6targetE0EEEvSF_.num_vgpr, 0
	.set _ZN7rocprim17ROCPRIM_400000_NS6detail17trampoline_kernelINS0_13kernel_configILj256ELj4ELj4294967295EEENS1_37radix_sort_block_sort_config_selectorIjNS0_10empty_typeEEEZNS1_21radix_sort_block_sortIS4_Lb0EPKjPjPS6_SC_NS0_19identity_decomposerEEE10hipError_tT1_T2_T3_T4_jRjT5_jjP12ihipStream_tbEUlT_E_NS1_11comp_targetILNS1_3genE4ELNS1_11target_archE910ELNS1_3gpuE8ELNS1_3repE0EEENS1_44radix_sort_block_sort_config_static_selectorELNS0_4arch9wavefront6targetE0EEEvSF_.num_agpr, 0
	.set _ZN7rocprim17ROCPRIM_400000_NS6detail17trampoline_kernelINS0_13kernel_configILj256ELj4ELj4294967295EEENS1_37radix_sort_block_sort_config_selectorIjNS0_10empty_typeEEEZNS1_21radix_sort_block_sortIS4_Lb0EPKjPjPS6_SC_NS0_19identity_decomposerEEE10hipError_tT1_T2_T3_T4_jRjT5_jjP12ihipStream_tbEUlT_E_NS1_11comp_targetILNS1_3genE4ELNS1_11target_archE910ELNS1_3gpuE8ELNS1_3repE0EEENS1_44radix_sort_block_sort_config_static_selectorELNS0_4arch9wavefront6targetE0EEEvSF_.numbered_sgpr, 0
	.set _ZN7rocprim17ROCPRIM_400000_NS6detail17trampoline_kernelINS0_13kernel_configILj256ELj4ELj4294967295EEENS1_37radix_sort_block_sort_config_selectorIjNS0_10empty_typeEEEZNS1_21radix_sort_block_sortIS4_Lb0EPKjPjPS6_SC_NS0_19identity_decomposerEEE10hipError_tT1_T2_T3_T4_jRjT5_jjP12ihipStream_tbEUlT_E_NS1_11comp_targetILNS1_3genE4ELNS1_11target_archE910ELNS1_3gpuE8ELNS1_3repE0EEENS1_44radix_sort_block_sort_config_static_selectorELNS0_4arch9wavefront6targetE0EEEvSF_.num_named_barrier, 0
	.set _ZN7rocprim17ROCPRIM_400000_NS6detail17trampoline_kernelINS0_13kernel_configILj256ELj4ELj4294967295EEENS1_37radix_sort_block_sort_config_selectorIjNS0_10empty_typeEEEZNS1_21radix_sort_block_sortIS4_Lb0EPKjPjPS6_SC_NS0_19identity_decomposerEEE10hipError_tT1_T2_T3_T4_jRjT5_jjP12ihipStream_tbEUlT_E_NS1_11comp_targetILNS1_3genE4ELNS1_11target_archE910ELNS1_3gpuE8ELNS1_3repE0EEENS1_44radix_sort_block_sort_config_static_selectorELNS0_4arch9wavefront6targetE0EEEvSF_.private_seg_size, 0
	.set _ZN7rocprim17ROCPRIM_400000_NS6detail17trampoline_kernelINS0_13kernel_configILj256ELj4ELj4294967295EEENS1_37radix_sort_block_sort_config_selectorIjNS0_10empty_typeEEEZNS1_21radix_sort_block_sortIS4_Lb0EPKjPjPS6_SC_NS0_19identity_decomposerEEE10hipError_tT1_T2_T3_T4_jRjT5_jjP12ihipStream_tbEUlT_E_NS1_11comp_targetILNS1_3genE4ELNS1_11target_archE910ELNS1_3gpuE8ELNS1_3repE0EEENS1_44radix_sort_block_sort_config_static_selectorELNS0_4arch9wavefront6targetE0EEEvSF_.uses_vcc, 0
	.set _ZN7rocprim17ROCPRIM_400000_NS6detail17trampoline_kernelINS0_13kernel_configILj256ELj4ELj4294967295EEENS1_37radix_sort_block_sort_config_selectorIjNS0_10empty_typeEEEZNS1_21radix_sort_block_sortIS4_Lb0EPKjPjPS6_SC_NS0_19identity_decomposerEEE10hipError_tT1_T2_T3_T4_jRjT5_jjP12ihipStream_tbEUlT_E_NS1_11comp_targetILNS1_3genE4ELNS1_11target_archE910ELNS1_3gpuE8ELNS1_3repE0EEENS1_44radix_sort_block_sort_config_static_selectorELNS0_4arch9wavefront6targetE0EEEvSF_.uses_flat_scratch, 0
	.set _ZN7rocprim17ROCPRIM_400000_NS6detail17trampoline_kernelINS0_13kernel_configILj256ELj4ELj4294967295EEENS1_37radix_sort_block_sort_config_selectorIjNS0_10empty_typeEEEZNS1_21radix_sort_block_sortIS4_Lb0EPKjPjPS6_SC_NS0_19identity_decomposerEEE10hipError_tT1_T2_T3_T4_jRjT5_jjP12ihipStream_tbEUlT_E_NS1_11comp_targetILNS1_3genE4ELNS1_11target_archE910ELNS1_3gpuE8ELNS1_3repE0EEENS1_44radix_sort_block_sort_config_static_selectorELNS0_4arch9wavefront6targetE0EEEvSF_.has_dyn_sized_stack, 0
	.set _ZN7rocprim17ROCPRIM_400000_NS6detail17trampoline_kernelINS0_13kernel_configILj256ELj4ELj4294967295EEENS1_37radix_sort_block_sort_config_selectorIjNS0_10empty_typeEEEZNS1_21radix_sort_block_sortIS4_Lb0EPKjPjPS6_SC_NS0_19identity_decomposerEEE10hipError_tT1_T2_T3_T4_jRjT5_jjP12ihipStream_tbEUlT_E_NS1_11comp_targetILNS1_3genE4ELNS1_11target_archE910ELNS1_3gpuE8ELNS1_3repE0EEENS1_44radix_sort_block_sort_config_static_selectorELNS0_4arch9wavefront6targetE0EEEvSF_.has_recursion, 0
	.set _ZN7rocprim17ROCPRIM_400000_NS6detail17trampoline_kernelINS0_13kernel_configILj256ELj4ELj4294967295EEENS1_37radix_sort_block_sort_config_selectorIjNS0_10empty_typeEEEZNS1_21radix_sort_block_sortIS4_Lb0EPKjPjPS6_SC_NS0_19identity_decomposerEEE10hipError_tT1_T2_T3_T4_jRjT5_jjP12ihipStream_tbEUlT_E_NS1_11comp_targetILNS1_3genE4ELNS1_11target_archE910ELNS1_3gpuE8ELNS1_3repE0EEENS1_44radix_sort_block_sort_config_static_selectorELNS0_4arch9wavefront6targetE0EEEvSF_.has_indirect_call, 0
	.section	.AMDGPU.csdata,"",@progbits
; Kernel info:
; codeLenInByte = 0
; TotalNumSgprs: 0
; NumVgprs: 0
; ScratchSize: 0
; MemoryBound: 0
; FloatMode: 240
; IeeeMode: 1
; LDSByteSize: 0 bytes/workgroup (compile time only)
; SGPRBlocks: 0
; VGPRBlocks: 0
; NumSGPRsForWavesPerEU: 1
; NumVGPRsForWavesPerEU: 1
; NamedBarCnt: 0
; Occupancy: 16
; WaveLimiterHint : 0
; COMPUTE_PGM_RSRC2:SCRATCH_EN: 0
; COMPUTE_PGM_RSRC2:USER_SGPR: 2
; COMPUTE_PGM_RSRC2:TRAP_HANDLER: 0
; COMPUTE_PGM_RSRC2:TGID_X_EN: 1
; COMPUTE_PGM_RSRC2:TGID_Y_EN: 0
; COMPUTE_PGM_RSRC2:TGID_Z_EN: 0
; COMPUTE_PGM_RSRC2:TIDIG_COMP_CNT: 0
	.section	.text._ZN7rocprim17ROCPRIM_400000_NS6detail17trampoline_kernelINS0_13kernel_configILj256ELj4ELj4294967295EEENS1_37radix_sort_block_sort_config_selectorIjNS0_10empty_typeEEEZNS1_21radix_sort_block_sortIS4_Lb0EPKjPjPS6_SC_NS0_19identity_decomposerEEE10hipError_tT1_T2_T3_T4_jRjT5_jjP12ihipStream_tbEUlT_E_NS1_11comp_targetILNS1_3genE3ELNS1_11target_archE908ELNS1_3gpuE7ELNS1_3repE0EEENS1_44radix_sort_block_sort_config_static_selectorELNS0_4arch9wavefront6targetE0EEEvSF_,"axG",@progbits,_ZN7rocprim17ROCPRIM_400000_NS6detail17trampoline_kernelINS0_13kernel_configILj256ELj4ELj4294967295EEENS1_37radix_sort_block_sort_config_selectorIjNS0_10empty_typeEEEZNS1_21radix_sort_block_sortIS4_Lb0EPKjPjPS6_SC_NS0_19identity_decomposerEEE10hipError_tT1_T2_T3_T4_jRjT5_jjP12ihipStream_tbEUlT_E_NS1_11comp_targetILNS1_3genE3ELNS1_11target_archE908ELNS1_3gpuE7ELNS1_3repE0EEENS1_44radix_sort_block_sort_config_static_selectorELNS0_4arch9wavefront6targetE0EEEvSF_,comdat
	.protected	_ZN7rocprim17ROCPRIM_400000_NS6detail17trampoline_kernelINS0_13kernel_configILj256ELj4ELj4294967295EEENS1_37radix_sort_block_sort_config_selectorIjNS0_10empty_typeEEEZNS1_21radix_sort_block_sortIS4_Lb0EPKjPjPS6_SC_NS0_19identity_decomposerEEE10hipError_tT1_T2_T3_T4_jRjT5_jjP12ihipStream_tbEUlT_E_NS1_11comp_targetILNS1_3genE3ELNS1_11target_archE908ELNS1_3gpuE7ELNS1_3repE0EEENS1_44radix_sort_block_sort_config_static_selectorELNS0_4arch9wavefront6targetE0EEEvSF_ ; -- Begin function _ZN7rocprim17ROCPRIM_400000_NS6detail17trampoline_kernelINS0_13kernel_configILj256ELj4ELj4294967295EEENS1_37radix_sort_block_sort_config_selectorIjNS0_10empty_typeEEEZNS1_21radix_sort_block_sortIS4_Lb0EPKjPjPS6_SC_NS0_19identity_decomposerEEE10hipError_tT1_T2_T3_T4_jRjT5_jjP12ihipStream_tbEUlT_E_NS1_11comp_targetILNS1_3genE3ELNS1_11target_archE908ELNS1_3gpuE7ELNS1_3repE0EEENS1_44radix_sort_block_sort_config_static_selectorELNS0_4arch9wavefront6targetE0EEEvSF_
	.globl	_ZN7rocprim17ROCPRIM_400000_NS6detail17trampoline_kernelINS0_13kernel_configILj256ELj4ELj4294967295EEENS1_37radix_sort_block_sort_config_selectorIjNS0_10empty_typeEEEZNS1_21radix_sort_block_sortIS4_Lb0EPKjPjPS6_SC_NS0_19identity_decomposerEEE10hipError_tT1_T2_T3_T4_jRjT5_jjP12ihipStream_tbEUlT_E_NS1_11comp_targetILNS1_3genE3ELNS1_11target_archE908ELNS1_3gpuE7ELNS1_3repE0EEENS1_44radix_sort_block_sort_config_static_selectorELNS0_4arch9wavefront6targetE0EEEvSF_
	.p2align	8
	.type	_ZN7rocprim17ROCPRIM_400000_NS6detail17trampoline_kernelINS0_13kernel_configILj256ELj4ELj4294967295EEENS1_37radix_sort_block_sort_config_selectorIjNS0_10empty_typeEEEZNS1_21radix_sort_block_sortIS4_Lb0EPKjPjPS6_SC_NS0_19identity_decomposerEEE10hipError_tT1_T2_T3_T4_jRjT5_jjP12ihipStream_tbEUlT_E_NS1_11comp_targetILNS1_3genE3ELNS1_11target_archE908ELNS1_3gpuE7ELNS1_3repE0EEENS1_44radix_sort_block_sort_config_static_selectorELNS0_4arch9wavefront6targetE0EEEvSF_,@function
_ZN7rocprim17ROCPRIM_400000_NS6detail17trampoline_kernelINS0_13kernel_configILj256ELj4ELj4294967295EEENS1_37radix_sort_block_sort_config_selectorIjNS0_10empty_typeEEEZNS1_21radix_sort_block_sortIS4_Lb0EPKjPjPS6_SC_NS0_19identity_decomposerEEE10hipError_tT1_T2_T3_T4_jRjT5_jjP12ihipStream_tbEUlT_E_NS1_11comp_targetILNS1_3genE3ELNS1_11target_archE908ELNS1_3gpuE7ELNS1_3repE0EEENS1_44radix_sort_block_sort_config_static_selectorELNS0_4arch9wavefront6targetE0EEEvSF_: ; @_ZN7rocprim17ROCPRIM_400000_NS6detail17trampoline_kernelINS0_13kernel_configILj256ELj4ELj4294967295EEENS1_37radix_sort_block_sort_config_selectorIjNS0_10empty_typeEEEZNS1_21radix_sort_block_sortIS4_Lb0EPKjPjPS6_SC_NS0_19identity_decomposerEEE10hipError_tT1_T2_T3_T4_jRjT5_jjP12ihipStream_tbEUlT_E_NS1_11comp_targetILNS1_3genE3ELNS1_11target_archE908ELNS1_3gpuE7ELNS1_3repE0EEENS1_44radix_sort_block_sort_config_static_selectorELNS0_4arch9wavefront6targetE0EEEvSF_
; %bb.0:
	.section	.rodata,"a",@progbits
	.p2align	6, 0x0
	.amdhsa_kernel _ZN7rocprim17ROCPRIM_400000_NS6detail17trampoline_kernelINS0_13kernel_configILj256ELj4ELj4294967295EEENS1_37radix_sort_block_sort_config_selectorIjNS0_10empty_typeEEEZNS1_21radix_sort_block_sortIS4_Lb0EPKjPjPS6_SC_NS0_19identity_decomposerEEE10hipError_tT1_T2_T3_T4_jRjT5_jjP12ihipStream_tbEUlT_E_NS1_11comp_targetILNS1_3genE3ELNS1_11target_archE908ELNS1_3gpuE7ELNS1_3repE0EEENS1_44radix_sort_block_sort_config_static_selectorELNS0_4arch9wavefront6targetE0EEEvSF_
		.amdhsa_group_segment_fixed_size 0
		.amdhsa_private_segment_fixed_size 0
		.amdhsa_kernarg_size 48
		.amdhsa_user_sgpr_count 2
		.amdhsa_user_sgpr_dispatch_ptr 0
		.amdhsa_user_sgpr_queue_ptr 0
		.amdhsa_user_sgpr_kernarg_segment_ptr 1
		.amdhsa_user_sgpr_dispatch_id 0
		.amdhsa_user_sgpr_kernarg_preload_length 0
		.amdhsa_user_sgpr_kernarg_preload_offset 0
		.amdhsa_user_sgpr_private_segment_size 0
		.amdhsa_wavefront_size32 1
		.amdhsa_uses_dynamic_stack 0
		.amdhsa_enable_private_segment 0
		.amdhsa_system_sgpr_workgroup_id_x 1
		.amdhsa_system_sgpr_workgroup_id_y 0
		.amdhsa_system_sgpr_workgroup_id_z 0
		.amdhsa_system_sgpr_workgroup_info 0
		.amdhsa_system_vgpr_workitem_id 0
		.amdhsa_next_free_vgpr 1
		.amdhsa_next_free_sgpr 1
		.amdhsa_named_barrier_count 0
		.amdhsa_reserve_vcc 0
		.amdhsa_float_round_mode_32 0
		.amdhsa_float_round_mode_16_64 0
		.amdhsa_float_denorm_mode_32 3
		.amdhsa_float_denorm_mode_16_64 3
		.amdhsa_fp16_overflow 0
		.amdhsa_memory_ordered 1
		.amdhsa_forward_progress 1
		.amdhsa_inst_pref_size 0
		.amdhsa_round_robin_scheduling 0
		.amdhsa_exception_fp_ieee_invalid_op 0
		.amdhsa_exception_fp_denorm_src 0
		.amdhsa_exception_fp_ieee_div_zero 0
		.amdhsa_exception_fp_ieee_overflow 0
		.amdhsa_exception_fp_ieee_underflow 0
		.amdhsa_exception_fp_ieee_inexact 0
		.amdhsa_exception_int_div_zero 0
	.end_amdhsa_kernel
	.section	.text._ZN7rocprim17ROCPRIM_400000_NS6detail17trampoline_kernelINS0_13kernel_configILj256ELj4ELj4294967295EEENS1_37radix_sort_block_sort_config_selectorIjNS0_10empty_typeEEEZNS1_21radix_sort_block_sortIS4_Lb0EPKjPjPS6_SC_NS0_19identity_decomposerEEE10hipError_tT1_T2_T3_T4_jRjT5_jjP12ihipStream_tbEUlT_E_NS1_11comp_targetILNS1_3genE3ELNS1_11target_archE908ELNS1_3gpuE7ELNS1_3repE0EEENS1_44radix_sort_block_sort_config_static_selectorELNS0_4arch9wavefront6targetE0EEEvSF_,"axG",@progbits,_ZN7rocprim17ROCPRIM_400000_NS6detail17trampoline_kernelINS0_13kernel_configILj256ELj4ELj4294967295EEENS1_37radix_sort_block_sort_config_selectorIjNS0_10empty_typeEEEZNS1_21radix_sort_block_sortIS4_Lb0EPKjPjPS6_SC_NS0_19identity_decomposerEEE10hipError_tT1_T2_T3_T4_jRjT5_jjP12ihipStream_tbEUlT_E_NS1_11comp_targetILNS1_3genE3ELNS1_11target_archE908ELNS1_3gpuE7ELNS1_3repE0EEENS1_44radix_sort_block_sort_config_static_selectorELNS0_4arch9wavefront6targetE0EEEvSF_,comdat
.Lfunc_end2672:
	.size	_ZN7rocprim17ROCPRIM_400000_NS6detail17trampoline_kernelINS0_13kernel_configILj256ELj4ELj4294967295EEENS1_37radix_sort_block_sort_config_selectorIjNS0_10empty_typeEEEZNS1_21radix_sort_block_sortIS4_Lb0EPKjPjPS6_SC_NS0_19identity_decomposerEEE10hipError_tT1_T2_T3_T4_jRjT5_jjP12ihipStream_tbEUlT_E_NS1_11comp_targetILNS1_3genE3ELNS1_11target_archE908ELNS1_3gpuE7ELNS1_3repE0EEENS1_44radix_sort_block_sort_config_static_selectorELNS0_4arch9wavefront6targetE0EEEvSF_, .Lfunc_end2672-_ZN7rocprim17ROCPRIM_400000_NS6detail17trampoline_kernelINS0_13kernel_configILj256ELj4ELj4294967295EEENS1_37radix_sort_block_sort_config_selectorIjNS0_10empty_typeEEEZNS1_21radix_sort_block_sortIS4_Lb0EPKjPjPS6_SC_NS0_19identity_decomposerEEE10hipError_tT1_T2_T3_T4_jRjT5_jjP12ihipStream_tbEUlT_E_NS1_11comp_targetILNS1_3genE3ELNS1_11target_archE908ELNS1_3gpuE7ELNS1_3repE0EEENS1_44radix_sort_block_sort_config_static_selectorELNS0_4arch9wavefront6targetE0EEEvSF_
                                        ; -- End function
	.set _ZN7rocprim17ROCPRIM_400000_NS6detail17trampoline_kernelINS0_13kernel_configILj256ELj4ELj4294967295EEENS1_37radix_sort_block_sort_config_selectorIjNS0_10empty_typeEEEZNS1_21radix_sort_block_sortIS4_Lb0EPKjPjPS6_SC_NS0_19identity_decomposerEEE10hipError_tT1_T2_T3_T4_jRjT5_jjP12ihipStream_tbEUlT_E_NS1_11comp_targetILNS1_3genE3ELNS1_11target_archE908ELNS1_3gpuE7ELNS1_3repE0EEENS1_44radix_sort_block_sort_config_static_selectorELNS0_4arch9wavefront6targetE0EEEvSF_.num_vgpr, 0
	.set _ZN7rocprim17ROCPRIM_400000_NS6detail17trampoline_kernelINS0_13kernel_configILj256ELj4ELj4294967295EEENS1_37radix_sort_block_sort_config_selectorIjNS0_10empty_typeEEEZNS1_21radix_sort_block_sortIS4_Lb0EPKjPjPS6_SC_NS0_19identity_decomposerEEE10hipError_tT1_T2_T3_T4_jRjT5_jjP12ihipStream_tbEUlT_E_NS1_11comp_targetILNS1_3genE3ELNS1_11target_archE908ELNS1_3gpuE7ELNS1_3repE0EEENS1_44radix_sort_block_sort_config_static_selectorELNS0_4arch9wavefront6targetE0EEEvSF_.num_agpr, 0
	.set _ZN7rocprim17ROCPRIM_400000_NS6detail17trampoline_kernelINS0_13kernel_configILj256ELj4ELj4294967295EEENS1_37radix_sort_block_sort_config_selectorIjNS0_10empty_typeEEEZNS1_21radix_sort_block_sortIS4_Lb0EPKjPjPS6_SC_NS0_19identity_decomposerEEE10hipError_tT1_T2_T3_T4_jRjT5_jjP12ihipStream_tbEUlT_E_NS1_11comp_targetILNS1_3genE3ELNS1_11target_archE908ELNS1_3gpuE7ELNS1_3repE0EEENS1_44radix_sort_block_sort_config_static_selectorELNS0_4arch9wavefront6targetE0EEEvSF_.numbered_sgpr, 0
	.set _ZN7rocprim17ROCPRIM_400000_NS6detail17trampoline_kernelINS0_13kernel_configILj256ELj4ELj4294967295EEENS1_37radix_sort_block_sort_config_selectorIjNS0_10empty_typeEEEZNS1_21radix_sort_block_sortIS4_Lb0EPKjPjPS6_SC_NS0_19identity_decomposerEEE10hipError_tT1_T2_T3_T4_jRjT5_jjP12ihipStream_tbEUlT_E_NS1_11comp_targetILNS1_3genE3ELNS1_11target_archE908ELNS1_3gpuE7ELNS1_3repE0EEENS1_44radix_sort_block_sort_config_static_selectorELNS0_4arch9wavefront6targetE0EEEvSF_.num_named_barrier, 0
	.set _ZN7rocprim17ROCPRIM_400000_NS6detail17trampoline_kernelINS0_13kernel_configILj256ELj4ELj4294967295EEENS1_37radix_sort_block_sort_config_selectorIjNS0_10empty_typeEEEZNS1_21radix_sort_block_sortIS4_Lb0EPKjPjPS6_SC_NS0_19identity_decomposerEEE10hipError_tT1_T2_T3_T4_jRjT5_jjP12ihipStream_tbEUlT_E_NS1_11comp_targetILNS1_3genE3ELNS1_11target_archE908ELNS1_3gpuE7ELNS1_3repE0EEENS1_44radix_sort_block_sort_config_static_selectorELNS0_4arch9wavefront6targetE0EEEvSF_.private_seg_size, 0
	.set _ZN7rocprim17ROCPRIM_400000_NS6detail17trampoline_kernelINS0_13kernel_configILj256ELj4ELj4294967295EEENS1_37radix_sort_block_sort_config_selectorIjNS0_10empty_typeEEEZNS1_21radix_sort_block_sortIS4_Lb0EPKjPjPS6_SC_NS0_19identity_decomposerEEE10hipError_tT1_T2_T3_T4_jRjT5_jjP12ihipStream_tbEUlT_E_NS1_11comp_targetILNS1_3genE3ELNS1_11target_archE908ELNS1_3gpuE7ELNS1_3repE0EEENS1_44radix_sort_block_sort_config_static_selectorELNS0_4arch9wavefront6targetE0EEEvSF_.uses_vcc, 0
	.set _ZN7rocprim17ROCPRIM_400000_NS6detail17trampoline_kernelINS0_13kernel_configILj256ELj4ELj4294967295EEENS1_37radix_sort_block_sort_config_selectorIjNS0_10empty_typeEEEZNS1_21radix_sort_block_sortIS4_Lb0EPKjPjPS6_SC_NS0_19identity_decomposerEEE10hipError_tT1_T2_T3_T4_jRjT5_jjP12ihipStream_tbEUlT_E_NS1_11comp_targetILNS1_3genE3ELNS1_11target_archE908ELNS1_3gpuE7ELNS1_3repE0EEENS1_44radix_sort_block_sort_config_static_selectorELNS0_4arch9wavefront6targetE0EEEvSF_.uses_flat_scratch, 0
	.set _ZN7rocprim17ROCPRIM_400000_NS6detail17trampoline_kernelINS0_13kernel_configILj256ELj4ELj4294967295EEENS1_37radix_sort_block_sort_config_selectorIjNS0_10empty_typeEEEZNS1_21radix_sort_block_sortIS4_Lb0EPKjPjPS6_SC_NS0_19identity_decomposerEEE10hipError_tT1_T2_T3_T4_jRjT5_jjP12ihipStream_tbEUlT_E_NS1_11comp_targetILNS1_3genE3ELNS1_11target_archE908ELNS1_3gpuE7ELNS1_3repE0EEENS1_44radix_sort_block_sort_config_static_selectorELNS0_4arch9wavefront6targetE0EEEvSF_.has_dyn_sized_stack, 0
	.set _ZN7rocprim17ROCPRIM_400000_NS6detail17trampoline_kernelINS0_13kernel_configILj256ELj4ELj4294967295EEENS1_37radix_sort_block_sort_config_selectorIjNS0_10empty_typeEEEZNS1_21radix_sort_block_sortIS4_Lb0EPKjPjPS6_SC_NS0_19identity_decomposerEEE10hipError_tT1_T2_T3_T4_jRjT5_jjP12ihipStream_tbEUlT_E_NS1_11comp_targetILNS1_3genE3ELNS1_11target_archE908ELNS1_3gpuE7ELNS1_3repE0EEENS1_44radix_sort_block_sort_config_static_selectorELNS0_4arch9wavefront6targetE0EEEvSF_.has_recursion, 0
	.set _ZN7rocprim17ROCPRIM_400000_NS6detail17trampoline_kernelINS0_13kernel_configILj256ELj4ELj4294967295EEENS1_37radix_sort_block_sort_config_selectorIjNS0_10empty_typeEEEZNS1_21radix_sort_block_sortIS4_Lb0EPKjPjPS6_SC_NS0_19identity_decomposerEEE10hipError_tT1_T2_T3_T4_jRjT5_jjP12ihipStream_tbEUlT_E_NS1_11comp_targetILNS1_3genE3ELNS1_11target_archE908ELNS1_3gpuE7ELNS1_3repE0EEENS1_44radix_sort_block_sort_config_static_selectorELNS0_4arch9wavefront6targetE0EEEvSF_.has_indirect_call, 0
	.section	.AMDGPU.csdata,"",@progbits
; Kernel info:
; codeLenInByte = 0
; TotalNumSgprs: 0
; NumVgprs: 0
; ScratchSize: 0
; MemoryBound: 0
; FloatMode: 240
; IeeeMode: 1
; LDSByteSize: 0 bytes/workgroup (compile time only)
; SGPRBlocks: 0
; VGPRBlocks: 0
; NumSGPRsForWavesPerEU: 1
; NumVGPRsForWavesPerEU: 1
; NamedBarCnt: 0
; Occupancy: 16
; WaveLimiterHint : 0
; COMPUTE_PGM_RSRC2:SCRATCH_EN: 0
; COMPUTE_PGM_RSRC2:USER_SGPR: 2
; COMPUTE_PGM_RSRC2:TRAP_HANDLER: 0
; COMPUTE_PGM_RSRC2:TGID_X_EN: 1
; COMPUTE_PGM_RSRC2:TGID_Y_EN: 0
; COMPUTE_PGM_RSRC2:TGID_Z_EN: 0
; COMPUTE_PGM_RSRC2:TIDIG_COMP_CNT: 0
	.section	.text._ZN7rocprim17ROCPRIM_400000_NS6detail17trampoline_kernelINS0_13kernel_configILj256ELj4ELj4294967295EEENS1_37radix_sort_block_sort_config_selectorIjNS0_10empty_typeEEEZNS1_21radix_sort_block_sortIS4_Lb0EPKjPjPS6_SC_NS0_19identity_decomposerEEE10hipError_tT1_T2_T3_T4_jRjT5_jjP12ihipStream_tbEUlT_E_NS1_11comp_targetILNS1_3genE2ELNS1_11target_archE906ELNS1_3gpuE6ELNS1_3repE0EEENS1_44radix_sort_block_sort_config_static_selectorELNS0_4arch9wavefront6targetE0EEEvSF_,"axG",@progbits,_ZN7rocprim17ROCPRIM_400000_NS6detail17trampoline_kernelINS0_13kernel_configILj256ELj4ELj4294967295EEENS1_37radix_sort_block_sort_config_selectorIjNS0_10empty_typeEEEZNS1_21radix_sort_block_sortIS4_Lb0EPKjPjPS6_SC_NS0_19identity_decomposerEEE10hipError_tT1_T2_T3_T4_jRjT5_jjP12ihipStream_tbEUlT_E_NS1_11comp_targetILNS1_3genE2ELNS1_11target_archE906ELNS1_3gpuE6ELNS1_3repE0EEENS1_44radix_sort_block_sort_config_static_selectorELNS0_4arch9wavefront6targetE0EEEvSF_,comdat
	.protected	_ZN7rocprim17ROCPRIM_400000_NS6detail17trampoline_kernelINS0_13kernel_configILj256ELj4ELj4294967295EEENS1_37radix_sort_block_sort_config_selectorIjNS0_10empty_typeEEEZNS1_21radix_sort_block_sortIS4_Lb0EPKjPjPS6_SC_NS0_19identity_decomposerEEE10hipError_tT1_T2_T3_T4_jRjT5_jjP12ihipStream_tbEUlT_E_NS1_11comp_targetILNS1_3genE2ELNS1_11target_archE906ELNS1_3gpuE6ELNS1_3repE0EEENS1_44radix_sort_block_sort_config_static_selectorELNS0_4arch9wavefront6targetE0EEEvSF_ ; -- Begin function _ZN7rocprim17ROCPRIM_400000_NS6detail17trampoline_kernelINS0_13kernel_configILj256ELj4ELj4294967295EEENS1_37radix_sort_block_sort_config_selectorIjNS0_10empty_typeEEEZNS1_21radix_sort_block_sortIS4_Lb0EPKjPjPS6_SC_NS0_19identity_decomposerEEE10hipError_tT1_T2_T3_T4_jRjT5_jjP12ihipStream_tbEUlT_E_NS1_11comp_targetILNS1_3genE2ELNS1_11target_archE906ELNS1_3gpuE6ELNS1_3repE0EEENS1_44radix_sort_block_sort_config_static_selectorELNS0_4arch9wavefront6targetE0EEEvSF_
	.globl	_ZN7rocprim17ROCPRIM_400000_NS6detail17trampoline_kernelINS0_13kernel_configILj256ELj4ELj4294967295EEENS1_37radix_sort_block_sort_config_selectorIjNS0_10empty_typeEEEZNS1_21radix_sort_block_sortIS4_Lb0EPKjPjPS6_SC_NS0_19identity_decomposerEEE10hipError_tT1_T2_T3_T4_jRjT5_jjP12ihipStream_tbEUlT_E_NS1_11comp_targetILNS1_3genE2ELNS1_11target_archE906ELNS1_3gpuE6ELNS1_3repE0EEENS1_44radix_sort_block_sort_config_static_selectorELNS0_4arch9wavefront6targetE0EEEvSF_
	.p2align	8
	.type	_ZN7rocprim17ROCPRIM_400000_NS6detail17trampoline_kernelINS0_13kernel_configILj256ELj4ELj4294967295EEENS1_37radix_sort_block_sort_config_selectorIjNS0_10empty_typeEEEZNS1_21radix_sort_block_sortIS4_Lb0EPKjPjPS6_SC_NS0_19identity_decomposerEEE10hipError_tT1_T2_T3_T4_jRjT5_jjP12ihipStream_tbEUlT_E_NS1_11comp_targetILNS1_3genE2ELNS1_11target_archE906ELNS1_3gpuE6ELNS1_3repE0EEENS1_44radix_sort_block_sort_config_static_selectorELNS0_4arch9wavefront6targetE0EEEvSF_,@function
_ZN7rocprim17ROCPRIM_400000_NS6detail17trampoline_kernelINS0_13kernel_configILj256ELj4ELj4294967295EEENS1_37radix_sort_block_sort_config_selectorIjNS0_10empty_typeEEEZNS1_21radix_sort_block_sortIS4_Lb0EPKjPjPS6_SC_NS0_19identity_decomposerEEE10hipError_tT1_T2_T3_T4_jRjT5_jjP12ihipStream_tbEUlT_E_NS1_11comp_targetILNS1_3genE2ELNS1_11target_archE906ELNS1_3gpuE6ELNS1_3repE0EEENS1_44radix_sort_block_sort_config_static_selectorELNS0_4arch9wavefront6targetE0EEEvSF_: ; @_ZN7rocprim17ROCPRIM_400000_NS6detail17trampoline_kernelINS0_13kernel_configILj256ELj4ELj4294967295EEENS1_37radix_sort_block_sort_config_selectorIjNS0_10empty_typeEEEZNS1_21radix_sort_block_sortIS4_Lb0EPKjPjPS6_SC_NS0_19identity_decomposerEEE10hipError_tT1_T2_T3_T4_jRjT5_jjP12ihipStream_tbEUlT_E_NS1_11comp_targetILNS1_3genE2ELNS1_11target_archE906ELNS1_3gpuE6ELNS1_3repE0EEENS1_44radix_sort_block_sort_config_static_selectorELNS0_4arch9wavefront6targetE0EEEvSF_
; %bb.0:
	.section	.rodata,"a",@progbits
	.p2align	6, 0x0
	.amdhsa_kernel _ZN7rocprim17ROCPRIM_400000_NS6detail17trampoline_kernelINS0_13kernel_configILj256ELj4ELj4294967295EEENS1_37radix_sort_block_sort_config_selectorIjNS0_10empty_typeEEEZNS1_21radix_sort_block_sortIS4_Lb0EPKjPjPS6_SC_NS0_19identity_decomposerEEE10hipError_tT1_T2_T3_T4_jRjT5_jjP12ihipStream_tbEUlT_E_NS1_11comp_targetILNS1_3genE2ELNS1_11target_archE906ELNS1_3gpuE6ELNS1_3repE0EEENS1_44radix_sort_block_sort_config_static_selectorELNS0_4arch9wavefront6targetE0EEEvSF_
		.amdhsa_group_segment_fixed_size 0
		.amdhsa_private_segment_fixed_size 0
		.amdhsa_kernarg_size 48
		.amdhsa_user_sgpr_count 2
		.amdhsa_user_sgpr_dispatch_ptr 0
		.amdhsa_user_sgpr_queue_ptr 0
		.amdhsa_user_sgpr_kernarg_segment_ptr 1
		.amdhsa_user_sgpr_dispatch_id 0
		.amdhsa_user_sgpr_kernarg_preload_length 0
		.amdhsa_user_sgpr_kernarg_preload_offset 0
		.amdhsa_user_sgpr_private_segment_size 0
		.amdhsa_wavefront_size32 1
		.amdhsa_uses_dynamic_stack 0
		.amdhsa_enable_private_segment 0
		.amdhsa_system_sgpr_workgroup_id_x 1
		.amdhsa_system_sgpr_workgroup_id_y 0
		.amdhsa_system_sgpr_workgroup_id_z 0
		.amdhsa_system_sgpr_workgroup_info 0
		.amdhsa_system_vgpr_workitem_id 0
		.amdhsa_next_free_vgpr 1
		.amdhsa_next_free_sgpr 1
		.amdhsa_named_barrier_count 0
		.amdhsa_reserve_vcc 0
		.amdhsa_float_round_mode_32 0
		.amdhsa_float_round_mode_16_64 0
		.amdhsa_float_denorm_mode_32 3
		.amdhsa_float_denorm_mode_16_64 3
		.amdhsa_fp16_overflow 0
		.amdhsa_memory_ordered 1
		.amdhsa_forward_progress 1
		.amdhsa_inst_pref_size 0
		.amdhsa_round_robin_scheduling 0
		.amdhsa_exception_fp_ieee_invalid_op 0
		.amdhsa_exception_fp_denorm_src 0
		.amdhsa_exception_fp_ieee_div_zero 0
		.amdhsa_exception_fp_ieee_overflow 0
		.amdhsa_exception_fp_ieee_underflow 0
		.amdhsa_exception_fp_ieee_inexact 0
		.amdhsa_exception_int_div_zero 0
	.end_amdhsa_kernel
	.section	.text._ZN7rocprim17ROCPRIM_400000_NS6detail17trampoline_kernelINS0_13kernel_configILj256ELj4ELj4294967295EEENS1_37radix_sort_block_sort_config_selectorIjNS0_10empty_typeEEEZNS1_21radix_sort_block_sortIS4_Lb0EPKjPjPS6_SC_NS0_19identity_decomposerEEE10hipError_tT1_T2_T3_T4_jRjT5_jjP12ihipStream_tbEUlT_E_NS1_11comp_targetILNS1_3genE2ELNS1_11target_archE906ELNS1_3gpuE6ELNS1_3repE0EEENS1_44radix_sort_block_sort_config_static_selectorELNS0_4arch9wavefront6targetE0EEEvSF_,"axG",@progbits,_ZN7rocprim17ROCPRIM_400000_NS6detail17trampoline_kernelINS0_13kernel_configILj256ELj4ELj4294967295EEENS1_37radix_sort_block_sort_config_selectorIjNS0_10empty_typeEEEZNS1_21radix_sort_block_sortIS4_Lb0EPKjPjPS6_SC_NS0_19identity_decomposerEEE10hipError_tT1_T2_T3_T4_jRjT5_jjP12ihipStream_tbEUlT_E_NS1_11comp_targetILNS1_3genE2ELNS1_11target_archE906ELNS1_3gpuE6ELNS1_3repE0EEENS1_44radix_sort_block_sort_config_static_selectorELNS0_4arch9wavefront6targetE0EEEvSF_,comdat
.Lfunc_end2673:
	.size	_ZN7rocprim17ROCPRIM_400000_NS6detail17trampoline_kernelINS0_13kernel_configILj256ELj4ELj4294967295EEENS1_37radix_sort_block_sort_config_selectorIjNS0_10empty_typeEEEZNS1_21radix_sort_block_sortIS4_Lb0EPKjPjPS6_SC_NS0_19identity_decomposerEEE10hipError_tT1_T2_T3_T4_jRjT5_jjP12ihipStream_tbEUlT_E_NS1_11comp_targetILNS1_3genE2ELNS1_11target_archE906ELNS1_3gpuE6ELNS1_3repE0EEENS1_44radix_sort_block_sort_config_static_selectorELNS0_4arch9wavefront6targetE0EEEvSF_, .Lfunc_end2673-_ZN7rocprim17ROCPRIM_400000_NS6detail17trampoline_kernelINS0_13kernel_configILj256ELj4ELj4294967295EEENS1_37radix_sort_block_sort_config_selectorIjNS0_10empty_typeEEEZNS1_21radix_sort_block_sortIS4_Lb0EPKjPjPS6_SC_NS0_19identity_decomposerEEE10hipError_tT1_T2_T3_T4_jRjT5_jjP12ihipStream_tbEUlT_E_NS1_11comp_targetILNS1_3genE2ELNS1_11target_archE906ELNS1_3gpuE6ELNS1_3repE0EEENS1_44radix_sort_block_sort_config_static_selectorELNS0_4arch9wavefront6targetE0EEEvSF_
                                        ; -- End function
	.set _ZN7rocprim17ROCPRIM_400000_NS6detail17trampoline_kernelINS0_13kernel_configILj256ELj4ELj4294967295EEENS1_37radix_sort_block_sort_config_selectorIjNS0_10empty_typeEEEZNS1_21radix_sort_block_sortIS4_Lb0EPKjPjPS6_SC_NS0_19identity_decomposerEEE10hipError_tT1_T2_T3_T4_jRjT5_jjP12ihipStream_tbEUlT_E_NS1_11comp_targetILNS1_3genE2ELNS1_11target_archE906ELNS1_3gpuE6ELNS1_3repE0EEENS1_44radix_sort_block_sort_config_static_selectorELNS0_4arch9wavefront6targetE0EEEvSF_.num_vgpr, 0
	.set _ZN7rocprim17ROCPRIM_400000_NS6detail17trampoline_kernelINS0_13kernel_configILj256ELj4ELj4294967295EEENS1_37radix_sort_block_sort_config_selectorIjNS0_10empty_typeEEEZNS1_21radix_sort_block_sortIS4_Lb0EPKjPjPS6_SC_NS0_19identity_decomposerEEE10hipError_tT1_T2_T3_T4_jRjT5_jjP12ihipStream_tbEUlT_E_NS1_11comp_targetILNS1_3genE2ELNS1_11target_archE906ELNS1_3gpuE6ELNS1_3repE0EEENS1_44radix_sort_block_sort_config_static_selectorELNS0_4arch9wavefront6targetE0EEEvSF_.num_agpr, 0
	.set _ZN7rocprim17ROCPRIM_400000_NS6detail17trampoline_kernelINS0_13kernel_configILj256ELj4ELj4294967295EEENS1_37radix_sort_block_sort_config_selectorIjNS0_10empty_typeEEEZNS1_21radix_sort_block_sortIS4_Lb0EPKjPjPS6_SC_NS0_19identity_decomposerEEE10hipError_tT1_T2_T3_T4_jRjT5_jjP12ihipStream_tbEUlT_E_NS1_11comp_targetILNS1_3genE2ELNS1_11target_archE906ELNS1_3gpuE6ELNS1_3repE0EEENS1_44radix_sort_block_sort_config_static_selectorELNS0_4arch9wavefront6targetE0EEEvSF_.numbered_sgpr, 0
	.set _ZN7rocprim17ROCPRIM_400000_NS6detail17trampoline_kernelINS0_13kernel_configILj256ELj4ELj4294967295EEENS1_37radix_sort_block_sort_config_selectorIjNS0_10empty_typeEEEZNS1_21radix_sort_block_sortIS4_Lb0EPKjPjPS6_SC_NS0_19identity_decomposerEEE10hipError_tT1_T2_T3_T4_jRjT5_jjP12ihipStream_tbEUlT_E_NS1_11comp_targetILNS1_3genE2ELNS1_11target_archE906ELNS1_3gpuE6ELNS1_3repE0EEENS1_44radix_sort_block_sort_config_static_selectorELNS0_4arch9wavefront6targetE0EEEvSF_.num_named_barrier, 0
	.set _ZN7rocprim17ROCPRIM_400000_NS6detail17trampoline_kernelINS0_13kernel_configILj256ELj4ELj4294967295EEENS1_37radix_sort_block_sort_config_selectorIjNS0_10empty_typeEEEZNS1_21radix_sort_block_sortIS4_Lb0EPKjPjPS6_SC_NS0_19identity_decomposerEEE10hipError_tT1_T2_T3_T4_jRjT5_jjP12ihipStream_tbEUlT_E_NS1_11comp_targetILNS1_3genE2ELNS1_11target_archE906ELNS1_3gpuE6ELNS1_3repE0EEENS1_44radix_sort_block_sort_config_static_selectorELNS0_4arch9wavefront6targetE0EEEvSF_.private_seg_size, 0
	.set _ZN7rocprim17ROCPRIM_400000_NS6detail17trampoline_kernelINS0_13kernel_configILj256ELj4ELj4294967295EEENS1_37radix_sort_block_sort_config_selectorIjNS0_10empty_typeEEEZNS1_21radix_sort_block_sortIS4_Lb0EPKjPjPS6_SC_NS0_19identity_decomposerEEE10hipError_tT1_T2_T3_T4_jRjT5_jjP12ihipStream_tbEUlT_E_NS1_11comp_targetILNS1_3genE2ELNS1_11target_archE906ELNS1_3gpuE6ELNS1_3repE0EEENS1_44radix_sort_block_sort_config_static_selectorELNS0_4arch9wavefront6targetE0EEEvSF_.uses_vcc, 0
	.set _ZN7rocprim17ROCPRIM_400000_NS6detail17trampoline_kernelINS0_13kernel_configILj256ELj4ELj4294967295EEENS1_37radix_sort_block_sort_config_selectorIjNS0_10empty_typeEEEZNS1_21radix_sort_block_sortIS4_Lb0EPKjPjPS6_SC_NS0_19identity_decomposerEEE10hipError_tT1_T2_T3_T4_jRjT5_jjP12ihipStream_tbEUlT_E_NS1_11comp_targetILNS1_3genE2ELNS1_11target_archE906ELNS1_3gpuE6ELNS1_3repE0EEENS1_44radix_sort_block_sort_config_static_selectorELNS0_4arch9wavefront6targetE0EEEvSF_.uses_flat_scratch, 0
	.set _ZN7rocprim17ROCPRIM_400000_NS6detail17trampoline_kernelINS0_13kernel_configILj256ELj4ELj4294967295EEENS1_37radix_sort_block_sort_config_selectorIjNS0_10empty_typeEEEZNS1_21radix_sort_block_sortIS4_Lb0EPKjPjPS6_SC_NS0_19identity_decomposerEEE10hipError_tT1_T2_T3_T4_jRjT5_jjP12ihipStream_tbEUlT_E_NS1_11comp_targetILNS1_3genE2ELNS1_11target_archE906ELNS1_3gpuE6ELNS1_3repE0EEENS1_44radix_sort_block_sort_config_static_selectorELNS0_4arch9wavefront6targetE0EEEvSF_.has_dyn_sized_stack, 0
	.set _ZN7rocprim17ROCPRIM_400000_NS6detail17trampoline_kernelINS0_13kernel_configILj256ELj4ELj4294967295EEENS1_37radix_sort_block_sort_config_selectorIjNS0_10empty_typeEEEZNS1_21radix_sort_block_sortIS4_Lb0EPKjPjPS6_SC_NS0_19identity_decomposerEEE10hipError_tT1_T2_T3_T4_jRjT5_jjP12ihipStream_tbEUlT_E_NS1_11comp_targetILNS1_3genE2ELNS1_11target_archE906ELNS1_3gpuE6ELNS1_3repE0EEENS1_44radix_sort_block_sort_config_static_selectorELNS0_4arch9wavefront6targetE0EEEvSF_.has_recursion, 0
	.set _ZN7rocprim17ROCPRIM_400000_NS6detail17trampoline_kernelINS0_13kernel_configILj256ELj4ELj4294967295EEENS1_37radix_sort_block_sort_config_selectorIjNS0_10empty_typeEEEZNS1_21radix_sort_block_sortIS4_Lb0EPKjPjPS6_SC_NS0_19identity_decomposerEEE10hipError_tT1_T2_T3_T4_jRjT5_jjP12ihipStream_tbEUlT_E_NS1_11comp_targetILNS1_3genE2ELNS1_11target_archE906ELNS1_3gpuE6ELNS1_3repE0EEENS1_44radix_sort_block_sort_config_static_selectorELNS0_4arch9wavefront6targetE0EEEvSF_.has_indirect_call, 0
	.section	.AMDGPU.csdata,"",@progbits
; Kernel info:
; codeLenInByte = 0
; TotalNumSgprs: 0
; NumVgprs: 0
; ScratchSize: 0
; MemoryBound: 0
; FloatMode: 240
; IeeeMode: 1
; LDSByteSize: 0 bytes/workgroup (compile time only)
; SGPRBlocks: 0
; VGPRBlocks: 0
; NumSGPRsForWavesPerEU: 1
; NumVGPRsForWavesPerEU: 1
; NamedBarCnt: 0
; Occupancy: 16
; WaveLimiterHint : 0
; COMPUTE_PGM_RSRC2:SCRATCH_EN: 0
; COMPUTE_PGM_RSRC2:USER_SGPR: 2
; COMPUTE_PGM_RSRC2:TRAP_HANDLER: 0
; COMPUTE_PGM_RSRC2:TGID_X_EN: 1
; COMPUTE_PGM_RSRC2:TGID_Y_EN: 0
; COMPUTE_PGM_RSRC2:TGID_Z_EN: 0
; COMPUTE_PGM_RSRC2:TIDIG_COMP_CNT: 0
	.section	.text._ZN7rocprim17ROCPRIM_400000_NS6detail17trampoline_kernelINS0_13kernel_configILj256ELj4ELj4294967295EEENS1_37radix_sort_block_sort_config_selectorIjNS0_10empty_typeEEEZNS1_21radix_sort_block_sortIS4_Lb0EPKjPjPS6_SC_NS0_19identity_decomposerEEE10hipError_tT1_T2_T3_T4_jRjT5_jjP12ihipStream_tbEUlT_E_NS1_11comp_targetILNS1_3genE10ELNS1_11target_archE1201ELNS1_3gpuE5ELNS1_3repE0EEENS1_44radix_sort_block_sort_config_static_selectorELNS0_4arch9wavefront6targetE0EEEvSF_,"axG",@progbits,_ZN7rocprim17ROCPRIM_400000_NS6detail17trampoline_kernelINS0_13kernel_configILj256ELj4ELj4294967295EEENS1_37radix_sort_block_sort_config_selectorIjNS0_10empty_typeEEEZNS1_21radix_sort_block_sortIS4_Lb0EPKjPjPS6_SC_NS0_19identity_decomposerEEE10hipError_tT1_T2_T3_T4_jRjT5_jjP12ihipStream_tbEUlT_E_NS1_11comp_targetILNS1_3genE10ELNS1_11target_archE1201ELNS1_3gpuE5ELNS1_3repE0EEENS1_44radix_sort_block_sort_config_static_selectorELNS0_4arch9wavefront6targetE0EEEvSF_,comdat
	.protected	_ZN7rocprim17ROCPRIM_400000_NS6detail17trampoline_kernelINS0_13kernel_configILj256ELj4ELj4294967295EEENS1_37radix_sort_block_sort_config_selectorIjNS0_10empty_typeEEEZNS1_21radix_sort_block_sortIS4_Lb0EPKjPjPS6_SC_NS0_19identity_decomposerEEE10hipError_tT1_T2_T3_T4_jRjT5_jjP12ihipStream_tbEUlT_E_NS1_11comp_targetILNS1_3genE10ELNS1_11target_archE1201ELNS1_3gpuE5ELNS1_3repE0EEENS1_44radix_sort_block_sort_config_static_selectorELNS0_4arch9wavefront6targetE0EEEvSF_ ; -- Begin function _ZN7rocprim17ROCPRIM_400000_NS6detail17trampoline_kernelINS0_13kernel_configILj256ELj4ELj4294967295EEENS1_37radix_sort_block_sort_config_selectorIjNS0_10empty_typeEEEZNS1_21radix_sort_block_sortIS4_Lb0EPKjPjPS6_SC_NS0_19identity_decomposerEEE10hipError_tT1_T2_T3_T4_jRjT5_jjP12ihipStream_tbEUlT_E_NS1_11comp_targetILNS1_3genE10ELNS1_11target_archE1201ELNS1_3gpuE5ELNS1_3repE0EEENS1_44radix_sort_block_sort_config_static_selectorELNS0_4arch9wavefront6targetE0EEEvSF_
	.globl	_ZN7rocprim17ROCPRIM_400000_NS6detail17trampoline_kernelINS0_13kernel_configILj256ELj4ELj4294967295EEENS1_37radix_sort_block_sort_config_selectorIjNS0_10empty_typeEEEZNS1_21radix_sort_block_sortIS4_Lb0EPKjPjPS6_SC_NS0_19identity_decomposerEEE10hipError_tT1_T2_T3_T4_jRjT5_jjP12ihipStream_tbEUlT_E_NS1_11comp_targetILNS1_3genE10ELNS1_11target_archE1201ELNS1_3gpuE5ELNS1_3repE0EEENS1_44radix_sort_block_sort_config_static_selectorELNS0_4arch9wavefront6targetE0EEEvSF_
	.p2align	8
	.type	_ZN7rocprim17ROCPRIM_400000_NS6detail17trampoline_kernelINS0_13kernel_configILj256ELj4ELj4294967295EEENS1_37radix_sort_block_sort_config_selectorIjNS0_10empty_typeEEEZNS1_21radix_sort_block_sortIS4_Lb0EPKjPjPS6_SC_NS0_19identity_decomposerEEE10hipError_tT1_T2_T3_T4_jRjT5_jjP12ihipStream_tbEUlT_E_NS1_11comp_targetILNS1_3genE10ELNS1_11target_archE1201ELNS1_3gpuE5ELNS1_3repE0EEENS1_44radix_sort_block_sort_config_static_selectorELNS0_4arch9wavefront6targetE0EEEvSF_,@function
_ZN7rocprim17ROCPRIM_400000_NS6detail17trampoline_kernelINS0_13kernel_configILj256ELj4ELj4294967295EEENS1_37radix_sort_block_sort_config_selectorIjNS0_10empty_typeEEEZNS1_21radix_sort_block_sortIS4_Lb0EPKjPjPS6_SC_NS0_19identity_decomposerEEE10hipError_tT1_T2_T3_T4_jRjT5_jjP12ihipStream_tbEUlT_E_NS1_11comp_targetILNS1_3genE10ELNS1_11target_archE1201ELNS1_3gpuE5ELNS1_3repE0EEENS1_44radix_sort_block_sort_config_static_selectorELNS0_4arch9wavefront6targetE0EEEvSF_: ; @_ZN7rocprim17ROCPRIM_400000_NS6detail17trampoline_kernelINS0_13kernel_configILj256ELj4ELj4294967295EEENS1_37radix_sort_block_sort_config_selectorIjNS0_10empty_typeEEEZNS1_21radix_sort_block_sortIS4_Lb0EPKjPjPS6_SC_NS0_19identity_decomposerEEE10hipError_tT1_T2_T3_T4_jRjT5_jjP12ihipStream_tbEUlT_E_NS1_11comp_targetILNS1_3genE10ELNS1_11target_archE1201ELNS1_3gpuE5ELNS1_3repE0EEENS1_44radix_sort_block_sort_config_static_selectorELNS0_4arch9wavefront6targetE0EEEvSF_
; %bb.0:
	.section	.rodata,"a",@progbits
	.p2align	6, 0x0
	.amdhsa_kernel _ZN7rocprim17ROCPRIM_400000_NS6detail17trampoline_kernelINS0_13kernel_configILj256ELj4ELj4294967295EEENS1_37radix_sort_block_sort_config_selectorIjNS0_10empty_typeEEEZNS1_21radix_sort_block_sortIS4_Lb0EPKjPjPS6_SC_NS0_19identity_decomposerEEE10hipError_tT1_T2_T3_T4_jRjT5_jjP12ihipStream_tbEUlT_E_NS1_11comp_targetILNS1_3genE10ELNS1_11target_archE1201ELNS1_3gpuE5ELNS1_3repE0EEENS1_44radix_sort_block_sort_config_static_selectorELNS0_4arch9wavefront6targetE0EEEvSF_
		.amdhsa_group_segment_fixed_size 0
		.amdhsa_private_segment_fixed_size 0
		.amdhsa_kernarg_size 48
		.amdhsa_user_sgpr_count 2
		.amdhsa_user_sgpr_dispatch_ptr 0
		.amdhsa_user_sgpr_queue_ptr 0
		.amdhsa_user_sgpr_kernarg_segment_ptr 1
		.amdhsa_user_sgpr_dispatch_id 0
		.amdhsa_user_sgpr_kernarg_preload_length 0
		.amdhsa_user_sgpr_kernarg_preload_offset 0
		.amdhsa_user_sgpr_private_segment_size 0
		.amdhsa_wavefront_size32 1
		.amdhsa_uses_dynamic_stack 0
		.amdhsa_enable_private_segment 0
		.amdhsa_system_sgpr_workgroup_id_x 1
		.amdhsa_system_sgpr_workgroup_id_y 0
		.amdhsa_system_sgpr_workgroup_id_z 0
		.amdhsa_system_sgpr_workgroup_info 0
		.amdhsa_system_vgpr_workitem_id 0
		.amdhsa_next_free_vgpr 1
		.amdhsa_next_free_sgpr 1
		.amdhsa_named_barrier_count 0
		.amdhsa_reserve_vcc 0
		.amdhsa_float_round_mode_32 0
		.amdhsa_float_round_mode_16_64 0
		.amdhsa_float_denorm_mode_32 3
		.amdhsa_float_denorm_mode_16_64 3
		.amdhsa_fp16_overflow 0
		.amdhsa_memory_ordered 1
		.amdhsa_forward_progress 1
		.amdhsa_inst_pref_size 0
		.amdhsa_round_robin_scheduling 0
		.amdhsa_exception_fp_ieee_invalid_op 0
		.amdhsa_exception_fp_denorm_src 0
		.amdhsa_exception_fp_ieee_div_zero 0
		.amdhsa_exception_fp_ieee_overflow 0
		.amdhsa_exception_fp_ieee_underflow 0
		.amdhsa_exception_fp_ieee_inexact 0
		.amdhsa_exception_int_div_zero 0
	.end_amdhsa_kernel
	.section	.text._ZN7rocprim17ROCPRIM_400000_NS6detail17trampoline_kernelINS0_13kernel_configILj256ELj4ELj4294967295EEENS1_37radix_sort_block_sort_config_selectorIjNS0_10empty_typeEEEZNS1_21radix_sort_block_sortIS4_Lb0EPKjPjPS6_SC_NS0_19identity_decomposerEEE10hipError_tT1_T2_T3_T4_jRjT5_jjP12ihipStream_tbEUlT_E_NS1_11comp_targetILNS1_3genE10ELNS1_11target_archE1201ELNS1_3gpuE5ELNS1_3repE0EEENS1_44radix_sort_block_sort_config_static_selectorELNS0_4arch9wavefront6targetE0EEEvSF_,"axG",@progbits,_ZN7rocprim17ROCPRIM_400000_NS6detail17trampoline_kernelINS0_13kernel_configILj256ELj4ELj4294967295EEENS1_37radix_sort_block_sort_config_selectorIjNS0_10empty_typeEEEZNS1_21radix_sort_block_sortIS4_Lb0EPKjPjPS6_SC_NS0_19identity_decomposerEEE10hipError_tT1_T2_T3_T4_jRjT5_jjP12ihipStream_tbEUlT_E_NS1_11comp_targetILNS1_3genE10ELNS1_11target_archE1201ELNS1_3gpuE5ELNS1_3repE0EEENS1_44radix_sort_block_sort_config_static_selectorELNS0_4arch9wavefront6targetE0EEEvSF_,comdat
.Lfunc_end2674:
	.size	_ZN7rocprim17ROCPRIM_400000_NS6detail17trampoline_kernelINS0_13kernel_configILj256ELj4ELj4294967295EEENS1_37radix_sort_block_sort_config_selectorIjNS0_10empty_typeEEEZNS1_21radix_sort_block_sortIS4_Lb0EPKjPjPS6_SC_NS0_19identity_decomposerEEE10hipError_tT1_T2_T3_T4_jRjT5_jjP12ihipStream_tbEUlT_E_NS1_11comp_targetILNS1_3genE10ELNS1_11target_archE1201ELNS1_3gpuE5ELNS1_3repE0EEENS1_44radix_sort_block_sort_config_static_selectorELNS0_4arch9wavefront6targetE0EEEvSF_, .Lfunc_end2674-_ZN7rocprim17ROCPRIM_400000_NS6detail17trampoline_kernelINS0_13kernel_configILj256ELj4ELj4294967295EEENS1_37radix_sort_block_sort_config_selectorIjNS0_10empty_typeEEEZNS1_21radix_sort_block_sortIS4_Lb0EPKjPjPS6_SC_NS0_19identity_decomposerEEE10hipError_tT1_T2_T3_T4_jRjT5_jjP12ihipStream_tbEUlT_E_NS1_11comp_targetILNS1_3genE10ELNS1_11target_archE1201ELNS1_3gpuE5ELNS1_3repE0EEENS1_44radix_sort_block_sort_config_static_selectorELNS0_4arch9wavefront6targetE0EEEvSF_
                                        ; -- End function
	.set _ZN7rocprim17ROCPRIM_400000_NS6detail17trampoline_kernelINS0_13kernel_configILj256ELj4ELj4294967295EEENS1_37radix_sort_block_sort_config_selectorIjNS0_10empty_typeEEEZNS1_21radix_sort_block_sortIS4_Lb0EPKjPjPS6_SC_NS0_19identity_decomposerEEE10hipError_tT1_T2_T3_T4_jRjT5_jjP12ihipStream_tbEUlT_E_NS1_11comp_targetILNS1_3genE10ELNS1_11target_archE1201ELNS1_3gpuE5ELNS1_3repE0EEENS1_44radix_sort_block_sort_config_static_selectorELNS0_4arch9wavefront6targetE0EEEvSF_.num_vgpr, 0
	.set _ZN7rocprim17ROCPRIM_400000_NS6detail17trampoline_kernelINS0_13kernel_configILj256ELj4ELj4294967295EEENS1_37radix_sort_block_sort_config_selectorIjNS0_10empty_typeEEEZNS1_21radix_sort_block_sortIS4_Lb0EPKjPjPS6_SC_NS0_19identity_decomposerEEE10hipError_tT1_T2_T3_T4_jRjT5_jjP12ihipStream_tbEUlT_E_NS1_11comp_targetILNS1_3genE10ELNS1_11target_archE1201ELNS1_3gpuE5ELNS1_3repE0EEENS1_44radix_sort_block_sort_config_static_selectorELNS0_4arch9wavefront6targetE0EEEvSF_.num_agpr, 0
	.set _ZN7rocprim17ROCPRIM_400000_NS6detail17trampoline_kernelINS0_13kernel_configILj256ELj4ELj4294967295EEENS1_37radix_sort_block_sort_config_selectorIjNS0_10empty_typeEEEZNS1_21radix_sort_block_sortIS4_Lb0EPKjPjPS6_SC_NS0_19identity_decomposerEEE10hipError_tT1_T2_T3_T4_jRjT5_jjP12ihipStream_tbEUlT_E_NS1_11comp_targetILNS1_3genE10ELNS1_11target_archE1201ELNS1_3gpuE5ELNS1_3repE0EEENS1_44radix_sort_block_sort_config_static_selectorELNS0_4arch9wavefront6targetE0EEEvSF_.numbered_sgpr, 0
	.set _ZN7rocprim17ROCPRIM_400000_NS6detail17trampoline_kernelINS0_13kernel_configILj256ELj4ELj4294967295EEENS1_37radix_sort_block_sort_config_selectorIjNS0_10empty_typeEEEZNS1_21radix_sort_block_sortIS4_Lb0EPKjPjPS6_SC_NS0_19identity_decomposerEEE10hipError_tT1_T2_T3_T4_jRjT5_jjP12ihipStream_tbEUlT_E_NS1_11comp_targetILNS1_3genE10ELNS1_11target_archE1201ELNS1_3gpuE5ELNS1_3repE0EEENS1_44radix_sort_block_sort_config_static_selectorELNS0_4arch9wavefront6targetE0EEEvSF_.num_named_barrier, 0
	.set _ZN7rocprim17ROCPRIM_400000_NS6detail17trampoline_kernelINS0_13kernel_configILj256ELj4ELj4294967295EEENS1_37radix_sort_block_sort_config_selectorIjNS0_10empty_typeEEEZNS1_21radix_sort_block_sortIS4_Lb0EPKjPjPS6_SC_NS0_19identity_decomposerEEE10hipError_tT1_T2_T3_T4_jRjT5_jjP12ihipStream_tbEUlT_E_NS1_11comp_targetILNS1_3genE10ELNS1_11target_archE1201ELNS1_3gpuE5ELNS1_3repE0EEENS1_44radix_sort_block_sort_config_static_selectorELNS0_4arch9wavefront6targetE0EEEvSF_.private_seg_size, 0
	.set _ZN7rocprim17ROCPRIM_400000_NS6detail17trampoline_kernelINS0_13kernel_configILj256ELj4ELj4294967295EEENS1_37radix_sort_block_sort_config_selectorIjNS0_10empty_typeEEEZNS1_21radix_sort_block_sortIS4_Lb0EPKjPjPS6_SC_NS0_19identity_decomposerEEE10hipError_tT1_T2_T3_T4_jRjT5_jjP12ihipStream_tbEUlT_E_NS1_11comp_targetILNS1_3genE10ELNS1_11target_archE1201ELNS1_3gpuE5ELNS1_3repE0EEENS1_44radix_sort_block_sort_config_static_selectorELNS0_4arch9wavefront6targetE0EEEvSF_.uses_vcc, 0
	.set _ZN7rocprim17ROCPRIM_400000_NS6detail17trampoline_kernelINS0_13kernel_configILj256ELj4ELj4294967295EEENS1_37radix_sort_block_sort_config_selectorIjNS0_10empty_typeEEEZNS1_21radix_sort_block_sortIS4_Lb0EPKjPjPS6_SC_NS0_19identity_decomposerEEE10hipError_tT1_T2_T3_T4_jRjT5_jjP12ihipStream_tbEUlT_E_NS1_11comp_targetILNS1_3genE10ELNS1_11target_archE1201ELNS1_3gpuE5ELNS1_3repE0EEENS1_44radix_sort_block_sort_config_static_selectorELNS0_4arch9wavefront6targetE0EEEvSF_.uses_flat_scratch, 0
	.set _ZN7rocprim17ROCPRIM_400000_NS6detail17trampoline_kernelINS0_13kernel_configILj256ELj4ELj4294967295EEENS1_37radix_sort_block_sort_config_selectorIjNS0_10empty_typeEEEZNS1_21radix_sort_block_sortIS4_Lb0EPKjPjPS6_SC_NS0_19identity_decomposerEEE10hipError_tT1_T2_T3_T4_jRjT5_jjP12ihipStream_tbEUlT_E_NS1_11comp_targetILNS1_3genE10ELNS1_11target_archE1201ELNS1_3gpuE5ELNS1_3repE0EEENS1_44radix_sort_block_sort_config_static_selectorELNS0_4arch9wavefront6targetE0EEEvSF_.has_dyn_sized_stack, 0
	.set _ZN7rocprim17ROCPRIM_400000_NS6detail17trampoline_kernelINS0_13kernel_configILj256ELj4ELj4294967295EEENS1_37radix_sort_block_sort_config_selectorIjNS0_10empty_typeEEEZNS1_21radix_sort_block_sortIS4_Lb0EPKjPjPS6_SC_NS0_19identity_decomposerEEE10hipError_tT1_T2_T3_T4_jRjT5_jjP12ihipStream_tbEUlT_E_NS1_11comp_targetILNS1_3genE10ELNS1_11target_archE1201ELNS1_3gpuE5ELNS1_3repE0EEENS1_44radix_sort_block_sort_config_static_selectorELNS0_4arch9wavefront6targetE0EEEvSF_.has_recursion, 0
	.set _ZN7rocprim17ROCPRIM_400000_NS6detail17trampoline_kernelINS0_13kernel_configILj256ELj4ELj4294967295EEENS1_37radix_sort_block_sort_config_selectorIjNS0_10empty_typeEEEZNS1_21radix_sort_block_sortIS4_Lb0EPKjPjPS6_SC_NS0_19identity_decomposerEEE10hipError_tT1_T2_T3_T4_jRjT5_jjP12ihipStream_tbEUlT_E_NS1_11comp_targetILNS1_3genE10ELNS1_11target_archE1201ELNS1_3gpuE5ELNS1_3repE0EEENS1_44radix_sort_block_sort_config_static_selectorELNS0_4arch9wavefront6targetE0EEEvSF_.has_indirect_call, 0
	.section	.AMDGPU.csdata,"",@progbits
; Kernel info:
; codeLenInByte = 0
; TotalNumSgprs: 0
; NumVgprs: 0
; ScratchSize: 0
; MemoryBound: 0
; FloatMode: 240
; IeeeMode: 1
; LDSByteSize: 0 bytes/workgroup (compile time only)
; SGPRBlocks: 0
; VGPRBlocks: 0
; NumSGPRsForWavesPerEU: 1
; NumVGPRsForWavesPerEU: 1
; NamedBarCnt: 0
; Occupancy: 16
; WaveLimiterHint : 0
; COMPUTE_PGM_RSRC2:SCRATCH_EN: 0
; COMPUTE_PGM_RSRC2:USER_SGPR: 2
; COMPUTE_PGM_RSRC2:TRAP_HANDLER: 0
; COMPUTE_PGM_RSRC2:TGID_X_EN: 1
; COMPUTE_PGM_RSRC2:TGID_Y_EN: 0
; COMPUTE_PGM_RSRC2:TGID_Z_EN: 0
; COMPUTE_PGM_RSRC2:TIDIG_COMP_CNT: 0
	.section	.text._ZN7rocprim17ROCPRIM_400000_NS6detail17trampoline_kernelINS0_13kernel_configILj256ELj4ELj4294967295EEENS1_37radix_sort_block_sort_config_selectorIjNS0_10empty_typeEEEZNS1_21radix_sort_block_sortIS4_Lb0EPKjPjPS6_SC_NS0_19identity_decomposerEEE10hipError_tT1_T2_T3_T4_jRjT5_jjP12ihipStream_tbEUlT_E_NS1_11comp_targetILNS1_3genE10ELNS1_11target_archE1200ELNS1_3gpuE4ELNS1_3repE0EEENS1_44radix_sort_block_sort_config_static_selectorELNS0_4arch9wavefront6targetE0EEEvSF_,"axG",@progbits,_ZN7rocprim17ROCPRIM_400000_NS6detail17trampoline_kernelINS0_13kernel_configILj256ELj4ELj4294967295EEENS1_37radix_sort_block_sort_config_selectorIjNS0_10empty_typeEEEZNS1_21radix_sort_block_sortIS4_Lb0EPKjPjPS6_SC_NS0_19identity_decomposerEEE10hipError_tT1_T2_T3_T4_jRjT5_jjP12ihipStream_tbEUlT_E_NS1_11comp_targetILNS1_3genE10ELNS1_11target_archE1200ELNS1_3gpuE4ELNS1_3repE0EEENS1_44radix_sort_block_sort_config_static_selectorELNS0_4arch9wavefront6targetE0EEEvSF_,comdat
	.protected	_ZN7rocprim17ROCPRIM_400000_NS6detail17trampoline_kernelINS0_13kernel_configILj256ELj4ELj4294967295EEENS1_37radix_sort_block_sort_config_selectorIjNS0_10empty_typeEEEZNS1_21radix_sort_block_sortIS4_Lb0EPKjPjPS6_SC_NS0_19identity_decomposerEEE10hipError_tT1_T2_T3_T4_jRjT5_jjP12ihipStream_tbEUlT_E_NS1_11comp_targetILNS1_3genE10ELNS1_11target_archE1200ELNS1_3gpuE4ELNS1_3repE0EEENS1_44radix_sort_block_sort_config_static_selectorELNS0_4arch9wavefront6targetE0EEEvSF_ ; -- Begin function _ZN7rocprim17ROCPRIM_400000_NS6detail17trampoline_kernelINS0_13kernel_configILj256ELj4ELj4294967295EEENS1_37radix_sort_block_sort_config_selectorIjNS0_10empty_typeEEEZNS1_21radix_sort_block_sortIS4_Lb0EPKjPjPS6_SC_NS0_19identity_decomposerEEE10hipError_tT1_T2_T3_T4_jRjT5_jjP12ihipStream_tbEUlT_E_NS1_11comp_targetILNS1_3genE10ELNS1_11target_archE1200ELNS1_3gpuE4ELNS1_3repE0EEENS1_44radix_sort_block_sort_config_static_selectorELNS0_4arch9wavefront6targetE0EEEvSF_
	.globl	_ZN7rocprim17ROCPRIM_400000_NS6detail17trampoline_kernelINS0_13kernel_configILj256ELj4ELj4294967295EEENS1_37radix_sort_block_sort_config_selectorIjNS0_10empty_typeEEEZNS1_21radix_sort_block_sortIS4_Lb0EPKjPjPS6_SC_NS0_19identity_decomposerEEE10hipError_tT1_T2_T3_T4_jRjT5_jjP12ihipStream_tbEUlT_E_NS1_11comp_targetILNS1_3genE10ELNS1_11target_archE1200ELNS1_3gpuE4ELNS1_3repE0EEENS1_44radix_sort_block_sort_config_static_selectorELNS0_4arch9wavefront6targetE0EEEvSF_
	.p2align	8
	.type	_ZN7rocprim17ROCPRIM_400000_NS6detail17trampoline_kernelINS0_13kernel_configILj256ELj4ELj4294967295EEENS1_37radix_sort_block_sort_config_selectorIjNS0_10empty_typeEEEZNS1_21radix_sort_block_sortIS4_Lb0EPKjPjPS6_SC_NS0_19identity_decomposerEEE10hipError_tT1_T2_T3_T4_jRjT5_jjP12ihipStream_tbEUlT_E_NS1_11comp_targetILNS1_3genE10ELNS1_11target_archE1200ELNS1_3gpuE4ELNS1_3repE0EEENS1_44radix_sort_block_sort_config_static_selectorELNS0_4arch9wavefront6targetE0EEEvSF_,@function
_ZN7rocprim17ROCPRIM_400000_NS6detail17trampoline_kernelINS0_13kernel_configILj256ELj4ELj4294967295EEENS1_37radix_sort_block_sort_config_selectorIjNS0_10empty_typeEEEZNS1_21radix_sort_block_sortIS4_Lb0EPKjPjPS6_SC_NS0_19identity_decomposerEEE10hipError_tT1_T2_T3_T4_jRjT5_jjP12ihipStream_tbEUlT_E_NS1_11comp_targetILNS1_3genE10ELNS1_11target_archE1200ELNS1_3gpuE4ELNS1_3repE0EEENS1_44radix_sort_block_sort_config_static_selectorELNS0_4arch9wavefront6targetE0EEEvSF_: ; @_ZN7rocprim17ROCPRIM_400000_NS6detail17trampoline_kernelINS0_13kernel_configILj256ELj4ELj4294967295EEENS1_37radix_sort_block_sort_config_selectorIjNS0_10empty_typeEEEZNS1_21radix_sort_block_sortIS4_Lb0EPKjPjPS6_SC_NS0_19identity_decomposerEEE10hipError_tT1_T2_T3_T4_jRjT5_jjP12ihipStream_tbEUlT_E_NS1_11comp_targetILNS1_3genE10ELNS1_11target_archE1200ELNS1_3gpuE4ELNS1_3repE0EEENS1_44radix_sort_block_sort_config_static_selectorELNS0_4arch9wavefront6targetE0EEEvSF_
; %bb.0:
	.section	.rodata,"a",@progbits
	.p2align	6, 0x0
	.amdhsa_kernel _ZN7rocprim17ROCPRIM_400000_NS6detail17trampoline_kernelINS0_13kernel_configILj256ELj4ELj4294967295EEENS1_37radix_sort_block_sort_config_selectorIjNS0_10empty_typeEEEZNS1_21radix_sort_block_sortIS4_Lb0EPKjPjPS6_SC_NS0_19identity_decomposerEEE10hipError_tT1_T2_T3_T4_jRjT5_jjP12ihipStream_tbEUlT_E_NS1_11comp_targetILNS1_3genE10ELNS1_11target_archE1200ELNS1_3gpuE4ELNS1_3repE0EEENS1_44radix_sort_block_sort_config_static_selectorELNS0_4arch9wavefront6targetE0EEEvSF_
		.amdhsa_group_segment_fixed_size 0
		.amdhsa_private_segment_fixed_size 0
		.amdhsa_kernarg_size 48
		.amdhsa_user_sgpr_count 2
		.amdhsa_user_sgpr_dispatch_ptr 0
		.amdhsa_user_sgpr_queue_ptr 0
		.amdhsa_user_sgpr_kernarg_segment_ptr 1
		.amdhsa_user_sgpr_dispatch_id 0
		.amdhsa_user_sgpr_kernarg_preload_length 0
		.amdhsa_user_sgpr_kernarg_preload_offset 0
		.amdhsa_user_sgpr_private_segment_size 0
		.amdhsa_wavefront_size32 1
		.amdhsa_uses_dynamic_stack 0
		.amdhsa_enable_private_segment 0
		.amdhsa_system_sgpr_workgroup_id_x 1
		.amdhsa_system_sgpr_workgroup_id_y 0
		.amdhsa_system_sgpr_workgroup_id_z 0
		.amdhsa_system_sgpr_workgroup_info 0
		.amdhsa_system_vgpr_workitem_id 0
		.amdhsa_next_free_vgpr 1
		.amdhsa_next_free_sgpr 1
		.amdhsa_named_barrier_count 0
		.amdhsa_reserve_vcc 0
		.amdhsa_float_round_mode_32 0
		.amdhsa_float_round_mode_16_64 0
		.amdhsa_float_denorm_mode_32 3
		.amdhsa_float_denorm_mode_16_64 3
		.amdhsa_fp16_overflow 0
		.amdhsa_memory_ordered 1
		.amdhsa_forward_progress 1
		.amdhsa_inst_pref_size 0
		.amdhsa_round_robin_scheduling 0
		.amdhsa_exception_fp_ieee_invalid_op 0
		.amdhsa_exception_fp_denorm_src 0
		.amdhsa_exception_fp_ieee_div_zero 0
		.amdhsa_exception_fp_ieee_overflow 0
		.amdhsa_exception_fp_ieee_underflow 0
		.amdhsa_exception_fp_ieee_inexact 0
		.amdhsa_exception_int_div_zero 0
	.end_amdhsa_kernel
	.section	.text._ZN7rocprim17ROCPRIM_400000_NS6detail17trampoline_kernelINS0_13kernel_configILj256ELj4ELj4294967295EEENS1_37radix_sort_block_sort_config_selectorIjNS0_10empty_typeEEEZNS1_21radix_sort_block_sortIS4_Lb0EPKjPjPS6_SC_NS0_19identity_decomposerEEE10hipError_tT1_T2_T3_T4_jRjT5_jjP12ihipStream_tbEUlT_E_NS1_11comp_targetILNS1_3genE10ELNS1_11target_archE1200ELNS1_3gpuE4ELNS1_3repE0EEENS1_44radix_sort_block_sort_config_static_selectorELNS0_4arch9wavefront6targetE0EEEvSF_,"axG",@progbits,_ZN7rocprim17ROCPRIM_400000_NS6detail17trampoline_kernelINS0_13kernel_configILj256ELj4ELj4294967295EEENS1_37radix_sort_block_sort_config_selectorIjNS0_10empty_typeEEEZNS1_21radix_sort_block_sortIS4_Lb0EPKjPjPS6_SC_NS0_19identity_decomposerEEE10hipError_tT1_T2_T3_T4_jRjT5_jjP12ihipStream_tbEUlT_E_NS1_11comp_targetILNS1_3genE10ELNS1_11target_archE1200ELNS1_3gpuE4ELNS1_3repE0EEENS1_44radix_sort_block_sort_config_static_selectorELNS0_4arch9wavefront6targetE0EEEvSF_,comdat
.Lfunc_end2675:
	.size	_ZN7rocprim17ROCPRIM_400000_NS6detail17trampoline_kernelINS0_13kernel_configILj256ELj4ELj4294967295EEENS1_37radix_sort_block_sort_config_selectorIjNS0_10empty_typeEEEZNS1_21radix_sort_block_sortIS4_Lb0EPKjPjPS6_SC_NS0_19identity_decomposerEEE10hipError_tT1_T2_T3_T4_jRjT5_jjP12ihipStream_tbEUlT_E_NS1_11comp_targetILNS1_3genE10ELNS1_11target_archE1200ELNS1_3gpuE4ELNS1_3repE0EEENS1_44radix_sort_block_sort_config_static_selectorELNS0_4arch9wavefront6targetE0EEEvSF_, .Lfunc_end2675-_ZN7rocprim17ROCPRIM_400000_NS6detail17trampoline_kernelINS0_13kernel_configILj256ELj4ELj4294967295EEENS1_37radix_sort_block_sort_config_selectorIjNS0_10empty_typeEEEZNS1_21radix_sort_block_sortIS4_Lb0EPKjPjPS6_SC_NS0_19identity_decomposerEEE10hipError_tT1_T2_T3_T4_jRjT5_jjP12ihipStream_tbEUlT_E_NS1_11comp_targetILNS1_3genE10ELNS1_11target_archE1200ELNS1_3gpuE4ELNS1_3repE0EEENS1_44radix_sort_block_sort_config_static_selectorELNS0_4arch9wavefront6targetE0EEEvSF_
                                        ; -- End function
	.set _ZN7rocprim17ROCPRIM_400000_NS6detail17trampoline_kernelINS0_13kernel_configILj256ELj4ELj4294967295EEENS1_37radix_sort_block_sort_config_selectorIjNS0_10empty_typeEEEZNS1_21radix_sort_block_sortIS4_Lb0EPKjPjPS6_SC_NS0_19identity_decomposerEEE10hipError_tT1_T2_T3_T4_jRjT5_jjP12ihipStream_tbEUlT_E_NS1_11comp_targetILNS1_3genE10ELNS1_11target_archE1200ELNS1_3gpuE4ELNS1_3repE0EEENS1_44radix_sort_block_sort_config_static_selectorELNS0_4arch9wavefront6targetE0EEEvSF_.num_vgpr, 0
	.set _ZN7rocprim17ROCPRIM_400000_NS6detail17trampoline_kernelINS0_13kernel_configILj256ELj4ELj4294967295EEENS1_37radix_sort_block_sort_config_selectorIjNS0_10empty_typeEEEZNS1_21radix_sort_block_sortIS4_Lb0EPKjPjPS6_SC_NS0_19identity_decomposerEEE10hipError_tT1_T2_T3_T4_jRjT5_jjP12ihipStream_tbEUlT_E_NS1_11comp_targetILNS1_3genE10ELNS1_11target_archE1200ELNS1_3gpuE4ELNS1_3repE0EEENS1_44radix_sort_block_sort_config_static_selectorELNS0_4arch9wavefront6targetE0EEEvSF_.num_agpr, 0
	.set _ZN7rocprim17ROCPRIM_400000_NS6detail17trampoline_kernelINS0_13kernel_configILj256ELj4ELj4294967295EEENS1_37radix_sort_block_sort_config_selectorIjNS0_10empty_typeEEEZNS1_21radix_sort_block_sortIS4_Lb0EPKjPjPS6_SC_NS0_19identity_decomposerEEE10hipError_tT1_T2_T3_T4_jRjT5_jjP12ihipStream_tbEUlT_E_NS1_11comp_targetILNS1_3genE10ELNS1_11target_archE1200ELNS1_3gpuE4ELNS1_3repE0EEENS1_44radix_sort_block_sort_config_static_selectorELNS0_4arch9wavefront6targetE0EEEvSF_.numbered_sgpr, 0
	.set _ZN7rocprim17ROCPRIM_400000_NS6detail17trampoline_kernelINS0_13kernel_configILj256ELj4ELj4294967295EEENS1_37radix_sort_block_sort_config_selectorIjNS0_10empty_typeEEEZNS1_21radix_sort_block_sortIS4_Lb0EPKjPjPS6_SC_NS0_19identity_decomposerEEE10hipError_tT1_T2_T3_T4_jRjT5_jjP12ihipStream_tbEUlT_E_NS1_11comp_targetILNS1_3genE10ELNS1_11target_archE1200ELNS1_3gpuE4ELNS1_3repE0EEENS1_44radix_sort_block_sort_config_static_selectorELNS0_4arch9wavefront6targetE0EEEvSF_.num_named_barrier, 0
	.set _ZN7rocprim17ROCPRIM_400000_NS6detail17trampoline_kernelINS0_13kernel_configILj256ELj4ELj4294967295EEENS1_37radix_sort_block_sort_config_selectorIjNS0_10empty_typeEEEZNS1_21radix_sort_block_sortIS4_Lb0EPKjPjPS6_SC_NS0_19identity_decomposerEEE10hipError_tT1_T2_T3_T4_jRjT5_jjP12ihipStream_tbEUlT_E_NS1_11comp_targetILNS1_3genE10ELNS1_11target_archE1200ELNS1_3gpuE4ELNS1_3repE0EEENS1_44radix_sort_block_sort_config_static_selectorELNS0_4arch9wavefront6targetE0EEEvSF_.private_seg_size, 0
	.set _ZN7rocprim17ROCPRIM_400000_NS6detail17trampoline_kernelINS0_13kernel_configILj256ELj4ELj4294967295EEENS1_37radix_sort_block_sort_config_selectorIjNS0_10empty_typeEEEZNS1_21radix_sort_block_sortIS4_Lb0EPKjPjPS6_SC_NS0_19identity_decomposerEEE10hipError_tT1_T2_T3_T4_jRjT5_jjP12ihipStream_tbEUlT_E_NS1_11comp_targetILNS1_3genE10ELNS1_11target_archE1200ELNS1_3gpuE4ELNS1_3repE0EEENS1_44radix_sort_block_sort_config_static_selectorELNS0_4arch9wavefront6targetE0EEEvSF_.uses_vcc, 0
	.set _ZN7rocprim17ROCPRIM_400000_NS6detail17trampoline_kernelINS0_13kernel_configILj256ELj4ELj4294967295EEENS1_37radix_sort_block_sort_config_selectorIjNS0_10empty_typeEEEZNS1_21radix_sort_block_sortIS4_Lb0EPKjPjPS6_SC_NS0_19identity_decomposerEEE10hipError_tT1_T2_T3_T4_jRjT5_jjP12ihipStream_tbEUlT_E_NS1_11comp_targetILNS1_3genE10ELNS1_11target_archE1200ELNS1_3gpuE4ELNS1_3repE0EEENS1_44radix_sort_block_sort_config_static_selectorELNS0_4arch9wavefront6targetE0EEEvSF_.uses_flat_scratch, 0
	.set _ZN7rocprim17ROCPRIM_400000_NS6detail17trampoline_kernelINS0_13kernel_configILj256ELj4ELj4294967295EEENS1_37radix_sort_block_sort_config_selectorIjNS0_10empty_typeEEEZNS1_21radix_sort_block_sortIS4_Lb0EPKjPjPS6_SC_NS0_19identity_decomposerEEE10hipError_tT1_T2_T3_T4_jRjT5_jjP12ihipStream_tbEUlT_E_NS1_11comp_targetILNS1_3genE10ELNS1_11target_archE1200ELNS1_3gpuE4ELNS1_3repE0EEENS1_44radix_sort_block_sort_config_static_selectorELNS0_4arch9wavefront6targetE0EEEvSF_.has_dyn_sized_stack, 0
	.set _ZN7rocprim17ROCPRIM_400000_NS6detail17trampoline_kernelINS0_13kernel_configILj256ELj4ELj4294967295EEENS1_37radix_sort_block_sort_config_selectorIjNS0_10empty_typeEEEZNS1_21radix_sort_block_sortIS4_Lb0EPKjPjPS6_SC_NS0_19identity_decomposerEEE10hipError_tT1_T2_T3_T4_jRjT5_jjP12ihipStream_tbEUlT_E_NS1_11comp_targetILNS1_3genE10ELNS1_11target_archE1200ELNS1_3gpuE4ELNS1_3repE0EEENS1_44radix_sort_block_sort_config_static_selectorELNS0_4arch9wavefront6targetE0EEEvSF_.has_recursion, 0
	.set _ZN7rocprim17ROCPRIM_400000_NS6detail17trampoline_kernelINS0_13kernel_configILj256ELj4ELj4294967295EEENS1_37radix_sort_block_sort_config_selectorIjNS0_10empty_typeEEEZNS1_21radix_sort_block_sortIS4_Lb0EPKjPjPS6_SC_NS0_19identity_decomposerEEE10hipError_tT1_T2_T3_T4_jRjT5_jjP12ihipStream_tbEUlT_E_NS1_11comp_targetILNS1_3genE10ELNS1_11target_archE1200ELNS1_3gpuE4ELNS1_3repE0EEENS1_44radix_sort_block_sort_config_static_selectorELNS0_4arch9wavefront6targetE0EEEvSF_.has_indirect_call, 0
	.section	.AMDGPU.csdata,"",@progbits
; Kernel info:
; codeLenInByte = 0
; TotalNumSgprs: 0
; NumVgprs: 0
; ScratchSize: 0
; MemoryBound: 0
; FloatMode: 240
; IeeeMode: 1
; LDSByteSize: 0 bytes/workgroup (compile time only)
; SGPRBlocks: 0
; VGPRBlocks: 0
; NumSGPRsForWavesPerEU: 1
; NumVGPRsForWavesPerEU: 1
; NamedBarCnt: 0
; Occupancy: 16
; WaveLimiterHint : 0
; COMPUTE_PGM_RSRC2:SCRATCH_EN: 0
; COMPUTE_PGM_RSRC2:USER_SGPR: 2
; COMPUTE_PGM_RSRC2:TRAP_HANDLER: 0
; COMPUTE_PGM_RSRC2:TGID_X_EN: 1
; COMPUTE_PGM_RSRC2:TGID_Y_EN: 0
; COMPUTE_PGM_RSRC2:TGID_Z_EN: 0
; COMPUTE_PGM_RSRC2:TIDIG_COMP_CNT: 0
	.section	.text._ZN7rocprim17ROCPRIM_400000_NS6detail17trampoline_kernelINS0_13kernel_configILj256ELj4ELj4294967295EEENS1_37radix_sort_block_sort_config_selectorIjNS0_10empty_typeEEEZNS1_21radix_sort_block_sortIS4_Lb0EPKjPjPS6_SC_NS0_19identity_decomposerEEE10hipError_tT1_T2_T3_T4_jRjT5_jjP12ihipStream_tbEUlT_E_NS1_11comp_targetILNS1_3genE9ELNS1_11target_archE1100ELNS1_3gpuE3ELNS1_3repE0EEENS1_44radix_sort_block_sort_config_static_selectorELNS0_4arch9wavefront6targetE0EEEvSF_,"axG",@progbits,_ZN7rocprim17ROCPRIM_400000_NS6detail17trampoline_kernelINS0_13kernel_configILj256ELj4ELj4294967295EEENS1_37radix_sort_block_sort_config_selectorIjNS0_10empty_typeEEEZNS1_21radix_sort_block_sortIS4_Lb0EPKjPjPS6_SC_NS0_19identity_decomposerEEE10hipError_tT1_T2_T3_T4_jRjT5_jjP12ihipStream_tbEUlT_E_NS1_11comp_targetILNS1_3genE9ELNS1_11target_archE1100ELNS1_3gpuE3ELNS1_3repE0EEENS1_44radix_sort_block_sort_config_static_selectorELNS0_4arch9wavefront6targetE0EEEvSF_,comdat
	.protected	_ZN7rocprim17ROCPRIM_400000_NS6detail17trampoline_kernelINS0_13kernel_configILj256ELj4ELj4294967295EEENS1_37radix_sort_block_sort_config_selectorIjNS0_10empty_typeEEEZNS1_21radix_sort_block_sortIS4_Lb0EPKjPjPS6_SC_NS0_19identity_decomposerEEE10hipError_tT1_T2_T3_T4_jRjT5_jjP12ihipStream_tbEUlT_E_NS1_11comp_targetILNS1_3genE9ELNS1_11target_archE1100ELNS1_3gpuE3ELNS1_3repE0EEENS1_44radix_sort_block_sort_config_static_selectorELNS0_4arch9wavefront6targetE0EEEvSF_ ; -- Begin function _ZN7rocprim17ROCPRIM_400000_NS6detail17trampoline_kernelINS0_13kernel_configILj256ELj4ELj4294967295EEENS1_37radix_sort_block_sort_config_selectorIjNS0_10empty_typeEEEZNS1_21radix_sort_block_sortIS4_Lb0EPKjPjPS6_SC_NS0_19identity_decomposerEEE10hipError_tT1_T2_T3_T4_jRjT5_jjP12ihipStream_tbEUlT_E_NS1_11comp_targetILNS1_3genE9ELNS1_11target_archE1100ELNS1_3gpuE3ELNS1_3repE0EEENS1_44radix_sort_block_sort_config_static_selectorELNS0_4arch9wavefront6targetE0EEEvSF_
	.globl	_ZN7rocprim17ROCPRIM_400000_NS6detail17trampoline_kernelINS0_13kernel_configILj256ELj4ELj4294967295EEENS1_37radix_sort_block_sort_config_selectorIjNS0_10empty_typeEEEZNS1_21radix_sort_block_sortIS4_Lb0EPKjPjPS6_SC_NS0_19identity_decomposerEEE10hipError_tT1_T2_T3_T4_jRjT5_jjP12ihipStream_tbEUlT_E_NS1_11comp_targetILNS1_3genE9ELNS1_11target_archE1100ELNS1_3gpuE3ELNS1_3repE0EEENS1_44radix_sort_block_sort_config_static_selectorELNS0_4arch9wavefront6targetE0EEEvSF_
	.p2align	8
	.type	_ZN7rocprim17ROCPRIM_400000_NS6detail17trampoline_kernelINS0_13kernel_configILj256ELj4ELj4294967295EEENS1_37radix_sort_block_sort_config_selectorIjNS0_10empty_typeEEEZNS1_21radix_sort_block_sortIS4_Lb0EPKjPjPS6_SC_NS0_19identity_decomposerEEE10hipError_tT1_T2_T3_T4_jRjT5_jjP12ihipStream_tbEUlT_E_NS1_11comp_targetILNS1_3genE9ELNS1_11target_archE1100ELNS1_3gpuE3ELNS1_3repE0EEENS1_44radix_sort_block_sort_config_static_selectorELNS0_4arch9wavefront6targetE0EEEvSF_,@function
_ZN7rocprim17ROCPRIM_400000_NS6detail17trampoline_kernelINS0_13kernel_configILj256ELj4ELj4294967295EEENS1_37radix_sort_block_sort_config_selectorIjNS0_10empty_typeEEEZNS1_21radix_sort_block_sortIS4_Lb0EPKjPjPS6_SC_NS0_19identity_decomposerEEE10hipError_tT1_T2_T3_T4_jRjT5_jjP12ihipStream_tbEUlT_E_NS1_11comp_targetILNS1_3genE9ELNS1_11target_archE1100ELNS1_3gpuE3ELNS1_3repE0EEENS1_44radix_sort_block_sort_config_static_selectorELNS0_4arch9wavefront6targetE0EEEvSF_: ; @_ZN7rocprim17ROCPRIM_400000_NS6detail17trampoline_kernelINS0_13kernel_configILj256ELj4ELj4294967295EEENS1_37radix_sort_block_sort_config_selectorIjNS0_10empty_typeEEEZNS1_21radix_sort_block_sortIS4_Lb0EPKjPjPS6_SC_NS0_19identity_decomposerEEE10hipError_tT1_T2_T3_T4_jRjT5_jjP12ihipStream_tbEUlT_E_NS1_11comp_targetILNS1_3genE9ELNS1_11target_archE1100ELNS1_3gpuE3ELNS1_3repE0EEENS1_44radix_sort_block_sort_config_static_selectorELNS0_4arch9wavefront6targetE0EEEvSF_
; %bb.0:
	.section	.rodata,"a",@progbits
	.p2align	6, 0x0
	.amdhsa_kernel _ZN7rocprim17ROCPRIM_400000_NS6detail17trampoline_kernelINS0_13kernel_configILj256ELj4ELj4294967295EEENS1_37radix_sort_block_sort_config_selectorIjNS0_10empty_typeEEEZNS1_21radix_sort_block_sortIS4_Lb0EPKjPjPS6_SC_NS0_19identity_decomposerEEE10hipError_tT1_T2_T3_T4_jRjT5_jjP12ihipStream_tbEUlT_E_NS1_11comp_targetILNS1_3genE9ELNS1_11target_archE1100ELNS1_3gpuE3ELNS1_3repE0EEENS1_44radix_sort_block_sort_config_static_selectorELNS0_4arch9wavefront6targetE0EEEvSF_
		.amdhsa_group_segment_fixed_size 0
		.amdhsa_private_segment_fixed_size 0
		.amdhsa_kernarg_size 48
		.amdhsa_user_sgpr_count 2
		.amdhsa_user_sgpr_dispatch_ptr 0
		.amdhsa_user_sgpr_queue_ptr 0
		.amdhsa_user_sgpr_kernarg_segment_ptr 1
		.amdhsa_user_sgpr_dispatch_id 0
		.amdhsa_user_sgpr_kernarg_preload_length 0
		.amdhsa_user_sgpr_kernarg_preload_offset 0
		.amdhsa_user_sgpr_private_segment_size 0
		.amdhsa_wavefront_size32 1
		.amdhsa_uses_dynamic_stack 0
		.amdhsa_enable_private_segment 0
		.amdhsa_system_sgpr_workgroup_id_x 1
		.amdhsa_system_sgpr_workgroup_id_y 0
		.amdhsa_system_sgpr_workgroup_id_z 0
		.amdhsa_system_sgpr_workgroup_info 0
		.amdhsa_system_vgpr_workitem_id 0
		.amdhsa_next_free_vgpr 1
		.amdhsa_next_free_sgpr 1
		.amdhsa_named_barrier_count 0
		.amdhsa_reserve_vcc 0
		.amdhsa_float_round_mode_32 0
		.amdhsa_float_round_mode_16_64 0
		.amdhsa_float_denorm_mode_32 3
		.amdhsa_float_denorm_mode_16_64 3
		.amdhsa_fp16_overflow 0
		.amdhsa_memory_ordered 1
		.amdhsa_forward_progress 1
		.amdhsa_inst_pref_size 0
		.amdhsa_round_robin_scheduling 0
		.amdhsa_exception_fp_ieee_invalid_op 0
		.amdhsa_exception_fp_denorm_src 0
		.amdhsa_exception_fp_ieee_div_zero 0
		.amdhsa_exception_fp_ieee_overflow 0
		.amdhsa_exception_fp_ieee_underflow 0
		.amdhsa_exception_fp_ieee_inexact 0
		.amdhsa_exception_int_div_zero 0
	.end_amdhsa_kernel
	.section	.text._ZN7rocprim17ROCPRIM_400000_NS6detail17trampoline_kernelINS0_13kernel_configILj256ELj4ELj4294967295EEENS1_37radix_sort_block_sort_config_selectorIjNS0_10empty_typeEEEZNS1_21radix_sort_block_sortIS4_Lb0EPKjPjPS6_SC_NS0_19identity_decomposerEEE10hipError_tT1_T2_T3_T4_jRjT5_jjP12ihipStream_tbEUlT_E_NS1_11comp_targetILNS1_3genE9ELNS1_11target_archE1100ELNS1_3gpuE3ELNS1_3repE0EEENS1_44radix_sort_block_sort_config_static_selectorELNS0_4arch9wavefront6targetE0EEEvSF_,"axG",@progbits,_ZN7rocprim17ROCPRIM_400000_NS6detail17trampoline_kernelINS0_13kernel_configILj256ELj4ELj4294967295EEENS1_37radix_sort_block_sort_config_selectorIjNS0_10empty_typeEEEZNS1_21radix_sort_block_sortIS4_Lb0EPKjPjPS6_SC_NS0_19identity_decomposerEEE10hipError_tT1_T2_T3_T4_jRjT5_jjP12ihipStream_tbEUlT_E_NS1_11comp_targetILNS1_3genE9ELNS1_11target_archE1100ELNS1_3gpuE3ELNS1_3repE0EEENS1_44radix_sort_block_sort_config_static_selectorELNS0_4arch9wavefront6targetE0EEEvSF_,comdat
.Lfunc_end2676:
	.size	_ZN7rocprim17ROCPRIM_400000_NS6detail17trampoline_kernelINS0_13kernel_configILj256ELj4ELj4294967295EEENS1_37radix_sort_block_sort_config_selectorIjNS0_10empty_typeEEEZNS1_21radix_sort_block_sortIS4_Lb0EPKjPjPS6_SC_NS0_19identity_decomposerEEE10hipError_tT1_T2_T3_T4_jRjT5_jjP12ihipStream_tbEUlT_E_NS1_11comp_targetILNS1_3genE9ELNS1_11target_archE1100ELNS1_3gpuE3ELNS1_3repE0EEENS1_44radix_sort_block_sort_config_static_selectorELNS0_4arch9wavefront6targetE0EEEvSF_, .Lfunc_end2676-_ZN7rocprim17ROCPRIM_400000_NS6detail17trampoline_kernelINS0_13kernel_configILj256ELj4ELj4294967295EEENS1_37radix_sort_block_sort_config_selectorIjNS0_10empty_typeEEEZNS1_21radix_sort_block_sortIS4_Lb0EPKjPjPS6_SC_NS0_19identity_decomposerEEE10hipError_tT1_T2_T3_T4_jRjT5_jjP12ihipStream_tbEUlT_E_NS1_11comp_targetILNS1_3genE9ELNS1_11target_archE1100ELNS1_3gpuE3ELNS1_3repE0EEENS1_44radix_sort_block_sort_config_static_selectorELNS0_4arch9wavefront6targetE0EEEvSF_
                                        ; -- End function
	.set _ZN7rocprim17ROCPRIM_400000_NS6detail17trampoline_kernelINS0_13kernel_configILj256ELj4ELj4294967295EEENS1_37radix_sort_block_sort_config_selectorIjNS0_10empty_typeEEEZNS1_21radix_sort_block_sortIS4_Lb0EPKjPjPS6_SC_NS0_19identity_decomposerEEE10hipError_tT1_T2_T3_T4_jRjT5_jjP12ihipStream_tbEUlT_E_NS1_11comp_targetILNS1_3genE9ELNS1_11target_archE1100ELNS1_3gpuE3ELNS1_3repE0EEENS1_44radix_sort_block_sort_config_static_selectorELNS0_4arch9wavefront6targetE0EEEvSF_.num_vgpr, 0
	.set _ZN7rocprim17ROCPRIM_400000_NS6detail17trampoline_kernelINS0_13kernel_configILj256ELj4ELj4294967295EEENS1_37radix_sort_block_sort_config_selectorIjNS0_10empty_typeEEEZNS1_21radix_sort_block_sortIS4_Lb0EPKjPjPS6_SC_NS0_19identity_decomposerEEE10hipError_tT1_T2_T3_T4_jRjT5_jjP12ihipStream_tbEUlT_E_NS1_11comp_targetILNS1_3genE9ELNS1_11target_archE1100ELNS1_3gpuE3ELNS1_3repE0EEENS1_44radix_sort_block_sort_config_static_selectorELNS0_4arch9wavefront6targetE0EEEvSF_.num_agpr, 0
	.set _ZN7rocprim17ROCPRIM_400000_NS6detail17trampoline_kernelINS0_13kernel_configILj256ELj4ELj4294967295EEENS1_37radix_sort_block_sort_config_selectorIjNS0_10empty_typeEEEZNS1_21radix_sort_block_sortIS4_Lb0EPKjPjPS6_SC_NS0_19identity_decomposerEEE10hipError_tT1_T2_T3_T4_jRjT5_jjP12ihipStream_tbEUlT_E_NS1_11comp_targetILNS1_3genE9ELNS1_11target_archE1100ELNS1_3gpuE3ELNS1_3repE0EEENS1_44radix_sort_block_sort_config_static_selectorELNS0_4arch9wavefront6targetE0EEEvSF_.numbered_sgpr, 0
	.set _ZN7rocprim17ROCPRIM_400000_NS6detail17trampoline_kernelINS0_13kernel_configILj256ELj4ELj4294967295EEENS1_37radix_sort_block_sort_config_selectorIjNS0_10empty_typeEEEZNS1_21radix_sort_block_sortIS4_Lb0EPKjPjPS6_SC_NS0_19identity_decomposerEEE10hipError_tT1_T2_T3_T4_jRjT5_jjP12ihipStream_tbEUlT_E_NS1_11comp_targetILNS1_3genE9ELNS1_11target_archE1100ELNS1_3gpuE3ELNS1_3repE0EEENS1_44radix_sort_block_sort_config_static_selectorELNS0_4arch9wavefront6targetE0EEEvSF_.num_named_barrier, 0
	.set _ZN7rocprim17ROCPRIM_400000_NS6detail17trampoline_kernelINS0_13kernel_configILj256ELj4ELj4294967295EEENS1_37radix_sort_block_sort_config_selectorIjNS0_10empty_typeEEEZNS1_21radix_sort_block_sortIS4_Lb0EPKjPjPS6_SC_NS0_19identity_decomposerEEE10hipError_tT1_T2_T3_T4_jRjT5_jjP12ihipStream_tbEUlT_E_NS1_11comp_targetILNS1_3genE9ELNS1_11target_archE1100ELNS1_3gpuE3ELNS1_3repE0EEENS1_44radix_sort_block_sort_config_static_selectorELNS0_4arch9wavefront6targetE0EEEvSF_.private_seg_size, 0
	.set _ZN7rocprim17ROCPRIM_400000_NS6detail17trampoline_kernelINS0_13kernel_configILj256ELj4ELj4294967295EEENS1_37radix_sort_block_sort_config_selectorIjNS0_10empty_typeEEEZNS1_21radix_sort_block_sortIS4_Lb0EPKjPjPS6_SC_NS0_19identity_decomposerEEE10hipError_tT1_T2_T3_T4_jRjT5_jjP12ihipStream_tbEUlT_E_NS1_11comp_targetILNS1_3genE9ELNS1_11target_archE1100ELNS1_3gpuE3ELNS1_3repE0EEENS1_44radix_sort_block_sort_config_static_selectorELNS0_4arch9wavefront6targetE0EEEvSF_.uses_vcc, 0
	.set _ZN7rocprim17ROCPRIM_400000_NS6detail17trampoline_kernelINS0_13kernel_configILj256ELj4ELj4294967295EEENS1_37radix_sort_block_sort_config_selectorIjNS0_10empty_typeEEEZNS1_21radix_sort_block_sortIS4_Lb0EPKjPjPS6_SC_NS0_19identity_decomposerEEE10hipError_tT1_T2_T3_T4_jRjT5_jjP12ihipStream_tbEUlT_E_NS1_11comp_targetILNS1_3genE9ELNS1_11target_archE1100ELNS1_3gpuE3ELNS1_3repE0EEENS1_44radix_sort_block_sort_config_static_selectorELNS0_4arch9wavefront6targetE0EEEvSF_.uses_flat_scratch, 0
	.set _ZN7rocprim17ROCPRIM_400000_NS6detail17trampoline_kernelINS0_13kernel_configILj256ELj4ELj4294967295EEENS1_37radix_sort_block_sort_config_selectorIjNS0_10empty_typeEEEZNS1_21radix_sort_block_sortIS4_Lb0EPKjPjPS6_SC_NS0_19identity_decomposerEEE10hipError_tT1_T2_T3_T4_jRjT5_jjP12ihipStream_tbEUlT_E_NS1_11comp_targetILNS1_3genE9ELNS1_11target_archE1100ELNS1_3gpuE3ELNS1_3repE0EEENS1_44radix_sort_block_sort_config_static_selectorELNS0_4arch9wavefront6targetE0EEEvSF_.has_dyn_sized_stack, 0
	.set _ZN7rocprim17ROCPRIM_400000_NS6detail17trampoline_kernelINS0_13kernel_configILj256ELj4ELj4294967295EEENS1_37radix_sort_block_sort_config_selectorIjNS0_10empty_typeEEEZNS1_21radix_sort_block_sortIS4_Lb0EPKjPjPS6_SC_NS0_19identity_decomposerEEE10hipError_tT1_T2_T3_T4_jRjT5_jjP12ihipStream_tbEUlT_E_NS1_11comp_targetILNS1_3genE9ELNS1_11target_archE1100ELNS1_3gpuE3ELNS1_3repE0EEENS1_44radix_sort_block_sort_config_static_selectorELNS0_4arch9wavefront6targetE0EEEvSF_.has_recursion, 0
	.set _ZN7rocprim17ROCPRIM_400000_NS6detail17trampoline_kernelINS0_13kernel_configILj256ELj4ELj4294967295EEENS1_37radix_sort_block_sort_config_selectorIjNS0_10empty_typeEEEZNS1_21radix_sort_block_sortIS4_Lb0EPKjPjPS6_SC_NS0_19identity_decomposerEEE10hipError_tT1_T2_T3_T4_jRjT5_jjP12ihipStream_tbEUlT_E_NS1_11comp_targetILNS1_3genE9ELNS1_11target_archE1100ELNS1_3gpuE3ELNS1_3repE0EEENS1_44radix_sort_block_sort_config_static_selectorELNS0_4arch9wavefront6targetE0EEEvSF_.has_indirect_call, 0
	.section	.AMDGPU.csdata,"",@progbits
; Kernel info:
; codeLenInByte = 0
; TotalNumSgprs: 0
; NumVgprs: 0
; ScratchSize: 0
; MemoryBound: 0
; FloatMode: 240
; IeeeMode: 1
; LDSByteSize: 0 bytes/workgroup (compile time only)
; SGPRBlocks: 0
; VGPRBlocks: 0
; NumSGPRsForWavesPerEU: 1
; NumVGPRsForWavesPerEU: 1
; NamedBarCnt: 0
; Occupancy: 16
; WaveLimiterHint : 0
; COMPUTE_PGM_RSRC2:SCRATCH_EN: 0
; COMPUTE_PGM_RSRC2:USER_SGPR: 2
; COMPUTE_PGM_RSRC2:TRAP_HANDLER: 0
; COMPUTE_PGM_RSRC2:TGID_X_EN: 1
; COMPUTE_PGM_RSRC2:TGID_Y_EN: 0
; COMPUTE_PGM_RSRC2:TGID_Z_EN: 0
; COMPUTE_PGM_RSRC2:TIDIG_COMP_CNT: 0
	.section	.text._ZN7rocprim17ROCPRIM_400000_NS6detail17trampoline_kernelINS0_13kernel_configILj256ELj4ELj4294967295EEENS1_37radix_sort_block_sort_config_selectorIjNS0_10empty_typeEEEZNS1_21radix_sort_block_sortIS4_Lb0EPKjPjPS6_SC_NS0_19identity_decomposerEEE10hipError_tT1_T2_T3_T4_jRjT5_jjP12ihipStream_tbEUlT_E_NS1_11comp_targetILNS1_3genE8ELNS1_11target_archE1030ELNS1_3gpuE2ELNS1_3repE0EEENS1_44radix_sort_block_sort_config_static_selectorELNS0_4arch9wavefront6targetE0EEEvSF_,"axG",@progbits,_ZN7rocprim17ROCPRIM_400000_NS6detail17trampoline_kernelINS0_13kernel_configILj256ELj4ELj4294967295EEENS1_37radix_sort_block_sort_config_selectorIjNS0_10empty_typeEEEZNS1_21radix_sort_block_sortIS4_Lb0EPKjPjPS6_SC_NS0_19identity_decomposerEEE10hipError_tT1_T2_T3_T4_jRjT5_jjP12ihipStream_tbEUlT_E_NS1_11comp_targetILNS1_3genE8ELNS1_11target_archE1030ELNS1_3gpuE2ELNS1_3repE0EEENS1_44radix_sort_block_sort_config_static_selectorELNS0_4arch9wavefront6targetE0EEEvSF_,comdat
	.protected	_ZN7rocprim17ROCPRIM_400000_NS6detail17trampoline_kernelINS0_13kernel_configILj256ELj4ELj4294967295EEENS1_37radix_sort_block_sort_config_selectorIjNS0_10empty_typeEEEZNS1_21radix_sort_block_sortIS4_Lb0EPKjPjPS6_SC_NS0_19identity_decomposerEEE10hipError_tT1_T2_T3_T4_jRjT5_jjP12ihipStream_tbEUlT_E_NS1_11comp_targetILNS1_3genE8ELNS1_11target_archE1030ELNS1_3gpuE2ELNS1_3repE0EEENS1_44radix_sort_block_sort_config_static_selectorELNS0_4arch9wavefront6targetE0EEEvSF_ ; -- Begin function _ZN7rocprim17ROCPRIM_400000_NS6detail17trampoline_kernelINS0_13kernel_configILj256ELj4ELj4294967295EEENS1_37radix_sort_block_sort_config_selectorIjNS0_10empty_typeEEEZNS1_21radix_sort_block_sortIS4_Lb0EPKjPjPS6_SC_NS0_19identity_decomposerEEE10hipError_tT1_T2_T3_T4_jRjT5_jjP12ihipStream_tbEUlT_E_NS1_11comp_targetILNS1_3genE8ELNS1_11target_archE1030ELNS1_3gpuE2ELNS1_3repE0EEENS1_44radix_sort_block_sort_config_static_selectorELNS0_4arch9wavefront6targetE0EEEvSF_
	.globl	_ZN7rocprim17ROCPRIM_400000_NS6detail17trampoline_kernelINS0_13kernel_configILj256ELj4ELj4294967295EEENS1_37radix_sort_block_sort_config_selectorIjNS0_10empty_typeEEEZNS1_21radix_sort_block_sortIS4_Lb0EPKjPjPS6_SC_NS0_19identity_decomposerEEE10hipError_tT1_T2_T3_T4_jRjT5_jjP12ihipStream_tbEUlT_E_NS1_11comp_targetILNS1_3genE8ELNS1_11target_archE1030ELNS1_3gpuE2ELNS1_3repE0EEENS1_44radix_sort_block_sort_config_static_selectorELNS0_4arch9wavefront6targetE0EEEvSF_
	.p2align	8
	.type	_ZN7rocprim17ROCPRIM_400000_NS6detail17trampoline_kernelINS0_13kernel_configILj256ELj4ELj4294967295EEENS1_37radix_sort_block_sort_config_selectorIjNS0_10empty_typeEEEZNS1_21radix_sort_block_sortIS4_Lb0EPKjPjPS6_SC_NS0_19identity_decomposerEEE10hipError_tT1_T2_T3_T4_jRjT5_jjP12ihipStream_tbEUlT_E_NS1_11comp_targetILNS1_3genE8ELNS1_11target_archE1030ELNS1_3gpuE2ELNS1_3repE0EEENS1_44radix_sort_block_sort_config_static_selectorELNS0_4arch9wavefront6targetE0EEEvSF_,@function
_ZN7rocprim17ROCPRIM_400000_NS6detail17trampoline_kernelINS0_13kernel_configILj256ELj4ELj4294967295EEENS1_37radix_sort_block_sort_config_selectorIjNS0_10empty_typeEEEZNS1_21radix_sort_block_sortIS4_Lb0EPKjPjPS6_SC_NS0_19identity_decomposerEEE10hipError_tT1_T2_T3_T4_jRjT5_jjP12ihipStream_tbEUlT_E_NS1_11comp_targetILNS1_3genE8ELNS1_11target_archE1030ELNS1_3gpuE2ELNS1_3repE0EEENS1_44radix_sort_block_sort_config_static_selectorELNS0_4arch9wavefront6targetE0EEEvSF_: ; @_ZN7rocprim17ROCPRIM_400000_NS6detail17trampoline_kernelINS0_13kernel_configILj256ELj4ELj4294967295EEENS1_37radix_sort_block_sort_config_selectorIjNS0_10empty_typeEEEZNS1_21radix_sort_block_sortIS4_Lb0EPKjPjPS6_SC_NS0_19identity_decomposerEEE10hipError_tT1_T2_T3_T4_jRjT5_jjP12ihipStream_tbEUlT_E_NS1_11comp_targetILNS1_3genE8ELNS1_11target_archE1030ELNS1_3gpuE2ELNS1_3repE0EEENS1_44radix_sort_block_sort_config_static_selectorELNS0_4arch9wavefront6targetE0EEEvSF_
; %bb.0:
	.section	.rodata,"a",@progbits
	.p2align	6, 0x0
	.amdhsa_kernel _ZN7rocprim17ROCPRIM_400000_NS6detail17trampoline_kernelINS0_13kernel_configILj256ELj4ELj4294967295EEENS1_37radix_sort_block_sort_config_selectorIjNS0_10empty_typeEEEZNS1_21radix_sort_block_sortIS4_Lb0EPKjPjPS6_SC_NS0_19identity_decomposerEEE10hipError_tT1_T2_T3_T4_jRjT5_jjP12ihipStream_tbEUlT_E_NS1_11comp_targetILNS1_3genE8ELNS1_11target_archE1030ELNS1_3gpuE2ELNS1_3repE0EEENS1_44radix_sort_block_sort_config_static_selectorELNS0_4arch9wavefront6targetE0EEEvSF_
		.amdhsa_group_segment_fixed_size 0
		.amdhsa_private_segment_fixed_size 0
		.amdhsa_kernarg_size 48
		.amdhsa_user_sgpr_count 2
		.amdhsa_user_sgpr_dispatch_ptr 0
		.amdhsa_user_sgpr_queue_ptr 0
		.amdhsa_user_sgpr_kernarg_segment_ptr 1
		.amdhsa_user_sgpr_dispatch_id 0
		.amdhsa_user_sgpr_kernarg_preload_length 0
		.amdhsa_user_sgpr_kernarg_preload_offset 0
		.amdhsa_user_sgpr_private_segment_size 0
		.amdhsa_wavefront_size32 1
		.amdhsa_uses_dynamic_stack 0
		.amdhsa_enable_private_segment 0
		.amdhsa_system_sgpr_workgroup_id_x 1
		.amdhsa_system_sgpr_workgroup_id_y 0
		.amdhsa_system_sgpr_workgroup_id_z 0
		.amdhsa_system_sgpr_workgroup_info 0
		.amdhsa_system_vgpr_workitem_id 0
		.amdhsa_next_free_vgpr 1
		.amdhsa_next_free_sgpr 1
		.amdhsa_named_barrier_count 0
		.amdhsa_reserve_vcc 0
		.amdhsa_float_round_mode_32 0
		.amdhsa_float_round_mode_16_64 0
		.amdhsa_float_denorm_mode_32 3
		.amdhsa_float_denorm_mode_16_64 3
		.amdhsa_fp16_overflow 0
		.amdhsa_memory_ordered 1
		.amdhsa_forward_progress 1
		.amdhsa_inst_pref_size 0
		.amdhsa_round_robin_scheduling 0
		.amdhsa_exception_fp_ieee_invalid_op 0
		.amdhsa_exception_fp_denorm_src 0
		.amdhsa_exception_fp_ieee_div_zero 0
		.amdhsa_exception_fp_ieee_overflow 0
		.amdhsa_exception_fp_ieee_underflow 0
		.amdhsa_exception_fp_ieee_inexact 0
		.amdhsa_exception_int_div_zero 0
	.end_amdhsa_kernel
	.section	.text._ZN7rocprim17ROCPRIM_400000_NS6detail17trampoline_kernelINS0_13kernel_configILj256ELj4ELj4294967295EEENS1_37radix_sort_block_sort_config_selectorIjNS0_10empty_typeEEEZNS1_21radix_sort_block_sortIS4_Lb0EPKjPjPS6_SC_NS0_19identity_decomposerEEE10hipError_tT1_T2_T3_T4_jRjT5_jjP12ihipStream_tbEUlT_E_NS1_11comp_targetILNS1_3genE8ELNS1_11target_archE1030ELNS1_3gpuE2ELNS1_3repE0EEENS1_44radix_sort_block_sort_config_static_selectorELNS0_4arch9wavefront6targetE0EEEvSF_,"axG",@progbits,_ZN7rocprim17ROCPRIM_400000_NS6detail17trampoline_kernelINS0_13kernel_configILj256ELj4ELj4294967295EEENS1_37radix_sort_block_sort_config_selectorIjNS0_10empty_typeEEEZNS1_21radix_sort_block_sortIS4_Lb0EPKjPjPS6_SC_NS0_19identity_decomposerEEE10hipError_tT1_T2_T3_T4_jRjT5_jjP12ihipStream_tbEUlT_E_NS1_11comp_targetILNS1_3genE8ELNS1_11target_archE1030ELNS1_3gpuE2ELNS1_3repE0EEENS1_44radix_sort_block_sort_config_static_selectorELNS0_4arch9wavefront6targetE0EEEvSF_,comdat
.Lfunc_end2677:
	.size	_ZN7rocprim17ROCPRIM_400000_NS6detail17trampoline_kernelINS0_13kernel_configILj256ELj4ELj4294967295EEENS1_37radix_sort_block_sort_config_selectorIjNS0_10empty_typeEEEZNS1_21radix_sort_block_sortIS4_Lb0EPKjPjPS6_SC_NS0_19identity_decomposerEEE10hipError_tT1_T2_T3_T4_jRjT5_jjP12ihipStream_tbEUlT_E_NS1_11comp_targetILNS1_3genE8ELNS1_11target_archE1030ELNS1_3gpuE2ELNS1_3repE0EEENS1_44radix_sort_block_sort_config_static_selectorELNS0_4arch9wavefront6targetE0EEEvSF_, .Lfunc_end2677-_ZN7rocprim17ROCPRIM_400000_NS6detail17trampoline_kernelINS0_13kernel_configILj256ELj4ELj4294967295EEENS1_37radix_sort_block_sort_config_selectorIjNS0_10empty_typeEEEZNS1_21radix_sort_block_sortIS4_Lb0EPKjPjPS6_SC_NS0_19identity_decomposerEEE10hipError_tT1_T2_T3_T4_jRjT5_jjP12ihipStream_tbEUlT_E_NS1_11comp_targetILNS1_3genE8ELNS1_11target_archE1030ELNS1_3gpuE2ELNS1_3repE0EEENS1_44radix_sort_block_sort_config_static_selectorELNS0_4arch9wavefront6targetE0EEEvSF_
                                        ; -- End function
	.set _ZN7rocprim17ROCPRIM_400000_NS6detail17trampoline_kernelINS0_13kernel_configILj256ELj4ELj4294967295EEENS1_37radix_sort_block_sort_config_selectorIjNS0_10empty_typeEEEZNS1_21radix_sort_block_sortIS4_Lb0EPKjPjPS6_SC_NS0_19identity_decomposerEEE10hipError_tT1_T2_T3_T4_jRjT5_jjP12ihipStream_tbEUlT_E_NS1_11comp_targetILNS1_3genE8ELNS1_11target_archE1030ELNS1_3gpuE2ELNS1_3repE0EEENS1_44radix_sort_block_sort_config_static_selectorELNS0_4arch9wavefront6targetE0EEEvSF_.num_vgpr, 0
	.set _ZN7rocprim17ROCPRIM_400000_NS6detail17trampoline_kernelINS0_13kernel_configILj256ELj4ELj4294967295EEENS1_37radix_sort_block_sort_config_selectorIjNS0_10empty_typeEEEZNS1_21radix_sort_block_sortIS4_Lb0EPKjPjPS6_SC_NS0_19identity_decomposerEEE10hipError_tT1_T2_T3_T4_jRjT5_jjP12ihipStream_tbEUlT_E_NS1_11comp_targetILNS1_3genE8ELNS1_11target_archE1030ELNS1_3gpuE2ELNS1_3repE0EEENS1_44radix_sort_block_sort_config_static_selectorELNS0_4arch9wavefront6targetE0EEEvSF_.num_agpr, 0
	.set _ZN7rocprim17ROCPRIM_400000_NS6detail17trampoline_kernelINS0_13kernel_configILj256ELj4ELj4294967295EEENS1_37radix_sort_block_sort_config_selectorIjNS0_10empty_typeEEEZNS1_21radix_sort_block_sortIS4_Lb0EPKjPjPS6_SC_NS0_19identity_decomposerEEE10hipError_tT1_T2_T3_T4_jRjT5_jjP12ihipStream_tbEUlT_E_NS1_11comp_targetILNS1_3genE8ELNS1_11target_archE1030ELNS1_3gpuE2ELNS1_3repE0EEENS1_44radix_sort_block_sort_config_static_selectorELNS0_4arch9wavefront6targetE0EEEvSF_.numbered_sgpr, 0
	.set _ZN7rocprim17ROCPRIM_400000_NS6detail17trampoline_kernelINS0_13kernel_configILj256ELj4ELj4294967295EEENS1_37radix_sort_block_sort_config_selectorIjNS0_10empty_typeEEEZNS1_21radix_sort_block_sortIS4_Lb0EPKjPjPS6_SC_NS0_19identity_decomposerEEE10hipError_tT1_T2_T3_T4_jRjT5_jjP12ihipStream_tbEUlT_E_NS1_11comp_targetILNS1_3genE8ELNS1_11target_archE1030ELNS1_3gpuE2ELNS1_3repE0EEENS1_44radix_sort_block_sort_config_static_selectorELNS0_4arch9wavefront6targetE0EEEvSF_.num_named_barrier, 0
	.set _ZN7rocprim17ROCPRIM_400000_NS6detail17trampoline_kernelINS0_13kernel_configILj256ELj4ELj4294967295EEENS1_37radix_sort_block_sort_config_selectorIjNS0_10empty_typeEEEZNS1_21radix_sort_block_sortIS4_Lb0EPKjPjPS6_SC_NS0_19identity_decomposerEEE10hipError_tT1_T2_T3_T4_jRjT5_jjP12ihipStream_tbEUlT_E_NS1_11comp_targetILNS1_3genE8ELNS1_11target_archE1030ELNS1_3gpuE2ELNS1_3repE0EEENS1_44radix_sort_block_sort_config_static_selectorELNS0_4arch9wavefront6targetE0EEEvSF_.private_seg_size, 0
	.set _ZN7rocprim17ROCPRIM_400000_NS6detail17trampoline_kernelINS0_13kernel_configILj256ELj4ELj4294967295EEENS1_37radix_sort_block_sort_config_selectorIjNS0_10empty_typeEEEZNS1_21radix_sort_block_sortIS4_Lb0EPKjPjPS6_SC_NS0_19identity_decomposerEEE10hipError_tT1_T2_T3_T4_jRjT5_jjP12ihipStream_tbEUlT_E_NS1_11comp_targetILNS1_3genE8ELNS1_11target_archE1030ELNS1_3gpuE2ELNS1_3repE0EEENS1_44radix_sort_block_sort_config_static_selectorELNS0_4arch9wavefront6targetE0EEEvSF_.uses_vcc, 0
	.set _ZN7rocprim17ROCPRIM_400000_NS6detail17trampoline_kernelINS0_13kernel_configILj256ELj4ELj4294967295EEENS1_37radix_sort_block_sort_config_selectorIjNS0_10empty_typeEEEZNS1_21radix_sort_block_sortIS4_Lb0EPKjPjPS6_SC_NS0_19identity_decomposerEEE10hipError_tT1_T2_T3_T4_jRjT5_jjP12ihipStream_tbEUlT_E_NS1_11comp_targetILNS1_3genE8ELNS1_11target_archE1030ELNS1_3gpuE2ELNS1_3repE0EEENS1_44radix_sort_block_sort_config_static_selectorELNS0_4arch9wavefront6targetE0EEEvSF_.uses_flat_scratch, 0
	.set _ZN7rocprim17ROCPRIM_400000_NS6detail17trampoline_kernelINS0_13kernel_configILj256ELj4ELj4294967295EEENS1_37radix_sort_block_sort_config_selectorIjNS0_10empty_typeEEEZNS1_21radix_sort_block_sortIS4_Lb0EPKjPjPS6_SC_NS0_19identity_decomposerEEE10hipError_tT1_T2_T3_T4_jRjT5_jjP12ihipStream_tbEUlT_E_NS1_11comp_targetILNS1_3genE8ELNS1_11target_archE1030ELNS1_3gpuE2ELNS1_3repE0EEENS1_44radix_sort_block_sort_config_static_selectorELNS0_4arch9wavefront6targetE0EEEvSF_.has_dyn_sized_stack, 0
	.set _ZN7rocprim17ROCPRIM_400000_NS6detail17trampoline_kernelINS0_13kernel_configILj256ELj4ELj4294967295EEENS1_37radix_sort_block_sort_config_selectorIjNS0_10empty_typeEEEZNS1_21radix_sort_block_sortIS4_Lb0EPKjPjPS6_SC_NS0_19identity_decomposerEEE10hipError_tT1_T2_T3_T4_jRjT5_jjP12ihipStream_tbEUlT_E_NS1_11comp_targetILNS1_3genE8ELNS1_11target_archE1030ELNS1_3gpuE2ELNS1_3repE0EEENS1_44radix_sort_block_sort_config_static_selectorELNS0_4arch9wavefront6targetE0EEEvSF_.has_recursion, 0
	.set _ZN7rocprim17ROCPRIM_400000_NS6detail17trampoline_kernelINS0_13kernel_configILj256ELj4ELj4294967295EEENS1_37radix_sort_block_sort_config_selectorIjNS0_10empty_typeEEEZNS1_21radix_sort_block_sortIS4_Lb0EPKjPjPS6_SC_NS0_19identity_decomposerEEE10hipError_tT1_T2_T3_T4_jRjT5_jjP12ihipStream_tbEUlT_E_NS1_11comp_targetILNS1_3genE8ELNS1_11target_archE1030ELNS1_3gpuE2ELNS1_3repE0EEENS1_44radix_sort_block_sort_config_static_selectorELNS0_4arch9wavefront6targetE0EEEvSF_.has_indirect_call, 0
	.section	.AMDGPU.csdata,"",@progbits
; Kernel info:
; codeLenInByte = 0
; TotalNumSgprs: 0
; NumVgprs: 0
; ScratchSize: 0
; MemoryBound: 0
; FloatMode: 240
; IeeeMode: 1
; LDSByteSize: 0 bytes/workgroup (compile time only)
; SGPRBlocks: 0
; VGPRBlocks: 0
; NumSGPRsForWavesPerEU: 1
; NumVGPRsForWavesPerEU: 1
; NamedBarCnt: 0
; Occupancy: 16
; WaveLimiterHint : 0
; COMPUTE_PGM_RSRC2:SCRATCH_EN: 0
; COMPUTE_PGM_RSRC2:USER_SGPR: 2
; COMPUTE_PGM_RSRC2:TRAP_HANDLER: 0
; COMPUTE_PGM_RSRC2:TGID_X_EN: 1
; COMPUTE_PGM_RSRC2:TGID_Y_EN: 0
; COMPUTE_PGM_RSRC2:TGID_Z_EN: 0
; COMPUTE_PGM_RSRC2:TIDIG_COMP_CNT: 0
	.section	.text._ZN7rocprim17ROCPRIM_400000_NS6detail17trampoline_kernelINS0_14default_configENS1_38merge_sort_block_merge_config_selectorIjNS0_10empty_typeEEEZZNS1_27merge_sort_block_merge_implIS3_PjPS5_jNS1_19radix_merge_compareILb0ELb0EjNS0_19identity_decomposerEEEEE10hipError_tT0_T1_T2_jT3_P12ihipStream_tbPNSt15iterator_traitsISE_E10value_typeEPNSK_ISF_E10value_typeEPSG_NS1_7vsmem_tEENKUlT_SE_SF_SG_E_clIS8_S8_S9_S9_EESD_ST_SE_SF_SG_EUlST_E_NS1_11comp_targetILNS1_3genE0ELNS1_11target_archE4294967295ELNS1_3gpuE0ELNS1_3repE0EEENS1_48merge_mergepath_partition_config_static_selectorELNS0_4arch9wavefront6targetE0EEEvSF_,"axG",@progbits,_ZN7rocprim17ROCPRIM_400000_NS6detail17trampoline_kernelINS0_14default_configENS1_38merge_sort_block_merge_config_selectorIjNS0_10empty_typeEEEZZNS1_27merge_sort_block_merge_implIS3_PjPS5_jNS1_19radix_merge_compareILb0ELb0EjNS0_19identity_decomposerEEEEE10hipError_tT0_T1_T2_jT3_P12ihipStream_tbPNSt15iterator_traitsISE_E10value_typeEPNSK_ISF_E10value_typeEPSG_NS1_7vsmem_tEENKUlT_SE_SF_SG_E_clIS8_S8_S9_S9_EESD_ST_SE_SF_SG_EUlST_E_NS1_11comp_targetILNS1_3genE0ELNS1_11target_archE4294967295ELNS1_3gpuE0ELNS1_3repE0EEENS1_48merge_mergepath_partition_config_static_selectorELNS0_4arch9wavefront6targetE0EEEvSF_,comdat
	.protected	_ZN7rocprim17ROCPRIM_400000_NS6detail17trampoline_kernelINS0_14default_configENS1_38merge_sort_block_merge_config_selectorIjNS0_10empty_typeEEEZZNS1_27merge_sort_block_merge_implIS3_PjPS5_jNS1_19radix_merge_compareILb0ELb0EjNS0_19identity_decomposerEEEEE10hipError_tT0_T1_T2_jT3_P12ihipStream_tbPNSt15iterator_traitsISE_E10value_typeEPNSK_ISF_E10value_typeEPSG_NS1_7vsmem_tEENKUlT_SE_SF_SG_E_clIS8_S8_S9_S9_EESD_ST_SE_SF_SG_EUlST_E_NS1_11comp_targetILNS1_3genE0ELNS1_11target_archE4294967295ELNS1_3gpuE0ELNS1_3repE0EEENS1_48merge_mergepath_partition_config_static_selectorELNS0_4arch9wavefront6targetE0EEEvSF_ ; -- Begin function _ZN7rocprim17ROCPRIM_400000_NS6detail17trampoline_kernelINS0_14default_configENS1_38merge_sort_block_merge_config_selectorIjNS0_10empty_typeEEEZZNS1_27merge_sort_block_merge_implIS3_PjPS5_jNS1_19radix_merge_compareILb0ELb0EjNS0_19identity_decomposerEEEEE10hipError_tT0_T1_T2_jT3_P12ihipStream_tbPNSt15iterator_traitsISE_E10value_typeEPNSK_ISF_E10value_typeEPSG_NS1_7vsmem_tEENKUlT_SE_SF_SG_E_clIS8_S8_S9_S9_EESD_ST_SE_SF_SG_EUlST_E_NS1_11comp_targetILNS1_3genE0ELNS1_11target_archE4294967295ELNS1_3gpuE0ELNS1_3repE0EEENS1_48merge_mergepath_partition_config_static_selectorELNS0_4arch9wavefront6targetE0EEEvSF_
	.globl	_ZN7rocprim17ROCPRIM_400000_NS6detail17trampoline_kernelINS0_14default_configENS1_38merge_sort_block_merge_config_selectorIjNS0_10empty_typeEEEZZNS1_27merge_sort_block_merge_implIS3_PjPS5_jNS1_19radix_merge_compareILb0ELb0EjNS0_19identity_decomposerEEEEE10hipError_tT0_T1_T2_jT3_P12ihipStream_tbPNSt15iterator_traitsISE_E10value_typeEPNSK_ISF_E10value_typeEPSG_NS1_7vsmem_tEENKUlT_SE_SF_SG_E_clIS8_S8_S9_S9_EESD_ST_SE_SF_SG_EUlST_E_NS1_11comp_targetILNS1_3genE0ELNS1_11target_archE4294967295ELNS1_3gpuE0ELNS1_3repE0EEENS1_48merge_mergepath_partition_config_static_selectorELNS0_4arch9wavefront6targetE0EEEvSF_
	.p2align	8
	.type	_ZN7rocprim17ROCPRIM_400000_NS6detail17trampoline_kernelINS0_14default_configENS1_38merge_sort_block_merge_config_selectorIjNS0_10empty_typeEEEZZNS1_27merge_sort_block_merge_implIS3_PjPS5_jNS1_19radix_merge_compareILb0ELb0EjNS0_19identity_decomposerEEEEE10hipError_tT0_T1_T2_jT3_P12ihipStream_tbPNSt15iterator_traitsISE_E10value_typeEPNSK_ISF_E10value_typeEPSG_NS1_7vsmem_tEENKUlT_SE_SF_SG_E_clIS8_S8_S9_S9_EESD_ST_SE_SF_SG_EUlST_E_NS1_11comp_targetILNS1_3genE0ELNS1_11target_archE4294967295ELNS1_3gpuE0ELNS1_3repE0EEENS1_48merge_mergepath_partition_config_static_selectorELNS0_4arch9wavefront6targetE0EEEvSF_,@function
_ZN7rocprim17ROCPRIM_400000_NS6detail17trampoline_kernelINS0_14default_configENS1_38merge_sort_block_merge_config_selectorIjNS0_10empty_typeEEEZZNS1_27merge_sort_block_merge_implIS3_PjPS5_jNS1_19radix_merge_compareILb0ELb0EjNS0_19identity_decomposerEEEEE10hipError_tT0_T1_T2_jT3_P12ihipStream_tbPNSt15iterator_traitsISE_E10value_typeEPNSK_ISF_E10value_typeEPSG_NS1_7vsmem_tEENKUlT_SE_SF_SG_E_clIS8_S8_S9_S9_EESD_ST_SE_SF_SG_EUlST_E_NS1_11comp_targetILNS1_3genE0ELNS1_11target_archE4294967295ELNS1_3gpuE0ELNS1_3repE0EEENS1_48merge_mergepath_partition_config_static_selectorELNS0_4arch9wavefront6targetE0EEEvSF_: ; @_ZN7rocprim17ROCPRIM_400000_NS6detail17trampoline_kernelINS0_14default_configENS1_38merge_sort_block_merge_config_selectorIjNS0_10empty_typeEEEZZNS1_27merge_sort_block_merge_implIS3_PjPS5_jNS1_19radix_merge_compareILb0ELb0EjNS0_19identity_decomposerEEEEE10hipError_tT0_T1_T2_jT3_P12ihipStream_tbPNSt15iterator_traitsISE_E10value_typeEPNSK_ISF_E10value_typeEPSG_NS1_7vsmem_tEENKUlT_SE_SF_SG_E_clIS8_S8_S9_S9_EESD_ST_SE_SF_SG_EUlST_E_NS1_11comp_targetILNS1_3genE0ELNS1_11target_archE4294967295ELNS1_3gpuE0ELNS1_3repE0EEENS1_48merge_mergepath_partition_config_static_selectorELNS0_4arch9wavefront6targetE0EEEvSF_
; %bb.0:
	s_load_b32 s2, s[0:1], 0x0
	s_bfe_u32 s3, ttmp6, 0x4000c
	s_and_b32 s4, ttmp6, 15
	s_add_co_i32 s3, s3, 1
	s_getreg_b32 s5, hwreg(HW_REG_IB_STS2, 6, 4)
	s_mul_i32 s3, ttmp9, s3
	s_delay_alu instid0(SALU_CYCLE_1) | instskip(SKIP_2) | instid1(SALU_CYCLE_1)
	s_add_co_i32 s4, s4, s3
	s_cmp_eq_u32 s5, 0
	s_cselect_b32 s3, ttmp9, s4
	v_lshl_or_b32 v8, s3, 7, v0
	s_wait_kmcnt 0x0
	s_delay_alu instid0(VALU_DEP_1)
	v_cmp_gt_u32_e32 vcc_lo, s2, v8
	s_and_saveexec_b32 s2, vcc_lo
	s_cbranch_execz .LBB2678_6
; %bb.1:
	s_load_b64 s[2:3], s[0:1], 0x4
	s_wait_kmcnt 0x0
	s_lshr_b32 s4, s2, 9
	s_delay_alu instid0(SALU_CYCLE_1) | instskip(NEXT) | instid1(SALU_CYCLE_1)
	s_and_b32 s4, s4, 0x7ffffe
	s_sub_co_i32 s5, 0, s4
	s_add_co_i32 s4, s4, -1
	s_delay_alu instid0(SALU_CYCLE_1) | instskip(SKIP_2) | instid1(VALU_DEP_1)
	v_and_b32_e32 v1, s4, v8
	v_and_b32_e32 v0, s5, v8
	s_mov_b32 s4, exec_lo
	v_dual_lshlrev_b32 v1, 10, v1 :: v_dual_lshlrev_b32 v0, 10, v0
	s_delay_alu instid0(VALU_DEP_1) | instskip(SKIP_1) | instid1(VALU_DEP_2)
	v_add_min_u32_e64 v2, v0, s2, s3
	v_min_u32_e32 v0, s3, v0
	v_add_min_u32_e64 v3, v2, s2, s3
	s_load_b64 s[2:3], s[0:1], 0x20
	s_delay_alu instid0(VALU_DEP_1) | instskip(NEXT) | instid1(VALU_DEP_1)
	v_dual_sub_nc_u32 v4, v3, v0 :: v_dual_sub_nc_u32 v3, v3, v2
	v_min_u32_e32 v10, v4, v1
	v_sub_nc_u32_e32 v1, v2, v0
	s_delay_alu instid0(VALU_DEP_2) | instskip(NEXT) | instid1(VALU_DEP_2)
	v_sub_nc_u32_e64 v9, v10, v3 clamp
	v_min_u32_e32 v11, v10, v1
	s_delay_alu instid0(VALU_DEP_1)
	v_cmpx_lt_u32_e64 v9, v11
	s_cbranch_execz .LBB2678_5
; %bb.2:
	s_wait_xcnt 0x0
	s_load_b64 s[0:1], s[0:1], 0x10
	v_mov_b32_e32 v3, 0
	s_delay_alu instid0(VALU_DEP_1) | instskip(SKIP_1) | instid1(VALU_DEP_1)
	v_mov_b32_e32 v1, v3
	s_wait_kmcnt 0x0
	v_lshl_add_u64 v[4:5], v[0:1], 2, s[0:1]
	v_lshl_add_u64 v[6:7], v[2:3], 2, s[0:1]
	s_mov_b32 s0, 0
.LBB2678_3:                             ; =>This Inner Loop Header: Depth=1
	v_add_nc_u32_e32 v1, v11, v9
	s_delay_alu instid0(VALU_DEP_1) | instskip(NEXT) | instid1(VALU_DEP_1)
	v_dual_mov_b32 v13, v3 :: v_dual_lshrrev_b32 v2, 1, v1
	v_xad_u32 v12, v2, -1, v10
	v_lshl_add_u64 v[14:15], v[2:3], 2, v[4:5]
	s_delay_alu instid0(VALU_DEP_2)
	v_lshl_add_u64 v[12:13], v[12:13], 2, v[6:7]
	s_clause 0x1
	global_load_b32 v1, v[14:15], off
	global_load_b32 v16, v[12:13], off
	s_wait_xcnt 0x0
	v_add_nc_u32_e32 v12, 1, v2
	s_wait_loadcnt 0x0
	v_cmp_gt_u32_e32 vcc_lo, v1, v16
	s_delay_alu instid0(VALU_DEP_2) | instskip(NEXT) | instid1(VALU_DEP_1)
	v_dual_cndmask_b32 v11, v11, v2, vcc_lo :: v_dual_cndmask_b32 v9, v12, v9, vcc_lo
	v_cmp_ge_u32_e32 vcc_lo, v9, v11
	s_or_b32 s0, vcc_lo, s0
	s_delay_alu instid0(SALU_CYCLE_1)
	s_and_not1_b32 exec_lo, exec_lo, s0
	s_cbranch_execnz .LBB2678_3
; %bb.4:
	s_or_b32 exec_lo, exec_lo, s0
.LBB2678_5:
	s_delay_alu instid0(SALU_CYCLE_1)
	s_or_b32 exec_lo, exec_lo, s4
	v_add_nc_u32_e32 v0, v9, v0
	s_wait_kmcnt 0x0
	global_store_b32 v8, v0, s[2:3] scale_offset
.LBB2678_6:
	s_endpgm
	.section	.rodata,"a",@progbits
	.p2align	6, 0x0
	.amdhsa_kernel _ZN7rocprim17ROCPRIM_400000_NS6detail17trampoline_kernelINS0_14default_configENS1_38merge_sort_block_merge_config_selectorIjNS0_10empty_typeEEEZZNS1_27merge_sort_block_merge_implIS3_PjPS5_jNS1_19radix_merge_compareILb0ELb0EjNS0_19identity_decomposerEEEEE10hipError_tT0_T1_T2_jT3_P12ihipStream_tbPNSt15iterator_traitsISE_E10value_typeEPNSK_ISF_E10value_typeEPSG_NS1_7vsmem_tEENKUlT_SE_SF_SG_E_clIS8_S8_S9_S9_EESD_ST_SE_SF_SG_EUlST_E_NS1_11comp_targetILNS1_3genE0ELNS1_11target_archE4294967295ELNS1_3gpuE0ELNS1_3repE0EEENS1_48merge_mergepath_partition_config_static_selectorELNS0_4arch9wavefront6targetE0EEEvSF_
		.amdhsa_group_segment_fixed_size 0
		.amdhsa_private_segment_fixed_size 0
		.amdhsa_kernarg_size 40
		.amdhsa_user_sgpr_count 2
		.amdhsa_user_sgpr_dispatch_ptr 0
		.amdhsa_user_sgpr_queue_ptr 0
		.amdhsa_user_sgpr_kernarg_segment_ptr 1
		.amdhsa_user_sgpr_dispatch_id 0
		.amdhsa_user_sgpr_kernarg_preload_length 0
		.amdhsa_user_sgpr_kernarg_preload_offset 0
		.amdhsa_user_sgpr_private_segment_size 0
		.amdhsa_wavefront_size32 1
		.amdhsa_uses_dynamic_stack 0
		.amdhsa_enable_private_segment 0
		.amdhsa_system_sgpr_workgroup_id_x 1
		.amdhsa_system_sgpr_workgroup_id_y 0
		.amdhsa_system_sgpr_workgroup_id_z 0
		.amdhsa_system_sgpr_workgroup_info 0
		.amdhsa_system_vgpr_workitem_id 0
		.amdhsa_next_free_vgpr 17
		.amdhsa_next_free_sgpr 6
		.amdhsa_named_barrier_count 0
		.amdhsa_reserve_vcc 1
		.amdhsa_float_round_mode_32 0
		.amdhsa_float_round_mode_16_64 0
		.amdhsa_float_denorm_mode_32 3
		.amdhsa_float_denorm_mode_16_64 3
		.amdhsa_fp16_overflow 0
		.amdhsa_memory_ordered 1
		.amdhsa_forward_progress 1
		.amdhsa_inst_pref_size 4
		.amdhsa_round_robin_scheduling 0
		.amdhsa_exception_fp_ieee_invalid_op 0
		.amdhsa_exception_fp_denorm_src 0
		.amdhsa_exception_fp_ieee_div_zero 0
		.amdhsa_exception_fp_ieee_overflow 0
		.amdhsa_exception_fp_ieee_underflow 0
		.amdhsa_exception_fp_ieee_inexact 0
		.amdhsa_exception_int_div_zero 0
	.end_amdhsa_kernel
	.section	.text._ZN7rocprim17ROCPRIM_400000_NS6detail17trampoline_kernelINS0_14default_configENS1_38merge_sort_block_merge_config_selectorIjNS0_10empty_typeEEEZZNS1_27merge_sort_block_merge_implIS3_PjPS5_jNS1_19radix_merge_compareILb0ELb0EjNS0_19identity_decomposerEEEEE10hipError_tT0_T1_T2_jT3_P12ihipStream_tbPNSt15iterator_traitsISE_E10value_typeEPNSK_ISF_E10value_typeEPSG_NS1_7vsmem_tEENKUlT_SE_SF_SG_E_clIS8_S8_S9_S9_EESD_ST_SE_SF_SG_EUlST_E_NS1_11comp_targetILNS1_3genE0ELNS1_11target_archE4294967295ELNS1_3gpuE0ELNS1_3repE0EEENS1_48merge_mergepath_partition_config_static_selectorELNS0_4arch9wavefront6targetE0EEEvSF_,"axG",@progbits,_ZN7rocprim17ROCPRIM_400000_NS6detail17trampoline_kernelINS0_14default_configENS1_38merge_sort_block_merge_config_selectorIjNS0_10empty_typeEEEZZNS1_27merge_sort_block_merge_implIS3_PjPS5_jNS1_19radix_merge_compareILb0ELb0EjNS0_19identity_decomposerEEEEE10hipError_tT0_T1_T2_jT3_P12ihipStream_tbPNSt15iterator_traitsISE_E10value_typeEPNSK_ISF_E10value_typeEPSG_NS1_7vsmem_tEENKUlT_SE_SF_SG_E_clIS8_S8_S9_S9_EESD_ST_SE_SF_SG_EUlST_E_NS1_11comp_targetILNS1_3genE0ELNS1_11target_archE4294967295ELNS1_3gpuE0ELNS1_3repE0EEENS1_48merge_mergepath_partition_config_static_selectorELNS0_4arch9wavefront6targetE0EEEvSF_,comdat
.Lfunc_end2678:
	.size	_ZN7rocprim17ROCPRIM_400000_NS6detail17trampoline_kernelINS0_14default_configENS1_38merge_sort_block_merge_config_selectorIjNS0_10empty_typeEEEZZNS1_27merge_sort_block_merge_implIS3_PjPS5_jNS1_19radix_merge_compareILb0ELb0EjNS0_19identity_decomposerEEEEE10hipError_tT0_T1_T2_jT3_P12ihipStream_tbPNSt15iterator_traitsISE_E10value_typeEPNSK_ISF_E10value_typeEPSG_NS1_7vsmem_tEENKUlT_SE_SF_SG_E_clIS8_S8_S9_S9_EESD_ST_SE_SF_SG_EUlST_E_NS1_11comp_targetILNS1_3genE0ELNS1_11target_archE4294967295ELNS1_3gpuE0ELNS1_3repE0EEENS1_48merge_mergepath_partition_config_static_selectorELNS0_4arch9wavefront6targetE0EEEvSF_, .Lfunc_end2678-_ZN7rocprim17ROCPRIM_400000_NS6detail17trampoline_kernelINS0_14default_configENS1_38merge_sort_block_merge_config_selectorIjNS0_10empty_typeEEEZZNS1_27merge_sort_block_merge_implIS3_PjPS5_jNS1_19radix_merge_compareILb0ELb0EjNS0_19identity_decomposerEEEEE10hipError_tT0_T1_T2_jT3_P12ihipStream_tbPNSt15iterator_traitsISE_E10value_typeEPNSK_ISF_E10value_typeEPSG_NS1_7vsmem_tEENKUlT_SE_SF_SG_E_clIS8_S8_S9_S9_EESD_ST_SE_SF_SG_EUlST_E_NS1_11comp_targetILNS1_3genE0ELNS1_11target_archE4294967295ELNS1_3gpuE0ELNS1_3repE0EEENS1_48merge_mergepath_partition_config_static_selectorELNS0_4arch9wavefront6targetE0EEEvSF_
                                        ; -- End function
	.set _ZN7rocprim17ROCPRIM_400000_NS6detail17trampoline_kernelINS0_14default_configENS1_38merge_sort_block_merge_config_selectorIjNS0_10empty_typeEEEZZNS1_27merge_sort_block_merge_implIS3_PjPS5_jNS1_19radix_merge_compareILb0ELb0EjNS0_19identity_decomposerEEEEE10hipError_tT0_T1_T2_jT3_P12ihipStream_tbPNSt15iterator_traitsISE_E10value_typeEPNSK_ISF_E10value_typeEPSG_NS1_7vsmem_tEENKUlT_SE_SF_SG_E_clIS8_S8_S9_S9_EESD_ST_SE_SF_SG_EUlST_E_NS1_11comp_targetILNS1_3genE0ELNS1_11target_archE4294967295ELNS1_3gpuE0ELNS1_3repE0EEENS1_48merge_mergepath_partition_config_static_selectorELNS0_4arch9wavefront6targetE0EEEvSF_.num_vgpr, 17
	.set _ZN7rocprim17ROCPRIM_400000_NS6detail17trampoline_kernelINS0_14default_configENS1_38merge_sort_block_merge_config_selectorIjNS0_10empty_typeEEEZZNS1_27merge_sort_block_merge_implIS3_PjPS5_jNS1_19radix_merge_compareILb0ELb0EjNS0_19identity_decomposerEEEEE10hipError_tT0_T1_T2_jT3_P12ihipStream_tbPNSt15iterator_traitsISE_E10value_typeEPNSK_ISF_E10value_typeEPSG_NS1_7vsmem_tEENKUlT_SE_SF_SG_E_clIS8_S8_S9_S9_EESD_ST_SE_SF_SG_EUlST_E_NS1_11comp_targetILNS1_3genE0ELNS1_11target_archE4294967295ELNS1_3gpuE0ELNS1_3repE0EEENS1_48merge_mergepath_partition_config_static_selectorELNS0_4arch9wavefront6targetE0EEEvSF_.num_agpr, 0
	.set _ZN7rocprim17ROCPRIM_400000_NS6detail17trampoline_kernelINS0_14default_configENS1_38merge_sort_block_merge_config_selectorIjNS0_10empty_typeEEEZZNS1_27merge_sort_block_merge_implIS3_PjPS5_jNS1_19radix_merge_compareILb0ELb0EjNS0_19identity_decomposerEEEEE10hipError_tT0_T1_T2_jT3_P12ihipStream_tbPNSt15iterator_traitsISE_E10value_typeEPNSK_ISF_E10value_typeEPSG_NS1_7vsmem_tEENKUlT_SE_SF_SG_E_clIS8_S8_S9_S9_EESD_ST_SE_SF_SG_EUlST_E_NS1_11comp_targetILNS1_3genE0ELNS1_11target_archE4294967295ELNS1_3gpuE0ELNS1_3repE0EEENS1_48merge_mergepath_partition_config_static_selectorELNS0_4arch9wavefront6targetE0EEEvSF_.numbered_sgpr, 6
	.set _ZN7rocprim17ROCPRIM_400000_NS6detail17trampoline_kernelINS0_14default_configENS1_38merge_sort_block_merge_config_selectorIjNS0_10empty_typeEEEZZNS1_27merge_sort_block_merge_implIS3_PjPS5_jNS1_19radix_merge_compareILb0ELb0EjNS0_19identity_decomposerEEEEE10hipError_tT0_T1_T2_jT3_P12ihipStream_tbPNSt15iterator_traitsISE_E10value_typeEPNSK_ISF_E10value_typeEPSG_NS1_7vsmem_tEENKUlT_SE_SF_SG_E_clIS8_S8_S9_S9_EESD_ST_SE_SF_SG_EUlST_E_NS1_11comp_targetILNS1_3genE0ELNS1_11target_archE4294967295ELNS1_3gpuE0ELNS1_3repE0EEENS1_48merge_mergepath_partition_config_static_selectorELNS0_4arch9wavefront6targetE0EEEvSF_.num_named_barrier, 0
	.set _ZN7rocprim17ROCPRIM_400000_NS6detail17trampoline_kernelINS0_14default_configENS1_38merge_sort_block_merge_config_selectorIjNS0_10empty_typeEEEZZNS1_27merge_sort_block_merge_implIS3_PjPS5_jNS1_19radix_merge_compareILb0ELb0EjNS0_19identity_decomposerEEEEE10hipError_tT0_T1_T2_jT3_P12ihipStream_tbPNSt15iterator_traitsISE_E10value_typeEPNSK_ISF_E10value_typeEPSG_NS1_7vsmem_tEENKUlT_SE_SF_SG_E_clIS8_S8_S9_S9_EESD_ST_SE_SF_SG_EUlST_E_NS1_11comp_targetILNS1_3genE0ELNS1_11target_archE4294967295ELNS1_3gpuE0ELNS1_3repE0EEENS1_48merge_mergepath_partition_config_static_selectorELNS0_4arch9wavefront6targetE0EEEvSF_.private_seg_size, 0
	.set _ZN7rocprim17ROCPRIM_400000_NS6detail17trampoline_kernelINS0_14default_configENS1_38merge_sort_block_merge_config_selectorIjNS0_10empty_typeEEEZZNS1_27merge_sort_block_merge_implIS3_PjPS5_jNS1_19radix_merge_compareILb0ELb0EjNS0_19identity_decomposerEEEEE10hipError_tT0_T1_T2_jT3_P12ihipStream_tbPNSt15iterator_traitsISE_E10value_typeEPNSK_ISF_E10value_typeEPSG_NS1_7vsmem_tEENKUlT_SE_SF_SG_E_clIS8_S8_S9_S9_EESD_ST_SE_SF_SG_EUlST_E_NS1_11comp_targetILNS1_3genE0ELNS1_11target_archE4294967295ELNS1_3gpuE0ELNS1_3repE0EEENS1_48merge_mergepath_partition_config_static_selectorELNS0_4arch9wavefront6targetE0EEEvSF_.uses_vcc, 1
	.set _ZN7rocprim17ROCPRIM_400000_NS6detail17trampoline_kernelINS0_14default_configENS1_38merge_sort_block_merge_config_selectorIjNS0_10empty_typeEEEZZNS1_27merge_sort_block_merge_implIS3_PjPS5_jNS1_19radix_merge_compareILb0ELb0EjNS0_19identity_decomposerEEEEE10hipError_tT0_T1_T2_jT3_P12ihipStream_tbPNSt15iterator_traitsISE_E10value_typeEPNSK_ISF_E10value_typeEPSG_NS1_7vsmem_tEENKUlT_SE_SF_SG_E_clIS8_S8_S9_S9_EESD_ST_SE_SF_SG_EUlST_E_NS1_11comp_targetILNS1_3genE0ELNS1_11target_archE4294967295ELNS1_3gpuE0ELNS1_3repE0EEENS1_48merge_mergepath_partition_config_static_selectorELNS0_4arch9wavefront6targetE0EEEvSF_.uses_flat_scratch, 0
	.set _ZN7rocprim17ROCPRIM_400000_NS6detail17trampoline_kernelINS0_14default_configENS1_38merge_sort_block_merge_config_selectorIjNS0_10empty_typeEEEZZNS1_27merge_sort_block_merge_implIS3_PjPS5_jNS1_19radix_merge_compareILb0ELb0EjNS0_19identity_decomposerEEEEE10hipError_tT0_T1_T2_jT3_P12ihipStream_tbPNSt15iterator_traitsISE_E10value_typeEPNSK_ISF_E10value_typeEPSG_NS1_7vsmem_tEENKUlT_SE_SF_SG_E_clIS8_S8_S9_S9_EESD_ST_SE_SF_SG_EUlST_E_NS1_11comp_targetILNS1_3genE0ELNS1_11target_archE4294967295ELNS1_3gpuE0ELNS1_3repE0EEENS1_48merge_mergepath_partition_config_static_selectorELNS0_4arch9wavefront6targetE0EEEvSF_.has_dyn_sized_stack, 0
	.set _ZN7rocprim17ROCPRIM_400000_NS6detail17trampoline_kernelINS0_14default_configENS1_38merge_sort_block_merge_config_selectorIjNS0_10empty_typeEEEZZNS1_27merge_sort_block_merge_implIS3_PjPS5_jNS1_19radix_merge_compareILb0ELb0EjNS0_19identity_decomposerEEEEE10hipError_tT0_T1_T2_jT3_P12ihipStream_tbPNSt15iterator_traitsISE_E10value_typeEPNSK_ISF_E10value_typeEPSG_NS1_7vsmem_tEENKUlT_SE_SF_SG_E_clIS8_S8_S9_S9_EESD_ST_SE_SF_SG_EUlST_E_NS1_11comp_targetILNS1_3genE0ELNS1_11target_archE4294967295ELNS1_3gpuE0ELNS1_3repE0EEENS1_48merge_mergepath_partition_config_static_selectorELNS0_4arch9wavefront6targetE0EEEvSF_.has_recursion, 0
	.set _ZN7rocprim17ROCPRIM_400000_NS6detail17trampoline_kernelINS0_14default_configENS1_38merge_sort_block_merge_config_selectorIjNS0_10empty_typeEEEZZNS1_27merge_sort_block_merge_implIS3_PjPS5_jNS1_19radix_merge_compareILb0ELb0EjNS0_19identity_decomposerEEEEE10hipError_tT0_T1_T2_jT3_P12ihipStream_tbPNSt15iterator_traitsISE_E10value_typeEPNSK_ISF_E10value_typeEPSG_NS1_7vsmem_tEENKUlT_SE_SF_SG_E_clIS8_S8_S9_S9_EESD_ST_SE_SF_SG_EUlST_E_NS1_11comp_targetILNS1_3genE0ELNS1_11target_archE4294967295ELNS1_3gpuE0ELNS1_3repE0EEENS1_48merge_mergepath_partition_config_static_selectorELNS0_4arch9wavefront6targetE0EEEvSF_.has_indirect_call, 0
	.section	.AMDGPU.csdata,"",@progbits
; Kernel info:
; codeLenInByte = 436
; TotalNumSgprs: 8
; NumVgprs: 17
; ScratchSize: 0
; MemoryBound: 0
; FloatMode: 240
; IeeeMode: 1
; LDSByteSize: 0 bytes/workgroup (compile time only)
; SGPRBlocks: 0
; VGPRBlocks: 1
; NumSGPRsForWavesPerEU: 8
; NumVGPRsForWavesPerEU: 17
; NamedBarCnt: 0
; Occupancy: 16
; WaveLimiterHint : 0
; COMPUTE_PGM_RSRC2:SCRATCH_EN: 0
; COMPUTE_PGM_RSRC2:USER_SGPR: 2
; COMPUTE_PGM_RSRC2:TRAP_HANDLER: 0
; COMPUTE_PGM_RSRC2:TGID_X_EN: 1
; COMPUTE_PGM_RSRC2:TGID_Y_EN: 0
; COMPUTE_PGM_RSRC2:TGID_Z_EN: 0
; COMPUTE_PGM_RSRC2:TIDIG_COMP_CNT: 0
	.section	.text._ZN7rocprim17ROCPRIM_400000_NS6detail17trampoline_kernelINS0_14default_configENS1_38merge_sort_block_merge_config_selectorIjNS0_10empty_typeEEEZZNS1_27merge_sort_block_merge_implIS3_PjPS5_jNS1_19radix_merge_compareILb0ELb0EjNS0_19identity_decomposerEEEEE10hipError_tT0_T1_T2_jT3_P12ihipStream_tbPNSt15iterator_traitsISE_E10value_typeEPNSK_ISF_E10value_typeEPSG_NS1_7vsmem_tEENKUlT_SE_SF_SG_E_clIS8_S8_S9_S9_EESD_ST_SE_SF_SG_EUlST_E_NS1_11comp_targetILNS1_3genE10ELNS1_11target_archE1201ELNS1_3gpuE5ELNS1_3repE0EEENS1_48merge_mergepath_partition_config_static_selectorELNS0_4arch9wavefront6targetE0EEEvSF_,"axG",@progbits,_ZN7rocprim17ROCPRIM_400000_NS6detail17trampoline_kernelINS0_14default_configENS1_38merge_sort_block_merge_config_selectorIjNS0_10empty_typeEEEZZNS1_27merge_sort_block_merge_implIS3_PjPS5_jNS1_19radix_merge_compareILb0ELb0EjNS0_19identity_decomposerEEEEE10hipError_tT0_T1_T2_jT3_P12ihipStream_tbPNSt15iterator_traitsISE_E10value_typeEPNSK_ISF_E10value_typeEPSG_NS1_7vsmem_tEENKUlT_SE_SF_SG_E_clIS8_S8_S9_S9_EESD_ST_SE_SF_SG_EUlST_E_NS1_11comp_targetILNS1_3genE10ELNS1_11target_archE1201ELNS1_3gpuE5ELNS1_3repE0EEENS1_48merge_mergepath_partition_config_static_selectorELNS0_4arch9wavefront6targetE0EEEvSF_,comdat
	.protected	_ZN7rocprim17ROCPRIM_400000_NS6detail17trampoline_kernelINS0_14default_configENS1_38merge_sort_block_merge_config_selectorIjNS0_10empty_typeEEEZZNS1_27merge_sort_block_merge_implIS3_PjPS5_jNS1_19radix_merge_compareILb0ELb0EjNS0_19identity_decomposerEEEEE10hipError_tT0_T1_T2_jT3_P12ihipStream_tbPNSt15iterator_traitsISE_E10value_typeEPNSK_ISF_E10value_typeEPSG_NS1_7vsmem_tEENKUlT_SE_SF_SG_E_clIS8_S8_S9_S9_EESD_ST_SE_SF_SG_EUlST_E_NS1_11comp_targetILNS1_3genE10ELNS1_11target_archE1201ELNS1_3gpuE5ELNS1_3repE0EEENS1_48merge_mergepath_partition_config_static_selectorELNS0_4arch9wavefront6targetE0EEEvSF_ ; -- Begin function _ZN7rocprim17ROCPRIM_400000_NS6detail17trampoline_kernelINS0_14default_configENS1_38merge_sort_block_merge_config_selectorIjNS0_10empty_typeEEEZZNS1_27merge_sort_block_merge_implIS3_PjPS5_jNS1_19radix_merge_compareILb0ELb0EjNS0_19identity_decomposerEEEEE10hipError_tT0_T1_T2_jT3_P12ihipStream_tbPNSt15iterator_traitsISE_E10value_typeEPNSK_ISF_E10value_typeEPSG_NS1_7vsmem_tEENKUlT_SE_SF_SG_E_clIS8_S8_S9_S9_EESD_ST_SE_SF_SG_EUlST_E_NS1_11comp_targetILNS1_3genE10ELNS1_11target_archE1201ELNS1_3gpuE5ELNS1_3repE0EEENS1_48merge_mergepath_partition_config_static_selectorELNS0_4arch9wavefront6targetE0EEEvSF_
	.globl	_ZN7rocprim17ROCPRIM_400000_NS6detail17trampoline_kernelINS0_14default_configENS1_38merge_sort_block_merge_config_selectorIjNS0_10empty_typeEEEZZNS1_27merge_sort_block_merge_implIS3_PjPS5_jNS1_19radix_merge_compareILb0ELb0EjNS0_19identity_decomposerEEEEE10hipError_tT0_T1_T2_jT3_P12ihipStream_tbPNSt15iterator_traitsISE_E10value_typeEPNSK_ISF_E10value_typeEPSG_NS1_7vsmem_tEENKUlT_SE_SF_SG_E_clIS8_S8_S9_S9_EESD_ST_SE_SF_SG_EUlST_E_NS1_11comp_targetILNS1_3genE10ELNS1_11target_archE1201ELNS1_3gpuE5ELNS1_3repE0EEENS1_48merge_mergepath_partition_config_static_selectorELNS0_4arch9wavefront6targetE0EEEvSF_
	.p2align	8
	.type	_ZN7rocprim17ROCPRIM_400000_NS6detail17trampoline_kernelINS0_14default_configENS1_38merge_sort_block_merge_config_selectorIjNS0_10empty_typeEEEZZNS1_27merge_sort_block_merge_implIS3_PjPS5_jNS1_19radix_merge_compareILb0ELb0EjNS0_19identity_decomposerEEEEE10hipError_tT0_T1_T2_jT3_P12ihipStream_tbPNSt15iterator_traitsISE_E10value_typeEPNSK_ISF_E10value_typeEPSG_NS1_7vsmem_tEENKUlT_SE_SF_SG_E_clIS8_S8_S9_S9_EESD_ST_SE_SF_SG_EUlST_E_NS1_11comp_targetILNS1_3genE10ELNS1_11target_archE1201ELNS1_3gpuE5ELNS1_3repE0EEENS1_48merge_mergepath_partition_config_static_selectorELNS0_4arch9wavefront6targetE0EEEvSF_,@function
_ZN7rocprim17ROCPRIM_400000_NS6detail17trampoline_kernelINS0_14default_configENS1_38merge_sort_block_merge_config_selectorIjNS0_10empty_typeEEEZZNS1_27merge_sort_block_merge_implIS3_PjPS5_jNS1_19radix_merge_compareILb0ELb0EjNS0_19identity_decomposerEEEEE10hipError_tT0_T1_T2_jT3_P12ihipStream_tbPNSt15iterator_traitsISE_E10value_typeEPNSK_ISF_E10value_typeEPSG_NS1_7vsmem_tEENKUlT_SE_SF_SG_E_clIS8_S8_S9_S9_EESD_ST_SE_SF_SG_EUlST_E_NS1_11comp_targetILNS1_3genE10ELNS1_11target_archE1201ELNS1_3gpuE5ELNS1_3repE0EEENS1_48merge_mergepath_partition_config_static_selectorELNS0_4arch9wavefront6targetE0EEEvSF_: ; @_ZN7rocprim17ROCPRIM_400000_NS6detail17trampoline_kernelINS0_14default_configENS1_38merge_sort_block_merge_config_selectorIjNS0_10empty_typeEEEZZNS1_27merge_sort_block_merge_implIS3_PjPS5_jNS1_19radix_merge_compareILb0ELb0EjNS0_19identity_decomposerEEEEE10hipError_tT0_T1_T2_jT3_P12ihipStream_tbPNSt15iterator_traitsISE_E10value_typeEPNSK_ISF_E10value_typeEPSG_NS1_7vsmem_tEENKUlT_SE_SF_SG_E_clIS8_S8_S9_S9_EESD_ST_SE_SF_SG_EUlST_E_NS1_11comp_targetILNS1_3genE10ELNS1_11target_archE1201ELNS1_3gpuE5ELNS1_3repE0EEENS1_48merge_mergepath_partition_config_static_selectorELNS0_4arch9wavefront6targetE0EEEvSF_
; %bb.0:
	.section	.rodata,"a",@progbits
	.p2align	6, 0x0
	.amdhsa_kernel _ZN7rocprim17ROCPRIM_400000_NS6detail17trampoline_kernelINS0_14default_configENS1_38merge_sort_block_merge_config_selectorIjNS0_10empty_typeEEEZZNS1_27merge_sort_block_merge_implIS3_PjPS5_jNS1_19radix_merge_compareILb0ELb0EjNS0_19identity_decomposerEEEEE10hipError_tT0_T1_T2_jT3_P12ihipStream_tbPNSt15iterator_traitsISE_E10value_typeEPNSK_ISF_E10value_typeEPSG_NS1_7vsmem_tEENKUlT_SE_SF_SG_E_clIS8_S8_S9_S9_EESD_ST_SE_SF_SG_EUlST_E_NS1_11comp_targetILNS1_3genE10ELNS1_11target_archE1201ELNS1_3gpuE5ELNS1_3repE0EEENS1_48merge_mergepath_partition_config_static_selectorELNS0_4arch9wavefront6targetE0EEEvSF_
		.amdhsa_group_segment_fixed_size 0
		.amdhsa_private_segment_fixed_size 0
		.amdhsa_kernarg_size 40
		.amdhsa_user_sgpr_count 2
		.amdhsa_user_sgpr_dispatch_ptr 0
		.amdhsa_user_sgpr_queue_ptr 0
		.amdhsa_user_sgpr_kernarg_segment_ptr 1
		.amdhsa_user_sgpr_dispatch_id 0
		.amdhsa_user_sgpr_kernarg_preload_length 0
		.amdhsa_user_sgpr_kernarg_preload_offset 0
		.amdhsa_user_sgpr_private_segment_size 0
		.amdhsa_wavefront_size32 1
		.amdhsa_uses_dynamic_stack 0
		.amdhsa_enable_private_segment 0
		.amdhsa_system_sgpr_workgroup_id_x 1
		.amdhsa_system_sgpr_workgroup_id_y 0
		.amdhsa_system_sgpr_workgroup_id_z 0
		.amdhsa_system_sgpr_workgroup_info 0
		.amdhsa_system_vgpr_workitem_id 0
		.amdhsa_next_free_vgpr 1
		.amdhsa_next_free_sgpr 1
		.amdhsa_named_barrier_count 0
		.amdhsa_reserve_vcc 0
		.amdhsa_float_round_mode_32 0
		.amdhsa_float_round_mode_16_64 0
		.amdhsa_float_denorm_mode_32 3
		.amdhsa_float_denorm_mode_16_64 3
		.amdhsa_fp16_overflow 0
		.amdhsa_memory_ordered 1
		.amdhsa_forward_progress 1
		.amdhsa_inst_pref_size 0
		.amdhsa_round_robin_scheduling 0
		.amdhsa_exception_fp_ieee_invalid_op 0
		.amdhsa_exception_fp_denorm_src 0
		.amdhsa_exception_fp_ieee_div_zero 0
		.amdhsa_exception_fp_ieee_overflow 0
		.amdhsa_exception_fp_ieee_underflow 0
		.amdhsa_exception_fp_ieee_inexact 0
		.amdhsa_exception_int_div_zero 0
	.end_amdhsa_kernel
	.section	.text._ZN7rocprim17ROCPRIM_400000_NS6detail17trampoline_kernelINS0_14default_configENS1_38merge_sort_block_merge_config_selectorIjNS0_10empty_typeEEEZZNS1_27merge_sort_block_merge_implIS3_PjPS5_jNS1_19radix_merge_compareILb0ELb0EjNS0_19identity_decomposerEEEEE10hipError_tT0_T1_T2_jT3_P12ihipStream_tbPNSt15iterator_traitsISE_E10value_typeEPNSK_ISF_E10value_typeEPSG_NS1_7vsmem_tEENKUlT_SE_SF_SG_E_clIS8_S8_S9_S9_EESD_ST_SE_SF_SG_EUlST_E_NS1_11comp_targetILNS1_3genE10ELNS1_11target_archE1201ELNS1_3gpuE5ELNS1_3repE0EEENS1_48merge_mergepath_partition_config_static_selectorELNS0_4arch9wavefront6targetE0EEEvSF_,"axG",@progbits,_ZN7rocprim17ROCPRIM_400000_NS6detail17trampoline_kernelINS0_14default_configENS1_38merge_sort_block_merge_config_selectorIjNS0_10empty_typeEEEZZNS1_27merge_sort_block_merge_implIS3_PjPS5_jNS1_19radix_merge_compareILb0ELb0EjNS0_19identity_decomposerEEEEE10hipError_tT0_T1_T2_jT3_P12ihipStream_tbPNSt15iterator_traitsISE_E10value_typeEPNSK_ISF_E10value_typeEPSG_NS1_7vsmem_tEENKUlT_SE_SF_SG_E_clIS8_S8_S9_S9_EESD_ST_SE_SF_SG_EUlST_E_NS1_11comp_targetILNS1_3genE10ELNS1_11target_archE1201ELNS1_3gpuE5ELNS1_3repE0EEENS1_48merge_mergepath_partition_config_static_selectorELNS0_4arch9wavefront6targetE0EEEvSF_,comdat
.Lfunc_end2679:
	.size	_ZN7rocprim17ROCPRIM_400000_NS6detail17trampoline_kernelINS0_14default_configENS1_38merge_sort_block_merge_config_selectorIjNS0_10empty_typeEEEZZNS1_27merge_sort_block_merge_implIS3_PjPS5_jNS1_19radix_merge_compareILb0ELb0EjNS0_19identity_decomposerEEEEE10hipError_tT0_T1_T2_jT3_P12ihipStream_tbPNSt15iterator_traitsISE_E10value_typeEPNSK_ISF_E10value_typeEPSG_NS1_7vsmem_tEENKUlT_SE_SF_SG_E_clIS8_S8_S9_S9_EESD_ST_SE_SF_SG_EUlST_E_NS1_11comp_targetILNS1_3genE10ELNS1_11target_archE1201ELNS1_3gpuE5ELNS1_3repE0EEENS1_48merge_mergepath_partition_config_static_selectorELNS0_4arch9wavefront6targetE0EEEvSF_, .Lfunc_end2679-_ZN7rocprim17ROCPRIM_400000_NS6detail17trampoline_kernelINS0_14default_configENS1_38merge_sort_block_merge_config_selectorIjNS0_10empty_typeEEEZZNS1_27merge_sort_block_merge_implIS3_PjPS5_jNS1_19radix_merge_compareILb0ELb0EjNS0_19identity_decomposerEEEEE10hipError_tT0_T1_T2_jT3_P12ihipStream_tbPNSt15iterator_traitsISE_E10value_typeEPNSK_ISF_E10value_typeEPSG_NS1_7vsmem_tEENKUlT_SE_SF_SG_E_clIS8_S8_S9_S9_EESD_ST_SE_SF_SG_EUlST_E_NS1_11comp_targetILNS1_3genE10ELNS1_11target_archE1201ELNS1_3gpuE5ELNS1_3repE0EEENS1_48merge_mergepath_partition_config_static_selectorELNS0_4arch9wavefront6targetE0EEEvSF_
                                        ; -- End function
	.set _ZN7rocprim17ROCPRIM_400000_NS6detail17trampoline_kernelINS0_14default_configENS1_38merge_sort_block_merge_config_selectorIjNS0_10empty_typeEEEZZNS1_27merge_sort_block_merge_implIS3_PjPS5_jNS1_19radix_merge_compareILb0ELb0EjNS0_19identity_decomposerEEEEE10hipError_tT0_T1_T2_jT3_P12ihipStream_tbPNSt15iterator_traitsISE_E10value_typeEPNSK_ISF_E10value_typeEPSG_NS1_7vsmem_tEENKUlT_SE_SF_SG_E_clIS8_S8_S9_S9_EESD_ST_SE_SF_SG_EUlST_E_NS1_11comp_targetILNS1_3genE10ELNS1_11target_archE1201ELNS1_3gpuE5ELNS1_3repE0EEENS1_48merge_mergepath_partition_config_static_selectorELNS0_4arch9wavefront6targetE0EEEvSF_.num_vgpr, 0
	.set _ZN7rocprim17ROCPRIM_400000_NS6detail17trampoline_kernelINS0_14default_configENS1_38merge_sort_block_merge_config_selectorIjNS0_10empty_typeEEEZZNS1_27merge_sort_block_merge_implIS3_PjPS5_jNS1_19radix_merge_compareILb0ELb0EjNS0_19identity_decomposerEEEEE10hipError_tT0_T1_T2_jT3_P12ihipStream_tbPNSt15iterator_traitsISE_E10value_typeEPNSK_ISF_E10value_typeEPSG_NS1_7vsmem_tEENKUlT_SE_SF_SG_E_clIS8_S8_S9_S9_EESD_ST_SE_SF_SG_EUlST_E_NS1_11comp_targetILNS1_3genE10ELNS1_11target_archE1201ELNS1_3gpuE5ELNS1_3repE0EEENS1_48merge_mergepath_partition_config_static_selectorELNS0_4arch9wavefront6targetE0EEEvSF_.num_agpr, 0
	.set _ZN7rocprim17ROCPRIM_400000_NS6detail17trampoline_kernelINS0_14default_configENS1_38merge_sort_block_merge_config_selectorIjNS0_10empty_typeEEEZZNS1_27merge_sort_block_merge_implIS3_PjPS5_jNS1_19radix_merge_compareILb0ELb0EjNS0_19identity_decomposerEEEEE10hipError_tT0_T1_T2_jT3_P12ihipStream_tbPNSt15iterator_traitsISE_E10value_typeEPNSK_ISF_E10value_typeEPSG_NS1_7vsmem_tEENKUlT_SE_SF_SG_E_clIS8_S8_S9_S9_EESD_ST_SE_SF_SG_EUlST_E_NS1_11comp_targetILNS1_3genE10ELNS1_11target_archE1201ELNS1_3gpuE5ELNS1_3repE0EEENS1_48merge_mergepath_partition_config_static_selectorELNS0_4arch9wavefront6targetE0EEEvSF_.numbered_sgpr, 0
	.set _ZN7rocprim17ROCPRIM_400000_NS6detail17trampoline_kernelINS0_14default_configENS1_38merge_sort_block_merge_config_selectorIjNS0_10empty_typeEEEZZNS1_27merge_sort_block_merge_implIS3_PjPS5_jNS1_19radix_merge_compareILb0ELb0EjNS0_19identity_decomposerEEEEE10hipError_tT0_T1_T2_jT3_P12ihipStream_tbPNSt15iterator_traitsISE_E10value_typeEPNSK_ISF_E10value_typeEPSG_NS1_7vsmem_tEENKUlT_SE_SF_SG_E_clIS8_S8_S9_S9_EESD_ST_SE_SF_SG_EUlST_E_NS1_11comp_targetILNS1_3genE10ELNS1_11target_archE1201ELNS1_3gpuE5ELNS1_3repE0EEENS1_48merge_mergepath_partition_config_static_selectorELNS0_4arch9wavefront6targetE0EEEvSF_.num_named_barrier, 0
	.set _ZN7rocprim17ROCPRIM_400000_NS6detail17trampoline_kernelINS0_14default_configENS1_38merge_sort_block_merge_config_selectorIjNS0_10empty_typeEEEZZNS1_27merge_sort_block_merge_implIS3_PjPS5_jNS1_19radix_merge_compareILb0ELb0EjNS0_19identity_decomposerEEEEE10hipError_tT0_T1_T2_jT3_P12ihipStream_tbPNSt15iterator_traitsISE_E10value_typeEPNSK_ISF_E10value_typeEPSG_NS1_7vsmem_tEENKUlT_SE_SF_SG_E_clIS8_S8_S9_S9_EESD_ST_SE_SF_SG_EUlST_E_NS1_11comp_targetILNS1_3genE10ELNS1_11target_archE1201ELNS1_3gpuE5ELNS1_3repE0EEENS1_48merge_mergepath_partition_config_static_selectorELNS0_4arch9wavefront6targetE0EEEvSF_.private_seg_size, 0
	.set _ZN7rocprim17ROCPRIM_400000_NS6detail17trampoline_kernelINS0_14default_configENS1_38merge_sort_block_merge_config_selectorIjNS0_10empty_typeEEEZZNS1_27merge_sort_block_merge_implIS3_PjPS5_jNS1_19radix_merge_compareILb0ELb0EjNS0_19identity_decomposerEEEEE10hipError_tT0_T1_T2_jT3_P12ihipStream_tbPNSt15iterator_traitsISE_E10value_typeEPNSK_ISF_E10value_typeEPSG_NS1_7vsmem_tEENKUlT_SE_SF_SG_E_clIS8_S8_S9_S9_EESD_ST_SE_SF_SG_EUlST_E_NS1_11comp_targetILNS1_3genE10ELNS1_11target_archE1201ELNS1_3gpuE5ELNS1_3repE0EEENS1_48merge_mergepath_partition_config_static_selectorELNS0_4arch9wavefront6targetE0EEEvSF_.uses_vcc, 0
	.set _ZN7rocprim17ROCPRIM_400000_NS6detail17trampoline_kernelINS0_14default_configENS1_38merge_sort_block_merge_config_selectorIjNS0_10empty_typeEEEZZNS1_27merge_sort_block_merge_implIS3_PjPS5_jNS1_19radix_merge_compareILb0ELb0EjNS0_19identity_decomposerEEEEE10hipError_tT0_T1_T2_jT3_P12ihipStream_tbPNSt15iterator_traitsISE_E10value_typeEPNSK_ISF_E10value_typeEPSG_NS1_7vsmem_tEENKUlT_SE_SF_SG_E_clIS8_S8_S9_S9_EESD_ST_SE_SF_SG_EUlST_E_NS1_11comp_targetILNS1_3genE10ELNS1_11target_archE1201ELNS1_3gpuE5ELNS1_3repE0EEENS1_48merge_mergepath_partition_config_static_selectorELNS0_4arch9wavefront6targetE0EEEvSF_.uses_flat_scratch, 0
	.set _ZN7rocprim17ROCPRIM_400000_NS6detail17trampoline_kernelINS0_14default_configENS1_38merge_sort_block_merge_config_selectorIjNS0_10empty_typeEEEZZNS1_27merge_sort_block_merge_implIS3_PjPS5_jNS1_19radix_merge_compareILb0ELb0EjNS0_19identity_decomposerEEEEE10hipError_tT0_T1_T2_jT3_P12ihipStream_tbPNSt15iterator_traitsISE_E10value_typeEPNSK_ISF_E10value_typeEPSG_NS1_7vsmem_tEENKUlT_SE_SF_SG_E_clIS8_S8_S9_S9_EESD_ST_SE_SF_SG_EUlST_E_NS1_11comp_targetILNS1_3genE10ELNS1_11target_archE1201ELNS1_3gpuE5ELNS1_3repE0EEENS1_48merge_mergepath_partition_config_static_selectorELNS0_4arch9wavefront6targetE0EEEvSF_.has_dyn_sized_stack, 0
	.set _ZN7rocprim17ROCPRIM_400000_NS6detail17trampoline_kernelINS0_14default_configENS1_38merge_sort_block_merge_config_selectorIjNS0_10empty_typeEEEZZNS1_27merge_sort_block_merge_implIS3_PjPS5_jNS1_19radix_merge_compareILb0ELb0EjNS0_19identity_decomposerEEEEE10hipError_tT0_T1_T2_jT3_P12ihipStream_tbPNSt15iterator_traitsISE_E10value_typeEPNSK_ISF_E10value_typeEPSG_NS1_7vsmem_tEENKUlT_SE_SF_SG_E_clIS8_S8_S9_S9_EESD_ST_SE_SF_SG_EUlST_E_NS1_11comp_targetILNS1_3genE10ELNS1_11target_archE1201ELNS1_3gpuE5ELNS1_3repE0EEENS1_48merge_mergepath_partition_config_static_selectorELNS0_4arch9wavefront6targetE0EEEvSF_.has_recursion, 0
	.set _ZN7rocprim17ROCPRIM_400000_NS6detail17trampoline_kernelINS0_14default_configENS1_38merge_sort_block_merge_config_selectorIjNS0_10empty_typeEEEZZNS1_27merge_sort_block_merge_implIS3_PjPS5_jNS1_19radix_merge_compareILb0ELb0EjNS0_19identity_decomposerEEEEE10hipError_tT0_T1_T2_jT3_P12ihipStream_tbPNSt15iterator_traitsISE_E10value_typeEPNSK_ISF_E10value_typeEPSG_NS1_7vsmem_tEENKUlT_SE_SF_SG_E_clIS8_S8_S9_S9_EESD_ST_SE_SF_SG_EUlST_E_NS1_11comp_targetILNS1_3genE10ELNS1_11target_archE1201ELNS1_3gpuE5ELNS1_3repE0EEENS1_48merge_mergepath_partition_config_static_selectorELNS0_4arch9wavefront6targetE0EEEvSF_.has_indirect_call, 0
	.section	.AMDGPU.csdata,"",@progbits
; Kernel info:
; codeLenInByte = 0
; TotalNumSgprs: 0
; NumVgprs: 0
; ScratchSize: 0
; MemoryBound: 0
; FloatMode: 240
; IeeeMode: 1
; LDSByteSize: 0 bytes/workgroup (compile time only)
; SGPRBlocks: 0
; VGPRBlocks: 0
; NumSGPRsForWavesPerEU: 1
; NumVGPRsForWavesPerEU: 1
; NamedBarCnt: 0
; Occupancy: 16
; WaveLimiterHint : 0
; COMPUTE_PGM_RSRC2:SCRATCH_EN: 0
; COMPUTE_PGM_RSRC2:USER_SGPR: 2
; COMPUTE_PGM_RSRC2:TRAP_HANDLER: 0
; COMPUTE_PGM_RSRC2:TGID_X_EN: 1
; COMPUTE_PGM_RSRC2:TGID_Y_EN: 0
; COMPUTE_PGM_RSRC2:TGID_Z_EN: 0
; COMPUTE_PGM_RSRC2:TIDIG_COMP_CNT: 0
	.section	.text._ZN7rocprim17ROCPRIM_400000_NS6detail17trampoline_kernelINS0_14default_configENS1_38merge_sort_block_merge_config_selectorIjNS0_10empty_typeEEEZZNS1_27merge_sort_block_merge_implIS3_PjPS5_jNS1_19radix_merge_compareILb0ELb0EjNS0_19identity_decomposerEEEEE10hipError_tT0_T1_T2_jT3_P12ihipStream_tbPNSt15iterator_traitsISE_E10value_typeEPNSK_ISF_E10value_typeEPSG_NS1_7vsmem_tEENKUlT_SE_SF_SG_E_clIS8_S8_S9_S9_EESD_ST_SE_SF_SG_EUlST_E_NS1_11comp_targetILNS1_3genE5ELNS1_11target_archE942ELNS1_3gpuE9ELNS1_3repE0EEENS1_48merge_mergepath_partition_config_static_selectorELNS0_4arch9wavefront6targetE0EEEvSF_,"axG",@progbits,_ZN7rocprim17ROCPRIM_400000_NS6detail17trampoline_kernelINS0_14default_configENS1_38merge_sort_block_merge_config_selectorIjNS0_10empty_typeEEEZZNS1_27merge_sort_block_merge_implIS3_PjPS5_jNS1_19radix_merge_compareILb0ELb0EjNS0_19identity_decomposerEEEEE10hipError_tT0_T1_T2_jT3_P12ihipStream_tbPNSt15iterator_traitsISE_E10value_typeEPNSK_ISF_E10value_typeEPSG_NS1_7vsmem_tEENKUlT_SE_SF_SG_E_clIS8_S8_S9_S9_EESD_ST_SE_SF_SG_EUlST_E_NS1_11comp_targetILNS1_3genE5ELNS1_11target_archE942ELNS1_3gpuE9ELNS1_3repE0EEENS1_48merge_mergepath_partition_config_static_selectorELNS0_4arch9wavefront6targetE0EEEvSF_,comdat
	.protected	_ZN7rocprim17ROCPRIM_400000_NS6detail17trampoline_kernelINS0_14default_configENS1_38merge_sort_block_merge_config_selectorIjNS0_10empty_typeEEEZZNS1_27merge_sort_block_merge_implIS3_PjPS5_jNS1_19radix_merge_compareILb0ELb0EjNS0_19identity_decomposerEEEEE10hipError_tT0_T1_T2_jT3_P12ihipStream_tbPNSt15iterator_traitsISE_E10value_typeEPNSK_ISF_E10value_typeEPSG_NS1_7vsmem_tEENKUlT_SE_SF_SG_E_clIS8_S8_S9_S9_EESD_ST_SE_SF_SG_EUlST_E_NS1_11comp_targetILNS1_3genE5ELNS1_11target_archE942ELNS1_3gpuE9ELNS1_3repE0EEENS1_48merge_mergepath_partition_config_static_selectorELNS0_4arch9wavefront6targetE0EEEvSF_ ; -- Begin function _ZN7rocprim17ROCPRIM_400000_NS6detail17trampoline_kernelINS0_14default_configENS1_38merge_sort_block_merge_config_selectorIjNS0_10empty_typeEEEZZNS1_27merge_sort_block_merge_implIS3_PjPS5_jNS1_19radix_merge_compareILb0ELb0EjNS0_19identity_decomposerEEEEE10hipError_tT0_T1_T2_jT3_P12ihipStream_tbPNSt15iterator_traitsISE_E10value_typeEPNSK_ISF_E10value_typeEPSG_NS1_7vsmem_tEENKUlT_SE_SF_SG_E_clIS8_S8_S9_S9_EESD_ST_SE_SF_SG_EUlST_E_NS1_11comp_targetILNS1_3genE5ELNS1_11target_archE942ELNS1_3gpuE9ELNS1_3repE0EEENS1_48merge_mergepath_partition_config_static_selectorELNS0_4arch9wavefront6targetE0EEEvSF_
	.globl	_ZN7rocprim17ROCPRIM_400000_NS6detail17trampoline_kernelINS0_14default_configENS1_38merge_sort_block_merge_config_selectorIjNS0_10empty_typeEEEZZNS1_27merge_sort_block_merge_implIS3_PjPS5_jNS1_19radix_merge_compareILb0ELb0EjNS0_19identity_decomposerEEEEE10hipError_tT0_T1_T2_jT3_P12ihipStream_tbPNSt15iterator_traitsISE_E10value_typeEPNSK_ISF_E10value_typeEPSG_NS1_7vsmem_tEENKUlT_SE_SF_SG_E_clIS8_S8_S9_S9_EESD_ST_SE_SF_SG_EUlST_E_NS1_11comp_targetILNS1_3genE5ELNS1_11target_archE942ELNS1_3gpuE9ELNS1_3repE0EEENS1_48merge_mergepath_partition_config_static_selectorELNS0_4arch9wavefront6targetE0EEEvSF_
	.p2align	8
	.type	_ZN7rocprim17ROCPRIM_400000_NS6detail17trampoline_kernelINS0_14default_configENS1_38merge_sort_block_merge_config_selectorIjNS0_10empty_typeEEEZZNS1_27merge_sort_block_merge_implIS3_PjPS5_jNS1_19radix_merge_compareILb0ELb0EjNS0_19identity_decomposerEEEEE10hipError_tT0_T1_T2_jT3_P12ihipStream_tbPNSt15iterator_traitsISE_E10value_typeEPNSK_ISF_E10value_typeEPSG_NS1_7vsmem_tEENKUlT_SE_SF_SG_E_clIS8_S8_S9_S9_EESD_ST_SE_SF_SG_EUlST_E_NS1_11comp_targetILNS1_3genE5ELNS1_11target_archE942ELNS1_3gpuE9ELNS1_3repE0EEENS1_48merge_mergepath_partition_config_static_selectorELNS0_4arch9wavefront6targetE0EEEvSF_,@function
_ZN7rocprim17ROCPRIM_400000_NS6detail17trampoline_kernelINS0_14default_configENS1_38merge_sort_block_merge_config_selectorIjNS0_10empty_typeEEEZZNS1_27merge_sort_block_merge_implIS3_PjPS5_jNS1_19radix_merge_compareILb0ELb0EjNS0_19identity_decomposerEEEEE10hipError_tT0_T1_T2_jT3_P12ihipStream_tbPNSt15iterator_traitsISE_E10value_typeEPNSK_ISF_E10value_typeEPSG_NS1_7vsmem_tEENKUlT_SE_SF_SG_E_clIS8_S8_S9_S9_EESD_ST_SE_SF_SG_EUlST_E_NS1_11comp_targetILNS1_3genE5ELNS1_11target_archE942ELNS1_3gpuE9ELNS1_3repE0EEENS1_48merge_mergepath_partition_config_static_selectorELNS0_4arch9wavefront6targetE0EEEvSF_: ; @_ZN7rocprim17ROCPRIM_400000_NS6detail17trampoline_kernelINS0_14default_configENS1_38merge_sort_block_merge_config_selectorIjNS0_10empty_typeEEEZZNS1_27merge_sort_block_merge_implIS3_PjPS5_jNS1_19radix_merge_compareILb0ELb0EjNS0_19identity_decomposerEEEEE10hipError_tT0_T1_T2_jT3_P12ihipStream_tbPNSt15iterator_traitsISE_E10value_typeEPNSK_ISF_E10value_typeEPSG_NS1_7vsmem_tEENKUlT_SE_SF_SG_E_clIS8_S8_S9_S9_EESD_ST_SE_SF_SG_EUlST_E_NS1_11comp_targetILNS1_3genE5ELNS1_11target_archE942ELNS1_3gpuE9ELNS1_3repE0EEENS1_48merge_mergepath_partition_config_static_selectorELNS0_4arch9wavefront6targetE0EEEvSF_
; %bb.0:
	.section	.rodata,"a",@progbits
	.p2align	6, 0x0
	.amdhsa_kernel _ZN7rocprim17ROCPRIM_400000_NS6detail17trampoline_kernelINS0_14default_configENS1_38merge_sort_block_merge_config_selectorIjNS0_10empty_typeEEEZZNS1_27merge_sort_block_merge_implIS3_PjPS5_jNS1_19radix_merge_compareILb0ELb0EjNS0_19identity_decomposerEEEEE10hipError_tT0_T1_T2_jT3_P12ihipStream_tbPNSt15iterator_traitsISE_E10value_typeEPNSK_ISF_E10value_typeEPSG_NS1_7vsmem_tEENKUlT_SE_SF_SG_E_clIS8_S8_S9_S9_EESD_ST_SE_SF_SG_EUlST_E_NS1_11comp_targetILNS1_3genE5ELNS1_11target_archE942ELNS1_3gpuE9ELNS1_3repE0EEENS1_48merge_mergepath_partition_config_static_selectorELNS0_4arch9wavefront6targetE0EEEvSF_
		.amdhsa_group_segment_fixed_size 0
		.amdhsa_private_segment_fixed_size 0
		.amdhsa_kernarg_size 40
		.amdhsa_user_sgpr_count 2
		.amdhsa_user_sgpr_dispatch_ptr 0
		.amdhsa_user_sgpr_queue_ptr 0
		.amdhsa_user_sgpr_kernarg_segment_ptr 1
		.amdhsa_user_sgpr_dispatch_id 0
		.amdhsa_user_sgpr_kernarg_preload_length 0
		.amdhsa_user_sgpr_kernarg_preload_offset 0
		.amdhsa_user_sgpr_private_segment_size 0
		.amdhsa_wavefront_size32 1
		.amdhsa_uses_dynamic_stack 0
		.amdhsa_enable_private_segment 0
		.amdhsa_system_sgpr_workgroup_id_x 1
		.amdhsa_system_sgpr_workgroup_id_y 0
		.amdhsa_system_sgpr_workgroup_id_z 0
		.amdhsa_system_sgpr_workgroup_info 0
		.amdhsa_system_vgpr_workitem_id 0
		.amdhsa_next_free_vgpr 1
		.amdhsa_next_free_sgpr 1
		.amdhsa_named_barrier_count 0
		.amdhsa_reserve_vcc 0
		.amdhsa_float_round_mode_32 0
		.amdhsa_float_round_mode_16_64 0
		.amdhsa_float_denorm_mode_32 3
		.amdhsa_float_denorm_mode_16_64 3
		.amdhsa_fp16_overflow 0
		.amdhsa_memory_ordered 1
		.amdhsa_forward_progress 1
		.amdhsa_inst_pref_size 0
		.amdhsa_round_robin_scheduling 0
		.amdhsa_exception_fp_ieee_invalid_op 0
		.amdhsa_exception_fp_denorm_src 0
		.amdhsa_exception_fp_ieee_div_zero 0
		.amdhsa_exception_fp_ieee_overflow 0
		.amdhsa_exception_fp_ieee_underflow 0
		.amdhsa_exception_fp_ieee_inexact 0
		.amdhsa_exception_int_div_zero 0
	.end_amdhsa_kernel
	.section	.text._ZN7rocprim17ROCPRIM_400000_NS6detail17trampoline_kernelINS0_14default_configENS1_38merge_sort_block_merge_config_selectorIjNS0_10empty_typeEEEZZNS1_27merge_sort_block_merge_implIS3_PjPS5_jNS1_19radix_merge_compareILb0ELb0EjNS0_19identity_decomposerEEEEE10hipError_tT0_T1_T2_jT3_P12ihipStream_tbPNSt15iterator_traitsISE_E10value_typeEPNSK_ISF_E10value_typeEPSG_NS1_7vsmem_tEENKUlT_SE_SF_SG_E_clIS8_S8_S9_S9_EESD_ST_SE_SF_SG_EUlST_E_NS1_11comp_targetILNS1_3genE5ELNS1_11target_archE942ELNS1_3gpuE9ELNS1_3repE0EEENS1_48merge_mergepath_partition_config_static_selectorELNS0_4arch9wavefront6targetE0EEEvSF_,"axG",@progbits,_ZN7rocprim17ROCPRIM_400000_NS6detail17trampoline_kernelINS0_14default_configENS1_38merge_sort_block_merge_config_selectorIjNS0_10empty_typeEEEZZNS1_27merge_sort_block_merge_implIS3_PjPS5_jNS1_19radix_merge_compareILb0ELb0EjNS0_19identity_decomposerEEEEE10hipError_tT0_T1_T2_jT3_P12ihipStream_tbPNSt15iterator_traitsISE_E10value_typeEPNSK_ISF_E10value_typeEPSG_NS1_7vsmem_tEENKUlT_SE_SF_SG_E_clIS8_S8_S9_S9_EESD_ST_SE_SF_SG_EUlST_E_NS1_11comp_targetILNS1_3genE5ELNS1_11target_archE942ELNS1_3gpuE9ELNS1_3repE0EEENS1_48merge_mergepath_partition_config_static_selectorELNS0_4arch9wavefront6targetE0EEEvSF_,comdat
.Lfunc_end2680:
	.size	_ZN7rocprim17ROCPRIM_400000_NS6detail17trampoline_kernelINS0_14default_configENS1_38merge_sort_block_merge_config_selectorIjNS0_10empty_typeEEEZZNS1_27merge_sort_block_merge_implIS3_PjPS5_jNS1_19radix_merge_compareILb0ELb0EjNS0_19identity_decomposerEEEEE10hipError_tT0_T1_T2_jT3_P12ihipStream_tbPNSt15iterator_traitsISE_E10value_typeEPNSK_ISF_E10value_typeEPSG_NS1_7vsmem_tEENKUlT_SE_SF_SG_E_clIS8_S8_S9_S9_EESD_ST_SE_SF_SG_EUlST_E_NS1_11comp_targetILNS1_3genE5ELNS1_11target_archE942ELNS1_3gpuE9ELNS1_3repE0EEENS1_48merge_mergepath_partition_config_static_selectorELNS0_4arch9wavefront6targetE0EEEvSF_, .Lfunc_end2680-_ZN7rocprim17ROCPRIM_400000_NS6detail17trampoline_kernelINS0_14default_configENS1_38merge_sort_block_merge_config_selectorIjNS0_10empty_typeEEEZZNS1_27merge_sort_block_merge_implIS3_PjPS5_jNS1_19radix_merge_compareILb0ELb0EjNS0_19identity_decomposerEEEEE10hipError_tT0_T1_T2_jT3_P12ihipStream_tbPNSt15iterator_traitsISE_E10value_typeEPNSK_ISF_E10value_typeEPSG_NS1_7vsmem_tEENKUlT_SE_SF_SG_E_clIS8_S8_S9_S9_EESD_ST_SE_SF_SG_EUlST_E_NS1_11comp_targetILNS1_3genE5ELNS1_11target_archE942ELNS1_3gpuE9ELNS1_3repE0EEENS1_48merge_mergepath_partition_config_static_selectorELNS0_4arch9wavefront6targetE0EEEvSF_
                                        ; -- End function
	.set _ZN7rocprim17ROCPRIM_400000_NS6detail17trampoline_kernelINS0_14default_configENS1_38merge_sort_block_merge_config_selectorIjNS0_10empty_typeEEEZZNS1_27merge_sort_block_merge_implIS3_PjPS5_jNS1_19radix_merge_compareILb0ELb0EjNS0_19identity_decomposerEEEEE10hipError_tT0_T1_T2_jT3_P12ihipStream_tbPNSt15iterator_traitsISE_E10value_typeEPNSK_ISF_E10value_typeEPSG_NS1_7vsmem_tEENKUlT_SE_SF_SG_E_clIS8_S8_S9_S9_EESD_ST_SE_SF_SG_EUlST_E_NS1_11comp_targetILNS1_3genE5ELNS1_11target_archE942ELNS1_3gpuE9ELNS1_3repE0EEENS1_48merge_mergepath_partition_config_static_selectorELNS0_4arch9wavefront6targetE0EEEvSF_.num_vgpr, 0
	.set _ZN7rocprim17ROCPRIM_400000_NS6detail17trampoline_kernelINS0_14default_configENS1_38merge_sort_block_merge_config_selectorIjNS0_10empty_typeEEEZZNS1_27merge_sort_block_merge_implIS3_PjPS5_jNS1_19radix_merge_compareILb0ELb0EjNS0_19identity_decomposerEEEEE10hipError_tT0_T1_T2_jT3_P12ihipStream_tbPNSt15iterator_traitsISE_E10value_typeEPNSK_ISF_E10value_typeEPSG_NS1_7vsmem_tEENKUlT_SE_SF_SG_E_clIS8_S8_S9_S9_EESD_ST_SE_SF_SG_EUlST_E_NS1_11comp_targetILNS1_3genE5ELNS1_11target_archE942ELNS1_3gpuE9ELNS1_3repE0EEENS1_48merge_mergepath_partition_config_static_selectorELNS0_4arch9wavefront6targetE0EEEvSF_.num_agpr, 0
	.set _ZN7rocprim17ROCPRIM_400000_NS6detail17trampoline_kernelINS0_14default_configENS1_38merge_sort_block_merge_config_selectorIjNS0_10empty_typeEEEZZNS1_27merge_sort_block_merge_implIS3_PjPS5_jNS1_19radix_merge_compareILb0ELb0EjNS0_19identity_decomposerEEEEE10hipError_tT0_T1_T2_jT3_P12ihipStream_tbPNSt15iterator_traitsISE_E10value_typeEPNSK_ISF_E10value_typeEPSG_NS1_7vsmem_tEENKUlT_SE_SF_SG_E_clIS8_S8_S9_S9_EESD_ST_SE_SF_SG_EUlST_E_NS1_11comp_targetILNS1_3genE5ELNS1_11target_archE942ELNS1_3gpuE9ELNS1_3repE0EEENS1_48merge_mergepath_partition_config_static_selectorELNS0_4arch9wavefront6targetE0EEEvSF_.numbered_sgpr, 0
	.set _ZN7rocprim17ROCPRIM_400000_NS6detail17trampoline_kernelINS0_14default_configENS1_38merge_sort_block_merge_config_selectorIjNS0_10empty_typeEEEZZNS1_27merge_sort_block_merge_implIS3_PjPS5_jNS1_19radix_merge_compareILb0ELb0EjNS0_19identity_decomposerEEEEE10hipError_tT0_T1_T2_jT3_P12ihipStream_tbPNSt15iterator_traitsISE_E10value_typeEPNSK_ISF_E10value_typeEPSG_NS1_7vsmem_tEENKUlT_SE_SF_SG_E_clIS8_S8_S9_S9_EESD_ST_SE_SF_SG_EUlST_E_NS1_11comp_targetILNS1_3genE5ELNS1_11target_archE942ELNS1_3gpuE9ELNS1_3repE0EEENS1_48merge_mergepath_partition_config_static_selectorELNS0_4arch9wavefront6targetE0EEEvSF_.num_named_barrier, 0
	.set _ZN7rocprim17ROCPRIM_400000_NS6detail17trampoline_kernelINS0_14default_configENS1_38merge_sort_block_merge_config_selectorIjNS0_10empty_typeEEEZZNS1_27merge_sort_block_merge_implIS3_PjPS5_jNS1_19radix_merge_compareILb0ELb0EjNS0_19identity_decomposerEEEEE10hipError_tT0_T1_T2_jT3_P12ihipStream_tbPNSt15iterator_traitsISE_E10value_typeEPNSK_ISF_E10value_typeEPSG_NS1_7vsmem_tEENKUlT_SE_SF_SG_E_clIS8_S8_S9_S9_EESD_ST_SE_SF_SG_EUlST_E_NS1_11comp_targetILNS1_3genE5ELNS1_11target_archE942ELNS1_3gpuE9ELNS1_3repE0EEENS1_48merge_mergepath_partition_config_static_selectorELNS0_4arch9wavefront6targetE0EEEvSF_.private_seg_size, 0
	.set _ZN7rocprim17ROCPRIM_400000_NS6detail17trampoline_kernelINS0_14default_configENS1_38merge_sort_block_merge_config_selectorIjNS0_10empty_typeEEEZZNS1_27merge_sort_block_merge_implIS3_PjPS5_jNS1_19radix_merge_compareILb0ELb0EjNS0_19identity_decomposerEEEEE10hipError_tT0_T1_T2_jT3_P12ihipStream_tbPNSt15iterator_traitsISE_E10value_typeEPNSK_ISF_E10value_typeEPSG_NS1_7vsmem_tEENKUlT_SE_SF_SG_E_clIS8_S8_S9_S9_EESD_ST_SE_SF_SG_EUlST_E_NS1_11comp_targetILNS1_3genE5ELNS1_11target_archE942ELNS1_3gpuE9ELNS1_3repE0EEENS1_48merge_mergepath_partition_config_static_selectorELNS0_4arch9wavefront6targetE0EEEvSF_.uses_vcc, 0
	.set _ZN7rocprim17ROCPRIM_400000_NS6detail17trampoline_kernelINS0_14default_configENS1_38merge_sort_block_merge_config_selectorIjNS0_10empty_typeEEEZZNS1_27merge_sort_block_merge_implIS3_PjPS5_jNS1_19radix_merge_compareILb0ELb0EjNS0_19identity_decomposerEEEEE10hipError_tT0_T1_T2_jT3_P12ihipStream_tbPNSt15iterator_traitsISE_E10value_typeEPNSK_ISF_E10value_typeEPSG_NS1_7vsmem_tEENKUlT_SE_SF_SG_E_clIS8_S8_S9_S9_EESD_ST_SE_SF_SG_EUlST_E_NS1_11comp_targetILNS1_3genE5ELNS1_11target_archE942ELNS1_3gpuE9ELNS1_3repE0EEENS1_48merge_mergepath_partition_config_static_selectorELNS0_4arch9wavefront6targetE0EEEvSF_.uses_flat_scratch, 0
	.set _ZN7rocprim17ROCPRIM_400000_NS6detail17trampoline_kernelINS0_14default_configENS1_38merge_sort_block_merge_config_selectorIjNS0_10empty_typeEEEZZNS1_27merge_sort_block_merge_implIS3_PjPS5_jNS1_19radix_merge_compareILb0ELb0EjNS0_19identity_decomposerEEEEE10hipError_tT0_T1_T2_jT3_P12ihipStream_tbPNSt15iterator_traitsISE_E10value_typeEPNSK_ISF_E10value_typeEPSG_NS1_7vsmem_tEENKUlT_SE_SF_SG_E_clIS8_S8_S9_S9_EESD_ST_SE_SF_SG_EUlST_E_NS1_11comp_targetILNS1_3genE5ELNS1_11target_archE942ELNS1_3gpuE9ELNS1_3repE0EEENS1_48merge_mergepath_partition_config_static_selectorELNS0_4arch9wavefront6targetE0EEEvSF_.has_dyn_sized_stack, 0
	.set _ZN7rocprim17ROCPRIM_400000_NS6detail17trampoline_kernelINS0_14default_configENS1_38merge_sort_block_merge_config_selectorIjNS0_10empty_typeEEEZZNS1_27merge_sort_block_merge_implIS3_PjPS5_jNS1_19radix_merge_compareILb0ELb0EjNS0_19identity_decomposerEEEEE10hipError_tT0_T1_T2_jT3_P12ihipStream_tbPNSt15iterator_traitsISE_E10value_typeEPNSK_ISF_E10value_typeEPSG_NS1_7vsmem_tEENKUlT_SE_SF_SG_E_clIS8_S8_S9_S9_EESD_ST_SE_SF_SG_EUlST_E_NS1_11comp_targetILNS1_3genE5ELNS1_11target_archE942ELNS1_3gpuE9ELNS1_3repE0EEENS1_48merge_mergepath_partition_config_static_selectorELNS0_4arch9wavefront6targetE0EEEvSF_.has_recursion, 0
	.set _ZN7rocprim17ROCPRIM_400000_NS6detail17trampoline_kernelINS0_14default_configENS1_38merge_sort_block_merge_config_selectorIjNS0_10empty_typeEEEZZNS1_27merge_sort_block_merge_implIS3_PjPS5_jNS1_19radix_merge_compareILb0ELb0EjNS0_19identity_decomposerEEEEE10hipError_tT0_T1_T2_jT3_P12ihipStream_tbPNSt15iterator_traitsISE_E10value_typeEPNSK_ISF_E10value_typeEPSG_NS1_7vsmem_tEENKUlT_SE_SF_SG_E_clIS8_S8_S9_S9_EESD_ST_SE_SF_SG_EUlST_E_NS1_11comp_targetILNS1_3genE5ELNS1_11target_archE942ELNS1_3gpuE9ELNS1_3repE0EEENS1_48merge_mergepath_partition_config_static_selectorELNS0_4arch9wavefront6targetE0EEEvSF_.has_indirect_call, 0
	.section	.AMDGPU.csdata,"",@progbits
; Kernel info:
; codeLenInByte = 0
; TotalNumSgprs: 0
; NumVgprs: 0
; ScratchSize: 0
; MemoryBound: 0
; FloatMode: 240
; IeeeMode: 1
; LDSByteSize: 0 bytes/workgroup (compile time only)
; SGPRBlocks: 0
; VGPRBlocks: 0
; NumSGPRsForWavesPerEU: 1
; NumVGPRsForWavesPerEU: 1
; NamedBarCnt: 0
; Occupancy: 16
; WaveLimiterHint : 0
; COMPUTE_PGM_RSRC2:SCRATCH_EN: 0
; COMPUTE_PGM_RSRC2:USER_SGPR: 2
; COMPUTE_PGM_RSRC2:TRAP_HANDLER: 0
; COMPUTE_PGM_RSRC2:TGID_X_EN: 1
; COMPUTE_PGM_RSRC2:TGID_Y_EN: 0
; COMPUTE_PGM_RSRC2:TGID_Z_EN: 0
; COMPUTE_PGM_RSRC2:TIDIG_COMP_CNT: 0
	.section	.text._ZN7rocprim17ROCPRIM_400000_NS6detail17trampoline_kernelINS0_14default_configENS1_38merge_sort_block_merge_config_selectorIjNS0_10empty_typeEEEZZNS1_27merge_sort_block_merge_implIS3_PjPS5_jNS1_19radix_merge_compareILb0ELb0EjNS0_19identity_decomposerEEEEE10hipError_tT0_T1_T2_jT3_P12ihipStream_tbPNSt15iterator_traitsISE_E10value_typeEPNSK_ISF_E10value_typeEPSG_NS1_7vsmem_tEENKUlT_SE_SF_SG_E_clIS8_S8_S9_S9_EESD_ST_SE_SF_SG_EUlST_E_NS1_11comp_targetILNS1_3genE4ELNS1_11target_archE910ELNS1_3gpuE8ELNS1_3repE0EEENS1_48merge_mergepath_partition_config_static_selectorELNS0_4arch9wavefront6targetE0EEEvSF_,"axG",@progbits,_ZN7rocprim17ROCPRIM_400000_NS6detail17trampoline_kernelINS0_14default_configENS1_38merge_sort_block_merge_config_selectorIjNS0_10empty_typeEEEZZNS1_27merge_sort_block_merge_implIS3_PjPS5_jNS1_19radix_merge_compareILb0ELb0EjNS0_19identity_decomposerEEEEE10hipError_tT0_T1_T2_jT3_P12ihipStream_tbPNSt15iterator_traitsISE_E10value_typeEPNSK_ISF_E10value_typeEPSG_NS1_7vsmem_tEENKUlT_SE_SF_SG_E_clIS8_S8_S9_S9_EESD_ST_SE_SF_SG_EUlST_E_NS1_11comp_targetILNS1_3genE4ELNS1_11target_archE910ELNS1_3gpuE8ELNS1_3repE0EEENS1_48merge_mergepath_partition_config_static_selectorELNS0_4arch9wavefront6targetE0EEEvSF_,comdat
	.protected	_ZN7rocprim17ROCPRIM_400000_NS6detail17trampoline_kernelINS0_14default_configENS1_38merge_sort_block_merge_config_selectorIjNS0_10empty_typeEEEZZNS1_27merge_sort_block_merge_implIS3_PjPS5_jNS1_19radix_merge_compareILb0ELb0EjNS0_19identity_decomposerEEEEE10hipError_tT0_T1_T2_jT3_P12ihipStream_tbPNSt15iterator_traitsISE_E10value_typeEPNSK_ISF_E10value_typeEPSG_NS1_7vsmem_tEENKUlT_SE_SF_SG_E_clIS8_S8_S9_S9_EESD_ST_SE_SF_SG_EUlST_E_NS1_11comp_targetILNS1_3genE4ELNS1_11target_archE910ELNS1_3gpuE8ELNS1_3repE0EEENS1_48merge_mergepath_partition_config_static_selectorELNS0_4arch9wavefront6targetE0EEEvSF_ ; -- Begin function _ZN7rocprim17ROCPRIM_400000_NS6detail17trampoline_kernelINS0_14default_configENS1_38merge_sort_block_merge_config_selectorIjNS0_10empty_typeEEEZZNS1_27merge_sort_block_merge_implIS3_PjPS5_jNS1_19radix_merge_compareILb0ELb0EjNS0_19identity_decomposerEEEEE10hipError_tT0_T1_T2_jT3_P12ihipStream_tbPNSt15iterator_traitsISE_E10value_typeEPNSK_ISF_E10value_typeEPSG_NS1_7vsmem_tEENKUlT_SE_SF_SG_E_clIS8_S8_S9_S9_EESD_ST_SE_SF_SG_EUlST_E_NS1_11comp_targetILNS1_3genE4ELNS1_11target_archE910ELNS1_3gpuE8ELNS1_3repE0EEENS1_48merge_mergepath_partition_config_static_selectorELNS0_4arch9wavefront6targetE0EEEvSF_
	.globl	_ZN7rocprim17ROCPRIM_400000_NS6detail17trampoline_kernelINS0_14default_configENS1_38merge_sort_block_merge_config_selectorIjNS0_10empty_typeEEEZZNS1_27merge_sort_block_merge_implIS3_PjPS5_jNS1_19radix_merge_compareILb0ELb0EjNS0_19identity_decomposerEEEEE10hipError_tT0_T1_T2_jT3_P12ihipStream_tbPNSt15iterator_traitsISE_E10value_typeEPNSK_ISF_E10value_typeEPSG_NS1_7vsmem_tEENKUlT_SE_SF_SG_E_clIS8_S8_S9_S9_EESD_ST_SE_SF_SG_EUlST_E_NS1_11comp_targetILNS1_3genE4ELNS1_11target_archE910ELNS1_3gpuE8ELNS1_3repE0EEENS1_48merge_mergepath_partition_config_static_selectorELNS0_4arch9wavefront6targetE0EEEvSF_
	.p2align	8
	.type	_ZN7rocprim17ROCPRIM_400000_NS6detail17trampoline_kernelINS0_14default_configENS1_38merge_sort_block_merge_config_selectorIjNS0_10empty_typeEEEZZNS1_27merge_sort_block_merge_implIS3_PjPS5_jNS1_19radix_merge_compareILb0ELb0EjNS0_19identity_decomposerEEEEE10hipError_tT0_T1_T2_jT3_P12ihipStream_tbPNSt15iterator_traitsISE_E10value_typeEPNSK_ISF_E10value_typeEPSG_NS1_7vsmem_tEENKUlT_SE_SF_SG_E_clIS8_S8_S9_S9_EESD_ST_SE_SF_SG_EUlST_E_NS1_11comp_targetILNS1_3genE4ELNS1_11target_archE910ELNS1_3gpuE8ELNS1_3repE0EEENS1_48merge_mergepath_partition_config_static_selectorELNS0_4arch9wavefront6targetE0EEEvSF_,@function
_ZN7rocprim17ROCPRIM_400000_NS6detail17trampoline_kernelINS0_14default_configENS1_38merge_sort_block_merge_config_selectorIjNS0_10empty_typeEEEZZNS1_27merge_sort_block_merge_implIS3_PjPS5_jNS1_19radix_merge_compareILb0ELb0EjNS0_19identity_decomposerEEEEE10hipError_tT0_T1_T2_jT3_P12ihipStream_tbPNSt15iterator_traitsISE_E10value_typeEPNSK_ISF_E10value_typeEPSG_NS1_7vsmem_tEENKUlT_SE_SF_SG_E_clIS8_S8_S9_S9_EESD_ST_SE_SF_SG_EUlST_E_NS1_11comp_targetILNS1_3genE4ELNS1_11target_archE910ELNS1_3gpuE8ELNS1_3repE0EEENS1_48merge_mergepath_partition_config_static_selectorELNS0_4arch9wavefront6targetE0EEEvSF_: ; @_ZN7rocprim17ROCPRIM_400000_NS6detail17trampoline_kernelINS0_14default_configENS1_38merge_sort_block_merge_config_selectorIjNS0_10empty_typeEEEZZNS1_27merge_sort_block_merge_implIS3_PjPS5_jNS1_19radix_merge_compareILb0ELb0EjNS0_19identity_decomposerEEEEE10hipError_tT0_T1_T2_jT3_P12ihipStream_tbPNSt15iterator_traitsISE_E10value_typeEPNSK_ISF_E10value_typeEPSG_NS1_7vsmem_tEENKUlT_SE_SF_SG_E_clIS8_S8_S9_S9_EESD_ST_SE_SF_SG_EUlST_E_NS1_11comp_targetILNS1_3genE4ELNS1_11target_archE910ELNS1_3gpuE8ELNS1_3repE0EEENS1_48merge_mergepath_partition_config_static_selectorELNS0_4arch9wavefront6targetE0EEEvSF_
; %bb.0:
	.section	.rodata,"a",@progbits
	.p2align	6, 0x0
	.amdhsa_kernel _ZN7rocprim17ROCPRIM_400000_NS6detail17trampoline_kernelINS0_14default_configENS1_38merge_sort_block_merge_config_selectorIjNS0_10empty_typeEEEZZNS1_27merge_sort_block_merge_implIS3_PjPS5_jNS1_19radix_merge_compareILb0ELb0EjNS0_19identity_decomposerEEEEE10hipError_tT0_T1_T2_jT3_P12ihipStream_tbPNSt15iterator_traitsISE_E10value_typeEPNSK_ISF_E10value_typeEPSG_NS1_7vsmem_tEENKUlT_SE_SF_SG_E_clIS8_S8_S9_S9_EESD_ST_SE_SF_SG_EUlST_E_NS1_11comp_targetILNS1_3genE4ELNS1_11target_archE910ELNS1_3gpuE8ELNS1_3repE0EEENS1_48merge_mergepath_partition_config_static_selectorELNS0_4arch9wavefront6targetE0EEEvSF_
		.amdhsa_group_segment_fixed_size 0
		.amdhsa_private_segment_fixed_size 0
		.amdhsa_kernarg_size 40
		.amdhsa_user_sgpr_count 2
		.amdhsa_user_sgpr_dispatch_ptr 0
		.amdhsa_user_sgpr_queue_ptr 0
		.amdhsa_user_sgpr_kernarg_segment_ptr 1
		.amdhsa_user_sgpr_dispatch_id 0
		.amdhsa_user_sgpr_kernarg_preload_length 0
		.amdhsa_user_sgpr_kernarg_preload_offset 0
		.amdhsa_user_sgpr_private_segment_size 0
		.amdhsa_wavefront_size32 1
		.amdhsa_uses_dynamic_stack 0
		.amdhsa_enable_private_segment 0
		.amdhsa_system_sgpr_workgroup_id_x 1
		.amdhsa_system_sgpr_workgroup_id_y 0
		.amdhsa_system_sgpr_workgroup_id_z 0
		.amdhsa_system_sgpr_workgroup_info 0
		.amdhsa_system_vgpr_workitem_id 0
		.amdhsa_next_free_vgpr 1
		.amdhsa_next_free_sgpr 1
		.amdhsa_named_barrier_count 0
		.amdhsa_reserve_vcc 0
		.amdhsa_float_round_mode_32 0
		.amdhsa_float_round_mode_16_64 0
		.amdhsa_float_denorm_mode_32 3
		.amdhsa_float_denorm_mode_16_64 3
		.amdhsa_fp16_overflow 0
		.amdhsa_memory_ordered 1
		.amdhsa_forward_progress 1
		.amdhsa_inst_pref_size 0
		.amdhsa_round_robin_scheduling 0
		.amdhsa_exception_fp_ieee_invalid_op 0
		.amdhsa_exception_fp_denorm_src 0
		.amdhsa_exception_fp_ieee_div_zero 0
		.amdhsa_exception_fp_ieee_overflow 0
		.amdhsa_exception_fp_ieee_underflow 0
		.amdhsa_exception_fp_ieee_inexact 0
		.amdhsa_exception_int_div_zero 0
	.end_amdhsa_kernel
	.section	.text._ZN7rocprim17ROCPRIM_400000_NS6detail17trampoline_kernelINS0_14default_configENS1_38merge_sort_block_merge_config_selectorIjNS0_10empty_typeEEEZZNS1_27merge_sort_block_merge_implIS3_PjPS5_jNS1_19radix_merge_compareILb0ELb0EjNS0_19identity_decomposerEEEEE10hipError_tT0_T1_T2_jT3_P12ihipStream_tbPNSt15iterator_traitsISE_E10value_typeEPNSK_ISF_E10value_typeEPSG_NS1_7vsmem_tEENKUlT_SE_SF_SG_E_clIS8_S8_S9_S9_EESD_ST_SE_SF_SG_EUlST_E_NS1_11comp_targetILNS1_3genE4ELNS1_11target_archE910ELNS1_3gpuE8ELNS1_3repE0EEENS1_48merge_mergepath_partition_config_static_selectorELNS0_4arch9wavefront6targetE0EEEvSF_,"axG",@progbits,_ZN7rocprim17ROCPRIM_400000_NS6detail17trampoline_kernelINS0_14default_configENS1_38merge_sort_block_merge_config_selectorIjNS0_10empty_typeEEEZZNS1_27merge_sort_block_merge_implIS3_PjPS5_jNS1_19radix_merge_compareILb0ELb0EjNS0_19identity_decomposerEEEEE10hipError_tT0_T1_T2_jT3_P12ihipStream_tbPNSt15iterator_traitsISE_E10value_typeEPNSK_ISF_E10value_typeEPSG_NS1_7vsmem_tEENKUlT_SE_SF_SG_E_clIS8_S8_S9_S9_EESD_ST_SE_SF_SG_EUlST_E_NS1_11comp_targetILNS1_3genE4ELNS1_11target_archE910ELNS1_3gpuE8ELNS1_3repE0EEENS1_48merge_mergepath_partition_config_static_selectorELNS0_4arch9wavefront6targetE0EEEvSF_,comdat
.Lfunc_end2681:
	.size	_ZN7rocprim17ROCPRIM_400000_NS6detail17trampoline_kernelINS0_14default_configENS1_38merge_sort_block_merge_config_selectorIjNS0_10empty_typeEEEZZNS1_27merge_sort_block_merge_implIS3_PjPS5_jNS1_19radix_merge_compareILb0ELb0EjNS0_19identity_decomposerEEEEE10hipError_tT0_T1_T2_jT3_P12ihipStream_tbPNSt15iterator_traitsISE_E10value_typeEPNSK_ISF_E10value_typeEPSG_NS1_7vsmem_tEENKUlT_SE_SF_SG_E_clIS8_S8_S9_S9_EESD_ST_SE_SF_SG_EUlST_E_NS1_11comp_targetILNS1_3genE4ELNS1_11target_archE910ELNS1_3gpuE8ELNS1_3repE0EEENS1_48merge_mergepath_partition_config_static_selectorELNS0_4arch9wavefront6targetE0EEEvSF_, .Lfunc_end2681-_ZN7rocprim17ROCPRIM_400000_NS6detail17trampoline_kernelINS0_14default_configENS1_38merge_sort_block_merge_config_selectorIjNS0_10empty_typeEEEZZNS1_27merge_sort_block_merge_implIS3_PjPS5_jNS1_19radix_merge_compareILb0ELb0EjNS0_19identity_decomposerEEEEE10hipError_tT0_T1_T2_jT3_P12ihipStream_tbPNSt15iterator_traitsISE_E10value_typeEPNSK_ISF_E10value_typeEPSG_NS1_7vsmem_tEENKUlT_SE_SF_SG_E_clIS8_S8_S9_S9_EESD_ST_SE_SF_SG_EUlST_E_NS1_11comp_targetILNS1_3genE4ELNS1_11target_archE910ELNS1_3gpuE8ELNS1_3repE0EEENS1_48merge_mergepath_partition_config_static_selectorELNS0_4arch9wavefront6targetE0EEEvSF_
                                        ; -- End function
	.set _ZN7rocprim17ROCPRIM_400000_NS6detail17trampoline_kernelINS0_14default_configENS1_38merge_sort_block_merge_config_selectorIjNS0_10empty_typeEEEZZNS1_27merge_sort_block_merge_implIS3_PjPS5_jNS1_19radix_merge_compareILb0ELb0EjNS0_19identity_decomposerEEEEE10hipError_tT0_T1_T2_jT3_P12ihipStream_tbPNSt15iterator_traitsISE_E10value_typeEPNSK_ISF_E10value_typeEPSG_NS1_7vsmem_tEENKUlT_SE_SF_SG_E_clIS8_S8_S9_S9_EESD_ST_SE_SF_SG_EUlST_E_NS1_11comp_targetILNS1_3genE4ELNS1_11target_archE910ELNS1_3gpuE8ELNS1_3repE0EEENS1_48merge_mergepath_partition_config_static_selectorELNS0_4arch9wavefront6targetE0EEEvSF_.num_vgpr, 0
	.set _ZN7rocprim17ROCPRIM_400000_NS6detail17trampoline_kernelINS0_14default_configENS1_38merge_sort_block_merge_config_selectorIjNS0_10empty_typeEEEZZNS1_27merge_sort_block_merge_implIS3_PjPS5_jNS1_19radix_merge_compareILb0ELb0EjNS0_19identity_decomposerEEEEE10hipError_tT0_T1_T2_jT3_P12ihipStream_tbPNSt15iterator_traitsISE_E10value_typeEPNSK_ISF_E10value_typeEPSG_NS1_7vsmem_tEENKUlT_SE_SF_SG_E_clIS8_S8_S9_S9_EESD_ST_SE_SF_SG_EUlST_E_NS1_11comp_targetILNS1_3genE4ELNS1_11target_archE910ELNS1_3gpuE8ELNS1_3repE0EEENS1_48merge_mergepath_partition_config_static_selectorELNS0_4arch9wavefront6targetE0EEEvSF_.num_agpr, 0
	.set _ZN7rocprim17ROCPRIM_400000_NS6detail17trampoline_kernelINS0_14default_configENS1_38merge_sort_block_merge_config_selectorIjNS0_10empty_typeEEEZZNS1_27merge_sort_block_merge_implIS3_PjPS5_jNS1_19radix_merge_compareILb0ELb0EjNS0_19identity_decomposerEEEEE10hipError_tT0_T1_T2_jT3_P12ihipStream_tbPNSt15iterator_traitsISE_E10value_typeEPNSK_ISF_E10value_typeEPSG_NS1_7vsmem_tEENKUlT_SE_SF_SG_E_clIS8_S8_S9_S9_EESD_ST_SE_SF_SG_EUlST_E_NS1_11comp_targetILNS1_3genE4ELNS1_11target_archE910ELNS1_3gpuE8ELNS1_3repE0EEENS1_48merge_mergepath_partition_config_static_selectorELNS0_4arch9wavefront6targetE0EEEvSF_.numbered_sgpr, 0
	.set _ZN7rocprim17ROCPRIM_400000_NS6detail17trampoline_kernelINS0_14default_configENS1_38merge_sort_block_merge_config_selectorIjNS0_10empty_typeEEEZZNS1_27merge_sort_block_merge_implIS3_PjPS5_jNS1_19radix_merge_compareILb0ELb0EjNS0_19identity_decomposerEEEEE10hipError_tT0_T1_T2_jT3_P12ihipStream_tbPNSt15iterator_traitsISE_E10value_typeEPNSK_ISF_E10value_typeEPSG_NS1_7vsmem_tEENKUlT_SE_SF_SG_E_clIS8_S8_S9_S9_EESD_ST_SE_SF_SG_EUlST_E_NS1_11comp_targetILNS1_3genE4ELNS1_11target_archE910ELNS1_3gpuE8ELNS1_3repE0EEENS1_48merge_mergepath_partition_config_static_selectorELNS0_4arch9wavefront6targetE0EEEvSF_.num_named_barrier, 0
	.set _ZN7rocprim17ROCPRIM_400000_NS6detail17trampoline_kernelINS0_14default_configENS1_38merge_sort_block_merge_config_selectorIjNS0_10empty_typeEEEZZNS1_27merge_sort_block_merge_implIS3_PjPS5_jNS1_19radix_merge_compareILb0ELb0EjNS0_19identity_decomposerEEEEE10hipError_tT0_T1_T2_jT3_P12ihipStream_tbPNSt15iterator_traitsISE_E10value_typeEPNSK_ISF_E10value_typeEPSG_NS1_7vsmem_tEENKUlT_SE_SF_SG_E_clIS8_S8_S9_S9_EESD_ST_SE_SF_SG_EUlST_E_NS1_11comp_targetILNS1_3genE4ELNS1_11target_archE910ELNS1_3gpuE8ELNS1_3repE0EEENS1_48merge_mergepath_partition_config_static_selectorELNS0_4arch9wavefront6targetE0EEEvSF_.private_seg_size, 0
	.set _ZN7rocprim17ROCPRIM_400000_NS6detail17trampoline_kernelINS0_14default_configENS1_38merge_sort_block_merge_config_selectorIjNS0_10empty_typeEEEZZNS1_27merge_sort_block_merge_implIS3_PjPS5_jNS1_19radix_merge_compareILb0ELb0EjNS0_19identity_decomposerEEEEE10hipError_tT0_T1_T2_jT3_P12ihipStream_tbPNSt15iterator_traitsISE_E10value_typeEPNSK_ISF_E10value_typeEPSG_NS1_7vsmem_tEENKUlT_SE_SF_SG_E_clIS8_S8_S9_S9_EESD_ST_SE_SF_SG_EUlST_E_NS1_11comp_targetILNS1_3genE4ELNS1_11target_archE910ELNS1_3gpuE8ELNS1_3repE0EEENS1_48merge_mergepath_partition_config_static_selectorELNS0_4arch9wavefront6targetE0EEEvSF_.uses_vcc, 0
	.set _ZN7rocprim17ROCPRIM_400000_NS6detail17trampoline_kernelINS0_14default_configENS1_38merge_sort_block_merge_config_selectorIjNS0_10empty_typeEEEZZNS1_27merge_sort_block_merge_implIS3_PjPS5_jNS1_19radix_merge_compareILb0ELb0EjNS0_19identity_decomposerEEEEE10hipError_tT0_T1_T2_jT3_P12ihipStream_tbPNSt15iterator_traitsISE_E10value_typeEPNSK_ISF_E10value_typeEPSG_NS1_7vsmem_tEENKUlT_SE_SF_SG_E_clIS8_S8_S9_S9_EESD_ST_SE_SF_SG_EUlST_E_NS1_11comp_targetILNS1_3genE4ELNS1_11target_archE910ELNS1_3gpuE8ELNS1_3repE0EEENS1_48merge_mergepath_partition_config_static_selectorELNS0_4arch9wavefront6targetE0EEEvSF_.uses_flat_scratch, 0
	.set _ZN7rocprim17ROCPRIM_400000_NS6detail17trampoline_kernelINS0_14default_configENS1_38merge_sort_block_merge_config_selectorIjNS0_10empty_typeEEEZZNS1_27merge_sort_block_merge_implIS3_PjPS5_jNS1_19radix_merge_compareILb0ELb0EjNS0_19identity_decomposerEEEEE10hipError_tT0_T1_T2_jT3_P12ihipStream_tbPNSt15iterator_traitsISE_E10value_typeEPNSK_ISF_E10value_typeEPSG_NS1_7vsmem_tEENKUlT_SE_SF_SG_E_clIS8_S8_S9_S9_EESD_ST_SE_SF_SG_EUlST_E_NS1_11comp_targetILNS1_3genE4ELNS1_11target_archE910ELNS1_3gpuE8ELNS1_3repE0EEENS1_48merge_mergepath_partition_config_static_selectorELNS0_4arch9wavefront6targetE0EEEvSF_.has_dyn_sized_stack, 0
	.set _ZN7rocprim17ROCPRIM_400000_NS6detail17trampoline_kernelINS0_14default_configENS1_38merge_sort_block_merge_config_selectorIjNS0_10empty_typeEEEZZNS1_27merge_sort_block_merge_implIS3_PjPS5_jNS1_19radix_merge_compareILb0ELb0EjNS0_19identity_decomposerEEEEE10hipError_tT0_T1_T2_jT3_P12ihipStream_tbPNSt15iterator_traitsISE_E10value_typeEPNSK_ISF_E10value_typeEPSG_NS1_7vsmem_tEENKUlT_SE_SF_SG_E_clIS8_S8_S9_S9_EESD_ST_SE_SF_SG_EUlST_E_NS1_11comp_targetILNS1_3genE4ELNS1_11target_archE910ELNS1_3gpuE8ELNS1_3repE0EEENS1_48merge_mergepath_partition_config_static_selectorELNS0_4arch9wavefront6targetE0EEEvSF_.has_recursion, 0
	.set _ZN7rocprim17ROCPRIM_400000_NS6detail17trampoline_kernelINS0_14default_configENS1_38merge_sort_block_merge_config_selectorIjNS0_10empty_typeEEEZZNS1_27merge_sort_block_merge_implIS3_PjPS5_jNS1_19radix_merge_compareILb0ELb0EjNS0_19identity_decomposerEEEEE10hipError_tT0_T1_T2_jT3_P12ihipStream_tbPNSt15iterator_traitsISE_E10value_typeEPNSK_ISF_E10value_typeEPSG_NS1_7vsmem_tEENKUlT_SE_SF_SG_E_clIS8_S8_S9_S9_EESD_ST_SE_SF_SG_EUlST_E_NS1_11comp_targetILNS1_3genE4ELNS1_11target_archE910ELNS1_3gpuE8ELNS1_3repE0EEENS1_48merge_mergepath_partition_config_static_selectorELNS0_4arch9wavefront6targetE0EEEvSF_.has_indirect_call, 0
	.section	.AMDGPU.csdata,"",@progbits
; Kernel info:
; codeLenInByte = 0
; TotalNumSgprs: 0
; NumVgprs: 0
; ScratchSize: 0
; MemoryBound: 0
; FloatMode: 240
; IeeeMode: 1
; LDSByteSize: 0 bytes/workgroup (compile time only)
; SGPRBlocks: 0
; VGPRBlocks: 0
; NumSGPRsForWavesPerEU: 1
; NumVGPRsForWavesPerEU: 1
; NamedBarCnt: 0
; Occupancy: 16
; WaveLimiterHint : 0
; COMPUTE_PGM_RSRC2:SCRATCH_EN: 0
; COMPUTE_PGM_RSRC2:USER_SGPR: 2
; COMPUTE_PGM_RSRC2:TRAP_HANDLER: 0
; COMPUTE_PGM_RSRC2:TGID_X_EN: 1
; COMPUTE_PGM_RSRC2:TGID_Y_EN: 0
; COMPUTE_PGM_RSRC2:TGID_Z_EN: 0
; COMPUTE_PGM_RSRC2:TIDIG_COMP_CNT: 0
	.section	.text._ZN7rocprim17ROCPRIM_400000_NS6detail17trampoline_kernelINS0_14default_configENS1_38merge_sort_block_merge_config_selectorIjNS0_10empty_typeEEEZZNS1_27merge_sort_block_merge_implIS3_PjPS5_jNS1_19radix_merge_compareILb0ELb0EjNS0_19identity_decomposerEEEEE10hipError_tT0_T1_T2_jT3_P12ihipStream_tbPNSt15iterator_traitsISE_E10value_typeEPNSK_ISF_E10value_typeEPSG_NS1_7vsmem_tEENKUlT_SE_SF_SG_E_clIS8_S8_S9_S9_EESD_ST_SE_SF_SG_EUlST_E_NS1_11comp_targetILNS1_3genE3ELNS1_11target_archE908ELNS1_3gpuE7ELNS1_3repE0EEENS1_48merge_mergepath_partition_config_static_selectorELNS0_4arch9wavefront6targetE0EEEvSF_,"axG",@progbits,_ZN7rocprim17ROCPRIM_400000_NS6detail17trampoline_kernelINS0_14default_configENS1_38merge_sort_block_merge_config_selectorIjNS0_10empty_typeEEEZZNS1_27merge_sort_block_merge_implIS3_PjPS5_jNS1_19radix_merge_compareILb0ELb0EjNS0_19identity_decomposerEEEEE10hipError_tT0_T1_T2_jT3_P12ihipStream_tbPNSt15iterator_traitsISE_E10value_typeEPNSK_ISF_E10value_typeEPSG_NS1_7vsmem_tEENKUlT_SE_SF_SG_E_clIS8_S8_S9_S9_EESD_ST_SE_SF_SG_EUlST_E_NS1_11comp_targetILNS1_3genE3ELNS1_11target_archE908ELNS1_3gpuE7ELNS1_3repE0EEENS1_48merge_mergepath_partition_config_static_selectorELNS0_4arch9wavefront6targetE0EEEvSF_,comdat
	.protected	_ZN7rocprim17ROCPRIM_400000_NS6detail17trampoline_kernelINS0_14default_configENS1_38merge_sort_block_merge_config_selectorIjNS0_10empty_typeEEEZZNS1_27merge_sort_block_merge_implIS3_PjPS5_jNS1_19radix_merge_compareILb0ELb0EjNS0_19identity_decomposerEEEEE10hipError_tT0_T1_T2_jT3_P12ihipStream_tbPNSt15iterator_traitsISE_E10value_typeEPNSK_ISF_E10value_typeEPSG_NS1_7vsmem_tEENKUlT_SE_SF_SG_E_clIS8_S8_S9_S9_EESD_ST_SE_SF_SG_EUlST_E_NS1_11comp_targetILNS1_3genE3ELNS1_11target_archE908ELNS1_3gpuE7ELNS1_3repE0EEENS1_48merge_mergepath_partition_config_static_selectorELNS0_4arch9wavefront6targetE0EEEvSF_ ; -- Begin function _ZN7rocprim17ROCPRIM_400000_NS6detail17trampoline_kernelINS0_14default_configENS1_38merge_sort_block_merge_config_selectorIjNS0_10empty_typeEEEZZNS1_27merge_sort_block_merge_implIS3_PjPS5_jNS1_19radix_merge_compareILb0ELb0EjNS0_19identity_decomposerEEEEE10hipError_tT0_T1_T2_jT3_P12ihipStream_tbPNSt15iterator_traitsISE_E10value_typeEPNSK_ISF_E10value_typeEPSG_NS1_7vsmem_tEENKUlT_SE_SF_SG_E_clIS8_S8_S9_S9_EESD_ST_SE_SF_SG_EUlST_E_NS1_11comp_targetILNS1_3genE3ELNS1_11target_archE908ELNS1_3gpuE7ELNS1_3repE0EEENS1_48merge_mergepath_partition_config_static_selectorELNS0_4arch9wavefront6targetE0EEEvSF_
	.globl	_ZN7rocprim17ROCPRIM_400000_NS6detail17trampoline_kernelINS0_14default_configENS1_38merge_sort_block_merge_config_selectorIjNS0_10empty_typeEEEZZNS1_27merge_sort_block_merge_implIS3_PjPS5_jNS1_19radix_merge_compareILb0ELb0EjNS0_19identity_decomposerEEEEE10hipError_tT0_T1_T2_jT3_P12ihipStream_tbPNSt15iterator_traitsISE_E10value_typeEPNSK_ISF_E10value_typeEPSG_NS1_7vsmem_tEENKUlT_SE_SF_SG_E_clIS8_S8_S9_S9_EESD_ST_SE_SF_SG_EUlST_E_NS1_11comp_targetILNS1_3genE3ELNS1_11target_archE908ELNS1_3gpuE7ELNS1_3repE0EEENS1_48merge_mergepath_partition_config_static_selectorELNS0_4arch9wavefront6targetE0EEEvSF_
	.p2align	8
	.type	_ZN7rocprim17ROCPRIM_400000_NS6detail17trampoline_kernelINS0_14default_configENS1_38merge_sort_block_merge_config_selectorIjNS0_10empty_typeEEEZZNS1_27merge_sort_block_merge_implIS3_PjPS5_jNS1_19radix_merge_compareILb0ELb0EjNS0_19identity_decomposerEEEEE10hipError_tT0_T1_T2_jT3_P12ihipStream_tbPNSt15iterator_traitsISE_E10value_typeEPNSK_ISF_E10value_typeEPSG_NS1_7vsmem_tEENKUlT_SE_SF_SG_E_clIS8_S8_S9_S9_EESD_ST_SE_SF_SG_EUlST_E_NS1_11comp_targetILNS1_3genE3ELNS1_11target_archE908ELNS1_3gpuE7ELNS1_3repE0EEENS1_48merge_mergepath_partition_config_static_selectorELNS0_4arch9wavefront6targetE0EEEvSF_,@function
_ZN7rocprim17ROCPRIM_400000_NS6detail17trampoline_kernelINS0_14default_configENS1_38merge_sort_block_merge_config_selectorIjNS0_10empty_typeEEEZZNS1_27merge_sort_block_merge_implIS3_PjPS5_jNS1_19radix_merge_compareILb0ELb0EjNS0_19identity_decomposerEEEEE10hipError_tT0_T1_T2_jT3_P12ihipStream_tbPNSt15iterator_traitsISE_E10value_typeEPNSK_ISF_E10value_typeEPSG_NS1_7vsmem_tEENKUlT_SE_SF_SG_E_clIS8_S8_S9_S9_EESD_ST_SE_SF_SG_EUlST_E_NS1_11comp_targetILNS1_3genE3ELNS1_11target_archE908ELNS1_3gpuE7ELNS1_3repE0EEENS1_48merge_mergepath_partition_config_static_selectorELNS0_4arch9wavefront6targetE0EEEvSF_: ; @_ZN7rocprim17ROCPRIM_400000_NS6detail17trampoline_kernelINS0_14default_configENS1_38merge_sort_block_merge_config_selectorIjNS0_10empty_typeEEEZZNS1_27merge_sort_block_merge_implIS3_PjPS5_jNS1_19radix_merge_compareILb0ELb0EjNS0_19identity_decomposerEEEEE10hipError_tT0_T1_T2_jT3_P12ihipStream_tbPNSt15iterator_traitsISE_E10value_typeEPNSK_ISF_E10value_typeEPSG_NS1_7vsmem_tEENKUlT_SE_SF_SG_E_clIS8_S8_S9_S9_EESD_ST_SE_SF_SG_EUlST_E_NS1_11comp_targetILNS1_3genE3ELNS1_11target_archE908ELNS1_3gpuE7ELNS1_3repE0EEENS1_48merge_mergepath_partition_config_static_selectorELNS0_4arch9wavefront6targetE0EEEvSF_
; %bb.0:
	.section	.rodata,"a",@progbits
	.p2align	6, 0x0
	.amdhsa_kernel _ZN7rocprim17ROCPRIM_400000_NS6detail17trampoline_kernelINS0_14default_configENS1_38merge_sort_block_merge_config_selectorIjNS0_10empty_typeEEEZZNS1_27merge_sort_block_merge_implIS3_PjPS5_jNS1_19radix_merge_compareILb0ELb0EjNS0_19identity_decomposerEEEEE10hipError_tT0_T1_T2_jT3_P12ihipStream_tbPNSt15iterator_traitsISE_E10value_typeEPNSK_ISF_E10value_typeEPSG_NS1_7vsmem_tEENKUlT_SE_SF_SG_E_clIS8_S8_S9_S9_EESD_ST_SE_SF_SG_EUlST_E_NS1_11comp_targetILNS1_3genE3ELNS1_11target_archE908ELNS1_3gpuE7ELNS1_3repE0EEENS1_48merge_mergepath_partition_config_static_selectorELNS0_4arch9wavefront6targetE0EEEvSF_
		.amdhsa_group_segment_fixed_size 0
		.amdhsa_private_segment_fixed_size 0
		.amdhsa_kernarg_size 40
		.amdhsa_user_sgpr_count 2
		.amdhsa_user_sgpr_dispatch_ptr 0
		.amdhsa_user_sgpr_queue_ptr 0
		.amdhsa_user_sgpr_kernarg_segment_ptr 1
		.amdhsa_user_sgpr_dispatch_id 0
		.amdhsa_user_sgpr_kernarg_preload_length 0
		.amdhsa_user_sgpr_kernarg_preload_offset 0
		.amdhsa_user_sgpr_private_segment_size 0
		.amdhsa_wavefront_size32 1
		.amdhsa_uses_dynamic_stack 0
		.amdhsa_enable_private_segment 0
		.amdhsa_system_sgpr_workgroup_id_x 1
		.amdhsa_system_sgpr_workgroup_id_y 0
		.amdhsa_system_sgpr_workgroup_id_z 0
		.amdhsa_system_sgpr_workgroup_info 0
		.amdhsa_system_vgpr_workitem_id 0
		.amdhsa_next_free_vgpr 1
		.amdhsa_next_free_sgpr 1
		.amdhsa_named_barrier_count 0
		.amdhsa_reserve_vcc 0
		.amdhsa_float_round_mode_32 0
		.amdhsa_float_round_mode_16_64 0
		.amdhsa_float_denorm_mode_32 3
		.amdhsa_float_denorm_mode_16_64 3
		.amdhsa_fp16_overflow 0
		.amdhsa_memory_ordered 1
		.amdhsa_forward_progress 1
		.amdhsa_inst_pref_size 0
		.amdhsa_round_robin_scheduling 0
		.amdhsa_exception_fp_ieee_invalid_op 0
		.amdhsa_exception_fp_denorm_src 0
		.amdhsa_exception_fp_ieee_div_zero 0
		.amdhsa_exception_fp_ieee_overflow 0
		.amdhsa_exception_fp_ieee_underflow 0
		.amdhsa_exception_fp_ieee_inexact 0
		.amdhsa_exception_int_div_zero 0
	.end_amdhsa_kernel
	.section	.text._ZN7rocprim17ROCPRIM_400000_NS6detail17trampoline_kernelINS0_14default_configENS1_38merge_sort_block_merge_config_selectorIjNS0_10empty_typeEEEZZNS1_27merge_sort_block_merge_implIS3_PjPS5_jNS1_19radix_merge_compareILb0ELb0EjNS0_19identity_decomposerEEEEE10hipError_tT0_T1_T2_jT3_P12ihipStream_tbPNSt15iterator_traitsISE_E10value_typeEPNSK_ISF_E10value_typeEPSG_NS1_7vsmem_tEENKUlT_SE_SF_SG_E_clIS8_S8_S9_S9_EESD_ST_SE_SF_SG_EUlST_E_NS1_11comp_targetILNS1_3genE3ELNS1_11target_archE908ELNS1_3gpuE7ELNS1_3repE0EEENS1_48merge_mergepath_partition_config_static_selectorELNS0_4arch9wavefront6targetE0EEEvSF_,"axG",@progbits,_ZN7rocprim17ROCPRIM_400000_NS6detail17trampoline_kernelINS0_14default_configENS1_38merge_sort_block_merge_config_selectorIjNS0_10empty_typeEEEZZNS1_27merge_sort_block_merge_implIS3_PjPS5_jNS1_19radix_merge_compareILb0ELb0EjNS0_19identity_decomposerEEEEE10hipError_tT0_T1_T2_jT3_P12ihipStream_tbPNSt15iterator_traitsISE_E10value_typeEPNSK_ISF_E10value_typeEPSG_NS1_7vsmem_tEENKUlT_SE_SF_SG_E_clIS8_S8_S9_S9_EESD_ST_SE_SF_SG_EUlST_E_NS1_11comp_targetILNS1_3genE3ELNS1_11target_archE908ELNS1_3gpuE7ELNS1_3repE0EEENS1_48merge_mergepath_partition_config_static_selectorELNS0_4arch9wavefront6targetE0EEEvSF_,comdat
.Lfunc_end2682:
	.size	_ZN7rocprim17ROCPRIM_400000_NS6detail17trampoline_kernelINS0_14default_configENS1_38merge_sort_block_merge_config_selectorIjNS0_10empty_typeEEEZZNS1_27merge_sort_block_merge_implIS3_PjPS5_jNS1_19radix_merge_compareILb0ELb0EjNS0_19identity_decomposerEEEEE10hipError_tT0_T1_T2_jT3_P12ihipStream_tbPNSt15iterator_traitsISE_E10value_typeEPNSK_ISF_E10value_typeEPSG_NS1_7vsmem_tEENKUlT_SE_SF_SG_E_clIS8_S8_S9_S9_EESD_ST_SE_SF_SG_EUlST_E_NS1_11comp_targetILNS1_3genE3ELNS1_11target_archE908ELNS1_3gpuE7ELNS1_3repE0EEENS1_48merge_mergepath_partition_config_static_selectorELNS0_4arch9wavefront6targetE0EEEvSF_, .Lfunc_end2682-_ZN7rocprim17ROCPRIM_400000_NS6detail17trampoline_kernelINS0_14default_configENS1_38merge_sort_block_merge_config_selectorIjNS0_10empty_typeEEEZZNS1_27merge_sort_block_merge_implIS3_PjPS5_jNS1_19radix_merge_compareILb0ELb0EjNS0_19identity_decomposerEEEEE10hipError_tT0_T1_T2_jT3_P12ihipStream_tbPNSt15iterator_traitsISE_E10value_typeEPNSK_ISF_E10value_typeEPSG_NS1_7vsmem_tEENKUlT_SE_SF_SG_E_clIS8_S8_S9_S9_EESD_ST_SE_SF_SG_EUlST_E_NS1_11comp_targetILNS1_3genE3ELNS1_11target_archE908ELNS1_3gpuE7ELNS1_3repE0EEENS1_48merge_mergepath_partition_config_static_selectorELNS0_4arch9wavefront6targetE0EEEvSF_
                                        ; -- End function
	.set _ZN7rocprim17ROCPRIM_400000_NS6detail17trampoline_kernelINS0_14default_configENS1_38merge_sort_block_merge_config_selectorIjNS0_10empty_typeEEEZZNS1_27merge_sort_block_merge_implIS3_PjPS5_jNS1_19radix_merge_compareILb0ELb0EjNS0_19identity_decomposerEEEEE10hipError_tT0_T1_T2_jT3_P12ihipStream_tbPNSt15iterator_traitsISE_E10value_typeEPNSK_ISF_E10value_typeEPSG_NS1_7vsmem_tEENKUlT_SE_SF_SG_E_clIS8_S8_S9_S9_EESD_ST_SE_SF_SG_EUlST_E_NS1_11comp_targetILNS1_3genE3ELNS1_11target_archE908ELNS1_3gpuE7ELNS1_3repE0EEENS1_48merge_mergepath_partition_config_static_selectorELNS0_4arch9wavefront6targetE0EEEvSF_.num_vgpr, 0
	.set _ZN7rocprim17ROCPRIM_400000_NS6detail17trampoline_kernelINS0_14default_configENS1_38merge_sort_block_merge_config_selectorIjNS0_10empty_typeEEEZZNS1_27merge_sort_block_merge_implIS3_PjPS5_jNS1_19radix_merge_compareILb0ELb0EjNS0_19identity_decomposerEEEEE10hipError_tT0_T1_T2_jT3_P12ihipStream_tbPNSt15iterator_traitsISE_E10value_typeEPNSK_ISF_E10value_typeEPSG_NS1_7vsmem_tEENKUlT_SE_SF_SG_E_clIS8_S8_S9_S9_EESD_ST_SE_SF_SG_EUlST_E_NS1_11comp_targetILNS1_3genE3ELNS1_11target_archE908ELNS1_3gpuE7ELNS1_3repE0EEENS1_48merge_mergepath_partition_config_static_selectorELNS0_4arch9wavefront6targetE0EEEvSF_.num_agpr, 0
	.set _ZN7rocprim17ROCPRIM_400000_NS6detail17trampoline_kernelINS0_14default_configENS1_38merge_sort_block_merge_config_selectorIjNS0_10empty_typeEEEZZNS1_27merge_sort_block_merge_implIS3_PjPS5_jNS1_19radix_merge_compareILb0ELb0EjNS0_19identity_decomposerEEEEE10hipError_tT0_T1_T2_jT3_P12ihipStream_tbPNSt15iterator_traitsISE_E10value_typeEPNSK_ISF_E10value_typeEPSG_NS1_7vsmem_tEENKUlT_SE_SF_SG_E_clIS8_S8_S9_S9_EESD_ST_SE_SF_SG_EUlST_E_NS1_11comp_targetILNS1_3genE3ELNS1_11target_archE908ELNS1_3gpuE7ELNS1_3repE0EEENS1_48merge_mergepath_partition_config_static_selectorELNS0_4arch9wavefront6targetE0EEEvSF_.numbered_sgpr, 0
	.set _ZN7rocprim17ROCPRIM_400000_NS6detail17trampoline_kernelINS0_14default_configENS1_38merge_sort_block_merge_config_selectorIjNS0_10empty_typeEEEZZNS1_27merge_sort_block_merge_implIS3_PjPS5_jNS1_19radix_merge_compareILb0ELb0EjNS0_19identity_decomposerEEEEE10hipError_tT0_T1_T2_jT3_P12ihipStream_tbPNSt15iterator_traitsISE_E10value_typeEPNSK_ISF_E10value_typeEPSG_NS1_7vsmem_tEENKUlT_SE_SF_SG_E_clIS8_S8_S9_S9_EESD_ST_SE_SF_SG_EUlST_E_NS1_11comp_targetILNS1_3genE3ELNS1_11target_archE908ELNS1_3gpuE7ELNS1_3repE0EEENS1_48merge_mergepath_partition_config_static_selectorELNS0_4arch9wavefront6targetE0EEEvSF_.num_named_barrier, 0
	.set _ZN7rocprim17ROCPRIM_400000_NS6detail17trampoline_kernelINS0_14default_configENS1_38merge_sort_block_merge_config_selectorIjNS0_10empty_typeEEEZZNS1_27merge_sort_block_merge_implIS3_PjPS5_jNS1_19radix_merge_compareILb0ELb0EjNS0_19identity_decomposerEEEEE10hipError_tT0_T1_T2_jT3_P12ihipStream_tbPNSt15iterator_traitsISE_E10value_typeEPNSK_ISF_E10value_typeEPSG_NS1_7vsmem_tEENKUlT_SE_SF_SG_E_clIS8_S8_S9_S9_EESD_ST_SE_SF_SG_EUlST_E_NS1_11comp_targetILNS1_3genE3ELNS1_11target_archE908ELNS1_3gpuE7ELNS1_3repE0EEENS1_48merge_mergepath_partition_config_static_selectorELNS0_4arch9wavefront6targetE0EEEvSF_.private_seg_size, 0
	.set _ZN7rocprim17ROCPRIM_400000_NS6detail17trampoline_kernelINS0_14default_configENS1_38merge_sort_block_merge_config_selectorIjNS0_10empty_typeEEEZZNS1_27merge_sort_block_merge_implIS3_PjPS5_jNS1_19radix_merge_compareILb0ELb0EjNS0_19identity_decomposerEEEEE10hipError_tT0_T1_T2_jT3_P12ihipStream_tbPNSt15iterator_traitsISE_E10value_typeEPNSK_ISF_E10value_typeEPSG_NS1_7vsmem_tEENKUlT_SE_SF_SG_E_clIS8_S8_S9_S9_EESD_ST_SE_SF_SG_EUlST_E_NS1_11comp_targetILNS1_3genE3ELNS1_11target_archE908ELNS1_3gpuE7ELNS1_3repE0EEENS1_48merge_mergepath_partition_config_static_selectorELNS0_4arch9wavefront6targetE0EEEvSF_.uses_vcc, 0
	.set _ZN7rocprim17ROCPRIM_400000_NS6detail17trampoline_kernelINS0_14default_configENS1_38merge_sort_block_merge_config_selectorIjNS0_10empty_typeEEEZZNS1_27merge_sort_block_merge_implIS3_PjPS5_jNS1_19radix_merge_compareILb0ELb0EjNS0_19identity_decomposerEEEEE10hipError_tT0_T1_T2_jT3_P12ihipStream_tbPNSt15iterator_traitsISE_E10value_typeEPNSK_ISF_E10value_typeEPSG_NS1_7vsmem_tEENKUlT_SE_SF_SG_E_clIS8_S8_S9_S9_EESD_ST_SE_SF_SG_EUlST_E_NS1_11comp_targetILNS1_3genE3ELNS1_11target_archE908ELNS1_3gpuE7ELNS1_3repE0EEENS1_48merge_mergepath_partition_config_static_selectorELNS0_4arch9wavefront6targetE0EEEvSF_.uses_flat_scratch, 0
	.set _ZN7rocprim17ROCPRIM_400000_NS6detail17trampoline_kernelINS0_14default_configENS1_38merge_sort_block_merge_config_selectorIjNS0_10empty_typeEEEZZNS1_27merge_sort_block_merge_implIS3_PjPS5_jNS1_19radix_merge_compareILb0ELb0EjNS0_19identity_decomposerEEEEE10hipError_tT0_T1_T2_jT3_P12ihipStream_tbPNSt15iterator_traitsISE_E10value_typeEPNSK_ISF_E10value_typeEPSG_NS1_7vsmem_tEENKUlT_SE_SF_SG_E_clIS8_S8_S9_S9_EESD_ST_SE_SF_SG_EUlST_E_NS1_11comp_targetILNS1_3genE3ELNS1_11target_archE908ELNS1_3gpuE7ELNS1_3repE0EEENS1_48merge_mergepath_partition_config_static_selectorELNS0_4arch9wavefront6targetE0EEEvSF_.has_dyn_sized_stack, 0
	.set _ZN7rocprim17ROCPRIM_400000_NS6detail17trampoline_kernelINS0_14default_configENS1_38merge_sort_block_merge_config_selectorIjNS0_10empty_typeEEEZZNS1_27merge_sort_block_merge_implIS3_PjPS5_jNS1_19radix_merge_compareILb0ELb0EjNS0_19identity_decomposerEEEEE10hipError_tT0_T1_T2_jT3_P12ihipStream_tbPNSt15iterator_traitsISE_E10value_typeEPNSK_ISF_E10value_typeEPSG_NS1_7vsmem_tEENKUlT_SE_SF_SG_E_clIS8_S8_S9_S9_EESD_ST_SE_SF_SG_EUlST_E_NS1_11comp_targetILNS1_3genE3ELNS1_11target_archE908ELNS1_3gpuE7ELNS1_3repE0EEENS1_48merge_mergepath_partition_config_static_selectorELNS0_4arch9wavefront6targetE0EEEvSF_.has_recursion, 0
	.set _ZN7rocprim17ROCPRIM_400000_NS6detail17trampoline_kernelINS0_14default_configENS1_38merge_sort_block_merge_config_selectorIjNS0_10empty_typeEEEZZNS1_27merge_sort_block_merge_implIS3_PjPS5_jNS1_19radix_merge_compareILb0ELb0EjNS0_19identity_decomposerEEEEE10hipError_tT0_T1_T2_jT3_P12ihipStream_tbPNSt15iterator_traitsISE_E10value_typeEPNSK_ISF_E10value_typeEPSG_NS1_7vsmem_tEENKUlT_SE_SF_SG_E_clIS8_S8_S9_S9_EESD_ST_SE_SF_SG_EUlST_E_NS1_11comp_targetILNS1_3genE3ELNS1_11target_archE908ELNS1_3gpuE7ELNS1_3repE0EEENS1_48merge_mergepath_partition_config_static_selectorELNS0_4arch9wavefront6targetE0EEEvSF_.has_indirect_call, 0
	.section	.AMDGPU.csdata,"",@progbits
; Kernel info:
; codeLenInByte = 0
; TotalNumSgprs: 0
; NumVgprs: 0
; ScratchSize: 0
; MemoryBound: 0
; FloatMode: 240
; IeeeMode: 1
; LDSByteSize: 0 bytes/workgroup (compile time only)
; SGPRBlocks: 0
; VGPRBlocks: 0
; NumSGPRsForWavesPerEU: 1
; NumVGPRsForWavesPerEU: 1
; NamedBarCnt: 0
; Occupancy: 16
; WaveLimiterHint : 0
; COMPUTE_PGM_RSRC2:SCRATCH_EN: 0
; COMPUTE_PGM_RSRC2:USER_SGPR: 2
; COMPUTE_PGM_RSRC2:TRAP_HANDLER: 0
; COMPUTE_PGM_RSRC2:TGID_X_EN: 1
; COMPUTE_PGM_RSRC2:TGID_Y_EN: 0
; COMPUTE_PGM_RSRC2:TGID_Z_EN: 0
; COMPUTE_PGM_RSRC2:TIDIG_COMP_CNT: 0
	.section	.text._ZN7rocprim17ROCPRIM_400000_NS6detail17trampoline_kernelINS0_14default_configENS1_38merge_sort_block_merge_config_selectorIjNS0_10empty_typeEEEZZNS1_27merge_sort_block_merge_implIS3_PjPS5_jNS1_19radix_merge_compareILb0ELb0EjNS0_19identity_decomposerEEEEE10hipError_tT0_T1_T2_jT3_P12ihipStream_tbPNSt15iterator_traitsISE_E10value_typeEPNSK_ISF_E10value_typeEPSG_NS1_7vsmem_tEENKUlT_SE_SF_SG_E_clIS8_S8_S9_S9_EESD_ST_SE_SF_SG_EUlST_E_NS1_11comp_targetILNS1_3genE2ELNS1_11target_archE906ELNS1_3gpuE6ELNS1_3repE0EEENS1_48merge_mergepath_partition_config_static_selectorELNS0_4arch9wavefront6targetE0EEEvSF_,"axG",@progbits,_ZN7rocprim17ROCPRIM_400000_NS6detail17trampoline_kernelINS0_14default_configENS1_38merge_sort_block_merge_config_selectorIjNS0_10empty_typeEEEZZNS1_27merge_sort_block_merge_implIS3_PjPS5_jNS1_19radix_merge_compareILb0ELb0EjNS0_19identity_decomposerEEEEE10hipError_tT0_T1_T2_jT3_P12ihipStream_tbPNSt15iterator_traitsISE_E10value_typeEPNSK_ISF_E10value_typeEPSG_NS1_7vsmem_tEENKUlT_SE_SF_SG_E_clIS8_S8_S9_S9_EESD_ST_SE_SF_SG_EUlST_E_NS1_11comp_targetILNS1_3genE2ELNS1_11target_archE906ELNS1_3gpuE6ELNS1_3repE0EEENS1_48merge_mergepath_partition_config_static_selectorELNS0_4arch9wavefront6targetE0EEEvSF_,comdat
	.protected	_ZN7rocprim17ROCPRIM_400000_NS6detail17trampoline_kernelINS0_14default_configENS1_38merge_sort_block_merge_config_selectorIjNS0_10empty_typeEEEZZNS1_27merge_sort_block_merge_implIS3_PjPS5_jNS1_19radix_merge_compareILb0ELb0EjNS0_19identity_decomposerEEEEE10hipError_tT0_T1_T2_jT3_P12ihipStream_tbPNSt15iterator_traitsISE_E10value_typeEPNSK_ISF_E10value_typeEPSG_NS1_7vsmem_tEENKUlT_SE_SF_SG_E_clIS8_S8_S9_S9_EESD_ST_SE_SF_SG_EUlST_E_NS1_11comp_targetILNS1_3genE2ELNS1_11target_archE906ELNS1_3gpuE6ELNS1_3repE0EEENS1_48merge_mergepath_partition_config_static_selectorELNS0_4arch9wavefront6targetE0EEEvSF_ ; -- Begin function _ZN7rocprim17ROCPRIM_400000_NS6detail17trampoline_kernelINS0_14default_configENS1_38merge_sort_block_merge_config_selectorIjNS0_10empty_typeEEEZZNS1_27merge_sort_block_merge_implIS3_PjPS5_jNS1_19radix_merge_compareILb0ELb0EjNS0_19identity_decomposerEEEEE10hipError_tT0_T1_T2_jT3_P12ihipStream_tbPNSt15iterator_traitsISE_E10value_typeEPNSK_ISF_E10value_typeEPSG_NS1_7vsmem_tEENKUlT_SE_SF_SG_E_clIS8_S8_S9_S9_EESD_ST_SE_SF_SG_EUlST_E_NS1_11comp_targetILNS1_3genE2ELNS1_11target_archE906ELNS1_3gpuE6ELNS1_3repE0EEENS1_48merge_mergepath_partition_config_static_selectorELNS0_4arch9wavefront6targetE0EEEvSF_
	.globl	_ZN7rocprim17ROCPRIM_400000_NS6detail17trampoline_kernelINS0_14default_configENS1_38merge_sort_block_merge_config_selectorIjNS0_10empty_typeEEEZZNS1_27merge_sort_block_merge_implIS3_PjPS5_jNS1_19radix_merge_compareILb0ELb0EjNS0_19identity_decomposerEEEEE10hipError_tT0_T1_T2_jT3_P12ihipStream_tbPNSt15iterator_traitsISE_E10value_typeEPNSK_ISF_E10value_typeEPSG_NS1_7vsmem_tEENKUlT_SE_SF_SG_E_clIS8_S8_S9_S9_EESD_ST_SE_SF_SG_EUlST_E_NS1_11comp_targetILNS1_3genE2ELNS1_11target_archE906ELNS1_3gpuE6ELNS1_3repE0EEENS1_48merge_mergepath_partition_config_static_selectorELNS0_4arch9wavefront6targetE0EEEvSF_
	.p2align	8
	.type	_ZN7rocprim17ROCPRIM_400000_NS6detail17trampoline_kernelINS0_14default_configENS1_38merge_sort_block_merge_config_selectorIjNS0_10empty_typeEEEZZNS1_27merge_sort_block_merge_implIS3_PjPS5_jNS1_19radix_merge_compareILb0ELb0EjNS0_19identity_decomposerEEEEE10hipError_tT0_T1_T2_jT3_P12ihipStream_tbPNSt15iterator_traitsISE_E10value_typeEPNSK_ISF_E10value_typeEPSG_NS1_7vsmem_tEENKUlT_SE_SF_SG_E_clIS8_S8_S9_S9_EESD_ST_SE_SF_SG_EUlST_E_NS1_11comp_targetILNS1_3genE2ELNS1_11target_archE906ELNS1_3gpuE6ELNS1_3repE0EEENS1_48merge_mergepath_partition_config_static_selectorELNS0_4arch9wavefront6targetE0EEEvSF_,@function
_ZN7rocprim17ROCPRIM_400000_NS6detail17trampoline_kernelINS0_14default_configENS1_38merge_sort_block_merge_config_selectorIjNS0_10empty_typeEEEZZNS1_27merge_sort_block_merge_implIS3_PjPS5_jNS1_19radix_merge_compareILb0ELb0EjNS0_19identity_decomposerEEEEE10hipError_tT0_T1_T2_jT3_P12ihipStream_tbPNSt15iterator_traitsISE_E10value_typeEPNSK_ISF_E10value_typeEPSG_NS1_7vsmem_tEENKUlT_SE_SF_SG_E_clIS8_S8_S9_S9_EESD_ST_SE_SF_SG_EUlST_E_NS1_11comp_targetILNS1_3genE2ELNS1_11target_archE906ELNS1_3gpuE6ELNS1_3repE0EEENS1_48merge_mergepath_partition_config_static_selectorELNS0_4arch9wavefront6targetE0EEEvSF_: ; @_ZN7rocprim17ROCPRIM_400000_NS6detail17trampoline_kernelINS0_14default_configENS1_38merge_sort_block_merge_config_selectorIjNS0_10empty_typeEEEZZNS1_27merge_sort_block_merge_implIS3_PjPS5_jNS1_19radix_merge_compareILb0ELb0EjNS0_19identity_decomposerEEEEE10hipError_tT0_T1_T2_jT3_P12ihipStream_tbPNSt15iterator_traitsISE_E10value_typeEPNSK_ISF_E10value_typeEPSG_NS1_7vsmem_tEENKUlT_SE_SF_SG_E_clIS8_S8_S9_S9_EESD_ST_SE_SF_SG_EUlST_E_NS1_11comp_targetILNS1_3genE2ELNS1_11target_archE906ELNS1_3gpuE6ELNS1_3repE0EEENS1_48merge_mergepath_partition_config_static_selectorELNS0_4arch9wavefront6targetE0EEEvSF_
; %bb.0:
	.section	.rodata,"a",@progbits
	.p2align	6, 0x0
	.amdhsa_kernel _ZN7rocprim17ROCPRIM_400000_NS6detail17trampoline_kernelINS0_14default_configENS1_38merge_sort_block_merge_config_selectorIjNS0_10empty_typeEEEZZNS1_27merge_sort_block_merge_implIS3_PjPS5_jNS1_19radix_merge_compareILb0ELb0EjNS0_19identity_decomposerEEEEE10hipError_tT0_T1_T2_jT3_P12ihipStream_tbPNSt15iterator_traitsISE_E10value_typeEPNSK_ISF_E10value_typeEPSG_NS1_7vsmem_tEENKUlT_SE_SF_SG_E_clIS8_S8_S9_S9_EESD_ST_SE_SF_SG_EUlST_E_NS1_11comp_targetILNS1_3genE2ELNS1_11target_archE906ELNS1_3gpuE6ELNS1_3repE0EEENS1_48merge_mergepath_partition_config_static_selectorELNS0_4arch9wavefront6targetE0EEEvSF_
		.amdhsa_group_segment_fixed_size 0
		.amdhsa_private_segment_fixed_size 0
		.amdhsa_kernarg_size 40
		.amdhsa_user_sgpr_count 2
		.amdhsa_user_sgpr_dispatch_ptr 0
		.amdhsa_user_sgpr_queue_ptr 0
		.amdhsa_user_sgpr_kernarg_segment_ptr 1
		.amdhsa_user_sgpr_dispatch_id 0
		.amdhsa_user_sgpr_kernarg_preload_length 0
		.amdhsa_user_sgpr_kernarg_preload_offset 0
		.amdhsa_user_sgpr_private_segment_size 0
		.amdhsa_wavefront_size32 1
		.amdhsa_uses_dynamic_stack 0
		.amdhsa_enable_private_segment 0
		.amdhsa_system_sgpr_workgroup_id_x 1
		.amdhsa_system_sgpr_workgroup_id_y 0
		.amdhsa_system_sgpr_workgroup_id_z 0
		.amdhsa_system_sgpr_workgroup_info 0
		.amdhsa_system_vgpr_workitem_id 0
		.amdhsa_next_free_vgpr 1
		.amdhsa_next_free_sgpr 1
		.amdhsa_named_barrier_count 0
		.amdhsa_reserve_vcc 0
		.amdhsa_float_round_mode_32 0
		.amdhsa_float_round_mode_16_64 0
		.amdhsa_float_denorm_mode_32 3
		.amdhsa_float_denorm_mode_16_64 3
		.amdhsa_fp16_overflow 0
		.amdhsa_memory_ordered 1
		.amdhsa_forward_progress 1
		.amdhsa_inst_pref_size 0
		.amdhsa_round_robin_scheduling 0
		.amdhsa_exception_fp_ieee_invalid_op 0
		.amdhsa_exception_fp_denorm_src 0
		.amdhsa_exception_fp_ieee_div_zero 0
		.amdhsa_exception_fp_ieee_overflow 0
		.amdhsa_exception_fp_ieee_underflow 0
		.amdhsa_exception_fp_ieee_inexact 0
		.amdhsa_exception_int_div_zero 0
	.end_amdhsa_kernel
	.section	.text._ZN7rocprim17ROCPRIM_400000_NS6detail17trampoline_kernelINS0_14default_configENS1_38merge_sort_block_merge_config_selectorIjNS0_10empty_typeEEEZZNS1_27merge_sort_block_merge_implIS3_PjPS5_jNS1_19radix_merge_compareILb0ELb0EjNS0_19identity_decomposerEEEEE10hipError_tT0_T1_T2_jT3_P12ihipStream_tbPNSt15iterator_traitsISE_E10value_typeEPNSK_ISF_E10value_typeEPSG_NS1_7vsmem_tEENKUlT_SE_SF_SG_E_clIS8_S8_S9_S9_EESD_ST_SE_SF_SG_EUlST_E_NS1_11comp_targetILNS1_3genE2ELNS1_11target_archE906ELNS1_3gpuE6ELNS1_3repE0EEENS1_48merge_mergepath_partition_config_static_selectorELNS0_4arch9wavefront6targetE0EEEvSF_,"axG",@progbits,_ZN7rocprim17ROCPRIM_400000_NS6detail17trampoline_kernelINS0_14default_configENS1_38merge_sort_block_merge_config_selectorIjNS0_10empty_typeEEEZZNS1_27merge_sort_block_merge_implIS3_PjPS5_jNS1_19radix_merge_compareILb0ELb0EjNS0_19identity_decomposerEEEEE10hipError_tT0_T1_T2_jT3_P12ihipStream_tbPNSt15iterator_traitsISE_E10value_typeEPNSK_ISF_E10value_typeEPSG_NS1_7vsmem_tEENKUlT_SE_SF_SG_E_clIS8_S8_S9_S9_EESD_ST_SE_SF_SG_EUlST_E_NS1_11comp_targetILNS1_3genE2ELNS1_11target_archE906ELNS1_3gpuE6ELNS1_3repE0EEENS1_48merge_mergepath_partition_config_static_selectorELNS0_4arch9wavefront6targetE0EEEvSF_,comdat
.Lfunc_end2683:
	.size	_ZN7rocprim17ROCPRIM_400000_NS6detail17trampoline_kernelINS0_14default_configENS1_38merge_sort_block_merge_config_selectorIjNS0_10empty_typeEEEZZNS1_27merge_sort_block_merge_implIS3_PjPS5_jNS1_19radix_merge_compareILb0ELb0EjNS0_19identity_decomposerEEEEE10hipError_tT0_T1_T2_jT3_P12ihipStream_tbPNSt15iterator_traitsISE_E10value_typeEPNSK_ISF_E10value_typeEPSG_NS1_7vsmem_tEENKUlT_SE_SF_SG_E_clIS8_S8_S9_S9_EESD_ST_SE_SF_SG_EUlST_E_NS1_11comp_targetILNS1_3genE2ELNS1_11target_archE906ELNS1_3gpuE6ELNS1_3repE0EEENS1_48merge_mergepath_partition_config_static_selectorELNS0_4arch9wavefront6targetE0EEEvSF_, .Lfunc_end2683-_ZN7rocprim17ROCPRIM_400000_NS6detail17trampoline_kernelINS0_14default_configENS1_38merge_sort_block_merge_config_selectorIjNS0_10empty_typeEEEZZNS1_27merge_sort_block_merge_implIS3_PjPS5_jNS1_19radix_merge_compareILb0ELb0EjNS0_19identity_decomposerEEEEE10hipError_tT0_T1_T2_jT3_P12ihipStream_tbPNSt15iterator_traitsISE_E10value_typeEPNSK_ISF_E10value_typeEPSG_NS1_7vsmem_tEENKUlT_SE_SF_SG_E_clIS8_S8_S9_S9_EESD_ST_SE_SF_SG_EUlST_E_NS1_11comp_targetILNS1_3genE2ELNS1_11target_archE906ELNS1_3gpuE6ELNS1_3repE0EEENS1_48merge_mergepath_partition_config_static_selectorELNS0_4arch9wavefront6targetE0EEEvSF_
                                        ; -- End function
	.set _ZN7rocprim17ROCPRIM_400000_NS6detail17trampoline_kernelINS0_14default_configENS1_38merge_sort_block_merge_config_selectorIjNS0_10empty_typeEEEZZNS1_27merge_sort_block_merge_implIS3_PjPS5_jNS1_19radix_merge_compareILb0ELb0EjNS0_19identity_decomposerEEEEE10hipError_tT0_T1_T2_jT3_P12ihipStream_tbPNSt15iterator_traitsISE_E10value_typeEPNSK_ISF_E10value_typeEPSG_NS1_7vsmem_tEENKUlT_SE_SF_SG_E_clIS8_S8_S9_S9_EESD_ST_SE_SF_SG_EUlST_E_NS1_11comp_targetILNS1_3genE2ELNS1_11target_archE906ELNS1_3gpuE6ELNS1_3repE0EEENS1_48merge_mergepath_partition_config_static_selectorELNS0_4arch9wavefront6targetE0EEEvSF_.num_vgpr, 0
	.set _ZN7rocprim17ROCPRIM_400000_NS6detail17trampoline_kernelINS0_14default_configENS1_38merge_sort_block_merge_config_selectorIjNS0_10empty_typeEEEZZNS1_27merge_sort_block_merge_implIS3_PjPS5_jNS1_19radix_merge_compareILb0ELb0EjNS0_19identity_decomposerEEEEE10hipError_tT0_T1_T2_jT3_P12ihipStream_tbPNSt15iterator_traitsISE_E10value_typeEPNSK_ISF_E10value_typeEPSG_NS1_7vsmem_tEENKUlT_SE_SF_SG_E_clIS8_S8_S9_S9_EESD_ST_SE_SF_SG_EUlST_E_NS1_11comp_targetILNS1_3genE2ELNS1_11target_archE906ELNS1_3gpuE6ELNS1_3repE0EEENS1_48merge_mergepath_partition_config_static_selectorELNS0_4arch9wavefront6targetE0EEEvSF_.num_agpr, 0
	.set _ZN7rocprim17ROCPRIM_400000_NS6detail17trampoline_kernelINS0_14default_configENS1_38merge_sort_block_merge_config_selectorIjNS0_10empty_typeEEEZZNS1_27merge_sort_block_merge_implIS3_PjPS5_jNS1_19radix_merge_compareILb0ELb0EjNS0_19identity_decomposerEEEEE10hipError_tT0_T1_T2_jT3_P12ihipStream_tbPNSt15iterator_traitsISE_E10value_typeEPNSK_ISF_E10value_typeEPSG_NS1_7vsmem_tEENKUlT_SE_SF_SG_E_clIS8_S8_S9_S9_EESD_ST_SE_SF_SG_EUlST_E_NS1_11comp_targetILNS1_3genE2ELNS1_11target_archE906ELNS1_3gpuE6ELNS1_3repE0EEENS1_48merge_mergepath_partition_config_static_selectorELNS0_4arch9wavefront6targetE0EEEvSF_.numbered_sgpr, 0
	.set _ZN7rocprim17ROCPRIM_400000_NS6detail17trampoline_kernelINS0_14default_configENS1_38merge_sort_block_merge_config_selectorIjNS0_10empty_typeEEEZZNS1_27merge_sort_block_merge_implIS3_PjPS5_jNS1_19radix_merge_compareILb0ELb0EjNS0_19identity_decomposerEEEEE10hipError_tT0_T1_T2_jT3_P12ihipStream_tbPNSt15iterator_traitsISE_E10value_typeEPNSK_ISF_E10value_typeEPSG_NS1_7vsmem_tEENKUlT_SE_SF_SG_E_clIS8_S8_S9_S9_EESD_ST_SE_SF_SG_EUlST_E_NS1_11comp_targetILNS1_3genE2ELNS1_11target_archE906ELNS1_3gpuE6ELNS1_3repE0EEENS1_48merge_mergepath_partition_config_static_selectorELNS0_4arch9wavefront6targetE0EEEvSF_.num_named_barrier, 0
	.set _ZN7rocprim17ROCPRIM_400000_NS6detail17trampoline_kernelINS0_14default_configENS1_38merge_sort_block_merge_config_selectorIjNS0_10empty_typeEEEZZNS1_27merge_sort_block_merge_implIS3_PjPS5_jNS1_19radix_merge_compareILb0ELb0EjNS0_19identity_decomposerEEEEE10hipError_tT0_T1_T2_jT3_P12ihipStream_tbPNSt15iterator_traitsISE_E10value_typeEPNSK_ISF_E10value_typeEPSG_NS1_7vsmem_tEENKUlT_SE_SF_SG_E_clIS8_S8_S9_S9_EESD_ST_SE_SF_SG_EUlST_E_NS1_11comp_targetILNS1_3genE2ELNS1_11target_archE906ELNS1_3gpuE6ELNS1_3repE0EEENS1_48merge_mergepath_partition_config_static_selectorELNS0_4arch9wavefront6targetE0EEEvSF_.private_seg_size, 0
	.set _ZN7rocprim17ROCPRIM_400000_NS6detail17trampoline_kernelINS0_14default_configENS1_38merge_sort_block_merge_config_selectorIjNS0_10empty_typeEEEZZNS1_27merge_sort_block_merge_implIS3_PjPS5_jNS1_19radix_merge_compareILb0ELb0EjNS0_19identity_decomposerEEEEE10hipError_tT0_T1_T2_jT3_P12ihipStream_tbPNSt15iterator_traitsISE_E10value_typeEPNSK_ISF_E10value_typeEPSG_NS1_7vsmem_tEENKUlT_SE_SF_SG_E_clIS8_S8_S9_S9_EESD_ST_SE_SF_SG_EUlST_E_NS1_11comp_targetILNS1_3genE2ELNS1_11target_archE906ELNS1_3gpuE6ELNS1_3repE0EEENS1_48merge_mergepath_partition_config_static_selectorELNS0_4arch9wavefront6targetE0EEEvSF_.uses_vcc, 0
	.set _ZN7rocprim17ROCPRIM_400000_NS6detail17trampoline_kernelINS0_14default_configENS1_38merge_sort_block_merge_config_selectorIjNS0_10empty_typeEEEZZNS1_27merge_sort_block_merge_implIS3_PjPS5_jNS1_19radix_merge_compareILb0ELb0EjNS0_19identity_decomposerEEEEE10hipError_tT0_T1_T2_jT3_P12ihipStream_tbPNSt15iterator_traitsISE_E10value_typeEPNSK_ISF_E10value_typeEPSG_NS1_7vsmem_tEENKUlT_SE_SF_SG_E_clIS8_S8_S9_S9_EESD_ST_SE_SF_SG_EUlST_E_NS1_11comp_targetILNS1_3genE2ELNS1_11target_archE906ELNS1_3gpuE6ELNS1_3repE0EEENS1_48merge_mergepath_partition_config_static_selectorELNS0_4arch9wavefront6targetE0EEEvSF_.uses_flat_scratch, 0
	.set _ZN7rocprim17ROCPRIM_400000_NS6detail17trampoline_kernelINS0_14default_configENS1_38merge_sort_block_merge_config_selectorIjNS0_10empty_typeEEEZZNS1_27merge_sort_block_merge_implIS3_PjPS5_jNS1_19radix_merge_compareILb0ELb0EjNS0_19identity_decomposerEEEEE10hipError_tT0_T1_T2_jT3_P12ihipStream_tbPNSt15iterator_traitsISE_E10value_typeEPNSK_ISF_E10value_typeEPSG_NS1_7vsmem_tEENKUlT_SE_SF_SG_E_clIS8_S8_S9_S9_EESD_ST_SE_SF_SG_EUlST_E_NS1_11comp_targetILNS1_3genE2ELNS1_11target_archE906ELNS1_3gpuE6ELNS1_3repE0EEENS1_48merge_mergepath_partition_config_static_selectorELNS0_4arch9wavefront6targetE0EEEvSF_.has_dyn_sized_stack, 0
	.set _ZN7rocprim17ROCPRIM_400000_NS6detail17trampoline_kernelINS0_14default_configENS1_38merge_sort_block_merge_config_selectorIjNS0_10empty_typeEEEZZNS1_27merge_sort_block_merge_implIS3_PjPS5_jNS1_19radix_merge_compareILb0ELb0EjNS0_19identity_decomposerEEEEE10hipError_tT0_T1_T2_jT3_P12ihipStream_tbPNSt15iterator_traitsISE_E10value_typeEPNSK_ISF_E10value_typeEPSG_NS1_7vsmem_tEENKUlT_SE_SF_SG_E_clIS8_S8_S9_S9_EESD_ST_SE_SF_SG_EUlST_E_NS1_11comp_targetILNS1_3genE2ELNS1_11target_archE906ELNS1_3gpuE6ELNS1_3repE0EEENS1_48merge_mergepath_partition_config_static_selectorELNS0_4arch9wavefront6targetE0EEEvSF_.has_recursion, 0
	.set _ZN7rocprim17ROCPRIM_400000_NS6detail17trampoline_kernelINS0_14default_configENS1_38merge_sort_block_merge_config_selectorIjNS0_10empty_typeEEEZZNS1_27merge_sort_block_merge_implIS3_PjPS5_jNS1_19radix_merge_compareILb0ELb0EjNS0_19identity_decomposerEEEEE10hipError_tT0_T1_T2_jT3_P12ihipStream_tbPNSt15iterator_traitsISE_E10value_typeEPNSK_ISF_E10value_typeEPSG_NS1_7vsmem_tEENKUlT_SE_SF_SG_E_clIS8_S8_S9_S9_EESD_ST_SE_SF_SG_EUlST_E_NS1_11comp_targetILNS1_3genE2ELNS1_11target_archE906ELNS1_3gpuE6ELNS1_3repE0EEENS1_48merge_mergepath_partition_config_static_selectorELNS0_4arch9wavefront6targetE0EEEvSF_.has_indirect_call, 0
	.section	.AMDGPU.csdata,"",@progbits
; Kernel info:
; codeLenInByte = 0
; TotalNumSgprs: 0
; NumVgprs: 0
; ScratchSize: 0
; MemoryBound: 0
; FloatMode: 240
; IeeeMode: 1
; LDSByteSize: 0 bytes/workgroup (compile time only)
; SGPRBlocks: 0
; VGPRBlocks: 0
; NumSGPRsForWavesPerEU: 1
; NumVGPRsForWavesPerEU: 1
; NamedBarCnt: 0
; Occupancy: 16
; WaveLimiterHint : 0
; COMPUTE_PGM_RSRC2:SCRATCH_EN: 0
; COMPUTE_PGM_RSRC2:USER_SGPR: 2
; COMPUTE_PGM_RSRC2:TRAP_HANDLER: 0
; COMPUTE_PGM_RSRC2:TGID_X_EN: 1
; COMPUTE_PGM_RSRC2:TGID_Y_EN: 0
; COMPUTE_PGM_RSRC2:TGID_Z_EN: 0
; COMPUTE_PGM_RSRC2:TIDIG_COMP_CNT: 0
	.section	.text._ZN7rocprim17ROCPRIM_400000_NS6detail17trampoline_kernelINS0_14default_configENS1_38merge_sort_block_merge_config_selectorIjNS0_10empty_typeEEEZZNS1_27merge_sort_block_merge_implIS3_PjPS5_jNS1_19radix_merge_compareILb0ELb0EjNS0_19identity_decomposerEEEEE10hipError_tT0_T1_T2_jT3_P12ihipStream_tbPNSt15iterator_traitsISE_E10value_typeEPNSK_ISF_E10value_typeEPSG_NS1_7vsmem_tEENKUlT_SE_SF_SG_E_clIS8_S8_S9_S9_EESD_ST_SE_SF_SG_EUlST_E_NS1_11comp_targetILNS1_3genE9ELNS1_11target_archE1100ELNS1_3gpuE3ELNS1_3repE0EEENS1_48merge_mergepath_partition_config_static_selectorELNS0_4arch9wavefront6targetE0EEEvSF_,"axG",@progbits,_ZN7rocprim17ROCPRIM_400000_NS6detail17trampoline_kernelINS0_14default_configENS1_38merge_sort_block_merge_config_selectorIjNS0_10empty_typeEEEZZNS1_27merge_sort_block_merge_implIS3_PjPS5_jNS1_19radix_merge_compareILb0ELb0EjNS0_19identity_decomposerEEEEE10hipError_tT0_T1_T2_jT3_P12ihipStream_tbPNSt15iterator_traitsISE_E10value_typeEPNSK_ISF_E10value_typeEPSG_NS1_7vsmem_tEENKUlT_SE_SF_SG_E_clIS8_S8_S9_S9_EESD_ST_SE_SF_SG_EUlST_E_NS1_11comp_targetILNS1_3genE9ELNS1_11target_archE1100ELNS1_3gpuE3ELNS1_3repE0EEENS1_48merge_mergepath_partition_config_static_selectorELNS0_4arch9wavefront6targetE0EEEvSF_,comdat
	.protected	_ZN7rocprim17ROCPRIM_400000_NS6detail17trampoline_kernelINS0_14default_configENS1_38merge_sort_block_merge_config_selectorIjNS0_10empty_typeEEEZZNS1_27merge_sort_block_merge_implIS3_PjPS5_jNS1_19radix_merge_compareILb0ELb0EjNS0_19identity_decomposerEEEEE10hipError_tT0_T1_T2_jT3_P12ihipStream_tbPNSt15iterator_traitsISE_E10value_typeEPNSK_ISF_E10value_typeEPSG_NS1_7vsmem_tEENKUlT_SE_SF_SG_E_clIS8_S8_S9_S9_EESD_ST_SE_SF_SG_EUlST_E_NS1_11comp_targetILNS1_3genE9ELNS1_11target_archE1100ELNS1_3gpuE3ELNS1_3repE0EEENS1_48merge_mergepath_partition_config_static_selectorELNS0_4arch9wavefront6targetE0EEEvSF_ ; -- Begin function _ZN7rocprim17ROCPRIM_400000_NS6detail17trampoline_kernelINS0_14default_configENS1_38merge_sort_block_merge_config_selectorIjNS0_10empty_typeEEEZZNS1_27merge_sort_block_merge_implIS3_PjPS5_jNS1_19radix_merge_compareILb0ELb0EjNS0_19identity_decomposerEEEEE10hipError_tT0_T1_T2_jT3_P12ihipStream_tbPNSt15iterator_traitsISE_E10value_typeEPNSK_ISF_E10value_typeEPSG_NS1_7vsmem_tEENKUlT_SE_SF_SG_E_clIS8_S8_S9_S9_EESD_ST_SE_SF_SG_EUlST_E_NS1_11comp_targetILNS1_3genE9ELNS1_11target_archE1100ELNS1_3gpuE3ELNS1_3repE0EEENS1_48merge_mergepath_partition_config_static_selectorELNS0_4arch9wavefront6targetE0EEEvSF_
	.globl	_ZN7rocprim17ROCPRIM_400000_NS6detail17trampoline_kernelINS0_14default_configENS1_38merge_sort_block_merge_config_selectorIjNS0_10empty_typeEEEZZNS1_27merge_sort_block_merge_implIS3_PjPS5_jNS1_19radix_merge_compareILb0ELb0EjNS0_19identity_decomposerEEEEE10hipError_tT0_T1_T2_jT3_P12ihipStream_tbPNSt15iterator_traitsISE_E10value_typeEPNSK_ISF_E10value_typeEPSG_NS1_7vsmem_tEENKUlT_SE_SF_SG_E_clIS8_S8_S9_S9_EESD_ST_SE_SF_SG_EUlST_E_NS1_11comp_targetILNS1_3genE9ELNS1_11target_archE1100ELNS1_3gpuE3ELNS1_3repE0EEENS1_48merge_mergepath_partition_config_static_selectorELNS0_4arch9wavefront6targetE0EEEvSF_
	.p2align	8
	.type	_ZN7rocprim17ROCPRIM_400000_NS6detail17trampoline_kernelINS0_14default_configENS1_38merge_sort_block_merge_config_selectorIjNS0_10empty_typeEEEZZNS1_27merge_sort_block_merge_implIS3_PjPS5_jNS1_19radix_merge_compareILb0ELb0EjNS0_19identity_decomposerEEEEE10hipError_tT0_T1_T2_jT3_P12ihipStream_tbPNSt15iterator_traitsISE_E10value_typeEPNSK_ISF_E10value_typeEPSG_NS1_7vsmem_tEENKUlT_SE_SF_SG_E_clIS8_S8_S9_S9_EESD_ST_SE_SF_SG_EUlST_E_NS1_11comp_targetILNS1_3genE9ELNS1_11target_archE1100ELNS1_3gpuE3ELNS1_3repE0EEENS1_48merge_mergepath_partition_config_static_selectorELNS0_4arch9wavefront6targetE0EEEvSF_,@function
_ZN7rocprim17ROCPRIM_400000_NS6detail17trampoline_kernelINS0_14default_configENS1_38merge_sort_block_merge_config_selectorIjNS0_10empty_typeEEEZZNS1_27merge_sort_block_merge_implIS3_PjPS5_jNS1_19radix_merge_compareILb0ELb0EjNS0_19identity_decomposerEEEEE10hipError_tT0_T1_T2_jT3_P12ihipStream_tbPNSt15iterator_traitsISE_E10value_typeEPNSK_ISF_E10value_typeEPSG_NS1_7vsmem_tEENKUlT_SE_SF_SG_E_clIS8_S8_S9_S9_EESD_ST_SE_SF_SG_EUlST_E_NS1_11comp_targetILNS1_3genE9ELNS1_11target_archE1100ELNS1_3gpuE3ELNS1_3repE0EEENS1_48merge_mergepath_partition_config_static_selectorELNS0_4arch9wavefront6targetE0EEEvSF_: ; @_ZN7rocprim17ROCPRIM_400000_NS6detail17trampoline_kernelINS0_14default_configENS1_38merge_sort_block_merge_config_selectorIjNS0_10empty_typeEEEZZNS1_27merge_sort_block_merge_implIS3_PjPS5_jNS1_19radix_merge_compareILb0ELb0EjNS0_19identity_decomposerEEEEE10hipError_tT0_T1_T2_jT3_P12ihipStream_tbPNSt15iterator_traitsISE_E10value_typeEPNSK_ISF_E10value_typeEPSG_NS1_7vsmem_tEENKUlT_SE_SF_SG_E_clIS8_S8_S9_S9_EESD_ST_SE_SF_SG_EUlST_E_NS1_11comp_targetILNS1_3genE9ELNS1_11target_archE1100ELNS1_3gpuE3ELNS1_3repE0EEENS1_48merge_mergepath_partition_config_static_selectorELNS0_4arch9wavefront6targetE0EEEvSF_
; %bb.0:
	.section	.rodata,"a",@progbits
	.p2align	6, 0x0
	.amdhsa_kernel _ZN7rocprim17ROCPRIM_400000_NS6detail17trampoline_kernelINS0_14default_configENS1_38merge_sort_block_merge_config_selectorIjNS0_10empty_typeEEEZZNS1_27merge_sort_block_merge_implIS3_PjPS5_jNS1_19radix_merge_compareILb0ELb0EjNS0_19identity_decomposerEEEEE10hipError_tT0_T1_T2_jT3_P12ihipStream_tbPNSt15iterator_traitsISE_E10value_typeEPNSK_ISF_E10value_typeEPSG_NS1_7vsmem_tEENKUlT_SE_SF_SG_E_clIS8_S8_S9_S9_EESD_ST_SE_SF_SG_EUlST_E_NS1_11comp_targetILNS1_3genE9ELNS1_11target_archE1100ELNS1_3gpuE3ELNS1_3repE0EEENS1_48merge_mergepath_partition_config_static_selectorELNS0_4arch9wavefront6targetE0EEEvSF_
		.amdhsa_group_segment_fixed_size 0
		.amdhsa_private_segment_fixed_size 0
		.amdhsa_kernarg_size 40
		.amdhsa_user_sgpr_count 2
		.amdhsa_user_sgpr_dispatch_ptr 0
		.amdhsa_user_sgpr_queue_ptr 0
		.amdhsa_user_sgpr_kernarg_segment_ptr 1
		.amdhsa_user_sgpr_dispatch_id 0
		.amdhsa_user_sgpr_kernarg_preload_length 0
		.amdhsa_user_sgpr_kernarg_preload_offset 0
		.amdhsa_user_sgpr_private_segment_size 0
		.amdhsa_wavefront_size32 1
		.amdhsa_uses_dynamic_stack 0
		.amdhsa_enable_private_segment 0
		.amdhsa_system_sgpr_workgroup_id_x 1
		.amdhsa_system_sgpr_workgroup_id_y 0
		.amdhsa_system_sgpr_workgroup_id_z 0
		.amdhsa_system_sgpr_workgroup_info 0
		.amdhsa_system_vgpr_workitem_id 0
		.amdhsa_next_free_vgpr 1
		.amdhsa_next_free_sgpr 1
		.amdhsa_named_barrier_count 0
		.amdhsa_reserve_vcc 0
		.amdhsa_float_round_mode_32 0
		.amdhsa_float_round_mode_16_64 0
		.amdhsa_float_denorm_mode_32 3
		.amdhsa_float_denorm_mode_16_64 3
		.amdhsa_fp16_overflow 0
		.amdhsa_memory_ordered 1
		.amdhsa_forward_progress 1
		.amdhsa_inst_pref_size 0
		.amdhsa_round_robin_scheduling 0
		.amdhsa_exception_fp_ieee_invalid_op 0
		.amdhsa_exception_fp_denorm_src 0
		.amdhsa_exception_fp_ieee_div_zero 0
		.amdhsa_exception_fp_ieee_overflow 0
		.amdhsa_exception_fp_ieee_underflow 0
		.amdhsa_exception_fp_ieee_inexact 0
		.amdhsa_exception_int_div_zero 0
	.end_amdhsa_kernel
	.section	.text._ZN7rocprim17ROCPRIM_400000_NS6detail17trampoline_kernelINS0_14default_configENS1_38merge_sort_block_merge_config_selectorIjNS0_10empty_typeEEEZZNS1_27merge_sort_block_merge_implIS3_PjPS5_jNS1_19radix_merge_compareILb0ELb0EjNS0_19identity_decomposerEEEEE10hipError_tT0_T1_T2_jT3_P12ihipStream_tbPNSt15iterator_traitsISE_E10value_typeEPNSK_ISF_E10value_typeEPSG_NS1_7vsmem_tEENKUlT_SE_SF_SG_E_clIS8_S8_S9_S9_EESD_ST_SE_SF_SG_EUlST_E_NS1_11comp_targetILNS1_3genE9ELNS1_11target_archE1100ELNS1_3gpuE3ELNS1_3repE0EEENS1_48merge_mergepath_partition_config_static_selectorELNS0_4arch9wavefront6targetE0EEEvSF_,"axG",@progbits,_ZN7rocprim17ROCPRIM_400000_NS6detail17trampoline_kernelINS0_14default_configENS1_38merge_sort_block_merge_config_selectorIjNS0_10empty_typeEEEZZNS1_27merge_sort_block_merge_implIS3_PjPS5_jNS1_19radix_merge_compareILb0ELb0EjNS0_19identity_decomposerEEEEE10hipError_tT0_T1_T2_jT3_P12ihipStream_tbPNSt15iterator_traitsISE_E10value_typeEPNSK_ISF_E10value_typeEPSG_NS1_7vsmem_tEENKUlT_SE_SF_SG_E_clIS8_S8_S9_S9_EESD_ST_SE_SF_SG_EUlST_E_NS1_11comp_targetILNS1_3genE9ELNS1_11target_archE1100ELNS1_3gpuE3ELNS1_3repE0EEENS1_48merge_mergepath_partition_config_static_selectorELNS0_4arch9wavefront6targetE0EEEvSF_,comdat
.Lfunc_end2684:
	.size	_ZN7rocprim17ROCPRIM_400000_NS6detail17trampoline_kernelINS0_14default_configENS1_38merge_sort_block_merge_config_selectorIjNS0_10empty_typeEEEZZNS1_27merge_sort_block_merge_implIS3_PjPS5_jNS1_19radix_merge_compareILb0ELb0EjNS0_19identity_decomposerEEEEE10hipError_tT0_T1_T2_jT3_P12ihipStream_tbPNSt15iterator_traitsISE_E10value_typeEPNSK_ISF_E10value_typeEPSG_NS1_7vsmem_tEENKUlT_SE_SF_SG_E_clIS8_S8_S9_S9_EESD_ST_SE_SF_SG_EUlST_E_NS1_11comp_targetILNS1_3genE9ELNS1_11target_archE1100ELNS1_3gpuE3ELNS1_3repE0EEENS1_48merge_mergepath_partition_config_static_selectorELNS0_4arch9wavefront6targetE0EEEvSF_, .Lfunc_end2684-_ZN7rocprim17ROCPRIM_400000_NS6detail17trampoline_kernelINS0_14default_configENS1_38merge_sort_block_merge_config_selectorIjNS0_10empty_typeEEEZZNS1_27merge_sort_block_merge_implIS3_PjPS5_jNS1_19radix_merge_compareILb0ELb0EjNS0_19identity_decomposerEEEEE10hipError_tT0_T1_T2_jT3_P12ihipStream_tbPNSt15iterator_traitsISE_E10value_typeEPNSK_ISF_E10value_typeEPSG_NS1_7vsmem_tEENKUlT_SE_SF_SG_E_clIS8_S8_S9_S9_EESD_ST_SE_SF_SG_EUlST_E_NS1_11comp_targetILNS1_3genE9ELNS1_11target_archE1100ELNS1_3gpuE3ELNS1_3repE0EEENS1_48merge_mergepath_partition_config_static_selectorELNS0_4arch9wavefront6targetE0EEEvSF_
                                        ; -- End function
	.set _ZN7rocprim17ROCPRIM_400000_NS6detail17trampoline_kernelINS0_14default_configENS1_38merge_sort_block_merge_config_selectorIjNS0_10empty_typeEEEZZNS1_27merge_sort_block_merge_implIS3_PjPS5_jNS1_19radix_merge_compareILb0ELb0EjNS0_19identity_decomposerEEEEE10hipError_tT0_T1_T2_jT3_P12ihipStream_tbPNSt15iterator_traitsISE_E10value_typeEPNSK_ISF_E10value_typeEPSG_NS1_7vsmem_tEENKUlT_SE_SF_SG_E_clIS8_S8_S9_S9_EESD_ST_SE_SF_SG_EUlST_E_NS1_11comp_targetILNS1_3genE9ELNS1_11target_archE1100ELNS1_3gpuE3ELNS1_3repE0EEENS1_48merge_mergepath_partition_config_static_selectorELNS0_4arch9wavefront6targetE0EEEvSF_.num_vgpr, 0
	.set _ZN7rocprim17ROCPRIM_400000_NS6detail17trampoline_kernelINS0_14default_configENS1_38merge_sort_block_merge_config_selectorIjNS0_10empty_typeEEEZZNS1_27merge_sort_block_merge_implIS3_PjPS5_jNS1_19radix_merge_compareILb0ELb0EjNS0_19identity_decomposerEEEEE10hipError_tT0_T1_T2_jT3_P12ihipStream_tbPNSt15iterator_traitsISE_E10value_typeEPNSK_ISF_E10value_typeEPSG_NS1_7vsmem_tEENKUlT_SE_SF_SG_E_clIS8_S8_S9_S9_EESD_ST_SE_SF_SG_EUlST_E_NS1_11comp_targetILNS1_3genE9ELNS1_11target_archE1100ELNS1_3gpuE3ELNS1_3repE0EEENS1_48merge_mergepath_partition_config_static_selectorELNS0_4arch9wavefront6targetE0EEEvSF_.num_agpr, 0
	.set _ZN7rocprim17ROCPRIM_400000_NS6detail17trampoline_kernelINS0_14default_configENS1_38merge_sort_block_merge_config_selectorIjNS0_10empty_typeEEEZZNS1_27merge_sort_block_merge_implIS3_PjPS5_jNS1_19radix_merge_compareILb0ELb0EjNS0_19identity_decomposerEEEEE10hipError_tT0_T1_T2_jT3_P12ihipStream_tbPNSt15iterator_traitsISE_E10value_typeEPNSK_ISF_E10value_typeEPSG_NS1_7vsmem_tEENKUlT_SE_SF_SG_E_clIS8_S8_S9_S9_EESD_ST_SE_SF_SG_EUlST_E_NS1_11comp_targetILNS1_3genE9ELNS1_11target_archE1100ELNS1_3gpuE3ELNS1_3repE0EEENS1_48merge_mergepath_partition_config_static_selectorELNS0_4arch9wavefront6targetE0EEEvSF_.numbered_sgpr, 0
	.set _ZN7rocprim17ROCPRIM_400000_NS6detail17trampoline_kernelINS0_14default_configENS1_38merge_sort_block_merge_config_selectorIjNS0_10empty_typeEEEZZNS1_27merge_sort_block_merge_implIS3_PjPS5_jNS1_19radix_merge_compareILb0ELb0EjNS0_19identity_decomposerEEEEE10hipError_tT0_T1_T2_jT3_P12ihipStream_tbPNSt15iterator_traitsISE_E10value_typeEPNSK_ISF_E10value_typeEPSG_NS1_7vsmem_tEENKUlT_SE_SF_SG_E_clIS8_S8_S9_S9_EESD_ST_SE_SF_SG_EUlST_E_NS1_11comp_targetILNS1_3genE9ELNS1_11target_archE1100ELNS1_3gpuE3ELNS1_3repE0EEENS1_48merge_mergepath_partition_config_static_selectorELNS0_4arch9wavefront6targetE0EEEvSF_.num_named_barrier, 0
	.set _ZN7rocprim17ROCPRIM_400000_NS6detail17trampoline_kernelINS0_14default_configENS1_38merge_sort_block_merge_config_selectorIjNS0_10empty_typeEEEZZNS1_27merge_sort_block_merge_implIS3_PjPS5_jNS1_19radix_merge_compareILb0ELb0EjNS0_19identity_decomposerEEEEE10hipError_tT0_T1_T2_jT3_P12ihipStream_tbPNSt15iterator_traitsISE_E10value_typeEPNSK_ISF_E10value_typeEPSG_NS1_7vsmem_tEENKUlT_SE_SF_SG_E_clIS8_S8_S9_S9_EESD_ST_SE_SF_SG_EUlST_E_NS1_11comp_targetILNS1_3genE9ELNS1_11target_archE1100ELNS1_3gpuE3ELNS1_3repE0EEENS1_48merge_mergepath_partition_config_static_selectorELNS0_4arch9wavefront6targetE0EEEvSF_.private_seg_size, 0
	.set _ZN7rocprim17ROCPRIM_400000_NS6detail17trampoline_kernelINS0_14default_configENS1_38merge_sort_block_merge_config_selectorIjNS0_10empty_typeEEEZZNS1_27merge_sort_block_merge_implIS3_PjPS5_jNS1_19radix_merge_compareILb0ELb0EjNS0_19identity_decomposerEEEEE10hipError_tT0_T1_T2_jT3_P12ihipStream_tbPNSt15iterator_traitsISE_E10value_typeEPNSK_ISF_E10value_typeEPSG_NS1_7vsmem_tEENKUlT_SE_SF_SG_E_clIS8_S8_S9_S9_EESD_ST_SE_SF_SG_EUlST_E_NS1_11comp_targetILNS1_3genE9ELNS1_11target_archE1100ELNS1_3gpuE3ELNS1_3repE0EEENS1_48merge_mergepath_partition_config_static_selectorELNS0_4arch9wavefront6targetE0EEEvSF_.uses_vcc, 0
	.set _ZN7rocprim17ROCPRIM_400000_NS6detail17trampoline_kernelINS0_14default_configENS1_38merge_sort_block_merge_config_selectorIjNS0_10empty_typeEEEZZNS1_27merge_sort_block_merge_implIS3_PjPS5_jNS1_19radix_merge_compareILb0ELb0EjNS0_19identity_decomposerEEEEE10hipError_tT0_T1_T2_jT3_P12ihipStream_tbPNSt15iterator_traitsISE_E10value_typeEPNSK_ISF_E10value_typeEPSG_NS1_7vsmem_tEENKUlT_SE_SF_SG_E_clIS8_S8_S9_S9_EESD_ST_SE_SF_SG_EUlST_E_NS1_11comp_targetILNS1_3genE9ELNS1_11target_archE1100ELNS1_3gpuE3ELNS1_3repE0EEENS1_48merge_mergepath_partition_config_static_selectorELNS0_4arch9wavefront6targetE0EEEvSF_.uses_flat_scratch, 0
	.set _ZN7rocprim17ROCPRIM_400000_NS6detail17trampoline_kernelINS0_14default_configENS1_38merge_sort_block_merge_config_selectorIjNS0_10empty_typeEEEZZNS1_27merge_sort_block_merge_implIS3_PjPS5_jNS1_19radix_merge_compareILb0ELb0EjNS0_19identity_decomposerEEEEE10hipError_tT0_T1_T2_jT3_P12ihipStream_tbPNSt15iterator_traitsISE_E10value_typeEPNSK_ISF_E10value_typeEPSG_NS1_7vsmem_tEENKUlT_SE_SF_SG_E_clIS8_S8_S9_S9_EESD_ST_SE_SF_SG_EUlST_E_NS1_11comp_targetILNS1_3genE9ELNS1_11target_archE1100ELNS1_3gpuE3ELNS1_3repE0EEENS1_48merge_mergepath_partition_config_static_selectorELNS0_4arch9wavefront6targetE0EEEvSF_.has_dyn_sized_stack, 0
	.set _ZN7rocprim17ROCPRIM_400000_NS6detail17trampoline_kernelINS0_14default_configENS1_38merge_sort_block_merge_config_selectorIjNS0_10empty_typeEEEZZNS1_27merge_sort_block_merge_implIS3_PjPS5_jNS1_19radix_merge_compareILb0ELb0EjNS0_19identity_decomposerEEEEE10hipError_tT0_T1_T2_jT3_P12ihipStream_tbPNSt15iterator_traitsISE_E10value_typeEPNSK_ISF_E10value_typeEPSG_NS1_7vsmem_tEENKUlT_SE_SF_SG_E_clIS8_S8_S9_S9_EESD_ST_SE_SF_SG_EUlST_E_NS1_11comp_targetILNS1_3genE9ELNS1_11target_archE1100ELNS1_3gpuE3ELNS1_3repE0EEENS1_48merge_mergepath_partition_config_static_selectorELNS0_4arch9wavefront6targetE0EEEvSF_.has_recursion, 0
	.set _ZN7rocprim17ROCPRIM_400000_NS6detail17trampoline_kernelINS0_14default_configENS1_38merge_sort_block_merge_config_selectorIjNS0_10empty_typeEEEZZNS1_27merge_sort_block_merge_implIS3_PjPS5_jNS1_19radix_merge_compareILb0ELb0EjNS0_19identity_decomposerEEEEE10hipError_tT0_T1_T2_jT3_P12ihipStream_tbPNSt15iterator_traitsISE_E10value_typeEPNSK_ISF_E10value_typeEPSG_NS1_7vsmem_tEENKUlT_SE_SF_SG_E_clIS8_S8_S9_S9_EESD_ST_SE_SF_SG_EUlST_E_NS1_11comp_targetILNS1_3genE9ELNS1_11target_archE1100ELNS1_3gpuE3ELNS1_3repE0EEENS1_48merge_mergepath_partition_config_static_selectorELNS0_4arch9wavefront6targetE0EEEvSF_.has_indirect_call, 0
	.section	.AMDGPU.csdata,"",@progbits
; Kernel info:
; codeLenInByte = 0
; TotalNumSgprs: 0
; NumVgprs: 0
; ScratchSize: 0
; MemoryBound: 0
; FloatMode: 240
; IeeeMode: 1
; LDSByteSize: 0 bytes/workgroup (compile time only)
; SGPRBlocks: 0
; VGPRBlocks: 0
; NumSGPRsForWavesPerEU: 1
; NumVGPRsForWavesPerEU: 1
; NamedBarCnt: 0
; Occupancy: 16
; WaveLimiterHint : 0
; COMPUTE_PGM_RSRC2:SCRATCH_EN: 0
; COMPUTE_PGM_RSRC2:USER_SGPR: 2
; COMPUTE_PGM_RSRC2:TRAP_HANDLER: 0
; COMPUTE_PGM_RSRC2:TGID_X_EN: 1
; COMPUTE_PGM_RSRC2:TGID_Y_EN: 0
; COMPUTE_PGM_RSRC2:TGID_Z_EN: 0
; COMPUTE_PGM_RSRC2:TIDIG_COMP_CNT: 0
	.section	.text._ZN7rocprim17ROCPRIM_400000_NS6detail17trampoline_kernelINS0_14default_configENS1_38merge_sort_block_merge_config_selectorIjNS0_10empty_typeEEEZZNS1_27merge_sort_block_merge_implIS3_PjPS5_jNS1_19radix_merge_compareILb0ELb0EjNS0_19identity_decomposerEEEEE10hipError_tT0_T1_T2_jT3_P12ihipStream_tbPNSt15iterator_traitsISE_E10value_typeEPNSK_ISF_E10value_typeEPSG_NS1_7vsmem_tEENKUlT_SE_SF_SG_E_clIS8_S8_S9_S9_EESD_ST_SE_SF_SG_EUlST_E_NS1_11comp_targetILNS1_3genE8ELNS1_11target_archE1030ELNS1_3gpuE2ELNS1_3repE0EEENS1_48merge_mergepath_partition_config_static_selectorELNS0_4arch9wavefront6targetE0EEEvSF_,"axG",@progbits,_ZN7rocprim17ROCPRIM_400000_NS6detail17trampoline_kernelINS0_14default_configENS1_38merge_sort_block_merge_config_selectorIjNS0_10empty_typeEEEZZNS1_27merge_sort_block_merge_implIS3_PjPS5_jNS1_19radix_merge_compareILb0ELb0EjNS0_19identity_decomposerEEEEE10hipError_tT0_T1_T2_jT3_P12ihipStream_tbPNSt15iterator_traitsISE_E10value_typeEPNSK_ISF_E10value_typeEPSG_NS1_7vsmem_tEENKUlT_SE_SF_SG_E_clIS8_S8_S9_S9_EESD_ST_SE_SF_SG_EUlST_E_NS1_11comp_targetILNS1_3genE8ELNS1_11target_archE1030ELNS1_3gpuE2ELNS1_3repE0EEENS1_48merge_mergepath_partition_config_static_selectorELNS0_4arch9wavefront6targetE0EEEvSF_,comdat
	.protected	_ZN7rocprim17ROCPRIM_400000_NS6detail17trampoline_kernelINS0_14default_configENS1_38merge_sort_block_merge_config_selectorIjNS0_10empty_typeEEEZZNS1_27merge_sort_block_merge_implIS3_PjPS5_jNS1_19radix_merge_compareILb0ELb0EjNS0_19identity_decomposerEEEEE10hipError_tT0_T1_T2_jT3_P12ihipStream_tbPNSt15iterator_traitsISE_E10value_typeEPNSK_ISF_E10value_typeEPSG_NS1_7vsmem_tEENKUlT_SE_SF_SG_E_clIS8_S8_S9_S9_EESD_ST_SE_SF_SG_EUlST_E_NS1_11comp_targetILNS1_3genE8ELNS1_11target_archE1030ELNS1_3gpuE2ELNS1_3repE0EEENS1_48merge_mergepath_partition_config_static_selectorELNS0_4arch9wavefront6targetE0EEEvSF_ ; -- Begin function _ZN7rocprim17ROCPRIM_400000_NS6detail17trampoline_kernelINS0_14default_configENS1_38merge_sort_block_merge_config_selectorIjNS0_10empty_typeEEEZZNS1_27merge_sort_block_merge_implIS3_PjPS5_jNS1_19radix_merge_compareILb0ELb0EjNS0_19identity_decomposerEEEEE10hipError_tT0_T1_T2_jT3_P12ihipStream_tbPNSt15iterator_traitsISE_E10value_typeEPNSK_ISF_E10value_typeEPSG_NS1_7vsmem_tEENKUlT_SE_SF_SG_E_clIS8_S8_S9_S9_EESD_ST_SE_SF_SG_EUlST_E_NS1_11comp_targetILNS1_3genE8ELNS1_11target_archE1030ELNS1_3gpuE2ELNS1_3repE0EEENS1_48merge_mergepath_partition_config_static_selectorELNS0_4arch9wavefront6targetE0EEEvSF_
	.globl	_ZN7rocprim17ROCPRIM_400000_NS6detail17trampoline_kernelINS0_14default_configENS1_38merge_sort_block_merge_config_selectorIjNS0_10empty_typeEEEZZNS1_27merge_sort_block_merge_implIS3_PjPS5_jNS1_19radix_merge_compareILb0ELb0EjNS0_19identity_decomposerEEEEE10hipError_tT0_T1_T2_jT3_P12ihipStream_tbPNSt15iterator_traitsISE_E10value_typeEPNSK_ISF_E10value_typeEPSG_NS1_7vsmem_tEENKUlT_SE_SF_SG_E_clIS8_S8_S9_S9_EESD_ST_SE_SF_SG_EUlST_E_NS1_11comp_targetILNS1_3genE8ELNS1_11target_archE1030ELNS1_3gpuE2ELNS1_3repE0EEENS1_48merge_mergepath_partition_config_static_selectorELNS0_4arch9wavefront6targetE0EEEvSF_
	.p2align	8
	.type	_ZN7rocprim17ROCPRIM_400000_NS6detail17trampoline_kernelINS0_14default_configENS1_38merge_sort_block_merge_config_selectorIjNS0_10empty_typeEEEZZNS1_27merge_sort_block_merge_implIS3_PjPS5_jNS1_19radix_merge_compareILb0ELb0EjNS0_19identity_decomposerEEEEE10hipError_tT0_T1_T2_jT3_P12ihipStream_tbPNSt15iterator_traitsISE_E10value_typeEPNSK_ISF_E10value_typeEPSG_NS1_7vsmem_tEENKUlT_SE_SF_SG_E_clIS8_S8_S9_S9_EESD_ST_SE_SF_SG_EUlST_E_NS1_11comp_targetILNS1_3genE8ELNS1_11target_archE1030ELNS1_3gpuE2ELNS1_3repE0EEENS1_48merge_mergepath_partition_config_static_selectorELNS0_4arch9wavefront6targetE0EEEvSF_,@function
_ZN7rocprim17ROCPRIM_400000_NS6detail17trampoline_kernelINS0_14default_configENS1_38merge_sort_block_merge_config_selectorIjNS0_10empty_typeEEEZZNS1_27merge_sort_block_merge_implIS3_PjPS5_jNS1_19radix_merge_compareILb0ELb0EjNS0_19identity_decomposerEEEEE10hipError_tT0_T1_T2_jT3_P12ihipStream_tbPNSt15iterator_traitsISE_E10value_typeEPNSK_ISF_E10value_typeEPSG_NS1_7vsmem_tEENKUlT_SE_SF_SG_E_clIS8_S8_S9_S9_EESD_ST_SE_SF_SG_EUlST_E_NS1_11comp_targetILNS1_3genE8ELNS1_11target_archE1030ELNS1_3gpuE2ELNS1_3repE0EEENS1_48merge_mergepath_partition_config_static_selectorELNS0_4arch9wavefront6targetE0EEEvSF_: ; @_ZN7rocprim17ROCPRIM_400000_NS6detail17trampoline_kernelINS0_14default_configENS1_38merge_sort_block_merge_config_selectorIjNS0_10empty_typeEEEZZNS1_27merge_sort_block_merge_implIS3_PjPS5_jNS1_19radix_merge_compareILb0ELb0EjNS0_19identity_decomposerEEEEE10hipError_tT0_T1_T2_jT3_P12ihipStream_tbPNSt15iterator_traitsISE_E10value_typeEPNSK_ISF_E10value_typeEPSG_NS1_7vsmem_tEENKUlT_SE_SF_SG_E_clIS8_S8_S9_S9_EESD_ST_SE_SF_SG_EUlST_E_NS1_11comp_targetILNS1_3genE8ELNS1_11target_archE1030ELNS1_3gpuE2ELNS1_3repE0EEENS1_48merge_mergepath_partition_config_static_selectorELNS0_4arch9wavefront6targetE0EEEvSF_
; %bb.0:
	.section	.rodata,"a",@progbits
	.p2align	6, 0x0
	.amdhsa_kernel _ZN7rocprim17ROCPRIM_400000_NS6detail17trampoline_kernelINS0_14default_configENS1_38merge_sort_block_merge_config_selectorIjNS0_10empty_typeEEEZZNS1_27merge_sort_block_merge_implIS3_PjPS5_jNS1_19radix_merge_compareILb0ELb0EjNS0_19identity_decomposerEEEEE10hipError_tT0_T1_T2_jT3_P12ihipStream_tbPNSt15iterator_traitsISE_E10value_typeEPNSK_ISF_E10value_typeEPSG_NS1_7vsmem_tEENKUlT_SE_SF_SG_E_clIS8_S8_S9_S9_EESD_ST_SE_SF_SG_EUlST_E_NS1_11comp_targetILNS1_3genE8ELNS1_11target_archE1030ELNS1_3gpuE2ELNS1_3repE0EEENS1_48merge_mergepath_partition_config_static_selectorELNS0_4arch9wavefront6targetE0EEEvSF_
		.amdhsa_group_segment_fixed_size 0
		.amdhsa_private_segment_fixed_size 0
		.amdhsa_kernarg_size 40
		.amdhsa_user_sgpr_count 2
		.amdhsa_user_sgpr_dispatch_ptr 0
		.amdhsa_user_sgpr_queue_ptr 0
		.amdhsa_user_sgpr_kernarg_segment_ptr 1
		.amdhsa_user_sgpr_dispatch_id 0
		.amdhsa_user_sgpr_kernarg_preload_length 0
		.amdhsa_user_sgpr_kernarg_preload_offset 0
		.amdhsa_user_sgpr_private_segment_size 0
		.amdhsa_wavefront_size32 1
		.amdhsa_uses_dynamic_stack 0
		.amdhsa_enable_private_segment 0
		.amdhsa_system_sgpr_workgroup_id_x 1
		.amdhsa_system_sgpr_workgroup_id_y 0
		.amdhsa_system_sgpr_workgroup_id_z 0
		.amdhsa_system_sgpr_workgroup_info 0
		.amdhsa_system_vgpr_workitem_id 0
		.amdhsa_next_free_vgpr 1
		.amdhsa_next_free_sgpr 1
		.amdhsa_named_barrier_count 0
		.amdhsa_reserve_vcc 0
		.amdhsa_float_round_mode_32 0
		.amdhsa_float_round_mode_16_64 0
		.amdhsa_float_denorm_mode_32 3
		.amdhsa_float_denorm_mode_16_64 3
		.amdhsa_fp16_overflow 0
		.amdhsa_memory_ordered 1
		.amdhsa_forward_progress 1
		.amdhsa_inst_pref_size 0
		.amdhsa_round_robin_scheduling 0
		.amdhsa_exception_fp_ieee_invalid_op 0
		.amdhsa_exception_fp_denorm_src 0
		.amdhsa_exception_fp_ieee_div_zero 0
		.amdhsa_exception_fp_ieee_overflow 0
		.amdhsa_exception_fp_ieee_underflow 0
		.amdhsa_exception_fp_ieee_inexact 0
		.amdhsa_exception_int_div_zero 0
	.end_amdhsa_kernel
	.section	.text._ZN7rocprim17ROCPRIM_400000_NS6detail17trampoline_kernelINS0_14default_configENS1_38merge_sort_block_merge_config_selectorIjNS0_10empty_typeEEEZZNS1_27merge_sort_block_merge_implIS3_PjPS5_jNS1_19radix_merge_compareILb0ELb0EjNS0_19identity_decomposerEEEEE10hipError_tT0_T1_T2_jT3_P12ihipStream_tbPNSt15iterator_traitsISE_E10value_typeEPNSK_ISF_E10value_typeEPSG_NS1_7vsmem_tEENKUlT_SE_SF_SG_E_clIS8_S8_S9_S9_EESD_ST_SE_SF_SG_EUlST_E_NS1_11comp_targetILNS1_3genE8ELNS1_11target_archE1030ELNS1_3gpuE2ELNS1_3repE0EEENS1_48merge_mergepath_partition_config_static_selectorELNS0_4arch9wavefront6targetE0EEEvSF_,"axG",@progbits,_ZN7rocprim17ROCPRIM_400000_NS6detail17trampoline_kernelINS0_14default_configENS1_38merge_sort_block_merge_config_selectorIjNS0_10empty_typeEEEZZNS1_27merge_sort_block_merge_implIS3_PjPS5_jNS1_19radix_merge_compareILb0ELb0EjNS0_19identity_decomposerEEEEE10hipError_tT0_T1_T2_jT3_P12ihipStream_tbPNSt15iterator_traitsISE_E10value_typeEPNSK_ISF_E10value_typeEPSG_NS1_7vsmem_tEENKUlT_SE_SF_SG_E_clIS8_S8_S9_S9_EESD_ST_SE_SF_SG_EUlST_E_NS1_11comp_targetILNS1_3genE8ELNS1_11target_archE1030ELNS1_3gpuE2ELNS1_3repE0EEENS1_48merge_mergepath_partition_config_static_selectorELNS0_4arch9wavefront6targetE0EEEvSF_,comdat
.Lfunc_end2685:
	.size	_ZN7rocprim17ROCPRIM_400000_NS6detail17trampoline_kernelINS0_14default_configENS1_38merge_sort_block_merge_config_selectorIjNS0_10empty_typeEEEZZNS1_27merge_sort_block_merge_implIS3_PjPS5_jNS1_19radix_merge_compareILb0ELb0EjNS0_19identity_decomposerEEEEE10hipError_tT0_T1_T2_jT3_P12ihipStream_tbPNSt15iterator_traitsISE_E10value_typeEPNSK_ISF_E10value_typeEPSG_NS1_7vsmem_tEENKUlT_SE_SF_SG_E_clIS8_S8_S9_S9_EESD_ST_SE_SF_SG_EUlST_E_NS1_11comp_targetILNS1_3genE8ELNS1_11target_archE1030ELNS1_3gpuE2ELNS1_3repE0EEENS1_48merge_mergepath_partition_config_static_selectorELNS0_4arch9wavefront6targetE0EEEvSF_, .Lfunc_end2685-_ZN7rocprim17ROCPRIM_400000_NS6detail17trampoline_kernelINS0_14default_configENS1_38merge_sort_block_merge_config_selectorIjNS0_10empty_typeEEEZZNS1_27merge_sort_block_merge_implIS3_PjPS5_jNS1_19radix_merge_compareILb0ELb0EjNS0_19identity_decomposerEEEEE10hipError_tT0_T1_T2_jT3_P12ihipStream_tbPNSt15iterator_traitsISE_E10value_typeEPNSK_ISF_E10value_typeEPSG_NS1_7vsmem_tEENKUlT_SE_SF_SG_E_clIS8_S8_S9_S9_EESD_ST_SE_SF_SG_EUlST_E_NS1_11comp_targetILNS1_3genE8ELNS1_11target_archE1030ELNS1_3gpuE2ELNS1_3repE0EEENS1_48merge_mergepath_partition_config_static_selectorELNS0_4arch9wavefront6targetE0EEEvSF_
                                        ; -- End function
	.set _ZN7rocprim17ROCPRIM_400000_NS6detail17trampoline_kernelINS0_14default_configENS1_38merge_sort_block_merge_config_selectorIjNS0_10empty_typeEEEZZNS1_27merge_sort_block_merge_implIS3_PjPS5_jNS1_19radix_merge_compareILb0ELb0EjNS0_19identity_decomposerEEEEE10hipError_tT0_T1_T2_jT3_P12ihipStream_tbPNSt15iterator_traitsISE_E10value_typeEPNSK_ISF_E10value_typeEPSG_NS1_7vsmem_tEENKUlT_SE_SF_SG_E_clIS8_S8_S9_S9_EESD_ST_SE_SF_SG_EUlST_E_NS1_11comp_targetILNS1_3genE8ELNS1_11target_archE1030ELNS1_3gpuE2ELNS1_3repE0EEENS1_48merge_mergepath_partition_config_static_selectorELNS0_4arch9wavefront6targetE0EEEvSF_.num_vgpr, 0
	.set _ZN7rocprim17ROCPRIM_400000_NS6detail17trampoline_kernelINS0_14default_configENS1_38merge_sort_block_merge_config_selectorIjNS0_10empty_typeEEEZZNS1_27merge_sort_block_merge_implIS3_PjPS5_jNS1_19radix_merge_compareILb0ELb0EjNS0_19identity_decomposerEEEEE10hipError_tT0_T1_T2_jT3_P12ihipStream_tbPNSt15iterator_traitsISE_E10value_typeEPNSK_ISF_E10value_typeEPSG_NS1_7vsmem_tEENKUlT_SE_SF_SG_E_clIS8_S8_S9_S9_EESD_ST_SE_SF_SG_EUlST_E_NS1_11comp_targetILNS1_3genE8ELNS1_11target_archE1030ELNS1_3gpuE2ELNS1_3repE0EEENS1_48merge_mergepath_partition_config_static_selectorELNS0_4arch9wavefront6targetE0EEEvSF_.num_agpr, 0
	.set _ZN7rocprim17ROCPRIM_400000_NS6detail17trampoline_kernelINS0_14default_configENS1_38merge_sort_block_merge_config_selectorIjNS0_10empty_typeEEEZZNS1_27merge_sort_block_merge_implIS3_PjPS5_jNS1_19radix_merge_compareILb0ELb0EjNS0_19identity_decomposerEEEEE10hipError_tT0_T1_T2_jT3_P12ihipStream_tbPNSt15iterator_traitsISE_E10value_typeEPNSK_ISF_E10value_typeEPSG_NS1_7vsmem_tEENKUlT_SE_SF_SG_E_clIS8_S8_S9_S9_EESD_ST_SE_SF_SG_EUlST_E_NS1_11comp_targetILNS1_3genE8ELNS1_11target_archE1030ELNS1_3gpuE2ELNS1_3repE0EEENS1_48merge_mergepath_partition_config_static_selectorELNS0_4arch9wavefront6targetE0EEEvSF_.numbered_sgpr, 0
	.set _ZN7rocprim17ROCPRIM_400000_NS6detail17trampoline_kernelINS0_14default_configENS1_38merge_sort_block_merge_config_selectorIjNS0_10empty_typeEEEZZNS1_27merge_sort_block_merge_implIS3_PjPS5_jNS1_19radix_merge_compareILb0ELb0EjNS0_19identity_decomposerEEEEE10hipError_tT0_T1_T2_jT3_P12ihipStream_tbPNSt15iterator_traitsISE_E10value_typeEPNSK_ISF_E10value_typeEPSG_NS1_7vsmem_tEENKUlT_SE_SF_SG_E_clIS8_S8_S9_S9_EESD_ST_SE_SF_SG_EUlST_E_NS1_11comp_targetILNS1_3genE8ELNS1_11target_archE1030ELNS1_3gpuE2ELNS1_3repE0EEENS1_48merge_mergepath_partition_config_static_selectorELNS0_4arch9wavefront6targetE0EEEvSF_.num_named_barrier, 0
	.set _ZN7rocprim17ROCPRIM_400000_NS6detail17trampoline_kernelINS0_14default_configENS1_38merge_sort_block_merge_config_selectorIjNS0_10empty_typeEEEZZNS1_27merge_sort_block_merge_implIS3_PjPS5_jNS1_19radix_merge_compareILb0ELb0EjNS0_19identity_decomposerEEEEE10hipError_tT0_T1_T2_jT3_P12ihipStream_tbPNSt15iterator_traitsISE_E10value_typeEPNSK_ISF_E10value_typeEPSG_NS1_7vsmem_tEENKUlT_SE_SF_SG_E_clIS8_S8_S9_S9_EESD_ST_SE_SF_SG_EUlST_E_NS1_11comp_targetILNS1_3genE8ELNS1_11target_archE1030ELNS1_3gpuE2ELNS1_3repE0EEENS1_48merge_mergepath_partition_config_static_selectorELNS0_4arch9wavefront6targetE0EEEvSF_.private_seg_size, 0
	.set _ZN7rocprim17ROCPRIM_400000_NS6detail17trampoline_kernelINS0_14default_configENS1_38merge_sort_block_merge_config_selectorIjNS0_10empty_typeEEEZZNS1_27merge_sort_block_merge_implIS3_PjPS5_jNS1_19radix_merge_compareILb0ELb0EjNS0_19identity_decomposerEEEEE10hipError_tT0_T1_T2_jT3_P12ihipStream_tbPNSt15iterator_traitsISE_E10value_typeEPNSK_ISF_E10value_typeEPSG_NS1_7vsmem_tEENKUlT_SE_SF_SG_E_clIS8_S8_S9_S9_EESD_ST_SE_SF_SG_EUlST_E_NS1_11comp_targetILNS1_3genE8ELNS1_11target_archE1030ELNS1_3gpuE2ELNS1_3repE0EEENS1_48merge_mergepath_partition_config_static_selectorELNS0_4arch9wavefront6targetE0EEEvSF_.uses_vcc, 0
	.set _ZN7rocprim17ROCPRIM_400000_NS6detail17trampoline_kernelINS0_14default_configENS1_38merge_sort_block_merge_config_selectorIjNS0_10empty_typeEEEZZNS1_27merge_sort_block_merge_implIS3_PjPS5_jNS1_19radix_merge_compareILb0ELb0EjNS0_19identity_decomposerEEEEE10hipError_tT0_T1_T2_jT3_P12ihipStream_tbPNSt15iterator_traitsISE_E10value_typeEPNSK_ISF_E10value_typeEPSG_NS1_7vsmem_tEENKUlT_SE_SF_SG_E_clIS8_S8_S9_S9_EESD_ST_SE_SF_SG_EUlST_E_NS1_11comp_targetILNS1_3genE8ELNS1_11target_archE1030ELNS1_3gpuE2ELNS1_3repE0EEENS1_48merge_mergepath_partition_config_static_selectorELNS0_4arch9wavefront6targetE0EEEvSF_.uses_flat_scratch, 0
	.set _ZN7rocprim17ROCPRIM_400000_NS6detail17trampoline_kernelINS0_14default_configENS1_38merge_sort_block_merge_config_selectorIjNS0_10empty_typeEEEZZNS1_27merge_sort_block_merge_implIS3_PjPS5_jNS1_19radix_merge_compareILb0ELb0EjNS0_19identity_decomposerEEEEE10hipError_tT0_T1_T2_jT3_P12ihipStream_tbPNSt15iterator_traitsISE_E10value_typeEPNSK_ISF_E10value_typeEPSG_NS1_7vsmem_tEENKUlT_SE_SF_SG_E_clIS8_S8_S9_S9_EESD_ST_SE_SF_SG_EUlST_E_NS1_11comp_targetILNS1_3genE8ELNS1_11target_archE1030ELNS1_3gpuE2ELNS1_3repE0EEENS1_48merge_mergepath_partition_config_static_selectorELNS0_4arch9wavefront6targetE0EEEvSF_.has_dyn_sized_stack, 0
	.set _ZN7rocprim17ROCPRIM_400000_NS6detail17trampoline_kernelINS0_14default_configENS1_38merge_sort_block_merge_config_selectorIjNS0_10empty_typeEEEZZNS1_27merge_sort_block_merge_implIS3_PjPS5_jNS1_19radix_merge_compareILb0ELb0EjNS0_19identity_decomposerEEEEE10hipError_tT0_T1_T2_jT3_P12ihipStream_tbPNSt15iterator_traitsISE_E10value_typeEPNSK_ISF_E10value_typeEPSG_NS1_7vsmem_tEENKUlT_SE_SF_SG_E_clIS8_S8_S9_S9_EESD_ST_SE_SF_SG_EUlST_E_NS1_11comp_targetILNS1_3genE8ELNS1_11target_archE1030ELNS1_3gpuE2ELNS1_3repE0EEENS1_48merge_mergepath_partition_config_static_selectorELNS0_4arch9wavefront6targetE0EEEvSF_.has_recursion, 0
	.set _ZN7rocprim17ROCPRIM_400000_NS6detail17trampoline_kernelINS0_14default_configENS1_38merge_sort_block_merge_config_selectorIjNS0_10empty_typeEEEZZNS1_27merge_sort_block_merge_implIS3_PjPS5_jNS1_19radix_merge_compareILb0ELb0EjNS0_19identity_decomposerEEEEE10hipError_tT0_T1_T2_jT3_P12ihipStream_tbPNSt15iterator_traitsISE_E10value_typeEPNSK_ISF_E10value_typeEPSG_NS1_7vsmem_tEENKUlT_SE_SF_SG_E_clIS8_S8_S9_S9_EESD_ST_SE_SF_SG_EUlST_E_NS1_11comp_targetILNS1_3genE8ELNS1_11target_archE1030ELNS1_3gpuE2ELNS1_3repE0EEENS1_48merge_mergepath_partition_config_static_selectorELNS0_4arch9wavefront6targetE0EEEvSF_.has_indirect_call, 0
	.section	.AMDGPU.csdata,"",@progbits
; Kernel info:
; codeLenInByte = 0
; TotalNumSgprs: 0
; NumVgprs: 0
; ScratchSize: 0
; MemoryBound: 0
; FloatMode: 240
; IeeeMode: 1
; LDSByteSize: 0 bytes/workgroup (compile time only)
; SGPRBlocks: 0
; VGPRBlocks: 0
; NumSGPRsForWavesPerEU: 1
; NumVGPRsForWavesPerEU: 1
; NamedBarCnt: 0
; Occupancy: 16
; WaveLimiterHint : 0
; COMPUTE_PGM_RSRC2:SCRATCH_EN: 0
; COMPUTE_PGM_RSRC2:USER_SGPR: 2
; COMPUTE_PGM_RSRC2:TRAP_HANDLER: 0
; COMPUTE_PGM_RSRC2:TGID_X_EN: 1
; COMPUTE_PGM_RSRC2:TGID_Y_EN: 0
; COMPUTE_PGM_RSRC2:TGID_Z_EN: 0
; COMPUTE_PGM_RSRC2:TIDIG_COMP_CNT: 0
	.section	.text._ZN7rocprim17ROCPRIM_400000_NS6detail17trampoline_kernelINS0_14default_configENS1_38merge_sort_block_merge_config_selectorIjNS0_10empty_typeEEEZZNS1_27merge_sort_block_merge_implIS3_PjPS5_jNS1_19radix_merge_compareILb0ELb0EjNS0_19identity_decomposerEEEEE10hipError_tT0_T1_T2_jT3_P12ihipStream_tbPNSt15iterator_traitsISE_E10value_typeEPNSK_ISF_E10value_typeEPSG_NS1_7vsmem_tEENKUlT_SE_SF_SG_E_clIS8_S8_S9_S9_EESD_ST_SE_SF_SG_EUlST_E0_NS1_11comp_targetILNS1_3genE0ELNS1_11target_archE4294967295ELNS1_3gpuE0ELNS1_3repE0EEENS1_38merge_mergepath_config_static_selectorELNS0_4arch9wavefront6targetE0EEEvSF_,"axG",@progbits,_ZN7rocprim17ROCPRIM_400000_NS6detail17trampoline_kernelINS0_14default_configENS1_38merge_sort_block_merge_config_selectorIjNS0_10empty_typeEEEZZNS1_27merge_sort_block_merge_implIS3_PjPS5_jNS1_19radix_merge_compareILb0ELb0EjNS0_19identity_decomposerEEEEE10hipError_tT0_T1_T2_jT3_P12ihipStream_tbPNSt15iterator_traitsISE_E10value_typeEPNSK_ISF_E10value_typeEPSG_NS1_7vsmem_tEENKUlT_SE_SF_SG_E_clIS8_S8_S9_S9_EESD_ST_SE_SF_SG_EUlST_E0_NS1_11comp_targetILNS1_3genE0ELNS1_11target_archE4294967295ELNS1_3gpuE0ELNS1_3repE0EEENS1_38merge_mergepath_config_static_selectorELNS0_4arch9wavefront6targetE0EEEvSF_,comdat
	.protected	_ZN7rocprim17ROCPRIM_400000_NS6detail17trampoline_kernelINS0_14default_configENS1_38merge_sort_block_merge_config_selectorIjNS0_10empty_typeEEEZZNS1_27merge_sort_block_merge_implIS3_PjPS5_jNS1_19radix_merge_compareILb0ELb0EjNS0_19identity_decomposerEEEEE10hipError_tT0_T1_T2_jT3_P12ihipStream_tbPNSt15iterator_traitsISE_E10value_typeEPNSK_ISF_E10value_typeEPSG_NS1_7vsmem_tEENKUlT_SE_SF_SG_E_clIS8_S8_S9_S9_EESD_ST_SE_SF_SG_EUlST_E0_NS1_11comp_targetILNS1_3genE0ELNS1_11target_archE4294967295ELNS1_3gpuE0ELNS1_3repE0EEENS1_38merge_mergepath_config_static_selectorELNS0_4arch9wavefront6targetE0EEEvSF_ ; -- Begin function _ZN7rocprim17ROCPRIM_400000_NS6detail17trampoline_kernelINS0_14default_configENS1_38merge_sort_block_merge_config_selectorIjNS0_10empty_typeEEEZZNS1_27merge_sort_block_merge_implIS3_PjPS5_jNS1_19radix_merge_compareILb0ELb0EjNS0_19identity_decomposerEEEEE10hipError_tT0_T1_T2_jT3_P12ihipStream_tbPNSt15iterator_traitsISE_E10value_typeEPNSK_ISF_E10value_typeEPSG_NS1_7vsmem_tEENKUlT_SE_SF_SG_E_clIS8_S8_S9_S9_EESD_ST_SE_SF_SG_EUlST_E0_NS1_11comp_targetILNS1_3genE0ELNS1_11target_archE4294967295ELNS1_3gpuE0ELNS1_3repE0EEENS1_38merge_mergepath_config_static_selectorELNS0_4arch9wavefront6targetE0EEEvSF_
	.globl	_ZN7rocprim17ROCPRIM_400000_NS6detail17trampoline_kernelINS0_14default_configENS1_38merge_sort_block_merge_config_selectorIjNS0_10empty_typeEEEZZNS1_27merge_sort_block_merge_implIS3_PjPS5_jNS1_19radix_merge_compareILb0ELb0EjNS0_19identity_decomposerEEEEE10hipError_tT0_T1_T2_jT3_P12ihipStream_tbPNSt15iterator_traitsISE_E10value_typeEPNSK_ISF_E10value_typeEPSG_NS1_7vsmem_tEENKUlT_SE_SF_SG_E_clIS8_S8_S9_S9_EESD_ST_SE_SF_SG_EUlST_E0_NS1_11comp_targetILNS1_3genE0ELNS1_11target_archE4294967295ELNS1_3gpuE0ELNS1_3repE0EEENS1_38merge_mergepath_config_static_selectorELNS0_4arch9wavefront6targetE0EEEvSF_
	.p2align	8
	.type	_ZN7rocprim17ROCPRIM_400000_NS6detail17trampoline_kernelINS0_14default_configENS1_38merge_sort_block_merge_config_selectorIjNS0_10empty_typeEEEZZNS1_27merge_sort_block_merge_implIS3_PjPS5_jNS1_19radix_merge_compareILb0ELb0EjNS0_19identity_decomposerEEEEE10hipError_tT0_T1_T2_jT3_P12ihipStream_tbPNSt15iterator_traitsISE_E10value_typeEPNSK_ISF_E10value_typeEPSG_NS1_7vsmem_tEENKUlT_SE_SF_SG_E_clIS8_S8_S9_S9_EESD_ST_SE_SF_SG_EUlST_E0_NS1_11comp_targetILNS1_3genE0ELNS1_11target_archE4294967295ELNS1_3gpuE0ELNS1_3repE0EEENS1_38merge_mergepath_config_static_selectorELNS0_4arch9wavefront6targetE0EEEvSF_,@function
_ZN7rocprim17ROCPRIM_400000_NS6detail17trampoline_kernelINS0_14default_configENS1_38merge_sort_block_merge_config_selectorIjNS0_10empty_typeEEEZZNS1_27merge_sort_block_merge_implIS3_PjPS5_jNS1_19radix_merge_compareILb0ELb0EjNS0_19identity_decomposerEEEEE10hipError_tT0_T1_T2_jT3_P12ihipStream_tbPNSt15iterator_traitsISE_E10value_typeEPNSK_ISF_E10value_typeEPSG_NS1_7vsmem_tEENKUlT_SE_SF_SG_E_clIS8_S8_S9_S9_EESD_ST_SE_SF_SG_EUlST_E0_NS1_11comp_targetILNS1_3genE0ELNS1_11target_archE4294967295ELNS1_3gpuE0ELNS1_3repE0EEENS1_38merge_mergepath_config_static_selectorELNS0_4arch9wavefront6targetE0EEEvSF_: ; @_ZN7rocprim17ROCPRIM_400000_NS6detail17trampoline_kernelINS0_14default_configENS1_38merge_sort_block_merge_config_selectorIjNS0_10empty_typeEEEZZNS1_27merge_sort_block_merge_implIS3_PjPS5_jNS1_19radix_merge_compareILb0ELb0EjNS0_19identity_decomposerEEEEE10hipError_tT0_T1_T2_jT3_P12ihipStream_tbPNSt15iterator_traitsISE_E10value_typeEPNSK_ISF_E10value_typeEPSG_NS1_7vsmem_tEENKUlT_SE_SF_SG_E_clIS8_S8_S9_S9_EESD_ST_SE_SF_SG_EUlST_E0_NS1_11comp_targetILNS1_3genE0ELNS1_11target_archE4294967295ELNS1_3gpuE0ELNS1_3repE0EEENS1_38merge_mergepath_config_static_selectorELNS0_4arch9wavefront6targetE0EEEvSF_
; %bb.0:
	s_bfe_u32 s2, ttmp6, 0x40010
	s_and_b32 s4, ttmp7, 0xffff
	s_add_co_i32 s5, s2, 1
	s_clause 0x1
	s_load_b32 s6, s[0:1], 0x30
	s_load_b64 s[2:3], s[0:1], 0x40
	s_bfe_u32 s8, ttmp6, 0x4000c
	s_mul_i32 s5, s4, s5
	s_bfe_u32 s7, ttmp6, 0x40004
	s_add_co_i32 s8, s8, 1
	s_bfe_u32 s9, ttmp6, 0x40014
	s_add_co_i32 s7, s7, s5
	s_and_b32 s5, ttmp6, 15
	s_mul_i32 s8, ttmp9, s8
	s_lshr_b32 s10, ttmp7, 16
	s_add_co_i32 s9, s9, 1
	s_add_co_i32 s5, s5, s8
	s_mul_i32 s8, s10, s9
	s_bfe_u32 s9, ttmp6, 0x40008
	s_getreg_b32 s11, hwreg(HW_REG_IB_STS2, 6, 4)
	s_add_co_i32 s9, s9, s8
	s_cmp_eq_u32 s11, 0
	s_cselect_b32 s8, s10, s9
	s_cselect_b32 s4, s4, s7
	s_wait_kmcnt 0x0
	s_mul_i32 s8, s3, s8
	s_cselect_b32 s3, ttmp9, s5
	s_add_co_i32 s4, s8, s4
	s_mov_b32 s5, 0
	s_mul_i32 s4, s4, s2
	s_delay_alu instid0(SALU_CYCLE_1) | instskip(NEXT) | instid1(SALU_CYCLE_1)
	s_add_co_i32 s4, s4, s3
	s_cmp_ge_u32 s4, s6
	s_cbranch_scc1 .LBB2686_43
; %bb.1:
	v_mov_b32_e32 v11, 0
	s_add_nc_u64 s[6:7], s[0:1], 64
	v_lshlrev_b32_e32 v10, 2, v0
	global_load_b32 v1, v11, s[6:7] offset:14
	s_clause 0x2
	s_load_b64 s[8:9], s[0:1], 0x28
	s_load_b64 s[10:11], s[0:1], 0x38
	;; [unrolled: 1-line block ×3, first 2 shown]
	s_wait_kmcnt 0x0
	s_lshr_b32 s22, s8, 10
	s_delay_alu instid0(SALU_CYCLE_1) | instskip(SKIP_2) | instid1(SALU_CYCLE_1)
	s_cmp_lg_u32 s4, s22
	s_cselect_b32 s14, -1, 0
	s_lshl_b64 s[12:13], s[4:5], 2
	s_add_nc_u64 s[10:11], s[10:11], s[12:13]
	s_load_b64 s[12:13], s[10:11], 0x0
	s_wait_xcnt 0x0
	s_lshr_b32 s10, s9, 9
	s_delay_alu instid0(SALU_CYCLE_1) | instskip(NEXT) | instid1(SALU_CYCLE_1)
	s_and_b32 s10, s10, 0x7ffffe
	s_sub_co_i32 s11, 0, s10
	s_lshl_b32 s10, s4, 10
	s_and_b32 s15, s4, s11
	s_or_b32 s11, s4, s11
	s_lshl_b32 s18, s15, 11
	s_lshl_b32 s15, s15, 10
	s_add_co_i32 s18, s18, s9
	s_sub_co_i32 s19, s10, s15
	s_sub_co_i32 s15, s18, s15
	s_add_co_i32 s18, s18, s19
	s_min_u32 s20, s8, s15
	s_add_co_i32 s15, s15, s9
	s_wait_kmcnt 0x0
	s_sub_co_i32 s9, s18, s12
	s_sub_co_i32 s19, s18, s13
	s_min_u32 s18, s8, s9
	s_add_co_i32 s9, s19, 0x400
	s_cmp_eq_u32 s11, -1
	s_mov_b32 s19, s5
	s_cselect_b32 s9, s15, s9
	s_cselect_b32 s11, s20, s13
	s_mov_b32 s13, s5
	s_min_u32 s15, s9, s8
	s_lshl_b64 s[20:21], s[18:19], 2
	s_sub_co_i32 s9, s11, s12
	s_lshl_b64 s[12:13], s[12:13], 2
	s_sub_co_i32 s15, s15, s18
	s_cmp_lt_u32 s3, s2
	s_mov_b32 s3, s5
	s_cselect_b32 s2, 12, 18
	s_add_nc_u64 s[12:13], s[16:17], s[12:13]
	s_add_nc_u64 s[2:3], s[6:7], s[2:3]
	s_cmp_eq_u32 s4, s22
	s_load_u16 s2, s[2:3], 0x0
	s_add_nc_u64 s[6:7], s[16:17], s[20:21]
	s_wait_loadcnt 0x0
	v_lshrrev_b32_e32 v2, 16, v1
	v_and_b32_e32 v1, 0xffff, v1
	s_delay_alu instid0(VALU_DEP_1) | instskip(SKIP_1) | instid1(VALU_DEP_1)
	v_mul_lo_u32 v1, v1, v2
	s_wait_kmcnt 0x0
	v_mul_lo_u32 v1, v1, s2
	s_mov_b32 s2, -1
	s_delay_alu instid0(VALU_DEP_1) | instskip(NEXT) | instid1(VALU_DEP_1)
	v_add_nc_u32_e32 v14, v1, v0
	v_add_nc_u32_e32 v12, v14, v1
	s_cbranch_scc1 .LBB2686_3
; %bb.2:
	v_sub_co_u32 v4, vcc_lo, v0, s9
	v_dual_mov_b32 v5, v11 :: v_dual_mov_b32 v15, v11
	v_add_nc_u64_e32 v[2:3], s[12:13], v[10:11]
	v_sub_co_u32 v8, s2, v14, s9
	s_delay_alu instid0(VALU_DEP_3) | instskip(SKIP_3) | instid1(VALU_DEP_4)
	v_lshl_add_u64 v[4:5], v[4:5], 2, s[6:7]
	v_dual_mov_b32 v9, v11 :: v_dual_mov_b32 v13, v11
	v_lshl_add_u64 v[6:7], v[14:15], 2, s[12:13]
	v_dual_mov_b32 v17, v11 :: v_dual_add_nc_u32 v18, v12, v1
	v_dual_cndmask_b32 v3, v5, v3 :: v_dual_cndmask_b32 v2, v4, v2
	s_delay_alu instid0(VALU_DEP_4) | instskip(SKIP_3) | instid1(VALU_DEP_4)
	v_lshl_add_u64 v[4:5], v[8:9], 2, s[6:7]
	v_sub_co_u32 v16, vcc_lo, v12, s9
	v_mov_b32_e32 v19, v11
	v_lshl_add_u64 v[8:9], v[12:13], 2, s[12:13]
	v_dual_cndmask_b32 v5, v5, v7, s2 :: v_dual_cndmask_b32 v4, v4, v6, s2
	v_mov_b32_e32 v21, v11
	v_lshl_add_u64 v[6:7], v[16:17], 2, s[6:7]
	v_lshl_add_u64 v[16:17], v[18:19], 2, s[12:13]
	v_sub_co_u32 v20, s2, v18, s9
	v_dual_mov_b32 v23, v11 :: v_dual_add_nc_u32 v18, v18, v1
	global_load_b32 v2, v[2:3], off
	global_load_b32 v3, v[4:5], off
	s_wait_xcnt 0x0
	v_dual_cndmask_b32 v5, v7, v9 :: v_dual_cndmask_b32 v4, v6, v8
	v_lshl_add_u64 v[6:7], v[20:21], 2, s[6:7]
	v_lshl_add_u64 v[8:9], v[18:19], 2, s[12:13]
	v_sub_co_u32 v20, vcc_lo, v18, s9
	v_dual_mov_b32 v25, v11 :: v_dual_add_nc_u32 v18, v18, v1
	s_delay_alu instid0(VALU_DEP_4) | instskip(NEXT) | instid1(VALU_DEP_3)
	v_dual_cndmask_b32 v17, v7, v17, s2 :: v_dual_cndmask_b32 v16, v6, v16, s2
	v_lshl_add_u64 v[6:7], v[20:21], 2, s[6:7]
	s_delay_alu instid0(VALU_DEP_3) | instskip(SKIP_2) | instid1(VALU_DEP_4)
	v_lshl_add_u64 v[20:21], v[18:19], 2, s[12:13]
	v_add_nc_u32_e32 v22, v18, v1
	v_sub_co_u32 v18, s2, v18, s9
	v_dual_cndmask_b32 v31, v7, v9 :: v_dual_cndmask_b32 v30, v6, v8
	global_load_b32 v4, v[4:5], off
	v_lshl_add_u64 v[18:19], v[18:19], 2, s[6:7]
	s_add_co_i32 s11, s15, s9
	s_delay_alu instid0(VALU_DEP_1) | instskip(SKIP_3) | instid1(VALU_DEP_1)
	v_cndmask_b32_e64 v18, v18, v20, s2
	v_lshl_add_u64 v[26:27], v[22:23], 2, s[12:13]
	v_add_nc_u32_e32 v24, v22, v1
	v_sub_co_u32 v22, s3, v22, s9
	v_lshl_add_u64 v[22:23], v[22:23], 2, s[6:7]
	v_cndmask_b32_e64 v19, v19, v21, s2
	s_delay_alu instid0(VALU_DEP_2) | instskip(SKIP_3) | instid1(VALU_DEP_2)
	v_cndmask_b32_e64 v21, v23, v27, s3
	v_lshl_add_u64 v[28:29], v[24:25], 2, s[12:13]
	v_sub_co_u32 v24, s4, v24, s9
	v_cndmask_b32_e64 v20, v22, v26, s3
	v_lshl_add_u64 v[6:7], v[24:25], 2, s[6:7]
	s_delay_alu instid0(VALU_DEP_1)
	v_dual_cndmask_b32 v23, v7, v29, s4 :: v_dual_cndmask_b32 v22, v6, v28, s4
	global_load_b32 v5, v[16:17], off
	global_load_b32 v6, v[30:31], off
	;; [unrolled: 1-line block ×5, first 2 shown]
	s_cbranch_execz .LBB2686_4
	s_branch .LBB2686_19
.LBB2686_3:
                                        ; implicit-def: $vgpr2_vgpr3_vgpr4_vgpr5_vgpr6_vgpr7_vgpr8_vgpr9
                                        ; implicit-def: $sgpr11
	s_and_not1_b32 vcc_lo, exec_lo, s2
	s_cbranch_vccnz .LBB2686_19
.LBB2686_4:
	s_wait_loadcnt 0x7
	v_mov_b32_e32 v2, 0
	s_add_co_i32 s11, s15, s9
	s_mov_b32 s2, exec_lo
	s_wait_loadcnt 0x5
	s_delay_alu instid0(VALU_DEP_1)
	v_dual_mov_b32 v3, v2 :: v_dual_mov_b32 v4, v2
	s_wait_loadcnt 0x3
	v_dual_mov_b32 v5, v2 :: v_dual_mov_b32 v6, v2
	s_wait_loadcnt 0x1
	;; [unrolled: 2-line block ×3, first 2 shown]
	v_mov_b32_e32 v9, v2
	v_cmpx_gt_u32_e64 s11, v0
	s_cbranch_execnz .LBB2686_44
; %bb.5:
	s_or_b32 exec_lo, exec_lo, s2
	s_delay_alu instid0(SALU_CYCLE_1)
	s_mov_b32 s2, exec_lo
	v_cmpx_gt_u32_e64 s11, v14
	s_cbranch_execnz .LBB2686_45
.LBB2686_6:
	s_or_b32 exec_lo, exec_lo, s2
	s_delay_alu instid0(SALU_CYCLE_1)
	s_mov_b32 s2, exec_lo
	v_cmpx_gt_u32_e64 s11, v12
	s_cbranch_execz .LBB2686_8
.LBB2686_7:
	v_sub_co_u32 v16, vcc_lo, v12, s9
	v_mov_b32_e32 v13, 0
	s_delay_alu instid0(VALU_DEP_1) | instskip(SKIP_1) | instid1(VALU_DEP_1)
	v_lshl_add_u64 v[14:15], v[12:13], 2, s[12:13]
	v_mov_b32_e32 v17, v13
	v_lshl_add_u64 v[16:17], v[16:17], 2, s[6:7]
	s_delay_alu instid0(VALU_DEP_1)
	v_dual_cndmask_b32 v15, v17, v15 :: v_dual_cndmask_b32 v14, v16, v14
	global_load_b32 v4, v[14:15], off
.LBB2686_8:
	s_wait_xcnt 0x0
	s_or_b32 exec_lo, exec_lo, s2
	v_add_nc_u32_e32 v12, v12, v1
	s_mov_b32 s2, exec_lo
	s_delay_alu instid0(VALU_DEP_1)
	v_cmpx_gt_u32_e64 s11, v12
	s_cbranch_execz .LBB2686_10
; %bb.9:
	v_sub_co_u32 v16, vcc_lo, v12, s9
	v_mov_b32_e32 v13, 0
	s_delay_alu instid0(VALU_DEP_1) | instskip(SKIP_1) | instid1(VALU_DEP_1)
	v_lshl_add_u64 v[14:15], v[12:13], 2, s[12:13]
	v_mov_b32_e32 v17, v13
	v_lshl_add_u64 v[16:17], v[16:17], 2, s[6:7]
	s_delay_alu instid0(VALU_DEP_1)
	v_dual_cndmask_b32 v15, v17, v15 :: v_dual_cndmask_b32 v14, v16, v14
	global_load_b32 v5, v[14:15], off
.LBB2686_10:
	s_wait_xcnt 0x0
	s_or_b32 exec_lo, exec_lo, s2
	v_add_nc_u32_e32 v12, v12, v1
	s_mov_b32 s2, exec_lo
	s_delay_alu instid0(VALU_DEP_1)
	v_cmpx_gt_u32_e64 s11, v12
	s_cbranch_execz .LBB2686_12
; %bb.11:
	v_sub_co_u32 v16, vcc_lo, v12, s9
	v_mov_b32_e32 v13, 0
	s_delay_alu instid0(VALU_DEP_1) | instskip(SKIP_1) | instid1(VALU_DEP_1)
	v_lshl_add_u64 v[14:15], v[12:13], 2, s[12:13]
	v_mov_b32_e32 v17, v13
	v_lshl_add_u64 v[16:17], v[16:17], 2, s[6:7]
	s_delay_alu instid0(VALU_DEP_1)
	v_dual_cndmask_b32 v15, v17, v15 :: v_dual_cndmask_b32 v14, v16, v14
	global_load_b32 v6, v[14:15], off
.LBB2686_12:
	;; [unrolled: 18-line block ×4, first 2 shown]
	s_wait_xcnt 0x0
	s_or_b32 exec_lo, exec_lo, s2
	v_add_nc_u32_e32 v12, v12, v1
	s_mov_b32 s2, exec_lo
	s_delay_alu instid0(VALU_DEP_1)
	v_cmpx_gt_u32_e64 s11, v12
	s_cbranch_execz .LBB2686_18
; %bb.17:
	v_mov_b32_e32 v13, 0
	s_delay_alu instid0(VALU_DEP_1) | instskip(SKIP_1) | instid1(VALU_DEP_1)
	v_lshl_add_u64 v[14:15], v[12:13], 2, s[12:13]
	v_sub_co_u32 v12, vcc_lo, v12, s9
	v_lshl_add_u64 v[12:13], v[12:13], 2, s[6:7]
	s_delay_alu instid0(VALU_DEP_1)
	v_dual_cndmask_b32 v13, v13, v15 :: v_dual_cndmask_b32 v12, v12, v14
	global_load_b32 v9, v[12:13], off
.LBB2686_18:
	s_wait_xcnt 0x0
	s_or_b32 exec_lo, exec_lo, s2
.LBB2686_19:
	s_load_b64 s[12:13], s[0:1], 0x10
	v_lshlrev_b32_e32 v1, 3, v0
	s_wait_xcnt 0x0
	s_mov_b32 s0, exec_lo
	s_wait_loadcnt 0x0
	ds_store_2addr_stride64_b32 v10, v2, v3 offset1:2
	ds_store_2addr_stride64_b32 v10, v4, v5 offset0:4 offset1:6
	ds_store_2addr_stride64_b32 v10, v6, v7 offset0:8 offset1:10
	;; [unrolled: 1-line block ×3, first 2 shown]
	s_wait_dscnt 0x0
	s_barrier_signal -1
	v_min_u32_e32 v12, s11, v1
	s_barrier_wait -1
	s_delay_alu instid0(VALU_DEP_1) | instskip(SKIP_1) | instid1(VALU_DEP_1)
	v_sub_nc_u32_e64 v11, v12, s15 clamp
	v_min_u32_e32 v13, s9, v12
	v_cmpx_lt_u32_e64 v11, v13
	s_cbranch_execz .LBB2686_23
; %bb.20:
	v_lshlrev_b32_e32 v14, 2, v12
	s_mov_b32 s1, 0
	s_delay_alu instid0(VALU_DEP_1)
	v_lshl_add_u32 v14, s9, 2, v14
.LBB2686_21:                            ; =>This Inner Loop Header: Depth=1
	v_add_nc_u32_e32 v15, v13, v11
	s_delay_alu instid0(VALU_DEP_1) | instskip(NEXT) | instid1(VALU_DEP_1)
	v_lshrrev_b32_e32 v15, 1, v15
	v_not_b32_e32 v16, v15
	v_dual_lshlrev_b32 v17, 2, v15 :: v_dual_add_nc_u32 v18, 1, v15
	s_delay_alu instid0(VALU_DEP_2)
	v_lshl_add_u32 v16, v16, 2, v14
	ds_load_b32 v17, v17
	ds_load_b32 v16, v16
	s_wait_dscnt 0x0
	v_cmp_gt_u32_e32 vcc_lo, v17, v16
	v_cndmask_b32_e32 v13, v13, v15, vcc_lo
	v_cndmask_b32_e32 v11, v18, v11, vcc_lo
	s_delay_alu instid0(VALU_DEP_1) | instskip(SKIP_1) | instid1(SALU_CYCLE_1)
	v_cmp_ge_u32_e32 vcc_lo, v11, v13
	s_or_b32 s1, vcc_lo, s1
	s_and_not1_b32 exec_lo, exec_lo, s1
	s_cbranch_execnz .LBB2686_21
; %bb.22:
	s_or_b32 exec_lo, exec_lo, s1
.LBB2686_23:
	s_delay_alu instid0(SALU_CYCLE_1) | instskip(SKIP_2) | instid1(VALU_DEP_2)
	s_or_b32 exec_lo, exec_lo, s0
	v_sub_nc_u32_e32 v12, v12, v11
	v_cmp_ge_u32_e32 vcc_lo, s9, v11
	v_add_nc_u32_e32 v12, s9, v12
	s_delay_alu instid0(VALU_DEP_1) | instskip(SKIP_1) | instid1(SALU_CYCLE_1)
	v_cmp_ge_u32_e64 s0, s11, v12
	s_or_b32 s0, vcc_lo, s0
	s_and_saveexec_b32 s15, s0
	s_cbranch_execz .LBB2686_29
; %bb.24:
	v_cmp_gt_u32_e32 vcc_lo, s9, v11
                                        ; implicit-def: $vgpr2
	s_and_saveexec_b32 s0, vcc_lo
; %bb.25:
	v_lshlrev_b32_e32 v2, 2, v11
	ds_load_b32 v2, v2
; %bb.26:
	s_or_b32 exec_lo, exec_lo, s0
	v_cmp_le_u32_e64 s0, s11, v12
	s_mov_b32 s2, exec_lo
                                        ; implicit-def: $vgpr3
	v_cmpx_gt_u32_e64 s11, v12
; %bb.27:
	v_lshlrev_b32_e32 v3, 2, v12
	ds_load_b32 v3, v3
; %bb.28:
	s_or_b32 exec_lo, exec_lo, s2
	s_wait_dscnt 0x0
	v_cmp_le_u32_e64 s1, v2, v3
	s_and_b32 s1, vcc_lo, s1
	s_delay_alu instid0(SALU_CYCLE_1) | instskip(SKIP_1) | instid1(VALU_DEP_1)
	s_or_b32 vcc_lo, s0, s1
	v_dual_mov_b32 v4, s9 :: v_dual_cndmask_b32 v5, v12, v11
	v_dual_cndmask_b32 v6, s11, v4 :: v_dual_add_nc_u32 v5, 1, v5
	s_delay_alu instid0(VALU_DEP_1) | instskip(SKIP_1) | instid1(VALU_DEP_2)
	v_add_min_u32_e64 v6, v6, -1, v5
	v_dual_cndmask_b32 v7, v11, v5, vcc_lo :: v_dual_cndmask_b32 v5, v5, v12, vcc_lo
	v_lshlrev_b32_e32 v6, 2, v6
	s_delay_alu instid0(VALU_DEP_2) | instskip(NEXT) | instid1(VALU_DEP_3)
	v_cmp_gt_u32_e64 s0, s9, v7
	v_cmp_le_u32_e64 s2, s11, v5
	ds_load_b32 v6, v6
	s_wait_dscnt 0x0
	v_cndmask_b32_e32 v8, v6, v3, vcc_lo
	v_cndmask_b32_e32 v6, v2, v6, vcc_lo
	;; [unrolled: 1-line block ×3, first 2 shown]
	s_delay_alu instid0(VALU_DEP_2) | instskip(SKIP_1) | instid1(SALU_CYCLE_1)
	v_cmp_le_u32_e64 s1, v6, v8
	s_and_b32 s0, s0, s1
	s_or_b32 s0, s2, s0
	s_delay_alu instid0(SALU_CYCLE_1) | instskip(SKIP_1) | instid1(VALU_DEP_2)
	v_cndmask_b32_e64 v9, v5, v7, s0
	v_cndmask_b32_e64 v11, s11, v4, s0
	v_dual_cndmask_b32 v3, v8, v6, s0 :: v_dual_add_nc_u32 v9, 1, v9
	s_delay_alu instid0(VALU_DEP_1) | instskip(SKIP_1) | instid1(VALU_DEP_2)
	v_add_min_u32_e64 v11, v11, -1, v9
	v_cndmask_b32_e64 v7, v7, v9, s0
	v_dual_cndmask_b32 v5, v9, v5, s0 :: v_dual_lshlrev_b32 v11, 2, v11
	s_delay_alu instid0(VALU_DEP_2) | instskip(NEXT) | instid1(VALU_DEP_2)
	v_cmp_gt_u32_e64 s1, s9, v7
	v_cmp_le_u32_e64 s3, s11, v5
	ds_load_b32 v11, v11
	s_wait_dscnt 0x0
	v_dual_cndmask_b32 v12, v11, v8, s0 :: v_dual_cndmask_b32 v11, v6, v11, s0
	s_delay_alu instid0(VALU_DEP_1) | instskip(SKIP_1) | instid1(SALU_CYCLE_1)
	v_cmp_le_u32_e64 s2, v11, v12
	s_and_b32 s1, s1, s2
	s_or_b32 s1, s3, s1
	s_delay_alu instid0(SALU_CYCLE_1) | instskip(NEXT) | instid1(VALU_DEP_1)
	v_cndmask_b32_e64 v9, v5, v7, s1
	v_dual_cndmask_b32 v13, s11, v4, s1 :: v_dual_add_nc_u32 v9, 1, v9
	s_delay_alu instid0(VALU_DEP_1) | instskip(NEXT) | instid1(VALU_DEP_1)
	v_add_min_u32_e64 v13, v13, -1, v9
	v_lshlrev_b32_e32 v13, 2, v13
	ds_load_b32 v13, v13
	s_wait_dscnt 0x0
	v_dual_cndmask_b32 v7, v7, v9, s1 :: v_dual_cndmask_b32 v14, v13, v12, s1
	v_cndmask_b32_e64 v5, v9, v5, s1
	v_cndmask_b32_e64 v13, v11, v13, s1
	s_delay_alu instid0(VALU_DEP_3) | instskip(NEXT) | instid1(VALU_DEP_3)
	v_cmp_gt_u32_e64 s2, s9, v7
	v_cmp_le_u32_e64 s4, s11, v5
	s_delay_alu instid0(VALU_DEP_3) | instskip(SKIP_1) | instid1(SALU_CYCLE_1)
	v_cmp_le_u32_e64 s3, v13, v14
	s_and_b32 s2, s2, s3
	s_or_b32 s2, s4, s2
	s_delay_alu instid0(SALU_CYCLE_1) | instskip(NEXT) | instid1(VALU_DEP_1)
	v_cndmask_b32_e64 v9, v5, v7, s2
	v_dual_cndmask_b32 v15, s11, v4, s2 :: v_dual_add_nc_u32 v9, 1, v9
	s_delay_alu instid0(VALU_DEP_1) | instskip(NEXT) | instid1(VALU_DEP_1)
	v_add_min_u32_e64 v15, v15, -1, v9
	v_lshlrev_b32_e32 v15, 2, v15
	ds_load_b32 v15, v15
	v_cndmask_b32_e64 v7, v7, v9, s2
	s_wait_dscnt 0x0
	v_dual_cndmask_b32 v16, v15, v14, s2 :: v_dual_cndmask_b32 v15, v13, v15, s2
	v_cndmask_b32_e64 v5, v9, v5, s2
	s_delay_alu instid0(VALU_DEP_3) | instskip(NEXT) | instid1(VALU_DEP_3)
	v_cmp_gt_u32_e64 s3, s9, v7
	v_cmp_le_u32_e64 s4, v15, v16
	s_delay_alu instid0(VALU_DEP_3) | instskip(SKIP_1) | instid1(SALU_CYCLE_1)
	v_cmp_le_u32_e64 s5, s11, v5
	s_and_b32 s3, s3, s4
	s_or_b32 s3, s5, s3
	s_delay_alu instid0(SALU_CYCLE_1) | instskip(NEXT) | instid1(VALU_DEP_1)
	v_cndmask_b32_e64 v9, v5, v7, s3
	v_dual_cndmask_b32 v17, s11, v4, s3 :: v_dual_add_nc_u32 v9, 1, v9
	s_delay_alu instid0(VALU_DEP_1) | instskip(NEXT) | instid1(VALU_DEP_1)
	v_add_min_u32_e64 v17, v17, -1, v9
	v_lshlrev_b32_e32 v17, 2, v17
	ds_load_b32 v17, v17
	s_wait_dscnt 0x0
	v_dual_cndmask_b32 v7, v7, v9, s3 :: v_dual_cndmask_b32 v18, v17, v16, s3
	v_cndmask_b32_e64 v5, v9, v5, s3
	v_cndmask_b32_e64 v17, v15, v17, s3
	s_delay_alu instid0(VALU_DEP_3) | instskip(NEXT) | instid1(VALU_DEP_3)
	v_cmp_gt_u32_e64 s4, s9, v7
	v_cmp_le_u32_e64 s6, s11, v5
	s_delay_alu instid0(VALU_DEP_3) | instskip(SKIP_1) | instid1(SALU_CYCLE_1)
	v_cmp_le_u32_e64 s5, v17, v18
	s_and_b32 s4, s4, s5
	s_or_b32 s4, s6, s4
	s_delay_alu instid0(SALU_CYCLE_1) | instskip(NEXT) | instid1(VALU_DEP_1)
	v_cndmask_b32_e64 v9, v5, v7, s4
	v_dual_cndmask_b32 v19, s11, v4, s4 :: v_dual_add_nc_u32 v9, 1, v9
	s_delay_alu instid0(VALU_DEP_1) | instskip(NEXT) | instid1(VALU_DEP_1)
	v_add_min_u32_e64 v19, v19, -1, v9
	v_lshlrev_b32_e32 v19, 2, v19
	ds_load_b32 v19, v19
	v_cndmask_b32_e64 v7, v7, v9, s4
	s_wait_dscnt 0x0
	v_dual_cndmask_b32 v20, v19, v18, s4 :: v_dual_cndmask_b32 v19, v17, v19, s4
	v_cndmask_b32_e64 v5, v9, v5, s4
	s_delay_alu instid0(VALU_DEP_3) | instskip(NEXT) | instid1(VALU_DEP_3)
	v_cmp_gt_u32_e64 s5, s9, v7
	v_cmp_le_u32_e64 s6, v19, v20
	s_delay_alu instid0(VALU_DEP_3) | instskip(SKIP_1) | instid1(SALU_CYCLE_1)
	v_cmp_le_u32_e64 s7, s11, v5
	s_and_b32 s5, s5, s6
	s_or_b32 s5, s7, s5
	s_delay_alu instid0(SALU_CYCLE_1) | instskip(SKIP_1) | instid1(VALU_DEP_2)
	v_cndmask_b32_e64 v9, v5, v7, s5
	v_cndmask_b32_e64 v4, s11, v4, s5
	v_dual_cndmask_b32 v8, v20, v19, s5 :: v_dual_add_nc_u32 v9, 1, v9
	s_delay_alu instid0(VALU_DEP_1) | instskip(NEXT) | instid1(VALU_DEP_1)
	v_add_min_u32_e64 v4, v4, -1, v9
	v_dual_lshlrev_b32 v4, 2, v4 :: v_dual_cndmask_b32 v6, v9, v5, s5
	v_cndmask_b32_e64 v5, v14, v13, s2
	ds_load_b32 v4, v4
	s_wait_dscnt 0x0
	v_dual_cndmask_b32 v7, v7, v9, s5 :: v_dual_cndmask_b32 v21, v4, v20, s5
	v_cndmask_b32_e64 v22, v19, v4, s5
	s_delay_alu instid0(VALU_DEP_2)
	v_cmp_gt_u32_e32 vcc_lo, s9, v7
	v_cndmask_b32_e64 v4, v12, v11, s1
	v_cmp_le_u32_e64 s1, s11, v6
	v_cndmask_b32_e64 v6, v16, v15, s3
	v_cmp_le_u32_e64 s0, v22, v21
	v_cndmask_b32_e64 v7, v18, v17, s4
	s_and_b32 s0, vcc_lo, s0
	s_delay_alu instid0(SALU_CYCLE_1)
	s_or_b32 vcc_lo, s1, s0
	v_cndmask_b32_e32 v9, v21, v22, vcc_lo
.LBB2686_29:
	s_or_b32 exec_lo, exec_lo, s15
	v_or_b32_e32 v14, 0x80, v0
	v_or_b32_e32 v12, 0x100, v0
	v_and_b32_e32 v11, 0x7c, v0
	v_lshrrev_b32_e32 v13, 3, v0
	s_delay_alu instid0(VALU_DEP_3) | instskip(NEXT) | instid1(VALU_DEP_3)
	v_dual_lshrrev_b32 v15, 3, v14 :: v_dual_lshrrev_b32 v16, 3, v12
	v_lshl_add_u32 v1, v1, 2, v11
	s_delay_alu instid0(VALU_DEP_3)
	v_and_b32_e32 v11, 12, v13
	v_or_b32_e32 v13, 0x180, v0
	s_barrier_signal -1
	s_barrier_wait -1
	s_barrier_signal -1
	s_barrier_wait -1
	v_and_b32_e32 v15, 28, v15
	ds_store_2addr_b32 v1, v2, v3 offset1:1
	ds_store_2addr_b32 v1, v4, v5 offset0:2 offset1:3
	ds_store_2addr_b32 v1, v6, v7 offset0:4 offset1:5
	;; [unrolled: 1-line block ×3, first 2 shown]
	v_dual_add_nc_u32 v8, v11, v10 :: v_dual_bitop2_b32 v16, 44, v16 bitop3:0x40
	v_lshrrev_b32_e32 v1, 3, v13
	v_or_b32_e32 v6, 0x200, v0
	v_or_b32_e32 v5, 0x280, v0
	;; [unrolled: 1-line block ×3, first 2 shown]
	v_dual_add_nc_u32 v9, v15, v10 :: v_dual_add_nc_u32 v15, v16, v10
	s_delay_alu instid0(VALU_DEP_4) | instskip(SKIP_1) | instid1(VALU_DEP_4)
	v_dual_lshrrev_b32 v3, 3, v6 :: v_dual_bitop2_b32 v2, 60, v1 bitop3:0x40
	v_or_b32_e32 v1, 0x380, v0
	v_dual_lshrrev_b32 v7, 3, v5 :: v_dual_lshrrev_b32 v11, 3, v4
	s_delay_alu instid0(VALU_DEP_3) | instskip(SKIP_1) | instid1(VALU_DEP_3)
	v_add_nc_u32_e32 v16, v2, v10
	s_mov_b32 s11, 0
	v_lshrrev_b32_e32 v2, 3, v1
	v_and_b32_e32 v3, 0x4c, v3
	v_and_b32_e32 v19, 0x6c, v11
	v_mov_b32_e32 v11, 0
	s_lshl_b64 s[0:1], s[10:11], 2
	v_and_b32_e32 v7, 0x5c, v7
	v_and_b32_e32 v20, 0x7c, v2
	s_wait_kmcnt 0x0
	s_add_nc_u64 s[0:1], s[12:13], s[0:1]
	v_add_nc_u32_e32 v17, v3, v10
	v_add_nc_u64_e32 v[2:3], s[0:1], v[10:11]
	v_add_nc_u32_e32 v18, v7, v10
	v_dual_add_nc_u32 v19, v19, v10 :: v_dual_add_nc_u32 v10, v20, v10
	s_and_b32 vcc_lo, exec_lo, s14
	s_wait_dscnt 0x0
	s_cbranch_vccz .LBB2686_31
; %bb.30:
	s_barrier_signal -1
	s_barrier_wait -1
	ds_load_b32 v11, v8
	ds_load_b32 v20, v9 offset:512
	ds_load_b32 v21, v15 offset:1024
	;; [unrolled: 1-line block ×7, first 2 shown]
	s_mov_b32 s11, -1
	s_wait_dscnt 0x7
	global_store_b32 v[2:3], v11, off
	s_wait_dscnt 0x6
	global_store_b32 v[2:3], v20, off offset:512
	s_wait_dscnt 0x5
	global_store_b32 v[2:3], v21, off offset:1024
	;; [unrolled: 2-line block ×6, first 2 shown]
	s_cbranch_execz .LBB2686_32
	s_branch .LBB2686_41
.LBB2686_31:
                                        ; implicit-def: $vgpr7
.LBB2686_32:
	s_barrier_signal -1
	s_barrier_wait -1
	s_wait_storecnt_dscnt 0x0
	s_wait_xcnt 0x4
	ds_load_b32 v21, v9 offset:512
	ds_load_b32 v20, v15 offset:1024
	;; [unrolled: 1-line block ×7, first 2 shown]
	s_sub_co_i32 s0, s8, s10
	s_mov_b32 s1, exec_lo
	s_wait_xcnt 0x0
	v_cmpx_gt_u32_e64 s0, v0
	s_cbranch_execnz .LBB2686_46
; %bb.33:
	s_or_b32 exec_lo, exec_lo, s1
	s_delay_alu instid0(SALU_CYCLE_1)
	s_mov_b32 s1, exec_lo
	v_cmpx_gt_u32_e64 s0, v14
	s_cbranch_execnz .LBB2686_47
.LBB2686_34:
	s_or_b32 exec_lo, exec_lo, s1
	s_delay_alu instid0(SALU_CYCLE_1)
	s_mov_b32 s1, exec_lo
	v_cmpx_gt_u32_e64 s0, v12
	s_cbranch_execnz .LBB2686_48
.LBB2686_35:
	s_or_b32 exec_lo, exec_lo, s1
	s_delay_alu instid0(SALU_CYCLE_1)
	s_mov_b32 s1, exec_lo
	v_cmpx_gt_u32_e64 s0, v13
	s_cbranch_execnz .LBB2686_49
.LBB2686_36:
	s_or_b32 exec_lo, exec_lo, s1
	s_delay_alu instid0(SALU_CYCLE_1)
	s_mov_b32 s1, exec_lo
	v_cmpx_gt_u32_e64 s0, v6
	s_cbranch_execnz .LBB2686_50
.LBB2686_37:
	s_or_b32 exec_lo, exec_lo, s1
	s_delay_alu instid0(SALU_CYCLE_1)
	s_mov_b32 s1, exec_lo
	v_cmpx_gt_u32_e64 s0, v5
	s_cbranch_execnz .LBB2686_51
.LBB2686_38:
	s_or_b32 exec_lo, exec_lo, s1
	s_delay_alu instid0(SALU_CYCLE_1)
	s_mov_b32 s1, exec_lo
	v_cmpx_gt_u32_e64 s0, v4
	s_cbranch_execz .LBB2686_40
.LBB2686_39:
	s_wait_dscnt 0x1
	global_store_b32 v[2:3], v9, off offset:3072
.LBB2686_40:
	s_wait_xcnt 0x0
	s_or_b32 exec_lo, exec_lo, s1
	v_cmp_gt_u32_e64 s11, s0, v1
.LBB2686_41:
	s_wait_xcnt 0x0
	s_delay_alu instid0(VALU_DEP_1)
	s_and_saveexec_b32 s0, s11
	s_cbranch_execz .LBB2686_43
; %bb.42:
	s_wait_dscnt 0x0
	global_store_b32 v[2:3], v7, off offset:3584
.LBB2686_43:
	s_endpgm
.LBB2686_44:
	v_dual_mov_b32 v11, v2 :: v_dual_mov_b32 v5, v2
	v_sub_co_u32 v4, vcc_lo, v0, s9
	v_dual_mov_b32 v17, v2 :: v_dual_mov_b32 v18, v2
	s_delay_alu instid0(VALU_DEP_3) | instskip(NEXT) | instid1(VALU_DEP_3)
	v_add_nc_u64_e32 v[6:7], s[12:13], v[10:11]
	v_lshl_add_u64 v[4:5], v[4:5], 2, s[6:7]
	v_dual_mov_b32 v19, v2 :: v_dual_mov_b32 v20, v2
	v_dual_mov_b32 v21, v2 :: v_dual_mov_b32 v22, v2
	s_delay_alu instid0(VALU_DEP_3) | instskip(NEXT) | instid1(VALU_DEP_4)
	v_dual_mov_b32 v23, v2 :: v_dual_cndmask_b32 v5, v5, v7, vcc_lo
	v_cndmask_b32_e32 v4, v4, v6, vcc_lo
	global_load_b32 v16, v[4:5], off
	s_wait_loadcnt 0x0
	v_mov_b64_e32 v[2:3], v[16:17]
	v_mov_b64_e32 v[4:5], v[18:19]
	;; [unrolled: 1-line block ×4, first 2 shown]
	s_or_b32 exec_lo, exec_lo, s2
	s_delay_alu instid0(SALU_CYCLE_1)
	s_mov_b32 s2, exec_lo
	v_cmpx_gt_u32_e64 s11, v14
	s_cbranch_execz .LBB2686_6
.LBB2686_45:
	v_mov_b32_e32 v15, 0
	s_delay_alu instid0(VALU_DEP_1) | instskip(SKIP_1) | instid1(VALU_DEP_1)
	v_lshl_add_u64 v[16:17], v[14:15], 2, s[12:13]
	v_sub_co_u32 v14, vcc_lo, v14, s9
	v_lshl_add_u64 v[14:15], v[14:15], 2, s[6:7]
	s_delay_alu instid0(VALU_DEP_1) | instskip(SKIP_3) | instid1(SALU_CYCLE_1)
	v_dual_cndmask_b32 v15, v15, v17 :: v_dual_cndmask_b32 v14, v14, v16
	global_load_b32 v3, v[14:15], off
	s_wait_xcnt 0x0
	s_or_b32 exec_lo, exec_lo, s2
	s_mov_b32 s2, exec_lo
	v_cmpx_gt_u32_e64 s11, v12
	s_cbranch_execnz .LBB2686_7
	s_branch .LBB2686_8
.LBB2686_46:
	ds_load_b32 v0, v8
	s_wait_dscnt 0x0
	global_store_b32 v[2:3], v0, off
	s_wait_xcnt 0x0
	s_or_b32 exec_lo, exec_lo, s1
	s_delay_alu instid0(SALU_CYCLE_1)
	s_mov_b32 s1, exec_lo
	v_cmpx_gt_u32_e64 s0, v14
	s_cbranch_execz .LBB2686_34
.LBB2686_47:
	s_wait_dscnt 0x6
	global_store_b32 v[2:3], v21, off offset:512
	s_wait_xcnt 0x0
	s_or_b32 exec_lo, exec_lo, s1
	s_delay_alu instid0(SALU_CYCLE_1)
	s_mov_b32 s1, exec_lo
	v_cmpx_gt_u32_e64 s0, v12
	s_cbranch_execz .LBB2686_35
.LBB2686_48:
	s_wait_dscnt 0x5
	global_store_b32 v[2:3], v20, off offset:1024
	s_wait_xcnt 0x0
	s_or_b32 exec_lo, exec_lo, s1
	s_delay_alu instid0(SALU_CYCLE_1)
	s_mov_b32 s1, exec_lo
	v_cmpx_gt_u32_e64 s0, v13
	s_cbranch_execz .LBB2686_36
.LBB2686_49:
	s_wait_dscnt 0x4
	global_store_b32 v[2:3], v16, off offset:1536
	s_wait_xcnt 0x0
	s_or_b32 exec_lo, exec_lo, s1
	s_delay_alu instid0(SALU_CYCLE_1)
	s_mov_b32 s1, exec_lo
	v_cmpx_gt_u32_e64 s0, v6
	s_cbranch_execz .LBB2686_37
.LBB2686_50:
	s_wait_dscnt 0x3
	global_store_b32 v[2:3], v15, off offset:2048
	s_wait_xcnt 0x0
	s_or_b32 exec_lo, exec_lo, s1
	s_delay_alu instid0(SALU_CYCLE_1)
	s_mov_b32 s1, exec_lo
	v_cmpx_gt_u32_e64 s0, v5
	s_cbranch_execz .LBB2686_38
.LBB2686_51:
	s_wait_dscnt 0x2
	global_store_b32 v[2:3], v11, off offset:2560
	s_wait_xcnt 0x0
	s_or_b32 exec_lo, exec_lo, s1
	s_delay_alu instid0(SALU_CYCLE_1)
	s_mov_b32 s1, exec_lo
	v_cmpx_gt_u32_e64 s0, v4
	s_cbranch_execnz .LBB2686_39
	s_branch .LBB2686_40
	.section	.rodata,"a",@progbits
	.p2align	6, 0x0
	.amdhsa_kernel _ZN7rocprim17ROCPRIM_400000_NS6detail17trampoline_kernelINS0_14default_configENS1_38merge_sort_block_merge_config_selectorIjNS0_10empty_typeEEEZZNS1_27merge_sort_block_merge_implIS3_PjPS5_jNS1_19radix_merge_compareILb0ELb0EjNS0_19identity_decomposerEEEEE10hipError_tT0_T1_T2_jT3_P12ihipStream_tbPNSt15iterator_traitsISE_E10value_typeEPNSK_ISF_E10value_typeEPSG_NS1_7vsmem_tEENKUlT_SE_SF_SG_E_clIS8_S8_S9_S9_EESD_ST_SE_SF_SG_EUlST_E0_NS1_11comp_targetILNS1_3genE0ELNS1_11target_archE4294967295ELNS1_3gpuE0ELNS1_3repE0EEENS1_38merge_mergepath_config_static_selectorELNS0_4arch9wavefront6targetE0EEEvSF_
		.amdhsa_group_segment_fixed_size 4224
		.amdhsa_private_segment_fixed_size 0
		.amdhsa_kernarg_size 320
		.amdhsa_user_sgpr_count 2
		.amdhsa_user_sgpr_dispatch_ptr 0
		.amdhsa_user_sgpr_queue_ptr 0
		.amdhsa_user_sgpr_kernarg_segment_ptr 1
		.amdhsa_user_sgpr_dispatch_id 0
		.amdhsa_user_sgpr_kernarg_preload_length 0
		.amdhsa_user_sgpr_kernarg_preload_offset 0
		.amdhsa_user_sgpr_private_segment_size 0
		.amdhsa_wavefront_size32 1
		.amdhsa_uses_dynamic_stack 0
		.amdhsa_enable_private_segment 0
		.amdhsa_system_sgpr_workgroup_id_x 1
		.amdhsa_system_sgpr_workgroup_id_y 1
		.amdhsa_system_sgpr_workgroup_id_z 1
		.amdhsa_system_sgpr_workgroup_info 0
		.amdhsa_system_vgpr_workitem_id 0
		.amdhsa_next_free_vgpr 32
		.amdhsa_next_free_sgpr 23
		.amdhsa_named_barrier_count 0
		.amdhsa_reserve_vcc 1
		.amdhsa_float_round_mode_32 0
		.amdhsa_float_round_mode_16_64 0
		.amdhsa_float_denorm_mode_32 3
		.amdhsa_float_denorm_mode_16_64 3
		.amdhsa_fp16_overflow 0
		.amdhsa_memory_ordered 1
		.amdhsa_forward_progress 1
		.amdhsa_inst_pref_size 33
		.amdhsa_round_robin_scheduling 0
		.amdhsa_exception_fp_ieee_invalid_op 0
		.amdhsa_exception_fp_denorm_src 0
		.amdhsa_exception_fp_ieee_div_zero 0
		.amdhsa_exception_fp_ieee_overflow 0
		.amdhsa_exception_fp_ieee_underflow 0
		.amdhsa_exception_fp_ieee_inexact 0
		.amdhsa_exception_int_div_zero 0
	.end_amdhsa_kernel
	.section	.text._ZN7rocprim17ROCPRIM_400000_NS6detail17trampoline_kernelINS0_14default_configENS1_38merge_sort_block_merge_config_selectorIjNS0_10empty_typeEEEZZNS1_27merge_sort_block_merge_implIS3_PjPS5_jNS1_19radix_merge_compareILb0ELb0EjNS0_19identity_decomposerEEEEE10hipError_tT0_T1_T2_jT3_P12ihipStream_tbPNSt15iterator_traitsISE_E10value_typeEPNSK_ISF_E10value_typeEPSG_NS1_7vsmem_tEENKUlT_SE_SF_SG_E_clIS8_S8_S9_S9_EESD_ST_SE_SF_SG_EUlST_E0_NS1_11comp_targetILNS1_3genE0ELNS1_11target_archE4294967295ELNS1_3gpuE0ELNS1_3repE0EEENS1_38merge_mergepath_config_static_selectorELNS0_4arch9wavefront6targetE0EEEvSF_,"axG",@progbits,_ZN7rocprim17ROCPRIM_400000_NS6detail17trampoline_kernelINS0_14default_configENS1_38merge_sort_block_merge_config_selectorIjNS0_10empty_typeEEEZZNS1_27merge_sort_block_merge_implIS3_PjPS5_jNS1_19radix_merge_compareILb0ELb0EjNS0_19identity_decomposerEEEEE10hipError_tT0_T1_T2_jT3_P12ihipStream_tbPNSt15iterator_traitsISE_E10value_typeEPNSK_ISF_E10value_typeEPSG_NS1_7vsmem_tEENKUlT_SE_SF_SG_E_clIS8_S8_S9_S9_EESD_ST_SE_SF_SG_EUlST_E0_NS1_11comp_targetILNS1_3genE0ELNS1_11target_archE4294967295ELNS1_3gpuE0ELNS1_3repE0EEENS1_38merge_mergepath_config_static_selectorELNS0_4arch9wavefront6targetE0EEEvSF_,comdat
.Lfunc_end2686:
	.size	_ZN7rocprim17ROCPRIM_400000_NS6detail17trampoline_kernelINS0_14default_configENS1_38merge_sort_block_merge_config_selectorIjNS0_10empty_typeEEEZZNS1_27merge_sort_block_merge_implIS3_PjPS5_jNS1_19radix_merge_compareILb0ELb0EjNS0_19identity_decomposerEEEEE10hipError_tT0_T1_T2_jT3_P12ihipStream_tbPNSt15iterator_traitsISE_E10value_typeEPNSK_ISF_E10value_typeEPSG_NS1_7vsmem_tEENKUlT_SE_SF_SG_E_clIS8_S8_S9_S9_EESD_ST_SE_SF_SG_EUlST_E0_NS1_11comp_targetILNS1_3genE0ELNS1_11target_archE4294967295ELNS1_3gpuE0ELNS1_3repE0EEENS1_38merge_mergepath_config_static_selectorELNS0_4arch9wavefront6targetE0EEEvSF_, .Lfunc_end2686-_ZN7rocprim17ROCPRIM_400000_NS6detail17trampoline_kernelINS0_14default_configENS1_38merge_sort_block_merge_config_selectorIjNS0_10empty_typeEEEZZNS1_27merge_sort_block_merge_implIS3_PjPS5_jNS1_19radix_merge_compareILb0ELb0EjNS0_19identity_decomposerEEEEE10hipError_tT0_T1_T2_jT3_P12ihipStream_tbPNSt15iterator_traitsISE_E10value_typeEPNSK_ISF_E10value_typeEPSG_NS1_7vsmem_tEENKUlT_SE_SF_SG_E_clIS8_S8_S9_S9_EESD_ST_SE_SF_SG_EUlST_E0_NS1_11comp_targetILNS1_3genE0ELNS1_11target_archE4294967295ELNS1_3gpuE0ELNS1_3repE0EEENS1_38merge_mergepath_config_static_selectorELNS0_4arch9wavefront6targetE0EEEvSF_
                                        ; -- End function
	.set _ZN7rocprim17ROCPRIM_400000_NS6detail17trampoline_kernelINS0_14default_configENS1_38merge_sort_block_merge_config_selectorIjNS0_10empty_typeEEEZZNS1_27merge_sort_block_merge_implIS3_PjPS5_jNS1_19radix_merge_compareILb0ELb0EjNS0_19identity_decomposerEEEEE10hipError_tT0_T1_T2_jT3_P12ihipStream_tbPNSt15iterator_traitsISE_E10value_typeEPNSK_ISF_E10value_typeEPSG_NS1_7vsmem_tEENKUlT_SE_SF_SG_E_clIS8_S8_S9_S9_EESD_ST_SE_SF_SG_EUlST_E0_NS1_11comp_targetILNS1_3genE0ELNS1_11target_archE4294967295ELNS1_3gpuE0ELNS1_3repE0EEENS1_38merge_mergepath_config_static_selectorELNS0_4arch9wavefront6targetE0EEEvSF_.num_vgpr, 32
	.set _ZN7rocprim17ROCPRIM_400000_NS6detail17trampoline_kernelINS0_14default_configENS1_38merge_sort_block_merge_config_selectorIjNS0_10empty_typeEEEZZNS1_27merge_sort_block_merge_implIS3_PjPS5_jNS1_19radix_merge_compareILb0ELb0EjNS0_19identity_decomposerEEEEE10hipError_tT0_T1_T2_jT3_P12ihipStream_tbPNSt15iterator_traitsISE_E10value_typeEPNSK_ISF_E10value_typeEPSG_NS1_7vsmem_tEENKUlT_SE_SF_SG_E_clIS8_S8_S9_S9_EESD_ST_SE_SF_SG_EUlST_E0_NS1_11comp_targetILNS1_3genE0ELNS1_11target_archE4294967295ELNS1_3gpuE0ELNS1_3repE0EEENS1_38merge_mergepath_config_static_selectorELNS0_4arch9wavefront6targetE0EEEvSF_.num_agpr, 0
	.set _ZN7rocprim17ROCPRIM_400000_NS6detail17trampoline_kernelINS0_14default_configENS1_38merge_sort_block_merge_config_selectorIjNS0_10empty_typeEEEZZNS1_27merge_sort_block_merge_implIS3_PjPS5_jNS1_19radix_merge_compareILb0ELb0EjNS0_19identity_decomposerEEEEE10hipError_tT0_T1_T2_jT3_P12ihipStream_tbPNSt15iterator_traitsISE_E10value_typeEPNSK_ISF_E10value_typeEPSG_NS1_7vsmem_tEENKUlT_SE_SF_SG_E_clIS8_S8_S9_S9_EESD_ST_SE_SF_SG_EUlST_E0_NS1_11comp_targetILNS1_3genE0ELNS1_11target_archE4294967295ELNS1_3gpuE0ELNS1_3repE0EEENS1_38merge_mergepath_config_static_selectorELNS0_4arch9wavefront6targetE0EEEvSF_.numbered_sgpr, 23
	.set _ZN7rocprim17ROCPRIM_400000_NS6detail17trampoline_kernelINS0_14default_configENS1_38merge_sort_block_merge_config_selectorIjNS0_10empty_typeEEEZZNS1_27merge_sort_block_merge_implIS3_PjPS5_jNS1_19radix_merge_compareILb0ELb0EjNS0_19identity_decomposerEEEEE10hipError_tT0_T1_T2_jT3_P12ihipStream_tbPNSt15iterator_traitsISE_E10value_typeEPNSK_ISF_E10value_typeEPSG_NS1_7vsmem_tEENKUlT_SE_SF_SG_E_clIS8_S8_S9_S9_EESD_ST_SE_SF_SG_EUlST_E0_NS1_11comp_targetILNS1_3genE0ELNS1_11target_archE4294967295ELNS1_3gpuE0ELNS1_3repE0EEENS1_38merge_mergepath_config_static_selectorELNS0_4arch9wavefront6targetE0EEEvSF_.num_named_barrier, 0
	.set _ZN7rocprim17ROCPRIM_400000_NS6detail17trampoline_kernelINS0_14default_configENS1_38merge_sort_block_merge_config_selectorIjNS0_10empty_typeEEEZZNS1_27merge_sort_block_merge_implIS3_PjPS5_jNS1_19radix_merge_compareILb0ELb0EjNS0_19identity_decomposerEEEEE10hipError_tT0_T1_T2_jT3_P12ihipStream_tbPNSt15iterator_traitsISE_E10value_typeEPNSK_ISF_E10value_typeEPSG_NS1_7vsmem_tEENKUlT_SE_SF_SG_E_clIS8_S8_S9_S9_EESD_ST_SE_SF_SG_EUlST_E0_NS1_11comp_targetILNS1_3genE0ELNS1_11target_archE4294967295ELNS1_3gpuE0ELNS1_3repE0EEENS1_38merge_mergepath_config_static_selectorELNS0_4arch9wavefront6targetE0EEEvSF_.private_seg_size, 0
	.set _ZN7rocprim17ROCPRIM_400000_NS6detail17trampoline_kernelINS0_14default_configENS1_38merge_sort_block_merge_config_selectorIjNS0_10empty_typeEEEZZNS1_27merge_sort_block_merge_implIS3_PjPS5_jNS1_19radix_merge_compareILb0ELb0EjNS0_19identity_decomposerEEEEE10hipError_tT0_T1_T2_jT3_P12ihipStream_tbPNSt15iterator_traitsISE_E10value_typeEPNSK_ISF_E10value_typeEPSG_NS1_7vsmem_tEENKUlT_SE_SF_SG_E_clIS8_S8_S9_S9_EESD_ST_SE_SF_SG_EUlST_E0_NS1_11comp_targetILNS1_3genE0ELNS1_11target_archE4294967295ELNS1_3gpuE0ELNS1_3repE0EEENS1_38merge_mergepath_config_static_selectorELNS0_4arch9wavefront6targetE0EEEvSF_.uses_vcc, 1
	.set _ZN7rocprim17ROCPRIM_400000_NS6detail17trampoline_kernelINS0_14default_configENS1_38merge_sort_block_merge_config_selectorIjNS0_10empty_typeEEEZZNS1_27merge_sort_block_merge_implIS3_PjPS5_jNS1_19radix_merge_compareILb0ELb0EjNS0_19identity_decomposerEEEEE10hipError_tT0_T1_T2_jT3_P12ihipStream_tbPNSt15iterator_traitsISE_E10value_typeEPNSK_ISF_E10value_typeEPSG_NS1_7vsmem_tEENKUlT_SE_SF_SG_E_clIS8_S8_S9_S9_EESD_ST_SE_SF_SG_EUlST_E0_NS1_11comp_targetILNS1_3genE0ELNS1_11target_archE4294967295ELNS1_3gpuE0ELNS1_3repE0EEENS1_38merge_mergepath_config_static_selectorELNS0_4arch9wavefront6targetE0EEEvSF_.uses_flat_scratch, 0
	.set _ZN7rocprim17ROCPRIM_400000_NS6detail17trampoline_kernelINS0_14default_configENS1_38merge_sort_block_merge_config_selectorIjNS0_10empty_typeEEEZZNS1_27merge_sort_block_merge_implIS3_PjPS5_jNS1_19radix_merge_compareILb0ELb0EjNS0_19identity_decomposerEEEEE10hipError_tT0_T1_T2_jT3_P12ihipStream_tbPNSt15iterator_traitsISE_E10value_typeEPNSK_ISF_E10value_typeEPSG_NS1_7vsmem_tEENKUlT_SE_SF_SG_E_clIS8_S8_S9_S9_EESD_ST_SE_SF_SG_EUlST_E0_NS1_11comp_targetILNS1_3genE0ELNS1_11target_archE4294967295ELNS1_3gpuE0ELNS1_3repE0EEENS1_38merge_mergepath_config_static_selectorELNS0_4arch9wavefront6targetE0EEEvSF_.has_dyn_sized_stack, 0
	.set _ZN7rocprim17ROCPRIM_400000_NS6detail17trampoline_kernelINS0_14default_configENS1_38merge_sort_block_merge_config_selectorIjNS0_10empty_typeEEEZZNS1_27merge_sort_block_merge_implIS3_PjPS5_jNS1_19radix_merge_compareILb0ELb0EjNS0_19identity_decomposerEEEEE10hipError_tT0_T1_T2_jT3_P12ihipStream_tbPNSt15iterator_traitsISE_E10value_typeEPNSK_ISF_E10value_typeEPSG_NS1_7vsmem_tEENKUlT_SE_SF_SG_E_clIS8_S8_S9_S9_EESD_ST_SE_SF_SG_EUlST_E0_NS1_11comp_targetILNS1_3genE0ELNS1_11target_archE4294967295ELNS1_3gpuE0ELNS1_3repE0EEENS1_38merge_mergepath_config_static_selectorELNS0_4arch9wavefront6targetE0EEEvSF_.has_recursion, 0
	.set _ZN7rocprim17ROCPRIM_400000_NS6detail17trampoline_kernelINS0_14default_configENS1_38merge_sort_block_merge_config_selectorIjNS0_10empty_typeEEEZZNS1_27merge_sort_block_merge_implIS3_PjPS5_jNS1_19radix_merge_compareILb0ELb0EjNS0_19identity_decomposerEEEEE10hipError_tT0_T1_T2_jT3_P12ihipStream_tbPNSt15iterator_traitsISE_E10value_typeEPNSK_ISF_E10value_typeEPSG_NS1_7vsmem_tEENKUlT_SE_SF_SG_E_clIS8_S8_S9_S9_EESD_ST_SE_SF_SG_EUlST_E0_NS1_11comp_targetILNS1_3genE0ELNS1_11target_archE4294967295ELNS1_3gpuE0ELNS1_3repE0EEENS1_38merge_mergepath_config_static_selectorELNS0_4arch9wavefront6targetE0EEEvSF_.has_indirect_call, 0
	.section	.AMDGPU.csdata,"",@progbits
; Kernel info:
; codeLenInByte = 4156
; TotalNumSgprs: 25
; NumVgprs: 32
; ScratchSize: 0
; MemoryBound: 0
; FloatMode: 240
; IeeeMode: 1
; LDSByteSize: 4224 bytes/workgroup (compile time only)
; SGPRBlocks: 0
; VGPRBlocks: 1
; NumSGPRsForWavesPerEU: 25
; NumVGPRsForWavesPerEU: 32
; NamedBarCnt: 0
; Occupancy: 16
; WaveLimiterHint : 1
; COMPUTE_PGM_RSRC2:SCRATCH_EN: 0
; COMPUTE_PGM_RSRC2:USER_SGPR: 2
; COMPUTE_PGM_RSRC2:TRAP_HANDLER: 0
; COMPUTE_PGM_RSRC2:TGID_X_EN: 1
; COMPUTE_PGM_RSRC2:TGID_Y_EN: 1
; COMPUTE_PGM_RSRC2:TGID_Z_EN: 1
; COMPUTE_PGM_RSRC2:TIDIG_COMP_CNT: 0
	.section	.text._ZN7rocprim17ROCPRIM_400000_NS6detail17trampoline_kernelINS0_14default_configENS1_38merge_sort_block_merge_config_selectorIjNS0_10empty_typeEEEZZNS1_27merge_sort_block_merge_implIS3_PjPS5_jNS1_19radix_merge_compareILb0ELb0EjNS0_19identity_decomposerEEEEE10hipError_tT0_T1_T2_jT3_P12ihipStream_tbPNSt15iterator_traitsISE_E10value_typeEPNSK_ISF_E10value_typeEPSG_NS1_7vsmem_tEENKUlT_SE_SF_SG_E_clIS8_S8_S9_S9_EESD_ST_SE_SF_SG_EUlST_E0_NS1_11comp_targetILNS1_3genE10ELNS1_11target_archE1201ELNS1_3gpuE5ELNS1_3repE0EEENS1_38merge_mergepath_config_static_selectorELNS0_4arch9wavefront6targetE0EEEvSF_,"axG",@progbits,_ZN7rocprim17ROCPRIM_400000_NS6detail17trampoline_kernelINS0_14default_configENS1_38merge_sort_block_merge_config_selectorIjNS0_10empty_typeEEEZZNS1_27merge_sort_block_merge_implIS3_PjPS5_jNS1_19radix_merge_compareILb0ELb0EjNS0_19identity_decomposerEEEEE10hipError_tT0_T1_T2_jT3_P12ihipStream_tbPNSt15iterator_traitsISE_E10value_typeEPNSK_ISF_E10value_typeEPSG_NS1_7vsmem_tEENKUlT_SE_SF_SG_E_clIS8_S8_S9_S9_EESD_ST_SE_SF_SG_EUlST_E0_NS1_11comp_targetILNS1_3genE10ELNS1_11target_archE1201ELNS1_3gpuE5ELNS1_3repE0EEENS1_38merge_mergepath_config_static_selectorELNS0_4arch9wavefront6targetE0EEEvSF_,comdat
	.protected	_ZN7rocprim17ROCPRIM_400000_NS6detail17trampoline_kernelINS0_14default_configENS1_38merge_sort_block_merge_config_selectorIjNS0_10empty_typeEEEZZNS1_27merge_sort_block_merge_implIS3_PjPS5_jNS1_19radix_merge_compareILb0ELb0EjNS0_19identity_decomposerEEEEE10hipError_tT0_T1_T2_jT3_P12ihipStream_tbPNSt15iterator_traitsISE_E10value_typeEPNSK_ISF_E10value_typeEPSG_NS1_7vsmem_tEENKUlT_SE_SF_SG_E_clIS8_S8_S9_S9_EESD_ST_SE_SF_SG_EUlST_E0_NS1_11comp_targetILNS1_3genE10ELNS1_11target_archE1201ELNS1_3gpuE5ELNS1_3repE0EEENS1_38merge_mergepath_config_static_selectorELNS0_4arch9wavefront6targetE0EEEvSF_ ; -- Begin function _ZN7rocprim17ROCPRIM_400000_NS6detail17trampoline_kernelINS0_14default_configENS1_38merge_sort_block_merge_config_selectorIjNS0_10empty_typeEEEZZNS1_27merge_sort_block_merge_implIS3_PjPS5_jNS1_19radix_merge_compareILb0ELb0EjNS0_19identity_decomposerEEEEE10hipError_tT0_T1_T2_jT3_P12ihipStream_tbPNSt15iterator_traitsISE_E10value_typeEPNSK_ISF_E10value_typeEPSG_NS1_7vsmem_tEENKUlT_SE_SF_SG_E_clIS8_S8_S9_S9_EESD_ST_SE_SF_SG_EUlST_E0_NS1_11comp_targetILNS1_3genE10ELNS1_11target_archE1201ELNS1_3gpuE5ELNS1_3repE0EEENS1_38merge_mergepath_config_static_selectorELNS0_4arch9wavefront6targetE0EEEvSF_
	.globl	_ZN7rocprim17ROCPRIM_400000_NS6detail17trampoline_kernelINS0_14default_configENS1_38merge_sort_block_merge_config_selectorIjNS0_10empty_typeEEEZZNS1_27merge_sort_block_merge_implIS3_PjPS5_jNS1_19radix_merge_compareILb0ELb0EjNS0_19identity_decomposerEEEEE10hipError_tT0_T1_T2_jT3_P12ihipStream_tbPNSt15iterator_traitsISE_E10value_typeEPNSK_ISF_E10value_typeEPSG_NS1_7vsmem_tEENKUlT_SE_SF_SG_E_clIS8_S8_S9_S9_EESD_ST_SE_SF_SG_EUlST_E0_NS1_11comp_targetILNS1_3genE10ELNS1_11target_archE1201ELNS1_3gpuE5ELNS1_3repE0EEENS1_38merge_mergepath_config_static_selectorELNS0_4arch9wavefront6targetE0EEEvSF_
	.p2align	8
	.type	_ZN7rocprim17ROCPRIM_400000_NS6detail17trampoline_kernelINS0_14default_configENS1_38merge_sort_block_merge_config_selectorIjNS0_10empty_typeEEEZZNS1_27merge_sort_block_merge_implIS3_PjPS5_jNS1_19radix_merge_compareILb0ELb0EjNS0_19identity_decomposerEEEEE10hipError_tT0_T1_T2_jT3_P12ihipStream_tbPNSt15iterator_traitsISE_E10value_typeEPNSK_ISF_E10value_typeEPSG_NS1_7vsmem_tEENKUlT_SE_SF_SG_E_clIS8_S8_S9_S9_EESD_ST_SE_SF_SG_EUlST_E0_NS1_11comp_targetILNS1_3genE10ELNS1_11target_archE1201ELNS1_3gpuE5ELNS1_3repE0EEENS1_38merge_mergepath_config_static_selectorELNS0_4arch9wavefront6targetE0EEEvSF_,@function
_ZN7rocprim17ROCPRIM_400000_NS6detail17trampoline_kernelINS0_14default_configENS1_38merge_sort_block_merge_config_selectorIjNS0_10empty_typeEEEZZNS1_27merge_sort_block_merge_implIS3_PjPS5_jNS1_19radix_merge_compareILb0ELb0EjNS0_19identity_decomposerEEEEE10hipError_tT0_T1_T2_jT3_P12ihipStream_tbPNSt15iterator_traitsISE_E10value_typeEPNSK_ISF_E10value_typeEPSG_NS1_7vsmem_tEENKUlT_SE_SF_SG_E_clIS8_S8_S9_S9_EESD_ST_SE_SF_SG_EUlST_E0_NS1_11comp_targetILNS1_3genE10ELNS1_11target_archE1201ELNS1_3gpuE5ELNS1_3repE0EEENS1_38merge_mergepath_config_static_selectorELNS0_4arch9wavefront6targetE0EEEvSF_: ; @_ZN7rocprim17ROCPRIM_400000_NS6detail17trampoline_kernelINS0_14default_configENS1_38merge_sort_block_merge_config_selectorIjNS0_10empty_typeEEEZZNS1_27merge_sort_block_merge_implIS3_PjPS5_jNS1_19radix_merge_compareILb0ELb0EjNS0_19identity_decomposerEEEEE10hipError_tT0_T1_T2_jT3_P12ihipStream_tbPNSt15iterator_traitsISE_E10value_typeEPNSK_ISF_E10value_typeEPSG_NS1_7vsmem_tEENKUlT_SE_SF_SG_E_clIS8_S8_S9_S9_EESD_ST_SE_SF_SG_EUlST_E0_NS1_11comp_targetILNS1_3genE10ELNS1_11target_archE1201ELNS1_3gpuE5ELNS1_3repE0EEENS1_38merge_mergepath_config_static_selectorELNS0_4arch9wavefront6targetE0EEEvSF_
; %bb.0:
	.section	.rodata,"a",@progbits
	.p2align	6, 0x0
	.amdhsa_kernel _ZN7rocprim17ROCPRIM_400000_NS6detail17trampoline_kernelINS0_14default_configENS1_38merge_sort_block_merge_config_selectorIjNS0_10empty_typeEEEZZNS1_27merge_sort_block_merge_implIS3_PjPS5_jNS1_19radix_merge_compareILb0ELb0EjNS0_19identity_decomposerEEEEE10hipError_tT0_T1_T2_jT3_P12ihipStream_tbPNSt15iterator_traitsISE_E10value_typeEPNSK_ISF_E10value_typeEPSG_NS1_7vsmem_tEENKUlT_SE_SF_SG_E_clIS8_S8_S9_S9_EESD_ST_SE_SF_SG_EUlST_E0_NS1_11comp_targetILNS1_3genE10ELNS1_11target_archE1201ELNS1_3gpuE5ELNS1_3repE0EEENS1_38merge_mergepath_config_static_selectorELNS0_4arch9wavefront6targetE0EEEvSF_
		.amdhsa_group_segment_fixed_size 0
		.amdhsa_private_segment_fixed_size 0
		.amdhsa_kernarg_size 64
		.amdhsa_user_sgpr_count 2
		.amdhsa_user_sgpr_dispatch_ptr 0
		.amdhsa_user_sgpr_queue_ptr 0
		.amdhsa_user_sgpr_kernarg_segment_ptr 1
		.amdhsa_user_sgpr_dispatch_id 0
		.amdhsa_user_sgpr_kernarg_preload_length 0
		.amdhsa_user_sgpr_kernarg_preload_offset 0
		.amdhsa_user_sgpr_private_segment_size 0
		.amdhsa_wavefront_size32 1
		.amdhsa_uses_dynamic_stack 0
		.amdhsa_enable_private_segment 0
		.amdhsa_system_sgpr_workgroup_id_x 1
		.amdhsa_system_sgpr_workgroup_id_y 0
		.amdhsa_system_sgpr_workgroup_id_z 0
		.amdhsa_system_sgpr_workgroup_info 0
		.amdhsa_system_vgpr_workitem_id 0
		.amdhsa_next_free_vgpr 1
		.amdhsa_next_free_sgpr 1
		.amdhsa_named_barrier_count 0
		.amdhsa_reserve_vcc 0
		.amdhsa_float_round_mode_32 0
		.amdhsa_float_round_mode_16_64 0
		.amdhsa_float_denorm_mode_32 3
		.amdhsa_float_denorm_mode_16_64 3
		.amdhsa_fp16_overflow 0
		.amdhsa_memory_ordered 1
		.amdhsa_forward_progress 1
		.amdhsa_inst_pref_size 0
		.amdhsa_round_robin_scheduling 0
		.amdhsa_exception_fp_ieee_invalid_op 0
		.amdhsa_exception_fp_denorm_src 0
		.amdhsa_exception_fp_ieee_div_zero 0
		.amdhsa_exception_fp_ieee_overflow 0
		.amdhsa_exception_fp_ieee_underflow 0
		.amdhsa_exception_fp_ieee_inexact 0
		.amdhsa_exception_int_div_zero 0
	.end_amdhsa_kernel
	.section	.text._ZN7rocprim17ROCPRIM_400000_NS6detail17trampoline_kernelINS0_14default_configENS1_38merge_sort_block_merge_config_selectorIjNS0_10empty_typeEEEZZNS1_27merge_sort_block_merge_implIS3_PjPS5_jNS1_19radix_merge_compareILb0ELb0EjNS0_19identity_decomposerEEEEE10hipError_tT0_T1_T2_jT3_P12ihipStream_tbPNSt15iterator_traitsISE_E10value_typeEPNSK_ISF_E10value_typeEPSG_NS1_7vsmem_tEENKUlT_SE_SF_SG_E_clIS8_S8_S9_S9_EESD_ST_SE_SF_SG_EUlST_E0_NS1_11comp_targetILNS1_3genE10ELNS1_11target_archE1201ELNS1_3gpuE5ELNS1_3repE0EEENS1_38merge_mergepath_config_static_selectorELNS0_4arch9wavefront6targetE0EEEvSF_,"axG",@progbits,_ZN7rocprim17ROCPRIM_400000_NS6detail17trampoline_kernelINS0_14default_configENS1_38merge_sort_block_merge_config_selectorIjNS0_10empty_typeEEEZZNS1_27merge_sort_block_merge_implIS3_PjPS5_jNS1_19radix_merge_compareILb0ELb0EjNS0_19identity_decomposerEEEEE10hipError_tT0_T1_T2_jT3_P12ihipStream_tbPNSt15iterator_traitsISE_E10value_typeEPNSK_ISF_E10value_typeEPSG_NS1_7vsmem_tEENKUlT_SE_SF_SG_E_clIS8_S8_S9_S9_EESD_ST_SE_SF_SG_EUlST_E0_NS1_11comp_targetILNS1_3genE10ELNS1_11target_archE1201ELNS1_3gpuE5ELNS1_3repE0EEENS1_38merge_mergepath_config_static_selectorELNS0_4arch9wavefront6targetE0EEEvSF_,comdat
.Lfunc_end2687:
	.size	_ZN7rocprim17ROCPRIM_400000_NS6detail17trampoline_kernelINS0_14default_configENS1_38merge_sort_block_merge_config_selectorIjNS0_10empty_typeEEEZZNS1_27merge_sort_block_merge_implIS3_PjPS5_jNS1_19radix_merge_compareILb0ELb0EjNS0_19identity_decomposerEEEEE10hipError_tT0_T1_T2_jT3_P12ihipStream_tbPNSt15iterator_traitsISE_E10value_typeEPNSK_ISF_E10value_typeEPSG_NS1_7vsmem_tEENKUlT_SE_SF_SG_E_clIS8_S8_S9_S9_EESD_ST_SE_SF_SG_EUlST_E0_NS1_11comp_targetILNS1_3genE10ELNS1_11target_archE1201ELNS1_3gpuE5ELNS1_3repE0EEENS1_38merge_mergepath_config_static_selectorELNS0_4arch9wavefront6targetE0EEEvSF_, .Lfunc_end2687-_ZN7rocprim17ROCPRIM_400000_NS6detail17trampoline_kernelINS0_14default_configENS1_38merge_sort_block_merge_config_selectorIjNS0_10empty_typeEEEZZNS1_27merge_sort_block_merge_implIS3_PjPS5_jNS1_19radix_merge_compareILb0ELb0EjNS0_19identity_decomposerEEEEE10hipError_tT0_T1_T2_jT3_P12ihipStream_tbPNSt15iterator_traitsISE_E10value_typeEPNSK_ISF_E10value_typeEPSG_NS1_7vsmem_tEENKUlT_SE_SF_SG_E_clIS8_S8_S9_S9_EESD_ST_SE_SF_SG_EUlST_E0_NS1_11comp_targetILNS1_3genE10ELNS1_11target_archE1201ELNS1_3gpuE5ELNS1_3repE0EEENS1_38merge_mergepath_config_static_selectorELNS0_4arch9wavefront6targetE0EEEvSF_
                                        ; -- End function
	.set _ZN7rocprim17ROCPRIM_400000_NS6detail17trampoline_kernelINS0_14default_configENS1_38merge_sort_block_merge_config_selectorIjNS0_10empty_typeEEEZZNS1_27merge_sort_block_merge_implIS3_PjPS5_jNS1_19radix_merge_compareILb0ELb0EjNS0_19identity_decomposerEEEEE10hipError_tT0_T1_T2_jT3_P12ihipStream_tbPNSt15iterator_traitsISE_E10value_typeEPNSK_ISF_E10value_typeEPSG_NS1_7vsmem_tEENKUlT_SE_SF_SG_E_clIS8_S8_S9_S9_EESD_ST_SE_SF_SG_EUlST_E0_NS1_11comp_targetILNS1_3genE10ELNS1_11target_archE1201ELNS1_3gpuE5ELNS1_3repE0EEENS1_38merge_mergepath_config_static_selectorELNS0_4arch9wavefront6targetE0EEEvSF_.num_vgpr, 0
	.set _ZN7rocprim17ROCPRIM_400000_NS6detail17trampoline_kernelINS0_14default_configENS1_38merge_sort_block_merge_config_selectorIjNS0_10empty_typeEEEZZNS1_27merge_sort_block_merge_implIS3_PjPS5_jNS1_19radix_merge_compareILb0ELb0EjNS0_19identity_decomposerEEEEE10hipError_tT0_T1_T2_jT3_P12ihipStream_tbPNSt15iterator_traitsISE_E10value_typeEPNSK_ISF_E10value_typeEPSG_NS1_7vsmem_tEENKUlT_SE_SF_SG_E_clIS8_S8_S9_S9_EESD_ST_SE_SF_SG_EUlST_E0_NS1_11comp_targetILNS1_3genE10ELNS1_11target_archE1201ELNS1_3gpuE5ELNS1_3repE0EEENS1_38merge_mergepath_config_static_selectorELNS0_4arch9wavefront6targetE0EEEvSF_.num_agpr, 0
	.set _ZN7rocprim17ROCPRIM_400000_NS6detail17trampoline_kernelINS0_14default_configENS1_38merge_sort_block_merge_config_selectorIjNS0_10empty_typeEEEZZNS1_27merge_sort_block_merge_implIS3_PjPS5_jNS1_19radix_merge_compareILb0ELb0EjNS0_19identity_decomposerEEEEE10hipError_tT0_T1_T2_jT3_P12ihipStream_tbPNSt15iterator_traitsISE_E10value_typeEPNSK_ISF_E10value_typeEPSG_NS1_7vsmem_tEENKUlT_SE_SF_SG_E_clIS8_S8_S9_S9_EESD_ST_SE_SF_SG_EUlST_E0_NS1_11comp_targetILNS1_3genE10ELNS1_11target_archE1201ELNS1_3gpuE5ELNS1_3repE0EEENS1_38merge_mergepath_config_static_selectorELNS0_4arch9wavefront6targetE0EEEvSF_.numbered_sgpr, 0
	.set _ZN7rocprim17ROCPRIM_400000_NS6detail17trampoline_kernelINS0_14default_configENS1_38merge_sort_block_merge_config_selectorIjNS0_10empty_typeEEEZZNS1_27merge_sort_block_merge_implIS3_PjPS5_jNS1_19radix_merge_compareILb0ELb0EjNS0_19identity_decomposerEEEEE10hipError_tT0_T1_T2_jT3_P12ihipStream_tbPNSt15iterator_traitsISE_E10value_typeEPNSK_ISF_E10value_typeEPSG_NS1_7vsmem_tEENKUlT_SE_SF_SG_E_clIS8_S8_S9_S9_EESD_ST_SE_SF_SG_EUlST_E0_NS1_11comp_targetILNS1_3genE10ELNS1_11target_archE1201ELNS1_3gpuE5ELNS1_3repE0EEENS1_38merge_mergepath_config_static_selectorELNS0_4arch9wavefront6targetE0EEEvSF_.num_named_barrier, 0
	.set _ZN7rocprim17ROCPRIM_400000_NS6detail17trampoline_kernelINS0_14default_configENS1_38merge_sort_block_merge_config_selectorIjNS0_10empty_typeEEEZZNS1_27merge_sort_block_merge_implIS3_PjPS5_jNS1_19radix_merge_compareILb0ELb0EjNS0_19identity_decomposerEEEEE10hipError_tT0_T1_T2_jT3_P12ihipStream_tbPNSt15iterator_traitsISE_E10value_typeEPNSK_ISF_E10value_typeEPSG_NS1_7vsmem_tEENKUlT_SE_SF_SG_E_clIS8_S8_S9_S9_EESD_ST_SE_SF_SG_EUlST_E0_NS1_11comp_targetILNS1_3genE10ELNS1_11target_archE1201ELNS1_3gpuE5ELNS1_3repE0EEENS1_38merge_mergepath_config_static_selectorELNS0_4arch9wavefront6targetE0EEEvSF_.private_seg_size, 0
	.set _ZN7rocprim17ROCPRIM_400000_NS6detail17trampoline_kernelINS0_14default_configENS1_38merge_sort_block_merge_config_selectorIjNS0_10empty_typeEEEZZNS1_27merge_sort_block_merge_implIS3_PjPS5_jNS1_19radix_merge_compareILb0ELb0EjNS0_19identity_decomposerEEEEE10hipError_tT0_T1_T2_jT3_P12ihipStream_tbPNSt15iterator_traitsISE_E10value_typeEPNSK_ISF_E10value_typeEPSG_NS1_7vsmem_tEENKUlT_SE_SF_SG_E_clIS8_S8_S9_S9_EESD_ST_SE_SF_SG_EUlST_E0_NS1_11comp_targetILNS1_3genE10ELNS1_11target_archE1201ELNS1_3gpuE5ELNS1_3repE0EEENS1_38merge_mergepath_config_static_selectorELNS0_4arch9wavefront6targetE0EEEvSF_.uses_vcc, 0
	.set _ZN7rocprim17ROCPRIM_400000_NS6detail17trampoline_kernelINS0_14default_configENS1_38merge_sort_block_merge_config_selectorIjNS0_10empty_typeEEEZZNS1_27merge_sort_block_merge_implIS3_PjPS5_jNS1_19radix_merge_compareILb0ELb0EjNS0_19identity_decomposerEEEEE10hipError_tT0_T1_T2_jT3_P12ihipStream_tbPNSt15iterator_traitsISE_E10value_typeEPNSK_ISF_E10value_typeEPSG_NS1_7vsmem_tEENKUlT_SE_SF_SG_E_clIS8_S8_S9_S9_EESD_ST_SE_SF_SG_EUlST_E0_NS1_11comp_targetILNS1_3genE10ELNS1_11target_archE1201ELNS1_3gpuE5ELNS1_3repE0EEENS1_38merge_mergepath_config_static_selectorELNS0_4arch9wavefront6targetE0EEEvSF_.uses_flat_scratch, 0
	.set _ZN7rocprim17ROCPRIM_400000_NS6detail17trampoline_kernelINS0_14default_configENS1_38merge_sort_block_merge_config_selectorIjNS0_10empty_typeEEEZZNS1_27merge_sort_block_merge_implIS3_PjPS5_jNS1_19radix_merge_compareILb0ELb0EjNS0_19identity_decomposerEEEEE10hipError_tT0_T1_T2_jT3_P12ihipStream_tbPNSt15iterator_traitsISE_E10value_typeEPNSK_ISF_E10value_typeEPSG_NS1_7vsmem_tEENKUlT_SE_SF_SG_E_clIS8_S8_S9_S9_EESD_ST_SE_SF_SG_EUlST_E0_NS1_11comp_targetILNS1_3genE10ELNS1_11target_archE1201ELNS1_3gpuE5ELNS1_3repE0EEENS1_38merge_mergepath_config_static_selectorELNS0_4arch9wavefront6targetE0EEEvSF_.has_dyn_sized_stack, 0
	.set _ZN7rocprim17ROCPRIM_400000_NS6detail17trampoline_kernelINS0_14default_configENS1_38merge_sort_block_merge_config_selectorIjNS0_10empty_typeEEEZZNS1_27merge_sort_block_merge_implIS3_PjPS5_jNS1_19radix_merge_compareILb0ELb0EjNS0_19identity_decomposerEEEEE10hipError_tT0_T1_T2_jT3_P12ihipStream_tbPNSt15iterator_traitsISE_E10value_typeEPNSK_ISF_E10value_typeEPSG_NS1_7vsmem_tEENKUlT_SE_SF_SG_E_clIS8_S8_S9_S9_EESD_ST_SE_SF_SG_EUlST_E0_NS1_11comp_targetILNS1_3genE10ELNS1_11target_archE1201ELNS1_3gpuE5ELNS1_3repE0EEENS1_38merge_mergepath_config_static_selectorELNS0_4arch9wavefront6targetE0EEEvSF_.has_recursion, 0
	.set _ZN7rocprim17ROCPRIM_400000_NS6detail17trampoline_kernelINS0_14default_configENS1_38merge_sort_block_merge_config_selectorIjNS0_10empty_typeEEEZZNS1_27merge_sort_block_merge_implIS3_PjPS5_jNS1_19radix_merge_compareILb0ELb0EjNS0_19identity_decomposerEEEEE10hipError_tT0_T1_T2_jT3_P12ihipStream_tbPNSt15iterator_traitsISE_E10value_typeEPNSK_ISF_E10value_typeEPSG_NS1_7vsmem_tEENKUlT_SE_SF_SG_E_clIS8_S8_S9_S9_EESD_ST_SE_SF_SG_EUlST_E0_NS1_11comp_targetILNS1_3genE10ELNS1_11target_archE1201ELNS1_3gpuE5ELNS1_3repE0EEENS1_38merge_mergepath_config_static_selectorELNS0_4arch9wavefront6targetE0EEEvSF_.has_indirect_call, 0
	.section	.AMDGPU.csdata,"",@progbits
; Kernel info:
; codeLenInByte = 0
; TotalNumSgprs: 0
; NumVgprs: 0
; ScratchSize: 0
; MemoryBound: 0
; FloatMode: 240
; IeeeMode: 1
; LDSByteSize: 0 bytes/workgroup (compile time only)
; SGPRBlocks: 0
; VGPRBlocks: 0
; NumSGPRsForWavesPerEU: 1
; NumVGPRsForWavesPerEU: 1
; NamedBarCnt: 0
; Occupancy: 16
; WaveLimiterHint : 0
; COMPUTE_PGM_RSRC2:SCRATCH_EN: 0
; COMPUTE_PGM_RSRC2:USER_SGPR: 2
; COMPUTE_PGM_RSRC2:TRAP_HANDLER: 0
; COMPUTE_PGM_RSRC2:TGID_X_EN: 1
; COMPUTE_PGM_RSRC2:TGID_Y_EN: 0
; COMPUTE_PGM_RSRC2:TGID_Z_EN: 0
; COMPUTE_PGM_RSRC2:TIDIG_COMP_CNT: 0
	.section	.text._ZN7rocprim17ROCPRIM_400000_NS6detail17trampoline_kernelINS0_14default_configENS1_38merge_sort_block_merge_config_selectorIjNS0_10empty_typeEEEZZNS1_27merge_sort_block_merge_implIS3_PjPS5_jNS1_19radix_merge_compareILb0ELb0EjNS0_19identity_decomposerEEEEE10hipError_tT0_T1_T2_jT3_P12ihipStream_tbPNSt15iterator_traitsISE_E10value_typeEPNSK_ISF_E10value_typeEPSG_NS1_7vsmem_tEENKUlT_SE_SF_SG_E_clIS8_S8_S9_S9_EESD_ST_SE_SF_SG_EUlST_E0_NS1_11comp_targetILNS1_3genE5ELNS1_11target_archE942ELNS1_3gpuE9ELNS1_3repE0EEENS1_38merge_mergepath_config_static_selectorELNS0_4arch9wavefront6targetE0EEEvSF_,"axG",@progbits,_ZN7rocprim17ROCPRIM_400000_NS6detail17trampoline_kernelINS0_14default_configENS1_38merge_sort_block_merge_config_selectorIjNS0_10empty_typeEEEZZNS1_27merge_sort_block_merge_implIS3_PjPS5_jNS1_19radix_merge_compareILb0ELb0EjNS0_19identity_decomposerEEEEE10hipError_tT0_T1_T2_jT3_P12ihipStream_tbPNSt15iterator_traitsISE_E10value_typeEPNSK_ISF_E10value_typeEPSG_NS1_7vsmem_tEENKUlT_SE_SF_SG_E_clIS8_S8_S9_S9_EESD_ST_SE_SF_SG_EUlST_E0_NS1_11comp_targetILNS1_3genE5ELNS1_11target_archE942ELNS1_3gpuE9ELNS1_3repE0EEENS1_38merge_mergepath_config_static_selectorELNS0_4arch9wavefront6targetE0EEEvSF_,comdat
	.protected	_ZN7rocprim17ROCPRIM_400000_NS6detail17trampoline_kernelINS0_14default_configENS1_38merge_sort_block_merge_config_selectorIjNS0_10empty_typeEEEZZNS1_27merge_sort_block_merge_implIS3_PjPS5_jNS1_19radix_merge_compareILb0ELb0EjNS0_19identity_decomposerEEEEE10hipError_tT0_T1_T2_jT3_P12ihipStream_tbPNSt15iterator_traitsISE_E10value_typeEPNSK_ISF_E10value_typeEPSG_NS1_7vsmem_tEENKUlT_SE_SF_SG_E_clIS8_S8_S9_S9_EESD_ST_SE_SF_SG_EUlST_E0_NS1_11comp_targetILNS1_3genE5ELNS1_11target_archE942ELNS1_3gpuE9ELNS1_3repE0EEENS1_38merge_mergepath_config_static_selectorELNS0_4arch9wavefront6targetE0EEEvSF_ ; -- Begin function _ZN7rocprim17ROCPRIM_400000_NS6detail17trampoline_kernelINS0_14default_configENS1_38merge_sort_block_merge_config_selectorIjNS0_10empty_typeEEEZZNS1_27merge_sort_block_merge_implIS3_PjPS5_jNS1_19radix_merge_compareILb0ELb0EjNS0_19identity_decomposerEEEEE10hipError_tT0_T1_T2_jT3_P12ihipStream_tbPNSt15iterator_traitsISE_E10value_typeEPNSK_ISF_E10value_typeEPSG_NS1_7vsmem_tEENKUlT_SE_SF_SG_E_clIS8_S8_S9_S9_EESD_ST_SE_SF_SG_EUlST_E0_NS1_11comp_targetILNS1_3genE5ELNS1_11target_archE942ELNS1_3gpuE9ELNS1_3repE0EEENS1_38merge_mergepath_config_static_selectorELNS0_4arch9wavefront6targetE0EEEvSF_
	.globl	_ZN7rocprim17ROCPRIM_400000_NS6detail17trampoline_kernelINS0_14default_configENS1_38merge_sort_block_merge_config_selectorIjNS0_10empty_typeEEEZZNS1_27merge_sort_block_merge_implIS3_PjPS5_jNS1_19radix_merge_compareILb0ELb0EjNS0_19identity_decomposerEEEEE10hipError_tT0_T1_T2_jT3_P12ihipStream_tbPNSt15iterator_traitsISE_E10value_typeEPNSK_ISF_E10value_typeEPSG_NS1_7vsmem_tEENKUlT_SE_SF_SG_E_clIS8_S8_S9_S9_EESD_ST_SE_SF_SG_EUlST_E0_NS1_11comp_targetILNS1_3genE5ELNS1_11target_archE942ELNS1_3gpuE9ELNS1_3repE0EEENS1_38merge_mergepath_config_static_selectorELNS0_4arch9wavefront6targetE0EEEvSF_
	.p2align	8
	.type	_ZN7rocprim17ROCPRIM_400000_NS6detail17trampoline_kernelINS0_14default_configENS1_38merge_sort_block_merge_config_selectorIjNS0_10empty_typeEEEZZNS1_27merge_sort_block_merge_implIS3_PjPS5_jNS1_19radix_merge_compareILb0ELb0EjNS0_19identity_decomposerEEEEE10hipError_tT0_T1_T2_jT3_P12ihipStream_tbPNSt15iterator_traitsISE_E10value_typeEPNSK_ISF_E10value_typeEPSG_NS1_7vsmem_tEENKUlT_SE_SF_SG_E_clIS8_S8_S9_S9_EESD_ST_SE_SF_SG_EUlST_E0_NS1_11comp_targetILNS1_3genE5ELNS1_11target_archE942ELNS1_3gpuE9ELNS1_3repE0EEENS1_38merge_mergepath_config_static_selectorELNS0_4arch9wavefront6targetE0EEEvSF_,@function
_ZN7rocprim17ROCPRIM_400000_NS6detail17trampoline_kernelINS0_14default_configENS1_38merge_sort_block_merge_config_selectorIjNS0_10empty_typeEEEZZNS1_27merge_sort_block_merge_implIS3_PjPS5_jNS1_19radix_merge_compareILb0ELb0EjNS0_19identity_decomposerEEEEE10hipError_tT0_T1_T2_jT3_P12ihipStream_tbPNSt15iterator_traitsISE_E10value_typeEPNSK_ISF_E10value_typeEPSG_NS1_7vsmem_tEENKUlT_SE_SF_SG_E_clIS8_S8_S9_S9_EESD_ST_SE_SF_SG_EUlST_E0_NS1_11comp_targetILNS1_3genE5ELNS1_11target_archE942ELNS1_3gpuE9ELNS1_3repE0EEENS1_38merge_mergepath_config_static_selectorELNS0_4arch9wavefront6targetE0EEEvSF_: ; @_ZN7rocprim17ROCPRIM_400000_NS6detail17trampoline_kernelINS0_14default_configENS1_38merge_sort_block_merge_config_selectorIjNS0_10empty_typeEEEZZNS1_27merge_sort_block_merge_implIS3_PjPS5_jNS1_19radix_merge_compareILb0ELb0EjNS0_19identity_decomposerEEEEE10hipError_tT0_T1_T2_jT3_P12ihipStream_tbPNSt15iterator_traitsISE_E10value_typeEPNSK_ISF_E10value_typeEPSG_NS1_7vsmem_tEENKUlT_SE_SF_SG_E_clIS8_S8_S9_S9_EESD_ST_SE_SF_SG_EUlST_E0_NS1_11comp_targetILNS1_3genE5ELNS1_11target_archE942ELNS1_3gpuE9ELNS1_3repE0EEENS1_38merge_mergepath_config_static_selectorELNS0_4arch9wavefront6targetE0EEEvSF_
; %bb.0:
	.section	.rodata,"a",@progbits
	.p2align	6, 0x0
	.amdhsa_kernel _ZN7rocprim17ROCPRIM_400000_NS6detail17trampoline_kernelINS0_14default_configENS1_38merge_sort_block_merge_config_selectorIjNS0_10empty_typeEEEZZNS1_27merge_sort_block_merge_implIS3_PjPS5_jNS1_19radix_merge_compareILb0ELb0EjNS0_19identity_decomposerEEEEE10hipError_tT0_T1_T2_jT3_P12ihipStream_tbPNSt15iterator_traitsISE_E10value_typeEPNSK_ISF_E10value_typeEPSG_NS1_7vsmem_tEENKUlT_SE_SF_SG_E_clIS8_S8_S9_S9_EESD_ST_SE_SF_SG_EUlST_E0_NS1_11comp_targetILNS1_3genE5ELNS1_11target_archE942ELNS1_3gpuE9ELNS1_3repE0EEENS1_38merge_mergepath_config_static_selectorELNS0_4arch9wavefront6targetE0EEEvSF_
		.amdhsa_group_segment_fixed_size 0
		.amdhsa_private_segment_fixed_size 0
		.amdhsa_kernarg_size 64
		.amdhsa_user_sgpr_count 2
		.amdhsa_user_sgpr_dispatch_ptr 0
		.amdhsa_user_sgpr_queue_ptr 0
		.amdhsa_user_sgpr_kernarg_segment_ptr 1
		.amdhsa_user_sgpr_dispatch_id 0
		.amdhsa_user_sgpr_kernarg_preload_length 0
		.amdhsa_user_sgpr_kernarg_preload_offset 0
		.amdhsa_user_sgpr_private_segment_size 0
		.amdhsa_wavefront_size32 1
		.amdhsa_uses_dynamic_stack 0
		.amdhsa_enable_private_segment 0
		.amdhsa_system_sgpr_workgroup_id_x 1
		.amdhsa_system_sgpr_workgroup_id_y 0
		.amdhsa_system_sgpr_workgroup_id_z 0
		.amdhsa_system_sgpr_workgroup_info 0
		.amdhsa_system_vgpr_workitem_id 0
		.amdhsa_next_free_vgpr 1
		.amdhsa_next_free_sgpr 1
		.amdhsa_named_barrier_count 0
		.amdhsa_reserve_vcc 0
		.amdhsa_float_round_mode_32 0
		.amdhsa_float_round_mode_16_64 0
		.amdhsa_float_denorm_mode_32 3
		.amdhsa_float_denorm_mode_16_64 3
		.amdhsa_fp16_overflow 0
		.amdhsa_memory_ordered 1
		.amdhsa_forward_progress 1
		.amdhsa_inst_pref_size 0
		.amdhsa_round_robin_scheduling 0
		.amdhsa_exception_fp_ieee_invalid_op 0
		.amdhsa_exception_fp_denorm_src 0
		.amdhsa_exception_fp_ieee_div_zero 0
		.amdhsa_exception_fp_ieee_overflow 0
		.amdhsa_exception_fp_ieee_underflow 0
		.amdhsa_exception_fp_ieee_inexact 0
		.amdhsa_exception_int_div_zero 0
	.end_amdhsa_kernel
	.section	.text._ZN7rocprim17ROCPRIM_400000_NS6detail17trampoline_kernelINS0_14default_configENS1_38merge_sort_block_merge_config_selectorIjNS0_10empty_typeEEEZZNS1_27merge_sort_block_merge_implIS3_PjPS5_jNS1_19radix_merge_compareILb0ELb0EjNS0_19identity_decomposerEEEEE10hipError_tT0_T1_T2_jT3_P12ihipStream_tbPNSt15iterator_traitsISE_E10value_typeEPNSK_ISF_E10value_typeEPSG_NS1_7vsmem_tEENKUlT_SE_SF_SG_E_clIS8_S8_S9_S9_EESD_ST_SE_SF_SG_EUlST_E0_NS1_11comp_targetILNS1_3genE5ELNS1_11target_archE942ELNS1_3gpuE9ELNS1_3repE0EEENS1_38merge_mergepath_config_static_selectorELNS0_4arch9wavefront6targetE0EEEvSF_,"axG",@progbits,_ZN7rocprim17ROCPRIM_400000_NS6detail17trampoline_kernelINS0_14default_configENS1_38merge_sort_block_merge_config_selectorIjNS0_10empty_typeEEEZZNS1_27merge_sort_block_merge_implIS3_PjPS5_jNS1_19radix_merge_compareILb0ELb0EjNS0_19identity_decomposerEEEEE10hipError_tT0_T1_T2_jT3_P12ihipStream_tbPNSt15iterator_traitsISE_E10value_typeEPNSK_ISF_E10value_typeEPSG_NS1_7vsmem_tEENKUlT_SE_SF_SG_E_clIS8_S8_S9_S9_EESD_ST_SE_SF_SG_EUlST_E0_NS1_11comp_targetILNS1_3genE5ELNS1_11target_archE942ELNS1_3gpuE9ELNS1_3repE0EEENS1_38merge_mergepath_config_static_selectorELNS0_4arch9wavefront6targetE0EEEvSF_,comdat
.Lfunc_end2688:
	.size	_ZN7rocprim17ROCPRIM_400000_NS6detail17trampoline_kernelINS0_14default_configENS1_38merge_sort_block_merge_config_selectorIjNS0_10empty_typeEEEZZNS1_27merge_sort_block_merge_implIS3_PjPS5_jNS1_19radix_merge_compareILb0ELb0EjNS0_19identity_decomposerEEEEE10hipError_tT0_T1_T2_jT3_P12ihipStream_tbPNSt15iterator_traitsISE_E10value_typeEPNSK_ISF_E10value_typeEPSG_NS1_7vsmem_tEENKUlT_SE_SF_SG_E_clIS8_S8_S9_S9_EESD_ST_SE_SF_SG_EUlST_E0_NS1_11comp_targetILNS1_3genE5ELNS1_11target_archE942ELNS1_3gpuE9ELNS1_3repE0EEENS1_38merge_mergepath_config_static_selectorELNS0_4arch9wavefront6targetE0EEEvSF_, .Lfunc_end2688-_ZN7rocprim17ROCPRIM_400000_NS6detail17trampoline_kernelINS0_14default_configENS1_38merge_sort_block_merge_config_selectorIjNS0_10empty_typeEEEZZNS1_27merge_sort_block_merge_implIS3_PjPS5_jNS1_19radix_merge_compareILb0ELb0EjNS0_19identity_decomposerEEEEE10hipError_tT0_T1_T2_jT3_P12ihipStream_tbPNSt15iterator_traitsISE_E10value_typeEPNSK_ISF_E10value_typeEPSG_NS1_7vsmem_tEENKUlT_SE_SF_SG_E_clIS8_S8_S9_S9_EESD_ST_SE_SF_SG_EUlST_E0_NS1_11comp_targetILNS1_3genE5ELNS1_11target_archE942ELNS1_3gpuE9ELNS1_3repE0EEENS1_38merge_mergepath_config_static_selectorELNS0_4arch9wavefront6targetE0EEEvSF_
                                        ; -- End function
	.set _ZN7rocprim17ROCPRIM_400000_NS6detail17trampoline_kernelINS0_14default_configENS1_38merge_sort_block_merge_config_selectorIjNS0_10empty_typeEEEZZNS1_27merge_sort_block_merge_implIS3_PjPS5_jNS1_19radix_merge_compareILb0ELb0EjNS0_19identity_decomposerEEEEE10hipError_tT0_T1_T2_jT3_P12ihipStream_tbPNSt15iterator_traitsISE_E10value_typeEPNSK_ISF_E10value_typeEPSG_NS1_7vsmem_tEENKUlT_SE_SF_SG_E_clIS8_S8_S9_S9_EESD_ST_SE_SF_SG_EUlST_E0_NS1_11comp_targetILNS1_3genE5ELNS1_11target_archE942ELNS1_3gpuE9ELNS1_3repE0EEENS1_38merge_mergepath_config_static_selectorELNS0_4arch9wavefront6targetE0EEEvSF_.num_vgpr, 0
	.set _ZN7rocprim17ROCPRIM_400000_NS6detail17trampoline_kernelINS0_14default_configENS1_38merge_sort_block_merge_config_selectorIjNS0_10empty_typeEEEZZNS1_27merge_sort_block_merge_implIS3_PjPS5_jNS1_19radix_merge_compareILb0ELb0EjNS0_19identity_decomposerEEEEE10hipError_tT0_T1_T2_jT3_P12ihipStream_tbPNSt15iterator_traitsISE_E10value_typeEPNSK_ISF_E10value_typeEPSG_NS1_7vsmem_tEENKUlT_SE_SF_SG_E_clIS8_S8_S9_S9_EESD_ST_SE_SF_SG_EUlST_E0_NS1_11comp_targetILNS1_3genE5ELNS1_11target_archE942ELNS1_3gpuE9ELNS1_3repE0EEENS1_38merge_mergepath_config_static_selectorELNS0_4arch9wavefront6targetE0EEEvSF_.num_agpr, 0
	.set _ZN7rocprim17ROCPRIM_400000_NS6detail17trampoline_kernelINS0_14default_configENS1_38merge_sort_block_merge_config_selectorIjNS0_10empty_typeEEEZZNS1_27merge_sort_block_merge_implIS3_PjPS5_jNS1_19radix_merge_compareILb0ELb0EjNS0_19identity_decomposerEEEEE10hipError_tT0_T1_T2_jT3_P12ihipStream_tbPNSt15iterator_traitsISE_E10value_typeEPNSK_ISF_E10value_typeEPSG_NS1_7vsmem_tEENKUlT_SE_SF_SG_E_clIS8_S8_S9_S9_EESD_ST_SE_SF_SG_EUlST_E0_NS1_11comp_targetILNS1_3genE5ELNS1_11target_archE942ELNS1_3gpuE9ELNS1_3repE0EEENS1_38merge_mergepath_config_static_selectorELNS0_4arch9wavefront6targetE0EEEvSF_.numbered_sgpr, 0
	.set _ZN7rocprim17ROCPRIM_400000_NS6detail17trampoline_kernelINS0_14default_configENS1_38merge_sort_block_merge_config_selectorIjNS0_10empty_typeEEEZZNS1_27merge_sort_block_merge_implIS3_PjPS5_jNS1_19radix_merge_compareILb0ELb0EjNS0_19identity_decomposerEEEEE10hipError_tT0_T1_T2_jT3_P12ihipStream_tbPNSt15iterator_traitsISE_E10value_typeEPNSK_ISF_E10value_typeEPSG_NS1_7vsmem_tEENKUlT_SE_SF_SG_E_clIS8_S8_S9_S9_EESD_ST_SE_SF_SG_EUlST_E0_NS1_11comp_targetILNS1_3genE5ELNS1_11target_archE942ELNS1_3gpuE9ELNS1_3repE0EEENS1_38merge_mergepath_config_static_selectorELNS0_4arch9wavefront6targetE0EEEvSF_.num_named_barrier, 0
	.set _ZN7rocprim17ROCPRIM_400000_NS6detail17trampoline_kernelINS0_14default_configENS1_38merge_sort_block_merge_config_selectorIjNS0_10empty_typeEEEZZNS1_27merge_sort_block_merge_implIS3_PjPS5_jNS1_19radix_merge_compareILb0ELb0EjNS0_19identity_decomposerEEEEE10hipError_tT0_T1_T2_jT3_P12ihipStream_tbPNSt15iterator_traitsISE_E10value_typeEPNSK_ISF_E10value_typeEPSG_NS1_7vsmem_tEENKUlT_SE_SF_SG_E_clIS8_S8_S9_S9_EESD_ST_SE_SF_SG_EUlST_E0_NS1_11comp_targetILNS1_3genE5ELNS1_11target_archE942ELNS1_3gpuE9ELNS1_3repE0EEENS1_38merge_mergepath_config_static_selectorELNS0_4arch9wavefront6targetE0EEEvSF_.private_seg_size, 0
	.set _ZN7rocprim17ROCPRIM_400000_NS6detail17trampoline_kernelINS0_14default_configENS1_38merge_sort_block_merge_config_selectorIjNS0_10empty_typeEEEZZNS1_27merge_sort_block_merge_implIS3_PjPS5_jNS1_19radix_merge_compareILb0ELb0EjNS0_19identity_decomposerEEEEE10hipError_tT0_T1_T2_jT3_P12ihipStream_tbPNSt15iterator_traitsISE_E10value_typeEPNSK_ISF_E10value_typeEPSG_NS1_7vsmem_tEENKUlT_SE_SF_SG_E_clIS8_S8_S9_S9_EESD_ST_SE_SF_SG_EUlST_E0_NS1_11comp_targetILNS1_3genE5ELNS1_11target_archE942ELNS1_3gpuE9ELNS1_3repE0EEENS1_38merge_mergepath_config_static_selectorELNS0_4arch9wavefront6targetE0EEEvSF_.uses_vcc, 0
	.set _ZN7rocprim17ROCPRIM_400000_NS6detail17trampoline_kernelINS0_14default_configENS1_38merge_sort_block_merge_config_selectorIjNS0_10empty_typeEEEZZNS1_27merge_sort_block_merge_implIS3_PjPS5_jNS1_19radix_merge_compareILb0ELb0EjNS0_19identity_decomposerEEEEE10hipError_tT0_T1_T2_jT3_P12ihipStream_tbPNSt15iterator_traitsISE_E10value_typeEPNSK_ISF_E10value_typeEPSG_NS1_7vsmem_tEENKUlT_SE_SF_SG_E_clIS8_S8_S9_S9_EESD_ST_SE_SF_SG_EUlST_E0_NS1_11comp_targetILNS1_3genE5ELNS1_11target_archE942ELNS1_3gpuE9ELNS1_3repE0EEENS1_38merge_mergepath_config_static_selectorELNS0_4arch9wavefront6targetE0EEEvSF_.uses_flat_scratch, 0
	.set _ZN7rocprim17ROCPRIM_400000_NS6detail17trampoline_kernelINS0_14default_configENS1_38merge_sort_block_merge_config_selectorIjNS0_10empty_typeEEEZZNS1_27merge_sort_block_merge_implIS3_PjPS5_jNS1_19radix_merge_compareILb0ELb0EjNS0_19identity_decomposerEEEEE10hipError_tT0_T1_T2_jT3_P12ihipStream_tbPNSt15iterator_traitsISE_E10value_typeEPNSK_ISF_E10value_typeEPSG_NS1_7vsmem_tEENKUlT_SE_SF_SG_E_clIS8_S8_S9_S9_EESD_ST_SE_SF_SG_EUlST_E0_NS1_11comp_targetILNS1_3genE5ELNS1_11target_archE942ELNS1_3gpuE9ELNS1_3repE0EEENS1_38merge_mergepath_config_static_selectorELNS0_4arch9wavefront6targetE0EEEvSF_.has_dyn_sized_stack, 0
	.set _ZN7rocprim17ROCPRIM_400000_NS6detail17trampoline_kernelINS0_14default_configENS1_38merge_sort_block_merge_config_selectorIjNS0_10empty_typeEEEZZNS1_27merge_sort_block_merge_implIS3_PjPS5_jNS1_19radix_merge_compareILb0ELb0EjNS0_19identity_decomposerEEEEE10hipError_tT0_T1_T2_jT3_P12ihipStream_tbPNSt15iterator_traitsISE_E10value_typeEPNSK_ISF_E10value_typeEPSG_NS1_7vsmem_tEENKUlT_SE_SF_SG_E_clIS8_S8_S9_S9_EESD_ST_SE_SF_SG_EUlST_E0_NS1_11comp_targetILNS1_3genE5ELNS1_11target_archE942ELNS1_3gpuE9ELNS1_3repE0EEENS1_38merge_mergepath_config_static_selectorELNS0_4arch9wavefront6targetE0EEEvSF_.has_recursion, 0
	.set _ZN7rocprim17ROCPRIM_400000_NS6detail17trampoline_kernelINS0_14default_configENS1_38merge_sort_block_merge_config_selectorIjNS0_10empty_typeEEEZZNS1_27merge_sort_block_merge_implIS3_PjPS5_jNS1_19radix_merge_compareILb0ELb0EjNS0_19identity_decomposerEEEEE10hipError_tT0_T1_T2_jT3_P12ihipStream_tbPNSt15iterator_traitsISE_E10value_typeEPNSK_ISF_E10value_typeEPSG_NS1_7vsmem_tEENKUlT_SE_SF_SG_E_clIS8_S8_S9_S9_EESD_ST_SE_SF_SG_EUlST_E0_NS1_11comp_targetILNS1_3genE5ELNS1_11target_archE942ELNS1_3gpuE9ELNS1_3repE0EEENS1_38merge_mergepath_config_static_selectorELNS0_4arch9wavefront6targetE0EEEvSF_.has_indirect_call, 0
	.section	.AMDGPU.csdata,"",@progbits
; Kernel info:
; codeLenInByte = 0
; TotalNumSgprs: 0
; NumVgprs: 0
; ScratchSize: 0
; MemoryBound: 0
; FloatMode: 240
; IeeeMode: 1
; LDSByteSize: 0 bytes/workgroup (compile time only)
; SGPRBlocks: 0
; VGPRBlocks: 0
; NumSGPRsForWavesPerEU: 1
; NumVGPRsForWavesPerEU: 1
; NamedBarCnt: 0
; Occupancy: 16
; WaveLimiterHint : 0
; COMPUTE_PGM_RSRC2:SCRATCH_EN: 0
; COMPUTE_PGM_RSRC2:USER_SGPR: 2
; COMPUTE_PGM_RSRC2:TRAP_HANDLER: 0
; COMPUTE_PGM_RSRC2:TGID_X_EN: 1
; COMPUTE_PGM_RSRC2:TGID_Y_EN: 0
; COMPUTE_PGM_RSRC2:TGID_Z_EN: 0
; COMPUTE_PGM_RSRC2:TIDIG_COMP_CNT: 0
	.section	.text._ZN7rocprim17ROCPRIM_400000_NS6detail17trampoline_kernelINS0_14default_configENS1_38merge_sort_block_merge_config_selectorIjNS0_10empty_typeEEEZZNS1_27merge_sort_block_merge_implIS3_PjPS5_jNS1_19radix_merge_compareILb0ELb0EjNS0_19identity_decomposerEEEEE10hipError_tT0_T1_T2_jT3_P12ihipStream_tbPNSt15iterator_traitsISE_E10value_typeEPNSK_ISF_E10value_typeEPSG_NS1_7vsmem_tEENKUlT_SE_SF_SG_E_clIS8_S8_S9_S9_EESD_ST_SE_SF_SG_EUlST_E0_NS1_11comp_targetILNS1_3genE4ELNS1_11target_archE910ELNS1_3gpuE8ELNS1_3repE0EEENS1_38merge_mergepath_config_static_selectorELNS0_4arch9wavefront6targetE0EEEvSF_,"axG",@progbits,_ZN7rocprim17ROCPRIM_400000_NS6detail17trampoline_kernelINS0_14default_configENS1_38merge_sort_block_merge_config_selectorIjNS0_10empty_typeEEEZZNS1_27merge_sort_block_merge_implIS3_PjPS5_jNS1_19radix_merge_compareILb0ELb0EjNS0_19identity_decomposerEEEEE10hipError_tT0_T1_T2_jT3_P12ihipStream_tbPNSt15iterator_traitsISE_E10value_typeEPNSK_ISF_E10value_typeEPSG_NS1_7vsmem_tEENKUlT_SE_SF_SG_E_clIS8_S8_S9_S9_EESD_ST_SE_SF_SG_EUlST_E0_NS1_11comp_targetILNS1_3genE4ELNS1_11target_archE910ELNS1_3gpuE8ELNS1_3repE0EEENS1_38merge_mergepath_config_static_selectorELNS0_4arch9wavefront6targetE0EEEvSF_,comdat
	.protected	_ZN7rocprim17ROCPRIM_400000_NS6detail17trampoline_kernelINS0_14default_configENS1_38merge_sort_block_merge_config_selectorIjNS0_10empty_typeEEEZZNS1_27merge_sort_block_merge_implIS3_PjPS5_jNS1_19radix_merge_compareILb0ELb0EjNS0_19identity_decomposerEEEEE10hipError_tT0_T1_T2_jT3_P12ihipStream_tbPNSt15iterator_traitsISE_E10value_typeEPNSK_ISF_E10value_typeEPSG_NS1_7vsmem_tEENKUlT_SE_SF_SG_E_clIS8_S8_S9_S9_EESD_ST_SE_SF_SG_EUlST_E0_NS1_11comp_targetILNS1_3genE4ELNS1_11target_archE910ELNS1_3gpuE8ELNS1_3repE0EEENS1_38merge_mergepath_config_static_selectorELNS0_4arch9wavefront6targetE0EEEvSF_ ; -- Begin function _ZN7rocprim17ROCPRIM_400000_NS6detail17trampoline_kernelINS0_14default_configENS1_38merge_sort_block_merge_config_selectorIjNS0_10empty_typeEEEZZNS1_27merge_sort_block_merge_implIS3_PjPS5_jNS1_19radix_merge_compareILb0ELb0EjNS0_19identity_decomposerEEEEE10hipError_tT0_T1_T2_jT3_P12ihipStream_tbPNSt15iterator_traitsISE_E10value_typeEPNSK_ISF_E10value_typeEPSG_NS1_7vsmem_tEENKUlT_SE_SF_SG_E_clIS8_S8_S9_S9_EESD_ST_SE_SF_SG_EUlST_E0_NS1_11comp_targetILNS1_3genE4ELNS1_11target_archE910ELNS1_3gpuE8ELNS1_3repE0EEENS1_38merge_mergepath_config_static_selectorELNS0_4arch9wavefront6targetE0EEEvSF_
	.globl	_ZN7rocprim17ROCPRIM_400000_NS6detail17trampoline_kernelINS0_14default_configENS1_38merge_sort_block_merge_config_selectorIjNS0_10empty_typeEEEZZNS1_27merge_sort_block_merge_implIS3_PjPS5_jNS1_19radix_merge_compareILb0ELb0EjNS0_19identity_decomposerEEEEE10hipError_tT0_T1_T2_jT3_P12ihipStream_tbPNSt15iterator_traitsISE_E10value_typeEPNSK_ISF_E10value_typeEPSG_NS1_7vsmem_tEENKUlT_SE_SF_SG_E_clIS8_S8_S9_S9_EESD_ST_SE_SF_SG_EUlST_E0_NS1_11comp_targetILNS1_3genE4ELNS1_11target_archE910ELNS1_3gpuE8ELNS1_3repE0EEENS1_38merge_mergepath_config_static_selectorELNS0_4arch9wavefront6targetE0EEEvSF_
	.p2align	8
	.type	_ZN7rocprim17ROCPRIM_400000_NS6detail17trampoline_kernelINS0_14default_configENS1_38merge_sort_block_merge_config_selectorIjNS0_10empty_typeEEEZZNS1_27merge_sort_block_merge_implIS3_PjPS5_jNS1_19radix_merge_compareILb0ELb0EjNS0_19identity_decomposerEEEEE10hipError_tT0_T1_T2_jT3_P12ihipStream_tbPNSt15iterator_traitsISE_E10value_typeEPNSK_ISF_E10value_typeEPSG_NS1_7vsmem_tEENKUlT_SE_SF_SG_E_clIS8_S8_S9_S9_EESD_ST_SE_SF_SG_EUlST_E0_NS1_11comp_targetILNS1_3genE4ELNS1_11target_archE910ELNS1_3gpuE8ELNS1_3repE0EEENS1_38merge_mergepath_config_static_selectorELNS0_4arch9wavefront6targetE0EEEvSF_,@function
_ZN7rocprim17ROCPRIM_400000_NS6detail17trampoline_kernelINS0_14default_configENS1_38merge_sort_block_merge_config_selectorIjNS0_10empty_typeEEEZZNS1_27merge_sort_block_merge_implIS3_PjPS5_jNS1_19radix_merge_compareILb0ELb0EjNS0_19identity_decomposerEEEEE10hipError_tT0_T1_T2_jT3_P12ihipStream_tbPNSt15iterator_traitsISE_E10value_typeEPNSK_ISF_E10value_typeEPSG_NS1_7vsmem_tEENKUlT_SE_SF_SG_E_clIS8_S8_S9_S9_EESD_ST_SE_SF_SG_EUlST_E0_NS1_11comp_targetILNS1_3genE4ELNS1_11target_archE910ELNS1_3gpuE8ELNS1_3repE0EEENS1_38merge_mergepath_config_static_selectorELNS0_4arch9wavefront6targetE0EEEvSF_: ; @_ZN7rocprim17ROCPRIM_400000_NS6detail17trampoline_kernelINS0_14default_configENS1_38merge_sort_block_merge_config_selectorIjNS0_10empty_typeEEEZZNS1_27merge_sort_block_merge_implIS3_PjPS5_jNS1_19radix_merge_compareILb0ELb0EjNS0_19identity_decomposerEEEEE10hipError_tT0_T1_T2_jT3_P12ihipStream_tbPNSt15iterator_traitsISE_E10value_typeEPNSK_ISF_E10value_typeEPSG_NS1_7vsmem_tEENKUlT_SE_SF_SG_E_clIS8_S8_S9_S9_EESD_ST_SE_SF_SG_EUlST_E0_NS1_11comp_targetILNS1_3genE4ELNS1_11target_archE910ELNS1_3gpuE8ELNS1_3repE0EEENS1_38merge_mergepath_config_static_selectorELNS0_4arch9wavefront6targetE0EEEvSF_
; %bb.0:
	.section	.rodata,"a",@progbits
	.p2align	6, 0x0
	.amdhsa_kernel _ZN7rocprim17ROCPRIM_400000_NS6detail17trampoline_kernelINS0_14default_configENS1_38merge_sort_block_merge_config_selectorIjNS0_10empty_typeEEEZZNS1_27merge_sort_block_merge_implIS3_PjPS5_jNS1_19radix_merge_compareILb0ELb0EjNS0_19identity_decomposerEEEEE10hipError_tT0_T1_T2_jT3_P12ihipStream_tbPNSt15iterator_traitsISE_E10value_typeEPNSK_ISF_E10value_typeEPSG_NS1_7vsmem_tEENKUlT_SE_SF_SG_E_clIS8_S8_S9_S9_EESD_ST_SE_SF_SG_EUlST_E0_NS1_11comp_targetILNS1_3genE4ELNS1_11target_archE910ELNS1_3gpuE8ELNS1_3repE0EEENS1_38merge_mergepath_config_static_selectorELNS0_4arch9wavefront6targetE0EEEvSF_
		.amdhsa_group_segment_fixed_size 0
		.amdhsa_private_segment_fixed_size 0
		.amdhsa_kernarg_size 64
		.amdhsa_user_sgpr_count 2
		.amdhsa_user_sgpr_dispatch_ptr 0
		.amdhsa_user_sgpr_queue_ptr 0
		.amdhsa_user_sgpr_kernarg_segment_ptr 1
		.amdhsa_user_sgpr_dispatch_id 0
		.amdhsa_user_sgpr_kernarg_preload_length 0
		.amdhsa_user_sgpr_kernarg_preload_offset 0
		.amdhsa_user_sgpr_private_segment_size 0
		.amdhsa_wavefront_size32 1
		.amdhsa_uses_dynamic_stack 0
		.amdhsa_enable_private_segment 0
		.amdhsa_system_sgpr_workgroup_id_x 1
		.amdhsa_system_sgpr_workgroup_id_y 0
		.amdhsa_system_sgpr_workgroup_id_z 0
		.amdhsa_system_sgpr_workgroup_info 0
		.amdhsa_system_vgpr_workitem_id 0
		.amdhsa_next_free_vgpr 1
		.amdhsa_next_free_sgpr 1
		.amdhsa_named_barrier_count 0
		.amdhsa_reserve_vcc 0
		.amdhsa_float_round_mode_32 0
		.amdhsa_float_round_mode_16_64 0
		.amdhsa_float_denorm_mode_32 3
		.amdhsa_float_denorm_mode_16_64 3
		.amdhsa_fp16_overflow 0
		.amdhsa_memory_ordered 1
		.amdhsa_forward_progress 1
		.amdhsa_inst_pref_size 0
		.amdhsa_round_robin_scheduling 0
		.amdhsa_exception_fp_ieee_invalid_op 0
		.amdhsa_exception_fp_denorm_src 0
		.amdhsa_exception_fp_ieee_div_zero 0
		.amdhsa_exception_fp_ieee_overflow 0
		.amdhsa_exception_fp_ieee_underflow 0
		.amdhsa_exception_fp_ieee_inexact 0
		.amdhsa_exception_int_div_zero 0
	.end_amdhsa_kernel
	.section	.text._ZN7rocprim17ROCPRIM_400000_NS6detail17trampoline_kernelINS0_14default_configENS1_38merge_sort_block_merge_config_selectorIjNS0_10empty_typeEEEZZNS1_27merge_sort_block_merge_implIS3_PjPS5_jNS1_19radix_merge_compareILb0ELb0EjNS0_19identity_decomposerEEEEE10hipError_tT0_T1_T2_jT3_P12ihipStream_tbPNSt15iterator_traitsISE_E10value_typeEPNSK_ISF_E10value_typeEPSG_NS1_7vsmem_tEENKUlT_SE_SF_SG_E_clIS8_S8_S9_S9_EESD_ST_SE_SF_SG_EUlST_E0_NS1_11comp_targetILNS1_3genE4ELNS1_11target_archE910ELNS1_3gpuE8ELNS1_3repE0EEENS1_38merge_mergepath_config_static_selectorELNS0_4arch9wavefront6targetE0EEEvSF_,"axG",@progbits,_ZN7rocprim17ROCPRIM_400000_NS6detail17trampoline_kernelINS0_14default_configENS1_38merge_sort_block_merge_config_selectorIjNS0_10empty_typeEEEZZNS1_27merge_sort_block_merge_implIS3_PjPS5_jNS1_19radix_merge_compareILb0ELb0EjNS0_19identity_decomposerEEEEE10hipError_tT0_T1_T2_jT3_P12ihipStream_tbPNSt15iterator_traitsISE_E10value_typeEPNSK_ISF_E10value_typeEPSG_NS1_7vsmem_tEENKUlT_SE_SF_SG_E_clIS8_S8_S9_S9_EESD_ST_SE_SF_SG_EUlST_E0_NS1_11comp_targetILNS1_3genE4ELNS1_11target_archE910ELNS1_3gpuE8ELNS1_3repE0EEENS1_38merge_mergepath_config_static_selectorELNS0_4arch9wavefront6targetE0EEEvSF_,comdat
.Lfunc_end2689:
	.size	_ZN7rocprim17ROCPRIM_400000_NS6detail17trampoline_kernelINS0_14default_configENS1_38merge_sort_block_merge_config_selectorIjNS0_10empty_typeEEEZZNS1_27merge_sort_block_merge_implIS3_PjPS5_jNS1_19radix_merge_compareILb0ELb0EjNS0_19identity_decomposerEEEEE10hipError_tT0_T1_T2_jT3_P12ihipStream_tbPNSt15iterator_traitsISE_E10value_typeEPNSK_ISF_E10value_typeEPSG_NS1_7vsmem_tEENKUlT_SE_SF_SG_E_clIS8_S8_S9_S9_EESD_ST_SE_SF_SG_EUlST_E0_NS1_11comp_targetILNS1_3genE4ELNS1_11target_archE910ELNS1_3gpuE8ELNS1_3repE0EEENS1_38merge_mergepath_config_static_selectorELNS0_4arch9wavefront6targetE0EEEvSF_, .Lfunc_end2689-_ZN7rocprim17ROCPRIM_400000_NS6detail17trampoline_kernelINS0_14default_configENS1_38merge_sort_block_merge_config_selectorIjNS0_10empty_typeEEEZZNS1_27merge_sort_block_merge_implIS3_PjPS5_jNS1_19radix_merge_compareILb0ELb0EjNS0_19identity_decomposerEEEEE10hipError_tT0_T1_T2_jT3_P12ihipStream_tbPNSt15iterator_traitsISE_E10value_typeEPNSK_ISF_E10value_typeEPSG_NS1_7vsmem_tEENKUlT_SE_SF_SG_E_clIS8_S8_S9_S9_EESD_ST_SE_SF_SG_EUlST_E0_NS1_11comp_targetILNS1_3genE4ELNS1_11target_archE910ELNS1_3gpuE8ELNS1_3repE0EEENS1_38merge_mergepath_config_static_selectorELNS0_4arch9wavefront6targetE0EEEvSF_
                                        ; -- End function
	.set _ZN7rocprim17ROCPRIM_400000_NS6detail17trampoline_kernelINS0_14default_configENS1_38merge_sort_block_merge_config_selectorIjNS0_10empty_typeEEEZZNS1_27merge_sort_block_merge_implIS3_PjPS5_jNS1_19radix_merge_compareILb0ELb0EjNS0_19identity_decomposerEEEEE10hipError_tT0_T1_T2_jT3_P12ihipStream_tbPNSt15iterator_traitsISE_E10value_typeEPNSK_ISF_E10value_typeEPSG_NS1_7vsmem_tEENKUlT_SE_SF_SG_E_clIS8_S8_S9_S9_EESD_ST_SE_SF_SG_EUlST_E0_NS1_11comp_targetILNS1_3genE4ELNS1_11target_archE910ELNS1_3gpuE8ELNS1_3repE0EEENS1_38merge_mergepath_config_static_selectorELNS0_4arch9wavefront6targetE0EEEvSF_.num_vgpr, 0
	.set _ZN7rocprim17ROCPRIM_400000_NS6detail17trampoline_kernelINS0_14default_configENS1_38merge_sort_block_merge_config_selectorIjNS0_10empty_typeEEEZZNS1_27merge_sort_block_merge_implIS3_PjPS5_jNS1_19radix_merge_compareILb0ELb0EjNS0_19identity_decomposerEEEEE10hipError_tT0_T1_T2_jT3_P12ihipStream_tbPNSt15iterator_traitsISE_E10value_typeEPNSK_ISF_E10value_typeEPSG_NS1_7vsmem_tEENKUlT_SE_SF_SG_E_clIS8_S8_S9_S9_EESD_ST_SE_SF_SG_EUlST_E0_NS1_11comp_targetILNS1_3genE4ELNS1_11target_archE910ELNS1_3gpuE8ELNS1_3repE0EEENS1_38merge_mergepath_config_static_selectorELNS0_4arch9wavefront6targetE0EEEvSF_.num_agpr, 0
	.set _ZN7rocprim17ROCPRIM_400000_NS6detail17trampoline_kernelINS0_14default_configENS1_38merge_sort_block_merge_config_selectorIjNS0_10empty_typeEEEZZNS1_27merge_sort_block_merge_implIS3_PjPS5_jNS1_19radix_merge_compareILb0ELb0EjNS0_19identity_decomposerEEEEE10hipError_tT0_T1_T2_jT3_P12ihipStream_tbPNSt15iterator_traitsISE_E10value_typeEPNSK_ISF_E10value_typeEPSG_NS1_7vsmem_tEENKUlT_SE_SF_SG_E_clIS8_S8_S9_S9_EESD_ST_SE_SF_SG_EUlST_E0_NS1_11comp_targetILNS1_3genE4ELNS1_11target_archE910ELNS1_3gpuE8ELNS1_3repE0EEENS1_38merge_mergepath_config_static_selectorELNS0_4arch9wavefront6targetE0EEEvSF_.numbered_sgpr, 0
	.set _ZN7rocprim17ROCPRIM_400000_NS6detail17trampoline_kernelINS0_14default_configENS1_38merge_sort_block_merge_config_selectorIjNS0_10empty_typeEEEZZNS1_27merge_sort_block_merge_implIS3_PjPS5_jNS1_19radix_merge_compareILb0ELb0EjNS0_19identity_decomposerEEEEE10hipError_tT0_T1_T2_jT3_P12ihipStream_tbPNSt15iterator_traitsISE_E10value_typeEPNSK_ISF_E10value_typeEPSG_NS1_7vsmem_tEENKUlT_SE_SF_SG_E_clIS8_S8_S9_S9_EESD_ST_SE_SF_SG_EUlST_E0_NS1_11comp_targetILNS1_3genE4ELNS1_11target_archE910ELNS1_3gpuE8ELNS1_3repE0EEENS1_38merge_mergepath_config_static_selectorELNS0_4arch9wavefront6targetE0EEEvSF_.num_named_barrier, 0
	.set _ZN7rocprim17ROCPRIM_400000_NS6detail17trampoline_kernelINS0_14default_configENS1_38merge_sort_block_merge_config_selectorIjNS0_10empty_typeEEEZZNS1_27merge_sort_block_merge_implIS3_PjPS5_jNS1_19radix_merge_compareILb0ELb0EjNS0_19identity_decomposerEEEEE10hipError_tT0_T1_T2_jT3_P12ihipStream_tbPNSt15iterator_traitsISE_E10value_typeEPNSK_ISF_E10value_typeEPSG_NS1_7vsmem_tEENKUlT_SE_SF_SG_E_clIS8_S8_S9_S9_EESD_ST_SE_SF_SG_EUlST_E0_NS1_11comp_targetILNS1_3genE4ELNS1_11target_archE910ELNS1_3gpuE8ELNS1_3repE0EEENS1_38merge_mergepath_config_static_selectorELNS0_4arch9wavefront6targetE0EEEvSF_.private_seg_size, 0
	.set _ZN7rocprim17ROCPRIM_400000_NS6detail17trampoline_kernelINS0_14default_configENS1_38merge_sort_block_merge_config_selectorIjNS0_10empty_typeEEEZZNS1_27merge_sort_block_merge_implIS3_PjPS5_jNS1_19radix_merge_compareILb0ELb0EjNS0_19identity_decomposerEEEEE10hipError_tT0_T1_T2_jT3_P12ihipStream_tbPNSt15iterator_traitsISE_E10value_typeEPNSK_ISF_E10value_typeEPSG_NS1_7vsmem_tEENKUlT_SE_SF_SG_E_clIS8_S8_S9_S9_EESD_ST_SE_SF_SG_EUlST_E0_NS1_11comp_targetILNS1_3genE4ELNS1_11target_archE910ELNS1_3gpuE8ELNS1_3repE0EEENS1_38merge_mergepath_config_static_selectorELNS0_4arch9wavefront6targetE0EEEvSF_.uses_vcc, 0
	.set _ZN7rocprim17ROCPRIM_400000_NS6detail17trampoline_kernelINS0_14default_configENS1_38merge_sort_block_merge_config_selectorIjNS0_10empty_typeEEEZZNS1_27merge_sort_block_merge_implIS3_PjPS5_jNS1_19radix_merge_compareILb0ELb0EjNS0_19identity_decomposerEEEEE10hipError_tT0_T1_T2_jT3_P12ihipStream_tbPNSt15iterator_traitsISE_E10value_typeEPNSK_ISF_E10value_typeEPSG_NS1_7vsmem_tEENKUlT_SE_SF_SG_E_clIS8_S8_S9_S9_EESD_ST_SE_SF_SG_EUlST_E0_NS1_11comp_targetILNS1_3genE4ELNS1_11target_archE910ELNS1_3gpuE8ELNS1_3repE0EEENS1_38merge_mergepath_config_static_selectorELNS0_4arch9wavefront6targetE0EEEvSF_.uses_flat_scratch, 0
	.set _ZN7rocprim17ROCPRIM_400000_NS6detail17trampoline_kernelINS0_14default_configENS1_38merge_sort_block_merge_config_selectorIjNS0_10empty_typeEEEZZNS1_27merge_sort_block_merge_implIS3_PjPS5_jNS1_19radix_merge_compareILb0ELb0EjNS0_19identity_decomposerEEEEE10hipError_tT0_T1_T2_jT3_P12ihipStream_tbPNSt15iterator_traitsISE_E10value_typeEPNSK_ISF_E10value_typeEPSG_NS1_7vsmem_tEENKUlT_SE_SF_SG_E_clIS8_S8_S9_S9_EESD_ST_SE_SF_SG_EUlST_E0_NS1_11comp_targetILNS1_3genE4ELNS1_11target_archE910ELNS1_3gpuE8ELNS1_3repE0EEENS1_38merge_mergepath_config_static_selectorELNS0_4arch9wavefront6targetE0EEEvSF_.has_dyn_sized_stack, 0
	.set _ZN7rocprim17ROCPRIM_400000_NS6detail17trampoline_kernelINS0_14default_configENS1_38merge_sort_block_merge_config_selectorIjNS0_10empty_typeEEEZZNS1_27merge_sort_block_merge_implIS3_PjPS5_jNS1_19radix_merge_compareILb0ELb0EjNS0_19identity_decomposerEEEEE10hipError_tT0_T1_T2_jT3_P12ihipStream_tbPNSt15iterator_traitsISE_E10value_typeEPNSK_ISF_E10value_typeEPSG_NS1_7vsmem_tEENKUlT_SE_SF_SG_E_clIS8_S8_S9_S9_EESD_ST_SE_SF_SG_EUlST_E0_NS1_11comp_targetILNS1_3genE4ELNS1_11target_archE910ELNS1_3gpuE8ELNS1_3repE0EEENS1_38merge_mergepath_config_static_selectorELNS0_4arch9wavefront6targetE0EEEvSF_.has_recursion, 0
	.set _ZN7rocprim17ROCPRIM_400000_NS6detail17trampoline_kernelINS0_14default_configENS1_38merge_sort_block_merge_config_selectorIjNS0_10empty_typeEEEZZNS1_27merge_sort_block_merge_implIS3_PjPS5_jNS1_19radix_merge_compareILb0ELb0EjNS0_19identity_decomposerEEEEE10hipError_tT0_T1_T2_jT3_P12ihipStream_tbPNSt15iterator_traitsISE_E10value_typeEPNSK_ISF_E10value_typeEPSG_NS1_7vsmem_tEENKUlT_SE_SF_SG_E_clIS8_S8_S9_S9_EESD_ST_SE_SF_SG_EUlST_E0_NS1_11comp_targetILNS1_3genE4ELNS1_11target_archE910ELNS1_3gpuE8ELNS1_3repE0EEENS1_38merge_mergepath_config_static_selectorELNS0_4arch9wavefront6targetE0EEEvSF_.has_indirect_call, 0
	.section	.AMDGPU.csdata,"",@progbits
; Kernel info:
; codeLenInByte = 0
; TotalNumSgprs: 0
; NumVgprs: 0
; ScratchSize: 0
; MemoryBound: 0
; FloatMode: 240
; IeeeMode: 1
; LDSByteSize: 0 bytes/workgroup (compile time only)
; SGPRBlocks: 0
; VGPRBlocks: 0
; NumSGPRsForWavesPerEU: 1
; NumVGPRsForWavesPerEU: 1
; NamedBarCnt: 0
; Occupancy: 16
; WaveLimiterHint : 0
; COMPUTE_PGM_RSRC2:SCRATCH_EN: 0
; COMPUTE_PGM_RSRC2:USER_SGPR: 2
; COMPUTE_PGM_RSRC2:TRAP_HANDLER: 0
; COMPUTE_PGM_RSRC2:TGID_X_EN: 1
; COMPUTE_PGM_RSRC2:TGID_Y_EN: 0
; COMPUTE_PGM_RSRC2:TGID_Z_EN: 0
; COMPUTE_PGM_RSRC2:TIDIG_COMP_CNT: 0
	.section	.text._ZN7rocprim17ROCPRIM_400000_NS6detail17trampoline_kernelINS0_14default_configENS1_38merge_sort_block_merge_config_selectorIjNS0_10empty_typeEEEZZNS1_27merge_sort_block_merge_implIS3_PjPS5_jNS1_19radix_merge_compareILb0ELb0EjNS0_19identity_decomposerEEEEE10hipError_tT0_T1_T2_jT3_P12ihipStream_tbPNSt15iterator_traitsISE_E10value_typeEPNSK_ISF_E10value_typeEPSG_NS1_7vsmem_tEENKUlT_SE_SF_SG_E_clIS8_S8_S9_S9_EESD_ST_SE_SF_SG_EUlST_E0_NS1_11comp_targetILNS1_3genE3ELNS1_11target_archE908ELNS1_3gpuE7ELNS1_3repE0EEENS1_38merge_mergepath_config_static_selectorELNS0_4arch9wavefront6targetE0EEEvSF_,"axG",@progbits,_ZN7rocprim17ROCPRIM_400000_NS6detail17trampoline_kernelINS0_14default_configENS1_38merge_sort_block_merge_config_selectorIjNS0_10empty_typeEEEZZNS1_27merge_sort_block_merge_implIS3_PjPS5_jNS1_19radix_merge_compareILb0ELb0EjNS0_19identity_decomposerEEEEE10hipError_tT0_T1_T2_jT3_P12ihipStream_tbPNSt15iterator_traitsISE_E10value_typeEPNSK_ISF_E10value_typeEPSG_NS1_7vsmem_tEENKUlT_SE_SF_SG_E_clIS8_S8_S9_S9_EESD_ST_SE_SF_SG_EUlST_E0_NS1_11comp_targetILNS1_3genE3ELNS1_11target_archE908ELNS1_3gpuE7ELNS1_3repE0EEENS1_38merge_mergepath_config_static_selectorELNS0_4arch9wavefront6targetE0EEEvSF_,comdat
	.protected	_ZN7rocprim17ROCPRIM_400000_NS6detail17trampoline_kernelINS0_14default_configENS1_38merge_sort_block_merge_config_selectorIjNS0_10empty_typeEEEZZNS1_27merge_sort_block_merge_implIS3_PjPS5_jNS1_19radix_merge_compareILb0ELb0EjNS0_19identity_decomposerEEEEE10hipError_tT0_T1_T2_jT3_P12ihipStream_tbPNSt15iterator_traitsISE_E10value_typeEPNSK_ISF_E10value_typeEPSG_NS1_7vsmem_tEENKUlT_SE_SF_SG_E_clIS8_S8_S9_S9_EESD_ST_SE_SF_SG_EUlST_E0_NS1_11comp_targetILNS1_3genE3ELNS1_11target_archE908ELNS1_3gpuE7ELNS1_3repE0EEENS1_38merge_mergepath_config_static_selectorELNS0_4arch9wavefront6targetE0EEEvSF_ ; -- Begin function _ZN7rocprim17ROCPRIM_400000_NS6detail17trampoline_kernelINS0_14default_configENS1_38merge_sort_block_merge_config_selectorIjNS0_10empty_typeEEEZZNS1_27merge_sort_block_merge_implIS3_PjPS5_jNS1_19radix_merge_compareILb0ELb0EjNS0_19identity_decomposerEEEEE10hipError_tT0_T1_T2_jT3_P12ihipStream_tbPNSt15iterator_traitsISE_E10value_typeEPNSK_ISF_E10value_typeEPSG_NS1_7vsmem_tEENKUlT_SE_SF_SG_E_clIS8_S8_S9_S9_EESD_ST_SE_SF_SG_EUlST_E0_NS1_11comp_targetILNS1_3genE3ELNS1_11target_archE908ELNS1_3gpuE7ELNS1_3repE0EEENS1_38merge_mergepath_config_static_selectorELNS0_4arch9wavefront6targetE0EEEvSF_
	.globl	_ZN7rocprim17ROCPRIM_400000_NS6detail17trampoline_kernelINS0_14default_configENS1_38merge_sort_block_merge_config_selectorIjNS0_10empty_typeEEEZZNS1_27merge_sort_block_merge_implIS3_PjPS5_jNS1_19radix_merge_compareILb0ELb0EjNS0_19identity_decomposerEEEEE10hipError_tT0_T1_T2_jT3_P12ihipStream_tbPNSt15iterator_traitsISE_E10value_typeEPNSK_ISF_E10value_typeEPSG_NS1_7vsmem_tEENKUlT_SE_SF_SG_E_clIS8_S8_S9_S9_EESD_ST_SE_SF_SG_EUlST_E0_NS1_11comp_targetILNS1_3genE3ELNS1_11target_archE908ELNS1_3gpuE7ELNS1_3repE0EEENS1_38merge_mergepath_config_static_selectorELNS0_4arch9wavefront6targetE0EEEvSF_
	.p2align	8
	.type	_ZN7rocprim17ROCPRIM_400000_NS6detail17trampoline_kernelINS0_14default_configENS1_38merge_sort_block_merge_config_selectorIjNS0_10empty_typeEEEZZNS1_27merge_sort_block_merge_implIS3_PjPS5_jNS1_19radix_merge_compareILb0ELb0EjNS0_19identity_decomposerEEEEE10hipError_tT0_T1_T2_jT3_P12ihipStream_tbPNSt15iterator_traitsISE_E10value_typeEPNSK_ISF_E10value_typeEPSG_NS1_7vsmem_tEENKUlT_SE_SF_SG_E_clIS8_S8_S9_S9_EESD_ST_SE_SF_SG_EUlST_E0_NS1_11comp_targetILNS1_3genE3ELNS1_11target_archE908ELNS1_3gpuE7ELNS1_3repE0EEENS1_38merge_mergepath_config_static_selectorELNS0_4arch9wavefront6targetE0EEEvSF_,@function
_ZN7rocprim17ROCPRIM_400000_NS6detail17trampoline_kernelINS0_14default_configENS1_38merge_sort_block_merge_config_selectorIjNS0_10empty_typeEEEZZNS1_27merge_sort_block_merge_implIS3_PjPS5_jNS1_19radix_merge_compareILb0ELb0EjNS0_19identity_decomposerEEEEE10hipError_tT0_T1_T2_jT3_P12ihipStream_tbPNSt15iterator_traitsISE_E10value_typeEPNSK_ISF_E10value_typeEPSG_NS1_7vsmem_tEENKUlT_SE_SF_SG_E_clIS8_S8_S9_S9_EESD_ST_SE_SF_SG_EUlST_E0_NS1_11comp_targetILNS1_3genE3ELNS1_11target_archE908ELNS1_3gpuE7ELNS1_3repE0EEENS1_38merge_mergepath_config_static_selectorELNS0_4arch9wavefront6targetE0EEEvSF_: ; @_ZN7rocprim17ROCPRIM_400000_NS6detail17trampoline_kernelINS0_14default_configENS1_38merge_sort_block_merge_config_selectorIjNS0_10empty_typeEEEZZNS1_27merge_sort_block_merge_implIS3_PjPS5_jNS1_19radix_merge_compareILb0ELb0EjNS0_19identity_decomposerEEEEE10hipError_tT0_T1_T2_jT3_P12ihipStream_tbPNSt15iterator_traitsISE_E10value_typeEPNSK_ISF_E10value_typeEPSG_NS1_7vsmem_tEENKUlT_SE_SF_SG_E_clIS8_S8_S9_S9_EESD_ST_SE_SF_SG_EUlST_E0_NS1_11comp_targetILNS1_3genE3ELNS1_11target_archE908ELNS1_3gpuE7ELNS1_3repE0EEENS1_38merge_mergepath_config_static_selectorELNS0_4arch9wavefront6targetE0EEEvSF_
; %bb.0:
	.section	.rodata,"a",@progbits
	.p2align	6, 0x0
	.amdhsa_kernel _ZN7rocprim17ROCPRIM_400000_NS6detail17trampoline_kernelINS0_14default_configENS1_38merge_sort_block_merge_config_selectorIjNS0_10empty_typeEEEZZNS1_27merge_sort_block_merge_implIS3_PjPS5_jNS1_19radix_merge_compareILb0ELb0EjNS0_19identity_decomposerEEEEE10hipError_tT0_T1_T2_jT3_P12ihipStream_tbPNSt15iterator_traitsISE_E10value_typeEPNSK_ISF_E10value_typeEPSG_NS1_7vsmem_tEENKUlT_SE_SF_SG_E_clIS8_S8_S9_S9_EESD_ST_SE_SF_SG_EUlST_E0_NS1_11comp_targetILNS1_3genE3ELNS1_11target_archE908ELNS1_3gpuE7ELNS1_3repE0EEENS1_38merge_mergepath_config_static_selectorELNS0_4arch9wavefront6targetE0EEEvSF_
		.amdhsa_group_segment_fixed_size 0
		.amdhsa_private_segment_fixed_size 0
		.amdhsa_kernarg_size 64
		.amdhsa_user_sgpr_count 2
		.amdhsa_user_sgpr_dispatch_ptr 0
		.amdhsa_user_sgpr_queue_ptr 0
		.amdhsa_user_sgpr_kernarg_segment_ptr 1
		.amdhsa_user_sgpr_dispatch_id 0
		.amdhsa_user_sgpr_kernarg_preload_length 0
		.amdhsa_user_sgpr_kernarg_preload_offset 0
		.amdhsa_user_sgpr_private_segment_size 0
		.amdhsa_wavefront_size32 1
		.amdhsa_uses_dynamic_stack 0
		.amdhsa_enable_private_segment 0
		.amdhsa_system_sgpr_workgroup_id_x 1
		.amdhsa_system_sgpr_workgroup_id_y 0
		.amdhsa_system_sgpr_workgroup_id_z 0
		.amdhsa_system_sgpr_workgroup_info 0
		.amdhsa_system_vgpr_workitem_id 0
		.amdhsa_next_free_vgpr 1
		.amdhsa_next_free_sgpr 1
		.amdhsa_named_barrier_count 0
		.amdhsa_reserve_vcc 0
		.amdhsa_float_round_mode_32 0
		.amdhsa_float_round_mode_16_64 0
		.amdhsa_float_denorm_mode_32 3
		.amdhsa_float_denorm_mode_16_64 3
		.amdhsa_fp16_overflow 0
		.amdhsa_memory_ordered 1
		.amdhsa_forward_progress 1
		.amdhsa_inst_pref_size 0
		.amdhsa_round_robin_scheduling 0
		.amdhsa_exception_fp_ieee_invalid_op 0
		.amdhsa_exception_fp_denorm_src 0
		.amdhsa_exception_fp_ieee_div_zero 0
		.amdhsa_exception_fp_ieee_overflow 0
		.amdhsa_exception_fp_ieee_underflow 0
		.amdhsa_exception_fp_ieee_inexact 0
		.amdhsa_exception_int_div_zero 0
	.end_amdhsa_kernel
	.section	.text._ZN7rocprim17ROCPRIM_400000_NS6detail17trampoline_kernelINS0_14default_configENS1_38merge_sort_block_merge_config_selectorIjNS0_10empty_typeEEEZZNS1_27merge_sort_block_merge_implIS3_PjPS5_jNS1_19radix_merge_compareILb0ELb0EjNS0_19identity_decomposerEEEEE10hipError_tT0_T1_T2_jT3_P12ihipStream_tbPNSt15iterator_traitsISE_E10value_typeEPNSK_ISF_E10value_typeEPSG_NS1_7vsmem_tEENKUlT_SE_SF_SG_E_clIS8_S8_S9_S9_EESD_ST_SE_SF_SG_EUlST_E0_NS1_11comp_targetILNS1_3genE3ELNS1_11target_archE908ELNS1_3gpuE7ELNS1_3repE0EEENS1_38merge_mergepath_config_static_selectorELNS0_4arch9wavefront6targetE0EEEvSF_,"axG",@progbits,_ZN7rocprim17ROCPRIM_400000_NS6detail17trampoline_kernelINS0_14default_configENS1_38merge_sort_block_merge_config_selectorIjNS0_10empty_typeEEEZZNS1_27merge_sort_block_merge_implIS3_PjPS5_jNS1_19radix_merge_compareILb0ELb0EjNS0_19identity_decomposerEEEEE10hipError_tT0_T1_T2_jT3_P12ihipStream_tbPNSt15iterator_traitsISE_E10value_typeEPNSK_ISF_E10value_typeEPSG_NS1_7vsmem_tEENKUlT_SE_SF_SG_E_clIS8_S8_S9_S9_EESD_ST_SE_SF_SG_EUlST_E0_NS1_11comp_targetILNS1_3genE3ELNS1_11target_archE908ELNS1_3gpuE7ELNS1_3repE0EEENS1_38merge_mergepath_config_static_selectorELNS0_4arch9wavefront6targetE0EEEvSF_,comdat
.Lfunc_end2690:
	.size	_ZN7rocprim17ROCPRIM_400000_NS6detail17trampoline_kernelINS0_14default_configENS1_38merge_sort_block_merge_config_selectorIjNS0_10empty_typeEEEZZNS1_27merge_sort_block_merge_implIS3_PjPS5_jNS1_19radix_merge_compareILb0ELb0EjNS0_19identity_decomposerEEEEE10hipError_tT0_T1_T2_jT3_P12ihipStream_tbPNSt15iterator_traitsISE_E10value_typeEPNSK_ISF_E10value_typeEPSG_NS1_7vsmem_tEENKUlT_SE_SF_SG_E_clIS8_S8_S9_S9_EESD_ST_SE_SF_SG_EUlST_E0_NS1_11comp_targetILNS1_3genE3ELNS1_11target_archE908ELNS1_3gpuE7ELNS1_3repE0EEENS1_38merge_mergepath_config_static_selectorELNS0_4arch9wavefront6targetE0EEEvSF_, .Lfunc_end2690-_ZN7rocprim17ROCPRIM_400000_NS6detail17trampoline_kernelINS0_14default_configENS1_38merge_sort_block_merge_config_selectorIjNS0_10empty_typeEEEZZNS1_27merge_sort_block_merge_implIS3_PjPS5_jNS1_19radix_merge_compareILb0ELb0EjNS0_19identity_decomposerEEEEE10hipError_tT0_T1_T2_jT3_P12ihipStream_tbPNSt15iterator_traitsISE_E10value_typeEPNSK_ISF_E10value_typeEPSG_NS1_7vsmem_tEENKUlT_SE_SF_SG_E_clIS8_S8_S9_S9_EESD_ST_SE_SF_SG_EUlST_E0_NS1_11comp_targetILNS1_3genE3ELNS1_11target_archE908ELNS1_3gpuE7ELNS1_3repE0EEENS1_38merge_mergepath_config_static_selectorELNS0_4arch9wavefront6targetE0EEEvSF_
                                        ; -- End function
	.set _ZN7rocprim17ROCPRIM_400000_NS6detail17trampoline_kernelINS0_14default_configENS1_38merge_sort_block_merge_config_selectorIjNS0_10empty_typeEEEZZNS1_27merge_sort_block_merge_implIS3_PjPS5_jNS1_19radix_merge_compareILb0ELb0EjNS0_19identity_decomposerEEEEE10hipError_tT0_T1_T2_jT3_P12ihipStream_tbPNSt15iterator_traitsISE_E10value_typeEPNSK_ISF_E10value_typeEPSG_NS1_7vsmem_tEENKUlT_SE_SF_SG_E_clIS8_S8_S9_S9_EESD_ST_SE_SF_SG_EUlST_E0_NS1_11comp_targetILNS1_3genE3ELNS1_11target_archE908ELNS1_3gpuE7ELNS1_3repE0EEENS1_38merge_mergepath_config_static_selectorELNS0_4arch9wavefront6targetE0EEEvSF_.num_vgpr, 0
	.set _ZN7rocprim17ROCPRIM_400000_NS6detail17trampoline_kernelINS0_14default_configENS1_38merge_sort_block_merge_config_selectorIjNS0_10empty_typeEEEZZNS1_27merge_sort_block_merge_implIS3_PjPS5_jNS1_19radix_merge_compareILb0ELb0EjNS0_19identity_decomposerEEEEE10hipError_tT0_T1_T2_jT3_P12ihipStream_tbPNSt15iterator_traitsISE_E10value_typeEPNSK_ISF_E10value_typeEPSG_NS1_7vsmem_tEENKUlT_SE_SF_SG_E_clIS8_S8_S9_S9_EESD_ST_SE_SF_SG_EUlST_E0_NS1_11comp_targetILNS1_3genE3ELNS1_11target_archE908ELNS1_3gpuE7ELNS1_3repE0EEENS1_38merge_mergepath_config_static_selectorELNS0_4arch9wavefront6targetE0EEEvSF_.num_agpr, 0
	.set _ZN7rocprim17ROCPRIM_400000_NS6detail17trampoline_kernelINS0_14default_configENS1_38merge_sort_block_merge_config_selectorIjNS0_10empty_typeEEEZZNS1_27merge_sort_block_merge_implIS3_PjPS5_jNS1_19radix_merge_compareILb0ELb0EjNS0_19identity_decomposerEEEEE10hipError_tT0_T1_T2_jT3_P12ihipStream_tbPNSt15iterator_traitsISE_E10value_typeEPNSK_ISF_E10value_typeEPSG_NS1_7vsmem_tEENKUlT_SE_SF_SG_E_clIS8_S8_S9_S9_EESD_ST_SE_SF_SG_EUlST_E0_NS1_11comp_targetILNS1_3genE3ELNS1_11target_archE908ELNS1_3gpuE7ELNS1_3repE0EEENS1_38merge_mergepath_config_static_selectorELNS0_4arch9wavefront6targetE0EEEvSF_.numbered_sgpr, 0
	.set _ZN7rocprim17ROCPRIM_400000_NS6detail17trampoline_kernelINS0_14default_configENS1_38merge_sort_block_merge_config_selectorIjNS0_10empty_typeEEEZZNS1_27merge_sort_block_merge_implIS3_PjPS5_jNS1_19radix_merge_compareILb0ELb0EjNS0_19identity_decomposerEEEEE10hipError_tT0_T1_T2_jT3_P12ihipStream_tbPNSt15iterator_traitsISE_E10value_typeEPNSK_ISF_E10value_typeEPSG_NS1_7vsmem_tEENKUlT_SE_SF_SG_E_clIS8_S8_S9_S9_EESD_ST_SE_SF_SG_EUlST_E0_NS1_11comp_targetILNS1_3genE3ELNS1_11target_archE908ELNS1_3gpuE7ELNS1_3repE0EEENS1_38merge_mergepath_config_static_selectorELNS0_4arch9wavefront6targetE0EEEvSF_.num_named_barrier, 0
	.set _ZN7rocprim17ROCPRIM_400000_NS6detail17trampoline_kernelINS0_14default_configENS1_38merge_sort_block_merge_config_selectorIjNS0_10empty_typeEEEZZNS1_27merge_sort_block_merge_implIS3_PjPS5_jNS1_19radix_merge_compareILb0ELb0EjNS0_19identity_decomposerEEEEE10hipError_tT0_T1_T2_jT3_P12ihipStream_tbPNSt15iterator_traitsISE_E10value_typeEPNSK_ISF_E10value_typeEPSG_NS1_7vsmem_tEENKUlT_SE_SF_SG_E_clIS8_S8_S9_S9_EESD_ST_SE_SF_SG_EUlST_E0_NS1_11comp_targetILNS1_3genE3ELNS1_11target_archE908ELNS1_3gpuE7ELNS1_3repE0EEENS1_38merge_mergepath_config_static_selectorELNS0_4arch9wavefront6targetE0EEEvSF_.private_seg_size, 0
	.set _ZN7rocprim17ROCPRIM_400000_NS6detail17trampoline_kernelINS0_14default_configENS1_38merge_sort_block_merge_config_selectorIjNS0_10empty_typeEEEZZNS1_27merge_sort_block_merge_implIS3_PjPS5_jNS1_19radix_merge_compareILb0ELb0EjNS0_19identity_decomposerEEEEE10hipError_tT0_T1_T2_jT3_P12ihipStream_tbPNSt15iterator_traitsISE_E10value_typeEPNSK_ISF_E10value_typeEPSG_NS1_7vsmem_tEENKUlT_SE_SF_SG_E_clIS8_S8_S9_S9_EESD_ST_SE_SF_SG_EUlST_E0_NS1_11comp_targetILNS1_3genE3ELNS1_11target_archE908ELNS1_3gpuE7ELNS1_3repE0EEENS1_38merge_mergepath_config_static_selectorELNS0_4arch9wavefront6targetE0EEEvSF_.uses_vcc, 0
	.set _ZN7rocprim17ROCPRIM_400000_NS6detail17trampoline_kernelINS0_14default_configENS1_38merge_sort_block_merge_config_selectorIjNS0_10empty_typeEEEZZNS1_27merge_sort_block_merge_implIS3_PjPS5_jNS1_19radix_merge_compareILb0ELb0EjNS0_19identity_decomposerEEEEE10hipError_tT0_T1_T2_jT3_P12ihipStream_tbPNSt15iterator_traitsISE_E10value_typeEPNSK_ISF_E10value_typeEPSG_NS1_7vsmem_tEENKUlT_SE_SF_SG_E_clIS8_S8_S9_S9_EESD_ST_SE_SF_SG_EUlST_E0_NS1_11comp_targetILNS1_3genE3ELNS1_11target_archE908ELNS1_3gpuE7ELNS1_3repE0EEENS1_38merge_mergepath_config_static_selectorELNS0_4arch9wavefront6targetE0EEEvSF_.uses_flat_scratch, 0
	.set _ZN7rocprim17ROCPRIM_400000_NS6detail17trampoline_kernelINS0_14default_configENS1_38merge_sort_block_merge_config_selectorIjNS0_10empty_typeEEEZZNS1_27merge_sort_block_merge_implIS3_PjPS5_jNS1_19radix_merge_compareILb0ELb0EjNS0_19identity_decomposerEEEEE10hipError_tT0_T1_T2_jT3_P12ihipStream_tbPNSt15iterator_traitsISE_E10value_typeEPNSK_ISF_E10value_typeEPSG_NS1_7vsmem_tEENKUlT_SE_SF_SG_E_clIS8_S8_S9_S9_EESD_ST_SE_SF_SG_EUlST_E0_NS1_11comp_targetILNS1_3genE3ELNS1_11target_archE908ELNS1_3gpuE7ELNS1_3repE0EEENS1_38merge_mergepath_config_static_selectorELNS0_4arch9wavefront6targetE0EEEvSF_.has_dyn_sized_stack, 0
	.set _ZN7rocprim17ROCPRIM_400000_NS6detail17trampoline_kernelINS0_14default_configENS1_38merge_sort_block_merge_config_selectorIjNS0_10empty_typeEEEZZNS1_27merge_sort_block_merge_implIS3_PjPS5_jNS1_19radix_merge_compareILb0ELb0EjNS0_19identity_decomposerEEEEE10hipError_tT0_T1_T2_jT3_P12ihipStream_tbPNSt15iterator_traitsISE_E10value_typeEPNSK_ISF_E10value_typeEPSG_NS1_7vsmem_tEENKUlT_SE_SF_SG_E_clIS8_S8_S9_S9_EESD_ST_SE_SF_SG_EUlST_E0_NS1_11comp_targetILNS1_3genE3ELNS1_11target_archE908ELNS1_3gpuE7ELNS1_3repE0EEENS1_38merge_mergepath_config_static_selectorELNS0_4arch9wavefront6targetE0EEEvSF_.has_recursion, 0
	.set _ZN7rocprim17ROCPRIM_400000_NS6detail17trampoline_kernelINS0_14default_configENS1_38merge_sort_block_merge_config_selectorIjNS0_10empty_typeEEEZZNS1_27merge_sort_block_merge_implIS3_PjPS5_jNS1_19radix_merge_compareILb0ELb0EjNS0_19identity_decomposerEEEEE10hipError_tT0_T1_T2_jT3_P12ihipStream_tbPNSt15iterator_traitsISE_E10value_typeEPNSK_ISF_E10value_typeEPSG_NS1_7vsmem_tEENKUlT_SE_SF_SG_E_clIS8_S8_S9_S9_EESD_ST_SE_SF_SG_EUlST_E0_NS1_11comp_targetILNS1_3genE3ELNS1_11target_archE908ELNS1_3gpuE7ELNS1_3repE0EEENS1_38merge_mergepath_config_static_selectorELNS0_4arch9wavefront6targetE0EEEvSF_.has_indirect_call, 0
	.section	.AMDGPU.csdata,"",@progbits
; Kernel info:
; codeLenInByte = 0
; TotalNumSgprs: 0
; NumVgprs: 0
; ScratchSize: 0
; MemoryBound: 0
; FloatMode: 240
; IeeeMode: 1
; LDSByteSize: 0 bytes/workgroup (compile time only)
; SGPRBlocks: 0
; VGPRBlocks: 0
; NumSGPRsForWavesPerEU: 1
; NumVGPRsForWavesPerEU: 1
; NamedBarCnt: 0
; Occupancy: 16
; WaveLimiterHint : 0
; COMPUTE_PGM_RSRC2:SCRATCH_EN: 0
; COMPUTE_PGM_RSRC2:USER_SGPR: 2
; COMPUTE_PGM_RSRC2:TRAP_HANDLER: 0
; COMPUTE_PGM_RSRC2:TGID_X_EN: 1
; COMPUTE_PGM_RSRC2:TGID_Y_EN: 0
; COMPUTE_PGM_RSRC2:TGID_Z_EN: 0
; COMPUTE_PGM_RSRC2:TIDIG_COMP_CNT: 0
	.section	.text._ZN7rocprim17ROCPRIM_400000_NS6detail17trampoline_kernelINS0_14default_configENS1_38merge_sort_block_merge_config_selectorIjNS0_10empty_typeEEEZZNS1_27merge_sort_block_merge_implIS3_PjPS5_jNS1_19radix_merge_compareILb0ELb0EjNS0_19identity_decomposerEEEEE10hipError_tT0_T1_T2_jT3_P12ihipStream_tbPNSt15iterator_traitsISE_E10value_typeEPNSK_ISF_E10value_typeEPSG_NS1_7vsmem_tEENKUlT_SE_SF_SG_E_clIS8_S8_S9_S9_EESD_ST_SE_SF_SG_EUlST_E0_NS1_11comp_targetILNS1_3genE2ELNS1_11target_archE906ELNS1_3gpuE6ELNS1_3repE0EEENS1_38merge_mergepath_config_static_selectorELNS0_4arch9wavefront6targetE0EEEvSF_,"axG",@progbits,_ZN7rocprim17ROCPRIM_400000_NS6detail17trampoline_kernelINS0_14default_configENS1_38merge_sort_block_merge_config_selectorIjNS0_10empty_typeEEEZZNS1_27merge_sort_block_merge_implIS3_PjPS5_jNS1_19radix_merge_compareILb0ELb0EjNS0_19identity_decomposerEEEEE10hipError_tT0_T1_T2_jT3_P12ihipStream_tbPNSt15iterator_traitsISE_E10value_typeEPNSK_ISF_E10value_typeEPSG_NS1_7vsmem_tEENKUlT_SE_SF_SG_E_clIS8_S8_S9_S9_EESD_ST_SE_SF_SG_EUlST_E0_NS1_11comp_targetILNS1_3genE2ELNS1_11target_archE906ELNS1_3gpuE6ELNS1_3repE0EEENS1_38merge_mergepath_config_static_selectorELNS0_4arch9wavefront6targetE0EEEvSF_,comdat
	.protected	_ZN7rocprim17ROCPRIM_400000_NS6detail17trampoline_kernelINS0_14default_configENS1_38merge_sort_block_merge_config_selectorIjNS0_10empty_typeEEEZZNS1_27merge_sort_block_merge_implIS3_PjPS5_jNS1_19radix_merge_compareILb0ELb0EjNS0_19identity_decomposerEEEEE10hipError_tT0_T1_T2_jT3_P12ihipStream_tbPNSt15iterator_traitsISE_E10value_typeEPNSK_ISF_E10value_typeEPSG_NS1_7vsmem_tEENKUlT_SE_SF_SG_E_clIS8_S8_S9_S9_EESD_ST_SE_SF_SG_EUlST_E0_NS1_11comp_targetILNS1_3genE2ELNS1_11target_archE906ELNS1_3gpuE6ELNS1_3repE0EEENS1_38merge_mergepath_config_static_selectorELNS0_4arch9wavefront6targetE0EEEvSF_ ; -- Begin function _ZN7rocprim17ROCPRIM_400000_NS6detail17trampoline_kernelINS0_14default_configENS1_38merge_sort_block_merge_config_selectorIjNS0_10empty_typeEEEZZNS1_27merge_sort_block_merge_implIS3_PjPS5_jNS1_19radix_merge_compareILb0ELb0EjNS0_19identity_decomposerEEEEE10hipError_tT0_T1_T2_jT3_P12ihipStream_tbPNSt15iterator_traitsISE_E10value_typeEPNSK_ISF_E10value_typeEPSG_NS1_7vsmem_tEENKUlT_SE_SF_SG_E_clIS8_S8_S9_S9_EESD_ST_SE_SF_SG_EUlST_E0_NS1_11comp_targetILNS1_3genE2ELNS1_11target_archE906ELNS1_3gpuE6ELNS1_3repE0EEENS1_38merge_mergepath_config_static_selectorELNS0_4arch9wavefront6targetE0EEEvSF_
	.globl	_ZN7rocprim17ROCPRIM_400000_NS6detail17trampoline_kernelINS0_14default_configENS1_38merge_sort_block_merge_config_selectorIjNS0_10empty_typeEEEZZNS1_27merge_sort_block_merge_implIS3_PjPS5_jNS1_19radix_merge_compareILb0ELb0EjNS0_19identity_decomposerEEEEE10hipError_tT0_T1_T2_jT3_P12ihipStream_tbPNSt15iterator_traitsISE_E10value_typeEPNSK_ISF_E10value_typeEPSG_NS1_7vsmem_tEENKUlT_SE_SF_SG_E_clIS8_S8_S9_S9_EESD_ST_SE_SF_SG_EUlST_E0_NS1_11comp_targetILNS1_3genE2ELNS1_11target_archE906ELNS1_3gpuE6ELNS1_3repE0EEENS1_38merge_mergepath_config_static_selectorELNS0_4arch9wavefront6targetE0EEEvSF_
	.p2align	8
	.type	_ZN7rocprim17ROCPRIM_400000_NS6detail17trampoline_kernelINS0_14default_configENS1_38merge_sort_block_merge_config_selectorIjNS0_10empty_typeEEEZZNS1_27merge_sort_block_merge_implIS3_PjPS5_jNS1_19radix_merge_compareILb0ELb0EjNS0_19identity_decomposerEEEEE10hipError_tT0_T1_T2_jT3_P12ihipStream_tbPNSt15iterator_traitsISE_E10value_typeEPNSK_ISF_E10value_typeEPSG_NS1_7vsmem_tEENKUlT_SE_SF_SG_E_clIS8_S8_S9_S9_EESD_ST_SE_SF_SG_EUlST_E0_NS1_11comp_targetILNS1_3genE2ELNS1_11target_archE906ELNS1_3gpuE6ELNS1_3repE0EEENS1_38merge_mergepath_config_static_selectorELNS0_4arch9wavefront6targetE0EEEvSF_,@function
_ZN7rocprim17ROCPRIM_400000_NS6detail17trampoline_kernelINS0_14default_configENS1_38merge_sort_block_merge_config_selectorIjNS0_10empty_typeEEEZZNS1_27merge_sort_block_merge_implIS3_PjPS5_jNS1_19radix_merge_compareILb0ELb0EjNS0_19identity_decomposerEEEEE10hipError_tT0_T1_T2_jT3_P12ihipStream_tbPNSt15iterator_traitsISE_E10value_typeEPNSK_ISF_E10value_typeEPSG_NS1_7vsmem_tEENKUlT_SE_SF_SG_E_clIS8_S8_S9_S9_EESD_ST_SE_SF_SG_EUlST_E0_NS1_11comp_targetILNS1_3genE2ELNS1_11target_archE906ELNS1_3gpuE6ELNS1_3repE0EEENS1_38merge_mergepath_config_static_selectorELNS0_4arch9wavefront6targetE0EEEvSF_: ; @_ZN7rocprim17ROCPRIM_400000_NS6detail17trampoline_kernelINS0_14default_configENS1_38merge_sort_block_merge_config_selectorIjNS0_10empty_typeEEEZZNS1_27merge_sort_block_merge_implIS3_PjPS5_jNS1_19radix_merge_compareILb0ELb0EjNS0_19identity_decomposerEEEEE10hipError_tT0_T1_T2_jT3_P12ihipStream_tbPNSt15iterator_traitsISE_E10value_typeEPNSK_ISF_E10value_typeEPSG_NS1_7vsmem_tEENKUlT_SE_SF_SG_E_clIS8_S8_S9_S9_EESD_ST_SE_SF_SG_EUlST_E0_NS1_11comp_targetILNS1_3genE2ELNS1_11target_archE906ELNS1_3gpuE6ELNS1_3repE0EEENS1_38merge_mergepath_config_static_selectorELNS0_4arch9wavefront6targetE0EEEvSF_
; %bb.0:
	.section	.rodata,"a",@progbits
	.p2align	6, 0x0
	.amdhsa_kernel _ZN7rocprim17ROCPRIM_400000_NS6detail17trampoline_kernelINS0_14default_configENS1_38merge_sort_block_merge_config_selectorIjNS0_10empty_typeEEEZZNS1_27merge_sort_block_merge_implIS3_PjPS5_jNS1_19radix_merge_compareILb0ELb0EjNS0_19identity_decomposerEEEEE10hipError_tT0_T1_T2_jT3_P12ihipStream_tbPNSt15iterator_traitsISE_E10value_typeEPNSK_ISF_E10value_typeEPSG_NS1_7vsmem_tEENKUlT_SE_SF_SG_E_clIS8_S8_S9_S9_EESD_ST_SE_SF_SG_EUlST_E0_NS1_11comp_targetILNS1_3genE2ELNS1_11target_archE906ELNS1_3gpuE6ELNS1_3repE0EEENS1_38merge_mergepath_config_static_selectorELNS0_4arch9wavefront6targetE0EEEvSF_
		.amdhsa_group_segment_fixed_size 0
		.amdhsa_private_segment_fixed_size 0
		.amdhsa_kernarg_size 64
		.amdhsa_user_sgpr_count 2
		.amdhsa_user_sgpr_dispatch_ptr 0
		.amdhsa_user_sgpr_queue_ptr 0
		.amdhsa_user_sgpr_kernarg_segment_ptr 1
		.amdhsa_user_sgpr_dispatch_id 0
		.amdhsa_user_sgpr_kernarg_preload_length 0
		.amdhsa_user_sgpr_kernarg_preload_offset 0
		.amdhsa_user_sgpr_private_segment_size 0
		.amdhsa_wavefront_size32 1
		.amdhsa_uses_dynamic_stack 0
		.amdhsa_enable_private_segment 0
		.amdhsa_system_sgpr_workgroup_id_x 1
		.amdhsa_system_sgpr_workgroup_id_y 0
		.amdhsa_system_sgpr_workgroup_id_z 0
		.amdhsa_system_sgpr_workgroup_info 0
		.amdhsa_system_vgpr_workitem_id 0
		.amdhsa_next_free_vgpr 1
		.amdhsa_next_free_sgpr 1
		.amdhsa_named_barrier_count 0
		.amdhsa_reserve_vcc 0
		.amdhsa_float_round_mode_32 0
		.amdhsa_float_round_mode_16_64 0
		.amdhsa_float_denorm_mode_32 3
		.amdhsa_float_denorm_mode_16_64 3
		.amdhsa_fp16_overflow 0
		.amdhsa_memory_ordered 1
		.amdhsa_forward_progress 1
		.amdhsa_inst_pref_size 0
		.amdhsa_round_robin_scheduling 0
		.amdhsa_exception_fp_ieee_invalid_op 0
		.amdhsa_exception_fp_denorm_src 0
		.amdhsa_exception_fp_ieee_div_zero 0
		.amdhsa_exception_fp_ieee_overflow 0
		.amdhsa_exception_fp_ieee_underflow 0
		.amdhsa_exception_fp_ieee_inexact 0
		.amdhsa_exception_int_div_zero 0
	.end_amdhsa_kernel
	.section	.text._ZN7rocprim17ROCPRIM_400000_NS6detail17trampoline_kernelINS0_14default_configENS1_38merge_sort_block_merge_config_selectorIjNS0_10empty_typeEEEZZNS1_27merge_sort_block_merge_implIS3_PjPS5_jNS1_19radix_merge_compareILb0ELb0EjNS0_19identity_decomposerEEEEE10hipError_tT0_T1_T2_jT3_P12ihipStream_tbPNSt15iterator_traitsISE_E10value_typeEPNSK_ISF_E10value_typeEPSG_NS1_7vsmem_tEENKUlT_SE_SF_SG_E_clIS8_S8_S9_S9_EESD_ST_SE_SF_SG_EUlST_E0_NS1_11comp_targetILNS1_3genE2ELNS1_11target_archE906ELNS1_3gpuE6ELNS1_3repE0EEENS1_38merge_mergepath_config_static_selectorELNS0_4arch9wavefront6targetE0EEEvSF_,"axG",@progbits,_ZN7rocprim17ROCPRIM_400000_NS6detail17trampoline_kernelINS0_14default_configENS1_38merge_sort_block_merge_config_selectorIjNS0_10empty_typeEEEZZNS1_27merge_sort_block_merge_implIS3_PjPS5_jNS1_19radix_merge_compareILb0ELb0EjNS0_19identity_decomposerEEEEE10hipError_tT0_T1_T2_jT3_P12ihipStream_tbPNSt15iterator_traitsISE_E10value_typeEPNSK_ISF_E10value_typeEPSG_NS1_7vsmem_tEENKUlT_SE_SF_SG_E_clIS8_S8_S9_S9_EESD_ST_SE_SF_SG_EUlST_E0_NS1_11comp_targetILNS1_3genE2ELNS1_11target_archE906ELNS1_3gpuE6ELNS1_3repE0EEENS1_38merge_mergepath_config_static_selectorELNS0_4arch9wavefront6targetE0EEEvSF_,comdat
.Lfunc_end2691:
	.size	_ZN7rocprim17ROCPRIM_400000_NS6detail17trampoline_kernelINS0_14default_configENS1_38merge_sort_block_merge_config_selectorIjNS0_10empty_typeEEEZZNS1_27merge_sort_block_merge_implIS3_PjPS5_jNS1_19radix_merge_compareILb0ELb0EjNS0_19identity_decomposerEEEEE10hipError_tT0_T1_T2_jT3_P12ihipStream_tbPNSt15iterator_traitsISE_E10value_typeEPNSK_ISF_E10value_typeEPSG_NS1_7vsmem_tEENKUlT_SE_SF_SG_E_clIS8_S8_S9_S9_EESD_ST_SE_SF_SG_EUlST_E0_NS1_11comp_targetILNS1_3genE2ELNS1_11target_archE906ELNS1_3gpuE6ELNS1_3repE0EEENS1_38merge_mergepath_config_static_selectorELNS0_4arch9wavefront6targetE0EEEvSF_, .Lfunc_end2691-_ZN7rocprim17ROCPRIM_400000_NS6detail17trampoline_kernelINS0_14default_configENS1_38merge_sort_block_merge_config_selectorIjNS0_10empty_typeEEEZZNS1_27merge_sort_block_merge_implIS3_PjPS5_jNS1_19radix_merge_compareILb0ELb0EjNS0_19identity_decomposerEEEEE10hipError_tT0_T1_T2_jT3_P12ihipStream_tbPNSt15iterator_traitsISE_E10value_typeEPNSK_ISF_E10value_typeEPSG_NS1_7vsmem_tEENKUlT_SE_SF_SG_E_clIS8_S8_S9_S9_EESD_ST_SE_SF_SG_EUlST_E0_NS1_11comp_targetILNS1_3genE2ELNS1_11target_archE906ELNS1_3gpuE6ELNS1_3repE0EEENS1_38merge_mergepath_config_static_selectorELNS0_4arch9wavefront6targetE0EEEvSF_
                                        ; -- End function
	.set _ZN7rocprim17ROCPRIM_400000_NS6detail17trampoline_kernelINS0_14default_configENS1_38merge_sort_block_merge_config_selectorIjNS0_10empty_typeEEEZZNS1_27merge_sort_block_merge_implIS3_PjPS5_jNS1_19radix_merge_compareILb0ELb0EjNS0_19identity_decomposerEEEEE10hipError_tT0_T1_T2_jT3_P12ihipStream_tbPNSt15iterator_traitsISE_E10value_typeEPNSK_ISF_E10value_typeEPSG_NS1_7vsmem_tEENKUlT_SE_SF_SG_E_clIS8_S8_S9_S9_EESD_ST_SE_SF_SG_EUlST_E0_NS1_11comp_targetILNS1_3genE2ELNS1_11target_archE906ELNS1_3gpuE6ELNS1_3repE0EEENS1_38merge_mergepath_config_static_selectorELNS0_4arch9wavefront6targetE0EEEvSF_.num_vgpr, 0
	.set _ZN7rocprim17ROCPRIM_400000_NS6detail17trampoline_kernelINS0_14default_configENS1_38merge_sort_block_merge_config_selectorIjNS0_10empty_typeEEEZZNS1_27merge_sort_block_merge_implIS3_PjPS5_jNS1_19radix_merge_compareILb0ELb0EjNS0_19identity_decomposerEEEEE10hipError_tT0_T1_T2_jT3_P12ihipStream_tbPNSt15iterator_traitsISE_E10value_typeEPNSK_ISF_E10value_typeEPSG_NS1_7vsmem_tEENKUlT_SE_SF_SG_E_clIS8_S8_S9_S9_EESD_ST_SE_SF_SG_EUlST_E0_NS1_11comp_targetILNS1_3genE2ELNS1_11target_archE906ELNS1_3gpuE6ELNS1_3repE0EEENS1_38merge_mergepath_config_static_selectorELNS0_4arch9wavefront6targetE0EEEvSF_.num_agpr, 0
	.set _ZN7rocprim17ROCPRIM_400000_NS6detail17trampoline_kernelINS0_14default_configENS1_38merge_sort_block_merge_config_selectorIjNS0_10empty_typeEEEZZNS1_27merge_sort_block_merge_implIS3_PjPS5_jNS1_19radix_merge_compareILb0ELb0EjNS0_19identity_decomposerEEEEE10hipError_tT0_T1_T2_jT3_P12ihipStream_tbPNSt15iterator_traitsISE_E10value_typeEPNSK_ISF_E10value_typeEPSG_NS1_7vsmem_tEENKUlT_SE_SF_SG_E_clIS8_S8_S9_S9_EESD_ST_SE_SF_SG_EUlST_E0_NS1_11comp_targetILNS1_3genE2ELNS1_11target_archE906ELNS1_3gpuE6ELNS1_3repE0EEENS1_38merge_mergepath_config_static_selectorELNS0_4arch9wavefront6targetE0EEEvSF_.numbered_sgpr, 0
	.set _ZN7rocprim17ROCPRIM_400000_NS6detail17trampoline_kernelINS0_14default_configENS1_38merge_sort_block_merge_config_selectorIjNS0_10empty_typeEEEZZNS1_27merge_sort_block_merge_implIS3_PjPS5_jNS1_19radix_merge_compareILb0ELb0EjNS0_19identity_decomposerEEEEE10hipError_tT0_T1_T2_jT3_P12ihipStream_tbPNSt15iterator_traitsISE_E10value_typeEPNSK_ISF_E10value_typeEPSG_NS1_7vsmem_tEENKUlT_SE_SF_SG_E_clIS8_S8_S9_S9_EESD_ST_SE_SF_SG_EUlST_E0_NS1_11comp_targetILNS1_3genE2ELNS1_11target_archE906ELNS1_3gpuE6ELNS1_3repE0EEENS1_38merge_mergepath_config_static_selectorELNS0_4arch9wavefront6targetE0EEEvSF_.num_named_barrier, 0
	.set _ZN7rocprim17ROCPRIM_400000_NS6detail17trampoline_kernelINS0_14default_configENS1_38merge_sort_block_merge_config_selectorIjNS0_10empty_typeEEEZZNS1_27merge_sort_block_merge_implIS3_PjPS5_jNS1_19radix_merge_compareILb0ELb0EjNS0_19identity_decomposerEEEEE10hipError_tT0_T1_T2_jT3_P12ihipStream_tbPNSt15iterator_traitsISE_E10value_typeEPNSK_ISF_E10value_typeEPSG_NS1_7vsmem_tEENKUlT_SE_SF_SG_E_clIS8_S8_S9_S9_EESD_ST_SE_SF_SG_EUlST_E0_NS1_11comp_targetILNS1_3genE2ELNS1_11target_archE906ELNS1_3gpuE6ELNS1_3repE0EEENS1_38merge_mergepath_config_static_selectorELNS0_4arch9wavefront6targetE0EEEvSF_.private_seg_size, 0
	.set _ZN7rocprim17ROCPRIM_400000_NS6detail17trampoline_kernelINS0_14default_configENS1_38merge_sort_block_merge_config_selectorIjNS0_10empty_typeEEEZZNS1_27merge_sort_block_merge_implIS3_PjPS5_jNS1_19radix_merge_compareILb0ELb0EjNS0_19identity_decomposerEEEEE10hipError_tT0_T1_T2_jT3_P12ihipStream_tbPNSt15iterator_traitsISE_E10value_typeEPNSK_ISF_E10value_typeEPSG_NS1_7vsmem_tEENKUlT_SE_SF_SG_E_clIS8_S8_S9_S9_EESD_ST_SE_SF_SG_EUlST_E0_NS1_11comp_targetILNS1_3genE2ELNS1_11target_archE906ELNS1_3gpuE6ELNS1_3repE0EEENS1_38merge_mergepath_config_static_selectorELNS0_4arch9wavefront6targetE0EEEvSF_.uses_vcc, 0
	.set _ZN7rocprim17ROCPRIM_400000_NS6detail17trampoline_kernelINS0_14default_configENS1_38merge_sort_block_merge_config_selectorIjNS0_10empty_typeEEEZZNS1_27merge_sort_block_merge_implIS3_PjPS5_jNS1_19radix_merge_compareILb0ELb0EjNS0_19identity_decomposerEEEEE10hipError_tT0_T1_T2_jT3_P12ihipStream_tbPNSt15iterator_traitsISE_E10value_typeEPNSK_ISF_E10value_typeEPSG_NS1_7vsmem_tEENKUlT_SE_SF_SG_E_clIS8_S8_S9_S9_EESD_ST_SE_SF_SG_EUlST_E0_NS1_11comp_targetILNS1_3genE2ELNS1_11target_archE906ELNS1_3gpuE6ELNS1_3repE0EEENS1_38merge_mergepath_config_static_selectorELNS0_4arch9wavefront6targetE0EEEvSF_.uses_flat_scratch, 0
	.set _ZN7rocprim17ROCPRIM_400000_NS6detail17trampoline_kernelINS0_14default_configENS1_38merge_sort_block_merge_config_selectorIjNS0_10empty_typeEEEZZNS1_27merge_sort_block_merge_implIS3_PjPS5_jNS1_19radix_merge_compareILb0ELb0EjNS0_19identity_decomposerEEEEE10hipError_tT0_T1_T2_jT3_P12ihipStream_tbPNSt15iterator_traitsISE_E10value_typeEPNSK_ISF_E10value_typeEPSG_NS1_7vsmem_tEENKUlT_SE_SF_SG_E_clIS8_S8_S9_S9_EESD_ST_SE_SF_SG_EUlST_E0_NS1_11comp_targetILNS1_3genE2ELNS1_11target_archE906ELNS1_3gpuE6ELNS1_3repE0EEENS1_38merge_mergepath_config_static_selectorELNS0_4arch9wavefront6targetE0EEEvSF_.has_dyn_sized_stack, 0
	.set _ZN7rocprim17ROCPRIM_400000_NS6detail17trampoline_kernelINS0_14default_configENS1_38merge_sort_block_merge_config_selectorIjNS0_10empty_typeEEEZZNS1_27merge_sort_block_merge_implIS3_PjPS5_jNS1_19radix_merge_compareILb0ELb0EjNS0_19identity_decomposerEEEEE10hipError_tT0_T1_T2_jT3_P12ihipStream_tbPNSt15iterator_traitsISE_E10value_typeEPNSK_ISF_E10value_typeEPSG_NS1_7vsmem_tEENKUlT_SE_SF_SG_E_clIS8_S8_S9_S9_EESD_ST_SE_SF_SG_EUlST_E0_NS1_11comp_targetILNS1_3genE2ELNS1_11target_archE906ELNS1_3gpuE6ELNS1_3repE0EEENS1_38merge_mergepath_config_static_selectorELNS0_4arch9wavefront6targetE0EEEvSF_.has_recursion, 0
	.set _ZN7rocprim17ROCPRIM_400000_NS6detail17trampoline_kernelINS0_14default_configENS1_38merge_sort_block_merge_config_selectorIjNS0_10empty_typeEEEZZNS1_27merge_sort_block_merge_implIS3_PjPS5_jNS1_19radix_merge_compareILb0ELb0EjNS0_19identity_decomposerEEEEE10hipError_tT0_T1_T2_jT3_P12ihipStream_tbPNSt15iterator_traitsISE_E10value_typeEPNSK_ISF_E10value_typeEPSG_NS1_7vsmem_tEENKUlT_SE_SF_SG_E_clIS8_S8_S9_S9_EESD_ST_SE_SF_SG_EUlST_E0_NS1_11comp_targetILNS1_3genE2ELNS1_11target_archE906ELNS1_3gpuE6ELNS1_3repE0EEENS1_38merge_mergepath_config_static_selectorELNS0_4arch9wavefront6targetE0EEEvSF_.has_indirect_call, 0
	.section	.AMDGPU.csdata,"",@progbits
; Kernel info:
; codeLenInByte = 0
; TotalNumSgprs: 0
; NumVgprs: 0
; ScratchSize: 0
; MemoryBound: 0
; FloatMode: 240
; IeeeMode: 1
; LDSByteSize: 0 bytes/workgroup (compile time only)
; SGPRBlocks: 0
; VGPRBlocks: 0
; NumSGPRsForWavesPerEU: 1
; NumVGPRsForWavesPerEU: 1
; NamedBarCnt: 0
; Occupancy: 16
; WaveLimiterHint : 0
; COMPUTE_PGM_RSRC2:SCRATCH_EN: 0
; COMPUTE_PGM_RSRC2:USER_SGPR: 2
; COMPUTE_PGM_RSRC2:TRAP_HANDLER: 0
; COMPUTE_PGM_RSRC2:TGID_X_EN: 1
; COMPUTE_PGM_RSRC2:TGID_Y_EN: 0
; COMPUTE_PGM_RSRC2:TGID_Z_EN: 0
; COMPUTE_PGM_RSRC2:TIDIG_COMP_CNT: 0
	.section	.text._ZN7rocprim17ROCPRIM_400000_NS6detail17trampoline_kernelINS0_14default_configENS1_38merge_sort_block_merge_config_selectorIjNS0_10empty_typeEEEZZNS1_27merge_sort_block_merge_implIS3_PjPS5_jNS1_19radix_merge_compareILb0ELb0EjNS0_19identity_decomposerEEEEE10hipError_tT0_T1_T2_jT3_P12ihipStream_tbPNSt15iterator_traitsISE_E10value_typeEPNSK_ISF_E10value_typeEPSG_NS1_7vsmem_tEENKUlT_SE_SF_SG_E_clIS8_S8_S9_S9_EESD_ST_SE_SF_SG_EUlST_E0_NS1_11comp_targetILNS1_3genE9ELNS1_11target_archE1100ELNS1_3gpuE3ELNS1_3repE0EEENS1_38merge_mergepath_config_static_selectorELNS0_4arch9wavefront6targetE0EEEvSF_,"axG",@progbits,_ZN7rocprim17ROCPRIM_400000_NS6detail17trampoline_kernelINS0_14default_configENS1_38merge_sort_block_merge_config_selectorIjNS0_10empty_typeEEEZZNS1_27merge_sort_block_merge_implIS3_PjPS5_jNS1_19radix_merge_compareILb0ELb0EjNS0_19identity_decomposerEEEEE10hipError_tT0_T1_T2_jT3_P12ihipStream_tbPNSt15iterator_traitsISE_E10value_typeEPNSK_ISF_E10value_typeEPSG_NS1_7vsmem_tEENKUlT_SE_SF_SG_E_clIS8_S8_S9_S9_EESD_ST_SE_SF_SG_EUlST_E0_NS1_11comp_targetILNS1_3genE9ELNS1_11target_archE1100ELNS1_3gpuE3ELNS1_3repE0EEENS1_38merge_mergepath_config_static_selectorELNS0_4arch9wavefront6targetE0EEEvSF_,comdat
	.protected	_ZN7rocprim17ROCPRIM_400000_NS6detail17trampoline_kernelINS0_14default_configENS1_38merge_sort_block_merge_config_selectorIjNS0_10empty_typeEEEZZNS1_27merge_sort_block_merge_implIS3_PjPS5_jNS1_19radix_merge_compareILb0ELb0EjNS0_19identity_decomposerEEEEE10hipError_tT0_T1_T2_jT3_P12ihipStream_tbPNSt15iterator_traitsISE_E10value_typeEPNSK_ISF_E10value_typeEPSG_NS1_7vsmem_tEENKUlT_SE_SF_SG_E_clIS8_S8_S9_S9_EESD_ST_SE_SF_SG_EUlST_E0_NS1_11comp_targetILNS1_3genE9ELNS1_11target_archE1100ELNS1_3gpuE3ELNS1_3repE0EEENS1_38merge_mergepath_config_static_selectorELNS0_4arch9wavefront6targetE0EEEvSF_ ; -- Begin function _ZN7rocprim17ROCPRIM_400000_NS6detail17trampoline_kernelINS0_14default_configENS1_38merge_sort_block_merge_config_selectorIjNS0_10empty_typeEEEZZNS1_27merge_sort_block_merge_implIS3_PjPS5_jNS1_19radix_merge_compareILb0ELb0EjNS0_19identity_decomposerEEEEE10hipError_tT0_T1_T2_jT3_P12ihipStream_tbPNSt15iterator_traitsISE_E10value_typeEPNSK_ISF_E10value_typeEPSG_NS1_7vsmem_tEENKUlT_SE_SF_SG_E_clIS8_S8_S9_S9_EESD_ST_SE_SF_SG_EUlST_E0_NS1_11comp_targetILNS1_3genE9ELNS1_11target_archE1100ELNS1_3gpuE3ELNS1_3repE0EEENS1_38merge_mergepath_config_static_selectorELNS0_4arch9wavefront6targetE0EEEvSF_
	.globl	_ZN7rocprim17ROCPRIM_400000_NS6detail17trampoline_kernelINS0_14default_configENS1_38merge_sort_block_merge_config_selectorIjNS0_10empty_typeEEEZZNS1_27merge_sort_block_merge_implIS3_PjPS5_jNS1_19radix_merge_compareILb0ELb0EjNS0_19identity_decomposerEEEEE10hipError_tT0_T1_T2_jT3_P12ihipStream_tbPNSt15iterator_traitsISE_E10value_typeEPNSK_ISF_E10value_typeEPSG_NS1_7vsmem_tEENKUlT_SE_SF_SG_E_clIS8_S8_S9_S9_EESD_ST_SE_SF_SG_EUlST_E0_NS1_11comp_targetILNS1_3genE9ELNS1_11target_archE1100ELNS1_3gpuE3ELNS1_3repE0EEENS1_38merge_mergepath_config_static_selectorELNS0_4arch9wavefront6targetE0EEEvSF_
	.p2align	8
	.type	_ZN7rocprim17ROCPRIM_400000_NS6detail17trampoline_kernelINS0_14default_configENS1_38merge_sort_block_merge_config_selectorIjNS0_10empty_typeEEEZZNS1_27merge_sort_block_merge_implIS3_PjPS5_jNS1_19radix_merge_compareILb0ELb0EjNS0_19identity_decomposerEEEEE10hipError_tT0_T1_T2_jT3_P12ihipStream_tbPNSt15iterator_traitsISE_E10value_typeEPNSK_ISF_E10value_typeEPSG_NS1_7vsmem_tEENKUlT_SE_SF_SG_E_clIS8_S8_S9_S9_EESD_ST_SE_SF_SG_EUlST_E0_NS1_11comp_targetILNS1_3genE9ELNS1_11target_archE1100ELNS1_3gpuE3ELNS1_3repE0EEENS1_38merge_mergepath_config_static_selectorELNS0_4arch9wavefront6targetE0EEEvSF_,@function
_ZN7rocprim17ROCPRIM_400000_NS6detail17trampoline_kernelINS0_14default_configENS1_38merge_sort_block_merge_config_selectorIjNS0_10empty_typeEEEZZNS1_27merge_sort_block_merge_implIS3_PjPS5_jNS1_19radix_merge_compareILb0ELb0EjNS0_19identity_decomposerEEEEE10hipError_tT0_T1_T2_jT3_P12ihipStream_tbPNSt15iterator_traitsISE_E10value_typeEPNSK_ISF_E10value_typeEPSG_NS1_7vsmem_tEENKUlT_SE_SF_SG_E_clIS8_S8_S9_S9_EESD_ST_SE_SF_SG_EUlST_E0_NS1_11comp_targetILNS1_3genE9ELNS1_11target_archE1100ELNS1_3gpuE3ELNS1_3repE0EEENS1_38merge_mergepath_config_static_selectorELNS0_4arch9wavefront6targetE0EEEvSF_: ; @_ZN7rocprim17ROCPRIM_400000_NS6detail17trampoline_kernelINS0_14default_configENS1_38merge_sort_block_merge_config_selectorIjNS0_10empty_typeEEEZZNS1_27merge_sort_block_merge_implIS3_PjPS5_jNS1_19radix_merge_compareILb0ELb0EjNS0_19identity_decomposerEEEEE10hipError_tT0_T1_T2_jT3_P12ihipStream_tbPNSt15iterator_traitsISE_E10value_typeEPNSK_ISF_E10value_typeEPSG_NS1_7vsmem_tEENKUlT_SE_SF_SG_E_clIS8_S8_S9_S9_EESD_ST_SE_SF_SG_EUlST_E0_NS1_11comp_targetILNS1_3genE9ELNS1_11target_archE1100ELNS1_3gpuE3ELNS1_3repE0EEENS1_38merge_mergepath_config_static_selectorELNS0_4arch9wavefront6targetE0EEEvSF_
; %bb.0:
	.section	.rodata,"a",@progbits
	.p2align	6, 0x0
	.amdhsa_kernel _ZN7rocprim17ROCPRIM_400000_NS6detail17trampoline_kernelINS0_14default_configENS1_38merge_sort_block_merge_config_selectorIjNS0_10empty_typeEEEZZNS1_27merge_sort_block_merge_implIS3_PjPS5_jNS1_19radix_merge_compareILb0ELb0EjNS0_19identity_decomposerEEEEE10hipError_tT0_T1_T2_jT3_P12ihipStream_tbPNSt15iterator_traitsISE_E10value_typeEPNSK_ISF_E10value_typeEPSG_NS1_7vsmem_tEENKUlT_SE_SF_SG_E_clIS8_S8_S9_S9_EESD_ST_SE_SF_SG_EUlST_E0_NS1_11comp_targetILNS1_3genE9ELNS1_11target_archE1100ELNS1_3gpuE3ELNS1_3repE0EEENS1_38merge_mergepath_config_static_selectorELNS0_4arch9wavefront6targetE0EEEvSF_
		.amdhsa_group_segment_fixed_size 0
		.amdhsa_private_segment_fixed_size 0
		.amdhsa_kernarg_size 64
		.amdhsa_user_sgpr_count 2
		.amdhsa_user_sgpr_dispatch_ptr 0
		.amdhsa_user_sgpr_queue_ptr 0
		.amdhsa_user_sgpr_kernarg_segment_ptr 1
		.amdhsa_user_sgpr_dispatch_id 0
		.amdhsa_user_sgpr_kernarg_preload_length 0
		.amdhsa_user_sgpr_kernarg_preload_offset 0
		.amdhsa_user_sgpr_private_segment_size 0
		.amdhsa_wavefront_size32 1
		.amdhsa_uses_dynamic_stack 0
		.amdhsa_enable_private_segment 0
		.amdhsa_system_sgpr_workgroup_id_x 1
		.amdhsa_system_sgpr_workgroup_id_y 0
		.amdhsa_system_sgpr_workgroup_id_z 0
		.amdhsa_system_sgpr_workgroup_info 0
		.amdhsa_system_vgpr_workitem_id 0
		.amdhsa_next_free_vgpr 1
		.amdhsa_next_free_sgpr 1
		.amdhsa_named_barrier_count 0
		.amdhsa_reserve_vcc 0
		.amdhsa_float_round_mode_32 0
		.amdhsa_float_round_mode_16_64 0
		.amdhsa_float_denorm_mode_32 3
		.amdhsa_float_denorm_mode_16_64 3
		.amdhsa_fp16_overflow 0
		.amdhsa_memory_ordered 1
		.amdhsa_forward_progress 1
		.amdhsa_inst_pref_size 0
		.amdhsa_round_robin_scheduling 0
		.amdhsa_exception_fp_ieee_invalid_op 0
		.amdhsa_exception_fp_denorm_src 0
		.amdhsa_exception_fp_ieee_div_zero 0
		.amdhsa_exception_fp_ieee_overflow 0
		.amdhsa_exception_fp_ieee_underflow 0
		.amdhsa_exception_fp_ieee_inexact 0
		.amdhsa_exception_int_div_zero 0
	.end_amdhsa_kernel
	.section	.text._ZN7rocprim17ROCPRIM_400000_NS6detail17trampoline_kernelINS0_14default_configENS1_38merge_sort_block_merge_config_selectorIjNS0_10empty_typeEEEZZNS1_27merge_sort_block_merge_implIS3_PjPS5_jNS1_19radix_merge_compareILb0ELb0EjNS0_19identity_decomposerEEEEE10hipError_tT0_T1_T2_jT3_P12ihipStream_tbPNSt15iterator_traitsISE_E10value_typeEPNSK_ISF_E10value_typeEPSG_NS1_7vsmem_tEENKUlT_SE_SF_SG_E_clIS8_S8_S9_S9_EESD_ST_SE_SF_SG_EUlST_E0_NS1_11comp_targetILNS1_3genE9ELNS1_11target_archE1100ELNS1_3gpuE3ELNS1_3repE0EEENS1_38merge_mergepath_config_static_selectorELNS0_4arch9wavefront6targetE0EEEvSF_,"axG",@progbits,_ZN7rocprim17ROCPRIM_400000_NS6detail17trampoline_kernelINS0_14default_configENS1_38merge_sort_block_merge_config_selectorIjNS0_10empty_typeEEEZZNS1_27merge_sort_block_merge_implIS3_PjPS5_jNS1_19radix_merge_compareILb0ELb0EjNS0_19identity_decomposerEEEEE10hipError_tT0_T1_T2_jT3_P12ihipStream_tbPNSt15iterator_traitsISE_E10value_typeEPNSK_ISF_E10value_typeEPSG_NS1_7vsmem_tEENKUlT_SE_SF_SG_E_clIS8_S8_S9_S9_EESD_ST_SE_SF_SG_EUlST_E0_NS1_11comp_targetILNS1_3genE9ELNS1_11target_archE1100ELNS1_3gpuE3ELNS1_3repE0EEENS1_38merge_mergepath_config_static_selectorELNS0_4arch9wavefront6targetE0EEEvSF_,comdat
.Lfunc_end2692:
	.size	_ZN7rocprim17ROCPRIM_400000_NS6detail17trampoline_kernelINS0_14default_configENS1_38merge_sort_block_merge_config_selectorIjNS0_10empty_typeEEEZZNS1_27merge_sort_block_merge_implIS3_PjPS5_jNS1_19radix_merge_compareILb0ELb0EjNS0_19identity_decomposerEEEEE10hipError_tT0_T1_T2_jT3_P12ihipStream_tbPNSt15iterator_traitsISE_E10value_typeEPNSK_ISF_E10value_typeEPSG_NS1_7vsmem_tEENKUlT_SE_SF_SG_E_clIS8_S8_S9_S9_EESD_ST_SE_SF_SG_EUlST_E0_NS1_11comp_targetILNS1_3genE9ELNS1_11target_archE1100ELNS1_3gpuE3ELNS1_3repE0EEENS1_38merge_mergepath_config_static_selectorELNS0_4arch9wavefront6targetE0EEEvSF_, .Lfunc_end2692-_ZN7rocprim17ROCPRIM_400000_NS6detail17trampoline_kernelINS0_14default_configENS1_38merge_sort_block_merge_config_selectorIjNS0_10empty_typeEEEZZNS1_27merge_sort_block_merge_implIS3_PjPS5_jNS1_19radix_merge_compareILb0ELb0EjNS0_19identity_decomposerEEEEE10hipError_tT0_T1_T2_jT3_P12ihipStream_tbPNSt15iterator_traitsISE_E10value_typeEPNSK_ISF_E10value_typeEPSG_NS1_7vsmem_tEENKUlT_SE_SF_SG_E_clIS8_S8_S9_S9_EESD_ST_SE_SF_SG_EUlST_E0_NS1_11comp_targetILNS1_3genE9ELNS1_11target_archE1100ELNS1_3gpuE3ELNS1_3repE0EEENS1_38merge_mergepath_config_static_selectorELNS0_4arch9wavefront6targetE0EEEvSF_
                                        ; -- End function
	.set _ZN7rocprim17ROCPRIM_400000_NS6detail17trampoline_kernelINS0_14default_configENS1_38merge_sort_block_merge_config_selectorIjNS0_10empty_typeEEEZZNS1_27merge_sort_block_merge_implIS3_PjPS5_jNS1_19radix_merge_compareILb0ELb0EjNS0_19identity_decomposerEEEEE10hipError_tT0_T1_T2_jT3_P12ihipStream_tbPNSt15iterator_traitsISE_E10value_typeEPNSK_ISF_E10value_typeEPSG_NS1_7vsmem_tEENKUlT_SE_SF_SG_E_clIS8_S8_S9_S9_EESD_ST_SE_SF_SG_EUlST_E0_NS1_11comp_targetILNS1_3genE9ELNS1_11target_archE1100ELNS1_3gpuE3ELNS1_3repE0EEENS1_38merge_mergepath_config_static_selectorELNS0_4arch9wavefront6targetE0EEEvSF_.num_vgpr, 0
	.set _ZN7rocprim17ROCPRIM_400000_NS6detail17trampoline_kernelINS0_14default_configENS1_38merge_sort_block_merge_config_selectorIjNS0_10empty_typeEEEZZNS1_27merge_sort_block_merge_implIS3_PjPS5_jNS1_19radix_merge_compareILb0ELb0EjNS0_19identity_decomposerEEEEE10hipError_tT0_T1_T2_jT3_P12ihipStream_tbPNSt15iterator_traitsISE_E10value_typeEPNSK_ISF_E10value_typeEPSG_NS1_7vsmem_tEENKUlT_SE_SF_SG_E_clIS8_S8_S9_S9_EESD_ST_SE_SF_SG_EUlST_E0_NS1_11comp_targetILNS1_3genE9ELNS1_11target_archE1100ELNS1_3gpuE3ELNS1_3repE0EEENS1_38merge_mergepath_config_static_selectorELNS0_4arch9wavefront6targetE0EEEvSF_.num_agpr, 0
	.set _ZN7rocprim17ROCPRIM_400000_NS6detail17trampoline_kernelINS0_14default_configENS1_38merge_sort_block_merge_config_selectorIjNS0_10empty_typeEEEZZNS1_27merge_sort_block_merge_implIS3_PjPS5_jNS1_19radix_merge_compareILb0ELb0EjNS0_19identity_decomposerEEEEE10hipError_tT0_T1_T2_jT3_P12ihipStream_tbPNSt15iterator_traitsISE_E10value_typeEPNSK_ISF_E10value_typeEPSG_NS1_7vsmem_tEENKUlT_SE_SF_SG_E_clIS8_S8_S9_S9_EESD_ST_SE_SF_SG_EUlST_E0_NS1_11comp_targetILNS1_3genE9ELNS1_11target_archE1100ELNS1_3gpuE3ELNS1_3repE0EEENS1_38merge_mergepath_config_static_selectorELNS0_4arch9wavefront6targetE0EEEvSF_.numbered_sgpr, 0
	.set _ZN7rocprim17ROCPRIM_400000_NS6detail17trampoline_kernelINS0_14default_configENS1_38merge_sort_block_merge_config_selectorIjNS0_10empty_typeEEEZZNS1_27merge_sort_block_merge_implIS3_PjPS5_jNS1_19radix_merge_compareILb0ELb0EjNS0_19identity_decomposerEEEEE10hipError_tT0_T1_T2_jT3_P12ihipStream_tbPNSt15iterator_traitsISE_E10value_typeEPNSK_ISF_E10value_typeEPSG_NS1_7vsmem_tEENKUlT_SE_SF_SG_E_clIS8_S8_S9_S9_EESD_ST_SE_SF_SG_EUlST_E0_NS1_11comp_targetILNS1_3genE9ELNS1_11target_archE1100ELNS1_3gpuE3ELNS1_3repE0EEENS1_38merge_mergepath_config_static_selectorELNS0_4arch9wavefront6targetE0EEEvSF_.num_named_barrier, 0
	.set _ZN7rocprim17ROCPRIM_400000_NS6detail17trampoline_kernelINS0_14default_configENS1_38merge_sort_block_merge_config_selectorIjNS0_10empty_typeEEEZZNS1_27merge_sort_block_merge_implIS3_PjPS5_jNS1_19radix_merge_compareILb0ELb0EjNS0_19identity_decomposerEEEEE10hipError_tT0_T1_T2_jT3_P12ihipStream_tbPNSt15iterator_traitsISE_E10value_typeEPNSK_ISF_E10value_typeEPSG_NS1_7vsmem_tEENKUlT_SE_SF_SG_E_clIS8_S8_S9_S9_EESD_ST_SE_SF_SG_EUlST_E0_NS1_11comp_targetILNS1_3genE9ELNS1_11target_archE1100ELNS1_3gpuE3ELNS1_3repE0EEENS1_38merge_mergepath_config_static_selectorELNS0_4arch9wavefront6targetE0EEEvSF_.private_seg_size, 0
	.set _ZN7rocprim17ROCPRIM_400000_NS6detail17trampoline_kernelINS0_14default_configENS1_38merge_sort_block_merge_config_selectorIjNS0_10empty_typeEEEZZNS1_27merge_sort_block_merge_implIS3_PjPS5_jNS1_19radix_merge_compareILb0ELb0EjNS0_19identity_decomposerEEEEE10hipError_tT0_T1_T2_jT3_P12ihipStream_tbPNSt15iterator_traitsISE_E10value_typeEPNSK_ISF_E10value_typeEPSG_NS1_7vsmem_tEENKUlT_SE_SF_SG_E_clIS8_S8_S9_S9_EESD_ST_SE_SF_SG_EUlST_E0_NS1_11comp_targetILNS1_3genE9ELNS1_11target_archE1100ELNS1_3gpuE3ELNS1_3repE0EEENS1_38merge_mergepath_config_static_selectorELNS0_4arch9wavefront6targetE0EEEvSF_.uses_vcc, 0
	.set _ZN7rocprim17ROCPRIM_400000_NS6detail17trampoline_kernelINS0_14default_configENS1_38merge_sort_block_merge_config_selectorIjNS0_10empty_typeEEEZZNS1_27merge_sort_block_merge_implIS3_PjPS5_jNS1_19radix_merge_compareILb0ELb0EjNS0_19identity_decomposerEEEEE10hipError_tT0_T1_T2_jT3_P12ihipStream_tbPNSt15iterator_traitsISE_E10value_typeEPNSK_ISF_E10value_typeEPSG_NS1_7vsmem_tEENKUlT_SE_SF_SG_E_clIS8_S8_S9_S9_EESD_ST_SE_SF_SG_EUlST_E0_NS1_11comp_targetILNS1_3genE9ELNS1_11target_archE1100ELNS1_3gpuE3ELNS1_3repE0EEENS1_38merge_mergepath_config_static_selectorELNS0_4arch9wavefront6targetE0EEEvSF_.uses_flat_scratch, 0
	.set _ZN7rocprim17ROCPRIM_400000_NS6detail17trampoline_kernelINS0_14default_configENS1_38merge_sort_block_merge_config_selectorIjNS0_10empty_typeEEEZZNS1_27merge_sort_block_merge_implIS3_PjPS5_jNS1_19radix_merge_compareILb0ELb0EjNS0_19identity_decomposerEEEEE10hipError_tT0_T1_T2_jT3_P12ihipStream_tbPNSt15iterator_traitsISE_E10value_typeEPNSK_ISF_E10value_typeEPSG_NS1_7vsmem_tEENKUlT_SE_SF_SG_E_clIS8_S8_S9_S9_EESD_ST_SE_SF_SG_EUlST_E0_NS1_11comp_targetILNS1_3genE9ELNS1_11target_archE1100ELNS1_3gpuE3ELNS1_3repE0EEENS1_38merge_mergepath_config_static_selectorELNS0_4arch9wavefront6targetE0EEEvSF_.has_dyn_sized_stack, 0
	.set _ZN7rocprim17ROCPRIM_400000_NS6detail17trampoline_kernelINS0_14default_configENS1_38merge_sort_block_merge_config_selectorIjNS0_10empty_typeEEEZZNS1_27merge_sort_block_merge_implIS3_PjPS5_jNS1_19radix_merge_compareILb0ELb0EjNS0_19identity_decomposerEEEEE10hipError_tT0_T1_T2_jT3_P12ihipStream_tbPNSt15iterator_traitsISE_E10value_typeEPNSK_ISF_E10value_typeEPSG_NS1_7vsmem_tEENKUlT_SE_SF_SG_E_clIS8_S8_S9_S9_EESD_ST_SE_SF_SG_EUlST_E0_NS1_11comp_targetILNS1_3genE9ELNS1_11target_archE1100ELNS1_3gpuE3ELNS1_3repE0EEENS1_38merge_mergepath_config_static_selectorELNS0_4arch9wavefront6targetE0EEEvSF_.has_recursion, 0
	.set _ZN7rocprim17ROCPRIM_400000_NS6detail17trampoline_kernelINS0_14default_configENS1_38merge_sort_block_merge_config_selectorIjNS0_10empty_typeEEEZZNS1_27merge_sort_block_merge_implIS3_PjPS5_jNS1_19radix_merge_compareILb0ELb0EjNS0_19identity_decomposerEEEEE10hipError_tT0_T1_T2_jT3_P12ihipStream_tbPNSt15iterator_traitsISE_E10value_typeEPNSK_ISF_E10value_typeEPSG_NS1_7vsmem_tEENKUlT_SE_SF_SG_E_clIS8_S8_S9_S9_EESD_ST_SE_SF_SG_EUlST_E0_NS1_11comp_targetILNS1_3genE9ELNS1_11target_archE1100ELNS1_3gpuE3ELNS1_3repE0EEENS1_38merge_mergepath_config_static_selectorELNS0_4arch9wavefront6targetE0EEEvSF_.has_indirect_call, 0
	.section	.AMDGPU.csdata,"",@progbits
; Kernel info:
; codeLenInByte = 0
; TotalNumSgprs: 0
; NumVgprs: 0
; ScratchSize: 0
; MemoryBound: 0
; FloatMode: 240
; IeeeMode: 1
; LDSByteSize: 0 bytes/workgroup (compile time only)
; SGPRBlocks: 0
; VGPRBlocks: 0
; NumSGPRsForWavesPerEU: 1
; NumVGPRsForWavesPerEU: 1
; NamedBarCnt: 0
; Occupancy: 16
; WaveLimiterHint : 0
; COMPUTE_PGM_RSRC2:SCRATCH_EN: 0
; COMPUTE_PGM_RSRC2:USER_SGPR: 2
; COMPUTE_PGM_RSRC2:TRAP_HANDLER: 0
; COMPUTE_PGM_RSRC2:TGID_X_EN: 1
; COMPUTE_PGM_RSRC2:TGID_Y_EN: 0
; COMPUTE_PGM_RSRC2:TGID_Z_EN: 0
; COMPUTE_PGM_RSRC2:TIDIG_COMP_CNT: 0
	.section	.text._ZN7rocprim17ROCPRIM_400000_NS6detail17trampoline_kernelINS0_14default_configENS1_38merge_sort_block_merge_config_selectorIjNS0_10empty_typeEEEZZNS1_27merge_sort_block_merge_implIS3_PjPS5_jNS1_19radix_merge_compareILb0ELb0EjNS0_19identity_decomposerEEEEE10hipError_tT0_T1_T2_jT3_P12ihipStream_tbPNSt15iterator_traitsISE_E10value_typeEPNSK_ISF_E10value_typeEPSG_NS1_7vsmem_tEENKUlT_SE_SF_SG_E_clIS8_S8_S9_S9_EESD_ST_SE_SF_SG_EUlST_E0_NS1_11comp_targetILNS1_3genE8ELNS1_11target_archE1030ELNS1_3gpuE2ELNS1_3repE0EEENS1_38merge_mergepath_config_static_selectorELNS0_4arch9wavefront6targetE0EEEvSF_,"axG",@progbits,_ZN7rocprim17ROCPRIM_400000_NS6detail17trampoline_kernelINS0_14default_configENS1_38merge_sort_block_merge_config_selectorIjNS0_10empty_typeEEEZZNS1_27merge_sort_block_merge_implIS3_PjPS5_jNS1_19radix_merge_compareILb0ELb0EjNS0_19identity_decomposerEEEEE10hipError_tT0_T1_T2_jT3_P12ihipStream_tbPNSt15iterator_traitsISE_E10value_typeEPNSK_ISF_E10value_typeEPSG_NS1_7vsmem_tEENKUlT_SE_SF_SG_E_clIS8_S8_S9_S9_EESD_ST_SE_SF_SG_EUlST_E0_NS1_11comp_targetILNS1_3genE8ELNS1_11target_archE1030ELNS1_3gpuE2ELNS1_3repE0EEENS1_38merge_mergepath_config_static_selectorELNS0_4arch9wavefront6targetE0EEEvSF_,comdat
	.protected	_ZN7rocprim17ROCPRIM_400000_NS6detail17trampoline_kernelINS0_14default_configENS1_38merge_sort_block_merge_config_selectorIjNS0_10empty_typeEEEZZNS1_27merge_sort_block_merge_implIS3_PjPS5_jNS1_19radix_merge_compareILb0ELb0EjNS0_19identity_decomposerEEEEE10hipError_tT0_T1_T2_jT3_P12ihipStream_tbPNSt15iterator_traitsISE_E10value_typeEPNSK_ISF_E10value_typeEPSG_NS1_7vsmem_tEENKUlT_SE_SF_SG_E_clIS8_S8_S9_S9_EESD_ST_SE_SF_SG_EUlST_E0_NS1_11comp_targetILNS1_3genE8ELNS1_11target_archE1030ELNS1_3gpuE2ELNS1_3repE0EEENS1_38merge_mergepath_config_static_selectorELNS0_4arch9wavefront6targetE0EEEvSF_ ; -- Begin function _ZN7rocprim17ROCPRIM_400000_NS6detail17trampoline_kernelINS0_14default_configENS1_38merge_sort_block_merge_config_selectorIjNS0_10empty_typeEEEZZNS1_27merge_sort_block_merge_implIS3_PjPS5_jNS1_19radix_merge_compareILb0ELb0EjNS0_19identity_decomposerEEEEE10hipError_tT0_T1_T2_jT3_P12ihipStream_tbPNSt15iterator_traitsISE_E10value_typeEPNSK_ISF_E10value_typeEPSG_NS1_7vsmem_tEENKUlT_SE_SF_SG_E_clIS8_S8_S9_S9_EESD_ST_SE_SF_SG_EUlST_E0_NS1_11comp_targetILNS1_3genE8ELNS1_11target_archE1030ELNS1_3gpuE2ELNS1_3repE0EEENS1_38merge_mergepath_config_static_selectorELNS0_4arch9wavefront6targetE0EEEvSF_
	.globl	_ZN7rocprim17ROCPRIM_400000_NS6detail17trampoline_kernelINS0_14default_configENS1_38merge_sort_block_merge_config_selectorIjNS0_10empty_typeEEEZZNS1_27merge_sort_block_merge_implIS3_PjPS5_jNS1_19radix_merge_compareILb0ELb0EjNS0_19identity_decomposerEEEEE10hipError_tT0_T1_T2_jT3_P12ihipStream_tbPNSt15iterator_traitsISE_E10value_typeEPNSK_ISF_E10value_typeEPSG_NS1_7vsmem_tEENKUlT_SE_SF_SG_E_clIS8_S8_S9_S9_EESD_ST_SE_SF_SG_EUlST_E0_NS1_11comp_targetILNS1_3genE8ELNS1_11target_archE1030ELNS1_3gpuE2ELNS1_3repE0EEENS1_38merge_mergepath_config_static_selectorELNS0_4arch9wavefront6targetE0EEEvSF_
	.p2align	8
	.type	_ZN7rocprim17ROCPRIM_400000_NS6detail17trampoline_kernelINS0_14default_configENS1_38merge_sort_block_merge_config_selectorIjNS0_10empty_typeEEEZZNS1_27merge_sort_block_merge_implIS3_PjPS5_jNS1_19radix_merge_compareILb0ELb0EjNS0_19identity_decomposerEEEEE10hipError_tT0_T1_T2_jT3_P12ihipStream_tbPNSt15iterator_traitsISE_E10value_typeEPNSK_ISF_E10value_typeEPSG_NS1_7vsmem_tEENKUlT_SE_SF_SG_E_clIS8_S8_S9_S9_EESD_ST_SE_SF_SG_EUlST_E0_NS1_11comp_targetILNS1_3genE8ELNS1_11target_archE1030ELNS1_3gpuE2ELNS1_3repE0EEENS1_38merge_mergepath_config_static_selectorELNS0_4arch9wavefront6targetE0EEEvSF_,@function
_ZN7rocprim17ROCPRIM_400000_NS6detail17trampoline_kernelINS0_14default_configENS1_38merge_sort_block_merge_config_selectorIjNS0_10empty_typeEEEZZNS1_27merge_sort_block_merge_implIS3_PjPS5_jNS1_19radix_merge_compareILb0ELb0EjNS0_19identity_decomposerEEEEE10hipError_tT0_T1_T2_jT3_P12ihipStream_tbPNSt15iterator_traitsISE_E10value_typeEPNSK_ISF_E10value_typeEPSG_NS1_7vsmem_tEENKUlT_SE_SF_SG_E_clIS8_S8_S9_S9_EESD_ST_SE_SF_SG_EUlST_E0_NS1_11comp_targetILNS1_3genE8ELNS1_11target_archE1030ELNS1_3gpuE2ELNS1_3repE0EEENS1_38merge_mergepath_config_static_selectorELNS0_4arch9wavefront6targetE0EEEvSF_: ; @_ZN7rocprim17ROCPRIM_400000_NS6detail17trampoline_kernelINS0_14default_configENS1_38merge_sort_block_merge_config_selectorIjNS0_10empty_typeEEEZZNS1_27merge_sort_block_merge_implIS3_PjPS5_jNS1_19radix_merge_compareILb0ELb0EjNS0_19identity_decomposerEEEEE10hipError_tT0_T1_T2_jT3_P12ihipStream_tbPNSt15iterator_traitsISE_E10value_typeEPNSK_ISF_E10value_typeEPSG_NS1_7vsmem_tEENKUlT_SE_SF_SG_E_clIS8_S8_S9_S9_EESD_ST_SE_SF_SG_EUlST_E0_NS1_11comp_targetILNS1_3genE8ELNS1_11target_archE1030ELNS1_3gpuE2ELNS1_3repE0EEENS1_38merge_mergepath_config_static_selectorELNS0_4arch9wavefront6targetE0EEEvSF_
; %bb.0:
	.section	.rodata,"a",@progbits
	.p2align	6, 0x0
	.amdhsa_kernel _ZN7rocprim17ROCPRIM_400000_NS6detail17trampoline_kernelINS0_14default_configENS1_38merge_sort_block_merge_config_selectorIjNS0_10empty_typeEEEZZNS1_27merge_sort_block_merge_implIS3_PjPS5_jNS1_19radix_merge_compareILb0ELb0EjNS0_19identity_decomposerEEEEE10hipError_tT0_T1_T2_jT3_P12ihipStream_tbPNSt15iterator_traitsISE_E10value_typeEPNSK_ISF_E10value_typeEPSG_NS1_7vsmem_tEENKUlT_SE_SF_SG_E_clIS8_S8_S9_S9_EESD_ST_SE_SF_SG_EUlST_E0_NS1_11comp_targetILNS1_3genE8ELNS1_11target_archE1030ELNS1_3gpuE2ELNS1_3repE0EEENS1_38merge_mergepath_config_static_selectorELNS0_4arch9wavefront6targetE0EEEvSF_
		.amdhsa_group_segment_fixed_size 0
		.amdhsa_private_segment_fixed_size 0
		.amdhsa_kernarg_size 64
		.amdhsa_user_sgpr_count 2
		.amdhsa_user_sgpr_dispatch_ptr 0
		.amdhsa_user_sgpr_queue_ptr 0
		.amdhsa_user_sgpr_kernarg_segment_ptr 1
		.amdhsa_user_sgpr_dispatch_id 0
		.amdhsa_user_sgpr_kernarg_preload_length 0
		.amdhsa_user_sgpr_kernarg_preload_offset 0
		.amdhsa_user_sgpr_private_segment_size 0
		.amdhsa_wavefront_size32 1
		.amdhsa_uses_dynamic_stack 0
		.amdhsa_enable_private_segment 0
		.amdhsa_system_sgpr_workgroup_id_x 1
		.amdhsa_system_sgpr_workgroup_id_y 0
		.amdhsa_system_sgpr_workgroup_id_z 0
		.amdhsa_system_sgpr_workgroup_info 0
		.amdhsa_system_vgpr_workitem_id 0
		.amdhsa_next_free_vgpr 1
		.amdhsa_next_free_sgpr 1
		.amdhsa_named_barrier_count 0
		.amdhsa_reserve_vcc 0
		.amdhsa_float_round_mode_32 0
		.amdhsa_float_round_mode_16_64 0
		.amdhsa_float_denorm_mode_32 3
		.amdhsa_float_denorm_mode_16_64 3
		.amdhsa_fp16_overflow 0
		.amdhsa_memory_ordered 1
		.amdhsa_forward_progress 1
		.amdhsa_inst_pref_size 0
		.amdhsa_round_robin_scheduling 0
		.amdhsa_exception_fp_ieee_invalid_op 0
		.amdhsa_exception_fp_denorm_src 0
		.amdhsa_exception_fp_ieee_div_zero 0
		.amdhsa_exception_fp_ieee_overflow 0
		.amdhsa_exception_fp_ieee_underflow 0
		.amdhsa_exception_fp_ieee_inexact 0
		.amdhsa_exception_int_div_zero 0
	.end_amdhsa_kernel
	.section	.text._ZN7rocprim17ROCPRIM_400000_NS6detail17trampoline_kernelINS0_14default_configENS1_38merge_sort_block_merge_config_selectorIjNS0_10empty_typeEEEZZNS1_27merge_sort_block_merge_implIS3_PjPS5_jNS1_19radix_merge_compareILb0ELb0EjNS0_19identity_decomposerEEEEE10hipError_tT0_T1_T2_jT3_P12ihipStream_tbPNSt15iterator_traitsISE_E10value_typeEPNSK_ISF_E10value_typeEPSG_NS1_7vsmem_tEENKUlT_SE_SF_SG_E_clIS8_S8_S9_S9_EESD_ST_SE_SF_SG_EUlST_E0_NS1_11comp_targetILNS1_3genE8ELNS1_11target_archE1030ELNS1_3gpuE2ELNS1_3repE0EEENS1_38merge_mergepath_config_static_selectorELNS0_4arch9wavefront6targetE0EEEvSF_,"axG",@progbits,_ZN7rocprim17ROCPRIM_400000_NS6detail17trampoline_kernelINS0_14default_configENS1_38merge_sort_block_merge_config_selectorIjNS0_10empty_typeEEEZZNS1_27merge_sort_block_merge_implIS3_PjPS5_jNS1_19radix_merge_compareILb0ELb0EjNS0_19identity_decomposerEEEEE10hipError_tT0_T1_T2_jT3_P12ihipStream_tbPNSt15iterator_traitsISE_E10value_typeEPNSK_ISF_E10value_typeEPSG_NS1_7vsmem_tEENKUlT_SE_SF_SG_E_clIS8_S8_S9_S9_EESD_ST_SE_SF_SG_EUlST_E0_NS1_11comp_targetILNS1_3genE8ELNS1_11target_archE1030ELNS1_3gpuE2ELNS1_3repE0EEENS1_38merge_mergepath_config_static_selectorELNS0_4arch9wavefront6targetE0EEEvSF_,comdat
.Lfunc_end2693:
	.size	_ZN7rocprim17ROCPRIM_400000_NS6detail17trampoline_kernelINS0_14default_configENS1_38merge_sort_block_merge_config_selectorIjNS0_10empty_typeEEEZZNS1_27merge_sort_block_merge_implIS3_PjPS5_jNS1_19radix_merge_compareILb0ELb0EjNS0_19identity_decomposerEEEEE10hipError_tT0_T1_T2_jT3_P12ihipStream_tbPNSt15iterator_traitsISE_E10value_typeEPNSK_ISF_E10value_typeEPSG_NS1_7vsmem_tEENKUlT_SE_SF_SG_E_clIS8_S8_S9_S9_EESD_ST_SE_SF_SG_EUlST_E0_NS1_11comp_targetILNS1_3genE8ELNS1_11target_archE1030ELNS1_3gpuE2ELNS1_3repE0EEENS1_38merge_mergepath_config_static_selectorELNS0_4arch9wavefront6targetE0EEEvSF_, .Lfunc_end2693-_ZN7rocprim17ROCPRIM_400000_NS6detail17trampoline_kernelINS0_14default_configENS1_38merge_sort_block_merge_config_selectorIjNS0_10empty_typeEEEZZNS1_27merge_sort_block_merge_implIS3_PjPS5_jNS1_19radix_merge_compareILb0ELb0EjNS0_19identity_decomposerEEEEE10hipError_tT0_T1_T2_jT3_P12ihipStream_tbPNSt15iterator_traitsISE_E10value_typeEPNSK_ISF_E10value_typeEPSG_NS1_7vsmem_tEENKUlT_SE_SF_SG_E_clIS8_S8_S9_S9_EESD_ST_SE_SF_SG_EUlST_E0_NS1_11comp_targetILNS1_3genE8ELNS1_11target_archE1030ELNS1_3gpuE2ELNS1_3repE0EEENS1_38merge_mergepath_config_static_selectorELNS0_4arch9wavefront6targetE0EEEvSF_
                                        ; -- End function
	.set _ZN7rocprim17ROCPRIM_400000_NS6detail17trampoline_kernelINS0_14default_configENS1_38merge_sort_block_merge_config_selectorIjNS0_10empty_typeEEEZZNS1_27merge_sort_block_merge_implIS3_PjPS5_jNS1_19radix_merge_compareILb0ELb0EjNS0_19identity_decomposerEEEEE10hipError_tT0_T1_T2_jT3_P12ihipStream_tbPNSt15iterator_traitsISE_E10value_typeEPNSK_ISF_E10value_typeEPSG_NS1_7vsmem_tEENKUlT_SE_SF_SG_E_clIS8_S8_S9_S9_EESD_ST_SE_SF_SG_EUlST_E0_NS1_11comp_targetILNS1_3genE8ELNS1_11target_archE1030ELNS1_3gpuE2ELNS1_3repE0EEENS1_38merge_mergepath_config_static_selectorELNS0_4arch9wavefront6targetE0EEEvSF_.num_vgpr, 0
	.set _ZN7rocprim17ROCPRIM_400000_NS6detail17trampoline_kernelINS0_14default_configENS1_38merge_sort_block_merge_config_selectorIjNS0_10empty_typeEEEZZNS1_27merge_sort_block_merge_implIS3_PjPS5_jNS1_19radix_merge_compareILb0ELb0EjNS0_19identity_decomposerEEEEE10hipError_tT0_T1_T2_jT3_P12ihipStream_tbPNSt15iterator_traitsISE_E10value_typeEPNSK_ISF_E10value_typeEPSG_NS1_7vsmem_tEENKUlT_SE_SF_SG_E_clIS8_S8_S9_S9_EESD_ST_SE_SF_SG_EUlST_E0_NS1_11comp_targetILNS1_3genE8ELNS1_11target_archE1030ELNS1_3gpuE2ELNS1_3repE0EEENS1_38merge_mergepath_config_static_selectorELNS0_4arch9wavefront6targetE0EEEvSF_.num_agpr, 0
	.set _ZN7rocprim17ROCPRIM_400000_NS6detail17trampoline_kernelINS0_14default_configENS1_38merge_sort_block_merge_config_selectorIjNS0_10empty_typeEEEZZNS1_27merge_sort_block_merge_implIS3_PjPS5_jNS1_19radix_merge_compareILb0ELb0EjNS0_19identity_decomposerEEEEE10hipError_tT0_T1_T2_jT3_P12ihipStream_tbPNSt15iterator_traitsISE_E10value_typeEPNSK_ISF_E10value_typeEPSG_NS1_7vsmem_tEENKUlT_SE_SF_SG_E_clIS8_S8_S9_S9_EESD_ST_SE_SF_SG_EUlST_E0_NS1_11comp_targetILNS1_3genE8ELNS1_11target_archE1030ELNS1_3gpuE2ELNS1_3repE0EEENS1_38merge_mergepath_config_static_selectorELNS0_4arch9wavefront6targetE0EEEvSF_.numbered_sgpr, 0
	.set _ZN7rocprim17ROCPRIM_400000_NS6detail17trampoline_kernelINS0_14default_configENS1_38merge_sort_block_merge_config_selectorIjNS0_10empty_typeEEEZZNS1_27merge_sort_block_merge_implIS3_PjPS5_jNS1_19radix_merge_compareILb0ELb0EjNS0_19identity_decomposerEEEEE10hipError_tT0_T1_T2_jT3_P12ihipStream_tbPNSt15iterator_traitsISE_E10value_typeEPNSK_ISF_E10value_typeEPSG_NS1_7vsmem_tEENKUlT_SE_SF_SG_E_clIS8_S8_S9_S9_EESD_ST_SE_SF_SG_EUlST_E0_NS1_11comp_targetILNS1_3genE8ELNS1_11target_archE1030ELNS1_3gpuE2ELNS1_3repE0EEENS1_38merge_mergepath_config_static_selectorELNS0_4arch9wavefront6targetE0EEEvSF_.num_named_barrier, 0
	.set _ZN7rocprim17ROCPRIM_400000_NS6detail17trampoline_kernelINS0_14default_configENS1_38merge_sort_block_merge_config_selectorIjNS0_10empty_typeEEEZZNS1_27merge_sort_block_merge_implIS3_PjPS5_jNS1_19radix_merge_compareILb0ELb0EjNS0_19identity_decomposerEEEEE10hipError_tT0_T1_T2_jT3_P12ihipStream_tbPNSt15iterator_traitsISE_E10value_typeEPNSK_ISF_E10value_typeEPSG_NS1_7vsmem_tEENKUlT_SE_SF_SG_E_clIS8_S8_S9_S9_EESD_ST_SE_SF_SG_EUlST_E0_NS1_11comp_targetILNS1_3genE8ELNS1_11target_archE1030ELNS1_3gpuE2ELNS1_3repE0EEENS1_38merge_mergepath_config_static_selectorELNS0_4arch9wavefront6targetE0EEEvSF_.private_seg_size, 0
	.set _ZN7rocprim17ROCPRIM_400000_NS6detail17trampoline_kernelINS0_14default_configENS1_38merge_sort_block_merge_config_selectorIjNS0_10empty_typeEEEZZNS1_27merge_sort_block_merge_implIS3_PjPS5_jNS1_19radix_merge_compareILb0ELb0EjNS0_19identity_decomposerEEEEE10hipError_tT0_T1_T2_jT3_P12ihipStream_tbPNSt15iterator_traitsISE_E10value_typeEPNSK_ISF_E10value_typeEPSG_NS1_7vsmem_tEENKUlT_SE_SF_SG_E_clIS8_S8_S9_S9_EESD_ST_SE_SF_SG_EUlST_E0_NS1_11comp_targetILNS1_3genE8ELNS1_11target_archE1030ELNS1_3gpuE2ELNS1_3repE0EEENS1_38merge_mergepath_config_static_selectorELNS0_4arch9wavefront6targetE0EEEvSF_.uses_vcc, 0
	.set _ZN7rocprim17ROCPRIM_400000_NS6detail17trampoline_kernelINS0_14default_configENS1_38merge_sort_block_merge_config_selectorIjNS0_10empty_typeEEEZZNS1_27merge_sort_block_merge_implIS3_PjPS5_jNS1_19radix_merge_compareILb0ELb0EjNS0_19identity_decomposerEEEEE10hipError_tT0_T1_T2_jT3_P12ihipStream_tbPNSt15iterator_traitsISE_E10value_typeEPNSK_ISF_E10value_typeEPSG_NS1_7vsmem_tEENKUlT_SE_SF_SG_E_clIS8_S8_S9_S9_EESD_ST_SE_SF_SG_EUlST_E0_NS1_11comp_targetILNS1_3genE8ELNS1_11target_archE1030ELNS1_3gpuE2ELNS1_3repE0EEENS1_38merge_mergepath_config_static_selectorELNS0_4arch9wavefront6targetE0EEEvSF_.uses_flat_scratch, 0
	.set _ZN7rocprim17ROCPRIM_400000_NS6detail17trampoline_kernelINS0_14default_configENS1_38merge_sort_block_merge_config_selectorIjNS0_10empty_typeEEEZZNS1_27merge_sort_block_merge_implIS3_PjPS5_jNS1_19radix_merge_compareILb0ELb0EjNS0_19identity_decomposerEEEEE10hipError_tT0_T1_T2_jT3_P12ihipStream_tbPNSt15iterator_traitsISE_E10value_typeEPNSK_ISF_E10value_typeEPSG_NS1_7vsmem_tEENKUlT_SE_SF_SG_E_clIS8_S8_S9_S9_EESD_ST_SE_SF_SG_EUlST_E0_NS1_11comp_targetILNS1_3genE8ELNS1_11target_archE1030ELNS1_3gpuE2ELNS1_3repE0EEENS1_38merge_mergepath_config_static_selectorELNS0_4arch9wavefront6targetE0EEEvSF_.has_dyn_sized_stack, 0
	.set _ZN7rocprim17ROCPRIM_400000_NS6detail17trampoline_kernelINS0_14default_configENS1_38merge_sort_block_merge_config_selectorIjNS0_10empty_typeEEEZZNS1_27merge_sort_block_merge_implIS3_PjPS5_jNS1_19radix_merge_compareILb0ELb0EjNS0_19identity_decomposerEEEEE10hipError_tT0_T1_T2_jT3_P12ihipStream_tbPNSt15iterator_traitsISE_E10value_typeEPNSK_ISF_E10value_typeEPSG_NS1_7vsmem_tEENKUlT_SE_SF_SG_E_clIS8_S8_S9_S9_EESD_ST_SE_SF_SG_EUlST_E0_NS1_11comp_targetILNS1_3genE8ELNS1_11target_archE1030ELNS1_3gpuE2ELNS1_3repE0EEENS1_38merge_mergepath_config_static_selectorELNS0_4arch9wavefront6targetE0EEEvSF_.has_recursion, 0
	.set _ZN7rocprim17ROCPRIM_400000_NS6detail17trampoline_kernelINS0_14default_configENS1_38merge_sort_block_merge_config_selectorIjNS0_10empty_typeEEEZZNS1_27merge_sort_block_merge_implIS3_PjPS5_jNS1_19radix_merge_compareILb0ELb0EjNS0_19identity_decomposerEEEEE10hipError_tT0_T1_T2_jT3_P12ihipStream_tbPNSt15iterator_traitsISE_E10value_typeEPNSK_ISF_E10value_typeEPSG_NS1_7vsmem_tEENKUlT_SE_SF_SG_E_clIS8_S8_S9_S9_EESD_ST_SE_SF_SG_EUlST_E0_NS1_11comp_targetILNS1_3genE8ELNS1_11target_archE1030ELNS1_3gpuE2ELNS1_3repE0EEENS1_38merge_mergepath_config_static_selectorELNS0_4arch9wavefront6targetE0EEEvSF_.has_indirect_call, 0
	.section	.AMDGPU.csdata,"",@progbits
; Kernel info:
; codeLenInByte = 0
; TotalNumSgprs: 0
; NumVgprs: 0
; ScratchSize: 0
; MemoryBound: 0
; FloatMode: 240
; IeeeMode: 1
; LDSByteSize: 0 bytes/workgroup (compile time only)
; SGPRBlocks: 0
; VGPRBlocks: 0
; NumSGPRsForWavesPerEU: 1
; NumVGPRsForWavesPerEU: 1
; NamedBarCnt: 0
; Occupancy: 16
; WaveLimiterHint : 0
; COMPUTE_PGM_RSRC2:SCRATCH_EN: 0
; COMPUTE_PGM_RSRC2:USER_SGPR: 2
; COMPUTE_PGM_RSRC2:TRAP_HANDLER: 0
; COMPUTE_PGM_RSRC2:TGID_X_EN: 1
; COMPUTE_PGM_RSRC2:TGID_Y_EN: 0
; COMPUTE_PGM_RSRC2:TGID_Z_EN: 0
; COMPUTE_PGM_RSRC2:TIDIG_COMP_CNT: 0
	.section	.text._ZN7rocprim17ROCPRIM_400000_NS6detail17trampoline_kernelINS0_14default_configENS1_38merge_sort_block_merge_config_selectorIjNS0_10empty_typeEEEZZNS1_27merge_sort_block_merge_implIS3_PjPS5_jNS1_19radix_merge_compareILb0ELb0EjNS0_19identity_decomposerEEEEE10hipError_tT0_T1_T2_jT3_P12ihipStream_tbPNSt15iterator_traitsISE_E10value_typeEPNSK_ISF_E10value_typeEPSG_NS1_7vsmem_tEENKUlT_SE_SF_SG_E_clIS8_S8_S9_S9_EESD_ST_SE_SF_SG_EUlST_E1_NS1_11comp_targetILNS1_3genE0ELNS1_11target_archE4294967295ELNS1_3gpuE0ELNS1_3repE0EEENS1_36merge_oddeven_config_static_selectorELNS0_4arch9wavefront6targetE0EEEvSF_,"axG",@progbits,_ZN7rocprim17ROCPRIM_400000_NS6detail17trampoline_kernelINS0_14default_configENS1_38merge_sort_block_merge_config_selectorIjNS0_10empty_typeEEEZZNS1_27merge_sort_block_merge_implIS3_PjPS5_jNS1_19radix_merge_compareILb0ELb0EjNS0_19identity_decomposerEEEEE10hipError_tT0_T1_T2_jT3_P12ihipStream_tbPNSt15iterator_traitsISE_E10value_typeEPNSK_ISF_E10value_typeEPSG_NS1_7vsmem_tEENKUlT_SE_SF_SG_E_clIS8_S8_S9_S9_EESD_ST_SE_SF_SG_EUlST_E1_NS1_11comp_targetILNS1_3genE0ELNS1_11target_archE4294967295ELNS1_3gpuE0ELNS1_3repE0EEENS1_36merge_oddeven_config_static_selectorELNS0_4arch9wavefront6targetE0EEEvSF_,comdat
	.protected	_ZN7rocprim17ROCPRIM_400000_NS6detail17trampoline_kernelINS0_14default_configENS1_38merge_sort_block_merge_config_selectorIjNS0_10empty_typeEEEZZNS1_27merge_sort_block_merge_implIS3_PjPS5_jNS1_19radix_merge_compareILb0ELb0EjNS0_19identity_decomposerEEEEE10hipError_tT0_T1_T2_jT3_P12ihipStream_tbPNSt15iterator_traitsISE_E10value_typeEPNSK_ISF_E10value_typeEPSG_NS1_7vsmem_tEENKUlT_SE_SF_SG_E_clIS8_S8_S9_S9_EESD_ST_SE_SF_SG_EUlST_E1_NS1_11comp_targetILNS1_3genE0ELNS1_11target_archE4294967295ELNS1_3gpuE0ELNS1_3repE0EEENS1_36merge_oddeven_config_static_selectorELNS0_4arch9wavefront6targetE0EEEvSF_ ; -- Begin function _ZN7rocprim17ROCPRIM_400000_NS6detail17trampoline_kernelINS0_14default_configENS1_38merge_sort_block_merge_config_selectorIjNS0_10empty_typeEEEZZNS1_27merge_sort_block_merge_implIS3_PjPS5_jNS1_19radix_merge_compareILb0ELb0EjNS0_19identity_decomposerEEEEE10hipError_tT0_T1_T2_jT3_P12ihipStream_tbPNSt15iterator_traitsISE_E10value_typeEPNSK_ISF_E10value_typeEPSG_NS1_7vsmem_tEENKUlT_SE_SF_SG_E_clIS8_S8_S9_S9_EESD_ST_SE_SF_SG_EUlST_E1_NS1_11comp_targetILNS1_3genE0ELNS1_11target_archE4294967295ELNS1_3gpuE0ELNS1_3repE0EEENS1_36merge_oddeven_config_static_selectorELNS0_4arch9wavefront6targetE0EEEvSF_
	.globl	_ZN7rocprim17ROCPRIM_400000_NS6detail17trampoline_kernelINS0_14default_configENS1_38merge_sort_block_merge_config_selectorIjNS0_10empty_typeEEEZZNS1_27merge_sort_block_merge_implIS3_PjPS5_jNS1_19radix_merge_compareILb0ELb0EjNS0_19identity_decomposerEEEEE10hipError_tT0_T1_T2_jT3_P12ihipStream_tbPNSt15iterator_traitsISE_E10value_typeEPNSK_ISF_E10value_typeEPSG_NS1_7vsmem_tEENKUlT_SE_SF_SG_E_clIS8_S8_S9_S9_EESD_ST_SE_SF_SG_EUlST_E1_NS1_11comp_targetILNS1_3genE0ELNS1_11target_archE4294967295ELNS1_3gpuE0ELNS1_3repE0EEENS1_36merge_oddeven_config_static_selectorELNS0_4arch9wavefront6targetE0EEEvSF_
	.p2align	8
	.type	_ZN7rocprim17ROCPRIM_400000_NS6detail17trampoline_kernelINS0_14default_configENS1_38merge_sort_block_merge_config_selectorIjNS0_10empty_typeEEEZZNS1_27merge_sort_block_merge_implIS3_PjPS5_jNS1_19radix_merge_compareILb0ELb0EjNS0_19identity_decomposerEEEEE10hipError_tT0_T1_T2_jT3_P12ihipStream_tbPNSt15iterator_traitsISE_E10value_typeEPNSK_ISF_E10value_typeEPSG_NS1_7vsmem_tEENKUlT_SE_SF_SG_E_clIS8_S8_S9_S9_EESD_ST_SE_SF_SG_EUlST_E1_NS1_11comp_targetILNS1_3genE0ELNS1_11target_archE4294967295ELNS1_3gpuE0ELNS1_3repE0EEENS1_36merge_oddeven_config_static_selectorELNS0_4arch9wavefront6targetE0EEEvSF_,@function
_ZN7rocprim17ROCPRIM_400000_NS6detail17trampoline_kernelINS0_14default_configENS1_38merge_sort_block_merge_config_selectorIjNS0_10empty_typeEEEZZNS1_27merge_sort_block_merge_implIS3_PjPS5_jNS1_19radix_merge_compareILb0ELb0EjNS0_19identity_decomposerEEEEE10hipError_tT0_T1_T2_jT3_P12ihipStream_tbPNSt15iterator_traitsISE_E10value_typeEPNSK_ISF_E10value_typeEPSG_NS1_7vsmem_tEENKUlT_SE_SF_SG_E_clIS8_S8_S9_S9_EESD_ST_SE_SF_SG_EUlST_E1_NS1_11comp_targetILNS1_3genE0ELNS1_11target_archE4294967295ELNS1_3gpuE0ELNS1_3repE0EEENS1_36merge_oddeven_config_static_selectorELNS0_4arch9wavefront6targetE0EEEvSF_: ; @_ZN7rocprim17ROCPRIM_400000_NS6detail17trampoline_kernelINS0_14default_configENS1_38merge_sort_block_merge_config_selectorIjNS0_10empty_typeEEEZZNS1_27merge_sort_block_merge_implIS3_PjPS5_jNS1_19radix_merge_compareILb0ELb0EjNS0_19identity_decomposerEEEEE10hipError_tT0_T1_T2_jT3_P12ihipStream_tbPNSt15iterator_traitsISE_E10value_typeEPNSK_ISF_E10value_typeEPSG_NS1_7vsmem_tEENKUlT_SE_SF_SG_E_clIS8_S8_S9_S9_EESD_ST_SE_SF_SG_EUlST_E1_NS1_11comp_targetILNS1_3genE0ELNS1_11target_archE4294967295ELNS1_3gpuE0ELNS1_3repE0EEENS1_36merge_oddeven_config_static_selectorELNS0_4arch9wavefront6targetE0EEEvSF_
; %bb.0:
	s_load_b32 s10, s[0:1], 0x20
	s_bfe_u32 s2, ttmp6, 0x4000c
	s_and_b32 s3, ttmp6, 15
	s_add_co_i32 s2, s2, 1
	s_getreg_b32 s4, hwreg(HW_REG_IB_STS2, 6, 4)
	s_mul_i32 s2, ttmp9, s2
	s_mov_b32 s9, 0
	s_add_co_i32 s3, s3, s2
	s_cmp_eq_u32 s4, 0
	s_cselect_b32 s13, ttmp9, s3
	s_wait_kmcnt 0x0
	s_lshr_b32 s2, s10, 8
	s_delay_alu instid0(SALU_CYCLE_1) | instskip(SKIP_4) | instid1(SALU_CYCLE_1)
	s_cmp_lg_u32 s13, s2
	s_cselect_b32 s3, -1, 0
	s_cmp_eq_u32 s13, s2
	s_cselect_b32 s11, -1, 0
	s_lshl_b32 s8, s13, 8
	s_sub_co_i32 s2, s10, s8
	s_delay_alu instid0(SALU_CYCLE_1) | instskip(SKIP_1) | instid1(SALU_CYCLE_1)
	v_cmp_gt_u32_e64 s2, s2, v0
	s_or_b32 s4, s3, s2
	s_and_saveexec_b32 s5, s4
	s_cbranch_execz .LBB2694_20
; %bb.1:
	s_clause 0x1
	s_load_b128 s[4:7], s[0:1], 0x0
	s_load_b32 s12, s[0:1], 0x24
	s_lshl_b64 s[14:15], s[8:9], 2
	v_add_nc_u32_e32 v2, s8, v0
	s_wait_kmcnt 0x0
	s_add_nc_u64 s[0:1], s[4:5], s[14:15]
	global_load_b32 v1, v0, s[0:1] scale_offset
	s_wait_xcnt 0x0
	s_lshr_b32 s0, s12, 8
	s_delay_alu instid0(SALU_CYCLE_1) | instskip(NEXT) | instid1(SALU_CYCLE_1)
	s_sub_co_i32 s1, 0, s0
	s_and_b32 s1, s13, s1
	s_delay_alu instid0(SALU_CYCLE_1) | instskip(SKIP_4) | instid1(SALU_CYCLE_1)
	s_and_b32 s0, s1, s0
	s_lshl_b32 s13, s1, 8
	s_sub_co_i32 s1, 0, s12
	s_cmp_eq_u32 s0, 0
	s_cselect_b32 s0, -1, 0
	s_and_b32 s14, s0, exec_lo
	s_cselect_b32 s1, s12, s1
	s_delay_alu instid0(SALU_CYCLE_1) | instskip(NEXT) | instid1(SALU_CYCLE_1)
	s_add_co_i32 s1, s1, s13
	s_cmp_gt_u32 s10, s1
	s_cbranch_scc1 .LBB2694_3
; %bb.2:
	v_cmp_gt_u32_e32 vcc_lo, s10, v2
	s_or_b32 s8, vcc_lo, s3
	s_delay_alu instid0(SALU_CYCLE_1)
	s_and_b32 s9, s8, exec_lo
	s_cbranch_execz .LBB2694_4
	s_branch .LBB2694_18
.LBB2694_3:
.LBB2694_4:
	s_min_u32 s3, s1, s10
	s_and_b32 vcc_lo, exec_lo, s11
	s_add_co_i32 s8, s13, s3
	s_add_co_i32 s12, s3, s12
	v_subrev_nc_u32_e32 v0, s8, v2
	s_min_u32 s8, s13, s3
	s_delay_alu instid0(VALU_DEP_1) | instid1(SALU_CYCLE_1)
	v_add_nc_u32_e32 v0, s8, v0
	s_min_u32 s8, s12, s10
	s_cbranch_vccz .LBB2694_12
; %bb.5:
                                        ; implicit-def: $vgpr2
	s_and_saveexec_b32 s10, s2
	s_cbranch_execz .LBB2694_11
; %bb.6:
	v_mov_b32_e32 v2, s3
	s_cmp_ge_u32 s1, s8
	s_cbranch_scc1 .LBB2694_10
; %bb.7:
	v_dual_mov_b32 v3, s8 :: v_dual_mov_b32 v2, s3
	s_mov_b32 s2, 0
.LBB2694_8:                             ; =>This Inner Loop Header: Depth=1
	s_delay_alu instid0(VALU_DEP_1) | instskip(NEXT) | instid1(VALU_DEP_1)
	v_add_nc_u32_e32 v4, v2, v3
	v_lshrrev_b32_e32 v4, 1, v4
	global_load_b32 v5, v4, s[4:5] scale_offset
	s_wait_loadcnt 0x0
	v_cmp_gt_u32_e32 vcc_lo, v1, v5
	v_cndmask_b32_e64 v6, 0, 1, vcc_lo
	v_cmp_le_u32_e32 vcc_lo, v5, v1
	v_cndmask_b32_e64 v5, 0, 1, vcc_lo
	s_delay_alu instid0(VALU_DEP_1) | instskip(NEXT) | instid1(VALU_DEP_1)
	v_cndmask_b32_e64 v5, v5, v6, s0
	v_and_b32_e32 v5, 1, v5
	s_delay_alu instid0(VALU_DEP_1) | instskip(SKIP_1) | instid1(VALU_DEP_1)
	v_cmp_eq_u32_e32 vcc_lo, 1, v5
	v_dual_cndmask_b32 v3, v4, v3 :: v_dual_add_nc_u32 v6, 1, v4
	v_cndmask_b32_e32 v2, v2, v6, vcc_lo
	s_delay_alu instid0(VALU_DEP_1) | instskip(SKIP_1) | instid1(SALU_CYCLE_1)
	v_cmp_ge_u32_e32 vcc_lo, v2, v3
	s_or_b32 s2, vcc_lo, s2
	s_and_not1_b32 exec_lo, exec_lo, s2
	s_cbranch_execnz .LBB2694_8
; %bb.9:
	s_or_b32 exec_lo, exec_lo, s2
.LBB2694_10:
	s_delay_alu instid0(VALU_DEP_1)
	v_add_nc_u32_e32 v2, v2, v0
	s_or_b32 s9, s9, exec_lo
.LBB2694_11:
	s_or_b32 exec_lo, exec_lo, s10
	s_branch .LBB2694_18
.LBB2694_12:
                                        ; implicit-def: $vgpr2
	s_cbranch_execz .LBB2694_18
; %bb.13:
	v_mov_b32_e32 v2, s3
	s_cmp_ge_u32 s1, s8
	s_cbranch_scc1 .LBB2694_17
; %bb.14:
	v_dual_mov_b32 v3, s8 :: v_dual_mov_b32 v2, s3
	s_mov_b32 s1, 0
.LBB2694_15:                            ; =>This Inner Loop Header: Depth=1
	s_delay_alu instid0(VALU_DEP_1) | instskip(NEXT) | instid1(VALU_DEP_1)
	v_add_nc_u32_e32 v4, v2, v3
	v_lshrrev_b32_e32 v4, 1, v4
	global_load_b32 v5, v4, s[4:5] scale_offset
	s_wait_loadcnt 0x0
	v_cmp_gt_u32_e32 vcc_lo, v1, v5
	v_cndmask_b32_e64 v6, 0, 1, vcc_lo
	v_cmp_le_u32_e32 vcc_lo, v5, v1
	v_cndmask_b32_e64 v5, 0, 1, vcc_lo
	s_delay_alu instid0(VALU_DEP_1) | instskip(NEXT) | instid1(VALU_DEP_1)
	v_cndmask_b32_e64 v5, v5, v6, s0
	v_and_b32_e32 v5, 1, v5
	s_delay_alu instid0(VALU_DEP_1) | instskip(SKIP_1) | instid1(VALU_DEP_1)
	v_cmp_eq_u32_e32 vcc_lo, 1, v5
	v_dual_cndmask_b32 v3, v4, v3 :: v_dual_add_nc_u32 v6, 1, v4
	v_cndmask_b32_e32 v2, v2, v6, vcc_lo
	s_delay_alu instid0(VALU_DEP_1) | instskip(SKIP_1) | instid1(SALU_CYCLE_1)
	v_cmp_ge_u32_e32 vcc_lo, v2, v3
	s_or_b32 s1, vcc_lo, s1
	s_and_not1_b32 exec_lo, exec_lo, s1
	s_cbranch_execnz .LBB2694_15
; %bb.16:
	s_or_b32 exec_lo, exec_lo, s1
.LBB2694_17:
	s_delay_alu instid0(VALU_DEP_1)
	v_add_nc_u32_e32 v2, v2, v0
	s_mov_b32 s9, -1
.LBB2694_18:
	s_delay_alu instid0(SALU_CYCLE_1)
	s_and_b32 exec_lo, exec_lo, s9
	s_cbranch_execz .LBB2694_20
; %bb.19:
	s_wait_loadcnt 0x0
	global_store_b32 v2, v1, s[6:7] scale_offset
.LBB2694_20:
	s_endpgm
	.section	.rodata,"a",@progbits
	.p2align	6, 0x0
	.amdhsa_kernel _ZN7rocprim17ROCPRIM_400000_NS6detail17trampoline_kernelINS0_14default_configENS1_38merge_sort_block_merge_config_selectorIjNS0_10empty_typeEEEZZNS1_27merge_sort_block_merge_implIS3_PjPS5_jNS1_19radix_merge_compareILb0ELb0EjNS0_19identity_decomposerEEEEE10hipError_tT0_T1_T2_jT3_P12ihipStream_tbPNSt15iterator_traitsISE_E10value_typeEPNSK_ISF_E10value_typeEPSG_NS1_7vsmem_tEENKUlT_SE_SF_SG_E_clIS8_S8_S9_S9_EESD_ST_SE_SF_SG_EUlST_E1_NS1_11comp_targetILNS1_3genE0ELNS1_11target_archE4294967295ELNS1_3gpuE0ELNS1_3repE0EEENS1_36merge_oddeven_config_static_selectorELNS0_4arch9wavefront6targetE0EEEvSF_
		.amdhsa_group_segment_fixed_size 0
		.amdhsa_private_segment_fixed_size 0
		.amdhsa_kernarg_size 48
		.amdhsa_user_sgpr_count 2
		.amdhsa_user_sgpr_dispatch_ptr 0
		.amdhsa_user_sgpr_queue_ptr 0
		.amdhsa_user_sgpr_kernarg_segment_ptr 1
		.amdhsa_user_sgpr_dispatch_id 0
		.amdhsa_user_sgpr_kernarg_preload_length 0
		.amdhsa_user_sgpr_kernarg_preload_offset 0
		.amdhsa_user_sgpr_private_segment_size 0
		.amdhsa_wavefront_size32 1
		.amdhsa_uses_dynamic_stack 0
		.amdhsa_enable_private_segment 0
		.amdhsa_system_sgpr_workgroup_id_x 1
		.amdhsa_system_sgpr_workgroup_id_y 0
		.amdhsa_system_sgpr_workgroup_id_z 0
		.amdhsa_system_sgpr_workgroup_info 0
		.amdhsa_system_vgpr_workitem_id 0
		.amdhsa_next_free_vgpr 7
		.amdhsa_next_free_sgpr 16
		.amdhsa_named_barrier_count 0
		.amdhsa_reserve_vcc 1
		.amdhsa_float_round_mode_32 0
		.amdhsa_float_round_mode_16_64 0
		.amdhsa_float_denorm_mode_32 3
		.amdhsa_float_denorm_mode_16_64 3
		.amdhsa_fp16_overflow 0
		.amdhsa_memory_ordered 1
		.amdhsa_forward_progress 1
		.amdhsa_inst_pref_size 5
		.amdhsa_round_robin_scheduling 0
		.amdhsa_exception_fp_ieee_invalid_op 0
		.amdhsa_exception_fp_denorm_src 0
		.amdhsa_exception_fp_ieee_div_zero 0
		.amdhsa_exception_fp_ieee_overflow 0
		.amdhsa_exception_fp_ieee_underflow 0
		.amdhsa_exception_fp_ieee_inexact 0
		.amdhsa_exception_int_div_zero 0
	.end_amdhsa_kernel
	.section	.text._ZN7rocprim17ROCPRIM_400000_NS6detail17trampoline_kernelINS0_14default_configENS1_38merge_sort_block_merge_config_selectorIjNS0_10empty_typeEEEZZNS1_27merge_sort_block_merge_implIS3_PjPS5_jNS1_19radix_merge_compareILb0ELb0EjNS0_19identity_decomposerEEEEE10hipError_tT0_T1_T2_jT3_P12ihipStream_tbPNSt15iterator_traitsISE_E10value_typeEPNSK_ISF_E10value_typeEPSG_NS1_7vsmem_tEENKUlT_SE_SF_SG_E_clIS8_S8_S9_S9_EESD_ST_SE_SF_SG_EUlST_E1_NS1_11comp_targetILNS1_3genE0ELNS1_11target_archE4294967295ELNS1_3gpuE0ELNS1_3repE0EEENS1_36merge_oddeven_config_static_selectorELNS0_4arch9wavefront6targetE0EEEvSF_,"axG",@progbits,_ZN7rocprim17ROCPRIM_400000_NS6detail17trampoline_kernelINS0_14default_configENS1_38merge_sort_block_merge_config_selectorIjNS0_10empty_typeEEEZZNS1_27merge_sort_block_merge_implIS3_PjPS5_jNS1_19radix_merge_compareILb0ELb0EjNS0_19identity_decomposerEEEEE10hipError_tT0_T1_T2_jT3_P12ihipStream_tbPNSt15iterator_traitsISE_E10value_typeEPNSK_ISF_E10value_typeEPSG_NS1_7vsmem_tEENKUlT_SE_SF_SG_E_clIS8_S8_S9_S9_EESD_ST_SE_SF_SG_EUlST_E1_NS1_11comp_targetILNS1_3genE0ELNS1_11target_archE4294967295ELNS1_3gpuE0ELNS1_3repE0EEENS1_36merge_oddeven_config_static_selectorELNS0_4arch9wavefront6targetE0EEEvSF_,comdat
.Lfunc_end2694:
	.size	_ZN7rocprim17ROCPRIM_400000_NS6detail17trampoline_kernelINS0_14default_configENS1_38merge_sort_block_merge_config_selectorIjNS0_10empty_typeEEEZZNS1_27merge_sort_block_merge_implIS3_PjPS5_jNS1_19radix_merge_compareILb0ELb0EjNS0_19identity_decomposerEEEEE10hipError_tT0_T1_T2_jT3_P12ihipStream_tbPNSt15iterator_traitsISE_E10value_typeEPNSK_ISF_E10value_typeEPSG_NS1_7vsmem_tEENKUlT_SE_SF_SG_E_clIS8_S8_S9_S9_EESD_ST_SE_SF_SG_EUlST_E1_NS1_11comp_targetILNS1_3genE0ELNS1_11target_archE4294967295ELNS1_3gpuE0ELNS1_3repE0EEENS1_36merge_oddeven_config_static_selectorELNS0_4arch9wavefront6targetE0EEEvSF_, .Lfunc_end2694-_ZN7rocprim17ROCPRIM_400000_NS6detail17trampoline_kernelINS0_14default_configENS1_38merge_sort_block_merge_config_selectorIjNS0_10empty_typeEEEZZNS1_27merge_sort_block_merge_implIS3_PjPS5_jNS1_19radix_merge_compareILb0ELb0EjNS0_19identity_decomposerEEEEE10hipError_tT0_T1_T2_jT3_P12ihipStream_tbPNSt15iterator_traitsISE_E10value_typeEPNSK_ISF_E10value_typeEPSG_NS1_7vsmem_tEENKUlT_SE_SF_SG_E_clIS8_S8_S9_S9_EESD_ST_SE_SF_SG_EUlST_E1_NS1_11comp_targetILNS1_3genE0ELNS1_11target_archE4294967295ELNS1_3gpuE0ELNS1_3repE0EEENS1_36merge_oddeven_config_static_selectorELNS0_4arch9wavefront6targetE0EEEvSF_
                                        ; -- End function
	.set _ZN7rocprim17ROCPRIM_400000_NS6detail17trampoline_kernelINS0_14default_configENS1_38merge_sort_block_merge_config_selectorIjNS0_10empty_typeEEEZZNS1_27merge_sort_block_merge_implIS3_PjPS5_jNS1_19radix_merge_compareILb0ELb0EjNS0_19identity_decomposerEEEEE10hipError_tT0_T1_T2_jT3_P12ihipStream_tbPNSt15iterator_traitsISE_E10value_typeEPNSK_ISF_E10value_typeEPSG_NS1_7vsmem_tEENKUlT_SE_SF_SG_E_clIS8_S8_S9_S9_EESD_ST_SE_SF_SG_EUlST_E1_NS1_11comp_targetILNS1_3genE0ELNS1_11target_archE4294967295ELNS1_3gpuE0ELNS1_3repE0EEENS1_36merge_oddeven_config_static_selectorELNS0_4arch9wavefront6targetE0EEEvSF_.num_vgpr, 7
	.set _ZN7rocprim17ROCPRIM_400000_NS6detail17trampoline_kernelINS0_14default_configENS1_38merge_sort_block_merge_config_selectorIjNS0_10empty_typeEEEZZNS1_27merge_sort_block_merge_implIS3_PjPS5_jNS1_19radix_merge_compareILb0ELb0EjNS0_19identity_decomposerEEEEE10hipError_tT0_T1_T2_jT3_P12ihipStream_tbPNSt15iterator_traitsISE_E10value_typeEPNSK_ISF_E10value_typeEPSG_NS1_7vsmem_tEENKUlT_SE_SF_SG_E_clIS8_S8_S9_S9_EESD_ST_SE_SF_SG_EUlST_E1_NS1_11comp_targetILNS1_3genE0ELNS1_11target_archE4294967295ELNS1_3gpuE0ELNS1_3repE0EEENS1_36merge_oddeven_config_static_selectorELNS0_4arch9wavefront6targetE0EEEvSF_.num_agpr, 0
	.set _ZN7rocprim17ROCPRIM_400000_NS6detail17trampoline_kernelINS0_14default_configENS1_38merge_sort_block_merge_config_selectorIjNS0_10empty_typeEEEZZNS1_27merge_sort_block_merge_implIS3_PjPS5_jNS1_19radix_merge_compareILb0ELb0EjNS0_19identity_decomposerEEEEE10hipError_tT0_T1_T2_jT3_P12ihipStream_tbPNSt15iterator_traitsISE_E10value_typeEPNSK_ISF_E10value_typeEPSG_NS1_7vsmem_tEENKUlT_SE_SF_SG_E_clIS8_S8_S9_S9_EESD_ST_SE_SF_SG_EUlST_E1_NS1_11comp_targetILNS1_3genE0ELNS1_11target_archE4294967295ELNS1_3gpuE0ELNS1_3repE0EEENS1_36merge_oddeven_config_static_selectorELNS0_4arch9wavefront6targetE0EEEvSF_.numbered_sgpr, 16
	.set _ZN7rocprim17ROCPRIM_400000_NS6detail17trampoline_kernelINS0_14default_configENS1_38merge_sort_block_merge_config_selectorIjNS0_10empty_typeEEEZZNS1_27merge_sort_block_merge_implIS3_PjPS5_jNS1_19radix_merge_compareILb0ELb0EjNS0_19identity_decomposerEEEEE10hipError_tT0_T1_T2_jT3_P12ihipStream_tbPNSt15iterator_traitsISE_E10value_typeEPNSK_ISF_E10value_typeEPSG_NS1_7vsmem_tEENKUlT_SE_SF_SG_E_clIS8_S8_S9_S9_EESD_ST_SE_SF_SG_EUlST_E1_NS1_11comp_targetILNS1_3genE0ELNS1_11target_archE4294967295ELNS1_3gpuE0ELNS1_3repE0EEENS1_36merge_oddeven_config_static_selectorELNS0_4arch9wavefront6targetE0EEEvSF_.num_named_barrier, 0
	.set _ZN7rocprim17ROCPRIM_400000_NS6detail17trampoline_kernelINS0_14default_configENS1_38merge_sort_block_merge_config_selectorIjNS0_10empty_typeEEEZZNS1_27merge_sort_block_merge_implIS3_PjPS5_jNS1_19radix_merge_compareILb0ELb0EjNS0_19identity_decomposerEEEEE10hipError_tT0_T1_T2_jT3_P12ihipStream_tbPNSt15iterator_traitsISE_E10value_typeEPNSK_ISF_E10value_typeEPSG_NS1_7vsmem_tEENKUlT_SE_SF_SG_E_clIS8_S8_S9_S9_EESD_ST_SE_SF_SG_EUlST_E1_NS1_11comp_targetILNS1_3genE0ELNS1_11target_archE4294967295ELNS1_3gpuE0ELNS1_3repE0EEENS1_36merge_oddeven_config_static_selectorELNS0_4arch9wavefront6targetE0EEEvSF_.private_seg_size, 0
	.set _ZN7rocprim17ROCPRIM_400000_NS6detail17trampoline_kernelINS0_14default_configENS1_38merge_sort_block_merge_config_selectorIjNS0_10empty_typeEEEZZNS1_27merge_sort_block_merge_implIS3_PjPS5_jNS1_19radix_merge_compareILb0ELb0EjNS0_19identity_decomposerEEEEE10hipError_tT0_T1_T2_jT3_P12ihipStream_tbPNSt15iterator_traitsISE_E10value_typeEPNSK_ISF_E10value_typeEPSG_NS1_7vsmem_tEENKUlT_SE_SF_SG_E_clIS8_S8_S9_S9_EESD_ST_SE_SF_SG_EUlST_E1_NS1_11comp_targetILNS1_3genE0ELNS1_11target_archE4294967295ELNS1_3gpuE0ELNS1_3repE0EEENS1_36merge_oddeven_config_static_selectorELNS0_4arch9wavefront6targetE0EEEvSF_.uses_vcc, 1
	.set _ZN7rocprim17ROCPRIM_400000_NS6detail17trampoline_kernelINS0_14default_configENS1_38merge_sort_block_merge_config_selectorIjNS0_10empty_typeEEEZZNS1_27merge_sort_block_merge_implIS3_PjPS5_jNS1_19radix_merge_compareILb0ELb0EjNS0_19identity_decomposerEEEEE10hipError_tT0_T1_T2_jT3_P12ihipStream_tbPNSt15iterator_traitsISE_E10value_typeEPNSK_ISF_E10value_typeEPSG_NS1_7vsmem_tEENKUlT_SE_SF_SG_E_clIS8_S8_S9_S9_EESD_ST_SE_SF_SG_EUlST_E1_NS1_11comp_targetILNS1_3genE0ELNS1_11target_archE4294967295ELNS1_3gpuE0ELNS1_3repE0EEENS1_36merge_oddeven_config_static_selectorELNS0_4arch9wavefront6targetE0EEEvSF_.uses_flat_scratch, 0
	.set _ZN7rocprim17ROCPRIM_400000_NS6detail17trampoline_kernelINS0_14default_configENS1_38merge_sort_block_merge_config_selectorIjNS0_10empty_typeEEEZZNS1_27merge_sort_block_merge_implIS3_PjPS5_jNS1_19radix_merge_compareILb0ELb0EjNS0_19identity_decomposerEEEEE10hipError_tT0_T1_T2_jT3_P12ihipStream_tbPNSt15iterator_traitsISE_E10value_typeEPNSK_ISF_E10value_typeEPSG_NS1_7vsmem_tEENKUlT_SE_SF_SG_E_clIS8_S8_S9_S9_EESD_ST_SE_SF_SG_EUlST_E1_NS1_11comp_targetILNS1_3genE0ELNS1_11target_archE4294967295ELNS1_3gpuE0ELNS1_3repE0EEENS1_36merge_oddeven_config_static_selectorELNS0_4arch9wavefront6targetE0EEEvSF_.has_dyn_sized_stack, 0
	.set _ZN7rocprim17ROCPRIM_400000_NS6detail17trampoline_kernelINS0_14default_configENS1_38merge_sort_block_merge_config_selectorIjNS0_10empty_typeEEEZZNS1_27merge_sort_block_merge_implIS3_PjPS5_jNS1_19radix_merge_compareILb0ELb0EjNS0_19identity_decomposerEEEEE10hipError_tT0_T1_T2_jT3_P12ihipStream_tbPNSt15iterator_traitsISE_E10value_typeEPNSK_ISF_E10value_typeEPSG_NS1_7vsmem_tEENKUlT_SE_SF_SG_E_clIS8_S8_S9_S9_EESD_ST_SE_SF_SG_EUlST_E1_NS1_11comp_targetILNS1_3genE0ELNS1_11target_archE4294967295ELNS1_3gpuE0ELNS1_3repE0EEENS1_36merge_oddeven_config_static_selectorELNS0_4arch9wavefront6targetE0EEEvSF_.has_recursion, 0
	.set _ZN7rocprim17ROCPRIM_400000_NS6detail17trampoline_kernelINS0_14default_configENS1_38merge_sort_block_merge_config_selectorIjNS0_10empty_typeEEEZZNS1_27merge_sort_block_merge_implIS3_PjPS5_jNS1_19radix_merge_compareILb0ELb0EjNS0_19identity_decomposerEEEEE10hipError_tT0_T1_T2_jT3_P12ihipStream_tbPNSt15iterator_traitsISE_E10value_typeEPNSK_ISF_E10value_typeEPSG_NS1_7vsmem_tEENKUlT_SE_SF_SG_E_clIS8_S8_S9_S9_EESD_ST_SE_SF_SG_EUlST_E1_NS1_11comp_targetILNS1_3genE0ELNS1_11target_archE4294967295ELNS1_3gpuE0ELNS1_3repE0EEENS1_36merge_oddeven_config_static_selectorELNS0_4arch9wavefront6targetE0EEEvSF_.has_indirect_call, 0
	.section	.AMDGPU.csdata,"",@progbits
; Kernel info:
; codeLenInByte = 636
; TotalNumSgprs: 18
; NumVgprs: 7
; ScratchSize: 0
; MemoryBound: 0
; FloatMode: 240
; IeeeMode: 1
; LDSByteSize: 0 bytes/workgroup (compile time only)
; SGPRBlocks: 0
; VGPRBlocks: 0
; NumSGPRsForWavesPerEU: 18
; NumVGPRsForWavesPerEU: 7
; NamedBarCnt: 0
; Occupancy: 16
; WaveLimiterHint : 0
; COMPUTE_PGM_RSRC2:SCRATCH_EN: 0
; COMPUTE_PGM_RSRC2:USER_SGPR: 2
; COMPUTE_PGM_RSRC2:TRAP_HANDLER: 0
; COMPUTE_PGM_RSRC2:TGID_X_EN: 1
; COMPUTE_PGM_RSRC2:TGID_Y_EN: 0
; COMPUTE_PGM_RSRC2:TGID_Z_EN: 0
; COMPUTE_PGM_RSRC2:TIDIG_COMP_CNT: 0
	.section	.text._ZN7rocprim17ROCPRIM_400000_NS6detail17trampoline_kernelINS0_14default_configENS1_38merge_sort_block_merge_config_selectorIjNS0_10empty_typeEEEZZNS1_27merge_sort_block_merge_implIS3_PjPS5_jNS1_19radix_merge_compareILb0ELb0EjNS0_19identity_decomposerEEEEE10hipError_tT0_T1_T2_jT3_P12ihipStream_tbPNSt15iterator_traitsISE_E10value_typeEPNSK_ISF_E10value_typeEPSG_NS1_7vsmem_tEENKUlT_SE_SF_SG_E_clIS8_S8_S9_S9_EESD_ST_SE_SF_SG_EUlST_E1_NS1_11comp_targetILNS1_3genE10ELNS1_11target_archE1201ELNS1_3gpuE5ELNS1_3repE0EEENS1_36merge_oddeven_config_static_selectorELNS0_4arch9wavefront6targetE0EEEvSF_,"axG",@progbits,_ZN7rocprim17ROCPRIM_400000_NS6detail17trampoline_kernelINS0_14default_configENS1_38merge_sort_block_merge_config_selectorIjNS0_10empty_typeEEEZZNS1_27merge_sort_block_merge_implIS3_PjPS5_jNS1_19radix_merge_compareILb0ELb0EjNS0_19identity_decomposerEEEEE10hipError_tT0_T1_T2_jT3_P12ihipStream_tbPNSt15iterator_traitsISE_E10value_typeEPNSK_ISF_E10value_typeEPSG_NS1_7vsmem_tEENKUlT_SE_SF_SG_E_clIS8_S8_S9_S9_EESD_ST_SE_SF_SG_EUlST_E1_NS1_11comp_targetILNS1_3genE10ELNS1_11target_archE1201ELNS1_3gpuE5ELNS1_3repE0EEENS1_36merge_oddeven_config_static_selectorELNS0_4arch9wavefront6targetE0EEEvSF_,comdat
	.protected	_ZN7rocprim17ROCPRIM_400000_NS6detail17trampoline_kernelINS0_14default_configENS1_38merge_sort_block_merge_config_selectorIjNS0_10empty_typeEEEZZNS1_27merge_sort_block_merge_implIS3_PjPS5_jNS1_19radix_merge_compareILb0ELb0EjNS0_19identity_decomposerEEEEE10hipError_tT0_T1_T2_jT3_P12ihipStream_tbPNSt15iterator_traitsISE_E10value_typeEPNSK_ISF_E10value_typeEPSG_NS1_7vsmem_tEENKUlT_SE_SF_SG_E_clIS8_S8_S9_S9_EESD_ST_SE_SF_SG_EUlST_E1_NS1_11comp_targetILNS1_3genE10ELNS1_11target_archE1201ELNS1_3gpuE5ELNS1_3repE0EEENS1_36merge_oddeven_config_static_selectorELNS0_4arch9wavefront6targetE0EEEvSF_ ; -- Begin function _ZN7rocprim17ROCPRIM_400000_NS6detail17trampoline_kernelINS0_14default_configENS1_38merge_sort_block_merge_config_selectorIjNS0_10empty_typeEEEZZNS1_27merge_sort_block_merge_implIS3_PjPS5_jNS1_19radix_merge_compareILb0ELb0EjNS0_19identity_decomposerEEEEE10hipError_tT0_T1_T2_jT3_P12ihipStream_tbPNSt15iterator_traitsISE_E10value_typeEPNSK_ISF_E10value_typeEPSG_NS1_7vsmem_tEENKUlT_SE_SF_SG_E_clIS8_S8_S9_S9_EESD_ST_SE_SF_SG_EUlST_E1_NS1_11comp_targetILNS1_3genE10ELNS1_11target_archE1201ELNS1_3gpuE5ELNS1_3repE0EEENS1_36merge_oddeven_config_static_selectorELNS0_4arch9wavefront6targetE0EEEvSF_
	.globl	_ZN7rocprim17ROCPRIM_400000_NS6detail17trampoline_kernelINS0_14default_configENS1_38merge_sort_block_merge_config_selectorIjNS0_10empty_typeEEEZZNS1_27merge_sort_block_merge_implIS3_PjPS5_jNS1_19radix_merge_compareILb0ELb0EjNS0_19identity_decomposerEEEEE10hipError_tT0_T1_T2_jT3_P12ihipStream_tbPNSt15iterator_traitsISE_E10value_typeEPNSK_ISF_E10value_typeEPSG_NS1_7vsmem_tEENKUlT_SE_SF_SG_E_clIS8_S8_S9_S9_EESD_ST_SE_SF_SG_EUlST_E1_NS1_11comp_targetILNS1_3genE10ELNS1_11target_archE1201ELNS1_3gpuE5ELNS1_3repE0EEENS1_36merge_oddeven_config_static_selectorELNS0_4arch9wavefront6targetE0EEEvSF_
	.p2align	8
	.type	_ZN7rocprim17ROCPRIM_400000_NS6detail17trampoline_kernelINS0_14default_configENS1_38merge_sort_block_merge_config_selectorIjNS0_10empty_typeEEEZZNS1_27merge_sort_block_merge_implIS3_PjPS5_jNS1_19radix_merge_compareILb0ELb0EjNS0_19identity_decomposerEEEEE10hipError_tT0_T1_T2_jT3_P12ihipStream_tbPNSt15iterator_traitsISE_E10value_typeEPNSK_ISF_E10value_typeEPSG_NS1_7vsmem_tEENKUlT_SE_SF_SG_E_clIS8_S8_S9_S9_EESD_ST_SE_SF_SG_EUlST_E1_NS1_11comp_targetILNS1_3genE10ELNS1_11target_archE1201ELNS1_3gpuE5ELNS1_3repE0EEENS1_36merge_oddeven_config_static_selectorELNS0_4arch9wavefront6targetE0EEEvSF_,@function
_ZN7rocprim17ROCPRIM_400000_NS6detail17trampoline_kernelINS0_14default_configENS1_38merge_sort_block_merge_config_selectorIjNS0_10empty_typeEEEZZNS1_27merge_sort_block_merge_implIS3_PjPS5_jNS1_19radix_merge_compareILb0ELb0EjNS0_19identity_decomposerEEEEE10hipError_tT0_T1_T2_jT3_P12ihipStream_tbPNSt15iterator_traitsISE_E10value_typeEPNSK_ISF_E10value_typeEPSG_NS1_7vsmem_tEENKUlT_SE_SF_SG_E_clIS8_S8_S9_S9_EESD_ST_SE_SF_SG_EUlST_E1_NS1_11comp_targetILNS1_3genE10ELNS1_11target_archE1201ELNS1_3gpuE5ELNS1_3repE0EEENS1_36merge_oddeven_config_static_selectorELNS0_4arch9wavefront6targetE0EEEvSF_: ; @_ZN7rocprim17ROCPRIM_400000_NS6detail17trampoline_kernelINS0_14default_configENS1_38merge_sort_block_merge_config_selectorIjNS0_10empty_typeEEEZZNS1_27merge_sort_block_merge_implIS3_PjPS5_jNS1_19radix_merge_compareILb0ELb0EjNS0_19identity_decomposerEEEEE10hipError_tT0_T1_T2_jT3_P12ihipStream_tbPNSt15iterator_traitsISE_E10value_typeEPNSK_ISF_E10value_typeEPSG_NS1_7vsmem_tEENKUlT_SE_SF_SG_E_clIS8_S8_S9_S9_EESD_ST_SE_SF_SG_EUlST_E1_NS1_11comp_targetILNS1_3genE10ELNS1_11target_archE1201ELNS1_3gpuE5ELNS1_3repE0EEENS1_36merge_oddeven_config_static_selectorELNS0_4arch9wavefront6targetE0EEEvSF_
; %bb.0:
	.section	.rodata,"a",@progbits
	.p2align	6, 0x0
	.amdhsa_kernel _ZN7rocprim17ROCPRIM_400000_NS6detail17trampoline_kernelINS0_14default_configENS1_38merge_sort_block_merge_config_selectorIjNS0_10empty_typeEEEZZNS1_27merge_sort_block_merge_implIS3_PjPS5_jNS1_19radix_merge_compareILb0ELb0EjNS0_19identity_decomposerEEEEE10hipError_tT0_T1_T2_jT3_P12ihipStream_tbPNSt15iterator_traitsISE_E10value_typeEPNSK_ISF_E10value_typeEPSG_NS1_7vsmem_tEENKUlT_SE_SF_SG_E_clIS8_S8_S9_S9_EESD_ST_SE_SF_SG_EUlST_E1_NS1_11comp_targetILNS1_3genE10ELNS1_11target_archE1201ELNS1_3gpuE5ELNS1_3repE0EEENS1_36merge_oddeven_config_static_selectorELNS0_4arch9wavefront6targetE0EEEvSF_
		.amdhsa_group_segment_fixed_size 0
		.amdhsa_private_segment_fixed_size 0
		.amdhsa_kernarg_size 48
		.amdhsa_user_sgpr_count 2
		.amdhsa_user_sgpr_dispatch_ptr 0
		.amdhsa_user_sgpr_queue_ptr 0
		.amdhsa_user_sgpr_kernarg_segment_ptr 1
		.amdhsa_user_sgpr_dispatch_id 0
		.amdhsa_user_sgpr_kernarg_preload_length 0
		.amdhsa_user_sgpr_kernarg_preload_offset 0
		.amdhsa_user_sgpr_private_segment_size 0
		.amdhsa_wavefront_size32 1
		.amdhsa_uses_dynamic_stack 0
		.amdhsa_enable_private_segment 0
		.amdhsa_system_sgpr_workgroup_id_x 1
		.amdhsa_system_sgpr_workgroup_id_y 0
		.amdhsa_system_sgpr_workgroup_id_z 0
		.amdhsa_system_sgpr_workgroup_info 0
		.amdhsa_system_vgpr_workitem_id 0
		.amdhsa_next_free_vgpr 1
		.amdhsa_next_free_sgpr 1
		.amdhsa_named_barrier_count 0
		.amdhsa_reserve_vcc 0
		.amdhsa_float_round_mode_32 0
		.amdhsa_float_round_mode_16_64 0
		.amdhsa_float_denorm_mode_32 3
		.amdhsa_float_denorm_mode_16_64 3
		.amdhsa_fp16_overflow 0
		.amdhsa_memory_ordered 1
		.amdhsa_forward_progress 1
		.amdhsa_inst_pref_size 0
		.amdhsa_round_robin_scheduling 0
		.amdhsa_exception_fp_ieee_invalid_op 0
		.amdhsa_exception_fp_denorm_src 0
		.amdhsa_exception_fp_ieee_div_zero 0
		.amdhsa_exception_fp_ieee_overflow 0
		.amdhsa_exception_fp_ieee_underflow 0
		.amdhsa_exception_fp_ieee_inexact 0
		.amdhsa_exception_int_div_zero 0
	.end_amdhsa_kernel
	.section	.text._ZN7rocprim17ROCPRIM_400000_NS6detail17trampoline_kernelINS0_14default_configENS1_38merge_sort_block_merge_config_selectorIjNS0_10empty_typeEEEZZNS1_27merge_sort_block_merge_implIS3_PjPS5_jNS1_19radix_merge_compareILb0ELb0EjNS0_19identity_decomposerEEEEE10hipError_tT0_T1_T2_jT3_P12ihipStream_tbPNSt15iterator_traitsISE_E10value_typeEPNSK_ISF_E10value_typeEPSG_NS1_7vsmem_tEENKUlT_SE_SF_SG_E_clIS8_S8_S9_S9_EESD_ST_SE_SF_SG_EUlST_E1_NS1_11comp_targetILNS1_3genE10ELNS1_11target_archE1201ELNS1_3gpuE5ELNS1_3repE0EEENS1_36merge_oddeven_config_static_selectorELNS0_4arch9wavefront6targetE0EEEvSF_,"axG",@progbits,_ZN7rocprim17ROCPRIM_400000_NS6detail17trampoline_kernelINS0_14default_configENS1_38merge_sort_block_merge_config_selectorIjNS0_10empty_typeEEEZZNS1_27merge_sort_block_merge_implIS3_PjPS5_jNS1_19radix_merge_compareILb0ELb0EjNS0_19identity_decomposerEEEEE10hipError_tT0_T1_T2_jT3_P12ihipStream_tbPNSt15iterator_traitsISE_E10value_typeEPNSK_ISF_E10value_typeEPSG_NS1_7vsmem_tEENKUlT_SE_SF_SG_E_clIS8_S8_S9_S9_EESD_ST_SE_SF_SG_EUlST_E1_NS1_11comp_targetILNS1_3genE10ELNS1_11target_archE1201ELNS1_3gpuE5ELNS1_3repE0EEENS1_36merge_oddeven_config_static_selectorELNS0_4arch9wavefront6targetE0EEEvSF_,comdat
.Lfunc_end2695:
	.size	_ZN7rocprim17ROCPRIM_400000_NS6detail17trampoline_kernelINS0_14default_configENS1_38merge_sort_block_merge_config_selectorIjNS0_10empty_typeEEEZZNS1_27merge_sort_block_merge_implIS3_PjPS5_jNS1_19radix_merge_compareILb0ELb0EjNS0_19identity_decomposerEEEEE10hipError_tT0_T1_T2_jT3_P12ihipStream_tbPNSt15iterator_traitsISE_E10value_typeEPNSK_ISF_E10value_typeEPSG_NS1_7vsmem_tEENKUlT_SE_SF_SG_E_clIS8_S8_S9_S9_EESD_ST_SE_SF_SG_EUlST_E1_NS1_11comp_targetILNS1_3genE10ELNS1_11target_archE1201ELNS1_3gpuE5ELNS1_3repE0EEENS1_36merge_oddeven_config_static_selectorELNS0_4arch9wavefront6targetE0EEEvSF_, .Lfunc_end2695-_ZN7rocprim17ROCPRIM_400000_NS6detail17trampoline_kernelINS0_14default_configENS1_38merge_sort_block_merge_config_selectorIjNS0_10empty_typeEEEZZNS1_27merge_sort_block_merge_implIS3_PjPS5_jNS1_19radix_merge_compareILb0ELb0EjNS0_19identity_decomposerEEEEE10hipError_tT0_T1_T2_jT3_P12ihipStream_tbPNSt15iterator_traitsISE_E10value_typeEPNSK_ISF_E10value_typeEPSG_NS1_7vsmem_tEENKUlT_SE_SF_SG_E_clIS8_S8_S9_S9_EESD_ST_SE_SF_SG_EUlST_E1_NS1_11comp_targetILNS1_3genE10ELNS1_11target_archE1201ELNS1_3gpuE5ELNS1_3repE0EEENS1_36merge_oddeven_config_static_selectorELNS0_4arch9wavefront6targetE0EEEvSF_
                                        ; -- End function
	.set _ZN7rocprim17ROCPRIM_400000_NS6detail17trampoline_kernelINS0_14default_configENS1_38merge_sort_block_merge_config_selectorIjNS0_10empty_typeEEEZZNS1_27merge_sort_block_merge_implIS3_PjPS5_jNS1_19radix_merge_compareILb0ELb0EjNS0_19identity_decomposerEEEEE10hipError_tT0_T1_T2_jT3_P12ihipStream_tbPNSt15iterator_traitsISE_E10value_typeEPNSK_ISF_E10value_typeEPSG_NS1_7vsmem_tEENKUlT_SE_SF_SG_E_clIS8_S8_S9_S9_EESD_ST_SE_SF_SG_EUlST_E1_NS1_11comp_targetILNS1_3genE10ELNS1_11target_archE1201ELNS1_3gpuE5ELNS1_3repE0EEENS1_36merge_oddeven_config_static_selectorELNS0_4arch9wavefront6targetE0EEEvSF_.num_vgpr, 0
	.set _ZN7rocprim17ROCPRIM_400000_NS6detail17trampoline_kernelINS0_14default_configENS1_38merge_sort_block_merge_config_selectorIjNS0_10empty_typeEEEZZNS1_27merge_sort_block_merge_implIS3_PjPS5_jNS1_19radix_merge_compareILb0ELb0EjNS0_19identity_decomposerEEEEE10hipError_tT0_T1_T2_jT3_P12ihipStream_tbPNSt15iterator_traitsISE_E10value_typeEPNSK_ISF_E10value_typeEPSG_NS1_7vsmem_tEENKUlT_SE_SF_SG_E_clIS8_S8_S9_S9_EESD_ST_SE_SF_SG_EUlST_E1_NS1_11comp_targetILNS1_3genE10ELNS1_11target_archE1201ELNS1_3gpuE5ELNS1_3repE0EEENS1_36merge_oddeven_config_static_selectorELNS0_4arch9wavefront6targetE0EEEvSF_.num_agpr, 0
	.set _ZN7rocprim17ROCPRIM_400000_NS6detail17trampoline_kernelINS0_14default_configENS1_38merge_sort_block_merge_config_selectorIjNS0_10empty_typeEEEZZNS1_27merge_sort_block_merge_implIS3_PjPS5_jNS1_19radix_merge_compareILb0ELb0EjNS0_19identity_decomposerEEEEE10hipError_tT0_T1_T2_jT3_P12ihipStream_tbPNSt15iterator_traitsISE_E10value_typeEPNSK_ISF_E10value_typeEPSG_NS1_7vsmem_tEENKUlT_SE_SF_SG_E_clIS8_S8_S9_S9_EESD_ST_SE_SF_SG_EUlST_E1_NS1_11comp_targetILNS1_3genE10ELNS1_11target_archE1201ELNS1_3gpuE5ELNS1_3repE0EEENS1_36merge_oddeven_config_static_selectorELNS0_4arch9wavefront6targetE0EEEvSF_.numbered_sgpr, 0
	.set _ZN7rocprim17ROCPRIM_400000_NS6detail17trampoline_kernelINS0_14default_configENS1_38merge_sort_block_merge_config_selectorIjNS0_10empty_typeEEEZZNS1_27merge_sort_block_merge_implIS3_PjPS5_jNS1_19radix_merge_compareILb0ELb0EjNS0_19identity_decomposerEEEEE10hipError_tT0_T1_T2_jT3_P12ihipStream_tbPNSt15iterator_traitsISE_E10value_typeEPNSK_ISF_E10value_typeEPSG_NS1_7vsmem_tEENKUlT_SE_SF_SG_E_clIS8_S8_S9_S9_EESD_ST_SE_SF_SG_EUlST_E1_NS1_11comp_targetILNS1_3genE10ELNS1_11target_archE1201ELNS1_3gpuE5ELNS1_3repE0EEENS1_36merge_oddeven_config_static_selectorELNS0_4arch9wavefront6targetE0EEEvSF_.num_named_barrier, 0
	.set _ZN7rocprim17ROCPRIM_400000_NS6detail17trampoline_kernelINS0_14default_configENS1_38merge_sort_block_merge_config_selectorIjNS0_10empty_typeEEEZZNS1_27merge_sort_block_merge_implIS3_PjPS5_jNS1_19radix_merge_compareILb0ELb0EjNS0_19identity_decomposerEEEEE10hipError_tT0_T1_T2_jT3_P12ihipStream_tbPNSt15iterator_traitsISE_E10value_typeEPNSK_ISF_E10value_typeEPSG_NS1_7vsmem_tEENKUlT_SE_SF_SG_E_clIS8_S8_S9_S9_EESD_ST_SE_SF_SG_EUlST_E1_NS1_11comp_targetILNS1_3genE10ELNS1_11target_archE1201ELNS1_3gpuE5ELNS1_3repE0EEENS1_36merge_oddeven_config_static_selectorELNS0_4arch9wavefront6targetE0EEEvSF_.private_seg_size, 0
	.set _ZN7rocprim17ROCPRIM_400000_NS6detail17trampoline_kernelINS0_14default_configENS1_38merge_sort_block_merge_config_selectorIjNS0_10empty_typeEEEZZNS1_27merge_sort_block_merge_implIS3_PjPS5_jNS1_19radix_merge_compareILb0ELb0EjNS0_19identity_decomposerEEEEE10hipError_tT0_T1_T2_jT3_P12ihipStream_tbPNSt15iterator_traitsISE_E10value_typeEPNSK_ISF_E10value_typeEPSG_NS1_7vsmem_tEENKUlT_SE_SF_SG_E_clIS8_S8_S9_S9_EESD_ST_SE_SF_SG_EUlST_E1_NS1_11comp_targetILNS1_3genE10ELNS1_11target_archE1201ELNS1_3gpuE5ELNS1_3repE0EEENS1_36merge_oddeven_config_static_selectorELNS0_4arch9wavefront6targetE0EEEvSF_.uses_vcc, 0
	.set _ZN7rocprim17ROCPRIM_400000_NS6detail17trampoline_kernelINS0_14default_configENS1_38merge_sort_block_merge_config_selectorIjNS0_10empty_typeEEEZZNS1_27merge_sort_block_merge_implIS3_PjPS5_jNS1_19radix_merge_compareILb0ELb0EjNS0_19identity_decomposerEEEEE10hipError_tT0_T1_T2_jT3_P12ihipStream_tbPNSt15iterator_traitsISE_E10value_typeEPNSK_ISF_E10value_typeEPSG_NS1_7vsmem_tEENKUlT_SE_SF_SG_E_clIS8_S8_S9_S9_EESD_ST_SE_SF_SG_EUlST_E1_NS1_11comp_targetILNS1_3genE10ELNS1_11target_archE1201ELNS1_3gpuE5ELNS1_3repE0EEENS1_36merge_oddeven_config_static_selectorELNS0_4arch9wavefront6targetE0EEEvSF_.uses_flat_scratch, 0
	.set _ZN7rocprim17ROCPRIM_400000_NS6detail17trampoline_kernelINS0_14default_configENS1_38merge_sort_block_merge_config_selectorIjNS0_10empty_typeEEEZZNS1_27merge_sort_block_merge_implIS3_PjPS5_jNS1_19radix_merge_compareILb0ELb0EjNS0_19identity_decomposerEEEEE10hipError_tT0_T1_T2_jT3_P12ihipStream_tbPNSt15iterator_traitsISE_E10value_typeEPNSK_ISF_E10value_typeEPSG_NS1_7vsmem_tEENKUlT_SE_SF_SG_E_clIS8_S8_S9_S9_EESD_ST_SE_SF_SG_EUlST_E1_NS1_11comp_targetILNS1_3genE10ELNS1_11target_archE1201ELNS1_3gpuE5ELNS1_3repE0EEENS1_36merge_oddeven_config_static_selectorELNS0_4arch9wavefront6targetE0EEEvSF_.has_dyn_sized_stack, 0
	.set _ZN7rocprim17ROCPRIM_400000_NS6detail17trampoline_kernelINS0_14default_configENS1_38merge_sort_block_merge_config_selectorIjNS0_10empty_typeEEEZZNS1_27merge_sort_block_merge_implIS3_PjPS5_jNS1_19radix_merge_compareILb0ELb0EjNS0_19identity_decomposerEEEEE10hipError_tT0_T1_T2_jT3_P12ihipStream_tbPNSt15iterator_traitsISE_E10value_typeEPNSK_ISF_E10value_typeEPSG_NS1_7vsmem_tEENKUlT_SE_SF_SG_E_clIS8_S8_S9_S9_EESD_ST_SE_SF_SG_EUlST_E1_NS1_11comp_targetILNS1_3genE10ELNS1_11target_archE1201ELNS1_3gpuE5ELNS1_3repE0EEENS1_36merge_oddeven_config_static_selectorELNS0_4arch9wavefront6targetE0EEEvSF_.has_recursion, 0
	.set _ZN7rocprim17ROCPRIM_400000_NS6detail17trampoline_kernelINS0_14default_configENS1_38merge_sort_block_merge_config_selectorIjNS0_10empty_typeEEEZZNS1_27merge_sort_block_merge_implIS3_PjPS5_jNS1_19radix_merge_compareILb0ELb0EjNS0_19identity_decomposerEEEEE10hipError_tT0_T1_T2_jT3_P12ihipStream_tbPNSt15iterator_traitsISE_E10value_typeEPNSK_ISF_E10value_typeEPSG_NS1_7vsmem_tEENKUlT_SE_SF_SG_E_clIS8_S8_S9_S9_EESD_ST_SE_SF_SG_EUlST_E1_NS1_11comp_targetILNS1_3genE10ELNS1_11target_archE1201ELNS1_3gpuE5ELNS1_3repE0EEENS1_36merge_oddeven_config_static_selectorELNS0_4arch9wavefront6targetE0EEEvSF_.has_indirect_call, 0
	.section	.AMDGPU.csdata,"",@progbits
; Kernel info:
; codeLenInByte = 0
; TotalNumSgprs: 0
; NumVgprs: 0
; ScratchSize: 0
; MemoryBound: 0
; FloatMode: 240
; IeeeMode: 1
; LDSByteSize: 0 bytes/workgroup (compile time only)
; SGPRBlocks: 0
; VGPRBlocks: 0
; NumSGPRsForWavesPerEU: 1
; NumVGPRsForWavesPerEU: 1
; NamedBarCnt: 0
; Occupancy: 16
; WaveLimiterHint : 0
; COMPUTE_PGM_RSRC2:SCRATCH_EN: 0
; COMPUTE_PGM_RSRC2:USER_SGPR: 2
; COMPUTE_PGM_RSRC2:TRAP_HANDLER: 0
; COMPUTE_PGM_RSRC2:TGID_X_EN: 1
; COMPUTE_PGM_RSRC2:TGID_Y_EN: 0
; COMPUTE_PGM_RSRC2:TGID_Z_EN: 0
; COMPUTE_PGM_RSRC2:TIDIG_COMP_CNT: 0
	.section	.text._ZN7rocprim17ROCPRIM_400000_NS6detail17trampoline_kernelINS0_14default_configENS1_38merge_sort_block_merge_config_selectorIjNS0_10empty_typeEEEZZNS1_27merge_sort_block_merge_implIS3_PjPS5_jNS1_19radix_merge_compareILb0ELb0EjNS0_19identity_decomposerEEEEE10hipError_tT0_T1_T2_jT3_P12ihipStream_tbPNSt15iterator_traitsISE_E10value_typeEPNSK_ISF_E10value_typeEPSG_NS1_7vsmem_tEENKUlT_SE_SF_SG_E_clIS8_S8_S9_S9_EESD_ST_SE_SF_SG_EUlST_E1_NS1_11comp_targetILNS1_3genE5ELNS1_11target_archE942ELNS1_3gpuE9ELNS1_3repE0EEENS1_36merge_oddeven_config_static_selectorELNS0_4arch9wavefront6targetE0EEEvSF_,"axG",@progbits,_ZN7rocprim17ROCPRIM_400000_NS6detail17trampoline_kernelINS0_14default_configENS1_38merge_sort_block_merge_config_selectorIjNS0_10empty_typeEEEZZNS1_27merge_sort_block_merge_implIS3_PjPS5_jNS1_19radix_merge_compareILb0ELb0EjNS0_19identity_decomposerEEEEE10hipError_tT0_T1_T2_jT3_P12ihipStream_tbPNSt15iterator_traitsISE_E10value_typeEPNSK_ISF_E10value_typeEPSG_NS1_7vsmem_tEENKUlT_SE_SF_SG_E_clIS8_S8_S9_S9_EESD_ST_SE_SF_SG_EUlST_E1_NS1_11comp_targetILNS1_3genE5ELNS1_11target_archE942ELNS1_3gpuE9ELNS1_3repE0EEENS1_36merge_oddeven_config_static_selectorELNS0_4arch9wavefront6targetE0EEEvSF_,comdat
	.protected	_ZN7rocprim17ROCPRIM_400000_NS6detail17trampoline_kernelINS0_14default_configENS1_38merge_sort_block_merge_config_selectorIjNS0_10empty_typeEEEZZNS1_27merge_sort_block_merge_implIS3_PjPS5_jNS1_19radix_merge_compareILb0ELb0EjNS0_19identity_decomposerEEEEE10hipError_tT0_T1_T2_jT3_P12ihipStream_tbPNSt15iterator_traitsISE_E10value_typeEPNSK_ISF_E10value_typeEPSG_NS1_7vsmem_tEENKUlT_SE_SF_SG_E_clIS8_S8_S9_S9_EESD_ST_SE_SF_SG_EUlST_E1_NS1_11comp_targetILNS1_3genE5ELNS1_11target_archE942ELNS1_3gpuE9ELNS1_3repE0EEENS1_36merge_oddeven_config_static_selectorELNS0_4arch9wavefront6targetE0EEEvSF_ ; -- Begin function _ZN7rocprim17ROCPRIM_400000_NS6detail17trampoline_kernelINS0_14default_configENS1_38merge_sort_block_merge_config_selectorIjNS0_10empty_typeEEEZZNS1_27merge_sort_block_merge_implIS3_PjPS5_jNS1_19radix_merge_compareILb0ELb0EjNS0_19identity_decomposerEEEEE10hipError_tT0_T1_T2_jT3_P12ihipStream_tbPNSt15iterator_traitsISE_E10value_typeEPNSK_ISF_E10value_typeEPSG_NS1_7vsmem_tEENKUlT_SE_SF_SG_E_clIS8_S8_S9_S9_EESD_ST_SE_SF_SG_EUlST_E1_NS1_11comp_targetILNS1_3genE5ELNS1_11target_archE942ELNS1_3gpuE9ELNS1_3repE0EEENS1_36merge_oddeven_config_static_selectorELNS0_4arch9wavefront6targetE0EEEvSF_
	.globl	_ZN7rocprim17ROCPRIM_400000_NS6detail17trampoline_kernelINS0_14default_configENS1_38merge_sort_block_merge_config_selectorIjNS0_10empty_typeEEEZZNS1_27merge_sort_block_merge_implIS3_PjPS5_jNS1_19radix_merge_compareILb0ELb0EjNS0_19identity_decomposerEEEEE10hipError_tT0_T1_T2_jT3_P12ihipStream_tbPNSt15iterator_traitsISE_E10value_typeEPNSK_ISF_E10value_typeEPSG_NS1_7vsmem_tEENKUlT_SE_SF_SG_E_clIS8_S8_S9_S9_EESD_ST_SE_SF_SG_EUlST_E1_NS1_11comp_targetILNS1_3genE5ELNS1_11target_archE942ELNS1_3gpuE9ELNS1_3repE0EEENS1_36merge_oddeven_config_static_selectorELNS0_4arch9wavefront6targetE0EEEvSF_
	.p2align	8
	.type	_ZN7rocprim17ROCPRIM_400000_NS6detail17trampoline_kernelINS0_14default_configENS1_38merge_sort_block_merge_config_selectorIjNS0_10empty_typeEEEZZNS1_27merge_sort_block_merge_implIS3_PjPS5_jNS1_19radix_merge_compareILb0ELb0EjNS0_19identity_decomposerEEEEE10hipError_tT0_T1_T2_jT3_P12ihipStream_tbPNSt15iterator_traitsISE_E10value_typeEPNSK_ISF_E10value_typeEPSG_NS1_7vsmem_tEENKUlT_SE_SF_SG_E_clIS8_S8_S9_S9_EESD_ST_SE_SF_SG_EUlST_E1_NS1_11comp_targetILNS1_3genE5ELNS1_11target_archE942ELNS1_3gpuE9ELNS1_3repE0EEENS1_36merge_oddeven_config_static_selectorELNS0_4arch9wavefront6targetE0EEEvSF_,@function
_ZN7rocprim17ROCPRIM_400000_NS6detail17trampoline_kernelINS0_14default_configENS1_38merge_sort_block_merge_config_selectorIjNS0_10empty_typeEEEZZNS1_27merge_sort_block_merge_implIS3_PjPS5_jNS1_19radix_merge_compareILb0ELb0EjNS0_19identity_decomposerEEEEE10hipError_tT0_T1_T2_jT3_P12ihipStream_tbPNSt15iterator_traitsISE_E10value_typeEPNSK_ISF_E10value_typeEPSG_NS1_7vsmem_tEENKUlT_SE_SF_SG_E_clIS8_S8_S9_S9_EESD_ST_SE_SF_SG_EUlST_E1_NS1_11comp_targetILNS1_3genE5ELNS1_11target_archE942ELNS1_3gpuE9ELNS1_3repE0EEENS1_36merge_oddeven_config_static_selectorELNS0_4arch9wavefront6targetE0EEEvSF_: ; @_ZN7rocprim17ROCPRIM_400000_NS6detail17trampoline_kernelINS0_14default_configENS1_38merge_sort_block_merge_config_selectorIjNS0_10empty_typeEEEZZNS1_27merge_sort_block_merge_implIS3_PjPS5_jNS1_19radix_merge_compareILb0ELb0EjNS0_19identity_decomposerEEEEE10hipError_tT0_T1_T2_jT3_P12ihipStream_tbPNSt15iterator_traitsISE_E10value_typeEPNSK_ISF_E10value_typeEPSG_NS1_7vsmem_tEENKUlT_SE_SF_SG_E_clIS8_S8_S9_S9_EESD_ST_SE_SF_SG_EUlST_E1_NS1_11comp_targetILNS1_3genE5ELNS1_11target_archE942ELNS1_3gpuE9ELNS1_3repE0EEENS1_36merge_oddeven_config_static_selectorELNS0_4arch9wavefront6targetE0EEEvSF_
; %bb.0:
	.section	.rodata,"a",@progbits
	.p2align	6, 0x0
	.amdhsa_kernel _ZN7rocprim17ROCPRIM_400000_NS6detail17trampoline_kernelINS0_14default_configENS1_38merge_sort_block_merge_config_selectorIjNS0_10empty_typeEEEZZNS1_27merge_sort_block_merge_implIS3_PjPS5_jNS1_19radix_merge_compareILb0ELb0EjNS0_19identity_decomposerEEEEE10hipError_tT0_T1_T2_jT3_P12ihipStream_tbPNSt15iterator_traitsISE_E10value_typeEPNSK_ISF_E10value_typeEPSG_NS1_7vsmem_tEENKUlT_SE_SF_SG_E_clIS8_S8_S9_S9_EESD_ST_SE_SF_SG_EUlST_E1_NS1_11comp_targetILNS1_3genE5ELNS1_11target_archE942ELNS1_3gpuE9ELNS1_3repE0EEENS1_36merge_oddeven_config_static_selectorELNS0_4arch9wavefront6targetE0EEEvSF_
		.amdhsa_group_segment_fixed_size 0
		.amdhsa_private_segment_fixed_size 0
		.amdhsa_kernarg_size 48
		.amdhsa_user_sgpr_count 2
		.amdhsa_user_sgpr_dispatch_ptr 0
		.amdhsa_user_sgpr_queue_ptr 0
		.amdhsa_user_sgpr_kernarg_segment_ptr 1
		.amdhsa_user_sgpr_dispatch_id 0
		.amdhsa_user_sgpr_kernarg_preload_length 0
		.amdhsa_user_sgpr_kernarg_preload_offset 0
		.amdhsa_user_sgpr_private_segment_size 0
		.amdhsa_wavefront_size32 1
		.amdhsa_uses_dynamic_stack 0
		.amdhsa_enable_private_segment 0
		.amdhsa_system_sgpr_workgroup_id_x 1
		.amdhsa_system_sgpr_workgroup_id_y 0
		.amdhsa_system_sgpr_workgroup_id_z 0
		.amdhsa_system_sgpr_workgroup_info 0
		.amdhsa_system_vgpr_workitem_id 0
		.amdhsa_next_free_vgpr 1
		.amdhsa_next_free_sgpr 1
		.amdhsa_named_barrier_count 0
		.amdhsa_reserve_vcc 0
		.amdhsa_float_round_mode_32 0
		.amdhsa_float_round_mode_16_64 0
		.amdhsa_float_denorm_mode_32 3
		.amdhsa_float_denorm_mode_16_64 3
		.amdhsa_fp16_overflow 0
		.amdhsa_memory_ordered 1
		.amdhsa_forward_progress 1
		.amdhsa_inst_pref_size 0
		.amdhsa_round_robin_scheduling 0
		.amdhsa_exception_fp_ieee_invalid_op 0
		.amdhsa_exception_fp_denorm_src 0
		.amdhsa_exception_fp_ieee_div_zero 0
		.amdhsa_exception_fp_ieee_overflow 0
		.amdhsa_exception_fp_ieee_underflow 0
		.amdhsa_exception_fp_ieee_inexact 0
		.amdhsa_exception_int_div_zero 0
	.end_amdhsa_kernel
	.section	.text._ZN7rocprim17ROCPRIM_400000_NS6detail17trampoline_kernelINS0_14default_configENS1_38merge_sort_block_merge_config_selectorIjNS0_10empty_typeEEEZZNS1_27merge_sort_block_merge_implIS3_PjPS5_jNS1_19radix_merge_compareILb0ELb0EjNS0_19identity_decomposerEEEEE10hipError_tT0_T1_T2_jT3_P12ihipStream_tbPNSt15iterator_traitsISE_E10value_typeEPNSK_ISF_E10value_typeEPSG_NS1_7vsmem_tEENKUlT_SE_SF_SG_E_clIS8_S8_S9_S9_EESD_ST_SE_SF_SG_EUlST_E1_NS1_11comp_targetILNS1_3genE5ELNS1_11target_archE942ELNS1_3gpuE9ELNS1_3repE0EEENS1_36merge_oddeven_config_static_selectorELNS0_4arch9wavefront6targetE0EEEvSF_,"axG",@progbits,_ZN7rocprim17ROCPRIM_400000_NS6detail17trampoline_kernelINS0_14default_configENS1_38merge_sort_block_merge_config_selectorIjNS0_10empty_typeEEEZZNS1_27merge_sort_block_merge_implIS3_PjPS5_jNS1_19radix_merge_compareILb0ELb0EjNS0_19identity_decomposerEEEEE10hipError_tT0_T1_T2_jT3_P12ihipStream_tbPNSt15iterator_traitsISE_E10value_typeEPNSK_ISF_E10value_typeEPSG_NS1_7vsmem_tEENKUlT_SE_SF_SG_E_clIS8_S8_S9_S9_EESD_ST_SE_SF_SG_EUlST_E1_NS1_11comp_targetILNS1_3genE5ELNS1_11target_archE942ELNS1_3gpuE9ELNS1_3repE0EEENS1_36merge_oddeven_config_static_selectorELNS0_4arch9wavefront6targetE0EEEvSF_,comdat
.Lfunc_end2696:
	.size	_ZN7rocprim17ROCPRIM_400000_NS6detail17trampoline_kernelINS0_14default_configENS1_38merge_sort_block_merge_config_selectorIjNS0_10empty_typeEEEZZNS1_27merge_sort_block_merge_implIS3_PjPS5_jNS1_19radix_merge_compareILb0ELb0EjNS0_19identity_decomposerEEEEE10hipError_tT0_T1_T2_jT3_P12ihipStream_tbPNSt15iterator_traitsISE_E10value_typeEPNSK_ISF_E10value_typeEPSG_NS1_7vsmem_tEENKUlT_SE_SF_SG_E_clIS8_S8_S9_S9_EESD_ST_SE_SF_SG_EUlST_E1_NS1_11comp_targetILNS1_3genE5ELNS1_11target_archE942ELNS1_3gpuE9ELNS1_3repE0EEENS1_36merge_oddeven_config_static_selectorELNS0_4arch9wavefront6targetE0EEEvSF_, .Lfunc_end2696-_ZN7rocprim17ROCPRIM_400000_NS6detail17trampoline_kernelINS0_14default_configENS1_38merge_sort_block_merge_config_selectorIjNS0_10empty_typeEEEZZNS1_27merge_sort_block_merge_implIS3_PjPS5_jNS1_19radix_merge_compareILb0ELb0EjNS0_19identity_decomposerEEEEE10hipError_tT0_T1_T2_jT3_P12ihipStream_tbPNSt15iterator_traitsISE_E10value_typeEPNSK_ISF_E10value_typeEPSG_NS1_7vsmem_tEENKUlT_SE_SF_SG_E_clIS8_S8_S9_S9_EESD_ST_SE_SF_SG_EUlST_E1_NS1_11comp_targetILNS1_3genE5ELNS1_11target_archE942ELNS1_3gpuE9ELNS1_3repE0EEENS1_36merge_oddeven_config_static_selectorELNS0_4arch9wavefront6targetE0EEEvSF_
                                        ; -- End function
	.set _ZN7rocprim17ROCPRIM_400000_NS6detail17trampoline_kernelINS0_14default_configENS1_38merge_sort_block_merge_config_selectorIjNS0_10empty_typeEEEZZNS1_27merge_sort_block_merge_implIS3_PjPS5_jNS1_19radix_merge_compareILb0ELb0EjNS0_19identity_decomposerEEEEE10hipError_tT0_T1_T2_jT3_P12ihipStream_tbPNSt15iterator_traitsISE_E10value_typeEPNSK_ISF_E10value_typeEPSG_NS1_7vsmem_tEENKUlT_SE_SF_SG_E_clIS8_S8_S9_S9_EESD_ST_SE_SF_SG_EUlST_E1_NS1_11comp_targetILNS1_3genE5ELNS1_11target_archE942ELNS1_3gpuE9ELNS1_3repE0EEENS1_36merge_oddeven_config_static_selectorELNS0_4arch9wavefront6targetE0EEEvSF_.num_vgpr, 0
	.set _ZN7rocprim17ROCPRIM_400000_NS6detail17trampoline_kernelINS0_14default_configENS1_38merge_sort_block_merge_config_selectorIjNS0_10empty_typeEEEZZNS1_27merge_sort_block_merge_implIS3_PjPS5_jNS1_19radix_merge_compareILb0ELb0EjNS0_19identity_decomposerEEEEE10hipError_tT0_T1_T2_jT3_P12ihipStream_tbPNSt15iterator_traitsISE_E10value_typeEPNSK_ISF_E10value_typeEPSG_NS1_7vsmem_tEENKUlT_SE_SF_SG_E_clIS8_S8_S9_S9_EESD_ST_SE_SF_SG_EUlST_E1_NS1_11comp_targetILNS1_3genE5ELNS1_11target_archE942ELNS1_3gpuE9ELNS1_3repE0EEENS1_36merge_oddeven_config_static_selectorELNS0_4arch9wavefront6targetE0EEEvSF_.num_agpr, 0
	.set _ZN7rocprim17ROCPRIM_400000_NS6detail17trampoline_kernelINS0_14default_configENS1_38merge_sort_block_merge_config_selectorIjNS0_10empty_typeEEEZZNS1_27merge_sort_block_merge_implIS3_PjPS5_jNS1_19radix_merge_compareILb0ELb0EjNS0_19identity_decomposerEEEEE10hipError_tT0_T1_T2_jT3_P12ihipStream_tbPNSt15iterator_traitsISE_E10value_typeEPNSK_ISF_E10value_typeEPSG_NS1_7vsmem_tEENKUlT_SE_SF_SG_E_clIS8_S8_S9_S9_EESD_ST_SE_SF_SG_EUlST_E1_NS1_11comp_targetILNS1_3genE5ELNS1_11target_archE942ELNS1_3gpuE9ELNS1_3repE0EEENS1_36merge_oddeven_config_static_selectorELNS0_4arch9wavefront6targetE0EEEvSF_.numbered_sgpr, 0
	.set _ZN7rocprim17ROCPRIM_400000_NS6detail17trampoline_kernelINS0_14default_configENS1_38merge_sort_block_merge_config_selectorIjNS0_10empty_typeEEEZZNS1_27merge_sort_block_merge_implIS3_PjPS5_jNS1_19radix_merge_compareILb0ELb0EjNS0_19identity_decomposerEEEEE10hipError_tT0_T1_T2_jT3_P12ihipStream_tbPNSt15iterator_traitsISE_E10value_typeEPNSK_ISF_E10value_typeEPSG_NS1_7vsmem_tEENKUlT_SE_SF_SG_E_clIS8_S8_S9_S9_EESD_ST_SE_SF_SG_EUlST_E1_NS1_11comp_targetILNS1_3genE5ELNS1_11target_archE942ELNS1_3gpuE9ELNS1_3repE0EEENS1_36merge_oddeven_config_static_selectorELNS0_4arch9wavefront6targetE0EEEvSF_.num_named_barrier, 0
	.set _ZN7rocprim17ROCPRIM_400000_NS6detail17trampoline_kernelINS0_14default_configENS1_38merge_sort_block_merge_config_selectorIjNS0_10empty_typeEEEZZNS1_27merge_sort_block_merge_implIS3_PjPS5_jNS1_19radix_merge_compareILb0ELb0EjNS0_19identity_decomposerEEEEE10hipError_tT0_T1_T2_jT3_P12ihipStream_tbPNSt15iterator_traitsISE_E10value_typeEPNSK_ISF_E10value_typeEPSG_NS1_7vsmem_tEENKUlT_SE_SF_SG_E_clIS8_S8_S9_S9_EESD_ST_SE_SF_SG_EUlST_E1_NS1_11comp_targetILNS1_3genE5ELNS1_11target_archE942ELNS1_3gpuE9ELNS1_3repE0EEENS1_36merge_oddeven_config_static_selectorELNS0_4arch9wavefront6targetE0EEEvSF_.private_seg_size, 0
	.set _ZN7rocprim17ROCPRIM_400000_NS6detail17trampoline_kernelINS0_14default_configENS1_38merge_sort_block_merge_config_selectorIjNS0_10empty_typeEEEZZNS1_27merge_sort_block_merge_implIS3_PjPS5_jNS1_19radix_merge_compareILb0ELb0EjNS0_19identity_decomposerEEEEE10hipError_tT0_T1_T2_jT3_P12ihipStream_tbPNSt15iterator_traitsISE_E10value_typeEPNSK_ISF_E10value_typeEPSG_NS1_7vsmem_tEENKUlT_SE_SF_SG_E_clIS8_S8_S9_S9_EESD_ST_SE_SF_SG_EUlST_E1_NS1_11comp_targetILNS1_3genE5ELNS1_11target_archE942ELNS1_3gpuE9ELNS1_3repE0EEENS1_36merge_oddeven_config_static_selectorELNS0_4arch9wavefront6targetE0EEEvSF_.uses_vcc, 0
	.set _ZN7rocprim17ROCPRIM_400000_NS6detail17trampoline_kernelINS0_14default_configENS1_38merge_sort_block_merge_config_selectorIjNS0_10empty_typeEEEZZNS1_27merge_sort_block_merge_implIS3_PjPS5_jNS1_19radix_merge_compareILb0ELb0EjNS0_19identity_decomposerEEEEE10hipError_tT0_T1_T2_jT3_P12ihipStream_tbPNSt15iterator_traitsISE_E10value_typeEPNSK_ISF_E10value_typeEPSG_NS1_7vsmem_tEENKUlT_SE_SF_SG_E_clIS8_S8_S9_S9_EESD_ST_SE_SF_SG_EUlST_E1_NS1_11comp_targetILNS1_3genE5ELNS1_11target_archE942ELNS1_3gpuE9ELNS1_3repE0EEENS1_36merge_oddeven_config_static_selectorELNS0_4arch9wavefront6targetE0EEEvSF_.uses_flat_scratch, 0
	.set _ZN7rocprim17ROCPRIM_400000_NS6detail17trampoline_kernelINS0_14default_configENS1_38merge_sort_block_merge_config_selectorIjNS0_10empty_typeEEEZZNS1_27merge_sort_block_merge_implIS3_PjPS5_jNS1_19radix_merge_compareILb0ELb0EjNS0_19identity_decomposerEEEEE10hipError_tT0_T1_T2_jT3_P12ihipStream_tbPNSt15iterator_traitsISE_E10value_typeEPNSK_ISF_E10value_typeEPSG_NS1_7vsmem_tEENKUlT_SE_SF_SG_E_clIS8_S8_S9_S9_EESD_ST_SE_SF_SG_EUlST_E1_NS1_11comp_targetILNS1_3genE5ELNS1_11target_archE942ELNS1_3gpuE9ELNS1_3repE0EEENS1_36merge_oddeven_config_static_selectorELNS0_4arch9wavefront6targetE0EEEvSF_.has_dyn_sized_stack, 0
	.set _ZN7rocprim17ROCPRIM_400000_NS6detail17trampoline_kernelINS0_14default_configENS1_38merge_sort_block_merge_config_selectorIjNS0_10empty_typeEEEZZNS1_27merge_sort_block_merge_implIS3_PjPS5_jNS1_19radix_merge_compareILb0ELb0EjNS0_19identity_decomposerEEEEE10hipError_tT0_T1_T2_jT3_P12ihipStream_tbPNSt15iterator_traitsISE_E10value_typeEPNSK_ISF_E10value_typeEPSG_NS1_7vsmem_tEENKUlT_SE_SF_SG_E_clIS8_S8_S9_S9_EESD_ST_SE_SF_SG_EUlST_E1_NS1_11comp_targetILNS1_3genE5ELNS1_11target_archE942ELNS1_3gpuE9ELNS1_3repE0EEENS1_36merge_oddeven_config_static_selectorELNS0_4arch9wavefront6targetE0EEEvSF_.has_recursion, 0
	.set _ZN7rocprim17ROCPRIM_400000_NS6detail17trampoline_kernelINS0_14default_configENS1_38merge_sort_block_merge_config_selectorIjNS0_10empty_typeEEEZZNS1_27merge_sort_block_merge_implIS3_PjPS5_jNS1_19radix_merge_compareILb0ELb0EjNS0_19identity_decomposerEEEEE10hipError_tT0_T1_T2_jT3_P12ihipStream_tbPNSt15iterator_traitsISE_E10value_typeEPNSK_ISF_E10value_typeEPSG_NS1_7vsmem_tEENKUlT_SE_SF_SG_E_clIS8_S8_S9_S9_EESD_ST_SE_SF_SG_EUlST_E1_NS1_11comp_targetILNS1_3genE5ELNS1_11target_archE942ELNS1_3gpuE9ELNS1_3repE0EEENS1_36merge_oddeven_config_static_selectorELNS0_4arch9wavefront6targetE0EEEvSF_.has_indirect_call, 0
	.section	.AMDGPU.csdata,"",@progbits
; Kernel info:
; codeLenInByte = 0
; TotalNumSgprs: 0
; NumVgprs: 0
; ScratchSize: 0
; MemoryBound: 0
; FloatMode: 240
; IeeeMode: 1
; LDSByteSize: 0 bytes/workgroup (compile time only)
; SGPRBlocks: 0
; VGPRBlocks: 0
; NumSGPRsForWavesPerEU: 1
; NumVGPRsForWavesPerEU: 1
; NamedBarCnt: 0
; Occupancy: 16
; WaveLimiterHint : 0
; COMPUTE_PGM_RSRC2:SCRATCH_EN: 0
; COMPUTE_PGM_RSRC2:USER_SGPR: 2
; COMPUTE_PGM_RSRC2:TRAP_HANDLER: 0
; COMPUTE_PGM_RSRC2:TGID_X_EN: 1
; COMPUTE_PGM_RSRC2:TGID_Y_EN: 0
; COMPUTE_PGM_RSRC2:TGID_Z_EN: 0
; COMPUTE_PGM_RSRC2:TIDIG_COMP_CNT: 0
	.section	.text._ZN7rocprim17ROCPRIM_400000_NS6detail17trampoline_kernelINS0_14default_configENS1_38merge_sort_block_merge_config_selectorIjNS0_10empty_typeEEEZZNS1_27merge_sort_block_merge_implIS3_PjPS5_jNS1_19radix_merge_compareILb0ELb0EjNS0_19identity_decomposerEEEEE10hipError_tT0_T1_T2_jT3_P12ihipStream_tbPNSt15iterator_traitsISE_E10value_typeEPNSK_ISF_E10value_typeEPSG_NS1_7vsmem_tEENKUlT_SE_SF_SG_E_clIS8_S8_S9_S9_EESD_ST_SE_SF_SG_EUlST_E1_NS1_11comp_targetILNS1_3genE4ELNS1_11target_archE910ELNS1_3gpuE8ELNS1_3repE0EEENS1_36merge_oddeven_config_static_selectorELNS0_4arch9wavefront6targetE0EEEvSF_,"axG",@progbits,_ZN7rocprim17ROCPRIM_400000_NS6detail17trampoline_kernelINS0_14default_configENS1_38merge_sort_block_merge_config_selectorIjNS0_10empty_typeEEEZZNS1_27merge_sort_block_merge_implIS3_PjPS5_jNS1_19radix_merge_compareILb0ELb0EjNS0_19identity_decomposerEEEEE10hipError_tT0_T1_T2_jT3_P12ihipStream_tbPNSt15iterator_traitsISE_E10value_typeEPNSK_ISF_E10value_typeEPSG_NS1_7vsmem_tEENKUlT_SE_SF_SG_E_clIS8_S8_S9_S9_EESD_ST_SE_SF_SG_EUlST_E1_NS1_11comp_targetILNS1_3genE4ELNS1_11target_archE910ELNS1_3gpuE8ELNS1_3repE0EEENS1_36merge_oddeven_config_static_selectorELNS0_4arch9wavefront6targetE0EEEvSF_,comdat
	.protected	_ZN7rocprim17ROCPRIM_400000_NS6detail17trampoline_kernelINS0_14default_configENS1_38merge_sort_block_merge_config_selectorIjNS0_10empty_typeEEEZZNS1_27merge_sort_block_merge_implIS3_PjPS5_jNS1_19radix_merge_compareILb0ELb0EjNS0_19identity_decomposerEEEEE10hipError_tT0_T1_T2_jT3_P12ihipStream_tbPNSt15iterator_traitsISE_E10value_typeEPNSK_ISF_E10value_typeEPSG_NS1_7vsmem_tEENKUlT_SE_SF_SG_E_clIS8_S8_S9_S9_EESD_ST_SE_SF_SG_EUlST_E1_NS1_11comp_targetILNS1_3genE4ELNS1_11target_archE910ELNS1_3gpuE8ELNS1_3repE0EEENS1_36merge_oddeven_config_static_selectorELNS0_4arch9wavefront6targetE0EEEvSF_ ; -- Begin function _ZN7rocprim17ROCPRIM_400000_NS6detail17trampoline_kernelINS0_14default_configENS1_38merge_sort_block_merge_config_selectorIjNS0_10empty_typeEEEZZNS1_27merge_sort_block_merge_implIS3_PjPS5_jNS1_19radix_merge_compareILb0ELb0EjNS0_19identity_decomposerEEEEE10hipError_tT0_T1_T2_jT3_P12ihipStream_tbPNSt15iterator_traitsISE_E10value_typeEPNSK_ISF_E10value_typeEPSG_NS1_7vsmem_tEENKUlT_SE_SF_SG_E_clIS8_S8_S9_S9_EESD_ST_SE_SF_SG_EUlST_E1_NS1_11comp_targetILNS1_3genE4ELNS1_11target_archE910ELNS1_3gpuE8ELNS1_3repE0EEENS1_36merge_oddeven_config_static_selectorELNS0_4arch9wavefront6targetE0EEEvSF_
	.globl	_ZN7rocprim17ROCPRIM_400000_NS6detail17trampoline_kernelINS0_14default_configENS1_38merge_sort_block_merge_config_selectorIjNS0_10empty_typeEEEZZNS1_27merge_sort_block_merge_implIS3_PjPS5_jNS1_19radix_merge_compareILb0ELb0EjNS0_19identity_decomposerEEEEE10hipError_tT0_T1_T2_jT3_P12ihipStream_tbPNSt15iterator_traitsISE_E10value_typeEPNSK_ISF_E10value_typeEPSG_NS1_7vsmem_tEENKUlT_SE_SF_SG_E_clIS8_S8_S9_S9_EESD_ST_SE_SF_SG_EUlST_E1_NS1_11comp_targetILNS1_3genE4ELNS1_11target_archE910ELNS1_3gpuE8ELNS1_3repE0EEENS1_36merge_oddeven_config_static_selectorELNS0_4arch9wavefront6targetE0EEEvSF_
	.p2align	8
	.type	_ZN7rocprim17ROCPRIM_400000_NS6detail17trampoline_kernelINS0_14default_configENS1_38merge_sort_block_merge_config_selectorIjNS0_10empty_typeEEEZZNS1_27merge_sort_block_merge_implIS3_PjPS5_jNS1_19radix_merge_compareILb0ELb0EjNS0_19identity_decomposerEEEEE10hipError_tT0_T1_T2_jT3_P12ihipStream_tbPNSt15iterator_traitsISE_E10value_typeEPNSK_ISF_E10value_typeEPSG_NS1_7vsmem_tEENKUlT_SE_SF_SG_E_clIS8_S8_S9_S9_EESD_ST_SE_SF_SG_EUlST_E1_NS1_11comp_targetILNS1_3genE4ELNS1_11target_archE910ELNS1_3gpuE8ELNS1_3repE0EEENS1_36merge_oddeven_config_static_selectorELNS0_4arch9wavefront6targetE0EEEvSF_,@function
_ZN7rocprim17ROCPRIM_400000_NS6detail17trampoline_kernelINS0_14default_configENS1_38merge_sort_block_merge_config_selectorIjNS0_10empty_typeEEEZZNS1_27merge_sort_block_merge_implIS3_PjPS5_jNS1_19radix_merge_compareILb0ELb0EjNS0_19identity_decomposerEEEEE10hipError_tT0_T1_T2_jT3_P12ihipStream_tbPNSt15iterator_traitsISE_E10value_typeEPNSK_ISF_E10value_typeEPSG_NS1_7vsmem_tEENKUlT_SE_SF_SG_E_clIS8_S8_S9_S9_EESD_ST_SE_SF_SG_EUlST_E1_NS1_11comp_targetILNS1_3genE4ELNS1_11target_archE910ELNS1_3gpuE8ELNS1_3repE0EEENS1_36merge_oddeven_config_static_selectorELNS0_4arch9wavefront6targetE0EEEvSF_: ; @_ZN7rocprim17ROCPRIM_400000_NS6detail17trampoline_kernelINS0_14default_configENS1_38merge_sort_block_merge_config_selectorIjNS0_10empty_typeEEEZZNS1_27merge_sort_block_merge_implIS3_PjPS5_jNS1_19radix_merge_compareILb0ELb0EjNS0_19identity_decomposerEEEEE10hipError_tT0_T1_T2_jT3_P12ihipStream_tbPNSt15iterator_traitsISE_E10value_typeEPNSK_ISF_E10value_typeEPSG_NS1_7vsmem_tEENKUlT_SE_SF_SG_E_clIS8_S8_S9_S9_EESD_ST_SE_SF_SG_EUlST_E1_NS1_11comp_targetILNS1_3genE4ELNS1_11target_archE910ELNS1_3gpuE8ELNS1_3repE0EEENS1_36merge_oddeven_config_static_selectorELNS0_4arch9wavefront6targetE0EEEvSF_
; %bb.0:
	.section	.rodata,"a",@progbits
	.p2align	6, 0x0
	.amdhsa_kernel _ZN7rocprim17ROCPRIM_400000_NS6detail17trampoline_kernelINS0_14default_configENS1_38merge_sort_block_merge_config_selectorIjNS0_10empty_typeEEEZZNS1_27merge_sort_block_merge_implIS3_PjPS5_jNS1_19radix_merge_compareILb0ELb0EjNS0_19identity_decomposerEEEEE10hipError_tT0_T1_T2_jT3_P12ihipStream_tbPNSt15iterator_traitsISE_E10value_typeEPNSK_ISF_E10value_typeEPSG_NS1_7vsmem_tEENKUlT_SE_SF_SG_E_clIS8_S8_S9_S9_EESD_ST_SE_SF_SG_EUlST_E1_NS1_11comp_targetILNS1_3genE4ELNS1_11target_archE910ELNS1_3gpuE8ELNS1_3repE0EEENS1_36merge_oddeven_config_static_selectorELNS0_4arch9wavefront6targetE0EEEvSF_
		.amdhsa_group_segment_fixed_size 0
		.amdhsa_private_segment_fixed_size 0
		.amdhsa_kernarg_size 48
		.amdhsa_user_sgpr_count 2
		.amdhsa_user_sgpr_dispatch_ptr 0
		.amdhsa_user_sgpr_queue_ptr 0
		.amdhsa_user_sgpr_kernarg_segment_ptr 1
		.amdhsa_user_sgpr_dispatch_id 0
		.amdhsa_user_sgpr_kernarg_preload_length 0
		.amdhsa_user_sgpr_kernarg_preload_offset 0
		.amdhsa_user_sgpr_private_segment_size 0
		.amdhsa_wavefront_size32 1
		.amdhsa_uses_dynamic_stack 0
		.amdhsa_enable_private_segment 0
		.amdhsa_system_sgpr_workgroup_id_x 1
		.amdhsa_system_sgpr_workgroup_id_y 0
		.amdhsa_system_sgpr_workgroup_id_z 0
		.amdhsa_system_sgpr_workgroup_info 0
		.amdhsa_system_vgpr_workitem_id 0
		.amdhsa_next_free_vgpr 1
		.amdhsa_next_free_sgpr 1
		.amdhsa_named_barrier_count 0
		.amdhsa_reserve_vcc 0
		.amdhsa_float_round_mode_32 0
		.amdhsa_float_round_mode_16_64 0
		.amdhsa_float_denorm_mode_32 3
		.amdhsa_float_denorm_mode_16_64 3
		.amdhsa_fp16_overflow 0
		.amdhsa_memory_ordered 1
		.amdhsa_forward_progress 1
		.amdhsa_inst_pref_size 0
		.amdhsa_round_robin_scheduling 0
		.amdhsa_exception_fp_ieee_invalid_op 0
		.amdhsa_exception_fp_denorm_src 0
		.amdhsa_exception_fp_ieee_div_zero 0
		.amdhsa_exception_fp_ieee_overflow 0
		.amdhsa_exception_fp_ieee_underflow 0
		.amdhsa_exception_fp_ieee_inexact 0
		.amdhsa_exception_int_div_zero 0
	.end_amdhsa_kernel
	.section	.text._ZN7rocprim17ROCPRIM_400000_NS6detail17trampoline_kernelINS0_14default_configENS1_38merge_sort_block_merge_config_selectorIjNS0_10empty_typeEEEZZNS1_27merge_sort_block_merge_implIS3_PjPS5_jNS1_19radix_merge_compareILb0ELb0EjNS0_19identity_decomposerEEEEE10hipError_tT0_T1_T2_jT3_P12ihipStream_tbPNSt15iterator_traitsISE_E10value_typeEPNSK_ISF_E10value_typeEPSG_NS1_7vsmem_tEENKUlT_SE_SF_SG_E_clIS8_S8_S9_S9_EESD_ST_SE_SF_SG_EUlST_E1_NS1_11comp_targetILNS1_3genE4ELNS1_11target_archE910ELNS1_3gpuE8ELNS1_3repE0EEENS1_36merge_oddeven_config_static_selectorELNS0_4arch9wavefront6targetE0EEEvSF_,"axG",@progbits,_ZN7rocprim17ROCPRIM_400000_NS6detail17trampoline_kernelINS0_14default_configENS1_38merge_sort_block_merge_config_selectorIjNS0_10empty_typeEEEZZNS1_27merge_sort_block_merge_implIS3_PjPS5_jNS1_19radix_merge_compareILb0ELb0EjNS0_19identity_decomposerEEEEE10hipError_tT0_T1_T2_jT3_P12ihipStream_tbPNSt15iterator_traitsISE_E10value_typeEPNSK_ISF_E10value_typeEPSG_NS1_7vsmem_tEENKUlT_SE_SF_SG_E_clIS8_S8_S9_S9_EESD_ST_SE_SF_SG_EUlST_E1_NS1_11comp_targetILNS1_3genE4ELNS1_11target_archE910ELNS1_3gpuE8ELNS1_3repE0EEENS1_36merge_oddeven_config_static_selectorELNS0_4arch9wavefront6targetE0EEEvSF_,comdat
.Lfunc_end2697:
	.size	_ZN7rocprim17ROCPRIM_400000_NS6detail17trampoline_kernelINS0_14default_configENS1_38merge_sort_block_merge_config_selectorIjNS0_10empty_typeEEEZZNS1_27merge_sort_block_merge_implIS3_PjPS5_jNS1_19radix_merge_compareILb0ELb0EjNS0_19identity_decomposerEEEEE10hipError_tT0_T1_T2_jT3_P12ihipStream_tbPNSt15iterator_traitsISE_E10value_typeEPNSK_ISF_E10value_typeEPSG_NS1_7vsmem_tEENKUlT_SE_SF_SG_E_clIS8_S8_S9_S9_EESD_ST_SE_SF_SG_EUlST_E1_NS1_11comp_targetILNS1_3genE4ELNS1_11target_archE910ELNS1_3gpuE8ELNS1_3repE0EEENS1_36merge_oddeven_config_static_selectorELNS0_4arch9wavefront6targetE0EEEvSF_, .Lfunc_end2697-_ZN7rocprim17ROCPRIM_400000_NS6detail17trampoline_kernelINS0_14default_configENS1_38merge_sort_block_merge_config_selectorIjNS0_10empty_typeEEEZZNS1_27merge_sort_block_merge_implIS3_PjPS5_jNS1_19radix_merge_compareILb0ELb0EjNS0_19identity_decomposerEEEEE10hipError_tT0_T1_T2_jT3_P12ihipStream_tbPNSt15iterator_traitsISE_E10value_typeEPNSK_ISF_E10value_typeEPSG_NS1_7vsmem_tEENKUlT_SE_SF_SG_E_clIS8_S8_S9_S9_EESD_ST_SE_SF_SG_EUlST_E1_NS1_11comp_targetILNS1_3genE4ELNS1_11target_archE910ELNS1_3gpuE8ELNS1_3repE0EEENS1_36merge_oddeven_config_static_selectorELNS0_4arch9wavefront6targetE0EEEvSF_
                                        ; -- End function
	.set _ZN7rocprim17ROCPRIM_400000_NS6detail17trampoline_kernelINS0_14default_configENS1_38merge_sort_block_merge_config_selectorIjNS0_10empty_typeEEEZZNS1_27merge_sort_block_merge_implIS3_PjPS5_jNS1_19radix_merge_compareILb0ELb0EjNS0_19identity_decomposerEEEEE10hipError_tT0_T1_T2_jT3_P12ihipStream_tbPNSt15iterator_traitsISE_E10value_typeEPNSK_ISF_E10value_typeEPSG_NS1_7vsmem_tEENKUlT_SE_SF_SG_E_clIS8_S8_S9_S9_EESD_ST_SE_SF_SG_EUlST_E1_NS1_11comp_targetILNS1_3genE4ELNS1_11target_archE910ELNS1_3gpuE8ELNS1_3repE0EEENS1_36merge_oddeven_config_static_selectorELNS0_4arch9wavefront6targetE0EEEvSF_.num_vgpr, 0
	.set _ZN7rocprim17ROCPRIM_400000_NS6detail17trampoline_kernelINS0_14default_configENS1_38merge_sort_block_merge_config_selectorIjNS0_10empty_typeEEEZZNS1_27merge_sort_block_merge_implIS3_PjPS5_jNS1_19radix_merge_compareILb0ELb0EjNS0_19identity_decomposerEEEEE10hipError_tT0_T1_T2_jT3_P12ihipStream_tbPNSt15iterator_traitsISE_E10value_typeEPNSK_ISF_E10value_typeEPSG_NS1_7vsmem_tEENKUlT_SE_SF_SG_E_clIS8_S8_S9_S9_EESD_ST_SE_SF_SG_EUlST_E1_NS1_11comp_targetILNS1_3genE4ELNS1_11target_archE910ELNS1_3gpuE8ELNS1_3repE0EEENS1_36merge_oddeven_config_static_selectorELNS0_4arch9wavefront6targetE0EEEvSF_.num_agpr, 0
	.set _ZN7rocprim17ROCPRIM_400000_NS6detail17trampoline_kernelINS0_14default_configENS1_38merge_sort_block_merge_config_selectorIjNS0_10empty_typeEEEZZNS1_27merge_sort_block_merge_implIS3_PjPS5_jNS1_19radix_merge_compareILb0ELb0EjNS0_19identity_decomposerEEEEE10hipError_tT0_T1_T2_jT3_P12ihipStream_tbPNSt15iterator_traitsISE_E10value_typeEPNSK_ISF_E10value_typeEPSG_NS1_7vsmem_tEENKUlT_SE_SF_SG_E_clIS8_S8_S9_S9_EESD_ST_SE_SF_SG_EUlST_E1_NS1_11comp_targetILNS1_3genE4ELNS1_11target_archE910ELNS1_3gpuE8ELNS1_3repE0EEENS1_36merge_oddeven_config_static_selectorELNS0_4arch9wavefront6targetE0EEEvSF_.numbered_sgpr, 0
	.set _ZN7rocprim17ROCPRIM_400000_NS6detail17trampoline_kernelINS0_14default_configENS1_38merge_sort_block_merge_config_selectorIjNS0_10empty_typeEEEZZNS1_27merge_sort_block_merge_implIS3_PjPS5_jNS1_19radix_merge_compareILb0ELb0EjNS0_19identity_decomposerEEEEE10hipError_tT0_T1_T2_jT3_P12ihipStream_tbPNSt15iterator_traitsISE_E10value_typeEPNSK_ISF_E10value_typeEPSG_NS1_7vsmem_tEENKUlT_SE_SF_SG_E_clIS8_S8_S9_S9_EESD_ST_SE_SF_SG_EUlST_E1_NS1_11comp_targetILNS1_3genE4ELNS1_11target_archE910ELNS1_3gpuE8ELNS1_3repE0EEENS1_36merge_oddeven_config_static_selectorELNS0_4arch9wavefront6targetE0EEEvSF_.num_named_barrier, 0
	.set _ZN7rocprim17ROCPRIM_400000_NS6detail17trampoline_kernelINS0_14default_configENS1_38merge_sort_block_merge_config_selectorIjNS0_10empty_typeEEEZZNS1_27merge_sort_block_merge_implIS3_PjPS5_jNS1_19radix_merge_compareILb0ELb0EjNS0_19identity_decomposerEEEEE10hipError_tT0_T1_T2_jT3_P12ihipStream_tbPNSt15iterator_traitsISE_E10value_typeEPNSK_ISF_E10value_typeEPSG_NS1_7vsmem_tEENKUlT_SE_SF_SG_E_clIS8_S8_S9_S9_EESD_ST_SE_SF_SG_EUlST_E1_NS1_11comp_targetILNS1_3genE4ELNS1_11target_archE910ELNS1_3gpuE8ELNS1_3repE0EEENS1_36merge_oddeven_config_static_selectorELNS0_4arch9wavefront6targetE0EEEvSF_.private_seg_size, 0
	.set _ZN7rocprim17ROCPRIM_400000_NS6detail17trampoline_kernelINS0_14default_configENS1_38merge_sort_block_merge_config_selectorIjNS0_10empty_typeEEEZZNS1_27merge_sort_block_merge_implIS3_PjPS5_jNS1_19radix_merge_compareILb0ELb0EjNS0_19identity_decomposerEEEEE10hipError_tT0_T1_T2_jT3_P12ihipStream_tbPNSt15iterator_traitsISE_E10value_typeEPNSK_ISF_E10value_typeEPSG_NS1_7vsmem_tEENKUlT_SE_SF_SG_E_clIS8_S8_S9_S9_EESD_ST_SE_SF_SG_EUlST_E1_NS1_11comp_targetILNS1_3genE4ELNS1_11target_archE910ELNS1_3gpuE8ELNS1_3repE0EEENS1_36merge_oddeven_config_static_selectorELNS0_4arch9wavefront6targetE0EEEvSF_.uses_vcc, 0
	.set _ZN7rocprim17ROCPRIM_400000_NS6detail17trampoline_kernelINS0_14default_configENS1_38merge_sort_block_merge_config_selectorIjNS0_10empty_typeEEEZZNS1_27merge_sort_block_merge_implIS3_PjPS5_jNS1_19radix_merge_compareILb0ELb0EjNS0_19identity_decomposerEEEEE10hipError_tT0_T1_T2_jT3_P12ihipStream_tbPNSt15iterator_traitsISE_E10value_typeEPNSK_ISF_E10value_typeEPSG_NS1_7vsmem_tEENKUlT_SE_SF_SG_E_clIS8_S8_S9_S9_EESD_ST_SE_SF_SG_EUlST_E1_NS1_11comp_targetILNS1_3genE4ELNS1_11target_archE910ELNS1_3gpuE8ELNS1_3repE0EEENS1_36merge_oddeven_config_static_selectorELNS0_4arch9wavefront6targetE0EEEvSF_.uses_flat_scratch, 0
	.set _ZN7rocprim17ROCPRIM_400000_NS6detail17trampoline_kernelINS0_14default_configENS1_38merge_sort_block_merge_config_selectorIjNS0_10empty_typeEEEZZNS1_27merge_sort_block_merge_implIS3_PjPS5_jNS1_19radix_merge_compareILb0ELb0EjNS0_19identity_decomposerEEEEE10hipError_tT0_T1_T2_jT3_P12ihipStream_tbPNSt15iterator_traitsISE_E10value_typeEPNSK_ISF_E10value_typeEPSG_NS1_7vsmem_tEENKUlT_SE_SF_SG_E_clIS8_S8_S9_S9_EESD_ST_SE_SF_SG_EUlST_E1_NS1_11comp_targetILNS1_3genE4ELNS1_11target_archE910ELNS1_3gpuE8ELNS1_3repE0EEENS1_36merge_oddeven_config_static_selectorELNS0_4arch9wavefront6targetE0EEEvSF_.has_dyn_sized_stack, 0
	.set _ZN7rocprim17ROCPRIM_400000_NS6detail17trampoline_kernelINS0_14default_configENS1_38merge_sort_block_merge_config_selectorIjNS0_10empty_typeEEEZZNS1_27merge_sort_block_merge_implIS3_PjPS5_jNS1_19radix_merge_compareILb0ELb0EjNS0_19identity_decomposerEEEEE10hipError_tT0_T1_T2_jT3_P12ihipStream_tbPNSt15iterator_traitsISE_E10value_typeEPNSK_ISF_E10value_typeEPSG_NS1_7vsmem_tEENKUlT_SE_SF_SG_E_clIS8_S8_S9_S9_EESD_ST_SE_SF_SG_EUlST_E1_NS1_11comp_targetILNS1_3genE4ELNS1_11target_archE910ELNS1_3gpuE8ELNS1_3repE0EEENS1_36merge_oddeven_config_static_selectorELNS0_4arch9wavefront6targetE0EEEvSF_.has_recursion, 0
	.set _ZN7rocprim17ROCPRIM_400000_NS6detail17trampoline_kernelINS0_14default_configENS1_38merge_sort_block_merge_config_selectorIjNS0_10empty_typeEEEZZNS1_27merge_sort_block_merge_implIS3_PjPS5_jNS1_19radix_merge_compareILb0ELb0EjNS0_19identity_decomposerEEEEE10hipError_tT0_T1_T2_jT3_P12ihipStream_tbPNSt15iterator_traitsISE_E10value_typeEPNSK_ISF_E10value_typeEPSG_NS1_7vsmem_tEENKUlT_SE_SF_SG_E_clIS8_S8_S9_S9_EESD_ST_SE_SF_SG_EUlST_E1_NS1_11comp_targetILNS1_3genE4ELNS1_11target_archE910ELNS1_3gpuE8ELNS1_3repE0EEENS1_36merge_oddeven_config_static_selectorELNS0_4arch9wavefront6targetE0EEEvSF_.has_indirect_call, 0
	.section	.AMDGPU.csdata,"",@progbits
; Kernel info:
; codeLenInByte = 0
; TotalNumSgprs: 0
; NumVgprs: 0
; ScratchSize: 0
; MemoryBound: 0
; FloatMode: 240
; IeeeMode: 1
; LDSByteSize: 0 bytes/workgroup (compile time only)
; SGPRBlocks: 0
; VGPRBlocks: 0
; NumSGPRsForWavesPerEU: 1
; NumVGPRsForWavesPerEU: 1
; NamedBarCnt: 0
; Occupancy: 16
; WaveLimiterHint : 0
; COMPUTE_PGM_RSRC2:SCRATCH_EN: 0
; COMPUTE_PGM_RSRC2:USER_SGPR: 2
; COMPUTE_PGM_RSRC2:TRAP_HANDLER: 0
; COMPUTE_PGM_RSRC2:TGID_X_EN: 1
; COMPUTE_PGM_RSRC2:TGID_Y_EN: 0
; COMPUTE_PGM_RSRC2:TGID_Z_EN: 0
; COMPUTE_PGM_RSRC2:TIDIG_COMP_CNT: 0
	.section	.text._ZN7rocprim17ROCPRIM_400000_NS6detail17trampoline_kernelINS0_14default_configENS1_38merge_sort_block_merge_config_selectorIjNS0_10empty_typeEEEZZNS1_27merge_sort_block_merge_implIS3_PjPS5_jNS1_19radix_merge_compareILb0ELb0EjNS0_19identity_decomposerEEEEE10hipError_tT0_T1_T2_jT3_P12ihipStream_tbPNSt15iterator_traitsISE_E10value_typeEPNSK_ISF_E10value_typeEPSG_NS1_7vsmem_tEENKUlT_SE_SF_SG_E_clIS8_S8_S9_S9_EESD_ST_SE_SF_SG_EUlST_E1_NS1_11comp_targetILNS1_3genE3ELNS1_11target_archE908ELNS1_3gpuE7ELNS1_3repE0EEENS1_36merge_oddeven_config_static_selectorELNS0_4arch9wavefront6targetE0EEEvSF_,"axG",@progbits,_ZN7rocprim17ROCPRIM_400000_NS6detail17trampoline_kernelINS0_14default_configENS1_38merge_sort_block_merge_config_selectorIjNS0_10empty_typeEEEZZNS1_27merge_sort_block_merge_implIS3_PjPS5_jNS1_19radix_merge_compareILb0ELb0EjNS0_19identity_decomposerEEEEE10hipError_tT0_T1_T2_jT3_P12ihipStream_tbPNSt15iterator_traitsISE_E10value_typeEPNSK_ISF_E10value_typeEPSG_NS1_7vsmem_tEENKUlT_SE_SF_SG_E_clIS8_S8_S9_S9_EESD_ST_SE_SF_SG_EUlST_E1_NS1_11comp_targetILNS1_3genE3ELNS1_11target_archE908ELNS1_3gpuE7ELNS1_3repE0EEENS1_36merge_oddeven_config_static_selectorELNS0_4arch9wavefront6targetE0EEEvSF_,comdat
	.protected	_ZN7rocprim17ROCPRIM_400000_NS6detail17trampoline_kernelINS0_14default_configENS1_38merge_sort_block_merge_config_selectorIjNS0_10empty_typeEEEZZNS1_27merge_sort_block_merge_implIS3_PjPS5_jNS1_19radix_merge_compareILb0ELb0EjNS0_19identity_decomposerEEEEE10hipError_tT0_T1_T2_jT3_P12ihipStream_tbPNSt15iterator_traitsISE_E10value_typeEPNSK_ISF_E10value_typeEPSG_NS1_7vsmem_tEENKUlT_SE_SF_SG_E_clIS8_S8_S9_S9_EESD_ST_SE_SF_SG_EUlST_E1_NS1_11comp_targetILNS1_3genE3ELNS1_11target_archE908ELNS1_3gpuE7ELNS1_3repE0EEENS1_36merge_oddeven_config_static_selectorELNS0_4arch9wavefront6targetE0EEEvSF_ ; -- Begin function _ZN7rocprim17ROCPRIM_400000_NS6detail17trampoline_kernelINS0_14default_configENS1_38merge_sort_block_merge_config_selectorIjNS0_10empty_typeEEEZZNS1_27merge_sort_block_merge_implIS3_PjPS5_jNS1_19radix_merge_compareILb0ELb0EjNS0_19identity_decomposerEEEEE10hipError_tT0_T1_T2_jT3_P12ihipStream_tbPNSt15iterator_traitsISE_E10value_typeEPNSK_ISF_E10value_typeEPSG_NS1_7vsmem_tEENKUlT_SE_SF_SG_E_clIS8_S8_S9_S9_EESD_ST_SE_SF_SG_EUlST_E1_NS1_11comp_targetILNS1_3genE3ELNS1_11target_archE908ELNS1_3gpuE7ELNS1_3repE0EEENS1_36merge_oddeven_config_static_selectorELNS0_4arch9wavefront6targetE0EEEvSF_
	.globl	_ZN7rocprim17ROCPRIM_400000_NS6detail17trampoline_kernelINS0_14default_configENS1_38merge_sort_block_merge_config_selectorIjNS0_10empty_typeEEEZZNS1_27merge_sort_block_merge_implIS3_PjPS5_jNS1_19radix_merge_compareILb0ELb0EjNS0_19identity_decomposerEEEEE10hipError_tT0_T1_T2_jT3_P12ihipStream_tbPNSt15iterator_traitsISE_E10value_typeEPNSK_ISF_E10value_typeEPSG_NS1_7vsmem_tEENKUlT_SE_SF_SG_E_clIS8_S8_S9_S9_EESD_ST_SE_SF_SG_EUlST_E1_NS1_11comp_targetILNS1_3genE3ELNS1_11target_archE908ELNS1_3gpuE7ELNS1_3repE0EEENS1_36merge_oddeven_config_static_selectorELNS0_4arch9wavefront6targetE0EEEvSF_
	.p2align	8
	.type	_ZN7rocprim17ROCPRIM_400000_NS6detail17trampoline_kernelINS0_14default_configENS1_38merge_sort_block_merge_config_selectorIjNS0_10empty_typeEEEZZNS1_27merge_sort_block_merge_implIS3_PjPS5_jNS1_19radix_merge_compareILb0ELb0EjNS0_19identity_decomposerEEEEE10hipError_tT0_T1_T2_jT3_P12ihipStream_tbPNSt15iterator_traitsISE_E10value_typeEPNSK_ISF_E10value_typeEPSG_NS1_7vsmem_tEENKUlT_SE_SF_SG_E_clIS8_S8_S9_S9_EESD_ST_SE_SF_SG_EUlST_E1_NS1_11comp_targetILNS1_3genE3ELNS1_11target_archE908ELNS1_3gpuE7ELNS1_3repE0EEENS1_36merge_oddeven_config_static_selectorELNS0_4arch9wavefront6targetE0EEEvSF_,@function
_ZN7rocprim17ROCPRIM_400000_NS6detail17trampoline_kernelINS0_14default_configENS1_38merge_sort_block_merge_config_selectorIjNS0_10empty_typeEEEZZNS1_27merge_sort_block_merge_implIS3_PjPS5_jNS1_19radix_merge_compareILb0ELb0EjNS0_19identity_decomposerEEEEE10hipError_tT0_T1_T2_jT3_P12ihipStream_tbPNSt15iterator_traitsISE_E10value_typeEPNSK_ISF_E10value_typeEPSG_NS1_7vsmem_tEENKUlT_SE_SF_SG_E_clIS8_S8_S9_S9_EESD_ST_SE_SF_SG_EUlST_E1_NS1_11comp_targetILNS1_3genE3ELNS1_11target_archE908ELNS1_3gpuE7ELNS1_3repE0EEENS1_36merge_oddeven_config_static_selectorELNS0_4arch9wavefront6targetE0EEEvSF_: ; @_ZN7rocprim17ROCPRIM_400000_NS6detail17trampoline_kernelINS0_14default_configENS1_38merge_sort_block_merge_config_selectorIjNS0_10empty_typeEEEZZNS1_27merge_sort_block_merge_implIS3_PjPS5_jNS1_19radix_merge_compareILb0ELb0EjNS0_19identity_decomposerEEEEE10hipError_tT0_T1_T2_jT3_P12ihipStream_tbPNSt15iterator_traitsISE_E10value_typeEPNSK_ISF_E10value_typeEPSG_NS1_7vsmem_tEENKUlT_SE_SF_SG_E_clIS8_S8_S9_S9_EESD_ST_SE_SF_SG_EUlST_E1_NS1_11comp_targetILNS1_3genE3ELNS1_11target_archE908ELNS1_3gpuE7ELNS1_3repE0EEENS1_36merge_oddeven_config_static_selectorELNS0_4arch9wavefront6targetE0EEEvSF_
; %bb.0:
	.section	.rodata,"a",@progbits
	.p2align	6, 0x0
	.amdhsa_kernel _ZN7rocprim17ROCPRIM_400000_NS6detail17trampoline_kernelINS0_14default_configENS1_38merge_sort_block_merge_config_selectorIjNS0_10empty_typeEEEZZNS1_27merge_sort_block_merge_implIS3_PjPS5_jNS1_19radix_merge_compareILb0ELb0EjNS0_19identity_decomposerEEEEE10hipError_tT0_T1_T2_jT3_P12ihipStream_tbPNSt15iterator_traitsISE_E10value_typeEPNSK_ISF_E10value_typeEPSG_NS1_7vsmem_tEENKUlT_SE_SF_SG_E_clIS8_S8_S9_S9_EESD_ST_SE_SF_SG_EUlST_E1_NS1_11comp_targetILNS1_3genE3ELNS1_11target_archE908ELNS1_3gpuE7ELNS1_3repE0EEENS1_36merge_oddeven_config_static_selectorELNS0_4arch9wavefront6targetE0EEEvSF_
		.amdhsa_group_segment_fixed_size 0
		.amdhsa_private_segment_fixed_size 0
		.amdhsa_kernarg_size 48
		.amdhsa_user_sgpr_count 2
		.amdhsa_user_sgpr_dispatch_ptr 0
		.amdhsa_user_sgpr_queue_ptr 0
		.amdhsa_user_sgpr_kernarg_segment_ptr 1
		.amdhsa_user_sgpr_dispatch_id 0
		.amdhsa_user_sgpr_kernarg_preload_length 0
		.amdhsa_user_sgpr_kernarg_preload_offset 0
		.amdhsa_user_sgpr_private_segment_size 0
		.amdhsa_wavefront_size32 1
		.amdhsa_uses_dynamic_stack 0
		.amdhsa_enable_private_segment 0
		.amdhsa_system_sgpr_workgroup_id_x 1
		.amdhsa_system_sgpr_workgroup_id_y 0
		.amdhsa_system_sgpr_workgroup_id_z 0
		.amdhsa_system_sgpr_workgroup_info 0
		.amdhsa_system_vgpr_workitem_id 0
		.amdhsa_next_free_vgpr 1
		.amdhsa_next_free_sgpr 1
		.amdhsa_named_barrier_count 0
		.amdhsa_reserve_vcc 0
		.amdhsa_float_round_mode_32 0
		.amdhsa_float_round_mode_16_64 0
		.amdhsa_float_denorm_mode_32 3
		.amdhsa_float_denorm_mode_16_64 3
		.amdhsa_fp16_overflow 0
		.amdhsa_memory_ordered 1
		.amdhsa_forward_progress 1
		.amdhsa_inst_pref_size 0
		.amdhsa_round_robin_scheduling 0
		.amdhsa_exception_fp_ieee_invalid_op 0
		.amdhsa_exception_fp_denorm_src 0
		.amdhsa_exception_fp_ieee_div_zero 0
		.amdhsa_exception_fp_ieee_overflow 0
		.amdhsa_exception_fp_ieee_underflow 0
		.amdhsa_exception_fp_ieee_inexact 0
		.amdhsa_exception_int_div_zero 0
	.end_amdhsa_kernel
	.section	.text._ZN7rocprim17ROCPRIM_400000_NS6detail17trampoline_kernelINS0_14default_configENS1_38merge_sort_block_merge_config_selectorIjNS0_10empty_typeEEEZZNS1_27merge_sort_block_merge_implIS3_PjPS5_jNS1_19radix_merge_compareILb0ELb0EjNS0_19identity_decomposerEEEEE10hipError_tT0_T1_T2_jT3_P12ihipStream_tbPNSt15iterator_traitsISE_E10value_typeEPNSK_ISF_E10value_typeEPSG_NS1_7vsmem_tEENKUlT_SE_SF_SG_E_clIS8_S8_S9_S9_EESD_ST_SE_SF_SG_EUlST_E1_NS1_11comp_targetILNS1_3genE3ELNS1_11target_archE908ELNS1_3gpuE7ELNS1_3repE0EEENS1_36merge_oddeven_config_static_selectorELNS0_4arch9wavefront6targetE0EEEvSF_,"axG",@progbits,_ZN7rocprim17ROCPRIM_400000_NS6detail17trampoline_kernelINS0_14default_configENS1_38merge_sort_block_merge_config_selectorIjNS0_10empty_typeEEEZZNS1_27merge_sort_block_merge_implIS3_PjPS5_jNS1_19radix_merge_compareILb0ELb0EjNS0_19identity_decomposerEEEEE10hipError_tT0_T1_T2_jT3_P12ihipStream_tbPNSt15iterator_traitsISE_E10value_typeEPNSK_ISF_E10value_typeEPSG_NS1_7vsmem_tEENKUlT_SE_SF_SG_E_clIS8_S8_S9_S9_EESD_ST_SE_SF_SG_EUlST_E1_NS1_11comp_targetILNS1_3genE3ELNS1_11target_archE908ELNS1_3gpuE7ELNS1_3repE0EEENS1_36merge_oddeven_config_static_selectorELNS0_4arch9wavefront6targetE0EEEvSF_,comdat
.Lfunc_end2698:
	.size	_ZN7rocprim17ROCPRIM_400000_NS6detail17trampoline_kernelINS0_14default_configENS1_38merge_sort_block_merge_config_selectorIjNS0_10empty_typeEEEZZNS1_27merge_sort_block_merge_implIS3_PjPS5_jNS1_19radix_merge_compareILb0ELb0EjNS0_19identity_decomposerEEEEE10hipError_tT0_T1_T2_jT3_P12ihipStream_tbPNSt15iterator_traitsISE_E10value_typeEPNSK_ISF_E10value_typeEPSG_NS1_7vsmem_tEENKUlT_SE_SF_SG_E_clIS8_S8_S9_S9_EESD_ST_SE_SF_SG_EUlST_E1_NS1_11comp_targetILNS1_3genE3ELNS1_11target_archE908ELNS1_3gpuE7ELNS1_3repE0EEENS1_36merge_oddeven_config_static_selectorELNS0_4arch9wavefront6targetE0EEEvSF_, .Lfunc_end2698-_ZN7rocprim17ROCPRIM_400000_NS6detail17trampoline_kernelINS0_14default_configENS1_38merge_sort_block_merge_config_selectorIjNS0_10empty_typeEEEZZNS1_27merge_sort_block_merge_implIS3_PjPS5_jNS1_19radix_merge_compareILb0ELb0EjNS0_19identity_decomposerEEEEE10hipError_tT0_T1_T2_jT3_P12ihipStream_tbPNSt15iterator_traitsISE_E10value_typeEPNSK_ISF_E10value_typeEPSG_NS1_7vsmem_tEENKUlT_SE_SF_SG_E_clIS8_S8_S9_S9_EESD_ST_SE_SF_SG_EUlST_E1_NS1_11comp_targetILNS1_3genE3ELNS1_11target_archE908ELNS1_3gpuE7ELNS1_3repE0EEENS1_36merge_oddeven_config_static_selectorELNS0_4arch9wavefront6targetE0EEEvSF_
                                        ; -- End function
	.set _ZN7rocprim17ROCPRIM_400000_NS6detail17trampoline_kernelINS0_14default_configENS1_38merge_sort_block_merge_config_selectorIjNS0_10empty_typeEEEZZNS1_27merge_sort_block_merge_implIS3_PjPS5_jNS1_19radix_merge_compareILb0ELb0EjNS0_19identity_decomposerEEEEE10hipError_tT0_T1_T2_jT3_P12ihipStream_tbPNSt15iterator_traitsISE_E10value_typeEPNSK_ISF_E10value_typeEPSG_NS1_7vsmem_tEENKUlT_SE_SF_SG_E_clIS8_S8_S9_S9_EESD_ST_SE_SF_SG_EUlST_E1_NS1_11comp_targetILNS1_3genE3ELNS1_11target_archE908ELNS1_3gpuE7ELNS1_3repE0EEENS1_36merge_oddeven_config_static_selectorELNS0_4arch9wavefront6targetE0EEEvSF_.num_vgpr, 0
	.set _ZN7rocprim17ROCPRIM_400000_NS6detail17trampoline_kernelINS0_14default_configENS1_38merge_sort_block_merge_config_selectorIjNS0_10empty_typeEEEZZNS1_27merge_sort_block_merge_implIS3_PjPS5_jNS1_19radix_merge_compareILb0ELb0EjNS0_19identity_decomposerEEEEE10hipError_tT0_T1_T2_jT3_P12ihipStream_tbPNSt15iterator_traitsISE_E10value_typeEPNSK_ISF_E10value_typeEPSG_NS1_7vsmem_tEENKUlT_SE_SF_SG_E_clIS8_S8_S9_S9_EESD_ST_SE_SF_SG_EUlST_E1_NS1_11comp_targetILNS1_3genE3ELNS1_11target_archE908ELNS1_3gpuE7ELNS1_3repE0EEENS1_36merge_oddeven_config_static_selectorELNS0_4arch9wavefront6targetE0EEEvSF_.num_agpr, 0
	.set _ZN7rocprim17ROCPRIM_400000_NS6detail17trampoline_kernelINS0_14default_configENS1_38merge_sort_block_merge_config_selectorIjNS0_10empty_typeEEEZZNS1_27merge_sort_block_merge_implIS3_PjPS5_jNS1_19radix_merge_compareILb0ELb0EjNS0_19identity_decomposerEEEEE10hipError_tT0_T1_T2_jT3_P12ihipStream_tbPNSt15iterator_traitsISE_E10value_typeEPNSK_ISF_E10value_typeEPSG_NS1_7vsmem_tEENKUlT_SE_SF_SG_E_clIS8_S8_S9_S9_EESD_ST_SE_SF_SG_EUlST_E1_NS1_11comp_targetILNS1_3genE3ELNS1_11target_archE908ELNS1_3gpuE7ELNS1_3repE0EEENS1_36merge_oddeven_config_static_selectorELNS0_4arch9wavefront6targetE0EEEvSF_.numbered_sgpr, 0
	.set _ZN7rocprim17ROCPRIM_400000_NS6detail17trampoline_kernelINS0_14default_configENS1_38merge_sort_block_merge_config_selectorIjNS0_10empty_typeEEEZZNS1_27merge_sort_block_merge_implIS3_PjPS5_jNS1_19radix_merge_compareILb0ELb0EjNS0_19identity_decomposerEEEEE10hipError_tT0_T1_T2_jT3_P12ihipStream_tbPNSt15iterator_traitsISE_E10value_typeEPNSK_ISF_E10value_typeEPSG_NS1_7vsmem_tEENKUlT_SE_SF_SG_E_clIS8_S8_S9_S9_EESD_ST_SE_SF_SG_EUlST_E1_NS1_11comp_targetILNS1_3genE3ELNS1_11target_archE908ELNS1_3gpuE7ELNS1_3repE0EEENS1_36merge_oddeven_config_static_selectorELNS0_4arch9wavefront6targetE0EEEvSF_.num_named_barrier, 0
	.set _ZN7rocprim17ROCPRIM_400000_NS6detail17trampoline_kernelINS0_14default_configENS1_38merge_sort_block_merge_config_selectorIjNS0_10empty_typeEEEZZNS1_27merge_sort_block_merge_implIS3_PjPS5_jNS1_19radix_merge_compareILb0ELb0EjNS0_19identity_decomposerEEEEE10hipError_tT0_T1_T2_jT3_P12ihipStream_tbPNSt15iterator_traitsISE_E10value_typeEPNSK_ISF_E10value_typeEPSG_NS1_7vsmem_tEENKUlT_SE_SF_SG_E_clIS8_S8_S9_S9_EESD_ST_SE_SF_SG_EUlST_E1_NS1_11comp_targetILNS1_3genE3ELNS1_11target_archE908ELNS1_3gpuE7ELNS1_3repE0EEENS1_36merge_oddeven_config_static_selectorELNS0_4arch9wavefront6targetE0EEEvSF_.private_seg_size, 0
	.set _ZN7rocprim17ROCPRIM_400000_NS6detail17trampoline_kernelINS0_14default_configENS1_38merge_sort_block_merge_config_selectorIjNS0_10empty_typeEEEZZNS1_27merge_sort_block_merge_implIS3_PjPS5_jNS1_19radix_merge_compareILb0ELb0EjNS0_19identity_decomposerEEEEE10hipError_tT0_T1_T2_jT3_P12ihipStream_tbPNSt15iterator_traitsISE_E10value_typeEPNSK_ISF_E10value_typeEPSG_NS1_7vsmem_tEENKUlT_SE_SF_SG_E_clIS8_S8_S9_S9_EESD_ST_SE_SF_SG_EUlST_E1_NS1_11comp_targetILNS1_3genE3ELNS1_11target_archE908ELNS1_3gpuE7ELNS1_3repE0EEENS1_36merge_oddeven_config_static_selectorELNS0_4arch9wavefront6targetE0EEEvSF_.uses_vcc, 0
	.set _ZN7rocprim17ROCPRIM_400000_NS6detail17trampoline_kernelINS0_14default_configENS1_38merge_sort_block_merge_config_selectorIjNS0_10empty_typeEEEZZNS1_27merge_sort_block_merge_implIS3_PjPS5_jNS1_19radix_merge_compareILb0ELb0EjNS0_19identity_decomposerEEEEE10hipError_tT0_T1_T2_jT3_P12ihipStream_tbPNSt15iterator_traitsISE_E10value_typeEPNSK_ISF_E10value_typeEPSG_NS1_7vsmem_tEENKUlT_SE_SF_SG_E_clIS8_S8_S9_S9_EESD_ST_SE_SF_SG_EUlST_E1_NS1_11comp_targetILNS1_3genE3ELNS1_11target_archE908ELNS1_3gpuE7ELNS1_3repE0EEENS1_36merge_oddeven_config_static_selectorELNS0_4arch9wavefront6targetE0EEEvSF_.uses_flat_scratch, 0
	.set _ZN7rocprim17ROCPRIM_400000_NS6detail17trampoline_kernelINS0_14default_configENS1_38merge_sort_block_merge_config_selectorIjNS0_10empty_typeEEEZZNS1_27merge_sort_block_merge_implIS3_PjPS5_jNS1_19radix_merge_compareILb0ELb0EjNS0_19identity_decomposerEEEEE10hipError_tT0_T1_T2_jT3_P12ihipStream_tbPNSt15iterator_traitsISE_E10value_typeEPNSK_ISF_E10value_typeEPSG_NS1_7vsmem_tEENKUlT_SE_SF_SG_E_clIS8_S8_S9_S9_EESD_ST_SE_SF_SG_EUlST_E1_NS1_11comp_targetILNS1_3genE3ELNS1_11target_archE908ELNS1_3gpuE7ELNS1_3repE0EEENS1_36merge_oddeven_config_static_selectorELNS0_4arch9wavefront6targetE0EEEvSF_.has_dyn_sized_stack, 0
	.set _ZN7rocprim17ROCPRIM_400000_NS6detail17trampoline_kernelINS0_14default_configENS1_38merge_sort_block_merge_config_selectorIjNS0_10empty_typeEEEZZNS1_27merge_sort_block_merge_implIS3_PjPS5_jNS1_19radix_merge_compareILb0ELb0EjNS0_19identity_decomposerEEEEE10hipError_tT0_T1_T2_jT3_P12ihipStream_tbPNSt15iterator_traitsISE_E10value_typeEPNSK_ISF_E10value_typeEPSG_NS1_7vsmem_tEENKUlT_SE_SF_SG_E_clIS8_S8_S9_S9_EESD_ST_SE_SF_SG_EUlST_E1_NS1_11comp_targetILNS1_3genE3ELNS1_11target_archE908ELNS1_3gpuE7ELNS1_3repE0EEENS1_36merge_oddeven_config_static_selectorELNS0_4arch9wavefront6targetE0EEEvSF_.has_recursion, 0
	.set _ZN7rocprim17ROCPRIM_400000_NS6detail17trampoline_kernelINS0_14default_configENS1_38merge_sort_block_merge_config_selectorIjNS0_10empty_typeEEEZZNS1_27merge_sort_block_merge_implIS3_PjPS5_jNS1_19radix_merge_compareILb0ELb0EjNS0_19identity_decomposerEEEEE10hipError_tT0_T1_T2_jT3_P12ihipStream_tbPNSt15iterator_traitsISE_E10value_typeEPNSK_ISF_E10value_typeEPSG_NS1_7vsmem_tEENKUlT_SE_SF_SG_E_clIS8_S8_S9_S9_EESD_ST_SE_SF_SG_EUlST_E1_NS1_11comp_targetILNS1_3genE3ELNS1_11target_archE908ELNS1_3gpuE7ELNS1_3repE0EEENS1_36merge_oddeven_config_static_selectorELNS0_4arch9wavefront6targetE0EEEvSF_.has_indirect_call, 0
	.section	.AMDGPU.csdata,"",@progbits
; Kernel info:
; codeLenInByte = 0
; TotalNumSgprs: 0
; NumVgprs: 0
; ScratchSize: 0
; MemoryBound: 0
; FloatMode: 240
; IeeeMode: 1
; LDSByteSize: 0 bytes/workgroup (compile time only)
; SGPRBlocks: 0
; VGPRBlocks: 0
; NumSGPRsForWavesPerEU: 1
; NumVGPRsForWavesPerEU: 1
; NamedBarCnt: 0
; Occupancy: 16
; WaveLimiterHint : 0
; COMPUTE_PGM_RSRC2:SCRATCH_EN: 0
; COMPUTE_PGM_RSRC2:USER_SGPR: 2
; COMPUTE_PGM_RSRC2:TRAP_HANDLER: 0
; COMPUTE_PGM_RSRC2:TGID_X_EN: 1
; COMPUTE_PGM_RSRC2:TGID_Y_EN: 0
; COMPUTE_PGM_RSRC2:TGID_Z_EN: 0
; COMPUTE_PGM_RSRC2:TIDIG_COMP_CNT: 0
	.section	.text._ZN7rocprim17ROCPRIM_400000_NS6detail17trampoline_kernelINS0_14default_configENS1_38merge_sort_block_merge_config_selectorIjNS0_10empty_typeEEEZZNS1_27merge_sort_block_merge_implIS3_PjPS5_jNS1_19radix_merge_compareILb0ELb0EjNS0_19identity_decomposerEEEEE10hipError_tT0_T1_T2_jT3_P12ihipStream_tbPNSt15iterator_traitsISE_E10value_typeEPNSK_ISF_E10value_typeEPSG_NS1_7vsmem_tEENKUlT_SE_SF_SG_E_clIS8_S8_S9_S9_EESD_ST_SE_SF_SG_EUlST_E1_NS1_11comp_targetILNS1_3genE2ELNS1_11target_archE906ELNS1_3gpuE6ELNS1_3repE0EEENS1_36merge_oddeven_config_static_selectorELNS0_4arch9wavefront6targetE0EEEvSF_,"axG",@progbits,_ZN7rocprim17ROCPRIM_400000_NS6detail17trampoline_kernelINS0_14default_configENS1_38merge_sort_block_merge_config_selectorIjNS0_10empty_typeEEEZZNS1_27merge_sort_block_merge_implIS3_PjPS5_jNS1_19radix_merge_compareILb0ELb0EjNS0_19identity_decomposerEEEEE10hipError_tT0_T1_T2_jT3_P12ihipStream_tbPNSt15iterator_traitsISE_E10value_typeEPNSK_ISF_E10value_typeEPSG_NS1_7vsmem_tEENKUlT_SE_SF_SG_E_clIS8_S8_S9_S9_EESD_ST_SE_SF_SG_EUlST_E1_NS1_11comp_targetILNS1_3genE2ELNS1_11target_archE906ELNS1_3gpuE6ELNS1_3repE0EEENS1_36merge_oddeven_config_static_selectorELNS0_4arch9wavefront6targetE0EEEvSF_,comdat
	.protected	_ZN7rocprim17ROCPRIM_400000_NS6detail17trampoline_kernelINS0_14default_configENS1_38merge_sort_block_merge_config_selectorIjNS0_10empty_typeEEEZZNS1_27merge_sort_block_merge_implIS3_PjPS5_jNS1_19radix_merge_compareILb0ELb0EjNS0_19identity_decomposerEEEEE10hipError_tT0_T1_T2_jT3_P12ihipStream_tbPNSt15iterator_traitsISE_E10value_typeEPNSK_ISF_E10value_typeEPSG_NS1_7vsmem_tEENKUlT_SE_SF_SG_E_clIS8_S8_S9_S9_EESD_ST_SE_SF_SG_EUlST_E1_NS1_11comp_targetILNS1_3genE2ELNS1_11target_archE906ELNS1_3gpuE6ELNS1_3repE0EEENS1_36merge_oddeven_config_static_selectorELNS0_4arch9wavefront6targetE0EEEvSF_ ; -- Begin function _ZN7rocprim17ROCPRIM_400000_NS6detail17trampoline_kernelINS0_14default_configENS1_38merge_sort_block_merge_config_selectorIjNS0_10empty_typeEEEZZNS1_27merge_sort_block_merge_implIS3_PjPS5_jNS1_19radix_merge_compareILb0ELb0EjNS0_19identity_decomposerEEEEE10hipError_tT0_T1_T2_jT3_P12ihipStream_tbPNSt15iterator_traitsISE_E10value_typeEPNSK_ISF_E10value_typeEPSG_NS1_7vsmem_tEENKUlT_SE_SF_SG_E_clIS8_S8_S9_S9_EESD_ST_SE_SF_SG_EUlST_E1_NS1_11comp_targetILNS1_3genE2ELNS1_11target_archE906ELNS1_3gpuE6ELNS1_3repE0EEENS1_36merge_oddeven_config_static_selectorELNS0_4arch9wavefront6targetE0EEEvSF_
	.globl	_ZN7rocprim17ROCPRIM_400000_NS6detail17trampoline_kernelINS0_14default_configENS1_38merge_sort_block_merge_config_selectorIjNS0_10empty_typeEEEZZNS1_27merge_sort_block_merge_implIS3_PjPS5_jNS1_19radix_merge_compareILb0ELb0EjNS0_19identity_decomposerEEEEE10hipError_tT0_T1_T2_jT3_P12ihipStream_tbPNSt15iterator_traitsISE_E10value_typeEPNSK_ISF_E10value_typeEPSG_NS1_7vsmem_tEENKUlT_SE_SF_SG_E_clIS8_S8_S9_S9_EESD_ST_SE_SF_SG_EUlST_E1_NS1_11comp_targetILNS1_3genE2ELNS1_11target_archE906ELNS1_3gpuE6ELNS1_3repE0EEENS1_36merge_oddeven_config_static_selectorELNS0_4arch9wavefront6targetE0EEEvSF_
	.p2align	8
	.type	_ZN7rocprim17ROCPRIM_400000_NS6detail17trampoline_kernelINS0_14default_configENS1_38merge_sort_block_merge_config_selectorIjNS0_10empty_typeEEEZZNS1_27merge_sort_block_merge_implIS3_PjPS5_jNS1_19radix_merge_compareILb0ELb0EjNS0_19identity_decomposerEEEEE10hipError_tT0_T1_T2_jT3_P12ihipStream_tbPNSt15iterator_traitsISE_E10value_typeEPNSK_ISF_E10value_typeEPSG_NS1_7vsmem_tEENKUlT_SE_SF_SG_E_clIS8_S8_S9_S9_EESD_ST_SE_SF_SG_EUlST_E1_NS1_11comp_targetILNS1_3genE2ELNS1_11target_archE906ELNS1_3gpuE6ELNS1_3repE0EEENS1_36merge_oddeven_config_static_selectorELNS0_4arch9wavefront6targetE0EEEvSF_,@function
_ZN7rocprim17ROCPRIM_400000_NS6detail17trampoline_kernelINS0_14default_configENS1_38merge_sort_block_merge_config_selectorIjNS0_10empty_typeEEEZZNS1_27merge_sort_block_merge_implIS3_PjPS5_jNS1_19radix_merge_compareILb0ELb0EjNS0_19identity_decomposerEEEEE10hipError_tT0_T1_T2_jT3_P12ihipStream_tbPNSt15iterator_traitsISE_E10value_typeEPNSK_ISF_E10value_typeEPSG_NS1_7vsmem_tEENKUlT_SE_SF_SG_E_clIS8_S8_S9_S9_EESD_ST_SE_SF_SG_EUlST_E1_NS1_11comp_targetILNS1_3genE2ELNS1_11target_archE906ELNS1_3gpuE6ELNS1_3repE0EEENS1_36merge_oddeven_config_static_selectorELNS0_4arch9wavefront6targetE0EEEvSF_: ; @_ZN7rocprim17ROCPRIM_400000_NS6detail17trampoline_kernelINS0_14default_configENS1_38merge_sort_block_merge_config_selectorIjNS0_10empty_typeEEEZZNS1_27merge_sort_block_merge_implIS3_PjPS5_jNS1_19radix_merge_compareILb0ELb0EjNS0_19identity_decomposerEEEEE10hipError_tT0_T1_T2_jT3_P12ihipStream_tbPNSt15iterator_traitsISE_E10value_typeEPNSK_ISF_E10value_typeEPSG_NS1_7vsmem_tEENKUlT_SE_SF_SG_E_clIS8_S8_S9_S9_EESD_ST_SE_SF_SG_EUlST_E1_NS1_11comp_targetILNS1_3genE2ELNS1_11target_archE906ELNS1_3gpuE6ELNS1_3repE0EEENS1_36merge_oddeven_config_static_selectorELNS0_4arch9wavefront6targetE0EEEvSF_
; %bb.0:
	.section	.rodata,"a",@progbits
	.p2align	6, 0x0
	.amdhsa_kernel _ZN7rocprim17ROCPRIM_400000_NS6detail17trampoline_kernelINS0_14default_configENS1_38merge_sort_block_merge_config_selectorIjNS0_10empty_typeEEEZZNS1_27merge_sort_block_merge_implIS3_PjPS5_jNS1_19radix_merge_compareILb0ELb0EjNS0_19identity_decomposerEEEEE10hipError_tT0_T1_T2_jT3_P12ihipStream_tbPNSt15iterator_traitsISE_E10value_typeEPNSK_ISF_E10value_typeEPSG_NS1_7vsmem_tEENKUlT_SE_SF_SG_E_clIS8_S8_S9_S9_EESD_ST_SE_SF_SG_EUlST_E1_NS1_11comp_targetILNS1_3genE2ELNS1_11target_archE906ELNS1_3gpuE6ELNS1_3repE0EEENS1_36merge_oddeven_config_static_selectorELNS0_4arch9wavefront6targetE0EEEvSF_
		.amdhsa_group_segment_fixed_size 0
		.amdhsa_private_segment_fixed_size 0
		.amdhsa_kernarg_size 48
		.amdhsa_user_sgpr_count 2
		.amdhsa_user_sgpr_dispatch_ptr 0
		.amdhsa_user_sgpr_queue_ptr 0
		.amdhsa_user_sgpr_kernarg_segment_ptr 1
		.amdhsa_user_sgpr_dispatch_id 0
		.amdhsa_user_sgpr_kernarg_preload_length 0
		.amdhsa_user_sgpr_kernarg_preload_offset 0
		.amdhsa_user_sgpr_private_segment_size 0
		.amdhsa_wavefront_size32 1
		.amdhsa_uses_dynamic_stack 0
		.amdhsa_enable_private_segment 0
		.amdhsa_system_sgpr_workgroup_id_x 1
		.amdhsa_system_sgpr_workgroup_id_y 0
		.amdhsa_system_sgpr_workgroup_id_z 0
		.amdhsa_system_sgpr_workgroup_info 0
		.amdhsa_system_vgpr_workitem_id 0
		.amdhsa_next_free_vgpr 1
		.amdhsa_next_free_sgpr 1
		.amdhsa_named_barrier_count 0
		.amdhsa_reserve_vcc 0
		.amdhsa_float_round_mode_32 0
		.amdhsa_float_round_mode_16_64 0
		.amdhsa_float_denorm_mode_32 3
		.amdhsa_float_denorm_mode_16_64 3
		.amdhsa_fp16_overflow 0
		.amdhsa_memory_ordered 1
		.amdhsa_forward_progress 1
		.amdhsa_inst_pref_size 0
		.amdhsa_round_robin_scheduling 0
		.amdhsa_exception_fp_ieee_invalid_op 0
		.amdhsa_exception_fp_denorm_src 0
		.amdhsa_exception_fp_ieee_div_zero 0
		.amdhsa_exception_fp_ieee_overflow 0
		.amdhsa_exception_fp_ieee_underflow 0
		.amdhsa_exception_fp_ieee_inexact 0
		.amdhsa_exception_int_div_zero 0
	.end_amdhsa_kernel
	.section	.text._ZN7rocprim17ROCPRIM_400000_NS6detail17trampoline_kernelINS0_14default_configENS1_38merge_sort_block_merge_config_selectorIjNS0_10empty_typeEEEZZNS1_27merge_sort_block_merge_implIS3_PjPS5_jNS1_19radix_merge_compareILb0ELb0EjNS0_19identity_decomposerEEEEE10hipError_tT0_T1_T2_jT3_P12ihipStream_tbPNSt15iterator_traitsISE_E10value_typeEPNSK_ISF_E10value_typeEPSG_NS1_7vsmem_tEENKUlT_SE_SF_SG_E_clIS8_S8_S9_S9_EESD_ST_SE_SF_SG_EUlST_E1_NS1_11comp_targetILNS1_3genE2ELNS1_11target_archE906ELNS1_3gpuE6ELNS1_3repE0EEENS1_36merge_oddeven_config_static_selectorELNS0_4arch9wavefront6targetE0EEEvSF_,"axG",@progbits,_ZN7rocprim17ROCPRIM_400000_NS6detail17trampoline_kernelINS0_14default_configENS1_38merge_sort_block_merge_config_selectorIjNS0_10empty_typeEEEZZNS1_27merge_sort_block_merge_implIS3_PjPS5_jNS1_19radix_merge_compareILb0ELb0EjNS0_19identity_decomposerEEEEE10hipError_tT0_T1_T2_jT3_P12ihipStream_tbPNSt15iterator_traitsISE_E10value_typeEPNSK_ISF_E10value_typeEPSG_NS1_7vsmem_tEENKUlT_SE_SF_SG_E_clIS8_S8_S9_S9_EESD_ST_SE_SF_SG_EUlST_E1_NS1_11comp_targetILNS1_3genE2ELNS1_11target_archE906ELNS1_3gpuE6ELNS1_3repE0EEENS1_36merge_oddeven_config_static_selectorELNS0_4arch9wavefront6targetE0EEEvSF_,comdat
.Lfunc_end2699:
	.size	_ZN7rocprim17ROCPRIM_400000_NS6detail17trampoline_kernelINS0_14default_configENS1_38merge_sort_block_merge_config_selectorIjNS0_10empty_typeEEEZZNS1_27merge_sort_block_merge_implIS3_PjPS5_jNS1_19radix_merge_compareILb0ELb0EjNS0_19identity_decomposerEEEEE10hipError_tT0_T1_T2_jT3_P12ihipStream_tbPNSt15iterator_traitsISE_E10value_typeEPNSK_ISF_E10value_typeEPSG_NS1_7vsmem_tEENKUlT_SE_SF_SG_E_clIS8_S8_S9_S9_EESD_ST_SE_SF_SG_EUlST_E1_NS1_11comp_targetILNS1_3genE2ELNS1_11target_archE906ELNS1_3gpuE6ELNS1_3repE0EEENS1_36merge_oddeven_config_static_selectorELNS0_4arch9wavefront6targetE0EEEvSF_, .Lfunc_end2699-_ZN7rocprim17ROCPRIM_400000_NS6detail17trampoline_kernelINS0_14default_configENS1_38merge_sort_block_merge_config_selectorIjNS0_10empty_typeEEEZZNS1_27merge_sort_block_merge_implIS3_PjPS5_jNS1_19radix_merge_compareILb0ELb0EjNS0_19identity_decomposerEEEEE10hipError_tT0_T1_T2_jT3_P12ihipStream_tbPNSt15iterator_traitsISE_E10value_typeEPNSK_ISF_E10value_typeEPSG_NS1_7vsmem_tEENKUlT_SE_SF_SG_E_clIS8_S8_S9_S9_EESD_ST_SE_SF_SG_EUlST_E1_NS1_11comp_targetILNS1_3genE2ELNS1_11target_archE906ELNS1_3gpuE6ELNS1_3repE0EEENS1_36merge_oddeven_config_static_selectorELNS0_4arch9wavefront6targetE0EEEvSF_
                                        ; -- End function
	.set _ZN7rocprim17ROCPRIM_400000_NS6detail17trampoline_kernelINS0_14default_configENS1_38merge_sort_block_merge_config_selectorIjNS0_10empty_typeEEEZZNS1_27merge_sort_block_merge_implIS3_PjPS5_jNS1_19radix_merge_compareILb0ELb0EjNS0_19identity_decomposerEEEEE10hipError_tT0_T1_T2_jT3_P12ihipStream_tbPNSt15iterator_traitsISE_E10value_typeEPNSK_ISF_E10value_typeEPSG_NS1_7vsmem_tEENKUlT_SE_SF_SG_E_clIS8_S8_S9_S9_EESD_ST_SE_SF_SG_EUlST_E1_NS1_11comp_targetILNS1_3genE2ELNS1_11target_archE906ELNS1_3gpuE6ELNS1_3repE0EEENS1_36merge_oddeven_config_static_selectorELNS0_4arch9wavefront6targetE0EEEvSF_.num_vgpr, 0
	.set _ZN7rocprim17ROCPRIM_400000_NS6detail17trampoline_kernelINS0_14default_configENS1_38merge_sort_block_merge_config_selectorIjNS0_10empty_typeEEEZZNS1_27merge_sort_block_merge_implIS3_PjPS5_jNS1_19radix_merge_compareILb0ELb0EjNS0_19identity_decomposerEEEEE10hipError_tT0_T1_T2_jT3_P12ihipStream_tbPNSt15iterator_traitsISE_E10value_typeEPNSK_ISF_E10value_typeEPSG_NS1_7vsmem_tEENKUlT_SE_SF_SG_E_clIS8_S8_S9_S9_EESD_ST_SE_SF_SG_EUlST_E1_NS1_11comp_targetILNS1_3genE2ELNS1_11target_archE906ELNS1_3gpuE6ELNS1_3repE0EEENS1_36merge_oddeven_config_static_selectorELNS0_4arch9wavefront6targetE0EEEvSF_.num_agpr, 0
	.set _ZN7rocprim17ROCPRIM_400000_NS6detail17trampoline_kernelINS0_14default_configENS1_38merge_sort_block_merge_config_selectorIjNS0_10empty_typeEEEZZNS1_27merge_sort_block_merge_implIS3_PjPS5_jNS1_19radix_merge_compareILb0ELb0EjNS0_19identity_decomposerEEEEE10hipError_tT0_T1_T2_jT3_P12ihipStream_tbPNSt15iterator_traitsISE_E10value_typeEPNSK_ISF_E10value_typeEPSG_NS1_7vsmem_tEENKUlT_SE_SF_SG_E_clIS8_S8_S9_S9_EESD_ST_SE_SF_SG_EUlST_E1_NS1_11comp_targetILNS1_3genE2ELNS1_11target_archE906ELNS1_3gpuE6ELNS1_3repE0EEENS1_36merge_oddeven_config_static_selectorELNS0_4arch9wavefront6targetE0EEEvSF_.numbered_sgpr, 0
	.set _ZN7rocprim17ROCPRIM_400000_NS6detail17trampoline_kernelINS0_14default_configENS1_38merge_sort_block_merge_config_selectorIjNS0_10empty_typeEEEZZNS1_27merge_sort_block_merge_implIS3_PjPS5_jNS1_19radix_merge_compareILb0ELb0EjNS0_19identity_decomposerEEEEE10hipError_tT0_T1_T2_jT3_P12ihipStream_tbPNSt15iterator_traitsISE_E10value_typeEPNSK_ISF_E10value_typeEPSG_NS1_7vsmem_tEENKUlT_SE_SF_SG_E_clIS8_S8_S9_S9_EESD_ST_SE_SF_SG_EUlST_E1_NS1_11comp_targetILNS1_3genE2ELNS1_11target_archE906ELNS1_3gpuE6ELNS1_3repE0EEENS1_36merge_oddeven_config_static_selectorELNS0_4arch9wavefront6targetE0EEEvSF_.num_named_barrier, 0
	.set _ZN7rocprim17ROCPRIM_400000_NS6detail17trampoline_kernelINS0_14default_configENS1_38merge_sort_block_merge_config_selectorIjNS0_10empty_typeEEEZZNS1_27merge_sort_block_merge_implIS3_PjPS5_jNS1_19radix_merge_compareILb0ELb0EjNS0_19identity_decomposerEEEEE10hipError_tT0_T1_T2_jT3_P12ihipStream_tbPNSt15iterator_traitsISE_E10value_typeEPNSK_ISF_E10value_typeEPSG_NS1_7vsmem_tEENKUlT_SE_SF_SG_E_clIS8_S8_S9_S9_EESD_ST_SE_SF_SG_EUlST_E1_NS1_11comp_targetILNS1_3genE2ELNS1_11target_archE906ELNS1_3gpuE6ELNS1_3repE0EEENS1_36merge_oddeven_config_static_selectorELNS0_4arch9wavefront6targetE0EEEvSF_.private_seg_size, 0
	.set _ZN7rocprim17ROCPRIM_400000_NS6detail17trampoline_kernelINS0_14default_configENS1_38merge_sort_block_merge_config_selectorIjNS0_10empty_typeEEEZZNS1_27merge_sort_block_merge_implIS3_PjPS5_jNS1_19radix_merge_compareILb0ELb0EjNS0_19identity_decomposerEEEEE10hipError_tT0_T1_T2_jT3_P12ihipStream_tbPNSt15iterator_traitsISE_E10value_typeEPNSK_ISF_E10value_typeEPSG_NS1_7vsmem_tEENKUlT_SE_SF_SG_E_clIS8_S8_S9_S9_EESD_ST_SE_SF_SG_EUlST_E1_NS1_11comp_targetILNS1_3genE2ELNS1_11target_archE906ELNS1_3gpuE6ELNS1_3repE0EEENS1_36merge_oddeven_config_static_selectorELNS0_4arch9wavefront6targetE0EEEvSF_.uses_vcc, 0
	.set _ZN7rocprim17ROCPRIM_400000_NS6detail17trampoline_kernelINS0_14default_configENS1_38merge_sort_block_merge_config_selectorIjNS0_10empty_typeEEEZZNS1_27merge_sort_block_merge_implIS3_PjPS5_jNS1_19radix_merge_compareILb0ELb0EjNS0_19identity_decomposerEEEEE10hipError_tT0_T1_T2_jT3_P12ihipStream_tbPNSt15iterator_traitsISE_E10value_typeEPNSK_ISF_E10value_typeEPSG_NS1_7vsmem_tEENKUlT_SE_SF_SG_E_clIS8_S8_S9_S9_EESD_ST_SE_SF_SG_EUlST_E1_NS1_11comp_targetILNS1_3genE2ELNS1_11target_archE906ELNS1_3gpuE6ELNS1_3repE0EEENS1_36merge_oddeven_config_static_selectorELNS0_4arch9wavefront6targetE0EEEvSF_.uses_flat_scratch, 0
	.set _ZN7rocprim17ROCPRIM_400000_NS6detail17trampoline_kernelINS0_14default_configENS1_38merge_sort_block_merge_config_selectorIjNS0_10empty_typeEEEZZNS1_27merge_sort_block_merge_implIS3_PjPS5_jNS1_19radix_merge_compareILb0ELb0EjNS0_19identity_decomposerEEEEE10hipError_tT0_T1_T2_jT3_P12ihipStream_tbPNSt15iterator_traitsISE_E10value_typeEPNSK_ISF_E10value_typeEPSG_NS1_7vsmem_tEENKUlT_SE_SF_SG_E_clIS8_S8_S9_S9_EESD_ST_SE_SF_SG_EUlST_E1_NS1_11comp_targetILNS1_3genE2ELNS1_11target_archE906ELNS1_3gpuE6ELNS1_3repE0EEENS1_36merge_oddeven_config_static_selectorELNS0_4arch9wavefront6targetE0EEEvSF_.has_dyn_sized_stack, 0
	.set _ZN7rocprim17ROCPRIM_400000_NS6detail17trampoline_kernelINS0_14default_configENS1_38merge_sort_block_merge_config_selectorIjNS0_10empty_typeEEEZZNS1_27merge_sort_block_merge_implIS3_PjPS5_jNS1_19radix_merge_compareILb0ELb0EjNS0_19identity_decomposerEEEEE10hipError_tT0_T1_T2_jT3_P12ihipStream_tbPNSt15iterator_traitsISE_E10value_typeEPNSK_ISF_E10value_typeEPSG_NS1_7vsmem_tEENKUlT_SE_SF_SG_E_clIS8_S8_S9_S9_EESD_ST_SE_SF_SG_EUlST_E1_NS1_11comp_targetILNS1_3genE2ELNS1_11target_archE906ELNS1_3gpuE6ELNS1_3repE0EEENS1_36merge_oddeven_config_static_selectorELNS0_4arch9wavefront6targetE0EEEvSF_.has_recursion, 0
	.set _ZN7rocprim17ROCPRIM_400000_NS6detail17trampoline_kernelINS0_14default_configENS1_38merge_sort_block_merge_config_selectorIjNS0_10empty_typeEEEZZNS1_27merge_sort_block_merge_implIS3_PjPS5_jNS1_19radix_merge_compareILb0ELb0EjNS0_19identity_decomposerEEEEE10hipError_tT0_T1_T2_jT3_P12ihipStream_tbPNSt15iterator_traitsISE_E10value_typeEPNSK_ISF_E10value_typeEPSG_NS1_7vsmem_tEENKUlT_SE_SF_SG_E_clIS8_S8_S9_S9_EESD_ST_SE_SF_SG_EUlST_E1_NS1_11comp_targetILNS1_3genE2ELNS1_11target_archE906ELNS1_3gpuE6ELNS1_3repE0EEENS1_36merge_oddeven_config_static_selectorELNS0_4arch9wavefront6targetE0EEEvSF_.has_indirect_call, 0
	.section	.AMDGPU.csdata,"",@progbits
; Kernel info:
; codeLenInByte = 0
; TotalNumSgprs: 0
; NumVgprs: 0
; ScratchSize: 0
; MemoryBound: 0
; FloatMode: 240
; IeeeMode: 1
; LDSByteSize: 0 bytes/workgroup (compile time only)
; SGPRBlocks: 0
; VGPRBlocks: 0
; NumSGPRsForWavesPerEU: 1
; NumVGPRsForWavesPerEU: 1
; NamedBarCnt: 0
; Occupancy: 16
; WaveLimiterHint : 0
; COMPUTE_PGM_RSRC2:SCRATCH_EN: 0
; COMPUTE_PGM_RSRC2:USER_SGPR: 2
; COMPUTE_PGM_RSRC2:TRAP_HANDLER: 0
; COMPUTE_PGM_RSRC2:TGID_X_EN: 1
; COMPUTE_PGM_RSRC2:TGID_Y_EN: 0
; COMPUTE_PGM_RSRC2:TGID_Z_EN: 0
; COMPUTE_PGM_RSRC2:TIDIG_COMP_CNT: 0
	.section	.text._ZN7rocprim17ROCPRIM_400000_NS6detail17trampoline_kernelINS0_14default_configENS1_38merge_sort_block_merge_config_selectorIjNS0_10empty_typeEEEZZNS1_27merge_sort_block_merge_implIS3_PjPS5_jNS1_19radix_merge_compareILb0ELb0EjNS0_19identity_decomposerEEEEE10hipError_tT0_T1_T2_jT3_P12ihipStream_tbPNSt15iterator_traitsISE_E10value_typeEPNSK_ISF_E10value_typeEPSG_NS1_7vsmem_tEENKUlT_SE_SF_SG_E_clIS8_S8_S9_S9_EESD_ST_SE_SF_SG_EUlST_E1_NS1_11comp_targetILNS1_3genE9ELNS1_11target_archE1100ELNS1_3gpuE3ELNS1_3repE0EEENS1_36merge_oddeven_config_static_selectorELNS0_4arch9wavefront6targetE0EEEvSF_,"axG",@progbits,_ZN7rocprim17ROCPRIM_400000_NS6detail17trampoline_kernelINS0_14default_configENS1_38merge_sort_block_merge_config_selectorIjNS0_10empty_typeEEEZZNS1_27merge_sort_block_merge_implIS3_PjPS5_jNS1_19radix_merge_compareILb0ELb0EjNS0_19identity_decomposerEEEEE10hipError_tT0_T1_T2_jT3_P12ihipStream_tbPNSt15iterator_traitsISE_E10value_typeEPNSK_ISF_E10value_typeEPSG_NS1_7vsmem_tEENKUlT_SE_SF_SG_E_clIS8_S8_S9_S9_EESD_ST_SE_SF_SG_EUlST_E1_NS1_11comp_targetILNS1_3genE9ELNS1_11target_archE1100ELNS1_3gpuE3ELNS1_3repE0EEENS1_36merge_oddeven_config_static_selectorELNS0_4arch9wavefront6targetE0EEEvSF_,comdat
	.protected	_ZN7rocprim17ROCPRIM_400000_NS6detail17trampoline_kernelINS0_14default_configENS1_38merge_sort_block_merge_config_selectorIjNS0_10empty_typeEEEZZNS1_27merge_sort_block_merge_implIS3_PjPS5_jNS1_19radix_merge_compareILb0ELb0EjNS0_19identity_decomposerEEEEE10hipError_tT0_T1_T2_jT3_P12ihipStream_tbPNSt15iterator_traitsISE_E10value_typeEPNSK_ISF_E10value_typeEPSG_NS1_7vsmem_tEENKUlT_SE_SF_SG_E_clIS8_S8_S9_S9_EESD_ST_SE_SF_SG_EUlST_E1_NS1_11comp_targetILNS1_3genE9ELNS1_11target_archE1100ELNS1_3gpuE3ELNS1_3repE0EEENS1_36merge_oddeven_config_static_selectorELNS0_4arch9wavefront6targetE0EEEvSF_ ; -- Begin function _ZN7rocprim17ROCPRIM_400000_NS6detail17trampoline_kernelINS0_14default_configENS1_38merge_sort_block_merge_config_selectorIjNS0_10empty_typeEEEZZNS1_27merge_sort_block_merge_implIS3_PjPS5_jNS1_19radix_merge_compareILb0ELb0EjNS0_19identity_decomposerEEEEE10hipError_tT0_T1_T2_jT3_P12ihipStream_tbPNSt15iterator_traitsISE_E10value_typeEPNSK_ISF_E10value_typeEPSG_NS1_7vsmem_tEENKUlT_SE_SF_SG_E_clIS8_S8_S9_S9_EESD_ST_SE_SF_SG_EUlST_E1_NS1_11comp_targetILNS1_3genE9ELNS1_11target_archE1100ELNS1_3gpuE3ELNS1_3repE0EEENS1_36merge_oddeven_config_static_selectorELNS0_4arch9wavefront6targetE0EEEvSF_
	.globl	_ZN7rocprim17ROCPRIM_400000_NS6detail17trampoline_kernelINS0_14default_configENS1_38merge_sort_block_merge_config_selectorIjNS0_10empty_typeEEEZZNS1_27merge_sort_block_merge_implIS3_PjPS5_jNS1_19radix_merge_compareILb0ELb0EjNS0_19identity_decomposerEEEEE10hipError_tT0_T1_T2_jT3_P12ihipStream_tbPNSt15iterator_traitsISE_E10value_typeEPNSK_ISF_E10value_typeEPSG_NS1_7vsmem_tEENKUlT_SE_SF_SG_E_clIS8_S8_S9_S9_EESD_ST_SE_SF_SG_EUlST_E1_NS1_11comp_targetILNS1_3genE9ELNS1_11target_archE1100ELNS1_3gpuE3ELNS1_3repE0EEENS1_36merge_oddeven_config_static_selectorELNS0_4arch9wavefront6targetE0EEEvSF_
	.p2align	8
	.type	_ZN7rocprim17ROCPRIM_400000_NS6detail17trampoline_kernelINS0_14default_configENS1_38merge_sort_block_merge_config_selectorIjNS0_10empty_typeEEEZZNS1_27merge_sort_block_merge_implIS3_PjPS5_jNS1_19radix_merge_compareILb0ELb0EjNS0_19identity_decomposerEEEEE10hipError_tT0_T1_T2_jT3_P12ihipStream_tbPNSt15iterator_traitsISE_E10value_typeEPNSK_ISF_E10value_typeEPSG_NS1_7vsmem_tEENKUlT_SE_SF_SG_E_clIS8_S8_S9_S9_EESD_ST_SE_SF_SG_EUlST_E1_NS1_11comp_targetILNS1_3genE9ELNS1_11target_archE1100ELNS1_3gpuE3ELNS1_3repE0EEENS1_36merge_oddeven_config_static_selectorELNS0_4arch9wavefront6targetE0EEEvSF_,@function
_ZN7rocprim17ROCPRIM_400000_NS6detail17trampoline_kernelINS0_14default_configENS1_38merge_sort_block_merge_config_selectorIjNS0_10empty_typeEEEZZNS1_27merge_sort_block_merge_implIS3_PjPS5_jNS1_19radix_merge_compareILb0ELb0EjNS0_19identity_decomposerEEEEE10hipError_tT0_T1_T2_jT3_P12ihipStream_tbPNSt15iterator_traitsISE_E10value_typeEPNSK_ISF_E10value_typeEPSG_NS1_7vsmem_tEENKUlT_SE_SF_SG_E_clIS8_S8_S9_S9_EESD_ST_SE_SF_SG_EUlST_E1_NS1_11comp_targetILNS1_3genE9ELNS1_11target_archE1100ELNS1_3gpuE3ELNS1_3repE0EEENS1_36merge_oddeven_config_static_selectorELNS0_4arch9wavefront6targetE0EEEvSF_: ; @_ZN7rocprim17ROCPRIM_400000_NS6detail17trampoline_kernelINS0_14default_configENS1_38merge_sort_block_merge_config_selectorIjNS0_10empty_typeEEEZZNS1_27merge_sort_block_merge_implIS3_PjPS5_jNS1_19radix_merge_compareILb0ELb0EjNS0_19identity_decomposerEEEEE10hipError_tT0_T1_T2_jT3_P12ihipStream_tbPNSt15iterator_traitsISE_E10value_typeEPNSK_ISF_E10value_typeEPSG_NS1_7vsmem_tEENKUlT_SE_SF_SG_E_clIS8_S8_S9_S9_EESD_ST_SE_SF_SG_EUlST_E1_NS1_11comp_targetILNS1_3genE9ELNS1_11target_archE1100ELNS1_3gpuE3ELNS1_3repE0EEENS1_36merge_oddeven_config_static_selectorELNS0_4arch9wavefront6targetE0EEEvSF_
; %bb.0:
	.section	.rodata,"a",@progbits
	.p2align	6, 0x0
	.amdhsa_kernel _ZN7rocprim17ROCPRIM_400000_NS6detail17trampoline_kernelINS0_14default_configENS1_38merge_sort_block_merge_config_selectorIjNS0_10empty_typeEEEZZNS1_27merge_sort_block_merge_implIS3_PjPS5_jNS1_19radix_merge_compareILb0ELb0EjNS0_19identity_decomposerEEEEE10hipError_tT0_T1_T2_jT3_P12ihipStream_tbPNSt15iterator_traitsISE_E10value_typeEPNSK_ISF_E10value_typeEPSG_NS1_7vsmem_tEENKUlT_SE_SF_SG_E_clIS8_S8_S9_S9_EESD_ST_SE_SF_SG_EUlST_E1_NS1_11comp_targetILNS1_3genE9ELNS1_11target_archE1100ELNS1_3gpuE3ELNS1_3repE0EEENS1_36merge_oddeven_config_static_selectorELNS0_4arch9wavefront6targetE0EEEvSF_
		.amdhsa_group_segment_fixed_size 0
		.amdhsa_private_segment_fixed_size 0
		.amdhsa_kernarg_size 48
		.amdhsa_user_sgpr_count 2
		.amdhsa_user_sgpr_dispatch_ptr 0
		.amdhsa_user_sgpr_queue_ptr 0
		.amdhsa_user_sgpr_kernarg_segment_ptr 1
		.amdhsa_user_sgpr_dispatch_id 0
		.amdhsa_user_sgpr_kernarg_preload_length 0
		.amdhsa_user_sgpr_kernarg_preload_offset 0
		.amdhsa_user_sgpr_private_segment_size 0
		.amdhsa_wavefront_size32 1
		.amdhsa_uses_dynamic_stack 0
		.amdhsa_enable_private_segment 0
		.amdhsa_system_sgpr_workgroup_id_x 1
		.amdhsa_system_sgpr_workgroup_id_y 0
		.amdhsa_system_sgpr_workgroup_id_z 0
		.amdhsa_system_sgpr_workgroup_info 0
		.amdhsa_system_vgpr_workitem_id 0
		.amdhsa_next_free_vgpr 1
		.amdhsa_next_free_sgpr 1
		.amdhsa_named_barrier_count 0
		.amdhsa_reserve_vcc 0
		.amdhsa_float_round_mode_32 0
		.amdhsa_float_round_mode_16_64 0
		.amdhsa_float_denorm_mode_32 3
		.amdhsa_float_denorm_mode_16_64 3
		.amdhsa_fp16_overflow 0
		.amdhsa_memory_ordered 1
		.amdhsa_forward_progress 1
		.amdhsa_inst_pref_size 0
		.amdhsa_round_robin_scheduling 0
		.amdhsa_exception_fp_ieee_invalid_op 0
		.amdhsa_exception_fp_denorm_src 0
		.amdhsa_exception_fp_ieee_div_zero 0
		.amdhsa_exception_fp_ieee_overflow 0
		.amdhsa_exception_fp_ieee_underflow 0
		.amdhsa_exception_fp_ieee_inexact 0
		.amdhsa_exception_int_div_zero 0
	.end_amdhsa_kernel
	.section	.text._ZN7rocprim17ROCPRIM_400000_NS6detail17trampoline_kernelINS0_14default_configENS1_38merge_sort_block_merge_config_selectorIjNS0_10empty_typeEEEZZNS1_27merge_sort_block_merge_implIS3_PjPS5_jNS1_19radix_merge_compareILb0ELb0EjNS0_19identity_decomposerEEEEE10hipError_tT0_T1_T2_jT3_P12ihipStream_tbPNSt15iterator_traitsISE_E10value_typeEPNSK_ISF_E10value_typeEPSG_NS1_7vsmem_tEENKUlT_SE_SF_SG_E_clIS8_S8_S9_S9_EESD_ST_SE_SF_SG_EUlST_E1_NS1_11comp_targetILNS1_3genE9ELNS1_11target_archE1100ELNS1_3gpuE3ELNS1_3repE0EEENS1_36merge_oddeven_config_static_selectorELNS0_4arch9wavefront6targetE0EEEvSF_,"axG",@progbits,_ZN7rocprim17ROCPRIM_400000_NS6detail17trampoline_kernelINS0_14default_configENS1_38merge_sort_block_merge_config_selectorIjNS0_10empty_typeEEEZZNS1_27merge_sort_block_merge_implIS3_PjPS5_jNS1_19radix_merge_compareILb0ELb0EjNS0_19identity_decomposerEEEEE10hipError_tT0_T1_T2_jT3_P12ihipStream_tbPNSt15iterator_traitsISE_E10value_typeEPNSK_ISF_E10value_typeEPSG_NS1_7vsmem_tEENKUlT_SE_SF_SG_E_clIS8_S8_S9_S9_EESD_ST_SE_SF_SG_EUlST_E1_NS1_11comp_targetILNS1_3genE9ELNS1_11target_archE1100ELNS1_3gpuE3ELNS1_3repE0EEENS1_36merge_oddeven_config_static_selectorELNS0_4arch9wavefront6targetE0EEEvSF_,comdat
.Lfunc_end2700:
	.size	_ZN7rocprim17ROCPRIM_400000_NS6detail17trampoline_kernelINS0_14default_configENS1_38merge_sort_block_merge_config_selectorIjNS0_10empty_typeEEEZZNS1_27merge_sort_block_merge_implIS3_PjPS5_jNS1_19radix_merge_compareILb0ELb0EjNS0_19identity_decomposerEEEEE10hipError_tT0_T1_T2_jT3_P12ihipStream_tbPNSt15iterator_traitsISE_E10value_typeEPNSK_ISF_E10value_typeEPSG_NS1_7vsmem_tEENKUlT_SE_SF_SG_E_clIS8_S8_S9_S9_EESD_ST_SE_SF_SG_EUlST_E1_NS1_11comp_targetILNS1_3genE9ELNS1_11target_archE1100ELNS1_3gpuE3ELNS1_3repE0EEENS1_36merge_oddeven_config_static_selectorELNS0_4arch9wavefront6targetE0EEEvSF_, .Lfunc_end2700-_ZN7rocprim17ROCPRIM_400000_NS6detail17trampoline_kernelINS0_14default_configENS1_38merge_sort_block_merge_config_selectorIjNS0_10empty_typeEEEZZNS1_27merge_sort_block_merge_implIS3_PjPS5_jNS1_19radix_merge_compareILb0ELb0EjNS0_19identity_decomposerEEEEE10hipError_tT0_T1_T2_jT3_P12ihipStream_tbPNSt15iterator_traitsISE_E10value_typeEPNSK_ISF_E10value_typeEPSG_NS1_7vsmem_tEENKUlT_SE_SF_SG_E_clIS8_S8_S9_S9_EESD_ST_SE_SF_SG_EUlST_E1_NS1_11comp_targetILNS1_3genE9ELNS1_11target_archE1100ELNS1_3gpuE3ELNS1_3repE0EEENS1_36merge_oddeven_config_static_selectorELNS0_4arch9wavefront6targetE0EEEvSF_
                                        ; -- End function
	.set _ZN7rocprim17ROCPRIM_400000_NS6detail17trampoline_kernelINS0_14default_configENS1_38merge_sort_block_merge_config_selectorIjNS0_10empty_typeEEEZZNS1_27merge_sort_block_merge_implIS3_PjPS5_jNS1_19radix_merge_compareILb0ELb0EjNS0_19identity_decomposerEEEEE10hipError_tT0_T1_T2_jT3_P12ihipStream_tbPNSt15iterator_traitsISE_E10value_typeEPNSK_ISF_E10value_typeEPSG_NS1_7vsmem_tEENKUlT_SE_SF_SG_E_clIS8_S8_S9_S9_EESD_ST_SE_SF_SG_EUlST_E1_NS1_11comp_targetILNS1_3genE9ELNS1_11target_archE1100ELNS1_3gpuE3ELNS1_3repE0EEENS1_36merge_oddeven_config_static_selectorELNS0_4arch9wavefront6targetE0EEEvSF_.num_vgpr, 0
	.set _ZN7rocprim17ROCPRIM_400000_NS6detail17trampoline_kernelINS0_14default_configENS1_38merge_sort_block_merge_config_selectorIjNS0_10empty_typeEEEZZNS1_27merge_sort_block_merge_implIS3_PjPS5_jNS1_19radix_merge_compareILb0ELb0EjNS0_19identity_decomposerEEEEE10hipError_tT0_T1_T2_jT3_P12ihipStream_tbPNSt15iterator_traitsISE_E10value_typeEPNSK_ISF_E10value_typeEPSG_NS1_7vsmem_tEENKUlT_SE_SF_SG_E_clIS8_S8_S9_S9_EESD_ST_SE_SF_SG_EUlST_E1_NS1_11comp_targetILNS1_3genE9ELNS1_11target_archE1100ELNS1_3gpuE3ELNS1_3repE0EEENS1_36merge_oddeven_config_static_selectorELNS0_4arch9wavefront6targetE0EEEvSF_.num_agpr, 0
	.set _ZN7rocprim17ROCPRIM_400000_NS6detail17trampoline_kernelINS0_14default_configENS1_38merge_sort_block_merge_config_selectorIjNS0_10empty_typeEEEZZNS1_27merge_sort_block_merge_implIS3_PjPS5_jNS1_19radix_merge_compareILb0ELb0EjNS0_19identity_decomposerEEEEE10hipError_tT0_T1_T2_jT3_P12ihipStream_tbPNSt15iterator_traitsISE_E10value_typeEPNSK_ISF_E10value_typeEPSG_NS1_7vsmem_tEENKUlT_SE_SF_SG_E_clIS8_S8_S9_S9_EESD_ST_SE_SF_SG_EUlST_E1_NS1_11comp_targetILNS1_3genE9ELNS1_11target_archE1100ELNS1_3gpuE3ELNS1_3repE0EEENS1_36merge_oddeven_config_static_selectorELNS0_4arch9wavefront6targetE0EEEvSF_.numbered_sgpr, 0
	.set _ZN7rocprim17ROCPRIM_400000_NS6detail17trampoline_kernelINS0_14default_configENS1_38merge_sort_block_merge_config_selectorIjNS0_10empty_typeEEEZZNS1_27merge_sort_block_merge_implIS3_PjPS5_jNS1_19radix_merge_compareILb0ELb0EjNS0_19identity_decomposerEEEEE10hipError_tT0_T1_T2_jT3_P12ihipStream_tbPNSt15iterator_traitsISE_E10value_typeEPNSK_ISF_E10value_typeEPSG_NS1_7vsmem_tEENKUlT_SE_SF_SG_E_clIS8_S8_S9_S9_EESD_ST_SE_SF_SG_EUlST_E1_NS1_11comp_targetILNS1_3genE9ELNS1_11target_archE1100ELNS1_3gpuE3ELNS1_3repE0EEENS1_36merge_oddeven_config_static_selectorELNS0_4arch9wavefront6targetE0EEEvSF_.num_named_barrier, 0
	.set _ZN7rocprim17ROCPRIM_400000_NS6detail17trampoline_kernelINS0_14default_configENS1_38merge_sort_block_merge_config_selectorIjNS0_10empty_typeEEEZZNS1_27merge_sort_block_merge_implIS3_PjPS5_jNS1_19radix_merge_compareILb0ELb0EjNS0_19identity_decomposerEEEEE10hipError_tT0_T1_T2_jT3_P12ihipStream_tbPNSt15iterator_traitsISE_E10value_typeEPNSK_ISF_E10value_typeEPSG_NS1_7vsmem_tEENKUlT_SE_SF_SG_E_clIS8_S8_S9_S9_EESD_ST_SE_SF_SG_EUlST_E1_NS1_11comp_targetILNS1_3genE9ELNS1_11target_archE1100ELNS1_3gpuE3ELNS1_3repE0EEENS1_36merge_oddeven_config_static_selectorELNS0_4arch9wavefront6targetE0EEEvSF_.private_seg_size, 0
	.set _ZN7rocprim17ROCPRIM_400000_NS6detail17trampoline_kernelINS0_14default_configENS1_38merge_sort_block_merge_config_selectorIjNS0_10empty_typeEEEZZNS1_27merge_sort_block_merge_implIS3_PjPS5_jNS1_19radix_merge_compareILb0ELb0EjNS0_19identity_decomposerEEEEE10hipError_tT0_T1_T2_jT3_P12ihipStream_tbPNSt15iterator_traitsISE_E10value_typeEPNSK_ISF_E10value_typeEPSG_NS1_7vsmem_tEENKUlT_SE_SF_SG_E_clIS8_S8_S9_S9_EESD_ST_SE_SF_SG_EUlST_E1_NS1_11comp_targetILNS1_3genE9ELNS1_11target_archE1100ELNS1_3gpuE3ELNS1_3repE0EEENS1_36merge_oddeven_config_static_selectorELNS0_4arch9wavefront6targetE0EEEvSF_.uses_vcc, 0
	.set _ZN7rocprim17ROCPRIM_400000_NS6detail17trampoline_kernelINS0_14default_configENS1_38merge_sort_block_merge_config_selectorIjNS0_10empty_typeEEEZZNS1_27merge_sort_block_merge_implIS3_PjPS5_jNS1_19radix_merge_compareILb0ELb0EjNS0_19identity_decomposerEEEEE10hipError_tT0_T1_T2_jT3_P12ihipStream_tbPNSt15iterator_traitsISE_E10value_typeEPNSK_ISF_E10value_typeEPSG_NS1_7vsmem_tEENKUlT_SE_SF_SG_E_clIS8_S8_S9_S9_EESD_ST_SE_SF_SG_EUlST_E1_NS1_11comp_targetILNS1_3genE9ELNS1_11target_archE1100ELNS1_3gpuE3ELNS1_3repE0EEENS1_36merge_oddeven_config_static_selectorELNS0_4arch9wavefront6targetE0EEEvSF_.uses_flat_scratch, 0
	.set _ZN7rocprim17ROCPRIM_400000_NS6detail17trampoline_kernelINS0_14default_configENS1_38merge_sort_block_merge_config_selectorIjNS0_10empty_typeEEEZZNS1_27merge_sort_block_merge_implIS3_PjPS5_jNS1_19radix_merge_compareILb0ELb0EjNS0_19identity_decomposerEEEEE10hipError_tT0_T1_T2_jT3_P12ihipStream_tbPNSt15iterator_traitsISE_E10value_typeEPNSK_ISF_E10value_typeEPSG_NS1_7vsmem_tEENKUlT_SE_SF_SG_E_clIS8_S8_S9_S9_EESD_ST_SE_SF_SG_EUlST_E1_NS1_11comp_targetILNS1_3genE9ELNS1_11target_archE1100ELNS1_3gpuE3ELNS1_3repE0EEENS1_36merge_oddeven_config_static_selectorELNS0_4arch9wavefront6targetE0EEEvSF_.has_dyn_sized_stack, 0
	.set _ZN7rocprim17ROCPRIM_400000_NS6detail17trampoline_kernelINS0_14default_configENS1_38merge_sort_block_merge_config_selectorIjNS0_10empty_typeEEEZZNS1_27merge_sort_block_merge_implIS3_PjPS5_jNS1_19radix_merge_compareILb0ELb0EjNS0_19identity_decomposerEEEEE10hipError_tT0_T1_T2_jT3_P12ihipStream_tbPNSt15iterator_traitsISE_E10value_typeEPNSK_ISF_E10value_typeEPSG_NS1_7vsmem_tEENKUlT_SE_SF_SG_E_clIS8_S8_S9_S9_EESD_ST_SE_SF_SG_EUlST_E1_NS1_11comp_targetILNS1_3genE9ELNS1_11target_archE1100ELNS1_3gpuE3ELNS1_3repE0EEENS1_36merge_oddeven_config_static_selectorELNS0_4arch9wavefront6targetE0EEEvSF_.has_recursion, 0
	.set _ZN7rocprim17ROCPRIM_400000_NS6detail17trampoline_kernelINS0_14default_configENS1_38merge_sort_block_merge_config_selectorIjNS0_10empty_typeEEEZZNS1_27merge_sort_block_merge_implIS3_PjPS5_jNS1_19radix_merge_compareILb0ELb0EjNS0_19identity_decomposerEEEEE10hipError_tT0_T1_T2_jT3_P12ihipStream_tbPNSt15iterator_traitsISE_E10value_typeEPNSK_ISF_E10value_typeEPSG_NS1_7vsmem_tEENKUlT_SE_SF_SG_E_clIS8_S8_S9_S9_EESD_ST_SE_SF_SG_EUlST_E1_NS1_11comp_targetILNS1_3genE9ELNS1_11target_archE1100ELNS1_3gpuE3ELNS1_3repE0EEENS1_36merge_oddeven_config_static_selectorELNS0_4arch9wavefront6targetE0EEEvSF_.has_indirect_call, 0
	.section	.AMDGPU.csdata,"",@progbits
; Kernel info:
; codeLenInByte = 0
; TotalNumSgprs: 0
; NumVgprs: 0
; ScratchSize: 0
; MemoryBound: 0
; FloatMode: 240
; IeeeMode: 1
; LDSByteSize: 0 bytes/workgroup (compile time only)
; SGPRBlocks: 0
; VGPRBlocks: 0
; NumSGPRsForWavesPerEU: 1
; NumVGPRsForWavesPerEU: 1
; NamedBarCnt: 0
; Occupancy: 16
; WaveLimiterHint : 0
; COMPUTE_PGM_RSRC2:SCRATCH_EN: 0
; COMPUTE_PGM_RSRC2:USER_SGPR: 2
; COMPUTE_PGM_RSRC2:TRAP_HANDLER: 0
; COMPUTE_PGM_RSRC2:TGID_X_EN: 1
; COMPUTE_PGM_RSRC2:TGID_Y_EN: 0
; COMPUTE_PGM_RSRC2:TGID_Z_EN: 0
; COMPUTE_PGM_RSRC2:TIDIG_COMP_CNT: 0
	.section	.text._ZN7rocprim17ROCPRIM_400000_NS6detail17trampoline_kernelINS0_14default_configENS1_38merge_sort_block_merge_config_selectorIjNS0_10empty_typeEEEZZNS1_27merge_sort_block_merge_implIS3_PjPS5_jNS1_19radix_merge_compareILb0ELb0EjNS0_19identity_decomposerEEEEE10hipError_tT0_T1_T2_jT3_P12ihipStream_tbPNSt15iterator_traitsISE_E10value_typeEPNSK_ISF_E10value_typeEPSG_NS1_7vsmem_tEENKUlT_SE_SF_SG_E_clIS8_S8_S9_S9_EESD_ST_SE_SF_SG_EUlST_E1_NS1_11comp_targetILNS1_3genE8ELNS1_11target_archE1030ELNS1_3gpuE2ELNS1_3repE0EEENS1_36merge_oddeven_config_static_selectorELNS0_4arch9wavefront6targetE0EEEvSF_,"axG",@progbits,_ZN7rocprim17ROCPRIM_400000_NS6detail17trampoline_kernelINS0_14default_configENS1_38merge_sort_block_merge_config_selectorIjNS0_10empty_typeEEEZZNS1_27merge_sort_block_merge_implIS3_PjPS5_jNS1_19radix_merge_compareILb0ELb0EjNS0_19identity_decomposerEEEEE10hipError_tT0_T1_T2_jT3_P12ihipStream_tbPNSt15iterator_traitsISE_E10value_typeEPNSK_ISF_E10value_typeEPSG_NS1_7vsmem_tEENKUlT_SE_SF_SG_E_clIS8_S8_S9_S9_EESD_ST_SE_SF_SG_EUlST_E1_NS1_11comp_targetILNS1_3genE8ELNS1_11target_archE1030ELNS1_3gpuE2ELNS1_3repE0EEENS1_36merge_oddeven_config_static_selectorELNS0_4arch9wavefront6targetE0EEEvSF_,comdat
	.protected	_ZN7rocprim17ROCPRIM_400000_NS6detail17trampoline_kernelINS0_14default_configENS1_38merge_sort_block_merge_config_selectorIjNS0_10empty_typeEEEZZNS1_27merge_sort_block_merge_implIS3_PjPS5_jNS1_19radix_merge_compareILb0ELb0EjNS0_19identity_decomposerEEEEE10hipError_tT0_T1_T2_jT3_P12ihipStream_tbPNSt15iterator_traitsISE_E10value_typeEPNSK_ISF_E10value_typeEPSG_NS1_7vsmem_tEENKUlT_SE_SF_SG_E_clIS8_S8_S9_S9_EESD_ST_SE_SF_SG_EUlST_E1_NS1_11comp_targetILNS1_3genE8ELNS1_11target_archE1030ELNS1_3gpuE2ELNS1_3repE0EEENS1_36merge_oddeven_config_static_selectorELNS0_4arch9wavefront6targetE0EEEvSF_ ; -- Begin function _ZN7rocprim17ROCPRIM_400000_NS6detail17trampoline_kernelINS0_14default_configENS1_38merge_sort_block_merge_config_selectorIjNS0_10empty_typeEEEZZNS1_27merge_sort_block_merge_implIS3_PjPS5_jNS1_19radix_merge_compareILb0ELb0EjNS0_19identity_decomposerEEEEE10hipError_tT0_T1_T2_jT3_P12ihipStream_tbPNSt15iterator_traitsISE_E10value_typeEPNSK_ISF_E10value_typeEPSG_NS1_7vsmem_tEENKUlT_SE_SF_SG_E_clIS8_S8_S9_S9_EESD_ST_SE_SF_SG_EUlST_E1_NS1_11comp_targetILNS1_3genE8ELNS1_11target_archE1030ELNS1_3gpuE2ELNS1_3repE0EEENS1_36merge_oddeven_config_static_selectorELNS0_4arch9wavefront6targetE0EEEvSF_
	.globl	_ZN7rocprim17ROCPRIM_400000_NS6detail17trampoline_kernelINS0_14default_configENS1_38merge_sort_block_merge_config_selectorIjNS0_10empty_typeEEEZZNS1_27merge_sort_block_merge_implIS3_PjPS5_jNS1_19radix_merge_compareILb0ELb0EjNS0_19identity_decomposerEEEEE10hipError_tT0_T1_T2_jT3_P12ihipStream_tbPNSt15iterator_traitsISE_E10value_typeEPNSK_ISF_E10value_typeEPSG_NS1_7vsmem_tEENKUlT_SE_SF_SG_E_clIS8_S8_S9_S9_EESD_ST_SE_SF_SG_EUlST_E1_NS1_11comp_targetILNS1_3genE8ELNS1_11target_archE1030ELNS1_3gpuE2ELNS1_3repE0EEENS1_36merge_oddeven_config_static_selectorELNS0_4arch9wavefront6targetE0EEEvSF_
	.p2align	8
	.type	_ZN7rocprim17ROCPRIM_400000_NS6detail17trampoline_kernelINS0_14default_configENS1_38merge_sort_block_merge_config_selectorIjNS0_10empty_typeEEEZZNS1_27merge_sort_block_merge_implIS3_PjPS5_jNS1_19radix_merge_compareILb0ELb0EjNS0_19identity_decomposerEEEEE10hipError_tT0_T1_T2_jT3_P12ihipStream_tbPNSt15iterator_traitsISE_E10value_typeEPNSK_ISF_E10value_typeEPSG_NS1_7vsmem_tEENKUlT_SE_SF_SG_E_clIS8_S8_S9_S9_EESD_ST_SE_SF_SG_EUlST_E1_NS1_11comp_targetILNS1_3genE8ELNS1_11target_archE1030ELNS1_3gpuE2ELNS1_3repE0EEENS1_36merge_oddeven_config_static_selectorELNS0_4arch9wavefront6targetE0EEEvSF_,@function
_ZN7rocprim17ROCPRIM_400000_NS6detail17trampoline_kernelINS0_14default_configENS1_38merge_sort_block_merge_config_selectorIjNS0_10empty_typeEEEZZNS1_27merge_sort_block_merge_implIS3_PjPS5_jNS1_19radix_merge_compareILb0ELb0EjNS0_19identity_decomposerEEEEE10hipError_tT0_T1_T2_jT3_P12ihipStream_tbPNSt15iterator_traitsISE_E10value_typeEPNSK_ISF_E10value_typeEPSG_NS1_7vsmem_tEENKUlT_SE_SF_SG_E_clIS8_S8_S9_S9_EESD_ST_SE_SF_SG_EUlST_E1_NS1_11comp_targetILNS1_3genE8ELNS1_11target_archE1030ELNS1_3gpuE2ELNS1_3repE0EEENS1_36merge_oddeven_config_static_selectorELNS0_4arch9wavefront6targetE0EEEvSF_: ; @_ZN7rocprim17ROCPRIM_400000_NS6detail17trampoline_kernelINS0_14default_configENS1_38merge_sort_block_merge_config_selectorIjNS0_10empty_typeEEEZZNS1_27merge_sort_block_merge_implIS3_PjPS5_jNS1_19radix_merge_compareILb0ELb0EjNS0_19identity_decomposerEEEEE10hipError_tT0_T1_T2_jT3_P12ihipStream_tbPNSt15iterator_traitsISE_E10value_typeEPNSK_ISF_E10value_typeEPSG_NS1_7vsmem_tEENKUlT_SE_SF_SG_E_clIS8_S8_S9_S9_EESD_ST_SE_SF_SG_EUlST_E1_NS1_11comp_targetILNS1_3genE8ELNS1_11target_archE1030ELNS1_3gpuE2ELNS1_3repE0EEENS1_36merge_oddeven_config_static_selectorELNS0_4arch9wavefront6targetE0EEEvSF_
; %bb.0:
	.section	.rodata,"a",@progbits
	.p2align	6, 0x0
	.amdhsa_kernel _ZN7rocprim17ROCPRIM_400000_NS6detail17trampoline_kernelINS0_14default_configENS1_38merge_sort_block_merge_config_selectorIjNS0_10empty_typeEEEZZNS1_27merge_sort_block_merge_implIS3_PjPS5_jNS1_19radix_merge_compareILb0ELb0EjNS0_19identity_decomposerEEEEE10hipError_tT0_T1_T2_jT3_P12ihipStream_tbPNSt15iterator_traitsISE_E10value_typeEPNSK_ISF_E10value_typeEPSG_NS1_7vsmem_tEENKUlT_SE_SF_SG_E_clIS8_S8_S9_S9_EESD_ST_SE_SF_SG_EUlST_E1_NS1_11comp_targetILNS1_3genE8ELNS1_11target_archE1030ELNS1_3gpuE2ELNS1_3repE0EEENS1_36merge_oddeven_config_static_selectorELNS0_4arch9wavefront6targetE0EEEvSF_
		.amdhsa_group_segment_fixed_size 0
		.amdhsa_private_segment_fixed_size 0
		.amdhsa_kernarg_size 48
		.amdhsa_user_sgpr_count 2
		.amdhsa_user_sgpr_dispatch_ptr 0
		.amdhsa_user_sgpr_queue_ptr 0
		.amdhsa_user_sgpr_kernarg_segment_ptr 1
		.amdhsa_user_sgpr_dispatch_id 0
		.amdhsa_user_sgpr_kernarg_preload_length 0
		.amdhsa_user_sgpr_kernarg_preload_offset 0
		.amdhsa_user_sgpr_private_segment_size 0
		.amdhsa_wavefront_size32 1
		.amdhsa_uses_dynamic_stack 0
		.amdhsa_enable_private_segment 0
		.amdhsa_system_sgpr_workgroup_id_x 1
		.amdhsa_system_sgpr_workgroup_id_y 0
		.amdhsa_system_sgpr_workgroup_id_z 0
		.amdhsa_system_sgpr_workgroup_info 0
		.amdhsa_system_vgpr_workitem_id 0
		.amdhsa_next_free_vgpr 1
		.amdhsa_next_free_sgpr 1
		.amdhsa_named_barrier_count 0
		.amdhsa_reserve_vcc 0
		.amdhsa_float_round_mode_32 0
		.amdhsa_float_round_mode_16_64 0
		.amdhsa_float_denorm_mode_32 3
		.amdhsa_float_denorm_mode_16_64 3
		.amdhsa_fp16_overflow 0
		.amdhsa_memory_ordered 1
		.amdhsa_forward_progress 1
		.amdhsa_inst_pref_size 0
		.amdhsa_round_robin_scheduling 0
		.amdhsa_exception_fp_ieee_invalid_op 0
		.amdhsa_exception_fp_denorm_src 0
		.amdhsa_exception_fp_ieee_div_zero 0
		.amdhsa_exception_fp_ieee_overflow 0
		.amdhsa_exception_fp_ieee_underflow 0
		.amdhsa_exception_fp_ieee_inexact 0
		.amdhsa_exception_int_div_zero 0
	.end_amdhsa_kernel
	.section	.text._ZN7rocprim17ROCPRIM_400000_NS6detail17trampoline_kernelINS0_14default_configENS1_38merge_sort_block_merge_config_selectorIjNS0_10empty_typeEEEZZNS1_27merge_sort_block_merge_implIS3_PjPS5_jNS1_19radix_merge_compareILb0ELb0EjNS0_19identity_decomposerEEEEE10hipError_tT0_T1_T2_jT3_P12ihipStream_tbPNSt15iterator_traitsISE_E10value_typeEPNSK_ISF_E10value_typeEPSG_NS1_7vsmem_tEENKUlT_SE_SF_SG_E_clIS8_S8_S9_S9_EESD_ST_SE_SF_SG_EUlST_E1_NS1_11comp_targetILNS1_3genE8ELNS1_11target_archE1030ELNS1_3gpuE2ELNS1_3repE0EEENS1_36merge_oddeven_config_static_selectorELNS0_4arch9wavefront6targetE0EEEvSF_,"axG",@progbits,_ZN7rocprim17ROCPRIM_400000_NS6detail17trampoline_kernelINS0_14default_configENS1_38merge_sort_block_merge_config_selectorIjNS0_10empty_typeEEEZZNS1_27merge_sort_block_merge_implIS3_PjPS5_jNS1_19radix_merge_compareILb0ELb0EjNS0_19identity_decomposerEEEEE10hipError_tT0_T1_T2_jT3_P12ihipStream_tbPNSt15iterator_traitsISE_E10value_typeEPNSK_ISF_E10value_typeEPSG_NS1_7vsmem_tEENKUlT_SE_SF_SG_E_clIS8_S8_S9_S9_EESD_ST_SE_SF_SG_EUlST_E1_NS1_11comp_targetILNS1_3genE8ELNS1_11target_archE1030ELNS1_3gpuE2ELNS1_3repE0EEENS1_36merge_oddeven_config_static_selectorELNS0_4arch9wavefront6targetE0EEEvSF_,comdat
.Lfunc_end2701:
	.size	_ZN7rocprim17ROCPRIM_400000_NS6detail17trampoline_kernelINS0_14default_configENS1_38merge_sort_block_merge_config_selectorIjNS0_10empty_typeEEEZZNS1_27merge_sort_block_merge_implIS3_PjPS5_jNS1_19radix_merge_compareILb0ELb0EjNS0_19identity_decomposerEEEEE10hipError_tT0_T1_T2_jT3_P12ihipStream_tbPNSt15iterator_traitsISE_E10value_typeEPNSK_ISF_E10value_typeEPSG_NS1_7vsmem_tEENKUlT_SE_SF_SG_E_clIS8_S8_S9_S9_EESD_ST_SE_SF_SG_EUlST_E1_NS1_11comp_targetILNS1_3genE8ELNS1_11target_archE1030ELNS1_3gpuE2ELNS1_3repE0EEENS1_36merge_oddeven_config_static_selectorELNS0_4arch9wavefront6targetE0EEEvSF_, .Lfunc_end2701-_ZN7rocprim17ROCPRIM_400000_NS6detail17trampoline_kernelINS0_14default_configENS1_38merge_sort_block_merge_config_selectorIjNS0_10empty_typeEEEZZNS1_27merge_sort_block_merge_implIS3_PjPS5_jNS1_19radix_merge_compareILb0ELb0EjNS0_19identity_decomposerEEEEE10hipError_tT0_T1_T2_jT3_P12ihipStream_tbPNSt15iterator_traitsISE_E10value_typeEPNSK_ISF_E10value_typeEPSG_NS1_7vsmem_tEENKUlT_SE_SF_SG_E_clIS8_S8_S9_S9_EESD_ST_SE_SF_SG_EUlST_E1_NS1_11comp_targetILNS1_3genE8ELNS1_11target_archE1030ELNS1_3gpuE2ELNS1_3repE0EEENS1_36merge_oddeven_config_static_selectorELNS0_4arch9wavefront6targetE0EEEvSF_
                                        ; -- End function
	.set _ZN7rocprim17ROCPRIM_400000_NS6detail17trampoline_kernelINS0_14default_configENS1_38merge_sort_block_merge_config_selectorIjNS0_10empty_typeEEEZZNS1_27merge_sort_block_merge_implIS3_PjPS5_jNS1_19radix_merge_compareILb0ELb0EjNS0_19identity_decomposerEEEEE10hipError_tT0_T1_T2_jT3_P12ihipStream_tbPNSt15iterator_traitsISE_E10value_typeEPNSK_ISF_E10value_typeEPSG_NS1_7vsmem_tEENKUlT_SE_SF_SG_E_clIS8_S8_S9_S9_EESD_ST_SE_SF_SG_EUlST_E1_NS1_11comp_targetILNS1_3genE8ELNS1_11target_archE1030ELNS1_3gpuE2ELNS1_3repE0EEENS1_36merge_oddeven_config_static_selectorELNS0_4arch9wavefront6targetE0EEEvSF_.num_vgpr, 0
	.set _ZN7rocprim17ROCPRIM_400000_NS6detail17trampoline_kernelINS0_14default_configENS1_38merge_sort_block_merge_config_selectorIjNS0_10empty_typeEEEZZNS1_27merge_sort_block_merge_implIS3_PjPS5_jNS1_19radix_merge_compareILb0ELb0EjNS0_19identity_decomposerEEEEE10hipError_tT0_T1_T2_jT3_P12ihipStream_tbPNSt15iterator_traitsISE_E10value_typeEPNSK_ISF_E10value_typeEPSG_NS1_7vsmem_tEENKUlT_SE_SF_SG_E_clIS8_S8_S9_S9_EESD_ST_SE_SF_SG_EUlST_E1_NS1_11comp_targetILNS1_3genE8ELNS1_11target_archE1030ELNS1_3gpuE2ELNS1_3repE0EEENS1_36merge_oddeven_config_static_selectorELNS0_4arch9wavefront6targetE0EEEvSF_.num_agpr, 0
	.set _ZN7rocprim17ROCPRIM_400000_NS6detail17trampoline_kernelINS0_14default_configENS1_38merge_sort_block_merge_config_selectorIjNS0_10empty_typeEEEZZNS1_27merge_sort_block_merge_implIS3_PjPS5_jNS1_19radix_merge_compareILb0ELb0EjNS0_19identity_decomposerEEEEE10hipError_tT0_T1_T2_jT3_P12ihipStream_tbPNSt15iterator_traitsISE_E10value_typeEPNSK_ISF_E10value_typeEPSG_NS1_7vsmem_tEENKUlT_SE_SF_SG_E_clIS8_S8_S9_S9_EESD_ST_SE_SF_SG_EUlST_E1_NS1_11comp_targetILNS1_3genE8ELNS1_11target_archE1030ELNS1_3gpuE2ELNS1_3repE0EEENS1_36merge_oddeven_config_static_selectorELNS0_4arch9wavefront6targetE0EEEvSF_.numbered_sgpr, 0
	.set _ZN7rocprim17ROCPRIM_400000_NS6detail17trampoline_kernelINS0_14default_configENS1_38merge_sort_block_merge_config_selectorIjNS0_10empty_typeEEEZZNS1_27merge_sort_block_merge_implIS3_PjPS5_jNS1_19radix_merge_compareILb0ELb0EjNS0_19identity_decomposerEEEEE10hipError_tT0_T1_T2_jT3_P12ihipStream_tbPNSt15iterator_traitsISE_E10value_typeEPNSK_ISF_E10value_typeEPSG_NS1_7vsmem_tEENKUlT_SE_SF_SG_E_clIS8_S8_S9_S9_EESD_ST_SE_SF_SG_EUlST_E1_NS1_11comp_targetILNS1_3genE8ELNS1_11target_archE1030ELNS1_3gpuE2ELNS1_3repE0EEENS1_36merge_oddeven_config_static_selectorELNS0_4arch9wavefront6targetE0EEEvSF_.num_named_barrier, 0
	.set _ZN7rocprim17ROCPRIM_400000_NS6detail17trampoline_kernelINS0_14default_configENS1_38merge_sort_block_merge_config_selectorIjNS0_10empty_typeEEEZZNS1_27merge_sort_block_merge_implIS3_PjPS5_jNS1_19radix_merge_compareILb0ELb0EjNS0_19identity_decomposerEEEEE10hipError_tT0_T1_T2_jT3_P12ihipStream_tbPNSt15iterator_traitsISE_E10value_typeEPNSK_ISF_E10value_typeEPSG_NS1_7vsmem_tEENKUlT_SE_SF_SG_E_clIS8_S8_S9_S9_EESD_ST_SE_SF_SG_EUlST_E1_NS1_11comp_targetILNS1_3genE8ELNS1_11target_archE1030ELNS1_3gpuE2ELNS1_3repE0EEENS1_36merge_oddeven_config_static_selectorELNS0_4arch9wavefront6targetE0EEEvSF_.private_seg_size, 0
	.set _ZN7rocprim17ROCPRIM_400000_NS6detail17trampoline_kernelINS0_14default_configENS1_38merge_sort_block_merge_config_selectorIjNS0_10empty_typeEEEZZNS1_27merge_sort_block_merge_implIS3_PjPS5_jNS1_19radix_merge_compareILb0ELb0EjNS0_19identity_decomposerEEEEE10hipError_tT0_T1_T2_jT3_P12ihipStream_tbPNSt15iterator_traitsISE_E10value_typeEPNSK_ISF_E10value_typeEPSG_NS1_7vsmem_tEENKUlT_SE_SF_SG_E_clIS8_S8_S9_S9_EESD_ST_SE_SF_SG_EUlST_E1_NS1_11comp_targetILNS1_3genE8ELNS1_11target_archE1030ELNS1_3gpuE2ELNS1_3repE0EEENS1_36merge_oddeven_config_static_selectorELNS0_4arch9wavefront6targetE0EEEvSF_.uses_vcc, 0
	.set _ZN7rocprim17ROCPRIM_400000_NS6detail17trampoline_kernelINS0_14default_configENS1_38merge_sort_block_merge_config_selectorIjNS0_10empty_typeEEEZZNS1_27merge_sort_block_merge_implIS3_PjPS5_jNS1_19radix_merge_compareILb0ELb0EjNS0_19identity_decomposerEEEEE10hipError_tT0_T1_T2_jT3_P12ihipStream_tbPNSt15iterator_traitsISE_E10value_typeEPNSK_ISF_E10value_typeEPSG_NS1_7vsmem_tEENKUlT_SE_SF_SG_E_clIS8_S8_S9_S9_EESD_ST_SE_SF_SG_EUlST_E1_NS1_11comp_targetILNS1_3genE8ELNS1_11target_archE1030ELNS1_3gpuE2ELNS1_3repE0EEENS1_36merge_oddeven_config_static_selectorELNS0_4arch9wavefront6targetE0EEEvSF_.uses_flat_scratch, 0
	.set _ZN7rocprim17ROCPRIM_400000_NS6detail17trampoline_kernelINS0_14default_configENS1_38merge_sort_block_merge_config_selectorIjNS0_10empty_typeEEEZZNS1_27merge_sort_block_merge_implIS3_PjPS5_jNS1_19radix_merge_compareILb0ELb0EjNS0_19identity_decomposerEEEEE10hipError_tT0_T1_T2_jT3_P12ihipStream_tbPNSt15iterator_traitsISE_E10value_typeEPNSK_ISF_E10value_typeEPSG_NS1_7vsmem_tEENKUlT_SE_SF_SG_E_clIS8_S8_S9_S9_EESD_ST_SE_SF_SG_EUlST_E1_NS1_11comp_targetILNS1_3genE8ELNS1_11target_archE1030ELNS1_3gpuE2ELNS1_3repE0EEENS1_36merge_oddeven_config_static_selectorELNS0_4arch9wavefront6targetE0EEEvSF_.has_dyn_sized_stack, 0
	.set _ZN7rocprim17ROCPRIM_400000_NS6detail17trampoline_kernelINS0_14default_configENS1_38merge_sort_block_merge_config_selectorIjNS0_10empty_typeEEEZZNS1_27merge_sort_block_merge_implIS3_PjPS5_jNS1_19radix_merge_compareILb0ELb0EjNS0_19identity_decomposerEEEEE10hipError_tT0_T1_T2_jT3_P12ihipStream_tbPNSt15iterator_traitsISE_E10value_typeEPNSK_ISF_E10value_typeEPSG_NS1_7vsmem_tEENKUlT_SE_SF_SG_E_clIS8_S8_S9_S9_EESD_ST_SE_SF_SG_EUlST_E1_NS1_11comp_targetILNS1_3genE8ELNS1_11target_archE1030ELNS1_3gpuE2ELNS1_3repE0EEENS1_36merge_oddeven_config_static_selectorELNS0_4arch9wavefront6targetE0EEEvSF_.has_recursion, 0
	.set _ZN7rocprim17ROCPRIM_400000_NS6detail17trampoline_kernelINS0_14default_configENS1_38merge_sort_block_merge_config_selectorIjNS0_10empty_typeEEEZZNS1_27merge_sort_block_merge_implIS3_PjPS5_jNS1_19radix_merge_compareILb0ELb0EjNS0_19identity_decomposerEEEEE10hipError_tT0_T1_T2_jT3_P12ihipStream_tbPNSt15iterator_traitsISE_E10value_typeEPNSK_ISF_E10value_typeEPSG_NS1_7vsmem_tEENKUlT_SE_SF_SG_E_clIS8_S8_S9_S9_EESD_ST_SE_SF_SG_EUlST_E1_NS1_11comp_targetILNS1_3genE8ELNS1_11target_archE1030ELNS1_3gpuE2ELNS1_3repE0EEENS1_36merge_oddeven_config_static_selectorELNS0_4arch9wavefront6targetE0EEEvSF_.has_indirect_call, 0
	.section	.AMDGPU.csdata,"",@progbits
; Kernel info:
; codeLenInByte = 0
; TotalNumSgprs: 0
; NumVgprs: 0
; ScratchSize: 0
; MemoryBound: 0
; FloatMode: 240
; IeeeMode: 1
; LDSByteSize: 0 bytes/workgroup (compile time only)
; SGPRBlocks: 0
; VGPRBlocks: 0
; NumSGPRsForWavesPerEU: 1
; NumVGPRsForWavesPerEU: 1
; NamedBarCnt: 0
; Occupancy: 16
; WaveLimiterHint : 0
; COMPUTE_PGM_RSRC2:SCRATCH_EN: 0
; COMPUTE_PGM_RSRC2:USER_SGPR: 2
; COMPUTE_PGM_RSRC2:TRAP_HANDLER: 0
; COMPUTE_PGM_RSRC2:TGID_X_EN: 1
; COMPUTE_PGM_RSRC2:TGID_Y_EN: 0
; COMPUTE_PGM_RSRC2:TGID_Z_EN: 0
; COMPUTE_PGM_RSRC2:TIDIG_COMP_CNT: 0
	.section	.text._ZN7rocprim17ROCPRIM_400000_NS6detail17trampoline_kernelINS0_14default_configENS1_38merge_sort_block_merge_config_selectorIjNS0_10empty_typeEEEZZNS1_27merge_sort_block_merge_implIS3_PjPS5_jNS1_19radix_merge_compareILb0ELb1EjNS0_19identity_decomposerEEEEE10hipError_tT0_T1_T2_jT3_P12ihipStream_tbPNSt15iterator_traitsISE_E10value_typeEPNSK_ISF_E10value_typeEPSG_NS1_7vsmem_tEENKUlT_SE_SF_SG_E_clIS8_S8_S9_S9_EESD_ST_SE_SF_SG_EUlST_E_NS1_11comp_targetILNS1_3genE0ELNS1_11target_archE4294967295ELNS1_3gpuE0ELNS1_3repE0EEENS1_48merge_mergepath_partition_config_static_selectorELNS0_4arch9wavefront6targetE0EEEvSF_,"axG",@progbits,_ZN7rocprim17ROCPRIM_400000_NS6detail17trampoline_kernelINS0_14default_configENS1_38merge_sort_block_merge_config_selectorIjNS0_10empty_typeEEEZZNS1_27merge_sort_block_merge_implIS3_PjPS5_jNS1_19radix_merge_compareILb0ELb1EjNS0_19identity_decomposerEEEEE10hipError_tT0_T1_T2_jT3_P12ihipStream_tbPNSt15iterator_traitsISE_E10value_typeEPNSK_ISF_E10value_typeEPSG_NS1_7vsmem_tEENKUlT_SE_SF_SG_E_clIS8_S8_S9_S9_EESD_ST_SE_SF_SG_EUlST_E_NS1_11comp_targetILNS1_3genE0ELNS1_11target_archE4294967295ELNS1_3gpuE0ELNS1_3repE0EEENS1_48merge_mergepath_partition_config_static_selectorELNS0_4arch9wavefront6targetE0EEEvSF_,comdat
	.protected	_ZN7rocprim17ROCPRIM_400000_NS6detail17trampoline_kernelINS0_14default_configENS1_38merge_sort_block_merge_config_selectorIjNS0_10empty_typeEEEZZNS1_27merge_sort_block_merge_implIS3_PjPS5_jNS1_19radix_merge_compareILb0ELb1EjNS0_19identity_decomposerEEEEE10hipError_tT0_T1_T2_jT3_P12ihipStream_tbPNSt15iterator_traitsISE_E10value_typeEPNSK_ISF_E10value_typeEPSG_NS1_7vsmem_tEENKUlT_SE_SF_SG_E_clIS8_S8_S9_S9_EESD_ST_SE_SF_SG_EUlST_E_NS1_11comp_targetILNS1_3genE0ELNS1_11target_archE4294967295ELNS1_3gpuE0ELNS1_3repE0EEENS1_48merge_mergepath_partition_config_static_selectorELNS0_4arch9wavefront6targetE0EEEvSF_ ; -- Begin function _ZN7rocprim17ROCPRIM_400000_NS6detail17trampoline_kernelINS0_14default_configENS1_38merge_sort_block_merge_config_selectorIjNS0_10empty_typeEEEZZNS1_27merge_sort_block_merge_implIS3_PjPS5_jNS1_19radix_merge_compareILb0ELb1EjNS0_19identity_decomposerEEEEE10hipError_tT0_T1_T2_jT3_P12ihipStream_tbPNSt15iterator_traitsISE_E10value_typeEPNSK_ISF_E10value_typeEPSG_NS1_7vsmem_tEENKUlT_SE_SF_SG_E_clIS8_S8_S9_S9_EESD_ST_SE_SF_SG_EUlST_E_NS1_11comp_targetILNS1_3genE0ELNS1_11target_archE4294967295ELNS1_3gpuE0ELNS1_3repE0EEENS1_48merge_mergepath_partition_config_static_selectorELNS0_4arch9wavefront6targetE0EEEvSF_
	.globl	_ZN7rocprim17ROCPRIM_400000_NS6detail17trampoline_kernelINS0_14default_configENS1_38merge_sort_block_merge_config_selectorIjNS0_10empty_typeEEEZZNS1_27merge_sort_block_merge_implIS3_PjPS5_jNS1_19radix_merge_compareILb0ELb1EjNS0_19identity_decomposerEEEEE10hipError_tT0_T1_T2_jT3_P12ihipStream_tbPNSt15iterator_traitsISE_E10value_typeEPNSK_ISF_E10value_typeEPSG_NS1_7vsmem_tEENKUlT_SE_SF_SG_E_clIS8_S8_S9_S9_EESD_ST_SE_SF_SG_EUlST_E_NS1_11comp_targetILNS1_3genE0ELNS1_11target_archE4294967295ELNS1_3gpuE0ELNS1_3repE0EEENS1_48merge_mergepath_partition_config_static_selectorELNS0_4arch9wavefront6targetE0EEEvSF_
	.p2align	8
	.type	_ZN7rocprim17ROCPRIM_400000_NS6detail17trampoline_kernelINS0_14default_configENS1_38merge_sort_block_merge_config_selectorIjNS0_10empty_typeEEEZZNS1_27merge_sort_block_merge_implIS3_PjPS5_jNS1_19radix_merge_compareILb0ELb1EjNS0_19identity_decomposerEEEEE10hipError_tT0_T1_T2_jT3_P12ihipStream_tbPNSt15iterator_traitsISE_E10value_typeEPNSK_ISF_E10value_typeEPSG_NS1_7vsmem_tEENKUlT_SE_SF_SG_E_clIS8_S8_S9_S9_EESD_ST_SE_SF_SG_EUlST_E_NS1_11comp_targetILNS1_3genE0ELNS1_11target_archE4294967295ELNS1_3gpuE0ELNS1_3repE0EEENS1_48merge_mergepath_partition_config_static_selectorELNS0_4arch9wavefront6targetE0EEEvSF_,@function
_ZN7rocprim17ROCPRIM_400000_NS6detail17trampoline_kernelINS0_14default_configENS1_38merge_sort_block_merge_config_selectorIjNS0_10empty_typeEEEZZNS1_27merge_sort_block_merge_implIS3_PjPS5_jNS1_19radix_merge_compareILb0ELb1EjNS0_19identity_decomposerEEEEE10hipError_tT0_T1_T2_jT3_P12ihipStream_tbPNSt15iterator_traitsISE_E10value_typeEPNSK_ISF_E10value_typeEPSG_NS1_7vsmem_tEENKUlT_SE_SF_SG_E_clIS8_S8_S9_S9_EESD_ST_SE_SF_SG_EUlST_E_NS1_11comp_targetILNS1_3genE0ELNS1_11target_archE4294967295ELNS1_3gpuE0ELNS1_3repE0EEENS1_48merge_mergepath_partition_config_static_selectorELNS0_4arch9wavefront6targetE0EEEvSF_: ; @_ZN7rocprim17ROCPRIM_400000_NS6detail17trampoline_kernelINS0_14default_configENS1_38merge_sort_block_merge_config_selectorIjNS0_10empty_typeEEEZZNS1_27merge_sort_block_merge_implIS3_PjPS5_jNS1_19radix_merge_compareILb0ELb1EjNS0_19identity_decomposerEEEEE10hipError_tT0_T1_T2_jT3_P12ihipStream_tbPNSt15iterator_traitsISE_E10value_typeEPNSK_ISF_E10value_typeEPSG_NS1_7vsmem_tEENKUlT_SE_SF_SG_E_clIS8_S8_S9_S9_EESD_ST_SE_SF_SG_EUlST_E_NS1_11comp_targetILNS1_3genE0ELNS1_11target_archE4294967295ELNS1_3gpuE0ELNS1_3repE0EEENS1_48merge_mergepath_partition_config_static_selectorELNS0_4arch9wavefront6targetE0EEEvSF_
; %bb.0:
	s_load_b32 s2, s[0:1], 0x0
	s_bfe_u32 s3, ttmp6, 0x4000c
	s_and_b32 s4, ttmp6, 15
	s_add_co_i32 s3, s3, 1
	s_getreg_b32 s5, hwreg(HW_REG_IB_STS2, 6, 4)
	s_mul_i32 s3, ttmp9, s3
	s_delay_alu instid0(SALU_CYCLE_1) | instskip(SKIP_2) | instid1(SALU_CYCLE_1)
	s_add_co_i32 s4, s4, s3
	s_cmp_eq_u32 s5, 0
	s_cselect_b32 s3, ttmp9, s4
	v_lshl_or_b32 v8, s3, 7, v0
	s_wait_kmcnt 0x0
	s_delay_alu instid0(VALU_DEP_1)
	v_cmp_gt_u32_e32 vcc_lo, s2, v8
	s_and_saveexec_b32 s2, vcc_lo
	s_cbranch_execz .LBB2702_6
; %bb.1:
	s_load_b64 s[2:3], s[0:1], 0x4
	s_mov_b32 s7, exec_lo
	s_wait_kmcnt 0x0
	s_lshr_b32 s4, s2, 9
	s_delay_alu instid0(SALU_CYCLE_1) | instskip(NEXT) | instid1(SALU_CYCLE_1)
	s_and_b32 s4, s4, 0x7ffffe
	s_sub_co_i32 s5, 0, s4
	s_add_co_i32 s4, s4, -1
	s_delay_alu instid0(SALU_CYCLE_1) | instskip(NEXT) | instid1(VALU_DEP_1)
	v_and_b32_e32 v1, s4, v8
	v_dual_lshlrev_b32 v1, 10, v1 :: v_dual_bitop2_b32 v0, s5, v8 bitop3:0x40
	s_delay_alu instid0(VALU_DEP_1) | instskip(NEXT) | instid1(VALU_DEP_1)
	v_lshlrev_b32_e32 v0, 10, v0
	v_add_min_u32_e64 v2, v0, s2, s3
	v_min_u32_e32 v0, s3, v0
	s_delay_alu instid0(VALU_DEP_2) | instskip(SKIP_1) | instid1(VALU_DEP_1)
	v_add_min_u32_e64 v3, v2, s2, s3
	s_load_b64 s[2:3], s[0:1], 0x20
	v_dual_sub_nc_u32 v4, v3, v0 :: v_dual_sub_nc_u32 v3, v3, v2
	s_delay_alu instid0(VALU_DEP_1) | instskip(SKIP_1) | instid1(VALU_DEP_2)
	v_min_u32_e32 v10, v4, v1
	v_sub_nc_u32_e32 v1, v2, v0
	v_sub_nc_u32_e64 v9, v10, v3 clamp
	s_delay_alu instid0(VALU_DEP_2) | instskip(NEXT) | instid1(VALU_DEP_1)
	v_min_u32_e32 v11, v10, v1
	v_cmpx_lt_u32_e64 v9, v11
	s_cbranch_execz .LBB2702_5
; %bb.2:
	s_load_b96 s[4:6], s[0:1], 0x10
	v_mov_b32_e32 v3, 0
	s_wait_xcnt 0x0
	s_mov_b32 s0, 0
	s_delay_alu instid0(VALU_DEP_1) | instskip(SKIP_1) | instid1(VALU_DEP_1)
	v_mov_b32_e32 v1, v3
	s_wait_kmcnt 0x0
	v_lshl_add_u64 v[4:5], v[0:1], 2, s[4:5]
	v_lshl_add_u64 v[6:7], v[2:3], 2, s[4:5]
.LBB2702_3:                             ; =>This Inner Loop Header: Depth=1
	v_add_nc_u32_e32 v1, v11, v9
	s_delay_alu instid0(VALU_DEP_1) | instskip(NEXT) | instid1(VALU_DEP_1)
	v_dual_mov_b32 v13, v3 :: v_dual_lshrrev_b32 v2, 1, v1
	v_xad_u32 v12, v2, -1, v10
	v_lshl_add_u64 v[14:15], v[2:3], 2, v[4:5]
	s_delay_alu instid0(VALU_DEP_2)
	v_lshl_add_u64 v[12:13], v[12:13], 2, v[6:7]
	s_clause 0x1
	global_load_b32 v1, v[14:15], off
	global_load_b32 v16, v[12:13], off
	s_wait_loadcnt 0x1
	s_wait_xcnt 0x0
	v_dual_add_nc_u32 v13, 1, v2 :: v_dual_bitop2_b32 v1, s6, v1 bitop3:0x40
	s_wait_loadcnt 0x0
	v_and_b32_e32 v12, s6, v16
	s_delay_alu instid0(VALU_DEP_1) | instskip(NEXT) | instid1(VALU_DEP_3)
	v_cmp_gt_u32_e32 vcc_lo, v1, v12
	v_dual_cndmask_b32 v11, v11, v2, vcc_lo :: v_dual_cndmask_b32 v9, v13, v9, vcc_lo
	s_delay_alu instid0(VALU_DEP_1) | instskip(SKIP_1) | instid1(SALU_CYCLE_1)
	v_cmp_ge_u32_e32 vcc_lo, v9, v11
	s_or_b32 s0, vcc_lo, s0
	s_and_not1_b32 exec_lo, exec_lo, s0
	s_cbranch_execnz .LBB2702_3
; %bb.4:
	s_or_b32 exec_lo, exec_lo, s0
.LBB2702_5:
	s_delay_alu instid0(SALU_CYCLE_1)
	s_or_b32 exec_lo, exec_lo, s7
	v_add_nc_u32_e32 v0, v9, v0
	s_wait_kmcnt 0x0
	global_store_b32 v8, v0, s[2:3] scale_offset
.LBB2702_6:
	s_endpgm
	.section	.rodata,"a",@progbits
	.p2align	6, 0x0
	.amdhsa_kernel _ZN7rocprim17ROCPRIM_400000_NS6detail17trampoline_kernelINS0_14default_configENS1_38merge_sort_block_merge_config_selectorIjNS0_10empty_typeEEEZZNS1_27merge_sort_block_merge_implIS3_PjPS5_jNS1_19radix_merge_compareILb0ELb1EjNS0_19identity_decomposerEEEEE10hipError_tT0_T1_T2_jT3_P12ihipStream_tbPNSt15iterator_traitsISE_E10value_typeEPNSK_ISF_E10value_typeEPSG_NS1_7vsmem_tEENKUlT_SE_SF_SG_E_clIS8_S8_S9_S9_EESD_ST_SE_SF_SG_EUlST_E_NS1_11comp_targetILNS1_3genE0ELNS1_11target_archE4294967295ELNS1_3gpuE0ELNS1_3repE0EEENS1_48merge_mergepath_partition_config_static_selectorELNS0_4arch9wavefront6targetE0EEEvSF_
		.amdhsa_group_segment_fixed_size 0
		.amdhsa_private_segment_fixed_size 0
		.amdhsa_kernarg_size 40
		.amdhsa_user_sgpr_count 2
		.amdhsa_user_sgpr_dispatch_ptr 0
		.amdhsa_user_sgpr_queue_ptr 0
		.amdhsa_user_sgpr_kernarg_segment_ptr 1
		.amdhsa_user_sgpr_dispatch_id 0
		.amdhsa_user_sgpr_kernarg_preload_length 0
		.amdhsa_user_sgpr_kernarg_preload_offset 0
		.amdhsa_user_sgpr_private_segment_size 0
		.amdhsa_wavefront_size32 1
		.amdhsa_uses_dynamic_stack 0
		.amdhsa_enable_private_segment 0
		.amdhsa_system_sgpr_workgroup_id_x 1
		.amdhsa_system_sgpr_workgroup_id_y 0
		.amdhsa_system_sgpr_workgroup_id_z 0
		.amdhsa_system_sgpr_workgroup_info 0
		.amdhsa_system_vgpr_workitem_id 0
		.amdhsa_next_free_vgpr 17
		.amdhsa_next_free_sgpr 8
		.amdhsa_named_barrier_count 0
		.amdhsa_reserve_vcc 1
		.amdhsa_float_round_mode_32 0
		.amdhsa_float_round_mode_16_64 0
		.amdhsa_float_denorm_mode_32 3
		.amdhsa_float_denorm_mode_16_64 3
		.amdhsa_fp16_overflow 0
		.amdhsa_memory_ordered 1
		.amdhsa_forward_progress 1
		.amdhsa_inst_pref_size 4
		.amdhsa_round_robin_scheduling 0
		.amdhsa_exception_fp_ieee_invalid_op 0
		.amdhsa_exception_fp_denorm_src 0
		.amdhsa_exception_fp_ieee_div_zero 0
		.amdhsa_exception_fp_ieee_overflow 0
		.amdhsa_exception_fp_ieee_underflow 0
		.amdhsa_exception_fp_ieee_inexact 0
		.amdhsa_exception_int_div_zero 0
	.end_amdhsa_kernel
	.section	.text._ZN7rocprim17ROCPRIM_400000_NS6detail17trampoline_kernelINS0_14default_configENS1_38merge_sort_block_merge_config_selectorIjNS0_10empty_typeEEEZZNS1_27merge_sort_block_merge_implIS3_PjPS5_jNS1_19radix_merge_compareILb0ELb1EjNS0_19identity_decomposerEEEEE10hipError_tT0_T1_T2_jT3_P12ihipStream_tbPNSt15iterator_traitsISE_E10value_typeEPNSK_ISF_E10value_typeEPSG_NS1_7vsmem_tEENKUlT_SE_SF_SG_E_clIS8_S8_S9_S9_EESD_ST_SE_SF_SG_EUlST_E_NS1_11comp_targetILNS1_3genE0ELNS1_11target_archE4294967295ELNS1_3gpuE0ELNS1_3repE0EEENS1_48merge_mergepath_partition_config_static_selectorELNS0_4arch9wavefront6targetE0EEEvSF_,"axG",@progbits,_ZN7rocprim17ROCPRIM_400000_NS6detail17trampoline_kernelINS0_14default_configENS1_38merge_sort_block_merge_config_selectorIjNS0_10empty_typeEEEZZNS1_27merge_sort_block_merge_implIS3_PjPS5_jNS1_19radix_merge_compareILb0ELb1EjNS0_19identity_decomposerEEEEE10hipError_tT0_T1_T2_jT3_P12ihipStream_tbPNSt15iterator_traitsISE_E10value_typeEPNSK_ISF_E10value_typeEPSG_NS1_7vsmem_tEENKUlT_SE_SF_SG_E_clIS8_S8_S9_S9_EESD_ST_SE_SF_SG_EUlST_E_NS1_11comp_targetILNS1_3genE0ELNS1_11target_archE4294967295ELNS1_3gpuE0ELNS1_3repE0EEENS1_48merge_mergepath_partition_config_static_selectorELNS0_4arch9wavefront6targetE0EEEvSF_,comdat
.Lfunc_end2702:
	.size	_ZN7rocprim17ROCPRIM_400000_NS6detail17trampoline_kernelINS0_14default_configENS1_38merge_sort_block_merge_config_selectorIjNS0_10empty_typeEEEZZNS1_27merge_sort_block_merge_implIS3_PjPS5_jNS1_19radix_merge_compareILb0ELb1EjNS0_19identity_decomposerEEEEE10hipError_tT0_T1_T2_jT3_P12ihipStream_tbPNSt15iterator_traitsISE_E10value_typeEPNSK_ISF_E10value_typeEPSG_NS1_7vsmem_tEENKUlT_SE_SF_SG_E_clIS8_S8_S9_S9_EESD_ST_SE_SF_SG_EUlST_E_NS1_11comp_targetILNS1_3genE0ELNS1_11target_archE4294967295ELNS1_3gpuE0ELNS1_3repE0EEENS1_48merge_mergepath_partition_config_static_selectorELNS0_4arch9wavefront6targetE0EEEvSF_, .Lfunc_end2702-_ZN7rocprim17ROCPRIM_400000_NS6detail17trampoline_kernelINS0_14default_configENS1_38merge_sort_block_merge_config_selectorIjNS0_10empty_typeEEEZZNS1_27merge_sort_block_merge_implIS3_PjPS5_jNS1_19radix_merge_compareILb0ELb1EjNS0_19identity_decomposerEEEEE10hipError_tT0_T1_T2_jT3_P12ihipStream_tbPNSt15iterator_traitsISE_E10value_typeEPNSK_ISF_E10value_typeEPSG_NS1_7vsmem_tEENKUlT_SE_SF_SG_E_clIS8_S8_S9_S9_EESD_ST_SE_SF_SG_EUlST_E_NS1_11comp_targetILNS1_3genE0ELNS1_11target_archE4294967295ELNS1_3gpuE0ELNS1_3repE0EEENS1_48merge_mergepath_partition_config_static_selectorELNS0_4arch9wavefront6targetE0EEEvSF_
                                        ; -- End function
	.set _ZN7rocprim17ROCPRIM_400000_NS6detail17trampoline_kernelINS0_14default_configENS1_38merge_sort_block_merge_config_selectorIjNS0_10empty_typeEEEZZNS1_27merge_sort_block_merge_implIS3_PjPS5_jNS1_19radix_merge_compareILb0ELb1EjNS0_19identity_decomposerEEEEE10hipError_tT0_T1_T2_jT3_P12ihipStream_tbPNSt15iterator_traitsISE_E10value_typeEPNSK_ISF_E10value_typeEPSG_NS1_7vsmem_tEENKUlT_SE_SF_SG_E_clIS8_S8_S9_S9_EESD_ST_SE_SF_SG_EUlST_E_NS1_11comp_targetILNS1_3genE0ELNS1_11target_archE4294967295ELNS1_3gpuE0ELNS1_3repE0EEENS1_48merge_mergepath_partition_config_static_selectorELNS0_4arch9wavefront6targetE0EEEvSF_.num_vgpr, 17
	.set _ZN7rocprim17ROCPRIM_400000_NS6detail17trampoline_kernelINS0_14default_configENS1_38merge_sort_block_merge_config_selectorIjNS0_10empty_typeEEEZZNS1_27merge_sort_block_merge_implIS3_PjPS5_jNS1_19radix_merge_compareILb0ELb1EjNS0_19identity_decomposerEEEEE10hipError_tT0_T1_T2_jT3_P12ihipStream_tbPNSt15iterator_traitsISE_E10value_typeEPNSK_ISF_E10value_typeEPSG_NS1_7vsmem_tEENKUlT_SE_SF_SG_E_clIS8_S8_S9_S9_EESD_ST_SE_SF_SG_EUlST_E_NS1_11comp_targetILNS1_3genE0ELNS1_11target_archE4294967295ELNS1_3gpuE0ELNS1_3repE0EEENS1_48merge_mergepath_partition_config_static_selectorELNS0_4arch9wavefront6targetE0EEEvSF_.num_agpr, 0
	.set _ZN7rocprim17ROCPRIM_400000_NS6detail17trampoline_kernelINS0_14default_configENS1_38merge_sort_block_merge_config_selectorIjNS0_10empty_typeEEEZZNS1_27merge_sort_block_merge_implIS3_PjPS5_jNS1_19radix_merge_compareILb0ELb1EjNS0_19identity_decomposerEEEEE10hipError_tT0_T1_T2_jT3_P12ihipStream_tbPNSt15iterator_traitsISE_E10value_typeEPNSK_ISF_E10value_typeEPSG_NS1_7vsmem_tEENKUlT_SE_SF_SG_E_clIS8_S8_S9_S9_EESD_ST_SE_SF_SG_EUlST_E_NS1_11comp_targetILNS1_3genE0ELNS1_11target_archE4294967295ELNS1_3gpuE0ELNS1_3repE0EEENS1_48merge_mergepath_partition_config_static_selectorELNS0_4arch9wavefront6targetE0EEEvSF_.numbered_sgpr, 8
	.set _ZN7rocprim17ROCPRIM_400000_NS6detail17trampoline_kernelINS0_14default_configENS1_38merge_sort_block_merge_config_selectorIjNS0_10empty_typeEEEZZNS1_27merge_sort_block_merge_implIS3_PjPS5_jNS1_19radix_merge_compareILb0ELb1EjNS0_19identity_decomposerEEEEE10hipError_tT0_T1_T2_jT3_P12ihipStream_tbPNSt15iterator_traitsISE_E10value_typeEPNSK_ISF_E10value_typeEPSG_NS1_7vsmem_tEENKUlT_SE_SF_SG_E_clIS8_S8_S9_S9_EESD_ST_SE_SF_SG_EUlST_E_NS1_11comp_targetILNS1_3genE0ELNS1_11target_archE4294967295ELNS1_3gpuE0ELNS1_3repE0EEENS1_48merge_mergepath_partition_config_static_selectorELNS0_4arch9wavefront6targetE0EEEvSF_.num_named_barrier, 0
	.set _ZN7rocprim17ROCPRIM_400000_NS6detail17trampoline_kernelINS0_14default_configENS1_38merge_sort_block_merge_config_selectorIjNS0_10empty_typeEEEZZNS1_27merge_sort_block_merge_implIS3_PjPS5_jNS1_19radix_merge_compareILb0ELb1EjNS0_19identity_decomposerEEEEE10hipError_tT0_T1_T2_jT3_P12ihipStream_tbPNSt15iterator_traitsISE_E10value_typeEPNSK_ISF_E10value_typeEPSG_NS1_7vsmem_tEENKUlT_SE_SF_SG_E_clIS8_S8_S9_S9_EESD_ST_SE_SF_SG_EUlST_E_NS1_11comp_targetILNS1_3genE0ELNS1_11target_archE4294967295ELNS1_3gpuE0ELNS1_3repE0EEENS1_48merge_mergepath_partition_config_static_selectorELNS0_4arch9wavefront6targetE0EEEvSF_.private_seg_size, 0
	.set _ZN7rocprim17ROCPRIM_400000_NS6detail17trampoline_kernelINS0_14default_configENS1_38merge_sort_block_merge_config_selectorIjNS0_10empty_typeEEEZZNS1_27merge_sort_block_merge_implIS3_PjPS5_jNS1_19radix_merge_compareILb0ELb1EjNS0_19identity_decomposerEEEEE10hipError_tT0_T1_T2_jT3_P12ihipStream_tbPNSt15iterator_traitsISE_E10value_typeEPNSK_ISF_E10value_typeEPSG_NS1_7vsmem_tEENKUlT_SE_SF_SG_E_clIS8_S8_S9_S9_EESD_ST_SE_SF_SG_EUlST_E_NS1_11comp_targetILNS1_3genE0ELNS1_11target_archE4294967295ELNS1_3gpuE0ELNS1_3repE0EEENS1_48merge_mergepath_partition_config_static_selectorELNS0_4arch9wavefront6targetE0EEEvSF_.uses_vcc, 1
	.set _ZN7rocprim17ROCPRIM_400000_NS6detail17trampoline_kernelINS0_14default_configENS1_38merge_sort_block_merge_config_selectorIjNS0_10empty_typeEEEZZNS1_27merge_sort_block_merge_implIS3_PjPS5_jNS1_19radix_merge_compareILb0ELb1EjNS0_19identity_decomposerEEEEE10hipError_tT0_T1_T2_jT3_P12ihipStream_tbPNSt15iterator_traitsISE_E10value_typeEPNSK_ISF_E10value_typeEPSG_NS1_7vsmem_tEENKUlT_SE_SF_SG_E_clIS8_S8_S9_S9_EESD_ST_SE_SF_SG_EUlST_E_NS1_11comp_targetILNS1_3genE0ELNS1_11target_archE4294967295ELNS1_3gpuE0ELNS1_3repE0EEENS1_48merge_mergepath_partition_config_static_selectorELNS0_4arch9wavefront6targetE0EEEvSF_.uses_flat_scratch, 0
	.set _ZN7rocprim17ROCPRIM_400000_NS6detail17trampoline_kernelINS0_14default_configENS1_38merge_sort_block_merge_config_selectorIjNS0_10empty_typeEEEZZNS1_27merge_sort_block_merge_implIS3_PjPS5_jNS1_19radix_merge_compareILb0ELb1EjNS0_19identity_decomposerEEEEE10hipError_tT0_T1_T2_jT3_P12ihipStream_tbPNSt15iterator_traitsISE_E10value_typeEPNSK_ISF_E10value_typeEPSG_NS1_7vsmem_tEENKUlT_SE_SF_SG_E_clIS8_S8_S9_S9_EESD_ST_SE_SF_SG_EUlST_E_NS1_11comp_targetILNS1_3genE0ELNS1_11target_archE4294967295ELNS1_3gpuE0ELNS1_3repE0EEENS1_48merge_mergepath_partition_config_static_selectorELNS0_4arch9wavefront6targetE0EEEvSF_.has_dyn_sized_stack, 0
	.set _ZN7rocprim17ROCPRIM_400000_NS6detail17trampoline_kernelINS0_14default_configENS1_38merge_sort_block_merge_config_selectorIjNS0_10empty_typeEEEZZNS1_27merge_sort_block_merge_implIS3_PjPS5_jNS1_19radix_merge_compareILb0ELb1EjNS0_19identity_decomposerEEEEE10hipError_tT0_T1_T2_jT3_P12ihipStream_tbPNSt15iterator_traitsISE_E10value_typeEPNSK_ISF_E10value_typeEPSG_NS1_7vsmem_tEENKUlT_SE_SF_SG_E_clIS8_S8_S9_S9_EESD_ST_SE_SF_SG_EUlST_E_NS1_11comp_targetILNS1_3genE0ELNS1_11target_archE4294967295ELNS1_3gpuE0ELNS1_3repE0EEENS1_48merge_mergepath_partition_config_static_selectorELNS0_4arch9wavefront6targetE0EEEvSF_.has_recursion, 0
	.set _ZN7rocprim17ROCPRIM_400000_NS6detail17trampoline_kernelINS0_14default_configENS1_38merge_sort_block_merge_config_selectorIjNS0_10empty_typeEEEZZNS1_27merge_sort_block_merge_implIS3_PjPS5_jNS1_19radix_merge_compareILb0ELb1EjNS0_19identity_decomposerEEEEE10hipError_tT0_T1_T2_jT3_P12ihipStream_tbPNSt15iterator_traitsISE_E10value_typeEPNSK_ISF_E10value_typeEPSG_NS1_7vsmem_tEENKUlT_SE_SF_SG_E_clIS8_S8_S9_S9_EESD_ST_SE_SF_SG_EUlST_E_NS1_11comp_targetILNS1_3genE0ELNS1_11target_archE4294967295ELNS1_3gpuE0ELNS1_3repE0EEENS1_48merge_mergepath_partition_config_static_selectorELNS0_4arch9wavefront6targetE0EEEvSF_.has_indirect_call, 0
	.section	.AMDGPU.csdata,"",@progbits
; Kernel info:
; codeLenInByte = 452
; TotalNumSgprs: 10
; NumVgprs: 17
; ScratchSize: 0
; MemoryBound: 0
; FloatMode: 240
; IeeeMode: 1
; LDSByteSize: 0 bytes/workgroup (compile time only)
; SGPRBlocks: 0
; VGPRBlocks: 1
; NumSGPRsForWavesPerEU: 10
; NumVGPRsForWavesPerEU: 17
; NamedBarCnt: 0
; Occupancy: 16
; WaveLimiterHint : 0
; COMPUTE_PGM_RSRC2:SCRATCH_EN: 0
; COMPUTE_PGM_RSRC2:USER_SGPR: 2
; COMPUTE_PGM_RSRC2:TRAP_HANDLER: 0
; COMPUTE_PGM_RSRC2:TGID_X_EN: 1
; COMPUTE_PGM_RSRC2:TGID_Y_EN: 0
; COMPUTE_PGM_RSRC2:TGID_Z_EN: 0
; COMPUTE_PGM_RSRC2:TIDIG_COMP_CNT: 0
	.section	.text._ZN7rocprim17ROCPRIM_400000_NS6detail17trampoline_kernelINS0_14default_configENS1_38merge_sort_block_merge_config_selectorIjNS0_10empty_typeEEEZZNS1_27merge_sort_block_merge_implIS3_PjPS5_jNS1_19radix_merge_compareILb0ELb1EjNS0_19identity_decomposerEEEEE10hipError_tT0_T1_T2_jT3_P12ihipStream_tbPNSt15iterator_traitsISE_E10value_typeEPNSK_ISF_E10value_typeEPSG_NS1_7vsmem_tEENKUlT_SE_SF_SG_E_clIS8_S8_S9_S9_EESD_ST_SE_SF_SG_EUlST_E_NS1_11comp_targetILNS1_3genE10ELNS1_11target_archE1201ELNS1_3gpuE5ELNS1_3repE0EEENS1_48merge_mergepath_partition_config_static_selectorELNS0_4arch9wavefront6targetE0EEEvSF_,"axG",@progbits,_ZN7rocprim17ROCPRIM_400000_NS6detail17trampoline_kernelINS0_14default_configENS1_38merge_sort_block_merge_config_selectorIjNS0_10empty_typeEEEZZNS1_27merge_sort_block_merge_implIS3_PjPS5_jNS1_19radix_merge_compareILb0ELb1EjNS0_19identity_decomposerEEEEE10hipError_tT0_T1_T2_jT3_P12ihipStream_tbPNSt15iterator_traitsISE_E10value_typeEPNSK_ISF_E10value_typeEPSG_NS1_7vsmem_tEENKUlT_SE_SF_SG_E_clIS8_S8_S9_S9_EESD_ST_SE_SF_SG_EUlST_E_NS1_11comp_targetILNS1_3genE10ELNS1_11target_archE1201ELNS1_3gpuE5ELNS1_3repE0EEENS1_48merge_mergepath_partition_config_static_selectorELNS0_4arch9wavefront6targetE0EEEvSF_,comdat
	.protected	_ZN7rocprim17ROCPRIM_400000_NS6detail17trampoline_kernelINS0_14default_configENS1_38merge_sort_block_merge_config_selectorIjNS0_10empty_typeEEEZZNS1_27merge_sort_block_merge_implIS3_PjPS5_jNS1_19radix_merge_compareILb0ELb1EjNS0_19identity_decomposerEEEEE10hipError_tT0_T1_T2_jT3_P12ihipStream_tbPNSt15iterator_traitsISE_E10value_typeEPNSK_ISF_E10value_typeEPSG_NS1_7vsmem_tEENKUlT_SE_SF_SG_E_clIS8_S8_S9_S9_EESD_ST_SE_SF_SG_EUlST_E_NS1_11comp_targetILNS1_3genE10ELNS1_11target_archE1201ELNS1_3gpuE5ELNS1_3repE0EEENS1_48merge_mergepath_partition_config_static_selectorELNS0_4arch9wavefront6targetE0EEEvSF_ ; -- Begin function _ZN7rocprim17ROCPRIM_400000_NS6detail17trampoline_kernelINS0_14default_configENS1_38merge_sort_block_merge_config_selectorIjNS0_10empty_typeEEEZZNS1_27merge_sort_block_merge_implIS3_PjPS5_jNS1_19radix_merge_compareILb0ELb1EjNS0_19identity_decomposerEEEEE10hipError_tT0_T1_T2_jT3_P12ihipStream_tbPNSt15iterator_traitsISE_E10value_typeEPNSK_ISF_E10value_typeEPSG_NS1_7vsmem_tEENKUlT_SE_SF_SG_E_clIS8_S8_S9_S9_EESD_ST_SE_SF_SG_EUlST_E_NS1_11comp_targetILNS1_3genE10ELNS1_11target_archE1201ELNS1_3gpuE5ELNS1_3repE0EEENS1_48merge_mergepath_partition_config_static_selectorELNS0_4arch9wavefront6targetE0EEEvSF_
	.globl	_ZN7rocprim17ROCPRIM_400000_NS6detail17trampoline_kernelINS0_14default_configENS1_38merge_sort_block_merge_config_selectorIjNS0_10empty_typeEEEZZNS1_27merge_sort_block_merge_implIS3_PjPS5_jNS1_19radix_merge_compareILb0ELb1EjNS0_19identity_decomposerEEEEE10hipError_tT0_T1_T2_jT3_P12ihipStream_tbPNSt15iterator_traitsISE_E10value_typeEPNSK_ISF_E10value_typeEPSG_NS1_7vsmem_tEENKUlT_SE_SF_SG_E_clIS8_S8_S9_S9_EESD_ST_SE_SF_SG_EUlST_E_NS1_11comp_targetILNS1_3genE10ELNS1_11target_archE1201ELNS1_3gpuE5ELNS1_3repE0EEENS1_48merge_mergepath_partition_config_static_selectorELNS0_4arch9wavefront6targetE0EEEvSF_
	.p2align	8
	.type	_ZN7rocprim17ROCPRIM_400000_NS6detail17trampoline_kernelINS0_14default_configENS1_38merge_sort_block_merge_config_selectorIjNS0_10empty_typeEEEZZNS1_27merge_sort_block_merge_implIS3_PjPS5_jNS1_19radix_merge_compareILb0ELb1EjNS0_19identity_decomposerEEEEE10hipError_tT0_T1_T2_jT3_P12ihipStream_tbPNSt15iterator_traitsISE_E10value_typeEPNSK_ISF_E10value_typeEPSG_NS1_7vsmem_tEENKUlT_SE_SF_SG_E_clIS8_S8_S9_S9_EESD_ST_SE_SF_SG_EUlST_E_NS1_11comp_targetILNS1_3genE10ELNS1_11target_archE1201ELNS1_3gpuE5ELNS1_3repE0EEENS1_48merge_mergepath_partition_config_static_selectorELNS0_4arch9wavefront6targetE0EEEvSF_,@function
_ZN7rocprim17ROCPRIM_400000_NS6detail17trampoline_kernelINS0_14default_configENS1_38merge_sort_block_merge_config_selectorIjNS0_10empty_typeEEEZZNS1_27merge_sort_block_merge_implIS3_PjPS5_jNS1_19radix_merge_compareILb0ELb1EjNS0_19identity_decomposerEEEEE10hipError_tT0_T1_T2_jT3_P12ihipStream_tbPNSt15iterator_traitsISE_E10value_typeEPNSK_ISF_E10value_typeEPSG_NS1_7vsmem_tEENKUlT_SE_SF_SG_E_clIS8_S8_S9_S9_EESD_ST_SE_SF_SG_EUlST_E_NS1_11comp_targetILNS1_3genE10ELNS1_11target_archE1201ELNS1_3gpuE5ELNS1_3repE0EEENS1_48merge_mergepath_partition_config_static_selectorELNS0_4arch9wavefront6targetE0EEEvSF_: ; @_ZN7rocprim17ROCPRIM_400000_NS6detail17trampoline_kernelINS0_14default_configENS1_38merge_sort_block_merge_config_selectorIjNS0_10empty_typeEEEZZNS1_27merge_sort_block_merge_implIS3_PjPS5_jNS1_19radix_merge_compareILb0ELb1EjNS0_19identity_decomposerEEEEE10hipError_tT0_T1_T2_jT3_P12ihipStream_tbPNSt15iterator_traitsISE_E10value_typeEPNSK_ISF_E10value_typeEPSG_NS1_7vsmem_tEENKUlT_SE_SF_SG_E_clIS8_S8_S9_S9_EESD_ST_SE_SF_SG_EUlST_E_NS1_11comp_targetILNS1_3genE10ELNS1_11target_archE1201ELNS1_3gpuE5ELNS1_3repE0EEENS1_48merge_mergepath_partition_config_static_selectorELNS0_4arch9wavefront6targetE0EEEvSF_
; %bb.0:
	.section	.rodata,"a",@progbits
	.p2align	6, 0x0
	.amdhsa_kernel _ZN7rocprim17ROCPRIM_400000_NS6detail17trampoline_kernelINS0_14default_configENS1_38merge_sort_block_merge_config_selectorIjNS0_10empty_typeEEEZZNS1_27merge_sort_block_merge_implIS3_PjPS5_jNS1_19radix_merge_compareILb0ELb1EjNS0_19identity_decomposerEEEEE10hipError_tT0_T1_T2_jT3_P12ihipStream_tbPNSt15iterator_traitsISE_E10value_typeEPNSK_ISF_E10value_typeEPSG_NS1_7vsmem_tEENKUlT_SE_SF_SG_E_clIS8_S8_S9_S9_EESD_ST_SE_SF_SG_EUlST_E_NS1_11comp_targetILNS1_3genE10ELNS1_11target_archE1201ELNS1_3gpuE5ELNS1_3repE0EEENS1_48merge_mergepath_partition_config_static_selectorELNS0_4arch9wavefront6targetE0EEEvSF_
		.amdhsa_group_segment_fixed_size 0
		.amdhsa_private_segment_fixed_size 0
		.amdhsa_kernarg_size 40
		.amdhsa_user_sgpr_count 2
		.amdhsa_user_sgpr_dispatch_ptr 0
		.amdhsa_user_sgpr_queue_ptr 0
		.amdhsa_user_sgpr_kernarg_segment_ptr 1
		.amdhsa_user_sgpr_dispatch_id 0
		.amdhsa_user_sgpr_kernarg_preload_length 0
		.amdhsa_user_sgpr_kernarg_preload_offset 0
		.amdhsa_user_sgpr_private_segment_size 0
		.amdhsa_wavefront_size32 1
		.amdhsa_uses_dynamic_stack 0
		.amdhsa_enable_private_segment 0
		.amdhsa_system_sgpr_workgroup_id_x 1
		.amdhsa_system_sgpr_workgroup_id_y 0
		.amdhsa_system_sgpr_workgroup_id_z 0
		.amdhsa_system_sgpr_workgroup_info 0
		.amdhsa_system_vgpr_workitem_id 0
		.amdhsa_next_free_vgpr 1
		.amdhsa_next_free_sgpr 1
		.amdhsa_named_barrier_count 0
		.amdhsa_reserve_vcc 0
		.amdhsa_float_round_mode_32 0
		.amdhsa_float_round_mode_16_64 0
		.amdhsa_float_denorm_mode_32 3
		.amdhsa_float_denorm_mode_16_64 3
		.amdhsa_fp16_overflow 0
		.amdhsa_memory_ordered 1
		.amdhsa_forward_progress 1
		.amdhsa_inst_pref_size 0
		.amdhsa_round_robin_scheduling 0
		.amdhsa_exception_fp_ieee_invalid_op 0
		.amdhsa_exception_fp_denorm_src 0
		.amdhsa_exception_fp_ieee_div_zero 0
		.amdhsa_exception_fp_ieee_overflow 0
		.amdhsa_exception_fp_ieee_underflow 0
		.amdhsa_exception_fp_ieee_inexact 0
		.amdhsa_exception_int_div_zero 0
	.end_amdhsa_kernel
	.section	.text._ZN7rocprim17ROCPRIM_400000_NS6detail17trampoline_kernelINS0_14default_configENS1_38merge_sort_block_merge_config_selectorIjNS0_10empty_typeEEEZZNS1_27merge_sort_block_merge_implIS3_PjPS5_jNS1_19radix_merge_compareILb0ELb1EjNS0_19identity_decomposerEEEEE10hipError_tT0_T1_T2_jT3_P12ihipStream_tbPNSt15iterator_traitsISE_E10value_typeEPNSK_ISF_E10value_typeEPSG_NS1_7vsmem_tEENKUlT_SE_SF_SG_E_clIS8_S8_S9_S9_EESD_ST_SE_SF_SG_EUlST_E_NS1_11comp_targetILNS1_3genE10ELNS1_11target_archE1201ELNS1_3gpuE5ELNS1_3repE0EEENS1_48merge_mergepath_partition_config_static_selectorELNS0_4arch9wavefront6targetE0EEEvSF_,"axG",@progbits,_ZN7rocprim17ROCPRIM_400000_NS6detail17trampoline_kernelINS0_14default_configENS1_38merge_sort_block_merge_config_selectorIjNS0_10empty_typeEEEZZNS1_27merge_sort_block_merge_implIS3_PjPS5_jNS1_19radix_merge_compareILb0ELb1EjNS0_19identity_decomposerEEEEE10hipError_tT0_T1_T2_jT3_P12ihipStream_tbPNSt15iterator_traitsISE_E10value_typeEPNSK_ISF_E10value_typeEPSG_NS1_7vsmem_tEENKUlT_SE_SF_SG_E_clIS8_S8_S9_S9_EESD_ST_SE_SF_SG_EUlST_E_NS1_11comp_targetILNS1_3genE10ELNS1_11target_archE1201ELNS1_3gpuE5ELNS1_3repE0EEENS1_48merge_mergepath_partition_config_static_selectorELNS0_4arch9wavefront6targetE0EEEvSF_,comdat
.Lfunc_end2703:
	.size	_ZN7rocprim17ROCPRIM_400000_NS6detail17trampoline_kernelINS0_14default_configENS1_38merge_sort_block_merge_config_selectorIjNS0_10empty_typeEEEZZNS1_27merge_sort_block_merge_implIS3_PjPS5_jNS1_19radix_merge_compareILb0ELb1EjNS0_19identity_decomposerEEEEE10hipError_tT0_T1_T2_jT3_P12ihipStream_tbPNSt15iterator_traitsISE_E10value_typeEPNSK_ISF_E10value_typeEPSG_NS1_7vsmem_tEENKUlT_SE_SF_SG_E_clIS8_S8_S9_S9_EESD_ST_SE_SF_SG_EUlST_E_NS1_11comp_targetILNS1_3genE10ELNS1_11target_archE1201ELNS1_3gpuE5ELNS1_3repE0EEENS1_48merge_mergepath_partition_config_static_selectorELNS0_4arch9wavefront6targetE0EEEvSF_, .Lfunc_end2703-_ZN7rocprim17ROCPRIM_400000_NS6detail17trampoline_kernelINS0_14default_configENS1_38merge_sort_block_merge_config_selectorIjNS0_10empty_typeEEEZZNS1_27merge_sort_block_merge_implIS3_PjPS5_jNS1_19radix_merge_compareILb0ELb1EjNS0_19identity_decomposerEEEEE10hipError_tT0_T1_T2_jT3_P12ihipStream_tbPNSt15iterator_traitsISE_E10value_typeEPNSK_ISF_E10value_typeEPSG_NS1_7vsmem_tEENKUlT_SE_SF_SG_E_clIS8_S8_S9_S9_EESD_ST_SE_SF_SG_EUlST_E_NS1_11comp_targetILNS1_3genE10ELNS1_11target_archE1201ELNS1_3gpuE5ELNS1_3repE0EEENS1_48merge_mergepath_partition_config_static_selectorELNS0_4arch9wavefront6targetE0EEEvSF_
                                        ; -- End function
	.set _ZN7rocprim17ROCPRIM_400000_NS6detail17trampoline_kernelINS0_14default_configENS1_38merge_sort_block_merge_config_selectorIjNS0_10empty_typeEEEZZNS1_27merge_sort_block_merge_implIS3_PjPS5_jNS1_19radix_merge_compareILb0ELb1EjNS0_19identity_decomposerEEEEE10hipError_tT0_T1_T2_jT3_P12ihipStream_tbPNSt15iterator_traitsISE_E10value_typeEPNSK_ISF_E10value_typeEPSG_NS1_7vsmem_tEENKUlT_SE_SF_SG_E_clIS8_S8_S9_S9_EESD_ST_SE_SF_SG_EUlST_E_NS1_11comp_targetILNS1_3genE10ELNS1_11target_archE1201ELNS1_3gpuE5ELNS1_3repE0EEENS1_48merge_mergepath_partition_config_static_selectorELNS0_4arch9wavefront6targetE0EEEvSF_.num_vgpr, 0
	.set _ZN7rocprim17ROCPRIM_400000_NS6detail17trampoline_kernelINS0_14default_configENS1_38merge_sort_block_merge_config_selectorIjNS0_10empty_typeEEEZZNS1_27merge_sort_block_merge_implIS3_PjPS5_jNS1_19radix_merge_compareILb0ELb1EjNS0_19identity_decomposerEEEEE10hipError_tT0_T1_T2_jT3_P12ihipStream_tbPNSt15iterator_traitsISE_E10value_typeEPNSK_ISF_E10value_typeEPSG_NS1_7vsmem_tEENKUlT_SE_SF_SG_E_clIS8_S8_S9_S9_EESD_ST_SE_SF_SG_EUlST_E_NS1_11comp_targetILNS1_3genE10ELNS1_11target_archE1201ELNS1_3gpuE5ELNS1_3repE0EEENS1_48merge_mergepath_partition_config_static_selectorELNS0_4arch9wavefront6targetE0EEEvSF_.num_agpr, 0
	.set _ZN7rocprim17ROCPRIM_400000_NS6detail17trampoline_kernelINS0_14default_configENS1_38merge_sort_block_merge_config_selectorIjNS0_10empty_typeEEEZZNS1_27merge_sort_block_merge_implIS3_PjPS5_jNS1_19radix_merge_compareILb0ELb1EjNS0_19identity_decomposerEEEEE10hipError_tT0_T1_T2_jT3_P12ihipStream_tbPNSt15iterator_traitsISE_E10value_typeEPNSK_ISF_E10value_typeEPSG_NS1_7vsmem_tEENKUlT_SE_SF_SG_E_clIS8_S8_S9_S9_EESD_ST_SE_SF_SG_EUlST_E_NS1_11comp_targetILNS1_3genE10ELNS1_11target_archE1201ELNS1_3gpuE5ELNS1_3repE0EEENS1_48merge_mergepath_partition_config_static_selectorELNS0_4arch9wavefront6targetE0EEEvSF_.numbered_sgpr, 0
	.set _ZN7rocprim17ROCPRIM_400000_NS6detail17trampoline_kernelINS0_14default_configENS1_38merge_sort_block_merge_config_selectorIjNS0_10empty_typeEEEZZNS1_27merge_sort_block_merge_implIS3_PjPS5_jNS1_19radix_merge_compareILb0ELb1EjNS0_19identity_decomposerEEEEE10hipError_tT0_T1_T2_jT3_P12ihipStream_tbPNSt15iterator_traitsISE_E10value_typeEPNSK_ISF_E10value_typeEPSG_NS1_7vsmem_tEENKUlT_SE_SF_SG_E_clIS8_S8_S9_S9_EESD_ST_SE_SF_SG_EUlST_E_NS1_11comp_targetILNS1_3genE10ELNS1_11target_archE1201ELNS1_3gpuE5ELNS1_3repE0EEENS1_48merge_mergepath_partition_config_static_selectorELNS0_4arch9wavefront6targetE0EEEvSF_.num_named_barrier, 0
	.set _ZN7rocprim17ROCPRIM_400000_NS6detail17trampoline_kernelINS0_14default_configENS1_38merge_sort_block_merge_config_selectorIjNS0_10empty_typeEEEZZNS1_27merge_sort_block_merge_implIS3_PjPS5_jNS1_19radix_merge_compareILb0ELb1EjNS0_19identity_decomposerEEEEE10hipError_tT0_T1_T2_jT3_P12ihipStream_tbPNSt15iterator_traitsISE_E10value_typeEPNSK_ISF_E10value_typeEPSG_NS1_7vsmem_tEENKUlT_SE_SF_SG_E_clIS8_S8_S9_S9_EESD_ST_SE_SF_SG_EUlST_E_NS1_11comp_targetILNS1_3genE10ELNS1_11target_archE1201ELNS1_3gpuE5ELNS1_3repE0EEENS1_48merge_mergepath_partition_config_static_selectorELNS0_4arch9wavefront6targetE0EEEvSF_.private_seg_size, 0
	.set _ZN7rocprim17ROCPRIM_400000_NS6detail17trampoline_kernelINS0_14default_configENS1_38merge_sort_block_merge_config_selectorIjNS0_10empty_typeEEEZZNS1_27merge_sort_block_merge_implIS3_PjPS5_jNS1_19radix_merge_compareILb0ELb1EjNS0_19identity_decomposerEEEEE10hipError_tT0_T1_T2_jT3_P12ihipStream_tbPNSt15iterator_traitsISE_E10value_typeEPNSK_ISF_E10value_typeEPSG_NS1_7vsmem_tEENKUlT_SE_SF_SG_E_clIS8_S8_S9_S9_EESD_ST_SE_SF_SG_EUlST_E_NS1_11comp_targetILNS1_3genE10ELNS1_11target_archE1201ELNS1_3gpuE5ELNS1_3repE0EEENS1_48merge_mergepath_partition_config_static_selectorELNS0_4arch9wavefront6targetE0EEEvSF_.uses_vcc, 0
	.set _ZN7rocprim17ROCPRIM_400000_NS6detail17trampoline_kernelINS0_14default_configENS1_38merge_sort_block_merge_config_selectorIjNS0_10empty_typeEEEZZNS1_27merge_sort_block_merge_implIS3_PjPS5_jNS1_19radix_merge_compareILb0ELb1EjNS0_19identity_decomposerEEEEE10hipError_tT0_T1_T2_jT3_P12ihipStream_tbPNSt15iterator_traitsISE_E10value_typeEPNSK_ISF_E10value_typeEPSG_NS1_7vsmem_tEENKUlT_SE_SF_SG_E_clIS8_S8_S9_S9_EESD_ST_SE_SF_SG_EUlST_E_NS1_11comp_targetILNS1_3genE10ELNS1_11target_archE1201ELNS1_3gpuE5ELNS1_3repE0EEENS1_48merge_mergepath_partition_config_static_selectorELNS0_4arch9wavefront6targetE0EEEvSF_.uses_flat_scratch, 0
	.set _ZN7rocprim17ROCPRIM_400000_NS6detail17trampoline_kernelINS0_14default_configENS1_38merge_sort_block_merge_config_selectorIjNS0_10empty_typeEEEZZNS1_27merge_sort_block_merge_implIS3_PjPS5_jNS1_19radix_merge_compareILb0ELb1EjNS0_19identity_decomposerEEEEE10hipError_tT0_T1_T2_jT3_P12ihipStream_tbPNSt15iterator_traitsISE_E10value_typeEPNSK_ISF_E10value_typeEPSG_NS1_7vsmem_tEENKUlT_SE_SF_SG_E_clIS8_S8_S9_S9_EESD_ST_SE_SF_SG_EUlST_E_NS1_11comp_targetILNS1_3genE10ELNS1_11target_archE1201ELNS1_3gpuE5ELNS1_3repE0EEENS1_48merge_mergepath_partition_config_static_selectorELNS0_4arch9wavefront6targetE0EEEvSF_.has_dyn_sized_stack, 0
	.set _ZN7rocprim17ROCPRIM_400000_NS6detail17trampoline_kernelINS0_14default_configENS1_38merge_sort_block_merge_config_selectorIjNS0_10empty_typeEEEZZNS1_27merge_sort_block_merge_implIS3_PjPS5_jNS1_19radix_merge_compareILb0ELb1EjNS0_19identity_decomposerEEEEE10hipError_tT0_T1_T2_jT3_P12ihipStream_tbPNSt15iterator_traitsISE_E10value_typeEPNSK_ISF_E10value_typeEPSG_NS1_7vsmem_tEENKUlT_SE_SF_SG_E_clIS8_S8_S9_S9_EESD_ST_SE_SF_SG_EUlST_E_NS1_11comp_targetILNS1_3genE10ELNS1_11target_archE1201ELNS1_3gpuE5ELNS1_3repE0EEENS1_48merge_mergepath_partition_config_static_selectorELNS0_4arch9wavefront6targetE0EEEvSF_.has_recursion, 0
	.set _ZN7rocprim17ROCPRIM_400000_NS6detail17trampoline_kernelINS0_14default_configENS1_38merge_sort_block_merge_config_selectorIjNS0_10empty_typeEEEZZNS1_27merge_sort_block_merge_implIS3_PjPS5_jNS1_19radix_merge_compareILb0ELb1EjNS0_19identity_decomposerEEEEE10hipError_tT0_T1_T2_jT3_P12ihipStream_tbPNSt15iterator_traitsISE_E10value_typeEPNSK_ISF_E10value_typeEPSG_NS1_7vsmem_tEENKUlT_SE_SF_SG_E_clIS8_S8_S9_S9_EESD_ST_SE_SF_SG_EUlST_E_NS1_11comp_targetILNS1_3genE10ELNS1_11target_archE1201ELNS1_3gpuE5ELNS1_3repE0EEENS1_48merge_mergepath_partition_config_static_selectorELNS0_4arch9wavefront6targetE0EEEvSF_.has_indirect_call, 0
	.section	.AMDGPU.csdata,"",@progbits
; Kernel info:
; codeLenInByte = 0
; TotalNumSgprs: 0
; NumVgprs: 0
; ScratchSize: 0
; MemoryBound: 0
; FloatMode: 240
; IeeeMode: 1
; LDSByteSize: 0 bytes/workgroup (compile time only)
; SGPRBlocks: 0
; VGPRBlocks: 0
; NumSGPRsForWavesPerEU: 1
; NumVGPRsForWavesPerEU: 1
; NamedBarCnt: 0
; Occupancy: 16
; WaveLimiterHint : 0
; COMPUTE_PGM_RSRC2:SCRATCH_EN: 0
; COMPUTE_PGM_RSRC2:USER_SGPR: 2
; COMPUTE_PGM_RSRC2:TRAP_HANDLER: 0
; COMPUTE_PGM_RSRC2:TGID_X_EN: 1
; COMPUTE_PGM_RSRC2:TGID_Y_EN: 0
; COMPUTE_PGM_RSRC2:TGID_Z_EN: 0
; COMPUTE_PGM_RSRC2:TIDIG_COMP_CNT: 0
	.section	.text._ZN7rocprim17ROCPRIM_400000_NS6detail17trampoline_kernelINS0_14default_configENS1_38merge_sort_block_merge_config_selectorIjNS0_10empty_typeEEEZZNS1_27merge_sort_block_merge_implIS3_PjPS5_jNS1_19radix_merge_compareILb0ELb1EjNS0_19identity_decomposerEEEEE10hipError_tT0_T1_T2_jT3_P12ihipStream_tbPNSt15iterator_traitsISE_E10value_typeEPNSK_ISF_E10value_typeEPSG_NS1_7vsmem_tEENKUlT_SE_SF_SG_E_clIS8_S8_S9_S9_EESD_ST_SE_SF_SG_EUlST_E_NS1_11comp_targetILNS1_3genE5ELNS1_11target_archE942ELNS1_3gpuE9ELNS1_3repE0EEENS1_48merge_mergepath_partition_config_static_selectorELNS0_4arch9wavefront6targetE0EEEvSF_,"axG",@progbits,_ZN7rocprim17ROCPRIM_400000_NS6detail17trampoline_kernelINS0_14default_configENS1_38merge_sort_block_merge_config_selectorIjNS0_10empty_typeEEEZZNS1_27merge_sort_block_merge_implIS3_PjPS5_jNS1_19radix_merge_compareILb0ELb1EjNS0_19identity_decomposerEEEEE10hipError_tT0_T1_T2_jT3_P12ihipStream_tbPNSt15iterator_traitsISE_E10value_typeEPNSK_ISF_E10value_typeEPSG_NS1_7vsmem_tEENKUlT_SE_SF_SG_E_clIS8_S8_S9_S9_EESD_ST_SE_SF_SG_EUlST_E_NS1_11comp_targetILNS1_3genE5ELNS1_11target_archE942ELNS1_3gpuE9ELNS1_3repE0EEENS1_48merge_mergepath_partition_config_static_selectorELNS0_4arch9wavefront6targetE0EEEvSF_,comdat
	.protected	_ZN7rocprim17ROCPRIM_400000_NS6detail17trampoline_kernelINS0_14default_configENS1_38merge_sort_block_merge_config_selectorIjNS0_10empty_typeEEEZZNS1_27merge_sort_block_merge_implIS3_PjPS5_jNS1_19radix_merge_compareILb0ELb1EjNS0_19identity_decomposerEEEEE10hipError_tT0_T1_T2_jT3_P12ihipStream_tbPNSt15iterator_traitsISE_E10value_typeEPNSK_ISF_E10value_typeEPSG_NS1_7vsmem_tEENKUlT_SE_SF_SG_E_clIS8_S8_S9_S9_EESD_ST_SE_SF_SG_EUlST_E_NS1_11comp_targetILNS1_3genE5ELNS1_11target_archE942ELNS1_3gpuE9ELNS1_3repE0EEENS1_48merge_mergepath_partition_config_static_selectorELNS0_4arch9wavefront6targetE0EEEvSF_ ; -- Begin function _ZN7rocprim17ROCPRIM_400000_NS6detail17trampoline_kernelINS0_14default_configENS1_38merge_sort_block_merge_config_selectorIjNS0_10empty_typeEEEZZNS1_27merge_sort_block_merge_implIS3_PjPS5_jNS1_19radix_merge_compareILb0ELb1EjNS0_19identity_decomposerEEEEE10hipError_tT0_T1_T2_jT3_P12ihipStream_tbPNSt15iterator_traitsISE_E10value_typeEPNSK_ISF_E10value_typeEPSG_NS1_7vsmem_tEENKUlT_SE_SF_SG_E_clIS8_S8_S9_S9_EESD_ST_SE_SF_SG_EUlST_E_NS1_11comp_targetILNS1_3genE5ELNS1_11target_archE942ELNS1_3gpuE9ELNS1_3repE0EEENS1_48merge_mergepath_partition_config_static_selectorELNS0_4arch9wavefront6targetE0EEEvSF_
	.globl	_ZN7rocprim17ROCPRIM_400000_NS6detail17trampoline_kernelINS0_14default_configENS1_38merge_sort_block_merge_config_selectorIjNS0_10empty_typeEEEZZNS1_27merge_sort_block_merge_implIS3_PjPS5_jNS1_19radix_merge_compareILb0ELb1EjNS0_19identity_decomposerEEEEE10hipError_tT0_T1_T2_jT3_P12ihipStream_tbPNSt15iterator_traitsISE_E10value_typeEPNSK_ISF_E10value_typeEPSG_NS1_7vsmem_tEENKUlT_SE_SF_SG_E_clIS8_S8_S9_S9_EESD_ST_SE_SF_SG_EUlST_E_NS1_11comp_targetILNS1_3genE5ELNS1_11target_archE942ELNS1_3gpuE9ELNS1_3repE0EEENS1_48merge_mergepath_partition_config_static_selectorELNS0_4arch9wavefront6targetE0EEEvSF_
	.p2align	8
	.type	_ZN7rocprim17ROCPRIM_400000_NS6detail17trampoline_kernelINS0_14default_configENS1_38merge_sort_block_merge_config_selectorIjNS0_10empty_typeEEEZZNS1_27merge_sort_block_merge_implIS3_PjPS5_jNS1_19radix_merge_compareILb0ELb1EjNS0_19identity_decomposerEEEEE10hipError_tT0_T1_T2_jT3_P12ihipStream_tbPNSt15iterator_traitsISE_E10value_typeEPNSK_ISF_E10value_typeEPSG_NS1_7vsmem_tEENKUlT_SE_SF_SG_E_clIS8_S8_S9_S9_EESD_ST_SE_SF_SG_EUlST_E_NS1_11comp_targetILNS1_3genE5ELNS1_11target_archE942ELNS1_3gpuE9ELNS1_3repE0EEENS1_48merge_mergepath_partition_config_static_selectorELNS0_4arch9wavefront6targetE0EEEvSF_,@function
_ZN7rocprim17ROCPRIM_400000_NS6detail17trampoline_kernelINS0_14default_configENS1_38merge_sort_block_merge_config_selectorIjNS0_10empty_typeEEEZZNS1_27merge_sort_block_merge_implIS3_PjPS5_jNS1_19radix_merge_compareILb0ELb1EjNS0_19identity_decomposerEEEEE10hipError_tT0_T1_T2_jT3_P12ihipStream_tbPNSt15iterator_traitsISE_E10value_typeEPNSK_ISF_E10value_typeEPSG_NS1_7vsmem_tEENKUlT_SE_SF_SG_E_clIS8_S8_S9_S9_EESD_ST_SE_SF_SG_EUlST_E_NS1_11comp_targetILNS1_3genE5ELNS1_11target_archE942ELNS1_3gpuE9ELNS1_3repE0EEENS1_48merge_mergepath_partition_config_static_selectorELNS0_4arch9wavefront6targetE0EEEvSF_: ; @_ZN7rocprim17ROCPRIM_400000_NS6detail17trampoline_kernelINS0_14default_configENS1_38merge_sort_block_merge_config_selectorIjNS0_10empty_typeEEEZZNS1_27merge_sort_block_merge_implIS3_PjPS5_jNS1_19radix_merge_compareILb0ELb1EjNS0_19identity_decomposerEEEEE10hipError_tT0_T1_T2_jT3_P12ihipStream_tbPNSt15iterator_traitsISE_E10value_typeEPNSK_ISF_E10value_typeEPSG_NS1_7vsmem_tEENKUlT_SE_SF_SG_E_clIS8_S8_S9_S9_EESD_ST_SE_SF_SG_EUlST_E_NS1_11comp_targetILNS1_3genE5ELNS1_11target_archE942ELNS1_3gpuE9ELNS1_3repE0EEENS1_48merge_mergepath_partition_config_static_selectorELNS0_4arch9wavefront6targetE0EEEvSF_
; %bb.0:
	.section	.rodata,"a",@progbits
	.p2align	6, 0x0
	.amdhsa_kernel _ZN7rocprim17ROCPRIM_400000_NS6detail17trampoline_kernelINS0_14default_configENS1_38merge_sort_block_merge_config_selectorIjNS0_10empty_typeEEEZZNS1_27merge_sort_block_merge_implIS3_PjPS5_jNS1_19radix_merge_compareILb0ELb1EjNS0_19identity_decomposerEEEEE10hipError_tT0_T1_T2_jT3_P12ihipStream_tbPNSt15iterator_traitsISE_E10value_typeEPNSK_ISF_E10value_typeEPSG_NS1_7vsmem_tEENKUlT_SE_SF_SG_E_clIS8_S8_S9_S9_EESD_ST_SE_SF_SG_EUlST_E_NS1_11comp_targetILNS1_3genE5ELNS1_11target_archE942ELNS1_3gpuE9ELNS1_3repE0EEENS1_48merge_mergepath_partition_config_static_selectorELNS0_4arch9wavefront6targetE0EEEvSF_
		.amdhsa_group_segment_fixed_size 0
		.amdhsa_private_segment_fixed_size 0
		.amdhsa_kernarg_size 40
		.amdhsa_user_sgpr_count 2
		.amdhsa_user_sgpr_dispatch_ptr 0
		.amdhsa_user_sgpr_queue_ptr 0
		.amdhsa_user_sgpr_kernarg_segment_ptr 1
		.amdhsa_user_sgpr_dispatch_id 0
		.amdhsa_user_sgpr_kernarg_preload_length 0
		.amdhsa_user_sgpr_kernarg_preload_offset 0
		.amdhsa_user_sgpr_private_segment_size 0
		.amdhsa_wavefront_size32 1
		.amdhsa_uses_dynamic_stack 0
		.amdhsa_enable_private_segment 0
		.amdhsa_system_sgpr_workgroup_id_x 1
		.amdhsa_system_sgpr_workgroup_id_y 0
		.amdhsa_system_sgpr_workgroup_id_z 0
		.amdhsa_system_sgpr_workgroup_info 0
		.amdhsa_system_vgpr_workitem_id 0
		.amdhsa_next_free_vgpr 1
		.amdhsa_next_free_sgpr 1
		.amdhsa_named_barrier_count 0
		.amdhsa_reserve_vcc 0
		.amdhsa_float_round_mode_32 0
		.amdhsa_float_round_mode_16_64 0
		.amdhsa_float_denorm_mode_32 3
		.amdhsa_float_denorm_mode_16_64 3
		.amdhsa_fp16_overflow 0
		.amdhsa_memory_ordered 1
		.amdhsa_forward_progress 1
		.amdhsa_inst_pref_size 0
		.amdhsa_round_robin_scheduling 0
		.amdhsa_exception_fp_ieee_invalid_op 0
		.amdhsa_exception_fp_denorm_src 0
		.amdhsa_exception_fp_ieee_div_zero 0
		.amdhsa_exception_fp_ieee_overflow 0
		.amdhsa_exception_fp_ieee_underflow 0
		.amdhsa_exception_fp_ieee_inexact 0
		.amdhsa_exception_int_div_zero 0
	.end_amdhsa_kernel
	.section	.text._ZN7rocprim17ROCPRIM_400000_NS6detail17trampoline_kernelINS0_14default_configENS1_38merge_sort_block_merge_config_selectorIjNS0_10empty_typeEEEZZNS1_27merge_sort_block_merge_implIS3_PjPS5_jNS1_19radix_merge_compareILb0ELb1EjNS0_19identity_decomposerEEEEE10hipError_tT0_T1_T2_jT3_P12ihipStream_tbPNSt15iterator_traitsISE_E10value_typeEPNSK_ISF_E10value_typeEPSG_NS1_7vsmem_tEENKUlT_SE_SF_SG_E_clIS8_S8_S9_S9_EESD_ST_SE_SF_SG_EUlST_E_NS1_11comp_targetILNS1_3genE5ELNS1_11target_archE942ELNS1_3gpuE9ELNS1_3repE0EEENS1_48merge_mergepath_partition_config_static_selectorELNS0_4arch9wavefront6targetE0EEEvSF_,"axG",@progbits,_ZN7rocprim17ROCPRIM_400000_NS6detail17trampoline_kernelINS0_14default_configENS1_38merge_sort_block_merge_config_selectorIjNS0_10empty_typeEEEZZNS1_27merge_sort_block_merge_implIS3_PjPS5_jNS1_19radix_merge_compareILb0ELb1EjNS0_19identity_decomposerEEEEE10hipError_tT0_T1_T2_jT3_P12ihipStream_tbPNSt15iterator_traitsISE_E10value_typeEPNSK_ISF_E10value_typeEPSG_NS1_7vsmem_tEENKUlT_SE_SF_SG_E_clIS8_S8_S9_S9_EESD_ST_SE_SF_SG_EUlST_E_NS1_11comp_targetILNS1_3genE5ELNS1_11target_archE942ELNS1_3gpuE9ELNS1_3repE0EEENS1_48merge_mergepath_partition_config_static_selectorELNS0_4arch9wavefront6targetE0EEEvSF_,comdat
.Lfunc_end2704:
	.size	_ZN7rocprim17ROCPRIM_400000_NS6detail17trampoline_kernelINS0_14default_configENS1_38merge_sort_block_merge_config_selectorIjNS0_10empty_typeEEEZZNS1_27merge_sort_block_merge_implIS3_PjPS5_jNS1_19radix_merge_compareILb0ELb1EjNS0_19identity_decomposerEEEEE10hipError_tT0_T1_T2_jT3_P12ihipStream_tbPNSt15iterator_traitsISE_E10value_typeEPNSK_ISF_E10value_typeEPSG_NS1_7vsmem_tEENKUlT_SE_SF_SG_E_clIS8_S8_S9_S9_EESD_ST_SE_SF_SG_EUlST_E_NS1_11comp_targetILNS1_3genE5ELNS1_11target_archE942ELNS1_3gpuE9ELNS1_3repE0EEENS1_48merge_mergepath_partition_config_static_selectorELNS0_4arch9wavefront6targetE0EEEvSF_, .Lfunc_end2704-_ZN7rocprim17ROCPRIM_400000_NS6detail17trampoline_kernelINS0_14default_configENS1_38merge_sort_block_merge_config_selectorIjNS0_10empty_typeEEEZZNS1_27merge_sort_block_merge_implIS3_PjPS5_jNS1_19radix_merge_compareILb0ELb1EjNS0_19identity_decomposerEEEEE10hipError_tT0_T1_T2_jT3_P12ihipStream_tbPNSt15iterator_traitsISE_E10value_typeEPNSK_ISF_E10value_typeEPSG_NS1_7vsmem_tEENKUlT_SE_SF_SG_E_clIS8_S8_S9_S9_EESD_ST_SE_SF_SG_EUlST_E_NS1_11comp_targetILNS1_3genE5ELNS1_11target_archE942ELNS1_3gpuE9ELNS1_3repE0EEENS1_48merge_mergepath_partition_config_static_selectorELNS0_4arch9wavefront6targetE0EEEvSF_
                                        ; -- End function
	.set _ZN7rocprim17ROCPRIM_400000_NS6detail17trampoline_kernelINS0_14default_configENS1_38merge_sort_block_merge_config_selectorIjNS0_10empty_typeEEEZZNS1_27merge_sort_block_merge_implIS3_PjPS5_jNS1_19radix_merge_compareILb0ELb1EjNS0_19identity_decomposerEEEEE10hipError_tT0_T1_T2_jT3_P12ihipStream_tbPNSt15iterator_traitsISE_E10value_typeEPNSK_ISF_E10value_typeEPSG_NS1_7vsmem_tEENKUlT_SE_SF_SG_E_clIS8_S8_S9_S9_EESD_ST_SE_SF_SG_EUlST_E_NS1_11comp_targetILNS1_3genE5ELNS1_11target_archE942ELNS1_3gpuE9ELNS1_3repE0EEENS1_48merge_mergepath_partition_config_static_selectorELNS0_4arch9wavefront6targetE0EEEvSF_.num_vgpr, 0
	.set _ZN7rocprim17ROCPRIM_400000_NS6detail17trampoline_kernelINS0_14default_configENS1_38merge_sort_block_merge_config_selectorIjNS0_10empty_typeEEEZZNS1_27merge_sort_block_merge_implIS3_PjPS5_jNS1_19radix_merge_compareILb0ELb1EjNS0_19identity_decomposerEEEEE10hipError_tT0_T1_T2_jT3_P12ihipStream_tbPNSt15iterator_traitsISE_E10value_typeEPNSK_ISF_E10value_typeEPSG_NS1_7vsmem_tEENKUlT_SE_SF_SG_E_clIS8_S8_S9_S9_EESD_ST_SE_SF_SG_EUlST_E_NS1_11comp_targetILNS1_3genE5ELNS1_11target_archE942ELNS1_3gpuE9ELNS1_3repE0EEENS1_48merge_mergepath_partition_config_static_selectorELNS0_4arch9wavefront6targetE0EEEvSF_.num_agpr, 0
	.set _ZN7rocprim17ROCPRIM_400000_NS6detail17trampoline_kernelINS0_14default_configENS1_38merge_sort_block_merge_config_selectorIjNS0_10empty_typeEEEZZNS1_27merge_sort_block_merge_implIS3_PjPS5_jNS1_19radix_merge_compareILb0ELb1EjNS0_19identity_decomposerEEEEE10hipError_tT0_T1_T2_jT3_P12ihipStream_tbPNSt15iterator_traitsISE_E10value_typeEPNSK_ISF_E10value_typeEPSG_NS1_7vsmem_tEENKUlT_SE_SF_SG_E_clIS8_S8_S9_S9_EESD_ST_SE_SF_SG_EUlST_E_NS1_11comp_targetILNS1_3genE5ELNS1_11target_archE942ELNS1_3gpuE9ELNS1_3repE0EEENS1_48merge_mergepath_partition_config_static_selectorELNS0_4arch9wavefront6targetE0EEEvSF_.numbered_sgpr, 0
	.set _ZN7rocprim17ROCPRIM_400000_NS6detail17trampoline_kernelINS0_14default_configENS1_38merge_sort_block_merge_config_selectorIjNS0_10empty_typeEEEZZNS1_27merge_sort_block_merge_implIS3_PjPS5_jNS1_19radix_merge_compareILb0ELb1EjNS0_19identity_decomposerEEEEE10hipError_tT0_T1_T2_jT3_P12ihipStream_tbPNSt15iterator_traitsISE_E10value_typeEPNSK_ISF_E10value_typeEPSG_NS1_7vsmem_tEENKUlT_SE_SF_SG_E_clIS8_S8_S9_S9_EESD_ST_SE_SF_SG_EUlST_E_NS1_11comp_targetILNS1_3genE5ELNS1_11target_archE942ELNS1_3gpuE9ELNS1_3repE0EEENS1_48merge_mergepath_partition_config_static_selectorELNS0_4arch9wavefront6targetE0EEEvSF_.num_named_barrier, 0
	.set _ZN7rocprim17ROCPRIM_400000_NS6detail17trampoline_kernelINS0_14default_configENS1_38merge_sort_block_merge_config_selectorIjNS0_10empty_typeEEEZZNS1_27merge_sort_block_merge_implIS3_PjPS5_jNS1_19radix_merge_compareILb0ELb1EjNS0_19identity_decomposerEEEEE10hipError_tT0_T1_T2_jT3_P12ihipStream_tbPNSt15iterator_traitsISE_E10value_typeEPNSK_ISF_E10value_typeEPSG_NS1_7vsmem_tEENKUlT_SE_SF_SG_E_clIS8_S8_S9_S9_EESD_ST_SE_SF_SG_EUlST_E_NS1_11comp_targetILNS1_3genE5ELNS1_11target_archE942ELNS1_3gpuE9ELNS1_3repE0EEENS1_48merge_mergepath_partition_config_static_selectorELNS0_4arch9wavefront6targetE0EEEvSF_.private_seg_size, 0
	.set _ZN7rocprim17ROCPRIM_400000_NS6detail17trampoline_kernelINS0_14default_configENS1_38merge_sort_block_merge_config_selectorIjNS0_10empty_typeEEEZZNS1_27merge_sort_block_merge_implIS3_PjPS5_jNS1_19radix_merge_compareILb0ELb1EjNS0_19identity_decomposerEEEEE10hipError_tT0_T1_T2_jT3_P12ihipStream_tbPNSt15iterator_traitsISE_E10value_typeEPNSK_ISF_E10value_typeEPSG_NS1_7vsmem_tEENKUlT_SE_SF_SG_E_clIS8_S8_S9_S9_EESD_ST_SE_SF_SG_EUlST_E_NS1_11comp_targetILNS1_3genE5ELNS1_11target_archE942ELNS1_3gpuE9ELNS1_3repE0EEENS1_48merge_mergepath_partition_config_static_selectorELNS0_4arch9wavefront6targetE0EEEvSF_.uses_vcc, 0
	.set _ZN7rocprim17ROCPRIM_400000_NS6detail17trampoline_kernelINS0_14default_configENS1_38merge_sort_block_merge_config_selectorIjNS0_10empty_typeEEEZZNS1_27merge_sort_block_merge_implIS3_PjPS5_jNS1_19radix_merge_compareILb0ELb1EjNS0_19identity_decomposerEEEEE10hipError_tT0_T1_T2_jT3_P12ihipStream_tbPNSt15iterator_traitsISE_E10value_typeEPNSK_ISF_E10value_typeEPSG_NS1_7vsmem_tEENKUlT_SE_SF_SG_E_clIS8_S8_S9_S9_EESD_ST_SE_SF_SG_EUlST_E_NS1_11comp_targetILNS1_3genE5ELNS1_11target_archE942ELNS1_3gpuE9ELNS1_3repE0EEENS1_48merge_mergepath_partition_config_static_selectorELNS0_4arch9wavefront6targetE0EEEvSF_.uses_flat_scratch, 0
	.set _ZN7rocprim17ROCPRIM_400000_NS6detail17trampoline_kernelINS0_14default_configENS1_38merge_sort_block_merge_config_selectorIjNS0_10empty_typeEEEZZNS1_27merge_sort_block_merge_implIS3_PjPS5_jNS1_19radix_merge_compareILb0ELb1EjNS0_19identity_decomposerEEEEE10hipError_tT0_T1_T2_jT3_P12ihipStream_tbPNSt15iterator_traitsISE_E10value_typeEPNSK_ISF_E10value_typeEPSG_NS1_7vsmem_tEENKUlT_SE_SF_SG_E_clIS8_S8_S9_S9_EESD_ST_SE_SF_SG_EUlST_E_NS1_11comp_targetILNS1_3genE5ELNS1_11target_archE942ELNS1_3gpuE9ELNS1_3repE0EEENS1_48merge_mergepath_partition_config_static_selectorELNS0_4arch9wavefront6targetE0EEEvSF_.has_dyn_sized_stack, 0
	.set _ZN7rocprim17ROCPRIM_400000_NS6detail17trampoline_kernelINS0_14default_configENS1_38merge_sort_block_merge_config_selectorIjNS0_10empty_typeEEEZZNS1_27merge_sort_block_merge_implIS3_PjPS5_jNS1_19radix_merge_compareILb0ELb1EjNS0_19identity_decomposerEEEEE10hipError_tT0_T1_T2_jT3_P12ihipStream_tbPNSt15iterator_traitsISE_E10value_typeEPNSK_ISF_E10value_typeEPSG_NS1_7vsmem_tEENKUlT_SE_SF_SG_E_clIS8_S8_S9_S9_EESD_ST_SE_SF_SG_EUlST_E_NS1_11comp_targetILNS1_3genE5ELNS1_11target_archE942ELNS1_3gpuE9ELNS1_3repE0EEENS1_48merge_mergepath_partition_config_static_selectorELNS0_4arch9wavefront6targetE0EEEvSF_.has_recursion, 0
	.set _ZN7rocprim17ROCPRIM_400000_NS6detail17trampoline_kernelINS0_14default_configENS1_38merge_sort_block_merge_config_selectorIjNS0_10empty_typeEEEZZNS1_27merge_sort_block_merge_implIS3_PjPS5_jNS1_19radix_merge_compareILb0ELb1EjNS0_19identity_decomposerEEEEE10hipError_tT0_T1_T2_jT3_P12ihipStream_tbPNSt15iterator_traitsISE_E10value_typeEPNSK_ISF_E10value_typeEPSG_NS1_7vsmem_tEENKUlT_SE_SF_SG_E_clIS8_S8_S9_S9_EESD_ST_SE_SF_SG_EUlST_E_NS1_11comp_targetILNS1_3genE5ELNS1_11target_archE942ELNS1_3gpuE9ELNS1_3repE0EEENS1_48merge_mergepath_partition_config_static_selectorELNS0_4arch9wavefront6targetE0EEEvSF_.has_indirect_call, 0
	.section	.AMDGPU.csdata,"",@progbits
; Kernel info:
; codeLenInByte = 0
; TotalNumSgprs: 0
; NumVgprs: 0
; ScratchSize: 0
; MemoryBound: 0
; FloatMode: 240
; IeeeMode: 1
; LDSByteSize: 0 bytes/workgroup (compile time only)
; SGPRBlocks: 0
; VGPRBlocks: 0
; NumSGPRsForWavesPerEU: 1
; NumVGPRsForWavesPerEU: 1
; NamedBarCnt: 0
; Occupancy: 16
; WaveLimiterHint : 0
; COMPUTE_PGM_RSRC2:SCRATCH_EN: 0
; COMPUTE_PGM_RSRC2:USER_SGPR: 2
; COMPUTE_PGM_RSRC2:TRAP_HANDLER: 0
; COMPUTE_PGM_RSRC2:TGID_X_EN: 1
; COMPUTE_PGM_RSRC2:TGID_Y_EN: 0
; COMPUTE_PGM_RSRC2:TGID_Z_EN: 0
; COMPUTE_PGM_RSRC2:TIDIG_COMP_CNT: 0
	.section	.text._ZN7rocprim17ROCPRIM_400000_NS6detail17trampoline_kernelINS0_14default_configENS1_38merge_sort_block_merge_config_selectorIjNS0_10empty_typeEEEZZNS1_27merge_sort_block_merge_implIS3_PjPS5_jNS1_19radix_merge_compareILb0ELb1EjNS0_19identity_decomposerEEEEE10hipError_tT0_T1_T2_jT3_P12ihipStream_tbPNSt15iterator_traitsISE_E10value_typeEPNSK_ISF_E10value_typeEPSG_NS1_7vsmem_tEENKUlT_SE_SF_SG_E_clIS8_S8_S9_S9_EESD_ST_SE_SF_SG_EUlST_E_NS1_11comp_targetILNS1_3genE4ELNS1_11target_archE910ELNS1_3gpuE8ELNS1_3repE0EEENS1_48merge_mergepath_partition_config_static_selectorELNS0_4arch9wavefront6targetE0EEEvSF_,"axG",@progbits,_ZN7rocprim17ROCPRIM_400000_NS6detail17trampoline_kernelINS0_14default_configENS1_38merge_sort_block_merge_config_selectorIjNS0_10empty_typeEEEZZNS1_27merge_sort_block_merge_implIS3_PjPS5_jNS1_19radix_merge_compareILb0ELb1EjNS0_19identity_decomposerEEEEE10hipError_tT0_T1_T2_jT3_P12ihipStream_tbPNSt15iterator_traitsISE_E10value_typeEPNSK_ISF_E10value_typeEPSG_NS1_7vsmem_tEENKUlT_SE_SF_SG_E_clIS8_S8_S9_S9_EESD_ST_SE_SF_SG_EUlST_E_NS1_11comp_targetILNS1_3genE4ELNS1_11target_archE910ELNS1_3gpuE8ELNS1_3repE0EEENS1_48merge_mergepath_partition_config_static_selectorELNS0_4arch9wavefront6targetE0EEEvSF_,comdat
	.protected	_ZN7rocprim17ROCPRIM_400000_NS6detail17trampoline_kernelINS0_14default_configENS1_38merge_sort_block_merge_config_selectorIjNS0_10empty_typeEEEZZNS1_27merge_sort_block_merge_implIS3_PjPS5_jNS1_19radix_merge_compareILb0ELb1EjNS0_19identity_decomposerEEEEE10hipError_tT0_T1_T2_jT3_P12ihipStream_tbPNSt15iterator_traitsISE_E10value_typeEPNSK_ISF_E10value_typeEPSG_NS1_7vsmem_tEENKUlT_SE_SF_SG_E_clIS8_S8_S9_S9_EESD_ST_SE_SF_SG_EUlST_E_NS1_11comp_targetILNS1_3genE4ELNS1_11target_archE910ELNS1_3gpuE8ELNS1_3repE0EEENS1_48merge_mergepath_partition_config_static_selectorELNS0_4arch9wavefront6targetE0EEEvSF_ ; -- Begin function _ZN7rocprim17ROCPRIM_400000_NS6detail17trampoline_kernelINS0_14default_configENS1_38merge_sort_block_merge_config_selectorIjNS0_10empty_typeEEEZZNS1_27merge_sort_block_merge_implIS3_PjPS5_jNS1_19radix_merge_compareILb0ELb1EjNS0_19identity_decomposerEEEEE10hipError_tT0_T1_T2_jT3_P12ihipStream_tbPNSt15iterator_traitsISE_E10value_typeEPNSK_ISF_E10value_typeEPSG_NS1_7vsmem_tEENKUlT_SE_SF_SG_E_clIS8_S8_S9_S9_EESD_ST_SE_SF_SG_EUlST_E_NS1_11comp_targetILNS1_3genE4ELNS1_11target_archE910ELNS1_3gpuE8ELNS1_3repE0EEENS1_48merge_mergepath_partition_config_static_selectorELNS0_4arch9wavefront6targetE0EEEvSF_
	.globl	_ZN7rocprim17ROCPRIM_400000_NS6detail17trampoline_kernelINS0_14default_configENS1_38merge_sort_block_merge_config_selectorIjNS0_10empty_typeEEEZZNS1_27merge_sort_block_merge_implIS3_PjPS5_jNS1_19radix_merge_compareILb0ELb1EjNS0_19identity_decomposerEEEEE10hipError_tT0_T1_T2_jT3_P12ihipStream_tbPNSt15iterator_traitsISE_E10value_typeEPNSK_ISF_E10value_typeEPSG_NS1_7vsmem_tEENKUlT_SE_SF_SG_E_clIS8_S8_S9_S9_EESD_ST_SE_SF_SG_EUlST_E_NS1_11comp_targetILNS1_3genE4ELNS1_11target_archE910ELNS1_3gpuE8ELNS1_3repE0EEENS1_48merge_mergepath_partition_config_static_selectorELNS0_4arch9wavefront6targetE0EEEvSF_
	.p2align	8
	.type	_ZN7rocprim17ROCPRIM_400000_NS6detail17trampoline_kernelINS0_14default_configENS1_38merge_sort_block_merge_config_selectorIjNS0_10empty_typeEEEZZNS1_27merge_sort_block_merge_implIS3_PjPS5_jNS1_19radix_merge_compareILb0ELb1EjNS0_19identity_decomposerEEEEE10hipError_tT0_T1_T2_jT3_P12ihipStream_tbPNSt15iterator_traitsISE_E10value_typeEPNSK_ISF_E10value_typeEPSG_NS1_7vsmem_tEENKUlT_SE_SF_SG_E_clIS8_S8_S9_S9_EESD_ST_SE_SF_SG_EUlST_E_NS1_11comp_targetILNS1_3genE4ELNS1_11target_archE910ELNS1_3gpuE8ELNS1_3repE0EEENS1_48merge_mergepath_partition_config_static_selectorELNS0_4arch9wavefront6targetE0EEEvSF_,@function
_ZN7rocprim17ROCPRIM_400000_NS6detail17trampoline_kernelINS0_14default_configENS1_38merge_sort_block_merge_config_selectorIjNS0_10empty_typeEEEZZNS1_27merge_sort_block_merge_implIS3_PjPS5_jNS1_19radix_merge_compareILb0ELb1EjNS0_19identity_decomposerEEEEE10hipError_tT0_T1_T2_jT3_P12ihipStream_tbPNSt15iterator_traitsISE_E10value_typeEPNSK_ISF_E10value_typeEPSG_NS1_7vsmem_tEENKUlT_SE_SF_SG_E_clIS8_S8_S9_S9_EESD_ST_SE_SF_SG_EUlST_E_NS1_11comp_targetILNS1_3genE4ELNS1_11target_archE910ELNS1_3gpuE8ELNS1_3repE0EEENS1_48merge_mergepath_partition_config_static_selectorELNS0_4arch9wavefront6targetE0EEEvSF_: ; @_ZN7rocprim17ROCPRIM_400000_NS6detail17trampoline_kernelINS0_14default_configENS1_38merge_sort_block_merge_config_selectorIjNS0_10empty_typeEEEZZNS1_27merge_sort_block_merge_implIS3_PjPS5_jNS1_19radix_merge_compareILb0ELb1EjNS0_19identity_decomposerEEEEE10hipError_tT0_T1_T2_jT3_P12ihipStream_tbPNSt15iterator_traitsISE_E10value_typeEPNSK_ISF_E10value_typeEPSG_NS1_7vsmem_tEENKUlT_SE_SF_SG_E_clIS8_S8_S9_S9_EESD_ST_SE_SF_SG_EUlST_E_NS1_11comp_targetILNS1_3genE4ELNS1_11target_archE910ELNS1_3gpuE8ELNS1_3repE0EEENS1_48merge_mergepath_partition_config_static_selectorELNS0_4arch9wavefront6targetE0EEEvSF_
; %bb.0:
	.section	.rodata,"a",@progbits
	.p2align	6, 0x0
	.amdhsa_kernel _ZN7rocprim17ROCPRIM_400000_NS6detail17trampoline_kernelINS0_14default_configENS1_38merge_sort_block_merge_config_selectorIjNS0_10empty_typeEEEZZNS1_27merge_sort_block_merge_implIS3_PjPS5_jNS1_19radix_merge_compareILb0ELb1EjNS0_19identity_decomposerEEEEE10hipError_tT0_T1_T2_jT3_P12ihipStream_tbPNSt15iterator_traitsISE_E10value_typeEPNSK_ISF_E10value_typeEPSG_NS1_7vsmem_tEENKUlT_SE_SF_SG_E_clIS8_S8_S9_S9_EESD_ST_SE_SF_SG_EUlST_E_NS1_11comp_targetILNS1_3genE4ELNS1_11target_archE910ELNS1_3gpuE8ELNS1_3repE0EEENS1_48merge_mergepath_partition_config_static_selectorELNS0_4arch9wavefront6targetE0EEEvSF_
		.amdhsa_group_segment_fixed_size 0
		.amdhsa_private_segment_fixed_size 0
		.amdhsa_kernarg_size 40
		.amdhsa_user_sgpr_count 2
		.amdhsa_user_sgpr_dispatch_ptr 0
		.amdhsa_user_sgpr_queue_ptr 0
		.amdhsa_user_sgpr_kernarg_segment_ptr 1
		.amdhsa_user_sgpr_dispatch_id 0
		.amdhsa_user_sgpr_kernarg_preload_length 0
		.amdhsa_user_sgpr_kernarg_preload_offset 0
		.amdhsa_user_sgpr_private_segment_size 0
		.amdhsa_wavefront_size32 1
		.amdhsa_uses_dynamic_stack 0
		.amdhsa_enable_private_segment 0
		.amdhsa_system_sgpr_workgroup_id_x 1
		.amdhsa_system_sgpr_workgroup_id_y 0
		.amdhsa_system_sgpr_workgroup_id_z 0
		.amdhsa_system_sgpr_workgroup_info 0
		.amdhsa_system_vgpr_workitem_id 0
		.amdhsa_next_free_vgpr 1
		.amdhsa_next_free_sgpr 1
		.amdhsa_named_barrier_count 0
		.amdhsa_reserve_vcc 0
		.amdhsa_float_round_mode_32 0
		.amdhsa_float_round_mode_16_64 0
		.amdhsa_float_denorm_mode_32 3
		.amdhsa_float_denorm_mode_16_64 3
		.amdhsa_fp16_overflow 0
		.amdhsa_memory_ordered 1
		.amdhsa_forward_progress 1
		.amdhsa_inst_pref_size 0
		.amdhsa_round_robin_scheduling 0
		.amdhsa_exception_fp_ieee_invalid_op 0
		.amdhsa_exception_fp_denorm_src 0
		.amdhsa_exception_fp_ieee_div_zero 0
		.amdhsa_exception_fp_ieee_overflow 0
		.amdhsa_exception_fp_ieee_underflow 0
		.amdhsa_exception_fp_ieee_inexact 0
		.amdhsa_exception_int_div_zero 0
	.end_amdhsa_kernel
	.section	.text._ZN7rocprim17ROCPRIM_400000_NS6detail17trampoline_kernelINS0_14default_configENS1_38merge_sort_block_merge_config_selectorIjNS0_10empty_typeEEEZZNS1_27merge_sort_block_merge_implIS3_PjPS5_jNS1_19radix_merge_compareILb0ELb1EjNS0_19identity_decomposerEEEEE10hipError_tT0_T1_T2_jT3_P12ihipStream_tbPNSt15iterator_traitsISE_E10value_typeEPNSK_ISF_E10value_typeEPSG_NS1_7vsmem_tEENKUlT_SE_SF_SG_E_clIS8_S8_S9_S9_EESD_ST_SE_SF_SG_EUlST_E_NS1_11comp_targetILNS1_3genE4ELNS1_11target_archE910ELNS1_3gpuE8ELNS1_3repE0EEENS1_48merge_mergepath_partition_config_static_selectorELNS0_4arch9wavefront6targetE0EEEvSF_,"axG",@progbits,_ZN7rocprim17ROCPRIM_400000_NS6detail17trampoline_kernelINS0_14default_configENS1_38merge_sort_block_merge_config_selectorIjNS0_10empty_typeEEEZZNS1_27merge_sort_block_merge_implIS3_PjPS5_jNS1_19radix_merge_compareILb0ELb1EjNS0_19identity_decomposerEEEEE10hipError_tT0_T1_T2_jT3_P12ihipStream_tbPNSt15iterator_traitsISE_E10value_typeEPNSK_ISF_E10value_typeEPSG_NS1_7vsmem_tEENKUlT_SE_SF_SG_E_clIS8_S8_S9_S9_EESD_ST_SE_SF_SG_EUlST_E_NS1_11comp_targetILNS1_3genE4ELNS1_11target_archE910ELNS1_3gpuE8ELNS1_3repE0EEENS1_48merge_mergepath_partition_config_static_selectorELNS0_4arch9wavefront6targetE0EEEvSF_,comdat
.Lfunc_end2705:
	.size	_ZN7rocprim17ROCPRIM_400000_NS6detail17trampoline_kernelINS0_14default_configENS1_38merge_sort_block_merge_config_selectorIjNS0_10empty_typeEEEZZNS1_27merge_sort_block_merge_implIS3_PjPS5_jNS1_19radix_merge_compareILb0ELb1EjNS0_19identity_decomposerEEEEE10hipError_tT0_T1_T2_jT3_P12ihipStream_tbPNSt15iterator_traitsISE_E10value_typeEPNSK_ISF_E10value_typeEPSG_NS1_7vsmem_tEENKUlT_SE_SF_SG_E_clIS8_S8_S9_S9_EESD_ST_SE_SF_SG_EUlST_E_NS1_11comp_targetILNS1_3genE4ELNS1_11target_archE910ELNS1_3gpuE8ELNS1_3repE0EEENS1_48merge_mergepath_partition_config_static_selectorELNS0_4arch9wavefront6targetE0EEEvSF_, .Lfunc_end2705-_ZN7rocprim17ROCPRIM_400000_NS6detail17trampoline_kernelINS0_14default_configENS1_38merge_sort_block_merge_config_selectorIjNS0_10empty_typeEEEZZNS1_27merge_sort_block_merge_implIS3_PjPS5_jNS1_19radix_merge_compareILb0ELb1EjNS0_19identity_decomposerEEEEE10hipError_tT0_T1_T2_jT3_P12ihipStream_tbPNSt15iterator_traitsISE_E10value_typeEPNSK_ISF_E10value_typeEPSG_NS1_7vsmem_tEENKUlT_SE_SF_SG_E_clIS8_S8_S9_S9_EESD_ST_SE_SF_SG_EUlST_E_NS1_11comp_targetILNS1_3genE4ELNS1_11target_archE910ELNS1_3gpuE8ELNS1_3repE0EEENS1_48merge_mergepath_partition_config_static_selectorELNS0_4arch9wavefront6targetE0EEEvSF_
                                        ; -- End function
	.set _ZN7rocprim17ROCPRIM_400000_NS6detail17trampoline_kernelINS0_14default_configENS1_38merge_sort_block_merge_config_selectorIjNS0_10empty_typeEEEZZNS1_27merge_sort_block_merge_implIS3_PjPS5_jNS1_19radix_merge_compareILb0ELb1EjNS0_19identity_decomposerEEEEE10hipError_tT0_T1_T2_jT3_P12ihipStream_tbPNSt15iterator_traitsISE_E10value_typeEPNSK_ISF_E10value_typeEPSG_NS1_7vsmem_tEENKUlT_SE_SF_SG_E_clIS8_S8_S9_S9_EESD_ST_SE_SF_SG_EUlST_E_NS1_11comp_targetILNS1_3genE4ELNS1_11target_archE910ELNS1_3gpuE8ELNS1_3repE0EEENS1_48merge_mergepath_partition_config_static_selectorELNS0_4arch9wavefront6targetE0EEEvSF_.num_vgpr, 0
	.set _ZN7rocprim17ROCPRIM_400000_NS6detail17trampoline_kernelINS0_14default_configENS1_38merge_sort_block_merge_config_selectorIjNS0_10empty_typeEEEZZNS1_27merge_sort_block_merge_implIS3_PjPS5_jNS1_19radix_merge_compareILb0ELb1EjNS0_19identity_decomposerEEEEE10hipError_tT0_T1_T2_jT3_P12ihipStream_tbPNSt15iterator_traitsISE_E10value_typeEPNSK_ISF_E10value_typeEPSG_NS1_7vsmem_tEENKUlT_SE_SF_SG_E_clIS8_S8_S9_S9_EESD_ST_SE_SF_SG_EUlST_E_NS1_11comp_targetILNS1_3genE4ELNS1_11target_archE910ELNS1_3gpuE8ELNS1_3repE0EEENS1_48merge_mergepath_partition_config_static_selectorELNS0_4arch9wavefront6targetE0EEEvSF_.num_agpr, 0
	.set _ZN7rocprim17ROCPRIM_400000_NS6detail17trampoline_kernelINS0_14default_configENS1_38merge_sort_block_merge_config_selectorIjNS0_10empty_typeEEEZZNS1_27merge_sort_block_merge_implIS3_PjPS5_jNS1_19radix_merge_compareILb0ELb1EjNS0_19identity_decomposerEEEEE10hipError_tT0_T1_T2_jT3_P12ihipStream_tbPNSt15iterator_traitsISE_E10value_typeEPNSK_ISF_E10value_typeEPSG_NS1_7vsmem_tEENKUlT_SE_SF_SG_E_clIS8_S8_S9_S9_EESD_ST_SE_SF_SG_EUlST_E_NS1_11comp_targetILNS1_3genE4ELNS1_11target_archE910ELNS1_3gpuE8ELNS1_3repE0EEENS1_48merge_mergepath_partition_config_static_selectorELNS0_4arch9wavefront6targetE0EEEvSF_.numbered_sgpr, 0
	.set _ZN7rocprim17ROCPRIM_400000_NS6detail17trampoline_kernelINS0_14default_configENS1_38merge_sort_block_merge_config_selectorIjNS0_10empty_typeEEEZZNS1_27merge_sort_block_merge_implIS3_PjPS5_jNS1_19radix_merge_compareILb0ELb1EjNS0_19identity_decomposerEEEEE10hipError_tT0_T1_T2_jT3_P12ihipStream_tbPNSt15iterator_traitsISE_E10value_typeEPNSK_ISF_E10value_typeEPSG_NS1_7vsmem_tEENKUlT_SE_SF_SG_E_clIS8_S8_S9_S9_EESD_ST_SE_SF_SG_EUlST_E_NS1_11comp_targetILNS1_3genE4ELNS1_11target_archE910ELNS1_3gpuE8ELNS1_3repE0EEENS1_48merge_mergepath_partition_config_static_selectorELNS0_4arch9wavefront6targetE0EEEvSF_.num_named_barrier, 0
	.set _ZN7rocprim17ROCPRIM_400000_NS6detail17trampoline_kernelINS0_14default_configENS1_38merge_sort_block_merge_config_selectorIjNS0_10empty_typeEEEZZNS1_27merge_sort_block_merge_implIS3_PjPS5_jNS1_19radix_merge_compareILb0ELb1EjNS0_19identity_decomposerEEEEE10hipError_tT0_T1_T2_jT3_P12ihipStream_tbPNSt15iterator_traitsISE_E10value_typeEPNSK_ISF_E10value_typeEPSG_NS1_7vsmem_tEENKUlT_SE_SF_SG_E_clIS8_S8_S9_S9_EESD_ST_SE_SF_SG_EUlST_E_NS1_11comp_targetILNS1_3genE4ELNS1_11target_archE910ELNS1_3gpuE8ELNS1_3repE0EEENS1_48merge_mergepath_partition_config_static_selectorELNS0_4arch9wavefront6targetE0EEEvSF_.private_seg_size, 0
	.set _ZN7rocprim17ROCPRIM_400000_NS6detail17trampoline_kernelINS0_14default_configENS1_38merge_sort_block_merge_config_selectorIjNS0_10empty_typeEEEZZNS1_27merge_sort_block_merge_implIS3_PjPS5_jNS1_19radix_merge_compareILb0ELb1EjNS0_19identity_decomposerEEEEE10hipError_tT0_T1_T2_jT3_P12ihipStream_tbPNSt15iterator_traitsISE_E10value_typeEPNSK_ISF_E10value_typeEPSG_NS1_7vsmem_tEENKUlT_SE_SF_SG_E_clIS8_S8_S9_S9_EESD_ST_SE_SF_SG_EUlST_E_NS1_11comp_targetILNS1_3genE4ELNS1_11target_archE910ELNS1_3gpuE8ELNS1_3repE0EEENS1_48merge_mergepath_partition_config_static_selectorELNS0_4arch9wavefront6targetE0EEEvSF_.uses_vcc, 0
	.set _ZN7rocprim17ROCPRIM_400000_NS6detail17trampoline_kernelINS0_14default_configENS1_38merge_sort_block_merge_config_selectorIjNS0_10empty_typeEEEZZNS1_27merge_sort_block_merge_implIS3_PjPS5_jNS1_19radix_merge_compareILb0ELb1EjNS0_19identity_decomposerEEEEE10hipError_tT0_T1_T2_jT3_P12ihipStream_tbPNSt15iterator_traitsISE_E10value_typeEPNSK_ISF_E10value_typeEPSG_NS1_7vsmem_tEENKUlT_SE_SF_SG_E_clIS8_S8_S9_S9_EESD_ST_SE_SF_SG_EUlST_E_NS1_11comp_targetILNS1_3genE4ELNS1_11target_archE910ELNS1_3gpuE8ELNS1_3repE0EEENS1_48merge_mergepath_partition_config_static_selectorELNS0_4arch9wavefront6targetE0EEEvSF_.uses_flat_scratch, 0
	.set _ZN7rocprim17ROCPRIM_400000_NS6detail17trampoline_kernelINS0_14default_configENS1_38merge_sort_block_merge_config_selectorIjNS0_10empty_typeEEEZZNS1_27merge_sort_block_merge_implIS3_PjPS5_jNS1_19radix_merge_compareILb0ELb1EjNS0_19identity_decomposerEEEEE10hipError_tT0_T1_T2_jT3_P12ihipStream_tbPNSt15iterator_traitsISE_E10value_typeEPNSK_ISF_E10value_typeEPSG_NS1_7vsmem_tEENKUlT_SE_SF_SG_E_clIS8_S8_S9_S9_EESD_ST_SE_SF_SG_EUlST_E_NS1_11comp_targetILNS1_3genE4ELNS1_11target_archE910ELNS1_3gpuE8ELNS1_3repE0EEENS1_48merge_mergepath_partition_config_static_selectorELNS0_4arch9wavefront6targetE0EEEvSF_.has_dyn_sized_stack, 0
	.set _ZN7rocprim17ROCPRIM_400000_NS6detail17trampoline_kernelINS0_14default_configENS1_38merge_sort_block_merge_config_selectorIjNS0_10empty_typeEEEZZNS1_27merge_sort_block_merge_implIS3_PjPS5_jNS1_19radix_merge_compareILb0ELb1EjNS0_19identity_decomposerEEEEE10hipError_tT0_T1_T2_jT3_P12ihipStream_tbPNSt15iterator_traitsISE_E10value_typeEPNSK_ISF_E10value_typeEPSG_NS1_7vsmem_tEENKUlT_SE_SF_SG_E_clIS8_S8_S9_S9_EESD_ST_SE_SF_SG_EUlST_E_NS1_11comp_targetILNS1_3genE4ELNS1_11target_archE910ELNS1_3gpuE8ELNS1_3repE0EEENS1_48merge_mergepath_partition_config_static_selectorELNS0_4arch9wavefront6targetE0EEEvSF_.has_recursion, 0
	.set _ZN7rocprim17ROCPRIM_400000_NS6detail17trampoline_kernelINS0_14default_configENS1_38merge_sort_block_merge_config_selectorIjNS0_10empty_typeEEEZZNS1_27merge_sort_block_merge_implIS3_PjPS5_jNS1_19radix_merge_compareILb0ELb1EjNS0_19identity_decomposerEEEEE10hipError_tT0_T1_T2_jT3_P12ihipStream_tbPNSt15iterator_traitsISE_E10value_typeEPNSK_ISF_E10value_typeEPSG_NS1_7vsmem_tEENKUlT_SE_SF_SG_E_clIS8_S8_S9_S9_EESD_ST_SE_SF_SG_EUlST_E_NS1_11comp_targetILNS1_3genE4ELNS1_11target_archE910ELNS1_3gpuE8ELNS1_3repE0EEENS1_48merge_mergepath_partition_config_static_selectorELNS0_4arch9wavefront6targetE0EEEvSF_.has_indirect_call, 0
	.section	.AMDGPU.csdata,"",@progbits
; Kernel info:
; codeLenInByte = 0
; TotalNumSgprs: 0
; NumVgprs: 0
; ScratchSize: 0
; MemoryBound: 0
; FloatMode: 240
; IeeeMode: 1
; LDSByteSize: 0 bytes/workgroup (compile time only)
; SGPRBlocks: 0
; VGPRBlocks: 0
; NumSGPRsForWavesPerEU: 1
; NumVGPRsForWavesPerEU: 1
; NamedBarCnt: 0
; Occupancy: 16
; WaveLimiterHint : 0
; COMPUTE_PGM_RSRC2:SCRATCH_EN: 0
; COMPUTE_PGM_RSRC2:USER_SGPR: 2
; COMPUTE_PGM_RSRC2:TRAP_HANDLER: 0
; COMPUTE_PGM_RSRC2:TGID_X_EN: 1
; COMPUTE_PGM_RSRC2:TGID_Y_EN: 0
; COMPUTE_PGM_RSRC2:TGID_Z_EN: 0
; COMPUTE_PGM_RSRC2:TIDIG_COMP_CNT: 0
	.section	.text._ZN7rocprim17ROCPRIM_400000_NS6detail17trampoline_kernelINS0_14default_configENS1_38merge_sort_block_merge_config_selectorIjNS0_10empty_typeEEEZZNS1_27merge_sort_block_merge_implIS3_PjPS5_jNS1_19radix_merge_compareILb0ELb1EjNS0_19identity_decomposerEEEEE10hipError_tT0_T1_T2_jT3_P12ihipStream_tbPNSt15iterator_traitsISE_E10value_typeEPNSK_ISF_E10value_typeEPSG_NS1_7vsmem_tEENKUlT_SE_SF_SG_E_clIS8_S8_S9_S9_EESD_ST_SE_SF_SG_EUlST_E_NS1_11comp_targetILNS1_3genE3ELNS1_11target_archE908ELNS1_3gpuE7ELNS1_3repE0EEENS1_48merge_mergepath_partition_config_static_selectorELNS0_4arch9wavefront6targetE0EEEvSF_,"axG",@progbits,_ZN7rocprim17ROCPRIM_400000_NS6detail17trampoline_kernelINS0_14default_configENS1_38merge_sort_block_merge_config_selectorIjNS0_10empty_typeEEEZZNS1_27merge_sort_block_merge_implIS3_PjPS5_jNS1_19radix_merge_compareILb0ELb1EjNS0_19identity_decomposerEEEEE10hipError_tT0_T1_T2_jT3_P12ihipStream_tbPNSt15iterator_traitsISE_E10value_typeEPNSK_ISF_E10value_typeEPSG_NS1_7vsmem_tEENKUlT_SE_SF_SG_E_clIS8_S8_S9_S9_EESD_ST_SE_SF_SG_EUlST_E_NS1_11comp_targetILNS1_3genE3ELNS1_11target_archE908ELNS1_3gpuE7ELNS1_3repE0EEENS1_48merge_mergepath_partition_config_static_selectorELNS0_4arch9wavefront6targetE0EEEvSF_,comdat
	.protected	_ZN7rocprim17ROCPRIM_400000_NS6detail17trampoline_kernelINS0_14default_configENS1_38merge_sort_block_merge_config_selectorIjNS0_10empty_typeEEEZZNS1_27merge_sort_block_merge_implIS3_PjPS5_jNS1_19radix_merge_compareILb0ELb1EjNS0_19identity_decomposerEEEEE10hipError_tT0_T1_T2_jT3_P12ihipStream_tbPNSt15iterator_traitsISE_E10value_typeEPNSK_ISF_E10value_typeEPSG_NS1_7vsmem_tEENKUlT_SE_SF_SG_E_clIS8_S8_S9_S9_EESD_ST_SE_SF_SG_EUlST_E_NS1_11comp_targetILNS1_3genE3ELNS1_11target_archE908ELNS1_3gpuE7ELNS1_3repE0EEENS1_48merge_mergepath_partition_config_static_selectorELNS0_4arch9wavefront6targetE0EEEvSF_ ; -- Begin function _ZN7rocprim17ROCPRIM_400000_NS6detail17trampoline_kernelINS0_14default_configENS1_38merge_sort_block_merge_config_selectorIjNS0_10empty_typeEEEZZNS1_27merge_sort_block_merge_implIS3_PjPS5_jNS1_19radix_merge_compareILb0ELb1EjNS0_19identity_decomposerEEEEE10hipError_tT0_T1_T2_jT3_P12ihipStream_tbPNSt15iterator_traitsISE_E10value_typeEPNSK_ISF_E10value_typeEPSG_NS1_7vsmem_tEENKUlT_SE_SF_SG_E_clIS8_S8_S9_S9_EESD_ST_SE_SF_SG_EUlST_E_NS1_11comp_targetILNS1_3genE3ELNS1_11target_archE908ELNS1_3gpuE7ELNS1_3repE0EEENS1_48merge_mergepath_partition_config_static_selectorELNS0_4arch9wavefront6targetE0EEEvSF_
	.globl	_ZN7rocprim17ROCPRIM_400000_NS6detail17trampoline_kernelINS0_14default_configENS1_38merge_sort_block_merge_config_selectorIjNS0_10empty_typeEEEZZNS1_27merge_sort_block_merge_implIS3_PjPS5_jNS1_19radix_merge_compareILb0ELb1EjNS0_19identity_decomposerEEEEE10hipError_tT0_T1_T2_jT3_P12ihipStream_tbPNSt15iterator_traitsISE_E10value_typeEPNSK_ISF_E10value_typeEPSG_NS1_7vsmem_tEENKUlT_SE_SF_SG_E_clIS8_S8_S9_S9_EESD_ST_SE_SF_SG_EUlST_E_NS1_11comp_targetILNS1_3genE3ELNS1_11target_archE908ELNS1_3gpuE7ELNS1_3repE0EEENS1_48merge_mergepath_partition_config_static_selectorELNS0_4arch9wavefront6targetE0EEEvSF_
	.p2align	8
	.type	_ZN7rocprim17ROCPRIM_400000_NS6detail17trampoline_kernelINS0_14default_configENS1_38merge_sort_block_merge_config_selectorIjNS0_10empty_typeEEEZZNS1_27merge_sort_block_merge_implIS3_PjPS5_jNS1_19radix_merge_compareILb0ELb1EjNS0_19identity_decomposerEEEEE10hipError_tT0_T1_T2_jT3_P12ihipStream_tbPNSt15iterator_traitsISE_E10value_typeEPNSK_ISF_E10value_typeEPSG_NS1_7vsmem_tEENKUlT_SE_SF_SG_E_clIS8_S8_S9_S9_EESD_ST_SE_SF_SG_EUlST_E_NS1_11comp_targetILNS1_3genE3ELNS1_11target_archE908ELNS1_3gpuE7ELNS1_3repE0EEENS1_48merge_mergepath_partition_config_static_selectorELNS0_4arch9wavefront6targetE0EEEvSF_,@function
_ZN7rocprim17ROCPRIM_400000_NS6detail17trampoline_kernelINS0_14default_configENS1_38merge_sort_block_merge_config_selectorIjNS0_10empty_typeEEEZZNS1_27merge_sort_block_merge_implIS3_PjPS5_jNS1_19radix_merge_compareILb0ELb1EjNS0_19identity_decomposerEEEEE10hipError_tT0_T1_T2_jT3_P12ihipStream_tbPNSt15iterator_traitsISE_E10value_typeEPNSK_ISF_E10value_typeEPSG_NS1_7vsmem_tEENKUlT_SE_SF_SG_E_clIS8_S8_S9_S9_EESD_ST_SE_SF_SG_EUlST_E_NS1_11comp_targetILNS1_3genE3ELNS1_11target_archE908ELNS1_3gpuE7ELNS1_3repE0EEENS1_48merge_mergepath_partition_config_static_selectorELNS0_4arch9wavefront6targetE0EEEvSF_: ; @_ZN7rocprim17ROCPRIM_400000_NS6detail17trampoline_kernelINS0_14default_configENS1_38merge_sort_block_merge_config_selectorIjNS0_10empty_typeEEEZZNS1_27merge_sort_block_merge_implIS3_PjPS5_jNS1_19radix_merge_compareILb0ELb1EjNS0_19identity_decomposerEEEEE10hipError_tT0_T1_T2_jT3_P12ihipStream_tbPNSt15iterator_traitsISE_E10value_typeEPNSK_ISF_E10value_typeEPSG_NS1_7vsmem_tEENKUlT_SE_SF_SG_E_clIS8_S8_S9_S9_EESD_ST_SE_SF_SG_EUlST_E_NS1_11comp_targetILNS1_3genE3ELNS1_11target_archE908ELNS1_3gpuE7ELNS1_3repE0EEENS1_48merge_mergepath_partition_config_static_selectorELNS0_4arch9wavefront6targetE0EEEvSF_
; %bb.0:
	.section	.rodata,"a",@progbits
	.p2align	6, 0x0
	.amdhsa_kernel _ZN7rocprim17ROCPRIM_400000_NS6detail17trampoline_kernelINS0_14default_configENS1_38merge_sort_block_merge_config_selectorIjNS0_10empty_typeEEEZZNS1_27merge_sort_block_merge_implIS3_PjPS5_jNS1_19radix_merge_compareILb0ELb1EjNS0_19identity_decomposerEEEEE10hipError_tT0_T1_T2_jT3_P12ihipStream_tbPNSt15iterator_traitsISE_E10value_typeEPNSK_ISF_E10value_typeEPSG_NS1_7vsmem_tEENKUlT_SE_SF_SG_E_clIS8_S8_S9_S9_EESD_ST_SE_SF_SG_EUlST_E_NS1_11comp_targetILNS1_3genE3ELNS1_11target_archE908ELNS1_3gpuE7ELNS1_3repE0EEENS1_48merge_mergepath_partition_config_static_selectorELNS0_4arch9wavefront6targetE0EEEvSF_
		.amdhsa_group_segment_fixed_size 0
		.amdhsa_private_segment_fixed_size 0
		.amdhsa_kernarg_size 40
		.amdhsa_user_sgpr_count 2
		.amdhsa_user_sgpr_dispatch_ptr 0
		.amdhsa_user_sgpr_queue_ptr 0
		.amdhsa_user_sgpr_kernarg_segment_ptr 1
		.amdhsa_user_sgpr_dispatch_id 0
		.amdhsa_user_sgpr_kernarg_preload_length 0
		.amdhsa_user_sgpr_kernarg_preload_offset 0
		.amdhsa_user_sgpr_private_segment_size 0
		.amdhsa_wavefront_size32 1
		.amdhsa_uses_dynamic_stack 0
		.amdhsa_enable_private_segment 0
		.amdhsa_system_sgpr_workgroup_id_x 1
		.amdhsa_system_sgpr_workgroup_id_y 0
		.amdhsa_system_sgpr_workgroup_id_z 0
		.amdhsa_system_sgpr_workgroup_info 0
		.amdhsa_system_vgpr_workitem_id 0
		.amdhsa_next_free_vgpr 1
		.amdhsa_next_free_sgpr 1
		.amdhsa_named_barrier_count 0
		.amdhsa_reserve_vcc 0
		.amdhsa_float_round_mode_32 0
		.amdhsa_float_round_mode_16_64 0
		.amdhsa_float_denorm_mode_32 3
		.amdhsa_float_denorm_mode_16_64 3
		.amdhsa_fp16_overflow 0
		.amdhsa_memory_ordered 1
		.amdhsa_forward_progress 1
		.amdhsa_inst_pref_size 0
		.amdhsa_round_robin_scheduling 0
		.amdhsa_exception_fp_ieee_invalid_op 0
		.amdhsa_exception_fp_denorm_src 0
		.amdhsa_exception_fp_ieee_div_zero 0
		.amdhsa_exception_fp_ieee_overflow 0
		.amdhsa_exception_fp_ieee_underflow 0
		.amdhsa_exception_fp_ieee_inexact 0
		.amdhsa_exception_int_div_zero 0
	.end_amdhsa_kernel
	.section	.text._ZN7rocprim17ROCPRIM_400000_NS6detail17trampoline_kernelINS0_14default_configENS1_38merge_sort_block_merge_config_selectorIjNS0_10empty_typeEEEZZNS1_27merge_sort_block_merge_implIS3_PjPS5_jNS1_19radix_merge_compareILb0ELb1EjNS0_19identity_decomposerEEEEE10hipError_tT0_T1_T2_jT3_P12ihipStream_tbPNSt15iterator_traitsISE_E10value_typeEPNSK_ISF_E10value_typeEPSG_NS1_7vsmem_tEENKUlT_SE_SF_SG_E_clIS8_S8_S9_S9_EESD_ST_SE_SF_SG_EUlST_E_NS1_11comp_targetILNS1_3genE3ELNS1_11target_archE908ELNS1_3gpuE7ELNS1_3repE0EEENS1_48merge_mergepath_partition_config_static_selectorELNS0_4arch9wavefront6targetE0EEEvSF_,"axG",@progbits,_ZN7rocprim17ROCPRIM_400000_NS6detail17trampoline_kernelINS0_14default_configENS1_38merge_sort_block_merge_config_selectorIjNS0_10empty_typeEEEZZNS1_27merge_sort_block_merge_implIS3_PjPS5_jNS1_19radix_merge_compareILb0ELb1EjNS0_19identity_decomposerEEEEE10hipError_tT0_T1_T2_jT3_P12ihipStream_tbPNSt15iterator_traitsISE_E10value_typeEPNSK_ISF_E10value_typeEPSG_NS1_7vsmem_tEENKUlT_SE_SF_SG_E_clIS8_S8_S9_S9_EESD_ST_SE_SF_SG_EUlST_E_NS1_11comp_targetILNS1_3genE3ELNS1_11target_archE908ELNS1_3gpuE7ELNS1_3repE0EEENS1_48merge_mergepath_partition_config_static_selectorELNS0_4arch9wavefront6targetE0EEEvSF_,comdat
.Lfunc_end2706:
	.size	_ZN7rocprim17ROCPRIM_400000_NS6detail17trampoline_kernelINS0_14default_configENS1_38merge_sort_block_merge_config_selectorIjNS0_10empty_typeEEEZZNS1_27merge_sort_block_merge_implIS3_PjPS5_jNS1_19radix_merge_compareILb0ELb1EjNS0_19identity_decomposerEEEEE10hipError_tT0_T1_T2_jT3_P12ihipStream_tbPNSt15iterator_traitsISE_E10value_typeEPNSK_ISF_E10value_typeEPSG_NS1_7vsmem_tEENKUlT_SE_SF_SG_E_clIS8_S8_S9_S9_EESD_ST_SE_SF_SG_EUlST_E_NS1_11comp_targetILNS1_3genE3ELNS1_11target_archE908ELNS1_3gpuE7ELNS1_3repE0EEENS1_48merge_mergepath_partition_config_static_selectorELNS0_4arch9wavefront6targetE0EEEvSF_, .Lfunc_end2706-_ZN7rocprim17ROCPRIM_400000_NS6detail17trampoline_kernelINS0_14default_configENS1_38merge_sort_block_merge_config_selectorIjNS0_10empty_typeEEEZZNS1_27merge_sort_block_merge_implIS3_PjPS5_jNS1_19radix_merge_compareILb0ELb1EjNS0_19identity_decomposerEEEEE10hipError_tT0_T1_T2_jT3_P12ihipStream_tbPNSt15iterator_traitsISE_E10value_typeEPNSK_ISF_E10value_typeEPSG_NS1_7vsmem_tEENKUlT_SE_SF_SG_E_clIS8_S8_S9_S9_EESD_ST_SE_SF_SG_EUlST_E_NS1_11comp_targetILNS1_3genE3ELNS1_11target_archE908ELNS1_3gpuE7ELNS1_3repE0EEENS1_48merge_mergepath_partition_config_static_selectorELNS0_4arch9wavefront6targetE0EEEvSF_
                                        ; -- End function
	.set _ZN7rocprim17ROCPRIM_400000_NS6detail17trampoline_kernelINS0_14default_configENS1_38merge_sort_block_merge_config_selectorIjNS0_10empty_typeEEEZZNS1_27merge_sort_block_merge_implIS3_PjPS5_jNS1_19radix_merge_compareILb0ELb1EjNS0_19identity_decomposerEEEEE10hipError_tT0_T1_T2_jT3_P12ihipStream_tbPNSt15iterator_traitsISE_E10value_typeEPNSK_ISF_E10value_typeEPSG_NS1_7vsmem_tEENKUlT_SE_SF_SG_E_clIS8_S8_S9_S9_EESD_ST_SE_SF_SG_EUlST_E_NS1_11comp_targetILNS1_3genE3ELNS1_11target_archE908ELNS1_3gpuE7ELNS1_3repE0EEENS1_48merge_mergepath_partition_config_static_selectorELNS0_4arch9wavefront6targetE0EEEvSF_.num_vgpr, 0
	.set _ZN7rocprim17ROCPRIM_400000_NS6detail17trampoline_kernelINS0_14default_configENS1_38merge_sort_block_merge_config_selectorIjNS0_10empty_typeEEEZZNS1_27merge_sort_block_merge_implIS3_PjPS5_jNS1_19radix_merge_compareILb0ELb1EjNS0_19identity_decomposerEEEEE10hipError_tT0_T1_T2_jT3_P12ihipStream_tbPNSt15iterator_traitsISE_E10value_typeEPNSK_ISF_E10value_typeEPSG_NS1_7vsmem_tEENKUlT_SE_SF_SG_E_clIS8_S8_S9_S9_EESD_ST_SE_SF_SG_EUlST_E_NS1_11comp_targetILNS1_3genE3ELNS1_11target_archE908ELNS1_3gpuE7ELNS1_3repE0EEENS1_48merge_mergepath_partition_config_static_selectorELNS0_4arch9wavefront6targetE0EEEvSF_.num_agpr, 0
	.set _ZN7rocprim17ROCPRIM_400000_NS6detail17trampoline_kernelINS0_14default_configENS1_38merge_sort_block_merge_config_selectorIjNS0_10empty_typeEEEZZNS1_27merge_sort_block_merge_implIS3_PjPS5_jNS1_19radix_merge_compareILb0ELb1EjNS0_19identity_decomposerEEEEE10hipError_tT0_T1_T2_jT3_P12ihipStream_tbPNSt15iterator_traitsISE_E10value_typeEPNSK_ISF_E10value_typeEPSG_NS1_7vsmem_tEENKUlT_SE_SF_SG_E_clIS8_S8_S9_S9_EESD_ST_SE_SF_SG_EUlST_E_NS1_11comp_targetILNS1_3genE3ELNS1_11target_archE908ELNS1_3gpuE7ELNS1_3repE0EEENS1_48merge_mergepath_partition_config_static_selectorELNS0_4arch9wavefront6targetE0EEEvSF_.numbered_sgpr, 0
	.set _ZN7rocprim17ROCPRIM_400000_NS6detail17trampoline_kernelINS0_14default_configENS1_38merge_sort_block_merge_config_selectorIjNS0_10empty_typeEEEZZNS1_27merge_sort_block_merge_implIS3_PjPS5_jNS1_19radix_merge_compareILb0ELb1EjNS0_19identity_decomposerEEEEE10hipError_tT0_T1_T2_jT3_P12ihipStream_tbPNSt15iterator_traitsISE_E10value_typeEPNSK_ISF_E10value_typeEPSG_NS1_7vsmem_tEENKUlT_SE_SF_SG_E_clIS8_S8_S9_S9_EESD_ST_SE_SF_SG_EUlST_E_NS1_11comp_targetILNS1_3genE3ELNS1_11target_archE908ELNS1_3gpuE7ELNS1_3repE0EEENS1_48merge_mergepath_partition_config_static_selectorELNS0_4arch9wavefront6targetE0EEEvSF_.num_named_barrier, 0
	.set _ZN7rocprim17ROCPRIM_400000_NS6detail17trampoline_kernelINS0_14default_configENS1_38merge_sort_block_merge_config_selectorIjNS0_10empty_typeEEEZZNS1_27merge_sort_block_merge_implIS3_PjPS5_jNS1_19radix_merge_compareILb0ELb1EjNS0_19identity_decomposerEEEEE10hipError_tT0_T1_T2_jT3_P12ihipStream_tbPNSt15iterator_traitsISE_E10value_typeEPNSK_ISF_E10value_typeEPSG_NS1_7vsmem_tEENKUlT_SE_SF_SG_E_clIS8_S8_S9_S9_EESD_ST_SE_SF_SG_EUlST_E_NS1_11comp_targetILNS1_3genE3ELNS1_11target_archE908ELNS1_3gpuE7ELNS1_3repE0EEENS1_48merge_mergepath_partition_config_static_selectorELNS0_4arch9wavefront6targetE0EEEvSF_.private_seg_size, 0
	.set _ZN7rocprim17ROCPRIM_400000_NS6detail17trampoline_kernelINS0_14default_configENS1_38merge_sort_block_merge_config_selectorIjNS0_10empty_typeEEEZZNS1_27merge_sort_block_merge_implIS3_PjPS5_jNS1_19radix_merge_compareILb0ELb1EjNS0_19identity_decomposerEEEEE10hipError_tT0_T1_T2_jT3_P12ihipStream_tbPNSt15iterator_traitsISE_E10value_typeEPNSK_ISF_E10value_typeEPSG_NS1_7vsmem_tEENKUlT_SE_SF_SG_E_clIS8_S8_S9_S9_EESD_ST_SE_SF_SG_EUlST_E_NS1_11comp_targetILNS1_3genE3ELNS1_11target_archE908ELNS1_3gpuE7ELNS1_3repE0EEENS1_48merge_mergepath_partition_config_static_selectorELNS0_4arch9wavefront6targetE0EEEvSF_.uses_vcc, 0
	.set _ZN7rocprim17ROCPRIM_400000_NS6detail17trampoline_kernelINS0_14default_configENS1_38merge_sort_block_merge_config_selectorIjNS0_10empty_typeEEEZZNS1_27merge_sort_block_merge_implIS3_PjPS5_jNS1_19radix_merge_compareILb0ELb1EjNS0_19identity_decomposerEEEEE10hipError_tT0_T1_T2_jT3_P12ihipStream_tbPNSt15iterator_traitsISE_E10value_typeEPNSK_ISF_E10value_typeEPSG_NS1_7vsmem_tEENKUlT_SE_SF_SG_E_clIS8_S8_S9_S9_EESD_ST_SE_SF_SG_EUlST_E_NS1_11comp_targetILNS1_3genE3ELNS1_11target_archE908ELNS1_3gpuE7ELNS1_3repE0EEENS1_48merge_mergepath_partition_config_static_selectorELNS0_4arch9wavefront6targetE0EEEvSF_.uses_flat_scratch, 0
	.set _ZN7rocprim17ROCPRIM_400000_NS6detail17trampoline_kernelINS0_14default_configENS1_38merge_sort_block_merge_config_selectorIjNS0_10empty_typeEEEZZNS1_27merge_sort_block_merge_implIS3_PjPS5_jNS1_19radix_merge_compareILb0ELb1EjNS0_19identity_decomposerEEEEE10hipError_tT0_T1_T2_jT3_P12ihipStream_tbPNSt15iterator_traitsISE_E10value_typeEPNSK_ISF_E10value_typeEPSG_NS1_7vsmem_tEENKUlT_SE_SF_SG_E_clIS8_S8_S9_S9_EESD_ST_SE_SF_SG_EUlST_E_NS1_11comp_targetILNS1_3genE3ELNS1_11target_archE908ELNS1_3gpuE7ELNS1_3repE0EEENS1_48merge_mergepath_partition_config_static_selectorELNS0_4arch9wavefront6targetE0EEEvSF_.has_dyn_sized_stack, 0
	.set _ZN7rocprim17ROCPRIM_400000_NS6detail17trampoline_kernelINS0_14default_configENS1_38merge_sort_block_merge_config_selectorIjNS0_10empty_typeEEEZZNS1_27merge_sort_block_merge_implIS3_PjPS5_jNS1_19radix_merge_compareILb0ELb1EjNS0_19identity_decomposerEEEEE10hipError_tT0_T1_T2_jT3_P12ihipStream_tbPNSt15iterator_traitsISE_E10value_typeEPNSK_ISF_E10value_typeEPSG_NS1_7vsmem_tEENKUlT_SE_SF_SG_E_clIS8_S8_S9_S9_EESD_ST_SE_SF_SG_EUlST_E_NS1_11comp_targetILNS1_3genE3ELNS1_11target_archE908ELNS1_3gpuE7ELNS1_3repE0EEENS1_48merge_mergepath_partition_config_static_selectorELNS0_4arch9wavefront6targetE0EEEvSF_.has_recursion, 0
	.set _ZN7rocprim17ROCPRIM_400000_NS6detail17trampoline_kernelINS0_14default_configENS1_38merge_sort_block_merge_config_selectorIjNS0_10empty_typeEEEZZNS1_27merge_sort_block_merge_implIS3_PjPS5_jNS1_19radix_merge_compareILb0ELb1EjNS0_19identity_decomposerEEEEE10hipError_tT0_T1_T2_jT3_P12ihipStream_tbPNSt15iterator_traitsISE_E10value_typeEPNSK_ISF_E10value_typeEPSG_NS1_7vsmem_tEENKUlT_SE_SF_SG_E_clIS8_S8_S9_S9_EESD_ST_SE_SF_SG_EUlST_E_NS1_11comp_targetILNS1_3genE3ELNS1_11target_archE908ELNS1_3gpuE7ELNS1_3repE0EEENS1_48merge_mergepath_partition_config_static_selectorELNS0_4arch9wavefront6targetE0EEEvSF_.has_indirect_call, 0
	.section	.AMDGPU.csdata,"",@progbits
; Kernel info:
; codeLenInByte = 0
; TotalNumSgprs: 0
; NumVgprs: 0
; ScratchSize: 0
; MemoryBound: 0
; FloatMode: 240
; IeeeMode: 1
; LDSByteSize: 0 bytes/workgroup (compile time only)
; SGPRBlocks: 0
; VGPRBlocks: 0
; NumSGPRsForWavesPerEU: 1
; NumVGPRsForWavesPerEU: 1
; NamedBarCnt: 0
; Occupancy: 16
; WaveLimiterHint : 0
; COMPUTE_PGM_RSRC2:SCRATCH_EN: 0
; COMPUTE_PGM_RSRC2:USER_SGPR: 2
; COMPUTE_PGM_RSRC2:TRAP_HANDLER: 0
; COMPUTE_PGM_RSRC2:TGID_X_EN: 1
; COMPUTE_PGM_RSRC2:TGID_Y_EN: 0
; COMPUTE_PGM_RSRC2:TGID_Z_EN: 0
; COMPUTE_PGM_RSRC2:TIDIG_COMP_CNT: 0
	.section	.text._ZN7rocprim17ROCPRIM_400000_NS6detail17trampoline_kernelINS0_14default_configENS1_38merge_sort_block_merge_config_selectorIjNS0_10empty_typeEEEZZNS1_27merge_sort_block_merge_implIS3_PjPS5_jNS1_19radix_merge_compareILb0ELb1EjNS0_19identity_decomposerEEEEE10hipError_tT0_T1_T2_jT3_P12ihipStream_tbPNSt15iterator_traitsISE_E10value_typeEPNSK_ISF_E10value_typeEPSG_NS1_7vsmem_tEENKUlT_SE_SF_SG_E_clIS8_S8_S9_S9_EESD_ST_SE_SF_SG_EUlST_E_NS1_11comp_targetILNS1_3genE2ELNS1_11target_archE906ELNS1_3gpuE6ELNS1_3repE0EEENS1_48merge_mergepath_partition_config_static_selectorELNS0_4arch9wavefront6targetE0EEEvSF_,"axG",@progbits,_ZN7rocprim17ROCPRIM_400000_NS6detail17trampoline_kernelINS0_14default_configENS1_38merge_sort_block_merge_config_selectorIjNS0_10empty_typeEEEZZNS1_27merge_sort_block_merge_implIS3_PjPS5_jNS1_19radix_merge_compareILb0ELb1EjNS0_19identity_decomposerEEEEE10hipError_tT0_T1_T2_jT3_P12ihipStream_tbPNSt15iterator_traitsISE_E10value_typeEPNSK_ISF_E10value_typeEPSG_NS1_7vsmem_tEENKUlT_SE_SF_SG_E_clIS8_S8_S9_S9_EESD_ST_SE_SF_SG_EUlST_E_NS1_11comp_targetILNS1_3genE2ELNS1_11target_archE906ELNS1_3gpuE6ELNS1_3repE0EEENS1_48merge_mergepath_partition_config_static_selectorELNS0_4arch9wavefront6targetE0EEEvSF_,comdat
	.protected	_ZN7rocprim17ROCPRIM_400000_NS6detail17trampoline_kernelINS0_14default_configENS1_38merge_sort_block_merge_config_selectorIjNS0_10empty_typeEEEZZNS1_27merge_sort_block_merge_implIS3_PjPS5_jNS1_19radix_merge_compareILb0ELb1EjNS0_19identity_decomposerEEEEE10hipError_tT0_T1_T2_jT3_P12ihipStream_tbPNSt15iterator_traitsISE_E10value_typeEPNSK_ISF_E10value_typeEPSG_NS1_7vsmem_tEENKUlT_SE_SF_SG_E_clIS8_S8_S9_S9_EESD_ST_SE_SF_SG_EUlST_E_NS1_11comp_targetILNS1_3genE2ELNS1_11target_archE906ELNS1_3gpuE6ELNS1_3repE0EEENS1_48merge_mergepath_partition_config_static_selectorELNS0_4arch9wavefront6targetE0EEEvSF_ ; -- Begin function _ZN7rocprim17ROCPRIM_400000_NS6detail17trampoline_kernelINS0_14default_configENS1_38merge_sort_block_merge_config_selectorIjNS0_10empty_typeEEEZZNS1_27merge_sort_block_merge_implIS3_PjPS5_jNS1_19radix_merge_compareILb0ELb1EjNS0_19identity_decomposerEEEEE10hipError_tT0_T1_T2_jT3_P12ihipStream_tbPNSt15iterator_traitsISE_E10value_typeEPNSK_ISF_E10value_typeEPSG_NS1_7vsmem_tEENKUlT_SE_SF_SG_E_clIS8_S8_S9_S9_EESD_ST_SE_SF_SG_EUlST_E_NS1_11comp_targetILNS1_3genE2ELNS1_11target_archE906ELNS1_3gpuE6ELNS1_3repE0EEENS1_48merge_mergepath_partition_config_static_selectorELNS0_4arch9wavefront6targetE0EEEvSF_
	.globl	_ZN7rocprim17ROCPRIM_400000_NS6detail17trampoline_kernelINS0_14default_configENS1_38merge_sort_block_merge_config_selectorIjNS0_10empty_typeEEEZZNS1_27merge_sort_block_merge_implIS3_PjPS5_jNS1_19radix_merge_compareILb0ELb1EjNS0_19identity_decomposerEEEEE10hipError_tT0_T1_T2_jT3_P12ihipStream_tbPNSt15iterator_traitsISE_E10value_typeEPNSK_ISF_E10value_typeEPSG_NS1_7vsmem_tEENKUlT_SE_SF_SG_E_clIS8_S8_S9_S9_EESD_ST_SE_SF_SG_EUlST_E_NS1_11comp_targetILNS1_3genE2ELNS1_11target_archE906ELNS1_3gpuE6ELNS1_3repE0EEENS1_48merge_mergepath_partition_config_static_selectorELNS0_4arch9wavefront6targetE0EEEvSF_
	.p2align	8
	.type	_ZN7rocprim17ROCPRIM_400000_NS6detail17trampoline_kernelINS0_14default_configENS1_38merge_sort_block_merge_config_selectorIjNS0_10empty_typeEEEZZNS1_27merge_sort_block_merge_implIS3_PjPS5_jNS1_19radix_merge_compareILb0ELb1EjNS0_19identity_decomposerEEEEE10hipError_tT0_T1_T2_jT3_P12ihipStream_tbPNSt15iterator_traitsISE_E10value_typeEPNSK_ISF_E10value_typeEPSG_NS1_7vsmem_tEENKUlT_SE_SF_SG_E_clIS8_S8_S9_S9_EESD_ST_SE_SF_SG_EUlST_E_NS1_11comp_targetILNS1_3genE2ELNS1_11target_archE906ELNS1_3gpuE6ELNS1_3repE0EEENS1_48merge_mergepath_partition_config_static_selectorELNS0_4arch9wavefront6targetE0EEEvSF_,@function
_ZN7rocprim17ROCPRIM_400000_NS6detail17trampoline_kernelINS0_14default_configENS1_38merge_sort_block_merge_config_selectorIjNS0_10empty_typeEEEZZNS1_27merge_sort_block_merge_implIS3_PjPS5_jNS1_19radix_merge_compareILb0ELb1EjNS0_19identity_decomposerEEEEE10hipError_tT0_T1_T2_jT3_P12ihipStream_tbPNSt15iterator_traitsISE_E10value_typeEPNSK_ISF_E10value_typeEPSG_NS1_7vsmem_tEENKUlT_SE_SF_SG_E_clIS8_S8_S9_S9_EESD_ST_SE_SF_SG_EUlST_E_NS1_11comp_targetILNS1_3genE2ELNS1_11target_archE906ELNS1_3gpuE6ELNS1_3repE0EEENS1_48merge_mergepath_partition_config_static_selectorELNS0_4arch9wavefront6targetE0EEEvSF_: ; @_ZN7rocprim17ROCPRIM_400000_NS6detail17trampoline_kernelINS0_14default_configENS1_38merge_sort_block_merge_config_selectorIjNS0_10empty_typeEEEZZNS1_27merge_sort_block_merge_implIS3_PjPS5_jNS1_19radix_merge_compareILb0ELb1EjNS0_19identity_decomposerEEEEE10hipError_tT0_T1_T2_jT3_P12ihipStream_tbPNSt15iterator_traitsISE_E10value_typeEPNSK_ISF_E10value_typeEPSG_NS1_7vsmem_tEENKUlT_SE_SF_SG_E_clIS8_S8_S9_S9_EESD_ST_SE_SF_SG_EUlST_E_NS1_11comp_targetILNS1_3genE2ELNS1_11target_archE906ELNS1_3gpuE6ELNS1_3repE0EEENS1_48merge_mergepath_partition_config_static_selectorELNS0_4arch9wavefront6targetE0EEEvSF_
; %bb.0:
	.section	.rodata,"a",@progbits
	.p2align	6, 0x0
	.amdhsa_kernel _ZN7rocprim17ROCPRIM_400000_NS6detail17trampoline_kernelINS0_14default_configENS1_38merge_sort_block_merge_config_selectorIjNS0_10empty_typeEEEZZNS1_27merge_sort_block_merge_implIS3_PjPS5_jNS1_19radix_merge_compareILb0ELb1EjNS0_19identity_decomposerEEEEE10hipError_tT0_T1_T2_jT3_P12ihipStream_tbPNSt15iterator_traitsISE_E10value_typeEPNSK_ISF_E10value_typeEPSG_NS1_7vsmem_tEENKUlT_SE_SF_SG_E_clIS8_S8_S9_S9_EESD_ST_SE_SF_SG_EUlST_E_NS1_11comp_targetILNS1_3genE2ELNS1_11target_archE906ELNS1_3gpuE6ELNS1_3repE0EEENS1_48merge_mergepath_partition_config_static_selectorELNS0_4arch9wavefront6targetE0EEEvSF_
		.amdhsa_group_segment_fixed_size 0
		.amdhsa_private_segment_fixed_size 0
		.amdhsa_kernarg_size 40
		.amdhsa_user_sgpr_count 2
		.amdhsa_user_sgpr_dispatch_ptr 0
		.amdhsa_user_sgpr_queue_ptr 0
		.amdhsa_user_sgpr_kernarg_segment_ptr 1
		.amdhsa_user_sgpr_dispatch_id 0
		.amdhsa_user_sgpr_kernarg_preload_length 0
		.amdhsa_user_sgpr_kernarg_preload_offset 0
		.amdhsa_user_sgpr_private_segment_size 0
		.amdhsa_wavefront_size32 1
		.amdhsa_uses_dynamic_stack 0
		.amdhsa_enable_private_segment 0
		.amdhsa_system_sgpr_workgroup_id_x 1
		.amdhsa_system_sgpr_workgroup_id_y 0
		.amdhsa_system_sgpr_workgroup_id_z 0
		.amdhsa_system_sgpr_workgroup_info 0
		.amdhsa_system_vgpr_workitem_id 0
		.amdhsa_next_free_vgpr 1
		.amdhsa_next_free_sgpr 1
		.amdhsa_named_barrier_count 0
		.amdhsa_reserve_vcc 0
		.amdhsa_float_round_mode_32 0
		.amdhsa_float_round_mode_16_64 0
		.amdhsa_float_denorm_mode_32 3
		.amdhsa_float_denorm_mode_16_64 3
		.amdhsa_fp16_overflow 0
		.amdhsa_memory_ordered 1
		.amdhsa_forward_progress 1
		.amdhsa_inst_pref_size 0
		.amdhsa_round_robin_scheduling 0
		.amdhsa_exception_fp_ieee_invalid_op 0
		.amdhsa_exception_fp_denorm_src 0
		.amdhsa_exception_fp_ieee_div_zero 0
		.amdhsa_exception_fp_ieee_overflow 0
		.amdhsa_exception_fp_ieee_underflow 0
		.amdhsa_exception_fp_ieee_inexact 0
		.amdhsa_exception_int_div_zero 0
	.end_amdhsa_kernel
	.section	.text._ZN7rocprim17ROCPRIM_400000_NS6detail17trampoline_kernelINS0_14default_configENS1_38merge_sort_block_merge_config_selectorIjNS0_10empty_typeEEEZZNS1_27merge_sort_block_merge_implIS3_PjPS5_jNS1_19radix_merge_compareILb0ELb1EjNS0_19identity_decomposerEEEEE10hipError_tT0_T1_T2_jT3_P12ihipStream_tbPNSt15iterator_traitsISE_E10value_typeEPNSK_ISF_E10value_typeEPSG_NS1_7vsmem_tEENKUlT_SE_SF_SG_E_clIS8_S8_S9_S9_EESD_ST_SE_SF_SG_EUlST_E_NS1_11comp_targetILNS1_3genE2ELNS1_11target_archE906ELNS1_3gpuE6ELNS1_3repE0EEENS1_48merge_mergepath_partition_config_static_selectorELNS0_4arch9wavefront6targetE0EEEvSF_,"axG",@progbits,_ZN7rocprim17ROCPRIM_400000_NS6detail17trampoline_kernelINS0_14default_configENS1_38merge_sort_block_merge_config_selectorIjNS0_10empty_typeEEEZZNS1_27merge_sort_block_merge_implIS3_PjPS5_jNS1_19radix_merge_compareILb0ELb1EjNS0_19identity_decomposerEEEEE10hipError_tT0_T1_T2_jT3_P12ihipStream_tbPNSt15iterator_traitsISE_E10value_typeEPNSK_ISF_E10value_typeEPSG_NS1_7vsmem_tEENKUlT_SE_SF_SG_E_clIS8_S8_S9_S9_EESD_ST_SE_SF_SG_EUlST_E_NS1_11comp_targetILNS1_3genE2ELNS1_11target_archE906ELNS1_3gpuE6ELNS1_3repE0EEENS1_48merge_mergepath_partition_config_static_selectorELNS0_4arch9wavefront6targetE0EEEvSF_,comdat
.Lfunc_end2707:
	.size	_ZN7rocprim17ROCPRIM_400000_NS6detail17trampoline_kernelINS0_14default_configENS1_38merge_sort_block_merge_config_selectorIjNS0_10empty_typeEEEZZNS1_27merge_sort_block_merge_implIS3_PjPS5_jNS1_19radix_merge_compareILb0ELb1EjNS0_19identity_decomposerEEEEE10hipError_tT0_T1_T2_jT3_P12ihipStream_tbPNSt15iterator_traitsISE_E10value_typeEPNSK_ISF_E10value_typeEPSG_NS1_7vsmem_tEENKUlT_SE_SF_SG_E_clIS8_S8_S9_S9_EESD_ST_SE_SF_SG_EUlST_E_NS1_11comp_targetILNS1_3genE2ELNS1_11target_archE906ELNS1_3gpuE6ELNS1_3repE0EEENS1_48merge_mergepath_partition_config_static_selectorELNS0_4arch9wavefront6targetE0EEEvSF_, .Lfunc_end2707-_ZN7rocprim17ROCPRIM_400000_NS6detail17trampoline_kernelINS0_14default_configENS1_38merge_sort_block_merge_config_selectorIjNS0_10empty_typeEEEZZNS1_27merge_sort_block_merge_implIS3_PjPS5_jNS1_19radix_merge_compareILb0ELb1EjNS0_19identity_decomposerEEEEE10hipError_tT0_T1_T2_jT3_P12ihipStream_tbPNSt15iterator_traitsISE_E10value_typeEPNSK_ISF_E10value_typeEPSG_NS1_7vsmem_tEENKUlT_SE_SF_SG_E_clIS8_S8_S9_S9_EESD_ST_SE_SF_SG_EUlST_E_NS1_11comp_targetILNS1_3genE2ELNS1_11target_archE906ELNS1_3gpuE6ELNS1_3repE0EEENS1_48merge_mergepath_partition_config_static_selectorELNS0_4arch9wavefront6targetE0EEEvSF_
                                        ; -- End function
	.set _ZN7rocprim17ROCPRIM_400000_NS6detail17trampoline_kernelINS0_14default_configENS1_38merge_sort_block_merge_config_selectorIjNS0_10empty_typeEEEZZNS1_27merge_sort_block_merge_implIS3_PjPS5_jNS1_19radix_merge_compareILb0ELb1EjNS0_19identity_decomposerEEEEE10hipError_tT0_T1_T2_jT3_P12ihipStream_tbPNSt15iterator_traitsISE_E10value_typeEPNSK_ISF_E10value_typeEPSG_NS1_7vsmem_tEENKUlT_SE_SF_SG_E_clIS8_S8_S9_S9_EESD_ST_SE_SF_SG_EUlST_E_NS1_11comp_targetILNS1_3genE2ELNS1_11target_archE906ELNS1_3gpuE6ELNS1_3repE0EEENS1_48merge_mergepath_partition_config_static_selectorELNS0_4arch9wavefront6targetE0EEEvSF_.num_vgpr, 0
	.set _ZN7rocprim17ROCPRIM_400000_NS6detail17trampoline_kernelINS0_14default_configENS1_38merge_sort_block_merge_config_selectorIjNS0_10empty_typeEEEZZNS1_27merge_sort_block_merge_implIS3_PjPS5_jNS1_19radix_merge_compareILb0ELb1EjNS0_19identity_decomposerEEEEE10hipError_tT0_T1_T2_jT3_P12ihipStream_tbPNSt15iterator_traitsISE_E10value_typeEPNSK_ISF_E10value_typeEPSG_NS1_7vsmem_tEENKUlT_SE_SF_SG_E_clIS8_S8_S9_S9_EESD_ST_SE_SF_SG_EUlST_E_NS1_11comp_targetILNS1_3genE2ELNS1_11target_archE906ELNS1_3gpuE6ELNS1_3repE0EEENS1_48merge_mergepath_partition_config_static_selectorELNS0_4arch9wavefront6targetE0EEEvSF_.num_agpr, 0
	.set _ZN7rocprim17ROCPRIM_400000_NS6detail17trampoline_kernelINS0_14default_configENS1_38merge_sort_block_merge_config_selectorIjNS0_10empty_typeEEEZZNS1_27merge_sort_block_merge_implIS3_PjPS5_jNS1_19radix_merge_compareILb0ELb1EjNS0_19identity_decomposerEEEEE10hipError_tT0_T1_T2_jT3_P12ihipStream_tbPNSt15iterator_traitsISE_E10value_typeEPNSK_ISF_E10value_typeEPSG_NS1_7vsmem_tEENKUlT_SE_SF_SG_E_clIS8_S8_S9_S9_EESD_ST_SE_SF_SG_EUlST_E_NS1_11comp_targetILNS1_3genE2ELNS1_11target_archE906ELNS1_3gpuE6ELNS1_3repE0EEENS1_48merge_mergepath_partition_config_static_selectorELNS0_4arch9wavefront6targetE0EEEvSF_.numbered_sgpr, 0
	.set _ZN7rocprim17ROCPRIM_400000_NS6detail17trampoline_kernelINS0_14default_configENS1_38merge_sort_block_merge_config_selectorIjNS0_10empty_typeEEEZZNS1_27merge_sort_block_merge_implIS3_PjPS5_jNS1_19radix_merge_compareILb0ELb1EjNS0_19identity_decomposerEEEEE10hipError_tT0_T1_T2_jT3_P12ihipStream_tbPNSt15iterator_traitsISE_E10value_typeEPNSK_ISF_E10value_typeEPSG_NS1_7vsmem_tEENKUlT_SE_SF_SG_E_clIS8_S8_S9_S9_EESD_ST_SE_SF_SG_EUlST_E_NS1_11comp_targetILNS1_3genE2ELNS1_11target_archE906ELNS1_3gpuE6ELNS1_3repE0EEENS1_48merge_mergepath_partition_config_static_selectorELNS0_4arch9wavefront6targetE0EEEvSF_.num_named_barrier, 0
	.set _ZN7rocprim17ROCPRIM_400000_NS6detail17trampoline_kernelINS0_14default_configENS1_38merge_sort_block_merge_config_selectorIjNS0_10empty_typeEEEZZNS1_27merge_sort_block_merge_implIS3_PjPS5_jNS1_19radix_merge_compareILb0ELb1EjNS0_19identity_decomposerEEEEE10hipError_tT0_T1_T2_jT3_P12ihipStream_tbPNSt15iterator_traitsISE_E10value_typeEPNSK_ISF_E10value_typeEPSG_NS1_7vsmem_tEENKUlT_SE_SF_SG_E_clIS8_S8_S9_S9_EESD_ST_SE_SF_SG_EUlST_E_NS1_11comp_targetILNS1_3genE2ELNS1_11target_archE906ELNS1_3gpuE6ELNS1_3repE0EEENS1_48merge_mergepath_partition_config_static_selectorELNS0_4arch9wavefront6targetE0EEEvSF_.private_seg_size, 0
	.set _ZN7rocprim17ROCPRIM_400000_NS6detail17trampoline_kernelINS0_14default_configENS1_38merge_sort_block_merge_config_selectorIjNS0_10empty_typeEEEZZNS1_27merge_sort_block_merge_implIS3_PjPS5_jNS1_19radix_merge_compareILb0ELb1EjNS0_19identity_decomposerEEEEE10hipError_tT0_T1_T2_jT3_P12ihipStream_tbPNSt15iterator_traitsISE_E10value_typeEPNSK_ISF_E10value_typeEPSG_NS1_7vsmem_tEENKUlT_SE_SF_SG_E_clIS8_S8_S9_S9_EESD_ST_SE_SF_SG_EUlST_E_NS1_11comp_targetILNS1_3genE2ELNS1_11target_archE906ELNS1_3gpuE6ELNS1_3repE0EEENS1_48merge_mergepath_partition_config_static_selectorELNS0_4arch9wavefront6targetE0EEEvSF_.uses_vcc, 0
	.set _ZN7rocprim17ROCPRIM_400000_NS6detail17trampoline_kernelINS0_14default_configENS1_38merge_sort_block_merge_config_selectorIjNS0_10empty_typeEEEZZNS1_27merge_sort_block_merge_implIS3_PjPS5_jNS1_19radix_merge_compareILb0ELb1EjNS0_19identity_decomposerEEEEE10hipError_tT0_T1_T2_jT3_P12ihipStream_tbPNSt15iterator_traitsISE_E10value_typeEPNSK_ISF_E10value_typeEPSG_NS1_7vsmem_tEENKUlT_SE_SF_SG_E_clIS8_S8_S9_S9_EESD_ST_SE_SF_SG_EUlST_E_NS1_11comp_targetILNS1_3genE2ELNS1_11target_archE906ELNS1_3gpuE6ELNS1_3repE0EEENS1_48merge_mergepath_partition_config_static_selectorELNS0_4arch9wavefront6targetE0EEEvSF_.uses_flat_scratch, 0
	.set _ZN7rocprim17ROCPRIM_400000_NS6detail17trampoline_kernelINS0_14default_configENS1_38merge_sort_block_merge_config_selectorIjNS0_10empty_typeEEEZZNS1_27merge_sort_block_merge_implIS3_PjPS5_jNS1_19radix_merge_compareILb0ELb1EjNS0_19identity_decomposerEEEEE10hipError_tT0_T1_T2_jT3_P12ihipStream_tbPNSt15iterator_traitsISE_E10value_typeEPNSK_ISF_E10value_typeEPSG_NS1_7vsmem_tEENKUlT_SE_SF_SG_E_clIS8_S8_S9_S9_EESD_ST_SE_SF_SG_EUlST_E_NS1_11comp_targetILNS1_3genE2ELNS1_11target_archE906ELNS1_3gpuE6ELNS1_3repE0EEENS1_48merge_mergepath_partition_config_static_selectorELNS0_4arch9wavefront6targetE0EEEvSF_.has_dyn_sized_stack, 0
	.set _ZN7rocprim17ROCPRIM_400000_NS6detail17trampoline_kernelINS0_14default_configENS1_38merge_sort_block_merge_config_selectorIjNS0_10empty_typeEEEZZNS1_27merge_sort_block_merge_implIS3_PjPS5_jNS1_19radix_merge_compareILb0ELb1EjNS0_19identity_decomposerEEEEE10hipError_tT0_T1_T2_jT3_P12ihipStream_tbPNSt15iterator_traitsISE_E10value_typeEPNSK_ISF_E10value_typeEPSG_NS1_7vsmem_tEENKUlT_SE_SF_SG_E_clIS8_S8_S9_S9_EESD_ST_SE_SF_SG_EUlST_E_NS1_11comp_targetILNS1_3genE2ELNS1_11target_archE906ELNS1_3gpuE6ELNS1_3repE0EEENS1_48merge_mergepath_partition_config_static_selectorELNS0_4arch9wavefront6targetE0EEEvSF_.has_recursion, 0
	.set _ZN7rocprim17ROCPRIM_400000_NS6detail17trampoline_kernelINS0_14default_configENS1_38merge_sort_block_merge_config_selectorIjNS0_10empty_typeEEEZZNS1_27merge_sort_block_merge_implIS3_PjPS5_jNS1_19radix_merge_compareILb0ELb1EjNS0_19identity_decomposerEEEEE10hipError_tT0_T1_T2_jT3_P12ihipStream_tbPNSt15iterator_traitsISE_E10value_typeEPNSK_ISF_E10value_typeEPSG_NS1_7vsmem_tEENKUlT_SE_SF_SG_E_clIS8_S8_S9_S9_EESD_ST_SE_SF_SG_EUlST_E_NS1_11comp_targetILNS1_3genE2ELNS1_11target_archE906ELNS1_3gpuE6ELNS1_3repE0EEENS1_48merge_mergepath_partition_config_static_selectorELNS0_4arch9wavefront6targetE0EEEvSF_.has_indirect_call, 0
	.section	.AMDGPU.csdata,"",@progbits
; Kernel info:
; codeLenInByte = 0
; TotalNumSgprs: 0
; NumVgprs: 0
; ScratchSize: 0
; MemoryBound: 0
; FloatMode: 240
; IeeeMode: 1
; LDSByteSize: 0 bytes/workgroup (compile time only)
; SGPRBlocks: 0
; VGPRBlocks: 0
; NumSGPRsForWavesPerEU: 1
; NumVGPRsForWavesPerEU: 1
; NamedBarCnt: 0
; Occupancy: 16
; WaveLimiterHint : 0
; COMPUTE_PGM_RSRC2:SCRATCH_EN: 0
; COMPUTE_PGM_RSRC2:USER_SGPR: 2
; COMPUTE_PGM_RSRC2:TRAP_HANDLER: 0
; COMPUTE_PGM_RSRC2:TGID_X_EN: 1
; COMPUTE_PGM_RSRC2:TGID_Y_EN: 0
; COMPUTE_PGM_RSRC2:TGID_Z_EN: 0
; COMPUTE_PGM_RSRC2:TIDIG_COMP_CNT: 0
	.section	.text._ZN7rocprim17ROCPRIM_400000_NS6detail17trampoline_kernelINS0_14default_configENS1_38merge_sort_block_merge_config_selectorIjNS0_10empty_typeEEEZZNS1_27merge_sort_block_merge_implIS3_PjPS5_jNS1_19radix_merge_compareILb0ELb1EjNS0_19identity_decomposerEEEEE10hipError_tT0_T1_T2_jT3_P12ihipStream_tbPNSt15iterator_traitsISE_E10value_typeEPNSK_ISF_E10value_typeEPSG_NS1_7vsmem_tEENKUlT_SE_SF_SG_E_clIS8_S8_S9_S9_EESD_ST_SE_SF_SG_EUlST_E_NS1_11comp_targetILNS1_3genE9ELNS1_11target_archE1100ELNS1_3gpuE3ELNS1_3repE0EEENS1_48merge_mergepath_partition_config_static_selectorELNS0_4arch9wavefront6targetE0EEEvSF_,"axG",@progbits,_ZN7rocprim17ROCPRIM_400000_NS6detail17trampoline_kernelINS0_14default_configENS1_38merge_sort_block_merge_config_selectorIjNS0_10empty_typeEEEZZNS1_27merge_sort_block_merge_implIS3_PjPS5_jNS1_19radix_merge_compareILb0ELb1EjNS0_19identity_decomposerEEEEE10hipError_tT0_T1_T2_jT3_P12ihipStream_tbPNSt15iterator_traitsISE_E10value_typeEPNSK_ISF_E10value_typeEPSG_NS1_7vsmem_tEENKUlT_SE_SF_SG_E_clIS8_S8_S9_S9_EESD_ST_SE_SF_SG_EUlST_E_NS1_11comp_targetILNS1_3genE9ELNS1_11target_archE1100ELNS1_3gpuE3ELNS1_3repE0EEENS1_48merge_mergepath_partition_config_static_selectorELNS0_4arch9wavefront6targetE0EEEvSF_,comdat
	.protected	_ZN7rocprim17ROCPRIM_400000_NS6detail17trampoline_kernelINS0_14default_configENS1_38merge_sort_block_merge_config_selectorIjNS0_10empty_typeEEEZZNS1_27merge_sort_block_merge_implIS3_PjPS5_jNS1_19radix_merge_compareILb0ELb1EjNS0_19identity_decomposerEEEEE10hipError_tT0_T1_T2_jT3_P12ihipStream_tbPNSt15iterator_traitsISE_E10value_typeEPNSK_ISF_E10value_typeEPSG_NS1_7vsmem_tEENKUlT_SE_SF_SG_E_clIS8_S8_S9_S9_EESD_ST_SE_SF_SG_EUlST_E_NS1_11comp_targetILNS1_3genE9ELNS1_11target_archE1100ELNS1_3gpuE3ELNS1_3repE0EEENS1_48merge_mergepath_partition_config_static_selectorELNS0_4arch9wavefront6targetE0EEEvSF_ ; -- Begin function _ZN7rocprim17ROCPRIM_400000_NS6detail17trampoline_kernelINS0_14default_configENS1_38merge_sort_block_merge_config_selectorIjNS0_10empty_typeEEEZZNS1_27merge_sort_block_merge_implIS3_PjPS5_jNS1_19radix_merge_compareILb0ELb1EjNS0_19identity_decomposerEEEEE10hipError_tT0_T1_T2_jT3_P12ihipStream_tbPNSt15iterator_traitsISE_E10value_typeEPNSK_ISF_E10value_typeEPSG_NS1_7vsmem_tEENKUlT_SE_SF_SG_E_clIS8_S8_S9_S9_EESD_ST_SE_SF_SG_EUlST_E_NS1_11comp_targetILNS1_3genE9ELNS1_11target_archE1100ELNS1_3gpuE3ELNS1_3repE0EEENS1_48merge_mergepath_partition_config_static_selectorELNS0_4arch9wavefront6targetE0EEEvSF_
	.globl	_ZN7rocprim17ROCPRIM_400000_NS6detail17trampoline_kernelINS0_14default_configENS1_38merge_sort_block_merge_config_selectorIjNS0_10empty_typeEEEZZNS1_27merge_sort_block_merge_implIS3_PjPS5_jNS1_19radix_merge_compareILb0ELb1EjNS0_19identity_decomposerEEEEE10hipError_tT0_T1_T2_jT3_P12ihipStream_tbPNSt15iterator_traitsISE_E10value_typeEPNSK_ISF_E10value_typeEPSG_NS1_7vsmem_tEENKUlT_SE_SF_SG_E_clIS8_S8_S9_S9_EESD_ST_SE_SF_SG_EUlST_E_NS1_11comp_targetILNS1_3genE9ELNS1_11target_archE1100ELNS1_3gpuE3ELNS1_3repE0EEENS1_48merge_mergepath_partition_config_static_selectorELNS0_4arch9wavefront6targetE0EEEvSF_
	.p2align	8
	.type	_ZN7rocprim17ROCPRIM_400000_NS6detail17trampoline_kernelINS0_14default_configENS1_38merge_sort_block_merge_config_selectorIjNS0_10empty_typeEEEZZNS1_27merge_sort_block_merge_implIS3_PjPS5_jNS1_19radix_merge_compareILb0ELb1EjNS0_19identity_decomposerEEEEE10hipError_tT0_T1_T2_jT3_P12ihipStream_tbPNSt15iterator_traitsISE_E10value_typeEPNSK_ISF_E10value_typeEPSG_NS1_7vsmem_tEENKUlT_SE_SF_SG_E_clIS8_S8_S9_S9_EESD_ST_SE_SF_SG_EUlST_E_NS1_11comp_targetILNS1_3genE9ELNS1_11target_archE1100ELNS1_3gpuE3ELNS1_3repE0EEENS1_48merge_mergepath_partition_config_static_selectorELNS0_4arch9wavefront6targetE0EEEvSF_,@function
_ZN7rocprim17ROCPRIM_400000_NS6detail17trampoline_kernelINS0_14default_configENS1_38merge_sort_block_merge_config_selectorIjNS0_10empty_typeEEEZZNS1_27merge_sort_block_merge_implIS3_PjPS5_jNS1_19radix_merge_compareILb0ELb1EjNS0_19identity_decomposerEEEEE10hipError_tT0_T1_T2_jT3_P12ihipStream_tbPNSt15iterator_traitsISE_E10value_typeEPNSK_ISF_E10value_typeEPSG_NS1_7vsmem_tEENKUlT_SE_SF_SG_E_clIS8_S8_S9_S9_EESD_ST_SE_SF_SG_EUlST_E_NS1_11comp_targetILNS1_3genE9ELNS1_11target_archE1100ELNS1_3gpuE3ELNS1_3repE0EEENS1_48merge_mergepath_partition_config_static_selectorELNS0_4arch9wavefront6targetE0EEEvSF_: ; @_ZN7rocprim17ROCPRIM_400000_NS6detail17trampoline_kernelINS0_14default_configENS1_38merge_sort_block_merge_config_selectorIjNS0_10empty_typeEEEZZNS1_27merge_sort_block_merge_implIS3_PjPS5_jNS1_19radix_merge_compareILb0ELb1EjNS0_19identity_decomposerEEEEE10hipError_tT0_T1_T2_jT3_P12ihipStream_tbPNSt15iterator_traitsISE_E10value_typeEPNSK_ISF_E10value_typeEPSG_NS1_7vsmem_tEENKUlT_SE_SF_SG_E_clIS8_S8_S9_S9_EESD_ST_SE_SF_SG_EUlST_E_NS1_11comp_targetILNS1_3genE9ELNS1_11target_archE1100ELNS1_3gpuE3ELNS1_3repE0EEENS1_48merge_mergepath_partition_config_static_selectorELNS0_4arch9wavefront6targetE0EEEvSF_
; %bb.0:
	.section	.rodata,"a",@progbits
	.p2align	6, 0x0
	.amdhsa_kernel _ZN7rocprim17ROCPRIM_400000_NS6detail17trampoline_kernelINS0_14default_configENS1_38merge_sort_block_merge_config_selectorIjNS0_10empty_typeEEEZZNS1_27merge_sort_block_merge_implIS3_PjPS5_jNS1_19radix_merge_compareILb0ELb1EjNS0_19identity_decomposerEEEEE10hipError_tT0_T1_T2_jT3_P12ihipStream_tbPNSt15iterator_traitsISE_E10value_typeEPNSK_ISF_E10value_typeEPSG_NS1_7vsmem_tEENKUlT_SE_SF_SG_E_clIS8_S8_S9_S9_EESD_ST_SE_SF_SG_EUlST_E_NS1_11comp_targetILNS1_3genE9ELNS1_11target_archE1100ELNS1_3gpuE3ELNS1_3repE0EEENS1_48merge_mergepath_partition_config_static_selectorELNS0_4arch9wavefront6targetE0EEEvSF_
		.amdhsa_group_segment_fixed_size 0
		.amdhsa_private_segment_fixed_size 0
		.amdhsa_kernarg_size 40
		.amdhsa_user_sgpr_count 2
		.amdhsa_user_sgpr_dispatch_ptr 0
		.amdhsa_user_sgpr_queue_ptr 0
		.amdhsa_user_sgpr_kernarg_segment_ptr 1
		.amdhsa_user_sgpr_dispatch_id 0
		.amdhsa_user_sgpr_kernarg_preload_length 0
		.amdhsa_user_sgpr_kernarg_preload_offset 0
		.amdhsa_user_sgpr_private_segment_size 0
		.amdhsa_wavefront_size32 1
		.amdhsa_uses_dynamic_stack 0
		.amdhsa_enable_private_segment 0
		.amdhsa_system_sgpr_workgroup_id_x 1
		.amdhsa_system_sgpr_workgroup_id_y 0
		.amdhsa_system_sgpr_workgroup_id_z 0
		.amdhsa_system_sgpr_workgroup_info 0
		.amdhsa_system_vgpr_workitem_id 0
		.amdhsa_next_free_vgpr 1
		.amdhsa_next_free_sgpr 1
		.amdhsa_named_barrier_count 0
		.amdhsa_reserve_vcc 0
		.amdhsa_float_round_mode_32 0
		.amdhsa_float_round_mode_16_64 0
		.amdhsa_float_denorm_mode_32 3
		.amdhsa_float_denorm_mode_16_64 3
		.amdhsa_fp16_overflow 0
		.amdhsa_memory_ordered 1
		.amdhsa_forward_progress 1
		.amdhsa_inst_pref_size 0
		.amdhsa_round_robin_scheduling 0
		.amdhsa_exception_fp_ieee_invalid_op 0
		.amdhsa_exception_fp_denorm_src 0
		.amdhsa_exception_fp_ieee_div_zero 0
		.amdhsa_exception_fp_ieee_overflow 0
		.amdhsa_exception_fp_ieee_underflow 0
		.amdhsa_exception_fp_ieee_inexact 0
		.amdhsa_exception_int_div_zero 0
	.end_amdhsa_kernel
	.section	.text._ZN7rocprim17ROCPRIM_400000_NS6detail17trampoline_kernelINS0_14default_configENS1_38merge_sort_block_merge_config_selectorIjNS0_10empty_typeEEEZZNS1_27merge_sort_block_merge_implIS3_PjPS5_jNS1_19radix_merge_compareILb0ELb1EjNS0_19identity_decomposerEEEEE10hipError_tT0_T1_T2_jT3_P12ihipStream_tbPNSt15iterator_traitsISE_E10value_typeEPNSK_ISF_E10value_typeEPSG_NS1_7vsmem_tEENKUlT_SE_SF_SG_E_clIS8_S8_S9_S9_EESD_ST_SE_SF_SG_EUlST_E_NS1_11comp_targetILNS1_3genE9ELNS1_11target_archE1100ELNS1_3gpuE3ELNS1_3repE0EEENS1_48merge_mergepath_partition_config_static_selectorELNS0_4arch9wavefront6targetE0EEEvSF_,"axG",@progbits,_ZN7rocprim17ROCPRIM_400000_NS6detail17trampoline_kernelINS0_14default_configENS1_38merge_sort_block_merge_config_selectorIjNS0_10empty_typeEEEZZNS1_27merge_sort_block_merge_implIS3_PjPS5_jNS1_19radix_merge_compareILb0ELb1EjNS0_19identity_decomposerEEEEE10hipError_tT0_T1_T2_jT3_P12ihipStream_tbPNSt15iterator_traitsISE_E10value_typeEPNSK_ISF_E10value_typeEPSG_NS1_7vsmem_tEENKUlT_SE_SF_SG_E_clIS8_S8_S9_S9_EESD_ST_SE_SF_SG_EUlST_E_NS1_11comp_targetILNS1_3genE9ELNS1_11target_archE1100ELNS1_3gpuE3ELNS1_3repE0EEENS1_48merge_mergepath_partition_config_static_selectorELNS0_4arch9wavefront6targetE0EEEvSF_,comdat
.Lfunc_end2708:
	.size	_ZN7rocprim17ROCPRIM_400000_NS6detail17trampoline_kernelINS0_14default_configENS1_38merge_sort_block_merge_config_selectorIjNS0_10empty_typeEEEZZNS1_27merge_sort_block_merge_implIS3_PjPS5_jNS1_19radix_merge_compareILb0ELb1EjNS0_19identity_decomposerEEEEE10hipError_tT0_T1_T2_jT3_P12ihipStream_tbPNSt15iterator_traitsISE_E10value_typeEPNSK_ISF_E10value_typeEPSG_NS1_7vsmem_tEENKUlT_SE_SF_SG_E_clIS8_S8_S9_S9_EESD_ST_SE_SF_SG_EUlST_E_NS1_11comp_targetILNS1_3genE9ELNS1_11target_archE1100ELNS1_3gpuE3ELNS1_3repE0EEENS1_48merge_mergepath_partition_config_static_selectorELNS0_4arch9wavefront6targetE0EEEvSF_, .Lfunc_end2708-_ZN7rocprim17ROCPRIM_400000_NS6detail17trampoline_kernelINS0_14default_configENS1_38merge_sort_block_merge_config_selectorIjNS0_10empty_typeEEEZZNS1_27merge_sort_block_merge_implIS3_PjPS5_jNS1_19radix_merge_compareILb0ELb1EjNS0_19identity_decomposerEEEEE10hipError_tT0_T1_T2_jT3_P12ihipStream_tbPNSt15iterator_traitsISE_E10value_typeEPNSK_ISF_E10value_typeEPSG_NS1_7vsmem_tEENKUlT_SE_SF_SG_E_clIS8_S8_S9_S9_EESD_ST_SE_SF_SG_EUlST_E_NS1_11comp_targetILNS1_3genE9ELNS1_11target_archE1100ELNS1_3gpuE3ELNS1_3repE0EEENS1_48merge_mergepath_partition_config_static_selectorELNS0_4arch9wavefront6targetE0EEEvSF_
                                        ; -- End function
	.set _ZN7rocprim17ROCPRIM_400000_NS6detail17trampoline_kernelINS0_14default_configENS1_38merge_sort_block_merge_config_selectorIjNS0_10empty_typeEEEZZNS1_27merge_sort_block_merge_implIS3_PjPS5_jNS1_19radix_merge_compareILb0ELb1EjNS0_19identity_decomposerEEEEE10hipError_tT0_T1_T2_jT3_P12ihipStream_tbPNSt15iterator_traitsISE_E10value_typeEPNSK_ISF_E10value_typeEPSG_NS1_7vsmem_tEENKUlT_SE_SF_SG_E_clIS8_S8_S9_S9_EESD_ST_SE_SF_SG_EUlST_E_NS1_11comp_targetILNS1_3genE9ELNS1_11target_archE1100ELNS1_3gpuE3ELNS1_3repE0EEENS1_48merge_mergepath_partition_config_static_selectorELNS0_4arch9wavefront6targetE0EEEvSF_.num_vgpr, 0
	.set _ZN7rocprim17ROCPRIM_400000_NS6detail17trampoline_kernelINS0_14default_configENS1_38merge_sort_block_merge_config_selectorIjNS0_10empty_typeEEEZZNS1_27merge_sort_block_merge_implIS3_PjPS5_jNS1_19radix_merge_compareILb0ELb1EjNS0_19identity_decomposerEEEEE10hipError_tT0_T1_T2_jT3_P12ihipStream_tbPNSt15iterator_traitsISE_E10value_typeEPNSK_ISF_E10value_typeEPSG_NS1_7vsmem_tEENKUlT_SE_SF_SG_E_clIS8_S8_S9_S9_EESD_ST_SE_SF_SG_EUlST_E_NS1_11comp_targetILNS1_3genE9ELNS1_11target_archE1100ELNS1_3gpuE3ELNS1_3repE0EEENS1_48merge_mergepath_partition_config_static_selectorELNS0_4arch9wavefront6targetE0EEEvSF_.num_agpr, 0
	.set _ZN7rocprim17ROCPRIM_400000_NS6detail17trampoline_kernelINS0_14default_configENS1_38merge_sort_block_merge_config_selectorIjNS0_10empty_typeEEEZZNS1_27merge_sort_block_merge_implIS3_PjPS5_jNS1_19radix_merge_compareILb0ELb1EjNS0_19identity_decomposerEEEEE10hipError_tT0_T1_T2_jT3_P12ihipStream_tbPNSt15iterator_traitsISE_E10value_typeEPNSK_ISF_E10value_typeEPSG_NS1_7vsmem_tEENKUlT_SE_SF_SG_E_clIS8_S8_S9_S9_EESD_ST_SE_SF_SG_EUlST_E_NS1_11comp_targetILNS1_3genE9ELNS1_11target_archE1100ELNS1_3gpuE3ELNS1_3repE0EEENS1_48merge_mergepath_partition_config_static_selectorELNS0_4arch9wavefront6targetE0EEEvSF_.numbered_sgpr, 0
	.set _ZN7rocprim17ROCPRIM_400000_NS6detail17trampoline_kernelINS0_14default_configENS1_38merge_sort_block_merge_config_selectorIjNS0_10empty_typeEEEZZNS1_27merge_sort_block_merge_implIS3_PjPS5_jNS1_19radix_merge_compareILb0ELb1EjNS0_19identity_decomposerEEEEE10hipError_tT0_T1_T2_jT3_P12ihipStream_tbPNSt15iterator_traitsISE_E10value_typeEPNSK_ISF_E10value_typeEPSG_NS1_7vsmem_tEENKUlT_SE_SF_SG_E_clIS8_S8_S9_S9_EESD_ST_SE_SF_SG_EUlST_E_NS1_11comp_targetILNS1_3genE9ELNS1_11target_archE1100ELNS1_3gpuE3ELNS1_3repE0EEENS1_48merge_mergepath_partition_config_static_selectorELNS0_4arch9wavefront6targetE0EEEvSF_.num_named_barrier, 0
	.set _ZN7rocprim17ROCPRIM_400000_NS6detail17trampoline_kernelINS0_14default_configENS1_38merge_sort_block_merge_config_selectorIjNS0_10empty_typeEEEZZNS1_27merge_sort_block_merge_implIS3_PjPS5_jNS1_19radix_merge_compareILb0ELb1EjNS0_19identity_decomposerEEEEE10hipError_tT0_T1_T2_jT3_P12ihipStream_tbPNSt15iterator_traitsISE_E10value_typeEPNSK_ISF_E10value_typeEPSG_NS1_7vsmem_tEENKUlT_SE_SF_SG_E_clIS8_S8_S9_S9_EESD_ST_SE_SF_SG_EUlST_E_NS1_11comp_targetILNS1_3genE9ELNS1_11target_archE1100ELNS1_3gpuE3ELNS1_3repE0EEENS1_48merge_mergepath_partition_config_static_selectorELNS0_4arch9wavefront6targetE0EEEvSF_.private_seg_size, 0
	.set _ZN7rocprim17ROCPRIM_400000_NS6detail17trampoline_kernelINS0_14default_configENS1_38merge_sort_block_merge_config_selectorIjNS0_10empty_typeEEEZZNS1_27merge_sort_block_merge_implIS3_PjPS5_jNS1_19radix_merge_compareILb0ELb1EjNS0_19identity_decomposerEEEEE10hipError_tT0_T1_T2_jT3_P12ihipStream_tbPNSt15iterator_traitsISE_E10value_typeEPNSK_ISF_E10value_typeEPSG_NS1_7vsmem_tEENKUlT_SE_SF_SG_E_clIS8_S8_S9_S9_EESD_ST_SE_SF_SG_EUlST_E_NS1_11comp_targetILNS1_3genE9ELNS1_11target_archE1100ELNS1_3gpuE3ELNS1_3repE0EEENS1_48merge_mergepath_partition_config_static_selectorELNS0_4arch9wavefront6targetE0EEEvSF_.uses_vcc, 0
	.set _ZN7rocprim17ROCPRIM_400000_NS6detail17trampoline_kernelINS0_14default_configENS1_38merge_sort_block_merge_config_selectorIjNS0_10empty_typeEEEZZNS1_27merge_sort_block_merge_implIS3_PjPS5_jNS1_19radix_merge_compareILb0ELb1EjNS0_19identity_decomposerEEEEE10hipError_tT0_T1_T2_jT3_P12ihipStream_tbPNSt15iterator_traitsISE_E10value_typeEPNSK_ISF_E10value_typeEPSG_NS1_7vsmem_tEENKUlT_SE_SF_SG_E_clIS8_S8_S9_S9_EESD_ST_SE_SF_SG_EUlST_E_NS1_11comp_targetILNS1_3genE9ELNS1_11target_archE1100ELNS1_3gpuE3ELNS1_3repE0EEENS1_48merge_mergepath_partition_config_static_selectorELNS0_4arch9wavefront6targetE0EEEvSF_.uses_flat_scratch, 0
	.set _ZN7rocprim17ROCPRIM_400000_NS6detail17trampoline_kernelINS0_14default_configENS1_38merge_sort_block_merge_config_selectorIjNS0_10empty_typeEEEZZNS1_27merge_sort_block_merge_implIS3_PjPS5_jNS1_19radix_merge_compareILb0ELb1EjNS0_19identity_decomposerEEEEE10hipError_tT0_T1_T2_jT3_P12ihipStream_tbPNSt15iterator_traitsISE_E10value_typeEPNSK_ISF_E10value_typeEPSG_NS1_7vsmem_tEENKUlT_SE_SF_SG_E_clIS8_S8_S9_S9_EESD_ST_SE_SF_SG_EUlST_E_NS1_11comp_targetILNS1_3genE9ELNS1_11target_archE1100ELNS1_3gpuE3ELNS1_3repE0EEENS1_48merge_mergepath_partition_config_static_selectorELNS0_4arch9wavefront6targetE0EEEvSF_.has_dyn_sized_stack, 0
	.set _ZN7rocprim17ROCPRIM_400000_NS6detail17trampoline_kernelINS0_14default_configENS1_38merge_sort_block_merge_config_selectorIjNS0_10empty_typeEEEZZNS1_27merge_sort_block_merge_implIS3_PjPS5_jNS1_19radix_merge_compareILb0ELb1EjNS0_19identity_decomposerEEEEE10hipError_tT0_T1_T2_jT3_P12ihipStream_tbPNSt15iterator_traitsISE_E10value_typeEPNSK_ISF_E10value_typeEPSG_NS1_7vsmem_tEENKUlT_SE_SF_SG_E_clIS8_S8_S9_S9_EESD_ST_SE_SF_SG_EUlST_E_NS1_11comp_targetILNS1_3genE9ELNS1_11target_archE1100ELNS1_3gpuE3ELNS1_3repE0EEENS1_48merge_mergepath_partition_config_static_selectorELNS0_4arch9wavefront6targetE0EEEvSF_.has_recursion, 0
	.set _ZN7rocprim17ROCPRIM_400000_NS6detail17trampoline_kernelINS0_14default_configENS1_38merge_sort_block_merge_config_selectorIjNS0_10empty_typeEEEZZNS1_27merge_sort_block_merge_implIS3_PjPS5_jNS1_19radix_merge_compareILb0ELb1EjNS0_19identity_decomposerEEEEE10hipError_tT0_T1_T2_jT3_P12ihipStream_tbPNSt15iterator_traitsISE_E10value_typeEPNSK_ISF_E10value_typeEPSG_NS1_7vsmem_tEENKUlT_SE_SF_SG_E_clIS8_S8_S9_S9_EESD_ST_SE_SF_SG_EUlST_E_NS1_11comp_targetILNS1_3genE9ELNS1_11target_archE1100ELNS1_3gpuE3ELNS1_3repE0EEENS1_48merge_mergepath_partition_config_static_selectorELNS0_4arch9wavefront6targetE0EEEvSF_.has_indirect_call, 0
	.section	.AMDGPU.csdata,"",@progbits
; Kernel info:
; codeLenInByte = 0
; TotalNumSgprs: 0
; NumVgprs: 0
; ScratchSize: 0
; MemoryBound: 0
; FloatMode: 240
; IeeeMode: 1
; LDSByteSize: 0 bytes/workgroup (compile time only)
; SGPRBlocks: 0
; VGPRBlocks: 0
; NumSGPRsForWavesPerEU: 1
; NumVGPRsForWavesPerEU: 1
; NamedBarCnt: 0
; Occupancy: 16
; WaveLimiterHint : 0
; COMPUTE_PGM_RSRC2:SCRATCH_EN: 0
; COMPUTE_PGM_RSRC2:USER_SGPR: 2
; COMPUTE_PGM_RSRC2:TRAP_HANDLER: 0
; COMPUTE_PGM_RSRC2:TGID_X_EN: 1
; COMPUTE_PGM_RSRC2:TGID_Y_EN: 0
; COMPUTE_PGM_RSRC2:TGID_Z_EN: 0
; COMPUTE_PGM_RSRC2:TIDIG_COMP_CNT: 0
	.section	.text._ZN7rocprim17ROCPRIM_400000_NS6detail17trampoline_kernelINS0_14default_configENS1_38merge_sort_block_merge_config_selectorIjNS0_10empty_typeEEEZZNS1_27merge_sort_block_merge_implIS3_PjPS5_jNS1_19radix_merge_compareILb0ELb1EjNS0_19identity_decomposerEEEEE10hipError_tT0_T1_T2_jT3_P12ihipStream_tbPNSt15iterator_traitsISE_E10value_typeEPNSK_ISF_E10value_typeEPSG_NS1_7vsmem_tEENKUlT_SE_SF_SG_E_clIS8_S8_S9_S9_EESD_ST_SE_SF_SG_EUlST_E_NS1_11comp_targetILNS1_3genE8ELNS1_11target_archE1030ELNS1_3gpuE2ELNS1_3repE0EEENS1_48merge_mergepath_partition_config_static_selectorELNS0_4arch9wavefront6targetE0EEEvSF_,"axG",@progbits,_ZN7rocprim17ROCPRIM_400000_NS6detail17trampoline_kernelINS0_14default_configENS1_38merge_sort_block_merge_config_selectorIjNS0_10empty_typeEEEZZNS1_27merge_sort_block_merge_implIS3_PjPS5_jNS1_19radix_merge_compareILb0ELb1EjNS0_19identity_decomposerEEEEE10hipError_tT0_T1_T2_jT3_P12ihipStream_tbPNSt15iterator_traitsISE_E10value_typeEPNSK_ISF_E10value_typeEPSG_NS1_7vsmem_tEENKUlT_SE_SF_SG_E_clIS8_S8_S9_S9_EESD_ST_SE_SF_SG_EUlST_E_NS1_11comp_targetILNS1_3genE8ELNS1_11target_archE1030ELNS1_3gpuE2ELNS1_3repE0EEENS1_48merge_mergepath_partition_config_static_selectorELNS0_4arch9wavefront6targetE0EEEvSF_,comdat
	.protected	_ZN7rocprim17ROCPRIM_400000_NS6detail17trampoline_kernelINS0_14default_configENS1_38merge_sort_block_merge_config_selectorIjNS0_10empty_typeEEEZZNS1_27merge_sort_block_merge_implIS3_PjPS5_jNS1_19radix_merge_compareILb0ELb1EjNS0_19identity_decomposerEEEEE10hipError_tT0_T1_T2_jT3_P12ihipStream_tbPNSt15iterator_traitsISE_E10value_typeEPNSK_ISF_E10value_typeEPSG_NS1_7vsmem_tEENKUlT_SE_SF_SG_E_clIS8_S8_S9_S9_EESD_ST_SE_SF_SG_EUlST_E_NS1_11comp_targetILNS1_3genE8ELNS1_11target_archE1030ELNS1_3gpuE2ELNS1_3repE0EEENS1_48merge_mergepath_partition_config_static_selectorELNS0_4arch9wavefront6targetE0EEEvSF_ ; -- Begin function _ZN7rocprim17ROCPRIM_400000_NS6detail17trampoline_kernelINS0_14default_configENS1_38merge_sort_block_merge_config_selectorIjNS0_10empty_typeEEEZZNS1_27merge_sort_block_merge_implIS3_PjPS5_jNS1_19radix_merge_compareILb0ELb1EjNS0_19identity_decomposerEEEEE10hipError_tT0_T1_T2_jT3_P12ihipStream_tbPNSt15iterator_traitsISE_E10value_typeEPNSK_ISF_E10value_typeEPSG_NS1_7vsmem_tEENKUlT_SE_SF_SG_E_clIS8_S8_S9_S9_EESD_ST_SE_SF_SG_EUlST_E_NS1_11comp_targetILNS1_3genE8ELNS1_11target_archE1030ELNS1_3gpuE2ELNS1_3repE0EEENS1_48merge_mergepath_partition_config_static_selectorELNS0_4arch9wavefront6targetE0EEEvSF_
	.globl	_ZN7rocprim17ROCPRIM_400000_NS6detail17trampoline_kernelINS0_14default_configENS1_38merge_sort_block_merge_config_selectorIjNS0_10empty_typeEEEZZNS1_27merge_sort_block_merge_implIS3_PjPS5_jNS1_19radix_merge_compareILb0ELb1EjNS0_19identity_decomposerEEEEE10hipError_tT0_T1_T2_jT3_P12ihipStream_tbPNSt15iterator_traitsISE_E10value_typeEPNSK_ISF_E10value_typeEPSG_NS1_7vsmem_tEENKUlT_SE_SF_SG_E_clIS8_S8_S9_S9_EESD_ST_SE_SF_SG_EUlST_E_NS1_11comp_targetILNS1_3genE8ELNS1_11target_archE1030ELNS1_3gpuE2ELNS1_3repE0EEENS1_48merge_mergepath_partition_config_static_selectorELNS0_4arch9wavefront6targetE0EEEvSF_
	.p2align	8
	.type	_ZN7rocprim17ROCPRIM_400000_NS6detail17trampoline_kernelINS0_14default_configENS1_38merge_sort_block_merge_config_selectorIjNS0_10empty_typeEEEZZNS1_27merge_sort_block_merge_implIS3_PjPS5_jNS1_19radix_merge_compareILb0ELb1EjNS0_19identity_decomposerEEEEE10hipError_tT0_T1_T2_jT3_P12ihipStream_tbPNSt15iterator_traitsISE_E10value_typeEPNSK_ISF_E10value_typeEPSG_NS1_7vsmem_tEENKUlT_SE_SF_SG_E_clIS8_S8_S9_S9_EESD_ST_SE_SF_SG_EUlST_E_NS1_11comp_targetILNS1_3genE8ELNS1_11target_archE1030ELNS1_3gpuE2ELNS1_3repE0EEENS1_48merge_mergepath_partition_config_static_selectorELNS0_4arch9wavefront6targetE0EEEvSF_,@function
_ZN7rocprim17ROCPRIM_400000_NS6detail17trampoline_kernelINS0_14default_configENS1_38merge_sort_block_merge_config_selectorIjNS0_10empty_typeEEEZZNS1_27merge_sort_block_merge_implIS3_PjPS5_jNS1_19radix_merge_compareILb0ELb1EjNS0_19identity_decomposerEEEEE10hipError_tT0_T1_T2_jT3_P12ihipStream_tbPNSt15iterator_traitsISE_E10value_typeEPNSK_ISF_E10value_typeEPSG_NS1_7vsmem_tEENKUlT_SE_SF_SG_E_clIS8_S8_S9_S9_EESD_ST_SE_SF_SG_EUlST_E_NS1_11comp_targetILNS1_3genE8ELNS1_11target_archE1030ELNS1_3gpuE2ELNS1_3repE0EEENS1_48merge_mergepath_partition_config_static_selectorELNS0_4arch9wavefront6targetE0EEEvSF_: ; @_ZN7rocprim17ROCPRIM_400000_NS6detail17trampoline_kernelINS0_14default_configENS1_38merge_sort_block_merge_config_selectorIjNS0_10empty_typeEEEZZNS1_27merge_sort_block_merge_implIS3_PjPS5_jNS1_19radix_merge_compareILb0ELb1EjNS0_19identity_decomposerEEEEE10hipError_tT0_T1_T2_jT3_P12ihipStream_tbPNSt15iterator_traitsISE_E10value_typeEPNSK_ISF_E10value_typeEPSG_NS1_7vsmem_tEENKUlT_SE_SF_SG_E_clIS8_S8_S9_S9_EESD_ST_SE_SF_SG_EUlST_E_NS1_11comp_targetILNS1_3genE8ELNS1_11target_archE1030ELNS1_3gpuE2ELNS1_3repE0EEENS1_48merge_mergepath_partition_config_static_selectorELNS0_4arch9wavefront6targetE0EEEvSF_
; %bb.0:
	.section	.rodata,"a",@progbits
	.p2align	6, 0x0
	.amdhsa_kernel _ZN7rocprim17ROCPRIM_400000_NS6detail17trampoline_kernelINS0_14default_configENS1_38merge_sort_block_merge_config_selectorIjNS0_10empty_typeEEEZZNS1_27merge_sort_block_merge_implIS3_PjPS5_jNS1_19radix_merge_compareILb0ELb1EjNS0_19identity_decomposerEEEEE10hipError_tT0_T1_T2_jT3_P12ihipStream_tbPNSt15iterator_traitsISE_E10value_typeEPNSK_ISF_E10value_typeEPSG_NS1_7vsmem_tEENKUlT_SE_SF_SG_E_clIS8_S8_S9_S9_EESD_ST_SE_SF_SG_EUlST_E_NS1_11comp_targetILNS1_3genE8ELNS1_11target_archE1030ELNS1_3gpuE2ELNS1_3repE0EEENS1_48merge_mergepath_partition_config_static_selectorELNS0_4arch9wavefront6targetE0EEEvSF_
		.amdhsa_group_segment_fixed_size 0
		.amdhsa_private_segment_fixed_size 0
		.amdhsa_kernarg_size 40
		.amdhsa_user_sgpr_count 2
		.amdhsa_user_sgpr_dispatch_ptr 0
		.amdhsa_user_sgpr_queue_ptr 0
		.amdhsa_user_sgpr_kernarg_segment_ptr 1
		.amdhsa_user_sgpr_dispatch_id 0
		.amdhsa_user_sgpr_kernarg_preload_length 0
		.amdhsa_user_sgpr_kernarg_preload_offset 0
		.amdhsa_user_sgpr_private_segment_size 0
		.amdhsa_wavefront_size32 1
		.amdhsa_uses_dynamic_stack 0
		.amdhsa_enable_private_segment 0
		.amdhsa_system_sgpr_workgroup_id_x 1
		.amdhsa_system_sgpr_workgroup_id_y 0
		.amdhsa_system_sgpr_workgroup_id_z 0
		.amdhsa_system_sgpr_workgroup_info 0
		.amdhsa_system_vgpr_workitem_id 0
		.amdhsa_next_free_vgpr 1
		.amdhsa_next_free_sgpr 1
		.amdhsa_named_barrier_count 0
		.amdhsa_reserve_vcc 0
		.amdhsa_float_round_mode_32 0
		.amdhsa_float_round_mode_16_64 0
		.amdhsa_float_denorm_mode_32 3
		.amdhsa_float_denorm_mode_16_64 3
		.amdhsa_fp16_overflow 0
		.amdhsa_memory_ordered 1
		.amdhsa_forward_progress 1
		.amdhsa_inst_pref_size 0
		.amdhsa_round_robin_scheduling 0
		.amdhsa_exception_fp_ieee_invalid_op 0
		.amdhsa_exception_fp_denorm_src 0
		.amdhsa_exception_fp_ieee_div_zero 0
		.amdhsa_exception_fp_ieee_overflow 0
		.amdhsa_exception_fp_ieee_underflow 0
		.amdhsa_exception_fp_ieee_inexact 0
		.amdhsa_exception_int_div_zero 0
	.end_amdhsa_kernel
	.section	.text._ZN7rocprim17ROCPRIM_400000_NS6detail17trampoline_kernelINS0_14default_configENS1_38merge_sort_block_merge_config_selectorIjNS0_10empty_typeEEEZZNS1_27merge_sort_block_merge_implIS3_PjPS5_jNS1_19radix_merge_compareILb0ELb1EjNS0_19identity_decomposerEEEEE10hipError_tT0_T1_T2_jT3_P12ihipStream_tbPNSt15iterator_traitsISE_E10value_typeEPNSK_ISF_E10value_typeEPSG_NS1_7vsmem_tEENKUlT_SE_SF_SG_E_clIS8_S8_S9_S9_EESD_ST_SE_SF_SG_EUlST_E_NS1_11comp_targetILNS1_3genE8ELNS1_11target_archE1030ELNS1_3gpuE2ELNS1_3repE0EEENS1_48merge_mergepath_partition_config_static_selectorELNS0_4arch9wavefront6targetE0EEEvSF_,"axG",@progbits,_ZN7rocprim17ROCPRIM_400000_NS6detail17trampoline_kernelINS0_14default_configENS1_38merge_sort_block_merge_config_selectorIjNS0_10empty_typeEEEZZNS1_27merge_sort_block_merge_implIS3_PjPS5_jNS1_19radix_merge_compareILb0ELb1EjNS0_19identity_decomposerEEEEE10hipError_tT0_T1_T2_jT3_P12ihipStream_tbPNSt15iterator_traitsISE_E10value_typeEPNSK_ISF_E10value_typeEPSG_NS1_7vsmem_tEENKUlT_SE_SF_SG_E_clIS8_S8_S9_S9_EESD_ST_SE_SF_SG_EUlST_E_NS1_11comp_targetILNS1_3genE8ELNS1_11target_archE1030ELNS1_3gpuE2ELNS1_3repE0EEENS1_48merge_mergepath_partition_config_static_selectorELNS0_4arch9wavefront6targetE0EEEvSF_,comdat
.Lfunc_end2709:
	.size	_ZN7rocprim17ROCPRIM_400000_NS6detail17trampoline_kernelINS0_14default_configENS1_38merge_sort_block_merge_config_selectorIjNS0_10empty_typeEEEZZNS1_27merge_sort_block_merge_implIS3_PjPS5_jNS1_19radix_merge_compareILb0ELb1EjNS0_19identity_decomposerEEEEE10hipError_tT0_T1_T2_jT3_P12ihipStream_tbPNSt15iterator_traitsISE_E10value_typeEPNSK_ISF_E10value_typeEPSG_NS1_7vsmem_tEENKUlT_SE_SF_SG_E_clIS8_S8_S9_S9_EESD_ST_SE_SF_SG_EUlST_E_NS1_11comp_targetILNS1_3genE8ELNS1_11target_archE1030ELNS1_3gpuE2ELNS1_3repE0EEENS1_48merge_mergepath_partition_config_static_selectorELNS0_4arch9wavefront6targetE0EEEvSF_, .Lfunc_end2709-_ZN7rocprim17ROCPRIM_400000_NS6detail17trampoline_kernelINS0_14default_configENS1_38merge_sort_block_merge_config_selectorIjNS0_10empty_typeEEEZZNS1_27merge_sort_block_merge_implIS3_PjPS5_jNS1_19radix_merge_compareILb0ELb1EjNS0_19identity_decomposerEEEEE10hipError_tT0_T1_T2_jT3_P12ihipStream_tbPNSt15iterator_traitsISE_E10value_typeEPNSK_ISF_E10value_typeEPSG_NS1_7vsmem_tEENKUlT_SE_SF_SG_E_clIS8_S8_S9_S9_EESD_ST_SE_SF_SG_EUlST_E_NS1_11comp_targetILNS1_3genE8ELNS1_11target_archE1030ELNS1_3gpuE2ELNS1_3repE0EEENS1_48merge_mergepath_partition_config_static_selectorELNS0_4arch9wavefront6targetE0EEEvSF_
                                        ; -- End function
	.set _ZN7rocprim17ROCPRIM_400000_NS6detail17trampoline_kernelINS0_14default_configENS1_38merge_sort_block_merge_config_selectorIjNS0_10empty_typeEEEZZNS1_27merge_sort_block_merge_implIS3_PjPS5_jNS1_19radix_merge_compareILb0ELb1EjNS0_19identity_decomposerEEEEE10hipError_tT0_T1_T2_jT3_P12ihipStream_tbPNSt15iterator_traitsISE_E10value_typeEPNSK_ISF_E10value_typeEPSG_NS1_7vsmem_tEENKUlT_SE_SF_SG_E_clIS8_S8_S9_S9_EESD_ST_SE_SF_SG_EUlST_E_NS1_11comp_targetILNS1_3genE8ELNS1_11target_archE1030ELNS1_3gpuE2ELNS1_3repE0EEENS1_48merge_mergepath_partition_config_static_selectorELNS0_4arch9wavefront6targetE0EEEvSF_.num_vgpr, 0
	.set _ZN7rocprim17ROCPRIM_400000_NS6detail17trampoline_kernelINS0_14default_configENS1_38merge_sort_block_merge_config_selectorIjNS0_10empty_typeEEEZZNS1_27merge_sort_block_merge_implIS3_PjPS5_jNS1_19radix_merge_compareILb0ELb1EjNS0_19identity_decomposerEEEEE10hipError_tT0_T1_T2_jT3_P12ihipStream_tbPNSt15iterator_traitsISE_E10value_typeEPNSK_ISF_E10value_typeEPSG_NS1_7vsmem_tEENKUlT_SE_SF_SG_E_clIS8_S8_S9_S9_EESD_ST_SE_SF_SG_EUlST_E_NS1_11comp_targetILNS1_3genE8ELNS1_11target_archE1030ELNS1_3gpuE2ELNS1_3repE0EEENS1_48merge_mergepath_partition_config_static_selectorELNS0_4arch9wavefront6targetE0EEEvSF_.num_agpr, 0
	.set _ZN7rocprim17ROCPRIM_400000_NS6detail17trampoline_kernelINS0_14default_configENS1_38merge_sort_block_merge_config_selectorIjNS0_10empty_typeEEEZZNS1_27merge_sort_block_merge_implIS3_PjPS5_jNS1_19radix_merge_compareILb0ELb1EjNS0_19identity_decomposerEEEEE10hipError_tT0_T1_T2_jT3_P12ihipStream_tbPNSt15iterator_traitsISE_E10value_typeEPNSK_ISF_E10value_typeEPSG_NS1_7vsmem_tEENKUlT_SE_SF_SG_E_clIS8_S8_S9_S9_EESD_ST_SE_SF_SG_EUlST_E_NS1_11comp_targetILNS1_3genE8ELNS1_11target_archE1030ELNS1_3gpuE2ELNS1_3repE0EEENS1_48merge_mergepath_partition_config_static_selectorELNS0_4arch9wavefront6targetE0EEEvSF_.numbered_sgpr, 0
	.set _ZN7rocprim17ROCPRIM_400000_NS6detail17trampoline_kernelINS0_14default_configENS1_38merge_sort_block_merge_config_selectorIjNS0_10empty_typeEEEZZNS1_27merge_sort_block_merge_implIS3_PjPS5_jNS1_19radix_merge_compareILb0ELb1EjNS0_19identity_decomposerEEEEE10hipError_tT0_T1_T2_jT3_P12ihipStream_tbPNSt15iterator_traitsISE_E10value_typeEPNSK_ISF_E10value_typeEPSG_NS1_7vsmem_tEENKUlT_SE_SF_SG_E_clIS8_S8_S9_S9_EESD_ST_SE_SF_SG_EUlST_E_NS1_11comp_targetILNS1_3genE8ELNS1_11target_archE1030ELNS1_3gpuE2ELNS1_3repE0EEENS1_48merge_mergepath_partition_config_static_selectorELNS0_4arch9wavefront6targetE0EEEvSF_.num_named_barrier, 0
	.set _ZN7rocprim17ROCPRIM_400000_NS6detail17trampoline_kernelINS0_14default_configENS1_38merge_sort_block_merge_config_selectorIjNS0_10empty_typeEEEZZNS1_27merge_sort_block_merge_implIS3_PjPS5_jNS1_19radix_merge_compareILb0ELb1EjNS0_19identity_decomposerEEEEE10hipError_tT0_T1_T2_jT3_P12ihipStream_tbPNSt15iterator_traitsISE_E10value_typeEPNSK_ISF_E10value_typeEPSG_NS1_7vsmem_tEENKUlT_SE_SF_SG_E_clIS8_S8_S9_S9_EESD_ST_SE_SF_SG_EUlST_E_NS1_11comp_targetILNS1_3genE8ELNS1_11target_archE1030ELNS1_3gpuE2ELNS1_3repE0EEENS1_48merge_mergepath_partition_config_static_selectorELNS0_4arch9wavefront6targetE0EEEvSF_.private_seg_size, 0
	.set _ZN7rocprim17ROCPRIM_400000_NS6detail17trampoline_kernelINS0_14default_configENS1_38merge_sort_block_merge_config_selectorIjNS0_10empty_typeEEEZZNS1_27merge_sort_block_merge_implIS3_PjPS5_jNS1_19radix_merge_compareILb0ELb1EjNS0_19identity_decomposerEEEEE10hipError_tT0_T1_T2_jT3_P12ihipStream_tbPNSt15iterator_traitsISE_E10value_typeEPNSK_ISF_E10value_typeEPSG_NS1_7vsmem_tEENKUlT_SE_SF_SG_E_clIS8_S8_S9_S9_EESD_ST_SE_SF_SG_EUlST_E_NS1_11comp_targetILNS1_3genE8ELNS1_11target_archE1030ELNS1_3gpuE2ELNS1_3repE0EEENS1_48merge_mergepath_partition_config_static_selectorELNS0_4arch9wavefront6targetE0EEEvSF_.uses_vcc, 0
	.set _ZN7rocprim17ROCPRIM_400000_NS6detail17trampoline_kernelINS0_14default_configENS1_38merge_sort_block_merge_config_selectorIjNS0_10empty_typeEEEZZNS1_27merge_sort_block_merge_implIS3_PjPS5_jNS1_19radix_merge_compareILb0ELb1EjNS0_19identity_decomposerEEEEE10hipError_tT0_T1_T2_jT3_P12ihipStream_tbPNSt15iterator_traitsISE_E10value_typeEPNSK_ISF_E10value_typeEPSG_NS1_7vsmem_tEENKUlT_SE_SF_SG_E_clIS8_S8_S9_S9_EESD_ST_SE_SF_SG_EUlST_E_NS1_11comp_targetILNS1_3genE8ELNS1_11target_archE1030ELNS1_3gpuE2ELNS1_3repE0EEENS1_48merge_mergepath_partition_config_static_selectorELNS0_4arch9wavefront6targetE0EEEvSF_.uses_flat_scratch, 0
	.set _ZN7rocprim17ROCPRIM_400000_NS6detail17trampoline_kernelINS0_14default_configENS1_38merge_sort_block_merge_config_selectorIjNS0_10empty_typeEEEZZNS1_27merge_sort_block_merge_implIS3_PjPS5_jNS1_19radix_merge_compareILb0ELb1EjNS0_19identity_decomposerEEEEE10hipError_tT0_T1_T2_jT3_P12ihipStream_tbPNSt15iterator_traitsISE_E10value_typeEPNSK_ISF_E10value_typeEPSG_NS1_7vsmem_tEENKUlT_SE_SF_SG_E_clIS8_S8_S9_S9_EESD_ST_SE_SF_SG_EUlST_E_NS1_11comp_targetILNS1_3genE8ELNS1_11target_archE1030ELNS1_3gpuE2ELNS1_3repE0EEENS1_48merge_mergepath_partition_config_static_selectorELNS0_4arch9wavefront6targetE0EEEvSF_.has_dyn_sized_stack, 0
	.set _ZN7rocprim17ROCPRIM_400000_NS6detail17trampoline_kernelINS0_14default_configENS1_38merge_sort_block_merge_config_selectorIjNS0_10empty_typeEEEZZNS1_27merge_sort_block_merge_implIS3_PjPS5_jNS1_19radix_merge_compareILb0ELb1EjNS0_19identity_decomposerEEEEE10hipError_tT0_T1_T2_jT3_P12ihipStream_tbPNSt15iterator_traitsISE_E10value_typeEPNSK_ISF_E10value_typeEPSG_NS1_7vsmem_tEENKUlT_SE_SF_SG_E_clIS8_S8_S9_S9_EESD_ST_SE_SF_SG_EUlST_E_NS1_11comp_targetILNS1_3genE8ELNS1_11target_archE1030ELNS1_3gpuE2ELNS1_3repE0EEENS1_48merge_mergepath_partition_config_static_selectorELNS0_4arch9wavefront6targetE0EEEvSF_.has_recursion, 0
	.set _ZN7rocprim17ROCPRIM_400000_NS6detail17trampoline_kernelINS0_14default_configENS1_38merge_sort_block_merge_config_selectorIjNS0_10empty_typeEEEZZNS1_27merge_sort_block_merge_implIS3_PjPS5_jNS1_19radix_merge_compareILb0ELb1EjNS0_19identity_decomposerEEEEE10hipError_tT0_T1_T2_jT3_P12ihipStream_tbPNSt15iterator_traitsISE_E10value_typeEPNSK_ISF_E10value_typeEPSG_NS1_7vsmem_tEENKUlT_SE_SF_SG_E_clIS8_S8_S9_S9_EESD_ST_SE_SF_SG_EUlST_E_NS1_11comp_targetILNS1_3genE8ELNS1_11target_archE1030ELNS1_3gpuE2ELNS1_3repE0EEENS1_48merge_mergepath_partition_config_static_selectorELNS0_4arch9wavefront6targetE0EEEvSF_.has_indirect_call, 0
	.section	.AMDGPU.csdata,"",@progbits
; Kernel info:
; codeLenInByte = 0
; TotalNumSgprs: 0
; NumVgprs: 0
; ScratchSize: 0
; MemoryBound: 0
; FloatMode: 240
; IeeeMode: 1
; LDSByteSize: 0 bytes/workgroup (compile time only)
; SGPRBlocks: 0
; VGPRBlocks: 0
; NumSGPRsForWavesPerEU: 1
; NumVGPRsForWavesPerEU: 1
; NamedBarCnt: 0
; Occupancy: 16
; WaveLimiterHint : 0
; COMPUTE_PGM_RSRC2:SCRATCH_EN: 0
; COMPUTE_PGM_RSRC2:USER_SGPR: 2
; COMPUTE_PGM_RSRC2:TRAP_HANDLER: 0
; COMPUTE_PGM_RSRC2:TGID_X_EN: 1
; COMPUTE_PGM_RSRC2:TGID_Y_EN: 0
; COMPUTE_PGM_RSRC2:TGID_Z_EN: 0
; COMPUTE_PGM_RSRC2:TIDIG_COMP_CNT: 0
	.section	.text._ZN7rocprim17ROCPRIM_400000_NS6detail17trampoline_kernelINS0_14default_configENS1_38merge_sort_block_merge_config_selectorIjNS0_10empty_typeEEEZZNS1_27merge_sort_block_merge_implIS3_PjPS5_jNS1_19radix_merge_compareILb0ELb1EjNS0_19identity_decomposerEEEEE10hipError_tT0_T1_T2_jT3_P12ihipStream_tbPNSt15iterator_traitsISE_E10value_typeEPNSK_ISF_E10value_typeEPSG_NS1_7vsmem_tEENKUlT_SE_SF_SG_E_clIS8_S8_S9_S9_EESD_ST_SE_SF_SG_EUlST_E0_NS1_11comp_targetILNS1_3genE0ELNS1_11target_archE4294967295ELNS1_3gpuE0ELNS1_3repE0EEENS1_38merge_mergepath_config_static_selectorELNS0_4arch9wavefront6targetE0EEEvSF_,"axG",@progbits,_ZN7rocprim17ROCPRIM_400000_NS6detail17trampoline_kernelINS0_14default_configENS1_38merge_sort_block_merge_config_selectorIjNS0_10empty_typeEEEZZNS1_27merge_sort_block_merge_implIS3_PjPS5_jNS1_19radix_merge_compareILb0ELb1EjNS0_19identity_decomposerEEEEE10hipError_tT0_T1_T2_jT3_P12ihipStream_tbPNSt15iterator_traitsISE_E10value_typeEPNSK_ISF_E10value_typeEPSG_NS1_7vsmem_tEENKUlT_SE_SF_SG_E_clIS8_S8_S9_S9_EESD_ST_SE_SF_SG_EUlST_E0_NS1_11comp_targetILNS1_3genE0ELNS1_11target_archE4294967295ELNS1_3gpuE0ELNS1_3repE0EEENS1_38merge_mergepath_config_static_selectorELNS0_4arch9wavefront6targetE0EEEvSF_,comdat
	.protected	_ZN7rocprim17ROCPRIM_400000_NS6detail17trampoline_kernelINS0_14default_configENS1_38merge_sort_block_merge_config_selectorIjNS0_10empty_typeEEEZZNS1_27merge_sort_block_merge_implIS3_PjPS5_jNS1_19radix_merge_compareILb0ELb1EjNS0_19identity_decomposerEEEEE10hipError_tT0_T1_T2_jT3_P12ihipStream_tbPNSt15iterator_traitsISE_E10value_typeEPNSK_ISF_E10value_typeEPSG_NS1_7vsmem_tEENKUlT_SE_SF_SG_E_clIS8_S8_S9_S9_EESD_ST_SE_SF_SG_EUlST_E0_NS1_11comp_targetILNS1_3genE0ELNS1_11target_archE4294967295ELNS1_3gpuE0ELNS1_3repE0EEENS1_38merge_mergepath_config_static_selectorELNS0_4arch9wavefront6targetE0EEEvSF_ ; -- Begin function _ZN7rocprim17ROCPRIM_400000_NS6detail17trampoline_kernelINS0_14default_configENS1_38merge_sort_block_merge_config_selectorIjNS0_10empty_typeEEEZZNS1_27merge_sort_block_merge_implIS3_PjPS5_jNS1_19radix_merge_compareILb0ELb1EjNS0_19identity_decomposerEEEEE10hipError_tT0_T1_T2_jT3_P12ihipStream_tbPNSt15iterator_traitsISE_E10value_typeEPNSK_ISF_E10value_typeEPSG_NS1_7vsmem_tEENKUlT_SE_SF_SG_E_clIS8_S8_S9_S9_EESD_ST_SE_SF_SG_EUlST_E0_NS1_11comp_targetILNS1_3genE0ELNS1_11target_archE4294967295ELNS1_3gpuE0ELNS1_3repE0EEENS1_38merge_mergepath_config_static_selectorELNS0_4arch9wavefront6targetE0EEEvSF_
	.globl	_ZN7rocprim17ROCPRIM_400000_NS6detail17trampoline_kernelINS0_14default_configENS1_38merge_sort_block_merge_config_selectorIjNS0_10empty_typeEEEZZNS1_27merge_sort_block_merge_implIS3_PjPS5_jNS1_19radix_merge_compareILb0ELb1EjNS0_19identity_decomposerEEEEE10hipError_tT0_T1_T2_jT3_P12ihipStream_tbPNSt15iterator_traitsISE_E10value_typeEPNSK_ISF_E10value_typeEPSG_NS1_7vsmem_tEENKUlT_SE_SF_SG_E_clIS8_S8_S9_S9_EESD_ST_SE_SF_SG_EUlST_E0_NS1_11comp_targetILNS1_3genE0ELNS1_11target_archE4294967295ELNS1_3gpuE0ELNS1_3repE0EEENS1_38merge_mergepath_config_static_selectorELNS0_4arch9wavefront6targetE0EEEvSF_
	.p2align	8
	.type	_ZN7rocprim17ROCPRIM_400000_NS6detail17trampoline_kernelINS0_14default_configENS1_38merge_sort_block_merge_config_selectorIjNS0_10empty_typeEEEZZNS1_27merge_sort_block_merge_implIS3_PjPS5_jNS1_19radix_merge_compareILb0ELb1EjNS0_19identity_decomposerEEEEE10hipError_tT0_T1_T2_jT3_P12ihipStream_tbPNSt15iterator_traitsISE_E10value_typeEPNSK_ISF_E10value_typeEPSG_NS1_7vsmem_tEENKUlT_SE_SF_SG_E_clIS8_S8_S9_S9_EESD_ST_SE_SF_SG_EUlST_E0_NS1_11comp_targetILNS1_3genE0ELNS1_11target_archE4294967295ELNS1_3gpuE0ELNS1_3repE0EEENS1_38merge_mergepath_config_static_selectorELNS0_4arch9wavefront6targetE0EEEvSF_,@function
_ZN7rocprim17ROCPRIM_400000_NS6detail17trampoline_kernelINS0_14default_configENS1_38merge_sort_block_merge_config_selectorIjNS0_10empty_typeEEEZZNS1_27merge_sort_block_merge_implIS3_PjPS5_jNS1_19radix_merge_compareILb0ELb1EjNS0_19identity_decomposerEEEEE10hipError_tT0_T1_T2_jT3_P12ihipStream_tbPNSt15iterator_traitsISE_E10value_typeEPNSK_ISF_E10value_typeEPSG_NS1_7vsmem_tEENKUlT_SE_SF_SG_E_clIS8_S8_S9_S9_EESD_ST_SE_SF_SG_EUlST_E0_NS1_11comp_targetILNS1_3genE0ELNS1_11target_archE4294967295ELNS1_3gpuE0ELNS1_3repE0EEENS1_38merge_mergepath_config_static_selectorELNS0_4arch9wavefront6targetE0EEEvSF_: ; @_ZN7rocprim17ROCPRIM_400000_NS6detail17trampoline_kernelINS0_14default_configENS1_38merge_sort_block_merge_config_selectorIjNS0_10empty_typeEEEZZNS1_27merge_sort_block_merge_implIS3_PjPS5_jNS1_19radix_merge_compareILb0ELb1EjNS0_19identity_decomposerEEEEE10hipError_tT0_T1_T2_jT3_P12ihipStream_tbPNSt15iterator_traitsISE_E10value_typeEPNSK_ISF_E10value_typeEPSG_NS1_7vsmem_tEENKUlT_SE_SF_SG_E_clIS8_S8_S9_S9_EESD_ST_SE_SF_SG_EUlST_E0_NS1_11comp_targetILNS1_3genE0ELNS1_11target_archE4294967295ELNS1_3gpuE0ELNS1_3repE0EEENS1_38merge_mergepath_config_static_selectorELNS0_4arch9wavefront6targetE0EEEvSF_
; %bb.0:
	s_bfe_u32 s2, ttmp6, 0x40010
	s_and_b32 s4, ttmp7, 0xffff
	s_add_co_i32 s5, s2, 1
	s_clause 0x1
	s_load_b64 s[10:11], s[0:1], 0x30
	s_load_b64 s[2:3], s[0:1], 0x40
	s_bfe_u32 s7, ttmp6, 0x4000c
	s_mul_i32 s5, s4, s5
	s_bfe_u32 s6, ttmp6, 0x40004
	s_add_co_i32 s7, s7, 1
	s_bfe_u32 s8, ttmp6, 0x40014
	s_add_co_i32 s6, s6, s5
	s_and_b32 s5, ttmp6, 15
	s_mul_i32 s7, ttmp9, s7
	s_lshr_b32 s9, ttmp7, 16
	s_add_co_i32 s8, s8, 1
	s_add_co_i32 s5, s5, s7
	s_mul_i32 s7, s9, s8
	s_bfe_u32 s8, ttmp6, 0x40008
	s_getreg_b32 s12, hwreg(HW_REG_IB_STS2, 6, 4)
	s_add_co_i32 s8, s8, s7
	s_cmp_eq_u32 s12, 0
	s_cselect_b32 s7, s9, s8
	s_cselect_b32 s4, s4, s6
	s_wait_kmcnt 0x0
	s_mul_i32 s7, s3, s7
	s_cselect_b32 s3, ttmp9, s5
	s_add_co_i32 s4, s7, s4
	s_mov_b32 s5, 0
	s_mul_i32 s4, s4, s2
	s_delay_alu instid0(SALU_CYCLE_1) | instskip(NEXT) | instid1(SALU_CYCLE_1)
	s_add_co_i32 s4, s4, s3
	s_cmp_ge_u32 s4, s10
	s_cbranch_scc1 .LBB2710_43
; %bb.1:
	v_mov_b32_e32 v11, 0
	s_add_nc_u64 s[6:7], s[0:1], 64
	v_lshlrev_b32_e32 v10, 2, v0
	global_load_b32 v1, v11, s[6:7] offset:14
	s_clause 0x2
	s_load_b64 s[8:9], s[0:1], 0x28
	s_load_b64 s[12:13], s[0:1], 0x38
	;; [unrolled: 1-line block ×3, first 2 shown]
	s_wait_kmcnt 0x0
	s_lshr_b32 s15, s8, 10
	s_delay_alu instid0(SALU_CYCLE_1)
	s_cmp_lg_u32 s4, s15
	s_cselect_b32 s14, -1, 0
	s_lshl_b64 s[16:17], s[4:5], 2
	s_lshr_b32 s10, s9, 9
	s_add_nc_u64 s[12:13], s[12:13], s[16:17]
	s_and_b32 s10, s10, 0x7ffffe
	s_load_b64 s[16:17], s[12:13], 0x0
	s_wait_xcnt 0x0
	s_sub_co_i32 s12, 0, s10
	s_lshl_b32 s10, s4, 10
	s_and_b32 s13, s4, s12
	s_or_b32 s20, s4, s12
	s_lshl_b32 s12, s13, 11
	s_lshl_b32 s13, s13, 10
	s_add_co_i32 s12, s12, s9
	s_sub_co_i32 s21, s10, s13
	s_sub_co_i32 s13, s12, s13
	s_add_co_i32 s12, s12, s21
	s_min_u32 s21, s8, s13
	s_add_co_i32 s9, s13, s9
	s_wait_kmcnt 0x0
	s_sub_co_i32 s13, s12, s16
	s_sub_co_i32 s22, s12, s17
	s_min_u32 s12, s8, s13
	s_addk_co_i32 s22, 0x400
	s_cmp_eq_u32 s20, -1
	s_mov_b32 s13, s5
	s_cselect_b32 s9, s9, s22
	s_cselect_b32 s22, s21, s17
	s_mov_b32 s17, s5
	s_lshl_b64 s[20:21], s[12:13], 2
	s_min_u32 s13, s9, s8
	s_sub_co_i32 s9, s22, s16
	s_lshl_b64 s[22:23], s[16:17], 2
	s_sub_co_i32 s16, s13, s12
	s_cmp_lt_u32 s3, s2
	s_mov_b32 s3, s5
	s_cselect_b32 s2, 12, 18
	s_add_nc_u64 s[12:13], s[18:19], s[22:23]
	s_add_nc_u64 s[2:3], s[6:7], s[2:3]
	s_cmp_eq_u32 s4, s15
	s_load_u16 s2, s[2:3], 0x0
	s_add_nc_u64 s[6:7], s[18:19], s[20:21]
	s_wait_loadcnt 0x0
	v_lshrrev_b32_e32 v2, 16, v1
	v_and_b32_e32 v1, 0xffff, v1
	s_delay_alu instid0(VALU_DEP_1) | instskip(SKIP_1) | instid1(VALU_DEP_1)
	v_mul_lo_u32 v1, v1, v2
	s_wait_kmcnt 0x0
	v_mul_lo_u32 v1, v1, s2
	s_mov_b32 s2, -1
	s_delay_alu instid0(VALU_DEP_1) | instskip(NEXT) | instid1(VALU_DEP_1)
	v_add_nc_u32_e32 v14, v1, v0
	v_add_nc_u32_e32 v12, v14, v1
	s_cbranch_scc1 .LBB2710_3
; %bb.2:
	v_sub_co_u32 v4, vcc_lo, v0, s9
	v_dual_mov_b32 v5, v11 :: v_dual_mov_b32 v15, v11
	v_add_nc_u64_e32 v[2:3], s[12:13], v[10:11]
	v_sub_co_u32 v8, s2, v14, s9
	s_delay_alu instid0(VALU_DEP_3) | instskip(SKIP_3) | instid1(VALU_DEP_4)
	v_lshl_add_u64 v[4:5], v[4:5], 2, s[6:7]
	v_dual_mov_b32 v9, v11 :: v_dual_mov_b32 v13, v11
	v_lshl_add_u64 v[6:7], v[14:15], 2, s[12:13]
	v_dual_mov_b32 v17, v11 :: v_dual_add_nc_u32 v18, v12, v1
	v_dual_cndmask_b32 v3, v5, v3 :: v_dual_cndmask_b32 v2, v4, v2
	s_delay_alu instid0(VALU_DEP_4) | instskip(SKIP_3) | instid1(VALU_DEP_4)
	v_lshl_add_u64 v[4:5], v[8:9], 2, s[6:7]
	v_sub_co_u32 v16, vcc_lo, v12, s9
	v_mov_b32_e32 v19, v11
	v_lshl_add_u64 v[8:9], v[12:13], 2, s[12:13]
	v_dual_cndmask_b32 v5, v5, v7, s2 :: v_dual_cndmask_b32 v4, v4, v6, s2
	v_mov_b32_e32 v21, v11
	v_lshl_add_u64 v[6:7], v[16:17], 2, s[6:7]
	v_lshl_add_u64 v[16:17], v[18:19], 2, s[12:13]
	v_sub_co_u32 v20, s2, v18, s9
	v_dual_mov_b32 v23, v11 :: v_dual_add_nc_u32 v18, v18, v1
	global_load_b32 v2, v[2:3], off
	global_load_b32 v3, v[4:5], off
	s_wait_xcnt 0x0
	v_dual_cndmask_b32 v5, v7, v9 :: v_dual_cndmask_b32 v4, v6, v8
	v_lshl_add_u64 v[6:7], v[20:21], 2, s[6:7]
	v_lshl_add_u64 v[8:9], v[18:19], 2, s[12:13]
	v_sub_co_u32 v20, vcc_lo, v18, s9
	v_dual_mov_b32 v25, v11 :: v_dual_add_nc_u32 v18, v18, v1
	s_delay_alu instid0(VALU_DEP_4) | instskip(NEXT) | instid1(VALU_DEP_3)
	v_dual_cndmask_b32 v17, v7, v17, s2 :: v_dual_cndmask_b32 v16, v6, v16, s2
	v_lshl_add_u64 v[6:7], v[20:21], 2, s[6:7]
	s_delay_alu instid0(VALU_DEP_3) | instskip(SKIP_2) | instid1(VALU_DEP_4)
	v_lshl_add_u64 v[20:21], v[18:19], 2, s[12:13]
	v_add_nc_u32_e32 v22, v18, v1
	v_sub_co_u32 v18, s2, v18, s9
	v_dual_cndmask_b32 v31, v7, v9 :: v_dual_cndmask_b32 v30, v6, v8
	global_load_b32 v4, v[4:5], off
	v_lshl_add_u64 v[18:19], v[18:19], 2, s[6:7]
	s_add_co_i32 s15, s16, s9
	s_delay_alu instid0(VALU_DEP_1) | instskip(SKIP_3) | instid1(VALU_DEP_1)
	v_cndmask_b32_e64 v18, v18, v20, s2
	v_lshl_add_u64 v[26:27], v[22:23], 2, s[12:13]
	v_add_nc_u32_e32 v24, v22, v1
	v_sub_co_u32 v22, s3, v22, s9
	v_lshl_add_u64 v[22:23], v[22:23], 2, s[6:7]
	v_cndmask_b32_e64 v19, v19, v21, s2
	s_delay_alu instid0(VALU_DEP_2) | instskip(SKIP_3) | instid1(VALU_DEP_2)
	v_cndmask_b32_e64 v21, v23, v27, s3
	v_lshl_add_u64 v[28:29], v[24:25], 2, s[12:13]
	v_sub_co_u32 v24, s4, v24, s9
	v_cndmask_b32_e64 v20, v22, v26, s3
	v_lshl_add_u64 v[6:7], v[24:25], 2, s[6:7]
	s_delay_alu instid0(VALU_DEP_1)
	v_dual_cndmask_b32 v23, v7, v29, s4 :: v_dual_cndmask_b32 v22, v6, v28, s4
	global_load_b32 v5, v[16:17], off
	global_load_b32 v6, v[30:31], off
	;; [unrolled: 1-line block ×5, first 2 shown]
	s_cbranch_execz .LBB2710_4
	s_branch .LBB2710_19
.LBB2710_3:
                                        ; implicit-def: $vgpr2_vgpr3_vgpr4_vgpr5_vgpr6_vgpr7_vgpr8_vgpr9
                                        ; implicit-def: $sgpr15
	s_and_not1_b32 vcc_lo, exec_lo, s2
	s_cbranch_vccnz .LBB2710_19
.LBB2710_4:
	s_wait_loadcnt 0x7
	v_mov_b32_e32 v2, 0
	s_add_co_i32 s15, s16, s9
	s_mov_b32 s2, exec_lo
	s_wait_loadcnt 0x5
	s_delay_alu instid0(VALU_DEP_1)
	v_dual_mov_b32 v3, v2 :: v_dual_mov_b32 v4, v2
	s_wait_loadcnt 0x3
	v_dual_mov_b32 v5, v2 :: v_dual_mov_b32 v6, v2
	s_wait_loadcnt 0x1
	;; [unrolled: 2-line block ×3, first 2 shown]
	v_mov_b32_e32 v9, v2
	v_cmpx_gt_u32_e64 s15, v0
	s_cbranch_execnz .LBB2710_44
; %bb.5:
	s_or_b32 exec_lo, exec_lo, s2
	s_delay_alu instid0(SALU_CYCLE_1)
	s_mov_b32 s2, exec_lo
	v_cmpx_gt_u32_e64 s15, v14
	s_cbranch_execnz .LBB2710_45
.LBB2710_6:
	s_or_b32 exec_lo, exec_lo, s2
	s_delay_alu instid0(SALU_CYCLE_1)
	s_mov_b32 s2, exec_lo
	v_cmpx_gt_u32_e64 s15, v12
	s_cbranch_execz .LBB2710_8
.LBB2710_7:
	v_sub_co_u32 v16, vcc_lo, v12, s9
	v_mov_b32_e32 v13, 0
	s_delay_alu instid0(VALU_DEP_1) | instskip(SKIP_1) | instid1(VALU_DEP_1)
	v_lshl_add_u64 v[14:15], v[12:13], 2, s[12:13]
	v_mov_b32_e32 v17, v13
	v_lshl_add_u64 v[16:17], v[16:17], 2, s[6:7]
	s_delay_alu instid0(VALU_DEP_1)
	v_dual_cndmask_b32 v15, v17, v15 :: v_dual_cndmask_b32 v14, v16, v14
	global_load_b32 v4, v[14:15], off
.LBB2710_8:
	s_wait_xcnt 0x0
	s_or_b32 exec_lo, exec_lo, s2
	v_add_nc_u32_e32 v12, v12, v1
	s_mov_b32 s2, exec_lo
	s_delay_alu instid0(VALU_DEP_1)
	v_cmpx_gt_u32_e64 s15, v12
	s_cbranch_execz .LBB2710_10
; %bb.9:
	v_sub_co_u32 v16, vcc_lo, v12, s9
	v_mov_b32_e32 v13, 0
	s_delay_alu instid0(VALU_DEP_1) | instskip(SKIP_1) | instid1(VALU_DEP_1)
	v_lshl_add_u64 v[14:15], v[12:13], 2, s[12:13]
	v_mov_b32_e32 v17, v13
	v_lshl_add_u64 v[16:17], v[16:17], 2, s[6:7]
	s_delay_alu instid0(VALU_DEP_1)
	v_dual_cndmask_b32 v15, v17, v15 :: v_dual_cndmask_b32 v14, v16, v14
	global_load_b32 v5, v[14:15], off
.LBB2710_10:
	s_wait_xcnt 0x0
	s_or_b32 exec_lo, exec_lo, s2
	v_add_nc_u32_e32 v12, v12, v1
	s_mov_b32 s2, exec_lo
	s_delay_alu instid0(VALU_DEP_1)
	v_cmpx_gt_u32_e64 s15, v12
	s_cbranch_execz .LBB2710_12
; %bb.11:
	v_sub_co_u32 v16, vcc_lo, v12, s9
	v_mov_b32_e32 v13, 0
	s_delay_alu instid0(VALU_DEP_1) | instskip(SKIP_1) | instid1(VALU_DEP_1)
	v_lshl_add_u64 v[14:15], v[12:13], 2, s[12:13]
	v_mov_b32_e32 v17, v13
	v_lshl_add_u64 v[16:17], v[16:17], 2, s[6:7]
	s_delay_alu instid0(VALU_DEP_1)
	v_dual_cndmask_b32 v15, v17, v15 :: v_dual_cndmask_b32 v14, v16, v14
	global_load_b32 v6, v[14:15], off
.LBB2710_12:
	;; [unrolled: 18-line block ×4, first 2 shown]
	s_wait_xcnt 0x0
	s_or_b32 exec_lo, exec_lo, s2
	v_add_nc_u32_e32 v12, v12, v1
	s_mov_b32 s2, exec_lo
	s_delay_alu instid0(VALU_DEP_1)
	v_cmpx_gt_u32_e64 s15, v12
	s_cbranch_execz .LBB2710_18
; %bb.17:
	v_mov_b32_e32 v13, 0
	s_delay_alu instid0(VALU_DEP_1) | instskip(SKIP_1) | instid1(VALU_DEP_1)
	v_lshl_add_u64 v[14:15], v[12:13], 2, s[12:13]
	v_sub_co_u32 v12, vcc_lo, v12, s9
	v_lshl_add_u64 v[12:13], v[12:13], 2, s[6:7]
	s_delay_alu instid0(VALU_DEP_1)
	v_dual_cndmask_b32 v13, v13, v15 :: v_dual_cndmask_b32 v12, v12, v14
	global_load_b32 v9, v[12:13], off
.LBB2710_18:
	s_wait_xcnt 0x0
	s_or_b32 exec_lo, exec_lo, s2
.LBB2710_19:
	s_load_b64 s[12:13], s[0:1], 0x10
	v_lshlrev_b32_e32 v1, 3, v0
	s_wait_xcnt 0x0
	s_mov_b32 s0, exec_lo
	s_wait_loadcnt 0x0
	ds_store_2addr_stride64_b32 v10, v2, v3 offset1:2
	ds_store_2addr_stride64_b32 v10, v4, v5 offset0:4 offset1:6
	ds_store_2addr_stride64_b32 v10, v6, v7 offset0:8 offset1:10
	ds_store_2addr_stride64_b32 v10, v8, v9 offset0:12 offset1:14
	s_wait_dscnt 0x0
	s_barrier_signal -1
	v_min_u32_e32 v12, s15, v1
	s_barrier_wait -1
	s_delay_alu instid0(VALU_DEP_1) | instskip(SKIP_1) | instid1(VALU_DEP_1)
	v_sub_nc_u32_e64 v11, v12, s16 clamp
	v_min_u32_e32 v13, s9, v12
	v_cmpx_lt_u32_e64 v11, v13
	s_cbranch_execz .LBB2710_23
; %bb.20:
	v_lshlrev_b32_e32 v14, 2, v12
	s_mov_b32 s1, 0
	s_delay_alu instid0(VALU_DEP_1)
	v_lshl_add_u32 v14, s9, 2, v14
.LBB2710_21:                            ; =>This Inner Loop Header: Depth=1
	v_add_nc_u32_e32 v15, v13, v11
	s_delay_alu instid0(VALU_DEP_1) | instskip(NEXT) | instid1(VALU_DEP_1)
	v_lshrrev_b32_e32 v15, 1, v15
	v_not_b32_e32 v16, v15
	v_lshlrev_b32_e32 v17, 2, v15
	s_delay_alu instid0(VALU_DEP_2)
	v_lshl_add_u32 v16, v16, 2, v14
	ds_load_b32 v17, v17
	ds_load_b32 v16, v16
	s_wait_dscnt 0x1
	v_and_b32_e32 v17, s11, v17
	s_wait_dscnt 0x0
	v_dual_add_nc_u32 v18, 1, v15 :: v_dual_bitop2_b32 v16, s11, v16 bitop3:0x40
	s_delay_alu instid0(VALU_DEP_1) | instskip(SKIP_1) | instid1(VALU_DEP_3)
	v_cmp_gt_u32_e32 vcc_lo, v17, v16
	v_cndmask_b32_e32 v13, v13, v15, vcc_lo
	v_cndmask_b32_e32 v11, v18, v11, vcc_lo
	s_delay_alu instid0(VALU_DEP_1) | instskip(SKIP_1) | instid1(SALU_CYCLE_1)
	v_cmp_ge_u32_e32 vcc_lo, v11, v13
	s_or_b32 s1, vcc_lo, s1
	s_and_not1_b32 exec_lo, exec_lo, s1
	s_cbranch_execnz .LBB2710_21
; %bb.22:
	s_or_b32 exec_lo, exec_lo, s1
.LBB2710_23:
	s_delay_alu instid0(SALU_CYCLE_1) | instskip(SKIP_2) | instid1(VALU_DEP_2)
	s_or_b32 exec_lo, exec_lo, s0
	v_sub_nc_u32_e32 v12, v12, v11
	v_cmp_ge_u32_e32 vcc_lo, s9, v11
	v_add_nc_u32_e32 v12, s9, v12
	s_delay_alu instid0(VALU_DEP_1) | instskip(SKIP_1) | instid1(SALU_CYCLE_1)
	v_cmp_ge_u32_e64 s0, s15, v12
	s_or_b32 s0, vcc_lo, s0
	s_and_saveexec_b32 s16, s0
	s_cbranch_execz .LBB2710_29
; %bb.24:
	v_cmp_gt_u32_e32 vcc_lo, s9, v11
                                        ; implicit-def: $vgpr2
	s_and_saveexec_b32 s0, vcc_lo
; %bb.25:
	v_lshlrev_b32_e32 v2, 2, v11
	ds_load_b32 v2, v2
; %bb.26:
	s_or_b32 exec_lo, exec_lo, s0
	v_cmp_le_u32_e64 s0, s15, v12
	s_mov_b32 s2, exec_lo
                                        ; implicit-def: $vgpr3
	v_cmpx_gt_u32_e64 s15, v12
; %bb.27:
	v_lshlrev_b32_e32 v3, 2, v12
	ds_load_b32 v3, v3
; %bb.28:
	s_or_b32 exec_lo, exec_lo, s2
	s_wait_dscnt 0x0
	v_and_b32_e32 v4, s11, v3
	v_and_b32_e32 v5, s11, v2
	s_delay_alu instid0(VALU_DEP_1) | instskip(SKIP_2) | instid1(SALU_CYCLE_1)
	v_cmp_le_u32_e64 s1, v5, v4
	v_mov_b32_e32 v4, s9
	s_and_b32 s1, vcc_lo, s1
	s_or_b32 vcc_lo, s0, s1
	v_cndmask_b32_e32 v5, v12, v11, vcc_lo
	s_delay_alu instid0(VALU_DEP_1) | instskip(NEXT) | instid1(VALU_DEP_1)
	v_dual_cndmask_b32 v6, s15, v4 :: v_dual_add_nc_u32 v5, 1, v5
	v_add_min_u32_e64 v6, v6, -1, v5
	v_dual_cndmask_b32 v8, v11, v5 :: v_dual_cndmask_b32 v5, v5, v12
	s_delay_alu instid0(VALU_DEP_2) | instskip(NEXT) | instid1(VALU_DEP_2)
	v_lshlrev_b32_e32 v6, 2, v6
	v_cmp_gt_u32_e64 s0, s9, v8
	s_delay_alu instid0(VALU_DEP_3) | instskip(SKIP_4) | instid1(VALU_DEP_2)
	v_cmp_le_u32_e64 s2, s15, v5
	ds_load_b32 v6, v6
	s_wait_dscnt 0x0
	v_cndmask_b32_e32 v7, v6, v3, vcc_lo
	v_cndmask_b32_e32 v6, v2, v6, vcc_lo
	v_dual_cndmask_b32 v2, v3, v2, vcc_lo :: v_dual_bitop2_b32 v9, s11, v7 bitop3:0x40
	s_delay_alu instid0(VALU_DEP_2) | instskip(NEXT) | instid1(VALU_DEP_1)
	v_and_b32_e32 v11, s11, v6
	v_cmp_le_u32_e64 s1, v11, v9
	s_and_b32 s0, s0, s1
	s_delay_alu instid0(SALU_CYCLE_1) | instskip(NEXT) | instid1(SALU_CYCLE_1)
	s_or_b32 s0, s2, s0
	v_cndmask_b32_e64 v9, v5, v8, s0
	s_delay_alu instid0(VALU_DEP_1) | instskip(NEXT) | instid1(VALU_DEP_1)
	v_dual_cndmask_b32 v11, s15, v4, s0 :: v_dual_add_nc_u32 v9, 1, v9
	v_add_min_u32_e64 v11, v11, -1, v9
	v_cndmask_b32_e64 v8, v8, v9, s0
	s_delay_alu instid0(VALU_DEP_2) | instskip(NEXT) | instid1(VALU_DEP_2)
	v_dual_cndmask_b32 v5, v9, v5, s0 :: v_dual_lshlrev_b32 v11, 2, v11
	v_cmp_gt_u32_e64 s1, s9, v8
	s_delay_alu instid0(VALU_DEP_2) | instskip(SKIP_3) | instid1(VALU_DEP_1)
	v_cmp_le_u32_e64 s3, s15, v5
	ds_load_b32 v11, v11
	s_wait_dscnt 0x0
	v_cndmask_b32_e64 v12, v11, v7, s0
	v_dual_cndmask_b32 v11, v6, v11, s0 :: v_dual_bitop2_b32 v13, s11, v12 bitop3:0x40
	s_delay_alu instid0(VALU_DEP_1) | instskip(NEXT) | instid1(VALU_DEP_1)
	v_and_b32_e32 v14, s11, v11
	v_cmp_le_u32_e64 s2, v14, v13
	s_and_b32 s1, s1, s2
	s_delay_alu instid0(SALU_CYCLE_1) | instskip(NEXT) | instid1(SALU_CYCLE_1)
	s_or_b32 s1, s3, s1
	v_cndmask_b32_e64 v9, v5, v8, s1
	s_delay_alu instid0(VALU_DEP_1) | instskip(NEXT) | instid1(VALU_DEP_1)
	v_dual_cndmask_b32 v13, s15, v4, s1 :: v_dual_add_nc_u32 v9, 1, v9
	v_add_min_u32_e64 v13, v13, -1, v9
	v_cndmask_b32_e64 v5, v9, v5, s1
	s_delay_alu instid0(VALU_DEP_2) | instskip(NEXT) | instid1(VALU_DEP_2)
	v_lshlrev_b32_e32 v13, 2, v13
	v_cmp_le_u32_e64 s4, s15, v5
	ds_load_b32 v13, v13
	s_wait_dscnt 0x0
	v_dual_cndmask_b32 v14, v13, v12, s1 :: v_dual_cndmask_b32 v13, v11, v13, s1
	s_delay_alu instid0(VALU_DEP_1) | instskip(NEXT) | instid1(VALU_DEP_2)
	v_dual_cndmask_b32 v8, v8, v9, s1 :: v_dual_bitop2_b32 v15, s11, v14 bitop3:0x40
	v_and_b32_e32 v16, s11, v13
	s_delay_alu instid0(VALU_DEP_2) | instskip(NEXT) | instid1(VALU_DEP_2)
	v_cmp_gt_u32_e64 s2, s9, v8
	v_cmp_le_u32_e64 s3, v16, v15
	s_and_b32 s2, s2, s3
	s_delay_alu instid0(SALU_CYCLE_1) | instskip(NEXT) | instid1(SALU_CYCLE_1)
	s_or_b32 s2, s4, s2
	v_cndmask_b32_e64 v9, v5, v8, s2
	s_delay_alu instid0(VALU_DEP_1) | instskip(NEXT) | instid1(VALU_DEP_1)
	v_dual_cndmask_b32 v15, s15, v4, s2 :: v_dual_add_nc_u32 v9, 1, v9
	v_add_min_u32_e64 v15, v15, -1, v9
	s_delay_alu instid0(VALU_DEP_1) | instskip(SKIP_4) | instid1(VALU_DEP_1)
	v_dual_lshlrev_b32 v15, 2, v15 :: v_dual_cndmask_b32 v5, v9, v5, s2
	ds_load_b32 v15, v15
	v_cmp_le_u32_e64 s5, s15, v5
	s_wait_dscnt 0x0
	v_dual_cndmask_b32 v16, v15, v14, s2 :: v_dual_cndmask_b32 v15, v13, v15, s2
	v_dual_cndmask_b32 v8, v8, v9, s2 :: v_dual_bitop2_b32 v17, s11, v16 bitop3:0x40
	s_delay_alu instid0(VALU_DEP_2) | instskip(NEXT) | instid1(VALU_DEP_2)
	v_and_b32_e32 v18, s11, v15
	v_cmp_gt_u32_e64 s3, s9, v8
	s_delay_alu instid0(VALU_DEP_2) | instskip(SKIP_1) | instid1(SALU_CYCLE_1)
	v_cmp_le_u32_e64 s4, v18, v17
	s_and_b32 s3, s3, s4
	s_or_b32 s3, s5, s3
	s_delay_alu instid0(SALU_CYCLE_1) | instskip(NEXT) | instid1(VALU_DEP_1)
	v_cndmask_b32_e64 v9, v5, v8, s3
	v_dual_cndmask_b32 v17, s15, v4, s3 :: v_dual_add_nc_u32 v9, 1, v9
	s_delay_alu instid0(VALU_DEP_1) | instskip(SKIP_1) | instid1(VALU_DEP_2)
	v_add_min_u32_e64 v17, v17, -1, v9
	v_cndmask_b32_e64 v5, v9, v5, s3
	v_lshlrev_b32_e32 v17, 2, v17
	s_delay_alu instid0(VALU_DEP_2) | instskip(SKIP_3) | instid1(VALU_DEP_1)
	v_cmp_le_u32_e64 s6, s15, v5
	ds_load_b32 v17, v17
	s_wait_dscnt 0x0
	v_dual_cndmask_b32 v18, v17, v16, s3 :: v_dual_cndmask_b32 v17, v15, v17, s3
	v_dual_cndmask_b32 v8, v8, v9, s3 :: v_dual_bitop2_b32 v19, s11, v18 bitop3:0x40
	s_delay_alu instid0(VALU_DEP_2) | instskip(NEXT) | instid1(VALU_DEP_2)
	v_and_b32_e32 v20, s11, v17
	v_cmp_gt_u32_e64 s4, s9, v8
	s_delay_alu instid0(VALU_DEP_2) | instskip(SKIP_1) | instid1(SALU_CYCLE_1)
	v_cmp_le_u32_e64 s5, v20, v19
	s_and_b32 s4, s4, s5
	s_or_b32 s4, s6, s4
	s_delay_alu instid0(SALU_CYCLE_1) | instskip(NEXT) | instid1(VALU_DEP_1)
	v_cndmask_b32_e64 v9, v5, v8, s4
	v_dual_cndmask_b32 v19, s15, v4, s4 :: v_dual_add_nc_u32 v9, 1, v9
	s_delay_alu instid0(VALU_DEP_1) | instskip(NEXT) | instid1(VALU_DEP_1)
	v_add_min_u32_e64 v19, v19, -1, v9
	v_dual_lshlrev_b32 v19, 2, v19 :: v_dual_cndmask_b32 v5, v9, v5, s4
	ds_load_b32 v19, v19
	v_cmp_le_u32_e64 s7, s15, v5
	s_wait_dscnt 0x0
	v_dual_cndmask_b32 v20, v19, v18, s4 :: v_dual_cndmask_b32 v19, v17, v19, s4
	s_delay_alu instid0(VALU_DEP_1) | instskip(NEXT) | instid1(VALU_DEP_2)
	v_dual_cndmask_b32 v8, v8, v9, s4 :: v_dual_bitop2_b32 v21, s11, v20 bitop3:0x40
	v_and_b32_e32 v22, s11, v19
	s_delay_alu instid0(VALU_DEP_2) | instskip(NEXT) | instid1(VALU_DEP_2)
	v_cmp_gt_u32_e64 s5, s9, v8
	v_cmp_le_u32_e64 s6, v22, v21
	s_and_b32 s5, s5, s6
	s_delay_alu instid0(SALU_CYCLE_1) | instskip(NEXT) | instid1(SALU_CYCLE_1)
	s_or_b32 s5, s7, s5
	v_cndmask_b32_e64 v9, v5, v8, s5
	s_delay_alu instid0(VALU_DEP_1) | instskip(SKIP_1) | instid1(VALU_DEP_2)
	v_dual_cndmask_b32 v4, s15, v4, s5 :: v_dual_add_nc_u32 v9, 1, v9
	v_dual_cndmask_b32 v3, v7, v6, s0 :: v_dual_cndmask_b32 v7, v18, v17, s4
	v_add_min_u32_e64 v4, v4, -1, v9
	v_cndmask_b32_e64 v8, v8, v9, s5
	v_cndmask_b32_e64 v6, v9, v5, s5
	s_delay_alu instid0(VALU_DEP_3) | instskip(NEXT) | instid1(VALU_DEP_3)
	v_dual_cndmask_b32 v5, v14, v13, s2 :: v_dual_lshlrev_b32 v4, 2, v4
	v_cmp_gt_u32_e32 vcc_lo, s9, v8
	ds_load_b32 v4, v4
	s_wait_dscnt 0x0
	v_cndmask_b32_e64 v22, v19, v4, s5
	v_cndmask_b32_e64 v21, v4, v20, s5
	;; [unrolled: 1-line block ×3, first 2 shown]
	v_cmp_le_u32_e64 s1, s15, v6
	s_delay_alu instid0(VALU_DEP_4) | instskip(NEXT) | instid1(VALU_DEP_4)
	v_dual_cndmask_b32 v6, v16, v15, s3 :: v_dual_bitop2_b32 v24, s11, v22 bitop3:0x40
	v_and_b32_e32 v23, s11, v21
	s_delay_alu instid0(VALU_DEP_1) | instskip(SKIP_1) | instid1(SALU_CYCLE_1)
	v_cmp_le_u32_e64 s0, v24, v23
	s_and_b32 s0, vcc_lo, s0
	s_or_b32 vcc_lo, s1, s0
	s_delay_alu instid0(SALU_CYCLE_1)
	v_dual_cndmask_b32 v8, v20, v19, s5 :: v_dual_cndmask_b32 v9, v21, v22, vcc_lo
.LBB2710_29:
	s_or_b32 exec_lo, exec_lo, s16
	v_or_b32_e32 v14, 0x80, v0
	v_or_b32_e32 v12, 0x100, v0
	v_and_b32_e32 v11, 0x7c, v0
	v_lshrrev_b32_e32 v13, 3, v0
	s_delay_alu instid0(VALU_DEP_3) | instskip(NEXT) | instid1(VALU_DEP_3)
	v_dual_lshrrev_b32 v15, 3, v14 :: v_dual_lshrrev_b32 v16, 3, v12
	v_lshl_add_u32 v1, v1, 2, v11
	s_delay_alu instid0(VALU_DEP_3)
	v_and_b32_e32 v11, 12, v13
	v_or_b32_e32 v13, 0x180, v0
	s_barrier_signal -1
	s_barrier_wait -1
	s_barrier_signal -1
	s_barrier_wait -1
	v_and_b32_e32 v15, 28, v15
	ds_store_2addr_b32 v1, v2, v3 offset1:1
	ds_store_2addr_b32 v1, v4, v5 offset0:2 offset1:3
	ds_store_2addr_b32 v1, v6, v7 offset0:4 offset1:5
	;; [unrolled: 1-line block ×3, first 2 shown]
	v_dual_add_nc_u32 v8, v11, v10 :: v_dual_bitop2_b32 v16, 44, v16 bitop3:0x40
	v_lshrrev_b32_e32 v1, 3, v13
	v_or_b32_e32 v6, 0x200, v0
	v_or_b32_e32 v5, 0x280, v0
	;; [unrolled: 1-line block ×3, first 2 shown]
	v_dual_add_nc_u32 v9, v15, v10 :: v_dual_add_nc_u32 v15, v16, v10
	s_delay_alu instid0(VALU_DEP_4) | instskip(SKIP_1) | instid1(VALU_DEP_4)
	v_dual_lshrrev_b32 v3, 3, v6 :: v_dual_bitop2_b32 v2, 60, v1 bitop3:0x40
	v_or_b32_e32 v1, 0x380, v0
	v_dual_lshrrev_b32 v7, 3, v5 :: v_dual_lshrrev_b32 v11, 3, v4
	s_delay_alu instid0(VALU_DEP_3) | instskip(SKIP_1) | instid1(VALU_DEP_3)
	v_add_nc_u32_e32 v16, v2, v10
	s_mov_b32 s11, 0
	v_lshrrev_b32_e32 v2, 3, v1
	v_and_b32_e32 v3, 0x4c, v3
	v_and_b32_e32 v19, 0x6c, v11
	v_mov_b32_e32 v11, 0
	s_lshl_b64 s[0:1], s[10:11], 2
	v_and_b32_e32 v7, 0x5c, v7
	v_and_b32_e32 v20, 0x7c, v2
	s_wait_kmcnt 0x0
	s_add_nc_u64 s[0:1], s[12:13], s[0:1]
	v_add_nc_u32_e32 v17, v3, v10
	v_add_nc_u64_e32 v[2:3], s[0:1], v[10:11]
	v_add_nc_u32_e32 v18, v7, v10
	v_dual_add_nc_u32 v19, v19, v10 :: v_dual_add_nc_u32 v10, v20, v10
	s_and_b32 vcc_lo, exec_lo, s14
	s_wait_dscnt 0x0
	s_cbranch_vccz .LBB2710_31
; %bb.30:
	s_barrier_signal -1
	s_barrier_wait -1
	ds_load_b32 v11, v8
	ds_load_b32 v20, v9 offset:512
	ds_load_b32 v21, v15 offset:1024
	;; [unrolled: 1-line block ×7, first 2 shown]
	s_mov_b32 s11, -1
	s_wait_dscnt 0x7
	global_store_b32 v[2:3], v11, off
	s_wait_dscnt 0x6
	global_store_b32 v[2:3], v20, off offset:512
	s_wait_dscnt 0x5
	global_store_b32 v[2:3], v21, off offset:1024
	;; [unrolled: 2-line block ×6, first 2 shown]
	s_cbranch_execz .LBB2710_32
	s_branch .LBB2710_41
.LBB2710_31:
                                        ; implicit-def: $vgpr7
.LBB2710_32:
	s_barrier_signal -1
	s_barrier_wait -1
	s_wait_storecnt_dscnt 0x0
	s_wait_xcnt 0x4
	ds_load_b32 v21, v9 offset:512
	ds_load_b32 v20, v15 offset:1024
	;; [unrolled: 1-line block ×7, first 2 shown]
	s_sub_co_i32 s0, s8, s10
	s_mov_b32 s1, exec_lo
	s_wait_xcnt 0x0
	v_cmpx_gt_u32_e64 s0, v0
	s_cbranch_execnz .LBB2710_46
; %bb.33:
	s_or_b32 exec_lo, exec_lo, s1
	s_delay_alu instid0(SALU_CYCLE_1)
	s_mov_b32 s1, exec_lo
	v_cmpx_gt_u32_e64 s0, v14
	s_cbranch_execnz .LBB2710_47
.LBB2710_34:
	s_or_b32 exec_lo, exec_lo, s1
	s_delay_alu instid0(SALU_CYCLE_1)
	s_mov_b32 s1, exec_lo
	v_cmpx_gt_u32_e64 s0, v12
	s_cbranch_execnz .LBB2710_48
.LBB2710_35:
	s_or_b32 exec_lo, exec_lo, s1
	s_delay_alu instid0(SALU_CYCLE_1)
	s_mov_b32 s1, exec_lo
	v_cmpx_gt_u32_e64 s0, v13
	s_cbranch_execnz .LBB2710_49
.LBB2710_36:
	s_or_b32 exec_lo, exec_lo, s1
	s_delay_alu instid0(SALU_CYCLE_1)
	s_mov_b32 s1, exec_lo
	v_cmpx_gt_u32_e64 s0, v6
	s_cbranch_execnz .LBB2710_50
.LBB2710_37:
	s_or_b32 exec_lo, exec_lo, s1
	s_delay_alu instid0(SALU_CYCLE_1)
	s_mov_b32 s1, exec_lo
	v_cmpx_gt_u32_e64 s0, v5
	s_cbranch_execnz .LBB2710_51
.LBB2710_38:
	s_or_b32 exec_lo, exec_lo, s1
	s_delay_alu instid0(SALU_CYCLE_1)
	s_mov_b32 s1, exec_lo
	v_cmpx_gt_u32_e64 s0, v4
	s_cbranch_execz .LBB2710_40
.LBB2710_39:
	s_wait_dscnt 0x1
	global_store_b32 v[2:3], v9, off offset:3072
.LBB2710_40:
	s_wait_xcnt 0x0
	s_or_b32 exec_lo, exec_lo, s1
	v_cmp_gt_u32_e64 s11, s0, v1
.LBB2710_41:
	s_wait_xcnt 0x0
	s_delay_alu instid0(VALU_DEP_1)
	s_and_saveexec_b32 s0, s11
	s_cbranch_execz .LBB2710_43
; %bb.42:
	s_wait_dscnt 0x0
	global_store_b32 v[2:3], v7, off offset:3584
.LBB2710_43:
	s_endpgm
.LBB2710_44:
	v_dual_mov_b32 v11, v2 :: v_dual_mov_b32 v5, v2
	v_sub_co_u32 v4, vcc_lo, v0, s9
	v_dual_mov_b32 v17, v2 :: v_dual_mov_b32 v18, v2
	s_delay_alu instid0(VALU_DEP_3) | instskip(NEXT) | instid1(VALU_DEP_3)
	v_add_nc_u64_e32 v[6:7], s[12:13], v[10:11]
	v_lshl_add_u64 v[4:5], v[4:5], 2, s[6:7]
	v_dual_mov_b32 v19, v2 :: v_dual_mov_b32 v20, v2
	v_dual_mov_b32 v21, v2 :: v_dual_mov_b32 v22, v2
	s_delay_alu instid0(VALU_DEP_3) | instskip(NEXT) | instid1(VALU_DEP_4)
	v_dual_mov_b32 v23, v2 :: v_dual_cndmask_b32 v5, v5, v7, vcc_lo
	v_cndmask_b32_e32 v4, v4, v6, vcc_lo
	global_load_b32 v16, v[4:5], off
	s_wait_loadcnt 0x0
	v_mov_b64_e32 v[2:3], v[16:17]
	v_mov_b64_e32 v[4:5], v[18:19]
	v_mov_b64_e32 v[6:7], v[20:21]
	v_mov_b64_e32 v[8:9], v[22:23]
	s_or_b32 exec_lo, exec_lo, s2
	s_delay_alu instid0(SALU_CYCLE_1)
	s_mov_b32 s2, exec_lo
	v_cmpx_gt_u32_e64 s15, v14
	s_cbranch_execz .LBB2710_6
.LBB2710_45:
	v_mov_b32_e32 v15, 0
	s_delay_alu instid0(VALU_DEP_1) | instskip(SKIP_1) | instid1(VALU_DEP_1)
	v_lshl_add_u64 v[16:17], v[14:15], 2, s[12:13]
	v_sub_co_u32 v14, vcc_lo, v14, s9
	v_lshl_add_u64 v[14:15], v[14:15], 2, s[6:7]
	s_delay_alu instid0(VALU_DEP_1) | instskip(SKIP_3) | instid1(SALU_CYCLE_1)
	v_dual_cndmask_b32 v15, v15, v17 :: v_dual_cndmask_b32 v14, v14, v16
	global_load_b32 v3, v[14:15], off
	s_wait_xcnt 0x0
	s_or_b32 exec_lo, exec_lo, s2
	s_mov_b32 s2, exec_lo
	v_cmpx_gt_u32_e64 s15, v12
	s_cbranch_execnz .LBB2710_7
	s_branch .LBB2710_8
.LBB2710_46:
	ds_load_b32 v0, v8
	s_wait_dscnt 0x0
	global_store_b32 v[2:3], v0, off
	s_wait_xcnt 0x0
	s_or_b32 exec_lo, exec_lo, s1
	s_delay_alu instid0(SALU_CYCLE_1)
	s_mov_b32 s1, exec_lo
	v_cmpx_gt_u32_e64 s0, v14
	s_cbranch_execz .LBB2710_34
.LBB2710_47:
	s_wait_dscnt 0x6
	global_store_b32 v[2:3], v21, off offset:512
	s_wait_xcnt 0x0
	s_or_b32 exec_lo, exec_lo, s1
	s_delay_alu instid0(SALU_CYCLE_1)
	s_mov_b32 s1, exec_lo
	v_cmpx_gt_u32_e64 s0, v12
	s_cbranch_execz .LBB2710_35
.LBB2710_48:
	s_wait_dscnt 0x5
	global_store_b32 v[2:3], v20, off offset:1024
	s_wait_xcnt 0x0
	s_or_b32 exec_lo, exec_lo, s1
	s_delay_alu instid0(SALU_CYCLE_1)
	s_mov_b32 s1, exec_lo
	v_cmpx_gt_u32_e64 s0, v13
	s_cbranch_execz .LBB2710_36
.LBB2710_49:
	s_wait_dscnt 0x4
	global_store_b32 v[2:3], v16, off offset:1536
	s_wait_xcnt 0x0
	s_or_b32 exec_lo, exec_lo, s1
	s_delay_alu instid0(SALU_CYCLE_1)
	s_mov_b32 s1, exec_lo
	v_cmpx_gt_u32_e64 s0, v6
	s_cbranch_execz .LBB2710_37
.LBB2710_50:
	s_wait_dscnt 0x3
	global_store_b32 v[2:3], v15, off offset:2048
	s_wait_xcnt 0x0
	s_or_b32 exec_lo, exec_lo, s1
	s_delay_alu instid0(SALU_CYCLE_1)
	s_mov_b32 s1, exec_lo
	v_cmpx_gt_u32_e64 s0, v5
	s_cbranch_execz .LBB2710_38
.LBB2710_51:
	s_wait_dscnt 0x2
	global_store_b32 v[2:3], v11, off offset:2560
	s_wait_xcnt 0x0
	s_or_b32 exec_lo, exec_lo, s1
	s_delay_alu instid0(SALU_CYCLE_1)
	s_mov_b32 s1, exec_lo
	v_cmpx_gt_u32_e64 s0, v4
	s_cbranch_execnz .LBB2710_39
	s_branch .LBB2710_40
	.section	.rodata,"a",@progbits
	.p2align	6, 0x0
	.amdhsa_kernel _ZN7rocprim17ROCPRIM_400000_NS6detail17trampoline_kernelINS0_14default_configENS1_38merge_sort_block_merge_config_selectorIjNS0_10empty_typeEEEZZNS1_27merge_sort_block_merge_implIS3_PjPS5_jNS1_19radix_merge_compareILb0ELb1EjNS0_19identity_decomposerEEEEE10hipError_tT0_T1_T2_jT3_P12ihipStream_tbPNSt15iterator_traitsISE_E10value_typeEPNSK_ISF_E10value_typeEPSG_NS1_7vsmem_tEENKUlT_SE_SF_SG_E_clIS8_S8_S9_S9_EESD_ST_SE_SF_SG_EUlST_E0_NS1_11comp_targetILNS1_3genE0ELNS1_11target_archE4294967295ELNS1_3gpuE0ELNS1_3repE0EEENS1_38merge_mergepath_config_static_selectorELNS0_4arch9wavefront6targetE0EEEvSF_
		.amdhsa_group_segment_fixed_size 4224
		.amdhsa_private_segment_fixed_size 0
		.amdhsa_kernarg_size 320
		.amdhsa_user_sgpr_count 2
		.amdhsa_user_sgpr_dispatch_ptr 0
		.amdhsa_user_sgpr_queue_ptr 0
		.amdhsa_user_sgpr_kernarg_segment_ptr 1
		.amdhsa_user_sgpr_dispatch_id 0
		.amdhsa_user_sgpr_kernarg_preload_length 0
		.amdhsa_user_sgpr_kernarg_preload_offset 0
		.amdhsa_user_sgpr_private_segment_size 0
		.amdhsa_wavefront_size32 1
		.amdhsa_uses_dynamic_stack 0
		.amdhsa_enable_private_segment 0
		.amdhsa_system_sgpr_workgroup_id_x 1
		.amdhsa_system_sgpr_workgroup_id_y 1
		.amdhsa_system_sgpr_workgroup_id_z 1
		.amdhsa_system_sgpr_workgroup_info 0
		.amdhsa_system_vgpr_workitem_id 0
		.amdhsa_next_free_vgpr 32
		.amdhsa_next_free_sgpr 24
		.amdhsa_named_barrier_count 0
		.amdhsa_reserve_vcc 1
		.amdhsa_float_round_mode_32 0
		.amdhsa_float_round_mode_16_64 0
		.amdhsa_float_denorm_mode_32 3
		.amdhsa_float_denorm_mode_16_64 3
		.amdhsa_fp16_overflow 0
		.amdhsa_memory_ordered 1
		.amdhsa_forward_progress 1
		.amdhsa_inst_pref_size 34
		.amdhsa_round_robin_scheduling 0
		.amdhsa_exception_fp_ieee_invalid_op 0
		.amdhsa_exception_fp_denorm_src 0
		.amdhsa_exception_fp_ieee_div_zero 0
		.amdhsa_exception_fp_ieee_overflow 0
		.amdhsa_exception_fp_ieee_underflow 0
		.amdhsa_exception_fp_ieee_inexact 0
		.amdhsa_exception_int_div_zero 0
	.end_amdhsa_kernel
	.section	.text._ZN7rocprim17ROCPRIM_400000_NS6detail17trampoline_kernelINS0_14default_configENS1_38merge_sort_block_merge_config_selectorIjNS0_10empty_typeEEEZZNS1_27merge_sort_block_merge_implIS3_PjPS5_jNS1_19radix_merge_compareILb0ELb1EjNS0_19identity_decomposerEEEEE10hipError_tT0_T1_T2_jT3_P12ihipStream_tbPNSt15iterator_traitsISE_E10value_typeEPNSK_ISF_E10value_typeEPSG_NS1_7vsmem_tEENKUlT_SE_SF_SG_E_clIS8_S8_S9_S9_EESD_ST_SE_SF_SG_EUlST_E0_NS1_11comp_targetILNS1_3genE0ELNS1_11target_archE4294967295ELNS1_3gpuE0ELNS1_3repE0EEENS1_38merge_mergepath_config_static_selectorELNS0_4arch9wavefront6targetE0EEEvSF_,"axG",@progbits,_ZN7rocprim17ROCPRIM_400000_NS6detail17trampoline_kernelINS0_14default_configENS1_38merge_sort_block_merge_config_selectorIjNS0_10empty_typeEEEZZNS1_27merge_sort_block_merge_implIS3_PjPS5_jNS1_19radix_merge_compareILb0ELb1EjNS0_19identity_decomposerEEEEE10hipError_tT0_T1_T2_jT3_P12ihipStream_tbPNSt15iterator_traitsISE_E10value_typeEPNSK_ISF_E10value_typeEPSG_NS1_7vsmem_tEENKUlT_SE_SF_SG_E_clIS8_S8_S9_S9_EESD_ST_SE_SF_SG_EUlST_E0_NS1_11comp_targetILNS1_3genE0ELNS1_11target_archE4294967295ELNS1_3gpuE0ELNS1_3repE0EEENS1_38merge_mergepath_config_static_selectorELNS0_4arch9wavefront6targetE0EEEvSF_,comdat
.Lfunc_end2710:
	.size	_ZN7rocprim17ROCPRIM_400000_NS6detail17trampoline_kernelINS0_14default_configENS1_38merge_sort_block_merge_config_selectorIjNS0_10empty_typeEEEZZNS1_27merge_sort_block_merge_implIS3_PjPS5_jNS1_19radix_merge_compareILb0ELb1EjNS0_19identity_decomposerEEEEE10hipError_tT0_T1_T2_jT3_P12ihipStream_tbPNSt15iterator_traitsISE_E10value_typeEPNSK_ISF_E10value_typeEPSG_NS1_7vsmem_tEENKUlT_SE_SF_SG_E_clIS8_S8_S9_S9_EESD_ST_SE_SF_SG_EUlST_E0_NS1_11comp_targetILNS1_3genE0ELNS1_11target_archE4294967295ELNS1_3gpuE0ELNS1_3repE0EEENS1_38merge_mergepath_config_static_selectorELNS0_4arch9wavefront6targetE0EEEvSF_, .Lfunc_end2710-_ZN7rocprim17ROCPRIM_400000_NS6detail17trampoline_kernelINS0_14default_configENS1_38merge_sort_block_merge_config_selectorIjNS0_10empty_typeEEEZZNS1_27merge_sort_block_merge_implIS3_PjPS5_jNS1_19radix_merge_compareILb0ELb1EjNS0_19identity_decomposerEEEEE10hipError_tT0_T1_T2_jT3_P12ihipStream_tbPNSt15iterator_traitsISE_E10value_typeEPNSK_ISF_E10value_typeEPSG_NS1_7vsmem_tEENKUlT_SE_SF_SG_E_clIS8_S8_S9_S9_EESD_ST_SE_SF_SG_EUlST_E0_NS1_11comp_targetILNS1_3genE0ELNS1_11target_archE4294967295ELNS1_3gpuE0ELNS1_3repE0EEENS1_38merge_mergepath_config_static_selectorELNS0_4arch9wavefront6targetE0EEEvSF_
                                        ; -- End function
	.set _ZN7rocprim17ROCPRIM_400000_NS6detail17trampoline_kernelINS0_14default_configENS1_38merge_sort_block_merge_config_selectorIjNS0_10empty_typeEEEZZNS1_27merge_sort_block_merge_implIS3_PjPS5_jNS1_19radix_merge_compareILb0ELb1EjNS0_19identity_decomposerEEEEE10hipError_tT0_T1_T2_jT3_P12ihipStream_tbPNSt15iterator_traitsISE_E10value_typeEPNSK_ISF_E10value_typeEPSG_NS1_7vsmem_tEENKUlT_SE_SF_SG_E_clIS8_S8_S9_S9_EESD_ST_SE_SF_SG_EUlST_E0_NS1_11comp_targetILNS1_3genE0ELNS1_11target_archE4294967295ELNS1_3gpuE0ELNS1_3repE0EEENS1_38merge_mergepath_config_static_selectorELNS0_4arch9wavefront6targetE0EEEvSF_.num_vgpr, 32
	.set _ZN7rocprim17ROCPRIM_400000_NS6detail17trampoline_kernelINS0_14default_configENS1_38merge_sort_block_merge_config_selectorIjNS0_10empty_typeEEEZZNS1_27merge_sort_block_merge_implIS3_PjPS5_jNS1_19radix_merge_compareILb0ELb1EjNS0_19identity_decomposerEEEEE10hipError_tT0_T1_T2_jT3_P12ihipStream_tbPNSt15iterator_traitsISE_E10value_typeEPNSK_ISF_E10value_typeEPSG_NS1_7vsmem_tEENKUlT_SE_SF_SG_E_clIS8_S8_S9_S9_EESD_ST_SE_SF_SG_EUlST_E0_NS1_11comp_targetILNS1_3genE0ELNS1_11target_archE4294967295ELNS1_3gpuE0ELNS1_3repE0EEENS1_38merge_mergepath_config_static_selectorELNS0_4arch9wavefront6targetE0EEEvSF_.num_agpr, 0
	.set _ZN7rocprim17ROCPRIM_400000_NS6detail17trampoline_kernelINS0_14default_configENS1_38merge_sort_block_merge_config_selectorIjNS0_10empty_typeEEEZZNS1_27merge_sort_block_merge_implIS3_PjPS5_jNS1_19radix_merge_compareILb0ELb1EjNS0_19identity_decomposerEEEEE10hipError_tT0_T1_T2_jT3_P12ihipStream_tbPNSt15iterator_traitsISE_E10value_typeEPNSK_ISF_E10value_typeEPSG_NS1_7vsmem_tEENKUlT_SE_SF_SG_E_clIS8_S8_S9_S9_EESD_ST_SE_SF_SG_EUlST_E0_NS1_11comp_targetILNS1_3genE0ELNS1_11target_archE4294967295ELNS1_3gpuE0ELNS1_3repE0EEENS1_38merge_mergepath_config_static_selectorELNS0_4arch9wavefront6targetE0EEEvSF_.numbered_sgpr, 24
	.set _ZN7rocprim17ROCPRIM_400000_NS6detail17trampoline_kernelINS0_14default_configENS1_38merge_sort_block_merge_config_selectorIjNS0_10empty_typeEEEZZNS1_27merge_sort_block_merge_implIS3_PjPS5_jNS1_19radix_merge_compareILb0ELb1EjNS0_19identity_decomposerEEEEE10hipError_tT0_T1_T2_jT3_P12ihipStream_tbPNSt15iterator_traitsISE_E10value_typeEPNSK_ISF_E10value_typeEPSG_NS1_7vsmem_tEENKUlT_SE_SF_SG_E_clIS8_S8_S9_S9_EESD_ST_SE_SF_SG_EUlST_E0_NS1_11comp_targetILNS1_3genE0ELNS1_11target_archE4294967295ELNS1_3gpuE0ELNS1_3repE0EEENS1_38merge_mergepath_config_static_selectorELNS0_4arch9wavefront6targetE0EEEvSF_.num_named_barrier, 0
	.set _ZN7rocprim17ROCPRIM_400000_NS6detail17trampoline_kernelINS0_14default_configENS1_38merge_sort_block_merge_config_selectorIjNS0_10empty_typeEEEZZNS1_27merge_sort_block_merge_implIS3_PjPS5_jNS1_19radix_merge_compareILb0ELb1EjNS0_19identity_decomposerEEEEE10hipError_tT0_T1_T2_jT3_P12ihipStream_tbPNSt15iterator_traitsISE_E10value_typeEPNSK_ISF_E10value_typeEPSG_NS1_7vsmem_tEENKUlT_SE_SF_SG_E_clIS8_S8_S9_S9_EESD_ST_SE_SF_SG_EUlST_E0_NS1_11comp_targetILNS1_3genE0ELNS1_11target_archE4294967295ELNS1_3gpuE0ELNS1_3repE0EEENS1_38merge_mergepath_config_static_selectorELNS0_4arch9wavefront6targetE0EEEvSF_.private_seg_size, 0
	.set _ZN7rocprim17ROCPRIM_400000_NS6detail17trampoline_kernelINS0_14default_configENS1_38merge_sort_block_merge_config_selectorIjNS0_10empty_typeEEEZZNS1_27merge_sort_block_merge_implIS3_PjPS5_jNS1_19radix_merge_compareILb0ELb1EjNS0_19identity_decomposerEEEEE10hipError_tT0_T1_T2_jT3_P12ihipStream_tbPNSt15iterator_traitsISE_E10value_typeEPNSK_ISF_E10value_typeEPSG_NS1_7vsmem_tEENKUlT_SE_SF_SG_E_clIS8_S8_S9_S9_EESD_ST_SE_SF_SG_EUlST_E0_NS1_11comp_targetILNS1_3genE0ELNS1_11target_archE4294967295ELNS1_3gpuE0ELNS1_3repE0EEENS1_38merge_mergepath_config_static_selectorELNS0_4arch9wavefront6targetE0EEEvSF_.uses_vcc, 1
	.set _ZN7rocprim17ROCPRIM_400000_NS6detail17trampoline_kernelINS0_14default_configENS1_38merge_sort_block_merge_config_selectorIjNS0_10empty_typeEEEZZNS1_27merge_sort_block_merge_implIS3_PjPS5_jNS1_19radix_merge_compareILb0ELb1EjNS0_19identity_decomposerEEEEE10hipError_tT0_T1_T2_jT3_P12ihipStream_tbPNSt15iterator_traitsISE_E10value_typeEPNSK_ISF_E10value_typeEPSG_NS1_7vsmem_tEENKUlT_SE_SF_SG_E_clIS8_S8_S9_S9_EESD_ST_SE_SF_SG_EUlST_E0_NS1_11comp_targetILNS1_3genE0ELNS1_11target_archE4294967295ELNS1_3gpuE0ELNS1_3repE0EEENS1_38merge_mergepath_config_static_selectorELNS0_4arch9wavefront6targetE0EEEvSF_.uses_flat_scratch, 0
	.set _ZN7rocprim17ROCPRIM_400000_NS6detail17trampoline_kernelINS0_14default_configENS1_38merge_sort_block_merge_config_selectorIjNS0_10empty_typeEEEZZNS1_27merge_sort_block_merge_implIS3_PjPS5_jNS1_19radix_merge_compareILb0ELb1EjNS0_19identity_decomposerEEEEE10hipError_tT0_T1_T2_jT3_P12ihipStream_tbPNSt15iterator_traitsISE_E10value_typeEPNSK_ISF_E10value_typeEPSG_NS1_7vsmem_tEENKUlT_SE_SF_SG_E_clIS8_S8_S9_S9_EESD_ST_SE_SF_SG_EUlST_E0_NS1_11comp_targetILNS1_3genE0ELNS1_11target_archE4294967295ELNS1_3gpuE0ELNS1_3repE0EEENS1_38merge_mergepath_config_static_selectorELNS0_4arch9wavefront6targetE0EEEvSF_.has_dyn_sized_stack, 0
	.set _ZN7rocprim17ROCPRIM_400000_NS6detail17trampoline_kernelINS0_14default_configENS1_38merge_sort_block_merge_config_selectorIjNS0_10empty_typeEEEZZNS1_27merge_sort_block_merge_implIS3_PjPS5_jNS1_19radix_merge_compareILb0ELb1EjNS0_19identity_decomposerEEEEE10hipError_tT0_T1_T2_jT3_P12ihipStream_tbPNSt15iterator_traitsISE_E10value_typeEPNSK_ISF_E10value_typeEPSG_NS1_7vsmem_tEENKUlT_SE_SF_SG_E_clIS8_S8_S9_S9_EESD_ST_SE_SF_SG_EUlST_E0_NS1_11comp_targetILNS1_3genE0ELNS1_11target_archE4294967295ELNS1_3gpuE0ELNS1_3repE0EEENS1_38merge_mergepath_config_static_selectorELNS0_4arch9wavefront6targetE0EEEvSF_.has_recursion, 0
	.set _ZN7rocprim17ROCPRIM_400000_NS6detail17trampoline_kernelINS0_14default_configENS1_38merge_sort_block_merge_config_selectorIjNS0_10empty_typeEEEZZNS1_27merge_sort_block_merge_implIS3_PjPS5_jNS1_19radix_merge_compareILb0ELb1EjNS0_19identity_decomposerEEEEE10hipError_tT0_T1_T2_jT3_P12ihipStream_tbPNSt15iterator_traitsISE_E10value_typeEPNSK_ISF_E10value_typeEPSG_NS1_7vsmem_tEENKUlT_SE_SF_SG_E_clIS8_S8_S9_S9_EESD_ST_SE_SF_SG_EUlST_E0_NS1_11comp_targetILNS1_3genE0ELNS1_11target_archE4294967295ELNS1_3gpuE0ELNS1_3repE0EEENS1_38merge_mergepath_config_static_selectorELNS0_4arch9wavefront6targetE0EEEvSF_.has_indirect_call, 0
	.section	.AMDGPU.csdata,"",@progbits
; Kernel info:
; codeLenInByte = 4260
; TotalNumSgprs: 26
; NumVgprs: 32
; ScratchSize: 0
; MemoryBound: 0
; FloatMode: 240
; IeeeMode: 1
; LDSByteSize: 4224 bytes/workgroup (compile time only)
; SGPRBlocks: 0
; VGPRBlocks: 1
; NumSGPRsForWavesPerEU: 26
; NumVGPRsForWavesPerEU: 32
; NamedBarCnt: 0
; Occupancy: 16
; WaveLimiterHint : 1
; COMPUTE_PGM_RSRC2:SCRATCH_EN: 0
; COMPUTE_PGM_RSRC2:USER_SGPR: 2
; COMPUTE_PGM_RSRC2:TRAP_HANDLER: 0
; COMPUTE_PGM_RSRC2:TGID_X_EN: 1
; COMPUTE_PGM_RSRC2:TGID_Y_EN: 1
; COMPUTE_PGM_RSRC2:TGID_Z_EN: 1
; COMPUTE_PGM_RSRC2:TIDIG_COMP_CNT: 0
	.section	.text._ZN7rocprim17ROCPRIM_400000_NS6detail17trampoline_kernelINS0_14default_configENS1_38merge_sort_block_merge_config_selectorIjNS0_10empty_typeEEEZZNS1_27merge_sort_block_merge_implIS3_PjPS5_jNS1_19radix_merge_compareILb0ELb1EjNS0_19identity_decomposerEEEEE10hipError_tT0_T1_T2_jT3_P12ihipStream_tbPNSt15iterator_traitsISE_E10value_typeEPNSK_ISF_E10value_typeEPSG_NS1_7vsmem_tEENKUlT_SE_SF_SG_E_clIS8_S8_S9_S9_EESD_ST_SE_SF_SG_EUlST_E0_NS1_11comp_targetILNS1_3genE10ELNS1_11target_archE1201ELNS1_3gpuE5ELNS1_3repE0EEENS1_38merge_mergepath_config_static_selectorELNS0_4arch9wavefront6targetE0EEEvSF_,"axG",@progbits,_ZN7rocprim17ROCPRIM_400000_NS6detail17trampoline_kernelINS0_14default_configENS1_38merge_sort_block_merge_config_selectorIjNS0_10empty_typeEEEZZNS1_27merge_sort_block_merge_implIS3_PjPS5_jNS1_19radix_merge_compareILb0ELb1EjNS0_19identity_decomposerEEEEE10hipError_tT0_T1_T2_jT3_P12ihipStream_tbPNSt15iterator_traitsISE_E10value_typeEPNSK_ISF_E10value_typeEPSG_NS1_7vsmem_tEENKUlT_SE_SF_SG_E_clIS8_S8_S9_S9_EESD_ST_SE_SF_SG_EUlST_E0_NS1_11comp_targetILNS1_3genE10ELNS1_11target_archE1201ELNS1_3gpuE5ELNS1_3repE0EEENS1_38merge_mergepath_config_static_selectorELNS0_4arch9wavefront6targetE0EEEvSF_,comdat
	.protected	_ZN7rocprim17ROCPRIM_400000_NS6detail17trampoline_kernelINS0_14default_configENS1_38merge_sort_block_merge_config_selectorIjNS0_10empty_typeEEEZZNS1_27merge_sort_block_merge_implIS3_PjPS5_jNS1_19radix_merge_compareILb0ELb1EjNS0_19identity_decomposerEEEEE10hipError_tT0_T1_T2_jT3_P12ihipStream_tbPNSt15iterator_traitsISE_E10value_typeEPNSK_ISF_E10value_typeEPSG_NS1_7vsmem_tEENKUlT_SE_SF_SG_E_clIS8_S8_S9_S9_EESD_ST_SE_SF_SG_EUlST_E0_NS1_11comp_targetILNS1_3genE10ELNS1_11target_archE1201ELNS1_3gpuE5ELNS1_3repE0EEENS1_38merge_mergepath_config_static_selectorELNS0_4arch9wavefront6targetE0EEEvSF_ ; -- Begin function _ZN7rocprim17ROCPRIM_400000_NS6detail17trampoline_kernelINS0_14default_configENS1_38merge_sort_block_merge_config_selectorIjNS0_10empty_typeEEEZZNS1_27merge_sort_block_merge_implIS3_PjPS5_jNS1_19radix_merge_compareILb0ELb1EjNS0_19identity_decomposerEEEEE10hipError_tT0_T1_T2_jT3_P12ihipStream_tbPNSt15iterator_traitsISE_E10value_typeEPNSK_ISF_E10value_typeEPSG_NS1_7vsmem_tEENKUlT_SE_SF_SG_E_clIS8_S8_S9_S9_EESD_ST_SE_SF_SG_EUlST_E0_NS1_11comp_targetILNS1_3genE10ELNS1_11target_archE1201ELNS1_3gpuE5ELNS1_3repE0EEENS1_38merge_mergepath_config_static_selectorELNS0_4arch9wavefront6targetE0EEEvSF_
	.globl	_ZN7rocprim17ROCPRIM_400000_NS6detail17trampoline_kernelINS0_14default_configENS1_38merge_sort_block_merge_config_selectorIjNS0_10empty_typeEEEZZNS1_27merge_sort_block_merge_implIS3_PjPS5_jNS1_19radix_merge_compareILb0ELb1EjNS0_19identity_decomposerEEEEE10hipError_tT0_T1_T2_jT3_P12ihipStream_tbPNSt15iterator_traitsISE_E10value_typeEPNSK_ISF_E10value_typeEPSG_NS1_7vsmem_tEENKUlT_SE_SF_SG_E_clIS8_S8_S9_S9_EESD_ST_SE_SF_SG_EUlST_E0_NS1_11comp_targetILNS1_3genE10ELNS1_11target_archE1201ELNS1_3gpuE5ELNS1_3repE0EEENS1_38merge_mergepath_config_static_selectorELNS0_4arch9wavefront6targetE0EEEvSF_
	.p2align	8
	.type	_ZN7rocprim17ROCPRIM_400000_NS6detail17trampoline_kernelINS0_14default_configENS1_38merge_sort_block_merge_config_selectorIjNS0_10empty_typeEEEZZNS1_27merge_sort_block_merge_implIS3_PjPS5_jNS1_19radix_merge_compareILb0ELb1EjNS0_19identity_decomposerEEEEE10hipError_tT0_T1_T2_jT3_P12ihipStream_tbPNSt15iterator_traitsISE_E10value_typeEPNSK_ISF_E10value_typeEPSG_NS1_7vsmem_tEENKUlT_SE_SF_SG_E_clIS8_S8_S9_S9_EESD_ST_SE_SF_SG_EUlST_E0_NS1_11comp_targetILNS1_3genE10ELNS1_11target_archE1201ELNS1_3gpuE5ELNS1_3repE0EEENS1_38merge_mergepath_config_static_selectorELNS0_4arch9wavefront6targetE0EEEvSF_,@function
_ZN7rocprim17ROCPRIM_400000_NS6detail17trampoline_kernelINS0_14default_configENS1_38merge_sort_block_merge_config_selectorIjNS0_10empty_typeEEEZZNS1_27merge_sort_block_merge_implIS3_PjPS5_jNS1_19radix_merge_compareILb0ELb1EjNS0_19identity_decomposerEEEEE10hipError_tT0_T1_T2_jT3_P12ihipStream_tbPNSt15iterator_traitsISE_E10value_typeEPNSK_ISF_E10value_typeEPSG_NS1_7vsmem_tEENKUlT_SE_SF_SG_E_clIS8_S8_S9_S9_EESD_ST_SE_SF_SG_EUlST_E0_NS1_11comp_targetILNS1_3genE10ELNS1_11target_archE1201ELNS1_3gpuE5ELNS1_3repE0EEENS1_38merge_mergepath_config_static_selectorELNS0_4arch9wavefront6targetE0EEEvSF_: ; @_ZN7rocprim17ROCPRIM_400000_NS6detail17trampoline_kernelINS0_14default_configENS1_38merge_sort_block_merge_config_selectorIjNS0_10empty_typeEEEZZNS1_27merge_sort_block_merge_implIS3_PjPS5_jNS1_19radix_merge_compareILb0ELb1EjNS0_19identity_decomposerEEEEE10hipError_tT0_T1_T2_jT3_P12ihipStream_tbPNSt15iterator_traitsISE_E10value_typeEPNSK_ISF_E10value_typeEPSG_NS1_7vsmem_tEENKUlT_SE_SF_SG_E_clIS8_S8_S9_S9_EESD_ST_SE_SF_SG_EUlST_E0_NS1_11comp_targetILNS1_3genE10ELNS1_11target_archE1201ELNS1_3gpuE5ELNS1_3repE0EEENS1_38merge_mergepath_config_static_selectorELNS0_4arch9wavefront6targetE0EEEvSF_
; %bb.0:
	.section	.rodata,"a",@progbits
	.p2align	6, 0x0
	.amdhsa_kernel _ZN7rocprim17ROCPRIM_400000_NS6detail17trampoline_kernelINS0_14default_configENS1_38merge_sort_block_merge_config_selectorIjNS0_10empty_typeEEEZZNS1_27merge_sort_block_merge_implIS3_PjPS5_jNS1_19radix_merge_compareILb0ELb1EjNS0_19identity_decomposerEEEEE10hipError_tT0_T1_T2_jT3_P12ihipStream_tbPNSt15iterator_traitsISE_E10value_typeEPNSK_ISF_E10value_typeEPSG_NS1_7vsmem_tEENKUlT_SE_SF_SG_E_clIS8_S8_S9_S9_EESD_ST_SE_SF_SG_EUlST_E0_NS1_11comp_targetILNS1_3genE10ELNS1_11target_archE1201ELNS1_3gpuE5ELNS1_3repE0EEENS1_38merge_mergepath_config_static_selectorELNS0_4arch9wavefront6targetE0EEEvSF_
		.amdhsa_group_segment_fixed_size 0
		.amdhsa_private_segment_fixed_size 0
		.amdhsa_kernarg_size 64
		.amdhsa_user_sgpr_count 2
		.amdhsa_user_sgpr_dispatch_ptr 0
		.amdhsa_user_sgpr_queue_ptr 0
		.amdhsa_user_sgpr_kernarg_segment_ptr 1
		.amdhsa_user_sgpr_dispatch_id 0
		.amdhsa_user_sgpr_kernarg_preload_length 0
		.amdhsa_user_sgpr_kernarg_preload_offset 0
		.amdhsa_user_sgpr_private_segment_size 0
		.amdhsa_wavefront_size32 1
		.amdhsa_uses_dynamic_stack 0
		.amdhsa_enable_private_segment 0
		.amdhsa_system_sgpr_workgroup_id_x 1
		.amdhsa_system_sgpr_workgroup_id_y 0
		.amdhsa_system_sgpr_workgroup_id_z 0
		.amdhsa_system_sgpr_workgroup_info 0
		.amdhsa_system_vgpr_workitem_id 0
		.amdhsa_next_free_vgpr 1
		.amdhsa_next_free_sgpr 1
		.amdhsa_named_barrier_count 0
		.amdhsa_reserve_vcc 0
		.amdhsa_float_round_mode_32 0
		.amdhsa_float_round_mode_16_64 0
		.amdhsa_float_denorm_mode_32 3
		.amdhsa_float_denorm_mode_16_64 3
		.amdhsa_fp16_overflow 0
		.amdhsa_memory_ordered 1
		.amdhsa_forward_progress 1
		.amdhsa_inst_pref_size 0
		.amdhsa_round_robin_scheduling 0
		.amdhsa_exception_fp_ieee_invalid_op 0
		.amdhsa_exception_fp_denorm_src 0
		.amdhsa_exception_fp_ieee_div_zero 0
		.amdhsa_exception_fp_ieee_overflow 0
		.amdhsa_exception_fp_ieee_underflow 0
		.amdhsa_exception_fp_ieee_inexact 0
		.amdhsa_exception_int_div_zero 0
	.end_amdhsa_kernel
	.section	.text._ZN7rocprim17ROCPRIM_400000_NS6detail17trampoline_kernelINS0_14default_configENS1_38merge_sort_block_merge_config_selectorIjNS0_10empty_typeEEEZZNS1_27merge_sort_block_merge_implIS3_PjPS5_jNS1_19radix_merge_compareILb0ELb1EjNS0_19identity_decomposerEEEEE10hipError_tT0_T1_T2_jT3_P12ihipStream_tbPNSt15iterator_traitsISE_E10value_typeEPNSK_ISF_E10value_typeEPSG_NS1_7vsmem_tEENKUlT_SE_SF_SG_E_clIS8_S8_S9_S9_EESD_ST_SE_SF_SG_EUlST_E0_NS1_11comp_targetILNS1_3genE10ELNS1_11target_archE1201ELNS1_3gpuE5ELNS1_3repE0EEENS1_38merge_mergepath_config_static_selectorELNS0_4arch9wavefront6targetE0EEEvSF_,"axG",@progbits,_ZN7rocprim17ROCPRIM_400000_NS6detail17trampoline_kernelINS0_14default_configENS1_38merge_sort_block_merge_config_selectorIjNS0_10empty_typeEEEZZNS1_27merge_sort_block_merge_implIS3_PjPS5_jNS1_19radix_merge_compareILb0ELb1EjNS0_19identity_decomposerEEEEE10hipError_tT0_T1_T2_jT3_P12ihipStream_tbPNSt15iterator_traitsISE_E10value_typeEPNSK_ISF_E10value_typeEPSG_NS1_7vsmem_tEENKUlT_SE_SF_SG_E_clIS8_S8_S9_S9_EESD_ST_SE_SF_SG_EUlST_E0_NS1_11comp_targetILNS1_3genE10ELNS1_11target_archE1201ELNS1_3gpuE5ELNS1_3repE0EEENS1_38merge_mergepath_config_static_selectorELNS0_4arch9wavefront6targetE0EEEvSF_,comdat
.Lfunc_end2711:
	.size	_ZN7rocprim17ROCPRIM_400000_NS6detail17trampoline_kernelINS0_14default_configENS1_38merge_sort_block_merge_config_selectorIjNS0_10empty_typeEEEZZNS1_27merge_sort_block_merge_implIS3_PjPS5_jNS1_19radix_merge_compareILb0ELb1EjNS0_19identity_decomposerEEEEE10hipError_tT0_T1_T2_jT3_P12ihipStream_tbPNSt15iterator_traitsISE_E10value_typeEPNSK_ISF_E10value_typeEPSG_NS1_7vsmem_tEENKUlT_SE_SF_SG_E_clIS8_S8_S9_S9_EESD_ST_SE_SF_SG_EUlST_E0_NS1_11comp_targetILNS1_3genE10ELNS1_11target_archE1201ELNS1_3gpuE5ELNS1_3repE0EEENS1_38merge_mergepath_config_static_selectorELNS0_4arch9wavefront6targetE0EEEvSF_, .Lfunc_end2711-_ZN7rocprim17ROCPRIM_400000_NS6detail17trampoline_kernelINS0_14default_configENS1_38merge_sort_block_merge_config_selectorIjNS0_10empty_typeEEEZZNS1_27merge_sort_block_merge_implIS3_PjPS5_jNS1_19radix_merge_compareILb0ELb1EjNS0_19identity_decomposerEEEEE10hipError_tT0_T1_T2_jT3_P12ihipStream_tbPNSt15iterator_traitsISE_E10value_typeEPNSK_ISF_E10value_typeEPSG_NS1_7vsmem_tEENKUlT_SE_SF_SG_E_clIS8_S8_S9_S9_EESD_ST_SE_SF_SG_EUlST_E0_NS1_11comp_targetILNS1_3genE10ELNS1_11target_archE1201ELNS1_3gpuE5ELNS1_3repE0EEENS1_38merge_mergepath_config_static_selectorELNS0_4arch9wavefront6targetE0EEEvSF_
                                        ; -- End function
	.set _ZN7rocprim17ROCPRIM_400000_NS6detail17trampoline_kernelINS0_14default_configENS1_38merge_sort_block_merge_config_selectorIjNS0_10empty_typeEEEZZNS1_27merge_sort_block_merge_implIS3_PjPS5_jNS1_19radix_merge_compareILb0ELb1EjNS0_19identity_decomposerEEEEE10hipError_tT0_T1_T2_jT3_P12ihipStream_tbPNSt15iterator_traitsISE_E10value_typeEPNSK_ISF_E10value_typeEPSG_NS1_7vsmem_tEENKUlT_SE_SF_SG_E_clIS8_S8_S9_S9_EESD_ST_SE_SF_SG_EUlST_E0_NS1_11comp_targetILNS1_3genE10ELNS1_11target_archE1201ELNS1_3gpuE5ELNS1_3repE0EEENS1_38merge_mergepath_config_static_selectorELNS0_4arch9wavefront6targetE0EEEvSF_.num_vgpr, 0
	.set _ZN7rocprim17ROCPRIM_400000_NS6detail17trampoline_kernelINS0_14default_configENS1_38merge_sort_block_merge_config_selectorIjNS0_10empty_typeEEEZZNS1_27merge_sort_block_merge_implIS3_PjPS5_jNS1_19radix_merge_compareILb0ELb1EjNS0_19identity_decomposerEEEEE10hipError_tT0_T1_T2_jT3_P12ihipStream_tbPNSt15iterator_traitsISE_E10value_typeEPNSK_ISF_E10value_typeEPSG_NS1_7vsmem_tEENKUlT_SE_SF_SG_E_clIS8_S8_S9_S9_EESD_ST_SE_SF_SG_EUlST_E0_NS1_11comp_targetILNS1_3genE10ELNS1_11target_archE1201ELNS1_3gpuE5ELNS1_3repE0EEENS1_38merge_mergepath_config_static_selectorELNS0_4arch9wavefront6targetE0EEEvSF_.num_agpr, 0
	.set _ZN7rocprim17ROCPRIM_400000_NS6detail17trampoline_kernelINS0_14default_configENS1_38merge_sort_block_merge_config_selectorIjNS0_10empty_typeEEEZZNS1_27merge_sort_block_merge_implIS3_PjPS5_jNS1_19radix_merge_compareILb0ELb1EjNS0_19identity_decomposerEEEEE10hipError_tT0_T1_T2_jT3_P12ihipStream_tbPNSt15iterator_traitsISE_E10value_typeEPNSK_ISF_E10value_typeEPSG_NS1_7vsmem_tEENKUlT_SE_SF_SG_E_clIS8_S8_S9_S9_EESD_ST_SE_SF_SG_EUlST_E0_NS1_11comp_targetILNS1_3genE10ELNS1_11target_archE1201ELNS1_3gpuE5ELNS1_3repE0EEENS1_38merge_mergepath_config_static_selectorELNS0_4arch9wavefront6targetE0EEEvSF_.numbered_sgpr, 0
	.set _ZN7rocprim17ROCPRIM_400000_NS6detail17trampoline_kernelINS0_14default_configENS1_38merge_sort_block_merge_config_selectorIjNS0_10empty_typeEEEZZNS1_27merge_sort_block_merge_implIS3_PjPS5_jNS1_19radix_merge_compareILb0ELb1EjNS0_19identity_decomposerEEEEE10hipError_tT0_T1_T2_jT3_P12ihipStream_tbPNSt15iterator_traitsISE_E10value_typeEPNSK_ISF_E10value_typeEPSG_NS1_7vsmem_tEENKUlT_SE_SF_SG_E_clIS8_S8_S9_S9_EESD_ST_SE_SF_SG_EUlST_E0_NS1_11comp_targetILNS1_3genE10ELNS1_11target_archE1201ELNS1_3gpuE5ELNS1_3repE0EEENS1_38merge_mergepath_config_static_selectorELNS0_4arch9wavefront6targetE0EEEvSF_.num_named_barrier, 0
	.set _ZN7rocprim17ROCPRIM_400000_NS6detail17trampoline_kernelINS0_14default_configENS1_38merge_sort_block_merge_config_selectorIjNS0_10empty_typeEEEZZNS1_27merge_sort_block_merge_implIS3_PjPS5_jNS1_19radix_merge_compareILb0ELb1EjNS0_19identity_decomposerEEEEE10hipError_tT0_T1_T2_jT3_P12ihipStream_tbPNSt15iterator_traitsISE_E10value_typeEPNSK_ISF_E10value_typeEPSG_NS1_7vsmem_tEENKUlT_SE_SF_SG_E_clIS8_S8_S9_S9_EESD_ST_SE_SF_SG_EUlST_E0_NS1_11comp_targetILNS1_3genE10ELNS1_11target_archE1201ELNS1_3gpuE5ELNS1_3repE0EEENS1_38merge_mergepath_config_static_selectorELNS0_4arch9wavefront6targetE0EEEvSF_.private_seg_size, 0
	.set _ZN7rocprim17ROCPRIM_400000_NS6detail17trampoline_kernelINS0_14default_configENS1_38merge_sort_block_merge_config_selectorIjNS0_10empty_typeEEEZZNS1_27merge_sort_block_merge_implIS3_PjPS5_jNS1_19radix_merge_compareILb0ELb1EjNS0_19identity_decomposerEEEEE10hipError_tT0_T1_T2_jT3_P12ihipStream_tbPNSt15iterator_traitsISE_E10value_typeEPNSK_ISF_E10value_typeEPSG_NS1_7vsmem_tEENKUlT_SE_SF_SG_E_clIS8_S8_S9_S9_EESD_ST_SE_SF_SG_EUlST_E0_NS1_11comp_targetILNS1_3genE10ELNS1_11target_archE1201ELNS1_3gpuE5ELNS1_3repE0EEENS1_38merge_mergepath_config_static_selectorELNS0_4arch9wavefront6targetE0EEEvSF_.uses_vcc, 0
	.set _ZN7rocprim17ROCPRIM_400000_NS6detail17trampoline_kernelINS0_14default_configENS1_38merge_sort_block_merge_config_selectorIjNS0_10empty_typeEEEZZNS1_27merge_sort_block_merge_implIS3_PjPS5_jNS1_19radix_merge_compareILb0ELb1EjNS0_19identity_decomposerEEEEE10hipError_tT0_T1_T2_jT3_P12ihipStream_tbPNSt15iterator_traitsISE_E10value_typeEPNSK_ISF_E10value_typeEPSG_NS1_7vsmem_tEENKUlT_SE_SF_SG_E_clIS8_S8_S9_S9_EESD_ST_SE_SF_SG_EUlST_E0_NS1_11comp_targetILNS1_3genE10ELNS1_11target_archE1201ELNS1_3gpuE5ELNS1_3repE0EEENS1_38merge_mergepath_config_static_selectorELNS0_4arch9wavefront6targetE0EEEvSF_.uses_flat_scratch, 0
	.set _ZN7rocprim17ROCPRIM_400000_NS6detail17trampoline_kernelINS0_14default_configENS1_38merge_sort_block_merge_config_selectorIjNS0_10empty_typeEEEZZNS1_27merge_sort_block_merge_implIS3_PjPS5_jNS1_19radix_merge_compareILb0ELb1EjNS0_19identity_decomposerEEEEE10hipError_tT0_T1_T2_jT3_P12ihipStream_tbPNSt15iterator_traitsISE_E10value_typeEPNSK_ISF_E10value_typeEPSG_NS1_7vsmem_tEENKUlT_SE_SF_SG_E_clIS8_S8_S9_S9_EESD_ST_SE_SF_SG_EUlST_E0_NS1_11comp_targetILNS1_3genE10ELNS1_11target_archE1201ELNS1_3gpuE5ELNS1_3repE0EEENS1_38merge_mergepath_config_static_selectorELNS0_4arch9wavefront6targetE0EEEvSF_.has_dyn_sized_stack, 0
	.set _ZN7rocprim17ROCPRIM_400000_NS6detail17trampoline_kernelINS0_14default_configENS1_38merge_sort_block_merge_config_selectorIjNS0_10empty_typeEEEZZNS1_27merge_sort_block_merge_implIS3_PjPS5_jNS1_19radix_merge_compareILb0ELb1EjNS0_19identity_decomposerEEEEE10hipError_tT0_T1_T2_jT3_P12ihipStream_tbPNSt15iterator_traitsISE_E10value_typeEPNSK_ISF_E10value_typeEPSG_NS1_7vsmem_tEENKUlT_SE_SF_SG_E_clIS8_S8_S9_S9_EESD_ST_SE_SF_SG_EUlST_E0_NS1_11comp_targetILNS1_3genE10ELNS1_11target_archE1201ELNS1_3gpuE5ELNS1_3repE0EEENS1_38merge_mergepath_config_static_selectorELNS0_4arch9wavefront6targetE0EEEvSF_.has_recursion, 0
	.set _ZN7rocprim17ROCPRIM_400000_NS6detail17trampoline_kernelINS0_14default_configENS1_38merge_sort_block_merge_config_selectorIjNS0_10empty_typeEEEZZNS1_27merge_sort_block_merge_implIS3_PjPS5_jNS1_19radix_merge_compareILb0ELb1EjNS0_19identity_decomposerEEEEE10hipError_tT0_T1_T2_jT3_P12ihipStream_tbPNSt15iterator_traitsISE_E10value_typeEPNSK_ISF_E10value_typeEPSG_NS1_7vsmem_tEENKUlT_SE_SF_SG_E_clIS8_S8_S9_S9_EESD_ST_SE_SF_SG_EUlST_E0_NS1_11comp_targetILNS1_3genE10ELNS1_11target_archE1201ELNS1_3gpuE5ELNS1_3repE0EEENS1_38merge_mergepath_config_static_selectorELNS0_4arch9wavefront6targetE0EEEvSF_.has_indirect_call, 0
	.section	.AMDGPU.csdata,"",@progbits
; Kernel info:
; codeLenInByte = 0
; TotalNumSgprs: 0
; NumVgprs: 0
; ScratchSize: 0
; MemoryBound: 0
; FloatMode: 240
; IeeeMode: 1
; LDSByteSize: 0 bytes/workgroup (compile time only)
; SGPRBlocks: 0
; VGPRBlocks: 0
; NumSGPRsForWavesPerEU: 1
; NumVGPRsForWavesPerEU: 1
; NamedBarCnt: 0
; Occupancy: 16
; WaveLimiterHint : 0
; COMPUTE_PGM_RSRC2:SCRATCH_EN: 0
; COMPUTE_PGM_RSRC2:USER_SGPR: 2
; COMPUTE_PGM_RSRC2:TRAP_HANDLER: 0
; COMPUTE_PGM_RSRC2:TGID_X_EN: 1
; COMPUTE_PGM_RSRC2:TGID_Y_EN: 0
; COMPUTE_PGM_RSRC2:TGID_Z_EN: 0
; COMPUTE_PGM_RSRC2:TIDIG_COMP_CNT: 0
	.section	.text._ZN7rocprim17ROCPRIM_400000_NS6detail17trampoline_kernelINS0_14default_configENS1_38merge_sort_block_merge_config_selectorIjNS0_10empty_typeEEEZZNS1_27merge_sort_block_merge_implIS3_PjPS5_jNS1_19radix_merge_compareILb0ELb1EjNS0_19identity_decomposerEEEEE10hipError_tT0_T1_T2_jT3_P12ihipStream_tbPNSt15iterator_traitsISE_E10value_typeEPNSK_ISF_E10value_typeEPSG_NS1_7vsmem_tEENKUlT_SE_SF_SG_E_clIS8_S8_S9_S9_EESD_ST_SE_SF_SG_EUlST_E0_NS1_11comp_targetILNS1_3genE5ELNS1_11target_archE942ELNS1_3gpuE9ELNS1_3repE0EEENS1_38merge_mergepath_config_static_selectorELNS0_4arch9wavefront6targetE0EEEvSF_,"axG",@progbits,_ZN7rocprim17ROCPRIM_400000_NS6detail17trampoline_kernelINS0_14default_configENS1_38merge_sort_block_merge_config_selectorIjNS0_10empty_typeEEEZZNS1_27merge_sort_block_merge_implIS3_PjPS5_jNS1_19radix_merge_compareILb0ELb1EjNS0_19identity_decomposerEEEEE10hipError_tT0_T1_T2_jT3_P12ihipStream_tbPNSt15iterator_traitsISE_E10value_typeEPNSK_ISF_E10value_typeEPSG_NS1_7vsmem_tEENKUlT_SE_SF_SG_E_clIS8_S8_S9_S9_EESD_ST_SE_SF_SG_EUlST_E0_NS1_11comp_targetILNS1_3genE5ELNS1_11target_archE942ELNS1_3gpuE9ELNS1_3repE0EEENS1_38merge_mergepath_config_static_selectorELNS0_4arch9wavefront6targetE0EEEvSF_,comdat
	.protected	_ZN7rocprim17ROCPRIM_400000_NS6detail17trampoline_kernelINS0_14default_configENS1_38merge_sort_block_merge_config_selectorIjNS0_10empty_typeEEEZZNS1_27merge_sort_block_merge_implIS3_PjPS5_jNS1_19radix_merge_compareILb0ELb1EjNS0_19identity_decomposerEEEEE10hipError_tT0_T1_T2_jT3_P12ihipStream_tbPNSt15iterator_traitsISE_E10value_typeEPNSK_ISF_E10value_typeEPSG_NS1_7vsmem_tEENKUlT_SE_SF_SG_E_clIS8_S8_S9_S9_EESD_ST_SE_SF_SG_EUlST_E0_NS1_11comp_targetILNS1_3genE5ELNS1_11target_archE942ELNS1_3gpuE9ELNS1_3repE0EEENS1_38merge_mergepath_config_static_selectorELNS0_4arch9wavefront6targetE0EEEvSF_ ; -- Begin function _ZN7rocprim17ROCPRIM_400000_NS6detail17trampoline_kernelINS0_14default_configENS1_38merge_sort_block_merge_config_selectorIjNS0_10empty_typeEEEZZNS1_27merge_sort_block_merge_implIS3_PjPS5_jNS1_19radix_merge_compareILb0ELb1EjNS0_19identity_decomposerEEEEE10hipError_tT0_T1_T2_jT3_P12ihipStream_tbPNSt15iterator_traitsISE_E10value_typeEPNSK_ISF_E10value_typeEPSG_NS1_7vsmem_tEENKUlT_SE_SF_SG_E_clIS8_S8_S9_S9_EESD_ST_SE_SF_SG_EUlST_E0_NS1_11comp_targetILNS1_3genE5ELNS1_11target_archE942ELNS1_3gpuE9ELNS1_3repE0EEENS1_38merge_mergepath_config_static_selectorELNS0_4arch9wavefront6targetE0EEEvSF_
	.globl	_ZN7rocprim17ROCPRIM_400000_NS6detail17trampoline_kernelINS0_14default_configENS1_38merge_sort_block_merge_config_selectorIjNS0_10empty_typeEEEZZNS1_27merge_sort_block_merge_implIS3_PjPS5_jNS1_19radix_merge_compareILb0ELb1EjNS0_19identity_decomposerEEEEE10hipError_tT0_T1_T2_jT3_P12ihipStream_tbPNSt15iterator_traitsISE_E10value_typeEPNSK_ISF_E10value_typeEPSG_NS1_7vsmem_tEENKUlT_SE_SF_SG_E_clIS8_S8_S9_S9_EESD_ST_SE_SF_SG_EUlST_E0_NS1_11comp_targetILNS1_3genE5ELNS1_11target_archE942ELNS1_3gpuE9ELNS1_3repE0EEENS1_38merge_mergepath_config_static_selectorELNS0_4arch9wavefront6targetE0EEEvSF_
	.p2align	8
	.type	_ZN7rocprim17ROCPRIM_400000_NS6detail17trampoline_kernelINS0_14default_configENS1_38merge_sort_block_merge_config_selectorIjNS0_10empty_typeEEEZZNS1_27merge_sort_block_merge_implIS3_PjPS5_jNS1_19radix_merge_compareILb0ELb1EjNS0_19identity_decomposerEEEEE10hipError_tT0_T1_T2_jT3_P12ihipStream_tbPNSt15iterator_traitsISE_E10value_typeEPNSK_ISF_E10value_typeEPSG_NS1_7vsmem_tEENKUlT_SE_SF_SG_E_clIS8_S8_S9_S9_EESD_ST_SE_SF_SG_EUlST_E0_NS1_11comp_targetILNS1_3genE5ELNS1_11target_archE942ELNS1_3gpuE9ELNS1_3repE0EEENS1_38merge_mergepath_config_static_selectorELNS0_4arch9wavefront6targetE0EEEvSF_,@function
_ZN7rocprim17ROCPRIM_400000_NS6detail17trampoline_kernelINS0_14default_configENS1_38merge_sort_block_merge_config_selectorIjNS0_10empty_typeEEEZZNS1_27merge_sort_block_merge_implIS3_PjPS5_jNS1_19radix_merge_compareILb0ELb1EjNS0_19identity_decomposerEEEEE10hipError_tT0_T1_T2_jT3_P12ihipStream_tbPNSt15iterator_traitsISE_E10value_typeEPNSK_ISF_E10value_typeEPSG_NS1_7vsmem_tEENKUlT_SE_SF_SG_E_clIS8_S8_S9_S9_EESD_ST_SE_SF_SG_EUlST_E0_NS1_11comp_targetILNS1_3genE5ELNS1_11target_archE942ELNS1_3gpuE9ELNS1_3repE0EEENS1_38merge_mergepath_config_static_selectorELNS0_4arch9wavefront6targetE0EEEvSF_: ; @_ZN7rocprim17ROCPRIM_400000_NS6detail17trampoline_kernelINS0_14default_configENS1_38merge_sort_block_merge_config_selectorIjNS0_10empty_typeEEEZZNS1_27merge_sort_block_merge_implIS3_PjPS5_jNS1_19radix_merge_compareILb0ELb1EjNS0_19identity_decomposerEEEEE10hipError_tT0_T1_T2_jT3_P12ihipStream_tbPNSt15iterator_traitsISE_E10value_typeEPNSK_ISF_E10value_typeEPSG_NS1_7vsmem_tEENKUlT_SE_SF_SG_E_clIS8_S8_S9_S9_EESD_ST_SE_SF_SG_EUlST_E0_NS1_11comp_targetILNS1_3genE5ELNS1_11target_archE942ELNS1_3gpuE9ELNS1_3repE0EEENS1_38merge_mergepath_config_static_selectorELNS0_4arch9wavefront6targetE0EEEvSF_
; %bb.0:
	.section	.rodata,"a",@progbits
	.p2align	6, 0x0
	.amdhsa_kernel _ZN7rocprim17ROCPRIM_400000_NS6detail17trampoline_kernelINS0_14default_configENS1_38merge_sort_block_merge_config_selectorIjNS0_10empty_typeEEEZZNS1_27merge_sort_block_merge_implIS3_PjPS5_jNS1_19radix_merge_compareILb0ELb1EjNS0_19identity_decomposerEEEEE10hipError_tT0_T1_T2_jT3_P12ihipStream_tbPNSt15iterator_traitsISE_E10value_typeEPNSK_ISF_E10value_typeEPSG_NS1_7vsmem_tEENKUlT_SE_SF_SG_E_clIS8_S8_S9_S9_EESD_ST_SE_SF_SG_EUlST_E0_NS1_11comp_targetILNS1_3genE5ELNS1_11target_archE942ELNS1_3gpuE9ELNS1_3repE0EEENS1_38merge_mergepath_config_static_selectorELNS0_4arch9wavefront6targetE0EEEvSF_
		.amdhsa_group_segment_fixed_size 0
		.amdhsa_private_segment_fixed_size 0
		.amdhsa_kernarg_size 64
		.amdhsa_user_sgpr_count 2
		.amdhsa_user_sgpr_dispatch_ptr 0
		.amdhsa_user_sgpr_queue_ptr 0
		.amdhsa_user_sgpr_kernarg_segment_ptr 1
		.amdhsa_user_sgpr_dispatch_id 0
		.amdhsa_user_sgpr_kernarg_preload_length 0
		.amdhsa_user_sgpr_kernarg_preload_offset 0
		.amdhsa_user_sgpr_private_segment_size 0
		.amdhsa_wavefront_size32 1
		.amdhsa_uses_dynamic_stack 0
		.amdhsa_enable_private_segment 0
		.amdhsa_system_sgpr_workgroup_id_x 1
		.amdhsa_system_sgpr_workgroup_id_y 0
		.amdhsa_system_sgpr_workgroup_id_z 0
		.amdhsa_system_sgpr_workgroup_info 0
		.amdhsa_system_vgpr_workitem_id 0
		.amdhsa_next_free_vgpr 1
		.amdhsa_next_free_sgpr 1
		.amdhsa_named_barrier_count 0
		.amdhsa_reserve_vcc 0
		.amdhsa_float_round_mode_32 0
		.amdhsa_float_round_mode_16_64 0
		.amdhsa_float_denorm_mode_32 3
		.amdhsa_float_denorm_mode_16_64 3
		.amdhsa_fp16_overflow 0
		.amdhsa_memory_ordered 1
		.amdhsa_forward_progress 1
		.amdhsa_inst_pref_size 0
		.amdhsa_round_robin_scheduling 0
		.amdhsa_exception_fp_ieee_invalid_op 0
		.amdhsa_exception_fp_denorm_src 0
		.amdhsa_exception_fp_ieee_div_zero 0
		.amdhsa_exception_fp_ieee_overflow 0
		.amdhsa_exception_fp_ieee_underflow 0
		.amdhsa_exception_fp_ieee_inexact 0
		.amdhsa_exception_int_div_zero 0
	.end_amdhsa_kernel
	.section	.text._ZN7rocprim17ROCPRIM_400000_NS6detail17trampoline_kernelINS0_14default_configENS1_38merge_sort_block_merge_config_selectorIjNS0_10empty_typeEEEZZNS1_27merge_sort_block_merge_implIS3_PjPS5_jNS1_19radix_merge_compareILb0ELb1EjNS0_19identity_decomposerEEEEE10hipError_tT0_T1_T2_jT3_P12ihipStream_tbPNSt15iterator_traitsISE_E10value_typeEPNSK_ISF_E10value_typeEPSG_NS1_7vsmem_tEENKUlT_SE_SF_SG_E_clIS8_S8_S9_S9_EESD_ST_SE_SF_SG_EUlST_E0_NS1_11comp_targetILNS1_3genE5ELNS1_11target_archE942ELNS1_3gpuE9ELNS1_3repE0EEENS1_38merge_mergepath_config_static_selectorELNS0_4arch9wavefront6targetE0EEEvSF_,"axG",@progbits,_ZN7rocprim17ROCPRIM_400000_NS6detail17trampoline_kernelINS0_14default_configENS1_38merge_sort_block_merge_config_selectorIjNS0_10empty_typeEEEZZNS1_27merge_sort_block_merge_implIS3_PjPS5_jNS1_19radix_merge_compareILb0ELb1EjNS0_19identity_decomposerEEEEE10hipError_tT0_T1_T2_jT3_P12ihipStream_tbPNSt15iterator_traitsISE_E10value_typeEPNSK_ISF_E10value_typeEPSG_NS1_7vsmem_tEENKUlT_SE_SF_SG_E_clIS8_S8_S9_S9_EESD_ST_SE_SF_SG_EUlST_E0_NS1_11comp_targetILNS1_3genE5ELNS1_11target_archE942ELNS1_3gpuE9ELNS1_3repE0EEENS1_38merge_mergepath_config_static_selectorELNS0_4arch9wavefront6targetE0EEEvSF_,comdat
.Lfunc_end2712:
	.size	_ZN7rocprim17ROCPRIM_400000_NS6detail17trampoline_kernelINS0_14default_configENS1_38merge_sort_block_merge_config_selectorIjNS0_10empty_typeEEEZZNS1_27merge_sort_block_merge_implIS3_PjPS5_jNS1_19radix_merge_compareILb0ELb1EjNS0_19identity_decomposerEEEEE10hipError_tT0_T1_T2_jT3_P12ihipStream_tbPNSt15iterator_traitsISE_E10value_typeEPNSK_ISF_E10value_typeEPSG_NS1_7vsmem_tEENKUlT_SE_SF_SG_E_clIS8_S8_S9_S9_EESD_ST_SE_SF_SG_EUlST_E0_NS1_11comp_targetILNS1_3genE5ELNS1_11target_archE942ELNS1_3gpuE9ELNS1_3repE0EEENS1_38merge_mergepath_config_static_selectorELNS0_4arch9wavefront6targetE0EEEvSF_, .Lfunc_end2712-_ZN7rocprim17ROCPRIM_400000_NS6detail17trampoline_kernelINS0_14default_configENS1_38merge_sort_block_merge_config_selectorIjNS0_10empty_typeEEEZZNS1_27merge_sort_block_merge_implIS3_PjPS5_jNS1_19radix_merge_compareILb0ELb1EjNS0_19identity_decomposerEEEEE10hipError_tT0_T1_T2_jT3_P12ihipStream_tbPNSt15iterator_traitsISE_E10value_typeEPNSK_ISF_E10value_typeEPSG_NS1_7vsmem_tEENKUlT_SE_SF_SG_E_clIS8_S8_S9_S9_EESD_ST_SE_SF_SG_EUlST_E0_NS1_11comp_targetILNS1_3genE5ELNS1_11target_archE942ELNS1_3gpuE9ELNS1_3repE0EEENS1_38merge_mergepath_config_static_selectorELNS0_4arch9wavefront6targetE0EEEvSF_
                                        ; -- End function
	.set _ZN7rocprim17ROCPRIM_400000_NS6detail17trampoline_kernelINS0_14default_configENS1_38merge_sort_block_merge_config_selectorIjNS0_10empty_typeEEEZZNS1_27merge_sort_block_merge_implIS3_PjPS5_jNS1_19radix_merge_compareILb0ELb1EjNS0_19identity_decomposerEEEEE10hipError_tT0_T1_T2_jT3_P12ihipStream_tbPNSt15iterator_traitsISE_E10value_typeEPNSK_ISF_E10value_typeEPSG_NS1_7vsmem_tEENKUlT_SE_SF_SG_E_clIS8_S8_S9_S9_EESD_ST_SE_SF_SG_EUlST_E0_NS1_11comp_targetILNS1_3genE5ELNS1_11target_archE942ELNS1_3gpuE9ELNS1_3repE0EEENS1_38merge_mergepath_config_static_selectorELNS0_4arch9wavefront6targetE0EEEvSF_.num_vgpr, 0
	.set _ZN7rocprim17ROCPRIM_400000_NS6detail17trampoline_kernelINS0_14default_configENS1_38merge_sort_block_merge_config_selectorIjNS0_10empty_typeEEEZZNS1_27merge_sort_block_merge_implIS3_PjPS5_jNS1_19radix_merge_compareILb0ELb1EjNS0_19identity_decomposerEEEEE10hipError_tT0_T1_T2_jT3_P12ihipStream_tbPNSt15iterator_traitsISE_E10value_typeEPNSK_ISF_E10value_typeEPSG_NS1_7vsmem_tEENKUlT_SE_SF_SG_E_clIS8_S8_S9_S9_EESD_ST_SE_SF_SG_EUlST_E0_NS1_11comp_targetILNS1_3genE5ELNS1_11target_archE942ELNS1_3gpuE9ELNS1_3repE0EEENS1_38merge_mergepath_config_static_selectorELNS0_4arch9wavefront6targetE0EEEvSF_.num_agpr, 0
	.set _ZN7rocprim17ROCPRIM_400000_NS6detail17trampoline_kernelINS0_14default_configENS1_38merge_sort_block_merge_config_selectorIjNS0_10empty_typeEEEZZNS1_27merge_sort_block_merge_implIS3_PjPS5_jNS1_19radix_merge_compareILb0ELb1EjNS0_19identity_decomposerEEEEE10hipError_tT0_T1_T2_jT3_P12ihipStream_tbPNSt15iterator_traitsISE_E10value_typeEPNSK_ISF_E10value_typeEPSG_NS1_7vsmem_tEENKUlT_SE_SF_SG_E_clIS8_S8_S9_S9_EESD_ST_SE_SF_SG_EUlST_E0_NS1_11comp_targetILNS1_3genE5ELNS1_11target_archE942ELNS1_3gpuE9ELNS1_3repE0EEENS1_38merge_mergepath_config_static_selectorELNS0_4arch9wavefront6targetE0EEEvSF_.numbered_sgpr, 0
	.set _ZN7rocprim17ROCPRIM_400000_NS6detail17trampoline_kernelINS0_14default_configENS1_38merge_sort_block_merge_config_selectorIjNS0_10empty_typeEEEZZNS1_27merge_sort_block_merge_implIS3_PjPS5_jNS1_19radix_merge_compareILb0ELb1EjNS0_19identity_decomposerEEEEE10hipError_tT0_T1_T2_jT3_P12ihipStream_tbPNSt15iterator_traitsISE_E10value_typeEPNSK_ISF_E10value_typeEPSG_NS1_7vsmem_tEENKUlT_SE_SF_SG_E_clIS8_S8_S9_S9_EESD_ST_SE_SF_SG_EUlST_E0_NS1_11comp_targetILNS1_3genE5ELNS1_11target_archE942ELNS1_3gpuE9ELNS1_3repE0EEENS1_38merge_mergepath_config_static_selectorELNS0_4arch9wavefront6targetE0EEEvSF_.num_named_barrier, 0
	.set _ZN7rocprim17ROCPRIM_400000_NS6detail17trampoline_kernelINS0_14default_configENS1_38merge_sort_block_merge_config_selectorIjNS0_10empty_typeEEEZZNS1_27merge_sort_block_merge_implIS3_PjPS5_jNS1_19radix_merge_compareILb0ELb1EjNS0_19identity_decomposerEEEEE10hipError_tT0_T1_T2_jT3_P12ihipStream_tbPNSt15iterator_traitsISE_E10value_typeEPNSK_ISF_E10value_typeEPSG_NS1_7vsmem_tEENKUlT_SE_SF_SG_E_clIS8_S8_S9_S9_EESD_ST_SE_SF_SG_EUlST_E0_NS1_11comp_targetILNS1_3genE5ELNS1_11target_archE942ELNS1_3gpuE9ELNS1_3repE0EEENS1_38merge_mergepath_config_static_selectorELNS0_4arch9wavefront6targetE0EEEvSF_.private_seg_size, 0
	.set _ZN7rocprim17ROCPRIM_400000_NS6detail17trampoline_kernelINS0_14default_configENS1_38merge_sort_block_merge_config_selectorIjNS0_10empty_typeEEEZZNS1_27merge_sort_block_merge_implIS3_PjPS5_jNS1_19radix_merge_compareILb0ELb1EjNS0_19identity_decomposerEEEEE10hipError_tT0_T1_T2_jT3_P12ihipStream_tbPNSt15iterator_traitsISE_E10value_typeEPNSK_ISF_E10value_typeEPSG_NS1_7vsmem_tEENKUlT_SE_SF_SG_E_clIS8_S8_S9_S9_EESD_ST_SE_SF_SG_EUlST_E0_NS1_11comp_targetILNS1_3genE5ELNS1_11target_archE942ELNS1_3gpuE9ELNS1_3repE0EEENS1_38merge_mergepath_config_static_selectorELNS0_4arch9wavefront6targetE0EEEvSF_.uses_vcc, 0
	.set _ZN7rocprim17ROCPRIM_400000_NS6detail17trampoline_kernelINS0_14default_configENS1_38merge_sort_block_merge_config_selectorIjNS0_10empty_typeEEEZZNS1_27merge_sort_block_merge_implIS3_PjPS5_jNS1_19radix_merge_compareILb0ELb1EjNS0_19identity_decomposerEEEEE10hipError_tT0_T1_T2_jT3_P12ihipStream_tbPNSt15iterator_traitsISE_E10value_typeEPNSK_ISF_E10value_typeEPSG_NS1_7vsmem_tEENKUlT_SE_SF_SG_E_clIS8_S8_S9_S9_EESD_ST_SE_SF_SG_EUlST_E0_NS1_11comp_targetILNS1_3genE5ELNS1_11target_archE942ELNS1_3gpuE9ELNS1_3repE0EEENS1_38merge_mergepath_config_static_selectorELNS0_4arch9wavefront6targetE0EEEvSF_.uses_flat_scratch, 0
	.set _ZN7rocprim17ROCPRIM_400000_NS6detail17trampoline_kernelINS0_14default_configENS1_38merge_sort_block_merge_config_selectorIjNS0_10empty_typeEEEZZNS1_27merge_sort_block_merge_implIS3_PjPS5_jNS1_19radix_merge_compareILb0ELb1EjNS0_19identity_decomposerEEEEE10hipError_tT0_T1_T2_jT3_P12ihipStream_tbPNSt15iterator_traitsISE_E10value_typeEPNSK_ISF_E10value_typeEPSG_NS1_7vsmem_tEENKUlT_SE_SF_SG_E_clIS8_S8_S9_S9_EESD_ST_SE_SF_SG_EUlST_E0_NS1_11comp_targetILNS1_3genE5ELNS1_11target_archE942ELNS1_3gpuE9ELNS1_3repE0EEENS1_38merge_mergepath_config_static_selectorELNS0_4arch9wavefront6targetE0EEEvSF_.has_dyn_sized_stack, 0
	.set _ZN7rocprim17ROCPRIM_400000_NS6detail17trampoline_kernelINS0_14default_configENS1_38merge_sort_block_merge_config_selectorIjNS0_10empty_typeEEEZZNS1_27merge_sort_block_merge_implIS3_PjPS5_jNS1_19radix_merge_compareILb0ELb1EjNS0_19identity_decomposerEEEEE10hipError_tT0_T1_T2_jT3_P12ihipStream_tbPNSt15iterator_traitsISE_E10value_typeEPNSK_ISF_E10value_typeEPSG_NS1_7vsmem_tEENKUlT_SE_SF_SG_E_clIS8_S8_S9_S9_EESD_ST_SE_SF_SG_EUlST_E0_NS1_11comp_targetILNS1_3genE5ELNS1_11target_archE942ELNS1_3gpuE9ELNS1_3repE0EEENS1_38merge_mergepath_config_static_selectorELNS0_4arch9wavefront6targetE0EEEvSF_.has_recursion, 0
	.set _ZN7rocprim17ROCPRIM_400000_NS6detail17trampoline_kernelINS0_14default_configENS1_38merge_sort_block_merge_config_selectorIjNS0_10empty_typeEEEZZNS1_27merge_sort_block_merge_implIS3_PjPS5_jNS1_19radix_merge_compareILb0ELb1EjNS0_19identity_decomposerEEEEE10hipError_tT0_T1_T2_jT3_P12ihipStream_tbPNSt15iterator_traitsISE_E10value_typeEPNSK_ISF_E10value_typeEPSG_NS1_7vsmem_tEENKUlT_SE_SF_SG_E_clIS8_S8_S9_S9_EESD_ST_SE_SF_SG_EUlST_E0_NS1_11comp_targetILNS1_3genE5ELNS1_11target_archE942ELNS1_3gpuE9ELNS1_3repE0EEENS1_38merge_mergepath_config_static_selectorELNS0_4arch9wavefront6targetE0EEEvSF_.has_indirect_call, 0
	.section	.AMDGPU.csdata,"",@progbits
; Kernel info:
; codeLenInByte = 0
; TotalNumSgprs: 0
; NumVgprs: 0
; ScratchSize: 0
; MemoryBound: 0
; FloatMode: 240
; IeeeMode: 1
; LDSByteSize: 0 bytes/workgroup (compile time only)
; SGPRBlocks: 0
; VGPRBlocks: 0
; NumSGPRsForWavesPerEU: 1
; NumVGPRsForWavesPerEU: 1
; NamedBarCnt: 0
; Occupancy: 16
; WaveLimiterHint : 0
; COMPUTE_PGM_RSRC2:SCRATCH_EN: 0
; COMPUTE_PGM_RSRC2:USER_SGPR: 2
; COMPUTE_PGM_RSRC2:TRAP_HANDLER: 0
; COMPUTE_PGM_RSRC2:TGID_X_EN: 1
; COMPUTE_PGM_RSRC2:TGID_Y_EN: 0
; COMPUTE_PGM_RSRC2:TGID_Z_EN: 0
; COMPUTE_PGM_RSRC2:TIDIG_COMP_CNT: 0
	.section	.text._ZN7rocprim17ROCPRIM_400000_NS6detail17trampoline_kernelINS0_14default_configENS1_38merge_sort_block_merge_config_selectorIjNS0_10empty_typeEEEZZNS1_27merge_sort_block_merge_implIS3_PjPS5_jNS1_19radix_merge_compareILb0ELb1EjNS0_19identity_decomposerEEEEE10hipError_tT0_T1_T2_jT3_P12ihipStream_tbPNSt15iterator_traitsISE_E10value_typeEPNSK_ISF_E10value_typeEPSG_NS1_7vsmem_tEENKUlT_SE_SF_SG_E_clIS8_S8_S9_S9_EESD_ST_SE_SF_SG_EUlST_E0_NS1_11comp_targetILNS1_3genE4ELNS1_11target_archE910ELNS1_3gpuE8ELNS1_3repE0EEENS1_38merge_mergepath_config_static_selectorELNS0_4arch9wavefront6targetE0EEEvSF_,"axG",@progbits,_ZN7rocprim17ROCPRIM_400000_NS6detail17trampoline_kernelINS0_14default_configENS1_38merge_sort_block_merge_config_selectorIjNS0_10empty_typeEEEZZNS1_27merge_sort_block_merge_implIS3_PjPS5_jNS1_19radix_merge_compareILb0ELb1EjNS0_19identity_decomposerEEEEE10hipError_tT0_T1_T2_jT3_P12ihipStream_tbPNSt15iterator_traitsISE_E10value_typeEPNSK_ISF_E10value_typeEPSG_NS1_7vsmem_tEENKUlT_SE_SF_SG_E_clIS8_S8_S9_S9_EESD_ST_SE_SF_SG_EUlST_E0_NS1_11comp_targetILNS1_3genE4ELNS1_11target_archE910ELNS1_3gpuE8ELNS1_3repE0EEENS1_38merge_mergepath_config_static_selectorELNS0_4arch9wavefront6targetE0EEEvSF_,comdat
	.protected	_ZN7rocprim17ROCPRIM_400000_NS6detail17trampoline_kernelINS0_14default_configENS1_38merge_sort_block_merge_config_selectorIjNS0_10empty_typeEEEZZNS1_27merge_sort_block_merge_implIS3_PjPS5_jNS1_19radix_merge_compareILb0ELb1EjNS0_19identity_decomposerEEEEE10hipError_tT0_T1_T2_jT3_P12ihipStream_tbPNSt15iterator_traitsISE_E10value_typeEPNSK_ISF_E10value_typeEPSG_NS1_7vsmem_tEENKUlT_SE_SF_SG_E_clIS8_S8_S9_S9_EESD_ST_SE_SF_SG_EUlST_E0_NS1_11comp_targetILNS1_3genE4ELNS1_11target_archE910ELNS1_3gpuE8ELNS1_3repE0EEENS1_38merge_mergepath_config_static_selectorELNS0_4arch9wavefront6targetE0EEEvSF_ ; -- Begin function _ZN7rocprim17ROCPRIM_400000_NS6detail17trampoline_kernelINS0_14default_configENS1_38merge_sort_block_merge_config_selectorIjNS0_10empty_typeEEEZZNS1_27merge_sort_block_merge_implIS3_PjPS5_jNS1_19radix_merge_compareILb0ELb1EjNS0_19identity_decomposerEEEEE10hipError_tT0_T1_T2_jT3_P12ihipStream_tbPNSt15iterator_traitsISE_E10value_typeEPNSK_ISF_E10value_typeEPSG_NS1_7vsmem_tEENKUlT_SE_SF_SG_E_clIS8_S8_S9_S9_EESD_ST_SE_SF_SG_EUlST_E0_NS1_11comp_targetILNS1_3genE4ELNS1_11target_archE910ELNS1_3gpuE8ELNS1_3repE0EEENS1_38merge_mergepath_config_static_selectorELNS0_4arch9wavefront6targetE0EEEvSF_
	.globl	_ZN7rocprim17ROCPRIM_400000_NS6detail17trampoline_kernelINS0_14default_configENS1_38merge_sort_block_merge_config_selectorIjNS0_10empty_typeEEEZZNS1_27merge_sort_block_merge_implIS3_PjPS5_jNS1_19radix_merge_compareILb0ELb1EjNS0_19identity_decomposerEEEEE10hipError_tT0_T1_T2_jT3_P12ihipStream_tbPNSt15iterator_traitsISE_E10value_typeEPNSK_ISF_E10value_typeEPSG_NS1_7vsmem_tEENKUlT_SE_SF_SG_E_clIS8_S8_S9_S9_EESD_ST_SE_SF_SG_EUlST_E0_NS1_11comp_targetILNS1_3genE4ELNS1_11target_archE910ELNS1_3gpuE8ELNS1_3repE0EEENS1_38merge_mergepath_config_static_selectorELNS0_4arch9wavefront6targetE0EEEvSF_
	.p2align	8
	.type	_ZN7rocprim17ROCPRIM_400000_NS6detail17trampoline_kernelINS0_14default_configENS1_38merge_sort_block_merge_config_selectorIjNS0_10empty_typeEEEZZNS1_27merge_sort_block_merge_implIS3_PjPS5_jNS1_19radix_merge_compareILb0ELb1EjNS0_19identity_decomposerEEEEE10hipError_tT0_T1_T2_jT3_P12ihipStream_tbPNSt15iterator_traitsISE_E10value_typeEPNSK_ISF_E10value_typeEPSG_NS1_7vsmem_tEENKUlT_SE_SF_SG_E_clIS8_S8_S9_S9_EESD_ST_SE_SF_SG_EUlST_E0_NS1_11comp_targetILNS1_3genE4ELNS1_11target_archE910ELNS1_3gpuE8ELNS1_3repE0EEENS1_38merge_mergepath_config_static_selectorELNS0_4arch9wavefront6targetE0EEEvSF_,@function
_ZN7rocprim17ROCPRIM_400000_NS6detail17trampoline_kernelINS0_14default_configENS1_38merge_sort_block_merge_config_selectorIjNS0_10empty_typeEEEZZNS1_27merge_sort_block_merge_implIS3_PjPS5_jNS1_19radix_merge_compareILb0ELb1EjNS0_19identity_decomposerEEEEE10hipError_tT0_T1_T2_jT3_P12ihipStream_tbPNSt15iterator_traitsISE_E10value_typeEPNSK_ISF_E10value_typeEPSG_NS1_7vsmem_tEENKUlT_SE_SF_SG_E_clIS8_S8_S9_S9_EESD_ST_SE_SF_SG_EUlST_E0_NS1_11comp_targetILNS1_3genE4ELNS1_11target_archE910ELNS1_3gpuE8ELNS1_3repE0EEENS1_38merge_mergepath_config_static_selectorELNS0_4arch9wavefront6targetE0EEEvSF_: ; @_ZN7rocprim17ROCPRIM_400000_NS6detail17trampoline_kernelINS0_14default_configENS1_38merge_sort_block_merge_config_selectorIjNS0_10empty_typeEEEZZNS1_27merge_sort_block_merge_implIS3_PjPS5_jNS1_19radix_merge_compareILb0ELb1EjNS0_19identity_decomposerEEEEE10hipError_tT0_T1_T2_jT3_P12ihipStream_tbPNSt15iterator_traitsISE_E10value_typeEPNSK_ISF_E10value_typeEPSG_NS1_7vsmem_tEENKUlT_SE_SF_SG_E_clIS8_S8_S9_S9_EESD_ST_SE_SF_SG_EUlST_E0_NS1_11comp_targetILNS1_3genE4ELNS1_11target_archE910ELNS1_3gpuE8ELNS1_3repE0EEENS1_38merge_mergepath_config_static_selectorELNS0_4arch9wavefront6targetE0EEEvSF_
; %bb.0:
	.section	.rodata,"a",@progbits
	.p2align	6, 0x0
	.amdhsa_kernel _ZN7rocprim17ROCPRIM_400000_NS6detail17trampoline_kernelINS0_14default_configENS1_38merge_sort_block_merge_config_selectorIjNS0_10empty_typeEEEZZNS1_27merge_sort_block_merge_implIS3_PjPS5_jNS1_19radix_merge_compareILb0ELb1EjNS0_19identity_decomposerEEEEE10hipError_tT0_T1_T2_jT3_P12ihipStream_tbPNSt15iterator_traitsISE_E10value_typeEPNSK_ISF_E10value_typeEPSG_NS1_7vsmem_tEENKUlT_SE_SF_SG_E_clIS8_S8_S9_S9_EESD_ST_SE_SF_SG_EUlST_E0_NS1_11comp_targetILNS1_3genE4ELNS1_11target_archE910ELNS1_3gpuE8ELNS1_3repE0EEENS1_38merge_mergepath_config_static_selectorELNS0_4arch9wavefront6targetE0EEEvSF_
		.amdhsa_group_segment_fixed_size 0
		.amdhsa_private_segment_fixed_size 0
		.amdhsa_kernarg_size 64
		.amdhsa_user_sgpr_count 2
		.amdhsa_user_sgpr_dispatch_ptr 0
		.amdhsa_user_sgpr_queue_ptr 0
		.amdhsa_user_sgpr_kernarg_segment_ptr 1
		.amdhsa_user_sgpr_dispatch_id 0
		.amdhsa_user_sgpr_kernarg_preload_length 0
		.amdhsa_user_sgpr_kernarg_preload_offset 0
		.amdhsa_user_sgpr_private_segment_size 0
		.amdhsa_wavefront_size32 1
		.amdhsa_uses_dynamic_stack 0
		.amdhsa_enable_private_segment 0
		.amdhsa_system_sgpr_workgroup_id_x 1
		.amdhsa_system_sgpr_workgroup_id_y 0
		.amdhsa_system_sgpr_workgroup_id_z 0
		.amdhsa_system_sgpr_workgroup_info 0
		.amdhsa_system_vgpr_workitem_id 0
		.amdhsa_next_free_vgpr 1
		.amdhsa_next_free_sgpr 1
		.amdhsa_named_barrier_count 0
		.amdhsa_reserve_vcc 0
		.amdhsa_float_round_mode_32 0
		.amdhsa_float_round_mode_16_64 0
		.amdhsa_float_denorm_mode_32 3
		.amdhsa_float_denorm_mode_16_64 3
		.amdhsa_fp16_overflow 0
		.amdhsa_memory_ordered 1
		.amdhsa_forward_progress 1
		.amdhsa_inst_pref_size 0
		.amdhsa_round_robin_scheduling 0
		.amdhsa_exception_fp_ieee_invalid_op 0
		.amdhsa_exception_fp_denorm_src 0
		.amdhsa_exception_fp_ieee_div_zero 0
		.amdhsa_exception_fp_ieee_overflow 0
		.amdhsa_exception_fp_ieee_underflow 0
		.amdhsa_exception_fp_ieee_inexact 0
		.amdhsa_exception_int_div_zero 0
	.end_amdhsa_kernel
	.section	.text._ZN7rocprim17ROCPRIM_400000_NS6detail17trampoline_kernelINS0_14default_configENS1_38merge_sort_block_merge_config_selectorIjNS0_10empty_typeEEEZZNS1_27merge_sort_block_merge_implIS3_PjPS5_jNS1_19radix_merge_compareILb0ELb1EjNS0_19identity_decomposerEEEEE10hipError_tT0_T1_T2_jT3_P12ihipStream_tbPNSt15iterator_traitsISE_E10value_typeEPNSK_ISF_E10value_typeEPSG_NS1_7vsmem_tEENKUlT_SE_SF_SG_E_clIS8_S8_S9_S9_EESD_ST_SE_SF_SG_EUlST_E0_NS1_11comp_targetILNS1_3genE4ELNS1_11target_archE910ELNS1_3gpuE8ELNS1_3repE0EEENS1_38merge_mergepath_config_static_selectorELNS0_4arch9wavefront6targetE0EEEvSF_,"axG",@progbits,_ZN7rocprim17ROCPRIM_400000_NS6detail17trampoline_kernelINS0_14default_configENS1_38merge_sort_block_merge_config_selectorIjNS0_10empty_typeEEEZZNS1_27merge_sort_block_merge_implIS3_PjPS5_jNS1_19radix_merge_compareILb0ELb1EjNS0_19identity_decomposerEEEEE10hipError_tT0_T1_T2_jT3_P12ihipStream_tbPNSt15iterator_traitsISE_E10value_typeEPNSK_ISF_E10value_typeEPSG_NS1_7vsmem_tEENKUlT_SE_SF_SG_E_clIS8_S8_S9_S9_EESD_ST_SE_SF_SG_EUlST_E0_NS1_11comp_targetILNS1_3genE4ELNS1_11target_archE910ELNS1_3gpuE8ELNS1_3repE0EEENS1_38merge_mergepath_config_static_selectorELNS0_4arch9wavefront6targetE0EEEvSF_,comdat
.Lfunc_end2713:
	.size	_ZN7rocprim17ROCPRIM_400000_NS6detail17trampoline_kernelINS0_14default_configENS1_38merge_sort_block_merge_config_selectorIjNS0_10empty_typeEEEZZNS1_27merge_sort_block_merge_implIS3_PjPS5_jNS1_19radix_merge_compareILb0ELb1EjNS0_19identity_decomposerEEEEE10hipError_tT0_T1_T2_jT3_P12ihipStream_tbPNSt15iterator_traitsISE_E10value_typeEPNSK_ISF_E10value_typeEPSG_NS1_7vsmem_tEENKUlT_SE_SF_SG_E_clIS8_S8_S9_S9_EESD_ST_SE_SF_SG_EUlST_E0_NS1_11comp_targetILNS1_3genE4ELNS1_11target_archE910ELNS1_3gpuE8ELNS1_3repE0EEENS1_38merge_mergepath_config_static_selectorELNS0_4arch9wavefront6targetE0EEEvSF_, .Lfunc_end2713-_ZN7rocprim17ROCPRIM_400000_NS6detail17trampoline_kernelINS0_14default_configENS1_38merge_sort_block_merge_config_selectorIjNS0_10empty_typeEEEZZNS1_27merge_sort_block_merge_implIS3_PjPS5_jNS1_19radix_merge_compareILb0ELb1EjNS0_19identity_decomposerEEEEE10hipError_tT0_T1_T2_jT3_P12ihipStream_tbPNSt15iterator_traitsISE_E10value_typeEPNSK_ISF_E10value_typeEPSG_NS1_7vsmem_tEENKUlT_SE_SF_SG_E_clIS8_S8_S9_S9_EESD_ST_SE_SF_SG_EUlST_E0_NS1_11comp_targetILNS1_3genE4ELNS1_11target_archE910ELNS1_3gpuE8ELNS1_3repE0EEENS1_38merge_mergepath_config_static_selectorELNS0_4arch9wavefront6targetE0EEEvSF_
                                        ; -- End function
	.set _ZN7rocprim17ROCPRIM_400000_NS6detail17trampoline_kernelINS0_14default_configENS1_38merge_sort_block_merge_config_selectorIjNS0_10empty_typeEEEZZNS1_27merge_sort_block_merge_implIS3_PjPS5_jNS1_19radix_merge_compareILb0ELb1EjNS0_19identity_decomposerEEEEE10hipError_tT0_T1_T2_jT3_P12ihipStream_tbPNSt15iterator_traitsISE_E10value_typeEPNSK_ISF_E10value_typeEPSG_NS1_7vsmem_tEENKUlT_SE_SF_SG_E_clIS8_S8_S9_S9_EESD_ST_SE_SF_SG_EUlST_E0_NS1_11comp_targetILNS1_3genE4ELNS1_11target_archE910ELNS1_3gpuE8ELNS1_3repE0EEENS1_38merge_mergepath_config_static_selectorELNS0_4arch9wavefront6targetE0EEEvSF_.num_vgpr, 0
	.set _ZN7rocprim17ROCPRIM_400000_NS6detail17trampoline_kernelINS0_14default_configENS1_38merge_sort_block_merge_config_selectorIjNS0_10empty_typeEEEZZNS1_27merge_sort_block_merge_implIS3_PjPS5_jNS1_19radix_merge_compareILb0ELb1EjNS0_19identity_decomposerEEEEE10hipError_tT0_T1_T2_jT3_P12ihipStream_tbPNSt15iterator_traitsISE_E10value_typeEPNSK_ISF_E10value_typeEPSG_NS1_7vsmem_tEENKUlT_SE_SF_SG_E_clIS8_S8_S9_S9_EESD_ST_SE_SF_SG_EUlST_E0_NS1_11comp_targetILNS1_3genE4ELNS1_11target_archE910ELNS1_3gpuE8ELNS1_3repE0EEENS1_38merge_mergepath_config_static_selectorELNS0_4arch9wavefront6targetE0EEEvSF_.num_agpr, 0
	.set _ZN7rocprim17ROCPRIM_400000_NS6detail17trampoline_kernelINS0_14default_configENS1_38merge_sort_block_merge_config_selectorIjNS0_10empty_typeEEEZZNS1_27merge_sort_block_merge_implIS3_PjPS5_jNS1_19radix_merge_compareILb0ELb1EjNS0_19identity_decomposerEEEEE10hipError_tT0_T1_T2_jT3_P12ihipStream_tbPNSt15iterator_traitsISE_E10value_typeEPNSK_ISF_E10value_typeEPSG_NS1_7vsmem_tEENKUlT_SE_SF_SG_E_clIS8_S8_S9_S9_EESD_ST_SE_SF_SG_EUlST_E0_NS1_11comp_targetILNS1_3genE4ELNS1_11target_archE910ELNS1_3gpuE8ELNS1_3repE0EEENS1_38merge_mergepath_config_static_selectorELNS0_4arch9wavefront6targetE0EEEvSF_.numbered_sgpr, 0
	.set _ZN7rocprim17ROCPRIM_400000_NS6detail17trampoline_kernelINS0_14default_configENS1_38merge_sort_block_merge_config_selectorIjNS0_10empty_typeEEEZZNS1_27merge_sort_block_merge_implIS3_PjPS5_jNS1_19radix_merge_compareILb0ELb1EjNS0_19identity_decomposerEEEEE10hipError_tT0_T1_T2_jT3_P12ihipStream_tbPNSt15iterator_traitsISE_E10value_typeEPNSK_ISF_E10value_typeEPSG_NS1_7vsmem_tEENKUlT_SE_SF_SG_E_clIS8_S8_S9_S9_EESD_ST_SE_SF_SG_EUlST_E0_NS1_11comp_targetILNS1_3genE4ELNS1_11target_archE910ELNS1_3gpuE8ELNS1_3repE0EEENS1_38merge_mergepath_config_static_selectorELNS0_4arch9wavefront6targetE0EEEvSF_.num_named_barrier, 0
	.set _ZN7rocprim17ROCPRIM_400000_NS6detail17trampoline_kernelINS0_14default_configENS1_38merge_sort_block_merge_config_selectorIjNS0_10empty_typeEEEZZNS1_27merge_sort_block_merge_implIS3_PjPS5_jNS1_19radix_merge_compareILb0ELb1EjNS0_19identity_decomposerEEEEE10hipError_tT0_T1_T2_jT3_P12ihipStream_tbPNSt15iterator_traitsISE_E10value_typeEPNSK_ISF_E10value_typeEPSG_NS1_7vsmem_tEENKUlT_SE_SF_SG_E_clIS8_S8_S9_S9_EESD_ST_SE_SF_SG_EUlST_E0_NS1_11comp_targetILNS1_3genE4ELNS1_11target_archE910ELNS1_3gpuE8ELNS1_3repE0EEENS1_38merge_mergepath_config_static_selectorELNS0_4arch9wavefront6targetE0EEEvSF_.private_seg_size, 0
	.set _ZN7rocprim17ROCPRIM_400000_NS6detail17trampoline_kernelINS0_14default_configENS1_38merge_sort_block_merge_config_selectorIjNS0_10empty_typeEEEZZNS1_27merge_sort_block_merge_implIS3_PjPS5_jNS1_19radix_merge_compareILb0ELb1EjNS0_19identity_decomposerEEEEE10hipError_tT0_T1_T2_jT3_P12ihipStream_tbPNSt15iterator_traitsISE_E10value_typeEPNSK_ISF_E10value_typeEPSG_NS1_7vsmem_tEENKUlT_SE_SF_SG_E_clIS8_S8_S9_S9_EESD_ST_SE_SF_SG_EUlST_E0_NS1_11comp_targetILNS1_3genE4ELNS1_11target_archE910ELNS1_3gpuE8ELNS1_3repE0EEENS1_38merge_mergepath_config_static_selectorELNS0_4arch9wavefront6targetE0EEEvSF_.uses_vcc, 0
	.set _ZN7rocprim17ROCPRIM_400000_NS6detail17trampoline_kernelINS0_14default_configENS1_38merge_sort_block_merge_config_selectorIjNS0_10empty_typeEEEZZNS1_27merge_sort_block_merge_implIS3_PjPS5_jNS1_19radix_merge_compareILb0ELb1EjNS0_19identity_decomposerEEEEE10hipError_tT0_T1_T2_jT3_P12ihipStream_tbPNSt15iterator_traitsISE_E10value_typeEPNSK_ISF_E10value_typeEPSG_NS1_7vsmem_tEENKUlT_SE_SF_SG_E_clIS8_S8_S9_S9_EESD_ST_SE_SF_SG_EUlST_E0_NS1_11comp_targetILNS1_3genE4ELNS1_11target_archE910ELNS1_3gpuE8ELNS1_3repE0EEENS1_38merge_mergepath_config_static_selectorELNS0_4arch9wavefront6targetE0EEEvSF_.uses_flat_scratch, 0
	.set _ZN7rocprim17ROCPRIM_400000_NS6detail17trampoline_kernelINS0_14default_configENS1_38merge_sort_block_merge_config_selectorIjNS0_10empty_typeEEEZZNS1_27merge_sort_block_merge_implIS3_PjPS5_jNS1_19radix_merge_compareILb0ELb1EjNS0_19identity_decomposerEEEEE10hipError_tT0_T1_T2_jT3_P12ihipStream_tbPNSt15iterator_traitsISE_E10value_typeEPNSK_ISF_E10value_typeEPSG_NS1_7vsmem_tEENKUlT_SE_SF_SG_E_clIS8_S8_S9_S9_EESD_ST_SE_SF_SG_EUlST_E0_NS1_11comp_targetILNS1_3genE4ELNS1_11target_archE910ELNS1_3gpuE8ELNS1_3repE0EEENS1_38merge_mergepath_config_static_selectorELNS0_4arch9wavefront6targetE0EEEvSF_.has_dyn_sized_stack, 0
	.set _ZN7rocprim17ROCPRIM_400000_NS6detail17trampoline_kernelINS0_14default_configENS1_38merge_sort_block_merge_config_selectorIjNS0_10empty_typeEEEZZNS1_27merge_sort_block_merge_implIS3_PjPS5_jNS1_19radix_merge_compareILb0ELb1EjNS0_19identity_decomposerEEEEE10hipError_tT0_T1_T2_jT3_P12ihipStream_tbPNSt15iterator_traitsISE_E10value_typeEPNSK_ISF_E10value_typeEPSG_NS1_7vsmem_tEENKUlT_SE_SF_SG_E_clIS8_S8_S9_S9_EESD_ST_SE_SF_SG_EUlST_E0_NS1_11comp_targetILNS1_3genE4ELNS1_11target_archE910ELNS1_3gpuE8ELNS1_3repE0EEENS1_38merge_mergepath_config_static_selectorELNS0_4arch9wavefront6targetE0EEEvSF_.has_recursion, 0
	.set _ZN7rocprim17ROCPRIM_400000_NS6detail17trampoline_kernelINS0_14default_configENS1_38merge_sort_block_merge_config_selectorIjNS0_10empty_typeEEEZZNS1_27merge_sort_block_merge_implIS3_PjPS5_jNS1_19radix_merge_compareILb0ELb1EjNS0_19identity_decomposerEEEEE10hipError_tT0_T1_T2_jT3_P12ihipStream_tbPNSt15iterator_traitsISE_E10value_typeEPNSK_ISF_E10value_typeEPSG_NS1_7vsmem_tEENKUlT_SE_SF_SG_E_clIS8_S8_S9_S9_EESD_ST_SE_SF_SG_EUlST_E0_NS1_11comp_targetILNS1_3genE4ELNS1_11target_archE910ELNS1_3gpuE8ELNS1_3repE0EEENS1_38merge_mergepath_config_static_selectorELNS0_4arch9wavefront6targetE0EEEvSF_.has_indirect_call, 0
	.section	.AMDGPU.csdata,"",@progbits
; Kernel info:
; codeLenInByte = 0
; TotalNumSgprs: 0
; NumVgprs: 0
; ScratchSize: 0
; MemoryBound: 0
; FloatMode: 240
; IeeeMode: 1
; LDSByteSize: 0 bytes/workgroup (compile time only)
; SGPRBlocks: 0
; VGPRBlocks: 0
; NumSGPRsForWavesPerEU: 1
; NumVGPRsForWavesPerEU: 1
; NamedBarCnt: 0
; Occupancy: 16
; WaveLimiterHint : 0
; COMPUTE_PGM_RSRC2:SCRATCH_EN: 0
; COMPUTE_PGM_RSRC2:USER_SGPR: 2
; COMPUTE_PGM_RSRC2:TRAP_HANDLER: 0
; COMPUTE_PGM_RSRC2:TGID_X_EN: 1
; COMPUTE_PGM_RSRC2:TGID_Y_EN: 0
; COMPUTE_PGM_RSRC2:TGID_Z_EN: 0
; COMPUTE_PGM_RSRC2:TIDIG_COMP_CNT: 0
	.section	.text._ZN7rocprim17ROCPRIM_400000_NS6detail17trampoline_kernelINS0_14default_configENS1_38merge_sort_block_merge_config_selectorIjNS0_10empty_typeEEEZZNS1_27merge_sort_block_merge_implIS3_PjPS5_jNS1_19radix_merge_compareILb0ELb1EjNS0_19identity_decomposerEEEEE10hipError_tT0_T1_T2_jT3_P12ihipStream_tbPNSt15iterator_traitsISE_E10value_typeEPNSK_ISF_E10value_typeEPSG_NS1_7vsmem_tEENKUlT_SE_SF_SG_E_clIS8_S8_S9_S9_EESD_ST_SE_SF_SG_EUlST_E0_NS1_11comp_targetILNS1_3genE3ELNS1_11target_archE908ELNS1_3gpuE7ELNS1_3repE0EEENS1_38merge_mergepath_config_static_selectorELNS0_4arch9wavefront6targetE0EEEvSF_,"axG",@progbits,_ZN7rocprim17ROCPRIM_400000_NS6detail17trampoline_kernelINS0_14default_configENS1_38merge_sort_block_merge_config_selectorIjNS0_10empty_typeEEEZZNS1_27merge_sort_block_merge_implIS3_PjPS5_jNS1_19radix_merge_compareILb0ELb1EjNS0_19identity_decomposerEEEEE10hipError_tT0_T1_T2_jT3_P12ihipStream_tbPNSt15iterator_traitsISE_E10value_typeEPNSK_ISF_E10value_typeEPSG_NS1_7vsmem_tEENKUlT_SE_SF_SG_E_clIS8_S8_S9_S9_EESD_ST_SE_SF_SG_EUlST_E0_NS1_11comp_targetILNS1_3genE3ELNS1_11target_archE908ELNS1_3gpuE7ELNS1_3repE0EEENS1_38merge_mergepath_config_static_selectorELNS0_4arch9wavefront6targetE0EEEvSF_,comdat
	.protected	_ZN7rocprim17ROCPRIM_400000_NS6detail17trampoline_kernelINS0_14default_configENS1_38merge_sort_block_merge_config_selectorIjNS0_10empty_typeEEEZZNS1_27merge_sort_block_merge_implIS3_PjPS5_jNS1_19radix_merge_compareILb0ELb1EjNS0_19identity_decomposerEEEEE10hipError_tT0_T1_T2_jT3_P12ihipStream_tbPNSt15iterator_traitsISE_E10value_typeEPNSK_ISF_E10value_typeEPSG_NS1_7vsmem_tEENKUlT_SE_SF_SG_E_clIS8_S8_S9_S9_EESD_ST_SE_SF_SG_EUlST_E0_NS1_11comp_targetILNS1_3genE3ELNS1_11target_archE908ELNS1_3gpuE7ELNS1_3repE0EEENS1_38merge_mergepath_config_static_selectorELNS0_4arch9wavefront6targetE0EEEvSF_ ; -- Begin function _ZN7rocprim17ROCPRIM_400000_NS6detail17trampoline_kernelINS0_14default_configENS1_38merge_sort_block_merge_config_selectorIjNS0_10empty_typeEEEZZNS1_27merge_sort_block_merge_implIS3_PjPS5_jNS1_19radix_merge_compareILb0ELb1EjNS0_19identity_decomposerEEEEE10hipError_tT0_T1_T2_jT3_P12ihipStream_tbPNSt15iterator_traitsISE_E10value_typeEPNSK_ISF_E10value_typeEPSG_NS1_7vsmem_tEENKUlT_SE_SF_SG_E_clIS8_S8_S9_S9_EESD_ST_SE_SF_SG_EUlST_E0_NS1_11comp_targetILNS1_3genE3ELNS1_11target_archE908ELNS1_3gpuE7ELNS1_3repE0EEENS1_38merge_mergepath_config_static_selectorELNS0_4arch9wavefront6targetE0EEEvSF_
	.globl	_ZN7rocprim17ROCPRIM_400000_NS6detail17trampoline_kernelINS0_14default_configENS1_38merge_sort_block_merge_config_selectorIjNS0_10empty_typeEEEZZNS1_27merge_sort_block_merge_implIS3_PjPS5_jNS1_19radix_merge_compareILb0ELb1EjNS0_19identity_decomposerEEEEE10hipError_tT0_T1_T2_jT3_P12ihipStream_tbPNSt15iterator_traitsISE_E10value_typeEPNSK_ISF_E10value_typeEPSG_NS1_7vsmem_tEENKUlT_SE_SF_SG_E_clIS8_S8_S9_S9_EESD_ST_SE_SF_SG_EUlST_E0_NS1_11comp_targetILNS1_3genE3ELNS1_11target_archE908ELNS1_3gpuE7ELNS1_3repE0EEENS1_38merge_mergepath_config_static_selectorELNS0_4arch9wavefront6targetE0EEEvSF_
	.p2align	8
	.type	_ZN7rocprim17ROCPRIM_400000_NS6detail17trampoline_kernelINS0_14default_configENS1_38merge_sort_block_merge_config_selectorIjNS0_10empty_typeEEEZZNS1_27merge_sort_block_merge_implIS3_PjPS5_jNS1_19radix_merge_compareILb0ELb1EjNS0_19identity_decomposerEEEEE10hipError_tT0_T1_T2_jT3_P12ihipStream_tbPNSt15iterator_traitsISE_E10value_typeEPNSK_ISF_E10value_typeEPSG_NS1_7vsmem_tEENKUlT_SE_SF_SG_E_clIS8_S8_S9_S9_EESD_ST_SE_SF_SG_EUlST_E0_NS1_11comp_targetILNS1_3genE3ELNS1_11target_archE908ELNS1_3gpuE7ELNS1_3repE0EEENS1_38merge_mergepath_config_static_selectorELNS0_4arch9wavefront6targetE0EEEvSF_,@function
_ZN7rocprim17ROCPRIM_400000_NS6detail17trampoline_kernelINS0_14default_configENS1_38merge_sort_block_merge_config_selectorIjNS0_10empty_typeEEEZZNS1_27merge_sort_block_merge_implIS3_PjPS5_jNS1_19radix_merge_compareILb0ELb1EjNS0_19identity_decomposerEEEEE10hipError_tT0_T1_T2_jT3_P12ihipStream_tbPNSt15iterator_traitsISE_E10value_typeEPNSK_ISF_E10value_typeEPSG_NS1_7vsmem_tEENKUlT_SE_SF_SG_E_clIS8_S8_S9_S9_EESD_ST_SE_SF_SG_EUlST_E0_NS1_11comp_targetILNS1_3genE3ELNS1_11target_archE908ELNS1_3gpuE7ELNS1_3repE0EEENS1_38merge_mergepath_config_static_selectorELNS0_4arch9wavefront6targetE0EEEvSF_: ; @_ZN7rocprim17ROCPRIM_400000_NS6detail17trampoline_kernelINS0_14default_configENS1_38merge_sort_block_merge_config_selectorIjNS0_10empty_typeEEEZZNS1_27merge_sort_block_merge_implIS3_PjPS5_jNS1_19radix_merge_compareILb0ELb1EjNS0_19identity_decomposerEEEEE10hipError_tT0_T1_T2_jT3_P12ihipStream_tbPNSt15iterator_traitsISE_E10value_typeEPNSK_ISF_E10value_typeEPSG_NS1_7vsmem_tEENKUlT_SE_SF_SG_E_clIS8_S8_S9_S9_EESD_ST_SE_SF_SG_EUlST_E0_NS1_11comp_targetILNS1_3genE3ELNS1_11target_archE908ELNS1_3gpuE7ELNS1_3repE0EEENS1_38merge_mergepath_config_static_selectorELNS0_4arch9wavefront6targetE0EEEvSF_
; %bb.0:
	.section	.rodata,"a",@progbits
	.p2align	6, 0x0
	.amdhsa_kernel _ZN7rocprim17ROCPRIM_400000_NS6detail17trampoline_kernelINS0_14default_configENS1_38merge_sort_block_merge_config_selectorIjNS0_10empty_typeEEEZZNS1_27merge_sort_block_merge_implIS3_PjPS5_jNS1_19radix_merge_compareILb0ELb1EjNS0_19identity_decomposerEEEEE10hipError_tT0_T1_T2_jT3_P12ihipStream_tbPNSt15iterator_traitsISE_E10value_typeEPNSK_ISF_E10value_typeEPSG_NS1_7vsmem_tEENKUlT_SE_SF_SG_E_clIS8_S8_S9_S9_EESD_ST_SE_SF_SG_EUlST_E0_NS1_11comp_targetILNS1_3genE3ELNS1_11target_archE908ELNS1_3gpuE7ELNS1_3repE0EEENS1_38merge_mergepath_config_static_selectorELNS0_4arch9wavefront6targetE0EEEvSF_
		.amdhsa_group_segment_fixed_size 0
		.amdhsa_private_segment_fixed_size 0
		.amdhsa_kernarg_size 64
		.amdhsa_user_sgpr_count 2
		.amdhsa_user_sgpr_dispatch_ptr 0
		.amdhsa_user_sgpr_queue_ptr 0
		.amdhsa_user_sgpr_kernarg_segment_ptr 1
		.amdhsa_user_sgpr_dispatch_id 0
		.amdhsa_user_sgpr_kernarg_preload_length 0
		.amdhsa_user_sgpr_kernarg_preload_offset 0
		.amdhsa_user_sgpr_private_segment_size 0
		.amdhsa_wavefront_size32 1
		.amdhsa_uses_dynamic_stack 0
		.amdhsa_enable_private_segment 0
		.amdhsa_system_sgpr_workgroup_id_x 1
		.amdhsa_system_sgpr_workgroup_id_y 0
		.amdhsa_system_sgpr_workgroup_id_z 0
		.amdhsa_system_sgpr_workgroup_info 0
		.amdhsa_system_vgpr_workitem_id 0
		.amdhsa_next_free_vgpr 1
		.amdhsa_next_free_sgpr 1
		.amdhsa_named_barrier_count 0
		.amdhsa_reserve_vcc 0
		.amdhsa_float_round_mode_32 0
		.amdhsa_float_round_mode_16_64 0
		.amdhsa_float_denorm_mode_32 3
		.amdhsa_float_denorm_mode_16_64 3
		.amdhsa_fp16_overflow 0
		.amdhsa_memory_ordered 1
		.amdhsa_forward_progress 1
		.amdhsa_inst_pref_size 0
		.amdhsa_round_robin_scheduling 0
		.amdhsa_exception_fp_ieee_invalid_op 0
		.amdhsa_exception_fp_denorm_src 0
		.amdhsa_exception_fp_ieee_div_zero 0
		.amdhsa_exception_fp_ieee_overflow 0
		.amdhsa_exception_fp_ieee_underflow 0
		.amdhsa_exception_fp_ieee_inexact 0
		.amdhsa_exception_int_div_zero 0
	.end_amdhsa_kernel
	.section	.text._ZN7rocprim17ROCPRIM_400000_NS6detail17trampoline_kernelINS0_14default_configENS1_38merge_sort_block_merge_config_selectorIjNS0_10empty_typeEEEZZNS1_27merge_sort_block_merge_implIS3_PjPS5_jNS1_19radix_merge_compareILb0ELb1EjNS0_19identity_decomposerEEEEE10hipError_tT0_T1_T2_jT3_P12ihipStream_tbPNSt15iterator_traitsISE_E10value_typeEPNSK_ISF_E10value_typeEPSG_NS1_7vsmem_tEENKUlT_SE_SF_SG_E_clIS8_S8_S9_S9_EESD_ST_SE_SF_SG_EUlST_E0_NS1_11comp_targetILNS1_3genE3ELNS1_11target_archE908ELNS1_3gpuE7ELNS1_3repE0EEENS1_38merge_mergepath_config_static_selectorELNS0_4arch9wavefront6targetE0EEEvSF_,"axG",@progbits,_ZN7rocprim17ROCPRIM_400000_NS6detail17trampoline_kernelINS0_14default_configENS1_38merge_sort_block_merge_config_selectorIjNS0_10empty_typeEEEZZNS1_27merge_sort_block_merge_implIS3_PjPS5_jNS1_19radix_merge_compareILb0ELb1EjNS0_19identity_decomposerEEEEE10hipError_tT0_T1_T2_jT3_P12ihipStream_tbPNSt15iterator_traitsISE_E10value_typeEPNSK_ISF_E10value_typeEPSG_NS1_7vsmem_tEENKUlT_SE_SF_SG_E_clIS8_S8_S9_S9_EESD_ST_SE_SF_SG_EUlST_E0_NS1_11comp_targetILNS1_3genE3ELNS1_11target_archE908ELNS1_3gpuE7ELNS1_3repE0EEENS1_38merge_mergepath_config_static_selectorELNS0_4arch9wavefront6targetE0EEEvSF_,comdat
.Lfunc_end2714:
	.size	_ZN7rocprim17ROCPRIM_400000_NS6detail17trampoline_kernelINS0_14default_configENS1_38merge_sort_block_merge_config_selectorIjNS0_10empty_typeEEEZZNS1_27merge_sort_block_merge_implIS3_PjPS5_jNS1_19radix_merge_compareILb0ELb1EjNS0_19identity_decomposerEEEEE10hipError_tT0_T1_T2_jT3_P12ihipStream_tbPNSt15iterator_traitsISE_E10value_typeEPNSK_ISF_E10value_typeEPSG_NS1_7vsmem_tEENKUlT_SE_SF_SG_E_clIS8_S8_S9_S9_EESD_ST_SE_SF_SG_EUlST_E0_NS1_11comp_targetILNS1_3genE3ELNS1_11target_archE908ELNS1_3gpuE7ELNS1_3repE0EEENS1_38merge_mergepath_config_static_selectorELNS0_4arch9wavefront6targetE0EEEvSF_, .Lfunc_end2714-_ZN7rocprim17ROCPRIM_400000_NS6detail17trampoline_kernelINS0_14default_configENS1_38merge_sort_block_merge_config_selectorIjNS0_10empty_typeEEEZZNS1_27merge_sort_block_merge_implIS3_PjPS5_jNS1_19radix_merge_compareILb0ELb1EjNS0_19identity_decomposerEEEEE10hipError_tT0_T1_T2_jT3_P12ihipStream_tbPNSt15iterator_traitsISE_E10value_typeEPNSK_ISF_E10value_typeEPSG_NS1_7vsmem_tEENKUlT_SE_SF_SG_E_clIS8_S8_S9_S9_EESD_ST_SE_SF_SG_EUlST_E0_NS1_11comp_targetILNS1_3genE3ELNS1_11target_archE908ELNS1_3gpuE7ELNS1_3repE0EEENS1_38merge_mergepath_config_static_selectorELNS0_4arch9wavefront6targetE0EEEvSF_
                                        ; -- End function
	.set _ZN7rocprim17ROCPRIM_400000_NS6detail17trampoline_kernelINS0_14default_configENS1_38merge_sort_block_merge_config_selectorIjNS0_10empty_typeEEEZZNS1_27merge_sort_block_merge_implIS3_PjPS5_jNS1_19radix_merge_compareILb0ELb1EjNS0_19identity_decomposerEEEEE10hipError_tT0_T1_T2_jT3_P12ihipStream_tbPNSt15iterator_traitsISE_E10value_typeEPNSK_ISF_E10value_typeEPSG_NS1_7vsmem_tEENKUlT_SE_SF_SG_E_clIS8_S8_S9_S9_EESD_ST_SE_SF_SG_EUlST_E0_NS1_11comp_targetILNS1_3genE3ELNS1_11target_archE908ELNS1_3gpuE7ELNS1_3repE0EEENS1_38merge_mergepath_config_static_selectorELNS0_4arch9wavefront6targetE0EEEvSF_.num_vgpr, 0
	.set _ZN7rocprim17ROCPRIM_400000_NS6detail17trampoline_kernelINS0_14default_configENS1_38merge_sort_block_merge_config_selectorIjNS0_10empty_typeEEEZZNS1_27merge_sort_block_merge_implIS3_PjPS5_jNS1_19radix_merge_compareILb0ELb1EjNS0_19identity_decomposerEEEEE10hipError_tT0_T1_T2_jT3_P12ihipStream_tbPNSt15iterator_traitsISE_E10value_typeEPNSK_ISF_E10value_typeEPSG_NS1_7vsmem_tEENKUlT_SE_SF_SG_E_clIS8_S8_S9_S9_EESD_ST_SE_SF_SG_EUlST_E0_NS1_11comp_targetILNS1_3genE3ELNS1_11target_archE908ELNS1_3gpuE7ELNS1_3repE0EEENS1_38merge_mergepath_config_static_selectorELNS0_4arch9wavefront6targetE0EEEvSF_.num_agpr, 0
	.set _ZN7rocprim17ROCPRIM_400000_NS6detail17trampoline_kernelINS0_14default_configENS1_38merge_sort_block_merge_config_selectorIjNS0_10empty_typeEEEZZNS1_27merge_sort_block_merge_implIS3_PjPS5_jNS1_19radix_merge_compareILb0ELb1EjNS0_19identity_decomposerEEEEE10hipError_tT0_T1_T2_jT3_P12ihipStream_tbPNSt15iterator_traitsISE_E10value_typeEPNSK_ISF_E10value_typeEPSG_NS1_7vsmem_tEENKUlT_SE_SF_SG_E_clIS8_S8_S9_S9_EESD_ST_SE_SF_SG_EUlST_E0_NS1_11comp_targetILNS1_3genE3ELNS1_11target_archE908ELNS1_3gpuE7ELNS1_3repE0EEENS1_38merge_mergepath_config_static_selectorELNS0_4arch9wavefront6targetE0EEEvSF_.numbered_sgpr, 0
	.set _ZN7rocprim17ROCPRIM_400000_NS6detail17trampoline_kernelINS0_14default_configENS1_38merge_sort_block_merge_config_selectorIjNS0_10empty_typeEEEZZNS1_27merge_sort_block_merge_implIS3_PjPS5_jNS1_19radix_merge_compareILb0ELb1EjNS0_19identity_decomposerEEEEE10hipError_tT0_T1_T2_jT3_P12ihipStream_tbPNSt15iterator_traitsISE_E10value_typeEPNSK_ISF_E10value_typeEPSG_NS1_7vsmem_tEENKUlT_SE_SF_SG_E_clIS8_S8_S9_S9_EESD_ST_SE_SF_SG_EUlST_E0_NS1_11comp_targetILNS1_3genE3ELNS1_11target_archE908ELNS1_3gpuE7ELNS1_3repE0EEENS1_38merge_mergepath_config_static_selectorELNS0_4arch9wavefront6targetE0EEEvSF_.num_named_barrier, 0
	.set _ZN7rocprim17ROCPRIM_400000_NS6detail17trampoline_kernelINS0_14default_configENS1_38merge_sort_block_merge_config_selectorIjNS0_10empty_typeEEEZZNS1_27merge_sort_block_merge_implIS3_PjPS5_jNS1_19radix_merge_compareILb0ELb1EjNS0_19identity_decomposerEEEEE10hipError_tT0_T1_T2_jT3_P12ihipStream_tbPNSt15iterator_traitsISE_E10value_typeEPNSK_ISF_E10value_typeEPSG_NS1_7vsmem_tEENKUlT_SE_SF_SG_E_clIS8_S8_S9_S9_EESD_ST_SE_SF_SG_EUlST_E0_NS1_11comp_targetILNS1_3genE3ELNS1_11target_archE908ELNS1_3gpuE7ELNS1_3repE0EEENS1_38merge_mergepath_config_static_selectorELNS0_4arch9wavefront6targetE0EEEvSF_.private_seg_size, 0
	.set _ZN7rocprim17ROCPRIM_400000_NS6detail17trampoline_kernelINS0_14default_configENS1_38merge_sort_block_merge_config_selectorIjNS0_10empty_typeEEEZZNS1_27merge_sort_block_merge_implIS3_PjPS5_jNS1_19radix_merge_compareILb0ELb1EjNS0_19identity_decomposerEEEEE10hipError_tT0_T1_T2_jT3_P12ihipStream_tbPNSt15iterator_traitsISE_E10value_typeEPNSK_ISF_E10value_typeEPSG_NS1_7vsmem_tEENKUlT_SE_SF_SG_E_clIS8_S8_S9_S9_EESD_ST_SE_SF_SG_EUlST_E0_NS1_11comp_targetILNS1_3genE3ELNS1_11target_archE908ELNS1_3gpuE7ELNS1_3repE0EEENS1_38merge_mergepath_config_static_selectorELNS0_4arch9wavefront6targetE0EEEvSF_.uses_vcc, 0
	.set _ZN7rocprim17ROCPRIM_400000_NS6detail17trampoline_kernelINS0_14default_configENS1_38merge_sort_block_merge_config_selectorIjNS0_10empty_typeEEEZZNS1_27merge_sort_block_merge_implIS3_PjPS5_jNS1_19radix_merge_compareILb0ELb1EjNS0_19identity_decomposerEEEEE10hipError_tT0_T1_T2_jT3_P12ihipStream_tbPNSt15iterator_traitsISE_E10value_typeEPNSK_ISF_E10value_typeEPSG_NS1_7vsmem_tEENKUlT_SE_SF_SG_E_clIS8_S8_S9_S9_EESD_ST_SE_SF_SG_EUlST_E0_NS1_11comp_targetILNS1_3genE3ELNS1_11target_archE908ELNS1_3gpuE7ELNS1_3repE0EEENS1_38merge_mergepath_config_static_selectorELNS0_4arch9wavefront6targetE0EEEvSF_.uses_flat_scratch, 0
	.set _ZN7rocprim17ROCPRIM_400000_NS6detail17trampoline_kernelINS0_14default_configENS1_38merge_sort_block_merge_config_selectorIjNS0_10empty_typeEEEZZNS1_27merge_sort_block_merge_implIS3_PjPS5_jNS1_19radix_merge_compareILb0ELb1EjNS0_19identity_decomposerEEEEE10hipError_tT0_T1_T2_jT3_P12ihipStream_tbPNSt15iterator_traitsISE_E10value_typeEPNSK_ISF_E10value_typeEPSG_NS1_7vsmem_tEENKUlT_SE_SF_SG_E_clIS8_S8_S9_S9_EESD_ST_SE_SF_SG_EUlST_E0_NS1_11comp_targetILNS1_3genE3ELNS1_11target_archE908ELNS1_3gpuE7ELNS1_3repE0EEENS1_38merge_mergepath_config_static_selectorELNS0_4arch9wavefront6targetE0EEEvSF_.has_dyn_sized_stack, 0
	.set _ZN7rocprim17ROCPRIM_400000_NS6detail17trampoline_kernelINS0_14default_configENS1_38merge_sort_block_merge_config_selectorIjNS0_10empty_typeEEEZZNS1_27merge_sort_block_merge_implIS3_PjPS5_jNS1_19radix_merge_compareILb0ELb1EjNS0_19identity_decomposerEEEEE10hipError_tT0_T1_T2_jT3_P12ihipStream_tbPNSt15iterator_traitsISE_E10value_typeEPNSK_ISF_E10value_typeEPSG_NS1_7vsmem_tEENKUlT_SE_SF_SG_E_clIS8_S8_S9_S9_EESD_ST_SE_SF_SG_EUlST_E0_NS1_11comp_targetILNS1_3genE3ELNS1_11target_archE908ELNS1_3gpuE7ELNS1_3repE0EEENS1_38merge_mergepath_config_static_selectorELNS0_4arch9wavefront6targetE0EEEvSF_.has_recursion, 0
	.set _ZN7rocprim17ROCPRIM_400000_NS6detail17trampoline_kernelINS0_14default_configENS1_38merge_sort_block_merge_config_selectorIjNS0_10empty_typeEEEZZNS1_27merge_sort_block_merge_implIS3_PjPS5_jNS1_19radix_merge_compareILb0ELb1EjNS0_19identity_decomposerEEEEE10hipError_tT0_T1_T2_jT3_P12ihipStream_tbPNSt15iterator_traitsISE_E10value_typeEPNSK_ISF_E10value_typeEPSG_NS1_7vsmem_tEENKUlT_SE_SF_SG_E_clIS8_S8_S9_S9_EESD_ST_SE_SF_SG_EUlST_E0_NS1_11comp_targetILNS1_3genE3ELNS1_11target_archE908ELNS1_3gpuE7ELNS1_3repE0EEENS1_38merge_mergepath_config_static_selectorELNS0_4arch9wavefront6targetE0EEEvSF_.has_indirect_call, 0
	.section	.AMDGPU.csdata,"",@progbits
; Kernel info:
; codeLenInByte = 0
; TotalNumSgprs: 0
; NumVgprs: 0
; ScratchSize: 0
; MemoryBound: 0
; FloatMode: 240
; IeeeMode: 1
; LDSByteSize: 0 bytes/workgroup (compile time only)
; SGPRBlocks: 0
; VGPRBlocks: 0
; NumSGPRsForWavesPerEU: 1
; NumVGPRsForWavesPerEU: 1
; NamedBarCnt: 0
; Occupancy: 16
; WaveLimiterHint : 0
; COMPUTE_PGM_RSRC2:SCRATCH_EN: 0
; COMPUTE_PGM_RSRC2:USER_SGPR: 2
; COMPUTE_PGM_RSRC2:TRAP_HANDLER: 0
; COMPUTE_PGM_RSRC2:TGID_X_EN: 1
; COMPUTE_PGM_RSRC2:TGID_Y_EN: 0
; COMPUTE_PGM_RSRC2:TGID_Z_EN: 0
; COMPUTE_PGM_RSRC2:TIDIG_COMP_CNT: 0
	.section	.text._ZN7rocprim17ROCPRIM_400000_NS6detail17trampoline_kernelINS0_14default_configENS1_38merge_sort_block_merge_config_selectorIjNS0_10empty_typeEEEZZNS1_27merge_sort_block_merge_implIS3_PjPS5_jNS1_19radix_merge_compareILb0ELb1EjNS0_19identity_decomposerEEEEE10hipError_tT0_T1_T2_jT3_P12ihipStream_tbPNSt15iterator_traitsISE_E10value_typeEPNSK_ISF_E10value_typeEPSG_NS1_7vsmem_tEENKUlT_SE_SF_SG_E_clIS8_S8_S9_S9_EESD_ST_SE_SF_SG_EUlST_E0_NS1_11comp_targetILNS1_3genE2ELNS1_11target_archE906ELNS1_3gpuE6ELNS1_3repE0EEENS1_38merge_mergepath_config_static_selectorELNS0_4arch9wavefront6targetE0EEEvSF_,"axG",@progbits,_ZN7rocprim17ROCPRIM_400000_NS6detail17trampoline_kernelINS0_14default_configENS1_38merge_sort_block_merge_config_selectorIjNS0_10empty_typeEEEZZNS1_27merge_sort_block_merge_implIS3_PjPS5_jNS1_19radix_merge_compareILb0ELb1EjNS0_19identity_decomposerEEEEE10hipError_tT0_T1_T2_jT3_P12ihipStream_tbPNSt15iterator_traitsISE_E10value_typeEPNSK_ISF_E10value_typeEPSG_NS1_7vsmem_tEENKUlT_SE_SF_SG_E_clIS8_S8_S9_S9_EESD_ST_SE_SF_SG_EUlST_E0_NS1_11comp_targetILNS1_3genE2ELNS1_11target_archE906ELNS1_3gpuE6ELNS1_3repE0EEENS1_38merge_mergepath_config_static_selectorELNS0_4arch9wavefront6targetE0EEEvSF_,comdat
	.protected	_ZN7rocprim17ROCPRIM_400000_NS6detail17trampoline_kernelINS0_14default_configENS1_38merge_sort_block_merge_config_selectorIjNS0_10empty_typeEEEZZNS1_27merge_sort_block_merge_implIS3_PjPS5_jNS1_19radix_merge_compareILb0ELb1EjNS0_19identity_decomposerEEEEE10hipError_tT0_T1_T2_jT3_P12ihipStream_tbPNSt15iterator_traitsISE_E10value_typeEPNSK_ISF_E10value_typeEPSG_NS1_7vsmem_tEENKUlT_SE_SF_SG_E_clIS8_S8_S9_S9_EESD_ST_SE_SF_SG_EUlST_E0_NS1_11comp_targetILNS1_3genE2ELNS1_11target_archE906ELNS1_3gpuE6ELNS1_3repE0EEENS1_38merge_mergepath_config_static_selectorELNS0_4arch9wavefront6targetE0EEEvSF_ ; -- Begin function _ZN7rocprim17ROCPRIM_400000_NS6detail17trampoline_kernelINS0_14default_configENS1_38merge_sort_block_merge_config_selectorIjNS0_10empty_typeEEEZZNS1_27merge_sort_block_merge_implIS3_PjPS5_jNS1_19radix_merge_compareILb0ELb1EjNS0_19identity_decomposerEEEEE10hipError_tT0_T1_T2_jT3_P12ihipStream_tbPNSt15iterator_traitsISE_E10value_typeEPNSK_ISF_E10value_typeEPSG_NS1_7vsmem_tEENKUlT_SE_SF_SG_E_clIS8_S8_S9_S9_EESD_ST_SE_SF_SG_EUlST_E0_NS1_11comp_targetILNS1_3genE2ELNS1_11target_archE906ELNS1_3gpuE6ELNS1_3repE0EEENS1_38merge_mergepath_config_static_selectorELNS0_4arch9wavefront6targetE0EEEvSF_
	.globl	_ZN7rocprim17ROCPRIM_400000_NS6detail17trampoline_kernelINS0_14default_configENS1_38merge_sort_block_merge_config_selectorIjNS0_10empty_typeEEEZZNS1_27merge_sort_block_merge_implIS3_PjPS5_jNS1_19radix_merge_compareILb0ELb1EjNS0_19identity_decomposerEEEEE10hipError_tT0_T1_T2_jT3_P12ihipStream_tbPNSt15iterator_traitsISE_E10value_typeEPNSK_ISF_E10value_typeEPSG_NS1_7vsmem_tEENKUlT_SE_SF_SG_E_clIS8_S8_S9_S9_EESD_ST_SE_SF_SG_EUlST_E0_NS1_11comp_targetILNS1_3genE2ELNS1_11target_archE906ELNS1_3gpuE6ELNS1_3repE0EEENS1_38merge_mergepath_config_static_selectorELNS0_4arch9wavefront6targetE0EEEvSF_
	.p2align	8
	.type	_ZN7rocprim17ROCPRIM_400000_NS6detail17trampoline_kernelINS0_14default_configENS1_38merge_sort_block_merge_config_selectorIjNS0_10empty_typeEEEZZNS1_27merge_sort_block_merge_implIS3_PjPS5_jNS1_19radix_merge_compareILb0ELb1EjNS0_19identity_decomposerEEEEE10hipError_tT0_T1_T2_jT3_P12ihipStream_tbPNSt15iterator_traitsISE_E10value_typeEPNSK_ISF_E10value_typeEPSG_NS1_7vsmem_tEENKUlT_SE_SF_SG_E_clIS8_S8_S9_S9_EESD_ST_SE_SF_SG_EUlST_E0_NS1_11comp_targetILNS1_3genE2ELNS1_11target_archE906ELNS1_3gpuE6ELNS1_3repE0EEENS1_38merge_mergepath_config_static_selectorELNS0_4arch9wavefront6targetE0EEEvSF_,@function
_ZN7rocprim17ROCPRIM_400000_NS6detail17trampoline_kernelINS0_14default_configENS1_38merge_sort_block_merge_config_selectorIjNS0_10empty_typeEEEZZNS1_27merge_sort_block_merge_implIS3_PjPS5_jNS1_19radix_merge_compareILb0ELb1EjNS0_19identity_decomposerEEEEE10hipError_tT0_T1_T2_jT3_P12ihipStream_tbPNSt15iterator_traitsISE_E10value_typeEPNSK_ISF_E10value_typeEPSG_NS1_7vsmem_tEENKUlT_SE_SF_SG_E_clIS8_S8_S9_S9_EESD_ST_SE_SF_SG_EUlST_E0_NS1_11comp_targetILNS1_3genE2ELNS1_11target_archE906ELNS1_3gpuE6ELNS1_3repE0EEENS1_38merge_mergepath_config_static_selectorELNS0_4arch9wavefront6targetE0EEEvSF_: ; @_ZN7rocprim17ROCPRIM_400000_NS6detail17trampoline_kernelINS0_14default_configENS1_38merge_sort_block_merge_config_selectorIjNS0_10empty_typeEEEZZNS1_27merge_sort_block_merge_implIS3_PjPS5_jNS1_19radix_merge_compareILb0ELb1EjNS0_19identity_decomposerEEEEE10hipError_tT0_T1_T2_jT3_P12ihipStream_tbPNSt15iterator_traitsISE_E10value_typeEPNSK_ISF_E10value_typeEPSG_NS1_7vsmem_tEENKUlT_SE_SF_SG_E_clIS8_S8_S9_S9_EESD_ST_SE_SF_SG_EUlST_E0_NS1_11comp_targetILNS1_3genE2ELNS1_11target_archE906ELNS1_3gpuE6ELNS1_3repE0EEENS1_38merge_mergepath_config_static_selectorELNS0_4arch9wavefront6targetE0EEEvSF_
; %bb.0:
	.section	.rodata,"a",@progbits
	.p2align	6, 0x0
	.amdhsa_kernel _ZN7rocprim17ROCPRIM_400000_NS6detail17trampoline_kernelINS0_14default_configENS1_38merge_sort_block_merge_config_selectorIjNS0_10empty_typeEEEZZNS1_27merge_sort_block_merge_implIS3_PjPS5_jNS1_19radix_merge_compareILb0ELb1EjNS0_19identity_decomposerEEEEE10hipError_tT0_T1_T2_jT3_P12ihipStream_tbPNSt15iterator_traitsISE_E10value_typeEPNSK_ISF_E10value_typeEPSG_NS1_7vsmem_tEENKUlT_SE_SF_SG_E_clIS8_S8_S9_S9_EESD_ST_SE_SF_SG_EUlST_E0_NS1_11comp_targetILNS1_3genE2ELNS1_11target_archE906ELNS1_3gpuE6ELNS1_3repE0EEENS1_38merge_mergepath_config_static_selectorELNS0_4arch9wavefront6targetE0EEEvSF_
		.amdhsa_group_segment_fixed_size 0
		.amdhsa_private_segment_fixed_size 0
		.amdhsa_kernarg_size 64
		.amdhsa_user_sgpr_count 2
		.amdhsa_user_sgpr_dispatch_ptr 0
		.amdhsa_user_sgpr_queue_ptr 0
		.amdhsa_user_sgpr_kernarg_segment_ptr 1
		.amdhsa_user_sgpr_dispatch_id 0
		.amdhsa_user_sgpr_kernarg_preload_length 0
		.amdhsa_user_sgpr_kernarg_preload_offset 0
		.amdhsa_user_sgpr_private_segment_size 0
		.amdhsa_wavefront_size32 1
		.amdhsa_uses_dynamic_stack 0
		.amdhsa_enable_private_segment 0
		.amdhsa_system_sgpr_workgroup_id_x 1
		.amdhsa_system_sgpr_workgroup_id_y 0
		.amdhsa_system_sgpr_workgroup_id_z 0
		.amdhsa_system_sgpr_workgroup_info 0
		.amdhsa_system_vgpr_workitem_id 0
		.amdhsa_next_free_vgpr 1
		.amdhsa_next_free_sgpr 1
		.amdhsa_named_barrier_count 0
		.amdhsa_reserve_vcc 0
		.amdhsa_float_round_mode_32 0
		.amdhsa_float_round_mode_16_64 0
		.amdhsa_float_denorm_mode_32 3
		.amdhsa_float_denorm_mode_16_64 3
		.amdhsa_fp16_overflow 0
		.amdhsa_memory_ordered 1
		.amdhsa_forward_progress 1
		.amdhsa_inst_pref_size 0
		.amdhsa_round_robin_scheduling 0
		.amdhsa_exception_fp_ieee_invalid_op 0
		.amdhsa_exception_fp_denorm_src 0
		.amdhsa_exception_fp_ieee_div_zero 0
		.amdhsa_exception_fp_ieee_overflow 0
		.amdhsa_exception_fp_ieee_underflow 0
		.amdhsa_exception_fp_ieee_inexact 0
		.amdhsa_exception_int_div_zero 0
	.end_amdhsa_kernel
	.section	.text._ZN7rocprim17ROCPRIM_400000_NS6detail17trampoline_kernelINS0_14default_configENS1_38merge_sort_block_merge_config_selectorIjNS0_10empty_typeEEEZZNS1_27merge_sort_block_merge_implIS3_PjPS5_jNS1_19radix_merge_compareILb0ELb1EjNS0_19identity_decomposerEEEEE10hipError_tT0_T1_T2_jT3_P12ihipStream_tbPNSt15iterator_traitsISE_E10value_typeEPNSK_ISF_E10value_typeEPSG_NS1_7vsmem_tEENKUlT_SE_SF_SG_E_clIS8_S8_S9_S9_EESD_ST_SE_SF_SG_EUlST_E0_NS1_11comp_targetILNS1_3genE2ELNS1_11target_archE906ELNS1_3gpuE6ELNS1_3repE0EEENS1_38merge_mergepath_config_static_selectorELNS0_4arch9wavefront6targetE0EEEvSF_,"axG",@progbits,_ZN7rocprim17ROCPRIM_400000_NS6detail17trampoline_kernelINS0_14default_configENS1_38merge_sort_block_merge_config_selectorIjNS0_10empty_typeEEEZZNS1_27merge_sort_block_merge_implIS3_PjPS5_jNS1_19radix_merge_compareILb0ELb1EjNS0_19identity_decomposerEEEEE10hipError_tT0_T1_T2_jT3_P12ihipStream_tbPNSt15iterator_traitsISE_E10value_typeEPNSK_ISF_E10value_typeEPSG_NS1_7vsmem_tEENKUlT_SE_SF_SG_E_clIS8_S8_S9_S9_EESD_ST_SE_SF_SG_EUlST_E0_NS1_11comp_targetILNS1_3genE2ELNS1_11target_archE906ELNS1_3gpuE6ELNS1_3repE0EEENS1_38merge_mergepath_config_static_selectorELNS0_4arch9wavefront6targetE0EEEvSF_,comdat
.Lfunc_end2715:
	.size	_ZN7rocprim17ROCPRIM_400000_NS6detail17trampoline_kernelINS0_14default_configENS1_38merge_sort_block_merge_config_selectorIjNS0_10empty_typeEEEZZNS1_27merge_sort_block_merge_implIS3_PjPS5_jNS1_19radix_merge_compareILb0ELb1EjNS0_19identity_decomposerEEEEE10hipError_tT0_T1_T2_jT3_P12ihipStream_tbPNSt15iterator_traitsISE_E10value_typeEPNSK_ISF_E10value_typeEPSG_NS1_7vsmem_tEENKUlT_SE_SF_SG_E_clIS8_S8_S9_S9_EESD_ST_SE_SF_SG_EUlST_E0_NS1_11comp_targetILNS1_3genE2ELNS1_11target_archE906ELNS1_3gpuE6ELNS1_3repE0EEENS1_38merge_mergepath_config_static_selectorELNS0_4arch9wavefront6targetE0EEEvSF_, .Lfunc_end2715-_ZN7rocprim17ROCPRIM_400000_NS6detail17trampoline_kernelINS0_14default_configENS1_38merge_sort_block_merge_config_selectorIjNS0_10empty_typeEEEZZNS1_27merge_sort_block_merge_implIS3_PjPS5_jNS1_19radix_merge_compareILb0ELb1EjNS0_19identity_decomposerEEEEE10hipError_tT0_T1_T2_jT3_P12ihipStream_tbPNSt15iterator_traitsISE_E10value_typeEPNSK_ISF_E10value_typeEPSG_NS1_7vsmem_tEENKUlT_SE_SF_SG_E_clIS8_S8_S9_S9_EESD_ST_SE_SF_SG_EUlST_E0_NS1_11comp_targetILNS1_3genE2ELNS1_11target_archE906ELNS1_3gpuE6ELNS1_3repE0EEENS1_38merge_mergepath_config_static_selectorELNS0_4arch9wavefront6targetE0EEEvSF_
                                        ; -- End function
	.set _ZN7rocprim17ROCPRIM_400000_NS6detail17trampoline_kernelINS0_14default_configENS1_38merge_sort_block_merge_config_selectorIjNS0_10empty_typeEEEZZNS1_27merge_sort_block_merge_implIS3_PjPS5_jNS1_19radix_merge_compareILb0ELb1EjNS0_19identity_decomposerEEEEE10hipError_tT0_T1_T2_jT3_P12ihipStream_tbPNSt15iterator_traitsISE_E10value_typeEPNSK_ISF_E10value_typeEPSG_NS1_7vsmem_tEENKUlT_SE_SF_SG_E_clIS8_S8_S9_S9_EESD_ST_SE_SF_SG_EUlST_E0_NS1_11comp_targetILNS1_3genE2ELNS1_11target_archE906ELNS1_3gpuE6ELNS1_3repE0EEENS1_38merge_mergepath_config_static_selectorELNS0_4arch9wavefront6targetE0EEEvSF_.num_vgpr, 0
	.set _ZN7rocprim17ROCPRIM_400000_NS6detail17trampoline_kernelINS0_14default_configENS1_38merge_sort_block_merge_config_selectorIjNS0_10empty_typeEEEZZNS1_27merge_sort_block_merge_implIS3_PjPS5_jNS1_19radix_merge_compareILb0ELb1EjNS0_19identity_decomposerEEEEE10hipError_tT0_T1_T2_jT3_P12ihipStream_tbPNSt15iterator_traitsISE_E10value_typeEPNSK_ISF_E10value_typeEPSG_NS1_7vsmem_tEENKUlT_SE_SF_SG_E_clIS8_S8_S9_S9_EESD_ST_SE_SF_SG_EUlST_E0_NS1_11comp_targetILNS1_3genE2ELNS1_11target_archE906ELNS1_3gpuE6ELNS1_3repE0EEENS1_38merge_mergepath_config_static_selectorELNS0_4arch9wavefront6targetE0EEEvSF_.num_agpr, 0
	.set _ZN7rocprim17ROCPRIM_400000_NS6detail17trampoline_kernelINS0_14default_configENS1_38merge_sort_block_merge_config_selectorIjNS0_10empty_typeEEEZZNS1_27merge_sort_block_merge_implIS3_PjPS5_jNS1_19radix_merge_compareILb0ELb1EjNS0_19identity_decomposerEEEEE10hipError_tT0_T1_T2_jT3_P12ihipStream_tbPNSt15iterator_traitsISE_E10value_typeEPNSK_ISF_E10value_typeEPSG_NS1_7vsmem_tEENKUlT_SE_SF_SG_E_clIS8_S8_S9_S9_EESD_ST_SE_SF_SG_EUlST_E0_NS1_11comp_targetILNS1_3genE2ELNS1_11target_archE906ELNS1_3gpuE6ELNS1_3repE0EEENS1_38merge_mergepath_config_static_selectorELNS0_4arch9wavefront6targetE0EEEvSF_.numbered_sgpr, 0
	.set _ZN7rocprim17ROCPRIM_400000_NS6detail17trampoline_kernelINS0_14default_configENS1_38merge_sort_block_merge_config_selectorIjNS0_10empty_typeEEEZZNS1_27merge_sort_block_merge_implIS3_PjPS5_jNS1_19radix_merge_compareILb0ELb1EjNS0_19identity_decomposerEEEEE10hipError_tT0_T1_T2_jT3_P12ihipStream_tbPNSt15iterator_traitsISE_E10value_typeEPNSK_ISF_E10value_typeEPSG_NS1_7vsmem_tEENKUlT_SE_SF_SG_E_clIS8_S8_S9_S9_EESD_ST_SE_SF_SG_EUlST_E0_NS1_11comp_targetILNS1_3genE2ELNS1_11target_archE906ELNS1_3gpuE6ELNS1_3repE0EEENS1_38merge_mergepath_config_static_selectorELNS0_4arch9wavefront6targetE0EEEvSF_.num_named_barrier, 0
	.set _ZN7rocprim17ROCPRIM_400000_NS6detail17trampoline_kernelINS0_14default_configENS1_38merge_sort_block_merge_config_selectorIjNS0_10empty_typeEEEZZNS1_27merge_sort_block_merge_implIS3_PjPS5_jNS1_19radix_merge_compareILb0ELb1EjNS0_19identity_decomposerEEEEE10hipError_tT0_T1_T2_jT3_P12ihipStream_tbPNSt15iterator_traitsISE_E10value_typeEPNSK_ISF_E10value_typeEPSG_NS1_7vsmem_tEENKUlT_SE_SF_SG_E_clIS8_S8_S9_S9_EESD_ST_SE_SF_SG_EUlST_E0_NS1_11comp_targetILNS1_3genE2ELNS1_11target_archE906ELNS1_3gpuE6ELNS1_3repE0EEENS1_38merge_mergepath_config_static_selectorELNS0_4arch9wavefront6targetE0EEEvSF_.private_seg_size, 0
	.set _ZN7rocprim17ROCPRIM_400000_NS6detail17trampoline_kernelINS0_14default_configENS1_38merge_sort_block_merge_config_selectorIjNS0_10empty_typeEEEZZNS1_27merge_sort_block_merge_implIS3_PjPS5_jNS1_19radix_merge_compareILb0ELb1EjNS0_19identity_decomposerEEEEE10hipError_tT0_T1_T2_jT3_P12ihipStream_tbPNSt15iterator_traitsISE_E10value_typeEPNSK_ISF_E10value_typeEPSG_NS1_7vsmem_tEENKUlT_SE_SF_SG_E_clIS8_S8_S9_S9_EESD_ST_SE_SF_SG_EUlST_E0_NS1_11comp_targetILNS1_3genE2ELNS1_11target_archE906ELNS1_3gpuE6ELNS1_3repE0EEENS1_38merge_mergepath_config_static_selectorELNS0_4arch9wavefront6targetE0EEEvSF_.uses_vcc, 0
	.set _ZN7rocprim17ROCPRIM_400000_NS6detail17trampoline_kernelINS0_14default_configENS1_38merge_sort_block_merge_config_selectorIjNS0_10empty_typeEEEZZNS1_27merge_sort_block_merge_implIS3_PjPS5_jNS1_19radix_merge_compareILb0ELb1EjNS0_19identity_decomposerEEEEE10hipError_tT0_T1_T2_jT3_P12ihipStream_tbPNSt15iterator_traitsISE_E10value_typeEPNSK_ISF_E10value_typeEPSG_NS1_7vsmem_tEENKUlT_SE_SF_SG_E_clIS8_S8_S9_S9_EESD_ST_SE_SF_SG_EUlST_E0_NS1_11comp_targetILNS1_3genE2ELNS1_11target_archE906ELNS1_3gpuE6ELNS1_3repE0EEENS1_38merge_mergepath_config_static_selectorELNS0_4arch9wavefront6targetE0EEEvSF_.uses_flat_scratch, 0
	.set _ZN7rocprim17ROCPRIM_400000_NS6detail17trampoline_kernelINS0_14default_configENS1_38merge_sort_block_merge_config_selectorIjNS0_10empty_typeEEEZZNS1_27merge_sort_block_merge_implIS3_PjPS5_jNS1_19radix_merge_compareILb0ELb1EjNS0_19identity_decomposerEEEEE10hipError_tT0_T1_T2_jT3_P12ihipStream_tbPNSt15iterator_traitsISE_E10value_typeEPNSK_ISF_E10value_typeEPSG_NS1_7vsmem_tEENKUlT_SE_SF_SG_E_clIS8_S8_S9_S9_EESD_ST_SE_SF_SG_EUlST_E0_NS1_11comp_targetILNS1_3genE2ELNS1_11target_archE906ELNS1_3gpuE6ELNS1_3repE0EEENS1_38merge_mergepath_config_static_selectorELNS0_4arch9wavefront6targetE0EEEvSF_.has_dyn_sized_stack, 0
	.set _ZN7rocprim17ROCPRIM_400000_NS6detail17trampoline_kernelINS0_14default_configENS1_38merge_sort_block_merge_config_selectorIjNS0_10empty_typeEEEZZNS1_27merge_sort_block_merge_implIS3_PjPS5_jNS1_19radix_merge_compareILb0ELb1EjNS0_19identity_decomposerEEEEE10hipError_tT0_T1_T2_jT3_P12ihipStream_tbPNSt15iterator_traitsISE_E10value_typeEPNSK_ISF_E10value_typeEPSG_NS1_7vsmem_tEENKUlT_SE_SF_SG_E_clIS8_S8_S9_S9_EESD_ST_SE_SF_SG_EUlST_E0_NS1_11comp_targetILNS1_3genE2ELNS1_11target_archE906ELNS1_3gpuE6ELNS1_3repE0EEENS1_38merge_mergepath_config_static_selectorELNS0_4arch9wavefront6targetE0EEEvSF_.has_recursion, 0
	.set _ZN7rocprim17ROCPRIM_400000_NS6detail17trampoline_kernelINS0_14default_configENS1_38merge_sort_block_merge_config_selectorIjNS0_10empty_typeEEEZZNS1_27merge_sort_block_merge_implIS3_PjPS5_jNS1_19radix_merge_compareILb0ELb1EjNS0_19identity_decomposerEEEEE10hipError_tT0_T1_T2_jT3_P12ihipStream_tbPNSt15iterator_traitsISE_E10value_typeEPNSK_ISF_E10value_typeEPSG_NS1_7vsmem_tEENKUlT_SE_SF_SG_E_clIS8_S8_S9_S9_EESD_ST_SE_SF_SG_EUlST_E0_NS1_11comp_targetILNS1_3genE2ELNS1_11target_archE906ELNS1_3gpuE6ELNS1_3repE0EEENS1_38merge_mergepath_config_static_selectorELNS0_4arch9wavefront6targetE0EEEvSF_.has_indirect_call, 0
	.section	.AMDGPU.csdata,"",@progbits
; Kernel info:
; codeLenInByte = 0
; TotalNumSgprs: 0
; NumVgprs: 0
; ScratchSize: 0
; MemoryBound: 0
; FloatMode: 240
; IeeeMode: 1
; LDSByteSize: 0 bytes/workgroup (compile time only)
; SGPRBlocks: 0
; VGPRBlocks: 0
; NumSGPRsForWavesPerEU: 1
; NumVGPRsForWavesPerEU: 1
; NamedBarCnt: 0
; Occupancy: 16
; WaveLimiterHint : 0
; COMPUTE_PGM_RSRC2:SCRATCH_EN: 0
; COMPUTE_PGM_RSRC2:USER_SGPR: 2
; COMPUTE_PGM_RSRC2:TRAP_HANDLER: 0
; COMPUTE_PGM_RSRC2:TGID_X_EN: 1
; COMPUTE_PGM_RSRC2:TGID_Y_EN: 0
; COMPUTE_PGM_RSRC2:TGID_Z_EN: 0
; COMPUTE_PGM_RSRC2:TIDIG_COMP_CNT: 0
	.section	.text._ZN7rocprim17ROCPRIM_400000_NS6detail17trampoline_kernelINS0_14default_configENS1_38merge_sort_block_merge_config_selectorIjNS0_10empty_typeEEEZZNS1_27merge_sort_block_merge_implIS3_PjPS5_jNS1_19radix_merge_compareILb0ELb1EjNS0_19identity_decomposerEEEEE10hipError_tT0_T1_T2_jT3_P12ihipStream_tbPNSt15iterator_traitsISE_E10value_typeEPNSK_ISF_E10value_typeEPSG_NS1_7vsmem_tEENKUlT_SE_SF_SG_E_clIS8_S8_S9_S9_EESD_ST_SE_SF_SG_EUlST_E0_NS1_11comp_targetILNS1_3genE9ELNS1_11target_archE1100ELNS1_3gpuE3ELNS1_3repE0EEENS1_38merge_mergepath_config_static_selectorELNS0_4arch9wavefront6targetE0EEEvSF_,"axG",@progbits,_ZN7rocprim17ROCPRIM_400000_NS6detail17trampoline_kernelINS0_14default_configENS1_38merge_sort_block_merge_config_selectorIjNS0_10empty_typeEEEZZNS1_27merge_sort_block_merge_implIS3_PjPS5_jNS1_19radix_merge_compareILb0ELb1EjNS0_19identity_decomposerEEEEE10hipError_tT0_T1_T2_jT3_P12ihipStream_tbPNSt15iterator_traitsISE_E10value_typeEPNSK_ISF_E10value_typeEPSG_NS1_7vsmem_tEENKUlT_SE_SF_SG_E_clIS8_S8_S9_S9_EESD_ST_SE_SF_SG_EUlST_E0_NS1_11comp_targetILNS1_3genE9ELNS1_11target_archE1100ELNS1_3gpuE3ELNS1_3repE0EEENS1_38merge_mergepath_config_static_selectorELNS0_4arch9wavefront6targetE0EEEvSF_,comdat
	.protected	_ZN7rocprim17ROCPRIM_400000_NS6detail17trampoline_kernelINS0_14default_configENS1_38merge_sort_block_merge_config_selectorIjNS0_10empty_typeEEEZZNS1_27merge_sort_block_merge_implIS3_PjPS5_jNS1_19radix_merge_compareILb0ELb1EjNS0_19identity_decomposerEEEEE10hipError_tT0_T1_T2_jT3_P12ihipStream_tbPNSt15iterator_traitsISE_E10value_typeEPNSK_ISF_E10value_typeEPSG_NS1_7vsmem_tEENKUlT_SE_SF_SG_E_clIS8_S8_S9_S9_EESD_ST_SE_SF_SG_EUlST_E0_NS1_11comp_targetILNS1_3genE9ELNS1_11target_archE1100ELNS1_3gpuE3ELNS1_3repE0EEENS1_38merge_mergepath_config_static_selectorELNS0_4arch9wavefront6targetE0EEEvSF_ ; -- Begin function _ZN7rocprim17ROCPRIM_400000_NS6detail17trampoline_kernelINS0_14default_configENS1_38merge_sort_block_merge_config_selectorIjNS0_10empty_typeEEEZZNS1_27merge_sort_block_merge_implIS3_PjPS5_jNS1_19radix_merge_compareILb0ELb1EjNS0_19identity_decomposerEEEEE10hipError_tT0_T1_T2_jT3_P12ihipStream_tbPNSt15iterator_traitsISE_E10value_typeEPNSK_ISF_E10value_typeEPSG_NS1_7vsmem_tEENKUlT_SE_SF_SG_E_clIS8_S8_S9_S9_EESD_ST_SE_SF_SG_EUlST_E0_NS1_11comp_targetILNS1_3genE9ELNS1_11target_archE1100ELNS1_3gpuE3ELNS1_3repE0EEENS1_38merge_mergepath_config_static_selectorELNS0_4arch9wavefront6targetE0EEEvSF_
	.globl	_ZN7rocprim17ROCPRIM_400000_NS6detail17trampoline_kernelINS0_14default_configENS1_38merge_sort_block_merge_config_selectorIjNS0_10empty_typeEEEZZNS1_27merge_sort_block_merge_implIS3_PjPS5_jNS1_19radix_merge_compareILb0ELb1EjNS0_19identity_decomposerEEEEE10hipError_tT0_T1_T2_jT3_P12ihipStream_tbPNSt15iterator_traitsISE_E10value_typeEPNSK_ISF_E10value_typeEPSG_NS1_7vsmem_tEENKUlT_SE_SF_SG_E_clIS8_S8_S9_S9_EESD_ST_SE_SF_SG_EUlST_E0_NS1_11comp_targetILNS1_3genE9ELNS1_11target_archE1100ELNS1_3gpuE3ELNS1_3repE0EEENS1_38merge_mergepath_config_static_selectorELNS0_4arch9wavefront6targetE0EEEvSF_
	.p2align	8
	.type	_ZN7rocprim17ROCPRIM_400000_NS6detail17trampoline_kernelINS0_14default_configENS1_38merge_sort_block_merge_config_selectorIjNS0_10empty_typeEEEZZNS1_27merge_sort_block_merge_implIS3_PjPS5_jNS1_19radix_merge_compareILb0ELb1EjNS0_19identity_decomposerEEEEE10hipError_tT0_T1_T2_jT3_P12ihipStream_tbPNSt15iterator_traitsISE_E10value_typeEPNSK_ISF_E10value_typeEPSG_NS1_7vsmem_tEENKUlT_SE_SF_SG_E_clIS8_S8_S9_S9_EESD_ST_SE_SF_SG_EUlST_E0_NS1_11comp_targetILNS1_3genE9ELNS1_11target_archE1100ELNS1_3gpuE3ELNS1_3repE0EEENS1_38merge_mergepath_config_static_selectorELNS0_4arch9wavefront6targetE0EEEvSF_,@function
_ZN7rocprim17ROCPRIM_400000_NS6detail17trampoline_kernelINS0_14default_configENS1_38merge_sort_block_merge_config_selectorIjNS0_10empty_typeEEEZZNS1_27merge_sort_block_merge_implIS3_PjPS5_jNS1_19radix_merge_compareILb0ELb1EjNS0_19identity_decomposerEEEEE10hipError_tT0_T1_T2_jT3_P12ihipStream_tbPNSt15iterator_traitsISE_E10value_typeEPNSK_ISF_E10value_typeEPSG_NS1_7vsmem_tEENKUlT_SE_SF_SG_E_clIS8_S8_S9_S9_EESD_ST_SE_SF_SG_EUlST_E0_NS1_11comp_targetILNS1_3genE9ELNS1_11target_archE1100ELNS1_3gpuE3ELNS1_3repE0EEENS1_38merge_mergepath_config_static_selectorELNS0_4arch9wavefront6targetE0EEEvSF_: ; @_ZN7rocprim17ROCPRIM_400000_NS6detail17trampoline_kernelINS0_14default_configENS1_38merge_sort_block_merge_config_selectorIjNS0_10empty_typeEEEZZNS1_27merge_sort_block_merge_implIS3_PjPS5_jNS1_19radix_merge_compareILb0ELb1EjNS0_19identity_decomposerEEEEE10hipError_tT0_T1_T2_jT3_P12ihipStream_tbPNSt15iterator_traitsISE_E10value_typeEPNSK_ISF_E10value_typeEPSG_NS1_7vsmem_tEENKUlT_SE_SF_SG_E_clIS8_S8_S9_S9_EESD_ST_SE_SF_SG_EUlST_E0_NS1_11comp_targetILNS1_3genE9ELNS1_11target_archE1100ELNS1_3gpuE3ELNS1_3repE0EEENS1_38merge_mergepath_config_static_selectorELNS0_4arch9wavefront6targetE0EEEvSF_
; %bb.0:
	.section	.rodata,"a",@progbits
	.p2align	6, 0x0
	.amdhsa_kernel _ZN7rocprim17ROCPRIM_400000_NS6detail17trampoline_kernelINS0_14default_configENS1_38merge_sort_block_merge_config_selectorIjNS0_10empty_typeEEEZZNS1_27merge_sort_block_merge_implIS3_PjPS5_jNS1_19radix_merge_compareILb0ELb1EjNS0_19identity_decomposerEEEEE10hipError_tT0_T1_T2_jT3_P12ihipStream_tbPNSt15iterator_traitsISE_E10value_typeEPNSK_ISF_E10value_typeEPSG_NS1_7vsmem_tEENKUlT_SE_SF_SG_E_clIS8_S8_S9_S9_EESD_ST_SE_SF_SG_EUlST_E0_NS1_11comp_targetILNS1_3genE9ELNS1_11target_archE1100ELNS1_3gpuE3ELNS1_3repE0EEENS1_38merge_mergepath_config_static_selectorELNS0_4arch9wavefront6targetE0EEEvSF_
		.amdhsa_group_segment_fixed_size 0
		.amdhsa_private_segment_fixed_size 0
		.amdhsa_kernarg_size 64
		.amdhsa_user_sgpr_count 2
		.amdhsa_user_sgpr_dispatch_ptr 0
		.amdhsa_user_sgpr_queue_ptr 0
		.amdhsa_user_sgpr_kernarg_segment_ptr 1
		.amdhsa_user_sgpr_dispatch_id 0
		.amdhsa_user_sgpr_kernarg_preload_length 0
		.amdhsa_user_sgpr_kernarg_preload_offset 0
		.amdhsa_user_sgpr_private_segment_size 0
		.amdhsa_wavefront_size32 1
		.amdhsa_uses_dynamic_stack 0
		.amdhsa_enable_private_segment 0
		.amdhsa_system_sgpr_workgroup_id_x 1
		.amdhsa_system_sgpr_workgroup_id_y 0
		.amdhsa_system_sgpr_workgroup_id_z 0
		.amdhsa_system_sgpr_workgroup_info 0
		.amdhsa_system_vgpr_workitem_id 0
		.amdhsa_next_free_vgpr 1
		.amdhsa_next_free_sgpr 1
		.amdhsa_named_barrier_count 0
		.amdhsa_reserve_vcc 0
		.amdhsa_float_round_mode_32 0
		.amdhsa_float_round_mode_16_64 0
		.amdhsa_float_denorm_mode_32 3
		.amdhsa_float_denorm_mode_16_64 3
		.amdhsa_fp16_overflow 0
		.amdhsa_memory_ordered 1
		.amdhsa_forward_progress 1
		.amdhsa_inst_pref_size 0
		.amdhsa_round_robin_scheduling 0
		.amdhsa_exception_fp_ieee_invalid_op 0
		.amdhsa_exception_fp_denorm_src 0
		.amdhsa_exception_fp_ieee_div_zero 0
		.amdhsa_exception_fp_ieee_overflow 0
		.amdhsa_exception_fp_ieee_underflow 0
		.amdhsa_exception_fp_ieee_inexact 0
		.amdhsa_exception_int_div_zero 0
	.end_amdhsa_kernel
	.section	.text._ZN7rocprim17ROCPRIM_400000_NS6detail17trampoline_kernelINS0_14default_configENS1_38merge_sort_block_merge_config_selectorIjNS0_10empty_typeEEEZZNS1_27merge_sort_block_merge_implIS3_PjPS5_jNS1_19radix_merge_compareILb0ELb1EjNS0_19identity_decomposerEEEEE10hipError_tT0_T1_T2_jT3_P12ihipStream_tbPNSt15iterator_traitsISE_E10value_typeEPNSK_ISF_E10value_typeEPSG_NS1_7vsmem_tEENKUlT_SE_SF_SG_E_clIS8_S8_S9_S9_EESD_ST_SE_SF_SG_EUlST_E0_NS1_11comp_targetILNS1_3genE9ELNS1_11target_archE1100ELNS1_3gpuE3ELNS1_3repE0EEENS1_38merge_mergepath_config_static_selectorELNS0_4arch9wavefront6targetE0EEEvSF_,"axG",@progbits,_ZN7rocprim17ROCPRIM_400000_NS6detail17trampoline_kernelINS0_14default_configENS1_38merge_sort_block_merge_config_selectorIjNS0_10empty_typeEEEZZNS1_27merge_sort_block_merge_implIS3_PjPS5_jNS1_19radix_merge_compareILb0ELb1EjNS0_19identity_decomposerEEEEE10hipError_tT0_T1_T2_jT3_P12ihipStream_tbPNSt15iterator_traitsISE_E10value_typeEPNSK_ISF_E10value_typeEPSG_NS1_7vsmem_tEENKUlT_SE_SF_SG_E_clIS8_S8_S9_S9_EESD_ST_SE_SF_SG_EUlST_E0_NS1_11comp_targetILNS1_3genE9ELNS1_11target_archE1100ELNS1_3gpuE3ELNS1_3repE0EEENS1_38merge_mergepath_config_static_selectorELNS0_4arch9wavefront6targetE0EEEvSF_,comdat
.Lfunc_end2716:
	.size	_ZN7rocprim17ROCPRIM_400000_NS6detail17trampoline_kernelINS0_14default_configENS1_38merge_sort_block_merge_config_selectorIjNS0_10empty_typeEEEZZNS1_27merge_sort_block_merge_implIS3_PjPS5_jNS1_19radix_merge_compareILb0ELb1EjNS0_19identity_decomposerEEEEE10hipError_tT0_T1_T2_jT3_P12ihipStream_tbPNSt15iterator_traitsISE_E10value_typeEPNSK_ISF_E10value_typeEPSG_NS1_7vsmem_tEENKUlT_SE_SF_SG_E_clIS8_S8_S9_S9_EESD_ST_SE_SF_SG_EUlST_E0_NS1_11comp_targetILNS1_3genE9ELNS1_11target_archE1100ELNS1_3gpuE3ELNS1_3repE0EEENS1_38merge_mergepath_config_static_selectorELNS0_4arch9wavefront6targetE0EEEvSF_, .Lfunc_end2716-_ZN7rocprim17ROCPRIM_400000_NS6detail17trampoline_kernelINS0_14default_configENS1_38merge_sort_block_merge_config_selectorIjNS0_10empty_typeEEEZZNS1_27merge_sort_block_merge_implIS3_PjPS5_jNS1_19radix_merge_compareILb0ELb1EjNS0_19identity_decomposerEEEEE10hipError_tT0_T1_T2_jT3_P12ihipStream_tbPNSt15iterator_traitsISE_E10value_typeEPNSK_ISF_E10value_typeEPSG_NS1_7vsmem_tEENKUlT_SE_SF_SG_E_clIS8_S8_S9_S9_EESD_ST_SE_SF_SG_EUlST_E0_NS1_11comp_targetILNS1_3genE9ELNS1_11target_archE1100ELNS1_3gpuE3ELNS1_3repE0EEENS1_38merge_mergepath_config_static_selectorELNS0_4arch9wavefront6targetE0EEEvSF_
                                        ; -- End function
	.set _ZN7rocprim17ROCPRIM_400000_NS6detail17trampoline_kernelINS0_14default_configENS1_38merge_sort_block_merge_config_selectorIjNS0_10empty_typeEEEZZNS1_27merge_sort_block_merge_implIS3_PjPS5_jNS1_19radix_merge_compareILb0ELb1EjNS0_19identity_decomposerEEEEE10hipError_tT0_T1_T2_jT3_P12ihipStream_tbPNSt15iterator_traitsISE_E10value_typeEPNSK_ISF_E10value_typeEPSG_NS1_7vsmem_tEENKUlT_SE_SF_SG_E_clIS8_S8_S9_S9_EESD_ST_SE_SF_SG_EUlST_E0_NS1_11comp_targetILNS1_3genE9ELNS1_11target_archE1100ELNS1_3gpuE3ELNS1_3repE0EEENS1_38merge_mergepath_config_static_selectorELNS0_4arch9wavefront6targetE0EEEvSF_.num_vgpr, 0
	.set _ZN7rocprim17ROCPRIM_400000_NS6detail17trampoline_kernelINS0_14default_configENS1_38merge_sort_block_merge_config_selectorIjNS0_10empty_typeEEEZZNS1_27merge_sort_block_merge_implIS3_PjPS5_jNS1_19radix_merge_compareILb0ELb1EjNS0_19identity_decomposerEEEEE10hipError_tT0_T1_T2_jT3_P12ihipStream_tbPNSt15iterator_traitsISE_E10value_typeEPNSK_ISF_E10value_typeEPSG_NS1_7vsmem_tEENKUlT_SE_SF_SG_E_clIS8_S8_S9_S9_EESD_ST_SE_SF_SG_EUlST_E0_NS1_11comp_targetILNS1_3genE9ELNS1_11target_archE1100ELNS1_3gpuE3ELNS1_3repE0EEENS1_38merge_mergepath_config_static_selectorELNS0_4arch9wavefront6targetE0EEEvSF_.num_agpr, 0
	.set _ZN7rocprim17ROCPRIM_400000_NS6detail17trampoline_kernelINS0_14default_configENS1_38merge_sort_block_merge_config_selectorIjNS0_10empty_typeEEEZZNS1_27merge_sort_block_merge_implIS3_PjPS5_jNS1_19radix_merge_compareILb0ELb1EjNS0_19identity_decomposerEEEEE10hipError_tT0_T1_T2_jT3_P12ihipStream_tbPNSt15iterator_traitsISE_E10value_typeEPNSK_ISF_E10value_typeEPSG_NS1_7vsmem_tEENKUlT_SE_SF_SG_E_clIS8_S8_S9_S9_EESD_ST_SE_SF_SG_EUlST_E0_NS1_11comp_targetILNS1_3genE9ELNS1_11target_archE1100ELNS1_3gpuE3ELNS1_3repE0EEENS1_38merge_mergepath_config_static_selectorELNS0_4arch9wavefront6targetE0EEEvSF_.numbered_sgpr, 0
	.set _ZN7rocprim17ROCPRIM_400000_NS6detail17trampoline_kernelINS0_14default_configENS1_38merge_sort_block_merge_config_selectorIjNS0_10empty_typeEEEZZNS1_27merge_sort_block_merge_implIS3_PjPS5_jNS1_19radix_merge_compareILb0ELb1EjNS0_19identity_decomposerEEEEE10hipError_tT0_T1_T2_jT3_P12ihipStream_tbPNSt15iterator_traitsISE_E10value_typeEPNSK_ISF_E10value_typeEPSG_NS1_7vsmem_tEENKUlT_SE_SF_SG_E_clIS8_S8_S9_S9_EESD_ST_SE_SF_SG_EUlST_E0_NS1_11comp_targetILNS1_3genE9ELNS1_11target_archE1100ELNS1_3gpuE3ELNS1_3repE0EEENS1_38merge_mergepath_config_static_selectorELNS0_4arch9wavefront6targetE0EEEvSF_.num_named_barrier, 0
	.set _ZN7rocprim17ROCPRIM_400000_NS6detail17trampoline_kernelINS0_14default_configENS1_38merge_sort_block_merge_config_selectorIjNS0_10empty_typeEEEZZNS1_27merge_sort_block_merge_implIS3_PjPS5_jNS1_19radix_merge_compareILb0ELb1EjNS0_19identity_decomposerEEEEE10hipError_tT0_T1_T2_jT3_P12ihipStream_tbPNSt15iterator_traitsISE_E10value_typeEPNSK_ISF_E10value_typeEPSG_NS1_7vsmem_tEENKUlT_SE_SF_SG_E_clIS8_S8_S9_S9_EESD_ST_SE_SF_SG_EUlST_E0_NS1_11comp_targetILNS1_3genE9ELNS1_11target_archE1100ELNS1_3gpuE3ELNS1_3repE0EEENS1_38merge_mergepath_config_static_selectorELNS0_4arch9wavefront6targetE0EEEvSF_.private_seg_size, 0
	.set _ZN7rocprim17ROCPRIM_400000_NS6detail17trampoline_kernelINS0_14default_configENS1_38merge_sort_block_merge_config_selectorIjNS0_10empty_typeEEEZZNS1_27merge_sort_block_merge_implIS3_PjPS5_jNS1_19radix_merge_compareILb0ELb1EjNS0_19identity_decomposerEEEEE10hipError_tT0_T1_T2_jT3_P12ihipStream_tbPNSt15iterator_traitsISE_E10value_typeEPNSK_ISF_E10value_typeEPSG_NS1_7vsmem_tEENKUlT_SE_SF_SG_E_clIS8_S8_S9_S9_EESD_ST_SE_SF_SG_EUlST_E0_NS1_11comp_targetILNS1_3genE9ELNS1_11target_archE1100ELNS1_3gpuE3ELNS1_3repE0EEENS1_38merge_mergepath_config_static_selectorELNS0_4arch9wavefront6targetE0EEEvSF_.uses_vcc, 0
	.set _ZN7rocprim17ROCPRIM_400000_NS6detail17trampoline_kernelINS0_14default_configENS1_38merge_sort_block_merge_config_selectorIjNS0_10empty_typeEEEZZNS1_27merge_sort_block_merge_implIS3_PjPS5_jNS1_19radix_merge_compareILb0ELb1EjNS0_19identity_decomposerEEEEE10hipError_tT0_T1_T2_jT3_P12ihipStream_tbPNSt15iterator_traitsISE_E10value_typeEPNSK_ISF_E10value_typeEPSG_NS1_7vsmem_tEENKUlT_SE_SF_SG_E_clIS8_S8_S9_S9_EESD_ST_SE_SF_SG_EUlST_E0_NS1_11comp_targetILNS1_3genE9ELNS1_11target_archE1100ELNS1_3gpuE3ELNS1_3repE0EEENS1_38merge_mergepath_config_static_selectorELNS0_4arch9wavefront6targetE0EEEvSF_.uses_flat_scratch, 0
	.set _ZN7rocprim17ROCPRIM_400000_NS6detail17trampoline_kernelINS0_14default_configENS1_38merge_sort_block_merge_config_selectorIjNS0_10empty_typeEEEZZNS1_27merge_sort_block_merge_implIS3_PjPS5_jNS1_19radix_merge_compareILb0ELb1EjNS0_19identity_decomposerEEEEE10hipError_tT0_T1_T2_jT3_P12ihipStream_tbPNSt15iterator_traitsISE_E10value_typeEPNSK_ISF_E10value_typeEPSG_NS1_7vsmem_tEENKUlT_SE_SF_SG_E_clIS8_S8_S9_S9_EESD_ST_SE_SF_SG_EUlST_E0_NS1_11comp_targetILNS1_3genE9ELNS1_11target_archE1100ELNS1_3gpuE3ELNS1_3repE0EEENS1_38merge_mergepath_config_static_selectorELNS0_4arch9wavefront6targetE0EEEvSF_.has_dyn_sized_stack, 0
	.set _ZN7rocprim17ROCPRIM_400000_NS6detail17trampoline_kernelINS0_14default_configENS1_38merge_sort_block_merge_config_selectorIjNS0_10empty_typeEEEZZNS1_27merge_sort_block_merge_implIS3_PjPS5_jNS1_19radix_merge_compareILb0ELb1EjNS0_19identity_decomposerEEEEE10hipError_tT0_T1_T2_jT3_P12ihipStream_tbPNSt15iterator_traitsISE_E10value_typeEPNSK_ISF_E10value_typeEPSG_NS1_7vsmem_tEENKUlT_SE_SF_SG_E_clIS8_S8_S9_S9_EESD_ST_SE_SF_SG_EUlST_E0_NS1_11comp_targetILNS1_3genE9ELNS1_11target_archE1100ELNS1_3gpuE3ELNS1_3repE0EEENS1_38merge_mergepath_config_static_selectorELNS0_4arch9wavefront6targetE0EEEvSF_.has_recursion, 0
	.set _ZN7rocprim17ROCPRIM_400000_NS6detail17trampoline_kernelINS0_14default_configENS1_38merge_sort_block_merge_config_selectorIjNS0_10empty_typeEEEZZNS1_27merge_sort_block_merge_implIS3_PjPS5_jNS1_19radix_merge_compareILb0ELb1EjNS0_19identity_decomposerEEEEE10hipError_tT0_T1_T2_jT3_P12ihipStream_tbPNSt15iterator_traitsISE_E10value_typeEPNSK_ISF_E10value_typeEPSG_NS1_7vsmem_tEENKUlT_SE_SF_SG_E_clIS8_S8_S9_S9_EESD_ST_SE_SF_SG_EUlST_E0_NS1_11comp_targetILNS1_3genE9ELNS1_11target_archE1100ELNS1_3gpuE3ELNS1_3repE0EEENS1_38merge_mergepath_config_static_selectorELNS0_4arch9wavefront6targetE0EEEvSF_.has_indirect_call, 0
	.section	.AMDGPU.csdata,"",@progbits
; Kernel info:
; codeLenInByte = 0
; TotalNumSgprs: 0
; NumVgprs: 0
; ScratchSize: 0
; MemoryBound: 0
; FloatMode: 240
; IeeeMode: 1
; LDSByteSize: 0 bytes/workgroup (compile time only)
; SGPRBlocks: 0
; VGPRBlocks: 0
; NumSGPRsForWavesPerEU: 1
; NumVGPRsForWavesPerEU: 1
; NamedBarCnt: 0
; Occupancy: 16
; WaveLimiterHint : 0
; COMPUTE_PGM_RSRC2:SCRATCH_EN: 0
; COMPUTE_PGM_RSRC2:USER_SGPR: 2
; COMPUTE_PGM_RSRC2:TRAP_HANDLER: 0
; COMPUTE_PGM_RSRC2:TGID_X_EN: 1
; COMPUTE_PGM_RSRC2:TGID_Y_EN: 0
; COMPUTE_PGM_RSRC2:TGID_Z_EN: 0
; COMPUTE_PGM_RSRC2:TIDIG_COMP_CNT: 0
	.section	.text._ZN7rocprim17ROCPRIM_400000_NS6detail17trampoline_kernelINS0_14default_configENS1_38merge_sort_block_merge_config_selectorIjNS0_10empty_typeEEEZZNS1_27merge_sort_block_merge_implIS3_PjPS5_jNS1_19radix_merge_compareILb0ELb1EjNS0_19identity_decomposerEEEEE10hipError_tT0_T1_T2_jT3_P12ihipStream_tbPNSt15iterator_traitsISE_E10value_typeEPNSK_ISF_E10value_typeEPSG_NS1_7vsmem_tEENKUlT_SE_SF_SG_E_clIS8_S8_S9_S9_EESD_ST_SE_SF_SG_EUlST_E0_NS1_11comp_targetILNS1_3genE8ELNS1_11target_archE1030ELNS1_3gpuE2ELNS1_3repE0EEENS1_38merge_mergepath_config_static_selectorELNS0_4arch9wavefront6targetE0EEEvSF_,"axG",@progbits,_ZN7rocprim17ROCPRIM_400000_NS6detail17trampoline_kernelINS0_14default_configENS1_38merge_sort_block_merge_config_selectorIjNS0_10empty_typeEEEZZNS1_27merge_sort_block_merge_implIS3_PjPS5_jNS1_19radix_merge_compareILb0ELb1EjNS0_19identity_decomposerEEEEE10hipError_tT0_T1_T2_jT3_P12ihipStream_tbPNSt15iterator_traitsISE_E10value_typeEPNSK_ISF_E10value_typeEPSG_NS1_7vsmem_tEENKUlT_SE_SF_SG_E_clIS8_S8_S9_S9_EESD_ST_SE_SF_SG_EUlST_E0_NS1_11comp_targetILNS1_3genE8ELNS1_11target_archE1030ELNS1_3gpuE2ELNS1_3repE0EEENS1_38merge_mergepath_config_static_selectorELNS0_4arch9wavefront6targetE0EEEvSF_,comdat
	.protected	_ZN7rocprim17ROCPRIM_400000_NS6detail17trampoline_kernelINS0_14default_configENS1_38merge_sort_block_merge_config_selectorIjNS0_10empty_typeEEEZZNS1_27merge_sort_block_merge_implIS3_PjPS5_jNS1_19radix_merge_compareILb0ELb1EjNS0_19identity_decomposerEEEEE10hipError_tT0_T1_T2_jT3_P12ihipStream_tbPNSt15iterator_traitsISE_E10value_typeEPNSK_ISF_E10value_typeEPSG_NS1_7vsmem_tEENKUlT_SE_SF_SG_E_clIS8_S8_S9_S9_EESD_ST_SE_SF_SG_EUlST_E0_NS1_11comp_targetILNS1_3genE8ELNS1_11target_archE1030ELNS1_3gpuE2ELNS1_3repE0EEENS1_38merge_mergepath_config_static_selectorELNS0_4arch9wavefront6targetE0EEEvSF_ ; -- Begin function _ZN7rocprim17ROCPRIM_400000_NS6detail17trampoline_kernelINS0_14default_configENS1_38merge_sort_block_merge_config_selectorIjNS0_10empty_typeEEEZZNS1_27merge_sort_block_merge_implIS3_PjPS5_jNS1_19radix_merge_compareILb0ELb1EjNS0_19identity_decomposerEEEEE10hipError_tT0_T1_T2_jT3_P12ihipStream_tbPNSt15iterator_traitsISE_E10value_typeEPNSK_ISF_E10value_typeEPSG_NS1_7vsmem_tEENKUlT_SE_SF_SG_E_clIS8_S8_S9_S9_EESD_ST_SE_SF_SG_EUlST_E0_NS1_11comp_targetILNS1_3genE8ELNS1_11target_archE1030ELNS1_3gpuE2ELNS1_3repE0EEENS1_38merge_mergepath_config_static_selectorELNS0_4arch9wavefront6targetE0EEEvSF_
	.globl	_ZN7rocprim17ROCPRIM_400000_NS6detail17trampoline_kernelINS0_14default_configENS1_38merge_sort_block_merge_config_selectorIjNS0_10empty_typeEEEZZNS1_27merge_sort_block_merge_implIS3_PjPS5_jNS1_19radix_merge_compareILb0ELb1EjNS0_19identity_decomposerEEEEE10hipError_tT0_T1_T2_jT3_P12ihipStream_tbPNSt15iterator_traitsISE_E10value_typeEPNSK_ISF_E10value_typeEPSG_NS1_7vsmem_tEENKUlT_SE_SF_SG_E_clIS8_S8_S9_S9_EESD_ST_SE_SF_SG_EUlST_E0_NS1_11comp_targetILNS1_3genE8ELNS1_11target_archE1030ELNS1_3gpuE2ELNS1_3repE0EEENS1_38merge_mergepath_config_static_selectorELNS0_4arch9wavefront6targetE0EEEvSF_
	.p2align	8
	.type	_ZN7rocprim17ROCPRIM_400000_NS6detail17trampoline_kernelINS0_14default_configENS1_38merge_sort_block_merge_config_selectorIjNS0_10empty_typeEEEZZNS1_27merge_sort_block_merge_implIS3_PjPS5_jNS1_19radix_merge_compareILb0ELb1EjNS0_19identity_decomposerEEEEE10hipError_tT0_T1_T2_jT3_P12ihipStream_tbPNSt15iterator_traitsISE_E10value_typeEPNSK_ISF_E10value_typeEPSG_NS1_7vsmem_tEENKUlT_SE_SF_SG_E_clIS8_S8_S9_S9_EESD_ST_SE_SF_SG_EUlST_E0_NS1_11comp_targetILNS1_3genE8ELNS1_11target_archE1030ELNS1_3gpuE2ELNS1_3repE0EEENS1_38merge_mergepath_config_static_selectorELNS0_4arch9wavefront6targetE0EEEvSF_,@function
_ZN7rocprim17ROCPRIM_400000_NS6detail17trampoline_kernelINS0_14default_configENS1_38merge_sort_block_merge_config_selectorIjNS0_10empty_typeEEEZZNS1_27merge_sort_block_merge_implIS3_PjPS5_jNS1_19radix_merge_compareILb0ELb1EjNS0_19identity_decomposerEEEEE10hipError_tT0_T1_T2_jT3_P12ihipStream_tbPNSt15iterator_traitsISE_E10value_typeEPNSK_ISF_E10value_typeEPSG_NS1_7vsmem_tEENKUlT_SE_SF_SG_E_clIS8_S8_S9_S9_EESD_ST_SE_SF_SG_EUlST_E0_NS1_11comp_targetILNS1_3genE8ELNS1_11target_archE1030ELNS1_3gpuE2ELNS1_3repE0EEENS1_38merge_mergepath_config_static_selectorELNS0_4arch9wavefront6targetE0EEEvSF_: ; @_ZN7rocprim17ROCPRIM_400000_NS6detail17trampoline_kernelINS0_14default_configENS1_38merge_sort_block_merge_config_selectorIjNS0_10empty_typeEEEZZNS1_27merge_sort_block_merge_implIS3_PjPS5_jNS1_19radix_merge_compareILb0ELb1EjNS0_19identity_decomposerEEEEE10hipError_tT0_T1_T2_jT3_P12ihipStream_tbPNSt15iterator_traitsISE_E10value_typeEPNSK_ISF_E10value_typeEPSG_NS1_7vsmem_tEENKUlT_SE_SF_SG_E_clIS8_S8_S9_S9_EESD_ST_SE_SF_SG_EUlST_E0_NS1_11comp_targetILNS1_3genE8ELNS1_11target_archE1030ELNS1_3gpuE2ELNS1_3repE0EEENS1_38merge_mergepath_config_static_selectorELNS0_4arch9wavefront6targetE0EEEvSF_
; %bb.0:
	.section	.rodata,"a",@progbits
	.p2align	6, 0x0
	.amdhsa_kernel _ZN7rocprim17ROCPRIM_400000_NS6detail17trampoline_kernelINS0_14default_configENS1_38merge_sort_block_merge_config_selectorIjNS0_10empty_typeEEEZZNS1_27merge_sort_block_merge_implIS3_PjPS5_jNS1_19radix_merge_compareILb0ELb1EjNS0_19identity_decomposerEEEEE10hipError_tT0_T1_T2_jT3_P12ihipStream_tbPNSt15iterator_traitsISE_E10value_typeEPNSK_ISF_E10value_typeEPSG_NS1_7vsmem_tEENKUlT_SE_SF_SG_E_clIS8_S8_S9_S9_EESD_ST_SE_SF_SG_EUlST_E0_NS1_11comp_targetILNS1_3genE8ELNS1_11target_archE1030ELNS1_3gpuE2ELNS1_3repE0EEENS1_38merge_mergepath_config_static_selectorELNS0_4arch9wavefront6targetE0EEEvSF_
		.amdhsa_group_segment_fixed_size 0
		.amdhsa_private_segment_fixed_size 0
		.amdhsa_kernarg_size 64
		.amdhsa_user_sgpr_count 2
		.amdhsa_user_sgpr_dispatch_ptr 0
		.amdhsa_user_sgpr_queue_ptr 0
		.amdhsa_user_sgpr_kernarg_segment_ptr 1
		.amdhsa_user_sgpr_dispatch_id 0
		.amdhsa_user_sgpr_kernarg_preload_length 0
		.amdhsa_user_sgpr_kernarg_preload_offset 0
		.amdhsa_user_sgpr_private_segment_size 0
		.amdhsa_wavefront_size32 1
		.amdhsa_uses_dynamic_stack 0
		.amdhsa_enable_private_segment 0
		.amdhsa_system_sgpr_workgroup_id_x 1
		.amdhsa_system_sgpr_workgroup_id_y 0
		.amdhsa_system_sgpr_workgroup_id_z 0
		.amdhsa_system_sgpr_workgroup_info 0
		.amdhsa_system_vgpr_workitem_id 0
		.amdhsa_next_free_vgpr 1
		.amdhsa_next_free_sgpr 1
		.amdhsa_named_barrier_count 0
		.amdhsa_reserve_vcc 0
		.amdhsa_float_round_mode_32 0
		.amdhsa_float_round_mode_16_64 0
		.amdhsa_float_denorm_mode_32 3
		.amdhsa_float_denorm_mode_16_64 3
		.amdhsa_fp16_overflow 0
		.amdhsa_memory_ordered 1
		.amdhsa_forward_progress 1
		.amdhsa_inst_pref_size 0
		.amdhsa_round_robin_scheduling 0
		.amdhsa_exception_fp_ieee_invalid_op 0
		.amdhsa_exception_fp_denorm_src 0
		.amdhsa_exception_fp_ieee_div_zero 0
		.amdhsa_exception_fp_ieee_overflow 0
		.amdhsa_exception_fp_ieee_underflow 0
		.amdhsa_exception_fp_ieee_inexact 0
		.amdhsa_exception_int_div_zero 0
	.end_amdhsa_kernel
	.section	.text._ZN7rocprim17ROCPRIM_400000_NS6detail17trampoline_kernelINS0_14default_configENS1_38merge_sort_block_merge_config_selectorIjNS0_10empty_typeEEEZZNS1_27merge_sort_block_merge_implIS3_PjPS5_jNS1_19radix_merge_compareILb0ELb1EjNS0_19identity_decomposerEEEEE10hipError_tT0_T1_T2_jT3_P12ihipStream_tbPNSt15iterator_traitsISE_E10value_typeEPNSK_ISF_E10value_typeEPSG_NS1_7vsmem_tEENKUlT_SE_SF_SG_E_clIS8_S8_S9_S9_EESD_ST_SE_SF_SG_EUlST_E0_NS1_11comp_targetILNS1_3genE8ELNS1_11target_archE1030ELNS1_3gpuE2ELNS1_3repE0EEENS1_38merge_mergepath_config_static_selectorELNS0_4arch9wavefront6targetE0EEEvSF_,"axG",@progbits,_ZN7rocprim17ROCPRIM_400000_NS6detail17trampoline_kernelINS0_14default_configENS1_38merge_sort_block_merge_config_selectorIjNS0_10empty_typeEEEZZNS1_27merge_sort_block_merge_implIS3_PjPS5_jNS1_19radix_merge_compareILb0ELb1EjNS0_19identity_decomposerEEEEE10hipError_tT0_T1_T2_jT3_P12ihipStream_tbPNSt15iterator_traitsISE_E10value_typeEPNSK_ISF_E10value_typeEPSG_NS1_7vsmem_tEENKUlT_SE_SF_SG_E_clIS8_S8_S9_S9_EESD_ST_SE_SF_SG_EUlST_E0_NS1_11comp_targetILNS1_3genE8ELNS1_11target_archE1030ELNS1_3gpuE2ELNS1_3repE0EEENS1_38merge_mergepath_config_static_selectorELNS0_4arch9wavefront6targetE0EEEvSF_,comdat
.Lfunc_end2717:
	.size	_ZN7rocprim17ROCPRIM_400000_NS6detail17trampoline_kernelINS0_14default_configENS1_38merge_sort_block_merge_config_selectorIjNS0_10empty_typeEEEZZNS1_27merge_sort_block_merge_implIS3_PjPS5_jNS1_19radix_merge_compareILb0ELb1EjNS0_19identity_decomposerEEEEE10hipError_tT0_T1_T2_jT3_P12ihipStream_tbPNSt15iterator_traitsISE_E10value_typeEPNSK_ISF_E10value_typeEPSG_NS1_7vsmem_tEENKUlT_SE_SF_SG_E_clIS8_S8_S9_S9_EESD_ST_SE_SF_SG_EUlST_E0_NS1_11comp_targetILNS1_3genE8ELNS1_11target_archE1030ELNS1_3gpuE2ELNS1_3repE0EEENS1_38merge_mergepath_config_static_selectorELNS0_4arch9wavefront6targetE0EEEvSF_, .Lfunc_end2717-_ZN7rocprim17ROCPRIM_400000_NS6detail17trampoline_kernelINS0_14default_configENS1_38merge_sort_block_merge_config_selectorIjNS0_10empty_typeEEEZZNS1_27merge_sort_block_merge_implIS3_PjPS5_jNS1_19radix_merge_compareILb0ELb1EjNS0_19identity_decomposerEEEEE10hipError_tT0_T1_T2_jT3_P12ihipStream_tbPNSt15iterator_traitsISE_E10value_typeEPNSK_ISF_E10value_typeEPSG_NS1_7vsmem_tEENKUlT_SE_SF_SG_E_clIS8_S8_S9_S9_EESD_ST_SE_SF_SG_EUlST_E0_NS1_11comp_targetILNS1_3genE8ELNS1_11target_archE1030ELNS1_3gpuE2ELNS1_3repE0EEENS1_38merge_mergepath_config_static_selectorELNS0_4arch9wavefront6targetE0EEEvSF_
                                        ; -- End function
	.set _ZN7rocprim17ROCPRIM_400000_NS6detail17trampoline_kernelINS0_14default_configENS1_38merge_sort_block_merge_config_selectorIjNS0_10empty_typeEEEZZNS1_27merge_sort_block_merge_implIS3_PjPS5_jNS1_19radix_merge_compareILb0ELb1EjNS0_19identity_decomposerEEEEE10hipError_tT0_T1_T2_jT3_P12ihipStream_tbPNSt15iterator_traitsISE_E10value_typeEPNSK_ISF_E10value_typeEPSG_NS1_7vsmem_tEENKUlT_SE_SF_SG_E_clIS8_S8_S9_S9_EESD_ST_SE_SF_SG_EUlST_E0_NS1_11comp_targetILNS1_3genE8ELNS1_11target_archE1030ELNS1_3gpuE2ELNS1_3repE0EEENS1_38merge_mergepath_config_static_selectorELNS0_4arch9wavefront6targetE0EEEvSF_.num_vgpr, 0
	.set _ZN7rocprim17ROCPRIM_400000_NS6detail17trampoline_kernelINS0_14default_configENS1_38merge_sort_block_merge_config_selectorIjNS0_10empty_typeEEEZZNS1_27merge_sort_block_merge_implIS3_PjPS5_jNS1_19radix_merge_compareILb0ELb1EjNS0_19identity_decomposerEEEEE10hipError_tT0_T1_T2_jT3_P12ihipStream_tbPNSt15iterator_traitsISE_E10value_typeEPNSK_ISF_E10value_typeEPSG_NS1_7vsmem_tEENKUlT_SE_SF_SG_E_clIS8_S8_S9_S9_EESD_ST_SE_SF_SG_EUlST_E0_NS1_11comp_targetILNS1_3genE8ELNS1_11target_archE1030ELNS1_3gpuE2ELNS1_3repE0EEENS1_38merge_mergepath_config_static_selectorELNS0_4arch9wavefront6targetE0EEEvSF_.num_agpr, 0
	.set _ZN7rocprim17ROCPRIM_400000_NS6detail17trampoline_kernelINS0_14default_configENS1_38merge_sort_block_merge_config_selectorIjNS0_10empty_typeEEEZZNS1_27merge_sort_block_merge_implIS3_PjPS5_jNS1_19radix_merge_compareILb0ELb1EjNS0_19identity_decomposerEEEEE10hipError_tT0_T1_T2_jT3_P12ihipStream_tbPNSt15iterator_traitsISE_E10value_typeEPNSK_ISF_E10value_typeEPSG_NS1_7vsmem_tEENKUlT_SE_SF_SG_E_clIS8_S8_S9_S9_EESD_ST_SE_SF_SG_EUlST_E0_NS1_11comp_targetILNS1_3genE8ELNS1_11target_archE1030ELNS1_3gpuE2ELNS1_3repE0EEENS1_38merge_mergepath_config_static_selectorELNS0_4arch9wavefront6targetE0EEEvSF_.numbered_sgpr, 0
	.set _ZN7rocprim17ROCPRIM_400000_NS6detail17trampoline_kernelINS0_14default_configENS1_38merge_sort_block_merge_config_selectorIjNS0_10empty_typeEEEZZNS1_27merge_sort_block_merge_implIS3_PjPS5_jNS1_19radix_merge_compareILb0ELb1EjNS0_19identity_decomposerEEEEE10hipError_tT0_T1_T2_jT3_P12ihipStream_tbPNSt15iterator_traitsISE_E10value_typeEPNSK_ISF_E10value_typeEPSG_NS1_7vsmem_tEENKUlT_SE_SF_SG_E_clIS8_S8_S9_S9_EESD_ST_SE_SF_SG_EUlST_E0_NS1_11comp_targetILNS1_3genE8ELNS1_11target_archE1030ELNS1_3gpuE2ELNS1_3repE0EEENS1_38merge_mergepath_config_static_selectorELNS0_4arch9wavefront6targetE0EEEvSF_.num_named_barrier, 0
	.set _ZN7rocprim17ROCPRIM_400000_NS6detail17trampoline_kernelINS0_14default_configENS1_38merge_sort_block_merge_config_selectorIjNS0_10empty_typeEEEZZNS1_27merge_sort_block_merge_implIS3_PjPS5_jNS1_19radix_merge_compareILb0ELb1EjNS0_19identity_decomposerEEEEE10hipError_tT0_T1_T2_jT3_P12ihipStream_tbPNSt15iterator_traitsISE_E10value_typeEPNSK_ISF_E10value_typeEPSG_NS1_7vsmem_tEENKUlT_SE_SF_SG_E_clIS8_S8_S9_S9_EESD_ST_SE_SF_SG_EUlST_E0_NS1_11comp_targetILNS1_3genE8ELNS1_11target_archE1030ELNS1_3gpuE2ELNS1_3repE0EEENS1_38merge_mergepath_config_static_selectorELNS0_4arch9wavefront6targetE0EEEvSF_.private_seg_size, 0
	.set _ZN7rocprim17ROCPRIM_400000_NS6detail17trampoline_kernelINS0_14default_configENS1_38merge_sort_block_merge_config_selectorIjNS0_10empty_typeEEEZZNS1_27merge_sort_block_merge_implIS3_PjPS5_jNS1_19radix_merge_compareILb0ELb1EjNS0_19identity_decomposerEEEEE10hipError_tT0_T1_T2_jT3_P12ihipStream_tbPNSt15iterator_traitsISE_E10value_typeEPNSK_ISF_E10value_typeEPSG_NS1_7vsmem_tEENKUlT_SE_SF_SG_E_clIS8_S8_S9_S9_EESD_ST_SE_SF_SG_EUlST_E0_NS1_11comp_targetILNS1_3genE8ELNS1_11target_archE1030ELNS1_3gpuE2ELNS1_3repE0EEENS1_38merge_mergepath_config_static_selectorELNS0_4arch9wavefront6targetE0EEEvSF_.uses_vcc, 0
	.set _ZN7rocprim17ROCPRIM_400000_NS6detail17trampoline_kernelINS0_14default_configENS1_38merge_sort_block_merge_config_selectorIjNS0_10empty_typeEEEZZNS1_27merge_sort_block_merge_implIS3_PjPS5_jNS1_19radix_merge_compareILb0ELb1EjNS0_19identity_decomposerEEEEE10hipError_tT0_T1_T2_jT3_P12ihipStream_tbPNSt15iterator_traitsISE_E10value_typeEPNSK_ISF_E10value_typeEPSG_NS1_7vsmem_tEENKUlT_SE_SF_SG_E_clIS8_S8_S9_S9_EESD_ST_SE_SF_SG_EUlST_E0_NS1_11comp_targetILNS1_3genE8ELNS1_11target_archE1030ELNS1_3gpuE2ELNS1_3repE0EEENS1_38merge_mergepath_config_static_selectorELNS0_4arch9wavefront6targetE0EEEvSF_.uses_flat_scratch, 0
	.set _ZN7rocprim17ROCPRIM_400000_NS6detail17trampoline_kernelINS0_14default_configENS1_38merge_sort_block_merge_config_selectorIjNS0_10empty_typeEEEZZNS1_27merge_sort_block_merge_implIS3_PjPS5_jNS1_19radix_merge_compareILb0ELb1EjNS0_19identity_decomposerEEEEE10hipError_tT0_T1_T2_jT3_P12ihipStream_tbPNSt15iterator_traitsISE_E10value_typeEPNSK_ISF_E10value_typeEPSG_NS1_7vsmem_tEENKUlT_SE_SF_SG_E_clIS8_S8_S9_S9_EESD_ST_SE_SF_SG_EUlST_E0_NS1_11comp_targetILNS1_3genE8ELNS1_11target_archE1030ELNS1_3gpuE2ELNS1_3repE0EEENS1_38merge_mergepath_config_static_selectorELNS0_4arch9wavefront6targetE0EEEvSF_.has_dyn_sized_stack, 0
	.set _ZN7rocprim17ROCPRIM_400000_NS6detail17trampoline_kernelINS0_14default_configENS1_38merge_sort_block_merge_config_selectorIjNS0_10empty_typeEEEZZNS1_27merge_sort_block_merge_implIS3_PjPS5_jNS1_19radix_merge_compareILb0ELb1EjNS0_19identity_decomposerEEEEE10hipError_tT0_T1_T2_jT3_P12ihipStream_tbPNSt15iterator_traitsISE_E10value_typeEPNSK_ISF_E10value_typeEPSG_NS1_7vsmem_tEENKUlT_SE_SF_SG_E_clIS8_S8_S9_S9_EESD_ST_SE_SF_SG_EUlST_E0_NS1_11comp_targetILNS1_3genE8ELNS1_11target_archE1030ELNS1_3gpuE2ELNS1_3repE0EEENS1_38merge_mergepath_config_static_selectorELNS0_4arch9wavefront6targetE0EEEvSF_.has_recursion, 0
	.set _ZN7rocprim17ROCPRIM_400000_NS6detail17trampoline_kernelINS0_14default_configENS1_38merge_sort_block_merge_config_selectorIjNS0_10empty_typeEEEZZNS1_27merge_sort_block_merge_implIS3_PjPS5_jNS1_19radix_merge_compareILb0ELb1EjNS0_19identity_decomposerEEEEE10hipError_tT0_T1_T2_jT3_P12ihipStream_tbPNSt15iterator_traitsISE_E10value_typeEPNSK_ISF_E10value_typeEPSG_NS1_7vsmem_tEENKUlT_SE_SF_SG_E_clIS8_S8_S9_S9_EESD_ST_SE_SF_SG_EUlST_E0_NS1_11comp_targetILNS1_3genE8ELNS1_11target_archE1030ELNS1_3gpuE2ELNS1_3repE0EEENS1_38merge_mergepath_config_static_selectorELNS0_4arch9wavefront6targetE0EEEvSF_.has_indirect_call, 0
	.section	.AMDGPU.csdata,"",@progbits
; Kernel info:
; codeLenInByte = 0
; TotalNumSgprs: 0
; NumVgprs: 0
; ScratchSize: 0
; MemoryBound: 0
; FloatMode: 240
; IeeeMode: 1
; LDSByteSize: 0 bytes/workgroup (compile time only)
; SGPRBlocks: 0
; VGPRBlocks: 0
; NumSGPRsForWavesPerEU: 1
; NumVGPRsForWavesPerEU: 1
; NamedBarCnt: 0
; Occupancy: 16
; WaveLimiterHint : 0
; COMPUTE_PGM_RSRC2:SCRATCH_EN: 0
; COMPUTE_PGM_RSRC2:USER_SGPR: 2
; COMPUTE_PGM_RSRC2:TRAP_HANDLER: 0
; COMPUTE_PGM_RSRC2:TGID_X_EN: 1
; COMPUTE_PGM_RSRC2:TGID_Y_EN: 0
; COMPUTE_PGM_RSRC2:TGID_Z_EN: 0
; COMPUTE_PGM_RSRC2:TIDIG_COMP_CNT: 0
	.section	.text._ZN7rocprim17ROCPRIM_400000_NS6detail17trampoline_kernelINS0_14default_configENS1_38merge_sort_block_merge_config_selectorIjNS0_10empty_typeEEEZZNS1_27merge_sort_block_merge_implIS3_PjPS5_jNS1_19radix_merge_compareILb0ELb1EjNS0_19identity_decomposerEEEEE10hipError_tT0_T1_T2_jT3_P12ihipStream_tbPNSt15iterator_traitsISE_E10value_typeEPNSK_ISF_E10value_typeEPSG_NS1_7vsmem_tEENKUlT_SE_SF_SG_E_clIS8_S8_S9_S9_EESD_ST_SE_SF_SG_EUlST_E1_NS1_11comp_targetILNS1_3genE0ELNS1_11target_archE4294967295ELNS1_3gpuE0ELNS1_3repE0EEENS1_36merge_oddeven_config_static_selectorELNS0_4arch9wavefront6targetE0EEEvSF_,"axG",@progbits,_ZN7rocprim17ROCPRIM_400000_NS6detail17trampoline_kernelINS0_14default_configENS1_38merge_sort_block_merge_config_selectorIjNS0_10empty_typeEEEZZNS1_27merge_sort_block_merge_implIS3_PjPS5_jNS1_19radix_merge_compareILb0ELb1EjNS0_19identity_decomposerEEEEE10hipError_tT0_T1_T2_jT3_P12ihipStream_tbPNSt15iterator_traitsISE_E10value_typeEPNSK_ISF_E10value_typeEPSG_NS1_7vsmem_tEENKUlT_SE_SF_SG_E_clIS8_S8_S9_S9_EESD_ST_SE_SF_SG_EUlST_E1_NS1_11comp_targetILNS1_3genE0ELNS1_11target_archE4294967295ELNS1_3gpuE0ELNS1_3repE0EEENS1_36merge_oddeven_config_static_selectorELNS0_4arch9wavefront6targetE0EEEvSF_,comdat
	.protected	_ZN7rocprim17ROCPRIM_400000_NS6detail17trampoline_kernelINS0_14default_configENS1_38merge_sort_block_merge_config_selectorIjNS0_10empty_typeEEEZZNS1_27merge_sort_block_merge_implIS3_PjPS5_jNS1_19radix_merge_compareILb0ELb1EjNS0_19identity_decomposerEEEEE10hipError_tT0_T1_T2_jT3_P12ihipStream_tbPNSt15iterator_traitsISE_E10value_typeEPNSK_ISF_E10value_typeEPSG_NS1_7vsmem_tEENKUlT_SE_SF_SG_E_clIS8_S8_S9_S9_EESD_ST_SE_SF_SG_EUlST_E1_NS1_11comp_targetILNS1_3genE0ELNS1_11target_archE4294967295ELNS1_3gpuE0ELNS1_3repE0EEENS1_36merge_oddeven_config_static_selectorELNS0_4arch9wavefront6targetE0EEEvSF_ ; -- Begin function _ZN7rocprim17ROCPRIM_400000_NS6detail17trampoline_kernelINS0_14default_configENS1_38merge_sort_block_merge_config_selectorIjNS0_10empty_typeEEEZZNS1_27merge_sort_block_merge_implIS3_PjPS5_jNS1_19radix_merge_compareILb0ELb1EjNS0_19identity_decomposerEEEEE10hipError_tT0_T1_T2_jT3_P12ihipStream_tbPNSt15iterator_traitsISE_E10value_typeEPNSK_ISF_E10value_typeEPSG_NS1_7vsmem_tEENKUlT_SE_SF_SG_E_clIS8_S8_S9_S9_EESD_ST_SE_SF_SG_EUlST_E1_NS1_11comp_targetILNS1_3genE0ELNS1_11target_archE4294967295ELNS1_3gpuE0ELNS1_3repE0EEENS1_36merge_oddeven_config_static_selectorELNS0_4arch9wavefront6targetE0EEEvSF_
	.globl	_ZN7rocprim17ROCPRIM_400000_NS6detail17trampoline_kernelINS0_14default_configENS1_38merge_sort_block_merge_config_selectorIjNS0_10empty_typeEEEZZNS1_27merge_sort_block_merge_implIS3_PjPS5_jNS1_19radix_merge_compareILb0ELb1EjNS0_19identity_decomposerEEEEE10hipError_tT0_T1_T2_jT3_P12ihipStream_tbPNSt15iterator_traitsISE_E10value_typeEPNSK_ISF_E10value_typeEPSG_NS1_7vsmem_tEENKUlT_SE_SF_SG_E_clIS8_S8_S9_S9_EESD_ST_SE_SF_SG_EUlST_E1_NS1_11comp_targetILNS1_3genE0ELNS1_11target_archE4294967295ELNS1_3gpuE0ELNS1_3repE0EEENS1_36merge_oddeven_config_static_selectorELNS0_4arch9wavefront6targetE0EEEvSF_
	.p2align	8
	.type	_ZN7rocprim17ROCPRIM_400000_NS6detail17trampoline_kernelINS0_14default_configENS1_38merge_sort_block_merge_config_selectorIjNS0_10empty_typeEEEZZNS1_27merge_sort_block_merge_implIS3_PjPS5_jNS1_19radix_merge_compareILb0ELb1EjNS0_19identity_decomposerEEEEE10hipError_tT0_T1_T2_jT3_P12ihipStream_tbPNSt15iterator_traitsISE_E10value_typeEPNSK_ISF_E10value_typeEPSG_NS1_7vsmem_tEENKUlT_SE_SF_SG_E_clIS8_S8_S9_S9_EESD_ST_SE_SF_SG_EUlST_E1_NS1_11comp_targetILNS1_3genE0ELNS1_11target_archE4294967295ELNS1_3gpuE0ELNS1_3repE0EEENS1_36merge_oddeven_config_static_selectorELNS0_4arch9wavefront6targetE0EEEvSF_,@function
_ZN7rocprim17ROCPRIM_400000_NS6detail17trampoline_kernelINS0_14default_configENS1_38merge_sort_block_merge_config_selectorIjNS0_10empty_typeEEEZZNS1_27merge_sort_block_merge_implIS3_PjPS5_jNS1_19radix_merge_compareILb0ELb1EjNS0_19identity_decomposerEEEEE10hipError_tT0_T1_T2_jT3_P12ihipStream_tbPNSt15iterator_traitsISE_E10value_typeEPNSK_ISF_E10value_typeEPSG_NS1_7vsmem_tEENKUlT_SE_SF_SG_E_clIS8_S8_S9_S9_EESD_ST_SE_SF_SG_EUlST_E1_NS1_11comp_targetILNS1_3genE0ELNS1_11target_archE4294967295ELNS1_3gpuE0ELNS1_3repE0EEENS1_36merge_oddeven_config_static_selectorELNS0_4arch9wavefront6targetE0EEEvSF_: ; @_ZN7rocprim17ROCPRIM_400000_NS6detail17trampoline_kernelINS0_14default_configENS1_38merge_sort_block_merge_config_selectorIjNS0_10empty_typeEEEZZNS1_27merge_sort_block_merge_implIS3_PjPS5_jNS1_19radix_merge_compareILb0ELb1EjNS0_19identity_decomposerEEEEE10hipError_tT0_T1_T2_jT3_P12ihipStream_tbPNSt15iterator_traitsISE_E10value_typeEPNSK_ISF_E10value_typeEPSG_NS1_7vsmem_tEENKUlT_SE_SF_SG_E_clIS8_S8_S9_S9_EESD_ST_SE_SF_SG_EUlST_E1_NS1_11comp_targetILNS1_3genE0ELNS1_11target_archE4294967295ELNS1_3gpuE0ELNS1_3repE0EEENS1_36merge_oddeven_config_static_selectorELNS0_4arch9wavefront6targetE0EEEvSF_
; %bb.0:
	s_load_b32 s11, s[0:1], 0x20
	s_bfe_u32 s2, ttmp6, 0x4000c
	s_and_b32 s3, ttmp6, 15
	s_add_co_i32 s2, s2, 1
	s_getreg_b32 s4, hwreg(HW_REG_IB_STS2, 6, 4)
	s_mul_i32 s2, ttmp9, s2
	s_mov_b32 s9, 0
	s_add_co_i32 s3, s3, s2
	s_cmp_eq_u32 s4, 0
	s_cselect_b32 s2, ttmp9, s3
	s_wait_kmcnt 0x0
	s_lshr_b32 s3, s11, 8
	s_delay_alu instid0(SALU_CYCLE_1) | instskip(SKIP_4) | instid1(SALU_CYCLE_1)
	s_cmp_lg_u32 s2, s3
	s_cselect_b32 s15, -1, 0
	s_cmp_eq_u32 s2, s3
	s_cselect_b32 s12, -1, 0
	s_lshl_b32 s8, s2, 8
	s_sub_co_i32 s3, s11, s8
	s_delay_alu instid0(SALU_CYCLE_1) | instskip(SKIP_1) | instid1(SALU_CYCLE_1)
	v_cmp_gt_u32_e64 s3, s3, v0
	s_or_b32 s4, s15, s3
	s_and_saveexec_b32 s5, s4
	s_cbranch_execz .LBB2718_20
; %bb.1:
	s_clause 0x1
	s_load_b128 s[4:7], s[0:1], 0x0
	s_load_b32 s13, s[0:1], 0x24
	s_lshl_b64 s[16:17], s[8:9], 2
	v_add_nc_u32_e32 v3, s8, v0
	s_wait_kmcnt 0x0
	s_add_nc_u64 s[16:17], s[4:5], s[16:17]
	s_lshr_b32 s10, s13, 8
	global_load_b32 v1, v0, s[16:17] scale_offset
	s_sub_co_i32 s14, 0, s10
	s_wait_xcnt 0x0
	s_sub_co_i32 s16, 0, s13
	s_and_b32 s2, s2, s14
	s_delay_alu instid0(SALU_CYCLE_1) | instskip(SKIP_3) | instid1(SALU_CYCLE_1)
	s_and_b32 s10, s2, s10
	s_lshl_b32 s14, s2, 8
	s_cmp_eq_u32 s10, 0
	s_cselect_b32 s2, -1, 0
	s_and_b32 s10, s2, exec_lo
	s_cselect_b32 s10, s13, s16
	s_delay_alu instid0(SALU_CYCLE_1) | instskip(NEXT) | instid1(SALU_CYCLE_1)
	s_add_co_i32 s10, s10, s14
	s_cmp_gt_u32 s11, s10
	s_cbranch_scc1 .LBB2718_3
; %bb.2:
	v_cmp_gt_u32_e32 vcc_lo, s11, v3
	s_or_b32 s9, vcc_lo, s15
	s_delay_alu instid0(SALU_CYCLE_1)
	s_and_b32 s9, s9, exec_lo
	s_cbranch_execz .LBB2718_4
	s_branch .LBB2718_18
.LBB2718_3:
.LBB2718_4:
	s_load_b32 s0, s[0:1], 0x28
	s_wait_xcnt 0x0
	s_min_u32 s1, s10, s11
	s_and_b32 vcc_lo, exec_lo, s12
	s_add_co_i32 s8, s14, s1
	s_add_co_i32 s13, s1, s13
	v_subrev_nc_u32_e32 v0, s8, v3
	s_min_u32 s8, s14, s1
	s_delay_alu instid0(VALU_DEP_1) | instid1(SALU_CYCLE_1)
	v_add_nc_u32_e32 v0, s8, v0
	s_min_u32 s8, s13, s11
	s_wait_loadcnt 0x0
	s_wait_kmcnt 0x0
	v_and_b32_e32 v2, s0, v1
	s_cbranch_vccz .LBB2718_12
; %bb.5:
                                        ; implicit-def: $vgpr3
	s_and_saveexec_b32 s11, s3
	s_cbranch_execz .LBB2718_11
; %bb.6:
	v_mov_b32_e32 v3, s1
	s_cmp_ge_u32 s10, s8
	s_cbranch_scc1 .LBB2718_10
; %bb.7:
	v_dual_mov_b32 v4, s8 :: v_dual_mov_b32 v3, s1
	s_mov_b32 s3, 0
.LBB2718_8:                             ; =>This Inner Loop Header: Depth=1
	s_delay_alu instid0(VALU_DEP_1) | instskip(NEXT) | instid1(VALU_DEP_1)
	v_add_nc_u32_e32 v5, v3, v4
	v_lshrrev_b32_e32 v5, 1, v5
	global_load_b32 v6, v5, s[4:5] scale_offset
	s_wait_loadcnt 0x0
	v_and_b32_e32 v6, s0, v6
	s_delay_alu instid0(VALU_DEP_1) | instskip(SKIP_3) | instid1(VALU_DEP_1)
	v_cmp_gt_u32_e32 vcc_lo, v2, v6
	v_cndmask_b32_e64 v7, 0, 1, vcc_lo
	v_cmp_le_u32_e32 vcc_lo, v6, v2
	v_cndmask_b32_e64 v6, 0, 1, vcc_lo
	v_dual_cndmask_b32 v6, v6, v7, s2 :: v_dual_add_nc_u32 v7, 1, v5
	s_delay_alu instid0(VALU_DEP_1) | instskip(NEXT) | instid1(VALU_DEP_1)
	v_and_b32_e32 v6, 1, v6
	v_cmp_eq_u32_e32 vcc_lo, 1, v6
	s_delay_alu instid0(VALU_DEP_3) | instskip(NEXT) | instid1(VALU_DEP_1)
	v_dual_cndmask_b32 v4, v5, v4 :: v_dual_cndmask_b32 v3, v3, v7
	v_cmp_ge_u32_e32 vcc_lo, v3, v4
	s_or_b32 s3, vcc_lo, s3
	s_delay_alu instid0(SALU_CYCLE_1)
	s_and_not1_b32 exec_lo, exec_lo, s3
	s_cbranch_execnz .LBB2718_8
; %bb.9:
	s_or_b32 exec_lo, exec_lo, s3
.LBB2718_10:
	s_delay_alu instid0(VALU_DEP_1)
	v_add_nc_u32_e32 v3, v3, v0
	s_or_b32 s9, s9, exec_lo
.LBB2718_11:
	s_or_b32 exec_lo, exec_lo, s11
	s_branch .LBB2718_18
.LBB2718_12:
                                        ; implicit-def: $vgpr3
	s_cbranch_execz .LBB2718_18
; %bb.13:
	v_mov_b32_e32 v3, s1
	s_cmp_ge_u32 s10, s8
	s_cbranch_scc1 .LBB2718_17
; %bb.14:
	v_dual_mov_b32 v4, s8 :: v_dual_mov_b32 v3, s1
	s_mov_b32 s1, 0
.LBB2718_15:                            ; =>This Inner Loop Header: Depth=1
	s_delay_alu instid0(VALU_DEP_1) | instskip(NEXT) | instid1(VALU_DEP_1)
	v_add_nc_u32_e32 v5, v3, v4
	v_lshrrev_b32_e32 v5, 1, v5
	global_load_b32 v6, v5, s[4:5] scale_offset
	s_wait_loadcnt 0x0
	v_and_b32_e32 v6, s0, v6
	s_delay_alu instid0(VALU_DEP_1) | instskip(SKIP_3) | instid1(VALU_DEP_1)
	v_cmp_gt_u32_e32 vcc_lo, v2, v6
	v_cndmask_b32_e64 v7, 0, 1, vcc_lo
	v_cmp_le_u32_e32 vcc_lo, v6, v2
	v_cndmask_b32_e64 v6, 0, 1, vcc_lo
	v_dual_cndmask_b32 v6, v6, v7, s2 :: v_dual_add_nc_u32 v7, 1, v5
	s_delay_alu instid0(VALU_DEP_1) | instskip(NEXT) | instid1(VALU_DEP_1)
	v_and_b32_e32 v6, 1, v6
	v_cmp_eq_u32_e32 vcc_lo, 1, v6
	s_delay_alu instid0(VALU_DEP_3) | instskip(NEXT) | instid1(VALU_DEP_1)
	v_dual_cndmask_b32 v4, v5, v4 :: v_dual_cndmask_b32 v3, v3, v7
	v_cmp_ge_u32_e32 vcc_lo, v3, v4
	s_or_b32 s1, vcc_lo, s1
	s_delay_alu instid0(SALU_CYCLE_1)
	s_and_not1_b32 exec_lo, exec_lo, s1
	s_cbranch_execnz .LBB2718_15
; %bb.16:
	s_or_b32 exec_lo, exec_lo, s1
.LBB2718_17:
	s_delay_alu instid0(VALU_DEP_1)
	v_add_nc_u32_e32 v3, v3, v0
	s_mov_b32 s9, -1
.LBB2718_18:
	s_delay_alu instid0(SALU_CYCLE_1)
	s_and_b32 exec_lo, exec_lo, s9
	s_cbranch_execz .LBB2718_20
; %bb.19:
	s_wait_loadcnt 0x0
	global_store_b32 v3, v1, s[6:7] scale_offset
.LBB2718_20:
	s_endpgm
	.section	.rodata,"a",@progbits
	.p2align	6, 0x0
	.amdhsa_kernel _ZN7rocprim17ROCPRIM_400000_NS6detail17trampoline_kernelINS0_14default_configENS1_38merge_sort_block_merge_config_selectorIjNS0_10empty_typeEEEZZNS1_27merge_sort_block_merge_implIS3_PjPS5_jNS1_19radix_merge_compareILb0ELb1EjNS0_19identity_decomposerEEEEE10hipError_tT0_T1_T2_jT3_P12ihipStream_tbPNSt15iterator_traitsISE_E10value_typeEPNSK_ISF_E10value_typeEPSG_NS1_7vsmem_tEENKUlT_SE_SF_SG_E_clIS8_S8_S9_S9_EESD_ST_SE_SF_SG_EUlST_E1_NS1_11comp_targetILNS1_3genE0ELNS1_11target_archE4294967295ELNS1_3gpuE0ELNS1_3repE0EEENS1_36merge_oddeven_config_static_selectorELNS0_4arch9wavefront6targetE0EEEvSF_
		.amdhsa_group_segment_fixed_size 0
		.amdhsa_private_segment_fixed_size 0
		.amdhsa_kernarg_size 48
		.amdhsa_user_sgpr_count 2
		.amdhsa_user_sgpr_dispatch_ptr 0
		.amdhsa_user_sgpr_queue_ptr 0
		.amdhsa_user_sgpr_kernarg_segment_ptr 1
		.amdhsa_user_sgpr_dispatch_id 0
		.amdhsa_user_sgpr_kernarg_preload_length 0
		.amdhsa_user_sgpr_kernarg_preload_offset 0
		.amdhsa_user_sgpr_private_segment_size 0
		.amdhsa_wavefront_size32 1
		.amdhsa_uses_dynamic_stack 0
		.amdhsa_enable_private_segment 0
		.amdhsa_system_sgpr_workgroup_id_x 1
		.amdhsa_system_sgpr_workgroup_id_y 0
		.amdhsa_system_sgpr_workgroup_id_z 0
		.amdhsa_system_sgpr_workgroup_info 0
		.amdhsa_system_vgpr_workitem_id 0
		.amdhsa_next_free_vgpr 8
		.amdhsa_next_free_sgpr 18
		.amdhsa_named_barrier_count 0
		.amdhsa_reserve_vcc 1
		.amdhsa_float_round_mode_32 0
		.amdhsa_float_round_mode_16_64 0
		.amdhsa_float_denorm_mode_32 3
		.amdhsa_float_denorm_mode_16_64 3
		.amdhsa_fp16_overflow 0
		.amdhsa_memory_ordered 1
		.amdhsa_forward_progress 1
		.amdhsa_inst_pref_size 6
		.amdhsa_round_robin_scheduling 0
		.amdhsa_exception_fp_ieee_invalid_op 0
		.amdhsa_exception_fp_denorm_src 0
		.amdhsa_exception_fp_ieee_div_zero 0
		.amdhsa_exception_fp_ieee_overflow 0
		.amdhsa_exception_fp_ieee_underflow 0
		.amdhsa_exception_fp_ieee_inexact 0
		.amdhsa_exception_int_div_zero 0
	.end_amdhsa_kernel
	.section	.text._ZN7rocprim17ROCPRIM_400000_NS6detail17trampoline_kernelINS0_14default_configENS1_38merge_sort_block_merge_config_selectorIjNS0_10empty_typeEEEZZNS1_27merge_sort_block_merge_implIS3_PjPS5_jNS1_19radix_merge_compareILb0ELb1EjNS0_19identity_decomposerEEEEE10hipError_tT0_T1_T2_jT3_P12ihipStream_tbPNSt15iterator_traitsISE_E10value_typeEPNSK_ISF_E10value_typeEPSG_NS1_7vsmem_tEENKUlT_SE_SF_SG_E_clIS8_S8_S9_S9_EESD_ST_SE_SF_SG_EUlST_E1_NS1_11comp_targetILNS1_3genE0ELNS1_11target_archE4294967295ELNS1_3gpuE0ELNS1_3repE0EEENS1_36merge_oddeven_config_static_selectorELNS0_4arch9wavefront6targetE0EEEvSF_,"axG",@progbits,_ZN7rocprim17ROCPRIM_400000_NS6detail17trampoline_kernelINS0_14default_configENS1_38merge_sort_block_merge_config_selectorIjNS0_10empty_typeEEEZZNS1_27merge_sort_block_merge_implIS3_PjPS5_jNS1_19radix_merge_compareILb0ELb1EjNS0_19identity_decomposerEEEEE10hipError_tT0_T1_T2_jT3_P12ihipStream_tbPNSt15iterator_traitsISE_E10value_typeEPNSK_ISF_E10value_typeEPSG_NS1_7vsmem_tEENKUlT_SE_SF_SG_E_clIS8_S8_S9_S9_EESD_ST_SE_SF_SG_EUlST_E1_NS1_11comp_targetILNS1_3genE0ELNS1_11target_archE4294967295ELNS1_3gpuE0ELNS1_3repE0EEENS1_36merge_oddeven_config_static_selectorELNS0_4arch9wavefront6targetE0EEEvSF_,comdat
.Lfunc_end2718:
	.size	_ZN7rocprim17ROCPRIM_400000_NS6detail17trampoline_kernelINS0_14default_configENS1_38merge_sort_block_merge_config_selectorIjNS0_10empty_typeEEEZZNS1_27merge_sort_block_merge_implIS3_PjPS5_jNS1_19radix_merge_compareILb0ELb1EjNS0_19identity_decomposerEEEEE10hipError_tT0_T1_T2_jT3_P12ihipStream_tbPNSt15iterator_traitsISE_E10value_typeEPNSK_ISF_E10value_typeEPSG_NS1_7vsmem_tEENKUlT_SE_SF_SG_E_clIS8_S8_S9_S9_EESD_ST_SE_SF_SG_EUlST_E1_NS1_11comp_targetILNS1_3genE0ELNS1_11target_archE4294967295ELNS1_3gpuE0ELNS1_3repE0EEENS1_36merge_oddeven_config_static_selectorELNS0_4arch9wavefront6targetE0EEEvSF_, .Lfunc_end2718-_ZN7rocprim17ROCPRIM_400000_NS6detail17trampoline_kernelINS0_14default_configENS1_38merge_sort_block_merge_config_selectorIjNS0_10empty_typeEEEZZNS1_27merge_sort_block_merge_implIS3_PjPS5_jNS1_19radix_merge_compareILb0ELb1EjNS0_19identity_decomposerEEEEE10hipError_tT0_T1_T2_jT3_P12ihipStream_tbPNSt15iterator_traitsISE_E10value_typeEPNSK_ISF_E10value_typeEPSG_NS1_7vsmem_tEENKUlT_SE_SF_SG_E_clIS8_S8_S9_S9_EESD_ST_SE_SF_SG_EUlST_E1_NS1_11comp_targetILNS1_3genE0ELNS1_11target_archE4294967295ELNS1_3gpuE0ELNS1_3repE0EEENS1_36merge_oddeven_config_static_selectorELNS0_4arch9wavefront6targetE0EEEvSF_
                                        ; -- End function
	.set _ZN7rocprim17ROCPRIM_400000_NS6detail17trampoline_kernelINS0_14default_configENS1_38merge_sort_block_merge_config_selectorIjNS0_10empty_typeEEEZZNS1_27merge_sort_block_merge_implIS3_PjPS5_jNS1_19radix_merge_compareILb0ELb1EjNS0_19identity_decomposerEEEEE10hipError_tT0_T1_T2_jT3_P12ihipStream_tbPNSt15iterator_traitsISE_E10value_typeEPNSK_ISF_E10value_typeEPSG_NS1_7vsmem_tEENKUlT_SE_SF_SG_E_clIS8_S8_S9_S9_EESD_ST_SE_SF_SG_EUlST_E1_NS1_11comp_targetILNS1_3genE0ELNS1_11target_archE4294967295ELNS1_3gpuE0ELNS1_3repE0EEENS1_36merge_oddeven_config_static_selectorELNS0_4arch9wavefront6targetE0EEEvSF_.num_vgpr, 8
	.set _ZN7rocprim17ROCPRIM_400000_NS6detail17trampoline_kernelINS0_14default_configENS1_38merge_sort_block_merge_config_selectorIjNS0_10empty_typeEEEZZNS1_27merge_sort_block_merge_implIS3_PjPS5_jNS1_19radix_merge_compareILb0ELb1EjNS0_19identity_decomposerEEEEE10hipError_tT0_T1_T2_jT3_P12ihipStream_tbPNSt15iterator_traitsISE_E10value_typeEPNSK_ISF_E10value_typeEPSG_NS1_7vsmem_tEENKUlT_SE_SF_SG_E_clIS8_S8_S9_S9_EESD_ST_SE_SF_SG_EUlST_E1_NS1_11comp_targetILNS1_3genE0ELNS1_11target_archE4294967295ELNS1_3gpuE0ELNS1_3repE0EEENS1_36merge_oddeven_config_static_selectorELNS0_4arch9wavefront6targetE0EEEvSF_.num_agpr, 0
	.set _ZN7rocprim17ROCPRIM_400000_NS6detail17trampoline_kernelINS0_14default_configENS1_38merge_sort_block_merge_config_selectorIjNS0_10empty_typeEEEZZNS1_27merge_sort_block_merge_implIS3_PjPS5_jNS1_19radix_merge_compareILb0ELb1EjNS0_19identity_decomposerEEEEE10hipError_tT0_T1_T2_jT3_P12ihipStream_tbPNSt15iterator_traitsISE_E10value_typeEPNSK_ISF_E10value_typeEPSG_NS1_7vsmem_tEENKUlT_SE_SF_SG_E_clIS8_S8_S9_S9_EESD_ST_SE_SF_SG_EUlST_E1_NS1_11comp_targetILNS1_3genE0ELNS1_11target_archE4294967295ELNS1_3gpuE0ELNS1_3repE0EEENS1_36merge_oddeven_config_static_selectorELNS0_4arch9wavefront6targetE0EEEvSF_.numbered_sgpr, 18
	.set _ZN7rocprim17ROCPRIM_400000_NS6detail17trampoline_kernelINS0_14default_configENS1_38merge_sort_block_merge_config_selectorIjNS0_10empty_typeEEEZZNS1_27merge_sort_block_merge_implIS3_PjPS5_jNS1_19radix_merge_compareILb0ELb1EjNS0_19identity_decomposerEEEEE10hipError_tT0_T1_T2_jT3_P12ihipStream_tbPNSt15iterator_traitsISE_E10value_typeEPNSK_ISF_E10value_typeEPSG_NS1_7vsmem_tEENKUlT_SE_SF_SG_E_clIS8_S8_S9_S9_EESD_ST_SE_SF_SG_EUlST_E1_NS1_11comp_targetILNS1_3genE0ELNS1_11target_archE4294967295ELNS1_3gpuE0ELNS1_3repE0EEENS1_36merge_oddeven_config_static_selectorELNS0_4arch9wavefront6targetE0EEEvSF_.num_named_barrier, 0
	.set _ZN7rocprim17ROCPRIM_400000_NS6detail17trampoline_kernelINS0_14default_configENS1_38merge_sort_block_merge_config_selectorIjNS0_10empty_typeEEEZZNS1_27merge_sort_block_merge_implIS3_PjPS5_jNS1_19radix_merge_compareILb0ELb1EjNS0_19identity_decomposerEEEEE10hipError_tT0_T1_T2_jT3_P12ihipStream_tbPNSt15iterator_traitsISE_E10value_typeEPNSK_ISF_E10value_typeEPSG_NS1_7vsmem_tEENKUlT_SE_SF_SG_E_clIS8_S8_S9_S9_EESD_ST_SE_SF_SG_EUlST_E1_NS1_11comp_targetILNS1_3genE0ELNS1_11target_archE4294967295ELNS1_3gpuE0ELNS1_3repE0EEENS1_36merge_oddeven_config_static_selectorELNS0_4arch9wavefront6targetE0EEEvSF_.private_seg_size, 0
	.set _ZN7rocprim17ROCPRIM_400000_NS6detail17trampoline_kernelINS0_14default_configENS1_38merge_sort_block_merge_config_selectorIjNS0_10empty_typeEEEZZNS1_27merge_sort_block_merge_implIS3_PjPS5_jNS1_19radix_merge_compareILb0ELb1EjNS0_19identity_decomposerEEEEE10hipError_tT0_T1_T2_jT3_P12ihipStream_tbPNSt15iterator_traitsISE_E10value_typeEPNSK_ISF_E10value_typeEPSG_NS1_7vsmem_tEENKUlT_SE_SF_SG_E_clIS8_S8_S9_S9_EESD_ST_SE_SF_SG_EUlST_E1_NS1_11comp_targetILNS1_3genE0ELNS1_11target_archE4294967295ELNS1_3gpuE0ELNS1_3repE0EEENS1_36merge_oddeven_config_static_selectorELNS0_4arch9wavefront6targetE0EEEvSF_.uses_vcc, 1
	.set _ZN7rocprim17ROCPRIM_400000_NS6detail17trampoline_kernelINS0_14default_configENS1_38merge_sort_block_merge_config_selectorIjNS0_10empty_typeEEEZZNS1_27merge_sort_block_merge_implIS3_PjPS5_jNS1_19radix_merge_compareILb0ELb1EjNS0_19identity_decomposerEEEEE10hipError_tT0_T1_T2_jT3_P12ihipStream_tbPNSt15iterator_traitsISE_E10value_typeEPNSK_ISF_E10value_typeEPSG_NS1_7vsmem_tEENKUlT_SE_SF_SG_E_clIS8_S8_S9_S9_EESD_ST_SE_SF_SG_EUlST_E1_NS1_11comp_targetILNS1_3genE0ELNS1_11target_archE4294967295ELNS1_3gpuE0ELNS1_3repE0EEENS1_36merge_oddeven_config_static_selectorELNS0_4arch9wavefront6targetE0EEEvSF_.uses_flat_scratch, 0
	.set _ZN7rocprim17ROCPRIM_400000_NS6detail17trampoline_kernelINS0_14default_configENS1_38merge_sort_block_merge_config_selectorIjNS0_10empty_typeEEEZZNS1_27merge_sort_block_merge_implIS3_PjPS5_jNS1_19radix_merge_compareILb0ELb1EjNS0_19identity_decomposerEEEEE10hipError_tT0_T1_T2_jT3_P12ihipStream_tbPNSt15iterator_traitsISE_E10value_typeEPNSK_ISF_E10value_typeEPSG_NS1_7vsmem_tEENKUlT_SE_SF_SG_E_clIS8_S8_S9_S9_EESD_ST_SE_SF_SG_EUlST_E1_NS1_11comp_targetILNS1_3genE0ELNS1_11target_archE4294967295ELNS1_3gpuE0ELNS1_3repE0EEENS1_36merge_oddeven_config_static_selectorELNS0_4arch9wavefront6targetE0EEEvSF_.has_dyn_sized_stack, 0
	.set _ZN7rocprim17ROCPRIM_400000_NS6detail17trampoline_kernelINS0_14default_configENS1_38merge_sort_block_merge_config_selectorIjNS0_10empty_typeEEEZZNS1_27merge_sort_block_merge_implIS3_PjPS5_jNS1_19radix_merge_compareILb0ELb1EjNS0_19identity_decomposerEEEEE10hipError_tT0_T1_T2_jT3_P12ihipStream_tbPNSt15iterator_traitsISE_E10value_typeEPNSK_ISF_E10value_typeEPSG_NS1_7vsmem_tEENKUlT_SE_SF_SG_E_clIS8_S8_S9_S9_EESD_ST_SE_SF_SG_EUlST_E1_NS1_11comp_targetILNS1_3genE0ELNS1_11target_archE4294967295ELNS1_3gpuE0ELNS1_3repE0EEENS1_36merge_oddeven_config_static_selectorELNS0_4arch9wavefront6targetE0EEEvSF_.has_recursion, 0
	.set _ZN7rocprim17ROCPRIM_400000_NS6detail17trampoline_kernelINS0_14default_configENS1_38merge_sort_block_merge_config_selectorIjNS0_10empty_typeEEEZZNS1_27merge_sort_block_merge_implIS3_PjPS5_jNS1_19radix_merge_compareILb0ELb1EjNS0_19identity_decomposerEEEEE10hipError_tT0_T1_T2_jT3_P12ihipStream_tbPNSt15iterator_traitsISE_E10value_typeEPNSK_ISF_E10value_typeEPSG_NS1_7vsmem_tEENKUlT_SE_SF_SG_E_clIS8_S8_S9_S9_EESD_ST_SE_SF_SG_EUlST_E1_NS1_11comp_targetILNS1_3genE0ELNS1_11target_archE4294967295ELNS1_3gpuE0ELNS1_3repE0EEENS1_36merge_oddeven_config_static_selectorELNS0_4arch9wavefront6targetE0EEEvSF_.has_indirect_call, 0
	.section	.AMDGPU.csdata,"",@progbits
; Kernel info:
; codeLenInByte = 672
; TotalNumSgprs: 20
; NumVgprs: 8
; ScratchSize: 0
; MemoryBound: 0
; FloatMode: 240
; IeeeMode: 1
; LDSByteSize: 0 bytes/workgroup (compile time only)
; SGPRBlocks: 0
; VGPRBlocks: 0
; NumSGPRsForWavesPerEU: 20
; NumVGPRsForWavesPerEU: 8
; NamedBarCnt: 0
; Occupancy: 16
; WaveLimiterHint : 0
; COMPUTE_PGM_RSRC2:SCRATCH_EN: 0
; COMPUTE_PGM_RSRC2:USER_SGPR: 2
; COMPUTE_PGM_RSRC2:TRAP_HANDLER: 0
; COMPUTE_PGM_RSRC2:TGID_X_EN: 1
; COMPUTE_PGM_RSRC2:TGID_Y_EN: 0
; COMPUTE_PGM_RSRC2:TGID_Z_EN: 0
; COMPUTE_PGM_RSRC2:TIDIG_COMP_CNT: 0
	.section	.text._ZN7rocprim17ROCPRIM_400000_NS6detail17trampoline_kernelINS0_14default_configENS1_38merge_sort_block_merge_config_selectorIjNS0_10empty_typeEEEZZNS1_27merge_sort_block_merge_implIS3_PjPS5_jNS1_19radix_merge_compareILb0ELb1EjNS0_19identity_decomposerEEEEE10hipError_tT0_T1_T2_jT3_P12ihipStream_tbPNSt15iterator_traitsISE_E10value_typeEPNSK_ISF_E10value_typeEPSG_NS1_7vsmem_tEENKUlT_SE_SF_SG_E_clIS8_S8_S9_S9_EESD_ST_SE_SF_SG_EUlST_E1_NS1_11comp_targetILNS1_3genE10ELNS1_11target_archE1201ELNS1_3gpuE5ELNS1_3repE0EEENS1_36merge_oddeven_config_static_selectorELNS0_4arch9wavefront6targetE0EEEvSF_,"axG",@progbits,_ZN7rocprim17ROCPRIM_400000_NS6detail17trampoline_kernelINS0_14default_configENS1_38merge_sort_block_merge_config_selectorIjNS0_10empty_typeEEEZZNS1_27merge_sort_block_merge_implIS3_PjPS5_jNS1_19radix_merge_compareILb0ELb1EjNS0_19identity_decomposerEEEEE10hipError_tT0_T1_T2_jT3_P12ihipStream_tbPNSt15iterator_traitsISE_E10value_typeEPNSK_ISF_E10value_typeEPSG_NS1_7vsmem_tEENKUlT_SE_SF_SG_E_clIS8_S8_S9_S9_EESD_ST_SE_SF_SG_EUlST_E1_NS1_11comp_targetILNS1_3genE10ELNS1_11target_archE1201ELNS1_3gpuE5ELNS1_3repE0EEENS1_36merge_oddeven_config_static_selectorELNS0_4arch9wavefront6targetE0EEEvSF_,comdat
	.protected	_ZN7rocprim17ROCPRIM_400000_NS6detail17trampoline_kernelINS0_14default_configENS1_38merge_sort_block_merge_config_selectorIjNS0_10empty_typeEEEZZNS1_27merge_sort_block_merge_implIS3_PjPS5_jNS1_19radix_merge_compareILb0ELb1EjNS0_19identity_decomposerEEEEE10hipError_tT0_T1_T2_jT3_P12ihipStream_tbPNSt15iterator_traitsISE_E10value_typeEPNSK_ISF_E10value_typeEPSG_NS1_7vsmem_tEENKUlT_SE_SF_SG_E_clIS8_S8_S9_S9_EESD_ST_SE_SF_SG_EUlST_E1_NS1_11comp_targetILNS1_3genE10ELNS1_11target_archE1201ELNS1_3gpuE5ELNS1_3repE0EEENS1_36merge_oddeven_config_static_selectorELNS0_4arch9wavefront6targetE0EEEvSF_ ; -- Begin function _ZN7rocprim17ROCPRIM_400000_NS6detail17trampoline_kernelINS0_14default_configENS1_38merge_sort_block_merge_config_selectorIjNS0_10empty_typeEEEZZNS1_27merge_sort_block_merge_implIS3_PjPS5_jNS1_19radix_merge_compareILb0ELb1EjNS0_19identity_decomposerEEEEE10hipError_tT0_T1_T2_jT3_P12ihipStream_tbPNSt15iterator_traitsISE_E10value_typeEPNSK_ISF_E10value_typeEPSG_NS1_7vsmem_tEENKUlT_SE_SF_SG_E_clIS8_S8_S9_S9_EESD_ST_SE_SF_SG_EUlST_E1_NS1_11comp_targetILNS1_3genE10ELNS1_11target_archE1201ELNS1_3gpuE5ELNS1_3repE0EEENS1_36merge_oddeven_config_static_selectorELNS0_4arch9wavefront6targetE0EEEvSF_
	.globl	_ZN7rocprim17ROCPRIM_400000_NS6detail17trampoline_kernelINS0_14default_configENS1_38merge_sort_block_merge_config_selectorIjNS0_10empty_typeEEEZZNS1_27merge_sort_block_merge_implIS3_PjPS5_jNS1_19radix_merge_compareILb0ELb1EjNS0_19identity_decomposerEEEEE10hipError_tT0_T1_T2_jT3_P12ihipStream_tbPNSt15iterator_traitsISE_E10value_typeEPNSK_ISF_E10value_typeEPSG_NS1_7vsmem_tEENKUlT_SE_SF_SG_E_clIS8_S8_S9_S9_EESD_ST_SE_SF_SG_EUlST_E1_NS1_11comp_targetILNS1_3genE10ELNS1_11target_archE1201ELNS1_3gpuE5ELNS1_3repE0EEENS1_36merge_oddeven_config_static_selectorELNS0_4arch9wavefront6targetE0EEEvSF_
	.p2align	8
	.type	_ZN7rocprim17ROCPRIM_400000_NS6detail17trampoline_kernelINS0_14default_configENS1_38merge_sort_block_merge_config_selectorIjNS0_10empty_typeEEEZZNS1_27merge_sort_block_merge_implIS3_PjPS5_jNS1_19radix_merge_compareILb0ELb1EjNS0_19identity_decomposerEEEEE10hipError_tT0_T1_T2_jT3_P12ihipStream_tbPNSt15iterator_traitsISE_E10value_typeEPNSK_ISF_E10value_typeEPSG_NS1_7vsmem_tEENKUlT_SE_SF_SG_E_clIS8_S8_S9_S9_EESD_ST_SE_SF_SG_EUlST_E1_NS1_11comp_targetILNS1_3genE10ELNS1_11target_archE1201ELNS1_3gpuE5ELNS1_3repE0EEENS1_36merge_oddeven_config_static_selectorELNS0_4arch9wavefront6targetE0EEEvSF_,@function
_ZN7rocprim17ROCPRIM_400000_NS6detail17trampoline_kernelINS0_14default_configENS1_38merge_sort_block_merge_config_selectorIjNS0_10empty_typeEEEZZNS1_27merge_sort_block_merge_implIS3_PjPS5_jNS1_19radix_merge_compareILb0ELb1EjNS0_19identity_decomposerEEEEE10hipError_tT0_T1_T2_jT3_P12ihipStream_tbPNSt15iterator_traitsISE_E10value_typeEPNSK_ISF_E10value_typeEPSG_NS1_7vsmem_tEENKUlT_SE_SF_SG_E_clIS8_S8_S9_S9_EESD_ST_SE_SF_SG_EUlST_E1_NS1_11comp_targetILNS1_3genE10ELNS1_11target_archE1201ELNS1_3gpuE5ELNS1_3repE0EEENS1_36merge_oddeven_config_static_selectorELNS0_4arch9wavefront6targetE0EEEvSF_: ; @_ZN7rocprim17ROCPRIM_400000_NS6detail17trampoline_kernelINS0_14default_configENS1_38merge_sort_block_merge_config_selectorIjNS0_10empty_typeEEEZZNS1_27merge_sort_block_merge_implIS3_PjPS5_jNS1_19radix_merge_compareILb0ELb1EjNS0_19identity_decomposerEEEEE10hipError_tT0_T1_T2_jT3_P12ihipStream_tbPNSt15iterator_traitsISE_E10value_typeEPNSK_ISF_E10value_typeEPSG_NS1_7vsmem_tEENKUlT_SE_SF_SG_E_clIS8_S8_S9_S9_EESD_ST_SE_SF_SG_EUlST_E1_NS1_11comp_targetILNS1_3genE10ELNS1_11target_archE1201ELNS1_3gpuE5ELNS1_3repE0EEENS1_36merge_oddeven_config_static_selectorELNS0_4arch9wavefront6targetE0EEEvSF_
; %bb.0:
	.section	.rodata,"a",@progbits
	.p2align	6, 0x0
	.amdhsa_kernel _ZN7rocprim17ROCPRIM_400000_NS6detail17trampoline_kernelINS0_14default_configENS1_38merge_sort_block_merge_config_selectorIjNS0_10empty_typeEEEZZNS1_27merge_sort_block_merge_implIS3_PjPS5_jNS1_19radix_merge_compareILb0ELb1EjNS0_19identity_decomposerEEEEE10hipError_tT0_T1_T2_jT3_P12ihipStream_tbPNSt15iterator_traitsISE_E10value_typeEPNSK_ISF_E10value_typeEPSG_NS1_7vsmem_tEENKUlT_SE_SF_SG_E_clIS8_S8_S9_S9_EESD_ST_SE_SF_SG_EUlST_E1_NS1_11comp_targetILNS1_3genE10ELNS1_11target_archE1201ELNS1_3gpuE5ELNS1_3repE0EEENS1_36merge_oddeven_config_static_selectorELNS0_4arch9wavefront6targetE0EEEvSF_
		.amdhsa_group_segment_fixed_size 0
		.amdhsa_private_segment_fixed_size 0
		.amdhsa_kernarg_size 48
		.amdhsa_user_sgpr_count 2
		.amdhsa_user_sgpr_dispatch_ptr 0
		.amdhsa_user_sgpr_queue_ptr 0
		.amdhsa_user_sgpr_kernarg_segment_ptr 1
		.amdhsa_user_sgpr_dispatch_id 0
		.amdhsa_user_sgpr_kernarg_preload_length 0
		.amdhsa_user_sgpr_kernarg_preload_offset 0
		.amdhsa_user_sgpr_private_segment_size 0
		.amdhsa_wavefront_size32 1
		.amdhsa_uses_dynamic_stack 0
		.amdhsa_enable_private_segment 0
		.amdhsa_system_sgpr_workgroup_id_x 1
		.amdhsa_system_sgpr_workgroup_id_y 0
		.amdhsa_system_sgpr_workgroup_id_z 0
		.amdhsa_system_sgpr_workgroup_info 0
		.amdhsa_system_vgpr_workitem_id 0
		.amdhsa_next_free_vgpr 1
		.amdhsa_next_free_sgpr 1
		.amdhsa_named_barrier_count 0
		.amdhsa_reserve_vcc 0
		.amdhsa_float_round_mode_32 0
		.amdhsa_float_round_mode_16_64 0
		.amdhsa_float_denorm_mode_32 3
		.amdhsa_float_denorm_mode_16_64 3
		.amdhsa_fp16_overflow 0
		.amdhsa_memory_ordered 1
		.amdhsa_forward_progress 1
		.amdhsa_inst_pref_size 0
		.amdhsa_round_robin_scheduling 0
		.amdhsa_exception_fp_ieee_invalid_op 0
		.amdhsa_exception_fp_denorm_src 0
		.amdhsa_exception_fp_ieee_div_zero 0
		.amdhsa_exception_fp_ieee_overflow 0
		.amdhsa_exception_fp_ieee_underflow 0
		.amdhsa_exception_fp_ieee_inexact 0
		.amdhsa_exception_int_div_zero 0
	.end_amdhsa_kernel
	.section	.text._ZN7rocprim17ROCPRIM_400000_NS6detail17trampoline_kernelINS0_14default_configENS1_38merge_sort_block_merge_config_selectorIjNS0_10empty_typeEEEZZNS1_27merge_sort_block_merge_implIS3_PjPS5_jNS1_19radix_merge_compareILb0ELb1EjNS0_19identity_decomposerEEEEE10hipError_tT0_T1_T2_jT3_P12ihipStream_tbPNSt15iterator_traitsISE_E10value_typeEPNSK_ISF_E10value_typeEPSG_NS1_7vsmem_tEENKUlT_SE_SF_SG_E_clIS8_S8_S9_S9_EESD_ST_SE_SF_SG_EUlST_E1_NS1_11comp_targetILNS1_3genE10ELNS1_11target_archE1201ELNS1_3gpuE5ELNS1_3repE0EEENS1_36merge_oddeven_config_static_selectorELNS0_4arch9wavefront6targetE0EEEvSF_,"axG",@progbits,_ZN7rocprim17ROCPRIM_400000_NS6detail17trampoline_kernelINS0_14default_configENS1_38merge_sort_block_merge_config_selectorIjNS0_10empty_typeEEEZZNS1_27merge_sort_block_merge_implIS3_PjPS5_jNS1_19radix_merge_compareILb0ELb1EjNS0_19identity_decomposerEEEEE10hipError_tT0_T1_T2_jT3_P12ihipStream_tbPNSt15iterator_traitsISE_E10value_typeEPNSK_ISF_E10value_typeEPSG_NS1_7vsmem_tEENKUlT_SE_SF_SG_E_clIS8_S8_S9_S9_EESD_ST_SE_SF_SG_EUlST_E1_NS1_11comp_targetILNS1_3genE10ELNS1_11target_archE1201ELNS1_3gpuE5ELNS1_3repE0EEENS1_36merge_oddeven_config_static_selectorELNS0_4arch9wavefront6targetE0EEEvSF_,comdat
.Lfunc_end2719:
	.size	_ZN7rocprim17ROCPRIM_400000_NS6detail17trampoline_kernelINS0_14default_configENS1_38merge_sort_block_merge_config_selectorIjNS0_10empty_typeEEEZZNS1_27merge_sort_block_merge_implIS3_PjPS5_jNS1_19radix_merge_compareILb0ELb1EjNS0_19identity_decomposerEEEEE10hipError_tT0_T1_T2_jT3_P12ihipStream_tbPNSt15iterator_traitsISE_E10value_typeEPNSK_ISF_E10value_typeEPSG_NS1_7vsmem_tEENKUlT_SE_SF_SG_E_clIS8_S8_S9_S9_EESD_ST_SE_SF_SG_EUlST_E1_NS1_11comp_targetILNS1_3genE10ELNS1_11target_archE1201ELNS1_3gpuE5ELNS1_3repE0EEENS1_36merge_oddeven_config_static_selectorELNS0_4arch9wavefront6targetE0EEEvSF_, .Lfunc_end2719-_ZN7rocprim17ROCPRIM_400000_NS6detail17trampoline_kernelINS0_14default_configENS1_38merge_sort_block_merge_config_selectorIjNS0_10empty_typeEEEZZNS1_27merge_sort_block_merge_implIS3_PjPS5_jNS1_19radix_merge_compareILb0ELb1EjNS0_19identity_decomposerEEEEE10hipError_tT0_T1_T2_jT3_P12ihipStream_tbPNSt15iterator_traitsISE_E10value_typeEPNSK_ISF_E10value_typeEPSG_NS1_7vsmem_tEENKUlT_SE_SF_SG_E_clIS8_S8_S9_S9_EESD_ST_SE_SF_SG_EUlST_E1_NS1_11comp_targetILNS1_3genE10ELNS1_11target_archE1201ELNS1_3gpuE5ELNS1_3repE0EEENS1_36merge_oddeven_config_static_selectorELNS0_4arch9wavefront6targetE0EEEvSF_
                                        ; -- End function
	.set _ZN7rocprim17ROCPRIM_400000_NS6detail17trampoline_kernelINS0_14default_configENS1_38merge_sort_block_merge_config_selectorIjNS0_10empty_typeEEEZZNS1_27merge_sort_block_merge_implIS3_PjPS5_jNS1_19radix_merge_compareILb0ELb1EjNS0_19identity_decomposerEEEEE10hipError_tT0_T1_T2_jT3_P12ihipStream_tbPNSt15iterator_traitsISE_E10value_typeEPNSK_ISF_E10value_typeEPSG_NS1_7vsmem_tEENKUlT_SE_SF_SG_E_clIS8_S8_S9_S9_EESD_ST_SE_SF_SG_EUlST_E1_NS1_11comp_targetILNS1_3genE10ELNS1_11target_archE1201ELNS1_3gpuE5ELNS1_3repE0EEENS1_36merge_oddeven_config_static_selectorELNS0_4arch9wavefront6targetE0EEEvSF_.num_vgpr, 0
	.set _ZN7rocprim17ROCPRIM_400000_NS6detail17trampoline_kernelINS0_14default_configENS1_38merge_sort_block_merge_config_selectorIjNS0_10empty_typeEEEZZNS1_27merge_sort_block_merge_implIS3_PjPS5_jNS1_19radix_merge_compareILb0ELb1EjNS0_19identity_decomposerEEEEE10hipError_tT0_T1_T2_jT3_P12ihipStream_tbPNSt15iterator_traitsISE_E10value_typeEPNSK_ISF_E10value_typeEPSG_NS1_7vsmem_tEENKUlT_SE_SF_SG_E_clIS8_S8_S9_S9_EESD_ST_SE_SF_SG_EUlST_E1_NS1_11comp_targetILNS1_3genE10ELNS1_11target_archE1201ELNS1_3gpuE5ELNS1_3repE0EEENS1_36merge_oddeven_config_static_selectorELNS0_4arch9wavefront6targetE0EEEvSF_.num_agpr, 0
	.set _ZN7rocprim17ROCPRIM_400000_NS6detail17trampoline_kernelINS0_14default_configENS1_38merge_sort_block_merge_config_selectorIjNS0_10empty_typeEEEZZNS1_27merge_sort_block_merge_implIS3_PjPS5_jNS1_19radix_merge_compareILb0ELb1EjNS0_19identity_decomposerEEEEE10hipError_tT0_T1_T2_jT3_P12ihipStream_tbPNSt15iterator_traitsISE_E10value_typeEPNSK_ISF_E10value_typeEPSG_NS1_7vsmem_tEENKUlT_SE_SF_SG_E_clIS8_S8_S9_S9_EESD_ST_SE_SF_SG_EUlST_E1_NS1_11comp_targetILNS1_3genE10ELNS1_11target_archE1201ELNS1_3gpuE5ELNS1_3repE0EEENS1_36merge_oddeven_config_static_selectorELNS0_4arch9wavefront6targetE0EEEvSF_.numbered_sgpr, 0
	.set _ZN7rocprim17ROCPRIM_400000_NS6detail17trampoline_kernelINS0_14default_configENS1_38merge_sort_block_merge_config_selectorIjNS0_10empty_typeEEEZZNS1_27merge_sort_block_merge_implIS3_PjPS5_jNS1_19radix_merge_compareILb0ELb1EjNS0_19identity_decomposerEEEEE10hipError_tT0_T1_T2_jT3_P12ihipStream_tbPNSt15iterator_traitsISE_E10value_typeEPNSK_ISF_E10value_typeEPSG_NS1_7vsmem_tEENKUlT_SE_SF_SG_E_clIS8_S8_S9_S9_EESD_ST_SE_SF_SG_EUlST_E1_NS1_11comp_targetILNS1_3genE10ELNS1_11target_archE1201ELNS1_3gpuE5ELNS1_3repE0EEENS1_36merge_oddeven_config_static_selectorELNS0_4arch9wavefront6targetE0EEEvSF_.num_named_barrier, 0
	.set _ZN7rocprim17ROCPRIM_400000_NS6detail17trampoline_kernelINS0_14default_configENS1_38merge_sort_block_merge_config_selectorIjNS0_10empty_typeEEEZZNS1_27merge_sort_block_merge_implIS3_PjPS5_jNS1_19radix_merge_compareILb0ELb1EjNS0_19identity_decomposerEEEEE10hipError_tT0_T1_T2_jT3_P12ihipStream_tbPNSt15iterator_traitsISE_E10value_typeEPNSK_ISF_E10value_typeEPSG_NS1_7vsmem_tEENKUlT_SE_SF_SG_E_clIS8_S8_S9_S9_EESD_ST_SE_SF_SG_EUlST_E1_NS1_11comp_targetILNS1_3genE10ELNS1_11target_archE1201ELNS1_3gpuE5ELNS1_3repE0EEENS1_36merge_oddeven_config_static_selectorELNS0_4arch9wavefront6targetE0EEEvSF_.private_seg_size, 0
	.set _ZN7rocprim17ROCPRIM_400000_NS6detail17trampoline_kernelINS0_14default_configENS1_38merge_sort_block_merge_config_selectorIjNS0_10empty_typeEEEZZNS1_27merge_sort_block_merge_implIS3_PjPS5_jNS1_19radix_merge_compareILb0ELb1EjNS0_19identity_decomposerEEEEE10hipError_tT0_T1_T2_jT3_P12ihipStream_tbPNSt15iterator_traitsISE_E10value_typeEPNSK_ISF_E10value_typeEPSG_NS1_7vsmem_tEENKUlT_SE_SF_SG_E_clIS8_S8_S9_S9_EESD_ST_SE_SF_SG_EUlST_E1_NS1_11comp_targetILNS1_3genE10ELNS1_11target_archE1201ELNS1_3gpuE5ELNS1_3repE0EEENS1_36merge_oddeven_config_static_selectorELNS0_4arch9wavefront6targetE0EEEvSF_.uses_vcc, 0
	.set _ZN7rocprim17ROCPRIM_400000_NS6detail17trampoline_kernelINS0_14default_configENS1_38merge_sort_block_merge_config_selectorIjNS0_10empty_typeEEEZZNS1_27merge_sort_block_merge_implIS3_PjPS5_jNS1_19radix_merge_compareILb0ELb1EjNS0_19identity_decomposerEEEEE10hipError_tT0_T1_T2_jT3_P12ihipStream_tbPNSt15iterator_traitsISE_E10value_typeEPNSK_ISF_E10value_typeEPSG_NS1_7vsmem_tEENKUlT_SE_SF_SG_E_clIS8_S8_S9_S9_EESD_ST_SE_SF_SG_EUlST_E1_NS1_11comp_targetILNS1_3genE10ELNS1_11target_archE1201ELNS1_3gpuE5ELNS1_3repE0EEENS1_36merge_oddeven_config_static_selectorELNS0_4arch9wavefront6targetE0EEEvSF_.uses_flat_scratch, 0
	.set _ZN7rocprim17ROCPRIM_400000_NS6detail17trampoline_kernelINS0_14default_configENS1_38merge_sort_block_merge_config_selectorIjNS0_10empty_typeEEEZZNS1_27merge_sort_block_merge_implIS3_PjPS5_jNS1_19radix_merge_compareILb0ELb1EjNS0_19identity_decomposerEEEEE10hipError_tT0_T1_T2_jT3_P12ihipStream_tbPNSt15iterator_traitsISE_E10value_typeEPNSK_ISF_E10value_typeEPSG_NS1_7vsmem_tEENKUlT_SE_SF_SG_E_clIS8_S8_S9_S9_EESD_ST_SE_SF_SG_EUlST_E1_NS1_11comp_targetILNS1_3genE10ELNS1_11target_archE1201ELNS1_3gpuE5ELNS1_3repE0EEENS1_36merge_oddeven_config_static_selectorELNS0_4arch9wavefront6targetE0EEEvSF_.has_dyn_sized_stack, 0
	.set _ZN7rocprim17ROCPRIM_400000_NS6detail17trampoline_kernelINS0_14default_configENS1_38merge_sort_block_merge_config_selectorIjNS0_10empty_typeEEEZZNS1_27merge_sort_block_merge_implIS3_PjPS5_jNS1_19radix_merge_compareILb0ELb1EjNS0_19identity_decomposerEEEEE10hipError_tT0_T1_T2_jT3_P12ihipStream_tbPNSt15iterator_traitsISE_E10value_typeEPNSK_ISF_E10value_typeEPSG_NS1_7vsmem_tEENKUlT_SE_SF_SG_E_clIS8_S8_S9_S9_EESD_ST_SE_SF_SG_EUlST_E1_NS1_11comp_targetILNS1_3genE10ELNS1_11target_archE1201ELNS1_3gpuE5ELNS1_3repE0EEENS1_36merge_oddeven_config_static_selectorELNS0_4arch9wavefront6targetE0EEEvSF_.has_recursion, 0
	.set _ZN7rocprim17ROCPRIM_400000_NS6detail17trampoline_kernelINS0_14default_configENS1_38merge_sort_block_merge_config_selectorIjNS0_10empty_typeEEEZZNS1_27merge_sort_block_merge_implIS3_PjPS5_jNS1_19radix_merge_compareILb0ELb1EjNS0_19identity_decomposerEEEEE10hipError_tT0_T1_T2_jT3_P12ihipStream_tbPNSt15iterator_traitsISE_E10value_typeEPNSK_ISF_E10value_typeEPSG_NS1_7vsmem_tEENKUlT_SE_SF_SG_E_clIS8_S8_S9_S9_EESD_ST_SE_SF_SG_EUlST_E1_NS1_11comp_targetILNS1_3genE10ELNS1_11target_archE1201ELNS1_3gpuE5ELNS1_3repE0EEENS1_36merge_oddeven_config_static_selectorELNS0_4arch9wavefront6targetE0EEEvSF_.has_indirect_call, 0
	.section	.AMDGPU.csdata,"",@progbits
; Kernel info:
; codeLenInByte = 0
; TotalNumSgprs: 0
; NumVgprs: 0
; ScratchSize: 0
; MemoryBound: 0
; FloatMode: 240
; IeeeMode: 1
; LDSByteSize: 0 bytes/workgroup (compile time only)
; SGPRBlocks: 0
; VGPRBlocks: 0
; NumSGPRsForWavesPerEU: 1
; NumVGPRsForWavesPerEU: 1
; NamedBarCnt: 0
; Occupancy: 16
; WaveLimiterHint : 0
; COMPUTE_PGM_RSRC2:SCRATCH_EN: 0
; COMPUTE_PGM_RSRC2:USER_SGPR: 2
; COMPUTE_PGM_RSRC2:TRAP_HANDLER: 0
; COMPUTE_PGM_RSRC2:TGID_X_EN: 1
; COMPUTE_PGM_RSRC2:TGID_Y_EN: 0
; COMPUTE_PGM_RSRC2:TGID_Z_EN: 0
; COMPUTE_PGM_RSRC2:TIDIG_COMP_CNT: 0
	.section	.text._ZN7rocprim17ROCPRIM_400000_NS6detail17trampoline_kernelINS0_14default_configENS1_38merge_sort_block_merge_config_selectorIjNS0_10empty_typeEEEZZNS1_27merge_sort_block_merge_implIS3_PjPS5_jNS1_19radix_merge_compareILb0ELb1EjNS0_19identity_decomposerEEEEE10hipError_tT0_T1_T2_jT3_P12ihipStream_tbPNSt15iterator_traitsISE_E10value_typeEPNSK_ISF_E10value_typeEPSG_NS1_7vsmem_tEENKUlT_SE_SF_SG_E_clIS8_S8_S9_S9_EESD_ST_SE_SF_SG_EUlST_E1_NS1_11comp_targetILNS1_3genE5ELNS1_11target_archE942ELNS1_3gpuE9ELNS1_3repE0EEENS1_36merge_oddeven_config_static_selectorELNS0_4arch9wavefront6targetE0EEEvSF_,"axG",@progbits,_ZN7rocprim17ROCPRIM_400000_NS6detail17trampoline_kernelINS0_14default_configENS1_38merge_sort_block_merge_config_selectorIjNS0_10empty_typeEEEZZNS1_27merge_sort_block_merge_implIS3_PjPS5_jNS1_19radix_merge_compareILb0ELb1EjNS0_19identity_decomposerEEEEE10hipError_tT0_T1_T2_jT3_P12ihipStream_tbPNSt15iterator_traitsISE_E10value_typeEPNSK_ISF_E10value_typeEPSG_NS1_7vsmem_tEENKUlT_SE_SF_SG_E_clIS8_S8_S9_S9_EESD_ST_SE_SF_SG_EUlST_E1_NS1_11comp_targetILNS1_3genE5ELNS1_11target_archE942ELNS1_3gpuE9ELNS1_3repE0EEENS1_36merge_oddeven_config_static_selectorELNS0_4arch9wavefront6targetE0EEEvSF_,comdat
	.protected	_ZN7rocprim17ROCPRIM_400000_NS6detail17trampoline_kernelINS0_14default_configENS1_38merge_sort_block_merge_config_selectorIjNS0_10empty_typeEEEZZNS1_27merge_sort_block_merge_implIS3_PjPS5_jNS1_19radix_merge_compareILb0ELb1EjNS0_19identity_decomposerEEEEE10hipError_tT0_T1_T2_jT3_P12ihipStream_tbPNSt15iterator_traitsISE_E10value_typeEPNSK_ISF_E10value_typeEPSG_NS1_7vsmem_tEENKUlT_SE_SF_SG_E_clIS8_S8_S9_S9_EESD_ST_SE_SF_SG_EUlST_E1_NS1_11comp_targetILNS1_3genE5ELNS1_11target_archE942ELNS1_3gpuE9ELNS1_3repE0EEENS1_36merge_oddeven_config_static_selectorELNS0_4arch9wavefront6targetE0EEEvSF_ ; -- Begin function _ZN7rocprim17ROCPRIM_400000_NS6detail17trampoline_kernelINS0_14default_configENS1_38merge_sort_block_merge_config_selectorIjNS0_10empty_typeEEEZZNS1_27merge_sort_block_merge_implIS3_PjPS5_jNS1_19radix_merge_compareILb0ELb1EjNS0_19identity_decomposerEEEEE10hipError_tT0_T1_T2_jT3_P12ihipStream_tbPNSt15iterator_traitsISE_E10value_typeEPNSK_ISF_E10value_typeEPSG_NS1_7vsmem_tEENKUlT_SE_SF_SG_E_clIS8_S8_S9_S9_EESD_ST_SE_SF_SG_EUlST_E1_NS1_11comp_targetILNS1_3genE5ELNS1_11target_archE942ELNS1_3gpuE9ELNS1_3repE0EEENS1_36merge_oddeven_config_static_selectorELNS0_4arch9wavefront6targetE0EEEvSF_
	.globl	_ZN7rocprim17ROCPRIM_400000_NS6detail17trampoline_kernelINS0_14default_configENS1_38merge_sort_block_merge_config_selectorIjNS0_10empty_typeEEEZZNS1_27merge_sort_block_merge_implIS3_PjPS5_jNS1_19radix_merge_compareILb0ELb1EjNS0_19identity_decomposerEEEEE10hipError_tT0_T1_T2_jT3_P12ihipStream_tbPNSt15iterator_traitsISE_E10value_typeEPNSK_ISF_E10value_typeEPSG_NS1_7vsmem_tEENKUlT_SE_SF_SG_E_clIS8_S8_S9_S9_EESD_ST_SE_SF_SG_EUlST_E1_NS1_11comp_targetILNS1_3genE5ELNS1_11target_archE942ELNS1_3gpuE9ELNS1_3repE0EEENS1_36merge_oddeven_config_static_selectorELNS0_4arch9wavefront6targetE0EEEvSF_
	.p2align	8
	.type	_ZN7rocprim17ROCPRIM_400000_NS6detail17trampoline_kernelINS0_14default_configENS1_38merge_sort_block_merge_config_selectorIjNS0_10empty_typeEEEZZNS1_27merge_sort_block_merge_implIS3_PjPS5_jNS1_19radix_merge_compareILb0ELb1EjNS0_19identity_decomposerEEEEE10hipError_tT0_T1_T2_jT3_P12ihipStream_tbPNSt15iterator_traitsISE_E10value_typeEPNSK_ISF_E10value_typeEPSG_NS1_7vsmem_tEENKUlT_SE_SF_SG_E_clIS8_S8_S9_S9_EESD_ST_SE_SF_SG_EUlST_E1_NS1_11comp_targetILNS1_3genE5ELNS1_11target_archE942ELNS1_3gpuE9ELNS1_3repE0EEENS1_36merge_oddeven_config_static_selectorELNS0_4arch9wavefront6targetE0EEEvSF_,@function
_ZN7rocprim17ROCPRIM_400000_NS6detail17trampoline_kernelINS0_14default_configENS1_38merge_sort_block_merge_config_selectorIjNS0_10empty_typeEEEZZNS1_27merge_sort_block_merge_implIS3_PjPS5_jNS1_19radix_merge_compareILb0ELb1EjNS0_19identity_decomposerEEEEE10hipError_tT0_T1_T2_jT3_P12ihipStream_tbPNSt15iterator_traitsISE_E10value_typeEPNSK_ISF_E10value_typeEPSG_NS1_7vsmem_tEENKUlT_SE_SF_SG_E_clIS8_S8_S9_S9_EESD_ST_SE_SF_SG_EUlST_E1_NS1_11comp_targetILNS1_3genE5ELNS1_11target_archE942ELNS1_3gpuE9ELNS1_3repE0EEENS1_36merge_oddeven_config_static_selectorELNS0_4arch9wavefront6targetE0EEEvSF_: ; @_ZN7rocprim17ROCPRIM_400000_NS6detail17trampoline_kernelINS0_14default_configENS1_38merge_sort_block_merge_config_selectorIjNS0_10empty_typeEEEZZNS1_27merge_sort_block_merge_implIS3_PjPS5_jNS1_19radix_merge_compareILb0ELb1EjNS0_19identity_decomposerEEEEE10hipError_tT0_T1_T2_jT3_P12ihipStream_tbPNSt15iterator_traitsISE_E10value_typeEPNSK_ISF_E10value_typeEPSG_NS1_7vsmem_tEENKUlT_SE_SF_SG_E_clIS8_S8_S9_S9_EESD_ST_SE_SF_SG_EUlST_E1_NS1_11comp_targetILNS1_3genE5ELNS1_11target_archE942ELNS1_3gpuE9ELNS1_3repE0EEENS1_36merge_oddeven_config_static_selectorELNS0_4arch9wavefront6targetE0EEEvSF_
; %bb.0:
	.section	.rodata,"a",@progbits
	.p2align	6, 0x0
	.amdhsa_kernel _ZN7rocprim17ROCPRIM_400000_NS6detail17trampoline_kernelINS0_14default_configENS1_38merge_sort_block_merge_config_selectorIjNS0_10empty_typeEEEZZNS1_27merge_sort_block_merge_implIS3_PjPS5_jNS1_19radix_merge_compareILb0ELb1EjNS0_19identity_decomposerEEEEE10hipError_tT0_T1_T2_jT3_P12ihipStream_tbPNSt15iterator_traitsISE_E10value_typeEPNSK_ISF_E10value_typeEPSG_NS1_7vsmem_tEENKUlT_SE_SF_SG_E_clIS8_S8_S9_S9_EESD_ST_SE_SF_SG_EUlST_E1_NS1_11comp_targetILNS1_3genE5ELNS1_11target_archE942ELNS1_3gpuE9ELNS1_3repE0EEENS1_36merge_oddeven_config_static_selectorELNS0_4arch9wavefront6targetE0EEEvSF_
		.amdhsa_group_segment_fixed_size 0
		.amdhsa_private_segment_fixed_size 0
		.amdhsa_kernarg_size 48
		.amdhsa_user_sgpr_count 2
		.amdhsa_user_sgpr_dispatch_ptr 0
		.amdhsa_user_sgpr_queue_ptr 0
		.amdhsa_user_sgpr_kernarg_segment_ptr 1
		.amdhsa_user_sgpr_dispatch_id 0
		.amdhsa_user_sgpr_kernarg_preload_length 0
		.amdhsa_user_sgpr_kernarg_preload_offset 0
		.amdhsa_user_sgpr_private_segment_size 0
		.amdhsa_wavefront_size32 1
		.amdhsa_uses_dynamic_stack 0
		.amdhsa_enable_private_segment 0
		.amdhsa_system_sgpr_workgroup_id_x 1
		.amdhsa_system_sgpr_workgroup_id_y 0
		.amdhsa_system_sgpr_workgroup_id_z 0
		.amdhsa_system_sgpr_workgroup_info 0
		.amdhsa_system_vgpr_workitem_id 0
		.amdhsa_next_free_vgpr 1
		.amdhsa_next_free_sgpr 1
		.amdhsa_named_barrier_count 0
		.amdhsa_reserve_vcc 0
		.amdhsa_float_round_mode_32 0
		.amdhsa_float_round_mode_16_64 0
		.amdhsa_float_denorm_mode_32 3
		.amdhsa_float_denorm_mode_16_64 3
		.amdhsa_fp16_overflow 0
		.amdhsa_memory_ordered 1
		.amdhsa_forward_progress 1
		.amdhsa_inst_pref_size 0
		.amdhsa_round_robin_scheduling 0
		.amdhsa_exception_fp_ieee_invalid_op 0
		.amdhsa_exception_fp_denorm_src 0
		.amdhsa_exception_fp_ieee_div_zero 0
		.amdhsa_exception_fp_ieee_overflow 0
		.amdhsa_exception_fp_ieee_underflow 0
		.amdhsa_exception_fp_ieee_inexact 0
		.amdhsa_exception_int_div_zero 0
	.end_amdhsa_kernel
	.section	.text._ZN7rocprim17ROCPRIM_400000_NS6detail17trampoline_kernelINS0_14default_configENS1_38merge_sort_block_merge_config_selectorIjNS0_10empty_typeEEEZZNS1_27merge_sort_block_merge_implIS3_PjPS5_jNS1_19radix_merge_compareILb0ELb1EjNS0_19identity_decomposerEEEEE10hipError_tT0_T1_T2_jT3_P12ihipStream_tbPNSt15iterator_traitsISE_E10value_typeEPNSK_ISF_E10value_typeEPSG_NS1_7vsmem_tEENKUlT_SE_SF_SG_E_clIS8_S8_S9_S9_EESD_ST_SE_SF_SG_EUlST_E1_NS1_11comp_targetILNS1_3genE5ELNS1_11target_archE942ELNS1_3gpuE9ELNS1_3repE0EEENS1_36merge_oddeven_config_static_selectorELNS0_4arch9wavefront6targetE0EEEvSF_,"axG",@progbits,_ZN7rocprim17ROCPRIM_400000_NS6detail17trampoline_kernelINS0_14default_configENS1_38merge_sort_block_merge_config_selectorIjNS0_10empty_typeEEEZZNS1_27merge_sort_block_merge_implIS3_PjPS5_jNS1_19radix_merge_compareILb0ELb1EjNS0_19identity_decomposerEEEEE10hipError_tT0_T1_T2_jT3_P12ihipStream_tbPNSt15iterator_traitsISE_E10value_typeEPNSK_ISF_E10value_typeEPSG_NS1_7vsmem_tEENKUlT_SE_SF_SG_E_clIS8_S8_S9_S9_EESD_ST_SE_SF_SG_EUlST_E1_NS1_11comp_targetILNS1_3genE5ELNS1_11target_archE942ELNS1_3gpuE9ELNS1_3repE0EEENS1_36merge_oddeven_config_static_selectorELNS0_4arch9wavefront6targetE0EEEvSF_,comdat
.Lfunc_end2720:
	.size	_ZN7rocprim17ROCPRIM_400000_NS6detail17trampoline_kernelINS0_14default_configENS1_38merge_sort_block_merge_config_selectorIjNS0_10empty_typeEEEZZNS1_27merge_sort_block_merge_implIS3_PjPS5_jNS1_19radix_merge_compareILb0ELb1EjNS0_19identity_decomposerEEEEE10hipError_tT0_T1_T2_jT3_P12ihipStream_tbPNSt15iterator_traitsISE_E10value_typeEPNSK_ISF_E10value_typeEPSG_NS1_7vsmem_tEENKUlT_SE_SF_SG_E_clIS8_S8_S9_S9_EESD_ST_SE_SF_SG_EUlST_E1_NS1_11comp_targetILNS1_3genE5ELNS1_11target_archE942ELNS1_3gpuE9ELNS1_3repE0EEENS1_36merge_oddeven_config_static_selectorELNS0_4arch9wavefront6targetE0EEEvSF_, .Lfunc_end2720-_ZN7rocprim17ROCPRIM_400000_NS6detail17trampoline_kernelINS0_14default_configENS1_38merge_sort_block_merge_config_selectorIjNS0_10empty_typeEEEZZNS1_27merge_sort_block_merge_implIS3_PjPS5_jNS1_19radix_merge_compareILb0ELb1EjNS0_19identity_decomposerEEEEE10hipError_tT0_T1_T2_jT3_P12ihipStream_tbPNSt15iterator_traitsISE_E10value_typeEPNSK_ISF_E10value_typeEPSG_NS1_7vsmem_tEENKUlT_SE_SF_SG_E_clIS8_S8_S9_S9_EESD_ST_SE_SF_SG_EUlST_E1_NS1_11comp_targetILNS1_3genE5ELNS1_11target_archE942ELNS1_3gpuE9ELNS1_3repE0EEENS1_36merge_oddeven_config_static_selectorELNS0_4arch9wavefront6targetE0EEEvSF_
                                        ; -- End function
	.set _ZN7rocprim17ROCPRIM_400000_NS6detail17trampoline_kernelINS0_14default_configENS1_38merge_sort_block_merge_config_selectorIjNS0_10empty_typeEEEZZNS1_27merge_sort_block_merge_implIS3_PjPS5_jNS1_19radix_merge_compareILb0ELb1EjNS0_19identity_decomposerEEEEE10hipError_tT0_T1_T2_jT3_P12ihipStream_tbPNSt15iterator_traitsISE_E10value_typeEPNSK_ISF_E10value_typeEPSG_NS1_7vsmem_tEENKUlT_SE_SF_SG_E_clIS8_S8_S9_S9_EESD_ST_SE_SF_SG_EUlST_E1_NS1_11comp_targetILNS1_3genE5ELNS1_11target_archE942ELNS1_3gpuE9ELNS1_3repE0EEENS1_36merge_oddeven_config_static_selectorELNS0_4arch9wavefront6targetE0EEEvSF_.num_vgpr, 0
	.set _ZN7rocprim17ROCPRIM_400000_NS6detail17trampoline_kernelINS0_14default_configENS1_38merge_sort_block_merge_config_selectorIjNS0_10empty_typeEEEZZNS1_27merge_sort_block_merge_implIS3_PjPS5_jNS1_19radix_merge_compareILb0ELb1EjNS0_19identity_decomposerEEEEE10hipError_tT0_T1_T2_jT3_P12ihipStream_tbPNSt15iterator_traitsISE_E10value_typeEPNSK_ISF_E10value_typeEPSG_NS1_7vsmem_tEENKUlT_SE_SF_SG_E_clIS8_S8_S9_S9_EESD_ST_SE_SF_SG_EUlST_E1_NS1_11comp_targetILNS1_3genE5ELNS1_11target_archE942ELNS1_3gpuE9ELNS1_3repE0EEENS1_36merge_oddeven_config_static_selectorELNS0_4arch9wavefront6targetE0EEEvSF_.num_agpr, 0
	.set _ZN7rocprim17ROCPRIM_400000_NS6detail17trampoline_kernelINS0_14default_configENS1_38merge_sort_block_merge_config_selectorIjNS0_10empty_typeEEEZZNS1_27merge_sort_block_merge_implIS3_PjPS5_jNS1_19radix_merge_compareILb0ELb1EjNS0_19identity_decomposerEEEEE10hipError_tT0_T1_T2_jT3_P12ihipStream_tbPNSt15iterator_traitsISE_E10value_typeEPNSK_ISF_E10value_typeEPSG_NS1_7vsmem_tEENKUlT_SE_SF_SG_E_clIS8_S8_S9_S9_EESD_ST_SE_SF_SG_EUlST_E1_NS1_11comp_targetILNS1_3genE5ELNS1_11target_archE942ELNS1_3gpuE9ELNS1_3repE0EEENS1_36merge_oddeven_config_static_selectorELNS0_4arch9wavefront6targetE0EEEvSF_.numbered_sgpr, 0
	.set _ZN7rocprim17ROCPRIM_400000_NS6detail17trampoline_kernelINS0_14default_configENS1_38merge_sort_block_merge_config_selectorIjNS0_10empty_typeEEEZZNS1_27merge_sort_block_merge_implIS3_PjPS5_jNS1_19radix_merge_compareILb0ELb1EjNS0_19identity_decomposerEEEEE10hipError_tT0_T1_T2_jT3_P12ihipStream_tbPNSt15iterator_traitsISE_E10value_typeEPNSK_ISF_E10value_typeEPSG_NS1_7vsmem_tEENKUlT_SE_SF_SG_E_clIS8_S8_S9_S9_EESD_ST_SE_SF_SG_EUlST_E1_NS1_11comp_targetILNS1_3genE5ELNS1_11target_archE942ELNS1_3gpuE9ELNS1_3repE0EEENS1_36merge_oddeven_config_static_selectorELNS0_4arch9wavefront6targetE0EEEvSF_.num_named_barrier, 0
	.set _ZN7rocprim17ROCPRIM_400000_NS6detail17trampoline_kernelINS0_14default_configENS1_38merge_sort_block_merge_config_selectorIjNS0_10empty_typeEEEZZNS1_27merge_sort_block_merge_implIS3_PjPS5_jNS1_19radix_merge_compareILb0ELb1EjNS0_19identity_decomposerEEEEE10hipError_tT0_T1_T2_jT3_P12ihipStream_tbPNSt15iterator_traitsISE_E10value_typeEPNSK_ISF_E10value_typeEPSG_NS1_7vsmem_tEENKUlT_SE_SF_SG_E_clIS8_S8_S9_S9_EESD_ST_SE_SF_SG_EUlST_E1_NS1_11comp_targetILNS1_3genE5ELNS1_11target_archE942ELNS1_3gpuE9ELNS1_3repE0EEENS1_36merge_oddeven_config_static_selectorELNS0_4arch9wavefront6targetE0EEEvSF_.private_seg_size, 0
	.set _ZN7rocprim17ROCPRIM_400000_NS6detail17trampoline_kernelINS0_14default_configENS1_38merge_sort_block_merge_config_selectorIjNS0_10empty_typeEEEZZNS1_27merge_sort_block_merge_implIS3_PjPS5_jNS1_19radix_merge_compareILb0ELb1EjNS0_19identity_decomposerEEEEE10hipError_tT0_T1_T2_jT3_P12ihipStream_tbPNSt15iterator_traitsISE_E10value_typeEPNSK_ISF_E10value_typeEPSG_NS1_7vsmem_tEENKUlT_SE_SF_SG_E_clIS8_S8_S9_S9_EESD_ST_SE_SF_SG_EUlST_E1_NS1_11comp_targetILNS1_3genE5ELNS1_11target_archE942ELNS1_3gpuE9ELNS1_3repE0EEENS1_36merge_oddeven_config_static_selectorELNS0_4arch9wavefront6targetE0EEEvSF_.uses_vcc, 0
	.set _ZN7rocprim17ROCPRIM_400000_NS6detail17trampoline_kernelINS0_14default_configENS1_38merge_sort_block_merge_config_selectorIjNS0_10empty_typeEEEZZNS1_27merge_sort_block_merge_implIS3_PjPS5_jNS1_19radix_merge_compareILb0ELb1EjNS0_19identity_decomposerEEEEE10hipError_tT0_T1_T2_jT3_P12ihipStream_tbPNSt15iterator_traitsISE_E10value_typeEPNSK_ISF_E10value_typeEPSG_NS1_7vsmem_tEENKUlT_SE_SF_SG_E_clIS8_S8_S9_S9_EESD_ST_SE_SF_SG_EUlST_E1_NS1_11comp_targetILNS1_3genE5ELNS1_11target_archE942ELNS1_3gpuE9ELNS1_3repE0EEENS1_36merge_oddeven_config_static_selectorELNS0_4arch9wavefront6targetE0EEEvSF_.uses_flat_scratch, 0
	.set _ZN7rocprim17ROCPRIM_400000_NS6detail17trampoline_kernelINS0_14default_configENS1_38merge_sort_block_merge_config_selectorIjNS0_10empty_typeEEEZZNS1_27merge_sort_block_merge_implIS3_PjPS5_jNS1_19radix_merge_compareILb0ELb1EjNS0_19identity_decomposerEEEEE10hipError_tT0_T1_T2_jT3_P12ihipStream_tbPNSt15iterator_traitsISE_E10value_typeEPNSK_ISF_E10value_typeEPSG_NS1_7vsmem_tEENKUlT_SE_SF_SG_E_clIS8_S8_S9_S9_EESD_ST_SE_SF_SG_EUlST_E1_NS1_11comp_targetILNS1_3genE5ELNS1_11target_archE942ELNS1_3gpuE9ELNS1_3repE0EEENS1_36merge_oddeven_config_static_selectorELNS0_4arch9wavefront6targetE0EEEvSF_.has_dyn_sized_stack, 0
	.set _ZN7rocprim17ROCPRIM_400000_NS6detail17trampoline_kernelINS0_14default_configENS1_38merge_sort_block_merge_config_selectorIjNS0_10empty_typeEEEZZNS1_27merge_sort_block_merge_implIS3_PjPS5_jNS1_19radix_merge_compareILb0ELb1EjNS0_19identity_decomposerEEEEE10hipError_tT0_T1_T2_jT3_P12ihipStream_tbPNSt15iterator_traitsISE_E10value_typeEPNSK_ISF_E10value_typeEPSG_NS1_7vsmem_tEENKUlT_SE_SF_SG_E_clIS8_S8_S9_S9_EESD_ST_SE_SF_SG_EUlST_E1_NS1_11comp_targetILNS1_3genE5ELNS1_11target_archE942ELNS1_3gpuE9ELNS1_3repE0EEENS1_36merge_oddeven_config_static_selectorELNS0_4arch9wavefront6targetE0EEEvSF_.has_recursion, 0
	.set _ZN7rocprim17ROCPRIM_400000_NS6detail17trampoline_kernelINS0_14default_configENS1_38merge_sort_block_merge_config_selectorIjNS0_10empty_typeEEEZZNS1_27merge_sort_block_merge_implIS3_PjPS5_jNS1_19radix_merge_compareILb0ELb1EjNS0_19identity_decomposerEEEEE10hipError_tT0_T1_T2_jT3_P12ihipStream_tbPNSt15iterator_traitsISE_E10value_typeEPNSK_ISF_E10value_typeEPSG_NS1_7vsmem_tEENKUlT_SE_SF_SG_E_clIS8_S8_S9_S9_EESD_ST_SE_SF_SG_EUlST_E1_NS1_11comp_targetILNS1_3genE5ELNS1_11target_archE942ELNS1_3gpuE9ELNS1_3repE0EEENS1_36merge_oddeven_config_static_selectorELNS0_4arch9wavefront6targetE0EEEvSF_.has_indirect_call, 0
	.section	.AMDGPU.csdata,"",@progbits
; Kernel info:
; codeLenInByte = 0
; TotalNumSgprs: 0
; NumVgprs: 0
; ScratchSize: 0
; MemoryBound: 0
; FloatMode: 240
; IeeeMode: 1
; LDSByteSize: 0 bytes/workgroup (compile time only)
; SGPRBlocks: 0
; VGPRBlocks: 0
; NumSGPRsForWavesPerEU: 1
; NumVGPRsForWavesPerEU: 1
; NamedBarCnt: 0
; Occupancy: 16
; WaveLimiterHint : 0
; COMPUTE_PGM_RSRC2:SCRATCH_EN: 0
; COMPUTE_PGM_RSRC2:USER_SGPR: 2
; COMPUTE_PGM_RSRC2:TRAP_HANDLER: 0
; COMPUTE_PGM_RSRC2:TGID_X_EN: 1
; COMPUTE_PGM_RSRC2:TGID_Y_EN: 0
; COMPUTE_PGM_RSRC2:TGID_Z_EN: 0
; COMPUTE_PGM_RSRC2:TIDIG_COMP_CNT: 0
	.section	.text._ZN7rocprim17ROCPRIM_400000_NS6detail17trampoline_kernelINS0_14default_configENS1_38merge_sort_block_merge_config_selectorIjNS0_10empty_typeEEEZZNS1_27merge_sort_block_merge_implIS3_PjPS5_jNS1_19radix_merge_compareILb0ELb1EjNS0_19identity_decomposerEEEEE10hipError_tT0_T1_T2_jT3_P12ihipStream_tbPNSt15iterator_traitsISE_E10value_typeEPNSK_ISF_E10value_typeEPSG_NS1_7vsmem_tEENKUlT_SE_SF_SG_E_clIS8_S8_S9_S9_EESD_ST_SE_SF_SG_EUlST_E1_NS1_11comp_targetILNS1_3genE4ELNS1_11target_archE910ELNS1_3gpuE8ELNS1_3repE0EEENS1_36merge_oddeven_config_static_selectorELNS0_4arch9wavefront6targetE0EEEvSF_,"axG",@progbits,_ZN7rocprim17ROCPRIM_400000_NS6detail17trampoline_kernelINS0_14default_configENS1_38merge_sort_block_merge_config_selectorIjNS0_10empty_typeEEEZZNS1_27merge_sort_block_merge_implIS3_PjPS5_jNS1_19radix_merge_compareILb0ELb1EjNS0_19identity_decomposerEEEEE10hipError_tT0_T1_T2_jT3_P12ihipStream_tbPNSt15iterator_traitsISE_E10value_typeEPNSK_ISF_E10value_typeEPSG_NS1_7vsmem_tEENKUlT_SE_SF_SG_E_clIS8_S8_S9_S9_EESD_ST_SE_SF_SG_EUlST_E1_NS1_11comp_targetILNS1_3genE4ELNS1_11target_archE910ELNS1_3gpuE8ELNS1_3repE0EEENS1_36merge_oddeven_config_static_selectorELNS0_4arch9wavefront6targetE0EEEvSF_,comdat
	.protected	_ZN7rocprim17ROCPRIM_400000_NS6detail17trampoline_kernelINS0_14default_configENS1_38merge_sort_block_merge_config_selectorIjNS0_10empty_typeEEEZZNS1_27merge_sort_block_merge_implIS3_PjPS5_jNS1_19radix_merge_compareILb0ELb1EjNS0_19identity_decomposerEEEEE10hipError_tT0_T1_T2_jT3_P12ihipStream_tbPNSt15iterator_traitsISE_E10value_typeEPNSK_ISF_E10value_typeEPSG_NS1_7vsmem_tEENKUlT_SE_SF_SG_E_clIS8_S8_S9_S9_EESD_ST_SE_SF_SG_EUlST_E1_NS1_11comp_targetILNS1_3genE4ELNS1_11target_archE910ELNS1_3gpuE8ELNS1_3repE0EEENS1_36merge_oddeven_config_static_selectorELNS0_4arch9wavefront6targetE0EEEvSF_ ; -- Begin function _ZN7rocprim17ROCPRIM_400000_NS6detail17trampoline_kernelINS0_14default_configENS1_38merge_sort_block_merge_config_selectorIjNS0_10empty_typeEEEZZNS1_27merge_sort_block_merge_implIS3_PjPS5_jNS1_19radix_merge_compareILb0ELb1EjNS0_19identity_decomposerEEEEE10hipError_tT0_T1_T2_jT3_P12ihipStream_tbPNSt15iterator_traitsISE_E10value_typeEPNSK_ISF_E10value_typeEPSG_NS1_7vsmem_tEENKUlT_SE_SF_SG_E_clIS8_S8_S9_S9_EESD_ST_SE_SF_SG_EUlST_E1_NS1_11comp_targetILNS1_3genE4ELNS1_11target_archE910ELNS1_3gpuE8ELNS1_3repE0EEENS1_36merge_oddeven_config_static_selectorELNS0_4arch9wavefront6targetE0EEEvSF_
	.globl	_ZN7rocprim17ROCPRIM_400000_NS6detail17trampoline_kernelINS0_14default_configENS1_38merge_sort_block_merge_config_selectorIjNS0_10empty_typeEEEZZNS1_27merge_sort_block_merge_implIS3_PjPS5_jNS1_19radix_merge_compareILb0ELb1EjNS0_19identity_decomposerEEEEE10hipError_tT0_T1_T2_jT3_P12ihipStream_tbPNSt15iterator_traitsISE_E10value_typeEPNSK_ISF_E10value_typeEPSG_NS1_7vsmem_tEENKUlT_SE_SF_SG_E_clIS8_S8_S9_S9_EESD_ST_SE_SF_SG_EUlST_E1_NS1_11comp_targetILNS1_3genE4ELNS1_11target_archE910ELNS1_3gpuE8ELNS1_3repE0EEENS1_36merge_oddeven_config_static_selectorELNS0_4arch9wavefront6targetE0EEEvSF_
	.p2align	8
	.type	_ZN7rocprim17ROCPRIM_400000_NS6detail17trampoline_kernelINS0_14default_configENS1_38merge_sort_block_merge_config_selectorIjNS0_10empty_typeEEEZZNS1_27merge_sort_block_merge_implIS3_PjPS5_jNS1_19radix_merge_compareILb0ELb1EjNS0_19identity_decomposerEEEEE10hipError_tT0_T1_T2_jT3_P12ihipStream_tbPNSt15iterator_traitsISE_E10value_typeEPNSK_ISF_E10value_typeEPSG_NS1_7vsmem_tEENKUlT_SE_SF_SG_E_clIS8_S8_S9_S9_EESD_ST_SE_SF_SG_EUlST_E1_NS1_11comp_targetILNS1_3genE4ELNS1_11target_archE910ELNS1_3gpuE8ELNS1_3repE0EEENS1_36merge_oddeven_config_static_selectorELNS0_4arch9wavefront6targetE0EEEvSF_,@function
_ZN7rocprim17ROCPRIM_400000_NS6detail17trampoline_kernelINS0_14default_configENS1_38merge_sort_block_merge_config_selectorIjNS0_10empty_typeEEEZZNS1_27merge_sort_block_merge_implIS3_PjPS5_jNS1_19radix_merge_compareILb0ELb1EjNS0_19identity_decomposerEEEEE10hipError_tT0_T1_T2_jT3_P12ihipStream_tbPNSt15iterator_traitsISE_E10value_typeEPNSK_ISF_E10value_typeEPSG_NS1_7vsmem_tEENKUlT_SE_SF_SG_E_clIS8_S8_S9_S9_EESD_ST_SE_SF_SG_EUlST_E1_NS1_11comp_targetILNS1_3genE4ELNS1_11target_archE910ELNS1_3gpuE8ELNS1_3repE0EEENS1_36merge_oddeven_config_static_selectorELNS0_4arch9wavefront6targetE0EEEvSF_: ; @_ZN7rocprim17ROCPRIM_400000_NS6detail17trampoline_kernelINS0_14default_configENS1_38merge_sort_block_merge_config_selectorIjNS0_10empty_typeEEEZZNS1_27merge_sort_block_merge_implIS3_PjPS5_jNS1_19radix_merge_compareILb0ELb1EjNS0_19identity_decomposerEEEEE10hipError_tT0_T1_T2_jT3_P12ihipStream_tbPNSt15iterator_traitsISE_E10value_typeEPNSK_ISF_E10value_typeEPSG_NS1_7vsmem_tEENKUlT_SE_SF_SG_E_clIS8_S8_S9_S9_EESD_ST_SE_SF_SG_EUlST_E1_NS1_11comp_targetILNS1_3genE4ELNS1_11target_archE910ELNS1_3gpuE8ELNS1_3repE0EEENS1_36merge_oddeven_config_static_selectorELNS0_4arch9wavefront6targetE0EEEvSF_
; %bb.0:
	.section	.rodata,"a",@progbits
	.p2align	6, 0x0
	.amdhsa_kernel _ZN7rocprim17ROCPRIM_400000_NS6detail17trampoline_kernelINS0_14default_configENS1_38merge_sort_block_merge_config_selectorIjNS0_10empty_typeEEEZZNS1_27merge_sort_block_merge_implIS3_PjPS5_jNS1_19radix_merge_compareILb0ELb1EjNS0_19identity_decomposerEEEEE10hipError_tT0_T1_T2_jT3_P12ihipStream_tbPNSt15iterator_traitsISE_E10value_typeEPNSK_ISF_E10value_typeEPSG_NS1_7vsmem_tEENKUlT_SE_SF_SG_E_clIS8_S8_S9_S9_EESD_ST_SE_SF_SG_EUlST_E1_NS1_11comp_targetILNS1_3genE4ELNS1_11target_archE910ELNS1_3gpuE8ELNS1_3repE0EEENS1_36merge_oddeven_config_static_selectorELNS0_4arch9wavefront6targetE0EEEvSF_
		.amdhsa_group_segment_fixed_size 0
		.amdhsa_private_segment_fixed_size 0
		.amdhsa_kernarg_size 48
		.amdhsa_user_sgpr_count 2
		.amdhsa_user_sgpr_dispatch_ptr 0
		.amdhsa_user_sgpr_queue_ptr 0
		.amdhsa_user_sgpr_kernarg_segment_ptr 1
		.amdhsa_user_sgpr_dispatch_id 0
		.amdhsa_user_sgpr_kernarg_preload_length 0
		.amdhsa_user_sgpr_kernarg_preload_offset 0
		.amdhsa_user_sgpr_private_segment_size 0
		.amdhsa_wavefront_size32 1
		.amdhsa_uses_dynamic_stack 0
		.amdhsa_enable_private_segment 0
		.amdhsa_system_sgpr_workgroup_id_x 1
		.amdhsa_system_sgpr_workgroup_id_y 0
		.amdhsa_system_sgpr_workgroup_id_z 0
		.amdhsa_system_sgpr_workgroup_info 0
		.amdhsa_system_vgpr_workitem_id 0
		.amdhsa_next_free_vgpr 1
		.amdhsa_next_free_sgpr 1
		.amdhsa_named_barrier_count 0
		.amdhsa_reserve_vcc 0
		.amdhsa_float_round_mode_32 0
		.amdhsa_float_round_mode_16_64 0
		.amdhsa_float_denorm_mode_32 3
		.amdhsa_float_denorm_mode_16_64 3
		.amdhsa_fp16_overflow 0
		.amdhsa_memory_ordered 1
		.amdhsa_forward_progress 1
		.amdhsa_inst_pref_size 0
		.amdhsa_round_robin_scheduling 0
		.amdhsa_exception_fp_ieee_invalid_op 0
		.amdhsa_exception_fp_denorm_src 0
		.amdhsa_exception_fp_ieee_div_zero 0
		.amdhsa_exception_fp_ieee_overflow 0
		.amdhsa_exception_fp_ieee_underflow 0
		.amdhsa_exception_fp_ieee_inexact 0
		.amdhsa_exception_int_div_zero 0
	.end_amdhsa_kernel
	.section	.text._ZN7rocprim17ROCPRIM_400000_NS6detail17trampoline_kernelINS0_14default_configENS1_38merge_sort_block_merge_config_selectorIjNS0_10empty_typeEEEZZNS1_27merge_sort_block_merge_implIS3_PjPS5_jNS1_19radix_merge_compareILb0ELb1EjNS0_19identity_decomposerEEEEE10hipError_tT0_T1_T2_jT3_P12ihipStream_tbPNSt15iterator_traitsISE_E10value_typeEPNSK_ISF_E10value_typeEPSG_NS1_7vsmem_tEENKUlT_SE_SF_SG_E_clIS8_S8_S9_S9_EESD_ST_SE_SF_SG_EUlST_E1_NS1_11comp_targetILNS1_3genE4ELNS1_11target_archE910ELNS1_3gpuE8ELNS1_3repE0EEENS1_36merge_oddeven_config_static_selectorELNS0_4arch9wavefront6targetE0EEEvSF_,"axG",@progbits,_ZN7rocprim17ROCPRIM_400000_NS6detail17trampoline_kernelINS0_14default_configENS1_38merge_sort_block_merge_config_selectorIjNS0_10empty_typeEEEZZNS1_27merge_sort_block_merge_implIS3_PjPS5_jNS1_19radix_merge_compareILb0ELb1EjNS0_19identity_decomposerEEEEE10hipError_tT0_T1_T2_jT3_P12ihipStream_tbPNSt15iterator_traitsISE_E10value_typeEPNSK_ISF_E10value_typeEPSG_NS1_7vsmem_tEENKUlT_SE_SF_SG_E_clIS8_S8_S9_S9_EESD_ST_SE_SF_SG_EUlST_E1_NS1_11comp_targetILNS1_3genE4ELNS1_11target_archE910ELNS1_3gpuE8ELNS1_3repE0EEENS1_36merge_oddeven_config_static_selectorELNS0_4arch9wavefront6targetE0EEEvSF_,comdat
.Lfunc_end2721:
	.size	_ZN7rocprim17ROCPRIM_400000_NS6detail17trampoline_kernelINS0_14default_configENS1_38merge_sort_block_merge_config_selectorIjNS0_10empty_typeEEEZZNS1_27merge_sort_block_merge_implIS3_PjPS5_jNS1_19radix_merge_compareILb0ELb1EjNS0_19identity_decomposerEEEEE10hipError_tT0_T1_T2_jT3_P12ihipStream_tbPNSt15iterator_traitsISE_E10value_typeEPNSK_ISF_E10value_typeEPSG_NS1_7vsmem_tEENKUlT_SE_SF_SG_E_clIS8_S8_S9_S9_EESD_ST_SE_SF_SG_EUlST_E1_NS1_11comp_targetILNS1_3genE4ELNS1_11target_archE910ELNS1_3gpuE8ELNS1_3repE0EEENS1_36merge_oddeven_config_static_selectorELNS0_4arch9wavefront6targetE0EEEvSF_, .Lfunc_end2721-_ZN7rocprim17ROCPRIM_400000_NS6detail17trampoline_kernelINS0_14default_configENS1_38merge_sort_block_merge_config_selectorIjNS0_10empty_typeEEEZZNS1_27merge_sort_block_merge_implIS3_PjPS5_jNS1_19radix_merge_compareILb0ELb1EjNS0_19identity_decomposerEEEEE10hipError_tT0_T1_T2_jT3_P12ihipStream_tbPNSt15iterator_traitsISE_E10value_typeEPNSK_ISF_E10value_typeEPSG_NS1_7vsmem_tEENKUlT_SE_SF_SG_E_clIS8_S8_S9_S9_EESD_ST_SE_SF_SG_EUlST_E1_NS1_11comp_targetILNS1_3genE4ELNS1_11target_archE910ELNS1_3gpuE8ELNS1_3repE0EEENS1_36merge_oddeven_config_static_selectorELNS0_4arch9wavefront6targetE0EEEvSF_
                                        ; -- End function
	.set _ZN7rocprim17ROCPRIM_400000_NS6detail17trampoline_kernelINS0_14default_configENS1_38merge_sort_block_merge_config_selectorIjNS0_10empty_typeEEEZZNS1_27merge_sort_block_merge_implIS3_PjPS5_jNS1_19radix_merge_compareILb0ELb1EjNS0_19identity_decomposerEEEEE10hipError_tT0_T1_T2_jT3_P12ihipStream_tbPNSt15iterator_traitsISE_E10value_typeEPNSK_ISF_E10value_typeEPSG_NS1_7vsmem_tEENKUlT_SE_SF_SG_E_clIS8_S8_S9_S9_EESD_ST_SE_SF_SG_EUlST_E1_NS1_11comp_targetILNS1_3genE4ELNS1_11target_archE910ELNS1_3gpuE8ELNS1_3repE0EEENS1_36merge_oddeven_config_static_selectorELNS0_4arch9wavefront6targetE0EEEvSF_.num_vgpr, 0
	.set _ZN7rocprim17ROCPRIM_400000_NS6detail17trampoline_kernelINS0_14default_configENS1_38merge_sort_block_merge_config_selectorIjNS0_10empty_typeEEEZZNS1_27merge_sort_block_merge_implIS3_PjPS5_jNS1_19radix_merge_compareILb0ELb1EjNS0_19identity_decomposerEEEEE10hipError_tT0_T1_T2_jT3_P12ihipStream_tbPNSt15iterator_traitsISE_E10value_typeEPNSK_ISF_E10value_typeEPSG_NS1_7vsmem_tEENKUlT_SE_SF_SG_E_clIS8_S8_S9_S9_EESD_ST_SE_SF_SG_EUlST_E1_NS1_11comp_targetILNS1_3genE4ELNS1_11target_archE910ELNS1_3gpuE8ELNS1_3repE0EEENS1_36merge_oddeven_config_static_selectorELNS0_4arch9wavefront6targetE0EEEvSF_.num_agpr, 0
	.set _ZN7rocprim17ROCPRIM_400000_NS6detail17trampoline_kernelINS0_14default_configENS1_38merge_sort_block_merge_config_selectorIjNS0_10empty_typeEEEZZNS1_27merge_sort_block_merge_implIS3_PjPS5_jNS1_19radix_merge_compareILb0ELb1EjNS0_19identity_decomposerEEEEE10hipError_tT0_T1_T2_jT3_P12ihipStream_tbPNSt15iterator_traitsISE_E10value_typeEPNSK_ISF_E10value_typeEPSG_NS1_7vsmem_tEENKUlT_SE_SF_SG_E_clIS8_S8_S9_S9_EESD_ST_SE_SF_SG_EUlST_E1_NS1_11comp_targetILNS1_3genE4ELNS1_11target_archE910ELNS1_3gpuE8ELNS1_3repE0EEENS1_36merge_oddeven_config_static_selectorELNS0_4arch9wavefront6targetE0EEEvSF_.numbered_sgpr, 0
	.set _ZN7rocprim17ROCPRIM_400000_NS6detail17trampoline_kernelINS0_14default_configENS1_38merge_sort_block_merge_config_selectorIjNS0_10empty_typeEEEZZNS1_27merge_sort_block_merge_implIS3_PjPS5_jNS1_19radix_merge_compareILb0ELb1EjNS0_19identity_decomposerEEEEE10hipError_tT0_T1_T2_jT3_P12ihipStream_tbPNSt15iterator_traitsISE_E10value_typeEPNSK_ISF_E10value_typeEPSG_NS1_7vsmem_tEENKUlT_SE_SF_SG_E_clIS8_S8_S9_S9_EESD_ST_SE_SF_SG_EUlST_E1_NS1_11comp_targetILNS1_3genE4ELNS1_11target_archE910ELNS1_3gpuE8ELNS1_3repE0EEENS1_36merge_oddeven_config_static_selectorELNS0_4arch9wavefront6targetE0EEEvSF_.num_named_barrier, 0
	.set _ZN7rocprim17ROCPRIM_400000_NS6detail17trampoline_kernelINS0_14default_configENS1_38merge_sort_block_merge_config_selectorIjNS0_10empty_typeEEEZZNS1_27merge_sort_block_merge_implIS3_PjPS5_jNS1_19radix_merge_compareILb0ELb1EjNS0_19identity_decomposerEEEEE10hipError_tT0_T1_T2_jT3_P12ihipStream_tbPNSt15iterator_traitsISE_E10value_typeEPNSK_ISF_E10value_typeEPSG_NS1_7vsmem_tEENKUlT_SE_SF_SG_E_clIS8_S8_S9_S9_EESD_ST_SE_SF_SG_EUlST_E1_NS1_11comp_targetILNS1_3genE4ELNS1_11target_archE910ELNS1_3gpuE8ELNS1_3repE0EEENS1_36merge_oddeven_config_static_selectorELNS0_4arch9wavefront6targetE0EEEvSF_.private_seg_size, 0
	.set _ZN7rocprim17ROCPRIM_400000_NS6detail17trampoline_kernelINS0_14default_configENS1_38merge_sort_block_merge_config_selectorIjNS0_10empty_typeEEEZZNS1_27merge_sort_block_merge_implIS3_PjPS5_jNS1_19radix_merge_compareILb0ELb1EjNS0_19identity_decomposerEEEEE10hipError_tT0_T1_T2_jT3_P12ihipStream_tbPNSt15iterator_traitsISE_E10value_typeEPNSK_ISF_E10value_typeEPSG_NS1_7vsmem_tEENKUlT_SE_SF_SG_E_clIS8_S8_S9_S9_EESD_ST_SE_SF_SG_EUlST_E1_NS1_11comp_targetILNS1_3genE4ELNS1_11target_archE910ELNS1_3gpuE8ELNS1_3repE0EEENS1_36merge_oddeven_config_static_selectorELNS0_4arch9wavefront6targetE0EEEvSF_.uses_vcc, 0
	.set _ZN7rocprim17ROCPRIM_400000_NS6detail17trampoline_kernelINS0_14default_configENS1_38merge_sort_block_merge_config_selectorIjNS0_10empty_typeEEEZZNS1_27merge_sort_block_merge_implIS3_PjPS5_jNS1_19radix_merge_compareILb0ELb1EjNS0_19identity_decomposerEEEEE10hipError_tT0_T1_T2_jT3_P12ihipStream_tbPNSt15iterator_traitsISE_E10value_typeEPNSK_ISF_E10value_typeEPSG_NS1_7vsmem_tEENKUlT_SE_SF_SG_E_clIS8_S8_S9_S9_EESD_ST_SE_SF_SG_EUlST_E1_NS1_11comp_targetILNS1_3genE4ELNS1_11target_archE910ELNS1_3gpuE8ELNS1_3repE0EEENS1_36merge_oddeven_config_static_selectorELNS0_4arch9wavefront6targetE0EEEvSF_.uses_flat_scratch, 0
	.set _ZN7rocprim17ROCPRIM_400000_NS6detail17trampoline_kernelINS0_14default_configENS1_38merge_sort_block_merge_config_selectorIjNS0_10empty_typeEEEZZNS1_27merge_sort_block_merge_implIS3_PjPS5_jNS1_19radix_merge_compareILb0ELb1EjNS0_19identity_decomposerEEEEE10hipError_tT0_T1_T2_jT3_P12ihipStream_tbPNSt15iterator_traitsISE_E10value_typeEPNSK_ISF_E10value_typeEPSG_NS1_7vsmem_tEENKUlT_SE_SF_SG_E_clIS8_S8_S9_S9_EESD_ST_SE_SF_SG_EUlST_E1_NS1_11comp_targetILNS1_3genE4ELNS1_11target_archE910ELNS1_3gpuE8ELNS1_3repE0EEENS1_36merge_oddeven_config_static_selectorELNS0_4arch9wavefront6targetE0EEEvSF_.has_dyn_sized_stack, 0
	.set _ZN7rocprim17ROCPRIM_400000_NS6detail17trampoline_kernelINS0_14default_configENS1_38merge_sort_block_merge_config_selectorIjNS0_10empty_typeEEEZZNS1_27merge_sort_block_merge_implIS3_PjPS5_jNS1_19radix_merge_compareILb0ELb1EjNS0_19identity_decomposerEEEEE10hipError_tT0_T1_T2_jT3_P12ihipStream_tbPNSt15iterator_traitsISE_E10value_typeEPNSK_ISF_E10value_typeEPSG_NS1_7vsmem_tEENKUlT_SE_SF_SG_E_clIS8_S8_S9_S9_EESD_ST_SE_SF_SG_EUlST_E1_NS1_11comp_targetILNS1_3genE4ELNS1_11target_archE910ELNS1_3gpuE8ELNS1_3repE0EEENS1_36merge_oddeven_config_static_selectorELNS0_4arch9wavefront6targetE0EEEvSF_.has_recursion, 0
	.set _ZN7rocprim17ROCPRIM_400000_NS6detail17trampoline_kernelINS0_14default_configENS1_38merge_sort_block_merge_config_selectorIjNS0_10empty_typeEEEZZNS1_27merge_sort_block_merge_implIS3_PjPS5_jNS1_19radix_merge_compareILb0ELb1EjNS0_19identity_decomposerEEEEE10hipError_tT0_T1_T2_jT3_P12ihipStream_tbPNSt15iterator_traitsISE_E10value_typeEPNSK_ISF_E10value_typeEPSG_NS1_7vsmem_tEENKUlT_SE_SF_SG_E_clIS8_S8_S9_S9_EESD_ST_SE_SF_SG_EUlST_E1_NS1_11comp_targetILNS1_3genE4ELNS1_11target_archE910ELNS1_3gpuE8ELNS1_3repE0EEENS1_36merge_oddeven_config_static_selectorELNS0_4arch9wavefront6targetE0EEEvSF_.has_indirect_call, 0
	.section	.AMDGPU.csdata,"",@progbits
; Kernel info:
; codeLenInByte = 0
; TotalNumSgprs: 0
; NumVgprs: 0
; ScratchSize: 0
; MemoryBound: 0
; FloatMode: 240
; IeeeMode: 1
; LDSByteSize: 0 bytes/workgroup (compile time only)
; SGPRBlocks: 0
; VGPRBlocks: 0
; NumSGPRsForWavesPerEU: 1
; NumVGPRsForWavesPerEU: 1
; NamedBarCnt: 0
; Occupancy: 16
; WaveLimiterHint : 0
; COMPUTE_PGM_RSRC2:SCRATCH_EN: 0
; COMPUTE_PGM_RSRC2:USER_SGPR: 2
; COMPUTE_PGM_RSRC2:TRAP_HANDLER: 0
; COMPUTE_PGM_RSRC2:TGID_X_EN: 1
; COMPUTE_PGM_RSRC2:TGID_Y_EN: 0
; COMPUTE_PGM_RSRC2:TGID_Z_EN: 0
; COMPUTE_PGM_RSRC2:TIDIG_COMP_CNT: 0
	.section	.text._ZN7rocprim17ROCPRIM_400000_NS6detail17trampoline_kernelINS0_14default_configENS1_38merge_sort_block_merge_config_selectorIjNS0_10empty_typeEEEZZNS1_27merge_sort_block_merge_implIS3_PjPS5_jNS1_19radix_merge_compareILb0ELb1EjNS0_19identity_decomposerEEEEE10hipError_tT0_T1_T2_jT3_P12ihipStream_tbPNSt15iterator_traitsISE_E10value_typeEPNSK_ISF_E10value_typeEPSG_NS1_7vsmem_tEENKUlT_SE_SF_SG_E_clIS8_S8_S9_S9_EESD_ST_SE_SF_SG_EUlST_E1_NS1_11comp_targetILNS1_3genE3ELNS1_11target_archE908ELNS1_3gpuE7ELNS1_3repE0EEENS1_36merge_oddeven_config_static_selectorELNS0_4arch9wavefront6targetE0EEEvSF_,"axG",@progbits,_ZN7rocprim17ROCPRIM_400000_NS6detail17trampoline_kernelINS0_14default_configENS1_38merge_sort_block_merge_config_selectorIjNS0_10empty_typeEEEZZNS1_27merge_sort_block_merge_implIS3_PjPS5_jNS1_19radix_merge_compareILb0ELb1EjNS0_19identity_decomposerEEEEE10hipError_tT0_T1_T2_jT3_P12ihipStream_tbPNSt15iterator_traitsISE_E10value_typeEPNSK_ISF_E10value_typeEPSG_NS1_7vsmem_tEENKUlT_SE_SF_SG_E_clIS8_S8_S9_S9_EESD_ST_SE_SF_SG_EUlST_E1_NS1_11comp_targetILNS1_3genE3ELNS1_11target_archE908ELNS1_3gpuE7ELNS1_3repE0EEENS1_36merge_oddeven_config_static_selectorELNS0_4arch9wavefront6targetE0EEEvSF_,comdat
	.protected	_ZN7rocprim17ROCPRIM_400000_NS6detail17trampoline_kernelINS0_14default_configENS1_38merge_sort_block_merge_config_selectorIjNS0_10empty_typeEEEZZNS1_27merge_sort_block_merge_implIS3_PjPS5_jNS1_19radix_merge_compareILb0ELb1EjNS0_19identity_decomposerEEEEE10hipError_tT0_T1_T2_jT3_P12ihipStream_tbPNSt15iterator_traitsISE_E10value_typeEPNSK_ISF_E10value_typeEPSG_NS1_7vsmem_tEENKUlT_SE_SF_SG_E_clIS8_S8_S9_S9_EESD_ST_SE_SF_SG_EUlST_E1_NS1_11comp_targetILNS1_3genE3ELNS1_11target_archE908ELNS1_3gpuE7ELNS1_3repE0EEENS1_36merge_oddeven_config_static_selectorELNS0_4arch9wavefront6targetE0EEEvSF_ ; -- Begin function _ZN7rocprim17ROCPRIM_400000_NS6detail17trampoline_kernelINS0_14default_configENS1_38merge_sort_block_merge_config_selectorIjNS0_10empty_typeEEEZZNS1_27merge_sort_block_merge_implIS3_PjPS5_jNS1_19radix_merge_compareILb0ELb1EjNS0_19identity_decomposerEEEEE10hipError_tT0_T1_T2_jT3_P12ihipStream_tbPNSt15iterator_traitsISE_E10value_typeEPNSK_ISF_E10value_typeEPSG_NS1_7vsmem_tEENKUlT_SE_SF_SG_E_clIS8_S8_S9_S9_EESD_ST_SE_SF_SG_EUlST_E1_NS1_11comp_targetILNS1_3genE3ELNS1_11target_archE908ELNS1_3gpuE7ELNS1_3repE0EEENS1_36merge_oddeven_config_static_selectorELNS0_4arch9wavefront6targetE0EEEvSF_
	.globl	_ZN7rocprim17ROCPRIM_400000_NS6detail17trampoline_kernelINS0_14default_configENS1_38merge_sort_block_merge_config_selectorIjNS0_10empty_typeEEEZZNS1_27merge_sort_block_merge_implIS3_PjPS5_jNS1_19radix_merge_compareILb0ELb1EjNS0_19identity_decomposerEEEEE10hipError_tT0_T1_T2_jT3_P12ihipStream_tbPNSt15iterator_traitsISE_E10value_typeEPNSK_ISF_E10value_typeEPSG_NS1_7vsmem_tEENKUlT_SE_SF_SG_E_clIS8_S8_S9_S9_EESD_ST_SE_SF_SG_EUlST_E1_NS1_11comp_targetILNS1_3genE3ELNS1_11target_archE908ELNS1_3gpuE7ELNS1_3repE0EEENS1_36merge_oddeven_config_static_selectorELNS0_4arch9wavefront6targetE0EEEvSF_
	.p2align	8
	.type	_ZN7rocprim17ROCPRIM_400000_NS6detail17trampoline_kernelINS0_14default_configENS1_38merge_sort_block_merge_config_selectorIjNS0_10empty_typeEEEZZNS1_27merge_sort_block_merge_implIS3_PjPS5_jNS1_19radix_merge_compareILb0ELb1EjNS0_19identity_decomposerEEEEE10hipError_tT0_T1_T2_jT3_P12ihipStream_tbPNSt15iterator_traitsISE_E10value_typeEPNSK_ISF_E10value_typeEPSG_NS1_7vsmem_tEENKUlT_SE_SF_SG_E_clIS8_S8_S9_S9_EESD_ST_SE_SF_SG_EUlST_E1_NS1_11comp_targetILNS1_3genE3ELNS1_11target_archE908ELNS1_3gpuE7ELNS1_3repE0EEENS1_36merge_oddeven_config_static_selectorELNS0_4arch9wavefront6targetE0EEEvSF_,@function
_ZN7rocprim17ROCPRIM_400000_NS6detail17trampoline_kernelINS0_14default_configENS1_38merge_sort_block_merge_config_selectorIjNS0_10empty_typeEEEZZNS1_27merge_sort_block_merge_implIS3_PjPS5_jNS1_19radix_merge_compareILb0ELb1EjNS0_19identity_decomposerEEEEE10hipError_tT0_T1_T2_jT3_P12ihipStream_tbPNSt15iterator_traitsISE_E10value_typeEPNSK_ISF_E10value_typeEPSG_NS1_7vsmem_tEENKUlT_SE_SF_SG_E_clIS8_S8_S9_S9_EESD_ST_SE_SF_SG_EUlST_E1_NS1_11comp_targetILNS1_3genE3ELNS1_11target_archE908ELNS1_3gpuE7ELNS1_3repE0EEENS1_36merge_oddeven_config_static_selectorELNS0_4arch9wavefront6targetE0EEEvSF_: ; @_ZN7rocprim17ROCPRIM_400000_NS6detail17trampoline_kernelINS0_14default_configENS1_38merge_sort_block_merge_config_selectorIjNS0_10empty_typeEEEZZNS1_27merge_sort_block_merge_implIS3_PjPS5_jNS1_19radix_merge_compareILb0ELb1EjNS0_19identity_decomposerEEEEE10hipError_tT0_T1_T2_jT3_P12ihipStream_tbPNSt15iterator_traitsISE_E10value_typeEPNSK_ISF_E10value_typeEPSG_NS1_7vsmem_tEENKUlT_SE_SF_SG_E_clIS8_S8_S9_S9_EESD_ST_SE_SF_SG_EUlST_E1_NS1_11comp_targetILNS1_3genE3ELNS1_11target_archE908ELNS1_3gpuE7ELNS1_3repE0EEENS1_36merge_oddeven_config_static_selectorELNS0_4arch9wavefront6targetE0EEEvSF_
; %bb.0:
	.section	.rodata,"a",@progbits
	.p2align	6, 0x0
	.amdhsa_kernel _ZN7rocprim17ROCPRIM_400000_NS6detail17trampoline_kernelINS0_14default_configENS1_38merge_sort_block_merge_config_selectorIjNS0_10empty_typeEEEZZNS1_27merge_sort_block_merge_implIS3_PjPS5_jNS1_19radix_merge_compareILb0ELb1EjNS0_19identity_decomposerEEEEE10hipError_tT0_T1_T2_jT3_P12ihipStream_tbPNSt15iterator_traitsISE_E10value_typeEPNSK_ISF_E10value_typeEPSG_NS1_7vsmem_tEENKUlT_SE_SF_SG_E_clIS8_S8_S9_S9_EESD_ST_SE_SF_SG_EUlST_E1_NS1_11comp_targetILNS1_3genE3ELNS1_11target_archE908ELNS1_3gpuE7ELNS1_3repE0EEENS1_36merge_oddeven_config_static_selectorELNS0_4arch9wavefront6targetE0EEEvSF_
		.amdhsa_group_segment_fixed_size 0
		.amdhsa_private_segment_fixed_size 0
		.amdhsa_kernarg_size 48
		.amdhsa_user_sgpr_count 2
		.amdhsa_user_sgpr_dispatch_ptr 0
		.amdhsa_user_sgpr_queue_ptr 0
		.amdhsa_user_sgpr_kernarg_segment_ptr 1
		.amdhsa_user_sgpr_dispatch_id 0
		.amdhsa_user_sgpr_kernarg_preload_length 0
		.amdhsa_user_sgpr_kernarg_preload_offset 0
		.amdhsa_user_sgpr_private_segment_size 0
		.amdhsa_wavefront_size32 1
		.amdhsa_uses_dynamic_stack 0
		.amdhsa_enable_private_segment 0
		.amdhsa_system_sgpr_workgroup_id_x 1
		.amdhsa_system_sgpr_workgroup_id_y 0
		.amdhsa_system_sgpr_workgroup_id_z 0
		.amdhsa_system_sgpr_workgroup_info 0
		.amdhsa_system_vgpr_workitem_id 0
		.amdhsa_next_free_vgpr 1
		.amdhsa_next_free_sgpr 1
		.amdhsa_named_barrier_count 0
		.amdhsa_reserve_vcc 0
		.amdhsa_float_round_mode_32 0
		.amdhsa_float_round_mode_16_64 0
		.amdhsa_float_denorm_mode_32 3
		.amdhsa_float_denorm_mode_16_64 3
		.amdhsa_fp16_overflow 0
		.amdhsa_memory_ordered 1
		.amdhsa_forward_progress 1
		.amdhsa_inst_pref_size 0
		.amdhsa_round_robin_scheduling 0
		.amdhsa_exception_fp_ieee_invalid_op 0
		.amdhsa_exception_fp_denorm_src 0
		.amdhsa_exception_fp_ieee_div_zero 0
		.amdhsa_exception_fp_ieee_overflow 0
		.amdhsa_exception_fp_ieee_underflow 0
		.amdhsa_exception_fp_ieee_inexact 0
		.amdhsa_exception_int_div_zero 0
	.end_amdhsa_kernel
	.section	.text._ZN7rocprim17ROCPRIM_400000_NS6detail17trampoline_kernelINS0_14default_configENS1_38merge_sort_block_merge_config_selectorIjNS0_10empty_typeEEEZZNS1_27merge_sort_block_merge_implIS3_PjPS5_jNS1_19radix_merge_compareILb0ELb1EjNS0_19identity_decomposerEEEEE10hipError_tT0_T1_T2_jT3_P12ihipStream_tbPNSt15iterator_traitsISE_E10value_typeEPNSK_ISF_E10value_typeEPSG_NS1_7vsmem_tEENKUlT_SE_SF_SG_E_clIS8_S8_S9_S9_EESD_ST_SE_SF_SG_EUlST_E1_NS1_11comp_targetILNS1_3genE3ELNS1_11target_archE908ELNS1_3gpuE7ELNS1_3repE0EEENS1_36merge_oddeven_config_static_selectorELNS0_4arch9wavefront6targetE0EEEvSF_,"axG",@progbits,_ZN7rocprim17ROCPRIM_400000_NS6detail17trampoline_kernelINS0_14default_configENS1_38merge_sort_block_merge_config_selectorIjNS0_10empty_typeEEEZZNS1_27merge_sort_block_merge_implIS3_PjPS5_jNS1_19radix_merge_compareILb0ELb1EjNS0_19identity_decomposerEEEEE10hipError_tT0_T1_T2_jT3_P12ihipStream_tbPNSt15iterator_traitsISE_E10value_typeEPNSK_ISF_E10value_typeEPSG_NS1_7vsmem_tEENKUlT_SE_SF_SG_E_clIS8_S8_S9_S9_EESD_ST_SE_SF_SG_EUlST_E1_NS1_11comp_targetILNS1_3genE3ELNS1_11target_archE908ELNS1_3gpuE7ELNS1_3repE0EEENS1_36merge_oddeven_config_static_selectorELNS0_4arch9wavefront6targetE0EEEvSF_,comdat
.Lfunc_end2722:
	.size	_ZN7rocprim17ROCPRIM_400000_NS6detail17trampoline_kernelINS0_14default_configENS1_38merge_sort_block_merge_config_selectorIjNS0_10empty_typeEEEZZNS1_27merge_sort_block_merge_implIS3_PjPS5_jNS1_19radix_merge_compareILb0ELb1EjNS0_19identity_decomposerEEEEE10hipError_tT0_T1_T2_jT3_P12ihipStream_tbPNSt15iterator_traitsISE_E10value_typeEPNSK_ISF_E10value_typeEPSG_NS1_7vsmem_tEENKUlT_SE_SF_SG_E_clIS8_S8_S9_S9_EESD_ST_SE_SF_SG_EUlST_E1_NS1_11comp_targetILNS1_3genE3ELNS1_11target_archE908ELNS1_3gpuE7ELNS1_3repE0EEENS1_36merge_oddeven_config_static_selectorELNS0_4arch9wavefront6targetE0EEEvSF_, .Lfunc_end2722-_ZN7rocprim17ROCPRIM_400000_NS6detail17trampoline_kernelINS0_14default_configENS1_38merge_sort_block_merge_config_selectorIjNS0_10empty_typeEEEZZNS1_27merge_sort_block_merge_implIS3_PjPS5_jNS1_19radix_merge_compareILb0ELb1EjNS0_19identity_decomposerEEEEE10hipError_tT0_T1_T2_jT3_P12ihipStream_tbPNSt15iterator_traitsISE_E10value_typeEPNSK_ISF_E10value_typeEPSG_NS1_7vsmem_tEENKUlT_SE_SF_SG_E_clIS8_S8_S9_S9_EESD_ST_SE_SF_SG_EUlST_E1_NS1_11comp_targetILNS1_3genE3ELNS1_11target_archE908ELNS1_3gpuE7ELNS1_3repE0EEENS1_36merge_oddeven_config_static_selectorELNS0_4arch9wavefront6targetE0EEEvSF_
                                        ; -- End function
	.set _ZN7rocprim17ROCPRIM_400000_NS6detail17trampoline_kernelINS0_14default_configENS1_38merge_sort_block_merge_config_selectorIjNS0_10empty_typeEEEZZNS1_27merge_sort_block_merge_implIS3_PjPS5_jNS1_19radix_merge_compareILb0ELb1EjNS0_19identity_decomposerEEEEE10hipError_tT0_T1_T2_jT3_P12ihipStream_tbPNSt15iterator_traitsISE_E10value_typeEPNSK_ISF_E10value_typeEPSG_NS1_7vsmem_tEENKUlT_SE_SF_SG_E_clIS8_S8_S9_S9_EESD_ST_SE_SF_SG_EUlST_E1_NS1_11comp_targetILNS1_3genE3ELNS1_11target_archE908ELNS1_3gpuE7ELNS1_3repE0EEENS1_36merge_oddeven_config_static_selectorELNS0_4arch9wavefront6targetE0EEEvSF_.num_vgpr, 0
	.set _ZN7rocprim17ROCPRIM_400000_NS6detail17trampoline_kernelINS0_14default_configENS1_38merge_sort_block_merge_config_selectorIjNS0_10empty_typeEEEZZNS1_27merge_sort_block_merge_implIS3_PjPS5_jNS1_19radix_merge_compareILb0ELb1EjNS0_19identity_decomposerEEEEE10hipError_tT0_T1_T2_jT3_P12ihipStream_tbPNSt15iterator_traitsISE_E10value_typeEPNSK_ISF_E10value_typeEPSG_NS1_7vsmem_tEENKUlT_SE_SF_SG_E_clIS8_S8_S9_S9_EESD_ST_SE_SF_SG_EUlST_E1_NS1_11comp_targetILNS1_3genE3ELNS1_11target_archE908ELNS1_3gpuE7ELNS1_3repE0EEENS1_36merge_oddeven_config_static_selectorELNS0_4arch9wavefront6targetE0EEEvSF_.num_agpr, 0
	.set _ZN7rocprim17ROCPRIM_400000_NS6detail17trampoline_kernelINS0_14default_configENS1_38merge_sort_block_merge_config_selectorIjNS0_10empty_typeEEEZZNS1_27merge_sort_block_merge_implIS3_PjPS5_jNS1_19radix_merge_compareILb0ELb1EjNS0_19identity_decomposerEEEEE10hipError_tT0_T1_T2_jT3_P12ihipStream_tbPNSt15iterator_traitsISE_E10value_typeEPNSK_ISF_E10value_typeEPSG_NS1_7vsmem_tEENKUlT_SE_SF_SG_E_clIS8_S8_S9_S9_EESD_ST_SE_SF_SG_EUlST_E1_NS1_11comp_targetILNS1_3genE3ELNS1_11target_archE908ELNS1_3gpuE7ELNS1_3repE0EEENS1_36merge_oddeven_config_static_selectorELNS0_4arch9wavefront6targetE0EEEvSF_.numbered_sgpr, 0
	.set _ZN7rocprim17ROCPRIM_400000_NS6detail17trampoline_kernelINS0_14default_configENS1_38merge_sort_block_merge_config_selectorIjNS0_10empty_typeEEEZZNS1_27merge_sort_block_merge_implIS3_PjPS5_jNS1_19radix_merge_compareILb0ELb1EjNS0_19identity_decomposerEEEEE10hipError_tT0_T1_T2_jT3_P12ihipStream_tbPNSt15iterator_traitsISE_E10value_typeEPNSK_ISF_E10value_typeEPSG_NS1_7vsmem_tEENKUlT_SE_SF_SG_E_clIS8_S8_S9_S9_EESD_ST_SE_SF_SG_EUlST_E1_NS1_11comp_targetILNS1_3genE3ELNS1_11target_archE908ELNS1_3gpuE7ELNS1_3repE0EEENS1_36merge_oddeven_config_static_selectorELNS0_4arch9wavefront6targetE0EEEvSF_.num_named_barrier, 0
	.set _ZN7rocprim17ROCPRIM_400000_NS6detail17trampoline_kernelINS0_14default_configENS1_38merge_sort_block_merge_config_selectorIjNS0_10empty_typeEEEZZNS1_27merge_sort_block_merge_implIS3_PjPS5_jNS1_19radix_merge_compareILb0ELb1EjNS0_19identity_decomposerEEEEE10hipError_tT0_T1_T2_jT3_P12ihipStream_tbPNSt15iterator_traitsISE_E10value_typeEPNSK_ISF_E10value_typeEPSG_NS1_7vsmem_tEENKUlT_SE_SF_SG_E_clIS8_S8_S9_S9_EESD_ST_SE_SF_SG_EUlST_E1_NS1_11comp_targetILNS1_3genE3ELNS1_11target_archE908ELNS1_3gpuE7ELNS1_3repE0EEENS1_36merge_oddeven_config_static_selectorELNS0_4arch9wavefront6targetE0EEEvSF_.private_seg_size, 0
	.set _ZN7rocprim17ROCPRIM_400000_NS6detail17trampoline_kernelINS0_14default_configENS1_38merge_sort_block_merge_config_selectorIjNS0_10empty_typeEEEZZNS1_27merge_sort_block_merge_implIS3_PjPS5_jNS1_19radix_merge_compareILb0ELb1EjNS0_19identity_decomposerEEEEE10hipError_tT0_T1_T2_jT3_P12ihipStream_tbPNSt15iterator_traitsISE_E10value_typeEPNSK_ISF_E10value_typeEPSG_NS1_7vsmem_tEENKUlT_SE_SF_SG_E_clIS8_S8_S9_S9_EESD_ST_SE_SF_SG_EUlST_E1_NS1_11comp_targetILNS1_3genE3ELNS1_11target_archE908ELNS1_3gpuE7ELNS1_3repE0EEENS1_36merge_oddeven_config_static_selectorELNS0_4arch9wavefront6targetE0EEEvSF_.uses_vcc, 0
	.set _ZN7rocprim17ROCPRIM_400000_NS6detail17trampoline_kernelINS0_14default_configENS1_38merge_sort_block_merge_config_selectorIjNS0_10empty_typeEEEZZNS1_27merge_sort_block_merge_implIS3_PjPS5_jNS1_19radix_merge_compareILb0ELb1EjNS0_19identity_decomposerEEEEE10hipError_tT0_T1_T2_jT3_P12ihipStream_tbPNSt15iterator_traitsISE_E10value_typeEPNSK_ISF_E10value_typeEPSG_NS1_7vsmem_tEENKUlT_SE_SF_SG_E_clIS8_S8_S9_S9_EESD_ST_SE_SF_SG_EUlST_E1_NS1_11comp_targetILNS1_3genE3ELNS1_11target_archE908ELNS1_3gpuE7ELNS1_3repE0EEENS1_36merge_oddeven_config_static_selectorELNS0_4arch9wavefront6targetE0EEEvSF_.uses_flat_scratch, 0
	.set _ZN7rocprim17ROCPRIM_400000_NS6detail17trampoline_kernelINS0_14default_configENS1_38merge_sort_block_merge_config_selectorIjNS0_10empty_typeEEEZZNS1_27merge_sort_block_merge_implIS3_PjPS5_jNS1_19radix_merge_compareILb0ELb1EjNS0_19identity_decomposerEEEEE10hipError_tT0_T1_T2_jT3_P12ihipStream_tbPNSt15iterator_traitsISE_E10value_typeEPNSK_ISF_E10value_typeEPSG_NS1_7vsmem_tEENKUlT_SE_SF_SG_E_clIS8_S8_S9_S9_EESD_ST_SE_SF_SG_EUlST_E1_NS1_11comp_targetILNS1_3genE3ELNS1_11target_archE908ELNS1_3gpuE7ELNS1_3repE0EEENS1_36merge_oddeven_config_static_selectorELNS0_4arch9wavefront6targetE0EEEvSF_.has_dyn_sized_stack, 0
	.set _ZN7rocprim17ROCPRIM_400000_NS6detail17trampoline_kernelINS0_14default_configENS1_38merge_sort_block_merge_config_selectorIjNS0_10empty_typeEEEZZNS1_27merge_sort_block_merge_implIS3_PjPS5_jNS1_19radix_merge_compareILb0ELb1EjNS0_19identity_decomposerEEEEE10hipError_tT0_T1_T2_jT3_P12ihipStream_tbPNSt15iterator_traitsISE_E10value_typeEPNSK_ISF_E10value_typeEPSG_NS1_7vsmem_tEENKUlT_SE_SF_SG_E_clIS8_S8_S9_S9_EESD_ST_SE_SF_SG_EUlST_E1_NS1_11comp_targetILNS1_3genE3ELNS1_11target_archE908ELNS1_3gpuE7ELNS1_3repE0EEENS1_36merge_oddeven_config_static_selectorELNS0_4arch9wavefront6targetE0EEEvSF_.has_recursion, 0
	.set _ZN7rocprim17ROCPRIM_400000_NS6detail17trampoline_kernelINS0_14default_configENS1_38merge_sort_block_merge_config_selectorIjNS0_10empty_typeEEEZZNS1_27merge_sort_block_merge_implIS3_PjPS5_jNS1_19radix_merge_compareILb0ELb1EjNS0_19identity_decomposerEEEEE10hipError_tT0_T1_T2_jT3_P12ihipStream_tbPNSt15iterator_traitsISE_E10value_typeEPNSK_ISF_E10value_typeEPSG_NS1_7vsmem_tEENKUlT_SE_SF_SG_E_clIS8_S8_S9_S9_EESD_ST_SE_SF_SG_EUlST_E1_NS1_11comp_targetILNS1_3genE3ELNS1_11target_archE908ELNS1_3gpuE7ELNS1_3repE0EEENS1_36merge_oddeven_config_static_selectorELNS0_4arch9wavefront6targetE0EEEvSF_.has_indirect_call, 0
	.section	.AMDGPU.csdata,"",@progbits
; Kernel info:
; codeLenInByte = 0
; TotalNumSgprs: 0
; NumVgprs: 0
; ScratchSize: 0
; MemoryBound: 0
; FloatMode: 240
; IeeeMode: 1
; LDSByteSize: 0 bytes/workgroup (compile time only)
; SGPRBlocks: 0
; VGPRBlocks: 0
; NumSGPRsForWavesPerEU: 1
; NumVGPRsForWavesPerEU: 1
; NamedBarCnt: 0
; Occupancy: 16
; WaveLimiterHint : 0
; COMPUTE_PGM_RSRC2:SCRATCH_EN: 0
; COMPUTE_PGM_RSRC2:USER_SGPR: 2
; COMPUTE_PGM_RSRC2:TRAP_HANDLER: 0
; COMPUTE_PGM_RSRC2:TGID_X_EN: 1
; COMPUTE_PGM_RSRC2:TGID_Y_EN: 0
; COMPUTE_PGM_RSRC2:TGID_Z_EN: 0
; COMPUTE_PGM_RSRC2:TIDIG_COMP_CNT: 0
	.section	.text._ZN7rocprim17ROCPRIM_400000_NS6detail17trampoline_kernelINS0_14default_configENS1_38merge_sort_block_merge_config_selectorIjNS0_10empty_typeEEEZZNS1_27merge_sort_block_merge_implIS3_PjPS5_jNS1_19radix_merge_compareILb0ELb1EjNS0_19identity_decomposerEEEEE10hipError_tT0_T1_T2_jT3_P12ihipStream_tbPNSt15iterator_traitsISE_E10value_typeEPNSK_ISF_E10value_typeEPSG_NS1_7vsmem_tEENKUlT_SE_SF_SG_E_clIS8_S8_S9_S9_EESD_ST_SE_SF_SG_EUlST_E1_NS1_11comp_targetILNS1_3genE2ELNS1_11target_archE906ELNS1_3gpuE6ELNS1_3repE0EEENS1_36merge_oddeven_config_static_selectorELNS0_4arch9wavefront6targetE0EEEvSF_,"axG",@progbits,_ZN7rocprim17ROCPRIM_400000_NS6detail17trampoline_kernelINS0_14default_configENS1_38merge_sort_block_merge_config_selectorIjNS0_10empty_typeEEEZZNS1_27merge_sort_block_merge_implIS3_PjPS5_jNS1_19radix_merge_compareILb0ELb1EjNS0_19identity_decomposerEEEEE10hipError_tT0_T1_T2_jT3_P12ihipStream_tbPNSt15iterator_traitsISE_E10value_typeEPNSK_ISF_E10value_typeEPSG_NS1_7vsmem_tEENKUlT_SE_SF_SG_E_clIS8_S8_S9_S9_EESD_ST_SE_SF_SG_EUlST_E1_NS1_11comp_targetILNS1_3genE2ELNS1_11target_archE906ELNS1_3gpuE6ELNS1_3repE0EEENS1_36merge_oddeven_config_static_selectorELNS0_4arch9wavefront6targetE0EEEvSF_,comdat
	.protected	_ZN7rocprim17ROCPRIM_400000_NS6detail17trampoline_kernelINS0_14default_configENS1_38merge_sort_block_merge_config_selectorIjNS0_10empty_typeEEEZZNS1_27merge_sort_block_merge_implIS3_PjPS5_jNS1_19radix_merge_compareILb0ELb1EjNS0_19identity_decomposerEEEEE10hipError_tT0_T1_T2_jT3_P12ihipStream_tbPNSt15iterator_traitsISE_E10value_typeEPNSK_ISF_E10value_typeEPSG_NS1_7vsmem_tEENKUlT_SE_SF_SG_E_clIS8_S8_S9_S9_EESD_ST_SE_SF_SG_EUlST_E1_NS1_11comp_targetILNS1_3genE2ELNS1_11target_archE906ELNS1_3gpuE6ELNS1_3repE0EEENS1_36merge_oddeven_config_static_selectorELNS0_4arch9wavefront6targetE0EEEvSF_ ; -- Begin function _ZN7rocprim17ROCPRIM_400000_NS6detail17trampoline_kernelINS0_14default_configENS1_38merge_sort_block_merge_config_selectorIjNS0_10empty_typeEEEZZNS1_27merge_sort_block_merge_implIS3_PjPS5_jNS1_19radix_merge_compareILb0ELb1EjNS0_19identity_decomposerEEEEE10hipError_tT0_T1_T2_jT3_P12ihipStream_tbPNSt15iterator_traitsISE_E10value_typeEPNSK_ISF_E10value_typeEPSG_NS1_7vsmem_tEENKUlT_SE_SF_SG_E_clIS8_S8_S9_S9_EESD_ST_SE_SF_SG_EUlST_E1_NS1_11comp_targetILNS1_3genE2ELNS1_11target_archE906ELNS1_3gpuE6ELNS1_3repE0EEENS1_36merge_oddeven_config_static_selectorELNS0_4arch9wavefront6targetE0EEEvSF_
	.globl	_ZN7rocprim17ROCPRIM_400000_NS6detail17trampoline_kernelINS0_14default_configENS1_38merge_sort_block_merge_config_selectorIjNS0_10empty_typeEEEZZNS1_27merge_sort_block_merge_implIS3_PjPS5_jNS1_19radix_merge_compareILb0ELb1EjNS0_19identity_decomposerEEEEE10hipError_tT0_T1_T2_jT3_P12ihipStream_tbPNSt15iterator_traitsISE_E10value_typeEPNSK_ISF_E10value_typeEPSG_NS1_7vsmem_tEENKUlT_SE_SF_SG_E_clIS8_S8_S9_S9_EESD_ST_SE_SF_SG_EUlST_E1_NS1_11comp_targetILNS1_3genE2ELNS1_11target_archE906ELNS1_3gpuE6ELNS1_3repE0EEENS1_36merge_oddeven_config_static_selectorELNS0_4arch9wavefront6targetE0EEEvSF_
	.p2align	8
	.type	_ZN7rocprim17ROCPRIM_400000_NS6detail17trampoline_kernelINS0_14default_configENS1_38merge_sort_block_merge_config_selectorIjNS0_10empty_typeEEEZZNS1_27merge_sort_block_merge_implIS3_PjPS5_jNS1_19radix_merge_compareILb0ELb1EjNS0_19identity_decomposerEEEEE10hipError_tT0_T1_T2_jT3_P12ihipStream_tbPNSt15iterator_traitsISE_E10value_typeEPNSK_ISF_E10value_typeEPSG_NS1_7vsmem_tEENKUlT_SE_SF_SG_E_clIS8_S8_S9_S9_EESD_ST_SE_SF_SG_EUlST_E1_NS1_11comp_targetILNS1_3genE2ELNS1_11target_archE906ELNS1_3gpuE6ELNS1_3repE0EEENS1_36merge_oddeven_config_static_selectorELNS0_4arch9wavefront6targetE0EEEvSF_,@function
_ZN7rocprim17ROCPRIM_400000_NS6detail17trampoline_kernelINS0_14default_configENS1_38merge_sort_block_merge_config_selectorIjNS0_10empty_typeEEEZZNS1_27merge_sort_block_merge_implIS3_PjPS5_jNS1_19radix_merge_compareILb0ELb1EjNS0_19identity_decomposerEEEEE10hipError_tT0_T1_T2_jT3_P12ihipStream_tbPNSt15iterator_traitsISE_E10value_typeEPNSK_ISF_E10value_typeEPSG_NS1_7vsmem_tEENKUlT_SE_SF_SG_E_clIS8_S8_S9_S9_EESD_ST_SE_SF_SG_EUlST_E1_NS1_11comp_targetILNS1_3genE2ELNS1_11target_archE906ELNS1_3gpuE6ELNS1_3repE0EEENS1_36merge_oddeven_config_static_selectorELNS0_4arch9wavefront6targetE0EEEvSF_: ; @_ZN7rocprim17ROCPRIM_400000_NS6detail17trampoline_kernelINS0_14default_configENS1_38merge_sort_block_merge_config_selectorIjNS0_10empty_typeEEEZZNS1_27merge_sort_block_merge_implIS3_PjPS5_jNS1_19radix_merge_compareILb0ELb1EjNS0_19identity_decomposerEEEEE10hipError_tT0_T1_T2_jT3_P12ihipStream_tbPNSt15iterator_traitsISE_E10value_typeEPNSK_ISF_E10value_typeEPSG_NS1_7vsmem_tEENKUlT_SE_SF_SG_E_clIS8_S8_S9_S9_EESD_ST_SE_SF_SG_EUlST_E1_NS1_11comp_targetILNS1_3genE2ELNS1_11target_archE906ELNS1_3gpuE6ELNS1_3repE0EEENS1_36merge_oddeven_config_static_selectorELNS0_4arch9wavefront6targetE0EEEvSF_
; %bb.0:
	.section	.rodata,"a",@progbits
	.p2align	6, 0x0
	.amdhsa_kernel _ZN7rocprim17ROCPRIM_400000_NS6detail17trampoline_kernelINS0_14default_configENS1_38merge_sort_block_merge_config_selectorIjNS0_10empty_typeEEEZZNS1_27merge_sort_block_merge_implIS3_PjPS5_jNS1_19radix_merge_compareILb0ELb1EjNS0_19identity_decomposerEEEEE10hipError_tT0_T1_T2_jT3_P12ihipStream_tbPNSt15iterator_traitsISE_E10value_typeEPNSK_ISF_E10value_typeEPSG_NS1_7vsmem_tEENKUlT_SE_SF_SG_E_clIS8_S8_S9_S9_EESD_ST_SE_SF_SG_EUlST_E1_NS1_11comp_targetILNS1_3genE2ELNS1_11target_archE906ELNS1_3gpuE6ELNS1_3repE0EEENS1_36merge_oddeven_config_static_selectorELNS0_4arch9wavefront6targetE0EEEvSF_
		.amdhsa_group_segment_fixed_size 0
		.amdhsa_private_segment_fixed_size 0
		.amdhsa_kernarg_size 48
		.amdhsa_user_sgpr_count 2
		.amdhsa_user_sgpr_dispatch_ptr 0
		.amdhsa_user_sgpr_queue_ptr 0
		.amdhsa_user_sgpr_kernarg_segment_ptr 1
		.amdhsa_user_sgpr_dispatch_id 0
		.amdhsa_user_sgpr_kernarg_preload_length 0
		.amdhsa_user_sgpr_kernarg_preload_offset 0
		.amdhsa_user_sgpr_private_segment_size 0
		.amdhsa_wavefront_size32 1
		.amdhsa_uses_dynamic_stack 0
		.amdhsa_enable_private_segment 0
		.amdhsa_system_sgpr_workgroup_id_x 1
		.amdhsa_system_sgpr_workgroup_id_y 0
		.amdhsa_system_sgpr_workgroup_id_z 0
		.amdhsa_system_sgpr_workgroup_info 0
		.amdhsa_system_vgpr_workitem_id 0
		.amdhsa_next_free_vgpr 1
		.amdhsa_next_free_sgpr 1
		.amdhsa_named_barrier_count 0
		.amdhsa_reserve_vcc 0
		.amdhsa_float_round_mode_32 0
		.amdhsa_float_round_mode_16_64 0
		.amdhsa_float_denorm_mode_32 3
		.amdhsa_float_denorm_mode_16_64 3
		.amdhsa_fp16_overflow 0
		.amdhsa_memory_ordered 1
		.amdhsa_forward_progress 1
		.amdhsa_inst_pref_size 0
		.amdhsa_round_robin_scheduling 0
		.amdhsa_exception_fp_ieee_invalid_op 0
		.amdhsa_exception_fp_denorm_src 0
		.amdhsa_exception_fp_ieee_div_zero 0
		.amdhsa_exception_fp_ieee_overflow 0
		.amdhsa_exception_fp_ieee_underflow 0
		.amdhsa_exception_fp_ieee_inexact 0
		.amdhsa_exception_int_div_zero 0
	.end_amdhsa_kernel
	.section	.text._ZN7rocprim17ROCPRIM_400000_NS6detail17trampoline_kernelINS0_14default_configENS1_38merge_sort_block_merge_config_selectorIjNS0_10empty_typeEEEZZNS1_27merge_sort_block_merge_implIS3_PjPS5_jNS1_19radix_merge_compareILb0ELb1EjNS0_19identity_decomposerEEEEE10hipError_tT0_T1_T2_jT3_P12ihipStream_tbPNSt15iterator_traitsISE_E10value_typeEPNSK_ISF_E10value_typeEPSG_NS1_7vsmem_tEENKUlT_SE_SF_SG_E_clIS8_S8_S9_S9_EESD_ST_SE_SF_SG_EUlST_E1_NS1_11comp_targetILNS1_3genE2ELNS1_11target_archE906ELNS1_3gpuE6ELNS1_3repE0EEENS1_36merge_oddeven_config_static_selectorELNS0_4arch9wavefront6targetE0EEEvSF_,"axG",@progbits,_ZN7rocprim17ROCPRIM_400000_NS6detail17trampoline_kernelINS0_14default_configENS1_38merge_sort_block_merge_config_selectorIjNS0_10empty_typeEEEZZNS1_27merge_sort_block_merge_implIS3_PjPS5_jNS1_19radix_merge_compareILb0ELb1EjNS0_19identity_decomposerEEEEE10hipError_tT0_T1_T2_jT3_P12ihipStream_tbPNSt15iterator_traitsISE_E10value_typeEPNSK_ISF_E10value_typeEPSG_NS1_7vsmem_tEENKUlT_SE_SF_SG_E_clIS8_S8_S9_S9_EESD_ST_SE_SF_SG_EUlST_E1_NS1_11comp_targetILNS1_3genE2ELNS1_11target_archE906ELNS1_3gpuE6ELNS1_3repE0EEENS1_36merge_oddeven_config_static_selectorELNS0_4arch9wavefront6targetE0EEEvSF_,comdat
.Lfunc_end2723:
	.size	_ZN7rocprim17ROCPRIM_400000_NS6detail17trampoline_kernelINS0_14default_configENS1_38merge_sort_block_merge_config_selectorIjNS0_10empty_typeEEEZZNS1_27merge_sort_block_merge_implIS3_PjPS5_jNS1_19radix_merge_compareILb0ELb1EjNS0_19identity_decomposerEEEEE10hipError_tT0_T1_T2_jT3_P12ihipStream_tbPNSt15iterator_traitsISE_E10value_typeEPNSK_ISF_E10value_typeEPSG_NS1_7vsmem_tEENKUlT_SE_SF_SG_E_clIS8_S8_S9_S9_EESD_ST_SE_SF_SG_EUlST_E1_NS1_11comp_targetILNS1_3genE2ELNS1_11target_archE906ELNS1_3gpuE6ELNS1_3repE0EEENS1_36merge_oddeven_config_static_selectorELNS0_4arch9wavefront6targetE0EEEvSF_, .Lfunc_end2723-_ZN7rocprim17ROCPRIM_400000_NS6detail17trampoline_kernelINS0_14default_configENS1_38merge_sort_block_merge_config_selectorIjNS0_10empty_typeEEEZZNS1_27merge_sort_block_merge_implIS3_PjPS5_jNS1_19radix_merge_compareILb0ELb1EjNS0_19identity_decomposerEEEEE10hipError_tT0_T1_T2_jT3_P12ihipStream_tbPNSt15iterator_traitsISE_E10value_typeEPNSK_ISF_E10value_typeEPSG_NS1_7vsmem_tEENKUlT_SE_SF_SG_E_clIS8_S8_S9_S9_EESD_ST_SE_SF_SG_EUlST_E1_NS1_11comp_targetILNS1_3genE2ELNS1_11target_archE906ELNS1_3gpuE6ELNS1_3repE0EEENS1_36merge_oddeven_config_static_selectorELNS0_4arch9wavefront6targetE0EEEvSF_
                                        ; -- End function
	.set _ZN7rocprim17ROCPRIM_400000_NS6detail17trampoline_kernelINS0_14default_configENS1_38merge_sort_block_merge_config_selectorIjNS0_10empty_typeEEEZZNS1_27merge_sort_block_merge_implIS3_PjPS5_jNS1_19radix_merge_compareILb0ELb1EjNS0_19identity_decomposerEEEEE10hipError_tT0_T1_T2_jT3_P12ihipStream_tbPNSt15iterator_traitsISE_E10value_typeEPNSK_ISF_E10value_typeEPSG_NS1_7vsmem_tEENKUlT_SE_SF_SG_E_clIS8_S8_S9_S9_EESD_ST_SE_SF_SG_EUlST_E1_NS1_11comp_targetILNS1_3genE2ELNS1_11target_archE906ELNS1_3gpuE6ELNS1_3repE0EEENS1_36merge_oddeven_config_static_selectorELNS0_4arch9wavefront6targetE0EEEvSF_.num_vgpr, 0
	.set _ZN7rocprim17ROCPRIM_400000_NS6detail17trampoline_kernelINS0_14default_configENS1_38merge_sort_block_merge_config_selectorIjNS0_10empty_typeEEEZZNS1_27merge_sort_block_merge_implIS3_PjPS5_jNS1_19radix_merge_compareILb0ELb1EjNS0_19identity_decomposerEEEEE10hipError_tT0_T1_T2_jT3_P12ihipStream_tbPNSt15iterator_traitsISE_E10value_typeEPNSK_ISF_E10value_typeEPSG_NS1_7vsmem_tEENKUlT_SE_SF_SG_E_clIS8_S8_S9_S9_EESD_ST_SE_SF_SG_EUlST_E1_NS1_11comp_targetILNS1_3genE2ELNS1_11target_archE906ELNS1_3gpuE6ELNS1_3repE0EEENS1_36merge_oddeven_config_static_selectorELNS0_4arch9wavefront6targetE0EEEvSF_.num_agpr, 0
	.set _ZN7rocprim17ROCPRIM_400000_NS6detail17trampoline_kernelINS0_14default_configENS1_38merge_sort_block_merge_config_selectorIjNS0_10empty_typeEEEZZNS1_27merge_sort_block_merge_implIS3_PjPS5_jNS1_19radix_merge_compareILb0ELb1EjNS0_19identity_decomposerEEEEE10hipError_tT0_T1_T2_jT3_P12ihipStream_tbPNSt15iterator_traitsISE_E10value_typeEPNSK_ISF_E10value_typeEPSG_NS1_7vsmem_tEENKUlT_SE_SF_SG_E_clIS8_S8_S9_S9_EESD_ST_SE_SF_SG_EUlST_E1_NS1_11comp_targetILNS1_3genE2ELNS1_11target_archE906ELNS1_3gpuE6ELNS1_3repE0EEENS1_36merge_oddeven_config_static_selectorELNS0_4arch9wavefront6targetE0EEEvSF_.numbered_sgpr, 0
	.set _ZN7rocprim17ROCPRIM_400000_NS6detail17trampoline_kernelINS0_14default_configENS1_38merge_sort_block_merge_config_selectorIjNS0_10empty_typeEEEZZNS1_27merge_sort_block_merge_implIS3_PjPS5_jNS1_19radix_merge_compareILb0ELb1EjNS0_19identity_decomposerEEEEE10hipError_tT0_T1_T2_jT3_P12ihipStream_tbPNSt15iterator_traitsISE_E10value_typeEPNSK_ISF_E10value_typeEPSG_NS1_7vsmem_tEENKUlT_SE_SF_SG_E_clIS8_S8_S9_S9_EESD_ST_SE_SF_SG_EUlST_E1_NS1_11comp_targetILNS1_3genE2ELNS1_11target_archE906ELNS1_3gpuE6ELNS1_3repE0EEENS1_36merge_oddeven_config_static_selectorELNS0_4arch9wavefront6targetE0EEEvSF_.num_named_barrier, 0
	.set _ZN7rocprim17ROCPRIM_400000_NS6detail17trampoline_kernelINS0_14default_configENS1_38merge_sort_block_merge_config_selectorIjNS0_10empty_typeEEEZZNS1_27merge_sort_block_merge_implIS3_PjPS5_jNS1_19radix_merge_compareILb0ELb1EjNS0_19identity_decomposerEEEEE10hipError_tT0_T1_T2_jT3_P12ihipStream_tbPNSt15iterator_traitsISE_E10value_typeEPNSK_ISF_E10value_typeEPSG_NS1_7vsmem_tEENKUlT_SE_SF_SG_E_clIS8_S8_S9_S9_EESD_ST_SE_SF_SG_EUlST_E1_NS1_11comp_targetILNS1_3genE2ELNS1_11target_archE906ELNS1_3gpuE6ELNS1_3repE0EEENS1_36merge_oddeven_config_static_selectorELNS0_4arch9wavefront6targetE0EEEvSF_.private_seg_size, 0
	.set _ZN7rocprim17ROCPRIM_400000_NS6detail17trampoline_kernelINS0_14default_configENS1_38merge_sort_block_merge_config_selectorIjNS0_10empty_typeEEEZZNS1_27merge_sort_block_merge_implIS3_PjPS5_jNS1_19radix_merge_compareILb0ELb1EjNS0_19identity_decomposerEEEEE10hipError_tT0_T1_T2_jT3_P12ihipStream_tbPNSt15iterator_traitsISE_E10value_typeEPNSK_ISF_E10value_typeEPSG_NS1_7vsmem_tEENKUlT_SE_SF_SG_E_clIS8_S8_S9_S9_EESD_ST_SE_SF_SG_EUlST_E1_NS1_11comp_targetILNS1_3genE2ELNS1_11target_archE906ELNS1_3gpuE6ELNS1_3repE0EEENS1_36merge_oddeven_config_static_selectorELNS0_4arch9wavefront6targetE0EEEvSF_.uses_vcc, 0
	.set _ZN7rocprim17ROCPRIM_400000_NS6detail17trampoline_kernelINS0_14default_configENS1_38merge_sort_block_merge_config_selectorIjNS0_10empty_typeEEEZZNS1_27merge_sort_block_merge_implIS3_PjPS5_jNS1_19radix_merge_compareILb0ELb1EjNS0_19identity_decomposerEEEEE10hipError_tT0_T1_T2_jT3_P12ihipStream_tbPNSt15iterator_traitsISE_E10value_typeEPNSK_ISF_E10value_typeEPSG_NS1_7vsmem_tEENKUlT_SE_SF_SG_E_clIS8_S8_S9_S9_EESD_ST_SE_SF_SG_EUlST_E1_NS1_11comp_targetILNS1_3genE2ELNS1_11target_archE906ELNS1_3gpuE6ELNS1_3repE0EEENS1_36merge_oddeven_config_static_selectorELNS0_4arch9wavefront6targetE0EEEvSF_.uses_flat_scratch, 0
	.set _ZN7rocprim17ROCPRIM_400000_NS6detail17trampoline_kernelINS0_14default_configENS1_38merge_sort_block_merge_config_selectorIjNS0_10empty_typeEEEZZNS1_27merge_sort_block_merge_implIS3_PjPS5_jNS1_19radix_merge_compareILb0ELb1EjNS0_19identity_decomposerEEEEE10hipError_tT0_T1_T2_jT3_P12ihipStream_tbPNSt15iterator_traitsISE_E10value_typeEPNSK_ISF_E10value_typeEPSG_NS1_7vsmem_tEENKUlT_SE_SF_SG_E_clIS8_S8_S9_S9_EESD_ST_SE_SF_SG_EUlST_E1_NS1_11comp_targetILNS1_3genE2ELNS1_11target_archE906ELNS1_3gpuE6ELNS1_3repE0EEENS1_36merge_oddeven_config_static_selectorELNS0_4arch9wavefront6targetE0EEEvSF_.has_dyn_sized_stack, 0
	.set _ZN7rocprim17ROCPRIM_400000_NS6detail17trampoline_kernelINS0_14default_configENS1_38merge_sort_block_merge_config_selectorIjNS0_10empty_typeEEEZZNS1_27merge_sort_block_merge_implIS3_PjPS5_jNS1_19radix_merge_compareILb0ELb1EjNS0_19identity_decomposerEEEEE10hipError_tT0_T1_T2_jT3_P12ihipStream_tbPNSt15iterator_traitsISE_E10value_typeEPNSK_ISF_E10value_typeEPSG_NS1_7vsmem_tEENKUlT_SE_SF_SG_E_clIS8_S8_S9_S9_EESD_ST_SE_SF_SG_EUlST_E1_NS1_11comp_targetILNS1_3genE2ELNS1_11target_archE906ELNS1_3gpuE6ELNS1_3repE0EEENS1_36merge_oddeven_config_static_selectorELNS0_4arch9wavefront6targetE0EEEvSF_.has_recursion, 0
	.set _ZN7rocprim17ROCPRIM_400000_NS6detail17trampoline_kernelINS0_14default_configENS1_38merge_sort_block_merge_config_selectorIjNS0_10empty_typeEEEZZNS1_27merge_sort_block_merge_implIS3_PjPS5_jNS1_19radix_merge_compareILb0ELb1EjNS0_19identity_decomposerEEEEE10hipError_tT0_T1_T2_jT3_P12ihipStream_tbPNSt15iterator_traitsISE_E10value_typeEPNSK_ISF_E10value_typeEPSG_NS1_7vsmem_tEENKUlT_SE_SF_SG_E_clIS8_S8_S9_S9_EESD_ST_SE_SF_SG_EUlST_E1_NS1_11comp_targetILNS1_3genE2ELNS1_11target_archE906ELNS1_3gpuE6ELNS1_3repE0EEENS1_36merge_oddeven_config_static_selectorELNS0_4arch9wavefront6targetE0EEEvSF_.has_indirect_call, 0
	.section	.AMDGPU.csdata,"",@progbits
; Kernel info:
; codeLenInByte = 0
; TotalNumSgprs: 0
; NumVgprs: 0
; ScratchSize: 0
; MemoryBound: 0
; FloatMode: 240
; IeeeMode: 1
; LDSByteSize: 0 bytes/workgroup (compile time only)
; SGPRBlocks: 0
; VGPRBlocks: 0
; NumSGPRsForWavesPerEU: 1
; NumVGPRsForWavesPerEU: 1
; NamedBarCnt: 0
; Occupancy: 16
; WaveLimiterHint : 0
; COMPUTE_PGM_RSRC2:SCRATCH_EN: 0
; COMPUTE_PGM_RSRC2:USER_SGPR: 2
; COMPUTE_PGM_RSRC2:TRAP_HANDLER: 0
; COMPUTE_PGM_RSRC2:TGID_X_EN: 1
; COMPUTE_PGM_RSRC2:TGID_Y_EN: 0
; COMPUTE_PGM_RSRC2:TGID_Z_EN: 0
; COMPUTE_PGM_RSRC2:TIDIG_COMP_CNT: 0
	.section	.text._ZN7rocprim17ROCPRIM_400000_NS6detail17trampoline_kernelINS0_14default_configENS1_38merge_sort_block_merge_config_selectorIjNS0_10empty_typeEEEZZNS1_27merge_sort_block_merge_implIS3_PjPS5_jNS1_19radix_merge_compareILb0ELb1EjNS0_19identity_decomposerEEEEE10hipError_tT0_T1_T2_jT3_P12ihipStream_tbPNSt15iterator_traitsISE_E10value_typeEPNSK_ISF_E10value_typeEPSG_NS1_7vsmem_tEENKUlT_SE_SF_SG_E_clIS8_S8_S9_S9_EESD_ST_SE_SF_SG_EUlST_E1_NS1_11comp_targetILNS1_3genE9ELNS1_11target_archE1100ELNS1_3gpuE3ELNS1_3repE0EEENS1_36merge_oddeven_config_static_selectorELNS0_4arch9wavefront6targetE0EEEvSF_,"axG",@progbits,_ZN7rocprim17ROCPRIM_400000_NS6detail17trampoline_kernelINS0_14default_configENS1_38merge_sort_block_merge_config_selectorIjNS0_10empty_typeEEEZZNS1_27merge_sort_block_merge_implIS3_PjPS5_jNS1_19radix_merge_compareILb0ELb1EjNS0_19identity_decomposerEEEEE10hipError_tT0_T1_T2_jT3_P12ihipStream_tbPNSt15iterator_traitsISE_E10value_typeEPNSK_ISF_E10value_typeEPSG_NS1_7vsmem_tEENKUlT_SE_SF_SG_E_clIS8_S8_S9_S9_EESD_ST_SE_SF_SG_EUlST_E1_NS1_11comp_targetILNS1_3genE9ELNS1_11target_archE1100ELNS1_3gpuE3ELNS1_3repE0EEENS1_36merge_oddeven_config_static_selectorELNS0_4arch9wavefront6targetE0EEEvSF_,comdat
	.protected	_ZN7rocprim17ROCPRIM_400000_NS6detail17trampoline_kernelINS0_14default_configENS1_38merge_sort_block_merge_config_selectorIjNS0_10empty_typeEEEZZNS1_27merge_sort_block_merge_implIS3_PjPS5_jNS1_19radix_merge_compareILb0ELb1EjNS0_19identity_decomposerEEEEE10hipError_tT0_T1_T2_jT3_P12ihipStream_tbPNSt15iterator_traitsISE_E10value_typeEPNSK_ISF_E10value_typeEPSG_NS1_7vsmem_tEENKUlT_SE_SF_SG_E_clIS8_S8_S9_S9_EESD_ST_SE_SF_SG_EUlST_E1_NS1_11comp_targetILNS1_3genE9ELNS1_11target_archE1100ELNS1_3gpuE3ELNS1_3repE0EEENS1_36merge_oddeven_config_static_selectorELNS0_4arch9wavefront6targetE0EEEvSF_ ; -- Begin function _ZN7rocprim17ROCPRIM_400000_NS6detail17trampoline_kernelINS0_14default_configENS1_38merge_sort_block_merge_config_selectorIjNS0_10empty_typeEEEZZNS1_27merge_sort_block_merge_implIS3_PjPS5_jNS1_19radix_merge_compareILb0ELb1EjNS0_19identity_decomposerEEEEE10hipError_tT0_T1_T2_jT3_P12ihipStream_tbPNSt15iterator_traitsISE_E10value_typeEPNSK_ISF_E10value_typeEPSG_NS1_7vsmem_tEENKUlT_SE_SF_SG_E_clIS8_S8_S9_S9_EESD_ST_SE_SF_SG_EUlST_E1_NS1_11comp_targetILNS1_3genE9ELNS1_11target_archE1100ELNS1_3gpuE3ELNS1_3repE0EEENS1_36merge_oddeven_config_static_selectorELNS0_4arch9wavefront6targetE0EEEvSF_
	.globl	_ZN7rocprim17ROCPRIM_400000_NS6detail17trampoline_kernelINS0_14default_configENS1_38merge_sort_block_merge_config_selectorIjNS0_10empty_typeEEEZZNS1_27merge_sort_block_merge_implIS3_PjPS5_jNS1_19radix_merge_compareILb0ELb1EjNS0_19identity_decomposerEEEEE10hipError_tT0_T1_T2_jT3_P12ihipStream_tbPNSt15iterator_traitsISE_E10value_typeEPNSK_ISF_E10value_typeEPSG_NS1_7vsmem_tEENKUlT_SE_SF_SG_E_clIS8_S8_S9_S9_EESD_ST_SE_SF_SG_EUlST_E1_NS1_11comp_targetILNS1_3genE9ELNS1_11target_archE1100ELNS1_3gpuE3ELNS1_3repE0EEENS1_36merge_oddeven_config_static_selectorELNS0_4arch9wavefront6targetE0EEEvSF_
	.p2align	8
	.type	_ZN7rocprim17ROCPRIM_400000_NS6detail17trampoline_kernelINS0_14default_configENS1_38merge_sort_block_merge_config_selectorIjNS0_10empty_typeEEEZZNS1_27merge_sort_block_merge_implIS3_PjPS5_jNS1_19radix_merge_compareILb0ELb1EjNS0_19identity_decomposerEEEEE10hipError_tT0_T1_T2_jT3_P12ihipStream_tbPNSt15iterator_traitsISE_E10value_typeEPNSK_ISF_E10value_typeEPSG_NS1_7vsmem_tEENKUlT_SE_SF_SG_E_clIS8_S8_S9_S9_EESD_ST_SE_SF_SG_EUlST_E1_NS1_11comp_targetILNS1_3genE9ELNS1_11target_archE1100ELNS1_3gpuE3ELNS1_3repE0EEENS1_36merge_oddeven_config_static_selectorELNS0_4arch9wavefront6targetE0EEEvSF_,@function
_ZN7rocprim17ROCPRIM_400000_NS6detail17trampoline_kernelINS0_14default_configENS1_38merge_sort_block_merge_config_selectorIjNS0_10empty_typeEEEZZNS1_27merge_sort_block_merge_implIS3_PjPS5_jNS1_19radix_merge_compareILb0ELb1EjNS0_19identity_decomposerEEEEE10hipError_tT0_T1_T2_jT3_P12ihipStream_tbPNSt15iterator_traitsISE_E10value_typeEPNSK_ISF_E10value_typeEPSG_NS1_7vsmem_tEENKUlT_SE_SF_SG_E_clIS8_S8_S9_S9_EESD_ST_SE_SF_SG_EUlST_E1_NS1_11comp_targetILNS1_3genE9ELNS1_11target_archE1100ELNS1_3gpuE3ELNS1_3repE0EEENS1_36merge_oddeven_config_static_selectorELNS0_4arch9wavefront6targetE0EEEvSF_: ; @_ZN7rocprim17ROCPRIM_400000_NS6detail17trampoline_kernelINS0_14default_configENS1_38merge_sort_block_merge_config_selectorIjNS0_10empty_typeEEEZZNS1_27merge_sort_block_merge_implIS3_PjPS5_jNS1_19radix_merge_compareILb0ELb1EjNS0_19identity_decomposerEEEEE10hipError_tT0_T1_T2_jT3_P12ihipStream_tbPNSt15iterator_traitsISE_E10value_typeEPNSK_ISF_E10value_typeEPSG_NS1_7vsmem_tEENKUlT_SE_SF_SG_E_clIS8_S8_S9_S9_EESD_ST_SE_SF_SG_EUlST_E1_NS1_11comp_targetILNS1_3genE9ELNS1_11target_archE1100ELNS1_3gpuE3ELNS1_3repE0EEENS1_36merge_oddeven_config_static_selectorELNS0_4arch9wavefront6targetE0EEEvSF_
; %bb.0:
	.section	.rodata,"a",@progbits
	.p2align	6, 0x0
	.amdhsa_kernel _ZN7rocprim17ROCPRIM_400000_NS6detail17trampoline_kernelINS0_14default_configENS1_38merge_sort_block_merge_config_selectorIjNS0_10empty_typeEEEZZNS1_27merge_sort_block_merge_implIS3_PjPS5_jNS1_19radix_merge_compareILb0ELb1EjNS0_19identity_decomposerEEEEE10hipError_tT0_T1_T2_jT3_P12ihipStream_tbPNSt15iterator_traitsISE_E10value_typeEPNSK_ISF_E10value_typeEPSG_NS1_7vsmem_tEENKUlT_SE_SF_SG_E_clIS8_S8_S9_S9_EESD_ST_SE_SF_SG_EUlST_E1_NS1_11comp_targetILNS1_3genE9ELNS1_11target_archE1100ELNS1_3gpuE3ELNS1_3repE0EEENS1_36merge_oddeven_config_static_selectorELNS0_4arch9wavefront6targetE0EEEvSF_
		.amdhsa_group_segment_fixed_size 0
		.amdhsa_private_segment_fixed_size 0
		.amdhsa_kernarg_size 48
		.amdhsa_user_sgpr_count 2
		.amdhsa_user_sgpr_dispatch_ptr 0
		.amdhsa_user_sgpr_queue_ptr 0
		.amdhsa_user_sgpr_kernarg_segment_ptr 1
		.amdhsa_user_sgpr_dispatch_id 0
		.amdhsa_user_sgpr_kernarg_preload_length 0
		.amdhsa_user_sgpr_kernarg_preload_offset 0
		.amdhsa_user_sgpr_private_segment_size 0
		.amdhsa_wavefront_size32 1
		.amdhsa_uses_dynamic_stack 0
		.amdhsa_enable_private_segment 0
		.amdhsa_system_sgpr_workgroup_id_x 1
		.amdhsa_system_sgpr_workgroup_id_y 0
		.amdhsa_system_sgpr_workgroup_id_z 0
		.amdhsa_system_sgpr_workgroup_info 0
		.amdhsa_system_vgpr_workitem_id 0
		.amdhsa_next_free_vgpr 1
		.amdhsa_next_free_sgpr 1
		.amdhsa_named_barrier_count 0
		.amdhsa_reserve_vcc 0
		.amdhsa_float_round_mode_32 0
		.amdhsa_float_round_mode_16_64 0
		.amdhsa_float_denorm_mode_32 3
		.amdhsa_float_denorm_mode_16_64 3
		.amdhsa_fp16_overflow 0
		.amdhsa_memory_ordered 1
		.amdhsa_forward_progress 1
		.amdhsa_inst_pref_size 0
		.amdhsa_round_robin_scheduling 0
		.amdhsa_exception_fp_ieee_invalid_op 0
		.amdhsa_exception_fp_denorm_src 0
		.amdhsa_exception_fp_ieee_div_zero 0
		.amdhsa_exception_fp_ieee_overflow 0
		.amdhsa_exception_fp_ieee_underflow 0
		.amdhsa_exception_fp_ieee_inexact 0
		.amdhsa_exception_int_div_zero 0
	.end_amdhsa_kernel
	.section	.text._ZN7rocprim17ROCPRIM_400000_NS6detail17trampoline_kernelINS0_14default_configENS1_38merge_sort_block_merge_config_selectorIjNS0_10empty_typeEEEZZNS1_27merge_sort_block_merge_implIS3_PjPS5_jNS1_19radix_merge_compareILb0ELb1EjNS0_19identity_decomposerEEEEE10hipError_tT0_T1_T2_jT3_P12ihipStream_tbPNSt15iterator_traitsISE_E10value_typeEPNSK_ISF_E10value_typeEPSG_NS1_7vsmem_tEENKUlT_SE_SF_SG_E_clIS8_S8_S9_S9_EESD_ST_SE_SF_SG_EUlST_E1_NS1_11comp_targetILNS1_3genE9ELNS1_11target_archE1100ELNS1_3gpuE3ELNS1_3repE0EEENS1_36merge_oddeven_config_static_selectorELNS0_4arch9wavefront6targetE0EEEvSF_,"axG",@progbits,_ZN7rocprim17ROCPRIM_400000_NS6detail17trampoline_kernelINS0_14default_configENS1_38merge_sort_block_merge_config_selectorIjNS0_10empty_typeEEEZZNS1_27merge_sort_block_merge_implIS3_PjPS5_jNS1_19radix_merge_compareILb0ELb1EjNS0_19identity_decomposerEEEEE10hipError_tT0_T1_T2_jT3_P12ihipStream_tbPNSt15iterator_traitsISE_E10value_typeEPNSK_ISF_E10value_typeEPSG_NS1_7vsmem_tEENKUlT_SE_SF_SG_E_clIS8_S8_S9_S9_EESD_ST_SE_SF_SG_EUlST_E1_NS1_11comp_targetILNS1_3genE9ELNS1_11target_archE1100ELNS1_3gpuE3ELNS1_3repE0EEENS1_36merge_oddeven_config_static_selectorELNS0_4arch9wavefront6targetE0EEEvSF_,comdat
.Lfunc_end2724:
	.size	_ZN7rocprim17ROCPRIM_400000_NS6detail17trampoline_kernelINS0_14default_configENS1_38merge_sort_block_merge_config_selectorIjNS0_10empty_typeEEEZZNS1_27merge_sort_block_merge_implIS3_PjPS5_jNS1_19radix_merge_compareILb0ELb1EjNS0_19identity_decomposerEEEEE10hipError_tT0_T1_T2_jT3_P12ihipStream_tbPNSt15iterator_traitsISE_E10value_typeEPNSK_ISF_E10value_typeEPSG_NS1_7vsmem_tEENKUlT_SE_SF_SG_E_clIS8_S8_S9_S9_EESD_ST_SE_SF_SG_EUlST_E1_NS1_11comp_targetILNS1_3genE9ELNS1_11target_archE1100ELNS1_3gpuE3ELNS1_3repE0EEENS1_36merge_oddeven_config_static_selectorELNS0_4arch9wavefront6targetE0EEEvSF_, .Lfunc_end2724-_ZN7rocprim17ROCPRIM_400000_NS6detail17trampoline_kernelINS0_14default_configENS1_38merge_sort_block_merge_config_selectorIjNS0_10empty_typeEEEZZNS1_27merge_sort_block_merge_implIS3_PjPS5_jNS1_19radix_merge_compareILb0ELb1EjNS0_19identity_decomposerEEEEE10hipError_tT0_T1_T2_jT3_P12ihipStream_tbPNSt15iterator_traitsISE_E10value_typeEPNSK_ISF_E10value_typeEPSG_NS1_7vsmem_tEENKUlT_SE_SF_SG_E_clIS8_S8_S9_S9_EESD_ST_SE_SF_SG_EUlST_E1_NS1_11comp_targetILNS1_3genE9ELNS1_11target_archE1100ELNS1_3gpuE3ELNS1_3repE0EEENS1_36merge_oddeven_config_static_selectorELNS0_4arch9wavefront6targetE0EEEvSF_
                                        ; -- End function
	.set _ZN7rocprim17ROCPRIM_400000_NS6detail17trampoline_kernelINS0_14default_configENS1_38merge_sort_block_merge_config_selectorIjNS0_10empty_typeEEEZZNS1_27merge_sort_block_merge_implIS3_PjPS5_jNS1_19radix_merge_compareILb0ELb1EjNS0_19identity_decomposerEEEEE10hipError_tT0_T1_T2_jT3_P12ihipStream_tbPNSt15iterator_traitsISE_E10value_typeEPNSK_ISF_E10value_typeEPSG_NS1_7vsmem_tEENKUlT_SE_SF_SG_E_clIS8_S8_S9_S9_EESD_ST_SE_SF_SG_EUlST_E1_NS1_11comp_targetILNS1_3genE9ELNS1_11target_archE1100ELNS1_3gpuE3ELNS1_3repE0EEENS1_36merge_oddeven_config_static_selectorELNS0_4arch9wavefront6targetE0EEEvSF_.num_vgpr, 0
	.set _ZN7rocprim17ROCPRIM_400000_NS6detail17trampoline_kernelINS0_14default_configENS1_38merge_sort_block_merge_config_selectorIjNS0_10empty_typeEEEZZNS1_27merge_sort_block_merge_implIS3_PjPS5_jNS1_19radix_merge_compareILb0ELb1EjNS0_19identity_decomposerEEEEE10hipError_tT0_T1_T2_jT3_P12ihipStream_tbPNSt15iterator_traitsISE_E10value_typeEPNSK_ISF_E10value_typeEPSG_NS1_7vsmem_tEENKUlT_SE_SF_SG_E_clIS8_S8_S9_S9_EESD_ST_SE_SF_SG_EUlST_E1_NS1_11comp_targetILNS1_3genE9ELNS1_11target_archE1100ELNS1_3gpuE3ELNS1_3repE0EEENS1_36merge_oddeven_config_static_selectorELNS0_4arch9wavefront6targetE0EEEvSF_.num_agpr, 0
	.set _ZN7rocprim17ROCPRIM_400000_NS6detail17trampoline_kernelINS0_14default_configENS1_38merge_sort_block_merge_config_selectorIjNS0_10empty_typeEEEZZNS1_27merge_sort_block_merge_implIS3_PjPS5_jNS1_19radix_merge_compareILb0ELb1EjNS0_19identity_decomposerEEEEE10hipError_tT0_T1_T2_jT3_P12ihipStream_tbPNSt15iterator_traitsISE_E10value_typeEPNSK_ISF_E10value_typeEPSG_NS1_7vsmem_tEENKUlT_SE_SF_SG_E_clIS8_S8_S9_S9_EESD_ST_SE_SF_SG_EUlST_E1_NS1_11comp_targetILNS1_3genE9ELNS1_11target_archE1100ELNS1_3gpuE3ELNS1_3repE0EEENS1_36merge_oddeven_config_static_selectorELNS0_4arch9wavefront6targetE0EEEvSF_.numbered_sgpr, 0
	.set _ZN7rocprim17ROCPRIM_400000_NS6detail17trampoline_kernelINS0_14default_configENS1_38merge_sort_block_merge_config_selectorIjNS0_10empty_typeEEEZZNS1_27merge_sort_block_merge_implIS3_PjPS5_jNS1_19radix_merge_compareILb0ELb1EjNS0_19identity_decomposerEEEEE10hipError_tT0_T1_T2_jT3_P12ihipStream_tbPNSt15iterator_traitsISE_E10value_typeEPNSK_ISF_E10value_typeEPSG_NS1_7vsmem_tEENKUlT_SE_SF_SG_E_clIS8_S8_S9_S9_EESD_ST_SE_SF_SG_EUlST_E1_NS1_11comp_targetILNS1_3genE9ELNS1_11target_archE1100ELNS1_3gpuE3ELNS1_3repE0EEENS1_36merge_oddeven_config_static_selectorELNS0_4arch9wavefront6targetE0EEEvSF_.num_named_barrier, 0
	.set _ZN7rocprim17ROCPRIM_400000_NS6detail17trampoline_kernelINS0_14default_configENS1_38merge_sort_block_merge_config_selectorIjNS0_10empty_typeEEEZZNS1_27merge_sort_block_merge_implIS3_PjPS5_jNS1_19radix_merge_compareILb0ELb1EjNS0_19identity_decomposerEEEEE10hipError_tT0_T1_T2_jT3_P12ihipStream_tbPNSt15iterator_traitsISE_E10value_typeEPNSK_ISF_E10value_typeEPSG_NS1_7vsmem_tEENKUlT_SE_SF_SG_E_clIS8_S8_S9_S9_EESD_ST_SE_SF_SG_EUlST_E1_NS1_11comp_targetILNS1_3genE9ELNS1_11target_archE1100ELNS1_3gpuE3ELNS1_3repE0EEENS1_36merge_oddeven_config_static_selectorELNS0_4arch9wavefront6targetE0EEEvSF_.private_seg_size, 0
	.set _ZN7rocprim17ROCPRIM_400000_NS6detail17trampoline_kernelINS0_14default_configENS1_38merge_sort_block_merge_config_selectorIjNS0_10empty_typeEEEZZNS1_27merge_sort_block_merge_implIS3_PjPS5_jNS1_19radix_merge_compareILb0ELb1EjNS0_19identity_decomposerEEEEE10hipError_tT0_T1_T2_jT3_P12ihipStream_tbPNSt15iterator_traitsISE_E10value_typeEPNSK_ISF_E10value_typeEPSG_NS1_7vsmem_tEENKUlT_SE_SF_SG_E_clIS8_S8_S9_S9_EESD_ST_SE_SF_SG_EUlST_E1_NS1_11comp_targetILNS1_3genE9ELNS1_11target_archE1100ELNS1_3gpuE3ELNS1_3repE0EEENS1_36merge_oddeven_config_static_selectorELNS0_4arch9wavefront6targetE0EEEvSF_.uses_vcc, 0
	.set _ZN7rocprim17ROCPRIM_400000_NS6detail17trampoline_kernelINS0_14default_configENS1_38merge_sort_block_merge_config_selectorIjNS0_10empty_typeEEEZZNS1_27merge_sort_block_merge_implIS3_PjPS5_jNS1_19radix_merge_compareILb0ELb1EjNS0_19identity_decomposerEEEEE10hipError_tT0_T1_T2_jT3_P12ihipStream_tbPNSt15iterator_traitsISE_E10value_typeEPNSK_ISF_E10value_typeEPSG_NS1_7vsmem_tEENKUlT_SE_SF_SG_E_clIS8_S8_S9_S9_EESD_ST_SE_SF_SG_EUlST_E1_NS1_11comp_targetILNS1_3genE9ELNS1_11target_archE1100ELNS1_3gpuE3ELNS1_3repE0EEENS1_36merge_oddeven_config_static_selectorELNS0_4arch9wavefront6targetE0EEEvSF_.uses_flat_scratch, 0
	.set _ZN7rocprim17ROCPRIM_400000_NS6detail17trampoline_kernelINS0_14default_configENS1_38merge_sort_block_merge_config_selectorIjNS0_10empty_typeEEEZZNS1_27merge_sort_block_merge_implIS3_PjPS5_jNS1_19radix_merge_compareILb0ELb1EjNS0_19identity_decomposerEEEEE10hipError_tT0_T1_T2_jT3_P12ihipStream_tbPNSt15iterator_traitsISE_E10value_typeEPNSK_ISF_E10value_typeEPSG_NS1_7vsmem_tEENKUlT_SE_SF_SG_E_clIS8_S8_S9_S9_EESD_ST_SE_SF_SG_EUlST_E1_NS1_11comp_targetILNS1_3genE9ELNS1_11target_archE1100ELNS1_3gpuE3ELNS1_3repE0EEENS1_36merge_oddeven_config_static_selectorELNS0_4arch9wavefront6targetE0EEEvSF_.has_dyn_sized_stack, 0
	.set _ZN7rocprim17ROCPRIM_400000_NS6detail17trampoline_kernelINS0_14default_configENS1_38merge_sort_block_merge_config_selectorIjNS0_10empty_typeEEEZZNS1_27merge_sort_block_merge_implIS3_PjPS5_jNS1_19radix_merge_compareILb0ELb1EjNS0_19identity_decomposerEEEEE10hipError_tT0_T1_T2_jT3_P12ihipStream_tbPNSt15iterator_traitsISE_E10value_typeEPNSK_ISF_E10value_typeEPSG_NS1_7vsmem_tEENKUlT_SE_SF_SG_E_clIS8_S8_S9_S9_EESD_ST_SE_SF_SG_EUlST_E1_NS1_11comp_targetILNS1_3genE9ELNS1_11target_archE1100ELNS1_3gpuE3ELNS1_3repE0EEENS1_36merge_oddeven_config_static_selectorELNS0_4arch9wavefront6targetE0EEEvSF_.has_recursion, 0
	.set _ZN7rocprim17ROCPRIM_400000_NS6detail17trampoline_kernelINS0_14default_configENS1_38merge_sort_block_merge_config_selectorIjNS0_10empty_typeEEEZZNS1_27merge_sort_block_merge_implIS3_PjPS5_jNS1_19radix_merge_compareILb0ELb1EjNS0_19identity_decomposerEEEEE10hipError_tT0_T1_T2_jT3_P12ihipStream_tbPNSt15iterator_traitsISE_E10value_typeEPNSK_ISF_E10value_typeEPSG_NS1_7vsmem_tEENKUlT_SE_SF_SG_E_clIS8_S8_S9_S9_EESD_ST_SE_SF_SG_EUlST_E1_NS1_11comp_targetILNS1_3genE9ELNS1_11target_archE1100ELNS1_3gpuE3ELNS1_3repE0EEENS1_36merge_oddeven_config_static_selectorELNS0_4arch9wavefront6targetE0EEEvSF_.has_indirect_call, 0
	.section	.AMDGPU.csdata,"",@progbits
; Kernel info:
; codeLenInByte = 0
; TotalNumSgprs: 0
; NumVgprs: 0
; ScratchSize: 0
; MemoryBound: 0
; FloatMode: 240
; IeeeMode: 1
; LDSByteSize: 0 bytes/workgroup (compile time only)
; SGPRBlocks: 0
; VGPRBlocks: 0
; NumSGPRsForWavesPerEU: 1
; NumVGPRsForWavesPerEU: 1
; NamedBarCnt: 0
; Occupancy: 16
; WaveLimiterHint : 0
; COMPUTE_PGM_RSRC2:SCRATCH_EN: 0
; COMPUTE_PGM_RSRC2:USER_SGPR: 2
; COMPUTE_PGM_RSRC2:TRAP_HANDLER: 0
; COMPUTE_PGM_RSRC2:TGID_X_EN: 1
; COMPUTE_PGM_RSRC2:TGID_Y_EN: 0
; COMPUTE_PGM_RSRC2:TGID_Z_EN: 0
; COMPUTE_PGM_RSRC2:TIDIG_COMP_CNT: 0
	.section	.text._ZN7rocprim17ROCPRIM_400000_NS6detail17trampoline_kernelINS0_14default_configENS1_38merge_sort_block_merge_config_selectorIjNS0_10empty_typeEEEZZNS1_27merge_sort_block_merge_implIS3_PjPS5_jNS1_19radix_merge_compareILb0ELb1EjNS0_19identity_decomposerEEEEE10hipError_tT0_T1_T2_jT3_P12ihipStream_tbPNSt15iterator_traitsISE_E10value_typeEPNSK_ISF_E10value_typeEPSG_NS1_7vsmem_tEENKUlT_SE_SF_SG_E_clIS8_S8_S9_S9_EESD_ST_SE_SF_SG_EUlST_E1_NS1_11comp_targetILNS1_3genE8ELNS1_11target_archE1030ELNS1_3gpuE2ELNS1_3repE0EEENS1_36merge_oddeven_config_static_selectorELNS0_4arch9wavefront6targetE0EEEvSF_,"axG",@progbits,_ZN7rocprim17ROCPRIM_400000_NS6detail17trampoline_kernelINS0_14default_configENS1_38merge_sort_block_merge_config_selectorIjNS0_10empty_typeEEEZZNS1_27merge_sort_block_merge_implIS3_PjPS5_jNS1_19radix_merge_compareILb0ELb1EjNS0_19identity_decomposerEEEEE10hipError_tT0_T1_T2_jT3_P12ihipStream_tbPNSt15iterator_traitsISE_E10value_typeEPNSK_ISF_E10value_typeEPSG_NS1_7vsmem_tEENKUlT_SE_SF_SG_E_clIS8_S8_S9_S9_EESD_ST_SE_SF_SG_EUlST_E1_NS1_11comp_targetILNS1_3genE8ELNS1_11target_archE1030ELNS1_3gpuE2ELNS1_3repE0EEENS1_36merge_oddeven_config_static_selectorELNS0_4arch9wavefront6targetE0EEEvSF_,comdat
	.protected	_ZN7rocprim17ROCPRIM_400000_NS6detail17trampoline_kernelINS0_14default_configENS1_38merge_sort_block_merge_config_selectorIjNS0_10empty_typeEEEZZNS1_27merge_sort_block_merge_implIS3_PjPS5_jNS1_19radix_merge_compareILb0ELb1EjNS0_19identity_decomposerEEEEE10hipError_tT0_T1_T2_jT3_P12ihipStream_tbPNSt15iterator_traitsISE_E10value_typeEPNSK_ISF_E10value_typeEPSG_NS1_7vsmem_tEENKUlT_SE_SF_SG_E_clIS8_S8_S9_S9_EESD_ST_SE_SF_SG_EUlST_E1_NS1_11comp_targetILNS1_3genE8ELNS1_11target_archE1030ELNS1_3gpuE2ELNS1_3repE0EEENS1_36merge_oddeven_config_static_selectorELNS0_4arch9wavefront6targetE0EEEvSF_ ; -- Begin function _ZN7rocprim17ROCPRIM_400000_NS6detail17trampoline_kernelINS0_14default_configENS1_38merge_sort_block_merge_config_selectorIjNS0_10empty_typeEEEZZNS1_27merge_sort_block_merge_implIS3_PjPS5_jNS1_19radix_merge_compareILb0ELb1EjNS0_19identity_decomposerEEEEE10hipError_tT0_T1_T2_jT3_P12ihipStream_tbPNSt15iterator_traitsISE_E10value_typeEPNSK_ISF_E10value_typeEPSG_NS1_7vsmem_tEENKUlT_SE_SF_SG_E_clIS8_S8_S9_S9_EESD_ST_SE_SF_SG_EUlST_E1_NS1_11comp_targetILNS1_3genE8ELNS1_11target_archE1030ELNS1_3gpuE2ELNS1_3repE0EEENS1_36merge_oddeven_config_static_selectorELNS0_4arch9wavefront6targetE0EEEvSF_
	.globl	_ZN7rocprim17ROCPRIM_400000_NS6detail17trampoline_kernelINS0_14default_configENS1_38merge_sort_block_merge_config_selectorIjNS0_10empty_typeEEEZZNS1_27merge_sort_block_merge_implIS3_PjPS5_jNS1_19radix_merge_compareILb0ELb1EjNS0_19identity_decomposerEEEEE10hipError_tT0_T1_T2_jT3_P12ihipStream_tbPNSt15iterator_traitsISE_E10value_typeEPNSK_ISF_E10value_typeEPSG_NS1_7vsmem_tEENKUlT_SE_SF_SG_E_clIS8_S8_S9_S9_EESD_ST_SE_SF_SG_EUlST_E1_NS1_11comp_targetILNS1_3genE8ELNS1_11target_archE1030ELNS1_3gpuE2ELNS1_3repE0EEENS1_36merge_oddeven_config_static_selectorELNS0_4arch9wavefront6targetE0EEEvSF_
	.p2align	8
	.type	_ZN7rocprim17ROCPRIM_400000_NS6detail17trampoline_kernelINS0_14default_configENS1_38merge_sort_block_merge_config_selectorIjNS0_10empty_typeEEEZZNS1_27merge_sort_block_merge_implIS3_PjPS5_jNS1_19radix_merge_compareILb0ELb1EjNS0_19identity_decomposerEEEEE10hipError_tT0_T1_T2_jT3_P12ihipStream_tbPNSt15iterator_traitsISE_E10value_typeEPNSK_ISF_E10value_typeEPSG_NS1_7vsmem_tEENKUlT_SE_SF_SG_E_clIS8_S8_S9_S9_EESD_ST_SE_SF_SG_EUlST_E1_NS1_11comp_targetILNS1_3genE8ELNS1_11target_archE1030ELNS1_3gpuE2ELNS1_3repE0EEENS1_36merge_oddeven_config_static_selectorELNS0_4arch9wavefront6targetE0EEEvSF_,@function
_ZN7rocprim17ROCPRIM_400000_NS6detail17trampoline_kernelINS0_14default_configENS1_38merge_sort_block_merge_config_selectorIjNS0_10empty_typeEEEZZNS1_27merge_sort_block_merge_implIS3_PjPS5_jNS1_19radix_merge_compareILb0ELb1EjNS0_19identity_decomposerEEEEE10hipError_tT0_T1_T2_jT3_P12ihipStream_tbPNSt15iterator_traitsISE_E10value_typeEPNSK_ISF_E10value_typeEPSG_NS1_7vsmem_tEENKUlT_SE_SF_SG_E_clIS8_S8_S9_S9_EESD_ST_SE_SF_SG_EUlST_E1_NS1_11comp_targetILNS1_3genE8ELNS1_11target_archE1030ELNS1_3gpuE2ELNS1_3repE0EEENS1_36merge_oddeven_config_static_selectorELNS0_4arch9wavefront6targetE0EEEvSF_: ; @_ZN7rocprim17ROCPRIM_400000_NS6detail17trampoline_kernelINS0_14default_configENS1_38merge_sort_block_merge_config_selectorIjNS0_10empty_typeEEEZZNS1_27merge_sort_block_merge_implIS3_PjPS5_jNS1_19radix_merge_compareILb0ELb1EjNS0_19identity_decomposerEEEEE10hipError_tT0_T1_T2_jT3_P12ihipStream_tbPNSt15iterator_traitsISE_E10value_typeEPNSK_ISF_E10value_typeEPSG_NS1_7vsmem_tEENKUlT_SE_SF_SG_E_clIS8_S8_S9_S9_EESD_ST_SE_SF_SG_EUlST_E1_NS1_11comp_targetILNS1_3genE8ELNS1_11target_archE1030ELNS1_3gpuE2ELNS1_3repE0EEENS1_36merge_oddeven_config_static_selectorELNS0_4arch9wavefront6targetE0EEEvSF_
; %bb.0:
	.section	.rodata,"a",@progbits
	.p2align	6, 0x0
	.amdhsa_kernel _ZN7rocprim17ROCPRIM_400000_NS6detail17trampoline_kernelINS0_14default_configENS1_38merge_sort_block_merge_config_selectorIjNS0_10empty_typeEEEZZNS1_27merge_sort_block_merge_implIS3_PjPS5_jNS1_19radix_merge_compareILb0ELb1EjNS0_19identity_decomposerEEEEE10hipError_tT0_T1_T2_jT3_P12ihipStream_tbPNSt15iterator_traitsISE_E10value_typeEPNSK_ISF_E10value_typeEPSG_NS1_7vsmem_tEENKUlT_SE_SF_SG_E_clIS8_S8_S9_S9_EESD_ST_SE_SF_SG_EUlST_E1_NS1_11comp_targetILNS1_3genE8ELNS1_11target_archE1030ELNS1_3gpuE2ELNS1_3repE0EEENS1_36merge_oddeven_config_static_selectorELNS0_4arch9wavefront6targetE0EEEvSF_
		.amdhsa_group_segment_fixed_size 0
		.amdhsa_private_segment_fixed_size 0
		.amdhsa_kernarg_size 48
		.amdhsa_user_sgpr_count 2
		.amdhsa_user_sgpr_dispatch_ptr 0
		.amdhsa_user_sgpr_queue_ptr 0
		.amdhsa_user_sgpr_kernarg_segment_ptr 1
		.amdhsa_user_sgpr_dispatch_id 0
		.amdhsa_user_sgpr_kernarg_preload_length 0
		.amdhsa_user_sgpr_kernarg_preload_offset 0
		.amdhsa_user_sgpr_private_segment_size 0
		.amdhsa_wavefront_size32 1
		.amdhsa_uses_dynamic_stack 0
		.amdhsa_enable_private_segment 0
		.amdhsa_system_sgpr_workgroup_id_x 1
		.amdhsa_system_sgpr_workgroup_id_y 0
		.amdhsa_system_sgpr_workgroup_id_z 0
		.amdhsa_system_sgpr_workgroup_info 0
		.amdhsa_system_vgpr_workitem_id 0
		.amdhsa_next_free_vgpr 1
		.amdhsa_next_free_sgpr 1
		.amdhsa_named_barrier_count 0
		.amdhsa_reserve_vcc 0
		.amdhsa_float_round_mode_32 0
		.amdhsa_float_round_mode_16_64 0
		.amdhsa_float_denorm_mode_32 3
		.amdhsa_float_denorm_mode_16_64 3
		.amdhsa_fp16_overflow 0
		.amdhsa_memory_ordered 1
		.amdhsa_forward_progress 1
		.amdhsa_inst_pref_size 0
		.amdhsa_round_robin_scheduling 0
		.amdhsa_exception_fp_ieee_invalid_op 0
		.amdhsa_exception_fp_denorm_src 0
		.amdhsa_exception_fp_ieee_div_zero 0
		.amdhsa_exception_fp_ieee_overflow 0
		.amdhsa_exception_fp_ieee_underflow 0
		.amdhsa_exception_fp_ieee_inexact 0
		.amdhsa_exception_int_div_zero 0
	.end_amdhsa_kernel
	.section	.text._ZN7rocprim17ROCPRIM_400000_NS6detail17trampoline_kernelINS0_14default_configENS1_38merge_sort_block_merge_config_selectorIjNS0_10empty_typeEEEZZNS1_27merge_sort_block_merge_implIS3_PjPS5_jNS1_19radix_merge_compareILb0ELb1EjNS0_19identity_decomposerEEEEE10hipError_tT0_T1_T2_jT3_P12ihipStream_tbPNSt15iterator_traitsISE_E10value_typeEPNSK_ISF_E10value_typeEPSG_NS1_7vsmem_tEENKUlT_SE_SF_SG_E_clIS8_S8_S9_S9_EESD_ST_SE_SF_SG_EUlST_E1_NS1_11comp_targetILNS1_3genE8ELNS1_11target_archE1030ELNS1_3gpuE2ELNS1_3repE0EEENS1_36merge_oddeven_config_static_selectorELNS0_4arch9wavefront6targetE0EEEvSF_,"axG",@progbits,_ZN7rocprim17ROCPRIM_400000_NS6detail17trampoline_kernelINS0_14default_configENS1_38merge_sort_block_merge_config_selectorIjNS0_10empty_typeEEEZZNS1_27merge_sort_block_merge_implIS3_PjPS5_jNS1_19radix_merge_compareILb0ELb1EjNS0_19identity_decomposerEEEEE10hipError_tT0_T1_T2_jT3_P12ihipStream_tbPNSt15iterator_traitsISE_E10value_typeEPNSK_ISF_E10value_typeEPSG_NS1_7vsmem_tEENKUlT_SE_SF_SG_E_clIS8_S8_S9_S9_EESD_ST_SE_SF_SG_EUlST_E1_NS1_11comp_targetILNS1_3genE8ELNS1_11target_archE1030ELNS1_3gpuE2ELNS1_3repE0EEENS1_36merge_oddeven_config_static_selectorELNS0_4arch9wavefront6targetE0EEEvSF_,comdat
.Lfunc_end2725:
	.size	_ZN7rocprim17ROCPRIM_400000_NS6detail17trampoline_kernelINS0_14default_configENS1_38merge_sort_block_merge_config_selectorIjNS0_10empty_typeEEEZZNS1_27merge_sort_block_merge_implIS3_PjPS5_jNS1_19radix_merge_compareILb0ELb1EjNS0_19identity_decomposerEEEEE10hipError_tT0_T1_T2_jT3_P12ihipStream_tbPNSt15iterator_traitsISE_E10value_typeEPNSK_ISF_E10value_typeEPSG_NS1_7vsmem_tEENKUlT_SE_SF_SG_E_clIS8_S8_S9_S9_EESD_ST_SE_SF_SG_EUlST_E1_NS1_11comp_targetILNS1_3genE8ELNS1_11target_archE1030ELNS1_3gpuE2ELNS1_3repE0EEENS1_36merge_oddeven_config_static_selectorELNS0_4arch9wavefront6targetE0EEEvSF_, .Lfunc_end2725-_ZN7rocprim17ROCPRIM_400000_NS6detail17trampoline_kernelINS0_14default_configENS1_38merge_sort_block_merge_config_selectorIjNS0_10empty_typeEEEZZNS1_27merge_sort_block_merge_implIS3_PjPS5_jNS1_19radix_merge_compareILb0ELb1EjNS0_19identity_decomposerEEEEE10hipError_tT0_T1_T2_jT3_P12ihipStream_tbPNSt15iterator_traitsISE_E10value_typeEPNSK_ISF_E10value_typeEPSG_NS1_7vsmem_tEENKUlT_SE_SF_SG_E_clIS8_S8_S9_S9_EESD_ST_SE_SF_SG_EUlST_E1_NS1_11comp_targetILNS1_3genE8ELNS1_11target_archE1030ELNS1_3gpuE2ELNS1_3repE0EEENS1_36merge_oddeven_config_static_selectorELNS0_4arch9wavefront6targetE0EEEvSF_
                                        ; -- End function
	.set _ZN7rocprim17ROCPRIM_400000_NS6detail17trampoline_kernelINS0_14default_configENS1_38merge_sort_block_merge_config_selectorIjNS0_10empty_typeEEEZZNS1_27merge_sort_block_merge_implIS3_PjPS5_jNS1_19radix_merge_compareILb0ELb1EjNS0_19identity_decomposerEEEEE10hipError_tT0_T1_T2_jT3_P12ihipStream_tbPNSt15iterator_traitsISE_E10value_typeEPNSK_ISF_E10value_typeEPSG_NS1_7vsmem_tEENKUlT_SE_SF_SG_E_clIS8_S8_S9_S9_EESD_ST_SE_SF_SG_EUlST_E1_NS1_11comp_targetILNS1_3genE8ELNS1_11target_archE1030ELNS1_3gpuE2ELNS1_3repE0EEENS1_36merge_oddeven_config_static_selectorELNS0_4arch9wavefront6targetE0EEEvSF_.num_vgpr, 0
	.set _ZN7rocprim17ROCPRIM_400000_NS6detail17trampoline_kernelINS0_14default_configENS1_38merge_sort_block_merge_config_selectorIjNS0_10empty_typeEEEZZNS1_27merge_sort_block_merge_implIS3_PjPS5_jNS1_19radix_merge_compareILb0ELb1EjNS0_19identity_decomposerEEEEE10hipError_tT0_T1_T2_jT3_P12ihipStream_tbPNSt15iterator_traitsISE_E10value_typeEPNSK_ISF_E10value_typeEPSG_NS1_7vsmem_tEENKUlT_SE_SF_SG_E_clIS8_S8_S9_S9_EESD_ST_SE_SF_SG_EUlST_E1_NS1_11comp_targetILNS1_3genE8ELNS1_11target_archE1030ELNS1_3gpuE2ELNS1_3repE0EEENS1_36merge_oddeven_config_static_selectorELNS0_4arch9wavefront6targetE0EEEvSF_.num_agpr, 0
	.set _ZN7rocprim17ROCPRIM_400000_NS6detail17trampoline_kernelINS0_14default_configENS1_38merge_sort_block_merge_config_selectorIjNS0_10empty_typeEEEZZNS1_27merge_sort_block_merge_implIS3_PjPS5_jNS1_19radix_merge_compareILb0ELb1EjNS0_19identity_decomposerEEEEE10hipError_tT0_T1_T2_jT3_P12ihipStream_tbPNSt15iterator_traitsISE_E10value_typeEPNSK_ISF_E10value_typeEPSG_NS1_7vsmem_tEENKUlT_SE_SF_SG_E_clIS8_S8_S9_S9_EESD_ST_SE_SF_SG_EUlST_E1_NS1_11comp_targetILNS1_3genE8ELNS1_11target_archE1030ELNS1_3gpuE2ELNS1_3repE0EEENS1_36merge_oddeven_config_static_selectorELNS0_4arch9wavefront6targetE0EEEvSF_.numbered_sgpr, 0
	.set _ZN7rocprim17ROCPRIM_400000_NS6detail17trampoline_kernelINS0_14default_configENS1_38merge_sort_block_merge_config_selectorIjNS0_10empty_typeEEEZZNS1_27merge_sort_block_merge_implIS3_PjPS5_jNS1_19radix_merge_compareILb0ELb1EjNS0_19identity_decomposerEEEEE10hipError_tT0_T1_T2_jT3_P12ihipStream_tbPNSt15iterator_traitsISE_E10value_typeEPNSK_ISF_E10value_typeEPSG_NS1_7vsmem_tEENKUlT_SE_SF_SG_E_clIS8_S8_S9_S9_EESD_ST_SE_SF_SG_EUlST_E1_NS1_11comp_targetILNS1_3genE8ELNS1_11target_archE1030ELNS1_3gpuE2ELNS1_3repE0EEENS1_36merge_oddeven_config_static_selectorELNS0_4arch9wavefront6targetE0EEEvSF_.num_named_barrier, 0
	.set _ZN7rocprim17ROCPRIM_400000_NS6detail17trampoline_kernelINS0_14default_configENS1_38merge_sort_block_merge_config_selectorIjNS0_10empty_typeEEEZZNS1_27merge_sort_block_merge_implIS3_PjPS5_jNS1_19radix_merge_compareILb0ELb1EjNS0_19identity_decomposerEEEEE10hipError_tT0_T1_T2_jT3_P12ihipStream_tbPNSt15iterator_traitsISE_E10value_typeEPNSK_ISF_E10value_typeEPSG_NS1_7vsmem_tEENKUlT_SE_SF_SG_E_clIS8_S8_S9_S9_EESD_ST_SE_SF_SG_EUlST_E1_NS1_11comp_targetILNS1_3genE8ELNS1_11target_archE1030ELNS1_3gpuE2ELNS1_3repE0EEENS1_36merge_oddeven_config_static_selectorELNS0_4arch9wavefront6targetE0EEEvSF_.private_seg_size, 0
	.set _ZN7rocprim17ROCPRIM_400000_NS6detail17trampoline_kernelINS0_14default_configENS1_38merge_sort_block_merge_config_selectorIjNS0_10empty_typeEEEZZNS1_27merge_sort_block_merge_implIS3_PjPS5_jNS1_19radix_merge_compareILb0ELb1EjNS0_19identity_decomposerEEEEE10hipError_tT0_T1_T2_jT3_P12ihipStream_tbPNSt15iterator_traitsISE_E10value_typeEPNSK_ISF_E10value_typeEPSG_NS1_7vsmem_tEENKUlT_SE_SF_SG_E_clIS8_S8_S9_S9_EESD_ST_SE_SF_SG_EUlST_E1_NS1_11comp_targetILNS1_3genE8ELNS1_11target_archE1030ELNS1_3gpuE2ELNS1_3repE0EEENS1_36merge_oddeven_config_static_selectorELNS0_4arch9wavefront6targetE0EEEvSF_.uses_vcc, 0
	.set _ZN7rocprim17ROCPRIM_400000_NS6detail17trampoline_kernelINS0_14default_configENS1_38merge_sort_block_merge_config_selectorIjNS0_10empty_typeEEEZZNS1_27merge_sort_block_merge_implIS3_PjPS5_jNS1_19radix_merge_compareILb0ELb1EjNS0_19identity_decomposerEEEEE10hipError_tT0_T1_T2_jT3_P12ihipStream_tbPNSt15iterator_traitsISE_E10value_typeEPNSK_ISF_E10value_typeEPSG_NS1_7vsmem_tEENKUlT_SE_SF_SG_E_clIS8_S8_S9_S9_EESD_ST_SE_SF_SG_EUlST_E1_NS1_11comp_targetILNS1_3genE8ELNS1_11target_archE1030ELNS1_3gpuE2ELNS1_3repE0EEENS1_36merge_oddeven_config_static_selectorELNS0_4arch9wavefront6targetE0EEEvSF_.uses_flat_scratch, 0
	.set _ZN7rocprim17ROCPRIM_400000_NS6detail17trampoline_kernelINS0_14default_configENS1_38merge_sort_block_merge_config_selectorIjNS0_10empty_typeEEEZZNS1_27merge_sort_block_merge_implIS3_PjPS5_jNS1_19radix_merge_compareILb0ELb1EjNS0_19identity_decomposerEEEEE10hipError_tT0_T1_T2_jT3_P12ihipStream_tbPNSt15iterator_traitsISE_E10value_typeEPNSK_ISF_E10value_typeEPSG_NS1_7vsmem_tEENKUlT_SE_SF_SG_E_clIS8_S8_S9_S9_EESD_ST_SE_SF_SG_EUlST_E1_NS1_11comp_targetILNS1_3genE8ELNS1_11target_archE1030ELNS1_3gpuE2ELNS1_3repE0EEENS1_36merge_oddeven_config_static_selectorELNS0_4arch9wavefront6targetE0EEEvSF_.has_dyn_sized_stack, 0
	.set _ZN7rocprim17ROCPRIM_400000_NS6detail17trampoline_kernelINS0_14default_configENS1_38merge_sort_block_merge_config_selectorIjNS0_10empty_typeEEEZZNS1_27merge_sort_block_merge_implIS3_PjPS5_jNS1_19radix_merge_compareILb0ELb1EjNS0_19identity_decomposerEEEEE10hipError_tT0_T1_T2_jT3_P12ihipStream_tbPNSt15iterator_traitsISE_E10value_typeEPNSK_ISF_E10value_typeEPSG_NS1_7vsmem_tEENKUlT_SE_SF_SG_E_clIS8_S8_S9_S9_EESD_ST_SE_SF_SG_EUlST_E1_NS1_11comp_targetILNS1_3genE8ELNS1_11target_archE1030ELNS1_3gpuE2ELNS1_3repE0EEENS1_36merge_oddeven_config_static_selectorELNS0_4arch9wavefront6targetE0EEEvSF_.has_recursion, 0
	.set _ZN7rocprim17ROCPRIM_400000_NS6detail17trampoline_kernelINS0_14default_configENS1_38merge_sort_block_merge_config_selectorIjNS0_10empty_typeEEEZZNS1_27merge_sort_block_merge_implIS3_PjPS5_jNS1_19radix_merge_compareILb0ELb1EjNS0_19identity_decomposerEEEEE10hipError_tT0_T1_T2_jT3_P12ihipStream_tbPNSt15iterator_traitsISE_E10value_typeEPNSK_ISF_E10value_typeEPSG_NS1_7vsmem_tEENKUlT_SE_SF_SG_E_clIS8_S8_S9_S9_EESD_ST_SE_SF_SG_EUlST_E1_NS1_11comp_targetILNS1_3genE8ELNS1_11target_archE1030ELNS1_3gpuE2ELNS1_3repE0EEENS1_36merge_oddeven_config_static_selectorELNS0_4arch9wavefront6targetE0EEEvSF_.has_indirect_call, 0
	.section	.AMDGPU.csdata,"",@progbits
; Kernel info:
; codeLenInByte = 0
; TotalNumSgprs: 0
; NumVgprs: 0
; ScratchSize: 0
; MemoryBound: 0
; FloatMode: 240
; IeeeMode: 1
; LDSByteSize: 0 bytes/workgroup (compile time only)
; SGPRBlocks: 0
; VGPRBlocks: 0
; NumSGPRsForWavesPerEU: 1
; NumVGPRsForWavesPerEU: 1
; NamedBarCnt: 0
; Occupancy: 16
; WaveLimiterHint : 0
; COMPUTE_PGM_RSRC2:SCRATCH_EN: 0
; COMPUTE_PGM_RSRC2:USER_SGPR: 2
; COMPUTE_PGM_RSRC2:TRAP_HANDLER: 0
; COMPUTE_PGM_RSRC2:TGID_X_EN: 1
; COMPUTE_PGM_RSRC2:TGID_Y_EN: 0
; COMPUTE_PGM_RSRC2:TGID_Z_EN: 0
; COMPUTE_PGM_RSRC2:TIDIG_COMP_CNT: 0
	.section	.text._ZN7rocprim17ROCPRIM_400000_NS6detail17trampoline_kernelINS0_14default_configENS1_35radix_sort_onesweep_config_selectorIjNS0_10empty_typeEEEZNS1_34radix_sort_onesweep_global_offsetsIS3_Lb0EPKjPS5_mNS0_19identity_decomposerEEE10hipError_tT1_T2_PT3_SF_jT4_jjP12ihipStream_tbEUlT_E_NS1_11comp_targetILNS1_3genE0ELNS1_11target_archE4294967295ELNS1_3gpuE0ELNS1_3repE0EEENS1_52radix_sort_onesweep_histogram_config_static_selectorELNS0_4arch9wavefront6targetE0EEEvSD_,"axG",@progbits,_ZN7rocprim17ROCPRIM_400000_NS6detail17trampoline_kernelINS0_14default_configENS1_35radix_sort_onesweep_config_selectorIjNS0_10empty_typeEEEZNS1_34radix_sort_onesweep_global_offsetsIS3_Lb0EPKjPS5_mNS0_19identity_decomposerEEE10hipError_tT1_T2_PT3_SF_jT4_jjP12ihipStream_tbEUlT_E_NS1_11comp_targetILNS1_3genE0ELNS1_11target_archE4294967295ELNS1_3gpuE0ELNS1_3repE0EEENS1_52radix_sort_onesweep_histogram_config_static_selectorELNS0_4arch9wavefront6targetE0EEEvSD_,comdat
	.protected	_ZN7rocprim17ROCPRIM_400000_NS6detail17trampoline_kernelINS0_14default_configENS1_35radix_sort_onesweep_config_selectorIjNS0_10empty_typeEEEZNS1_34radix_sort_onesweep_global_offsetsIS3_Lb0EPKjPS5_mNS0_19identity_decomposerEEE10hipError_tT1_T2_PT3_SF_jT4_jjP12ihipStream_tbEUlT_E_NS1_11comp_targetILNS1_3genE0ELNS1_11target_archE4294967295ELNS1_3gpuE0ELNS1_3repE0EEENS1_52radix_sort_onesweep_histogram_config_static_selectorELNS0_4arch9wavefront6targetE0EEEvSD_ ; -- Begin function _ZN7rocprim17ROCPRIM_400000_NS6detail17trampoline_kernelINS0_14default_configENS1_35radix_sort_onesweep_config_selectorIjNS0_10empty_typeEEEZNS1_34radix_sort_onesweep_global_offsetsIS3_Lb0EPKjPS5_mNS0_19identity_decomposerEEE10hipError_tT1_T2_PT3_SF_jT4_jjP12ihipStream_tbEUlT_E_NS1_11comp_targetILNS1_3genE0ELNS1_11target_archE4294967295ELNS1_3gpuE0ELNS1_3repE0EEENS1_52radix_sort_onesweep_histogram_config_static_selectorELNS0_4arch9wavefront6targetE0EEEvSD_
	.globl	_ZN7rocprim17ROCPRIM_400000_NS6detail17trampoline_kernelINS0_14default_configENS1_35radix_sort_onesweep_config_selectorIjNS0_10empty_typeEEEZNS1_34radix_sort_onesweep_global_offsetsIS3_Lb0EPKjPS5_mNS0_19identity_decomposerEEE10hipError_tT1_T2_PT3_SF_jT4_jjP12ihipStream_tbEUlT_E_NS1_11comp_targetILNS1_3genE0ELNS1_11target_archE4294967295ELNS1_3gpuE0ELNS1_3repE0EEENS1_52radix_sort_onesweep_histogram_config_static_selectorELNS0_4arch9wavefront6targetE0EEEvSD_
	.p2align	8
	.type	_ZN7rocprim17ROCPRIM_400000_NS6detail17trampoline_kernelINS0_14default_configENS1_35radix_sort_onesweep_config_selectorIjNS0_10empty_typeEEEZNS1_34radix_sort_onesweep_global_offsetsIS3_Lb0EPKjPS5_mNS0_19identity_decomposerEEE10hipError_tT1_T2_PT3_SF_jT4_jjP12ihipStream_tbEUlT_E_NS1_11comp_targetILNS1_3genE0ELNS1_11target_archE4294967295ELNS1_3gpuE0ELNS1_3repE0EEENS1_52radix_sort_onesweep_histogram_config_static_selectorELNS0_4arch9wavefront6targetE0EEEvSD_,@function
_ZN7rocprim17ROCPRIM_400000_NS6detail17trampoline_kernelINS0_14default_configENS1_35radix_sort_onesweep_config_selectorIjNS0_10empty_typeEEEZNS1_34radix_sort_onesweep_global_offsetsIS3_Lb0EPKjPS5_mNS0_19identity_decomposerEEE10hipError_tT1_T2_PT3_SF_jT4_jjP12ihipStream_tbEUlT_E_NS1_11comp_targetILNS1_3genE0ELNS1_11target_archE4294967295ELNS1_3gpuE0ELNS1_3repE0EEENS1_52radix_sort_onesweep_histogram_config_static_selectorELNS0_4arch9wavefront6targetE0EEEvSD_: ; @_ZN7rocprim17ROCPRIM_400000_NS6detail17trampoline_kernelINS0_14default_configENS1_35radix_sort_onesweep_config_selectorIjNS0_10empty_typeEEEZNS1_34radix_sort_onesweep_global_offsetsIS3_Lb0EPKjPS5_mNS0_19identity_decomposerEEE10hipError_tT1_T2_PT3_SF_jT4_jjP12ihipStream_tbEUlT_E_NS1_11comp_targetILNS1_3genE0ELNS1_11target_archE4294967295ELNS1_3gpuE0ELNS1_3repE0EEENS1_52radix_sort_onesweep_histogram_config_static_selectorELNS0_4arch9wavefront6targetE0EEEvSD_
; %bb.0:
	s_clause 0x1
	s_load_b64 s[8:9], s[0:1], 0x18
	s_load_b128 s[4:7], s[0:1], 0x0
	s_bfe_u32 s10, ttmp6, 0x4000c
	s_load_b64 s[2:3], s[0:1], 0x24
	s_add_co_i32 s10, s10, 1
	s_and_b32 s11, ttmp6, 15
	s_mul_i32 s10, ttmp9, s10
	s_getreg_b32 s12, hwreg(HW_REG_IB_STS2, 6, 4)
	s_add_co_i32 s10, s11, s10
	s_cmp_eq_u32 s12, 0
	s_mov_b32 s11, 0
	s_cselect_b32 s10, ttmp9, s10
	s_wait_kmcnt 0x0
	v_cmp_le_u64_e64 s9, s[8:9], s[10:11]
	s_mul_u64 s[10:11], s[10:11], 0x6000
	s_delay_alu instid0(SALU_CYCLE_1)
	s_add_nc_u64 s[4:5], s[4:5], s[10:11]
	s_and_b32 vcc_lo, exec_lo, s9
	s_mov_b32 s9, -1
	s_cbranch_vccz .LBB2726_243
; %bb.1:
	s_load_b32 s1, s[0:1], 0x10
	s_wait_xcnt 0x0
	s_mul_i32 s0, s8, 0xffffe800
                                        ; implicit-def: $vgpr25
	s_wait_kmcnt 0x0
	s_add_co_i32 s1, s1, s0
	s_mov_b32 s0, exec_lo
	v_cmpx_gt_u32_e64 s1, v0
	s_cbranch_execz .LBB2726_3
; %bb.2:
	global_load_b32 v25, v0, s[4:5] scale_offset
.LBB2726_3:
	s_wait_xcnt 0x0
	s_or_b32 exec_lo, exec_lo, s0
	v_or_b32_e32 v24, 0x200, v0
	s_mov_b32 s0, exec_lo
                                        ; implicit-def: $vgpr23
	s_delay_alu instid0(VALU_DEP_1)
	v_cmpx_gt_u32_e64 s1, v24
	s_cbranch_execz .LBB2726_5
; %bb.4:
	global_load_b32 v23, v0, s[4:5] offset:2048 scale_offset
.LBB2726_5:
	s_wait_xcnt 0x0
	s_or_b32 exec_lo, exec_lo, s0
	v_or_b32_e32 v22, 0x400, v0
	s_mov_b32 s0, exec_lo
                                        ; implicit-def: $vgpr21
	s_delay_alu instid0(VALU_DEP_1)
	v_cmpx_gt_u32_e64 s1, v22
	s_cbranch_execz .LBB2726_7
; %bb.6:
	global_load_b32 v21, v0, s[4:5] offset:4096 scale_offset
.LBB2726_7:
	s_wait_xcnt 0x0
	s_or_b32 exec_lo, exec_lo, s0
	v_or_b32_e32 v20, 0x600, v0
	s_mov_b32 s0, exec_lo
                                        ; implicit-def: $vgpr19
	s_delay_alu instid0(VALU_DEP_1)
	v_cmpx_gt_u32_e64 s1, v20
	s_cbranch_execz .LBB2726_9
; %bb.8:
	global_load_b32 v19, v0, s[4:5] offset:6144 scale_offset
.LBB2726_9:
	s_wait_xcnt 0x0
	s_or_b32 exec_lo, exec_lo, s0
	v_or_b32_e32 v18, 0x800, v0
	s_mov_b32 s0, exec_lo
                                        ; implicit-def: $vgpr17
	s_delay_alu instid0(VALU_DEP_1)
	v_cmpx_gt_u32_e64 s1, v18
	s_cbranch_execz .LBB2726_11
; %bb.10:
	global_load_b32 v17, v0, s[4:5] offset:8192 scale_offset
.LBB2726_11:
	s_wait_xcnt 0x0
	s_or_b32 exec_lo, exec_lo, s0
	v_or_b32_e32 v16, 0xa00, v0
	s_mov_b32 s0, exec_lo
                                        ; implicit-def: $vgpr15
	s_delay_alu instid0(VALU_DEP_1)
	v_cmpx_gt_u32_e64 s1, v16
	s_cbranch_execz .LBB2726_13
; %bb.12:
	global_load_b32 v15, v0, s[4:5] offset:10240 scale_offset
.LBB2726_13:
	s_wait_xcnt 0x0
	s_or_b32 exec_lo, exec_lo, s0
	v_or_b32_e32 v14, 0xc00, v0
	s_mov_b32 s0, exec_lo
                                        ; implicit-def: $vgpr13
	s_delay_alu instid0(VALU_DEP_1)
	v_cmpx_gt_u32_e64 s1, v14
	s_cbranch_execz .LBB2726_15
; %bb.14:
	global_load_b32 v13, v0, s[4:5] offset:12288 scale_offset
.LBB2726_15:
	s_wait_xcnt 0x0
	s_or_b32 exec_lo, exec_lo, s0
	v_or_b32_e32 v12, 0xe00, v0
	s_mov_b32 s0, exec_lo
                                        ; implicit-def: $vgpr11
	s_delay_alu instid0(VALU_DEP_1)
	v_cmpx_gt_u32_e64 s1, v12
	s_cbranch_execz .LBB2726_17
; %bb.16:
	global_load_b32 v11, v0, s[4:5] offset:14336 scale_offset
.LBB2726_17:
	s_wait_xcnt 0x0
	s_or_b32 exec_lo, exec_lo, s0
	v_or_b32_e32 v10, 0x1000, v0
	s_mov_b32 s0, exec_lo
                                        ; implicit-def: $vgpr9
	s_delay_alu instid0(VALU_DEP_1)
	v_cmpx_gt_u32_e64 s1, v10
	s_cbranch_execz .LBB2726_19
; %bb.18:
	global_load_b32 v9, v0, s[4:5] offset:16384 scale_offset
.LBB2726_19:
	s_wait_xcnt 0x0
	s_or_b32 exec_lo, exec_lo, s0
	v_or_b32_e32 v8, 0x1200, v0
	s_mov_b32 s0, exec_lo
                                        ; implicit-def: $vgpr7
	s_delay_alu instid0(VALU_DEP_1)
	v_cmpx_gt_u32_e64 s1, v8
	s_cbranch_execz .LBB2726_21
; %bb.20:
	global_load_b32 v7, v0, s[4:5] offset:18432 scale_offset
.LBB2726_21:
	s_wait_xcnt 0x0
	s_or_b32 exec_lo, exec_lo, s0
	v_or_b32_e32 v6, 0x1400, v0
	s_mov_b32 s0, exec_lo
                                        ; implicit-def: $vgpr5
	s_delay_alu instid0(VALU_DEP_1)
	v_cmpx_gt_u32_e64 s1, v6
	s_cbranch_execz .LBB2726_23
; %bb.22:
	global_load_b32 v5, v0, s[4:5] offset:20480 scale_offset
.LBB2726_23:
	s_wait_xcnt 0x0
	s_or_b32 exec_lo, exec_lo, s0
	v_or_b32_e32 v4, 0x1600, v0
	s_mov_b32 s0, exec_lo
                                        ; implicit-def: $vgpr2
	s_delay_alu instid0(VALU_DEP_1)
	v_cmpx_gt_u32_e64 s1, v4
	s_cbranch_execz .LBB2726_25
; %bb.24:
	global_load_b32 v2, v0, s[4:5] offset:22528 scale_offset
.LBB2726_25:
	s_wait_xcnt 0x0
	s_or_b32 exec_lo, exec_lo, s0
	v_dual_lshlrev_b32 v1, 2, v0 :: v_dual_mov_b32 v3, 0
	s_mov_b32 s0, -1
	ds_store_2addr_stride64_b32 v1, v3, v3 offset1:8
	ds_store_2addr_stride64_b32 v1, v3, v3 offset0:16 offset1:24
	s_and_saveexec_b32 s8, s0
; %bb.26:
	ds_store_b32 v1, v3 offset:8192
; %bb.27:
	s_or_b32 exec_lo, exec_lo, s8
	s_and_saveexec_b32 s8, s0
; %bb.28:
	v_mov_b32_e32 v3, 0
	ds_store_b32 v1, v3 offset:10240
; %bb.29:
	s_or_b32 exec_lo, exec_lo, s8
	v_cmp_gt_u32_e64 s0, 7, 6
	s_mov_b32 s8, exec_lo
	v_cmpx_gt_u32_e64 7, 5
; %bb.30:
	v_mov_b32_e32 v3, 0
	ds_store_b32 v1, v3 offset:12288
; %bb.31:
	s_or_b32 exec_lo, exec_lo, s8
	s_and_saveexec_b32 s8, s0
; %bb.32:
	v_mov_b32_e32 v3, 0
	ds_store_b32 v1, v3 offset:14336
; %bb.33:
	s_or_b32 exec_lo, exec_lo, s8
	s_cmp_le_u32 s3, s2
	v_cmp_le_u32_e32 vcc_lo, s1, v0
	s_cselect_b32 s8, -1, 0
	s_wait_loadcnt_dscnt 0x0
	s_and_b32 s0, s8, exec_lo
	s_cselect_b32 s9, 8, 10
	s_delay_alu instid0(SALU_CYCLE_1)
	v_dual_mov_b32 v26, s9 :: v_dual_bitop2_b32 v3, 3, v0 bitop3:0x40
	s_nor_b32 s10, s8, vcc_lo
	s_barrier_signal -1
	s_barrier_wait -1
	s_and_saveexec_b32 s0, s10
	s_cbranch_execz .LBB2726_35
; %bb.34:
	v_dual_lshrrev_b32 v26, s2, v25 :: v_dual_lshlrev_b32 v27, 2, v3
	s_sub_co_i32 s10, s3, s2
	s_delay_alu instid0(SALU_CYCLE_1)
	s_min_u32 s10, s10, 8
	s_delay_alu instid0(VALU_DEP_1) | instid1(SALU_CYCLE_1)
	v_bfe_u32 v26, v26, 0, s10
	s_delay_alu instid0(VALU_DEP_1)
	v_lshl_or_b32 v26, v26, 4, v27
	v_mov_b32_e32 v27, 1
	ds_add_u32 v26, v27
	v_mov_b32_e32 v26, 0
.LBB2726_35:
	s_or_b32 exec_lo, exec_lo, s0
	s_mov_b32 s11, -1
	s_mov_b32 s10, exec_lo
	s_delay_alu instid0(VALU_DEP_1)
	v_cmpx_gt_i32_e32 10, v26
; %bb.36:
	v_cmp_eq_u32_e64 s0, 0, v26
	s_or_not1_b32 s11, s0, exec_lo
; %bb.37:
	s_or_b32 exec_lo, exec_lo, s10
	s_and_saveexec_b32 s10, s11
	s_cbranch_execz .LBB2726_50
; %bb.38:
	s_add_co_i32 s11, s2, 8
	s_delay_alu instid0(SALU_CYCLE_1) | instskip(SKIP_1) | instid1(SALU_CYCLE_1)
	s_cmp_le_u32 s3, s11
	s_cselect_b32 s0, -1, 0
	s_and_b32 s12, s0, exec_lo
	s_cselect_b32 s12, 8, 10
	s_delay_alu instid0(SALU_CYCLE_1) | instskip(SKIP_1) | instid1(SALU_CYCLE_1)
	v_mov_b32_e32 v26, s12
	s_nor_b32 s12, s0, vcc_lo
	s_and_saveexec_b32 s0, s12
	s_cbranch_execz .LBB2726_40
; %bb.39:
	v_dual_lshrrev_b32 v26, s11, v25 :: v_dual_lshlrev_b32 v27, 2, v3
	s_sub_co_i32 s11, s3, s11
	s_delay_alu instid0(SALU_CYCLE_1)
	s_min_u32 s11, s11, 8
	s_delay_alu instid0(VALU_DEP_1) | instid1(SALU_CYCLE_1)
	v_bfe_u32 v26, v26, 0, s11
	s_delay_alu instid0(VALU_DEP_1)
	v_lshl_or_b32 v26, v26, 4, v27
	v_mov_b32_e32 v27, 1
	ds_add_u32 v26, v27 offset:4096
	v_mov_b32_e32 v26, 0
.LBB2726_40:
	s_or_b32 exec_lo, exec_lo, s0
	s_mov_b32 s11, -1
	s_mov_b32 s12, exec_lo
	s_delay_alu instid0(VALU_DEP_1)
	v_cmpx_gt_i32_e32 10, v26
; %bb.41:
	v_cmp_eq_u32_e64 s0, 0, v26
	s_or_not1_b32 s11, s0, exec_lo
; %bb.42:
	s_or_b32 exec_lo, exec_lo, s12
	s_delay_alu instid0(SALU_CYCLE_1)
	s_and_b32 exec_lo, exec_lo, s11
	s_cbranch_execz .LBB2726_50
; %bb.43:
	s_add_co_i32 s11, s2, 16
	s_delay_alu instid0(SALU_CYCLE_1) | instskip(SKIP_1) | instid1(SALU_CYCLE_1)
	s_cmp_le_u32 s3, s11
	s_cselect_b32 s0, -1, 0
	s_and_b32 s12, s0, exec_lo
	s_cselect_b32 s12, 8, 10
	s_delay_alu instid0(SALU_CYCLE_1) | instskip(SKIP_1) | instid1(SALU_CYCLE_1)
	v_mov_b32_e32 v26, s12
	s_nor_b32 s12, s0, vcc_lo
	s_and_saveexec_b32 s0, s12
	s_cbranch_execz .LBB2726_45
; %bb.44:
	v_dual_lshrrev_b32 v26, s11, v25 :: v_dual_lshlrev_b32 v27, 2, v3
	s_sub_co_i32 s11, s3, s11
	s_delay_alu instid0(SALU_CYCLE_1)
	s_min_u32 s11, s11, 8
	s_delay_alu instid0(VALU_DEP_1) | instid1(SALU_CYCLE_1)
	v_bfe_u32 v26, v26, 0, s11
	s_delay_alu instid0(VALU_DEP_1)
	v_lshl_or_b32 v26, v26, 4, v27
	v_mov_b32_e32 v27, 1
	ds_add_u32 v26, v27 offset:8192
	v_mov_b32_e32 v26, 0
.LBB2726_45:
	s_or_b32 exec_lo, exec_lo, s0
	s_mov_b32 s11, -1
	s_mov_b32 s12, exec_lo
	s_delay_alu instid0(VALU_DEP_1)
	v_cmpx_gt_i32_e32 10, v26
; %bb.46:
	v_cmp_eq_u32_e64 s0, 0, v26
	s_or_not1_b32 s11, s0, exec_lo
; %bb.47:
	s_or_b32 exec_lo, exec_lo, s12
	s_delay_alu instid0(SALU_CYCLE_1)
	s_and_b32 exec_lo, exec_lo, s11
	s_cbranch_execz .LBB2726_50
; %bb.48:
	s_add_co_i32 s0, s2, 24
	s_delay_alu instid0(SALU_CYCLE_1) | instskip(SKIP_2) | instid1(SALU_CYCLE_1)
	s_cmp_gt_u32 s3, s0
	s_cselect_b32 s11, -1, 0
	s_xor_b32 s12, vcc_lo, -1
	s_and_b32 s11, s11, s12
	s_delay_alu instid0(SALU_CYCLE_1)
	s_and_b32 exec_lo, exec_lo, s11
	s_cbranch_execz .LBB2726_50
; %bb.49:
	v_dual_lshrrev_b32 v25, s0, v25 :: v_dual_lshlrev_b32 v26, 2, v3
	s_sub_co_i32 s0, s3, s0
	s_delay_alu instid0(SALU_CYCLE_1)
	s_min_u32 s0, s0, 8
	s_delay_alu instid0(VALU_DEP_1) | instid1(SALU_CYCLE_1)
	v_bfe_u32 v25, v25, 0, s0
	s_delay_alu instid0(VALU_DEP_1)
	v_lshl_or_b32 v25, v25, 4, v26
	v_mov_b32_e32 v26, 1
	ds_add_u32 v25, v26 offset:12288
.LBB2726_50:
	s_or_b32 exec_lo, exec_lo, s10
	v_cmp_le_u32_e32 vcc_lo, s1, v24
	v_mov_b32_e32 v24, s9
	s_nor_b32 s10, s8, vcc_lo
	s_delay_alu instid0(SALU_CYCLE_1)
	s_and_saveexec_b32 s0, s10
	s_cbranch_execz .LBB2726_52
; %bb.51:
	v_lshrrev_b32_e32 v24, s2, v23
	s_sub_co_i32 s10, s3, s2
	v_lshlrev_b32_e32 v25, 2, v3
	s_min_u32 s10, s10, 8
	s_delay_alu instid0(VALU_DEP_2) | instid1(SALU_CYCLE_1)
	v_bfe_u32 v24, v24, 0, s10
	s_delay_alu instid0(VALU_DEP_1)
	v_lshl_or_b32 v24, v24, 4, v25
	v_mov_b32_e32 v25, 1
	ds_add_u32 v24, v25
	v_mov_b32_e32 v24, 0
.LBB2726_52:
	s_or_b32 exec_lo, exec_lo, s0
	s_mov_b32 s11, -1
	s_mov_b32 s10, exec_lo
	s_delay_alu instid0(VALU_DEP_1)
	v_cmpx_gt_i32_e32 10, v24
; %bb.53:
	v_cmp_eq_u32_e64 s0, 0, v24
	s_or_not1_b32 s11, s0, exec_lo
; %bb.54:
	s_or_b32 exec_lo, exec_lo, s10
	s_and_saveexec_b32 s10, s11
	s_cbranch_execz .LBB2726_67
; %bb.55:
	s_add_co_i32 s11, s2, 8
	s_delay_alu instid0(SALU_CYCLE_1) | instskip(SKIP_1) | instid1(SALU_CYCLE_1)
	s_cmp_le_u32 s3, s11
	s_cselect_b32 s0, -1, 0
	s_and_b32 s12, s0, exec_lo
	s_cselect_b32 s12, 8, 10
	s_delay_alu instid0(SALU_CYCLE_1) | instskip(SKIP_1) | instid1(SALU_CYCLE_1)
	v_mov_b32_e32 v24, s12
	s_nor_b32 s12, s0, vcc_lo
	s_and_saveexec_b32 s0, s12
	s_cbranch_execz .LBB2726_57
; %bb.56:
	v_lshrrev_b32_e32 v24, s11, v23
	s_sub_co_i32 s11, s3, s11
	v_lshlrev_b32_e32 v25, 2, v3
	s_min_u32 s11, s11, 8
	s_delay_alu instid0(VALU_DEP_2) | instid1(SALU_CYCLE_1)
	v_bfe_u32 v24, v24, 0, s11
	s_delay_alu instid0(VALU_DEP_1)
	v_lshl_or_b32 v24, v24, 4, v25
	v_mov_b32_e32 v25, 1
	ds_add_u32 v24, v25 offset:4096
	v_mov_b32_e32 v24, 0
.LBB2726_57:
	s_or_b32 exec_lo, exec_lo, s0
	s_mov_b32 s11, -1
	s_mov_b32 s12, exec_lo
	s_delay_alu instid0(VALU_DEP_1)
	v_cmpx_gt_i32_e32 10, v24
; %bb.58:
	v_cmp_eq_u32_e64 s0, 0, v24
	s_or_not1_b32 s11, s0, exec_lo
; %bb.59:
	s_or_b32 exec_lo, exec_lo, s12
	s_delay_alu instid0(SALU_CYCLE_1)
	s_and_b32 exec_lo, exec_lo, s11
	s_cbranch_execz .LBB2726_67
; %bb.60:
	s_add_co_i32 s11, s2, 16
	s_delay_alu instid0(SALU_CYCLE_1) | instskip(SKIP_1) | instid1(SALU_CYCLE_1)
	s_cmp_le_u32 s3, s11
	s_cselect_b32 s0, -1, 0
	s_and_b32 s12, s0, exec_lo
	s_cselect_b32 s12, 8, 10
	s_delay_alu instid0(SALU_CYCLE_1) | instskip(SKIP_1) | instid1(SALU_CYCLE_1)
	v_mov_b32_e32 v24, s12
	s_nor_b32 s12, s0, vcc_lo
	s_and_saveexec_b32 s0, s12
	s_cbranch_execz .LBB2726_62
; %bb.61:
	v_lshrrev_b32_e32 v24, s11, v23
	s_sub_co_i32 s11, s3, s11
	v_lshlrev_b32_e32 v25, 2, v3
	s_min_u32 s11, s11, 8
	s_delay_alu instid0(VALU_DEP_2) | instid1(SALU_CYCLE_1)
	v_bfe_u32 v24, v24, 0, s11
	s_delay_alu instid0(VALU_DEP_1)
	v_lshl_or_b32 v24, v24, 4, v25
	v_mov_b32_e32 v25, 1
	ds_add_u32 v24, v25 offset:8192
	v_mov_b32_e32 v24, 0
.LBB2726_62:
	s_or_b32 exec_lo, exec_lo, s0
	s_mov_b32 s11, -1
	s_mov_b32 s12, exec_lo
	s_delay_alu instid0(VALU_DEP_1)
	v_cmpx_gt_i32_e32 10, v24
; %bb.63:
	v_cmp_eq_u32_e64 s0, 0, v24
	s_or_not1_b32 s11, s0, exec_lo
; %bb.64:
	s_or_b32 exec_lo, exec_lo, s12
	s_delay_alu instid0(SALU_CYCLE_1)
	s_and_b32 exec_lo, exec_lo, s11
	s_cbranch_execz .LBB2726_67
; %bb.65:
	s_add_co_i32 s0, s2, 24
	s_delay_alu instid0(SALU_CYCLE_1) | instskip(SKIP_2) | instid1(SALU_CYCLE_1)
	s_cmp_gt_u32 s3, s0
	s_cselect_b32 s11, -1, 0
	s_xor_b32 s12, vcc_lo, -1
	s_and_b32 s11, s11, s12
	s_delay_alu instid0(SALU_CYCLE_1)
	s_and_b32 exec_lo, exec_lo, s11
	s_cbranch_execz .LBB2726_67
; %bb.66:
	v_lshrrev_b32_e32 v23, s0, v23
	s_sub_co_i32 s0, s3, s0
	v_lshlrev_b32_e32 v24, 2, v3
	s_min_u32 s0, s0, 8
	s_delay_alu instid0(VALU_DEP_2) | instid1(SALU_CYCLE_1)
	v_bfe_u32 v23, v23, 0, s0
	s_delay_alu instid0(VALU_DEP_1)
	v_lshl_or_b32 v23, v23, 4, v24
	v_mov_b32_e32 v24, 1
	ds_add_u32 v23, v24 offset:12288
.LBB2726_67:
	s_or_b32 exec_lo, exec_lo, s10
	v_cmp_le_u32_e32 vcc_lo, s1, v22
	v_mov_b32_e32 v22, s9
	s_nor_b32 s10, s8, vcc_lo
	s_delay_alu instid0(SALU_CYCLE_1)
	s_and_saveexec_b32 s0, s10
	s_cbranch_execz .LBB2726_69
; %bb.68:
	v_dual_lshrrev_b32 v22, s2, v21 :: v_dual_lshlrev_b32 v23, 2, v3
	s_sub_co_i32 s10, s3, s2
	s_delay_alu instid0(SALU_CYCLE_1)
	s_min_u32 s10, s10, 8
	s_delay_alu instid0(VALU_DEP_1) | instid1(SALU_CYCLE_1)
	v_bfe_u32 v22, v22, 0, s10
	s_delay_alu instid0(VALU_DEP_1)
	v_lshl_or_b32 v22, v22, 4, v23
	v_mov_b32_e32 v23, 1
	ds_add_u32 v22, v23
	v_mov_b32_e32 v22, 0
.LBB2726_69:
	s_or_b32 exec_lo, exec_lo, s0
	s_mov_b32 s11, -1
	s_mov_b32 s10, exec_lo
	s_delay_alu instid0(VALU_DEP_1)
	v_cmpx_gt_i32_e32 10, v22
; %bb.70:
	v_cmp_eq_u32_e64 s0, 0, v22
	s_or_not1_b32 s11, s0, exec_lo
; %bb.71:
	s_or_b32 exec_lo, exec_lo, s10
	s_and_saveexec_b32 s10, s11
	s_cbranch_execz .LBB2726_84
; %bb.72:
	s_add_co_i32 s11, s2, 8
	s_delay_alu instid0(SALU_CYCLE_1) | instskip(SKIP_1) | instid1(SALU_CYCLE_1)
	s_cmp_le_u32 s3, s11
	s_cselect_b32 s0, -1, 0
	s_and_b32 s12, s0, exec_lo
	s_cselect_b32 s12, 8, 10
	s_delay_alu instid0(SALU_CYCLE_1) | instskip(SKIP_1) | instid1(SALU_CYCLE_1)
	v_mov_b32_e32 v22, s12
	s_nor_b32 s12, s0, vcc_lo
	s_and_saveexec_b32 s0, s12
	s_cbranch_execz .LBB2726_74
; %bb.73:
	v_dual_lshrrev_b32 v22, s11, v21 :: v_dual_lshlrev_b32 v23, 2, v3
	s_sub_co_i32 s11, s3, s11
	s_delay_alu instid0(SALU_CYCLE_1)
	s_min_u32 s11, s11, 8
	s_delay_alu instid0(VALU_DEP_1) | instid1(SALU_CYCLE_1)
	v_bfe_u32 v22, v22, 0, s11
	s_delay_alu instid0(VALU_DEP_1)
	v_lshl_or_b32 v22, v22, 4, v23
	v_mov_b32_e32 v23, 1
	ds_add_u32 v22, v23 offset:4096
	v_mov_b32_e32 v22, 0
.LBB2726_74:
	s_or_b32 exec_lo, exec_lo, s0
	s_mov_b32 s11, -1
	s_mov_b32 s12, exec_lo
	s_delay_alu instid0(VALU_DEP_1)
	v_cmpx_gt_i32_e32 10, v22
; %bb.75:
	v_cmp_eq_u32_e64 s0, 0, v22
	s_or_not1_b32 s11, s0, exec_lo
; %bb.76:
	s_or_b32 exec_lo, exec_lo, s12
	s_delay_alu instid0(SALU_CYCLE_1)
	s_and_b32 exec_lo, exec_lo, s11
	s_cbranch_execz .LBB2726_84
; %bb.77:
	s_add_co_i32 s11, s2, 16
	s_delay_alu instid0(SALU_CYCLE_1) | instskip(SKIP_1) | instid1(SALU_CYCLE_1)
	s_cmp_le_u32 s3, s11
	s_cselect_b32 s0, -1, 0
	s_and_b32 s12, s0, exec_lo
	s_cselect_b32 s12, 8, 10
	s_delay_alu instid0(SALU_CYCLE_1) | instskip(SKIP_1) | instid1(SALU_CYCLE_1)
	v_mov_b32_e32 v22, s12
	s_nor_b32 s12, s0, vcc_lo
	s_and_saveexec_b32 s0, s12
	s_cbranch_execz .LBB2726_79
; %bb.78:
	v_dual_lshrrev_b32 v22, s11, v21 :: v_dual_lshlrev_b32 v23, 2, v3
	s_sub_co_i32 s11, s3, s11
	s_delay_alu instid0(SALU_CYCLE_1)
	s_min_u32 s11, s11, 8
	s_delay_alu instid0(VALU_DEP_1) | instid1(SALU_CYCLE_1)
	v_bfe_u32 v22, v22, 0, s11
	s_delay_alu instid0(VALU_DEP_1)
	v_lshl_or_b32 v22, v22, 4, v23
	v_mov_b32_e32 v23, 1
	ds_add_u32 v22, v23 offset:8192
	v_mov_b32_e32 v22, 0
.LBB2726_79:
	s_or_b32 exec_lo, exec_lo, s0
	s_mov_b32 s11, -1
	s_mov_b32 s12, exec_lo
	s_delay_alu instid0(VALU_DEP_1)
	v_cmpx_gt_i32_e32 10, v22
; %bb.80:
	v_cmp_eq_u32_e64 s0, 0, v22
	s_or_not1_b32 s11, s0, exec_lo
; %bb.81:
	s_or_b32 exec_lo, exec_lo, s12
	s_delay_alu instid0(SALU_CYCLE_1)
	s_and_b32 exec_lo, exec_lo, s11
	s_cbranch_execz .LBB2726_84
; %bb.82:
	s_add_co_i32 s0, s2, 24
	s_delay_alu instid0(SALU_CYCLE_1) | instskip(SKIP_2) | instid1(SALU_CYCLE_1)
	s_cmp_gt_u32 s3, s0
	s_cselect_b32 s11, -1, 0
	s_xor_b32 s12, vcc_lo, -1
	s_and_b32 s11, s11, s12
	s_delay_alu instid0(SALU_CYCLE_1)
	s_and_b32 exec_lo, exec_lo, s11
	s_cbranch_execz .LBB2726_84
; %bb.83:
	v_dual_lshrrev_b32 v21, s0, v21 :: v_dual_lshlrev_b32 v22, 2, v3
	s_sub_co_i32 s0, s3, s0
	s_delay_alu instid0(SALU_CYCLE_1)
	s_min_u32 s0, s0, 8
	s_delay_alu instid0(VALU_DEP_1) | instid1(SALU_CYCLE_1)
	v_bfe_u32 v21, v21, 0, s0
	s_delay_alu instid0(VALU_DEP_1)
	v_lshl_or_b32 v21, v21, 4, v22
	v_mov_b32_e32 v22, 1
	ds_add_u32 v21, v22 offset:12288
.LBB2726_84:
	s_or_b32 exec_lo, exec_lo, s10
	v_cmp_le_u32_e32 vcc_lo, s1, v20
	v_mov_b32_e32 v20, s9
	s_nor_b32 s10, s8, vcc_lo
	s_delay_alu instid0(SALU_CYCLE_1)
	s_and_saveexec_b32 s0, s10
	s_cbranch_execz .LBB2726_86
; %bb.85:
	v_lshrrev_b32_e32 v20, s2, v19
	s_sub_co_i32 s10, s3, s2
	v_lshlrev_b32_e32 v21, 2, v3
	s_min_u32 s10, s10, 8
	s_delay_alu instid0(VALU_DEP_2) | instid1(SALU_CYCLE_1)
	v_bfe_u32 v20, v20, 0, s10
	s_delay_alu instid0(VALU_DEP_1)
	v_lshl_or_b32 v20, v20, 4, v21
	v_mov_b32_e32 v21, 1
	ds_add_u32 v20, v21
	v_mov_b32_e32 v20, 0
.LBB2726_86:
	s_or_b32 exec_lo, exec_lo, s0
	s_mov_b32 s11, -1
	s_mov_b32 s10, exec_lo
	s_delay_alu instid0(VALU_DEP_1)
	v_cmpx_gt_i32_e32 10, v20
; %bb.87:
	v_cmp_eq_u32_e64 s0, 0, v20
	s_or_not1_b32 s11, s0, exec_lo
; %bb.88:
	s_or_b32 exec_lo, exec_lo, s10
	s_and_saveexec_b32 s10, s11
	s_cbranch_execz .LBB2726_101
; %bb.89:
	s_add_co_i32 s11, s2, 8
	s_delay_alu instid0(SALU_CYCLE_1) | instskip(SKIP_1) | instid1(SALU_CYCLE_1)
	s_cmp_le_u32 s3, s11
	s_cselect_b32 s0, -1, 0
	s_and_b32 s12, s0, exec_lo
	s_cselect_b32 s12, 8, 10
	s_delay_alu instid0(SALU_CYCLE_1) | instskip(SKIP_1) | instid1(SALU_CYCLE_1)
	v_mov_b32_e32 v20, s12
	s_nor_b32 s12, s0, vcc_lo
	s_and_saveexec_b32 s0, s12
	s_cbranch_execz .LBB2726_91
; %bb.90:
	v_lshrrev_b32_e32 v20, s11, v19
	s_sub_co_i32 s11, s3, s11
	v_lshlrev_b32_e32 v21, 2, v3
	s_min_u32 s11, s11, 8
	s_delay_alu instid0(VALU_DEP_2) | instid1(SALU_CYCLE_1)
	v_bfe_u32 v20, v20, 0, s11
	s_delay_alu instid0(VALU_DEP_1)
	v_lshl_or_b32 v20, v20, 4, v21
	v_mov_b32_e32 v21, 1
	ds_add_u32 v20, v21 offset:4096
	v_mov_b32_e32 v20, 0
.LBB2726_91:
	s_or_b32 exec_lo, exec_lo, s0
	s_mov_b32 s11, -1
	s_mov_b32 s12, exec_lo
	s_delay_alu instid0(VALU_DEP_1)
	v_cmpx_gt_i32_e32 10, v20
; %bb.92:
	v_cmp_eq_u32_e64 s0, 0, v20
	s_or_not1_b32 s11, s0, exec_lo
; %bb.93:
	s_or_b32 exec_lo, exec_lo, s12
	s_delay_alu instid0(SALU_CYCLE_1)
	s_and_b32 exec_lo, exec_lo, s11
	s_cbranch_execz .LBB2726_101
; %bb.94:
	s_add_co_i32 s11, s2, 16
	s_delay_alu instid0(SALU_CYCLE_1) | instskip(SKIP_1) | instid1(SALU_CYCLE_1)
	s_cmp_le_u32 s3, s11
	s_cselect_b32 s0, -1, 0
	s_and_b32 s12, s0, exec_lo
	s_cselect_b32 s12, 8, 10
	s_delay_alu instid0(SALU_CYCLE_1) | instskip(SKIP_1) | instid1(SALU_CYCLE_1)
	v_mov_b32_e32 v20, s12
	s_nor_b32 s12, s0, vcc_lo
	s_and_saveexec_b32 s0, s12
	s_cbranch_execz .LBB2726_96
; %bb.95:
	v_lshrrev_b32_e32 v20, s11, v19
	s_sub_co_i32 s11, s3, s11
	v_lshlrev_b32_e32 v21, 2, v3
	s_min_u32 s11, s11, 8
	s_delay_alu instid0(VALU_DEP_2) | instid1(SALU_CYCLE_1)
	v_bfe_u32 v20, v20, 0, s11
	s_delay_alu instid0(VALU_DEP_1)
	v_lshl_or_b32 v20, v20, 4, v21
	v_mov_b32_e32 v21, 1
	ds_add_u32 v20, v21 offset:8192
	v_mov_b32_e32 v20, 0
.LBB2726_96:
	s_or_b32 exec_lo, exec_lo, s0
	s_mov_b32 s11, -1
	s_mov_b32 s12, exec_lo
	s_delay_alu instid0(VALU_DEP_1)
	v_cmpx_gt_i32_e32 10, v20
; %bb.97:
	v_cmp_eq_u32_e64 s0, 0, v20
	s_or_not1_b32 s11, s0, exec_lo
; %bb.98:
	s_or_b32 exec_lo, exec_lo, s12
	s_delay_alu instid0(SALU_CYCLE_1)
	s_and_b32 exec_lo, exec_lo, s11
	s_cbranch_execz .LBB2726_101
; %bb.99:
	s_add_co_i32 s0, s2, 24
	s_delay_alu instid0(SALU_CYCLE_1) | instskip(SKIP_2) | instid1(SALU_CYCLE_1)
	s_cmp_gt_u32 s3, s0
	s_cselect_b32 s11, -1, 0
	s_xor_b32 s12, vcc_lo, -1
	s_and_b32 s11, s11, s12
	s_delay_alu instid0(SALU_CYCLE_1)
	s_and_b32 exec_lo, exec_lo, s11
	s_cbranch_execz .LBB2726_101
; %bb.100:
	v_lshrrev_b32_e32 v19, s0, v19
	s_sub_co_i32 s0, s3, s0
	v_lshlrev_b32_e32 v20, 2, v3
	s_min_u32 s0, s0, 8
	s_delay_alu instid0(VALU_DEP_2) | instid1(SALU_CYCLE_1)
	v_bfe_u32 v19, v19, 0, s0
	s_delay_alu instid0(VALU_DEP_1)
	v_lshl_or_b32 v19, v19, 4, v20
	v_mov_b32_e32 v20, 1
	ds_add_u32 v19, v20 offset:12288
.LBB2726_101:
	s_or_b32 exec_lo, exec_lo, s10
	v_cmp_le_u32_e32 vcc_lo, s1, v18
	v_mov_b32_e32 v18, s9
	s_nor_b32 s10, s8, vcc_lo
	s_delay_alu instid0(SALU_CYCLE_1)
	s_and_saveexec_b32 s0, s10
	s_cbranch_execz .LBB2726_103
; %bb.102:
	v_dual_lshrrev_b32 v18, s2, v17 :: v_dual_lshlrev_b32 v19, 2, v3
	s_sub_co_i32 s10, s3, s2
	s_delay_alu instid0(SALU_CYCLE_1)
	s_min_u32 s10, s10, 8
	s_delay_alu instid0(VALU_DEP_1) | instid1(SALU_CYCLE_1)
	v_bfe_u32 v18, v18, 0, s10
	s_delay_alu instid0(VALU_DEP_1)
	v_lshl_or_b32 v18, v18, 4, v19
	v_mov_b32_e32 v19, 1
	ds_add_u32 v18, v19
	v_mov_b32_e32 v18, 0
.LBB2726_103:
	s_or_b32 exec_lo, exec_lo, s0
	s_mov_b32 s11, -1
	s_mov_b32 s10, exec_lo
	s_delay_alu instid0(VALU_DEP_1)
	v_cmpx_gt_i32_e32 10, v18
; %bb.104:
	v_cmp_eq_u32_e64 s0, 0, v18
	s_or_not1_b32 s11, s0, exec_lo
; %bb.105:
	s_or_b32 exec_lo, exec_lo, s10
	s_and_saveexec_b32 s10, s11
	s_cbranch_execz .LBB2726_118
; %bb.106:
	s_add_co_i32 s11, s2, 8
	s_delay_alu instid0(SALU_CYCLE_1) | instskip(SKIP_1) | instid1(SALU_CYCLE_1)
	s_cmp_le_u32 s3, s11
	s_cselect_b32 s0, -1, 0
	s_and_b32 s12, s0, exec_lo
	s_cselect_b32 s12, 8, 10
	s_delay_alu instid0(SALU_CYCLE_1) | instskip(SKIP_1) | instid1(SALU_CYCLE_1)
	v_mov_b32_e32 v18, s12
	s_nor_b32 s12, s0, vcc_lo
	s_and_saveexec_b32 s0, s12
	s_cbranch_execz .LBB2726_108
; %bb.107:
	v_dual_lshrrev_b32 v18, s11, v17 :: v_dual_lshlrev_b32 v19, 2, v3
	s_sub_co_i32 s11, s3, s11
	s_delay_alu instid0(SALU_CYCLE_1)
	s_min_u32 s11, s11, 8
	s_delay_alu instid0(VALU_DEP_1) | instid1(SALU_CYCLE_1)
	v_bfe_u32 v18, v18, 0, s11
	s_delay_alu instid0(VALU_DEP_1)
	v_lshl_or_b32 v18, v18, 4, v19
	v_mov_b32_e32 v19, 1
	ds_add_u32 v18, v19 offset:4096
	v_mov_b32_e32 v18, 0
.LBB2726_108:
	s_or_b32 exec_lo, exec_lo, s0
	s_mov_b32 s11, -1
	s_mov_b32 s12, exec_lo
	s_delay_alu instid0(VALU_DEP_1)
	v_cmpx_gt_i32_e32 10, v18
; %bb.109:
	v_cmp_eq_u32_e64 s0, 0, v18
	s_or_not1_b32 s11, s0, exec_lo
; %bb.110:
	s_or_b32 exec_lo, exec_lo, s12
	s_delay_alu instid0(SALU_CYCLE_1)
	s_and_b32 exec_lo, exec_lo, s11
	s_cbranch_execz .LBB2726_118
; %bb.111:
	s_add_co_i32 s11, s2, 16
	s_delay_alu instid0(SALU_CYCLE_1) | instskip(SKIP_1) | instid1(SALU_CYCLE_1)
	s_cmp_le_u32 s3, s11
	s_cselect_b32 s0, -1, 0
	s_and_b32 s12, s0, exec_lo
	s_cselect_b32 s12, 8, 10
	s_delay_alu instid0(SALU_CYCLE_1) | instskip(SKIP_1) | instid1(SALU_CYCLE_1)
	v_mov_b32_e32 v18, s12
	s_nor_b32 s12, s0, vcc_lo
	s_and_saveexec_b32 s0, s12
	s_cbranch_execz .LBB2726_113
; %bb.112:
	v_dual_lshrrev_b32 v18, s11, v17 :: v_dual_lshlrev_b32 v19, 2, v3
	s_sub_co_i32 s11, s3, s11
	s_delay_alu instid0(SALU_CYCLE_1)
	s_min_u32 s11, s11, 8
	s_delay_alu instid0(VALU_DEP_1) | instid1(SALU_CYCLE_1)
	v_bfe_u32 v18, v18, 0, s11
	s_delay_alu instid0(VALU_DEP_1)
	v_lshl_or_b32 v18, v18, 4, v19
	v_mov_b32_e32 v19, 1
	ds_add_u32 v18, v19 offset:8192
	v_mov_b32_e32 v18, 0
.LBB2726_113:
	s_or_b32 exec_lo, exec_lo, s0
	s_mov_b32 s11, -1
	s_mov_b32 s12, exec_lo
	s_delay_alu instid0(VALU_DEP_1)
	v_cmpx_gt_i32_e32 10, v18
; %bb.114:
	v_cmp_eq_u32_e64 s0, 0, v18
	s_or_not1_b32 s11, s0, exec_lo
; %bb.115:
	s_or_b32 exec_lo, exec_lo, s12
	s_delay_alu instid0(SALU_CYCLE_1)
	s_and_b32 exec_lo, exec_lo, s11
	s_cbranch_execz .LBB2726_118
; %bb.116:
	s_add_co_i32 s0, s2, 24
	s_delay_alu instid0(SALU_CYCLE_1) | instskip(SKIP_2) | instid1(SALU_CYCLE_1)
	s_cmp_gt_u32 s3, s0
	s_cselect_b32 s11, -1, 0
	s_xor_b32 s12, vcc_lo, -1
	s_and_b32 s11, s11, s12
	s_delay_alu instid0(SALU_CYCLE_1)
	s_and_b32 exec_lo, exec_lo, s11
	s_cbranch_execz .LBB2726_118
; %bb.117:
	v_dual_lshrrev_b32 v17, s0, v17 :: v_dual_lshlrev_b32 v18, 2, v3
	s_sub_co_i32 s0, s3, s0
	s_delay_alu instid0(SALU_CYCLE_1)
	s_min_u32 s0, s0, 8
	s_delay_alu instid0(VALU_DEP_1) | instid1(SALU_CYCLE_1)
	v_bfe_u32 v17, v17, 0, s0
	s_delay_alu instid0(VALU_DEP_1)
	v_lshl_or_b32 v17, v17, 4, v18
	v_mov_b32_e32 v18, 1
	ds_add_u32 v17, v18 offset:12288
.LBB2726_118:
	s_or_b32 exec_lo, exec_lo, s10
	v_cmp_le_u32_e32 vcc_lo, s1, v16
	v_mov_b32_e32 v16, s9
	s_nor_b32 s10, s8, vcc_lo
	s_delay_alu instid0(SALU_CYCLE_1)
	s_and_saveexec_b32 s0, s10
	s_cbranch_execz .LBB2726_120
; %bb.119:
	v_lshrrev_b32_e32 v16, s2, v15
	s_sub_co_i32 s10, s3, s2
	v_lshlrev_b32_e32 v17, 2, v3
	s_min_u32 s10, s10, 8
	s_delay_alu instid0(VALU_DEP_2) | instid1(SALU_CYCLE_1)
	v_bfe_u32 v16, v16, 0, s10
	s_delay_alu instid0(VALU_DEP_1)
	v_lshl_or_b32 v16, v16, 4, v17
	v_mov_b32_e32 v17, 1
	ds_add_u32 v16, v17
	v_mov_b32_e32 v16, 0
.LBB2726_120:
	s_or_b32 exec_lo, exec_lo, s0
	s_mov_b32 s11, -1
	s_mov_b32 s10, exec_lo
	s_delay_alu instid0(VALU_DEP_1)
	v_cmpx_gt_i32_e32 10, v16
; %bb.121:
	v_cmp_eq_u32_e64 s0, 0, v16
	s_or_not1_b32 s11, s0, exec_lo
; %bb.122:
	s_or_b32 exec_lo, exec_lo, s10
	s_and_saveexec_b32 s10, s11
	s_cbranch_execz .LBB2726_135
; %bb.123:
	s_add_co_i32 s11, s2, 8
	s_delay_alu instid0(SALU_CYCLE_1) | instskip(SKIP_1) | instid1(SALU_CYCLE_1)
	s_cmp_le_u32 s3, s11
	s_cselect_b32 s0, -1, 0
	s_and_b32 s12, s0, exec_lo
	s_cselect_b32 s12, 8, 10
	s_delay_alu instid0(SALU_CYCLE_1) | instskip(SKIP_1) | instid1(SALU_CYCLE_1)
	v_mov_b32_e32 v16, s12
	s_nor_b32 s12, s0, vcc_lo
	s_and_saveexec_b32 s0, s12
	s_cbranch_execz .LBB2726_125
; %bb.124:
	v_lshrrev_b32_e32 v16, s11, v15
	s_sub_co_i32 s11, s3, s11
	v_lshlrev_b32_e32 v17, 2, v3
	s_min_u32 s11, s11, 8
	s_delay_alu instid0(VALU_DEP_2) | instid1(SALU_CYCLE_1)
	v_bfe_u32 v16, v16, 0, s11
	s_delay_alu instid0(VALU_DEP_1)
	v_lshl_or_b32 v16, v16, 4, v17
	v_mov_b32_e32 v17, 1
	ds_add_u32 v16, v17 offset:4096
	v_mov_b32_e32 v16, 0
.LBB2726_125:
	s_or_b32 exec_lo, exec_lo, s0
	s_mov_b32 s11, -1
	s_mov_b32 s12, exec_lo
	s_delay_alu instid0(VALU_DEP_1)
	v_cmpx_gt_i32_e32 10, v16
; %bb.126:
	v_cmp_eq_u32_e64 s0, 0, v16
	s_or_not1_b32 s11, s0, exec_lo
; %bb.127:
	s_or_b32 exec_lo, exec_lo, s12
	s_delay_alu instid0(SALU_CYCLE_1)
	s_and_b32 exec_lo, exec_lo, s11
	s_cbranch_execz .LBB2726_135
; %bb.128:
	s_add_co_i32 s11, s2, 16
	s_delay_alu instid0(SALU_CYCLE_1) | instskip(SKIP_1) | instid1(SALU_CYCLE_1)
	s_cmp_le_u32 s3, s11
	s_cselect_b32 s0, -1, 0
	s_and_b32 s12, s0, exec_lo
	s_cselect_b32 s12, 8, 10
	s_delay_alu instid0(SALU_CYCLE_1) | instskip(SKIP_1) | instid1(SALU_CYCLE_1)
	v_mov_b32_e32 v16, s12
	s_nor_b32 s12, s0, vcc_lo
	s_and_saveexec_b32 s0, s12
	s_cbranch_execz .LBB2726_130
; %bb.129:
	v_lshrrev_b32_e32 v16, s11, v15
	s_sub_co_i32 s11, s3, s11
	v_lshlrev_b32_e32 v17, 2, v3
	s_min_u32 s11, s11, 8
	s_delay_alu instid0(VALU_DEP_2) | instid1(SALU_CYCLE_1)
	v_bfe_u32 v16, v16, 0, s11
	s_delay_alu instid0(VALU_DEP_1)
	v_lshl_or_b32 v16, v16, 4, v17
	v_mov_b32_e32 v17, 1
	ds_add_u32 v16, v17 offset:8192
	v_mov_b32_e32 v16, 0
.LBB2726_130:
	s_or_b32 exec_lo, exec_lo, s0
	s_mov_b32 s11, -1
	s_mov_b32 s12, exec_lo
	s_delay_alu instid0(VALU_DEP_1)
	v_cmpx_gt_i32_e32 10, v16
; %bb.131:
	v_cmp_eq_u32_e64 s0, 0, v16
	s_or_not1_b32 s11, s0, exec_lo
; %bb.132:
	s_or_b32 exec_lo, exec_lo, s12
	s_delay_alu instid0(SALU_CYCLE_1)
	s_and_b32 exec_lo, exec_lo, s11
	s_cbranch_execz .LBB2726_135
; %bb.133:
	s_add_co_i32 s0, s2, 24
	s_delay_alu instid0(SALU_CYCLE_1) | instskip(SKIP_2) | instid1(SALU_CYCLE_1)
	s_cmp_gt_u32 s3, s0
	s_cselect_b32 s11, -1, 0
	s_xor_b32 s12, vcc_lo, -1
	s_and_b32 s11, s11, s12
	s_delay_alu instid0(SALU_CYCLE_1)
	s_and_b32 exec_lo, exec_lo, s11
	s_cbranch_execz .LBB2726_135
; %bb.134:
	v_lshrrev_b32_e32 v15, s0, v15
	s_sub_co_i32 s0, s3, s0
	v_lshlrev_b32_e32 v16, 2, v3
	s_min_u32 s0, s0, 8
	s_delay_alu instid0(VALU_DEP_2) | instid1(SALU_CYCLE_1)
	v_bfe_u32 v15, v15, 0, s0
	s_delay_alu instid0(VALU_DEP_1)
	v_lshl_or_b32 v15, v15, 4, v16
	v_mov_b32_e32 v16, 1
	ds_add_u32 v15, v16 offset:12288
.LBB2726_135:
	s_or_b32 exec_lo, exec_lo, s10
	v_cmp_le_u32_e32 vcc_lo, s1, v14
	v_mov_b32_e32 v14, s9
	s_nor_b32 s10, s8, vcc_lo
	s_delay_alu instid0(SALU_CYCLE_1)
	s_and_saveexec_b32 s0, s10
	s_cbranch_execz .LBB2726_137
; %bb.136:
	v_dual_lshrrev_b32 v14, s2, v13 :: v_dual_lshlrev_b32 v15, 2, v3
	s_sub_co_i32 s10, s3, s2
	s_delay_alu instid0(SALU_CYCLE_1)
	s_min_u32 s10, s10, 8
	s_delay_alu instid0(VALU_DEP_1) | instid1(SALU_CYCLE_1)
	v_bfe_u32 v14, v14, 0, s10
	s_delay_alu instid0(VALU_DEP_1)
	v_lshl_or_b32 v14, v14, 4, v15
	v_mov_b32_e32 v15, 1
	ds_add_u32 v14, v15
	v_mov_b32_e32 v14, 0
.LBB2726_137:
	s_or_b32 exec_lo, exec_lo, s0
	s_mov_b32 s11, -1
	s_mov_b32 s10, exec_lo
	s_delay_alu instid0(VALU_DEP_1)
	v_cmpx_gt_i32_e32 10, v14
; %bb.138:
	v_cmp_eq_u32_e64 s0, 0, v14
	s_or_not1_b32 s11, s0, exec_lo
; %bb.139:
	s_or_b32 exec_lo, exec_lo, s10
	s_and_saveexec_b32 s10, s11
	s_cbranch_execz .LBB2726_152
; %bb.140:
	s_add_co_i32 s11, s2, 8
	s_delay_alu instid0(SALU_CYCLE_1) | instskip(SKIP_1) | instid1(SALU_CYCLE_1)
	s_cmp_le_u32 s3, s11
	s_cselect_b32 s0, -1, 0
	s_and_b32 s12, s0, exec_lo
	s_cselect_b32 s12, 8, 10
	s_delay_alu instid0(SALU_CYCLE_1) | instskip(SKIP_1) | instid1(SALU_CYCLE_1)
	v_mov_b32_e32 v14, s12
	s_nor_b32 s12, s0, vcc_lo
	s_and_saveexec_b32 s0, s12
	s_cbranch_execz .LBB2726_142
; %bb.141:
	v_dual_lshrrev_b32 v14, s11, v13 :: v_dual_lshlrev_b32 v15, 2, v3
	s_sub_co_i32 s11, s3, s11
	s_delay_alu instid0(SALU_CYCLE_1)
	s_min_u32 s11, s11, 8
	s_delay_alu instid0(VALU_DEP_1) | instid1(SALU_CYCLE_1)
	v_bfe_u32 v14, v14, 0, s11
	s_delay_alu instid0(VALU_DEP_1)
	v_lshl_or_b32 v14, v14, 4, v15
	v_mov_b32_e32 v15, 1
	ds_add_u32 v14, v15 offset:4096
	v_mov_b32_e32 v14, 0
.LBB2726_142:
	s_or_b32 exec_lo, exec_lo, s0
	s_mov_b32 s11, -1
	s_mov_b32 s12, exec_lo
	s_delay_alu instid0(VALU_DEP_1)
	v_cmpx_gt_i32_e32 10, v14
; %bb.143:
	v_cmp_eq_u32_e64 s0, 0, v14
	s_or_not1_b32 s11, s0, exec_lo
; %bb.144:
	s_or_b32 exec_lo, exec_lo, s12
	s_delay_alu instid0(SALU_CYCLE_1)
	s_and_b32 exec_lo, exec_lo, s11
	s_cbranch_execz .LBB2726_152
; %bb.145:
	s_add_co_i32 s11, s2, 16
	s_delay_alu instid0(SALU_CYCLE_1) | instskip(SKIP_1) | instid1(SALU_CYCLE_1)
	s_cmp_le_u32 s3, s11
	s_cselect_b32 s0, -1, 0
	s_and_b32 s12, s0, exec_lo
	s_cselect_b32 s12, 8, 10
	s_delay_alu instid0(SALU_CYCLE_1) | instskip(SKIP_1) | instid1(SALU_CYCLE_1)
	v_mov_b32_e32 v14, s12
	s_nor_b32 s12, s0, vcc_lo
	s_and_saveexec_b32 s0, s12
	s_cbranch_execz .LBB2726_147
; %bb.146:
	v_dual_lshrrev_b32 v14, s11, v13 :: v_dual_lshlrev_b32 v15, 2, v3
	s_sub_co_i32 s11, s3, s11
	s_delay_alu instid0(SALU_CYCLE_1)
	s_min_u32 s11, s11, 8
	s_delay_alu instid0(VALU_DEP_1) | instid1(SALU_CYCLE_1)
	v_bfe_u32 v14, v14, 0, s11
	s_delay_alu instid0(VALU_DEP_1)
	v_lshl_or_b32 v14, v14, 4, v15
	v_mov_b32_e32 v15, 1
	ds_add_u32 v14, v15 offset:8192
	v_mov_b32_e32 v14, 0
.LBB2726_147:
	s_or_b32 exec_lo, exec_lo, s0
	s_mov_b32 s11, -1
	s_mov_b32 s12, exec_lo
	s_delay_alu instid0(VALU_DEP_1)
	v_cmpx_gt_i32_e32 10, v14
; %bb.148:
	v_cmp_eq_u32_e64 s0, 0, v14
	s_or_not1_b32 s11, s0, exec_lo
; %bb.149:
	s_or_b32 exec_lo, exec_lo, s12
	s_delay_alu instid0(SALU_CYCLE_1)
	s_and_b32 exec_lo, exec_lo, s11
	s_cbranch_execz .LBB2726_152
; %bb.150:
	s_add_co_i32 s0, s2, 24
	s_delay_alu instid0(SALU_CYCLE_1) | instskip(SKIP_2) | instid1(SALU_CYCLE_1)
	s_cmp_gt_u32 s3, s0
	s_cselect_b32 s11, -1, 0
	s_xor_b32 s12, vcc_lo, -1
	s_and_b32 s11, s11, s12
	s_delay_alu instid0(SALU_CYCLE_1)
	s_and_b32 exec_lo, exec_lo, s11
	s_cbranch_execz .LBB2726_152
; %bb.151:
	v_dual_lshrrev_b32 v13, s0, v13 :: v_dual_lshlrev_b32 v14, 2, v3
	s_sub_co_i32 s0, s3, s0
	s_delay_alu instid0(SALU_CYCLE_1)
	s_min_u32 s0, s0, 8
	s_delay_alu instid0(VALU_DEP_1) | instid1(SALU_CYCLE_1)
	v_bfe_u32 v13, v13, 0, s0
	s_delay_alu instid0(VALU_DEP_1)
	v_lshl_or_b32 v13, v13, 4, v14
	v_mov_b32_e32 v14, 1
	ds_add_u32 v13, v14 offset:12288
.LBB2726_152:
	s_or_b32 exec_lo, exec_lo, s10
	v_cmp_le_u32_e32 vcc_lo, s1, v12
	v_mov_b32_e32 v12, s9
	s_nor_b32 s10, s8, vcc_lo
	s_delay_alu instid0(SALU_CYCLE_1)
	s_and_saveexec_b32 s0, s10
	s_cbranch_execz .LBB2726_154
; %bb.153:
	v_lshrrev_b32_e32 v12, s2, v11
	s_sub_co_i32 s10, s3, s2
	v_lshlrev_b32_e32 v13, 2, v3
	s_min_u32 s10, s10, 8
	s_delay_alu instid0(VALU_DEP_2) | instid1(SALU_CYCLE_1)
	v_bfe_u32 v12, v12, 0, s10
	s_delay_alu instid0(VALU_DEP_1)
	v_lshl_or_b32 v12, v12, 4, v13
	v_mov_b32_e32 v13, 1
	ds_add_u32 v12, v13
	v_mov_b32_e32 v12, 0
.LBB2726_154:
	s_or_b32 exec_lo, exec_lo, s0
	s_mov_b32 s11, -1
	s_mov_b32 s10, exec_lo
	s_delay_alu instid0(VALU_DEP_1)
	v_cmpx_gt_i32_e32 10, v12
; %bb.155:
	v_cmp_eq_u32_e64 s0, 0, v12
	s_or_not1_b32 s11, s0, exec_lo
; %bb.156:
	s_or_b32 exec_lo, exec_lo, s10
	s_and_saveexec_b32 s10, s11
	s_cbranch_execz .LBB2726_169
; %bb.157:
	s_add_co_i32 s11, s2, 8
	s_delay_alu instid0(SALU_CYCLE_1) | instskip(SKIP_1) | instid1(SALU_CYCLE_1)
	s_cmp_le_u32 s3, s11
	s_cselect_b32 s0, -1, 0
	s_and_b32 s12, s0, exec_lo
	s_cselect_b32 s12, 8, 10
	s_delay_alu instid0(SALU_CYCLE_1) | instskip(SKIP_1) | instid1(SALU_CYCLE_1)
	v_mov_b32_e32 v12, s12
	s_nor_b32 s12, s0, vcc_lo
	s_and_saveexec_b32 s0, s12
	s_cbranch_execz .LBB2726_159
; %bb.158:
	v_lshrrev_b32_e32 v12, s11, v11
	s_sub_co_i32 s11, s3, s11
	v_lshlrev_b32_e32 v13, 2, v3
	s_min_u32 s11, s11, 8
	s_delay_alu instid0(VALU_DEP_2) | instid1(SALU_CYCLE_1)
	v_bfe_u32 v12, v12, 0, s11
	s_delay_alu instid0(VALU_DEP_1)
	v_lshl_or_b32 v12, v12, 4, v13
	v_mov_b32_e32 v13, 1
	ds_add_u32 v12, v13 offset:4096
	v_mov_b32_e32 v12, 0
.LBB2726_159:
	s_or_b32 exec_lo, exec_lo, s0
	s_mov_b32 s11, -1
	s_mov_b32 s12, exec_lo
	s_delay_alu instid0(VALU_DEP_1)
	v_cmpx_gt_i32_e32 10, v12
; %bb.160:
	v_cmp_eq_u32_e64 s0, 0, v12
	s_or_not1_b32 s11, s0, exec_lo
; %bb.161:
	s_or_b32 exec_lo, exec_lo, s12
	s_delay_alu instid0(SALU_CYCLE_1)
	s_and_b32 exec_lo, exec_lo, s11
	s_cbranch_execz .LBB2726_169
; %bb.162:
	s_add_co_i32 s11, s2, 16
	s_delay_alu instid0(SALU_CYCLE_1) | instskip(SKIP_1) | instid1(SALU_CYCLE_1)
	s_cmp_le_u32 s3, s11
	s_cselect_b32 s0, -1, 0
	s_and_b32 s12, s0, exec_lo
	s_cselect_b32 s12, 8, 10
	s_delay_alu instid0(SALU_CYCLE_1) | instskip(SKIP_1) | instid1(SALU_CYCLE_1)
	v_mov_b32_e32 v12, s12
	s_nor_b32 s12, s0, vcc_lo
	s_and_saveexec_b32 s0, s12
	s_cbranch_execz .LBB2726_164
; %bb.163:
	v_lshrrev_b32_e32 v12, s11, v11
	s_sub_co_i32 s11, s3, s11
	v_lshlrev_b32_e32 v13, 2, v3
	s_min_u32 s11, s11, 8
	s_delay_alu instid0(VALU_DEP_2) | instid1(SALU_CYCLE_1)
	v_bfe_u32 v12, v12, 0, s11
	s_delay_alu instid0(VALU_DEP_1)
	v_lshl_or_b32 v12, v12, 4, v13
	v_mov_b32_e32 v13, 1
	ds_add_u32 v12, v13 offset:8192
	v_mov_b32_e32 v12, 0
.LBB2726_164:
	s_or_b32 exec_lo, exec_lo, s0
	s_mov_b32 s11, -1
	s_mov_b32 s12, exec_lo
	s_delay_alu instid0(VALU_DEP_1)
	v_cmpx_gt_i32_e32 10, v12
; %bb.165:
	v_cmp_eq_u32_e64 s0, 0, v12
	s_or_not1_b32 s11, s0, exec_lo
; %bb.166:
	s_or_b32 exec_lo, exec_lo, s12
	s_delay_alu instid0(SALU_CYCLE_1)
	s_and_b32 exec_lo, exec_lo, s11
	s_cbranch_execz .LBB2726_169
; %bb.167:
	s_add_co_i32 s0, s2, 24
	s_delay_alu instid0(SALU_CYCLE_1) | instskip(SKIP_2) | instid1(SALU_CYCLE_1)
	s_cmp_gt_u32 s3, s0
	s_cselect_b32 s11, -1, 0
	s_xor_b32 s12, vcc_lo, -1
	s_and_b32 s11, s11, s12
	s_delay_alu instid0(SALU_CYCLE_1)
	s_and_b32 exec_lo, exec_lo, s11
	s_cbranch_execz .LBB2726_169
; %bb.168:
	v_lshrrev_b32_e32 v11, s0, v11
	s_sub_co_i32 s0, s3, s0
	v_lshlrev_b32_e32 v12, 2, v3
	s_min_u32 s0, s0, 8
	s_delay_alu instid0(VALU_DEP_2) | instid1(SALU_CYCLE_1)
	v_bfe_u32 v11, v11, 0, s0
	s_delay_alu instid0(VALU_DEP_1)
	v_lshl_or_b32 v11, v11, 4, v12
	v_mov_b32_e32 v12, 1
	ds_add_u32 v11, v12 offset:12288
.LBB2726_169:
	s_or_b32 exec_lo, exec_lo, s10
	v_cmp_le_u32_e32 vcc_lo, s1, v10
	v_mov_b32_e32 v10, s9
	s_nor_b32 s10, s8, vcc_lo
	s_delay_alu instid0(SALU_CYCLE_1)
	s_and_saveexec_b32 s0, s10
	s_cbranch_execz .LBB2726_171
; %bb.170:
	v_dual_lshrrev_b32 v10, s2, v9 :: v_dual_lshlrev_b32 v11, 2, v3
	s_sub_co_i32 s10, s3, s2
	s_delay_alu instid0(SALU_CYCLE_1)
	s_min_u32 s10, s10, 8
	s_delay_alu instid0(VALU_DEP_1) | instid1(SALU_CYCLE_1)
	v_bfe_u32 v10, v10, 0, s10
	s_delay_alu instid0(VALU_DEP_1)
	v_lshl_or_b32 v10, v10, 4, v11
	v_mov_b32_e32 v11, 1
	ds_add_u32 v10, v11
	v_mov_b32_e32 v10, 0
.LBB2726_171:
	s_or_b32 exec_lo, exec_lo, s0
	s_mov_b32 s11, -1
	s_mov_b32 s10, exec_lo
	s_delay_alu instid0(VALU_DEP_1)
	v_cmpx_gt_i32_e32 10, v10
; %bb.172:
	v_cmp_eq_u32_e64 s0, 0, v10
	s_or_not1_b32 s11, s0, exec_lo
; %bb.173:
	s_or_b32 exec_lo, exec_lo, s10
	s_and_saveexec_b32 s10, s11
	s_cbranch_execz .LBB2726_186
; %bb.174:
	s_add_co_i32 s11, s2, 8
	s_delay_alu instid0(SALU_CYCLE_1) | instskip(SKIP_1) | instid1(SALU_CYCLE_1)
	s_cmp_le_u32 s3, s11
	s_cselect_b32 s0, -1, 0
	s_and_b32 s12, s0, exec_lo
	s_cselect_b32 s12, 8, 10
	s_delay_alu instid0(SALU_CYCLE_1) | instskip(SKIP_1) | instid1(SALU_CYCLE_1)
	v_mov_b32_e32 v10, s12
	s_nor_b32 s12, s0, vcc_lo
	s_and_saveexec_b32 s0, s12
	s_cbranch_execz .LBB2726_176
; %bb.175:
	v_dual_lshrrev_b32 v10, s11, v9 :: v_dual_lshlrev_b32 v11, 2, v3
	s_sub_co_i32 s11, s3, s11
	s_delay_alu instid0(SALU_CYCLE_1)
	s_min_u32 s11, s11, 8
	s_delay_alu instid0(VALU_DEP_1) | instid1(SALU_CYCLE_1)
	v_bfe_u32 v10, v10, 0, s11
	s_delay_alu instid0(VALU_DEP_1)
	v_lshl_or_b32 v10, v10, 4, v11
	v_mov_b32_e32 v11, 1
	ds_add_u32 v10, v11 offset:4096
	v_mov_b32_e32 v10, 0
.LBB2726_176:
	s_or_b32 exec_lo, exec_lo, s0
	s_mov_b32 s11, -1
	s_mov_b32 s12, exec_lo
	s_delay_alu instid0(VALU_DEP_1)
	v_cmpx_gt_i32_e32 10, v10
; %bb.177:
	v_cmp_eq_u32_e64 s0, 0, v10
	s_or_not1_b32 s11, s0, exec_lo
; %bb.178:
	s_or_b32 exec_lo, exec_lo, s12
	s_delay_alu instid0(SALU_CYCLE_1)
	s_and_b32 exec_lo, exec_lo, s11
	s_cbranch_execz .LBB2726_186
; %bb.179:
	s_add_co_i32 s11, s2, 16
	s_delay_alu instid0(SALU_CYCLE_1) | instskip(SKIP_1) | instid1(SALU_CYCLE_1)
	s_cmp_le_u32 s3, s11
	s_cselect_b32 s0, -1, 0
	s_and_b32 s12, s0, exec_lo
	s_cselect_b32 s12, 8, 10
	s_delay_alu instid0(SALU_CYCLE_1) | instskip(SKIP_1) | instid1(SALU_CYCLE_1)
	v_mov_b32_e32 v10, s12
	s_nor_b32 s12, s0, vcc_lo
	s_and_saveexec_b32 s0, s12
	s_cbranch_execz .LBB2726_181
; %bb.180:
	v_dual_lshrrev_b32 v10, s11, v9 :: v_dual_lshlrev_b32 v11, 2, v3
	s_sub_co_i32 s11, s3, s11
	s_delay_alu instid0(SALU_CYCLE_1)
	s_min_u32 s11, s11, 8
	s_delay_alu instid0(VALU_DEP_1) | instid1(SALU_CYCLE_1)
	v_bfe_u32 v10, v10, 0, s11
	s_delay_alu instid0(VALU_DEP_1)
	v_lshl_or_b32 v10, v10, 4, v11
	v_mov_b32_e32 v11, 1
	ds_add_u32 v10, v11 offset:8192
	v_mov_b32_e32 v10, 0
.LBB2726_181:
	s_or_b32 exec_lo, exec_lo, s0
	s_mov_b32 s11, -1
	s_mov_b32 s12, exec_lo
	s_delay_alu instid0(VALU_DEP_1)
	v_cmpx_gt_i32_e32 10, v10
; %bb.182:
	v_cmp_eq_u32_e64 s0, 0, v10
	s_or_not1_b32 s11, s0, exec_lo
; %bb.183:
	s_or_b32 exec_lo, exec_lo, s12
	s_delay_alu instid0(SALU_CYCLE_1)
	s_and_b32 exec_lo, exec_lo, s11
	s_cbranch_execz .LBB2726_186
; %bb.184:
	s_add_co_i32 s0, s2, 24
	s_delay_alu instid0(SALU_CYCLE_1) | instskip(SKIP_2) | instid1(SALU_CYCLE_1)
	s_cmp_gt_u32 s3, s0
	s_cselect_b32 s11, -1, 0
	s_xor_b32 s12, vcc_lo, -1
	s_and_b32 s11, s11, s12
	s_delay_alu instid0(SALU_CYCLE_1)
	s_and_b32 exec_lo, exec_lo, s11
	s_cbranch_execz .LBB2726_186
; %bb.185:
	v_dual_lshrrev_b32 v9, s0, v9 :: v_dual_lshlrev_b32 v10, 2, v3
	s_sub_co_i32 s0, s3, s0
	s_delay_alu instid0(SALU_CYCLE_1)
	s_min_u32 s0, s0, 8
	s_delay_alu instid0(VALU_DEP_1) | instid1(SALU_CYCLE_1)
	v_bfe_u32 v9, v9, 0, s0
	s_delay_alu instid0(VALU_DEP_1)
	v_lshl_or_b32 v9, v9, 4, v10
	v_mov_b32_e32 v10, 1
	ds_add_u32 v9, v10 offset:12288
.LBB2726_186:
	s_or_b32 exec_lo, exec_lo, s10
	v_cmp_le_u32_e32 vcc_lo, s1, v8
	v_mov_b32_e32 v8, s9
	s_nor_b32 s10, s8, vcc_lo
	s_delay_alu instid0(SALU_CYCLE_1)
	s_and_saveexec_b32 s0, s10
	s_cbranch_execz .LBB2726_188
; %bb.187:
	v_lshrrev_b32_e32 v8, s2, v7
	s_sub_co_i32 s10, s3, s2
	v_lshlrev_b32_e32 v9, 2, v3
	s_min_u32 s10, s10, 8
	s_delay_alu instid0(VALU_DEP_2) | instid1(SALU_CYCLE_1)
	v_bfe_u32 v8, v8, 0, s10
	s_delay_alu instid0(VALU_DEP_1)
	v_lshl_or_b32 v8, v8, 4, v9
	v_mov_b32_e32 v9, 1
	ds_add_u32 v8, v9
	v_mov_b32_e32 v8, 0
.LBB2726_188:
	s_or_b32 exec_lo, exec_lo, s0
	s_mov_b32 s11, -1
	s_mov_b32 s10, exec_lo
	s_delay_alu instid0(VALU_DEP_1)
	v_cmpx_gt_i32_e32 10, v8
; %bb.189:
	v_cmp_eq_u32_e64 s0, 0, v8
	s_or_not1_b32 s11, s0, exec_lo
; %bb.190:
	s_or_b32 exec_lo, exec_lo, s10
	s_and_saveexec_b32 s10, s11
	s_cbranch_execz .LBB2726_203
; %bb.191:
	s_add_co_i32 s11, s2, 8
	s_delay_alu instid0(SALU_CYCLE_1) | instskip(SKIP_1) | instid1(SALU_CYCLE_1)
	s_cmp_le_u32 s3, s11
	s_cselect_b32 s0, -1, 0
	s_and_b32 s12, s0, exec_lo
	s_cselect_b32 s12, 8, 10
	s_delay_alu instid0(SALU_CYCLE_1) | instskip(SKIP_1) | instid1(SALU_CYCLE_1)
	v_mov_b32_e32 v8, s12
	s_nor_b32 s12, s0, vcc_lo
	s_and_saveexec_b32 s0, s12
	s_cbranch_execz .LBB2726_193
; %bb.192:
	v_lshrrev_b32_e32 v8, s11, v7
	s_sub_co_i32 s11, s3, s11
	v_lshlrev_b32_e32 v9, 2, v3
	s_min_u32 s11, s11, 8
	s_delay_alu instid0(VALU_DEP_2) | instid1(SALU_CYCLE_1)
	v_bfe_u32 v8, v8, 0, s11
	s_delay_alu instid0(VALU_DEP_1)
	v_lshl_or_b32 v8, v8, 4, v9
	v_mov_b32_e32 v9, 1
	ds_add_u32 v8, v9 offset:4096
	v_mov_b32_e32 v8, 0
.LBB2726_193:
	s_or_b32 exec_lo, exec_lo, s0
	s_mov_b32 s11, -1
	s_mov_b32 s12, exec_lo
	s_delay_alu instid0(VALU_DEP_1)
	v_cmpx_gt_i32_e32 10, v8
; %bb.194:
	v_cmp_eq_u32_e64 s0, 0, v8
	s_or_not1_b32 s11, s0, exec_lo
; %bb.195:
	s_or_b32 exec_lo, exec_lo, s12
	s_delay_alu instid0(SALU_CYCLE_1)
	s_and_b32 exec_lo, exec_lo, s11
	s_cbranch_execz .LBB2726_203
; %bb.196:
	s_add_co_i32 s11, s2, 16
	s_delay_alu instid0(SALU_CYCLE_1) | instskip(SKIP_1) | instid1(SALU_CYCLE_1)
	s_cmp_le_u32 s3, s11
	s_cselect_b32 s0, -1, 0
	s_and_b32 s12, s0, exec_lo
	s_cselect_b32 s12, 8, 10
	s_delay_alu instid0(SALU_CYCLE_1) | instskip(SKIP_1) | instid1(SALU_CYCLE_1)
	v_mov_b32_e32 v8, s12
	s_nor_b32 s12, s0, vcc_lo
	s_and_saveexec_b32 s0, s12
	s_cbranch_execz .LBB2726_198
; %bb.197:
	v_lshrrev_b32_e32 v8, s11, v7
	s_sub_co_i32 s11, s3, s11
	v_lshlrev_b32_e32 v9, 2, v3
	s_min_u32 s11, s11, 8
	s_delay_alu instid0(VALU_DEP_2) | instid1(SALU_CYCLE_1)
	v_bfe_u32 v8, v8, 0, s11
	s_delay_alu instid0(VALU_DEP_1)
	v_lshl_or_b32 v8, v8, 4, v9
	v_mov_b32_e32 v9, 1
	ds_add_u32 v8, v9 offset:8192
	v_mov_b32_e32 v8, 0
.LBB2726_198:
	s_or_b32 exec_lo, exec_lo, s0
	s_mov_b32 s11, -1
	s_mov_b32 s12, exec_lo
	s_delay_alu instid0(VALU_DEP_1)
	v_cmpx_gt_i32_e32 10, v8
; %bb.199:
	v_cmp_eq_u32_e64 s0, 0, v8
	s_or_not1_b32 s11, s0, exec_lo
; %bb.200:
	s_or_b32 exec_lo, exec_lo, s12
	s_delay_alu instid0(SALU_CYCLE_1)
	s_and_b32 exec_lo, exec_lo, s11
	s_cbranch_execz .LBB2726_203
; %bb.201:
	s_add_co_i32 s0, s2, 24
	s_delay_alu instid0(SALU_CYCLE_1) | instskip(SKIP_2) | instid1(SALU_CYCLE_1)
	s_cmp_gt_u32 s3, s0
	s_cselect_b32 s11, -1, 0
	s_xor_b32 s12, vcc_lo, -1
	s_and_b32 s11, s11, s12
	s_delay_alu instid0(SALU_CYCLE_1)
	s_and_b32 exec_lo, exec_lo, s11
	s_cbranch_execz .LBB2726_203
; %bb.202:
	v_lshrrev_b32_e32 v7, s0, v7
	s_sub_co_i32 s0, s3, s0
	v_lshlrev_b32_e32 v8, 2, v3
	s_min_u32 s0, s0, 8
	s_delay_alu instid0(VALU_DEP_2) | instid1(SALU_CYCLE_1)
	v_bfe_u32 v7, v7, 0, s0
	s_delay_alu instid0(VALU_DEP_1)
	v_lshl_or_b32 v7, v7, 4, v8
	v_mov_b32_e32 v8, 1
	ds_add_u32 v7, v8 offset:12288
.LBB2726_203:
	s_or_b32 exec_lo, exec_lo, s10
	v_cmp_le_u32_e32 vcc_lo, s1, v6
	v_mov_b32_e32 v6, s9
	s_nor_b32 s10, s8, vcc_lo
	s_delay_alu instid0(SALU_CYCLE_1)
	s_and_saveexec_b32 s0, s10
	s_cbranch_execz .LBB2726_205
; %bb.204:
	v_dual_lshrrev_b32 v6, s2, v5 :: v_dual_lshlrev_b32 v7, 2, v3
	s_sub_co_i32 s10, s3, s2
	s_delay_alu instid0(SALU_CYCLE_1)
	s_min_u32 s10, s10, 8
	s_delay_alu instid0(VALU_DEP_1) | instid1(SALU_CYCLE_1)
	v_bfe_u32 v6, v6, 0, s10
	s_delay_alu instid0(VALU_DEP_1)
	v_lshl_or_b32 v6, v6, 4, v7
	v_mov_b32_e32 v7, 1
	ds_add_u32 v6, v7
	v_mov_b32_e32 v6, 0
.LBB2726_205:
	s_or_b32 exec_lo, exec_lo, s0
	s_mov_b32 s11, -1
	s_mov_b32 s10, exec_lo
	s_delay_alu instid0(VALU_DEP_1)
	v_cmpx_gt_i32_e32 10, v6
; %bb.206:
	v_cmp_eq_u32_e64 s0, 0, v6
	s_or_not1_b32 s11, s0, exec_lo
; %bb.207:
	s_or_b32 exec_lo, exec_lo, s10
	s_and_saveexec_b32 s10, s11
	s_cbranch_execz .LBB2726_220
; %bb.208:
	s_add_co_i32 s11, s2, 8
	s_delay_alu instid0(SALU_CYCLE_1) | instskip(SKIP_1) | instid1(SALU_CYCLE_1)
	s_cmp_le_u32 s3, s11
	s_cselect_b32 s0, -1, 0
	s_and_b32 s12, s0, exec_lo
	s_cselect_b32 s12, 8, 10
	s_delay_alu instid0(SALU_CYCLE_1) | instskip(SKIP_1) | instid1(SALU_CYCLE_1)
	v_mov_b32_e32 v6, s12
	s_nor_b32 s12, s0, vcc_lo
	s_and_saveexec_b32 s0, s12
	s_cbranch_execz .LBB2726_210
; %bb.209:
	v_dual_lshrrev_b32 v6, s11, v5 :: v_dual_lshlrev_b32 v7, 2, v3
	s_sub_co_i32 s11, s3, s11
	s_delay_alu instid0(SALU_CYCLE_1)
	s_min_u32 s11, s11, 8
	s_delay_alu instid0(VALU_DEP_1) | instid1(SALU_CYCLE_1)
	v_bfe_u32 v6, v6, 0, s11
	s_delay_alu instid0(VALU_DEP_1)
	v_lshl_or_b32 v6, v6, 4, v7
	v_mov_b32_e32 v7, 1
	ds_add_u32 v6, v7 offset:4096
	v_mov_b32_e32 v6, 0
.LBB2726_210:
	s_or_b32 exec_lo, exec_lo, s0
	s_mov_b32 s11, -1
	s_mov_b32 s12, exec_lo
	s_delay_alu instid0(VALU_DEP_1)
	v_cmpx_gt_i32_e32 10, v6
; %bb.211:
	v_cmp_eq_u32_e64 s0, 0, v6
	s_or_not1_b32 s11, s0, exec_lo
; %bb.212:
	s_or_b32 exec_lo, exec_lo, s12
	s_delay_alu instid0(SALU_CYCLE_1)
	s_and_b32 exec_lo, exec_lo, s11
	s_cbranch_execz .LBB2726_220
; %bb.213:
	s_add_co_i32 s11, s2, 16
	s_delay_alu instid0(SALU_CYCLE_1) | instskip(SKIP_1) | instid1(SALU_CYCLE_1)
	s_cmp_le_u32 s3, s11
	s_cselect_b32 s0, -1, 0
	s_and_b32 s12, s0, exec_lo
	s_cselect_b32 s12, 8, 10
	s_delay_alu instid0(SALU_CYCLE_1) | instskip(SKIP_1) | instid1(SALU_CYCLE_1)
	v_mov_b32_e32 v6, s12
	s_nor_b32 s12, s0, vcc_lo
	s_and_saveexec_b32 s0, s12
	s_cbranch_execz .LBB2726_215
; %bb.214:
	v_dual_lshrrev_b32 v6, s11, v5 :: v_dual_lshlrev_b32 v7, 2, v3
	s_sub_co_i32 s11, s3, s11
	s_delay_alu instid0(SALU_CYCLE_1)
	s_min_u32 s11, s11, 8
	s_delay_alu instid0(VALU_DEP_1) | instid1(SALU_CYCLE_1)
	v_bfe_u32 v6, v6, 0, s11
	s_delay_alu instid0(VALU_DEP_1)
	v_lshl_or_b32 v6, v6, 4, v7
	v_mov_b32_e32 v7, 1
	ds_add_u32 v6, v7 offset:8192
	v_mov_b32_e32 v6, 0
.LBB2726_215:
	s_or_b32 exec_lo, exec_lo, s0
	s_mov_b32 s11, -1
	s_mov_b32 s12, exec_lo
	s_delay_alu instid0(VALU_DEP_1)
	v_cmpx_gt_i32_e32 10, v6
; %bb.216:
	v_cmp_eq_u32_e64 s0, 0, v6
	s_or_not1_b32 s11, s0, exec_lo
; %bb.217:
	s_or_b32 exec_lo, exec_lo, s12
	s_delay_alu instid0(SALU_CYCLE_1)
	s_and_b32 exec_lo, exec_lo, s11
	s_cbranch_execz .LBB2726_220
; %bb.218:
	s_add_co_i32 s0, s2, 24
	s_delay_alu instid0(SALU_CYCLE_1) | instskip(SKIP_2) | instid1(SALU_CYCLE_1)
	s_cmp_gt_u32 s3, s0
	s_cselect_b32 s11, -1, 0
	s_xor_b32 s12, vcc_lo, -1
	s_and_b32 s11, s11, s12
	s_delay_alu instid0(SALU_CYCLE_1)
	s_and_b32 exec_lo, exec_lo, s11
	s_cbranch_execz .LBB2726_220
; %bb.219:
	v_dual_lshrrev_b32 v5, s0, v5 :: v_dual_lshlrev_b32 v6, 2, v3
	s_sub_co_i32 s0, s3, s0
	s_delay_alu instid0(SALU_CYCLE_1)
	s_min_u32 s0, s0, 8
	s_delay_alu instid0(VALU_DEP_1) | instid1(SALU_CYCLE_1)
	v_bfe_u32 v5, v5, 0, s0
	s_delay_alu instid0(VALU_DEP_1)
	v_lshl_or_b32 v5, v5, 4, v6
	v_mov_b32_e32 v6, 1
	ds_add_u32 v5, v6 offset:12288
.LBB2726_220:
	s_or_b32 exec_lo, exec_lo, s10
	v_cmp_le_u32_e32 vcc_lo, s1, v4
	v_mov_b32_e32 v4, s9
	s_nor_b32 s1, s8, vcc_lo
	s_delay_alu instid0(SALU_CYCLE_1)
	s_and_saveexec_b32 s0, s1
	s_cbranch_execz .LBB2726_222
; %bb.221:
	v_dual_lshrrev_b32 v4, s2, v2 :: v_dual_lshlrev_b32 v5, 2, v3
	s_sub_co_i32 s1, s3, s2
	s_delay_alu instid0(SALU_CYCLE_1)
	s_min_u32 s1, s1, 8
	s_delay_alu instid0(VALU_DEP_1) | instid1(SALU_CYCLE_1)
	v_bfe_u32 v4, v4, 0, s1
	s_delay_alu instid0(VALU_DEP_1)
	v_lshl_or_b32 v4, v4, 4, v5
	v_mov_b32_e32 v5, 1
	ds_add_u32 v4, v5
	v_mov_b32_e32 v4, 0
.LBB2726_222:
	s_or_b32 exec_lo, exec_lo, s0
	s_mov_b32 s8, -1
	s_mov_b32 s1, exec_lo
	s_delay_alu instid0(VALU_DEP_1)
	v_cmpx_gt_i32_e32 10, v4
; %bb.223:
	v_cmp_eq_u32_e64 s0, 0, v4
	s_or_not1_b32 s8, s0, exec_lo
; %bb.224:
	s_or_b32 exec_lo, exec_lo, s1
	s_and_saveexec_b32 s1, s8
	s_cbranch_execz .LBB2726_237
; %bb.225:
	s_add_co_i32 s8, s2, 8
	s_delay_alu instid0(SALU_CYCLE_1) | instskip(SKIP_1) | instid1(SALU_CYCLE_1)
	s_cmp_le_u32 s3, s8
	s_cselect_b32 s0, -1, 0
	s_and_b32 s9, s0, exec_lo
	s_cselect_b32 s9, 8, 10
	s_delay_alu instid0(SALU_CYCLE_1) | instskip(SKIP_1) | instid1(SALU_CYCLE_1)
	v_mov_b32_e32 v4, s9
	s_nor_b32 s9, s0, vcc_lo
	s_and_saveexec_b32 s0, s9
	s_cbranch_execz .LBB2726_227
; %bb.226:
	v_dual_lshrrev_b32 v4, s8, v2 :: v_dual_lshlrev_b32 v5, 2, v3
	s_sub_co_i32 s8, s3, s8
	s_delay_alu instid0(SALU_CYCLE_1)
	s_min_u32 s8, s8, 8
	s_delay_alu instid0(VALU_DEP_1) | instid1(SALU_CYCLE_1)
	v_bfe_u32 v4, v4, 0, s8
	s_delay_alu instid0(VALU_DEP_1)
	v_lshl_or_b32 v4, v4, 4, v5
	v_mov_b32_e32 v5, 1
	ds_add_u32 v4, v5 offset:4096
	v_mov_b32_e32 v4, 0
.LBB2726_227:
	s_or_b32 exec_lo, exec_lo, s0
	s_mov_b32 s8, -1
	s_mov_b32 s9, exec_lo
	s_delay_alu instid0(VALU_DEP_1)
	v_cmpx_gt_i32_e32 10, v4
; %bb.228:
	v_cmp_eq_u32_e64 s0, 0, v4
	s_or_not1_b32 s8, s0, exec_lo
; %bb.229:
	s_or_b32 exec_lo, exec_lo, s9
	s_delay_alu instid0(SALU_CYCLE_1)
	s_and_b32 exec_lo, exec_lo, s8
	s_cbranch_execz .LBB2726_237
; %bb.230:
	s_add_co_i32 s8, s2, 16
	s_delay_alu instid0(SALU_CYCLE_1) | instskip(SKIP_1) | instid1(SALU_CYCLE_1)
	s_cmp_le_u32 s3, s8
	s_cselect_b32 s0, -1, 0
	s_and_b32 s9, s0, exec_lo
	s_cselect_b32 s9, 8, 10
	s_delay_alu instid0(SALU_CYCLE_1) | instskip(SKIP_1) | instid1(SALU_CYCLE_1)
	v_mov_b32_e32 v4, s9
	s_nor_b32 s9, s0, vcc_lo
	s_and_saveexec_b32 s0, s9
	s_cbranch_execz .LBB2726_232
; %bb.231:
	v_dual_lshrrev_b32 v4, s8, v2 :: v_dual_lshlrev_b32 v5, 2, v3
	s_sub_co_i32 s8, s3, s8
	s_delay_alu instid0(SALU_CYCLE_1)
	s_min_u32 s8, s8, 8
	s_delay_alu instid0(VALU_DEP_1) | instid1(SALU_CYCLE_1)
	v_bfe_u32 v4, v4, 0, s8
	s_delay_alu instid0(VALU_DEP_1)
	v_lshl_or_b32 v4, v4, 4, v5
	v_mov_b32_e32 v5, 1
	ds_add_u32 v4, v5 offset:8192
	v_mov_b32_e32 v4, 0
.LBB2726_232:
	s_or_b32 exec_lo, exec_lo, s0
	s_mov_b32 s8, -1
	s_mov_b32 s9, exec_lo
	s_delay_alu instid0(VALU_DEP_1)
	v_cmpx_gt_i32_e32 10, v4
; %bb.233:
	v_cmp_eq_u32_e64 s0, 0, v4
	s_or_not1_b32 s8, s0, exec_lo
; %bb.234:
	s_or_b32 exec_lo, exec_lo, s9
	s_delay_alu instid0(SALU_CYCLE_1)
	s_and_b32 exec_lo, exec_lo, s8
	s_cbranch_execz .LBB2726_237
; %bb.235:
	s_add_co_i32 s0, s2, 24
	s_delay_alu instid0(SALU_CYCLE_1) | instskip(SKIP_2) | instid1(SALU_CYCLE_1)
	s_cmp_gt_u32 s3, s0
	s_cselect_b32 s8, -1, 0
	s_xor_b32 s9, vcc_lo, -1
	s_and_b32 s8, s8, s9
	s_delay_alu instid0(SALU_CYCLE_1)
	s_and_b32 exec_lo, exec_lo, s8
	s_cbranch_execz .LBB2726_237
; %bb.236:
	v_dual_lshrrev_b32 v2, s0, v2 :: v_dual_lshlrev_b32 v3, 2, v3
	s_sub_co_i32 s0, s3, s0
	s_delay_alu instid0(SALU_CYCLE_1)
	s_min_u32 s0, s0, 8
	s_delay_alu instid0(VALU_DEP_1) | instid1(SALU_CYCLE_1)
	v_bfe_u32 v2, v2, 0, s0
	s_delay_alu instid0(VALU_DEP_1)
	v_lshl_or_b32 v2, v2, 4, v3
	v_mov_b32_e32 v3, 1
	ds_add_u32 v2, v3 offset:12288
.LBB2726_237:
	s_or_b32 exec_lo, exec_lo, s1
	s_cmp_gt_u32 s3, s2
	s_wait_dscnt 0x0
	s_barrier_signal -1
	s_barrier_wait -1
	s_cbranch_scc0 .LBB2726_242
; %bb.238:
	v_mad_u32_u24 v1, v0, 12, v1
	v_dual_mov_b32 v3, 0 :: v_dual_mov_b32 v4, v0
	s_mov_b32 s0, s2
	v_cmp_gt_u32_e32 vcc_lo, 0x100, v0
	s_branch .LBB2726_240
.LBB2726_239:                           ;   in Loop: Header=BB2726_240 Depth=1
	s_wait_xcnt 0x0
	s_or_b32 exec_lo, exec_lo, s1
	v_add_nc_u32_e32 v4, 0x100, v4
	v_add_nc_u32_e32 v1, 0x1000, v1
	s_add_co_i32 s0, s0, 8
	s_delay_alu instid0(SALU_CYCLE_1)
	s_cmp_lt_u32 s0, s3
	s_cbranch_scc0 .LBB2726_242
.LBB2726_240:                           ; =>This Inner Loop Header: Depth=1
	s_and_saveexec_b32 s1, vcc_lo
	s_cbranch_execz .LBB2726_239
; %bb.241:                              ;   in Loop: Header=BB2726_240 Depth=1
	ds_load_2addr_b32 v[6:7], v1 offset1:1
	ds_load_2addr_b32 v[8:9], v1 offset0:2 offset1:3
	s_wait_dscnt 0x1
	v_add_nc_u32_e32 v2, v7, v6
	s_wait_dscnt 0x0
	s_delay_alu instid0(VALU_DEP_1)
	v_add3_u32 v2, v2, v8, v9
	global_atomic_add_u64 v4, v[2:3], s[6:7] scale_offset scope:SCOPE_DEV
	s_branch .LBB2726_239
.LBB2726_242:
	s_mov_b32 s9, 0
.LBB2726_243:
	s_delay_alu instid0(SALU_CYCLE_1)
	s_and_b32 vcc_lo, exec_lo, s9
	s_cbranch_vccz .LBB2726_343
; %bb.244:
	s_clause 0xb
	global_load_b32 v14, v0, s[4:5] scale_offset
	global_load_b32 v13, v0, s[4:5] offset:2048 scale_offset
	global_load_b32 v12, v0, s[4:5] offset:4096 scale_offset
	;; [unrolled: 1-line block ×11, first 2 shown]
	s_cmp_eq_u32 s2, 0
	v_dual_mov_b32 v2, 0 :: v_dual_lshlrev_b32 v15, 2, v0
	s_cselect_b32 s0, -1, 0
	s_cmp_eq_u32 s3, 32
	s_wait_xcnt 0x0
	v_cmp_gt_u32_e64 s4, 7, 3
	s_cselect_b32 s1, -1, 0
	s_delay_alu instid0(SALU_CYCLE_1)
	s_and_b32 s0, s0, s1
	s_mov_b32 s1, -1
	s_and_b32 vcc_lo, exec_lo, s0
	v_cmp_gt_u32_e64 s0, 7, 4
	s_cbranch_vccnz .LBB2726_332
; %bb.245:
	ds_store_2addr_stride64_b32 v15, v2, v2 offset1:8
	ds_store_2addr_stride64_b32 v15, v2, v2 offset0:16 offset1:24
	s_and_saveexec_b32 s1, s4
; %bb.246:
	v_mov_b32_e32 v2, 0
	ds_store_b32 v15, v2 offset:8192
; %bb.247:
	s_or_b32 exec_lo, exec_lo, s1
	s_and_saveexec_b32 s1, s0
; %bb.248:
	v_mov_b32_e32 v2, 0
	ds_store_b32 v15, v2 offset:10240
; %bb.249:
	s_or_b32 exec_lo, exec_lo, s1
	v_cmp_gt_u32_e64 s0, 7, 6
	s_mov_b32 s1, exec_lo
	v_cmpx_gt_u32_e64 7, 5
; %bb.250:
	v_mov_b32_e32 v2, 0
	ds_store_b32 v15, v2 offset:12288
; %bb.251:
	s_or_b32 exec_lo, exec_lo, s1
	s_and_saveexec_b32 s1, s0
; %bb.252:
	v_mov_b32_e32 v2, 0
	ds_store_b32 v15, v2 offset:14336
; %bb.253:
	s_or_b32 exec_lo, exec_lo, s1
	s_cmp_gt_u32 s3, s2
	s_wait_storecnt 0x0
	s_wait_loadcnt_dscnt 0x0
	s_cselect_b32 s0, -1, 0
	s_barrier_signal -1
	s_and_b32 vcc_lo, exec_lo, s0
	s_barrier_wait -1
	s_cbranch_vccz .LBB2726_326
; %bb.254:
	s_sub_co_i32 s1, s3, s2
	v_dual_lshrrev_b32 v16, s2, v14 :: v_dual_bitop2_b32 v2, 3, v0 bitop3:0x40
	s_min_u32 s1, s1, 8
	s_mov_b32 s9, -1
	s_lshl_b32 s4, -1, s1
	s_delay_alu instid0(VALU_DEP_1) | instskip(SKIP_4) | instid1(VALU_DEP_1)
	v_dual_lshlrev_b32 v3, 2, v2 :: v_dual_mov_b32 v17, 1
	v_bitop3_b32 v16, v16, s4, v16 bitop3:0x30
	s_add_co_i32 s1, s2, 8
	s_not_b32 s4, s4
	s_cmp_le_u32 s3, s1
	v_lshl_or_b32 v16, v16, 4, v3
	s_cselect_b32 s5, -1, 0
	s_delay_alu instid0(SALU_CYCLE_1) | instskip(SKIP_2) | instid1(VALU_DEP_1)
	s_and_b32 vcc_lo, exec_lo, s5
	ds_add_u32 v16, v17
	v_lshrrev_b32_e32 v16, s2, v13
	v_and_b32_e32 v16, s4, v16
	s_cbranch_vccz .LBB2726_256
; %bb.255:
	s_delay_alu instid0(VALU_DEP_1)
	v_lshlrev_b32_e32 v17, 4, v16
	s_mov_b32 s8, -1
	s_cbranch_execz .LBB2726_257
	s_branch .LBB2726_264
.LBB2726_256:
	s_mov_b32 s8, 0
                                        ; implicit-def: $vgpr17
	s_and_not1_b32 vcc_lo, exec_lo, s9
	s_cbranch_vccnz .LBB2726_264
.LBB2726_257:
	s_sub_co_i32 s9, s3, s1
	v_lshrrev_b32_e32 v17, s1, v14
	s_min_u32 s9, s9, 8
	s_delay_alu instid0(SALU_CYCLE_1) | instskip(SKIP_1) | instid1(VALU_DEP_1)
	s_lshl_b32 s10, -1, s9
	s_add_co_i32 s9, s2, 16
	v_bitop3_b32 v17, v17, s10, v17 bitop3:0x30
	s_not_b32 s11, s10
	s_cmp_gt_u32 s3, s9
	s_cselect_b32 s10, -1, 0
	s_delay_alu instid0(VALU_DEP_1)
	v_lshl_or_b32 v18, v17, 4, v3
	v_mov_b32_e32 v17, 1
	s_cmp_le_u32 s3, s9
	ds_add_u32 v18, v17 offset:4096
	s_cbranch_scc1 .LBB2726_260
; %bb.258:
	v_lshrrev_b32_e32 v18, s9, v14
	s_sub_co_i32 s12, s3, s9
	s_delay_alu instid0(SALU_CYCLE_1)
	s_min_u32 s12, s12, 8
	s_delay_alu instid0(VALU_DEP_1) | instid1(SALU_CYCLE_1)
	v_bfe_u32 v18, v18, 0, s12
	s_add_co_i32 s12, s2, 24
	s_delay_alu instid0(SALU_CYCLE_1) | instskip(NEXT) | instid1(VALU_DEP_1)
	s_cmp_le_u32 s3, s12
	v_lshl_or_b32 v18, v18, 4, v3
	ds_add_u32 v18, v17 offset:8192
	s_cbranch_scc1 .LBB2726_260
; %bb.259:
	v_dual_mov_b32 v19, 1 :: v_dual_lshrrev_b32 v18, s12, v14
	s_sub_co_i32 s12, s3, s12
	s_delay_alu instid0(SALU_CYCLE_1)
	s_min_u32 s12, s12, 8
	s_delay_alu instid0(VALU_DEP_1) | instid1(SALU_CYCLE_1)
	v_bfe_u32 v18, v18, 0, s12
	s_delay_alu instid0(VALU_DEP_1)
	v_lshl_or_b32 v18, v18, 4, v3
	ds_add_u32 v18, v19 offset:12288
.LBB2726_260:
	v_lshrrev_b32_e32 v18, s1, v13
	v_lshl_or_b32 v16, v16, 4, v3
	s_and_not1_b32 vcc_lo, exec_lo, s10
	s_delay_alu instid0(VALU_DEP_2) | instskip(NEXT) | instid1(VALU_DEP_1)
	v_and_b32_e32 v18, s11, v18
	v_lshl_or_b32 v18, v18, 4, v3
	ds_add_u32 v16, v17
	ds_add_u32 v18, v17 offset:4096
	s_cbranch_vccnz .LBB2726_263
; %bb.261:
	v_dual_mov_b32 v17, 1 :: v_dual_lshrrev_b32 v16, s9, v13
	s_sub_co_i32 s9, s3, s9
	s_delay_alu instid0(SALU_CYCLE_1)
	s_min_u32 s9, s9, 8
	s_delay_alu instid0(VALU_DEP_1) | instid1(SALU_CYCLE_1)
	v_bfe_u32 v16, v16, 0, s9
	s_add_co_i32 s9, s2, 24
	s_delay_alu instid0(SALU_CYCLE_1) | instskip(NEXT) | instid1(VALU_DEP_1)
	s_cmp_gt_u32 s3, s9
	v_lshl_or_b32 v16, v16, 4, v3
	ds_add_u32 v16, v17 offset:8192
                                        ; implicit-def: $vgpr17
	s_cbranch_scc0 .LBB2726_264
; %bb.262:
	v_lshrrev_b32_e32 v16, s9, v13
	s_sub_co_i32 s8, s3, s9
	s_delay_alu instid0(SALU_CYCLE_1)
	s_min_u32 s8, s8, 8
	s_delay_alu instid0(VALU_DEP_1) | instid1(SALU_CYCLE_1)
	v_bfe_u32 v16, v16, 0, s8
	s_mov_b32 s8, -1
	s_delay_alu instid0(VALU_DEP_1)
	v_lshl_add_u32 v17, v16, 4, 0x3000
	s_branch .LBB2726_264
.LBB2726_263:
                                        ; implicit-def: $vgpr17
.LBB2726_264:
	s_and_b32 vcc_lo, exec_lo, s8
	s_cbranch_vccz .LBB2726_266
; %bb.265:
	s_delay_alu instid0(VALU_DEP_1)
	v_lshl_add_u32 v16, v2, 2, v17
	v_mov_b32_e32 v17, 1
	ds_add_u32 v16, v17
.LBB2726_266:
	v_dual_mov_b32 v17, 1 :: v_dual_lshrrev_b32 v16, s2, v12
	s_and_b32 vcc_lo, exec_lo, s5
	s_delay_alu instid0(VALU_DEP_1) | instskip(NEXT) | instid1(VALU_DEP_1)
	v_and_b32_e32 v16, s4, v16
	v_lshl_or_b32 v16, v16, 4, v3
	ds_add_u32 v16, v17
	v_lshrrev_b32_e32 v16, s2, v11
	s_delay_alu instid0(VALU_DEP_1)
	v_and_b32_e32 v16, s4, v16
	s_cbranch_vccz .LBB2726_268
; %bb.267:
	s_delay_alu instid0(VALU_DEP_1)
	v_lshlrev_b32_e32 v17, 4, v16
	s_mov_b32 s8, -1
	s_cbranch_execz .LBB2726_269
	s_branch .LBB2726_276
.LBB2726_268:
	s_mov_b32 s8, 0
                                        ; implicit-def: $vgpr17
.LBB2726_269:
	s_sub_co_i32 s9, s3, s1
	v_lshrrev_b32_e32 v17, s1, v12
	s_min_u32 s9, s9, 8
	s_delay_alu instid0(SALU_CYCLE_1) | instskip(SKIP_1) | instid1(VALU_DEP_1)
	s_lshl_b32 s10, -1, s9
	s_add_co_i32 s9, s2, 16
	v_bitop3_b32 v17, v17, s10, v17 bitop3:0x30
	s_not_b32 s11, s10
	s_cmp_gt_u32 s3, s9
	s_cselect_b32 s10, -1, 0
	s_delay_alu instid0(VALU_DEP_1)
	v_lshl_or_b32 v18, v17, 4, v3
	v_mov_b32_e32 v17, 1
	s_cmp_le_u32 s3, s9
	ds_add_u32 v18, v17 offset:4096
	s_cbranch_scc1 .LBB2726_272
; %bb.270:
	v_lshrrev_b32_e32 v18, s9, v12
	s_sub_co_i32 s12, s3, s9
	s_delay_alu instid0(SALU_CYCLE_1)
	s_min_u32 s12, s12, 8
	s_delay_alu instid0(VALU_DEP_1) | instid1(SALU_CYCLE_1)
	v_bfe_u32 v18, v18, 0, s12
	s_add_co_i32 s12, s2, 24
	s_delay_alu instid0(SALU_CYCLE_1) | instskip(NEXT) | instid1(VALU_DEP_1)
	s_cmp_le_u32 s3, s12
	v_lshl_or_b32 v18, v18, 4, v3
	ds_add_u32 v18, v17 offset:8192
	s_cbranch_scc1 .LBB2726_272
; %bb.271:
	v_dual_mov_b32 v19, 1 :: v_dual_lshrrev_b32 v18, s12, v12
	s_sub_co_i32 s12, s3, s12
	s_delay_alu instid0(SALU_CYCLE_1)
	s_min_u32 s12, s12, 8
	s_delay_alu instid0(VALU_DEP_1) | instid1(SALU_CYCLE_1)
	v_bfe_u32 v18, v18, 0, s12
	s_delay_alu instid0(VALU_DEP_1)
	v_lshl_or_b32 v18, v18, 4, v3
	ds_add_u32 v18, v19 offset:12288
.LBB2726_272:
	v_lshrrev_b32_e32 v18, s1, v11
	v_lshl_or_b32 v16, v16, 4, v3
	s_and_not1_b32 vcc_lo, exec_lo, s10
	s_delay_alu instid0(VALU_DEP_2) | instskip(NEXT) | instid1(VALU_DEP_1)
	v_and_b32_e32 v18, s11, v18
	v_lshl_or_b32 v18, v18, 4, v3
	ds_add_u32 v16, v17
	ds_add_u32 v18, v17 offset:4096
	s_cbranch_vccnz .LBB2726_275
; %bb.273:
	v_dual_mov_b32 v17, 1 :: v_dual_lshrrev_b32 v16, s9, v11
	s_sub_co_i32 s9, s3, s9
	s_delay_alu instid0(SALU_CYCLE_1)
	s_min_u32 s9, s9, 8
	s_delay_alu instid0(VALU_DEP_1) | instid1(SALU_CYCLE_1)
	v_bfe_u32 v16, v16, 0, s9
	s_add_co_i32 s9, s2, 24
	s_delay_alu instid0(SALU_CYCLE_1) | instskip(NEXT) | instid1(VALU_DEP_1)
	s_cmp_gt_u32 s3, s9
	v_lshl_or_b32 v16, v16, 4, v3
	ds_add_u32 v16, v17 offset:8192
                                        ; implicit-def: $vgpr17
	s_cbranch_scc0 .LBB2726_276
; %bb.274:
	v_lshrrev_b32_e32 v16, s9, v11
	s_sub_co_i32 s8, s3, s9
	s_delay_alu instid0(SALU_CYCLE_1)
	s_min_u32 s8, s8, 8
	s_delay_alu instid0(VALU_DEP_1) | instid1(SALU_CYCLE_1)
	v_bfe_u32 v16, v16, 0, s8
	s_mov_b32 s8, -1
	s_delay_alu instid0(VALU_DEP_1)
	v_lshl_add_u32 v17, v16, 4, 0x3000
	s_branch .LBB2726_276
.LBB2726_275:
                                        ; implicit-def: $vgpr17
.LBB2726_276:
	s_and_b32 vcc_lo, exec_lo, s8
	s_cbranch_vccz .LBB2726_278
; %bb.277:
	s_delay_alu instid0(VALU_DEP_1)
	v_lshl_add_u32 v16, v2, 2, v17
	v_mov_b32_e32 v17, 1
	ds_add_u32 v16, v17
.LBB2726_278:
	v_dual_mov_b32 v17, 1 :: v_dual_lshrrev_b32 v16, s2, v10
	s_and_b32 vcc_lo, exec_lo, s5
	s_delay_alu instid0(VALU_DEP_1) | instskip(NEXT) | instid1(VALU_DEP_1)
	v_and_b32_e32 v16, s4, v16
	v_lshl_or_b32 v16, v16, 4, v3
	ds_add_u32 v16, v17
	v_lshrrev_b32_e32 v16, s2, v9
	s_delay_alu instid0(VALU_DEP_1)
	v_and_b32_e32 v16, s4, v16
	s_cbranch_vccz .LBB2726_280
; %bb.279:
	s_delay_alu instid0(VALU_DEP_1)
	v_lshlrev_b32_e32 v17, 4, v16
	s_mov_b32 s8, -1
	s_cbranch_execz .LBB2726_281
	s_branch .LBB2726_288
.LBB2726_280:
	s_mov_b32 s8, 0
                                        ; implicit-def: $vgpr17
.LBB2726_281:
	s_sub_co_i32 s9, s3, s1
	v_lshrrev_b32_e32 v17, s1, v10
	s_min_u32 s9, s9, 8
	s_delay_alu instid0(SALU_CYCLE_1) | instskip(SKIP_1) | instid1(VALU_DEP_1)
	s_lshl_b32 s10, -1, s9
	s_add_co_i32 s9, s2, 16
	v_bitop3_b32 v17, v17, s10, v17 bitop3:0x30
	s_not_b32 s11, s10
	s_cmp_gt_u32 s3, s9
	s_cselect_b32 s10, -1, 0
	s_delay_alu instid0(VALU_DEP_1)
	v_lshl_or_b32 v18, v17, 4, v3
	v_mov_b32_e32 v17, 1
	s_cmp_le_u32 s3, s9
	ds_add_u32 v18, v17 offset:4096
	s_cbranch_scc1 .LBB2726_284
; %bb.282:
	v_lshrrev_b32_e32 v18, s9, v10
	s_sub_co_i32 s12, s3, s9
	s_delay_alu instid0(SALU_CYCLE_1)
	s_min_u32 s12, s12, 8
	s_delay_alu instid0(VALU_DEP_1) | instid1(SALU_CYCLE_1)
	v_bfe_u32 v18, v18, 0, s12
	s_add_co_i32 s12, s2, 24
	s_delay_alu instid0(SALU_CYCLE_1) | instskip(NEXT) | instid1(VALU_DEP_1)
	s_cmp_le_u32 s3, s12
	v_lshl_or_b32 v18, v18, 4, v3
	ds_add_u32 v18, v17 offset:8192
	s_cbranch_scc1 .LBB2726_284
; %bb.283:
	v_dual_mov_b32 v19, 1 :: v_dual_lshrrev_b32 v18, s12, v10
	s_sub_co_i32 s12, s3, s12
	s_delay_alu instid0(SALU_CYCLE_1)
	s_min_u32 s12, s12, 8
	s_delay_alu instid0(VALU_DEP_1) | instid1(SALU_CYCLE_1)
	v_bfe_u32 v18, v18, 0, s12
	s_delay_alu instid0(VALU_DEP_1)
	v_lshl_or_b32 v18, v18, 4, v3
	ds_add_u32 v18, v19 offset:12288
.LBB2726_284:
	v_lshrrev_b32_e32 v18, s1, v9
	v_lshl_or_b32 v16, v16, 4, v3
	s_and_not1_b32 vcc_lo, exec_lo, s10
	s_delay_alu instid0(VALU_DEP_2) | instskip(NEXT) | instid1(VALU_DEP_1)
	v_and_b32_e32 v18, s11, v18
	v_lshl_or_b32 v18, v18, 4, v3
	ds_add_u32 v16, v17
	ds_add_u32 v18, v17 offset:4096
	s_cbranch_vccnz .LBB2726_287
; %bb.285:
	v_dual_mov_b32 v17, 1 :: v_dual_lshrrev_b32 v16, s9, v9
	s_sub_co_i32 s9, s3, s9
	s_delay_alu instid0(SALU_CYCLE_1)
	s_min_u32 s9, s9, 8
	s_delay_alu instid0(VALU_DEP_1) | instid1(SALU_CYCLE_1)
	v_bfe_u32 v16, v16, 0, s9
	s_add_co_i32 s9, s2, 24
	s_delay_alu instid0(SALU_CYCLE_1) | instskip(NEXT) | instid1(VALU_DEP_1)
	s_cmp_gt_u32 s3, s9
	v_lshl_or_b32 v16, v16, 4, v3
	ds_add_u32 v16, v17 offset:8192
                                        ; implicit-def: $vgpr17
	s_cbranch_scc0 .LBB2726_288
; %bb.286:
	v_lshrrev_b32_e32 v16, s9, v9
	s_sub_co_i32 s8, s3, s9
	s_delay_alu instid0(SALU_CYCLE_1)
	s_min_u32 s8, s8, 8
	s_delay_alu instid0(VALU_DEP_1) | instid1(SALU_CYCLE_1)
	v_bfe_u32 v16, v16, 0, s8
	s_mov_b32 s8, -1
	s_delay_alu instid0(VALU_DEP_1)
	v_lshl_add_u32 v17, v16, 4, 0x3000
	s_branch .LBB2726_288
.LBB2726_287:
                                        ; implicit-def: $vgpr17
.LBB2726_288:
	s_and_b32 vcc_lo, exec_lo, s8
	s_cbranch_vccz .LBB2726_290
; %bb.289:
	s_delay_alu instid0(VALU_DEP_1)
	v_lshl_add_u32 v16, v2, 2, v17
	v_mov_b32_e32 v17, 1
	ds_add_u32 v16, v17
.LBB2726_290:
	v_dual_mov_b32 v17, 1 :: v_dual_lshrrev_b32 v16, s2, v8
	s_and_b32 vcc_lo, exec_lo, s5
	s_delay_alu instid0(VALU_DEP_1) | instskip(NEXT) | instid1(VALU_DEP_1)
	v_and_b32_e32 v16, s4, v16
	v_lshl_or_b32 v16, v16, 4, v3
	ds_add_u32 v16, v17
	v_lshrrev_b32_e32 v16, s2, v7
	s_delay_alu instid0(VALU_DEP_1)
	v_and_b32_e32 v16, s4, v16
	s_cbranch_vccz .LBB2726_292
; %bb.291:
	s_delay_alu instid0(VALU_DEP_1)
	v_lshlrev_b32_e32 v17, 4, v16
	s_mov_b32 s8, -1
	s_cbranch_execz .LBB2726_293
	s_branch .LBB2726_300
.LBB2726_292:
	s_mov_b32 s8, 0
                                        ; implicit-def: $vgpr17
.LBB2726_293:
	s_sub_co_i32 s9, s3, s1
	v_lshrrev_b32_e32 v17, s1, v8
	s_min_u32 s9, s9, 8
	s_delay_alu instid0(SALU_CYCLE_1) | instskip(SKIP_1) | instid1(VALU_DEP_1)
	s_lshl_b32 s10, -1, s9
	s_add_co_i32 s9, s2, 16
	v_bitop3_b32 v17, v17, s10, v17 bitop3:0x30
	s_not_b32 s11, s10
	s_cmp_gt_u32 s3, s9
	s_cselect_b32 s10, -1, 0
	s_delay_alu instid0(VALU_DEP_1)
	v_lshl_or_b32 v18, v17, 4, v3
	v_mov_b32_e32 v17, 1
	s_cmp_le_u32 s3, s9
	ds_add_u32 v18, v17 offset:4096
	s_cbranch_scc1 .LBB2726_296
; %bb.294:
	v_lshrrev_b32_e32 v18, s9, v8
	s_sub_co_i32 s12, s3, s9
	s_delay_alu instid0(SALU_CYCLE_1)
	s_min_u32 s12, s12, 8
	s_delay_alu instid0(VALU_DEP_1) | instid1(SALU_CYCLE_1)
	v_bfe_u32 v18, v18, 0, s12
	s_add_co_i32 s12, s2, 24
	s_delay_alu instid0(SALU_CYCLE_1) | instskip(NEXT) | instid1(VALU_DEP_1)
	s_cmp_le_u32 s3, s12
	v_lshl_or_b32 v18, v18, 4, v3
	ds_add_u32 v18, v17 offset:8192
	s_cbranch_scc1 .LBB2726_296
; %bb.295:
	v_dual_mov_b32 v19, 1 :: v_dual_lshrrev_b32 v18, s12, v8
	s_sub_co_i32 s12, s3, s12
	s_delay_alu instid0(SALU_CYCLE_1)
	s_min_u32 s12, s12, 8
	s_delay_alu instid0(VALU_DEP_1) | instid1(SALU_CYCLE_1)
	v_bfe_u32 v18, v18, 0, s12
	s_delay_alu instid0(VALU_DEP_1)
	v_lshl_or_b32 v18, v18, 4, v3
	ds_add_u32 v18, v19 offset:12288
.LBB2726_296:
	v_lshrrev_b32_e32 v18, s1, v7
	v_lshl_or_b32 v16, v16, 4, v3
	s_and_not1_b32 vcc_lo, exec_lo, s10
	s_delay_alu instid0(VALU_DEP_2) | instskip(NEXT) | instid1(VALU_DEP_1)
	v_and_b32_e32 v18, s11, v18
	v_lshl_or_b32 v18, v18, 4, v3
	ds_add_u32 v16, v17
	ds_add_u32 v18, v17 offset:4096
	s_cbranch_vccnz .LBB2726_299
; %bb.297:
	v_dual_mov_b32 v17, 1 :: v_dual_lshrrev_b32 v16, s9, v7
	s_sub_co_i32 s9, s3, s9
	s_delay_alu instid0(SALU_CYCLE_1)
	s_min_u32 s9, s9, 8
	s_delay_alu instid0(VALU_DEP_1) | instid1(SALU_CYCLE_1)
	v_bfe_u32 v16, v16, 0, s9
	s_add_co_i32 s9, s2, 24
	s_delay_alu instid0(SALU_CYCLE_1) | instskip(NEXT) | instid1(VALU_DEP_1)
	s_cmp_gt_u32 s3, s9
	v_lshl_or_b32 v16, v16, 4, v3
	ds_add_u32 v16, v17 offset:8192
                                        ; implicit-def: $vgpr17
	s_cbranch_scc0 .LBB2726_300
; %bb.298:
	v_lshrrev_b32_e32 v16, s9, v7
	s_sub_co_i32 s8, s3, s9
	s_delay_alu instid0(SALU_CYCLE_1)
	s_min_u32 s8, s8, 8
	s_delay_alu instid0(VALU_DEP_1) | instid1(SALU_CYCLE_1)
	v_bfe_u32 v16, v16, 0, s8
	s_mov_b32 s8, -1
	s_delay_alu instid0(VALU_DEP_1)
	v_lshl_add_u32 v17, v16, 4, 0x3000
	s_branch .LBB2726_300
.LBB2726_299:
                                        ; implicit-def: $vgpr17
.LBB2726_300:
	s_and_b32 vcc_lo, exec_lo, s8
	s_cbranch_vccz .LBB2726_302
; %bb.301:
	s_delay_alu instid0(VALU_DEP_1)
	v_lshl_add_u32 v16, v2, 2, v17
	v_mov_b32_e32 v17, 1
	ds_add_u32 v16, v17
.LBB2726_302:
	v_dual_mov_b32 v17, 1 :: v_dual_lshrrev_b32 v16, s2, v6
	s_and_b32 vcc_lo, exec_lo, s5
	s_delay_alu instid0(VALU_DEP_1) | instskip(NEXT) | instid1(VALU_DEP_1)
	v_and_b32_e32 v16, s4, v16
	v_lshl_or_b32 v16, v16, 4, v3
	ds_add_u32 v16, v17
	v_lshrrev_b32_e32 v16, s2, v5
	s_delay_alu instid0(VALU_DEP_1)
	v_and_b32_e32 v16, s4, v16
	s_cbranch_vccz .LBB2726_304
; %bb.303:
	s_delay_alu instid0(VALU_DEP_1)
	v_lshlrev_b32_e32 v17, 4, v16
	s_mov_b32 s8, -1
	s_cbranch_execz .LBB2726_305
	s_branch .LBB2726_312
.LBB2726_304:
	s_mov_b32 s8, 0
                                        ; implicit-def: $vgpr17
.LBB2726_305:
	s_sub_co_i32 s9, s3, s1
	v_lshrrev_b32_e32 v17, s1, v6
	s_min_u32 s9, s9, 8
	s_delay_alu instid0(SALU_CYCLE_1) | instskip(SKIP_1) | instid1(VALU_DEP_1)
	s_lshl_b32 s10, -1, s9
	s_add_co_i32 s9, s2, 16
	v_bitop3_b32 v17, v17, s10, v17 bitop3:0x30
	s_not_b32 s11, s10
	s_cmp_gt_u32 s3, s9
	s_cselect_b32 s10, -1, 0
	s_delay_alu instid0(VALU_DEP_1)
	v_lshl_or_b32 v18, v17, 4, v3
	v_mov_b32_e32 v17, 1
	s_cmp_le_u32 s3, s9
	ds_add_u32 v18, v17 offset:4096
	s_cbranch_scc1 .LBB2726_308
; %bb.306:
	v_lshrrev_b32_e32 v18, s9, v6
	s_sub_co_i32 s12, s3, s9
	s_delay_alu instid0(SALU_CYCLE_1)
	s_min_u32 s12, s12, 8
	s_delay_alu instid0(VALU_DEP_1) | instid1(SALU_CYCLE_1)
	v_bfe_u32 v18, v18, 0, s12
	s_add_co_i32 s12, s2, 24
	s_delay_alu instid0(SALU_CYCLE_1) | instskip(NEXT) | instid1(VALU_DEP_1)
	s_cmp_le_u32 s3, s12
	v_lshl_or_b32 v18, v18, 4, v3
	ds_add_u32 v18, v17 offset:8192
	s_cbranch_scc1 .LBB2726_308
; %bb.307:
	v_dual_mov_b32 v19, 1 :: v_dual_lshrrev_b32 v18, s12, v6
	s_sub_co_i32 s12, s3, s12
	s_delay_alu instid0(SALU_CYCLE_1)
	s_min_u32 s12, s12, 8
	s_delay_alu instid0(VALU_DEP_1) | instid1(SALU_CYCLE_1)
	v_bfe_u32 v18, v18, 0, s12
	s_delay_alu instid0(VALU_DEP_1)
	v_lshl_or_b32 v18, v18, 4, v3
	ds_add_u32 v18, v19 offset:12288
.LBB2726_308:
	v_lshrrev_b32_e32 v18, s1, v5
	v_lshl_or_b32 v16, v16, 4, v3
	s_and_not1_b32 vcc_lo, exec_lo, s10
	s_delay_alu instid0(VALU_DEP_2) | instskip(NEXT) | instid1(VALU_DEP_1)
	v_and_b32_e32 v18, s11, v18
	v_lshl_or_b32 v18, v18, 4, v3
	ds_add_u32 v16, v17
	ds_add_u32 v18, v17 offset:4096
	s_cbranch_vccnz .LBB2726_311
; %bb.309:
	v_dual_mov_b32 v17, 1 :: v_dual_lshrrev_b32 v16, s9, v5
	s_sub_co_i32 s9, s3, s9
	s_delay_alu instid0(SALU_CYCLE_1)
	s_min_u32 s9, s9, 8
	s_delay_alu instid0(VALU_DEP_1) | instid1(SALU_CYCLE_1)
	v_bfe_u32 v16, v16, 0, s9
	s_add_co_i32 s9, s2, 24
	s_delay_alu instid0(SALU_CYCLE_1) | instskip(NEXT) | instid1(VALU_DEP_1)
	s_cmp_gt_u32 s3, s9
	v_lshl_or_b32 v16, v16, 4, v3
	ds_add_u32 v16, v17 offset:8192
                                        ; implicit-def: $vgpr17
	s_cbranch_scc0 .LBB2726_312
; %bb.310:
	v_lshrrev_b32_e32 v16, s9, v5
	s_sub_co_i32 s8, s3, s9
	s_delay_alu instid0(SALU_CYCLE_1)
	s_min_u32 s8, s8, 8
	s_delay_alu instid0(VALU_DEP_1) | instid1(SALU_CYCLE_1)
	v_bfe_u32 v16, v16, 0, s8
	s_mov_b32 s8, -1
	s_delay_alu instid0(VALU_DEP_1)
	v_lshl_add_u32 v17, v16, 4, 0x3000
	s_branch .LBB2726_312
.LBB2726_311:
                                        ; implicit-def: $vgpr17
.LBB2726_312:
	s_and_b32 vcc_lo, exec_lo, s8
	s_cbranch_vccz .LBB2726_314
; %bb.313:
	s_delay_alu instid0(VALU_DEP_1)
	v_lshl_add_u32 v16, v2, 2, v17
	v_mov_b32_e32 v17, 1
	ds_add_u32 v16, v17
.LBB2726_314:
	v_dual_mov_b32 v17, 1 :: v_dual_lshrrev_b32 v16, s2, v4
	s_and_b32 vcc_lo, exec_lo, s5
	s_delay_alu instid0(VALU_DEP_1) | instskip(NEXT) | instid1(VALU_DEP_1)
	v_and_b32_e32 v16, s4, v16
	v_lshl_or_b32 v16, v16, 4, v3
	ds_add_u32 v16, v17
	v_lshrrev_b32_e32 v16, s2, v1
	s_delay_alu instid0(VALU_DEP_1)
	v_and_b32_e32 v16, s4, v16
	s_cbranch_vccz .LBB2726_316
; %bb.315:
	s_delay_alu instid0(VALU_DEP_1)
	v_lshlrev_b32_e32 v17, 4, v16
	s_mov_b32 s4, -1
	s_cbranch_execz .LBB2726_317
	s_branch .LBB2726_324
.LBB2726_316:
	s_mov_b32 s4, 0
                                        ; implicit-def: $vgpr17
.LBB2726_317:
	s_sub_co_i32 s5, s3, s1
	v_lshrrev_b32_e32 v17, s1, v4
	s_min_u32 s5, s5, 8
	s_delay_alu instid0(SALU_CYCLE_1) | instskip(SKIP_1) | instid1(VALU_DEP_1)
	s_lshl_b32 s8, -1, s5
	s_add_co_i32 s5, s2, 16
	v_bitop3_b32 v17, v17, s8, v17 bitop3:0x30
	s_not_b32 s9, s8
	s_cmp_gt_u32 s3, s5
	s_cselect_b32 s8, -1, 0
	s_delay_alu instid0(VALU_DEP_1)
	v_lshl_or_b32 v18, v17, 4, v3
	v_mov_b32_e32 v17, 1
	s_cmp_le_u32 s3, s5
	ds_add_u32 v18, v17 offset:4096
	s_cbranch_scc1 .LBB2726_320
; %bb.318:
	v_lshrrev_b32_e32 v18, s5, v4
	s_sub_co_i32 s10, s3, s5
	s_delay_alu instid0(SALU_CYCLE_1)
	s_min_u32 s10, s10, 8
	s_delay_alu instid0(VALU_DEP_1) | instid1(SALU_CYCLE_1)
	v_bfe_u32 v18, v18, 0, s10
	s_add_co_i32 s10, s2, 24
	s_delay_alu instid0(SALU_CYCLE_1) | instskip(NEXT) | instid1(VALU_DEP_1)
	s_cmp_le_u32 s3, s10
	v_lshl_or_b32 v18, v18, 4, v3
	ds_add_u32 v18, v17 offset:8192
	s_cbranch_scc1 .LBB2726_320
; %bb.319:
	v_dual_mov_b32 v19, 1 :: v_dual_lshrrev_b32 v18, s10, v4
	s_sub_co_i32 s10, s3, s10
	s_delay_alu instid0(SALU_CYCLE_1)
	s_min_u32 s10, s10, 8
	s_delay_alu instid0(VALU_DEP_1) | instid1(SALU_CYCLE_1)
	v_bfe_u32 v18, v18, 0, s10
	s_delay_alu instid0(VALU_DEP_1)
	v_lshl_or_b32 v18, v18, 4, v3
	ds_add_u32 v18, v19 offset:12288
.LBB2726_320:
	v_lshrrev_b32_e32 v18, s1, v1
	v_lshl_or_b32 v16, v16, 4, v3
	s_and_not1_b32 vcc_lo, exec_lo, s8
	s_delay_alu instid0(VALU_DEP_2) | instskip(NEXT) | instid1(VALU_DEP_1)
	v_and_b32_e32 v18, s9, v18
	v_lshl_or_b32 v18, v18, 4, v3
	ds_add_u32 v16, v17
	ds_add_u32 v18, v17 offset:4096
	s_cbranch_vccnz .LBB2726_323
; %bb.321:
	v_lshrrev_b32_e32 v16, s5, v1
	s_sub_co_i32 s1, s3, s5
                                        ; implicit-def: $vgpr17
	s_delay_alu instid0(SALU_CYCLE_1)
	s_min_u32 s1, s1, 8
	s_delay_alu instid0(VALU_DEP_1) | instid1(SALU_CYCLE_1)
	v_bfe_u32 v16, v16, 0, s1
	s_add_co_i32 s1, s2, 24
	s_delay_alu instid0(SALU_CYCLE_1) | instskip(NEXT) | instid1(VALU_DEP_1)
	s_cmp_gt_u32 s3, s1
	v_lshl_or_b32 v3, v16, 4, v3
	v_mov_b32_e32 v16, 1
	ds_add_u32 v3, v16 offset:8192
	s_cbranch_scc0 .LBB2726_324
; %bb.322:
	v_lshrrev_b32_e32 v3, s1, v1
	s_sub_co_i32 s1, s3, s1
	s_mov_b32 s4, -1
	s_min_u32 s1, s1, 8
	s_delay_alu instid0(VALU_DEP_1) | instid1(SALU_CYCLE_1)
	v_bfe_u32 v3, v3, 0, s1
	s_delay_alu instid0(VALU_DEP_1)
	v_lshl_add_u32 v17, v3, 4, 0x3000
	s_branch .LBB2726_324
.LBB2726_323:
                                        ; implicit-def: $vgpr17
.LBB2726_324:
	s_and_b32 vcc_lo, exec_lo, s4
	s_cbranch_vccz .LBB2726_326
; %bb.325:
	s_delay_alu instid0(VALU_DEP_1)
	v_lshl_add_u32 v2, v2, 2, v17
	v_mov_b32_e32 v3, 1
	ds_add_u32 v2, v3
.LBB2726_326:
	s_and_b32 vcc_lo, exec_lo, s0
	s_wait_dscnt 0x0
	s_barrier_signal -1
	s_barrier_wait -1
	s_cbranch_vccz .LBB2726_331
; %bb.327:
	v_dual_mov_b32 v3, 0 :: v_dual_lshlrev_b32 v16, 4, v0
	v_mov_b32_e32 v17, v0
	v_cmp_gt_u32_e32 vcc_lo, 0x100, v0
	s_branch .LBB2726_329
.LBB2726_328:                           ;   in Loop: Header=BB2726_329 Depth=1
	s_wait_xcnt 0x0
	s_or_b32 exec_lo, exec_lo, s0
	v_add_nc_u32_e32 v17, 0x100, v17
	v_add_nc_u32_e32 v16, 0x1000, v16
	s_add_co_i32 s2, s2, 8
	s_delay_alu instid0(SALU_CYCLE_1)
	s_cmp_ge_u32 s2, s3
	s_cbranch_scc1 .LBB2726_331
.LBB2726_329:                           ; =>This Inner Loop Header: Depth=1
	s_and_saveexec_b32 s0, vcc_lo
	s_cbranch_execz .LBB2726_328
; %bb.330:                              ;   in Loop: Header=BB2726_329 Depth=1
	ds_load_2addr_b32 v[18:19], v16 offset1:1
	ds_load_2addr_b32 v[20:21], v16 offset0:2 offset1:3
	s_wait_dscnt 0x1
	v_add_nc_u32_e32 v2, v19, v18
	s_wait_dscnt 0x0
	s_delay_alu instid0(VALU_DEP_1)
	v_add3_u32 v2, v2, v20, v21
	global_atomic_add_u64 v17, v[2:3], s[6:7] scale_offset scope:SCOPE_DEV
	s_branch .LBB2726_328
.LBB2726_331:
	s_mov_b32 s1, 0
.LBB2726_332:
	s_delay_alu instid0(SALU_CYCLE_1)
	s_and_b32 vcc_lo, exec_lo, s1
	s_cbranch_vccz .LBB2726_343
; %bb.333:
	v_mov_b32_e32 v2, 0
	v_cmp_gt_u32_e64 s0, 7, 4
	s_mov_b32 s1, exec_lo
	ds_store_2addr_stride64_b32 v15, v2, v2 offset1:8
	ds_store_2addr_stride64_b32 v15, v2, v2 offset0:16 offset1:24
	v_cmpx_gt_u32_e64 7, 3
; %bb.334:
	ds_store_b32 v15, v2 offset:8192
; %bb.335:
	s_or_b32 exec_lo, exec_lo, s1
	s_and_saveexec_b32 s1, s0
; %bb.336:
	v_mov_b32_e32 v2, 0
	ds_store_b32 v15, v2 offset:10240
; %bb.337:
	s_or_b32 exec_lo, exec_lo, s1
	v_cmp_gt_u32_e64 s0, 7, 6
	s_mov_b32 s1, exec_lo
	v_cmpx_gt_u32_e64 7, 5
; %bb.338:
	v_mov_b32_e32 v2, 0
	ds_store_b32 v15, v2 offset:12288
; %bb.339:
	s_or_b32 exec_lo, exec_lo, s1
	s_and_saveexec_b32 s1, s0
; %bb.340:
	v_mov_b32_e32 v2, 0
	ds_store_b32 v15, v2 offset:14336
; %bb.341:
	s_or_b32 exec_lo, exec_lo, s1
	s_wait_loadcnt 0xb
	v_dual_lshlrev_b32 v3, 4, v14 :: v_dual_bitop2_b32 v2, 3, v0 bitop3:0x40
	v_dual_lshrrev_b32 v15, 4, v14 :: v_dual_lshrrev_b32 v16, 12, v14
	s_wait_loadcnt 0xa
	v_dual_lshrrev_b32 v14, 20, v14 :: v_dual_lshlrev_b32 v18, 4, v13
	s_delay_alu instid0(VALU_DEP_3)
	v_dual_mov_b32 v17, 1 :: v_dual_lshlrev_b32 v2, 2, v2
	s_wait_storecnt 0x0
	s_wait_loadcnt_dscnt 0x0
	s_barrier_signal -1
	s_barrier_wait -1
	v_and_or_b32 v3, 0xff0, v3, v2
	v_and_or_b32 v15, 0xff0, v15, v2
	;; [unrolled: 1-line block ×3, first 2 shown]
	ds_add_u32 v3, v17
	ds_add_u32 v15, v17 offset:4096
	ds_add_u32 v16, v17 offset:8192
	v_dual_lshrrev_b32 v3, 4, v13 :: v_dual_lshrrev_b32 v15, 12, v13
	v_lshrrev_b32_e32 v13, 20, v13
	v_and_or_b32 v14, 0xff0, v14, v2
	v_and_or_b32 v16, 0xff0, v18, v2
	s_delay_alu instid0(VALU_DEP_4)
	v_and_or_b32 v3, 0xff0, v3, v2
	v_and_or_b32 v15, 0xff0, v15, v2
	;; [unrolled: 1-line block ×3, first 2 shown]
	ds_add_u32 v14, v17 offset:12288
	ds_add_u32 v16, v17
	ds_add_u32 v3, v17 offset:4096
	ds_add_u32 v15, v17 offset:8192
	ds_add_u32 v13, v17 offset:12288
	v_dual_lshlrev_b32 v3, 4, v12 :: v_dual_lshrrev_b32 v13, 4, v12
	v_dual_lshrrev_b32 v14, 12, v12 :: v_dual_lshrrev_b32 v12, 20, v12
	v_lshlrev_b32_e32 v15, 4, v11
	s_delay_alu instid0(VALU_DEP_3) | instskip(NEXT) | instid1(VALU_DEP_4)
	v_and_or_b32 v3, 0xff0, v3, v2
	v_and_or_b32 v13, 0xff0, v13, v2
	s_delay_alu instid0(VALU_DEP_4)
	v_and_or_b32 v14, 0xff0, v14, v2
	v_and_or_b32 v12, 0xff0, v12, v2
	;; [unrolled: 1-line block ×3, first 2 shown]
	ds_add_u32 v3, v17
	ds_add_u32 v13, v17 offset:4096
	ds_add_u32 v14, v17 offset:8192
	;; [unrolled: 1-line block ×3, first 2 shown]
	ds_add_u32 v15, v17
	v_dual_lshrrev_b32 v3, 4, v11 :: v_dual_lshrrev_b32 v12, 12, v11
	v_dual_lshrrev_b32 v11, 20, v11 :: v_dual_lshlrev_b32 v13, 4, v10
	v_lshrrev_b32_e32 v14, 4, v10
	s_delay_alu instid0(VALU_DEP_3) | instskip(NEXT) | instid1(VALU_DEP_4)
	v_and_or_b32 v3, 0xff0, v3, v2
	v_and_or_b32 v12, 0xff0, v12, v2
	s_delay_alu instid0(VALU_DEP_4)
	v_and_or_b32 v11, 0xff0, v11, v2
	v_and_or_b32 v13, 0xff0, v13, v2
	v_and_or_b32 v14, 0xff0, v14, v2
	ds_add_u32 v3, v17 offset:4096
	ds_add_u32 v12, v17 offset:8192
	;; [unrolled: 1-line block ×3, first 2 shown]
	ds_add_u32 v13, v17
	ds_add_u32 v14, v17 offset:4096
	v_dual_lshrrev_b32 v3, 12, v10 :: v_dual_lshrrev_b32 v10, 20, v10
	v_dual_lshlrev_b32 v11, 4, v9 :: v_dual_lshrrev_b32 v12, 4, v9
	v_lshrrev_b32_e32 v13, 12, v9
	s_delay_alu instid0(VALU_DEP_3) | instskip(NEXT) | instid1(VALU_DEP_4)
	v_and_or_b32 v3, 0xff0, v3, v2
	v_and_or_b32 v10, 0xff0, v10, v2
	s_delay_alu instid0(VALU_DEP_4)
	v_and_or_b32 v11, 0xff0, v11, v2
	v_and_or_b32 v12, 0xff0, v12, v2
	v_and_or_b32 v13, 0xff0, v13, v2
	ds_add_u32 v3, v17 offset:8192
	ds_add_u32 v10, v17 offset:12288
	ds_add_u32 v11, v17
	ds_add_u32 v12, v17 offset:4096
	ds_add_u32 v13, v17 offset:8192
	v_dual_lshrrev_b32 v3, 20, v9 :: v_dual_lshlrev_b32 v9, 4, v8
	v_dual_lshrrev_b32 v10, 4, v8 :: v_dual_lshrrev_b32 v11, 12, v8
	v_lshrrev_b32_e32 v8, 20, v8
	s_delay_alu instid0(VALU_DEP_3) | instskip(NEXT) | instid1(VALU_DEP_4)
	v_and_or_b32 v3, 0xff0, v3, v2
	v_and_or_b32 v9, 0xff0, v9, v2
	s_delay_alu instid0(VALU_DEP_4)
	v_and_or_b32 v10, 0xff0, v10, v2
	v_and_or_b32 v11, 0xff0, v11, v2
	;; [unrolled: 1-line block ×3, first 2 shown]
	ds_add_u32 v3, v17 offset:12288
	ds_add_u32 v9, v17
	ds_add_u32 v10, v17 offset:4096
	ds_add_u32 v11, v17 offset:8192
	ds_add_u32 v8, v17 offset:12288
	v_dual_lshlrev_b32 v3, 4, v7 :: v_dual_lshrrev_b32 v8, 4, v7
	v_dual_lshrrev_b32 v9, 12, v7 :: v_dual_lshrrev_b32 v7, 20, v7
	v_lshlrev_b32_e32 v10, 4, v6
	s_delay_alu instid0(VALU_DEP_3) | instskip(NEXT) | instid1(VALU_DEP_4)
	v_and_or_b32 v3, 0xff0, v3, v2
	v_and_or_b32 v8, 0xff0, v8, v2
	s_delay_alu instid0(VALU_DEP_4)
	v_and_or_b32 v9, 0xff0, v9, v2
	v_and_or_b32 v7, 0xff0, v7, v2
	;; [unrolled: 1-line block ×3, first 2 shown]
	ds_add_u32 v3, v17
	ds_add_u32 v8, v17 offset:4096
	ds_add_u32 v9, v17 offset:8192
	;; [unrolled: 1-line block ×3, first 2 shown]
	ds_add_u32 v10, v17
	v_dual_lshrrev_b32 v3, 4, v6 :: v_dual_lshrrev_b32 v7, 12, v6
	v_dual_lshrrev_b32 v6, 20, v6 :: v_dual_lshlrev_b32 v8, 4, v5
	v_lshrrev_b32_e32 v9, 4, v5
	s_delay_alu instid0(VALU_DEP_3) | instskip(NEXT) | instid1(VALU_DEP_4)
	v_and_or_b32 v3, 0xff0, v3, v2
	v_and_or_b32 v7, 0xff0, v7, v2
	s_delay_alu instid0(VALU_DEP_4)
	v_and_or_b32 v6, 0xff0, v6, v2
	v_and_or_b32 v8, 0xff0, v8, v2
	;; [unrolled: 1-line block ×3, first 2 shown]
	ds_add_u32 v3, v17 offset:4096
	ds_add_u32 v7, v17 offset:8192
	;; [unrolled: 1-line block ×3, first 2 shown]
	ds_add_u32 v8, v17
	ds_add_u32 v9, v17 offset:4096
	v_dual_lshrrev_b32 v3, 12, v5 :: v_dual_lshrrev_b32 v5, 20, v5
	v_dual_lshlrev_b32 v6, 4, v4 :: v_dual_lshrrev_b32 v7, 4, v4
	v_lshrrev_b32_e32 v8, 12, v4
	s_delay_alu instid0(VALU_DEP_3) | instskip(NEXT) | instid1(VALU_DEP_4)
	v_and_or_b32 v3, 0xff0, v3, v2
	v_and_or_b32 v5, 0xff0, v5, v2
	s_delay_alu instid0(VALU_DEP_4)
	v_and_or_b32 v6, 0xff0, v6, v2
	v_and_or_b32 v7, 0xff0, v7, v2
	;; [unrolled: 1-line block ×3, first 2 shown]
	ds_add_u32 v3, v17 offset:8192
	ds_add_u32 v5, v17 offset:12288
	ds_add_u32 v6, v17
	ds_add_u32 v7, v17 offset:4096
	ds_add_u32 v8, v17 offset:8192
	v_dual_lshrrev_b32 v3, 20, v4 :: v_dual_lshlrev_b32 v4, 4, v1
	v_dual_lshrrev_b32 v5, 4, v1 :: v_dual_lshrrev_b32 v6, 12, v1
	v_lshrrev_b32_e32 v1, 20, v1
	s_delay_alu instid0(VALU_DEP_3) | instskip(NEXT) | instid1(VALU_DEP_4)
	v_and_or_b32 v3, 0xff0, v3, v2
	v_and_or_b32 v4, 0xff0, v4, v2
	s_delay_alu instid0(VALU_DEP_4)
	v_and_or_b32 v5, 0xff0, v5, v2
	v_and_or_b32 v6, 0xff0, v6, v2
	;; [unrolled: 1-line block ×3, first 2 shown]
	ds_add_u32 v3, v17 offset:12288
	ds_add_u32 v4, v17
	ds_add_u32 v5, v17 offset:4096
	ds_add_u32 v6, v17 offset:8192
	;; [unrolled: 1-line block ×3, first 2 shown]
	s_wait_dscnt 0x0
	s_barrier_signal -1
	s_barrier_wait -1
	s_mov_b32 s0, exec_lo
	v_cmpx_gt_u32_e32 0x100, v0
	s_cbranch_execz .LBB2726_343
; %bb.342:
	v_lshlrev_b32_e32 v1, 4, v0
	ds_load_2addr_b32 v[2:3], v1 offset1:1
	ds_load_2addr_b32 v[4:5], v1 offset0:2 offset1:3
	s_wait_dscnt 0x1
	v_dual_mov_b32 v3, 0 :: v_dual_add_nc_u32 v2, v3, v2
	v_add_nc_u32_e32 v6, 0x1008, v1
	s_wait_dscnt 0x0
	s_delay_alu instid0(VALU_DEP_2)
	v_add3_u32 v2, v2, v4, v5
	v_add_nc_u32_e32 v4, 0x1000, v1
	global_atomic_add_u64 v0, v[2:3], s[6:7] scale_offset scope:SCOPE_DEV
	ds_load_2addr_b32 v[4:5], v4 offset1:1
	ds_load_2addr_b32 v[6:7], v6 offset1:1
	s_wait_dscnt 0x1
	s_wait_xcnt 0x0
	v_add_nc_u32_e32 v2, v5, v4
	v_or_b32_e32 v4, 0x2000, v1
	s_wait_dscnt 0x0
	s_delay_alu instid0(VALU_DEP_2)
	v_add3_u32 v2, v2, v6, v7
	v_or_b32_e32 v6, 0x2008, v1
	global_atomic_add_u64 v0, v[2:3], s[6:7] offset:2048 scale_offset scope:SCOPE_DEV
	ds_load_2addr_b32 v[4:5], v4 offset1:1
	ds_load_2addr_b32 v[6:7], v6 offset1:1
	s_wait_dscnt 0x1
	s_wait_xcnt 0x0
	v_add_nc_u32_e32 v2, v5, v4
	v_add_nc_u32_e32 v4, 0x3000, v1
	;; [unrolled: 1-line block ×3, first 2 shown]
	s_wait_dscnt 0x0
	s_delay_alu instid0(VALU_DEP_3)
	v_add3_u32 v2, v2, v6, v7
	global_atomic_add_u64 v0, v[2:3], s[6:7] offset:4096 scale_offset scope:SCOPE_DEV
	ds_load_2addr_b32 v[4:5], v4 offset1:1
	ds_load_2addr_b32 v[6:7], v1 offset1:1
	s_wait_dscnt 0x1
	v_add_nc_u32_e32 v1, v5, v4
	s_wait_dscnt 0x0
	s_wait_xcnt 0x0
	s_delay_alu instid0(VALU_DEP_1)
	v_add3_u32 v2, v1, v6, v7
	global_atomic_add_u64 v0, v[2:3], s[6:7] offset:6144 scale_offset scope:SCOPE_DEV
.LBB2726_343:
	s_endpgm
	.section	.rodata,"a",@progbits
	.p2align	6, 0x0
	.amdhsa_kernel _ZN7rocprim17ROCPRIM_400000_NS6detail17trampoline_kernelINS0_14default_configENS1_35radix_sort_onesweep_config_selectorIjNS0_10empty_typeEEEZNS1_34radix_sort_onesweep_global_offsetsIS3_Lb0EPKjPS5_mNS0_19identity_decomposerEEE10hipError_tT1_T2_PT3_SF_jT4_jjP12ihipStream_tbEUlT_E_NS1_11comp_targetILNS1_3genE0ELNS1_11target_archE4294967295ELNS1_3gpuE0ELNS1_3repE0EEENS1_52radix_sort_onesweep_histogram_config_static_selectorELNS0_4arch9wavefront6targetE0EEEvSD_
		.amdhsa_group_segment_fixed_size 16384
		.amdhsa_private_segment_fixed_size 0
		.amdhsa_kernarg_size 48
		.amdhsa_user_sgpr_count 2
		.amdhsa_user_sgpr_dispatch_ptr 0
		.amdhsa_user_sgpr_queue_ptr 0
		.amdhsa_user_sgpr_kernarg_segment_ptr 1
		.amdhsa_user_sgpr_dispatch_id 0
		.amdhsa_user_sgpr_kernarg_preload_length 0
		.amdhsa_user_sgpr_kernarg_preload_offset 0
		.amdhsa_user_sgpr_private_segment_size 0
		.amdhsa_wavefront_size32 1
		.amdhsa_uses_dynamic_stack 0
		.amdhsa_enable_private_segment 0
		.amdhsa_system_sgpr_workgroup_id_x 1
		.amdhsa_system_sgpr_workgroup_id_y 0
		.amdhsa_system_sgpr_workgroup_id_z 0
		.amdhsa_system_sgpr_workgroup_info 0
		.amdhsa_system_vgpr_workitem_id 0
		.amdhsa_next_free_vgpr 28
		.amdhsa_next_free_sgpr 13
		.amdhsa_named_barrier_count 0
		.amdhsa_reserve_vcc 1
		.amdhsa_float_round_mode_32 0
		.amdhsa_float_round_mode_16_64 0
		.amdhsa_float_denorm_mode_32 3
		.amdhsa_float_denorm_mode_16_64 3
		.amdhsa_fp16_overflow 0
		.amdhsa_memory_ordered 1
		.amdhsa_forward_progress 1
		.amdhsa_inst_pref_size 98
		.amdhsa_round_robin_scheduling 0
		.amdhsa_exception_fp_ieee_invalid_op 0
		.amdhsa_exception_fp_denorm_src 0
		.amdhsa_exception_fp_ieee_div_zero 0
		.amdhsa_exception_fp_ieee_overflow 0
		.amdhsa_exception_fp_ieee_underflow 0
		.amdhsa_exception_fp_ieee_inexact 0
		.amdhsa_exception_int_div_zero 0
	.end_amdhsa_kernel
	.section	.text._ZN7rocprim17ROCPRIM_400000_NS6detail17trampoline_kernelINS0_14default_configENS1_35radix_sort_onesweep_config_selectorIjNS0_10empty_typeEEEZNS1_34radix_sort_onesweep_global_offsetsIS3_Lb0EPKjPS5_mNS0_19identity_decomposerEEE10hipError_tT1_T2_PT3_SF_jT4_jjP12ihipStream_tbEUlT_E_NS1_11comp_targetILNS1_3genE0ELNS1_11target_archE4294967295ELNS1_3gpuE0ELNS1_3repE0EEENS1_52radix_sort_onesweep_histogram_config_static_selectorELNS0_4arch9wavefront6targetE0EEEvSD_,"axG",@progbits,_ZN7rocprim17ROCPRIM_400000_NS6detail17trampoline_kernelINS0_14default_configENS1_35radix_sort_onesweep_config_selectorIjNS0_10empty_typeEEEZNS1_34radix_sort_onesweep_global_offsetsIS3_Lb0EPKjPS5_mNS0_19identity_decomposerEEE10hipError_tT1_T2_PT3_SF_jT4_jjP12ihipStream_tbEUlT_E_NS1_11comp_targetILNS1_3genE0ELNS1_11target_archE4294967295ELNS1_3gpuE0ELNS1_3repE0EEENS1_52radix_sort_onesweep_histogram_config_static_selectorELNS0_4arch9wavefront6targetE0EEEvSD_,comdat
.Lfunc_end2726:
	.size	_ZN7rocprim17ROCPRIM_400000_NS6detail17trampoline_kernelINS0_14default_configENS1_35radix_sort_onesweep_config_selectorIjNS0_10empty_typeEEEZNS1_34radix_sort_onesweep_global_offsetsIS3_Lb0EPKjPS5_mNS0_19identity_decomposerEEE10hipError_tT1_T2_PT3_SF_jT4_jjP12ihipStream_tbEUlT_E_NS1_11comp_targetILNS1_3genE0ELNS1_11target_archE4294967295ELNS1_3gpuE0ELNS1_3repE0EEENS1_52radix_sort_onesweep_histogram_config_static_selectorELNS0_4arch9wavefront6targetE0EEEvSD_, .Lfunc_end2726-_ZN7rocprim17ROCPRIM_400000_NS6detail17trampoline_kernelINS0_14default_configENS1_35radix_sort_onesweep_config_selectorIjNS0_10empty_typeEEEZNS1_34radix_sort_onesweep_global_offsetsIS3_Lb0EPKjPS5_mNS0_19identity_decomposerEEE10hipError_tT1_T2_PT3_SF_jT4_jjP12ihipStream_tbEUlT_E_NS1_11comp_targetILNS1_3genE0ELNS1_11target_archE4294967295ELNS1_3gpuE0ELNS1_3repE0EEENS1_52radix_sort_onesweep_histogram_config_static_selectorELNS0_4arch9wavefront6targetE0EEEvSD_
                                        ; -- End function
	.set _ZN7rocprim17ROCPRIM_400000_NS6detail17trampoline_kernelINS0_14default_configENS1_35radix_sort_onesweep_config_selectorIjNS0_10empty_typeEEEZNS1_34radix_sort_onesweep_global_offsetsIS3_Lb0EPKjPS5_mNS0_19identity_decomposerEEE10hipError_tT1_T2_PT3_SF_jT4_jjP12ihipStream_tbEUlT_E_NS1_11comp_targetILNS1_3genE0ELNS1_11target_archE4294967295ELNS1_3gpuE0ELNS1_3repE0EEENS1_52radix_sort_onesweep_histogram_config_static_selectorELNS0_4arch9wavefront6targetE0EEEvSD_.num_vgpr, 28
	.set _ZN7rocprim17ROCPRIM_400000_NS6detail17trampoline_kernelINS0_14default_configENS1_35radix_sort_onesweep_config_selectorIjNS0_10empty_typeEEEZNS1_34radix_sort_onesweep_global_offsetsIS3_Lb0EPKjPS5_mNS0_19identity_decomposerEEE10hipError_tT1_T2_PT3_SF_jT4_jjP12ihipStream_tbEUlT_E_NS1_11comp_targetILNS1_3genE0ELNS1_11target_archE4294967295ELNS1_3gpuE0ELNS1_3repE0EEENS1_52radix_sort_onesweep_histogram_config_static_selectorELNS0_4arch9wavefront6targetE0EEEvSD_.num_agpr, 0
	.set _ZN7rocprim17ROCPRIM_400000_NS6detail17trampoline_kernelINS0_14default_configENS1_35radix_sort_onesweep_config_selectorIjNS0_10empty_typeEEEZNS1_34radix_sort_onesweep_global_offsetsIS3_Lb0EPKjPS5_mNS0_19identity_decomposerEEE10hipError_tT1_T2_PT3_SF_jT4_jjP12ihipStream_tbEUlT_E_NS1_11comp_targetILNS1_3genE0ELNS1_11target_archE4294967295ELNS1_3gpuE0ELNS1_3repE0EEENS1_52radix_sort_onesweep_histogram_config_static_selectorELNS0_4arch9wavefront6targetE0EEEvSD_.numbered_sgpr, 13
	.set _ZN7rocprim17ROCPRIM_400000_NS6detail17trampoline_kernelINS0_14default_configENS1_35radix_sort_onesweep_config_selectorIjNS0_10empty_typeEEEZNS1_34radix_sort_onesweep_global_offsetsIS3_Lb0EPKjPS5_mNS0_19identity_decomposerEEE10hipError_tT1_T2_PT3_SF_jT4_jjP12ihipStream_tbEUlT_E_NS1_11comp_targetILNS1_3genE0ELNS1_11target_archE4294967295ELNS1_3gpuE0ELNS1_3repE0EEENS1_52radix_sort_onesweep_histogram_config_static_selectorELNS0_4arch9wavefront6targetE0EEEvSD_.num_named_barrier, 0
	.set _ZN7rocprim17ROCPRIM_400000_NS6detail17trampoline_kernelINS0_14default_configENS1_35radix_sort_onesweep_config_selectorIjNS0_10empty_typeEEEZNS1_34radix_sort_onesweep_global_offsetsIS3_Lb0EPKjPS5_mNS0_19identity_decomposerEEE10hipError_tT1_T2_PT3_SF_jT4_jjP12ihipStream_tbEUlT_E_NS1_11comp_targetILNS1_3genE0ELNS1_11target_archE4294967295ELNS1_3gpuE0ELNS1_3repE0EEENS1_52radix_sort_onesweep_histogram_config_static_selectorELNS0_4arch9wavefront6targetE0EEEvSD_.private_seg_size, 0
	.set _ZN7rocprim17ROCPRIM_400000_NS6detail17trampoline_kernelINS0_14default_configENS1_35radix_sort_onesweep_config_selectorIjNS0_10empty_typeEEEZNS1_34radix_sort_onesweep_global_offsetsIS3_Lb0EPKjPS5_mNS0_19identity_decomposerEEE10hipError_tT1_T2_PT3_SF_jT4_jjP12ihipStream_tbEUlT_E_NS1_11comp_targetILNS1_3genE0ELNS1_11target_archE4294967295ELNS1_3gpuE0ELNS1_3repE0EEENS1_52radix_sort_onesweep_histogram_config_static_selectorELNS0_4arch9wavefront6targetE0EEEvSD_.uses_vcc, 1
	.set _ZN7rocprim17ROCPRIM_400000_NS6detail17trampoline_kernelINS0_14default_configENS1_35radix_sort_onesweep_config_selectorIjNS0_10empty_typeEEEZNS1_34radix_sort_onesweep_global_offsetsIS3_Lb0EPKjPS5_mNS0_19identity_decomposerEEE10hipError_tT1_T2_PT3_SF_jT4_jjP12ihipStream_tbEUlT_E_NS1_11comp_targetILNS1_3genE0ELNS1_11target_archE4294967295ELNS1_3gpuE0ELNS1_3repE0EEENS1_52radix_sort_onesweep_histogram_config_static_selectorELNS0_4arch9wavefront6targetE0EEEvSD_.uses_flat_scratch, 0
	.set _ZN7rocprim17ROCPRIM_400000_NS6detail17trampoline_kernelINS0_14default_configENS1_35radix_sort_onesweep_config_selectorIjNS0_10empty_typeEEEZNS1_34radix_sort_onesweep_global_offsetsIS3_Lb0EPKjPS5_mNS0_19identity_decomposerEEE10hipError_tT1_T2_PT3_SF_jT4_jjP12ihipStream_tbEUlT_E_NS1_11comp_targetILNS1_3genE0ELNS1_11target_archE4294967295ELNS1_3gpuE0ELNS1_3repE0EEENS1_52radix_sort_onesweep_histogram_config_static_selectorELNS0_4arch9wavefront6targetE0EEEvSD_.has_dyn_sized_stack, 0
	.set _ZN7rocprim17ROCPRIM_400000_NS6detail17trampoline_kernelINS0_14default_configENS1_35radix_sort_onesweep_config_selectorIjNS0_10empty_typeEEEZNS1_34radix_sort_onesweep_global_offsetsIS3_Lb0EPKjPS5_mNS0_19identity_decomposerEEE10hipError_tT1_T2_PT3_SF_jT4_jjP12ihipStream_tbEUlT_E_NS1_11comp_targetILNS1_3genE0ELNS1_11target_archE4294967295ELNS1_3gpuE0ELNS1_3repE0EEENS1_52radix_sort_onesweep_histogram_config_static_selectorELNS0_4arch9wavefront6targetE0EEEvSD_.has_recursion, 0
	.set _ZN7rocprim17ROCPRIM_400000_NS6detail17trampoline_kernelINS0_14default_configENS1_35radix_sort_onesweep_config_selectorIjNS0_10empty_typeEEEZNS1_34radix_sort_onesweep_global_offsetsIS3_Lb0EPKjPS5_mNS0_19identity_decomposerEEE10hipError_tT1_T2_PT3_SF_jT4_jjP12ihipStream_tbEUlT_E_NS1_11comp_targetILNS1_3genE0ELNS1_11target_archE4294967295ELNS1_3gpuE0ELNS1_3repE0EEENS1_52radix_sort_onesweep_histogram_config_static_selectorELNS0_4arch9wavefront6targetE0EEEvSD_.has_indirect_call, 0
	.section	.AMDGPU.csdata,"",@progbits
; Kernel info:
; codeLenInByte = 12536
; TotalNumSgprs: 15
; NumVgprs: 28
; ScratchSize: 0
; MemoryBound: 0
; FloatMode: 240
; IeeeMode: 1
; LDSByteSize: 16384 bytes/workgroup (compile time only)
; SGPRBlocks: 0
; VGPRBlocks: 1
; NumSGPRsForWavesPerEU: 15
; NumVGPRsForWavesPerEU: 28
; NamedBarCnt: 0
; Occupancy: 16
; WaveLimiterHint : 1
; COMPUTE_PGM_RSRC2:SCRATCH_EN: 0
; COMPUTE_PGM_RSRC2:USER_SGPR: 2
; COMPUTE_PGM_RSRC2:TRAP_HANDLER: 0
; COMPUTE_PGM_RSRC2:TGID_X_EN: 1
; COMPUTE_PGM_RSRC2:TGID_Y_EN: 0
; COMPUTE_PGM_RSRC2:TGID_Z_EN: 0
; COMPUTE_PGM_RSRC2:TIDIG_COMP_CNT: 0
	.section	.text._ZN7rocprim17ROCPRIM_400000_NS6detail17trampoline_kernelINS0_14default_configENS1_35radix_sort_onesweep_config_selectorIjNS0_10empty_typeEEEZNS1_34radix_sort_onesweep_global_offsetsIS3_Lb0EPKjPS5_mNS0_19identity_decomposerEEE10hipError_tT1_T2_PT3_SF_jT4_jjP12ihipStream_tbEUlT_E_NS1_11comp_targetILNS1_3genE6ELNS1_11target_archE950ELNS1_3gpuE13ELNS1_3repE0EEENS1_52radix_sort_onesweep_histogram_config_static_selectorELNS0_4arch9wavefront6targetE0EEEvSD_,"axG",@progbits,_ZN7rocprim17ROCPRIM_400000_NS6detail17trampoline_kernelINS0_14default_configENS1_35radix_sort_onesweep_config_selectorIjNS0_10empty_typeEEEZNS1_34radix_sort_onesweep_global_offsetsIS3_Lb0EPKjPS5_mNS0_19identity_decomposerEEE10hipError_tT1_T2_PT3_SF_jT4_jjP12ihipStream_tbEUlT_E_NS1_11comp_targetILNS1_3genE6ELNS1_11target_archE950ELNS1_3gpuE13ELNS1_3repE0EEENS1_52radix_sort_onesweep_histogram_config_static_selectorELNS0_4arch9wavefront6targetE0EEEvSD_,comdat
	.protected	_ZN7rocprim17ROCPRIM_400000_NS6detail17trampoline_kernelINS0_14default_configENS1_35radix_sort_onesweep_config_selectorIjNS0_10empty_typeEEEZNS1_34radix_sort_onesweep_global_offsetsIS3_Lb0EPKjPS5_mNS0_19identity_decomposerEEE10hipError_tT1_T2_PT3_SF_jT4_jjP12ihipStream_tbEUlT_E_NS1_11comp_targetILNS1_3genE6ELNS1_11target_archE950ELNS1_3gpuE13ELNS1_3repE0EEENS1_52radix_sort_onesweep_histogram_config_static_selectorELNS0_4arch9wavefront6targetE0EEEvSD_ ; -- Begin function _ZN7rocprim17ROCPRIM_400000_NS6detail17trampoline_kernelINS0_14default_configENS1_35radix_sort_onesweep_config_selectorIjNS0_10empty_typeEEEZNS1_34radix_sort_onesweep_global_offsetsIS3_Lb0EPKjPS5_mNS0_19identity_decomposerEEE10hipError_tT1_T2_PT3_SF_jT4_jjP12ihipStream_tbEUlT_E_NS1_11comp_targetILNS1_3genE6ELNS1_11target_archE950ELNS1_3gpuE13ELNS1_3repE0EEENS1_52radix_sort_onesweep_histogram_config_static_selectorELNS0_4arch9wavefront6targetE0EEEvSD_
	.globl	_ZN7rocprim17ROCPRIM_400000_NS6detail17trampoline_kernelINS0_14default_configENS1_35radix_sort_onesweep_config_selectorIjNS0_10empty_typeEEEZNS1_34radix_sort_onesweep_global_offsetsIS3_Lb0EPKjPS5_mNS0_19identity_decomposerEEE10hipError_tT1_T2_PT3_SF_jT4_jjP12ihipStream_tbEUlT_E_NS1_11comp_targetILNS1_3genE6ELNS1_11target_archE950ELNS1_3gpuE13ELNS1_3repE0EEENS1_52radix_sort_onesweep_histogram_config_static_selectorELNS0_4arch9wavefront6targetE0EEEvSD_
	.p2align	8
	.type	_ZN7rocprim17ROCPRIM_400000_NS6detail17trampoline_kernelINS0_14default_configENS1_35radix_sort_onesweep_config_selectorIjNS0_10empty_typeEEEZNS1_34radix_sort_onesweep_global_offsetsIS3_Lb0EPKjPS5_mNS0_19identity_decomposerEEE10hipError_tT1_T2_PT3_SF_jT4_jjP12ihipStream_tbEUlT_E_NS1_11comp_targetILNS1_3genE6ELNS1_11target_archE950ELNS1_3gpuE13ELNS1_3repE0EEENS1_52radix_sort_onesweep_histogram_config_static_selectorELNS0_4arch9wavefront6targetE0EEEvSD_,@function
_ZN7rocprim17ROCPRIM_400000_NS6detail17trampoline_kernelINS0_14default_configENS1_35radix_sort_onesweep_config_selectorIjNS0_10empty_typeEEEZNS1_34radix_sort_onesweep_global_offsetsIS3_Lb0EPKjPS5_mNS0_19identity_decomposerEEE10hipError_tT1_T2_PT3_SF_jT4_jjP12ihipStream_tbEUlT_E_NS1_11comp_targetILNS1_3genE6ELNS1_11target_archE950ELNS1_3gpuE13ELNS1_3repE0EEENS1_52radix_sort_onesweep_histogram_config_static_selectorELNS0_4arch9wavefront6targetE0EEEvSD_: ; @_ZN7rocprim17ROCPRIM_400000_NS6detail17trampoline_kernelINS0_14default_configENS1_35radix_sort_onesweep_config_selectorIjNS0_10empty_typeEEEZNS1_34radix_sort_onesweep_global_offsetsIS3_Lb0EPKjPS5_mNS0_19identity_decomposerEEE10hipError_tT1_T2_PT3_SF_jT4_jjP12ihipStream_tbEUlT_E_NS1_11comp_targetILNS1_3genE6ELNS1_11target_archE950ELNS1_3gpuE13ELNS1_3repE0EEENS1_52radix_sort_onesweep_histogram_config_static_selectorELNS0_4arch9wavefront6targetE0EEEvSD_
; %bb.0:
	.section	.rodata,"a",@progbits
	.p2align	6, 0x0
	.amdhsa_kernel _ZN7rocprim17ROCPRIM_400000_NS6detail17trampoline_kernelINS0_14default_configENS1_35radix_sort_onesweep_config_selectorIjNS0_10empty_typeEEEZNS1_34radix_sort_onesweep_global_offsetsIS3_Lb0EPKjPS5_mNS0_19identity_decomposerEEE10hipError_tT1_T2_PT3_SF_jT4_jjP12ihipStream_tbEUlT_E_NS1_11comp_targetILNS1_3genE6ELNS1_11target_archE950ELNS1_3gpuE13ELNS1_3repE0EEENS1_52radix_sort_onesweep_histogram_config_static_selectorELNS0_4arch9wavefront6targetE0EEEvSD_
		.amdhsa_group_segment_fixed_size 0
		.amdhsa_private_segment_fixed_size 0
		.amdhsa_kernarg_size 48
		.amdhsa_user_sgpr_count 2
		.amdhsa_user_sgpr_dispatch_ptr 0
		.amdhsa_user_sgpr_queue_ptr 0
		.amdhsa_user_sgpr_kernarg_segment_ptr 1
		.amdhsa_user_sgpr_dispatch_id 0
		.amdhsa_user_sgpr_kernarg_preload_length 0
		.amdhsa_user_sgpr_kernarg_preload_offset 0
		.amdhsa_user_sgpr_private_segment_size 0
		.amdhsa_wavefront_size32 1
		.amdhsa_uses_dynamic_stack 0
		.amdhsa_enable_private_segment 0
		.amdhsa_system_sgpr_workgroup_id_x 1
		.amdhsa_system_sgpr_workgroup_id_y 0
		.amdhsa_system_sgpr_workgroup_id_z 0
		.amdhsa_system_sgpr_workgroup_info 0
		.amdhsa_system_vgpr_workitem_id 0
		.amdhsa_next_free_vgpr 1
		.amdhsa_next_free_sgpr 1
		.amdhsa_named_barrier_count 0
		.amdhsa_reserve_vcc 0
		.amdhsa_float_round_mode_32 0
		.amdhsa_float_round_mode_16_64 0
		.amdhsa_float_denorm_mode_32 3
		.amdhsa_float_denorm_mode_16_64 3
		.amdhsa_fp16_overflow 0
		.amdhsa_memory_ordered 1
		.amdhsa_forward_progress 1
		.amdhsa_inst_pref_size 0
		.amdhsa_round_robin_scheduling 0
		.amdhsa_exception_fp_ieee_invalid_op 0
		.amdhsa_exception_fp_denorm_src 0
		.amdhsa_exception_fp_ieee_div_zero 0
		.amdhsa_exception_fp_ieee_overflow 0
		.amdhsa_exception_fp_ieee_underflow 0
		.amdhsa_exception_fp_ieee_inexact 0
		.amdhsa_exception_int_div_zero 0
	.end_amdhsa_kernel
	.section	.text._ZN7rocprim17ROCPRIM_400000_NS6detail17trampoline_kernelINS0_14default_configENS1_35radix_sort_onesweep_config_selectorIjNS0_10empty_typeEEEZNS1_34radix_sort_onesweep_global_offsetsIS3_Lb0EPKjPS5_mNS0_19identity_decomposerEEE10hipError_tT1_T2_PT3_SF_jT4_jjP12ihipStream_tbEUlT_E_NS1_11comp_targetILNS1_3genE6ELNS1_11target_archE950ELNS1_3gpuE13ELNS1_3repE0EEENS1_52radix_sort_onesweep_histogram_config_static_selectorELNS0_4arch9wavefront6targetE0EEEvSD_,"axG",@progbits,_ZN7rocprim17ROCPRIM_400000_NS6detail17trampoline_kernelINS0_14default_configENS1_35radix_sort_onesweep_config_selectorIjNS0_10empty_typeEEEZNS1_34radix_sort_onesweep_global_offsetsIS3_Lb0EPKjPS5_mNS0_19identity_decomposerEEE10hipError_tT1_T2_PT3_SF_jT4_jjP12ihipStream_tbEUlT_E_NS1_11comp_targetILNS1_3genE6ELNS1_11target_archE950ELNS1_3gpuE13ELNS1_3repE0EEENS1_52radix_sort_onesweep_histogram_config_static_selectorELNS0_4arch9wavefront6targetE0EEEvSD_,comdat
.Lfunc_end2727:
	.size	_ZN7rocprim17ROCPRIM_400000_NS6detail17trampoline_kernelINS0_14default_configENS1_35radix_sort_onesweep_config_selectorIjNS0_10empty_typeEEEZNS1_34radix_sort_onesweep_global_offsetsIS3_Lb0EPKjPS5_mNS0_19identity_decomposerEEE10hipError_tT1_T2_PT3_SF_jT4_jjP12ihipStream_tbEUlT_E_NS1_11comp_targetILNS1_3genE6ELNS1_11target_archE950ELNS1_3gpuE13ELNS1_3repE0EEENS1_52radix_sort_onesweep_histogram_config_static_selectorELNS0_4arch9wavefront6targetE0EEEvSD_, .Lfunc_end2727-_ZN7rocprim17ROCPRIM_400000_NS6detail17trampoline_kernelINS0_14default_configENS1_35radix_sort_onesweep_config_selectorIjNS0_10empty_typeEEEZNS1_34radix_sort_onesweep_global_offsetsIS3_Lb0EPKjPS5_mNS0_19identity_decomposerEEE10hipError_tT1_T2_PT3_SF_jT4_jjP12ihipStream_tbEUlT_E_NS1_11comp_targetILNS1_3genE6ELNS1_11target_archE950ELNS1_3gpuE13ELNS1_3repE0EEENS1_52radix_sort_onesweep_histogram_config_static_selectorELNS0_4arch9wavefront6targetE0EEEvSD_
                                        ; -- End function
	.set _ZN7rocprim17ROCPRIM_400000_NS6detail17trampoline_kernelINS0_14default_configENS1_35radix_sort_onesweep_config_selectorIjNS0_10empty_typeEEEZNS1_34radix_sort_onesweep_global_offsetsIS3_Lb0EPKjPS5_mNS0_19identity_decomposerEEE10hipError_tT1_T2_PT3_SF_jT4_jjP12ihipStream_tbEUlT_E_NS1_11comp_targetILNS1_3genE6ELNS1_11target_archE950ELNS1_3gpuE13ELNS1_3repE0EEENS1_52radix_sort_onesweep_histogram_config_static_selectorELNS0_4arch9wavefront6targetE0EEEvSD_.num_vgpr, 0
	.set _ZN7rocprim17ROCPRIM_400000_NS6detail17trampoline_kernelINS0_14default_configENS1_35radix_sort_onesweep_config_selectorIjNS0_10empty_typeEEEZNS1_34radix_sort_onesweep_global_offsetsIS3_Lb0EPKjPS5_mNS0_19identity_decomposerEEE10hipError_tT1_T2_PT3_SF_jT4_jjP12ihipStream_tbEUlT_E_NS1_11comp_targetILNS1_3genE6ELNS1_11target_archE950ELNS1_3gpuE13ELNS1_3repE0EEENS1_52radix_sort_onesweep_histogram_config_static_selectorELNS0_4arch9wavefront6targetE0EEEvSD_.num_agpr, 0
	.set _ZN7rocprim17ROCPRIM_400000_NS6detail17trampoline_kernelINS0_14default_configENS1_35radix_sort_onesweep_config_selectorIjNS0_10empty_typeEEEZNS1_34radix_sort_onesweep_global_offsetsIS3_Lb0EPKjPS5_mNS0_19identity_decomposerEEE10hipError_tT1_T2_PT3_SF_jT4_jjP12ihipStream_tbEUlT_E_NS1_11comp_targetILNS1_3genE6ELNS1_11target_archE950ELNS1_3gpuE13ELNS1_3repE0EEENS1_52radix_sort_onesweep_histogram_config_static_selectorELNS0_4arch9wavefront6targetE0EEEvSD_.numbered_sgpr, 0
	.set _ZN7rocprim17ROCPRIM_400000_NS6detail17trampoline_kernelINS0_14default_configENS1_35radix_sort_onesweep_config_selectorIjNS0_10empty_typeEEEZNS1_34radix_sort_onesweep_global_offsetsIS3_Lb0EPKjPS5_mNS0_19identity_decomposerEEE10hipError_tT1_T2_PT3_SF_jT4_jjP12ihipStream_tbEUlT_E_NS1_11comp_targetILNS1_3genE6ELNS1_11target_archE950ELNS1_3gpuE13ELNS1_3repE0EEENS1_52radix_sort_onesweep_histogram_config_static_selectorELNS0_4arch9wavefront6targetE0EEEvSD_.num_named_barrier, 0
	.set _ZN7rocprim17ROCPRIM_400000_NS6detail17trampoline_kernelINS0_14default_configENS1_35radix_sort_onesweep_config_selectorIjNS0_10empty_typeEEEZNS1_34radix_sort_onesweep_global_offsetsIS3_Lb0EPKjPS5_mNS0_19identity_decomposerEEE10hipError_tT1_T2_PT3_SF_jT4_jjP12ihipStream_tbEUlT_E_NS1_11comp_targetILNS1_3genE6ELNS1_11target_archE950ELNS1_3gpuE13ELNS1_3repE0EEENS1_52radix_sort_onesweep_histogram_config_static_selectorELNS0_4arch9wavefront6targetE0EEEvSD_.private_seg_size, 0
	.set _ZN7rocprim17ROCPRIM_400000_NS6detail17trampoline_kernelINS0_14default_configENS1_35radix_sort_onesweep_config_selectorIjNS0_10empty_typeEEEZNS1_34radix_sort_onesweep_global_offsetsIS3_Lb0EPKjPS5_mNS0_19identity_decomposerEEE10hipError_tT1_T2_PT3_SF_jT4_jjP12ihipStream_tbEUlT_E_NS1_11comp_targetILNS1_3genE6ELNS1_11target_archE950ELNS1_3gpuE13ELNS1_3repE0EEENS1_52radix_sort_onesweep_histogram_config_static_selectorELNS0_4arch9wavefront6targetE0EEEvSD_.uses_vcc, 0
	.set _ZN7rocprim17ROCPRIM_400000_NS6detail17trampoline_kernelINS0_14default_configENS1_35radix_sort_onesweep_config_selectorIjNS0_10empty_typeEEEZNS1_34radix_sort_onesweep_global_offsetsIS3_Lb0EPKjPS5_mNS0_19identity_decomposerEEE10hipError_tT1_T2_PT3_SF_jT4_jjP12ihipStream_tbEUlT_E_NS1_11comp_targetILNS1_3genE6ELNS1_11target_archE950ELNS1_3gpuE13ELNS1_3repE0EEENS1_52radix_sort_onesweep_histogram_config_static_selectorELNS0_4arch9wavefront6targetE0EEEvSD_.uses_flat_scratch, 0
	.set _ZN7rocprim17ROCPRIM_400000_NS6detail17trampoline_kernelINS0_14default_configENS1_35radix_sort_onesweep_config_selectorIjNS0_10empty_typeEEEZNS1_34radix_sort_onesweep_global_offsetsIS3_Lb0EPKjPS5_mNS0_19identity_decomposerEEE10hipError_tT1_T2_PT3_SF_jT4_jjP12ihipStream_tbEUlT_E_NS1_11comp_targetILNS1_3genE6ELNS1_11target_archE950ELNS1_3gpuE13ELNS1_3repE0EEENS1_52radix_sort_onesweep_histogram_config_static_selectorELNS0_4arch9wavefront6targetE0EEEvSD_.has_dyn_sized_stack, 0
	.set _ZN7rocprim17ROCPRIM_400000_NS6detail17trampoline_kernelINS0_14default_configENS1_35radix_sort_onesweep_config_selectorIjNS0_10empty_typeEEEZNS1_34radix_sort_onesweep_global_offsetsIS3_Lb0EPKjPS5_mNS0_19identity_decomposerEEE10hipError_tT1_T2_PT3_SF_jT4_jjP12ihipStream_tbEUlT_E_NS1_11comp_targetILNS1_3genE6ELNS1_11target_archE950ELNS1_3gpuE13ELNS1_3repE0EEENS1_52radix_sort_onesweep_histogram_config_static_selectorELNS0_4arch9wavefront6targetE0EEEvSD_.has_recursion, 0
	.set _ZN7rocprim17ROCPRIM_400000_NS6detail17trampoline_kernelINS0_14default_configENS1_35radix_sort_onesweep_config_selectorIjNS0_10empty_typeEEEZNS1_34radix_sort_onesweep_global_offsetsIS3_Lb0EPKjPS5_mNS0_19identity_decomposerEEE10hipError_tT1_T2_PT3_SF_jT4_jjP12ihipStream_tbEUlT_E_NS1_11comp_targetILNS1_3genE6ELNS1_11target_archE950ELNS1_3gpuE13ELNS1_3repE0EEENS1_52radix_sort_onesweep_histogram_config_static_selectorELNS0_4arch9wavefront6targetE0EEEvSD_.has_indirect_call, 0
	.section	.AMDGPU.csdata,"",@progbits
; Kernel info:
; codeLenInByte = 0
; TotalNumSgprs: 0
; NumVgprs: 0
; ScratchSize: 0
; MemoryBound: 0
; FloatMode: 240
; IeeeMode: 1
; LDSByteSize: 0 bytes/workgroup (compile time only)
; SGPRBlocks: 0
; VGPRBlocks: 0
; NumSGPRsForWavesPerEU: 1
; NumVGPRsForWavesPerEU: 1
; NamedBarCnt: 0
; Occupancy: 16
; WaveLimiterHint : 0
; COMPUTE_PGM_RSRC2:SCRATCH_EN: 0
; COMPUTE_PGM_RSRC2:USER_SGPR: 2
; COMPUTE_PGM_RSRC2:TRAP_HANDLER: 0
; COMPUTE_PGM_RSRC2:TGID_X_EN: 1
; COMPUTE_PGM_RSRC2:TGID_Y_EN: 0
; COMPUTE_PGM_RSRC2:TGID_Z_EN: 0
; COMPUTE_PGM_RSRC2:TIDIG_COMP_CNT: 0
	.section	.text._ZN7rocprim17ROCPRIM_400000_NS6detail17trampoline_kernelINS0_14default_configENS1_35radix_sort_onesweep_config_selectorIjNS0_10empty_typeEEEZNS1_34radix_sort_onesweep_global_offsetsIS3_Lb0EPKjPS5_mNS0_19identity_decomposerEEE10hipError_tT1_T2_PT3_SF_jT4_jjP12ihipStream_tbEUlT_E_NS1_11comp_targetILNS1_3genE5ELNS1_11target_archE942ELNS1_3gpuE9ELNS1_3repE0EEENS1_52radix_sort_onesweep_histogram_config_static_selectorELNS0_4arch9wavefront6targetE0EEEvSD_,"axG",@progbits,_ZN7rocprim17ROCPRIM_400000_NS6detail17trampoline_kernelINS0_14default_configENS1_35radix_sort_onesweep_config_selectorIjNS0_10empty_typeEEEZNS1_34radix_sort_onesweep_global_offsetsIS3_Lb0EPKjPS5_mNS0_19identity_decomposerEEE10hipError_tT1_T2_PT3_SF_jT4_jjP12ihipStream_tbEUlT_E_NS1_11comp_targetILNS1_3genE5ELNS1_11target_archE942ELNS1_3gpuE9ELNS1_3repE0EEENS1_52radix_sort_onesweep_histogram_config_static_selectorELNS0_4arch9wavefront6targetE0EEEvSD_,comdat
	.protected	_ZN7rocprim17ROCPRIM_400000_NS6detail17trampoline_kernelINS0_14default_configENS1_35radix_sort_onesweep_config_selectorIjNS0_10empty_typeEEEZNS1_34radix_sort_onesweep_global_offsetsIS3_Lb0EPKjPS5_mNS0_19identity_decomposerEEE10hipError_tT1_T2_PT3_SF_jT4_jjP12ihipStream_tbEUlT_E_NS1_11comp_targetILNS1_3genE5ELNS1_11target_archE942ELNS1_3gpuE9ELNS1_3repE0EEENS1_52radix_sort_onesweep_histogram_config_static_selectorELNS0_4arch9wavefront6targetE0EEEvSD_ ; -- Begin function _ZN7rocprim17ROCPRIM_400000_NS6detail17trampoline_kernelINS0_14default_configENS1_35radix_sort_onesweep_config_selectorIjNS0_10empty_typeEEEZNS1_34radix_sort_onesweep_global_offsetsIS3_Lb0EPKjPS5_mNS0_19identity_decomposerEEE10hipError_tT1_T2_PT3_SF_jT4_jjP12ihipStream_tbEUlT_E_NS1_11comp_targetILNS1_3genE5ELNS1_11target_archE942ELNS1_3gpuE9ELNS1_3repE0EEENS1_52radix_sort_onesweep_histogram_config_static_selectorELNS0_4arch9wavefront6targetE0EEEvSD_
	.globl	_ZN7rocprim17ROCPRIM_400000_NS6detail17trampoline_kernelINS0_14default_configENS1_35radix_sort_onesweep_config_selectorIjNS0_10empty_typeEEEZNS1_34radix_sort_onesweep_global_offsetsIS3_Lb0EPKjPS5_mNS0_19identity_decomposerEEE10hipError_tT1_T2_PT3_SF_jT4_jjP12ihipStream_tbEUlT_E_NS1_11comp_targetILNS1_3genE5ELNS1_11target_archE942ELNS1_3gpuE9ELNS1_3repE0EEENS1_52radix_sort_onesweep_histogram_config_static_selectorELNS0_4arch9wavefront6targetE0EEEvSD_
	.p2align	8
	.type	_ZN7rocprim17ROCPRIM_400000_NS6detail17trampoline_kernelINS0_14default_configENS1_35radix_sort_onesweep_config_selectorIjNS0_10empty_typeEEEZNS1_34radix_sort_onesweep_global_offsetsIS3_Lb0EPKjPS5_mNS0_19identity_decomposerEEE10hipError_tT1_T2_PT3_SF_jT4_jjP12ihipStream_tbEUlT_E_NS1_11comp_targetILNS1_3genE5ELNS1_11target_archE942ELNS1_3gpuE9ELNS1_3repE0EEENS1_52radix_sort_onesweep_histogram_config_static_selectorELNS0_4arch9wavefront6targetE0EEEvSD_,@function
_ZN7rocprim17ROCPRIM_400000_NS6detail17trampoline_kernelINS0_14default_configENS1_35radix_sort_onesweep_config_selectorIjNS0_10empty_typeEEEZNS1_34radix_sort_onesweep_global_offsetsIS3_Lb0EPKjPS5_mNS0_19identity_decomposerEEE10hipError_tT1_T2_PT3_SF_jT4_jjP12ihipStream_tbEUlT_E_NS1_11comp_targetILNS1_3genE5ELNS1_11target_archE942ELNS1_3gpuE9ELNS1_3repE0EEENS1_52radix_sort_onesweep_histogram_config_static_selectorELNS0_4arch9wavefront6targetE0EEEvSD_: ; @_ZN7rocprim17ROCPRIM_400000_NS6detail17trampoline_kernelINS0_14default_configENS1_35radix_sort_onesweep_config_selectorIjNS0_10empty_typeEEEZNS1_34radix_sort_onesweep_global_offsetsIS3_Lb0EPKjPS5_mNS0_19identity_decomposerEEE10hipError_tT1_T2_PT3_SF_jT4_jjP12ihipStream_tbEUlT_E_NS1_11comp_targetILNS1_3genE5ELNS1_11target_archE942ELNS1_3gpuE9ELNS1_3repE0EEENS1_52radix_sort_onesweep_histogram_config_static_selectorELNS0_4arch9wavefront6targetE0EEEvSD_
; %bb.0:
	.section	.rodata,"a",@progbits
	.p2align	6, 0x0
	.amdhsa_kernel _ZN7rocprim17ROCPRIM_400000_NS6detail17trampoline_kernelINS0_14default_configENS1_35radix_sort_onesweep_config_selectorIjNS0_10empty_typeEEEZNS1_34radix_sort_onesweep_global_offsetsIS3_Lb0EPKjPS5_mNS0_19identity_decomposerEEE10hipError_tT1_T2_PT3_SF_jT4_jjP12ihipStream_tbEUlT_E_NS1_11comp_targetILNS1_3genE5ELNS1_11target_archE942ELNS1_3gpuE9ELNS1_3repE0EEENS1_52radix_sort_onesweep_histogram_config_static_selectorELNS0_4arch9wavefront6targetE0EEEvSD_
		.amdhsa_group_segment_fixed_size 0
		.amdhsa_private_segment_fixed_size 0
		.amdhsa_kernarg_size 48
		.amdhsa_user_sgpr_count 2
		.amdhsa_user_sgpr_dispatch_ptr 0
		.amdhsa_user_sgpr_queue_ptr 0
		.amdhsa_user_sgpr_kernarg_segment_ptr 1
		.amdhsa_user_sgpr_dispatch_id 0
		.amdhsa_user_sgpr_kernarg_preload_length 0
		.amdhsa_user_sgpr_kernarg_preload_offset 0
		.amdhsa_user_sgpr_private_segment_size 0
		.amdhsa_wavefront_size32 1
		.amdhsa_uses_dynamic_stack 0
		.amdhsa_enable_private_segment 0
		.amdhsa_system_sgpr_workgroup_id_x 1
		.amdhsa_system_sgpr_workgroup_id_y 0
		.amdhsa_system_sgpr_workgroup_id_z 0
		.amdhsa_system_sgpr_workgroup_info 0
		.amdhsa_system_vgpr_workitem_id 0
		.amdhsa_next_free_vgpr 1
		.amdhsa_next_free_sgpr 1
		.amdhsa_named_barrier_count 0
		.amdhsa_reserve_vcc 0
		.amdhsa_float_round_mode_32 0
		.amdhsa_float_round_mode_16_64 0
		.amdhsa_float_denorm_mode_32 3
		.amdhsa_float_denorm_mode_16_64 3
		.amdhsa_fp16_overflow 0
		.amdhsa_memory_ordered 1
		.amdhsa_forward_progress 1
		.amdhsa_inst_pref_size 0
		.amdhsa_round_robin_scheduling 0
		.amdhsa_exception_fp_ieee_invalid_op 0
		.amdhsa_exception_fp_denorm_src 0
		.amdhsa_exception_fp_ieee_div_zero 0
		.amdhsa_exception_fp_ieee_overflow 0
		.amdhsa_exception_fp_ieee_underflow 0
		.amdhsa_exception_fp_ieee_inexact 0
		.amdhsa_exception_int_div_zero 0
	.end_amdhsa_kernel
	.section	.text._ZN7rocprim17ROCPRIM_400000_NS6detail17trampoline_kernelINS0_14default_configENS1_35radix_sort_onesweep_config_selectorIjNS0_10empty_typeEEEZNS1_34radix_sort_onesweep_global_offsetsIS3_Lb0EPKjPS5_mNS0_19identity_decomposerEEE10hipError_tT1_T2_PT3_SF_jT4_jjP12ihipStream_tbEUlT_E_NS1_11comp_targetILNS1_3genE5ELNS1_11target_archE942ELNS1_3gpuE9ELNS1_3repE0EEENS1_52radix_sort_onesweep_histogram_config_static_selectorELNS0_4arch9wavefront6targetE0EEEvSD_,"axG",@progbits,_ZN7rocprim17ROCPRIM_400000_NS6detail17trampoline_kernelINS0_14default_configENS1_35radix_sort_onesweep_config_selectorIjNS0_10empty_typeEEEZNS1_34radix_sort_onesweep_global_offsetsIS3_Lb0EPKjPS5_mNS0_19identity_decomposerEEE10hipError_tT1_T2_PT3_SF_jT4_jjP12ihipStream_tbEUlT_E_NS1_11comp_targetILNS1_3genE5ELNS1_11target_archE942ELNS1_3gpuE9ELNS1_3repE0EEENS1_52radix_sort_onesweep_histogram_config_static_selectorELNS0_4arch9wavefront6targetE0EEEvSD_,comdat
.Lfunc_end2728:
	.size	_ZN7rocprim17ROCPRIM_400000_NS6detail17trampoline_kernelINS0_14default_configENS1_35radix_sort_onesweep_config_selectorIjNS0_10empty_typeEEEZNS1_34radix_sort_onesweep_global_offsetsIS3_Lb0EPKjPS5_mNS0_19identity_decomposerEEE10hipError_tT1_T2_PT3_SF_jT4_jjP12ihipStream_tbEUlT_E_NS1_11comp_targetILNS1_3genE5ELNS1_11target_archE942ELNS1_3gpuE9ELNS1_3repE0EEENS1_52radix_sort_onesweep_histogram_config_static_selectorELNS0_4arch9wavefront6targetE0EEEvSD_, .Lfunc_end2728-_ZN7rocprim17ROCPRIM_400000_NS6detail17trampoline_kernelINS0_14default_configENS1_35radix_sort_onesweep_config_selectorIjNS0_10empty_typeEEEZNS1_34radix_sort_onesweep_global_offsetsIS3_Lb0EPKjPS5_mNS0_19identity_decomposerEEE10hipError_tT1_T2_PT3_SF_jT4_jjP12ihipStream_tbEUlT_E_NS1_11comp_targetILNS1_3genE5ELNS1_11target_archE942ELNS1_3gpuE9ELNS1_3repE0EEENS1_52radix_sort_onesweep_histogram_config_static_selectorELNS0_4arch9wavefront6targetE0EEEvSD_
                                        ; -- End function
	.set _ZN7rocprim17ROCPRIM_400000_NS6detail17trampoline_kernelINS0_14default_configENS1_35radix_sort_onesweep_config_selectorIjNS0_10empty_typeEEEZNS1_34radix_sort_onesweep_global_offsetsIS3_Lb0EPKjPS5_mNS0_19identity_decomposerEEE10hipError_tT1_T2_PT3_SF_jT4_jjP12ihipStream_tbEUlT_E_NS1_11comp_targetILNS1_3genE5ELNS1_11target_archE942ELNS1_3gpuE9ELNS1_3repE0EEENS1_52radix_sort_onesweep_histogram_config_static_selectorELNS0_4arch9wavefront6targetE0EEEvSD_.num_vgpr, 0
	.set _ZN7rocprim17ROCPRIM_400000_NS6detail17trampoline_kernelINS0_14default_configENS1_35radix_sort_onesweep_config_selectorIjNS0_10empty_typeEEEZNS1_34radix_sort_onesweep_global_offsetsIS3_Lb0EPKjPS5_mNS0_19identity_decomposerEEE10hipError_tT1_T2_PT3_SF_jT4_jjP12ihipStream_tbEUlT_E_NS1_11comp_targetILNS1_3genE5ELNS1_11target_archE942ELNS1_3gpuE9ELNS1_3repE0EEENS1_52radix_sort_onesweep_histogram_config_static_selectorELNS0_4arch9wavefront6targetE0EEEvSD_.num_agpr, 0
	.set _ZN7rocprim17ROCPRIM_400000_NS6detail17trampoline_kernelINS0_14default_configENS1_35radix_sort_onesweep_config_selectorIjNS0_10empty_typeEEEZNS1_34radix_sort_onesweep_global_offsetsIS3_Lb0EPKjPS5_mNS0_19identity_decomposerEEE10hipError_tT1_T2_PT3_SF_jT4_jjP12ihipStream_tbEUlT_E_NS1_11comp_targetILNS1_3genE5ELNS1_11target_archE942ELNS1_3gpuE9ELNS1_3repE0EEENS1_52radix_sort_onesweep_histogram_config_static_selectorELNS0_4arch9wavefront6targetE0EEEvSD_.numbered_sgpr, 0
	.set _ZN7rocprim17ROCPRIM_400000_NS6detail17trampoline_kernelINS0_14default_configENS1_35radix_sort_onesweep_config_selectorIjNS0_10empty_typeEEEZNS1_34radix_sort_onesweep_global_offsetsIS3_Lb0EPKjPS5_mNS0_19identity_decomposerEEE10hipError_tT1_T2_PT3_SF_jT4_jjP12ihipStream_tbEUlT_E_NS1_11comp_targetILNS1_3genE5ELNS1_11target_archE942ELNS1_3gpuE9ELNS1_3repE0EEENS1_52radix_sort_onesweep_histogram_config_static_selectorELNS0_4arch9wavefront6targetE0EEEvSD_.num_named_barrier, 0
	.set _ZN7rocprim17ROCPRIM_400000_NS6detail17trampoline_kernelINS0_14default_configENS1_35radix_sort_onesweep_config_selectorIjNS0_10empty_typeEEEZNS1_34radix_sort_onesweep_global_offsetsIS3_Lb0EPKjPS5_mNS0_19identity_decomposerEEE10hipError_tT1_T2_PT3_SF_jT4_jjP12ihipStream_tbEUlT_E_NS1_11comp_targetILNS1_3genE5ELNS1_11target_archE942ELNS1_3gpuE9ELNS1_3repE0EEENS1_52radix_sort_onesweep_histogram_config_static_selectorELNS0_4arch9wavefront6targetE0EEEvSD_.private_seg_size, 0
	.set _ZN7rocprim17ROCPRIM_400000_NS6detail17trampoline_kernelINS0_14default_configENS1_35radix_sort_onesweep_config_selectorIjNS0_10empty_typeEEEZNS1_34radix_sort_onesweep_global_offsetsIS3_Lb0EPKjPS5_mNS0_19identity_decomposerEEE10hipError_tT1_T2_PT3_SF_jT4_jjP12ihipStream_tbEUlT_E_NS1_11comp_targetILNS1_3genE5ELNS1_11target_archE942ELNS1_3gpuE9ELNS1_3repE0EEENS1_52radix_sort_onesweep_histogram_config_static_selectorELNS0_4arch9wavefront6targetE0EEEvSD_.uses_vcc, 0
	.set _ZN7rocprim17ROCPRIM_400000_NS6detail17trampoline_kernelINS0_14default_configENS1_35radix_sort_onesweep_config_selectorIjNS0_10empty_typeEEEZNS1_34radix_sort_onesweep_global_offsetsIS3_Lb0EPKjPS5_mNS0_19identity_decomposerEEE10hipError_tT1_T2_PT3_SF_jT4_jjP12ihipStream_tbEUlT_E_NS1_11comp_targetILNS1_3genE5ELNS1_11target_archE942ELNS1_3gpuE9ELNS1_3repE0EEENS1_52radix_sort_onesweep_histogram_config_static_selectorELNS0_4arch9wavefront6targetE0EEEvSD_.uses_flat_scratch, 0
	.set _ZN7rocprim17ROCPRIM_400000_NS6detail17trampoline_kernelINS0_14default_configENS1_35radix_sort_onesweep_config_selectorIjNS0_10empty_typeEEEZNS1_34radix_sort_onesweep_global_offsetsIS3_Lb0EPKjPS5_mNS0_19identity_decomposerEEE10hipError_tT1_T2_PT3_SF_jT4_jjP12ihipStream_tbEUlT_E_NS1_11comp_targetILNS1_3genE5ELNS1_11target_archE942ELNS1_3gpuE9ELNS1_3repE0EEENS1_52radix_sort_onesweep_histogram_config_static_selectorELNS0_4arch9wavefront6targetE0EEEvSD_.has_dyn_sized_stack, 0
	.set _ZN7rocprim17ROCPRIM_400000_NS6detail17trampoline_kernelINS0_14default_configENS1_35radix_sort_onesweep_config_selectorIjNS0_10empty_typeEEEZNS1_34radix_sort_onesweep_global_offsetsIS3_Lb0EPKjPS5_mNS0_19identity_decomposerEEE10hipError_tT1_T2_PT3_SF_jT4_jjP12ihipStream_tbEUlT_E_NS1_11comp_targetILNS1_3genE5ELNS1_11target_archE942ELNS1_3gpuE9ELNS1_3repE0EEENS1_52radix_sort_onesweep_histogram_config_static_selectorELNS0_4arch9wavefront6targetE0EEEvSD_.has_recursion, 0
	.set _ZN7rocprim17ROCPRIM_400000_NS6detail17trampoline_kernelINS0_14default_configENS1_35radix_sort_onesweep_config_selectorIjNS0_10empty_typeEEEZNS1_34radix_sort_onesweep_global_offsetsIS3_Lb0EPKjPS5_mNS0_19identity_decomposerEEE10hipError_tT1_T2_PT3_SF_jT4_jjP12ihipStream_tbEUlT_E_NS1_11comp_targetILNS1_3genE5ELNS1_11target_archE942ELNS1_3gpuE9ELNS1_3repE0EEENS1_52radix_sort_onesweep_histogram_config_static_selectorELNS0_4arch9wavefront6targetE0EEEvSD_.has_indirect_call, 0
	.section	.AMDGPU.csdata,"",@progbits
; Kernel info:
; codeLenInByte = 0
; TotalNumSgprs: 0
; NumVgprs: 0
; ScratchSize: 0
; MemoryBound: 0
; FloatMode: 240
; IeeeMode: 1
; LDSByteSize: 0 bytes/workgroup (compile time only)
; SGPRBlocks: 0
; VGPRBlocks: 0
; NumSGPRsForWavesPerEU: 1
; NumVGPRsForWavesPerEU: 1
; NamedBarCnt: 0
; Occupancy: 16
; WaveLimiterHint : 0
; COMPUTE_PGM_RSRC2:SCRATCH_EN: 0
; COMPUTE_PGM_RSRC2:USER_SGPR: 2
; COMPUTE_PGM_RSRC2:TRAP_HANDLER: 0
; COMPUTE_PGM_RSRC2:TGID_X_EN: 1
; COMPUTE_PGM_RSRC2:TGID_Y_EN: 0
; COMPUTE_PGM_RSRC2:TGID_Z_EN: 0
; COMPUTE_PGM_RSRC2:TIDIG_COMP_CNT: 0
	.section	.text._ZN7rocprim17ROCPRIM_400000_NS6detail17trampoline_kernelINS0_14default_configENS1_35radix_sort_onesweep_config_selectorIjNS0_10empty_typeEEEZNS1_34radix_sort_onesweep_global_offsetsIS3_Lb0EPKjPS5_mNS0_19identity_decomposerEEE10hipError_tT1_T2_PT3_SF_jT4_jjP12ihipStream_tbEUlT_E_NS1_11comp_targetILNS1_3genE2ELNS1_11target_archE906ELNS1_3gpuE6ELNS1_3repE0EEENS1_52radix_sort_onesweep_histogram_config_static_selectorELNS0_4arch9wavefront6targetE0EEEvSD_,"axG",@progbits,_ZN7rocprim17ROCPRIM_400000_NS6detail17trampoline_kernelINS0_14default_configENS1_35radix_sort_onesweep_config_selectorIjNS0_10empty_typeEEEZNS1_34radix_sort_onesweep_global_offsetsIS3_Lb0EPKjPS5_mNS0_19identity_decomposerEEE10hipError_tT1_T2_PT3_SF_jT4_jjP12ihipStream_tbEUlT_E_NS1_11comp_targetILNS1_3genE2ELNS1_11target_archE906ELNS1_3gpuE6ELNS1_3repE0EEENS1_52radix_sort_onesweep_histogram_config_static_selectorELNS0_4arch9wavefront6targetE0EEEvSD_,comdat
	.protected	_ZN7rocprim17ROCPRIM_400000_NS6detail17trampoline_kernelINS0_14default_configENS1_35radix_sort_onesweep_config_selectorIjNS0_10empty_typeEEEZNS1_34radix_sort_onesweep_global_offsetsIS3_Lb0EPKjPS5_mNS0_19identity_decomposerEEE10hipError_tT1_T2_PT3_SF_jT4_jjP12ihipStream_tbEUlT_E_NS1_11comp_targetILNS1_3genE2ELNS1_11target_archE906ELNS1_3gpuE6ELNS1_3repE0EEENS1_52radix_sort_onesweep_histogram_config_static_selectorELNS0_4arch9wavefront6targetE0EEEvSD_ ; -- Begin function _ZN7rocprim17ROCPRIM_400000_NS6detail17trampoline_kernelINS0_14default_configENS1_35radix_sort_onesweep_config_selectorIjNS0_10empty_typeEEEZNS1_34radix_sort_onesweep_global_offsetsIS3_Lb0EPKjPS5_mNS0_19identity_decomposerEEE10hipError_tT1_T2_PT3_SF_jT4_jjP12ihipStream_tbEUlT_E_NS1_11comp_targetILNS1_3genE2ELNS1_11target_archE906ELNS1_3gpuE6ELNS1_3repE0EEENS1_52radix_sort_onesweep_histogram_config_static_selectorELNS0_4arch9wavefront6targetE0EEEvSD_
	.globl	_ZN7rocprim17ROCPRIM_400000_NS6detail17trampoline_kernelINS0_14default_configENS1_35radix_sort_onesweep_config_selectorIjNS0_10empty_typeEEEZNS1_34radix_sort_onesweep_global_offsetsIS3_Lb0EPKjPS5_mNS0_19identity_decomposerEEE10hipError_tT1_T2_PT3_SF_jT4_jjP12ihipStream_tbEUlT_E_NS1_11comp_targetILNS1_3genE2ELNS1_11target_archE906ELNS1_3gpuE6ELNS1_3repE0EEENS1_52radix_sort_onesweep_histogram_config_static_selectorELNS0_4arch9wavefront6targetE0EEEvSD_
	.p2align	8
	.type	_ZN7rocprim17ROCPRIM_400000_NS6detail17trampoline_kernelINS0_14default_configENS1_35radix_sort_onesweep_config_selectorIjNS0_10empty_typeEEEZNS1_34radix_sort_onesweep_global_offsetsIS3_Lb0EPKjPS5_mNS0_19identity_decomposerEEE10hipError_tT1_T2_PT3_SF_jT4_jjP12ihipStream_tbEUlT_E_NS1_11comp_targetILNS1_3genE2ELNS1_11target_archE906ELNS1_3gpuE6ELNS1_3repE0EEENS1_52radix_sort_onesweep_histogram_config_static_selectorELNS0_4arch9wavefront6targetE0EEEvSD_,@function
_ZN7rocprim17ROCPRIM_400000_NS6detail17trampoline_kernelINS0_14default_configENS1_35radix_sort_onesweep_config_selectorIjNS0_10empty_typeEEEZNS1_34radix_sort_onesweep_global_offsetsIS3_Lb0EPKjPS5_mNS0_19identity_decomposerEEE10hipError_tT1_T2_PT3_SF_jT4_jjP12ihipStream_tbEUlT_E_NS1_11comp_targetILNS1_3genE2ELNS1_11target_archE906ELNS1_3gpuE6ELNS1_3repE0EEENS1_52radix_sort_onesweep_histogram_config_static_selectorELNS0_4arch9wavefront6targetE0EEEvSD_: ; @_ZN7rocprim17ROCPRIM_400000_NS6detail17trampoline_kernelINS0_14default_configENS1_35radix_sort_onesweep_config_selectorIjNS0_10empty_typeEEEZNS1_34radix_sort_onesweep_global_offsetsIS3_Lb0EPKjPS5_mNS0_19identity_decomposerEEE10hipError_tT1_T2_PT3_SF_jT4_jjP12ihipStream_tbEUlT_E_NS1_11comp_targetILNS1_3genE2ELNS1_11target_archE906ELNS1_3gpuE6ELNS1_3repE0EEENS1_52radix_sort_onesweep_histogram_config_static_selectorELNS0_4arch9wavefront6targetE0EEEvSD_
; %bb.0:
	.section	.rodata,"a",@progbits
	.p2align	6, 0x0
	.amdhsa_kernel _ZN7rocprim17ROCPRIM_400000_NS6detail17trampoline_kernelINS0_14default_configENS1_35radix_sort_onesweep_config_selectorIjNS0_10empty_typeEEEZNS1_34radix_sort_onesweep_global_offsetsIS3_Lb0EPKjPS5_mNS0_19identity_decomposerEEE10hipError_tT1_T2_PT3_SF_jT4_jjP12ihipStream_tbEUlT_E_NS1_11comp_targetILNS1_3genE2ELNS1_11target_archE906ELNS1_3gpuE6ELNS1_3repE0EEENS1_52radix_sort_onesweep_histogram_config_static_selectorELNS0_4arch9wavefront6targetE0EEEvSD_
		.amdhsa_group_segment_fixed_size 0
		.amdhsa_private_segment_fixed_size 0
		.amdhsa_kernarg_size 48
		.amdhsa_user_sgpr_count 2
		.amdhsa_user_sgpr_dispatch_ptr 0
		.amdhsa_user_sgpr_queue_ptr 0
		.amdhsa_user_sgpr_kernarg_segment_ptr 1
		.amdhsa_user_sgpr_dispatch_id 0
		.amdhsa_user_sgpr_kernarg_preload_length 0
		.amdhsa_user_sgpr_kernarg_preload_offset 0
		.amdhsa_user_sgpr_private_segment_size 0
		.amdhsa_wavefront_size32 1
		.amdhsa_uses_dynamic_stack 0
		.amdhsa_enable_private_segment 0
		.amdhsa_system_sgpr_workgroup_id_x 1
		.amdhsa_system_sgpr_workgroup_id_y 0
		.amdhsa_system_sgpr_workgroup_id_z 0
		.amdhsa_system_sgpr_workgroup_info 0
		.amdhsa_system_vgpr_workitem_id 0
		.amdhsa_next_free_vgpr 1
		.amdhsa_next_free_sgpr 1
		.amdhsa_named_barrier_count 0
		.amdhsa_reserve_vcc 0
		.amdhsa_float_round_mode_32 0
		.amdhsa_float_round_mode_16_64 0
		.amdhsa_float_denorm_mode_32 3
		.amdhsa_float_denorm_mode_16_64 3
		.amdhsa_fp16_overflow 0
		.amdhsa_memory_ordered 1
		.amdhsa_forward_progress 1
		.amdhsa_inst_pref_size 0
		.amdhsa_round_robin_scheduling 0
		.amdhsa_exception_fp_ieee_invalid_op 0
		.amdhsa_exception_fp_denorm_src 0
		.amdhsa_exception_fp_ieee_div_zero 0
		.amdhsa_exception_fp_ieee_overflow 0
		.amdhsa_exception_fp_ieee_underflow 0
		.amdhsa_exception_fp_ieee_inexact 0
		.amdhsa_exception_int_div_zero 0
	.end_amdhsa_kernel
	.section	.text._ZN7rocprim17ROCPRIM_400000_NS6detail17trampoline_kernelINS0_14default_configENS1_35radix_sort_onesweep_config_selectorIjNS0_10empty_typeEEEZNS1_34radix_sort_onesweep_global_offsetsIS3_Lb0EPKjPS5_mNS0_19identity_decomposerEEE10hipError_tT1_T2_PT3_SF_jT4_jjP12ihipStream_tbEUlT_E_NS1_11comp_targetILNS1_3genE2ELNS1_11target_archE906ELNS1_3gpuE6ELNS1_3repE0EEENS1_52radix_sort_onesweep_histogram_config_static_selectorELNS0_4arch9wavefront6targetE0EEEvSD_,"axG",@progbits,_ZN7rocprim17ROCPRIM_400000_NS6detail17trampoline_kernelINS0_14default_configENS1_35radix_sort_onesweep_config_selectorIjNS0_10empty_typeEEEZNS1_34radix_sort_onesweep_global_offsetsIS3_Lb0EPKjPS5_mNS0_19identity_decomposerEEE10hipError_tT1_T2_PT3_SF_jT4_jjP12ihipStream_tbEUlT_E_NS1_11comp_targetILNS1_3genE2ELNS1_11target_archE906ELNS1_3gpuE6ELNS1_3repE0EEENS1_52radix_sort_onesweep_histogram_config_static_selectorELNS0_4arch9wavefront6targetE0EEEvSD_,comdat
.Lfunc_end2729:
	.size	_ZN7rocprim17ROCPRIM_400000_NS6detail17trampoline_kernelINS0_14default_configENS1_35radix_sort_onesweep_config_selectorIjNS0_10empty_typeEEEZNS1_34radix_sort_onesweep_global_offsetsIS3_Lb0EPKjPS5_mNS0_19identity_decomposerEEE10hipError_tT1_T2_PT3_SF_jT4_jjP12ihipStream_tbEUlT_E_NS1_11comp_targetILNS1_3genE2ELNS1_11target_archE906ELNS1_3gpuE6ELNS1_3repE0EEENS1_52radix_sort_onesweep_histogram_config_static_selectorELNS0_4arch9wavefront6targetE0EEEvSD_, .Lfunc_end2729-_ZN7rocprim17ROCPRIM_400000_NS6detail17trampoline_kernelINS0_14default_configENS1_35radix_sort_onesweep_config_selectorIjNS0_10empty_typeEEEZNS1_34radix_sort_onesweep_global_offsetsIS3_Lb0EPKjPS5_mNS0_19identity_decomposerEEE10hipError_tT1_T2_PT3_SF_jT4_jjP12ihipStream_tbEUlT_E_NS1_11comp_targetILNS1_3genE2ELNS1_11target_archE906ELNS1_3gpuE6ELNS1_3repE0EEENS1_52radix_sort_onesweep_histogram_config_static_selectorELNS0_4arch9wavefront6targetE0EEEvSD_
                                        ; -- End function
	.set _ZN7rocprim17ROCPRIM_400000_NS6detail17trampoline_kernelINS0_14default_configENS1_35radix_sort_onesweep_config_selectorIjNS0_10empty_typeEEEZNS1_34radix_sort_onesweep_global_offsetsIS3_Lb0EPKjPS5_mNS0_19identity_decomposerEEE10hipError_tT1_T2_PT3_SF_jT4_jjP12ihipStream_tbEUlT_E_NS1_11comp_targetILNS1_3genE2ELNS1_11target_archE906ELNS1_3gpuE6ELNS1_3repE0EEENS1_52radix_sort_onesweep_histogram_config_static_selectorELNS0_4arch9wavefront6targetE0EEEvSD_.num_vgpr, 0
	.set _ZN7rocprim17ROCPRIM_400000_NS6detail17trampoline_kernelINS0_14default_configENS1_35radix_sort_onesweep_config_selectorIjNS0_10empty_typeEEEZNS1_34radix_sort_onesweep_global_offsetsIS3_Lb0EPKjPS5_mNS0_19identity_decomposerEEE10hipError_tT1_T2_PT3_SF_jT4_jjP12ihipStream_tbEUlT_E_NS1_11comp_targetILNS1_3genE2ELNS1_11target_archE906ELNS1_3gpuE6ELNS1_3repE0EEENS1_52radix_sort_onesweep_histogram_config_static_selectorELNS0_4arch9wavefront6targetE0EEEvSD_.num_agpr, 0
	.set _ZN7rocprim17ROCPRIM_400000_NS6detail17trampoline_kernelINS0_14default_configENS1_35radix_sort_onesweep_config_selectorIjNS0_10empty_typeEEEZNS1_34radix_sort_onesweep_global_offsetsIS3_Lb0EPKjPS5_mNS0_19identity_decomposerEEE10hipError_tT1_T2_PT3_SF_jT4_jjP12ihipStream_tbEUlT_E_NS1_11comp_targetILNS1_3genE2ELNS1_11target_archE906ELNS1_3gpuE6ELNS1_3repE0EEENS1_52radix_sort_onesweep_histogram_config_static_selectorELNS0_4arch9wavefront6targetE0EEEvSD_.numbered_sgpr, 0
	.set _ZN7rocprim17ROCPRIM_400000_NS6detail17trampoline_kernelINS0_14default_configENS1_35radix_sort_onesweep_config_selectorIjNS0_10empty_typeEEEZNS1_34radix_sort_onesweep_global_offsetsIS3_Lb0EPKjPS5_mNS0_19identity_decomposerEEE10hipError_tT1_T2_PT3_SF_jT4_jjP12ihipStream_tbEUlT_E_NS1_11comp_targetILNS1_3genE2ELNS1_11target_archE906ELNS1_3gpuE6ELNS1_3repE0EEENS1_52radix_sort_onesweep_histogram_config_static_selectorELNS0_4arch9wavefront6targetE0EEEvSD_.num_named_barrier, 0
	.set _ZN7rocprim17ROCPRIM_400000_NS6detail17trampoline_kernelINS0_14default_configENS1_35radix_sort_onesweep_config_selectorIjNS0_10empty_typeEEEZNS1_34radix_sort_onesweep_global_offsetsIS3_Lb0EPKjPS5_mNS0_19identity_decomposerEEE10hipError_tT1_T2_PT3_SF_jT4_jjP12ihipStream_tbEUlT_E_NS1_11comp_targetILNS1_3genE2ELNS1_11target_archE906ELNS1_3gpuE6ELNS1_3repE0EEENS1_52radix_sort_onesweep_histogram_config_static_selectorELNS0_4arch9wavefront6targetE0EEEvSD_.private_seg_size, 0
	.set _ZN7rocprim17ROCPRIM_400000_NS6detail17trampoline_kernelINS0_14default_configENS1_35radix_sort_onesweep_config_selectorIjNS0_10empty_typeEEEZNS1_34radix_sort_onesweep_global_offsetsIS3_Lb0EPKjPS5_mNS0_19identity_decomposerEEE10hipError_tT1_T2_PT3_SF_jT4_jjP12ihipStream_tbEUlT_E_NS1_11comp_targetILNS1_3genE2ELNS1_11target_archE906ELNS1_3gpuE6ELNS1_3repE0EEENS1_52radix_sort_onesweep_histogram_config_static_selectorELNS0_4arch9wavefront6targetE0EEEvSD_.uses_vcc, 0
	.set _ZN7rocprim17ROCPRIM_400000_NS6detail17trampoline_kernelINS0_14default_configENS1_35radix_sort_onesweep_config_selectorIjNS0_10empty_typeEEEZNS1_34radix_sort_onesweep_global_offsetsIS3_Lb0EPKjPS5_mNS0_19identity_decomposerEEE10hipError_tT1_T2_PT3_SF_jT4_jjP12ihipStream_tbEUlT_E_NS1_11comp_targetILNS1_3genE2ELNS1_11target_archE906ELNS1_3gpuE6ELNS1_3repE0EEENS1_52radix_sort_onesweep_histogram_config_static_selectorELNS0_4arch9wavefront6targetE0EEEvSD_.uses_flat_scratch, 0
	.set _ZN7rocprim17ROCPRIM_400000_NS6detail17trampoline_kernelINS0_14default_configENS1_35radix_sort_onesweep_config_selectorIjNS0_10empty_typeEEEZNS1_34radix_sort_onesweep_global_offsetsIS3_Lb0EPKjPS5_mNS0_19identity_decomposerEEE10hipError_tT1_T2_PT3_SF_jT4_jjP12ihipStream_tbEUlT_E_NS1_11comp_targetILNS1_3genE2ELNS1_11target_archE906ELNS1_3gpuE6ELNS1_3repE0EEENS1_52radix_sort_onesweep_histogram_config_static_selectorELNS0_4arch9wavefront6targetE0EEEvSD_.has_dyn_sized_stack, 0
	.set _ZN7rocprim17ROCPRIM_400000_NS6detail17trampoline_kernelINS0_14default_configENS1_35radix_sort_onesweep_config_selectorIjNS0_10empty_typeEEEZNS1_34radix_sort_onesweep_global_offsetsIS3_Lb0EPKjPS5_mNS0_19identity_decomposerEEE10hipError_tT1_T2_PT3_SF_jT4_jjP12ihipStream_tbEUlT_E_NS1_11comp_targetILNS1_3genE2ELNS1_11target_archE906ELNS1_3gpuE6ELNS1_3repE0EEENS1_52radix_sort_onesweep_histogram_config_static_selectorELNS0_4arch9wavefront6targetE0EEEvSD_.has_recursion, 0
	.set _ZN7rocprim17ROCPRIM_400000_NS6detail17trampoline_kernelINS0_14default_configENS1_35radix_sort_onesweep_config_selectorIjNS0_10empty_typeEEEZNS1_34radix_sort_onesweep_global_offsetsIS3_Lb0EPKjPS5_mNS0_19identity_decomposerEEE10hipError_tT1_T2_PT3_SF_jT4_jjP12ihipStream_tbEUlT_E_NS1_11comp_targetILNS1_3genE2ELNS1_11target_archE906ELNS1_3gpuE6ELNS1_3repE0EEENS1_52radix_sort_onesweep_histogram_config_static_selectorELNS0_4arch9wavefront6targetE0EEEvSD_.has_indirect_call, 0
	.section	.AMDGPU.csdata,"",@progbits
; Kernel info:
; codeLenInByte = 0
; TotalNumSgprs: 0
; NumVgprs: 0
; ScratchSize: 0
; MemoryBound: 0
; FloatMode: 240
; IeeeMode: 1
; LDSByteSize: 0 bytes/workgroup (compile time only)
; SGPRBlocks: 0
; VGPRBlocks: 0
; NumSGPRsForWavesPerEU: 1
; NumVGPRsForWavesPerEU: 1
; NamedBarCnt: 0
; Occupancy: 16
; WaveLimiterHint : 0
; COMPUTE_PGM_RSRC2:SCRATCH_EN: 0
; COMPUTE_PGM_RSRC2:USER_SGPR: 2
; COMPUTE_PGM_RSRC2:TRAP_HANDLER: 0
; COMPUTE_PGM_RSRC2:TGID_X_EN: 1
; COMPUTE_PGM_RSRC2:TGID_Y_EN: 0
; COMPUTE_PGM_RSRC2:TGID_Z_EN: 0
; COMPUTE_PGM_RSRC2:TIDIG_COMP_CNT: 0
	.section	.text._ZN7rocprim17ROCPRIM_400000_NS6detail17trampoline_kernelINS0_14default_configENS1_35radix_sort_onesweep_config_selectorIjNS0_10empty_typeEEEZNS1_34radix_sort_onesweep_global_offsetsIS3_Lb0EPKjPS5_mNS0_19identity_decomposerEEE10hipError_tT1_T2_PT3_SF_jT4_jjP12ihipStream_tbEUlT_E_NS1_11comp_targetILNS1_3genE4ELNS1_11target_archE910ELNS1_3gpuE8ELNS1_3repE0EEENS1_52radix_sort_onesweep_histogram_config_static_selectorELNS0_4arch9wavefront6targetE0EEEvSD_,"axG",@progbits,_ZN7rocprim17ROCPRIM_400000_NS6detail17trampoline_kernelINS0_14default_configENS1_35radix_sort_onesweep_config_selectorIjNS0_10empty_typeEEEZNS1_34radix_sort_onesweep_global_offsetsIS3_Lb0EPKjPS5_mNS0_19identity_decomposerEEE10hipError_tT1_T2_PT3_SF_jT4_jjP12ihipStream_tbEUlT_E_NS1_11comp_targetILNS1_3genE4ELNS1_11target_archE910ELNS1_3gpuE8ELNS1_3repE0EEENS1_52radix_sort_onesweep_histogram_config_static_selectorELNS0_4arch9wavefront6targetE0EEEvSD_,comdat
	.protected	_ZN7rocprim17ROCPRIM_400000_NS6detail17trampoline_kernelINS0_14default_configENS1_35radix_sort_onesweep_config_selectorIjNS0_10empty_typeEEEZNS1_34radix_sort_onesweep_global_offsetsIS3_Lb0EPKjPS5_mNS0_19identity_decomposerEEE10hipError_tT1_T2_PT3_SF_jT4_jjP12ihipStream_tbEUlT_E_NS1_11comp_targetILNS1_3genE4ELNS1_11target_archE910ELNS1_3gpuE8ELNS1_3repE0EEENS1_52radix_sort_onesweep_histogram_config_static_selectorELNS0_4arch9wavefront6targetE0EEEvSD_ ; -- Begin function _ZN7rocprim17ROCPRIM_400000_NS6detail17trampoline_kernelINS0_14default_configENS1_35radix_sort_onesweep_config_selectorIjNS0_10empty_typeEEEZNS1_34radix_sort_onesweep_global_offsetsIS3_Lb0EPKjPS5_mNS0_19identity_decomposerEEE10hipError_tT1_T2_PT3_SF_jT4_jjP12ihipStream_tbEUlT_E_NS1_11comp_targetILNS1_3genE4ELNS1_11target_archE910ELNS1_3gpuE8ELNS1_3repE0EEENS1_52radix_sort_onesweep_histogram_config_static_selectorELNS0_4arch9wavefront6targetE0EEEvSD_
	.globl	_ZN7rocprim17ROCPRIM_400000_NS6detail17trampoline_kernelINS0_14default_configENS1_35radix_sort_onesweep_config_selectorIjNS0_10empty_typeEEEZNS1_34radix_sort_onesweep_global_offsetsIS3_Lb0EPKjPS5_mNS0_19identity_decomposerEEE10hipError_tT1_T2_PT3_SF_jT4_jjP12ihipStream_tbEUlT_E_NS1_11comp_targetILNS1_3genE4ELNS1_11target_archE910ELNS1_3gpuE8ELNS1_3repE0EEENS1_52radix_sort_onesweep_histogram_config_static_selectorELNS0_4arch9wavefront6targetE0EEEvSD_
	.p2align	8
	.type	_ZN7rocprim17ROCPRIM_400000_NS6detail17trampoline_kernelINS0_14default_configENS1_35radix_sort_onesweep_config_selectorIjNS0_10empty_typeEEEZNS1_34radix_sort_onesweep_global_offsetsIS3_Lb0EPKjPS5_mNS0_19identity_decomposerEEE10hipError_tT1_T2_PT3_SF_jT4_jjP12ihipStream_tbEUlT_E_NS1_11comp_targetILNS1_3genE4ELNS1_11target_archE910ELNS1_3gpuE8ELNS1_3repE0EEENS1_52radix_sort_onesweep_histogram_config_static_selectorELNS0_4arch9wavefront6targetE0EEEvSD_,@function
_ZN7rocprim17ROCPRIM_400000_NS6detail17trampoline_kernelINS0_14default_configENS1_35radix_sort_onesweep_config_selectorIjNS0_10empty_typeEEEZNS1_34radix_sort_onesweep_global_offsetsIS3_Lb0EPKjPS5_mNS0_19identity_decomposerEEE10hipError_tT1_T2_PT3_SF_jT4_jjP12ihipStream_tbEUlT_E_NS1_11comp_targetILNS1_3genE4ELNS1_11target_archE910ELNS1_3gpuE8ELNS1_3repE0EEENS1_52radix_sort_onesweep_histogram_config_static_selectorELNS0_4arch9wavefront6targetE0EEEvSD_: ; @_ZN7rocprim17ROCPRIM_400000_NS6detail17trampoline_kernelINS0_14default_configENS1_35radix_sort_onesweep_config_selectorIjNS0_10empty_typeEEEZNS1_34radix_sort_onesweep_global_offsetsIS3_Lb0EPKjPS5_mNS0_19identity_decomposerEEE10hipError_tT1_T2_PT3_SF_jT4_jjP12ihipStream_tbEUlT_E_NS1_11comp_targetILNS1_3genE4ELNS1_11target_archE910ELNS1_3gpuE8ELNS1_3repE0EEENS1_52radix_sort_onesweep_histogram_config_static_selectorELNS0_4arch9wavefront6targetE0EEEvSD_
; %bb.0:
	.section	.rodata,"a",@progbits
	.p2align	6, 0x0
	.amdhsa_kernel _ZN7rocprim17ROCPRIM_400000_NS6detail17trampoline_kernelINS0_14default_configENS1_35radix_sort_onesweep_config_selectorIjNS0_10empty_typeEEEZNS1_34radix_sort_onesweep_global_offsetsIS3_Lb0EPKjPS5_mNS0_19identity_decomposerEEE10hipError_tT1_T2_PT3_SF_jT4_jjP12ihipStream_tbEUlT_E_NS1_11comp_targetILNS1_3genE4ELNS1_11target_archE910ELNS1_3gpuE8ELNS1_3repE0EEENS1_52radix_sort_onesweep_histogram_config_static_selectorELNS0_4arch9wavefront6targetE0EEEvSD_
		.amdhsa_group_segment_fixed_size 0
		.amdhsa_private_segment_fixed_size 0
		.amdhsa_kernarg_size 48
		.amdhsa_user_sgpr_count 2
		.amdhsa_user_sgpr_dispatch_ptr 0
		.amdhsa_user_sgpr_queue_ptr 0
		.amdhsa_user_sgpr_kernarg_segment_ptr 1
		.amdhsa_user_sgpr_dispatch_id 0
		.amdhsa_user_sgpr_kernarg_preload_length 0
		.amdhsa_user_sgpr_kernarg_preload_offset 0
		.amdhsa_user_sgpr_private_segment_size 0
		.amdhsa_wavefront_size32 1
		.amdhsa_uses_dynamic_stack 0
		.amdhsa_enable_private_segment 0
		.amdhsa_system_sgpr_workgroup_id_x 1
		.amdhsa_system_sgpr_workgroup_id_y 0
		.amdhsa_system_sgpr_workgroup_id_z 0
		.amdhsa_system_sgpr_workgroup_info 0
		.amdhsa_system_vgpr_workitem_id 0
		.amdhsa_next_free_vgpr 1
		.amdhsa_next_free_sgpr 1
		.amdhsa_named_barrier_count 0
		.amdhsa_reserve_vcc 0
		.amdhsa_float_round_mode_32 0
		.amdhsa_float_round_mode_16_64 0
		.amdhsa_float_denorm_mode_32 3
		.amdhsa_float_denorm_mode_16_64 3
		.amdhsa_fp16_overflow 0
		.amdhsa_memory_ordered 1
		.amdhsa_forward_progress 1
		.amdhsa_inst_pref_size 0
		.amdhsa_round_robin_scheduling 0
		.amdhsa_exception_fp_ieee_invalid_op 0
		.amdhsa_exception_fp_denorm_src 0
		.amdhsa_exception_fp_ieee_div_zero 0
		.amdhsa_exception_fp_ieee_overflow 0
		.amdhsa_exception_fp_ieee_underflow 0
		.amdhsa_exception_fp_ieee_inexact 0
		.amdhsa_exception_int_div_zero 0
	.end_amdhsa_kernel
	.section	.text._ZN7rocprim17ROCPRIM_400000_NS6detail17trampoline_kernelINS0_14default_configENS1_35radix_sort_onesweep_config_selectorIjNS0_10empty_typeEEEZNS1_34radix_sort_onesweep_global_offsetsIS3_Lb0EPKjPS5_mNS0_19identity_decomposerEEE10hipError_tT1_T2_PT3_SF_jT4_jjP12ihipStream_tbEUlT_E_NS1_11comp_targetILNS1_3genE4ELNS1_11target_archE910ELNS1_3gpuE8ELNS1_3repE0EEENS1_52radix_sort_onesweep_histogram_config_static_selectorELNS0_4arch9wavefront6targetE0EEEvSD_,"axG",@progbits,_ZN7rocprim17ROCPRIM_400000_NS6detail17trampoline_kernelINS0_14default_configENS1_35radix_sort_onesweep_config_selectorIjNS0_10empty_typeEEEZNS1_34radix_sort_onesweep_global_offsetsIS3_Lb0EPKjPS5_mNS0_19identity_decomposerEEE10hipError_tT1_T2_PT3_SF_jT4_jjP12ihipStream_tbEUlT_E_NS1_11comp_targetILNS1_3genE4ELNS1_11target_archE910ELNS1_3gpuE8ELNS1_3repE0EEENS1_52radix_sort_onesweep_histogram_config_static_selectorELNS0_4arch9wavefront6targetE0EEEvSD_,comdat
.Lfunc_end2730:
	.size	_ZN7rocprim17ROCPRIM_400000_NS6detail17trampoline_kernelINS0_14default_configENS1_35radix_sort_onesweep_config_selectorIjNS0_10empty_typeEEEZNS1_34radix_sort_onesweep_global_offsetsIS3_Lb0EPKjPS5_mNS0_19identity_decomposerEEE10hipError_tT1_T2_PT3_SF_jT4_jjP12ihipStream_tbEUlT_E_NS1_11comp_targetILNS1_3genE4ELNS1_11target_archE910ELNS1_3gpuE8ELNS1_3repE0EEENS1_52radix_sort_onesweep_histogram_config_static_selectorELNS0_4arch9wavefront6targetE0EEEvSD_, .Lfunc_end2730-_ZN7rocprim17ROCPRIM_400000_NS6detail17trampoline_kernelINS0_14default_configENS1_35radix_sort_onesweep_config_selectorIjNS0_10empty_typeEEEZNS1_34radix_sort_onesweep_global_offsetsIS3_Lb0EPKjPS5_mNS0_19identity_decomposerEEE10hipError_tT1_T2_PT3_SF_jT4_jjP12ihipStream_tbEUlT_E_NS1_11comp_targetILNS1_3genE4ELNS1_11target_archE910ELNS1_3gpuE8ELNS1_3repE0EEENS1_52radix_sort_onesweep_histogram_config_static_selectorELNS0_4arch9wavefront6targetE0EEEvSD_
                                        ; -- End function
	.set _ZN7rocprim17ROCPRIM_400000_NS6detail17trampoline_kernelINS0_14default_configENS1_35radix_sort_onesweep_config_selectorIjNS0_10empty_typeEEEZNS1_34radix_sort_onesweep_global_offsetsIS3_Lb0EPKjPS5_mNS0_19identity_decomposerEEE10hipError_tT1_T2_PT3_SF_jT4_jjP12ihipStream_tbEUlT_E_NS1_11comp_targetILNS1_3genE4ELNS1_11target_archE910ELNS1_3gpuE8ELNS1_3repE0EEENS1_52radix_sort_onesweep_histogram_config_static_selectorELNS0_4arch9wavefront6targetE0EEEvSD_.num_vgpr, 0
	.set _ZN7rocprim17ROCPRIM_400000_NS6detail17trampoline_kernelINS0_14default_configENS1_35radix_sort_onesweep_config_selectorIjNS0_10empty_typeEEEZNS1_34radix_sort_onesweep_global_offsetsIS3_Lb0EPKjPS5_mNS0_19identity_decomposerEEE10hipError_tT1_T2_PT3_SF_jT4_jjP12ihipStream_tbEUlT_E_NS1_11comp_targetILNS1_3genE4ELNS1_11target_archE910ELNS1_3gpuE8ELNS1_3repE0EEENS1_52radix_sort_onesweep_histogram_config_static_selectorELNS0_4arch9wavefront6targetE0EEEvSD_.num_agpr, 0
	.set _ZN7rocprim17ROCPRIM_400000_NS6detail17trampoline_kernelINS0_14default_configENS1_35radix_sort_onesweep_config_selectorIjNS0_10empty_typeEEEZNS1_34radix_sort_onesweep_global_offsetsIS3_Lb0EPKjPS5_mNS0_19identity_decomposerEEE10hipError_tT1_T2_PT3_SF_jT4_jjP12ihipStream_tbEUlT_E_NS1_11comp_targetILNS1_3genE4ELNS1_11target_archE910ELNS1_3gpuE8ELNS1_3repE0EEENS1_52radix_sort_onesweep_histogram_config_static_selectorELNS0_4arch9wavefront6targetE0EEEvSD_.numbered_sgpr, 0
	.set _ZN7rocprim17ROCPRIM_400000_NS6detail17trampoline_kernelINS0_14default_configENS1_35radix_sort_onesweep_config_selectorIjNS0_10empty_typeEEEZNS1_34radix_sort_onesweep_global_offsetsIS3_Lb0EPKjPS5_mNS0_19identity_decomposerEEE10hipError_tT1_T2_PT3_SF_jT4_jjP12ihipStream_tbEUlT_E_NS1_11comp_targetILNS1_3genE4ELNS1_11target_archE910ELNS1_3gpuE8ELNS1_3repE0EEENS1_52radix_sort_onesweep_histogram_config_static_selectorELNS0_4arch9wavefront6targetE0EEEvSD_.num_named_barrier, 0
	.set _ZN7rocprim17ROCPRIM_400000_NS6detail17trampoline_kernelINS0_14default_configENS1_35radix_sort_onesweep_config_selectorIjNS0_10empty_typeEEEZNS1_34radix_sort_onesweep_global_offsetsIS3_Lb0EPKjPS5_mNS0_19identity_decomposerEEE10hipError_tT1_T2_PT3_SF_jT4_jjP12ihipStream_tbEUlT_E_NS1_11comp_targetILNS1_3genE4ELNS1_11target_archE910ELNS1_3gpuE8ELNS1_3repE0EEENS1_52radix_sort_onesweep_histogram_config_static_selectorELNS0_4arch9wavefront6targetE0EEEvSD_.private_seg_size, 0
	.set _ZN7rocprim17ROCPRIM_400000_NS6detail17trampoline_kernelINS0_14default_configENS1_35radix_sort_onesweep_config_selectorIjNS0_10empty_typeEEEZNS1_34radix_sort_onesweep_global_offsetsIS3_Lb0EPKjPS5_mNS0_19identity_decomposerEEE10hipError_tT1_T2_PT3_SF_jT4_jjP12ihipStream_tbEUlT_E_NS1_11comp_targetILNS1_3genE4ELNS1_11target_archE910ELNS1_3gpuE8ELNS1_3repE0EEENS1_52radix_sort_onesweep_histogram_config_static_selectorELNS0_4arch9wavefront6targetE0EEEvSD_.uses_vcc, 0
	.set _ZN7rocprim17ROCPRIM_400000_NS6detail17trampoline_kernelINS0_14default_configENS1_35radix_sort_onesweep_config_selectorIjNS0_10empty_typeEEEZNS1_34radix_sort_onesweep_global_offsetsIS3_Lb0EPKjPS5_mNS0_19identity_decomposerEEE10hipError_tT1_T2_PT3_SF_jT4_jjP12ihipStream_tbEUlT_E_NS1_11comp_targetILNS1_3genE4ELNS1_11target_archE910ELNS1_3gpuE8ELNS1_3repE0EEENS1_52radix_sort_onesweep_histogram_config_static_selectorELNS0_4arch9wavefront6targetE0EEEvSD_.uses_flat_scratch, 0
	.set _ZN7rocprim17ROCPRIM_400000_NS6detail17trampoline_kernelINS0_14default_configENS1_35radix_sort_onesweep_config_selectorIjNS0_10empty_typeEEEZNS1_34radix_sort_onesweep_global_offsetsIS3_Lb0EPKjPS5_mNS0_19identity_decomposerEEE10hipError_tT1_T2_PT3_SF_jT4_jjP12ihipStream_tbEUlT_E_NS1_11comp_targetILNS1_3genE4ELNS1_11target_archE910ELNS1_3gpuE8ELNS1_3repE0EEENS1_52radix_sort_onesweep_histogram_config_static_selectorELNS0_4arch9wavefront6targetE0EEEvSD_.has_dyn_sized_stack, 0
	.set _ZN7rocprim17ROCPRIM_400000_NS6detail17trampoline_kernelINS0_14default_configENS1_35radix_sort_onesweep_config_selectorIjNS0_10empty_typeEEEZNS1_34radix_sort_onesweep_global_offsetsIS3_Lb0EPKjPS5_mNS0_19identity_decomposerEEE10hipError_tT1_T2_PT3_SF_jT4_jjP12ihipStream_tbEUlT_E_NS1_11comp_targetILNS1_3genE4ELNS1_11target_archE910ELNS1_3gpuE8ELNS1_3repE0EEENS1_52radix_sort_onesweep_histogram_config_static_selectorELNS0_4arch9wavefront6targetE0EEEvSD_.has_recursion, 0
	.set _ZN7rocprim17ROCPRIM_400000_NS6detail17trampoline_kernelINS0_14default_configENS1_35radix_sort_onesweep_config_selectorIjNS0_10empty_typeEEEZNS1_34radix_sort_onesweep_global_offsetsIS3_Lb0EPKjPS5_mNS0_19identity_decomposerEEE10hipError_tT1_T2_PT3_SF_jT4_jjP12ihipStream_tbEUlT_E_NS1_11comp_targetILNS1_3genE4ELNS1_11target_archE910ELNS1_3gpuE8ELNS1_3repE0EEENS1_52radix_sort_onesweep_histogram_config_static_selectorELNS0_4arch9wavefront6targetE0EEEvSD_.has_indirect_call, 0
	.section	.AMDGPU.csdata,"",@progbits
; Kernel info:
; codeLenInByte = 0
; TotalNumSgprs: 0
; NumVgprs: 0
; ScratchSize: 0
; MemoryBound: 0
; FloatMode: 240
; IeeeMode: 1
; LDSByteSize: 0 bytes/workgroup (compile time only)
; SGPRBlocks: 0
; VGPRBlocks: 0
; NumSGPRsForWavesPerEU: 1
; NumVGPRsForWavesPerEU: 1
; NamedBarCnt: 0
; Occupancy: 16
; WaveLimiterHint : 0
; COMPUTE_PGM_RSRC2:SCRATCH_EN: 0
; COMPUTE_PGM_RSRC2:USER_SGPR: 2
; COMPUTE_PGM_RSRC2:TRAP_HANDLER: 0
; COMPUTE_PGM_RSRC2:TGID_X_EN: 1
; COMPUTE_PGM_RSRC2:TGID_Y_EN: 0
; COMPUTE_PGM_RSRC2:TGID_Z_EN: 0
; COMPUTE_PGM_RSRC2:TIDIG_COMP_CNT: 0
	.section	.text._ZN7rocprim17ROCPRIM_400000_NS6detail17trampoline_kernelINS0_14default_configENS1_35radix_sort_onesweep_config_selectorIjNS0_10empty_typeEEEZNS1_34radix_sort_onesweep_global_offsetsIS3_Lb0EPKjPS5_mNS0_19identity_decomposerEEE10hipError_tT1_T2_PT3_SF_jT4_jjP12ihipStream_tbEUlT_E_NS1_11comp_targetILNS1_3genE3ELNS1_11target_archE908ELNS1_3gpuE7ELNS1_3repE0EEENS1_52radix_sort_onesweep_histogram_config_static_selectorELNS0_4arch9wavefront6targetE0EEEvSD_,"axG",@progbits,_ZN7rocprim17ROCPRIM_400000_NS6detail17trampoline_kernelINS0_14default_configENS1_35radix_sort_onesweep_config_selectorIjNS0_10empty_typeEEEZNS1_34radix_sort_onesweep_global_offsetsIS3_Lb0EPKjPS5_mNS0_19identity_decomposerEEE10hipError_tT1_T2_PT3_SF_jT4_jjP12ihipStream_tbEUlT_E_NS1_11comp_targetILNS1_3genE3ELNS1_11target_archE908ELNS1_3gpuE7ELNS1_3repE0EEENS1_52radix_sort_onesweep_histogram_config_static_selectorELNS0_4arch9wavefront6targetE0EEEvSD_,comdat
	.protected	_ZN7rocprim17ROCPRIM_400000_NS6detail17trampoline_kernelINS0_14default_configENS1_35radix_sort_onesweep_config_selectorIjNS0_10empty_typeEEEZNS1_34radix_sort_onesweep_global_offsetsIS3_Lb0EPKjPS5_mNS0_19identity_decomposerEEE10hipError_tT1_T2_PT3_SF_jT4_jjP12ihipStream_tbEUlT_E_NS1_11comp_targetILNS1_3genE3ELNS1_11target_archE908ELNS1_3gpuE7ELNS1_3repE0EEENS1_52radix_sort_onesweep_histogram_config_static_selectorELNS0_4arch9wavefront6targetE0EEEvSD_ ; -- Begin function _ZN7rocprim17ROCPRIM_400000_NS6detail17trampoline_kernelINS0_14default_configENS1_35radix_sort_onesweep_config_selectorIjNS0_10empty_typeEEEZNS1_34radix_sort_onesweep_global_offsetsIS3_Lb0EPKjPS5_mNS0_19identity_decomposerEEE10hipError_tT1_T2_PT3_SF_jT4_jjP12ihipStream_tbEUlT_E_NS1_11comp_targetILNS1_3genE3ELNS1_11target_archE908ELNS1_3gpuE7ELNS1_3repE0EEENS1_52radix_sort_onesweep_histogram_config_static_selectorELNS0_4arch9wavefront6targetE0EEEvSD_
	.globl	_ZN7rocprim17ROCPRIM_400000_NS6detail17trampoline_kernelINS0_14default_configENS1_35radix_sort_onesweep_config_selectorIjNS0_10empty_typeEEEZNS1_34radix_sort_onesweep_global_offsetsIS3_Lb0EPKjPS5_mNS0_19identity_decomposerEEE10hipError_tT1_T2_PT3_SF_jT4_jjP12ihipStream_tbEUlT_E_NS1_11comp_targetILNS1_3genE3ELNS1_11target_archE908ELNS1_3gpuE7ELNS1_3repE0EEENS1_52radix_sort_onesweep_histogram_config_static_selectorELNS0_4arch9wavefront6targetE0EEEvSD_
	.p2align	8
	.type	_ZN7rocprim17ROCPRIM_400000_NS6detail17trampoline_kernelINS0_14default_configENS1_35radix_sort_onesweep_config_selectorIjNS0_10empty_typeEEEZNS1_34radix_sort_onesweep_global_offsetsIS3_Lb0EPKjPS5_mNS0_19identity_decomposerEEE10hipError_tT1_T2_PT3_SF_jT4_jjP12ihipStream_tbEUlT_E_NS1_11comp_targetILNS1_3genE3ELNS1_11target_archE908ELNS1_3gpuE7ELNS1_3repE0EEENS1_52radix_sort_onesweep_histogram_config_static_selectorELNS0_4arch9wavefront6targetE0EEEvSD_,@function
_ZN7rocprim17ROCPRIM_400000_NS6detail17trampoline_kernelINS0_14default_configENS1_35radix_sort_onesweep_config_selectorIjNS0_10empty_typeEEEZNS1_34radix_sort_onesweep_global_offsetsIS3_Lb0EPKjPS5_mNS0_19identity_decomposerEEE10hipError_tT1_T2_PT3_SF_jT4_jjP12ihipStream_tbEUlT_E_NS1_11comp_targetILNS1_3genE3ELNS1_11target_archE908ELNS1_3gpuE7ELNS1_3repE0EEENS1_52radix_sort_onesweep_histogram_config_static_selectorELNS0_4arch9wavefront6targetE0EEEvSD_: ; @_ZN7rocprim17ROCPRIM_400000_NS6detail17trampoline_kernelINS0_14default_configENS1_35radix_sort_onesweep_config_selectorIjNS0_10empty_typeEEEZNS1_34radix_sort_onesweep_global_offsetsIS3_Lb0EPKjPS5_mNS0_19identity_decomposerEEE10hipError_tT1_T2_PT3_SF_jT4_jjP12ihipStream_tbEUlT_E_NS1_11comp_targetILNS1_3genE3ELNS1_11target_archE908ELNS1_3gpuE7ELNS1_3repE0EEENS1_52radix_sort_onesweep_histogram_config_static_selectorELNS0_4arch9wavefront6targetE0EEEvSD_
; %bb.0:
	.section	.rodata,"a",@progbits
	.p2align	6, 0x0
	.amdhsa_kernel _ZN7rocprim17ROCPRIM_400000_NS6detail17trampoline_kernelINS0_14default_configENS1_35radix_sort_onesweep_config_selectorIjNS0_10empty_typeEEEZNS1_34radix_sort_onesweep_global_offsetsIS3_Lb0EPKjPS5_mNS0_19identity_decomposerEEE10hipError_tT1_T2_PT3_SF_jT4_jjP12ihipStream_tbEUlT_E_NS1_11comp_targetILNS1_3genE3ELNS1_11target_archE908ELNS1_3gpuE7ELNS1_3repE0EEENS1_52radix_sort_onesweep_histogram_config_static_selectorELNS0_4arch9wavefront6targetE0EEEvSD_
		.amdhsa_group_segment_fixed_size 0
		.amdhsa_private_segment_fixed_size 0
		.amdhsa_kernarg_size 48
		.amdhsa_user_sgpr_count 2
		.amdhsa_user_sgpr_dispatch_ptr 0
		.amdhsa_user_sgpr_queue_ptr 0
		.amdhsa_user_sgpr_kernarg_segment_ptr 1
		.amdhsa_user_sgpr_dispatch_id 0
		.amdhsa_user_sgpr_kernarg_preload_length 0
		.amdhsa_user_sgpr_kernarg_preload_offset 0
		.amdhsa_user_sgpr_private_segment_size 0
		.amdhsa_wavefront_size32 1
		.amdhsa_uses_dynamic_stack 0
		.amdhsa_enable_private_segment 0
		.amdhsa_system_sgpr_workgroup_id_x 1
		.amdhsa_system_sgpr_workgroup_id_y 0
		.amdhsa_system_sgpr_workgroup_id_z 0
		.amdhsa_system_sgpr_workgroup_info 0
		.amdhsa_system_vgpr_workitem_id 0
		.amdhsa_next_free_vgpr 1
		.amdhsa_next_free_sgpr 1
		.amdhsa_named_barrier_count 0
		.amdhsa_reserve_vcc 0
		.amdhsa_float_round_mode_32 0
		.amdhsa_float_round_mode_16_64 0
		.amdhsa_float_denorm_mode_32 3
		.amdhsa_float_denorm_mode_16_64 3
		.amdhsa_fp16_overflow 0
		.amdhsa_memory_ordered 1
		.amdhsa_forward_progress 1
		.amdhsa_inst_pref_size 0
		.amdhsa_round_robin_scheduling 0
		.amdhsa_exception_fp_ieee_invalid_op 0
		.amdhsa_exception_fp_denorm_src 0
		.amdhsa_exception_fp_ieee_div_zero 0
		.amdhsa_exception_fp_ieee_overflow 0
		.amdhsa_exception_fp_ieee_underflow 0
		.amdhsa_exception_fp_ieee_inexact 0
		.amdhsa_exception_int_div_zero 0
	.end_amdhsa_kernel
	.section	.text._ZN7rocprim17ROCPRIM_400000_NS6detail17trampoline_kernelINS0_14default_configENS1_35radix_sort_onesweep_config_selectorIjNS0_10empty_typeEEEZNS1_34radix_sort_onesweep_global_offsetsIS3_Lb0EPKjPS5_mNS0_19identity_decomposerEEE10hipError_tT1_T2_PT3_SF_jT4_jjP12ihipStream_tbEUlT_E_NS1_11comp_targetILNS1_3genE3ELNS1_11target_archE908ELNS1_3gpuE7ELNS1_3repE0EEENS1_52radix_sort_onesweep_histogram_config_static_selectorELNS0_4arch9wavefront6targetE0EEEvSD_,"axG",@progbits,_ZN7rocprim17ROCPRIM_400000_NS6detail17trampoline_kernelINS0_14default_configENS1_35radix_sort_onesweep_config_selectorIjNS0_10empty_typeEEEZNS1_34radix_sort_onesweep_global_offsetsIS3_Lb0EPKjPS5_mNS0_19identity_decomposerEEE10hipError_tT1_T2_PT3_SF_jT4_jjP12ihipStream_tbEUlT_E_NS1_11comp_targetILNS1_3genE3ELNS1_11target_archE908ELNS1_3gpuE7ELNS1_3repE0EEENS1_52radix_sort_onesweep_histogram_config_static_selectorELNS0_4arch9wavefront6targetE0EEEvSD_,comdat
.Lfunc_end2731:
	.size	_ZN7rocprim17ROCPRIM_400000_NS6detail17trampoline_kernelINS0_14default_configENS1_35radix_sort_onesweep_config_selectorIjNS0_10empty_typeEEEZNS1_34radix_sort_onesweep_global_offsetsIS3_Lb0EPKjPS5_mNS0_19identity_decomposerEEE10hipError_tT1_T2_PT3_SF_jT4_jjP12ihipStream_tbEUlT_E_NS1_11comp_targetILNS1_3genE3ELNS1_11target_archE908ELNS1_3gpuE7ELNS1_3repE0EEENS1_52radix_sort_onesweep_histogram_config_static_selectorELNS0_4arch9wavefront6targetE0EEEvSD_, .Lfunc_end2731-_ZN7rocprim17ROCPRIM_400000_NS6detail17trampoline_kernelINS0_14default_configENS1_35radix_sort_onesweep_config_selectorIjNS0_10empty_typeEEEZNS1_34radix_sort_onesweep_global_offsetsIS3_Lb0EPKjPS5_mNS0_19identity_decomposerEEE10hipError_tT1_T2_PT3_SF_jT4_jjP12ihipStream_tbEUlT_E_NS1_11comp_targetILNS1_3genE3ELNS1_11target_archE908ELNS1_3gpuE7ELNS1_3repE0EEENS1_52radix_sort_onesweep_histogram_config_static_selectorELNS0_4arch9wavefront6targetE0EEEvSD_
                                        ; -- End function
	.set _ZN7rocprim17ROCPRIM_400000_NS6detail17trampoline_kernelINS0_14default_configENS1_35radix_sort_onesweep_config_selectorIjNS0_10empty_typeEEEZNS1_34radix_sort_onesweep_global_offsetsIS3_Lb0EPKjPS5_mNS0_19identity_decomposerEEE10hipError_tT1_T2_PT3_SF_jT4_jjP12ihipStream_tbEUlT_E_NS1_11comp_targetILNS1_3genE3ELNS1_11target_archE908ELNS1_3gpuE7ELNS1_3repE0EEENS1_52radix_sort_onesweep_histogram_config_static_selectorELNS0_4arch9wavefront6targetE0EEEvSD_.num_vgpr, 0
	.set _ZN7rocprim17ROCPRIM_400000_NS6detail17trampoline_kernelINS0_14default_configENS1_35radix_sort_onesweep_config_selectorIjNS0_10empty_typeEEEZNS1_34radix_sort_onesweep_global_offsetsIS3_Lb0EPKjPS5_mNS0_19identity_decomposerEEE10hipError_tT1_T2_PT3_SF_jT4_jjP12ihipStream_tbEUlT_E_NS1_11comp_targetILNS1_3genE3ELNS1_11target_archE908ELNS1_3gpuE7ELNS1_3repE0EEENS1_52radix_sort_onesweep_histogram_config_static_selectorELNS0_4arch9wavefront6targetE0EEEvSD_.num_agpr, 0
	.set _ZN7rocprim17ROCPRIM_400000_NS6detail17trampoline_kernelINS0_14default_configENS1_35radix_sort_onesweep_config_selectorIjNS0_10empty_typeEEEZNS1_34radix_sort_onesweep_global_offsetsIS3_Lb0EPKjPS5_mNS0_19identity_decomposerEEE10hipError_tT1_T2_PT3_SF_jT4_jjP12ihipStream_tbEUlT_E_NS1_11comp_targetILNS1_3genE3ELNS1_11target_archE908ELNS1_3gpuE7ELNS1_3repE0EEENS1_52radix_sort_onesweep_histogram_config_static_selectorELNS0_4arch9wavefront6targetE0EEEvSD_.numbered_sgpr, 0
	.set _ZN7rocprim17ROCPRIM_400000_NS6detail17trampoline_kernelINS0_14default_configENS1_35radix_sort_onesweep_config_selectorIjNS0_10empty_typeEEEZNS1_34radix_sort_onesweep_global_offsetsIS3_Lb0EPKjPS5_mNS0_19identity_decomposerEEE10hipError_tT1_T2_PT3_SF_jT4_jjP12ihipStream_tbEUlT_E_NS1_11comp_targetILNS1_3genE3ELNS1_11target_archE908ELNS1_3gpuE7ELNS1_3repE0EEENS1_52radix_sort_onesweep_histogram_config_static_selectorELNS0_4arch9wavefront6targetE0EEEvSD_.num_named_barrier, 0
	.set _ZN7rocprim17ROCPRIM_400000_NS6detail17trampoline_kernelINS0_14default_configENS1_35radix_sort_onesweep_config_selectorIjNS0_10empty_typeEEEZNS1_34radix_sort_onesweep_global_offsetsIS3_Lb0EPKjPS5_mNS0_19identity_decomposerEEE10hipError_tT1_T2_PT3_SF_jT4_jjP12ihipStream_tbEUlT_E_NS1_11comp_targetILNS1_3genE3ELNS1_11target_archE908ELNS1_3gpuE7ELNS1_3repE0EEENS1_52radix_sort_onesweep_histogram_config_static_selectorELNS0_4arch9wavefront6targetE0EEEvSD_.private_seg_size, 0
	.set _ZN7rocprim17ROCPRIM_400000_NS6detail17trampoline_kernelINS0_14default_configENS1_35radix_sort_onesweep_config_selectorIjNS0_10empty_typeEEEZNS1_34radix_sort_onesweep_global_offsetsIS3_Lb0EPKjPS5_mNS0_19identity_decomposerEEE10hipError_tT1_T2_PT3_SF_jT4_jjP12ihipStream_tbEUlT_E_NS1_11comp_targetILNS1_3genE3ELNS1_11target_archE908ELNS1_3gpuE7ELNS1_3repE0EEENS1_52radix_sort_onesweep_histogram_config_static_selectorELNS0_4arch9wavefront6targetE0EEEvSD_.uses_vcc, 0
	.set _ZN7rocprim17ROCPRIM_400000_NS6detail17trampoline_kernelINS0_14default_configENS1_35radix_sort_onesweep_config_selectorIjNS0_10empty_typeEEEZNS1_34radix_sort_onesweep_global_offsetsIS3_Lb0EPKjPS5_mNS0_19identity_decomposerEEE10hipError_tT1_T2_PT3_SF_jT4_jjP12ihipStream_tbEUlT_E_NS1_11comp_targetILNS1_3genE3ELNS1_11target_archE908ELNS1_3gpuE7ELNS1_3repE0EEENS1_52radix_sort_onesweep_histogram_config_static_selectorELNS0_4arch9wavefront6targetE0EEEvSD_.uses_flat_scratch, 0
	.set _ZN7rocprim17ROCPRIM_400000_NS6detail17trampoline_kernelINS0_14default_configENS1_35radix_sort_onesweep_config_selectorIjNS0_10empty_typeEEEZNS1_34radix_sort_onesweep_global_offsetsIS3_Lb0EPKjPS5_mNS0_19identity_decomposerEEE10hipError_tT1_T2_PT3_SF_jT4_jjP12ihipStream_tbEUlT_E_NS1_11comp_targetILNS1_3genE3ELNS1_11target_archE908ELNS1_3gpuE7ELNS1_3repE0EEENS1_52radix_sort_onesweep_histogram_config_static_selectorELNS0_4arch9wavefront6targetE0EEEvSD_.has_dyn_sized_stack, 0
	.set _ZN7rocprim17ROCPRIM_400000_NS6detail17trampoline_kernelINS0_14default_configENS1_35radix_sort_onesweep_config_selectorIjNS0_10empty_typeEEEZNS1_34radix_sort_onesweep_global_offsetsIS3_Lb0EPKjPS5_mNS0_19identity_decomposerEEE10hipError_tT1_T2_PT3_SF_jT4_jjP12ihipStream_tbEUlT_E_NS1_11comp_targetILNS1_3genE3ELNS1_11target_archE908ELNS1_3gpuE7ELNS1_3repE0EEENS1_52radix_sort_onesweep_histogram_config_static_selectorELNS0_4arch9wavefront6targetE0EEEvSD_.has_recursion, 0
	.set _ZN7rocprim17ROCPRIM_400000_NS6detail17trampoline_kernelINS0_14default_configENS1_35radix_sort_onesweep_config_selectorIjNS0_10empty_typeEEEZNS1_34radix_sort_onesweep_global_offsetsIS3_Lb0EPKjPS5_mNS0_19identity_decomposerEEE10hipError_tT1_T2_PT3_SF_jT4_jjP12ihipStream_tbEUlT_E_NS1_11comp_targetILNS1_3genE3ELNS1_11target_archE908ELNS1_3gpuE7ELNS1_3repE0EEENS1_52radix_sort_onesweep_histogram_config_static_selectorELNS0_4arch9wavefront6targetE0EEEvSD_.has_indirect_call, 0
	.section	.AMDGPU.csdata,"",@progbits
; Kernel info:
; codeLenInByte = 0
; TotalNumSgprs: 0
; NumVgprs: 0
; ScratchSize: 0
; MemoryBound: 0
; FloatMode: 240
; IeeeMode: 1
; LDSByteSize: 0 bytes/workgroup (compile time only)
; SGPRBlocks: 0
; VGPRBlocks: 0
; NumSGPRsForWavesPerEU: 1
; NumVGPRsForWavesPerEU: 1
; NamedBarCnt: 0
; Occupancy: 16
; WaveLimiterHint : 0
; COMPUTE_PGM_RSRC2:SCRATCH_EN: 0
; COMPUTE_PGM_RSRC2:USER_SGPR: 2
; COMPUTE_PGM_RSRC2:TRAP_HANDLER: 0
; COMPUTE_PGM_RSRC2:TGID_X_EN: 1
; COMPUTE_PGM_RSRC2:TGID_Y_EN: 0
; COMPUTE_PGM_RSRC2:TGID_Z_EN: 0
; COMPUTE_PGM_RSRC2:TIDIG_COMP_CNT: 0
	.section	.text._ZN7rocprim17ROCPRIM_400000_NS6detail17trampoline_kernelINS0_14default_configENS1_35radix_sort_onesweep_config_selectorIjNS0_10empty_typeEEEZNS1_34radix_sort_onesweep_global_offsetsIS3_Lb0EPKjPS5_mNS0_19identity_decomposerEEE10hipError_tT1_T2_PT3_SF_jT4_jjP12ihipStream_tbEUlT_E_NS1_11comp_targetILNS1_3genE10ELNS1_11target_archE1201ELNS1_3gpuE5ELNS1_3repE0EEENS1_52radix_sort_onesweep_histogram_config_static_selectorELNS0_4arch9wavefront6targetE0EEEvSD_,"axG",@progbits,_ZN7rocprim17ROCPRIM_400000_NS6detail17trampoline_kernelINS0_14default_configENS1_35radix_sort_onesweep_config_selectorIjNS0_10empty_typeEEEZNS1_34radix_sort_onesweep_global_offsetsIS3_Lb0EPKjPS5_mNS0_19identity_decomposerEEE10hipError_tT1_T2_PT3_SF_jT4_jjP12ihipStream_tbEUlT_E_NS1_11comp_targetILNS1_3genE10ELNS1_11target_archE1201ELNS1_3gpuE5ELNS1_3repE0EEENS1_52radix_sort_onesweep_histogram_config_static_selectorELNS0_4arch9wavefront6targetE0EEEvSD_,comdat
	.protected	_ZN7rocprim17ROCPRIM_400000_NS6detail17trampoline_kernelINS0_14default_configENS1_35radix_sort_onesweep_config_selectorIjNS0_10empty_typeEEEZNS1_34radix_sort_onesweep_global_offsetsIS3_Lb0EPKjPS5_mNS0_19identity_decomposerEEE10hipError_tT1_T2_PT3_SF_jT4_jjP12ihipStream_tbEUlT_E_NS1_11comp_targetILNS1_3genE10ELNS1_11target_archE1201ELNS1_3gpuE5ELNS1_3repE0EEENS1_52radix_sort_onesweep_histogram_config_static_selectorELNS0_4arch9wavefront6targetE0EEEvSD_ ; -- Begin function _ZN7rocprim17ROCPRIM_400000_NS6detail17trampoline_kernelINS0_14default_configENS1_35radix_sort_onesweep_config_selectorIjNS0_10empty_typeEEEZNS1_34radix_sort_onesweep_global_offsetsIS3_Lb0EPKjPS5_mNS0_19identity_decomposerEEE10hipError_tT1_T2_PT3_SF_jT4_jjP12ihipStream_tbEUlT_E_NS1_11comp_targetILNS1_3genE10ELNS1_11target_archE1201ELNS1_3gpuE5ELNS1_3repE0EEENS1_52radix_sort_onesweep_histogram_config_static_selectorELNS0_4arch9wavefront6targetE0EEEvSD_
	.globl	_ZN7rocprim17ROCPRIM_400000_NS6detail17trampoline_kernelINS0_14default_configENS1_35radix_sort_onesweep_config_selectorIjNS0_10empty_typeEEEZNS1_34radix_sort_onesweep_global_offsetsIS3_Lb0EPKjPS5_mNS0_19identity_decomposerEEE10hipError_tT1_T2_PT3_SF_jT4_jjP12ihipStream_tbEUlT_E_NS1_11comp_targetILNS1_3genE10ELNS1_11target_archE1201ELNS1_3gpuE5ELNS1_3repE0EEENS1_52radix_sort_onesweep_histogram_config_static_selectorELNS0_4arch9wavefront6targetE0EEEvSD_
	.p2align	8
	.type	_ZN7rocprim17ROCPRIM_400000_NS6detail17trampoline_kernelINS0_14default_configENS1_35radix_sort_onesweep_config_selectorIjNS0_10empty_typeEEEZNS1_34radix_sort_onesweep_global_offsetsIS3_Lb0EPKjPS5_mNS0_19identity_decomposerEEE10hipError_tT1_T2_PT3_SF_jT4_jjP12ihipStream_tbEUlT_E_NS1_11comp_targetILNS1_3genE10ELNS1_11target_archE1201ELNS1_3gpuE5ELNS1_3repE0EEENS1_52radix_sort_onesweep_histogram_config_static_selectorELNS0_4arch9wavefront6targetE0EEEvSD_,@function
_ZN7rocprim17ROCPRIM_400000_NS6detail17trampoline_kernelINS0_14default_configENS1_35radix_sort_onesweep_config_selectorIjNS0_10empty_typeEEEZNS1_34radix_sort_onesweep_global_offsetsIS3_Lb0EPKjPS5_mNS0_19identity_decomposerEEE10hipError_tT1_T2_PT3_SF_jT4_jjP12ihipStream_tbEUlT_E_NS1_11comp_targetILNS1_3genE10ELNS1_11target_archE1201ELNS1_3gpuE5ELNS1_3repE0EEENS1_52radix_sort_onesweep_histogram_config_static_selectorELNS0_4arch9wavefront6targetE0EEEvSD_: ; @_ZN7rocprim17ROCPRIM_400000_NS6detail17trampoline_kernelINS0_14default_configENS1_35radix_sort_onesweep_config_selectorIjNS0_10empty_typeEEEZNS1_34radix_sort_onesweep_global_offsetsIS3_Lb0EPKjPS5_mNS0_19identity_decomposerEEE10hipError_tT1_T2_PT3_SF_jT4_jjP12ihipStream_tbEUlT_E_NS1_11comp_targetILNS1_3genE10ELNS1_11target_archE1201ELNS1_3gpuE5ELNS1_3repE0EEENS1_52radix_sort_onesweep_histogram_config_static_selectorELNS0_4arch9wavefront6targetE0EEEvSD_
; %bb.0:
	.section	.rodata,"a",@progbits
	.p2align	6, 0x0
	.amdhsa_kernel _ZN7rocprim17ROCPRIM_400000_NS6detail17trampoline_kernelINS0_14default_configENS1_35radix_sort_onesweep_config_selectorIjNS0_10empty_typeEEEZNS1_34radix_sort_onesweep_global_offsetsIS3_Lb0EPKjPS5_mNS0_19identity_decomposerEEE10hipError_tT1_T2_PT3_SF_jT4_jjP12ihipStream_tbEUlT_E_NS1_11comp_targetILNS1_3genE10ELNS1_11target_archE1201ELNS1_3gpuE5ELNS1_3repE0EEENS1_52radix_sort_onesweep_histogram_config_static_selectorELNS0_4arch9wavefront6targetE0EEEvSD_
		.amdhsa_group_segment_fixed_size 0
		.amdhsa_private_segment_fixed_size 0
		.amdhsa_kernarg_size 48
		.amdhsa_user_sgpr_count 2
		.amdhsa_user_sgpr_dispatch_ptr 0
		.amdhsa_user_sgpr_queue_ptr 0
		.amdhsa_user_sgpr_kernarg_segment_ptr 1
		.amdhsa_user_sgpr_dispatch_id 0
		.amdhsa_user_sgpr_kernarg_preload_length 0
		.amdhsa_user_sgpr_kernarg_preload_offset 0
		.amdhsa_user_sgpr_private_segment_size 0
		.amdhsa_wavefront_size32 1
		.amdhsa_uses_dynamic_stack 0
		.amdhsa_enable_private_segment 0
		.amdhsa_system_sgpr_workgroup_id_x 1
		.amdhsa_system_sgpr_workgroup_id_y 0
		.amdhsa_system_sgpr_workgroup_id_z 0
		.amdhsa_system_sgpr_workgroup_info 0
		.amdhsa_system_vgpr_workitem_id 0
		.amdhsa_next_free_vgpr 1
		.amdhsa_next_free_sgpr 1
		.amdhsa_named_barrier_count 0
		.amdhsa_reserve_vcc 0
		.amdhsa_float_round_mode_32 0
		.amdhsa_float_round_mode_16_64 0
		.amdhsa_float_denorm_mode_32 3
		.amdhsa_float_denorm_mode_16_64 3
		.amdhsa_fp16_overflow 0
		.amdhsa_memory_ordered 1
		.amdhsa_forward_progress 1
		.amdhsa_inst_pref_size 0
		.amdhsa_round_robin_scheduling 0
		.amdhsa_exception_fp_ieee_invalid_op 0
		.amdhsa_exception_fp_denorm_src 0
		.amdhsa_exception_fp_ieee_div_zero 0
		.amdhsa_exception_fp_ieee_overflow 0
		.amdhsa_exception_fp_ieee_underflow 0
		.amdhsa_exception_fp_ieee_inexact 0
		.amdhsa_exception_int_div_zero 0
	.end_amdhsa_kernel
	.section	.text._ZN7rocprim17ROCPRIM_400000_NS6detail17trampoline_kernelINS0_14default_configENS1_35radix_sort_onesweep_config_selectorIjNS0_10empty_typeEEEZNS1_34radix_sort_onesweep_global_offsetsIS3_Lb0EPKjPS5_mNS0_19identity_decomposerEEE10hipError_tT1_T2_PT3_SF_jT4_jjP12ihipStream_tbEUlT_E_NS1_11comp_targetILNS1_3genE10ELNS1_11target_archE1201ELNS1_3gpuE5ELNS1_3repE0EEENS1_52radix_sort_onesweep_histogram_config_static_selectorELNS0_4arch9wavefront6targetE0EEEvSD_,"axG",@progbits,_ZN7rocprim17ROCPRIM_400000_NS6detail17trampoline_kernelINS0_14default_configENS1_35radix_sort_onesweep_config_selectorIjNS0_10empty_typeEEEZNS1_34radix_sort_onesweep_global_offsetsIS3_Lb0EPKjPS5_mNS0_19identity_decomposerEEE10hipError_tT1_T2_PT3_SF_jT4_jjP12ihipStream_tbEUlT_E_NS1_11comp_targetILNS1_3genE10ELNS1_11target_archE1201ELNS1_3gpuE5ELNS1_3repE0EEENS1_52radix_sort_onesweep_histogram_config_static_selectorELNS0_4arch9wavefront6targetE0EEEvSD_,comdat
.Lfunc_end2732:
	.size	_ZN7rocprim17ROCPRIM_400000_NS6detail17trampoline_kernelINS0_14default_configENS1_35radix_sort_onesweep_config_selectorIjNS0_10empty_typeEEEZNS1_34radix_sort_onesweep_global_offsetsIS3_Lb0EPKjPS5_mNS0_19identity_decomposerEEE10hipError_tT1_T2_PT3_SF_jT4_jjP12ihipStream_tbEUlT_E_NS1_11comp_targetILNS1_3genE10ELNS1_11target_archE1201ELNS1_3gpuE5ELNS1_3repE0EEENS1_52radix_sort_onesweep_histogram_config_static_selectorELNS0_4arch9wavefront6targetE0EEEvSD_, .Lfunc_end2732-_ZN7rocprim17ROCPRIM_400000_NS6detail17trampoline_kernelINS0_14default_configENS1_35radix_sort_onesweep_config_selectorIjNS0_10empty_typeEEEZNS1_34radix_sort_onesweep_global_offsetsIS3_Lb0EPKjPS5_mNS0_19identity_decomposerEEE10hipError_tT1_T2_PT3_SF_jT4_jjP12ihipStream_tbEUlT_E_NS1_11comp_targetILNS1_3genE10ELNS1_11target_archE1201ELNS1_3gpuE5ELNS1_3repE0EEENS1_52radix_sort_onesweep_histogram_config_static_selectorELNS0_4arch9wavefront6targetE0EEEvSD_
                                        ; -- End function
	.set _ZN7rocprim17ROCPRIM_400000_NS6detail17trampoline_kernelINS0_14default_configENS1_35radix_sort_onesweep_config_selectorIjNS0_10empty_typeEEEZNS1_34radix_sort_onesweep_global_offsetsIS3_Lb0EPKjPS5_mNS0_19identity_decomposerEEE10hipError_tT1_T2_PT3_SF_jT4_jjP12ihipStream_tbEUlT_E_NS1_11comp_targetILNS1_3genE10ELNS1_11target_archE1201ELNS1_3gpuE5ELNS1_3repE0EEENS1_52radix_sort_onesweep_histogram_config_static_selectorELNS0_4arch9wavefront6targetE0EEEvSD_.num_vgpr, 0
	.set _ZN7rocprim17ROCPRIM_400000_NS6detail17trampoline_kernelINS0_14default_configENS1_35radix_sort_onesweep_config_selectorIjNS0_10empty_typeEEEZNS1_34radix_sort_onesweep_global_offsetsIS3_Lb0EPKjPS5_mNS0_19identity_decomposerEEE10hipError_tT1_T2_PT3_SF_jT4_jjP12ihipStream_tbEUlT_E_NS1_11comp_targetILNS1_3genE10ELNS1_11target_archE1201ELNS1_3gpuE5ELNS1_3repE0EEENS1_52radix_sort_onesweep_histogram_config_static_selectorELNS0_4arch9wavefront6targetE0EEEvSD_.num_agpr, 0
	.set _ZN7rocprim17ROCPRIM_400000_NS6detail17trampoline_kernelINS0_14default_configENS1_35radix_sort_onesweep_config_selectorIjNS0_10empty_typeEEEZNS1_34radix_sort_onesweep_global_offsetsIS3_Lb0EPKjPS5_mNS0_19identity_decomposerEEE10hipError_tT1_T2_PT3_SF_jT4_jjP12ihipStream_tbEUlT_E_NS1_11comp_targetILNS1_3genE10ELNS1_11target_archE1201ELNS1_3gpuE5ELNS1_3repE0EEENS1_52radix_sort_onesweep_histogram_config_static_selectorELNS0_4arch9wavefront6targetE0EEEvSD_.numbered_sgpr, 0
	.set _ZN7rocprim17ROCPRIM_400000_NS6detail17trampoline_kernelINS0_14default_configENS1_35radix_sort_onesweep_config_selectorIjNS0_10empty_typeEEEZNS1_34radix_sort_onesweep_global_offsetsIS3_Lb0EPKjPS5_mNS0_19identity_decomposerEEE10hipError_tT1_T2_PT3_SF_jT4_jjP12ihipStream_tbEUlT_E_NS1_11comp_targetILNS1_3genE10ELNS1_11target_archE1201ELNS1_3gpuE5ELNS1_3repE0EEENS1_52radix_sort_onesweep_histogram_config_static_selectorELNS0_4arch9wavefront6targetE0EEEvSD_.num_named_barrier, 0
	.set _ZN7rocprim17ROCPRIM_400000_NS6detail17trampoline_kernelINS0_14default_configENS1_35radix_sort_onesweep_config_selectorIjNS0_10empty_typeEEEZNS1_34radix_sort_onesweep_global_offsetsIS3_Lb0EPKjPS5_mNS0_19identity_decomposerEEE10hipError_tT1_T2_PT3_SF_jT4_jjP12ihipStream_tbEUlT_E_NS1_11comp_targetILNS1_3genE10ELNS1_11target_archE1201ELNS1_3gpuE5ELNS1_3repE0EEENS1_52radix_sort_onesweep_histogram_config_static_selectorELNS0_4arch9wavefront6targetE0EEEvSD_.private_seg_size, 0
	.set _ZN7rocprim17ROCPRIM_400000_NS6detail17trampoline_kernelINS0_14default_configENS1_35radix_sort_onesweep_config_selectorIjNS0_10empty_typeEEEZNS1_34radix_sort_onesweep_global_offsetsIS3_Lb0EPKjPS5_mNS0_19identity_decomposerEEE10hipError_tT1_T2_PT3_SF_jT4_jjP12ihipStream_tbEUlT_E_NS1_11comp_targetILNS1_3genE10ELNS1_11target_archE1201ELNS1_3gpuE5ELNS1_3repE0EEENS1_52radix_sort_onesweep_histogram_config_static_selectorELNS0_4arch9wavefront6targetE0EEEvSD_.uses_vcc, 0
	.set _ZN7rocprim17ROCPRIM_400000_NS6detail17trampoline_kernelINS0_14default_configENS1_35radix_sort_onesweep_config_selectorIjNS0_10empty_typeEEEZNS1_34radix_sort_onesweep_global_offsetsIS3_Lb0EPKjPS5_mNS0_19identity_decomposerEEE10hipError_tT1_T2_PT3_SF_jT4_jjP12ihipStream_tbEUlT_E_NS1_11comp_targetILNS1_3genE10ELNS1_11target_archE1201ELNS1_3gpuE5ELNS1_3repE0EEENS1_52radix_sort_onesweep_histogram_config_static_selectorELNS0_4arch9wavefront6targetE0EEEvSD_.uses_flat_scratch, 0
	.set _ZN7rocprim17ROCPRIM_400000_NS6detail17trampoline_kernelINS0_14default_configENS1_35radix_sort_onesweep_config_selectorIjNS0_10empty_typeEEEZNS1_34radix_sort_onesweep_global_offsetsIS3_Lb0EPKjPS5_mNS0_19identity_decomposerEEE10hipError_tT1_T2_PT3_SF_jT4_jjP12ihipStream_tbEUlT_E_NS1_11comp_targetILNS1_3genE10ELNS1_11target_archE1201ELNS1_3gpuE5ELNS1_3repE0EEENS1_52radix_sort_onesweep_histogram_config_static_selectorELNS0_4arch9wavefront6targetE0EEEvSD_.has_dyn_sized_stack, 0
	.set _ZN7rocprim17ROCPRIM_400000_NS6detail17trampoline_kernelINS0_14default_configENS1_35radix_sort_onesweep_config_selectorIjNS0_10empty_typeEEEZNS1_34radix_sort_onesweep_global_offsetsIS3_Lb0EPKjPS5_mNS0_19identity_decomposerEEE10hipError_tT1_T2_PT3_SF_jT4_jjP12ihipStream_tbEUlT_E_NS1_11comp_targetILNS1_3genE10ELNS1_11target_archE1201ELNS1_3gpuE5ELNS1_3repE0EEENS1_52radix_sort_onesweep_histogram_config_static_selectorELNS0_4arch9wavefront6targetE0EEEvSD_.has_recursion, 0
	.set _ZN7rocprim17ROCPRIM_400000_NS6detail17trampoline_kernelINS0_14default_configENS1_35radix_sort_onesweep_config_selectorIjNS0_10empty_typeEEEZNS1_34radix_sort_onesweep_global_offsetsIS3_Lb0EPKjPS5_mNS0_19identity_decomposerEEE10hipError_tT1_T2_PT3_SF_jT4_jjP12ihipStream_tbEUlT_E_NS1_11comp_targetILNS1_3genE10ELNS1_11target_archE1201ELNS1_3gpuE5ELNS1_3repE0EEENS1_52radix_sort_onesweep_histogram_config_static_selectorELNS0_4arch9wavefront6targetE0EEEvSD_.has_indirect_call, 0
	.section	.AMDGPU.csdata,"",@progbits
; Kernel info:
; codeLenInByte = 0
; TotalNumSgprs: 0
; NumVgprs: 0
; ScratchSize: 0
; MemoryBound: 0
; FloatMode: 240
; IeeeMode: 1
; LDSByteSize: 0 bytes/workgroup (compile time only)
; SGPRBlocks: 0
; VGPRBlocks: 0
; NumSGPRsForWavesPerEU: 1
; NumVGPRsForWavesPerEU: 1
; NamedBarCnt: 0
; Occupancy: 16
; WaveLimiterHint : 0
; COMPUTE_PGM_RSRC2:SCRATCH_EN: 0
; COMPUTE_PGM_RSRC2:USER_SGPR: 2
; COMPUTE_PGM_RSRC2:TRAP_HANDLER: 0
; COMPUTE_PGM_RSRC2:TGID_X_EN: 1
; COMPUTE_PGM_RSRC2:TGID_Y_EN: 0
; COMPUTE_PGM_RSRC2:TGID_Z_EN: 0
; COMPUTE_PGM_RSRC2:TIDIG_COMP_CNT: 0
	.section	.text._ZN7rocprim17ROCPRIM_400000_NS6detail17trampoline_kernelINS0_14default_configENS1_35radix_sort_onesweep_config_selectorIjNS0_10empty_typeEEEZNS1_34radix_sort_onesweep_global_offsetsIS3_Lb0EPKjPS5_mNS0_19identity_decomposerEEE10hipError_tT1_T2_PT3_SF_jT4_jjP12ihipStream_tbEUlT_E_NS1_11comp_targetILNS1_3genE9ELNS1_11target_archE1100ELNS1_3gpuE3ELNS1_3repE0EEENS1_52radix_sort_onesweep_histogram_config_static_selectorELNS0_4arch9wavefront6targetE0EEEvSD_,"axG",@progbits,_ZN7rocprim17ROCPRIM_400000_NS6detail17trampoline_kernelINS0_14default_configENS1_35radix_sort_onesweep_config_selectorIjNS0_10empty_typeEEEZNS1_34radix_sort_onesweep_global_offsetsIS3_Lb0EPKjPS5_mNS0_19identity_decomposerEEE10hipError_tT1_T2_PT3_SF_jT4_jjP12ihipStream_tbEUlT_E_NS1_11comp_targetILNS1_3genE9ELNS1_11target_archE1100ELNS1_3gpuE3ELNS1_3repE0EEENS1_52radix_sort_onesweep_histogram_config_static_selectorELNS0_4arch9wavefront6targetE0EEEvSD_,comdat
	.protected	_ZN7rocprim17ROCPRIM_400000_NS6detail17trampoline_kernelINS0_14default_configENS1_35radix_sort_onesweep_config_selectorIjNS0_10empty_typeEEEZNS1_34radix_sort_onesweep_global_offsetsIS3_Lb0EPKjPS5_mNS0_19identity_decomposerEEE10hipError_tT1_T2_PT3_SF_jT4_jjP12ihipStream_tbEUlT_E_NS1_11comp_targetILNS1_3genE9ELNS1_11target_archE1100ELNS1_3gpuE3ELNS1_3repE0EEENS1_52radix_sort_onesweep_histogram_config_static_selectorELNS0_4arch9wavefront6targetE0EEEvSD_ ; -- Begin function _ZN7rocprim17ROCPRIM_400000_NS6detail17trampoline_kernelINS0_14default_configENS1_35radix_sort_onesweep_config_selectorIjNS0_10empty_typeEEEZNS1_34radix_sort_onesweep_global_offsetsIS3_Lb0EPKjPS5_mNS0_19identity_decomposerEEE10hipError_tT1_T2_PT3_SF_jT4_jjP12ihipStream_tbEUlT_E_NS1_11comp_targetILNS1_3genE9ELNS1_11target_archE1100ELNS1_3gpuE3ELNS1_3repE0EEENS1_52radix_sort_onesweep_histogram_config_static_selectorELNS0_4arch9wavefront6targetE0EEEvSD_
	.globl	_ZN7rocprim17ROCPRIM_400000_NS6detail17trampoline_kernelINS0_14default_configENS1_35radix_sort_onesweep_config_selectorIjNS0_10empty_typeEEEZNS1_34radix_sort_onesweep_global_offsetsIS3_Lb0EPKjPS5_mNS0_19identity_decomposerEEE10hipError_tT1_T2_PT3_SF_jT4_jjP12ihipStream_tbEUlT_E_NS1_11comp_targetILNS1_3genE9ELNS1_11target_archE1100ELNS1_3gpuE3ELNS1_3repE0EEENS1_52radix_sort_onesweep_histogram_config_static_selectorELNS0_4arch9wavefront6targetE0EEEvSD_
	.p2align	8
	.type	_ZN7rocprim17ROCPRIM_400000_NS6detail17trampoline_kernelINS0_14default_configENS1_35radix_sort_onesweep_config_selectorIjNS0_10empty_typeEEEZNS1_34radix_sort_onesweep_global_offsetsIS3_Lb0EPKjPS5_mNS0_19identity_decomposerEEE10hipError_tT1_T2_PT3_SF_jT4_jjP12ihipStream_tbEUlT_E_NS1_11comp_targetILNS1_3genE9ELNS1_11target_archE1100ELNS1_3gpuE3ELNS1_3repE0EEENS1_52radix_sort_onesweep_histogram_config_static_selectorELNS0_4arch9wavefront6targetE0EEEvSD_,@function
_ZN7rocprim17ROCPRIM_400000_NS6detail17trampoline_kernelINS0_14default_configENS1_35radix_sort_onesweep_config_selectorIjNS0_10empty_typeEEEZNS1_34radix_sort_onesweep_global_offsetsIS3_Lb0EPKjPS5_mNS0_19identity_decomposerEEE10hipError_tT1_T2_PT3_SF_jT4_jjP12ihipStream_tbEUlT_E_NS1_11comp_targetILNS1_3genE9ELNS1_11target_archE1100ELNS1_3gpuE3ELNS1_3repE0EEENS1_52radix_sort_onesweep_histogram_config_static_selectorELNS0_4arch9wavefront6targetE0EEEvSD_: ; @_ZN7rocprim17ROCPRIM_400000_NS6detail17trampoline_kernelINS0_14default_configENS1_35radix_sort_onesweep_config_selectorIjNS0_10empty_typeEEEZNS1_34radix_sort_onesweep_global_offsetsIS3_Lb0EPKjPS5_mNS0_19identity_decomposerEEE10hipError_tT1_T2_PT3_SF_jT4_jjP12ihipStream_tbEUlT_E_NS1_11comp_targetILNS1_3genE9ELNS1_11target_archE1100ELNS1_3gpuE3ELNS1_3repE0EEENS1_52radix_sort_onesweep_histogram_config_static_selectorELNS0_4arch9wavefront6targetE0EEEvSD_
; %bb.0:
	.section	.rodata,"a",@progbits
	.p2align	6, 0x0
	.amdhsa_kernel _ZN7rocprim17ROCPRIM_400000_NS6detail17trampoline_kernelINS0_14default_configENS1_35radix_sort_onesweep_config_selectorIjNS0_10empty_typeEEEZNS1_34radix_sort_onesweep_global_offsetsIS3_Lb0EPKjPS5_mNS0_19identity_decomposerEEE10hipError_tT1_T2_PT3_SF_jT4_jjP12ihipStream_tbEUlT_E_NS1_11comp_targetILNS1_3genE9ELNS1_11target_archE1100ELNS1_3gpuE3ELNS1_3repE0EEENS1_52radix_sort_onesweep_histogram_config_static_selectorELNS0_4arch9wavefront6targetE0EEEvSD_
		.amdhsa_group_segment_fixed_size 0
		.amdhsa_private_segment_fixed_size 0
		.amdhsa_kernarg_size 48
		.amdhsa_user_sgpr_count 2
		.amdhsa_user_sgpr_dispatch_ptr 0
		.amdhsa_user_sgpr_queue_ptr 0
		.amdhsa_user_sgpr_kernarg_segment_ptr 1
		.amdhsa_user_sgpr_dispatch_id 0
		.amdhsa_user_sgpr_kernarg_preload_length 0
		.amdhsa_user_sgpr_kernarg_preload_offset 0
		.amdhsa_user_sgpr_private_segment_size 0
		.amdhsa_wavefront_size32 1
		.amdhsa_uses_dynamic_stack 0
		.amdhsa_enable_private_segment 0
		.amdhsa_system_sgpr_workgroup_id_x 1
		.amdhsa_system_sgpr_workgroup_id_y 0
		.amdhsa_system_sgpr_workgroup_id_z 0
		.amdhsa_system_sgpr_workgroup_info 0
		.amdhsa_system_vgpr_workitem_id 0
		.amdhsa_next_free_vgpr 1
		.amdhsa_next_free_sgpr 1
		.amdhsa_named_barrier_count 0
		.amdhsa_reserve_vcc 0
		.amdhsa_float_round_mode_32 0
		.amdhsa_float_round_mode_16_64 0
		.amdhsa_float_denorm_mode_32 3
		.amdhsa_float_denorm_mode_16_64 3
		.amdhsa_fp16_overflow 0
		.amdhsa_memory_ordered 1
		.amdhsa_forward_progress 1
		.amdhsa_inst_pref_size 0
		.amdhsa_round_robin_scheduling 0
		.amdhsa_exception_fp_ieee_invalid_op 0
		.amdhsa_exception_fp_denorm_src 0
		.amdhsa_exception_fp_ieee_div_zero 0
		.amdhsa_exception_fp_ieee_overflow 0
		.amdhsa_exception_fp_ieee_underflow 0
		.amdhsa_exception_fp_ieee_inexact 0
		.amdhsa_exception_int_div_zero 0
	.end_amdhsa_kernel
	.section	.text._ZN7rocprim17ROCPRIM_400000_NS6detail17trampoline_kernelINS0_14default_configENS1_35radix_sort_onesweep_config_selectorIjNS0_10empty_typeEEEZNS1_34radix_sort_onesweep_global_offsetsIS3_Lb0EPKjPS5_mNS0_19identity_decomposerEEE10hipError_tT1_T2_PT3_SF_jT4_jjP12ihipStream_tbEUlT_E_NS1_11comp_targetILNS1_3genE9ELNS1_11target_archE1100ELNS1_3gpuE3ELNS1_3repE0EEENS1_52radix_sort_onesweep_histogram_config_static_selectorELNS0_4arch9wavefront6targetE0EEEvSD_,"axG",@progbits,_ZN7rocprim17ROCPRIM_400000_NS6detail17trampoline_kernelINS0_14default_configENS1_35radix_sort_onesweep_config_selectorIjNS0_10empty_typeEEEZNS1_34radix_sort_onesweep_global_offsetsIS3_Lb0EPKjPS5_mNS0_19identity_decomposerEEE10hipError_tT1_T2_PT3_SF_jT4_jjP12ihipStream_tbEUlT_E_NS1_11comp_targetILNS1_3genE9ELNS1_11target_archE1100ELNS1_3gpuE3ELNS1_3repE0EEENS1_52radix_sort_onesweep_histogram_config_static_selectorELNS0_4arch9wavefront6targetE0EEEvSD_,comdat
.Lfunc_end2733:
	.size	_ZN7rocprim17ROCPRIM_400000_NS6detail17trampoline_kernelINS0_14default_configENS1_35radix_sort_onesweep_config_selectorIjNS0_10empty_typeEEEZNS1_34radix_sort_onesweep_global_offsetsIS3_Lb0EPKjPS5_mNS0_19identity_decomposerEEE10hipError_tT1_T2_PT3_SF_jT4_jjP12ihipStream_tbEUlT_E_NS1_11comp_targetILNS1_3genE9ELNS1_11target_archE1100ELNS1_3gpuE3ELNS1_3repE0EEENS1_52radix_sort_onesweep_histogram_config_static_selectorELNS0_4arch9wavefront6targetE0EEEvSD_, .Lfunc_end2733-_ZN7rocprim17ROCPRIM_400000_NS6detail17trampoline_kernelINS0_14default_configENS1_35radix_sort_onesweep_config_selectorIjNS0_10empty_typeEEEZNS1_34radix_sort_onesweep_global_offsetsIS3_Lb0EPKjPS5_mNS0_19identity_decomposerEEE10hipError_tT1_T2_PT3_SF_jT4_jjP12ihipStream_tbEUlT_E_NS1_11comp_targetILNS1_3genE9ELNS1_11target_archE1100ELNS1_3gpuE3ELNS1_3repE0EEENS1_52radix_sort_onesweep_histogram_config_static_selectorELNS0_4arch9wavefront6targetE0EEEvSD_
                                        ; -- End function
	.set _ZN7rocprim17ROCPRIM_400000_NS6detail17trampoline_kernelINS0_14default_configENS1_35radix_sort_onesweep_config_selectorIjNS0_10empty_typeEEEZNS1_34radix_sort_onesweep_global_offsetsIS3_Lb0EPKjPS5_mNS0_19identity_decomposerEEE10hipError_tT1_T2_PT3_SF_jT4_jjP12ihipStream_tbEUlT_E_NS1_11comp_targetILNS1_3genE9ELNS1_11target_archE1100ELNS1_3gpuE3ELNS1_3repE0EEENS1_52radix_sort_onesweep_histogram_config_static_selectorELNS0_4arch9wavefront6targetE0EEEvSD_.num_vgpr, 0
	.set _ZN7rocprim17ROCPRIM_400000_NS6detail17trampoline_kernelINS0_14default_configENS1_35radix_sort_onesweep_config_selectorIjNS0_10empty_typeEEEZNS1_34radix_sort_onesweep_global_offsetsIS3_Lb0EPKjPS5_mNS0_19identity_decomposerEEE10hipError_tT1_T2_PT3_SF_jT4_jjP12ihipStream_tbEUlT_E_NS1_11comp_targetILNS1_3genE9ELNS1_11target_archE1100ELNS1_3gpuE3ELNS1_3repE0EEENS1_52radix_sort_onesweep_histogram_config_static_selectorELNS0_4arch9wavefront6targetE0EEEvSD_.num_agpr, 0
	.set _ZN7rocprim17ROCPRIM_400000_NS6detail17trampoline_kernelINS0_14default_configENS1_35radix_sort_onesweep_config_selectorIjNS0_10empty_typeEEEZNS1_34radix_sort_onesweep_global_offsetsIS3_Lb0EPKjPS5_mNS0_19identity_decomposerEEE10hipError_tT1_T2_PT3_SF_jT4_jjP12ihipStream_tbEUlT_E_NS1_11comp_targetILNS1_3genE9ELNS1_11target_archE1100ELNS1_3gpuE3ELNS1_3repE0EEENS1_52radix_sort_onesweep_histogram_config_static_selectorELNS0_4arch9wavefront6targetE0EEEvSD_.numbered_sgpr, 0
	.set _ZN7rocprim17ROCPRIM_400000_NS6detail17trampoline_kernelINS0_14default_configENS1_35radix_sort_onesweep_config_selectorIjNS0_10empty_typeEEEZNS1_34radix_sort_onesweep_global_offsetsIS3_Lb0EPKjPS5_mNS0_19identity_decomposerEEE10hipError_tT1_T2_PT3_SF_jT4_jjP12ihipStream_tbEUlT_E_NS1_11comp_targetILNS1_3genE9ELNS1_11target_archE1100ELNS1_3gpuE3ELNS1_3repE0EEENS1_52radix_sort_onesweep_histogram_config_static_selectorELNS0_4arch9wavefront6targetE0EEEvSD_.num_named_barrier, 0
	.set _ZN7rocprim17ROCPRIM_400000_NS6detail17trampoline_kernelINS0_14default_configENS1_35radix_sort_onesweep_config_selectorIjNS0_10empty_typeEEEZNS1_34radix_sort_onesweep_global_offsetsIS3_Lb0EPKjPS5_mNS0_19identity_decomposerEEE10hipError_tT1_T2_PT3_SF_jT4_jjP12ihipStream_tbEUlT_E_NS1_11comp_targetILNS1_3genE9ELNS1_11target_archE1100ELNS1_3gpuE3ELNS1_3repE0EEENS1_52radix_sort_onesweep_histogram_config_static_selectorELNS0_4arch9wavefront6targetE0EEEvSD_.private_seg_size, 0
	.set _ZN7rocprim17ROCPRIM_400000_NS6detail17trampoline_kernelINS0_14default_configENS1_35radix_sort_onesweep_config_selectorIjNS0_10empty_typeEEEZNS1_34radix_sort_onesweep_global_offsetsIS3_Lb0EPKjPS5_mNS0_19identity_decomposerEEE10hipError_tT1_T2_PT3_SF_jT4_jjP12ihipStream_tbEUlT_E_NS1_11comp_targetILNS1_3genE9ELNS1_11target_archE1100ELNS1_3gpuE3ELNS1_3repE0EEENS1_52radix_sort_onesweep_histogram_config_static_selectorELNS0_4arch9wavefront6targetE0EEEvSD_.uses_vcc, 0
	.set _ZN7rocprim17ROCPRIM_400000_NS6detail17trampoline_kernelINS0_14default_configENS1_35radix_sort_onesweep_config_selectorIjNS0_10empty_typeEEEZNS1_34radix_sort_onesweep_global_offsetsIS3_Lb0EPKjPS5_mNS0_19identity_decomposerEEE10hipError_tT1_T2_PT3_SF_jT4_jjP12ihipStream_tbEUlT_E_NS1_11comp_targetILNS1_3genE9ELNS1_11target_archE1100ELNS1_3gpuE3ELNS1_3repE0EEENS1_52radix_sort_onesweep_histogram_config_static_selectorELNS0_4arch9wavefront6targetE0EEEvSD_.uses_flat_scratch, 0
	.set _ZN7rocprim17ROCPRIM_400000_NS6detail17trampoline_kernelINS0_14default_configENS1_35radix_sort_onesweep_config_selectorIjNS0_10empty_typeEEEZNS1_34radix_sort_onesweep_global_offsetsIS3_Lb0EPKjPS5_mNS0_19identity_decomposerEEE10hipError_tT1_T2_PT3_SF_jT4_jjP12ihipStream_tbEUlT_E_NS1_11comp_targetILNS1_3genE9ELNS1_11target_archE1100ELNS1_3gpuE3ELNS1_3repE0EEENS1_52radix_sort_onesweep_histogram_config_static_selectorELNS0_4arch9wavefront6targetE0EEEvSD_.has_dyn_sized_stack, 0
	.set _ZN7rocprim17ROCPRIM_400000_NS6detail17trampoline_kernelINS0_14default_configENS1_35radix_sort_onesweep_config_selectorIjNS0_10empty_typeEEEZNS1_34radix_sort_onesweep_global_offsetsIS3_Lb0EPKjPS5_mNS0_19identity_decomposerEEE10hipError_tT1_T2_PT3_SF_jT4_jjP12ihipStream_tbEUlT_E_NS1_11comp_targetILNS1_3genE9ELNS1_11target_archE1100ELNS1_3gpuE3ELNS1_3repE0EEENS1_52radix_sort_onesweep_histogram_config_static_selectorELNS0_4arch9wavefront6targetE0EEEvSD_.has_recursion, 0
	.set _ZN7rocprim17ROCPRIM_400000_NS6detail17trampoline_kernelINS0_14default_configENS1_35radix_sort_onesweep_config_selectorIjNS0_10empty_typeEEEZNS1_34radix_sort_onesweep_global_offsetsIS3_Lb0EPKjPS5_mNS0_19identity_decomposerEEE10hipError_tT1_T2_PT3_SF_jT4_jjP12ihipStream_tbEUlT_E_NS1_11comp_targetILNS1_3genE9ELNS1_11target_archE1100ELNS1_3gpuE3ELNS1_3repE0EEENS1_52radix_sort_onesweep_histogram_config_static_selectorELNS0_4arch9wavefront6targetE0EEEvSD_.has_indirect_call, 0
	.section	.AMDGPU.csdata,"",@progbits
; Kernel info:
; codeLenInByte = 0
; TotalNumSgprs: 0
; NumVgprs: 0
; ScratchSize: 0
; MemoryBound: 0
; FloatMode: 240
; IeeeMode: 1
; LDSByteSize: 0 bytes/workgroup (compile time only)
; SGPRBlocks: 0
; VGPRBlocks: 0
; NumSGPRsForWavesPerEU: 1
; NumVGPRsForWavesPerEU: 1
; NamedBarCnt: 0
; Occupancy: 16
; WaveLimiterHint : 0
; COMPUTE_PGM_RSRC2:SCRATCH_EN: 0
; COMPUTE_PGM_RSRC2:USER_SGPR: 2
; COMPUTE_PGM_RSRC2:TRAP_HANDLER: 0
; COMPUTE_PGM_RSRC2:TGID_X_EN: 1
; COMPUTE_PGM_RSRC2:TGID_Y_EN: 0
; COMPUTE_PGM_RSRC2:TGID_Z_EN: 0
; COMPUTE_PGM_RSRC2:TIDIG_COMP_CNT: 0
	.section	.text._ZN7rocprim17ROCPRIM_400000_NS6detail17trampoline_kernelINS0_14default_configENS1_35radix_sort_onesweep_config_selectorIjNS0_10empty_typeEEEZNS1_34radix_sort_onesweep_global_offsetsIS3_Lb0EPKjPS5_mNS0_19identity_decomposerEEE10hipError_tT1_T2_PT3_SF_jT4_jjP12ihipStream_tbEUlT_E_NS1_11comp_targetILNS1_3genE8ELNS1_11target_archE1030ELNS1_3gpuE2ELNS1_3repE0EEENS1_52radix_sort_onesweep_histogram_config_static_selectorELNS0_4arch9wavefront6targetE0EEEvSD_,"axG",@progbits,_ZN7rocprim17ROCPRIM_400000_NS6detail17trampoline_kernelINS0_14default_configENS1_35radix_sort_onesweep_config_selectorIjNS0_10empty_typeEEEZNS1_34radix_sort_onesweep_global_offsetsIS3_Lb0EPKjPS5_mNS0_19identity_decomposerEEE10hipError_tT1_T2_PT3_SF_jT4_jjP12ihipStream_tbEUlT_E_NS1_11comp_targetILNS1_3genE8ELNS1_11target_archE1030ELNS1_3gpuE2ELNS1_3repE0EEENS1_52radix_sort_onesweep_histogram_config_static_selectorELNS0_4arch9wavefront6targetE0EEEvSD_,comdat
	.protected	_ZN7rocprim17ROCPRIM_400000_NS6detail17trampoline_kernelINS0_14default_configENS1_35radix_sort_onesweep_config_selectorIjNS0_10empty_typeEEEZNS1_34radix_sort_onesweep_global_offsetsIS3_Lb0EPKjPS5_mNS0_19identity_decomposerEEE10hipError_tT1_T2_PT3_SF_jT4_jjP12ihipStream_tbEUlT_E_NS1_11comp_targetILNS1_3genE8ELNS1_11target_archE1030ELNS1_3gpuE2ELNS1_3repE0EEENS1_52radix_sort_onesweep_histogram_config_static_selectorELNS0_4arch9wavefront6targetE0EEEvSD_ ; -- Begin function _ZN7rocprim17ROCPRIM_400000_NS6detail17trampoline_kernelINS0_14default_configENS1_35radix_sort_onesweep_config_selectorIjNS0_10empty_typeEEEZNS1_34radix_sort_onesweep_global_offsetsIS3_Lb0EPKjPS5_mNS0_19identity_decomposerEEE10hipError_tT1_T2_PT3_SF_jT4_jjP12ihipStream_tbEUlT_E_NS1_11comp_targetILNS1_3genE8ELNS1_11target_archE1030ELNS1_3gpuE2ELNS1_3repE0EEENS1_52radix_sort_onesweep_histogram_config_static_selectorELNS0_4arch9wavefront6targetE0EEEvSD_
	.globl	_ZN7rocprim17ROCPRIM_400000_NS6detail17trampoline_kernelINS0_14default_configENS1_35radix_sort_onesweep_config_selectorIjNS0_10empty_typeEEEZNS1_34radix_sort_onesweep_global_offsetsIS3_Lb0EPKjPS5_mNS0_19identity_decomposerEEE10hipError_tT1_T2_PT3_SF_jT4_jjP12ihipStream_tbEUlT_E_NS1_11comp_targetILNS1_3genE8ELNS1_11target_archE1030ELNS1_3gpuE2ELNS1_3repE0EEENS1_52radix_sort_onesweep_histogram_config_static_selectorELNS0_4arch9wavefront6targetE0EEEvSD_
	.p2align	8
	.type	_ZN7rocprim17ROCPRIM_400000_NS6detail17trampoline_kernelINS0_14default_configENS1_35radix_sort_onesweep_config_selectorIjNS0_10empty_typeEEEZNS1_34radix_sort_onesweep_global_offsetsIS3_Lb0EPKjPS5_mNS0_19identity_decomposerEEE10hipError_tT1_T2_PT3_SF_jT4_jjP12ihipStream_tbEUlT_E_NS1_11comp_targetILNS1_3genE8ELNS1_11target_archE1030ELNS1_3gpuE2ELNS1_3repE0EEENS1_52radix_sort_onesweep_histogram_config_static_selectorELNS0_4arch9wavefront6targetE0EEEvSD_,@function
_ZN7rocprim17ROCPRIM_400000_NS6detail17trampoline_kernelINS0_14default_configENS1_35radix_sort_onesweep_config_selectorIjNS0_10empty_typeEEEZNS1_34radix_sort_onesweep_global_offsetsIS3_Lb0EPKjPS5_mNS0_19identity_decomposerEEE10hipError_tT1_T2_PT3_SF_jT4_jjP12ihipStream_tbEUlT_E_NS1_11comp_targetILNS1_3genE8ELNS1_11target_archE1030ELNS1_3gpuE2ELNS1_3repE0EEENS1_52radix_sort_onesweep_histogram_config_static_selectorELNS0_4arch9wavefront6targetE0EEEvSD_: ; @_ZN7rocprim17ROCPRIM_400000_NS6detail17trampoline_kernelINS0_14default_configENS1_35radix_sort_onesweep_config_selectorIjNS0_10empty_typeEEEZNS1_34radix_sort_onesweep_global_offsetsIS3_Lb0EPKjPS5_mNS0_19identity_decomposerEEE10hipError_tT1_T2_PT3_SF_jT4_jjP12ihipStream_tbEUlT_E_NS1_11comp_targetILNS1_3genE8ELNS1_11target_archE1030ELNS1_3gpuE2ELNS1_3repE0EEENS1_52radix_sort_onesweep_histogram_config_static_selectorELNS0_4arch9wavefront6targetE0EEEvSD_
; %bb.0:
	.section	.rodata,"a",@progbits
	.p2align	6, 0x0
	.amdhsa_kernel _ZN7rocprim17ROCPRIM_400000_NS6detail17trampoline_kernelINS0_14default_configENS1_35radix_sort_onesweep_config_selectorIjNS0_10empty_typeEEEZNS1_34radix_sort_onesweep_global_offsetsIS3_Lb0EPKjPS5_mNS0_19identity_decomposerEEE10hipError_tT1_T2_PT3_SF_jT4_jjP12ihipStream_tbEUlT_E_NS1_11comp_targetILNS1_3genE8ELNS1_11target_archE1030ELNS1_3gpuE2ELNS1_3repE0EEENS1_52radix_sort_onesweep_histogram_config_static_selectorELNS0_4arch9wavefront6targetE0EEEvSD_
		.amdhsa_group_segment_fixed_size 0
		.amdhsa_private_segment_fixed_size 0
		.amdhsa_kernarg_size 48
		.amdhsa_user_sgpr_count 2
		.amdhsa_user_sgpr_dispatch_ptr 0
		.amdhsa_user_sgpr_queue_ptr 0
		.amdhsa_user_sgpr_kernarg_segment_ptr 1
		.amdhsa_user_sgpr_dispatch_id 0
		.amdhsa_user_sgpr_kernarg_preload_length 0
		.amdhsa_user_sgpr_kernarg_preload_offset 0
		.amdhsa_user_sgpr_private_segment_size 0
		.amdhsa_wavefront_size32 1
		.amdhsa_uses_dynamic_stack 0
		.amdhsa_enable_private_segment 0
		.amdhsa_system_sgpr_workgroup_id_x 1
		.amdhsa_system_sgpr_workgroup_id_y 0
		.amdhsa_system_sgpr_workgroup_id_z 0
		.amdhsa_system_sgpr_workgroup_info 0
		.amdhsa_system_vgpr_workitem_id 0
		.amdhsa_next_free_vgpr 1
		.amdhsa_next_free_sgpr 1
		.amdhsa_named_barrier_count 0
		.amdhsa_reserve_vcc 0
		.amdhsa_float_round_mode_32 0
		.amdhsa_float_round_mode_16_64 0
		.amdhsa_float_denorm_mode_32 3
		.amdhsa_float_denorm_mode_16_64 3
		.amdhsa_fp16_overflow 0
		.amdhsa_memory_ordered 1
		.amdhsa_forward_progress 1
		.amdhsa_inst_pref_size 0
		.amdhsa_round_robin_scheduling 0
		.amdhsa_exception_fp_ieee_invalid_op 0
		.amdhsa_exception_fp_denorm_src 0
		.amdhsa_exception_fp_ieee_div_zero 0
		.amdhsa_exception_fp_ieee_overflow 0
		.amdhsa_exception_fp_ieee_underflow 0
		.amdhsa_exception_fp_ieee_inexact 0
		.amdhsa_exception_int_div_zero 0
	.end_amdhsa_kernel
	.section	.text._ZN7rocprim17ROCPRIM_400000_NS6detail17trampoline_kernelINS0_14default_configENS1_35radix_sort_onesweep_config_selectorIjNS0_10empty_typeEEEZNS1_34radix_sort_onesweep_global_offsetsIS3_Lb0EPKjPS5_mNS0_19identity_decomposerEEE10hipError_tT1_T2_PT3_SF_jT4_jjP12ihipStream_tbEUlT_E_NS1_11comp_targetILNS1_3genE8ELNS1_11target_archE1030ELNS1_3gpuE2ELNS1_3repE0EEENS1_52radix_sort_onesweep_histogram_config_static_selectorELNS0_4arch9wavefront6targetE0EEEvSD_,"axG",@progbits,_ZN7rocprim17ROCPRIM_400000_NS6detail17trampoline_kernelINS0_14default_configENS1_35radix_sort_onesweep_config_selectorIjNS0_10empty_typeEEEZNS1_34radix_sort_onesweep_global_offsetsIS3_Lb0EPKjPS5_mNS0_19identity_decomposerEEE10hipError_tT1_T2_PT3_SF_jT4_jjP12ihipStream_tbEUlT_E_NS1_11comp_targetILNS1_3genE8ELNS1_11target_archE1030ELNS1_3gpuE2ELNS1_3repE0EEENS1_52radix_sort_onesweep_histogram_config_static_selectorELNS0_4arch9wavefront6targetE0EEEvSD_,comdat
.Lfunc_end2734:
	.size	_ZN7rocprim17ROCPRIM_400000_NS6detail17trampoline_kernelINS0_14default_configENS1_35radix_sort_onesweep_config_selectorIjNS0_10empty_typeEEEZNS1_34radix_sort_onesweep_global_offsetsIS3_Lb0EPKjPS5_mNS0_19identity_decomposerEEE10hipError_tT1_T2_PT3_SF_jT4_jjP12ihipStream_tbEUlT_E_NS1_11comp_targetILNS1_3genE8ELNS1_11target_archE1030ELNS1_3gpuE2ELNS1_3repE0EEENS1_52radix_sort_onesweep_histogram_config_static_selectorELNS0_4arch9wavefront6targetE0EEEvSD_, .Lfunc_end2734-_ZN7rocprim17ROCPRIM_400000_NS6detail17trampoline_kernelINS0_14default_configENS1_35radix_sort_onesweep_config_selectorIjNS0_10empty_typeEEEZNS1_34radix_sort_onesweep_global_offsetsIS3_Lb0EPKjPS5_mNS0_19identity_decomposerEEE10hipError_tT1_T2_PT3_SF_jT4_jjP12ihipStream_tbEUlT_E_NS1_11comp_targetILNS1_3genE8ELNS1_11target_archE1030ELNS1_3gpuE2ELNS1_3repE0EEENS1_52radix_sort_onesweep_histogram_config_static_selectorELNS0_4arch9wavefront6targetE0EEEvSD_
                                        ; -- End function
	.set _ZN7rocprim17ROCPRIM_400000_NS6detail17trampoline_kernelINS0_14default_configENS1_35radix_sort_onesweep_config_selectorIjNS0_10empty_typeEEEZNS1_34radix_sort_onesweep_global_offsetsIS3_Lb0EPKjPS5_mNS0_19identity_decomposerEEE10hipError_tT1_T2_PT3_SF_jT4_jjP12ihipStream_tbEUlT_E_NS1_11comp_targetILNS1_3genE8ELNS1_11target_archE1030ELNS1_3gpuE2ELNS1_3repE0EEENS1_52radix_sort_onesweep_histogram_config_static_selectorELNS0_4arch9wavefront6targetE0EEEvSD_.num_vgpr, 0
	.set _ZN7rocprim17ROCPRIM_400000_NS6detail17trampoline_kernelINS0_14default_configENS1_35radix_sort_onesweep_config_selectorIjNS0_10empty_typeEEEZNS1_34radix_sort_onesweep_global_offsetsIS3_Lb0EPKjPS5_mNS0_19identity_decomposerEEE10hipError_tT1_T2_PT3_SF_jT4_jjP12ihipStream_tbEUlT_E_NS1_11comp_targetILNS1_3genE8ELNS1_11target_archE1030ELNS1_3gpuE2ELNS1_3repE0EEENS1_52radix_sort_onesweep_histogram_config_static_selectorELNS0_4arch9wavefront6targetE0EEEvSD_.num_agpr, 0
	.set _ZN7rocprim17ROCPRIM_400000_NS6detail17trampoline_kernelINS0_14default_configENS1_35radix_sort_onesweep_config_selectorIjNS0_10empty_typeEEEZNS1_34radix_sort_onesweep_global_offsetsIS3_Lb0EPKjPS5_mNS0_19identity_decomposerEEE10hipError_tT1_T2_PT3_SF_jT4_jjP12ihipStream_tbEUlT_E_NS1_11comp_targetILNS1_3genE8ELNS1_11target_archE1030ELNS1_3gpuE2ELNS1_3repE0EEENS1_52radix_sort_onesweep_histogram_config_static_selectorELNS0_4arch9wavefront6targetE0EEEvSD_.numbered_sgpr, 0
	.set _ZN7rocprim17ROCPRIM_400000_NS6detail17trampoline_kernelINS0_14default_configENS1_35radix_sort_onesweep_config_selectorIjNS0_10empty_typeEEEZNS1_34radix_sort_onesweep_global_offsetsIS3_Lb0EPKjPS5_mNS0_19identity_decomposerEEE10hipError_tT1_T2_PT3_SF_jT4_jjP12ihipStream_tbEUlT_E_NS1_11comp_targetILNS1_3genE8ELNS1_11target_archE1030ELNS1_3gpuE2ELNS1_3repE0EEENS1_52radix_sort_onesweep_histogram_config_static_selectorELNS0_4arch9wavefront6targetE0EEEvSD_.num_named_barrier, 0
	.set _ZN7rocprim17ROCPRIM_400000_NS6detail17trampoline_kernelINS0_14default_configENS1_35radix_sort_onesweep_config_selectorIjNS0_10empty_typeEEEZNS1_34radix_sort_onesweep_global_offsetsIS3_Lb0EPKjPS5_mNS0_19identity_decomposerEEE10hipError_tT1_T2_PT3_SF_jT4_jjP12ihipStream_tbEUlT_E_NS1_11comp_targetILNS1_3genE8ELNS1_11target_archE1030ELNS1_3gpuE2ELNS1_3repE0EEENS1_52radix_sort_onesweep_histogram_config_static_selectorELNS0_4arch9wavefront6targetE0EEEvSD_.private_seg_size, 0
	.set _ZN7rocprim17ROCPRIM_400000_NS6detail17trampoline_kernelINS0_14default_configENS1_35radix_sort_onesweep_config_selectorIjNS0_10empty_typeEEEZNS1_34radix_sort_onesweep_global_offsetsIS3_Lb0EPKjPS5_mNS0_19identity_decomposerEEE10hipError_tT1_T2_PT3_SF_jT4_jjP12ihipStream_tbEUlT_E_NS1_11comp_targetILNS1_3genE8ELNS1_11target_archE1030ELNS1_3gpuE2ELNS1_3repE0EEENS1_52radix_sort_onesweep_histogram_config_static_selectorELNS0_4arch9wavefront6targetE0EEEvSD_.uses_vcc, 0
	.set _ZN7rocprim17ROCPRIM_400000_NS6detail17trampoline_kernelINS0_14default_configENS1_35radix_sort_onesweep_config_selectorIjNS0_10empty_typeEEEZNS1_34radix_sort_onesweep_global_offsetsIS3_Lb0EPKjPS5_mNS0_19identity_decomposerEEE10hipError_tT1_T2_PT3_SF_jT4_jjP12ihipStream_tbEUlT_E_NS1_11comp_targetILNS1_3genE8ELNS1_11target_archE1030ELNS1_3gpuE2ELNS1_3repE0EEENS1_52radix_sort_onesweep_histogram_config_static_selectorELNS0_4arch9wavefront6targetE0EEEvSD_.uses_flat_scratch, 0
	.set _ZN7rocprim17ROCPRIM_400000_NS6detail17trampoline_kernelINS0_14default_configENS1_35radix_sort_onesweep_config_selectorIjNS0_10empty_typeEEEZNS1_34radix_sort_onesweep_global_offsetsIS3_Lb0EPKjPS5_mNS0_19identity_decomposerEEE10hipError_tT1_T2_PT3_SF_jT4_jjP12ihipStream_tbEUlT_E_NS1_11comp_targetILNS1_3genE8ELNS1_11target_archE1030ELNS1_3gpuE2ELNS1_3repE0EEENS1_52radix_sort_onesweep_histogram_config_static_selectorELNS0_4arch9wavefront6targetE0EEEvSD_.has_dyn_sized_stack, 0
	.set _ZN7rocprim17ROCPRIM_400000_NS6detail17trampoline_kernelINS0_14default_configENS1_35radix_sort_onesweep_config_selectorIjNS0_10empty_typeEEEZNS1_34radix_sort_onesweep_global_offsetsIS3_Lb0EPKjPS5_mNS0_19identity_decomposerEEE10hipError_tT1_T2_PT3_SF_jT4_jjP12ihipStream_tbEUlT_E_NS1_11comp_targetILNS1_3genE8ELNS1_11target_archE1030ELNS1_3gpuE2ELNS1_3repE0EEENS1_52radix_sort_onesweep_histogram_config_static_selectorELNS0_4arch9wavefront6targetE0EEEvSD_.has_recursion, 0
	.set _ZN7rocprim17ROCPRIM_400000_NS6detail17trampoline_kernelINS0_14default_configENS1_35radix_sort_onesweep_config_selectorIjNS0_10empty_typeEEEZNS1_34radix_sort_onesweep_global_offsetsIS3_Lb0EPKjPS5_mNS0_19identity_decomposerEEE10hipError_tT1_T2_PT3_SF_jT4_jjP12ihipStream_tbEUlT_E_NS1_11comp_targetILNS1_3genE8ELNS1_11target_archE1030ELNS1_3gpuE2ELNS1_3repE0EEENS1_52radix_sort_onesweep_histogram_config_static_selectorELNS0_4arch9wavefront6targetE0EEEvSD_.has_indirect_call, 0
	.section	.AMDGPU.csdata,"",@progbits
; Kernel info:
; codeLenInByte = 0
; TotalNumSgprs: 0
; NumVgprs: 0
; ScratchSize: 0
; MemoryBound: 0
; FloatMode: 240
; IeeeMode: 1
; LDSByteSize: 0 bytes/workgroup (compile time only)
; SGPRBlocks: 0
; VGPRBlocks: 0
; NumSGPRsForWavesPerEU: 1
; NumVGPRsForWavesPerEU: 1
; NamedBarCnt: 0
; Occupancy: 16
; WaveLimiterHint : 0
; COMPUTE_PGM_RSRC2:SCRATCH_EN: 0
; COMPUTE_PGM_RSRC2:USER_SGPR: 2
; COMPUTE_PGM_RSRC2:TRAP_HANDLER: 0
; COMPUTE_PGM_RSRC2:TGID_X_EN: 1
; COMPUTE_PGM_RSRC2:TGID_Y_EN: 0
; COMPUTE_PGM_RSRC2:TGID_Z_EN: 0
; COMPUTE_PGM_RSRC2:TIDIG_COMP_CNT: 0
	.section	.text._ZN7rocprim17ROCPRIM_400000_NS6detail17trampoline_kernelINS0_14default_configENS1_35radix_sort_onesweep_config_selectorIjNS0_10empty_typeEEEZNS1_34radix_sort_onesweep_global_offsetsIS3_Lb0EPKjPS5_mNS0_19identity_decomposerEEE10hipError_tT1_T2_PT3_SF_jT4_jjP12ihipStream_tbEUlT_E0_NS1_11comp_targetILNS1_3genE0ELNS1_11target_archE4294967295ELNS1_3gpuE0ELNS1_3repE0EEENS1_52radix_sort_onesweep_histogram_config_static_selectorELNS0_4arch9wavefront6targetE0EEEvSD_,"axG",@progbits,_ZN7rocprim17ROCPRIM_400000_NS6detail17trampoline_kernelINS0_14default_configENS1_35radix_sort_onesweep_config_selectorIjNS0_10empty_typeEEEZNS1_34radix_sort_onesweep_global_offsetsIS3_Lb0EPKjPS5_mNS0_19identity_decomposerEEE10hipError_tT1_T2_PT3_SF_jT4_jjP12ihipStream_tbEUlT_E0_NS1_11comp_targetILNS1_3genE0ELNS1_11target_archE4294967295ELNS1_3gpuE0ELNS1_3repE0EEENS1_52radix_sort_onesweep_histogram_config_static_selectorELNS0_4arch9wavefront6targetE0EEEvSD_,comdat
	.protected	_ZN7rocprim17ROCPRIM_400000_NS6detail17trampoline_kernelINS0_14default_configENS1_35radix_sort_onesweep_config_selectorIjNS0_10empty_typeEEEZNS1_34radix_sort_onesweep_global_offsetsIS3_Lb0EPKjPS5_mNS0_19identity_decomposerEEE10hipError_tT1_T2_PT3_SF_jT4_jjP12ihipStream_tbEUlT_E0_NS1_11comp_targetILNS1_3genE0ELNS1_11target_archE4294967295ELNS1_3gpuE0ELNS1_3repE0EEENS1_52radix_sort_onesweep_histogram_config_static_selectorELNS0_4arch9wavefront6targetE0EEEvSD_ ; -- Begin function _ZN7rocprim17ROCPRIM_400000_NS6detail17trampoline_kernelINS0_14default_configENS1_35radix_sort_onesweep_config_selectorIjNS0_10empty_typeEEEZNS1_34radix_sort_onesweep_global_offsetsIS3_Lb0EPKjPS5_mNS0_19identity_decomposerEEE10hipError_tT1_T2_PT3_SF_jT4_jjP12ihipStream_tbEUlT_E0_NS1_11comp_targetILNS1_3genE0ELNS1_11target_archE4294967295ELNS1_3gpuE0ELNS1_3repE0EEENS1_52radix_sort_onesweep_histogram_config_static_selectorELNS0_4arch9wavefront6targetE0EEEvSD_
	.globl	_ZN7rocprim17ROCPRIM_400000_NS6detail17trampoline_kernelINS0_14default_configENS1_35radix_sort_onesweep_config_selectorIjNS0_10empty_typeEEEZNS1_34radix_sort_onesweep_global_offsetsIS3_Lb0EPKjPS5_mNS0_19identity_decomposerEEE10hipError_tT1_T2_PT3_SF_jT4_jjP12ihipStream_tbEUlT_E0_NS1_11comp_targetILNS1_3genE0ELNS1_11target_archE4294967295ELNS1_3gpuE0ELNS1_3repE0EEENS1_52radix_sort_onesweep_histogram_config_static_selectorELNS0_4arch9wavefront6targetE0EEEvSD_
	.p2align	8
	.type	_ZN7rocprim17ROCPRIM_400000_NS6detail17trampoline_kernelINS0_14default_configENS1_35radix_sort_onesweep_config_selectorIjNS0_10empty_typeEEEZNS1_34radix_sort_onesweep_global_offsetsIS3_Lb0EPKjPS5_mNS0_19identity_decomposerEEE10hipError_tT1_T2_PT3_SF_jT4_jjP12ihipStream_tbEUlT_E0_NS1_11comp_targetILNS1_3genE0ELNS1_11target_archE4294967295ELNS1_3gpuE0ELNS1_3repE0EEENS1_52radix_sort_onesweep_histogram_config_static_selectorELNS0_4arch9wavefront6targetE0EEEvSD_,@function
_ZN7rocprim17ROCPRIM_400000_NS6detail17trampoline_kernelINS0_14default_configENS1_35radix_sort_onesweep_config_selectorIjNS0_10empty_typeEEEZNS1_34radix_sort_onesweep_global_offsetsIS3_Lb0EPKjPS5_mNS0_19identity_decomposerEEE10hipError_tT1_T2_PT3_SF_jT4_jjP12ihipStream_tbEUlT_E0_NS1_11comp_targetILNS1_3genE0ELNS1_11target_archE4294967295ELNS1_3gpuE0ELNS1_3repE0EEENS1_52radix_sort_onesweep_histogram_config_static_selectorELNS0_4arch9wavefront6targetE0EEEvSD_: ; @_ZN7rocprim17ROCPRIM_400000_NS6detail17trampoline_kernelINS0_14default_configENS1_35radix_sort_onesweep_config_selectorIjNS0_10empty_typeEEEZNS1_34radix_sort_onesweep_global_offsetsIS3_Lb0EPKjPS5_mNS0_19identity_decomposerEEE10hipError_tT1_T2_PT3_SF_jT4_jjP12ihipStream_tbEUlT_E0_NS1_11comp_targetILNS1_3genE0ELNS1_11target_archE4294967295ELNS1_3gpuE0ELNS1_3repE0EEENS1_52radix_sort_onesweep_histogram_config_static_selectorELNS0_4arch9wavefront6targetE0EEEvSD_
; %bb.0:
	s_load_b64 s[0:1], s[0:1], 0x0
	s_bfe_u32 s2, ttmp6, 0x4000c
	s_and_b32 s3, ttmp6, 15
	s_add_co_i32 s2, s2, 1
	s_getreg_b32 s4, hwreg(HW_REG_IB_STS2, 6, 4)
	s_mul_i32 s2, ttmp9, s2
	v_cmp_gt_u32_e32 vcc_lo, 0x100, v0
	s_add_co_i32 s3, s3, s2
	s_cmp_eq_u32 s4, 0
                                        ; implicit-def: $vgpr2_vgpr3
	s_cselect_b32 s2, ttmp9, s3
	s_mov_b32 s3, 0
	s_lshl_b32 s2, s2, 8
	s_delay_alu instid0(SALU_CYCLE_1)
	s_lshl_b64 s[2:3], s[2:3], 3
	s_wait_kmcnt 0x0
	s_add_nc_u64 s[6:7], s[0:1], s[2:3]
	s_and_saveexec_b32 s0, vcc_lo
	s_cbranch_execz .LBB2735_2
; %bb.1:
	global_load_b64 v[2:3], v0, s[6:7] scale_offset
.LBB2735_2:
	s_wait_xcnt 0x0
	s_or_b32 exec_lo, exec_lo, s0
	v_mbcnt_lo_u32_b32 v1, -1, 0
	s_wait_loadcnt 0x0
	v_mov_b32_dpp v6, v2 row_shr:1 row_mask:0xf bank_mask:0xf
	v_mov_b32_dpp v9, v3 row_shr:1 row_mask:0xf bank_mask:0xf
	s_delay_alu instid0(VALU_DEP_3) | instskip(NEXT) | instid1(VALU_DEP_1)
	v_dual_mov_b32 v4, v2 :: v_dual_bitop2_b32 v10, 15, v1 bitop3:0x40
	v_cmp_ne_u32_e64 s0, 0, v10
	s_and_saveexec_b32 s1, s0
; %bb.3:
	v_mov_b32_e32 v8, 0
	s_delay_alu instid0(VALU_DEP_1) | instskip(NEXT) | instid1(VALU_DEP_1)
	v_mov_b32_e32 v7, v8
	v_add_nc_u64_e32 v[4:5], v[2:3], v[6:7]
	s_delay_alu instid0(VALU_DEP_1)
	v_add_nc_u64_e32 v[2:3], v[8:9], v[4:5]
; %bb.4:
	s_or_b32 exec_lo, exec_lo, s1
	v_mov_b32_dpp v6, v4 row_shr:2 row_mask:0xf bank_mask:0xf
	s_delay_alu instid0(VALU_DEP_2)
	v_mov_b32_dpp v9, v3 row_shr:2 row_mask:0xf bank_mask:0xf
	v_cmp_lt_u32_e64 s1, 1, v10
	s_and_saveexec_b32 s2, s1
; %bb.5:
	v_mov_b32_e32 v8, 0
	s_delay_alu instid0(VALU_DEP_1) | instskip(NEXT) | instid1(VALU_DEP_1)
	v_mov_b32_e32 v7, v8
	v_add_nc_u64_e32 v[4:5], v[2:3], v[6:7]
	s_delay_alu instid0(VALU_DEP_1)
	v_add_nc_u64_e32 v[2:3], v[8:9], v[4:5]
; %bb.6:
	s_or_b32 exec_lo, exec_lo, s2
	v_mov_b32_dpp v6, v4 row_shr:4 row_mask:0xf bank_mask:0xf
	s_delay_alu instid0(VALU_DEP_2)
	v_mov_b32_dpp v9, v3 row_shr:4 row_mask:0xf bank_mask:0xf
	v_cmp_lt_u32_e64 s2, 3, v10
	;; [unrolled: 14-line block ×3, first 2 shown]
	s_and_saveexec_b32 s4, s3
; %bb.9:
	v_mov_b32_e32 v8, 0
	s_delay_alu instid0(VALU_DEP_1) | instskip(NEXT) | instid1(VALU_DEP_1)
	v_mov_b32_e32 v7, v8
	v_add_nc_u64_e32 v[4:5], v[2:3], v[6:7]
	s_delay_alu instid0(VALU_DEP_1)
	v_add_nc_u64_e32 v[2:3], v[8:9], v[4:5]
; %bb.10:
	s_or_b32 exec_lo, exec_lo, s4
	ds_swizzle_b32 v4, v4 offset:swizzle(BROADCAST,32,15)
	ds_swizzle_b32 v7, v3 offset:swizzle(BROADCAST,32,15)
	v_and_b32_e32 v5, 16, v1
	s_mov_b32 s5, exec_lo
	s_delay_alu instid0(VALU_DEP_1)
	v_cmpx_ne_u32_e32 0, v5
	s_cbranch_execz .LBB2735_12
; %bb.11:
	v_mov_b32_e32 v6, 0
	s_delay_alu instid0(VALU_DEP_1) | instskip(SKIP_1) | instid1(VALU_DEP_1)
	v_mov_b32_e32 v5, v6
	s_wait_dscnt 0x1
	v_add_nc_u64_e32 v[2:3], v[2:3], v[4:5]
	s_wait_dscnt 0x0
	s_delay_alu instid0(VALU_DEP_1)
	v_add_nc_u64_e32 v[2:3], v[2:3], v[6:7]
.LBB2735_12:
	s_or_b32 exec_lo, exec_lo, s5
	s_wait_dscnt 0x1
	v_dual_lshrrev_b32 v12, 5, v0 :: v_dual_bitop2_b32 v4, 31, v0 bitop3:0x54
	s_mov_b32 s5, exec_lo
	s_delay_alu instid0(VALU_DEP_1)
	v_cmpx_eq_u32_e64 v0, v4
; %bb.13:
	s_delay_alu instid0(VALU_DEP_2)
	v_lshlrev_b32_e32 v4, 3, v12
	ds_store_b64 v4, v[2:3]
; %bb.14:
	s_or_b32 exec_lo, exec_lo, s5
	s_delay_alu instid0(SALU_CYCLE_1)
	s_mov_b32 s5, exec_lo
	s_wait_dscnt 0x0
	s_barrier_signal -1
	s_barrier_wait -1
	v_cmpx_gt_u32_e32 16, v0
	s_cbranch_execz .LBB2735_24
; %bb.15:
	v_lshlrev_b32_e32 v13, 3, v0
	ds_load_b64 v[4:5], v13
	s_wait_dscnt 0x0
	v_mov_b32_dpp v8, v4 row_shr:1 row_mask:0xf bank_mask:0xf
	v_mov_b32_dpp v11, v5 row_shr:1 row_mask:0xf bank_mask:0xf
	v_mov_b32_e32 v6, v4
	s_and_saveexec_b32 s4, s0
; %bb.16:
	v_mov_b32_e32 v10, 0
	s_delay_alu instid0(VALU_DEP_1) | instskip(NEXT) | instid1(VALU_DEP_1)
	v_mov_b32_e32 v9, v10
	v_add_nc_u64_e32 v[6:7], v[4:5], v[8:9]
	s_delay_alu instid0(VALU_DEP_1)
	v_add_nc_u64_e32 v[4:5], v[10:11], v[6:7]
; %bb.17:
	s_or_b32 exec_lo, exec_lo, s4
	v_mov_b32_dpp v8, v6 row_shr:2 row_mask:0xf bank_mask:0xf
	s_delay_alu instid0(VALU_DEP_2)
	v_mov_b32_dpp v11, v5 row_shr:2 row_mask:0xf bank_mask:0xf
	s_and_saveexec_b32 s0, s1
; %bb.18:
	v_mov_b32_e32 v10, 0
	s_delay_alu instid0(VALU_DEP_1) | instskip(NEXT) | instid1(VALU_DEP_1)
	v_mov_b32_e32 v9, v10
	v_add_nc_u64_e32 v[6:7], v[4:5], v[8:9]
	s_delay_alu instid0(VALU_DEP_1)
	v_add_nc_u64_e32 v[4:5], v[10:11], v[6:7]
; %bb.19:
	s_or_b32 exec_lo, exec_lo, s0
	v_mov_b32_dpp v8, v6 row_shr:4 row_mask:0xf bank_mask:0xf
	s_delay_alu instid0(VALU_DEP_2)
	v_mov_b32_dpp v11, v5 row_shr:4 row_mask:0xf bank_mask:0xf
	;; [unrolled: 13-line block ×3, first 2 shown]
	s_and_saveexec_b32 s0, s3
; %bb.22:
	v_mov_b32_e32 v8, 0
	s_delay_alu instid0(VALU_DEP_1) | instskip(NEXT) | instid1(VALU_DEP_1)
	v_mov_b32_e32 v7, v8
	v_add_nc_u64_e32 v[4:5], v[4:5], v[6:7]
	s_delay_alu instid0(VALU_DEP_1)
	v_add_nc_u64_e32 v[4:5], v[4:5], v[8:9]
; %bb.23:
	s_or_b32 exec_lo, exec_lo, s0
	ds_store_b64 v13, v[4:5]
.LBB2735_24:
	s_or_b32 exec_lo, exec_lo, s5
	v_mov_b64_e32 v[4:5], 0
	s_mov_b32 s1, exec_lo
	s_wait_dscnt 0x0
	s_barrier_signal -1
	s_barrier_wait -1
	v_cmpx_lt_u32_e32 31, v0
; %bb.25:
	v_lshl_add_u32 v4, v12, 3, -8
	ds_load_b64 v[4:5], v4
; %bb.26:
	s_or_b32 exec_lo, exec_lo, s1
	v_add_nc_u32_e32 v6, -1, v1
	s_wait_dscnt 0x0
	v_add_nc_u64_e32 v[2:3], v[4:5], v[2:3]
	s_delay_alu instid0(VALU_DEP_2) | instskip(NEXT) | instid1(VALU_DEP_1)
	v_cmp_gt_i32_e64 s0, 0, v6
	v_cndmask_b32_e64 v6, v6, v1, s0
	s_delay_alu instid0(VALU_DEP_1)
	v_lshlrev_b32_e32 v6, 2, v6
	ds_bpermute_b32 v2, v6, v2
	ds_bpermute_b32 v3, v6, v3
	s_and_saveexec_b32 s0, vcc_lo
	s_cbranch_execz .LBB2735_28
; %bb.27:
	v_cmp_eq_u32_e32 vcc_lo, 0, v1
	s_wait_dscnt 0x0
	v_dual_cndmask_b32 v3, v3, v5 :: v_dual_cndmask_b32 v2, v2, v4
	global_store_b64 v0, v[2:3], s[6:7] scale_offset
.LBB2735_28:
	s_endpgm
	.section	.rodata,"a",@progbits
	.p2align	6, 0x0
	.amdhsa_kernel _ZN7rocprim17ROCPRIM_400000_NS6detail17trampoline_kernelINS0_14default_configENS1_35radix_sort_onesweep_config_selectorIjNS0_10empty_typeEEEZNS1_34radix_sort_onesweep_global_offsetsIS3_Lb0EPKjPS5_mNS0_19identity_decomposerEEE10hipError_tT1_T2_PT3_SF_jT4_jjP12ihipStream_tbEUlT_E0_NS1_11comp_targetILNS1_3genE0ELNS1_11target_archE4294967295ELNS1_3gpuE0ELNS1_3repE0EEENS1_52radix_sort_onesweep_histogram_config_static_selectorELNS0_4arch9wavefront6targetE0EEEvSD_
		.amdhsa_group_segment_fixed_size 128
		.amdhsa_private_segment_fixed_size 0
		.amdhsa_kernarg_size 8
		.amdhsa_user_sgpr_count 2
		.amdhsa_user_sgpr_dispatch_ptr 0
		.amdhsa_user_sgpr_queue_ptr 0
		.amdhsa_user_sgpr_kernarg_segment_ptr 1
		.amdhsa_user_sgpr_dispatch_id 0
		.amdhsa_user_sgpr_kernarg_preload_length 0
		.amdhsa_user_sgpr_kernarg_preload_offset 0
		.amdhsa_user_sgpr_private_segment_size 0
		.amdhsa_wavefront_size32 1
		.amdhsa_uses_dynamic_stack 0
		.amdhsa_enable_private_segment 0
		.amdhsa_system_sgpr_workgroup_id_x 1
		.amdhsa_system_sgpr_workgroup_id_y 0
		.amdhsa_system_sgpr_workgroup_id_z 0
		.amdhsa_system_sgpr_workgroup_info 0
		.amdhsa_system_vgpr_workitem_id 0
		.amdhsa_next_free_vgpr 14
		.amdhsa_next_free_sgpr 8
		.amdhsa_named_barrier_count 0
		.amdhsa_reserve_vcc 1
		.amdhsa_float_round_mode_32 0
		.amdhsa_float_round_mode_16_64 0
		.amdhsa_float_denorm_mode_32 3
		.amdhsa_float_denorm_mode_16_64 3
		.amdhsa_fp16_overflow 0
		.amdhsa_memory_ordered 1
		.amdhsa_forward_progress 1
		.amdhsa_inst_pref_size 7
		.amdhsa_round_robin_scheduling 0
		.amdhsa_exception_fp_ieee_invalid_op 0
		.amdhsa_exception_fp_denorm_src 0
		.amdhsa_exception_fp_ieee_div_zero 0
		.amdhsa_exception_fp_ieee_overflow 0
		.amdhsa_exception_fp_ieee_underflow 0
		.amdhsa_exception_fp_ieee_inexact 0
		.amdhsa_exception_int_div_zero 0
	.end_amdhsa_kernel
	.section	.text._ZN7rocprim17ROCPRIM_400000_NS6detail17trampoline_kernelINS0_14default_configENS1_35radix_sort_onesweep_config_selectorIjNS0_10empty_typeEEEZNS1_34radix_sort_onesweep_global_offsetsIS3_Lb0EPKjPS5_mNS0_19identity_decomposerEEE10hipError_tT1_T2_PT3_SF_jT4_jjP12ihipStream_tbEUlT_E0_NS1_11comp_targetILNS1_3genE0ELNS1_11target_archE4294967295ELNS1_3gpuE0ELNS1_3repE0EEENS1_52radix_sort_onesweep_histogram_config_static_selectorELNS0_4arch9wavefront6targetE0EEEvSD_,"axG",@progbits,_ZN7rocprim17ROCPRIM_400000_NS6detail17trampoline_kernelINS0_14default_configENS1_35radix_sort_onesweep_config_selectorIjNS0_10empty_typeEEEZNS1_34radix_sort_onesweep_global_offsetsIS3_Lb0EPKjPS5_mNS0_19identity_decomposerEEE10hipError_tT1_T2_PT3_SF_jT4_jjP12ihipStream_tbEUlT_E0_NS1_11comp_targetILNS1_3genE0ELNS1_11target_archE4294967295ELNS1_3gpuE0ELNS1_3repE0EEENS1_52radix_sort_onesweep_histogram_config_static_selectorELNS0_4arch9wavefront6targetE0EEEvSD_,comdat
.Lfunc_end2735:
	.size	_ZN7rocprim17ROCPRIM_400000_NS6detail17trampoline_kernelINS0_14default_configENS1_35radix_sort_onesweep_config_selectorIjNS0_10empty_typeEEEZNS1_34radix_sort_onesweep_global_offsetsIS3_Lb0EPKjPS5_mNS0_19identity_decomposerEEE10hipError_tT1_T2_PT3_SF_jT4_jjP12ihipStream_tbEUlT_E0_NS1_11comp_targetILNS1_3genE0ELNS1_11target_archE4294967295ELNS1_3gpuE0ELNS1_3repE0EEENS1_52radix_sort_onesweep_histogram_config_static_selectorELNS0_4arch9wavefront6targetE0EEEvSD_, .Lfunc_end2735-_ZN7rocprim17ROCPRIM_400000_NS6detail17trampoline_kernelINS0_14default_configENS1_35radix_sort_onesweep_config_selectorIjNS0_10empty_typeEEEZNS1_34radix_sort_onesweep_global_offsetsIS3_Lb0EPKjPS5_mNS0_19identity_decomposerEEE10hipError_tT1_T2_PT3_SF_jT4_jjP12ihipStream_tbEUlT_E0_NS1_11comp_targetILNS1_3genE0ELNS1_11target_archE4294967295ELNS1_3gpuE0ELNS1_3repE0EEENS1_52radix_sort_onesweep_histogram_config_static_selectorELNS0_4arch9wavefront6targetE0EEEvSD_
                                        ; -- End function
	.set _ZN7rocprim17ROCPRIM_400000_NS6detail17trampoline_kernelINS0_14default_configENS1_35radix_sort_onesweep_config_selectorIjNS0_10empty_typeEEEZNS1_34radix_sort_onesweep_global_offsetsIS3_Lb0EPKjPS5_mNS0_19identity_decomposerEEE10hipError_tT1_T2_PT3_SF_jT4_jjP12ihipStream_tbEUlT_E0_NS1_11comp_targetILNS1_3genE0ELNS1_11target_archE4294967295ELNS1_3gpuE0ELNS1_3repE0EEENS1_52radix_sort_onesweep_histogram_config_static_selectorELNS0_4arch9wavefront6targetE0EEEvSD_.num_vgpr, 14
	.set _ZN7rocprim17ROCPRIM_400000_NS6detail17trampoline_kernelINS0_14default_configENS1_35radix_sort_onesweep_config_selectorIjNS0_10empty_typeEEEZNS1_34radix_sort_onesweep_global_offsetsIS3_Lb0EPKjPS5_mNS0_19identity_decomposerEEE10hipError_tT1_T2_PT3_SF_jT4_jjP12ihipStream_tbEUlT_E0_NS1_11comp_targetILNS1_3genE0ELNS1_11target_archE4294967295ELNS1_3gpuE0ELNS1_3repE0EEENS1_52radix_sort_onesweep_histogram_config_static_selectorELNS0_4arch9wavefront6targetE0EEEvSD_.num_agpr, 0
	.set _ZN7rocprim17ROCPRIM_400000_NS6detail17trampoline_kernelINS0_14default_configENS1_35radix_sort_onesweep_config_selectorIjNS0_10empty_typeEEEZNS1_34radix_sort_onesweep_global_offsetsIS3_Lb0EPKjPS5_mNS0_19identity_decomposerEEE10hipError_tT1_T2_PT3_SF_jT4_jjP12ihipStream_tbEUlT_E0_NS1_11comp_targetILNS1_3genE0ELNS1_11target_archE4294967295ELNS1_3gpuE0ELNS1_3repE0EEENS1_52radix_sort_onesweep_histogram_config_static_selectorELNS0_4arch9wavefront6targetE0EEEvSD_.numbered_sgpr, 8
	.set _ZN7rocprim17ROCPRIM_400000_NS6detail17trampoline_kernelINS0_14default_configENS1_35radix_sort_onesweep_config_selectorIjNS0_10empty_typeEEEZNS1_34radix_sort_onesweep_global_offsetsIS3_Lb0EPKjPS5_mNS0_19identity_decomposerEEE10hipError_tT1_T2_PT3_SF_jT4_jjP12ihipStream_tbEUlT_E0_NS1_11comp_targetILNS1_3genE0ELNS1_11target_archE4294967295ELNS1_3gpuE0ELNS1_3repE0EEENS1_52radix_sort_onesweep_histogram_config_static_selectorELNS0_4arch9wavefront6targetE0EEEvSD_.num_named_barrier, 0
	.set _ZN7rocprim17ROCPRIM_400000_NS6detail17trampoline_kernelINS0_14default_configENS1_35radix_sort_onesweep_config_selectorIjNS0_10empty_typeEEEZNS1_34radix_sort_onesweep_global_offsetsIS3_Lb0EPKjPS5_mNS0_19identity_decomposerEEE10hipError_tT1_T2_PT3_SF_jT4_jjP12ihipStream_tbEUlT_E0_NS1_11comp_targetILNS1_3genE0ELNS1_11target_archE4294967295ELNS1_3gpuE0ELNS1_3repE0EEENS1_52radix_sort_onesweep_histogram_config_static_selectorELNS0_4arch9wavefront6targetE0EEEvSD_.private_seg_size, 0
	.set _ZN7rocprim17ROCPRIM_400000_NS6detail17trampoline_kernelINS0_14default_configENS1_35radix_sort_onesweep_config_selectorIjNS0_10empty_typeEEEZNS1_34radix_sort_onesweep_global_offsetsIS3_Lb0EPKjPS5_mNS0_19identity_decomposerEEE10hipError_tT1_T2_PT3_SF_jT4_jjP12ihipStream_tbEUlT_E0_NS1_11comp_targetILNS1_3genE0ELNS1_11target_archE4294967295ELNS1_3gpuE0ELNS1_3repE0EEENS1_52radix_sort_onesweep_histogram_config_static_selectorELNS0_4arch9wavefront6targetE0EEEvSD_.uses_vcc, 1
	.set _ZN7rocprim17ROCPRIM_400000_NS6detail17trampoline_kernelINS0_14default_configENS1_35radix_sort_onesweep_config_selectorIjNS0_10empty_typeEEEZNS1_34radix_sort_onesweep_global_offsetsIS3_Lb0EPKjPS5_mNS0_19identity_decomposerEEE10hipError_tT1_T2_PT3_SF_jT4_jjP12ihipStream_tbEUlT_E0_NS1_11comp_targetILNS1_3genE0ELNS1_11target_archE4294967295ELNS1_3gpuE0ELNS1_3repE0EEENS1_52radix_sort_onesweep_histogram_config_static_selectorELNS0_4arch9wavefront6targetE0EEEvSD_.uses_flat_scratch, 0
	.set _ZN7rocprim17ROCPRIM_400000_NS6detail17trampoline_kernelINS0_14default_configENS1_35radix_sort_onesweep_config_selectorIjNS0_10empty_typeEEEZNS1_34radix_sort_onesweep_global_offsetsIS3_Lb0EPKjPS5_mNS0_19identity_decomposerEEE10hipError_tT1_T2_PT3_SF_jT4_jjP12ihipStream_tbEUlT_E0_NS1_11comp_targetILNS1_3genE0ELNS1_11target_archE4294967295ELNS1_3gpuE0ELNS1_3repE0EEENS1_52radix_sort_onesweep_histogram_config_static_selectorELNS0_4arch9wavefront6targetE0EEEvSD_.has_dyn_sized_stack, 0
	.set _ZN7rocprim17ROCPRIM_400000_NS6detail17trampoline_kernelINS0_14default_configENS1_35radix_sort_onesweep_config_selectorIjNS0_10empty_typeEEEZNS1_34radix_sort_onesweep_global_offsetsIS3_Lb0EPKjPS5_mNS0_19identity_decomposerEEE10hipError_tT1_T2_PT3_SF_jT4_jjP12ihipStream_tbEUlT_E0_NS1_11comp_targetILNS1_3genE0ELNS1_11target_archE4294967295ELNS1_3gpuE0ELNS1_3repE0EEENS1_52radix_sort_onesweep_histogram_config_static_selectorELNS0_4arch9wavefront6targetE0EEEvSD_.has_recursion, 0
	.set _ZN7rocprim17ROCPRIM_400000_NS6detail17trampoline_kernelINS0_14default_configENS1_35radix_sort_onesweep_config_selectorIjNS0_10empty_typeEEEZNS1_34radix_sort_onesweep_global_offsetsIS3_Lb0EPKjPS5_mNS0_19identity_decomposerEEE10hipError_tT1_T2_PT3_SF_jT4_jjP12ihipStream_tbEUlT_E0_NS1_11comp_targetILNS1_3genE0ELNS1_11target_archE4294967295ELNS1_3gpuE0ELNS1_3repE0EEENS1_52radix_sort_onesweep_histogram_config_static_selectorELNS0_4arch9wavefront6targetE0EEEvSD_.has_indirect_call, 0
	.section	.AMDGPU.csdata,"",@progbits
; Kernel info:
; codeLenInByte = 896
; TotalNumSgprs: 10
; NumVgprs: 14
; ScratchSize: 0
; MemoryBound: 0
; FloatMode: 240
; IeeeMode: 1
; LDSByteSize: 128 bytes/workgroup (compile time only)
; SGPRBlocks: 0
; VGPRBlocks: 0
; NumSGPRsForWavesPerEU: 10
; NumVGPRsForWavesPerEU: 14
; NamedBarCnt: 0
; Occupancy: 16
; WaveLimiterHint : 0
; COMPUTE_PGM_RSRC2:SCRATCH_EN: 0
; COMPUTE_PGM_RSRC2:USER_SGPR: 2
; COMPUTE_PGM_RSRC2:TRAP_HANDLER: 0
; COMPUTE_PGM_RSRC2:TGID_X_EN: 1
; COMPUTE_PGM_RSRC2:TGID_Y_EN: 0
; COMPUTE_PGM_RSRC2:TGID_Z_EN: 0
; COMPUTE_PGM_RSRC2:TIDIG_COMP_CNT: 0
	.section	.text._ZN7rocprim17ROCPRIM_400000_NS6detail17trampoline_kernelINS0_14default_configENS1_35radix_sort_onesweep_config_selectorIjNS0_10empty_typeEEEZNS1_34radix_sort_onesweep_global_offsetsIS3_Lb0EPKjPS5_mNS0_19identity_decomposerEEE10hipError_tT1_T2_PT3_SF_jT4_jjP12ihipStream_tbEUlT_E0_NS1_11comp_targetILNS1_3genE6ELNS1_11target_archE950ELNS1_3gpuE13ELNS1_3repE0EEENS1_52radix_sort_onesweep_histogram_config_static_selectorELNS0_4arch9wavefront6targetE0EEEvSD_,"axG",@progbits,_ZN7rocprim17ROCPRIM_400000_NS6detail17trampoline_kernelINS0_14default_configENS1_35radix_sort_onesweep_config_selectorIjNS0_10empty_typeEEEZNS1_34radix_sort_onesweep_global_offsetsIS3_Lb0EPKjPS5_mNS0_19identity_decomposerEEE10hipError_tT1_T2_PT3_SF_jT4_jjP12ihipStream_tbEUlT_E0_NS1_11comp_targetILNS1_3genE6ELNS1_11target_archE950ELNS1_3gpuE13ELNS1_3repE0EEENS1_52radix_sort_onesweep_histogram_config_static_selectorELNS0_4arch9wavefront6targetE0EEEvSD_,comdat
	.protected	_ZN7rocprim17ROCPRIM_400000_NS6detail17trampoline_kernelINS0_14default_configENS1_35radix_sort_onesweep_config_selectorIjNS0_10empty_typeEEEZNS1_34radix_sort_onesweep_global_offsetsIS3_Lb0EPKjPS5_mNS0_19identity_decomposerEEE10hipError_tT1_T2_PT3_SF_jT4_jjP12ihipStream_tbEUlT_E0_NS1_11comp_targetILNS1_3genE6ELNS1_11target_archE950ELNS1_3gpuE13ELNS1_3repE0EEENS1_52radix_sort_onesweep_histogram_config_static_selectorELNS0_4arch9wavefront6targetE0EEEvSD_ ; -- Begin function _ZN7rocprim17ROCPRIM_400000_NS6detail17trampoline_kernelINS0_14default_configENS1_35radix_sort_onesweep_config_selectorIjNS0_10empty_typeEEEZNS1_34radix_sort_onesweep_global_offsetsIS3_Lb0EPKjPS5_mNS0_19identity_decomposerEEE10hipError_tT1_T2_PT3_SF_jT4_jjP12ihipStream_tbEUlT_E0_NS1_11comp_targetILNS1_3genE6ELNS1_11target_archE950ELNS1_3gpuE13ELNS1_3repE0EEENS1_52radix_sort_onesweep_histogram_config_static_selectorELNS0_4arch9wavefront6targetE0EEEvSD_
	.globl	_ZN7rocprim17ROCPRIM_400000_NS6detail17trampoline_kernelINS0_14default_configENS1_35radix_sort_onesweep_config_selectorIjNS0_10empty_typeEEEZNS1_34radix_sort_onesweep_global_offsetsIS3_Lb0EPKjPS5_mNS0_19identity_decomposerEEE10hipError_tT1_T2_PT3_SF_jT4_jjP12ihipStream_tbEUlT_E0_NS1_11comp_targetILNS1_3genE6ELNS1_11target_archE950ELNS1_3gpuE13ELNS1_3repE0EEENS1_52radix_sort_onesweep_histogram_config_static_selectorELNS0_4arch9wavefront6targetE0EEEvSD_
	.p2align	8
	.type	_ZN7rocprim17ROCPRIM_400000_NS6detail17trampoline_kernelINS0_14default_configENS1_35radix_sort_onesweep_config_selectorIjNS0_10empty_typeEEEZNS1_34radix_sort_onesweep_global_offsetsIS3_Lb0EPKjPS5_mNS0_19identity_decomposerEEE10hipError_tT1_T2_PT3_SF_jT4_jjP12ihipStream_tbEUlT_E0_NS1_11comp_targetILNS1_3genE6ELNS1_11target_archE950ELNS1_3gpuE13ELNS1_3repE0EEENS1_52radix_sort_onesweep_histogram_config_static_selectorELNS0_4arch9wavefront6targetE0EEEvSD_,@function
_ZN7rocprim17ROCPRIM_400000_NS6detail17trampoline_kernelINS0_14default_configENS1_35radix_sort_onesweep_config_selectorIjNS0_10empty_typeEEEZNS1_34radix_sort_onesweep_global_offsetsIS3_Lb0EPKjPS5_mNS0_19identity_decomposerEEE10hipError_tT1_T2_PT3_SF_jT4_jjP12ihipStream_tbEUlT_E0_NS1_11comp_targetILNS1_3genE6ELNS1_11target_archE950ELNS1_3gpuE13ELNS1_3repE0EEENS1_52radix_sort_onesweep_histogram_config_static_selectorELNS0_4arch9wavefront6targetE0EEEvSD_: ; @_ZN7rocprim17ROCPRIM_400000_NS6detail17trampoline_kernelINS0_14default_configENS1_35radix_sort_onesweep_config_selectorIjNS0_10empty_typeEEEZNS1_34radix_sort_onesweep_global_offsetsIS3_Lb0EPKjPS5_mNS0_19identity_decomposerEEE10hipError_tT1_T2_PT3_SF_jT4_jjP12ihipStream_tbEUlT_E0_NS1_11comp_targetILNS1_3genE6ELNS1_11target_archE950ELNS1_3gpuE13ELNS1_3repE0EEENS1_52radix_sort_onesweep_histogram_config_static_selectorELNS0_4arch9wavefront6targetE0EEEvSD_
; %bb.0:
	.section	.rodata,"a",@progbits
	.p2align	6, 0x0
	.amdhsa_kernel _ZN7rocprim17ROCPRIM_400000_NS6detail17trampoline_kernelINS0_14default_configENS1_35radix_sort_onesweep_config_selectorIjNS0_10empty_typeEEEZNS1_34radix_sort_onesweep_global_offsetsIS3_Lb0EPKjPS5_mNS0_19identity_decomposerEEE10hipError_tT1_T2_PT3_SF_jT4_jjP12ihipStream_tbEUlT_E0_NS1_11comp_targetILNS1_3genE6ELNS1_11target_archE950ELNS1_3gpuE13ELNS1_3repE0EEENS1_52radix_sort_onesweep_histogram_config_static_selectorELNS0_4arch9wavefront6targetE0EEEvSD_
		.amdhsa_group_segment_fixed_size 0
		.amdhsa_private_segment_fixed_size 0
		.amdhsa_kernarg_size 8
		.amdhsa_user_sgpr_count 2
		.amdhsa_user_sgpr_dispatch_ptr 0
		.amdhsa_user_sgpr_queue_ptr 0
		.amdhsa_user_sgpr_kernarg_segment_ptr 1
		.amdhsa_user_sgpr_dispatch_id 0
		.amdhsa_user_sgpr_kernarg_preload_length 0
		.amdhsa_user_sgpr_kernarg_preload_offset 0
		.amdhsa_user_sgpr_private_segment_size 0
		.amdhsa_wavefront_size32 1
		.amdhsa_uses_dynamic_stack 0
		.amdhsa_enable_private_segment 0
		.amdhsa_system_sgpr_workgroup_id_x 1
		.amdhsa_system_sgpr_workgroup_id_y 0
		.amdhsa_system_sgpr_workgroup_id_z 0
		.amdhsa_system_sgpr_workgroup_info 0
		.amdhsa_system_vgpr_workitem_id 0
		.amdhsa_next_free_vgpr 1
		.amdhsa_next_free_sgpr 1
		.amdhsa_named_barrier_count 0
		.amdhsa_reserve_vcc 0
		.amdhsa_float_round_mode_32 0
		.amdhsa_float_round_mode_16_64 0
		.amdhsa_float_denorm_mode_32 3
		.amdhsa_float_denorm_mode_16_64 3
		.amdhsa_fp16_overflow 0
		.amdhsa_memory_ordered 1
		.amdhsa_forward_progress 1
		.amdhsa_inst_pref_size 0
		.amdhsa_round_robin_scheduling 0
		.amdhsa_exception_fp_ieee_invalid_op 0
		.amdhsa_exception_fp_denorm_src 0
		.amdhsa_exception_fp_ieee_div_zero 0
		.amdhsa_exception_fp_ieee_overflow 0
		.amdhsa_exception_fp_ieee_underflow 0
		.amdhsa_exception_fp_ieee_inexact 0
		.amdhsa_exception_int_div_zero 0
	.end_amdhsa_kernel
	.section	.text._ZN7rocprim17ROCPRIM_400000_NS6detail17trampoline_kernelINS0_14default_configENS1_35radix_sort_onesweep_config_selectorIjNS0_10empty_typeEEEZNS1_34radix_sort_onesweep_global_offsetsIS3_Lb0EPKjPS5_mNS0_19identity_decomposerEEE10hipError_tT1_T2_PT3_SF_jT4_jjP12ihipStream_tbEUlT_E0_NS1_11comp_targetILNS1_3genE6ELNS1_11target_archE950ELNS1_3gpuE13ELNS1_3repE0EEENS1_52radix_sort_onesweep_histogram_config_static_selectorELNS0_4arch9wavefront6targetE0EEEvSD_,"axG",@progbits,_ZN7rocprim17ROCPRIM_400000_NS6detail17trampoline_kernelINS0_14default_configENS1_35radix_sort_onesweep_config_selectorIjNS0_10empty_typeEEEZNS1_34radix_sort_onesweep_global_offsetsIS3_Lb0EPKjPS5_mNS0_19identity_decomposerEEE10hipError_tT1_T2_PT3_SF_jT4_jjP12ihipStream_tbEUlT_E0_NS1_11comp_targetILNS1_3genE6ELNS1_11target_archE950ELNS1_3gpuE13ELNS1_3repE0EEENS1_52radix_sort_onesweep_histogram_config_static_selectorELNS0_4arch9wavefront6targetE0EEEvSD_,comdat
.Lfunc_end2736:
	.size	_ZN7rocprim17ROCPRIM_400000_NS6detail17trampoline_kernelINS0_14default_configENS1_35radix_sort_onesweep_config_selectorIjNS0_10empty_typeEEEZNS1_34radix_sort_onesweep_global_offsetsIS3_Lb0EPKjPS5_mNS0_19identity_decomposerEEE10hipError_tT1_T2_PT3_SF_jT4_jjP12ihipStream_tbEUlT_E0_NS1_11comp_targetILNS1_3genE6ELNS1_11target_archE950ELNS1_3gpuE13ELNS1_3repE0EEENS1_52radix_sort_onesweep_histogram_config_static_selectorELNS0_4arch9wavefront6targetE0EEEvSD_, .Lfunc_end2736-_ZN7rocprim17ROCPRIM_400000_NS6detail17trampoline_kernelINS0_14default_configENS1_35radix_sort_onesweep_config_selectorIjNS0_10empty_typeEEEZNS1_34radix_sort_onesweep_global_offsetsIS3_Lb0EPKjPS5_mNS0_19identity_decomposerEEE10hipError_tT1_T2_PT3_SF_jT4_jjP12ihipStream_tbEUlT_E0_NS1_11comp_targetILNS1_3genE6ELNS1_11target_archE950ELNS1_3gpuE13ELNS1_3repE0EEENS1_52radix_sort_onesweep_histogram_config_static_selectorELNS0_4arch9wavefront6targetE0EEEvSD_
                                        ; -- End function
	.set _ZN7rocprim17ROCPRIM_400000_NS6detail17trampoline_kernelINS0_14default_configENS1_35radix_sort_onesweep_config_selectorIjNS0_10empty_typeEEEZNS1_34radix_sort_onesweep_global_offsetsIS3_Lb0EPKjPS5_mNS0_19identity_decomposerEEE10hipError_tT1_T2_PT3_SF_jT4_jjP12ihipStream_tbEUlT_E0_NS1_11comp_targetILNS1_3genE6ELNS1_11target_archE950ELNS1_3gpuE13ELNS1_3repE0EEENS1_52radix_sort_onesweep_histogram_config_static_selectorELNS0_4arch9wavefront6targetE0EEEvSD_.num_vgpr, 0
	.set _ZN7rocprim17ROCPRIM_400000_NS6detail17trampoline_kernelINS0_14default_configENS1_35radix_sort_onesweep_config_selectorIjNS0_10empty_typeEEEZNS1_34radix_sort_onesweep_global_offsetsIS3_Lb0EPKjPS5_mNS0_19identity_decomposerEEE10hipError_tT1_T2_PT3_SF_jT4_jjP12ihipStream_tbEUlT_E0_NS1_11comp_targetILNS1_3genE6ELNS1_11target_archE950ELNS1_3gpuE13ELNS1_3repE0EEENS1_52radix_sort_onesweep_histogram_config_static_selectorELNS0_4arch9wavefront6targetE0EEEvSD_.num_agpr, 0
	.set _ZN7rocprim17ROCPRIM_400000_NS6detail17trampoline_kernelINS0_14default_configENS1_35radix_sort_onesweep_config_selectorIjNS0_10empty_typeEEEZNS1_34radix_sort_onesweep_global_offsetsIS3_Lb0EPKjPS5_mNS0_19identity_decomposerEEE10hipError_tT1_T2_PT3_SF_jT4_jjP12ihipStream_tbEUlT_E0_NS1_11comp_targetILNS1_3genE6ELNS1_11target_archE950ELNS1_3gpuE13ELNS1_3repE0EEENS1_52radix_sort_onesweep_histogram_config_static_selectorELNS0_4arch9wavefront6targetE0EEEvSD_.numbered_sgpr, 0
	.set _ZN7rocprim17ROCPRIM_400000_NS6detail17trampoline_kernelINS0_14default_configENS1_35radix_sort_onesweep_config_selectorIjNS0_10empty_typeEEEZNS1_34radix_sort_onesweep_global_offsetsIS3_Lb0EPKjPS5_mNS0_19identity_decomposerEEE10hipError_tT1_T2_PT3_SF_jT4_jjP12ihipStream_tbEUlT_E0_NS1_11comp_targetILNS1_3genE6ELNS1_11target_archE950ELNS1_3gpuE13ELNS1_3repE0EEENS1_52radix_sort_onesweep_histogram_config_static_selectorELNS0_4arch9wavefront6targetE0EEEvSD_.num_named_barrier, 0
	.set _ZN7rocprim17ROCPRIM_400000_NS6detail17trampoline_kernelINS0_14default_configENS1_35radix_sort_onesweep_config_selectorIjNS0_10empty_typeEEEZNS1_34radix_sort_onesweep_global_offsetsIS3_Lb0EPKjPS5_mNS0_19identity_decomposerEEE10hipError_tT1_T2_PT3_SF_jT4_jjP12ihipStream_tbEUlT_E0_NS1_11comp_targetILNS1_3genE6ELNS1_11target_archE950ELNS1_3gpuE13ELNS1_3repE0EEENS1_52radix_sort_onesweep_histogram_config_static_selectorELNS0_4arch9wavefront6targetE0EEEvSD_.private_seg_size, 0
	.set _ZN7rocprim17ROCPRIM_400000_NS6detail17trampoline_kernelINS0_14default_configENS1_35radix_sort_onesweep_config_selectorIjNS0_10empty_typeEEEZNS1_34radix_sort_onesweep_global_offsetsIS3_Lb0EPKjPS5_mNS0_19identity_decomposerEEE10hipError_tT1_T2_PT3_SF_jT4_jjP12ihipStream_tbEUlT_E0_NS1_11comp_targetILNS1_3genE6ELNS1_11target_archE950ELNS1_3gpuE13ELNS1_3repE0EEENS1_52radix_sort_onesweep_histogram_config_static_selectorELNS0_4arch9wavefront6targetE0EEEvSD_.uses_vcc, 0
	.set _ZN7rocprim17ROCPRIM_400000_NS6detail17trampoline_kernelINS0_14default_configENS1_35radix_sort_onesweep_config_selectorIjNS0_10empty_typeEEEZNS1_34radix_sort_onesweep_global_offsetsIS3_Lb0EPKjPS5_mNS0_19identity_decomposerEEE10hipError_tT1_T2_PT3_SF_jT4_jjP12ihipStream_tbEUlT_E0_NS1_11comp_targetILNS1_3genE6ELNS1_11target_archE950ELNS1_3gpuE13ELNS1_3repE0EEENS1_52radix_sort_onesweep_histogram_config_static_selectorELNS0_4arch9wavefront6targetE0EEEvSD_.uses_flat_scratch, 0
	.set _ZN7rocprim17ROCPRIM_400000_NS6detail17trampoline_kernelINS0_14default_configENS1_35radix_sort_onesweep_config_selectorIjNS0_10empty_typeEEEZNS1_34radix_sort_onesweep_global_offsetsIS3_Lb0EPKjPS5_mNS0_19identity_decomposerEEE10hipError_tT1_T2_PT3_SF_jT4_jjP12ihipStream_tbEUlT_E0_NS1_11comp_targetILNS1_3genE6ELNS1_11target_archE950ELNS1_3gpuE13ELNS1_3repE0EEENS1_52radix_sort_onesweep_histogram_config_static_selectorELNS0_4arch9wavefront6targetE0EEEvSD_.has_dyn_sized_stack, 0
	.set _ZN7rocprim17ROCPRIM_400000_NS6detail17trampoline_kernelINS0_14default_configENS1_35radix_sort_onesweep_config_selectorIjNS0_10empty_typeEEEZNS1_34radix_sort_onesweep_global_offsetsIS3_Lb0EPKjPS5_mNS0_19identity_decomposerEEE10hipError_tT1_T2_PT3_SF_jT4_jjP12ihipStream_tbEUlT_E0_NS1_11comp_targetILNS1_3genE6ELNS1_11target_archE950ELNS1_3gpuE13ELNS1_3repE0EEENS1_52radix_sort_onesweep_histogram_config_static_selectorELNS0_4arch9wavefront6targetE0EEEvSD_.has_recursion, 0
	.set _ZN7rocprim17ROCPRIM_400000_NS6detail17trampoline_kernelINS0_14default_configENS1_35radix_sort_onesweep_config_selectorIjNS0_10empty_typeEEEZNS1_34radix_sort_onesweep_global_offsetsIS3_Lb0EPKjPS5_mNS0_19identity_decomposerEEE10hipError_tT1_T2_PT3_SF_jT4_jjP12ihipStream_tbEUlT_E0_NS1_11comp_targetILNS1_3genE6ELNS1_11target_archE950ELNS1_3gpuE13ELNS1_3repE0EEENS1_52radix_sort_onesweep_histogram_config_static_selectorELNS0_4arch9wavefront6targetE0EEEvSD_.has_indirect_call, 0
	.section	.AMDGPU.csdata,"",@progbits
; Kernel info:
; codeLenInByte = 0
; TotalNumSgprs: 0
; NumVgprs: 0
; ScratchSize: 0
; MemoryBound: 0
; FloatMode: 240
; IeeeMode: 1
; LDSByteSize: 0 bytes/workgroup (compile time only)
; SGPRBlocks: 0
; VGPRBlocks: 0
; NumSGPRsForWavesPerEU: 1
; NumVGPRsForWavesPerEU: 1
; NamedBarCnt: 0
; Occupancy: 16
; WaveLimiterHint : 0
; COMPUTE_PGM_RSRC2:SCRATCH_EN: 0
; COMPUTE_PGM_RSRC2:USER_SGPR: 2
; COMPUTE_PGM_RSRC2:TRAP_HANDLER: 0
; COMPUTE_PGM_RSRC2:TGID_X_EN: 1
; COMPUTE_PGM_RSRC2:TGID_Y_EN: 0
; COMPUTE_PGM_RSRC2:TGID_Z_EN: 0
; COMPUTE_PGM_RSRC2:TIDIG_COMP_CNT: 0
	.section	.text._ZN7rocprim17ROCPRIM_400000_NS6detail17trampoline_kernelINS0_14default_configENS1_35radix_sort_onesweep_config_selectorIjNS0_10empty_typeEEEZNS1_34radix_sort_onesweep_global_offsetsIS3_Lb0EPKjPS5_mNS0_19identity_decomposerEEE10hipError_tT1_T2_PT3_SF_jT4_jjP12ihipStream_tbEUlT_E0_NS1_11comp_targetILNS1_3genE5ELNS1_11target_archE942ELNS1_3gpuE9ELNS1_3repE0EEENS1_52radix_sort_onesweep_histogram_config_static_selectorELNS0_4arch9wavefront6targetE0EEEvSD_,"axG",@progbits,_ZN7rocprim17ROCPRIM_400000_NS6detail17trampoline_kernelINS0_14default_configENS1_35radix_sort_onesweep_config_selectorIjNS0_10empty_typeEEEZNS1_34radix_sort_onesweep_global_offsetsIS3_Lb0EPKjPS5_mNS0_19identity_decomposerEEE10hipError_tT1_T2_PT3_SF_jT4_jjP12ihipStream_tbEUlT_E0_NS1_11comp_targetILNS1_3genE5ELNS1_11target_archE942ELNS1_3gpuE9ELNS1_3repE0EEENS1_52radix_sort_onesweep_histogram_config_static_selectorELNS0_4arch9wavefront6targetE0EEEvSD_,comdat
	.protected	_ZN7rocprim17ROCPRIM_400000_NS6detail17trampoline_kernelINS0_14default_configENS1_35radix_sort_onesweep_config_selectorIjNS0_10empty_typeEEEZNS1_34radix_sort_onesweep_global_offsetsIS3_Lb0EPKjPS5_mNS0_19identity_decomposerEEE10hipError_tT1_T2_PT3_SF_jT4_jjP12ihipStream_tbEUlT_E0_NS1_11comp_targetILNS1_3genE5ELNS1_11target_archE942ELNS1_3gpuE9ELNS1_3repE0EEENS1_52radix_sort_onesweep_histogram_config_static_selectorELNS0_4arch9wavefront6targetE0EEEvSD_ ; -- Begin function _ZN7rocprim17ROCPRIM_400000_NS6detail17trampoline_kernelINS0_14default_configENS1_35radix_sort_onesweep_config_selectorIjNS0_10empty_typeEEEZNS1_34radix_sort_onesweep_global_offsetsIS3_Lb0EPKjPS5_mNS0_19identity_decomposerEEE10hipError_tT1_T2_PT3_SF_jT4_jjP12ihipStream_tbEUlT_E0_NS1_11comp_targetILNS1_3genE5ELNS1_11target_archE942ELNS1_3gpuE9ELNS1_3repE0EEENS1_52radix_sort_onesweep_histogram_config_static_selectorELNS0_4arch9wavefront6targetE0EEEvSD_
	.globl	_ZN7rocprim17ROCPRIM_400000_NS6detail17trampoline_kernelINS0_14default_configENS1_35radix_sort_onesweep_config_selectorIjNS0_10empty_typeEEEZNS1_34radix_sort_onesweep_global_offsetsIS3_Lb0EPKjPS5_mNS0_19identity_decomposerEEE10hipError_tT1_T2_PT3_SF_jT4_jjP12ihipStream_tbEUlT_E0_NS1_11comp_targetILNS1_3genE5ELNS1_11target_archE942ELNS1_3gpuE9ELNS1_3repE0EEENS1_52radix_sort_onesweep_histogram_config_static_selectorELNS0_4arch9wavefront6targetE0EEEvSD_
	.p2align	8
	.type	_ZN7rocprim17ROCPRIM_400000_NS6detail17trampoline_kernelINS0_14default_configENS1_35radix_sort_onesweep_config_selectorIjNS0_10empty_typeEEEZNS1_34radix_sort_onesweep_global_offsetsIS3_Lb0EPKjPS5_mNS0_19identity_decomposerEEE10hipError_tT1_T2_PT3_SF_jT4_jjP12ihipStream_tbEUlT_E0_NS1_11comp_targetILNS1_3genE5ELNS1_11target_archE942ELNS1_3gpuE9ELNS1_3repE0EEENS1_52radix_sort_onesweep_histogram_config_static_selectorELNS0_4arch9wavefront6targetE0EEEvSD_,@function
_ZN7rocprim17ROCPRIM_400000_NS6detail17trampoline_kernelINS0_14default_configENS1_35radix_sort_onesweep_config_selectorIjNS0_10empty_typeEEEZNS1_34radix_sort_onesweep_global_offsetsIS3_Lb0EPKjPS5_mNS0_19identity_decomposerEEE10hipError_tT1_T2_PT3_SF_jT4_jjP12ihipStream_tbEUlT_E0_NS1_11comp_targetILNS1_3genE5ELNS1_11target_archE942ELNS1_3gpuE9ELNS1_3repE0EEENS1_52radix_sort_onesweep_histogram_config_static_selectorELNS0_4arch9wavefront6targetE0EEEvSD_: ; @_ZN7rocprim17ROCPRIM_400000_NS6detail17trampoline_kernelINS0_14default_configENS1_35radix_sort_onesweep_config_selectorIjNS0_10empty_typeEEEZNS1_34radix_sort_onesweep_global_offsetsIS3_Lb0EPKjPS5_mNS0_19identity_decomposerEEE10hipError_tT1_T2_PT3_SF_jT4_jjP12ihipStream_tbEUlT_E0_NS1_11comp_targetILNS1_3genE5ELNS1_11target_archE942ELNS1_3gpuE9ELNS1_3repE0EEENS1_52radix_sort_onesweep_histogram_config_static_selectorELNS0_4arch9wavefront6targetE0EEEvSD_
; %bb.0:
	.section	.rodata,"a",@progbits
	.p2align	6, 0x0
	.amdhsa_kernel _ZN7rocprim17ROCPRIM_400000_NS6detail17trampoline_kernelINS0_14default_configENS1_35radix_sort_onesweep_config_selectorIjNS0_10empty_typeEEEZNS1_34radix_sort_onesweep_global_offsetsIS3_Lb0EPKjPS5_mNS0_19identity_decomposerEEE10hipError_tT1_T2_PT3_SF_jT4_jjP12ihipStream_tbEUlT_E0_NS1_11comp_targetILNS1_3genE5ELNS1_11target_archE942ELNS1_3gpuE9ELNS1_3repE0EEENS1_52radix_sort_onesweep_histogram_config_static_selectorELNS0_4arch9wavefront6targetE0EEEvSD_
		.amdhsa_group_segment_fixed_size 0
		.amdhsa_private_segment_fixed_size 0
		.amdhsa_kernarg_size 8
		.amdhsa_user_sgpr_count 2
		.amdhsa_user_sgpr_dispatch_ptr 0
		.amdhsa_user_sgpr_queue_ptr 0
		.amdhsa_user_sgpr_kernarg_segment_ptr 1
		.amdhsa_user_sgpr_dispatch_id 0
		.amdhsa_user_sgpr_kernarg_preload_length 0
		.amdhsa_user_sgpr_kernarg_preload_offset 0
		.amdhsa_user_sgpr_private_segment_size 0
		.amdhsa_wavefront_size32 1
		.amdhsa_uses_dynamic_stack 0
		.amdhsa_enable_private_segment 0
		.amdhsa_system_sgpr_workgroup_id_x 1
		.amdhsa_system_sgpr_workgroup_id_y 0
		.amdhsa_system_sgpr_workgroup_id_z 0
		.amdhsa_system_sgpr_workgroup_info 0
		.amdhsa_system_vgpr_workitem_id 0
		.amdhsa_next_free_vgpr 1
		.amdhsa_next_free_sgpr 1
		.amdhsa_named_barrier_count 0
		.amdhsa_reserve_vcc 0
		.amdhsa_float_round_mode_32 0
		.amdhsa_float_round_mode_16_64 0
		.amdhsa_float_denorm_mode_32 3
		.amdhsa_float_denorm_mode_16_64 3
		.amdhsa_fp16_overflow 0
		.amdhsa_memory_ordered 1
		.amdhsa_forward_progress 1
		.amdhsa_inst_pref_size 0
		.amdhsa_round_robin_scheduling 0
		.amdhsa_exception_fp_ieee_invalid_op 0
		.amdhsa_exception_fp_denorm_src 0
		.amdhsa_exception_fp_ieee_div_zero 0
		.amdhsa_exception_fp_ieee_overflow 0
		.amdhsa_exception_fp_ieee_underflow 0
		.amdhsa_exception_fp_ieee_inexact 0
		.amdhsa_exception_int_div_zero 0
	.end_amdhsa_kernel
	.section	.text._ZN7rocprim17ROCPRIM_400000_NS6detail17trampoline_kernelINS0_14default_configENS1_35radix_sort_onesweep_config_selectorIjNS0_10empty_typeEEEZNS1_34radix_sort_onesweep_global_offsetsIS3_Lb0EPKjPS5_mNS0_19identity_decomposerEEE10hipError_tT1_T2_PT3_SF_jT4_jjP12ihipStream_tbEUlT_E0_NS1_11comp_targetILNS1_3genE5ELNS1_11target_archE942ELNS1_3gpuE9ELNS1_3repE0EEENS1_52radix_sort_onesweep_histogram_config_static_selectorELNS0_4arch9wavefront6targetE0EEEvSD_,"axG",@progbits,_ZN7rocprim17ROCPRIM_400000_NS6detail17trampoline_kernelINS0_14default_configENS1_35radix_sort_onesweep_config_selectorIjNS0_10empty_typeEEEZNS1_34radix_sort_onesweep_global_offsetsIS3_Lb0EPKjPS5_mNS0_19identity_decomposerEEE10hipError_tT1_T2_PT3_SF_jT4_jjP12ihipStream_tbEUlT_E0_NS1_11comp_targetILNS1_3genE5ELNS1_11target_archE942ELNS1_3gpuE9ELNS1_3repE0EEENS1_52radix_sort_onesweep_histogram_config_static_selectorELNS0_4arch9wavefront6targetE0EEEvSD_,comdat
.Lfunc_end2737:
	.size	_ZN7rocprim17ROCPRIM_400000_NS6detail17trampoline_kernelINS0_14default_configENS1_35radix_sort_onesweep_config_selectorIjNS0_10empty_typeEEEZNS1_34radix_sort_onesweep_global_offsetsIS3_Lb0EPKjPS5_mNS0_19identity_decomposerEEE10hipError_tT1_T2_PT3_SF_jT4_jjP12ihipStream_tbEUlT_E0_NS1_11comp_targetILNS1_3genE5ELNS1_11target_archE942ELNS1_3gpuE9ELNS1_3repE0EEENS1_52radix_sort_onesweep_histogram_config_static_selectorELNS0_4arch9wavefront6targetE0EEEvSD_, .Lfunc_end2737-_ZN7rocprim17ROCPRIM_400000_NS6detail17trampoline_kernelINS0_14default_configENS1_35radix_sort_onesweep_config_selectorIjNS0_10empty_typeEEEZNS1_34radix_sort_onesweep_global_offsetsIS3_Lb0EPKjPS5_mNS0_19identity_decomposerEEE10hipError_tT1_T2_PT3_SF_jT4_jjP12ihipStream_tbEUlT_E0_NS1_11comp_targetILNS1_3genE5ELNS1_11target_archE942ELNS1_3gpuE9ELNS1_3repE0EEENS1_52radix_sort_onesweep_histogram_config_static_selectorELNS0_4arch9wavefront6targetE0EEEvSD_
                                        ; -- End function
	.set _ZN7rocprim17ROCPRIM_400000_NS6detail17trampoline_kernelINS0_14default_configENS1_35radix_sort_onesweep_config_selectorIjNS0_10empty_typeEEEZNS1_34radix_sort_onesweep_global_offsetsIS3_Lb0EPKjPS5_mNS0_19identity_decomposerEEE10hipError_tT1_T2_PT3_SF_jT4_jjP12ihipStream_tbEUlT_E0_NS1_11comp_targetILNS1_3genE5ELNS1_11target_archE942ELNS1_3gpuE9ELNS1_3repE0EEENS1_52radix_sort_onesweep_histogram_config_static_selectorELNS0_4arch9wavefront6targetE0EEEvSD_.num_vgpr, 0
	.set _ZN7rocprim17ROCPRIM_400000_NS6detail17trampoline_kernelINS0_14default_configENS1_35radix_sort_onesweep_config_selectorIjNS0_10empty_typeEEEZNS1_34radix_sort_onesweep_global_offsetsIS3_Lb0EPKjPS5_mNS0_19identity_decomposerEEE10hipError_tT1_T2_PT3_SF_jT4_jjP12ihipStream_tbEUlT_E0_NS1_11comp_targetILNS1_3genE5ELNS1_11target_archE942ELNS1_3gpuE9ELNS1_3repE0EEENS1_52radix_sort_onesweep_histogram_config_static_selectorELNS0_4arch9wavefront6targetE0EEEvSD_.num_agpr, 0
	.set _ZN7rocprim17ROCPRIM_400000_NS6detail17trampoline_kernelINS0_14default_configENS1_35radix_sort_onesweep_config_selectorIjNS0_10empty_typeEEEZNS1_34radix_sort_onesweep_global_offsetsIS3_Lb0EPKjPS5_mNS0_19identity_decomposerEEE10hipError_tT1_T2_PT3_SF_jT4_jjP12ihipStream_tbEUlT_E0_NS1_11comp_targetILNS1_3genE5ELNS1_11target_archE942ELNS1_3gpuE9ELNS1_3repE0EEENS1_52radix_sort_onesweep_histogram_config_static_selectorELNS0_4arch9wavefront6targetE0EEEvSD_.numbered_sgpr, 0
	.set _ZN7rocprim17ROCPRIM_400000_NS6detail17trampoline_kernelINS0_14default_configENS1_35radix_sort_onesweep_config_selectorIjNS0_10empty_typeEEEZNS1_34radix_sort_onesweep_global_offsetsIS3_Lb0EPKjPS5_mNS0_19identity_decomposerEEE10hipError_tT1_T2_PT3_SF_jT4_jjP12ihipStream_tbEUlT_E0_NS1_11comp_targetILNS1_3genE5ELNS1_11target_archE942ELNS1_3gpuE9ELNS1_3repE0EEENS1_52radix_sort_onesweep_histogram_config_static_selectorELNS0_4arch9wavefront6targetE0EEEvSD_.num_named_barrier, 0
	.set _ZN7rocprim17ROCPRIM_400000_NS6detail17trampoline_kernelINS0_14default_configENS1_35radix_sort_onesweep_config_selectorIjNS0_10empty_typeEEEZNS1_34radix_sort_onesweep_global_offsetsIS3_Lb0EPKjPS5_mNS0_19identity_decomposerEEE10hipError_tT1_T2_PT3_SF_jT4_jjP12ihipStream_tbEUlT_E0_NS1_11comp_targetILNS1_3genE5ELNS1_11target_archE942ELNS1_3gpuE9ELNS1_3repE0EEENS1_52radix_sort_onesweep_histogram_config_static_selectorELNS0_4arch9wavefront6targetE0EEEvSD_.private_seg_size, 0
	.set _ZN7rocprim17ROCPRIM_400000_NS6detail17trampoline_kernelINS0_14default_configENS1_35radix_sort_onesweep_config_selectorIjNS0_10empty_typeEEEZNS1_34radix_sort_onesweep_global_offsetsIS3_Lb0EPKjPS5_mNS0_19identity_decomposerEEE10hipError_tT1_T2_PT3_SF_jT4_jjP12ihipStream_tbEUlT_E0_NS1_11comp_targetILNS1_3genE5ELNS1_11target_archE942ELNS1_3gpuE9ELNS1_3repE0EEENS1_52radix_sort_onesweep_histogram_config_static_selectorELNS0_4arch9wavefront6targetE0EEEvSD_.uses_vcc, 0
	.set _ZN7rocprim17ROCPRIM_400000_NS6detail17trampoline_kernelINS0_14default_configENS1_35radix_sort_onesweep_config_selectorIjNS0_10empty_typeEEEZNS1_34radix_sort_onesweep_global_offsetsIS3_Lb0EPKjPS5_mNS0_19identity_decomposerEEE10hipError_tT1_T2_PT3_SF_jT4_jjP12ihipStream_tbEUlT_E0_NS1_11comp_targetILNS1_3genE5ELNS1_11target_archE942ELNS1_3gpuE9ELNS1_3repE0EEENS1_52radix_sort_onesweep_histogram_config_static_selectorELNS0_4arch9wavefront6targetE0EEEvSD_.uses_flat_scratch, 0
	.set _ZN7rocprim17ROCPRIM_400000_NS6detail17trampoline_kernelINS0_14default_configENS1_35radix_sort_onesweep_config_selectorIjNS0_10empty_typeEEEZNS1_34radix_sort_onesweep_global_offsetsIS3_Lb0EPKjPS5_mNS0_19identity_decomposerEEE10hipError_tT1_T2_PT3_SF_jT4_jjP12ihipStream_tbEUlT_E0_NS1_11comp_targetILNS1_3genE5ELNS1_11target_archE942ELNS1_3gpuE9ELNS1_3repE0EEENS1_52radix_sort_onesweep_histogram_config_static_selectorELNS0_4arch9wavefront6targetE0EEEvSD_.has_dyn_sized_stack, 0
	.set _ZN7rocprim17ROCPRIM_400000_NS6detail17trampoline_kernelINS0_14default_configENS1_35radix_sort_onesweep_config_selectorIjNS0_10empty_typeEEEZNS1_34radix_sort_onesweep_global_offsetsIS3_Lb0EPKjPS5_mNS0_19identity_decomposerEEE10hipError_tT1_T2_PT3_SF_jT4_jjP12ihipStream_tbEUlT_E0_NS1_11comp_targetILNS1_3genE5ELNS1_11target_archE942ELNS1_3gpuE9ELNS1_3repE0EEENS1_52radix_sort_onesweep_histogram_config_static_selectorELNS0_4arch9wavefront6targetE0EEEvSD_.has_recursion, 0
	.set _ZN7rocprim17ROCPRIM_400000_NS6detail17trampoline_kernelINS0_14default_configENS1_35radix_sort_onesweep_config_selectorIjNS0_10empty_typeEEEZNS1_34radix_sort_onesweep_global_offsetsIS3_Lb0EPKjPS5_mNS0_19identity_decomposerEEE10hipError_tT1_T2_PT3_SF_jT4_jjP12ihipStream_tbEUlT_E0_NS1_11comp_targetILNS1_3genE5ELNS1_11target_archE942ELNS1_3gpuE9ELNS1_3repE0EEENS1_52radix_sort_onesweep_histogram_config_static_selectorELNS0_4arch9wavefront6targetE0EEEvSD_.has_indirect_call, 0
	.section	.AMDGPU.csdata,"",@progbits
; Kernel info:
; codeLenInByte = 0
; TotalNumSgprs: 0
; NumVgprs: 0
; ScratchSize: 0
; MemoryBound: 0
; FloatMode: 240
; IeeeMode: 1
; LDSByteSize: 0 bytes/workgroup (compile time only)
; SGPRBlocks: 0
; VGPRBlocks: 0
; NumSGPRsForWavesPerEU: 1
; NumVGPRsForWavesPerEU: 1
; NamedBarCnt: 0
; Occupancy: 16
; WaveLimiterHint : 0
; COMPUTE_PGM_RSRC2:SCRATCH_EN: 0
; COMPUTE_PGM_RSRC2:USER_SGPR: 2
; COMPUTE_PGM_RSRC2:TRAP_HANDLER: 0
; COMPUTE_PGM_RSRC2:TGID_X_EN: 1
; COMPUTE_PGM_RSRC2:TGID_Y_EN: 0
; COMPUTE_PGM_RSRC2:TGID_Z_EN: 0
; COMPUTE_PGM_RSRC2:TIDIG_COMP_CNT: 0
	.section	.text._ZN7rocprim17ROCPRIM_400000_NS6detail17trampoline_kernelINS0_14default_configENS1_35radix_sort_onesweep_config_selectorIjNS0_10empty_typeEEEZNS1_34radix_sort_onesweep_global_offsetsIS3_Lb0EPKjPS5_mNS0_19identity_decomposerEEE10hipError_tT1_T2_PT3_SF_jT4_jjP12ihipStream_tbEUlT_E0_NS1_11comp_targetILNS1_3genE2ELNS1_11target_archE906ELNS1_3gpuE6ELNS1_3repE0EEENS1_52radix_sort_onesweep_histogram_config_static_selectorELNS0_4arch9wavefront6targetE0EEEvSD_,"axG",@progbits,_ZN7rocprim17ROCPRIM_400000_NS6detail17trampoline_kernelINS0_14default_configENS1_35radix_sort_onesweep_config_selectorIjNS0_10empty_typeEEEZNS1_34radix_sort_onesweep_global_offsetsIS3_Lb0EPKjPS5_mNS0_19identity_decomposerEEE10hipError_tT1_T2_PT3_SF_jT4_jjP12ihipStream_tbEUlT_E0_NS1_11comp_targetILNS1_3genE2ELNS1_11target_archE906ELNS1_3gpuE6ELNS1_3repE0EEENS1_52radix_sort_onesweep_histogram_config_static_selectorELNS0_4arch9wavefront6targetE0EEEvSD_,comdat
	.protected	_ZN7rocprim17ROCPRIM_400000_NS6detail17trampoline_kernelINS0_14default_configENS1_35radix_sort_onesweep_config_selectorIjNS0_10empty_typeEEEZNS1_34radix_sort_onesweep_global_offsetsIS3_Lb0EPKjPS5_mNS0_19identity_decomposerEEE10hipError_tT1_T2_PT3_SF_jT4_jjP12ihipStream_tbEUlT_E0_NS1_11comp_targetILNS1_3genE2ELNS1_11target_archE906ELNS1_3gpuE6ELNS1_3repE0EEENS1_52radix_sort_onesweep_histogram_config_static_selectorELNS0_4arch9wavefront6targetE0EEEvSD_ ; -- Begin function _ZN7rocprim17ROCPRIM_400000_NS6detail17trampoline_kernelINS0_14default_configENS1_35radix_sort_onesweep_config_selectorIjNS0_10empty_typeEEEZNS1_34radix_sort_onesweep_global_offsetsIS3_Lb0EPKjPS5_mNS0_19identity_decomposerEEE10hipError_tT1_T2_PT3_SF_jT4_jjP12ihipStream_tbEUlT_E0_NS1_11comp_targetILNS1_3genE2ELNS1_11target_archE906ELNS1_3gpuE6ELNS1_3repE0EEENS1_52radix_sort_onesweep_histogram_config_static_selectorELNS0_4arch9wavefront6targetE0EEEvSD_
	.globl	_ZN7rocprim17ROCPRIM_400000_NS6detail17trampoline_kernelINS0_14default_configENS1_35radix_sort_onesweep_config_selectorIjNS0_10empty_typeEEEZNS1_34radix_sort_onesweep_global_offsetsIS3_Lb0EPKjPS5_mNS0_19identity_decomposerEEE10hipError_tT1_T2_PT3_SF_jT4_jjP12ihipStream_tbEUlT_E0_NS1_11comp_targetILNS1_3genE2ELNS1_11target_archE906ELNS1_3gpuE6ELNS1_3repE0EEENS1_52radix_sort_onesweep_histogram_config_static_selectorELNS0_4arch9wavefront6targetE0EEEvSD_
	.p2align	8
	.type	_ZN7rocprim17ROCPRIM_400000_NS6detail17trampoline_kernelINS0_14default_configENS1_35radix_sort_onesweep_config_selectorIjNS0_10empty_typeEEEZNS1_34radix_sort_onesweep_global_offsetsIS3_Lb0EPKjPS5_mNS0_19identity_decomposerEEE10hipError_tT1_T2_PT3_SF_jT4_jjP12ihipStream_tbEUlT_E0_NS1_11comp_targetILNS1_3genE2ELNS1_11target_archE906ELNS1_3gpuE6ELNS1_3repE0EEENS1_52radix_sort_onesweep_histogram_config_static_selectorELNS0_4arch9wavefront6targetE0EEEvSD_,@function
_ZN7rocprim17ROCPRIM_400000_NS6detail17trampoline_kernelINS0_14default_configENS1_35radix_sort_onesweep_config_selectorIjNS0_10empty_typeEEEZNS1_34radix_sort_onesweep_global_offsetsIS3_Lb0EPKjPS5_mNS0_19identity_decomposerEEE10hipError_tT1_T2_PT3_SF_jT4_jjP12ihipStream_tbEUlT_E0_NS1_11comp_targetILNS1_3genE2ELNS1_11target_archE906ELNS1_3gpuE6ELNS1_3repE0EEENS1_52radix_sort_onesweep_histogram_config_static_selectorELNS0_4arch9wavefront6targetE0EEEvSD_: ; @_ZN7rocprim17ROCPRIM_400000_NS6detail17trampoline_kernelINS0_14default_configENS1_35radix_sort_onesweep_config_selectorIjNS0_10empty_typeEEEZNS1_34radix_sort_onesweep_global_offsetsIS3_Lb0EPKjPS5_mNS0_19identity_decomposerEEE10hipError_tT1_T2_PT3_SF_jT4_jjP12ihipStream_tbEUlT_E0_NS1_11comp_targetILNS1_3genE2ELNS1_11target_archE906ELNS1_3gpuE6ELNS1_3repE0EEENS1_52radix_sort_onesweep_histogram_config_static_selectorELNS0_4arch9wavefront6targetE0EEEvSD_
; %bb.0:
	.section	.rodata,"a",@progbits
	.p2align	6, 0x0
	.amdhsa_kernel _ZN7rocprim17ROCPRIM_400000_NS6detail17trampoline_kernelINS0_14default_configENS1_35radix_sort_onesweep_config_selectorIjNS0_10empty_typeEEEZNS1_34radix_sort_onesweep_global_offsetsIS3_Lb0EPKjPS5_mNS0_19identity_decomposerEEE10hipError_tT1_T2_PT3_SF_jT4_jjP12ihipStream_tbEUlT_E0_NS1_11comp_targetILNS1_3genE2ELNS1_11target_archE906ELNS1_3gpuE6ELNS1_3repE0EEENS1_52radix_sort_onesweep_histogram_config_static_selectorELNS0_4arch9wavefront6targetE0EEEvSD_
		.amdhsa_group_segment_fixed_size 0
		.amdhsa_private_segment_fixed_size 0
		.amdhsa_kernarg_size 8
		.amdhsa_user_sgpr_count 2
		.amdhsa_user_sgpr_dispatch_ptr 0
		.amdhsa_user_sgpr_queue_ptr 0
		.amdhsa_user_sgpr_kernarg_segment_ptr 1
		.amdhsa_user_sgpr_dispatch_id 0
		.amdhsa_user_sgpr_kernarg_preload_length 0
		.amdhsa_user_sgpr_kernarg_preload_offset 0
		.amdhsa_user_sgpr_private_segment_size 0
		.amdhsa_wavefront_size32 1
		.amdhsa_uses_dynamic_stack 0
		.amdhsa_enable_private_segment 0
		.amdhsa_system_sgpr_workgroup_id_x 1
		.amdhsa_system_sgpr_workgroup_id_y 0
		.amdhsa_system_sgpr_workgroup_id_z 0
		.amdhsa_system_sgpr_workgroup_info 0
		.amdhsa_system_vgpr_workitem_id 0
		.amdhsa_next_free_vgpr 1
		.amdhsa_next_free_sgpr 1
		.amdhsa_named_barrier_count 0
		.amdhsa_reserve_vcc 0
		.amdhsa_float_round_mode_32 0
		.amdhsa_float_round_mode_16_64 0
		.amdhsa_float_denorm_mode_32 3
		.amdhsa_float_denorm_mode_16_64 3
		.amdhsa_fp16_overflow 0
		.amdhsa_memory_ordered 1
		.amdhsa_forward_progress 1
		.amdhsa_inst_pref_size 0
		.amdhsa_round_robin_scheduling 0
		.amdhsa_exception_fp_ieee_invalid_op 0
		.amdhsa_exception_fp_denorm_src 0
		.amdhsa_exception_fp_ieee_div_zero 0
		.amdhsa_exception_fp_ieee_overflow 0
		.amdhsa_exception_fp_ieee_underflow 0
		.amdhsa_exception_fp_ieee_inexact 0
		.amdhsa_exception_int_div_zero 0
	.end_amdhsa_kernel
	.section	.text._ZN7rocprim17ROCPRIM_400000_NS6detail17trampoline_kernelINS0_14default_configENS1_35radix_sort_onesweep_config_selectorIjNS0_10empty_typeEEEZNS1_34radix_sort_onesweep_global_offsetsIS3_Lb0EPKjPS5_mNS0_19identity_decomposerEEE10hipError_tT1_T2_PT3_SF_jT4_jjP12ihipStream_tbEUlT_E0_NS1_11comp_targetILNS1_3genE2ELNS1_11target_archE906ELNS1_3gpuE6ELNS1_3repE0EEENS1_52radix_sort_onesweep_histogram_config_static_selectorELNS0_4arch9wavefront6targetE0EEEvSD_,"axG",@progbits,_ZN7rocprim17ROCPRIM_400000_NS6detail17trampoline_kernelINS0_14default_configENS1_35radix_sort_onesweep_config_selectorIjNS0_10empty_typeEEEZNS1_34radix_sort_onesweep_global_offsetsIS3_Lb0EPKjPS5_mNS0_19identity_decomposerEEE10hipError_tT1_T2_PT3_SF_jT4_jjP12ihipStream_tbEUlT_E0_NS1_11comp_targetILNS1_3genE2ELNS1_11target_archE906ELNS1_3gpuE6ELNS1_3repE0EEENS1_52radix_sort_onesweep_histogram_config_static_selectorELNS0_4arch9wavefront6targetE0EEEvSD_,comdat
.Lfunc_end2738:
	.size	_ZN7rocprim17ROCPRIM_400000_NS6detail17trampoline_kernelINS0_14default_configENS1_35radix_sort_onesweep_config_selectorIjNS0_10empty_typeEEEZNS1_34radix_sort_onesweep_global_offsetsIS3_Lb0EPKjPS5_mNS0_19identity_decomposerEEE10hipError_tT1_T2_PT3_SF_jT4_jjP12ihipStream_tbEUlT_E0_NS1_11comp_targetILNS1_3genE2ELNS1_11target_archE906ELNS1_3gpuE6ELNS1_3repE0EEENS1_52radix_sort_onesweep_histogram_config_static_selectorELNS0_4arch9wavefront6targetE0EEEvSD_, .Lfunc_end2738-_ZN7rocprim17ROCPRIM_400000_NS6detail17trampoline_kernelINS0_14default_configENS1_35radix_sort_onesweep_config_selectorIjNS0_10empty_typeEEEZNS1_34radix_sort_onesweep_global_offsetsIS3_Lb0EPKjPS5_mNS0_19identity_decomposerEEE10hipError_tT1_T2_PT3_SF_jT4_jjP12ihipStream_tbEUlT_E0_NS1_11comp_targetILNS1_3genE2ELNS1_11target_archE906ELNS1_3gpuE6ELNS1_3repE0EEENS1_52radix_sort_onesweep_histogram_config_static_selectorELNS0_4arch9wavefront6targetE0EEEvSD_
                                        ; -- End function
	.set _ZN7rocprim17ROCPRIM_400000_NS6detail17trampoline_kernelINS0_14default_configENS1_35radix_sort_onesweep_config_selectorIjNS0_10empty_typeEEEZNS1_34radix_sort_onesweep_global_offsetsIS3_Lb0EPKjPS5_mNS0_19identity_decomposerEEE10hipError_tT1_T2_PT3_SF_jT4_jjP12ihipStream_tbEUlT_E0_NS1_11comp_targetILNS1_3genE2ELNS1_11target_archE906ELNS1_3gpuE6ELNS1_3repE0EEENS1_52radix_sort_onesweep_histogram_config_static_selectorELNS0_4arch9wavefront6targetE0EEEvSD_.num_vgpr, 0
	.set _ZN7rocprim17ROCPRIM_400000_NS6detail17trampoline_kernelINS0_14default_configENS1_35radix_sort_onesweep_config_selectorIjNS0_10empty_typeEEEZNS1_34radix_sort_onesweep_global_offsetsIS3_Lb0EPKjPS5_mNS0_19identity_decomposerEEE10hipError_tT1_T2_PT3_SF_jT4_jjP12ihipStream_tbEUlT_E0_NS1_11comp_targetILNS1_3genE2ELNS1_11target_archE906ELNS1_3gpuE6ELNS1_3repE0EEENS1_52radix_sort_onesweep_histogram_config_static_selectorELNS0_4arch9wavefront6targetE0EEEvSD_.num_agpr, 0
	.set _ZN7rocprim17ROCPRIM_400000_NS6detail17trampoline_kernelINS0_14default_configENS1_35radix_sort_onesweep_config_selectorIjNS0_10empty_typeEEEZNS1_34radix_sort_onesweep_global_offsetsIS3_Lb0EPKjPS5_mNS0_19identity_decomposerEEE10hipError_tT1_T2_PT3_SF_jT4_jjP12ihipStream_tbEUlT_E0_NS1_11comp_targetILNS1_3genE2ELNS1_11target_archE906ELNS1_3gpuE6ELNS1_3repE0EEENS1_52radix_sort_onesweep_histogram_config_static_selectorELNS0_4arch9wavefront6targetE0EEEvSD_.numbered_sgpr, 0
	.set _ZN7rocprim17ROCPRIM_400000_NS6detail17trampoline_kernelINS0_14default_configENS1_35radix_sort_onesweep_config_selectorIjNS0_10empty_typeEEEZNS1_34radix_sort_onesweep_global_offsetsIS3_Lb0EPKjPS5_mNS0_19identity_decomposerEEE10hipError_tT1_T2_PT3_SF_jT4_jjP12ihipStream_tbEUlT_E0_NS1_11comp_targetILNS1_3genE2ELNS1_11target_archE906ELNS1_3gpuE6ELNS1_3repE0EEENS1_52radix_sort_onesweep_histogram_config_static_selectorELNS0_4arch9wavefront6targetE0EEEvSD_.num_named_barrier, 0
	.set _ZN7rocprim17ROCPRIM_400000_NS6detail17trampoline_kernelINS0_14default_configENS1_35radix_sort_onesweep_config_selectorIjNS0_10empty_typeEEEZNS1_34radix_sort_onesweep_global_offsetsIS3_Lb0EPKjPS5_mNS0_19identity_decomposerEEE10hipError_tT1_T2_PT3_SF_jT4_jjP12ihipStream_tbEUlT_E0_NS1_11comp_targetILNS1_3genE2ELNS1_11target_archE906ELNS1_3gpuE6ELNS1_3repE0EEENS1_52radix_sort_onesweep_histogram_config_static_selectorELNS0_4arch9wavefront6targetE0EEEvSD_.private_seg_size, 0
	.set _ZN7rocprim17ROCPRIM_400000_NS6detail17trampoline_kernelINS0_14default_configENS1_35radix_sort_onesweep_config_selectorIjNS0_10empty_typeEEEZNS1_34radix_sort_onesweep_global_offsetsIS3_Lb0EPKjPS5_mNS0_19identity_decomposerEEE10hipError_tT1_T2_PT3_SF_jT4_jjP12ihipStream_tbEUlT_E0_NS1_11comp_targetILNS1_3genE2ELNS1_11target_archE906ELNS1_3gpuE6ELNS1_3repE0EEENS1_52radix_sort_onesweep_histogram_config_static_selectorELNS0_4arch9wavefront6targetE0EEEvSD_.uses_vcc, 0
	.set _ZN7rocprim17ROCPRIM_400000_NS6detail17trampoline_kernelINS0_14default_configENS1_35radix_sort_onesweep_config_selectorIjNS0_10empty_typeEEEZNS1_34radix_sort_onesweep_global_offsetsIS3_Lb0EPKjPS5_mNS0_19identity_decomposerEEE10hipError_tT1_T2_PT3_SF_jT4_jjP12ihipStream_tbEUlT_E0_NS1_11comp_targetILNS1_3genE2ELNS1_11target_archE906ELNS1_3gpuE6ELNS1_3repE0EEENS1_52radix_sort_onesweep_histogram_config_static_selectorELNS0_4arch9wavefront6targetE0EEEvSD_.uses_flat_scratch, 0
	.set _ZN7rocprim17ROCPRIM_400000_NS6detail17trampoline_kernelINS0_14default_configENS1_35radix_sort_onesweep_config_selectorIjNS0_10empty_typeEEEZNS1_34radix_sort_onesweep_global_offsetsIS3_Lb0EPKjPS5_mNS0_19identity_decomposerEEE10hipError_tT1_T2_PT3_SF_jT4_jjP12ihipStream_tbEUlT_E0_NS1_11comp_targetILNS1_3genE2ELNS1_11target_archE906ELNS1_3gpuE6ELNS1_3repE0EEENS1_52radix_sort_onesweep_histogram_config_static_selectorELNS0_4arch9wavefront6targetE0EEEvSD_.has_dyn_sized_stack, 0
	.set _ZN7rocprim17ROCPRIM_400000_NS6detail17trampoline_kernelINS0_14default_configENS1_35radix_sort_onesweep_config_selectorIjNS0_10empty_typeEEEZNS1_34radix_sort_onesweep_global_offsetsIS3_Lb0EPKjPS5_mNS0_19identity_decomposerEEE10hipError_tT1_T2_PT3_SF_jT4_jjP12ihipStream_tbEUlT_E0_NS1_11comp_targetILNS1_3genE2ELNS1_11target_archE906ELNS1_3gpuE6ELNS1_3repE0EEENS1_52radix_sort_onesweep_histogram_config_static_selectorELNS0_4arch9wavefront6targetE0EEEvSD_.has_recursion, 0
	.set _ZN7rocprim17ROCPRIM_400000_NS6detail17trampoline_kernelINS0_14default_configENS1_35radix_sort_onesweep_config_selectorIjNS0_10empty_typeEEEZNS1_34radix_sort_onesweep_global_offsetsIS3_Lb0EPKjPS5_mNS0_19identity_decomposerEEE10hipError_tT1_T2_PT3_SF_jT4_jjP12ihipStream_tbEUlT_E0_NS1_11comp_targetILNS1_3genE2ELNS1_11target_archE906ELNS1_3gpuE6ELNS1_3repE0EEENS1_52radix_sort_onesweep_histogram_config_static_selectorELNS0_4arch9wavefront6targetE0EEEvSD_.has_indirect_call, 0
	.section	.AMDGPU.csdata,"",@progbits
; Kernel info:
; codeLenInByte = 0
; TotalNumSgprs: 0
; NumVgprs: 0
; ScratchSize: 0
; MemoryBound: 0
; FloatMode: 240
; IeeeMode: 1
; LDSByteSize: 0 bytes/workgroup (compile time only)
; SGPRBlocks: 0
; VGPRBlocks: 0
; NumSGPRsForWavesPerEU: 1
; NumVGPRsForWavesPerEU: 1
; NamedBarCnt: 0
; Occupancy: 16
; WaveLimiterHint : 0
; COMPUTE_PGM_RSRC2:SCRATCH_EN: 0
; COMPUTE_PGM_RSRC2:USER_SGPR: 2
; COMPUTE_PGM_RSRC2:TRAP_HANDLER: 0
; COMPUTE_PGM_RSRC2:TGID_X_EN: 1
; COMPUTE_PGM_RSRC2:TGID_Y_EN: 0
; COMPUTE_PGM_RSRC2:TGID_Z_EN: 0
; COMPUTE_PGM_RSRC2:TIDIG_COMP_CNT: 0
	.section	.text._ZN7rocprim17ROCPRIM_400000_NS6detail17trampoline_kernelINS0_14default_configENS1_35radix_sort_onesweep_config_selectorIjNS0_10empty_typeEEEZNS1_34radix_sort_onesweep_global_offsetsIS3_Lb0EPKjPS5_mNS0_19identity_decomposerEEE10hipError_tT1_T2_PT3_SF_jT4_jjP12ihipStream_tbEUlT_E0_NS1_11comp_targetILNS1_3genE4ELNS1_11target_archE910ELNS1_3gpuE8ELNS1_3repE0EEENS1_52radix_sort_onesweep_histogram_config_static_selectorELNS0_4arch9wavefront6targetE0EEEvSD_,"axG",@progbits,_ZN7rocprim17ROCPRIM_400000_NS6detail17trampoline_kernelINS0_14default_configENS1_35radix_sort_onesweep_config_selectorIjNS0_10empty_typeEEEZNS1_34radix_sort_onesweep_global_offsetsIS3_Lb0EPKjPS5_mNS0_19identity_decomposerEEE10hipError_tT1_T2_PT3_SF_jT4_jjP12ihipStream_tbEUlT_E0_NS1_11comp_targetILNS1_3genE4ELNS1_11target_archE910ELNS1_3gpuE8ELNS1_3repE0EEENS1_52radix_sort_onesweep_histogram_config_static_selectorELNS0_4arch9wavefront6targetE0EEEvSD_,comdat
	.protected	_ZN7rocprim17ROCPRIM_400000_NS6detail17trampoline_kernelINS0_14default_configENS1_35radix_sort_onesweep_config_selectorIjNS0_10empty_typeEEEZNS1_34radix_sort_onesweep_global_offsetsIS3_Lb0EPKjPS5_mNS0_19identity_decomposerEEE10hipError_tT1_T2_PT3_SF_jT4_jjP12ihipStream_tbEUlT_E0_NS1_11comp_targetILNS1_3genE4ELNS1_11target_archE910ELNS1_3gpuE8ELNS1_3repE0EEENS1_52radix_sort_onesweep_histogram_config_static_selectorELNS0_4arch9wavefront6targetE0EEEvSD_ ; -- Begin function _ZN7rocprim17ROCPRIM_400000_NS6detail17trampoline_kernelINS0_14default_configENS1_35radix_sort_onesweep_config_selectorIjNS0_10empty_typeEEEZNS1_34radix_sort_onesweep_global_offsetsIS3_Lb0EPKjPS5_mNS0_19identity_decomposerEEE10hipError_tT1_T2_PT3_SF_jT4_jjP12ihipStream_tbEUlT_E0_NS1_11comp_targetILNS1_3genE4ELNS1_11target_archE910ELNS1_3gpuE8ELNS1_3repE0EEENS1_52radix_sort_onesweep_histogram_config_static_selectorELNS0_4arch9wavefront6targetE0EEEvSD_
	.globl	_ZN7rocprim17ROCPRIM_400000_NS6detail17trampoline_kernelINS0_14default_configENS1_35radix_sort_onesweep_config_selectorIjNS0_10empty_typeEEEZNS1_34radix_sort_onesweep_global_offsetsIS3_Lb0EPKjPS5_mNS0_19identity_decomposerEEE10hipError_tT1_T2_PT3_SF_jT4_jjP12ihipStream_tbEUlT_E0_NS1_11comp_targetILNS1_3genE4ELNS1_11target_archE910ELNS1_3gpuE8ELNS1_3repE0EEENS1_52radix_sort_onesweep_histogram_config_static_selectorELNS0_4arch9wavefront6targetE0EEEvSD_
	.p2align	8
	.type	_ZN7rocprim17ROCPRIM_400000_NS6detail17trampoline_kernelINS0_14default_configENS1_35radix_sort_onesweep_config_selectorIjNS0_10empty_typeEEEZNS1_34radix_sort_onesweep_global_offsetsIS3_Lb0EPKjPS5_mNS0_19identity_decomposerEEE10hipError_tT1_T2_PT3_SF_jT4_jjP12ihipStream_tbEUlT_E0_NS1_11comp_targetILNS1_3genE4ELNS1_11target_archE910ELNS1_3gpuE8ELNS1_3repE0EEENS1_52radix_sort_onesweep_histogram_config_static_selectorELNS0_4arch9wavefront6targetE0EEEvSD_,@function
_ZN7rocprim17ROCPRIM_400000_NS6detail17trampoline_kernelINS0_14default_configENS1_35radix_sort_onesweep_config_selectorIjNS0_10empty_typeEEEZNS1_34radix_sort_onesweep_global_offsetsIS3_Lb0EPKjPS5_mNS0_19identity_decomposerEEE10hipError_tT1_T2_PT3_SF_jT4_jjP12ihipStream_tbEUlT_E0_NS1_11comp_targetILNS1_3genE4ELNS1_11target_archE910ELNS1_3gpuE8ELNS1_3repE0EEENS1_52radix_sort_onesweep_histogram_config_static_selectorELNS0_4arch9wavefront6targetE0EEEvSD_: ; @_ZN7rocprim17ROCPRIM_400000_NS6detail17trampoline_kernelINS0_14default_configENS1_35radix_sort_onesweep_config_selectorIjNS0_10empty_typeEEEZNS1_34radix_sort_onesweep_global_offsetsIS3_Lb0EPKjPS5_mNS0_19identity_decomposerEEE10hipError_tT1_T2_PT3_SF_jT4_jjP12ihipStream_tbEUlT_E0_NS1_11comp_targetILNS1_3genE4ELNS1_11target_archE910ELNS1_3gpuE8ELNS1_3repE0EEENS1_52radix_sort_onesweep_histogram_config_static_selectorELNS0_4arch9wavefront6targetE0EEEvSD_
; %bb.0:
	.section	.rodata,"a",@progbits
	.p2align	6, 0x0
	.amdhsa_kernel _ZN7rocprim17ROCPRIM_400000_NS6detail17trampoline_kernelINS0_14default_configENS1_35radix_sort_onesweep_config_selectorIjNS0_10empty_typeEEEZNS1_34radix_sort_onesweep_global_offsetsIS3_Lb0EPKjPS5_mNS0_19identity_decomposerEEE10hipError_tT1_T2_PT3_SF_jT4_jjP12ihipStream_tbEUlT_E0_NS1_11comp_targetILNS1_3genE4ELNS1_11target_archE910ELNS1_3gpuE8ELNS1_3repE0EEENS1_52radix_sort_onesweep_histogram_config_static_selectorELNS0_4arch9wavefront6targetE0EEEvSD_
		.amdhsa_group_segment_fixed_size 0
		.amdhsa_private_segment_fixed_size 0
		.amdhsa_kernarg_size 8
		.amdhsa_user_sgpr_count 2
		.amdhsa_user_sgpr_dispatch_ptr 0
		.amdhsa_user_sgpr_queue_ptr 0
		.amdhsa_user_sgpr_kernarg_segment_ptr 1
		.amdhsa_user_sgpr_dispatch_id 0
		.amdhsa_user_sgpr_kernarg_preload_length 0
		.amdhsa_user_sgpr_kernarg_preload_offset 0
		.amdhsa_user_sgpr_private_segment_size 0
		.amdhsa_wavefront_size32 1
		.amdhsa_uses_dynamic_stack 0
		.amdhsa_enable_private_segment 0
		.amdhsa_system_sgpr_workgroup_id_x 1
		.amdhsa_system_sgpr_workgroup_id_y 0
		.amdhsa_system_sgpr_workgroup_id_z 0
		.amdhsa_system_sgpr_workgroup_info 0
		.amdhsa_system_vgpr_workitem_id 0
		.amdhsa_next_free_vgpr 1
		.amdhsa_next_free_sgpr 1
		.amdhsa_named_barrier_count 0
		.amdhsa_reserve_vcc 0
		.amdhsa_float_round_mode_32 0
		.amdhsa_float_round_mode_16_64 0
		.amdhsa_float_denorm_mode_32 3
		.amdhsa_float_denorm_mode_16_64 3
		.amdhsa_fp16_overflow 0
		.amdhsa_memory_ordered 1
		.amdhsa_forward_progress 1
		.amdhsa_inst_pref_size 0
		.amdhsa_round_robin_scheduling 0
		.amdhsa_exception_fp_ieee_invalid_op 0
		.amdhsa_exception_fp_denorm_src 0
		.amdhsa_exception_fp_ieee_div_zero 0
		.amdhsa_exception_fp_ieee_overflow 0
		.amdhsa_exception_fp_ieee_underflow 0
		.amdhsa_exception_fp_ieee_inexact 0
		.amdhsa_exception_int_div_zero 0
	.end_amdhsa_kernel
	.section	.text._ZN7rocprim17ROCPRIM_400000_NS6detail17trampoline_kernelINS0_14default_configENS1_35radix_sort_onesweep_config_selectorIjNS0_10empty_typeEEEZNS1_34radix_sort_onesweep_global_offsetsIS3_Lb0EPKjPS5_mNS0_19identity_decomposerEEE10hipError_tT1_T2_PT3_SF_jT4_jjP12ihipStream_tbEUlT_E0_NS1_11comp_targetILNS1_3genE4ELNS1_11target_archE910ELNS1_3gpuE8ELNS1_3repE0EEENS1_52radix_sort_onesweep_histogram_config_static_selectorELNS0_4arch9wavefront6targetE0EEEvSD_,"axG",@progbits,_ZN7rocprim17ROCPRIM_400000_NS6detail17trampoline_kernelINS0_14default_configENS1_35radix_sort_onesweep_config_selectorIjNS0_10empty_typeEEEZNS1_34radix_sort_onesweep_global_offsetsIS3_Lb0EPKjPS5_mNS0_19identity_decomposerEEE10hipError_tT1_T2_PT3_SF_jT4_jjP12ihipStream_tbEUlT_E0_NS1_11comp_targetILNS1_3genE4ELNS1_11target_archE910ELNS1_3gpuE8ELNS1_3repE0EEENS1_52radix_sort_onesweep_histogram_config_static_selectorELNS0_4arch9wavefront6targetE0EEEvSD_,comdat
.Lfunc_end2739:
	.size	_ZN7rocprim17ROCPRIM_400000_NS6detail17trampoline_kernelINS0_14default_configENS1_35radix_sort_onesweep_config_selectorIjNS0_10empty_typeEEEZNS1_34radix_sort_onesweep_global_offsetsIS3_Lb0EPKjPS5_mNS0_19identity_decomposerEEE10hipError_tT1_T2_PT3_SF_jT4_jjP12ihipStream_tbEUlT_E0_NS1_11comp_targetILNS1_3genE4ELNS1_11target_archE910ELNS1_3gpuE8ELNS1_3repE0EEENS1_52radix_sort_onesweep_histogram_config_static_selectorELNS0_4arch9wavefront6targetE0EEEvSD_, .Lfunc_end2739-_ZN7rocprim17ROCPRIM_400000_NS6detail17trampoline_kernelINS0_14default_configENS1_35radix_sort_onesweep_config_selectorIjNS0_10empty_typeEEEZNS1_34radix_sort_onesweep_global_offsetsIS3_Lb0EPKjPS5_mNS0_19identity_decomposerEEE10hipError_tT1_T2_PT3_SF_jT4_jjP12ihipStream_tbEUlT_E0_NS1_11comp_targetILNS1_3genE4ELNS1_11target_archE910ELNS1_3gpuE8ELNS1_3repE0EEENS1_52radix_sort_onesweep_histogram_config_static_selectorELNS0_4arch9wavefront6targetE0EEEvSD_
                                        ; -- End function
	.set _ZN7rocprim17ROCPRIM_400000_NS6detail17trampoline_kernelINS0_14default_configENS1_35radix_sort_onesweep_config_selectorIjNS0_10empty_typeEEEZNS1_34radix_sort_onesweep_global_offsetsIS3_Lb0EPKjPS5_mNS0_19identity_decomposerEEE10hipError_tT1_T2_PT3_SF_jT4_jjP12ihipStream_tbEUlT_E0_NS1_11comp_targetILNS1_3genE4ELNS1_11target_archE910ELNS1_3gpuE8ELNS1_3repE0EEENS1_52radix_sort_onesweep_histogram_config_static_selectorELNS0_4arch9wavefront6targetE0EEEvSD_.num_vgpr, 0
	.set _ZN7rocprim17ROCPRIM_400000_NS6detail17trampoline_kernelINS0_14default_configENS1_35radix_sort_onesweep_config_selectorIjNS0_10empty_typeEEEZNS1_34radix_sort_onesweep_global_offsetsIS3_Lb0EPKjPS5_mNS0_19identity_decomposerEEE10hipError_tT1_T2_PT3_SF_jT4_jjP12ihipStream_tbEUlT_E0_NS1_11comp_targetILNS1_3genE4ELNS1_11target_archE910ELNS1_3gpuE8ELNS1_3repE0EEENS1_52radix_sort_onesweep_histogram_config_static_selectorELNS0_4arch9wavefront6targetE0EEEvSD_.num_agpr, 0
	.set _ZN7rocprim17ROCPRIM_400000_NS6detail17trampoline_kernelINS0_14default_configENS1_35radix_sort_onesweep_config_selectorIjNS0_10empty_typeEEEZNS1_34radix_sort_onesweep_global_offsetsIS3_Lb0EPKjPS5_mNS0_19identity_decomposerEEE10hipError_tT1_T2_PT3_SF_jT4_jjP12ihipStream_tbEUlT_E0_NS1_11comp_targetILNS1_3genE4ELNS1_11target_archE910ELNS1_3gpuE8ELNS1_3repE0EEENS1_52radix_sort_onesweep_histogram_config_static_selectorELNS0_4arch9wavefront6targetE0EEEvSD_.numbered_sgpr, 0
	.set _ZN7rocprim17ROCPRIM_400000_NS6detail17trampoline_kernelINS0_14default_configENS1_35radix_sort_onesweep_config_selectorIjNS0_10empty_typeEEEZNS1_34radix_sort_onesweep_global_offsetsIS3_Lb0EPKjPS5_mNS0_19identity_decomposerEEE10hipError_tT1_T2_PT3_SF_jT4_jjP12ihipStream_tbEUlT_E0_NS1_11comp_targetILNS1_3genE4ELNS1_11target_archE910ELNS1_3gpuE8ELNS1_3repE0EEENS1_52radix_sort_onesweep_histogram_config_static_selectorELNS0_4arch9wavefront6targetE0EEEvSD_.num_named_barrier, 0
	.set _ZN7rocprim17ROCPRIM_400000_NS6detail17trampoline_kernelINS0_14default_configENS1_35radix_sort_onesweep_config_selectorIjNS0_10empty_typeEEEZNS1_34radix_sort_onesweep_global_offsetsIS3_Lb0EPKjPS5_mNS0_19identity_decomposerEEE10hipError_tT1_T2_PT3_SF_jT4_jjP12ihipStream_tbEUlT_E0_NS1_11comp_targetILNS1_3genE4ELNS1_11target_archE910ELNS1_3gpuE8ELNS1_3repE0EEENS1_52radix_sort_onesweep_histogram_config_static_selectorELNS0_4arch9wavefront6targetE0EEEvSD_.private_seg_size, 0
	.set _ZN7rocprim17ROCPRIM_400000_NS6detail17trampoline_kernelINS0_14default_configENS1_35radix_sort_onesweep_config_selectorIjNS0_10empty_typeEEEZNS1_34radix_sort_onesweep_global_offsetsIS3_Lb0EPKjPS5_mNS0_19identity_decomposerEEE10hipError_tT1_T2_PT3_SF_jT4_jjP12ihipStream_tbEUlT_E0_NS1_11comp_targetILNS1_3genE4ELNS1_11target_archE910ELNS1_3gpuE8ELNS1_3repE0EEENS1_52radix_sort_onesweep_histogram_config_static_selectorELNS0_4arch9wavefront6targetE0EEEvSD_.uses_vcc, 0
	.set _ZN7rocprim17ROCPRIM_400000_NS6detail17trampoline_kernelINS0_14default_configENS1_35radix_sort_onesweep_config_selectorIjNS0_10empty_typeEEEZNS1_34radix_sort_onesweep_global_offsetsIS3_Lb0EPKjPS5_mNS0_19identity_decomposerEEE10hipError_tT1_T2_PT3_SF_jT4_jjP12ihipStream_tbEUlT_E0_NS1_11comp_targetILNS1_3genE4ELNS1_11target_archE910ELNS1_3gpuE8ELNS1_3repE0EEENS1_52radix_sort_onesweep_histogram_config_static_selectorELNS0_4arch9wavefront6targetE0EEEvSD_.uses_flat_scratch, 0
	.set _ZN7rocprim17ROCPRIM_400000_NS6detail17trampoline_kernelINS0_14default_configENS1_35radix_sort_onesweep_config_selectorIjNS0_10empty_typeEEEZNS1_34radix_sort_onesweep_global_offsetsIS3_Lb0EPKjPS5_mNS0_19identity_decomposerEEE10hipError_tT1_T2_PT3_SF_jT4_jjP12ihipStream_tbEUlT_E0_NS1_11comp_targetILNS1_3genE4ELNS1_11target_archE910ELNS1_3gpuE8ELNS1_3repE0EEENS1_52radix_sort_onesweep_histogram_config_static_selectorELNS0_4arch9wavefront6targetE0EEEvSD_.has_dyn_sized_stack, 0
	.set _ZN7rocprim17ROCPRIM_400000_NS6detail17trampoline_kernelINS0_14default_configENS1_35radix_sort_onesweep_config_selectorIjNS0_10empty_typeEEEZNS1_34radix_sort_onesweep_global_offsetsIS3_Lb0EPKjPS5_mNS0_19identity_decomposerEEE10hipError_tT1_T2_PT3_SF_jT4_jjP12ihipStream_tbEUlT_E0_NS1_11comp_targetILNS1_3genE4ELNS1_11target_archE910ELNS1_3gpuE8ELNS1_3repE0EEENS1_52radix_sort_onesweep_histogram_config_static_selectorELNS0_4arch9wavefront6targetE0EEEvSD_.has_recursion, 0
	.set _ZN7rocprim17ROCPRIM_400000_NS6detail17trampoline_kernelINS0_14default_configENS1_35radix_sort_onesweep_config_selectorIjNS0_10empty_typeEEEZNS1_34radix_sort_onesweep_global_offsetsIS3_Lb0EPKjPS5_mNS0_19identity_decomposerEEE10hipError_tT1_T2_PT3_SF_jT4_jjP12ihipStream_tbEUlT_E0_NS1_11comp_targetILNS1_3genE4ELNS1_11target_archE910ELNS1_3gpuE8ELNS1_3repE0EEENS1_52radix_sort_onesweep_histogram_config_static_selectorELNS0_4arch9wavefront6targetE0EEEvSD_.has_indirect_call, 0
	.section	.AMDGPU.csdata,"",@progbits
; Kernel info:
; codeLenInByte = 0
; TotalNumSgprs: 0
; NumVgprs: 0
; ScratchSize: 0
; MemoryBound: 0
; FloatMode: 240
; IeeeMode: 1
; LDSByteSize: 0 bytes/workgroup (compile time only)
; SGPRBlocks: 0
; VGPRBlocks: 0
; NumSGPRsForWavesPerEU: 1
; NumVGPRsForWavesPerEU: 1
; NamedBarCnt: 0
; Occupancy: 16
; WaveLimiterHint : 0
; COMPUTE_PGM_RSRC2:SCRATCH_EN: 0
; COMPUTE_PGM_RSRC2:USER_SGPR: 2
; COMPUTE_PGM_RSRC2:TRAP_HANDLER: 0
; COMPUTE_PGM_RSRC2:TGID_X_EN: 1
; COMPUTE_PGM_RSRC2:TGID_Y_EN: 0
; COMPUTE_PGM_RSRC2:TGID_Z_EN: 0
; COMPUTE_PGM_RSRC2:TIDIG_COMP_CNT: 0
	.section	.text._ZN7rocprim17ROCPRIM_400000_NS6detail17trampoline_kernelINS0_14default_configENS1_35radix_sort_onesweep_config_selectorIjNS0_10empty_typeEEEZNS1_34radix_sort_onesweep_global_offsetsIS3_Lb0EPKjPS5_mNS0_19identity_decomposerEEE10hipError_tT1_T2_PT3_SF_jT4_jjP12ihipStream_tbEUlT_E0_NS1_11comp_targetILNS1_3genE3ELNS1_11target_archE908ELNS1_3gpuE7ELNS1_3repE0EEENS1_52radix_sort_onesweep_histogram_config_static_selectorELNS0_4arch9wavefront6targetE0EEEvSD_,"axG",@progbits,_ZN7rocprim17ROCPRIM_400000_NS6detail17trampoline_kernelINS0_14default_configENS1_35radix_sort_onesweep_config_selectorIjNS0_10empty_typeEEEZNS1_34radix_sort_onesweep_global_offsetsIS3_Lb0EPKjPS5_mNS0_19identity_decomposerEEE10hipError_tT1_T2_PT3_SF_jT4_jjP12ihipStream_tbEUlT_E0_NS1_11comp_targetILNS1_3genE3ELNS1_11target_archE908ELNS1_3gpuE7ELNS1_3repE0EEENS1_52radix_sort_onesweep_histogram_config_static_selectorELNS0_4arch9wavefront6targetE0EEEvSD_,comdat
	.protected	_ZN7rocprim17ROCPRIM_400000_NS6detail17trampoline_kernelINS0_14default_configENS1_35radix_sort_onesweep_config_selectorIjNS0_10empty_typeEEEZNS1_34radix_sort_onesweep_global_offsetsIS3_Lb0EPKjPS5_mNS0_19identity_decomposerEEE10hipError_tT1_T2_PT3_SF_jT4_jjP12ihipStream_tbEUlT_E0_NS1_11comp_targetILNS1_3genE3ELNS1_11target_archE908ELNS1_3gpuE7ELNS1_3repE0EEENS1_52radix_sort_onesweep_histogram_config_static_selectorELNS0_4arch9wavefront6targetE0EEEvSD_ ; -- Begin function _ZN7rocprim17ROCPRIM_400000_NS6detail17trampoline_kernelINS0_14default_configENS1_35radix_sort_onesweep_config_selectorIjNS0_10empty_typeEEEZNS1_34radix_sort_onesweep_global_offsetsIS3_Lb0EPKjPS5_mNS0_19identity_decomposerEEE10hipError_tT1_T2_PT3_SF_jT4_jjP12ihipStream_tbEUlT_E0_NS1_11comp_targetILNS1_3genE3ELNS1_11target_archE908ELNS1_3gpuE7ELNS1_3repE0EEENS1_52radix_sort_onesweep_histogram_config_static_selectorELNS0_4arch9wavefront6targetE0EEEvSD_
	.globl	_ZN7rocprim17ROCPRIM_400000_NS6detail17trampoline_kernelINS0_14default_configENS1_35radix_sort_onesweep_config_selectorIjNS0_10empty_typeEEEZNS1_34radix_sort_onesweep_global_offsetsIS3_Lb0EPKjPS5_mNS0_19identity_decomposerEEE10hipError_tT1_T2_PT3_SF_jT4_jjP12ihipStream_tbEUlT_E0_NS1_11comp_targetILNS1_3genE3ELNS1_11target_archE908ELNS1_3gpuE7ELNS1_3repE0EEENS1_52radix_sort_onesweep_histogram_config_static_selectorELNS0_4arch9wavefront6targetE0EEEvSD_
	.p2align	8
	.type	_ZN7rocprim17ROCPRIM_400000_NS6detail17trampoline_kernelINS0_14default_configENS1_35radix_sort_onesweep_config_selectorIjNS0_10empty_typeEEEZNS1_34radix_sort_onesweep_global_offsetsIS3_Lb0EPKjPS5_mNS0_19identity_decomposerEEE10hipError_tT1_T2_PT3_SF_jT4_jjP12ihipStream_tbEUlT_E0_NS1_11comp_targetILNS1_3genE3ELNS1_11target_archE908ELNS1_3gpuE7ELNS1_3repE0EEENS1_52radix_sort_onesweep_histogram_config_static_selectorELNS0_4arch9wavefront6targetE0EEEvSD_,@function
_ZN7rocprim17ROCPRIM_400000_NS6detail17trampoline_kernelINS0_14default_configENS1_35radix_sort_onesweep_config_selectorIjNS0_10empty_typeEEEZNS1_34radix_sort_onesweep_global_offsetsIS3_Lb0EPKjPS5_mNS0_19identity_decomposerEEE10hipError_tT1_T2_PT3_SF_jT4_jjP12ihipStream_tbEUlT_E0_NS1_11comp_targetILNS1_3genE3ELNS1_11target_archE908ELNS1_3gpuE7ELNS1_3repE0EEENS1_52radix_sort_onesweep_histogram_config_static_selectorELNS0_4arch9wavefront6targetE0EEEvSD_: ; @_ZN7rocprim17ROCPRIM_400000_NS6detail17trampoline_kernelINS0_14default_configENS1_35radix_sort_onesweep_config_selectorIjNS0_10empty_typeEEEZNS1_34radix_sort_onesweep_global_offsetsIS3_Lb0EPKjPS5_mNS0_19identity_decomposerEEE10hipError_tT1_T2_PT3_SF_jT4_jjP12ihipStream_tbEUlT_E0_NS1_11comp_targetILNS1_3genE3ELNS1_11target_archE908ELNS1_3gpuE7ELNS1_3repE0EEENS1_52radix_sort_onesweep_histogram_config_static_selectorELNS0_4arch9wavefront6targetE0EEEvSD_
; %bb.0:
	.section	.rodata,"a",@progbits
	.p2align	6, 0x0
	.amdhsa_kernel _ZN7rocprim17ROCPRIM_400000_NS6detail17trampoline_kernelINS0_14default_configENS1_35radix_sort_onesweep_config_selectorIjNS0_10empty_typeEEEZNS1_34radix_sort_onesweep_global_offsetsIS3_Lb0EPKjPS5_mNS0_19identity_decomposerEEE10hipError_tT1_T2_PT3_SF_jT4_jjP12ihipStream_tbEUlT_E0_NS1_11comp_targetILNS1_3genE3ELNS1_11target_archE908ELNS1_3gpuE7ELNS1_3repE0EEENS1_52radix_sort_onesweep_histogram_config_static_selectorELNS0_4arch9wavefront6targetE0EEEvSD_
		.amdhsa_group_segment_fixed_size 0
		.amdhsa_private_segment_fixed_size 0
		.amdhsa_kernarg_size 8
		.amdhsa_user_sgpr_count 2
		.amdhsa_user_sgpr_dispatch_ptr 0
		.amdhsa_user_sgpr_queue_ptr 0
		.amdhsa_user_sgpr_kernarg_segment_ptr 1
		.amdhsa_user_sgpr_dispatch_id 0
		.amdhsa_user_sgpr_kernarg_preload_length 0
		.amdhsa_user_sgpr_kernarg_preload_offset 0
		.amdhsa_user_sgpr_private_segment_size 0
		.amdhsa_wavefront_size32 1
		.amdhsa_uses_dynamic_stack 0
		.amdhsa_enable_private_segment 0
		.amdhsa_system_sgpr_workgroup_id_x 1
		.amdhsa_system_sgpr_workgroup_id_y 0
		.amdhsa_system_sgpr_workgroup_id_z 0
		.amdhsa_system_sgpr_workgroup_info 0
		.amdhsa_system_vgpr_workitem_id 0
		.amdhsa_next_free_vgpr 1
		.amdhsa_next_free_sgpr 1
		.amdhsa_named_barrier_count 0
		.amdhsa_reserve_vcc 0
		.amdhsa_float_round_mode_32 0
		.amdhsa_float_round_mode_16_64 0
		.amdhsa_float_denorm_mode_32 3
		.amdhsa_float_denorm_mode_16_64 3
		.amdhsa_fp16_overflow 0
		.amdhsa_memory_ordered 1
		.amdhsa_forward_progress 1
		.amdhsa_inst_pref_size 0
		.amdhsa_round_robin_scheduling 0
		.amdhsa_exception_fp_ieee_invalid_op 0
		.amdhsa_exception_fp_denorm_src 0
		.amdhsa_exception_fp_ieee_div_zero 0
		.amdhsa_exception_fp_ieee_overflow 0
		.amdhsa_exception_fp_ieee_underflow 0
		.amdhsa_exception_fp_ieee_inexact 0
		.amdhsa_exception_int_div_zero 0
	.end_amdhsa_kernel
	.section	.text._ZN7rocprim17ROCPRIM_400000_NS6detail17trampoline_kernelINS0_14default_configENS1_35radix_sort_onesweep_config_selectorIjNS0_10empty_typeEEEZNS1_34radix_sort_onesweep_global_offsetsIS3_Lb0EPKjPS5_mNS0_19identity_decomposerEEE10hipError_tT1_T2_PT3_SF_jT4_jjP12ihipStream_tbEUlT_E0_NS1_11comp_targetILNS1_3genE3ELNS1_11target_archE908ELNS1_3gpuE7ELNS1_3repE0EEENS1_52radix_sort_onesweep_histogram_config_static_selectorELNS0_4arch9wavefront6targetE0EEEvSD_,"axG",@progbits,_ZN7rocprim17ROCPRIM_400000_NS6detail17trampoline_kernelINS0_14default_configENS1_35radix_sort_onesweep_config_selectorIjNS0_10empty_typeEEEZNS1_34radix_sort_onesweep_global_offsetsIS3_Lb0EPKjPS5_mNS0_19identity_decomposerEEE10hipError_tT1_T2_PT3_SF_jT4_jjP12ihipStream_tbEUlT_E0_NS1_11comp_targetILNS1_3genE3ELNS1_11target_archE908ELNS1_3gpuE7ELNS1_3repE0EEENS1_52radix_sort_onesweep_histogram_config_static_selectorELNS0_4arch9wavefront6targetE0EEEvSD_,comdat
.Lfunc_end2740:
	.size	_ZN7rocprim17ROCPRIM_400000_NS6detail17trampoline_kernelINS0_14default_configENS1_35radix_sort_onesweep_config_selectorIjNS0_10empty_typeEEEZNS1_34radix_sort_onesweep_global_offsetsIS3_Lb0EPKjPS5_mNS0_19identity_decomposerEEE10hipError_tT1_T2_PT3_SF_jT4_jjP12ihipStream_tbEUlT_E0_NS1_11comp_targetILNS1_3genE3ELNS1_11target_archE908ELNS1_3gpuE7ELNS1_3repE0EEENS1_52radix_sort_onesweep_histogram_config_static_selectorELNS0_4arch9wavefront6targetE0EEEvSD_, .Lfunc_end2740-_ZN7rocprim17ROCPRIM_400000_NS6detail17trampoline_kernelINS0_14default_configENS1_35radix_sort_onesweep_config_selectorIjNS0_10empty_typeEEEZNS1_34radix_sort_onesweep_global_offsetsIS3_Lb0EPKjPS5_mNS0_19identity_decomposerEEE10hipError_tT1_T2_PT3_SF_jT4_jjP12ihipStream_tbEUlT_E0_NS1_11comp_targetILNS1_3genE3ELNS1_11target_archE908ELNS1_3gpuE7ELNS1_3repE0EEENS1_52radix_sort_onesweep_histogram_config_static_selectorELNS0_4arch9wavefront6targetE0EEEvSD_
                                        ; -- End function
	.set _ZN7rocprim17ROCPRIM_400000_NS6detail17trampoline_kernelINS0_14default_configENS1_35radix_sort_onesweep_config_selectorIjNS0_10empty_typeEEEZNS1_34radix_sort_onesweep_global_offsetsIS3_Lb0EPKjPS5_mNS0_19identity_decomposerEEE10hipError_tT1_T2_PT3_SF_jT4_jjP12ihipStream_tbEUlT_E0_NS1_11comp_targetILNS1_3genE3ELNS1_11target_archE908ELNS1_3gpuE7ELNS1_3repE0EEENS1_52radix_sort_onesweep_histogram_config_static_selectorELNS0_4arch9wavefront6targetE0EEEvSD_.num_vgpr, 0
	.set _ZN7rocprim17ROCPRIM_400000_NS6detail17trampoline_kernelINS0_14default_configENS1_35radix_sort_onesweep_config_selectorIjNS0_10empty_typeEEEZNS1_34radix_sort_onesweep_global_offsetsIS3_Lb0EPKjPS5_mNS0_19identity_decomposerEEE10hipError_tT1_T2_PT3_SF_jT4_jjP12ihipStream_tbEUlT_E0_NS1_11comp_targetILNS1_3genE3ELNS1_11target_archE908ELNS1_3gpuE7ELNS1_3repE0EEENS1_52radix_sort_onesweep_histogram_config_static_selectorELNS0_4arch9wavefront6targetE0EEEvSD_.num_agpr, 0
	.set _ZN7rocprim17ROCPRIM_400000_NS6detail17trampoline_kernelINS0_14default_configENS1_35radix_sort_onesweep_config_selectorIjNS0_10empty_typeEEEZNS1_34radix_sort_onesweep_global_offsetsIS3_Lb0EPKjPS5_mNS0_19identity_decomposerEEE10hipError_tT1_T2_PT3_SF_jT4_jjP12ihipStream_tbEUlT_E0_NS1_11comp_targetILNS1_3genE3ELNS1_11target_archE908ELNS1_3gpuE7ELNS1_3repE0EEENS1_52radix_sort_onesweep_histogram_config_static_selectorELNS0_4arch9wavefront6targetE0EEEvSD_.numbered_sgpr, 0
	.set _ZN7rocprim17ROCPRIM_400000_NS6detail17trampoline_kernelINS0_14default_configENS1_35radix_sort_onesweep_config_selectorIjNS0_10empty_typeEEEZNS1_34radix_sort_onesweep_global_offsetsIS3_Lb0EPKjPS5_mNS0_19identity_decomposerEEE10hipError_tT1_T2_PT3_SF_jT4_jjP12ihipStream_tbEUlT_E0_NS1_11comp_targetILNS1_3genE3ELNS1_11target_archE908ELNS1_3gpuE7ELNS1_3repE0EEENS1_52radix_sort_onesweep_histogram_config_static_selectorELNS0_4arch9wavefront6targetE0EEEvSD_.num_named_barrier, 0
	.set _ZN7rocprim17ROCPRIM_400000_NS6detail17trampoline_kernelINS0_14default_configENS1_35radix_sort_onesweep_config_selectorIjNS0_10empty_typeEEEZNS1_34radix_sort_onesweep_global_offsetsIS3_Lb0EPKjPS5_mNS0_19identity_decomposerEEE10hipError_tT1_T2_PT3_SF_jT4_jjP12ihipStream_tbEUlT_E0_NS1_11comp_targetILNS1_3genE3ELNS1_11target_archE908ELNS1_3gpuE7ELNS1_3repE0EEENS1_52radix_sort_onesweep_histogram_config_static_selectorELNS0_4arch9wavefront6targetE0EEEvSD_.private_seg_size, 0
	.set _ZN7rocprim17ROCPRIM_400000_NS6detail17trampoline_kernelINS0_14default_configENS1_35radix_sort_onesweep_config_selectorIjNS0_10empty_typeEEEZNS1_34radix_sort_onesweep_global_offsetsIS3_Lb0EPKjPS5_mNS0_19identity_decomposerEEE10hipError_tT1_T2_PT3_SF_jT4_jjP12ihipStream_tbEUlT_E0_NS1_11comp_targetILNS1_3genE3ELNS1_11target_archE908ELNS1_3gpuE7ELNS1_3repE0EEENS1_52radix_sort_onesweep_histogram_config_static_selectorELNS0_4arch9wavefront6targetE0EEEvSD_.uses_vcc, 0
	.set _ZN7rocprim17ROCPRIM_400000_NS6detail17trampoline_kernelINS0_14default_configENS1_35radix_sort_onesweep_config_selectorIjNS0_10empty_typeEEEZNS1_34radix_sort_onesweep_global_offsetsIS3_Lb0EPKjPS5_mNS0_19identity_decomposerEEE10hipError_tT1_T2_PT3_SF_jT4_jjP12ihipStream_tbEUlT_E0_NS1_11comp_targetILNS1_3genE3ELNS1_11target_archE908ELNS1_3gpuE7ELNS1_3repE0EEENS1_52radix_sort_onesweep_histogram_config_static_selectorELNS0_4arch9wavefront6targetE0EEEvSD_.uses_flat_scratch, 0
	.set _ZN7rocprim17ROCPRIM_400000_NS6detail17trampoline_kernelINS0_14default_configENS1_35radix_sort_onesweep_config_selectorIjNS0_10empty_typeEEEZNS1_34radix_sort_onesweep_global_offsetsIS3_Lb0EPKjPS5_mNS0_19identity_decomposerEEE10hipError_tT1_T2_PT3_SF_jT4_jjP12ihipStream_tbEUlT_E0_NS1_11comp_targetILNS1_3genE3ELNS1_11target_archE908ELNS1_3gpuE7ELNS1_3repE0EEENS1_52radix_sort_onesweep_histogram_config_static_selectorELNS0_4arch9wavefront6targetE0EEEvSD_.has_dyn_sized_stack, 0
	.set _ZN7rocprim17ROCPRIM_400000_NS6detail17trampoline_kernelINS0_14default_configENS1_35radix_sort_onesweep_config_selectorIjNS0_10empty_typeEEEZNS1_34radix_sort_onesweep_global_offsetsIS3_Lb0EPKjPS5_mNS0_19identity_decomposerEEE10hipError_tT1_T2_PT3_SF_jT4_jjP12ihipStream_tbEUlT_E0_NS1_11comp_targetILNS1_3genE3ELNS1_11target_archE908ELNS1_3gpuE7ELNS1_3repE0EEENS1_52radix_sort_onesweep_histogram_config_static_selectorELNS0_4arch9wavefront6targetE0EEEvSD_.has_recursion, 0
	.set _ZN7rocprim17ROCPRIM_400000_NS6detail17trampoline_kernelINS0_14default_configENS1_35radix_sort_onesweep_config_selectorIjNS0_10empty_typeEEEZNS1_34radix_sort_onesweep_global_offsetsIS3_Lb0EPKjPS5_mNS0_19identity_decomposerEEE10hipError_tT1_T2_PT3_SF_jT4_jjP12ihipStream_tbEUlT_E0_NS1_11comp_targetILNS1_3genE3ELNS1_11target_archE908ELNS1_3gpuE7ELNS1_3repE0EEENS1_52radix_sort_onesweep_histogram_config_static_selectorELNS0_4arch9wavefront6targetE0EEEvSD_.has_indirect_call, 0
	.section	.AMDGPU.csdata,"",@progbits
; Kernel info:
; codeLenInByte = 0
; TotalNumSgprs: 0
; NumVgprs: 0
; ScratchSize: 0
; MemoryBound: 0
; FloatMode: 240
; IeeeMode: 1
; LDSByteSize: 0 bytes/workgroup (compile time only)
; SGPRBlocks: 0
; VGPRBlocks: 0
; NumSGPRsForWavesPerEU: 1
; NumVGPRsForWavesPerEU: 1
; NamedBarCnt: 0
; Occupancy: 16
; WaveLimiterHint : 0
; COMPUTE_PGM_RSRC2:SCRATCH_EN: 0
; COMPUTE_PGM_RSRC2:USER_SGPR: 2
; COMPUTE_PGM_RSRC2:TRAP_HANDLER: 0
; COMPUTE_PGM_RSRC2:TGID_X_EN: 1
; COMPUTE_PGM_RSRC2:TGID_Y_EN: 0
; COMPUTE_PGM_RSRC2:TGID_Z_EN: 0
; COMPUTE_PGM_RSRC2:TIDIG_COMP_CNT: 0
	.section	.text._ZN7rocprim17ROCPRIM_400000_NS6detail17trampoline_kernelINS0_14default_configENS1_35radix_sort_onesweep_config_selectorIjNS0_10empty_typeEEEZNS1_34radix_sort_onesweep_global_offsetsIS3_Lb0EPKjPS5_mNS0_19identity_decomposerEEE10hipError_tT1_T2_PT3_SF_jT4_jjP12ihipStream_tbEUlT_E0_NS1_11comp_targetILNS1_3genE10ELNS1_11target_archE1201ELNS1_3gpuE5ELNS1_3repE0EEENS1_52radix_sort_onesweep_histogram_config_static_selectorELNS0_4arch9wavefront6targetE0EEEvSD_,"axG",@progbits,_ZN7rocprim17ROCPRIM_400000_NS6detail17trampoline_kernelINS0_14default_configENS1_35radix_sort_onesweep_config_selectorIjNS0_10empty_typeEEEZNS1_34radix_sort_onesweep_global_offsetsIS3_Lb0EPKjPS5_mNS0_19identity_decomposerEEE10hipError_tT1_T2_PT3_SF_jT4_jjP12ihipStream_tbEUlT_E0_NS1_11comp_targetILNS1_3genE10ELNS1_11target_archE1201ELNS1_3gpuE5ELNS1_3repE0EEENS1_52radix_sort_onesweep_histogram_config_static_selectorELNS0_4arch9wavefront6targetE0EEEvSD_,comdat
	.protected	_ZN7rocprim17ROCPRIM_400000_NS6detail17trampoline_kernelINS0_14default_configENS1_35radix_sort_onesweep_config_selectorIjNS0_10empty_typeEEEZNS1_34radix_sort_onesweep_global_offsetsIS3_Lb0EPKjPS5_mNS0_19identity_decomposerEEE10hipError_tT1_T2_PT3_SF_jT4_jjP12ihipStream_tbEUlT_E0_NS1_11comp_targetILNS1_3genE10ELNS1_11target_archE1201ELNS1_3gpuE5ELNS1_3repE0EEENS1_52radix_sort_onesweep_histogram_config_static_selectorELNS0_4arch9wavefront6targetE0EEEvSD_ ; -- Begin function _ZN7rocprim17ROCPRIM_400000_NS6detail17trampoline_kernelINS0_14default_configENS1_35radix_sort_onesweep_config_selectorIjNS0_10empty_typeEEEZNS1_34radix_sort_onesweep_global_offsetsIS3_Lb0EPKjPS5_mNS0_19identity_decomposerEEE10hipError_tT1_T2_PT3_SF_jT4_jjP12ihipStream_tbEUlT_E0_NS1_11comp_targetILNS1_3genE10ELNS1_11target_archE1201ELNS1_3gpuE5ELNS1_3repE0EEENS1_52radix_sort_onesweep_histogram_config_static_selectorELNS0_4arch9wavefront6targetE0EEEvSD_
	.globl	_ZN7rocprim17ROCPRIM_400000_NS6detail17trampoline_kernelINS0_14default_configENS1_35radix_sort_onesweep_config_selectorIjNS0_10empty_typeEEEZNS1_34radix_sort_onesweep_global_offsetsIS3_Lb0EPKjPS5_mNS0_19identity_decomposerEEE10hipError_tT1_T2_PT3_SF_jT4_jjP12ihipStream_tbEUlT_E0_NS1_11comp_targetILNS1_3genE10ELNS1_11target_archE1201ELNS1_3gpuE5ELNS1_3repE0EEENS1_52radix_sort_onesweep_histogram_config_static_selectorELNS0_4arch9wavefront6targetE0EEEvSD_
	.p2align	8
	.type	_ZN7rocprim17ROCPRIM_400000_NS6detail17trampoline_kernelINS0_14default_configENS1_35radix_sort_onesweep_config_selectorIjNS0_10empty_typeEEEZNS1_34radix_sort_onesweep_global_offsetsIS3_Lb0EPKjPS5_mNS0_19identity_decomposerEEE10hipError_tT1_T2_PT3_SF_jT4_jjP12ihipStream_tbEUlT_E0_NS1_11comp_targetILNS1_3genE10ELNS1_11target_archE1201ELNS1_3gpuE5ELNS1_3repE0EEENS1_52radix_sort_onesweep_histogram_config_static_selectorELNS0_4arch9wavefront6targetE0EEEvSD_,@function
_ZN7rocprim17ROCPRIM_400000_NS6detail17trampoline_kernelINS0_14default_configENS1_35radix_sort_onesweep_config_selectorIjNS0_10empty_typeEEEZNS1_34radix_sort_onesweep_global_offsetsIS3_Lb0EPKjPS5_mNS0_19identity_decomposerEEE10hipError_tT1_T2_PT3_SF_jT4_jjP12ihipStream_tbEUlT_E0_NS1_11comp_targetILNS1_3genE10ELNS1_11target_archE1201ELNS1_3gpuE5ELNS1_3repE0EEENS1_52radix_sort_onesweep_histogram_config_static_selectorELNS0_4arch9wavefront6targetE0EEEvSD_: ; @_ZN7rocprim17ROCPRIM_400000_NS6detail17trampoline_kernelINS0_14default_configENS1_35radix_sort_onesweep_config_selectorIjNS0_10empty_typeEEEZNS1_34radix_sort_onesweep_global_offsetsIS3_Lb0EPKjPS5_mNS0_19identity_decomposerEEE10hipError_tT1_T2_PT3_SF_jT4_jjP12ihipStream_tbEUlT_E0_NS1_11comp_targetILNS1_3genE10ELNS1_11target_archE1201ELNS1_3gpuE5ELNS1_3repE0EEENS1_52radix_sort_onesweep_histogram_config_static_selectorELNS0_4arch9wavefront6targetE0EEEvSD_
; %bb.0:
	.section	.rodata,"a",@progbits
	.p2align	6, 0x0
	.amdhsa_kernel _ZN7rocprim17ROCPRIM_400000_NS6detail17trampoline_kernelINS0_14default_configENS1_35radix_sort_onesweep_config_selectorIjNS0_10empty_typeEEEZNS1_34radix_sort_onesweep_global_offsetsIS3_Lb0EPKjPS5_mNS0_19identity_decomposerEEE10hipError_tT1_T2_PT3_SF_jT4_jjP12ihipStream_tbEUlT_E0_NS1_11comp_targetILNS1_3genE10ELNS1_11target_archE1201ELNS1_3gpuE5ELNS1_3repE0EEENS1_52radix_sort_onesweep_histogram_config_static_selectorELNS0_4arch9wavefront6targetE0EEEvSD_
		.amdhsa_group_segment_fixed_size 0
		.amdhsa_private_segment_fixed_size 0
		.amdhsa_kernarg_size 8
		.amdhsa_user_sgpr_count 2
		.amdhsa_user_sgpr_dispatch_ptr 0
		.amdhsa_user_sgpr_queue_ptr 0
		.amdhsa_user_sgpr_kernarg_segment_ptr 1
		.amdhsa_user_sgpr_dispatch_id 0
		.amdhsa_user_sgpr_kernarg_preload_length 0
		.amdhsa_user_sgpr_kernarg_preload_offset 0
		.amdhsa_user_sgpr_private_segment_size 0
		.amdhsa_wavefront_size32 1
		.amdhsa_uses_dynamic_stack 0
		.amdhsa_enable_private_segment 0
		.amdhsa_system_sgpr_workgroup_id_x 1
		.amdhsa_system_sgpr_workgroup_id_y 0
		.amdhsa_system_sgpr_workgroup_id_z 0
		.amdhsa_system_sgpr_workgroup_info 0
		.amdhsa_system_vgpr_workitem_id 0
		.amdhsa_next_free_vgpr 1
		.amdhsa_next_free_sgpr 1
		.amdhsa_named_barrier_count 0
		.amdhsa_reserve_vcc 0
		.amdhsa_float_round_mode_32 0
		.amdhsa_float_round_mode_16_64 0
		.amdhsa_float_denorm_mode_32 3
		.amdhsa_float_denorm_mode_16_64 3
		.amdhsa_fp16_overflow 0
		.amdhsa_memory_ordered 1
		.amdhsa_forward_progress 1
		.amdhsa_inst_pref_size 0
		.amdhsa_round_robin_scheduling 0
		.amdhsa_exception_fp_ieee_invalid_op 0
		.amdhsa_exception_fp_denorm_src 0
		.amdhsa_exception_fp_ieee_div_zero 0
		.amdhsa_exception_fp_ieee_overflow 0
		.amdhsa_exception_fp_ieee_underflow 0
		.amdhsa_exception_fp_ieee_inexact 0
		.amdhsa_exception_int_div_zero 0
	.end_amdhsa_kernel
	.section	.text._ZN7rocprim17ROCPRIM_400000_NS6detail17trampoline_kernelINS0_14default_configENS1_35radix_sort_onesweep_config_selectorIjNS0_10empty_typeEEEZNS1_34radix_sort_onesweep_global_offsetsIS3_Lb0EPKjPS5_mNS0_19identity_decomposerEEE10hipError_tT1_T2_PT3_SF_jT4_jjP12ihipStream_tbEUlT_E0_NS1_11comp_targetILNS1_3genE10ELNS1_11target_archE1201ELNS1_3gpuE5ELNS1_3repE0EEENS1_52radix_sort_onesweep_histogram_config_static_selectorELNS0_4arch9wavefront6targetE0EEEvSD_,"axG",@progbits,_ZN7rocprim17ROCPRIM_400000_NS6detail17trampoline_kernelINS0_14default_configENS1_35radix_sort_onesweep_config_selectorIjNS0_10empty_typeEEEZNS1_34radix_sort_onesweep_global_offsetsIS3_Lb0EPKjPS5_mNS0_19identity_decomposerEEE10hipError_tT1_T2_PT3_SF_jT4_jjP12ihipStream_tbEUlT_E0_NS1_11comp_targetILNS1_3genE10ELNS1_11target_archE1201ELNS1_3gpuE5ELNS1_3repE0EEENS1_52radix_sort_onesweep_histogram_config_static_selectorELNS0_4arch9wavefront6targetE0EEEvSD_,comdat
.Lfunc_end2741:
	.size	_ZN7rocprim17ROCPRIM_400000_NS6detail17trampoline_kernelINS0_14default_configENS1_35radix_sort_onesweep_config_selectorIjNS0_10empty_typeEEEZNS1_34radix_sort_onesweep_global_offsetsIS3_Lb0EPKjPS5_mNS0_19identity_decomposerEEE10hipError_tT1_T2_PT3_SF_jT4_jjP12ihipStream_tbEUlT_E0_NS1_11comp_targetILNS1_3genE10ELNS1_11target_archE1201ELNS1_3gpuE5ELNS1_3repE0EEENS1_52radix_sort_onesweep_histogram_config_static_selectorELNS0_4arch9wavefront6targetE0EEEvSD_, .Lfunc_end2741-_ZN7rocprim17ROCPRIM_400000_NS6detail17trampoline_kernelINS0_14default_configENS1_35radix_sort_onesweep_config_selectorIjNS0_10empty_typeEEEZNS1_34radix_sort_onesweep_global_offsetsIS3_Lb0EPKjPS5_mNS0_19identity_decomposerEEE10hipError_tT1_T2_PT3_SF_jT4_jjP12ihipStream_tbEUlT_E0_NS1_11comp_targetILNS1_3genE10ELNS1_11target_archE1201ELNS1_3gpuE5ELNS1_3repE0EEENS1_52radix_sort_onesweep_histogram_config_static_selectorELNS0_4arch9wavefront6targetE0EEEvSD_
                                        ; -- End function
	.set _ZN7rocprim17ROCPRIM_400000_NS6detail17trampoline_kernelINS0_14default_configENS1_35radix_sort_onesweep_config_selectorIjNS0_10empty_typeEEEZNS1_34radix_sort_onesweep_global_offsetsIS3_Lb0EPKjPS5_mNS0_19identity_decomposerEEE10hipError_tT1_T2_PT3_SF_jT4_jjP12ihipStream_tbEUlT_E0_NS1_11comp_targetILNS1_3genE10ELNS1_11target_archE1201ELNS1_3gpuE5ELNS1_3repE0EEENS1_52radix_sort_onesweep_histogram_config_static_selectorELNS0_4arch9wavefront6targetE0EEEvSD_.num_vgpr, 0
	.set _ZN7rocprim17ROCPRIM_400000_NS6detail17trampoline_kernelINS0_14default_configENS1_35radix_sort_onesweep_config_selectorIjNS0_10empty_typeEEEZNS1_34radix_sort_onesweep_global_offsetsIS3_Lb0EPKjPS5_mNS0_19identity_decomposerEEE10hipError_tT1_T2_PT3_SF_jT4_jjP12ihipStream_tbEUlT_E0_NS1_11comp_targetILNS1_3genE10ELNS1_11target_archE1201ELNS1_3gpuE5ELNS1_3repE0EEENS1_52radix_sort_onesweep_histogram_config_static_selectorELNS0_4arch9wavefront6targetE0EEEvSD_.num_agpr, 0
	.set _ZN7rocprim17ROCPRIM_400000_NS6detail17trampoline_kernelINS0_14default_configENS1_35radix_sort_onesweep_config_selectorIjNS0_10empty_typeEEEZNS1_34radix_sort_onesweep_global_offsetsIS3_Lb0EPKjPS5_mNS0_19identity_decomposerEEE10hipError_tT1_T2_PT3_SF_jT4_jjP12ihipStream_tbEUlT_E0_NS1_11comp_targetILNS1_3genE10ELNS1_11target_archE1201ELNS1_3gpuE5ELNS1_3repE0EEENS1_52radix_sort_onesweep_histogram_config_static_selectorELNS0_4arch9wavefront6targetE0EEEvSD_.numbered_sgpr, 0
	.set _ZN7rocprim17ROCPRIM_400000_NS6detail17trampoline_kernelINS0_14default_configENS1_35radix_sort_onesweep_config_selectorIjNS0_10empty_typeEEEZNS1_34radix_sort_onesweep_global_offsetsIS3_Lb0EPKjPS5_mNS0_19identity_decomposerEEE10hipError_tT1_T2_PT3_SF_jT4_jjP12ihipStream_tbEUlT_E0_NS1_11comp_targetILNS1_3genE10ELNS1_11target_archE1201ELNS1_3gpuE5ELNS1_3repE0EEENS1_52radix_sort_onesweep_histogram_config_static_selectorELNS0_4arch9wavefront6targetE0EEEvSD_.num_named_barrier, 0
	.set _ZN7rocprim17ROCPRIM_400000_NS6detail17trampoline_kernelINS0_14default_configENS1_35radix_sort_onesweep_config_selectorIjNS0_10empty_typeEEEZNS1_34radix_sort_onesweep_global_offsetsIS3_Lb0EPKjPS5_mNS0_19identity_decomposerEEE10hipError_tT1_T2_PT3_SF_jT4_jjP12ihipStream_tbEUlT_E0_NS1_11comp_targetILNS1_3genE10ELNS1_11target_archE1201ELNS1_3gpuE5ELNS1_3repE0EEENS1_52radix_sort_onesweep_histogram_config_static_selectorELNS0_4arch9wavefront6targetE0EEEvSD_.private_seg_size, 0
	.set _ZN7rocprim17ROCPRIM_400000_NS6detail17trampoline_kernelINS0_14default_configENS1_35radix_sort_onesweep_config_selectorIjNS0_10empty_typeEEEZNS1_34radix_sort_onesweep_global_offsetsIS3_Lb0EPKjPS5_mNS0_19identity_decomposerEEE10hipError_tT1_T2_PT3_SF_jT4_jjP12ihipStream_tbEUlT_E0_NS1_11comp_targetILNS1_3genE10ELNS1_11target_archE1201ELNS1_3gpuE5ELNS1_3repE0EEENS1_52radix_sort_onesweep_histogram_config_static_selectorELNS0_4arch9wavefront6targetE0EEEvSD_.uses_vcc, 0
	.set _ZN7rocprim17ROCPRIM_400000_NS6detail17trampoline_kernelINS0_14default_configENS1_35radix_sort_onesweep_config_selectorIjNS0_10empty_typeEEEZNS1_34radix_sort_onesweep_global_offsetsIS3_Lb0EPKjPS5_mNS0_19identity_decomposerEEE10hipError_tT1_T2_PT3_SF_jT4_jjP12ihipStream_tbEUlT_E0_NS1_11comp_targetILNS1_3genE10ELNS1_11target_archE1201ELNS1_3gpuE5ELNS1_3repE0EEENS1_52radix_sort_onesweep_histogram_config_static_selectorELNS0_4arch9wavefront6targetE0EEEvSD_.uses_flat_scratch, 0
	.set _ZN7rocprim17ROCPRIM_400000_NS6detail17trampoline_kernelINS0_14default_configENS1_35radix_sort_onesweep_config_selectorIjNS0_10empty_typeEEEZNS1_34radix_sort_onesweep_global_offsetsIS3_Lb0EPKjPS5_mNS0_19identity_decomposerEEE10hipError_tT1_T2_PT3_SF_jT4_jjP12ihipStream_tbEUlT_E0_NS1_11comp_targetILNS1_3genE10ELNS1_11target_archE1201ELNS1_3gpuE5ELNS1_3repE0EEENS1_52radix_sort_onesweep_histogram_config_static_selectorELNS0_4arch9wavefront6targetE0EEEvSD_.has_dyn_sized_stack, 0
	.set _ZN7rocprim17ROCPRIM_400000_NS6detail17trampoline_kernelINS0_14default_configENS1_35radix_sort_onesweep_config_selectorIjNS0_10empty_typeEEEZNS1_34radix_sort_onesweep_global_offsetsIS3_Lb0EPKjPS5_mNS0_19identity_decomposerEEE10hipError_tT1_T2_PT3_SF_jT4_jjP12ihipStream_tbEUlT_E0_NS1_11comp_targetILNS1_3genE10ELNS1_11target_archE1201ELNS1_3gpuE5ELNS1_3repE0EEENS1_52radix_sort_onesweep_histogram_config_static_selectorELNS0_4arch9wavefront6targetE0EEEvSD_.has_recursion, 0
	.set _ZN7rocprim17ROCPRIM_400000_NS6detail17trampoline_kernelINS0_14default_configENS1_35radix_sort_onesweep_config_selectorIjNS0_10empty_typeEEEZNS1_34radix_sort_onesweep_global_offsetsIS3_Lb0EPKjPS5_mNS0_19identity_decomposerEEE10hipError_tT1_T2_PT3_SF_jT4_jjP12ihipStream_tbEUlT_E0_NS1_11comp_targetILNS1_3genE10ELNS1_11target_archE1201ELNS1_3gpuE5ELNS1_3repE0EEENS1_52radix_sort_onesweep_histogram_config_static_selectorELNS0_4arch9wavefront6targetE0EEEvSD_.has_indirect_call, 0
	.section	.AMDGPU.csdata,"",@progbits
; Kernel info:
; codeLenInByte = 0
; TotalNumSgprs: 0
; NumVgprs: 0
; ScratchSize: 0
; MemoryBound: 0
; FloatMode: 240
; IeeeMode: 1
; LDSByteSize: 0 bytes/workgroup (compile time only)
; SGPRBlocks: 0
; VGPRBlocks: 0
; NumSGPRsForWavesPerEU: 1
; NumVGPRsForWavesPerEU: 1
; NamedBarCnt: 0
; Occupancy: 16
; WaveLimiterHint : 0
; COMPUTE_PGM_RSRC2:SCRATCH_EN: 0
; COMPUTE_PGM_RSRC2:USER_SGPR: 2
; COMPUTE_PGM_RSRC2:TRAP_HANDLER: 0
; COMPUTE_PGM_RSRC2:TGID_X_EN: 1
; COMPUTE_PGM_RSRC2:TGID_Y_EN: 0
; COMPUTE_PGM_RSRC2:TGID_Z_EN: 0
; COMPUTE_PGM_RSRC2:TIDIG_COMP_CNT: 0
	.section	.text._ZN7rocprim17ROCPRIM_400000_NS6detail17trampoline_kernelINS0_14default_configENS1_35radix_sort_onesweep_config_selectorIjNS0_10empty_typeEEEZNS1_34radix_sort_onesweep_global_offsetsIS3_Lb0EPKjPS5_mNS0_19identity_decomposerEEE10hipError_tT1_T2_PT3_SF_jT4_jjP12ihipStream_tbEUlT_E0_NS1_11comp_targetILNS1_3genE9ELNS1_11target_archE1100ELNS1_3gpuE3ELNS1_3repE0EEENS1_52radix_sort_onesweep_histogram_config_static_selectorELNS0_4arch9wavefront6targetE0EEEvSD_,"axG",@progbits,_ZN7rocprim17ROCPRIM_400000_NS6detail17trampoline_kernelINS0_14default_configENS1_35radix_sort_onesweep_config_selectorIjNS0_10empty_typeEEEZNS1_34radix_sort_onesweep_global_offsetsIS3_Lb0EPKjPS5_mNS0_19identity_decomposerEEE10hipError_tT1_T2_PT3_SF_jT4_jjP12ihipStream_tbEUlT_E0_NS1_11comp_targetILNS1_3genE9ELNS1_11target_archE1100ELNS1_3gpuE3ELNS1_3repE0EEENS1_52radix_sort_onesweep_histogram_config_static_selectorELNS0_4arch9wavefront6targetE0EEEvSD_,comdat
	.protected	_ZN7rocprim17ROCPRIM_400000_NS6detail17trampoline_kernelINS0_14default_configENS1_35radix_sort_onesweep_config_selectorIjNS0_10empty_typeEEEZNS1_34radix_sort_onesweep_global_offsetsIS3_Lb0EPKjPS5_mNS0_19identity_decomposerEEE10hipError_tT1_T2_PT3_SF_jT4_jjP12ihipStream_tbEUlT_E0_NS1_11comp_targetILNS1_3genE9ELNS1_11target_archE1100ELNS1_3gpuE3ELNS1_3repE0EEENS1_52radix_sort_onesweep_histogram_config_static_selectorELNS0_4arch9wavefront6targetE0EEEvSD_ ; -- Begin function _ZN7rocprim17ROCPRIM_400000_NS6detail17trampoline_kernelINS0_14default_configENS1_35radix_sort_onesweep_config_selectorIjNS0_10empty_typeEEEZNS1_34radix_sort_onesweep_global_offsetsIS3_Lb0EPKjPS5_mNS0_19identity_decomposerEEE10hipError_tT1_T2_PT3_SF_jT4_jjP12ihipStream_tbEUlT_E0_NS1_11comp_targetILNS1_3genE9ELNS1_11target_archE1100ELNS1_3gpuE3ELNS1_3repE0EEENS1_52radix_sort_onesweep_histogram_config_static_selectorELNS0_4arch9wavefront6targetE0EEEvSD_
	.globl	_ZN7rocprim17ROCPRIM_400000_NS6detail17trampoline_kernelINS0_14default_configENS1_35radix_sort_onesweep_config_selectorIjNS0_10empty_typeEEEZNS1_34radix_sort_onesweep_global_offsetsIS3_Lb0EPKjPS5_mNS0_19identity_decomposerEEE10hipError_tT1_T2_PT3_SF_jT4_jjP12ihipStream_tbEUlT_E0_NS1_11comp_targetILNS1_3genE9ELNS1_11target_archE1100ELNS1_3gpuE3ELNS1_3repE0EEENS1_52radix_sort_onesweep_histogram_config_static_selectorELNS0_4arch9wavefront6targetE0EEEvSD_
	.p2align	8
	.type	_ZN7rocprim17ROCPRIM_400000_NS6detail17trampoline_kernelINS0_14default_configENS1_35radix_sort_onesweep_config_selectorIjNS0_10empty_typeEEEZNS1_34radix_sort_onesweep_global_offsetsIS3_Lb0EPKjPS5_mNS0_19identity_decomposerEEE10hipError_tT1_T2_PT3_SF_jT4_jjP12ihipStream_tbEUlT_E0_NS1_11comp_targetILNS1_3genE9ELNS1_11target_archE1100ELNS1_3gpuE3ELNS1_3repE0EEENS1_52radix_sort_onesweep_histogram_config_static_selectorELNS0_4arch9wavefront6targetE0EEEvSD_,@function
_ZN7rocprim17ROCPRIM_400000_NS6detail17trampoline_kernelINS0_14default_configENS1_35radix_sort_onesweep_config_selectorIjNS0_10empty_typeEEEZNS1_34radix_sort_onesweep_global_offsetsIS3_Lb0EPKjPS5_mNS0_19identity_decomposerEEE10hipError_tT1_T2_PT3_SF_jT4_jjP12ihipStream_tbEUlT_E0_NS1_11comp_targetILNS1_3genE9ELNS1_11target_archE1100ELNS1_3gpuE3ELNS1_3repE0EEENS1_52radix_sort_onesweep_histogram_config_static_selectorELNS0_4arch9wavefront6targetE0EEEvSD_: ; @_ZN7rocprim17ROCPRIM_400000_NS6detail17trampoline_kernelINS0_14default_configENS1_35radix_sort_onesweep_config_selectorIjNS0_10empty_typeEEEZNS1_34radix_sort_onesweep_global_offsetsIS3_Lb0EPKjPS5_mNS0_19identity_decomposerEEE10hipError_tT1_T2_PT3_SF_jT4_jjP12ihipStream_tbEUlT_E0_NS1_11comp_targetILNS1_3genE9ELNS1_11target_archE1100ELNS1_3gpuE3ELNS1_3repE0EEENS1_52radix_sort_onesweep_histogram_config_static_selectorELNS0_4arch9wavefront6targetE0EEEvSD_
; %bb.0:
	.section	.rodata,"a",@progbits
	.p2align	6, 0x0
	.amdhsa_kernel _ZN7rocprim17ROCPRIM_400000_NS6detail17trampoline_kernelINS0_14default_configENS1_35radix_sort_onesweep_config_selectorIjNS0_10empty_typeEEEZNS1_34radix_sort_onesweep_global_offsetsIS3_Lb0EPKjPS5_mNS0_19identity_decomposerEEE10hipError_tT1_T2_PT3_SF_jT4_jjP12ihipStream_tbEUlT_E0_NS1_11comp_targetILNS1_3genE9ELNS1_11target_archE1100ELNS1_3gpuE3ELNS1_3repE0EEENS1_52radix_sort_onesweep_histogram_config_static_selectorELNS0_4arch9wavefront6targetE0EEEvSD_
		.amdhsa_group_segment_fixed_size 0
		.amdhsa_private_segment_fixed_size 0
		.amdhsa_kernarg_size 8
		.amdhsa_user_sgpr_count 2
		.amdhsa_user_sgpr_dispatch_ptr 0
		.amdhsa_user_sgpr_queue_ptr 0
		.amdhsa_user_sgpr_kernarg_segment_ptr 1
		.amdhsa_user_sgpr_dispatch_id 0
		.amdhsa_user_sgpr_kernarg_preload_length 0
		.amdhsa_user_sgpr_kernarg_preload_offset 0
		.amdhsa_user_sgpr_private_segment_size 0
		.amdhsa_wavefront_size32 1
		.amdhsa_uses_dynamic_stack 0
		.amdhsa_enable_private_segment 0
		.amdhsa_system_sgpr_workgroup_id_x 1
		.amdhsa_system_sgpr_workgroup_id_y 0
		.amdhsa_system_sgpr_workgroup_id_z 0
		.amdhsa_system_sgpr_workgroup_info 0
		.amdhsa_system_vgpr_workitem_id 0
		.amdhsa_next_free_vgpr 1
		.amdhsa_next_free_sgpr 1
		.amdhsa_named_barrier_count 0
		.amdhsa_reserve_vcc 0
		.amdhsa_float_round_mode_32 0
		.amdhsa_float_round_mode_16_64 0
		.amdhsa_float_denorm_mode_32 3
		.amdhsa_float_denorm_mode_16_64 3
		.amdhsa_fp16_overflow 0
		.amdhsa_memory_ordered 1
		.amdhsa_forward_progress 1
		.amdhsa_inst_pref_size 0
		.amdhsa_round_robin_scheduling 0
		.amdhsa_exception_fp_ieee_invalid_op 0
		.amdhsa_exception_fp_denorm_src 0
		.amdhsa_exception_fp_ieee_div_zero 0
		.amdhsa_exception_fp_ieee_overflow 0
		.amdhsa_exception_fp_ieee_underflow 0
		.amdhsa_exception_fp_ieee_inexact 0
		.amdhsa_exception_int_div_zero 0
	.end_amdhsa_kernel
	.section	.text._ZN7rocprim17ROCPRIM_400000_NS6detail17trampoline_kernelINS0_14default_configENS1_35radix_sort_onesweep_config_selectorIjNS0_10empty_typeEEEZNS1_34radix_sort_onesweep_global_offsetsIS3_Lb0EPKjPS5_mNS0_19identity_decomposerEEE10hipError_tT1_T2_PT3_SF_jT4_jjP12ihipStream_tbEUlT_E0_NS1_11comp_targetILNS1_3genE9ELNS1_11target_archE1100ELNS1_3gpuE3ELNS1_3repE0EEENS1_52radix_sort_onesweep_histogram_config_static_selectorELNS0_4arch9wavefront6targetE0EEEvSD_,"axG",@progbits,_ZN7rocprim17ROCPRIM_400000_NS6detail17trampoline_kernelINS0_14default_configENS1_35radix_sort_onesweep_config_selectorIjNS0_10empty_typeEEEZNS1_34radix_sort_onesweep_global_offsetsIS3_Lb0EPKjPS5_mNS0_19identity_decomposerEEE10hipError_tT1_T2_PT3_SF_jT4_jjP12ihipStream_tbEUlT_E0_NS1_11comp_targetILNS1_3genE9ELNS1_11target_archE1100ELNS1_3gpuE3ELNS1_3repE0EEENS1_52radix_sort_onesweep_histogram_config_static_selectorELNS0_4arch9wavefront6targetE0EEEvSD_,comdat
.Lfunc_end2742:
	.size	_ZN7rocprim17ROCPRIM_400000_NS6detail17trampoline_kernelINS0_14default_configENS1_35radix_sort_onesweep_config_selectorIjNS0_10empty_typeEEEZNS1_34radix_sort_onesweep_global_offsetsIS3_Lb0EPKjPS5_mNS0_19identity_decomposerEEE10hipError_tT1_T2_PT3_SF_jT4_jjP12ihipStream_tbEUlT_E0_NS1_11comp_targetILNS1_3genE9ELNS1_11target_archE1100ELNS1_3gpuE3ELNS1_3repE0EEENS1_52radix_sort_onesweep_histogram_config_static_selectorELNS0_4arch9wavefront6targetE0EEEvSD_, .Lfunc_end2742-_ZN7rocprim17ROCPRIM_400000_NS6detail17trampoline_kernelINS0_14default_configENS1_35radix_sort_onesweep_config_selectorIjNS0_10empty_typeEEEZNS1_34radix_sort_onesweep_global_offsetsIS3_Lb0EPKjPS5_mNS0_19identity_decomposerEEE10hipError_tT1_T2_PT3_SF_jT4_jjP12ihipStream_tbEUlT_E0_NS1_11comp_targetILNS1_3genE9ELNS1_11target_archE1100ELNS1_3gpuE3ELNS1_3repE0EEENS1_52radix_sort_onesweep_histogram_config_static_selectorELNS0_4arch9wavefront6targetE0EEEvSD_
                                        ; -- End function
	.set _ZN7rocprim17ROCPRIM_400000_NS6detail17trampoline_kernelINS0_14default_configENS1_35radix_sort_onesweep_config_selectorIjNS0_10empty_typeEEEZNS1_34radix_sort_onesweep_global_offsetsIS3_Lb0EPKjPS5_mNS0_19identity_decomposerEEE10hipError_tT1_T2_PT3_SF_jT4_jjP12ihipStream_tbEUlT_E0_NS1_11comp_targetILNS1_3genE9ELNS1_11target_archE1100ELNS1_3gpuE3ELNS1_3repE0EEENS1_52radix_sort_onesweep_histogram_config_static_selectorELNS0_4arch9wavefront6targetE0EEEvSD_.num_vgpr, 0
	.set _ZN7rocprim17ROCPRIM_400000_NS6detail17trampoline_kernelINS0_14default_configENS1_35radix_sort_onesweep_config_selectorIjNS0_10empty_typeEEEZNS1_34radix_sort_onesweep_global_offsetsIS3_Lb0EPKjPS5_mNS0_19identity_decomposerEEE10hipError_tT1_T2_PT3_SF_jT4_jjP12ihipStream_tbEUlT_E0_NS1_11comp_targetILNS1_3genE9ELNS1_11target_archE1100ELNS1_3gpuE3ELNS1_3repE0EEENS1_52radix_sort_onesweep_histogram_config_static_selectorELNS0_4arch9wavefront6targetE0EEEvSD_.num_agpr, 0
	.set _ZN7rocprim17ROCPRIM_400000_NS6detail17trampoline_kernelINS0_14default_configENS1_35radix_sort_onesweep_config_selectorIjNS0_10empty_typeEEEZNS1_34radix_sort_onesweep_global_offsetsIS3_Lb0EPKjPS5_mNS0_19identity_decomposerEEE10hipError_tT1_T2_PT3_SF_jT4_jjP12ihipStream_tbEUlT_E0_NS1_11comp_targetILNS1_3genE9ELNS1_11target_archE1100ELNS1_3gpuE3ELNS1_3repE0EEENS1_52radix_sort_onesweep_histogram_config_static_selectorELNS0_4arch9wavefront6targetE0EEEvSD_.numbered_sgpr, 0
	.set _ZN7rocprim17ROCPRIM_400000_NS6detail17trampoline_kernelINS0_14default_configENS1_35radix_sort_onesweep_config_selectorIjNS0_10empty_typeEEEZNS1_34radix_sort_onesweep_global_offsetsIS3_Lb0EPKjPS5_mNS0_19identity_decomposerEEE10hipError_tT1_T2_PT3_SF_jT4_jjP12ihipStream_tbEUlT_E0_NS1_11comp_targetILNS1_3genE9ELNS1_11target_archE1100ELNS1_3gpuE3ELNS1_3repE0EEENS1_52radix_sort_onesweep_histogram_config_static_selectorELNS0_4arch9wavefront6targetE0EEEvSD_.num_named_barrier, 0
	.set _ZN7rocprim17ROCPRIM_400000_NS6detail17trampoline_kernelINS0_14default_configENS1_35radix_sort_onesweep_config_selectorIjNS0_10empty_typeEEEZNS1_34radix_sort_onesweep_global_offsetsIS3_Lb0EPKjPS5_mNS0_19identity_decomposerEEE10hipError_tT1_T2_PT3_SF_jT4_jjP12ihipStream_tbEUlT_E0_NS1_11comp_targetILNS1_3genE9ELNS1_11target_archE1100ELNS1_3gpuE3ELNS1_3repE0EEENS1_52radix_sort_onesweep_histogram_config_static_selectorELNS0_4arch9wavefront6targetE0EEEvSD_.private_seg_size, 0
	.set _ZN7rocprim17ROCPRIM_400000_NS6detail17trampoline_kernelINS0_14default_configENS1_35radix_sort_onesweep_config_selectorIjNS0_10empty_typeEEEZNS1_34radix_sort_onesweep_global_offsetsIS3_Lb0EPKjPS5_mNS0_19identity_decomposerEEE10hipError_tT1_T2_PT3_SF_jT4_jjP12ihipStream_tbEUlT_E0_NS1_11comp_targetILNS1_3genE9ELNS1_11target_archE1100ELNS1_3gpuE3ELNS1_3repE0EEENS1_52radix_sort_onesweep_histogram_config_static_selectorELNS0_4arch9wavefront6targetE0EEEvSD_.uses_vcc, 0
	.set _ZN7rocprim17ROCPRIM_400000_NS6detail17trampoline_kernelINS0_14default_configENS1_35radix_sort_onesweep_config_selectorIjNS0_10empty_typeEEEZNS1_34radix_sort_onesweep_global_offsetsIS3_Lb0EPKjPS5_mNS0_19identity_decomposerEEE10hipError_tT1_T2_PT3_SF_jT4_jjP12ihipStream_tbEUlT_E0_NS1_11comp_targetILNS1_3genE9ELNS1_11target_archE1100ELNS1_3gpuE3ELNS1_3repE0EEENS1_52radix_sort_onesweep_histogram_config_static_selectorELNS0_4arch9wavefront6targetE0EEEvSD_.uses_flat_scratch, 0
	.set _ZN7rocprim17ROCPRIM_400000_NS6detail17trampoline_kernelINS0_14default_configENS1_35radix_sort_onesweep_config_selectorIjNS0_10empty_typeEEEZNS1_34radix_sort_onesweep_global_offsetsIS3_Lb0EPKjPS5_mNS0_19identity_decomposerEEE10hipError_tT1_T2_PT3_SF_jT4_jjP12ihipStream_tbEUlT_E0_NS1_11comp_targetILNS1_3genE9ELNS1_11target_archE1100ELNS1_3gpuE3ELNS1_3repE0EEENS1_52radix_sort_onesweep_histogram_config_static_selectorELNS0_4arch9wavefront6targetE0EEEvSD_.has_dyn_sized_stack, 0
	.set _ZN7rocprim17ROCPRIM_400000_NS6detail17trampoline_kernelINS0_14default_configENS1_35radix_sort_onesweep_config_selectorIjNS0_10empty_typeEEEZNS1_34radix_sort_onesweep_global_offsetsIS3_Lb0EPKjPS5_mNS0_19identity_decomposerEEE10hipError_tT1_T2_PT3_SF_jT4_jjP12ihipStream_tbEUlT_E0_NS1_11comp_targetILNS1_3genE9ELNS1_11target_archE1100ELNS1_3gpuE3ELNS1_3repE0EEENS1_52radix_sort_onesweep_histogram_config_static_selectorELNS0_4arch9wavefront6targetE0EEEvSD_.has_recursion, 0
	.set _ZN7rocprim17ROCPRIM_400000_NS6detail17trampoline_kernelINS0_14default_configENS1_35radix_sort_onesweep_config_selectorIjNS0_10empty_typeEEEZNS1_34radix_sort_onesweep_global_offsetsIS3_Lb0EPKjPS5_mNS0_19identity_decomposerEEE10hipError_tT1_T2_PT3_SF_jT4_jjP12ihipStream_tbEUlT_E0_NS1_11comp_targetILNS1_3genE9ELNS1_11target_archE1100ELNS1_3gpuE3ELNS1_3repE0EEENS1_52radix_sort_onesweep_histogram_config_static_selectorELNS0_4arch9wavefront6targetE0EEEvSD_.has_indirect_call, 0
	.section	.AMDGPU.csdata,"",@progbits
; Kernel info:
; codeLenInByte = 0
; TotalNumSgprs: 0
; NumVgprs: 0
; ScratchSize: 0
; MemoryBound: 0
; FloatMode: 240
; IeeeMode: 1
; LDSByteSize: 0 bytes/workgroup (compile time only)
; SGPRBlocks: 0
; VGPRBlocks: 0
; NumSGPRsForWavesPerEU: 1
; NumVGPRsForWavesPerEU: 1
; NamedBarCnt: 0
; Occupancy: 16
; WaveLimiterHint : 0
; COMPUTE_PGM_RSRC2:SCRATCH_EN: 0
; COMPUTE_PGM_RSRC2:USER_SGPR: 2
; COMPUTE_PGM_RSRC2:TRAP_HANDLER: 0
; COMPUTE_PGM_RSRC2:TGID_X_EN: 1
; COMPUTE_PGM_RSRC2:TGID_Y_EN: 0
; COMPUTE_PGM_RSRC2:TGID_Z_EN: 0
; COMPUTE_PGM_RSRC2:TIDIG_COMP_CNT: 0
	.section	.text._ZN7rocprim17ROCPRIM_400000_NS6detail17trampoline_kernelINS0_14default_configENS1_35radix_sort_onesweep_config_selectorIjNS0_10empty_typeEEEZNS1_34radix_sort_onesweep_global_offsetsIS3_Lb0EPKjPS5_mNS0_19identity_decomposerEEE10hipError_tT1_T2_PT3_SF_jT4_jjP12ihipStream_tbEUlT_E0_NS1_11comp_targetILNS1_3genE8ELNS1_11target_archE1030ELNS1_3gpuE2ELNS1_3repE0EEENS1_52radix_sort_onesweep_histogram_config_static_selectorELNS0_4arch9wavefront6targetE0EEEvSD_,"axG",@progbits,_ZN7rocprim17ROCPRIM_400000_NS6detail17trampoline_kernelINS0_14default_configENS1_35radix_sort_onesweep_config_selectorIjNS0_10empty_typeEEEZNS1_34radix_sort_onesweep_global_offsetsIS3_Lb0EPKjPS5_mNS0_19identity_decomposerEEE10hipError_tT1_T2_PT3_SF_jT4_jjP12ihipStream_tbEUlT_E0_NS1_11comp_targetILNS1_3genE8ELNS1_11target_archE1030ELNS1_3gpuE2ELNS1_3repE0EEENS1_52radix_sort_onesweep_histogram_config_static_selectorELNS0_4arch9wavefront6targetE0EEEvSD_,comdat
	.protected	_ZN7rocprim17ROCPRIM_400000_NS6detail17trampoline_kernelINS0_14default_configENS1_35radix_sort_onesweep_config_selectorIjNS0_10empty_typeEEEZNS1_34radix_sort_onesweep_global_offsetsIS3_Lb0EPKjPS5_mNS0_19identity_decomposerEEE10hipError_tT1_T2_PT3_SF_jT4_jjP12ihipStream_tbEUlT_E0_NS1_11comp_targetILNS1_3genE8ELNS1_11target_archE1030ELNS1_3gpuE2ELNS1_3repE0EEENS1_52radix_sort_onesweep_histogram_config_static_selectorELNS0_4arch9wavefront6targetE0EEEvSD_ ; -- Begin function _ZN7rocprim17ROCPRIM_400000_NS6detail17trampoline_kernelINS0_14default_configENS1_35radix_sort_onesweep_config_selectorIjNS0_10empty_typeEEEZNS1_34radix_sort_onesweep_global_offsetsIS3_Lb0EPKjPS5_mNS0_19identity_decomposerEEE10hipError_tT1_T2_PT3_SF_jT4_jjP12ihipStream_tbEUlT_E0_NS1_11comp_targetILNS1_3genE8ELNS1_11target_archE1030ELNS1_3gpuE2ELNS1_3repE0EEENS1_52radix_sort_onesweep_histogram_config_static_selectorELNS0_4arch9wavefront6targetE0EEEvSD_
	.globl	_ZN7rocprim17ROCPRIM_400000_NS6detail17trampoline_kernelINS0_14default_configENS1_35radix_sort_onesweep_config_selectorIjNS0_10empty_typeEEEZNS1_34radix_sort_onesweep_global_offsetsIS3_Lb0EPKjPS5_mNS0_19identity_decomposerEEE10hipError_tT1_T2_PT3_SF_jT4_jjP12ihipStream_tbEUlT_E0_NS1_11comp_targetILNS1_3genE8ELNS1_11target_archE1030ELNS1_3gpuE2ELNS1_3repE0EEENS1_52radix_sort_onesweep_histogram_config_static_selectorELNS0_4arch9wavefront6targetE0EEEvSD_
	.p2align	8
	.type	_ZN7rocprim17ROCPRIM_400000_NS6detail17trampoline_kernelINS0_14default_configENS1_35radix_sort_onesweep_config_selectorIjNS0_10empty_typeEEEZNS1_34radix_sort_onesweep_global_offsetsIS3_Lb0EPKjPS5_mNS0_19identity_decomposerEEE10hipError_tT1_T2_PT3_SF_jT4_jjP12ihipStream_tbEUlT_E0_NS1_11comp_targetILNS1_3genE8ELNS1_11target_archE1030ELNS1_3gpuE2ELNS1_3repE0EEENS1_52radix_sort_onesweep_histogram_config_static_selectorELNS0_4arch9wavefront6targetE0EEEvSD_,@function
_ZN7rocprim17ROCPRIM_400000_NS6detail17trampoline_kernelINS0_14default_configENS1_35radix_sort_onesweep_config_selectorIjNS0_10empty_typeEEEZNS1_34radix_sort_onesweep_global_offsetsIS3_Lb0EPKjPS5_mNS0_19identity_decomposerEEE10hipError_tT1_T2_PT3_SF_jT4_jjP12ihipStream_tbEUlT_E0_NS1_11comp_targetILNS1_3genE8ELNS1_11target_archE1030ELNS1_3gpuE2ELNS1_3repE0EEENS1_52radix_sort_onesweep_histogram_config_static_selectorELNS0_4arch9wavefront6targetE0EEEvSD_: ; @_ZN7rocprim17ROCPRIM_400000_NS6detail17trampoline_kernelINS0_14default_configENS1_35radix_sort_onesweep_config_selectorIjNS0_10empty_typeEEEZNS1_34radix_sort_onesweep_global_offsetsIS3_Lb0EPKjPS5_mNS0_19identity_decomposerEEE10hipError_tT1_T2_PT3_SF_jT4_jjP12ihipStream_tbEUlT_E0_NS1_11comp_targetILNS1_3genE8ELNS1_11target_archE1030ELNS1_3gpuE2ELNS1_3repE0EEENS1_52radix_sort_onesweep_histogram_config_static_selectorELNS0_4arch9wavefront6targetE0EEEvSD_
; %bb.0:
	.section	.rodata,"a",@progbits
	.p2align	6, 0x0
	.amdhsa_kernel _ZN7rocprim17ROCPRIM_400000_NS6detail17trampoline_kernelINS0_14default_configENS1_35radix_sort_onesweep_config_selectorIjNS0_10empty_typeEEEZNS1_34radix_sort_onesweep_global_offsetsIS3_Lb0EPKjPS5_mNS0_19identity_decomposerEEE10hipError_tT1_T2_PT3_SF_jT4_jjP12ihipStream_tbEUlT_E0_NS1_11comp_targetILNS1_3genE8ELNS1_11target_archE1030ELNS1_3gpuE2ELNS1_3repE0EEENS1_52radix_sort_onesweep_histogram_config_static_selectorELNS0_4arch9wavefront6targetE0EEEvSD_
		.amdhsa_group_segment_fixed_size 0
		.amdhsa_private_segment_fixed_size 0
		.amdhsa_kernarg_size 8
		.amdhsa_user_sgpr_count 2
		.amdhsa_user_sgpr_dispatch_ptr 0
		.amdhsa_user_sgpr_queue_ptr 0
		.amdhsa_user_sgpr_kernarg_segment_ptr 1
		.amdhsa_user_sgpr_dispatch_id 0
		.amdhsa_user_sgpr_kernarg_preload_length 0
		.amdhsa_user_sgpr_kernarg_preload_offset 0
		.amdhsa_user_sgpr_private_segment_size 0
		.amdhsa_wavefront_size32 1
		.amdhsa_uses_dynamic_stack 0
		.amdhsa_enable_private_segment 0
		.amdhsa_system_sgpr_workgroup_id_x 1
		.amdhsa_system_sgpr_workgroup_id_y 0
		.amdhsa_system_sgpr_workgroup_id_z 0
		.amdhsa_system_sgpr_workgroup_info 0
		.amdhsa_system_vgpr_workitem_id 0
		.amdhsa_next_free_vgpr 1
		.amdhsa_next_free_sgpr 1
		.amdhsa_named_barrier_count 0
		.amdhsa_reserve_vcc 0
		.amdhsa_float_round_mode_32 0
		.amdhsa_float_round_mode_16_64 0
		.amdhsa_float_denorm_mode_32 3
		.amdhsa_float_denorm_mode_16_64 3
		.amdhsa_fp16_overflow 0
		.amdhsa_memory_ordered 1
		.amdhsa_forward_progress 1
		.amdhsa_inst_pref_size 0
		.amdhsa_round_robin_scheduling 0
		.amdhsa_exception_fp_ieee_invalid_op 0
		.amdhsa_exception_fp_denorm_src 0
		.amdhsa_exception_fp_ieee_div_zero 0
		.amdhsa_exception_fp_ieee_overflow 0
		.amdhsa_exception_fp_ieee_underflow 0
		.amdhsa_exception_fp_ieee_inexact 0
		.amdhsa_exception_int_div_zero 0
	.end_amdhsa_kernel
	.section	.text._ZN7rocprim17ROCPRIM_400000_NS6detail17trampoline_kernelINS0_14default_configENS1_35radix_sort_onesweep_config_selectorIjNS0_10empty_typeEEEZNS1_34radix_sort_onesweep_global_offsetsIS3_Lb0EPKjPS5_mNS0_19identity_decomposerEEE10hipError_tT1_T2_PT3_SF_jT4_jjP12ihipStream_tbEUlT_E0_NS1_11comp_targetILNS1_3genE8ELNS1_11target_archE1030ELNS1_3gpuE2ELNS1_3repE0EEENS1_52radix_sort_onesweep_histogram_config_static_selectorELNS0_4arch9wavefront6targetE0EEEvSD_,"axG",@progbits,_ZN7rocprim17ROCPRIM_400000_NS6detail17trampoline_kernelINS0_14default_configENS1_35radix_sort_onesweep_config_selectorIjNS0_10empty_typeEEEZNS1_34radix_sort_onesweep_global_offsetsIS3_Lb0EPKjPS5_mNS0_19identity_decomposerEEE10hipError_tT1_T2_PT3_SF_jT4_jjP12ihipStream_tbEUlT_E0_NS1_11comp_targetILNS1_3genE8ELNS1_11target_archE1030ELNS1_3gpuE2ELNS1_3repE0EEENS1_52radix_sort_onesweep_histogram_config_static_selectorELNS0_4arch9wavefront6targetE0EEEvSD_,comdat
.Lfunc_end2743:
	.size	_ZN7rocprim17ROCPRIM_400000_NS6detail17trampoline_kernelINS0_14default_configENS1_35radix_sort_onesweep_config_selectorIjNS0_10empty_typeEEEZNS1_34radix_sort_onesweep_global_offsetsIS3_Lb0EPKjPS5_mNS0_19identity_decomposerEEE10hipError_tT1_T2_PT3_SF_jT4_jjP12ihipStream_tbEUlT_E0_NS1_11comp_targetILNS1_3genE8ELNS1_11target_archE1030ELNS1_3gpuE2ELNS1_3repE0EEENS1_52radix_sort_onesweep_histogram_config_static_selectorELNS0_4arch9wavefront6targetE0EEEvSD_, .Lfunc_end2743-_ZN7rocprim17ROCPRIM_400000_NS6detail17trampoline_kernelINS0_14default_configENS1_35radix_sort_onesweep_config_selectorIjNS0_10empty_typeEEEZNS1_34radix_sort_onesweep_global_offsetsIS3_Lb0EPKjPS5_mNS0_19identity_decomposerEEE10hipError_tT1_T2_PT3_SF_jT4_jjP12ihipStream_tbEUlT_E0_NS1_11comp_targetILNS1_3genE8ELNS1_11target_archE1030ELNS1_3gpuE2ELNS1_3repE0EEENS1_52radix_sort_onesweep_histogram_config_static_selectorELNS0_4arch9wavefront6targetE0EEEvSD_
                                        ; -- End function
	.set _ZN7rocprim17ROCPRIM_400000_NS6detail17trampoline_kernelINS0_14default_configENS1_35radix_sort_onesweep_config_selectorIjNS0_10empty_typeEEEZNS1_34radix_sort_onesweep_global_offsetsIS3_Lb0EPKjPS5_mNS0_19identity_decomposerEEE10hipError_tT1_T2_PT3_SF_jT4_jjP12ihipStream_tbEUlT_E0_NS1_11comp_targetILNS1_3genE8ELNS1_11target_archE1030ELNS1_3gpuE2ELNS1_3repE0EEENS1_52radix_sort_onesweep_histogram_config_static_selectorELNS0_4arch9wavefront6targetE0EEEvSD_.num_vgpr, 0
	.set _ZN7rocprim17ROCPRIM_400000_NS6detail17trampoline_kernelINS0_14default_configENS1_35radix_sort_onesweep_config_selectorIjNS0_10empty_typeEEEZNS1_34radix_sort_onesweep_global_offsetsIS3_Lb0EPKjPS5_mNS0_19identity_decomposerEEE10hipError_tT1_T2_PT3_SF_jT4_jjP12ihipStream_tbEUlT_E0_NS1_11comp_targetILNS1_3genE8ELNS1_11target_archE1030ELNS1_3gpuE2ELNS1_3repE0EEENS1_52radix_sort_onesweep_histogram_config_static_selectorELNS0_4arch9wavefront6targetE0EEEvSD_.num_agpr, 0
	.set _ZN7rocprim17ROCPRIM_400000_NS6detail17trampoline_kernelINS0_14default_configENS1_35radix_sort_onesweep_config_selectorIjNS0_10empty_typeEEEZNS1_34radix_sort_onesweep_global_offsetsIS3_Lb0EPKjPS5_mNS0_19identity_decomposerEEE10hipError_tT1_T2_PT3_SF_jT4_jjP12ihipStream_tbEUlT_E0_NS1_11comp_targetILNS1_3genE8ELNS1_11target_archE1030ELNS1_3gpuE2ELNS1_3repE0EEENS1_52radix_sort_onesweep_histogram_config_static_selectorELNS0_4arch9wavefront6targetE0EEEvSD_.numbered_sgpr, 0
	.set _ZN7rocprim17ROCPRIM_400000_NS6detail17trampoline_kernelINS0_14default_configENS1_35radix_sort_onesweep_config_selectorIjNS0_10empty_typeEEEZNS1_34radix_sort_onesweep_global_offsetsIS3_Lb0EPKjPS5_mNS0_19identity_decomposerEEE10hipError_tT1_T2_PT3_SF_jT4_jjP12ihipStream_tbEUlT_E0_NS1_11comp_targetILNS1_3genE8ELNS1_11target_archE1030ELNS1_3gpuE2ELNS1_3repE0EEENS1_52radix_sort_onesweep_histogram_config_static_selectorELNS0_4arch9wavefront6targetE0EEEvSD_.num_named_barrier, 0
	.set _ZN7rocprim17ROCPRIM_400000_NS6detail17trampoline_kernelINS0_14default_configENS1_35radix_sort_onesweep_config_selectorIjNS0_10empty_typeEEEZNS1_34radix_sort_onesweep_global_offsetsIS3_Lb0EPKjPS5_mNS0_19identity_decomposerEEE10hipError_tT1_T2_PT3_SF_jT4_jjP12ihipStream_tbEUlT_E0_NS1_11comp_targetILNS1_3genE8ELNS1_11target_archE1030ELNS1_3gpuE2ELNS1_3repE0EEENS1_52radix_sort_onesweep_histogram_config_static_selectorELNS0_4arch9wavefront6targetE0EEEvSD_.private_seg_size, 0
	.set _ZN7rocprim17ROCPRIM_400000_NS6detail17trampoline_kernelINS0_14default_configENS1_35radix_sort_onesweep_config_selectorIjNS0_10empty_typeEEEZNS1_34radix_sort_onesweep_global_offsetsIS3_Lb0EPKjPS5_mNS0_19identity_decomposerEEE10hipError_tT1_T2_PT3_SF_jT4_jjP12ihipStream_tbEUlT_E0_NS1_11comp_targetILNS1_3genE8ELNS1_11target_archE1030ELNS1_3gpuE2ELNS1_3repE0EEENS1_52radix_sort_onesweep_histogram_config_static_selectorELNS0_4arch9wavefront6targetE0EEEvSD_.uses_vcc, 0
	.set _ZN7rocprim17ROCPRIM_400000_NS6detail17trampoline_kernelINS0_14default_configENS1_35radix_sort_onesweep_config_selectorIjNS0_10empty_typeEEEZNS1_34radix_sort_onesweep_global_offsetsIS3_Lb0EPKjPS5_mNS0_19identity_decomposerEEE10hipError_tT1_T2_PT3_SF_jT4_jjP12ihipStream_tbEUlT_E0_NS1_11comp_targetILNS1_3genE8ELNS1_11target_archE1030ELNS1_3gpuE2ELNS1_3repE0EEENS1_52radix_sort_onesweep_histogram_config_static_selectorELNS0_4arch9wavefront6targetE0EEEvSD_.uses_flat_scratch, 0
	.set _ZN7rocprim17ROCPRIM_400000_NS6detail17trampoline_kernelINS0_14default_configENS1_35radix_sort_onesweep_config_selectorIjNS0_10empty_typeEEEZNS1_34radix_sort_onesweep_global_offsetsIS3_Lb0EPKjPS5_mNS0_19identity_decomposerEEE10hipError_tT1_T2_PT3_SF_jT4_jjP12ihipStream_tbEUlT_E0_NS1_11comp_targetILNS1_3genE8ELNS1_11target_archE1030ELNS1_3gpuE2ELNS1_3repE0EEENS1_52radix_sort_onesweep_histogram_config_static_selectorELNS0_4arch9wavefront6targetE0EEEvSD_.has_dyn_sized_stack, 0
	.set _ZN7rocprim17ROCPRIM_400000_NS6detail17trampoline_kernelINS0_14default_configENS1_35radix_sort_onesweep_config_selectorIjNS0_10empty_typeEEEZNS1_34radix_sort_onesweep_global_offsetsIS3_Lb0EPKjPS5_mNS0_19identity_decomposerEEE10hipError_tT1_T2_PT3_SF_jT4_jjP12ihipStream_tbEUlT_E0_NS1_11comp_targetILNS1_3genE8ELNS1_11target_archE1030ELNS1_3gpuE2ELNS1_3repE0EEENS1_52radix_sort_onesweep_histogram_config_static_selectorELNS0_4arch9wavefront6targetE0EEEvSD_.has_recursion, 0
	.set _ZN7rocprim17ROCPRIM_400000_NS6detail17trampoline_kernelINS0_14default_configENS1_35radix_sort_onesweep_config_selectorIjNS0_10empty_typeEEEZNS1_34radix_sort_onesweep_global_offsetsIS3_Lb0EPKjPS5_mNS0_19identity_decomposerEEE10hipError_tT1_T2_PT3_SF_jT4_jjP12ihipStream_tbEUlT_E0_NS1_11comp_targetILNS1_3genE8ELNS1_11target_archE1030ELNS1_3gpuE2ELNS1_3repE0EEENS1_52radix_sort_onesweep_histogram_config_static_selectorELNS0_4arch9wavefront6targetE0EEEvSD_.has_indirect_call, 0
	.section	.AMDGPU.csdata,"",@progbits
; Kernel info:
; codeLenInByte = 0
; TotalNumSgprs: 0
; NumVgprs: 0
; ScratchSize: 0
; MemoryBound: 0
; FloatMode: 240
; IeeeMode: 1
; LDSByteSize: 0 bytes/workgroup (compile time only)
; SGPRBlocks: 0
; VGPRBlocks: 0
; NumSGPRsForWavesPerEU: 1
; NumVGPRsForWavesPerEU: 1
; NamedBarCnt: 0
; Occupancy: 16
; WaveLimiterHint : 0
; COMPUTE_PGM_RSRC2:SCRATCH_EN: 0
; COMPUTE_PGM_RSRC2:USER_SGPR: 2
; COMPUTE_PGM_RSRC2:TRAP_HANDLER: 0
; COMPUTE_PGM_RSRC2:TGID_X_EN: 1
; COMPUTE_PGM_RSRC2:TGID_Y_EN: 0
; COMPUTE_PGM_RSRC2:TGID_Z_EN: 0
; COMPUTE_PGM_RSRC2:TIDIG_COMP_CNT: 0
	.section	.text._ZN7rocprim17ROCPRIM_400000_NS6detail17trampoline_kernelINS0_14default_configENS1_35radix_sort_onesweep_config_selectorIjNS0_10empty_typeEEEZZNS1_29radix_sort_onesweep_iterationIS3_Lb0EPKjPjPS5_SB_mNS0_19identity_decomposerENS1_16block_id_wrapperIjLb1EEEEE10hipError_tT1_PNSt15iterator_traitsISG_E10value_typeET2_T3_PNSH_ISM_E10value_typeET4_T5_PSR_SS_PNS1_23onesweep_lookback_stateEbbT6_jjT7_P12ihipStream_tbENKUlT_T0_SG_SL_E_clIS9_SA_SB_SB_EEDaSZ_S10_SG_SL_EUlSZ_E_NS1_11comp_targetILNS1_3genE0ELNS1_11target_archE4294967295ELNS1_3gpuE0ELNS1_3repE0EEENS1_47radix_sort_onesweep_sort_config_static_selectorELNS0_4arch9wavefront6targetE0EEEvSG_,"axG",@progbits,_ZN7rocprim17ROCPRIM_400000_NS6detail17trampoline_kernelINS0_14default_configENS1_35radix_sort_onesweep_config_selectorIjNS0_10empty_typeEEEZZNS1_29radix_sort_onesweep_iterationIS3_Lb0EPKjPjPS5_SB_mNS0_19identity_decomposerENS1_16block_id_wrapperIjLb1EEEEE10hipError_tT1_PNSt15iterator_traitsISG_E10value_typeET2_T3_PNSH_ISM_E10value_typeET4_T5_PSR_SS_PNS1_23onesweep_lookback_stateEbbT6_jjT7_P12ihipStream_tbENKUlT_T0_SG_SL_E_clIS9_SA_SB_SB_EEDaSZ_S10_SG_SL_EUlSZ_E_NS1_11comp_targetILNS1_3genE0ELNS1_11target_archE4294967295ELNS1_3gpuE0ELNS1_3repE0EEENS1_47radix_sort_onesweep_sort_config_static_selectorELNS0_4arch9wavefront6targetE0EEEvSG_,comdat
	.protected	_ZN7rocprim17ROCPRIM_400000_NS6detail17trampoline_kernelINS0_14default_configENS1_35radix_sort_onesweep_config_selectorIjNS0_10empty_typeEEEZZNS1_29radix_sort_onesweep_iterationIS3_Lb0EPKjPjPS5_SB_mNS0_19identity_decomposerENS1_16block_id_wrapperIjLb1EEEEE10hipError_tT1_PNSt15iterator_traitsISG_E10value_typeET2_T3_PNSH_ISM_E10value_typeET4_T5_PSR_SS_PNS1_23onesweep_lookback_stateEbbT6_jjT7_P12ihipStream_tbENKUlT_T0_SG_SL_E_clIS9_SA_SB_SB_EEDaSZ_S10_SG_SL_EUlSZ_E_NS1_11comp_targetILNS1_3genE0ELNS1_11target_archE4294967295ELNS1_3gpuE0ELNS1_3repE0EEENS1_47radix_sort_onesweep_sort_config_static_selectorELNS0_4arch9wavefront6targetE0EEEvSG_ ; -- Begin function _ZN7rocprim17ROCPRIM_400000_NS6detail17trampoline_kernelINS0_14default_configENS1_35radix_sort_onesweep_config_selectorIjNS0_10empty_typeEEEZZNS1_29radix_sort_onesweep_iterationIS3_Lb0EPKjPjPS5_SB_mNS0_19identity_decomposerENS1_16block_id_wrapperIjLb1EEEEE10hipError_tT1_PNSt15iterator_traitsISG_E10value_typeET2_T3_PNSH_ISM_E10value_typeET4_T5_PSR_SS_PNS1_23onesweep_lookback_stateEbbT6_jjT7_P12ihipStream_tbENKUlT_T0_SG_SL_E_clIS9_SA_SB_SB_EEDaSZ_S10_SG_SL_EUlSZ_E_NS1_11comp_targetILNS1_3genE0ELNS1_11target_archE4294967295ELNS1_3gpuE0ELNS1_3repE0EEENS1_47radix_sort_onesweep_sort_config_static_selectorELNS0_4arch9wavefront6targetE0EEEvSG_
	.globl	_ZN7rocprim17ROCPRIM_400000_NS6detail17trampoline_kernelINS0_14default_configENS1_35radix_sort_onesweep_config_selectorIjNS0_10empty_typeEEEZZNS1_29radix_sort_onesweep_iterationIS3_Lb0EPKjPjPS5_SB_mNS0_19identity_decomposerENS1_16block_id_wrapperIjLb1EEEEE10hipError_tT1_PNSt15iterator_traitsISG_E10value_typeET2_T3_PNSH_ISM_E10value_typeET4_T5_PSR_SS_PNS1_23onesweep_lookback_stateEbbT6_jjT7_P12ihipStream_tbENKUlT_T0_SG_SL_E_clIS9_SA_SB_SB_EEDaSZ_S10_SG_SL_EUlSZ_E_NS1_11comp_targetILNS1_3genE0ELNS1_11target_archE4294967295ELNS1_3gpuE0ELNS1_3repE0EEENS1_47radix_sort_onesweep_sort_config_static_selectorELNS0_4arch9wavefront6targetE0EEEvSG_
	.p2align	8
	.type	_ZN7rocprim17ROCPRIM_400000_NS6detail17trampoline_kernelINS0_14default_configENS1_35radix_sort_onesweep_config_selectorIjNS0_10empty_typeEEEZZNS1_29radix_sort_onesweep_iterationIS3_Lb0EPKjPjPS5_SB_mNS0_19identity_decomposerENS1_16block_id_wrapperIjLb1EEEEE10hipError_tT1_PNSt15iterator_traitsISG_E10value_typeET2_T3_PNSH_ISM_E10value_typeET4_T5_PSR_SS_PNS1_23onesweep_lookback_stateEbbT6_jjT7_P12ihipStream_tbENKUlT_T0_SG_SL_E_clIS9_SA_SB_SB_EEDaSZ_S10_SG_SL_EUlSZ_E_NS1_11comp_targetILNS1_3genE0ELNS1_11target_archE4294967295ELNS1_3gpuE0ELNS1_3repE0EEENS1_47radix_sort_onesweep_sort_config_static_selectorELNS0_4arch9wavefront6targetE0EEEvSG_,@function
_ZN7rocprim17ROCPRIM_400000_NS6detail17trampoline_kernelINS0_14default_configENS1_35radix_sort_onesweep_config_selectorIjNS0_10empty_typeEEEZZNS1_29radix_sort_onesweep_iterationIS3_Lb0EPKjPjPS5_SB_mNS0_19identity_decomposerENS1_16block_id_wrapperIjLb1EEEEE10hipError_tT1_PNSt15iterator_traitsISG_E10value_typeET2_T3_PNSH_ISM_E10value_typeET4_T5_PSR_SS_PNS1_23onesweep_lookback_stateEbbT6_jjT7_P12ihipStream_tbENKUlT_T0_SG_SL_E_clIS9_SA_SB_SB_EEDaSZ_S10_SG_SL_EUlSZ_E_NS1_11comp_targetILNS1_3genE0ELNS1_11target_archE4294967295ELNS1_3gpuE0ELNS1_3repE0EEENS1_47radix_sort_onesweep_sort_config_static_selectorELNS0_4arch9wavefront6targetE0EEEvSG_: ; @_ZN7rocprim17ROCPRIM_400000_NS6detail17trampoline_kernelINS0_14default_configENS1_35radix_sort_onesweep_config_selectorIjNS0_10empty_typeEEEZZNS1_29radix_sort_onesweep_iterationIS3_Lb0EPKjPjPS5_SB_mNS0_19identity_decomposerENS1_16block_id_wrapperIjLb1EEEEE10hipError_tT1_PNSt15iterator_traitsISG_E10value_typeET2_T3_PNSH_ISM_E10value_typeET4_T5_PSR_SS_PNS1_23onesweep_lookback_stateEbbT6_jjT7_P12ihipStream_tbENKUlT_T0_SG_SL_E_clIS9_SA_SB_SB_EEDaSZ_S10_SG_SL_EUlSZ_E_NS1_11comp_targetILNS1_3genE0ELNS1_11target_archE4294967295ELNS1_3gpuE0ELNS1_3repE0EEENS1_47radix_sort_onesweep_sort_config_static_selectorELNS0_4arch9wavefront6targetE0EEEvSG_
; %bb.0:
	s_clause 0x1
	s_load_b128 s[8:11], s[0:1], 0x28
	s_load_b64 s[20:21], s[0:1], 0x38
	v_and_b32_e32 v14, 0x3ff, v0
	s_delay_alu instid0(VALU_DEP_1)
	v_cmp_eq_u32_e64 s2, 0, v14
	s_and_saveexec_b32 s3, s2
	s_cbranch_execz .LBB2744_4
; %bb.1:
	s_mov_b32 s5, exec_lo
	s_mov_b32 s4, exec_lo
	v_mbcnt_lo_u32_b32 v1, s5, 0
                                        ; implicit-def: $vgpr2
	s_delay_alu instid0(VALU_DEP_1)
	v_cmpx_eq_u32_e32 0, v1
	s_cbranch_execz .LBB2744_3
; %bb.2:
	s_load_b64 s[6:7], s[0:1], 0x50
	s_bcnt1_i32_b32 s5, s5
	s_delay_alu instid0(SALU_CYCLE_1)
	v_dual_mov_b32 v2, 0 :: v_dual_mov_b32 v3, s5
	s_wait_xcnt 0x0
	s_wait_kmcnt 0x0
	global_atomic_add_u32 v2, v2, v3, s[6:7] th:TH_ATOMIC_RETURN scope:SCOPE_DEV
.LBB2744_3:
	s_wait_xcnt 0x0
	s_or_b32 exec_lo, exec_lo, s4
	s_wait_loadcnt 0x0
	v_readfirstlane_b32 s4, v2
	s_delay_alu instid0(VALU_DEP_1)
	v_dual_mov_b32 v2, 0 :: v_dual_add_nc_u32 v1, s4, v1
	ds_store_b32 v2, v1 offset:18496
.LBB2744_4:
	s_or_b32 exec_lo, exec_lo, s3
	v_mov_b32_e32 v3, 0
	s_clause 0x2
	s_load_b128 s[12:15], s[0:1], 0x0
	s_load_b32 s3, s[0:1], 0x20
	s_load_b96 s[16:18], s[0:1], 0x44
	s_wait_dscnt 0x0
	s_barrier_signal -1
	s_barrier_wait -1
	ds_load_b32 v1, v3 offset:18496
	v_mbcnt_lo_u32_b32 v15, -1, 0
	v_and_b32_e32 v16, 0x3e0, v14
	s_mov_b32 s4, -1
	s_add_nc_u64 s[24:25], s[0:1], 0x58
	s_getreg_b32 s7, hwreg(HW_REG_IB_STS2, 6, 4)
	s_wait_dscnt 0x0
	s_barrier_signal -1
	s_barrier_wait -1
	s_wait_kmcnt 0x0
	v_cmp_le_u32_e32 vcc_lo, s18, v1
	v_readfirstlane_b32 s19, v1
	s_mul_i32 s22, s19, 0x1800
	s_cbranch_vccz .LBB2744_94
; %bb.5:
	s_mov_b32 s23, 0
	v_mul_u32_u24_e32 v1, 12, v16
	v_lshlrev_b32_e32 v2, 2, v15
	s_lshl_b64 s[4:5], s[22:23], 2
	v_mov_b32_e32 v17, -1
	s_add_nc_u64 s[4:5], s[12:13], s[4:5]
	v_or_b32_e32 v4, v15, v1
	v_add_nc_u64_e32 v[6:7], s[4:5], v[2:3]
	v_dual_mov_b32 v1, -1 :: v_dual_lshlrev_b32 v2, 2, v1
	s_mulk_i32 s18, 0xe800
	s_delay_alu instid0(SALU_CYCLE_1) | instskip(SKIP_1) | instid1(VALU_DEP_1)
	s_add_co_i32 s18, s18, s3
	s_mov_b32 s3, exec_lo
	v_add_nc_u64_e32 v[2:3], v[6:7], v[2:3]
	v_cmpx_gt_u32_e64 s18, v4
	s_cbranch_execz .LBB2744_7
; %bb.6:
	global_load_b32 v17, v[2:3], off
.LBB2744_7:
	s_wait_xcnt 0x0
	s_or_b32 exec_lo, exec_lo, s3
	v_or_b32_e32 v5, 32, v4
	s_mov_b32 s3, exec_lo
	s_delay_alu instid0(VALU_DEP_1)
	v_cmpx_gt_u32_e64 s18, v5
	s_cbranch_execz .LBB2744_9
; %bb.8:
	global_load_b32 v1, v[2:3], off offset:128
.LBB2744_9:
	s_wait_xcnt 0x0
	s_or_b32 exec_lo, exec_lo, s3
	v_dual_mov_b32 v18, -1 :: v_dual_bitop2_b32 v5, 64, v4 bitop3:0x54
	v_mov_b32_e32 v19, -1
	s_mov_b32 s3, exec_lo
	s_delay_alu instid0(VALU_DEP_2)
	v_cmpx_gt_u32_e64 s18, v5
	s_cbranch_execz .LBB2744_11
; %bb.10:
	global_load_b32 v19, v[2:3], off offset:256
.LBB2744_11:
	s_wait_xcnt 0x0
	s_or_b32 exec_lo, exec_lo, s3
	v_or_b32_e32 v5, 0x60, v4
	s_mov_b32 s3, exec_lo
	s_delay_alu instid0(VALU_DEP_1)
	v_cmpx_gt_u32_e64 s18, v5
	s_cbranch_execz .LBB2744_13
; %bb.12:
	global_load_b32 v18, v[2:3], off offset:384
.LBB2744_13:
	s_wait_xcnt 0x0
	s_or_b32 exec_lo, exec_lo, s3
	v_dual_mov_b32 v20, -1 :: v_dual_add_nc_u32 v5, 0x80, v4
	v_mov_b32_e32 v21, -1
	s_mov_b32 s3, exec_lo
	s_delay_alu instid0(VALU_DEP_2)
	v_cmpx_gt_u32_e64 s18, v5
	s_cbranch_execz .LBB2744_15
; %bb.14:
	global_load_b32 v21, v[2:3], off offset:512
.LBB2744_15:
	s_wait_xcnt 0x0
	s_or_b32 exec_lo, exec_lo, s3
	v_add_nc_u32_e32 v5, 0xa0, v4
	s_mov_b32 s3, exec_lo
	s_delay_alu instid0(VALU_DEP_1)
	v_cmpx_gt_u32_e64 s18, v5
	s_cbranch_execz .LBB2744_17
; %bb.16:
	global_load_b32 v20, v[2:3], off offset:640
.LBB2744_17:
	s_wait_xcnt 0x0
	s_or_b32 exec_lo, exec_lo, s3
	v_dual_mov_b32 v22, -1 :: v_dual_add_nc_u32 v5, 0xc0, v4
	v_mov_b32_e32 v23, -1
	s_mov_b32 s3, exec_lo
	s_delay_alu instid0(VALU_DEP_2)
	v_cmpx_gt_u32_e64 s18, v5
	s_cbranch_execz .LBB2744_19
; %bb.18:
	global_load_b32 v23, v[2:3], off offset:768
.LBB2744_19:
	s_wait_xcnt 0x0
	s_or_b32 exec_lo, exec_lo, s3
	v_add_nc_u32_e32 v5, 0xe0, v4
	;; [unrolled: 21-line block ×4, first 2 shown]
	s_mov_b32 s3, exec_lo
	s_delay_alu instid0(VALU_DEP_1)
	v_cmpx_gt_u32_e64 s18, v4
	s_cbranch_execz .LBB2744_29
; %bb.28:
	global_load_b32 v26, v[2:3], off offset:1408
.LBB2744_29:
	s_wait_xcnt 0x0
	s_or_b32 exec_lo, exec_lo, s3
	s_clause 0x1
	s_load_b32 s23, s[0:1], 0x58
	s_load_u16 s3, s[0:1], 0x66
	s_bfe_u32 s4, ttmp6, 0x4000c
	s_and_b32 s5, ttmp6, 15
	s_add_co_i32 s4, s4, 1
	v_bfe_u32 v2, v0, 10, 10
	s_mul_i32 s4, ttmp9, s4
	v_bfe_u32 v3, v0, 20, 10
	s_add_co_i32 s5, s5, s4
	s_cmp_eq_u32 s7, 0
	s_wait_loadcnt 0x0
	v_lshrrev_b32_e32 v4, s16, v17
	s_cselect_b32 s4, ttmp9, s5
	s_mov_b32 s5, 0
	s_wait_kmcnt 0x0
	s_cmp_lt_u32 s4, s23
	v_mad_u32_u24 v2, v3, s3, v2
	s_cselect_b32 s4, 12, 18
	s_lshl_b32 s26, -1, s17
	s_add_nc_u64 s[4:5], s[24:25], s[4:5]
	v_bitop3_b32 v3, v4, 1, s26 bitop3:0x40
	s_load_u16 s27, s[4:5], 0x0
	s_delay_alu instid0(VALU_DEP_1) | instskip(NEXT) | instid1(VALU_DEP_1)
	v_add_co_u32 v3, s3, v3, -1
	v_cndmask_b32_e64 v5, 0, 1, s3
	s_delay_alu instid0(VALU_DEP_1) | instskip(NEXT) | instid1(VALU_DEP_3)
	v_cmp_ne_u32_e32 vcc_lo, 0, v5
	v_xor_b32_e32 v3, vcc_lo, v3
	v_bitop3_b32 v4, v4, s26, v4 bitop3:0x30
	s_not_b32 s26, s26
	s_wait_kmcnt 0x0
	v_mad_u32 v2, v2, s27, v14
	s_delay_alu instid0(VALU_DEP_2) | instskip(SKIP_2) | instid1(VALU_DEP_3)
	v_dual_lshlrev_b32 v6, 30, v4 :: v_dual_lshlrev_b32 v7, 29, v4
	v_dual_lshlrev_b32 v8, 28, v4 :: v_dual_lshlrev_b32 v9, 27, v4
	;; [unrolled: 1-line block ×3, first 2 shown]
	v_not_b32_e32 v5, v6
	v_lshlrev_b32_e32 v12, 24, v4
	v_cmp_gt_i32_e64 s3, 0, v6
	v_cmp_gt_i32_e64 s4, 0, v7
	v_not_b32_e32 v6, v7
	v_not_b32_e32 v7, v8
	v_ashrrev_i32_e32 v5, 31, v5
	v_cmp_gt_i32_e64 s5, 0, v8
	v_cmp_gt_i32_e64 s6, 0, v9
	v_not_b32_e32 v8, v9
	v_dual_ashrrev_i32 v6, 31, v6 :: v_dual_ashrrev_i32 v7, 31, v7
	v_xor_b32_e32 v5, s3, v5
	v_not_b32_e32 v9, v10
	s_delay_alu instid0(VALU_DEP_3) | instskip(NEXT) | instid1(VALU_DEP_4)
	v_dual_ashrrev_i32 v8, 31, v8 :: v_dual_bitop2_b32 v6, s4, v6 bitop3:0x14
	v_xor_b32_e32 v7, s5, v7
	s_delay_alu instid0(VALU_DEP_4)
	v_bitop3_b32 v3, v3, v5, exec_lo bitop3:0x80
	v_cmp_gt_i32_e32 vcc_lo, 0, v10
	v_ashrrev_i32_e32 v5, 31, v9
	v_not_b32_e32 v9, v11
	v_xor_b32_e32 v8, s6, v8
	v_bitop3_b32 v3, v3, v7, v6 bitop3:0x80
	v_not_b32_e32 v6, v12
	v_xor_b32_e32 v5, vcc_lo, v5
	v_cmp_gt_i32_e32 vcc_lo, 0, v11
	v_ashrrev_i32_e32 v7, 31, v9
	v_mul_lo_u32 v4, 0x44, v4
	v_cmp_gt_i32_e64 s3, 0, v12
	v_ashrrev_i32_e32 v6, 31, v6
	v_bitop3_b32 v3, v3, v5, v8 bitop3:0x80
	v_dual_lshrrev_b32 v2, 3, v2 :: v_dual_bitop2_b32 v5, vcc_lo, v7 bitop3:0x14
	v_mul_u32_u24_e32 v10, 36, v14
	v_mov_b32_e32 v7, 0
	ds_store_2addr_b32 v10, v7, v7 offset0:16 offset1:17
	ds_store_2addr_b32 v10, v7, v7 offset0:18 offset1:19
	;; [unrolled: 1-line block ×4, first 2 shown]
	v_and_b32_e32 v2, 0x1ffffffc, v2
	v_xor_b32_e32 v6, s3, v6
	ds_store_b32 v10, v7 offset:96
	s_wait_dscnt 0x0
	s_barrier_signal -1
	v_add_nc_u32_e32 v11, v2, v4
	v_bitop3_b32 v3, v3, v6, v5 bitop3:0x80
	s_barrier_wait -1
	; wave barrier
	s_delay_alu instid0(VALU_DEP_1) | instskip(SKIP_1) | instid1(VALU_DEP_2)
	v_mbcnt_lo_u32_b32 v28, v3, 0
	v_cmp_ne_u32_e64 s3, 0, v3
	v_cmp_eq_u32_e32 vcc_lo, 0, v28
	s_and_b32 s4, s3, vcc_lo
	s_delay_alu instid0(SALU_CYCLE_1)
	s_and_saveexec_b32 s3, s4
; %bb.30:
	v_bcnt_u32_b32 v3, v3, 0
	ds_store_b32 v11, v3 offset:64
; %bb.31:
	s_or_b32 exec_lo, exec_lo, s3
	v_lshrrev_b32_e32 v3, s16, v1
	; wave barrier
	s_delay_alu instid0(VALU_DEP_1) | instskip(NEXT) | instid1(VALU_DEP_1)
	v_and_b32_e32 v4, s26, v3
	v_lshlrev_b32_e32 v7, 30, v4
	v_bitop3_b32 v3, v3, 1, s26 bitop3:0x80
	s_delay_alu instid0(VALU_DEP_1) | instskip(NEXT) | instid1(VALU_DEP_1)
	v_add_co_u32 v3, s3, v3, -1
	v_cndmask_b32_e64 v6, 0, 1, s3
	s_delay_alu instid0(VALU_DEP_4) | instskip(NEXT) | instid1(VALU_DEP_2)
	v_cmp_gt_i32_e64 s3, 0, v7
	v_cmp_ne_u32_e32 vcc_lo, 0, v6
	v_not_b32_e32 v6, v7
	s_delay_alu instid0(VALU_DEP_1) | instskip(SKIP_3) | instid1(VALU_DEP_4)
	v_dual_ashrrev_i32 v6, 31, v6 :: v_dual_lshlrev_b32 v8, 29, v4
	v_dual_lshlrev_b32 v9, 28, v4 :: v_dual_lshlrev_b32 v12, 27, v4
	v_lshlrev_b32_e32 v13, 26, v4
	v_mul_lo_u32 v5, 0x44, v4
	v_cmp_gt_i32_e64 s4, 0, v8
	v_not_b32_e32 v7, v8
	v_not_b32_e32 v8, v9
	v_cmp_gt_i32_e64 s5, 0, v9
	v_xor_b32_e32 v3, vcc_lo, v3
	s_delay_alu instid0(VALU_DEP_4) | instskip(NEXT) | instid1(VALU_DEP_4)
	v_dual_ashrrev_i32 v7, 31, v7 :: v_dual_bitop2_b32 v6, s3, v6 bitop3:0x14
	v_ashrrev_i32_e32 v8, 31, v8
	v_dual_lshlrev_b32 v29, 25, v4 :: v_dual_lshlrev_b32 v4, 24, v4
	v_not_b32_e32 v9, v12
	v_not_b32_e32 v30, v13
	v_xor_b32_e32 v7, s4, v7
	v_xor_b32_e32 v8, s5, v8
	v_bitop3_b32 v3, v3, v6, exec_lo bitop3:0x80
	v_cmp_gt_i32_e32 vcc_lo, 0, v12
	v_ashrrev_i32_e32 v6, 31, v9
	v_cmp_gt_i32_e64 s3, 0, v13
	v_ashrrev_i32_e32 v9, 31, v30
	v_bitop3_b32 v3, v3, v8, v7 bitop3:0x80
	v_not_b32_e32 v7, v29
	v_not_b32_e32 v8, v4
	v_xor_b32_e32 v6, vcc_lo, v6
	v_xor_b32_e32 v9, s3, v9
	v_cmp_gt_i32_e32 vcc_lo, 0, v29
	v_ashrrev_i32_e32 v7, 31, v7
	v_cmp_gt_i32_e64 s3, 0, v4
	v_dual_ashrrev_i32 v4, 31, v8 :: v_dual_add_nc_u32 v12, v2, v5
	v_bitop3_b32 v3, v3, v9, v6 bitop3:0x80
	s_delay_alu instid0(VALU_DEP_4) | instskip(NEXT) | instid1(VALU_DEP_3)
	v_xor_b32_e32 v5, vcc_lo, v7
	v_xor_b32_e32 v4, s3, v4
	ds_load_b32 v29, v12 offset:64
	; wave barrier
	v_bitop3_b32 v3, v3, v4, v5 bitop3:0x80
	s_delay_alu instid0(VALU_DEP_1) | instskip(SKIP_1) | instid1(VALU_DEP_2)
	v_mbcnt_lo_u32_b32 v30, v3, 0
	v_cmp_ne_u32_e64 s3, 0, v3
	v_cmp_eq_u32_e32 vcc_lo, 0, v30
	s_and_b32 s4, s3, vcc_lo
	s_delay_alu instid0(SALU_CYCLE_1)
	s_and_saveexec_b32 s3, s4
	s_cbranch_execz .LBB2744_33
; %bb.32:
	s_wait_dscnt 0x0
	v_bcnt_u32_b32 v3, v3, v29
	ds_store_b32 v12, v3 offset:64
.LBB2744_33:
	s_or_b32 exec_lo, exec_lo, s3
	v_lshrrev_b32_e32 v3, s16, v19
	; wave barrier
	s_delay_alu instid0(VALU_DEP_1) | instskip(NEXT) | instid1(VALU_DEP_1)
	v_and_b32_e32 v4, s26, v3
	v_lshlrev_b32_e32 v7, 30, v4
	v_bitop3_b32 v3, v3, 1, s26 bitop3:0x80
	s_delay_alu instid0(VALU_DEP_1) | instskip(NEXT) | instid1(VALU_DEP_1)
	v_add_co_u32 v3, s3, v3, -1
	v_cndmask_b32_e64 v6, 0, 1, s3
	s_delay_alu instid0(VALU_DEP_4) | instskip(NEXT) | instid1(VALU_DEP_2)
	v_cmp_gt_i32_e64 s3, 0, v7
	v_cmp_ne_u32_e32 vcc_lo, 0, v6
	v_not_b32_e32 v6, v7
	s_delay_alu instid0(VALU_DEP_1) | instskip(SKIP_3) | instid1(VALU_DEP_4)
	v_dual_ashrrev_i32 v6, 31, v6 :: v_dual_lshlrev_b32 v8, 29, v4
	v_dual_lshlrev_b32 v9, 28, v4 :: v_dual_lshlrev_b32 v13, 27, v4
	v_lshlrev_b32_e32 v31, 26, v4
	v_mul_lo_u32 v5, 0x44, v4
	v_cmp_gt_i32_e64 s4, 0, v8
	v_not_b32_e32 v7, v8
	v_not_b32_e32 v8, v9
	v_cmp_gt_i32_e64 s5, 0, v9
	v_xor_b32_e32 v3, vcc_lo, v3
	s_delay_alu instid0(VALU_DEP_4) | instskip(NEXT) | instid1(VALU_DEP_4)
	v_dual_ashrrev_i32 v7, 31, v7 :: v_dual_bitop2_b32 v6, s3, v6 bitop3:0x14
	v_ashrrev_i32_e32 v8, 31, v8
	v_dual_lshlrev_b32 v32, 25, v4 :: v_dual_lshlrev_b32 v4, 24, v4
	v_not_b32_e32 v9, v13
	v_not_b32_e32 v33, v31
	v_xor_b32_e32 v7, s4, v7
	v_xor_b32_e32 v8, s5, v8
	v_bitop3_b32 v3, v3, v6, exec_lo bitop3:0x80
	v_cmp_gt_i32_e32 vcc_lo, 0, v13
	v_ashrrev_i32_e32 v6, 31, v9
	v_cmp_gt_i32_e64 s3, 0, v31
	v_ashrrev_i32_e32 v9, 31, v33
	v_bitop3_b32 v3, v3, v8, v7 bitop3:0x80
	v_not_b32_e32 v7, v32
	v_not_b32_e32 v8, v4
	v_xor_b32_e32 v6, vcc_lo, v6
	v_xor_b32_e32 v9, s3, v9
	v_cmp_gt_i32_e32 vcc_lo, 0, v32
	v_ashrrev_i32_e32 v7, 31, v7
	v_cmp_gt_i32_e64 s3, 0, v4
	v_dual_ashrrev_i32 v4, 31, v8 :: v_dual_add_nc_u32 v13, v2, v5
	v_bitop3_b32 v3, v3, v9, v6 bitop3:0x80
	s_delay_alu instid0(VALU_DEP_4) | instskip(NEXT) | instid1(VALU_DEP_3)
	v_xor_b32_e32 v5, vcc_lo, v7
	v_xor_b32_e32 v4, s3, v4
	ds_load_b32 v31, v13 offset:64
	; wave barrier
	v_bitop3_b32 v3, v3, v4, v5 bitop3:0x80
	s_delay_alu instid0(VALU_DEP_1) | instskip(SKIP_1) | instid1(VALU_DEP_2)
	v_mbcnt_lo_u32_b32 v32, v3, 0
	v_cmp_ne_u32_e64 s3, 0, v3
	v_cmp_eq_u32_e32 vcc_lo, 0, v32
	s_and_b32 s4, s3, vcc_lo
	s_delay_alu instid0(SALU_CYCLE_1)
	s_and_saveexec_b32 s3, s4
	s_cbranch_execz .LBB2744_35
; %bb.34:
	s_wait_dscnt 0x0
	v_bcnt_u32_b32 v3, v3, v31
	ds_store_b32 v13, v3 offset:64
.LBB2744_35:
	s_or_b32 exec_lo, exec_lo, s3
	v_lshrrev_b32_e32 v3, s16, v18
	; wave barrier
	s_delay_alu instid0(VALU_DEP_1) | instskip(NEXT) | instid1(VALU_DEP_1)
	v_and_b32_e32 v4, s26, v3
	v_lshlrev_b32_e32 v7, 30, v4
	v_bitop3_b32 v3, v3, 1, s26 bitop3:0x80
	s_delay_alu instid0(VALU_DEP_1) | instskip(NEXT) | instid1(VALU_DEP_1)
	v_add_co_u32 v3, s3, v3, -1
	v_cndmask_b32_e64 v6, 0, 1, s3
	s_delay_alu instid0(VALU_DEP_4) | instskip(NEXT) | instid1(VALU_DEP_2)
	v_cmp_gt_i32_e64 s3, 0, v7
	v_cmp_ne_u32_e32 vcc_lo, 0, v6
	v_not_b32_e32 v6, v7
	s_delay_alu instid0(VALU_DEP_1) | instskip(SKIP_3) | instid1(VALU_DEP_4)
	v_dual_ashrrev_i32 v6, 31, v6 :: v_dual_lshlrev_b32 v8, 29, v4
	v_dual_lshlrev_b32 v9, 28, v4 :: v_dual_lshlrev_b32 v33, 27, v4
	v_lshlrev_b32_e32 v34, 26, v4
	v_mul_lo_u32 v5, 0x44, v4
	v_cmp_gt_i32_e64 s4, 0, v8
	v_not_b32_e32 v7, v8
	v_not_b32_e32 v8, v9
	v_cmp_gt_i32_e64 s5, 0, v9
	v_xor_b32_e32 v3, vcc_lo, v3
	s_delay_alu instid0(VALU_DEP_4) | instskip(NEXT) | instid1(VALU_DEP_4)
	v_dual_ashrrev_i32 v7, 31, v7 :: v_dual_bitop2_b32 v6, s3, v6 bitop3:0x14
	v_ashrrev_i32_e32 v8, 31, v8
	v_dual_lshlrev_b32 v35, 25, v4 :: v_dual_lshlrev_b32 v4, 24, v4
	v_not_b32_e32 v9, v33
	v_not_b32_e32 v36, v34
	v_xor_b32_e32 v7, s4, v7
	v_xor_b32_e32 v8, s5, v8
	v_bitop3_b32 v3, v3, v6, exec_lo bitop3:0x80
	v_cmp_gt_i32_e32 vcc_lo, 0, v33
	v_ashrrev_i32_e32 v6, 31, v9
	v_cmp_gt_i32_e64 s3, 0, v34
	v_ashrrev_i32_e32 v9, 31, v36
	v_bitop3_b32 v3, v3, v8, v7 bitop3:0x80
	v_not_b32_e32 v7, v35
	v_not_b32_e32 v8, v4
	v_xor_b32_e32 v6, vcc_lo, v6
	v_xor_b32_e32 v9, s3, v9
	v_cmp_gt_i32_e32 vcc_lo, 0, v35
	v_ashrrev_i32_e32 v7, 31, v7
	v_cmp_gt_i32_e64 s3, 0, v4
	v_dual_ashrrev_i32 v4, 31, v8 :: v_dual_add_nc_u32 v37, v2, v5
	v_bitop3_b32 v3, v3, v9, v6 bitop3:0x80
	s_delay_alu instid0(VALU_DEP_4) | instskip(NEXT) | instid1(VALU_DEP_3)
	v_xor_b32_e32 v5, vcc_lo, v7
	v_xor_b32_e32 v4, s3, v4
	ds_load_b32 v33, v37 offset:64
	; wave barrier
	v_bitop3_b32 v3, v3, v4, v5 bitop3:0x80
	s_delay_alu instid0(VALU_DEP_1) | instskip(SKIP_1) | instid1(VALU_DEP_2)
	v_mbcnt_lo_u32_b32 v34, v3, 0
	v_cmp_ne_u32_e64 s3, 0, v3
	v_cmp_eq_u32_e32 vcc_lo, 0, v34
	s_and_b32 s4, s3, vcc_lo
	s_delay_alu instid0(SALU_CYCLE_1)
	s_and_saveexec_b32 s3, s4
	s_cbranch_execz .LBB2744_37
; %bb.36:
	s_wait_dscnt 0x0
	v_bcnt_u32_b32 v3, v3, v33
	ds_store_b32 v37, v3 offset:64
.LBB2744_37:
	s_or_b32 exec_lo, exec_lo, s3
	v_lshrrev_b32_e32 v3, s16, v21
	; wave barrier
	s_delay_alu instid0(VALU_DEP_1) | instskip(NEXT) | instid1(VALU_DEP_1)
	v_and_b32_e32 v4, s26, v3
	v_lshlrev_b32_e32 v7, 30, v4
	v_bitop3_b32 v3, v3, 1, s26 bitop3:0x80
	s_delay_alu instid0(VALU_DEP_1) | instskip(NEXT) | instid1(VALU_DEP_1)
	v_add_co_u32 v3, s3, v3, -1
	v_cndmask_b32_e64 v6, 0, 1, s3
	s_delay_alu instid0(VALU_DEP_4) | instskip(NEXT) | instid1(VALU_DEP_2)
	v_cmp_gt_i32_e64 s3, 0, v7
	v_cmp_ne_u32_e32 vcc_lo, 0, v6
	v_not_b32_e32 v6, v7
	s_delay_alu instid0(VALU_DEP_1) | instskip(SKIP_3) | instid1(VALU_DEP_4)
	v_dual_ashrrev_i32 v6, 31, v6 :: v_dual_lshlrev_b32 v8, 29, v4
	v_dual_lshlrev_b32 v9, 28, v4 :: v_dual_lshlrev_b32 v35, 27, v4
	v_lshlrev_b32_e32 v36, 26, v4
	v_mul_lo_u32 v5, 0x44, v4
	v_cmp_gt_i32_e64 s4, 0, v8
	v_not_b32_e32 v7, v8
	v_not_b32_e32 v8, v9
	v_cmp_gt_i32_e64 s5, 0, v9
	v_xor_b32_e32 v3, vcc_lo, v3
	s_delay_alu instid0(VALU_DEP_4) | instskip(NEXT) | instid1(VALU_DEP_4)
	v_dual_ashrrev_i32 v7, 31, v7 :: v_dual_bitop2_b32 v6, s3, v6 bitop3:0x14
	v_ashrrev_i32_e32 v8, 31, v8
	v_dual_lshlrev_b32 v38, 25, v4 :: v_dual_lshlrev_b32 v4, 24, v4
	v_not_b32_e32 v9, v35
	v_not_b32_e32 v39, v36
	v_xor_b32_e32 v7, s4, v7
	v_xor_b32_e32 v8, s5, v8
	v_bitop3_b32 v3, v3, v6, exec_lo bitop3:0x80
	v_cmp_gt_i32_e32 vcc_lo, 0, v35
	v_ashrrev_i32_e32 v6, 31, v9
	v_cmp_gt_i32_e64 s3, 0, v36
	v_ashrrev_i32_e32 v9, 31, v39
	v_bitop3_b32 v3, v3, v8, v7 bitop3:0x80
	v_not_b32_e32 v7, v38
	v_not_b32_e32 v8, v4
	v_xor_b32_e32 v6, vcc_lo, v6
	v_xor_b32_e32 v9, s3, v9
	v_cmp_gt_i32_e32 vcc_lo, 0, v38
	v_ashrrev_i32_e32 v7, 31, v7
	v_cmp_gt_i32_e64 s3, 0, v4
	v_dual_ashrrev_i32 v4, 31, v8 :: v_dual_add_nc_u32 v40, v2, v5
	v_bitop3_b32 v3, v3, v9, v6 bitop3:0x80
	s_delay_alu instid0(VALU_DEP_4) | instskip(NEXT) | instid1(VALU_DEP_3)
	v_xor_b32_e32 v5, vcc_lo, v7
	v_xor_b32_e32 v4, s3, v4
	ds_load_b32 v35, v40 offset:64
	; wave barrier
	v_bitop3_b32 v3, v3, v4, v5 bitop3:0x80
	s_delay_alu instid0(VALU_DEP_1) | instskip(SKIP_1) | instid1(VALU_DEP_2)
	v_mbcnt_lo_u32_b32 v36, v3, 0
	v_cmp_ne_u32_e64 s3, 0, v3
	v_cmp_eq_u32_e32 vcc_lo, 0, v36
	s_and_b32 s4, s3, vcc_lo
	s_delay_alu instid0(SALU_CYCLE_1)
	s_and_saveexec_b32 s3, s4
	s_cbranch_execz .LBB2744_39
; %bb.38:
	s_wait_dscnt 0x0
	v_bcnt_u32_b32 v3, v3, v35
	ds_store_b32 v40, v3 offset:64
.LBB2744_39:
	s_or_b32 exec_lo, exec_lo, s3
	v_lshrrev_b32_e32 v3, s16, v20
	; wave barrier
	s_delay_alu instid0(VALU_DEP_1) | instskip(SKIP_1) | instid1(VALU_DEP_2)
	v_and_b32_e32 v4, s26, v3
	v_bitop3_b32 v3, v3, 1, s26 bitop3:0x80
	v_dual_lshlrev_b32 v7, 30, v4 :: v_dual_lshlrev_b32 v8, 29, v4
	s_delay_alu instid0(VALU_DEP_2) | instskip(NEXT) | instid1(VALU_DEP_1)
	v_add_co_u32 v3, s3, v3, -1
	v_cndmask_b32_e64 v6, 0, 1, s3
	v_lshlrev_b32_e32 v9, 28, v4
	s_delay_alu instid0(VALU_DEP_4) | instskip(SKIP_1) | instid1(VALU_DEP_4)
	v_cmp_gt_i32_e64 s3, 0, v7
	v_cmp_gt_i32_e64 s4, 0, v8
	v_cmp_ne_u32_e32 vcc_lo, 0, v6
	v_not_b32_e32 v6, v7
	v_not_b32_e32 v7, v8
	v_not_b32_e32 v8, v9
	s_delay_alu instid0(VALU_DEP_3) | instskip(NEXT) | instid1(VALU_DEP_2)
	v_dual_ashrrev_i32 v6, 31, v6 :: v_dual_bitop2_b32 v3, vcc_lo, v3 bitop3:0x14
	v_dual_ashrrev_i32 v7, 31, v7 :: v_dual_ashrrev_i32 v8, 31, v8
	v_mul_lo_u32 v5, 0x44, v4
	v_dual_lshlrev_b32 v38, 27, v4 :: v_dual_lshlrev_b32 v39, 26, v4
	v_dual_lshlrev_b32 v41, 25, v4 :: v_dual_lshlrev_b32 v4, 24, v4
	v_cmp_gt_i32_e64 s5, 0, v9
	v_xor_b32_e32 v6, s3, v6
	s_delay_alu instid0(VALU_DEP_4)
	v_not_b32_e32 v9, v38
	v_not_b32_e32 v42, v39
	v_xor_b32_e32 v7, s4, v7
	v_xor_b32_e32 v8, s5, v8
	v_bitop3_b32 v3, v3, v6, exec_lo bitop3:0x80
	v_cmp_gt_i32_e32 vcc_lo, 0, v38
	v_ashrrev_i32_e32 v6, 31, v9
	v_cmp_gt_i32_e64 s3, 0, v39
	v_ashrrev_i32_e32 v9, 31, v42
	v_bitop3_b32 v3, v3, v8, v7 bitop3:0x80
	v_not_b32_e32 v7, v41
	v_not_b32_e32 v8, v4
	v_xor_b32_e32 v6, vcc_lo, v6
	v_xor_b32_e32 v9, s3, v9
	v_cmp_gt_i32_e32 vcc_lo, 0, v41
	v_ashrrev_i32_e32 v7, 31, v7
	v_cmp_gt_i32_e64 s3, 0, v4
	v_dual_ashrrev_i32 v4, 31, v8 :: v_dual_add_nc_u32 v43, v2, v5
	v_bitop3_b32 v3, v3, v9, v6 bitop3:0x80
	s_delay_alu instid0(VALU_DEP_4) | instskip(NEXT) | instid1(VALU_DEP_3)
	v_xor_b32_e32 v5, vcc_lo, v7
	v_xor_b32_e32 v4, s3, v4
	ds_load_b32 v38, v43 offset:64
	; wave barrier
	v_bitop3_b32 v3, v3, v4, v5 bitop3:0x80
	s_delay_alu instid0(VALU_DEP_1) | instskip(SKIP_1) | instid1(VALU_DEP_2)
	v_mbcnt_lo_u32_b32 v39, v3, 0
	v_cmp_ne_u32_e64 s3, 0, v3
	v_cmp_eq_u32_e32 vcc_lo, 0, v39
	s_and_b32 s4, s3, vcc_lo
	s_delay_alu instid0(SALU_CYCLE_1)
	s_and_saveexec_b32 s3, s4
	s_cbranch_execz .LBB2744_41
; %bb.40:
	s_wait_dscnt 0x0
	v_bcnt_u32_b32 v3, v3, v38
	ds_store_b32 v43, v3 offset:64
.LBB2744_41:
	s_or_b32 exec_lo, exec_lo, s3
	v_lshrrev_b32_e32 v3, s16, v23
	; wave barrier
	s_delay_alu instid0(VALU_DEP_1) | instskip(NEXT) | instid1(VALU_DEP_1)
	v_and_b32_e32 v4, s26, v3
	v_lshlrev_b32_e32 v7, 30, v4
	v_bitop3_b32 v3, v3, 1, s26 bitop3:0x80
	s_delay_alu instid0(VALU_DEP_1) | instskip(NEXT) | instid1(VALU_DEP_1)
	v_add_co_u32 v3, s3, v3, -1
	v_cndmask_b32_e64 v6, 0, 1, s3
	s_delay_alu instid0(VALU_DEP_4) | instskip(NEXT) | instid1(VALU_DEP_2)
	v_cmp_gt_i32_e64 s3, 0, v7
	v_cmp_ne_u32_e32 vcc_lo, 0, v6
	v_not_b32_e32 v6, v7
	s_delay_alu instid0(VALU_DEP_1) | instskip(SKIP_3) | instid1(VALU_DEP_4)
	v_dual_ashrrev_i32 v6, 31, v6 :: v_dual_lshlrev_b32 v8, 29, v4
	v_dual_lshlrev_b32 v9, 28, v4 :: v_dual_lshlrev_b32 v41, 27, v4
	v_lshlrev_b32_e32 v42, 26, v4
	v_mul_lo_u32 v5, 0x44, v4
	v_cmp_gt_i32_e64 s4, 0, v8
	v_not_b32_e32 v7, v8
	v_not_b32_e32 v8, v9
	v_cmp_gt_i32_e64 s5, 0, v9
	v_xor_b32_e32 v3, vcc_lo, v3
	s_delay_alu instid0(VALU_DEP_4) | instskip(NEXT) | instid1(VALU_DEP_4)
	v_dual_ashrrev_i32 v7, 31, v7 :: v_dual_bitop2_b32 v6, s3, v6 bitop3:0x14
	v_ashrrev_i32_e32 v8, 31, v8
	v_dual_lshlrev_b32 v44, 25, v4 :: v_dual_lshlrev_b32 v4, 24, v4
	v_not_b32_e32 v9, v41
	v_not_b32_e32 v45, v42
	v_xor_b32_e32 v7, s4, v7
	v_xor_b32_e32 v8, s5, v8
	v_bitop3_b32 v3, v3, v6, exec_lo bitop3:0x80
	v_cmp_gt_i32_e32 vcc_lo, 0, v41
	v_ashrrev_i32_e32 v6, 31, v9
	v_cmp_gt_i32_e64 s3, 0, v42
	v_ashrrev_i32_e32 v9, 31, v45
	v_bitop3_b32 v3, v3, v8, v7 bitop3:0x80
	v_not_b32_e32 v7, v44
	v_not_b32_e32 v8, v4
	v_xor_b32_e32 v6, vcc_lo, v6
	v_xor_b32_e32 v9, s3, v9
	v_cmp_gt_i32_e32 vcc_lo, 0, v44
	v_ashrrev_i32_e32 v7, 31, v7
	v_cmp_gt_i32_e64 s3, 0, v4
	v_dual_ashrrev_i32 v4, 31, v8 :: v_dual_add_nc_u32 v46, v2, v5
	v_bitop3_b32 v3, v3, v9, v6 bitop3:0x80
	s_delay_alu instid0(VALU_DEP_4) | instskip(NEXT) | instid1(VALU_DEP_3)
	v_xor_b32_e32 v5, vcc_lo, v7
	v_xor_b32_e32 v4, s3, v4
	ds_load_b32 v41, v46 offset:64
	; wave barrier
	v_bitop3_b32 v3, v3, v4, v5 bitop3:0x80
	s_delay_alu instid0(VALU_DEP_1) | instskip(SKIP_1) | instid1(VALU_DEP_2)
	v_mbcnt_lo_u32_b32 v42, v3, 0
	v_cmp_ne_u32_e64 s3, 0, v3
	v_cmp_eq_u32_e32 vcc_lo, 0, v42
	s_and_b32 s4, s3, vcc_lo
	s_delay_alu instid0(SALU_CYCLE_1)
	s_and_saveexec_b32 s3, s4
	s_cbranch_execz .LBB2744_43
; %bb.42:
	s_wait_dscnt 0x0
	v_bcnt_u32_b32 v3, v3, v41
	ds_store_b32 v46, v3 offset:64
.LBB2744_43:
	s_or_b32 exec_lo, exec_lo, s3
	v_lshrrev_b32_e32 v3, s16, v22
	; wave barrier
	s_delay_alu instid0(VALU_DEP_1) | instskip(NEXT) | instid1(VALU_DEP_1)
	v_and_b32_e32 v4, s26, v3
	v_lshlrev_b32_e32 v7, 30, v4
	v_bitop3_b32 v3, v3, 1, s26 bitop3:0x80
	s_delay_alu instid0(VALU_DEP_1) | instskip(NEXT) | instid1(VALU_DEP_1)
	v_add_co_u32 v3, s3, v3, -1
	v_cndmask_b32_e64 v6, 0, 1, s3
	s_delay_alu instid0(VALU_DEP_4) | instskip(NEXT) | instid1(VALU_DEP_2)
	v_cmp_gt_i32_e64 s3, 0, v7
	v_cmp_ne_u32_e32 vcc_lo, 0, v6
	v_not_b32_e32 v6, v7
	s_delay_alu instid0(VALU_DEP_1) | instskip(SKIP_3) | instid1(VALU_DEP_4)
	v_dual_ashrrev_i32 v6, 31, v6 :: v_dual_lshlrev_b32 v8, 29, v4
	v_dual_lshlrev_b32 v9, 28, v4 :: v_dual_lshlrev_b32 v44, 27, v4
	v_lshlrev_b32_e32 v45, 26, v4
	v_mul_lo_u32 v5, 0x44, v4
	v_cmp_gt_i32_e64 s4, 0, v8
	v_not_b32_e32 v7, v8
	v_not_b32_e32 v8, v9
	v_cmp_gt_i32_e64 s5, 0, v9
	v_xor_b32_e32 v3, vcc_lo, v3
	s_delay_alu instid0(VALU_DEP_4) | instskip(NEXT) | instid1(VALU_DEP_4)
	v_dual_ashrrev_i32 v7, 31, v7 :: v_dual_bitop2_b32 v6, s3, v6 bitop3:0x14
	v_ashrrev_i32_e32 v8, 31, v8
	v_dual_lshlrev_b32 v47, 25, v4 :: v_dual_lshlrev_b32 v4, 24, v4
	v_not_b32_e32 v9, v44
	v_not_b32_e32 v48, v45
	v_xor_b32_e32 v7, s4, v7
	v_xor_b32_e32 v8, s5, v8
	v_bitop3_b32 v3, v3, v6, exec_lo bitop3:0x80
	v_cmp_gt_i32_e32 vcc_lo, 0, v44
	v_ashrrev_i32_e32 v6, 31, v9
	v_cmp_gt_i32_e64 s3, 0, v45
	v_ashrrev_i32_e32 v9, 31, v48
	v_bitop3_b32 v3, v3, v8, v7 bitop3:0x80
	v_not_b32_e32 v7, v47
	v_not_b32_e32 v8, v4
	v_xor_b32_e32 v6, vcc_lo, v6
	v_xor_b32_e32 v9, s3, v9
	v_cmp_gt_i32_e32 vcc_lo, 0, v47
	v_ashrrev_i32_e32 v7, 31, v7
	v_cmp_gt_i32_e64 s3, 0, v4
	v_dual_ashrrev_i32 v4, 31, v8 :: v_dual_add_nc_u32 v49, v2, v5
	v_bitop3_b32 v3, v3, v9, v6 bitop3:0x80
	s_delay_alu instid0(VALU_DEP_4) | instskip(NEXT) | instid1(VALU_DEP_3)
	v_xor_b32_e32 v5, vcc_lo, v7
	v_xor_b32_e32 v4, s3, v4
	ds_load_b32 v44, v49 offset:64
	; wave barrier
	v_bitop3_b32 v3, v3, v4, v5 bitop3:0x80
	s_delay_alu instid0(VALU_DEP_1) | instskip(SKIP_1) | instid1(VALU_DEP_2)
	v_mbcnt_lo_u32_b32 v45, v3, 0
	v_cmp_ne_u32_e64 s3, 0, v3
	v_cmp_eq_u32_e32 vcc_lo, 0, v45
	s_and_b32 s4, s3, vcc_lo
	s_delay_alu instid0(SALU_CYCLE_1)
	s_and_saveexec_b32 s3, s4
	s_cbranch_execz .LBB2744_45
; %bb.44:
	s_wait_dscnt 0x0
	v_bcnt_u32_b32 v3, v3, v44
	ds_store_b32 v49, v3 offset:64
.LBB2744_45:
	s_or_b32 exec_lo, exec_lo, s3
	v_lshrrev_b32_e32 v3, s16, v25
	; wave barrier
	s_delay_alu instid0(VALU_DEP_1) | instskip(NEXT) | instid1(VALU_DEP_1)
	v_and_b32_e32 v4, s26, v3
	v_lshlrev_b32_e32 v7, 30, v4
	v_bitop3_b32 v3, v3, 1, s26 bitop3:0x80
	s_delay_alu instid0(VALU_DEP_1) | instskip(NEXT) | instid1(VALU_DEP_1)
	v_add_co_u32 v3, s3, v3, -1
	v_cndmask_b32_e64 v6, 0, 1, s3
	s_delay_alu instid0(VALU_DEP_4) | instskip(NEXT) | instid1(VALU_DEP_2)
	v_cmp_gt_i32_e64 s3, 0, v7
	v_cmp_ne_u32_e32 vcc_lo, 0, v6
	v_not_b32_e32 v6, v7
	s_delay_alu instid0(VALU_DEP_1) | instskip(SKIP_3) | instid1(VALU_DEP_4)
	v_dual_ashrrev_i32 v6, 31, v6 :: v_dual_lshlrev_b32 v8, 29, v4
	v_dual_lshlrev_b32 v9, 28, v4 :: v_dual_lshlrev_b32 v47, 27, v4
	v_lshlrev_b32_e32 v48, 26, v4
	v_mul_lo_u32 v5, 0x44, v4
	v_cmp_gt_i32_e64 s4, 0, v8
	v_not_b32_e32 v7, v8
	v_not_b32_e32 v8, v9
	v_cmp_gt_i32_e64 s5, 0, v9
	v_xor_b32_e32 v3, vcc_lo, v3
	s_delay_alu instid0(VALU_DEP_4) | instskip(NEXT) | instid1(VALU_DEP_4)
	v_dual_ashrrev_i32 v7, 31, v7 :: v_dual_bitop2_b32 v6, s3, v6 bitop3:0x14
	v_ashrrev_i32_e32 v8, 31, v8
	v_dual_lshlrev_b32 v50, 25, v4 :: v_dual_lshlrev_b32 v4, 24, v4
	v_not_b32_e32 v9, v47
	v_not_b32_e32 v51, v48
	v_xor_b32_e32 v7, s4, v7
	v_xor_b32_e32 v8, s5, v8
	v_bitop3_b32 v3, v3, v6, exec_lo bitop3:0x80
	v_cmp_gt_i32_e32 vcc_lo, 0, v47
	v_ashrrev_i32_e32 v6, 31, v9
	v_cmp_gt_i32_e64 s3, 0, v48
	v_ashrrev_i32_e32 v9, 31, v51
	v_bitop3_b32 v3, v3, v8, v7 bitop3:0x80
	v_not_b32_e32 v7, v50
	v_not_b32_e32 v8, v4
	v_xor_b32_e32 v6, vcc_lo, v6
	v_xor_b32_e32 v9, s3, v9
	v_cmp_gt_i32_e32 vcc_lo, 0, v50
	v_ashrrev_i32_e32 v7, 31, v7
	v_cmp_gt_i32_e64 s3, 0, v4
	v_dual_ashrrev_i32 v4, 31, v8 :: v_dual_add_nc_u32 v52, v2, v5
	v_bitop3_b32 v3, v3, v9, v6 bitop3:0x80
	s_delay_alu instid0(VALU_DEP_4) | instskip(NEXT) | instid1(VALU_DEP_3)
	v_xor_b32_e32 v5, vcc_lo, v7
	v_xor_b32_e32 v4, s3, v4
	ds_load_b32 v47, v52 offset:64
	; wave barrier
	v_bitop3_b32 v3, v3, v4, v5 bitop3:0x80
	s_delay_alu instid0(VALU_DEP_1) | instskip(SKIP_1) | instid1(VALU_DEP_2)
	v_mbcnt_lo_u32_b32 v48, v3, 0
	v_cmp_ne_u32_e64 s3, 0, v3
	v_cmp_eq_u32_e32 vcc_lo, 0, v48
	s_and_b32 s4, s3, vcc_lo
	s_delay_alu instid0(SALU_CYCLE_1)
	s_and_saveexec_b32 s3, s4
	s_cbranch_execz .LBB2744_47
; %bb.46:
	s_wait_dscnt 0x0
	v_bcnt_u32_b32 v3, v3, v47
	ds_store_b32 v52, v3 offset:64
.LBB2744_47:
	s_or_b32 exec_lo, exec_lo, s3
	v_lshrrev_b32_e32 v3, s16, v24
	; wave barrier
	s_delay_alu instid0(VALU_DEP_1) | instskip(SKIP_1) | instid1(VALU_DEP_2)
	v_and_b32_e32 v4, s26, v3
	v_bitop3_b32 v3, v3, 1, s26 bitop3:0x80
	v_dual_lshlrev_b32 v7, 30, v4 :: v_dual_lshlrev_b32 v8, 29, v4
	s_delay_alu instid0(VALU_DEP_2) | instskip(NEXT) | instid1(VALU_DEP_1)
	v_add_co_u32 v3, s3, v3, -1
	v_cndmask_b32_e64 v6, 0, 1, s3
	v_lshlrev_b32_e32 v9, 28, v4
	s_delay_alu instid0(VALU_DEP_4) | instskip(SKIP_1) | instid1(VALU_DEP_4)
	v_cmp_gt_i32_e64 s3, 0, v7
	v_cmp_gt_i32_e64 s4, 0, v8
	v_cmp_ne_u32_e32 vcc_lo, 0, v6
	v_not_b32_e32 v6, v7
	v_not_b32_e32 v7, v8
	;; [unrolled: 1-line block ×3, first 2 shown]
	s_delay_alu instid0(VALU_DEP_3) | instskip(NEXT) | instid1(VALU_DEP_2)
	v_dual_ashrrev_i32 v6, 31, v6 :: v_dual_bitop2_b32 v3, vcc_lo, v3 bitop3:0x14
	v_dual_ashrrev_i32 v7, 31, v7 :: v_dual_ashrrev_i32 v8, 31, v8
	v_mul_lo_u32 v5, 0x44, v4
	v_dual_lshlrev_b32 v50, 27, v4 :: v_dual_lshlrev_b32 v51, 26, v4
	v_dual_lshlrev_b32 v53, 25, v4 :: v_dual_lshlrev_b32 v4, 24, v4
	v_cmp_gt_i32_e64 s5, 0, v9
	v_xor_b32_e32 v6, s3, v6
	s_delay_alu instid0(VALU_DEP_4)
	v_not_b32_e32 v9, v50
	v_not_b32_e32 v54, v51
	v_xor_b32_e32 v7, s4, v7
	v_xor_b32_e32 v8, s5, v8
	v_bitop3_b32 v3, v3, v6, exec_lo bitop3:0x80
	v_cmp_gt_i32_e32 vcc_lo, 0, v50
	v_ashrrev_i32_e32 v6, 31, v9
	v_cmp_gt_i32_e64 s3, 0, v51
	v_ashrrev_i32_e32 v9, 31, v54
	v_bitop3_b32 v3, v3, v8, v7 bitop3:0x80
	v_not_b32_e32 v7, v53
	v_not_b32_e32 v8, v4
	v_xor_b32_e32 v6, vcc_lo, v6
	v_xor_b32_e32 v9, s3, v9
	v_cmp_gt_i32_e32 vcc_lo, 0, v53
	v_ashrrev_i32_e32 v7, 31, v7
	v_cmp_gt_i32_e64 s3, 0, v4
	v_dual_ashrrev_i32 v4, 31, v8 :: v_dual_add_nc_u32 v55, v2, v5
	v_bitop3_b32 v3, v3, v9, v6 bitop3:0x80
	s_delay_alu instid0(VALU_DEP_4) | instskip(NEXT) | instid1(VALU_DEP_3)
	v_xor_b32_e32 v5, vcc_lo, v7
	v_xor_b32_e32 v4, s3, v4
	ds_load_b32 v50, v55 offset:64
	; wave barrier
	v_bitop3_b32 v3, v3, v4, v5 bitop3:0x80
	s_delay_alu instid0(VALU_DEP_1) | instskip(SKIP_1) | instid1(VALU_DEP_2)
	v_mbcnt_lo_u32_b32 v51, v3, 0
	v_cmp_ne_u32_e64 s3, 0, v3
	v_cmp_eq_u32_e32 vcc_lo, 0, v51
	s_and_b32 s4, s3, vcc_lo
	s_delay_alu instid0(SALU_CYCLE_1)
	s_and_saveexec_b32 s3, s4
	s_cbranch_execz .LBB2744_49
; %bb.48:
	s_wait_dscnt 0x0
	v_bcnt_u32_b32 v3, v3, v50
	ds_store_b32 v55, v3 offset:64
.LBB2744_49:
	s_or_b32 exec_lo, exec_lo, s3
	v_lshrrev_b32_e32 v3, s16, v27
	; wave barrier
	s_delay_alu instid0(VALU_DEP_1) | instskip(NEXT) | instid1(VALU_DEP_1)
	v_and_b32_e32 v4, s26, v3
	v_lshlrev_b32_e32 v7, 30, v4
	v_bitop3_b32 v3, v3, 1, s26 bitop3:0x80
	s_delay_alu instid0(VALU_DEP_1) | instskip(NEXT) | instid1(VALU_DEP_1)
	v_add_co_u32 v3, s3, v3, -1
	v_cndmask_b32_e64 v6, 0, 1, s3
	s_delay_alu instid0(VALU_DEP_4) | instskip(NEXT) | instid1(VALU_DEP_2)
	v_cmp_gt_i32_e64 s3, 0, v7
	v_cmp_ne_u32_e32 vcc_lo, 0, v6
	v_not_b32_e32 v6, v7
	s_delay_alu instid0(VALU_DEP_1) | instskip(SKIP_3) | instid1(VALU_DEP_4)
	v_dual_ashrrev_i32 v6, 31, v6 :: v_dual_lshlrev_b32 v8, 29, v4
	v_dual_lshlrev_b32 v9, 28, v4 :: v_dual_lshlrev_b32 v53, 27, v4
	v_lshlrev_b32_e32 v54, 26, v4
	v_mul_lo_u32 v5, 0x44, v4
	v_cmp_gt_i32_e64 s4, 0, v8
	v_not_b32_e32 v7, v8
	v_not_b32_e32 v8, v9
	v_cmp_gt_i32_e64 s5, 0, v9
	v_xor_b32_e32 v3, vcc_lo, v3
	s_delay_alu instid0(VALU_DEP_4) | instskip(NEXT) | instid1(VALU_DEP_4)
	v_dual_ashrrev_i32 v7, 31, v7 :: v_dual_bitop2_b32 v6, s3, v6 bitop3:0x14
	v_ashrrev_i32_e32 v8, 31, v8
	v_dual_lshlrev_b32 v56, 25, v4 :: v_dual_lshlrev_b32 v4, 24, v4
	v_not_b32_e32 v9, v53
	v_not_b32_e32 v57, v54
	v_xor_b32_e32 v7, s4, v7
	v_xor_b32_e32 v8, s5, v8
	v_bitop3_b32 v3, v3, v6, exec_lo bitop3:0x80
	v_cmp_gt_i32_e32 vcc_lo, 0, v53
	v_ashrrev_i32_e32 v6, 31, v9
	v_cmp_gt_i32_e64 s3, 0, v54
	v_ashrrev_i32_e32 v9, 31, v57
	v_bitop3_b32 v3, v3, v8, v7 bitop3:0x80
	v_not_b32_e32 v7, v56
	v_not_b32_e32 v8, v4
	v_xor_b32_e32 v6, vcc_lo, v6
	v_xor_b32_e32 v9, s3, v9
	v_cmp_gt_i32_e32 vcc_lo, 0, v56
	v_ashrrev_i32_e32 v7, 31, v7
	v_cmp_gt_i32_e64 s3, 0, v4
	v_dual_ashrrev_i32 v4, 31, v8 :: v_dual_add_nc_u32 v58, v2, v5
	v_bitop3_b32 v3, v3, v9, v6 bitop3:0x80
	s_delay_alu instid0(VALU_DEP_4) | instskip(NEXT) | instid1(VALU_DEP_3)
	v_xor_b32_e32 v5, vcc_lo, v7
	v_xor_b32_e32 v4, s3, v4
	ds_load_b32 v53, v58 offset:64
	; wave barrier
	v_bitop3_b32 v3, v3, v4, v5 bitop3:0x80
	s_delay_alu instid0(VALU_DEP_1) | instskip(SKIP_1) | instid1(VALU_DEP_2)
	v_mbcnt_lo_u32_b32 v54, v3, 0
	v_cmp_ne_u32_e64 s3, 0, v3
	v_cmp_eq_u32_e32 vcc_lo, 0, v54
	s_and_b32 s4, s3, vcc_lo
	s_delay_alu instid0(SALU_CYCLE_1)
	s_and_saveexec_b32 s3, s4
	s_cbranch_execz .LBB2744_51
; %bb.50:
	s_wait_dscnt 0x0
	v_bcnt_u32_b32 v3, v3, v53
	ds_store_b32 v58, v3 offset:64
.LBB2744_51:
	s_or_b32 exec_lo, exec_lo, s3
	v_lshrrev_b32_e32 v3, s16, v26
	; wave barrier
	s_delay_alu instid0(VALU_DEP_1) | instskip(NEXT) | instid1(VALU_DEP_1)
	v_and_b32_e32 v4, s26, v3
	v_lshlrev_b32_e32 v7, 30, v4
	v_bitop3_b32 v3, v3, 1, s26 bitop3:0x80
	s_delay_alu instid0(VALU_DEP_1) | instskip(NEXT) | instid1(VALU_DEP_1)
	v_add_co_u32 v3, s3, v3, -1
	v_cndmask_b32_e64 v6, 0, 1, s3
	s_delay_alu instid0(VALU_DEP_4) | instskip(NEXT) | instid1(VALU_DEP_2)
	v_cmp_gt_i32_e64 s3, 0, v7
	v_cmp_ne_u32_e32 vcc_lo, 0, v6
	v_not_b32_e32 v6, v7
	s_delay_alu instid0(VALU_DEP_1) | instskip(SKIP_3) | instid1(VALU_DEP_4)
	v_dual_ashrrev_i32 v6, 31, v6 :: v_dual_lshlrev_b32 v8, 29, v4
	v_dual_lshlrev_b32 v9, 28, v4 :: v_dual_lshlrev_b32 v56, 27, v4
	v_lshlrev_b32_e32 v57, 26, v4
	v_mul_lo_u32 v5, 0x44, v4
	v_cmp_gt_i32_e64 s4, 0, v8
	v_not_b32_e32 v7, v8
	v_not_b32_e32 v8, v9
	v_cmp_gt_i32_e64 s5, 0, v9
	v_xor_b32_e32 v3, vcc_lo, v3
	s_delay_alu instid0(VALU_DEP_4) | instskip(NEXT) | instid1(VALU_DEP_4)
	v_dual_ashrrev_i32 v7, 31, v7 :: v_dual_bitop2_b32 v6, s3, v6 bitop3:0x14
	v_ashrrev_i32_e32 v8, 31, v8
	v_dual_lshlrev_b32 v59, 25, v4 :: v_dual_lshlrev_b32 v4, 24, v4
	v_not_b32_e32 v9, v56
	v_not_b32_e32 v60, v57
	v_xor_b32_e32 v7, s4, v7
	v_xor_b32_e32 v8, s5, v8
	v_bitop3_b32 v3, v3, v6, exec_lo bitop3:0x80
	v_cmp_gt_i32_e32 vcc_lo, 0, v56
	v_ashrrev_i32_e32 v6, 31, v9
	v_cmp_gt_i32_e64 s3, 0, v57
	v_ashrrev_i32_e32 v9, 31, v60
	v_bitop3_b32 v3, v3, v8, v7 bitop3:0x80
	v_not_b32_e32 v7, v59
	v_not_b32_e32 v8, v4
	v_xor_b32_e32 v6, vcc_lo, v6
	v_xor_b32_e32 v9, s3, v9
	v_cmp_gt_i32_e32 vcc_lo, 0, v59
	v_ashrrev_i32_e32 v7, 31, v7
	v_cmp_gt_i32_e64 s3, 0, v4
	v_dual_ashrrev_i32 v4, 31, v8 :: v_dual_add_nc_u32 v62, v2, v5
	v_bitop3_b32 v2, v3, v9, v6 bitop3:0x80
	s_delay_alu instid0(VALU_DEP_4) | instskip(NEXT) | instid1(VALU_DEP_3)
	v_xor_b32_e32 v3, vcc_lo, v7
	v_xor_b32_e32 v4, s3, v4
	ds_load_b32 v56, v62 offset:64
	; wave barrier
	v_bitop3_b32 v2, v2, v4, v3 bitop3:0x80
	s_delay_alu instid0(VALU_DEP_1) | instskip(SKIP_1) | instid1(VALU_DEP_2)
	v_mbcnt_lo_u32_b32 v57, v2, 0
	v_cmp_ne_u32_e64 s3, 0, v2
	v_cmp_eq_u32_e32 vcc_lo, 0, v57
	s_and_b32 s4, s3, vcc_lo
	s_delay_alu instid0(SALU_CYCLE_1)
	s_and_saveexec_b32 s3, s4
	s_cbranch_execz .LBB2744_53
; %bb.52:
	s_wait_dscnt 0x0
	v_bcnt_u32_b32 v2, v2, v56
	ds_store_b32 v62, v2 offset:64
.LBB2744_53:
	s_or_b32 exec_lo, exec_lo, s3
	; wave barrier
	s_wait_dscnt 0x0
	s_barrier_signal -1
	s_barrier_wait -1
	ds_load_2addr_b32 v[8:9], v10 offset0:16 offset1:17
	ds_load_2addr_b32 v[6:7], v10 offset0:18 offset1:19
	ds_load_2addr_b32 v[4:5], v10 offset0:20 offset1:21
	ds_load_2addr_b32 v[2:3], v10 offset0:22 offset1:23
	ds_load_b32 v59, v10 offset:96
	v_min_u32_e32 v63, 0x1e0, v16
	s_mov_b32 s27, exec_lo
	s_delay_alu instid0(VALU_DEP_1) | instskip(SKIP_3) | instid1(VALU_DEP_1)
	v_or_b32_e32 v63, 31, v63
	s_wait_dscnt 0x3
	v_add3_u32 v60, v9, v8, v6
	s_wait_dscnt 0x2
	v_add3_u32 v60, v60, v7, v4
	s_wait_dscnt 0x1
	s_delay_alu instid0(VALU_DEP_1) | instskip(SKIP_1) | instid1(VALU_DEP_1)
	v_add3_u32 v60, v60, v5, v2
	s_wait_dscnt 0x0
	v_add3_u32 v59, v60, v3, v59
	v_and_b32_e32 v60, 15, v15
	s_delay_alu instid0(VALU_DEP_2) | instskip(NEXT) | instid1(VALU_DEP_2)
	v_mov_b32_dpp v61, v59 row_shr:1 row_mask:0xf bank_mask:0xf
	v_cmp_eq_u32_e32 vcc_lo, 0, v60
	v_cmp_lt_u32_e64 s3, 1, v60
	s_delay_alu instid0(VALU_DEP_3) | instskip(NEXT) | instid1(VALU_DEP_1)
	v_cndmask_b32_e64 v61, v61, 0, vcc_lo
	v_add_nc_u32_e32 v59, v61, v59
	s_delay_alu instid0(VALU_DEP_1) | instskip(NEXT) | instid1(VALU_DEP_1)
	v_mov_b32_dpp v61, v59 row_shr:2 row_mask:0xf bank_mask:0xf
	v_cndmask_b32_e64 v61, 0, v61, s3
	v_cmp_lt_u32_e64 s5, 7, v60
	v_cmp_lt_u32_e64 s4, 3, v60
	s_delay_alu instid0(VALU_DEP_3) | instskip(NEXT) | instid1(VALU_DEP_1)
	v_add_nc_u32_e32 v59, v59, v61
	v_mov_b32_dpp v61, v59 row_shr:4 row_mask:0xf bank_mask:0xf
	s_delay_alu instid0(VALU_DEP_1) | instskip(NEXT) | instid1(VALU_DEP_1)
	v_cndmask_b32_e64 v61, 0, v61, s4
	v_add_nc_u32_e32 v59, v59, v61
	s_delay_alu instid0(VALU_DEP_1) | instskip(NEXT) | instid1(VALU_DEP_1)
	v_mov_b32_dpp v61, v59 row_shr:8 row_mask:0xf bank_mask:0xf
	v_cndmask_b32_e64 v60, 0, v61, s5
	v_bfe_i32 v61, v15, 4, 1
	s_delay_alu instid0(VALU_DEP_2) | instskip(SKIP_3) | instid1(VALU_DEP_1)
	v_add_nc_u32_e32 v59, v59, v60
	ds_swizzle_b32 v60, v59 offset:swizzle(BROADCAST,32,15)
	s_wait_dscnt 0x0
	v_dual_lshrrev_b32 v60, 5, v14 :: v_dual_bitop2_b32 v61, v61, v60 bitop3:0x40
	v_add_nc_u32_e32 v59, v59, v61
	v_cmpx_eq_u32_e64 v14, v63
; %bb.54:
	s_delay_alu instid0(VALU_DEP_3)
	v_lshlrev_b32_e32 v61, 2, v60
	ds_store_b32 v61, v59
; %bb.55:
	s_or_b32 exec_lo, exec_lo, s27
	s_delay_alu instid0(SALU_CYCLE_1)
	s_mov_b32 s27, exec_lo
	s_wait_dscnt 0x0
	s_barrier_signal -1
	s_barrier_wait -1
	v_cmpx_gt_u32_e32 16, v14
	s_cbranch_execz .LBB2744_57
; %bb.56:
	v_lshlrev_b32_e32 v61, 2, v14
	ds_load_b32 v63, v61
	s_wait_dscnt 0x0
	v_mov_b32_dpp v64, v63 row_shr:1 row_mask:0xf bank_mask:0xf
	s_delay_alu instid0(VALU_DEP_1) | instskip(NEXT) | instid1(VALU_DEP_1)
	v_cndmask_b32_e64 v64, v64, 0, vcc_lo
	v_add_nc_u32_e32 v63, v64, v63
	s_delay_alu instid0(VALU_DEP_1) | instskip(NEXT) | instid1(VALU_DEP_1)
	v_mov_b32_dpp v64, v63 row_shr:2 row_mask:0xf bank_mask:0xf
	v_cndmask_b32_e64 v64, 0, v64, s3
	s_delay_alu instid0(VALU_DEP_1) | instskip(NEXT) | instid1(VALU_DEP_1)
	v_add_nc_u32_e32 v63, v63, v64
	v_mov_b32_dpp v64, v63 row_shr:4 row_mask:0xf bank_mask:0xf
	s_delay_alu instid0(VALU_DEP_1) | instskip(NEXT) | instid1(VALU_DEP_1)
	v_cndmask_b32_e64 v64, 0, v64, s4
	v_add_nc_u32_e32 v63, v63, v64
	s_delay_alu instid0(VALU_DEP_1) | instskip(NEXT) | instid1(VALU_DEP_1)
	v_mov_b32_dpp v64, v63 row_shr:8 row_mask:0xf bank_mask:0xf
	v_cndmask_b32_e64 v64, 0, v64, s5
	s_delay_alu instid0(VALU_DEP_1)
	v_add_nc_u32_e32 v63, v63, v64
	ds_store_b32 v61, v63
.LBB2744_57:
	s_or_b32 exec_lo, exec_lo, s27
	v_mov_b32_e32 v61, 0
	s_mov_b32 s3, exec_lo
	s_wait_dscnt 0x0
	s_barrier_signal -1
	s_barrier_wait -1
	v_cmpx_lt_u32_e32 31, v14
; %bb.58:
	v_lshl_add_u32 v60, v60, 2, -4
	ds_load_b32 v61, v60
; %bb.59:
	s_or_b32 exec_lo, exec_lo, s3
	v_sub_co_u32 v60, vcc_lo, v15, 1
	s_delay_alu instid0(VALU_DEP_1) | instskip(NEXT) | instid1(VALU_DEP_1)
	v_cmp_gt_i32_e64 s3, 0, v60
	v_cndmask_b32_e64 v60, v60, v15, s3
	s_wait_dscnt 0x0
	v_add_nc_u32_e32 v59, v61, v59
	v_cmp_lt_u32_e64 s3, 0xff, v14
	s_delay_alu instid0(VALU_DEP_3) | instskip(SKIP_4) | instid1(VALU_DEP_2)
	v_lshlrev_b32_e32 v60, 2, v60
	ds_bpermute_b32 v59, v60, v59
	s_wait_dscnt 0x0
	v_cndmask_b32_e32 v59, v59, v61, vcc_lo
	v_cmp_gt_u32_e32 vcc_lo, 0x100, v14
	v_cndmask_b32_e64 v59, v59, 0, s2
	s_delay_alu instid0(VALU_DEP_1) | instskip(NEXT) | instid1(VALU_DEP_1)
	v_add_nc_u32_e32 v8, v59, v8
	v_add_nc_u32_e32 v9, v8, v9
	s_delay_alu instid0(VALU_DEP_1) | instskip(NEXT) | instid1(VALU_DEP_1)
	v_add_nc_u32_e32 v6, v9, v6
	v_add_nc_u32_e32 v7, v6, v7
	;; [unrolled: 3-line block ×4, first 2 shown]
	ds_store_2addr_b32 v10, v59, v8 offset0:16 offset1:17
	ds_store_2addr_b32 v10, v9, v6 offset0:18 offset1:19
	;; [unrolled: 1-line block ×4, first 2 shown]
	ds_store_b32 v10, v3 offset:96
	s_wait_dscnt 0x0
	s_barrier_signal -1
	s_barrier_wait -1
	ds_load_b32 v59, v12 offset:64
	ds_load_b32 v60, v13 offset:64
	;; [unrolled: 1-line block ×12, first 2 shown]
	v_mov_b64_e32 v[2:3], 0
                                        ; implicit-def: $vgpr4
	s_and_saveexec_b32 s5, vcc_lo
	s_cbranch_execz .LBB2744_63
; %bb.60:
	v_mul_u32_u24_e32 v2, 0x44, v14
	v_dual_mov_b32 v3, 0x1800 :: v_dual_add_nc_u32 v4, 1, v14
	s_mov_b32 s6, exec_lo
	ds_load_b32 v2, v2 offset:64
	v_cmpx_ne_u32_e32 0x100, v4
; %bb.61:
	v_mul_u32_u24_e32 v3, 0x44, v4
	ds_load_b32 v3, v3 offset:64
; %bb.62:
	s_or_b32 exec_lo, exec_lo, s6
	s_wait_dscnt 0x0
	v_dual_mov_b32 v3, 0 :: v_dual_sub_nc_u32 v4, v3, v2
.LBB2744_63:
	s_or_b32 exec_lo, exec_lo, s5
	v_dual_mov_b32 v7, 0 :: v_dual_lshlrev_b32 v5, 3, v14
	s_wait_dscnt 0x0
	s_barrier_signal -1
	s_barrier_wait -1
	s_and_saveexec_b32 s4, vcc_lo
	s_cbranch_execz .LBB2744_73
; %bb.64:
	v_lshl_add_u32 v6, s19, 8, v14
	v_dual_mov_b32 v10, 0 :: v_dual_bitop2_b32 v11, 2.0, v4 bitop3:0x54
	s_mov_b32 s5, 0
	s_mov_b32 s6, s19
	s_delay_alu instid0(VALU_DEP_2)
	v_lshl_add_u64 v[8:9], v[6:7], 2, s[20:21]
	global_store_b32 v6, v11, s[20:21] scale_offset scope:SCOPE_DEV
                                        ; implicit-def: $sgpr27
	s_branch .LBB2744_67
.LBB2744_65:                            ;   in Loop: Header=BB2744_67 Depth=1
	s_or_b32 exec_lo, exec_lo, s28
.LBB2744_66:                            ;   in Loop: Header=BB2744_67 Depth=1
	s_delay_alu instid0(SALU_CYCLE_1) | instskip(SKIP_2) | instid1(VALU_DEP_2)
	s_or_b32 exec_lo, exec_lo, s27
	v_and_b32_e32 v6, 0x3fffffff, v11
	v_cmp_gt_i32_e64 s27, -2.0, v11
	v_add_nc_u32_e32 v10, v6, v10
	s_and_b32 s28, exec_lo, s27
	s_delay_alu instid0(SALU_CYCLE_1) | instskip(NEXT) | instid1(SALU_CYCLE_1)
	s_or_b32 s5, s28, s5
	s_and_not1_b32 exec_lo, exec_lo, s5
	s_cbranch_execz .LBB2744_72
.LBB2744_67:                            ; =>This Loop Header: Depth=1
                                        ;     Child Loop BB2744_70 Depth 2
	s_or_b32 s27, s27, exec_lo
	s_cmp_eq_u32 s6, 0
	s_cbranch_scc1 .LBB2744_71
; %bb.68:                               ;   in Loop: Header=BB2744_67 Depth=1
	s_add_co_i32 s6, s6, -1
	s_mov_b32 s27, exec_lo
	s_wait_xcnt 0x0
	v_lshl_or_b32 v6, s6, 8, v14
	global_load_b32 v11, v6, s[20:21] scale_offset scope:SCOPE_DEV
	s_wait_loadcnt 0x0
	v_cmpx_gt_u32_e32 2.0, v11
	s_cbranch_execz .LBB2744_66
; %bb.69:                               ;   in Loop: Header=BB2744_67 Depth=1
	v_lshl_add_u64 v[12:13], v[6:7], 2, s[20:21]
	s_mov_b32 s28, 0
.LBB2744_70:                            ;   Parent Loop BB2744_67 Depth=1
                                        ; =>  This Inner Loop Header: Depth=2
	global_load_b32 v11, v[12:13], off scope:SCOPE_DEV
	s_wait_loadcnt 0x0
	v_cmp_lt_u32_e32 vcc_lo, 0x3fffffff, v11
	s_or_b32 s28, vcc_lo, s28
	s_wait_xcnt 0x0
	s_and_not1_b32 exec_lo, exec_lo, s28
	s_cbranch_execnz .LBB2744_70
	s_branch .LBB2744_65
.LBB2744_71:                            ;   in Loop: Header=BB2744_67 Depth=1
                                        ; implicit-def: $sgpr6
	s_and_b32 s28, exec_lo, s27
	s_delay_alu instid0(SALU_CYCLE_1)
	s_or_b32 s5, s28, s5
	s_wait_xcnt 0x0
	s_and_not1_b32 exec_lo, exec_lo, s5
	s_cbranch_execnz .LBB2744_67
.LBB2744_72:
	s_or_b32 exec_lo, exec_lo, s5
	v_dual_mov_b32 v11, 0 :: v_dual_add_nc_u32 v6, v10, v4
	s_delay_alu instid0(VALU_DEP_1) | instskip(SKIP_4) | instid1(VALU_DEP_1)
	v_or_b32_e32 v6, 0x80000000, v6
	global_store_b32 v[8:9], v6, off scope:SCOPE_DEV
	global_load_b64 v[6:7], v14, s[8:9] scale_offset
	v_sub_nc_u64_e32 v[8:9], v[10:11], v[2:3]
	s_wait_loadcnt 0x0
	v_add_nc_u64_e32 v[6:7], v[8:9], v[6:7]
	ds_store_b64 v5, v[6:7]
.LBB2744_73:
	s_wait_xcnt 0x0
	s_or_b32 exec_lo, exec_lo, s4
	v_dual_lshlrev_b32 v6, 2, v14 :: v_dual_add_nc_u32 v8, v63, v28
	v_mov_b32_e32 v7, 0
	v_add3_u32 v10, v54, v55, v53
	v_add3_u32 v9, v57, v58, v56
	s_delay_alu instid0(VALU_DEP_4)
	v_sub_nc_u32_e32 v53, 0, v6
	v_add3_u32 v11, v51, v52, v50
	v_add_nc_u64_e32 v[6:7], s[14:15], v[6:7]
	v_add3_u32 v12, v48, v49, v47
	v_add3_u32 v13, v45, v46, v44
	;; [unrolled: 1-line block ×6, first 2 shown]
	v_add_nc_u64_e32 v[6:7], 0x3800, v[6:7]
	v_add3_u32 v31, v32, v60, v31
	v_add3_u32 v29, v30, v59, v29
	v_add_nc_u32_e32 v30, 0xe00, v14
	v_add_nc_u32_e32 v32, v5, v53
	s_mov_b32 s4, 0
	s_mov_b32 s5, -1
	s_branch .LBB2744_75
.LBB2744_74:                            ;   in Loop: Header=BB2744_75 Depth=1
	s_wait_xcnt 0x0
	s_or_b32 exec_lo, exec_lo, s6
	v_add_nc_u64_e32 v[6:7], 0x4000, v[6:7]
	v_add_nc_u32_e32 v30, 0x1000, v30
	s_xor_b32 s5, s5, -1
	s_addk_co_i32 s4, 0xf000
	s_and_b32 vcc_lo, exec_lo, s5
	s_mov_b32 s5, 0
	s_wait_storecnt 0x0
	s_barrier_signal -1
	s_barrier_wait -1
	s_cbranch_vccnz .LBB2744_91
.LBB2744_75:                            ; =>This Inner Loop Header: Depth=1
	v_add_min_u32_e64 v34, v8, s4, 0x1000
	v_add_min_u32_e64 v36, v29, s4, 0x1000
	;; [unrolled: 1-line block ×5, first 2 shown]
	s_delay_alu instid0(VALU_DEP_4) | instskip(NEXT) | instid1(VALU_DEP_4)
	v_dual_lshlrev_b32 v34, 2, v34 :: v_dual_lshlrev_b32 v36, 2, v36
	v_lshlrev_b32_e32 v38, 2, v38
	v_add_min_u32_e64 v41, v37, s4, 0x1000
	s_mov_b32 s6, exec_lo
	ds_store_b32 v34, v17 offset:2048
	ds_store_b32 v36, v1 offset:2048
	v_add_min_u32_e64 v34, v28, s4, 0x1000
	v_lshlrev_b32_e32 v36, 2, v39
	ds_store_b32 v38, v19 offset:2048
	v_dual_lshlrev_b32 v38, 2, v40 :: v_dual_lshlrev_b32 v39, 2, v41
	v_add_min_u32_e64 v40, v13, s4, 0x1000
	v_lshlrev_b32_e32 v34, 2, v34
	ds_store_b32 v36, v18 offset:2048
	ds_store_b32 v38, v21 offset:2048
	;; [unrolled: 1-line block ×4, first 2 shown]
	v_add_min_u32_e64 v36, v12, s4, 0x1000
	v_add_min_u32_e64 v38, v11, s4, 0x1000
	v_lshlrev_b32_e32 v34, 2, v40
	v_add_min_u32_e64 v39, v10, s4, 0x1000
	v_add_min_u32_e64 v40, v9, s4, 0x1000
	ds_store_b32 v34, v22 offset:2048
	v_dual_lshlrev_b32 v34, 2, v36 :: v_dual_lshlrev_b32 v36, 2, v38
	v_dual_lshlrev_b32 v38, 2, v39 :: v_dual_lshlrev_b32 v39, 2, v40
	v_add_nc_u32_e32 v40, 0xfffff200, v30
	ds_store_b32 v34, v25 offset:2048
	ds_store_b32 v36, v24 offset:2048
	;; [unrolled: 1-line block ×4, first 2 shown]
	s_wait_storecnt_dscnt 0x0
	s_barrier_signal -1
	s_barrier_wait -1
	v_cmpx_gt_u32_e64 s18, v40
	s_cbranch_execz .LBB2744_77
; %bb.76:                               ;   in Loop: Header=BB2744_75 Depth=1
	ds_load_b32 v34, v32 offset:2048
	s_wait_dscnt 0x0
	v_lshrrev_b32_e32 v36, s16, v34
	s_delay_alu instid0(VALU_DEP_1) | instskip(NEXT) | instid1(VALU_DEP_1)
	v_and_b32_e32 v36, s26, v36
	v_lshlrev_b32_e32 v36, 3, v36
	ds_load_b64 v[38:39], v36
	s_wait_dscnt 0x0
	v_lshl_add_u64 v[38:39], v[38:39], 2, v[6:7]
	global_store_b32 v[38:39], v34, off offset:-14336
.LBB2744_77:                            ;   in Loop: Header=BB2744_75 Depth=1
	s_wait_xcnt 0x0
	s_or_b32 exec_lo, exec_lo, s6
	v_add_nc_u32_e32 v34, 0xfffff400, v30
	s_mov_b32 s6, exec_lo
	s_delay_alu instid0(VALU_DEP_1)
	v_cmpx_gt_u32_e64 s18, v34
	s_cbranch_execz .LBB2744_79
; %bb.78:                               ;   in Loop: Header=BB2744_75 Depth=1
	ds_load_b32 v34, v32 offset:4096
	s_wait_dscnt 0x0
	v_lshrrev_b32_e32 v36, s16, v34
	s_delay_alu instid0(VALU_DEP_1) | instskip(NEXT) | instid1(VALU_DEP_1)
	v_and_b32_e32 v36, s26, v36
	v_lshlrev_b32_e32 v36, 3, v36
	ds_load_b64 v[38:39], v36
	s_wait_dscnt 0x0
	v_lshl_add_u64 v[38:39], v[38:39], 2, v[6:7]
	global_store_b32 v[38:39], v34, off offset:-12288
.LBB2744_79:                            ;   in Loop: Header=BB2744_75 Depth=1
	s_wait_xcnt 0x0
	s_or_b32 exec_lo, exec_lo, s6
	v_add_nc_u32_e32 v34, 0xfffff600, v30
	s_mov_b32 s6, exec_lo
	s_delay_alu instid0(VALU_DEP_1)
	;; [unrolled: 19-line block ×6, first 2 shown]
	v_cmpx_gt_u32_e64 s18, v34
	s_cbranch_execz .LBB2744_89
; %bb.88:                               ;   in Loop: Header=BB2744_75 Depth=1
	ds_load_b32 v34, v32 offset:14336
	s_wait_dscnt 0x0
	v_lshrrev_b32_e32 v36, s16, v34
	s_delay_alu instid0(VALU_DEP_1) | instskip(NEXT) | instid1(VALU_DEP_1)
	v_and_b32_e32 v36, s26, v36
	v_lshlrev_b32_e32 v36, 3, v36
	ds_load_b64 v[38:39], v36
	s_wait_dscnt 0x0
	v_lshl_add_u64 v[38:39], v[38:39], 2, v[6:7]
	global_store_b32 v[38:39], v34, off offset:-2048
.LBB2744_89:                            ;   in Loop: Header=BB2744_75 Depth=1
	s_wait_xcnt 0x0
	s_or_b32 exec_lo, exec_lo, s6
	s_delay_alu instid0(SALU_CYCLE_1)
	s_mov_b32 s6, exec_lo
	v_cmpx_gt_u32_e64 s18, v30
	s_cbranch_execz .LBB2744_74
; %bb.90:                               ;   in Loop: Header=BB2744_75 Depth=1
	ds_load_b32 v34, v32 offset:16384
	s_wait_dscnt 0x0
	v_lshrrev_b32_e32 v36, s16, v34
	s_delay_alu instid0(VALU_DEP_1) | instskip(NEXT) | instid1(VALU_DEP_1)
	v_and_b32_e32 v36, s26, v36
	v_lshlrev_b32_e32 v36, 3, v36
	ds_load_b64 v[38:39], v36
	s_wait_dscnt 0x0
	v_lshl_add_u64 v[38:39], v[38:39], 2, v[6:7]
	global_store_b32 v[38:39], v34, off
	s_branch .LBB2744_74
.LBB2744_91:
	s_add_co_i32 s23, s23, -1
	s_delay_alu instid0(SALU_CYCLE_1) | instskip(SKIP_2) | instid1(SALU_CYCLE_1)
	s_cmp_eq_u32 s19, s23
	s_cselect_b32 s4, -1, 0
	s_xor_b32 s3, s3, -1
	s_and_b32 s4, s3, s4
	s_delay_alu instid0(SALU_CYCLE_1)
	s_and_saveexec_b32 s3, s4
	s_cbranch_execz .LBB2744_93
; %bb.92:
	ds_load_b64 v[6:7], v5
	v_mov_b32_e32 v5, 0
	s_delay_alu instid0(VALU_DEP_1) | instskip(SKIP_1) | instid1(VALU_DEP_1)
	v_add_nc_u64_e32 v[2:3], v[2:3], v[4:5]
	s_wait_dscnt 0x0
	v_add_nc_u64_e32 v[2:3], v[2:3], v[6:7]
	global_store_b64 v14, v[2:3], s[10:11] scale_offset
.LBB2744_93:
	s_wait_xcnt 0x0
	s_or_b32 exec_lo, exec_lo, s3
	s_mov_b32 s4, 0
.LBB2744_94:
	s_delay_alu instid0(SALU_CYCLE_1)
	s_and_b32 vcc_lo, exec_lo, s4
	s_cbranch_vccz .LBB2744_153
; %bb.95:
	s_mov_b32 s23, 0
	v_dual_mov_b32 v3, 0 :: v_dual_lshlrev_b32 v2, 2, v15
	s_lshl_b64 s[4:5], s[22:23], 2
	v_mul_u32_u24_e32 v1, 12, v16
	s_add_nc_u64 s[4:5], s[12:13], s[4:5]
	s_delay_alu instid0(VALU_DEP_2) | instid1(SALU_CYCLE_1)
	v_add_nc_u64_e32 v[4:5], s[4:5], v[2:3]
	s_delay_alu instid0(VALU_DEP_2) | instskip(SKIP_2) | instid1(VALU_DEP_3)
	v_lshlrev_b32_e32 v2, 2, v1
	v_bfe_u32 v1, v0, 10, 10
	v_bfe_u32 v0, v0, 20, 10
	v_add_nc_u64_e32 v[4:5], v[4:5], v[2:3]
	s_clause 0xb
	global_load_b32 v17, v[4:5], off
	global_load_b32 v18, v[4:5], off offset:128
	global_load_b32 v19, v[4:5], off offset:256
	global_load_b32 v20, v[4:5], off offset:384
	global_load_b32 v21, v[4:5], off offset:512
	global_load_b32 v22, v[4:5], off offset:640
	global_load_b32 v23, v[4:5], off offset:768
	global_load_b32 v24, v[4:5], off offset:896
	global_load_b32 v25, v[4:5], off offset:1024
	global_load_b32 v26, v[4:5], off offset:1152
	global_load_b32 v27, v[4:5], off offset:1280
	global_load_b32 v28, v[4:5], off offset:1408
	s_clause 0x1
	s_load_b32 s12, s[0:1], 0x58
	s_load_u16 s3, s[0:1], 0x66
	s_wait_xcnt 0x0
	s_bfe_u32 s0, ttmp6, 0x4000c
	s_and_b32 s1, ttmp6, 15
	s_add_co_i32 s0, s0, 1
	s_delay_alu instid0(SALU_CYCLE_1) | instskip(NEXT) | instid1(SALU_CYCLE_1)
	s_mul_i32 s0, ttmp9, s0
	s_add_co_i32 s1, s1, s0
	s_cmp_eq_u32 s7, 0
	s_cselect_b32 s0, ttmp9, s1
	s_wait_kmcnt 0x0
	s_cmp_lt_u32 s0, s12
	v_mad_u32_u24 v0, v0, s3, v1
	s_cselect_b32 s22, 12, 18
	s_lshl_b32 s13, -1, s17
	s_add_nc_u64 s[0:1], s[24:25], s[22:23]
	s_load_u16 s17, s[0:1], 0x0
	s_wait_kmcnt 0x0
	v_mad_u32 v0, v0, s17, v14
	s_delay_alu instid0(VALU_DEP_1) | instskip(NEXT) | instid1(VALU_DEP_1)
	v_lshrrev_b32_e32 v0, 3, v0
	v_and_b32_e32 v0, 0x1ffffffc, v0
	s_wait_loadcnt 0xb
	v_lshrrev_b32_e32 v2, s16, v17
	s_delay_alu instid0(VALU_DEP_1) | instskip(SKIP_1) | instid1(VALU_DEP_2)
	v_bitop3_b32 v1, v2, 1, s13 bitop3:0x40
	v_bitop3_b32 v2, v2, s13, v2 bitop3:0x30
	v_add_co_u32 v1, s0, v1, -1
	s_delay_alu instid0(VALU_DEP_1) | instskip(NEXT) | instid1(VALU_DEP_3)
	v_cndmask_b32_e64 v4, 0, 1, s0
	v_dual_lshlrev_b32 v5, 30, v2 :: v_dual_lshlrev_b32 v6, 29, v2
	v_dual_lshlrev_b32 v7, 28, v2 :: v_dual_lshlrev_b32 v8, 27, v2
	s_delay_alu instid0(VALU_DEP_3) | instskip(NEXT) | instid1(VALU_DEP_3)
	v_cmp_ne_u32_e32 vcc_lo, 0, v4
	v_not_b32_e32 v4, v5
	v_dual_lshlrev_b32 v9, 26, v2 :: v_dual_lshlrev_b32 v10, 25, v2
	v_cmp_gt_i32_e64 s0, 0, v5
	v_cmp_gt_i32_e64 s1, 0, v6
	v_not_b32_e32 v5, v6
	v_cmp_gt_i32_e64 s3, 0, v7
	v_not_b32_e32 v6, v7
	v_not_b32_e32 v7, v8
	v_dual_ashrrev_i32 v4, 31, v4 :: v_dual_lshlrev_b32 v11, 24, v2
	v_xor_b32_e32 v1, vcc_lo, v1
	v_cmp_gt_i32_e64 s4, 0, v8
	v_not_b32_e32 v8, v9
	s_delay_alu instid0(VALU_DEP_4) | instskip(SKIP_1) | instid1(VALU_DEP_3)
	v_dual_ashrrev_i32 v5, 31, v5 :: v_dual_bitop2_b32 v4, s0, v4 bitop3:0x14
	v_dual_ashrrev_i32 v6, 31, v6 :: v_dual_ashrrev_i32 v7, 31, v7
	v_ashrrev_i32_e32 v8, 31, v8
	v_mul_lo_u32 v2, 0x44, v2
	v_cmp_gt_i32_e64 s5, 0, v9
	v_cmp_gt_i32_e64 s6, 0, v10
	v_not_b32_e32 v9, v10
	v_not_b32_e32 v10, v11
	v_xor_b32_e32 v5, s1, v5
	v_xor_b32_e32 v6, s3, v6
	v_bitop3_b32 v1, v1, v4, exec_lo bitop3:0x80
	v_xor_b32_e32 v7, s4, v7
	v_cmp_gt_i32_e64 s7, 0, v11
	v_dual_ashrrev_i32 v4, 31, v9 :: v_dual_ashrrev_i32 v9, 31, v10
	v_dual_add_nc_u32 v11, v0, v2 :: v_dual_bitop2_b32 v8, s5, v8 bitop3:0x14
	v_bitop3_b32 v1, v1, v6, v5 bitop3:0x80
	s_delay_alu instid0(VALU_DEP_3) | instskip(NEXT) | instid1(VALU_DEP_4)
	v_xor_b32_e32 v4, s6, v4
	v_xor_b32_e32 v5, s7, v9
	v_mul_u32_u24_e32 v10, 36, v14
	s_not_b32 s5, s13
	v_bitop3_b32 v1, v1, v8, v7 bitop3:0x80
	ds_store_2addr_b32 v10, v3, v3 offset0:16 offset1:17
	ds_store_2addr_b32 v10, v3, v3 offset0:18 offset1:19
	ds_store_2addr_b32 v10, v3, v3 offset0:20 offset1:21
	ds_store_2addr_b32 v10, v3, v3 offset0:22 offset1:23
	ds_store_b32 v10, v3 offset:96
	v_bitop3_b32 v1, v1, v5, v4 bitop3:0x80
	s_wait_storecnt 0x0
	s_wait_loadcnt_dscnt 0x0
	s_barrier_signal -1
	s_barrier_wait -1
	v_mbcnt_lo_u32_b32 v5, v1, 0
	v_cmp_ne_u32_e64 s0, 0, v1
	; wave barrier
	s_delay_alu instid0(VALU_DEP_2) | instskip(SKIP_1) | instid1(SALU_CYCLE_1)
	v_cmp_eq_u32_e32 vcc_lo, 0, v5
	s_and_b32 s1, s0, vcc_lo
	s_and_saveexec_b32 s0, s1
; %bb.96:
	v_bcnt_u32_b32 v1, v1, 0
	ds_store_b32 v11, v1 offset:64
; %bb.97:
	s_or_b32 exec_lo, exec_lo, s0
	v_lshrrev_b32_e32 v1, s16, v18
	; wave barrier
	s_delay_alu instid0(VALU_DEP_1) | instskip(SKIP_1) | instid1(VALU_DEP_2)
	v_and_b32_e32 v2, s5, v1
	v_bitop3_b32 v1, v1, 1, s5 bitop3:0x80
	v_dual_lshlrev_b32 v6, 30, v2 :: v_dual_lshlrev_b32 v7, 29, v2
	s_delay_alu instid0(VALU_DEP_2) | instskip(NEXT) | instid1(VALU_DEP_1)
	v_add_co_u32 v1, s0, v1, -1
	v_cndmask_b32_e64 v4, 0, 1, s0
	s_delay_alu instid0(VALU_DEP_3) | instskip(NEXT) | instid1(VALU_DEP_4)
	v_cmp_gt_i32_e64 s0, 0, v6
	v_cmp_gt_i32_e64 s1, 0, v7
	s_delay_alu instid0(VALU_DEP_3) | instskip(SKIP_2) | instid1(VALU_DEP_2)
	v_cmp_ne_u32_e32 vcc_lo, 0, v4
	v_not_b32_e32 v4, v6
	v_not_b32_e32 v6, v7
	v_dual_ashrrev_i32 v4, 31, v4 :: v_dual_bitop2_b32 v1, vcc_lo, v1 bitop3:0x14
	s_delay_alu instid0(VALU_DEP_2) | instskip(SKIP_3) | instid1(VALU_DEP_3)
	v_ashrrev_i32_e32 v6, 31, v6
	v_dual_lshlrev_b32 v8, 28, v2 :: v_dual_lshlrev_b32 v9, 27, v2
	v_mul_lo_u32 v3, 0x44, v2
	v_dual_lshlrev_b32 v12, 26, v2 :: v_dual_lshlrev_b32 v13, 25, v2
	v_not_b32_e32 v7, v8
	v_lshlrev_b32_e32 v2, 24, v2
	v_cmp_gt_i32_e64 s3, 0, v8
	v_xor_b32_e32 v4, s0, v4
	v_not_b32_e32 v8, v9
	v_ashrrev_i32_e32 v7, 31, v7
	v_not_b32_e32 v29, v12
	v_xor_b32_e32 v6, s1, v6
	v_bitop3_b32 v1, v1, v4, exec_lo bitop3:0x80
	v_cmp_gt_i32_e32 vcc_lo, 0, v9
	v_dual_ashrrev_i32 v4, 31, v8 :: v_dual_bitop2_b32 v7, s3, v7 bitop3:0x14
	v_cmp_gt_i32_e64 s0, 0, v12
	v_ashrrev_i32_e32 v8, 31, v29
	s_delay_alu instid0(VALU_DEP_3)
	v_bitop3_b32 v1, v1, v7, v6 bitop3:0x80
	v_not_b32_e32 v6, v13
	v_not_b32_e32 v7, v2
	v_xor_b32_e32 v4, vcc_lo, v4
	v_xor_b32_e32 v8, s0, v8
	v_cmp_gt_i32_e32 vcc_lo, 0, v13
	v_ashrrev_i32_e32 v6, 31, v6
	v_cmp_gt_i32_e64 s0, 0, v2
	v_ashrrev_i32_e32 v2, 31, v7
	v_add_nc_u32_e32 v12, v0, v3
	v_bitop3_b32 v1, v1, v8, v4 bitop3:0x80
	v_xor_b32_e32 v3, vcc_lo, v6
	s_delay_alu instid0(VALU_DEP_4) | instskip(SKIP_2) | instid1(VALU_DEP_1)
	v_xor_b32_e32 v2, s0, v2
	ds_load_b32 v29, v12 offset:64
	; wave barrier
	v_bitop3_b32 v1, v1, v2, v3 bitop3:0x80
	v_mbcnt_lo_u32_b32 v30, v1, 0
	v_cmp_ne_u32_e64 s0, 0, v1
	s_delay_alu instid0(VALU_DEP_2) | instskip(SKIP_1) | instid1(SALU_CYCLE_1)
	v_cmp_eq_u32_e32 vcc_lo, 0, v30
	s_and_b32 s1, s0, vcc_lo
	s_and_saveexec_b32 s0, s1
	s_cbranch_execz .LBB2744_99
; %bb.98:
	s_wait_dscnt 0x0
	v_bcnt_u32_b32 v1, v1, v29
	ds_store_b32 v12, v1 offset:64
.LBB2744_99:
	s_or_b32 exec_lo, exec_lo, s0
	v_lshrrev_b32_e32 v1, s16, v19
	; wave barrier
	s_delay_alu instid0(VALU_DEP_1) | instskip(NEXT) | instid1(VALU_DEP_1)
	v_and_b32_e32 v2, s5, v1
	v_lshlrev_b32_e32 v6, 30, v2
	v_bitop3_b32 v1, v1, 1, s5 bitop3:0x80
	s_delay_alu instid0(VALU_DEP_1) | instskip(NEXT) | instid1(VALU_DEP_1)
	v_add_co_u32 v1, s0, v1, -1
	v_cndmask_b32_e64 v4, 0, 1, s0
	s_delay_alu instid0(VALU_DEP_4) | instskip(NEXT) | instid1(VALU_DEP_2)
	v_cmp_gt_i32_e64 s0, 0, v6
	v_cmp_ne_u32_e32 vcc_lo, 0, v4
	v_not_b32_e32 v4, v6
	s_delay_alu instid0(VALU_DEP_1) | instskip(SKIP_3) | instid1(VALU_DEP_4)
	v_dual_ashrrev_i32 v4, 31, v4 :: v_dual_lshlrev_b32 v7, 29, v2
	v_dual_lshlrev_b32 v8, 28, v2 :: v_dual_lshlrev_b32 v9, 27, v2
	v_lshlrev_b32_e32 v13, 26, v2
	v_mul_lo_u32 v3, 0x44, v2
	v_cmp_gt_i32_e64 s1, 0, v7
	v_not_b32_e32 v6, v7
	v_not_b32_e32 v7, v8
	v_cmp_gt_i32_e64 s3, 0, v8
	v_xor_b32_e32 v1, vcc_lo, v1
	s_delay_alu instid0(VALU_DEP_4) | instskip(NEXT) | instid1(VALU_DEP_4)
	v_dual_ashrrev_i32 v6, 31, v6 :: v_dual_bitop2_b32 v4, s0, v4 bitop3:0x14
	v_dual_ashrrev_i32 v7, 31, v7 :: v_dual_lshlrev_b32 v31, 25, v2
	v_lshlrev_b32_e32 v2, 24, v2
	v_not_b32_e32 v8, v9
	v_not_b32_e32 v32, v13
	v_xor_b32_e32 v6, s1, v6
	v_xor_b32_e32 v7, s3, v7
	v_bitop3_b32 v1, v1, v4, exec_lo bitop3:0x80
	v_cmp_gt_i32_e32 vcc_lo, 0, v9
	v_ashrrev_i32_e32 v4, 31, v8
	v_cmp_gt_i32_e64 s0, 0, v13
	v_ashrrev_i32_e32 v8, 31, v32
	v_bitop3_b32 v1, v1, v7, v6 bitop3:0x80
	v_not_b32_e32 v6, v31
	v_not_b32_e32 v7, v2
	v_xor_b32_e32 v4, vcc_lo, v4
	v_xor_b32_e32 v8, s0, v8
	v_cmp_gt_i32_e32 vcc_lo, 0, v31
	v_ashrrev_i32_e32 v6, 31, v6
	v_cmp_gt_i32_e64 s0, 0, v2
	v_ashrrev_i32_e32 v2, 31, v7
	v_add_nc_u32_e32 v13, v0, v3
	v_bitop3_b32 v1, v1, v8, v4 bitop3:0x80
	v_xor_b32_e32 v3, vcc_lo, v6
	s_delay_alu instid0(VALU_DEP_4) | instskip(SKIP_2) | instid1(VALU_DEP_1)
	v_xor_b32_e32 v2, s0, v2
	ds_load_b32 v31, v13 offset:64
	; wave barrier
	v_bitop3_b32 v1, v1, v2, v3 bitop3:0x80
	v_mbcnt_lo_u32_b32 v32, v1, 0
	v_cmp_ne_u32_e64 s0, 0, v1
	s_delay_alu instid0(VALU_DEP_2) | instskip(SKIP_1) | instid1(SALU_CYCLE_1)
	v_cmp_eq_u32_e32 vcc_lo, 0, v32
	s_and_b32 s1, s0, vcc_lo
	s_and_saveexec_b32 s0, s1
	s_cbranch_execz .LBB2744_101
; %bb.100:
	s_wait_dscnt 0x0
	v_bcnt_u32_b32 v1, v1, v31
	ds_store_b32 v13, v1 offset:64
.LBB2744_101:
	s_or_b32 exec_lo, exec_lo, s0
	v_lshrrev_b32_e32 v1, s16, v20
	; wave barrier
	s_delay_alu instid0(VALU_DEP_1) | instskip(NEXT) | instid1(VALU_DEP_1)
	v_and_b32_e32 v2, s5, v1
	v_lshlrev_b32_e32 v6, 30, v2
	v_bitop3_b32 v1, v1, 1, s5 bitop3:0x80
	s_delay_alu instid0(VALU_DEP_1) | instskip(NEXT) | instid1(VALU_DEP_1)
	v_add_co_u32 v1, s0, v1, -1
	v_cndmask_b32_e64 v4, 0, 1, s0
	s_delay_alu instid0(VALU_DEP_4) | instskip(NEXT) | instid1(VALU_DEP_2)
	v_cmp_gt_i32_e64 s0, 0, v6
	v_cmp_ne_u32_e32 vcc_lo, 0, v4
	v_not_b32_e32 v4, v6
	s_delay_alu instid0(VALU_DEP_1) | instskip(SKIP_3) | instid1(VALU_DEP_4)
	v_dual_ashrrev_i32 v4, 31, v4 :: v_dual_lshlrev_b32 v7, 29, v2
	v_dual_lshlrev_b32 v8, 28, v2 :: v_dual_lshlrev_b32 v9, 27, v2
	v_lshlrev_b32_e32 v33, 26, v2
	v_mul_lo_u32 v3, 0x44, v2
	v_cmp_gt_i32_e64 s1, 0, v7
	v_not_b32_e32 v6, v7
	v_not_b32_e32 v7, v8
	v_cmp_gt_i32_e64 s3, 0, v8
	v_xor_b32_e32 v1, vcc_lo, v1
	s_delay_alu instid0(VALU_DEP_4) | instskip(NEXT) | instid1(VALU_DEP_4)
	v_dual_ashrrev_i32 v6, 31, v6 :: v_dual_bitop2_b32 v4, s0, v4 bitop3:0x14
	v_dual_ashrrev_i32 v7, 31, v7 :: v_dual_lshlrev_b32 v34, 25, v2
	v_lshlrev_b32_e32 v2, 24, v2
	v_not_b32_e32 v8, v9
	v_not_b32_e32 v35, v33
	v_xor_b32_e32 v6, s1, v6
	v_xor_b32_e32 v7, s3, v7
	v_bitop3_b32 v1, v1, v4, exec_lo bitop3:0x80
	v_cmp_gt_i32_e32 vcc_lo, 0, v9
	v_ashrrev_i32_e32 v4, 31, v8
	v_cmp_gt_i32_e64 s0, 0, v33
	v_ashrrev_i32_e32 v8, 31, v35
	v_bitop3_b32 v1, v1, v7, v6 bitop3:0x80
	v_not_b32_e32 v6, v34
	v_not_b32_e32 v7, v2
	v_xor_b32_e32 v4, vcc_lo, v4
	v_xor_b32_e32 v8, s0, v8
	v_cmp_gt_i32_e32 vcc_lo, 0, v34
	v_ashrrev_i32_e32 v6, 31, v6
	v_cmp_gt_i32_e64 s0, 0, v2
	v_ashrrev_i32_e32 v2, 31, v7
	v_add_nc_u32_e32 v37, v0, v3
	v_bitop3_b32 v1, v1, v8, v4 bitop3:0x80
	v_xor_b32_e32 v3, vcc_lo, v6
	s_delay_alu instid0(VALU_DEP_4) | instskip(SKIP_2) | instid1(VALU_DEP_1)
	v_xor_b32_e32 v2, s0, v2
	ds_load_b32 v33, v37 offset:64
	; wave barrier
	v_bitop3_b32 v1, v1, v2, v3 bitop3:0x80
	v_mbcnt_lo_u32_b32 v34, v1, 0
	v_cmp_ne_u32_e64 s0, 0, v1
	s_delay_alu instid0(VALU_DEP_2) | instskip(SKIP_1) | instid1(SALU_CYCLE_1)
	v_cmp_eq_u32_e32 vcc_lo, 0, v34
	s_and_b32 s1, s0, vcc_lo
	s_and_saveexec_b32 s0, s1
	s_cbranch_execz .LBB2744_103
; %bb.102:
	s_wait_dscnt 0x0
	v_bcnt_u32_b32 v1, v1, v33
	ds_store_b32 v37, v1 offset:64
.LBB2744_103:
	s_or_b32 exec_lo, exec_lo, s0
	v_lshrrev_b32_e32 v1, s16, v21
	; wave barrier
	s_delay_alu instid0(VALU_DEP_1) | instskip(NEXT) | instid1(VALU_DEP_1)
	v_and_b32_e32 v2, s5, v1
	v_lshlrev_b32_e32 v6, 30, v2
	v_bitop3_b32 v1, v1, 1, s5 bitop3:0x80
	s_delay_alu instid0(VALU_DEP_1) | instskip(NEXT) | instid1(VALU_DEP_1)
	v_add_co_u32 v1, s0, v1, -1
	v_cndmask_b32_e64 v4, 0, 1, s0
	s_delay_alu instid0(VALU_DEP_4) | instskip(NEXT) | instid1(VALU_DEP_2)
	v_cmp_gt_i32_e64 s0, 0, v6
	v_cmp_ne_u32_e32 vcc_lo, 0, v4
	v_not_b32_e32 v4, v6
	s_delay_alu instid0(VALU_DEP_1) | instskip(SKIP_3) | instid1(VALU_DEP_4)
	v_dual_ashrrev_i32 v4, 31, v4 :: v_dual_lshlrev_b32 v7, 29, v2
	v_dual_lshlrev_b32 v8, 28, v2 :: v_dual_lshlrev_b32 v9, 27, v2
	v_lshlrev_b32_e32 v35, 26, v2
	v_mul_lo_u32 v3, 0x44, v2
	v_cmp_gt_i32_e64 s1, 0, v7
	v_not_b32_e32 v6, v7
	v_not_b32_e32 v7, v8
	v_cmp_gt_i32_e64 s3, 0, v8
	v_xor_b32_e32 v1, vcc_lo, v1
	s_delay_alu instid0(VALU_DEP_4) | instskip(NEXT) | instid1(VALU_DEP_4)
	v_dual_ashrrev_i32 v6, 31, v6 :: v_dual_bitop2_b32 v4, s0, v4 bitop3:0x14
	v_dual_ashrrev_i32 v7, 31, v7 :: v_dual_lshlrev_b32 v36, 25, v2
	v_lshlrev_b32_e32 v2, 24, v2
	v_not_b32_e32 v8, v9
	v_not_b32_e32 v38, v35
	v_xor_b32_e32 v6, s1, v6
	v_xor_b32_e32 v7, s3, v7
	v_bitop3_b32 v1, v1, v4, exec_lo bitop3:0x80
	v_cmp_gt_i32_e32 vcc_lo, 0, v9
	v_ashrrev_i32_e32 v4, 31, v8
	v_cmp_gt_i32_e64 s0, 0, v35
	v_ashrrev_i32_e32 v8, 31, v38
	v_bitop3_b32 v1, v1, v7, v6 bitop3:0x80
	v_not_b32_e32 v6, v36
	v_not_b32_e32 v7, v2
	v_xor_b32_e32 v4, vcc_lo, v4
	v_xor_b32_e32 v8, s0, v8
	v_cmp_gt_i32_e32 vcc_lo, 0, v36
	v_ashrrev_i32_e32 v6, 31, v6
	v_cmp_gt_i32_e64 s0, 0, v2
	v_ashrrev_i32_e32 v2, 31, v7
	v_add_nc_u32_e32 v40, v0, v3
	v_bitop3_b32 v1, v1, v8, v4 bitop3:0x80
	v_xor_b32_e32 v3, vcc_lo, v6
	s_delay_alu instid0(VALU_DEP_4) | instskip(SKIP_2) | instid1(VALU_DEP_1)
	v_xor_b32_e32 v2, s0, v2
	ds_load_b32 v35, v40 offset:64
	; wave barrier
	v_bitop3_b32 v1, v1, v2, v3 bitop3:0x80
	v_mbcnt_lo_u32_b32 v36, v1, 0
	v_cmp_ne_u32_e64 s0, 0, v1
	s_delay_alu instid0(VALU_DEP_2) | instskip(SKIP_1) | instid1(SALU_CYCLE_1)
	v_cmp_eq_u32_e32 vcc_lo, 0, v36
	s_and_b32 s1, s0, vcc_lo
	s_and_saveexec_b32 s0, s1
	s_cbranch_execz .LBB2744_105
; %bb.104:
	s_wait_dscnt 0x0
	v_bcnt_u32_b32 v1, v1, v35
	ds_store_b32 v40, v1 offset:64
.LBB2744_105:
	s_or_b32 exec_lo, exec_lo, s0
	v_lshrrev_b32_e32 v1, s16, v22
	; wave barrier
	s_delay_alu instid0(VALU_DEP_1) | instskip(SKIP_1) | instid1(VALU_DEP_2)
	v_and_b32_e32 v2, s5, v1
	v_bitop3_b32 v1, v1, 1, s5 bitop3:0x80
	v_dual_lshlrev_b32 v6, 30, v2 :: v_dual_lshlrev_b32 v7, 29, v2
	s_delay_alu instid0(VALU_DEP_2) | instskip(NEXT) | instid1(VALU_DEP_1)
	v_add_co_u32 v1, s0, v1, -1
	v_cndmask_b32_e64 v4, 0, 1, s0
	s_delay_alu instid0(VALU_DEP_3) | instskip(NEXT) | instid1(VALU_DEP_4)
	v_cmp_gt_i32_e64 s0, 0, v6
	v_cmp_gt_i32_e64 s1, 0, v7
	s_delay_alu instid0(VALU_DEP_3) | instskip(SKIP_2) | instid1(VALU_DEP_2)
	v_cmp_ne_u32_e32 vcc_lo, 0, v4
	v_not_b32_e32 v4, v6
	v_not_b32_e32 v6, v7
	v_dual_ashrrev_i32 v4, 31, v4 :: v_dual_bitop2_b32 v1, vcc_lo, v1 bitop3:0x14
	s_delay_alu instid0(VALU_DEP_2) | instskip(SKIP_3) | instid1(VALU_DEP_3)
	v_ashrrev_i32_e32 v6, 31, v6
	v_dual_lshlrev_b32 v8, 28, v2 :: v_dual_lshlrev_b32 v9, 27, v2
	v_mul_lo_u32 v3, 0x44, v2
	v_dual_lshlrev_b32 v38, 26, v2 :: v_dual_lshlrev_b32 v39, 25, v2
	v_not_b32_e32 v7, v8
	v_lshlrev_b32_e32 v2, 24, v2
	v_cmp_gt_i32_e64 s3, 0, v8
	v_xor_b32_e32 v4, s0, v4
	v_not_b32_e32 v8, v9
	v_ashrrev_i32_e32 v7, 31, v7
	v_not_b32_e32 v41, v38
	v_xor_b32_e32 v6, s1, v6
	v_bitop3_b32 v1, v1, v4, exec_lo bitop3:0x80
	v_cmp_gt_i32_e32 vcc_lo, 0, v9
	v_dual_ashrrev_i32 v4, 31, v8 :: v_dual_bitop2_b32 v7, s3, v7 bitop3:0x14
	v_cmp_gt_i32_e64 s0, 0, v38
	v_ashrrev_i32_e32 v8, 31, v41
	s_delay_alu instid0(VALU_DEP_3)
	v_bitop3_b32 v1, v1, v7, v6 bitop3:0x80
	v_not_b32_e32 v6, v39
	v_not_b32_e32 v7, v2
	v_xor_b32_e32 v4, vcc_lo, v4
	v_xor_b32_e32 v8, s0, v8
	v_cmp_gt_i32_e32 vcc_lo, 0, v39
	v_ashrrev_i32_e32 v6, 31, v6
	v_cmp_gt_i32_e64 s0, 0, v2
	v_ashrrev_i32_e32 v2, 31, v7
	v_add_nc_u32_e32 v43, v0, v3
	v_bitop3_b32 v1, v1, v8, v4 bitop3:0x80
	v_xor_b32_e32 v3, vcc_lo, v6
	s_delay_alu instid0(VALU_DEP_4) | instskip(SKIP_2) | instid1(VALU_DEP_1)
	v_xor_b32_e32 v2, s0, v2
	ds_load_b32 v38, v43 offset:64
	; wave barrier
	v_bitop3_b32 v1, v1, v2, v3 bitop3:0x80
	v_mbcnt_lo_u32_b32 v39, v1, 0
	v_cmp_ne_u32_e64 s0, 0, v1
	s_delay_alu instid0(VALU_DEP_2) | instskip(SKIP_1) | instid1(SALU_CYCLE_1)
	v_cmp_eq_u32_e32 vcc_lo, 0, v39
	s_and_b32 s1, s0, vcc_lo
	s_and_saveexec_b32 s0, s1
	s_cbranch_execz .LBB2744_107
; %bb.106:
	s_wait_dscnt 0x0
	v_bcnt_u32_b32 v1, v1, v38
	ds_store_b32 v43, v1 offset:64
.LBB2744_107:
	s_or_b32 exec_lo, exec_lo, s0
	v_lshrrev_b32_e32 v1, s16, v23
	; wave barrier
	s_delay_alu instid0(VALU_DEP_1) | instskip(NEXT) | instid1(VALU_DEP_1)
	v_and_b32_e32 v2, s5, v1
	v_lshlrev_b32_e32 v6, 30, v2
	v_bitop3_b32 v1, v1, 1, s5 bitop3:0x80
	s_delay_alu instid0(VALU_DEP_1) | instskip(NEXT) | instid1(VALU_DEP_1)
	v_add_co_u32 v1, s0, v1, -1
	v_cndmask_b32_e64 v4, 0, 1, s0
	s_delay_alu instid0(VALU_DEP_4) | instskip(NEXT) | instid1(VALU_DEP_2)
	v_cmp_gt_i32_e64 s0, 0, v6
	v_cmp_ne_u32_e32 vcc_lo, 0, v4
	v_not_b32_e32 v4, v6
	s_delay_alu instid0(VALU_DEP_1) | instskip(SKIP_3) | instid1(VALU_DEP_4)
	v_dual_ashrrev_i32 v4, 31, v4 :: v_dual_lshlrev_b32 v7, 29, v2
	v_dual_lshlrev_b32 v8, 28, v2 :: v_dual_lshlrev_b32 v9, 27, v2
	v_lshlrev_b32_e32 v41, 26, v2
	v_mul_lo_u32 v3, 0x44, v2
	v_cmp_gt_i32_e64 s1, 0, v7
	v_not_b32_e32 v6, v7
	v_not_b32_e32 v7, v8
	v_cmp_gt_i32_e64 s3, 0, v8
	v_xor_b32_e32 v1, vcc_lo, v1
	s_delay_alu instid0(VALU_DEP_4) | instskip(NEXT) | instid1(VALU_DEP_4)
	v_dual_ashrrev_i32 v6, 31, v6 :: v_dual_bitop2_b32 v4, s0, v4 bitop3:0x14
	v_dual_ashrrev_i32 v7, 31, v7 :: v_dual_lshlrev_b32 v42, 25, v2
	v_lshlrev_b32_e32 v2, 24, v2
	v_not_b32_e32 v8, v9
	v_not_b32_e32 v44, v41
	v_xor_b32_e32 v6, s1, v6
	v_xor_b32_e32 v7, s3, v7
	v_bitop3_b32 v1, v1, v4, exec_lo bitop3:0x80
	v_cmp_gt_i32_e32 vcc_lo, 0, v9
	v_ashrrev_i32_e32 v4, 31, v8
	v_cmp_gt_i32_e64 s0, 0, v41
	v_ashrrev_i32_e32 v8, 31, v44
	v_bitop3_b32 v1, v1, v7, v6 bitop3:0x80
	v_not_b32_e32 v6, v42
	v_not_b32_e32 v7, v2
	v_xor_b32_e32 v4, vcc_lo, v4
	v_xor_b32_e32 v8, s0, v8
	v_cmp_gt_i32_e32 vcc_lo, 0, v42
	v_ashrrev_i32_e32 v6, 31, v6
	v_cmp_gt_i32_e64 s0, 0, v2
	v_ashrrev_i32_e32 v2, 31, v7
	v_add_nc_u32_e32 v46, v0, v3
	v_bitop3_b32 v1, v1, v8, v4 bitop3:0x80
	v_xor_b32_e32 v3, vcc_lo, v6
	s_delay_alu instid0(VALU_DEP_4) | instskip(SKIP_2) | instid1(VALU_DEP_1)
	v_xor_b32_e32 v2, s0, v2
	ds_load_b32 v41, v46 offset:64
	; wave barrier
	v_bitop3_b32 v1, v1, v2, v3 bitop3:0x80
	v_mbcnt_lo_u32_b32 v42, v1, 0
	v_cmp_ne_u32_e64 s0, 0, v1
	s_delay_alu instid0(VALU_DEP_2) | instskip(SKIP_1) | instid1(SALU_CYCLE_1)
	v_cmp_eq_u32_e32 vcc_lo, 0, v42
	s_and_b32 s1, s0, vcc_lo
	s_and_saveexec_b32 s0, s1
	s_cbranch_execz .LBB2744_109
; %bb.108:
	s_wait_dscnt 0x0
	v_bcnt_u32_b32 v1, v1, v41
	ds_store_b32 v46, v1 offset:64
.LBB2744_109:
	s_or_b32 exec_lo, exec_lo, s0
	v_lshrrev_b32_e32 v1, s16, v24
	; wave barrier
	s_delay_alu instid0(VALU_DEP_1) | instskip(NEXT) | instid1(VALU_DEP_1)
	v_and_b32_e32 v2, s5, v1
	v_lshlrev_b32_e32 v6, 30, v2
	v_bitop3_b32 v1, v1, 1, s5 bitop3:0x80
	s_delay_alu instid0(VALU_DEP_1) | instskip(NEXT) | instid1(VALU_DEP_1)
	v_add_co_u32 v1, s0, v1, -1
	v_cndmask_b32_e64 v4, 0, 1, s0
	s_delay_alu instid0(VALU_DEP_4) | instskip(NEXT) | instid1(VALU_DEP_2)
	v_cmp_gt_i32_e64 s0, 0, v6
	v_cmp_ne_u32_e32 vcc_lo, 0, v4
	v_not_b32_e32 v4, v6
	s_delay_alu instid0(VALU_DEP_1) | instskip(SKIP_3) | instid1(VALU_DEP_4)
	v_dual_ashrrev_i32 v4, 31, v4 :: v_dual_lshlrev_b32 v7, 29, v2
	v_dual_lshlrev_b32 v8, 28, v2 :: v_dual_lshlrev_b32 v9, 27, v2
	v_lshlrev_b32_e32 v44, 26, v2
	v_mul_lo_u32 v3, 0x44, v2
	v_cmp_gt_i32_e64 s1, 0, v7
	v_not_b32_e32 v6, v7
	v_not_b32_e32 v7, v8
	v_cmp_gt_i32_e64 s3, 0, v8
	v_xor_b32_e32 v1, vcc_lo, v1
	s_delay_alu instid0(VALU_DEP_4) | instskip(NEXT) | instid1(VALU_DEP_4)
	v_dual_ashrrev_i32 v6, 31, v6 :: v_dual_bitop2_b32 v4, s0, v4 bitop3:0x14
	v_dual_ashrrev_i32 v7, 31, v7 :: v_dual_lshlrev_b32 v45, 25, v2
	v_lshlrev_b32_e32 v2, 24, v2
	v_not_b32_e32 v8, v9
	v_not_b32_e32 v47, v44
	v_xor_b32_e32 v6, s1, v6
	v_xor_b32_e32 v7, s3, v7
	v_bitop3_b32 v1, v1, v4, exec_lo bitop3:0x80
	v_cmp_gt_i32_e32 vcc_lo, 0, v9
	v_ashrrev_i32_e32 v4, 31, v8
	v_cmp_gt_i32_e64 s0, 0, v44
	v_ashrrev_i32_e32 v8, 31, v47
	v_bitop3_b32 v1, v1, v7, v6 bitop3:0x80
	v_not_b32_e32 v6, v45
	v_not_b32_e32 v7, v2
	v_xor_b32_e32 v4, vcc_lo, v4
	v_xor_b32_e32 v8, s0, v8
	v_cmp_gt_i32_e32 vcc_lo, 0, v45
	v_ashrrev_i32_e32 v6, 31, v6
	v_cmp_gt_i32_e64 s0, 0, v2
	v_ashrrev_i32_e32 v2, 31, v7
	v_add_nc_u32_e32 v49, v0, v3
	v_bitop3_b32 v1, v1, v8, v4 bitop3:0x80
	v_xor_b32_e32 v3, vcc_lo, v6
	s_delay_alu instid0(VALU_DEP_4) | instskip(SKIP_2) | instid1(VALU_DEP_1)
	v_xor_b32_e32 v2, s0, v2
	ds_load_b32 v44, v49 offset:64
	; wave barrier
	v_bitop3_b32 v1, v1, v2, v3 bitop3:0x80
	v_mbcnt_lo_u32_b32 v45, v1, 0
	v_cmp_ne_u32_e64 s0, 0, v1
	s_delay_alu instid0(VALU_DEP_2) | instskip(SKIP_1) | instid1(SALU_CYCLE_1)
	v_cmp_eq_u32_e32 vcc_lo, 0, v45
	s_and_b32 s1, s0, vcc_lo
	s_and_saveexec_b32 s0, s1
	s_cbranch_execz .LBB2744_111
; %bb.110:
	s_wait_dscnt 0x0
	v_bcnt_u32_b32 v1, v1, v44
	ds_store_b32 v49, v1 offset:64
.LBB2744_111:
	s_or_b32 exec_lo, exec_lo, s0
	v_lshrrev_b32_e32 v1, s16, v25
	; wave barrier
	s_delay_alu instid0(VALU_DEP_1) | instskip(NEXT) | instid1(VALU_DEP_1)
	v_and_b32_e32 v2, s5, v1
	v_lshlrev_b32_e32 v6, 30, v2
	v_bitop3_b32 v1, v1, 1, s5 bitop3:0x80
	s_delay_alu instid0(VALU_DEP_1) | instskip(NEXT) | instid1(VALU_DEP_1)
	v_add_co_u32 v1, s0, v1, -1
	v_cndmask_b32_e64 v4, 0, 1, s0
	s_delay_alu instid0(VALU_DEP_4) | instskip(NEXT) | instid1(VALU_DEP_2)
	v_cmp_gt_i32_e64 s0, 0, v6
	v_cmp_ne_u32_e32 vcc_lo, 0, v4
	v_not_b32_e32 v4, v6
	s_delay_alu instid0(VALU_DEP_1) | instskip(SKIP_3) | instid1(VALU_DEP_4)
	v_dual_ashrrev_i32 v4, 31, v4 :: v_dual_lshlrev_b32 v7, 29, v2
	v_dual_lshlrev_b32 v8, 28, v2 :: v_dual_lshlrev_b32 v9, 27, v2
	v_lshlrev_b32_e32 v47, 26, v2
	v_mul_lo_u32 v3, 0x44, v2
	v_cmp_gt_i32_e64 s1, 0, v7
	v_not_b32_e32 v6, v7
	v_not_b32_e32 v7, v8
	v_cmp_gt_i32_e64 s3, 0, v8
	v_xor_b32_e32 v1, vcc_lo, v1
	s_delay_alu instid0(VALU_DEP_4) | instskip(NEXT) | instid1(VALU_DEP_4)
	v_dual_ashrrev_i32 v6, 31, v6 :: v_dual_bitop2_b32 v4, s0, v4 bitop3:0x14
	v_dual_ashrrev_i32 v7, 31, v7 :: v_dual_lshlrev_b32 v48, 25, v2
	v_lshlrev_b32_e32 v2, 24, v2
	v_not_b32_e32 v8, v9
	v_not_b32_e32 v50, v47
	v_xor_b32_e32 v6, s1, v6
	v_xor_b32_e32 v7, s3, v7
	v_bitop3_b32 v1, v1, v4, exec_lo bitop3:0x80
	v_cmp_gt_i32_e32 vcc_lo, 0, v9
	v_ashrrev_i32_e32 v4, 31, v8
	v_cmp_gt_i32_e64 s0, 0, v47
	v_ashrrev_i32_e32 v8, 31, v50
	v_bitop3_b32 v1, v1, v7, v6 bitop3:0x80
	v_not_b32_e32 v6, v48
	v_not_b32_e32 v7, v2
	v_xor_b32_e32 v4, vcc_lo, v4
	v_xor_b32_e32 v8, s0, v8
	v_cmp_gt_i32_e32 vcc_lo, 0, v48
	v_ashrrev_i32_e32 v6, 31, v6
	v_cmp_gt_i32_e64 s0, 0, v2
	v_ashrrev_i32_e32 v2, 31, v7
	v_add_nc_u32_e32 v52, v0, v3
	v_bitop3_b32 v1, v1, v8, v4 bitop3:0x80
	v_xor_b32_e32 v3, vcc_lo, v6
	s_delay_alu instid0(VALU_DEP_4) | instskip(SKIP_2) | instid1(VALU_DEP_1)
	v_xor_b32_e32 v2, s0, v2
	ds_load_b32 v47, v52 offset:64
	; wave barrier
	v_bitop3_b32 v1, v1, v2, v3 bitop3:0x80
	v_mbcnt_lo_u32_b32 v48, v1, 0
	v_cmp_ne_u32_e64 s0, 0, v1
	s_delay_alu instid0(VALU_DEP_2) | instskip(SKIP_1) | instid1(SALU_CYCLE_1)
	v_cmp_eq_u32_e32 vcc_lo, 0, v48
	s_and_b32 s1, s0, vcc_lo
	s_and_saveexec_b32 s0, s1
	s_cbranch_execz .LBB2744_113
; %bb.112:
	s_wait_dscnt 0x0
	v_bcnt_u32_b32 v1, v1, v47
	ds_store_b32 v52, v1 offset:64
.LBB2744_113:
	s_or_b32 exec_lo, exec_lo, s0
	v_lshrrev_b32_e32 v1, s16, v26
	; wave barrier
	s_delay_alu instid0(VALU_DEP_1) | instskip(SKIP_1) | instid1(VALU_DEP_2)
	v_and_b32_e32 v2, s5, v1
	v_bitop3_b32 v1, v1, 1, s5 bitop3:0x80
	v_dual_lshlrev_b32 v6, 30, v2 :: v_dual_lshlrev_b32 v7, 29, v2
	s_delay_alu instid0(VALU_DEP_2) | instskip(NEXT) | instid1(VALU_DEP_1)
	v_add_co_u32 v1, s0, v1, -1
	v_cndmask_b32_e64 v4, 0, 1, s0
	s_delay_alu instid0(VALU_DEP_3) | instskip(NEXT) | instid1(VALU_DEP_4)
	v_cmp_gt_i32_e64 s0, 0, v6
	v_cmp_gt_i32_e64 s1, 0, v7
	s_delay_alu instid0(VALU_DEP_3) | instskip(SKIP_2) | instid1(VALU_DEP_2)
	v_cmp_ne_u32_e32 vcc_lo, 0, v4
	v_not_b32_e32 v4, v6
	v_not_b32_e32 v6, v7
	v_dual_ashrrev_i32 v4, 31, v4 :: v_dual_bitop2_b32 v1, vcc_lo, v1 bitop3:0x14
	s_delay_alu instid0(VALU_DEP_2) | instskip(SKIP_3) | instid1(VALU_DEP_3)
	v_ashrrev_i32_e32 v6, 31, v6
	v_dual_lshlrev_b32 v8, 28, v2 :: v_dual_lshlrev_b32 v9, 27, v2
	v_mul_lo_u32 v3, 0x44, v2
	v_dual_lshlrev_b32 v50, 26, v2 :: v_dual_lshlrev_b32 v51, 25, v2
	v_not_b32_e32 v7, v8
	v_lshlrev_b32_e32 v2, 24, v2
	v_cmp_gt_i32_e64 s3, 0, v8
	v_xor_b32_e32 v4, s0, v4
	v_not_b32_e32 v8, v9
	v_ashrrev_i32_e32 v7, 31, v7
	v_not_b32_e32 v53, v50
	v_xor_b32_e32 v6, s1, v6
	v_bitop3_b32 v1, v1, v4, exec_lo bitop3:0x80
	v_cmp_gt_i32_e32 vcc_lo, 0, v9
	v_dual_ashrrev_i32 v4, 31, v8 :: v_dual_bitop2_b32 v7, s3, v7 bitop3:0x14
	v_cmp_gt_i32_e64 s0, 0, v50
	v_ashrrev_i32_e32 v8, 31, v53
	s_delay_alu instid0(VALU_DEP_3)
	v_bitop3_b32 v1, v1, v7, v6 bitop3:0x80
	v_not_b32_e32 v6, v51
	v_not_b32_e32 v7, v2
	v_xor_b32_e32 v4, vcc_lo, v4
	v_xor_b32_e32 v8, s0, v8
	v_cmp_gt_i32_e32 vcc_lo, 0, v51
	v_ashrrev_i32_e32 v6, 31, v6
	v_cmp_gt_i32_e64 s0, 0, v2
	v_ashrrev_i32_e32 v2, 31, v7
	v_add_nc_u32_e32 v55, v0, v3
	v_bitop3_b32 v1, v1, v8, v4 bitop3:0x80
	v_xor_b32_e32 v3, vcc_lo, v6
	s_delay_alu instid0(VALU_DEP_4) | instskip(SKIP_2) | instid1(VALU_DEP_1)
	v_xor_b32_e32 v2, s0, v2
	ds_load_b32 v50, v55 offset:64
	; wave barrier
	v_bitop3_b32 v1, v1, v2, v3 bitop3:0x80
	v_mbcnt_lo_u32_b32 v51, v1, 0
	v_cmp_ne_u32_e64 s0, 0, v1
	s_delay_alu instid0(VALU_DEP_2) | instskip(SKIP_1) | instid1(SALU_CYCLE_1)
	v_cmp_eq_u32_e32 vcc_lo, 0, v51
	s_and_b32 s1, s0, vcc_lo
	s_and_saveexec_b32 s0, s1
	s_cbranch_execz .LBB2744_115
; %bb.114:
	s_wait_dscnt 0x0
	v_bcnt_u32_b32 v1, v1, v50
	ds_store_b32 v55, v1 offset:64
.LBB2744_115:
	s_or_b32 exec_lo, exec_lo, s0
	v_lshrrev_b32_e32 v1, s16, v27
	; wave barrier
	s_delay_alu instid0(VALU_DEP_1) | instskip(NEXT) | instid1(VALU_DEP_1)
	v_and_b32_e32 v2, s5, v1
	v_lshlrev_b32_e32 v6, 30, v2
	v_bitop3_b32 v1, v1, 1, s5 bitop3:0x80
	s_delay_alu instid0(VALU_DEP_1) | instskip(NEXT) | instid1(VALU_DEP_1)
	v_add_co_u32 v1, s0, v1, -1
	v_cndmask_b32_e64 v4, 0, 1, s0
	s_delay_alu instid0(VALU_DEP_4) | instskip(NEXT) | instid1(VALU_DEP_2)
	v_cmp_gt_i32_e64 s0, 0, v6
	v_cmp_ne_u32_e32 vcc_lo, 0, v4
	v_not_b32_e32 v4, v6
	s_delay_alu instid0(VALU_DEP_1) | instskip(SKIP_3) | instid1(VALU_DEP_4)
	v_dual_ashrrev_i32 v4, 31, v4 :: v_dual_lshlrev_b32 v7, 29, v2
	v_dual_lshlrev_b32 v8, 28, v2 :: v_dual_lshlrev_b32 v9, 27, v2
	v_lshlrev_b32_e32 v53, 26, v2
	v_mul_lo_u32 v3, 0x44, v2
	v_cmp_gt_i32_e64 s1, 0, v7
	v_not_b32_e32 v6, v7
	v_not_b32_e32 v7, v8
	v_cmp_gt_i32_e64 s3, 0, v8
	v_xor_b32_e32 v1, vcc_lo, v1
	s_delay_alu instid0(VALU_DEP_4) | instskip(NEXT) | instid1(VALU_DEP_4)
	v_dual_ashrrev_i32 v6, 31, v6 :: v_dual_bitop2_b32 v4, s0, v4 bitop3:0x14
	v_dual_ashrrev_i32 v7, 31, v7 :: v_dual_lshlrev_b32 v54, 25, v2
	v_lshlrev_b32_e32 v2, 24, v2
	v_not_b32_e32 v8, v9
	v_not_b32_e32 v56, v53
	v_xor_b32_e32 v6, s1, v6
	v_xor_b32_e32 v7, s3, v7
	v_bitop3_b32 v1, v1, v4, exec_lo bitop3:0x80
	v_cmp_gt_i32_e32 vcc_lo, 0, v9
	v_ashrrev_i32_e32 v4, 31, v8
	v_cmp_gt_i32_e64 s0, 0, v53
	v_ashrrev_i32_e32 v8, 31, v56
	v_bitop3_b32 v1, v1, v7, v6 bitop3:0x80
	v_not_b32_e32 v6, v54
	v_not_b32_e32 v7, v2
	v_xor_b32_e32 v4, vcc_lo, v4
	v_xor_b32_e32 v8, s0, v8
	v_cmp_gt_i32_e32 vcc_lo, 0, v54
	v_ashrrev_i32_e32 v6, 31, v6
	v_cmp_gt_i32_e64 s0, 0, v2
	v_ashrrev_i32_e32 v2, 31, v7
	v_add_nc_u32_e32 v58, v0, v3
	v_bitop3_b32 v1, v1, v8, v4 bitop3:0x80
	v_xor_b32_e32 v3, vcc_lo, v6
	s_delay_alu instid0(VALU_DEP_4) | instskip(SKIP_2) | instid1(VALU_DEP_1)
	v_xor_b32_e32 v2, s0, v2
	ds_load_b32 v53, v58 offset:64
	; wave barrier
	v_bitop3_b32 v1, v1, v2, v3 bitop3:0x80
	v_mbcnt_lo_u32_b32 v54, v1, 0
	v_cmp_ne_u32_e64 s0, 0, v1
	s_delay_alu instid0(VALU_DEP_2) | instskip(SKIP_1) | instid1(SALU_CYCLE_1)
	v_cmp_eq_u32_e32 vcc_lo, 0, v54
	s_and_b32 s1, s0, vcc_lo
	s_and_saveexec_b32 s0, s1
	s_cbranch_execz .LBB2744_117
; %bb.116:
	s_wait_dscnt 0x0
	v_bcnt_u32_b32 v1, v1, v53
	ds_store_b32 v58, v1 offset:64
.LBB2744_117:
	s_or_b32 exec_lo, exec_lo, s0
	v_lshrrev_b32_e32 v1, s16, v28
	; wave barrier
	s_delay_alu instid0(VALU_DEP_1) | instskip(NEXT) | instid1(VALU_DEP_1)
	v_and_b32_e32 v2, s5, v1
	v_lshlrev_b32_e32 v6, 30, v2
	v_bitop3_b32 v1, v1, 1, s5 bitop3:0x80
	s_delay_alu instid0(VALU_DEP_1) | instskip(NEXT) | instid1(VALU_DEP_1)
	v_add_co_u32 v1, s0, v1, -1
	v_cndmask_b32_e64 v4, 0, 1, s0
	s_delay_alu instid0(VALU_DEP_4) | instskip(NEXT) | instid1(VALU_DEP_2)
	v_cmp_gt_i32_e64 s0, 0, v6
	v_cmp_ne_u32_e32 vcc_lo, 0, v4
	v_not_b32_e32 v4, v6
	s_delay_alu instid0(VALU_DEP_1) | instskip(SKIP_3) | instid1(VALU_DEP_4)
	v_dual_ashrrev_i32 v4, 31, v4 :: v_dual_lshlrev_b32 v7, 29, v2
	v_dual_lshlrev_b32 v8, 28, v2 :: v_dual_lshlrev_b32 v9, 27, v2
	v_lshlrev_b32_e32 v56, 26, v2
	v_mul_lo_u32 v3, 0x44, v2
	v_cmp_gt_i32_e64 s1, 0, v7
	v_not_b32_e32 v6, v7
	v_not_b32_e32 v7, v8
	v_cmp_gt_i32_e64 s3, 0, v8
	v_xor_b32_e32 v1, vcc_lo, v1
	s_delay_alu instid0(VALU_DEP_4) | instskip(NEXT) | instid1(VALU_DEP_4)
	v_dual_ashrrev_i32 v6, 31, v6 :: v_dual_bitop2_b32 v4, s0, v4 bitop3:0x14
	v_dual_ashrrev_i32 v7, 31, v7 :: v_dual_lshlrev_b32 v57, 25, v2
	v_lshlrev_b32_e32 v2, 24, v2
	v_not_b32_e32 v8, v9
	v_not_b32_e32 v59, v56
	v_xor_b32_e32 v6, s1, v6
	v_xor_b32_e32 v7, s3, v7
	v_bitop3_b32 v1, v1, v4, exec_lo bitop3:0x80
	v_cmp_gt_i32_e32 vcc_lo, 0, v9
	v_ashrrev_i32_e32 v4, 31, v8
	v_cmp_gt_i32_e64 s0, 0, v56
	v_ashrrev_i32_e32 v8, 31, v59
	v_bitop3_b32 v1, v1, v7, v6 bitop3:0x80
	v_not_b32_e32 v6, v57
	v_not_b32_e32 v7, v2
	v_xor_b32_e32 v4, vcc_lo, v4
	v_xor_b32_e32 v8, s0, v8
	v_cmp_gt_i32_e32 vcc_lo, 0, v57
	v_ashrrev_i32_e32 v6, 31, v6
	v_cmp_gt_i32_e64 s0, 0, v2
	v_ashrrev_i32_e32 v2, 31, v7
	v_add_nc_u32_e32 v61, v0, v3
	v_bitop3_b32 v0, v1, v8, v4 bitop3:0x80
	v_xor_b32_e32 v1, vcc_lo, v6
	s_delay_alu instid0(VALU_DEP_4) | instskip(SKIP_2) | instid1(VALU_DEP_1)
	v_xor_b32_e32 v2, s0, v2
	ds_load_b32 v56, v61 offset:64
	; wave barrier
	v_bitop3_b32 v0, v0, v2, v1 bitop3:0x80
	v_mbcnt_lo_u32_b32 v57, v0, 0
	v_cmp_ne_u32_e64 s0, 0, v0
	s_delay_alu instid0(VALU_DEP_2) | instskip(SKIP_1) | instid1(SALU_CYCLE_1)
	v_cmp_eq_u32_e32 vcc_lo, 0, v57
	s_and_b32 s1, s0, vcc_lo
	s_and_saveexec_b32 s0, s1
	s_cbranch_execz .LBB2744_119
; %bb.118:
	s_wait_dscnt 0x0
	v_bcnt_u32_b32 v0, v0, v56
	ds_store_b32 v61, v0 offset:64
.LBB2744_119:
	s_or_b32 exec_lo, exec_lo, s0
	; wave barrier
	s_wait_dscnt 0x0
	s_barrier_signal -1
	s_barrier_wait -1
	ds_load_2addr_b32 v[8:9], v10 offset0:16 offset1:17
	ds_load_2addr_b32 v[6:7], v10 offset0:18 offset1:19
	;; [unrolled: 1-line block ×4, first 2 shown]
	ds_load_b32 v4, v10 offset:96
	v_min_u32_e32 v16, 0x1e0, v16
	s_mov_b32 s6, exec_lo
	s_delay_alu instid0(VALU_DEP_1) | instskip(SKIP_3) | instid1(VALU_DEP_1)
	v_or_b32_e32 v62, 31, v16
	s_wait_dscnt 0x3
	v_add3_u32 v59, v9, v8, v6
	s_wait_dscnt 0x2
	v_add3_u32 v59, v59, v7, v2
	s_wait_dscnt 0x1
	s_delay_alu instid0(VALU_DEP_1) | instskip(SKIP_1) | instid1(VALU_DEP_1)
	v_add3_u32 v59, v59, v3, v0
	s_wait_dscnt 0x0
	v_add3_u32 v4, v59, v1, v4
	v_and_b32_e32 v59, 15, v15
	s_delay_alu instid0(VALU_DEP_2) | instskip(NEXT) | instid1(VALU_DEP_2)
	v_mov_b32_dpp v60, v4 row_shr:1 row_mask:0xf bank_mask:0xf
	v_cmp_eq_u32_e32 vcc_lo, 0, v59
	s_delay_alu instid0(VALU_DEP_2) | instskip(NEXT) | instid1(VALU_DEP_1)
	v_cndmask_b32_e64 v60, v60, 0, vcc_lo
	v_add_nc_u32_e32 v4, v60, v4
	v_cmp_lt_u32_e64 s0, 1, v59
	v_cmp_lt_u32_e64 s1, 3, v59
	;; [unrolled: 1-line block ×3, first 2 shown]
	s_delay_alu instid0(VALU_DEP_4) | instskip(NEXT) | instid1(VALU_DEP_1)
	v_mov_b32_dpp v60, v4 row_shr:2 row_mask:0xf bank_mask:0xf
	v_cndmask_b32_e64 v60, 0, v60, s0
	s_delay_alu instid0(VALU_DEP_1) | instskip(NEXT) | instid1(VALU_DEP_1)
	v_add_nc_u32_e32 v4, v4, v60
	v_mov_b32_dpp v60, v4 row_shr:4 row_mask:0xf bank_mask:0xf
	s_delay_alu instid0(VALU_DEP_1) | instskip(NEXT) | instid1(VALU_DEP_1)
	v_cndmask_b32_e64 v60, 0, v60, s1
	v_add_nc_u32_e32 v4, v4, v60
	s_delay_alu instid0(VALU_DEP_1) | instskip(NEXT) | instid1(VALU_DEP_1)
	v_mov_b32_dpp v60, v4 row_shr:8 row_mask:0xf bank_mask:0xf
	v_cndmask_b32_e64 v59, 0, v60, s3
	v_bfe_i32 v60, v15, 4, 1
	s_delay_alu instid0(VALU_DEP_2) | instskip(SKIP_3) | instid1(VALU_DEP_1)
	v_add_nc_u32_e32 v4, v4, v59
	ds_swizzle_b32 v59, v4 offset:swizzle(BROADCAST,32,15)
	s_wait_dscnt 0x0
	v_dual_lshrrev_b32 v59, 5, v14 :: v_dual_bitop2_b32 v60, v60, v59 bitop3:0x40
	v_add_nc_u32_e32 v16, v4, v60
	v_cmpx_eq_u32_e64 v14, v62
; %bb.120:
	s_delay_alu instid0(VALU_DEP_3)
	v_lshlrev_b32_e32 v4, 2, v59
	ds_store_b32 v4, v16
; %bb.121:
	s_or_b32 exec_lo, exec_lo, s6
	v_lshlrev_b32_e32 v4, 2, v14
	s_mov_b32 s6, exec_lo
	s_wait_dscnt 0x0
	s_barrier_signal -1
	s_barrier_wait -1
	v_cmpx_gt_u32_e32 16, v14
	s_cbranch_execz .LBB2744_123
; %bb.122:
	ds_load_b32 v60, v4
	s_wait_dscnt 0x0
	v_mov_b32_dpp v62, v60 row_shr:1 row_mask:0xf bank_mask:0xf
	s_delay_alu instid0(VALU_DEP_1) | instskip(NEXT) | instid1(VALU_DEP_1)
	v_cndmask_b32_e64 v62, v62, 0, vcc_lo
	v_add_nc_u32_e32 v60, v62, v60
	s_delay_alu instid0(VALU_DEP_1) | instskip(NEXT) | instid1(VALU_DEP_1)
	v_mov_b32_dpp v62, v60 row_shr:2 row_mask:0xf bank_mask:0xf
	v_cndmask_b32_e64 v62, 0, v62, s0
	s_delay_alu instid0(VALU_DEP_1) | instskip(NEXT) | instid1(VALU_DEP_1)
	v_add_nc_u32_e32 v60, v60, v62
	v_mov_b32_dpp v62, v60 row_shr:4 row_mask:0xf bank_mask:0xf
	s_delay_alu instid0(VALU_DEP_1) | instskip(NEXT) | instid1(VALU_DEP_1)
	v_cndmask_b32_e64 v62, 0, v62, s1
	v_add_nc_u32_e32 v60, v60, v62
	s_delay_alu instid0(VALU_DEP_1) | instskip(NEXT) | instid1(VALU_DEP_1)
	v_mov_b32_dpp v62, v60 row_shr:8 row_mask:0xf bank_mask:0xf
	v_cndmask_b32_e64 v62, 0, v62, s3
	s_delay_alu instid0(VALU_DEP_1)
	v_add_nc_u32_e32 v60, v60, v62
	ds_store_b32 v4, v60
.LBB2744_123:
	s_or_b32 exec_lo, exec_lo, s6
	v_mov_b32_e32 v60, 0
	s_mov_b32 s0, exec_lo
	s_wait_dscnt 0x0
	s_barrier_signal -1
	s_barrier_wait -1
	v_cmpx_lt_u32_e32 31, v14
; %bb.124:
	v_lshl_add_u32 v59, v59, 2, -4
	ds_load_b32 v60, v59
; %bb.125:
	s_or_b32 exec_lo, exec_lo, s0
	v_sub_co_u32 v59, vcc_lo, v15, 1
	s_wait_dscnt 0x0
	v_add_nc_u32_e32 v16, v60, v16
	s_delay_alu instid0(VALU_DEP_2) | instskip(NEXT) | instid1(VALU_DEP_1)
	v_cmp_gt_i32_e64 s0, 0, v59
	v_cndmask_b32_e64 v15, v59, v15, s0
	v_cmp_lt_u32_e64 s0, 0xff, v14
	s_delay_alu instid0(VALU_DEP_2) | instskip(SKIP_4) | instid1(VALU_DEP_2)
	v_lshlrev_b32_e32 v15, 2, v15
	ds_bpermute_b32 v15, v15, v16
	s_wait_dscnt 0x0
	v_cndmask_b32_e32 v15, v15, v60, vcc_lo
	v_cmp_gt_u32_e32 vcc_lo, 0x100, v14
	v_cndmask_b32_e64 v15, v15, 0, s2
	s_delay_alu instid0(VALU_DEP_1) | instskip(NEXT) | instid1(VALU_DEP_1)
	v_add_nc_u32_e32 v8, v15, v8
	v_add_nc_u32_e32 v9, v8, v9
	s_delay_alu instid0(VALU_DEP_1) | instskip(NEXT) | instid1(VALU_DEP_1)
	v_add_nc_u32_e32 v6, v9, v6
	v_add_nc_u32_e32 v7, v6, v7
	;; [unrolled: 3-line block ×4, first 2 shown]
	ds_store_2addr_b32 v10, v15, v8 offset0:16 offset1:17
	ds_store_2addr_b32 v10, v9, v6 offset0:18 offset1:19
	;; [unrolled: 1-line block ×4, first 2 shown]
	ds_store_b32 v10, v1 offset:96
	s_wait_dscnt 0x0
	s_barrier_signal -1
	s_barrier_wait -1
	ds_load_b32 v59, v12 offset:64
	ds_load_b32 v60, v13 offset:64
	;; [unrolled: 1-line block ×12, first 2 shown]
	v_mov_b64_e32 v[0:1], 0
                                        ; implicit-def: $vgpr2
	s_and_saveexec_b32 s2, vcc_lo
	s_cbranch_execz .LBB2744_129
; %bb.126:
	v_mul_u32_u24_e32 v0, 0x44, v14
	v_dual_mov_b32 v1, 0x1800 :: v_dual_add_nc_u32 v2, 1, v14
	s_mov_b32 s3, exec_lo
	ds_load_b32 v0, v0 offset:64
	v_cmpx_ne_u32_e32 0x100, v2
; %bb.127:
	v_mul_u32_u24_e32 v1, 0x44, v2
	ds_load_b32 v1, v1 offset:64
; %bb.128:
	s_or_b32 exec_lo, exec_lo, s3
	s_wait_dscnt 0x0
	v_dual_mov_b32 v1, 0 :: v_dual_sub_nc_u32 v2, v1, v0
.LBB2744_129:
	s_or_b32 exec_lo, exec_lo, s2
	v_dual_mov_b32 v7, 0 :: v_dual_lshlrev_b32 v3, 3, v14
	s_wait_dscnt 0x0
	s_barrier_signal -1
	s_barrier_wait -1
	s_and_saveexec_b32 s1, vcc_lo
	s_cbranch_execz .LBB2744_139
; %bb.130:
	v_lshl_add_u32 v6, s19, 8, v14
	v_dual_mov_b32 v10, 0 :: v_dual_bitop2_b32 v11, 2.0, v2 bitop3:0x54
	s_mov_b32 s2, 0
	s_mov_b32 s3, s19
	s_delay_alu instid0(VALU_DEP_2)
	v_lshl_add_u64 v[8:9], v[6:7], 2, s[20:21]
	global_store_b32 v6, v11, s[20:21] scale_offset scope:SCOPE_DEV
                                        ; implicit-def: $sgpr4
	s_branch .LBB2744_133
.LBB2744_131:                           ;   in Loop: Header=BB2744_133 Depth=1
	s_or_b32 exec_lo, exec_lo, s6
.LBB2744_132:                           ;   in Loop: Header=BB2744_133 Depth=1
	s_delay_alu instid0(SALU_CYCLE_1) | instskip(SKIP_2) | instid1(VALU_DEP_2)
	s_or_b32 exec_lo, exec_lo, s4
	v_and_b32_e32 v6, 0x3fffffff, v11
	v_cmp_gt_i32_e64 s4, -2.0, v11
	v_add_nc_u32_e32 v10, v6, v10
	s_and_b32 s6, exec_lo, s4
	s_delay_alu instid0(SALU_CYCLE_1) | instskip(NEXT) | instid1(SALU_CYCLE_1)
	s_or_b32 s2, s6, s2
	s_and_not1_b32 exec_lo, exec_lo, s2
	s_cbranch_execz .LBB2744_138
.LBB2744_133:                           ; =>This Loop Header: Depth=1
                                        ;     Child Loop BB2744_136 Depth 2
	s_or_b32 s4, s4, exec_lo
	s_cmp_eq_u32 s3, 0
	s_cbranch_scc1 .LBB2744_137
; %bb.134:                              ;   in Loop: Header=BB2744_133 Depth=1
	s_add_co_i32 s3, s3, -1
	s_mov_b32 s4, exec_lo
	s_wait_xcnt 0x0
	v_lshl_or_b32 v6, s3, 8, v14
	global_load_b32 v11, v6, s[20:21] scale_offset scope:SCOPE_DEV
	s_wait_loadcnt 0x0
	v_cmpx_gt_u32_e32 2.0, v11
	s_cbranch_execz .LBB2744_132
; %bb.135:                              ;   in Loop: Header=BB2744_133 Depth=1
	v_lshl_add_u64 v[12:13], v[6:7], 2, s[20:21]
	s_mov_b32 s6, 0
.LBB2744_136:                           ;   Parent Loop BB2744_133 Depth=1
                                        ; =>  This Inner Loop Header: Depth=2
	global_load_b32 v11, v[12:13], off scope:SCOPE_DEV
	s_wait_loadcnt 0x0
	v_cmp_lt_u32_e32 vcc_lo, 0x3fffffff, v11
	s_or_b32 s6, vcc_lo, s6
	s_wait_xcnt 0x0
	s_and_not1_b32 exec_lo, exec_lo, s6
	s_cbranch_execnz .LBB2744_136
	s_branch .LBB2744_131
.LBB2744_137:                           ;   in Loop: Header=BB2744_133 Depth=1
                                        ; implicit-def: $sgpr3
	s_and_b32 s6, exec_lo, s4
	s_delay_alu instid0(SALU_CYCLE_1)
	s_or_b32 s2, s6, s2
	s_wait_xcnt 0x0
	s_and_not1_b32 exec_lo, exec_lo, s2
	s_cbranch_execnz .LBB2744_133
.LBB2744_138:
	s_or_b32 exec_lo, exec_lo, s2
	v_dual_mov_b32 v11, 0 :: v_dual_add_nc_u32 v6, v10, v2
	s_delay_alu instid0(VALU_DEP_1) | instskip(SKIP_4) | instid1(VALU_DEP_1)
	v_or_b32_e32 v6, 0x80000000, v6
	global_store_b32 v[8:9], v6, off scope:SCOPE_DEV
	global_load_b64 v[6:7], v14, s[8:9] scale_offset
	v_sub_nc_u64_e32 v[8:9], v[10:11], v[0:1]
	s_wait_loadcnt 0x0
	v_add_nc_u64_e32 v[6:7], v[8:9], v[6:7]
	ds_store_b64 v3, v[6:7]
.LBB2744_139:
	s_wait_xcnt 0x0
	s_or_b32 exec_lo, exec_lo, s1
	v_dual_add_nc_u32 v6, v62, v5 :: v_dual_sub_nc_u32 v58, 0, v4
	v_mov_b32_e32 v5, 0
	v_add3_u32 v29, v30, v59, v29
	v_add3_u32 v7, v57, v55, v56
	v_add3_u32 v8, v54, v52, v53
	v_add_nc_u32_e32 v30, v3, v58
	v_add_nc_u64_e32 v[4:5], s[14:15], v[4:5]
	v_add3_u32 v9, v51, v49, v50
	v_add3_u32 v10, v48, v46, v47
	;; [unrolled: 1-line block ×6, first 2 shown]
	v_add_nc_u64_e32 v[4:5], 0x2000, v[4:5]
	v_add3_u32 v16, v34, v16, v33
	v_add3_u32 v31, v32, v60, v31
	v_mov_b32_e32 v32, v14
	s_mov_b32 s1, 0
	s_mov_b32 s2, -1
	s_branch .LBB2744_141
.LBB2744_140:                           ;   in Loop: Header=BB2744_141 Depth=1
	s_wait_xcnt 0x0
	s_or_b32 exec_lo, exec_lo, s3
	v_add_nc_u64_e32 v[4:5], 0x4000, v[4:5]
	v_add_nc_u32_e32 v32, 0x1000, v32
	s_xor_b32 s2, s2, -1
	s_addk_co_i32 s1, 0xf000
	s_and_b32 vcc_lo, exec_lo, s2
	s_mov_b32 s2, 0
	s_wait_storecnt 0x0
	s_barrier_signal -1
	s_barrier_wait -1
	s_cbranch_vccnz .LBB2744_151
.LBB2744_141:                           ; =>This Inner Loop Header: Depth=1
	v_add_min_u32_e64 v33, v6, s1, 0x1000
	v_add_min_u32_e64 v34, v29, s1, 0x1000
	;; [unrolled: 1-line block ×5, first 2 shown]
	s_delay_alu instid0(VALU_DEP_4)
	v_dual_lshlrev_b32 v33, 2, v33 :: v_dual_lshlrev_b32 v34, 2, v34
	v_add_min_u32_e64 v38, v13, s1, 0x1000
	v_add_min_u32_e64 v39, v12, s1, 0x1000
	s_mov_b32 s3, exec_lo
	ds_store_b32 v33, v17 offset:2048
	ds_store_b32 v34, v18 offset:2048
	v_dual_lshlrev_b32 v33, 2, v35 :: v_dual_lshlrev_b32 v34, 2, v36
	v_dual_lshlrev_b32 v35, 2, v37 :: v_dual_lshlrev_b32 v36, 2, v38
	v_lshlrev_b32_e32 v37, 2, v39
	ds_store_b32 v33, v19 offset:2048
	ds_store_b32 v34, v20 offset:2048
	;; [unrolled: 1-line block ×5, first 2 shown]
	v_add_min_u32_e64 v33, v11, s1, 0x1000
	v_add_min_u32_e64 v34, v10, s1, 0x1000
	;; [unrolled: 1-line block ×5, first 2 shown]
	s_delay_alu instid0(VALU_DEP_4) | instskip(NEXT) | instid1(VALU_DEP_3)
	v_dual_lshlrev_b32 v33, 2, v33 :: v_dual_lshlrev_b32 v34, 2, v34
	v_dual_lshlrev_b32 v35, 2, v35 :: v_dual_lshlrev_b32 v36, 2, v36
	s_delay_alu instid0(VALU_DEP_3)
	v_lshlrev_b32_e32 v37, 2, v37
	ds_store_b32 v33, v24 offset:2048
	ds_store_b32 v34, v25 offset:2048
	;; [unrolled: 1-line block ×5, first 2 shown]
	s_wait_storecnt_dscnt 0x0
	s_barrier_signal -1
	s_barrier_wait -1
	ds_load_2addr_stride64_b32 v[34:35], v30 offset0:8 offset1:16
	s_wait_dscnt 0x0
	v_dual_lshrrev_b32 v33, s16, v35 :: v_dual_lshrrev_b32 v38, s16, v34
	s_delay_alu instid0(VALU_DEP_1) | instskip(NEXT) | instid1(VALU_DEP_1)
	v_and_b32_e32 v38, s5, v38
	v_dual_lshlrev_b32 v38, 3, v38 :: v_dual_bitop2_b32 v33, s5, v33 bitop3:0x40
	s_delay_alu instid0(VALU_DEP_1)
	v_lshlrev_b32_e32 v33, 3, v33
	ds_load_b64 v[36:37], v33
	ds_load_b32 v33, v30 offset:6144
	s_wait_dscnt 0x1
	v_lshl_add_u64 v[36:37], v[36:37], 2, v[4:5]
	s_wait_dscnt 0x0
	v_lshrrev_b32_e32 v39, s16, v33
	s_delay_alu instid0(VALU_DEP_1) | instskip(NEXT) | instid1(VALU_DEP_1)
	v_and_b32_e32 v39, s5, v39
	v_lshlrev_b32_e32 v40, 3, v39
	ds_load_b64 v[38:39], v38
	ds_load_b64 v[40:41], v40
	s_wait_dscnt 0x1
	v_lshl_add_u64 v[38:39], v[38:39], 2, v[4:5]
	s_wait_dscnt 0x0
	v_lshl_add_u64 v[40:41], v[40:41], 2, v[4:5]
	s_clause 0x2
	global_store_b32 v[38:39], v34, off offset:-8192
	global_store_b32 v[36:37], v35, off offset:-6144
	;; [unrolled: 1-line block ×3, first 2 shown]
	s_wait_xcnt 0x0
	v_cmpx_gt_u32_e32 0x1200, v32
	s_cbranch_execz .LBB2744_143
; %bb.142:                              ;   in Loop: Header=BB2744_141 Depth=1
	ds_load_b32 v33, v30 offset:8192
	s_wait_dscnt 0x0
	v_lshrrev_b32_e32 v34, s16, v33
	s_delay_alu instid0(VALU_DEP_1) | instskip(NEXT) | instid1(VALU_DEP_1)
	v_and_b32_e32 v34, s5, v34
	v_lshlrev_b32_e32 v34, 3, v34
	ds_load_b64 v[34:35], v34
	s_wait_dscnt 0x0
	v_lshl_add_u64 v[34:35], v[34:35], 2, v[4:5]
	global_store_b32 v[34:35], v33, off offset:-2048
.LBB2744_143:                           ;   in Loop: Header=BB2744_141 Depth=1
	s_wait_xcnt 0x0
	s_or_b32 exec_lo, exec_lo, s3
	v_add_nc_u32_e32 v33, 0x800, v32
	s_mov_b32 s3, exec_lo
	s_delay_alu instid0(VALU_DEP_1)
	v_cmpx_gt_u32_e32 0x1800, v33
	s_cbranch_execz .LBB2744_145
; %bb.144:                              ;   in Loop: Header=BB2744_141 Depth=1
	ds_load_b32 v33, v30 offset:10240
	s_wait_dscnt 0x0
	v_lshrrev_b32_e32 v34, s16, v33
	s_delay_alu instid0(VALU_DEP_1) | instskip(NEXT) | instid1(VALU_DEP_1)
	v_and_b32_e32 v34, s5, v34
	v_lshlrev_b32_e32 v34, 3, v34
	ds_load_b64 v[34:35], v34
	s_wait_dscnt 0x0
	v_lshl_add_u64 v[34:35], v[34:35], 2, v[4:5]
	global_store_b32 v[34:35], v33, off
.LBB2744_145:                           ;   in Loop: Header=BB2744_141 Depth=1
	s_wait_xcnt 0x0
	s_or_b32 exec_lo, exec_lo, s3
	s_delay_alu instid0(SALU_CYCLE_1)
	s_mov_b32 s3, exec_lo
	v_cmpx_gt_u32_e32 0xe00, v32
	s_cbranch_execz .LBB2744_147
; %bb.146:                              ;   in Loop: Header=BB2744_141 Depth=1
	ds_load_b32 v33, v30 offset:12288
	s_wait_dscnt 0x0
	v_lshrrev_b32_e32 v34, s16, v33
	s_delay_alu instid0(VALU_DEP_1) | instskip(NEXT) | instid1(VALU_DEP_1)
	v_and_b32_e32 v34, s5, v34
	v_lshlrev_b32_e32 v34, 3, v34
	ds_load_b64 v[34:35], v34
	s_wait_dscnt 0x0
	v_lshl_add_u64 v[34:35], v[34:35], 2, v[4:5]
	global_store_b32 v[34:35], v33, off offset:2048
.LBB2744_147:                           ;   in Loop: Header=BB2744_141 Depth=1
	s_wait_xcnt 0x0
	s_or_b32 exec_lo, exec_lo, s3
	v_add_nc_u32_e32 v33, 0xc00, v32
	s_mov_b32 s3, exec_lo
	s_delay_alu instid0(VALU_DEP_1)
	v_cmpx_gt_u32_e32 0x1800, v33
	s_cbranch_execz .LBB2744_149
; %bb.148:                              ;   in Loop: Header=BB2744_141 Depth=1
	ds_load_b32 v33, v30 offset:14336
	s_wait_dscnt 0x0
	v_lshrrev_b32_e32 v34, s16, v33
	s_delay_alu instid0(VALU_DEP_1) | instskip(NEXT) | instid1(VALU_DEP_1)
	v_and_b32_e32 v34, s5, v34
	v_lshlrev_b32_e32 v34, 3, v34
	ds_load_b64 v[34:35], v34
	s_wait_dscnt 0x0
	v_lshl_add_u64 v[34:35], v[34:35], 2, v[4:5]
	global_store_b32 v[34:35], v33, off offset:4096
.LBB2744_149:                           ;   in Loop: Header=BB2744_141 Depth=1
	s_wait_xcnt 0x0
	s_or_b32 exec_lo, exec_lo, s3
	s_delay_alu instid0(SALU_CYCLE_1)
	s_mov_b32 s3, exec_lo
	v_cmpx_gt_u32_e32 0xa00, v32
	s_cbranch_execz .LBB2744_140
; %bb.150:                              ;   in Loop: Header=BB2744_141 Depth=1
	ds_load_b32 v33, v30 offset:16384
	s_wait_dscnt 0x0
	v_lshrrev_b32_e32 v34, s16, v33
	s_delay_alu instid0(VALU_DEP_1) | instskip(NEXT) | instid1(VALU_DEP_1)
	v_and_b32_e32 v34, s5, v34
	v_lshlrev_b32_e32 v34, 3, v34
	ds_load_b64 v[34:35], v34
	s_wait_dscnt 0x0
	v_lshl_add_u64 v[34:35], v[34:35], 2, v[4:5]
	global_store_b32 v[34:35], v33, off offset:6144
	s_branch .LBB2744_140
.LBB2744_151:
	s_add_co_i32 s12, s12, -1
	s_delay_alu instid0(SALU_CYCLE_1) | instskip(SKIP_2) | instid1(SALU_CYCLE_1)
	s_cmp_eq_u32 s19, s12
	s_cselect_b32 s1, -1, 0
	s_xor_b32 s0, s0, -1
	s_and_b32 s0, s0, s1
	s_delay_alu instid0(SALU_CYCLE_1)
	s_and_saveexec_b32 s1, s0
	s_cbranch_execz .LBB2744_153
; %bb.152:
	ds_load_b64 v[4:5], v3
	v_mov_b32_e32 v3, 0
	s_delay_alu instid0(VALU_DEP_1) | instskip(SKIP_1) | instid1(VALU_DEP_1)
	v_add_nc_u64_e32 v[0:1], v[0:1], v[2:3]
	s_wait_dscnt 0x0
	v_add_nc_u64_e32 v[0:1], v[0:1], v[4:5]
	global_store_b64 v14, v[0:1], s[10:11] scale_offset
.LBB2744_153:
	s_sendmsg sendmsg(MSG_DEALLOC_VGPRS)
	s_endpgm
	.section	.rodata,"a",@progbits
	.p2align	6, 0x0
	.amdhsa_kernel _ZN7rocprim17ROCPRIM_400000_NS6detail17trampoline_kernelINS0_14default_configENS1_35radix_sort_onesweep_config_selectorIjNS0_10empty_typeEEEZZNS1_29radix_sort_onesweep_iterationIS3_Lb0EPKjPjPS5_SB_mNS0_19identity_decomposerENS1_16block_id_wrapperIjLb1EEEEE10hipError_tT1_PNSt15iterator_traitsISG_E10value_typeET2_T3_PNSH_ISM_E10value_typeET4_T5_PSR_SS_PNS1_23onesweep_lookback_stateEbbT6_jjT7_P12ihipStream_tbENKUlT_T0_SG_SL_E_clIS9_SA_SB_SB_EEDaSZ_S10_SG_SL_EUlSZ_E_NS1_11comp_targetILNS1_3genE0ELNS1_11target_archE4294967295ELNS1_3gpuE0ELNS1_3repE0EEENS1_47radix_sort_onesweep_sort_config_static_selectorELNS0_4arch9wavefront6targetE0EEEvSG_
		.amdhsa_group_segment_fixed_size 18504
		.amdhsa_private_segment_fixed_size 0
		.amdhsa_kernarg_size 344
		.amdhsa_user_sgpr_count 2
		.amdhsa_user_sgpr_dispatch_ptr 0
		.amdhsa_user_sgpr_queue_ptr 0
		.amdhsa_user_sgpr_kernarg_segment_ptr 1
		.amdhsa_user_sgpr_dispatch_id 0
		.amdhsa_user_sgpr_kernarg_preload_length 0
		.amdhsa_user_sgpr_kernarg_preload_offset 0
		.amdhsa_user_sgpr_private_segment_size 0
		.amdhsa_wavefront_size32 1
		.amdhsa_uses_dynamic_stack 0
		.amdhsa_enable_private_segment 0
		.amdhsa_system_sgpr_workgroup_id_x 1
		.amdhsa_system_sgpr_workgroup_id_y 0
		.amdhsa_system_sgpr_workgroup_id_z 0
		.amdhsa_system_sgpr_workgroup_info 0
		.amdhsa_system_vgpr_workitem_id 2
		.amdhsa_next_free_vgpr 65
		.amdhsa_next_free_sgpr 29
		.amdhsa_named_barrier_count 0
		.amdhsa_reserve_vcc 1
		.amdhsa_float_round_mode_32 0
		.amdhsa_float_round_mode_16_64 0
		.amdhsa_float_denorm_mode_32 3
		.amdhsa_float_denorm_mode_16_64 3
		.amdhsa_fp16_overflow 0
		.amdhsa_memory_ordered 1
		.amdhsa_forward_progress 1
		.amdhsa_inst_pref_size 120
		.amdhsa_round_robin_scheduling 0
		.amdhsa_exception_fp_ieee_invalid_op 0
		.amdhsa_exception_fp_denorm_src 0
		.amdhsa_exception_fp_ieee_div_zero 0
		.amdhsa_exception_fp_ieee_overflow 0
		.amdhsa_exception_fp_ieee_underflow 0
		.amdhsa_exception_fp_ieee_inexact 0
		.amdhsa_exception_int_div_zero 0
	.end_amdhsa_kernel
	.section	.text._ZN7rocprim17ROCPRIM_400000_NS6detail17trampoline_kernelINS0_14default_configENS1_35radix_sort_onesweep_config_selectorIjNS0_10empty_typeEEEZZNS1_29radix_sort_onesweep_iterationIS3_Lb0EPKjPjPS5_SB_mNS0_19identity_decomposerENS1_16block_id_wrapperIjLb1EEEEE10hipError_tT1_PNSt15iterator_traitsISG_E10value_typeET2_T3_PNSH_ISM_E10value_typeET4_T5_PSR_SS_PNS1_23onesweep_lookback_stateEbbT6_jjT7_P12ihipStream_tbENKUlT_T0_SG_SL_E_clIS9_SA_SB_SB_EEDaSZ_S10_SG_SL_EUlSZ_E_NS1_11comp_targetILNS1_3genE0ELNS1_11target_archE4294967295ELNS1_3gpuE0ELNS1_3repE0EEENS1_47radix_sort_onesweep_sort_config_static_selectorELNS0_4arch9wavefront6targetE0EEEvSG_,"axG",@progbits,_ZN7rocprim17ROCPRIM_400000_NS6detail17trampoline_kernelINS0_14default_configENS1_35radix_sort_onesweep_config_selectorIjNS0_10empty_typeEEEZZNS1_29radix_sort_onesweep_iterationIS3_Lb0EPKjPjPS5_SB_mNS0_19identity_decomposerENS1_16block_id_wrapperIjLb1EEEEE10hipError_tT1_PNSt15iterator_traitsISG_E10value_typeET2_T3_PNSH_ISM_E10value_typeET4_T5_PSR_SS_PNS1_23onesweep_lookback_stateEbbT6_jjT7_P12ihipStream_tbENKUlT_T0_SG_SL_E_clIS9_SA_SB_SB_EEDaSZ_S10_SG_SL_EUlSZ_E_NS1_11comp_targetILNS1_3genE0ELNS1_11target_archE4294967295ELNS1_3gpuE0ELNS1_3repE0EEENS1_47radix_sort_onesweep_sort_config_static_selectorELNS0_4arch9wavefront6targetE0EEEvSG_,comdat
.Lfunc_end2744:
	.size	_ZN7rocprim17ROCPRIM_400000_NS6detail17trampoline_kernelINS0_14default_configENS1_35radix_sort_onesweep_config_selectorIjNS0_10empty_typeEEEZZNS1_29radix_sort_onesweep_iterationIS3_Lb0EPKjPjPS5_SB_mNS0_19identity_decomposerENS1_16block_id_wrapperIjLb1EEEEE10hipError_tT1_PNSt15iterator_traitsISG_E10value_typeET2_T3_PNSH_ISM_E10value_typeET4_T5_PSR_SS_PNS1_23onesweep_lookback_stateEbbT6_jjT7_P12ihipStream_tbENKUlT_T0_SG_SL_E_clIS9_SA_SB_SB_EEDaSZ_S10_SG_SL_EUlSZ_E_NS1_11comp_targetILNS1_3genE0ELNS1_11target_archE4294967295ELNS1_3gpuE0ELNS1_3repE0EEENS1_47radix_sort_onesweep_sort_config_static_selectorELNS0_4arch9wavefront6targetE0EEEvSG_, .Lfunc_end2744-_ZN7rocprim17ROCPRIM_400000_NS6detail17trampoline_kernelINS0_14default_configENS1_35radix_sort_onesweep_config_selectorIjNS0_10empty_typeEEEZZNS1_29radix_sort_onesweep_iterationIS3_Lb0EPKjPjPS5_SB_mNS0_19identity_decomposerENS1_16block_id_wrapperIjLb1EEEEE10hipError_tT1_PNSt15iterator_traitsISG_E10value_typeET2_T3_PNSH_ISM_E10value_typeET4_T5_PSR_SS_PNS1_23onesweep_lookback_stateEbbT6_jjT7_P12ihipStream_tbENKUlT_T0_SG_SL_E_clIS9_SA_SB_SB_EEDaSZ_S10_SG_SL_EUlSZ_E_NS1_11comp_targetILNS1_3genE0ELNS1_11target_archE4294967295ELNS1_3gpuE0ELNS1_3repE0EEENS1_47radix_sort_onesweep_sort_config_static_selectorELNS0_4arch9wavefront6targetE0EEEvSG_
                                        ; -- End function
	.set _ZN7rocprim17ROCPRIM_400000_NS6detail17trampoline_kernelINS0_14default_configENS1_35radix_sort_onesweep_config_selectorIjNS0_10empty_typeEEEZZNS1_29radix_sort_onesweep_iterationIS3_Lb0EPKjPjPS5_SB_mNS0_19identity_decomposerENS1_16block_id_wrapperIjLb1EEEEE10hipError_tT1_PNSt15iterator_traitsISG_E10value_typeET2_T3_PNSH_ISM_E10value_typeET4_T5_PSR_SS_PNS1_23onesweep_lookback_stateEbbT6_jjT7_P12ihipStream_tbENKUlT_T0_SG_SL_E_clIS9_SA_SB_SB_EEDaSZ_S10_SG_SL_EUlSZ_E_NS1_11comp_targetILNS1_3genE0ELNS1_11target_archE4294967295ELNS1_3gpuE0ELNS1_3repE0EEENS1_47radix_sort_onesweep_sort_config_static_selectorELNS0_4arch9wavefront6targetE0EEEvSG_.num_vgpr, 65
	.set _ZN7rocprim17ROCPRIM_400000_NS6detail17trampoline_kernelINS0_14default_configENS1_35radix_sort_onesweep_config_selectorIjNS0_10empty_typeEEEZZNS1_29radix_sort_onesweep_iterationIS3_Lb0EPKjPjPS5_SB_mNS0_19identity_decomposerENS1_16block_id_wrapperIjLb1EEEEE10hipError_tT1_PNSt15iterator_traitsISG_E10value_typeET2_T3_PNSH_ISM_E10value_typeET4_T5_PSR_SS_PNS1_23onesweep_lookback_stateEbbT6_jjT7_P12ihipStream_tbENKUlT_T0_SG_SL_E_clIS9_SA_SB_SB_EEDaSZ_S10_SG_SL_EUlSZ_E_NS1_11comp_targetILNS1_3genE0ELNS1_11target_archE4294967295ELNS1_3gpuE0ELNS1_3repE0EEENS1_47radix_sort_onesweep_sort_config_static_selectorELNS0_4arch9wavefront6targetE0EEEvSG_.num_agpr, 0
	.set _ZN7rocprim17ROCPRIM_400000_NS6detail17trampoline_kernelINS0_14default_configENS1_35radix_sort_onesweep_config_selectorIjNS0_10empty_typeEEEZZNS1_29radix_sort_onesweep_iterationIS3_Lb0EPKjPjPS5_SB_mNS0_19identity_decomposerENS1_16block_id_wrapperIjLb1EEEEE10hipError_tT1_PNSt15iterator_traitsISG_E10value_typeET2_T3_PNSH_ISM_E10value_typeET4_T5_PSR_SS_PNS1_23onesweep_lookback_stateEbbT6_jjT7_P12ihipStream_tbENKUlT_T0_SG_SL_E_clIS9_SA_SB_SB_EEDaSZ_S10_SG_SL_EUlSZ_E_NS1_11comp_targetILNS1_3genE0ELNS1_11target_archE4294967295ELNS1_3gpuE0ELNS1_3repE0EEENS1_47radix_sort_onesweep_sort_config_static_selectorELNS0_4arch9wavefront6targetE0EEEvSG_.numbered_sgpr, 29
	.set _ZN7rocprim17ROCPRIM_400000_NS6detail17trampoline_kernelINS0_14default_configENS1_35radix_sort_onesweep_config_selectorIjNS0_10empty_typeEEEZZNS1_29radix_sort_onesweep_iterationIS3_Lb0EPKjPjPS5_SB_mNS0_19identity_decomposerENS1_16block_id_wrapperIjLb1EEEEE10hipError_tT1_PNSt15iterator_traitsISG_E10value_typeET2_T3_PNSH_ISM_E10value_typeET4_T5_PSR_SS_PNS1_23onesweep_lookback_stateEbbT6_jjT7_P12ihipStream_tbENKUlT_T0_SG_SL_E_clIS9_SA_SB_SB_EEDaSZ_S10_SG_SL_EUlSZ_E_NS1_11comp_targetILNS1_3genE0ELNS1_11target_archE4294967295ELNS1_3gpuE0ELNS1_3repE0EEENS1_47radix_sort_onesweep_sort_config_static_selectorELNS0_4arch9wavefront6targetE0EEEvSG_.num_named_barrier, 0
	.set _ZN7rocprim17ROCPRIM_400000_NS6detail17trampoline_kernelINS0_14default_configENS1_35radix_sort_onesweep_config_selectorIjNS0_10empty_typeEEEZZNS1_29radix_sort_onesweep_iterationIS3_Lb0EPKjPjPS5_SB_mNS0_19identity_decomposerENS1_16block_id_wrapperIjLb1EEEEE10hipError_tT1_PNSt15iterator_traitsISG_E10value_typeET2_T3_PNSH_ISM_E10value_typeET4_T5_PSR_SS_PNS1_23onesweep_lookback_stateEbbT6_jjT7_P12ihipStream_tbENKUlT_T0_SG_SL_E_clIS9_SA_SB_SB_EEDaSZ_S10_SG_SL_EUlSZ_E_NS1_11comp_targetILNS1_3genE0ELNS1_11target_archE4294967295ELNS1_3gpuE0ELNS1_3repE0EEENS1_47radix_sort_onesweep_sort_config_static_selectorELNS0_4arch9wavefront6targetE0EEEvSG_.private_seg_size, 0
	.set _ZN7rocprim17ROCPRIM_400000_NS6detail17trampoline_kernelINS0_14default_configENS1_35radix_sort_onesweep_config_selectorIjNS0_10empty_typeEEEZZNS1_29radix_sort_onesweep_iterationIS3_Lb0EPKjPjPS5_SB_mNS0_19identity_decomposerENS1_16block_id_wrapperIjLb1EEEEE10hipError_tT1_PNSt15iterator_traitsISG_E10value_typeET2_T3_PNSH_ISM_E10value_typeET4_T5_PSR_SS_PNS1_23onesweep_lookback_stateEbbT6_jjT7_P12ihipStream_tbENKUlT_T0_SG_SL_E_clIS9_SA_SB_SB_EEDaSZ_S10_SG_SL_EUlSZ_E_NS1_11comp_targetILNS1_3genE0ELNS1_11target_archE4294967295ELNS1_3gpuE0ELNS1_3repE0EEENS1_47radix_sort_onesweep_sort_config_static_selectorELNS0_4arch9wavefront6targetE0EEEvSG_.uses_vcc, 1
	.set _ZN7rocprim17ROCPRIM_400000_NS6detail17trampoline_kernelINS0_14default_configENS1_35radix_sort_onesweep_config_selectorIjNS0_10empty_typeEEEZZNS1_29radix_sort_onesweep_iterationIS3_Lb0EPKjPjPS5_SB_mNS0_19identity_decomposerENS1_16block_id_wrapperIjLb1EEEEE10hipError_tT1_PNSt15iterator_traitsISG_E10value_typeET2_T3_PNSH_ISM_E10value_typeET4_T5_PSR_SS_PNS1_23onesweep_lookback_stateEbbT6_jjT7_P12ihipStream_tbENKUlT_T0_SG_SL_E_clIS9_SA_SB_SB_EEDaSZ_S10_SG_SL_EUlSZ_E_NS1_11comp_targetILNS1_3genE0ELNS1_11target_archE4294967295ELNS1_3gpuE0ELNS1_3repE0EEENS1_47radix_sort_onesweep_sort_config_static_selectorELNS0_4arch9wavefront6targetE0EEEvSG_.uses_flat_scratch, 0
	.set _ZN7rocprim17ROCPRIM_400000_NS6detail17trampoline_kernelINS0_14default_configENS1_35radix_sort_onesweep_config_selectorIjNS0_10empty_typeEEEZZNS1_29radix_sort_onesweep_iterationIS3_Lb0EPKjPjPS5_SB_mNS0_19identity_decomposerENS1_16block_id_wrapperIjLb1EEEEE10hipError_tT1_PNSt15iterator_traitsISG_E10value_typeET2_T3_PNSH_ISM_E10value_typeET4_T5_PSR_SS_PNS1_23onesweep_lookback_stateEbbT6_jjT7_P12ihipStream_tbENKUlT_T0_SG_SL_E_clIS9_SA_SB_SB_EEDaSZ_S10_SG_SL_EUlSZ_E_NS1_11comp_targetILNS1_3genE0ELNS1_11target_archE4294967295ELNS1_3gpuE0ELNS1_3repE0EEENS1_47radix_sort_onesweep_sort_config_static_selectorELNS0_4arch9wavefront6targetE0EEEvSG_.has_dyn_sized_stack, 0
	.set _ZN7rocprim17ROCPRIM_400000_NS6detail17trampoline_kernelINS0_14default_configENS1_35radix_sort_onesweep_config_selectorIjNS0_10empty_typeEEEZZNS1_29radix_sort_onesweep_iterationIS3_Lb0EPKjPjPS5_SB_mNS0_19identity_decomposerENS1_16block_id_wrapperIjLb1EEEEE10hipError_tT1_PNSt15iterator_traitsISG_E10value_typeET2_T3_PNSH_ISM_E10value_typeET4_T5_PSR_SS_PNS1_23onesweep_lookback_stateEbbT6_jjT7_P12ihipStream_tbENKUlT_T0_SG_SL_E_clIS9_SA_SB_SB_EEDaSZ_S10_SG_SL_EUlSZ_E_NS1_11comp_targetILNS1_3genE0ELNS1_11target_archE4294967295ELNS1_3gpuE0ELNS1_3repE0EEENS1_47radix_sort_onesweep_sort_config_static_selectorELNS0_4arch9wavefront6targetE0EEEvSG_.has_recursion, 0
	.set _ZN7rocprim17ROCPRIM_400000_NS6detail17trampoline_kernelINS0_14default_configENS1_35radix_sort_onesweep_config_selectorIjNS0_10empty_typeEEEZZNS1_29radix_sort_onesweep_iterationIS3_Lb0EPKjPjPS5_SB_mNS0_19identity_decomposerENS1_16block_id_wrapperIjLb1EEEEE10hipError_tT1_PNSt15iterator_traitsISG_E10value_typeET2_T3_PNSH_ISM_E10value_typeET4_T5_PSR_SS_PNS1_23onesweep_lookback_stateEbbT6_jjT7_P12ihipStream_tbENKUlT_T0_SG_SL_E_clIS9_SA_SB_SB_EEDaSZ_S10_SG_SL_EUlSZ_E_NS1_11comp_targetILNS1_3genE0ELNS1_11target_archE4294967295ELNS1_3gpuE0ELNS1_3repE0EEENS1_47radix_sort_onesweep_sort_config_static_selectorELNS0_4arch9wavefront6targetE0EEEvSG_.has_indirect_call, 0
	.section	.AMDGPU.csdata,"",@progbits
; Kernel info:
; codeLenInByte = 15328
; TotalNumSgprs: 31
; NumVgprs: 65
; ScratchSize: 0
; MemoryBound: 0
; FloatMode: 240
; IeeeMode: 1
; LDSByteSize: 18504 bytes/workgroup (compile time only)
; SGPRBlocks: 0
; VGPRBlocks: 4
; NumSGPRsForWavesPerEU: 31
; NumVGPRsForWavesPerEU: 65
; NamedBarCnt: 0
; Occupancy: 12
; WaveLimiterHint : 1
; COMPUTE_PGM_RSRC2:SCRATCH_EN: 0
; COMPUTE_PGM_RSRC2:USER_SGPR: 2
; COMPUTE_PGM_RSRC2:TRAP_HANDLER: 0
; COMPUTE_PGM_RSRC2:TGID_X_EN: 1
; COMPUTE_PGM_RSRC2:TGID_Y_EN: 0
; COMPUTE_PGM_RSRC2:TGID_Z_EN: 0
; COMPUTE_PGM_RSRC2:TIDIG_COMP_CNT: 2
	.section	.text._ZN7rocprim17ROCPRIM_400000_NS6detail17trampoline_kernelINS0_14default_configENS1_35radix_sort_onesweep_config_selectorIjNS0_10empty_typeEEEZZNS1_29radix_sort_onesweep_iterationIS3_Lb0EPKjPjPS5_SB_mNS0_19identity_decomposerENS1_16block_id_wrapperIjLb1EEEEE10hipError_tT1_PNSt15iterator_traitsISG_E10value_typeET2_T3_PNSH_ISM_E10value_typeET4_T5_PSR_SS_PNS1_23onesweep_lookback_stateEbbT6_jjT7_P12ihipStream_tbENKUlT_T0_SG_SL_E_clIS9_SA_SB_SB_EEDaSZ_S10_SG_SL_EUlSZ_E_NS1_11comp_targetILNS1_3genE6ELNS1_11target_archE950ELNS1_3gpuE13ELNS1_3repE0EEENS1_47radix_sort_onesweep_sort_config_static_selectorELNS0_4arch9wavefront6targetE0EEEvSG_,"axG",@progbits,_ZN7rocprim17ROCPRIM_400000_NS6detail17trampoline_kernelINS0_14default_configENS1_35radix_sort_onesweep_config_selectorIjNS0_10empty_typeEEEZZNS1_29radix_sort_onesweep_iterationIS3_Lb0EPKjPjPS5_SB_mNS0_19identity_decomposerENS1_16block_id_wrapperIjLb1EEEEE10hipError_tT1_PNSt15iterator_traitsISG_E10value_typeET2_T3_PNSH_ISM_E10value_typeET4_T5_PSR_SS_PNS1_23onesweep_lookback_stateEbbT6_jjT7_P12ihipStream_tbENKUlT_T0_SG_SL_E_clIS9_SA_SB_SB_EEDaSZ_S10_SG_SL_EUlSZ_E_NS1_11comp_targetILNS1_3genE6ELNS1_11target_archE950ELNS1_3gpuE13ELNS1_3repE0EEENS1_47radix_sort_onesweep_sort_config_static_selectorELNS0_4arch9wavefront6targetE0EEEvSG_,comdat
	.protected	_ZN7rocprim17ROCPRIM_400000_NS6detail17trampoline_kernelINS0_14default_configENS1_35radix_sort_onesweep_config_selectorIjNS0_10empty_typeEEEZZNS1_29radix_sort_onesweep_iterationIS3_Lb0EPKjPjPS5_SB_mNS0_19identity_decomposerENS1_16block_id_wrapperIjLb1EEEEE10hipError_tT1_PNSt15iterator_traitsISG_E10value_typeET2_T3_PNSH_ISM_E10value_typeET4_T5_PSR_SS_PNS1_23onesweep_lookback_stateEbbT6_jjT7_P12ihipStream_tbENKUlT_T0_SG_SL_E_clIS9_SA_SB_SB_EEDaSZ_S10_SG_SL_EUlSZ_E_NS1_11comp_targetILNS1_3genE6ELNS1_11target_archE950ELNS1_3gpuE13ELNS1_3repE0EEENS1_47radix_sort_onesweep_sort_config_static_selectorELNS0_4arch9wavefront6targetE0EEEvSG_ ; -- Begin function _ZN7rocprim17ROCPRIM_400000_NS6detail17trampoline_kernelINS0_14default_configENS1_35radix_sort_onesweep_config_selectorIjNS0_10empty_typeEEEZZNS1_29radix_sort_onesweep_iterationIS3_Lb0EPKjPjPS5_SB_mNS0_19identity_decomposerENS1_16block_id_wrapperIjLb1EEEEE10hipError_tT1_PNSt15iterator_traitsISG_E10value_typeET2_T3_PNSH_ISM_E10value_typeET4_T5_PSR_SS_PNS1_23onesweep_lookback_stateEbbT6_jjT7_P12ihipStream_tbENKUlT_T0_SG_SL_E_clIS9_SA_SB_SB_EEDaSZ_S10_SG_SL_EUlSZ_E_NS1_11comp_targetILNS1_3genE6ELNS1_11target_archE950ELNS1_3gpuE13ELNS1_3repE0EEENS1_47radix_sort_onesweep_sort_config_static_selectorELNS0_4arch9wavefront6targetE0EEEvSG_
	.globl	_ZN7rocprim17ROCPRIM_400000_NS6detail17trampoline_kernelINS0_14default_configENS1_35radix_sort_onesweep_config_selectorIjNS0_10empty_typeEEEZZNS1_29radix_sort_onesweep_iterationIS3_Lb0EPKjPjPS5_SB_mNS0_19identity_decomposerENS1_16block_id_wrapperIjLb1EEEEE10hipError_tT1_PNSt15iterator_traitsISG_E10value_typeET2_T3_PNSH_ISM_E10value_typeET4_T5_PSR_SS_PNS1_23onesweep_lookback_stateEbbT6_jjT7_P12ihipStream_tbENKUlT_T0_SG_SL_E_clIS9_SA_SB_SB_EEDaSZ_S10_SG_SL_EUlSZ_E_NS1_11comp_targetILNS1_3genE6ELNS1_11target_archE950ELNS1_3gpuE13ELNS1_3repE0EEENS1_47radix_sort_onesweep_sort_config_static_selectorELNS0_4arch9wavefront6targetE0EEEvSG_
	.p2align	8
	.type	_ZN7rocprim17ROCPRIM_400000_NS6detail17trampoline_kernelINS0_14default_configENS1_35radix_sort_onesweep_config_selectorIjNS0_10empty_typeEEEZZNS1_29radix_sort_onesweep_iterationIS3_Lb0EPKjPjPS5_SB_mNS0_19identity_decomposerENS1_16block_id_wrapperIjLb1EEEEE10hipError_tT1_PNSt15iterator_traitsISG_E10value_typeET2_T3_PNSH_ISM_E10value_typeET4_T5_PSR_SS_PNS1_23onesweep_lookback_stateEbbT6_jjT7_P12ihipStream_tbENKUlT_T0_SG_SL_E_clIS9_SA_SB_SB_EEDaSZ_S10_SG_SL_EUlSZ_E_NS1_11comp_targetILNS1_3genE6ELNS1_11target_archE950ELNS1_3gpuE13ELNS1_3repE0EEENS1_47radix_sort_onesweep_sort_config_static_selectorELNS0_4arch9wavefront6targetE0EEEvSG_,@function
_ZN7rocprim17ROCPRIM_400000_NS6detail17trampoline_kernelINS0_14default_configENS1_35radix_sort_onesweep_config_selectorIjNS0_10empty_typeEEEZZNS1_29radix_sort_onesweep_iterationIS3_Lb0EPKjPjPS5_SB_mNS0_19identity_decomposerENS1_16block_id_wrapperIjLb1EEEEE10hipError_tT1_PNSt15iterator_traitsISG_E10value_typeET2_T3_PNSH_ISM_E10value_typeET4_T5_PSR_SS_PNS1_23onesweep_lookback_stateEbbT6_jjT7_P12ihipStream_tbENKUlT_T0_SG_SL_E_clIS9_SA_SB_SB_EEDaSZ_S10_SG_SL_EUlSZ_E_NS1_11comp_targetILNS1_3genE6ELNS1_11target_archE950ELNS1_3gpuE13ELNS1_3repE0EEENS1_47radix_sort_onesweep_sort_config_static_selectorELNS0_4arch9wavefront6targetE0EEEvSG_: ; @_ZN7rocprim17ROCPRIM_400000_NS6detail17trampoline_kernelINS0_14default_configENS1_35radix_sort_onesweep_config_selectorIjNS0_10empty_typeEEEZZNS1_29radix_sort_onesweep_iterationIS3_Lb0EPKjPjPS5_SB_mNS0_19identity_decomposerENS1_16block_id_wrapperIjLb1EEEEE10hipError_tT1_PNSt15iterator_traitsISG_E10value_typeET2_T3_PNSH_ISM_E10value_typeET4_T5_PSR_SS_PNS1_23onesweep_lookback_stateEbbT6_jjT7_P12ihipStream_tbENKUlT_T0_SG_SL_E_clIS9_SA_SB_SB_EEDaSZ_S10_SG_SL_EUlSZ_E_NS1_11comp_targetILNS1_3genE6ELNS1_11target_archE950ELNS1_3gpuE13ELNS1_3repE0EEENS1_47radix_sort_onesweep_sort_config_static_selectorELNS0_4arch9wavefront6targetE0EEEvSG_
; %bb.0:
	.section	.rodata,"a",@progbits
	.p2align	6, 0x0
	.amdhsa_kernel _ZN7rocprim17ROCPRIM_400000_NS6detail17trampoline_kernelINS0_14default_configENS1_35radix_sort_onesweep_config_selectorIjNS0_10empty_typeEEEZZNS1_29radix_sort_onesweep_iterationIS3_Lb0EPKjPjPS5_SB_mNS0_19identity_decomposerENS1_16block_id_wrapperIjLb1EEEEE10hipError_tT1_PNSt15iterator_traitsISG_E10value_typeET2_T3_PNSH_ISM_E10value_typeET4_T5_PSR_SS_PNS1_23onesweep_lookback_stateEbbT6_jjT7_P12ihipStream_tbENKUlT_T0_SG_SL_E_clIS9_SA_SB_SB_EEDaSZ_S10_SG_SL_EUlSZ_E_NS1_11comp_targetILNS1_3genE6ELNS1_11target_archE950ELNS1_3gpuE13ELNS1_3repE0EEENS1_47radix_sort_onesweep_sort_config_static_selectorELNS0_4arch9wavefront6targetE0EEEvSG_
		.amdhsa_group_segment_fixed_size 0
		.amdhsa_private_segment_fixed_size 0
		.amdhsa_kernarg_size 88
		.amdhsa_user_sgpr_count 2
		.amdhsa_user_sgpr_dispatch_ptr 0
		.amdhsa_user_sgpr_queue_ptr 0
		.amdhsa_user_sgpr_kernarg_segment_ptr 1
		.amdhsa_user_sgpr_dispatch_id 0
		.amdhsa_user_sgpr_kernarg_preload_length 0
		.amdhsa_user_sgpr_kernarg_preload_offset 0
		.amdhsa_user_sgpr_private_segment_size 0
		.amdhsa_wavefront_size32 1
		.amdhsa_uses_dynamic_stack 0
		.amdhsa_enable_private_segment 0
		.amdhsa_system_sgpr_workgroup_id_x 1
		.amdhsa_system_sgpr_workgroup_id_y 0
		.amdhsa_system_sgpr_workgroup_id_z 0
		.amdhsa_system_sgpr_workgroup_info 0
		.amdhsa_system_vgpr_workitem_id 0
		.amdhsa_next_free_vgpr 1
		.amdhsa_next_free_sgpr 1
		.amdhsa_named_barrier_count 0
		.amdhsa_reserve_vcc 0
		.amdhsa_float_round_mode_32 0
		.amdhsa_float_round_mode_16_64 0
		.amdhsa_float_denorm_mode_32 3
		.amdhsa_float_denorm_mode_16_64 3
		.amdhsa_fp16_overflow 0
		.amdhsa_memory_ordered 1
		.amdhsa_forward_progress 1
		.amdhsa_inst_pref_size 0
		.amdhsa_round_robin_scheduling 0
		.amdhsa_exception_fp_ieee_invalid_op 0
		.amdhsa_exception_fp_denorm_src 0
		.amdhsa_exception_fp_ieee_div_zero 0
		.amdhsa_exception_fp_ieee_overflow 0
		.amdhsa_exception_fp_ieee_underflow 0
		.amdhsa_exception_fp_ieee_inexact 0
		.amdhsa_exception_int_div_zero 0
	.end_amdhsa_kernel
	.section	.text._ZN7rocprim17ROCPRIM_400000_NS6detail17trampoline_kernelINS0_14default_configENS1_35radix_sort_onesweep_config_selectorIjNS0_10empty_typeEEEZZNS1_29radix_sort_onesweep_iterationIS3_Lb0EPKjPjPS5_SB_mNS0_19identity_decomposerENS1_16block_id_wrapperIjLb1EEEEE10hipError_tT1_PNSt15iterator_traitsISG_E10value_typeET2_T3_PNSH_ISM_E10value_typeET4_T5_PSR_SS_PNS1_23onesweep_lookback_stateEbbT6_jjT7_P12ihipStream_tbENKUlT_T0_SG_SL_E_clIS9_SA_SB_SB_EEDaSZ_S10_SG_SL_EUlSZ_E_NS1_11comp_targetILNS1_3genE6ELNS1_11target_archE950ELNS1_3gpuE13ELNS1_3repE0EEENS1_47radix_sort_onesweep_sort_config_static_selectorELNS0_4arch9wavefront6targetE0EEEvSG_,"axG",@progbits,_ZN7rocprim17ROCPRIM_400000_NS6detail17trampoline_kernelINS0_14default_configENS1_35radix_sort_onesweep_config_selectorIjNS0_10empty_typeEEEZZNS1_29radix_sort_onesweep_iterationIS3_Lb0EPKjPjPS5_SB_mNS0_19identity_decomposerENS1_16block_id_wrapperIjLb1EEEEE10hipError_tT1_PNSt15iterator_traitsISG_E10value_typeET2_T3_PNSH_ISM_E10value_typeET4_T5_PSR_SS_PNS1_23onesweep_lookback_stateEbbT6_jjT7_P12ihipStream_tbENKUlT_T0_SG_SL_E_clIS9_SA_SB_SB_EEDaSZ_S10_SG_SL_EUlSZ_E_NS1_11comp_targetILNS1_3genE6ELNS1_11target_archE950ELNS1_3gpuE13ELNS1_3repE0EEENS1_47radix_sort_onesweep_sort_config_static_selectorELNS0_4arch9wavefront6targetE0EEEvSG_,comdat
.Lfunc_end2745:
	.size	_ZN7rocprim17ROCPRIM_400000_NS6detail17trampoline_kernelINS0_14default_configENS1_35radix_sort_onesweep_config_selectorIjNS0_10empty_typeEEEZZNS1_29radix_sort_onesweep_iterationIS3_Lb0EPKjPjPS5_SB_mNS0_19identity_decomposerENS1_16block_id_wrapperIjLb1EEEEE10hipError_tT1_PNSt15iterator_traitsISG_E10value_typeET2_T3_PNSH_ISM_E10value_typeET4_T5_PSR_SS_PNS1_23onesweep_lookback_stateEbbT6_jjT7_P12ihipStream_tbENKUlT_T0_SG_SL_E_clIS9_SA_SB_SB_EEDaSZ_S10_SG_SL_EUlSZ_E_NS1_11comp_targetILNS1_3genE6ELNS1_11target_archE950ELNS1_3gpuE13ELNS1_3repE0EEENS1_47radix_sort_onesweep_sort_config_static_selectorELNS0_4arch9wavefront6targetE0EEEvSG_, .Lfunc_end2745-_ZN7rocprim17ROCPRIM_400000_NS6detail17trampoline_kernelINS0_14default_configENS1_35radix_sort_onesweep_config_selectorIjNS0_10empty_typeEEEZZNS1_29radix_sort_onesweep_iterationIS3_Lb0EPKjPjPS5_SB_mNS0_19identity_decomposerENS1_16block_id_wrapperIjLb1EEEEE10hipError_tT1_PNSt15iterator_traitsISG_E10value_typeET2_T3_PNSH_ISM_E10value_typeET4_T5_PSR_SS_PNS1_23onesweep_lookback_stateEbbT6_jjT7_P12ihipStream_tbENKUlT_T0_SG_SL_E_clIS9_SA_SB_SB_EEDaSZ_S10_SG_SL_EUlSZ_E_NS1_11comp_targetILNS1_3genE6ELNS1_11target_archE950ELNS1_3gpuE13ELNS1_3repE0EEENS1_47radix_sort_onesweep_sort_config_static_selectorELNS0_4arch9wavefront6targetE0EEEvSG_
                                        ; -- End function
	.set _ZN7rocprim17ROCPRIM_400000_NS6detail17trampoline_kernelINS0_14default_configENS1_35radix_sort_onesweep_config_selectorIjNS0_10empty_typeEEEZZNS1_29radix_sort_onesweep_iterationIS3_Lb0EPKjPjPS5_SB_mNS0_19identity_decomposerENS1_16block_id_wrapperIjLb1EEEEE10hipError_tT1_PNSt15iterator_traitsISG_E10value_typeET2_T3_PNSH_ISM_E10value_typeET4_T5_PSR_SS_PNS1_23onesweep_lookback_stateEbbT6_jjT7_P12ihipStream_tbENKUlT_T0_SG_SL_E_clIS9_SA_SB_SB_EEDaSZ_S10_SG_SL_EUlSZ_E_NS1_11comp_targetILNS1_3genE6ELNS1_11target_archE950ELNS1_3gpuE13ELNS1_3repE0EEENS1_47radix_sort_onesweep_sort_config_static_selectorELNS0_4arch9wavefront6targetE0EEEvSG_.num_vgpr, 0
	.set _ZN7rocprim17ROCPRIM_400000_NS6detail17trampoline_kernelINS0_14default_configENS1_35radix_sort_onesweep_config_selectorIjNS0_10empty_typeEEEZZNS1_29radix_sort_onesweep_iterationIS3_Lb0EPKjPjPS5_SB_mNS0_19identity_decomposerENS1_16block_id_wrapperIjLb1EEEEE10hipError_tT1_PNSt15iterator_traitsISG_E10value_typeET2_T3_PNSH_ISM_E10value_typeET4_T5_PSR_SS_PNS1_23onesweep_lookback_stateEbbT6_jjT7_P12ihipStream_tbENKUlT_T0_SG_SL_E_clIS9_SA_SB_SB_EEDaSZ_S10_SG_SL_EUlSZ_E_NS1_11comp_targetILNS1_3genE6ELNS1_11target_archE950ELNS1_3gpuE13ELNS1_3repE0EEENS1_47radix_sort_onesweep_sort_config_static_selectorELNS0_4arch9wavefront6targetE0EEEvSG_.num_agpr, 0
	.set _ZN7rocprim17ROCPRIM_400000_NS6detail17trampoline_kernelINS0_14default_configENS1_35radix_sort_onesweep_config_selectorIjNS0_10empty_typeEEEZZNS1_29radix_sort_onesweep_iterationIS3_Lb0EPKjPjPS5_SB_mNS0_19identity_decomposerENS1_16block_id_wrapperIjLb1EEEEE10hipError_tT1_PNSt15iterator_traitsISG_E10value_typeET2_T3_PNSH_ISM_E10value_typeET4_T5_PSR_SS_PNS1_23onesweep_lookback_stateEbbT6_jjT7_P12ihipStream_tbENKUlT_T0_SG_SL_E_clIS9_SA_SB_SB_EEDaSZ_S10_SG_SL_EUlSZ_E_NS1_11comp_targetILNS1_3genE6ELNS1_11target_archE950ELNS1_3gpuE13ELNS1_3repE0EEENS1_47radix_sort_onesweep_sort_config_static_selectorELNS0_4arch9wavefront6targetE0EEEvSG_.numbered_sgpr, 0
	.set _ZN7rocprim17ROCPRIM_400000_NS6detail17trampoline_kernelINS0_14default_configENS1_35radix_sort_onesweep_config_selectorIjNS0_10empty_typeEEEZZNS1_29radix_sort_onesweep_iterationIS3_Lb0EPKjPjPS5_SB_mNS0_19identity_decomposerENS1_16block_id_wrapperIjLb1EEEEE10hipError_tT1_PNSt15iterator_traitsISG_E10value_typeET2_T3_PNSH_ISM_E10value_typeET4_T5_PSR_SS_PNS1_23onesweep_lookback_stateEbbT6_jjT7_P12ihipStream_tbENKUlT_T0_SG_SL_E_clIS9_SA_SB_SB_EEDaSZ_S10_SG_SL_EUlSZ_E_NS1_11comp_targetILNS1_3genE6ELNS1_11target_archE950ELNS1_3gpuE13ELNS1_3repE0EEENS1_47radix_sort_onesweep_sort_config_static_selectorELNS0_4arch9wavefront6targetE0EEEvSG_.num_named_barrier, 0
	.set _ZN7rocprim17ROCPRIM_400000_NS6detail17trampoline_kernelINS0_14default_configENS1_35radix_sort_onesweep_config_selectorIjNS0_10empty_typeEEEZZNS1_29radix_sort_onesweep_iterationIS3_Lb0EPKjPjPS5_SB_mNS0_19identity_decomposerENS1_16block_id_wrapperIjLb1EEEEE10hipError_tT1_PNSt15iterator_traitsISG_E10value_typeET2_T3_PNSH_ISM_E10value_typeET4_T5_PSR_SS_PNS1_23onesweep_lookback_stateEbbT6_jjT7_P12ihipStream_tbENKUlT_T0_SG_SL_E_clIS9_SA_SB_SB_EEDaSZ_S10_SG_SL_EUlSZ_E_NS1_11comp_targetILNS1_3genE6ELNS1_11target_archE950ELNS1_3gpuE13ELNS1_3repE0EEENS1_47radix_sort_onesweep_sort_config_static_selectorELNS0_4arch9wavefront6targetE0EEEvSG_.private_seg_size, 0
	.set _ZN7rocprim17ROCPRIM_400000_NS6detail17trampoline_kernelINS0_14default_configENS1_35radix_sort_onesweep_config_selectorIjNS0_10empty_typeEEEZZNS1_29radix_sort_onesweep_iterationIS3_Lb0EPKjPjPS5_SB_mNS0_19identity_decomposerENS1_16block_id_wrapperIjLb1EEEEE10hipError_tT1_PNSt15iterator_traitsISG_E10value_typeET2_T3_PNSH_ISM_E10value_typeET4_T5_PSR_SS_PNS1_23onesweep_lookback_stateEbbT6_jjT7_P12ihipStream_tbENKUlT_T0_SG_SL_E_clIS9_SA_SB_SB_EEDaSZ_S10_SG_SL_EUlSZ_E_NS1_11comp_targetILNS1_3genE6ELNS1_11target_archE950ELNS1_3gpuE13ELNS1_3repE0EEENS1_47radix_sort_onesweep_sort_config_static_selectorELNS0_4arch9wavefront6targetE0EEEvSG_.uses_vcc, 0
	.set _ZN7rocprim17ROCPRIM_400000_NS6detail17trampoline_kernelINS0_14default_configENS1_35radix_sort_onesweep_config_selectorIjNS0_10empty_typeEEEZZNS1_29radix_sort_onesweep_iterationIS3_Lb0EPKjPjPS5_SB_mNS0_19identity_decomposerENS1_16block_id_wrapperIjLb1EEEEE10hipError_tT1_PNSt15iterator_traitsISG_E10value_typeET2_T3_PNSH_ISM_E10value_typeET4_T5_PSR_SS_PNS1_23onesweep_lookback_stateEbbT6_jjT7_P12ihipStream_tbENKUlT_T0_SG_SL_E_clIS9_SA_SB_SB_EEDaSZ_S10_SG_SL_EUlSZ_E_NS1_11comp_targetILNS1_3genE6ELNS1_11target_archE950ELNS1_3gpuE13ELNS1_3repE0EEENS1_47radix_sort_onesweep_sort_config_static_selectorELNS0_4arch9wavefront6targetE0EEEvSG_.uses_flat_scratch, 0
	.set _ZN7rocprim17ROCPRIM_400000_NS6detail17trampoline_kernelINS0_14default_configENS1_35radix_sort_onesweep_config_selectorIjNS0_10empty_typeEEEZZNS1_29radix_sort_onesweep_iterationIS3_Lb0EPKjPjPS5_SB_mNS0_19identity_decomposerENS1_16block_id_wrapperIjLb1EEEEE10hipError_tT1_PNSt15iterator_traitsISG_E10value_typeET2_T3_PNSH_ISM_E10value_typeET4_T5_PSR_SS_PNS1_23onesweep_lookback_stateEbbT6_jjT7_P12ihipStream_tbENKUlT_T0_SG_SL_E_clIS9_SA_SB_SB_EEDaSZ_S10_SG_SL_EUlSZ_E_NS1_11comp_targetILNS1_3genE6ELNS1_11target_archE950ELNS1_3gpuE13ELNS1_3repE0EEENS1_47radix_sort_onesweep_sort_config_static_selectorELNS0_4arch9wavefront6targetE0EEEvSG_.has_dyn_sized_stack, 0
	.set _ZN7rocprim17ROCPRIM_400000_NS6detail17trampoline_kernelINS0_14default_configENS1_35radix_sort_onesweep_config_selectorIjNS0_10empty_typeEEEZZNS1_29radix_sort_onesweep_iterationIS3_Lb0EPKjPjPS5_SB_mNS0_19identity_decomposerENS1_16block_id_wrapperIjLb1EEEEE10hipError_tT1_PNSt15iterator_traitsISG_E10value_typeET2_T3_PNSH_ISM_E10value_typeET4_T5_PSR_SS_PNS1_23onesweep_lookback_stateEbbT6_jjT7_P12ihipStream_tbENKUlT_T0_SG_SL_E_clIS9_SA_SB_SB_EEDaSZ_S10_SG_SL_EUlSZ_E_NS1_11comp_targetILNS1_3genE6ELNS1_11target_archE950ELNS1_3gpuE13ELNS1_3repE0EEENS1_47radix_sort_onesweep_sort_config_static_selectorELNS0_4arch9wavefront6targetE0EEEvSG_.has_recursion, 0
	.set _ZN7rocprim17ROCPRIM_400000_NS6detail17trampoline_kernelINS0_14default_configENS1_35radix_sort_onesweep_config_selectorIjNS0_10empty_typeEEEZZNS1_29radix_sort_onesweep_iterationIS3_Lb0EPKjPjPS5_SB_mNS0_19identity_decomposerENS1_16block_id_wrapperIjLb1EEEEE10hipError_tT1_PNSt15iterator_traitsISG_E10value_typeET2_T3_PNSH_ISM_E10value_typeET4_T5_PSR_SS_PNS1_23onesweep_lookback_stateEbbT6_jjT7_P12ihipStream_tbENKUlT_T0_SG_SL_E_clIS9_SA_SB_SB_EEDaSZ_S10_SG_SL_EUlSZ_E_NS1_11comp_targetILNS1_3genE6ELNS1_11target_archE950ELNS1_3gpuE13ELNS1_3repE0EEENS1_47radix_sort_onesweep_sort_config_static_selectorELNS0_4arch9wavefront6targetE0EEEvSG_.has_indirect_call, 0
	.section	.AMDGPU.csdata,"",@progbits
; Kernel info:
; codeLenInByte = 0
; TotalNumSgprs: 0
; NumVgprs: 0
; ScratchSize: 0
; MemoryBound: 0
; FloatMode: 240
; IeeeMode: 1
; LDSByteSize: 0 bytes/workgroup (compile time only)
; SGPRBlocks: 0
; VGPRBlocks: 0
; NumSGPRsForWavesPerEU: 1
; NumVGPRsForWavesPerEU: 1
; NamedBarCnt: 0
; Occupancy: 16
; WaveLimiterHint : 0
; COMPUTE_PGM_RSRC2:SCRATCH_EN: 0
; COMPUTE_PGM_RSRC2:USER_SGPR: 2
; COMPUTE_PGM_RSRC2:TRAP_HANDLER: 0
; COMPUTE_PGM_RSRC2:TGID_X_EN: 1
; COMPUTE_PGM_RSRC2:TGID_Y_EN: 0
; COMPUTE_PGM_RSRC2:TGID_Z_EN: 0
; COMPUTE_PGM_RSRC2:TIDIG_COMP_CNT: 0
	.section	.text._ZN7rocprim17ROCPRIM_400000_NS6detail17trampoline_kernelINS0_14default_configENS1_35radix_sort_onesweep_config_selectorIjNS0_10empty_typeEEEZZNS1_29radix_sort_onesweep_iterationIS3_Lb0EPKjPjPS5_SB_mNS0_19identity_decomposerENS1_16block_id_wrapperIjLb1EEEEE10hipError_tT1_PNSt15iterator_traitsISG_E10value_typeET2_T3_PNSH_ISM_E10value_typeET4_T5_PSR_SS_PNS1_23onesweep_lookback_stateEbbT6_jjT7_P12ihipStream_tbENKUlT_T0_SG_SL_E_clIS9_SA_SB_SB_EEDaSZ_S10_SG_SL_EUlSZ_E_NS1_11comp_targetILNS1_3genE5ELNS1_11target_archE942ELNS1_3gpuE9ELNS1_3repE0EEENS1_47radix_sort_onesweep_sort_config_static_selectorELNS0_4arch9wavefront6targetE0EEEvSG_,"axG",@progbits,_ZN7rocprim17ROCPRIM_400000_NS6detail17trampoline_kernelINS0_14default_configENS1_35radix_sort_onesweep_config_selectorIjNS0_10empty_typeEEEZZNS1_29radix_sort_onesweep_iterationIS3_Lb0EPKjPjPS5_SB_mNS0_19identity_decomposerENS1_16block_id_wrapperIjLb1EEEEE10hipError_tT1_PNSt15iterator_traitsISG_E10value_typeET2_T3_PNSH_ISM_E10value_typeET4_T5_PSR_SS_PNS1_23onesweep_lookback_stateEbbT6_jjT7_P12ihipStream_tbENKUlT_T0_SG_SL_E_clIS9_SA_SB_SB_EEDaSZ_S10_SG_SL_EUlSZ_E_NS1_11comp_targetILNS1_3genE5ELNS1_11target_archE942ELNS1_3gpuE9ELNS1_3repE0EEENS1_47radix_sort_onesweep_sort_config_static_selectorELNS0_4arch9wavefront6targetE0EEEvSG_,comdat
	.protected	_ZN7rocprim17ROCPRIM_400000_NS6detail17trampoline_kernelINS0_14default_configENS1_35radix_sort_onesweep_config_selectorIjNS0_10empty_typeEEEZZNS1_29radix_sort_onesweep_iterationIS3_Lb0EPKjPjPS5_SB_mNS0_19identity_decomposerENS1_16block_id_wrapperIjLb1EEEEE10hipError_tT1_PNSt15iterator_traitsISG_E10value_typeET2_T3_PNSH_ISM_E10value_typeET4_T5_PSR_SS_PNS1_23onesweep_lookback_stateEbbT6_jjT7_P12ihipStream_tbENKUlT_T0_SG_SL_E_clIS9_SA_SB_SB_EEDaSZ_S10_SG_SL_EUlSZ_E_NS1_11comp_targetILNS1_3genE5ELNS1_11target_archE942ELNS1_3gpuE9ELNS1_3repE0EEENS1_47radix_sort_onesweep_sort_config_static_selectorELNS0_4arch9wavefront6targetE0EEEvSG_ ; -- Begin function _ZN7rocprim17ROCPRIM_400000_NS6detail17trampoline_kernelINS0_14default_configENS1_35radix_sort_onesweep_config_selectorIjNS0_10empty_typeEEEZZNS1_29radix_sort_onesweep_iterationIS3_Lb0EPKjPjPS5_SB_mNS0_19identity_decomposerENS1_16block_id_wrapperIjLb1EEEEE10hipError_tT1_PNSt15iterator_traitsISG_E10value_typeET2_T3_PNSH_ISM_E10value_typeET4_T5_PSR_SS_PNS1_23onesweep_lookback_stateEbbT6_jjT7_P12ihipStream_tbENKUlT_T0_SG_SL_E_clIS9_SA_SB_SB_EEDaSZ_S10_SG_SL_EUlSZ_E_NS1_11comp_targetILNS1_3genE5ELNS1_11target_archE942ELNS1_3gpuE9ELNS1_3repE0EEENS1_47radix_sort_onesweep_sort_config_static_selectorELNS0_4arch9wavefront6targetE0EEEvSG_
	.globl	_ZN7rocprim17ROCPRIM_400000_NS6detail17trampoline_kernelINS0_14default_configENS1_35radix_sort_onesweep_config_selectorIjNS0_10empty_typeEEEZZNS1_29radix_sort_onesweep_iterationIS3_Lb0EPKjPjPS5_SB_mNS0_19identity_decomposerENS1_16block_id_wrapperIjLb1EEEEE10hipError_tT1_PNSt15iterator_traitsISG_E10value_typeET2_T3_PNSH_ISM_E10value_typeET4_T5_PSR_SS_PNS1_23onesweep_lookback_stateEbbT6_jjT7_P12ihipStream_tbENKUlT_T0_SG_SL_E_clIS9_SA_SB_SB_EEDaSZ_S10_SG_SL_EUlSZ_E_NS1_11comp_targetILNS1_3genE5ELNS1_11target_archE942ELNS1_3gpuE9ELNS1_3repE0EEENS1_47radix_sort_onesweep_sort_config_static_selectorELNS0_4arch9wavefront6targetE0EEEvSG_
	.p2align	8
	.type	_ZN7rocprim17ROCPRIM_400000_NS6detail17trampoline_kernelINS0_14default_configENS1_35radix_sort_onesweep_config_selectorIjNS0_10empty_typeEEEZZNS1_29radix_sort_onesweep_iterationIS3_Lb0EPKjPjPS5_SB_mNS0_19identity_decomposerENS1_16block_id_wrapperIjLb1EEEEE10hipError_tT1_PNSt15iterator_traitsISG_E10value_typeET2_T3_PNSH_ISM_E10value_typeET4_T5_PSR_SS_PNS1_23onesweep_lookback_stateEbbT6_jjT7_P12ihipStream_tbENKUlT_T0_SG_SL_E_clIS9_SA_SB_SB_EEDaSZ_S10_SG_SL_EUlSZ_E_NS1_11comp_targetILNS1_3genE5ELNS1_11target_archE942ELNS1_3gpuE9ELNS1_3repE0EEENS1_47radix_sort_onesweep_sort_config_static_selectorELNS0_4arch9wavefront6targetE0EEEvSG_,@function
_ZN7rocprim17ROCPRIM_400000_NS6detail17trampoline_kernelINS0_14default_configENS1_35radix_sort_onesweep_config_selectorIjNS0_10empty_typeEEEZZNS1_29radix_sort_onesweep_iterationIS3_Lb0EPKjPjPS5_SB_mNS0_19identity_decomposerENS1_16block_id_wrapperIjLb1EEEEE10hipError_tT1_PNSt15iterator_traitsISG_E10value_typeET2_T3_PNSH_ISM_E10value_typeET4_T5_PSR_SS_PNS1_23onesweep_lookback_stateEbbT6_jjT7_P12ihipStream_tbENKUlT_T0_SG_SL_E_clIS9_SA_SB_SB_EEDaSZ_S10_SG_SL_EUlSZ_E_NS1_11comp_targetILNS1_3genE5ELNS1_11target_archE942ELNS1_3gpuE9ELNS1_3repE0EEENS1_47radix_sort_onesweep_sort_config_static_selectorELNS0_4arch9wavefront6targetE0EEEvSG_: ; @_ZN7rocprim17ROCPRIM_400000_NS6detail17trampoline_kernelINS0_14default_configENS1_35radix_sort_onesweep_config_selectorIjNS0_10empty_typeEEEZZNS1_29radix_sort_onesweep_iterationIS3_Lb0EPKjPjPS5_SB_mNS0_19identity_decomposerENS1_16block_id_wrapperIjLb1EEEEE10hipError_tT1_PNSt15iterator_traitsISG_E10value_typeET2_T3_PNSH_ISM_E10value_typeET4_T5_PSR_SS_PNS1_23onesweep_lookback_stateEbbT6_jjT7_P12ihipStream_tbENKUlT_T0_SG_SL_E_clIS9_SA_SB_SB_EEDaSZ_S10_SG_SL_EUlSZ_E_NS1_11comp_targetILNS1_3genE5ELNS1_11target_archE942ELNS1_3gpuE9ELNS1_3repE0EEENS1_47radix_sort_onesweep_sort_config_static_selectorELNS0_4arch9wavefront6targetE0EEEvSG_
; %bb.0:
	.section	.rodata,"a",@progbits
	.p2align	6, 0x0
	.amdhsa_kernel _ZN7rocprim17ROCPRIM_400000_NS6detail17trampoline_kernelINS0_14default_configENS1_35radix_sort_onesweep_config_selectorIjNS0_10empty_typeEEEZZNS1_29radix_sort_onesweep_iterationIS3_Lb0EPKjPjPS5_SB_mNS0_19identity_decomposerENS1_16block_id_wrapperIjLb1EEEEE10hipError_tT1_PNSt15iterator_traitsISG_E10value_typeET2_T3_PNSH_ISM_E10value_typeET4_T5_PSR_SS_PNS1_23onesweep_lookback_stateEbbT6_jjT7_P12ihipStream_tbENKUlT_T0_SG_SL_E_clIS9_SA_SB_SB_EEDaSZ_S10_SG_SL_EUlSZ_E_NS1_11comp_targetILNS1_3genE5ELNS1_11target_archE942ELNS1_3gpuE9ELNS1_3repE0EEENS1_47radix_sort_onesweep_sort_config_static_selectorELNS0_4arch9wavefront6targetE0EEEvSG_
		.amdhsa_group_segment_fixed_size 0
		.amdhsa_private_segment_fixed_size 0
		.amdhsa_kernarg_size 88
		.amdhsa_user_sgpr_count 2
		.amdhsa_user_sgpr_dispatch_ptr 0
		.amdhsa_user_sgpr_queue_ptr 0
		.amdhsa_user_sgpr_kernarg_segment_ptr 1
		.amdhsa_user_sgpr_dispatch_id 0
		.amdhsa_user_sgpr_kernarg_preload_length 0
		.amdhsa_user_sgpr_kernarg_preload_offset 0
		.amdhsa_user_sgpr_private_segment_size 0
		.amdhsa_wavefront_size32 1
		.amdhsa_uses_dynamic_stack 0
		.amdhsa_enable_private_segment 0
		.amdhsa_system_sgpr_workgroup_id_x 1
		.amdhsa_system_sgpr_workgroup_id_y 0
		.amdhsa_system_sgpr_workgroup_id_z 0
		.amdhsa_system_sgpr_workgroup_info 0
		.amdhsa_system_vgpr_workitem_id 0
		.amdhsa_next_free_vgpr 1
		.amdhsa_next_free_sgpr 1
		.amdhsa_named_barrier_count 0
		.amdhsa_reserve_vcc 0
		.amdhsa_float_round_mode_32 0
		.amdhsa_float_round_mode_16_64 0
		.amdhsa_float_denorm_mode_32 3
		.amdhsa_float_denorm_mode_16_64 3
		.amdhsa_fp16_overflow 0
		.amdhsa_memory_ordered 1
		.amdhsa_forward_progress 1
		.amdhsa_inst_pref_size 0
		.amdhsa_round_robin_scheduling 0
		.amdhsa_exception_fp_ieee_invalid_op 0
		.amdhsa_exception_fp_denorm_src 0
		.amdhsa_exception_fp_ieee_div_zero 0
		.amdhsa_exception_fp_ieee_overflow 0
		.amdhsa_exception_fp_ieee_underflow 0
		.amdhsa_exception_fp_ieee_inexact 0
		.amdhsa_exception_int_div_zero 0
	.end_amdhsa_kernel
	.section	.text._ZN7rocprim17ROCPRIM_400000_NS6detail17trampoline_kernelINS0_14default_configENS1_35radix_sort_onesweep_config_selectorIjNS0_10empty_typeEEEZZNS1_29radix_sort_onesweep_iterationIS3_Lb0EPKjPjPS5_SB_mNS0_19identity_decomposerENS1_16block_id_wrapperIjLb1EEEEE10hipError_tT1_PNSt15iterator_traitsISG_E10value_typeET2_T3_PNSH_ISM_E10value_typeET4_T5_PSR_SS_PNS1_23onesweep_lookback_stateEbbT6_jjT7_P12ihipStream_tbENKUlT_T0_SG_SL_E_clIS9_SA_SB_SB_EEDaSZ_S10_SG_SL_EUlSZ_E_NS1_11comp_targetILNS1_3genE5ELNS1_11target_archE942ELNS1_3gpuE9ELNS1_3repE0EEENS1_47radix_sort_onesweep_sort_config_static_selectorELNS0_4arch9wavefront6targetE0EEEvSG_,"axG",@progbits,_ZN7rocprim17ROCPRIM_400000_NS6detail17trampoline_kernelINS0_14default_configENS1_35radix_sort_onesweep_config_selectorIjNS0_10empty_typeEEEZZNS1_29radix_sort_onesweep_iterationIS3_Lb0EPKjPjPS5_SB_mNS0_19identity_decomposerENS1_16block_id_wrapperIjLb1EEEEE10hipError_tT1_PNSt15iterator_traitsISG_E10value_typeET2_T3_PNSH_ISM_E10value_typeET4_T5_PSR_SS_PNS1_23onesweep_lookback_stateEbbT6_jjT7_P12ihipStream_tbENKUlT_T0_SG_SL_E_clIS9_SA_SB_SB_EEDaSZ_S10_SG_SL_EUlSZ_E_NS1_11comp_targetILNS1_3genE5ELNS1_11target_archE942ELNS1_3gpuE9ELNS1_3repE0EEENS1_47radix_sort_onesweep_sort_config_static_selectorELNS0_4arch9wavefront6targetE0EEEvSG_,comdat
.Lfunc_end2746:
	.size	_ZN7rocprim17ROCPRIM_400000_NS6detail17trampoline_kernelINS0_14default_configENS1_35radix_sort_onesweep_config_selectorIjNS0_10empty_typeEEEZZNS1_29radix_sort_onesweep_iterationIS3_Lb0EPKjPjPS5_SB_mNS0_19identity_decomposerENS1_16block_id_wrapperIjLb1EEEEE10hipError_tT1_PNSt15iterator_traitsISG_E10value_typeET2_T3_PNSH_ISM_E10value_typeET4_T5_PSR_SS_PNS1_23onesweep_lookback_stateEbbT6_jjT7_P12ihipStream_tbENKUlT_T0_SG_SL_E_clIS9_SA_SB_SB_EEDaSZ_S10_SG_SL_EUlSZ_E_NS1_11comp_targetILNS1_3genE5ELNS1_11target_archE942ELNS1_3gpuE9ELNS1_3repE0EEENS1_47radix_sort_onesweep_sort_config_static_selectorELNS0_4arch9wavefront6targetE0EEEvSG_, .Lfunc_end2746-_ZN7rocprim17ROCPRIM_400000_NS6detail17trampoline_kernelINS0_14default_configENS1_35radix_sort_onesweep_config_selectorIjNS0_10empty_typeEEEZZNS1_29radix_sort_onesweep_iterationIS3_Lb0EPKjPjPS5_SB_mNS0_19identity_decomposerENS1_16block_id_wrapperIjLb1EEEEE10hipError_tT1_PNSt15iterator_traitsISG_E10value_typeET2_T3_PNSH_ISM_E10value_typeET4_T5_PSR_SS_PNS1_23onesweep_lookback_stateEbbT6_jjT7_P12ihipStream_tbENKUlT_T0_SG_SL_E_clIS9_SA_SB_SB_EEDaSZ_S10_SG_SL_EUlSZ_E_NS1_11comp_targetILNS1_3genE5ELNS1_11target_archE942ELNS1_3gpuE9ELNS1_3repE0EEENS1_47radix_sort_onesweep_sort_config_static_selectorELNS0_4arch9wavefront6targetE0EEEvSG_
                                        ; -- End function
	.set _ZN7rocprim17ROCPRIM_400000_NS6detail17trampoline_kernelINS0_14default_configENS1_35radix_sort_onesweep_config_selectorIjNS0_10empty_typeEEEZZNS1_29radix_sort_onesweep_iterationIS3_Lb0EPKjPjPS5_SB_mNS0_19identity_decomposerENS1_16block_id_wrapperIjLb1EEEEE10hipError_tT1_PNSt15iterator_traitsISG_E10value_typeET2_T3_PNSH_ISM_E10value_typeET4_T5_PSR_SS_PNS1_23onesweep_lookback_stateEbbT6_jjT7_P12ihipStream_tbENKUlT_T0_SG_SL_E_clIS9_SA_SB_SB_EEDaSZ_S10_SG_SL_EUlSZ_E_NS1_11comp_targetILNS1_3genE5ELNS1_11target_archE942ELNS1_3gpuE9ELNS1_3repE0EEENS1_47radix_sort_onesweep_sort_config_static_selectorELNS0_4arch9wavefront6targetE0EEEvSG_.num_vgpr, 0
	.set _ZN7rocprim17ROCPRIM_400000_NS6detail17trampoline_kernelINS0_14default_configENS1_35radix_sort_onesweep_config_selectorIjNS0_10empty_typeEEEZZNS1_29radix_sort_onesweep_iterationIS3_Lb0EPKjPjPS5_SB_mNS0_19identity_decomposerENS1_16block_id_wrapperIjLb1EEEEE10hipError_tT1_PNSt15iterator_traitsISG_E10value_typeET2_T3_PNSH_ISM_E10value_typeET4_T5_PSR_SS_PNS1_23onesweep_lookback_stateEbbT6_jjT7_P12ihipStream_tbENKUlT_T0_SG_SL_E_clIS9_SA_SB_SB_EEDaSZ_S10_SG_SL_EUlSZ_E_NS1_11comp_targetILNS1_3genE5ELNS1_11target_archE942ELNS1_3gpuE9ELNS1_3repE0EEENS1_47radix_sort_onesweep_sort_config_static_selectorELNS0_4arch9wavefront6targetE0EEEvSG_.num_agpr, 0
	.set _ZN7rocprim17ROCPRIM_400000_NS6detail17trampoline_kernelINS0_14default_configENS1_35radix_sort_onesweep_config_selectorIjNS0_10empty_typeEEEZZNS1_29radix_sort_onesweep_iterationIS3_Lb0EPKjPjPS5_SB_mNS0_19identity_decomposerENS1_16block_id_wrapperIjLb1EEEEE10hipError_tT1_PNSt15iterator_traitsISG_E10value_typeET2_T3_PNSH_ISM_E10value_typeET4_T5_PSR_SS_PNS1_23onesweep_lookback_stateEbbT6_jjT7_P12ihipStream_tbENKUlT_T0_SG_SL_E_clIS9_SA_SB_SB_EEDaSZ_S10_SG_SL_EUlSZ_E_NS1_11comp_targetILNS1_3genE5ELNS1_11target_archE942ELNS1_3gpuE9ELNS1_3repE0EEENS1_47radix_sort_onesweep_sort_config_static_selectorELNS0_4arch9wavefront6targetE0EEEvSG_.numbered_sgpr, 0
	.set _ZN7rocprim17ROCPRIM_400000_NS6detail17trampoline_kernelINS0_14default_configENS1_35radix_sort_onesweep_config_selectorIjNS0_10empty_typeEEEZZNS1_29radix_sort_onesweep_iterationIS3_Lb0EPKjPjPS5_SB_mNS0_19identity_decomposerENS1_16block_id_wrapperIjLb1EEEEE10hipError_tT1_PNSt15iterator_traitsISG_E10value_typeET2_T3_PNSH_ISM_E10value_typeET4_T5_PSR_SS_PNS1_23onesweep_lookback_stateEbbT6_jjT7_P12ihipStream_tbENKUlT_T0_SG_SL_E_clIS9_SA_SB_SB_EEDaSZ_S10_SG_SL_EUlSZ_E_NS1_11comp_targetILNS1_3genE5ELNS1_11target_archE942ELNS1_3gpuE9ELNS1_3repE0EEENS1_47radix_sort_onesweep_sort_config_static_selectorELNS0_4arch9wavefront6targetE0EEEvSG_.num_named_barrier, 0
	.set _ZN7rocprim17ROCPRIM_400000_NS6detail17trampoline_kernelINS0_14default_configENS1_35radix_sort_onesweep_config_selectorIjNS0_10empty_typeEEEZZNS1_29radix_sort_onesweep_iterationIS3_Lb0EPKjPjPS5_SB_mNS0_19identity_decomposerENS1_16block_id_wrapperIjLb1EEEEE10hipError_tT1_PNSt15iterator_traitsISG_E10value_typeET2_T3_PNSH_ISM_E10value_typeET4_T5_PSR_SS_PNS1_23onesweep_lookback_stateEbbT6_jjT7_P12ihipStream_tbENKUlT_T0_SG_SL_E_clIS9_SA_SB_SB_EEDaSZ_S10_SG_SL_EUlSZ_E_NS1_11comp_targetILNS1_3genE5ELNS1_11target_archE942ELNS1_3gpuE9ELNS1_3repE0EEENS1_47radix_sort_onesweep_sort_config_static_selectorELNS0_4arch9wavefront6targetE0EEEvSG_.private_seg_size, 0
	.set _ZN7rocprim17ROCPRIM_400000_NS6detail17trampoline_kernelINS0_14default_configENS1_35radix_sort_onesweep_config_selectorIjNS0_10empty_typeEEEZZNS1_29radix_sort_onesweep_iterationIS3_Lb0EPKjPjPS5_SB_mNS0_19identity_decomposerENS1_16block_id_wrapperIjLb1EEEEE10hipError_tT1_PNSt15iterator_traitsISG_E10value_typeET2_T3_PNSH_ISM_E10value_typeET4_T5_PSR_SS_PNS1_23onesweep_lookback_stateEbbT6_jjT7_P12ihipStream_tbENKUlT_T0_SG_SL_E_clIS9_SA_SB_SB_EEDaSZ_S10_SG_SL_EUlSZ_E_NS1_11comp_targetILNS1_3genE5ELNS1_11target_archE942ELNS1_3gpuE9ELNS1_3repE0EEENS1_47radix_sort_onesweep_sort_config_static_selectorELNS0_4arch9wavefront6targetE0EEEvSG_.uses_vcc, 0
	.set _ZN7rocprim17ROCPRIM_400000_NS6detail17trampoline_kernelINS0_14default_configENS1_35radix_sort_onesweep_config_selectorIjNS0_10empty_typeEEEZZNS1_29radix_sort_onesweep_iterationIS3_Lb0EPKjPjPS5_SB_mNS0_19identity_decomposerENS1_16block_id_wrapperIjLb1EEEEE10hipError_tT1_PNSt15iterator_traitsISG_E10value_typeET2_T3_PNSH_ISM_E10value_typeET4_T5_PSR_SS_PNS1_23onesweep_lookback_stateEbbT6_jjT7_P12ihipStream_tbENKUlT_T0_SG_SL_E_clIS9_SA_SB_SB_EEDaSZ_S10_SG_SL_EUlSZ_E_NS1_11comp_targetILNS1_3genE5ELNS1_11target_archE942ELNS1_3gpuE9ELNS1_3repE0EEENS1_47radix_sort_onesweep_sort_config_static_selectorELNS0_4arch9wavefront6targetE0EEEvSG_.uses_flat_scratch, 0
	.set _ZN7rocprim17ROCPRIM_400000_NS6detail17trampoline_kernelINS0_14default_configENS1_35radix_sort_onesweep_config_selectorIjNS0_10empty_typeEEEZZNS1_29radix_sort_onesweep_iterationIS3_Lb0EPKjPjPS5_SB_mNS0_19identity_decomposerENS1_16block_id_wrapperIjLb1EEEEE10hipError_tT1_PNSt15iterator_traitsISG_E10value_typeET2_T3_PNSH_ISM_E10value_typeET4_T5_PSR_SS_PNS1_23onesweep_lookback_stateEbbT6_jjT7_P12ihipStream_tbENKUlT_T0_SG_SL_E_clIS9_SA_SB_SB_EEDaSZ_S10_SG_SL_EUlSZ_E_NS1_11comp_targetILNS1_3genE5ELNS1_11target_archE942ELNS1_3gpuE9ELNS1_3repE0EEENS1_47radix_sort_onesweep_sort_config_static_selectorELNS0_4arch9wavefront6targetE0EEEvSG_.has_dyn_sized_stack, 0
	.set _ZN7rocprim17ROCPRIM_400000_NS6detail17trampoline_kernelINS0_14default_configENS1_35radix_sort_onesweep_config_selectorIjNS0_10empty_typeEEEZZNS1_29radix_sort_onesweep_iterationIS3_Lb0EPKjPjPS5_SB_mNS0_19identity_decomposerENS1_16block_id_wrapperIjLb1EEEEE10hipError_tT1_PNSt15iterator_traitsISG_E10value_typeET2_T3_PNSH_ISM_E10value_typeET4_T5_PSR_SS_PNS1_23onesweep_lookback_stateEbbT6_jjT7_P12ihipStream_tbENKUlT_T0_SG_SL_E_clIS9_SA_SB_SB_EEDaSZ_S10_SG_SL_EUlSZ_E_NS1_11comp_targetILNS1_3genE5ELNS1_11target_archE942ELNS1_3gpuE9ELNS1_3repE0EEENS1_47radix_sort_onesweep_sort_config_static_selectorELNS0_4arch9wavefront6targetE0EEEvSG_.has_recursion, 0
	.set _ZN7rocprim17ROCPRIM_400000_NS6detail17trampoline_kernelINS0_14default_configENS1_35radix_sort_onesweep_config_selectorIjNS0_10empty_typeEEEZZNS1_29radix_sort_onesweep_iterationIS3_Lb0EPKjPjPS5_SB_mNS0_19identity_decomposerENS1_16block_id_wrapperIjLb1EEEEE10hipError_tT1_PNSt15iterator_traitsISG_E10value_typeET2_T3_PNSH_ISM_E10value_typeET4_T5_PSR_SS_PNS1_23onesweep_lookback_stateEbbT6_jjT7_P12ihipStream_tbENKUlT_T0_SG_SL_E_clIS9_SA_SB_SB_EEDaSZ_S10_SG_SL_EUlSZ_E_NS1_11comp_targetILNS1_3genE5ELNS1_11target_archE942ELNS1_3gpuE9ELNS1_3repE0EEENS1_47radix_sort_onesweep_sort_config_static_selectorELNS0_4arch9wavefront6targetE0EEEvSG_.has_indirect_call, 0
	.section	.AMDGPU.csdata,"",@progbits
; Kernel info:
; codeLenInByte = 0
; TotalNumSgprs: 0
; NumVgprs: 0
; ScratchSize: 0
; MemoryBound: 0
; FloatMode: 240
; IeeeMode: 1
; LDSByteSize: 0 bytes/workgroup (compile time only)
; SGPRBlocks: 0
; VGPRBlocks: 0
; NumSGPRsForWavesPerEU: 1
; NumVGPRsForWavesPerEU: 1
; NamedBarCnt: 0
; Occupancy: 16
; WaveLimiterHint : 0
; COMPUTE_PGM_RSRC2:SCRATCH_EN: 0
; COMPUTE_PGM_RSRC2:USER_SGPR: 2
; COMPUTE_PGM_RSRC2:TRAP_HANDLER: 0
; COMPUTE_PGM_RSRC2:TGID_X_EN: 1
; COMPUTE_PGM_RSRC2:TGID_Y_EN: 0
; COMPUTE_PGM_RSRC2:TGID_Z_EN: 0
; COMPUTE_PGM_RSRC2:TIDIG_COMP_CNT: 0
	.section	.text._ZN7rocprim17ROCPRIM_400000_NS6detail17trampoline_kernelINS0_14default_configENS1_35radix_sort_onesweep_config_selectorIjNS0_10empty_typeEEEZZNS1_29radix_sort_onesweep_iterationIS3_Lb0EPKjPjPS5_SB_mNS0_19identity_decomposerENS1_16block_id_wrapperIjLb1EEEEE10hipError_tT1_PNSt15iterator_traitsISG_E10value_typeET2_T3_PNSH_ISM_E10value_typeET4_T5_PSR_SS_PNS1_23onesweep_lookback_stateEbbT6_jjT7_P12ihipStream_tbENKUlT_T0_SG_SL_E_clIS9_SA_SB_SB_EEDaSZ_S10_SG_SL_EUlSZ_E_NS1_11comp_targetILNS1_3genE2ELNS1_11target_archE906ELNS1_3gpuE6ELNS1_3repE0EEENS1_47radix_sort_onesweep_sort_config_static_selectorELNS0_4arch9wavefront6targetE0EEEvSG_,"axG",@progbits,_ZN7rocprim17ROCPRIM_400000_NS6detail17trampoline_kernelINS0_14default_configENS1_35radix_sort_onesweep_config_selectorIjNS0_10empty_typeEEEZZNS1_29radix_sort_onesweep_iterationIS3_Lb0EPKjPjPS5_SB_mNS0_19identity_decomposerENS1_16block_id_wrapperIjLb1EEEEE10hipError_tT1_PNSt15iterator_traitsISG_E10value_typeET2_T3_PNSH_ISM_E10value_typeET4_T5_PSR_SS_PNS1_23onesweep_lookback_stateEbbT6_jjT7_P12ihipStream_tbENKUlT_T0_SG_SL_E_clIS9_SA_SB_SB_EEDaSZ_S10_SG_SL_EUlSZ_E_NS1_11comp_targetILNS1_3genE2ELNS1_11target_archE906ELNS1_3gpuE6ELNS1_3repE0EEENS1_47radix_sort_onesweep_sort_config_static_selectorELNS0_4arch9wavefront6targetE0EEEvSG_,comdat
	.protected	_ZN7rocprim17ROCPRIM_400000_NS6detail17trampoline_kernelINS0_14default_configENS1_35radix_sort_onesweep_config_selectorIjNS0_10empty_typeEEEZZNS1_29radix_sort_onesweep_iterationIS3_Lb0EPKjPjPS5_SB_mNS0_19identity_decomposerENS1_16block_id_wrapperIjLb1EEEEE10hipError_tT1_PNSt15iterator_traitsISG_E10value_typeET2_T3_PNSH_ISM_E10value_typeET4_T5_PSR_SS_PNS1_23onesweep_lookback_stateEbbT6_jjT7_P12ihipStream_tbENKUlT_T0_SG_SL_E_clIS9_SA_SB_SB_EEDaSZ_S10_SG_SL_EUlSZ_E_NS1_11comp_targetILNS1_3genE2ELNS1_11target_archE906ELNS1_3gpuE6ELNS1_3repE0EEENS1_47radix_sort_onesweep_sort_config_static_selectorELNS0_4arch9wavefront6targetE0EEEvSG_ ; -- Begin function _ZN7rocprim17ROCPRIM_400000_NS6detail17trampoline_kernelINS0_14default_configENS1_35radix_sort_onesweep_config_selectorIjNS0_10empty_typeEEEZZNS1_29radix_sort_onesweep_iterationIS3_Lb0EPKjPjPS5_SB_mNS0_19identity_decomposerENS1_16block_id_wrapperIjLb1EEEEE10hipError_tT1_PNSt15iterator_traitsISG_E10value_typeET2_T3_PNSH_ISM_E10value_typeET4_T5_PSR_SS_PNS1_23onesweep_lookback_stateEbbT6_jjT7_P12ihipStream_tbENKUlT_T0_SG_SL_E_clIS9_SA_SB_SB_EEDaSZ_S10_SG_SL_EUlSZ_E_NS1_11comp_targetILNS1_3genE2ELNS1_11target_archE906ELNS1_3gpuE6ELNS1_3repE0EEENS1_47radix_sort_onesweep_sort_config_static_selectorELNS0_4arch9wavefront6targetE0EEEvSG_
	.globl	_ZN7rocprim17ROCPRIM_400000_NS6detail17trampoline_kernelINS0_14default_configENS1_35radix_sort_onesweep_config_selectorIjNS0_10empty_typeEEEZZNS1_29radix_sort_onesweep_iterationIS3_Lb0EPKjPjPS5_SB_mNS0_19identity_decomposerENS1_16block_id_wrapperIjLb1EEEEE10hipError_tT1_PNSt15iterator_traitsISG_E10value_typeET2_T3_PNSH_ISM_E10value_typeET4_T5_PSR_SS_PNS1_23onesweep_lookback_stateEbbT6_jjT7_P12ihipStream_tbENKUlT_T0_SG_SL_E_clIS9_SA_SB_SB_EEDaSZ_S10_SG_SL_EUlSZ_E_NS1_11comp_targetILNS1_3genE2ELNS1_11target_archE906ELNS1_3gpuE6ELNS1_3repE0EEENS1_47radix_sort_onesweep_sort_config_static_selectorELNS0_4arch9wavefront6targetE0EEEvSG_
	.p2align	8
	.type	_ZN7rocprim17ROCPRIM_400000_NS6detail17trampoline_kernelINS0_14default_configENS1_35radix_sort_onesweep_config_selectorIjNS0_10empty_typeEEEZZNS1_29radix_sort_onesweep_iterationIS3_Lb0EPKjPjPS5_SB_mNS0_19identity_decomposerENS1_16block_id_wrapperIjLb1EEEEE10hipError_tT1_PNSt15iterator_traitsISG_E10value_typeET2_T3_PNSH_ISM_E10value_typeET4_T5_PSR_SS_PNS1_23onesweep_lookback_stateEbbT6_jjT7_P12ihipStream_tbENKUlT_T0_SG_SL_E_clIS9_SA_SB_SB_EEDaSZ_S10_SG_SL_EUlSZ_E_NS1_11comp_targetILNS1_3genE2ELNS1_11target_archE906ELNS1_3gpuE6ELNS1_3repE0EEENS1_47radix_sort_onesweep_sort_config_static_selectorELNS0_4arch9wavefront6targetE0EEEvSG_,@function
_ZN7rocprim17ROCPRIM_400000_NS6detail17trampoline_kernelINS0_14default_configENS1_35radix_sort_onesweep_config_selectorIjNS0_10empty_typeEEEZZNS1_29radix_sort_onesweep_iterationIS3_Lb0EPKjPjPS5_SB_mNS0_19identity_decomposerENS1_16block_id_wrapperIjLb1EEEEE10hipError_tT1_PNSt15iterator_traitsISG_E10value_typeET2_T3_PNSH_ISM_E10value_typeET4_T5_PSR_SS_PNS1_23onesweep_lookback_stateEbbT6_jjT7_P12ihipStream_tbENKUlT_T0_SG_SL_E_clIS9_SA_SB_SB_EEDaSZ_S10_SG_SL_EUlSZ_E_NS1_11comp_targetILNS1_3genE2ELNS1_11target_archE906ELNS1_3gpuE6ELNS1_3repE0EEENS1_47radix_sort_onesweep_sort_config_static_selectorELNS0_4arch9wavefront6targetE0EEEvSG_: ; @_ZN7rocprim17ROCPRIM_400000_NS6detail17trampoline_kernelINS0_14default_configENS1_35radix_sort_onesweep_config_selectorIjNS0_10empty_typeEEEZZNS1_29radix_sort_onesweep_iterationIS3_Lb0EPKjPjPS5_SB_mNS0_19identity_decomposerENS1_16block_id_wrapperIjLb1EEEEE10hipError_tT1_PNSt15iterator_traitsISG_E10value_typeET2_T3_PNSH_ISM_E10value_typeET4_T5_PSR_SS_PNS1_23onesweep_lookback_stateEbbT6_jjT7_P12ihipStream_tbENKUlT_T0_SG_SL_E_clIS9_SA_SB_SB_EEDaSZ_S10_SG_SL_EUlSZ_E_NS1_11comp_targetILNS1_3genE2ELNS1_11target_archE906ELNS1_3gpuE6ELNS1_3repE0EEENS1_47radix_sort_onesweep_sort_config_static_selectorELNS0_4arch9wavefront6targetE0EEEvSG_
; %bb.0:
	.section	.rodata,"a",@progbits
	.p2align	6, 0x0
	.amdhsa_kernel _ZN7rocprim17ROCPRIM_400000_NS6detail17trampoline_kernelINS0_14default_configENS1_35radix_sort_onesweep_config_selectorIjNS0_10empty_typeEEEZZNS1_29radix_sort_onesweep_iterationIS3_Lb0EPKjPjPS5_SB_mNS0_19identity_decomposerENS1_16block_id_wrapperIjLb1EEEEE10hipError_tT1_PNSt15iterator_traitsISG_E10value_typeET2_T3_PNSH_ISM_E10value_typeET4_T5_PSR_SS_PNS1_23onesweep_lookback_stateEbbT6_jjT7_P12ihipStream_tbENKUlT_T0_SG_SL_E_clIS9_SA_SB_SB_EEDaSZ_S10_SG_SL_EUlSZ_E_NS1_11comp_targetILNS1_3genE2ELNS1_11target_archE906ELNS1_3gpuE6ELNS1_3repE0EEENS1_47radix_sort_onesweep_sort_config_static_selectorELNS0_4arch9wavefront6targetE0EEEvSG_
		.amdhsa_group_segment_fixed_size 0
		.amdhsa_private_segment_fixed_size 0
		.amdhsa_kernarg_size 88
		.amdhsa_user_sgpr_count 2
		.amdhsa_user_sgpr_dispatch_ptr 0
		.amdhsa_user_sgpr_queue_ptr 0
		.amdhsa_user_sgpr_kernarg_segment_ptr 1
		.amdhsa_user_sgpr_dispatch_id 0
		.amdhsa_user_sgpr_kernarg_preload_length 0
		.amdhsa_user_sgpr_kernarg_preload_offset 0
		.amdhsa_user_sgpr_private_segment_size 0
		.amdhsa_wavefront_size32 1
		.amdhsa_uses_dynamic_stack 0
		.amdhsa_enable_private_segment 0
		.amdhsa_system_sgpr_workgroup_id_x 1
		.amdhsa_system_sgpr_workgroup_id_y 0
		.amdhsa_system_sgpr_workgroup_id_z 0
		.amdhsa_system_sgpr_workgroup_info 0
		.amdhsa_system_vgpr_workitem_id 0
		.amdhsa_next_free_vgpr 1
		.amdhsa_next_free_sgpr 1
		.amdhsa_named_barrier_count 0
		.amdhsa_reserve_vcc 0
		.amdhsa_float_round_mode_32 0
		.amdhsa_float_round_mode_16_64 0
		.amdhsa_float_denorm_mode_32 3
		.amdhsa_float_denorm_mode_16_64 3
		.amdhsa_fp16_overflow 0
		.amdhsa_memory_ordered 1
		.amdhsa_forward_progress 1
		.amdhsa_inst_pref_size 0
		.amdhsa_round_robin_scheduling 0
		.amdhsa_exception_fp_ieee_invalid_op 0
		.amdhsa_exception_fp_denorm_src 0
		.amdhsa_exception_fp_ieee_div_zero 0
		.amdhsa_exception_fp_ieee_overflow 0
		.amdhsa_exception_fp_ieee_underflow 0
		.amdhsa_exception_fp_ieee_inexact 0
		.amdhsa_exception_int_div_zero 0
	.end_amdhsa_kernel
	.section	.text._ZN7rocprim17ROCPRIM_400000_NS6detail17trampoline_kernelINS0_14default_configENS1_35radix_sort_onesweep_config_selectorIjNS0_10empty_typeEEEZZNS1_29radix_sort_onesweep_iterationIS3_Lb0EPKjPjPS5_SB_mNS0_19identity_decomposerENS1_16block_id_wrapperIjLb1EEEEE10hipError_tT1_PNSt15iterator_traitsISG_E10value_typeET2_T3_PNSH_ISM_E10value_typeET4_T5_PSR_SS_PNS1_23onesweep_lookback_stateEbbT6_jjT7_P12ihipStream_tbENKUlT_T0_SG_SL_E_clIS9_SA_SB_SB_EEDaSZ_S10_SG_SL_EUlSZ_E_NS1_11comp_targetILNS1_3genE2ELNS1_11target_archE906ELNS1_3gpuE6ELNS1_3repE0EEENS1_47radix_sort_onesweep_sort_config_static_selectorELNS0_4arch9wavefront6targetE0EEEvSG_,"axG",@progbits,_ZN7rocprim17ROCPRIM_400000_NS6detail17trampoline_kernelINS0_14default_configENS1_35radix_sort_onesweep_config_selectorIjNS0_10empty_typeEEEZZNS1_29radix_sort_onesweep_iterationIS3_Lb0EPKjPjPS5_SB_mNS0_19identity_decomposerENS1_16block_id_wrapperIjLb1EEEEE10hipError_tT1_PNSt15iterator_traitsISG_E10value_typeET2_T3_PNSH_ISM_E10value_typeET4_T5_PSR_SS_PNS1_23onesweep_lookback_stateEbbT6_jjT7_P12ihipStream_tbENKUlT_T0_SG_SL_E_clIS9_SA_SB_SB_EEDaSZ_S10_SG_SL_EUlSZ_E_NS1_11comp_targetILNS1_3genE2ELNS1_11target_archE906ELNS1_3gpuE6ELNS1_3repE0EEENS1_47radix_sort_onesweep_sort_config_static_selectorELNS0_4arch9wavefront6targetE0EEEvSG_,comdat
.Lfunc_end2747:
	.size	_ZN7rocprim17ROCPRIM_400000_NS6detail17trampoline_kernelINS0_14default_configENS1_35radix_sort_onesweep_config_selectorIjNS0_10empty_typeEEEZZNS1_29radix_sort_onesweep_iterationIS3_Lb0EPKjPjPS5_SB_mNS0_19identity_decomposerENS1_16block_id_wrapperIjLb1EEEEE10hipError_tT1_PNSt15iterator_traitsISG_E10value_typeET2_T3_PNSH_ISM_E10value_typeET4_T5_PSR_SS_PNS1_23onesweep_lookback_stateEbbT6_jjT7_P12ihipStream_tbENKUlT_T0_SG_SL_E_clIS9_SA_SB_SB_EEDaSZ_S10_SG_SL_EUlSZ_E_NS1_11comp_targetILNS1_3genE2ELNS1_11target_archE906ELNS1_3gpuE6ELNS1_3repE0EEENS1_47radix_sort_onesweep_sort_config_static_selectorELNS0_4arch9wavefront6targetE0EEEvSG_, .Lfunc_end2747-_ZN7rocprim17ROCPRIM_400000_NS6detail17trampoline_kernelINS0_14default_configENS1_35radix_sort_onesweep_config_selectorIjNS0_10empty_typeEEEZZNS1_29radix_sort_onesweep_iterationIS3_Lb0EPKjPjPS5_SB_mNS0_19identity_decomposerENS1_16block_id_wrapperIjLb1EEEEE10hipError_tT1_PNSt15iterator_traitsISG_E10value_typeET2_T3_PNSH_ISM_E10value_typeET4_T5_PSR_SS_PNS1_23onesweep_lookback_stateEbbT6_jjT7_P12ihipStream_tbENKUlT_T0_SG_SL_E_clIS9_SA_SB_SB_EEDaSZ_S10_SG_SL_EUlSZ_E_NS1_11comp_targetILNS1_3genE2ELNS1_11target_archE906ELNS1_3gpuE6ELNS1_3repE0EEENS1_47radix_sort_onesweep_sort_config_static_selectorELNS0_4arch9wavefront6targetE0EEEvSG_
                                        ; -- End function
	.set _ZN7rocprim17ROCPRIM_400000_NS6detail17trampoline_kernelINS0_14default_configENS1_35radix_sort_onesweep_config_selectorIjNS0_10empty_typeEEEZZNS1_29radix_sort_onesweep_iterationIS3_Lb0EPKjPjPS5_SB_mNS0_19identity_decomposerENS1_16block_id_wrapperIjLb1EEEEE10hipError_tT1_PNSt15iterator_traitsISG_E10value_typeET2_T3_PNSH_ISM_E10value_typeET4_T5_PSR_SS_PNS1_23onesweep_lookback_stateEbbT6_jjT7_P12ihipStream_tbENKUlT_T0_SG_SL_E_clIS9_SA_SB_SB_EEDaSZ_S10_SG_SL_EUlSZ_E_NS1_11comp_targetILNS1_3genE2ELNS1_11target_archE906ELNS1_3gpuE6ELNS1_3repE0EEENS1_47radix_sort_onesweep_sort_config_static_selectorELNS0_4arch9wavefront6targetE0EEEvSG_.num_vgpr, 0
	.set _ZN7rocprim17ROCPRIM_400000_NS6detail17trampoline_kernelINS0_14default_configENS1_35radix_sort_onesweep_config_selectorIjNS0_10empty_typeEEEZZNS1_29radix_sort_onesweep_iterationIS3_Lb0EPKjPjPS5_SB_mNS0_19identity_decomposerENS1_16block_id_wrapperIjLb1EEEEE10hipError_tT1_PNSt15iterator_traitsISG_E10value_typeET2_T3_PNSH_ISM_E10value_typeET4_T5_PSR_SS_PNS1_23onesweep_lookback_stateEbbT6_jjT7_P12ihipStream_tbENKUlT_T0_SG_SL_E_clIS9_SA_SB_SB_EEDaSZ_S10_SG_SL_EUlSZ_E_NS1_11comp_targetILNS1_3genE2ELNS1_11target_archE906ELNS1_3gpuE6ELNS1_3repE0EEENS1_47radix_sort_onesweep_sort_config_static_selectorELNS0_4arch9wavefront6targetE0EEEvSG_.num_agpr, 0
	.set _ZN7rocprim17ROCPRIM_400000_NS6detail17trampoline_kernelINS0_14default_configENS1_35radix_sort_onesweep_config_selectorIjNS0_10empty_typeEEEZZNS1_29radix_sort_onesweep_iterationIS3_Lb0EPKjPjPS5_SB_mNS0_19identity_decomposerENS1_16block_id_wrapperIjLb1EEEEE10hipError_tT1_PNSt15iterator_traitsISG_E10value_typeET2_T3_PNSH_ISM_E10value_typeET4_T5_PSR_SS_PNS1_23onesweep_lookback_stateEbbT6_jjT7_P12ihipStream_tbENKUlT_T0_SG_SL_E_clIS9_SA_SB_SB_EEDaSZ_S10_SG_SL_EUlSZ_E_NS1_11comp_targetILNS1_3genE2ELNS1_11target_archE906ELNS1_3gpuE6ELNS1_3repE0EEENS1_47radix_sort_onesweep_sort_config_static_selectorELNS0_4arch9wavefront6targetE0EEEvSG_.numbered_sgpr, 0
	.set _ZN7rocprim17ROCPRIM_400000_NS6detail17trampoline_kernelINS0_14default_configENS1_35radix_sort_onesweep_config_selectorIjNS0_10empty_typeEEEZZNS1_29radix_sort_onesweep_iterationIS3_Lb0EPKjPjPS5_SB_mNS0_19identity_decomposerENS1_16block_id_wrapperIjLb1EEEEE10hipError_tT1_PNSt15iterator_traitsISG_E10value_typeET2_T3_PNSH_ISM_E10value_typeET4_T5_PSR_SS_PNS1_23onesweep_lookback_stateEbbT6_jjT7_P12ihipStream_tbENKUlT_T0_SG_SL_E_clIS9_SA_SB_SB_EEDaSZ_S10_SG_SL_EUlSZ_E_NS1_11comp_targetILNS1_3genE2ELNS1_11target_archE906ELNS1_3gpuE6ELNS1_3repE0EEENS1_47radix_sort_onesweep_sort_config_static_selectorELNS0_4arch9wavefront6targetE0EEEvSG_.num_named_barrier, 0
	.set _ZN7rocprim17ROCPRIM_400000_NS6detail17trampoline_kernelINS0_14default_configENS1_35radix_sort_onesweep_config_selectorIjNS0_10empty_typeEEEZZNS1_29radix_sort_onesweep_iterationIS3_Lb0EPKjPjPS5_SB_mNS0_19identity_decomposerENS1_16block_id_wrapperIjLb1EEEEE10hipError_tT1_PNSt15iterator_traitsISG_E10value_typeET2_T3_PNSH_ISM_E10value_typeET4_T5_PSR_SS_PNS1_23onesweep_lookback_stateEbbT6_jjT7_P12ihipStream_tbENKUlT_T0_SG_SL_E_clIS9_SA_SB_SB_EEDaSZ_S10_SG_SL_EUlSZ_E_NS1_11comp_targetILNS1_3genE2ELNS1_11target_archE906ELNS1_3gpuE6ELNS1_3repE0EEENS1_47radix_sort_onesweep_sort_config_static_selectorELNS0_4arch9wavefront6targetE0EEEvSG_.private_seg_size, 0
	.set _ZN7rocprim17ROCPRIM_400000_NS6detail17trampoline_kernelINS0_14default_configENS1_35radix_sort_onesweep_config_selectorIjNS0_10empty_typeEEEZZNS1_29radix_sort_onesweep_iterationIS3_Lb0EPKjPjPS5_SB_mNS0_19identity_decomposerENS1_16block_id_wrapperIjLb1EEEEE10hipError_tT1_PNSt15iterator_traitsISG_E10value_typeET2_T3_PNSH_ISM_E10value_typeET4_T5_PSR_SS_PNS1_23onesweep_lookback_stateEbbT6_jjT7_P12ihipStream_tbENKUlT_T0_SG_SL_E_clIS9_SA_SB_SB_EEDaSZ_S10_SG_SL_EUlSZ_E_NS1_11comp_targetILNS1_3genE2ELNS1_11target_archE906ELNS1_3gpuE6ELNS1_3repE0EEENS1_47radix_sort_onesweep_sort_config_static_selectorELNS0_4arch9wavefront6targetE0EEEvSG_.uses_vcc, 0
	.set _ZN7rocprim17ROCPRIM_400000_NS6detail17trampoline_kernelINS0_14default_configENS1_35radix_sort_onesweep_config_selectorIjNS0_10empty_typeEEEZZNS1_29radix_sort_onesweep_iterationIS3_Lb0EPKjPjPS5_SB_mNS0_19identity_decomposerENS1_16block_id_wrapperIjLb1EEEEE10hipError_tT1_PNSt15iterator_traitsISG_E10value_typeET2_T3_PNSH_ISM_E10value_typeET4_T5_PSR_SS_PNS1_23onesweep_lookback_stateEbbT6_jjT7_P12ihipStream_tbENKUlT_T0_SG_SL_E_clIS9_SA_SB_SB_EEDaSZ_S10_SG_SL_EUlSZ_E_NS1_11comp_targetILNS1_3genE2ELNS1_11target_archE906ELNS1_3gpuE6ELNS1_3repE0EEENS1_47radix_sort_onesweep_sort_config_static_selectorELNS0_4arch9wavefront6targetE0EEEvSG_.uses_flat_scratch, 0
	.set _ZN7rocprim17ROCPRIM_400000_NS6detail17trampoline_kernelINS0_14default_configENS1_35radix_sort_onesweep_config_selectorIjNS0_10empty_typeEEEZZNS1_29radix_sort_onesweep_iterationIS3_Lb0EPKjPjPS5_SB_mNS0_19identity_decomposerENS1_16block_id_wrapperIjLb1EEEEE10hipError_tT1_PNSt15iterator_traitsISG_E10value_typeET2_T3_PNSH_ISM_E10value_typeET4_T5_PSR_SS_PNS1_23onesweep_lookback_stateEbbT6_jjT7_P12ihipStream_tbENKUlT_T0_SG_SL_E_clIS9_SA_SB_SB_EEDaSZ_S10_SG_SL_EUlSZ_E_NS1_11comp_targetILNS1_3genE2ELNS1_11target_archE906ELNS1_3gpuE6ELNS1_3repE0EEENS1_47radix_sort_onesweep_sort_config_static_selectorELNS0_4arch9wavefront6targetE0EEEvSG_.has_dyn_sized_stack, 0
	.set _ZN7rocprim17ROCPRIM_400000_NS6detail17trampoline_kernelINS0_14default_configENS1_35radix_sort_onesweep_config_selectorIjNS0_10empty_typeEEEZZNS1_29radix_sort_onesweep_iterationIS3_Lb0EPKjPjPS5_SB_mNS0_19identity_decomposerENS1_16block_id_wrapperIjLb1EEEEE10hipError_tT1_PNSt15iterator_traitsISG_E10value_typeET2_T3_PNSH_ISM_E10value_typeET4_T5_PSR_SS_PNS1_23onesweep_lookback_stateEbbT6_jjT7_P12ihipStream_tbENKUlT_T0_SG_SL_E_clIS9_SA_SB_SB_EEDaSZ_S10_SG_SL_EUlSZ_E_NS1_11comp_targetILNS1_3genE2ELNS1_11target_archE906ELNS1_3gpuE6ELNS1_3repE0EEENS1_47radix_sort_onesweep_sort_config_static_selectorELNS0_4arch9wavefront6targetE0EEEvSG_.has_recursion, 0
	.set _ZN7rocprim17ROCPRIM_400000_NS6detail17trampoline_kernelINS0_14default_configENS1_35radix_sort_onesweep_config_selectorIjNS0_10empty_typeEEEZZNS1_29radix_sort_onesweep_iterationIS3_Lb0EPKjPjPS5_SB_mNS0_19identity_decomposerENS1_16block_id_wrapperIjLb1EEEEE10hipError_tT1_PNSt15iterator_traitsISG_E10value_typeET2_T3_PNSH_ISM_E10value_typeET4_T5_PSR_SS_PNS1_23onesweep_lookback_stateEbbT6_jjT7_P12ihipStream_tbENKUlT_T0_SG_SL_E_clIS9_SA_SB_SB_EEDaSZ_S10_SG_SL_EUlSZ_E_NS1_11comp_targetILNS1_3genE2ELNS1_11target_archE906ELNS1_3gpuE6ELNS1_3repE0EEENS1_47radix_sort_onesweep_sort_config_static_selectorELNS0_4arch9wavefront6targetE0EEEvSG_.has_indirect_call, 0
	.section	.AMDGPU.csdata,"",@progbits
; Kernel info:
; codeLenInByte = 0
; TotalNumSgprs: 0
; NumVgprs: 0
; ScratchSize: 0
; MemoryBound: 0
; FloatMode: 240
; IeeeMode: 1
; LDSByteSize: 0 bytes/workgroup (compile time only)
; SGPRBlocks: 0
; VGPRBlocks: 0
; NumSGPRsForWavesPerEU: 1
; NumVGPRsForWavesPerEU: 1
; NamedBarCnt: 0
; Occupancy: 16
; WaveLimiterHint : 0
; COMPUTE_PGM_RSRC2:SCRATCH_EN: 0
; COMPUTE_PGM_RSRC2:USER_SGPR: 2
; COMPUTE_PGM_RSRC2:TRAP_HANDLER: 0
; COMPUTE_PGM_RSRC2:TGID_X_EN: 1
; COMPUTE_PGM_RSRC2:TGID_Y_EN: 0
; COMPUTE_PGM_RSRC2:TGID_Z_EN: 0
; COMPUTE_PGM_RSRC2:TIDIG_COMP_CNT: 0
	.section	.text._ZN7rocprim17ROCPRIM_400000_NS6detail17trampoline_kernelINS0_14default_configENS1_35radix_sort_onesweep_config_selectorIjNS0_10empty_typeEEEZZNS1_29radix_sort_onesweep_iterationIS3_Lb0EPKjPjPS5_SB_mNS0_19identity_decomposerENS1_16block_id_wrapperIjLb1EEEEE10hipError_tT1_PNSt15iterator_traitsISG_E10value_typeET2_T3_PNSH_ISM_E10value_typeET4_T5_PSR_SS_PNS1_23onesweep_lookback_stateEbbT6_jjT7_P12ihipStream_tbENKUlT_T0_SG_SL_E_clIS9_SA_SB_SB_EEDaSZ_S10_SG_SL_EUlSZ_E_NS1_11comp_targetILNS1_3genE4ELNS1_11target_archE910ELNS1_3gpuE8ELNS1_3repE0EEENS1_47radix_sort_onesweep_sort_config_static_selectorELNS0_4arch9wavefront6targetE0EEEvSG_,"axG",@progbits,_ZN7rocprim17ROCPRIM_400000_NS6detail17trampoline_kernelINS0_14default_configENS1_35radix_sort_onesweep_config_selectorIjNS0_10empty_typeEEEZZNS1_29radix_sort_onesweep_iterationIS3_Lb0EPKjPjPS5_SB_mNS0_19identity_decomposerENS1_16block_id_wrapperIjLb1EEEEE10hipError_tT1_PNSt15iterator_traitsISG_E10value_typeET2_T3_PNSH_ISM_E10value_typeET4_T5_PSR_SS_PNS1_23onesweep_lookback_stateEbbT6_jjT7_P12ihipStream_tbENKUlT_T0_SG_SL_E_clIS9_SA_SB_SB_EEDaSZ_S10_SG_SL_EUlSZ_E_NS1_11comp_targetILNS1_3genE4ELNS1_11target_archE910ELNS1_3gpuE8ELNS1_3repE0EEENS1_47radix_sort_onesweep_sort_config_static_selectorELNS0_4arch9wavefront6targetE0EEEvSG_,comdat
	.protected	_ZN7rocprim17ROCPRIM_400000_NS6detail17trampoline_kernelINS0_14default_configENS1_35radix_sort_onesweep_config_selectorIjNS0_10empty_typeEEEZZNS1_29radix_sort_onesweep_iterationIS3_Lb0EPKjPjPS5_SB_mNS0_19identity_decomposerENS1_16block_id_wrapperIjLb1EEEEE10hipError_tT1_PNSt15iterator_traitsISG_E10value_typeET2_T3_PNSH_ISM_E10value_typeET4_T5_PSR_SS_PNS1_23onesweep_lookback_stateEbbT6_jjT7_P12ihipStream_tbENKUlT_T0_SG_SL_E_clIS9_SA_SB_SB_EEDaSZ_S10_SG_SL_EUlSZ_E_NS1_11comp_targetILNS1_3genE4ELNS1_11target_archE910ELNS1_3gpuE8ELNS1_3repE0EEENS1_47radix_sort_onesweep_sort_config_static_selectorELNS0_4arch9wavefront6targetE0EEEvSG_ ; -- Begin function _ZN7rocprim17ROCPRIM_400000_NS6detail17trampoline_kernelINS0_14default_configENS1_35radix_sort_onesweep_config_selectorIjNS0_10empty_typeEEEZZNS1_29radix_sort_onesweep_iterationIS3_Lb0EPKjPjPS5_SB_mNS0_19identity_decomposerENS1_16block_id_wrapperIjLb1EEEEE10hipError_tT1_PNSt15iterator_traitsISG_E10value_typeET2_T3_PNSH_ISM_E10value_typeET4_T5_PSR_SS_PNS1_23onesweep_lookback_stateEbbT6_jjT7_P12ihipStream_tbENKUlT_T0_SG_SL_E_clIS9_SA_SB_SB_EEDaSZ_S10_SG_SL_EUlSZ_E_NS1_11comp_targetILNS1_3genE4ELNS1_11target_archE910ELNS1_3gpuE8ELNS1_3repE0EEENS1_47radix_sort_onesweep_sort_config_static_selectorELNS0_4arch9wavefront6targetE0EEEvSG_
	.globl	_ZN7rocprim17ROCPRIM_400000_NS6detail17trampoline_kernelINS0_14default_configENS1_35radix_sort_onesweep_config_selectorIjNS0_10empty_typeEEEZZNS1_29radix_sort_onesweep_iterationIS3_Lb0EPKjPjPS5_SB_mNS0_19identity_decomposerENS1_16block_id_wrapperIjLb1EEEEE10hipError_tT1_PNSt15iterator_traitsISG_E10value_typeET2_T3_PNSH_ISM_E10value_typeET4_T5_PSR_SS_PNS1_23onesweep_lookback_stateEbbT6_jjT7_P12ihipStream_tbENKUlT_T0_SG_SL_E_clIS9_SA_SB_SB_EEDaSZ_S10_SG_SL_EUlSZ_E_NS1_11comp_targetILNS1_3genE4ELNS1_11target_archE910ELNS1_3gpuE8ELNS1_3repE0EEENS1_47radix_sort_onesweep_sort_config_static_selectorELNS0_4arch9wavefront6targetE0EEEvSG_
	.p2align	8
	.type	_ZN7rocprim17ROCPRIM_400000_NS6detail17trampoline_kernelINS0_14default_configENS1_35radix_sort_onesweep_config_selectorIjNS0_10empty_typeEEEZZNS1_29radix_sort_onesweep_iterationIS3_Lb0EPKjPjPS5_SB_mNS0_19identity_decomposerENS1_16block_id_wrapperIjLb1EEEEE10hipError_tT1_PNSt15iterator_traitsISG_E10value_typeET2_T3_PNSH_ISM_E10value_typeET4_T5_PSR_SS_PNS1_23onesweep_lookback_stateEbbT6_jjT7_P12ihipStream_tbENKUlT_T0_SG_SL_E_clIS9_SA_SB_SB_EEDaSZ_S10_SG_SL_EUlSZ_E_NS1_11comp_targetILNS1_3genE4ELNS1_11target_archE910ELNS1_3gpuE8ELNS1_3repE0EEENS1_47radix_sort_onesweep_sort_config_static_selectorELNS0_4arch9wavefront6targetE0EEEvSG_,@function
_ZN7rocprim17ROCPRIM_400000_NS6detail17trampoline_kernelINS0_14default_configENS1_35radix_sort_onesweep_config_selectorIjNS0_10empty_typeEEEZZNS1_29radix_sort_onesweep_iterationIS3_Lb0EPKjPjPS5_SB_mNS0_19identity_decomposerENS1_16block_id_wrapperIjLb1EEEEE10hipError_tT1_PNSt15iterator_traitsISG_E10value_typeET2_T3_PNSH_ISM_E10value_typeET4_T5_PSR_SS_PNS1_23onesweep_lookback_stateEbbT6_jjT7_P12ihipStream_tbENKUlT_T0_SG_SL_E_clIS9_SA_SB_SB_EEDaSZ_S10_SG_SL_EUlSZ_E_NS1_11comp_targetILNS1_3genE4ELNS1_11target_archE910ELNS1_3gpuE8ELNS1_3repE0EEENS1_47radix_sort_onesweep_sort_config_static_selectorELNS0_4arch9wavefront6targetE0EEEvSG_: ; @_ZN7rocprim17ROCPRIM_400000_NS6detail17trampoline_kernelINS0_14default_configENS1_35radix_sort_onesweep_config_selectorIjNS0_10empty_typeEEEZZNS1_29radix_sort_onesweep_iterationIS3_Lb0EPKjPjPS5_SB_mNS0_19identity_decomposerENS1_16block_id_wrapperIjLb1EEEEE10hipError_tT1_PNSt15iterator_traitsISG_E10value_typeET2_T3_PNSH_ISM_E10value_typeET4_T5_PSR_SS_PNS1_23onesweep_lookback_stateEbbT6_jjT7_P12ihipStream_tbENKUlT_T0_SG_SL_E_clIS9_SA_SB_SB_EEDaSZ_S10_SG_SL_EUlSZ_E_NS1_11comp_targetILNS1_3genE4ELNS1_11target_archE910ELNS1_3gpuE8ELNS1_3repE0EEENS1_47radix_sort_onesweep_sort_config_static_selectorELNS0_4arch9wavefront6targetE0EEEvSG_
; %bb.0:
	.section	.rodata,"a",@progbits
	.p2align	6, 0x0
	.amdhsa_kernel _ZN7rocprim17ROCPRIM_400000_NS6detail17trampoline_kernelINS0_14default_configENS1_35radix_sort_onesweep_config_selectorIjNS0_10empty_typeEEEZZNS1_29radix_sort_onesweep_iterationIS3_Lb0EPKjPjPS5_SB_mNS0_19identity_decomposerENS1_16block_id_wrapperIjLb1EEEEE10hipError_tT1_PNSt15iterator_traitsISG_E10value_typeET2_T3_PNSH_ISM_E10value_typeET4_T5_PSR_SS_PNS1_23onesweep_lookback_stateEbbT6_jjT7_P12ihipStream_tbENKUlT_T0_SG_SL_E_clIS9_SA_SB_SB_EEDaSZ_S10_SG_SL_EUlSZ_E_NS1_11comp_targetILNS1_3genE4ELNS1_11target_archE910ELNS1_3gpuE8ELNS1_3repE0EEENS1_47radix_sort_onesweep_sort_config_static_selectorELNS0_4arch9wavefront6targetE0EEEvSG_
		.amdhsa_group_segment_fixed_size 0
		.amdhsa_private_segment_fixed_size 0
		.amdhsa_kernarg_size 88
		.amdhsa_user_sgpr_count 2
		.amdhsa_user_sgpr_dispatch_ptr 0
		.amdhsa_user_sgpr_queue_ptr 0
		.amdhsa_user_sgpr_kernarg_segment_ptr 1
		.amdhsa_user_sgpr_dispatch_id 0
		.amdhsa_user_sgpr_kernarg_preload_length 0
		.amdhsa_user_sgpr_kernarg_preload_offset 0
		.amdhsa_user_sgpr_private_segment_size 0
		.amdhsa_wavefront_size32 1
		.amdhsa_uses_dynamic_stack 0
		.amdhsa_enable_private_segment 0
		.amdhsa_system_sgpr_workgroup_id_x 1
		.amdhsa_system_sgpr_workgroup_id_y 0
		.amdhsa_system_sgpr_workgroup_id_z 0
		.amdhsa_system_sgpr_workgroup_info 0
		.amdhsa_system_vgpr_workitem_id 0
		.amdhsa_next_free_vgpr 1
		.amdhsa_next_free_sgpr 1
		.amdhsa_named_barrier_count 0
		.amdhsa_reserve_vcc 0
		.amdhsa_float_round_mode_32 0
		.amdhsa_float_round_mode_16_64 0
		.amdhsa_float_denorm_mode_32 3
		.amdhsa_float_denorm_mode_16_64 3
		.amdhsa_fp16_overflow 0
		.amdhsa_memory_ordered 1
		.amdhsa_forward_progress 1
		.amdhsa_inst_pref_size 0
		.amdhsa_round_robin_scheduling 0
		.amdhsa_exception_fp_ieee_invalid_op 0
		.amdhsa_exception_fp_denorm_src 0
		.amdhsa_exception_fp_ieee_div_zero 0
		.amdhsa_exception_fp_ieee_overflow 0
		.amdhsa_exception_fp_ieee_underflow 0
		.amdhsa_exception_fp_ieee_inexact 0
		.amdhsa_exception_int_div_zero 0
	.end_amdhsa_kernel
	.section	.text._ZN7rocprim17ROCPRIM_400000_NS6detail17trampoline_kernelINS0_14default_configENS1_35radix_sort_onesweep_config_selectorIjNS0_10empty_typeEEEZZNS1_29radix_sort_onesweep_iterationIS3_Lb0EPKjPjPS5_SB_mNS0_19identity_decomposerENS1_16block_id_wrapperIjLb1EEEEE10hipError_tT1_PNSt15iterator_traitsISG_E10value_typeET2_T3_PNSH_ISM_E10value_typeET4_T5_PSR_SS_PNS1_23onesweep_lookback_stateEbbT6_jjT7_P12ihipStream_tbENKUlT_T0_SG_SL_E_clIS9_SA_SB_SB_EEDaSZ_S10_SG_SL_EUlSZ_E_NS1_11comp_targetILNS1_3genE4ELNS1_11target_archE910ELNS1_3gpuE8ELNS1_3repE0EEENS1_47radix_sort_onesweep_sort_config_static_selectorELNS0_4arch9wavefront6targetE0EEEvSG_,"axG",@progbits,_ZN7rocprim17ROCPRIM_400000_NS6detail17trampoline_kernelINS0_14default_configENS1_35radix_sort_onesweep_config_selectorIjNS0_10empty_typeEEEZZNS1_29radix_sort_onesweep_iterationIS3_Lb0EPKjPjPS5_SB_mNS0_19identity_decomposerENS1_16block_id_wrapperIjLb1EEEEE10hipError_tT1_PNSt15iterator_traitsISG_E10value_typeET2_T3_PNSH_ISM_E10value_typeET4_T5_PSR_SS_PNS1_23onesweep_lookback_stateEbbT6_jjT7_P12ihipStream_tbENKUlT_T0_SG_SL_E_clIS9_SA_SB_SB_EEDaSZ_S10_SG_SL_EUlSZ_E_NS1_11comp_targetILNS1_3genE4ELNS1_11target_archE910ELNS1_3gpuE8ELNS1_3repE0EEENS1_47radix_sort_onesweep_sort_config_static_selectorELNS0_4arch9wavefront6targetE0EEEvSG_,comdat
.Lfunc_end2748:
	.size	_ZN7rocprim17ROCPRIM_400000_NS6detail17trampoline_kernelINS0_14default_configENS1_35radix_sort_onesweep_config_selectorIjNS0_10empty_typeEEEZZNS1_29radix_sort_onesweep_iterationIS3_Lb0EPKjPjPS5_SB_mNS0_19identity_decomposerENS1_16block_id_wrapperIjLb1EEEEE10hipError_tT1_PNSt15iterator_traitsISG_E10value_typeET2_T3_PNSH_ISM_E10value_typeET4_T5_PSR_SS_PNS1_23onesweep_lookback_stateEbbT6_jjT7_P12ihipStream_tbENKUlT_T0_SG_SL_E_clIS9_SA_SB_SB_EEDaSZ_S10_SG_SL_EUlSZ_E_NS1_11comp_targetILNS1_3genE4ELNS1_11target_archE910ELNS1_3gpuE8ELNS1_3repE0EEENS1_47radix_sort_onesweep_sort_config_static_selectorELNS0_4arch9wavefront6targetE0EEEvSG_, .Lfunc_end2748-_ZN7rocprim17ROCPRIM_400000_NS6detail17trampoline_kernelINS0_14default_configENS1_35radix_sort_onesweep_config_selectorIjNS0_10empty_typeEEEZZNS1_29radix_sort_onesweep_iterationIS3_Lb0EPKjPjPS5_SB_mNS0_19identity_decomposerENS1_16block_id_wrapperIjLb1EEEEE10hipError_tT1_PNSt15iterator_traitsISG_E10value_typeET2_T3_PNSH_ISM_E10value_typeET4_T5_PSR_SS_PNS1_23onesweep_lookback_stateEbbT6_jjT7_P12ihipStream_tbENKUlT_T0_SG_SL_E_clIS9_SA_SB_SB_EEDaSZ_S10_SG_SL_EUlSZ_E_NS1_11comp_targetILNS1_3genE4ELNS1_11target_archE910ELNS1_3gpuE8ELNS1_3repE0EEENS1_47radix_sort_onesweep_sort_config_static_selectorELNS0_4arch9wavefront6targetE0EEEvSG_
                                        ; -- End function
	.set _ZN7rocprim17ROCPRIM_400000_NS6detail17trampoline_kernelINS0_14default_configENS1_35radix_sort_onesweep_config_selectorIjNS0_10empty_typeEEEZZNS1_29radix_sort_onesweep_iterationIS3_Lb0EPKjPjPS5_SB_mNS0_19identity_decomposerENS1_16block_id_wrapperIjLb1EEEEE10hipError_tT1_PNSt15iterator_traitsISG_E10value_typeET2_T3_PNSH_ISM_E10value_typeET4_T5_PSR_SS_PNS1_23onesweep_lookback_stateEbbT6_jjT7_P12ihipStream_tbENKUlT_T0_SG_SL_E_clIS9_SA_SB_SB_EEDaSZ_S10_SG_SL_EUlSZ_E_NS1_11comp_targetILNS1_3genE4ELNS1_11target_archE910ELNS1_3gpuE8ELNS1_3repE0EEENS1_47radix_sort_onesweep_sort_config_static_selectorELNS0_4arch9wavefront6targetE0EEEvSG_.num_vgpr, 0
	.set _ZN7rocprim17ROCPRIM_400000_NS6detail17trampoline_kernelINS0_14default_configENS1_35radix_sort_onesweep_config_selectorIjNS0_10empty_typeEEEZZNS1_29radix_sort_onesweep_iterationIS3_Lb0EPKjPjPS5_SB_mNS0_19identity_decomposerENS1_16block_id_wrapperIjLb1EEEEE10hipError_tT1_PNSt15iterator_traitsISG_E10value_typeET2_T3_PNSH_ISM_E10value_typeET4_T5_PSR_SS_PNS1_23onesweep_lookback_stateEbbT6_jjT7_P12ihipStream_tbENKUlT_T0_SG_SL_E_clIS9_SA_SB_SB_EEDaSZ_S10_SG_SL_EUlSZ_E_NS1_11comp_targetILNS1_3genE4ELNS1_11target_archE910ELNS1_3gpuE8ELNS1_3repE0EEENS1_47radix_sort_onesweep_sort_config_static_selectorELNS0_4arch9wavefront6targetE0EEEvSG_.num_agpr, 0
	.set _ZN7rocprim17ROCPRIM_400000_NS6detail17trampoline_kernelINS0_14default_configENS1_35radix_sort_onesweep_config_selectorIjNS0_10empty_typeEEEZZNS1_29radix_sort_onesweep_iterationIS3_Lb0EPKjPjPS5_SB_mNS0_19identity_decomposerENS1_16block_id_wrapperIjLb1EEEEE10hipError_tT1_PNSt15iterator_traitsISG_E10value_typeET2_T3_PNSH_ISM_E10value_typeET4_T5_PSR_SS_PNS1_23onesweep_lookback_stateEbbT6_jjT7_P12ihipStream_tbENKUlT_T0_SG_SL_E_clIS9_SA_SB_SB_EEDaSZ_S10_SG_SL_EUlSZ_E_NS1_11comp_targetILNS1_3genE4ELNS1_11target_archE910ELNS1_3gpuE8ELNS1_3repE0EEENS1_47radix_sort_onesweep_sort_config_static_selectorELNS0_4arch9wavefront6targetE0EEEvSG_.numbered_sgpr, 0
	.set _ZN7rocprim17ROCPRIM_400000_NS6detail17trampoline_kernelINS0_14default_configENS1_35radix_sort_onesweep_config_selectorIjNS0_10empty_typeEEEZZNS1_29radix_sort_onesweep_iterationIS3_Lb0EPKjPjPS5_SB_mNS0_19identity_decomposerENS1_16block_id_wrapperIjLb1EEEEE10hipError_tT1_PNSt15iterator_traitsISG_E10value_typeET2_T3_PNSH_ISM_E10value_typeET4_T5_PSR_SS_PNS1_23onesweep_lookback_stateEbbT6_jjT7_P12ihipStream_tbENKUlT_T0_SG_SL_E_clIS9_SA_SB_SB_EEDaSZ_S10_SG_SL_EUlSZ_E_NS1_11comp_targetILNS1_3genE4ELNS1_11target_archE910ELNS1_3gpuE8ELNS1_3repE0EEENS1_47radix_sort_onesweep_sort_config_static_selectorELNS0_4arch9wavefront6targetE0EEEvSG_.num_named_barrier, 0
	.set _ZN7rocprim17ROCPRIM_400000_NS6detail17trampoline_kernelINS0_14default_configENS1_35radix_sort_onesweep_config_selectorIjNS0_10empty_typeEEEZZNS1_29radix_sort_onesweep_iterationIS3_Lb0EPKjPjPS5_SB_mNS0_19identity_decomposerENS1_16block_id_wrapperIjLb1EEEEE10hipError_tT1_PNSt15iterator_traitsISG_E10value_typeET2_T3_PNSH_ISM_E10value_typeET4_T5_PSR_SS_PNS1_23onesweep_lookback_stateEbbT6_jjT7_P12ihipStream_tbENKUlT_T0_SG_SL_E_clIS9_SA_SB_SB_EEDaSZ_S10_SG_SL_EUlSZ_E_NS1_11comp_targetILNS1_3genE4ELNS1_11target_archE910ELNS1_3gpuE8ELNS1_3repE0EEENS1_47radix_sort_onesweep_sort_config_static_selectorELNS0_4arch9wavefront6targetE0EEEvSG_.private_seg_size, 0
	.set _ZN7rocprim17ROCPRIM_400000_NS6detail17trampoline_kernelINS0_14default_configENS1_35radix_sort_onesweep_config_selectorIjNS0_10empty_typeEEEZZNS1_29radix_sort_onesweep_iterationIS3_Lb0EPKjPjPS5_SB_mNS0_19identity_decomposerENS1_16block_id_wrapperIjLb1EEEEE10hipError_tT1_PNSt15iterator_traitsISG_E10value_typeET2_T3_PNSH_ISM_E10value_typeET4_T5_PSR_SS_PNS1_23onesweep_lookback_stateEbbT6_jjT7_P12ihipStream_tbENKUlT_T0_SG_SL_E_clIS9_SA_SB_SB_EEDaSZ_S10_SG_SL_EUlSZ_E_NS1_11comp_targetILNS1_3genE4ELNS1_11target_archE910ELNS1_3gpuE8ELNS1_3repE0EEENS1_47radix_sort_onesweep_sort_config_static_selectorELNS0_4arch9wavefront6targetE0EEEvSG_.uses_vcc, 0
	.set _ZN7rocprim17ROCPRIM_400000_NS6detail17trampoline_kernelINS0_14default_configENS1_35radix_sort_onesweep_config_selectorIjNS0_10empty_typeEEEZZNS1_29radix_sort_onesweep_iterationIS3_Lb0EPKjPjPS5_SB_mNS0_19identity_decomposerENS1_16block_id_wrapperIjLb1EEEEE10hipError_tT1_PNSt15iterator_traitsISG_E10value_typeET2_T3_PNSH_ISM_E10value_typeET4_T5_PSR_SS_PNS1_23onesweep_lookback_stateEbbT6_jjT7_P12ihipStream_tbENKUlT_T0_SG_SL_E_clIS9_SA_SB_SB_EEDaSZ_S10_SG_SL_EUlSZ_E_NS1_11comp_targetILNS1_3genE4ELNS1_11target_archE910ELNS1_3gpuE8ELNS1_3repE0EEENS1_47radix_sort_onesweep_sort_config_static_selectorELNS0_4arch9wavefront6targetE0EEEvSG_.uses_flat_scratch, 0
	.set _ZN7rocprim17ROCPRIM_400000_NS6detail17trampoline_kernelINS0_14default_configENS1_35radix_sort_onesweep_config_selectorIjNS0_10empty_typeEEEZZNS1_29radix_sort_onesweep_iterationIS3_Lb0EPKjPjPS5_SB_mNS0_19identity_decomposerENS1_16block_id_wrapperIjLb1EEEEE10hipError_tT1_PNSt15iterator_traitsISG_E10value_typeET2_T3_PNSH_ISM_E10value_typeET4_T5_PSR_SS_PNS1_23onesweep_lookback_stateEbbT6_jjT7_P12ihipStream_tbENKUlT_T0_SG_SL_E_clIS9_SA_SB_SB_EEDaSZ_S10_SG_SL_EUlSZ_E_NS1_11comp_targetILNS1_3genE4ELNS1_11target_archE910ELNS1_3gpuE8ELNS1_3repE0EEENS1_47radix_sort_onesweep_sort_config_static_selectorELNS0_4arch9wavefront6targetE0EEEvSG_.has_dyn_sized_stack, 0
	.set _ZN7rocprim17ROCPRIM_400000_NS6detail17trampoline_kernelINS0_14default_configENS1_35radix_sort_onesweep_config_selectorIjNS0_10empty_typeEEEZZNS1_29radix_sort_onesweep_iterationIS3_Lb0EPKjPjPS5_SB_mNS0_19identity_decomposerENS1_16block_id_wrapperIjLb1EEEEE10hipError_tT1_PNSt15iterator_traitsISG_E10value_typeET2_T3_PNSH_ISM_E10value_typeET4_T5_PSR_SS_PNS1_23onesweep_lookback_stateEbbT6_jjT7_P12ihipStream_tbENKUlT_T0_SG_SL_E_clIS9_SA_SB_SB_EEDaSZ_S10_SG_SL_EUlSZ_E_NS1_11comp_targetILNS1_3genE4ELNS1_11target_archE910ELNS1_3gpuE8ELNS1_3repE0EEENS1_47radix_sort_onesweep_sort_config_static_selectorELNS0_4arch9wavefront6targetE0EEEvSG_.has_recursion, 0
	.set _ZN7rocprim17ROCPRIM_400000_NS6detail17trampoline_kernelINS0_14default_configENS1_35radix_sort_onesweep_config_selectorIjNS0_10empty_typeEEEZZNS1_29radix_sort_onesweep_iterationIS3_Lb0EPKjPjPS5_SB_mNS0_19identity_decomposerENS1_16block_id_wrapperIjLb1EEEEE10hipError_tT1_PNSt15iterator_traitsISG_E10value_typeET2_T3_PNSH_ISM_E10value_typeET4_T5_PSR_SS_PNS1_23onesweep_lookback_stateEbbT6_jjT7_P12ihipStream_tbENKUlT_T0_SG_SL_E_clIS9_SA_SB_SB_EEDaSZ_S10_SG_SL_EUlSZ_E_NS1_11comp_targetILNS1_3genE4ELNS1_11target_archE910ELNS1_3gpuE8ELNS1_3repE0EEENS1_47radix_sort_onesweep_sort_config_static_selectorELNS0_4arch9wavefront6targetE0EEEvSG_.has_indirect_call, 0
	.section	.AMDGPU.csdata,"",@progbits
; Kernel info:
; codeLenInByte = 0
; TotalNumSgprs: 0
; NumVgprs: 0
; ScratchSize: 0
; MemoryBound: 0
; FloatMode: 240
; IeeeMode: 1
; LDSByteSize: 0 bytes/workgroup (compile time only)
; SGPRBlocks: 0
; VGPRBlocks: 0
; NumSGPRsForWavesPerEU: 1
; NumVGPRsForWavesPerEU: 1
; NamedBarCnt: 0
; Occupancy: 16
; WaveLimiterHint : 0
; COMPUTE_PGM_RSRC2:SCRATCH_EN: 0
; COMPUTE_PGM_RSRC2:USER_SGPR: 2
; COMPUTE_PGM_RSRC2:TRAP_HANDLER: 0
; COMPUTE_PGM_RSRC2:TGID_X_EN: 1
; COMPUTE_PGM_RSRC2:TGID_Y_EN: 0
; COMPUTE_PGM_RSRC2:TGID_Z_EN: 0
; COMPUTE_PGM_RSRC2:TIDIG_COMP_CNT: 0
	.section	.text._ZN7rocprim17ROCPRIM_400000_NS6detail17trampoline_kernelINS0_14default_configENS1_35radix_sort_onesweep_config_selectorIjNS0_10empty_typeEEEZZNS1_29radix_sort_onesweep_iterationIS3_Lb0EPKjPjPS5_SB_mNS0_19identity_decomposerENS1_16block_id_wrapperIjLb1EEEEE10hipError_tT1_PNSt15iterator_traitsISG_E10value_typeET2_T3_PNSH_ISM_E10value_typeET4_T5_PSR_SS_PNS1_23onesweep_lookback_stateEbbT6_jjT7_P12ihipStream_tbENKUlT_T0_SG_SL_E_clIS9_SA_SB_SB_EEDaSZ_S10_SG_SL_EUlSZ_E_NS1_11comp_targetILNS1_3genE3ELNS1_11target_archE908ELNS1_3gpuE7ELNS1_3repE0EEENS1_47radix_sort_onesweep_sort_config_static_selectorELNS0_4arch9wavefront6targetE0EEEvSG_,"axG",@progbits,_ZN7rocprim17ROCPRIM_400000_NS6detail17trampoline_kernelINS0_14default_configENS1_35radix_sort_onesweep_config_selectorIjNS0_10empty_typeEEEZZNS1_29radix_sort_onesweep_iterationIS3_Lb0EPKjPjPS5_SB_mNS0_19identity_decomposerENS1_16block_id_wrapperIjLb1EEEEE10hipError_tT1_PNSt15iterator_traitsISG_E10value_typeET2_T3_PNSH_ISM_E10value_typeET4_T5_PSR_SS_PNS1_23onesweep_lookback_stateEbbT6_jjT7_P12ihipStream_tbENKUlT_T0_SG_SL_E_clIS9_SA_SB_SB_EEDaSZ_S10_SG_SL_EUlSZ_E_NS1_11comp_targetILNS1_3genE3ELNS1_11target_archE908ELNS1_3gpuE7ELNS1_3repE0EEENS1_47radix_sort_onesweep_sort_config_static_selectorELNS0_4arch9wavefront6targetE0EEEvSG_,comdat
	.protected	_ZN7rocprim17ROCPRIM_400000_NS6detail17trampoline_kernelINS0_14default_configENS1_35radix_sort_onesweep_config_selectorIjNS0_10empty_typeEEEZZNS1_29radix_sort_onesweep_iterationIS3_Lb0EPKjPjPS5_SB_mNS0_19identity_decomposerENS1_16block_id_wrapperIjLb1EEEEE10hipError_tT1_PNSt15iterator_traitsISG_E10value_typeET2_T3_PNSH_ISM_E10value_typeET4_T5_PSR_SS_PNS1_23onesweep_lookback_stateEbbT6_jjT7_P12ihipStream_tbENKUlT_T0_SG_SL_E_clIS9_SA_SB_SB_EEDaSZ_S10_SG_SL_EUlSZ_E_NS1_11comp_targetILNS1_3genE3ELNS1_11target_archE908ELNS1_3gpuE7ELNS1_3repE0EEENS1_47radix_sort_onesweep_sort_config_static_selectorELNS0_4arch9wavefront6targetE0EEEvSG_ ; -- Begin function _ZN7rocprim17ROCPRIM_400000_NS6detail17trampoline_kernelINS0_14default_configENS1_35radix_sort_onesweep_config_selectorIjNS0_10empty_typeEEEZZNS1_29radix_sort_onesweep_iterationIS3_Lb0EPKjPjPS5_SB_mNS0_19identity_decomposerENS1_16block_id_wrapperIjLb1EEEEE10hipError_tT1_PNSt15iterator_traitsISG_E10value_typeET2_T3_PNSH_ISM_E10value_typeET4_T5_PSR_SS_PNS1_23onesweep_lookback_stateEbbT6_jjT7_P12ihipStream_tbENKUlT_T0_SG_SL_E_clIS9_SA_SB_SB_EEDaSZ_S10_SG_SL_EUlSZ_E_NS1_11comp_targetILNS1_3genE3ELNS1_11target_archE908ELNS1_3gpuE7ELNS1_3repE0EEENS1_47radix_sort_onesweep_sort_config_static_selectorELNS0_4arch9wavefront6targetE0EEEvSG_
	.globl	_ZN7rocprim17ROCPRIM_400000_NS6detail17trampoline_kernelINS0_14default_configENS1_35radix_sort_onesweep_config_selectorIjNS0_10empty_typeEEEZZNS1_29radix_sort_onesweep_iterationIS3_Lb0EPKjPjPS5_SB_mNS0_19identity_decomposerENS1_16block_id_wrapperIjLb1EEEEE10hipError_tT1_PNSt15iterator_traitsISG_E10value_typeET2_T3_PNSH_ISM_E10value_typeET4_T5_PSR_SS_PNS1_23onesweep_lookback_stateEbbT6_jjT7_P12ihipStream_tbENKUlT_T0_SG_SL_E_clIS9_SA_SB_SB_EEDaSZ_S10_SG_SL_EUlSZ_E_NS1_11comp_targetILNS1_3genE3ELNS1_11target_archE908ELNS1_3gpuE7ELNS1_3repE0EEENS1_47radix_sort_onesweep_sort_config_static_selectorELNS0_4arch9wavefront6targetE0EEEvSG_
	.p2align	8
	.type	_ZN7rocprim17ROCPRIM_400000_NS6detail17trampoline_kernelINS0_14default_configENS1_35radix_sort_onesweep_config_selectorIjNS0_10empty_typeEEEZZNS1_29radix_sort_onesweep_iterationIS3_Lb0EPKjPjPS5_SB_mNS0_19identity_decomposerENS1_16block_id_wrapperIjLb1EEEEE10hipError_tT1_PNSt15iterator_traitsISG_E10value_typeET2_T3_PNSH_ISM_E10value_typeET4_T5_PSR_SS_PNS1_23onesweep_lookback_stateEbbT6_jjT7_P12ihipStream_tbENKUlT_T0_SG_SL_E_clIS9_SA_SB_SB_EEDaSZ_S10_SG_SL_EUlSZ_E_NS1_11comp_targetILNS1_3genE3ELNS1_11target_archE908ELNS1_3gpuE7ELNS1_3repE0EEENS1_47radix_sort_onesweep_sort_config_static_selectorELNS0_4arch9wavefront6targetE0EEEvSG_,@function
_ZN7rocprim17ROCPRIM_400000_NS6detail17trampoline_kernelINS0_14default_configENS1_35radix_sort_onesweep_config_selectorIjNS0_10empty_typeEEEZZNS1_29radix_sort_onesweep_iterationIS3_Lb0EPKjPjPS5_SB_mNS0_19identity_decomposerENS1_16block_id_wrapperIjLb1EEEEE10hipError_tT1_PNSt15iterator_traitsISG_E10value_typeET2_T3_PNSH_ISM_E10value_typeET4_T5_PSR_SS_PNS1_23onesweep_lookback_stateEbbT6_jjT7_P12ihipStream_tbENKUlT_T0_SG_SL_E_clIS9_SA_SB_SB_EEDaSZ_S10_SG_SL_EUlSZ_E_NS1_11comp_targetILNS1_3genE3ELNS1_11target_archE908ELNS1_3gpuE7ELNS1_3repE0EEENS1_47radix_sort_onesweep_sort_config_static_selectorELNS0_4arch9wavefront6targetE0EEEvSG_: ; @_ZN7rocprim17ROCPRIM_400000_NS6detail17trampoline_kernelINS0_14default_configENS1_35radix_sort_onesweep_config_selectorIjNS0_10empty_typeEEEZZNS1_29radix_sort_onesweep_iterationIS3_Lb0EPKjPjPS5_SB_mNS0_19identity_decomposerENS1_16block_id_wrapperIjLb1EEEEE10hipError_tT1_PNSt15iterator_traitsISG_E10value_typeET2_T3_PNSH_ISM_E10value_typeET4_T5_PSR_SS_PNS1_23onesweep_lookback_stateEbbT6_jjT7_P12ihipStream_tbENKUlT_T0_SG_SL_E_clIS9_SA_SB_SB_EEDaSZ_S10_SG_SL_EUlSZ_E_NS1_11comp_targetILNS1_3genE3ELNS1_11target_archE908ELNS1_3gpuE7ELNS1_3repE0EEENS1_47radix_sort_onesweep_sort_config_static_selectorELNS0_4arch9wavefront6targetE0EEEvSG_
; %bb.0:
	.section	.rodata,"a",@progbits
	.p2align	6, 0x0
	.amdhsa_kernel _ZN7rocprim17ROCPRIM_400000_NS6detail17trampoline_kernelINS0_14default_configENS1_35radix_sort_onesweep_config_selectorIjNS0_10empty_typeEEEZZNS1_29radix_sort_onesweep_iterationIS3_Lb0EPKjPjPS5_SB_mNS0_19identity_decomposerENS1_16block_id_wrapperIjLb1EEEEE10hipError_tT1_PNSt15iterator_traitsISG_E10value_typeET2_T3_PNSH_ISM_E10value_typeET4_T5_PSR_SS_PNS1_23onesweep_lookback_stateEbbT6_jjT7_P12ihipStream_tbENKUlT_T0_SG_SL_E_clIS9_SA_SB_SB_EEDaSZ_S10_SG_SL_EUlSZ_E_NS1_11comp_targetILNS1_3genE3ELNS1_11target_archE908ELNS1_3gpuE7ELNS1_3repE0EEENS1_47radix_sort_onesweep_sort_config_static_selectorELNS0_4arch9wavefront6targetE0EEEvSG_
		.amdhsa_group_segment_fixed_size 0
		.amdhsa_private_segment_fixed_size 0
		.amdhsa_kernarg_size 88
		.amdhsa_user_sgpr_count 2
		.amdhsa_user_sgpr_dispatch_ptr 0
		.amdhsa_user_sgpr_queue_ptr 0
		.amdhsa_user_sgpr_kernarg_segment_ptr 1
		.amdhsa_user_sgpr_dispatch_id 0
		.amdhsa_user_sgpr_kernarg_preload_length 0
		.amdhsa_user_sgpr_kernarg_preload_offset 0
		.amdhsa_user_sgpr_private_segment_size 0
		.amdhsa_wavefront_size32 1
		.amdhsa_uses_dynamic_stack 0
		.amdhsa_enable_private_segment 0
		.amdhsa_system_sgpr_workgroup_id_x 1
		.amdhsa_system_sgpr_workgroup_id_y 0
		.amdhsa_system_sgpr_workgroup_id_z 0
		.amdhsa_system_sgpr_workgroup_info 0
		.amdhsa_system_vgpr_workitem_id 0
		.amdhsa_next_free_vgpr 1
		.amdhsa_next_free_sgpr 1
		.amdhsa_named_barrier_count 0
		.amdhsa_reserve_vcc 0
		.amdhsa_float_round_mode_32 0
		.amdhsa_float_round_mode_16_64 0
		.amdhsa_float_denorm_mode_32 3
		.amdhsa_float_denorm_mode_16_64 3
		.amdhsa_fp16_overflow 0
		.amdhsa_memory_ordered 1
		.amdhsa_forward_progress 1
		.amdhsa_inst_pref_size 0
		.amdhsa_round_robin_scheduling 0
		.amdhsa_exception_fp_ieee_invalid_op 0
		.amdhsa_exception_fp_denorm_src 0
		.amdhsa_exception_fp_ieee_div_zero 0
		.amdhsa_exception_fp_ieee_overflow 0
		.amdhsa_exception_fp_ieee_underflow 0
		.amdhsa_exception_fp_ieee_inexact 0
		.amdhsa_exception_int_div_zero 0
	.end_amdhsa_kernel
	.section	.text._ZN7rocprim17ROCPRIM_400000_NS6detail17trampoline_kernelINS0_14default_configENS1_35radix_sort_onesweep_config_selectorIjNS0_10empty_typeEEEZZNS1_29radix_sort_onesweep_iterationIS3_Lb0EPKjPjPS5_SB_mNS0_19identity_decomposerENS1_16block_id_wrapperIjLb1EEEEE10hipError_tT1_PNSt15iterator_traitsISG_E10value_typeET2_T3_PNSH_ISM_E10value_typeET4_T5_PSR_SS_PNS1_23onesweep_lookback_stateEbbT6_jjT7_P12ihipStream_tbENKUlT_T0_SG_SL_E_clIS9_SA_SB_SB_EEDaSZ_S10_SG_SL_EUlSZ_E_NS1_11comp_targetILNS1_3genE3ELNS1_11target_archE908ELNS1_3gpuE7ELNS1_3repE0EEENS1_47radix_sort_onesweep_sort_config_static_selectorELNS0_4arch9wavefront6targetE0EEEvSG_,"axG",@progbits,_ZN7rocprim17ROCPRIM_400000_NS6detail17trampoline_kernelINS0_14default_configENS1_35radix_sort_onesweep_config_selectorIjNS0_10empty_typeEEEZZNS1_29radix_sort_onesweep_iterationIS3_Lb0EPKjPjPS5_SB_mNS0_19identity_decomposerENS1_16block_id_wrapperIjLb1EEEEE10hipError_tT1_PNSt15iterator_traitsISG_E10value_typeET2_T3_PNSH_ISM_E10value_typeET4_T5_PSR_SS_PNS1_23onesweep_lookback_stateEbbT6_jjT7_P12ihipStream_tbENKUlT_T0_SG_SL_E_clIS9_SA_SB_SB_EEDaSZ_S10_SG_SL_EUlSZ_E_NS1_11comp_targetILNS1_3genE3ELNS1_11target_archE908ELNS1_3gpuE7ELNS1_3repE0EEENS1_47radix_sort_onesweep_sort_config_static_selectorELNS0_4arch9wavefront6targetE0EEEvSG_,comdat
.Lfunc_end2749:
	.size	_ZN7rocprim17ROCPRIM_400000_NS6detail17trampoline_kernelINS0_14default_configENS1_35radix_sort_onesweep_config_selectorIjNS0_10empty_typeEEEZZNS1_29radix_sort_onesweep_iterationIS3_Lb0EPKjPjPS5_SB_mNS0_19identity_decomposerENS1_16block_id_wrapperIjLb1EEEEE10hipError_tT1_PNSt15iterator_traitsISG_E10value_typeET2_T3_PNSH_ISM_E10value_typeET4_T5_PSR_SS_PNS1_23onesweep_lookback_stateEbbT6_jjT7_P12ihipStream_tbENKUlT_T0_SG_SL_E_clIS9_SA_SB_SB_EEDaSZ_S10_SG_SL_EUlSZ_E_NS1_11comp_targetILNS1_3genE3ELNS1_11target_archE908ELNS1_3gpuE7ELNS1_3repE0EEENS1_47radix_sort_onesweep_sort_config_static_selectorELNS0_4arch9wavefront6targetE0EEEvSG_, .Lfunc_end2749-_ZN7rocprim17ROCPRIM_400000_NS6detail17trampoline_kernelINS0_14default_configENS1_35radix_sort_onesweep_config_selectorIjNS0_10empty_typeEEEZZNS1_29radix_sort_onesweep_iterationIS3_Lb0EPKjPjPS5_SB_mNS0_19identity_decomposerENS1_16block_id_wrapperIjLb1EEEEE10hipError_tT1_PNSt15iterator_traitsISG_E10value_typeET2_T3_PNSH_ISM_E10value_typeET4_T5_PSR_SS_PNS1_23onesweep_lookback_stateEbbT6_jjT7_P12ihipStream_tbENKUlT_T0_SG_SL_E_clIS9_SA_SB_SB_EEDaSZ_S10_SG_SL_EUlSZ_E_NS1_11comp_targetILNS1_3genE3ELNS1_11target_archE908ELNS1_3gpuE7ELNS1_3repE0EEENS1_47radix_sort_onesweep_sort_config_static_selectorELNS0_4arch9wavefront6targetE0EEEvSG_
                                        ; -- End function
	.set _ZN7rocprim17ROCPRIM_400000_NS6detail17trampoline_kernelINS0_14default_configENS1_35radix_sort_onesweep_config_selectorIjNS0_10empty_typeEEEZZNS1_29radix_sort_onesweep_iterationIS3_Lb0EPKjPjPS5_SB_mNS0_19identity_decomposerENS1_16block_id_wrapperIjLb1EEEEE10hipError_tT1_PNSt15iterator_traitsISG_E10value_typeET2_T3_PNSH_ISM_E10value_typeET4_T5_PSR_SS_PNS1_23onesweep_lookback_stateEbbT6_jjT7_P12ihipStream_tbENKUlT_T0_SG_SL_E_clIS9_SA_SB_SB_EEDaSZ_S10_SG_SL_EUlSZ_E_NS1_11comp_targetILNS1_3genE3ELNS1_11target_archE908ELNS1_3gpuE7ELNS1_3repE0EEENS1_47radix_sort_onesweep_sort_config_static_selectorELNS0_4arch9wavefront6targetE0EEEvSG_.num_vgpr, 0
	.set _ZN7rocprim17ROCPRIM_400000_NS6detail17trampoline_kernelINS0_14default_configENS1_35radix_sort_onesweep_config_selectorIjNS0_10empty_typeEEEZZNS1_29radix_sort_onesweep_iterationIS3_Lb0EPKjPjPS5_SB_mNS0_19identity_decomposerENS1_16block_id_wrapperIjLb1EEEEE10hipError_tT1_PNSt15iterator_traitsISG_E10value_typeET2_T3_PNSH_ISM_E10value_typeET4_T5_PSR_SS_PNS1_23onesweep_lookback_stateEbbT6_jjT7_P12ihipStream_tbENKUlT_T0_SG_SL_E_clIS9_SA_SB_SB_EEDaSZ_S10_SG_SL_EUlSZ_E_NS1_11comp_targetILNS1_3genE3ELNS1_11target_archE908ELNS1_3gpuE7ELNS1_3repE0EEENS1_47radix_sort_onesweep_sort_config_static_selectorELNS0_4arch9wavefront6targetE0EEEvSG_.num_agpr, 0
	.set _ZN7rocprim17ROCPRIM_400000_NS6detail17trampoline_kernelINS0_14default_configENS1_35radix_sort_onesweep_config_selectorIjNS0_10empty_typeEEEZZNS1_29radix_sort_onesweep_iterationIS3_Lb0EPKjPjPS5_SB_mNS0_19identity_decomposerENS1_16block_id_wrapperIjLb1EEEEE10hipError_tT1_PNSt15iterator_traitsISG_E10value_typeET2_T3_PNSH_ISM_E10value_typeET4_T5_PSR_SS_PNS1_23onesweep_lookback_stateEbbT6_jjT7_P12ihipStream_tbENKUlT_T0_SG_SL_E_clIS9_SA_SB_SB_EEDaSZ_S10_SG_SL_EUlSZ_E_NS1_11comp_targetILNS1_3genE3ELNS1_11target_archE908ELNS1_3gpuE7ELNS1_3repE0EEENS1_47radix_sort_onesweep_sort_config_static_selectorELNS0_4arch9wavefront6targetE0EEEvSG_.numbered_sgpr, 0
	.set _ZN7rocprim17ROCPRIM_400000_NS6detail17trampoline_kernelINS0_14default_configENS1_35radix_sort_onesweep_config_selectorIjNS0_10empty_typeEEEZZNS1_29radix_sort_onesweep_iterationIS3_Lb0EPKjPjPS5_SB_mNS0_19identity_decomposerENS1_16block_id_wrapperIjLb1EEEEE10hipError_tT1_PNSt15iterator_traitsISG_E10value_typeET2_T3_PNSH_ISM_E10value_typeET4_T5_PSR_SS_PNS1_23onesweep_lookback_stateEbbT6_jjT7_P12ihipStream_tbENKUlT_T0_SG_SL_E_clIS9_SA_SB_SB_EEDaSZ_S10_SG_SL_EUlSZ_E_NS1_11comp_targetILNS1_3genE3ELNS1_11target_archE908ELNS1_3gpuE7ELNS1_3repE0EEENS1_47radix_sort_onesweep_sort_config_static_selectorELNS0_4arch9wavefront6targetE0EEEvSG_.num_named_barrier, 0
	.set _ZN7rocprim17ROCPRIM_400000_NS6detail17trampoline_kernelINS0_14default_configENS1_35radix_sort_onesweep_config_selectorIjNS0_10empty_typeEEEZZNS1_29radix_sort_onesweep_iterationIS3_Lb0EPKjPjPS5_SB_mNS0_19identity_decomposerENS1_16block_id_wrapperIjLb1EEEEE10hipError_tT1_PNSt15iterator_traitsISG_E10value_typeET2_T3_PNSH_ISM_E10value_typeET4_T5_PSR_SS_PNS1_23onesweep_lookback_stateEbbT6_jjT7_P12ihipStream_tbENKUlT_T0_SG_SL_E_clIS9_SA_SB_SB_EEDaSZ_S10_SG_SL_EUlSZ_E_NS1_11comp_targetILNS1_3genE3ELNS1_11target_archE908ELNS1_3gpuE7ELNS1_3repE0EEENS1_47radix_sort_onesweep_sort_config_static_selectorELNS0_4arch9wavefront6targetE0EEEvSG_.private_seg_size, 0
	.set _ZN7rocprim17ROCPRIM_400000_NS6detail17trampoline_kernelINS0_14default_configENS1_35radix_sort_onesweep_config_selectorIjNS0_10empty_typeEEEZZNS1_29radix_sort_onesweep_iterationIS3_Lb0EPKjPjPS5_SB_mNS0_19identity_decomposerENS1_16block_id_wrapperIjLb1EEEEE10hipError_tT1_PNSt15iterator_traitsISG_E10value_typeET2_T3_PNSH_ISM_E10value_typeET4_T5_PSR_SS_PNS1_23onesweep_lookback_stateEbbT6_jjT7_P12ihipStream_tbENKUlT_T0_SG_SL_E_clIS9_SA_SB_SB_EEDaSZ_S10_SG_SL_EUlSZ_E_NS1_11comp_targetILNS1_3genE3ELNS1_11target_archE908ELNS1_3gpuE7ELNS1_3repE0EEENS1_47radix_sort_onesweep_sort_config_static_selectorELNS0_4arch9wavefront6targetE0EEEvSG_.uses_vcc, 0
	.set _ZN7rocprim17ROCPRIM_400000_NS6detail17trampoline_kernelINS0_14default_configENS1_35radix_sort_onesweep_config_selectorIjNS0_10empty_typeEEEZZNS1_29radix_sort_onesweep_iterationIS3_Lb0EPKjPjPS5_SB_mNS0_19identity_decomposerENS1_16block_id_wrapperIjLb1EEEEE10hipError_tT1_PNSt15iterator_traitsISG_E10value_typeET2_T3_PNSH_ISM_E10value_typeET4_T5_PSR_SS_PNS1_23onesweep_lookback_stateEbbT6_jjT7_P12ihipStream_tbENKUlT_T0_SG_SL_E_clIS9_SA_SB_SB_EEDaSZ_S10_SG_SL_EUlSZ_E_NS1_11comp_targetILNS1_3genE3ELNS1_11target_archE908ELNS1_3gpuE7ELNS1_3repE0EEENS1_47radix_sort_onesweep_sort_config_static_selectorELNS0_4arch9wavefront6targetE0EEEvSG_.uses_flat_scratch, 0
	.set _ZN7rocprim17ROCPRIM_400000_NS6detail17trampoline_kernelINS0_14default_configENS1_35radix_sort_onesweep_config_selectorIjNS0_10empty_typeEEEZZNS1_29radix_sort_onesweep_iterationIS3_Lb0EPKjPjPS5_SB_mNS0_19identity_decomposerENS1_16block_id_wrapperIjLb1EEEEE10hipError_tT1_PNSt15iterator_traitsISG_E10value_typeET2_T3_PNSH_ISM_E10value_typeET4_T5_PSR_SS_PNS1_23onesweep_lookback_stateEbbT6_jjT7_P12ihipStream_tbENKUlT_T0_SG_SL_E_clIS9_SA_SB_SB_EEDaSZ_S10_SG_SL_EUlSZ_E_NS1_11comp_targetILNS1_3genE3ELNS1_11target_archE908ELNS1_3gpuE7ELNS1_3repE0EEENS1_47radix_sort_onesweep_sort_config_static_selectorELNS0_4arch9wavefront6targetE0EEEvSG_.has_dyn_sized_stack, 0
	.set _ZN7rocprim17ROCPRIM_400000_NS6detail17trampoline_kernelINS0_14default_configENS1_35radix_sort_onesweep_config_selectorIjNS0_10empty_typeEEEZZNS1_29radix_sort_onesweep_iterationIS3_Lb0EPKjPjPS5_SB_mNS0_19identity_decomposerENS1_16block_id_wrapperIjLb1EEEEE10hipError_tT1_PNSt15iterator_traitsISG_E10value_typeET2_T3_PNSH_ISM_E10value_typeET4_T5_PSR_SS_PNS1_23onesweep_lookback_stateEbbT6_jjT7_P12ihipStream_tbENKUlT_T0_SG_SL_E_clIS9_SA_SB_SB_EEDaSZ_S10_SG_SL_EUlSZ_E_NS1_11comp_targetILNS1_3genE3ELNS1_11target_archE908ELNS1_3gpuE7ELNS1_3repE0EEENS1_47radix_sort_onesweep_sort_config_static_selectorELNS0_4arch9wavefront6targetE0EEEvSG_.has_recursion, 0
	.set _ZN7rocprim17ROCPRIM_400000_NS6detail17trampoline_kernelINS0_14default_configENS1_35radix_sort_onesweep_config_selectorIjNS0_10empty_typeEEEZZNS1_29radix_sort_onesweep_iterationIS3_Lb0EPKjPjPS5_SB_mNS0_19identity_decomposerENS1_16block_id_wrapperIjLb1EEEEE10hipError_tT1_PNSt15iterator_traitsISG_E10value_typeET2_T3_PNSH_ISM_E10value_typeET4_T5_PSR_SS_PNS1_23onesweep_lookback_stateEbbT6_jjT7_P12ihipStream_tbENKUlT_T0_SG_SL_E_clIS9_SA_SB_SB_EEDaSZ_S10_SG_SL_EUlSZ_E_NS1_11comp_targetILNS1_3genE3ELNS1_11target_archE908ELNS1_3gpuE7ELNS1_3repE0EEENS1_47radix_sort_onesweep_sort_config_static_selectorELNS0_4arch9wavefront6targetE0EEEvSG_.has_indirect_call, 0
	.section	.AMDGPU.csdata,"",@progbits
; Kernel info:
; codeLenInByte = 0
; TotalNumSgprs: 0
; NumVgprs: 0
; ScratchSize: 0
; MemoryBound: 0
; FloatMode: 240
; IeeeMode: 1
; LDSByteSize: 0 bytes/workgroup (compile time only)
; SGPRBlocks: 0
; VGPRBlocks: 0
; NumSGPRsForWavesPerEU: 1
; NumVGPRsForWavesPerEU: 1
; NamedBarCnt: 0
; Occupancy: 16
; WaveLimiterHint : 0
; COMPUTE_PGM_RSRC2:SCRATCH_EN: 0
; COMPUTE_PGM_RSRC2:USER_SGPR: 2
; COMPUTE_PGM_RSRC2:TRAP_HANDLER: 0
; COMPUTE_PGM_RSRC2:TGID_X_EN: 1
; COMPUTE_PGM_RSRC2:TGID_Y_EN: 0
; COMPUTE_PGM_RSRC2:TGID_Z_EN: 0
; COMPUTE_PGM_RSRC2:TIDIG_COMP_CNT: 0
	.section	.text._ZN7rocprim17ROCPRIM_400000_NS6detail17trampoline_kernelINS0_14default_configENS1_35radix_sort_onesweep_config_selectorIjNS0_10empty_typeEEEZZNS1_29radix_sort_onesweep_iterationIS3_Lb0EPKjPjPS5_SB_mNS0_19identity_decomposerENS1_16block_id_wrapperIjLb1EEEEE10hipError_tT1_PNSt15iterator_traitsISG_E10value_typeET2_T3_PNSH_ISM_E10value_typeET4_T5_PSR_SS_PNS1_23onesweep_lookback_stateEbbT6_jjT7_P12ihipStream_tbENKUlT_T0_SG_SL_E_clIS9_SA_SB_SB_EEDaSZ_S10_SG_SL_EUlSZ_E_NS1_11comp_targetILNS1_3genE10ELNS1_11target_archE1201ELNS1_3gpuE5ELNS1_3repE0EEENS1_47radix_sort_onesweep_sort_config_static_selectorELNS0_4arch9wavefront6targetE0EEEvSG_,"axG",@progbits,_ZN7rocprim17ROCPRIM_400000_NS6detail17trampoline_kernelINS0_14default_configENS1_35radix_sort_onesweep_config_selectorIjNS0_10empty_typeEEEZZNS1_29radix_sort_onesweep_iterationIS3_Lb0EPKjPjPS5_SB_mNS0_19identity_decomposerENS1_16block_id_wrapperIjLb1EEEEE10hipError_tT1_PNSt15iterator_traitsISG_E10value_typeET2_T3_PNSH_ISM_E10value_typeET4_T5_PSR_SS_PNS1_23onesweep_lookback_stateEbbT6_jjT7_P12ihipStream_tbENKUlT_T0_SG_SL_E_clIS9_SA_SB_SB_EEDaSZ_S10_SG_SL_EUlSZ_E_NS1_11comp_targetILNS1_3genE10ELNS1_11target_archE1201ELNS1_3gpuE5ELNS1_3repE0EEENS1_47radix_sort_onesweep_sort_config_static_selectorELNS0_4arch9wavefront6targetE0EEEvSG_,comdat
	.protected	_ZN7rocprim17ROCPRIM_400000_NS6detail17trampoline_kernelINS0_14default_configENS1_35radix_sort_onesweep_config_selectorIjNS0_10empty_typeEEEZZNS1_29radix_sort_onesweep_iterationIS3_Lb0EPKjPjPS5_SB_mNS0_19identity_decomposerENS1_16block_id_wrapperIjLb1EEEEE10hipError_tT1_PNSt15iterator_traitsISG_E10value_typeET2_T3_PNSH_ISM_E10value_typeET4_T5_PSR_SS_PNS1_23onesweep_lookback_stateEbbT6_jjT7_P12ihipStream_tbENKUlT_T0_SG_SL_E_clIS9_SA_SB_SB_EEDaSZ_S10_SG_SL_EUlSZ_E_NS1_11comp_targetILNS1_3genE10ELNS1_11target_archE1201ELNS1_3gpuE5ELNS1_3repE0EEENS1_47radix_sort_onesweep_sort_config_static_selectorELNS0_4arch9wavefront6targetE0EEEvSG_ ; -- Begin function _ZN7rocprim17ROCPRIM_400000_NS6detail17trampoline_kernelINS0_14default_configENS1_35radix_sort_onesweep_config_selectorIjNS0_10empty_typeEEEZZNS1_29radix_sort_onesweep_iterationIS3_Lb0EPKjPjPS5_SB_mNS0_19identity_decomposerENS1_16block_id_wrapperIjLb1EEEEE10hipError_tT1_PNSt15iterator_traitsISG_E10value_typeET2_T3_PNSH_ISM_E10value_typeET4_T5_PSR_SS_PNS1_23onesweep_lookback_stateEbbT6_jjT7_P12ihipStream_tbENKUlT_T0_SG_SL_E_clIS9_SA_SB_SB_EEDaSZ_S10_SG_SL_EUlSZ_E_NS1_11comp_targetILNS1_3genE10ELNS1_11target_archE1201ELNS1_3gpuE5ELNS1_3repE0EEENS1_47radix_sort_onesweep_sort_config_static_selectorELNS0_4arch9wavefront6targetE0EEEvSG_
	.globl	_ZN7rocprim17ROCPRIM_400000_NS6detail17trampoline_kernelINS0_14default_configENS1_35radix_sort_onesweep_config_selectorIjNS0_10empty_typeEEEZZNS1_29radix_sort_onesweep_iterationIS3_Lb0EPKjPjPS5_SB_mNS0_19identity_decomposerENS1_16block_id_wrapperIjLb1EEEEE10hipError_tT1_PNSt15iterator_traitsISG_E10value_typeET2_T3_PNSH_ISM_E10value_typeET4_T5_PSR_SS_PNS1_23onesweep_lookback_stateEbbT6_jjT7_P12ihipStream_tbENKUlT_T0_SG_SL_E_clIS9_SA_SB_SB_EEDaSZ_S10_SG_SL_EUlSZ_E_NS1_11comp_targetILNS1_3genE10ELNS1_11target_archE1201ELNS1_3gpuE5ELNS1_3repE0EEENS1_47radix_sort_onesweep_sort_config_static_selectorELNS0_4arch9wavefront6targetE0EEEvSG_
	.p2align	8
	.type	_ZN7rocprim17ROCPRIM_400000_NS6detail17trampoline_kernelINS0_14default_configENS1_35radix_sort_onesweep_config_selectorIjNS0_10empty_typeEEEZZNS1_29radix_sort_onesweep_iterationIS3_Lb0EPKjPjPS5_SB_mNS0_19identity_decomposerENS1_16block_id_wrapperIjLb1EEEEE10hipError_tT1_PNSt15iterator_traitsISG_E10value_typeET2_T3_PNSH_ISM_E10value_typeET4_T5_PSR_SS_PNS1_23onesweep_lookback_stateEbbT6_jjT7_P12ihipStream_tbENKUlT_T0_SG_SL_E_clIS9_SA_SB_SB_EEDaSZ_S10_SG_SL_EUlSZ_E_NS1_11comp_targetILNS1_3genE10ELNS1_11target_archE1201ELNS1_3gpuE5ELNS1_3repE0EEENS1_47radix_sort_onesweep_sort_config_static_selectorELNS0_4arch9wavefront6targetE0EEEvSG_,@function
_ZN7rocprim17ROCPRIM_400000_NS6detail17trampoline_kernelINS0_14default_configENS1_35radix_sort_onesweep_config_selectorIjNS0_10empty_typeEEEZZNS1_29radix_sort_onesweep_iterationIS3_Lb0EPKjPjPS5_SB_mNS0_19identity_decomposerENS1_16block_id_wrapperIjLb1EEEEE10hipError_tT1_PNSt15iterator_traitsISG_E10value_typeET2_T3_PNSH_ISM_E10value_typeET4_T5_PSR_SS_PNS1_23onesweep_lookback_stateEbbT6_jjT7_P12ihipStream_tbENKUlT_T0_SG_SL_E_clIS9_SA_SB_SB_EEDaSZ_S10_SG_SL_EUlSZ_E_NS1_11comp_targetILNS1_3genE10ELNS1_11target_archE1201ELNS1_3gpuE5ELNS1_3repE0EEENS1_47radix_sort_onesweep_sort_config_static_selectorELNS0_4arch9wavefront6targetE0EEEvSG_: ; @_ZN7rocprim17ROCPRIM_400000_NS6detail17trampoline_kernelINS0_14default_configENS1_35radix_sort_onesweep_config_selectorIjNS0_10empty_typeEEEZZNS1_29radix_sort_onesweep_iterationIS3_Lb0EPKjPjPS5_SB_mNS0_19identity_decomposerENS1_16block_id_wrapperIjLb1EEEEE10hipError_tT1_PNSt15iterator_traitsISG_E10value_typeET2_T3_PNSH_ISM_E10value_typeET4_T5_PSR_SS_PNS1_23onesweep_lookback_stateEbbT6_jjT7_P12ihipStream_tbENKUlT_T0_SG_SL_E_clIS9_SA_SB_SB_EEDaSZ_S10_SG_SL_EUlSZ_E_NS1_11comp_targetILNS1_3genE10ELNS1_11target_archE1201ELNS1_3gpuE5ELNS1_3repE0EEENS1_47radix_sort_onesweep_sort_config_static_selectorELNS0_4arch9wavefront6targetE0EEEvSG_
; %bb.0:
	.section	.rodata,"a",@progbits
	.p2align	6, 0x0
	.amdhsa_kernel _ZN7rocprim17ROCPRIM_400000_NS6detail17trampoline_kernelINS0_14default_configENS1_35radix_sort_onesweep_config_selectorIjNS0_10empty_typeEEEZZNS1_29radix_sort_onesweep_iterationIS3_Lb0EPKjPjPS5_SB_mNS0_19identity_decomposerENS1_16block_id_wrapperIjLb1EEEEE10hipError_tT1_PNSt15iterator_traitsISG_E10value_typeET2_T3_PNSH_ISM_E10value_typeET4_T5_PSR_SS_PNS1_23onesweep_lookback_stateEbbT6_jjT7_P12ihipStream_tbENKUlT_T0_SG_SL_E_clIS9_SA_SB_SB_EEDaSZ_S10_SG_SL_EUlSZ_E_NS1_11comp_targetILNS1_3genE10ELNS1_11target_archE1201ELNS1_3gpuE5ELNS1_3repE0EEENS1_47radix_sort_onesweep_sort_config_static_selectorELNS0_4arch9wavefront6targetE0EEEvSG_
		.amdhsa_group_segment_fixed_size 0
		.amdhsa_private_segment_fixed_size 0
		.amdhsa_kernarg_size 88
		.amdhsa_user_sgpr_count 2
		.amdhsa_user_sgpr_dispatch_ptr 0
		.amdhsa_user_sgpr_queue_ptr 0
		.amdhsa_user_sgpr_kernarg_segment_ptr 1
		.amdhsa_user_sgpr_dispatch_id 0
		.amdhsa_user_sgpr_kernarg_preload_length 0
		.amdhsa_user_sgpr_kernarg_preload_offset 0
		.amdhsa_user_sgpr_private_segment_size 0
		.amdhsa_wavefront_size32 1
		.amdhsa_uses_dynamic_stack 0
		.amdhsa_enable_private_segment 0
		.amdhsa_system_sgpr_workgroup_id_x 1
		.amdhsa_system_sgpr_workgroup_id_y 0
		.amdhsa_system_sgpr_workgroup_id_z 0
		.amdhsa_system_sgpr_workgroup_info 0
		.amdhsa_system_vgpr_workitem_id 0
		.amdhsa_next_free_vgpr 1
		.amdhsa_next_free_sgpr 1
		.amdhsa_named_barrier_count 0
		.amdhsa_reserve_vcc 0
		.amdhsa_float_round_mode_32 0
		.amdhsa_float_round_mode_16_64 0
		.amdhsa_float_denorm_mode_32 3
		.amdhsa_float_denorm_mode_16_64 3
		.amdhsa_fp16_overflow 0
		.amdhsa_memory_ordered 1
		.amdhsa_forward_progress 1
		.amdhsa_inst_pref_size 0
		.amdhsa_round_robin_scheduling 0
		.amdhsa_exception_fp_ieee_invalid_op 0
		.amdhsa_exception_fp_denorm_src 0
		.amdhsa_exception_fp_ieee_div_zero 0
		.amdhsa_exception_fp_ieee_overflow 0
		.amdhsa_exception_fp_ieee_underflow 0
		.amdhsa_exception_fp_ieee_inexact 0
		.amdhsa_exception_int_div_zero 0
	.end_amdhsa_kernel
	.section	.text._ZN7rocprim17ROCPRIM_400000_NS6detail17trampoline_kernelINS0_14default_configENS1_35radix_sort_onesweep_config_selectorIjNS0_10empty_typeEEEZZNS1_29radix_sort_onesweep_iterationIS3_Lb0EPKjPjPS5_SB_mNS0_19identity_decomposerENS1_16block_id_wrapperIjLb1EEEEE10hipError_tT1_PNSt15iterator_traitsISG_E10value_typeET2_T3_PNSH_ISM_E10value_typeET4_T5_PSR_SS_PNS1_23onesweep_lookback_stateEbbT6_jjT7_P12ihipStream_tbENKUlT_T0_SG_SL_E_clIS9_SA_SB_SB_EEDaSZ_S10_SG_SL_EUlSZ_E_NS1_11comp_targetILNS1_3genE10ELNS1_11target_archE1201ELNS1_3gpuE5ELNS1_3repE0EEENS1_47radix_sort_onesweep_sort_config_static_selectorELNS0_4arch9wavefront6targetE0EEEvSG_,"axG",@progbits,_ZN7rocprim17ROCPRIM_400000_NS6detail17trampoline_kernelINS0_14default_configENS1_35radix_sort_onesweep_config_selectorIjNS0_10empty_typeEEEZZNS1_29radix_sort_onesweep_iterationIS3_Lb0EPKjPjPS5_SB_mNS0_19identity_decomposerENS1_16block_id_wrapperIjLb1EEEEE10hipError_tT1_PNSt15iterator_traitsISG_E10value_typeET2_T3_PNSH_ISM_E10value_typeET4_T5_PSR_SS_PNS1_23onesweep_lookback_stateEbbT6_jjT7_P12ihipStream_tbENKUlT_T0_SG_SL_E_clIS9_SA_SB_SB_EEDaSZ_S10_SG_SL_EUlSZ_E_NS1_11comp_targetILNS1_3genE10ELNS1_11target_archE1201ELNS1_3gpuE5ELNS1_3repE0EEENS1_47radix_sort_onesweep_sort_config_static_selectorELNS0_4arch9wavefront6targetE0EEEvSG_,comdat
.Lfunc_end2750:
	.size	_ZN7rocprim17ROCPRIM_400000_NS6detail17trampoline_kernelINS0_14default_configENS1_35radix_sort_onesweep_config_selectorIjNS0_10empty_typeEEEZZNS1_29radix_sort_onesweep_iterationIS3_Lb0EPKjPjPS5_SB_mNS0_19identity_decomposerENS1_16block_id_wrapperIjLb1EEEEE10hipError_tT1_PNSt15iterator_traitsISG_E10value_typeET2_T3_PNSH_ISM_E10value_typeET4_T5_PSR_SS_PNS1_23onesweep_lookback_stateEbbT6_jjT7_P12ihipStream_tbENKUlT_T0_SG_SL_E_clIS9_SA_SB_SB_EEDaSZ_S10_SG_SL_EUlSZ_E_NS1_11comp_targetILNS1_3genE10ELNS1_11target_archE1201ELNS1_3gpuE5ELNS1_3repE0EEENS1_47radix_sort_onesweep_sort_config_static_selectorELNS0_4arch9wavefront6targetE0EEEvSG_, .Lfunc_end2750-_ZN7rocprim17ROCPRIM_400000_NS6detail17trampoline_kernelINS0_14default_configENS1_35radix_sort_onesweep_config_selectorIjNS0_10empty_typeEEEZZNS1_29radix_sort_onesweep_iterationIS3_Lb0EPKjPjPS5_SB_mNS0_19identity_decomposerENS1_16block_id_wrapperIjLb1EEEEE10hipError_tT1_PNSt15iterator_traitsISG_E10value_typeET2_T3_PNSH_ISM_E10value_typeET4_T5_PSR_SS_PNS1_23onesweep_lookback_stateEbbT6_jjT7_P12ihipStream_tbENKUlT_T0_SG_SL_E_clIS9_SA_SB_SB_EEDaSZ_S10_SG_SL_EUlSZ_E_NS1_11comp_targetILNS1_3genE10ELNS1_11target_archE1201ELNS1_3gpuE5ELNS1_3repE0EEENS1_47radix_sort_onesweep_sort_config_static_selectorELNS0_4arch9wavefront6targetE0EEEvSG_
                                        ; -- End function
	.set _ZN7rocprim17ROCPRIM_400000_NS6detail17trampoline_kernelINS0_14default_configENS1_35radix_sort_onesweep_config_selectorIjNS0_10empty_typeEEEZZNS1_29radix_sort_onesweep_iterationIS3_Lb0EPKjPjPS5_SB_mNS0_19identity_decomposerENS1_16block_id_wrapperIjLb1EEEEE10hipError_tT1_PNSt15iterator_traitsISG_E10value_typeET2_T3_PNSH_ISM_E10value_typeET4_T5_PSR_SS_PNS1_23onesweep_lookback_stateEbbT6_jjT7_P12ihipStream_tbENKUlT_T0_SG_SL_E_clIS9_SA_SB_SB_EEDaSZ_S10_SG_SL_EUlSZ_E_NS1_11comp_targetILNS1_3genE10ELNS1_11target_archE1201ELNS1_3gpuE5ELNS1_3repE0EEENS1_47radix_sort_onesweep_sort_config_static_selectorELNS0_4arch9wavefront6targetE0EEEvSG_.num_vgpr, 0
	.set _ZN7rocprim17ROCPRIM_400000_NS6detail17trampoline_kernelINS0_14default_configENS1_35radix_sort_onesweep_config_selectorIjNS0_10empty_typeEEEZZNS1_29radix_sort_onesweep_iterationIS3_Lb0EPKjPjPS5_SB_mNS0_19identity_decomposerENS1_16block_id_wrapperIjLb1EEEEE10hipError_tT1_PNSt15iterator_traitsISG_E10value_typeET2_T3_PNSH_ISM_E10value_typeET4_T5_PSR_SS_PNS1_23onesweep_lookback_stateEbbT6_jjT7_P12ihipStream_tbENKUlT_T0_SG_SL_E_clIS9_SA_SB_SB_EEDaSZ_S10_SG_SL_EUlSZ_E_NS1_11comp_targetILNS1_3genE10ELNS1_11target_archE1201ELNS1_3gpuE5ELNS1_3repE0EEENS1_47radix_sort_onesweep_sort_config_static_selectorELNS0_4arch9wavefront6targetE0EEEvSG_.num_agpr, 0
	.set _ZN7rocprim17ROCPRIM_400000_NS6detail17trampoline_kernelINS0_14default_configENS1_35radix_sort_onesweep_config_selectorIjNS0_10empty_typeEEEZZNS1_29radix_sort_onesweep_iterationIS3_Lb0EPKjPjPS5_SB_mNS0_19identity_decomposerENS1_16block_id_wrapperIjLb1EEEEE10hipError_tT1_PNSt15iterator_traitsISG_E10value_typeET2_T3_PNSH_ISM_E10value_typeET4_T5_PSR_SS_PNS1_23onesweep_lookback_stateEbbT6_jjT7_P12ihipStream_tbENKUlT_T0_SG_SL_E_clIS9_SA_SB_SB_EEDaSZ_S10_SG_SL_EUlSZ_E_NS1_11comp_targetILNS1_3genE10ELNS1_11target_archE1201ELNS1_3gpuE5ELNS1_3repE0EEENS1_47radix_sort_onesweep_sort_config_static_selectorELNS0_4arch9wavefront6targetE0EEEvSG_.numbered_sgpr, 0
	.set _ZN7rocprim17ROCPRIM_400000_NS6detail17trampoline_kernelINS0_14default_configENS1_35radix_sort_onesweep_config_selectorIjNS0_10empty_typeEEEZZNS1_29radix_sort_onesweep_iterationIS3_Lb0EPKjPjPS5_SB_mNS0_19identity_decomposerENS1_16block_id_wrapperIjLb1EEEEE10hipError_tT1_PNSt15iterator_traitsISG_E10value_typeET2_T3_PNSH_ISM_E10value_typeET4_T5_PSR_SS_PNS1_23onesweep_lookback_stateEbbT6_jjT7_P12ihipStream_tbENKUlT_T0_SG_SL_E_clIS9_SA_SB_SB_EEDaSZ_S10_SG_SL_EUlSZ_E_NS1_11comp_targetILNS1_3genE10ELNS1_11target_archE1201ELNS1_3gpuE5ELNS1_3repE0EEENS1_47radix_sort_onesweep_sort_config_static_selectorELNS0_4arch9wavefront6targetE0EEEvSG_.num_named_barrier, 0
	.set _ZN7rocprim17ROCPRIM_400000_NS6detail17trampoline_kernelINS0_14default_configENS1_35radix_sort_onesweep_config_selectorIjNS0_10empty_typeEEEZZNS1_29radix_sort_onesweep_iterationIS3_Lb0EPKjPjPS5_SB_mNS0_19identity_decomposerENS1_16block_id_wrapperIjLb1EEEEE10hipError_tT1_PNSt15iterator_traitsISG_E10value_typeET2_T3_PNSH_ISM_E10value_typeET4_T5_PSR_SS_PNS1_23onesweep_lookback_stateEbbT6_jjT7_P12ihipStream_tbENKUlT_T0_SG_SL_E_clIS9_SA_SB_SB_EEDaSZ_S10_SG_SL_EUlSZ_E_NS1_11comp_targetILNS1_3genE10ELNS1_11target_archE1201ELNS1_3gpuE5ELNS1_3repE0EEENS1_47radix_sort_onesweep_sort_config_static_selectorELNS0_4arch9wavefront6targetE0EEEvSG_.private_seg_size, 0
	.set _ZN7rocprim17ROCPRIM_400000_NS6detail17trampoline_kernelINS0_14default_configENS1_35radix_sort_onesweep_config_selectorIjNS0_10empty_typeEEEZZNS1_29radix_sort_onesweep_iterationIS3_Lb0EPKjPjPS5_SB_mNS0_19identity_decomposerENS1_16block_id_wrapperIjLb1EEEEE10hipError_tT1_PNSt15iterator_traitsISG_E10value_typeET2_T3_PNSH_ISM_E10value_typeET4_T5_PSR_SS_PNS1_23onesweep_lookback_stateEbbT6_jjT7_P12ihipStream_tbENKUlT_T0_SG_SL_E_clIS9_SA_SB_SB_EEDaSZ_S10_SG_SL_EUlSZ_E_NS1_11comp_targetILNS1_3genE10ELNS1_11target_archE1201ELNS1_3gpuE5ELNS1_3repE0EEENS1_47radix_sort_onesweep_sort_config_static_selectorELNS0_4arch9wavefront6targetE0EEEvSG_.uses_vcc, 0
	.set _ZN7rocprim17ROCPRIM_400000_NS6detail17trampoline_kernelINS0_14default_configENS1_35radix_sort_onesweep_config_selectorIjNS0_10empty_typeEEEZZNS1_29radix_sort_onesweep_iterationIS3_Lb0EPKjPjPS5_SB_mNS0_19identity_decomposerENS1_16block_id_wrapperIjLb1EEEEE10hipError_tT1_PNSt15iterator_traitsISG_E10value_typeET2_T3_PNSH_ISM_E10value_typeET4_T5_PSR_SS_PNS1_23onesweep_lookback_stateEbbT6_jjT7_P12ihipStream_tbENKUlT_T0_SG_SL_E_clIS9_SA_SB_SB_EEDaSZ_S10_SG_SL_EUlSZ_E_NS1_11comp_targetILNS1_3genE10ELNS1_11target_archE1201ELNS1_3gpuE5ELNS1_3repE0EEENS1_47radix_sort_onesweep_sort_config_static_selectorELNS0_4arch9wavefront6targetE0EEEvSG_.uses_flat_scratch, 0
	.set _ZN7rocprim17ROCPRIM_400000_NS6detail17trampoline_kernelINS0_14default_configENS1_35radix_sort_onesweep_config_selectorIjNS0_10empty_typeEEEZZNS1_29radix_sort_onesweep_iterationIS3_Lb0EPKjPjPS5_SB_mNS0_19identity_decomposerENS1_16block_id_wrapperIjLb1EEEEE10hipError_tT1_PNSt15iterator_traitsISG_E10value_typeET2_T3_PNSH_ISM_E10value_typeET4_T5_PSR_SS_PNS1_23onesweep_lookback_stateEbbT6_jjT7_P12ihipStream_tbENKUlT_T0_SG_SL_E_clIS9_SA_SB_SB_EEDaSZ_S10_SG_SL_EUlSZ_E_NS1_11comp_targetILNS1_3genE10ELNS1_11target_archE1201ELNS1_3gpuE5ELNS1_3repE0EEENS1_47radix_sort_onesweep_sort_config_static_selectorELNS0_4arch9wavefront6targetE0EEEvSG_.has_dyn_sized_stack, 0
	.set _ZN7rocprim17ROCPRIM_400000_NS6detail17trampoline_kernelINS0_14default_configENS1_35radix_sort_onesweep_config_selectorIjNS0_10empty_typeEEEZZNS1_29radix_sort_onesweep_iterationIS3_Lb0EPKjPjPS5_SB_mNS0_19identity_decomposerENS1_16block_id_wrapperIjLb1EEEEE10hipError_tT1_PNSt15iterator_traitsISG_E10value_typeET2_T3_PNSH_ISM_E10value_typeET4_T5_PSR_SS_PNS1_23onesweep_lookback_stateEbbT6_jjT7_P12ihipStream_tbENKUlT_T0_SG_SL_E_clIS9_SA_SB_SB_EEDaSZ_S10_SG_SL_EUlSZ_E_NS1_11comp_targetILNS1_3genE10ELNS1_11target_archE1201ELNS1_3gpuE5ELNS1_3repE0EEENS1_47radix_sort_onesweep_sort_config_static_selectorELNS0_4arch9wavefront6targetE0EEEvSG_.has_recursion, 0
	.set _ZN7rocprim17ROCPRIM_400000_NS6detail17trampoline_kernelINS0_14default_configENS1_35radix_sort_onesweep_config_selectorIjNS0_10empty_typeEEEZZNS1_29radix_sort_onesweep_iterationIS3_Lb0EPKjPjPS5_SB_mNS0_19identity_decomposerENS1_16block_id_wrapperIjLb1EEEEE10hipError_tT1_PNSt15iterator_traitsISG_E10value_typeET2_T3_PNSH_ISM_E10value_typeET4_T5_PSR_SS_PNS1_23onesweep_lookback_stateEbbT6_jjT7_P12ihipStream_tbENKUlT_T0_SG_SL_E_clIS9_SA_SB_SB_EEDaSZ_S10_SG_SL_EUlSZ_E_NS1_11comp_targetILNS1_3genE10ELNS1_11target_archE1201ELNS1_3gpuE5ELNS1_3repE0EEENS1_47radix_sort_onesweep_sort_config_static_selectorELNS0_4arch9wavefront6targetE0EEEvSG_.has_indirect_call, 0
	.section	.AMDGPU.csdata,"",@progbits
; Kernel info:
; codeLenInByte = 0
; TotalNumSgprs: 0
; NumVgprs: 0
; ScratchSize: 0
; MemoryBound: 0
; FloatMode: 240
; IeeeMode: 1
; LDSByteSize: 0 bytes/workgroup (compile time only)
; SGPRBlocks: 0
; VGPRBlocks: 0
; NumSGPRsForWavesPerEU: 1
; NumVGPRsForWavesPerEU: 1
; NamedBarCnt: 0
; Occupancy: 16
; WaveLimiterHint : 0
; COMPUTE_PGM_RSRC2:SCRATCH_EN: 0
; COMPUTE_PGM_RSRC2:USER_SGPR: 2
; COMPUTE_PGM_RSRC2:TRAP_HANDLER: 0
; COMPUTE_PGM_RSRC2:TGID_X_EN: 1
; COMPUTE_PGM_RSRC2:TGID_Y_EN: 0
; COMPUTE_PGM_RSRC2:TGID_Z_EN: 0
; COMPUTE_PGM_RSRC2:TIDIG_COMP_CNT: 0
	.section	.text._ZN7rocprim17ROCPRIM_400000_NS6detail17trampoline_kernelINS0_14default_configENS1_35radix_sort_onesweep_config_selectorIjNS0_10empty_typeEEEZZNS1_29radix_sort_onesweep_iterationIS3_Lb0EPKjPjPS5_SB_mNS0_19identity_decomposerENS1_16block_id_wrapperIjLb1EEEEE10hipError_tT1_PNSt15iterator_traitsISG_E10value_typeET2_T3_PNSH_ISM_E10value_typeET4_T5_PSR_SS_PNS1_23onesweep_lookback_stateEbbT6_jjT7_P12ihipStream_tbENKUlT_T0_SG_SL_E_clIS9_SA_SB_SB_EEDaSZ_S10_SG_SL_EUlSZ_E_NS1_11comp_targetILNS1_3genE9ELNS1_11target_archE1100ELNS1_3gpuE3ELNS1_3repE0EEENS1_47radix_sort_onesweep_sort_config_static_selectorELNS0_4arch9wavefront6targetE0EEEvSG_,"axG",@progbits,_ZN7rocprim17ROCPRIM_400000_NS6detail17trampoline_kernelINS0_14default_configENS1_35radix_sort_onesweep_config_selectorIjNS0_10empty_typeEEEZZNS1_29radix_sort_onesweep_iterationIS3_Lb0EPKjPjPS5_SB_mNS0_19identity_decomposerENS1_16block_id_wrapperIjLb1EEEEE10hipError_tT1_PNSt15iterator_traitsISG_E10value_typeET2_T3_PNSH_ISM_E10value_typeET4_T5_PSR_SS_PNS1_23onesweep_lookback_stateEbbT6_jjT7_P12ihipStream_tbENKUlT_T0_SG_SL_E_clIS9_SA_SB_SB_EEDaSZ_S10_SG_SL_EUlSZ_E_NS1_11comp_targetILNS1_3genE9ELNS1_11target_archE1100ELNS1_3gpuE3ELNS1_3repE0EEENS1_47radix_sort_onesweep_sort_config_static_selectorELNS0_4arch9wavefront6targetE0EEEvSG_,comdat
	.protected	_ZN7rocprim17ROCPRIM_400000_NS6detail17trampoline_kernelINS0_14default_configENS1_35radix_sort_onesweep_config_selectorIjNS0_10empty_typeEEEZZNS1_29radix_sort_onesweep_iterationIS3_Lb0EPKjPjPS5_SB_mNS0_19identity_decomposerENS1_16block_id_wrapperIjLb1EEEEE10hipError_tT1_PNSt15iterator_traitsISG_E10value_typeET2_T3_PNSH_ISM_E10value_typeET4_T5_PSR_SS_PNS1_23onesweep_lookback_stateEbbT6_jjT7_P12ihipStream_tbENKUlT_T0_SG_SL_E_clIS9_SA_SB_SB_EEDaSZ_S10_SG_SL_EUlSZ_E_NS1_11comp_targetILNS1_3genE9ELNS1_11target_archE1100ELNS1_3gpuE3ELNS1_3repE0EEENS1_47radix_sort_onesweep_sort_config_static_selectorELNS0_4arch9wavefront6targetE0EEEvSG_ ; -- Begin function _ZN7rocprim17ROCPRIM_400000_NS6detail17trampoline_kernelINS0_14default_configENS1_35radix_sort_onesweep_config_selectorIjNS0_10empty_typeEEEZZNS1_29radix_sort_onesweep_iterationIS3_Lb0EPKjPjPS5_SB_mNS0_19identity_decomposerENS1_16block_id_wrapperIjLb1EEEEE10hipError_tT1_PNSt15iterator_traitsISG_E10value_typeET2_T3_PNSH_ISM_E10value_typeET4_T5_PSR_SS_PNS1_23onesweep_lookback_stateEbbT6_jjT7_P12ihipStream_tbENKUlT_T0_SG_SL_E_clIS9_SA_SB_SB_EEDaSZ_S10_SG_SL_EUlSZ_E_NS1_11comp_targetILNS1_3genE9ELNS1_11target_archE1100ELNS1_3gpuE3ELNS1_3repE0EEENS1_47radix_sort_onesweep_sort_config_static_selectorELNS0_4arch9wavefront6targetE0EEEvSG_
	.globl	_ZN7rocprim17ROCPRIM_400000_NS6detail17trampoline_kernelINS0_14default_configENS1_35radix_sort_onesweep_config_selectorIjNS0_10empty_typeEEEZZNS1_29radix_sort_onesweep_iterationIS3_Lb0EPKjPjPS5_SB_mNS0_19identity_decomposerENS1_16block_id_wrapperIjLb1EEEEE10hipError_tT1_PNSt15iterator_traitsISG_E10value_typeET2_T3_PNSH_ISM_E10value_typeET4_T5_PSR_SS_PNS1_23onesweep_lookback_stateEbbT6_jjT7_P12ihipStream_tbENKUlT_T0_SG_SL_E_clIS9_SA_SB_SB_EEDaSZ_S10_SG_SL_EUlSZ_E_NS1_11comp_targetILNS1_3genE9ELNS1_11target_archE1100ELNS1_3gpuE3ELNS1_3repE0EEENS1_47radix_sort_onesweep_sort_config_static_selectorELNS0_4arch9wavefront6targetE0EEEvSG_
	.p2align	8
	.type	_ZN7rocprim17ROCPRIM_400000_NS6detail17trampoline_kernelINS0_14default_configENS1_35radix_sort_onesweep_config_selectorIjNS0_10empty_typeEEEZZNS1_29radix_sort_onesweep_iterationIS3_Lb0EPKjPjPS5_SB_mNS0_19identity_decomposerENS1_16block_id_wrapperIjLb1EEEEE10hipError_tT1_PNSt15iterator_traitsISG_E10value_typeET2_T3_PNSH_ISM_E10value_typeET4_T5_PSR_SS_PNS1_23onesweep_lookback_stateEbbT6_jjT7_P12ihipStream_tbENKUlT_T0_SG_SL_E_clIS9_SA_SB_SB_EEDaSZ_S10_SG_SL_EUlSZ_E_NS1_11comp_targetILNS1_3genE9ELNS1_11target_archE1100ELNS1_3gpuE3ELNS1_3repE0EEENS1_47radix_sort_onesweep_sort_config_static_selectorELNS0_4arch9wavefront6targetE0EEEvSG_,@function
_ZN7rocprim17ROCPRIM_400000_NS6detail17trampoline_kernelINS0_14default_configENS1_35radix_sort_onesweep_config_selectorIjNS0_10empty_typeEEEZZNS1_29radix_sort_onesweep_iterationIS3_Lb0EPKjPjPS5_SB_mNS0_19identity_decomposerENS1_16block_id_wrapperIjLb1EEEEE10hipError_tT1_PNSt15iterator_traitsISG_E10value_typeET2_T3_PNSH_ISM_E10value_typeET4_T5_PSR_SS_PNS1_23onesweep_lookback_stateEbbT6_jjT7_P12ihipStream_tbENKUlT_T0_SG_SL_E_clIS9_SA_SB_SB_EEDaSZ_S10_SG_SL_EUlSZ_E_NS1_11comp_targetILNS1_3genE9ELNS1_11target_archE1100ELNS1_3gpuE3ELNS1_3repE0EEENS1_47radix_sort_onesweep_sort_config_static_selectorELNS0_4arch9wavefront6targetE0EEEvSG_: ; @_ZN7rocprim17ROCPRIM_400000_NS6detail17trampoline_kernelINS0_14default_configENS1_35radix_sort_onesweep_config_selectorIjNS0_10empty_typeEEEZZNS1_29radix_sort_onesweep_iterationIS3_Lb0EPKjPjPS5_SB_mNS0_19identity_decomposerENS1_16block_id_wrapperIjLb1EEEEE10hipError_tT1_PNSt15iterator_traitsISG_E10value_typeET2_T3_PNSH_ISM_E10value_typeET4_T5_PSR_SS_PNS1_23onesweep_lookback_stateEbbT6_jjT7_P12ihipStream_tbENKUlT_T0_SG_SL_E_clIS9_SA_SB_SB_EEDaSZ_S10_SG_SL_EUlSZ_E_NS1_11comp_targetILNS1_3genE9ELNS1_11target_archE1100ELNS1_3gpuE3ELNS1_3repE0EEENS1_47radix_sort_onesweep_sort_config_static_selectorELNS0_4arch9wavefront6targetE0EEEvSG_
; %bb.0:
	.section	.rodata,"a",@progbits
	.p2align	6, 0x0
	.amdhsa_kernel _ZN7rocprim17ROCPRIM_400000_NS6detail17trampoline_kernelINS0_14default_configENS1_35radix_sort_onesweep_config_selectorIjNS0_10empty_typeEEEZZNS1_29radix_sort_onesweep_iterationIS3_Lb0EPKjPjPS5_SB_mNS0_19identity_decomposerENS1_16block_id_wrapperIjLb1EEEEE10hipError_tT1_PNSt15iterator_traitsISG_E10value_typeET2_T3_PNSH_ISM_E10value_typeET4_T5_PSR_SS_PNS1_23onesweep_lookback_stateEbbT6_jjT7_P12ihipStream_tbENKUlT_T0_SG_SL_E_clIS9_SA_SB_SB_EEDaSZ_S10_SG_SL_EUlSZ_E_NS1_11comp_targetILNS1_3genE9ELNS1_11target_archE1100ELNS1_3gpuE3ELNS1_3repE0EEENS1_47radix_sort_onesweep_sort_config_static_selectorELNS0_4arch9wavefront6targetE0EEEvSG_
		.amdhsa_group_segment_fixed_size 0
		.amdhsa_private_segment_fixed_size 0
		.amdhsa_kernarg_size 88
		.amdhsa_user_sgpr_count 2
		.amdhsa_user_sgpr_dispatch_ptr 0
		.amdhsa_user_sgpr_queue_ptr 0
		.amdhsa_user_sgpr_kernarg_segment_ptr 1
		.amdhsa_user_sgpr_dispatch_id 0
		.amdhsa_user_sgpr_kernarg_preload_length 0
		.amdhsa_user_sgpr_kernarg_preload_offset 0
		.amdhsa_user_sgpr_private_segment_size 0
		.amdhsa_wavefront_size32 1
		.amdhsa_uses_dynamic_stack 0
		.amdhsa_enable_private_segment 0
		.amdhsa_system_sgpr_workgroup_id_x 1
		.amdhsa_system_sgpr_workgroup_id_y 0
		.amdhsa_system_sgpr_workgroup_id_z 0
		.amdhsa_system_sgpr_workgroup_info 0
		.amdhsa_system_vgpr_workitem_id 0
		.amdhsa_next_free_vgpr 1
		.amdhsa_next_free_sgpr 1
		.amdhsa_named_barrier_count 0
		.amdhsa_reserve_vcc 0
		.amdhsa_float_round_mode_32 0
		.amdhsa_float_round_mode_16_64 0
		.amdhsa_float_denorm_mode_32 3
		.amdhsa_float_denorm_mode_16_64 3
		.amdhsa_fp16_overflow 0
		.amdhsa_memory_ordered 1
		.amdhsa_forward_progress 1
		.amdhsa_inst_pref_size 0
		.amdhsa_round_robin_scheduling 0
		.amdhsa_exception_fp_ieee_invalid_op 0
		.amdhsa_exception_fp_denorm_src 0
		.amdhsa_exception_fp_ieee_div_zero 0
		.amdhsa_exception_fp_ieee_overflow 0
		.amdhsa_exception_fp_ieee_underflow 0
		.amdhsa_exception_fp_ieee_inexact 0
		.amdhsa_exception_int_div_zero 0
	.end_amdhsa_kernel
	.section	.text._ZN7rocprim17ROCPRIM_400000_NS6detail17trampoline_kernelINS0_14default_configENS1_35radix_sort_onesweep_config_selectorIjNS0_10empty_typeEEEZZNS1_29radix_sort_onesweep_iterationIS3_Lb0EPKjPjPS5_SB_mNS0_19identity_decomposerENS1_16block_id_wrapperIjLb1EEEEE10hipError_tT1_PNSt15iterator_traitsISG_E10value_typeET2_T3_PNSH_ISM_E10value_typeET4_T5_PSR_SS_PNS1_23onesweep_lookback_stateEbbT6_jjT7_P12ihipStream_tbENKUlT_T0_SG_SL_E_clIS9_SA_SB_SB_EEDaSZ_S10_SG_SL_EUlSZ_E_NS1_11comp_targetILNS1_3genE9ELNS1_11target_archE1100ELNS1_3gpuE3ELNS1_3repE0EEENS1_47radix_sort_onesweep_sort_config_static_selectorELNS0_4arch9wavefront6targetE0EEEvSG_,"axG",@progbits,_ZN7rocprim17ROCPRIM_400000_NS6detail17trampoline_kernelINS0_14default_configENS1_35radix_sort_onesweep_config_selectorIjNS0_10empty_typeEEEZZNS1_29radix_sort_onesweep_iterationIS3_Lb0EPKjPjPS5_SB_mNS0_19identity_decomposerENS1_16block_id_wrapperIjLb1EEEEE10hipError_tT1_PNSt15iterator_traitsISG_E10value_typeET2_T3_PNSH_ISM_E10value_typeET4_T5_PSR_SS_PNS1_23onesweep_lookback_stateEbbT6_jjT7_P12ihipStream_tbENKUlT_T0_SG_SL_E_clIS9_SA_SB_SB_EEDaSZ_S10_SG_SL_EUlSZ_E_NS1_11comp_targetILNS1_3genE9ELNS1_11target_archE1100ELNS1_3gpuE3ELNS1_3repE0EEENS1_47radix_sort_onesweep_sort_config_static_selectorELNS0_4arch9wavefront6targetE0EEEvSG_,comdat
.Lfunc_end2751:
	.size	_ZN7rocprim17ROCPRIM_400000_NS6detail17trampoline_kernelINS0_14default_configENS1_35radix_sort_onesweep_config_selectorIjNS0_10empty_typeEEEZZNS1_29radix_sort_onesweep_iterationIS3_Lb0EPKjPjPS5_SB_mNS0_19identity_decomposerENS1_16block_id_wrapperIjLb1EEEEE10hipError_tT1_PNSt15iterator_traitsISG_E10value_typeET2_T3_PNSH_ISM_E10value_typeET4_T5_PSR_SS_PNS1_23onesweep_lookback_stateEbbT6_jjT7_P12ihipStream_tbENKUlT_T0_SG_SL_E_clIS9_SA_SB_SB_EEDaSZ_S10_SG_SL_EUlSZ_E_NS1_11comp_targetILNS1_3genE9ELNS1_11target_archE1100ELNS1_3gpuE3ELNS1_3repE0EEENS1_47radix_sort_onesweep_sort_config_static_selectorELNS0_4arch9wavefront6targetE0EEEvSG_, .Lfunc_end2751-_ZN7rocprim17ROCPRIM_400000_NS6detail17trampoline_kernelINS0_14default_configENS1_35radix_sort_onesweep_config_selectorIjNS0_10empty_typeEEEZZNS1_29radix_sort_onesweep_iterationIS3_Lb0EPKjPjPS5_SB_mNS0_19identity_decomposerENS1_16block_id_wrapperIjLb1EEEEE10hipError_tT1_PNSt15iterator_traitsISG_E10value_typeET2_T3_PNSH_ISM_E10value_typeET4_T5_PSR_SS_PNS1_23onesweep_lookback_stateEbbT6_jjT7_P12ihipStream_tbENKUlT_T0_SG_SL_E_clIS9_SA_SB_SB_EEDaSZ_S10_SG_SL_EUlSZ_E_NS1_11comp_targetILNS1_3genE9ELNS1_11target_archE1100ELNS1_3gpuE3ELNS1_3repE0EEENS1_47radix_sort_onesweep_sort_config_static_selectorELNS0_4arch9wavefront6targetE0EEEvSG_
                                        ; -- End function
	.set _ZN7rocprim17ROCPRIM_400000_NS6detail17trampoline_kernelINS0_14default_configENS1_35radix_sort_onesweep_config_selectorIjNS0_10empty_typeEEEZZNS1_29radix_sort_onesweep_iterationIS3_Lb0EPKjPjPS5_SB_mNS0_19identity_decomposerENS1_16block_id_wrapperIjLb1EEEEE10hipError_tT1_PNSt15iterator_traitsISG_E10value_typeET2_T3_PNSH_ISM_E10value_typeET4_T5_PSR_SS_PNS1_23onesweep_lookback_stateEbbT6_jjT7_P12ihipStream_tbENKUlT_T0_SG_SL_E_clIS9_SA_SB_SB_EEDaSZ_S10_SG_SL_EUlSZ_E_NS1_11comp_targetILNS1_3genE9ELNS1_11target_archE1100ELNS1_3gpuE3ELNS1_3repE0EEENS1_47radix_sort_onesweep_sort_config_static_selectorELNS0_4arch9wavefront6targetE0EEEvSG_.num_vgpr, 0
	.set _ZN7rocprim17ROCPRIM_400000_NS6detail17trampoline_kernelINS0_14default_configENS1_35radix_sort_onesweep_config_selectorIjNS0_10empty_typeEEEZZNS1_29radix_sort_onesweep_iterationIS3_Lb0EPKjPjPS5_SB_mNS0_19identity_decomposerENS1_16block_id_wrapperIjLb1EEEEE10hipError_tT1_PNSt15iterator_traitsISG_E10value_typeET2_T3_PNSH_ISM_E10value_typeET4_T5_PSR_SS_PNS1_23onesweep_lookback_stateEbbT6_jjT7_P12ihipStream_tbENKUlT_T0_SG_SL_E_clIS9_SA_SB_SB_EEDaSZ_S10_SG_SL_EUlSZ_E_NS1_11comp_targetILNS1_3genE9ELNS1_11target_archE1100ELNS1_3gpuE3ELNS1_3repE0EEENS1_47radix_sort_onesweep_sort_config_static_selectorELNS0_4arch9wavefront6targetE0EEEvSG_.num_agpr, 0
	.set _ZN7rocprim17ROCPRIM_400000_NS6detail17trampoline_kernelINS0_14default_configENS1_35radix_sort_onesweep_config_selectorIjNS0_10empty_typeEEEZZNS1_29radix_sort_onesweep_iterationIS3_Lb0EPKjPjPS5_SB_mNS0_19identity_decomposerENS1_16block_id_wrapperIjLb1EEEEE10hipError_tT1_PNSt15iterator_traitsISG_E10value_typeET2_T3_PNSH_ISM_E10value_typeET4_T5_PSR_SS_PNS1_23onesweep_lookback_stateEbbT6_jjT7_P12ihipStream_tbENKUlT_T0_SG_SL_E_clIS9_SA_SB_SB_EEDaSZ_S10_SG_SL_EUlSZ_E_NS1_11comp_targetILNS1_3genE9ELNS1_11target_archE1100ELNS1_3gpuE3ELNS1_3repE0EEENS1_47radix_sort_onesweep_sort_config_static_selectorELNS0_4arch9wavefront6targetE0EEEvSG_.numbered_sgpr, 0
	.set _ZN7rocprim17ROCPRIM_400000_NS6detail17trampoline_kernelINS0_14default_configENS1_35radix_sort_onesweep_config_selectorIjNS0_10empty_typeEEEZZNS1_29radix_sort_onesweep_iterationIS3_Lb0EPKjPjPS5_SB_mNS0_19identity_decomposerENS1_16block_id_wrapperIjLb1EEEEE10hipError_tT1_PNSt15iterator_traitsISG_E10value_typeET2_T3_PNSH_ISM_E10value_typeET4_T5_PSR_SS_PNS1_23onesweep_lookback_stateEbbT6_jjT7_P12ihipStream_tbENKUlT_T0_SG_SL_E_clIS9_SA_SB_SB_EEDaSZ_S10_SG_SL_EUlSZ_E_NS1_11comp_targetILNS1_3genE9ELNS1_11target_archE1100ELNS1_3gpuE3ELNS1_3repE0EEENS1_47radix_sort_onesweep_sort_config_static_selectorELNS0_4arch9wavefront6targetE0EEEvSG_.num_named_barrier, 0
	.set _ZN7rocprim17ROCPRIM_400000_NS6detail17trampoline_kernelINS0_14default_configENS1_35radix_sort_onesweep_config_selectorIjNS0_10empty_typeEEEZZNS1_29radix_sort_onesweep_iterationIS3_Lb0EPKjPjPS5_SB_mNS0_19identity_decomposerENS1_16block_id_wrapperIjLb1EEEEE10hipError_tT1_PNSt15iterator_traitsISG_E10value_typeET2_T3_PNSH_ISM_E10value_typeET4_T5_PSR_SS_PNS1_23onesweep_lookback_stateEbbT6_jjT7_P12ihipStream_tbENKUlT_T0_SG_SL_E_clIS9_SA_SB_SB_EEDaSZ_S10_SG_SL_EUlSZ_E_NS1_11comp_targetILNS1_3genE9ELNS1_11target_archE1100ELNS1_3gpuE3ELNS1_3repE0EEENS1_47radix_sort_onesweep_sort_config_static_selectorELNS0_4arch9wavefront6targetE0EEEvSG_.private_seg_size, 0
	.set _ZN7rocprim17ROCPRIM_400000_NS6detail17trampoline_kernelINS0_14default_configENS1_35radix_sort_onesweep_config_selectorIjNS0_10empty_typeEEEZZNS1_29radix_sort_onesweep_iterationIS3_Lb0EPKjPjPS5_SB_mNS0_19identity_decomposerENS1_16block_id_wrapperIjLb1EEEEE10hipError_tT1_PNSt15iterator_traitsISG_E10value_typeET2_T3_PNSH_ISM_E10value_typeET4_T5_PSR_SS_PNS1_23onesweep_lookback_stateEbbT6_jjT7_P12ihipStream_tbENKUlT_T0_SG_SL_E_clIS9_SA_SB_SB_EEDaSZ_S10_SG_SL_EUlSZ_E_NS1_11comp_targetILNS1_3genE9ELNS1_11target_archE1100ELNS1_3gpuE3ELNS1_3repE0EEENS1_47radix_sort_onesweep_sort_config_static_selectorELNS0_4arch9wavefront6targetE0EEEvSG_.uses_vcc, 0
	.set _ZN7rocprim17ROCPRIM_400000_NS6detail17trampoline_kernelINS0_14default_configENS1_35radix_sort_onesweep_config_selectorIjNS0_10empty_typeEEEZZNS1_29radix_sort_onesweep_iterationIS3_Lb0EPKjPjPS5_SB_mNS0_19identity_decomposerENS1_16block_id_wrapperIjLb1EEEEE10hipError_tT1_PNSt15iterator_traitsISG_E10value_typeET2_T3_PNSH_ISM_E10value_typeET4_T5_PSR_SS_PNS1_23onesweep_lookback_stateEbbT6_jjT7_P12ihipStream_tbENKUlT_T0_SG_SL_E_clIS9_SA_SB_SB_EEDaSZ_S10_SG_SL_EUlSZ_E_NS1_11comp_targetILNS1_3genE9ELNS1_11target_archE1100ELNS1_3gpuE3ELNS1_3repE0EEENS1_47radix_sort_onesweep_sort_config_static_selectorELNS0_4arch9wavefront6targetE0EEEvSG_.uses_flat_scratch, 0
	.set _ZN7rocprim17ROCPRIM_400000_NS6detail17trampoline_kernelINS0_14default_configENS1_35radix_sort_onesweep_config_selectorIjNS0_10empty_typeEEEZZNS1_29radix_sort_onesweep_iterationIS3_Lb0EPKjPjPS5_SB_mNS0_19identity_decomposerENS1_16block_id_wrapperIjLb1EEEEE10hipError_tT1_PNSt15iterator_traitsISG_E10value_typeET2_T3_PNSH_ISM_E10value_typeET4_T5_PSR_SS_PNS1_23onesweep_lookback_stateEbbT6_jjT7_P12ihipStream_tbENKUlT_T0_SG_SL_E_clIS9_SA_SB_SB_EEDaSZ_S10_SG_SL_EUlSZ_E_NS1_11comp_targetILNS1_3genE9ELNS1_11target_archE1100ELNS1_3gpuE3ELNS1_3repE0EEENS1_47radix_sort_onesweep_sort_config_static_selectorELNS0_4arch9wavefront6targetE0EEEvSG_.has_dyn_sized_stack, 0
	.set _ZN7rocprim17ROCPRIM_400000_NS6detail17trampoline_kernelINS0_14default_configENS1_35radix_sort_onesweep_config_selectorIjNS0_10empty_typeEEEZZNS1_29radix_sort_onesweep_iterationIS3_Lb0EPKjPjPS5_SB_mNS0_19identity_decomposerENS1_16block_id_wrapperIjLb1EEEEE10hipError_tT1_PNSt15iterator_traitsISG_E10value_typeET2_T3_PNSH_ISM_E10value_typeET4_T5_PSR_SS_PNS1_23onesweep_lookback_stateEbbT6_jjT7_P12ihipStream_tbENKUlT_T0_SG_SL_E_clIS9_SA_SB_SB_EEDaSZ_S10_SG_SL_EUlSZ_E_NS1_11comp_targetILNS1_3genE9ELNS1_11target_archE1100ELNS1_3gpuE3ELNS1_3repE0EEENS1_47radix_sort_onesweep_sort_config_static_selectorELNS0_4arch9wavefront6targetE0EEEvSG_.has_recursion, 0
	.set _ZN7rocprim17ROCPRIM_400000_NS6detail17trampoline_kernelINS0_14default_configENS1_35radix_sort_onesweep_config_selectorIjNS0_10empty_typeEEEZZNS1_29radix_sort_onesweep_iterationIS3_Lb0EPKjPjPS5_SB_mNS0_19identity_decomposerENS1_16block_id_wrapperIjLb1EEEEE10hipError_tT1_PNSt15iterator_traitsISG_E10value_typeET2_T3_PNSH_ISM_E10value_typeET4_T5_PSR_SS_PNS1_23onesweep_lookback_stateEbbT6_jjT7_P12ihipStream_tbENKUlT_T0_SG_SL_E_clIS9_SA_SB_SB_EEDaSZ_S10_SG_SL_EUlSZ_E_NS1_11comp_targetILNS1_3genE9ELNS1_11target_archE1100ELNS1_3gpuE3ELNS1_3repE0EEENS1_47radix_sort_onesweep_sort_config_static_selectorELNS0_4arch9wavefront6targetE0EEEvSG_.has_indirect_call, 0
	.section	.AMDGPU.csdata,"",@progbits
; Kernel info:
; codeLenInByte = 0
; TotalNumSgprs: 0
; NumVgprs: 0
; ScratchSize: 0
; MemoryBound: 0
; FloatMode: 240
; IeeeMode: 1
; LDSByteSize: 0 bytes/workgroup (compile time only)
; SGPRBlocks: 0
; VGPRBlocks: 0
; NumSGPRsForWavesPerEU: 1
; NumVGPRsForWavesPerEU: 1
; NamedBarCnt: 0
; Occupancy: 16
; WaveLimiterHint : 0
; COMPUTE_PGM_RSRC2:SCRATCH_EN: 0
; COMPUTE_PGM_RSRC2:USER_SGPR: 2
; COMPUTE_PGM_RSRC2:TRAP_HANDLER: 0
; COMPUTE_PGM_RSRC2:TGID_X_EN: 1
; COMPUTE_PGM_RSRC2:TGID_Y_EN: 0
; COMPUTE_PGM_RSRC2:TGID_Z_EN: 0
; COMPUTE_PGM_RSRC2:TIDIG_COMP_CNT: 0
	.section	.text._ZN7rocprim17ROCPRIM_400000_NS6detail17trampoline_kernelINS0_14default_configENS1_35radix_sort_onesweep_config_selectorIjNS0_10empty_typeEEEZZNS1_29radix_sort_onesweep_iterationIS3_Lb0EPKjPjPS5_SB_mNS0_19identity_decomposerENS1_16block_id_wrapperIjLb1EEEEE10hipError_tT1_PNSt15iterator_traitsISG_E10value_typeET2_T3_PNSH_ISM_E10value_typeET4_T5_PSR_SS_PNS1_23onesweep_lookback_stateEbbT6_jjT7_P12ihipStream_tbENKUlT_T0_SG_SL_E_clIS9_SA_SB_SB_EEDaSZ_S10_SG_SL_EUlSZ_E_NS1_11comp_targetILNS1_3genE8ELNS1_11target_archE1030ELNS1_3gpuE2ELNS1_3repE0EEENS1_47radix_sort_onesweep_sort_config_static_selectorELNS0_4arch9wavefront6targetE0EEEvSG_,"axG",@progbits,_ZN7rocprim17ROCPRIM_400000_NS6detail17trampoline_kernelINS0_14default_configENS1_35radix_sort_onesweep_config_selectorIjNS0_10empty_typeEEEZZNS1_29radix_sort_onesweep_iterationIS3_Lb0EPKjPjPS5_SB_mNS0_19identity_decomposerENS1_16block_id_wrapperIjLb1EEEEE10hipError_tT1_PNSt15iterator_traitsISG_E10value_typeET2_T3_PNSH_ISM_E10value_typeET4_T5_PSR_SS_PNS1_23onesweep_lookback_stateEbbT6_jjT7_P12ihipStream_tbENKUlT_T0_SG_SL_E_clIS9_SA_SB_SB_EEDaSZ_S10_SG_SL_EUlSZ_E_NS1_11comp_targetILNS1_3genE8ELNS1_11target_archE1030ELNS1_3gpuE2ELNS1_3repE0EEENS1_47radix_sort_onesweep_sort_config_static_selectorELNS0_4arch9wavefront6targetE0EEEvSG_,comdat
	.protected	_ZN7rocprim17ROCPRIM_400000_NS6detail17trampoline_kernelINS0_14default_configENS1_35radix_sort_onesweep_config_selectorIjNS0_10empty_typeEEEZZNS1_29radix_sort_onesweep_iterationIS3_Lb0EPKjPjPS5_SB_mNS0_19identity_decomposerENS1_16block_id_wrapperIjLb1EEEEE10hipError_tT1_PNSt15iterator_traitsISG_E10value_typeET2_T3_PNSH_ISM_E10value_typeET4_T5_PSR_SS_PNS1_23onesweep_lookback_stateEbbT6_jjT7_P12ihipStream_tbENKUlT_T0_SG_SL_E_clIS9_SA_SB_SB_EEDaSZ_S10_SG_SL_EUlSZ_E_NS1_11comp_targetILNS1_3genE8ELNS1_11target_archE1030ELNS1_3gpuE2ELNS1_3repE0EEENS1_47radix_sort_onesweep_sort_config_static_selectorELNS0_4arch9wavefront6targetE0EEEvSG_ ; -- Begin function _ZN7rocprim17ROCPRIM_400000_NS6detail17trampoline_kernelINS0_14default_configENS1_35radix_sort_onesweep_config_selectorIjNS0_10empty_typeEEEZZNS1_29radix_sort_onesweep_iterationIS3_Lb0EPKjPjPS5_SB_mNS0_19identity_decomposerENS1_16block_id_wrapperIjLb1EEEEE10hipError_tT1_PNSt15iterator_traitsISG_E10value_typeET2_T3_PNSH_ISM_E10value_typeET4_T5_PSR_SS_PNS1_23onesweep_lookback_stateEbbT6_jjT7_P12ihipStream_tbENKUlT_T0_SG_SL_E_clIS9_SA_SB_SB_EEDaSZ_S10_SG_SL_EUlSZ_E_NS1_11comp_targetILNS1_3genE8ELNS1_11target_archE1030ELNS1_3gpuE2ELNS1_3repE0EEENS1_47radix_sort_onesweep_sort_config_static_selectorELNS0_4arch9wavefront6targetE0EEEvSG_
	.globl	_ZN7rocprim17ROCPRIM_400000_NS6detail17trampoline_kernelINS0_14default_configENS1_35radix_sort_onesweep_config_selectorIjNS0_10empty_typeEEEZZNS1_29radix_sort_onesweep_iterationIS3_Lb0EPKjPjPS5_SB_mNS0_19identity_decomposerENS1_16block_id_wrapperIjLb1EEEEE10hipError_tT1_PNSt15iterator_traitsISG_E10value_typeET2_T3_PNSH_ISM_E10value_typeET4_T5_PSR_SS_PNS1_23onesweep_lookback_stateEbbT6_jjT7_P12ihipStream_tbENKUlT_T0_SG_SL_E_clIS9_SA_SB_SB_EEDaSZ_S10_SG_SL_EUlSZ_E_NS1_11comp_targetILNS1_3genE8ELNS1_11target_archE1030ELNS1_3gpuE2ELNS1_3repE0EEENS1_47radix_sort_onesweep_sort_config_static_selectorELNS0_4arch9wavefront6targetE0EEEvSG_
	.p2align	8
	.type	_ZN7rocprim17ROCPRIM_400000_NS6detail17trampoline_kernelINS0_14default_configENS1_35radix_sort_onesweep_config_selectorIjNS0_10empty_typeEEEZZNS1_29radix_sort_onesweep_iterationIS3_Lb0EPKjPjPS5_SB_mNS0_19identity_decomposerENS1_16block_id_wrapperIjLb1EEEEE10hipError_tT1_PNSt15iterator_traitsISG_E10value_typeET2_T3_PNSH_ISM_E10value_typeET4_T5_PSR_SS_PNS1_23onesweep_lookback_stateEbbT6_jjT7_P12ihipStream_tbENKUlT_T0_SG_SL_E_clIS9_SA_SB_SB_EEDaSZ_S10_SG_SL_EUlSZ_E_NS1_11comp_targetILNS1_3genE8ELNS1_11target_archE1030ELNS1_3gpuE2ELNS1_3repE0EEENS1_47radix_sort_onesweep_sort_config_static_selectorELNS0_4arch9wavefront6targetE0EEEvSG_,@function
_ZN7rocprim17ROCPRIM_400000_NS6detail17trampoline_kernelINS0_14default_configENS1_35radix_sort_onesweep_config_selectorIjNS0_10empty_typeEEEZZNS1_29radix_sort_onesweep_iterationIS3_Lb0EPKjPjPS5_SB_mNS0_19identity_decomposerENS1_16block_id_wrapperIjLb1EEEEE10hipError_tT1_PNSt15iterator_traitsISG_E10value_typeET2_T3_PNSH_ISM_E10value_typeET4_T5_PSR_SS_PNS1_23onesweep_lookback_stateEbbT6_jjT7_P12ihipStream_tbENKUlT_T0_SG_SL_E_clIS9_SA_SB_SB_EEDaSZ_S10_SG_SL_EUlSZ_E_NS1_11comp_targetILNS1_3genE8ELNS1_11target_archE1030ELNS1_3gpuE2ELNS1_3repE0EEENS1_47radix_sort_onesweep_sort_config_static_selectorELNS0_4arch9wavefront6targetE0EEEvSG_: ; @_ZN7rocprim17ROCPRIM_400000_NS6detail17trampoline_kernelINS0_14default_configENS1_35radix_sort_onesweep_config_selectorIjNS0_10empty_typeEEEZZNS1_29radix_sort_onesweep_iterationIS3_Lb0EPKjPjPS5_SB_mNS0_19identity_decomposerENS1_16block_id_wrapperIjLb1EEEEE10hipError_tT1_PNSt15iterator_traitsISG_E10value_typeET2_T3_PNSH_ISM_E10value_typeET4_T5_PSR_SS_PNS1_23onesweep_lookback_stateEbbT6_jjT7_P12ihipStream_tbENKUlT_T0_SG_SL_E_clIS9_SA_SB_SB_EEDaSZ_S10_SG_SL_EUlSZ_E_NS1_11comp_targetILNS1_3genE8ELNS1_11target_archE1030ELNS1_3gpuE2ELNS1_3repE0EEENS1_47radix_sort_onesweep_sort_config_static_selectorELNS0_4arch9wavefront6targetE0EEEvSG_
; %bb.0:
	.section	.rodata,"a",@progbits
	.p2align	6, 0x0
	.amdhsa_kernel _ZN7rocprim17ROCPRIM_400000_NS6detail17trampoline_kernelINS0_14default_configENS1_35radix_sort_onesweep_config_selectorIjNS0_10empty_typeEEEZZNS1_29radix_sort_onesweep_iterationIS3_Lb0EPKjPjPS5_SB_mNS0_19identity_decomposerENS1_16block_id_wrapperIjLb1EEEEE10hipError_tT1_PNSt15iterator_traitsISG_E10value_typeET2_T3_PNSH_ISM_E10value_typeET4_T5_PSR_SS_PNS1_23onesweep_lookback_stateEbbT6_jjT7_P12ihipStream_tbENKUlT_T0_SG_SL_E_clIS9_SA_SB_SB_EEDaSZ_S10_SG_SL_EUlSZ_E_NS1_11comp_targetILNS1_3genE8ELNS1_11target_archE1030ELNS1_3gpuE2ELNS1_3repE0EEENS1_47radix_sort_onesweep_sort_config_static_selectorELNS0_4arch9wavefront6targetE0EEEvSG_
		.amdhsa_group_segment_fixed_size 0
		.amdhsa_private_segment_fixed_size 0
		.amdhsa_kernarg_size 88
		.amdhsa_user_sgpr_count 2
		.amdhsa_user_sgpr_dispatch_ptr 0
		.amdhsa_user_sgpr_queue_ptr 0
		.amdhsa_user_sgpr_kernarg_segment_ptr 1
		.amdhsa_user_sgpr_dispatch_id 0
		.amdhsa_user_sgpr_kernarg_preload_length 0
		.amdhsa_user_sgpr_kernarg_preload_offset 0
		.amdhsa_user_sgpr_private_segment_size 0
		.amdhsa_wavefront_size32 1
		.amdhsa_uses_dynamic_stack 0
		.amdhsa_enable_private_segment 0
		.amdhsa_system_sgpr_workgroup_id_x 1
		.amdhsa_system_sgpr_workgroup_id_y 0
		.amdhsa_system_sgpr_workgroup_id_z 0
		.amdhsa_system_sgpr_workgroup_info 0
		.amdhsa_system_vgpr_workitem_id 0
		.amdhsa_next_free_vgpr 1
		.amdhsa_next_free_sgpr 1
		.amdhsa_named_barrier_count 0
		.amdhsa_reserve_vcc 0
		.amdhsa_float_round_mode_32 0
		.amdhsa_float_round_mode_16_64 0
		.amdhsa_float_denorm_mode_32 3
		.amdhsa_float_denorm_mode_16_64 3
		.amdhsa_fp16_overflow 0
		.amdhsa_memory_ordered 1
		.amdhsa_forward_progress 1
		.amdhsa_inst_pref_size 0
		.amdhsa_round_robin_scheduling 0
		.amdhsa_exception_fp_ieee_invalid_op 0
		.amdhsa_exception_fp_denorm_src 0
		.amdhsa_exception_fp_ieee_div_zero 0
		.amdhsa_exception_fp_ieee_overflow 0
		.amdhsa_exception_fp_ieee_underflow 0
		.amdhsa_exception_fp_ieee_inexact 0
		.amdhsa_exception_int_div_zero 0
	.end_amdhsa_kernel
	.section	.text._ZN7rocprim17ROCPRIM_400000_NS6detail17trampoline_kernelINS0_14default_configENS1_35radix_sort_onesweep_config_selectorIjNS0_10empty_typeEEEZZNS1_29radix_sort_onesweep_iterationIS3_Lb0EPKjPjPS5_SB_mNS0_19identity_decomposerENS1_16block_id_wrapperIjLb1EEEEE10hipError_tT1_PNSt15iterator_traitsISG_E10value_typeET2_T3_PNSH_ISM_E10value_typeET4_T5_PSR_SS_PNS1_23onesweep_lookback_stateEbbT6_jjT7_P12ihipStream_tbENKUlT_T0_SG_SL_E_clIS9_SA_SB_SB_EEDaSZ_S10_SG_SL_EUlSZ_E_NS1_11comp_targetILNS1_3genE8ELNS1_11target_archE1030ELNS1_3gpuE2ELNS1_3repE0EEENS1_47radix_sort_onesweep_sort_config_static_selectorELNS0_4arch9wavefront6targetE0EEEvSG_,"axG",@progbits,_ZN7rocprim17ROCPRIM_400000_NS6detail17trampoline_kernelINS0_14default_configENS1_35radix_sort_onesweep_config_selectorIjNS0_10empty_typeEEEZZNS1_29radix_sort_onesweep_iterationIS3_Lb0EPKjPjPS5_SB_mNS0_19identity_decomposerENS1_16block_id_wrapperIjLb1EEEEE10hipError_tT1_PNSt15iterator_traitsISG_E10value_typeET2_T3_PNSH_ISM_E10value_typeET4_T5_PSR_SS_PNS1_23onesweep_lookback_stateEbbT6_jjT7_P12ihipStream_tbENKUlT_T0_SG_SL_E_clIS9_SA_SB_SB_EEDaSZ_S10_SG_SL_EUlSZ_E_NS1_11comp_targetILNS1_3genE8ELNS1_11target_archE1030ELNS1_3gpuE2ELNS1_3repE0EEENS1_47radix_sort_onesweep_sort_config_static_selectorELNS0_4arch9wavefront6targetE0EEEvSG_,comdat
.Lfunc_end2752:
	.size	_ZN7rocprim17ROCPRIM_400000_NS6detail17trampoline_kernelINS0_14default_configENS1_35radix_sort_onesweep_config_selectorIjNS0_10empty_typeEEEZZNS1_29radix_sort_onesweep_iterationIS3_Lb0EPKjPjPS5_SB_mNS0_19identity_decomposerENS1_16block_id_wrapperIjLb1EEEEE10hipError_tT1_PNSt15iterator_traitsISG_E10value_typeET2_T3_PNSH_ISM_E10value_typeET4_T5_PSR_SS_PNS1_23onesweep_lookback_stateEbbT6_jjT7_P12ihipStream_tbENKUlT_T0_SG_SL_E_clIS9_SA_SB_SB_EEDaSZ_S10_SG_SL_EUlSZ_E_NS1_11comp_targetILNS1_3genE8ELNS1_11target_archE1030ELNS1_3gpuE2ELNS1_3repE0EEENS1_47radix_sort_onesweep_sort_config_static_selectorELNS0_4arch9wavefront6targetE0EEEvSG_, .Lfunc_end2752-_ZN7rocprim17ROCPRIM_400000_NS6detail17trampoline_kernelINS0_14default_configENS1_35radix_sort_onesweep_config_selectorIjNS0_10empty_typeEEEZZNS1_29radix_sort_onesweep_iterationIS3_Lb0EPKjPjPS5_SB_mNS0_19identity_decomposerENS1_16block_id_wrapperIjLb1EEEEE10hipError_tT1_PNSt15iterator_traitsISG_E10value_typeET2_T3_PNSH_ISM_E10value_typeET4_T5_PSR_SS_PNS1_23onesweep_lookback_stateEbbT6_jjT7_P12ihipStream_tbENKUlT_T0_SG_SL_E_clIS9_SA_SB_SB_EEDaSZ_S10_SG_SL_EUlSZ_E_NS1_11comp_targetILNS1_3genE8ELNS1_11target_archE1030ELNS1_3gpuE2ELNS1_3repE0EEENS1_47radix_sort_onesweep_sort_config_static_selectorELNS0_4arch9wavefront6targetE0EEEvSG_
                                        ; -- End function
	.set _ZN7rocprim17ROCPRIM_400000_NS6detail17trampoline_kernelINS0_14default_configENS1_35radix_sort_onesweep_config_selectorIjNS0_10empty_typeEEEZZNS1_29radix_sort_onesweep_iterationIS3_Lb0EPKjPjPS5_SB_mNS0_19identity_decomposerENS1_16block_id_wrapperIjLb1EEEEE10hipError_tT1_PNSt15iterator_traitsISG_E10value_typeET2_T3_PNSH_ISM_E10value_typeET4_T5_PSR_SS_PNS1_23onesweep_lookback_stateEbbT6_jjT7_P12ihipStream_tbENKUlT_T0_SG_SL_E_clIS9_SA_SB_SB_EEDaSZ_S10_SG_SL_EUlSZ_E_NS1_11comp_targetILNS1_3genE8ELNS1_11target_archE1030ELNS1_3gpuE2ELNS1_3repE0EEENS1_47radix_sort_onesweep_sort_config_static_selectorELNS0_4arch9wavefront6targetE0EEEvSG_.num_vgpr, 0
	.set _ZN7rocprim17ROCPRIM_400000_NS6detail17trampoline_kernelINS0_14default_configENS1_35radix_sort_onesweep_config_selectorIjNS0_10empty_typeEEEZZNS1_29radix_sort_onesweep_iterationIS3_Lb0EPKjPjPS5_SB_mNS0_19identity_decomposerENS1_16block_id_wrapperIjLb1EEEEE10hipError_tT1_PNSt15iterator_traitsISG_E10value_typeET2_T3_PNSH_ISM_E10value_typeET4_T5_PSR_SS_PNS1_23onesweep_lookback_stateEbbT6_jjT7_P12ihipStream_tbENKUlT_T0_SG_SL_E_clIS9_SA_SB_SB_EEDaSZ_S10_SG_SL_EUlSZ_E_NS1_11comp_targetILNS1_3genE8ELNS1_11target_archE1030ELNS1_3gpuE2ELNS1_3repE0EEENS1_47radix_sort_onesweep_sort_config_static_selectorELNS0_4arch9wavefront6targetE0EEEvSG_.num_agpr, 0
	.set _ZN7rocprim17ROCPRIM_400000_NS6detail17trampoline_kernelINS0_14default_configENS1_35radix_sort_onesweep_config_selectorIjNS0_10empty_typeEEEZZNS1_29radix_sort_onesweep_iterationIS3_Lb0EPKjPjPS5_SB_mNS0_19identity_decomposerENS1_16block_id_wrapperIjLb1EEEEE10hipError_tT1_PNSt15iterator_traitsISG_E10value_typeET2_T3_PNSH_ISM_E10value_typeET4_T5_PSR_SS_PNS1_23onesweep_lookback_stateEbbT6_jjT7_P12ihipStream_tbENKUlT_T0_SG_SL_E_clIS9_SA_SB_SB_EEDaSZ_S10_SG_SL_EUlSZ_E_NS1_11comp_targetILNS1_3genE8ELNS1_11target_archE1030ELNS1_3gpuE2ELNS1_3repE0EEENS1_47radix_sort_onesweep_sort_config_static_selectorELNS0_4arch9wavefront6targetE0EEEvSG_.numbered_sgpr, 0
	.set _ZN7rocprim17ROCPRIM_400000_NS6detail17trampoline_kernelINS0_14default_configENS1_35radix_sort_onesweep_config_selectorIjNS0_10empty_typeEEEZZNS1_29radix_sort_onesweep_iterationIS3_Lb0EPKjPjPS5_SB_mNS0_19identity_decomposerENS1_16block_id_wrapperIjLb1EEEEE10hipError_tT1_PNSt15iterator_traitsISG_E10value_typeET2_T3_PNSH_ISM_E10value_typeET4_T5_PSR_SS_PNS1_23onesweep_lookback_stateEbbT6_jjT7_P12ihipStream_tbENKUlT_T0_SG_SL_E_clIS9_SA_SB_SB_EEDaSZ_S10_SG_SL_EUlSZ_E_NS1_11comp_targetILNS1_3genE8ELNS1_11target_archE1030ELNS1_3gpuE2ELNS1_3repE0EEENS1_47radix_sort_onesweep_sort_config_static_selectorELNS0_4arch9wavefront6targetE0EEEvSG_.num_named_barrier, 0
	.set _ZN7rocprim17ROCPRIM_400000_NS6detail17trampoline_kernelINS0_14default_configENS1_35radix_sort_onesweep_config_selectorIjNS0_10empty_typeEEEZZNS1_29radix_sort_onesweep_iterationIS3_Lb0EPKjPjPS5_SB_mNS0_19identity_decomposerENS1_16block_id_wrapperIjLb1EEEEE10hipError_tT1_PNSt15iterator_traitsISG_E10value_typeET2_T3_PNSH_ISM_E10value_typeET4_T5_PSR_SS_PNS1_23onesweep_lookback_stateEbbT6_jjT7_P12ihipStream_tbENKUlT_T0_SG_SL_E_clIS9_SA_SB_SB_EEDaSZ_S10_SG_SL_EUlSZ_E_NS1_11comp_targetILNS1_3genE8ELNS1_11target_archE1030ELNS1_3gpuE2ELNS1_3repE0EEENS1_47radix_sort_onesweep_sort_config_static_selectorELNS0_4arch9wavefront6targetE0EEEvSG_.private_seg_size, 0
	.set _ZN7rocprim17ROCPRIM_400000_NS6detail17trampoline_kernelINS0_14default_configENS1_35radix_sort_onesweep_config_selectorIjNS0_10empty_typeEEEZZNS1_29radix_sort_onesweep_iterationIS3_Lb0EPKjPjPS5_SB_mNS0_19identity_decomposerENS1_16block_id_wrapperIjLb1EEEEE10hipError_tT1_PNSt15iterator_traitsISG_E10value_typeET2_T3_PNSH_ISM_E10value_typeET4_T5_PSR_SS_PNS1_23onesweep_lookback_stateEbbT6_jjT7_P12ihipStream_tbENKUlT_T0_SG_SL_E_clIS9_SA_SB_SB_EEDaSZ_S10_SG_SL_EUlSZ_E_NS1_11comp_targetILNS1_3genE8ELNS1_11target_archE1030ELNS1_3gpuE2ELNS1_3repE0EEENS1_47radix_sort_onesweep_sort_config_static_selectorELNS0_4arch9wavefront6targetE0EEEvSG_.uses_vcc, 0
	.set _ZN7rocprim17ROCPRIM_400000_NS6detail17trampoline_kernelINS0_14default_configENS1_35radix_sort_onesweep_config_selectorIjNS0_10empty_typeEEEZZNS1_29radix_sort_onesweep_iterationIS3_Lb0EPKjPjPS5_SB_mNS0_19identity_decomposerENS1_16block_id_wrapperIjLb1EEEEE10hipError_tT1_PNSt15iterator_traitsISG_E10value_typeET2_T3_PNSH_ISM_E10value_typeET4_T5_PSR_SS_PNS1_23onesweep_lookback_stateEbbT6_jjT7_P12ihipStream_tbENKUlT_T0_SG_SL_E_clIS9_SA_SB_SB_EEDaSZ_S10_SG_SL_EUlSZ_E_NS1_11comp_targetILNS1_3genE8ELNS1_11target_archE1030ELNS1_3gpuE2ELNS1_3repE0EEENS1_47radix_sort_onesweep_sort_config_static_selectorELNS0_4arch9wavefront6targetE0EEEvSG_.uses_flat_scratch, 0
	.set _ZN7rocprim17ROCPRIM_400000_NS6detail17trampoline_kernelINS0_14default_configENS1_35radix_sort_onesweep_config_selectorIjNS0_10empty_typeEEEZZNS1_29radix_sort_onesweep_iterationIS3_Lb0EPKjPjPS5_SB_mNS0_19identity_decomposerENS1_16block_id_wrapperIjLb1EEEEE10hipError_tT1_PNSt15iterator_traitsISG_E10value_typeET2_T3_PNSH_ISM_E10value_typeET4_T5_PSR_SS_PNS1_23onesweep_lookback_stateEbbT6_jjT7_P12ihipStream_tbENKUlT_T0_SG_SL_E_clIS9_SA_SB_SB_EEDaSZ_S10_SG_SL_EUlSZ_E_NS1_11comp_targetILNS1_3genE8ELNS1_11target_archE1030ELNS1_3gpuE2ELNS1_3repE0EEENS1_47radix_sort_onesweep_sort_config_static_selectorELNS0_4arch9wavefront6targetE0EEEvSG_.has_dyn_sized_stack, 0
	.set _ZN7rocprim17ROCPRIM_400000_NS6detail17trampoline_kernelINS0_14default_configENS1_35radix_sort_onesweep_config_selectorIjNS0_10empty_typeEEEZZNS1_29radix_sort_onesweep_iterationIS3_Lb0EPKjPjPS5_SB_mNS0_19identity_decomposerENS1_16block_id_wrapperIjLb1EEEEE10hipError_tT1_PNSt15iterator_traitsISG_E10value_typeET2_T3_PNSH_ISM_E10value_typeET4_T5_PSR_SS_PNS1_23onesweep_lookback_stateEbbT6_jjT7_P12ihipStream_tbENKUlT_T0_SG_SL_E_clIS9_SA_SB_SB_EEDaSZ_S10_SG_SL_EUlSZ_E_NS1_11comp_targetILNS1_3genE8ELNS1_11target_archE1030ELNS1_3gpuE2ELNS1_3repE0EEENS1_47radix_sort_onesweep_sort_config_static_selectorELNS0_4arch9wavefront6targetE0EEEvSG_.has_recursion, 0
	.set _ZN7rocprim17ROCPRIM_400000_NS6detail17trampoline_kernelINS0_14default_configENS1_35radix_sort_onesweep_config_selectorIjNS0_10empty_typeEEEZZNS1_29radix_sort_onesweep_iterationIS3_Lb0EPKjPjPS5_SB_mNS0_19identity_decomposerENS1_16block_id_wrapperIjLb1EEEEE10hipError_tT1_PNSt15iterator_traitsISG_E10value_typeET2_T3_PNSH_ISM_E10value_typeET4_T5_PSR_SS_PNS1_23onesweep_lookback_stateEbbT6_jjT7_P12ihipStream_tbENKUlT_T0_SG_SL_E_clIS9_SA_SB_SB_EEDaSZ_S10_SG_SL_EUlSZ_E_NS1_11comp_targetILNS1_3genE8ELNS1_11target_archE1030ELNS1_3gpuE2ELNS1_3repE0EEENS1_47radix_sort_onesweep_sort_config_static_selectorELNS0_4arch9wavefront6targetE0EEEvSG_.has_indirect_call, 0
	.section	.AMDGPU.csdata,"",@progbits
; Kernel info:
; codeLenInByte = 0
; TotalNumSgprs: 0
; NumVgprs: 0
; ScratchSize: 0
; MemoryBound: 0
; FloatMode: 240
; IeeeMode: 1
; LDSByteSize: 0 bytes/workgroup (compile time only)
; SGPRBlocks: 0
; VGPRBlocks: 0
; NumSGPRsForWavesPerEU: 1
; NumVGPRsForWavesPerEU: 1
; NamedBarCnt: 0
; Occupancy: 16
; WaveLimiterHint : 0
; COMPUTE_PGM_RSRC2:SCRATCH_EN: 0
; COMPUTE_PGM_RSRC2:USER_SGPR: 2
; COMPUTE_PGM_RSRC2:TRAP_HANDLER: 0
; COMPUTE_PGM_RSRC2:TGID_X_EN: 1
; COMPUTE_PGM_RSRC2:TGID_Y_EN: 0
; COMPUTE_PGM_RSRC2:TGID_Z_EN: 0
; COMPUTE_PGM_RSRC2:TIDIG_COMP_CNT: 0
	.section	.text._ZN7rocprim17ROCPRIM_400000_NS6detail17trampoline_kernelINS0_14default_configENS1_35radix_sort_onesweep_config_selectorIjNS0_10empty_typeEEEZZNS1_29radix_sort_onesweep_iterationIS3_Lb0EPKjPjPS5_SB_mNS0_19identity_decomposerENS1_16block_id_wrapperIjLb1EEEEE10hipError_tT1_PNSt15iterator_traitsISG_E10value_typeET2_T3_PNSH_ISM_E10value_typeET4_T5_PSR_SS_PNS1_23onesweep_lookback_stateEbbT6_jjT7_P12ihipStream_tbENKUlT_T0_SG_SL_E_clISA_SA_SB_SB_EEDaSZ_S10_SG_SL_EUlSZ_E_NS1_11comp_targetILNS1_3genE0ELNS1_11target_archE4294967295ELNS1_3gpuE0ELNS1_3repE0EEENS1_47radix_sort_onesweep_sort_config_static_selectorELNS0_4arch9wavefront6targetE0EEEvSG_,"axG",@progbits,_ZN7rocprim17ROCPRIM_400000_NS6detail17trampoline_kernelINS0_14default_configENS1_35radix_sort_onesweep_config_selectorIjNS0_10empty_typeEEEZZNS1_29radix_sort_onesweep_iterationIS3_Lb0EPKjPjPS5_SB_mNS0_19identity_decomposerENS1_16block_id_wrapperIjLb1EEEEE10hipError_tT1_PNSt15iterator_traitsISG_E10value_typeET2_T3_PNSH_ISM_E10value_typeET4_T5_PSR_SS_PNS1_23onesweep_lookback_stateEbbT6_jjT7_P12ihipStream_tbENKUlT_T0_SG_SL_E_clISA_SA_SB_SB_EEDaSZ_S10_SG_SL_EUlSZ_E_NS1_11comp_targetILNS1_3genE0ELNS1_11target_archE4294967295ELNS1_3gpuE0ELNS1_3repE0EEENS1_47radix_sort_onesweep_sort_config_static_selectorELNS0_4arch9wavefront6targetE0EEEvSG_,comdat
	.protected	_ZN7rocprim17ROCPRIM_400000_NS6detail17trampoline_kernelINS0_14default_configENS1_35radix_sort_onesweep_config_selectorIjNS0_10empty_typeEEEZZNS1_29radix_sort_onesweep_iterationIS3_Lb0EPKjPjPS5_SB_mNS0_19identity_decomposerENS1_16block_id_wrapperIjLb1EEEEE10hipError_tT1_PNSt15iterator_traitsISG_E10value_typeET2_T3_PNSH_ISM_E10value_typeET4_T5_PSR_SS_PNS1_23onesweep_lookback_stateEbbT6_jjT7_P12ihipStream_tbENKUlT_T0_SG_SL_E_clISA_SA_SB_SB_EEDaSZ_S10_SG_SL_EUlSZ_E_NS1_11comp_targetILNS1_3genE0ELNS1_11target_archE4294967295ELNS1_3gpuE0ELNS1_3repE0EEENS1_47radix_sort_onesweep_sort_config_static_selectorELNS0_4arch9wavefront6targetE0EEEvSG_ ; -- Begin function _ZN7rocprim17ROCPRIM_400000_NS6detail17trampoline_kernelINS0_14default_configENS1_35radix_sort_onesweep_config_selectorIjNS0_10empty_typeEEEZZNS1_29radix_sort_onesweep_iterationIS3_Lb0EPKjPjPS5_SB_mNS0_19identity_decomposerENS1_16block_id_wrapperIjLb1EEEEE10hipError_tT1_PNSt15iterator_traitsISG_E10value_typeET2_T3_PNSH_ISM_E10value_typeET4_T5_PSR_SS_PNS1_23onesweep_lookback_stateEbbT6_jjT7_P12ihipStream_tbENKUlT_T0_SG_SL_E_clISA_SA_SB_SB_EEDaSZ_S10_SG_SL_EUlSZ_E_NS1_11comp_targetILNS1_3genE0ELNS1_11target_archE4294967295ELNS1_3gpuE0ELNS1_3repE0EEENS1_47radix_sort_onesweep_sort_config_static_selectorELNS0_4arch9wavefront6targetE0EEEvSG_
	.globl	_ZN7rocprim17ROCPRIM_400000_NS6detail17trampoline_kernelINS0_14default_configENS1_35radix_sort_onesweep_config_selectorIjNS0_10empty_typeEEEZZNS1_29radix_sort_onesweep_iterationIS3_Lb0EPKjPjPS5_SB_mNS0_19identity_decomposerENS1_16block_id_wrapperIjLb1EEEEE10hipError_tT1_PNSt15iterator_traitsISG_E10value_typeET2_T3_PNSH_ISM_E10value_typeET4_T5_PSR_SS_PNS1_23onesweep_lookback_stateEbbT6_jjT7_P12ihipStream_tbENKUlT_T0_SG_SL_E_clISA_SA_SB_SB_EEDaSZ_S10_SG_SL_EUlSZ_E_NS1_11comp_targetILNS1_3genE0ELNS1_11target_archE4294967295ELNS1_3gpuE0ELNS1_3repE0EEENS1_47radix_sort_onesweep_sort_config_static_selectorELNS0_4arch9wavefront6targetE0EEEvSG_
	.p2align	8
	.type	_ZN7rocprim17ROCPRIM_400000_NS6detail17trampoline_kernelINS0_14default_configENS1_35radix_sort_onesweep_config_selectorIjNS0_10empty_typeEEEZZNS1_29radix_sort_onesweep_iterationIS3_Lb0EPKjPjPS5_SB_mNS0_19identity_decomposerENS1_16block_id_wrapperIjLb1EEEEE10hipError_tT1_PNSt15iterator_traitsISG_E10value_typeET2_T3_PNSH_ISM_E10value_typeET4_T5_PSR_SS_PNS1_23onesweep_lookback_stateEbbT6_jjT7_P12ihipStream_tbENKUlT_T0_SG_SL_E_clISA_SA_SB_SB_EEDaSZ_S10_SG_SL_EUlSZ_E_NS1_11comp_targetILNS1_3genE0ELNS1_11target_archE4294967295ELNS1_3gpuE0ELNS1_3repE0EEENS1_47radix_sort_onesweep_sort_config_static_selectorELNS0_4arch9wavefront6targetE0EEEvSG_,@function
_ZN7rocprim17ROCPRIM_400000_NS6detail17trampoline_kernelINS0_14default_configENS1_35radix_sort_onesweep_config_selectorIjNS0_10empty_typeEEEZZNS1_29radix_sort_onesweep_iterationIS3_Lb0EPKjPjPS5_SB_mNS0_19identity_decomposerENS1_16block_id_wrapperIjLb1EEEEE10hipError_tT1_PNSt15iterator_traitsISG_E10value_typeET2_T3_PNSH_ISM_E10value_typeET4_T5_PSR_SS_PNS1_23onesweep_lookback_stateEbbT6_jjT7_P12ihipStream_tbENKUlT_T0_SG_SL_E_clISA_SA_SB_SB_EEDaSZ_S10_SG_SL_EUlSZ_E_NS1_11comp_targetILNS1_3genE0ELNS1_11target_archE4294967295ELNS1_3gpuE0ELNS1_3repE0EEENS1_47radix_sort_onesweep_sort_config_static_selectorELNS0_4arch9wavefront6targetE0EEEvSG_: ; @_ZN7rocprim17ROCPRIM_400000_NS6detail17trampoline_kernelINS0_14default_configENS1_35radix_sort_onesweep_config_selectorIjNS0_10empty_typeEEEZZNS1_29radix_sort_onesweep_iterationIS3_Lb0EPKjPjPS5_SB_mNS0_19identity_decomposerENS1_16block_id_wrapperIjLb1EEEEE10hipError_tT1_PNSt15iterator_traitsISG_E10value_typeET2_T3_PNSH_ISM_E10value_typeET4_T5_PSR_SS_PNS1_23onesweep_lookback_stateEbbT6_jjT7_P12ihipStream_tbENKUlT_T0_SG_SL_E_clISA_SA_SB_SB_EEDaSZ_S10_SG_SL_EUlSZ_E_NS1_11comp_targetILNS1_3genE0ELNS1_11target_archE4294967295ELNS1_3gpuE0ELNS1_3repE0EEENS1_47radix_sort_onesweep_sort_config_static_selectorELNS0_4arch9wavefront6targetE0EEEvSG_
; %bb.0:
	s_clause 0x1
	s_load_b128 s[8:11], s[0:1], 0x28
	s_load_b64 s[20:21], s[0:1], 0x38
	v_and_b32_e32 v14, 0x3ff, v0
	s_delay_alu instid0(VALU_DEP_1)
	v_cmp_eq_u32_e64 s2, 0, v14
	s_and_saveexec_b32 s3, s2
	s_cbranch_execz .LBB2753_4
; %bb.1:
	s_mov_b32 s5, exec_lo
	s_mov_b32 s4, exec_lo
	v_mbcnt_lo_u32_b32 v1, s5, 0
                                        ; implicit-def: $vgpr2
	s_delay_alu instid0(VALU_DEP_1)
	v_cmpx_eq_u32_e32 0, v1
	s_cbranch_execz .LBB2753_3
; %bb.2:
	s_load_b64 s[6:7], s[0:1], 0x50
	s_bcnt1_i32_b32 s5, s5
	s_delay_alu instid0(SALU_CYCLE_1)
	v_dual_mov_b32 v2, 0 :: v_dual_mov_b32 v3, s5
	s_wait_xcnt 0x0
	s_wait_kmcnt 0x0
	global_atomic_add_u32 v2, v2, v3, s[6:7] th:TH_ATOMIC_RETURN scope:SCOPE_DEV
.LBB2753_3:
	s_wait_xcnt 0x0
	s_or_b32 exec_lo, exec_lo, s4
	s_wait_loadcnt 0x0
	v_readfirstlane_b32 s4, v2
	s_delay_alu instid0(VALU_DEP_1)
	v_dual_mov_b32 v2, 0 :: v_dual_add_nc_u32 v1, s4, v1
	ds_store_b32 v2, v1 offset:18496
.LBB2753_4:
	s_or_b32 exec_lo, exec_lo, s3
	v_mov_b32_e32 v3, 0
	s_clause 0x2
	s_load_b128 s[12:15], s[0:1], 0x0
	s_load_b32 s3, s[0:1], 0x20
	s_load_b96 s[16:18], s[0:1], 0x44
	s_wait_dscnt 0x0
	s_barrier_signal -1
	s_barrier_wait -1
	ds_load_b32 v1, v3 offset:18496
	v_mbcnt_lo_u32_b32 v15, -1, 0
	v_and_b32_e32 v16, 0x3e0, v14
	s_mov_b32 s4, -1
	s_add_nc_u64 s[24:25], s[0:1], 0x58
	s_getreg_b32 s7, hwreg(HW_REG_IB_STS2, 6, 4)
	s_wait_dscnt 0x0
	s_barrier_signal -1
	s_barrier_wait -1
	s_wait_kmcnt 0x0
	v_cmp_le_u32_e32 vcc_lo, s18, v1
	v_readfirstlane_b32 s19, v1
	s_mul_i32 s22, s19, 0x1800
	s_cbranch_vccz .LBB2753_94
; %bb.5:
	s_mov_b32 s23, 0
	v_mul_u32_u24_e32 v1, 12, v16
	v_lshlrev_b32_e32 v2, 2, v15
	s_lshl_b64 s[4:5], s[22:23], 2
	v_mov_b32_e32 v17, -1
	s_add_nc_u64 s[4:5], s[12:13], s[4:5]
	v_or_b32_e32 v4, v15, v1
	v_add_nc_u64_e32 v[6:7], s[4:5], v[2:3]
	v_dual_mov_b32 v1, -1 :: v_dual_lshlrev_b32 v2, 2, v1
	s_mulk_i32 s18, 0xe800
	s_delay_alu instid0(SALU_CYCLE_1) | instskip(SKIP_1) | instid1(VALU_DEP_1)
	s_add_co_i32 s18, s18, s3
	s_mov_b32 s3, exec_lo
	v_add_nc_u64_e32 v[2:3], v[6:7], v[2:3]
	v_cmpx_gt_u32_e64 s18, v4
	s_cbranch_execz .LBB2753_7
; %bb.6:
	global_load_b32 v17, v[2:3], off
.LBB2753_7:
	s_wait_xcnt 0x0
	s_or_b32 exec_lo, exec_lo, s3
	v_or_b32_e32 v5, 32, v4
	s_mov_b32 s3, exec_lo
	s_delay_alu instid0(VALU_DEP_1)
	v_cmpx_gt_u32_e64 s18, v5
	s_cbranch_execz .LBB2753_9
; %bb.8:
	global_load_b32 v1, v[2:3], off offset:128
.LBB2753_9:
	s_wait_xcnt 0x0
	s_or_b32 exec_lo, exec_lo, s3
	v_dual_mov_b32 v18, -1 :: v_dual_bitop2_b32 v5, 64, v4 bitop3:0x54
	v_mov_b32_e32 v19, -1
	s_mov_b32 s3, exec_lo
	s_delay_alu instid0(VALU_DEP_2)
	v_cmpx_gt_u32_e64 s18, v5
	s_cbranch_execz .LBB2753_11
; %bb.10:
	global_load_b32 v19, v[2:3], off offset:256
.LBB2753_11:
	s_wait_xcnt 0x0
	s_or_b32 exec_lo, exec_lo, s3
	v_or_b32_e32 v5, 0x60, v4
	s_mov_b32 s3, exec_lo
	s_delay_alu instid0(VALU_DEP_1)
	v_cmpx_gt_u32_e64 s18, v5
	s_cbranch_execz .LBB2753_13
; %bb.12:
	global_load_b32 v18, v[2:3], off offset:384
.LBB2753_13:
	s_wait_xcnt 0x0
	s_or_b32 exec_lo, exec_lo, s3
	v_dual_mov_b32 v20, -1 :: v_dual_add_nc_u32 v5, 0x80, v4
	v_mov_b32_e32 v21, -1
	s_mov_b32 s3, exec_lo
	s_delay_alu instid0(VALU_DEP_2)
	v_cmpx_gt_u32_e64 s18, v5
	s_cbranch_execz .LBB2753_15
; %bb.14:
	global_load_b32 v21, v[2:3], off offset:512
.LBB2753_15:
	s_wait_xcnt 0x0
	s_or_b32 exec_lo, exec_lo, s3
	v_add_nc_u32_e32 v5, 0xa0, v4
	s_mov_b32 s3, exec_lo
	s_delay_alu instid0(VALU_DEP_1)
	v_cmpx_gt_u32_e64 s18, v5
	s_cbranch_execz .LBB2753_17
; %bb.16:
	global_load_b32 v20, v[2:3], off offset:640
.LBB2753_17:
	s_wait_xcnt 0x0
	s_or_b32 exec_lo, exec_lo, s3
	v_dual_mov_b32 v22, -1 :: v_dual_add_nc_u32 v5, 0xc0, v4
	v_mov_b32_e32 v23, -1
	s_mov_b32 s3, exec_lo
	s_delay_alu instid0(VALU_DEP_2)
	v_cmpx_gt_u32_e64 s18, v5
	s_cbranch_execz .LBB2753_19
; %bb.18:
	global_load_b32 v23, v[2:3], off offset:768
.LBB2753_19:
	s_wait_xcnt 0x0
	s_or_b32 exec_lo, exec_lo, s3
	v_add_nc_u32_e32 v5, 0xe0, v4
	;; [unrolled: 21-line block ×4, first 2 shown]
	s_mov_b32 s3, exec_lo
	s_delay_alu instid0(VALU_DEP_1)
	v_cmpx_gt_u32_e64 s18, v4
	s_cbranch_execz .LBB2753_29
; %bb.28:
	global_load_b32 v26, v[2:3], off offset:1408
.LBB2753_29:
	s_wait_xcnt 0x0
	s_or_b32 exec_lo, exec_lo, s3
	s_clause 0x1
	s_load_b32 s23, s[0:1], 0x58
	s_load_u16 s3, s[0:1], 0x66
	s_bfe_u32 s4, ttmp6, 0x4000c
	s_and_b32 s5, ttmp6, 15
	s_add_co_i32 s4, s4, 1
	v_bfe_u32 v2, v0, 10, 10
	s_mul_i32 s4, ttmp9, s4
	v_bfe_u32 v3, v0, 20, 10
	s_add_co_i32 s5, s5, s4
	s_cmp_eq_u32 s7, 0
	s_wait_loadcnt 0x0
	v_lshrrev_b32_e32 v4, s16, v17
	s_cselect_b32 s4, ttmp9, s5
	s_mov_b32 s5, 0
	s_wait_kmcnt 0x0
	s_cmp_lt_u32 s4, s23
	v_mad_u32_u24 v2, v3, s3, v2
	s_cselect_b32 s4, 12, 18
	s_lshl_b32 s26, -1, s17
	s_add_nc_u64 s[4:5], s[24:25], s[4:5]
	v_bitop3_b32 v3, v4, 1, s26 bitop3:0x40
	s_load_u16 s27, s[4:5], 0x0
	s_delay_alu instid0(VALU_DEP_1) | instskip(NEXT) | instid1(VALU_DEP_1)
	v_add_co_u32 v3, s3, v3, -1
	v_cndmask_b32_e64 v5, 0, 1, s3
	s_delay_alu instid0(VALU_DEP_1) | instskip(NEXT) | instid1(VALU_DEP_3)
	v_cmp_ne_u32_e32 vcc_lo, 0, v5
	v_xor_b32_e32 v3, vcc_lo, v3
	v_bitop3_b32 v4, v4, s26, v4 bitop3:0x30
	s_not_b32 s26, s26
	s_wait_kmcnt 0x0
	v_mad_u32 v2, v2, s27, v14
	s_delay_alu instid0(VALU_DEP_2) | instskip(SKIP_2) | instid1(VALU_DEP_3)
	v_dual_lshlrev_b32 v6, 30, v4 :: v_dual_lshlrev_b32 v7, 29, v4
	v_dual_lshlrev_b32 v8, 28, v4 :: v_dual_lshlrev_b32 v9, 27, v4
	;; [unrolled: 1-line block ×3, first 2 shown]
	v_not_b32_e32 v5, v6
	v_lshlrev_b32_e32 v12, 24, v4
	v_cmp_gt_i32_e64 s3, 0, v6
	v_cmp_gt_i32_e64 s4, 0, v7
	v_not_b32_e32 v6, v7
	v_not_b32_e32 v7, v8
	v_ashrrev_i32_e32 v5, 31, v5
	v_cmp_gt_i32_e64 s5, 0, v8
	v_cmp_gt_i32_e64 s6, 0, v9
	v_not_b32_e32 v8, v9
	v_dual_ashrrev_i32 v6, 31, v6 :: v_dual_ashrrev_i32 v7, 31, v7
	v_xor_b32_e32 v5, s3, v5
	v_not_b32_e32 v9, v10
	s_delay_alu instid0(VALU_DEP_3) | instskip(NEXT) | instid1(VALU_DEP_4)
	v_dual_ashrrev_i32 v8, 31, v8 :: v_dual_bitop2_b32 v6, s4, v6 bitop3:0x14
	v_xor_b32_e32 v7, s5, v7
	s_delay_alu instid0(VALU_DEP_4)
	v_bitop3_b32 v3, v3, v5, exec_lo bitop3:0x80
	v_cmp_gt_i32_e32 vcc_lo, 0, v10
	v_ashrrev_i32_e32 v5, 31, v9
	v_not_b32_e32 v9, v11
	v_xor_b32_e32 v8, s6, v8
	v_bitop3_b32 v3, v3, v7, v6 bitop3:0x80
	v_not_b32_e32 v6, v12
	v_xor_b32_e32 v5, vcc_lo, v5
	v_cmp_gt_i32_e32 vcc_lo, 0, v11
	v_ashrrev_i32_e32 v7, 31, v9
	v_mul_lo_u32 v4, 0x44, v4
	v_cmp_gt_i32_e64 s3, 0, v12
	v_ashrrev_i32_e32 v6, 31, v6
	v_bitop3_b32 v3, v3, v5, v8 bitop3:0x80
	v_dual_lshrrev_b32 v2, 3, v2 :: v_dual_bitop2_b32 v5, vcc_lo, v7 bitop3:0x14
	v_mul_u32_u24_e32 v10, 36, v14
	v_mov_b32_e32 v7, 0
	ds_store_2addr_b32 v10, v7, v7 offset0:16 offset1:17
	ds_store_2addr_b32 v10, v7, v7 offset0:18 offset1:19
	;; [unrolled: 1-line block ×4, first 2 shown]
	v_and_b32_e32 v2, 0x1ffffffc, v2
	v_xor_b32_e32 v6, s3, v6
	ds_store_b32 v10, v7 offset:96
	s_wait_dscnt 0x0
	s_barrier_signal -1
	v_add_nc_u32_e32 v11, v2, v4
	v_bitop3_b32 v3, v3, v6, v5 bitop3:0x80
	s_barrier_wait -1
	; wave barrier
	s_delay_alu instid0(VALU_DEP_1) | instskip(SKIP_1) | instid1(VALU_DEP_2)
	v_mbcnt_lo_u32_b32 v28, v3, 0
	v_cmp_ne_u32_e64 s3, 0, v3
	v_cmp_eq_u32_e32 vcc_lo, 0, v28
	s_and_b32 s4, s3, vcc_lo
	s_delay_alu instid0(SALU_CYCLE_1)
	s_and_saveexec_b32 s3, s4
; %bb.30:
	v_bcnt_u32_b32 v3, v3, 0
	ds_store_b32 v11, v3 offset:64
; %bb.31:
	s_or_b32 exec_lo, exec_lo, s3
	v_lshrrev_b32_e32 v3, s16, v1
	; wave barrier
	s_delay_alu instid0(VALU_DEP_1) | instskip(NEXT) | instid1(VALU_DEP_1)
	v_and_b32_e32 v4, s26, v3
	v_lshlrev_b32_e32 v7, 30, v4
	v_bitop3_b32 v3, v3, 1, s26 bitop3:0x80
	s_delay_alu instid0(VALU_DEP_1) | instskip(NEXT) | instid1(VALU_DEP_1)
	v_add_co_u32 v3, s3, v3, -1
	v_cndmask_b32_e64 v6, 0, 1, s3
	s_delay_alu instid0(VALU_DEP_4) | instskip(NEXT) | instid1(VALU_DEP_2)
	v_cmp_gt_i32_e64 s3, 0, v7
	v_cmp_ne_u32_e32 vcc_lo, 0, v6
	v_not_b32_e32 v6, v7
	s_delay_alu instid0(VALU_DEP_1) | instskip(SKIP_3) | instid1(VALU_DEP_4)
	v_dual_ashrrev_i32 v6, 31, v6 :: v_dual_lshlrev_b32 v8, 29, v4
	v_dual_lshlrev_b32 v9, 28, v4 :: v_dual_lshlrev_b32 v12, 27, v4
	v_lshlrev_b32_e32 v13, 26, v4
	v_mul_lo_u32 v5, 0x44, v4
	v_cmp_gt_i32_e64 s4, 0, v8
	v_not_b32_e32 v7, v8
	v_not_b32_e32 v8, v9
	v_cmp_gt_i32_e64 s5, 0, v9
	v_xor_b32_e32 v3, vcc_lo, v3
	s_delay_alu instid0(VALU_DEP_4) | instskip(NEXT) | instid1(VALU_DEP_4)
	v_dual_ashrrev_i32 v7, 31, v7 :: v_dual_bitop2_b32 v6, s3, v6 bitop3:0x14
	v_ashrrev_i32_e32 v8, 31, v8
	v_dual_lshlrev_b32 v29, 25, v4 :: v_dual_lshlrev_b32 v4, 24, v4
	v_not_b32_e32 v9, v12
	v_not_b32_e32 v30, v13
	v_xor_b32_e32 v7, s4, v7
	v_xor_b32_e32 v8, s5, v8
	v_bitop3_b32 v3, v3, v6, exec_lo bitop3:0x80
	v_cmp_gt_i32_e32 vcc_lo, 0, v12
	v_ashrrev_i32_e32 v6, 31, v9
	v_cmp_gt_i32_e64 s3, 0, v13
	v_ashrrev_i32_e32 v9, 31, v30
	v_bitop3_b32 v3, v3, v8, v7 bitop3:0x80
	v_not_b32_e32 v7, v29
	v_not_b32_e32 v8, v4
	v_xor_b32_e32 v6, vcc_lo, v6
	v_xor_b32_e32 v9, s3, v9
	v_cmp_gt_i32_e32 vcc_lo, 0, v29
	v_ashrrev_i32_e32 v7, 31, v7
	v_cmp_gt_i32_e64 s3, 0, v4
	v_dual_ashrrev_i32 v4, 31, v8 :: v_dual_add_nc_u32 v12, v2, v5
	v_bitop3_b32 v3, v3, v9, v6 bitop3:0x80
	s_delay_alu instid0(VALU_DEP_4) | instskip(NEXT) | instid1(VALU_DEP_3)
	v_xor_b32_e32 v5, vcc_lo, v7
	v_xor_b32_e32 v4, s3, v4
	ds_load_b32 v29, v12 offset:64
	; wave barrier
	v_bitop3_b32 v3, v3, v4, v5 bitop3:0x80
	s_delay_alu instid0(VALU_DEP_1) | instskip(SKIP_1) | instid1(VALU_DEP_2)
	v_mbcnt_lo_u32_b32 v30, v3, 0
	v_cmp_ne_u32_e64 s3, 0, v3
	v_cmp_eq_u32_e32 vcc_lo, 0, v30
	s_and_b32 s4, s3, vcc_lo
	s_delay_alu instid0(SALU_CYCLE_1)
	s_and_saveexec_b32 s3, s4
	s_cbranch_execz .LBB2753_33
; %bb.32:
	s_wait_dscnt 0x0
	v_bcnt_u32_b32 v3, v3, v29
	ds_store_b32 v12, v3 offset:64
.LBB2753_33:
	s_or_b32 exec_lo, exec_lo, s3
	v_lshrrev_b32_e32 v3, s16, v19
	; wave barrier
	s_delay_alu instid0(VALU_DEP_1) | instskip(NEXT) | instid1(VALU_DEP_1)
	v_and_b32_e32 v4, s26, v3
	v_lshlrev_b32_e32 v7, 30, v4
	v_bitop3_b32 v3, v3, 1, s26 bitop3:0x80
	s_delay_alu instid0(VALU_DEP_1) | instskip(NEXT) | instid1(VALU_DEP_1)
	v_add_co_u32 v3, s3, v3, -1
	v_cndmask_b32_e64 v6, 0, 1, s3
	s_delay_alu instid0(VALU_DEP_4) | instskip(NEXT) | instid1(VALU_DEP_2)
	v_cmp_gt_i32_e64 s3, 0, v7
	v_cmp_ne_u32_e32 vcc_lo, 0, v6
	v_not_b32_e32 v6, v7
	s_delay_alu instid0(VALU_DEP_1) | instskip(SKIP_3) | instid1(VALU_DEP_4)
	v_dual_ashrrev_i32 v6, 31, v6 :: v_dual_lshlrev_b32 v8, 29, v4
	v_dual_lshlrev_b32 v9, 28, v4 :: v_dual_lshlrev_b32 v13, 27, v4
	v_lshlrev_b32_e32 v31, 26, v4
	v_mul_lo_u32 v5, 0x44, v4
	v_cmp_gt_i32_e64 s4, 0, v8
	v_not_b32_e32 v7, v8
	v_not_b32_e32 v8, v9
	v_cmp_gt_i32_e64 s5, 0, v9
	v_xor_b32_e32 v3, vcc_lo, v3
	s_delay_alu instid0(VALU_DEP_4) | instskip(NEXT) | instid1(VALU_DEP_4)
	v_dual_ashrrev_i32 v7, 31, v7 :: v_dual_bitop2_b32 v6, s3, v6 bitop3:0x14
	v_ashrrev_i32_e32 v8, 31, v8
	v_dual_lshlrev_b32 v32, 25, v4 :: v_dual_lshlrev_b32 v4, 24, v4
	v_not_b32_e32 v9, v13
	v_not_b32_e32 v33, v31
	v_xor_b32_e32 v7, s4, v7
	v_xor_b32_e32 v8, s5, v8
	v_bitop3_b32 v3, v3, v6, exec_lo bitop3:0x80
	v_cmp_gt_i32_e32 vcc_lo, 0, v13
	v_ashrrev_i32_e32 v6, 31, v9
	v_cmp_gt_i32_e64 s3, 0, v31
	v_ashrrev_i32_e32 v9, 31, v33
	v_bitop3_b32 v3, v3, v8, v7 bitop3:0x80
	v_not_b32_e32 v7, v32
	v_not_b32_e32 v8, v4
	v_xor_b32_e32 v6, vcc_lo, v6
	v_xor_b32_e32 v9, s3, v9
	v_cmp_gt_i32_e32 vcc_lo, 0, v32
	v_ashrrev_i32_e32 v7, 31, v7
	v_cmp_gt_i32_e64 s3, 0, v4
	v_dual_ashrrev_i32 v4, 31, v8 :: v_dual_add_nc_u32 v13, v2, v5
	v_bitop3_b32 v3, v3, v9, v6 bitop3:0x80
	s_delay_alu instid0(VALU_DEP_4) | instskip(NEXT) | instid1(VALU_DEP_3)
	v_xor_b32_e32 v5, vcc_lo, v7
	v_xor_b32_e32 v4, s3, v4
	ds_load_b32 v31, v13 offset:64
	; wave barrier
	v_bitop3_b32 v3, v3, v4, v5 bitop3:0x80
	s_delay_alu instid0(VALU_DEP_1) | instskip(SKIP_1) | instid1(VALU_DEP_2)
	v_mbcnt_lo_u32_b32 v32, v3, 0
	v_cmp_ne_u32_e64 s3, 0, v3
	v_cmp_eq_u32_e32 vcc_lo, 0, v32
	s_and_b32 s4, s3, vcc_lo
	s_delay_alu instid0(SALU_CYCLE_1)
	s_and_saveexec_b32 s3, s4
	s_cbranch_execz .LBB2753_35
; %bb.34:
	s_wait_dscnt 0x0
	v_bcnt_u32_b32 v3, v3, v31
	ds_store_b32 v13, v3 offset:64
.LBB2753_35:
	s_or_b32 exec_lo, exec_lo, s3
	v_lshrrev_b32_e32 v3, s16, v18
	; wave barrier
	s_delay_alu instid0(VALU_DEP_1) | instskip(NEXT) | instid1(VALU_DEP_1)
	v_and_b32_e32 v4, s26, v3
	v_lshlrev_b32_e32 v7, 30, v4
	v_bitop3_b32 v3, v3, 1, s26 bitop3:0x80
	s_delay_alu instid0(VALU_DEP_1) | instskip(NEXT) | instid1(VALU_DEP_1)
	v_add_co_u32 v3, s3, v3, -1
	v_cndmask_b32_e64 v6, 0, 1, s3
	s_delay_alu instid0(VALU_DEP_4) | instskip(NEXT) | instid1(VALU_DEP_2)
	v_cmp_gt_i32_e64 s3, 0, v7
	v_cmp_ne_u32_e32 vcc_lo, 0, v6
	v_not_b32_e32 v6, v7
	s_delay_alu instid0(VALU_DEP_1) | instskip(SKIP_3) | instid1(VALU_DEP_4)
	v_dual_ashrrev_i32 v6, 31, v6 :: v_dual_lshlrev_b32 v8, 29, v4
	v_dual_lshlrev_b32 v9, 28, v4 :: v_dual_lshlrev_b32 v33, 27, v4
	v_lshlrev_b32_e32 v34, 26, v4
	v_mul_lo_u32 v5, 0x44, v4
	v_cmp_gt_i32_e64 s4, 0, v8
	v_not_b32_e32 v7, v8
	v_not_b32_e32 v8, v9
	v_cmp_gt_i32_e64 s5, 0, v9
	v_xor_b32_e32 v3, vcc_lo, v3
	s_delay_alu instid0(VALU_DEP_4) | instskip(NEXT) | instid1(VALU_DEP_4)
	v_dual_ashrrev_i32 v7, 31, v7 :: v_dual_bitop2_b32 v6, s3, v6 bitop3:0x14
	v_ashrrev_i32_e32 v8, 31, v8
	v_dual_lshlrev_b32 v35, 25, v4 :: v_dual_lshlrev_b32 v4, 24, v4
	v_not_b32_e32 v9, v33
	v_not_b32_e32 v36, v34
	v_xor_b32_e32 v7, s4, v7
	v_xor_b32_e32 v8, s5, v8
	v_bitop3_b32 v3, v3, v6, exec_lo bitop3:0x80
	v_cmp_gt_i32_e32 vcc_lo, 0, v33
	v_ashrrev_i32_e32 v6, 31, v9
	v_cmp_gt_i32_e64 s3, 0, v34
	v_ashrrev_i32_e32 v9, 31, v36
	v_bitop3_b32 v3, v3, v8, v7 bitop3:0x80
	v_not_b32_e32 v7, v35
	v_not_b32_e32 v8, v4
	v_xor_b32_e32 v6, vcc_lo, v6
	v_xor_b32_e32 v9, s3, v9
	v_cmp_gt_i32_e32 vcc_lo, 0, v35
	v_ashrrev_i32_e32 v7, 31, v7
	v_cmp_gt_i32_e64 s3, 0, v4
	v_dual_ashrrev_i32 v4, 31, v8 :: v_dual_add_nc_u32 v37, v2, v5
	v_bitop3_b32 v3, v3, v9, v6 bitop3:0x80
	s_delay_alu instid0(VALU_DEP_4) | instskip(NEXT) | instid1(VALU_DEP_3)
	v_xor_b32_e32 v5, vcc_lo, v7
	v_xor_b32_e32 v4, s3, v4
	ds_load_b32 v33, v37 offset:64
	; wave barrier
	v_bitop3_b32 v3, v3, v4, v5 bitop3:0x80
	s_delay_alu instid0(VALU_DEP_1) | instskip(SKIP_1) | instid1(VALU_DEP_2)
	v_mbcnt_lo_u32_b32 v34, v3, 0
	v_cmp_ne_u32_e64 s3, 0, v3
	v_cmp_eq_u32_e32 vcc_lo, 0, v34
	s_and_b32 s4, s3, vcc_lo
	s_delay_alu instid0(SALU_CYCLE_1)
	s_and_saveexec_b32 s3, s4
	s_cbranch_execz .LBB2753_37
; %bb.36:
	s_wait_dscnt 0x0
	v_bcnt_u32_b32 v3, v3, v33
	ds_store_b32 v37, v3 offset:64
.LBB2753_37:
	s_or_b32 exec_lo, exec_lo, s3
	v_lshrrev_b32_e32 v3, s16, v21
	; wave barrier
	s_delay_alu instid0(VALU_DEP_1) | instskip(NEXT) | instid1(VALU_DEP_1)
	v_and_b32_e32 v4, s26, v3
	v_lshlrev_b32_e32 v7, 30, v4
	v_bitop3_b32 v3, v3, 1, s26 bitop3:0x80
	s_delay_alu instid0(VALU_DEP_1) | instskip(NEXT) | instid1(VALU_DEP_1)
	v_add_co_u32 v3, s3, v3, -1
	v_cndmask_b32_e64 v6, 0, 1, s3
	s_delay_alu instid0(VALU_DEP_4) | instskip(NEXT) | instid1(VALU_DEP_2)
	v_cmp_gt_i32_e64 s3, 0, v7
	v_cmp_ne_u32_e32 vcc_lo, 0, v6
	v_not_b32_e32 v6, v7
	s_delay_alu instid0(VALU_DEP_1) | instskip(SKIP_3) | instid1(VALU_DEP_4)
	v_dual_ashrrev_i32 v6, 31, v6 :: v_dual_lshlrev_b32 v8, 29, v4
	v_dual_lshlrev_b32 v9, 28, v4 :: v_dual_lshlrev_b32 v35, 27, v4
	v_lshlrev_b32_e32 v36, 26, v4
	v_mul_lo_u32 v5, 0x44, v4
	v_cmp_gt_i32_e64 s4, 0, v8
	v_not_b32_e32 v7, v8
	v_not_b32_e32 v8, v9
	v_cmp_gt_i32_e64 s5, 0, v9
	v_xor_b32_e32 v3, vcc_lo, v3
	s_delay_alu instid0(VALU_DEP_4) | instskip(NEXT) | instid1(VALU_DEP_4)
	v_dual_ashrrev_i32 v7, 31, v7 :: v_dual_bitop2_b32 v6, s3, v6 bitop3:0x14
	v_ashrrev_i32_e32 v8, 31, v8
	v_dual_lshlrev_b32 v38, 25, v4 :: v_dual_lshlrev_b32 v4, 24, v4
	v_not_b32_e32 v9, v35
	v_not_b32_e32 v39, v36
	v_xor_b32_e32 v7, s4, v7
	v_xor_b32_e32 v8, s5, v8
	v_bitop3_b32 v3, v3, v6, exec_lo bitop3:0x80
	v_cmp_gt_i32_e32 vcc_lo, 0, v35
	v_ashrrev_i32_e32 v6, 31, v9
	v_cmp_gt_i32_e64 s3, 0, v36
	v_ashrrev_i32_e32 v9, 31, v39
	v_bitop3_b32 v3, v3, v8, v7 bitop3:0x80
	v_not_b32_e32 v7, v38
	v_not_b32_e32 v8, v4
	v_xor_b32_e32 v6, vcc_lo, v6
	v_xor_b32_e32 v9, s3, v9
	v_cmp_gt_i32_e32 vcc_lo, 0, v38
	v_ashrrev_i32_e32 v7, 31, v7
	v_cmp_gt_i32_e64 s3, 0, v4
	v_dual_ashrrev_i32 v4, 31, v8 :: v_dual_add_nc_u32 v40, v2, v5
	v_bitop3_b32 v3, v3, v9, v6 bitop3:0x80
	s_delay_alu instid0(VALU_DEP_4) | instskip(NEXT) | instid1(VALU_DEP_3)
	v_xor_b32_e32 v5, vcc_lo, v7
	v_xor_b32_e32 v4, s3, v4
	ds_load_b32 v35, v40 offset:64
	; wave barrier
	v_bitop3_b32 v3, v3, v4, v5 bitop3:0x80
	s_delay_alu instid0(VALU_DEP_1) | instskip(SKIP_1) | instid1(VALU_DEP_2)
	v_mbcnt_lo_u32_b32 v36, v3, 0
	v_cmp_ne_u32_e64 s3, 0, v3
	v_cmp_eq_u32_e32 vcc_lo, 0, v36
	s_and_b32 s4, s3, vcc_lo
	s_delay_alu instid0(SALU_CYCLE_1)
	s_and_saveexec_b32 s3, s4
	s_cbranch_execz .LBB2753_39
; %bb.38:
	s_wait_dscnt 0x0
	v_bcnt_u32_b32 v3, v3, v35
	ds_store_b32 v40, v3 offset:64
.LBB2753_39:
	s_or_b32 exec_lo, exec_lo, s3
	v_lshrrev_b32_e32 v3, s16, v20
	; wave barrier
	s_delay_alu instid0(VALU_DEP_1) | instskip(SKIP_1) | instid1(VALU_DEP_2)
	v_and_b32_e32 v4, s26, v3
	v_bitop3_b32 v3, v3, 1, s26 bitop3:0x80
	v_dual_lshlrev_b32 v7, 30, v4 :: v_dual_lshlrev_b32 v8, 29, v4
	s_delay_alu instid0(VALU_DEP_2) | instskip(NEXT) | instid1(VALU_DEP_1)
	v_add_co_u32 v3, s3, v3, -1
	v_cndmask_b32_e64 v6, 0, 1, s3
	v_lshlrev_b32_e32 v9, 28, v4
	s_delay_alu instid0(VALU_DEP_4) | instskip(SKIP_1) | instid1(VALU_DEP_4)
	v_cmp_gt_i32_e64 s3, 0, v7
	v_cmp_gt_i32_e64 s4, 0, v8
	v_cmp_ne_u32_e32 vcc_lo, 0, v6
	v_not_b32_e32 v6, v7
	v_not_b32_e32 v7, v8
	;; [unrolled: 1-line block ×3, first 2 shown]
	s_delay_alu instid0(VALU_DEP_3) | instskip(NEXT) | instid1(VALU_DEP_2)
	v_dual_ashrrev_i32 v6, 31, v6 :: v_dual_bitop2_b32 v3, vcc_lo, v3 bitop3:0x14
	v_dual_ashrrev_i32 v7, 31, v7 :: v_dual_ashrrev_i32 v8, 31, v8
	v_mul_lo_u32 v5, 0x44, v4
	v_dual_lshlrev_b32 v38, 27, v4 :: v_dual_lshlrev_b32 v39, 26, v4
	v_dual_lshlrev_b32 v41, 25, v4 :: v_dual_lshlrev_b32 v4, 24, v4
	v_cmp_gt_i32_e64 s5, 0, v9
	v_xor_b32_e32 v6, s3, v6
	s_delay_alu instid0(VALU_DEP_4)
	v_not_b32_e32 v9, v38
	v_not_b32_e32 v42, v39
	v_xor_b32_e32 v7, s4, v7
	v_xor_b32_e32 v8, s5, v8
	v_bitop3_b32 v3, v3, v6, exec_lo bitop3:0x80
	v_cmp_gt_i32_e32 vcc_lo, 0, v38
	v_ashrrev_i32_e32 v6, 31, v9
	v_cmp_gt_i32_e64 s3, 0, v39
	v_ashrrev_i32_e32 v9, 31, v42
	v_bitop3_b32 v3, v3, v8, v7 bitop3:0x80
	v_not_b32_e32 v7, v41
	v_not_b32_e32 v8, v4
	v_xor_b32_e32 v6, vcc_lo, v6
	v_xor_b32_e32 v9, s3, v9
	v_cmp_gt_i32_e32 vcc_lo, 0, v41
	v_ashrrev_i32_e32 v7, 31, v7
	v_cmp_gt_i32_e64 s3, 0, v4
	v_dual_ashrrev_i32 v4, 31, v8 :: v_dual_add_nc_u32 v43, v2, v5
	v_bitop3_b32 v3, v3, v9, v6 bitop3:0x80
	s_delay_alu instid0(VALU_DEP_4) | instskip(NEXT) | instid1(VALU_DEP_3)
	v_xor_b32_e32 v5, vcc_lo, v7
	v_xor_b32_e32 v4, s3, v4
	ds_load_b32 v38, v43 offset:64
	; wave barrier
	v_bitop3_b32 v3, v3, v4, v5 bitop3:0x80
	s_delay_alu instid0(VALU_DEP_1) | instskip(SKIP_1) | instid1(VALU_DEP_2)
	v_mbcnt_lo_u32_b32 v39, v3, 0
	v_cmp_ne_u32_e64 s3, 0, v3
	v_cmp_eq_u32_e32 vcc_lo, 0, v39
	s_and_b32 s4, s3, vcc_lo
	s_delay_alu instid0(SALU_CYCLE_1)
	s_and_saveexec_b32 s3, s4
	s_cbranch_execz .LBB2753_41
; %bb.40:
	s_wait_dscnt 0x0
	v_bcnt_u32_b32 v3, v3, v38
	ds_store_b32 v43, v3 offset:64
.LBB2753_41:
	s_or_b32 exec_lo, exec_lo, s3
	v_lshrrev_b32_e32 v3, s16, v23
	; wave barrier
	s_delay_alu instid0(VALU_DEP_1) | instskip(NEXT) | instid1(VALU_DEP_1)
	v_and_b32_e32 v4, s26, v3
	v_lshlrev_b32_e32 v7, 30, v4
	v_bitop3_b32 v3, v3, 1, s26 bitop3:0x80
	s_delay_alu instid0(VALU_DEP_1) | instskip(NEXT) | instid1(VALU_DEP_1)
	v_add_co_u32 v3, s3, v3, -1
	v_cndmask_b32_e64 v6, 0, 1, s3
	s_delay_alu instid0(VALU_DEP_4) | instskip(NEXT) | instid1(VALU_DEP_2)
	v_cmp_gt_i32_e64 s3, 0, v7
	v_cmp_ne_u32_e32 vcc_lo, 0, v6
	v_not_b32_e32 v6, v7
	s_delay_alu instid0(VALU_DEP_1) | instskip(SKIP_3) | instid1(VALU_DEP_4)
	v_dual_ashrrev_i32 v6, 31, v6 :: v_dual_lshlrev_b32 v8, 29, v4
	v_dual_lshlrev_b32 v9, 28, v4 :: v_dual_lshlrev_b32 v41, 27, v4
	v_lshlrev_b32_e32 v42, 26, v4
	v_mul_lo_u32 v5, 0x44, v4
	v_cmp_gt_i32_e64 s4, 0, v8
	v_not_b32_e32 v7, v8
	v_not_b32_e32 v8, v9
	v_cmp_gt_i32_e64 s5, 0, v9
	v_xor_b32_e32 v3, vcc_lo, v3
	s_delay_alu instid0(VALU_DEP_4) | instskip(NEXT) | instid1(VALU_DEP_4)
	v_dual_ashrrev_i32 v7, 31, v7 :: v_dual_bitop2_b32 v6, s3, v6 bitop3:0x14
	v_ashrrev_i32_e32 v8, 31, v8
	v_dual_lshlrev_b32 v44, 25, v4 :: v_dual_lshlrev_b32 v4, 24, v4
	v_not_b32_e32 v9, v41
	v_not_b32_e32 v45, v42
	v_xor_b32_e32 v7, s4, v7
	v_xor_b32_e32 v8, s5, v8
	v_bitop3_b32 v3, v3, v6, exec_lo bitop3:0x80
	v_cmp_gt_i32_e32 vcc_lo, 0, v41
	v_ashrrev_i32_e32 v6, 31, v9
	v_cmp_gt_i32_e64 s3, 0, v42
	v_ashrrev_i32_e32 v9, 31, v45
	v_bitop3_b32 v3, v3, v8, v7 bitop3:0x80
	v_not_b32_e32 v7, v44
	v_not_b32_e32 v8, v4
	v_xor_b32_e32 v6, vcc_lo, v6
	v_xor_b32_e32 v9, s3, v9
	v_cmp_gt_i32_e32 vcc_lo, 0, v44
	v_ashrrev_i32_e32 v7, 31, v7
	v_cmp_gt_i32_e64 s3, 0, v4
	v_dual_ashrrev_i32 v4, 31, v8 :: v_dual_add_nc_u32 v46, v2, v5
	v_bitop3_b32 v3, v3, v9, v6 bitop3:0x80
	s_delay_alu instid0(VALU_DEP_4) | instskip(NEXT) | instid1(VALU_DEP_3)
	v_xor_b32_e32 v5, vcc_lo, v7
	v_xor_b32_e32 v4, s3, v4
	ds_load_b32 v41, v46 offset:64
	; wave barrier
	v_bitop3_b32 v3, v3, v4, v5 bitop3:0x80
	s_delay_alu instid0(VALU_DEP_1) | instskip(SKIP_1) | instid1(VALU_DEP_2)
	v_mbcnt_lo_u32_b32 v42, v3, 0
	v_cmp_ne_u32_e64 s3, 0, v3
	v_cmp_eq_u32_e32 vcc_lo, 0, v42
	s_and_b32 s4, s3, vcc_lo
	s_delay_alu instid0(SALU_CYCLE_1)
	s_and_saveexec_b32 s3, s4
	s_cbranch_execz .LBB2753_43
; %bb.42:
	s_wait_dscnt 0x0
	v_bcnt_u32_b32 v3, v3, v41
	ds_store_b32 v46, v3 offset:64
.LBB2753_43:
	s_or_b32 exec_lo, exec_lo, s3
	v_lshrrev_b32_e32 v3, s16, v22
	; wave barrier
	s_delay_alu instid0(VALU_DEP_1) | instskip(NEXT) | instid1(VALU_DEP_1)
	v_and_b32_e32 v4, s26, v3
	v_lshlrev_b32_e32 v7, 30, v4
	v_bitop3_b32 v3, v3, 1, s26 bitop3:0x80
	s_delay_alu instid0(VALU_DEP_1) | instskip(NEXT) | instid1(VALU_DEP_1)
	v_add_co_u32 v3, s3, v3, -1
	v_cndmask_b32_e64 v6, 0, 1, s3
	s_delay_alu instid0(VALU_DEP_4) | instskip(NEXT) | instid1(VALU_DEP_2)
	v_cmp_gt_i32_e64 s3, 0, v7
	v_cmp_ne_u32_e32 vcc_lo, 0, v6
	v_not_b32_e32 v6, v7
	s_delay_alu instid0(VALU_DEP_1) | instskip(SKIP_3) | instid1(VALU_DEP_4)
	v_dual_ashrrev_i32 v6, 31, v6 :: v_dual_lshlrev_b32 v8, 29, v4
	v_dual_lshlrev_b32 v9, 28, v4 :: v_dual_lshlrev_b32 v44, 27, v4
	v_lshlrev_b32_e32 v45, 26, v4
	v_mul_lo_u32 v5, 0x44, v4
	v_cmp_gt_i32_e64 s4, 0, v8
	v_not_b32_e32 v7, v8
	v_not_b32_e32 v8, v9
	v_cmp_gt_i32_e64 s5, 0, v9
	v_xor_b32_e32 v3, vcc_lo, v3
	s_delay_alu instid0(VALU_DEP_4) | instskip(NEXT) | instid1(VALU_DEP_4)
	v_dual_ashrrev_i32 v7, 31, v7 :: v_dual_bitop2_b32 v6, s3, v6 bitop3:0x14
	v_ashrrev_i32_e32 v8, 31, v8
	v_dual_lshlrev_b32 v47, 25, v4 :: v_dual_lshlrev_b32 v4, 24, v4
	v_not_b32_e32 v9, v44
	v_not_b32_e32 v48, v45
	v_xor_b32_e32 v7, s4, v7
	v_xor_b32_e32 v8, s5, v8
	v_bitop3_b32 v3, v3, v6, exec_lo bitop3:0x80
	v_cmp_gt_i32_e32 vcc_lo, 0, v44
	v_ashrrev_i32_e32 v6, 31, v9
	v_cmp_gt_i32_e64 s3, 0, v45
	v_ashrrev_i32_e32 v9, 31, v48
	v_bitop3_b32 v3, v3, v8, v7 bitop3:0x80
	v_not_b32_e32 v7, v47
	v_not_b32_e32 v8, v4
	v_xor_b32_e32 v6, vcc_lo, v6
	v_xor_b32_e32 v9, s3, v9
	v_cmp_gt_i32_e32 vcc_lo, 0, v47
	v_ashrrev_i32_e32 v7, 31, v7
	v_cmp_gt_i32_e64 s3, 0, v4
	v_dual_ashrrev_i32 v4, 31, v8 :: v_dual_add_nc_u32 v49, v2, v5
	v_bitop3_b32 v3, v3, v9, v6 bitop3:0x80
	s_delay_alu instid0(VALU_DEP_4) | instskip(NEXT) | instid1(VALU_DEP_3)
	v_xor_b32_e32 v5, vcc_lo, v7
	v_xor_b32_e32 v4, s3, v4
	ds_load_b32 v44, v49 offset:64
	; wave barrier
	v_bitop3_b32 v3, v3, v4, v5 bitop3:0x80
	s_delay_alu instid0(VALU_DEP_1) | instskip(SKIP_1) | instid1(VALU_DEP_2)
	v_mbcnt_lo_u32_b32 v45, v3, 0
	v_cmp_ne_u32_e64 s3, 0, v3
	v_cmp_eq_u32_e32 vcc_lo, 0, v45
	s_and_b32 s4, s3, vcc_lo
	s_delay_alu instid0(SALU_CYCLE_1)
	s_and_saveexec_b32 s3, s4
	s_cbranch_execz .LBB2753_45
; %bb.44:
	s_wait_dscnt 0x0
	v_bcnt_u32_b32 v3, v3, v44
	ds_store_b32 v49, v3 offset:64
.LBB2753_45:
	s_or_b32 exec_lo, exec_lo, s3
	v_lshrrev_b32_e32 v3, s16, v25
	; wave barrier
	s_delay_alu instid0(VALU_DEP_1) | instskip(NEXT) | instid1(VALU_DEP_1)
	v_and_b32_e32 v4, s26, v3
	v_lshlrev_b32_e32 v7, 30, v4
	v_bitop3_b32 v3, v3, 1, s26 bitop3:0x80
	s_delay_alu instid0(VALU_DEP_1) | instskip(NEXT) | instid1(VALU_DEP_1)
	v_add_co_u32 v3, s3, v3, -1
	v_cndmask_b32_e64 v6, 0, 1, s3
	s_delay_alu instid0(VALU_DEP_4) | instskip(NEXT) | instid1(VALU_DEP_2)
	v_cmp_gt_i32_e64 s3, 0, v7
	v_cmp_ne_u32_e32 vcc_lo, 0, v6
	v_not_b32_e32 v6, v7
	s_delay_alu instid0(VALU_DEP_1) | instskip(SKIP_3) | instid1(VALU_DEP_4)
	v_dual_ashrrev_i32 v6, 31, v6 :: v_dual_lshlrev_b32 v8, 29, v4
	v_dual_lshlrev_b32 v9, 28, v4 :: v_dual_lshlrev_b32 v47, 27, v4
	v_lshlrev_b32_e32 v48, 26, v4
	v_mul_lo_u32 v5, 0x44, v4
	v_cmp_gt_i32_e64 s4, 0, v8
	v_not_b32_e32 v7, v8
	v_not_b32_e32 v8, v9
	v_cmp_gt_i32_e64 s5, 0, v9
	v_xor_b32_e32 v3, vcc_lo, v3
	s_delay_alu instid0(VALU_DEP_4) | instskip(NEXT) | instid1(VALU_DEP_4)
	v_dual_ashrrev_i32 v7, 31, v7 :: v_dual_bitop2_b32 v6, s3, v6 bitop3:0x14
	v_ashrrev_i32_e32 v8, 31, v8
	v_dual_lshlrev_b32 v50, 25, v4 :: v_dual_lshlrev_b32 v4, 24, v4
	v_not_b32_e32 v9, v47
	v_not_b32_e32 v51, v48
	v_xor_b32_e32 v7, s4, v7
	v_xor_b32_e32 v8, s5, v8
	v_bitop3_b32 v3, v3, v6, exec_lo bitop3:0x80
	v_cmp_gt_i32_e32 vcc_lo, 0, v47
	v_ashrrev_i32_e32 v6, 31, v9
	v_cmp_gt_i32_e64 s3, 0, v48
	v_ashrrev_i32_e32 v9, 31, v51
	v_bitop3_b32 v3, v3, v8, v7 bitop3:0x80
	v_not_b32_e32 v7, v50
	v_not_b32_e32 v8, v4
	v_xor_b32_e32 v6, vcc_lo, v6
	v_xor_b32_e32 v9, s3, v9
	v_cmp_gt_i32_e32 vcc_lo, 0, v50
	v_ashrrev_i32_e32 v7, 31, v7
	v_cmp_gt_i32_e64 s3, 0, v4
	v_dual_ashrrev_i32 v4, 31, v8 :: v_dual_add_nc_u32 v52, v2, v5
	v_bitop3_b32 v3, v3, v9, v6 bitop3:0x80
	s_delay_alu instid0(VALU_DEP_4) | instskip(NEXT) | instid1(VALU_DEP_3)
	v_xor_b32_e32 v5, vcc_lo, v7
	v_xor_b32_e32 v4, s3, v4
	ds_load_b32 v47, v52 offset:64
	; wave barrier
	v_bitop3_b32 v3, v3, v4, v5 bitop3:0x80
	s_delay_alu instid0(VALU_DEP_1) | instskip(SKIP_1) | instid1(VALU_DEP_2)
	v_mbcnt_lo_u32_b32 v48, v3, 0
	v_cmp_ne_u32_e64 s3, 0, v3
	v_cmp_eq_u32_e32 vcc_lo, 0, v48
	s_and_b32 s4, s3, vcc_lo
	s_delay_alu instid0(SALU_CYCLE_1)
	s_and_saveexec_b32 s3, s4
	s_cbranch_execz .LBB2753_47
; %bb.46:
	s_wait_dscnt 0x0
	v_bcnt_u32_b32 v3, v3, v47
	ds_store_b32 v52, v3 offset:64
.LBB2753_47:
	s_or_b32 exec_lo, exec_lo, s3
	v_lshrrev_b32_e32 v3, s16, v24
	; wave barrier
	s_delay_alu instid0(VALU_DEP_1) | instskip(SKIP_1) | instid1(VALU_DEP_2)
	v_and_b32_e32 v4, s26, v3
	v_bitop3_b32 v3, v3, 1, s26 bitop3:0x80
	v_dual_lshlrev_b32 v7, 30, v4 :: v_dual_lshlrev_b32 v8, 29, v4
	s_delay_alu instid0(VALU_DEP_2) | instskip(NEXT) | instid1(VALU_DEP_1)
	v_add_co_u32 v3, s3, v3, -1
	v_cndmask_b32_e64 v6, 0, 1, s3
	v_lshlrev_b32_e32 v9, 28, v4
	s_delay_alu instid0(VALU_DEP_4) | instskip(SKIP_1) | instid1(VALU_DEP_4)
	v_cmp_gt_i32_e64 s3, 0, v7
	v_cmp_gt_i32_e64 s4, 0, v8
	v_cmp_ne_u32_e32 vcc_lo, 0, v6
	v_not_b32_e32 v6, v7
	v_not_b32_e32 v7, v8
	;; [unrolled: 1-line block ×3, first 2 shown]
	s_delay_alu instid0(VALU_DEP_3) | instskip(NEXT) | instid1(VALU_DEP_2)
	v_dual_ashrrev_i32 v6, 31, v6 :: v_dual_bitop2_b32 v3, vcc_lo, v3 bitop3:0x14
	v_dual_ashrrev_i32 v7, 31, v7 :: v_dual_ashrrev_i32 v8, 31, v8
	v_mul_lo_u32 v5, 0x44, v4
	v_dual_lshlrev_b32 v50, 27, v4 :: v_dual_lshlrev_b32 v51, 26, v4
	v_dual_lshlrev_b32 v53, 25, v4 :: v_dual_lshlrev_b32 v4, 24, v4
	v_cmp_gt_i32_e64 s5, 0, v9
	v_xor_b32_e32 v6, s3, v6
	s_delay_alu instid0(VALU_DEP_4)
	v_not_b32_e32 v9, v50
	v_not_b32_e32 v54, v51
	v_xor_b32_e32 v7, s4, v7
	v_xor_b32_e32 v8, s5, v8
	v_bitop3_b32 v3, v3, v6, exec_lo bitop3:0x80
	v_cmp_gt_i32_e32 vcc_lo, 0, v50
	v_ashrrev_i32_e32 v6, 31, v9
	v_cmp_gt_i32_e64 s3, 0, v51
	v_ashrrev_i32_e32 v9, 31, v54
	v_bitop3_b32 v3, v3, v8, v7 bitop3:0x80
	v_not_b32_e32 v7, v53
	v_not_b32_e32 v8, v4
	v_xor_b32_e32 v6, vcc_lo, v6
	v_xor_b32_e32 v9, s3, v9
	v_cmp_gt_i32_e32 vcc_lo, 0, v53
	v_ashrrev_i32_e32 v7, 31, v7
	v_cmp_gt_i32_e64 s3, 0, v4
	v_dual_ashrrev_i32 v4, 31, v8 :: v_dual_add_nc_u32 v55, v2, v5
	v_bitop3_b32 v3, v3, v9, v6 bitop3:0x80
	s_delay_alu instid0(VALU_DEP_4) | instskip(NEXT) | instid1(VALU_DEP_3)
	v_xor_b32_e32 v5, vcc_lo, v7
	v_xor_b32_e32 v4, s3, v4
	ds_load_b32 v50, v55 offset:64
	; wave barrier
	v_bitop3_b32 v3, v3, v4, v5 bitop3:0x80
	s_delay_alu instid0(VALU_DEP_1) | instskip(SKIP_1) | instid1(VALU_DEP_2)
	v_mbcnt_lo_u32_b32 v51, v3, 0
	v_cmp_ne_u32_e64 s3, 0, v3
	v_cmp_eq_u32_e32 vcc_lo, 0, v51
	s_and_b32 s4, s3, vcc_lo
	s_delay_alu instid0(SALU_CYCLE_1)
	s_and_saveexec_b32 s3, s4
	s_cbranch_execz .LBB2753_49
; %bb.48:
	s_wait_dscnt 0x0
	v_bcnt_u32_b32 v3, v3, v50
	ds_store_b32 v55, v3 offset:64
.LBB2753_49:
	s_or_b32 exec_lo, exec_lo, s3
	v_lshrrev_b32_e32 v3, s16, v27
	; wave barrier
	s_delay_alu instid0(VALU_DEP_1) | instskip(NEXT) | instid1(VALU_DEP_1)
	v_and_b32_e32 v4, s26, v3
	v_lshlrev_b32_e32 v7, 30, v4
	v_bitop3_b32 v3, v3, 1, s26 bitop3:0x80
	s_delay_alu instid0(VALU_DEP_1) | instskip(NEXT) | instid1(VALU_DEP_1)
	v_add_co_u32 v3, s3, v3, -1
	v_cndmask_b32_e64 v6, 0, 1, s3
	s_delay_alu instid0(VALU_DEP_4) | instskip(NEXT) | instid1(VALU_DEP_2)
	v_cmp_gt_i32_e64 s3, 0, v7
	v_cmp_ne_u32_e32 vcc_lo, 0, v6
	v_not_b32_e32 v6, v7
	s_delay_alu instid0(VALU_DEP_1) | instskip(SKIP_3) | instid1(VALU_DEP_4)
	v_dual_ashrrev_i32 v6, 31, v6 :: v_dual_lshlrev_b32 v8, 29, v4
	v_dual_lshlrev_b32 v9, 28, v4 :: v_dual_lshlrev_b32 v53, 27, v4
	v_lshlrev_b32_e32 v54, 26, v4
	v_mul_lo_u32 v5, 0x44, v4
	v_cmp_gt_i32_e64 s4, 0, v8
	v_not_b32_e32 v7, v8
	v_not_b32_e32 v8, v9
	v_cmp_gt_i32_e64 s5, 0, v9
	v_xor_b32_e32 v3, vcc_lo, v3
	s_delay_alu instid0(VALU_DEP_4) | instskip(NEXT) | instid1(VALU_DEP_4)
	v_dual_ashrrev_i32 v7, 31, v7 :: v_dual_bitop2_b32 v6, s3, v6 bitop3:0x14
	v_ashrrev_i32_e32 v8, 31, v8
	v_dual_lshlrev_b32 v56, 25, v4 :: v_dual_lshlrev_b32 v4, 24, v4
	v_not_b32_e32 v9, v53
	v_not_b32_e32 v57, v54
	v_xor_b32_e32 v7, s4, v7
	v_xor_b32_e32 v8, s5, v8
	v_bitop3_b32 v3, v3, v6, exec_lo bitop3:0x80
	v_cmp_gt_i32_e32 vcc_lo, 0, v53
	v_ashrrev_i32_e32 v6, 31, v9
	v_cmp_gt_i32_e64 s3, 0, v54
	v_ashrrev_i32_e32 v9, 31, v57
	v_bitop3_b32 v3, v3, v8, v7 bitop3:0x80
	v_not_b32_e32 v7, v56
	v_not_b32_e32 v8, v4
	v_xor_b32_e32 v6, vcc_lo, v6
	v_xor_b32_e32 v9, s3, v9
	v_cmp_gt_i32_e32 vcc_lo, 0, v56
	v_ashrrev_i32_e32 v7, 31, v7
	v_cmp_gt_i32_e64 s3, 0, v4
	v_dual_ashrrev_i32 v4, 31, v8 :: v_dual_add_nc_u32 v58, v2, v5
	v_bitop3_b32 v3, v3, v9, v6 bitop3:0x80
	s_delay_alu instid0(VALU_DEP_4) | instskip(NEXT) | instid1(VALU_DEP_3)
	v_xor_b32_e32 v5, vcc_lo, v7
	v_xor_b32_e32 v4, s3, v4
	ds_load_b32 v53, v58 offset:64
	; wave barrier
	v_bitop3_b32 v3, v3, v4, v5 bitop3:0x80
	s_delay_alu instid0(VALU_DEP_1) | instskip(SKIP_1) | instid1(VALU_DEP_2)
	v_mbcnt_lo_u32_b32 v54, v3, 0
	v_cmp_ne_u32_e64 s3, 0, v3
	v_cmp_eq_u32_e32 vcc_lo, 0, v54
	s_and_b32 s4, s3, vcc_lo
	s_delay_alu instid0(SALU_CYCLE_1)
	s_and_saveexec_b32 s3, s4
	s_cbranch_execz .LBB2753_51
; %bb.50:
	s_wait_dscnt 0x0
	v_bcnt_u32_b32 v3, v3, v53
	ds_store_b32 v58, v3 offset:64
.LBB2753_51:
	s_or_b32 exec_lo, exec_lo, s3
	v_lshrrev_b32_e32 v3, s16, v26
	; wave barrier
	s_delay_alu instid0(VALU_DEP_1) | instskip(NEXT) | instid1(VALU_DEP_1)
	v_and_b32_e32 v4, s26, v3
	v_lshlrev_b32_e32 v7, 30, v4
	v_bitop3_b32 v3, v3, 1, s26 bitop3:0x80
	s_delay_alu instid0(VALU_DEP_1) | instskip(NEXT) | instid1(VALU_DEP_1)
	v_add_co_u32 v3, s3, v3, -1
	v_cndmask_b32_e64 v6, 0, 1, s3
	s_delay_alu instid0(VALU_DEP_4) | instskip(NEXT) | instid1(VALU_DEP_2)
	v_cmp_gt_i32_e64 s3, 0, v7
	v_cmp_ne_u32_e32 vcc_lo, 0, v6
	v_not_b32_e32 v6, v7
	s_delay_alu instid0(VALU_DEP_1) | instskip(SKIP_3) | instid1(VALU_DEP_4)
	v_dual_ashrrev_i32 v6, 31, v6 :: v_dual_lshlrev_b32 v8, 29, v4
	v_dual_lshlrev_b32 v9, 28, v4 :: v_dual_lshlrev_b32 v56, 27, v4
	v_lshlrev_b32_e32 v57, 26, v4
	v_mul_lo_u32 v5, 0x44, v4
	v_cmp_gt_i32_e64 s4, 0, v8
	v_not_b32_e32 v7, v8
	v_not_b32_e32 v8, v9
	v_cmp_gt_i32_e64 s5, 0, v9
	v_xor_b32_e32 v3, vcc_lo, v3
	s_delay_alu instid0(VALU_DEP_4) | instskip(NEXT) | instid1(VALU_DEP_4)
	v_dual_ashrrev_i32 v7, 31, v7 :: v_dual_bitop2_b32 v6, s3, v6 bitop3:0x14
	v_ashrrev_i32_e32 v8, 31, v8
	v_dual_lshlrev_b32 v59, 25, v4 :: v_dual_lshlrev_b32 v4, 24, v4
	v_not_b32_e32 v9, v56
	v_not_b32_e32 v60, v57
	v_xor_b32_e32 v7, s4, v7
	v_xor_b32_e32 v8, s5, v8
	v_bitop3_b32 v3, v3, v6, exec_lo bitop3:0x80
	v_cmp_gt_i32_e32 vcc_lo, 0, v56
	v_ashrrev_i32_e32 v6, 31, v9
	v_cmp_gt_i32_e64 s3, 0, v57
	v_ashrrev_i32_e32 v9, 31, v60
	v_bitop3_b32 v3, v3, v8, v7 bitop3:0x80
	v_not_b32_e32 v7, v59
	v_not_b32_e32 v8, v4
	v_xor_b32_e32 v6, vcc_lo, v6
	v_xor_b32_e32 v9, s3, v9
	v_cmp_gt_i32_e32 vcc_lo, 0, v59
	v_ashrrev_i32_e32 v7, 31, v7
	v_cmp_gt_i32_e64 s3, 0, v4
	v_dual_ashrrev_i32 v4, 31, v8 :: v_dual_add_nc_u32 v62, v2, v5
	v_bitop3_b32 v2, v3, v9, v6 bitop3:0x80
	s_delay_alu instid0(VALU_DEP_4) | instskip(NEXT) | instid1(VALU_DEP_3)
	v_xor_b32_e32 v3, vcc_lo, v7
	v_xor_b32_e32 v4, s3, v4
	ds_load_b32 v56, v62 offset:64
	; wave barrier
	v_bitop3_b32 v2, v2, v4, v3 bitop3:0x80
	s_delay_alu instid0(VALU_DEP_1) | instskip(SKIP_1) | instid1(VALU_DEP_2)
	v_mbcnt_lo_u32_b32 v57, v2, 0
	v_cmp_ne_u32_e64 s3, 0, v2
	v_cmp_eq_u32_e32 vcc_lo, 0, v57
	s_and_b32 s4, s3, vcc_lo
	s_delay_alu instid0(SALU_CYCLE_1)
	s_and_saveexec_b32 s3, s4
	s_cbranch_execz .LBB2753_53
; %bb.52:
	s_wait_dscnt 0x0
	v_bcnt_u32_b32 v2, v2, v56
	ds_store_b32 v62, v2 offset:64
.LBB2753_53:
	s_or_b32 exec_lo, exec_lo, s3
	; wave barrier
	s_wait_dscnt 0x0
	s_barrier_signal -1
	s_barrier_wait -1
	ds_load_2addr_b32 v[8:9], v10 offset0:16 offset1:17
	ds_load_2addr_b32 v[6:7], v10 offset0:18 offset1:19
	;; [unrolled: 1-line block ×4, first 2 shown]
	ds_load_b32 v59, v10 offset:96
	v_min_u32_e32 v63, 0x1e0, v16
	s_mov_b32 s27, exec_lo
	s_delay_alu instid0(VALU_DEP_1) | instskip(SKIP_3) | instid1(VALU_DEP_1)
	v_or_b32_e32 v63, 31, v63
	s_wait_dscnt 0x3
	v_add3_u32 v60, v9, v8, v6
	s_wait_dscnt 0x2
	v_add3_u32 v60, v60, v7, v4
	s_wait_dscnt 0x1
	s_delay_alu instid0(VALU_DEP_1) | instskip(SKIP_1) | instid1(VALU_DEP_1)
	v_add3_u32 v60, v60, v5, v2
	s_wait_dscnt 0x0
	v_add3_u32 v59, v60, v3, v59
	v_and_b32_e32 v60, 15, v15
	s_delay_alu instid0(VALU_DEP_2) | instskip(NEXT) | instid1(VALU_DEP_2)
	v_mov_b32_dpp v61, v59 row_shr:1 row_mask:0xf bank_mask:0xf
	v_cmp_eq_u32_e32 vcc_lo, 0, v60
	v_cmp_lt_u32_e64 s3, 1, v60
	s_delay_alu instid0(VALU_DEP_3) | instskip(NEXT) | instid1(VALU_DEP_1)
	v_cndmask_b32_e64 v61, v61, 0, vcc_lo
	v_add_nc_u32_e32 v59, v61, v59
	s_delay_alu instid0(VALU_DEP_1) | instskip(NEXT) | instid1(VALU_DEP_1)
	v_mov_b32_dpp v61, v59 row_shr:2 row_mask:0xf bank_mask:0xf
	v_cndmask_b32_e64 v61, 0, v61, s3
	v_cmp_lt_u32_e64 s5, 7, v60
	v_cmp_lt_u32_e64 s4, 3, v60
	s_delay_alu instid0(VALU_DEP_3) | instskip(NEXT) | instid1(VALU_DEP_1)
	v_add_nc_u32_e32 v59, v59, v61
	v_mov_b32_dpp v61, v59 row_shr:4 row_mask:0xf bank_mask:0xf
	s_delay_alu instid0(VALU_DEP_1) | instskip(NEXT) | instid1(VALU_DEP_1)
	v_cndmask_b32_e64 v61, 0, v61, s4
	v_add_nc_u32_e32 v59, v59, v61
	s_delay_alu instid0(VALU_DEP_1) | instskip(NEXT) | instid1(VALU_DEP_1)
	v_mov_b32_dpp v61, v59 row_shr:8 row_mask:0xf bank_mask:0xf
	v_cndmask_b32_e64 v60, 0, v61, s5
	v_bfe_i32 v61, v15, 4, 1
	s_delay_alu instid0(VALU_DEP_2) | instskip(SKIP_3) | instid1(VALU_DEP_1)
	v_add_nc_u32_e32 v59, v59, v60
	ds_swizzle_b32 v60, v59 offset:swizzle(BROADCAST,32,15)
	s_wait_dscnt 0x0
	v_dual_lshrrev_b32 v60, 5, v14 :: v_dual_bitop2_b32 v61, v61, v60 bitop3:0x40
	v_add_nc_u32_e32 v59, v59, v61
	v_cmpx_eq_u32_e64 v14, v63
; %bb.54:
	s_delay_alu instid0(VALU_DEP_3)
	v_lshlrev_b32_e32 v61, 2, v60
	ds_store_b32 v61, v59
; %bb.55:
	s_or_b32 exec_lo, exec_lo, s27
	s_delay_alu instid0(SALU_CYCLE_1)
	s_mov_b32 s27, exec_lo
	s_wait_dscnt 0x0
	s_barrier_signal -1
	s_barrier_wait -1
	v_cmpx_gt_u32_e32 16, v14
	s_cbranch_execz .LBB2753_57
; %bb.56:
	v_lshlrev_b32_e32 v61, 2, v14
	ds_load_b32 v63, v61
	s_wait_dscnt 0x0
	v_mov_b32_dpp v64, v63 row_shr:1 row_mask:0xf bank_mask:0xf
	s_delay_alu instid0(VALU_DEP_1) | instskip(NEXT) | instid1(VALU_DEP_1)
	v_cndmask_b32_e64 v64, v64, 0, vcc_lo
	v_add_nc_u32_e32 v63, v64, v63
	s_delay_alu instid0(VALU_DEP_1) | instskip(NEXT) | instid1(VALU_DEP_1)
	v_mov_b32_dpp v64, v63 row_shr:2 row_mask:0xf bank_mask:0xf
	v_cndmask_b32_e64 v64, 0, v64, s3
	s_delay_alu instid0(VALU_DEP_1) | instskip(NEXT) | instid1(VALU_DEP_1)
	v_add_nc_u32_e32 v63, v63, v64
	v_mov_b32_dpp v64, v63 row_shr:4 row_mask:0xf bank_mask:0xf
	s_delay_alu instid0(VALU_DEP_1) | instskip(NEXT) | instid1(VALU_DEP_1)
	v_cndmask_b32_e64 v64, 0, v64, s4
	v_add_nc_u32_e32 v63, v63, v64
	s_delay_alu instid0(VALU_DEP_1) | instskip(NEXT) | instid1(VALU_DEP_1)
	v_mov_b32_dpp v64, v63 row_shr:8 row_mask:0xf bank_mask:0xf
	v_cndmask_b32_e64 v64, 0, v64, s5
	s_delay_alu instid0(VALU_DEP_1)
	v_add_nc_u32_e32 v63, v63, v64
	ds_store_b32 v61, v63
.LBB2753_57:
	s_or_b32 exec_lo, exec_lo, s27
	v_mov_b32_e32 v61, 0
	s_mov_b32 s3, exec_lo
	s_wait_dscnt 0x0
	s_barrier_signal -1
	s_barrier_wait -1
	v_cmpx_lt_u32_e32 31, v14
; %bb.58:
	v_lshl_add_u32 v60, v60, 2, -4
	ds_load_b32 v61, v60
; %bb.59:
	s_or_b32 exec_lo, exec_lo, s3
	v_sub_co_u32 v60, vcc_lo, v15, 1
	s_delay_alu instid0(VALU_DEP_1) | instskip(NEXT) | instid1(VALU_DEP_1)
	v_cmp_gt_i32_e64 s3, 0, v60
	v_cndmask_b32_e64 v60, v60, v15, s3
	s_wait_dscnt 0x0
	v_add_nc_u32_e32 v59, v61, v59
	v_cmp_lt_u32_e64 s3, 0xff, v14
	s_delay_alu instid0(VALU_DEP_3) | instskip(SKIP_4) | instid1(VALU_DEP_2)
	v_lshlrev_b32_e32 v60, 2, v60
	ds_bpermute_b32 v59, v60, v59
	s_wait_dscnt 0x0
	v_cndmask_b32_e32 v59, v59, v61, vcc_lo
	v_cmp_gt_u32_e32 vcc_lo, 0x100, v14
	v_cndmask_b32_e64 v59, v59, 0, s2
	s_delay_alu instid0(VALU_DEP_1) | instskip(NEXT) | instid1(VALU_DEP_1)
	v_add_nc_u32_e32 v8, v59, v8
	v_add_nc_u32_e32 v9, v8, v9
	s_delay_alu instid0(VALU_DEP_1) | instskip(NEXT) | instid1(VALU_DEP_1)
	v_add_nc_u32_e32 v6, v9, v6
	v_add_nc_u32_e32 v7, v6, v7
	s_delay_alu instid0(VALU_DEP_1) | instskip(NEXT) | instid1(VALU_DEP_1)
	v_add_nc_u32_e32 v4, v7, v4
	v_add_nc_u32_e32 v5, v4, v5
	s_delay_alu instid0(VALU_DEP_1) | instskip(NEXT) | instid1(VALU_DEP_1)
	v_add_nc_u32_e32 v2, v5, v2
	v_add_nc_u32_e32 v3, v2, v3
	ds_store_2addr_b32 v10, v59, v8 offset0:16 offset1:17
	ds_store_2addr_b32 v10, v9, v6 offset0:18 offset1:19
	;; [unrolled: 1-line block ×4, first 2 shown]
	ds_store_b32 v10, v3 offset:96
	s_wait_dscnt 0x0
	s_barrier_signal -1
	s_barrier_wait -1
	ds_load_b32 v59, v12 offset:64
	ds_load_b32 v60, v13 offset:64
	;; [unrolled: 1-line block ×12, first 2 shown]
	v_mov_b64_e32 v[2:3], 0
                                        ; implicit-def: $vgpr4
	s_and_saveexec_b32 s5, vcc_lo
	s_cbranch_execz .LBB2753_63
; %bb.60:
	v_mul_u32_u24_e32 v2, 0x44, v14
	v_dual_mov_b32 v3, 0x1800 :: v_dual_add_nc_u32 v4, 1, v14
	s_mov_b32 s6, exec_lo
	ds_load_b32 v2, v2 offset:64
	v_cmpx_ne_u32_e32 0x100, v4
; %bb.61:
	v_mul_u32_u24_e32 v3, 0x44, v4
	ds_load_b32 v3, v3 offset:64
; %bb.62:
	s_or_b32 exec_lo, exec_lo, s6
	s_wait_dscnt 0x0
	v_dual_mov_b32 v3, 0 :: v_dual_sub_nc_u32 v4, v3, v2
.LBB2753_63:
	s_or_b32 exec_lo, exec_lo, s5
	v_dual_mov_b32 v7, 0 :: v_dual_lshlrev_b32 v5, 3, v14
	s_wait_dscnt 0x0
	s_barrier_signal -1
	s_barrier_wait -1
	s_and_saveexec_b32 s4, vcc_lo
	s_cbranch_execz .LBB2753_73
; %bb.64:
	v_lshl_add_u32 v6, s19, 8, v14
	v_dual_mov_b32 v10, 0 :: v_dual_bitop2_b32 v11, 2.0, v4 bitop3:0x54
	s_mov_b32 s5, 0
	s_mov_b32 s6, s19
	s_delay_alu instid0(VALU_DEP_2)
	v_lshl_add_u64 v[8:9], v[6:7], 2, s[20:21]
	global_store_b32 v6, v11, s[20:21] scale_offset scope:SCOPE_DEV
                                        ; implicit-def: $sgpr27
	s_branch .LBB2753_67
.LBB2753_65:                            ;   in Loop: Header=BB2753_67 Depth=1
	s_or_b32 exec_lo, exec_lo, s28
.LBB2753_66:                            ;   in Loop: Header=BB2753_67 Depth=1
	s_delay_alu instid0(SALU_CYCLE_1) | instskip(SKIP_2) | instid1(VALU_DEP_2)
	s_or_b32 exec_lo, exec_lo, s27
	v_and_b32_e32 v6, 0x3fffffff, v11
	v_cmp_gt_i32_e64 s27, -2.0, v11
	v_add_nc_u32_e32 v10, v6, v10
	s_and_b32 s28, exec_lo, s27
	s_delay_alu instid0(SALU_CYCLE_1) | instskip(NEXT) | instid1(SALU_CYCLE_1)
	s_or_b32 s5, s28, s5
	s_and_not1_b32 exec_lo, exec_lo, s5
	s_cbranch_execz .LBB2753_72
.LBB2753_67:                            ; =>This Loop Header: Depth=1
                                        ;     Child Loop BB2753_70 Depth 2
	s_or_b32 s27, s27, exec_lo
	s_cmp_eq_u32 s6, 0
	s_cbranch_scc1 .LBB2753_71
; %bb.68:                               ;   in Loop: Header=BB2753_67 Depth=1
	s_add_co_i32 s6, s6, -1
	s_mov_b32 s27, exec_lo
	s_wait_xcnt 0x0
	v_lshl_or_b32 v6, s6, 8, v14
	global_load_b32 v11, v6, s[20:21] scale_offset scope:SCOPE_DEV
	s_wait_loadcnt 0x0
	v_cmpx_gt_u32_e32 2.0, v11
	s_cbranch_execz .LBB2753_66
; %bb.69:                               ;   in Loop: Header=BB2753_67 Depth=1
	v_lshl_add_u64 v[12:13], v[6:7], 2, s[20:21]
	s_mov_b32 s28, 0
.LBB2753_70:                            ;   Parent Loop BB2753_67 Depth=1
                                        ; =>  This Inner Loop Header: Depth=2
	global_load_b32 v11, v[12:13], off scope:SCOPE_DEV
	s_wait_loadcnt 0x0
	v_cmp_lt_u32_e32 vcc_lo, 0x3fffffff, v11
	s_or_b32 s28, vcc_lo, s28
	s_wait_xcnt 0x0
	s_and_not1_b32 exec_lo, exec_lo, s28
	s_cbranch_execnz .LBB2753_70
	s_branch .LBB2753_65
.LBB2753_71:                            ;   in Loop: Header=BB2753_67 Depth=1
                                        ; implicit-def: $sgpr6
	s_and_b32 s28, exec_lo, s27
	s_delay_alu instid0(SALU_CYCLE_1)
	s_or_b32 s5, s28, s5
	s_wait_xcnt 0x0
	s_and_not1_b32 exec_lo, exec_lo, s5
	s_cbranch_execnz .LBB2753_67
.LBB2753_72:
	s_or_b32 exec_lo, exec_lo, s5
	v_dual_mov_b32 v11, 0 :: v_dual_add_nc_u32 v6, v10, v4
	s_delay_alu instid0(VALU_DEP_1) | instskip(SKIP_4) | instid1(VALU_DEP_1)
	v_or_b32_e32 v6, 0x80000000, v6
	global_store_b32 v[8:9], v6, off scope:SCOPE_DEV
	global_load_b64 v[6:7], v14, s[8:9] scale_offset
	v_sub_nc_u64_e32 v[8:9], v[10:11], v[2:3]
	s_wait_loadcnt 0x0
	v_add_nc_u64_e32 v[6:7], v[8:9], v[6:7]
	ds_store_b64 v5, v[6:7]
.LBB2753_73:
	s_wait_xcnt 0x0
	s_or_b32 exec_lo, exec_lo, s4
	v_dual_lshlrev_b32 v6, 2, v14 :: v_dual_add_nc_u32 v8, v63, v28
	v_mov_b32_e32 v7, 0
	v_add3_u32 v10, v54, v55, v53
	v_add3_u32 v9, v57, v58, v56
	s_delay_alu instid0(VALU_DEP_4)
	v_sub_nc_u32_e32 v53, 0, v6
	v_add3_u32 v11, v51, v52, v50
	v_add_nc_u64_e32 v[6:7], s[14:15], v[6:7]
	v_add3_u32 v12, v48, v49, v47
	v_add3_u32 v13, v45, v46, v44
	v_add3_u32 v28, v42, v43, v41
	v_add3_u32 v37, v39, v37, v38
	v_add3_u32 v35, v36, v40, v35
	v_add3_u32 v33, v34, v61, v33
	v_add_nc_u64_e32 v[6:7], 0x3800, v[6:7]
	v_add3_u32 v31, v32, v60, v31
	v_add3_u32 v29, v30, v59, v29
	v_add_nc_u32_e32 v30, 0xe00, v14
	v_add_nc_u32_e32 v32, v5, v53
	s_mov_b32 s4, 0
	s_mov_b32 s5, -1
	s_branch .LBB2753_75
.LBB2753_74:                            ;   in Loop: Header=BB2753_75 Depth=1
	s_wait_xcnt 0x0
	s_or_b32 exec_lo, exec_lo, s6
	v_add_nc_u64_e32 v[6:7], 0x4000, v[6:7]
	v_add_nc_u32_e32 v30, 0x1000, v30
	s_xor_b32 s5, s5, -1
	s_addk_co_i32 s4, 0xf000
	s_and_b32 vcc_lo, exec_lo, s5
	s_mov_b32 s5, 0
	s_wait_storecnt 0x0
	s_barrier_signal -1
	s_barrier_wait -1
	s_cbranch_vccnz .LBB2753_91
.LBB2753_75:                            ; =>This Inner Loop Header: Depth=1
	v_add_min_u32_e64 v34, v8, s4, 0x1000
	v_add_min_u32_e64 v36, v29, s4, 0x1000
	;; [unrolled: 1-line block ×5, first 2 shown]
	s_delay_alu instid0(VALU_DEP_4) | instskip(NEXT) | instid1(VALU_DEP_4)
	v_dual_lshlrev_b32 v34, 2, v34 :: v_dual_lshlrev_b32 v36, 2, v36
	v_lshlrev_b32_e32 v38, 2, v38
	v_add_min_u32_e64 v41, v37, s4, 0x1000
	s_mov_b32 s6, exec_lo
	ds_store_b32 v34, v17 offset:2048
	ds_store_b32 v36, v1 offset:2048
	v_add_min_u32_e64 v34, v28, s4, 0x1000
	v_lshlrev_b32_e32 v36, 2, v39
	ds_store_b32 v38, v19 offset:2048
	v_dual_lshlrev_b32 v38, 2, v40 :: v_dual_lshlrev_b32 v39, 2, v41
	v_add_min_u32_e64 v40, v13, s4, 0x1000
	v_lshlrev_b32_e32 v34, 2, v34
	ds_store_b32 v36, v18 offset:2048
	ds_store_b32 v38, v21 offset:2048
	;; [unrolled: 1-line block ×4, first 2 shown]
	v_add_min_u32_e64 v36, v12, s4, 0x1000
	v_add_min_u32_e64 v38, v11, s4, 0x1000
	v_lshlrev_b32_e32 v34, 2, v40
	v_add_min_u32_e64 v39, v10, s4, 0x1000
	v_add_min_u32_e64 v40, v9, s4, 0x1000
	ds_store_b32 v34, v22 offset:2048
	v_dual_lshlrev_b32 v34, 2, v36 :: v_dual_lshlrev_b32 v36, 2, v38
	v_dual_lshlrev_b32 v38, 2, v39 :: v_dual_lshlrev_b32 v39, 2, v40
	v_add_nc_u32_e32 v40, 0xfffff200, v30
	ds_store_b32 v34, v25 offset:2048
	ds_store_b32 v36, v24 offset:2048
	ds_store_b32 v38, v27 offset:2048
	ds_store_b32 v39, v26 offset:2048
	s_wait_storecnt_dscnt 0x0
	s_barrier_signal -1
	s_barrier_wait -1
	v_cmpx_gt_u32_e64 s18, v40
	s_cbranch_execz .LBB2753_77
; %bb.76:                               ;   in Loop: Header=BB2753_75 Depth=1
	ds_load_b32 v34, v32 offset:2048
	s_wait_dscnt 0x0
	v_lshrrev_b32_e32 v36, s16, v34
	s_delay_alu instid0(VALU_DEP_1) | instskip(NEXT) | instid1(VALU_DEP_1)
	v_and_b32_e32 v36, s26, v36
	v_lshlrev_b32_e32 v36, 3, v36
	ds_load_b64 v[38:39], v36
	s_wait_dscnt 0x0
	v_lshl_add_u64 v[38:39], v[38:39], 2, v[6:7]
	global_store_b32 v[38:39], v34, off offset:-14336
.LBB2753_77:                            ;   in Loop: Header=BB2753_75 Depth=1
	s_wait_xcnt 0x0
	s_or_b32 exec_lo, exec_lo, s6
	v_add_nc_u32_e32 v34, 0xfffff400, v30
	s_mov_b32 s6, exec_lo
	s_delay_alu instid0(VALU_DEP_1)
	v_cmpx_gt_u32_e64 s18, v34
	s_cbranch_execz .LBB2753_79
; %bb.78:                               ;   in Loop: Header=BB2753_75 Depth=1
	ds_load_b32 v34, v32 offset:4096
	s_wait_dscnt 0x0
	v_lshrrev_b32_e32 v36, s16, v34
	s_delay_alu instid0(VALU_DEP_1) | instskip(NEXT) | instid1(VALU_DEP_1)
	v_and_b32_e32 v36, s26, v36
	v_lshlrev_b32_e32 v36, 3, v36
	ds_load_b64 v[38:39], v36
	s_wait_dscnt 0x0
	v_lshl_add_u64 v[38:39], v[38:39], 2, v[6:7]
	global_store_b32 v[38:39], v34, off offset:-12288
.LBB2753_79:                            ;   in Loop: Header=BB2753_75 Depth=1
	s_wait_xcnt 0x0
	s_or_b32 exec_lo, exec_lo, s6
	v_add_nc_u32_e32 v34, 0xfffff600, v30
	s_mov_b32 s6, exec_lo
	s_delay_alu instid0(VALU_DEP_1)
	;; [unrolled: 19-line block ×6, first 2 shown]
	v_cmpx_gt_u32_e64 s18, v34
	s_cbranch_execz .LBB2753_89
; %bb.88:                               ;   in Loop: Header=BB2753_75 Depth=1
	ds_load_b32 v34, v32 offset:14336
	s_wait_dscnt 0x0
	v_lshrrev_b32_e32 v36, s16, v34
	s_delay_alu instid0(VALU_DEP_1) | instskip(NEXT) | instid1(VALU_DEP_1)
	v_and_b32_e32 v36, s26, v36
	v_lshlrev_b32_e32 v36, 3, v36
	ds_load_b64 v[38:39], v36
	s_wait_dscnt 0x0
	v_lshl_add_u64 v[38:39], v[38:39], 2, v[6:7]
	global_store_b32 v[38:39], v34, off offset:-2048
.LBB2753_89:                            ;   in Loop: Header=BB2753_75 Depth=1
	s_wait_xcnt 0x0
	s_or_b32 exec_lo, exec_lo, s6
	s_delay_alu instid0(SALU_CYCLE_1)
	s_mov_b32 s6, exec_lo
	v_cmpx_gt_u32_e64 s18, v30
	s_cbranch_execz .LBB2753_74
; %bb.90:                               ;   in Loop: Header=BB2753_75 Depth=1
	ds_load_b32 v34, v32 offset:16384
	s_wait_dscnt 0x0
	v_lshrrev_b32_e32 v36, s16, v34
	s_delay_alu instid0(VALU_DEP_1) | instskip(NEXT) | instid1(VALU_DEP_1)
	v_and_b32_e32 v36, s26, v36
	v_lshlrev_b32_e32 v36, 3, v36
	ds_load_b64 v[38:39], v36
	s_wait_dscnt 0x0
	v_lshl_add_u64 v[38:39], v[38:39], 2, v[6:7]
	global_store_b32 v[38:39], v34, off
	s_branch .LBB2753_74
.LBB2753_91:
	s_add_co_i32 s23, s23, -1
	s_delay_alu instid0(SALU_CYCLE_1) | instskip(SKIP_2) | instid1(SALU_CYCLE_1)
	s_cmp_eq_u32 s19, s23
	s_cselect_b32 s4, -1, 0
	s_xor_b32 s3, s3, -1
	s_and_b32 s4, s3, s4
	s_delay_alu instid0(SALU_CYCLE_1)
	s_and_saveexec_b32 s3, s4
	s_cbranch_execz .LBB2753_93
; %bb.92:
	ds_load_b64 v[6:7], v5
	v_mov_b32_e32 v5, 0
	s_delay_alu instid0(VALU_DEP_1) | instskip(SKIP_1) | instid1(VALU_DEP_1)
	v_add_nc_u64_e32 v[2:3], v[2:3], v[4:5]
	s_wait_dscnt 0x0
	v_add_nc_u64_e32 v[2:3], v[2:3], v[6:7]
	global_store_b64 v14, v[2:3], s[10:11] scale_offset
.LBB2753_93:
	s_wait_xcnt 0x0
	s_or_b32 exec_lo, exec_lo, s3
	s_mov_b32 s4, 0
.LBB2753_94:
	s_delay_alu instid0(SALU_CYCLE_1)
	s_and_b32 vcc_lo, exec_lo, s4
	s_cbranch_vccz .LBB2753_153
; %bb.95:
	s_mov_b32 s23, 0
	v_dual_mov_b32 v3, 0 :: v_dual_lshlrev_b32 v2, 2, v15
	s_lshl_b64 s[4:5], s[22:23], 2
	v_mul_u32_u24_e32 v1, 12, v16
	s_add_nc_u64 s[4:5], s[12:13], s[4:5]
	s_delay_alu instid0(VALU_DEP_2) | instid1(SALU_CYCLE_1)
	v_add_nc_u64_e32 v[4:5], s[4:5], v[2:3]
	s_delay_alu instid0(VALU_DEP_2) | instskip(SKIP_2) | instid1(VALU_DEP_3)
	v_lshlrev_b32_e32 v2, 2, v1
	v_bfe_u32 v1, v0, 10, 10
	v_bfe_u32 v0, v0, 20, 10
	v_add_nc_u64_e32 v[4:5], v[4:5], v[2:3]
	s_clause 0xb
	global_load_b32 v17, v[4:5], off
	global_load_b32 v18, v[4:5], off offset:128
	global_load_b32 v19, v[4:5], off offset:256
	;; [unrolled: 1-line block ×11, first 2 shown]
	s_clause 0x1
	s_load_b32 s12, s[0:1], 0x58
	s_load_u16 s3, s[0:1], 0x66
	s_wait_xcnt 0x0
	s_bfe_u32 s0, ttmp6, 0x4000c
	s_and_b32 s1, ttmp6, 15
	s_add_co_i32 s0, s0, 1
	s_delay_alu instid0(SALU_CYCLE_1) | instskip(NEXT) | instid1(SALU_CYCLE_1)
	s_mul_i32 s0, ttmp9, s0
	s_add_co_i32 s1, s1, s0
	s_cmp_eq_u32 s7, 0
	s_cselect_b32 s0, ttmp9, s1
	s_wait_kmcnt 0x0
	s_cmp_lt_u32 s0, s12
	v_mad_u32_u24 v0, v0, s3, v1
	s_cselect_b32 s22, 12, 18
	s_lshl_b32 s13, -1, s17
	s_add_nc_u64 s[0:1], s[24:25], s[22:23]
	s_load_u16 s17, s[0:1], 0x0
	s_wait_kmcnt 0x0
	v_mad_u32 v0, v0, s17, v14
	s_delay_alu instid0(VALU_DEP_1) | instskip(NEXT) | instid1(VALU_DEP_1)
	v_lshrrev_b32_e32 v0, 3, v0
	v_and_b32_e32 v0, 0x1ffffffc, v0
	s_wait_loadcnt 0xb
	v_lshrrev_b32_e32 v2, s16, v17
	s_delay_alu instid0(VALU_DEP_1) | instskip(SKIP_1) | instid1(VALU_DEP_2)
	v_bitop3_b32 v1, v2, 1, s13 bitop3:0x40
	v_bitop3_b32 v2, v2, s13, v2 bitop3:0x30
	v_add_co_u32 v1, s0, v1, -1
	s_delay_alu instid0(VALU_DEP_1) | instskip(NEXT) | instid1(VALU_DEP_3)
	v_cndmask_b32_e64 v4, 0, 1, s0
	v_dual_lshlrev_b32 v5, 30, v2 :: v_dual_lshlrev_b32 v6, 29, v2
	v_dual_lshlrev_b32 v7, 28, v2 :: v_dual_lshlrev_b32 v8, 27, v2
	s_delay_alu instid0(VALU_DEP_3) | instskip(NEXT) | instid1(VALU_DEP_3)
	v_cmp_ne_u32_e32 vcc_lo, 0, v4
	v_not_b32_e32 v4, v5
	v_dual_lshlrev_b32 v9, 26, v2 :: v_dual_lshlrev_b32 v10, 25, v2
	v_cmp_gt_i32_e64 s0, 0, v5
	v_cmp_gt_i32_e64 s1, 0, v6
	v_not_b32_e32 v5, v6
	v_cmp_gt_i32_e64 s3, 0, v7
	v_not_b32_e32 v6, v7
	v_not_b32_e32 v7, v8
	v_dual_ashrrev_i32 v4, 31, v4 :: v_dual_lshlrev_b32 v11, 24, v2
	v_xor_b32_e32 v1, vcc_lo, v1
	v_cmp_gt_i32_e64 s4, 0, v8
	v_not_b32_e32 v8, v9
	s_delay_alu instid0(VALU_DEP_4) | instskip(SKIP_1) | instid1(VALU_DEP_3)
	v_dual_ashrrev_i32 v5, 31, v5 :: v_dual_bitop2_b32 v4, s0, v4 bitop3:0x14
	v_dual_ashrrev_i32 v6, 31, v6 :: v_dual_ashrrev_i32 v7, 31, v7
	v_ashrrev_i32_e32 v8, 31, v8
	v_mul_lo_u32 v2, 0x44, v2
	v_cmp_gt_i32_e64 s5, 0, v9
	v_cmp_gt_i32_e64 s6, 0, v10
	v_not_b32_e32 v9, v10
	v_not_b32_e32 v10, v11
	v_xor_b32_e32 v5, s1, v5
	v_xor_b32_e32 v6, s3, v6
	v_bitop3_b32 v1, v1, v4, exec_lo bitop3:0x80
	v_xor_b32_e32 v7, s4, v7
	v_cmp_gt_i32_e64 s7, 0, v11
	v_dual_ashrrev_i32 v4, 31, v9 :: v_dual_ashrrev_i32 v9, 31, v10
	v_dual_add_nc_u32 v11, v0, v2 :: v_dual_bitop2_b32 v8, s5, v8 bitop3:0x14
	v_bitop3_b32 v1, v1, v6, v5 bitop3:0x80
	s_delay_alu instid0(VALU_DEP_3) | instskip(NEXT) | instid1(VALU_DEP_4)
	v_xor_b32_e32 v4, s6, v4
	v_xor_b32_e32 v5, s7, v9
	v_mul_u32_u24_e32 v10, 36, v14
	s_not_b32 s5, s13
	v_bitop3_b32 v1, v1, v8, v7 bitop3:0x80
	ds_store_2addr_b32 v10, v3, v3 offset0:16 offset1:17
	ds_store_2addr_b32 v10, v3, v3 offset0:18 offset1:19
	;; [unrolled: 1-line block ×4, first 2 shown]
	ds_store_b32 v10, v3 offset:96
	v_bitop3_b32 v1, v1, v5, v4 bitop3:0x80
	s_wait_storecnt 0x0
	s_wait_loadcnt_dscnt 0x0
	s_barrier_signal -1
	s_barrier_wait -1
	v_mbcnt_lo_u32_b32 v5, v1, 0
	v_cmp_ne_u32_e64 s0, 0, v1
	; wave barrier
	s_delay_alu instid0(VALU_DEP_2) | instskip(SKIP_1) | instid1(SALU_CYCLE_1)
	v_cmp_eq_u32_e32 vcc_lo, 0, v5
	s_and_b32 s1, s0, vcc_lo
	s_and_saveexec_b32 s0, s1
; %bb.96:
	v_bcnt_u32_b32 v1, v1, 0
	ds_store_b32 v11, v1 offset:64
; %bb.97:
	s_or_b32 exec_lo, exec_lo, s0
	v_lshrrev_b32_e32 v1, s16, v18
	; wave barrier
	s_delay_alu instid0(VALU_DEP_1) | instskip(SKIP_1) | instid1(VALU_DEP_2)
	v_and_b32_e32 v2, s5, v1
	v_bitop3_b32 v1, v1, 1, s5 bitop3:0x80
	v_dual_lshlrev_b32 v6, 30, v2 :: v_dual_lshlrev_b32 v7, 29, v2
	s_delay_alu instid0(VALU_DEP_2) | instskip(NEXT) | instid1(VALU_DEP_1)
	v_add_co_u32 v1, s0, v1, -1
	v_cndmask_b32_e64 v4, 0, 1, s0
	s_delay_alu instid0(VALU_DEP_3) | instskip(NEXT) | instid1(VALU_DEP_4)
	v_cmp_gt_i32_e64 s0, 0, v6
	v_cmp_gt_i32_e64 s1, 0, v7
	s_delay_alu instid0(VALU_DEP_3) | instskip(SKIP_2) | instid1(VALU_DEP_2)
	v_cmp_ne_u32_e32 vcc_lo, 0, v4
	v_not_b32_e32 v4, v6
	v_not_b32_e32 v6, v7
	v_dual_ashrrev_i32 v4, 31, v4 :: v_dual_bitop2_b32 v1, vcc_lo, v1 bitop3:0x14
	s_delay_alu instid0(VALU_DEP_2) | instskip(SKIP_3) | instid1(VALU_DEP_3)
	v_ashrrev_i32_e32 v6, 31, v6
	v_dual_lshlrev_b32 v8, 28, v2 :: v_dual_lshlrev_b32 v9, 27, v2
	v_mul_lo_u32 v3, 0x44, v2
	v_dual_lshlrev_b32 v12, 26, v2 :: v_dual_lshlrev_b32 v13, 25, v2
	v_not_b32_e32 v7, v8
	v_lshlrev_b32_e32 v2, 24, v2
	v_cmp_gt_i32_e64 s3, 0, v8
	v_xor_b32_e32 v4, s0, v4
	v_not_b32_e32 v8, v9
	v_ashrrev_i32_e32 v7, 31, v7
	v_not_b32_e32 v29, v12
	v_xor_b32_e32 v6, s1, v6
	v_bitop3_b32 v1, v1, v4, exec_lo bitop3:0x80
	v_cmp_gt_i32_e32 vcc_lo, 0, v9
	v_dual_ashrrev_i32 v4, 31, v8 :: v_dual_bitop2_b32 v7, s3, v7 bitop3:0x14
	v_cmp_gt_i32_e64 s0, 0, v12
	v_ashrrev_i32_e32 v8, 31, v29
	s_delay_alu instid0(VALU_DEP_3)
	v_bitop3_b32 v1, v1, v7, v6 bitop3:0x80
	v_not_b32_e32 v6, v13
	v_not_b32_e32 v7, v2
	v_xor_b32_e32 v4, vcc_lo, v4
	v_xor_b32_e32 v8, s0, v8
	v_cmp_gt_i32_e32 vcc_lo, 0, v13
	v_ashrrev_i32_e32 v6, 31, v6
	v_cmp_gt_i32_e64 s0, 0, v2
	v_ashrrev_i32_e32 v2, 31, v7
	v_add_nc_u32_e32 v12, v0, v3
	v_bitop3_b32 v1, v1, v8, v4 bitop3:0x80
	v_xor_b32_e32 v3, vcc_lo, v6
	s_delay_alu instid0(VALU_DEP_4) | instskip(SKIP_2) | instid1(VALU_DEP_1)
	v_xor_b32_e32 v2, s0, v2
	ds_load_b32 v29, v12 offset:64
	; wave barrier
	v_bitop3_b32 v1, v1, v2, v3 bitop3:0x80
	v_mbcnt_lo_u32_b32 v30, v1, 0
	v_cmp_ne_u32_e64 s0, 0, v1
	s_delay_alu instid0(VALU_DEP_2) | instskip(SKIP_1) | instid1(SALU_CYCLE_1)
	v_cmp_eq_u32_e32 vcc_lo, 0, v30
	s_and_b32 s1, s0, vcc_lo
	s_and_saveexec_b32 s0, s1
	s_cbranch_execz .LBB2753_99
; %bb.98:
	s_wait_dscnt 0x0
	v_bcnt_u32_b32 v1, v1, v29
	ds_store_b32 v12, v1 offset:64
.LBB2753_99:
	s_or_b32 exec_lo, exec_lo, s0
	v_lshrrev_b32_e32 v1, s16, v19
	; wave barrier
	s_delay_alu instid0(VALU_DEP_1) | instskip(NEXT) | instid1(VALU_DEP_1)
	v_and_b32_e32 v2, s5, v1
	v_lshlrev_b32_e32 v6, 30, v2
	v_bitop3_b32 v1, v1, 1, s5 bitop3:0x80
	s_delay_alu instid0(VALU_DEP_1) | instskip(NEXT) | instid1(VALU_DEP_1)
	v_add_co_u32 v1, s0, v1, -1
	v_cndmask_b32_e64 v4, 0, 1, s0
	s_delay_alu instid0(VALU_DEP_4) | instskip(NEXT) | instid1(VALU_DEP_2)
	v_cmp_gt_i32_e64 s0, 0, v6
	v_cmp_ne_u32_e32 vcc_lo, 0, v4
	v_not_b32_e32 v4, v6
	s_delay_alu instid0(VALU_DEP_1) | instskip(SKIP_3) | instid1(VALU_DEP_4)
	v_dual_ashrrev_i32 v4, 31, v4 :: v_dual_lshlrev_b32 v7, 29, v2
	v_dual_lshlrev_b32 v8, 28, v2 :: v_dual_lshlrev_b32 v9, 27, v2
	v_lshlrev_b32_e32 v13, 26, v2
	v_mul_lo_u32 v3, 0x44, v2
	v_cmp_gt_i32_e64 s1, 0, v7
	v_not_b32_e32 v6, v7
	v_not_b32_e32 v7, v8
	v_cmp_gt_i32_e64 s3, 0, v8
	v_xor_b32_e32 v1, vcc_lo, v1
	s_delay_alu instid0(VALU_DEP_4) | instskip(NEXT) | instid1(VALU_DEP_4)
	v_dual_ashrrev_i32 v6, 31, v6 :: v_dual_bitop2_b32 v4, s0, v4 bitop3:0x14
	v_dual_ashrrev_i32 v7, 31, v7 :: v_dual_lshlrev_b32 v31, 25, v2
	v_lshlrev_b32_e32 v2, 24, v2
	v_not_b32_e32 v8, v9
	v_not_b32_e32 v32, v13
	v_xor_b32_e32 v6, s1, v6
	v_xor_b32_e32 v7, s3, v7
	v_bitop3_b32 v1, v1, v4, exec_lo bitop3:0x80
	v_cmp_gt_i32_e32 vcc_lo, 0, v9
	v_ashrrev_i32_e32 v4, 31, v8
	v_cmp_gt_i32_e64 s0, 0, v13
	v_ashrrev_i32_e32 v8, 31, v32
	v_bitop3_b32 v1, v1, v7, v6 bitop3:0x80
	v_not_b32_e32 v6, v31
	v_not_b32_e32 v7, v2
	v_xor_b32_e32 v4, vcc_lo, v4
	v_xor_b32_e32 v8, s0, v8
	v_cmp_gt_i32_e32 vcc_lo, 0, v31
	v_ashrrev_i32_e32 v6, 31, v6
	v_cmp_gt_i32_e64 s0, 0, v2
	v_ashrrev_i32_e32 v2, 31, v7
	v_add_nc_u32_e32 v13, v0, v3
	v_bitop3_b32 v1, v1, v8, v4 bitop3:0x80
	v_xor_b32_e32 v3, vcc_lo, v6
	s_delay_alu instid0(VALU_DEP_4) | instskip(SKIP_2) | instid1(VALU_DEP_1)
	v_xor_b32_e32 v2, s0, v2
	ds_load_b32 v31, v13 offset:64
	; wave barrier
	v_bitop3_b32 v1, v1, v2, v3 bitop3:0x80
	v_mbcnt_lo_u32_b32 v32, v1, 0
	v_cmp_ne_u32_e64 s0, 0, v1
	s_delay_alu instid0(VALU_DEP_2) | instskip(SKIP_1) | instid1(SALU_CYCLE_1)
	v_cmp_eq_u32_e32 vcc_lo, 0, v32
	s_and_b32 s1, s0, vcc_lo
	s_and_saveexec_b32 s0, s1
	s_cbranch_execz .LBB2753_101
; %bb.100:
	s_wait_dscnt 0x0
	v_bcnt_u32_b32 v1, v1, v31
	ds_store_b32 v13, v1 offset:64
.LBB2753_101:
	s_or_b32 exec_lo, exec_lo, s0
	v_lshrrev_b32_e32 v1, s16, v20
	; wave barrier
	s_delay_alu instid0(VALU_DEP_1) | instskip(NEXT) | instid1(VALU_DEP_1)
	v_and_b32_e32 v2, s5, v1
	v_lshlrev_b32_e32 v6, 30, v2
	v_bitop3_b32 v1, v1, 1, s5 bitop3:0x80
	s_delay_alu instid0(VALU_DEP_1) | instskip(NEXT) | instid1(VALU_DEP_1)
	v_add_co_u32 v1, s0, v1, -1
	v_cndmask_b32_e64 v4, 0, 1, s0
	s_delay_alu instid0(VALU_DEP_4) | instskip(NEXT) | instid1(VALU_DEP_2)
	v_cmp_gt_i32_e64 s0, 0, v6
	v_cmp_ne_u32_e32 vcc_lo, 0, v4
	v_not_b32_e32 v4, v6
	s_delay_alu instid0(VALU_DEP_1) | instskip(SKIP_3) | instid1(VALU_DEP_4)
	v_dual_ashrrev_i32 v4, 31, v4 :: v_dual_lshlrev_b32 v7, 29, v2
	v_dual_lshlrev_b32 v8, 28, v2 :: v_dual_lshlrev_b32 v9, 27, v2
	v_lshlrev_b32_e32 v33, 26, v2
	v_mul_lo_u32 v3, 0x44, v2
	v_cmp_gt_i32_e64 s1, 0, v7
	v_not_b32_e32 v6, v7
	v_not_b32_e32 v7, v8
	v_cmp_gt_i32_e64 s3, 0, v8
	v_xor_b32_e32 v1, vcc_lo, v1
	s_delay_alu instid0(VALU_DEP_4) | instskip(NEXT) | instid1(VALU_DEP_4)
	v_dual_ashrrev_i32 v6, 31, v6 :: v_dual_bitop2_b32 v4, s0, v4 bitop3:0x14
	v_dual_ashrrev_i32 v7, 31, v7 :: v_dual_lshlrev_b32 v34, 25, v2
	v_lshlrev_b32_e32 v2, 24, v2
	v_not_b32_e32 v8, v9
	v_not_b32_e32 v35, v33
	v_xor_b32_e32 v6, s1, v6
	v_xor_b32_e32 v7, s3, v7
	v_bitop3_b32 v1, v1, v4, exec_lo bitop3:0x80
	v_cmp_gt_i32_e32 vcc_lo, 0, v9
	v_ashrrev_i32_e32 v4, 31, v8
	v_cmp_gt_i32_e64 s0, 0, v33
	v_ashrrev_i32_e32 v8, 31, v35
	v_bitop3_b32 v1, v1, v7, v6 bitop3:0x80
	v_not_b32_e32 v6, v34
	v_not_b32_e32 v7, v2
	v_xor_b32_e32 v4, vcc_lo, v4
	v_xor_b32_e32 v8, s0, v8
	v_cmp_gt_i32_e32 vcc_lo, 0, v34
	v_ashrrev_i32_e32 v6, 31, v6
	v_cmp_gt_i32_e64 s0, 0, v2
	v_ashrrev_i32_e32 v2, 31, v7
	v_add_nc_u32_e32 v37, v0, v3
	v_bitop3_b32 v1, v1, v8, v4 bitop3:0x80
	v_xor_b32_e32 v3, vcc_lo, v6
	s_delay_alu instid0(VALU_DEP_4) | instskip(SKIP_2) | instid1(VALU_DEP_1)
	v_xor_b32_e32 v2, s0, v2
	ds_load_b32 v33, v37 offset:64
	; wave barrier
	v_bitop3_b32 v1, v1, v2, v3 bitop3:0x80
	v_mbcnt_lo_u32_b32 v34, v1, 0
	v_cmp_ne_u32_e64 s0, 0, v1
	s_delay_alu instid0(VALU_DEP_2) | instskip(SKIP_1) | instid1(SALU_CYCLE_1)
	v_cmp_eq_u32_e32 vcc_lo, 0, v34
	s_and_b32 s1, s0, vcc_lo
	s_and_saveexec_b32 s0, s1
	s_cbranch_execz .LBB2753_103
; %bb.102:
	s_wait_dscnt 0x0
	v_bcnt_u32_b32 v1, v1, v33
	ds_store_b32 v37, v1 offset:64
.LBB2753_103:
	s_or_b32 exec_lo, exec_lo, s0
	v_lshrrev_b32_e32 v1, s16, v21
	; wave barrier
	s_delay_alu instid0(VALU_DEP_1) | instskip(NEXT) | instid1(VALU_DEP_1)
	v_and_b32_e32 v2, s5, v1
	v_lshlrev_b32_e32 v6, 30, v2
	v_bitop3_b32 v1, v1, 1, s5 bitop3:0x80
	s_delay_alu instid0(VALU_DEP_1) | instskip(NEXT) | instid1(VALU_DEP_1)
	v_add_co_u32 v1, s0, v1, -1
	v_cndmask_b32_e64 v4, 0, 1, s0
	s_delay_alu instid0(VALU_DEP_4) | instskip(NEXT) | instid1(VALU_DEP_2)
	v_cmp_gt_i32_e64 s0, 0, v6
	v_cmp_ne_u32_e32 vcc_lo, 0, v4
	v_not_b32_e32 v4, v6
	s_delay_alu instid0(VALU_DEP_1) | instskip(SKIP_3) | instid1(VALU_DEP_4)
	v_dual_ashrrev_i32 v4, 31, v4 :: v_dual_lshlrev_b32 v7, 29, v2
	v_dual_lshlrev_b32 v8, 28, v2 :: v_dual_lshlrev_b32 v9, 27, v2
	v_lshlrev_b32_e32 v35, 26, v2
	v_mul_lo_u32 v3, 0x44, v2
	v_cmp_gt_i32_e64 s1, 0, v7
	v_not_b32_e32 v6, v7
	v_not_b32_e32 v7, v8
	v_cmp_gt_i32_e64 s3, 0, v8
	v_xor_b32_e32 v1, vcc_lo, v1
	s_delay_alu instid0(VALU_DEP_4) | instskip(NEXT) | instid1(VALU_DEP_4)
	v_dual_ashrrev_i32 v6, 31, v6 :: v_dual_bitop2_b32 v4, s0, v4 bitop3:0x14
	v_dual_ashrrev_i32 v7, 31, v7 :: v_dual_lshlrev_b32 v36, 25, v2
	v_lshlrev_b32_e32 v2, 24, v2
	v_not_b32_e32 v8, v9
	v_not_b32_e32 v38, v35
	v_xor_b32_e32 v6, s1, v6
	v_xor_b32_e32 v7, s3, v7
	v_bitop3_b32 v1, v1, v4, exec_lo bitop3:0x80
	v_cmp_gt_i32_e32 vcc_lo, 0, v9
	v_ashrrev_i32_e32 v4, 31, v8
	v_cmp_gt_i32_e64 s0, 0, v35
	v_ashrrev_i32_e32 v8, 31, v38
	v_bitop3_b32 v1, v1, v7, v6 bitop3:0x80
	v_not_b32_e32 v6, v36
	v_not_b32_e32 v7, v2
	v_xor_b32_e32 v4, vcc_lo, v4
	v_xor_b32_e32 v8, s0, v8
	v_cmp_gt_i32_e32 vcc_lo, 0, v36
	v_ashrrev_i32_e32 v6, 31, v6
	v_cmp_gt_i32_e64 s0, 0, v2
	v_ashrrev_i32_e32 v2, 31, v7
	v_add_nc_u32_e32 v40, v0, v3
	v_bitop3_b32 v1, v1, v8, v4 bitop3:0x80
	v_xor_b32_e32 v3, vcc_lo, v6
	s_delay_alu instid0(VALU_DEP_4) | instskip(SKIP_2) | instid1(VALU_DEP_1)
	v_xor_b32_e32 v2, s0, v2
	ds_load_b32 v35, v40 offset:64
	; wave barrier
	v_bitop3_b32 v1, v1, v2, v3 bitop3:0x80
	v_mbcnt_lo_u32_b32 v36, v1, 0
	v_cmp_ne_u32_e64 s0, 0, v1
	s_delay_alu instid0(VALU_DEP_2) | instskip(SKIP_1) | instid1(SALU_CYCLE_1)
	v_cmp_eq_u32_e32 vcc_lo, 0, v36
	s_and_b32 s1, s0, vcc_lo
	s_and_saveexec_b32 s0, s1
	s_cbranch_execz .LBB2753_105
; %bb.104:
	s_wait_dscnt 0x0
	v_bcnt_u32_b32 v1, v1, v35
	ds_store_b32 v40, v1 offset:64
.LBB2753_105:
	s_or_b32 exec_lo, exec_lo, s0
	v_lshrrev_b32_e32 v1, s16, v22
	; wave barrier
	s_delay_alu instid0(VALU_DEP_1) | instskip(SKIP_1) | instid1(VALU_DEP_2)
	v_and_b32_e32 v2, s5, v1
	v_bitop3_b32 v1, v1, 1, s5 bitop3:0x80
	v_dual_lshlrev_b32 v6, 30, v2 :: v_dual_lshlrev_b32 v7, 29, v2
	s_delay_alu instid0(VALU_DEP_2) | instskip(NEXT) | instid1(VALU_DEP_1)
	v_add_co_u32 v1, s0, v1, -1
	v_cndmask_b32_e64 v4, 0, 1, s0
	s_delay_alu instid0(VALU_DEP_3) | instskip(NEXT) | instid1(VALU_DEP_4)
	v_cmp_gt_i32_e64 s0, 0, v6
	v_cmp_gt_i32_e64 s1, 0, v7
	s_delay_alu instid0(VALU_DEP_3) | instskip(SKIP_2) | instid1(VALU_DEP_2)
	v_cmp_ne_u32_e32 vcc_lo, 0, v4
	v_not_b32_e32 v4, v6
	v_not_b32_e32 v6, v7
	v_dual_ashrrev_i32 v4, 31, v4 :: v_dual_bitop2_b32 v1, vcc_lo, v1 bitop3:0x14
	s_delay_alu instid0(VALU_DEP_2) | instskip(SKIP_3) | instid1(VALU_DEP_3)
	v_ashrrev_i32_e32 v6, 31, v6
	v_dual_lshlrev_b32 v8, 28, v2 :: v_dual_lshlrev_b32 v9, 27, v2
	v_mul_lo_u32 v3, 0x44, v2
	v_dual_lshlrev_b32 v38, 26, v2 :: v_dual_lshlrev_b32 v39, 25, v2
	v_not_b32_e32 v7, v8
	v_lshlrev_b32_e32 v2, 24, v2
	v_cmp_gt_i32_e64 s3, 0, v8
	v_xor_b32_e32 v4, s0, v4
	v_not_b32_e32 v8, v9
	v_ashrrev_i32_e32 v7, 31, v7
	v_not_b32_e32 v41, v38
	v_xor_b32_e32 v6, s1, v6
	v_bitop3_b32 v1, v1, v4, exec_lo bitop3:0x80
	v_cmp_gt_i32_e32 vcc_lo, 0, v9
	v_dual_ashrrev_i32 v4, 31, v8 :: v_dual_bitop2_b32 v7, s3, v7 bitop3:0x14
	v_cmp_gt_i32_e64 s0, 0, v38
	v_ashrrev_i32_e32 v8, 31, v41
	s_delay_alu instid0(VALU_DEP_3)
	v_bitop3_b32 v1, v1, v7, v6 bitop3:0x80
	v_not_b32_e32 v6, v39
	v_not_b32_e32 v7, v2
	v_xor_b32_e32 v4, vcc_lo, v4
	v_xor_b32_e32 v8, s0, v8
	v_cmp_gt_i32_e32 vcc_lo, 0, v39
	v_ashrrev_i32_e32 v6, 31, v6
	v_cmp_gt_i32_e64 s0, 0, v2
	v_ashrrev_i32_e32 v2, 31, v7
	v_add_nc_u32_e32 v43, v0, v3
	v_bitop3_b32 v1, v1, v8, v4 bitop3:0x80
	v_xor_b32_e32 v3, vcc_lo, v6
	s_delay_alu instid0(VALU_DEP_4) | instskip(SKIP_2) | instid1(VALU_DEP_1)
	v_xor_b32_e32 v2, s0, v2
	ds_load_b32 v38, v43 offset:64
	; wave barrier
	v_bitop3_b32 v1, v1, v2, v3 bitop3:0x80
	v_mbcnt_lo_u32_b32 v39, v1, 0
	v_cmp_ne_u32_e64 s0, 0, v1
	s_delay_alu instid0(VALU_DEP_2) | instskip(SKIP_1) | instid1(SALU_CYCLE_1)
	v_cmp_eq_u32_e32 vcc_lo, 0, v39
	s_and_b32 s1, s0, vcc_lo
	s_and_saveexec_b32 s0, s1
	s_cbranch_execz .LBB2753_107
; %bb.106:
	s_wait_dscnt 0x0
	v_bcnt_u32_b32 v1, v1, v38
	ds_store_b32 v43, v1 offset:64
.LBB2753_107:
	s_or_b32 exec_lo, exec_lo, s0
	v_lshrrev_b32_e32 v1, s16, v23
	; wave barrier
	s_delay_alu instid0(VALU_DEP_1) | instskip(NEXT) | instid1(VALU_DEP_1)
	v_and_b32_e32 v2, s5, v1
	v_lshlrev_b32_e32 v6, 30, v2
	v_bitop3_b32 v1, v1, 1, s5 bitop3:0x80
	s_delay_alu instid0(VALU_DEP_1) | instskip(NEXT) | instid1(VALU_DEP_1)
	v_add_co_u32 v1, s0, v1, -1
	v_cndmask_b32_e64 v4, 0, 1, s0
	s_delay_alu instid0(VALU_DEP_4) | instskip(NEXT) | instid1(VALU_DEP_2)
	v_cmp_gt_i32_e64 s0, 0, v6
	v_cmp_ne_u32_e32 vcc_lo, 0, v4
	v_not_b32_e32 v4, v6
	s_delay_alu instid0(VALU_DEP_1) | instskip(SKIP_3) | instid1(VALU_DEP_4)
	v_dual_ashrrev_i32 v4, 31, v4 :: v_dual_lshlrev_b32 v7, 29, v2
	v_dual_lshlrev_b32 v8, 28, v2 :: v_dual_lshlrev_b32 v9, 27, v2
	v_lshlrev_b32_e32 v41, 26, v2
	v_mul_lo_u32 v3, 0x44, v2
	v_cmp_gt_i32_e64 s1, 0, v7
	v_not_b32_e32 v6, v7
	v_not_b32_e32 v7, v8
	v_cmp_gt_i32_e64 s3, 0, v8
	v_xor_b32_e32 v1, vcc_lo, v1
	s_delay_alu instid0(VALU_DEP_4) | instskip(NEXT) | instid1(VALU_DEP_4)
	v_dual_ashrrev_i32 v6, 31, v6 :: v_dual_bitop2_b32 v4, s0, v4 bitop3:0x14
	v_dual_ashrrev_i32 v7, 31, v7 :: v_dual_lshlrev_b32 v42, 25, v2
	v_lshlrev_b32_e32 v2, 24, v2
	v_not_b32_e32 v8, v9
	v_not_b32_e32 v44, v41
	v_xor_b32_e32 v6, s1, v6
	v_xor_b32_e32 v7, s3, v7
	v_bitop3_b32 v1, v1, v4, exec_lo bitop3:0x80
	v_cmp_gt_i32_e32 vcc_lo, 0, v9
	v_ashrrev_i32_e32 v4, 31, v8
	v_cmp_gt_i32_e64 s0, 0, v41
	v_ashrrev_i32_e32 v8, 31, v44
	v_bitop3_b32 v1, v1, v7, v6 bitop3:0x80
	v_not_b32_e32 v6, v42
	v_not_b32_e32 v7, v2
	v_xor_b32_e32 v4, vcc_lo, v4
	v_xor_b32_e32 v8, s0, v8
	v_cmp_gt_i32_e32 vcc_lo, 0, v42
	v_ashrrev_i32_e32 v6, 31, v6
	v_cmp_gt_i32_e64 s0, 0, v2
	v_ashrrev_i32_e32 v2, 31, v7
	v_add_nc_u32_e32 v46, v0, v3
	v_bitop3_b32 v1, v1, v8, v4 bitop3:0x80
	v_xor_b32_e32 v3, vcc_lo, v6
	s_delay_alu instid0(VALU_DEP_4) | instskip(SKIP_2) | instid1(VALU_DEP_1)
	v_xor_b32_e32 v2, s0, v2
	ds_load_b32 v41, v46 offset:64
	; wave barrier
	v_bitop3_b32 v1, v1, v2, v3 bitop3:0x80
	v_mbcnt_lo_u32_b32 v42, v1, 0
	v_cmp_ne_u32_e64 s0, 0, v1
	s_delay_alu instid0(VALU_DEP_2) | instskip(SKIP_1) | instid1(SALU_CYCLE_1)
	v_cmp_eq_u32_e32 vcc_lo, 0, v42
	s_and_b32 s1, s0, vcc_lo
	s_and_saveexec_b32 s0, s1
	s_cbranch_execz .LBB2753_109
; %bb.108:
	s_wait_dscnt 0x0
	v_bcnt_u32_b32 v1, v1, v41
	ds_store_b32 v46, v1 offset:64
.LBB2753_109:
	s_or_b32 exec_lo, exec_lo, s0
	v_lshrrev_b32_e32 v1, s16, v24
	; wave barrier
	s_delay_alu instid0(VALU_DEP_1) | instskip(NEXT) | instid1(VALU_DEP_1)
	v_and_b32_e32 v2, s5, v1
	v_lshlrev_b32_e32 v6, 30, v2
	v_bitop3_b32 v1, v1, 1, s5 bitop3:0x80
	s_delay_alu instid0(VALU_DEP_1) | instskip(NEXT) | instid1(VALU_DEP_1)
	v_add_co_u32 v1, s0, v1, -1
	v_cndmask_b32_e64 v4, 0, 1, s0
	s_delay_alu instid0(VALU_DEP_4) | instskip(NEXT) | instid1(VALU_DEP_2)
	v_cmp_gt_i32_e64 s0, 0, v6
	v_cmp_ne_u32_e32 vcc_lo, 0, v4
	v_not_b32_e32 v4, v6
	s_delay_alu instid0(VALU_DEP_1) | instskip(SKIP_3) | instid1(VALU_DEP_4)
	v_dual_ashrrev_i32 v4, 31, v4 :: v_dual_lshlrev_b32 v7, 29, v2
	v_dual_lshlrev_b32 v8, 28, v2 :: v_dual_lshlrev_b32 v9, 27, v2
	v_lshlrev_b32_e32 v44, 26, v2
	v_mul_lo_u32 v3, 0x44, v2
	v_cmp_gt_i32_e64 s1, 0, v7
	v_not_b32_e32 v6, v7
	v_not_b32_e32 v7, v8
	v_cmp_gt_i32_e64 s3, 0, v8
	v_xor_b32_e32 v1, vcc_lo, v1
	s_delay_alu instid0(VALU_DEP_4) | instskip(NEXT) | instid1(VALU_DEP_4)
	v_dual_ashrrev_i32 v6, 31, v6 :: v_dual_bitop2_b32 v4, s0, v4 bitop3:0x14
	v_dual_ashrrev_i32 v7, 31, v7 :: v_dual_lshlrev_b32 v45, 25, v2
	v_lshlrev_b32_e32 v2, 24, v2
	v_not_b32_e32 v8, v9
	v_not_b32_e32 v47, v44
	v_xor_b32_e32 v6, s1, v6
	v_xor_b32_e32 v7, s3, v7
	v_bitop3_b32 v1, v1, v4, exec_lo bitop3:0x80
	v_cmp_gt_i32_e32 vcc_lo, 0, v9
	v_ashrrev_i32_e32 v4, 31, v8
	v_cmp_gt_i32_e64 s0, 0, v44
	v_ashrrev_i32_e32 v8, 31, v47
	v_bitop3_b32 v1, v1, v7, v6 bitop3:0x80
	v_not_b32_e32 v6, v45
	v_not_b32_e32 v7, v2
	v_xor_b32_e32 v4, vcc_lo, v4
	v_xor_b32_e32 v8, s0, v8
	v_cmp_gt_i32_e32 vcc_lo, 0, v45
	v_ashrrev_i32_e32 v6, 31, v6
	v_cmp_gt_i32_e64 s0, 0, v2
	v_ashrrev_i32_e32 v2, 31, v7
	v_add_nc_u32_e32 v49, v0, v3
	v_bitop3_b32 v1, v1, v8, v4 bitop3:0x80
	v_xor_b32_e32 v3, vcc_lo, v6
	s_delay_alu instid0(VALU_DEP_4) | instskip(SKIP_2) | instid1(VALU_DEP_1)
	v_xor_b32_e32 v2, s0, v2
	ds_load_b32 v44, v49 offset:64
	; wave barrier
	v_bitop3_b32 v1, v1, v2, v3 bitop3:0x80
	v_mbcnt_lo_u32_b32 v45, v1, 0
	v_cmp_ne_u32_e64 s0, 0, v1
	s_delay_alu instid0(VALU_DEP_2) | instskip(SKIP_1) | instid1(SALU_CYCLE_1)
	v_cmp_eq_u32_e32 vcc_lo, 0, v45
	s_and_b32 s1, s0, vcc_lo
	s_and_saveexec_b32 s0, s1
	s_cbranch_execz .LBB2753_111
; %bb.110:
	s_wait_dscnt 0x0
	v_bcnt_u32_b32 v1, v1, v44
	ds_store_b32 v49, v1 offset:64
.LBB2753_111:
	s_or_b32 exec_lo, exec_lo, s0
	v_lshrrev_b32_e32 v1, s16, v25
	; wave barrier
	s_delay_alu instid0(VALU_DEP_1) | instskip(NEXT) | instid1(VALU_DEP_1)
	v_and_b32_e32 v2, s5, v1
	v_lshlrev_b32_e32 v6, 30, v2
	v_bitop3_b32 v1, v1, 1, s5 bitop3:0x80
	s_delay_alu instid0(VALU_DEP_1) | instskip(NEXT) | instid1(VALU_DEP_1)
	v_add_co_u32 v1, s0, v1, -1
	v_cndmask_b32_e64 v4, 0, 1, s0
	s_delay_alu instid0(VALU_DEP_4) | instskip(NEXT) | instid1(VALU_DEP_2)
	v_cmp_gt_i32_e64 s0, 0, v6
	v_cmp_ne_u32_e32 vcc_lo, 0, v4
	v_not_b32_e32 v4, v6
	s_delay_alu instid0(VALU_DEP_1) | instskip(SKIP_3) | instid1(VALU_DEP_4)
	v_dual_ashrrev_i32 v4, 31, v4 :: v_dual_lshlrev_b32 v7, 29, v2
	v_dual_lshlrev_b32 v8, 28, v2 :: v_dual_lshlrev_b32 v9, 27, v2
	v_lshlrev_b32_e32 v47, 26, v2
	v_mul_lo_u32 v3, 0x44, v2
	v_cmp_gt_i32_e64 s1, 0, v7
	v_not_b32_e32 v6, v7
	v_not_b32_e32 v7, v8
	v_cmp_gt_i32_e64 s3, 0, v8
	v_xor_b32_e32 v1, vcc_lo, v1
	s_delay_alu instid0(VALU_DEP_4) | instskip(NEXT) | instid1(VALU_DEP_4)
	v_dual_ashrrev_i32 v6, 31, v6 :: v_dual_bitop2_b32 v4, s0, v4 bitop3:0x14
	v_dual_ashrrev_i32 v7, 31, v7 :: v_dual_lshlrev_b32 v48, 25, v2
	v_lshlrev_b32_e32 v2, 24, v2
	v_not_b32_e32 v8, v9
	v_not_b32_e32 v50, v47
	v_xor_b32_e32 v6, s1, v6
	v_xor_b32_e32 v7, s3, v7
	v_bitop3_b32 v1, v1, v4, exec_lo bitop3:0x80
	v_cmp_gt_i32_e32 vcc_lo, 0, v9
	v_ashrrev_i32_e32 v4, 31, v8
	v_cmp_gt_i32_e64 s0, 0, v47
	v_ashrrev_i32_e32 v8, 31, v50
	v_bitop3_b32 v1, v1, v7, v6 bitop3:0x80
	v_not_b32_e32 v6, v48
	v_not_b32_e32 v7, v2
	v_xor_b32_e32 v4, vcc_lo, v4
	v_xor_b32_e32 v8, s0, v8
	v_cmp_gt_i32_e32 vcc_lo, 0, v48
	v_ashrrev_i32_e32 v6, 31, v6
	v_cmp_gt_i32_e64 s0, 0, v2
	v_ashrrev_i32_e32 v2, 31, v7
	v_add_nc_u32_e32 v52, v0, v3
	v_bitop3_b32 v1, v1, v8, v4 bitop3:0x80
	v_xor_b32_e32 v3, vcc_lo, v6
	s_delay_alu instid0(VALU_DEP_4) | instskip(SKIP_2) | instid1(VALU_DEP_1)
	v_xor_b32_e32 v2, s0, v2
	ds_load_b32 v47, v52 offset:64
	; wave barrier
	v_bitop3_b32 v1, v1, v2, v3 bitop3:0x80
	v_mbcnt_lo_u32_b32 v48, v1, 0
	v_cmp_ne_u32_e64 s0, 0, v1
	s_delay_alu instid0(VALU_DEP_2) | instskip(SKIP_1) | instid1(SALU_CYCLE_1)
	v_cmp_eq_u32_e32 vcc_lo, 0, v48
	s_and_b32 s1, s0, vcc_lo
	s_and_saveexec_b32 s0, s1
	s_cbranch_execz .LBB2753_113
; %bb.112:
	s_wait_dscnt 0x0
	v_bcnt_u32_b32 v1, v1, v47
	ds_store_b32 v52, v1 offset:64
.LBB2753_113:
	s_or_b32 exec_lo, exec_lo, s0
	v_lshrrev_b32_e32 v1, s16, v26
	; wave barrier
	s_delay_alu instid0(VALU_DEP_1) | instskip(SKIP_1) | instid1(VALU_DEP_2)
	v_and_b32_e32 v2, s5, v1
	v_bitop3_b32 v1, v1, 1, s5 bitop3:0x80
	v_dual_lshlrev_b32 v6, 30, v2 :: v_dual_lshlrev_b32 v7, 29, v2
	s_delay_alu instid0(VALU_DEP_2) | instskip(NEXT) | instid1(VALU_DEP_1)
	v_add_co_u32 v1, s0, v1, -1
	v_cndmask_b32_e64 v4, 0, 1, s0
	s_delay_alu instid0(VALU_DEP_3) | instskip(NEXT) | instid1(VALU_DEP_4)
	v_cmp_gt_i32_e64 s0, 0, v6
	v_cmp_gt_i32_e64 s1, 0, v7
	s_delay_alu instid0(VALU_DEP_3) | instskip(SKIP_2) | instid1(VALU_DEP_2)
	v_cmp_ne_u32_e32 vcc_lo, 0, v4
	v_not_b32_e32 v4, v6
	v_not_b32_e32 v6, v7
	v_dual_ashrrev_i32 v4, 31, v4 :: v_dual_bitop2_b32 v1, vcc_lo, v1 bitop3:0x14
	s_delay_alu instid0(VALU_DEP_2) | instskip(SKIP_3) | instid1(VALU_DEP_3)
	v_ashrrev_i32_e32 v6, 31, v6
	v_dual_lshlrev_b32 v8, 28, v2 :: v_dual_lshlrev_b32 v9, 27, v2
	v_mul_lo_u32 v3, 0x44, v2
	v_dual_lshlrev_b32 v50, 26, v2 :: v_dual_lshlrev_b32 v51, 25, v2
	v_not_b32_e32 v7, v8
	v_lshlrev_b32_e32 v2, 24, v2
	v_cmp_gt_i32_e64 s3, 0, v8
	v_xor_b32_e32 v4, s0, v4
	v_not_b32_e32 v8, v9
	v_ashrrev_i32_e32 v7, 31, v7
	v_not_b32_e32 v53, v50
	v_xor_b32_e32 v6, s1, v6
	v_bitop3_b32 v1, v1, v4, exec_lo bitop3:0x80
	v_cmp_gt_i32_e32 vcc_lo, 0, v9
	v_dual_ashrrev_i32 v4, 31, v8 :: v_dual_bitop2_b32 v7, s3, v7 bitop3:0x14
	v_cmp_gt_i32_e64 s0, 0, v50
	v_ashrrev_i32_e32 v8, 31, v53
	s_delay_alu instid0(VALU_DEP_3)
	v_bitop3_b32 v1, v1, v7, v6 bitop3:0x80
	v_not_b32_e32 v6, v51
	v_not_b32_e32 v7, v2
	v_xor_b32_e32 v4, vcc_lo, v4
	v_xor_b32_e32 v8, s0, v8
	v_cmp_gt_i32_e32 vcc_lo, 0, v51
	v_ashrrev_i32_e32 v6, 31, v6
	v_cmp_gt_i32_e64 s0, 0, v2
	v_ashrrev_i32_e32 v2, 31, v7
	v_add_nc_u32_e32 v55, v0, v3
	v_bitop3_b32 v1, v1, v8, v4 bitop3:0x80
	v_xor_b32_e32 v3, vcc_lo, v6
	s_delay_alu instid0(VALU_DEP_4) | instskip(SKIP_2) | instid1(VALU_DEP_1)
	v_xor_b32_e32 v2, s0, v2
	ds_load_b32 v50, v55 offset:64
	; wave barrier
	v_bitop3_b32 v1, v1, v2, v3 bitop3:0x80
	v_mbcnt_lo_u32_b32 v51, v1, 0
	v_cmp_ne_u32_e64 s0, 0, v1
	s_delay_alu instid0(VALU_DEP_2) | instskip(SKIP_1) | instid1(SALU_CYCLE_1)
	v_cmp_eq_u32_e32 vcc_lo, 0, v51
	s_and_b32 s1, s0, vcc_lo
	s_and_saveexec_b32 s0, s1
	s_cbranch_execz .LBB2753_115
; %bb.114:
	s_wait_dscnt 0x0
	v_bcnt_u32_b32 v1, v1, v50
	ds_store_b32 v55, v1 offset:64
.LBB2753_115:
	s_or_b32 exec_lo, exec_lo, s0
	v_lshrrev_b32_e32 v1, s16, v27
	; wave barrier
	s_delay_alu instid0(VALU_DEP_1) | instskip(NEXT) | instid1(VALU_DEP_1)
	v_and_b32_e32 v2, s5, v1
	v_lshlrev_b32_e32 v6, 30, v2
	v_bitop3_b32 v1, v1, 1, s5 bitop3:0x80
	s_delay_alu instid0(VALU_DEP_1) | instskip(NEXT) | instid1(VALU_DEP_1)
	v_add_co_u32 v1, s0, v1, -1
	v_cndmask_b32_e64 v4, 0, 1, s0
	s_delay_alu instid0(VALU_DEP_4) | instskip(NEXT) | instid1(VALU_DEP_2)
	v_cmp_gt_i32_e64 s0, 0, v6
	v_cmp_ne_u32_e32 vcc_lo, 0, v4
	v_not_b32_e32 v4, v6
	s_delay_alu instid0(VALU_DEP_1) | instskip(SKIP_3) | instid1(VALU_DEP_4)
	v_dual_ashrrev_i32 v4, 31, v4 :: v_dual_lshlrev_b32 v7, 29, v2
	v_dual_lshlrev_b32 v8, 28, v2 :: v_dual_lshlrev_b32 v9, 27, v2
	v_lshlrev_b32_e32 v53, 26, v2
	v_mul_lo_u32 v3, 0x44, v2
	v_cmp_gt_i32_e64 s1, 0, v7
	v_not_b32_e32 v6, v7
	v_not_b32_e32 v7, v8
	v_cmp_gt_i32_e64 s3, 0, v8
	v_xor_b32_e32 v1, vcc_lo, v1
	s_delay_alu instid0(VALU_DEP_4) | instskip(NEXT) | instid1(VALU_DEP_4)
	v_dual_ashrrev_i32 v6, 31, v6 :: v_dual_bitop2_b32 v4, s0, v4 bitop3:0x14
	v_dual_ashrrev_i32 v7, 31, v7 :: v_dual_lshlrev_b32 v54, 25, v2
	v_lshlrev_b32_e32 v2, 24, v2
	v_not_b32_e32 v8, v9
	v_not_b32_e32 v56, v53
	v_xor_b32_e32 v6, s1, v6
	v_xor_b32_e32 v7, s3, v7
	v_bitop3_b32 v1, v1, v4, exec_lo bitop3:0x80
	v_cmp_gt_i32_e32 vcc_lo, 0, v9
	v_ashrrev_i32_e32 v4, 31, v8
	v_cmp_gt_i32_e64 s0, 0, v53
	v_ashrrev_i32_e32 v8, 31, v56
	v_bitop3_b32 v1, v1, v7, v6 bitop3:0x80
	v_not_b32_e32 v6, v54
	v_not_b32_e32 v7, v2
	v_xor_b32_e32 v4, vcc_lo, v4
	v_xor_b32_e32 v8, s0, v8
	v_cmp_gt_i32_e32 vcc_lo, 0, v54
	v_ashrrev_i32_e32 v6, 31, v6
	v_cmp_gt_i32_e64 s0, 0, v2
	v_ashrrev_i32_e32 v2, 31, v7
	v_add_nc_u32_e32 v58, v0, v3
	v_bitop3_b32 v1, v1, v8, v4 bitop3:0x80
	v_xor_b32_e32 v3, vcc_lo, v6
	s_delay_alu instid0(VALU_DEP_4) | instskip(SKIP_2) | instid1(VALU_DEP_1)
	v_xor_b32_e32 v2, s0, v2
	ds_load_b32 v53, v58 offset:64
	; wave barrier
	v_bitop3_b32 v1, v1, v2, v3 bitop3:0x80
	v_mbcnt_lo_u32_b32 v54, v1, 0
	v_cmp_ne_u32_e64 s0, 0, v1
	s_delay_alu instid0(VALU_DEP_2) | instskip(SKIP_1) | instid1(SALU_CYCLE_1)
	v_cmp_eq_u32_e32 vcc_lo, 0, v54
	s_and_b32 s1, s0, vcc_lo
	s_and_saveexec_b32 s0, s1
	s_cbranch_execz .LBB2753_117
; %bb.116:
	s_wait_dscnt 0x0
	v_bcnt_u32_b32 v1, v1, v53
	ds_store_b32 v58, v1 offset:64
.LBB2753_117:
	s_or_b32 exec_lo, exec_lo, s0
	v_lshrrev_b32_e32 v1, s16, v28
	; wave barrier
	s_delay_alu instid0(VALU_DEP_1) | instskip(NEXT) | instid1(VALU_DEP_1)
	v_and_b32_e32 v2, s5, v1
	v_lshlrev_b32_e32 v6, 30, v2
	v_bitop3_b32 v1, v1, 1, s5 bitop3:0x80
	s_delay_alu instid0(VALU_DEP_1) | instskip(NEXT) | instid1(VALU_DEP_1)
	v_add_co_u32 v1, s0, v1, -1
	v_cndmask_b32_e64 v4, 0, 1, s0
	s_delay_alu instid0(VALU_DEP_4) | instskip(NEXT) | instid1(VALU_DEP_2)
	v_cmp_gt_i32_e64 s0, 0, v6
	v_cmp_ne_u32_e32 vcc_lo, 0, v4
	v_not_b32_e32 v4, v6
	s_delay_alu instid0(VALU_DEP_1) | instskip(SKIP_3) | instid1(VALU_DEP_4)
	v_dual_ashrrev_i32 v4, 31, v4 :: v_dual_lshlrev_b32 v7, 29, v2
	v_dual_lshlrev_b32 v8, 28, v2 :: v_dual_lshlrev_b32 v9, 27, v2
	v_lshlrev_b32_e32 v56, 26, v2
	v_mul_lo_u32 v3, 0x44, v2
	v_cmp_gt_i32_e64 s1, 0, v7
	v_not_b32_e32 v6, v7
	v_not_b32_e32 v7, v8
	v_cmp_gt_i32_e64 s3, 0, v8
	v_xor_b32_e32 v1, vcc_lo, v1
	s_delay_alu instid0(VALU_DEP_4) | instskip(NEXT) | instid1(VALU_DEP_4)
	v_dual_ashrrev_i32 v6, 31, v6 :: v_dual_bitop2_b32 v4, s0, v4 bitop3:0x14
	v_dual_ashrrev_i32 v7, 31, v7 :: v_dual_lshlrev_b32 v57, 25, v2
	v_lshlrev_b32_e32 v2, 24, v2
	v_not_b32_e32 v8, v9
	v_not_b32_e32 v59, v56
	v_xor_b32_e32 v6, s1, v6
	v_xor_b32_e32 v7, s3, v7
	v_bitop3_b32 v1, v1, v4, exec_lo bitop3:0x80
	v_cmp_gt_i32_e32 vcc_lo, 0, v9
	v_ashrrev_i32_e32 v4, 31, v8
	v_cmp_gt_i32_e64 s0, 0, v56
	v_ashrrev_i32_e32 v8, 31, v59
	v_bitop3_b32 v1, v1, v7, v6 bitop3:0x80
	v_not_b32_e32 v6, v57
	v_not_b32_e32 v7, v2
	v_xor_b32_e32 v4, vcc_lo, v4
	v_xor_b32_e32 v8, s0, v8
	v_cmp_gt_i32_e32 vcc_lo, 0, v57
	v_ashrrev_i32_e32 v6, 31, v6
	v_cmp_gt_i32_e64 s0, 0, v2
	v_ashrrev_i32_e32 v2, 31, v7
	v_add_nc_u32_e32 v61, v0, v3
	v_bitop3_b32 v0, v1, v8, v4 bitop3:0x80
	v_xor_b32_e32 v1, vcc_lo, v6
	s_delay_alu instid0(VALU_DEP_4) | instskip(SKIP_2) | instid1(VALU_DEP_1)
	v_xor_b32_e32 v2, s0, v2
	ds_load_b32 v56, v61 offset:64
	; wave barrier
	v_bitop3_b32 v0, v0, v2, v1 bitop3:0x80
	v_mbcnt_lo_u32_b32 v57, v0, 0
	v_cmp_ne_u32_e64 s0, 0, v0
	s_delay_alu instid0(VALU_DEP_2) | instskip(SKIP_1) | instid1(SALU_CYCLE_1)
	v_cmp_eq_u32_e32 vcc_lo, 0, v57
	s_and_b32 s1, s0, vcc_lo
	s_and_saveexec_b32 s0, s1
	s_cbranch_execz .LBB2753_119
; %bb.118:
	s_wait_dscnt 0x0
	v_bcnt_u32_b32 v0, v0, v56
	ds_store_b32 v61, v0 offset:64
.LBB2753_119:
	s_or_b32 exec_lo, exec_lo, s0
	; wave barrier
	s_wait_dscnt 0x0
	s_barrier_signal -1
	s_barrier_wait -1
	ds_load_2addr_b32 v[8:9], v10 offset0:16 offset1:17
	ds_load_2addr_b32 v[6:7], v10 offset0:18 offset1:19
	;; [unrolled: 1-line block ×4, first 2 shown]
	ds_load_b32 v4, v10 offset:96
	v_min_u32_e32 v16, 0x1e0, v16
	s_mov_b32 s6, exec_lo
	s_delay_alu instid0(VALU_DEP_1) | instskip(SKIP_3) | instid1(VALU_DEP_1)
	v_or_b32_e32 v62, 31, v16
	s_wait_dscnt 0x3
	v_add3_u32 v59, v9, v8, v6
	s_wait_dscnt 0x2
	v_add3_u32 v59, v59, v7, v2
	s_wait_dscnt 0x1
	s_delay_alu instid0(VALU_DEP_1) | instskip(SKIP_1) | instid1(VALU_DEP_1)
	v_add3_u32 v59, v59, v3, v0
	s_wait_dscnt 0x0
	v_add3_u32 v4, v59, v1, v4
	v_and_b32_e32 v59, 15, v15
	s_delay_alu instid0(VALU_DEP_2) | instskip(NEXT) | instid1(VALU_DEP_2)
	v_mov_b32_dpp v60, v4 row_shr:1 row_mask:0xf bank_mask:0xf
	v_cmp_eq_u32_e32 vcc_lo, 0, v59
	s_delay_alu instid0(VALU_DEP_2) | instskip(NEXT) | instid1(VALU_DEP_1)
	v_cndmask_b32_e64 v60, v60, 0, vcc_lo
	v_add_nc_u32_e32 v4, v60, v4
	v_cmp_lt_u32_e64 s0, 1, v59
	v_cmp_lt_u32_e64 s1, 3, v59
	;; [unrolled: 1-line block ×3, first 2 shown]
	s_delay_alu instid0(VALU_DEP_4) | instskip(NEXT) | instid1(VALU_DEP_1)
	v_mov_b32_dpp v60, v4 row_shr:2 row_mask:0xf bank_mask:0xf
	v_cndmask_b32_e64 v60, 0, v60, s0
	s_delay_alu instid0(VALU_DEP_1) | instskip(NEXT) | instid1(VALU_DEP_1)
	v_add_nc_u32_e32 v4, v4, v60
	v_mov_b32_dpp v60, v4 row_shr:4 row_mask:0xf bank_mask:0xf
	s_delay_alu instid0(VALU_DEP_1) | instskip(NEXT) | instid1(VALU_DEP_1)
	v_cndmask_b32_e64 v60, 0, v60, s1
	v_add_nc_u32_e32 v4, v4, v60
	s_delay_alu instid0(VALU_DEP_1) | instskip(NEXT) | instid1(VALU_DEP_1)
	v_mov_b32_dpp v60, v4 row_shr:8 row_mask:0xf bank_mask:0xf
	v_cndmask_b32_e64 v59, 0, v60, s3
	v_bfe_i32 v60, v15, 4, 1
	s_delay_alu instid0(VALU_DEP_2) | instskip(SKIP_3) | instid1(VALU_DEP_1)
	v_add_nc_u32_e32 v4, v4, v59
	ds_swizzle_b32 v59, v4 offset:swizzle(BROADCAST,32,15)
	s_wait_dscnt 0x0
	v_dual_lshrrev_b32 v59, 5, v14 :: v_dual_bitop2_b32 v60, v60, v59 bitop3:0x40
	v_add_nc_u32_e32 v16, v4, v60
	v_cmpx_eq_u32_e64 v14, v62
; %bb.120:
	s_delay_alu instid0(VALU_DEP_3)
	v_lshlrev_b32_e32 v4, 2, v59
	ds_store_b32 v4, v16
; %bb.121:
	s_or_b32 exec_lo, exec_lo, s6
	v_lshlrev_b32_e32 v4, 2, v14
	s_mov_b32 s6, exec_lo
	s_wait_dscnt 0x0
	s_barrier_signal -1
	s_barrier_wait -1
	v_cmpx_gt_u32_e32 16, v14
	s_cbranch_execz .LBB2753_123
; %bb.122:
	ds_load_b32 v60, v4
	s_wait_dscnt 0x0
	v_mov_b32_dpp v62, v60 row_shr:1 row_mask:0xf bank_mask:0xf
	s_delay_alu instid0(VALU_DEP_1) | instskip(NEXT) | instid1(VALU_DEP_1)
	v_cndmask_b32_e64 v62, v62, 0, vcc_lo
	v_add_nc_u32_e32 v60, v62, v60
	s_delay_alu instid0(VALU_DEP_1) | instskip(NEXT) | instid1(VALU_DEP_1)
	v_mov_b32_dpp v62, v60 row_shr:2 row_mask:0xf bank_mask:0xf
	v_cndmask_b32_e64 v62, 0, v62, s0
	s_delay_alu instid0(VALU_DEP_1) | instskip(NEXT) | instid1(VALU_DEP_1)
	v_add_nc_u32_e32 v60, v60, v62
	v_mov_b32_dpp v62, v60 row_shr:4 row_mask:0xf bank_mask:0xf
	s_delay_alu instid0(VALU_DEP_1) | instskip(NEXT) | instid1(VALU_DEP_1)
	v_cndmask_b32_e64 v62, 0, v62, s1
	v_add_nc_u32_e32 v60, v60, v62
	s_delay_alu instid0(VALU_DEP_1) | instskip(NEXT) | instid1(VALU_DEP_1)
	v_mov_b32_dpp v62, v60 row_shr:8 row_mask:0xf bank_mask:0xf
	v_cndmask_b32_e64 v62, 0, v62, s3
	s_delay_alu instid0(VALU_DEP_1)
	v_add_nc_u32_e32 v60, v60, v62
	ds_store_b32 v4, v60
.LBB2753_123:
	s_or_b32 exec_lo, exec_lo, s6
	v_mov_b32_e32 v60, 0
	s_mov_b32 s0, exec_lo
	s_wait_dscnt 0x0
	s_barrier_signal -1
	s_barrier_wait -1
	v_cmpx_lt_u32_e32 31, v14
; %bb.124:
	v_lshl_add_u32 v59, v59, 2, -4
	ds_load_b32 v60, v59
; %bb.125:
	s_or_b32 exec_lo, exec_lo, s0
	v_sub_co_u32 v59, vcc_lo, v15, 1
	s_wait_dscnt 0x0
	v_add_nc_u32_e32 v16, v60, v16
	s_delay_alu instid0(VALU_DEP_2) | instskip(NEXT) | instid1(VALU_DEP_1)
	v_cmp_gt_i32_e64 s0, 0, v59
	v_cndmask_b32_e64 v15, v59, v15, s0
	v_cmp_lt_u32_e64 s0, 0xff, v14
	s_delay_alu instid0(VALU_DEP_2) | instskip(SKIP_4) | instid1(VALU_DEP_2)
	v_lshlrev_b32_e32 v15, 2, v15
	ds_bpermute_b32 v15, v15, v16
	s_wait_dscnt 0x0
	v_cndmask_b32_e32 v15, v15, v60, vcc_lo
	v_cmp_gt_u32_e32 vcc_lo, 0x100, v14
	v_cndmask_b32_e64 v15, v15, 0, s2
	s_delay_alu instid0(VALU_DEP_1) | instskip(NEXT) | instid1(VALU_DEP_1)
	v_add_nc_u32_e32 v8, v15, v8
	v_add_nc_u32_e32 v9, v8, v9
	s_delay_alu instid0(VALU_DEP_1) | instskip(NEXT) | instid1(VALU_DEP_1)
	v_add_nc_u32_e32 v6, v9, v6
	v_add_nc_u32_e32 v7, v6, v7
	;; [unrolled: 3-line block ×4, first 2 shown]
	ds_store_2addr_b32 v10, v15, v8 offset0:16 offset1:17
	ds_store_2addr_b32 v10, v9, v6 offset0:18 offset1:19
	;; [unrolled: 1-line block ×4, first 2 shown]
	ds_store_b32 v10, v1 offset:96
	s_wait_dscnt 0x0
	s_barrier_signal -1
	s_barrier_wait -1
	ds_load_b32 v59, v12 offset:64
	ds_load_b32 v60, v13 offset:64
	;; [unrolled: 1-line block ×12, first 2 shown]
	v_mov_b64_e32 v[0:1], 0
                                        ; implicit-def: $vgpr2
	s_and_saveexec_b32 s2, vcc_lo
	s_cbranch_execz .LBB2753_129
; %bb.126:
	v_mul_u32_u24_e32 v0, 0x44, v14
	v_dual_mov_b32 v1, 0x1800 :: v_dual_add_nc_u32 v2, 1, v14
	s_mov_b32 s3, exec_lo
	ds_load_b32 v0, v0 offset:64
	v_cmpx_ne_u32_e32 0x100, v2
; %bb.127:
	v_mul_u32_u24_e32 v1, 0x44, v2
	ds_load_b32 v1, v1 offset:64
; %bb.128:
	s_or_b32 exec_lo, exec_lo, s3
	s_wait_dscnt 0x0
	v_dual_mov_b32 v1, 0 :: v_dual_sub_nc_u32 v2, v1, v0
.LBB2753_129:
	s_or_b32 exec_lo, exec_lo, s2
	v_dual_mov_b32 v7, 0 :: v_dual_lshlrev_b32 v3, 3, v14
	s_wait_dscnt 0x0
	s_barrier_signal -1
	s_barrier_wait -1
	s_and_saveexec_b32 s1, vcc_lo
	s_cbranch_execz .LBB2753_139
; %bb.130:
	v_lshl_add_u32 v6, s19, 8, v14
	v_dual_mov_b32 v10, 0 :: v_dual_bitop2_b32 v11, 2.0, v2 bitop3:0x54
	s_mov_b32 s2, 0
	s_mov_b32 s3, s19
	s_delay_alu instid0(VALU_DEP_2)
	v_lshl_add_u64 v[8:9], v[6:7], 2, s[20:21]
	global_store_b32 v6, v11, s[20:21] scale_offset scope:SCOPE_DEV
                                        ; implicit-def: $sgpr4
	s_branch .LBB2753_133
.LBB2753_131:                           ;   in Loop: Header=BB2753_133 Depth=1
	s_or_b32 exec_lo, exec_lo, s6
.LBB2753_132:                           ;   in Loop: Header=BB2753_133 Depth=1
	s_delay_alu instid0(SALU_CYCLE_1) | instskip(SKIP_2) | instid1(VALU_DEP_2)
	s_or_b32 exec_lo, exec_lo, s4
	v_and_b32_e32 v6, 0x3fffffff, v11
	v_cmp_gt_i32_e64 s4, -2.0, v11
	v_add_nc_u32_e32 v10, v6, v10
	s_and_b32 s6, exec_lo, s4
	s_delay_alu instid0(SALU_CYCLE_1) | instskip(NEXT) | instid1(SALU_CYCLE_1)
	s_or_b32 s2, s6, s2
	s_and_not1_b32 exec_lo, exec_lo, s2
	s_cbranch_execz .LBB2753_138
.LBB2753_133:                           ; =>This Loop Header: Depth=1
                                        ;     Child Loop BB2753_136 Depth 2
	s_or_b32 s4, s4, exec_lo
	s_cmp_eq_u32 s3, 0
	s_cbranch_scc1 .LBB2753_137
; %bb.134:                              ;   in Loop: Header=BB2753_133 Depth=1
	s_add_co_i32 s3, s3, -1
	s_mov_b32 s4, exec_lo
	s_wait_xcnt 0x0
	v_lshl_or_b32 v6, s3, 8, v14
	global_load_b32 v11, v6, s[20:21] scale_offset scope:SCOPE_DEV
	s_wait_loadcnt 0x0
	v_cmpx_gt_u32_e32 2.0, v11
	s_cbranch_execz .LBB2753_132
; %bb.135:                              ;   in Loop: Header=BB2753_133 Depth=1
	v_lshl_add_u64 v[12:13], v[6:7], 2, s[20:21]
	s_mov_b32 s6, 0
.LBB2753_136:                           ;   Parent Loop BB2753_133 Depth=1
                                        ; =>  This Inner Loop Header: Depth=2
	global_load_b32 v11, v[12:13], off scope:SCOPE_DEV
	s_wait_loadcnt 0x0
	v_cmp_lt_u32_e32 vcc_lo, 0x3fffffff, v11
	s_or_b32 s6, vcc_lo, s6
	s_wait_xcnt 0x0
	s_and_not1_b32 exec_lo, exec_lo, s6
	s_cbranch_execnz .LBB2753_136
	s_branch .LBB2753_131
.LBB2753_137:                           ;   in Loop: Header=BB2753_133 Depth=1
                                        ; implicit-def: $sgpr3
	s_and_b32 s6, exec_lo, s4
	s_delay_alu instid0(SALU_CYCLE_1)
	s_or_b32 s2, s6, s2
	s_wait_xcnt 0x0
	s_and_not1_b32 exec_lo, exec_lo, s2
	s_cbranch_execnz .LBB2753_133
.LBB2753_138:
	s_or_b32 exec_lo, exec_lo, s2
	v_dual_mov_b32 v11, 0 :: v_dual_add_nc_u32 v6, v10, v2
	s_delay_alu instid0(VALU_DEP_1) | instskip(SKIP_4) | instid1(VALU_DEP_1)
	v_or_b32_e32 v6, 0x80000000, v6
	global_store_b32 v[8:9], v6, off scope:SCOPE_DEV
	global_load_b64 v[6:7], v14, s[8:9] scale_offset
	v_sub_nc_u64_e32 v[8:9], v[10:11], v[0:1]
	s_wait_loadcnt 0x0
	v_add_nc_u64_e32 v[6:7], v[8:9], v[6:7]
	ds_store_b64 v3, v[6:7]
.LBB2753_139:
	s_wait_xcnt 0x0
	s_or_b32 exec_lo, exec_lo, s1
	v_dual_add_nc_u32 v6, v62, v5 :: v_dual_sub_nc_u32 v58, 0, v4
	v_mov_b32_e32 v5, 0
	v_add3_u32 v29, v30, v59, v29
	v_add3_u32 v7, v57, v55, v56
	;; [unrolled: 1-line block ×3, first 2 shown]
	v_add_nc_u32_e32 v30, v3, v58
	v_add_nc_u64_e32 v[4:5], s[14:15], v[4:5]
	v_add3_u32 v9, v51, v49, v50
	v_add3_u32 v10, v48, v46, v47
	;; [unrolled: 1-line block ×6, first 2 shown]
	v_add_nc_u64_e32 v[4:5], 0x2000, v[4:5]
	v_add3_u32 v16, v34, v16, v33
	v_add3_u32 v31, v32, v60, v31
	v_mov_b32_e32 v32, v14
	s_mov_b32 s1, 0
	s_mov_b32 s2, -1
	s_branch .LBB2753_141
.LBB2753_140:                           ;   in Loop: Header=BB2753_141 Depth=1
	s_wait_xcnt 0x0
	s_or_b32 exec_lo, exec_lo, s3
	v_add_nc_u64_e32 v[4:5], 0x4000, v[4:5]
	v_add_nc_u32_e32 v32, 0x1000, v32
	s_xor_b32 s2, s2, -1
	s_addk_co_i32 s1, 0xf000
	s_and_b32 vcc_lo, exec_lo, s2
	s_mov_b32 s2, 0
	s_wait_storecnt 0x0
	s_barrier_signal -1
	s_barrier_wait -1
	s_cbranch_vccnz .LBB2753_151
.LBB2753_141:                           ; =>This Inner Loop Header: Depth=1
	v_add_min_u32_e64 v33, v6, s1, 0x1000
	v_add_min_u32_e64 v34, v29, s1, 0x1000
	;; [unrolled: 1-line block ×5, first 2 shown]
	s_delay_alu instid0(VALU_DEP_4)
	v_dual_lshlrev_b32 v33, 2, v33 :: v_dual_lshlrev_b32 v34, 2, v34
	v_add_min_u32_e64 v38, v13, s1, 0x1000
	v_add_min_u32_e64 v39, v12, s1, 0x1000
	s_mov_b32 s3, exec_lo
	ds_store_b32 v33, v17 offset:2048
	ds_store_b32 v34, v18 offset:2048
	v_dual_lshlrev_b32 v33, 2, v35 :: v_dual_lshlrev_b32 v34, 2, v36
	v_dual_lshlrev_b32 v35, 2, v37 :: v_dual_lshlrev_b32 v36, 2, v38
	v_lshlrev_b32_e32 v37, 2, v39
	ds_store_b32 v33, v19 offset:2048
	ds_store_b32 v34, v20 offset:2048
	;; [unrolled: 1-line block ×5, first 2 shown]
	v_add_min_u32_e64 v33, v11, s1, 0x1000
	v_add_min_u32_e64 v34, v10, s1, 0x1000
	;; [unrolled: 1-line block ×5, first 2 shown]
	s_delay_alu instid0(VALU_DEP_4) | instskip(NEXT) | instid1(VALU_DEP_3)
	v_dual_lshlrev_b32 v33, 2, v33 :: v_dual_lshlrev_b32 v34, 2, v34
	v_dual_lshlrev_b32 v35, 2, v35 :: v_dual_lshlrev_b32 v36, 2, v36
	s_delay_alu instid0(VALU_DEP_3)
	v_lshlrev_b32_e32 v37, 2, v37
	ds_store_b32 v33, v24 offset:2048
	ds_store_b32 v34, v25 offset:2048
	;; [unrolled: 1-line block ×5, first 2 shown]
	s_wait_storecnt_dscnt 0x0
	s_barrier_signal -1
	s_barrier_wait -1
	ds_load_2addr_stride64_b32 v[34:35], v30 offset0:8 offset1:16
	s_wait_dscnt 0x0
	v_dual_lshrrev_b32 v33, s16, v35 :: v_dual_lshrrev_b32 v38, s16, v34
	s_delay_alu instid0(VALU_DEP_1) | instskip(NEXT) | instid1(VALU_DEP_1)
	v_and_b32_e32 v38, s5, v38
	v_dual_lshlrev_b32 v38, 3, v38 :: v_dual_bitop2_b32 v33, s5, v33 bitop3:0x40
	s_delay_alu instid0(VALU_DEP_1)
	v_lshlrev_b32_e32 v33, 3, v33
	ds_load_b64 v[36:37], v33
	ds_load_b32 v33, v30 offset:6144
	s_wait_dscnt 0x1
	v_lshl_add_u64 v[36:37], v[36:37], 2, v[4:5]
	s_wait_dscnt 0x0
	v_lshrrev_b32_e32 v39, s16, v33
	s_delay_alu instid0(VALU_DEP_1) | instskip(NEXT) | instid1(VALU_DEP_1)
	v_and_b32_e32 v39, s5, v39
	v_lshlrev_b32_e32 v40, 3, v39
	ds_load_b64 v[38:39], v38
	ds_load_b64 v[40:41], v40
	s_wait_dscnt 0x1
	v_lshl_add_u64 v[38:39], v[38:39], 2, v[4:5]
	s_wait_dscnt 0x0
	v_lshl_add_u64 v[40:41], v[40:41], 2, v[4:5]
	s_clause 0x2
	global_store_b32 v[38:39], v34, off offset:-8192
	global_store_b32 v[36:37], v35, off offset:-6144
	;; [unrolled: 1-line block ×3, first 2 shown]
	s_wait_xcnt 0x0
	v_cmpx_gt_u32_e32 0x1200, v32
	s_cbranch_execz .LBB2753_143
; %bb.142:                              ;   in Loop: Header=BB2753_141 Depth=1
	ds_load_b32 v33, v30 offset:8192
	s_wait_dscnt 0x0
	v_lshrrev_b32_e32 v34, s16, v33
	s_delay_alu instid0(VALU_DEP_1) | instskip(NEXT) | instid1(VALU_DEP_1)
	v_and_b32_e32 v34, s5, v34
	v_lshlrev_b32_e32 v34, 3, v34
	ds_load_b64 v[34:35], v34
	s_wait_dscnt 0x0
	v_lshl_add_u64 v[34:35], v[34:35], 2, v[4:5]
	global_store_b32 v[34:35], v33, off offset:-2048
.LBB2753_143:                           ;   in Loop: Header=BB2753_141 Depth=1
	s_wait_xcnt 0x0
	s_or_b32 exec_lo, exec_lo, s3
	v_add_nc_u32_e32 v33, 0x800, v32
	s_mov_b32 s3, exec_lo
	s_delay_alu instid0(VALU_DEP_1)
	v_cmpx_gt_u32_e32 0x1800, v33
	s_cbranch_execz .LBB2753_145
; %bb.144:                              ;   in Loop: Header=BB2753_141 Depth=1
	ds_load_b32 v33, v30 offset:10240
	s_wait_dscnt 0x0
	v_lshrrev_b32_e32 v34, s16, v33
	s_delay_alu instid0(VALU_DEP_1) | instskip(NEXT) | instid1(VALU_DEP_1)
	v_and_b32_e32 v34, s5, v34
	v_lshlrev_b32_e32 v34, 3, v34
	ds_load_b64 v[34:35], v34
	s_wait_dscnt 0x0
	v_lshl_add_u64 v[34:35], v[34:35], 2, v[4:5]
	global_store_b32 v[34:35], v33, off
.LBB2753_145:                           ;   in Loop: Header=BB2753_141 Depth=1
	s_wait_xcnt 0x0
	s_or_b32 exec_lo, exec_lo, s3
	s_delay_alu instid0(SALU_CYCLE_1)
	s_mov_b32 s3, exec_lo
	v_cmpx_gt_u32_e32 0xe00, v32
	s_cbranch_execz .LBB2753_147
; %bb.146:                              ;   in Loop: Header=BB2753_141 Depth=1
	ds_load_b32 v33, v30 offset:12288
	s_wait_dscnt 0x0
	v_lshrrev_b32_e32 v34, s16, v33
	s_delay_alu instid0(VALU_DEP_1) | instskip(NEXT) | instid1(VALU_DEP_1)
	v_and_b32_e32 v34, s5, v34
	v_lshlrev_b32_e32 v34, 3, v34
	ds_load_b64 v[34:35], v34
	s_wait_dscnt 0x0
	v_lshl_add_u64 v[34:35], v[34:35], 2, v[4:5]
	global_store_b32 v[34:35], v33, off offset:2048
.LBB2753_147:                           ;   in Loop: Header=BB2753_141 Depth=1
	s_wait_xcnt 0x0
	s_or_b32 exec_lo, exec_lo, s3
	v_add_nc_u32_e32 v33, 0xc00, v32
	s_mov_b32 s3, exec_lo
	s_delay_alu instid0(VALU_DEP_1)
	v_cmpx_gt_u32_e32 0x1800, v33
	s_cbranch_execz .LBB2753_149
; %bb.148:                              ;   in Loop: Header=BB2753_141 Depth=1
	ds_load_b32 v33, v30 offset:14336
	s_wait_dscnt 0x0
	v_lshrrev_b32_e32 v34, s16, v33
	s_delay_alu instid0(VALU_DEP_1) | instskip(NEXT) | instid1(VALU_DEP_1)
	v_and_b32_e32 v34, s5, v34
	v_lshlrev_b32_e32 v34, 3, v34
	ds_load_b64 v[34:35], v34
	s_wait_dscnt 0x0
	v_lshl_add_u64 v[34:35], v[34:35], 2, v[4:5]
	global_store_b32 v[34:35], v33, off offset:4096
.LBB2753_149:                           ;   in Loop: Header=BB2753_141 Depth=1
	s_wait_xcnt 0x0
	s_or_b32 exec_lo, exec_lo, s3
	s_delay_alu instid0(SALU_CYCLE_1)
	s_mov_b32 s3, exec_lo
	v_cmpx_gt_u32_e32 0xa00, v32
	s_cbranch_execz .LBB2753_140
; %bb.150:                              ;   in Loop: Header=BB2753_141 Depth=1
	ds_load_b32 v33, v30 offset:16384
	s_wait_dscnt 0x0
	v_lshrrev_b32_e32 v34, s16, v33
	s_delay_alu instid0(VALU_DEP_1) | instskip(NEXT) | instid1(VALU_DEP_1)
	v_and_b32_e32 v34, s5, v34
	v_lshlrev_b32_e32 v34, 3, v34
	ds_load_b64 v[34:35], v34
	s_wait_dscnt 0x0
	v_lshl_add_u64 v[34:35], v[34:35], 2, v[4:5]
	global_store_b32 v[34:35], v33, off offset:6144
	s_branch .LBB2753_140
.LBB2753_151:
	s_add_co_i32 s12, s12, -1
	s_delay_alu instid0(SALU_CYCLE_1) | instskip(SKIP_2) | instid1(SALU_CYCLE_1)
	s_cmp_eq_u32 s19, s12
	s_cselect_b32 s1, -1, 0
	s_xor_b32 s0, s0, -1
	s_and_b32 s0, s0, s1
	s_delay_alu instid0(SALU_CYCLE_1)
	s_and_saveexec_b32 s1, s0
	s_cbranch_execz .LBB2753_153
; %bb.152:
	ds_load_b64 v[4:5], v3
	v_mov_b32_e32 v3, 0
	s_delay_alu instid0(VALU_DEP_1) | instskip(SKIP_1) | instid1(VALU_DEP_1)
	v_add_nc_u64_e32 v[0:1], v[0:1], v[2:3]
	s_wait_dscnt 0x0
	v_add_nc_u64_e32 v[0:1], v[0:1], v[4:5]
	global_store_b64 v14, v[0:1], s[10:11] scale_offset
.LBB2753_153:
	s_sendmsg sendmsg(MSG_DEALLOC_VGPRS)
	s_endpgm
	.section	.rodata,"a",@progbits
	.p2align	6, 0x0
	.amdhsa_kernel _ZN7rocprim17ROCPRIM_400000_NS6detail17trampoline_kernelINS0_14default_configENS1_35radix_sort_onesweep_config_selectorIjNS0_10empty_typeEEEZZNS1_29radix_sort_onesweep_iterationIS3_Lb0EPKjPjPS5_SB_mNS0_19identity_decomposerENS1_16block_id_wrapperIjLb1EEEEE10hipError_tT1_PNSt15iterator_traitsISG_E10value_typeET2_T3_PNSH_ISM_E10value_typeET4_T5_PSR_SS_PNS1_23onesweep_lookback_stateEbbT6_jjT7_P12ihipStream_tbENKUlT_T0_SG_SL_E_clISA_SA_SB_SB_EEDaSZ_S10_SG_SL_EUlSZ_E_NS1_11comp_targetILNS1_3genE0ELNS1_11target_archE4294967295ELNS1_3gpuE0ELNS1_3repE0EEENS1_47radix_sort_onesweep_sort_config_static_selectorELNS0_4arch9wavefront6targetE0EEEvSG_
		.amdhsa_group_segment_fixed_size 18504
		.amdhsa_private_segment_fixed_size 0
		.amdhsa_kernarg_size 344
		.amdhsa_user_sgpr_count 2
		.amdhsa_user_sgpr_dispatch_ptr 0
		.amdhsa_user_sgpr_queue_ptr 0
		.amdhsa_user_sgpr_kernarg_segment_ptr 1
		.amdhsa_user_sgpr_dispatch_id 0
		.amdhsa_user_sgpr_kernarg_preload_length 0
		.amdhsa_user_sgpr_kernarg_preload_offset 0
		.amdhsa_user_sgpr_private_segment_size 0
		.amdhsa_wavefront_size32 1
		.amdhsa_uses_dynamic_stack 0
		.amdhsa_enable_private_segment 0
		.amdhsa_system_sgpr_workgroup_id_x 1
		.amdhsa_system_sgpr_workgroup_id_y 0
		.amdhsa_system_sgpr_workgroup_id_z 0
		.amdhsa_system_sgpr_workgroup_info 0
		.amdhsa_system_vgpr_workitem_id 2
		.amdhsa_next_free_vgpr 65
		.amdhsa_next_free_sgpr 29
		.amdhsa_named_barrier_count 0
		.amdhsa_reserve_vcc 1
		.amdhsa_float_round_mode_32 0
		.amdhsa_float_round_mode_16_64 0
		.amdhsa_float_denorm_mode_32 3
		.amdhsa_float_denorm_mode_16_64 3
		.amdhsa_fp16_overflow 0
		.amdhsa_memory_ordered 1
		.amdhsa_forward_progress 1
		.amdhsa_inst_pref_size 120
		.amdhsa_round_robin_scheduling 0
		.amdhsa_exception_fp_ieee_invalid_op 0
		.amdhsa_exception_fp_denorm_src 0
		.amdhsa_exception_fp_ieee_div_zero 0
		.amdhsa_exception_fp_ieee_overflow 0
		.amdhsa_exception_fp_ieee_underflow 0
		.amdhsa_exception_fp_ieee_inexact 0
		.amdhsa_exception_int_div_zero 0
	.end_amdhsa_kernel
	.section	.text._ZN7rocprim17ROCPRIM_400000_NS6detail17trampoline_kernelINS0_14default_configENS1_35radix_sort_onesweep_config_selectorIjNS0_10empty_typeEEEZZNS1_29radix_sort_onesweep_iterationIS3_Lb0EPKjPjPS5_SB_mNS0_19identity_decomposerENS1_16block_id_wrapperIjLb1EEEEE10hipError_tT1_PNSt15iterator_traitsISG_E10value_typeET2_T3_PNSH_ISM_E10value_typeET4_T5_PSR_SS_PNS1_23onesweep_lookback_stateEbbT6_jjT7_P12ihipStream_tbENKUlT_T0_SG_SL_E_clISA_SA_SB_SB_EEDaSZ_S10_SG_SL_EUlSZ_E_NS1_11comp_targetILNS1_3genE0ELNS1_11target_archE4294967295ELNS1_3gpuE0ELNS1_3repE0EEENS1_47radix_sort_onesweep_sort_config_static_selectorELNS0_4arch9wavefront6targetE0EEEvSG_,"axG",@progbits,_ZN7rocprim17ROCPRIM_400000_NS6detail17trampoline_kernelINS0_14default_configENS1_35radix_sort_onesweep_config_selectorIjNS0_10empty_typeEEEZZNS1_29radix_sort_onesweep_iterationIS3_Lb0EPKjPjPS5_SB_mNS0_19identity_decomposerENS1_16block_id_wrapperIjLb1EEEEE10hipError_tT1_PNSt15iterator_traitsISG_E10value_typeET2_T3_PNSH_ISM_E10value_typeET4_T5_PSR_SS_PNS1_23onesweep_lookback_stateEbbT6_jjT7_P12ihipStream_tbENKUlT_T0_SG_SL_E_clISA_SA_SB_SB_EEDaSZ_S10_SG_SL_EUlSZ_E_NS1_11comp_targetILNS1_3genE0ELNS1_11target_archE4294967295ELNS1_3gpuE0ELNS1_3repE0EEENS1_47radix_sort_onesweep_sort_config_static_selectorELNS0_4arch9wavefront6targetE0EEEvSG_,comdat
.Lfunc_end2753:
	.size	_ZN7rocprim17ROCPRIM_400000_NS6detail17trampoline_kernelINS0_14default_configENS1_35radix_sort_onesweep_config_selectorIjNS0_10empty_typeEEEZZNS1_29radix_sort_onesweep_iterationIS3_Lb0EPKjPjPS5_SB_mNS0_19identity_decomposerENS1_16block_id_wrapperIjLb1EEEEE10hipError_tT1_PNSt15iterator_traitsISG_E10value_typeET2_T3_PNSH_ISM_E10value_typeET4_T5_PSR_SS_PNS1_23onesweep_lookback_stateEbbT6_jjT7_P12ihipStream_tbENKUlT_T0_SG_SL_E_clISA_SA_SB_SB_EEDaSZ_S10_SG_SL_EUlSZ_E_NS1_11comp_targetILNS1_3genE0ELNS1_11target_archE4294967295ELNS1_3gpuE0ELNS1_3repE0EEENS1_47radix_sort_onesweep_sort_config_static_selectorELNS0_4arch9wavefront6targetE0EEEvSG_, .Lfunc_end2753-_ZN7rocprim17ROCPRIM_400000_NS6detail17trampoline_kernelINS0_14default_configENS1_35radix_sort_onesweep_config_selectorIjNS0_10empty_typeEEEZZNS1_29radix_sort_onesweep_iterationIS3_Lb0EPKjPjPS5_SB_mNS0_19identity_decomposerENS1_16block_id_wrapperIjLb1EEEEE10hipError_tT1_PNSt15iterator_traitsISG_E10value_typeET2_T3_PNSH_ISM_E10value_typeET4_T5_PSR_SS_PNS1_23onesweep_lookback_stateEbbT6_jjT7_P12ihipStream_tbENKUlT_T0_SG_SL_E_clISA_SA_SB_SB_EEDaSZ_S10_SG_SL_EUlSZ_E_NS1_11comp_targetILNS1_3genE0ELNS1_11target_archE4294967295ELNS1_3gpuE0ELNS1_3repE0EEENS1_47radix_sort_onesweep_sort_config_static_selectorELNS0_4arch9wavefront6targetE0EEEvSG_
                                        ; -- End function
	.set _ZN7rocprim17ROCPRIM_400000_NS6detail17trampoline_kernelINS0_14default_configENS1_35radix_sort_onesweep_config_selectorIjNS0_10empty_typeEEEZZNS1_29radix_sort_onesweep_iterationIS3_Lb0EPKjPjPS5_SB_mNS0_19identity_decomposerENS1_16block_id_wrapperIjLb1EEEEE10hipError_tT1_PNSt15iterator_traitsISG_E10value_typeET2_T3_PNSH_ISM_E10value_typeET4_T5_PSR_SS_PNS1_23onesweep_lookback_stateEbbT6_jjT7_P12ihipStream_tbENKUlT_T0_SG_SL_E_clISA_SA_SB_SB_EEDaSZ_S10_SG_SL_EUlSZ_E_NS1_11comp_targetILNS1_3genE0ELNS1_11target_archE4294967295ELNS1_3gpuE0ELNS1_3repE0EEENS1_47radix_sort_onesweep_sort_config_static_selectorELNS0_4arch9wavefront6targetE0EEEvSG_.num_vgpr, 65
	.set _ZN7rocprim17ROCPRIM_400000_NS6detail17trampoline_kernelINS0_14default_configENS1_35radix_sort_onesweep_config_selectorIjNS0_10empty_typeEEEZZNS1_29radix_sort_onesweep_iterationIS3_Lb0EPKjPjPS5_SB_mNS0_19identity_decomposerENS1_16block_id_wrapperIjLb1EEEEE10hipError_tT1_PNSt15iterator_traitsISG_E10value_typeET2_T3_PNSH_ISM_E10value_typeET4_T5_PSR_SS_PNS1_23onesweep_lookback_stateEbbT6_jjT7_P12ihipStream_tbENKUlT_T0_SG_SL_E_clISA_SA_SB_SB_EEDaSZ_S10_SG_SL_EUlSZ_E_NS1_11comp_targetILNS1_3genE0ELNS1_11target_archE4294967295ELNS1_3gpuE0ELNS1_3repE0EEENS1_47radix_sort_onesweep_sort_config_static_selectorELNS0_4arch9wavefront6targetE0EEEvSG_.num_agpr, 0
	.set _ZN7rocprim17ROCPRIM_400000_NS6detail17trampoline_kernelINS0_14default_configENS1_35radix_sort_onesweep_config_selectorIjNS0_10empty_typeEEEZZNS1_29radix_sort_onesweep_iterationIS3_Lb0EPKjPjPS5_SB_mNS0_19identity_decomposerENS1_16block_id_wrapperIjLb1EEEEE10hipError_tT1_PNSt15iterator_traitsISG_E10value_typeET2_T3_PNSH_ISM_E10value_typeET4_T5_PSR_SS_PNS1_23onesweep_lookback_stateEbbT6_jjT7_P12ihipStream_tbENKUlT_T0_SG_SL_E_clISA_SA_SB_SB_EEDaSZ_S10_SG_SL_EUlSZ_E_NS1_11comp_targetILNS1_3genE0ELNS1_11target_archE4294967295ELNS1_3gpuE0ELNS1_3repE0EEENS1_47radix_sort_onesweep_sort_config_static_selectorELNS0_4arch9wavefront6targetE0EEEvSG_.numbered_sgpr, 29
	.set _ZN7rocprim17ROCPRIM_400000_NS6detail17trampoline_kernelINS0_14default_configENS1_35radix_sort_onesweep_config_selectorIjNS0_10empty_typeEEEZZNS1_29radix_sort_onesweep_iterationIS3_Lb0EPKjPjPS5_SB_mNS0_19identity_decomposerENS1_16block_id_wrapperIjLb1EEEEE10hipError_tT1_PNSt15iterator_traitsISG_E10value_typeET2_T3_PNSH_ISM_E10value_typeET4_T5_PSR_SS_PNS1_23onesweep_lookback_stateEbbT6_jjT7_P12ihipStream_tbENKUlT_T0_SG_SL_E_clISA_SA_SB_SB_EEDaSZ_S10_SG_SL_EUlSZ_E_NS1_11comp_targetILNS1_3genE0ELNS1_11target_archE4294967295ELNS1_3gpuE0ELNS1_3repE0EEENS1_47radix_sort_onesweep_sort_config_static_selectorELNS0_4arch9wavefront6targetE0EEEvSG_.num_named_barrier, 0
	.set _ZN7rocprim17ROCPRIM_400000_NS6detail17trampoline_kernelINS0_14default_configENS1_35radix_sort_onesweep_config_selectorIjNS0_10empty_typeEEEZZNS1_29radix_sort_onesweep_iterationIS3_Lb0EPKjPjPS5_SB_mNS0_19identity_decomposerENS1_16block_id_wrapperIjLb1EEEEE10hipError_tT1_PNSt15iterator_traitsISG_E10value_typeET2_T3_PNSH_ISM_E10value_typeET4_T5_PSR_SS_PNS1_23onesweep_lookback_stateEbbT6_jjT7_P12ihipStream_tbENKUlT_T0_SG_SL_E_clISA_SA_SB_SB_EEDaSZ_S10_SG_SL_EUlSZ_E_NS1_11comp_targetILNS1_3genE0ELNS1_11target_archE4294967295ELNS1_3gpuE0ELNS1_3repE0EEENS1_47radix_sort_onesweep_sort_config_static_selectorELNS0_4arch9wavefront6targetE0EEEvSG_.private_seg_size, 0
	.set _ZN7rocprim17ROCPRIM_400000_NS6detail17trampoline_kernelINS0_14default_configENS1_35radix_sort_onesweep_config_selectorIjNS0_10empty_typeEEEZZNS1_29radix_sort_onesweep_iterationIS3_Lb0EPKjPjPS5_SB_mNS0_19identity_decomposerENS1_16block_id_wrapperIjLb1EEEEE10hipError_tT1_PNSt15iterator_traitsISG_E10value_typeET2_T3_PNSH_ISM_E10value_typeET4_T5_PSR_SS_PNS1_23onesweep_lookback_stateEbbT6_jjT7_P12ihipStream_tbENKUlT_T0_SG_SL_E_clISA_SA_SB_SB_EEDaSZ_S10_SG_SL_EUlSZ_E_NS1_11comp_targetILNS1_3genE0ELNS1_11target_archE4294967295ELNS1_3gpuE0ELNS1_3repE0EEENS1_47radix_sort_onesweep_sort_config_static_selectorELNS0_4arch9wavefront6targetE0EEEvSG_.uses_vcc, 1
	.set _ZN7rocprim17ROCPRIM_400000_NS6detail17trampoline_kernelINS0_14default_configENS1_35radix_sort_onesweep_config_selectorIjNS0_10empty_typeEEEZZNS1_29radix_sort_onesweep_iterationIS3_Lb0EPKjPjPS5_SB_mNS0_19identity_decomposerENS1_16block_id_wrapperIjLb1EEEEE10hipError_tT1_PNSt15iterator_traitsISG_E10value_typeET2_T3_PNSH_ISM_E10value_typeET4_T5_PSR_SS_PNS1_23onesweep_lookback_stateEbbT6_jjT7_P12ihipStream_tbENKUlT_T0_SG_SL_E_clISA_SA_SB_SB_EEDaSZ_S10_SG_SL_EUlSZ_E_NS1_11comp_targetILNS1_3genE0ELNS1_11target_archE4294967295ELNS1_3gpuE0ELNS1_3repE0EEENS1_47radix_sort_onesweep_sort_config_static_selectorELNS0_4arch9wavefront6targetE0EEEvSG_.uses_flat_scratch, 0
	.set _ZN7rocprim17ROCPRIM_400000_NS6detail17trampoline_kernelINS0_14default_configENS1_35radix_sort_onesweep_config_selectorIjNS0_10empty_typeEEEZZNS1_29radix_sort_onesweep_iterationIS3_Lb0EPKjPjPS5_SB_mNS0_19identity_decomposerENS1_16block_id_wrapperIjLb1EEEEE10hipError_tT1_PNSt15iterator_traitsISG_E10value_typeET2_T3_PNSH_ISM_E10value_typeET4_T5_PSR_SS_PNS1_23onesweep_lookback_stateEbbT6_jjT7_P12ihipStream_tbENKUlT_T0_SG_SL_E_clISA_SA_SB_SB_EEDaSZ_S10_SG_SL_EUlSZ_E_NS1_11comp_targetILNS1_3genE0ELNS1_11target_archE4294967295ELNS1_3gpuE0ELNS1_3repE0EEENS1_47radix_sort_onesweep_sort_config_static_selectorELNS0_4arch9wavefront6targetE0EEEvSG_.has_dyn_sized_stack, 0
	.set _ZN7rocprim17ROCPRIM_400000_NS6detail17trampoline_kernelINS0_14default_configENS1_35radix_sort_onesweep_config_selectorIjNS0_10empty_typeEEEZZNS1_29radix_sort_onesweep_iterationIS3_Lb0EPKjPjPS5_SB_mNS0_19identity_decomposerENS1_16block_id_wrapperIjLb1EEEEE10hipError_tT1_PNSt15iterator_traitsISG_E10value_typeET2_T3_PNSH_ISM_E10value_typeET4_T5_PSR_SS_PNS1_23onesweep_lookback_stateEbbT6_jjT7_P12ihipStream_tbENKUlT_T0_SG_SL_E_clISA_SA_SB_SB_EEDaSZ_S10_SG_SL_EUlSZ_E_NS1_11comp_targetILNS1_3genE0ELNS1_11target_archE4294967295ELNS1_3gpuE0ELNS1_3repE0EEENS1_47radix_sort_onesweep_sort_config_static_selectorELNS0_4arch9wavefront6targetE0EEEvSG_.has_recursion, 0
	.set _ZN7rocprim17ROCPRIM_400000_NS6detail17trampoline_kernelINS0_14default_configENS1_35radix_sort_onesweep_config_selectorIjNS0_10empty_typeEEEZZNS1_29radix_sort_onesweep_iterationIS3_Lb0EPKjPjPS5_SB_mNS0_19identity_decomposerENS1_16block_id_wrapperIjLb1EEEEE10hipError_tT1_PNSt15iterator_traitsISG_E10value_typeET2_T3_PNSH_ISM_E10value_typeET4_T5_PSR_SS_PNS1_23onesweep_lookback_stateEbbT6_jjT7_P12ihipStream_tbENKUlT_T0_SG_SL_E_clISA_SA_SB_SB_EEDaSZ_S10_SG_SL_EUlSZ_E_NS1_11comp_targetILNS1_3genE0ELNS1_11target_archE4294967295ELNS1_3gpuE0ELNS1_3repE0EEENS1_47radix_sort_onesweep_sort_config_static_selectorELNS0_4arch9wavefront6targetE0EEEvSG_.has_indirect_call, 0
	.section	.AMDGPU.csdata,"",@progbits
; Kernel info:
; codeLenInByte = 15328
; TotalNumSgprs: 31
; NumVgprs: 65
; ScratchSize: 0
; MemoryBound: 0
; FloatMode: 240
; IeeeMode: 1
; LDSByteSize: 18504 bytes/workgroup (compile time only)
; SGPRBlocks: 0
; VGPRBlocks: 4
; NumSGPRsForWavesPerEU: 31
; NumVGPRsForWavesPerEU: 65
; NamedBarCnt: 0
; Occupancy: 12
; WaveLimiterHint : 1
; COMPUTE_PGM_RSRC2:SCRATCH_EN: 0
; COMPUTE_PGM_RSRC2:USER_SGPR: 2
; COMPUTE_PGM_RSRC2:TRAP_HANDLER: 0
; COMPUTE_PGM_RSRC2:TGID_X_EN: 1
; COMPUTE_PGM_RSRC2:TGID_Y_EN: 0
; COMPUTE_PGM_RSRC2:TGID_Z_EN: 0
; COMPUTE_PGM_RSRC2:TIDIG_COMP_CNT: 2
	.section	.text._ZN7rocprim17ROCPRIM_400000_NS6detail17trampoline_kernelINS0_14default_configENS1_35radix_sort_onesweep_config_selectorIjNS0_10empty_typeEEEZZNS1_29radix_sort_onesweep_iterationIS3_Lb0EPKjPjPS5_SB_mNS0_19identity_decomposerENS1_16block_id_wrapperIjLb1EEEEE10hipError_tT1_PNSt15iterator_traitsISG_E10value_typeET2_T3_PNSH_ISM_E10value_typeET4_T5_PSR_SS_PNS1_23onesweep_lookback_stateEbbT6_jjT7_P12ihipStream_tbENKUlT_T0_SG_SL_E_clISA_SA_SB_SB_EEDaSZ_S10_SG_SL_EUlSZ_E_NS1_11comp_targetILNS1_3genE6ELNS1_11target_archE950ELNS1_3gpuE13ELNS1_3repE0EEENS1_47radix_sort_onesweep_sort_config_static_selectorELNS0_4arch9wavefront6targetE0EEEvSG_,"axG",@progbits,_ZN7rocprim17ROCPRIM_400000_NS6detail17trampoline_kernelINS0_14default_configENS1_35radix_sort_onesweep_config_selectorIjNS0_10empty_typeEEEZZNS1_29radix_sort_onesweep_iterationIS3_Lb0EPKjPjPS5_SB_mNS0_19identity_decomposerENS1_16block_id_wrapperIjLb1EEEEE10hipError_tT1_PNSt15iterator_traitsISG_E10value_typeET2_T3_PNSH_ISM_E10value_typeET4_T5_PSR_SS_PNS1_23onesweep_lookback_stateEbbT6_jjT7_P12ihipStream_tbENKUlT_T0_SG_SL_E_clISA_SA_SB_SB_EEDaSZ_S10_SG_SL_EUlSZ_E_NS1_11comp_targetILNS1_3genE6ELNS1_11target_archE950ELNS1_3gpuE13ELNS1_3repE0EEENS1_47radix_sort_onesweep_sort_config_static_selectorELNS0_4arch9wavefront6targetE0EEEvSG_,comdat
	.protected	_ZN7rocprim17ROCPRIM_400000_NS6detail17trampoline_kernelINS0_14default_configENS1_35radix_sort_onesweep_config_selectorIjNS0_10empty_typeEEEZZNS1_29radix_sort_onesweep_iterationIS3_Lb0EPKjPjPS5_SB_mNS0_19identity_decomposerENS1_16block_id_wrapperIjLb1EEEEE10hipError_tT1_PNSt15iterator_traitsISG_E10value_typeET2_T3_PNSH_ISM_E10value_typeET4_T5_PSR_SS_PNS1_23onesweep_lookback_stateEbbT6_jjT7_P12ihipStream_tbENKUlT_T0_SG_SL_E_clISA_SA_SB_SB_EEDaSZ_S10_SG_SL_EUlSZ_E_NS1_11comp_targetILNS1_3genE6ELNS1_11target_archE950ELNS1_3gpuE13ELNS1_3repE0EEENS1_47radix_sort_onesweep_sort_config_static_selectorELNS0_4arch9wavefront6targetE0EEEvSG_ ; -- Begin function _ZN7rocprim17ROCPRIM_400000_NS6detail17trampoline_kernelINS0_14default_configENS1_35radix_sort_onesweep_config_selectorIjNS0_10empty_typeEEEZZNS1_29radix_sort_onesweep_iterationIS3_Lb0EPKjPjPS5_SB_mNS0_19identity_decomposerENS1_16block_id_wrapperIjLb1EEEEE10hipError_tT1_PNSt15iterator_traitsISG_E10value_typeET2_T3_PNSH_ISM_E10value_typeET4_T5_PSR_SS_PNS1_23onesweep_lookback_stateEbbT6_jjT7_P12ihipStream_tbENKUlT_T0_SG_SL_E_clISA_SA_SB_SB_EEDaSZ_S10_SG_SL_EUlSZ_E_NS1_11comp_targetILNS1_3genE6ELNS1_11target_archE950ELNS1_3gpuE13ELNS1_3repE0EEENS1_47radix_sort_onesweep_sort_config_static_selectorELNS0_4arch9wavefront6targetE0EEEvSG_
	.globl	_ZN7rocprim17ROCPRIM_400000_NS6detail17trampoline_kernelINS0_14default_configENS1_35radix_sort_onesweep_config_selectorIjNS0_10empty_typeEEEZZNS1_29radix_sort_onesweep_iterationIS3_Lb0EPKjPjPS5_SB_mNS0_19identity_decomposerENS1_16block_id_wrapperIjLb1EEEEE10hipError_tT1_PNSt15iterator_traitsISG_E10value_typeET2_T3_PNSH_ISM_E10value_typeET4_T5_PSR_SS_PNS1_23onesweep_lookback_stateEbbT6_jjT7_P12ihipStream_tbENKUlT_T0_SG_SL_E_clISA_SA_SB_SB_EEDaSZ_S10_SG_SL_EUlSZ_E_NS1_11comp_targetILNS1_3genE6ELNS1_11target_archE950ELNS1_3gpuE13ELNS1_3repE0EEENS1_47radix_sort_onesweep_sort_config_static_selectorELNS0_4arch9wavefront6targetE0EEEvSG_
	.p2align	8
	.type	_ZN7rocprim17ROCPRIM_400000_NS6detail17trampoline_kernelINS0_14default_configENS1_35radix_sort_onesweep_config_selectorIjNS0_10empty_typeEEEZZNS1_29radix_sort_onesweep_iterationIS3_Lb0EPKjPjPS5_SB_mNS0_19identity_decomposerENS1_16block_id_wrapperIjLb1EEEEE10hipError_tT1_PNSt15iterator_traitsISG_E10value_typeET2_T3_PNSH_ISM_E10value_typeET4_T5_PSR_SS_PNS1_23onesweep_lookback_stateEbbT6_jjT7_P12ihipStream_tbENKUlT_T0_SG_SL_E_clISA_SA_SB_SB_EEDaSZ_S10_SG_SL_EUlSZ_E_NS1_11comp_targetILNS1_3genE6ELNS1_11target_archE950ELNS1_3gpuE13ELNS1_3repE0EEENS1_47radix_sort_onesweep_sort_config_static_selectorELNS0_4arch9wavefront6targetE0EEEvSG_,@function
_ZN7rocprim17ROCPRIM_400000_NS6detail17trampoline_kernelINS0_14default_configENS1_35radix_sort_onesweep_config_selectorIjNS0_10empty_typeEEEZZNS1_29radix_sort_onesweep_iterationIS3_Lb0EPKjPjPS5_SB_mNS0_19identity_decomposerENS1_16block_id_wrapperIjLb1EEEEE10hipError_tT1_PNSt15iterator_traitsISG_E10value_typeET2_T3_PNSH_ISM_E10value_typeET4_T5_PSR_SS_PNS1_23onesweep_lookback_stateEbbT6_jjT7_P12ihipStream_tbENKUlT_T0_SG_SL_E_clISA_SA_SB_SB_EEDaSZ_S10_SG_SL_EUlSZ_E_NS1_11comp_targetILNS1_3genE6ELNS1_11target_archE950ELNS1_3gpuE13ELNS1_3repE0EEENS1_47radix_sort_onesweep_sort_config_static_selectorELNS0_4arch9wavefront6targetE0EEEvSG_: ; @_ZN7rocprim17ROCPRIM_400000_NS6detail17trampoline_kernelINS0_14default_configENS1_35radix_sort_onesweep_config_selectorIjNS0_10empty_typeEEEZZNS1_29radix_sort_onesweep_iterationIS3_Lb0EPKjPjPS5_SB_mNS0_19identity_decomposerENS1_16block_id_wrapperIjLb1EEEEE10hipError_tT1_PNSt15iterator_traitsISG_E10value_typeET2_T3_PNSH_ISM_E10value_typeET4_T5_PSR_SS_PNS1_23onesweep_lookback_stateEbbT6_jjT7_P12ihipStream_tbENKUlT_T0_SG_SL_E_clISA_SA_SB_SB_EEDaSZ_S10_SG_SL_EUlSZ_E_NS1_11comp_targetILNS1_3genE6ELNS1_11target_archE950ELNS1_3gpuE13ELNS1_3repE0EEENS1_47radix_sort_onesweep_sort_config_static_selectorELNS0_4arch9wavefront6targetE0EEEvSG_
; %bb.0:
	.section	.rodata,"a",@progbits
	.p2align	6, 0x0
	.amdhsa_kernel _ZN7rocprim17ROCPRIM_400000_NS6detail17trampoline_kernelINS0_14default_configENS1_35radix_sort_onesweep_config_selectorIjNS0_10empty_typeEEEZZNS1_29radix_sort_onesweep_iterationIS3_Lb0EPKjPjPS5_SB_mNS0_19identity_decomposerENS1_16block_id_wrapperIjLb1EEEEE10hipError_tT1_PNSt15iterator_traitsISG_E10value_typeET2_T3_PNSH_ISM_E10value_typeET4_T5_PSR_SS_PNS1_23onesweep_lookback_stateEbbT6_jjT7_P12ihipStream_tbENKUlT_T0_SG_SL_E_clISA_SA_SB_SB_EEDaSZ_S10_SG_SL_EUlSZ_E_NS1_11comp_targetILNS1_3genE6ELNS1_11target_archE950ELNS1_3gpuE13ELNS1_3repE0EEENS1_47radix_sort_onesweep_sort_config_static_selectorELNS0_4arch9wavefront6targetE0EEEvSG_
		.amdhsa_group_segment_fixed_size 0
		.amdhsa_private_segment_fixed_size 0
		.amdhsa_kernarg_size 88
		.amdhsa_user_sgpr_count 2
		.amdhsa_user_sgpr_dispatch_ptr 0
		.amdhsa_user_sgpr_queue_ptr 0
		.amdhsa_user_sgpr_kernarg_segment_ptr 1
		.amdhsa_user_sgpr_dispatch_id 0
		.amdhsa_user_sgpr_kernarg_preload_length 0
		.amdhsa_user_sgpr_kernarg_preload_offset 0
		.amdhsa_user_sgpr_private_segment_size 0
		.amdhsa_wavefront_size32 1
		.amdhsa_uses_dynamic_stack 0
		.amdhsa_enable_private_segment 0
		.amdhsa_system_sgpr_workgroup_id_x 1
		.amdhsa_system_sgpr_workgroup_id_y 0
		.amdhsa_system_sgpr_workgroup_id_z 0
		.amdhsa_system_sgpr_workgroup_info 0
		.amdhsa_system_vgpr_workitem_id 0
		.amdhsa_next_free_vgpr 1
		.amdhsa_next_free_sgpr 1
		.amdhsa_named_barrier_count 0
		.amdhsa_reserve_vcc 0
		.amdhsa_float_round_mode_32 0
		.amdhsa_float_round_mode_16_64 0
		.amdhsa_float_denorm_mode_32 3
		.amdhsa_float_denorm_mode_16_64 3
		.amdhsa_fp16_overflow 0
		.amdhsa_memory_ordered 1
		.amdhsa_forward_progress 1
		.amdhsa_inst_pref_size 0
		.amdhsa_round_robin_scheduling 0
		.amdhsa_exception_fp_ieee_invalid_op 0
		.amdhsa_exception_fp_denorm_src 0
		.amdhsa_exception_fp_ieee_div_zero 0
		.amdhsa_exception_fp_ieee_overflow 0
		.amdhsa_exception_fp_ieee_underflow 0
		.amdhsa_exception_fp_ieee_inexact 0
		.amdhsa_exception_int_div_zero 0
	.end_amdhsa_kernel
	.section	.text._ZN7rocprim17ROCPRIM_400000_NS6detail17trampoline_kernelINS0_14default_configENS1_35radix_sort_onesweep_config_selectorIjNS0_10empty_typeEEEZZNS1_29radix_sort_onesweep_iterationIS3_Lb0EPKjPjPS5_SB_mNS0_19identity_decomposerENS1_16block_id_wrapperIjLb1EEEEE10hipError_tT1_PNSt15iterator_traitsISG_E10value_typeET2_T3_PNSH_ISM_E10value_typeET4_T5_PSR_SS_PNS1_23onesweep_lookback_stateEbbT6_jjT7_P12ihipStream_tbENKUlT_T0_SG_SL_E_clISA_SA_SB_SB_EEDaSZ_S10_SG_SL_EUlSZ_E_NS1_11comp_targetILNS1_3genE6ELNS1_11target_archE950ELNS1_3gpuE13ELNS1_3repE0EEENS1_47radix_sort_onesweep_sort_config_static_selectorELNS0_4arch9wavefront6targetE0EEEvSG_,"axG",@progbits,_ZN7rocprim17ROCPRIM_400000_NS6detail17trampoline_kernelINS0_14default_configENS1_35radix_sort_onesweep_config_selectorIjNS0_10empty_typeEEEZZNS1_29radix_sort_onesweep_iterationIS3_Lb0EPKjPjPS5_SB_mNS0_19identity_decomposerENS1_16block_id_wrapperIjLb1EEEEE10hipError_tT1_PNSt15iterator_traitsISG_E10value_typeET2_T3_PNSH_ISM_E10value_typeET4_T5_PSR_SS_PNS1_23onesweep_lookback_stateEbbT6_jjT7_P12ihipStream_tbENKUlT_T0_SG_SL_E_clISA_SA_SB_SB_EEDaSZ_S10_SG_SL_EUlSZ_E_NS1_11comp_targetILNS1_3genE6ELNS1_11target_archE950ELNS1_3gpuE13ELNS1_3repE0EEENS1_47radix_sort_onesweep_sort_config_static_selectorELNS0_4arch9wavefront6targetE0EEEvSG_,comdat
.Lfunc_end2754:
	.size	_ZN7rocprim17ROCPRIM_400000_NS6detail17trampoline_kernelINS0_14default_configENS1_35radix_sort_onesweep_config_selectorIjNS0_10empty_typeEEEZZNS1_29radix_sort_onesweep_iterationIS3_Lb0EPKjPjPS5_SB_mNS0_19identity_decomposerENS1_16block_id_wrapperIjLb1EEEEE10hipError_tT1_PNSt15iterator_traitsISG_E10value_typeET2_T3_PNSH_ISM_E10value_typeET4_T5_PSR_SS_PNS1_23onesweep_lookback_stateEbbT6_jjT7_P12ihipStream_tbENKUlT_T0_SG_SL_E_clISA_SA_SB_SB_EEDaSZ_S10_SG_SL_EUlSZ_E_NS1_11comp_targetILNS1_3genE6ELNS1_11target_archE950ELNS1_3gpuE13ELNS1_3repE0EEENS1_47radix_sort_onesweep_sort_config_static_selectorELNS0_4arch9wavefront6targetE0EEEvSG_, .Lfunc_end2754-_ZN7rocprim17ROCPRIM_400000_NS6detail17trampoline_kernelINS0_14default_configENS1_35radix_sort_onesweep_config_selectorIjNS0_10empty_typeEEEZZNS1_29radix_sort_onesweep_iterationIS3_Lb0EPKjPjPS5_SB_mNS0_19identity_decomposerENS1_16block_id_wrapperIjLb1EEEEE10hipError_tT1_PNSt15iterator_traitsISG_E10value_typeET2_T3_PNSH_ISM_E10value_typeET4_T5_PSR_SS_PNS1_23onesweep_lookback_stateEbbT6_jjT7_P12ihipStream_tbENKUlT_T0_SG_SL_E_clISA_SA_SB_SB_EEDaSZ_S10_SG_SL_EUlSZ_E_NS1_11comp_targetILNS1_3genE6ELNS1_11target_archE950ELNS1_3gpuE13ELNS1_3repE0EEENS1_47radix_sort_onesweep_sort_config_static_selectorELNS0_4arch9wavefront6targetE0EEEvSG_
                                        ; -- End function
	.set _ZN7rocprim17ROCPRIM_400000_NS6detail17trampoline_kernelINS0_14default_configENS1_35radix_sort_onesweep_config_selectorIjNS0_10empty_typeEEEZZNS1_29radix_sort_onesweep_iterationIS3_Lb0EPKjPjPS5_SB_mNS0_19identity_decomposerENS1_16block_id_wrapperIjLb1EEEEE10hipError_tT1_PNSt15iterator_traitsISG_E10value_typeET2_T3_PNSH_ISM_E10value_typeET4_T5_PSR_SS_PNS1_23onesweep_lookback_stateEbbT6_jjT7_P12ihipStream_tbENKUlT_T0_SG_SL_E_clISA_SA_SB_SB_EEDaSZ_S10_SG_SL_EUlSZ_E_NS1_11comp_targetILNS1_3genE6ELNS1_11target_archE950ELNS1_3gpuE13ELNS1_3repE0EEENS1_47radix_sort_onesweep_sort_config_static_selectorELNS0_4arch9wavefront6targetE0EEEvSG_.num_vgpr, 0
	.set _ZN7rocprim17ROCPRIM_400000_NS6detail17trampoline_kernelINS0_14default_configENS1_35radix_sort_onesweep_config_selectorIjNS0_10empty_typeEEEZZNS1_29radix_sort_onesweep_iterationIS3_Lb0EPKjPjPS5_SB_mNS0_19identity_decomposerENS1_16block_id_wrapperIjLb1EEEEE10hipError_tT1_PNSt15iterator_traitsISG_E10value_typeET2_T3_PNSH_ISM_E10value_typeET4_T5_PSR_SS_PNS1_23onesweep_lookback_stateEbbT6_jjT7_P12ihipStream_tbENKUlT_T0_SG_SL_E_clISA_SA_SB_SB_EEDaSZ_S10_SG_SL_EUlSZ_E_NS1_11comp_targetILNS1_3genE6ELNS1_11target_archE950ELNS1_3gpuE13ELNS1_3repE0EEENS1_47radix_sort_onesweep_sort_config_static_selectorELNS0_4arch9wavefront6targetE0EEEvSG_.num_agpr, 0
	.set _ZN7rocprim17ROCPRIM_400000_NS6detail17trampoline_kernelINS0_14default_configENS1_35radix_sort_onesweep_config_selectorIjNS0_10empty_typeEEEZZNS1_29radix_sort_onesweep_iterationIS3_Lb0EPKjPjPS5_SB_mNS0_19identity_decomposerENS1_16block_id_wrapperIjLb1EEEEE10hipError_tT1_PNSt15iterator_traitsISG_E10value_typeET2_T3_PNSH_ISM_E10value_typeET4_T5_PSR_SS_PNS1_23onesweep_lookback_stateEbbT6_jjT7_P12ihipStream_tbENKUlT_T0_SG_SL_E_clISA_SA_SB_SB_EEDaSZ_S10_SG_SL_EUlSZ_E_NS1_11comp_targetILNS1_3genE6ELNS1_11target_archE950ELNS1_3gpuE13ELNS1_3repE0EEENS1_47radix_sort_onesweep_sort_config_static_selectorELNS0_4arch9wavefront6targetE0EEEvSG_.numbered_sgpr, 0
	.set _ZN7rocprim17ROCPRIM_400000_NS6detail17trampoline_kernelINS0_14default_configENS1_35radix_sort_onesweep_config_selectorIjNS0_10empty_typeEEEZZNS1_29radix_sort_onesweep_iterationIS3_Lb0EPKjPjPS5_SB_mNS0_19identity_decomposerENS1_16block_id_wrapperIjLb1EEEEE10hipError_tT1_PNSt15iterator_traitsISG_E10value_typeET2_T3_PNSH_ISM_E10value_typeET4_T5_PSR_SS_PNS1_23onesweep_lookback_stateEbbT6_jjT7_P12ihipStream_tbENKUlT_T0_SG_SL_E_clISA_SA_SB_SB_EEDaSZ_S10_SG_SL_EUlSZ_E_NS1_11comp_targetILNS1_3genE6ELNS1_11target_archE950ELNS1_3gpuE13ELNS1_3repE0EEENS1_47radix_sort_onesweep_sort_config_static_selectorELNS0_4arch9wavefront6targetE0EEEvSG_.num_named_barrier, 0
	.set _ZN7rocprim17ROCPRIM_400000_NS6detail17trampoline_kernelINS0_14default_configENS1_35radix_sort_onesweep_config_selectorIjNS0_10empty_typeEEEZZNS1_29radix_sort_onesweep_iterationIS3_Lb0EPKjPjPS5_SB_mNS0_19identity_decomposerENS1_16block_id_wrapperIjLb1EEEEE10hipError_tT1_PNSt15iterator_traitsISG_E10value_typeET2_T3_PNSH_ISM_E10value_typeET4_T5_PSR_SS_PNS1_23onesweep_lookback_stateEbbT6_jjT7_P12ihipStream_tbENKUlT_T0_SG_SL_E_clISA_SA_SB_SB_EEDaSZ_S10_SG_SL_EUlSZ_E_NS1_11comp_targetILNS1_3genE6ELNS1_11target_archE950ELNS1_3gpuE13ELNS1_3repE0EEENS1_47radix_sort_onesweep_sort_config_static_selectorELNS0_4arch9wavefront6targetE0EEEvSG_.private_seg_size, 0
	.set _ZN7rocprim17ROCPRIM_400000_NS6detail17trampoline_kernelINS0_14default_configENS1_35radix_sort_onesweep_config_selectorIjNS0_10empty_typeEEEZZNS1_29radix_sort_onesweep_iterationIS3_Lb0EPKjPjPS5_SB_mNS0_19identity_decomposerENS1_16block_id_wrapperIjLb1EEEEE10hipError_tT1_PNSt15iterator_traitsISG_E10value_typeET2_T3_PNSH_ISM_E10value_typeET4_T5_PSR_SS_PNS1_23onesweep_lookback_stateEbbT6_jjT7_P12ihipStream_tbENKUlT_T0_SG_SL_E_clISA_SA_SB_SB_EEDaSZ_S10_SG_SL_EUlSZ_E_NS1_11comp_targetILNS1_3genE6ELNS1_11target_archE950ELNS1_3gpuE13ELNS1_3repE0EEENS1_47radix_sort_onesweep_sort_config_static_selectorELNS0_4arch9wavefront6targetE0EEEvSG_.uses_vcc, 0
	.set _ZN7rocprim17ROCPRIM_400000_NS6detail17trampoline_kernelINS0_14default_configENS1_35radix_sort_onesweep_config_selectorIjNS0_10empty_typeEEEZZNS1_29radix_sort_onesweep_iterationIS3_Lb0EPKjPjPS5_SB_mNS0_19identity_decomposerENS1_16block_id_wrapperIjLb1EEEEE10hipError_tT1_PNSt15iterator_traitsISG_E10value_typeET2_T3_PNSH_ISM_E10value_typeET4_T5_PSR_SS_PNS1_23onesweep_lookback_stateEbbT6_jjT7_P12ihipStream_tbENKUlT_T0_SG_SL_E_clISA_SA_SB_SB_EEDaSZ_S10_SG_SL_EUlSZ_E_NS1_11comp_targetILNS1_3genE6ELNS1_11target_archE950ELNS1_3gpuE13ELNS1_3repE0EEENS1_47radix_sort_onesweep_sort_config_static_selectorELNS0_4arch9wavefront6targetE0EEEvSG_.uses_flat_scratch, 0
	.set _ZN7rocprim17ROCPRIM_400000_NS6detail17trampoline_kernelINS0_14default_configENS1_35radix_sort_onesweep_config_selectorIjNS0_10empty_typeEEEZZNS1_29radix_sort_onesweep_iterationIS3_Lb0EPKjPjPS5_SB_mNS0_19identity_decomposerENS1_16block_id_wrapperIjLb1EEEEE10hipError_tT1_PNSt15iterator_traitsISG_E10value_typeET2_T3_PNSH_ISM_E10value_typeET4_T5_PSR_SS_PNS1_23onesweep_lookback_stateEbbT6_jjT7_P12ihipStream_tbENKUlT_T0_SG_SL_E_clISA_SA_SB_SB_EEDaSZ_S10_SG_SL_EUlSZ_E_NS1_11comp_targetILNS1_3genE6ELNS1_11target_archE950ELNS1_3gpuE13ELNS1_3repE0EEENS1_47radix_sort_onesweep_sort_config_static_selectorELNS0_4arch9wavefront6targetE0EEEvSG_.has_dyn_sized_stack, 0
	.set _ZN7rocprim17ROCPRIM_400000_NS6detail17trampoline_kernelINS0_14default_configENS1_35radix_sort_onesweep_config_selectorIjNS0_10empty_typeEEEZZNS1_29radix_sort_onesweep_iterationIS3_Lb0EPKjPjPS5_SB_mNS0_19identity_decomposerENS1_16block_id_wrapperIjLb1EEEEE10hipError_tT1_PNSt15iterator_traitsISG_E10value_typeET2_T3_PNSH_ISM_E10value_typeET4_T5_PSR_SS_PNS1_23onesweep_lookback_stateEbbT6_jjT7_P12ihipStream_tbENKUlT_T0_SG_SL_E_clISA_SA_SB_SB_EEDaSZ_S10_SG_SL_EUlSZ_E_NS1_11comp_targetILNS1_3genE6ELNS1_11target_archE950ELNS1_3gpuE13ELNS1_3repE0EEENS1_47radix_sort_onesweep_sort_config_static_selectorELNS0_4arch9wavefront6targetE0EEEvSG_.has_recursion, 0
	.set _ZN7rocprim17ROCPRIM_400000_NS6detail17trampoline_kernelINS0_14default_configENS1_35radix_sort_onesweep_config_selectorIjNS0_10empty_typeEEEZZNS1_29radix_sort_onesweep_iterationIS3_Lb0EPKjPjPS5_SB_mNS0_19identity_decomposerENS1_16block_id_wrapperIjLb1EEEEE10hipError_tT1_PNSt15iterator_traitsISG_E10value_typeET2_T3_PNSH_ISM_E10value_typeET4_T5_PSR_SS_PNS1_23onesweep_lookback_stateEbbT6_jjT7_P12ihipStream_tbENKUlT_T0_SG_SL_E_clISA_SA_SB_SB_EEDaSZ_S10_SG_SL_EUlSZ_E_NS1_11comp_targetILNS1_3genE6ELNS1_11target_archE950ELNS1_3gpuE13ELNS1_3repE0EEENS1_47radix_sort_onesweep_sort_config_static_selectorELNS0_4arch9wavefront6targetE0EEEvSG_.has_indirect_call, 0
	.section	.AMDGPU.csdata,"",@progbits
; Kernel info:
; codeLenInByte = 0
; TotalNumSgprs: 0
; NumVgprs: 0
; ScratchSize: 0
; MemoryBound: 0
; FloatMode: 240
; IeeeMode: 1
; LDSByteSize: 0 bytes/workgroup (compile time only)
; SGPRBlocks: 0
; VGPRBlocks: 0
; NumSGPRsForWavesPerEU: 1
; NumVGPRsForWavesPerEU: 1
; NamedBarCnt: 0
; Occupancy: 16
; WaveLimiterHint : 0
; COMPUTE_PGM_RSRC2:SCRATCH_EN: 0
; COMPUTE_PGM_RSRC2:USER_SGPR: 2
; COMPUTE_PGM_RSRC2:TRAP_HANDLER: 0
; COMPUTE_PGM_RSRC2:TGID_X_EN: 1
; COMPUTE_PGM_RSRC2:TGID_Y_EN: 0
; COMPUTE_PGM_RSRC2:TGID_Z_EN: 0
; COMPUTE_PGM_RSRC2:TIDIG_COMP_CNT: 0
	.section	.text._ZN7rocprim17ROCPRIM_400000_NS6detail17trampoline_kernelINS0_14default_configENS1_35radix_sort_onesweep_config_selectorIjNS0_10empty_typeEEEZZNS1_29radix_sort_onesweep_iterationIS3_Lb0EPKjPjPS5_SB_mNS0_19identity_decomposerENS1_16block_id_wrapperIjLb1EEEEE10hipError_tT1_PNSt15iterator_traitsISG_E10value_typeET2_T3_PNSH_ISM_E10value_typeET4_T5_PSR_SS_PNS1_23onesweep_lookback_stateEbbT6_jjT7_P12ihipStream_tbENKUlT_T0_SG_SL_E_clISA_SA_SB_SB_EEDaSZ_S10_SG_SL_EUlSZ_E_NS1_11comp_targetILNS1_3genE5ELNS1_11target_archE942ELNS1_3gpuE9ELNS1_3repE0EEENS1_47radix_sort_onesweep_sort_config_static_selectorELNS0_4arch9wavefront6targetE0EEEvSG_,"axG",@progbits,_ZN7rocprim17ROCPRIM_400000_NS6detail17trampoline_kernelINS0_14default_configENS1_35radix_sort_onesweep_config_selectorIjNS0_10empty_typeEEEZZNS1_29radix_sort_onesweep_iterationIS3_Lb0EPKjPjPS5_SB_mNS0_19identity_decomposerENS1_16block_id_wrapperIjLb1EEEEE10hipError_tT1_PNSt15iterator_traitsISG_E10value_typeET2_T3_PNSH_ISM_E10value_typeET4_T5_PSR_SS_PNS1_23onesweep_lookback_stateEbbT6_jjT7_P12ihipStream_tbENKUlT_T0_SG_SL_E_clISA_SA_SB_SB_EEDaSZ_S10_SG_SL_EUlSZ_E_NS1_11comp_targetILNS1_3genE5ELNS1_11target_archE942ELNS1_3gpuE9ELNS1_3repE0EEENS1_47radix_sort_onesweep_sort_config_static_selectorELNS0_4arch9wavefront6targetE0EEEvSG_,comdat
	.protected	_ZN7rocprim17ROCPRIM_400000_NS6detail17trampoline_kernelINS0_14default_configENS1_35radix_sort_onesweep_config_selectorIjNS0_10empty_typeEEEZZNS1_29radix_sort_onesweep_iterationIS3_Lb0EPKjPjPS5_SB_mNS0_19identity_decomposerENS1_16block_id_wrapperIjLb1EEEEE10hipError_tT1_PNSt15iterator_traitsISG_E10value_typeET2_T3_PNSH_ISM_E10value_typeET4_T5_PSR_SS_PNS1_23onesweep_lookback_stateEbbT6_jjT7_P12ihipStream_tbENKUlT_T0_SG_SL_E_clISA_SA_SB_SB_EEDaSZ_S10_SG_SL_EUlSZ_E_NS1_11comp_targetILNS1_3genE5ELNS1_11target_archE942ELNS1_3gpuE9ELNS1_3repE0EEENS1_47radix_sort_onesweep_sort_config_static_selectorELNS0_4arch9wavefront6targetE0EEEvSG_ ; -- Begin function _ZN7rocprim17ROCPRIM_400000_NS6detail17trampoline_kernelINS0_14default_configENS1_35radix_sort_onesweep_config_selectorIjNS0_10empty_typeEEEZZNS1_29radix_sort_onesweep_iterationIS3_Lb0EPKjPjPS5_SB_mNS0_19identity_decomposerENS1_16block_id_wrapperIjLb1EEEEE10hipError_tT1_PNSt15iterator_traitsISG_E10value_typeET2_T3_PNSH_ISM_E10value_typeET4_T5_PSR_SS_PNS1_23onesweep_lookback_stateEbbT6_jjT7_P12ihipStream_tbENKUlT_T0_SG_SL_E_clISA_SA_SB_SB_EEDaSZ_S10_SG_SL_EUlSZ_E_NS1_11comp_targetILNS1_3genE5ELNS1_11target_archE942ELNS1_3gpuE9ELNS1_3repE0EEENS1_47radix_sort_onesweep_sort_config_static_selectorELNS0_4arch9wavefront6targetE0EEEvSG_
	.globl	_ZN7rocprim17ROCPRIM_400000_NS6detail17trampoline_kernelINS0_14default_configENS1_35radix_sort_onesweep_config_selectorIjNS0_10empty_typeEEEZZNS1_29radix_sort_onesweep_iterationIS3_Lb0EPKjPjPS5_SB_mNS0_19identity_decomposerENS1_16block_id_wrapperIjLb1EEEEE10hipError_tT1_PNSt15iterator_traitsISG_E10value_typeET2_T3_PNSH_ISM_E10value_typeET4_T5_PSR_SS_PNS1_23onesweep_lookback_stateEbbT6_jjT7_P12ihipStream_tbENKUlT_T0_SG_SL_E_clISA_SA_SB_SB_EEDaSZ_S10_SG_SL_EUlSZ_E_NS1_11comp_targetILNS1_3genE5ELNS1_11target_archE942ELNS1_3gpuE9ELNS1_3repE0EEENS1_47radix_sort_onesweep_sort_config_static_selectorELNS0_4arch9wavefront6targetE0EEEvSG_
	.p2align	8
	.type	_ZN7rocprim17ROCPRIM_400000_NS6detail17trampoline_kernelINS0_14default_configENS1_35radix_sort_onesweep_config_selectorIjNS0_10empty_typeEEEZZNS1_29radix_sort_onesweep_iterationIS3_Lb0EPKjPjPS5_SB_mNS0_19identity_decomposerENS1_16block_id_wrapperIjLb1EEEEE10hipError_tT1_PNSt15iterator_traitsISG_E10value_typeET2_T3_PNSH_ISM_E10value_typeET4_T5_PSR_SS_PNS1_23onesweep_lookback_stateEbbT6_jjT7_P12ihipStream_tbENKUlT_T0_SG_SL_E_clISA_SA_SB_SB_EEDaSZ_S10_SG_SL_EUlSZ_E_NS1_11comp_targetILNS1_3genE5ELNS1_11target_archE942ELNS1_3gpuE9ELNS1_3repE0EEENS1_47radix_sort_onesweep_sort_config_static_selectorELNS0_4arch9wavefront6targetE0EEEvSG_,@function
_ZN7rocprim17ROCPRIM_400000_NS6detail17trampoline_kernelINS0_14default_configENS1_35radix_sort_onesweep_config_selectorIjNS0_10empty_typeEEEZZNS1_29radix_sort_onesweep_iterationIS3_Lb0EPKjPjPS5_SB_mNS0_19identity_decomposerENS1_16block_id_wrapperIjLb1EEEEE10hipError_tT1_PNSt15iterator_traitsISG_E10value_typeET2_T3_PNSH_ISM_E10value_typeET4_T5_PSR_SS_PNS1_23onesweep_lookback_stateEbbT6_jjT7_P12ihipStream_tbENKUlT_T0_SG_SL_E_clISA_SA_SB_SB_EEDaSZ_S10_SG_SL_EUlSZ_E_NS1_11comp_targetILNS1_3genE5ELNS1_11target_archE942ELNS1_3gpuE9ELNS1_3repE0EEENS1_47radix_sort_onesweep_sort_config_static_selectorELNS0_4arch9wavefront6targetE0EEEvSG_: ; @_ZN7rocprim17ROCPRIM_400000_NS6detail17trampoline_kernelINS0_14default_configENS1_35radix_sort_onesweep_config_selectorIjNS0_10empty_typeEEEZZNS1_29radix_sort_onesweep_iterationIS3_Lb0EPKjPjPS5_SB_mNS0_19identity_decomposerENS1_16block_id_wrapperIjLb1EEEEE10hipError_tT1_PNSt15iterator_traitsISG_E10value_typeET2_T3_PNSH_ISM_E10value_typeET4_T5_PSR_SS_PNS1_23onesweep_lookback_stateEbbT6_jjT7_P12ihipStream_tbENKUlT_T0_SG_SL_E_clISA_SA_SB_SB_EEDaSZ_S10_SG_SL_EUlSZ_E_NS1_11comp_targetILNS1_3genE5ELNS1_11target_archE942ELNS1_3gpuE9ELNS1_3repE0EEENS1_47radix_sort_onesweep_sort_config_static_selectorELNS0_4arch9wavefront6targetE0EEEvSG_
; %bb.0:
	.section	.rodata,"a",@progbits
	.p2align	6, 0x0
	.amdhsa_kernel _ZN7rocprim17ROCPRIM_400000_NS6detail17trampoline_kernelINS0_14default_configENS1_35radix_sort_onesweep_config_selectorIjNS0_10empty_typeEEEZZNS1_29radix_sort_onesweep_iterationIS3_Lb0EPKjPjPS5_SB_mNS0_19identity_decomposerENS1_16block_id_wrapperIjLb1EEEEE10hipError_tT1_PNSt15iterator_traitsISG_E10value_typeET2_T3_PNSH_ISM_E10value_typeET4_T5_PSR_SS_PNS1_23onesweep_lookback_stateEbbT6_jjT7_P12ihipStream_tbENKUlT_T0_SG_SL_E_clISA_SA_SB_SB_EEDaSZ_S10_SG_SL_EUlSZ_E_NS1_11comp_targetILNS1_3genE5ELNS1_11target_archE942ELNS1_3gpuE9ELNS1_3repE0EEENS1_47radix_sort_onesweep_sort_config_static_selectorELNS0_4arch9wavefront6targetE0EEEvSG_
		.amdhsa_group_segment_fixed_size 0
		.amdhsa_private_segment_fixed_size 0
		.amdhsa_kernarg_size 88
		.amdhsa_user_sgpr_count 2
		.amdhsa_user_sgpr_dispatch_ptr 0
		.amdhsa_user_sgpr_queue_ptr 0
		.amdhsa_user_sgpr_kernarg_segment_ptr 1
		.amdhsa_user_sgpr_dispatch_id 0
		.amdhsa_user_sgpr_kernarg_preload_length 0
		.amdhsa_user_sgpr_kernarg_preload_offset 0
		.amdhsa_user_sgpr_private_segment_size 0
		.amdhsa_wavefront_size32 1
		.amdhsa_uses_dynamic_stack 0
		.amdhsa_enable_private_segment 0
		.amdhsa_system_sgpr_workgroup_id_x 1
		.amdhsa_system_sgpr_workgroup_id_y 0
		.amdhsa_system_sgpr_workgroup_id_z 0
		.amdhsa_system_sgpr_workgroup_info 0
		.amdhsa_system_vgpr_workitem_id 0
		.amdhsa_next_free_vgpr 1
		.amdhsa_next_free_sgpr 1
		.amdhsa_named_barrier_count 0
		.amdhsa_reserve_vcc 0
		.amdhsa_float_round_mode_32 0
		.amdhsa_float_round_mode_16_64 0
		.amdhsa_float_denorm_mode_32 3
		.amdhsa_float_denorm_mode_16_64 3
		.amdhsa_fp16_overflow 0
		.amdhsa_memory_ordered 1
		.amdhsa_forward_progress 1
		.amdhsa_inst_pref_size 0
		.amdhsa_round_robin_scheduling 0
		.amdhsa_exception_fp_ieee_invalid_op 0
		.amdhsa_exception_fp_denorm_src 0
		.amdhsa_exception_fp_ieee_div_zero 0
		.amdhsa_exception_fp_ieee_overflow 0
		.amdhsa_exception_fp_ieee_underflow 0
		.amdhsa_exception_fp_ieee_inexact 0
		.amdhsa_exception_int_div_zero 0
	.end_amdhsa_kernel
	.section	.text._ZN7rocprim17ROCPRIM_400000_NS6detail17trampoline_kernelINS0_14default_configENS1_35radix_sort_onesweep_config_selectorIjNS0_10empty_typeEEEZZNS1_29radix_sort_onesweep_iterationIS3_Lb0EPKjPjPS5_SB_mNS0_19identity_decomposerENS1_16block_id_wrapperIjLb1EEEEE10hipError_tT1_PNSt15iterator_traitsISG_E10value_typeET2_T3_PNSH_ISM_E10value_typeET4_T5_PSR_SS_PNS1_23onesweep_lookback_stateEbbT6_jjT7_P12ihipStream_tbENKUlT_T0_SG_SL_E_clISA_SA_SB_SB_EEDaSZ_S10_SG_SL_EUlSZ_E_NS1_11comp_targetILNS1_3genE5ELNS1_11target_archE942ELNS1_3gpuE9ELNS1_3repE0EEENS1_47radix_sort_onesweep_sort_config_static_selectorELNS0_4arch9wavefront6targetE0EEEvSG_,"axG",@progbits,_ZN7rocprim17ROCPRIM_400000_NS6detail17trampoline_kernelINS0_14default_configENS1_35radix_sort_onesweep_config_selectorIjNS0_10empty_typeEEEZZNS1_29radix_sort_onesweep_iterationIS3_Lb0EPKjPjPS5_SB_mNS0_19identity_decomposerENS1_16block_id_wrapperIjLb1EEEEE10hipError_tT1_PNSt15iterator_traitsISG_E10value_typeET2_T3_PNSH_ISM_E10value_typeET4_T5_PSR_SS_PNS1_23onesweep_lookback_stateEbbT6_jjT7_P12ihipStream_tbENKUlT_T0_SG_SL_E_clISA_SA_SB_SB_EEDaSZ_S10_SG_SL_EUlSZ_E_NS1_11comp_targetILNS1_3genE5ELNS1_11target_archE942ELNS1_3gpuE9ELNS1_3repE0EEENS1_47radix_sort_onesweep_sort_config_static_selectorELNS0_4arch9wavefront6targetE0EEEvSG_,comdat
.Lfunc_end2755:
	.size	_ZN7rocprim17ROCPRIM_400000_NS6detail17trampoline_kernelINS0_14default_configENS1_35radix_sort_onesweep_config_selectorIjNS0_10empty_typeEEEZZNS1_29radix_sort_onesweep_iterationIS3_Lb0EPKjPjPS5_SB_mNS0_19identity_decomposerENS1_16block_id_wrapperIjLb1EEEEE10hipError_tT1_PNSt15iterator_traitsISG_E10value_typeET2_T3_PNSH_ISM_E10value_typeET4_T5_PSR_SS_PNS1_23onesweep_lookback_stateEbbT6_jjT7_P12ihipStream_tbENKUlT_T0_SG_SL_E_clISA_SA_SB_SB_EEDaSZ_S10_SG_SL_EUlSZ_E_NS1_11comp_targetILNS1_3genE5ELNS1_11target_archE942ELNS1_3gpuE9ELNS1_3repE0EEENS1_47radix_sort_onesweep_sort_config_static_selectorELNS0_4arch9wavefront6targetE0EEEvSG_, .Lfunc_end2755-_ZN7rocprim17ROCPRIM_400000_NS6detail17trampoline_kernelINS0_14default_configENS1_35radix_sort_onesweep_config_selectorIjNS0_10empty_typeEEEZZNS1_29radix_sort_onesweep_iterationIS3_Lb0EPKjPjPS5_SB_mNS0_19identity_decomposerENS1_16block_id_wrapperIjLb1EEEEE10hipError_tT1_PNSt15iterator_traitsISG_E10value_typeET2_T3_PNSH_ISM_E10value_typeET4_T5_PSR_SS_PNS1_23onesweep_lookback_stateEbbT6_jjT7_P12ihipStream_tbENKUlT_T0_SG_SL_E_clISA_SA_SB_SB_EEDaSZ_S10_SG_SL_EUlSZ_E_NS1_11comp_targetILNS1_3genE5ELNS1_11target_archE942ELNS1_3gpuE9ELNS1_3repE0EEENS1_47radix_sort_onesweep_sort_config_static_selectorELNS0_4arch9wavefront6targetE0EEEvSG_
                                        ; -- End function
	.set _ZN7rocprim17ROCPRIM_400000_NS6detail17trampoline_kernelINS0_14default_configENS1_35radix_sort_onesweep_config_selectorIjNS0_10empty_typeEEEZZNS1_29radix_sort_onesweep_iterationIS3_Lb0EPKjPjPS5_SB_mNS0_19identity_decomposerENS1_16block_id_wrapperIjLb1EEEEE10hipError_tT1_PNSt15iterator_traitsISG_E10value_typeET2_T3_PNSH_ISM_E10value_typeET4_T5_PSR_SS_PNS1_23onesweep_lookback_stateEbbT6_jjT7_P12ihipStream_tbENKUlT_T0_SG_SL_E_clISA_SA_SB_SB_EEDaSZ_S10_SG_SL_EUlSZ_E_NS1_11comp_targetILNS1_3genE5ELNS1_11target_archE942ELNS1_3gpuE9ELNS1_3repE0EEENS1_47radix_sort_onesweep_sort_config_static_selectorELNS0_4arch9wavefront6targetE0EEEvSG_.num_vgpr, 0
	.set _ZN7rocprim17ROCPRIM_400000_NS6detail17trampoline_kernelINS0_14default_configENS1_35radix_sort_onesweep_config_selectorIjNS0_10empty_typeEEEZZNS1_29radix_sort_onesweep_iterationIS3_Lb0EPKjPjPS5_SB_mNS0_19identity_decomposerENS1_16block_id_wrapperIjLb1EEEEE10hipError_tT1_PNSt15iterator_traitsISG_E10value_typeET2_T3_PNSH_ISM_E10value_typeET4_T5_PSR_SS_PNS1_23onesweep_lookback_stateEbbT6_jjT7_P12ihipStream_tbENKUlT_T0_SG_SL_E_clISA_SA_SB_SB_EEDaSZ_S10_SG_SL_EUlSZ_E_NS1_11comp_targetILNS1_3genE5ELNS1_11target_archE942ELNS1_3gpuE9ELNS1_3repE0EEENS1_47radix_sort_onesweep_sort_config_static_selectorELNS0_4arch9wavefront6targetE0EEEvSG_.num_agpr, 0
	.set _ZN7rocprim17ROCPRIM_400000_NS6detail17trampoline_kernelINS0_14default_configENS1_35radix_sort_onesweep_config_selectorIjNS0_10empty_typeEEEZZNS1_29radix_sort_onesweep_iterationIS3_Lb0EPKjPjPS5_SB_mNS0_19identity_decomposerENS1_16block_id_wrapperIjLb1EEEEE10hipError_tT1_PNSt15iterator_traitsISG_E10value_typeET2_T3_PNSH_ISM_E10value_typeET4_T5_PSR_SS_PNS1_23onesweep_lookback_stateEbbT6_jjT7_P12ihipStream_tbENKUlT_T0_SG_SL_E_clISA_SA_SB_SB_EEDaSZ_S10_SG_SL_EUlSZ_E_NS1_11comp_targetILNS1_3genE5ELNS1_11target_archE942ELNS1_3gpuE9ELNS1_3repE0EEENS1_47radix_sort_onesweep_sort_config_static_selectorELNS0_4arch9wavefront6targetE0EEEvSG_.numbered_sgpr, 0
	.set _ZN7rocprim17ROCPRIM_400000_NS6detail17trampoline_kernelINS0_14default_configENS1_35radix_sort_onesweep_config_selectorIjNS0_10empty_typeEEEZZNS1_29radix_sort_onesweep_iterationIS3_Lb0EPKjPjPS5_SB_mNS0_19identity_decomposerENS1_16block_id_wrapperIjLb1EEEEE10hipError_tT1_PNSt15iterator_traitsISG_E10value_typeET2_T3_PNSH_ISM_E10value_typeET4_T5_PSR_SS_PNS1_23onesweep_lookback_stateEbbT6_jjT7_P12ihipStream_tbENKUlT_T0_SG_SL_E_clISA_SA_SB_SB_EEDaSZ_S10_SG_SL_EUlSZ_E_NS1_11comp_targetILNS1_3genE5ELNS1_11target_archE942ELNS1_3gpuE9ELNS1_3repE0EEENS1_47radix_sort_onesweep_sort_config_static_selectorELNS0_4arch9wavefront6targetE0EEEvSG_.num_named_barrier, 0
	.set _ZN7rocprim17ROCPRIM_400000_NS6detail17trampoline_kernelINS0_14default_configENS1_35radix_sort_onesweep_config_selectorIjNS0_10empty_typeEEEZZNS1_29radix_sort_onesweep_iterationIS3_Lb0EPKjPjPS5_SB_mNS0_19identity_decomposerENS1_16block_id_wrapperIjLb1EEEEE10hipError_tT1_PNSt15iterator_traitsISG_E10value_typeET2_T3_PNSH_ISM_E10value_typeET4_T5_PSR_SS_PNS1_23onesweep_lookback_stateEbbT6_jjT7_P12ihipStream_tbENKUlT_T0_SG_SL_E_clISA_SA_SB_SB_EEDaSZ_S10_SG_SL_EUlSZ_E_NS1_11comp_targetILNS1_3genE5ELNS1_11target_archE942ELNS1_3gpuE9ELNS1_3repE0EEENS1_47radix_sort_onesweep_sort_config_static_selectorELNS0_4arch9wavefront6targetE0EEEvSG_.private_seg_size, 0
	.set _ZN7rocprim17ROCPRIM_400000_NS6detail17trampoline_kernelINS0_14default_configENS1_35radix_sort_onesweep_config_selectorIjNS0_10empty_typeEEEZZNS1_29radix_sort_onesweep_iterationIS3_Lb0EPKjPjPS5_SB_mNS0_19identity_decomposerENS1_16block_id_wrapperIjLb1EEEEE10hipError_tT1_PNSt15iterator_traitsISG_E10value_typeET2_T3_PNSH_ISM_E10value_typeET4_T5_PSR_SS_PNS1_23onesweep_lookback_stateEbbT6_jjT7_P12ihipStream_tbENKUlT_T0_SG_SL_E_clISA_SA_SB_SB_EEDaSZ_S10_SG_SL_EUlSZ_E_NS1_11comp_targetILNS1_3genE5ELNS1_11target_archE942ELNS1_3gpuE9ELNS1_3repE0EEENS1_47radix_sort_onesweep_sort_config_static_selectorELNS0_4arch9wavefront6targetE0EEEvSG_.uses_vcc, 0
	.set _ZN7rocprim17ROCPRIM_400000_NS6detail17trampoline_kernelINS0_14default_configENS1_35radix_sort_onesweep_config_selectorIjNS0_10empty_typeEEEZZNS1_29radix_sort_onesweep_iterationIS3_Lb0EPKjPjPS5_SB_mNS0_19identity_decomposerENS1_16block_id_wrapperIjLb1EEEEE10hipError_tT1_PNSt15iterator_traitsISG_E10value_typeET2_T3_PNSH_ISM_E10value_typeET4_T5_PSR_SS_PNS1_23onesweep_lookback_stateEbbT6_jjT7_P12ihipStream_tbENKUlT_T0_SG_SL_E_clISA_SA_SB_SB_EEDaSZ_S10_SG_SL_EUlSZ_E_NS1_11comp_targetILNS1_3genE5ELNS1_11target_archE942ELNS1_3gpuE9ELNS1_3repE0EEENS1_47radix_sort_onesweep_sort_config_static_selectorELNS0_4arch9wavefront6targetE0EEEvSG_.uses_flat_scratch, 0
	.set _ZN7rocprim17ROCPRIM_400000_NS6detail17trampoline_kernelINS0_14default_configENS1_35radix_sort_onesweep_config_selectorIjNS0_10empty_typeEEEZZNS1_29radix_sort_onesweep_iterationIS3_Lb0EPKjPjPS5_SB_mNS0_19identity_decomposerENS1_16block_id_wrapperIjLb1EEEEE10hipError_tT1_PNSt15iterator_traitsISG_E10value_typeET2_T3_PNSH_ISM_E10value_typeET4_T5_PSR_SS_PNS1_23onesweep_lookback_stateEbbT6_jjT7_P12ihipStream_tbENKUlT_T0_SG_SL_E_clISA_SA_SB_SB_EEDaSZ_S10_SG_SL_EUlSZ_E_NS1_11comp_targetILNS1_3genE5ELNS1_11target_archE942ELNS1_3gpuE9ELNS1_3repE0EEENS1_47radix_sort_onesweep_sort_config_static_selectorELNS0_4arch9wavefront6targetE0EEEvSG_.has_dyn_sized_stack, 0
	.set _ZN7rocprim17ROCPRIM_400000_NS6detail17trampoline_kernelINS0_14default_configENS1_35radix_sort_onesweep_config_selectorIjNS0_10empty_typeEEEZZNS1_29radix_sort_onesweep_iterationIS3_Lb0EPKjPjPS5_SB_mNS0_19identity_decomposerENS1_16block_id_wrapperIjLb1EEEEE10hipError_tT1_PNSt15iterator_traitsISG_E10value_typeET2_T3_PNSH_ISM_E10value_typeET4_T5_PSR_SS_PNS1_23onesweep_lookback_stateEbbT6_jjT7_P12ihipStream_tbENKUlT_T0_SG_SL_E_clISA_SA_SB_SB_EEDaSZ_S10_SG_SL_EUlSZ_E_NS1_11comp_targetILNS1_3genE5ELNS1_11target_archE942ELNS1_3gpuE9ELNS1_3repE0EEENS1_47radix_sort_onesweep_sort_config_static_selectorELNS0_4arch9wavefront6targetE0EEEvSG_.has_recursion, 0
	.set _ZN7rocprim17ROCPRIM_400000_NS6detail17trampoline_kernelINS0_14default_configENS1_35radix_sort_onesweep_config_selectorIjNS0_10empty_typeEEEZZNS1_29radix_sort_onesweep_iterationIS3_Lb0EPKjPjPS5_SB_mNS0_19identity_decomposerENS1_16block_id_wrapperIjLb1EEEEE10hipError_tT1_PNSt15iterator_traitsISG_E10value_typeET2_T3_PNSH_ISM_E10value_typeET4_T5_PSR_SS_PNS1_23onesweep_lookback_stateEbbT6_jjT7_P12ihipStream_tbENKUlT_T0_SG_SL_E_clISA_SA_SB_SB_EEDaSZ_S10_SG_SL_EUlSZ_E_NS1_11comp_targetILNS1_3genE5ELNS1_11target_archE942ELNS1_3gpuE9ELNS1_3repE0EEENS1_47radix_sort_onesweep_sort_config_static_selectorELNS0_4arch9wavefront6targetE0EEEvSG_.has_indirect_call, 0
	.section	.AMDGPU.csdata,"",@progbits
; Kernel info:
; codeLenInByte = 0
; TotalNumSgprs: 0
; NumVgprs: 0
; ScratchSize: 0
; MemoryBound: 0
; FloatMode: 240
; IeeeMode: 1
; LDSByteSize: 0 bytes/workgroup (compile time only)
; SGPRBlocks: 0
; VGPRBlocks: 0
; NumSGPRsForWavesPerEU: 1
; NumVGPRsForWavesPerEU: 1
; NamedBarCnt: 0
; Occupancy: 16
; WaveLimiterHint : 0
; COMPUTE_PGM_RSRC2:SCRATCH_EN: 0
; COMPUTE_PGM_RSRC2:USER_SGPR: 2
; COMPUTE_PGM_RSRC2:TRAP_HANDLER: 0
; COMPUTE_PGM_RSRC2:TGID_X_EN: 1
; COMPUTE_PGM_RSRC2:TGID_Y_EN: 0
; COMPUTE_PGM_RSRC2:TGID_Z_EN: 0
; COMPUTE_PGM_RSRC2:TIDIG_COMP_CNT: 0
	.section	.text._ZN7rocprim17ROCPRIM_400000_NS6detail17trampoline_kernelINS0_14default_configENS1_35radix_sort_onesweep_config_selectorIjNS0_10empty_typeEEEZZNS1_29radix_sort_onesweep_iterationIS3_Lb0EPKjPjPS5_SB_mNS0_19identity_decomposerENS1_16block_id_wrapperIjLb1EEEEE10hipError_tT1_PNSt15iterator_traitsISG_E10value_typeET2_T3_PNSH_ISM_E10value_typeET4_T5_PSR_SS_PNS1_23onesweep_lookback_stateEbbT6_jjT7_P12ihipStream_tbENKUlT_T0_SG_SL_E_clISA_SA_SB_SB_EEDaSZ_S10_SG_SL_EUlSZ_E_NS1_11comp_targetILNS1_3genE2ELNS1_11target_archE906ELNS1_3gpuE6ELNS1_3repE0EEENS1_47radix_sort_onesweep_sort_config_static_selectorELNS0_4arch9wavefront6targetE0EEEvSG_,"axG",@progbits,_ZN7rocprim17ROCPRIM_400000_NS6detail17trampoline_kernelINS0_14default_configENS1_35radix_sort_onesweep_config_selectorIjNS0_10empty_typeEEEZZNS1_29radix_sort_onesweep_iterationIS3_Lb0EPKjPjPS5_SB_mNS0_19identity_decomposerENS1_16block_id_wrapperIjLb1EEEEE10hipError_tT1_PNSt15iterator_traitsISG_E10value_typeET2_T3_PNSH_ISM_E10value_typeET4_T5_PSR_SS_PNS1_23onesweep_lookback_stateEbbT6_jjT7_P12ihipStream_tbENKUlT_T0_SG_SL_E_clISA_SA_SB_SB_EEDaSZ_S10_SG_SL_EUlSZ_E_NS1_11comp_targetILNS1_3genE2ELNS1_11target_archE906ELNS1_3gpuE6ELNS1_3repE0EEENS1_47radix_sort_onesweep_sort_config_static_selectorELNS0_4arch9wavefront6targetE0EEEvSG_,comdat
	.protected	_ZN7rocprim17ROCPRIM_400000_NS6detail17trampoline_kernelINS0_14default_configENS1_35radix_sort_onesweep_config_selectorIjNS0_10empty_typeEEEZZNS1_29radix_sort_onesweep_iterationIS3_Lb0EPKjPjPS5_SB_mNS0_19identity_decomposerENS1_16block_id_wrapperIjLb1EEEEE10hipError_tT1_PNSt15iterator_traitsISG_E10value_typeET2_T3_PNSH_ISM_E10value_typeET4_T5_PSR_SS_PNS1_23onesweep_lookback_stateEbbT6_jjT7_P12ihipStream_tbENKUlT_T0_SG_SL_E_clISA_SA_SB_SB_EEDaSZ_S10_SG_SL_EUlSZ_E_NS1_11comp_targetILNS1_3genE2ELNS1_11target_archE906ELNS1_3gpuE6ELNS1_3repE0EEENS1_47radix_sort_onesweep_sort_config_static_selectorELNS0_4arch9wavefront6targetE0EEEvSG_ ; -- Begin function _ZN7rocprim17ROCPRIM_400000_NS6detail17trampoline_kernelINS0_14default_configENS1_35radix_sort_onesweep_config_selectorIjNS0_10empty_typeEEEZZNS1_29radix_sort_onesweep_iterationIS3_Lb0EPKjPjPS5_SB_mNS0_19identity_decomposerENS1_16block_id_wrapperIjLb1EEEEE10hipError_tT1_PNSt15iterator_traitsISG_E10value_typeET2_T3_PNSH_ISM_E10value_typeET4_T5_PSR_SS_PNS1_23onesweep_lookback_stateEbbT6_jjT7_P12ihipStream_tbENKUlT_T0_SG_SL_E_clISA_SA_SB_SB_EEDaSZ_S10_SG_SL_EUlSZ_E_NS1_11comp_targetILNS1_3genE2ELNS1_11target_archE906ELNS1_3gpuE6ELNS1_3repE0EEENS1_47radix_sort_onesweep_sort_config_static_selectorELNS0_4arch9wavefront6targetE0EEEvSG_
	.globl	_ZN7rocprim17ROCPRIM_400000_NS6detail17trampoline_kernelINS0_14default_configENS1_35radix_sort_onesweep_config_selectorIjNS0_10empty_typeEEEZZNS1_29radix_sort_onesweep_iterationIS3_Lb0EPKjPjPS5_SB_mNS0_19identity_decomposerENS1_16block_id_wrapperIjLb1EEEEE10hipError_tT1_PNSt15iterator_traitsISG_E10value_typeET2_T3_PNSH_ISM_E10value_typeET4_T5_PSR_SS_PNS1_23onesweep_lookback_stateEbbT6_jjT7_P12ihipStream_tbENKUlT_T0_SG_SL_E_clISA_SA_SB_SB_EEDaSZ_S10_SG_SL_EUlSZ_E_NS1_11comp_targetILNS1_3genE2ELNS1_11target_archE906ELNS1_3gpuE6ELNS1_3repE0EEENS1_47radix_sort_onesweep_sort_config_static_selectorELNS0_4arch9wavefront6targetE0EEEvSG_
	.p2align	8
	.type	_ZN7rocprim17ROCPRIM_400000_NS6detail17trampoline_kernelINS0_14default_configENS1_35radix_sort_onesweep_config_selectorIjNS0_10empty_typeEEEZZNS1_29radix_sort_onesweep_iterationIS3_Lb0EPKjPjPS5_SB_mNS0_19identity_decomposerENS1_16block_id_wrapperIjLb1EEEEE10hipError_tT1_PNSt15iterator_traitsISG_E10value_typeET2_T3_PNSH_ISM_E10value_typeET4_T5_PSR_SS_PNS1_23onesweep_lookback_stateEbbT6_jjT7_P12ihipStream_tbENKUlT_T0_SG_SL_E_clISA_SA_SB_SB_EEDaSZ_S10_SG_SL_EUlSZ_E_NS1_11comp_targetILNS1_3genE2ELNS1_11target_archE906ELNS1_3gpuE6ELNS1_3repE0EEENS1_47radix_sort_onesweep_sort_config_static_selectorELNS0_4arch9wavefront6targetE0EEEvSG_,@function
_ZN7rocprim17ROCPRIM_400000_NS6detail17trampoline_kernelINS0_14default_configENS1_35radix_sort_onesweep_config_selectorIjNS0_10empty_typeEEEZZNS1_29radix_sort_onesweep_iterationIS3_Lb0EPKjPjPS5_SB_mNS0_19identity_decomposerENS1_16block_id_wrapperIjLb1EEEEE10hipError_tT1_PNSt15iterator_traitsISG_E10value_typeET2_T3_PNSH_ISM_E10value_typeET4_T5_PSR_SS_PNS1_23onesweep_lookback_stateEbbT6_jjT7_P12ihipStream_tbENKUlT_T0_SG_SL_E_clISA_SA_SB_SB_EEDaSZ_S10_SG_SL_EUlSZ_E_NS1_11comp_targetILNS1_3genE2ELNS1_11target_archE906ELNS1_3gpuE6ELNS1_3repE0EEENS1_47radix_sort_onesweep_sort_config_static_selectorELNS0_4arch9wavefront6targetE0EEEvSG_: ; @_ZN7rocprim17ROCPRIM_400000_NS6detail17trampoline_kernelINS0_14default_configENS1_35radix_sort_onesweep_config_selectorIjNS0_10empty_typeEEEZZNS1_29radix_sort_onesweep_iterationIS3_Lb0EPKjPjPS5_SB_mNS0_19identity_decomposerENS1_16block_id_wrapperIjLb1EEEEE10hipError_tT1_PNSt15iterator_traitsISG_E10value_typeET2_T3_PNSH_ISM_E10value_typeET4_T5_PSR_SS_PNS1_23onesweep_lookback_stateEbbT6_jjT7_P12ihipStream_tbENKUlT_T0_SG_SL_E_clISA_SA_SB_SB_EEDaSZ_S10_SG_SL_EUlSZ_E_NS1_11comp_targetILNS1_3genE2ELNS1_11target_archE906ELNS1_3gpuE6ELNS1_3repE0EEENS1_47radix_sort_onesweep_sort_config_static_selectorELNS0_4arch9wavefront6targetE0EEEvSG_
; %bb.0:
	.section	.rodata,"a",@progbits
	.p2align	6, 0x0
	.amdhsa_kernel _ZN7rocprim17ROCPRIM_400000_NS6detail17trampoline_kernelINS0_14default_configENS1_35radix_sort_onesweep_config_selectorIjNS0_10empty_typeEEEZZNS1_29radix_sort_onesweep_iterationIS3_Lb0EPKjPjPS5_SB_mNS0_19identity_decomposerENS1_16block_id_wrapperIjLb1EEEEE10hipError_tT1_PNSt15iterator_traitsISG_E10value_typeET2_T3_PNSH_ISM_E10value_typeET4_T5_PSR_SS_PNS1_23onesweep_lookback_stateEbbT6_jjT7_P12ihipStream_tbENKUlT_T0_SG_SL_E_clISA_SA_SB_SB_EEDaSZ_S10_SG_SL_EUlSZ_E_NS1_11comp_targetILNS1_3genE2ELNS1_11target_archE906ELNS1_3gpuE6ELNS1_3repE0EEENS1_47radix_sort_onesweep_sort_config_static_selectorELNS0_4arch9wavefront6targetE0EEEvSG_
		.amdhsa_group_segment_fixed_size 0
		.amdhsa_private_segment_fixed_size 0
		.amdhsa_kernarg_size 88
		.amdhsa_user_sgpr_count 2
		.amdhsa_user_sgpr_dispatch_ptr 0
		.amdhsa_user_sgpr_queue_ptr 0
		.amdhsa_user_sgpr_kernarg_segment_ptr 1
		.amdhsa_user_sgpr_dispatch_id 0
		.amdhsa_user_sgpr_kernarg_preload_length 0
		.amdhsa_user_sgpr_kernarg_preload_offset 0
		.amdhsa_user_sgpr_private_segment_size 0
		.amdhsa_wavefront_size32 1
		.amdhsa_uses_dynamic_stack 0
		.amdhsa_enable_private_segment 0
		.amdhsa_system_sgpr_workgroup_id_x 1
		.amdhsa_system_sgpr_workgroup_id_y 0
		.amdhsa_system_sgpr_workgroup_id_z 0
		.amdhsa_system_sgpr_workgroup_info 0
		.amdhsa_system_vgpr_workitem_id 0
		.amdhsa_next_free_vgpr 1
		.amdhsa_next_free_sgpr 1
		.amdhsa_named_barrier_count 0
		.amdhsa_reserve_vcc 0
		.amdhsa_float_round_mode_32 0
		.amdhsa_float_round_mode_16_64 0
		.amdhsa_float_denorm_mode_32 3
		.amdhsa_float_denorm_mode_16_64 3
		.amdhsa_fp16_overflow 0
		.amdhsa_memory_ordered 1
		.amdhsa_forward_progress 1
		.amdhsa_inst_pref_size 0
		.amdhsa_round_robin_scheduling 0
		.amdhsa_exception_fp_ieee_invalid_op 0
		.amdhsa_exception_fp_denorm_src 0
		.amdhsa_exception_fp_ieee_div_zero 0
		.amdhsa_exception_fp_ieee_overflow 0
		.amdhsa_exception_fp_ieee_underflow 0
		.amdhsa_exception_fp_ieee_inexact 0
		.amdhsa_exception_int_div_zero 0
	.end_amdhsa_kernel
	.section	.text._ZN7rocprim17ROCPRIM_400000_NS6detail17trampoline_kernelINS0_14default_configENS1_35radix_sort_onesweep_config_selectorIjNS0_10empty_typeEEEZZNS1_29radix_sort_onesweep_iterationIS3_Lb0EPKjPjPS5_SB_mNS0_19identity_decomposerENS1_16block_id_wrapperIjLb1EEEEE10hipError_tT1_PNSt15iterator_traitsISG_E10value_typeET2_T3_PNSH_ISM_E10value_typeET4_T5_PSR_SS_PNS1_23onesweep_lookback_stateEbbT6_jjT7_P12ihipStream_tbENKUlT_T0_SG_SL_E_clISA_SA_SB_SB_EEDaSZ_S10_SG_SL_EUlSZ_E_NS1_11comp_targetILNS1_3genE2ELNS1_11target_archE906ELNS1_3gpuE6ELNS1_3repE0EEENS1_47radix_sort_onesweep_sort_config_static_selectorELNS0_4arch9wavefront6targetE0EEEvSG_,"axG",@progbits,_ZN7rocprim17ROCPRIM_400000_NS6detail17trampoline_kernelINS0_14default_configENS1_35radix_sort_onesweep_config_selectorIjNS0_10empty_typeEEEZZNS1_29radix_sort_onesweep_iterationIS3_Lb0EPKjPjPS5_SB_mNS0_19identity_decomposerENS1_16block_id_wrapperIjLb1EEEEE10hipError_tT1_PNSt15iterator_traitsISG_E10value_typeET2_T3_PNSH_ISM_E10value_typeET4_T5_PSR_SS_PNS1_23onesweep_lookback_stateEbbT6_jjT7_P12ihipStream_tbENKUlT_T0_SG_SL_E_clISA_SA_SB_SB_EEDaSZ_S10_SG_SL_EUlSZ_E_NS1_11comp_targetILNS1_3genE2ELNS1_11target_archE906ELNS1_3gpuE6ELNS1_3repE0EEENS1_47radix_sort_onesweep_sort_config_static_selectorELNS0_4arch9wavefront6targetE0EEEvSG_,comdat
.Lfunc_end2756:
	.size	_ZN7rocprim17ROCPRIM_400000_NS6detail17trampoline_kernelINS0_14default_configENS1_35radix_sort_onesweep_config_selectorIjNS0_10empty_typeEEEZZNS1_29radix_sort_onesweep_iterationIS3_Lb0EPKjPjPS5_SB_mNS0_19identity_decomposerENS1_16block_id_wrapperIjLb1EEEEE10hipError_tT1_PNSt15iterator_traitsISG_E10value_typeET2_T3_PNSH_ISM_E10value_typeET4_T5_PSR_SS_PNS1_23onesweep_lookback_stateEbbT6_jjT7_P12ihipStream_tbENKUlT_T0_SG_SL_E_clISA_SA_SB_SB_EEDaSZ_S10_SG_SL_EUlSZ_E_NS1_11comp_targetILNS1_3genE2ELNS1_11target_archE906ELNS1_3gpuE6ELNS1_3repE0EEENS1_47radix_sort_onesweep_sort_config_static_selectorELNS0_4arch9wavefront6targetE0EEEvSG_, .Lfunc_end2756-_ZN7rocprim17ROCPRIM_400000_NS6detail17trampoline_kernelINS0_14default_configENS1_35radix_sort_onesweep_config_selectorIjNS0_10empty_typeEEEZZNS1_29radix_sort_onesweep_iterationIS3_Lb0EPKjPjPS5_SB_mNS0_19identity_decomposerENS1_16block_id_wrapperIjLb1EEEEE10hipError_tT1_PNSt15iterator_traitsISG_E10value_typeET2_T3_PNSH_ISM_E10value_typeET4_T5_PSR_SS_PNS1_23onesweep_lookback_stateEbbT6_jjT7_P12ihipStream_tbENKUlT_T0_SG_SL_E_clISA_SA_SB_SB_EEDaSZ_S10_SG_SL_EUlSZ_E_NS1_11comp_targetILNS1_3genE2ELNS1_11target_archE906ELNS1_3gpuE6ELNS1_3repE0EEENS1_47radix_sort_onesweep_sort_config_static_selectorELNS0_4arch9wavefront6targetE0EEEvSG_
                                        ; -- End function
	.set _ZN7rocprim17ROCPRIM_400000_NS6detail17trampoline_kernelINS0_14default_configENS1_35radix_sort_onesweep_config_selectorIjNS0_10empty_typeEEEZZNS1_29radix_sort_onesweep_iterationIS3_Lb0EPKjPjPS5_SB_mNS0_19identity_decomposerENS1_16block_id_wrapperIjLb1EEEEE10hipError_tT1_PNSt15iterator_traitsISG_E10value_typeET2_T3_PNSH_ISM_E10value_typeET4_T5_PSR_SS_PNS1_23onesweep_lookback_stateEbbT6_jjT7_P12ihipStream_tbENKUlT_T0_SG_SL_E_clISA_SA_SB_SB_EEDaSZ_S10_SG_SL_EUlSZ_E_NS1_11comp_targetILNS1_3genE2ELNS1_11target_archE906ELNS1_3gpuE6ELNS1_3repE0EEENS1_47radix_sort_onesweep_sort_config_static_selectorELNS0_4arch9wavefront6targetE0EEEvSG_.num_vgpr, 0
	.set _ZN7rocprim17ROCPRIM_400000_NS6detail17trampoline_kernelINS0_14default_configENS1_35radix_sort_onesweep_config_selectorIjNS0_10empty_typeEEEZZNS1_29radix_sort_onesweep_iterationIS3_Lb0EPKjPjPS5_SB_mNS0_19identity_decomposerENS1_16block_id_wrapperIjLb1EEEEE10hipError_tT1_PNSt15iterator_traitsISG_E10value_typeET2_T3_PNSH_ISM_E10value_typeET4_T5_PSR_SS_PNS1_23onesweep_lookback_stateEbbT6_jjT7_P12ihipStream_tbENKUlT_T0_SG_SL_E_clISA_SA_SB_SB_EEDaSZ_S10_SG_SL_EUlSZ_E_NS1_11comp_targetILNS1_3genE2ELNS1_11target_archE906ELNS1_3gpuE6ELNS1_3repE0EEENS1_47radix_sort_onesweep_sort_config_static_selectorELNS0_4arch9wavefront6targetE0EEEvSG_.num_agpr, 0
	.set _ZN7rocprim17ROCPRIM_400000_NS6detail17trampoline_kernelINS0_14default_configENS1_35radix_sort_onesweep_config_selectorIjNS0_10empty_typeEEEZZNS1_29radix_sort_onesweep_iterationIS3_Lb0EPKjPjPS5_SB_mNS0_19identity_decomposerENS1_16block_id_wrapperIjLb1EEEEE10hipError_tT1_PNSt15iterator_traitsISG_E10value_typeET2_T3_PNSH_ISM_E10value_typeET4_T5_PSR_SS_PNS1_23onesweep_lookback_stateEbbT6_jjT7_P12ihipStream_tbENKUlT_T0_SG_SL_E_clISA_SA_SB_SB_EEDaSZ_S10_SG_SL_EUlSZ_E_NS1_11comp_targetILNS1_3genE2ELNS1_11target_archE906ELNS1_3gpuE6ELNS1_3repE0EEENS1_47radix_sort_onesweep_sort_config_static_selectorELNS0_4arch9wavefront6targetE0EEEvSG_.numbered_sgpr, 0
	.set _ZN7rocprim17ROCPRIM_400000_NS6detail17trampoline_kernelINS0_14default_configENS1_35radix_sort_onesweep_config_selectorIjNS0_10empty_typeEEEZZNS1_29radix_sort_onesweep_iterationIS3_Lb0EPKjPjPS5_SB_mNS0_19identity_decomposerENS1_16block_id_wrapperIjLb1EEEEE10hipError_tT1_PNSt15iterator_traitsISG_E10value_typeET2_T3_PNSH_ISM_E10value_typeET4_T5_PSR_SS_PNS1_23onesweep_lookback_stateEbbT6_jjT7_P12ihipStream_tbENKUlT_T0_SG_SL_E_clISA_SA_SB_SB_EEDaSZ_S10_SG_SL_EUlSZ_E_NS1_11comp_targetILNS1_3genE2ELNS1_11target_archE906ELNS1_3gpuE6ELNS1_3repE0EEENS1_47radix_sort_onesweep_sort_config_static_selectorELNS0_4arch9wavefront6targetE0EEEvSG_.num_named_barrier, 0
	.set _ZN7rocprim17ROCPRIM_400000_NS6detail17trampoline_kernelINS0_14default_configENS1_35radix_sort_onesweep_config_selectorIjNS0_10empty_typeEEEZZNS1_29radix_sort_onesweep_iterationIS3_Lb0EPKjPjPS5_SB_mNS0_19identity_decomposerENS1_16block_id_wrapperIjLb1EEEEE10hipError_tT1_PNSt15iterator_traitsISG_E10value_typeET2_T3_PNSH_ISM_E10value_typeET4_T5_PSR_SS_PNS1_23onesweep_lookback_stateEbbT6_jjT7_P12ihipStream_tbENKUlT_T0_SG_SL_E_clISA_SA_SB_SB_EEDaSZ_S10_SG_SL_EUlSZ_E_NS1_11comp_targetILNS1_3genE2ELNS1_11target_archE906ELNS1_3gpuE6ELNS1_3repE0EEENS1_47radix_sort_onesweep_sort_config_static_selectorELNS0_4arch9wavefront6targetE0EEEvSG_.private_seg_size, 0
	.set _ZN7rocprim17ROCPRIM_400000_NS6detail17trampoline_kernelINS0_14default_configENS1_35radix_sort_onesweep_config_selectorIjNS0_10empty_typeEEEZZNS1_29radix_sort_onesweep_iterationIS3_Lb0EPKjPjPS5_SB_mNS0_19identity_decomposerENS1_16block_id_wrapperIjLb1EEEEE10hipError_tT1_PNSt15iterator_traitsISG_E10value_typeET2_T3_PNSH_ISM_E10value_typeET4_T5_PSR_SS_PNS1_23onesweep_lookback_stateEbbT6_jjT7_P12ihipStream_tbENKUlT_T0_SG_SL_E_clISA_SA_SB_SB_EEDaSZ_S10_SG_SL_EUlSZ_E_NS1_11comp_targetILNS1_3genE2ELNS1_11target_archE906ELNS1_3gpuE6ELNS1_3repE0EEENS1_47radix_sort_onesweep_sort_config_static_selectorELNS0_4arch9wavefront6targetE0EEEvSG_.uses_vcc, 0
	.set _ZN7rocprim17ROCPRIM_400000_NS6detail17trampoline_kernelINS0_14default_configENS1_35radix_sort_onesweep_config_selectorIjNS0_10empty_typeEEEZZNS1_29radix_sort_onesweep_iterationIS3_Lb0EPKjPjPS5_SB_mNS0_19identity_decomposerENS1_16block_id_wrapperIjLb1EEEEE10hipError_tT1_PNSt15iterator_traitsISG_E10value_typeET2_T3_PNSH_ISM_E10value_typeET4_T5_PSR_SS_PNS1_23onesweep_lookback_stateEbbT6_jjT7_P12ihipStream_tbENKUlT_T0_SG_SL_E_clISA_SA_SB_SB_EEDaSZ_S10_SG_SL_EUlSZ_E_NS1_11comp_targetILNS1_3genE2ELNS1_11target_archE906ELNS1_3gpuE6ELNS1_3repE0EEENS1_47radix_sort_onesweep_sort_config_static_selectorELNS0_4arch9wavefront6targetE0EEEvSG_.uses_flat_scratch, 0
	.set _ZN7rocprim17ROCPRIM_400000_NS6detail17trampoline_kernelINS0_14default_configENS1_35radix_sort_onesweep_config_selectorIjNS0_10empty_typeEEEZZNS1_29radix_sort_onesweep_iterationIS3_Lb0EPKjPjPS5_SB_mNS0_19identity_decomposerENS1_16block_id_wrapperIjLb1EEEEE10hipError_tT1_PNSt15iterator_traitsISG_E10value_typeET2_T3_PNSH_ISM_E10value_typeET4_T5_PSR_SS_PNS1_23onesweep_lookback_stateEbbT6_jjT7_P12ihipStream_tbENKUlT_T0_SG_SL_E_clISA_SA_SB_SB_EEDaSZ_S10_SG_SL_EUlSZ_E_NS1_11comp_targetILNS1_3genE2ELNS1_11target_archE906ELNS1_3gpuE6ELNS1_3repE0EEENS1_47radix_sort_onesweep_sort_config_static_selectorELNS0_4arch9wavefront6targetE0EEEvSG_.has_dyn_sized_stack, 0
	.set _ZN7rocprim17ROCPRIM_400000_NS6detail17trampoline_kernelINS0_14default_configENS1_35radix_sort_onesweep_config_selectorIjNS0_10empty_typeEEEZZNS1_29radix_sort_onesweep_iterationIS3_Lb0EPKjPjPS5_SB_mNS0_19identity_decomposerENS1_16block_id_wrapperIjLb1EEEEE10hipError_tT1_PNSt15iterator_traitsISG_E10value_typeET2_T3_PNSH_ISM_E10value_typeET4_T5_PSR_SS_PNS1_23onesweep_lookback_stateEbbT6_jjT7_P12ihipStream_tbENKUlT_T0_SG_SL_E_clISA_SA_SB_SB_EEDaSZ_S10_SG_SL_EUlSZ_E_NS1_11comp_targetILNS1_3genE2ELNS1_11target_archE906ELNS1_3gpuE6ELNS1_3repE0EEENS1_47radix_sort_onesweep_sort_config_static_selectorELNS0_4arch9wavefront6targetE0EEEvSG_.has_recursion, 0
	.set _ZN7rocprim17ROCPRIM_400000_NS6detail17trampoline_kernelINS0_14default_configENS1_35radix_sort_onesweep_config_selectorIjNS0_10empty_typeEEEZZNS1_29radix_sort_onesweep_iterationIS3_Lb0EPKjPjPS5_SB_mNS0_19identity_decomposerENS1_16block_id_wrapperIjLb1EEEEE10hipError_tT1_PNSt15iterator_traitsISG_E10value_typeET2_T3_PNSH_ISM_E10value_typeET4_T5_PSR_SS_PNS1_23onesweep_lookback_stateEbbT6_jjT7_P12ihipStream_tbENKUlT_T0_SG_SL_E_clISA_SA_SB_SB_EEDaSZ_S10_SG_SL_EUlSZ_E_NS1_11comp_targetILNS1_3genE2ELNS1_11target_archE906ELNS1_3gpuE6ELNS1_3repE0EEENS1_47radix_sort_onesweep_sort_config_static_selectorELNS0_4arch9wavefront6targetE0EEEvSG_.has_indirect_call, 0
	.section	.AMDGPU.csdata,"",@progbits
; Kernel info:
; codeLenInByte = 0
; TotalNumSgprs: 0
; NumVgprs: 0
; ScratchSize: 0
; MemoryBound: 0
; FloatMode: 240
; IeeeMode: 1
; LDSByteSize: 0 bytes/workgroup (compile time only)
; SGPRBlocks: 0
; VGPRBlocks: 0
; NumSGPRsForWavesPerEU: 1
; NumVGPRsForWavesPerEU: 1
; NamedBarCnt: 0
; Occupancy: 16
; WaveLimiterHint : 0
; COMPUTE_PGM_RSRC2:SCRATCH_EN: 0
; COMPUTE_PGM_RSRC2:USER_SGPR: 2
; COMPUTE_PGM_RSRC2:TRAP_HANDLER: 0
; COMPUTE_PGM_RSRC2:TGID_X_EN: 1
; COMPUTE_PGM_RSRC2:TGID_Y_EN: 0
; COMPUTE_PGM_RSRC2:TGID_Z_EN: 0
; COMPUTE_PGM_RSRC2:TIDIG_COMP_CNT: 0
	.section	.text._ZN7rocprim17ROCPRIM_400000_NS6detail17trampoline_kernelINS0_14default_configENS1_35radix_sort_onesweep_config_selectorIjNS0_10empty_typeEEEZZNS1_29radix_sort_onesweep_iterationIS3_Lb0EPKjPjPS5_SB_mNS0_19identity_decomposerENS1_16block_id_wrapperIjLb1EEEEE10hipError_tT1_PNSt15iterator_traitsISG_E10value_typeET2_T3_PNSH_ISM_E10value_typeET4_T5_PSR_SS_PNS1_23onesweep_lookback_stateEbbT6_jjT7_P12ihipStream_tbENKUlT_T0_SG_SL_E_clISA_SA_SB_SB_EEDaSZ_S10_SG_SL_EUlSZ_E_NS1_11comp_targetILNS1_3genE4ELNS1_11target_archE910ELNS1_3gpuE8ELNS1_3repE0EEENS1_47radix_sort_onesweep_sort_config_static_selectorELNS0_4arch9wavefront6targetE0EEEvSG_,"axG",@progbits,_ZN7rocprim17ROCPRIM_400000_NS6detail17trampoline_kernelINS0_14default_configENS1_35radix_sort_onesweep_config_selectorIjNS0_10empty_typeEEEZZNS1_29radix_sort_onesweep_iterationIS3_Lb0EPKjPjPS5_SB_mNS0_19identity_decomposerENS1_16block_id_wrapperIjLb1EEEEE10hipError_tT1_PNSt15iterator_traitsISG_E10value_typeET2_T3_PNSH_ISM_E10value_typeET4_T5_PSR_SS_PNS1_23onesweep_lookback_stateEbbT6_jjT7_P12ihipStream_tbENKUlT_T0_SG_SL_E_clISA_SA_SB_SB_EEDaSZ_S10_SG_SL_EUlSZ_E_NS1_11comp_targetILNS1_3genE4ELNS1_11target_archE910ELNS1_3gpuE8ELNS1_3repE0EEENS1_47radix_sort_onesweep_sort_config_static_selectorELNS0_4arch9wavefront6targetE0EEEvSG_,comdat
	.protected	_ZN7rocprim17ROCPRIM_400000_NS6detail17trampoline_kernelINS0_14default_configENS1_35radix_sort_onesweep_config_selectorIjNS0_10empty_typeEEEZZNS1_29radix_sort_onesweep_iterationIS3_Lb0EPKjPjPS5_SB_mNS0_19identity_decomposerENS1_16block_id_wrapperIjLb1EEEEE10hipError_tT1_PNSt15iterator_traitsISG_E10value_typeET2_T3_PNSH_ISM_E10value_typeET4_T5_PSR_SS_PNS1_23onesweep_lookback_stateEbbT6_jjT7_P12ihipStream_tbENKUlT_T0_SG_SL_E_clISA_SA_SB_SB_EEDaSZ_S10_SG_SL_EUlSZ_E_NS1_11comp_targetILNS1_3genE4ELNS1_11target_archE910ELNS1_3gpuE8ELNS1_3repE0EEENS1_47radix_sort_onesweep_sort_config_static_selectorELNS0_4arch9wavefront6targetE0EEEvSG_ ; -- Begin function _ZN7rocprim17ROCPRIM_400000_NS6detail17trampoline_kernelINS0_14default_configENS1_35radix_sort_onesweep_config_selectorIjNS0_10empty_typeEEEZZNS1_29radix_sort_onesweep_iterationIS3_Lb0EPKjPjPS5_SB_mNS0_19identity_decomposerENS1_16block_id_wrapperIjLb1EEEEE10hipError_tT1_PNSt15iterator_traitsISG_E10value_typeET2_T3_PNSH_ISM_E10value_typeET4_T5_PSR_SS_PNS1_23onesweep_lookback_stateEbbT6_jjT7_P12ihipStream_tbENKUlT_T0_SG_SL_E_clISA_SA_SB_SB_EEDaSZ_S10_SG_SL_EUlSZ_E_NS1_11comp_targetILNS1_3genE4ELNS1_11target_archE910ELNS1_3gpuE8ELNS1_3repE0EEENS1_47radix_sort_onesweep_sort_config_static_selectorELNS0_4arch9wavefront6targetE0EEEvSG_
	.globl	_ZN7rocprim17ROCPRIM_400000_NS6detail17trampoline_kernelINS0_14default_configENS1_35radix_sort_onesweep_config_selectorIjNS0_10empty_typeEEEZZNS1_29radix_sort_onesweep_iterationIS3_Lb0EPKjPjPS5_SB_mNS0_19identity_decomposerENS1_16block_id_wrapperIjLb1EEEEE10hipError_tT1_PNSt15iterator_traitsISG_E10value_typeET2_T3_PNSH_ISM_E10value_typeET4_T5_PSR_SS_PNS1_23onesweep_lookback_stateEbbT6_jjT7_P12ihipStream_tbENKUlT_T0_SG_SL_E_clISA_SA_SB_SB_EEDaSZ_S10_SG_SL_EUlSZ_E_NS1_11comp_targetILNS1_3genE4ELNS1_11target_archE910ELNS1_3gpuE8ELNS1_3repE0EEENS1_47radix_sort_onesweep_sort_config_static_selectorELNS0_4arch9wavefront6targetE0EEEvSG_
	.p2align	8
	.type	_ZN7rocprim17ROCPRIM_400000_NS6detail17trampoline_kernelINS0_14default_configENS1_35radix_sort_onesweep_config_selectorIjNS0_10empty_typeEEEZZNS1_29radix_sort_onesweep_iterationIS3_Lb0EPKjPjPS5_SB_mNS0_19identity_decomposerENS1_16block_id_wrapperIjLb1EEEEE10hipError_tT1_PNSt15iterator_traitsISG_E10value_typeET2_T3_PNSH_ISM_E10value_typeET4_T5_PSR_SS_PNS1_23onesweep_lookback_stateEbbT6_jjT7_P12ihipStream_tbENKUlT_T0_SG_SL_E_clISA_SA_SB_SB_EEDaSZ_S10_SG_SL_EUlSZ_E_NS1_11comp_targetILNS1_3genE4ELNS1_11target_archE910ELNS1_3gpuE8ELNS1_3repE0EEENS1_47radix_sort_onesweep_sort_config_static_selectorELNS0_4arch9wavefront6targetE0EEEvSG_,@function
_ZN7rocprim17ROCPRIM_400000_NS6detail17trampoline_kernelINS0_14default_configENS1_35radix_sort_onesweep_config_selectorIjNS0_10empty_typeEEEZZNS1_29radix_sort_onesweep_iterationIS3_Lb0EPKjPjPS5_SB_mNS0_19identity_decomposerENS1_16block_id_wrapperIjLb1EEEEE10hipError_tT1_PNSt15iterator_traitsISG_E10value_typeET2_T3_PNSH_ISM_E10value_typeET4_T5_PSR_SS_PNS1_23onesweep_lookback_stateEbbT6_jjT7_P12ihipStream_tbENKUlT_T0_SG_SL_E_clISA_SA_SB_SB_EEDaSZ_S10_SG_SL_EUlSZ_E_NS1_11comp_targetILNS1_3genE4ELNS1_11target_archE910ELNS1_3gpuE8ELNS1_3repE0EEENS1_47radix_sort_onesweep_sort_config_static_selectorELNS0_4arch9wavefront6targetE0EEEvSG_: ; @_ZN7rocprim17ROCPRIM_400000_NS6detail17trampoline_kernelINS0_14default_configENS1_35radix_sort_onesweep_config_selectorIjNS0_10empty_typeEEEZZNS1_29radix_sort_onesweep_iterationIS3_Lb0EPKjPjPS5_SB_mNS0_19identity_decomposerENS1_16block_id_wrapperIjLb1EEEEE10hipError_tT1_PNSt15iterator_traitsISG_E10value_typeET2_T3_PNSH_ISM_E10value_typeET4_T5_PSR_SS_PNS1_23onesweep_lookback_stateEbbT6_jjT7_P12ihipStream_tbENKUlT_T0_SG_SL_E_clISA_SA_SB_SB_EEDaSZ_S10_SG_SL_EUlSZ_E_NS1_11comp_targetILNS1_3genE4ELNS1_11target_archE910ELNS1_3gpuE8ELNS1_3repE0EEENS1_47radix_sort_onesweep_sort_config_static_selectorELNS0_4arch9wavefront6targetE0EEEvSG_
; %bb.0:
	.section	.rodata,"a",@progbits
	.p2align	6, 0x0
	.amdhsa_kernel _ZN7rocprim17ROCPRIM_400000_NS6detail17trampoline_kernelINS0_14default_configENS1_35radix_sort_onesweep_config_selectorIjNS0_10empty_typeEEEZZNS1_29radix_sort_onesweep_iterationIS3_Lb0EPKjPjPS5_SB_mNS0_19identity_decomposerENS1_16block_id_wrapperIjLb1EEEEE10hipError_tT1_PNSt15iterator_traitsISG_E10value_typeET2_T3_PNSH_ISM_E10value_typeET4_T5_PSR_SS_PNS1_23onesweep_lookback_stateEbbT6_jjT7_P12ihipStream_tbENKUlT_T0_SG_SL_E_clISA_SA_SB_SB_EEDaSZ_S10_SG_SL_EUlSZ_E_NS1_11comp_targetILNS1_3genE4ELNS1_11target_archE910ELNS1_3gpuE8ELNS1_3repE0EEENS1_47radix_sort_onesweep_sort_config_static_selectorELNS0_4arch9wavefront6targetE0EEEvSG_
		.amdhsa_group_segment_fixed_size 0
		.amdhsa_private_segment_fixed_size 0
		.amdhsa_kernarg_size 88
		.amdhsa_user_sgpr_count 2
		.amdhsa_user_sgpr_dispatch_ptr 0
		.amdhsa_user_sgpr_queue_ptr 0
		.amdhsa_user_sgpr_kernarg_segment_ptr 1
		.amdhsa_user_sgpr_dispatch_id 0
		.amdhsa_user_sgpr_kernarg_preload_length 0
		.amdhsa_user_sgpr_kernarg_preload_offset 0
		.amdhsa_user_sgpr_private_segment_size 0
		.amdhsa_wavefront_size32 1
		.amdhsa_uses_dynamic_stack 0
		.amdhsa_enable_private_segment 0
		.amdhsa_system_sgpr_workgroup_id_x 1
		.amdhsa_system_sgpr_workgroup_id_y 0
		.amdhsa_system_sgpr_workgroup_id_z 0
		.amdhsa_system_sgpr_workgroup_info 0
		.amdhsa_system_vgpr_workitem_id 0
		.amdhsa_next_free_vgpr 1
		.amdhsa_next_free_sgpr 1
		.amdhsa_named_barrier_count 0
		.amdhsa_reserve_vcc 0
		.amdhsa_float_round_mode_32 0
		.amdhsa_float_round_mode_16_64 0
		.amdhsa_float_denorm_mode_32 3
		.amdhsa_float_denorm_mode_16_64 3
		.amdhsa_fp16_overflow 0
		.amdhsa_memory_ordered 1
		.amdhsa_forward_progress 1
		.amdhsa_inst_pref_size 0
		.amdhsa_round_robin_scheduling 0
		.amdhsa_exception_fp_ieee_invalid_op 0
		.amdhsa_exception_fp_denorm_src 0
		.amdhsa_exception_fp_ieee_div_zero 0
		.amdhsa_exception_fp_ieee_overflow 0
		.amdhsa_exception_fp_ieee_underflow 0
		.amdhsa_exception_fp_ieee_inexact 0
		.amdhsa_exception_int_div_zero 0
	.end_amdhsa_kernel
	.section	.text._ZN7rocprim17ROCPRIM_400000_NS6detail17trampoline_kernelINS0_14default_configENS1_35radix_sort_onesweep_config_selectorIjNS0_10empty_typeEEEZZNS1_29radix_sort_onesweep_iterationIS3_Lb0EPKjPjPS5_SB_mNS0_19identity_decomposerENS1_16block_id_wrapperIjLb1EEEEE10hipError_tT1_PNSt15iterator_traitsISG_E10value_typeET2_T3_PNSH_ISM_E10value_typeET4_T5_PSR_SS_PNS1_23onesweep_lookback_stateEbbT6_jjT7_P12ihipStream_tbENKUlT_T0_SG_SL_E_clISA_SA_SB_SB_EEDaSZ_S10_SG_SL_EUlSZ_E_NS1_11comp_targetILNS1_3genE4ELNS1_11target_archE910ELNS1_3gpuE8ELNS1_3repE0EEENS1_47radix_sort_onesweep_sort_config_static_selectorELNS0_4arch9wavefront6targetE0EEEvSG_,"axG",@progbits,_ZN7rocprim17ROCPRIM_400000_NS6detail17trampoline_kernelINS0_14default_configENS1_35radix_sort_onesweep_config_selectorIjNS0_10empty_typeEEEZZNS1_29radix_sort_onesweep_iterationIS3_Lb0EPKjPjPS5_SB_mNS0_19identity_decomposerENS1_16block_id_wrapperIjLb1EEEEE10hipError_tT1_PNSt15iterator_traitsISG_E10value_typeET2_T3_PNSH_ISM_E10value_typeET4_T5_PSR_SS_PNS1_23onesweep_lookback_stateEbbT6_jjT7_P12ihipStream_tbENKUlT_T0_SG_SL_E_clISA_SA_SB_SB_EEDaSZ_S10_SG_SL_EUlSZ_E_NS1_11comp_targetILNS1_3genE4ELNS1_11target_archE910ELNS1_3gpuE8ELNS1_3repE0EEENS1_47radix_sort_onesweep_sort_config_static_selectorELNS0_4arch9wavefront6targetE0EEEvSG_,comdat
.Lfunc_end2757:
	.size	_ZN7rocprim17ROCPRIM_400000_NS6detail17trampoline_kernelINS0_14default_configENS1_35radix_sort_onesweep_config_selectorIjNS0_10empty_typeEEEZZNS1_29radix_sort_onesweep_iterationIS3_Lb0EPKjPjPS5_SB_mNS0_19identity_decomposerENS1_16block_id_wrapperIjLb1EEEEE10hipError_tT1_PNSt15iterator_traitsISG_E10value_typeET2_T3_PNSH_ISM_E10value_typeET4_T5_PSR_SS_PNS1_23onesweep_lookback_stateEbbT6_jjT7_P12ihipStream_tbENKUlT_T0_SG_SL_E_clISA_SA_SB_SB_EEDaSZ_S10_SG_SL_EUlSZ_E_NS1_11comp_targetILNS1_3genE4ELNS1_11target_archE910ELNS1_3gpuE8ELNS1_3repE0EEENS1_47radix_sort_onesweep_sort_config_static_selectorELNS0_4arch9wavefront6targetE0EEEvSG_, .Lfunc_end2757-_ZN7rocprim17ROCPRIM_400000_NS6detail17trampoline_kernelINS0_14default_configENS1_35radix_sort_onesweep_config_selectorIjNS0_10empty_typeEEEZZNS1_29radix_sort_onesweep_iterationIS3_Lb0EPKjPjPS5_SB_mNS0_19identity_decomposerENS1_16block_id_wrapperIjLb1EEEEE10hipError_tT1_PNSt15iterator_traitsISG_E10value_typeET2_T3_PNSH_ISM_E10value_typeET4_T5_PSR_SS_PNS1_23onesweep_lookback_stateEbbT6_jjT7_P12ihipStream_tbENKUlT_T0_SG_SL_E_clISA_SA_SB_SB_EEDaSZ_S10_SG_SL_EUlSZ_E_NS1_11comp_targetILNS1_3genE4ELNS1_11target_archE910ELNS1_3gpuE8ELNS1_3repE0EEENS1_47radix_sort_onesweep_sort_config_static_selectorELNS0_4arch9wavefront6targetE0EEEvSG_
                                        ; -- End function
	.set _ZN7rocprim17ROCPRIM_400000_NS6detail17trampoline_kernelINS0_14default_configENS1_35radix_sort_onesweep_config_selectorIjNS0_10empty_typeEEEZZNS1_29radix_sort_onesweep_iterationIS3_Lb0EPKjPjPS5_SB_mNS0_19identity_decomposerENS1_16block_id_wrapperIjLb1EEEEE10hipError_tT1_PNSt15iterator_traitsISG_E10value_typeET2_T3_PNSH_ISM_E10value_typeET4_T5_PSR_SS_PNS1_23onesweep_lookback_stateEbbT6_jjT7_P12ihipStream_tbENKUlT_T0_SG_SL_E_clISA_SA_SB_SB_EEDaSZ_S10_SG_SL_EUlSZ_E_NS1_11comp_targetILNS1_3genE4ELNS1_11target_archE910ELNS1_3gpuE8ELNS1_3repE0EEENS1_47radix_sort_onesweep_sort_config_static_selectorELNS0_4arch9wavefront6targetE0EEEvSG_.num_vgpr, 0
	.set _ZN7rocprim17ROCPRIM_400000_NS6detail17trampoline_kernelINS0_14default_configENS1_35radix_sort_onesweep_config_selectorIjNS0_10empty_typeEEEZZNS1_29radix_sort_onesweep_iterationIS3_Lb0EPKjPjPS5_SB_mNS0_19identity_decomposerENS1_16block_id_wrapperIjLb1EEEEE10hipError_tT1_PNSt15iterator_traitsISG_E10value_typeET2_T3_PNSH_ISM_E10value_typeET4_T5_PSR_SS_PNS1_23onesweep_lookback_stateEbbT6_jjT7_P12ihipStream_tbENKUlT_T0_SG_SL_E_clISA_SA_SB_SB_EEDaSZ_S10_SG_SL_EUlSZ_E_NS1_11comp_targetILNS1_3genE4ELNS1_11target_archE910ELNS1_3gpuE8ELNS1_3repE0EEENS1_47radix_sort_onesweep_sort_config_static_selectorELNS0_4arch9wavefront6targetE0EEEvSG_.num_agpr, 0
	.set _ZN7rocprim17ROCPRIM_400000_NS6detail17trampoline_kernelINS0_14default_configENS1_35radix_sort_onesweep_config_selectorIjNS0_10empty_typeEEEZZNS1_29radix_sort_onesweep_iterationIS3_Lb0EPKjPjPS5_SB_mNS0_19identity_decomposerENS1_16block_id_wrapperIjLb1EEEEE10hipError_tT1_PNSt15iterator_traitsISG_E10value_typeET2_T3_PNSH_ISM_E10value_typeET4_T5_PSR_SS_PNS1_23onesweep_lookback_stateEbbT6_jjT7_P12ihipStream_tbENKUlT_T0_SG_SL_E_clISA_SA_SB_SB_EEDaSZ_S10_SG_SL_EUlSZ_E_NS1_11comp_targetILNS1_3genE4ELNS1_11target_archE910ELNS1_3gpuE8ELNS1_3repE0EEENS1_47radix_sort_onesweep_sort_config_static_selectorELNS0_4arch9wavefront6targetE0EEEvSG_.numbered_sgpr, 0
	.set _ZN7rocprim17ROCPRIM_400000_NS6detail17trampoline_kernelINS0_14default_configENS1_35radix_sort_onesweep_config_selectorIjNS0_10empty_typeEEEZZNS1_29radix_sort_onesweep_iterationIS3_Lb0EPKjPjPS5_SB_mNS0_19identity_decomposerENS1_16block_id_wrapperIjLb1EEEEE10hipError_tT1_PNSt15iterator_traitsISG_E10value_typeET2_T3_PNSH_ISM_E10value_typeET4_T5_PSR_SS_PNS1_23onesweep_lookback_stateEbbT6_jjT7_P12ihipStream_tbENKUlT_T0_SG_SL_E_clISA_SA_SB_SB_EEDaSZ_S10_SG_SL_EUlSZ_E_NS1_11comp_targetILNS1_3genE4ELNS1_11target_archE910ELNS1_3gpuE8ELNS1_3repE0EEENS1_47radix_sort_onesweep_sort_config_static_selectorELNS0_4arch9wavefront6targetE0EEEvSG_.num_named_barrier, 0
	.set _ZN7rocprim17ROCPRIM_400000_NS6detail17trampoline_kernelINS0_14default_configENS1_35radix_sort_onesweep_config_selectorIjNS0_10empty_typeEEEZZNS1_29radix_sort_onesweep_iterationIS3_Lb0EPKjPjPS5_SB_mNS0_19identity_decomposerENS1_16block_id_wrapperIjLb1EEEEE10hipError_tT1_PNSt15iterator_traitsISG_E10value_typeET2_T3_PNSH_ISM_E10value_typeET4_T5_PSR_SS_PNS1_23onesweep_lookback_stateEbbT6_jjT7_P12ihipStream_tbENKUlT_T0_SG_SL_E_clISA_SA_SB_SB_EEDaSZ_S10_SG_SL_EUlSZ_E_NS1_11comp_targetILNS1_3genE4ELNS1_11target_archE910ELNS1_3gpuE8ELNS1_3repE0EEENS1_47radix_sort_onesweep_sort_config_static_selectorELNS0_4arch9wavefront6targetE0EEEvSG_.private_seg_size, 0
	.set _ZN7rocprim17ROCPRIM_400000_NS6detail17trampoline_kernelINS0_14default_configENS1_35radix_sort_onesweep_config_selectorIjNS0_10empty_typeEEEZZNS1_29radix_sort_onesweep_iterationIS3_Lb0EPKjPjPS5_SB_mNS0_19identity_decomposerENS1_16block_id_wrapperIjLb1EEEEE10hipError_tT1_PNSt15iterator_traitsISG_E10value_typeET2_T3_PNSH_ISM_E10value_typeET4_T5_PSR_SS_PNS1_23onesweep_lookback_stateEbbT6_jjT7_P12ihipStream_tbENKUlT_T0_SG_SL_E_clISA_SA_SB_SB_EEDaSZ_S10_SG_SL_EUlSZ_E_NS1_11comp_targetILNS1_3genE4ELNS1_11target_archE910ELNS1_3gpuE8ELNS1_3repE0EEENS1_47radix_sort_onesweep_sort_config_static_selectorELNS0_4arch9wavefront6targetE0EEEvSG_.uses_vcc, 0
	.set _ZN7rocprim17ROCPRIM_400000_NS6detail17trampoline_kernelINS0_14default_configENS1_35radix_sort_onesweep_config_selectorIjNS0_10empty_typeEEEZZNS1_29radix_sort_onesweep_iterationIS3_Lb0EPKjPjPS5_SB_mNS0_19identity_decomposerENS1_16block_id_wrapperIjLb1EEEEE10hipError_tT1_PNSt15iterator_traitsISG_E10value_typeET2_T3_PNSH_ISM_E10value_typeET4_T5_PSR_SS_PNS1_23onesweep_lookback_stateEbbT6_jjT7_P12ihipStream_tbENKUlT_T0_SG_SL_E_clISA_SA_SB_SB_EEDaSZ_S10_SG_SL_EUlSZ_E_NS1_11comp_targetILNS1_3genE4ELNS1_11target_archE910ELNS1_3gpuE8ELNS1_3repE0EEENS1_47radix_sort_onesweep_sort_config_static_selectorELNS0_4arch9wavefront6targetE0EEEvSG_.uses_flat_scratch, 0
	.set _ZN7rocprim17ROCPRIM_400000_NS6detail17trampoline_kernelINS0_14default_configENS1_35radix_sort_onesweep_config_selectorIjNS0_10empty_typeEEEZZNS1_29radix_sort_onesweep_iterationIS3_Lb0EPKjPjPS5_SB_mNS0_19identity_decomposerENS1_16block_id_wrapperIjLb1EEEEE10hipError_tT1_PNSt15iterator_traitsISG_E10value_typeET2_T3_PNSH_ISM_E10value_typeET4_T5_PSR_SS_PNS1_23onesweep_lookback_stateEbbT6_jjT7_P12ihipStream_tbENKUlT_T0_SG_SL_E_clISA_SA_SB_SB_EEDaSZ_S10_SG_SL_EUlSZ_E_NS1_11comp_targetILNS1_3genE4ELNS1_11target_archE910ELNS1_3gpuE8ELNS1_3repE0EEENS1_47radix_sort_onesweep_sort_config_static_selectorELNS0_4arch9wavefront6targetE0EEEvSG_.has_dyn_sized_stack, 0
	.set _ZN7rocprim17ROCPRIM_400000_NS6detail17trampoline_kernelINS0_14default_configENS1_35radix_sort_onesweep_config_selectorIjNS0_10empty_typeEEEZZNS1_29radix_sort_onesweep_iterationIS3_Lb0EPKjPjPS5_SB_mNS0_19identity_decomposerENS1_16block_id_wrapperIjLb1EEEEE10hipError_tT1_PNSt15iterator_traitsISG_E10value_typeET2_T3_PNSH_ISM_E10value_typeET4_T5_PSR_SS_PNS1_23onesweep_lookback_stateEbbT6_jjT7_P12ihipStream_tbENKUlT_T0_SG_SL_E_clISA_SA_SB_SB_EEDaSZ_S10_SG_SL_EUlSZ_E_NS1_11comp_targetILNS1_3genE4ELNS1_11target_archE910ELNS1_3gpuE8ELNS1_3repE0EEENS1_47radix_sort_onesweep_sort_config_static_selectorELNS0_4arch9wavefront6targetE0EEEvSG_.has_recursion, 0
	.set _ZN7rocprim17ROCPRIM_400000_NS6detail17trampoline_kernelINS0_14default_configENS1_35radix_sort_onesweep_config_selectorIjNS0_10empty_typeEEEZZNS1_29radix_sort_onesweep_iterationIS3_Lb0EPKjPjPS5_SB_mNS0_19identity_decomposerENS1_16block_id_wrapperIjLb1EEEEE10hipError_tT1_PNSt15iterator_traitsISG_E10value_typeET2_T3_PNSH_ISM_E10value_typeET4_T5_PSR_SS_PNS1_23onesweep_lookback_stateEbbT6_jjT7_P12ihipStream_tbENKUlT_T0_SG_SL_E_clISA_SA_SB_SB_EEDaSZ_S10_SG_SL_EUlSZ_E_NS1_11comp_targetILNS1_3genE4ELNS1_11target_archE910ELNS1_3gpuE8ELNS1_3repE0EEENS1_47radix_sort_onesweep_sort_config_static_selectorELNS0_4arch9wavefront6targetE0EEEvSG_.has_indirect_call, 0
	.section	.AMDGPU.csdata,"",@progbits
; Kernel info:
; codeLenInByte = 0
; TotalNumSgprs: 0
; NumVgprs: 0
; ScratchSize: 0
; MemoryBound: 0
; FloatMode: 240
; IeeeMode: 1
; LDSByteSize: 0 bytes/workgroup (compile time only)
; SGPRBlocks: 0
; VGPRBlocks: 0
; NumSGPRsForWavesPerEU: 1
; NumVGPRsForWavesPerEU: 1
; NamedBarCnt: 0
; Occupancy: 16
; WaveLimiterHint : 0
; COMPUTE_PGM_RSRC2:SCRATCH_EN: 0
; COMPUTE_PGM_RSRC2:USER_SGPR: 2
; COMPUTE_PGM_RSRC2:TRAP_HANDLER: 0
; COMPUTE_PGM_RSRC2:TGID_X_EN: 1
; COMPUTE_PGM_RSRC2:TGID_Y_EN: 0
; COMPUTE_PGM_RSRC2:TGID_Z_EN: 0
; COMPUTE_PGM_RSRC2:TIDIG_COMP_CNT: 0
	.section	.text._ZN7rocprim17ROCPRIM_400000_NS6detail17trampoline_kernelINS0_14default_configENS1_35radix_sort_onesweep_config_selectorIjNS0_10empty_typeEEEZZNS1_29radix_sort_onesweep_iterationIS3_Lb0EPKjPjPS5_SB_mNS0_19identity_decomposerENS1_16block_id_wrapperIjLb1EEEEE10hipError_tT1_PNSt15iterator_traitsISG_E10value_typeET2_T3_PNSH_ISM_E10value_typeET4_T5_PSR_SS_PNS1_23onesweep_lookback_stateEbbT6_jjT7_P12ihipStream_tbENKUlT_T0_SG_SL_E_clISA_SA_SB_SB_EEDaSZ_S10_SG_SL_EUlSZ_E_NS1_11comp_targetILNS1_3genE3ELNS1_11target_archE908ELNS1_3gpuE7ELNS1_3repE0EEENS1_47radix_sort_onesweep_sort_config_static_selectorELNS0_4arch9wavefront6targetE0EEEvSG_,"axG",@progbits,_ZN7rocprim17ROCPRIM_400000_NS6detail17trampoline_kernelINS0_14default_configENS1_35radix_sort_onesweep_config_selectorIjNS0_10empty_typeEEEZZNS1_29radix_sort_onesweep_iterationIS3_Lb0EPKjPjPS5_SB_mNS0_19identity_decomposerENS1_16block_id_wrapperIjLb1EEEEE10hipError_tT1_PNSt15iterator_traitsISG_E10value_typeET2_T3_PNSH_ISM_E10value_typeET4_T5_PSR_SS_PNS1_23onesweep_lookback_stateEbbT6_jjT7_P12ihipStream_tbENKUlT_T0_SG_SL_E_clISA_SA_SB_SB_EEDaSZ_S10_SG_SL_EUlSZ_E_NS1_11comp_targetILNS1_3genE3ELNS1_11target_archE908ELNS1_3gpuE7ELNS1_3repE0EEENS1_47radix_sort_onesweep_sort_config_static_selectorELNS0_4arch9wavefront6targetE0EEEvSG_,comdat
	.protected	_ZN7rocprim17ROCPRIM_400000_NS6detail17trampoline_kernelINS0_14default_configENS1_35radix_sort_onesweep_config_selectorIjNS0_10empty_typeEEEZZNS1_29radix_sort_onesweep_iterationIS3_Lb0EPKjPjPS5_SB_mNS0_19identity_decomposerENS1_16block_id_wrapperIjLb1EEEEE10hipError_tT1_PNSt15iterator_traitsISG_E10value_typeET2_T3_PNSH_ISM_E10value_typeET4_T5_PSR_SS_PNS1_23onesweep_lookback_stateEbbT6_jjT7_P12ihipStream_tbENKUlT_T0_SG_SL_E_clISA_SA_SB_SB_EEDaSZ_S10_SG_SL_EUlSZ_E_NS1_11comp_targetILNS1_3genE3ELNS1_11target_archE908ELNS1_3gpuE7ELNS1_3repE0EEENS1_47radix_sort_onesweep_sort_config_static_selectorELNS0_4arch9wavefront6targetE0EEEvSG_ ; -- Begin function _ZN7rocprim17ROCPRIM_400000_NS6detail17trampoline_kernelINS0_14default_configENS1_35radix_sort_onesweep_config_selectorIjNS0_10empty_typeEEEZZNS1_29radix_sort_onesweep_iterationIS3_Lb0EPKjPjPS5_SB_mNS0_19identity_decomposerENS1_16block_id_wrapperIjLb1EEEEE10hipError_tT1_PNSt15iterator_traitsISG_E10value_typeET2_T3_PNSH_ISM_E10value_typeET4_T5_PSR_SS_PNS1_23onesweep_lookback_stateEbbT6_jjT7_P12ihipStream_tbENKUlT_T0_SG_SL_E_clISA_SA_SB_SB_EEDaSZ_S10_SG_SL_EUlSZ_E_NS1_11comp_targetILNS1_3genE3ELNS1_11target_archE908ELNS1_3gpuE7ELNS1_3repE0EEENS1_47radix_sort_onesweep_sort_config_static_selectorELNS0_4arch9wavefront6targetE0EEEvSG_
	.globl	_ZN7rocprim17ROCPRIM_400000_NS6detail17trampoline_kernelINS0_14default_configENS1_35radix_sort_onesweep_config_selectorIjNS0_10empty_typeEEEZZNS1_29radix_sort_onesweep_iterationIS3_Lb0EPKjPjPS5_SB_mNS0_19identity_decomposerENS1_16block_id_wrapperIjLb1EEEEE10hipError_tT1_PNSt15iterator_traitsISG_E10value_typeET2_T3_PNSH_ISM_E10value_typeET4_T5_PSR_SS_PNS1_23onesweep_lookback_stateEbbT6_jjT7_P12ihipStream_tbENKUlT_T0_SG_SL_E_clISA_SA_SB_SB_EEDaSZ_S10_SG_SL_EUlSZ_E_NS1_11comp_targetILNS1_3genE3ELNS1_11target_archE908ELNS1_3gpuE7ELNS1_3repE0EEENS1_47radix_sort_onesweep_sort_config_static_selectorELNS0_4arch9wavefront6targetE0EEEvSG_
	.p2align	8
	.type	_ZN7rocprim17ROCPRIM_400000_NS6detail17trampoline_kernelINS0_14default_configENS1_35radix_sort_onesweep_config_selectorIjNS0_10empty_typeEEEZZNS1_29radix_sort_onesweep_iterationIS3_Lb0EPKjPjPS5_SB_mNS0_19identity_decomposerENS1_16block_id_wrapperIjLb1EEEEE10hipError_tT1_PNSt15iterator_traitsISG_E10value_typeET2_T3_PNSH_ISM_E10value_typeET4_T5_PSR_SS_PNS1_23onesweep_lookback_stateEbbT6_jjT7_P12ihipStream_tbENKUlT_T0_SG_SL_E_clISA_SA_SB_SB_EEDaSZ_S10_SG_SL_EUlSZ_E_NS1_11comp_targetILNS1_3genE3ELNS1_11target_archE908ELNS1_3gpuE7ELNS1_3repE0EEENS1_47radix_sort_onesweep_sort_config_static_selectorELNS0_4arch9wavefront6targetE0EEEvSG_,@function
_ZN7rocprim17ROCPRIM_400000_NS6detail17trampoline_kernelINS0_14default_configENS1_35radix_sort_onesweep_config_selectorIjNS0_10empty_typeEEEZZNS1_29radix_sort_onesweep_iterationIS3_Lb0EPKjPjPS5_SB_mNS0_19identity_decomposerENS1_16block_id_wrapperIjLb1EEEEE10hipError_tT1_PNSt15iterator_traitsISG_E10value_typeET2_T3_PNSH_ISM_E10value_typeET4_T5_PSR_SS_PNS1_23onesweep_lookback_stateEbbT6_jjT7_P12ihipStream_tbENKUlT_T0_SG_SL_E_clISA_SA_SB_SB_EEDaSZ_S10_SG_SL_EUlSZ_E_NS1_11comp_targetILNS1_3genE3ELNS1_11target_archE908ELNS1_3gpuE7ELNS1_3repE0EEENS1_47radix_sort_onesweep_sort_config_static_selectorELNS0_4arch9wavefront6targetE0EEEvSG_: ; @_ZN7rocprim17ROCPRIM_400000_NS6detail17trampoline_kernelINS0_14default_configENS1_35radix_sort_onesweep_config_selectorIjNS0_10empty_typeEEEZZNS1_29radix_sort_onesweep_iterationIS3_Lb0EPKjPjPS5_SB_mNS0_19identity_decomposerENS1_16block_id_wrapperIjLb1EEEEE10hipError_tT1_PNSt15iterator_traitsISG_E10value_typeET2_T3_PNSH_ISM_E10value_typeET4_T5_PSR_SS_PNS1_23onesweep_lookback_stateEbbT6_jjT7_P12ihipStream_tbENKUlT_T0_SG_SL_E_clISA_SA_SB_SB_EEDaSZ_S10_SG_SL_EUlSZ_E_NS1_11comp_targetILNS1_3genE3ELNS1_11target_archE908ELNS1_3gpuE7ELNS1_3repE0EEENS1_47radix_sort_onesweep_sort_config_static_selectorELNS0_4arch9wavefront6targetE0EEEvSG_
; %bb.0:
	.section	.rodata,"a",@progbits
	.p2align	6, 0x0
	.amdhsa_kernel _ZN7rocprim17ROCPRIM_400000_NS6detail17trampoline_kernelINS0_14default_configENS1_35radix_sort_onesweep_config_selectorIjNS0_10empty_typeEEEZZNS1_29radix_sort_onesweep_iterationIS3_Lb0EPKjPjPS5_SB_mNS0_19identity_decomposerENS1_16block_id_wrapperIjLb1EEEEE10hipError_tT1_PNSt15iterator_traitsISG_E10value_typeET2_T3_PNSH_ISM_E10value_typeET4_T5_PSR_SS_PNS1_23onesweep_lookback_stateEbbT6_jjT7_P12ihipStream_tbENKUlT_T0_SG_SL_E_clISA_SA_SB_SB_EEDaSZ_S10_SG_SL_EUlSZ_E_NS1_11comp_targetILNS1_3genE3ELNS1_11target_archE908ELNS1_3gpuE7ELNS1_3repE0EEENS1_47radix_sort_onesweep_sort_config_static_selectorELNS0_4arch9wavefront6targetE0EEEvSG_
		.amdhsa_group_segment_fixed_size 0
		.amdhsa_private_segment_fixed_size 0
		.amdhsa_kernarg_size 88
		.amdhsa_user_sgpr_count 2
		.amdhsa_user_sgpr_dispatch_ptr 0
		.amdhsa_user_sgpr_queue_ptr 0
		.amdhsa_user_sgpr_kernarg_segment_ptr 1
		.amdhsa_user_sgpr_dispatch_id 0
		.amdhsa_user_sgpr_kernarg_preload_length 0
		.amdhsa_user_sgpr_kernarg_preload_offset 0
		.amdhsa_user_sgpr_private_segment_size 0
		.amdhsa_wavefront_size32 1
		.amdhsa_uses_dynamic_stack 0
		.amdhsa_enable_private_segment 0
		.amdhsa_system_sgpr_workgroup_id_x 1
		.amdhsa_system_sgpr_workgroup_id_y 0
		.amdhsa_system_sgpr_workgroup_id_z 0
		.amdhsa_system_sgpr_workgroup_info 0
		.amdhsa_system_vgpr_workitem_id 0
		.amdhsa_next_free_vgpr 1
		.amdhsa_next_free_sgpr 1
		.amdhsa_named_barrier_count 0
		.amdhsa_reserve_vcc 0
		.amdhsa_float_round_mode_32 0
		.amdhsa_float_round_mode_16_64 0
		.amdhsa_float_denorm_mode_32 3
		.amdhsa_float_denorm_mode_16_64 3
		.amdhsa_fp16_overflow 0
		.amdhsa_memory_ordered 1
		.amdhsa_forward_progress 1
		.amdhsa_inst_pref_size 0
		.amdhsa_round_robin_scheduling 0
		.amdhsa_exception_fp_ieee_invalid_op 0
		.amdhsa_exception_fp_denorm_src 0
		.amdhsa_exception_fp_ieee_div_zero 0
		.amdhsa_exception_fp_ieee_overflow 0
		.amdhsa_exception_fp_ieee_underflow 0
		.amdhsa_exception_fp_ieee_inexact 0
		.amdhsa_exception_int_div_zero 0
	.end_amdhsa_kernel
	.section	.text._ZN7rocprim17ROCPRIM_400000_NS6detail17trampoline_kernelINS0_14default_configENS1_35radix_sort_onesweep_config_selectorIjNS0_10empty_typeEEEZZNS1_29radix_sort_onesweep_iterationIS3_Lb0EPKjPjPS5_SB_mNS0_19identity_decomposerENS1_16block_id_wrapperIjLb1EEEEE10hipError_tT1_PNSt15iterator_traitsISG_E10value_typeET2_T3_PNSH_ISM_E10value_typeET4_T5_PSR_SS_PNS1_23onesweep_lookback_stateEbbT6_jjT7_P12ihipStream_tbENKUlT_T0_SG_SL_E_clISA_SA_SB_SB_EEDaSZ_S10_SG_SL_EUlSZ_E_NS1_11comp_targetILNS1_3genE3ELNS1_11target_archE908ELNS1_3gpuE7ELNS1_3repE0EEENS1_47radix_sort_onesweep_sort_config_static_selectorELNS0_4arch9wavefront6targetE0EEEvSG_,"axG",@progbits,_ZN7rocprim17ROCPRIM_400000_NS6detail17trampoline_kernelINS0_14default_configENS1_35radix_sort_onesweep_config_selectorIjNS0_10empty_typeEEEZZNS1_29radix_sort_onesweep_iterationIS3_Lb0EPKjPjPS5_SB_mNS0_19identity_decomposerENS1_16block_id_wrapperIjLb1EEEEE10hipError_tT1_PNSt15iterator_traitsISG_E10value_typeET2_T3_PNSH_ISM_E10value_typeET4_T5_PSR_SS_PNS1_23onesweep_lookback_stateEbbT6_jjT7_P12ihipStream_tbENKUlT_T0_SG_SL_E_clISA_SA_SB_SB_EEDaSZ_S10_SG_SL_EUlSZ_E_NS1_11comp_targetILNS1_3genE3ELNS1_11target_archE908ELNS1_3gpuE7ELNS1_3repE0EEENS1_47radix_sort_onesweep_sort_config_static_selectorELNS0_4arch9wavefront6targetE0EEEvSG_,comdat
.Lfunc_end2758:
	.size	_ZN7rocprim17ROCPRIM_400000_NS6detail17trampoline_kernelINS0_14default_configENS1_35radix_sort_onesweep_config_selectorIjNS0_10empty_typeEEEZZNS1_29radix_sort_onesweep_iterationIS3_Lb0EPKjPjPS5_SB_mNS0_19identity_decomposerENS1_16block_id_wrapperIjLb1EEEEE10hipError_tT1_PNSt15iterator_traitsISG_E10value_typeET2_T3_PNSH_ISM_E10value_typeET4_T5_PSR_SS_PNS1_23onesweep_lookback_stateEbbT6_jjT7_P12ihipStream_tbENKUlT_T0_SG_SL_E_clISA_SA_SB_SB_EEDaSZ_S10_SG_SL_EUlSZ_E_NS1_11comp_targetILNS1_3genE3ELNS1_11target_archE908ELNS1_3gpuE7ELNS1_3repE0EEENS1_47radix_sort_onesweep_sort_config_static_selectorELNS0_4arch9wavefront6targetE0EEEvSG_, .Lfunc_end2758-_ZN7rocprim17ROCPRIM_400000_NS6detail17trampoline_kernelINS0_14default_configENS1_35radix_sort_onesweep_config_selectorIjNS0_10empty_typeEEEZZNS1_29radix_sort_onesweep_iterationIS3_Lb0EPKjPjPS5_SB_mNS0_19identity_decomposerENS1_16block_id_wrapperIjLb1EEEEE10hipError_tT1_PNSt15iterator_traitsISG_E10value_typeET2_T3_PNSH_ISM_E10value_typeET4_T5_PSR_SS_PNS1_23onesweep_lookback_stateEbbT6_jjT7_P12ihipStream_tbENKUlT_T0_SG_SL_E_clISA_SA_SB_SB_EEDaSZ_S10_SG_SL_EUlSZ_E_NS1_11comp_targetILNS1_3genE3ELNS1_11target_archE908ELNS1_3gpuE7ELNS1_3repE0EEENS1_47radix_sort_onesweep_sort_config_static_selectorELNS0_4arch9wavefront6targetE0EEEvSG_
                                        ; -- End function
	.set _ZN7rocprim17ROCPRIM_400000_NS6detail17trampoline_kernelINS0_14default_configENS1_35radix_sort_onesweep_config_selectorIjNS0_10empty_typeEEEZZNS1_29radix_sort_onesweep_iterationIS3_Lb0EPKjPjPS5_SB_mNS0_19identity_decomposerENS1_16block_id_wrapperIjLb1EEEEE10hipError_tT1_PNSt15iterator_traitsISG_E10value_typeET2_T3_PNSH_ISM_E10value_typeET4_T5_PSR_SS_PNS1_23onesweep_lookback_stateEbbT6_jjT7_P12ihipStream_tbENKUlT_T0_SG_SL_E_clISA_SA_SB_SB_EEDaSZ_S10_SG_SL_EUlSZ_E_NS1_11comp_targetILNS1_3genE3ELNS1_11target_archE908ELNS1_3gpuE7ELNS1_3repE0EEENS1_47radix_sort_onesweep_sort_config_static_selectorELNS0_4arch9wavefront6targetE0EEEvSG_.num_vgpr, 0
	.set _ZN7rocprim17ROCPRIM_400000_NS6detail17trampoline_kernelINS0_14default_configENS1_35radix_sort_onesweep_config_selectorIjNS0_10empty_typeEEEZZNS1_29radix_sort_onesweep_iterationIS3_Lb0EPKjPjPS5_SB_mNS0_19identity_decomposerENS1_16block_id_wrapperIjLb1EEEEE10hipError_tT1_PNSt15iterator_traitsISG_E10value_typeET2_T3_PNSH_ISM_E10value_typeET4_T5_PSR_SS_PNS1_23onesweep_lookback_stateEbbT6_jjT7_P12ihipStream_tbENKUlT_T0_SG_SL_E_clISA_SA_SB_SB_EEDaSZ_S10_SG_SL_EUlSZ_E_NS1_11comp_targetILNS1_3genE3ELNS1_11target_archE908ELNS1_3gpuE7ELNS1_3repE0EEENS1_47radix_sort_onesweep_sort_config_static_selectorELNS0_4arch9wavefront6targetE0EEEvSG_.num_agpr, 0
	.set _ZN7rocprim17ROCPRIM_400000_NS6detail17trampoline_kernelINS0_14default_configENS1_35radix_sort_onesweep_config_selectorIjNS0_10empty_typeEEEZZNS1_29radix_sort_onesweep_iterationIS3_Lb0EPKjPjPS5_SB_mNS0_19identity_decomposerENS1_16block_id_wrapperIjLb1EEEEE10hipError_tT1_PNSt15iterator_traitsISG_E10value_typeET2_T3_PNSH_ISM_E10value_typeET4_T5_PSR_SS_PNS1_23onesweep_lookback_stateEbbT6_jjT7_P12ihipStream_tbENKUlT_T0_SG_SL_E_clISA_SA_SB_SB_EEDaSZ_S10_SG_SL_EUlSZ_E_NS1_11comp_targetILNS1_3genE3ELNS1_11target_archE908ELNS1_3gpuE7ELNS1_3repE0EEENS1_47radix_sort_onesweep_sort_config_static_selectorELNS0_4arch9wavefront6targetE0EEEvSG_.numbered_sgpr, 0
	.set _ZN7rocprim17ROCPRIM_400000_NS6detail17trampoline_kernelINS0_14default_configENS1_35radix_sort_onesweep_config_selectorIjNS0_10empty_typeEEEZZNS1_29radix_sort_onesweep_iterationIS3_Lb0EPKjPjPS5_SB_mNS0_19identity_decomposerENS1_16block_id_wrapperIjLb1EEEEE10hipError_tT1_PNSt15iterator_traitsISG_E10value_typeET2_T3_PNSH_ISM_E10value_typeET4_T5_PSR_SS_PNS1_23onesweep_lookback_stateEbbT6_jjT7_P12ihipStream_tbENKUlT_T0_SG_SL_E_clISA_SA_SB_SB_EEDaSZ_S10_SG_SL_EUlSZ_E_NS1_11comp_targetILNS1_3genE3ELNS1_11target_archE908ELNS1_3gpuE7ELNS1_3repE0EEENS1_47radix_sort_onesweep_sort_config_static_selectorELNS0_4arch9wavefront6targetE0EEEvSG_.num_named_barrier, 0
	.set _ZN7rocprim17ROCPRIM_400000_NS6detail17trampoline_kernelINS0_14default_configENS1_35radix_sort_onesweep_config_selectorIjNS0_10empty_typeEEEZZNS1_29radix_sort_onesweep_iterationIS3_Lb0EPKjPjPS5_SB_mNS0_19identity_decomposerENS1_16block_id_wrapperIjLb1EEEEE10hipError_tT1_PNSt15iterator_traitsISG_E10value_typeET2_T3_PNSH_ISM_E10value_typeET4_T5_PSR_SS_PNS1_23onesweep_lookback_stateEbbT6_jjT7_P12ihipStream_tbENKUlT_T0_SG_SL_E_clISA_SA_SB_SB_EEDaSZ_S10_SG_SL_EUlSZ_E_NS1_11comp_targetILNS1_3genE3ELNS1_11target_archE908ELNS1_3gpuE7ELNS1_3repE0EEENS1_47radix_sort_onesweep_sort_config_static_selectorELNS0_4arch9wavefront6targetE0EEEvSG_.private_seg_size, 0
	.set _ZN7rocprim17ROCPRIM_400000_NS6detail17trampoline_kernelINS0_14default_configENS1_35radix_sort_onesweep_config_selectorIjNS0_10empty_typeEEEZZNS1_29radix_sort_onesweep_iterationIS3_Lb0EPKjPjPS5_SB_mNS0_19identity_decomposerENS1_16block_id_wrapperIjLb1EEEEE10hipError_tT1_PNSt15iterator_traitsISG_E10value_typeET2_T3_PNSH_ISM_E10value_typeET4_T5_PSR_SS_PNS1_23onesweep_lookback_stateEbbT6_jjT7_P12ihipStream_tbENKUlT_T0_SG_SL_E_clISA_SA_SB_SB_EEDaSZ_S10_SG_SL_EUlSZ_E_NS1_11comp_targetILNS1_3genE3ELNS1_11target_archE908ELNS1_3gpuE7ELNS1_3repE0EEENS1_47radix_sort_onesweep_sort_config_static_selectorELNS0_4arch9wavefront6targetE0EEEvSG_.uses_vcc, 0
	.set _ZN7rocprim17ROCPRIM_400000_NS6detail17trampoline_kernelINS0_14default_configENS1_35radix_sort_onesweep_config_selectorIjNS0_10empty_typeEEEZZNS1_29radix_sort_onesweep_iterationIS3_Lb0EPKjPjPS5_SB_mNS0_19identity_decomposerENS1_16block_id_wrapperIjLb1EEEEE10hipError_tT1_PNSt15iterator_traitsISG_E10value_typeET2_T3_PNSH_ISM_E10value_typeET4_T5_PSR_SS_PNS1_23onesweep_lookback_stateEbbT6_jjT7_P12ihipStream_tbENKUlT_T0_SG_SL_E_clISA_SA_SB_SB_EEDaSZ_S10_SG_SL_EUlSZ_E_NS1_11comp_targetILNS1_3genE3ELNS1_11target_archE908ELNS1_3gpuE7ELNS1_3repE0EEENS1_47radix_sort_onesweep_sort_config_static_selectorELNS0_4arch9wavefront6targetE0EEEvSG_.uses_flat_scratch, 0
	.set _ZN7rocprim17ROCPRIM_400000_NS6detail17trampoline_kernelINS0_14default_configENS1_35radix_sort_onesweep_config_selectorIjNS0_10empty_typeEEEZZNS1_29radix_sort_onesweep_iterationIS3_Lb0EPKjPjPS5_SB_mNS0_19identity_decomposerENS1_16block_id_wrapperIjLb1EEEEE10hipError_tT1_PNSt15iterator_traitsISG_E10value_typeET2_T3_PNSH_ISM_E10value_typeET4_T5_PSR_SS_PNS1_23onesweep_lookback_stateEbbT6_jjT7_P12ihipStream_tbENKUlT_T0_SG_SL_E_clISA_SA_SB_SB_EEDaSZ_S10_SG_SL_EUlSZ_E_NS1_11comp_targetILNS1_3genE3ELNS1_11target_archE908ELNS1_3gpuE7ELNS1_3repE0EEENS1_47radix_sort_onesweep_sort_config_static_selectorELNS0_4arch9wavefront6targetE0EEEvSG_.has_dyn_sized_stack, 0
	.set _ZN7rocprim17ROCPRIM_400000_NS6detail17trampoline_kernelINS0_14default_configENS1_35radix_sort_onesweep_config_selectorIjNS0_10empty_typeEEEZZNS1_29radix_sort_onesweep_iterationIS3_Lb0EPKjPjPS5_SB_mNS0_19identity_decomposerENS1_16block_id_wrapperIjLb1EEEEE10hipError_tT1_PNSt15iterator_traitsISG_E10value_typeET2_T3_PNSH_ISM_E10value_typeET4_T5_PSR_SS_PNS1_23onesweep_lookback_stateEbbT6_jjT7_P12ihipStream_tbENKUlT_T0_SG_SL_E_clISA_SA_SB_SB_EEDaSZ_S10_SG_SL_EUlSZ_E_NS1_11comp_targetILNS1_3genE3ELNS1_11target_archE908ELNS1_3gpuE7ELNS1_3repE0EEENS1_47radix_sort_onesweep_sort_config_static_selectorELNS0_4arch9wavefront6targetE0EEEvSG_.has_recursion, 0
	.set _ZN7rocprim17ROCPRIM_400000_NS6detail17trampoline_kernelINS0_14default_configENS1_35radix_sort_onesweep_config_selectorIjNS0_10empty_typeEEEZZNS1_29radix_sort_onesweep_iterationIS3_Lb0EPKjPjPS5_SB_mNS0_19identity_decomposerENS1_16block_id_wrapperIjLb1EEEEE10hipError_tT1_PNSt15iterator_traitsISG_E10value_typeET2_T3_PNSH_ISM_E10value_typeET4_T5_PSR_SS_PNS1_23onesweep_lookback_stateEbbT6_jjT7_P12ihipStream_tbENKUlT_T0_SG_SL_E_clISA_SA_SB_SB_EEDaSZ_S10_SG_SL_EUlSZ_E_NS1_11comp_targetILNS1_3genE3ELNS1_11target_archE908ELNS1_3gpuE7ELNS1_3repE0EEENS1_47radix_sort_onesweep_sort_config_static_selectorELNS0_4arch9wavefront6targetE0EEEvSG_.has_indirect_call, 0
	.section	.AMDGPU.csdata,"",@progbits
; Kernel info:
; codeLenInByte = 0
; TotalNumSgprs: 0
; NumVgprs: 0
; ScratchSize: 0
; MemoryBound: 0
; FloatMode: 240
; IeeeMode: 1
; LDSByteSize: 0 bytes/workgroup (compile time only)
; SGPRBlocks: 0
; VGPRBlocks: 0
; NumSGPRsForWavesPerEU: 1
; NumVGPRsForWavesPerEU: 1
; NamedBarCnt: 0
; Occupancy: 16
; WaveLimiterHint : 0
; COMPUTE_PGM_RSRC2:SCRATCH_EN: 0
; COMPUTE_PGM_RSRC2:USER_SGPR: 2
; COMPUTE_PGM_RSRC2:TRAP_HANDLER: 0
; COMPUTE_PGM_RSRC2:TGID_X_EN: 1
; COMPUTE_PGM_RSRC2:TGID_Y_EN: 0
; COMPUTE_PGM_RSRC2:TGID_Z_EN: 0
; COMPUTE_PGM_RSRC2:TIDIG_COMP_CNT: 0
	.section	.text._ZN7rocprim17ROCPRIM_400000_NS6detail17trampoline_kernelINS0_14default_configENS1_35radix_sort_onesweep_config_selectorIjNS0_10empty_typeEEEZZNS1_29radix_sort_onesweep_iterationIS3_Lb0EPKjPjPS5_SB_mNS0_19identity_decomposerENS1_16block_id_wrapperIjLb1EEEEE10hipError_tT1_PNSt15iterator_traitsISG_E10value_typeET2_T3_PNSH_ISM_E10value_typeET4_T5_PSR_SS_PNS1_23onesweep_lookback_stateEbbT6_jjT7_P12ihipStream_tbENKUlT_T0_SG_SL_E_clISA_SA_SB_SB_EEDaSZ_S10_SG_SL_EUlSZ_E_NS1_11comp_targetILNS1_3genE10ELNS1_11target_archE1201ELNS1_3gpuE5ELNS1_3repE0EEENS1_47radix_sort_onesweep_sort_config_static_selectorELNS0_4arch9wavefront6targetE0EEEvSG_,"axG",@progbits,_ZN7rocprim17ROCPRIM_400000_NS6detail17trampoline_kernelINS0_14default_configENS1_35radix_sort_onesweep_config_selectorIjNS0_10empty_typeEEEZZNS1_29radix_sort_onesweep_iterationIS3_Lb0EPKjPjPS5_SB_mNS0_19identity_decomposerENS1_16block_id_wrapperIjLb1EEEEE10hipError_tT1_PNSt15iterator_traitsISG_E10value_typeET2_T3_PNSH_ISM_E10value_typeET4_T5_PSR_SS_PNS1_23onesweep_lookback_stateEbbT6_jjT7_P12ihipStream_tbENKUlT_T0_SG_SL_E_clISA_SA_SB_SB_EEDaSZ_S10_SG_SL_EUlSZ_E_NS1_11comp_targetILNS1_3genE10ELNS1_11target_archE1201ELNS1_3gpuE5ELNS1_3repE0EEENS1_47radix_sort_onesweep_sort_config_static_selectorELNS0_4arch9wavefront6targetE0EEEvSG_,comdat
	.protected	_ZN7rocprim17ROCPRIM_400000_NS6detail17trampoline_kernelINS0_14default_configENS1_35radix_sort_onesweep_config_selectorIjNS0_10empty_typeEEEZZNS1_29radix_sort_onesweep_iterationIS3_Lb0EPKjPjPS5_SB_mNS0_19identity_decomposerENS1_16block_id_wrapperIjLb1EEEEE10hipError_tT1_PNSt15iterator_traitsISG_E10value_typeET2_T3_PNSH_ISM_E10value_typeET4_T5_PSR_SS_PNS1_23onesweep_lookback_stateEbbT6_jjT7_P12ihipStream_tbENKUlT_T0_SG_SL_E_clISA_SA_SB_SB_EEDaSZ_S10_SG_SL_EUlSZ_E_NS1_11comp_targetILNS1_3genE10ELNS1_11target_archE1201ELNS1_3gpuE5ELNS1_3repE0EEENS1_47radix_sort_onesweep_sort_config_static_selectorELNS0_4arch9wavefront6targetE0EEEvSG_ ; -- Begin function _ZN7rocprim17ROCPRIM_400000_NS6detail17trampoline_kernelINS0_14default_configENS1_35radix_sort_onesweep_config_selectorIjNS0_10empty_typeEEEZZNS1_29radix_sort_onesweep_iterationIS3_Lb0EPKjPjPS5_SB_mNS0_19identity_decomposerENS1_16block_id_wrapperIjLb1EEEEE10hipError_tT1_PNSt15iterator_traitsISG_E10value_typeET2_T3_PNSH_ISM_E10value_typeET4_T5_PSR_SS_PNS1_23onesweep_lookback_stateEbbT6_jjT7_P12ihipStream_tbENKUlT_T0_SG_SL_E_clISA_SA_SB_SB_EEDaSZ_S10_SG_SL_EUlSZ_E_NS1_11comp_targetILNS1_3genE10ELNS1_11target_archE1201ELNS1_3gpuE5ELNS1_3repE0EEENS1_47radix_sort_onesweep_sort_config_static_selectorELNS0_4arch9wavefront6targetE0EEEvSG_
	.globl	_ZN7rocprim17ROCPRIM_400000_NS6detail17trampoline_kernelINS0_14default_configENS1_35radix_sort_onesweep_config_selectorIjNS0_10empty_typeEEEZZNS1_29radix_sort_onesweep_iterationIS3_Lb0EPKjPjPS5_SB_mNS0_19identity_decomposerENS1_16block_id_wrapperIjLb1EEEEE10hipError_tT1_PNSt15iterator_traitsISG_E10value_typeET2_T3_PNSH_ISM_E10value_typeET4_T5_PSR_SS_PNS1_23onesweep_lookback_stateEbbT6_jjT7_P12ihipStream_tbENKUlT_T0_SG_SL_E_clISA_SA_SB_SB_EEDaSZ_S10_SG_SL_EUlSZ_E_NS1_11comp_targetILNS1_3genE10ELNS1_11target_archE1201ELNS1_3gpuE5ELNS1_3repE0EEENS1_47radix_sort_onesweep_sort_config_static_selectorELNS0_4arch9wavefront6targetE0EEEvSG_
	.p2align	8
	.type	_ZN7rocprim17ROCPRIM_400000_NS6detail17trampoline_kernelINS0_14default_configENS1_35radix_sort_onesweep_config_selectorIjNS0_10empty_typeEEEZZNS1_29radix_sort_onesweep_iterationIS3_Lb0EPKjPjPS5_SB_mNS0_19identity_decomposerENS1_16block_id_wrapperIjLb1EEEEE10hipError_tT1_PNSt15iterator_traitsISG_E10value_typeET2_T3_PNSH_ISM_E10value_typeET4_T5_PSR_SS_PNS1_23onesweep_lookback_stateEbbT6_jjT7_P12ihipStream_tbENKUlT_T0_SG_SL_E_clISA_SA_SB_SB_EEDaSZ_S10_SG_SL_EUlSZ_E_NS1_11comp_targetILNS1_3genE10ELNS1_11target_archE1201ELNS1_3gpuE5ELNS1_3repE0EEENS1_47radix_sort_onesweep_sort_config_static_selectorELNS0_4arch9wavefront6targetE0EEEvSG_,@function
_ZN7rocprim17ROCPRIM_400000_NS6detail17trampoline_kernelINS0_14default_configENS1_35radix_sort_onesweep_config_selectorIjNS0_10empty_typeEEEZZNS1_29radix_sort_onesweep_iterationIS3_Lb0EPKjPjPS5_SB_mNS0_19identity_decomposerENS1_16block_id_wrapperIjLb1EEEEE10hipError_tT1_PNSt15iterator_traitsISG_E10value_typeET2_T3_PNSH_ISM_E10value_typeET4_T5_PSR_SS_PNS1_23onesweep_lookback_stateEbbT6_jjT7_P12ihipStream_tbENKUlT_T0_SG_SL_E_clISA_SA_SB_SB_EEDaSZ_S10_SG_SL_EUlSZ_E_NS1_11comp_targetILNS1_3genE10ELNS1_11target_archE1201ELNS1_3gpuE5ELNS1_3repE0EEENS1_47radix_sort_onesweep_sort_config_static_selectorELNS0_4arch9wavefront6targetE0EEEvSG_: ; @_ZN7rocprim17ROCPRIM_400000_NS6detail17trampoline_kernelINS0_14default_configENS1_35radix_sort_onesweep_config_selectorIjNS0_10empty_typeEEEZZNS1_29radix_sort_onesweep_iterationIS3_Lb0EPKjPjPS5_SB_mNS0_19identity_decomposerENS1_16block_id_wrapperIjLb1EEEEE10hipError_tT1_PNSt15iterator_traitsISG_E10value_typeET2_T3_PNSH_ISM_E10value_typeET4_T5_PSR_SS_PNS1_23onesweep_lookback_stateEbbT6_jjT7_P12ihipStream_tbENKUlT_T0_SG_SL_E_clISA_SA_SB_SB_EEDaSZ_S10_SG_SL_EUlSZ_E_NS1_11comp_targetILNS1_3genE10ELNS1_11target_archE1201ELNS1_3gpuE5ELNS1_3repE0EEENS1_47radix_sort_onesweep_sort_config_static_selectorELNS0_4arch9wavefront6targetE0EEEvSG_
; %bb.0:
	.section	.rodata,"a",@progbits
	.p2align	6, 0x0
	.amdhsa_kernel _ZN7rocprim17ROCPRIM_400000_NS6detail17trampoline_kernelINS0_14default_configENS1_35radix_sort_onesweep_config_selectorIjNS0_10empty_typeEEEZZNS1_29radix_sort_onesweep_iterationIS3_Lb0EPKjPjPS5_SB_mNS0_19identity_decomposerENS1_16block_id_wrapperIjLb1EEEEE10hipError_tT1_PNSt15iterator_traitsISG_E10value_typeET2_T3_PNSH_ISM_E10value_typeET4_T5_PSR_SS_PNS1_23onesweep_lookback_stateEbbT6_jjT7_P12ihipStream_tbENKUlT_T0_SG_SL_E_clISA_SA_SB_SB_EEDaSZ_S10_SG_SL_EUlSZ_E_NS1_11comp_targetILNS1_3genE10ELNS1_11target_archE1201ELNS1_3gpuE5ELNS1_3repE0EEENS1_47radix_sort_onesweep_sort_config_static_selectorELNS0_4arch9wavefront6targetE0EEEvSG_
		.amdhsa_group_segment_fixed_size 0
		.amdhsa_private_segment_fixed_size 0
		.amdhsa_kernarg_size 88
		.amdhsa_user_sgpr_count 2
		.amdhsa_user_sgpr_dispatch_ptr 0
		.amdhsa_user_sgpr_queue_ptr 0
		.amdhsa_user_sgpr_kernarg_segment_ptr 1
		.amdhsa_user_sgpr_dispatch_id 0
		.amdhsa_user_sgpr_kernarg_preload_length 0
		.amdhsa_user_sgpr_kernarg_preload_offset 0
		.amdhsa_user_sgpr_private_segment_size 0
		.amdhsa_wavefront_size32 1
		.amdhsa_uses_dynamic_stack 0
		.amdhsa_enable_private_segment 0
		.amdhsa_system_sgpr_workgroup_id_x 1
		.amdhsa_system_sgpr_workgroup_id_y 0
		.amdhsa_system_sgpr_workgroup_id_z 0
		.amdhsa_system_sgpr_workgroup_info 0
		.amdhsa_system_vgpr_workitem_id 0
		.amdhsa_next_free_vgpr 1
		.amdhsa_next_free_sgpr 1
		.amdhsa_named_barrier_count 0
		.amdhsa_reserve_vcc 0
		.amdhsa_float_round_mode_32 0
		.amdhsa_float_round_mode_16_64 0
		.amdhsa_float_denorm_mode_32 3
		.amdhsa_float_denorm_mode_16_64 3
		.amdhsa_fp16_overflow 0
		.amdhsa_memory_ordered 1
		.amdhsa_forward_progress 1
		.amdhsa_inst_pref_size 0
		.amdhsa_round_robin_scheduling 0
		.amdhsa_exception_fp_ieee_invalid_op 0
		.amdhsa_exception_fp_denorm_src 0
		.amdhsa_exception_fp_ieee_div_zero 0
		.amdhsa_exception_fp_ieee_overflow 0
		.amdhsa_exception_fp_ieee_underflow 0
		.amdhsa_exception_fp_ieee_inexact 0
		.amdhsa_exception_int_div_zero 0
	.end_amdhsa_kernel
	.section	.text._ZN7rocprim17ROCPRIM_400000_NS6detail17trampoline_kernelINS0_14default_configENS1_35radix_sort_onesweep_config_selectorIjNS0_10empty_typeEEEZZNS1_29radix_sort_onesweep_iterationIS3_Lb0EPKjPjPS5_SB_mNS0_19identity_decomposerENS1_16block_id_wrapperIjLb1EEEEE10hipError_tT1_PNSt15iterator_traitsISG_E10value_typeET2_T3_PNSH_ISM_E10value_typeET4_T5_PSR_SS_PNS1_23onesweep_lookback_stateEbbT6_jjT7_P12ihipStream_tbENKUlT_T0_SG_SL_E_clISA_SA_SB_SB_EEDaSZ_S10_SG_SL_EUlSZ_E_NS1_11comp_targetILNS1_3genE10ELNS1_11target_archE1201ELNS1_3gpuE5ELNS1_3repE0EEENS1_47radix_sort_onesweep_sort_config_static_selectorELNS0_4arch9wavefront6targetE0EEEvSG_,"axG",@progbits,_ZN7rocprim17ROCPRIM_400000_NS6detail17trampoline_kernelINS0_14default_configENS1_35radix_sort_onesweep_config_selectorIjNS0_10empty_typeEEEZZNS1_29radix_sort_onesweep_iterationIS3_Lb0EPKjPjPS5_SB_mNS0_19identity_decomposerENS1_16block_id_wrapperIjLb1EEEEE10hipError_tT1_PNSt15iterator_traitsISG_E10value_typeET2_T3_PNSH_ISM_E10value_typeET4_T5_PSR_SS_PNS1_23onesweep_lookback_stateEbbT6_jjT7_P12ihipStream_tbENKUlT_T0_SG_SL_E_clISA_SA_SB_SB_EEDaSZ_S10_SG_SL_EUlSZ_E_NS1_11comp_targetILNS1_3genE10ELNS1_11target_archE1201ELNS1_3gpuE5ELNS1_3repE0EEENS1_47radix_sort_onesweep_sort_config_static_selectorELNS0_4arch9wavefront6targetE0EEEvSG_,comdat
.Lfunc_end2759:
	.size	_ZN7rocprim17ROCPRIM_400000_NS6detail17trampoline_kernelINS0_14default_configENS1_35radix_sort_onesweep_config_selectorIjNS0_10empty_typeEEEZZNS1_29radix_sort_onesweep_iterationIS3_Lb0EPKjPjPS5_SB_mNS0_19identity_decomposerENS1_16block_id_wrapperIjLb1EEEEE10hipError_tT1_PNSt15iterator_traitsISG_E10value_typeET2_T3_PNSH_ISM_E10value_typeET4_T5_PSR_SS_PNS1_23onesweep_lookback_stateEbbT6_jjT7_P12ihipStream_tbENKUlT_T0_SG_SL_E_clISA_SA_SB_SB_EEDaSZ_S10_SG_SL_EUlSZ_E_NS1_11comp_targetILNS1_3genE10ELNS1_11target_archE1201ELNS1_3gpuE5ELNS1_3repE0EEENS1_47radix_sort_onesweep_sort_config_static_selectorELNS0_4arch9wavefront6targetE0EEEvSG_, .Lfunc_end2759-_ZN7rocprim17ROCPRIM_400000_NS6detail17trampoline_kernelINS0_14default_configENS1_35radix_sort_onesweep_config_selectorIjNS0_10empty_typeEEEZZNS1_29radix_sort_onesweep_iterationIS3_Lb0EPKjPjPS5_SB_mNS0_19identity_decomposerENS1_16block_id_wrapperIjLb1EEEEE10hipError_tT1_PNSt15iterator_traitsISG_E10value_typeET2_T3_PNSH_ISM_E10value_typeET4_T5_PSR_SS_PNS1_23onesweep_lookback_stateEbbT6_jjT7_P12ihipStream_tbENKUlT_T0_SG_SL_E_clISA_SA_SB_SB_EEDaSZ_S10_SG_SL_EUlSZ_E_NS1_11comp_targetILNS1_3genE10ELNS1_11target_archE1201ELNS1_3gpuE5ELNS1_3repE0EEENS1_47radix_sort_onesweep_sort_config_static_selectorELNS0_4arch9wavefront6targetE0EEEvSG_
                                        ; -- End function
	.set _ZN7rocprim17ROCPRIM_400000_NS6detail17trampoline_kernelINS0_14default_configENS1_35radix_sort_onesweep_config_selectorIjNS0_10empty_typeEEEZZNS1_29radix_sort_onesweep_iterationIS3_Lb0EPKjPjPS5_SB_mNS0_19identity_decomposerENS1_16block_id_wrapperIjLb1EEEEE10hipError_tT1_PNSt15iterator_traitsISG_E10value_typeET2_T3_PNSH_ISM_E10value_typeET4_T5_PSR_SS_PNS1_23onesweep_lookback_stateEbbT6_jjT7_P12ihipStream_tbENKUlT_T0_SG_SL_E_clISA_SA_SB_SB_EEDaSZ_S10_SG_SL_EUlSZ_E_NS1_11comp_targetILNS1_3genE10ELNS1_11target_archE1201ELNS1_3gpuE5ELNS1_3repE0EEENS1_47radix_sort_onesweep_sort_config_static_selectorELNS0_4arch9wavefront6targetE0EEEvSG_.num_vgpr, 0
	.set _ZN7rocprim17ROCPRIM_400000_NS6detail17trampoline_kernelINS0_14default_configENS1_35radix_sort_onesweep_config_selectorIjNS0_10empty_typeEEEZZNS1_29radix_sort_onesweep_iterationIS3_Lb0EPKjPjPS5_SB_mNS0_19identity_decomposerENS1_16block_id_wrapperIjLb1EEEEE10hipError_tT1_PNSt15iterator_traitsISG_E10value_typeET2_T3_PNSH_ISM_E10value_typeET4_T5_PSR_SS_PNS1_23onesweep_lookback_stateEbbT6_jjT7_P12ihipStream_tbENKUlT_T0_SG_SL_E_clISA_SA_SB_SB_EEDaSZ_S10_SG_SL_EUlSZ_E_NS1_11comp_targetILNS1_3genE10ELNS1_11target_archE1201ELNS1_3gpuE5ELNS1_3repE0EEENS1_47radix_sort_onesweep_sort_config_static_selectorELNS0_4arch9wavefront6targetE0EEEvSG_.num_agpr, 0
	.set _ZN7rocprim17ROCPRIM_400000_NS6detail17trampoline_kernelINS0_14default_configENS1_35radix_sort_onesweep_config_selectorIjNS0_10empty_typeEEEZZNS1_29radix_sort_onesweep_iterationIS3_Lb0EPKjPjPS5_SB_mNS0_19identity_decomposerENS1_16block_id_wrapperIjLb1EEEEE10hipError_tT1_PNSt15iterator_traitsISG_E10value_typeET2_T3_PNSH_ISM_E10value_typeET4_T5_PSR_SS_PNS1_23onesweep_lookback_stateEbbT6_jjT7_P12ihipStream_tbENKUlT_T0_SG_SL_E_clISA_SA_SB_SB_EEDaSZ_S10_SG_SL_EUlSZ_E_NS1_11comp_targetILNS1_3genE10ELNS1_11target_archE1201ELNS1_3gpuE5ELNS1_3repE0EEENS1_47radix_sort_onesweep_sort_config_static_selectorELNS0_4arch9wavefront6targetE0EEEvSG_.numbered_sgpr, 0
	.set _ZN7rocprim17ROCPRIM_400000_NS6detail17trampoline_kernelINS0_14default_configENS1_35radix_sort_onesweep_config_selectorIjNS0_10empty_typeEEEZZNS1_29radix_sort_onesweep_iterationIS3_Lb0EPKjPjPS5_SB_mNS0_19identity_decomposerENS1_16block_id_wrapperIjLb1EEEEE10hipError_tT1_PNSt15iterator_traitsISG_E10value_typeET2_T3_PNSH_ISM_E10value_typeET4_T5_PSR_SS_PNS1_23onesweep_lookback_stateEbbT6_jjT7_P12ihipStream_tbENKUlT_T0_SG_SL_E_clISA_SA_SB_SB_EEDaSZ_S10_SG_SL_EUlSZ_E_NS1_11comp_targetILNS1_3genE10ELNS1_11target_archE1201ELNS1_3gpuE5ELNS1_3repE0EEENS1_47radix_sort_onesweep_sort_config_static_selectorELNS0_4arch9wavefront6targetE0EEEvSG_.num_named_barrier, 0
	.set _ZN7rocprim17ROCPRIM_400000_NS6detail17trampoline_kernelINS0_14default_configENS1_35radix_sort_onesweep_config_selectorIjNS0_10empty_typeEEEZZNS1_29radix_sort_onesweep_iterationIS3_Lb0EPKjPjPS5_SB_mNS0_19identity_decomposerENS1_16block_id_wrapperIjLb1EEEEE10hipError_tT1_PNSt15iterator_traitsISG_E10value_typeET2_T3_PNSH_ISM_E10value_typeET4_T5_PSR_SS_PNS1_23onesweep_lookback_stateEbbT6_jjT7_P12ihipStream_tbENKUlT_T0_SG_SL_E_clISA_SA_SB_SB_EEDaSZ_S10_SG_SL_EUlSZ_E_NS1_11comp_targetILNS1_3genE10ELNS1_11target_archE1201ELNS1_3gpuE5ELNS1_3repE0EEENS1_47radix_sort_onesweep_sort_config_static_selectorELNS0_4arch9wavefront6targetE0EEEvSG_.private_seg_size, 0
	.set _ZN7rocprim17ROCPRIM_400000_NS6detail17trampoline_kernelINS0_14default_configENS1_35radix_sort_onesweep_config_selectorIjNS0_10empty_typeEEEZZNS1_29radix_sort_onesweep_iterationIS3_Lb0EPKjPjPS5_SB_mNS0_19identity_decomposerENS1_16block_id_wrapperIjLb1EEEEE10hipError_tT1_PNSt15iterator_traitsISG_E10value_typeET2_T3_PNSH_ISM_E10value_typeET4_T5_PSR_SS_PNS1_23onesweep_lookback_stateEbbT6_jjT7_P12ihipStream_tbENKUlT_T0_SG_SL_E_clISA_SA_SB_SB_EEDaSZ_S10_SG_SL_EUlSZ_E_NS1_11comp_targetILNS1_3genE10ELNS1_11target_archE1201ELNS1_3gpuE5ELNS1_3repE0EEENS1_47radix_sort_onesweep_sort_config_static_selectorELNS0_4arch9wavefront6targetE0EEEvSG_.uses_vcc, 0
	.set _ZN7rocprim17ROCPRIM_400000_NS6detail17trampoline_kernelINS0_14default_configENS1_35radix_sort_onesweep_config_selectorIjNS0_10empty_typeEEEZZNS1_29radix_sort_onesweep_iterationIS3_Lb0EPKjPjPS5_SB_mNS0_19identity_decomposerENS1_16block_id_wrapperIjLb1EEEEE10hipError_tT1_PNSt15iterator_traitsISG_E10value_typeET2_T3_PNSH_ISM_E10value_typeET4_T5_PSR_SS_PNS1_23onesweep_lookback_stateEbbT6_jjT7_P12ihipStream_tbENKUlT_T0_SG_SL_E_clISA_SA_SB_SB_EEDaSZ_S10_SG_SL_EUlSZ_E_NS1_11comp_targetILNS1_3genE10ELNS1_11target_archE1201ELNS1_3gpuE5ELNS1_3repE0EEENS1_47radix_sort_onesweep_sort_config_static_selectorELNS0_4arch9wavefront6targetE0EEEvSG_.uses_flat_scratch, 0
	.set _ZN7rocprim17ROCPRIM_400000_NS6detail17trampoline_kernelINS0_14default_configENS1_35radix_sort_onesweep_config_selectorIjNS0_10empty_typeEEEZZNS1_29radix_sort_onesweep_iterationIS3_Lb0EPKjPjPS5_SB_mNS0_19identity_decomposerENS1_16block_id_wrapperIjLb1EEEEE10hipError_tT1_PNSt15iterator_traitsISG_E10value_typeET2_T3_PNSH_ISM_E10value_typeET4_T5_PSR_SS_PNS1_23onesweep_lookback_stateEbbT6_jjT7_P12ihipStream_tbENKUlT_T0_SG_SL_E_clISA_SA_SB_SB_EEDaSZ_S10_SG_SL_EUlSZ_E_NS1_11comp_targetILNS1_3genE10ELNS1_11target_archE1201ELNS1_3gpuE5ELNS1_3repE0EEENS1_47radix_sort_onesweep_sort_config_static_selectorELNS0_4arch9wavefront6targetE0EEEvSG_.has_dyn_sized_stack, 0
	.set _ZN7rocprim17ROCPRIM_400000_NS6detail17trampoline_kernelINS0_14default_configENS1_35radix_sort_onesweep_config_selectorIjNS0_10empty_typeEEEZZNS1_29radix_sort_onesweep_iterationIS3_Lb0EPKjPjPS5_SB_mNS0_19identity_decomposerENS1_16block_id_wrapperIjLb1EEEEE10hipError_tT1_PNSt15iterator_traitsISG_E10value_typeET2_T3_PNSH_ISM_E10value_typeET4_T5_PSR_SS_PNS1_23onesweep_lookback_stateEbbT6_jjT7_P12ihipStream_tbENKUlT_T0_SG_SL_E_clISA_SA_SB_SB_EEDaSZ_S10_SG_SL_EUlSZ_E_NS1_11comp_targetILNS1_3genE10ELNS1_11target_archE1201ELNS1_3gpuE5ELNS1_3repE0EEENS1_47radix_sort_onesweep_sort_config_static_selectorELNS0_4arch9wavefront6targetE0EEEvSG_.has_recursion, 0
	.set _ZN7rocprim17ROCPRIM_400000_NS6detail17trampoline_kernelINS0_14default_configENS1_35radix_sort_onesweep_config_selectorIjNS0_10empty_typeEEEZZNS1_29radix_sort_onesweep_iterationIS3_Lb0EPKjPjPS5_SB_mNS0_19identity_decomposerENS1_16block_id_wrapperIjLb1EEEEE10hipError_tT1_PNSt15iterator_traitsISG_E10value_typeET2_T3_PNSH_ISM_E10value_typeET4_T5_PSR_SS_PNS1_23onesweep_lookback_stateEbbT6_jjT7_P12ihipStream_tbENKUlT_T0_SG_SL_E_clISA_SA_SB_SB_EEDaSZ_S10_SG_SL_EUlSZ_E_NS1_11comp_targetILNS1_3genE10ELNS1_11target_archE1201ELNS1_3gpuE5ELNS1_3repE0EEENS1_47radix_sort_onesweep_sort_config_static_selectorELNS0_4arch9wavefront6targetE0EEEvSG_.has_indirect_call, 0
	.section	.AMDGPU.csdata,"",@progbits
; Kernel info:
; codeLenInByte = 0
; TotalNumSgprs: 0
; NumVgprs: 0
; ScratchSize: 0
; MemoryBound: 0
; FloatMode: 240
; IeeeMode: 1
; LDSByteSize: 0 bytes/workgroup (compile time only)
; SGPRBlocks: 0
; VGPRBlocks: 0
; NumSGPRsForWavesPerEU: 1
; NumVGPRsForWavesPerEU: 1
; NamedBarCnt: 0
; Occupancy: 16
; WaveLimiterHint : 0
; COMPUTE_PGM_RSRC2:SCRATCH_EN: 0
; COMPUTE_PGM_RSRC2:USER_SGPR: 2
; COMPUTE_PGM_RSRC2:TRAP_HANDLER: 0
; COMPUTE_PGM_RSRC2:TGID_X_EN: 1
; COMPUTE_PGM_RSRC2:TGID_Y_EN: 0
; COMPUTE_PGM_RSRC2:TGID_Z_EN: 0
; COMPUTE_PGM_RSRC2:TIDIG_COMP_CNT: 0
	.section	.text._ZN7rocprim17ROCPRIM_400000_NS6detail17trampoline_kernelINS0_14default_configENS1_35radix_sort_onesweep_config_selectorIjNS0_10empty_typeEEEZZNS1_29radix_sort_onesweep_iterationIS3_Lb0EPKjPjPS5_SB_mNS0_19identity_decomposerENS1_16block_id_wrapperIjLb1EEEEE10hipError_tT1_PNSt15iterator_traitsISG_E10value_typeET2_T3_PNSH_ISM_E10value_typeET4_T5_PSR_SS_PNS1_23onesweep_lookback_stateEbbT6_jjT7_P12ihipStream_tbENKUlT_T0_SG_SL_E_clISA_SA_SB_SB_EEDaSZ_S10_SG_SL_EUlSZ_E_NS1_11comp_targetILNS1_3genE9ELNS1_11target_archE1100ELNS1_3gpuE3ELNS1_3repE0EEENS1_47radix_sort_onesweep_sort_config_static_selectorELNS0_4arch9wavefront6targetE0EEEvSG_,"axG",@progbits,_ZN7rocprim17ROCPRIM_400000_NS6detail17trampoline_kernelINS0_14default_configENS1_35radix_sort_onesweep_config_selectorIjNS0_10empty_typeEEEZZNS1_29radix_sort_onesweep_iterationIS3_Lb0EPKjPjPS5_SB_mNS0_19identity_decomposerENS1_16block_id_wrapperIjLb1EEEEE10hipError_tT1_PNSt15iterator_traitsISG_E10value_typeET2_T3_PNSH_ISM_E10value_typeET4_T5_PSR_SS_PNS1_23onesweep_lookback_stateEbbT6_jjT7_P12ihipStream_tbENKUlT_T0_SG_SL_E_clISA_SA_SB_SB_EEDaSZ_S10_SG_SL_EUlSZ_E_NS1_11comp_targetILNS1_3genE9ELNS1_11target_archE1100ELNS1_3gpuE3ELNS1_3repE0EEENS1_47radix_sort_onesweep_sort_config_static_selectorELNS0_4arch9wavefront6targetE0EEEvSG_,comdat
	.protected	_ZN7rocprim17ROCPRIM_400000_NS6detail17trampoline_kernelINS0_14default_configENS1_35radix_sort_onesweep_config_selectorIjNS0_10empty_typeEEEZZNS1_29radix_sort_onesweep_iterationIS3_Lb0EPKjPjPS5_SB_mNS0_19identity_decomposerENS1_16block_id_wrapperIjLb1EEEEE10hipError_tT1_PNSt15iterator_traitsISG_E10value_typeET2_T3_PNSH_ISM_E10value_typeET4_T5_PSR_SS_PNS1_23onesweep_lookback_stateEbbT6_jjT7_P12ihipStream_tbENKUlT_T0_SG_SL_E_clISA_SA_SB_SB_EEDaSZ_S10_SG_SL_EUlSZ_E_NS1_11comp_targetILNS1_3genE9ELNS1_11target_archE1100ELNS1_3gpuE3ELNS1_3repE0EEENS1_47radix_sort_onesweep_sort_config_static_selectorELNS0_4arch9wavefront6targetE0EEEvSG_ ; -- Begin function _ZN7rocprim17ROCPRIM_400000_NS6detail17trampoline_kernelINS0_14default_configENS1_35radix_sort_onesweep_config_selectorIjNS0_10empty_typeEEEZZNS1_29radix_sort_onesweep_iterationIS3_Lb0EPKjPjPS5_SB_mNS0_19identity_decomposerENS1_16block_id_wrapperIjLb1EEEEE10hipError_tT1_PNSt15iterator_traitsISG_E10value_typeET2_T3_PNSH_ISM_E10value_typeET4_T5_PSR_SS_PNS1_23onesweep_lookback_stateEbbT6_jjT7_P12ihipStream_tbENKUlT_T0_SG_SL_E_clISA_SA_SB_SB_EEDaSZ_S10_SG_SL_EUlSZ_E_NS1_11comp_targetILNS1_3genE9ELNS1_11target_archE1100ELNS1_3gpuE3ELNS1_3repE0EEENS1_47radix_sort_onesweep_sort_config_static_selectorELNS0_4arch9wavefront6targetE0EEEvSG_
	.globl	_ZN7rocprim17ROCPRIM_400000_NS6detail17trampoline_kernelINS0_14default_configENS1_35radix_sort_onesweep_config_selectorIjNS0_10empty_typeEEEZZNS1_29radix_sort_onesweep_iterationIS3_Lb0EPKjPjPS5_SB_mNS0_19identity_decomposerENS1_16block_id_wrapperIjLb1EEEEE10hipError_tT1_PNSt15iterator_traitsISG_E10value_typeET2_T3_PNSH_ISM_E10value_typeET4_T5_PSR_SS_PNS1_23onesweep_lookback_stateEbbT6_jjT7_P12ihipStream_tbENKUlT_T0_SG_SL_E_clISA_SA_SB_SB_EEDaSZ_S10_SG_SL_EUlSZ_E_NS1_11comp_targetILNS1_3genE9ELNS1_11target_archE1100ELNS1_3gpuE3ELNS1_3repE0EEENS1_47radix_sort_onesweep_sort_config_static_selectorELNS0_4arch9wavefront6targetE0EEEvSG_
	.p2align	8
	.type	_ZN7rocprim17ROCPRIM_400000_NS6detail17trampoline_kernelINS0_14default_configENS1_35radix_sort_onesweep_config_selectorIjNS0_10empty_typeEEEZZNS1_29radix_sort_onesweep_iterationIS3_Lb0EPKjPjPS5_SB_mNS0_19identity_decomposerENS1_16block_id_wrapperIjLb1EEEEE10hipError_tT1_PNSt15iterator_traitsISG_E10value_typeET2_T3_PNSH_ISM_E10value_typeET4_T5_PSR_SS_PNS1_23onesweep_lookback_stateEbbT6_jjT7_P12ihipStream_tbENKUlT_T0_SG_SL_E_clISA_SA_SB_SB_EEDaSZ_S10_SG_SL_EUlSZ_E_NS1_11comp_targetILNS1_3genE9ELNS1_11target_archE1100ELNS1_3gpuE3ELNS1_3repE0EEENS1_47radix_sort_onesweep_sort_config_static_selectorELNS0_4arch9wavefront6targetE0EEEvSG_,@function
_ZN7rocprim17ROCPRIM_400000_NS6detail17trampoline_kernelINS0_14default_configENS1_35radix_sort_onesweep_config_selectorIjNS0_10empty_typeEEEZZNS1_29radix_sort_onesweep_iterationIS3_Lb0EPKjPjPS5_SB_mNS0_19identity_decomposerENS1_16block_id_wrapperIjLb1EEEEE10hipError_tT1_PNSt15iterator_traitsISG_E10value_typeET2_T3_PNSH_ISM_E10value_typeET4_T5_PSR_SS_PNS1_23onesweep_lookback_stateEbbT6_jjT7_P12ihipStream_tbENKUlT_T0_SG_SL_E_clISA_SA_SB_SB_EEDaSZ_S10_SG_SL_EUlSZ_E_NS1_11comp_targetILNS1_3genE9ELNS1_11target_archE1100ELNS1_3gpuE3ELNS1_3repE0EEENS1_47radix_sort_onesweep_sort_config_static_selectorELNS0_4arch9wavefront6targetE0EEEvSG_: ; @_ZN7rocprim17ROCPRIM_400000_NS6detail17trampoline_kernelINS0_14default_configENS1_35radix_sort_onesweep_config_selectorIjNS0_10empty_typeEEEZZNS1_29radix_sort_onesweep_iterationIS3_Lb0EPKjPjPS5_SB_mNS0_19identity_decomposerENS1_16block_id_wrapperIjLb1EEEEE10hipError_tT1_PNSt15iterator_traitsISG_E10value_typeET2_T3_PNSH_ISM_E10value_typeET4_T5_PSR_SS_PNS1_23onesweep_lookback_stateEbbT6_jjT7_P12ihipStream_tbENKUlT_T0_SG_SL_E_clISA_SA_SB_SB_EEDaSZ_S10_SG_SL_EUlSZ_E_NS1_11comp_targetILNS1_3genE9ELNS1_11target_archE1100ELNS1_3gpuE3ELNS1_3repE0EEENS1_47radix_sort_onesweep_sort_config_static_selectorELNS0_4arch9wavefront6targetE0EEEvSG_
; %bb.0:
	.section	.rodata,"a",@progbits
	.p2align	6, 0x0
	.amdhsa_kernel _ZN7rocprim17ROCPRIM_400000_NS6detail17trampoline_kernelINS0_14default_configENS1_35radix_sort_onesweep_config_selectorIjNS0_10empty_typeEEEZZNS1_29radix_sort_onesweep_iterationIS3_Lb0EPKjPjPS5_SB_mNS0_19identity_decomposerENS1_16block_id_wrapperIjLb1EEEEE10hipError_tT1_PNSt15iterator_traitsISG_E10value_typeET2_T3_PNSH_ISM_E10value_typeET4_T5_PSR_SS_PNS1_23onesweep_lookback_stateEbbT6_jjT7_P12ihipStream_tbENKUlT_T0_SG_SL_E_clISA_SA_SB_SB_EEDaSZ_S10_SG_SL_EUlSZ_E_NS1_11comp_targetILNS1_3genE9ELNS1_11target_archE1100ELNS1_3gpuE3ELNS1_3repE0EEENS1_47radix_sort_onesweep_sort_config_static_selectorELNS0_4arch9wavefront6targetE0EEEvSG_
		.amdhsa_group_segment_fixed_size 0
		.amdhsa_private_segment_fixed_size 0
		.amdhsa_kernarg_size 88
		.amdhsa_user_sgpr_count 2
		.amdhsa_user_sgpr_dispatch_ptr 0
		.amdhsa_user_sgpr_queue_ptr 0
		.amdhsa_user_sgpr_kernarg_segment_ptr 1
		.amdhsa_user_sgpr_dispatch_id 0
		.amdhsa_user_sgpr_kernarg_preload_length 0
		.amdhsa_user_sgpr_kernarg_preload_offset 0
		.amdhsa_user_sgpr_private_segment_size 0
		.amdhsa_wavefront_size32 1
		.amdhsa_uses_dynamic_stack 0
		.amdhsa_enable_private_segment 0
		.amdhsa_system_sgpr_workgroup_id_x 1
		.amdhsa_system_sgpr_workgroup_id_y 0
		.amdhsa_system_sgpr_workgroup_id_z 0
		.amdhsa_system_sgpr_workgroup_info 0
		.amdhsa_system_vgpr_workitem_id 0
		.amdhsa_next_free_vgpr 1
		.amdhsa_next_free_sgpr 1
		.amdhsa_named_barrier_count 0
		.amdhsa_reserve_vcc 0
		.amdhsa_float_round_mode_32 0
		.amdhsa_float_round_mode_16_64 0
		.amdhsa_float_denorm_mode_32 3
		.amdhsa_float_denorm_mode_16_64 3
		.amdhsa_fp16_overflow 0
		.amdhsa_memory_ordered 1
		.amdhsa_forward_progress 1
		.amdhsa_inst_pref_size 0
		.amdhsa_round_robin_scheduling 0
		.amdhsa_exception_fp_ieee_invalid_op 0
		.amdhsa_exception_fp_denorm_src 0
		.amdhsa_exception_fp_ieee_div_zero 0
		.amdhsa_exception_fp_ieee_overflow 0
		.amdhsa_exception_fp_ieee_underflow 0
		.amdhsa_exception_fp_ieee_inexact 0
		.amdhsa_exception_int_div_zero 0
	.end_amdhsa_kernel
	.section	.text._ZN7rocprim17ROCPRIM_400000_NS6detail17trampoline_kernelINS0_14default_configENS1_35radix_sort_onesweep_config_selectorIjNS0_10empty_typeEEEZZNS1_29radix_sort_onesweep_iterationIS3_Lb0EPKjPjPS5_SB_mNS0_19identity_decomposerENS1_16block_id_wrapperIjLb1EEEEE10hipError_tT1_PNSt15iterator_traitsISG_E10value_typeET2_T3_PNSH_ISM_E10value_typeET4_T5_PSR_SS_PNS1_23onesweep_lookback_stateEbbT6_jjT7_P12ihipStream_tbENKUlT_T0_SG_SL_E_clISA_SA_SB_SB_EEDaSZ_S10_SG_SL_EUlSZ_E_NS1_11comp_targetILNS1_3genE9ELNS1_11target_archE1100ELNS1_3gpuE3ELNS1_3repE0EEENS1_47radix_sort_onesweep_sort_config_static_selectorELNS0_4arch9wavefront6targetE0EEEvSG_,"axG",@progbits,_ZN7rocprim17ROCPRIM_400000_NS6detail17trampoline_kernelINS0_14default_configENS1_35radix_sort_onesweep_config_selectorIjNS0_10empty_typeEEEZZNS1_29radix_sort_onesweep_iterationIS3_Lb0EPKjPjPS5_SB_mNS0_19identity_decomposerENS1_16block_id_wrapperIjLb1EEEEE10hipError_tT1_PNSt15iterator_traitsISG_E10value_typeET2_T3_PNSH_ISM_E10value_typeET4_T5_PSR_SS_PNS1_23onesweep_lookback_stateEbbT6_jjT7_P12ihipStream_tbENKUlT_T0_SG_SL_E_clISA_SA_SB_SB_EEDaSZ_S10_SG_SL_EUlSZ_E_NS1_11comp_targetILNS1_3genE9ELNS1_11target_archE1100ELNS1_3gpuE3ELNS1_3repE0EEENS1_47radix_sort_onesweep_sort_config_static_selectorELNS0_4arch9wavefront6targetE0EEEvSG_,comdat
.Lfunc_end2760:
	.size	_ZN7rocprim17ROCPRIM_400000_NS6detail17trampoline_kernelINS0_14default_configENS1_35radix_sort_onesweep_config_selectorIjNS0_10empty_typeEEEZZNS1_29radix_sort_onesweep_iterationIS3_Lb0EPKjPjPS5_SB_mNS0_19identity_decomposerENS1_16block_id_wrapperIjLb1EEEEE10hipError_tT1_PNSt15iterator_traitsISG_E10value_typeET2_T3_PNSH_ISM_E10value_typeET4_T5_PSR_SS_PNS1_23onesweep_lookback_stateEbbT6_jjT7_P12ihipStream_tbENKUlT_T0_SG_SL_E_clISA_SA_SB_SB_EEDaSZ_S10_SG_SL_EUlSZ_E_NS1_11comp_targetILNS1_3genE9ELNS1_11target_archE1100ELNS1_3gpuE3ELNS1_3repE0EEENS1_47radix_sort_onesweep_sort_config_static_selectorELNS0_4arch9wavefront6targetE0EEEvSG_, .Lfunc_end2760-_ZN7rocprim17ROCPRIM_400000_NS6detail17trampoline_kernelINS0_14default_configENS1_35radix_sort_onesweep_config_selectorIjNS0_10empty_typeEEEZZNS1_29radix_sort_onesweep_iterationIS3_Lb0EPKjPjPS5_SB_mNS0_19identity_decomposerENS1_16block_id_wrapperIjLb1EEEEE10hipError_tT1_PNSt15iterator_traitsISG_E10value_typeET2_T3_PNSH_ISM_E10value_typeET4_T5_PSR_SS_PNS1_23onesweep_lookback_stateEbbT6_jjT7_P12ihipStream_tbENKUlT_T0_SG_SL_E_clISA_SA_SB_SB_EEDaSZ_S10_SG_SL_EUlSZ_E_NS1_11comp_targetILNS1_3genE9ELNS1_11target_archE1100ELNS1_3gpuE3ELNS1_3repE0EEENS1_47radix_sort_onesweep_sort_config_static_selectorELNS0_4arch9wavefront6targetE0EEEvSG_
                                        ; -- End function
	.set _ZN7rocprim17ROCPRIM_400000_NS6detail17trampoline_kernelINS0_14default_configENS1_35radix_sort_onesweep_config_selectorIjNS0_10empty_typeEEEZZNS1_29radix_sort_onesweep_iterationIS3_Lb0EPKjPjPS5_SB_mNS0_19identity_decomposerENS1_16block_id_wrapperIjLb1EEEEE10hipError_tT1_PNSt15iterator_traitsISG_E10value_typeET2_T3_PNSH_ISM_E10value_typeET4_T5_PSR_SS_PNS1_23onesweep_lookback_stateEbbT6_jjT7_P12ihipStream_tbENKUlT_T0_SG_SL_E_clISA_SA_SB_SB_EEDaSZ_S10_SG_SL_EUlSZ_E_NS1_11comp_targetILNS1_3genE9ELNS1_11target_archE1100ELNS1_3gpuE3ELNS1_3repE0EEENS1_47radix_sort_onesweep_sort_config_static_selectorELNS0_4arch9wavefront6targetE0EEEvSG_.num_vgpr, 0
	.set _ZN7rocprim17ROCPRIM_400000_NS6detail17trampoline_kernelINS0_14default_configENS1_35radix_sort_onesweep_config_selectorIjNS0_10empty_typeEEEZZNS1_29radix_sort_onesweep_iterationIS3_Lb0EPKjPjPS5_SB_mNS0_19identity_decomposerENS1_16block_id_wrapperIjLb1EEEEE10hipError_tT1_PNSt15iterator_traitsISG_E10value_typeET2_T3_PNSH_ISM_E10value_typeET4_T5_PSR_SS_PNS1_23onesweep_lookback_stateEbbT6_jjT7_P12ihipStream_tbENKUlT_T0_SG_SL_E_clISA_SA_SB_SB_EEDaSZ_S10_SG_SL_EUlSZ_E_NS1_11comp_targetILNS1_3genE9ELNS1_11target_archE1100ELNS1_3gpuE3ELNS1_3repE0EEENS1_47radix_sort_onesweep_sort_config_static_selectorELNS0_4arch9wavefront6targetE0EEEvSG_.num_agpr, 0
	.set _ZN7rocprim17ROCPRIM_400000_NS6detail17trampoline_kernelINS0_14default_configENS1_35radix_sort_onesweep_config_selectorIjNS0_10empty_typeEEEZZNS1_29radix_sort_onesweep_iterationIS3_Lb0EPKjPjPS5_SB_mNS0_19identity_decomposerENS1_16block_id_wrapperIjLb1EEEEE10hipError_tT1_PNSt15iterator_traitsISG_E10value_typeET2_T3_PNSH_ISM_E10value_typeET4_T5_PSR_SS_PNS1_23onesweep_lookback_stateEbbT6_jjT7_P12ihipStream_tbENKUlT_T0_SG_SL_E_clISA_SA_SB_SB_EEDaSZ_S10_SG_SL_EUlSZ_E_NS1_11comp_targetILNS1_3genE9ELNS1_11target_archE1100ELNS1_3gpuE3ELNS1_3repE0EEENS1_47radix_sort_onesweep_sort_config_static_selectorELNS0_4arch9wavefront6targetE0EEEvSG_.numbered_sgpr, 0
	.set _ZN7rocprim17ROCPRIM_400000_NS6detail17trampoline_kernelINS0_14default_configENS1_35radix_sort_onesweep_config_selectorIjNS0_10empty_typeEEEZZNS1_29radix_sort_onesweep_iterationIS3_Lb0EPKjPjPS5_SB_mNS0_19identity_decomposerENS1_16block_id_wrapperIjLb1EEEEE10hipError_tT1_PNSt15iterator_traitsISG_E10value_typeET2_T3_PNSH_ISM_E10value_typeET4_T5_PSR_SS_PNS1_23onesweep_lookback_stateEbbT6_jjT7_P12ihipStream_tbENKUlT_T0_SG_SL_E_clISA_SA_SB_SB_EEDaSZ_S10_SG_SL_EUlSZ_E_NS1_11comp_targetILNS1_3genE9ELNS1_11target_archE1100ELNS1_3gpuE3ELNS1_3repE0EEENS1_47radix_sort_onesweep_sort_config_static_selectorELNS0_4arch9wavefront6targetE0EEEvSG_.num_named_barrier, 0
	.set _ZN7rocprim17ROCPRIM_400000_NS6detail17trampoline_kernelINS0_14default_configENS1_35radix_sort_onesweep_config_selectorIjNS0_10empty_typeEEEZZNS1_29radix_sort_onesweep_iterationIS3_Lb0EPKjPjPS5_SB_mNS0_19identity_decomposerENS1_16block_id_wrapperIjLb1EEEEE10hipError_tT1_PNSt15iterator_traitsISG_E10value_typeET2_T3_PNSH_ISM_E10value_typeET4_T5_PSR_SS_PNS1_23onesweep_lookback_stateEbbT6_jjT7_P12ihipStream_tbENKUlT_T0_SG_SL_E_clISA_SA_SB_SB_EEDaSZ_S10_SG_SL_EUlSZ_E_NS1_11comp_targetILNS1_3genE9ELNS1_11target_archE1100ELNS1_3gpuE3ELNS1_3repE0EEENS1_47radix_sort_onesweep_sort_config_static_selectorELNS0_4arch9wavefront6targetE0EEEvSG_.private_seg_size, 0
	.set _ZN7rocprim17ROCPRIM_400000_NS6detail17trampoline_kernelINS0_14default_configENS1_35radix_sort_onesweep_config_selectorIjNS0_10empty_typeEEEZZNS1_29radix_sort_onesweep_iterationIS3_Lb0EPKjPjPS5_SB_mNS0_19identity_decomposerENS1_16block_id_wrapperIjLb1EEEEE10hipError_tT1_PNSt15iterator_traitsISG_E10value_typeET2_T3_PNSH_ISM_E10value_typeET4_T5_PSR_SS_PNS1_23onesweep_lookback_stateEbbT6_jjT7_P12ihipStream_tbENKUlT_T0_SG_SL_E_clISA_SA_SB_SB_EEDaSZ_S10_SG_SL_EUlSZ_E_NS1_11comp_targetILNS1_3genE9ELNS1_11target_archE1100ELNS1_3gpuE3ELNS1_3repE0EEENS1_47radix_sort_onesweep_sort_config_static_selectorELNS0_4arch9wavefront6targetE0EEEvSG_.uses_vcc, 0
	.set _ZN7rocprim17ROCPRIM_400000_NS6detail17trampoline_kernelINS0_14default_configENS1_35radix_sort_onesweep_config_selectorIjNS0_10empty_typeEEEZZNS1_29radix_sort_onesweep_iterationIS3_Lb0EPKjPjPS5_SB_mNS0_19identity_decomposerENS1_16block_id_wrapperIjLb1EEEEE10hipError_tT1_PNSt15iterator_traitsISG_E10value_typeET2_T3_PNSH_ISM_E10value_typeET4_T5_PSR_SS_PNS1_23onesweep_lookback_stateEbbT6_jjT7_P12ihipStream_tbENKUlT_T0_SG_SL_E_clISA_SA_SB_SB_EEDaSZ_S10_SG_SL_EUlSZ_E_NS1_11comp_targetILNS1_3genE9ELNS1_11target_archE1100ELNS1_3gpuE3ELNS1_3repE0EEENS1_47radix_sort_onesweep_sort_config_static_selectorELNS0_4arch9wavefront6targetE0EEEvSG_.uses_flat_scratch, 0
	.set _ZN7rocprim17ROCPRIM_400000_NS6detail17trampoline_kernelINS0_14default_configENS1_35radix_sort_onesweep_config_selectorIjNS0_10empty_typeEEEZZNS1_29radix_sort_onesweep_iterationIS3_Lb0EPKjPjPS5_SB_mNS0_19identity_decomposerENS1_16block_id_wrapperIjLb1EEEEE10hipError_tT1_PNSt15iterator_traitsISG_E10value_typeET2_T3_PNSH_ISM_E10value_typeET4_T5_PSR_SS_PNS1_23onesweep_lookback_stateEbbT6_jjT7_P12ihipStream_tbENKUlT_T0_SG_SL_E_clISA_SA_SB_SB_EEDaSZ_S10_SG_SL_EUlSZ_E_NS1_11comp_targetILNS1_3genE9ELNS1_11target_archE1100ELNS1_3gpuE3ELNS1_3repE0EEENS1_47radix_sort_onesweep_sort_config_static_selectorELNS0_4arch9wavefront6targetE0EEEvSG_.has_dyn_sized_stack, 0
	.set _ZN7rocprim17ROCPRIM_400000_NS6detail17trampoline_kernelINS0_14default_configENS1_35radix_sort_onesweep_config_selectorIjNS0_10empty_typeEEEZZNS1_29radix_sort_onesweep_iterationIS3_Lb0EPKjPjPS5_SB_mNS0_19identity_decomposerENS1_16block_id_wrapperIjLb1EEEEE10hipError_tT1_PNSt15iterator_traitsISG_E10value_typeET2_T3_PNSH_ISM_E10value_typeET4_T5_PSR_SS_PNS1_23onesweep_lookback_stateEbbT6_jjT7_P12ihipStream_tbENKUlT_T0_SG_SL_E_clISA_SA_SB_SB_EEDaSZ_S10_SG_SL_EUlSZ_E_NS1_11comp_targetILNS1_3genE9ELNS1_11target_archE1100ELNS1_3gpuE3ELNS1_3repE0EEENS1_47radix_sort_onesweep_sort_config_static_selectorELNS0_4arch9wavefront6targetE0EEEvSG_.has_recursion, 0
	.set _ZN7rocprim17ROCPRIM_400000_NS6detail17trampoline_kernelINS0_14default_configENS1_35radix_sort_onesweep_config_selectorIjNS0_10empty_typeEEEZZNS1_29radix_sort_onesweep_iterationIS3_Lb0EPKjPjPS5_SB_mNS0_19identity_decomposerENS1_16block_id_wrapperIjLb1EEEEE10hipError_tT1_PNSt15iterator_traitsISG_E10value_typeET2_T3_PNSH_ISM_E10value_typeET4_T5_PSR_SS_PNS1_23onesweep_lookback_stateEbbT6_jjT7_P12ihipStream_tbENKUlT_T0_SG_SL_E_clISA_SA_SB_SB_EEDaSZ_S10_SG_SL_EUlSZ_E_NS1_11comp_targetILNS1_3genE9ELNS1_11target_archE1100ELNS1_3gpuE3ELNS1_3repE0EEENS1_47radix_sort_onesweep_sort_config_static_selectorELNS0_4arch9wavefront6targetE0EEEvSG_.has_indirect_call, 0
	.section	.AMDGPU.csdata,"",@progbits
; Kernel info:
; codeLenInByte = 0
; TotalNumSgprs: 0
; NumVgprs: 0
; ScratchSize: 0
; MemoryBound: 0
; FloatMode: 240
; IeeeMode: 1
; LDSByteSize: 0 bytes/workgroup (compile time only)
; SGPRBlocks: 0
; VGPRBlocks: 0
; NumSGPRsForWavesPerEU: 1
; NumVGPRsForWavesPerEU: 1
; NamedBarCnt: 0
; Occupancy: 16
; WaveLimiterHint : 0
; COMPUTE_PGM_RSRC2:SCRATCH_EN: 0
; COMPUTE_PGM_RSRC2:USER_SGPR: 2
; COMPUTE_PGM_RSRC2:TRAP_HANDLER: 0
; COMPUTE_PGM_RSRC2:TGID_X_EN: 1
; COMPUTE_PGM_RSRC2:TGID_Y_EN: 0
; COMPUTE_PGM_RSRC2:TGID_Z_EN: 0
; COMPUTE_PGM_RSRC2:TIDIG_COMP_CNT: 0
	.section	.text._ZN7rocprim17ROCPRIM_400000_NS6detail17trampoline_kernelINS0_14default_configENS1_35radix_sort_onesweep_config_selectorIjNS0_10empty_typeEEEZZNS1_29radix_sort_onesweep_iterationIS3_Lb0EPKjPjPS5_SB_mNS0_19identity_decomposerENS1_16block_id_wrapperIjLb1EEEEE10hipError_tT1_PNSt15iterator_traitsISG_E10value_typeET2_T3_PNSH_ISM_E10value_typeET4_T5_PSR_SS_PNS1_23onesweep_lookback_stateEbbT6_jjT7_P12ihipStream_tbENKUlT_T0_SG_SL_E_clISA_SA_SB_SB_EEDaSZ_S10_SG_SL_EUlSZ_E_NS1_11comp_targetILNS1_3genE8ELNS1_11target_archE1030ELNS1_3gpuE2ELNS1_3repE0EEENS1_47radix_sort_onesweep_sort_config_static_selectorELNS0_4arch9wavefront6targetE0EEEvSG_,"axG",@progbits,_ZN7rocprim17ROCPRIM_400000_NS6detail17trampoline_kernelINS0_14default_configENS1_35radix_sort_onesweep_config_selectorIjNS0_10empty_typeEEEZZNS1_29radix_sort_onesweep_iterationIS3_Lb0EPKjPjPS5_SB_mNS0_19identity_decomposerENS1_16block_id_wrapperIjLb1EEEEE10hipError_tT1_PNSt15iterator_traitsISG_E10value_typeET2_T3_PNSH_ISM_E10value_typeET4_T5_PSR_SS_PNS1_23onesweep_lookback_stateEbbT6_jjT7_P12ihipStream_tbENKUlT_T0_SG_SL_E_clISA_SA_SB_SB_EEDaSZ_S10_SG_SL_EUlSZ_E_NS1_11comp_targetILNS1_3genE8ELNS1_11target_archE1030ELNS1_3gpuE2ELNS1_3repE0EEENS1_47radix_sort_onesweep_sort_config_static_selectorELNS0_4arch9wavefront6targetE0EEEvSG_,comdat
	.protected	_ZN7rocprim17ROCPRIM_400000_NS6detail17trampoline_kernelINS0_14default_configENS1_35radix_sort_onesweep_config_selectorIjNS0_10empty_typeEEEZZNS1_29radix_sort_onesweep_iterationIS3_Lb0EPKjPjPS5_SB_mNS0_19identity_decomposerENS1_16block_id_wrapperIjLb1EEEEE10hipError_tT1_PNSt15iterator_traitsISG_E10value_typeET2_T3_PNSH_ISM_E10value_typeET4_T5_PSR_SS_PNS1_23onesweep_lookback_stateEbbT6_jjT7_P12ihipStream_tbENKUlT_T0_SG_SL_E_clISA_SA_SB_SB_EEDaSZ_S10_SG_SL_EUlSZ_E_NS1_11comp_targetILNS1_3genE8ELNS1_11target_archE1030ELNS1_3gpuE2ELNS1_3repE0EEENS1_47radix_sort_onesweep_sort_config_static_selectorELNS0_4arch9wavefront6targetE0EEEvSG_ ; -- Begin function _ZN7rocprim17ROCPRIM_400000_NS6detail17trampoline_kernelINS0_14default_configENS1_35radix_sort_onesweep_config_selectorIjNS0_10empty_typeEEEZZNS1_29radix_sort_onesweep_iterationIS3_Lb0EPKjPjPS5_SB_mNS0_19identity_decomposerENS1_16block_id_wrapperIjLb1EEEEE10hipError_tT1_PNSt15iterator_traitsISG_E10value_typeET2_T3_PNSH_ISM_E10value_typeET4_T5_PSR_SS_PNS1_23onesweep_lookback_stateEbbT6_jjT7_P12ihipStream_tbENKUlT_T0_SG_SL_E_clISA_SA_SB_SB_EEDaSZ_S10_SG_SL_EUlSZ_E_NS1_11comp_targetILNS1_3genE8ELNS1_11target_archE1030ELNS1_3gpuE2ELNS1_3repE0EEENS1_47radix_sort_onesweep_sort_config_static_selectorELNS0_4arch9wavefront6targetE0EEEvSG_
	.globl	_ZN7rocprim17ROCPRIM_400000_NS6detail17trampoline_kernelINS0_14default_configENS1_35radix_sort_onesweep_config_selectorIjNS0_10empty_typeEEEZZNS1_29radix_sort_onesweep_iterationIS3_Lb0EPKjPjPS5_SB_mNS0_19identity_decomposerENS1_16block_id_wrapperIjLb1EEEEE10hipError_tT1_PNSt15iterator_traitsISG_E10value_typeET2_T3_PNSH_ISM_E10value_typeET4_T5_PSR_SS_PNS1_23onesweep_lookback_stateEbbT6_jjT7_P12ihipStream_tbENKUlT_T0_SG_SL_E_clISA_SA_SB_SB_EEDaSZ_S10_SG_SL_EUlSZ_E_NS1_11comp_targetILNS1_3genE8ELNS1_11target_archE1030ELNS1_3gpuE2ELNS1_3repE0EEENS1_47radix_sort_onesweep_sort_config_static_selectorELNS0_4arch9wavefront6targetE0EEEvSG_
	.p2align	8
	.type	_ZN7rocprim17ROCPRIM_400000_NS6detail17trampoline_kernelINS0_14default_configENS1_35radix_sort_onesweep_config_selectorIjNS0_10empty_typeEEEZZNS1_29radix_sort_onesweep_iterationIS3_Lb0EPKjPjPS5_SB_mNS0_19identity_decomposerENS1_16block_id_wrapperIjLb1EEEEE10hipError_tT1_PNSt15iterator_traitsISG_E10value_typeET2_T3_PNSH_ISM_E10value_typeET4_T5_PSR_SS_PNS1_23onesweep_lookback_stateEbbT6_jjT7_P12ihipStream_tbENKUlT_T0_SG_SL_E_clISA_SA_SB_SB_EEDaSZ_S10_SG_SL_EUlSZ_E_NS1_11comp_targetILNS1_3genE8ELNS1_11target_archE1030ELNS1_3gpuE2ELNS1_3repE0EEENS1_47radix_sort_onesweep_sort_config_static_selectorELNS0_4arch9wavefront6targetE0EEEvSG_,@function
_ZN7rocprim17ROCPRIM_400000_NS6detail17trampoline_kernelINS0_14default_configENS1_35radix_sort_onesweep_config_selectorIjNS0_10empty_typeEEEZZNS1_29radix_sort_onesweep_iterationIS3_Lb0EPKjPjPS5_SB_mNS0_19identity_decomposerENS1_16block_id_wrapperIjLb1EEEEE10hipError_tT1_PNSt15iterator_traitsISG_E10value_typeET2_T3_PNSH_ISM_E10value_typeET4_T5_PSR_SS_PNS1_23onesweep_lookback_stateEbbT6_jjT7_P12ihipStream_tbENKUlT_T0_SG_SL_E_clISA_SA_SB_SB_EEDaSZ_S10_SG_SL_EUlSZ_E_NS1_11comp_targetILNS1_3genE8ELNS1_11target_archE1030ELNS1_3gpuE2ELNS1_3repE0EEENS1_47radix_sort_onesweep_sort_config_static_selectorELNS0_4arch9wavefront6targetE0EEEvSG_: ; @_ZN7rocprim17ROCPRIM_400000_NS6detail17trampoline_kernelINS0_14default_configENS1_35radix_sort_onesweep_config_selectorIjNS0_10empty_typeEEEZZNS1_29radix_sort_onesweep_iterationIS3_Lb0EPKjPjPS5_SB_mNS0_19identity_decomposerENS1_16block_id_wrapperIjLb1EEEEE10hipError_tT1_PNSt15iterator_traitsISG_E10value_typeET2_T3_PNSH_ISM_E10value_typeET4_T5_PSR_SS_PNS1_23onesweep_lookback_stateEbbT6_jjT7_P12ihipStream_tbENKUlT_T0_SG_SL_E_clISA_SA_SB_SB_EEDaSZ_S10_SG_SL_EUlSZ_E_NS1_11comp_targetILNS1_3genE8ELNS1_11target_archE1030ELNS1_3gpuE2ELNS1_3repE0EEENS1_47radix_sort_onesweep_sort_config_static_selectorELNS0_4arch9wavefront6targetE0EEEvSG_
; %bb.0:
	.section	.rodata,"a",@progbits
	.p2align	6, 0x0
	.amdhsa_kernel _ZN7rocprim17ROCPRIM_400000_NS6detail17trampoline_kernelINS0_14default_configENS1_35radix_sort_onesweep_config_selectorIjNS0_10empty_typeEEEZZNS1_29radix_sort_onesweep_iterationIS3_Lb0EPKjPjPS5_SB_mNS0_19identity_decomposerENS1_16block_id_wrapperIjLb1EEEEE10hipError_tT1_PNSt15iterator_traitsISG_E10value_typeET2_T3_PNSH_ISM_E10value_typeET4_T5_PSR_SS_PNS1_23onesweep_lookback_stateEbbT6_jjT7_P12ihipStream_tbENKUlT_T0_SG_SL_E_clISA_SA_SB_SB_EEDaSZ_S10_SG_SL_EUlSZ_E_NS1_11comp_targetILNS1_3genE8ELNS1_11target_archE1030ELNS1_3gpuE2ELNS1_3repE0EEENS1_47radix_sort_onesweep_sort_config_static_selectorELNS0_4arch9wavefront6targetE0EEEvSG_
		.amdhsa_group_segment_fixed_size 0
		.amdhsa_private_segment_fixed_size 0
		.amdhsa_kernarg_size 88
		.amdhsa_user_sgpr_count 2
		.amdhsa_user_sgpr_dispatch_ptr 0
		.amdhsa_user_sgpr_queue_ptr 0
		.amdhsa_user_sgpr_kernarg_segment_ptr 1
		.amdhsa_user_sgpr_dispatch_id 0
		.amdhsa_user_sgpr_kernarg_preload_length 0
		.amdhsa_user_sgpr_kernarg_preload_offset 0
		.amdhsa_user_sgpr_private_segment_size 0
		.amdhsa_wavefront_size32 1
		.amdhsa_uses_dynamic_stack 0
		.amdhsa_enable_private_segment 0
		.amdhsa_system_sgpr_workgroup_id_x 1
		.amdhsa_system_sgpr_workgroup_id_y 0
		.amdhsa_system_sgpr_workgroup_id_z 0
		.amdhsa_system_sgpr_workgroup_info 0
		.amdhsa_system_vgpr_workitem_id 0
		.amdhsa_next_free_vgpr 1
		.amdhsa_next_free_sgpr 1
		.amdhsa_named_barrier_count 0
		.amdhsa_reserve_vcc 0
		.amdhsa_float_round_mode_32 0
		.amdhsa_float_round_mode_16_64 0
		.amdhsa_float_denorm_mode_32 3
		.amdhsa_float_denorm_mode_16_64 3
		.amdhsa_fp16_overflow 0
		.amdhsa_memory_ordered 1
		.amdhsa_forward_progress 1
		.amdhsa_inst_pref_size 0
		.amdhsa_round_robin_scheduling 0
		.amdhsa_exception_fp_ieee_invalid_op 0
		.amdhsa_exception_fp_denorm_src 0
		.amdhsa_exception_fp_ieee_div_zero 0
		.amdhsa_exception_fp_ieee_overflow 0
		.amdhsa_exception_fp_ieee_underflow 0
		.amdhsa_exception_fp_ieee_inexact 0
		.amdhsa_exception_int_div_zero 0
	.end_amdhsa_kernel
	.section	.text._ZN7rocprim17ROCPRIM_400000_NS6detail17trampoline_kernelINS0_14default_configENS1_35radix_sort_onesweep_config_selectorIjNS0_10empty_typeEEEZZNS1_29radix_sort_onesweep_iterationIS3_Lb0EPKjPjPS5_SB_mNS0_19identity_decomposerENS1_16block_id_wrapperIjLb1EEEEE10hipError_tT1_PNSt15iterator_traitsISG_E10value_typeET2_T3_PNSH_ISM_E10value_typeET4_T5_PSR_SS_PNS1_23onesweep_lookback_stateEbbT6_jjT7_P12ihipStream_tbENKUlT_T0_SG_SL_E_clISA_SA_SB_SB_EEDaSZ_S10_SG_SL_EUlSZ_E_NS1_11comp_targetILNS1_3genE8ELNS1_11target_archE1030ELNS1_3gpuE2ELNS1_3repE0EEENS1_47radix_sort_onesweep_sort_config_static_selectorELNS0_4arch9wavefront6targetE0EEEvSG_,"axG",@progbits,_ZN7rocprim17ROCPRIM_400000_NS6detail17trampoline_kernelINS0_14default_configENS1_35radix_sort_onesweep_config_selectorIjNS0_10empty_typeEEEZZNS1_29radix_sort_onesweep_iterationIS3_Lb0EPKjPjPS5_SB_mNS0_19identity_decomposerENS1_16block_id_wrapperIjLb1EEEEE10hipError_tT1_PNSt15iterator_traitsISG_E10value_typeET2_T3_PNSH_ISM_E10value_typeET4_T5_PSR_SS_PNS1_23onesweep_lookback_stateEbbT6_jjT7_P12ihipStream_tbENKUlT_T0_SG_SL_E_clISA_SA_SB_SB_EEDaSZ_S10_SG_SL_EUlSZ_E_NS1_11comp_targetILNS1_3genE8ELNS1_11target_archE1030ELNS1_3gpuE2ELNS1_3repE0EEENS1_47radix_sort_onesweep_sort_config_static_selectorELNS0_4arch9wavefront6targetE0EEEvSG_,comdat
.Lfunc_end2761:
	.size	_ZN7rocprim17ROCPRIM_400000_NS6detail17trampoline_kernelINS0_14default_configENS1_35radix_sort_onesweep_config_selectorIjNS0_10empty_typeEEEZZNS1_29radix_sort_onesweep_iterationIS3_Lb0EPKjPjPS5_SB_mNS0_19identity_decomposerENS1_16block_id_wrapperIjLb1EEEEE10hipError_tT1_PNSt15iterator_traitsISG_E10value_typeET2_T3_PNSH_ISM_E10value_typeET4_T5_PSR_SS_PNS1_23onesweep_lookback_stateEbbT6_jjT7_P12ihipStream_tbENKUlT_T0_SG_SL_E_clISA_SA_SB_SB_EEDaSZ_S10_SG_SL_EUlSZ_E_NS1_11comp_targetILNS1_3genE8ELNS1_11target_archE1030ELNS1_3gpuE2ELNS1_3repE0EEENS1_47radix_sort_onesweep_sort_config_static_selectorELNS0_4arch9wavefront6targetE0EEEvSG_, .Lfunc_end2761-_ZN7rocprim17ROCPRIM_400000_NS6detail17trampoline_kernelINS0_14default_configENS1_35radix_sort_onesweep_config_selectorIjNS0_10empty_typeEEEZZNS1_29radix_sort_onesweep_iterationIS3_Lb0EPKjPjPS5_SB_mNS0_19identity_decomposerENS1_16block_id_wrapperIjLb1EEEEE10hipError_tT1_PNSt15iterator_traitsISG_E10value_typeET2_T3_PNSH_ISM_E10value_typeET4_T5_PSR_SS_PNS1_23onesweep_lookback_stateEbbT6_jjT7_P12ihipStream_tbENKUlT_T0_SG_SL_E_clISA_SA_SB_SB_EEDaSZ_S10_SG_SL_EUlSZ_E_NS1_11comp_targetILNS1_3genE8ELNS1_11target_archE1030ELNS1_3gpuE2ELNS1_3repE0EEENS1_47radix_sort_onesweep_sort_config_static_selectorELNS0_4arch9wavefront6targetE0EEEvSG_
                                        ; -- End function
	.set _ZN7rocprim17ROCPRIM_400000_NS6detail17trampoline_kernelINS0_14default_configENS1_35radix_sort_onesweep_config_selectorIjNS0_10empty_typeEEEZZNS1_29radix_sort_onesweep_iterationIS3_Lb0EPKjPjPS5_SB_mNS0_19identity_decomposerENS1_16block_id_wrapperIjLb1EEEEE10hipError_tT1_PNSt15iterator_traitsISG_E10value_typeET2_T3_PNSH_ISM_E10value_typeET4_T5_PSR_SS_PNS1_23onesweep_lookback_stateEbbT6_jjT7_P12ihipStream_tbENKUlT_T0_SG_SL_E_clISA_SA_SB_SB_EEDaSZ_S10_SG_SL_EUlSZ_E_NS1_11comp_targetILNS1_3genE8ELNS1_11target_archE1030ELNS1_3gpuE2ELNS1_3repE0EEENS1_47radix_sort_onesweep_sort_config_static_selectorELNS0_4arch9wavefront6targetE0EEEvSG_.num_vgpr, 0
	.set _ZN7rocprim17ROCPRIM_400000_NS6detail17trampoline_kernelINS0_14default_configENS1_35radix_sort_onesweep_config_selectorIjNS0_10empty_typeEEEZZNS1_29radix_sort_onesweep_iterationIS3_Lb0EPKjPjPS5_SB_mNS0_19identity_decomposerENS1_16block_id_wrapperIjLb1EEEEE10hipError_tT1_PNSt15iterator_traitsISG_E10value_typeET2_T3_PNSH_ISM_E10value_typeET4_T5_PSR_SS_PNS1_23onesweep_lookback_stateEbbT6_jjT7_P12ihipStream_tbENKUlT_T0_SG_SL_E_clISA_SA_SB_SB_EEDaSZ_S10_SG_SL_EUlSZ_E_NS1_11comp_targetILNS1_3genE8ELNS1_11target_archE1030ELNS1_3gpuE2ELNS1_3repE0EEENS1_47radix_sort_onesweep_sort_config_static_selectorELNS0_4arch9wavefront6targetE0EEEvSG_.num_agpr, 0
	.set _ZN7rocprim17ROCPRIM_400000_NS6detail17trampoline_kernelINS0_14default_configENS1_35radix_sort_onesweep_config_selectorIjNS0_10empty_typeEEEZZNS1_29radix_sort_onesweep_iterationIS3_Lb0EPKjPjPS5_SB_mNS0_19identity_decomposerENS1_16block_id_wrapperIjLb1EEEEE10hipError_tT1_PNSt15iterator_traitsISG_E10value_typeET2_T3_PNSH_ISM_E10value_typeET4_T5_PSR_SS_PNS1_23onesweep_lookback_stateEbbT6_jjT7_P12ihipStream_tbENKUlT_T0_SG_SL_E_clISA_SA_SB_SB_EEDaSZ_S10_SG_SL_EUlSZ_E_NS1_11comp_targetILNS1_3genE8ELNS1_11target_archE1030ELNS1_3gpuE2ELNS1_3repE0EEENS1_47radix_sort_onesweep_sort_config_static_selectorELNS0_4arch9wavefront6targetE0EEEvSG_.numbered_sgpr, 0
	.set _ZN7rocprim17ROCPRIM_400000_NS6detail17trampoline_kernelINS0_14default_configENS1_35radix_sort_onesweep_config_selectorIjNS0_10empty_typeEEEZZNS1_29radix_sort_onesweep_iterationIS3_Lb0EPKjPjPS5_SB_mNS0_19identity_decomposerENS1_16block_id_wrapperIjLb1EEEEE10hipError_tT1_PNSt15iterator_traitsISG_E10value_typeET2_T3_PNSH_ISM_E10value_typeET4_T5_PSR_SS_PNS1_23onesweep_lookback_stateEbbT6_jjT7_P12ihipStream_tbENKUlT_T0_SG_SL_E_clISA_SA_SB_SB_EEDaSZ_S10_SG_SL_EUlSZ_E_NS1_11comp_targetILNS1_3genE8ELNS1_11target_archE1030ELNS1_3gpuE2ELNS1_3repE0EEENS1_47radix_sort_onesweep_sort_config_static_selectorELNS0_4arch9wavefront6targetE0EEEvSG_.num_named_barrier, 0
	.set _ZN7rocprim17ROCPRIM_400000_NS6detail17trampoline_kernelINS0_14default_configENS1_35radix_sort_onesweep_config_selectorIjNS0_10empty_typeEEEZZNS1_29radix_sort_onesweep_iterationIS3_Lb0EPKjPjPS5_SB_mNS0_19identity_decomposerENS1_16block_id_wrapperIjLb1EEEEE10hipError_tT1_PNSt15iterator_traitsISG_E10value_typeET2_T3_PNSH_ISM_E10value_typeET4_T5_PSR_SS_PNS1_23onesweep_lookback_stateEbbT6_jjT7_P12ihipStream_tbENKUlT_T0_SG_SL_E_clISA_SA_SB_SB_EEDaSZ_S10_SG_SL_EUlSZ_E_NS1_11comp_targetILNS1_3genE8ELNS1_11target_archE1030ELNS1_3gpuE2ELNS1_3repE0EEENS1_47radix_sort_onesweep_sort_config_static_selectorELNS0_4arch9wavefront6targetE0EEEvSG_.private_seg_size, 0
	.set _ZN7rocprim17ROCPRIM_400000_NS6detail17trampoline_kernelINS0_14default_configENS1_35radix_sort_onesweep_config_selectorIjNS0_10empty_typeEEEZZNS1_29radix_sort_onesweep_iterationIS3_Lb0EPKjPjPS5_SB_mNS0_19identity_decomposerENS1_16block_id_wrapperIjLb1EEEEE10hipError_tT1_PNSt15iterator_traitsISG_E10value_typeET2_T3_PNSH_ISM_E10value_typeET4_T5_PSR_SS_PNS1_23onesweep_lookback_stateEbbT6_jjT7_P12ihipStream_tbENKUlT_T0_SG_SL_E_clISA_SA_SB_SB_EEDaSZ_S10_SG_SL_EUlSZ_E_NS1_11comp_targetILNS1_3genE8ELNS1_11target_archE1030ELNS1_3gpuE2ELNS1_3repE0EEENS1_47radix_sort_onesweep_sort_config_static_selectorELNS0_4arch9wavefront6targetE0EEEvSG_.uses_vcc, 0
	.set _ZN7rocprim17ROCPRIM_400000_NS6detail17trampoline_kernelINS0_14default_configENS1_35radix_sort_onesweep_config_selectorIjNS0_10empty_typeEEEZZNS1_29radix_sort_onesweep_iterationIS3_Lb0EPKjPjPS5_SB_mNS0_19identity_decomposerENS1_16block_id_wrapperIjLb1EEEEE10hipError_tT1_PNSt15iterator_traitsISG_E10value_typeET2_T3_PNSH_ISM_E10value_typeET4_T5_PSR_SS_PNS1_23onesweep_lookback_stateEbbT6_jjT7_P12ihipStream_tbENKUlT_T0_SG_SL_E_clISA_SA_SB_SB_EEDaSZ_S10_SG_SL_EUlSZ_E_NS1_11comp_targetILNS1_3genE8ELNS1_11target_archE1030ELNS1_3gpuE2ELNS1_3repE0EEENS1_47radix_sort_onesweep_sort_config_static_selectorELNS0_4arch9wavefront6targetE0EEEvSG_.uses_flat_scratch, 0
	.set _ZN7rocprim17ROCPRIM_400000_NS6detail17trampoline_kernelINS0_14default_configENS1_35radix_sort_onesweep_config_selectorIjNS0_10empty_typeEEEZZNS1_29radix_sort_onesweep_iterationIS3_Lb0EPKjPjPS5_SB_mNS0_19identity_decomposerENS1_16block_id_wrapperIjLb1EEEEE10hipError_tT1_PNSt15iterator_traitsISG_E10value_typeET2_T3_PNSH_ISM_E10value_typeET4_T5_PSR_SS_PNS1_23onesweep_lookback_stateEbbT6_jjT7_P12ihipStream_tbENKUlT_T0_SG_SL_E_clISA_SA_SB_SB_EEDaSZ_S10_SG_SL_EUlSZ_E_NS1_11comp_targetILNS1_3genE8ELNS1_11target_archE1030ELNS1_3gpuE2ELNS1_3repE0EEENS1_47radix_sort_onesweep_sort_config_static_selectorELNS0_4arch9wavefront6targetE0EEEvSG_.has_dyn_sized_stack, 0
	.set _ZN7rocprim17ROCPRIM_400000_NS6detail17trampoline_kernelINS0_14default_configENS1_35radix_sort_onesweep_config_selectorIjNS0_10empty_typeEEEZZNS1_29radix_sort_onesweep_iterationIS3_Lb0EPKjPjPS5_SB_mNS0_19identity_decomposerENS1_16block_id_wrapperIjLb1EEEEE10hipError_tT1_PNSt15iterator_traitsISG_E10value_typeET2_T3_PNSH_ISM_E10value_typeET4_T5_PSR_SS_PNS1_23onesweep_lookback_stateEbbT6_jjT7_P12ihipStream_tbENKUlT_T0_SG_SL_E_clISA_SA_SB_SB_EEDaSZ_S10_SG_SL_EUlSZ_E_NS1_11comp_targetILNS1_3genE8ELNS1_11target_archE1030ELNS1_3gpuE2ELNS1_3repE0EEENS1_47radix_sort_onesweep_sort_config_static_selectorELNS0_4arch9wavefront6targetE0EEEvSG_.has_recursion, 0
	.set _ZN7rocprim17ROCPRIM_400000_NS6detail17trampoline_kernelINS0_14default_configENS1_35radix_sort_onesweep_config_selectorIjNS0_10empty_typeEEEZZNS1_29radix_sort_onesweep_iterationIS3_Lb0EPKjPjPS5_SB_mNS0_19identity_decomposerENS1_16block_id_wrapperIjLb1EEEEE10hipError_tT1_PNSt15iterator_traitsISG_E10value_typeET2_T3_PNSH_ISM_E10value_typeET4_T5_PSR_SS_PNS1_23onesweep_lookback_stateEbbT6_jjT7_P12ihipStream_tbENKUlT_T0_SG_SL_E_clISA_SA_SB_SB_EEDaSZ_S10_SG_SL_EUlSZ_E_NS1_11comp_targetILNS1_3genE8ELNS1_11target_archE1030ELNS1_3gpuE2ELNS1_3repE0EEENS1_47radix_sort_onesweep_sort_config_static_selectorELNS0_4arch9wavefront6targetE0EEEvSG_.has_indirect_call, 0
	.section	.AMDGPU.csdata,"",@progbits
; Kernel info:
; codeLenInByte = 0
; TotalNumSgprs: 0
; NumVgprs: 0
; ScratchSize: 0
; MemoryBound: 0
; FloatMode: 240
; IeeeMode: 1
; LDSByteSize: 0 bytes/workgroup (compile time only)
; SGPRBlocks: 0
; VGPRBlocks: 0
; NumSGPRsForWavesPerEU: 1
; NumVGPRsForWavesPerEU: 1
; NamedBarCnt: 0
; Occupancy: 16
; WaveLimiterHint : 0
; COMPUTE_PGM_RSRC2:SCRATCH_EN: 0
; COMPUTE_PGM_RSRC2:USER_SGPR: 2
; COMPUTE_PGM_RSRC2:TRAP_HANDLER: 0
; COMPUTE_PGM_RSRC2:TGID_X_EN: 1
; COMPUTE_PGM_RSRC2:TGID_Y_EN: 0
; COMPUTE_PGM_RSRC2:TGID_Z_EN: 0
; COMPUTE_PGM_RSRC2:TIDIG_COMP_CNT: 0
	.section	.text._ZN7rocprim17ROCPRIM_400000_NS6detail17trampoline_kernelINS0_14default_configENS1_35radix_sort_onesweep_config_selectorIjNS0_10empty_typeEEEZZNS1_29radix_sort_onesweep_iterationIS3_Lb0EPKjPjPS5_SB_mNS0_19identity_decomposerENS1_16block_id_wrapperIjLb0EEEEE10hipError_tT1_PNSt15iterator_traitsISG_E10value_typeET2_T3_PNSH_ISM_E10value_typeET4_T5_PSR_SS_PNS1_23onesweep_lookback_stateEbbT6_jjT7_P12ihipStream_tbENKUlT_T0_SG_SL_E_clIS9_SA_SB_SB_EEDaSZ_S10_SG_SL_EUlSZ_E_NS1_11comp_targetILNS1_3genE0ELNS1_11target_archE4294967295ELNS1_3gpuE0ELNS1_3repE0EEENS1_47radix_sort_onesweep_sort_config_static_selectorELNS0_4arch9wavefront6targetE0EEEvSG_,"axG",@progbits,_ZN7rocprim17ROCPRIM_400000_NS6detail17trampoline_kernelINS0_14default_configENS1_35radix_sort_onesweep_config_selectorIjNS0_10empty_typeEEEZZNS1_29radix_sort_onesweep_iterationIS3_Lb0EPKjPjPS5_SB_mNS0_19identity_decomposerENS1_16block_id_wrapperIjLb0EEEEE10hipError_tT1_PNSt15iterator_traitsISG_E10value_typeET2_T3_PNSH_ISM_E10value_typeET4_T5_PSR_SS_PNS1_23onesweep_lookback_stateEbbT6_jjT7_P12ihipStream_tbENKUlT_T0_SG_SL_E_clIS9_SA_SB_SB_EEDaSZ_S10_SG_SL_EUlSZ_E_NS1_11comp_targetILNS1_3genE0ELNS1_11target_archE4294967295ELNS1_3gpuE0ELNS1_3repE0EEENS1_47radix_sort_onesweep_sort_config_static_selectorELNS0_4arch9wavefront6targetE0EEEvSG_,comdat
	.protected	_ZN7rocprim17ROCPRIM_400000_NS6detail17trampoline_kernelINS0_14default_configENS1_35radix_sort_onesweep_config_selectorIjNS0_10empty_typeEEEZZNS1_29radix_sort_onesweep_iterationIS3_Lb0EPKjPjPS5_SB_mNS0_19identity_decomposerENS1_16block_id_wrapperIjLb0EEEEE10hipError_tT1_PNSt15iterator_traitsISG_E10value_typeET2_T3_PNSH_ISM_E10value_typeET4_T5_PSR_SS_PNS1_23onesweep_lookback_stateEbbT6_jjT7_P12ihipStream_tbENKUlT_T0_SG_SL_E_clIS9_SA_SB_SB_EEDaSZ_S10_SG_SL_EUlSZ_E_NS1_11comp_targetILNS1_3genE0ELNS1_11target_archE4294967295ELNS1_3gpuE0ELNS1_3repE0EEENS1_47radix_sort_onesweep_sort_config_static_selectorELNS0_4arch9wavefront6targetE0EEEvSG_ ; -- Begin function _ZN7rocprim17ROCPRIM_400000_NS6detail17trampoline_kernelINS0_14default_configENS1_35radix_sort_onesweep_config_selectorIjNS0_10empty_typeEEEZZNS1_29radix_sort_onesweep_iterationIS3_Lb0EPKjPjPS5_SB_mNS0_19identity_decomposerENS1_16block_id_wrapperIjLb0EEEEE10hipError_tT1_PNSt15iterator_traitsISG_E10value_typeET2_T3_PNSH_ISM_E10value_typeET4_T5_PSR_SS_PNS1_23onesweep_lookback_stateEbbT6_jjT7_P12ihipStream_tbENKUlT_T0_SG_SL_E_clIS9_SA_SB_SB_EEDaSZ_S10_SG_SL_EUlSZ_E_NS1_11comp_targetILNS1_3genE0ELNS1_11target_archE4294967295ELNS1_3gpuE0ELNS1_3repE0EEENS1_47radix_sort_onesweep_sort_config_static_selectorELNS0_4arch9wavefront6targetE0EEEvSG_
	.globl	_ZN7rocprim17ROCPRIM_400000_NS6detail17trampoline_kernelINS0_14default_configENS1_35radix_sort_onesweep_config_selectorIjNS0_10empty_typeEEEZZNS1_29radix_sort_onesweep_iterationIS3_Lb0EPKjPjPS5_SB_mNS0_19identity_decomposerENS1_16block_id_wrapperIjLb0EEEEE10hipError_tT1_PNSt15iterator_traitsISG_E10value_typeET2_T3_PNSH_ISM_E10value_typeET4_T5_PSR_SS_PNS1_23onesweep_lookback_stateEbbT6_jjT7_P12ihipStream_tbENKUlT_T0_SG_SL_E_clIS9_SA_SB_SB_EEDaSZ_S10_SG_SL_EUlSZ_E_NS1_11comp_targetILNS1_3genE0ELNS1_11target_archE4294967295ELNS1_3gpuE0ELNS1_3repE0EEENS1_47radix_sort_onesweep_sort_config_static_selectorELNS0_4arch9wavefront6targetE0EEEvSG_
	.p2align	8
	.type	_ZN7rocprim17ROCPRIM_400000_NS6detail17trampoline_kernelINS0_14default_configENS1_35radix_sort_onesweep_config_selectorIjNS0_10empty_typeEEEZZNS1_29radix_sort_onesweep_iterationIS3_Lb0EPKjPjPS5_SB_mNS0_19identity_decomposerENS1_16block_id_wrapperIjLb0EEEEE10hipError_tT1_PNSt15iterator_traitsISG_E10value_typeET2_T3_PNSH_ISM_E10value_typeET4_T5_PSR_SS_PNS1_23onesweep_lookback_stateEbbT6_jjT7_P12ihipStream_tbENKUlT_T0_SG_SL_E_clIS9_SA_SB_SB_EEDaSZ_S10_SG_SL_EUlSZ_E_NS1_11comp_targetILNS1_3genE0ELNS1_11target_archE4294967295ELNS1_3gpuE0ELNS1_3repE0EEENS1_47radix_sort_onesweep_sort_config_static_selectorELNS0_4arch9wavefront6targetE0EEEvSG_,@function
_ZN7rocprim17ROCPRIM_400000_NS6detail17trampoline_kernelINS0_14default_configENS1_35radix_sort_onesweep_config_selectorIjNS0_10empty_typeEEEZZNS1_29radix_sort_onesweep_iterationIS3_Lb0EPKjPjPS5_SB_mNS0_19identity_decomposerENS1_16block_id_wrapperIjLb0EEEEE10hipError_tT1_PNSt15iterator_traitsISG_E10value_typeET2_T3_PNSH_ISM_E10value_typeET4_T5_PSR_SS_PNS1_23onesweep_lookback_stateEbbT6_jjT7_P12ihipStream_tbENKUlT_T0_SG_SL_E_clIS9_SA_SB_SB_EEDaSZ_S10_SG_SL_EUlSZ_E_NS1_11comp_targetILNS1_3genE0ELNS1_11target_archE4294967295ELNS1_3gpuE0ELNS1_3repE0EEENS1_47radix_sort_onesweep_sort_config_static_selectorELNS0_4arch9wavefront6targetE0EEEvSG_: ; @_ZN7rocprim17ROCPRIM_400000_NS6detail17trampoline_kernelINS0_14default_configENS1_35radix_sort_onesweep_config_selectorIjNS0_10empty_typeEEEZZNS1_29radix_sort_onesweep_iterationIS3_Lb0EPKjPjPS5_SB_mNS0_19identity_decomposerENS1_16block_id_wrapperIjLb0EEEEE10hipError_tT1_PNSt15iterator_traitsISG_E10value_typeET2_T3_PNSH_ISM_E10value_typeET4_T5_PSR_SS_PNS1_23onesweep_lookback_stateEbbT6_jjT7_P12ihipStream_tbENKUlT_T0_SG_SL_E_clIS9_SA_SB_SB_EEDaSZ_S10_SG_SL_EUlSZ_E_NS1_11comp_targetILNS1_3genE0ELNS1_11target_archE4294967295ELNS1_3gpuE0ELNS1_3repE0EEENS1_47radix_sort_onesweep_sort_config_static_selectorELNS0_4arch9wavefront6targetE0EEEvSG_
; %bb.0:
	s_clause 0x3
	s_load_b96 s[20:22], s[0:1], 0x44
	s_load_b64 s[10:11], s[0:1], 0x38
	s_load_b128 s[16:19], s[0:1], 0x0
	s_load_b128 s[12:15], s[0:1], 0x28
	s_bfe_u32 s2, ttmp6, 0x4000c
	s_and_b32 s3, ttmp6, 15
	s_add_co_i32 s2, s2, 1
	s_getreg_b32 s4, hwreg(HW_REG_IB_STS2, 6, 4)
	s_mul_i32 s5, ttmp9, s2
	v_mbcnt_lo_u32_b32 v16, -1, 0
	s_add_co_i32 s3, s3, s5
	s_cmp_eq_u32 s4, 0
	v_and_b32_e32 v17, 0x1e0, v0
	s_cselect_b32 s9, ttmp9, s3
	s_mov_b32 s25, 0
	s_mov_b32 s2, -1
	s_mul_i32 s24, s9, 0x1800
	s_add_nc_u64 s[26:27], s[0:1], 0x58
	s_wait_kmcnt 0x0
	s_cmp_ge_u32 s9, s22
	s_cbranch_scc0 .LBB2762_90
; %bb.1:
	s_load_b32 s4, s[0:1], 0x20
	v_dual_mov_b32 v3, 0 :: v_dual_lshlrev_b32 v2, 2, v16
	s_lshl_b64 s[2:3], s[24:25], 2
	v_mul_u32_u24_e32 v1, 12, v17
	s_add_nc_u64 s[2:3], s[16:17], s[2:3]
	v_mov_b32_e32 v18, -1
	v_add_nc_u64_e32 v[6:7], s[2:3], v[2:3]
	s_mul_i32 s2, s22, 0xffffe800
	v_dual_lshlrev_b32 v2, 2, v1 :: v_dual_bitop2_b32 v4, v16, v1 bitop3:0x54
	v_mov_b32_e32 v1, -1
	s_delay_alu instid0(VALU_DEP_2)
	v_add_nc_u64_e32 v[2:3], v[6:7], v[2:3]
	s_wait_kmcnt 0x0
	s_add_co_i32 s22, s4, s2
	s_mov_b32 s2, exec_lo
	v_cmpx_gt_u32_e64 s22, v4
	s_cbranch_execz .LBB2762_3
; %bb.2:
	global_load_b32 v18, v[2:3], off
.LBB2762_3:
	s_wait_xcnt 0x0
	s_or_b32 exec_lo, exec_lo, s2
	v_or_b32_e32 v5, 32, v4
	s_mov_b32 s2, exec_lo
	s_delay_alu instid0(VALU_DEP_1)
	v_cmpx_gt_u32_e64 s22, v5
	s_cbranch_execz .LBB2762_5
; %bb.4:
	global_load_b32 v1, v[2:3], off offset:128
.LBB2762_5:
	s_wait_xcnt 0x0
	s_or_b32 exec_lo, exec_lo, s2
	v_dual_mov_b32 v19, -1 :: v_dual_bitop2_b32 v5, 64, v4 bitop3:0x54
	v_mov_b32_e32 v20, -1
	s_mov_b32 s2, exec_lo
	s_delay_alu instid0(VALU_DEP_2)
	v_cmpx_gt_u32_e64 s22, v5
	s_cbranch_execz .LBB2762_7
; %bb.6:
	global_load_b32 v20, v[2:3], off offset:256
.LBB2762_7:
	s_wait_xcnt 0x0
	s_or_b32 exec_lo, exec_lo, s2
	v_or_b32_e32 v5, 0x60, v4
	s_mov_b32 s2, exec_lo
	s_delay_alu instid0(VALU_DEP_1)
	v_cmpx_gt_u32_e64 s22, v5
	s_cbranch_execz .LBB2762_9
; %bb.8:
	global_load_b32 v19, v[2:3], off offset:384
.LBB2762_9:
	s_wait_xcnt 0x0
	s_or_b32 exec_lo, exec_lo, s2
	v_dual_mov_b32 v22, -1 :: v_dual_add_nc_u32 v5, 0x80, v4
	v_mov_b32_e32 v21, -1
	s_mov_b32 s2, exec_lo
	s_delay_alu instid0(VALU_DEP_2)
	v_cmpx_gt_u32_e64 s22, v5
	s_cbranch_execz .LBB2762_11
; %bb.10:
	global_load_b32 v22, v[2:3], off offset:512
.LBB2762_11:
	s_wait_xcnt 0x0
	s_or_b32 exec_lo, exec_lo, s2
	v_add_nc_u32_e32 v5, 0xa0, v4
	s_mov_b32 s2, exec_lo
	s_delay_alu instid0(VALU_DEP_1)
	v_cmpx_gt_u32_e64 s22, v5
	s_cbranch_execz .LBB2762_13
; %bb.12:
	global_load_b32 v21, v[2:3], off offset:640
.LBB2762_13:
	s_wait_xcnt 0x0
	s_or_b32 exec_lo, exec_lo, s2
	v_dual_mov_b32 v24, -1 :: v_dual_add_nc_u32 v5, 0xc0, v4
	v_mov_b32_e32 v23, -1
	s_mov_b32 s2, exec_lo
	s_delay_alu instid0(VALU_DEP_2)
	v_cmpx_gt_u32_e64 s22, v5
	s_cbranch_execz .LBB2762_15
; %bb.14:
	global_load_b32 v24, v[2:3], off offset:768
.LBB2762_15:
	s_wait_xcnt 0x0
	s_or_b32 exec_lo, exec_lo, s2
	v_add_nc_u32_e32 v5, 0xe0, v4
	;; [unrolled: 21-line block ×4, first 2 shown]
	v_and_b32_e32 v27, 0x3ff, v0
	s_mov_b32 s2, exec_lo
	s_delay_alu instid0(VALU_DEP_2)
	v_cmpx_gt_u32_e64 s22, v4
	s_cbranch_execz .LBB2762_25
; %bb.24:
	global_load_b32 v28, v[2:3], off offset:1408
.LBB2762_25:
	s_wait_xcnt 0x0
	s_or_b32 exec_lo, exec_lo, s2
	s_clause 0x1
	s_load_b32 s23, s[0:1], 0x58
	s_load_u16 s4, s[0:1], 0x66
	v_bfe_u32 v2, v0, 10, 10
	v_bfe_u32 v3, v0, 20, 10
	s_wait_loadcnt 0x0
	v_lshrrev_b32_e32 v4, s20, v18
	s_mov_b32 s3, 0
	s_wait_kmcnt 0x0
	s_cmp_lt_u32 s9, s23
	v_mad_u32_u24 v2, v3, s4, v2
	s_cselect_b32 s2, 12, 18
	s_lshl_b32 s25, -1, s21
	s_add_nc_u64 s[2:3], s[26:27], s[2:3]
	v_bitop3_b32 v3, v4, 1, s25 bitop3:0x40
	s_load_u16 s28, s[2:3], 0x0
	v_bitop3_b32 v4, v4, s25, v4 bitop3:0x30
	s_wait_xcnt 0x0
	s_delay_alu instid0(VALU_DEP_2) | instskip(NEXT) | instid1(VALU_DEP_1)
	v_add_co_u32 v3, s2, v3, -1
	v_cndmask_b32_e64 v5, 0, 1, s2
	s_delay_alu instid0(VALU_DEP_3) | instskip(SKIP_1) | instid1(VALU_DEP_3)
	v_dual_lshlrev_b32 v6, 30, v4 :: v_dual_lshlrev_b32 v7, 29, v4
	v_dual_lshlrev_b32 v8, 28, v4 :: v_dual_lshlrev_b32 v9, 27, v4
	v_cmp_ne_u32_e32 vcc_lo, 0, v5
	s_delay_alu instid0(VALU_DEP_3)
	v_not_b32_e32 v5, v6
	v_dual_lshlrev_b32 v10, 26, v4 :: v_dual_lshlrev_b32 v11, 25, v4
	v_cmp_gt_i32_e64 s2, 0, v6
	v_cmp_gt_i32_e64 s3, 0, v7
	v_not_b32_e32 v6, v7
	v_not_b32_e32 v7, v8
	v_ashrrev_i32_e32 v5, 31, v5
	s_wait_kmcnt 0x0
	v_mad_u32 v2, v2, s28, v27
	v_dual_lshlrev_b32 v12, 24, v4 :: v_dual_bitop2_b32 v3, vcc_lo, v3 bitop3:0x14
	v_cmp_gt_i32_e64 s4, 0, v8
	v_cmp_gt_i32_e64 s5, 0, v9
	v_not_b32_e32 v8, v9
	v_cmp_gt_i32_e64 s6, 0, v10
	v_not_b32_e32 v9, v10
	v_not_b32_e32 v10, v11
	v_dual_ashrrev_i32 v6, 31, v6 :: v_dual_ashrrev_i32 v7, 31, v7
	v_dual_ashrrev_i32 v8, 31, v8 :: v_dual_bitop2_b32 v5, s2, v5 bitop3:0x14
	v_cmp_gt_i32_e64 s7, 0, v11
	v_not_b32_e32 v11, v12
	s_delay_alu instid0(VALU_DEP_4)
	v_dual_ashrrev_i32 v9, 31, v9 :: v_dual_bitop2_b32 v6, s3, v6 bitop3:0x14
	v_xor_b32_e32 v7, s4, v7
	v_bitop3_b32 v3, v3, v5, exec_lo bitop3:0x80
	v_ashrrev_i32_e32 v5, 31, v10
	v_mul_lo_u32 v4, 0x44, v4
	v_cmp_gt_i32_e64 s8, 0, v12
	v_dual_ashrrev_i32 v10, 31, v11 :: v_dual_bitop2_b32 v8, s5, v8 bitop3:0x14
	v_xor_b32_e32 v9, s6, v9
	v_bitop3_b32 v3, v3, v7, v6 bitop3:0x80
	v_dual_lshrrev_b32 v2, 3, v2 :: v_dual_bitop2_b32 v5, s7, v5 bitop3:0x14
	v_mov_b32_e32 v6, 0
	v_mul_u32_u24_e32 v12, 36, v27
	s_delay_alu instid0(VALU_DEP_4)
	v_bitop3_b32 v3, v3, v9, v8 bitop3:0x80
	s_not_b32 s6, s25
	v_and_b32_e32 v2, 0x1ffffffc, v2
	v_xor_b32_e32 v7, s8, v10
	ds_store_2addr_b32 v12, v6, v6 offset0:16 offset1:17
	ds_store_2addr_b32 v12, v6, v6 offset0:18 offset1:19
	;; [unrolled: 1-line block ×4, first 2 shown]
	ds_store_b32 v12, v6 offset:96
	s_wait_dscnt 0x0
	v_add_nc_u32_e32 v13, v2, v4
	v_bitop3_b32 v3, v3, v7, v5 bitop3:0x80
	s_barrier_signal -1
	s_barrier_wait -1
	s_delay_alu instid0(VALU_DEP_1) | instskip(SKIP_1) | instid1(VALU_DEP_2)
	v_mbcnt_lo_u32_b32 v7, v3, 0
	v_cmp_ne_u32_e64 s2, 0, v3
	; wave barrier
	v_cmp_eq_u32_e32 vcc_lo, 0, v7
	s_and_b32 s3, s2, vcc_lo
	s_delay_alu instid0(SALU_CYCLE_1)
	s_and_saveexec_b32 s2, s3
; %bb.26:
	v_bcnt_u32_b32 v3, v3, 0
	ds_store_b32 v13, v3 offset:64
; %bb.27:
	s_or_b32 exec_lo, exec_lo, s2
	v_lshrrev_b32_e32 v3, s20, v1
	; wave barrier
	s_delay_alu instid0(VALU_DEP_1) | instskip(NEXT) | instid1(VALU_DEP_1)
	v_and_b32_e32 v4, s6, v3
	v_lshlrev_b32_e32 v8, 30, v4
	v_bitop3_b32 v3, v3, 1, s6 bitop3:0x80
	s_delay_alu instid0(VALU_DEP_1) | instskip(NEXT) | instid1(VALU_DEP_1)
	v_add_co_u32 v3, s2, v3, -1
	v_cndmask_b32_e64 v6, 0, 1, s2
	s_delay_alu instid0(VALU_DEP_4) | instskip(NEXT) | instid1(VALU_DEP_2)
	v_cmp_gt_i32_e64 s2, 0, v8
	v_cmp_ne_u32_e32 vcc_lo, 0, v6
	v_not_b32_e32 v6, v8
	s_delay_alu instid0(VALU_DEP_1) | instskip(SKIP_3) | instid1(VALU_DEP_4)
	v_dual_ashrrev_i32 v6, 31, v6 :: v_dual_lshlrev_b32 v9, 29, v4
	v_dual_lshlrev_b32 v10, 28, v4 :: v_dual_lshlrev_b32 v11, 27, v4
	v_lshlrev_b32_e32 v14, 26, v4
	v_mul_lo_u32 v5, 0x44, v4
	v_cmp_gt_i32_e64 s3, 0, v9
	v_not_b32_e32 v8, v9
	v_not_b32_e32 v9, v10
	v_cmp_gt_i32_e64 s4, 0, v10
	v_xor_b32_e32 v3, vcc_lo, v3
	s_delay_alu instid0(VALU_DEP_4) | instskip(NEXT) | instid1(VALU_DEP_4)
	v_dual_ashrrev_i32 v8, 31, v8 :: v_dual_bitop2_b32 v6, s2, v6 bitop3:0x14
	v_dual_ashrrev_i32 v9, 31, v9 :: v_dual_lshlrev_b32 v15, 25, v4
	v_lshlrev_b32_e32 v4, 24, v4
	v_not_b32_e32 v10, v11
	v_not_b32_e32 v30, v14
	v_xor_b32_e32 v8, s3, v8
	v_xor_b32_e32 v9, s4, v9
	v_bitop3_b32 v3, v3, v6, exec_lo bitop3:0x80
	v_cmp_gt_i32_e32 vcc_lo, 0, v11
	v_ashrrev_i32_e32 v6, 31, v10
	v_cmp_gt_i32_e64 s2, 0, v14
	v_ashrrev_i32_e32 v10, 31, v30
	v_bitop3_b32 v3, v3, v9, v8 bitop3:0x80
	v_not_b32_e32 v8, v15
	v_not_b32_e32 v9, v4
	v_xor_b32_e32 v6, vcc_lo, v6
	v_xor_b32_e32 v10, s2, v10
	v_cmp_gt_i32_e32 vcc_lo, 0, v15
	v_ashrrev_i32_e32 v8, 31, v8
	v_cmp_gt_i32_e64 s2, 0, v4
	v_ashrrev_i32_e32 v4, 31, v9
	v_add_nc_u32_e32 v14, v2, v5
	v_bitop3_b32 v3, v3, v10, v6 bitop3:0x80
	v_xor_b32_e32 v5, vcc_lo, v8
	s_delay_alu instid0(VALU_DEP_4) | instskip(SKIP_2) | instid1(VALU_DEP_1)
	v_xor_b32_e32 v4, s2, v4
	ds_load_b32 v30, v14 offset:64
	; wave barrier
	v_bitop3_b32 v3, v3, v4, v5 bitop3:0x80
	v_mbcnt_lo_u32_b32 v31, v3, 0
	v_cmp_ne_u32_e64 s2, 0, v3
	s_delay_alu instid0(VALU_DEP_2) | instskip(SKIP_1) | instid1(SALU_CYCLE_1)
	v_cmp_eq_u32_e32 vcc_lo, 0, v31
	s_and_b32 s3, s2, vcc_lo
	s_and_saveexec_b32 s2, s3
	s_cbranch_execz .LBB2762_29
; %bb.28:
	s_wait_dscnt 0x0
	v_bcnt_u32_b32 v3, v3, v30
	ds_store_b32 v14, v3 offset:64
.LBB2762_29:
	s_or_b32 exec_lo, exec_lo, s2
	v_lshrrev_b32_e32 v3, s20, v20
	; wave barrier
	s_delay_alu instid0(VALU_DEP_1) | instskip(SKIP_1) | instid1(VALU_DEP_2)
	v_and_b32_e32 v4, s6, v3
	v_bitop3_b32 v3, v3, 1, s6 bitop3:0x80
	v_dual_lshlrev_b32 v8, 30, v4 :: v_dual_lshlrev_b32 v9, 29, v4
	s_delay_alu instid0(VALU_DEP_2) | instskip(NEXT) | instid1(VALU_DEP_1)
	v_add_co_u32 v3, s2, v3, -1
	v_cndmask_b32_e64 v6, 0, 1, s2
	s_delay_alu instid0(VALU_DEP_3) | instskip(NEXT) | instid1(VALU_DEP_4)
	v_cmp_gt_i32_e64 s2, 0, v8
	v_cmp_gt_i32_e64 s3, 0, v9
	s_delay_alu instid0(VALU_DEP_3) | instskip(SKIP_2) | instid1(VALU_DEP_2)
	v_cmp_ne_u32_e32 vcc_lo, 0, v6
	v_not_b32_e32 v6, v8
	v_not_b32_e32 v8, v9
	v_dual_ashrrev_i32 v6, 31, v6 :: v_dual_bitop2_b32 v3, vcc_lo, v3 bitop3:0x14
	s_delay_alu instid0(VALU_DEP_2) | instskip(SKIP_3) | instid1(VALU_DEP_3)
	v_ashrrev_i32_e32 v8, 31, v8
	v_dual_lshlrev_b32 v10, 28, v4 :: v_dual_lshlrev_b32 v11, 27, v4
	v_mul_lo_u32 v5, 0x44, v4
	v_dual_lshlrev_b32 v15, 26, v4 :: v_dual_lshlrev_b32 v32, 25, v4
	v_not_b32_e32 v9, v10
	v_lshlrev_b32_e32 v4, 24, v4
	v_cmp_gt_i32_e64 s4, 0, v10
	v_xor_b32_e32 v6, s2, v6
	v_not_b32_e32 v10, v11
	v_ashrrev_i32_e32 v9, 31, v9
	v_not_b32_e32 v33, v15
	v_xor_b32_e32 v8, s3, v8
	v_bitop3_b32 v3, v3, v6, exec_lo bitop3:0x80
	v_cmp_gt_i32_e32 vcc_lo, 0, v11
	v_dual_ashrrev_i32 v6, 31, v10 :: v_dual_bitop2_b32 v9, s4, v9 bitop3:0x14
	v_cmp_gt_i32_e64 s2, 0, v15
	v_ashrrev_i32_e32 v10, 31, v33
	s_delay_alu instid0(VALU_DEP_3)
	v_bitop3_b32 v3, v3, v9, v8 bitop3:0x80
	v_not_b32_e32 v8, v32
	v_not_b32_e32 v9, v4
	v_xor_b32_e32 v6, vcc_lo, v6
	v_xor_b32_e32 v10, s2, v10
	v_cmp_gt_i32_e32 vcc_lo, 0, v32
	v_ashrrev_i32_e32 v8, 31, v8
	v_cmp_gt_i32_e64 s2, 0, v4
	v_ashrrev_i32_e32 v4, 31, v9
	v_add_nc_u32_e32 v15, v2, v5
	v_bitop3_b32 v3, v3, v10, v6 bitop3:0x80
	v_xor_b32_e32 v5, vcc_lo, v8
	s_delay_alu instid0(VALU_DEP_4) | instskip(SKIP_2) | instid1(VALU_DEP_1)
	v_xor_b32_e32 v4, s2, v4
	ds_load_b32 v32, v15 offset:64
	; wave barrier
	v_bitop3_b32 v3, v3, v4, v5 bitop3:0x80
	v_mbcnt_lo_u32_b32 v33, v3, 0
	v_cmp_ne_u32_e64 s2, 0, v3
	s_delay_alu instid0(VALU_DEP_2) | instskip(SKIP_1) | instid1(SALU_CYCLE_1)
	v_cmp_eq_u32_e32 vcc_lo, 0, v33
	s_and_b32 s3, s2, vcc_lo
	s_and_saveexec_b32 s2, s3
	s_cbranch_execz .LBB2762_31
; %bb.30:
	s_wait_dscnt 0x0
	v_bcnt_u32_b32 v3, v3, v32
	ds_store_b32 v15, v3 offset:64
.LBB2762_31:
	s_or_b32 exec_lo, exec_lo, s2
	v_lshrrev_b32_e32 v3, s20, v19
	; wave barrier
	s_delay_alu instid0(VALU_DEP_1) | instskip(NEXT) | instid1(VALU_DEP_1)
	v_and_b32_e32 v4, s6, v3
	v_lshlrev_b32_e32 v8, 30, v4
	v_bitop3_b32 v3, v3, 1, s6 bitop3:0x80
	s_delay_alu instid0(VALU_DEP_1) | instskip(NEXT) | instid1(VALU_DEP_1)
	v_add_co_u32 v3, s2, v3, -1
	v_cndmask_b32_e64 v6, 0, 1, s2
	s_delay_alu instid0(VALU_DEP_4) | instskip(NEXT) | instid1(VALU_DEP_2)
	v_cmp_gt_i32_e64 s2, 0, v8
	v_cmp_ne_u32_e32 vcc_lo, 0, v6
	v_not_b32_e32 v6, v8
	s_delay_alu instid0(VALU_DEP_1) | instskip(SKIP_3) | instid1(VALU_DEP_4)
	v_dual_ashrrev_i32 v6, 31, v6 :: v_dual_lshlrev_b32 v9, 29, v4
	v_dual_lshlrev_b32 v10, 28, v4 :: v_dual_lshlrev_b32 v11, 27, v4
	v_lshlrev_b32_e32 v34, 26, v4
	v_mul_lo_u32 v5, 0x44, v4
	v_cmp_gt_i32_e64 s3, 0, v9
	v_not_b32_e32 v8, v9
	v_not_b32_e32 v9, v10
	v_cmp_gt_i32_e64 s4, 0, v10
	v_xor_b32_e32 v3, vcc_lo, v3
	s_delay_alu instid0(VALU_DEP_4) | instskip(NEXT) | instid1(VALU_DEP_4)
	v_dual_ashrrev_i32 v8, 31, v8 :: v_dual_bitop2_b32 v6, s2, v6 bitop3:0x14
	v_dual_ashrrev_i32 v9, 31, v9 :: v_dual_lshlrev_b32 v35, 25, v4
	v_lshlrev_b32_e32 v4, 24, v4
	v_not_b32_e32 v10, v11
	v_not_b32_e32 v36, v34
	v_xor_b32_e32 v8, s3, v8
	v_xor_b32_e32 v9, s4, v9
	v_bitop3_b32 v3, v3, v6, exec_lo bitop3:0x80
	v_cmp_gt_i32_e32 vcc_lo, 0, v11
	v_ashrrev_i32_e32 v6, 31, v10
	v_cmp_gt_i32_e64 s2, 0, v34
	v_ashrrev_i32_e32 v10, 31, v36
	v_bitop3_b32 v3, v3, v9, v8 bitop3:0x80
	v_not_b32_e32 v8, v35
	v_not_b32_e32 v9, v4
	v_xor_b32_e32 v6, vcc_lo, v6
	v_xor_b32_e32 v10, s2, v10
	v_cmp_gt_i32_e32 vcc_lo, 0, v35
	v_ashrrev_i32_e32 v8, 31, v8
	v_cmp_gt_i32_e64 s2, 0, v4
	v_ashrrev_i32_e32 v4, 31, v9
	v_add_nc_u32_e32 v38, v2, v5
	v_bitop3_b32 v3, v3, v10, v6 bitop3:0x80
	v_xor_b32_e32 v5, vcc_lo, v8
	s_delay_alu instid0(VALU_DEP_4) | instskip(SKIP_2) | instid1(VALU_DEP_1)
	v_xor_b32_e32 v4, s2, v4
	ds_load_b32 v34, v38 offset:64
	; wave barrier
	v_bitop3_b32 v3, v3, v4, v5 bitop3:0x80
	v_mbcnt_lo_u32_b32 v35, v3, 0
	v_cmp_ne_u32_e64 s2, 0, v3
	s_delay_alu instid0(VALU_DEP_2) | instskip(SKIP_1) | instid1(SALU_CYCLE_1)
	v_cmp_eq_u32_e32 vcc_lo, 0, v35
	s_and_b32 s3, s2, vcc_lo
	s_and_saveexec_b32 s2, s3
	s_cbranch_execz .LBB2762_33
; %bb.32:
	s_wait_dscnt 0x0
	v_bcnt_u32_b32 v3, v3, v34
	ds_store_b32 v38, v3 offset:64
.LBB2762_33:
	s_or_b32 exec_lo, exec_lo, s2
	v_lshrrev_b32_e32 v3, s20, v22
	; wave barrier
	s_delay_alu instid0(VALU_DEP_1) | instskip(NEXT) | instid1(VALU_DEP_1)
	v_and_b32_e32 v4, s6, v3
	v_lshlrev_b32_e32 v8, 30, v4
	v_bitop3_b32 v3, v3, 1, s6 bitop3:0x80
	s_delay_alu instid0(VALU_DEP_1) | instskip(NEXT) | instid1(VALU_DEP_1)
	v_add_co_u32 v3, s2, v3, -1
	v_cndmask_b32_e64 v6, 0, 1, s2
	s_delay_alu instid0(VALU_DEP_4) | instskip(NEXT) | instid1(VALU_DEP_2)
	v_cmp_gt_i32_e64 s2, 0, v8
	v_cmp_ne_u32_e32 vcc_lo, 0, v6
	v_not_b32_e32 v6, v8
	s_delay_alu instid0(VALU_DEP_1) | instskip(SKIP_3) | instid1(VALU_DEP_4)
	v_dual_ashrrev_i32 v6, 31, v6 :: v_dual_lshlrev_b32 v9, 29, v4
	v_dual_lshlrev_b32 v10, 28, v4 :: v_dual_lshlrev_b32 v11, 27, v4
	v_lshlrev_b32_e32 v36, 26, v4
	v_mul_lo_u32 v5, 0x44, v4
	v_cmp_gt_i32_e64 s3, 0, v9
	v_not_b32_e32 v8, v9
	v_not_b32_e32 v9, v10
	v_cmp_gt_i32_e64 s4, 0, v10
	v_xor_b32_e32 v3, vcc_lo, v3
	s_delay_alu instid0(VALU_DEP_4) | instskip(NEXT) | instid1(VALU_DEP_4)
	v_dual_ashrrev_i32 v8, 31, v8 :: v_dual_bitop2_b32 v6, s2, v6 bitop3:0x14
	v_dual_ashrrev_i32 v9, 31, v9 :: v_dual_lshlrev_b32 v37, 25, v4
	v_lshlrev_b32_e32 v4, 24, v4
	v_not_b32_e32 v10, v11
	v_not_b32_e32 v39, v36
	v_xor_b32_e32 v8, s3, v8
	v_xor_b32_e32 v9, s4, v9
	v_bitop3_b32 v3, v3, v6, exec_lo bitop3:0x80
	v_cmp_gt_i32_e32 vcc_lo, 0, v11
	v_ashrrev_i32_e32 v6, 31, v10
	v_cmp_gt_i32_e64 s2, 0, v36
	v_ashrrev_i32_e32 v10, 31, v39
	v_bitop3_b32 v3, v3, v9, v8 bitop3:0x80
	v_not_b32_e32 v8, v37
	v_not_b32_e32 v9, v4
	v_xor_b32_e32 v6, vcc_lo, v6
	v_xor_b32_e32 v10, s2, v10
	v_cmp_gt_i32_e32 vcc_lo, 0, v37
	v_ashrrev_i32_e32 v8, 31, v8
	v_cmp_gt_i32_e64 s2, 0, v4
	v_ashrrev_i32_e32 v4, 31, v9
	v_add_nc_u32_e32 v41, v2, v5
	v_bitop3_b32 v3, v3, v10, v6 bitop3:0x80
	v_xor_b32_e32 v5, vcc_lo, v8
	s_delay_alu instid0(VALU_DEP_4) | instskip(SKIP_2) | instid1(VALU_DEP_1)
	v_xor_b32_e32 v4, s2, v4
	ds_load_b32 v36, v41 offset:64
	; wave barrier
	v_bitop3_b32 v3, v3, v4, v5 bitop3:0x80
	v_mbcnt_lo_u32_b32 v37, v3, 0
	v_cmp_ne_u32_e64 s2, 0, v3
	s_delay_alu instid0(VALU_DEP_2) | instskip(SKIP_1) | instid1(SALU_CYCLE_1)
	v_cmp_eq_u32_e32 vcc_lo, 0, v37
	s_and_b32 s3, s2, vcc_lo
	s_and_saveexec_b32 s2, s3
	s_cbranch_execz .LBB2762_35
; %bb.34:
	s_wait_dscnt 0x0
	v_bcnt_u32_b32 v3, v3, v36
	ds_store_b32 v41, v3 offset:64
.LBB2762_35:
	s_or_b32 exec_lo, exec_lo, s2
	v_lshrrev_b32_e32 v3, s20, v21
	; wave barrier
	s_delay_alu instid0(VALU_DEP_1) | instskip(NEXT) | instid1(VALU_DEP_1)
	v_and_b32_e32 v4, s6, v3
	v_lshlrev_b32_e32 v8, 30, v4
	v_bitop3_b32 v3, v3, 1, s6 bitop3:0x80
	s_delay_alu instid0(VALU_DEP_1) | instskip(NEXT) | instid1(VALU_DEP_1)
	v_add_co_u32 v3, s2, v3, -1
	v_cndmask_b32_e64 v6, 0, 1, s2
	s_delay_alu instid0(VALU_DEP_4) | instskip(NEXT) | instid1(VALU_DEP_2)
	v_cmp_gt_i32_e64 s2, 0, v8
	v_cmp_ne_u32_e32 vcc_lo, 0, v6
	v_not_b32_e32 v6, v8
	s_delay_alu instid0(VALU_DEP_1) | instskip(SKIP_3) | instid1(VALU_DEP_4)
	v_dual_ashrrev_i32 v6, 31, v6 :: v_dual_lshlrev_b32 v9, 29, v4
	v_dual_lshlrev_b32 v10, 28, v4 :: v_dual_lshlrev_b32 v11, 27, v4
	v_lshlrev_b32_e32 v39, 26, v4
	v_mul_lo_u32 v5, 0x44, v4
	v_cmp_gt_i32_e64 s3, 0, v9
	v_not_b32_e32 v8, v9
	v_not_b32_e32 v9, v10
	v_cmp_gt_i32_e64 s4, 0, v10
	v_xor_b32_e32 v3, vcc_lo, v3
	s_delay_alu instid0(VALU_DEP_4) | instskip(NEXT) | instid1(VALU_DEP_4)
	v_dual_ashrrev_i32 v8, 31, v8 :: v_dual_bitop2_b32 v6, s2, v6 bitop3:0x14
	v_dual_ashrrev_i32 v9, 31, v9 :: v_dual_lshlrev_b32 v40, 25, v4
	v_lshlrev_b32_e32 v4, 24, v4
	v_not_b32_e32 v10, v11
	v_not_b32_e32 v42, v39
	v_xor_b32_e32 v8, s3, v8
	v_xor_b32_e32 v9, s4, v9
	v_bitop3_b32 v3, v3, v6, exec_lo bitop3:0x80
	v_cmp_gt_i32_e32 vcc_lo, 0, v11
	v_ashrrev_i32_e32 v6, 31, v10
	v_cmp_gt_i32_e64 s2, 0, v39
	v_ashrrev_i32_e32 v10, 31, v42
	v_bitop3_b32 v3, v3, v9, v8 bitop3:0x80
	v_not_b32_e32 v8, v40
	v_not_b32_e32 v9, v4
	v_xor_b32_e32 v6, vcc_lo, v6
	v_xor_b32_e32 v10, s2, v10
	v_cmp_gt_i32_e32 vcc_lo, 0, v40
	v_ashrrev_i32_e32 v8, 31, v8
	v_cmp_gt_i32_e64 s2, 0, v4
	v_ashrrev_i32_e32 v4, 31, v9
	v_add_nc_u32_e32 v44, v2, v5
	v_bitop3_b32 v3, v3, v10, v6 bitop3:0x80
	v_xor_b32_e32 v5, vcc_lo, v8
	s_delay_alu instid0(VALU_DEP_4) | instskip(SKIP_2) | instid1(VALU_DEP_1)
	v_xor_b32_e32 v4, s2, v4
	ds_load_b32 v39, v44 offset:64
	; wave barrier
	v_bitop3_b32 v3, v3, v4, v5 bitop3:0x80
	v_mbcnt_lo_u32_b32 v40, v3, 0
	v_cmp_ne_u32_e64 s2, 0, v3
	s_delay_alu instid0(VALU_DEP_2) | instskip(SKIP_1) | instid1(SALU_CYCLE_1)
	v_cmp_eq_u32_e32 vcc_lo, 0, v40
	s_and_b32 s3, s2, vcc_lo
	s_and_saveexec_b32 s2, s3
	s_cbranch_execz .LBB2762_37
; %bb.36:
	s_wait_dscnt 0x0
	v_bcnt_u32_b32 v3, v3, v39
	ds_store_b32 v44, v3 offset:64
.LBB2762_37:
	s_or_b32 exec_lo, exec_lo, s2
	v_lshrrev_b32_e32 v3, s20, v24
	; wave barrier
	s_delay_alu instid0(VALU_DEP_1) | instskip(SKIP_1) | instid1(VALU_DEP_2)
	v_and_b32_e32 v4, s6, v3
	v_bitop3_b32 v3, v3, 1, s6 bitop3:0x80
	v_dual_lshlrev_b32 v8, 30, v4 :: v_dual_lshlrev_b32 v9, 29, v4
	s_delay_alu instid0(VALU_DEP_2) | instskip(NEXT) | instid1(VALU_DEP_1)
	v_add_co_u32 v3, s2, v3, -1
	v_cndmask_b32_e64 v6, 0, 1, s2
	s_delay_alu instid0(VALU_DEP_3) | instskip(NEXT) | instid1(VALU_DEP_4)
	v_cmp_gt_i32_e64 s2, 0, v8
	v_cmp_gt_i32_e64 s3, 0, v9
	s_delay_alu instid0(VALU_DEP_3) | instskip(SKIP_2) | instid1(VALU_DEP_2)
	v_cmp_ne_u32_e32 vcc_lo, 0, v6
	v_not_b32_e32 v6, v8
	v_not_b32_e32 v8, v9
	v_dual_ashrrev_i32 v6, 31, v6 :: v_dual_bitop2_b32 v3, vcc_lo, v3 bitop3:0x14
	s_delay_alu instid0(VALU_DEP_2) | instskip(SKIP_3) | instid1(VALU_DEP_3)
	v_ashrrev_i32_e32 v8, 31, v8
	v_dual_lshlrev_b32 v10, 28, v4 :: v_dual_lshlrev_b32 v11, 27, v4
	v_mul_lo_u32 v5, 0x44, v4
	v_dual_lshlrev_b32 v42, 26, v4 :: v_dual_lshlrev_b32 v43, 25, v4
	v_not_b32_e32 v9, v10
	v_lshlrev_b32_e32 v4, 24, v4
	v_cmp_gt_i32_e64 s4, 0, v10
	v_xor_b32_e32 v6, s2, v6
	v_not_b32_e32 v10, v11
	v_ashrrev_i32_e32 v9, 31, v9
	v_not_b32_e32 v45, v42
	v_xor_b32_e32 v8, s3, v8
	v_bitop3_b32 v3, v3, v6, exec_lo bitop3:0x80
	v_cmp_gt_i32_e32 vcc_lo, 0, v11
	v_dual_ashrrev_i32 v6, 31, v10 :: v_dual_bitop2_b32 v9, s4, v9 bitop3:0x14
	v_cmp_gt_i32_e64 s2, 0, v42
	v_ashrrev_i32_e32 v10, 31, v45
	s_delay_alu instid0(VALU_DEP_3)
	v_bitop3_b32 v3, v3, v9, v8 bitop3:0x80
	v_not_b32_e32 v8, v43
	v_not_b32_e32 v9, v4
	v_xor_b32_e32 v6, vcc_lo, v6
	v_xor_b32_e32 v10, s2, v10
	v_cmp_gt_i32_e32 vcc_lo, 0, v43
	v_ashrrev_i32_e32 v8, 31, v8
	v_cmp_gt_i32_e64 s2, 0, v4
	v_ashrrev_i32_e32 v4, 31, v9
	v_add_nc_u32_e32 v47, v2, v5
	v_bitop3_b32 v3, v3, v10, v6 bitop3:0x80
	v_xor_b32_e32 v5, vcc_lo, v8
	s_delay_alu instid0(VALU_DEP_4) | instskip(SKIP_2) | instid1(VALU_DEP_1)
	v_xor_b32_e32 v4, s2, v4
	ds_load_b32 v42, v47 offset:64
	; wave barrier
	v_bitop3_b32 v3, v3, v4, v5 bitop3:0x80
	v_mbcnt_lo_u32_b32 v43, v3, 0
	v_cmp_ne_u32_e64 s2, 0, v3
	s_delay_alu instid0(VALU_DEP_2) | instskip(SKIP_1) | instid1(SALU_CYCLE_1)
	v_cmp_eq_u32_e32 vcc_lo, 0, v43
	s_and_b32 s3, s2, vcc_lo
	s_and_saveexec_b32 s2, s3
	s_cbranch_execz .LBB2762_39
; %bb.38:
	s_wait_dscnt 0x0
	v_bcnt_u32_b32 v3, v3, v42
	ds_store_b32 v47, v3 offset:64
.LBB2762_39:
	s_or_b32 exec_lo, exec_lo, s2
	v_lshrrev_b32_e32 v3, s20, v23
	; wave barrier
	s_delay_alu instid0(VALU_DEP_1) | instskip(NEXT) | instid1(VALU_DEP_1)
	v_and_b32_e32 v4, s6, v3
	v_lshlrev_b32_e32 v8, 30, v4
	v_bitop3_b32 v3, v3, 1, s6 bitop3:0x80
	s_delay_alu instid0(VALU_DEP_1) | instskip(NEXT) | instid1(VALU_DEP_1)
	v_add_co_u32 v3, s2, v3, -1
	v_cndmask_b32_e64 v6, 0, 1, s2
	s_delay_alu instid0(VALU_DEP_4) | instskip(NEXT) | instid1(VALU_DEP_2)
	v_cmp_gt_i32_e64 s2, 0, v8
	v_cmp_ne_u32_e32 vcc_lo, 0, v6
	v_not_b32_e32 v6, v8
	s_delay_alu instid0(VALU_DEP_1) | instskip(SKIP_3) | instid1(VALU_DEP_4)
	v_dual_ashrrev_i32 v6, 31, v6 :: v_dual_lshlrev_b32 v9, 29, v4
	v_dual_lshlrev_b32 v10, 28, v4 :: v_dual_lshlrev_b32 v11, 27, v4
	v_lshlrev_b32_e32 v45, 26, v4
	v_mul_lo_u32 v5, 0x44, v4
	v_cmp_gt_i32_e64 s3, 0, v9
	v_not_b32_e32 v8, v9
	v_not_b32_e32 v9, v10
	v_cmp_gt_i32_e64 s4, 0, v10
	v_xor_b32_e32 v3, vcc_lo, v3
	s_delay_alu instid0(VALU_DEP_4) | instskip(NEXT) | instid1(VALU_DEP_4)
	v_dual_ashrrev_i32 v8, 31, v8 :: v_dual_bitop2_b32 v6, s2, v6 bitop3:0x14
	v_dual_ashrrev_i32 v9, 31, v9 :: v_dual_lshlrev_b32 v46, 25, v4
	v_lshlrev_b32_e32 v4, 24, v4
	v_not_b32_e32 v10, v11
	v_not_b32_e32 v48, v45
	v_xor_b32_e32 v8, s3, v8
	v_xor_b32_e32 v9, s4, v9
	v_bitop3_b32 v3, v3, v6, exec_lo bitop3:0x80
	v_cmp_gt_i32_e32 vcc_lo, 0, v11
	v_ashrrev_i32_e32 v6, 31, v10
	v_cmp_gt_i32_e64 s2, 0, v45
	v_ashrrev_i32_e32 v10, 31, v48
	v_bitop3_b32 v3, v3, v9, v8 bitop3:0x80
	v_not_b32_e32 v8, v46
	v_not_b32_e32 v9, v4
	v_xor_b32_e32 v6, vcc_lo, v6
	v_xor_b32_e32 v10, s2, v10
	v_cmp_gt_i32_e32 vcc_lo, 0, v46
	v_ashrrev_i32_e32 v8, 31, v8
	v_cmp_gt_i32_e64 s2, 0, v4
	v_ashrrev_i32_e32 v4, 31, v9
	v_add_nc_u32_e32 v50, v2, v5
	v_bitop3_b32 v3, v3, v10, v6 bitop3:0x80
	v_xor_b32_e32 v5, vcc_lo, v8
	s_delay_alu instid0(VALU_DEP_4) | instskip(SKIP_2) | instid1(VALU_DEP_1)
	v_xor_b32_e32 v4, s2, v4
	ds_load_b32 v45, v50 offset:64
	; wave barrier
	v_bitop3_b32 v3, v3, v4, v5 bitop3:0x80
	v_mbcnt_lo_u32_b32 v46, v3, 0
	v_cmp_ne_u32_e64 s2, 0, v3
	s_delay_alu instid0(VALU_DEP_2) | instskip(SKIP_1) | instid1(SALU_CYCLE_1)
	v_cmp_eq_u32_e32 vcc_lo, 0, v46
	s_and_b32 s3, s2, vcc_lo
	s_and_saveexec_b32 s2, s3
	s_cbranch_execz .LBB2762_41
; %bb.40:
	s_wait_dscnt 0x0
	v_bcnt_u32_b32 v3, v3, v45
	ds_store_b32 v50, v3 offset:64
.LBB2762_41:
	s_or_b32 exec_lo, exec_lo, s2
	v_lshrrev_b32_e32 v3, s20, v26
	; wave barrier
	s_delay_alu instid0(VALU_DEP_1) | instskip(NEXT) | instid1(VALU_DEP_1)
	v_and_b32_e32 v4, s6, v3
	v_lshlrev_b32_e32 v8, 30, v4
	v_bitop3_b32 v3, v3, 1, s6 bitop3:0x80
	s_delay_alu instid0(VALU_DEP_1) | instskip(NEXT) | instid1(VALU_DEP_1)
	v_add_co_u32 v3, s2, v3, -1
	v_cndmask_b32_e64 v6, 0, 1, s2
	s_delay_alu instid0(VALU_DEP_4) | instskip(NEXT) | instid1(VALU_DEP_2)
	v_cmp_gt_i32_e64 s2, 0, v8
	v_cmp_ne_u32_e32 vcc_lo, 0, v6
	v_not_b32_e32 v6, v8
	s_delay_alu instid0(VALU_DEP_1) | instskip(SKIP_3) | instid1(VALU_DEP_4)
	v_dual_ashrrev_i32 v6, 31, v6 :: v_dual_lshlrev_b32 v9, 29, v4
	v_dual_lshlrev_b32 v10, 28, v4 :: v_dual_lshlrev_b32 v11, 27, v4
	v_lshlrev_b32_e32 v48, 26, v4
	v_mul_lo_u32 v5, 0x44, v4
	v_cmp_gt_i32_e64 s3, 0, v9
	v_not_b32_e32 v8, v9
	v_not_b32_e32 v9, v10
	v_cmp_gt_i32_e64 s4, 0, v10
	v_xor_b32_e32 v3, vcc_lo, v3
	s_delay_alu instid0(VALU_DEP_4) | instskip(NEXT) | instid1(VALU_DEP_4)
	v_dual_ashrrev_i32 v8, 31, v8 :: v_dual_bitop2_b32 v6, s2, v6 bitop3:0x14
	v_dual_ashrrev_i32 v9, 31, v9 :: v_dual_lshlrev_b32 v49, 25, v4
	v_lshlrev_b32_e32 v4, 24, v4
	v_not_b32_e32 v10, v11
	v_not_b32_e32 v51, v48
	v_xor_b32_e32 v8, s3, v8
	v_xor_b32_e32 v9, s4, v9
	v_bitop3_b32 v3, v3, v6, exec_lo bitop3:0x80
	v_cmp_gt_i32_e32 vcc_lo, 0, v11
	v_ashrrev_i32_e32 v6, 31, v10
	v_cmp_gt_i32_e64 s2, 0, v48
	v_ashrrev_i32_e32 v10, 31, v51
	v_bitop3_b32 v3, v3, v9, v8 bitop3:0x80
	v_not_b32_e32 v8, v49
	v_not_b32_e32 v9, v4
	v_xor_b32_e32 v6, vcc_lo, v6
	v_xor_b32_e32 v10, s2, v10
	v_cmp_gt_i32_e32 vcc_lo, 0, v49
	v_ashrrev_i32_e32 v8, 31, v8
	v_cmp_gt_i32_e64 s2, 0, v4
	v_ashrrev_i32_e32 v4, 31, v9
	v_add_nc_u32_e32 v53, v2, v5
	v_bitop3_b32 v3, v3, v10, v6 bitop3:0x80
	v_xor_b32_e32 v5, vcc_lo, v8
	s_delay_alu instid0(VALU_DEP_4) | instskip(SKIP_2) | instid1(VALU_DEP_1)
	v_xor_b32_e32 v4, s2, v4
	ds_load_b32 v48, v53 offset:64
	; wave barrier
	v_bitop3_b32 v3, v3, v4, v5 bitop3:0x80
	v_mbcnt_lo_u32_b32 v49, v3, 0
	v_cmp_ne_u32_e64 s2, 0, v3
	s_delay_alu instid0(VALU_DEP_2) | instskip(SKIP_1) | instid1(SALU_CYCLE_1)
	v_cmp_eq_u32_e32 vcc_lo, 0, v49
	s_and_b32 s3, s2, vcc_lo
	s_and_saveexec_b32 s2, s3
	s_cbranch_execz .LBB2762_43
; %bb.42:
	s_wait_dscnt 0x0
	v_bcnt_u32_b32 v3, v3, v48
	ds_store_b32 v53, v3 offset:64
.LBB2762_43:
	s_or_b32 exec_lo, exec_lo, s2
	v_lshrrev_b32_e32 v3, s20, v25
	; wave barrier
	s_delay_alu instid0(VALU_DEP_1) | instskip(NEXT) | instid1(VALU_DEP_1)
	v_and_b32_e32 v4, s6, v3
	v_lshlrev_b32_e32 v8, 30, v4
	v_bitop3_b32 v3, v3, 1, s6 bitop3:0x80
	s_delay_alu instid0(VALU_DEP_1) | instskip(NEXT) | instid1(VALU_DEP_1)
	v_add_co_u32 v3, s2, v3, -1
	v_cndmask_b32_e64 v6, 0, 1, s2
	s_delay_alu instid0(VALU_DEP_4) | instskip(NEXT) | instid1(VALU_DEP_2)
	v_cmp_gt_i32_e64 s2, 0, v8
	v_cmp_ne_u32_e32 vcc_lo, 0, v6
	v_not_b32_e32 v6, v8
	s_delay_alu instid0(VALU_DEP_1) | instskip(SKIP_3) | instid1(VALU_DEP_4)
	v_dual_ashrrev_i32 v6, 31, v6 :: v_dual_lshlrev_b32 v9, 29, v4
	v_dual_lshlrev_b32 v10, 28, v4 :: v_dual_lshlrev_b32 v11, 27, v4
	v_lshlrev_b32_e32 v51, 26, v4
	v_mul_lo_u32 v5, 0x44, v4
	v_cmp_gt_i32_e64 s3, 0, v9
	v_not_b32_e32 v8, v9
	v_not_b32_e32 v9, v10
	v_cmp_gt_i32_e64 s4, 0, v10
	v_xor_b32_e32 v3, vcc_lo, v3
	s_delay_alu instid0(VALU_DEP_4) | instskip(NEXT) | instid1(VALU_DEP_4)
	v_dual_ashrrev_i32 v8, 31, v8 :: v_dual_bitop2_b32 v6, s2, v6 bitop3:0x14
	v_dual_ashrrev_i32 v9, 31, v9 :: v_dual_lshlrev_b32 v52, 25, v4
	v_lshlrev_b32_e32 v4, 24, v4
	v_not_b32_e32 v10, v11
	v_not_b32_e32 v54, v51
	v_xor_b32_e32 v8, s3, v8
	v_xor_b32_e32 v9, s4, v9
	v_bitop3_b32 v3, v3, v6, exec_lo bitop3:0x80
	v_cmp_gt_i32_e32 vcc_lo, 0, v11
	v_ashrrev_i32_e32 v6, 31, v10
	v_cmp_gt_i32_e64 s2, 0, v51
	v_ashrrev_i32_e32 v10, 31, v54
	v_bitop3_b32 v3, v3, v9, v8 bitop3:0x80
	v_not_b32_e32 v8, v52
	v_not_b32_e32 v9, v4
	v_xor_b32_e32 v6, vcc_lo, v6
	v_xor_b32_e32 v10, s2, v10
	v_cmp_gt_i32_e32 vcc_lo, 0, v52
	v_ashrrev_i32_e32 v8, 31, v8
	v_cmp_gt_i32_e64 s2, 0, v4
	v_ashrrev_i32_e32 v4, 31, v9
	v_add_nc_u32_e32 v56, v2, v5
	v_bitop3_b32 v3, v3, v10, v6 bitop3:0x80
	v_xor_b32_e32 v5, vcc_lo, v8
	s_delay_alu instid0(VALU_DEP_4) | instskip(SKIP_2) | instid1(VALU_DEP_1)
	v_xor_b32_e32 v4, s2, v4
	ds_load_b32 v51, v56 offset:64
	; wave barrier
	v_bitop3_b32 v3, v3, v4, v5 bitop3:0x80
	v_mbcnt_lo_u32_b32 v52, v3, 0
	v_cmp_ne_u32_e64 s2, 0, v3
	s_delay_alu instid0(VALU_DEP_2) | instskip(SKIP_1) | instid1(SALU_CYCLE_1)
	v_cmp_eq_u32_e32 vcc_lo, 0, v52
	s_and_b32 s3, s2, vcc_lo
	s_and_saveexec_b32 s2, s3
	s_cbranch_execz .LBB2762_45
; %bb.44:
	s_wait_dscnt 0x0
	v_bcnt_u32_b32 v3, v3, v51
	ds_store_b32 v56, v3 offset:64
.LBB2762_45:
	s_or_b32 exec_lo, exec_lo, s2
	v_lshrrev_b32_e32 v3, s20, v29
	; wave barrier
	s_delay_alu instid0(VALU_DEP_1) | instskip(NEXT) | instid1(VALU_DEP_1)
	v_and_b32_e32 v4, s6, v3
	v_lshlrev_b32_e32 v8, 30, v4
	v_bitop3_b32 v3, v3, 1, s6 bitop3:0x80
	s_delay_alu instid0(VALU_DEP_1) | instskip(NEXT) | instid1(VALU_DEP_1)
	v_add_co_u32 v3, s2, v3, -1
	v_cndmask_b32_e64 v6, 0, 1, s2
	s_delay_alu instid0(VALU_DEP_4) | instskip(NEXT) | instid1(VALU_DEP_2)
	v_cmp_gt_i32_e64 s2, 0, v8
	v_cmp_ne_u32_e32 vcc_lo, 0, v6
	v_not_b32_e32 v6, v8
	s_delay_alu instid0(VALU_DEP_1) | instskip(SKIP_3) | instid1(VALU_DEP_4)
	v_dual_ashrrev_i32 v6, 31, v6 :: v_dual_lshlrev_b32 v9, 29, v4
	v_dual_lshlrev_b32 v10, 28, v4 :: v_dual_lshlrev_b32 v11, 27, v4
	v_lshlrev_b32_e32 v54, 26, v4
	v_mul_lo_u32 v5, 0x44, v4
	v_cmp_gt_i32_e64 s3, 0, v9
	v_not_b32_e32 v8, v9
	v_not_b32_e32 v9, v10
	v_cmp_gt_i32_e64 s4, 0, v10
	v_xor_b32_e32 v3, vcc_lo, v3
	s_delay_alu instid0(VALU_DEP_4) | instskip(NEXT) | instid1(VALU_DEP_4)
	v_dual_ashrrev_i32 v8, 31, v8 :: v_dual_bitop2_b32 v6, s2, v6 bitop3:0x14
	v_dual_ashrrev_i32 v9, 31, v9 :: v_dual_lshlrev_b32 v55, 25, v4
	v_lshlrev_b32_e32 v4, 24, v4
	v_not_b32_e32 v10, v11
	v_not_b32_e32 v57, v54
	v_xor_b32_e32 v8, s3, v8
	v_xor_b32_e32 v9, s4, v9
	v_bitop3_b32 v3, v3, v6, exec_lo bitop3:0x80
	v_cmp_gt_i32_e32 vcc_lo, 0, v11
	v_ashrrev_i32_e32 v6, 31, v10
	v_cmp_gt_i32_e64 s2, 0, v54
	v_ashrrev_i32_e32 v10, 31, v57
	v_bitop3_b32 v3, v3, v9, v8 bitop3:0x80
	v_not_b32_e32 v8, v55
	v_not_b32_e32 v9, v4
	v_xor_b32_e32 v6, vcc_lo, v6
	v_xor_b32_e32 v10, s2, v10
	v_cmp_gt_i32_e32 vcc_lo, 0, v55
	v_ashrrev_i32_e32 v8, 31, v8
	v_cmp_gt_i32_e64 s2, 0, v4
	v_ashrrev_i32_e32 v4, 31, v9
	v_add_nc_u32_e32 v59, v2, v5
	v_bitop3_b32 v3, v3, v10, v6 bitop3:0x80
	v_xor_b32_e32 v5, vcc_lo, v8
	s_delay_alu instid0(VALU_DEP_4) | instskip(SKIP_2) | instid1(VALU_DEP_1)
	v_xor_b32_e32 v4, s2, v4
	ds_load_b32 v54, v59 offset:64
	; wave barrier
	v_bitop3_b32 v3, v3, v4, v5 bitop3:0x80
	v_mbcnt_lo_u32_b32 v55, v3, 0
	v_cmp_ne_u32_e64 s2, 0, v3
	s_delay_alu instid0(VALU_DEP_2) | instskip(SKIP_1) | instid1(SALU_CYCLE_1)
	v_cmp_eq_u32_e32 vcc_lo, 0, v55
	s_and_b32 s3, s2, vcc_lo
	s_and_saveexec_b32 s2, s3
	s_cbranch_execz .LBB2762_47
; %bb.46:
	s_wait_dscnt 0x0
	v_bcnt_u32_b32 v3, v3, v54
	ds_store_b32 v59, v3 offset:64
.LBB2762_47:
	s_or_b32 exec_lo, exec_lo, s2
	v_lshrrev_b32_e32 v3, s20, v28
	; wave barrier
	s_delay_alu instid0(VALU_DEP_1) | instskip(SKIP_1) | instid1(VALU_DEP_2)
	v_and_b32_e32 v4, s6, v3
	v_bitop3_b32 v3, v3, 1, s6 bitop3:0x80
	v_dual_lshlrev_b32 v8, 30, v4 :: v_dual_lshlrev_b32 v9, 29, v4
	s_delay_alu instid0(VALU_DEP_2) | instskip(NEXT) | instid1(VALU_DEP_1)
	v_add_co_u32 v3, s2, v3, -1
	v_cndmask_b32_e64 v6, 0, 1, s2
	s_delay_alu instid0(VALU_DEP_3) | instskip(NEXT) | instid1(VALU_DEP_4)
	v_cmp_gt_i32_e64 s2, 0, v8
	v_cmp_gt_i32_e64 s3, 0, v9
	s_delay_alu instid0(VALU_DEP_3) | instskip(SKIP_2) | instid1(VALU_DEP_2)
	v_cmp_ne_u32_e32 vcc_lo, 0, v6
	v_not_b32_e32 v6, v8
	v_not_b32_e32 v8, v9
	v_dual_ashrrev_i32 v6, 31, v6 :: v_dual_bitop2_b32 v3, vcc_lo, v3 bitop3:0x14
	s_delay_alu instid0(VALU_DEP_2) | instskip(SKIP_3) | instid1(VALU_DEP_3)
	v_ashrrev_i32_e32 v8, 31, v8
	v_dual_lshlrev_b32 v10, 28, v4 :: v_dual_lshlrev_b32 v11, 27, v4
	v_mul_lo_u32 v5, 0x44, v4
	v_dual_lshlrev_b32 v57, 26, v4 :: v_dual_lshlrev_b32 v58, 25, v4
	v_not_b32_e32 v9, v10
	v_lshlrev_b32_e32 v4, 24, v4
	v_cmp_gt_i32_e64 s4, 0, v10
	v_xor_b32_e32 v6, s2, v6
	v_not_b32_e32 v10, v11
	v_ashrrev_i32_e32 v9, 31, v9
	v_not_b32_e32 v60, v57
	v_xor_b32_e32 v8, s3, v8
	v_bitop3_b32 v3, v3, v6, exec_lo bitop3:0x80
	v_cmp_gt_i32_e32 vcc_lo, 0, v11
	v_dual_ashrrev_i32 v6, 31, v10 :: v_dual_bitop2_b32 v9, s4, v9 bitop3:0x14
	v_cmp_gt_i32_e64 s2, 0, v57
	v_ashrrev_i32_e32 v10, 31, v60
	s_delay_alu instid0(VALU_DEP_3)
	v_bitop3_b32 v3, v3, v9, v8 bitop3:0x80
	v_not_b32_e32 v8, v58
	v_not_b32_e32 v9, v4
	v_xor_b32_e32 v6, vcc_lo, v6
	v_xor_b32_e32 v10, s2, v10
	v_cmp_gt_i32_e32 vcc_lo, 0, v58
	v_ashrrev_i32_e32 v8, 31, v8
	v_cmp_gt_i32_e64 s2, 0, v4
	v_ashrrev_i32_e32 v4, 31, v9
	v_add_nc_u32_e32 v62, v2, v5
	v_bitop3_b32 v2, v3, v10, v6 bitop3:0x80
	v_xor_b32_e32 v3, vcc_lo, v8
	s_delay_alu instid0(VALU_DEP_4) | instskip(SKIP_2) | instid1(VALU_DEP_1)
	v_xor_b32_e32 v4, s2, v4
	ds_load_b32 v57, v62 offset:64
	; wave barrier
	v_bitop3_b32 v2, v2, v4, v3 bitop3:0x80
	v_mbcnt_lo_u32_b32 v58, v2, 0
	v_cmp_ne_u32_e64 s2, 0, v2
	s_delay_alu instid0(VALU_DEP_2) | instskip(SKIP_1) | instid1(SALU_CYCLE_1)
	v_cmp_eq_u32_e32 vcc_lo, 0, v58
	s_and_b32 s3, s2, vcc_lo
	s_and_saveexec_b32 s2, s3
	s_cbranch_execz .LBB2762_49
; %bb.48:
	s_wait_dscnt 0x0
	v_bcnt_u32_b32 v2, v2, v57
	ds_store_b32 v62, v2 offset:64
.LBB2762_49:
	s_or_b32 exec_lo, exec_lo, s2
	; wave barrier
	s_wait_dscnt 0x0
	s_barrier_signal -1
	s_barrier_wait -1
	ds_load_2addr_b32 v[10:11], v12 offset0:16 offset1:17
	ds_load_2addr_b32 v[8:9], v12 offset0:18 offset1:19
	;; [unrolled: 1-line block ×4, first 2 shown]
	ds_load_b32 v6, v12 offset:96
	v_min_u32_e32 v63, 0x1e0, v17
	s_mov_b32 s7, exec_lo
	s_wait_dscnt 0x3
	v_add3_u32 v60, v11, v10, v8
	s_wait_dscnt 0x2
	s_delay_alu instid0(VALU_DEP_1) | instskip(SKIP_1) | instid1(VALU_DEP_1)
	v_add3_u32 v60, v60, v9, v4
	s_wait_dscnt 0x1
	v_add3_u32 v60, v60, v5, v2
	s_wait_dscnt 0x0
	s_delay_alu instid0(VALU_DEP_1) | instskip(SKIP_1) | instid1(VALU_DEP_2)
	v_add3_u32 v6, v60, v3, v6
	v_and_b32_e32 v60, 15, v16
	v_mov_b32_dpp v61, v6 row_shr:1 row_mask:0xf bank_mask:0xf
	s_delay_alu instid0(VALU_DEP_2) | instskip(NEXT) | instid1(VALU_DEP_2)
	v_cmp_eq_u32_e32 vcc_lo, 0, v60
	v_cndmask_b32_e64 v61, v61, 0, vcc_lo
	s_delay_alu instid0(VALU_DEP_1) | instskip(SKIP_3) | instid1(VALU_DEP_4)
	v_add_nc_u32_e32 v6, v61, v6
	v_cmp_lt_u32_e64 s2, 1, v60
	v_cmp_lt_u32_e64 s3, 3, v60
	;; [unrolled: 1-line block ×3, first 2 shown]
	v_mov_b32_dpp v61, v6 row_shr:2 row_mask:0xf bank_mask:0xf
	s_delay_alu instid0(VALU_DEP_1) | instskip(NEXT) | instid1(VALU_DEP_1)
	v_cndmask_b32_e64 v61, 0, v61, s2
	v_add_nc_u32_e32 v6, v6, v61
	s_delay_alu instid0(VALU_DEP_1) | instskip(NEXT) | instid1(VALU_DEP_1)
	v_mov_b32_dpp v61, v6 row_shr:4 row_mask:0xf bank_mask:0xf
	v_cndmask_b32_e64 v61, 0, v61, s3
	s_delay_alu instid0(VALU_DEP_1) | instskip(NEXT) | instid1(VALU_DEP_1)
	v_add_nc_u32_e32 v6, v6, v61
	v_mov_b32_dpp v61, v6 row_shr:8 row_mask:0xf bank_mask:0xf
	s_delay_alu instid0(VALU_DEP_1) | instskip(SKIP_1) | instid1(VALU_DEP_2)
	v_cndmask_b32_e64 v60, 0, v61, s4
	v_bfe_i32 v61, v16, 4, 1
	v_add_nc_u32_e32 v6, v6, v60
	ds_swizzle_b32 v60, v6 offset:swizzle(BROADCAST,32,15)
	s_wait_dscnt 0x0
	v_dual_lshrrev_b32 v61, 5, v27 :: v_dual_bitop2_b32 v60, v61, v60 bitop3:0x40
	s_delay_alu instid0(VALU_DEP_1) | instskip(NEXT) | instid1(VALU_DEP_1)
	v_dual_add_nc_u32 v60, v6, v60 :: v_dual_bitop2_b32 v63, 31, v63 bitop3:0x54
	v_cmpx_eq_u32_e64 v27, v63
; %bb.50:
	s_delay_alu instid0(VALU_DEP_3)
	v_lshlrev_b32_e32 v6, 2, v61
	ds_store_b32 v6, v60
; %bb.51:
	s_or_b32 exec_lo, exec_lo, s7
	v_lshlrev_b32_e32 v6, 2, v27
	s_mov_b32 s7, exec_lo
	s_wait_dscnt 0x0
	s_barrier_signal -1
	s_barrier_wait -1
	v_cmpx_gt_u32_e32 16, v27
	s_cbranch_execz .LBB2762_53
; %bb.52:
	ds_load_b32 v63, v6
	s_wait_dscnt 0x0
	v_mov_b32_dpp v64, v63 row_shr:1 row_mask:0xf bank_mask:0xf
	s_delay_alu instid0(VALU_DEP_1) | instskip(NEXT) | instid1(VALU_DEP_1)
	v_cndmask_b32_e64 v64, v64, 0, vcc_lo
	v_add_nc_u32_e32 v63, v64, v63
	s_delay_alu instid0(VALU_DEP_1) | instskip(NEXT) | instid1(VALU_DEP_1)
	v_mov_b32_dpp v64, v63 row_shr:2 row_mask:0xf bank_mask:0xf
	v_cndmask_b32_e64 v64, 0, v64, s2
	s_delay_alu instid0(VALU_DEP_1) | instskip(NEXT) | instid1(VALU_DEP_1)
	v_add_nc_u32_e32 v63, v63, v64
	v_mov_b32_dpp v64, v63 row_shr:4 row_mask:0xf bank_mask:0xf
	s_delay_alu instid0(VALU_DEP_1) | instskip(NEXT) | instid1(VALU_DEP_1)
	v_cndmask_b32_e64 v64, 0, v64, s3
	v_add_nc_u32_e32 v63, v63, v64
	s_delay_alu instid0(VALU_DEP_1) | instskip(NEXT) | instid1(VALU_DEP_1)
	v_mov_b32_dpp v64, v63 row_shr:8 row_mask:0xf bank_mask:0xf
	v_cndmask_b32_e64 v64, 0, v64, s4
	s_delay_alu instid0(VALU_DEP_1)
	v_add_nc_u32_e32 v63, v63, v64
	ds_store_b32 v6, v63
.LBB2762_53:
	s_or_b32 exec_lo, exec_lo, s7
	v_mov_b32_e32 v63, 0
	s_mov_b32 s2, exec_lo
	s_wait_dscnt 0x0
	s_barrier_signal -1
	s_barrier_wait -1
	v_cmpx_lt_u32_e32 31, v27
; %bb.54:
	v_lshl_add_u32 v61, v61, 2, -4
	ds_load_b32 v63, v61
; %bb.55:
	s_or_b32 exec_lo, exec_lo, s2
	v_sub_co_u32 v61, vcc_lo, v16, 1
	s_delay_alu instid0(VALU_DEP_1) | instskip(NEXT) | instid1(VALU_DEP_1)
	v_cmp_gt_i32_e64 s2, 0, v61
	v_cndmask_b32_e64 v61, v61, v16, s2
	s_wait_dscnt 0x0
	v_add_nc_u32_e32 v60, v63, v60
	v_cmp_lt_u32_e64 s2, 0xff, v27
	s_delay_alu instid0(VALU_DEP_3) | instskip(SKIP_4) | instid1(VALU_DEP_2)
	v_lshlrev_b32_e32 v61, 2, v61
	ds_bpermute_b32 v60, v61, v60
	s_wait_dscnt 0x0
	v_cndmask_b32_e32 v60, v60, v63, vcc_lo
	v_cmp_ne_u32_e32 vcc_lo, 0, v27
	v_cndmask_b32_e32 v60, 0, v60, vcc_lo
	v_cmp_gt_u32_e32 vcc_lo, 0x100, v27
	s_delay_alu instid0(VALU_DEP_2) | instskip(NEXT) | instid1(VALU_DEP_1)
	v_add_nc_u32_e32 v10, v60, v10
	v_add_nc_u32_e32 v11, v10, v11
	s_delay_alu instid0(VALU_DEP_1) | instskip(NEXT) | instid1(VALU_DEP_1)
	v_add_nc_u32_e32 v8, v11, v8
	v_add_nc_u32_e32 v9, v8, v9
	s_delay_alu instid0(VALU_DEP_1) | instskip(NEXT) | instid1(VALU_DEP_1)
	;; [unrolled: 3-line block ×3, first 2 shown]
	v_add_nc_u32_e32 v2, v5, v2
	v_add_nc_u32_e32 v3, v2, v3
	ds_store_2addr_b32 v12, v60, v10 offset0:16 offset1:17
	ds_store_2addr_b32 v12, v11, v8 offset0:18 offset1:19
	;; [unrolled: 1-line block ×4, first 2 shown]
	ds_store_b32 v12, v3 offset:96
	s_wait_dscnt 0x0
	s_barrier_signal -1
	s_barrier_wait -1
	ds_load_b32 v60, v14 offset:64
	ds_load_b32 v61, v15 offset:64
	;; [unrolled: 1-line block ×12, first 2 shown]
	v_mov_b64_e32 v[2:3], 0
                                        ; implicit-def: $vgpr4
	s_and_saveexec_b32 s4, vcc_lo
	s_cbranch_execz .LBB2762_59
; %bb.56:
	v_mul_u32_u24_e32 v2, 0x44, v27
	v_dual_mov_b32 v3, 0x1800 :: v_dual_add_nc_u32 v4, 1, v27
	s_mov_b32 s5, exec_lo
	ds_load_b32 v2, v2 offset:64
	v_cmpx_ne_u32_e32 0x100, v4
; %bb.57:
	v_mul_u32_u24_e32 v3, 0x44, v4
	ds_load_b32 v3, v3 offset:64
; %bb.58:
	s_or_b32 exec_lo, exec_lo, s5
	s_wait_dscnt 0x0
	v_dual_mov_b32 v3, 0 :: v_dual_sub_nc_u32 v4, v3, v2
.LBB2762_59:
	s_or_b32 exec_lo, exec_lo, s4
	v_dual_mov_b32 v9, 0 :: v_dual_lshlrev_b32 v5, 3, v27
	s_wait_dscnt 0x0
	s_barrier_signal -1
	s_barrier_wait -1
	s_and_saveexec_b32 s3, vcc_lo
	s_cbranch_execz .LBB2762_69
; %bb.60:
	v_lshl_add_u32 v8, s9, 8, v27
	v_dual_mov_b32 v12, 0 :: v_dual_bitop2_b32 v13, 2.0, v4 bitop3:0x54
	s_mov_b32 s4, 0
	s_mov_b32 s5, s9
	s_delay_alu instid0(VALU_DEP_2)
	v_lshl_add_u64 v[10:11], v[8:9], 2, s[10:11]
	global_store_b32 v8, v13, s[10:11] scale_offset scope:SCOPE_DEV
                                        ; implicit-def: $sgpr7
	s_branch .LBB2762_63
.LBB2762_61:                            ;   in Loop: Header=BB2762_63 Depth=1
	s_or_b32 exec_lo, exec_lo, s8
.LBB2762_62:                            ;   in Loop: Header=BB2762_63 Depth=1
	s_delay_alu instid0(SALU_CYCLE_1) | instskip(SKIP_2) | instid1(VALU_DEP_2)
	s_or_b32 exec_lo, exec_lo, s7
	v_and_b32_e32 v8, 0x3fffffff, v13
	v_cmp_gt_i32_e64 s7, -2.0, v13
	v_add_nc_u32_e32 v12, v8, v12
	s_and_b32 s8, exec_lo, s7
	s_delay_alu instid0(SALU_CYCLE_1) | instskip(NEXT) | instid1(SALU_CYCLE_1)
	s_or_b32 s4, s8, s4
	s_and_not1_b32 exec_lo, exec_lo, s4
	s_cbranch_execz .LBB2762_68
.LBB2762_63:                            ; =>This Loop Header: Depth=1
                                        ;     Child Loop BB2762_66 Depth 2
	s_or_b32 s7, s7, exec_lo
	s_cmp_eq_u32 s5, 0
	s_cbranch_scc1 .LBB2762_67
; %bb.64:                               ;   in Loop: Header=BB2762_63 Depth=1
	s_add_co_i32 s5, s5, -1
	s_mov_b32 s7, exec_lo
	s_wait_xcnt 0x0
	v_lshl_or_b32 v8, s5, 8, v27
	global_load_b32 v13, v8, s[10:11] scale_offset scope:SCOPE_DEV
	s_wait_loadcnt 0x0
	v_cmpx_gt_u32_e32 2.0, v13
	s_cbranch_execz .LBB2762_62
; %bb.65:                               ;   in Loop: Header=BB2762_63 Depth=1
	v_lshl_add_u64 v[14:15], v[8:9], 2, s[10:11]
	s_mov_b32 s8, 0
.LBB2762_66:                            ;   Parent Loop BB2762_63 Depth=1
                                        ; =>  This Inner Loop Header: Depth=2
	global_load_b32 v13, v[14:15], off scope:SCOPE_DEV
	s_wait_loadcnt 0x0
	v_cmp_lt_u32_e32 vcc_lo, 0x3fffffff, v13
	s_or_b32 s8, vcc_lo, s8
	s_wait_xcnt 0x0
	s_and_not1_b32 exec_lo, exec_lo, s8
	s_cbranch_execnz .LBB2762_66
	s_branch .LBB2762_61
.LBB2762_67:                            ;   in Loop: Header=BB2762_63 Depth=1
                                        ; implicit-def: $sgpr5
	s_and_b32 s8, exec_lo, s7
	s_delay_alu instid0(SALU_CYCLE_1)
	s_or_b32 s4, s8, s4
	s_wait_xcnt 0x0
	s_and_not1_b32 exec_lo, exec_lo, s4
	s_cbranch_execnz .LBB2762_63
.LBB2762_68:
	s_or_b32 exec_lo, exec_lo, s4
	v_dual_mov_b32 v13, 0 :: v_dual_add_nc_u32 v8, v12, v4
	s_delay_alu instid0(VALU_DEP_1) | instskip(SKIP_4) | instid1(VALU_DEP_1)
	v_or_b32_e32 v8, 0x80000000, v8
	global_store_b32 v[10:11], v8, off scope:SCOPE_DEV
	global_load_b64 v[8:9], v27, s[12:13] scale_offset
	v_sub_nc_u64_e32 v[10:11], v[12:13], v[2:3]
	s_wait_loadcnt 0x0
	v_add_nc_u64_e32 v[8:9], v[10:11], v[8:9]
	ds_store_b64 v5, v[8:9]
.LBB2762_69:
	s_wait_xcnt 0x0
	s_or_b32 exec_lo, exec_lo, s3
	v_dual_add_nc_u32 v8, v63, v7 :: v_dual_sub_nc_u32 v63, 0, v6
	v_mov_b32_e32 v7, 0
	v_add3_u32 v32, v33, v61, v32
	v_add3_u32 v9, v58, v62, v57
	;; [unrolled: 1-line block ×3, first 2 shown]
	v_add_nc_u32_e32 v33, v5, v63
	v_add_nc_u64_e32 v[6:7], s[18:19], v[6:7]
	v_add3_u32 v11, v52, v56, v51
	v_add3_u32 v12, v49, v53, v48
	v_add3_u32 v13, v46, v50, v45
	v_add3_u32 v14, v43, v47, v42
	v_add3_u32 v15, v40, v44, v39
	v_add3_u32 v36, v37, v41, v36
	v_add_nc_u64_e32 v[6:7], 0x3800, v[6:7]
	v_add3_u32 v34, v35, v38, v34
	v_add3_u32 v30, v31, v60, v30
	v_add_nc_u32_e32 v31, 0xe00, v27
	s_mov_b32 s3, 0
	s_mov_b32 s4, -1
	s_branch .LBB2762_71
.LBB2762_70:                            ;   in Loop: Header=BB2762_71 Depth=1
	s_wait_xcnt 0x0
	s_or_b32 exec_lo, exec_lo, s5
	v_add_nc_u64_e32 v[6:7], 0x4000, v[6:7]
	v_add_nc_u32_e32 v31, 0x1000, v31
	s_xor_b32 s4, s4, -1
	s_addk_co_i32 s3, 0xf000
	s_and_b32 vcc_lo, exec_lo, s4
	s_mov_b32 s4, 0
	s_wait_storecnt 0x0
	s_barrier_signal -1
	s_barrier_wait -1
	s_cbranch_vccnz .LBB2762_87
.LBB2762_71:                            ; =>This Inner Loop Header: Depth=1
	v_add_min_u32_e64 v35, v8, s3, 0x1000
	v_add_min_u32_e64 v37, v30, s3, 0x1000
	;; [unrolled: 1-line block ×5, first 2 shown]
	s_delay_alu instid0(VALU_DEP_4) | instskip(NEXT) | instid1(VALU_DEP_4)
	v_dual_lshlrev_b32 v35, 2, v35 :: v_dual_lshlrev_b32 v37, 2, v37
	v_lshlrev_b32_e32 v38, 2, v38
	v_add_min_u32_e64 v41, v15, s3, 0x1000
	s_mov_b32 s5, exec_lo
	ds_store_b32 v35, v18 offset:2048
	ds_store_b32 v37, v1 offset:2048
	v_add_min_u32_e64 v35, v14, s3, 0x1000
	v_lshlrev_b32_e32 v37, 2, v39
	ds_store_b32 v38, v20 offset:2048
	v_dual_lshlrev_b32 v38, 2, v40 :: v_dual_lshlrev_b32 v39, 2, v41
	v_add_min_u32_e64 v40, v13, s3, 0x1000
	v_lshlrev_b32_e32 v35, 2, v35
	ds_store_b32 v37, v19 offset:2048
	ds_store_b32 v38, v22 offset:2048
	;; [unrolled: 1-line block ×4, first 2 shown]
	v_add_min_u32_e64 v37, v12, s3, 0x1000
	v_add_min_u32_e64 v38, v11, s3, 0x1000
	;; [unrolled: 1-line block ×3, first 2 shown]
	v_lshlrev_b32_e32 v35, 2, v40
	v_add_min_u32_e64 v40, v9, s3, 0x1000
	ds_store_b32 v35, v23 offset:2048
	v_dual_lshlrev_b32 v35, 2, v37 :: v_dual_lshlrev_b32 v37, 2, v38
	v_dual_lshlrev_b32 v38, 2, v39 :: v_dual_lshlrev_b32 v39, 2, v40
	v_add_nc_u32_e32 v40, 0xfffff200, v31
	ds_store_b32 v35, v26 offset:2048
	ds_store_b32 v37, v25 offset:2048
	;; [unrolled: 1-line block ×4, first 2 shown]
	s_wait_storecnt_dscnt 0x0
	s_barrier_signal -1
	s_barrier_wait -1
	v_cmpx_gt_u32_e64 s22, v40
	s_cbranch_execz .LBB2762_73
; %bb.72:                               ;   in Loop: Header=BB2762_71 Depth=1
	ds_load_b32 v35, v33 offset:2048
	s_wait_dscnt 0x0
	v_lshrrev_b32_e32 v37, s20, v35
	s_delay_alu instid0(VALU_DEP_1) | instskip(NEXT) | instid1(VALU_DEP_1)
	v_and_b32_e32 v37, s6, v37
	v_lshlrev_b32_e32 v37, 3, v37
	ds_load_b64 v[38:39], v37
	s_wait_dscnt 0x0
	v_lshl_add_u64 v[38:39], v[38:39], 2, v[6:7]
	global_store_b32 v[38:39], v35, off offset:-14336
.LBB2762_73:                            ;   in Loop: Header=BB2762_71 Depth=1
	s_wait_xcnt 0x0
	s_or_b32 exec_lo, exec_lo, s5
	v_add_nc_u32_e32 v35, 0xfffff400, v31
	s_mov_b32 s5, exec_lo
	s_delay_alu instid0(VALU_DEP_1)
	v_cmpx_gt_u32_e64 s22, v35
	s_cbranch_execz .LBB2762_75
; %bb.74:                               ;   in Loop: Header=BB2762_71 Depth=1
	ds_load_b32 v35, v33 offset:4096
	s_wait_dscnt 0x0
	v_lshrrev_b32_e32 v37, s20, v35
	s_delay_alu instid0(VALU_DEP_1) | instskip(NEXT) | instid1(VALU_DEP_1)
	v_and_b32_e32 v37, s6, v37
	v_lshlrev_b32_e32 v37, 3, v37
	ds_load_b64 v[38:39], v37
	s_wait_dscnt 0x0
	v_lshl_add_u64 v[38:39], v[38:39], 2, v[6:7]
	global_store_b32 v[38:39], v35, off offset:-12288
.LBB2762_75:                            ;   in Loop: Header=BB2762_71 Depth=1
	s_wait_xcnt 0x0
	s_or_b32 exec_lo, exec_lo, s5
	v_add_nc_u32_e32 v35, 0xfffff600, v31
	s_mov_b32 s5, exec_lo
	s_delay_alu instid0(VALU_DEP_1)
	;; [unrolled: 19-line block ×6, first 2 shown]
	v_cmpx_gt_u32_e64 s22, v35
	s_cbranch_execz .LBB2762_85
; %bb.84:                               ;   in Loop: Header=BB2762_71 Depth=1
	ds_load_b32 v35, v33 offset:14336
	s_wait_dscnt 0x0
	v_lshrrev_b32_e32 v37, s20, v35
	s_delay_alu instid0(VALU_DEP_1) | instskip(NEXT) | instid1(VALU_DEP_1)
	v_and_b32_e32 v37, s6, v37
	v_lshlrev_b32_e32 v37, 3, v37
	ds_load_b64 v[38:39], v37
	s_wait_dscnt 0x0
	v_lshl_add_u64 v[38:39], v[38:39], 2, v[6:7]
	global_store_b32 v[38:39], v35, off offset:-2048
.LBB2762_85:                            ;   in Loop: Header=BB2762_71 Depth=1
	s_wait_xcnt 0x0
	s_or_b32 exec_lo, exec_lo, s5
	s_delay_alu instid0(SALU_CYCLE_1)
	s_mov_b32 s5, exec_lo
	v_cmpx_gt_u32_e64 s22, v31
	s_cbranch_execz .LBB2762_70
; %bb.86:                               ;   in Loop: Header=BB2762_71 Depth=1
	ds_load_b32 v35, v33 offset:16384
	s_wait_dscnt 0x0
	v_lshrrev_b32_e32 v37, s20, v35
	s_delay_alu instid0(VALU_DEP_1) | instskip(NEXT) | instid1(VALU_DEP_1)
	v_and_b32_e32 v37, s6, v37
	v_lshlrev_b32_e32 v37, 3, v37
	ds_load_b64 v[38:39], v37
	s_wait_dscnt 0x0
	v_lshl_add_u64 v[38:39], v[38:39], 2, v[6:7]
	global_store_b32 v[38:39], v35, off
	s_branch .LBB2762_70
.LBB2762_87:
	s_add_co_i32 s23, s23, -1
	s_delay_alu instid0(SALU_CYCLE_1) | instskip(SKIP_2) | instid1(SALU_CYCLE_1)
	s_cmp_eq_u32 s9, s23
	s_cselect_b32 s3, -1, 0
	s_xor_b32 s2, s2, -1
	s_and_b32 s3, s2, s3
	s_delay_alu instid0(SALU_CYCLE_1)
	s_and_saveexec_b32 s2, s3
	s_cbranch_execz .LBB2762_89
; %bb.88:
	ds_load_b64 v[6:7], v5
	v_mov_b32_e32 v5, 0
	s_delay_alu instid0(VALU_DEP_1) | instskip(SKIP_1) | instid1(VALU_DEP_1)
	v_add_nc_u64_e32 v[2:3], v[2:3], v[4:5]
	s_wait_dscnt 0x0
	v_add_nc_u64_e32 v[2:3], v[2:3], v[6:7]
	global_store_b64 v27, v[2:3], s[14:15] scale_offset
.LBB2762_89:
	s_wait_xcnt 0x0
	s_or_b32 exec_lo, exec_lo, s2
	s_mov_b32 s2, 0
.LBB2762_90:
	s_delay_alu instid0(SALU_CYCLE_1)
	s_and_b32 vcc_lo, exec_lo, s2
	s_cbranch_vccz .LBB2762_149
; %bb.91:
	s_mov_b32 s25, 0
	v_dual_mov_b32 v3, 0 :: v_dual_lshlrev_b32 v2, 2, v16
	s_lshl_b64 s[2:3], s[24:25], 2
	v_mul_u32_u24_e32 v1, 12, v17
	s_add_nc_u64 s[2:3], s[16:17], s[2:3]
	v_and_b32_e32 v28, 0x3ff, v0
	v_add_nc_u64_e32 v[4:5], s[2:3], v[2:3]
	s_delay_alu instid0(VALU_DEP_3) | instskip(SKIP_1) | instid1(VALU_DEP_2)
	v_lshlrev_b32_e32 v2, 2, v1
	v_bfe_u32 v1, v0, 10, 10
	v_add_nc_u64_e32 v[4:5], v[4:5], v[2:3]
	v_bfe_u32 v2, v0, 20, 10
	s_clause 0xb
	global_load_b32 v14, v[4:5], off
	global_load_b32 v15, v[4:5], off offset:128
	global_load_b32 v18, v[4:5], off offset:256
	global_load_b32 v19, v[4:5], off offset:384
	global_load_b32 v20, v[4:5], off offset:512
	global_load_b32 v21, v[4:5], off offset:640
	global_load_b32 v22, v[4:5], off offset:768
	global_load_b32 v23, v[4:5], off offset:896
	global_load_b32 v24, v[4:5], off offset:1024
	global_load_b32 v25, v[4:5], off offset:1152
	global_load_b32 v26, v[4:5], off offset:1280
	global_load_b32 v27, v[4:5], off offset:1408
	s_clause 0x1
	s_load_b32 s7, s[0:1], 0x58
	s_load_u16 s2, s[0:1], 0x66
	s_wait_kmcnt 0x0
	s_cmp_lt_u32 s9, s7
	v_mad_u32_u24 v0, v2, s2, v1
	s_cselect_b32 s24, 12, 18
	s_lshl_b32 s8, -1, s21
	s_add_nc_u64 s[0:1], s[26:27], s[24:25]
	s_load_u16 s16, s[0:1], 0x0
	s_wait_kmcnt 0x0
	v_mad_u32 v0, v0, s16, v28
	s_delay_alu instid0(VALU_DEP_1) | instskip(NEXT) | instid1(VALU_DEP_1)
	v_lshrrev_b32_e32 v0, 3, v0
	v_and_b32_e32 v0, 0x1ffffffc, v0
	s_wait_loadcnt 0xb
	v_lshrrev_b32_e32 v4, s20, v14
	s_delay_alu instid0(VALU_DEP_1) | instskip(SKIP_1) | instid1(VALU_DEP_2)
	v_bitop3_b32 v1, v4, 1, s8 bitop3:0x40
	v_bitop3_b32 v2, v4, s8, v4 bitop3:0x30
	v_add_co_u32 v1, s0, v1, -1
	s_delay_alu instid0(VALU_DEP_1) | instskip(NEXT) | instid1(VALU_DEP_3)
	v_cndmask_b32_e64 v4, 0, 1, s0
	v_dual_lshlrev_b32 v5, 30, v2 :: v_dual_lshlrev_b32 v6, 29, v2
	v_dual_lshlrev_b32 v7, 28, v2 :: v_dual_lshlrev_b32 v8, 27, v2
	s_delay_alu instid0(VALU_DEP_3) | instskip(NEXT) | instid1(VALU_DEP_3)
	v_cmp_ne_u32_e32 vcc_lo, 0, v4
	v_not_b32_e32 v4, v5
	v_dual_lshlrev_b32 v9, 26, v2 :: v_dual_lshlrev_b32 v10, 25, v2
	v_lshlrev_b32_e32 v11, 24, v2
	v_cmp_gt_i32_e64 s0, 0, v5
	v_cmp_gt_i32_e64 s1, 0, v6
	v_not_b32_e32 v5, v6
	v_cmp_gt_i32_e64 s2, 0, v7
	v_not_b32_e32 v6, v7
	v_not_b32_e32 v7, v8
	v_ashrrev_i32_e32 v4, 31, v4
	v_cmp_gt_i32_e64 s3, 0, v8
	v_not_b32_e32 v8, v9
	v_dual_ashrrev_i32 v6, 31, v6 :: v_dual_bitop2_b32 v1, vcc_lo, v1 bitop3:0x14
	s_delay_alu instid0(VALU_DEP_4) | instskip(NEXT) | instid1(VALU_DEP_3)
	v_dual_ashrrev_i32 v5, 31, v5 :: v_dual_bitop2_b32 v4, s0, v4 bitop3:0x14
	v_dual_ashrrev_i32 v7, 31, v7 :: v_dual_ashrrev_i32 v8, 31, v8
	v_mul_lo_u32 v2, 0x44, v2
	v_cmp_gt_i32_e64 s4, 0, v9
	v_cmp_gt_i32_e64 s5, 0, v10
	v_not_b32_e32 v9, v10
	v_not_b32_e32 v10, v11
	v_xor_b32_e32 v5, s1, v5
	v_xor_b32_e32 v6, s2, v6
	v_bitop3_b32 v1, v1, v4, exec_lo bitop3:0x80
	v_xor_b32_e32 v7, s3, v7
	v_cmp_gt_i32_e64 s6, 0, v11
	v_dual_ashrrev_i32 v4, 31, v9 :: v_dual_ashrrev_i32 v9, 31, v10
	v_dual_add_nc_u32 v11, v0, v2 :: v_dual_bitop2_b32 v8, s4, v8 bitop3:0x14
	v_bitop3_b32 v1, v1, v6, v5 bitop3:0x80
	s_delay_alu instid0(VALU_DEP_3) | instskip(NEXT) | instid1(VALU_DEP_4)
	v_xor_b32_e32 v4, s5, v4
	v_xor_b32_e32 v5, s6, v9
	v_mul_u32_u24_e32 v10, 36, v28
	s_not_b32 s4, s8
	v_bitop3_b32 v1, v1, v8, v7 bitop3:0x80
	ds_store_2addr_b32 v10, v3, v3 offset0:16 offset1:17
	ds_store_2addr_b32 v10, v3, v3 offset0:18 offset1:19
	;; [unrolled: 1-line block ×4, first 2 shown]
	ds_store_b32 v10, v3 offset:96
	v_bitop3_b32 v1, v1, v5, v4 bitop3:0x80
	s_wait_storecnt 0x0
	s_wait_loadcnt_dscnt 0x0
	s_barrier_signal -1
	s_barrier_wait -1
	v_mbcnt_lo_u32_b32 v5, v1, 0
	v_cmp_ne_u32_e64 s0, 0, v1
	; wave barrier
	s_delay_alu instid0(VALU_DEP_2) | instskip(SKIP_1) | instid1(SALU_CYCLE_1)
	v_cmp_eq_u32_e32 vcc_lo, 0, v5
	s_and_b32 s1, s0, vcc_lo
	s_and_saveexec_b32 s0, s1
; %bb.92:
	v_bcnt_u32_b32 v1, v1, 0
	ds_store_b32 v11, v1 offset:64
; %bb.93:
	s_or_b32 exec_lo, exec_lo, s0
	v_lshrrev_b32_e32 v1, s20, v15
	; wave barrier
	s_delay_alu instid0(VALU_DEP_1) | instskip(NEXT) | instid1(VALU_DEP_1)
	v_and_b32_e32 v2, s4, v1
	v_lshlrev_b32_e32 v6, 30, v2
	v_bitop3_b32 v1, v1, 1, s4 bitop3:0x80
	s_delay_alu instid0(VALU_DEP_1) | instskip(NEXT) | instid1(VALU_DEP_1)
	v_add_co_u32 v1, s0, v1, -1
	v_cndmask_b32_e64 v4, 0, 1, s0
	s_delay_alu instid0(VALU_DEP_4) | instskip(NEXT) | instid1(VALU_DEP_2)
	v_cmp_gt_i32_e64 s0, 0, v6
	v_cmp_ne_u32_e32 vcc_lo, 0, v4
	v_not_b32_e32 v4, v6
	s_delay_alu instid0(VALU_DEP_1) | instskip(SKIP_3) | instid1(VALU_DEP_4)
	v_dual_ashrrev_i32 v4, 31, v4 :: v_dual_lshlrev_b32 v7, 29, v2
	v_dual_lshlrev_b32 v8, 28, v2 :: v_dual_lshlrev_b32 v9, 27, v2
	v_lshlrev_b32_e32 v12, 26, v2
	v_mul_lo_u32 v3, 0x44, v2
	v_cmp_gt_i32_e64 s1, 0, v7
	v_not_b32_e32 v6, v7
	v_not_b32_e32 v7, v8
	v_cmp_gt_i32_e64 s2, 0, v8
	v_xor_b32_e32 v1, vcc_lo, v1
	s_delay_alu instid0(VALU_DEP_4) | instskip(NEXT) | instid1(VALU_DEP_4)
	v_dual_ashrrev_i32 v6, 31, v6 :: v_dual_bitop2_b32 v4, s0, v4 bitop3:0x14
	v_dual_ashrrev_i32 v7, 31, v7 :: v_dual_lshlrev_b32 v13, 25, v2
	v_lshlrev_b32_e32 v2, 24, v2
	v_not_b32_e32 v8, v9
	v_not_b32_e32 v29, v12
	v_xor_b32_e32 v6, s1, v6
	v_xor_b32_e32 v7, s2, v7
	v_bitop3_b32 v1, v1, v4, exec_lo bitop3:0x80
	v_cmp_gt_i32_e32 vcc_lo, 0, v9
	v_ashrrev_i32_e32 v4, 31, v8
	v_cmp_gt_i32_e64 s0, 0, v12
	v_ashrrev_i32_e32 v8, 31, v29
	v_bitop3_b32 v1, v1, v7, v6 bitop3:0x80
	v_not_b32_e32 v6, v13
	v_not_b32_e32 v7, v2
	v_xor_b32_e32 v4, vcc_lo, v4
	v_xor_b32_e32 v8, s0, v8
	v_cmp_gt_i32_e32 vcc_lo, 0, v13
	v_ashrrev_i32_e32 v6, 31, v6
	v_cmp_gt_i32_e64 s0, 0, v2
	v_ashrrev_i32_e32 v2, 31, v7
	v_add_nc_u32_e32 v12, v0, v3
	v_bitop3_b32 v1, v1, v8, v4 bitop3:0x80
	v_xor_b32_e32 v3, vcc_lo, v6
	s_delay_alu instid0(VALU_DEP_4) | instskip(SKIP_2) | instid1(VALU_DEP_1)
	v_xor_b32_e32 v2, s0, v2
	ds_load_b32 v29, v12 offset:64
	; wave barrier
	v_bitop3_b32 v1, v1, v2, v3 bitop3:0x80
	v_mbcnt_lo_u32_b32 v30, v1, 0
	v_cmp_ne_u32_e64 s0, 0, v1
	s_delay_alu instid0(VALU_DEP_2) | instskip(SKIP_1) | instid1(SALU_CYCLE_1)
	v_cmp_eq_u32_e32 vcc_lo, 0, v30
	s_and_b32 s1, s0, vcc_lo
	s_and_saveexec_b32 s0, s1
	s_cbranch_execz .LBB2762_95
; %bb.94:
	s_wait_dscnt 0x0
	v_bcnt_u32_b32 v1, v1, v29
	ds_store_b32 v12, v1 offset:64
.LBB2762_95:
	s_or_b32 exec_lo, exec_lo, s0
	v_lshrrev_b32_e32 v1, s20, v18
	; wave barrier
	s_delay_alu instid0(VALU_DEP_1) | instskip(SKIP_1) | instid1(VALU_DEP_2)
	v_and_b32_e32 v2, s4, v1
	v_bitop3_b32 v1, v1, 1, s4 bitop3:0x80
	v_dual_lshlrev_b32 v6, 30, v2 :: v_dual_lshlrev_b32 v7, 29, v2
	s_delay_alu instid0(VALU_DEP_2) | instskip(NEXT) | instid1(VALU_DEP_1)
	v_add_co_u32 v1, s0, v1, -1
	v_cndmask_b32_e64 v4, 0, 1, s0
	s_delay_alu instid0(VALU_DEP_3) | instskip(NEXT) | instid1(VALU_DEP_4)
	v_cmp_gt_i32_e64 s0, 0, v6
	v_cmp_gt_i32_e64 s1, 0, v7
	s_delay_alu instid0(VALU_DEP_3) | instskip(SKIP_2) | instid1(VALU_DEP_2)
	v_cmp_ne_u32_e32 vcc_lo, 0, v4
	v_not_b32_e32 v4, v6
	v_not_b32_e32 v6, v7
	v_dual_ashrrev_i32 v4, 31, v4 :: v_dual_bitop2_b32 v1, vcc_lo, v1 bitop3:0x14
	s_delay_alu instid0(VALU_DEP_2) | instskip(SKIP_3) | instid1(VALU_DEP_3)
	v_ashrrev_i32_e32 v6, 31, v6
	v_dual_lshlrev_b32 v8, 28, v2 :: v_dual_lshlrev_b32 v9, 27, v2
	v_mul_lo_u32 v3, 0x44, v2
	v_dual_lshlrev_b32 v13, 26, v2 :: v_dual_lshlrev_b32 v31, 25, v2
	v_not_b32_e32 v7, v8
	v_lshlrev_b32_e32 v2, 24, v2
	v_cmp_gt_i32_e64 s2, 0, v8
	v_xor_b32_e32 v4, s0, v4
	v_not_b32_e32 v8, v9
	v_ashrrev_i32_e32 v7, 31, v7
	v_not_b32_e32 v32, v13
	v_xor_b32_e32 v6, s1, v6
	v_bitop3_b32 v1, v1, v4, exec_lo bitop3:0x80
	v_cmp_gt_i32_e32 vcc_lo, 0, v9
	v_dual_ashrrev_i32 v4, 31, v8 :: v_dual_bitop2_b32 v7, s2, v7 bitop3:0x14
	v_cmp_gt_i32_e64 s0, 0, v13
	v_ashrrev_i32_e32 v8, 31, v32
	s_delay_alu instid0(VALU_DEP_3)
	v_bitop3_b32 v1, v1, v7, v6 bitop3:0x80
	v_not_b32_e32 v6, v31
	v_not_b32_e32 v7, v2
	v_xor_b32_e32 v4, vcc_lo, v4
	v_xor_b32_e32 v8, s0, v8
	v_cmp_gt_i32_e32 vcc_lo, 0, v31
	v_ashrrev_i32_e32 v6, 31, v6
	v_cmp_gt_i32_e64 s0, 0, v2
	v_ashrrev_i32_e32 v2, 31, v7
	v_add_nc_u32_e32 v13, v0, v3
	v_bitop3_b32 v1, v1, v8, v4 bitop3:0x80
	v_xor_b32_e32 v3, vcc_lo, v6
	s_delay_alu instid0(VALU_DEP_4) | instskip(SKIP_2) | instid1(VALU_DEP_1)
	v_xor_b32_e32 v2, s0, v2
	ds_load_b32 v31, v13 offset:64
	; wave barrier
	v_bitop3_b32 v1, v1, v2, v3 bitop3:0x80
	v_mbcnt_lo_u32_b32 v32, v1, 0
	v_cmp_ne_u32_e64 s0, 0, v1
	s_delay_alu instid0(VALU_DEP_2) | instskip(SKIP_1) | instid1(SALU_CYCLE_1)
	v_cmp_eq_u32_e32 vcc_lo, 0, v32
	s_and_b32 s1, s0, vcc_lo
	s_and_saveexec_b32 s0, s1
	s_cbranch_execz .LBB2762_97
; %bb.96:
	s_wait_dscnt 0x0
	v_bcnt_u32_b32 v1, v1, v31
	ds_store_b32 v13, v1 offset:64
.LBB2762_97:
	s_or_b32 exec_lo, exec_lo, s0
	v_lshrrev_b32_e32 v1, s20, v19
	; wave barrier
	s_delay_alu instid0(VALU_DEP_1) | instskip(NEXT) | instid1(VALU_DEP_1)
	v_and_b32_e32 v2, s4, v1
	v_lshlrev_b32_e32 v6, 30, v2
	v_bitop3_b32 v1, v1, 1, s4 bitop3:0x80
	s_delay_alu instid0(VALU_DEP_1) | instskip(NEXT) | instid1(VALU_DEP_1)
	v_add_co_u32 v1, s0, v1, -1
	v_cndmask_b32_e64 v4, 0, 1, s0
	s_delay_alu instid0(VALU_DEP_4) | instskip(NEXT) | instid1(VALU_DEP_2)
	v_cmp_gt_i32_e64 s0, 0, v6
	v_cmp_ne_u32_e32 vcc_lo, 0, v4
	v_not_b32_e32 v4, v6
	s_delay_alu instid0(VALU_DEP_1) | instskip(SKIP_3) | instid1(VALU_DEP_4)
	v_dual_ashrrev_i32 v4, 31, v4 :: v_dual_lshlrev_b32 v7, 29, v2
	v_dual_lshlrev_b32 v8, 28, v2 :: v_dual_lshlrev_b32 v9, 27, v2
	v_lshlrev_b32_e32 v33, 26, v2
	v_mul_lo_u32 v3, 0x44, v2
	v_cmp_gt_i32_e64 s1, 0, v7
	v_not_b32_e32 v6, v7
	v_not_b32_e32 v7, v8
	v_cmp_gt_i32_e64 s2, 0, v8
	v_xor_b32_e32 v1, vcc_lo, v1
	s_delay_alu instid0(VALU_DEP_4) | instskip(NEXT) | instid1(VALU_DEP_4)
	v_dual_ashrrev_i32 v6, 31, v6 :: v_dual_bitop2_b32 v4, s0, v4 bitop3:0x14
	v_dual_ashrrev_i32 v7, 31, v7 :: v_dual_lshlrev_b32 v34, 25, v2
	v_lshlrev_b32_e32 v2, 24, v2
	v_not_b32_e32 v8, v9
	v_not_b32_e32 v35, v33
	v_xor_b32_e32 v6, s1, v6
	v_xor_b32_e32 v7, s2, v7
	v_bitop3_b32 v1, v1, v4, exec_lo bitop3:0x80
	v_cmp_gt_i32_e32 vcc_lo, 0, v9
	v_ashrrev_i32_e32 v4, 31, v8
	v_cmp_gt_i32_e64 s0, 0, v33
	v_ashrrev_i32_e32 v8, 31, v35
	v_bitop3_b32 v1, v1, v7, v6 bitop3:0x80
	v_not_b32_e32 v6, v34
	v_not_b32_e32 v7, v2
	v_xor_b32_e32 v4, vcc_lo, v4
	v_xor_b32_e32 v8, s0, v8
	v_cmp_gt_i32_e32 vcc_lo, 0, v34
	v_ashrrev_i32_e32 v6, 31, v6
	v_cmp_gt_i32_e64 s0, 0, v2
	v_ashrrev_i32_e32 v2, 31, v7
	v_add_nc_u32_e32 v37, v0, v3
	v_bitop3_b32 v1, v1, v8, v4 bitop3:0x80
	v_xor_b32_e32 v3, vcc_lo, v6
	s_delay_alu instid0(VALU_DEP_4) | instskip(SKIP_2) | instid1(VALU_DEP_1)
	v_xor_b32_e32 v2, s0, v2
	ds_load_b32 v33, v37 offset:64
	; wave barrier
	v_bitop3_b32 v1, v1, v2, v3 bitop3:0x80
	v_mbcnt_lo_u32_b32 v34, v1, 0
	v_cmp_ne_u32_e64 s0, 0, v1
	s_delay_alu instid0(VALU_DEP_2) | instskip(SKIP_1) | instid1(SALU_CYCLE_1)
	v_cmp_eq_u32_e32 vcc_lo, 0, v34
	s_and_b32 s1, s0, vcc_lo
	s_and_saveexec_b32 s0, s1
	s_cbranch_execz .LBB2762_99
; %bb.98:
	s_wait_dscnt 0x0
	v_bcnt_u32_b32 v1, v1, v33
	ds_store_b32 v37, v1 offset:64
.LBB2762_99:
	s_or_b32 exec_lo, exec_lo, s0
	v_lshrrev_b32_e32 v1, s20, v20
	; wave barrier
	s_delay_alu instid0(VALU_DEP_1) | instskip(NEXT) | instid1(VALU_DEP_1)
	v_and_b32_e32 v2, s4, v1
	v_lshlrev_b32_e32 v6, 30, v2
	v_bitop3_b32 v1, v1, 1, s4 bitop3:0x80
	s_delay_alu instid0(VALU_DEP_1) | instskip(NEXT) | instid1(VALU_DEP_1)
	v_add_co_u32 v1, s0, v1, -1
	v_cndmask_b32_e64 v4, 0, 1, s0
	s_delay_alu instid0(VALU_DEP_4) | instskip(NEXT) | instid1(VALU_DEP_2)
	v_cmp_gt_i32_e64 s0, 0, v6
	v_cmp_ne_u32_e32 vcc_lo, 0, v4
	v_not_b32_e32 v4, v6
	s_delay_alu instid0(VALU_DEP_1) | instskip(SKIP_3) | instid1(VALU_DEP_4)
	v_dual_ashrrev_i32 v4, 31, v4 :: v_dual_lshlrev_b32 v7, 29, v2
	v_dual_lshlrev_b32 v8, 28, v2 :: v_dual_lshlrev_b32 v9, 27, v2
	v_lshlrev_b32_e32 v35, 26, v2
	v_mul_lo_u32 v3, 0x44, v2
	v_cmp_gt_i32_e64 s1, 0, v7
	v_not_b32_e32 v6, v7
	v_not_b32_e32 v7, v8
	v_cmp_gt_i32_e64 s2, 0, v8
	v_xor_b32_e32 v1, vcc_lo, v1
	s_delay_alu instid0(VALU_DEP_4) | instskip(NEXT) | instid1(VALU_DEP_4)
	v_dual_ashrrev_i32 v6, 31, v6 :: v_dual_bitop2_b32 v4, s0, v4 bitop3:0x14
	v_dual_ashrrev_i32 v7, 31, v7 :: v_dual_lshlrev_b32 v36, 25, v2
	v_lshlrev_b32_e32 v2, 24, v2
	v_not_b32_e32 v8, v9
	v_not_b32_e32 v38, v35
	v_xor_b32_e32 v6, s1, v6
	v_xor_b32_e32 v7, s2, v7
	v_bitop3_b32 v1, v1, v4, exec_lo bitop3:0x80
	v_cmp_gt_i32_e32 vcc_lo, 0, v9
	v_ashrrev_i32_e32 v4, 31, v8
	v_cmp_gt_i32_e64 s0, 0, v35
	v_ashrrev_i32_e32 v8, 31, v38
	v_bitop3_b32 v1, v1, v7, v6 bitop3:0x80
	v_not_b32_e32 v6, v36
	v_not_b32_e32 v7, v2
	v_xor_b32_e32 v4, vcc_lo, v4
	v_xor_b32_e32 v8, s0, v8
	v_cmp_gt_i32_e32 vcc_lo, 0, v36
	v_ashrrev_i32_e32 v6, 31, v6
	v_cmp_gt_i32_e64 s0, 0, v2
	v_ashrrev_i32_e32 v2, 31, v7
	v_add_nc_u32_e32 v40, v0, v3
	v_bitop3_b32 v1, v1, v8, v4 bitop3:0x80
	v_xor_b32_e32 v3, vcc_lo, v6
	s_delay_alu instid0(VALU_DEP_4) | instskip(SKIP_2) | instid1(VALU_DEP_1)
	v_xor_b32_e32 v2, s0, v2
	ds_load_b32 v35, v40 offset:64
	; wave barrier
	v_bitop3_b32 v1, v1, v2, v3 bitop3:0x80
	v_mbcnt_lo_u32_b32 v36, v1, 0
	v_cmp_ne_u32_e64 s0, 0, v1
	s_delay_alu instid0(VALU_DEP_2) | instskip(SKIP_1) | instid1(SALU_CYCLE_1)
	v_cmp_eq_u32_e32 vcc_lo, 0, v36
	s_and_b32 s1, s0, vcc_lo
	s_and_saveexec_b32 s0, s1
	s_cbranch_execz .LBB2762_101
; %bb.100:
	s_wait_dscnt 0x0
	v_bcnt_u32_b32 v1, v1, v35
	ds_store_b32 v40, v1 offset:64
.LBB2762_101:
	s_or_b32 exec_lo, exec_lo, s0
	v_lshrrev_b32_e32 v1, s20, v21
	; wave barrier
	s_delay_alu instid0(VALU_DEP_1) | instskip(NEXT) | instid1(VALU_DEP_1)
	v_and_b32_e32 v2, s4, v1
	v_lshlrev_b32_e32 v6, 30, v2
	v_bitop3_b32 v1, v1, 1, s4 bitop3:0x80
	s_delay_alu instid0(VALU_DEP_1) | instskip(NEXT) | instid1(VALU_DEP_1)
	v_add_co_u32 v1, s0, v1, -1
	v_cndmask_b32_e64 v4, 0, 1, s0
	s_delay_alu instid0(VALU_DEP_4) | instskip(NEXT) | instid1(VALU_DEP_2)
	v_cmp_gt_i32_e64 s0, 0, v6
	v_cmp_ne_u32_e32 vcc_lo, 0, v4
	v_not_b32_e32 v4, v6
	s_delay_alu instid0(VALU_DEP_1) | instskip(SKIP_3) | instid1(VALU_DEP_4)
	v_dual_ashrrev_i32 v4, 31, v4 :: v_dual_lshlrev_b32 v7, 29, v2
	v_dual_lshlrev_b32 v8, 28, v2 :: v_dual_lshlrev_b32 v9, 27, v2
	v_lshlrev_b32_e32 v38, 26, v2
	v_mul_lo_u32 v3, 0x44, v2
	v_cmp_gt_i32_e64 s1, 0, v7
	v_not_b32_e32 v6, v7
	v_not_b32_e32 v7, v8
	v_cmp_gt_i32_e64 s2, 0, v8
	v_xor_b32_e32 v1, vcc_lo, v1
	s_delay_alu instid0(VALU_DEP_4) | instskip(NEXT) | instid1(VALU_DEP_4)
	v_dual_ashrrev_i32 v6, 31, v6 :: v_dual_bitop2_b32 v4, s0, v4 bitop3:0x14
	v_dual_ashrrev_i32 v7, 31, v7 :: v_dual_lshlrev_b32 v39, 25, v2
	v_lshlrev_b32_e32 v2, 24, v2
	v_not_b32_e32 v8, v9
	v_not_b32_e32 v41, v38
	v_xor_b32_e32 v6, s1, v6
	v_xor_b32_e32 v7, s2, v7
	v_bitop3_b32 v1, v1, v4, exec_lo bitop3:0x80
	v_cmp_gt_i32_e32 vcc_lo, 0, v9
	v_ashrrev_i32_e32 v4, 31, v8
	v_cmp_gt_i32_e64 s0, 0, v38
	v_ashrrev_i32_e32 v8, 31, v41
	v_bitop3_b32 v1, v1, v7, v6 bitop3:0x80
	v_not_b32_e32 v6, v39
	v_not_b32_e32 v7, v2
	v_xor_b32_e32 v4, vcc_lo, v4
	v_xor_b32_e32 v8, s0, v8
	v_cmp_gt_i32_e32 vcc_lo, 0, v39
	v_ashrrev_i32_e32 v6, 31, v6
	v_cmp_gt_i32_e64 s0, 0, v2
	v_ashrrev_i32_e32 v2, 31, v7
	v_add_nc_u32_e32 v43, v0, v3
	v_bitop3_b32 v1, v1, v8, v4 bitop3:0x80
	v_xor_b32_e32 v3, vcc_lo, v6
	s_delay_alu instid0(VALU_DEP_4) | instskip(SKIP_2) | instid1(VALU_DEP_1)
	v_xor_b32_e32 v2, s0, v2
	ds_load_b32 v38, v43 offset:64
	; wave barrier
	v_bitop3_b32 v1, v1, v2, v3 bitop3:0x80
	v_mbcnt_lo_u32_b32 v39, v1, 0
	v_cmp_ne_u32_e64 s0, 0, v1
	s_delay_alu instid0(VALU_DEP_2) | instskip(SKIP_1) | instid1(SALU_CYCLE_1)
	v_cmp_eq_u32_e32 vcc_lo, 0, v39
	s_and_b32 s1, s0, vcc_lo
	s_and_saveexec_b32 s0, s1
	s_cbranch_execz .LBB2762_103
; %bb.102:
	s_wait_dscnt 0x0
	v_bcnt_u32_b32 v1, v1, v38
	ds_store_b32 v43, v1 offset:64
.LBB2762_103:
	s_or_b32 exec_lo, exec_lo, s0
	v_lshrrev_b32_e32 v1, s20, v22
	; wave barrier
	s_delay_alu instid0(VALU_DEP_1) | instskip(SKIP_1) | instid1(VALU_DEP_2)
	v_and_b32_e32 v2, s4, v1
	v_bitop3_b32 v1, v1, 1, s4 bitop3:0x80
	v_dual_lshlrev_b32 v6, 30, v2 :: v_dual_lshlrev_b32 v7, 29, v2
	s_delay_alu instid0(VALU_DEP_2) | instskip(NEXT) | instid1(VALU_DEP_1)
	v_add_co_u32 v1, s0, v1, -1
	v_cndmask_b32_e64 v4, 0, 1, s0
	s_delay_alu instid0(VALU_DEP_3) | instskip(NEXT) | instid1(VALU_DEP_4)
	v_cmp_gt_i32_e64 s0, 0, v6
	v_cmp_gt_i32_e64 s1, 0, v7
	s_delay_alu instid0(VALU_DEP_3) | instskip(SKIP_2) | instid1(VALU_DEP_2)
	v_cmp_ne_u32_e32 vcc_lo, 0, v4
	v_not_b32_e32 v4, v6
	v_not_b32_e32 v6, v7
	v_dual_ashrrev_i32 v4, 31, v4 :: v_dual_bitop2_b32 v1, vcc_lo, v1 bitop3:0x14
	s_delay_alu instid0(VALU_DEP_2) | instskip(SKIP_3) | instid1(VALU_DEP_3)
	v_ashrrev_i32_e32 v6, 31, v6
	v_dual_lshlrev_b32 v8, 28, v2 :: v_dual_lshlrev_b32 v9, 27, v2
	v_mul_lo_u32 v3, 0x44, v2
	v_dual_lshlrev_b32 v41, 26, v2 :: v_dual_lshlrev_b32 v42, 25, v2
	v_not_b32_e32 v7, v8
	v_lshlrev_b32_e32 v2, 24, v2
	v_cmp_gt_i32_e64 s2, 0, v8
	v_xor_b32_e32 v4, s0, v4
	v_not_b32_e32 v8, v9
	v_ashrrev_i32_e32 v7, 31, v7
	v_not_b32_e32 v44, v41
	v_xor_b32_e32 v6, s1, v6
	v_bitop3_b32 v1, v1, v4, exec_lo bitop3:0x80
	v_cmp_gt_i32_e32 vcc_lo, 0, v9
	v_dual_ashrrev_i32 v4, 31, v8 :: v_dual_bitop2_b32 v7, s2, v7 bitop3:0x14
	v_cmp_gt_i32_e64 s0, 0, v41
	v_ashrrev_i32_e32 v8, 31, v44
	s_delay_alu instid0(VALU_DEP_3)
	v_bitop3_b32 v1, v1, v7, v6 bitop3:0x80
	v_not_b32_e32 v6, v42
	v_not_b32_e32 v7, v2
	v_xor_b32_e32 v4, vcc_lo, v4
	v_xor_b32_e32 v8, s0, v8
	v_cmp_gt_i32_e32 vcc_lo, 0, v42
	v_ashrrev_i32_e32 v6, 31, v6
	v_cmp_gt_i32_e64 s0, 0, v2
	v_ashrrev_i32_e32 v2, 31, v7
	v_add_nc_u32_e32 v46, v0, v3
	v_bitop3_b32 v1, v1, v8, v4 bitop3:0x80
	v_xor_b32_e32 v3, vcc_lo, v6
	s_delay_alu instid0(VALU_DEP_4) | instskip(SKIP_2) | instid1(VALU_DEP_1)
	v_xor_b32_e32 v2, s0, v2
	ds_load_b32 v41, v46 offset:64
	; wave barrier
	v_bitop3_b32 v1, v1, v2, v3 bitop3:0x80
	v_mbcnt_lo_u32_b32 v42, v1, 0
	v_cmp_ne_u32_e64 s0, 0, v1
	s_delay_alu instid0(VALU_DEP_2) | instskip(SKIP_1) | instid1(SALU_CYCLE_1)
	v_cmp_eq_u32_e32 vcc_lo, 0, v42
	s_and_b32 s1, s0, vcc_lo
	s_and_saveexec_b32 s0, s1
	s_cbranch_execz .LBB2762_105
; %bb.104:
	s_wait_dscnt 0x0
	v_bcnt_u32_b32 v1, v1, v41
	ds_store_b32 v46, v1 offset:64
.LBB2762_105:
	s_or_b32 exec_lo, exec_lo, s0
	v_lshrrev_b32_e32 v1, s20, v23
	; wave barrier
	s_delay_alu instid0(VALU_DEP_1) | instskip(NEXT) | instid1(VALU_DEP_1)
	v_and_b32_e32 v2, s4, v1
	v_lshlrev_b32_e32 v6, 30, v2
	v_bitop3_b32 v1, v1, 1, s4 bitop3:0x80
	s_delay_alu instid0(VALU_DEP_1) | instskip(NEXT) | instid1(VALU_DEP_1)
	v_add_co_u32 v1, s0, v1, -1
	v_cndmask_b32_e64 v4, 0, 1, s0
	s_delay_alu instid0(VALU_DEP_4) | instskip(NEXT) | instid1(VALU_DEP_2)
	v_cmp_gt_i32_e64 s0, 0, v6
	v_cmp_ne_u32_e32 vcc_lo, 0, v4
	v_not_b32_e32 v4, v6
	s_delay_alu instid0(VALU_DEP_1) | instskip(SKIP_3) | instid1(VALU_DEP_4)
	v_dual_ashrrev_i32 v4, 31, v4 :: v_dual_lshlrev_b32 v7, 29, v2
	v_dual_lshlrev_b32 v8, 28, v2 :: v_dual_lshlrev_b32 v9, 27, v2
	v_lshlrev_b32_e32 v44, 26, v2
	v_mul_lo_u32 v3, 0x44, v2
	v_cmp_gt_i32_e64 s1, 0, v7
	v_not_b32_e32 v6, v7
	v_not_b32_e32 v7, v8
	v_cmp_gt_i32_e64 s2, 0, v8
	v_xor_b32_e32 v1, vcc_lo, v1
	s_delay_alu instid0(VALU_DEP_4) | instskip(NEXT) | instid1(VALU_DEP_4)
	v_dual_ashrrev_i32 v6, 31, v6 :: v_dual_bitop2_b32 v4, s0, v4 bitop3:0x14
	v_dual_ashrrev_i32 v7, 31, v7 :: v_dual_lshlrev_b32 v45, 25, v2
	v_lshlrev_b32_e32 v2, 24, v2
	v_not_b32_e32 v8, v9
	v_not_b32_e32 v47, v44
	v_xor_b32_e32 v6, s1, v6
	v_xor_b32_e32 v7, s2, v7
	v_bitop3_b32 v1, v1, v4, exec_lo bitop3:0x80
	v_cmp_gt_i32_e32 vcc_lo, 0, v9
	v_ashrrev_i32_e32 v4, 31, v8
	v_cmp_gt_i32_e64 s0, 0, v44
	v_ashrrev_i32_e32 v8, 31, v47
	v_bitop3_b32 v1, v1, v7, v6 bitop3:0x80
	v_not_b32_e32 v6, v45
	v_not_b32_e32 v7, v2
	v_xor_b32_e32 v4, vcc_lo, v4
	v_xor_b32_e32 v8, s0, v8
	v_cmp_gt_i32_e32 vcc_lo, 0, v45
	v_ashrrev_i32_e32 v6, 31, v6
	v_cmp_gt_i32_e64 s0, 0, v2
	v_ashrrev_i32_e32 v2, 31, v7
	v_add_nc_u32_e32 v49, v0, v3
	v_bitop3_b32 v1, v1, v8, v4 bitop3:0x80
	v_xor_b32_e32 v3, vcc_lo, v6
	s_delay_alu instid0(VALU_DEP_4) | instskip(SKIP_2) | instid1(VALU_DEP_1)
	v_xor_b32_e32 v2, s0, v2
	ds_load_b32 v44, v49 offset:64
	; wave barrier
	v_bitop3_b32 v1, v1, v2, v3 bitop3:0x80
	v_mbcnt_lo_u32_b32 v45, v1, 0
	v_cmp_ne_u32_e64 s0, 0, v1
	s_delay_alu instid0(VALU_DEP_2) | instskip(SKIP_1) | instid1(SALU_CYCLE_1)
	v_cmp_eq_u32_e32 vcc_lo, 0, v45
	s_and_b32 s1, s0, vcc_lo
	s_and_saveexec_b32 s0, s1
	s_cbranch_execz .LBB2762_107
; %bb.106:
	s_wait_dscnt 0x0
	v_bcnt_u32_b32 v1, v1, v44
	ds_store_b32 v49, v1 offset:64
.LBB2762_107:
	s_or_b32 exec_lo, exec_lo, s0
	v_lshrrev_b32_e32 v1, s20, v24
	; wave barrier
	s_delay_alu instid0(VALU_DEP_1) | instskip(NEXT) | instid1(VALU_DEP_1)
	v_and_b32_e32 v2, s4, v1
	v_lshlrev_b32_e32 v6, 30, v2
	v_bitop3_b32 v1, v1, 1, s4 bitop3:0x80
	s_delay_alu instid0(VALU_DEP_1) | instskip(NEXT) | instid1(VALU_DEP_1)
	v_add_co_u32 v1, s0, v1, -1
	v_cndmask_b32_e64 v4, 0, 1, s0
	s_delay_alu instid0(VALU_DEP_4) | instskip(NEXT) | instid1(VALU_DEP_2)
	v_cmp_gt_i32_e64 s0, 0, v6
	v_cmp_ne_u32_e32 vcc_lo, 0, v4
	v_not_b32_e32 v4, v6
	s_delay_alu instid0(VALU_DEP_1) | instskip(SKIP_3) | instid1(VALU_DEP_4)
	v_dual_ashrrev_i32 v4, 31, v4 :: v_dual_lshlrev_b32 v7, 29, v2
	v_dual_lshlrev_b32 v8, 28, v2 :: v_dual_lshlrev_b32 v9, 27, v2
	v_lshlrev_b32_e32 v47, 26, v2
	v_mul_lo_u32 v3, 0x44, v2
	v_cmp_gt_i32_e64 s1, 0, v7
	v_not_b32_e32 v6, v7
	v_not_b32_e32 v7, v8
	v_cmp_gt_i32_e64 s2, 0, v8
	v_xor_b32_e32 v1, vcc_lo, v1
	s_delay_alu instid0(VALU_DEP_4) | instskip(NEXT) | instid1(VALU_DEP_4)
	v_dual_ashrrev_i32 v6, 31, v6 :: v_dual_bitop2_b32 v4, s0, v4 bitop3:0x14
	v_dual_ashrrev_i32 v7, 31, v7 :: v_dual_lshlrev_b32 v48, 25, v2
	v_lshlrev_b32_e32 v2, 24, v2
	v_not_b32_e32 v8, v9
	v_not_b32_e32 v50, v47
	v_xor_b32_e32 v6, s1, v6
	v_xor_b32_e32 v7, s2, v7
	v_bitop3_b32 v1, v1, v4, exec_lo bitop3:0x80
	v_cmp_gt_i32_e32 vcc_lo, 0, v9
	v_ashrrev_i32_e32 v4, 31, v8
	v_cmp_gt_i32_e64 s0, 0, v47
	v_ashrrev_i32_e32 v8, 31, v50
	v_bitop3_b32 v1, v1, v7, v6 bitop3:0x80
	v_not_b32_e32 v6, v48
	v_not_b32_e32 v7, v2
	v_xor_b32_e32 v4, vcc_lo, v4
	v_xor_b32_e32 v8, s0, v8
	v_cmp_gt_i32_e32 vcc_lo, 0, v48
	v_ashrrev_i32_e32 v6, 31, v6
	v_cmp_gt_i32_e64 s0, 0, v2
	v_ashrrev_i32_e32 v2, 31, v7
	v_add_nc_u32_e32 v52, v0, v3
	v_bitop3_b32 v1, v1, v8, v4 bitop3:0x80
	v_xor_b32_e32 v3, vcc_lo, v6
	s_delay_alu instid0(VALU_DEP_4) | instskip(SKIP_2) | instid1(VALU_DEP_1)
	v_xor_b32_e32 v2, s0, v2
	ds_load_b32 v47, v52 offset:64
	; wave barrier
	v_bitop3_b32 v1, v1, v2, v3 bitop3:0x80
	v_mbcnt_lo_u32_b32 v48, v1, 0
	v_cmp_ne_u32_e64 s0, 0, v1
	s_delay_alu instid0(VALU_DEP_2) | instskip(SKIP_1) | instid1(SALU_CYCLE_1)
	v_cmp_eq_u32_e32 vcc_lo, 0, v48
	s_and_b32 s1, s0, vcc_lo
	s_and_saveexec_b32 s0, s1
	s_cbranch_execz .LBB2762_109
; %bb.108:
	s_wait_dscnt 0x0
	v_bcnt_u32_b32 v1, v1, v47
	ds_store_b32 v52, v1 offset:64
.LBB2762_109:
	s_or_b32 exec_lo, exec_lo, s0
	v_lshrrev_b32_e32 v1, s20, v25
	; wave barrier
	s_delay_alu instid0(VALU_DEP_1) | instskip(NEXT) | instid1(VALU_DEP_1)
	v_and_b32_e32 v2, s4, v1
	v_lshlrev_b32_e32 v6, 30, v2
	v_bitop3_b32 v1, v1, 1, s4 bitop3:0x80
	s_delay_alu instid0(VALU_DEP_1) | instskip(NEXT) | instid1(VALU_DEP_1)
	v_add_co_u32 v1, s0, v1, -1
	v_cndmask_b32_e64 v4, 0, 1, s0
	s_delay_alu instid0(VALU_DEP_4) | instskip(NEXT) | instid1(VALU_DEP_2)
	v_cmp_gt_i32_e64 s0, 0, v6
	v_cmp_ne_u32_e32 vcc_lo, 0, v4
	v_not_b32_e32 v4, v6
	s_delay_alu instid0(VALU_DEP_1) | instskip(SKIP_3) | instid1(VALU_DEP_4)
	v_dual_ashrrev_i32 v4, 31, v4 :: v_dual_lshlrev_b32 v7, 29, v2
	v_dual_lshlrev_b32 v8, 28, v2 :: v_dual_lshlrev_b32 v9, 27, v2
	v_lshlrev_b32_e32 v50, 26, v2
	v_mul_lo_u32 v3, 0x44, v2
	v_cmp_gt_i32_e64 s1, 0, v7
	v_not_b32_e32 v6, v7
	v_not_b32_e32 v7, v8
	v_cmp_gt_i32_e64 s2, 0, v8
	v_xor_b32_e32 v1, vcc_lo, v1
	s_delay_alu instid0(VALU_DEP_4) | instskip(NEXT) | instid1(VALU_DEP_4)
	v_dual_ashrrev_i32 v6, 31, v6 :: v_dual_bitop2_b32 v4, s0, v4 bitop3:0x14
	v_dual_ashrrev_i32 v7, 31, v7 :: v_dual_lshlrev_b32 v51, 25, v2
	v_lshlrev_b32_e32 v2, 24, v2
	v_not_b32_e32 v8, v9
	v_not_b32_e32 v53, v50
	v_xor_b32_e32 v6, s1, v6
	v_xor_b32_e32 v7, s2, v7
	v_bitop3_b32 v1, v1, v4, exec_lo bitop3:0x80
	v_cmp_gt_i32_e32 vcc_lo, 0, v9
	v_ashrrev_i32_e32 v4, 31, v8
	v_cmp_gt_i32_e64 s0, 0, v50
	v_ashrrev_i32_e32 v8, 31, v53
	v_bitop3_b32 v1, v1, v7, v6 bitop3:0x80
	v_not_b32_e32 v6, v51
	v_not_b32_e32 v7, v2
	v_xor_b32_e32 v4, vcc_lo, v4
	v_xor_b32_e32 v8, s0, v8
	v_cmp_gt_i32_e32 vcc_lo, 0, v51
	v_ashrrev_i32_e32 v6, 31, v6
	v_cmp_gt_i32_e64 s0, 0, v2
	v_ashrrev_i32_e32 v2, 31, v7
	v_add_nc_u32_e32 v55, v0, v3
	v_bitop3_b32 v1, v1, v8, v4 bitop3:0x80
	v_xor_b32_e32 v3, vcc_lo, v6
	s_delay_alu instid0(VALU_DEP_4) | instskip(SKIP_2) | instid1(VALU_DEP_1)
	v_xor_b32_e32 v2, s0, v2
	ds_load_b32 v50, v55 offset:64
	; wave barrier
	v_bitop3_b32 v1, v1, v2, v3 bitop3:0x80
	v_mbcnt_lo_u32_b32 v51, v1, 0
	v_cmp_ne_u32_e64 s0, 0, v1
	s_delay_alu instid0(VALU_DEP_2) | instskip(SKIP_1) | instid1(SALU_CYCLE_1)
	v_cmp_eq_u32_e32 vcc_lo, 0, v51
	s_and_b32 s1, s0, vcc_lo
	s_and_saveexec_b32 s0, s1
	s_cbranch_execz .LBB2762_111
; %bb.110:
	s_wait_dscnt 0x0
	v_bcnt_u32_b32 v1, v1, v50
	ds_store_b32 v55, v1 offset:64
.LBB2762_111:
	s_or_b32 exec_lo, exec_lo, s0
	v_lshrrev_b32_e32 v1, s20, v26
	; wave barrier
	s_delay_alu instid0(VALU_DEP_1) | instskip(SKIP_1) | instid1(VALU_DEP_2)
	v_and_b32_e32 v2, s4, v1
	v_bitop3_b32 v1, v1, 1, s4 bitop3:0x80
	v_dual_lshlrev_b32 v6, 30, v2 :: v_dual_lshlrev_b32 v7, 29, v2
	s_delay_alu instid0(VALU_DEP_2) | instskip(NEXT) | instid1(VALU_DEP_1)
	v_add_co_u32 v1, s0, v1, -1
	v_cndmask_b32_e64 v4, 0, 1, s0
	s_delay_alu instid0(VALU_DEP_3) | instskip(NEXT) | instid1(VALU_DEP_4)
	v_cmp_gt_i32_e64 s0, 0, v6
	v_cmp_gt_i32_e64 s1, 0, v7
	s_delay_alu instid0(VALU_DEP_3) | instskip(SKIP_2) | instid1(VALU_DEP_2)
	v_cmp_ne_u32_e32 vcc_lo, 0, v4
	v_not_b32_e32 v4, v6
	v_not_b32_e32 v6, v7
	v_dual_ashrrev_i32 v4, 31, v4 :: v_dual_bitop2_b32 v1, vcc_lo, v1 bitop3:0x14
	s_delay_alu instid0(VALU_DEP_2) | instskip(SKIP_3) | instid1(VALU_DEP_3)
	v_ashrrev_i32_e32 v6, 31, v6
	v_dual_lshlrev_b32 v8, 28, v2 :: v_dual_lshlrev_b32 v9, 27, v2
	v_mul_lo_u32 v3, 0x44, v2
	v_dual_lshlrev_b32 v53, 26, v2 :: v_dual_lshlrev_b32 v54, 25, v2
	v_not_b32_e32 v7, v8
	v_lshlrev_b32_e32 v2, 24, v2
	v_cmp_gt_i32_e64 s2, 0, v8
	v_xor_b32_e32 v4, s0, v4
	v_not_b32_e32 v8, v9
	v_ashrrev_i32_e32 v7, 31, v7
	v_not_b32_e32 v56, v53
	v_xor_b32_e32 v6, s1, v6
	v_bitop3_b32 v1, v1, v4, exec_lo bitop3:0x80
	v_cmp_gt_i32_e32 vcc_lo, 0, v9
	v_dual_ashrrev_i32 v4, 31, v8 :: v_dual_bitop2_b32 v7, s2, v7 bitop3:0x14
	v_cmp_gt_i32_e64 s0, 0, v53
	v_ashrrev_i32_e32 v8, 31, v56
	s_delay_alu instid0(VALU_DEP_3)
	v_bitop3_b32 v1, v1, v7, v6 bitop3:0x80
	v_not_b32_e32 v6, v54
	v_not_b32_e32 v7, v2
	v_xor_b32_e32 v4, vcc_lo, v4
	v_xor_b32_e32 v8, s0, v8
	v_cmp_gt_i32_e32 vcc_lo, 0, v54
	v_ashrrev_i32_e32 v6, 31, v6
	v_cmp_gt_i32_e64 s0, 0, v2
	v_ashrrev_i32_e32 v2, 31, v7
	v_add_nc_u32_e32 v58, v0, v3
	v_bitop3_b32 v1, v1, v8, v4 bitop3:0x80
	v_xor_b32_e32 v3, vcc_lo, v6
	s_delay_alu instid0(VALU_DEP_4) | instskip(SKIP_2) | instid1(VALU_DEP_1)
	v_xor_b32_e32 v2, s0, v2
	ds_load_b32 v53, v58 offset:64
	; wave barrier
	v_bitop3_b32 v1, v1, v2, v3 bitop3:0x80
	v_mbcnt_lo_u32_b32 v54, v1, 0
	v_cmp_ne_u32_e64 s0, 0, v1
	s_delay_alu instid0(VALU_DEP_2) | instskip(SKIP_1) | instid1(SALU_CYCLE_1)
	v_cmp_eq_u32_e32 vcc_lo, 0, v54
	s_and_b32 s1, s0, vcc_lo
	s_and_saveexec_b32 s0, s1
	s_cbranch_execz .LBB2762_113
; %bb.112:
	s_wait_dscnt 0x0
	v_bcnt_u32_b32 v1, v1, v53
	ds_store_b32 v58, v1 offset:64
.LBB2762_113:
	s_or_b32 exec_lo, exec_lo, s0
	v_lshrrev_b32_e32 v1, s20, v27
	; wave barrier
	s_delay_alu instid0(VALU_DEP_1) | instskip(NEXT) | instid1(VALU_DEP_1)
	v_and_b32_e32 v2, s4, v1
	v_lshlrev_b32_e32 v6, 30, v2
	v_bitop3_b32 v1, v1, 1, s4 bitop3:0x80
	s_delay_alu instid0(VALU_DEP_1) | instskip(NEXT) | instid1(VALU_DEP_1)
	v_add_co_u32 v1, s0, v1, -1
	v_cndmask_b32_e64 v4, 0, 1, s0
	s_delay_alu instid0(VALU_DEP_4) | instskip(NEXT) | instid1(VALU_DEP_2)
	v_cmp_gt_i32_e64 s0, 0, v6
	v_cmp_ne_u32_e32 vcc_lo, 0, v4
	v_not_b32_e32 v4, v6
	s_delay_alu instid0(VALU_DEP_1) | instskip(SKIP_3) | instid1(VALU_DEP_4)
	v_dual_ashrrev_i32 v4, 31, v4 :: v_dual_lshlrev_b32 v7, 29, v2
	v_dual_lshlrev_b32 v8, 28, v2 :: v_dual_lshlrev_b32 v9, 27, v2
	v_lshlrev_b32_e32 v56, 26, v2
	v_mul_lo_u32 v3, 0x44, v2
	v_cmp_gt_i32_e64 s1, 0, v7
	v_not_b32_e32 v6, v7
	v_not_b32_e32 v7, v8
	v_cmp_gt_i32_e64 s2, 0, v8
	v_xor_b32_e32 v1, vcc_lo, v1
	s_delay_alu instid0(VALU_DEP_4) | instskip(NEXT) | instid1(VALU_DEP_4)
	v_dual_ashrrev_i32 v6, 31, v6 :: v_dual_bitop2_b32 v4, s0, v4 bitop3:0x14
	v_dual_ashrrev_i32 v7, 31, v7 :: v_dual_lshlrev_b32 v57, 25, v2
	v_lshlrev_b32_e32 v2, 24, v2
	v_not_b32_e32 v8, v9
	v_not_b32_e32 v59, v56
	v_xor_b32_e32 v6, s1, v6
	v_xor_b32_e32 v7, s2, v7
	v_bitop3_b32 v1, v1, v4, exec_lo bitop3:0x80
	v_cmp_gt_i32_e32 vcc_lo, 0, v9
	v_ashrrev_i32_e32 v4, 31, v8
	v_cmp_gt_i32_e64 s0, 0, v56
	v_ashrrev_i32_e32 v8, 31, v59
	v_bitop3_b32 v1, v1, v7, v6 bitop3:0x80
	v_not_b32_e32 v6, v57
	v_not_b32_e32 v7, v2
	v_xor_b32_e32 v4, vcc_lo, v4
	v_xor_b32_e32 v8, s0, v8
	v_cmp_gt_i32_e32 vcc_lo, 0, v57
	v_ashrrev_i32_e32 v6, 31, v6
	v_cmp_gt_i32_e64 s0, 0, v2
	v_ashrrev_i32_e32 v2, 31, v7
	v_add_nc_u32_e32 v61, v0, v3
	v_bitop3_b32 v0, v1, v8, v4 bitop3:0x80
	v_xor_b32_e32 v1, vcc_lo, v6
	s_delay_alu instid0(VALU_DEP_4) | instskip(SKIP_2) | instid1(VALU_DEP_1)
	v_xor_b32_e32 v2, s0, v2
	ds_load_b32 v56, v61 offset:64
	; wave barrier
	v_bitop3_b32 v0, v0, v2, v1 bitop3:0x80
	v_mbcnt_lo_u32_b32 v57, v0, 0
	v_cmp_ne_u32_e64 s0, 0, v0
	s_delay_alu instid0(VALU_DEP_2) | instskip(SKIP_1) | instid1(SALU_CYCLE_1)
	v_cmp_eq_u32_e32 vcc_lo, 0, v57
	s_and_b32 s1, s0, vcc_lo
	s_and_saveexec_b32 s0, s1
	s_cbranch_execz .LBB2762_115
; %bb.114:
	s_wait_dscnt 0x0
	v_bcnt_u32_b32 v0, v0, v56
	ds_store_b32 v61, v0 offset:64
.LBB2762_115:
	s_or_b32 exec_lo, exec_lo, s0
	; wave barrier
	s_wait_dscnt 0x0
	s_barrier_signal -1
	s_barrier_wait -1
	ds_load_2addr_b32 v[8:9], v10 offset0:16 offset1:17
	ds_load_2addr_b32 v[6:7], v10 offset0:18 offset1:19
	ds_load_2addr_b32 v[2:3], v10 offset0:20 offset1:21
	ds_load_2addr_b32 v[0:1], v10 offset0:22 offset1:23
	ds_load_b32 v4, v10 offset:96
	v_min_u32_e32 v17, 0x1e0, v17
	s_mov_b32 s5, exec_lo
	s_delay_alu instid0(VALU_DEP_1) | instskip(SKIP_3) | instid1(VALU_DEP_1)
	v_or_b32_e32 v62, 31, v17
	s_wait_dscnt 0x3
	v_add3_u32 v59, v9, v8, v6
	s_wait_dscnt 0x2
	v_add3_u32 v59, v59, v7, v2
	s_wait_dscnt 0x1
	s_delay_alu instid0(VALU_DEP_1) | instskip(SKIP_1) | instid1(VALU_DEP_1)
	v_add3_u32 v59, v59, v3, v0
	s_wait_dscnt 0x0
	v_add3_u32 v4, v59, v1, v4
	v_and_b32_e32 v59, 15, v16
	s_delay_alu instid0(VALU_DEP_2) | instskip(NEXT) | instid1(VALU_DEP_2)
	v_mov_b32_dpp v60, v4 row_shr:1 row_mask:0xf bank_mask:0xf
	v_cmp_eq_u32_e32 vcc_lo, 0, v59
	v_cmp_lt_u32_e64 s0, 1, v59
	v_cmp_lt_u32_e64 s1, 3, v59
	;; [unrolled: 1-line block ×3, first 2 shown]
	v_cndmask_b32_e64 v60, v60, 0, vcc_lo
	s_delay_alu instid0(VALU_DEP_1) | instskip(NEXT) | instid1(VALU_DEP_1)
	v_add_nc_u32_e32 v4, v60, v4
	v_mov_b32_dpp v60, v4 row_shr:2 row_mask:0xf bank_mask:0xf
	s_delay_alu instid0(VALU_DEP_1) | instskip(NEXT) | instid1(VALU_DEP_1)
	v_cndmask_b32_e64 v60, 0, v60, s0
	v_add_nc_u32_e32 v4, v4, v60
	s_delay_alu instid0(VALU_DEP_1) | instskip(NEXT) | instid1(VALU_DEP_1)
	v_mov_b32_dpp v60, v4 row_shr:4 row_mask:0xf bank_mask:0xf
	v_cndmask_b32_e64 v60, 0, v60, s1
	s_delay_alu instid0(VALU_DEP_1) | instskip(NEXT) | instid1(VALU_DEP_1)
	v_add_nc_u32_e32 v4, v4, v60
	v_mov_b32_dpp v60, v4 row_shr:8 row_mask:0xf bank_mask:0xf
	s_delay_alu instid0(VALU_DEP_1) | instskip(SKIP_1) | instid1(VALU_DEP_2)
	v_cndmask_b32_e64 v59, 0, v60, s2
	v_bfe_i32 v60, v16, 4, 1
	v_add_nc_u32_e32 v4, v4, v59
	ds_swizzle_b32 v59, v4 offset:swizzle(BROADCAST,32,15)
	s_wait_dscnt 0x0
	v_dual_lshrrev_b32 v59, 5, v28 :: v_dual_bitop2_b32 v60, v60, v59 bitop3:0x40
	s_delay_alu instid0(VALU_DEP_1)
	v_add_nc_u32_e32 v17, v4, v60
	v_cmpx_eq_u32_e64 v28, v62
; %bb.116:
	s_delay_alu instid0(VALU_DEP_3)
	v_lshlrev_b32_e32 v4, 2, v59
	ds_store_b32 v4, v17
; %bb.117:
	s_or_b32 exec_lo, exec_lo, s5
	v_lshlrev_b32_e32 v4, 2, v28
	s_mov_b32 s5, exec_lo
	s_wait_dscnt 0x0
	s_barrier_signal -1
	s_barrier_wait -1
	v_cmpx_gt_u32_e32 16, v28
	s_cbranch_execz .LBB2762_119
; %bb.118:
	ds_load_b32 v60, v4
	s_wait_dscnt 0x0
	v_mov_b32_dpp v62, v60 row_shr:1 row_mask:0xf bank_mask:0xf
	s_delay_alu instid0(VALU_DEP_1) | instskip(NEXT) | instid1(VALU_DEP_1)
	v_cndmask_b32_e64 v62, v62, 0, vcc_lo
	v_add_nc_u32_e32 v60, v62, v60
	s_delay_alu instid0(VALU_DEP_1) | instskip(NEXT) | instid1(VALU_DEP_1)
	v_mov_b32_dpp v62, v60 row_shr:2 row_mask:0xf bank_mask:0xf
	v_cndmask_b32_e64 v62, 0, v62, s0
	s_delay_alu instid0(VALU_DEP_1) | instskip(NEXT) | instid1(VALU_DEP_1)
	v_add_nc_u32_e32 v60, v60, v62
	v_mov_b32_dpp v62, v60 row_shr:4 row_mask:0xf bank_mask:0xf
	s_delay_alu instid0(VALU_DEP_1) | instskip(NEXT) | instid1(VALU_DEP_1)
	v_cndmask_b32_e64 v62, 0, v62, s1
	v_add_nc_u32_e32 v60, v60, v62
	s_delay_alu instid0(VALU_DEP_1) | instskip(NEXT) | instid1(VALU_DEP_1)
	v_mov_b32_dpp v62, v60 row_shr:8 row_mask:0xf bank_mask:0xf
	v_cndmask_b32_e64 v62, 0, v62, s2
	s_delay_alu instid0(VALU_DEP_1)
	v_add_nc_u32_e32 v60, v60, v62
	ds_store_b32 v4, v60
.LBB2762_119:
	s_or_b32 exec_lo, exec_lo, s5
	v_mov_b32_e32 v60, 0
	s_mov_b32 s0, exec_lo
	s_wait_dscnt 0x0
	s_barrier_signal -1
	s_barrier_wait -1
	v_cmpx_lt_u32_e32 31, v28
; %bb.120:
	v_lshl_add_u32 v59, v59, 2, -4
	ds_load_b32 v60, v59
; %bb.121:
	s_or_b32 exec_lo, exec_lo, s0
	v_sub_co_u32 v59, vcc_lo, v16, 1
	s_wait_dscnt 0x0
	v_add_nc_u32_e32 v17, v60, v17
	s_delay_alu instid0(VALU_DEP_2) | instskip(NEXT) | instid1(VALU_DEP_1)
	v_cmp_gt_i32_e64 s0, 0, v59
	v_cndmask_b32_e64 v16, v59, v16, s0
	v_cmp_lt_u32_e64 s0, 0xff, v28
	s_delay_alu instid0(VALU_DEP_2) | instskip(SKIP_4) | instid1(VALU_DEP_2)
	v_lshlrev_b32_e32 v16, 2, v16
	ds_bpermute_b32 v16, v16, v17
	s_wait_dscnt 0x0
	v_cndmask_b32_e32 v16, v16, v60, vcc_lo
	v_cmp_ne_u32_e32 vcc_lo, 0, v28
	v_cndmask_b32_e32 v16, 0, v16, vcc_lo
	v_cmp_gt_u32_e32 vcc_lo, 0x100, v28
	s_delay_alu instid0(VALU_DEP_2) | instskip(NEXT) | instid1(VALU_DEP_1)
	v_add_nc_u32_e32 v8, v16, v8
	v_add_nc_u32_e32 v9, v8, v9
	s_delay_alu instid0(VALU_DEP_1) | instskip(NEXT) | instid1(VALU_DEP_1)
	v_add_nc_u32_e32 v6, v9, v6
	v_add_nc_u32_e32 v7, v6, v7
	s_delay_alu instid0(VALU_DEP_1) | instskip(NEXT) | instid1(VALU_DEP_1)
	;; [unrolled: 3-line block ×3, first 2 shown]
	v_add_nc_u32_e32 v0, v3, v0
	v_add_nc_u32_e32 v1, v0, v1
	ds_store_2addr_b32 v10, v16, v8 offset0:16 offset1:17
	ds_store_2addr_b32 v10, v9, v6 offset0:18 offset1:19
	;; [unrolled: 1-line block ×4, first 2 shown]
	ds_store_b32 v10, v1 offset:96
	s_wait_dscnt 0x0
	s_barrier_signal -1
	s_barrier_wait -1
	ds_load_b32 v59, v12 offset:64
	ds_load_b32 v60, v13 offset:64
	;; [unrolled: 1-line block ×12, first 2 shown]
	v_mov_b64_e32 v[0:1], 0
                                        ; implicit-def: $vgpr2
	s_and_saveexec_b32 s2, vcc_lo
	s_cbranch_execz .LBB2762_125
; %bb.122:
	v_mul_u32_u24_e32 v0, 0x44, v28
	v_dual_mov_b32 v1, 0x1800 :: v_dual_add_nc_u32 v2, 1, v28
	s_mov_b32 s3, exec_lo
	ds_load_b32 v0, v0 offset:64
	v_cmpx_ne_u32_e32 0x100, v2
; %bb.123:
	v_mul_u32_u24_e32 v1, 0x44, v2
	ds_load_b32 v1, v1 offset:64
; %bb.124:
	s_or_b32 exec_lo, exec_lo, s3
	s_wait_dscnt 0x0
	v_dual_mov_b32 v1, 0 :: v_dual_sub_nc_u32 v2, v1, v0
.LBB2762_125:
	s_or_b32 exec_lo, exec_lo, s2
	v_dual_mov_b32 v7, 0 :: v_dual_lshlrev_b32 v3, 3, v28
	s_wait_dscnt 0x0
	s_barrier_signal -1
	s_barrier_wait -1
	s_and_saveexec_b32 s1, vcc_lo
	s_cbranch_execz .LBB2762_135
; %bb.126:
	v_lshl_add_u32 v6, s9, 8, v28
	v_dual_mov_b32 v10, 0 :: v_dual_bitop2_b32 v11, 2.0, v2 bitop3:0x54
	s_mov_b32 s2, 0
	s_mov_b32 s3, s9
	s_delay_alu instid0(VALU_DEP_2)
	v_lshl_add_u64 v[8:9], v[6:7], 2, s[10:11]
	global_store_b32 v6, v11, s[10:11] scale_offset scope:SCOPE_DEV
                                        ; implicit-def: $sgpr5
	s_branch .LBB2762_129
.LBB2762_127:                           ;   in Loop: Header=BB2762_129 Depth=1
	s_or_b32 exec_lo, exec_lo, s6
.LBB2762_128:                           ;   in Loop: Header=BB2762_129 Depth=1
	s_delay_alu instid0(SALU_CYCLE_1) | instskip(SKIP_2) | instid1(VALU_DEP_2)
	s_or_b32 exec_lo, exec_lo, s5
	v_and_b32_e32 v6, 0x3fffffff, v11
	v_cmp_gt_i32_e64 s5, -2.0, v11
	v_add_nc_u32_e32 v10, v6, v10
	s_and_b32 s6, exec_lo, s5
	s_delay_alu instid0(SALU_CYCLE_1) | instskip(NEXT) | instid1(SALU_CYCLE_1)
	s_or_b32 s2, s6, s2
	s_and_not1_b32 exec_lo, exec_lo, s2
	s_cbranch_execz .LBB2762_134
.LBB2762_129:                           ; =>This Loop Header: Depth=1
                                        ;     Child Loop BB2762_132 Depth 2
	s_or_b32 s5, s5, exec_lo
	s_cmp_eq_u32 s3, 0
	s_cbranch_scc1 .LBB2762_133
; %bb.130:                              ;   in Loop: Header=BB2762_129 Depth=1
	s_add_co_i32 s3, s3, -1
	s_mov_b32 s5, exec_lo
	s_wait_xcnt 0x0
	v_lshl_or_b32 v6, s3, 8, v28
	global_load_b32 v11, v6, s[10:11] scale_offset scope:SCOPE_DEV
	s_wait_loadcnt 0x0
	v_cmpx_gt_u32_e32 2.0, v11
	s_cbranch_execz .LBB2762_128
; %bb.131:                              ;   in Loop: Header=BB2762_129 Depth=1
	v_lshl_add_u64 v[12:13], v[6:7], 2, s[10:11]
	s_mov_b32 s6, 0
.LBB2762_132:                           ;   Parent Loop BB2762_129 Depth=1
                                        ; =>  This Inner Loop Header: Depth=2
	global_load_b32 v11, v[12:13], off scope:SCOPE_DEV
	s_wait_loadcnt 0x0
	v_cmp_lt_u32_e32 vcc_lo, 0x3fffffff, v11
	s_or_b32 s6, vcc_lo, s6
	s_wait_xcnt 0x0
	s_and_not1_b32 exec_lo, exec_lo, s6
	s_cbranch_execnz .LBB2762_132
	s_branch .LBB2762_127
.LBB2762_133:                           ;   in Loop: Header=BB2762_129 Depth=1
                                        ; implicit-def: $sgpr3
	s_and_b32 s6, exec_lo, s5
	s_delay_alu instid0(SALU_CYCLE_1)
	s_or_b32 s2, s6, s2
	s_wait_xcnt 0x0
	s_and_not1_b32 exec_lo, exec_lo, s2
	s_cbranch_execnz .LBB2762_129
.LBB2762_134:
	s_or_b32 exec_lo, exec_lo, s2
	v_dual_mov_b32 v11, 0 :: v_dual_add_nc_u32 v6, v10, v2
	s_delay_alu instid0(VALU_DEP_1) | instskip(SKIP_4) | instid1(VALU_DEP_1)
	v_or_b32_e32 v6, 0x80000000, v6
	global_store_b32 v[8:9], v6, off scope:SCOPE_DEV
	global_load_b64 v[6:7], v28, s[12:13] scale_offset
	v_sub_nc_u64_e32 v[8:9], v[10:11], v[0:1]
	s_wait_loadcnt 0x0
	v_add_nc_u64_e32 v[6:7], v[8:9], v[6:7]
	ds_store_b64 v3, v[6:7]
.LBB2762_135:
	s_wait_xcnt 0x0
	s_or_b32 exec_lo, exec_lo, s1
	v_dual_add_nc_u32 v6, v62, v5 :: v_dual_sub_nc_u32 v58, 0, v4
	v_mov_b32_e32 v5, 0
	v_add3_u32 v29, v30, v59, v29
	v_add3_u32 v7, v57, v55, v56
	;; [unrolled: 1-line block ×3, first 2 shown]
	v_add_nc_u32_e32 v30, v3, v58
	v_add_nc_u64_e32 v[4:5], s[18:19], v[4:5]
	v_add3_u32 v9, v51, v49, v50
	v_add3_u32 v10, v48, v46, v47
	;; [unrolled: 1-line block ×6, first 2 shown]
	v_add_nc_u64_e32 v[4:5], 0x2000, v[4:5]
	v_add3_u32 v17, v34, v17, v33
	v_add3_u32 v31, v32, v60, v31
	v_mov_b32_e32 v32, v28
	s_mov_b32 s1, 0
	s_mov_b32 s2, -1
	s_branch .LBB2762_137
.LBB2762_136:                           ;   in Loop: Header=BB2762_137 Depth=1
	s_wait_xcnt 0x0
	s_or_b32 exec_lo, exec_lo, s3
	v_add_nc_u64_e32 v[4:5], 0x4000, v[4:5]
	v_add_nc_u32_e32 v32, 0x1000, v32
	s_xor_b32 s2, s2, -1
	s_addk_co_i32 s1, 0xf000
	s_and_b32 vcc_lo, exec_lo, s2
	s_mov_b32 s2, 0
	s_wait_storecnt 0x0
	s_barrier_signal -1
	s_barrier_wait -1
	s_cbranch_vccnz .LBB2762_147
.LBB2762_137:                           ; =>This Inner Loop Header: Depth=1
	v_add_min_u32_e64 v33, v6, s1, 0x1000
	v_add_min_u32_e64 v34, v29, s1, 0x1000
	;; [unrolled: 1-line block ×5, first 2 shown]
	s_delay_alu instid0(VALU_DEP_4)
	v_dual_lshlrev_b32 v33, 2, v33 :: v_dual_lshlrev_b32 v34, 2, v34
	v_add_min_u32_e64 v38, v13, s1, 0x1000
	v_add_min_u32_e64 v39, v12, s1, 0x1000
	s_mov_b32 s3, exec_lo
	ds_store_b32 v33, v14 offset:2048
	ds_store_b32 v34, v15 offset:2048
	v_dual_lshlrev_b32 v33, 2, v35 :: v_dual_lshlrev_b32 v34, 2, v36
	v_dual_lshlrev_b32 v35, 2, v37 :: v_dual_lshlrev_b32 v36, 2, v38
	v_lshlrev_b32_e32 v37, 2, v39
	ds_store_b32 v33, v18 offset:2048
	ds_store_b32 v34, v19 offset:2048
	;; [unrolled: 1-line block ×5, first 2 shown]
	v_add_min_u32_e64 v33, v11, s1, 0x1000
	v_add_min_u32_e64 v34, v10, s1, 0x1000
	;; [unrolled: 1-line block ×5, first 2 shown]
	s_delay_alu instid0(VALU_DEP_4) | instskip(NEXT) | instid1(VALU_DEP_3)
	v_dual_lshlrev_b32 v33, 2, v33 :: v_dual_lshlrev_b32 v34, 2, v34
	v_dual_lshlrev_b32 v35, 2, v35 :: v_dual_lshlrev_b32 v36, 2, v36
	s_delay_alu instid0(VALU_DEP_3)
	v_lshlrev_b32_e32 v37, 2, v37
	ds_store_b32 v33, v23 offset:2048
	ds_store_b32 v34, v24 offset:2048
	;; [unrolled: 1-line block ×5, first 2 shown]
	s_wait_storecnt_dscnt 0x0
	s_barrier_signal -1
	s_barrier_wait -1
	ds_load_2addr_stride64_b32 v[34:35], v30 offset0:8 offset1:16
	s_wait_dscnt 0x0
	v_dual_lshrrev_b32 v33, s20, v35 :: v_dual_lshrrev_b32 v38, s20, v34
	s_delay_alu instid0(VALU_DEP_1) | instskip(NEXT) | instid1(VALU_DEP_1)
	v_and_b32_e32 v38, s4, v38
	v_dual_lshlrev_b32 v38, 3, v38 :: v_dual_bitop2_b32 v33, s4, v33 bitop3:0x40
	s_delay_alu instid0(VALU_DEP_1)
	v_lshlrev_b32_e32 v33, 3, v33
	ds_load_b64 v[36:37], v33
	ds_load_b32 v33, v30 offset:6144
	s_wait_dscnt 0x1
	v_lshl_add_u64 v[36:37], v[36:37], 2, v[4:5]
	s_wait_dscnt 0x0
	v_lshrrev_b32_e32 v39, s20, v33
	s_delay_alu instid0(VALU_DEP_1) | instskip(NEXT) | instid1(VALU_DEP_1)
	v_and_b32_e32 v39, s4, v39
	v_lshlrev_b32_e32 v40, 3, v39
	ds_load_b64 v[38:39], v38
	ds_load_b64 v[40:41], v40
	s_wait_dscnt 0x1
	v_lshl_add_u64 v[38:39], v[38:39], 2, v[4:5]
	s_wait_dscnt 0x0
	v_lshl_add_u64 v[40:41], v[40:41], 2, v[4:5]
	s_clause 0x2
	global_store_b32 v[38:39], v34, off offset:-8192
	global_store_b32 v[36:37], v35, off offset:-6144
	;; [unrolled: 1-line block ×3, first 2 shown]
	s_wait_xcnt 0x0
	v_cmpx_gt_u32_e32 0x1200, v32
	s_cbranch_execz .LBB2762_139
; %bb.138:                              ;   in Loop: Header=BB2762_137 Depth=1
	ds_load_b32 v33, v30 offset:8192
	s_wait_dscnt 0x0
	v_lshrrev_b32_e32 v34, s20, v33
	s_delay_alu instid0(VALU_DEP_1) | instskip(NEXT) | instid1(VALU_DEP_1)
	v_and_b32_e32 v34, s4, v34
	v_lshlrev_b32_e32 v34, 3, v34
	ds_load_b64 v[34:35], v34
	s_wait_dscnt 0x0
	v_lshl_add_u64 v[34:35], v[34:35], 2, v[4:5]
	global_store_b32 v[34:35], v33, off offset:-2048
.LBB2762_139:                           ;   in Loop: Header=BB2762_137 Depth=1
	s_wait_xcnt 0x0
	s_or_b32 exec_lo, exec_lo, s3
	v_add_nc_u32_e32 v33, 0x800, v32
	s_mov_b32 s3, exec_lo
	s_delay_alu instid0(VALU_DEP_1)
	v_cmpx_gt_u32_e32 0x1800, v33
	s_cbranch_execz .LBB2762_141
; %bb.140:                              ;   in Loop: Header=BB2762_137 Depth=1
	ds_load_b32 v33, v30 offset:10240
	s_wait_dscnt 0x0
	v_lshrrev_b32_e32 v34, s20, v33
	s_delay_alu instid0(VALU_DEP_1) | instskip(NEXT) | instid1(VALU_DEP_1)
	v_and_b32_e32 v34, s4, v34
	v_lshlrev_b32_e32 v34, 3, v34
	ds_load_b64 v[34:35], v34
	s_wait_dscnt 0x0
	v_lshl_add_u64 v[34:35], v[34:35], 2, v[4:5]
	global_store_b32 v[34:35], v33, off
.LBB2762_141:                           ;   in Loop: Header=BB2762_137 Depth=1
	s_wait_xcnt 0x0
	s_or_b32 exec_lo, exec_lo, s3
	s_delay_alu instid0(SALU_CYCLE_1)
	s_mov_b32 s3, exec_lo
	v_cmpx_gt_u32_e32 0xe00, v32
	s_cbranch_execz .LBB2762_143
; %bb.142:                              ;   in Loop: Header=BB2762_137 Depth=1
	ds_load_b32 v33, v30 offset:12288
	s_wait_dscnt 0x0
	v_lshrrev_b32_e32 v34, s20, v33
	s_delay_alu instid0(VALU_DEP_1) | instskip(NEXT) | instid1(VALU_DEP_1)
	v_and_b32_e32 v34, s4, v34
	v_lshlrev_b32_e32 v34, 3, v34
	ds_load_b64 v[34:35], v34
	s_wait_dscnt 0x0
	v_lshl_add_u64 v[34:35], v[34:35], 2, v[4:5]
	global_store_b32 v[34:35], v33, off offset:2048
.LBB2762_143:                           ;   in Loop: Header=BB2762_137 Depth=1
	s_wait_xcnt 0x0
	s_or_b32 exec_lo, exec_lo, s3
	v_add_nc_u32_e32 v33, 0xc00, v32
	s_mov_b32 s3, exec_lo
	s_delay_alu instid0(VALU_DEP_1)
	v_cmpx_gt_u32_e32 0x1800, v33
	s_cbranch_execz .LBB2762_145
; %bb.144:                              ;   in Loop: Header=BB2762_137 Depth=1
	ds_load_b32 v33, v30 offset:14336
	s_wait_dscnt 0x0
	v_lshrrev_b32_e32 v34, s20, v33
	s_delay_alu instid0(VALU_DEP_1) | instskip(NEXT) | instid1(VALU_DEP_1)
	v_and_b32_e32 v34, s4, v34
	v_lshlrev_b32_e32 v34, 3, v34
	ds_load_b64 v[34:35], v34
	s_wait_dscnt 0x0
	v_lshl_add_u64 v[34:35], v[34:35], 2, v[4:5]
	global_store_b32 v[34:35], v33, off offset:4096
.LBB2762_145:                           ;   in Loop: Header=BB2762_137 Depth=1
	s_wait_xcnt 0x0
	s_or_b32 exec_lo, exec_lo, s3
	s_delay_alu instid0(SALU_CYCLE_1)
	s_mov_b32 s3, exec_lo
	v_cmpx_gt_u32_e32 0xa00, v32
	s_cbranch_execz .LBB2762_136
; %bb.146:                              ;   in Loop: Header=BB2762_137 Depth=1
	ds_load_b32 v33, v30 offset:16384
	s_wait_dscnt 0x0
	v_lshrrev_b32_e32 v34, s20, v33
	s_delay_alu instid0(VALU_DEP_1) | instskip(NEXT) | instid1(VALU_DEP_1)
	v_and_b32_e32 v34, s4, v34
	v_lshlrev_b32_e32 v34, 3, v34
	ds_load_b64 v[34:35], v34
	s_wait_dscnt 0x0
	v_lshl_add_u64 v[34:35], v[34:35], 2, v[4:5]
	global_store_b32 v[34:35], v33, off offset:6144
	s_branch .LBB2762_136
.LBB2762_147:
	s_add_co_i32 s7, s7, -1
	s_delay_alu instid0(SALU_CYCLE_1) | instskip(SKIP_2) | instid1(SALU_CYCLE_1)
	s_cmp_eq_u32 s9, s7
	s_cselect_b32 s1, -1, 0
	s_xor_b32 s0, s0, -1
	s_and_b32 s0, s0, s1
	s_delay_alu instid0(SALU_CYCLE_1)
	s_and_saveexec_b32 s1, s0
	s_cbranch_execz .LBB2762_149
; %bb.148:
	ds_load_b64 v[4:5], v3
	v_mov_b32_e32 v3, 0
	s_delay_alu instid0(VALU_DEP_1) | instskip(SKIP_1) | instid1(VALU_DEP_1)
	v_add_nc_u64_e32 v[0:1], v[0:1], v[2:3]
	s_wait_dscnt 0x0
	v_add_nc_u64_e32 v[0:1], v[0:1], v[4:5]
	global_store_b64 v28, v[0:1], s[14:15] scale_offset
.LBB2762_149:
	s_sendmsg sendmsg(MSG_DEALLOC_VGPRS)
	s_endpgm
	.section	.rodata,"a",@progbits
	.p2align	6, 0x0
	.amdhsa_kernel _ZN7rocprim17ROCPRIM_400000_NS6detail17trampoline_kernelINS0_14default_configENS1_35radix_sort_onesweep_config_selectorIjNS0_10empty_typeEEEZZNS1_29radix_sort_onesweep_iterationIS3_Lb0EPKjPjPS5_SB_mNS0_19identity_decomposerENS1_16block_id_wrapperIjLb0EEEEE10hipError_tT1_PNSt15iterator_traitsISG_E10value_typeET2_T3_PNSH_ISM_E10value_typeET4_T5_PSR_SS_PNS1_23onesweep_lookback_stateEbbT6_jjT7_P12ihipStream_tbENKUlT_T0_SG_SL_E_clIS9_SA_SB_SB_EEDaSZ_S10_SG_SL_EUlSZ_E_NS1_11comp_targetILNS1_3genE0ELNS1_11target_archE4294967295ELNS1_3gpuE0ELNS1_3repE0EEENS1_47radix_sort_onesweep_sort_config_static_selectorELNS0_4arch9wavefront6targetE0EEEvSG_
		.amdhsa_group_segment_fixed_size 18504
		.amdhsa_private_segment_fixed_size 0
		.amdhsa_kernarg_size 344
		.amdhsa_user_sgpr_count 2
		.amdhsa_user_sgpr_dispatch_ptr 0
		.amdhsa_user_sgpr_queue_ptr 0
		.amdhsa_user_sgpr_kernarg_segment_ptr 1
		.amdhsa_user_sgpr_dispatch_id 0
		.amdhsa_user_sgpr_kernarg_preload_length 0
		.amdhsa_user_sgpr_kernarg_preload_offset 0
		.amdhsa_user_sgpr_private_segment_size 0
		.amdhsa_wavefront_size32 1
		.amdhsa_uses_dynamic_stack 0
		.amdhsa_enable_private_segment 0
		.amdhsa_system_sgpr_workgroup_id_x 1
		.amdhsa_system_sgpr_workgroup_id_y 0
		.amdhsa_system_sgpr_workgroup_id_z 0
		.amdhsa_system_sgpr_workgroup_info 0
		.amdhsa_system_vgpr_workitem_id 2
		.amdhsa_next_free_vgpr 65
		.amdhsa_next_free_sgpr 29
		.amdhsa_named_barrier_count 0
		.amdhsa_reserve_vcc 1
		.amdhsa_float_round_mode_32 0
		.amdhsa_float_round_mode_16_64 0
		.amdhsa_float_denorm_mode_32 3
		.amdhsa_float_denorm_mode_16_64 3
		.amdhsa_fp16_overflow 0
		.amdhsa_memory_ordered 1
		.amdhsa_forward_progress 1
		.amdhsa_inst_pref_size 118
		.amdhsa_round_robin_scheduling 0
		.amdhsa_exception_fp_ieee_invalid_op 0
		.amdhsa_exception_fp_denorm_src 0
		.amdhsa_exception_fp_ieee_div_zero 0
		.amdhsa_exception_fp_ieee_overflow 0
		.amdhsa_exception_fp_ieee_underflow 0
		.amdhsa_exception_fp_ieee_inexact 0
		.amdhsa_exception_int_div_zero 0
	.end_amdhsa_kernel
	.section	.text._ZN7rocprim17ROCPRIM_400000_NS6detail17trampoline_kernelINS0_14default_configENS1_35radix_sort_onesweep_config_selectorIjNS0_10empty_typeEEEZZNS1_29radix_sort_onesweep_iterationIS3_Lb0EPKjPjPS5_SB_mNS0_19identity_decomposerENS1_16block_id_wrapperIjLb0EEEEE10hipError_tT1_PNSt15iterator_traitsISG_E10value_typeET2_T3_PNSH_ISM_E10value_typeET4_T5_PSR_SS_PNS1_23onesweep_lookback_stateEbbT6_jjT7_P12ihipStream_tbENKUlT_T0_SG_SL_E_clIS9_SA_SB_SB_EEDaSZ_S10_SG_SL_EUlSZ_E_NS1_11comp_targetILNS1_3genE0ELNS1_11target_archE4294967295ELNS1_3gpuE0ELNS1_3repE0EEENS1_47radix_sort_onesweep_sort_config_static_selectorELNS0_4arch9wavefront6targetE0EEEvSG_,"axG",@progbits,_ZN7rocprim17ROCPRIM_400000_NS6detail17trampoline_kernelINS0_14default_configENS1_35radix_sort_onesweep_config_selectorIjNS0_10empty_typeEEEZZNS1_29radix_sort_onesweep_iterationIS3_Lb0EPKjPjPS5_SB_mNS0_19identity_decomposerENS1_16block_id_wrapperIjLb0EEEEE10hipError_tT1_PNSt15iterator_traitsISG_E10value_typeET2_T3_PNSH_ISM_E10value_typeET4_T5_PSR_SS_PNS1_23onesweep_lookback_stateEbbT6_jjT7_P12ihipStream_tbENKUlT_T0_SG_SL_E_clIS9_SA_SB_SB_EEDaSZ_S10_SG_SL_EUlSZ_E_NS1_11comp_targetILNS1_3genE0ELNS1_11target_archE4294967295ELNS1_3gpuE0ELNS1_3repE0EEENS1_47radix_sort_onesweep_sort_config_static_selectorELNS0_4arch9wavefront6targetE0EEEvSG_,comdat
.Lfunc_end2762:
	.size	_ZN7rocprim17ROCPRIM_400000_NS6detail17trampoline_kernelINS0_14default_configENS1_35radix_sort_onesweep_config_selectorIjNS0_10empty_typeEEEZZNS1_29radix_sort_onesweep_iterationIS3_Lb0EPKjPjPS5_SB_mNS0_19identity_decomposerENS1_16block_id_wrapperIjLb0EEEEE10hipError_tT1_PNSt15iterator_traitsISG_E10value_typeET2_T3_PNSH_ISM_E10value_typeET4_T5_PSR_SS_PNS1_23onesweep_lookback_stateEbbT6_jjT7_P12ihipStream_tbENKUlT_T0_SG_SL_E_clIS9_SA_SB_SB_EEDaSZ_S10_SG_SL_EUlSZ_E_NS1_11comp_targetILNS1_3genE0ELNS1_11target_archE4294967295ELNS1_3gpuE0ELNS1_3repE0EEENS1_47radix_sort_onesweep_sort_config_static_selectorELNS0_4arch9wavefront6targetE0EEEvSG_, .Lfunc_end2762-_ZN7rocprim17ROCPRIM_400000_NS6detail17trampoline_kernelINS0_14default_configENS1_35radix_sort_onesweep_config_selectorIjNS0_10empty_typeEEEZZNS1_29radix_sort_onesweep_iterationIS3_Lb0EPKjPjPS5_SB_mNS0_19identity_decomposerENS1_16block_id_wrapperIjLb0EEEEE10hipError_tT1_PNSt15iterator_traitsISG_E10value_typeET2_T3_PNSH_ISM_E10value_typeET4_T5_PSR_SS_PNS1_23onesweep_lookback_stateEbbT6_jjT7_P12ihipStream_tbENKUlT_T0_SG_SL_E_clIS9_SA_SB_SB_EEDaSZ_S10_SG_SL_EUlSZ_E_NS1_11comp_targetILNS1_3genE0ELNS1_11target_archE4294967295ELNS1_3gpuE0ELNS1_3repE0EEENS1_47radix_sort_onesweep_sort_config_static_selectorELNS0_4arch9wavefront6targetE0EEEvSG_
                                        ; -- End function
	.set _ZN7rocprim17ROCPRIM_400000_NS6detail17trampoline_kernelINS0_14default_configENS1_35radix_sort_onesweep_config_selectorIjNS0_10empty_typeEEEZZNS1_29radix_sort_onesweep_iterationIS3_Lb0EPKjPjPS5_SB_mNS0_19identity_decomposerENS1_16block_id_wrapperIjLb0EEEEE10hipError_tT1_PNSt15iterator_traitsISG_E10value_typeET2_T3_PNSH_ISM_E10value_typeET4_T5_PSR_SS_PNS1_23onesweep_lookback_stateEbbT6_jjT7_P12ihipStream_tbENKUlT_T0_SG_SL_E_clIS9_SA_SB_SB_EEDaSZ_S10_SG_SL_EUlSZ_E_NS1_11comp_targetILNS1_3genE0ELNS1_11target_archE4294967295ELNS1_3gpuE0ELNS1_3repE0EEENS1_47radix_sort_onesweep_sort_config_static_selectorELNS0_4arch9wavefront6targetE0EEEvSG_.num_vgpr, 65
	.set _ZN7rocprim17ROCPRIM_400000_NS6detail17trampoline_kernelINS0_14default_configENS1_35radix_sort_onesweep_config_selectorIjNS0_10empty_typeEEEZZNS1_29radix_sort_onesweep_iterationIS3_Lb0EPKjPjPS5_SB_mNS0_19identity_decomposerENS1_16block_id_wrapperIjLb0EEEEE10hipError_tT1_PNSt15iterator_traitsISG_E10value_typeET2_T3_PNSH_ISM_E10value_typeET4_T5_PSR_SS_PNS1_23onesweep_lookback_stateEbbT6_jjT7_P12ihipStream_tbENKUlT_T0_SG_SL_E_clIS9_SA_SB_SB_EEDaSZ_S10_SG_SL_EUlSZ_E_NS1_11comp_targetILNS1_3genE0ELNS1_11target_archE4294967295ELNS1_3gpuE0ELNS1_3repE0EEENS1_47radix_sort_onesweep_sort_config_static_selectorELNS0_4arch9wavefront6targetE0EEEvSG_.num_agpr, 0
	.set _ZN7rocprim17ROCPRIM_400000_NS6detail17trampoline_kernelINS0_14default_configENS1_35radix_sort_onesweep_config_selectorIjNS0_10empty_typeEEEZZNS1_29radix_sort_onesweep_iterationIS3_Lb0EPKjPjPS5_SB_mNS0_19identity_decomposerENS1_16block_id_wrapperIjLb0EEEEE10hipError_tT1_PNSt15iterator_traitsISG_E10value_typeET2_T3_PNSH_ISM_E10value_typeET4_T5_PSR_SS_PNS1_23onesweep_lookback_stateEbbT6_jjT7_P12ihipStream_tbENKUlT_T0_SG_SL_E_clIS9_SA_SB_SB_EEDaSZ_S10_SG_SL_EUlSZ_E_NS1_11comp_targetILNS1_3genE0ELNS1_11target_archE4294967295ELNS1_3gpuE0ELNS1_3repE0EEENS1_47radix_sort_onesweep_sort_config_static_selectorELNS0_4arch9wavefront6targetE0EEEvSG_.numbered_sgpr, 29
	.set _ZN7rocprim17ROCPRIM_400000_NS6detail17trampoline_kernelINS0_14default_configENS1_35radix_sort_onesweep_config_selectorIjNS0_10empty_typeEEEZZNS1_29radix_sort_onesweep_iterationIS3_Lb0EPKjPjPS5_SB_mNS0_19identity_decomposerENS1_16block_id_wrapperIjLb0EEEEE10hipError_tT1_PNSt15iterator_traitsISG_E10value_typeET2_T3_PNSH_ISM_E10value_typeET4_T5_PSR_SS_PNS1_23onesweep_lookback_stateEbbT6_jjT7_P12ihipStream_tbENKUlT_T0_SG_SL_E_clIS9_SA_SB_SB_EEDaSZ_S10_SG_SL_EUlSZ_E_NS1_11comp_targetILNS1_3genE0ELNS1_11target_archE4294967295ELNS1_3gpuE0ELNS1_3repE0EEENS1_47radix_sort_onesweep_sort_config_static_selectorELNS0_4arch9wavefront6targetE0EEEvSG_.num_named_barrier, 0
	.set _ZN7rocprim17ROCPRIM_400000_NS6detail17trampoline_kernelINS0_14default_configENS1_35radix_sort_onesweep_config_selectorIjNS0_10empty_typeEEEZZNS1_29radix_sort_onesweep_iterationIS3_Lb0EPKjPjPS5_SB_mNS0_19identity_decomposerENS1_16block_id_wrapperIjLb0EEEEE10hipError_tT1_PNSt15iterator_traitsISG_E10value_typeET2_T3_PNSH_ISM_E10value_typeET4_T5_PSR_SS_PNS1_23onesweep_lookback_stateEbbT6_jjT7_P12ihipStream_tbENKUlT_T0_SG_SL_E_clIS9_SA_SB_SB_EEDaSZ_S10_SG_SL_EUlSZ_E_NS1_11comp_targetILNS1_3genE0ELNS1_11target_archE4294967295ELNS1_3gpuE0ELNS1_3repE0EEENS1_47radix_sort_onesweep_sort_config_static_selectorELNS0_4arch9wavefront6targetE0EEEvSG_.private_seg_size, 0
	.set _ZN7rocprim17ROCPRIM_400000_NS6detail17trampoline_kernelINS0_14default_configENS1_35radix_sort_onesweep_config_selectorIjNS0_10empty_typeEEEZZNS1_29radix_sort_onesweep_iterationIS3_Lb0EPKjPjPS5_SB_mNS0_19identity_decomposerENS1_16block_id_wrapperIjLb0EEEEE10hipError_tT1_PNSt15iterator_traitsISG_E10value_typeET2_T3_PNSH_ISM_E10value_typeET4_T5_PSR_SS_PNS1_23onesweep_lookback_stateEbbT6_jjT7_P12ihipStream_tbENKUlT_T0_SG_SL_E_clIS9_SA_SB_SB_EEDaSZ_S10_SG_SL_EUlSZ_E_NS1_11comp_targetILNS1_3genE0ELNS1_11target_archE4294967295ELNS1_3gpuE0ELNS1_3repE0EEENS1_47radix_sort_onesweep_sort_config_static_selectorELNS0_4arch9wavefront6targetE0EEEvSG_.uses_vcc, 1
	.set _ZN7rocprim17ROCPRIM_400000_NS6detail17trampoline_kernelINS0_14default_configENS1_35radix_sort_onesweep_config_selectorIjNS0_10empty_typeEEEZZNS1_29radix_sort_onesweep_iterationIS3_Lb0EPKjPjPS5_SB_mNS0_19identity_decomposerENS1_16block_id_wrapperIjLb0EEEEE10hipError_tT1_PNSt15iterator_traitsISG_E10value_typeET2_T3_PNSH_ISM_E10value_typeET4_T5_PSR_SS_PNS1_23onesweep_lookback_stateEbbT6_jjT7_P12ihipStream_tbENKUlT_T0_SG_SL_E_clIS9_SA_SB_SB_EEDaSZ_S10_SG_SL_EUlSZ_E_NS1_11comp_targetILNS1_3genE0ELNS1_11target_archE4294967295ELNS1_3gpuE0ELNS1_3repE0EEENS1_47radix_sort_onesweep_sort_config_static_selectorELNS0_4arch9wavefront6targetE0EEEvSG_.uses_flat_scratch, 0
	.set _ZN7rocprim17ROCPRIM_400000_NS6detail17trampoline_kernelINS0_14default_configENS1_35radix_sort_onesweep_config_selectorIjNS0_10empty_typeEEEZZNS1_29radix_sort_onesweep_iterationIS3_Lb0EPKjPjPS5_SB_mNS0_19identity_decomposerENS1_16block_id_wrapperIjLb0EEEEE10hipError_tT1_PNSt15iterator_traitsISG_E10value_typeET2_T3_PNSH_ISM_E10value_typeET4_T5_PSR_SS_PNS1_23onesweep_lookback_stateEbbT6_jjT7_P12ihipStream_tbENKUlT_T0_SG_SL_E_clIS9_SA_SB_SB_EEDaSZ_S10_SG_SL_EUlSZ_E_NS1_11comp_targetILNS1_3genE0ELNS1_11target_archE4294967295ELNS1_3gpuE0ELNS1_3repE0EEENS1_47radix_sort_onesweep_sort_config_static_selectorELNS0_4arch9wavefront6targetE0EEEvSG_.has_dyn_sized_stack, 0
	.set _ZN7rocprim17ROCPRIM_400000_NS6detail17trampoline_kernelINS0_14default_configENS1_35radix_sort_onesweep_config_selectorIjNS0_10empty_typeEEEZZNS1_29radix_sort_onesweep_iterationIS3_Lb0EPKjPjPS5_SB_mNS0_19identity_decomposerENS1_16block_id_wrapperIjLb0EEEEE10hipError_tT1_PNSt15iterator_traitsISG_E10value_typeET2_T3_PNSH_ISM_E10value_typeET4_T5_PSR_SS_PNS1_23onesweep_lookback_stateEbbT6_jjT7_P12ihipStream_tbENKUlT_T0_SG_SL_E_clIS9_SA_SB_SB_EEDaSZ_S10_SG_SL_EUlSZ_E_NS1_11comp_targetILNS1_3genE0ELNS1_11target_archE4294967295ELNS1_3gpuE0ELNS1_3repE0EEENS1_47radix_sort_onesweep_sort_config_static_selectorELNS0_4arch9wavefront6targetE0EEEvSG_.has_recursion, 0
	.set _ZN7rocprim17ROCPRIM_400000_NS6detail17trampoline_kernelINS0_14default_configENS1_35radix_sort_onesweep_config_selectorIjNS0_10empty_typeEEEZZNS1_29radix_sort_onesweep_iterationIS3_Lb0EPKjPjPS5_SB_mNS0_19identity_decomposerENS1_16block_id_wrapperIjLb0EEEEE10hipError_tT1_PNSt15iterator_traitsISG_E10value_typeET2_T3_PNSH_ISM_E10value_typeET4_T5_PSR_SS_PNS1_23onesweep_lookback_stateEbbT6_jjT7_P12ihipStream_tbENKUlT_T0_SG_SL_E_clIS9_SA_SB_SB_EEDaSZ_S10_SG_SL_EUlSZ_E_NS1_11comp_targetILNS1_3genE0ELNS1_11target_archE4294967295ELNS1_3gpuE0ELNS1_3repE0EEENS1_47radix_sort_onesweep_sort_config_static_selectorELNS0_4arch9wavefront6targetE0EEEvSG_.has_indirect_call, 0
	.section	.AMDGPU.csdata,"",@progbits
; Kernel info:
; codeLenInByte = 15076
; TotalNumSgprs: 31
; NumVgprs: 65
; ScratchSize: 0
; MemoryBound: 0
; FloatMode: 240
; IeeeMode: 1
; LDSByteSize: 18504 bytes/workgroup (compile time only)
; SGPRBlocks: 0
; VGPRBlocks: 4
; NumSGPRsForWavesPerEU: 31
; NumVGPRsForWavesPerEU: 65
; NamedBarCnt: 0
; Occupancy: 12
; WaveLimiterHint : 1
; COMPUTE_PGM_RSRC2:SCRATCH_EN: 0
; COMPUTE_PGM_RSRC2:USER_SGPR: 2
; COMPUTE_PGM_RSRC2:TRAP_HANDLER: 0
; COMPUTE_PGM_RSRC2:TGID_X_EN: 1
; COMPUTE_PGM_RSRC2:TGID_Y_EN: 0
; COMPUTE_PGM_RSRC2:TGID_Z_EN: 0
; COMPUTE_PGM_RSRC2:TIDIG_COMP_CNT: 2
	.section	.text._ZN7rocprim17ROCPRIM_400000_NS6detail17trampoline_kernelINS0_14default_configENS1_35radix_sort_onesweep_config_selectorIjNS0_10empty_typeEEEZZNS1_29radix_sort_onesweep_iterationIS3_Lb0EPKjPjPS5_SB_mNS0_19identity_decomposerENS1_16block_id_wrapperIjLb0EEEEE10hipError_tT1_PNSt15iterator_traitsISG_E10value_typeET2_T3_PNSH_ISM_E10value_typeET4_T5_PSR_SS_PNS1_23onesweep_lookback_stateEbbT6_jjT7_P12ihipStream_tbENKUlT_T0_SG_SL_E_clIS9_SA_SB_SB_EEDaSZ_S10_SG_SL_EUlSZ_E_NS1_11comp_targetILNS1_3genE6ELNS1_11target_archE950ELNS1_3gpuE13ELNS1_3repE0EEENS1_47radix_sort_onesweep_sort_config_static_selectorELNS0_4arch9wavefront6targetE0EEEvSG_,"axG",@progbits,_ZN7rocprim17ROCPRIM_400000_NS6detail17trampoline_kernelINS0_14default_configENS1_35radix_sort_onesweep_config_selectorIjNS0_10empty_typeEEEZZNS1_29radix_sort_onesweep_iterationIS3_Lb0EPKjPjPS5_SB_mNS0_19identity_decomposerENS1_16block_id_wrapperIjLb0EEEEE10hipError_tT1_PNSt15iterator_traitsISG_E10value_typeET2_T3_PNSH_ISM_E10value_typeET4_T5_PSR_SS_PNS1_23onesweep_lookback_stateEbbT6_jjT7_P12ihipStream_tbENKUlT_T0_SG_SL_E_clIS9_SA_SB_SB_EEDaSZ_S10_SG_SL_EUlSZ_E_NS1_11comp_targetILNS1_3genE6ELNS1_11target_archE950ELNS1_3gpuE13ELNS1_3repE0EEENS1_47radix_sort_onesweep_sort_config_static_selectorELNS0_4arch9wavefront6targetE0EEEvSG_,comdat
	.protected	_ZN7rocprim17ROCPRIM_400000_NS6detail17trampoline_kernelINS0_14default_configENS1_35radix_sort_onesweep_config_selectorIjNS0_10empty_typeEEEZZNS1_29radix_sort_onesweep_iterationIS3_Lb0EPKjPjPS5_SB_mNS0_19identity_decomposerENS1_16block_id_wrapperIjLb0EEEEE10hipError_tT1_PNSt15iterator_traitsISG_E10value_typeET2_T3_PNSH_ISM_E10value_typeET4_T5_PSR_SS_PNS1_23onesweep_lookback_stateEbbT6_jjT7_P12ihipStream_tbENKUlT_T0_SG_SL_E_clIS9_SA_SB_SB_EEDaSZ_S10_SG_SL_EUlSZ_E_NS1_11comp_targetILNS1_3genE6ELNS1_11target_archE950ELNS1_3gpuE13ELNS1_3repE0EEENS1_47radix_sort_onesweep_sort_config_static_selectorELNS0_4arch9wavefront6targetE0EEEvSG_ ; -- Begin function _ZN7rocprim17ROCPRIM_400000_NS6detail17trampoline_kernelINS0_14default_configENS1_35radix_sort_onesweep_config_selectorIjNS0_10empty_typeEEEZZNS1_29radix_sort_onesweep_iterationIS3_Lb0EPKjPjPS5_SB_mNS0_19identity_decomposerENS1_16block_id_wrapperIjLb0EEEEE10hipError_tT1_PNSt15iterator_traitsISG_E10value_typeET2_T3_PNSH_ISM_E10value_typeET4_T5_PSR_SS_PNS1_23onesweep_lookback_stateEbbT6_jjT7_P12ihipStream_tbENKUlT_T0_SG_SL_E_clIS9_SA_SB_SB_EEDaSZ_S10_SG_SL_EUlSZ_E_NS1_11comp_targetILNS1_3genE6ELNS1_11target_archE950ELNS1_3gpuE13ELNS1_3repE0EEENS1_47radix_sort_onesweep_sort_config_static_selectorELNS0_4arch9wavefront6targetE0EEEvSG_
	.globl	_ZN7rocprim17ROCPRIM_400000_NS6detail17trampoline_kernelINS0_14default_configENS1_35radix_sort_onesweep_config_selectorIjNS0_10empty_typeEEEZZNS1_29radix_sort_onesweep_iterationIS3_Lb0EPKjPjPS5_SB_mNS0_19identity_decomposerENS1_16block_id_wrapperIjLb0EEEEE10hipError_tT1_PNSt15iterator_traitsISG_E10value_typeET2_T3_PNSH_ISM_E10value_typeET4_T5_PSR_SS_PNS1_23onesweep_lookback_stateEbbT6_jjT7_P12ihipStream_tbENKUlT_T0_SG_SL_E_clIS9_SA_SB_SB_EEDaSZ_S10_SG_SL_EUlSZ_E_NS1_11comp_targetILNS1_3genE6ELNS1_11target_archE950ELNS1_3gpuE13ELNS1_3repE0EEENS1_47radix_sort_onesweep_sort_config_static_selectorELNS0_4arch9wavefront6targetE0EEEvSG_
	.p2align	8
	.type	_ZN7rocprim17ROCPRIM_400000_NS6detail17trampoline_kernelINS0_14default_configENS1_35radix_sort_onesweep_config_selectorIjNS0_10empty_typeEEEZZNS1_29radix_sort_onesweep_iterationIS3_Lb0EPKjPjPS5_SB_mNS0_19identity_decomposerENS1_16block_id_wrapperIjLb0EEEEE10hipError_tT1_PNSt15iterator_traitsISG_E10value_typeET2_T3_PNSH_ISM_E10value_typeET4_T5_PSR_SS_PNS1_23onesweep_lookback_stateEbbT6_jjT7_P12ihipStream_tbENKUlT_T0_SG_SL_E_clIS9_SA_SB_SB_EEDaSZ_S10_SG_SL_EUlSZ_E_NS1_11comp_targetILNS1_3genE6ELNS1_11target_archE950ELNS1_3gpuE13ELNS1_3repE0EEENS1_47radix_sort_onesweep_sort_config_static_selectorELNS0_4arch9wavefront6targetE0EEEvSG_,@function
_ZN7rocprim17ROCPRIM_400000_NS6detail17trampoline_kernelINS0_14default_configENS1_35radix_sort_onesweep_config_selectorIjNS0_10empty_typeEEEZZNS1_29radix_sort_onesweep_iterationIS3_Lb0EPKjPjPS5_SB_mNS0_19identity_decomposerENS1_16block_id_wrapperIjLb0EEEEE10hipError_tT1_PNSt15iterator_traitsISG_E10value_typeET2_T3_PNSH_ISM_E10value_typeET4_T5_PSR_SS_PNS1_23onesweep_lookback_stateEbbT6_jjT7_P12ihipStream_tbENKUlT_T0_SG_SL_E_clIS9_SA_SB_SB_EEDaSZ_S10_SG_SL_EUlSZ_E_NS1_11comp_targetILNS1_3genE6ELNS1_11target_archE950ELNS1_3gpuE13ELNS1_3repE0EEENS1_47radix_sort_onesweep_sort_config_static_selectorELNS0_4arch9wavefront6targetE0EEEvSG_: ; @_ZN7rocprim17ROCPRIM_400000_NS6detail17trampoline_kernelINS0_14default_configENS1_35radix_sort_onesweep_config_selectorIjNS0_10empty_typeEEEZZNS1_29radix_sort_onesweep_iterationIS3_Lb0EPKjPjPS5_SB_mNS0_19identity_decomposerENS1_16block_id_wrapperIjLb0EEEEE10hipError_tT1_PNSt15iterator_traitsISG_E10value_typeET2_T3_PNSH_ISM_E10value_typeET4_T5_PSR_SS_PNS1_23onesweep_lookback_stateEbbT6_jjT7_P12ihipStream_tbENKUlT_T0_SG_SL_E_clIS9_SA_SB_SB_EEDaSZ_S10_SG_SL_EUlSZ_E_NS1_11comp_targetILNS1_3genE6ELNS1_11target_archE950ELNS1_3gpuE13ELNS1_3repE0EEENS1_47radix_sort_onesweep_sort_config_static_selectorELNS0_4arch9wavefront6targetE0EEEvSG_
; %bb.0:
	.section	.rodata,"a",@progbits
	.p2align	6, 0x0
	.amdhsa_kernel _ZN7rocprim17ROCPRIM_400000_NS6detail17trampoline_kernelINS0_14default_configENS1_35radix_sort_onesweep_config_selectorIjNS0_10empty_typeEEEZZNS1_29radix_sort_onesweep_iterationIS3_Lb0EPKjPjPS5_SB_mNS0_19identity_decomposerENS1_16block_id_wrapperIjLb0EEEEE10hipError_tT1_PNSt15iterator_traitsISG_E10value_typeET2_T3_PNSH_ISM_E10value_typeET4_T5_PSR_SS_PNS1_23onesweep_lookback_stateEbbT6_jjT7_P12ihipStream_tbENKUlT_T0_SG_SL_E_clIS9_SA_SB_SB_EEDaSZ_S10_SG_SL_EUlSZ_E_NS1_11comp_targetILNS1_3genE6ELNS1_11target_archE950ELNS1_3gpuE13ELNS1_3repE0EEENS1_47radix_sort_onesweep_sort_config_static_selectorELNS0_4arch9wavefront6targetE0EEEvSG_
		.amdhsa_group_segment_fixed_size 0
		.amdhsa_private_segment_fixed_size 0
		.amdhsa_kernarg_size 88
		.amdhsa_user_sgpr_count 2
		.amdhsa_user_sgpr_dispatch_ptr 0
		.amdhsa_user_sgpr_queue_ptr 0
		.amdhsa_user_sgpr_kernarg_segment_ptr 1
		.amdhsa_user_sgpr_dispatch_id 0
		.amdhsa_user_sgpr_kernarg_preload_length 0
		.amdhsa_user_sgpr_kernarg_preload_offset 0
		.amdhsa_user_sgpr_private_segment_size 0
		.amdhsa_wavefront_size32 1
		.amdhsa_uses_dynamic_stack 0
		.amdhsa_enable_private_segment 0
		.amdhsa_system_sgpr_workgroup_id_x 1
		.amdhsa_system_sgpr_workgroup_id_y 0
		.amdhsa_system_sgpr_workgroup_id_z 0
		.amdhsa_system_sgpr_workgroup_info 0
		.amdhsa_system_vgpr_workitem_id 0
		.amdhsa_next_free_vgpr 1
		.amdhsa_next_free_sgpr 1
		.amdhsa_named_barrier_count 0
		.amdhsa_reserve_vcc 0
		.amdhsa_float_round_mode_32 0
		.amdhsa_float_round_mode_16_64 0
		.amdhsa_float_denorm_mode_32 3
		.amdhsa_float_denorm_mode_16_64 3
		.amdhsa_fp16_overflow 0
		.amdhsa_memory_ordered 1
		.amdhsa_forward_progress 1
		.amdhsa_inst_pref_size 0
		.amdhsa_round_robin_scheduling 0
		.amdhsa_exception_fp_ieee_invalid_op 0
		.amdhsa_exception_fp_denorm_src 0
		.amdhsa_exception_fp_ieee_div_zero 0
		.amdhsa_exception_fp_ieee_overflow 0
		.amdhsa_exception_fp_ieee_underflow 0
		.amdhsa_exception_fp_ieee_inexact 0
		.amdhsa_exception_int_div_zero 0
	.end_amdhsa_kernel
	.section	.text._ZN7rocprim17ROCPRIM_400000_NS6detail17trampoline_kernelINS0_14default_configENS1_35radix_sort_onesweep_config_selectorIjNS0_10empty_typeEEEZZNS1_29radix_sort_onesweep_iterationIS3_Lb0EPKjPjPS5_SB_mNS0_19identity_decomposerENS1_16block_id_wrapperIjLb0EEEEE10hipError_tT1_PNSt15iterator_traitsISG_E10value_typeET2_T3_PNSH_ISM_E10value_typeET4_T5_PSR_SS_PNS1_23onesweep_lookback_stateEbbT6_jjT7_P12ihipStream_tbENKUlT_T0_SG_SL_E_clIS9_SA_SB_SB_EEDaSZ_S10_SG_SL_EUlSZ_E_NS1_11comp_targetILNS1_3genE6ELNS1_11target_archE950ELNS1_3gpuE13ELNS1_3repE0EEENS1_47radix_sort_onesweep_sort_config_static_selectorELNS0_4arch9wavefront6targetE0EEEvSG_,"axG",@progbits,_ZN7rocprim17ROCPRIM_400000_NS6detail17trampoline_kernelINS0_14default_configENS1_35radix_sort_onesweep_config_selectorIjNS0_10empty_typeEEEZZNS1_29radix_sort_onesweep_iterationIS3_Lb0EPKjPjPS5_SB_mNS0_19identity_decomposerENS1_16block_id_wrapperIjLb0EEEEE10hipError_tT1_PNSt15iterator_traitsISG_E10value_typeET2_T3_PNSH_ISM_E10value_typeET4_T5_PSR_SS_PNS1_23onesweep_lookback_stateEbbT6_jjT7_P12ihipStream_tbENKUlT_T0_SG_SL_E_clIS9_SA_SB_SB_EEDaSZ_S10_SG_SL_EUlSZ_E_NS1_11comp_targetILNS1_3genE6ELNS1_11target_archE950ELNS1_3gpuE13ELNS1_3repE0EEENS1_47radix_sort_onesweep_sort_config_static_selectorELNS0_4arch9wavefront6targetE0EEEvSG_,comdat
.Lfunc_end2763:
	.size	_ZN7rocprim17ROCPRIM_400000_NS6detail17trampoline_kernelINS0_14default_configENS1_35radix_sort_onesweep_config_selectorIjNS0_10empty_typeEEEZZNS1_29radix_sort_onesweep_iterationIS3_Lb0EPKjPjPS5_SB_mNS0_19identity_decomposerENS1_16block_id_wrapperIjLb0EEEEE10hipError_tT1_PNSt15iterator_traitsISG_E10value_typeET2_T3_PNSH_ISM_E10value_typeET4_T5_PSR_SS_PNS1_23onesweep_lookback_stateEbbT6_jjT7_P12ihipStream_tbENKUlT_T0_SG_SL_E_clIS9_SA_SB_SB_EEDaSZ_S10_SG_SL_EUlSZ_E_NS1_11comp_targetILNS1_3genE6ELNS1_11target_archE950ELNS1_3gpuE13ELNS1_3repE0EEENS1_47radix_sort_onesweep_sort_config_static_selectorELNS0_4arch9wavefront6targetE0EEEvSG_, .Lfunc_end2763-_ZN7rocprim17ROCPRIM_400000_NS6detail17trampoline_kernelINS0_14default_configENS1_35radix_sort_onesweep_config_selectorIjNS0_10empty_typeEEEZZNS1_29radix_sort_onesweep_iterationIS3_Lb0EPKjPjPS5_SB_mNS0_19identity_decomposerENS1_16block_id_wrapperIjLb0EEEEE10hipError_tT1_PNSt15iterator_traitsISG_E10value_typeET2_T3_PNSH_ISM_E10value_typeET4_T5_PSR_SS_PNS1_23onesweep_lookback_stateEbbT6_jjT7_P12ihipStream_tbENKUlT_T0_SG_SL_E_clIS9_SA_SB_SB_EEDaSZ_S10_SG_SL_EUlSZ_E_NS1_11comp_targetILNS1_3genE6ELNS1_11target_archE950ELNS1_3gpuE13ELNS1_3repE0EEENS1_47radix_sort_onesweep_sort_config_static_selectorELNS0_4arch9wavefront6targetE0EEEvSG_
                                        ; -- End function
	.set _ZN7rocprim17ROCPRIM_400000_NS6detail17trampoline_kernelINS0_14default_configENS1_35radix_sort_onesweep_config_selectorIjNS0_10empty_typeEEEZZNS1_29radix_sort_onesweep_iterationIS3_Lb0EPKjPjPS5_SB_mNS0_19identity_decomposerENS1_16block_id_wrapperIjLb0EEEEE10hipError_tT1_PNSt15iterator_traitsISG_E10value_typeET2_T3_PNSH_ISM_E10value_typeET4_T5_PSR_SS_PNS1_23onesweep_lookback_stateEbbT6_jjT7_P12ihipStream_tbENKUlT_T0_SG_SL_E_clIS9_SA_SB_SB_EEDaSZ_S10_SG_SL_EUlSZ_E_NS1_11comp_targetILNS1_3genE6ELNS1_11target_archE950ELNS1_3gpuE13ELNS1_3repE0EEENS1_47radix_sort_onesweep_sort_config_static_selectorELNS0_4arch9wavefront6targetE0EEEvSG_.num_vgpr, 0
	.set _ZN7rocprim17ROCPRIM_400000_NS6detail17trampoline_kernelINS0_14default_configENS1_35radix_sort_onesweep_config_selectorIjNS0_10empty_typeEEEZZNS1_29radix_sort_onesweep_iterationIS3_Lb0EPKjPjPS5_SB_mNS0_19identity_decomposerENS1_16block_id_wrapperIjLb0EEEEE10hipError_tT1_PNSt15iterator_traitsISG_E10value_typeET2_T3_PNSH_ISM_E10value_typeET4_T5_PSR_SS_PNS1_23onesweep_lookback_stateEbbT6_jjT7_P12ihipStream_tbENKUlT_T0_SG_SL_E_clIS9_SA_SB_SB_EEDaSZ_S10_SG_SL_EUlSZ_E_NS1_11comp_targetILNS1_3genE6ELNS1_11target_archE950ELNS1_3gpuE13ELNS1_3repE0EEENS1_47radix_sort_onesweep_sort_config_static_selectorELNS0_4arch9wavefront6targetE0EEEvSG_.num_agpr, 0
	.set _ZN7rocprim17ROCPRIM_400000_NS6detail17trampoline_kernelINS0_14default_configENS1_35radix_sort_onesweep_config_selectorIjNS0_10empty_typeEEEZZNS1_29radix_sort_onesweep_iterationIS3_Lb0EPKjPjPS5_SB_mNS0_19identity_decomposerENS1_16block_id_wrapperIjLb0EEEEE10hipError_tT1_PNSt15iterator_traitsISG_E10value_typeET2_T3_PNSH_ISM_E10value_typeET4_T5_PSR_SS_PNS1_23onesweep_lookback_stateEbbT6_jjT7_P12ihipStream_tbENKUlT_T0_SG_SL_E_clIS9_SA_SB_SB_EEDaSZ_S10_SG_SL_EUlSZ_E_NS1_11comp_targetILNS1_3genE6ELNS1_11target_archE950ELNS1_3gpuE13ELNS1_3repE0EEENS1_47radix_sort_onesweep_sort_config_static_selectorELNS0_4arch9wavefront6targetE0EEEvSG_.numbered_sgpr, 0
	.set _ZN7rocprim17ROCPRIM_400000_NS6detail17trampoline_kernelINS0_14default_configENS1_35radix_sort_onesweep_config_selectorIjNS0_10empty_typeEEEZZNS1_29radix_sort_onesweep_iterationIS3_Lb0EPKjPjPS5_SB_mNS0_19identity_decomposerENS1_16block_id_wrapperIjLb0EEEEE10hipError_tT1_PNSt15iterator_traitsISG_E10value_typeET2_T3_PNSH_ISM_E10value_typeET4_T5_PSR_SS_PNS1_23onesweep_lookback_stateEbbT6_jjT7_P12ihipStream_tbENKUlT_T0_SG_SL_E_clIS9_SA_SB_SB_EEDaSZ_S10_SG_SL_EUlSZ_E_NS1_11comp_targetILNS1_3genE6ELNS1_11target_archE950ELNS1_3gpuE13ELNS1_3repE0EEENS1_47radix_sort_onesweep_sort_config_static_selectorELNS0_4arch9wavefront6targetE0EEEvSG_.num_named_barrier, 0
	.set _ZN7rocprim17ROCPRIM_400000_NS6detail17trampoline_kernelINS0_14default_configENS1_35radix_sort_onesweep_config_selectorIjNS0_10empty_typeEEEZZNS1_29radix_sort_onesweep_iterationIS3_Lb0EPKjPjPS5_SB_mNS0_19identity_decomposerENS1_16block_id_wrapperIjLb0EEEEE10hipError_tT1_PNSt15iterator_traitsISG_E10value_typeET2_T3_PNSH_ISM_E10value_typeET4_T5_PSR_SS_PNS1_23onesweep_lookback_stateEbbT6_jjT7_P12ihipStream_tbENKUlT_T0_SG_SL_E_clIS9_SA_SB_SB_EEDaSZ_S10_SG_SL_EUlSZ_E_NS1_11comp_targetILNS1_3genE6ELNS1_11target_archE950ELNS1_3gpuE13ELNS1_3repE0EEENS1_47radix_sort_onesweep_sort_config_static_selectorELNS0_4arch9wavefront6targetE0EEEvSG_.private_seg_size, 0
	.set _ZN7rocprim17ROCPRIM_400000_NS6detail17trampoline_kernelINS0_14default_configENS1_35radix_sort_onesweep_config_selectorIjNS0_10empty_typeEEEZZNS1_29radix_sort_onesweep_iterationIS3_Lb0EPKjPjPS5_SB_mNS0_19identity_decomposerENS1_16block_id_wrapperIjLb0EEEEE10hipError_tT1_PNSt15iterator_traitsISG_E10value_typeET2_T3_PNSH_ISM_E10value_typeET4_T5_PSR_SS_PNS1_23onesweep_lookback_stateEbbT6_jjT7_P12ihipStream_tbENKUlT_T0_SG_SL_E_clIS9_SA_SB_SB_EEDaSZ_S10_SG_SL_EUlSZ_E_NS1_11comp_targetILNS1_3genE6ELNS1_11target_archE950ELNS1_3gpuE13ELNS1_3repE0EEENS1_47radix_sort_onesweep_sort_config_static_selectorELNS0_4arch9wavefront6targetE0EEEvSG_.uses_vcc, 0
	.set _ZN7rocprim17ROCPRIM_400000_NS6detail17trampoline_kernelINS0_14default_configENS1_35radix_sort_onesweep_config_selectorIjNS0_10empty_typeEEEZZNS1_29radix_sort_onesweep_iterationIS3_Lb0EPKjPjPS5_SB_mNS0_19identity_decomposerENS1_16block_id_wrapperIjLb0EEEEE10hipError_tT1_PNSt15iterator_traitsISG_E10value_typeET2_T3_PNSH_ISM_E10value_typeET4_T5_PSR_SS_PNS1_23onesweep_lookback_stateEbbT6_jjT7_P12ihipStream_tbENKUlT_T0_SG_SL_E_clIS9_SA_SB_SB_EEDaSZ_S10_SG_SL_EUlSZ_E_NS1_11comp_targetILNS1_3genE6ELNS1_11target_archE950ELNS1_3gpuE13ELNS1_3repE0EEENS1_47radix_sort_onesweep_sort_config_static_selectorELNS0_4arch9wavefront6targetE0EEEvSG_.uses_flat_scratch, 0
	.set _ZN7rocprim17ROCPRIM_400000_NS6detail17trampoline_kernelINS0_14default_configENS1_35radix_sort_onesweep_config_selectorIjNS0_10empty_typeEEEZZNS1_29radix_sort_onesweep_iterationIS3_Lb0EPKjPjPS5_SB_mNS0_19identity_decomposerENS1_16block_id_wrapperIjLb0EEEEE10hipError_tT1_PNSt15iterator_traitsISG_E10value_typeET2_T3_PNSH_ISM_E10value_typeET4_T5_PSR_SS_PNS1_23onesweep_lookback_stateEbbT6_jjT7_P12ihipStream_tbENKUlT_T0_SG_SL_E_clIS9_SA_SB_SB_EEDaSZ_S10_SG_SL_EUlSZ_E_NS1_11comp_targetILNS1_3genE6ELNS1_11target_archE950ELNS1_3gpuE13ELNS1_3repE0EEENS1_47radix_sort_onesweep_sort_config_static_selectorELNS0_4arch9wavefront6targetE0EEEvSG_.has_dyn_sized_stack, 0
	.set _ZN7rocprim17ROCPRIM_400000_NS6detail17trampoline_kernelINS0_14default_configENS1_35radix_sort_onesweep_config_selectorIjNS0_10empty_typeEEEZZNS1_29radix_sort_onesweep_iterationIS3_Lb0EPKjPjPS5_SB_mNS0_19identity_decomposerENS1_16block_id_wrapperIjLb0EEEEE10hipError_tT1_PNSt15iterator_traitsISG_E10value_typeET2_T3_PNSH_ISM_E10value_typeET4_T5_PSR_SS_PNS1_23onesweep_lookback_stateEbbT6_jjT7_P12ihipStream_tbENKUlT_T0_SG_SL_E_clIS9_SA_SB_SB_EEDaSZ_S10_SG_SL_EUlSZ_E_NS1_11comp_targetILNS1_3genE6ELNS1_11target_archE950ELNS1_3gpuE13ELNS1_3repE0EEENS1_47radix_sort_onesweep_sort_config_static_selectorELNS0_4arch9wavefront6targetE0EEEvSG_.has_recursion, 0
	.set _ZN7rocprim17ROCPRIM_400000_NS6detail17trampoline_kernelINS0_14default_configENS1_35radix_sort_onesweep_config_selectorIjNS0_10empty_typeEEEZZNS1_29radix_sort_onesweep_iterationIS3_Lb0EPKjPjPS5_SB_mNS0_19identity_decomposerENS1_16block_id_wrapperIjLb0EEEEE10hipError_tT1_PNSt15iterator_traitsISG_E10value_typeET2_T3_PNSH_ISM_E10value_typeET4_T5_PSR_SS_PNS1_23onesweep_lookback_stateEbbT6_jjT7_P12ihipStream_tbENKUlT_T0_SG_SL_E_clIS9_SA_SB_SB_EEDaSZ_S10_SG_SL_EUlSZ_E_NS1_11comp_targetILNS1_3genE6ELNS1_11target_archE950ELNS1_3gpuE13ELNS1_3repE0EEENS1_47radix_sort_onesweep_sort_config_static_selectorELNS0_4arch9wavefront6targetE0EEEvSG_.has_indirect_call, 0
	.section	.AMDGPU.csdata,"",@progbits
; Kernel info:
; codeLenInByte = 0
; TotalNumSgprs: 0
; NumVgprs: 0
; ScratchSize: 0
; MemoryBound: 0
; FloatMode: 240
; IeeeMode: 1
; LDSByteSize: 0 bytes/workgroup (compile time only)
; SGPRBlocks: 0
; VGPRBlocks: 0
; NumSGPRsForWavesPerEU: 1
; NumVGPRsForWavesPerEU: 1
; NamedBarCnt: 0
; Occupancy: 16
; WaveLimiterHint : 0
; COMPUTE_PGM_RSRC2:SCRATCH_EN: 0
; COMPUTE_PGM_RSRC2:USER_SGPR: 2
; COMPUTE_PGM_RSRC2:TRAP_HANDLER: 0
; COMPUTE_PGM_RSRC2:TGID_X_EN: 1
; COMPUTE_PGM_RSRC2:TGID_Y_EN: 0
; COMPUTE_PGM_RSRC2:TGID_Z_EN: 0
; COMPUTE_PGM_RSRC2:TIDIG_COMP_CNT: 0
	.section	.text._ZN7rocprim17ROCPRIM_400000_NS6detail17trampoline_kernelINS0_14default_configENS1_35radix_sort_onesweep_config_selectorIjNS0_10empty_typeEEEZZNS1_29radix_sort_onesweep_iterationIS3_Lb0EPKjPjPS5_SB_mNS0_19identity_decomposerENS1_16block_id_wrapperIjLb0EEEEE10hipError_tT1_PNSt15iterator_traitsISG_E10value_typeET2_T3_PNSH_ISM_E10value_typeET4_T5_PSR_SS_PNS1_23onesweep_lookback_stateEbbT6_jjT7_P12ihipStream_tbENKUlT_T0_SG_SL_E_clIS9_SA_SB_SB_EEDaSZ_S10_SG_SL_EUlSZ_E_NS1_11comp_targetILNS1_3genE5ELNS1_11target_archE942ELNS1_3gpuE9ELNS1_3repE0EEENS1_47radix_sort_onesweep_sort_config_static_selectorELNS0_4arch9wavefront6targetE0EEEvSG_,"axG",@progbits,_ZN7rocprim17ROCPRIM_400000_NS6detail17trampoline_kernelINS0_14default_configENS1_35radix_sort_onesweep_config_selectorIjNS0_10empty_typeEEEZZNS1_29radix_sort_onesweep_iterationIS3_Lb0EPKjPjPS5_SB_mNS0_19identity_decomposerENS1_16block_id_wrapperIjLb0EEEEE10hipError_tT1_PNSt15iterator_traitsISG_E10value_typeET2_T3_PNSH_ISM_E10value_typeET4_T5_PSR_SS_PNS1_23onesweep_lookback_stateEbbT6_jjT7_P12ihipStream_tbENKUlT_T0_SG_SL_E_clIS9_SA_SB_SB_EEDaSZ_S10_SG_SL_EUlSZ_E_NS1_11comp_targetILNS1_3genE5ELNS1_11target_archE942ELNS1_3gpuE9ELNS1_3repE0EEENS1_47radix_sort_onesweep_sort_config_static_selectorELNS0_4arch9wavefront6targetE0EEEvSG_,comdat
	.protected	_ZN7rocprim17ROCPRIM_400000_NS6detail17trampoline_kernelINS0_14default_configENS1_35radix_sort_onesweep_config_selectorIjNS0_10empty_typeEEEZZNS1_29radix_sort_onesweep_iterationIS3_Lb0EPKjPjPS5_SB_mNS0_19identity_decomposerENS1_16block_id_wrapperIjLb0EEEEE10hipError_tT1_PNSt15iterator_traitsISG_E10value_typeET2_T3_PNSH_ISM_E10value_typeET4_T5_PSR_SS_PNS1_23onesweep_lookback_stateEbbT6_jjT7_P12ihipStream_tbENKUlT_T0_SG_SL_E_clIS9_SA_SB_SB_EEDaSZ_S10_SG_SL_EUlSZ_E_NS1_11comp_targetILNS1_3genE5ELNS1_11target_archE942ELNS1_3gpuE9ELNS1_3repE0EEENS1_47radix_sort_onesweep_sort_config_static_selectorELNS0_4arch9wavefront6targetE0EEEvSG_ ; -- Begin function _ZN7rocprim17ROCPRIM_400000_NS6detail17trampoline_kernelINS0_14default_configENS1_35radix_sort_onesweep_config_selectorIjNS0_10empty_typeEEEZZNS1_29radix_sort_onesweep_iterationIS3_Lb0EPKjPjPS5_SB_mNS0_19identity_decomposerENS1_16block_id_wrapperIjLb0EEEEE10hipError_tT1_PNSt15iterator_traitsISG_E10value_typeET2_T3_PNSH_ISM_E10value_typeET4_T5_PSR_SS_PNS1_23onesweep_lookback_stateEbbT6_jjT7_P12ihipStream_tbENKUlT_T0_SG_SL_E_clIS9_SA_SB_SB_EEDaSZ_S10_SG_SL_EUlSZ_E_NS1_11comp_targetILNS1_3genE5ELNS1_11target_archE942ELNS1_3gpuE9ELNS1_3repE0EEENS1_47radix_sort_onesweep_sort_config_static_selectorELNS0_4arch9wavefront6targetE0EEEvSG_
	.globl	_ZN7rocprim17ROCPRIM_400000_NS6detail17trampoline_kernelINS0_14default_configENS1_35radix_sort_onesweep_config_selectorIjNS0_10empty_typeEEEZZNS1_29radix_sort_onesweep_iterationIS3_Lb0EPKjPjPS5_SB_mNS0_19identity_decomposerENS1_16block_id_wrapperIjLb0EEEEE10hipError_tT1_PNSt15iterator_traitsISG_E10value_typeET2_T3_PNSH_ISM_E10value_typeET4_T5_PSR_SS_PNS1_23onesweep_lookback_stateEbbT6_jjT7_P12ihipStream_tbENKUlT_T0_SG_SL_E_clIS9_SA_SB_SB_EEDaSZ_S10_SG_SL_EUlSZ_E_NS1_11comp_targetILNS1_3genE5ELNS1_11target_archE942ELNS1_3gpuE9ELNS1_3repE0EEENS1_47radix_sort_onesweep_sort_config_static_selectorELNS0_4arch9wavefront6targetE0EEEvSG_
	.p2align	8
	.type	_ZN7rocprim17ROCPRIM_400000_NS6detail17trampoline_kernelINS0_14default_configENS1_35radix_sort_onesweep_config_selectorIjNS0_10empty_typeEEEZZNS1_29radix_sort_onesweep_iterationIS3_Lb0EPKjPjPS5_SB_mNS0_19identity_decomposerENS1_16block_id_wrapperIjLb0EEEEE10hipError_tT1_PNSt15iterator_traitsISG_E10value_typeET2_T3_PNSH_ISM_E10value_typeET4_T5_PSR_SS_PNS1_23onesweep_lookback_stateEbbT6_jjT7_P12ihipStream_tbENKUlT_T0_SG_SL_E_clIS9_SA_SB_SB_EEDaSZ_S10_SG_SL_EUlSZ_E_NS1_11comp_targetILNS1_3genE5ELNS1_11target_archE942ELNS1_3gpuE9ELNS1_3repE0EEENS1_47radix_sort_onesweep_sort_config_static_selectorELNS0_4arch9wavefront6targetE0EEEvSG_,@function
_ZN7rocprim17ROCPRIM_400000_NS6detail17trampoline_kernelINS0_14default_configENS1_35radix_sort_onesweep_config_selectorIjNS0_10empty_typeEEEZZNS1_29radix_sort_onesweep_iterationIS3_Lb0EPKjPjPS5_SB_mNS0_19identity_decomposerENS1_16block_id_wrapperIjLb0EEEEE10hipError_tT1_PNSt15iterator_traitsISG_E10value_typeET2_T3_PNSH_ISM_E10value_typeET4_T5_PSR_SS_PNS1_23onesweep_lookback_stateEbbT6_jjT7_P12ihipStream_tbENKUlT_T0_SG_SL_E_clIS9_SA_SB_SB_EEDaSZ_S10_SG_SL_EUlSZ_E_NS1_11comp_targetILNS1_3genE5ELNS1_11target_archE942ELNS1_3gpuE9ELNS1_3repE0EEENS1_47radix_sort_onesweep_sort_config_static_selectorELNS0_4arch9wavefront6targetE0EEEvSG_: ; @_ZN7rocprim17ROCPRIM_400000_NS6detail17trampoline_kernelINS0_14default_configENS1_35radix_sort_onesweep_config_selectorIjNS0_10empty_typeEEEZZNS1_29radix_sort_onesweep_iterationIS3_Lb0EPKjPjPS5_SB_mNS0_19identity_decomposerENS1_16block_id_wrapperIjLb0EEEEE10hipError_tT1_PNSt15iterator_traitsISG_E10value_typeET2_T3_PNSH_ISM_E10value_typeET4_T5_PSR_SS_PNS1_23onesweep_lookback_stateEbbT6_jjT7_P12ihipStream_tbENKUlT_T0_SG_SL_E_clIS9_SA_SB_SB_EEDaSZ_S10_SG_SL_EUlSZ_E_NS1_11comp_targetILNS1_3genE5ELNS1_11target_archE942ELNS1_3gpuE9ELNS1_3repE0EEENS1_47radix_sort_onesweep_sort_config_static_selectorELNS0_4arch9wavefront6targetE0EEEvSG_
; %bb.0:
	.section	.rodata,"a",@progbits
	.p2align	6, 0x0
	.amdhsa_kernel _ZN7rocprim17ROCPRIM_400000_NS6detail17trampoline_kernelINS0_14default_configENS1_35radix_sort_onesweep_config_selectorIjNS0_10empty_typeEEEZZNS1_29radix_sort_onesweep_iterationIS3_Lb0EPKjPjPS5_SB_mNS0_19identity_decomposerENS1_16block_id_wrapperIjLb0EEEEE10hipError_tT1_PNSt15iterator_traitsISG_E10value_typeET2_T3_PNSH_ISM_E10value_typeET4_T5_PSR_SS_PNS1_23onesweep_lookback_stateEbbT6_jjT7_P12ihipStream_tbENKUlT_T0_SG_SL_E_clIS9_SA_SB_SB_EEDaSZ_S10_SG_SL_EUlSZ_E_NS1_11comp_targetILNS1_3genE5ELNS1_11target_archE942ELNS1_3gpuE9ELNS1_3repE0EEENS1_47radix_sort_onesweep_sort_config_static_selectorELNS0_4arch9wavefront6targetE0EEEvSG_
		.amdhsa_group_segment_fixed_size 0
		.amdhsa_private_segment_fixed_size 0
		.amdhsa_kernarg_size 88
		.amdhsa_user_sgpr_count 2
		.amdhsa_user_sgpr_dispatch_ptr 0
		.amdhsa_user_sgpr_queue_ptr 0
		.amdhsa_user_sgpr_kernarg_segment_ptr 1
		.amdhsa_user_sgpr_dispatch_id 0
		.amdhsa_user_sgpr_kernarg_preload_length 0
		.amdhsa_user_sgpr_kernarg_preload_offset 0
		.amdhsa_user_sgpr_private_segment_size 0
		.amdhsa_wavefront_size32 1
		.amdhsa_uses_dynamic_stack 0
		.amdhsa_enable_private_segment 0
		.amdhsa_system_sgpr_workgroup_id_x 1
		.amdhsa_system_sgpr_workgroup_id_y 0
		.amdhsa_system_sgpr_workgroup_id_z 0
		.amdhsa_system_sgpr_workgroup_info 0
		.amdhsa_system_vgpr_workitem_id 0
		.amdhsa_next_free_vgpr 1
		.amdhsa_next_free_sgpr 1
		.amdhsa_named_barrier_count 0
		.amdhsa_reserve_vcc 0
		.amdhsa_float_round_mode_32 0
		.amdhsa_float_round_mode_16_64 0
		.amdhsa_float_denorm_mode_32 3
		.amdhsa_float_denorm_mode_16_64 3
		.amdhsa_fp16_overflow 0
		.amdhsa_memory_ordered 1
		.amdhsa_forward_progress 1
		.amdhsa_inst_pref_size 0
		.amdhsa_round_robin_scheduling 0
		.amdhsa_exception_fp_ieee_invalid_op 0
		.amdhsa_exception_fp_denorm_src 0
		.amdhsa_exception_fp_ieee_div_zero 0
		.amdhsa_exception_fp_ieee_overflow 0
		.amdhsa_exception_fp_ieee_underflow 0
		.amdhsa_exception_fp_ieee_inexact 0
		.amdhsa_exception_int_div_zero 0
	.end_amdhsa_kernel
	.section	.text._ZN7rocprim17ROCPRIM_400000_NS6detail17trampoline_kernelINS0_14default_configENS1_35radix_sort_onesweep_config_selectorIjNS0_10empty_typeEEEZZNS1_29radix_sort_onesweep_iterationIS3_Lb0EPKjPjPS5_SB_mNS0_19identity_decomposerENS1_16block_id_wrapperIjLb0EEEEE10hipError_tT1_PNSt15iterator_traitsISG_E10value_typeET2_T3_PNSH_ISM_E10value_typeET4_T5_PSR_SS_PNS1_23onesweep_lookback_stateEbbT6_jjT7_P12ihipStream_tbENKUlT_T0_SG_SL_E_clIS9_SA_SB_SB_EEDaSZ_S10_SG_SL_EUlSZ_E_NS1_11comp_targetILNS1_3genE5ELNS1_11target_archE942ELNS1_3gpuE9ELNS1_3repE0EEENS1_47radix_sort_onesweep_sort_config_static_selectorELNS0_4arch9wavefront6targetE0EEEvSG_,"axG",@progbits,_ZN7rocprim17ROCPRIM_400000_NS6detail17trampoline_kernelINS0_14default_configENS1_35radix_sort_onesweep_config_selectorIjNS0_10empty_typeEEEZZNS1_29radix_sort_onesweep_iterationIS3_Lb0EPKjPjPS5_SB_mNS0_19identity_decomposerENS1_16block_id_wrapperIjLb0EEEEE10hipError_tT1_PNSt15iterator_traitsISG_E10value_typeET2_T3_PNSH_ISM_E10value_typeET4_T5_PSR_SS_PNS1_23onesweep_lookback_stateEbbT6_jjT7_P12ihipStream_tbENKUlT_T0_SG_SL_E_clIS9_SA_SB_SB_EEDaSZ_S10_SG_SL_EUlSZ_E_NS1_11comp_targetILNS1_3genE5ELNS1_11target_archE942ELNS1_3gpuE9ELNS1_3repE0EEENS1_47radix_sort_onesweep_sort_config_static_selectorELNS0_4arch9wavefront6targetE0EEEvSG_,comdat
.Lfunc_end2764:
	.size	_ZN7rocprim17ROCPRIM_400000_NS6detail17trampoline_kernelINS0_14default_configENS1_35radix_sort_onesweep_config_selectorIjNS0_10empty_typeEEEZZNS1_29radix_sort_onesweep_iterationIS3_Lb0EPKjPjPS5_SB_mNS0_19identity_decomposerENS1_16block_id_wrapperIjLb0EEEEE10hipError_tT1_PNSt15iterator_traitsISG_E10value_typeET2_T3_PNSH_ISM_E10value_typeET4_T5_PSR_SS_PNS1_23onesweep_lookback_stateEbbT6_jjT7_P12ihipStream_tbENKUlT_T0_SG_SL_E_clIS9_SA_SB_SB_EEDaSZ_S10_SG_SL_EUlSZ_E_NS1_11comp_targetILNS1_3genE5ELNS1_11target_archE942ELNS1_3gpuE9ELNS1_3repE0EEENS1_47radix_sort_onesweep_sort_config_static_selectorELNS0_4arch9wavefront6targetE0EEEvSG_, .Lfunc_end2764-_ZN7rocprim17ROCPRIM_400000_NS6detail17trampoline_kernelINS0_14default_configENS1_35radix_sort_onesweep_config_selectorIjNS0_10empty_typeEEEZZNS1_29radix_sort_onesweep_iterationIS3_Lb0EPKjPjPS5_SB_mNS0_19identity_decomposerENS1_16block_id_wrapperIjLb0EEEEE10hipError_tT1_PNSt15iterator_traitsISG_E10value_typeET2_T3_PNSH_ISM_E10value_typeET4_T5_PSR_SS_PNS1_23onesweep_lookback_stateEbbT6_jjT7_P12ihipStream_tbENKUlT_T0_SG_SL_E_clIS9_SA_SB_SB_EEDaSZ_S10_SG_SL_EUlSZ_E_NS1_11comp_targetILNS1_3genE5ELNS1_11target_archE942ELNS1_3gpuE9ELNS1_3repE0EEENS1_47radix_sort_onesweep_sort_config_static_selectorELNS0_4arch9wavefront6targetE0EEEvSG_
                                        ; -- End function
	.set _ZN7rocprim17ROCPRIM_400000_NS6detail17trampoline_kernelINS0_14default_configENS1_35radix_sort_onesweep_config_selectorIjNS0_10empty_typeEEEZZNS1_29radix_sort_onesweep_iterationIS3_Lb0EPKjPjPS5_SB_mNS0_19identity_decomposerENS1_16block_id_wrapperIjLb0EEEEE10hipError_tT1_PNSt15iterator_traitsISG_E10value_typeET2_T3_PNSH_ISM_E10value_typeET4_T5_PSR_SS_PNS1_23onesweep_lookback_stateEbbT6_jjT7_P12ihipStream_tbENKUlT_T0_SG_SL_E_clIS9_SA_SB_SB_EEDaSZ_S10_SG_SL_EUlSZ_E_NS1_11comp_targetILNS1_3genE5ELNS1_11target_archE942ELNS1_3gpuE9ELNS1_3repE0EEENS1_47radix_sort_onesweep_sort_config_static_selectorELNS0_4arch9wavefront6targetE0EEEvSG_.num_vgpr, 0
	.set _ZN7rocprim17ROCPRIM_400000_NS6detail17trampoline_kernelINS0_14default_configENS1_35radix_sort_onesweep_config_selectorIjNS0_10empty_typeEEEZZNS1_29radix_sort_onesweep_iterationIS3_Lb0EPKjPjPS5_SB_mNS0_19identity_decomposerENS1_16block_id_wrapperIjLb0EEEEE10hipError_tT1_PNSt15iterator_traitsISG_E10value_typeET2_T3_PNSH_ISM_E10value_typeET4_T5_PSR_SS_PNS1_23onesweep_lookback_stateEbbT6_jjT7_P12ihipStream_tbENKUlT_T0_SG_SL_E_clIS9_SA_SB_SB_EEDaSZ_S10_SG_SL_EUlSZ_E_NS1_11comp_targetILNS1_3genE5ELNS1_11target_archE942ELNS1_3gpuE9ELNS1_3repE0EEENS1_47radix_sort_onesweep_sort_config_static_selectorELNS0_4arch9wavefront6targetE0EEEvSG_.num_agpr, 0
	.set _ZN7rocprim17ROCPRIM_400000_NS6detail17trampoline_kernelINS0_14default_configENS1_35radix_sort_onesweep_config_selectorIjNS0_10empty_typeEEEZZNS1_29radix_sort_onesweep_iterationIS3_Lb0EPKjPjPS5_SB_mNS0_19identity_decomposerENS1_16block_id_wrapperIjLb0EEEEE10hipError_tT1_PNSt15iterator_traitsISG_E10value_typeET2_T3_PNSH_ISM_E10value_typeET4_T5_PSR_SS_PNS1_23onesweep_lookback_stateEbbT6_jjT7_P12ihipStream_tbENKUlT_T0_SG_SL_E_clIS9_SA_SB_SB_EEDaSZ_S10_SG_SL_EUlSZ_E_NS1_11comp_targetILNS1_3genE5ELNS1_11target_archE942ELNS1_3gpuE9ELNS1_3repE0EEENS1_47radix_sort_onesweep_sort_config_static_selectorELNS0_4arch9wavefront6targetE0EEEvSG_.numbered_sgpr, 0
	.set _ZN7rocprim17ROCPRIM_400000_NS6detail17trampoline_kernelINS0_14default_configENS1_35radix_sort_onesweep_config_selectorIjNS0_10empty_typeEEEZZNS1_29radix_sort_onesweep_iterationIS3_Lb0EPKjPjPS5_SB_mNS0_19identity_decomposerENS1_16block_id_wrapperIjLb0EEEEE10hipError_tT1_PNSt15iterator_traitsISG_E10value_typeET2_T3_PNSH_ISM_E10value_typeET4_T5_PSR_SS_PNS1_23onesweep_lookback_stateEbbT6_jjT7_P12ihipStream_tbENKUlT_T0_SG_SL_E_clIS9_SA_SB_SB_EEDaSZ_S10_SG_SL_EUlSZ_E_NS1_11comp_targetILNS1_3genE5ELNS1_11target_archE942ELNS1_3gpuE9ELNS1_3repE0EEENS1_47radix_sort_onesweep_sort_config_static_selectorELNS0_4arch9wavefront6targetE0EEEvSG_.num_named_barrier, 0
	.set _ZN7rocprim17ROCPRIM_400000_NS6detail17trampoline_kernelINS0_14default_configENS1_35radix_sort_onesweep_config_selectorIjNS0_10empty_typeEEEZZNS1_29radix_sort_onesweep_iterationIS3_Lb0EPKjPjPS5_SB_mNS0_19identity_decomposerENS1_16block_id_wrapperIjLb0EEEEE10hipError_tT1_PNSt15iterator_traitsISG_E10value_typeET2_T3_PNSH_ISM_E10value_typeET4_T5_PSR_SS_PNS1_23onesweep_lookback_stateEbbT6_jjT7_P12ihipStream_tbENKUlT_T0_SG_SL_E_clIS9_SA_SB_SB_EEDaSZ_S10_SG_SL_EUlSZ_E_NS1_11comp_targetILNS1_3genE5ELNS1_11target_archE942ELNS1_3gpuE9ELNS1_3repE0EEENS1_47radix_sort_onesweep_sort_config_static_selectorELNS0_4arch9wavefront6targetE0EEEvSG_.private_seg_size, 0
	.set _ZN7rocprim17ROCPRIM_400000_NS6detail17trampoline_kernelINS0_14default_configENS1_35radix_sort_onesweep_config_selectorIjNS0_10empty_typeEEEZZNS1_29radix_sort_onesweep_iterationIS3_Lb0EPKjPjPS5_SB_mNS0_19identity_decomposerENS1_16block_id_wrapperIjLb0EEEEE10hipError_tT1_PNSt15iterator_traitsISG_E10value_typeET2_T3_PNSH_ISM_E10value_typeET4_T5_PSR_SS_PNS1_23onesweep_lookback_stateEbbT6_jjT7_P12ihipStream_tbENKUlT_T0_SG_SL_E_clIS9_SA_SB_SB_EEDaSZ_S10_SG_SL_EUlSZ_E_NS1_11comp_targetILNS1_3genE5ELNS1_11target_archE942ELNS1_3gpuE9ELNS1_3repE0EEENS1_47radix_sort_onesweep_sort_config_static_selectorELNS0_4arch9wavefront6targetE0EEEvSG_.uses_vcc, 0
	.set _ZN7rocprim17ROCPRIM_400000_NS6detail17trampoline_kernelINS0_14default_configENS1_35radix_sort_onesweep_config_selectorIjNS0_10empty_typeEEEZZNS1_29radix_sort_onesweep_iterationIS3_Lb0EPKjPjPS5_SB_mNS0_19identity_decomposerENS1_16block_id_wrapperIjLb0EEEEE10hipError_tT1_PNSt15iterator_traitsISG_E10value_typeET2_T3_PNSH_ISM_E10value_typeET4_T5_PSR_SS_PNS1_23onesweep_lookback_stateEbbT6_jjT7_P12ihipStream_tbENKUlT_T0_SG_SL_E_clIS9_SA_SB_SB_EEDaSZ_S10_SG_SL_EUlSZ_E_NS1_11comp_targetILNS1_3genE5ELNS1_11target_archE942ELNS1_3gpuE9ELNS1_3repE0EEENS1_47radix_sort_onesweep_sort_config_static_selectorELNS0_4arch9wavefront6targetE0EEEvSG_.uses_flat_scratch, 0
	.set _ZN7rocprim17ROCPRIM_400000_NS6detail17trampoline_kernelINS0_14default_configENS1_35radix_sort_onesweep_config_selectorIjNS0_10empty_typeEEEZZNS1_29radix_sort_onesweep_iterationIS3_Lb0EPKjPjPS5_SB_mNS0_19identity_decomposerENS1_16block_id_wrapperIjLb0EEEEE10hipError_tT1_PNSt15iterator_traitsISG_E10value_typeET2_T3_PNSH_ISM_E10value_typeET4_T5_PSR_SS_PNS1_23onesweep_lookback_stateEbbT6_jjT7_P12ihipStream_tbENKUlT_T0_SG_SL_E_clIS9_SA_SB_SB_EEDaSZ_S10_SG_SL_EUlSZ_E_NS1_11comp_targetILNS1_3genE5ELNS1_11target_archE942ELNS1_3gpuE9ELNS1_3repE0EEENS1_47radix_sort_onesweep_sort_config_static_selectorELNS0_4arch9wavefront6targetE0EEEvSG_.has_dyn_sized_stack, 0
	.set _ZN7rocprim17ROCPRIM_400000_NS6detail17trampoline_kernelINS0_14default_configENS1_35radix_sort_onesweep_config_selectorIjNS0_10empty_typeEEEZZNS1_29radix_sort_onesweep_iterationIS3_Lb0EPKjPjPS5_SB_mNS0_19identity_decomposerENS1_16block_id_wrapperIjLb0EEEEE10hipError_tT1_PNSt15iterator_traitsISG_E10value_typeET2_T3_PNSH_ISM_E10value_typeET4_T5_PSR_SS_PNS1_23onesweep_lookback_stateEbbT6_jjT7_P12ihipStream_tbENKUlT_T0_SG_SL_E_clIS9_SA_SB_SB_EEDaSZ_S10_SG_SL_EUlSZ_E_NS1_11comp_targetILNS1_3genE5ELNS1_11target_archE942ELNS1_3gpuE9ELNS1_3repE0EEENS1_47radix_sort_onesweep_sort_config_static_selectorELNS0_4arch9wavefront6targetE0EEEvSG_.has_recursion, 0
	.set _ZN7rocprim17ROCPRIM_400000_NS6detail17trampoline_kernelINS0_14default_configENS1_35radix_sort_onesweep_config_selectorIjNS0_10empty_typeEEEZZNS1_29radix_sort_onesweep_iterationIS3_Lb0EPKjPjPS5_SB_mNS0_19identity_decomposerENS1_16block_id_wrapperIjLb0EEEEE10hipError_tT1_PNSt15iterator_traitsISG_E10value_typeET2_T3_PNSH_ISM_E10value_typeET4_T5_PSR_SS_PNS1_23onesweep_lookback_stateEbbT6_jjT7_P12ihipStream_tbENKUlT_T0_SG_SL_E_clIS9_SA_SB_SB_EEDaSZ_S10_SG_SL_EUlSZ_E_NS1_11comp_targetILNS1_3genE5ELNS1_11target_archE942ELNS1_3gpuE9ELNS1_3repE0EEENS1_47radix_sort_onesweep_sort_config_static_selectorELNS0_4arch9wavefront6targetE0EEEvSG_.has_indirect_call, 0
	.section	.AMDGPU.csdata,"",@progbits
; Kernel info:
; codeLenInByte = 0
; TotalNumSgprs: 0
; NumVgprs: 0
; ScratchSize: 0
; MemoryBound: 0
; FloatMode: 240
; IeeeMode: 1
; LDSByteSize: 0 bytes/workgroup (compile time only)
; SGPRBlocks: 0
; VGPRBlocks: 0
; NumSGPRsForWavesPerEU: 1
; NumVGPRsForWavesPerEU: 1
; NamedBarCnt: 0
; Occupancy: 16
; WaveLimiterHint : 0
; COMPUTE_PGM_RSRC2:SCRATCH_EN: 0
; COMPUTE_PGM_RSRC2:USER_SGPR: 2
; COMPUTE_PGM_RSRC2:TRAP_HANDLER: 0
; COMPUTE_PGM_RSRC2:TGID_X_EN: 1
; COMPUTE_PGM_RSRC2:TGID_Y_EN: 0
; COMPUTE_PGM_RSRC2:TGID_Z_EN: 0
; COMPUTE_PGM_RSRC2:TIDIG_COMP_CNT: 0
	.section	.text._ZN7rocprim17ROCPRIM_400000_NS6detail17trampoline_kernelINS0_14default_configENS1_35radix_sort_onesweep_config_selectorIjNS0_10empty_typeEEEZZNS1_29radix_sort_onesweep_iterationIS3_Lb0EPKjPjPS5_SB_mNS0_19identity_decomposerENS1_16block_id_wrapperIjLb0EEEEE10hipError_tT1_PNSt15iterator_traitsISG_E10value_typeET2_T3_PNSH_ISM_E10value_typeET4_T5_PSR_SS_PNS1_23onesweep_lookback_stateEbbT6_jjT7_P12ihipStream_tbENKUlT_T0_SG_SL_E_clIS9_SA_SB_SB_EEDaSZ_S10_SG_SL_EUlSZ_E_NS1_11comp_targetILNS1_3genE2ELNS1_11target_archE906ELNS1_3gpuE6ELNS1_3repE0EEENS1_47radix_sort_onesweep_sort_config_static_selectorELNS0_4arch9wavefront6targetE0EEEvSG_,"axG",@progbits,_ZN7rocprim17ROCPRIM_400000_NS6detail17trampoline_kernelINS0_14default_configENS1_35radix_sort_onesweep_config_selectorIjNS0_10empty_typeEEEZZNS1_29radix_sort_onesweep_iterationIS3_Lb0EPKjPjPS5_SB_mNS0_19identity_decomposerENS1_16block_id_wrapperIjLb0EEEEE10hipError_tT1_PNSt15iterator_traitsISG_E10value_typeET2_T3_PNSH_ISM_E10value_typeET4_T5_PSR_SS_PNS1_23onesweep_lookback_stateEbbT6_jjT7_P12ihipStream_tbENKUlT_T0_SG_SL_E_clIS9_SA_SB_SB_EEDaSZ_S10_SG_SL_EUlSZ_E_NS1_11comp_targetILNS1_3genE2ELNS1_11target_archE906ELNS1_3gpuE6ELNS1_3repE0EEENS1_47radix_sort_onesweep_sort_config_static_selectorELNS0_4arch9wavefront6targetE0EEEvSG_,comdat
	.protected	_ZN7rocprim17ROCPRIM_400000_NS6detail17trampoline_kernelINS0_14default_configENS1_35radix_sort_onesweep_config_selectorIjNS0_10empty_typeEEEZZNS1_29radix_sort_onesweep_iterationIS3_Lb0EPKjPjPS5_SB_mNS0_19identity_decomposerENS1_16block_id_wrapperIjLb0EEEEE10hipError_tT1_PNSt15iterator_traitsISG_E10value_typeET2_T3_PNSH_ISM_E10value_typeET4_T5_PSR_SS_PNS1_23onesweep_lookback_stateEbbT6_jjT7_P12ihipStream_tbENKUlT_T0_SG_SL_E_clIS9_SA_SB_SB_EEDaSZ_S10_SG_SL_EUlSZ_E_NS1_11comp_targetILNS1_3genE2ELNS1_11target_archE906ELNS1_3gpuE6ELNS1_3repE0EEENS1_47radix_sort_onesweep_sort_config_static_selectorELNS0_4arch9wavefront6targetE0EEEvSG_ ; -- Begin function _ZN7rocprim17ROCPRIM_400000_NS6detail17trampoline_kernelINS0_14default_configENS1_35radix_sort_onesweep_config_selectorIjNS0_10empty_typeEEEZZNS1_29radix_sort_onesweep_iterationIS3_Lb0EPKjPjPS5_SB_mNS0_19identity_decomposerENS1_16block_id_wrapperIjLb0EEEEE10hipError_tT1_PNSt15iterator_traitsISG_E10value_typeET2_T3_PNSH_ISM_E10value_typeET4_T5_PSR_SS_PNS1_23onesweep_lookback_stateEbbT6_jjT7_P12ihipStream_tbENKUlT_T0_SG_SL_E_clIS9_SA_SB_SB_EEDaSZ_S10_SG_SL_EUlSZ_E_NS1_11comp_targetILNS1_3genE2ELNS1_11target_archE906ELNS1_3gpuE6ELNS1_3repE0EEENS1_47radix_sort_onesweep_sort_config_static_selectorELNS0_4arch9wavefront6targetE0EEEvSG_
	.globl	_ZN7rocprim17ROCPRIM_400000_NS6detail17trampoline_kernelINS0_14default_configENS1_35radix_sort_onesweep_config_selectorIjNS0_10empty_typeEEEZZNS1_29radix_sort_onesweep_iterationIS3_Lb0EPKjPjPS5_SB_mNS0_19identity_decomposerENS1_16block_id_wrapperIjLb0EEEEE10hipError_tT1_PNSt15iterator_traitsISG_E10value_typeET2_T3_PNSH_ISM_E10value_typeET4_T5_PSR_SS_PNS1_23onesweep_lookback_stateEbbT6_jjT7_P12ihipStream_tbENKUlT_T0_SG_SL_E_clIS9_SA_SB_SB_EEDaSZ_S10_SG_SL_EUlSZ_E_NS1_11comp_targetILNS1_3genE2ELNS1_11target_archE906ELNS1_3gpuE6ELNS1_3repE0EEENS1_47radix_sort_onesweep_sort_config_static_selectorELNS0_4arch9wavefront6targetE0EEEvSG_
	.p2align	8
	.type	_ZN7rocprim17ROCPRIM_400000_NS6detail17trampoline_kernelINS0_14default_configENS1_35radix_sort_onesweep_config_selectorIjNS0_10empty_typeEEEZZNS1_29radix_sort_onesweep_iterationIS3_Lb0EPKjPjPS5_SB_mNS0_19identity_decomposerENS1_16block_id_wrapperIjLb0EEEEE10hipError_tT1_PNSt15iterator_traitsISG_E10value_typeET2_T3_PNSH_ISM_E10value_typeET4_T5_PSR_SS_PNS1_23onesweep_lookback_stateEbbT6_jjT7_P12ihipStream_tbENKUlT_T0_SG_SL_E_clIS9_SA_SB_SB_EEDaSZ_S10_SG_SL_EUlSZ_E_NS1_11comp_targetILNS1_3genE2ELNS1_11target_archE906ELNS1_3gpuE6ELNS1_3repE0EEENS1_47radix_sort_onesweep_sort_config_static_selectorELNS0_4arch9wavefront6targetE0EEEvSG_,@function
_ZN7rocprim17ROCPRIM_400000_NS6detail17trampoline_kernelINS0_14default_configENS1_35radix_sort_onesweep_config_selectorIjNS0_10empty_typeEEEZZNS1_29radix_sort_onesweep_iterationIS3_Lb0EPKjPjPS5_SB_mNS0_19identity_decomposerENS1_16block_id_wrapperIjLb0EEEEE10hipError_tT1_PNSt15iterator_traitsISG_E10value_typeET2_T3_PNSH_ISM_E10value_typeET4_T5_PSR_SS_PNS1_23onesweep_lookback_stateEbbT6_jjT7_P12ihipStream_tbENKUlT_T0_SG_SL_E_clIS9_SA_SB_SB_EEDaSZ_S10_SG_SL_EUlSZ_E_NS1_11comp_targetILNS1_3genE2ELNS1_11target_archE906ELNS1_3gpuE6ELNS1_3repE0EEENS1_47radix_sort_onesweep_sort_config_static_selectorELNS0_4arch9wavefront6targetE0EEEvSG_: ; @_ZN7rocprim17ROCPRIM_400000_NS6detail17trampoline_kernelINS0_14default_configENS1_35radix_sort_onesweep_config_selectorIjNS0_10empty_typeEEEZZNS1_29radix_sort_onesweep_iterationIS3_Lb0EPKjPjPS5_SB_mNS0_19identity_decomposerENS1_16block_id_wrapperIjLb0EEEEE10hipError_tT1_PNSt15iterator_traitsISG_E10value_typeET2_T3_PNSH_ISM_E10value_typeET4_T5_PSR_SS_PNS1_23onesweep_lookback_stateEbbT6_jjT7_P12ihipStream_tbENKUlT_T0_SG_SL_E_clIS9_SA_SB_SB_EEDaSZ_S10_SG_SL_EUlSZ_E_NS1_11comp_targetILNS1_3genE2ELNS1_11target_archE906ELNS1_3gpuE6ELNS1_3repE0EEENS1_47radix_sort_onesweep_sort_config_static_selectorELNS0_4arch9wavefront6targetE0EEEvSG_
; %bb.0:
	.section	.rodata,"a",@progbits
	.p2align	6, 0x0
	.amdhsa_kernel _ZN7rocprim17ROCPRIM_400000_NS6detail17trampoline_kernelINS0_14default_configENS1_35radix_sort_onesweep_config_selectorIjNS0_10empty_typeEEEZZNS1_29radix_sort_onesweep_iterationIS3_Lb0EPKjPjPS5_SB_mNS0_19identity_decomposerENS1_16block_id_wrapperIjLb0EEEEE10hipError_tT1_PNSt15iterator_traitsISG_E10value_typeET2_T3_PNSH_ISM_E10value_typeET4_T5_PSR_SS_PNS1_23onesweep_lookback_stateEbbT6_jjT7_P12ihipStream_tbENKUlT_T0_SG_SL_E_clIS9_SA_SB_SB_EEDaSZ_S10_SG_SL_EUlSZ_E_NS1_11comp_targetILNS1_3genE2ELNS1_11target_archE906ELNS1_3gpuE6ELNS1_3repE0EEENS1_47radix_sort_onesweep_sort_config_static_selectorELNS0_4arch9wavefront6targetE0EEEvSG_
		.amdhsa_group_segment_fixed_size 0
		.amdhsa_private_segment_fixed_size 0
		.amdhsa_kernarg_size 88
		.amdhsa_user_sgpr_count 2
		.amdhsa_user_sgpr_dispatch_ptr 0
		.amdhsa_user_sgpr_queue_ptr 0
		.amdhsa_user_sgpr_kernarg_segment_ptr 1
		.amdhsa_user_sgpr_dispatch_id 0
		.amdhsa_user_sgpr_kernarg_preload_length 0
		.amdhsa_user_sgpr_kernarg_preload_offset 0
		.amdhsa_user_sgpr_private_segment_size 0
		.amdhsa_wavefront_size32 1
		.amdhsa_uses_dynamic_stack 0
		.amdhsa_enable_private_segment 0
		.amdhsa_system_sgpr_workgroup_id_x 1
		.amdhsa_system_sgpr_workgroup_id_y 0
		.amdhsa_system_sgpr_workgroup_id_z 0
		.amdhsa_system_sgpr_workgroup_info 0
		.amdhsa_system_vgpr_workitem_id 0
		.amdhsa_next_free_vgpr 1
		.amdhsa_next_free_sgpr 1
		.amdhsa_named_barrier_count 0
		.amdhsa_reserve_vcc 0
		.amdhsa_float_round_mode_32 0
		.amdhsa_float_round_mode_16_64 0
		.amdhsa_float_denorm_mode_32 3
		.amdhsa_float_denorm_mode_16_64 3
		.amdhsa_fp16_overflow 0
		.amdhsa_memory_ordered 1
		.amdhsa_forward_progress 1
		.amdhsa_inst_pref_size 0
		.amdhsa_round_robin_scheduling 0
		.amdhsa_exception_fp_ieee_invalid_op 0
		.amdhsa_exception_fp_denorm_src 0
		.amdhsa_exception_fp_ieee_div_zero 0
		.amdhsa_exception_fp_ieee_overflow 0
		.amdhsa_exception_fp_ieee_underflow 0
		.amdhsa_exception_fp_ieee_inexact 0
		.amdhsa_exception_int_div_zero 0
	.end_amdhsa_kernel
	.section	.text._ZN7rocprim17ROCPRIM_400000_NS6detail17trampoline_kernelINS0_14default_configENS1_35radix_sort_onesweep_config_selectorIjNS0_10empty_typeEEEZZNS1_29radix_sort_onesweep_iterationIS3_Lb0EPKjPjPS5_SB_mNS0_19identity_decomposerENS1_16block_id_wrapperIjLb0EEEEE10hipError_tT1_PNSt15iterator_traitsISG_E10value_typeET2_T3_PNSH_ISM_E10value_typeET4_T5_PSR_SS_PNS1_23onesweep_lookback_stateEbbT6_jjT7_P12ihipStream_tbENKUlT_T0_SG_SL_E_clIS9_SA_SB_SB_EEDaSZ_S10_SG_SL_EUlSZ_E_NS1_11comp_targetILNS1_3genE2ELNS1_11target_archE906ELNS1_3gpuE6ELNS1_3repE0EEENS1_47radix_sort_onesweep_sort_config_static_selectorELNS0_4arch9wavefront6targetE0EEEvSG_,"axG",@progbits,_ZN7rocprim17ROCPRIM_400000_NS6detail17trampoline_kernelINS0_14default_configENS1_35radix_sort_onesweep_config_selectorIjNS0_10empty_typeEEEZZNS1_29radix_sort_onesweep_iterationIS3_Lb0EPKjPjPS5_SB_mNS0_19identity_decomposerENS1_16block_id_wrapperIjLb0EEEEE10hipError_tT1_PNSt15iterator_traitsISG_E10value_typeET2_T3_PNSH_ISM_E10value_typeET4_T5_PSR_SS_PNS1_23onesweep_lookback_stateEbbT6_jjT7_P12ihipStream_tbENKUlT_T0_SG_SL_E_clIS9_SA_SB_SB_EEDaSZ_S10_SG_SL_EUlSZ_E_NS1_11comp_targetILNS1_3genE2ELNS1_11target_archE906ELNS1_3gpuE6ELNS1_3repE0EEENS1_47radix_sort_onesweep_sort_config_static_selectorELNS0_4arch9wavefront6targetE0EEEvSG_,comdat
.Lfunc_end2765:
	.size	_ZN7rocprim17ROCPRIM_400000_NS6detail17trampoline_kernelINS0_14default_configENS1_35radix_sort_onesweep_config_selectorIjNS0_10empty_typeEEEZZNS1_29radix_sort_onesweep_iterationIS3_Lb0EPKjPjPS5_SB_mNS0_19identity_decomposerENS1_16block_id_wrapperIjLb0EEEEE10hipError_tT1_PNSt15iterator_traitsISG_E10value_typeET2_T3_PNSH_ISM_E10value_typeET4_T5_PSR_SS_PNS1_23onesweep_lookback_stateEbbT6_jjT7_P12ihipStream_tbENKUlT_T0_SG_SL_E_clIS9_SA_SB_SB_EEDaSZ_S10_SG_SL_EUlSZ_E_NS1_11comp_targetILNS1_3genE2ELNS1_11target_archE906ELNS1_3gpuE6ELNS1_3repE0EEENS1_47radix_sort_onesweep_sort_config_static_selectorELNS0_4arch9wavefront6targetE0EEEvSG_, .Lfunc_end2765-_ZN7rocprim17ROCPRIM_400000_NS6detail17trampoline_kernelINS0_14default_configENS1_35radix_sort_onesweep_config_selectorIjNS0_10empty_typeEEEZZNS1_29radix_sort_onesweep_iterationIS3_Lb0EPKjPjPS5_SB_mNS0_19identity_decomposerENS1_16block_id_wrapperIjLb0EEEEE10hipError_tT1_PNSt15iterator_traitsISG_E10value_typeET2_T3_PNSH_ISM_E10value_typeET4_T5_PSR_SS_PNS1_23onesweep_lookback_stateEbbT6_jjT7_P12ihipStream_tbENKUlT_T0_SG_SL_E_clIS9_SA_SB_SB_EEDaSZ_S10_SG_SL_EUlSZ_E_NS1_11comp_targetILNS1_3genE2ELNS1_11target_archE906ELNS1_3gpuE6ELNS1_3repE0EEENS1_47radix_sort_onesweep_sort_config_static_selectorELNS0_4arch9wavefront6targetE0EEEvSG_
                                        ; -- End function
	.set _ZN7rocprim17ROCPRIM_400000_NS6detail17trampoline_kernelINS0_14default_configENS1_35radix_sort_onesweep_config_selectorIjNS0_10empty_typeEEEZZNS1_29radix_sort_onesweep_iterationIS3_Lb0EPKjPjPS5_SB_mNS0_19identity_decomposerENS1_16block_id_wrapperIjLb0EEEEE10hipError_tT1_PNSt15iterator_traitsISG_E10value_typeET2_T3_PNSH_ISM_E10value_typeET4_T5_PSR_SS_PNS1_23onesweep_lookback_stateEbbT6_jjT7_P12ihipStream_tbENKUlT_T0_SG_SL_E_clIS9_SA_SB_SB_EEDaSZ_S10_SG_SL_EUlSZ_E_NS1_11comp_targetILNS1_3genE2ELNS1_11target_archE906ELNS1_3gpuE6ELNS1_3repE0EEENS1_47radix_sort_onesweep_sort_config_static_selectorELNS0_4arch9wavefront6targetE0EEEvSG_.num_vgpr, 0
	.set _ZN7rocprim17ROCPRIM_400000_NS6detail17trampoline_kernelINS0_14default_configENS1_35radix_sort_onesweep_config_selectorIjNS0_10empty_typeEEEZZNS1_29radix_sort_onesweep_iterationIS3_Lb0EPKjPjPS5_SB_mNS0_19identity_decomposerENS1_16block_id_wrapperIjLb0EEEEE10hipError_tT1_PNSt15iterator_traitsISG_E10value_typeET2_T3_PNSH_ISM_E10value_typeET4_T5_PSR_SS_PNS1_23onesweep_lookback_stateEbbT6_jjT7_P12ihipStream_tbENKUlT_T0_SG_SL_E_clIS9_SA_SB_SB_EEDaSZ_S10_SG_SL_EUlSZ_E_NS1_11comp_targetILNS1_3genE2ELNS1_11target_archE906ELNS1_3gpuE6ELNS1_3repE0EEENS1_47radix_sort_onesweep_sort_config_static_selectorELNS0_4arch9wavefront6targetE0EEEvSG_.num_agpr, 0
	.set _ZN7rocprim17ROCPRIM_400000_NS6detail17trampoline_kernelINS0_14default_configENS1_35radix_sort_onesweep_config_selectorIjNS0_10empty_typeEEEZZNS1_29radix_sort_onesweep_iterationIS3_Lb0EPKjPjPS5_SB_mNS0_19identity_decomposerENS1_16block_id_wrapperIjLb0EEEEE10hipError_tT1_PNSt15iterator_traitsISG_E10value_typeET2_T3_PNSH_ISM_E10value_typeET4_T5_PSR_SS_PNS1_23onesweep_lookback_stateEbbT6_jjT7_P12ihipStream_tbENKUlT_T0_SG_SL_E_clIS9_SA_SB_SB_EEDaSZ_S10_SG_SL_EUlSZ_E_NS1_11comp_targetILNS1_3genE2ELNS1_11target_archE906ELNS1_3gpuE6ELNS1_3repE0EEENS1_47radix_sort_onesweep_sort_config_static_selectorELNS0_4arch9wavefront6targetE0EEEvSG_.numbered_sgpr, 0
	.set _ZN7rocprim17ROCPRIM_400000_NS6detail17trampoline_kernelINS0_14default_configENS1_35radix_sort_onesweep_config_selectorIjNS0_10empty_typeEEEZZNS1_29radix_sort_onesweep_iterationIS3_Lb0EPKjPjPS5_SB_mNS0_19identity_decomposerENS1_16block_id_wrapperIjLb0EEEEE10hipError_tT1_PNSt15iterator_traitsISG_E10value_typeET2_T3_PNSH_ISM_E10value_typeET4_T5_PSR_SS_PNS1_23onesweep_lookback_stateEbbT6_jjT7_P12ihipStream_tbENKUlT_T0_SG_SL_E_clIS9_SA_SB_SB_EEDaSZ_S10_SG_SL_EUlSZ_E_NS1_11comp_targetILNS1_3genE2ELNS1_11target_archE906ELNS1_3gpuE6ELNS1_3repE0EEENS1_47radix_sort_onesweep_sort_config_static_selectorELNS0_4arch9wavefront6targetE0EEEvSG_.num_named_barrier, 0
	.set _ZN7rocprim17ROCPRIM_400000_NS6detail17trampoline_kernelINS0_14default_configENS1_35radix_sort_onesweep_config_selectorIjNS0_10empty_typeEEEZZNS1_29radix_sort_onesweep_iterationIS3_Lb0EPKjPjPS5_SB_mNS0_19identity_decomposerENS1_16block_id_wrapperIjLb0EEEEE10hipError_tT1_PNSt15iterator_traitsISG_E10value_typeET2_T3_PNSH_ISM_E10value_typeET4_T5_PSR_SS_PNS1_23onesweep_lookback_stateEbbT6_jjT7_P12ihipStream_tbENKUlT_T0_SG_SL_E_clIS9_SA_SB_SB_EEDaSZ_S10_SG_SL_EUlSZ_E_NS1_11comp_targetILNS1_3genE2ELNS1_11target_archE906ELNS1_3gpuE6ELNS1_3repE0EEENS1_47radix_sort_onesweep_sort_config_static_selectorELNS0_4arch9wavefront6targetE0EEEvSG_.private_seg_size, 0
	.set _ZN7rocprim17ROCPRIM_400000_NS6detail17trampoline_kernelINS0_14default_configENS1_35radix_sort_onesweep_config_selectorIjNS0_10empty_typeEEEZZNS1_29radix_sort_onesweep_iterationIS3_Lb0EPKjPjPS5_SB_mNS0_19identity_decomposerENS1_16block_id_wrapperIjLb0EEEEE10hipError_tT1_PNSt15iterator_traitsISG_E10value_typeET2_T3_PNSH_ISM_E10value_typeET4_T5_PSR_SS_PNS1_23onesweep_lookback_stateEbbT6_jjT7_P12ihipStream_tbENKUlT_T0_SG_SL_E_clIS9_SA_SB_SB_EEDaSZ_S10_SG_SL_EUlSZ_E_NS1_11comp_targetILNS1_3genE2ELNS1_11target_archE906ELNS1_3gpuE6ELNS1_3repE0EEENS1_47radix_sort_onesweep_sort_config_static_selectorELNS0_4arch9wavefront6targetE0EEEvSG_.uses_vcc, 0
	.set _ZN7rocprim17ROCPRIM_400000_NS6detail17trampoline_kernelINS0_14default_configENS1_35radix_sort_onesweep_config_selectorIjNS0_10empty_typeEEEZZNS1_29radix_sort_onesweep_iterationIS3_Lb0EPKjPjPS5_SB_mNS0_19identity_decomposerENS1_16block_id_wrapperIjLb0EEEEE10hipError_tT1_PNSt15iterator_traitsISG_E10value_typeET2_T3_PNSH_ISM_E10value_typeET4_T5_PSR_SS_PNS1_23onesweep_lookback_stateEbbT6_jjT7_P12ihipStream_tbENKUlT_T0_SG_SL_E_clIS9_SA_SB_SB_EEDaSZ_S10_SG_SL_EUlSZ_E_NS1_11comp_targetILNS1_3genE2ELNS1_11target_archE906ELNS1_3gpuE6ELNS1_3repE0EEENS1_47radix_sort_onesweep_sort_config_static_selectorELNS0_4arch9wavefront6targetE0EEEvSG_.uses_flat_scratch, 0
	.set _ZN7rocprim17ROCPRIM_400000_NS6detail17trampoline_kernelINS0_14default_configENS1_35radix_sort_onesweep_config_selectorIjNS0_10empty_typeEEEZZNS1_29radix_sort_onesweep_iterationIS3_Lb0EPKjPjPS5_SB_mNS0_19identity_decomposerENS1_16block_id_wrapperIjLb0EEEEE10hipError_tT1_PNSt15iterator_traitsISG_E10value_typeET2_T3_PNSH_ISM_E10value_typeET4_T5_PSR_SS_PNS1_23onesweep_lookback_stateEbbT6_jjT7_P12ihipStream_tbENKUlT_T0_SG_SL_E_clIS9_SA_SB_SB_EEDaSZ_S10_SG_SL_EUlSZ_E_NS1_11comp_targetILNS1_3genE2ELNS1_11target_archE906ELNS1_3gpuE6ELNS1_3repE0EEENS1_47radix_sort_onesweep_sort_config_static_selectorELNS0_4arch9wavefront6targetE0EEEvSG_.has_dyn_sized_stack, 0
	.set _ZN7rocprim17ROCPRIM_400000_NS6detail17trampoline_kernelINS0_14default_configENS1_35radix_sort_onesweep_config_selectorIjNS0_10empty_typeEEEZZNS1_29radix_sort_onesweep_iterationIS3_Lb0EPKjPjPS5_SB_mNS0_19identity_decomposerENS1_16block_id_wrapperIjLb0EEEEE10hipError_tT1_PNSt15iterator_traitsISG_E10value_typeET2_T3_PNSH_ISM_E10value_typeET4_T5_PSR_SS_PNS1_23onesweep_lookback_stateEbbT6_jjT7_P12ihipStream_tbENKUlT_T0_SG_SL_E_clIS9_SA_SB_SB_EEDaSZ_S10_SG_SL_EUlSZ_E_NS1_11comp_targetILNS1_3genE2ELNS1_11target_archE906ELNS1_3gpuE6ELNS1_3repE0EEENS1_47radix_sort_onesweep_sort_config_static_selectorELNS0_4arch9wavefront6targetE0EEEvSG_.has_recursion, 0
	.set _ZN7rocprim17ROCPRIM_400000_NS6detail17trampoline_kernelINS0_14default_configENS1_35radix_sort_onesweep_config_selectorIjNS0_10empty_typeEEEZZNS1_29radix_sort_onesweep_iterationIS3_Lb0EPKjPjPS5_SB_mNS0_19identity_decomposerENS1_16block_id_wrapperIjLb0EEEEE10hipError_tT1_PNSt15iterator_traitsISG_E10value_typeET2_T3_PNSH_ISM_E10value_typeET4_T5_PSR_SS_PNS1_23onesweep_lookback_stateEbbT6_jjT7_P12ihipStream_tbENKUlT_T0_SG_SL_E_clIS9_SA_SB_SB_EEDaSZ_S10_SG_SL_EUlSZ_E_NS1_11comp_targetILNS1_3genE2ELNS1_11target_archE906ELNS1_3gpuE6ELNS1_3repE0EEENS1_47radix_sort_onesweep_sort_config_static_selectorELNS0_4arch9wavefront6targetE0EEEvSG_.has_indirect_call, 0
	.section	.AMDGPU.csdata,"",@progbits
; Kernel info:
; codeLenInByte = 0
; TotalNumSgprs: 0
; NumVgprs: 0
; ScratchSize: 0
; MemoryBound: 0
; FloatMode: 240
; IeeeMode: 1
; LDSByteSize: 0 bytes/workgroup (compile time only)
; SGPRBlocks: 0
; VGPRBlocks: 0
; NumSGPRsForWavesPerEU: 1
; NumVGPRsForWavesPerEU: 1
; NamedBarCnt: 0
; Occupancy: 16
; WaveLimiterHint : 0
; COMPUTE_PGM_RSRC2:SCRATCH_EN: 0
; COMPUTE_PGM_RSRC2:USER_SGPR: 2
; COMPUTE_PGM_RSRC2:TRAP_HANDLER: 0
; COMPUTE_PGM_RSRC2:TGID_X_EN: 1
; COMPUTE_PGM_RSRC2:TGID_Y_EN: 0
; COMPUTE_PGM_RSRC2:TGID_Z_EN: 0
; COMPUTE_PGM_RSRC2:TIDIG_COMP_CNT: 0
	.section	.text._ZN7rocprim17ROCPRIM_400000_NS6detail17trampoline_kernelINS0_14default_configENS1_35radix_sort_onesweep_config_selectorIjNS0_10empty_typeEEEZZNS1_29radix_sort_onesweep_iterationIS3_Lb0EPKjPjPS5_SB_mNS0_19identity_decomposerENS1_16block_id_wrapperIjLb0EEEEE10hipError_tT1_PNSt15iterator_traitsISG_E10value_typeET2_T3_PNSH_ISM_E10value_typeET4_T5_PSR_SS_PNS1_23onesweep_lookback_stateEbbT6_jjT7_P12ihipStream_tbENKUlT_T0_SG_SL_E_clIS9_SA_SB_SB_EEDaSZ_S10_SG_SL_EUlSZ_E_NS1_11comp_targetILNS1_3genE4ELNS1_11target_archE910ELNS1_3gpuE8ELNS1_3repE0EEENS1_47radix_sort_onesweep_sort_config_static_selectorELNS0_4arch9wavefront6targetE0EEEvSG_,"axG",@progbits,_ZN7rocprim17ROCPRIM_400000_NS6detail17trampoline_kernelINS0_14default_configENS1_35radix_sort_onesweep_config_selectorIjNS0_10empty_typeEEEZZNS1_29radix_sort_onesweep_iterationIS3_Lb0EPKjPjPS5_SB_mNS0_19identity_decomposerENS1_16block_id_wrapperIjLb0EEEEE10hipError_tT1_PNSt15iterator_traitsISG_E10value_typeET2_T3_PNSH_ISM_E10value_typeET4_T5_PSR_SS_PNS1_23onesweep_lookback_stateEbbT6_jjT7_P12ihipStream_tbENKUlT_T0_SG_SL_E_clIS9_SA_SB_SB_EEDaSZ_S10_SG_SL_EUlSZ_E_NS1_11comp_targetILNS1_3genE4ELNS1_11target_archE910ELNS1_3gpuE8ELNS1_3repE0EEENS1_47radix_sort_onesweep_sort_config_static_selectorELNS0_4arch9wavefront6targetE0EEEvSG_,comdat
	.protected	_ZN7rocprim17ROCPRIM_400000_NS6detail17trampoline_kernelINS0_14default_configENS1_35radix_sort_onesweep_config_selectorIjNS0_10empty_typeEEEZZNS1_29radix_sort_onesweep_iterationIS3_Lb0EPKjPjPS5_SB_mNS0_19identity_decomposerENS1_16block_id_wrapperIjLb0EEEEE10hipError_tT1_PNSt15iterator_traitsISG_E10value_typeET2_T3_PNSH_ISM_E10value_typeET4_T5_PSR_SS_PNS1_23onesweep_lookback_stateEbbT6_jjT7_P12ihipStream_tbENKUlT_T0_SG_SL_E_clIS9_SA_SB_SB_EEDaSZ_S10_SG_SL_EUlSZ_E_NS1_11comp_targetILNS1_3genE4ELNS1_11target_archE910ELNS1_3gpuE8ELNS1_3repE0EEENS1_47radix_sort_onesweep_sort_config_static_selectorELNS0_4arch9wavefront6targetE0EEEvSG_ ; -- Begin function _ZN7rocprim17ROCPRIM_400000_NS6detail17trampoline_kernelINS0_14default_configENS1_35radix_sort_onesweep_config_selectorIjNS0_10empty_typeEEEZZNS1_29radix_sort_onesweep_iterationIS3_Lb0EPKjPjPS5_SB_mNS0_19identity_decomposerENS1_16block_id_wrapperIjLb0EEEEE10hipError_tT1_PNSt15iterator_traitsISG_E10value_typeET2_T3_PNSH_ISM_E10value_typeET4_T5_PSR_SS_PNS1_23onesweep_lookback_stateEbbT6_jjT7_P12ihipStream_tbENKUlT_T0_SG_SL_E_clIS9_SA_SB_SB_EEDaSZ_S10_SG_SL_EUlSZ_E_NS1_11comp_targetILNS1_3genE4ELNS1_11target_archE910ELNS1_3gpuE8ELNS1_3repE0EEENS1_47radix_sort_onesweep_sort_config_static_selectorELNS0_4arch9wavefront6targetE0EEEvSG_
	.globl	_ZN7rocprim17ROCPRIM_400000_NS6detail17trampoline_kernelINS0_14default_configENS1_35radix_sort_onesweep_config_selectorIjNS0_10empty_typeEEEZZNS1_29radix_sort_onesweep_iterationIS3_Lb0EPKjPjPS5_SB_mNS0_19identity_decomposerENS1_16block_id_wrapperIjLb0EEEEE10hipError_tT1_PNSt15iterator_traitsISG_E10value_typeET2_T3_PNSH_ISM_E10value_typeET4_T5_PSR_SS_PNS1_23onesweep_lookback_stateEbbT6_jjT7_P12ihipStream_tbENKUlT_T0_SG_SL_E_clIS9_SA_SB_SB_EEDaSZ_S10_SG_SL_EUlSZ_E_NS1_11comp_targetILNS1_3genE4ELNS1_11target_archE910ELNS1_3gpuE8ELNS1_3repE0EEENS1_47radix_sort_onesweep_sort_config_static_selectorELNS0_4arch9wavefront6targetE0EEEvSG_
	.p2align	8
	.type	_ZN7rocprim17ROCPRIM_400000_NS6detail17trampoline_kernelINS0_14default_configENS1_35radix_sort_onesweep_config_selectorIjNS0_10empty_typeEEEZZNS1_29radix_sort_onesweep_iterationIS3_Lb0EPKjPjPS5_SB_mNS0_19identity_decomposerENS1_16block_id_wrapperIjLb0EEEEE10hipError_tT1_PNSt15iterator_traitsISG_E10value_typeET2_T3_PNSH_ISM_E10value_typeET4_T5_PSR_SS_PNS1_23onesweep_lookback_stateEbbT6_jjT7_P12ihipStream_tbENKUlT_T0_SG_SL_E_clIS9_SA_SB_SB_EEDaSZ_S10_SG_SL_EUlSZ_E_NS1_11comp_targetILNS1_3genE4ELNS1_11target_archE910ELNS1_3gpuE8ELNS1_3repE0EEENS1_47radix_sort_onesweep_sort_config_static_selectorELNS0_4arch9wavefront6targetE0EEEvSG_,@function
_ZN7rocprim17ROCPRIM_400000_NS6detail17trampoline_kernelINS0_14default_configENS1_35radix_sort_onesweep_config_selectorIjNS0_10empty_typeEEEZZNS1_29radix_sort_onesweep_iterationIS3_Lb0EPKjPjPS5_SB_mNS0_19identity_decomposerENS1_16block_id_wrapperIjLb0EEEEE10hipError_tT1_PNSt15iterator_traitsISG_E10value_typeET2_T3_PNSH_ISM_E10value_typeET4_T5_PSR_SS_PNS1_23onesweep_lookback_stateEbbT6_jjT7_P12ihipStream_tbENKUlT_T0_SG_SL_E_clIS9_SA_SB_SB_EEDaSZ_S10_SG_SL_EUlSZ_E_NS1_11comp_targetILNS1_3genE4ELNS1_11target_archE910ELNS1_3gpuE8ELNS1_3repE0EEENS1_47radix_sort_onesweep_sort_config_static_selectorELNS0_4arch9wavefront6targetE0EEEvSG_: ; @_ZN7rocprim17ROCPRIM_400000_NS6detail17trampoline_kernelINS0_14default_configENS1_35radix_sort_onesweep_config_selectorIjNS0_10empty_typeEEEZZNS1_29radix_sort_onesweep_iterationIS3_Lb0EPKjPjPS5_SB_mNS0_19identity_decomposerENS1_16block_id_wrapperIjLb0EEEEE10hipError_tT1_PNSt15iterator_traitsISG_E10value_typeET2_T3_PNSH_ISM_E10value_typeET4_T5_PSR_SS_PNS1_23onesweep_lookback_stateEbbT6_jjT7_P12ihipStream_tbENKUlT_T0_SG_SL_E_clIS9_SA_SB_SB_EEDaSZ_S10_SG_SL_EUlSZ_E_NS1_11comp_targetILNS1_3genE4ELNS1_11target_archE910ELNS1_3gpuE8ELNS1_3repE0EEENS1_47radix_sort_onesweep_sort_config_static_selectorELNS0_4arch9wavefront6targetE0EEEvSG_
; %bb.0:
	.section	.rodata,"a",@progbits
	.p2align	6, 0x0
	.amdhsa_kernel _ZN7rocprim17ROCPRIM_400000_NS6detail17trampoline_kernelINS0_14default_configENS1_35radix_sort_onesweep_config_selectorIjNS0_10empty_typeEEEZZNS1_29radix_sort_onesweep_iterationIS3_Lb0EPKjPjPS5_SB_mNS0_19identity_decomposerENS1_16block_id_wrapperIjLb0EEEEE10hipError_tT1_PNSt15iterator_traitsISG_E10value_typeET2_T3_PNSH_ISM_E10value_typeET4_T5_PSR_SS_PNS1_23onesweep_lookback_stateEbbT6_jjT7_P12ihipStream_tbENKUlT_T0_SG_SL_E_clIS9_SA_SB_SB_EEDaSZ_S10_SG_SL_EUlSZ_E_NS1_11comp_targetILNS1_3genE4ELNS1_11target_archE910ELNS1_3gpuE8ELNS1_3repE0EEENS1_47radix_sort_onesweep_sort_config_static_selectorELNS0_4arch9wavefront6targetE0EEEvSG_
		.amdhsa_group_segment_fixed_size 0
		.amdhsa_private_segment_fixed_size 0
		.amdhsa_kernarg_size 88
		.amdhsa_user_sgpr_count 2
		.amdhsa_user_sgpr_dispatch_ptr 0
		.amdhsa_user_sgpr_queue_ptr 0
		.amdhsa_user_sgpr_kernarg_segment_ptr 1
		.amdhsa_user_sgpr_dispatch_id 0
		.amdhsa_user_sgpr_kernarg_preload_length 0
		.amdhsa_user_sgpr_kernarg_preload_offset 0
		.amdhsa_user_sgpr_private_segment_size 0
		.amdhsa_wavefront_size32 1
		.amdhsa_uses_dynamic_stack 0
		.amdhsa_enable_private_segment 0
		.amdhsa_system_sgpr_workgroup_id_x 1
		.amdhsa_system_sgpr_workgroup_id_y 0
		.amdhsa_system_sgpr_workgroup_id_z 0
		.amdhsa_system_sgpr_workgroup_info 0
		.amdhsa_system_vgpr_workitem_id 0
		.amdhsa_next_free_vgpr 1
		.amdhsa_next_free_sgpr 1
		.amdhsa_named_barrier_count 0
		.amdhsa_reserve_vcc 0
		.amdhsa_float_round_mode_32 0
		.amdhsa_float_round_mode_16_64 0
		.amdhsa_float_denorm_mode_32 3
		.amdhsa_float_denorm_mode_16_64 3
		.amdhsa_fp16_overflow 0
		.amdhsa_memory_ordered 1
		.amdhsa_forward_progress 1
		.amdhsa_inst_pref_size 0
		.amdhsa_round_robin_scheduling 0
		.amdhsa_exception_fp_ieee_invalid_op 0
		.amdhsa_exception_fp_denorm_src 0
		.amdhsa_exception_fp_ieee_div_zero 0
		.amdhsa_exception_fp_ieee_overflow 0
		.amdhsa_exception_fp_ieee_underflow 0
		.amdhsa_exception_fp_ieee_inexact 0
		.amdhsa_exception_int_div_zero 0
	.end_amdhsa_kernel
	.section	.text._ZN7rocprim17ROCPRIM_400000_NS6detail17trampoline_kernelINS0_14default_configENS1_35radix_sort_onesweep_config_selectorIjNS0_10empty_typeEEEZZNS1_29radix_sort_onesweep_iterationIS3_Lb0EPKjPjPS5_SB_mNS0_19identity_decomposerENS1_16block_id_wrapperIjLb0EEEEE10hipError_tT1_PNSt15iterator_traitsISG_E10value_typeET2_T3_PNSH_ISM_E10value_typeET4_T5_PSR_SS_PNS1_23onesweep_lookback_stateEbbT6_jjT7_P12ihipStream_tbENKUlT_T0_SG_SL_E_clIS9_SA_SB_SB_EEDaSZ_S10_SG_SL_EUlSZ_E_NS1_11comp_targetILNS1_3genE4ELNS1_11target_archE910ELNS1_3gpuE8ELNS1_3repE0EEENS1_47radix_sort_onesweep_sort_config_static_selectorELNS0_4arch9wavefront6targetE0EEEvSG_,"axG",@progbits,_ZN7rocprim17ROCPRIM_400000_NS6detail17trampoline_kernelINS0_14default_configENS1_35radix_sort_onesweep_config_selectorIjNS0_10empty_typeEEEZZNS1_29radix_sort_onesweep_iterationIS3_Lb0EPKjPjPS5_SB_mNS0_19identity_decomposerENS1_16block_id_wrapperIjLb0EEEEE10hipError_tT1_PNSt15iterator_traitsISG_E10value_typeET2_T3_PNSH_ISM_E10value_typeET4_T5_PSR_SS_PNS1_23onesweep_lookback_stateEbbT6_jjT7_P12ihipStream_tbENKUlT_T0_SG_SL_E_clIS9_SA_SB_SB_EEDaSZ_S10_SG_SL_EUlSZ_E_NS1_11comp_targetILNS1_3genE4ELNS1_11target_archE910ELNS1_3gpuE8ELNS1_3repE0EEENS1_47radix_sort_onesweep_sort_config_static_selectorELNS0_4arch9wavefront6targetE0EEEvSG_,comdat
.Lfunc_end2766:
	.size	_ZN7rocprim17ROCPRIM_400000_NS6detail17trampoline_kernelINS0_14default_configENS1_35radix_sort_onesweep_config_selectorIjNS0_10empty_typeEEEZZNS1_29radix_sort_onesweep_iterationIS3_Lb0EPKjPjPS5_SB_mNS0_19identity_decomposerENS1_16block_id_wrapperIjLb0EEEEE10hipError_tT1_PNSt15iterator_traitsISG_E10value_typeET2_T3_PNSH_ISM_E10value_typeET4_T5_PSR_SS_PNS1_23onesweep_lookback_stateEbbT6_jjT7_P12ihipStream_tbENKUlT_T0_SG_SL_E_clIS9_SA_SB_SB_EEDaSZ_S10_SG_SL_EUlSZ_E_NS1_11comp_targetILNS1_3genE4ELNS1_11target_archE910ELNS1_3gpuE8ELNS1_3repE0EEENS1_47radix_sort_onesweep_sort_config_static_selectorELNS0_4arch9wavefront6targetE0EEEvSG_, .Lfunc_end2766-_ZN7rocprim17ROCPRIM_400000_NS6detail17trampoline_kernelINS0_14default_configENS1_35radix_sort_onesweep_config_selectorIjNS0_10empty_typeEEEZZNS1_29radix_sort_onesweep_iterationIS3_Lb0EPKjPjPS5_SB_mNS0_19identity_decomposerENS1_16block_id_wrapperIjLb0EEEEE10hipError_tT1_PNSt15iterator_traitsISG_E10value_typeET2_T3_PNSH_ISM_E10value_typeET4_T5_PSR_SS_PNS1_23onesweep_lookback_stateEbbT6_jjT7_P12ihipStream_tbENKUlT_T0_SG_SL_E_clIS9_SA_SB_SB_EEDaSZ_S10_SG_SL_EUlSZ_E_NS1_11comp_targetILNS1_3genE4ELNS1_11target_archE910ELNS1_3gpuE8ELNS1_3repE0EEENS1_47radix_sort_onesweep_sort_config_static_selectorELNS0_4arch9wavefront6targetE0EEEvSG_
                                        ; -- End function
	.set _ZN7rocprim17ROCPRIM_400000_NS6detail17trampoline_kernelINS0_14default_configENS1_35radix_sort_onesweep_config_selectorIjNS0_10empty_typeEEEZZNS1_29radix_sort_onesweep_iterationIS3_Lb0EPKjPjPS5_SB_mNS0_19identity_decomposerENS1_16block_id_wrapperIjLb0EEEEE10hipError_tT1_PNSt15iterator_traitsISG_E10value_typeET2_T3_PNSH_ISM_E10value_typeET4_T5_PSR_SS_PNS1_23onesweep_lookback_stateEbbT6_jjT7_P12ihipStream_tbENKUlT_T0_SG_SL_E_clIS9_SA_SB_SB_EEDaSZ_S10_SG_SL_EUlSZ_E_NS1_11comp_targetILNS1_3genE4ELNS1_11target_archE910ELNS1_3gpuE8ELNS1_3repE0EEENS1_47radix_sort_onesweep_sort_config_static_selectorELNS0_4arch9wavefront6targetE0EEEvSG_.num_vgpr, 0
	.set _ZN7rocprim17ROCPRIM_400000_NS6detail17trampoline_kernelINS0_14default_configENS1_35radix_sort_onesweep_config_selectorIjNS0_10empty_typeEEEZZNS1_29radix_sort_onesweep_iterationIS3_Lb0EPKjPjPS5_SB_mNS0_19identity_decomposerENS1_16block_id_wrapperIjLb0EEEEE10hipError_tT1_PNSt15iterator_traitsISG_E10value_typeET2_T3_PNSH_ISM_E10value_typeET4_T5_PSR_SS_PNS1_23onesweep_lookback_stateEbbT6_jjT7_P12ihipStream_tbENKUlT_T0_SG_SL_E_clIS9_SA_SB_SB_EEDaSZ_S10_SG_SL_EUlSZ_E_NS1_11comp_targetILNS1_3genE4ELNS1_11target_archE910ELNS1_3gpuE8ELNS1_3repE0EEENS1_47radix_sort_onesweep_sort_config_static_selectorELNS0_4arch9wavefront6targetE0EEEvSG_.num_agpr, 0
	.set _ZN7rocprim17ROCPRIM_400000_NS6detail17trampoline_kernelINS0_14default_configENS1_35radix_sort_onesweep_config_selectorIjNS0_10empty_typeEEEZZNS1_29radix_sort_onesweep_iterationIS3_Lb0EPKjPjPS5_SB_mNS0_19identity_decomposerENS1_16block_id_wrapperIjLb0EEEEE10hipError_tT1_PNSt15iterator_traitsISG_E10value_typeET2_T3_PNSH_ISM_E10value_typeET4_T5_PSR_SS_PNS1_23onesweep_lookback_stateEbbT6_jjT7_P12ihipStream_tbENKUlT_T0_SG_SL_E_clIS9_SA_SB_SB_EEDaSZ_S10_SG_SL_EUlSZ_E_NS1_11comp_targetILNS1_3genE4ELNS1_11target_archE910ELNS1_3gpuE8ELNS1_3repE0EEENS1_47radix_sort_onesweep_sort_config_static_selectorELNS0_4arch9wavefront6targetE0EEEvSG_.numbered_sgpr, 0
	.set _ZN7rocprim17ROCPRIM_400000_NS6detail17trampoline_kernelINS0_14default_configENS1_35radix_sort_onesweep_config_selectorIjNS0_10empty_typeEEEZZNS1_29radix_sort_onesweep_iterationIS3_Lb0EPKjPjPS5_SB_mNS0_19identity_decomposerENS1_16block_id_wrapperIjLb0EEEEE10hipError_tT1_PNSt15iterator_traitsISG_E10value_typeET2_T3_PNSH_ISM_E10value_typeET4_T5_PSR_SS_PNS1_23onesweep_lookback_stateEbbT6_jjT7_P12ihipStream_tbENKUlT_T0_SG_SL_E_clIS9_SA_SB_SB_EEDaSZ_S10_SG_SL_EUlSZ_E_NS1_11comp_targetILNS1_3genE4ELNS1_11target_archE910ELNS1_3gpuE8ELNS1_3repE0EEENS1_47radix_sort_onesweep_sort_config_static_selectorELNS0_4arch9wavefront6targetE0EEEvSG_.num_named_barrier, 0
	.set _ZN7rocprim17ROCPRIM_400000_NS6detail17trampoline_kernelINS0_14default_configENS1_35radix_sort_onesweep_config_selectorIjNS0_10empty_typeEEEZZNS1_29radix_sort_onesweep_iterationIS3_Lb0EPKjPjPS5_SB_mNS0_19identity_decomposerENS1_16block_id_wrapperIjLb0EEEEE10hipError_tT1_PNSt15iterator_traitsISG_E10value_typeET2_T3_PNSH_ISM_E10value_typeET4_T5_PSR_SS_PNS1_23onesweep_lookback_stateEbbT6_jjT7_P12ihipStream_tbENKUlT_T0_SG_SL_E_clIS9_SA_SB_SB_EEDaSZ_S10_SG_SL_EUlSZ_E_NS1_11comp_targetILNS1_3genE4ELNS1_11target_archE910ELNS1_3gpuE8ELNS1_3repE0EEENS1_47radix_sort_onesweep_sort_config_static_selectorELNS0_4arch9wavefront6targetE0EEEvSG_.private_seg_size, 0
	.set _ZN7rocprim17ROCPRIM_400000_NS6detail17trampoline_kernelINS0_14default_configENS1_35radix_sort_onesweep_config_selectorIjNS0_10empty_typeEEEZZNS1_29radix_sort_onesweep_iterationIS3_Lb0EPKjPjPS5_SB_mNS0_19identity_decomposerENS1_16block_id_wrapperIjLb0EEEEE10hipError_tT1_PNSt15iterator_traitsISG_E10value_typeET2_T3_PNSH_ISM_E10value_typeET4_T5_PSR_SS_PNS1_23onesweep_lookback_stateEbbT6_jjT7_P12ihipStream_tbENKUlT_T0_SG_SL_E_clIS9_SA_SB_SB_EEDaSZ_S10_SG_SL_EUlSZ_E_NS1_11comp_targetILNS1_3genE4ELNS1_11target_archE910ELNS1_3gpuE8ELNS1_3repE0EEENS1_47radix_sort_onesweep_sort_config_static_selectorELNS0_4arch9wavefront6targetE0EEEvSG_.uses_vcc, 0
	.set _ZN7rocprim17ROCPRIM_400000_NS6detail17trampoline_kernelINS0_14default_configENS1_35radix_sort_onesweep_config_selectorIjNS0_10empty_typeEEEZZNS1_29radix_sort_onesweep_iterationIS3_Lb0EPKjPjPS5_SB_mNS0_19identity_decomposerENS1_16block_id_wrapperIjLb0EEEEE10hipError_tT1_PNSt15iterator_traitsISG_E10value_typeET2_T3_PNSH_ISM_E10value_typeET4_T5_PSR_SS_PNS1_23onesweep_lookback_stateEbbT6_jjT7_P12ihipStream_tbENKUlT_T0_SG_SL_E_clIS9_SA_SB_SB_EEDaSZ_S10_SG_SL_EUlSZ_E_NS1_11comp_targetILNS1_3genE4ELNS1_11target_archE910ELNS1_3gpuE8ELNS1_3repE0EEENS1_47radix_sort_onesweep_sort_config_static_selectorELNS0_4arch9wavefront6targetE0EEEvSG_.uses_flat_scratch, 0
	.set _ZN7rocprim17ROCPRIM_400000_NS6detail17trampoline_kernelINS0_14default_configENS1_35radix_sort_onesweep_config_selectorIjNS0_10empty_typeEEEZZNS1_29radix_sort_onesweep_iterationIS3_Lb0EPKjPjPS5_SB_mNS0_19identity_decomposerENS1_16block_id_wrapperIjLb0EEEEE10hipError_tT1_PNSt15iterator_traitsISG_E10value_typeET2_T3_PNSH_ISM_E10value_typeET4_T5_PSR_SS_PNS1_23onesweep_lookback_stateEbbT6_jjT7_P12ihipStream_tbENKUlT_T0_SG_SL_E_clIS9_SA_SB_SB_EEDaSZ_S10_SG_SL_EUlSZ_E_NS1_11comp_targetILNS1_3genE4ELNS1_11target_archE910ELNS1_3gpuE8ELNS1_3repE0EEENS1_47radix_sort_onesweep_sort_config_static_selectorELNS0_4arch9wavefront6targetE0EEEvSG_.has_dyn_sized_stack, 0
	.set _ZN7rocprim17ROCPRIM_400000_NS6detail17trampoline_kernelINS0_14default_configENS1_35radix_sort_onesweep_config_selectorIjNS0_10empty_typeEEEZZNS1_29radix_sort_onesweep_iterationIS3_Lb0EPKjPjPS5_SB_mNS0_19identity_decomposerENS1_16block_id_wrapperIjLb0EEEEE10hipError_tT1_PNSt15iterator_traitsISG_E10value_typeET2_T3_PNSH_ISM_E10value_typeET4_T5_PSR_SS_PNS1_23onesweep_lookback_stateEbbT6_jjT7_P12ihipStream_tbENKUlT_T0_SG_SL_E_clIS9_SA_SB_SB_EEDaSZ_S10_SG_SL_EUlSZ_E_NS1_11comp_targetILNS1_3genE4ELNS1_11target_archE910ELNS1_3gpuE8ELNS1_3repE0EEENS1_47radix_sort_onesweep_sort_config_static_selectorELNS0_4arch9wavefront6targetE0EEEvSG_.has_recursion, 0
	.set _ZN7rocprim17ROCPRIM_400000_NS6detail17trampoline_kernelINS0_14default_configENS1_35radix_sort_onesweep_config_selectorIjNS0_10empty_typeEEEZZNS1_29radix_sort_onesweep_iterationIS3_Lb0EPKjPjPS5_SB_mNS0_19identity_decomposerENS1_16block_id_wrapperIjLb0EEEEE10hipError_tT1_PNSt15iterator_traitsISG_E10value_typeET2_T3_PNSH_ISM_E10value_typeET4_T5_PSR_SS_PNS1_23onesweep_lookback_stateEbbT6_jjT7_P12ihipStream_tbENKUlT_T0_SG_SL_E_clIS9_SA_SB_SB_EEDaSZ_S10_SG_SL_EUlSZ_E_NS1_11comp_targetILNS1_3genE4ELNS1_11target_archE910ELNS1_3gpuE8ELNS1_3repE0EEENS1_47radix_sort_onesweep_sort_config_static_selectorELNS0_4arch9wavefront6targetE0EEEvSG_.has_indirect_call, 0
	.section	.AMDGPU.csdata,"",@progbits
; Kernel info:
; codeLenInByte = 0
; TotalNumSgprs: 0
; NumVgprs: 0
; ScratchSize: 0
; MemoryBound: 0
; FloatMode: 240
; IeeeMode: 1
; LDSByteSize: 0 bytes/workgroup (compile time only)
; SGPRBlocks: 0
; VGPRBlocks: 0
; NumSGPRsForWavesPerEU: 1
; NumVGPRsForWavesPerEU: 1
; NamedBarCnt: 0
; Occupancy: 16
; WaveLimiterHint : 0
; COMPUTE_PGM_RSRC2:SCRATCH_EN: 0
; COMPUTE_PGM_RSRC2:USER_SGPR: 2
; COMPUTE_PGM_RSRC2:TRAP_HANDLER: 0
; COMPUTE_PGM_RSRC2:TGID_X_EN: 1
; COMPUTE_PGM_RSRC2:TGID_Y_EN: 0
; COMPUTE_PGM_RSRC2:TGID_Z_EN: 0
; COMPUTE_PGM_RSRC2:TIDIG_COMP_CNT: 0
	.section	.text._ZN7rocprim17ROCPRIM_400000_NS6detail17trampoline_kernelINS0_14default_configENS1_35radix_sort_onesweep_config_selectorIjNS0_10empty_typeEEEZZNS1_29radix_sort_onesweep_iterationIS3_Lb0EPKjPjPS5_SB_mNS0_19identity_decomposerENS1_16block_id_wrapperIjLb0EEEEE10hipError_tT1_PNSt15iterator_traitsISG_E10value_typeET2_T3_PNSH_ISM_E10value_typeET4_T5_PSR_SS_PNS1_23onesweep_lookback_stateEbbT6_jjT7_P12ihipStream_tbENKUlT_T0_SG_SL_E_clIS9_SA_SB_SB_EEDaSZ_S10_SG_SL_EUlSZ_E_NS1_11comp_targetILNS1_3genE3ELNS1_11target_archE908ELNS1_3gpuE7ELNS1_3repE0EEENS1_47radix_sort_onesweep_sort_config_static_selectorELNS0_4arch9wavefront6targetE0EEEvSG_,"axG",@progbits,_ZN7rocprim17ROCPRIM_400000_NS6detail17trampoline_kernelINS0_14default_configENS1_35radix_sort_onesweep_config_selectorIjNS0_10empty_typeEEEZZNS1_29radix_sort_onesweep_iterationIS3_Lb0EPKjPjPS5_SB_mNS0_19identity_decomposerENS1_16block_id_wrapperIjLb0EEEEE10hipError_tT1_PNSt15iterator_traitsISG_E10value_typeET2_T3_PNSH_ISM_E10value_typeET4_T5_PSR_SS_PNS1_23onesweep_lookback_stateEbbT6_jjT7_P12ihipStream_tbENKUlT_T0_SG_SL_E_clIS9_SA_SB_SB_EEDaSZ_S10_SG_SL_EUlSZ_E_NS1_11comp_targetILNS1_3genE3ELNS1_11target_archE908ELNS1_3gpuE7ELNS1_3repE0EEENS1_47radix_sort_onesweep_sort_config_static_selectorELNS0_4arch9wavefront6targetE0EEEvSG_,comdat
	.protected	_ZN7rocprim17ROCPRIM_400000_NS6detail17trampoline_kernelINS0_14default_configENS1_35radix_sort_onesweep_config_selectorIjNS0_10empty_typeEEEZZNS1_29radix_sort_onesweep_iterationIS3_Lb0EPKjPjPS5_SB_mNS0_19identity_decomposerENS1_16block_id_wrapperIjLb0EEEEE10hipError_tT1_PNSt15iterator_traitsISG_E10value_typeET2_T3_PNSH_ISM_E10value_typeET4_T5_PSR_SS_PNS1_23onesweep_lookback_stateEbbT6_jjT7_P12ihipStream_tbENKUlT_T0_SG_SL_E_clIS9_SA_SB_SB_EEDaSZ_S10_SG_SL_EUlSZ_E_NS1_11comp_targetILNS1_3genE3ELNS1_11target_archE908ELNS1_3gpuE7ELNS1_3repE0EEENS1_47radix_sort_onesweep_sort_config_static_selectorELNS0_4arch9wavefront6targetE0EEEvSG_ ; -- Begin function _ZN7rocprim17ROCPRIM_400000_NS6detail17trampoline_kernelINS0_14default_configENS1_35radix_sort_onesweep_config_selectorIjNS0_10empty_typeEEEZZNS1_29radix_sort_onesweep_iterationIS3_Lb0EPKjPjPS5_SB_mNS0_19identity_decomposerENS1_16block_id_wrapperIjLb0EEEEE10hipError_tT1_PNSt15iterator_traitsISG_E10value_typeET2_T3_PNSH_ISM_E10value_typeET4_T5_PSR_SS_PNS1_23onesweep_lookback_stateEbbT6_jjT7_P12ihipStream_tbENKUlT_T0_SG_SL_E_clIS9_SA_SB_SB_EEDaSZ_S10_SG_SL_EUlSZ_E_NS1_11comp_targetILNS1_3genE3ELNS1_11target_archE908ELNS1_3gpuE7ELNS1_3repE0EEENS1_47radix_sort_onesweep_sort_config_static_selectorELNS0_4arch9wavefront6targetE0EEEvSG_
	.globl	_ZN7rocprim17ROCPRIM_400000_NS6detail17trampoline_kernelINS0_14default_configENS1_35radix_sort_onesweep_config_selectorIjNS0_10empty_typeEEEZZNS1_29radix_sort_onesweep_iterationIS3_Lb0EPKjPjPS5_SB_mNS0_19identity_decomposerENS1_16block_id_wrapperIjLb0EEEEE10hipError_tT1_PNSt15iterator_traitsISG_E10value_typeET2_T3_PNSH_ISM_E10value_typeET4_T5_PSR_SS_PNS1_23onesweep_lookback_stateEbbT6_jjT7_P12ihipStream_tbENKUlT_T0_SG_SL_E_clIS9_SA_SB_SB_EEDaSZ_S10_SG_SL_EUlSZ_E_NS1_11comp_targetILNS1_3genE3ELNS1_11target_archE908ELNS1_3gpuE7ELNS1_3repE0EEENS1_47radix_sort_onesweep_sort_config_static_selectorELNS0_4arch9wavefront6targetE0EEEvSG_
	.p2align	8
	.type	_ZN7rocprim17ROCPRIM_400000_NS6detail17trampoline_kernelINS0_14default_configENS1_35radix_sort_onesweep_config_selectorIjNS0_10empty_typeEEEZZNS1_29radix_sort_onesweep_iterationIS3_Lb0EPKjPjPS5_SB_mNS0_19identity_decomposerENS1_16block_id_wrapperIjLb0EEEEE10hipError_tT1_PNSt15iterator_traitsISG_E10value_typeET2_T3_PNSH_ISM_E10value_typeET4_T5_PSR_SS_PNS1_23onesweep_lookback_stateEbbT6_jjT7_P12ihipStream_tbENKUlT_T0_SG_SL_E_clIS9_SA_SB_SB_EEDaSZ_S10_SG_SL_EUlSZ_E_NS1_11comp_targetILNS1_3genE3ELNS1_11target_archE908ELNS1_3gpuE7ELNS1_3repE0EEENS1_47radix_sort_onesweep_sort_config_static_selectorELNS0_4arch9wavefront6targetE0EEEvSG_,@function
_ZN7rocprim17ROCPRIM_400000_NS6detail17trampoline_kernelINS0_14default_configENS1_35radix_sort_onesweep_config_selectorIjNS0_10empty_typeEEEZZNS1_29radix_sort_onesweep_iterationIS3_Lb0EPKjPjPS5_SB_mNS0_19identity_decomposerENS1_16block_id_wrapperIjLb0EEEEE10hipError_tT1_PNSt15iterator_traitsISG_E10value_typeET2_T3_PNSH_ISM_E10value_typeET4_T5_PSR_SS_PNS1_23onesweep_lookback_stateEbbT6_jjT7_P12ihipStream_tbENKUlT_T0_SG_SL_E_clIS9_SA_SB_SB_EEDaSZ_S10_SG_SL_EUlSZ_E_NS1_11comp_targetILNS1_3genE3ELNS1_11target_archE908ELNS1_3gpuE7ELNS1_3repE0EEENS1_47radix_sort_onesweep_sort_config_static_selectorELNS0_4arch9wavefront6targetE0EEEvSG_: ; @_ZN7rocprim17ROCPRIM_400000_NS6detail17trampoline_kernelINS0_14default_configENS1_35radix_sort_onesweep_config_selectorIjNS0_10empty_typeEEEZZNS1_29radix_sort_onesweep_iterationIS3_Lb0EPKjPjPS5_SB_mNS0_19identity_decomposerENS1_16block_id_wrapperIjLb0EEEEE10hipError_tT1_PNSt15iterator_traitsISG_E10value_typeET2_T3_PNSH_ISM_E10value_typeET4_T5_PSR_SS_PNS1_23onesweep_lookback_stateEbbT6_jjT7_P12ihipStream_tbENKUlT_T0_SG_SL_E_clIS9_SA_SB_SB_EEDaSZ_S10_SG_SL_EUlSZ_E_NS1_11comp_targetILNS1_3genE3ELNS1_11target_archE908ELNS1_3gpuE7ELNS1_3repE0EEENS1_47radix_sort_onesweep_sort_config_static_selectorELNS0_4arch9wavefront6targetE0EEEvSG_
; %bb.0:
	.section	.rodata,"a",@progbits
	.p2align	6, 0x0
	.amdhsa_kernel _ZN7rocprim17ROCPRIM_400000_NS6detail17trampoline_kernelINS0_14default_configENS1_35radix_sort_onesweep_config_selectorIjNS0_10empty_typeEEEZZNS1_29radix_sort_onesweep_iterationIS3_Lb0EPKjPjPS5_SB_mNS0_19identity_decomposerENS1_16block_id_wrapperIjLb0EEEEE10hipError_tT1_PNSt15iterator_traitsISG_E10value_typeET2_T3_PNSH_ISM_E10value_typeET4_T5_PSR_SS_PNS1_23onesweep_lookback_stateEbbT6_jjT7_P12ihipStream_tbENKUlT_T0_SG_SL_E_clIS9_SA_SB_SB_EEDaSZ_S10_SG_SL_EUlSZ_E_NS1_11comp_targetILNS1_3genE3ELNS1_11target_archE908ELNS1_3gpuE7ELNS1_3repE0EEENS1_47radix_sort_onesweep_sort_config_static_selectorELNS0_4arch9wavefront6targetE0EEEvSG_
		.amdhsa_group_segment_fixed_size 0
		.amdhsa_private_segment_fixed_size 0
		.amdhsa_kernarg_size 88
		.amdhsa_user_sgpr_count 2
		.amdhsa_user_sgpr_dispatch_ptr 0
		.amdhsa_user_sgpr_queue_ptr 0
		.amdhsa_user_sgpr_kernarg_segment_ptr 1
		.amdhsa_user_sgpr_dispatch_id 0
		.amdhsa_user_sgpr_kernarg_preload_length 0
		.amdhsa_user_sgpr_kernarg_preload_offset 0
		.amdhsa_user_sgpr_private_segment_size 0
		.amdhsa_wavefront_size32 1
		.amdhsa_uses_dynamic_stack 0
		.amdhsa_enable_private_segment 0
		.amdhsa_system_sgpr_workgroup_id_x 1
		.amdhsa_system_sgpr_workgroup_id_y 0
		.amdhsa_system_sgpr_workgroup_id_z 0
		.amdhsa_system_sgpr_workgroup_info 0
		.amdhsa_system_vgpr_workitem_id 0
		.amdhsa_next_free_vgpr 1
		.amdhsa_next_free_sgpr 1
		.amdhsa_named_barrier_count 0
		.amdhsa_reserve_vcc 0
		.amdhsa_float_round_mode_32 0
		.amdhsa_float_round_mode_16_64 0
		.amdhsa_float_denorm_mode_32 3
		.amdhsa_float_denorm_mode_16_64 3
		.amdhsa_fp16_overflow 0
		.amdhsa_memory_ordered 1
		.amdhsa_forward_progress 1
		.amdhsa_inst_pref_size 0
		.amdhsa_round_robin_scheduling 0
		.amdhsa_exception_fp_ieee_invalid_op 0
		.amdhsa_exception_fp_denorm_src 0
		.amdhsa_exception_fp_ieee_div_zero 0
		.amdhsa_exception_fp_ieee_overflow 0
		.amdhsa_exception_fp_ieee_underflow 0
		.amdhsa_exception_fp_ieee_inexact 0
		.amdhsa_exception_int_div_zero 0
	.end_amdhsa_kernel
	.section	.text._ZN7rocprim17ROCPRIM_400000_NS6detail17trampoline_kernelINS0_14default_configENS1_35radix_sort_onesweep_config_selectorIjNS0_10empty_typeEEEZZNS1_29radix_sort_onesweep_iterationIS3_Lb0EPKjPjPS5_SB_mNS0_19identity_decomposerENS1_16block_id_wrapperIjLb0EEEEE10hipError_tT1_PNSt15iterator_traitsISG_E10value_typeET2_T3_PNSH_ISM_E10value_typeET4_T5_PSR_SS_PNS1_23onesweep_lookback_stateEbbT6_jjT7_P12ihipStream_tbENKUlT_T0_SG_SL_E_clIS9_SA_SB_SB_EEDaSZ_S10_SG_SL_EUlSZ_E_NS1_11comp_targetILNS1_3genE3ELNS1_11target_archE908ELNS1_3gpuE7ELNS1_3repE0EEENS1_47radix_sort_onesweep_sort_config_static_selectorELNS0_4arch9wavefront6targetE0EEEvSG_,"axG",@progbits,_ZN7rocprim17ROCPRIM_400000_NS6detail17trampoline_kernelINS0_14default_configENS1_35radix_sort_onesweep_config_selectorIjNS0_10empty_typeEEEZZNS1_29radix_sort_onesweep_iterationIS3_Lb0EPKjPjPS5_SB_mNS0_19identity_decomposerENS1_16block_id_wrapperIjLb0EEEEE10hipError_tT1_PNSt15iterator_traitsISG_E10value_typeET2_T3_PNSH_ISM_E10value_typeET4_T5_PSR_SS_PNS1_23onesweep_lookback_stateEbbT6_jjT7_P12ihipStream_tbENKUlT_T0_SG_SL_E_clIS9_SA_SB_SB_EEDaSZ_S10_SG_SL_EUlSZ_E_NS1_11comp_targetILNS1_3genE3ELNS1_11target_archE908ELNS1_3gpuE7ELNS1_3repE0EEENS1_47radix_sort_onesweep_sort_config_static_selectorELNS0_4arch9wavefront6targetE0EEEvSG_,comdat
.Lfunc_end2767:
	.size	_ZN7rocprim17ROCPRIM_400000_NS6detail17trampoline_kernelINS0_14default_configENS1_35radix_sort_onesweep_config_selectorIjNS0_10empty_typeEEEZZNS1_29radix_sort_onesweep_iterationIS3_Lb0EPKjPjPS5_SB_mNS0_19identity_decomposerENS1_16block_id_wrapperIjLb0EEEEE10hipError_tT1_PNSt15iterator_traitsISG_E10value_typeET2_T3_PNSH_ISM_E10value_typeET4_T5_PSR_SS_PNS1_23onesweep_lookback_stateEbbT6_jjT7_P12ihipStream_tbENKUlT_T0_SG_SL_E_clIS9_SA_SB_SB_EEDaSZ_S10_SG_SL_EUlSZ_E_NS1_11comp_targetILNS1_3genE3ELNS1_11target_archE908ELNS1_3gpuE7ELNS1_3repE0EEENS1_47radix_sort_onesweep_sort_config_static_selectorELNS0_4arch9wavefront6targetE0EEEvSG_, .Lfunc_end2767-_ZN7rocprim17ROCPRIM_400000_NS6detail17trampoline_kernelINS0_14default_configENS1_35radix_sort_onesweep_config_selectorIjNS0_10empty_typeEEEZZNS1_29radix_sort_onesweep_iterationIS3_Lb0EPKjPjPS5_SB_mNS0_19identity_decomposerENS1_16block_id_wrapperIjLb0EEEEE10hipError_tT1_PNSt15iterator_traitsISG_E10value_typeET2_T3_PNSH_ISM_E10value_typeET4_T5_PSR_SS_PNS1_23onesweep_lookback_stateEbbT6_jjT7_P12ihipStream_tbENKUlT_T0_SG_SL_E_clIS9_SA_SB_SB_EEDaSZ_S10_SG_SL_EUlSZ_E_NS1_11comp_targetILNS1_3genE3ELNS1_11target_archE908ELNS1_3gpuE7ELNS1_3repE0EEENS1_47radix_sort_onesweep_sort_config_static_selectorELNS0_4arch9wavefront6targetE0EEEvSG_
                                        ; -- End function
	.set _ZN7rocprim17ROCPRIM_400000_NS6detail17trampoline_kernelINS0_14default_configENS1_35radix_sort_onesweep_config_selectorIjNS0_10empty_typeEEEZZNS1_29radix_sort_onesweep_iterationIS3_Lb0EPKjPjPS5_SB_mNS0_19identity_decomposerENS1_16block_id_wrapperIjLb0EEEEE10hipError_tT1_PNSt15iterator_traitsISG_E10value_typeET2_T3_PNSH_ISM_E10value_typeET4_T5_PSR_SS_PNS1_23onesweep_lookback_stateEbbT6_jjT7_P12ihipStream_tbENKUlT_T0_SG_SL_E_clIS9_SA_SB_SB_EEDaSZ_S10_SG_SL_EUlSZ_E_NS1_11comp_targetILNS1_3genE3ELNS1_11target_archE908ELNS1_3gpuE7ELNS1_3repE0EEENS1_47radix_sort_onesweep_sort_config_static_selectorELNS0_4arch9wavefront6targetE0EEEvSG_.num_vgpr, 0
	.set _ZN7rocprim17ROCPRIM_400000_NS6detail17trampoline_kernelINS0_14default_configENS1_35radix_sort_onesweep_config_selectorIjNS0_10empty_typeEEEZZNS1_29radix_sort_onesweep_iterationIS3_Lb0EPKjPjPS5_SB_mNS0_19identity_decomposerENS1_16block_id_wrapperIjLb0EEEEE10hipError_tT1_PNSt15iterator_traitsISG_E10value_typeET2_T3_PNSH_ISM_E10value_typeET4_T5_PSR_SS_PNS1_23onesweep_lookback_stateEbbT6_jjT7_P12ihipStream_tbENKUlT_T0_SG_SL_E_clIS9_SA_SB_SB_EEDaSZ_S10_SG_SL_EUlSZ_E_NS1_11comp_targetILNS1_3genE3ELNS1_11target_archE908ELNS1_3gpuE7ELNS1_3repE0EEENS1_47radix_sort_onesweep_sort_config_static_selectorELNS0_4arch9wavefront6targetE0EEEvSG_.num_agpr, 0
	.set _ZN7rocprim17ROCPRIM_400000_NS6detail17trampoline_kernelINS0_14default_configENS1_35radix_sort_onesweep_config_selectorIjNS0_10empty_typeEEEZZNS1_29radix_sort_onesweep_iterationIS3_Lb0EPKjPjPS5_SB_mNS0_19identity_decomposerENS1_16block_id_wrapperIjLb0EEEEE10hipError_tT1_PNSt15iterator_traitsISG_E10value_typeET2_T3_PNSH_ISM_E10value_typeET4_T5_PSR_SS_PNS1_23onesweep_lookback_stateEbbT6_jjT7_P12ihipStream_tbENKUlT_T0_SG_SL_E_clIS9_SA_SB_SB_EEDaSZ_S10_SG_SL_EUlSZ_E_NS1_11comp_targetILNS1_3genE3ELNS1_11target_archE908ELNS1_3gpuE7ELNS1_3repE0EEENS1_47radix_sort_onesweep_sort_config_static_selectorELNS0_4arch9wavefront6targetE0EEEvSG_.numbered_sgpr, 0
	.set _ZN7rocprim17ROCPRIM_400000_NS6detail17trampoline_kernelINS0_14default_configENS1_35radix_sort_onesweep_config_selectorIjNS0_10empty_typeEEEZZNS1_29radix_sort_onesweep_iterationIS3_Lb0EPKjPjPS5_SB_mNS0_19identity_decomposerENS1_16block_id_wrapperIjLb0EEEEE10hipError_tT1_PNSt15iterator_traitsISG_E10value_typeET2_T3_PNSH_ISM_E10value_typeET4_T5_PSR_SS_PNS1_23onesweep_lookback_stateEbbT6_jjT7_P12ihipStream_tbENKUlT_T0_SG_SL_E_clIS9_SA_SB_SB_EEDaSZ_S10_SG_SL_EUlSZ_E_NS1_11comp_targetILNS1_3genE3ELNS1_11target_archE908ELNS1_3gpuE7ELNS1_3repE0EEENS1_47radix_sort_onesweep_sort_config_static_selectorELNS0_4arch9wavefront6targetE0EEEvSG_.num_named_barrier, 0
	.set _ZN7rocprim17ROCPRIM_400000_NS6detail17trampoline_kernelINS0_14default_configENS1_35radix_sort_onesweep_config_selectorIjNS0_10empty_typeEEEZZNS1_29radix_sort_onesweep_iterationIS3_Lb0EPKjPjPS5_SB_mNS0_19identity_decomposerENS1_16block_id_wrapperIjLb0EEEEE10hipError_tT1_PNSt15iterator_traitsISG_E10value_typeET2_T3_PNSH_ISM_E10value_typeET4_T5_PSR_SS_PNS1_23onesweep_lookback_stateEbbT6_jjT7_P12ihipStream_tbENKUlT_T0_SG_SL_E_clIS9_SA_SB_SB_EEDaSZ_S10_SG_SL_EUlSZ_E_NS1_11comp_targetILNS1_3genE3ELNS1_11target_archE908ELNS1_3gpuE7ELNS1_3repE0EEENS1_47radix_sort_onesweep_sort_config_static_selectorELNS0_4arch9wavefront6targetE0EEEvSG_.private_seg_size, 0
	.set _ZN7rocprim17ROCPRIM_400000_NS6detail17trampoline_kernelINS0_14default_configENS1_35radix_sort_onesweep_config_selectorIjNS0_10empty_typeEEEZZNS1_29radix_sort_onesweep_iterationIS3_Lb0EPKjPjPS5_SB_mNS0_19identity_decomposerENS1_16block_id_wrapperIjLb0EEEEE10hipError_tT1_PNSt15iterator_traitsISG_E10value_typeET2_T3_PNSH_ISM_E10value_typeET4_T5_PSR_SS_PNS1_23onesweep_lookback_stateEbbT6_jjT7_P12ihipStream_tbENKUlT_T0_SG_SL_E_clIS9_SA_SB_SB_EEDaSZ_S10_SG_SL_EUlSZ_E_NS1_11comp_targetILNS1_3genE3ELNS1_11target_archE908ELNS1_3gpuE7ELNS1_3repE0EEENS1_47radix_sort_onesweep_sort_config_static_selectorELNS0_4arch9wavefront6targetE0EEEvSG_.uses_vcc, 0
	.set _ZN7rocprim17ROCPRIM_400000_NS6detail17trampoline_kernelINS0_14default_configENS1_35radix_sort_onesweep_config_selectorIjNS0_10empty_typeEEEZZNS1_29radix_sort_onesweep_iterationIS3_Lb0EPKjPjPS5_SB_mNS0_19identity_decomposerENS1_16block_id_wrapperIjLb0EEEEE10hipError_tT1_PNSt15iterator_traitsISG_E10value_typeET2_T3_PNSH_ISM_E10value_typeET4_T5_PSR_SS_PNS1_23onesweep_lookback_stateEbbT6_jjT7_P12ihipStream_tbENKUlT_T0_SG_SL_E_clIS9_SA_SB_SB_EEDaSZ_S10_SG_SL_EUlSZ_E_NS1_11comp_targetILNS1_3genE3ELNS1_11target_archE908ELNS1_3gpuE7ELNS1_3repE0EEENS1_47radix_sort_onesweep_sort_config_static_selectorELNS0_4arch9wavefront6targetE0EEEvSG_.uses_flat_scratch, 0
	.set _ZN7rocprim17ROCPRIM_400000_NS6detail17trampoline_kernelINS0_14default_configENS1_35radix_sort_onesweep_config_selectorIjNS0_10empty_typeEEEZZNS1_29radix_sort_onesweep_iterationIS3_Lb0EPKjPjPS5_SB_mNS0_19identity_decomposerENS1_16block_id_wrapperIjLb0EEEEE10hipError_tT1_PNSt15iterator_traitsISG_E10value_typeET2_T3_PNSH_ISM_E10value_typeET4_T5_PSR_SS_PNS1_23onesweep_lookback_stateEbbT6_jjT7_P12ihipStream_tbENKUlT_T0_SG_SL_E_clIS9_SA_SB_SB_EEDaSZ_S10_SG_SL_EUlSZ_E_NS1_11comp_targetILNS1_3genE3ELNS1_11target_archE908ELNS1_3gpuE7ELNS1_3repE0EEENS1_47radix_sort_onesweep_sort_config_static_selectorELNS0_4arch9wavefront6targetE0EEEvSG_.has_dyn_sized_stack, 0
	.set _ZN7rocprim17ROCPRIM_400000_NS6detail17trampoline_kernelINS0_14default_configENS1_35radix_sort_onesweep_config_selectorIjNS0_10empty_typeEEEZZNS1_29radix_sort_onesweep_iterationIS3_Lb0EPKjPjPS5_SB_mNS0_19identity_decomposerENS1_16block_id_wrapperIjLb0EEEEE10hipError_tT1_PNSt15iterator_traitsISG_E10value_typeET2_T3_PNSH_ISM_E10value_typeET4_T5_PSR_SS_PNS1_23onesweep_lookback_stateEbbT6_jjT7_P12ihipStream_tbENKUlT_T0_SG_SL_E_clIS9_SA_SB_SB_EEDaSZ_S10_SG_SL_EUlSZ_E_NS1_11comp_targetILNS1_3genE3ELNS1_11target_archE908ELNS1_3gpuE7ELNS1_3repE0EEENS1_47radix_sort_onesweep_sort_config_static_selectorELNS0_4arch9wavefront6targetE0EEEvSG_.has_recursion, 0
	.set _ZN7rocprim17ROCPRIM_400000_NS6detail17trampoline_kernelINS0_14default_configENS1_35radix_sort_onesweep_config_selectorIjNS0_10empty_typeEEEZZNS1_29radix_sort_onesweep_iterationIS3_Lb0EPKjPjPS5_SB_mNS0_19identity_decomposerENS1_16block_id_wrapperIjLb0EEEEE10hipError_tT1_PNSt15iterator_traitsISG_E10value_typeET2_T3_PNSH_ISM_E10value_typeET4_T5_PSR_SS_PNS1_23onesweep_lookback_stateEbbT6_jjT7_P12ihipStream_tbENKUlT_T0_SG_SL_E_clIS9_SA_SB_SB_EEDaSZ_S10_SG_SL_EUlSZ_E_NS1_11comp_targetILNS1_3genE3ELNS1_11target_archE908ELNS1_3gpuE7ELNS1_3repE0EEENS1_47radix_sort_onesweep_sort_config_static_selectorELNS0_4arch9wavefront6targetE0EEEvSG_.has_indirect_call, 0
	.section	.AMDGPU.csdata,"",@progbits
; Kernel info:
; codeLenInByte = 0
; TotalNumSgprs: 0
; NumVgprs: 0
; ScratchSize: 0
; MemoryBound: 0
; FloatMode: 240
; IeeeMode: 1
; LDSByteSize: 0 bytes/workgroup (compile time only)
; SGPRBlocks: 0
; VGPRBlocks: 0
; NumSGPRsForWavesPerEU: 1
; NumVGPRsForWavesPerEU: 1
; NamedBarCnt: 0
; Occupancy: 16
; WaveLimiterHint : 0
; COMPUTE_PGM_RSRC2:SCRATCH_EN: 0
; COMPUTE_PGM_RSRC2:USER_SGPR: 2
; COMPUTE_PGM_RSRC2:TRAP_HANDLER: 0
; COMPUTE_PGM_RSRC2:TGID_X_EN: 1
; COMPUTE_PGM_RSRC2:TGID_Y_EN: 0
; COMPUTE_PGM_RSRC2:TGID_Z_EN: 0
; COMPUTE_PGM_RSRC2:TIDIG_COMP_CNT: 0
	.section	.text._ZN7rocprim17ROCPRIM_400000_NS6detail17trampoline_kernelINS0_14default_configENS1_35radix_sort_onesweep_config_selectorIjNS0_10empty_typeEEEZZNS1_29radix_sort_onesweep_iterationIS3_Lb0EPKjPjPS5_SB_mNS0_19identity_decomposerENS1_16block_id_wrapperIjLb0EEEEE10hipError_tT1_PNSt15iterator_traitsISG_E10value_typeET2_T3_PNSH_ISM_E10value_typeET4_T5_PSR_SS_PNS1_23onesweep_lookback_stateEbbT6_jjT7_P12ihipStream_tbENKUlT_T0_SG_SL_E_clIS9_SA_SB_SB_EEDaSZ_S10_SG_SL_EUlSZ_E_NS1_11comp_targetILNS1_3genE10ELNS1_11target_archE1201ELNS1_3gpuE5ELNS1_3repE0EEENS1_47radix_sort_onesweep_sort_config_static_selectorELNS0_4arch9wavefront6targetE0EEEvSG_,"axG",@progbits,_ZN7rocprim17ROCPRIM_400000_NS6detail17trampoline_kernelINS0_14default_configENS1_35radix_sort_onesweep_config_selectorIjNS0_10empty_typeEEEZZNS1_29radix_sort_onesweep_iterationIS3_Lb0EPKjPjPS5_SB_mNS0_19identity_decomposerENS1_16block_id_wrapperIjLb0EEEEE10hipError_tT1_PNSt15iterator_traitsISG_E10value_typeET2_T3_PNSH_ISM_E10value_typeET4_T5_PSR_SS_PNS1_23onesweep_lookback_stateEbbT6_jjT7_P12ihipStream_tbENKUlT_T0_SG_SL_E_clIS9_SA_SB_SB_EEDaSZ_S10_SG_SL_EUlSZ_E_NS1_11comp_targetILNS1_3genE10ELNS1_11target_archE1201ELNS1_3gpuE5ELNS1_3repE0EEENS1_47radix_sort_onesweep_sort_config_static_selectorELNS0_4arch9wavefront6targetE0EEEvSG_,comdat
	.protected	_ZN7rocprim17ROCPRIM_400000_NS6detail17trampoline_kernelINS0_14default_configENS1_35radix_sort_onesweep_config_selectorIjNS0_10empty_typeEEEZZNS1_29radix_sort_onesweep_iterationIS3_Lb0EPKjPjPS5_SB_mNS0_19identity_decomposerENS1_16block_id_wrapperIjLb0EEEEE10hipError_tT1_PNSt15iterator_traitsISG_E10value_typeET2_T3_PNSH_ISM_E10value_typeET4_T5_PSR_SS_PNS1_23onesweep_lookback_stateEbbT6_jjT7_P12ihipStream_tbENKUlT_T0_SG_SL_E_clIS9_SA_SB_SB_EEDaSZ_S10_SG_SL_EUlSZ_E_NS1_11comp_targetILNS1_3genE10ELNS1_11target_archE1201ELNS1_3gpuE5ELNS1_3repE0EEENS1_47radix_sort_onesweep_sort_config_static_selectorELNS0_4arch9wavefront6targetE0EEEvSG_ ; -- Begin function _ZN7rocprim17ROCPRIM_400000_NS6detail17trampoline_kernelINS0_14default_configENS1_35radix_sort_onesweep_config_selectorIjNS0_10empty_typeEEEZZNS1_29radix_sort_onesweep_iterationIS3_Lb0EPKjPjPS5_SB_mNS0_19identity_decomposerENS1_16block_id_wrapperIjLb0EEEEE10hipError_tT1_PNSt15iterator_traitsISG_E10value_typeET2_T3_PNSH_ISM_E10value_typeET4_T5_PSR_SS_PNS1_23onesweep_lookback_stateEbbT6_jjT7_P12ihipStream_tbENKUlT_T0_SG_SL_E_clIS9_SA_SB_SB_EEDaSZ_S10_SG_SL_EUlSZ_E_NS1_11comp_targetILNS1_3genE10ELNS1_11target_archE1201ELNS1_3gpuE5ELNS1_3repE0EEENS1_47radix_sort_onesweep_sort_config_static_selectorELNS0_4arch9wavefront6targetE0EEEvSG_
	.globl	_ZN7rocprim17ROCPRIM_400000_NS6detail17trampoline_kernelINS0_14default_configENS1_35radix_sort_onesweep_config_selectorIjNS0_10empty_typeEEEZZNS1_29radix_sort_onesweep_iterationIS3_Lb0EPKjPjPS5_SB_mNS0_19identity_decomposerENS1_16block_id_wrapperIjLb0EEEEE10hipError_tT1_PNSt15iterator_traitsISG_E10value_typeET2_T3_PNSH_ISM_E10value_typeET4_T5_PSR_SS_PNS1_23onesweep_lookback_stateEbbT6_jjT7_P12ihipStream_tbENKUlT_T0_SG_SL_E_clIS9_SA_SB_SB_EEDaSZ_S10_SG_SL_EUlSZ_E_NS1_11comp_targetILNS1_3genE10ELNS1_11target_archE1201ELNS1_3gpuE5ELNS1_3repE0EEENS1_47radix_sort_onesweep_sort_config_static_selectorELNS0_4arch9wavefront6targetE0EEEvSG_
	.p2align	8
	.type	_ZN7rocprim17ROCPRIM_400000_NS6detail17trampoline_kernelINS0_14default_configENS1_35radix_sort_onesweep_config_selectorIjNS0_10empty_typeEEEZZNS1_29radix_sort_onesweep_iterationIS3_Lb0EPKjPjPS5_SB_mNS0_19identity_decomposerENS1_16block_id_wrapperIjLb0EEEEE10hipError_tT1_PNSt15iterator_traitsISG_E10value_typeET2_T3_PNSH_ISM_E10value_typeET4_T5_PSR_SS_PNS1_23onesweep_lookback_stateEbbT6_jjT7_P12ihipStream_tbENKUlT_T0_SG_SL_E_clIS9_SA_SB_SB_EEDaSZ_S10_SG_SL_EUlSZ_E_NS1_11comp_targetILNS1_3genE10ELNS1_11target_archE1201ELNS1_3gpuE5ELNS1_3repE0EEENS1_47radix_sort_onesweep_sort_config_static_selectorELNS0_4arch9wavefront6targetE0EEEvSG_,@function
_ZN7rocprim17ROCPRIM_400000_NS6detail17trampoline_kernelINS0_14default_configENS1_35radix_sort_onesweep_config_selectorIjNS0_10empty_typeEEEZZNS1_29radix_sort_onesweep_iterationIS3_Lb0EPKjPjPS5_SB_mNS0_19identity_decomposerENS1_16block_id_wrapperIjLb0EEEEE10hipError_tT1_PNSt15iterator_traitsISG_E10value_typeET2_T3_PNSH_ISM_E10value_typeET4_T5_PSR_SS_PNS1_23onesweep_lookback_stateEbbT6_jjT7_P12ihipStream_tbENKUlT_T0_SG_SL_E_clIS9_SA_SB_SB_EEDaSZ_S10_SG_SL_EUlSZ_E_NS1_11comp_targetILNS1_3genE10ELNS1_11target_archE1201ELNS1_3gpuE5ELNS1_3repE0EEENS1_47radix_sort_onesweep_sort_config_static_selectorELNS0_4arch9wavefront6targetE0EEEvSG_: ; @_ZN7rocprim17ROCPRIM_400000_NS6detail17trampoline_kernelINS0_14default_configENS1_35radix_sort_onesweep_config_selectorIjNS0_10empty_typeEEEZZNS1_29radix_sort_onesweep_iterationIS3_Lb0EPKjPjPS5_SB_mNS0_19identity_decomposerENS1_16block_id_wrapperIjLb0EEEEE10hipError_tT1_PNSt15iterator_traitsISG_E10value_typeET2_T3_PNSH_ISM_E10value_typeET4_T5_PSR_SS_PNS1_23onesweep_lookback_stateEbbT6_jjT7_P12ihipStream_tbENKUlT_T0_SG_SL_E_clIS9_SA_SB_SB_EEDaSZ_S10_SG_SL_EUlSZ_E_NS1_11comp_targetILNS1_3genE10ELNS1_11target_archE1201ELNS1_3gpuE5ELNS1_3repE0EEENS1_47radix_sort_onesweep_sort_config_static_selectorELNS0_4arch9wavefront6targetE0EEEvSG_
; %bb.0:
	.section	.rodata,"a",@progbits
	.p2align	6, 0x0
	.amdhsa_kernel _ZN7rocprim17ROCPRIM_400000_NS6detail17trampoline_kernelINS0_14default_configENS1_35radix_sort_onesweep_config_selectorIjNS0_10empty_typeEEEZZNS1_29radix_sort_onesweep_iterationIS3_Lb0EPKjPjPS5_SB_mNS0_19identity_decomposerENS1_16block_id_wrapperIjLb0EEEEE10hipError_tT1_PNSt15iterator_traitsISG_E10value_typeET2_T3_PNSH_ISM_E10value_typeET4_T5_PSR_SS_PNS1_23onesweep_lookback_stateEbbT6_jjT7_P12ihipStream_tbENKUlT_T0_SG_SL_E_clIS9_SA_SB_SB_EEDaSZ_S10_SG_SL_EUlSZ_E_NS1_11comp_targetILNS1_3genE10ELNS1_11target_archE1201ELNS1_3gpuE5ELNS1_3repE0EEENS1_47radix_sort_onesweep_sort_config_static_selectorELNS0_4arch9wavefront6targetE0EEEvSG_
		.amdhsa_group_segment_fixed_size 0
		.amdhsa_private_segment_fixed_size 0
		.amdhsa_kernarg_size 88
		.amdhsa_user_sgpr_count 2
		.amdhsa_user_sgpr_dispatch_ptr 0
		.amdhsa_user_sgpr_queue_ptr 0
		.amdhsa_user_sgpr_kernarg_segment_ptr 1
		.amdhsa_user_sgpr_dispatch_id 0
		.amdhsa_user_sgpr_kernarg_preload_length 0
		.amdhsa_user_sgpr_kernarg_preload_offset 0
		.amdhsa_user_sgpr_private_segment_size 0
		.amdhsa_wavefront_size32 1
		.amdhsa_uses_dynamic_stack 0
		.amdhsa_enable_private_segment 0
		.amdhsa_system_sgpr_workgroup_id_x 1
		.amdhsa_system_sgpr_workgroup_id_y 0
		.amdhsa_system_sgpr_workgroup_id_z 0
		.amdhsa_system_sgpr_workgroup_info 0
		.amdhsa_system_vgpr_workitem_id 0
		.amdhsa_next_free_vgpr 1
		.amdhsa_next_free_sgpr 1
		.amdhsa_named_barrier_count 0
		.amdhsa_reserve_vcc 0
		.amdhsa_float_round_mode_32 0
		.amdhsa_float_round_mode_16_64 0
		.amdhsa_float_denorm_mode_32 3
		.amdhsa_float_denorm_mode_16_64 3
		.amdhsa_fp16_overflow 0
		.amdhsa_memory_ordered 1
		.amdhsa_forward_progress 1
		.amdhsa_inst_pref_size 0
		.amdhsa_round_robin_scheduling 0
		.amdhsa_exception_fp_ieee_invalid_op 0
		.amdhsa_exception_fp_denorm_src 0
		.amdhsa_exception_fp_ieee_div_zero 0
		.amdhsa_exception_fp_ieee_overflow 0
		.amdhsa_exception_fp_ieee_underflow 0
		.amdhsa_exception_fp_ieee_inexact 0
		.amdhsa_exception_int_div_zero 0
	.end_amdhsa_kernel
	.section	.text._ZN7rocprim17ROCPRIM_400000_NS6detail17trampoline_kernelINS0_14default_configENS1_35radix_sort_onesweep_config_selectorIjNS0_10empty_typeEEEZZNS1_29radix_sort_onesweep_iterationIS3_Lb0EPKjPjPS5_SB_mNS0_19identity_decomposerENS1_16block_id_wrapperIjLb0EEEEE10hipError_tT1_PNSt15iterator_traitsISG_E10value_typeET2_T3_PNSH_ISM_E10value_typeET4_T5_PSR_SS_PNS1_23onesweep_lookback_stateEbbT6_jjT7_P12ihipStream_tbENKUlT_T0_SG_SL_E_clIS9_SA_SB_SB_EEDaSZ_S10_SG_SL_EUlSZ_E_NS1_11comp_targetILNS1_3genE10ELNS1_11target_archE1201ELNS1_3gpuE5ELNS1_3repE0EEENS1_47radix_sort_onesweep_sort_config_static_selectorELNS0_4arch9wavefront6targetE0EEEvSG_,"axG",@progbits,_ZN7rocprim17ROCPRIM_400000_NS6detail17trampoline_kernelINS0_14default_configENS1_35radix_sort_onesweep_config_selectorIjNS0_10empty_typeEEEZZNS1_29radix_sort_onesweep_iterationIS3_Lb0EPKjPjPS5_SB_mNS0_19identity_decomposerENS1_16block_id_wrapperIjLb0EEEEE10hipError_tT1_PNSt15iterator_traitsISG_E10value_typeET2_T3_PNSH_ISM_E10value_typeET4_T5_PSR_SS_PNS1_23onesweep_lookback_stateEbbT6_jjT7_P12ihipStream_tbENKUlT_T0_SG_SL_E_clIS9_SA_SB_SB_EEDaSZ_S10_SG_SL_EUlSZ_E_NS1_11comp_targetILNS1_3genE10ELNS1_11target_archE1201ELNS1_3gpuE5ELNS1_3repE0EEENS1_47radix_sort_onesweep_sort_config_static_selectorELNS0_4arch9wavefront6targetE0EEEvSG_,comdat
.Lfunc_end2768:
	.size	_ZN7rocprim17ROCPRIM_400000_NS6detail17trampoline_kernelINS0_14default_configENS1_35radix_sort_onesweep_config_selectorIjNS0_10empty_typeEEEZZNS1_29radix_sort_onesweep_iterationIS3_Lb0EPKjPjPS5_SB_mNS0_19identity_decomposerENS1_16block_id_wrapperIjLb0EEEEE10hipError_tT1_PNSt15iterator_traitsISG_E10value_typeET2_T3_PNSH_ISM_E10value_typeET4_T5_PSR_SS_PNS1_23onesweep_lookback_stateEbbT6_jjT7_P12ihipStream_tbENKUlT_T0_SG_SL_E_clIS9_SA_SB_SB_EEDaSZ_S10_SG_SL_EUlSZ_E_NS1_11comp_targetILNS1_3genE10ELNS1_11target_archE1201ELNS1_3gpuE5ELNS1_3repE0EEENS1_47radix_sort_onesweep_sort_config_static_selectorELNS0_4arch9wavefront6targetE0EEEvSG_, .Lfunc_end2768-_ZN7rocprim17ROCPRIM_400000_NS6detail17trampoline_kernelINS0_14default_configENS1_35radix_sort_onesweep_config_selectorIjNS0_10empty_typeEEEZZNS1_29radix_sort_onesweep_iterationIS3_Lb0EPKjPjPS5_SB_mNS0_19identity_decomposerENS1_16block_id_wrapperIjLb0EEEEE10hipError_tT1_PNSt15iterator_traitsISG_E10value_typeET2_T3_PNSH_ISM_E10value_typeET4_T5_PSR_SS_PNS1_23onesweep_lookback_stateEbbT6_jjT7_P12ihipStream_tbENKUlT_T0_SG_SL_E_clIS9_SA_SB_SB_EEDaSZ_S10_SG_SL_EUlSZ_E_NS1_11comp_targetILNS1_3genE10ELNS1_11target_archE1201ELNS1_3gpuE5ELNS1_3repE0EEENS1_47radix_sort_onesweep_sort_config_static_selectorELNS0_4arch9wavefront6targetE0EEEvSG_
                                        ; -- End function
	.set _ZN7rocprim17ROCPRIM_400000_NS6detail17trampoline_kernelINS0_14default_configENS1_35radix_sort_onesweep_config_selectorIjNS0_10empty_typeEEEZZNS1_29radix_sort_onesweep_iterationIS3_Lb0EPKjPjPS5_SB_mNS0_19identity_decomposerENS1_16block_id_wrapperIjLb0EEEEE10hipError_tT1_PNSt15iterator_traitsISG_E10value_typeET2_T3_PNSH_ISM_E10value_typeET4_T5_PSR_SS_PNS1_23onesweep_lookback_stateEbbT6_jjT7_P12ihipStream_tbENKUlT_T0_SG_SL_E_clIS9_SA_SB_SB_EEDaSZ_S10_SG_SL_EUlSZ_E_NS1_11comp_targetILNS1_3genE10ELNS1_11target_archE1201ELNS1_3gpuE5ELNS1_3repE0EEENS1_47radix_sort_onesweep_sort_config_static_selectorELNS0_4arch9wavefront6targetE0EEEvSG_.num_vgpr, 0
	.set _ZN7rocprim17ROCPRIM_400000_NS6detail17trampoline_kernelINS0_14default_configENS1_35radix_sort_onesweep_config_selectorIjNS0_10empty_typeEEEZZNS1_29radix_sort_onesweep_iterationIS3_Lb0EPKjPjPS5_SB_mNS0_19identity_decomposerENS1_16block_id_wrapperIjLb0EEEEE10hipError_tT1_PNSt15iterator_traitsISG_E10value_typeET2_T3_PNSH_ISM_E10value_typeET4_T5_PSR_SS_PNS1_23onesweep_lookback_stateEbbT6_jjT7_P12ihipStream_tbENKUlT_T0_SG_SL_E_clIS9_SA_SB_SB_EEDaSZ_S10_SG_SL_EUlSZ_E_NS1_11comp_targetILNS1_3genE10ELNS1_11target_archE1201ELNS1_3gpuE5ELNS1_3repE0EEENS1_47radix_sort_onesweep_sort_config_static_selectorELNS0_4arch9wavefront6targetE0EEEvSG_.num_agpr, 0
	.set _ZN7rocprim17ROCPRIM_400000_NS6detail17trampoline_kernelINS0_14default_configENS1_35radix_sort_onesweep_config_selectorIjNS0_10empty_typeEEEZZNS1_29radix_sort_onesweep_iterationIS3_Lb0EPKjPjPS5_SB_mNS0_19identity_decomposerENS1_16block_id_wrapperIjLb0EEEEE10hipError_tT1_PNSt15iterator_traitsISG_E10value_typeET2_T3_PNSH_ISM_E10value_typeET4_T5_PSR_SS_PNS1_23onesweep_lookback_stateEbbT6_jjT7_P12ihipStream_tbENKUlT_T0_SG_SL_E_clIS9_SA_SB_SB_EEDaSZ_S10_SG_SL_EUlSZ_E_NS1_11comp_targetILNS1_3genE10ELNS1_11target_archE1201ELNS1_3gpuE5ELNS1_3repE0EEENS1_47radix_sort_onesweep_sort_config_static_selectorELNS0_4arch9wavefront6targetE0EEEvSG_.numbered_sgpr, 0
	.set _ZN7rocprim17ROCPRIM_400000_NS6detail17trampoline_kernelINS0_14default_configENS1_35radix_sort_onesweep_config_selectorIjNS0_10empty_typeEEEZZNS1_29radix_sort_onesweep_iterationIS3_Lb0EPKjPjPS5_SB_mNS0_19identity_decomposerENS1_16block_id_wrapperIjLb0EEEEE10hipError_tT1_PNSt15iterator_traitsISG_E10value_typeET2_T3_PNSH_ISM_E10value_typeET4_T5_PSR_SS_PNS1_23onesweep_lookback_stateEbbT6_jjT7_P12ihipStream_tbENKUlT_T0_SG_SL_E_clIS9_SA_SB_SB_EEDaSZ_S10_SG_SL_EUlSZ_E_NS1_11comp_targetILNS1_3genE10ELNS1_11target_archE1201ELNS1_3gpuE5ELNS1_3repE0EEENS1_47radix_sort_onesweep_sort_config_static_selectorELNS0_4arch9wavefront6targetE0EEEvSG_.num_named_barrier, 0
	.set _ZN7rocprim17ROCPRIM_400000_NS6detail17trampoline_kernelINS0_14default_configENS1_35radix_sort_onesweep_config_selectorIjNS0_10empty_typeEEEZZNS1_29radix_sort_onesweep_iterationIS3_Lb0EPKjPjPS5_SB_mNS0_19identity_decomposerENS1_16block_id_wrapperIjLb0EEEEE10hipError_tT1_PNSt15iterator_traitsISG_E10value_typeET2_T3_PNSH_ISM_E10value_typeET4_T5_PSR_SS_PNS1_23onesweep_lookback_stateEbbT6_jjT7_P12ihipStream_tbENKUlT_T0_SG_SL_E_clIS9_SA_SB_SB_EEDaSZ_S10_SG_SL_EUlSZ_E_NS1_11comp_targetILNS1_3genE10ELNS1_11target_archE1201ELNS1_3gpuE5ELNS1_3repE0EEENS1_47radix_sort_onesweep_sort_config_static_selectorELNS0_4arch9wavefront6targetE0EEEvSG_.private_seg_size, 0
	.set _ZN7rocprim17ROCPRIM_400000_NS6detail17trampoline_kernelINS0_14default_configENS1_35radix_sort_onesweep_config_selectorIjNS0_10empty_typeEEEZZNS1_29radix_sort_onesweep_iterationIS3_Lb0EPKjPjPS5_SB_mNS0_19identity_decomposerENS1_16block_id_wrapperIjLb0EEEEE10hipError_tT1_PNSt15iterator_traitsISG_E10value_typeET2_T3_PNSH_ISM_E10value_typeET4_T5_PSR_SS_PNS1_23onesweep_lookback_stateEbbT6_jjT7_P12ihipStream_tbENKUlT_T0_SG_SL_E_clIS9_SA_SB_SB_EEDaSZ_S10_SG_SL_EUlSZ_E_NS1_11comp_targetILNS1_3genE10ELNS1_11target_archE1201ELNS1_3gpuE5ELNS1_3repE0EEENS1_47radix_sort_onesweep_sort_config_static_selectorELNS0_4arch9wavefront6targetE0EEEvSG_.uses_vcc, 0
	.set _ZN7rocprim17ROCPRIM_400000_NS6detail17trampoline_kernelINS0_14default_configENS1_35radix_sort_onesweep_config_selectorIjNS0_10empty_typeEEEZZNS1_29radix_sort_onesweep_iterationIS3_Lb0EPKjPjPS5_SB_mNS0_19identity_decomposerENS1_16block_id_wrapperIjLb0EEEEE10hipError_tT1_PNSt15iterator_traitsISG_E10value_typeET2_T3_PNSH_ISM_E10value_typeET4_T5_PSR_SS_PNS1_23onesweep_lookback_stateEbbT6_jjT7_P12ihipStream_tbENKUlT_T0_SG_SL_E_clIS9_SA_SB_SB_EEDaSZ_S10_SG_SL_EUlSZ_E_NS1_11comp_targetILNS1_3genE10ELNS1_11target_archE1201ELNS1_3gpuE5ELNS1_3repE0EEENS1_47radix_sort_onesweep_sort_config_static_selectorELNS0_4arch9wavefront6targetE0EEEvSG_.uses_flat_scratch, 0
	.set _ZN7rocprim17ROCPRIM_400000_NS6detail17trampoline_kernelINS0_14default_configENS1_35radix_sort_onesweep_config_selectorIjNS0_10empty_typeEEEZZNS1_29radix_sort_onesweep_iterationIS3_Lb0EPKjPjPS5_SB_mNS0_19identity_decomposerENS1_16block_id_wrapperIjLb0EEEEE10hipError_tT1_PNSt15iterator_traitsISG_E10value_typeET2_T3_PNSH_ISM_E10value_typeET4_T5_PSR_SS_PNS1_23onesweep_lookback_stateEbbT6_jjT7_P12ihipStream_tbENKUlT_T0_SG_SL_E_clIS9_SA_SB_SB_EEDaSZ_S10_SG_SL_EUlSZ_E_NS1_11comp_targetILNS1_3genE10ELNS1_11target_archE1201ELNS1_3gpuE5ELNS1_3repE0EEENS1_47radix_sort_onesweep_sort_config_static_selectorELNS0_4arch9wavefront6targetE0EEEvSG_.has_dyn_sized_stack, 0
	.set _ZN7rocprim17ROCPRIM_400000_NS6detail17trampoline_kernelINS0_14default_configENS1_35radix_sort_onesweep_config_selectorIjNS0_10empty_typeEEEZZNS1_29radix_sort_onesweep_iterationIS3_Lb0EPKjPjPS5_SB_mNS0_19identity_decomposerENS1_16block_id_wrapperIjLb0EEEEE10hipError_tT1_PNSt15iterator_traitsISG_E10value_typeET2_T3_PNSH_ISM_E10value_typeET4_T5_PSR_SS_PNS1_23onesweep_lookback_stateEbbT6_jjT7_P12ihipStream_tbENKUlT_T0_SG_SL_E_clIS9_SA_SB_SB_EEDaSZ_S10_SG_SL_EUlSZ_E_NS1_11comp_targetILNS1_3genE10ELNS1_11target_archE1201ELNS1_3gpuE5ELNS1_3repE0EEENS1_47radix_sort_onesweep_sort_config_static_selectorELNS0_4arch9wavefront6targetE0EEEvSG_.has_recursion, 0
	.set _ZN7rocprim17ROCPRIM_400000_NS6detail17trampoline_kernelINS0_14default_configENS1_35radix_sort_onesweep_config_selectorIjNS0_10empty_typeEEEZZNS1_29radix_sort_onesweep_iterationIS3_Lb0EPKjPjPS5_SB_mNS0_19identity_decomposerENS1_16block_id_wrapperIjLb0EEEEE10hipError_tT1_PNSt15iterator_traitsISG_E10value_typeET2_T3_PNSH_ISM_E10value_typeET4_T5_PSR_SS_PNS1_23onesweep_lookback_stateEbbT6_jjT7_P12ihipStream_tbENKUlT_T0_SG_SL_E_clIS9_SA_SB_SB_EEDaSZ_S10_SG_SL_EUlSZ_E_NS1_11comp_targetILNS1_3genE10ELNS1_11target_archE1201ELNS1_3gpuE5ELNS1_3repE0EEENS1_47radix_sort_onesweep_sort_config_static_selectorELNS0_4arch9wavefront6targetE0EEEvSG_.has_indirect_call, 0
	.section	.AMDGPU.csdata,"",@progbits
; Kernel info:
; codeLenInByte = 0
; TotalNumSgprs: 0
; NumVgprs: 0
; ScratchSize: 0
; MemoryBound: 0
; FloatMode: 240
; IeeeMode: 1
; LDSByteSize: 0 bytes/workgroup (compile time only)
; SGPRBlocks: 0
; VGPRBlocks: 0
; NumSGPRsForWavesPerEU: 1
; NumVGPRsForWavesPerEU: 1
; NamedBarCnt: 0
; Occupancy: 16
; WaveLimiterHint : 0
; COMPUTE_PGM_RSRC2:SCRATCH_EN: 0
; COMPUTE_PGM_RSRC2:USER_SGPR: 2
; COMPUTE_PGM_RSRC2:TRAP_HANDLER: 0
; COMPUTE_PGM_RSRC2:TGID_X_EN: 1
; COMPUTE_PGM_RSRC2:TGID_Y_EN: 0
; COMPUTE_PGM_RSRC2:TGID_Z_EN: 0
; COMPUTE_PGM_RSRC2:TIDIG_COMP_CNT: 0
	.section	.text._ZN7rocprim17ROCPRIM_400000_NS6detail17trampoline_kernelINS0_14default_configENS1_35radix_sort_onesweep_config_selectorIjNS0_10empty_typeEEEZZNS1_29radix_sort_onesweep_iterationIS3_Lb0EPKjPjPS5_SB_mNS0_19identity_decomposerENS1_16block_id_wrapperIjLb0EEEEE10hipError_tT1_PNSt15iterator_traitsISG_E10value_typeET2_T3_PNSH_ISM_E10value_typeET4_T5_PSR_SS_PNS1_23onesweep_lookback_stateEbbT6_jjT7_P12ihipStream_tbENKUlT_T0_SG_SL_E_clIS9_SA_SB_SB_EEDaSZ_S10_SG_SL_EUlSZ_E_NS1_11comp_targetILNS1_3genE9ELNS1_11target_archE1100ELNS1_3gpuE3ELNS1_3repE0EEENS1_47radix_sort_onesweep_sort_config_static_selectorELNS0_4arch9wavefront6targetE0EEEvSG_,"axG",@progbits,_ZN7rocprim17ROCPRIM_400000_NS6detail17trampoline_kernelINS0_14default_configENS1_35radix_sort_onesweep_config_selectorIjNS0_10empty_typeEEEZZNS1_29radix_sort_onesweep_iterationIS3_Lb0EPKjPjPS5_SB_mNS0_19identity_decomposerENS1_16block_id_wrapperIjLb0EEEEE10hipError_tT1_PNSt15iterator_traitsISG_E10value_typeET2_T3_PNSH_ISM_E10value_typeET4_T5_PSR_SS_PNS1_23onesweep_lookback_stateEbbT6_jjT7_P12ihipStream_tbENKUlT_T0_SG_SL_E_clIS9_SA_SB_SB_EEDaSZ_S10_SG_SL_EUlSZ_E_NS1_11comp_targetILNS1_3genE9ELNS1_11target_archE1100ELNS1_3gpuE3ELNS1_3repE0EEENS1_47radix_sort_onesweep_sort_config_static_selectorELNS0_4arch9wavefront6targetE0EEEvSG_,comdat
	.protected	_ZN7rocprim17ROCPRIM_400000_NS6detail17trampoline_kernelINS0_14default_configENS1_35radix_sort_onesweep_config_selectorIjNS0_10empty_typeEEEZZNS1_29radix_sort_onesweep_iterationIS3_Lb0EPKjPjPS5_SB_mNS0_19identity_decomposerENS1_16block_id_wrapperIjLb0EEEEE10hipError_tT1_PNSt15iterator_traitsISG_E10value_typeET2_T3_PNSH_ISM_E10value_typeET4_T5_PSR_SS_PNS1_23onesweep_lookback_stateEbbT6_jjT7_P12ihipStream_tbENKUlT_T0_SG_SL_E_clIS9_SA_SB_SB_EEDaSZ_S10_SG_SL_EUlSZ_E_NS1_11comp_targetILNS1_3genE9ELNS1_11target_archE1100ELNS1_3gpuE3ELNS1_3repE0EEENS1_47radix_sort_onesweep_sort_config_static_selectorELNS0_4arch9wavefront6targetE0EEEvSG_ ; -- Begin function _ZN7rocprim17ROCPRIM_400000_NS6detail17trampoline_kernelINS0_14default_configENS1_35radix_sort_onesweep_config_selectorIjNS0_10empty_typeEEEZZNS1_29radix_sort_onesweep_iterationIS3_Lb0EPKjPjPS5_SB_mNS0_19identity_decomposerENS1_16block_id_wrapperIjLb0EEEEE10hipError_tT1_PNSt15iterator_traitsISG_E10value_typeET2_T3_PNSH_ISM_E10value_typeET4_T5_PSR_SS_PNS1_23onesweep_lookback_stateEbbT6_jjT7_P12ihipStream_tbENKUlT_T0_SG_SL_E_clIS9_SA_SB_SB_EEDaSZ_S10_SG_SL_EUlSZ_E_NS1_11comp_targetILNS1_3genE9ELNS1_11target_archE1100ELNS1_3gpuE3ELNS1_3repE0EEENS1_47radix_sort_onesweep_sort_config_static_selectorELNS0_4arch9wavefront6targetE0EEEvSG_
	.globl	_ZN7rocprim17ROCPRIM_400000_NS6detail17trampoline_kernelINS0_14default_configENS1_35radix_sort_onesweep_config_selectorIjNS0_10empty_typeEEEZZNS1_29radix_sort_onesweep_iterationIS3_Lb0EPKjPjPS5_SB_mNS0_19identity_decomposerENS1_16block_id_wrapperIjLb0EEEEE10hipError_tT1_PNSt15iterator_traitsISG_E10value_typeET2_T3_PNSH_ISM_E10value_typeET4_T5_PSR_SS_PNS1_23onesweep_lookback_stateEbbT6_jjT7_P12ihipStream_tbENKUlT_T0_SG_SL_E_clIS9_SA_SB_SB_EEDaSZ_S10_SG_SL_EUlSZ_E_NS1_11comp_targetILNS1_3genE9ELNS1_11target_archE1100ELNS1_3gpuE3ELNS1_3repE0EEENS1_47radix_sort_onesweep_sort_config_static_selectorELNS0_4arch9wavefront6targetE0EEEvSG_
	.p2align	8
	.type	_ZN7rocprim17ROCPRIM_400000_NS6detail17trampoline_kernelINS0_14default_configENS1_35radix_sort_onesweep_config_selectorIjNS0_10empty_typeEEEZZNS1_29radix_sort_onesweep_iterationIS3_Lb0EPKjPjPS5_SB_mNS0_19identity_decomposerENS1_16block_id_wrapperIjLb0EEEEE10hipError_tT1_PNSt15iterator_traitsISG_E10value_typeET2_T3_PNSH_ISM_E10value_typeET4_T5_PSR_SS_PNS1_23onesweep_lookback_stateEbbT6_jjT7_P12ihipStream_tbENKUlT_T0_SG_SL_E_clIS9_SA_SB_SB_EEDaSZ_S10_SG_SL_EUlSZ_E_NS1_11comp_targetILNS1_3genE9ELNS1_11target_archE1100ELNS1_3gpuE3ELNS1_3repE0EEENS1_47radix_sort_onesweep_sort_config_static_selectorELNS0_4arch9wavefront6targetE0EEEvSG_,@function
_ZN7rocprim17ROCPRIM_400000_NS6detail17trampoline_kernelINS0_14default_configENS1_35radix_sort_onesweep_config_selectorIjNS0_10empty_typeEEEZZNS1_29radix_sort_onesweep_iterationIS3_Lb0EPKjPjPS5_SB_mNS0_19identity_decomposerENS1_16block_id_wrapperIjLb0EEEEE10hipError_tT1_PNSt15iterator_traitsISG_E10value_typeET2_T3_PNSH_ISM_E10value_typeET4_T5_PSR_SS_PNS1_23onesweep_lookback_stateEbbT6_jjT7_P12ihipStream_tbENKUlT_T0_SG_SL_E_clIS9_SA_SB_SB_EEDaSZ_S10_SG_SL_EUlSZ_E_NS1_11comp_targetILNS1_3genE9ELNS1_11target_archE1100ELNS1_3gpuE3ELNS1_3repE0EEENS1_47radix_sort_onesweep_sort_config_static_selectorELNS0_4arch9wavefront6targetE0EEEvSG_: ; @_ZN7rocprim17ROCPRIM_400000_NS6detail17trampoline_kernelINS0_14default_configENS1_35radix_sort_onesweep_config_selectorIjNS0_10empty_typeEEEZZNS1_29radix_sort_onesweep_iterationIS3_Lb0EPKjPjPS5_SB_mNS0_19identity_decomposerENS1_16block_id_wrapperIjLb0EEEEE10hipError_tT1_PNSt15iterator_traitsISG_E10value_typeET2_T3_PNSH_ISM_E10value_typeET4_T5_PSR_SS_PNS1_23onesweep_lookback_stateEbbT6_jjT7_P12ihipStream_tbENKUlT_T0_SG_SL_E_clIS9_SA_SB_SB_EEDaSZ_S10_SG_SL_EUlSZ_E_NS1_11comp_targetILNS1_3genE9ELNS1_11target_archE1100ELNS1_3gpuE3ELNS1_3repE0EEENS1_47radix_sort_onesweep_sort_config_static_selectorELNS0_4arch9wavefront6targetE0EEEvSG_
; %bb.0:
	.section	.rodata,"a",@progbits
	.p2align	6, 0x0
	.amdhsa_kernel _ZN7rocprim17ROCPRIM_400000_NS6detail17trampoline_kernelINS0_14default_configENS1_35radix_sort_onesweep_config_selectorIjNS0_10empty_typeEEEZZNS1_29radix_sort_onesweep_iterationIS3_Lb0EPKjPjPS5_SB_mNS0_19identity_decomposerENS1_16block_id_wrapperIjLb0EEEEE10hipError_tT1_PNSt15iterator_traitsISG_E10value_typeET2_T3_PNSH_ISM_E10value_typeET4_T5_PSR_SS_PNS1_23onesweep_lookback_stateEbbT6_jjT7_P12ihipStream_tbENKUlT_T0_SG_SL_E_clIS9_SA_SB_SB_EEDaSZ_S10_SG_SL_EUlSZ_E_NS1_11comp_targetILNS1_3genE9ELNS1_11target_archE1100ELNS1_3gpuE3ELNS1_3repE0EEENS1_47radix_sort_onesweep_sort_config_static_selectorELNS0_4arch9wavefront6targetE0EEEvSG_
		.amdhsa_group_segment_fixed_size 0
		.amdhsa_private_segment_fixed_size 0
		.amdhsa_kernarg_size 88
		.amdhsa_user_sgpr_count 2
		.amdhsa_user_sgpr_dispatch_ptr 0
		.amdhsa_user_sgpr_queue_ptr 0
		.amdhsa_user_sgpr_kernarg_segment_ptr 1
		.amdhsa_user_sgpr_dispatch_id 0
		.amdhsa_user_sgpr_kernarg_preload_length 0
		.amdhsa_user_sgpr_kernarg_preload_offset 0
		.amdhsa_user_sgpr_private_segment_size 0
		.amdhsa_wavefront_size32 1
		.amdhsa_uses_dynamic_stack 0
		.amdhsa_enable_private_segment 0
		.amdhsa_system_sgpr_workgroup_id_x 1
		.amdhsa_system_sgpr_workgroup_id_y 0
		.amdhsa_system_sgpr_workgroup_id_z 0
		.amdhsa_system_sgpr_workgroup_info 0
		.amdhsa_system_vgpr_workitem_id 0
		.amdhsa_next_free_vgpr 1
		.amdhsa_next_free_sgpr 1
		.amdhsa_named_barrier_count 0
		.amdhsa_reserve_vcc 0
		.amdhsa_float_round_mode_32 0
		.amdhsa_float_round_mode_16_64 0
		.amdhsa_float_denorm_mode_32 3
		.amdhsa_float_denorm_mode_16_64 3
		.amdhsa_fp16_overflow 0
		.amdhsa_memory_ordered 1
		.amdhsa_forward_progress 1
		.amdhsa_inst_pref_size 0
		.amdhsa_round_robin_scheduling 0
		.amdhsa_exception_fp_ieee_invalid_op 0
		.amdhsa_exception_fp_denorm_src 0
		.amdhsa_exception_fp_ieee_div_zero 0
		.amdhsa_exception_fp_ieee_overflow 0
		.amdhsa_exception_fp_ieee_underflow 0
		.amdhsa_exception_fp_ieee_inexact 0
		.amdhsa_exception_int_div_zero 0
	.end_amdhsa_kernel
	.section	.text._ZN7rocprim17ROCPRIM_400000_NS6detail17trampoline_kernelINS0_14default_configENS1_35radix_sort_onesweep_config_selectorIjNS0_10empty_typeEEEZZNS1_29radix_sort_onesweep_iterationIS3_Lb0EPKjPjPS5_SB_mNS0_19identity_decomposerENS1_16block_id_wrapperIjLb0EEEEE10hipError_tT1_PNSt15iterator_traitsISG_E10value_typeET2_T3_PNSH_ISM_E10value_typeET4_T5_PSR_SS_PNS1_23onesweep_lookback_stateEbbT6_jjT7_P12ihipStream_tbENKUlT_T0_SG_SL_E_clIS9_SA_SB_SB_EEDaSZ_S10_SG_SL_EUlSZ_E_NS1_11comp_targetILNS1_3genE9ELNS1_11target_archE1100ELNS1_3gpuE3ELNS1_3repE0EEENS1_47radix_sort_onesweep_sort_config_static_selectorELNS0_4arch9wavefront6targetE0EEEvSG_,"axG",@progbits,_ZN7rocprim17ROCPRIM_400000_NS6detail17trampoline_kernelINS0_14default_configENS1_35radix_sort_onesweep_config_selectorIjNS0_10empty_typeEEEZZNS1_29radix_sort_onesweep_iterationIS3_Lb0EPKjPjPS5_SB_mNS0_19identity_decomposerENS1_16block_id_wrapperIjLb0EEEEE10hipError_tT1_PNSt15iterator_traitsISG_E10value_typeET2_T3_PNSH_ISM_E10value_typeET4_T5_PSR_SS_PNS1_23onesweep_lookback_stateEbbT6_jjT7_P12ihipStream_tbENKUlT_T0_SG_SL_E_clIS9_SA_SB_SB_EEDaSZ_S10_SG_SL_EUlSZ_E_NS1_11comp_targetILNS1_3genE9ELNS1_11target_archE1100ELNS1_3gpuE3ELNS1_3repE0EEENS1_47radix_sort_onesweep_sort_config_static_selectorELNS0_4arch9wavefront6targetE0EEEvSG_,comdat
.Lfunc_end2769:
	.size	_ZN7rocprim17ROCPRIM_400000_NS6detail17trampoline_kernelINS0_14default_configENS1_35radix_sort_onesweep_config_selectorIjNS0_10empty_typeEEEZZNS1_29radix_sort_onesweep_iterationIS3_Lb0EPKjPjPS5_SB_mNS0_19identity_decomposerENS1_16block_id_wrapperIjLb0EEEEE10hipError_tT1_PNSt15iterator_traitsISG_E10value_typeET2_T3_PNSH_ISM_E10value_typeET4_T5_PSR_SS_PNS1_23onesweep_lookback_stateEbbT6_jjT7_P12ihipStream_tbENKUlT_T0_SG_SL_E_clIS9_SA_SB_SB_EEDaSZ_S10_SG_SL_EUlSZ_E_NS1_11comp_targetILNS1_3genE9ELNS1_11target_archE1100ELNS1_3gpuE3ELNS1_3repE0EEENS1_47radix_sort_onesweep_sort_config_static_selectorELNS0_4arch9wavefront6targetE0EEEvSG_, .Lfunc_end2769-_ZN7rocprim17ROCPRIM_400000_NS6detail17trampoline_kernelINS0_14default_configENS1_35radix_sort_onesweep_config_selectorIjNS0_10empty_typeEEEZZNS1_29radix_sort_onesweep_iterationIS3_Lb0EPKjPjPS5_SB_mNS0_19identity_decomposerENS1_16block_id_wrapperIjLb0EEEEE10hipError_tT1_PNSt15iterator_traitsISG_E10value_typeET2_T3_PNSH_ISM_E10value_typeET4_T5_PSR_SS_PNS1_23onesweep_lookback_stateEbbT6_jjT7_P12ihipStream_tbENKUlT_T0_SG_SL_E_clIS9_SA_SB_SB_EEDaSZ_S10_SG_SL_EUlSZ_E_NS1_11comp_targetILNS1_3genE9ELNS1_11target_archE1100ELNS1_3gpuE3ELNS1_3repE0EEENS1_47radix_sort_onesweep_sort_config_static_selectorELNS0_4arch9wavefront6targetE0EEEvSG_
                                        ; -- End function
	.set _ZN7rocprim17ROCPRIM_400000_NS6detail17trampoline_kernelINS0_14default_configENS1_35radix_sort_onesweep_config_selectorIjNS0_10empty_typeEEEZZNS1_29radix_sort_onesweep_iterationIS3_Lb0EPKjPjPS5_SB_mNS0_19identity_decomposerENS1_16block_id_wrapperIjLb0EEEEE10hipError_tT1_PNSt15iterator_traitsISG_E10value_typeET2_T3_PNSH_ISM_E10value_typeET4_T5_PSR_SS_PNS1_23onesweep_lookback_stateEbbT6_jjT7_P12ihipStream_tbENKUlT_T0_SG_SL_E_clIS9_SA_SB_SB_EEDaSZ_S10_SG_SL_EUlSZ_E_NS1_11comp_targetILNS1_3genE9ELNS1_11target_archE1100ELNS1_3gpuE3ELNS1_3repE0EEENS1_47radix_sort_onesweep_sort_config_static_selectorELNS0_4arch9wavefront6targetE0EEEvSG_.num_vgpr, 0
	.set _ZN7rocprim17ROCPRIM_400000_NS6detail17trampoline_kernelINS0_14default_configENS1_35radix_sort_onesweep_config_selectorIjNS0_10empty_typeEEEZZNS1_29radix_sort_onesweep_iterationIS3_Lb0EPKjPjPS5_SB_mNS0_19identity_decomposerENS1_16block_id_wrapperIjLb0EEEEE10hipError_tT1_PNSt15iterator_traitsISG_E10value_typeET2_T3_PNSH_ISM_E10value_typeET4_T5_PSR_SS_PNS1_23onesweep_lookback_stateEbbT6_jjT7_P12ihipStream_tbENKUlT_T0_SG_SL_E_clIS9_SA_SB_SB_EEDaSZ_S10_SG_SL_EUlSZ_E_NS1_11comp_targetILNS1_3genE9ELNS1_11target_archE1100ELNS1_3gpuE3ELNS1_3repE0EEENS1_47radix_sort_onesweep_sort_config_static_selectorELNS0_4arch9wavefront6targetE0EEEvSG_.num_agpr, 0
	.set _ZN7rocprim17ROCPRIM_400000_NS6detail17trampoline_kernelINS0_14default_configENS1_35radix_sort_onesweep_config_selectorIjNS0_10empty_typeEEEZZNS1_29radix_sort_onesweep_iterationIS3_Lb0EPKjPjPS5_SB_mNS0_19identity_decomposerENS1_16block_id_wrapperIjLb0EEEEE10hipError_tT1_PNSt15iterator_traitsISG_E10value_typeET2_T3_PNSH_ISM_E10value_typeET4_T5_PSR_SS_PNS1_23onesweep_lookback_stateEbbT6_jjT7_P12ihipStream_tbENKUlT_T0_SG_SL_E_clIS9_SA_SB_SB_EEDaSZ_S10_SG_SL_EUlSZ_E_NS1_11comp_targetILNS1_3genE9ELNS1_11target_archE1100ELNS1_3gpuE3ELNS1_3repE0EEENS1_47radix_sort_onesweep_sort_config_static_selectorELNS0_4arch9wavefront6targetE0EEEvSG_.numbered_sgpr, 0
	.set _ZN7rocprim17ROCPRIM_400000_NS6detail17trampoline_kernelINS0_14default_configENS1_35radix_sort_onesweep_config_selectorIjNS0_10empty_typeEEEZZNS1_29radix_sort_onesweep_iterationIS3_Lb0EPKjPjPS5_SB_mNS0_19identity_decomposerENS1_16block_id_wrapperIjLb0EEEEE10hipError_tT1_PNSt15iterator_traitsISG_E10value_typeET2_T3_PNSH_ISM_E10value_typeET4_T5_PSR_SS_PNS1_23onesweep_lookback_stateEbbT6_jjT7_P12ihipStream_tbENKUlT_T0_SG_SL_E_clIS9_SA_SB_SB_EEDaSZ_S10_SG_SL_EUlSZ_E_NS1_11comp_targetILNS1_3genE9ELNS1_11target_archE1100ELNS1_3gpuE3ELNS1_3repE0EEENS1_47radix_sort_onesweep_sort_config_static_selectorELNS0_4arch9wavefront6targetE0EEEvSG_.num_named_barrier, 0
	.set _ZN7rocprim17ROCPRIM_400000_NS6detail17trampoline_kernelINS0_14default_configENS1_35radix_sort_onesweep_config_selectorIjNS0_10empty_typeEEEZZNS1_29radix_sort_onesweep_iterationIS3_Lb0EPKjPjPS5_SB_mNS0_19identity_decomposerENS1_16block_id_wrapperIjLb0EEEEE10hipError_tT1_PNSt15iterator_traitsISG_E10value_typeET2_T3_PNSH_ISM_E10value_typeET4_T5_PSR_SS_PNS1_23onesweep_lookback_stateEbbT6_jjT7_P12ihipStream_tbENKUlT_T0_SG_SL_E_clIS9_SA_SB_SB_EEDaSZ_S10_SG_SL_EUlSZ_E_NS1_11comp_targetILNS1_3genE9ELNS1_11target_archE1100ELNS1_3gpuE3ELNS1_3repE0EEENS1_47radix_sort_onesweep_sort_config_static_selectorELNS0_4arch9wavefront6targetE0EEEvSG_.private_seg_size, 0
	.set _ZN7rocprim17ROCPRIM_400000_NS6detail17trampoline_kernelINS0_14default_configENS1_35radix_sort_onesweep_config_selectorIjNS0_10empty_typeEEEZZNS1_29radix_sort_onesweep_iterationIS3_Lb0EPKjPjPS5_SB_mNS0_19identity_decomposerENS1_16block_id_wrapperIjLb0EEEEE10hipError_tT1_PNSt15iterator_traitsISG_E10value_typeET2_T3_PNSH_ISM_E10value_typeET4_T5_PSR_SS_PNS1_23onesweep_lookback_stateEbbT6_jjT7_P12ihipStream_tbENKUlT_T0_SG_SL_E_clIS9_SA_SB_SB_EEDaSZ_S10_SG_SL_EUlSZ_E_NS1_11comp_targetILNS1_3genE9ELNS1_11target_archE1100ELNS1_3gpuE3ELNS1_3repE0EEENS1_47radix_sort_onesweep_sort_config_static_selectorELNS0_4arch9wavefront6targetE0EEEvSG_.uses_vcc, 0
	.set _ZN7rocprim17ROCPRIM_400000_NS6detail17trampoline_kernelINS0_14default_configENS1_35radix_sort_onesweep_config_selectorIjNS0_10empty_typeEEEZZNS1_29radix_sort_onesweep_iterationIS3_Lb0EPKjPjPS5_SB_mNS0_19identity_decomposerENS1_16block_id_wrapperIjLb0EEEEE10hipError_tT1_PNSt15iterator_traitsISG_E10value_typeET2_T3_PNSH_ISM_E10value_typeET4_T5_PSR_SS_PNS1_23onesweep_lookback_stateEbbT6_jjT7_P12ihipStream_tbENKUlT_T0_SG_SL_E_clIS9_SA_SB_SB_EEDaSZ_S10_SG_SL_EUlSZ_E_NS1_11comp_targetILNS1_3genE9ELNS1_11target_archE1100ELNS1_3gpuE3ELNS1_3repE0EEENS1_47radix_sort_onesweep_sort_config_static_selectorELNS0_4arch9wavefront6targetE0EEEvSG_.uses_flat_scratch, 0
	.set _ZN7rocprim17ROCPRIM_400000_NS6detail17trampoline_kernelINS0_14default_configENS1_35radix_sort_onesweep_config_selectorIjNS0_10empty_typeEEEZZNS1_29radix_sort_onesweep_iterationIS3_Lb0EPKjPjPS5_SB_mNS0_19identity_decomposerENS1_16block_id_wrapperIjLb0EEEEE10hipError_tT1_PNSt15iterator_traitsISG_E10value_typeET2_T3_PNSH_ISM_E10value_typeET4_T5_PSR_SS_PNS1_23onesweep_lookback_stateEbbT6_jjT7_P12ihipStream_tbENKUlT_T0_SG_SL_E_clIS9_SA_SB_SB_EEDaSZ_S10_SG_SL_EUlSZ_E_NS1_11comp_targetILNS1_3genE9ELNS1_11target_archE1100ELNS1_3gpuE3ELNS1_3repE0EEENS1_47radix_sort_onesweep_sort_config_static_selectorELNS0_4arch9wavefront6targetE0EEEvSG_.has_dyn_sized_stack, 0
	.set _ZN7rocprim17ROCPRIM_400000_NS6detail17trampoline_kernelINS0_14default_configENS1_35radix_sort_onesweep_config_selectorIjNS0_10empty_typeEEEZZNS1_29radix_sort_onesweep_iterationIS3_Lb0EPKjPjPS5_SB_mNS0_19identity_decomposerENS1_16block_id_wrapperIjLb0EEEEE10hipError_tT1_PNSt15iterator_traitsISG_E10value_typeET2_T3_PNSH_ISM_E10value_typeET4_T5_PSR_SS_PNS1_23onesweep_lookback_stateEbbT6_jjT7_P12ihipStream_tbENKUlT_T0_SG_SL_E_clIS9_SA_SB_SB_EEDaSZ_S10_SG_SL_EUlSZ_E_NS1_11comp_targetILNS1_3genE9ELNS1_11target_archE1100ELNS1_3gpuE3ELNS1_3repE0EEENS1_47radix_sort_onesweep_sort_config_static_selectorELNS0_4arch9wavefront6targetE0EEEvSG_.has_recursion, 0
	.set _ZN7rocprim17ROCPRIM_400000_NS6detail17trampoline_kernelINS0_14default_configENS1_35radix_sort_onesweep_config_selectorIjNS0_10empty_typeEEEZZNS1_29radix_sort_onesweep_iterationIS3_Lb0EPKjPjPS5_SB_mNS0_19identity_decomposerENS1_16block_id_wrapperIjLb0EEEEE10hipError_tT1_PNSt15iterator_traitsISG_E10value_typeET2_T3_PNSH_ISM_E10value_typeET4_T5_PSR_SS_PNS1_23onesweep_lookback_stateEbbT6_jjT7_P12ihipStream_tbENKUlT_T0_SG_SL_E_clIS9_SA_SB_SB_EEDaSZ_S10_SG_SL_EUlSZ_E_NS1_11comp_targetILNS1_3genE9ELNS1_11target_archE1100ELNS1_3gpuE3ELNS1_3repE0EEENS1_47radix_sort_onesweep_sort_config_static_selectorELNS0_4arch9wavefront6targetE0EEEvSG_.has_indirect_call, 0
	.section	.AMDGPU.csdata,"",@progbits
; Kernel info:
; codeLenInByte = 0
; TotalNumSgprs: 0
; NumVgprs: 0
; ScratchSize: 0
; MemoryBound: 0
; FloatMode: 240
; IeeeMode: 1
; LDSByteSize: 0 bytes/workgroup (compile time only)
; SGPRBlocks: 0
; VGPRBlocks: 0
; NumSGPRsForWavesPerEU: 1
; NumVGPRsForWavesPerEU: 1
; NamedBarCnt: 0
; Occupancy: 16
; WaveLimiterHint : 0
; COMPUTE_PGM_RSRC2:SCRATCH_EN: 0
; COMPUTE_PGM_RSRC2:USER_SGPR: 2
; COMPUTE_PGM_RSRC2:TRAP_HANDLER: 0
; COMPUTE_PGM_RSRC2:TGID_X_EN: 1
; COMPUTE_PGM_RSRC2:TGID_Y_EN: 0
; COMPUTE_PGM_RSRC2:TGID_Z_EN: 0
; COMPUTE_PGM_RSRC2:TIDIG_COMP_CNT: 0
	.section	.text._ZN7rocprim17ROCPRIM_400000_NS6detail17trampoline_kernelINS0_14default_configENS1_35radix_sort_onesweep_config_selectorIjNS0_10empty_typeEEEZZNS1_29radix_sort_onesweep_iterationIS3_Lb0EPKjPjPS5_SB_mNS0_19identity_decomposerENS1_16block_id_wrapperIjLb0EEEEE10hipError_tT1_PNSt15iterator_traitsISG_E10value_typeET2_T3_PNSH_ISM_E10value_typeET4_T5_PSR_SS_PNS1_23onesweep_lookback_stateEbbT6_jjT7_P12ihipStream_tbENKUlT_T0_SG_SL_E_clIS9_SA_SB_SB_EEDaSZ_S10_SG_SL_EUlSZ_E_NS1_11comp_targetILNS1_3genE8ELNS1_11target_archE1030ELNS1_3gpuE2ELNS1_3repE0EEENS1_47radix_sort_onesweep_sort_config_static_selectorELNS0_4arch9wavefront6targetE0EEEvSG_,"axG",@progbits,_ZN7rocprim17ROCPRIM_400000_NS6detail17trampoline_kernelINS0_14default_configENS1_35radix_sort_onesweep_config_selectorIjNS0_10empty_typeEEEZZNS1_29radix_sort_onesweep_iterationIS3_Lb0EPKjPjPS5_SB_mNS0_19identity_decomposerENS1_16block_id_wrapperIjLb0EEEEE10hipError_tT1_PNSt15iterator_traitsISG_E10value_typeET2_T3_PNSH_ISM_E10value_typeET4_T5_PSR_SS_PNS1_23onesweep_lookback_stateEbbT6_jjT7_P12ihipStream_tbENKUlT_T0_SG_SL_E_clIS9_SA_SB_SB_EEDaSZ_S10_SG_SL_EUlSZ_E_NS1_11comp_targetILNS1_3genE8ELNS1_11target_archE1030ELNS1_3gpuE2ELNS1_3repE0EEENS1_47radix_sort_onesweep_sort_config_static_selectorELNS0_4arch9wavefront6targetE0EEEvSG_,comdat
	.protected	_ZN7rocprim17ROCPRIM_400000_NS6detail17trampoline_kernelINS0_14default_configENS1_35radix_sort_onesweep_config_selectorIjNS0_10empty_typeEEEZZNS1_29radix_sort_onesweep_iterationIS3_Lb0EPKjPjPS5_SB_mNS0_19identity_decomposerENS1_16block_id_wrapperIjLb0EEEEE10hipError_tT1_PNSt15iterator_traitsISG_E10value_typeET2_T3_PNSH_ISM_E10value_typeET4_T5_PSR_SS_PNS1_23onesweep_lookback_stateEbbT6_jjT7_P12ihipStream_tbENKUlT_T0_SG_SL_E_clIS9_SA_SB_SB_EEDaSZ_S10_SG_SL_EUlSZ_E_NS1_11comp_targetILNS1_3genE8ELNS1_11target_archE1030ELNS1_3gpuE2ELNS1_3repE0EEENS1_47radix_sort_onesweep_sort_config_static_selectorELNS0_4arch9wavefront6targetE0EEEvSG_ ; -- Begin function _ZN7rocprim17ROCPRIM_400000_NS6detail17trampoline_kernelINS0_14default_configENS1_35radix_sort_onesweep_config_selectorIjNS0_10empty_typeEEEZZNS1_29radix_sort_onesweep_iterationIS3_Lb0EPKjPjPS5_SB_mNS0_19identity_decomposerENS1_16block_id_wrapperIjLb0EEEEE10hipError_tT1_PNSt15iterator_traitsISG_E10value_typeET2_T3_PNSH_ISM_E10value_typeET4_T5_PSR_SS_PNS1_23onesweep_lookback_stateEbbT6_jjT7_P12ihipStream_tbENKUlT_T0_SG_SL_E_clIS9_SA_SB_SB_EEDaSZ_S10_SG_SL_EUlSZ_E_NS1_11comp_targetILNS1_3genE8ELNS1_11target_archE1030ELNS1_3gpuE2ELNS1_3repE0EEENS1_47radix_sort_onesweep_sort_config_static_selectorELNS0_4arch9wavefront6targetE0EEEvSG_
	.globl	_ZN7rocprim17ROCPRIM_400000_NS6detail17trampoline_kernelINS0_14default_configENS1_35radix_sort_onesweep_config_selectorIjNS0_10empty_typeEEEZZNS1_29radix_sort_onesweep_iterationIS3_Lb0EPKjPjPS5_SB_mNS0_19identity_decomposerENS1_16block_id_wrapperIjLb0EEEEE10hipError_tT1_PNSt15iterator_traitsISG_E10value_typeET2_T3_PNSH_ISM_E10value_typeET4_T5_PSR_SS_PNS1_23onesweep_lookback_stateEbbT6_jjT7_P12ihipStream_tbENKUlT_T0_SG_SL_E_clIS9_SA_SB_SB_EEDaSZ_S10_SG_SL_EUlSZ_E_NS1_11comp_targetILNS1_3genE8ELNS1_11target_archE1030ELNS1_3gpuE2ELNS1_3repE0EEENS1_47radix_sort_onesweep_sort_config_static_selectorELNS0_4arch9wavefront6targetE0EEEvSG_
	.p2align	8
	.type	_ZN7rocprim17ROCPRIM_400000_NS6detail17trampoline_kernelINS0_14default_configENS1_35radix_sort_onesweep_config_selectorIjNS0_10empty_typeEEEZZNS1_29radix_sort_onesweep_iterationIS3_Lb0EPKjPjPS5_SB_mNS0_19identity_decomposerENS1_16block_id_wrapperIjLb0EEEEE10hipError_tT1_PNSt15iterator_traitsISG_E10value_typeET2_T3_PNSH_ISM_E10value_typeET4_T5_PSR_SS_PNS1_23onesweep_lookback_stateEbbT6_jjT7_P12ihipStream_tbENKUlT_T0_SG_SL_E_clIS9_SA_SB_SB_EEDaSZ_S10_SG_SL_EUlSZ_E_NS1_11comp_targetILNS1_3genE8ELNS1_11target_archE1030ELNS1_3gpuE2ELNS1_3repE0EEENS1_47radix_sort_onesweep_sort_config_static_selectorELNS0_4arch9wavefront6targetE0EEEvSG_,@function
_ZN7rocprim17ROCPRIM_400000_NS6detail17trampoline_kernelINS0_14default_configENS1_35radix_sort_onesweep_config_selectorIjNS0_10empty_typeEEEZZNS1_29radix_sort_onesweep_iterationIS3_Lb0EPKjPjPS5_SB_mNS0_19identity_decomposerENS1_16block_id_wrapperIjLb0EEEEE10hipError_tT1_PNSt15iterator_traitsISG_E10value_typeET2_T3_PNSH_ISM_E10value_typeET4_T5_PSR_SS_PNS1_23onesweep_lookback_stateEbbT6_jjT7_P12ihipStream_tbENKUlT_T0_SG_SL_E_clIS9_SA_SB_SB_EEDaSZ_S10_SG_SL_EUlSZ_E_NS1_11comp_targetILNS1_3genE8ELNS1_11target_archE1030ELNS1_3gpuE2ELNS1_3repE0EEENS1_47radix_sort_onesweep_sort_config_static_selectorELNS0_4arch9wavefront6targetE0EEEvSG_: ; @_ZN7rocprim17ROCPRIM_400000_NS6detail17trampoline_kernelINS0_14default_configENS1_35radix_sort_onesweep_config_selectorIjNS0_10empty_typeEEEZZNS1_29radix_sort_onesweep_iterationIS3_Lb0EPKjPjPS5_SB_mNS0_19identity_decomposerENS1_16block_id_wrapperIjLb0EEEEE10hipError_tT1_PNSt15iterator_traitsISG_E10value_typeET2_T3_PNSH_ISM_E10value_typeET4_T5_PSR_SS_PNS1_23onesweep_lookback_stateEbbT6_jjT7_P12ihipStream_tbENKUlT_T0_SG_SL_E_clIS9_SA_SB_SB_EEDaSZ_S10_SG_SL_EUlSZ_E_NS1_11comp_targetILNS1_3genE8ELNS1_11target_archE1030ELNS1_3gpuE2ELNS1_3repE0EEENS1_47radix_sort_onesweep_sort_config_static_selectorELNS0_4arch9wavefront6targetE0EEEvSG_
; %bb.0:
	.section	.rodata,"a",@progbits
	.p2align	6, 0x0
	.amdhsa_kernel _ZN7rocprim17ROCPRIM_400000_NS6detail17trampoline_kernelINS0_14default_configENS1_35radix_sort_onesweep_config_selectorIjNS0_10empty_typeEEEZZNS1_29radix_sort_onesweep_iterationIS3_Lb0EPKjPjPS5_SB_mNS0_19identity_decomposerENS1_16block_id_wrapperIjLb0EEEEE10hipError_tT1_PNSt15iterator_traitsISG_E10value_typeET2_T3_PNSH_ISM_E10value_typeET4_T5_PSR_SS_PNS1_23onesweep_lookback_stateEbbT6_jjT7_P12ihipStream_tbENKUlT_T0_SG_SL_E_clIS9_SA_SB_SB_EEDaSZ_S10_SG_SL_EUlSZ_E_NS1_11comp_targetILNS1_3genE8ELNS1_11target_archE1030ELNS1_3gpuE2ELNS1_3repE0EEENS1_47radix_sort_onesweep_sort_config_static_selectorELNS0_4arch9wavefront6targetE0EEEvSG_
		.amdhsa_group_segment_fixed_size 0
		.amdhsa_private_segment_fixed_size 0
		.amdhsa_kernarg_size 88
		.amdhsa_user_sgpr_count 2
		.amdhsa_user_sgpr_dispatch_ptr 0
		.amdhsa_user_sgpr_queue_ptr 0
		.amdhsa_user_sgpr_kernarg_segment_ptr 1
		.amdhsa_user_sgpr_dispatch_id 0
		.amdhsa_user_sgpr_kernarg_preload_length 0
		.amdhsa_user_sgpr_kernarg_preload_offset 0
		.amdhsa_user_sgpr_private_segment_size 0
		.amdhsa_wavefront_size32 1
		.amdhsa_uses_dynamic_stack 0
		.amdhsa_enable_private_segment 0
		.amdhsa_system_sgpr_workgroup_id_x 1
		.amdhsa_system_sgpr_workgroup_id_y 0
		.amdhsa_system_sgpr_workgroup_id_z 0
		.amdhsa_system_sgpr_workgroup_info 0
		.amdhsa_system_vgpr_workitem_id 0
		.amdhsa_next_free_vgpr 1
		.amdhsa_next_free_sgpr 1
		.amdhsa_named_barrier_count 0
		.amdhsa_reserve_vcc 0
		.amdhsa_float_round_mode_32 0
		.amdhsa_float_round_mode_16_64 0
		.amdhsa_float_denorm_mode_32 3
		.amdhsa_float_denorm_mode_16_64 3
		.amdhsa_fp16_overflow 0
		.amdhsa_memory_ordered 1
		.amdhsa_forward_progress 1
		.amdhsa_inst_pref_size 0
		.amdhsa_round_robin_scheduling 0
		.amdhsa_exception_fp_ieee_invalid_op 0
		.amdhsa_exception_fp_denorm_src 0
		.amdhsa_exception_fp_ieee_div_zero 0
		.amdhsa_exception_fp_ieee_overflow 0
		.amdhsa_exception_fp_ieee_underflow 0
		.amdhsa_exception_fp_ieee_inexact 0
		.amdhsa_exception_int_div_zero 0
	.end_amdhsa_kernel
	.section	.text._ZN7rocprim17ROCPRIM_400000_NS6detail17trampoline_kernelINS0_14default_configENS1_35radix_sort_onesweep_config_selectorIjNS0_10empty_typeEEEZZNS1_29radix_sort_onesweep_iterationIS3_Lb0EPKjPjPS5_SB_mNS0_19identity_decomposerENS1_16block_id_wrapperIjLb0EEEEE10hipError_tT1_PNSt15iterator_traitsISG_E10value_typeET2_T3_PNSH_ISM_E10value_typeET4_T5_PSR_SS_PNS1_23onesweep_lookback_stateEbbT6_jjT7_P12ihipStream_tbENKUlT_T0_SG_SL_E_clIS9_SA_SB_SB_EEDaSZ_S10_SG_SL_EUlSZ_E_NS1_11comp_targetILNS1_3genE8ELNS1_11target_archE1030ELNS1_3gpuE2ELNS1_3repE0EEENS1_47radix_sort_onesweep_sort_config_static_selectorELNS0_4arch9wavefront6targetE0EEEvSG_,"axG",@progbits,_ZN7rocprim17ROCPRIM_400000_NS6detail17trampoline_kernelINS0_14default_configENS1_35radix_sort_onesweep_config_selectorIjNS0_10empty_typeEEEZZNS1_29radix_sort_onesweep_iterationIS3_Lb0EPKjPjPS5_SB_mNS0_19identity_decomposerENS1_16block_id_wrapperIjLb0EEEEE10hipError_tT1_PNSt15iterator_traitsISG_E10value_typeET2_T3_PNSH_ISM_E10value_typeET4_T5_PSR_SS_PNS1_23onesweep_lookback_stateEbbT6_jjT7_P12ihipStream_tbENKUlT_T0_SG_SL_E_clIS9_SA_SB_SB_EEDaSZ_S10_SG_SL_EUlSZ_E_NS1_11comp_targetILNS1_3genE8ELNS1_11target_archE1030ELNS1_3gpuE2ELNS1_3repE0EEENS1_47radix_sort_onesweep_sort_config_static_selectorELNS0_4arch9wavefront6targetE0EEEvSG_,comdat
.Lfunc_end2770:
	.size	_ZN7rocprim17ROCPRIM_400000_NS6detail17trampoline_kernelINS0_14default_configENS1_35radix_sort_onesweep_config_selectorIjNS0_10empty_typeEEEZZNS1_29radix_sort_onesweep_iterationIS3_Lb0EPKjPjPS5_SB_mNS0_19identity_decomposerENS1_16block_id_wrapperIjLb0EEEEE10hipError_tT1_PNSt15iterator_traitsISG_E10value_typeET2_T3_PNSH_ISM_E10value_typeET4_T5_PSR_SS_PNS1_23onesweep_lookback_stateEbbT6_jjT7_P12ihipStream_tbENKUlT_T0_SG_SL_E_clIS9_SA_SB_SB_EEDaSZ_S10_SG_SL_EUlSZ_E_NS1_11comp_targetILNS1_3genE8ELNS1_11target_archE1030ELNS1_3gpuE2ELNS1_3repE0EEENS1_47radix_sort_onesweep_sort_config_static_selectorELNS0_4arch9wavefront6targetE0EEEvSG_, .Lfunc_end2770-_ZN7rocprim17ROCPRIM_400000_NS6detail17trampoline_kernelINS0_14default_configENS1_35radix_sort_onesweep_config_selectorIjNS0_10empty_typeEEEZZNS1_29radix_sort_onesweep_iterationIS3_Lb0EPKjPjPS5_SB_mNS0_19identity_decomposerENS1_16block_id_wrapperIjLb0EEEEE10hipError_tT1_PNSt15iterator_traitsISG_E10value_typeET2_T3_PNSH_ISM_E10value_typeET4_T5_PSR_SS_PNS1_23onesweep_lookback_stateEbbT6_jjT7_P12ihipStream_tbENKUlT_T0_SG_SL_E_clIS9_SA_SB_SB_EEDaSZ_S10_SG_SL_EUlSZ_E_NS1_11comp_targetILNS1_3genE8ELNS1_11target_archE1030ELNS1_3gpuE2ELNS1_3repE0EEENS1_47radix_sort_onesweep_sort_config_static_selectorELNS0_4arch9wavefront6targetE0EEEvSG_
                                        ; -- End function
	.set _ZN7rocprim17ROCPRIM_400000_NS6detail17trampoline_kernelINS0_14default_configENS1_35radix_sort_onesweep_config_selectorIjNS0_10empty_typeEEEZZNS1_29radix_sort_onesweep_iterationIS3_Lb0EPKjPjPS5_SB_mNS0_19identity_decomposerENS1_16block_id_wrapperIjLb0EEEEE10hipError_tT1_PNSt15iterator_traitsISG_E10value_typeET2_T3_PNSH_ISM_E10value_typeET4_T5_PSR_SS_PNS1_23onesweep_lookback_stateEbbT6_jjT7_P12ihipStream_tbENKUlT_T0_SG_SL_E_clIS9_SA_SB_SB_EEDaSZ_S10_SG_SL_EUlSZ_E_NS1_11comp_targetILNS1_3genE8ELNS1_11target_archE1030ELNS1_3gpuE2ELNS1_3repE0EEENS1_47radix_sort_onesweep_sort_config_static_selectorELNS0_4arch9wavefront6targetE0EEEvSG_.num_vgpr, 0
	.set _ZN7rocprim17ROCPRIM_400000_NS6detail17trampoline_kernelINS0_14default_configENS1_35radix_sort_onesweep_config_selectorIjNS0_10empty_typeEEEZZNS1_29radix_sort_onesweep_iterationIS3_Lb0EPKjPjPS5_SB_mNS0_19identity_decomposerENS1_16block_id_wrapperIjLb0EEEEE10hipError_tT1_PNSt15iterator_traitsISG_E10value_typeET2_T3_PNSH_ISM_E10value_typeET4_T5_PSR_SS_PNS1_23onesweep_lookback_stateEbbT6_jjT7_P12ihipStream_tbENKUlT_T0_SG_SL_E_clIS9_SA_SB_SB_EEDaSZ_S10_SG_SL_EUlSZ_E_NS1_11comp_targetILNS1_3genE8ELNS1_11target_archE1030ELNS1_3gpuE2ELNS1_3repE0EEENS1_47radix_sort_onesweep_sort_config_static_selectorELNS0_4arch9wavefront6targetE0EEEvSG_.num_agpr, 0
	.set _ZN7rocprim17ROCPRIM_400000_NS6detail17trampoline_kernelINS0_14default_configENS1_35radix_sort_onesweep_config_selectorIjNS0_10empty_typeEEEZZNS1_29radix_sort_onesweep_iterationIS3_Lb0EPKjPjPS5_SB_mNS0_19identity_decomposerENS1_16block_id_wrapperIjLb0EEEEE10hipError_tT1_PNSt15iterator_traitsISG_E10value_typeET2_T3_PNSH_ISM_E10value_typeET4_T5_PSR_SS_PNS1_23onesweep_lookback_stateEbbT6_jjT7_P12ihipStream_tbENKUlT_T0_SG_SL_E_clIS9_SA_SB_SB_EEDaSZ_S10_SG_SL_EUlSZ_E_NS1_11comp_targetILNS1_3genE8ELNS1_11target_archE1030ELNS1_3gpuE2ELNS1_3repE0EEENS1_47radix_sort_onesweep_sort_config_static_selectorELNS0_4arch9wavefront6targetE0EEEvSG_.numbered_sgpr, 0
	.set _ZN7rocprim17ROCPRIM_400000_NS6detail17trampoline_kernelINS0_14default_configENS1_35radix_sort_onesweep_config_selectorIjNS0_10empty_typeEEEZZNS1_29radix_sort_onesweep_iterationIS3_Lb0EPKjPjPS5_SB_mNS0_19identity_decomposerENS1_16block_id_wrapperIjLb0EEEEE10hipError_tT1_PNSt15iterator_traitsISG_E10value_typeET2_T3_PNSH_ISM_E10value_typeET4_T5_PSR_SS_PNS1_23onesweep_lookback_stateEbbT6_jjT7_P12ihipStream_tbENKUlT_T0_SG_SL_E_clIS9_SA_SB_SB_EEDaSZ_S10_SG_SL_EUlSZ_E_NS1_11comp_targetILNS1_3genE8ELNS1_11target_archE1030ELNS1_3gpuE2ELNS1_3repE0EEENS1_47radix_sort_onesweep_sort_config_static_selectorELNS0_4arch9wavefront6targetE0EEEvSG_.num_named_barrier, 0
	.set _ZN7rocprim17ROCPRIM_400000_NS6detail17trampoline_kernelINS0_14default_configENS1_35radix_sort_onesweep_config_selectorIjNS0_10empty_typeEEEZZNS1_29radix_sort_onesweep_iterationIS3_Lb0EPKjPjPS5_SB_mNS0_19identity_decomposerENS1_16block_id_wrapperIjLb0EEEEE10hipError_tT1_PNSt15iterator_traitsISG_E10value_typeET2_T3_PNSH_ISM_E10value_typeET4_T5_PSR_SS_PNS1_23onesweep_lookback_stateEbbT6_jjT7_P12ihipStream_tbENKUlT_T0_SG_SL_E_clIS9_SA_SB_SB_EEDaSZ_S10_SG_SL_EUlSZ_E_NS1_11comp_targetILNS1_3genE8ELNS1_11target_archE1030ELNS1_3gpuE2ELNS1_3repE0EEENS1_47radix_sort_onesweep_sort_config_static_selectorELNS0_4arch9wavefront6targetE0EEEvSG_.private_seg_size, 0
	.set _ZN7rocprim17ROCPRIM_400000_NS6detail17trampoline_kernelINS0_14default_configENS1_35radix_sort_onesweep_config_selectorIjNS0_10empty_typeEEEZZNS1_29radix_sort_onesweep_iterationIS3_Lb0EPKjPjPS5_SB_mNS0_19identity_decomposerENS1_16block_id_wrapperIjLb0EEEEE10hipError_tT1_PNSt15iterator_traitsISG_E10value_typeET2_T3_PNSH_ISM_E10value_typeET4_T5_PSR_SS_PNS1_23onesweep_lookback_stateEbbT6_jjT7_P12ihipStream_tbENKUlT_T0_SG_SL_E_clIS9_SA_SB_SB_EEDaSZ_S10_SG_SL_EUlSZ_E_NS1_11comp_targetILNS1_3genE8ELNS1_11target_archE1030ELNS1_3gpuE2ELNS1_3repE0EEENS1_47radix_sort_onesweep_sort_config_static_selectorELNS0_4arch9wavefront6targetE0EEEvSG_.uses_vcc, 0
	.set _ZN7rocprim17ROCPRIM_400000_NS6detail17trampoline_kernelINS0_14default_configENS1_35radix_sort_onesweep_config_selectorIjNS0_10empty_typeEEEZZNS1_29radix_sort_onesweep_iterationIS3_Lb0EPKjPjPS5_SB_mNS0_19identity_decomposerENS1_16block_id_wrapperIjLb0EEEEE10hipError_tT1_PNSt15iterator_traitsISG_E10value_typeET2_T3_PNSH_ISM_E10value_typeET4_T5_PSR_SS_PNS1_23onesweep_lookback_stateEbbT6_jjT7_P12ihipStream_tbENKUlT_T0_SG_SL_E_clIS9_SA_SB_SB_EEDaSZ_S10_SG_SL_EUlSZ_E_NS1_11comp_targetILNS1_3genE8ELNS1_11target_archE1030ELNS1_3gpuE2ELNS1_3repE0EEENS1_47radix_sort_onesweep_sort_config_static_selectorELNS0_4arch9wavefront6targetE0EEEvSG_.uses_flat_scratch, 0
	.set _ZN7rocprim17ROCPRIM_400000_NS6detail17trampoline_kernelINS0_14default_configENS1_35radix_sort_onesweep_config_selectorIjNS0_10empty_typeEEEZZNS1_29radix_sort_onesweep_iterationIS3_Lb0EPKjPjPS5_SB_mNS0_19identity_decomposerENS1_16block_id_wrapperIjLb0EEEEE10hipError_tT1_PNSt15iterator_traitsISG_E10value_typeET2_T3_PNSH_ISM_E10value_typeET4_T5_PSR_SS_PNS1_23onesweep_lookback_stateEbbT6_jjT7_P12ihipStream_tbENKUlT_T0_SG_SL_E_clIS9_SA_SB_SB_EEDaSZ_S10_SG_SL_EUlSZ_E_NS1_11comp_targetILNS1_3genE8ELNS1_11target_archE1030ELNS1_3gpuE2ELNS1_3repE0EEENS1_47radix_sort_onesweep_sort_config_static_selectorELNS0_4arch9wavefront6targetE0EEEvSG_.has_dyn_sized_stack, 0
	.set _ZN7rocprim17ROCPRIM_400000_NS6detail17trampoline_kernelINS0_14default_configENS1_35radix_sort_onesweep_config_selectorIjNS0_10empty_typeEEEZZNS1_29radix_sort_onesweep_iterationIS3_Lb0EPKjPjPS5_SB_mNS0_19identity_decomposerENS1_16block_id_wrapperIjLb0EEEEE10hipError_tT1_PNSt15iterator_traitsISG_E10value_typeET2_T3_PNSH_ISM_E10value_typeET4_T5_PSR_SS_PNS1_23onesweep_lookback_stateEbbT6_jjT7_P12ihipStream_tbENKUlT_T0_SG_SL_E_clIS9_SA_SB_SB_EEDaSZ_S10_SG_SL_EUlSZ_E_NS1_11comp_targetILNS1_3genE8ELNS1_11target_archE1030ELNS1_3gpuE2ELNS1_3repE0EEENS1_47radix_sort_onesweep_sort_config_static_selectorELNS0_4arch9wavefront6targetE0EEEvSG_.has_recursion, 0
	.set _ZN7rocprim17ROCPRIM_400000_NS6detail17trampoline_kernelINS0_14default_configENS1_35radix_sort_onesweep_config_selectorIjNS0_10empty_typeEEEZZNS1_29radix_sort_onesweep_iterationIS3_Lb0EPKjPjPS5_SB_mNS0_19identity_decomposerENS1_16block_id_wrapperIjLb0EEEEE10hipError_tT1_PNSt15iterator_traitsISG_E10value_typeET2_T3_PNSH_ISM_E10value_typeET4_T5_PSR_SS_PNS1_23onesweep_lookback_stateEbbT6_jjT7_P12ihipStream_tbENKUlT_T0_SG_SL_E_clIS9_SA_SB_SB_EEDaSZ_S10_SG_SL_EUlSZ_E_NS1_11comp_targetILNS1_3genE8ELNS1_11target_archE1030ELNS1_3gpuE2ELNS1_3repE0EEENS1_47radix_sort_onesweep_sort_config_static_selectorELNS0_4arch9wavefront6targetE0EEEvSG_.has_indirect_call, 0
	.section	.AMDGPU.csdata,"",@progbits
; Kernel info:
; codeLenInByte = 0
; TotalNumSgprs: 0
; NumVgprs: 0
; ScratchSize: 0
; MemoryBound: 0
; FloatMode: 240
; IeeeMode: 1
; LDSByteSize: 0 bytes/workgroup (compile time only)
; SGPRBlocks: 0
; VGPRBlocks: 0
; NumSGPRsForWavesPerEU: 1
; NumVGPRsForWavesPerEU: 1
; NamedBarCnt: 0
; Occupancy: 16
; WaveLimiterHint : 0
; COMPUTE_PGM_RSRC2:SCRATCH_EN: 0
; COMPUTE_PGM_RSRC2:USER_SGPR: 2
; COMPUTE_PGM_RSRC2:TRAP_HANDLER: 0
; COMPUTE_PGM_RSRC2:TGID_X_EN: 1
; COMPUTE_PGM_RSRC2:TGID_Y_EN: 0
; COMPUTE_PGM_RSRC2:TGID_Z_EN: 0
; COMPUTE_PGM_RSRC2:TIDIG_COMP_CNT: 0
	.section	.text._ZN7rocprim17ROCPRIM_400000_NS6detail17trampoline_kernelINS0_14default_configENS1_35radix_sort_onesweep_config_selectorIjNS0_10empty_typeEEEZZNS1_29radix_sort_onesweep_iterationIS3_Lb0EPKjPjPS5_SB_mNS0_19identity_decomposerENS1_16block_id_wrapperIjLb0EEEEE10hipError_tT1_PNSt15iterator_traitsISG_E10value_typeET2_T3_PNSH_ISM_E10value_typeET4_T5_PSR_SS_PNS1_23onesweep_lookback_stateEbbT6_jjT7_P12ihipStream_tbENKUlT_T0_SG_SL_E_clISA_SA_SB_SB_EEDaSZ_S10_SG_SL_EUlSZ_E_NS1_11comp_targetILNS1_3genE0ELNS1_11target_archE4294967295ELNS1_3gpuE0ELNS1_3repE0EEENS1_47radix_sort_onesweep_sort_config_static_selectorELNS0_4arch9wavefront6targetE0EEEvSG_,"axG",@progbits,_ZN7rocprim17ROCPRIM_400000_NS6detail17trampoline_kernelINS0_14default_configENS1_35radix_sort_onesweep_config_selectorIjNS0_10empty_typeEEEZZNS1_29radix_sort_onesweep_iterationIS3_Lb0EPKjPjPS5_SB_mNS0_19identity_decomposerENS1_16block_id_wrapperIjLb0EEEEE10hipError_tT1_PNSt15iterator_traitsISG_E10value_typeET2_T3_PNSH_ISM_E10value_typeET4_T5_PSR_SS_PNS1_23onesweep_lookback_stateEbbT6_jjT7_P12ihipStream_tbENKUlT_T0_SG_SL_E_clISA_SA_SB_SB_EEDaSZ_S10_SG_SL_EUlSZ_E_NS1_11comp_targetILNS1_3genE0ELNS1_11target_archE4294967295ELNS1_3gpuE0ELNS1_3repE0EEENS1_47radix_sort_onesweep_sort_config_static_selectorELNS0_4arch9wavefront6targetE0EEEvSG_,comdat
	.protected	_ZN7rocprim17ROCPRIM_400000_NS6detail17trampoline_kernelINS0_14default_configENS1_35radix_sort_onesweep_config_selectorIjNS0_10empty_typeEEEZZNS1_29radix_sort_onesweep_iterationIS3_Lb0EPKjPjPS5_SB_mNS0_19identity_decomposerENS1_16block_id_wrapperIjLb0EEEEE10hipError_tT1_PNSt15iterator_traitsISG_E10value_typeET2_T3_PNSH_ISM_E10value_typeET4_T5_PSR_SS_PNS1_23onesweep_lookback_stateEbbT6_jjT7_P12ihipStream_tbENKUlT_T0_SG_SL_E_clISA_SA_SB_SB_EEDaSZ_S10_SG_SL_EUlSZ_E_NS1_11comp_targetILNS1_3genE0ELNS1_11target_archE4294967295ELNS1_3gpuE0ELNS1_3repE0EEENS1_47radix_sort_onesweep_sort_config_static_selectorELNS0_4arch9wavefront6targetE0EEEvSG_ ; -- Begin function _ZN7rocprim17ROCPRIM_400000_NS6detail17trampoline_kernelINS0_14default_configENS1_35radix_sort_onesweep_config_selectorIjNS0_10empty_typeEEEZZNS1_29radix_sort_onesweep_iterationIS3_Lb0EPKjPjPS5_SB_mNS0_19identity_decomposerENS1_16block_id_wrapperIjLb0EEEEE10hipError_tT1_PNSt15iterator_traitsISG_E10value_typeET2_T3_PNSH_ISM_E10value_typeET4_T5_PSR_SS_PNS1_23onesweep_lookback_stateEbbT6_jjT7_P12ihipStream_tbENKUlT_T0_SG_SL_E_clISA_SA_SB_SB_EEDaSZ_S10_SG_SL_EUlSZ_E_NS1_11comp_targetILNS1_3genE0ELNS1_11target_archE4294967295ELNS1_3gpuE0ELNS1_3repE0EEENS1_47radix_sort_onesweep_sort_config_static_selectorELNS0_4arch9wavefront6targetE0EEEvSG_
	.globl	_ZN7rocprim17ROCPRIM_400000_NS6detail17trampoline_kernelINS0_14default_configENS1_35radix_sort_onesweep_config_selectorIjNS0_10empty_typeEEEZZNS1_29radix_sort_onesweep_iterationIS3_Lb0EPKjPjPS5_SB_mNS0_19identity_decomposerENS1_16block_id_wrapperIjLb0EEEEE10hipError_tT1_PNSt15iterator_traitsISG_E10value_typeET2_T3_PNSH_ISM_E10value_typeET4_T5_PSR_SS_PNS1_23onesweep_lookback_stateEbbT6_jjT7_P12ihipStream_tbENKUlT_T0_SG_SL_E_clISA_SA_SB_SB_EEDaSZ_S10_SG_SL_EUlSZ_E_NS1_11comp_targetILNS1_3genE0ELNS1_11target_archE4294967295ELNS1_3gpuE0ELNS1_3repE0EEENS1_47radix_sort_onesweep_sort_config_static_selectorELNS0_4arch9wavefront6targetE0EEEvSG_
	.p2align	8
	.type	_ZN7rocprim17ROCPRIM_400000_NS6detail17trampoline_kernelINS0_14default_configENS1_35radix_sort_onesweep_config_selectorIjNS0_10empty_typeEEEZZNS1_29radix_sort_onesweep_iterationIS3_Lb0EPKjPjPS5_SB_mNS0_19identity_decomposerENS1_16block_id_wrapperIjLb0EEEEE10hipError_tT1_PNSt15iterator_traitsISG_E10value_typeET2_T3_PNSH_ISM_E10value_typeET4_T5_PSR_SS_PNS1_23onesweep_lookback_stateEbbT6_jjT7_P12ihipStream_tbENKUlT_T0_SG_SL_E_clISA_SA_SB_SB_EEDaSZ_S10_SG_SL_EUlSZ_E_NS1_11comp_targetILNS1_3genE0ELNS1_11target_archE4294967295ELNS1_3gpuE0ELNS1_3repE0EEENS1_47radix_sort_onesweep_sort_config_static_selectorELNS0_4arch9wavefront6targetE0EEEvSG_,@function
_ZN7rocprim17ROCPRIM_400000_NS6detail17trampoline_kernelINS0_14default_configENS1_35radix_sort_onesweep_config_selectorIjNS0_10empty_typeEEEZZNS1_29radix_sort_onesweep_iterationIS3_Lb0EPKjPjPS5_SB_mNS0_19identity_decomposerENS1_16block_id_wrapperIjLb0EEEEE10hipError_tT1_PNSt15iterator_traitsISG_E10value_typeET2_T3_PNSH_ISM_E10value_typeET4_T5_PSR_SS_PNS1_23onesweep_lookback_stateEbbT6_jjT7_P12ihipStream_tbENKUlT_T0_SG_SL_E_clISA_SA_SB_SB_EEDaSZ_S10_SG_SL_EUlSZ_E_NS1_11comp_targetILNS1_3genE0ELNS1_11target_archE4294967295ELNS1_3gpuE0ELNS1_3repE0EEENS1_47radix_sort_onesweep_sort_config_static_selectorELNS0_4arch9wavefront6targetE0EEEvSG_: ; @_ZN7rocprim17ROCPRIM_400000_NS6detail17trampoline_kernelINS0_14default_configENS1_35radix_sort_onesweep_config_selectorIjNS0_10empty_typeEEEZZNS1_29radix_sort_onesweep_iterationIS3_Lb0EPKjPjPS5_SB_mNS0_19identity_decomposerENS1_16block_id_wrapperIjLb0EEEEE10hipError_tT1_PNSt15iterator_traitsISG_E10value_typeET2_T3_PNSH_ISM_E10value_typeET4_T5_PSR_SS_PNS1_23onesweep_lookback_stateEbbT6_jjT7_P12ihipStream_tbENKUlT_T0_SG_SL_E_clISA_SA_SB_SB_EEDaSZ_S10_SG_SL_EUlSZ_E_NS1_11comp_targetILNS1_3genE0ELNS1_11target_archE4294967295ELNS1_3gpuE0ELNS1_3repE0EEENS1_47radix_sort_onesweep_sort_config_static_selectorELNS0_4arch9wavefront6targetE0EEEvSG_
; %bb.0:
	s_clause 0x3
	s_load_b96 s[20:22], s[0:1], 0x44
	s_load_b64 s[10:11], s[0:1], 0x38
	s_load_b128 s[16:19], s[0:1], 0x0
	s_load_b128 s[12:15], s[0:1], 0x28
	s_bfe_u32 s2, ttmp6, 0x4000c
	s_and_b32 s3, ttmp6, 15
	s_add_co_i32 s2, s2, 1
	s_getreg_b32 s4, hwreg(HW_REG_IB_STS2, 6, 4)
	s_mul_i32 s5, ttmp9, s2
	v_mbcnt_lo_u32_b32 v16, -1, 0
	s_add_co_i32 s3, s3, s5
	s_cmp_eq_u32 s4, 0
	v_and_b32_e32 v17, 0x1e0, v0
	s_cselect_b32 s9, ttmp9, s3
	s_mov_b32 s25, 0
	s_mov_b32 s2, -1
	s_mul_i32 s24, s9, 0x1800
	s_add_nc_u64 s[26:27], s[0:1], 0x58
	s_wait_kmcnt 0x0
	s_cmp_ge_u32 s9, s22
	s_cbranch_scc0 .LBB2771_90
; %bb.1:
	s_load_b32 s4, s[0:1], 0x20
	v_dual_mov_b32 v3, 0 :: v_dual_lshlrev_b32 v2, 2, v16
	s_lshl_b64 s[2:3], s[24:25], 2
	v_mul_u32_u24_e32 v1, 12, v17
	s_add_nc_u64 s[2:3], s[16:17], s[2:3]
	v_mov_b32_e32 v18, -1
	v_add_nc_u64_e32 v[6:7], s[2:3], v[2:3]
	s_mul_i32 s2, s22, 0xffffe800
	v_dual_lshlrev_b32 v2, 2, v1 :: v_dual_bitop2_b32 v4, v16, v1 bitop3:0x54
	v_mov_b32_e32 v1, -1
	s_delay_alu instid0(VALU_DEP_2)
	v_add_nc_u64_e32 v[2:3], v[6:7], v[2:3]
	s_wait_kmcnt 0x0
	s_add_co_i32 s22, s4, s2
	s_mov_b32 s2, exec_lo
	v_cmpx_gt_u32_e64 s22, v4
	s_cbranch_execz .LBB2771_3
; %bb.2:
	global_load_b32 v18, v[2:3], off
.LBB2771_3:
	s_wait_xcnt 0x0
	s_or_b32 exec_lo, exec_lo, s2
	v_or_b32_e32 v5, 32, v4
	s_mov_b32 s2, exec_lo
	s_delay_alu instid0(VALU_DEP_1)
	v_cmpx_gt_u32_e64 s22, v5
	s_cbranch_execz .LBB2771_5
; %bb.4:
	global_load_b32 v1, v[2:3], off offset:128
.LBB2771_5:
	s_wait_xcnt 0x0
	s_or_b32 exec_lo, exec_lo, s2
	v_dual_mov_b32 v19, -1 :: v_dual_bitop2_b32 v5, 64, v4 bitop3:0x54
	v_mov_b32_e32 v20, -1
	s_mov_b32 s2, exec_lo
	s_delay_alu instid0(VALU_DEP_2)
	v_cmpx_gt_u32_e64 s22, v5
	s_cbranch_execz .LBB2771_7
; %bb.6:
	global_load_b32 v20, v[2:3], off offset:256
.LBB2771_7:
	s_wait_xcnt 0x0
	s_or_b32 exec_lo, exec_lo, s2
	v_or_b32_e32 v5, 0x60, v4
	s_mov_b32 s2, exec_lo
	s_delay_alu instid0(VALU_DEP_1)
	v_cmpx_gt_u32_e64 s22, v5
	s_cbranch_execz .LBB2771_9
; %bb.8:
	global_load_b32 v19, v[2:3], off offset:384
.LBB2771_9:
	s_wait_xcnt 0x0
	s_or_b32 exec_lo, exec_lo, s2
	v_dual_mov_b32 v22, -1 :: v_dual_add_nc_u32 v5, 0x80, v4
	v_mov_b32_e32 v21, -1
	s_mov_b32 s2, exec_lo
	s_delay_alu instid0(VALU_DEP_2)
	v_cmpx_gt_u32_e64 s22, v5
	s_cbranch_execz .LBB2771_11
; %bb.10:
	global_load_b32 v22, v[2:3], off offset:512
.LBB2771_11:
	s_wait_xcnt 0x0
	s_or_b32 exec_lo, exec_lo, s2
	v_add_nc_u32_e32 v5, 0xa0, v4
	s_mov_b32 s2, exec_lo
	s_delay_alu instid0(VALU_DEP_1)
	v_cmpx_gt_u32_e64 s22, v5
	s_cbranch_execz .LBB2771_13
; %bb.12:
	global_load_b32 v21, v[2:3], off offset:640
.LBB2771_13:
	s_wait_xcnt 0x0
	s_or_b32 exec_lo, exec_lo, s2
	v_dual_mov_b32 v24, -1 :: v_dual_add_nc_u32 v5, 0xc0, v4
	v_mov_b32_e32 v23, -1
	s_mov_b32 s2, exec_lo
	s_delay_alu instid0(VALU_DEP_2)
	v_cmpx_gt_u32_e64 s22, v5
	s_cbranch_execz .LBB2771_15
; %bb.14:
	global_load_b32 v24, v[2:3], off offset:768
.LBB2771_15:
	s_wait_xcnt 0x0
	s_or_b32 exec_lo, exec_lo, s2
	v_add_nc_u32_e32 v5, 0xe0, v4
	;; [unrolled: 21-line block ×4, first 2 shown]
	v_and_b32_e32 v27, 0x3ff, v0
	s_mov_b32 s2, exec_lo
	s_delay_alu instid0(VALU_DEP_2)
	v_cmpx_gt_u32_e64 s22, v4
	s_cbranch_execz .LBB2771_25
; %bb.24:
	global_load_b32 v28, v[2:3], off offset:1408
.LBB2771_25:
	s_wait_xcnt 0x0
	s_or_b32 exec_lo, exec_lo, s2
	s_clause 0x1
	s_load_b32 s23, s[0:1], 0x58
	s_load_u16 s4, s[0:1], 0x66
	v_bfe_u32 v2, v0, 10, 10
	v_bfe_u32 v3, v0, 20, 10
	s_wait_loadcnt 0x0
	v_lshrrev_b32_e32 v4, s20, v18
	s_mov_b32 s3, 0
	s_wait_kmcnt 0x0
	s_cmp_lt_u32 s9, s23
	v_mad_u32_u24 v2, v3, s4, v2
	s_cselect_b32 s2, 12, 18
	s_lshl_b32 s25, -1, s21
	s_add_nc_u64 s[2:3], s[26:27], s[2:3]
	v_bitop3_b32 v3, v4, 1, s25 bitop3:0x40
	s_load_u16 s28, s[2:3], 0x0
	v_bitop3_b32 v4, v4, s25, v4 bitop3:0x30
	s_wait_xcnt 0x0
	s_delay_alu instid0(VALU_DEP_2) | instskip(NEXT) | instid1(VALU_DEP_1)
	v_add_co_u32 v3, s2, v3, -1
	v_cndmask_b32_e64 v5, 0, 1, s2
	s_delay_alu instid0(VALU_DEP_3) | instskip(SKIP_1) | instid1(VALU_DEP_3)
	v_dual_lshlrev_b32 v6, 30, v4 :: v_dual_lshlrev_b32 v7, 29, v4
	v_dual_lshlrev_b32 v8, 28, v4 :: v_dual_lshlrev_b32 v9, 27, v4
	v_cmp_ne_u32_e32 vcc_lo, 0, v5
	s_delay_alu instid0(VALU_DEP_3)
	v_not_b32_e32 v5, v6
	v_dual_lshlrev_b32 v10, 26, v4 :: v_dual_lshlrev_b32 v11, 25, v4
	v_cmp_gt_i32_e64 s2, 0, v6
	v_cmp_gt_i32_e64 s3, 0, v7
	v_not_b32_e32 v6, v7
	v_not_b32_e32 v7, v8
	v_ashrrev_i32_e32 v5, 31, v5
	s_wait_kmcnt 0x0
	v_mad_u32 v2, v2, s28, v27
	v_dual_lshlrev_b32 v12, 24, v4 :: v_dual_bitop2_b32 v3, vcc_lo, v3 bitop3:0x14
	v_cmp_gt_i32_e64 s4, 0, v8
	v_cmp_gt_i32_e64 s5, 0, v9
	v_not_b32_e32 v8, v9
	v_cmp_gt_i32_e64 s6, 0, v10
	v_not_b32_e32 v9, v10
	v_not_b32_e32 v10, v11
	v_dual_ashrrev_i32 v6, 31, v6 :: v_dual_ashrrev_i32 v7, 31, v7
	v_dual_ashrrev_i32 v8, 31, v8 :: v_dual_bitop2_b32 v5, s2, v5 bitop3:0x14
	v_cmp_gt_i32_e64 s7, 0, v11
	v_not_b32_e32 v11, v12
	s_delay_alu instid0(VALU_DEP_4)
	v_dual_ashrrev_i32 v9, 31, v9 :: v_dual_bitop2_b32 v6, s3, v6 bitop3:0x14
	v_xor_b32_e32 v7, s4, v7
	v_bitop3_b32 v3, v3, v5, exec_lo bitop3:0x80
	v_ashrrev_i32_e32 v5, 31, v10
	v_mul_lo_u32 v4, 0x44, v4
	v_cmp_gt_i32_e64 s8, 0, v12
	v_dual_ashrrev_i32 v10, 31, v11 :: v_dual_bitop2_b32 v8, s5, v8 bitop3:0x14
	v_xor_b32_e32 v9, s6, v9
	v_bitop3_b32 v3, v3, v7, v6 bitop3:0x80
	v_dual_lshrrev_b32 v2, 3, v2 :: v_dual_bitop2_b32 v5, s7, v5 bitop3:0x14
	v_mov_b32_e32 v6, 0
	v_mul_u32_u24_e32 v12, 36, v27
	s_delay_alu instid0(VALU_DEP_4)
	v_bitop3_b32 v3, v3, v9, v8 bitop3:0x80
	s_not_b32 s6, s25
	v_and_b32_e32 v2, 0x1ffffffc, v2
	v_xor_b32_e32 v7, s8, v10
	ds_store_2addr_b32 v12, v6, v6 offset0:16 offset1:17
	ds_store_2addr_b32 v12, v6, v6 offset0:18 offset1:19
	;; [unrolled: 1-line block ×4, first 2 shown]
	ds_store_b32 v12, v6 offset:96
	s_wait_dscnt 0x0
	v_add_nc_u32_e32 v13, v2, v4
	v_bitop3_b32 v3, v3, v7, v5 bitop3:0x80
	s_barrier_signal -1
	s_barrier_wait -1
	s_delay_alu instid0(VALU_DEP_1) | instskip(SKIP_1) | instid1(VALU_DEP_2)
	v_mbcnt_lo_u32_b32 v7, v3, 0
	v_cmp_ne_u32_e64 s2, 0, v3
	; wave barrier
	v_cmp_eq_u32_e32 vcc_lo, 0, v7
	s_and_b32 s3, s2, vcc_lo
	s_delay_alu instid0(SALU_CYCLE_1)
	s_and_saveexec_b32 s2, s3
; %bb.26:
	v_bcnt_u32_b32 v3, v3, 0
	ds_store_b32 v13, v3 offset:64
; %bb.27:
	s_or_b32 exec_lo, exec_lo, s2
	v_lshrrev_b32_e32 v3, s20, v1
	; wave barrier
	s_delay_alu instid0(VALU_DEP_1) | instskip(NEXT) | instid1(VALU_DEP_1)
	v_and_b32_e32 v4, s6, v3
	v_lshlrev_b32_e32 v8, 30, v4
	v_bitop3_b32 v3, v3, 1, s6 bitop3:0x80
	s_delay_alu instid0(VALU_DEP_1) | instskip(NEXT) | instid1(VALU_DEP_1)
	v_add_co_u32 v3, s2, v3, -1
	v_cndmask_b32_e64 v6, 0, 1, s2
	s_delay_alu instid0(VALU_DEP_4) | instskip(NEXT) | instid1(VALU_DEP_2)
	v_cmp_gt_i32_e64 s2, 0, v8
	v_cmp_ne_u32_e32 vcc_lo, 0, v6
	v_not_b32_e32 v6, v8
	s_delay_alu instid0(VALU_DEP_1) | instskip(SKIP_3) | instid1(VALU_DEP_4)
	v_dual_ashrrev_i32 v6, 31, v6 :: v_dual_lshlrev_b32 v9, 29, v4
	v_dual_lshlrev_b32 v10, 28, v4 :: v_dual_lshlrev_b32 v11, 27, v4
	v_lshlrev_b32_e32 v14, 26, v4
	v_mul_lo_u32 v5, 0x44, v4
	v_cmp_gt_i32_e64 s3, 0, v9
	v_not_b32_e32 v8, v9
	v_not_b32_e32 v9, v10
	v_cmp_gt_i32_e64 s4, 0, v10
	v_xor_b32_e32 v3, vcc_lo, v3
	s_delay_alu instid0(VALU_DEP_4) | instskip(NEXT) | instid1(VALU_DEP_4)
	v_dual_ashrrev_i32 v8, 31, v8 :: v_dual_bitop2_b32 v6, s2, v6 bitop3:0x14
	v_dual_ashrrev_i32 v9, 31, v9 :: v_dual_lshlrev_b32 v15, 25, v4
	v_lshlrev_b32_e32 v4, 24, v4
	v_not_b32_e32 v10, v11
	v_not_b32_e32 v30, v14
	v_xor_b32_e32 v8, s3, v8
	v_xor_b32_e32 v9, s4, v9
	v_bitop3_b32 v3, v3, v6, exec_lo bitop3:0x80
	v_cmp_gt_i32_e32 vcc_lo, 0, v11
	v_ashrrev_i32_e32 v6, 31, v10
	v_cmp_gt_i32_e64 s2, 0, v14
	v_ashrrev_i32_e32 v10, 31, v30
	v_bitop3_b32 v3, v3, v9, v8 bitop3:0x80
	v_not_b32_e32 v8, v15
	v_not_b32_e32 v9, v4
	v_xor_b32_e32 v6, vcc_lo, v6
	v_xor_b32_e32 v10, s2, v10
	v_cmp_gt_i32_e32 vcc_lo, 0, v15
	v_ashrrev_i32_e32 v8, 31, v8
	v_cmp_gt_i32_e64 s2, 0, v4
	v_ashrrev_i32_e32 v4, 31, v9
	v_add_nc_u32_e32 v14, v2, v5
	v_bitop3_b32 v3, v3, v10, v6 bitop3:0x80
	v_xor_b32_e32 v5, vcc_lo, v8
	s_delay_alu instid0(VALU_DEP_4) | instskip(SKIP_2) | instid1(VALU_DEP_1)
	v_xor_b32_e32 v4, s2, v4
	ds_load_b32 v30, v14 offset:64
	; wave barrier
	v_bitop3_b32 v3, v3, v4, v5 bitop3:0x80
	v_mbcnt_lo_u32_b32 v31, v3, 0
	v_cmp_ne_u32_e64 s2, 0, v3
	s_delay_alu instid0(VALU_DEP_2) | instskip(SKIP_1) | instid1(SALU_CYCLE_1)
	v_cmp_eq_u32_e32 vcc_lo, 0, v31
	s_and_b32 s3, s2, vcc_lo
	s_and_saveexec_b32 s2, s3
	s_cbranch_execz .LBB2771_29
; %bb.28:
	s_wait_dscnt 0x0
	v_bcnt_u32_b32 v3, v3, v30
	ds_store_b32 v14, v3 offset:64
.LBB2771_29:
	s_or_b32 exec_lo, exec_lo, s2
	v_lshrrev_b32_e32 v3, s20, v20
	; wave barrier
	s_delay_alu instid0(VALU_DEP_1) | instskip(SKIP_1) | instid1(VALU_DEP_2)
	v_and_b32_e32 v4, s6, v3
	v_bitop3_b32 v3, v3, 1, s6 bitop3:0x80
	v_dual_lshlrev_b32 v8, 30, v4 :: v_dual_lshlrev_b32 v9, 29, v4
	s_delay_alu instid0(VALU_DEP_2) | instskip(NEXT) | instid1(VALU_DEP_1)
	v_add_co_u32 v3, s2, v3, -1
	v_cndmask_b32_e64 v6, 0, 1, s2
	s_delay_alu instid0(VALU_DEP_3) | instskip(NEXT) | instid1(VALU_DEP_4)
	v_cmp_gt_i32_e64 s2, 0, v8
	v_cmp_gt_i32_e64 s3, 0, v9
	s_delay_alu instid0(VALU_DEP_3) | instskip(SKIP_2) | instid1(VALU_DEP_2)
	v_cmp_ne_u32_e32 vcc_lo, 0, v6
	v_not_b32_e32 v6, v8
	v_not_b32_e32 v8, v9
	v_dual_ashrrev_i32 v6, 31, v6 :: v_dual_bitop2_b32 v3, vcc_lo, v3 bitop3:0x14
	s_delay_alu instid0(VALU_DEP_2) | instskip(SKIP_3) | instid1(VALU_DEP_3)
	v_ashrrev_i32_e32 v8, 31, v8
	v_dual_lshlrev_b32 v10, 28, v4 :: v_dual_lshlrev_b32 v11, 27, v4
	v_mul_lo_u32 v5, 0x44, v4
	v_dual_lshlrev_b32 v15, 26, v4 :: v_dual_lshlrev_b32 v32, 25, v4
	v_not_b32_e32 v9, v10
	v_lshlrev_b32_e32 v4, 24, v4
	v_cmp_gt_i32_e64 s4, 0, v10
	v_xor_b32_e32 v6, s2, v6
	v_not_b32_e32 v10, v11
	v_ashrrev_i32_e32 v9, 31, v9
	v_not_b32_e32 v33, v15
	v_xor_b32_e32 v8, s3, v8
	v_bitop3_b32 v3, v3, v6, exec_lo bitop3:0x80
	v_cmp_gt_i32_e32 vcc_lo, 0, v11
	v_dual_ashrrev_i32 v6, 31, v10 :: v_dual_bitop2_b32 v9, s4, v9 bitop3:0x14
	v_cmp_gt_i32_e64 s2, 0, v15
	v_ashrrev_i32_e32 v10, 31, v33
	s_delay_alu instid0(VALU_DEP_3)
	v_bitop3_b32 v3, v3, v9, v8 bitop3:0x80
	v_not_b32_e32 v8, v32
	v_not_b32_e32 v9, v4
	v_xor_b32_e32 v6, vcc_lo, v6
	v_xor_b32_e32 v10, s2, v10
	v_cmp_gt_i32_e32 vcc_lo, 0, v32
	v_ashrrev_i32_e32 v8, 31, v8
	v_cmp_gt_i32_e64 s2, 0, v4
	v_ashrrev_i32_e32 v4, 31, v9
	v_add_nc_u32_e32 v15, v2, v5
	v_bitop3_b32 v3, v3, v10, v6 bitop3:0x80
	v_xor_b32_e32 v5, vcc_lo, v8
	s_delay_alu instid0(VALU_DEP_4) | instskip(SKIP_2) | instid1(VALU_DEP_1)
	v_xor_b32_e32 v4, s2, v4
	ds_load_b32 v32, v15 offset:64
	; wave barrier
	v_bitop3_b32 v3, v3, v4, v5 bitop3:0x80
	v_mbcnt_lo_u32_b32 v33, v3, 0
	v_cmp_ne_u32_e64 s2, 0, v3
	s_delay_alu instid0(VALU_DEP_2) | instskip(SKIP_1) | instid1(SALU_CYCLE_1)
	v_cmp_eq_u32_e32 vcc_lo, 0, v33
	s_and_b32 s3, s2, vcc_lo
	s_and_saveexec_b32 s2, s3
	s_cbranch_execz .LBB2771_31
; %bb.30:
	s_wait_dscnt 0x0
	v_bcnt_u32_b32 v3, v3, v32
	ds_store_b32 v15, v3 offset:64
.LBB2771_31:
	s_or_b32 exec_lo, exec_lo, s2
	v_lshrrev_b32_e32 v3, s20, v19
	; wave barrier
	s_delay_alu instid0(VALU_DEP_1) | instskip(NEXT) | instid1(VALU_DEP_1)
	v_and_b32_e32 v4, s6, v3
	v_lshlrev_b32_e32 v8, 30, v4
	v_bitop3_b32 v3, v3, 1, s6 bitop3:0x80
	s_delay_alu instid0(VALU_DEP_1) | instskip(NEXT) | instid1(VALU_DEP_1)
	v_add_co_u32 v3, s2, v3, -1
	v_cndmask_b32_e64 v6, 0, 1, s2
	s_delay_alu instid0(VALU_DEP_4) | instskip(NEXT) | instid1(VALU_DEP_2)
	v_cmp_gt_i32_e64 s2, 0, v8
	v_cmp_ne_u32_e32 vcc_lo, 0, v6
	v_not_b32_e32 v6, v8
	s_delay_alu instid0(VALU_DEP_1) | instskip(SKIP_3) | instid1(VALU_DEP_4)
	v_dual_ashrrev_i32 v6, 31, v6 :: v_dual_lshlrev_b32 v9, 29, v4
	v_dual_lshlrev_b32 v10, 28, v4 :: v_dual_lshlrev_b32 v11, 27, v4
	v_lshlrev_b32_e32 v34, 26, v4
	v_mul_lo_u32 v5, 0x44, v4
	v_cmp_gt_i32_e64 s3, 0, v9
	v_not_b32_e32 v8, v9
	v_not_b32_e32 v9, v10
	v_cmp_gt_i32_e64 s4, 0, v10
	v_xor_b32_e32 v3, vcc_lo, v3
	s_delay_alu instid0(VALU_DEP_4) | instskip(NEXT) | instid1(VALU_DEP_4)
	v_dual_ashrrev_i32 v8, 31, v8 :: v_dual_bitop2_b32 v6, s2, v6 bitop3:0x14
	v_dual_ashrrev_i32 v9, 31, v9 :: v_dual_lshlrev_b32 v35, 25, v4
	v_lshlrev_b32_e32 v4, 24, v4
	v_not_b32_e32 v10, v11
	v_not_b32_e32 v36, v34
	v_xor_b32_e32 v8, s3, v8
	v_xor_b32_e32 v9, s4, v9
	v_bitop3_b32 v3, v3, v6, exec_lo bitop3:0x80
	v_cmp_gt_i32_e32 vcc_lo, 0, v11
	v_ashrrev_i32_e32 v6, 31, v10
	v_cmp_gt_i32_e64 s2, 0, v34
	v_ashrrev_i32_e32 v10, 31, v36
	v_bitop3_b32 v3, v3, v9, v8 bitop3:0x80
	v_not_b32_e32 v8, v35
	v_not_b32_e32 v9, v4
	v_xor_b32_e32 v6, vcc_lo, v6
	v_xor_b32_e32 v10, s2, v10
	v_cmp_gt_i32_e32 vcc_lo, 0, v35
	v_ashrrev_i32_e32 v8, 31, v8
	v_cmp_gt_i32_e64 s2, 0, v4
	v_ashrrev_i32_e32 v4, 31, v9
	v_add_nc_u32_e32 v38, v2, v5
	v_bitop3_b32 v3, v3, v10, v6 bitop3:0x80
	v_xor_b32_e32 v5, vcc_lo, v8
	s_delay_alu instid0(VALU_DEP_4) | instskip(SKIP_2) | instid1(VALU_DEP_1)
	v_xor_b32_e32 v4, s2, v4
	ds_load_b32 v34, v38 offset:64
	; wave barrier
	v_bitop3_b32 v3, v3, v4, v5 bitop3:0x80
	v_mbcnt_lo_u32_b32 v35, v3, 0
	v_cmp_ne_u32_e64 s2, 0, v3
	s_delay_alu instid0(VALU_DEP_2) | instskip(SKIP_1) | instid1(SALU_CYCLE_1)
	v_cmp_eq_u32_e32 vcc_lo, 0, v35
	s_and_b32 s3, s2, vcc_lo
	s_and_saveexec_b32 s2, s3
	s_cbranch_execz .LBB2771_33
; %bb.32:
	s_wait_dscnt 0x0
	v_bcnt_u32_b32 v3, v3, v34
	ds_store_b32 v38, v3 offset:64
.LBB2771_33:
	s_or_b32 exec_lo, exec_lo, s2
	v_lshrrev_b32_e32 v3, s20, v22
	; wave barrier
	s_delay_alu instid0(VALU_DEP_1) | instskip(NEXT) | instid1(VALU_DEP_1)
	v_and_b32_e32 v4, s6, v3
	v_lshlrev_b32_e32 v8, 30, v4
	v_bitop3_b32 v3, v3, 1, s6 bitop3:0x80
	s_delay_alu instid0(VALU_DEP_1) | instskip(NEXT) | instid1(VALU_DEP_1)
	v_add_co_u32 v3, s2, v3, -1
	v_cndmask_b32_e64 v6, 0, 1, s2
	s_delay_alu instid0(VALU_DEP_4) | instskip(NEXT) | instid1(VALU_DEP_2)
	v_cmp_gt_i32_e64 s2, 0, v8
	v_cmp_ne_u32_e32 vcc_lo, 0, v6
	v_not_b32_e32 v6, v8
	s_delay_alu instid0(VALU_DEP_1) | instskip(SKIP_3) | instid1(VALU_DEP_4)
	v_dual_ashrrev_i32 v6, 31, v6 :: v_dual_lshlrev_b32 v9, 29, v4
	v_dual_lshlrev_b32 v10, 28, v4 :: v_dual_lshlrev_b32 v11, 27, v4
	v_lshlrev_b32_e32 v36, 26, v4
	v_mul_lo_u32 v5, 0x44, v4
	v_cmp_gt_i32_e64 s3, 0, v9
	v_not_b32_e32 v8, v9
	v_not_b32_e32 v9, v10
	v_cmp_gt_i32_e64 s4, 0, v10
	v_xor_b32_e32 v3, vcc_lo, v3
	s_delay_alu instid0(VALU_DEP_4) | instskip(NEXT) | instid1(VALU_DEP_4)
	v_dual_ashrrev_i32 v8, 31, v8 :: v_dual_bitop2_b32 v6, s2, v6 bitop3:0x14
	v_dual_ashrrev_i32 v9, 31, v9 :: v_dual_lshlrev_b32 v37, 25, v4
	v_lshlrev_b32_e32 v4, 24, v4
	v_not_b32_e32 v10, v11
	v_not_b32_e32 v39, v36
	v_xor_b32_e32 v8, s3, v8
	v_xor_b32_e32 v9, s4, v9
	v_bitop3_b32 v3, v3, v6, exec_lo bitop3:0x80
	v_cmp_gt_i32_e32 vcc_lo, 0, v11
	v_ashrrev_i32_e32 v6, 31, v10
	v_cmp_gt_i32_e64 s2, 0, v36
	v_ashrrev_i32_e32 v10, 31, v39
	v_bitop3_b32 v3, v3, v9, v8 bitop3:0x80
	v_not_b32_e32 v8, v37
	v_not_b32_e32 v9, v4
	v_xor_b32_e32 v6, vcc_lo, v6
	v_xor_b32_e32 v10, s2, v10
	v_cmp_gt_i32_e32 vcc_lo, 0, v37
	v_ashrrev_i32_e32 v8, 31, v8
	v_cmp_gt_i32_e64 s2, 0, v4
	v_ashrrev_i32_e32 v4, 31, v9
	v_add_nc_u32_e32 v41, v2, v5
	v_bitop3_b32 v3, v3, v10, v6 bitop3:0x80
	v_xor_b32_e32 v5, vcc_lo, v8
	s_delay_alu instid0(VALU_DEP_4) | instskip(SKIP_2) | instid1(VALU_DEP_1)
	v_xor_b32_e32 v4, s2, v4
	ds_load_b32 v36, v41 offset:64
	; wave barrier
	v_bitop3_b32 v3, v3, v4, v5 bitop3:0x80
	v_mbcnt_lo_u32_b32 v37, v3, 0
	v_cmp_ne_u32_e64 s2, 0, v3
	s_delay_alu instid0(VALU_DEP_2) | instskip(SKIP_1) | instid1(SALU_CYCLE_1)
	v_cmp_eq_u32_e32 vcc_lo, 0, v37
	s_and_b32 s3, s2, vcc_lo
	s_and_saveexec_b32 s2, s3
	s_cbranch_execz .LBB2771_35
; %bb.34:
	s_wait_dscnt 0x0
	v_bcnt_u32_b32 v3, v3, v36
	ds_store_b32 v41, v3 offset:64
.LBB2771_35:
	s_or_b32 exec_lo, exec_lo, s2
	v_lshrrev_b32_e32 v3, s20, v21
	; wave barrier
	s_delay_alu instid0(VALU_DEP_1) | instskip(NEXT) | instid1(VALU_DEP_1)
	v_and_b32_e32 v4, s6, v3
	v_lshlrev_b32_e32 v8, 30, v4
	v_bitop3_b32 v3, v3, 1, s6 bitop3:0x80
	s_delay_alu instid0(VALU_DEP_1) | instskip(NEXT) | instid1(VALU_DEP_1)
	v_add_co_u32 v3, s2, v3, -1
	v_cndmask_b32_e64 v6, 0, 1, s2
	s_delay_alu instid0(VALU_DEP_4) | instskip(NEXT) | instid1(VALU_DEP_2)
	v_cmp_gt_i32_e64 s2, 0, v8
	v_cmp_ne_u32_e32 vcc_lo, 0, v6
	v_not_b32_e32 v6, v8
	s_delay_alu instid0(VALU_DEP_1) | instskip(SKIP_3) | instid1(VALU_DEP_4)
	v_dual_ashrrev_i32 v6, 31, v6 :: v_dual_lshlrev_b32 v9, 29, v4
	v_dual_lshlrev_b32 v10, 28, v4 :: v_dual_lshlrev_b32 v11, 27, v4
	v_lshlrev_b32_e32 v39, 26, v4
	v_mul_lo_u32 v5, 0x44, v4
	v_cmp_gt_i32_e64 s3, 0, v9
	v_not_b32_e32 v8, v9
	v_not_b32_e32 v9, v10
	v_cmp_gt_i32_e64 s4, 0, v10
	v_xor_b32_e32 v3, vcc_lo, v3
	s_delay_alu instid0(VALU_DEP_4) | instskip(NEXT) | instid1(VALU_DEP_4)
	v_dual_ashrrev_i32 v8, 31, v8 :: v_dual_bitop2_b32 v6, s2, v6 bitop3:0x14
	v_dual_ashrrev_i32 v9, 31, v9 :: v_dual_lshlrev_b32 v40, 25, v4
	v_lshlrev_b32_e32 v4, 24, v4
	v_not_b32_e32 v10, v11
	v_not_b32_e32 v42, v39
	v_xor_b32_e32 v8, s3, v8
	v_xor_b32_e32 v9, s4, v9
	v_bitop3_b32 v3, v3, v6, exec_lo bitop3:0x80
	v_cmp_gt_i32_e32 vcc_lo, 0, v11
	v_ashrrev_i32_e32 v6, 31, v10
	v_cmp_gt_i32_e64 s2, 0, v39
	v_ashrrev_i32_e32 v10, 31, v42
	v_bitop3_b32 v3, v3, v9, v8 bitop3:0x80
	v_not_b32_e32 v8, v40
	v_not_b32_e32 v9, v4
	v_xor_b32_e32 v6, vcc_lo, v6
	v_xor_b32_e32 v10, s2, v10
	v_cmp_gt_i32_e32 vcc_lo, 0, v40
	v_ashrrev_i32_e32 v8, 31, v8
	v_cmp_gt_i32_e64 s2, 0, v4
	v_ashrrev_i32_e32 v4, 31, v9
	v_add_nc_u32_e32 v44, v2, v5
	v_bitop3_b32 v3, v3, v10, v6 bitop3:0x80
	v_xor_b32_e32 v5, vcc_lo, v8
	s_delay_alu instid0(VALU_DEP_4) | instskip(SKIP_2) | instid1(VALU_DEP_1)
	v_xor_b32_e32 v4, s2, v4
	ds_load_b32 v39, v44 offset:64
	; wave barrier
	v_bitop3_b32 v3, v3, v4, v5 bitop3:0x80
	v_mbcnt_lo_u32_b32 v40, v3, 0
	v_cmp_ne_u32_e64 s2, 0, v3
	s_delay_alu instid0(VALU_DEP_2) | instskip(SKIP_1) | instid1(SALU_CYCLE_1)
	v_cmp_eq_u32_e32 vcc_lo, 0, v40
	s_and_b32 s3, s2, vcc_lo
	s_and_saveexec_b32 s2, s3
	s_cbranch_execz .LBB2771_37
; %bb.36:
	s_wait_dscnt 0x0
	v_bcnt_u32_b32 v3, v3, v39
	ds_store_b32 v44, v3 offset:64
.LBB2771_37:
	s_or_b32 exec_lo, exec_lo, s2
	v_lshrrev_b32_e32 v3, s20, v24
	; wave barrier
	s_delay_alu instid0(VALU_DEP_1) | instskip(SKIP_1) | instid1(VALU_DEP_2)
	v_and_b32_e32 v4, s6, v3
	v_bitop3_b32 v3, v3, 1, s6 bitop3:0x80
	v_dual_lshlrev_b32 v8, 30, v4 :: v_dual_lshlrev_b32 v9, 29, v4
	s_delay_alu instid0(VALU_DEP_2) | instskip(NEXT) | instid1(VALU_DEP_1)
	v_add_co_u32 v3, s2, v3, -1
	v_cndmask_b32_e64 v6, 0, 1, s2
	s_delay_alu instid0(VALU_DEP_3) | instskip(NEXT) | instid1(VALU_DEP_4)
	v_cmp_gt_i32_e64 s2, 0, v8
	v_cmp_gt_i32_e64 s3, 0, v9
	s_delay_alu instid0(VALU_DEP_3) | instskip(SKIP_2) | instid1(VALU_DEP_2)
	v_cmp_ne_u32_e32 vcc_lo, 0, v6
	v_not_b32_e32 v6, v8
	v_not_b32_e32 v8, v9
	v_dual_ashrrev_i32 v6, 31, v6 :: v_dual_bitop2_b32 v3, vcc_lo, v3 bitop3:0x14
	s_delay_alu instid0(VALU_DEP_2) | instskip(SKIP_3) | instid1(VALU_DEP_3)
	v_ashrrev_i32_e32 v8, 31, v8
	v_dual_lshlrev_b32 v10, 28, v4 :: v_dual_lshlrev_b32 v11, 27, v4
	v_mul_lo_u32 v5, 0x44, v4
	v_dual_lshlrev_b32 v42, 26, v4 :: v_dual_lshlrev_b32 v43, 25, v4
	v_not_b32_e32 v9, v10
	v_lshlrev_b32_e32 v4, 24, v4
	v_cmp_gt_i32_e64 s4, 0, v10
	v_xor_b32_e32 v6, s2, v6
	v_not_b32_e32 v10, v11
	v_ashrrev_i32_e32 v9, 31, v9
	v_not_b32_e32 v45, v42
	v_xor_b32_e32 v8, s3, v8
	v_bitop3_b32 v3, v3, v6, exec_lo bitop3:0x80
	v_cmp_gt_i32_e32 vcc_lo, 0, v11
	v_dual_ashrrev_i32 v6, 31, v10 :: v_dual_bitop2_b32 v9, s4, v9 bitop3:0x14
	v_cmp_gt_i32_e64 s2, 0, v42
	v_ashrrev_i32_e32 v10, 31, v45
	s_delay_alu instid0(VALU_DEP_3)
	v_bitop3_b32 v3, v3, v9, v8 bitop3:0x80
	v_not_b32_e32 v8, v43
	v_not_b32_e32 v9, v4
	v_xor_b32_e32 v6, vcc_lo, v6
	v_xor_b32_e32 v10, s2, v10
	v_cmp_gt_i32_e32 vcc_lo, 0, v43
	v_ashrrev_i32_e32 v8, 31, v8
	v_cmp_gt_i32_e64 s2, 0, v4
	v_ashrrev_i32_e32 v4, 31, v9
	v_add_nc_u32_e32 v47, v2, v5
	v_bitop3_b32 v3, v3, v10, v6 bitop3:0x80
	v_xor_b32_e32 v5, vcc_lo, v8
	s_delay_alu instid0(VALU_DEP_4) | instskip(SKIP_2) | instid1(VALU_DEP_1)
	v_xor_b32_e32 v4, s2, v4
	ds_load_b32 v42, v47 offset:64
	; wave barrier
	v_bitop3_b32 v3, v3, v4, v5 bitop3:0x80
	v_mbcnt_lo_u32_b32 v43, v3, 0
	v_cmp_ne_u32_e64 s2, 0, v3
	s_delay_alu instid0(VALU_DEP_2) | instskip(SKIP_1) | instid1(SALU_CYCLE_1)
	v_cmp_eq_u32_e32 vcc_lo, 0, v43
	s_and_b32 s3, s2, vcc_lo
	s_and_saveexec_b32 s2, s3
	s_cbranch_execz .LBB2771_39
; %bb.38:
	s_wait_dscnt 0x0
	v_bcnt_u32_b32 v3, v3, v42
	ds_store_b32 v47, v3 offset:64
.LBB2771_39:
	s_or_b32 exec_lo, exec_lo, s2
	v_lshrrev_b32_e32 v3, s20, v23
	; wave barrier
	s_delay_alu instid0(VALU_DEP_1) | instskip(NEXT) | instid1(VALU_DEP_1)
	v_and_b32_e32 v4, s6, v3
	v_lshlrev_b32_e32 v8, 30, v4
	v_bitop3_b32 v3, v3, 1, s6 bitop3:0x80
	s_delay_alu instid0(VALU_DEP_1) | instskip(NEXT) | instid1(VALU_DEP_1)
	v_add_co_u32 v3, s2, v3, -1
	v_cndmask_b32_e64 v6, 0, 1, s2
	s_delay_alu instid0(VALU_DEP_4) | instskip(NEXT) | instid1(VALU_DEP_2)
	v_cmp_gt_i32_e64 s2, 0, v8
	v_cmp_ne_u32_e32 vcc_lo, 0, v6
	v_not_b32_e32 v6, v8
	s_delay_alu instid0(VALU_DEP_1) | instskip(SKIP_3) | instid1(VALU_DEP_4)
	v_dual_ashrrev_i32 v6, 31, v6 :: v_dual_lshlrev_b32 v9, 29, v4
	v_dual_lshlrev_b32 v10, 28, v4 :: v_dual_lshlrev_b32 v11, 27, v4
	v_lshlrev_b32_e32 v45, 26, v4
	v_mul_lo_u32 v5, 0x44, v4
	v_cmp_gt_i32_e64 s3, 0, v9
	v_not_b32_e32 v8, v9
	v_not_b32_e32 v9, v10
	v_cmp_gt_i32_e64 s4, 0, v10
	v_xor_b32_e32 v3, vcc_lo, v3
	s_delay_alu instid0(VALU_DEP_4) | instskip(NEXT) | instid1(VALU_DEP_4)
	v_dual_ashrrev_i32 v8, 31, v8 :: v_dual_bitop2_b32 v6, s2, v6 bitop3:0x14
	v_dual_ashrrev_i32 v9, 31, v9 :: v_dual_lshlrev_b32 v46, 25, v4
	v_lshlrev_b32_e32 v4, 24, v4
	v_not_b32_e32 v10, v11
	v_not_b32_e32 v48, v45
	v_xor_b32_e32 v8, s3, v8
	v_xor_b32_e32 v9, s4, v9
	v_bitop3_b32 v3, v3, v6, exec_lo bitop3:0x80
	v_cmp_gt_i32_e32 vcc_lo, 0, v11
	v_ashrrev_i32_e32 v6, 31, v10
	v_cmp_gt_i32_e64 s2, 0, v45
	v_ashrrev_i32_e32 v10, 31, v48
	v_bitop3_b32 v3, v3, v9, v8 bitop3:0x80
	v_not_b32_e32 v8, v46
	v_not_b32_e32 v9, v4
	v_xor_b32_e32 v6, vcc_lo, v6
	v_xor_b32_e32 v10, s2, v10
	v_cmp_gt_i32_e32 vcc_lo, 0, v46
	v_ashrrev_i32_e32 v8, 31, v8
	v_cmp_gt_i32_e64 s2, 0, v4
	v_ashrrev_i32_e32 v4, 31, v9
	v_add_nc_u32_e32 v50, v2, v5
	v_bitop3_b32 v3, v3, v10, v6 bitop3:0x80
	v_xor_b32_e32 v5, vcc_lo, v8
	s_delay_alu instid0(VALU_DEP_4) | instskip(SKIP_2) | instid1(VALU_DEP_1)
	v_xor_b32_e32 v4, s2, v4
	ds_load_b32 v45, v50 offset:64
	; wave barrier
	v_bitop3_b32 v3, v3, v4, v5 bitop3:0x80
	v_mbcnt_lo_u32_b32 v46, v3, 0
	v_cmp_ne_u32_e64 s2, 0, v3
	s_delay_alu instid0(VALU_DEP_2) | instskip(SKIP_1) | instid1(SALU_CYCLE_1)
	v_cmp_eq_u32_e32 vcc_lo, 0, v46
	s_and_b32 s3, s2, vcc_lo
	s_and_saveexec_b32 s2, s3
	s_cbranch_execz .LBB2771_41
; %bb.40:
	s_wait_dscnt 0x0
	v_bcnt_u32_b32 v3, v3, v45
	ds_store_b32 v50, v3 offset:64
.LBB2771_41:
	s_or_b32 exec_lo, exec_lo, s2
	v_lshrrev_b32_e32 v3, s20, v26
	; wave barrier
	s_delay_alu instid0(VALU_DEP_1) | instskip(NEXT) | instid1(VALU_DEP_1)
	v_and_b32_e32 v4, s6, v3
	v_lshlrev_b32_e32 v8, 30, v4
	v_bitop3_b32 v3, v3, 1, s6 bitop3:0x80
	s_delay_alu instid0(VALU_DEP_1) | instskip(NEXT) | instid1(VALU_DEP_1)
	v_add_co_u32 v3, s2, v3, -1
	v_cndmask_b32_e64 v6, 0, 1, s2
	s_delay_alu instid0(VALU_DEP_4) | instskip(NEXT) | instid1(VALU_DEP_2)
	v_cmp_gt_i32_e64 s2, 0, v8
	v_cmp_ne_u32_e32 vcc_lo, 0, v6
	v_not_b32_e32 v6, v8
	s_delay_alu instid0(VALU_DEP_1) | instskip(SKIP_3) | instid1(VALU_DEP_4)
	v_dual_ashrrev_i32 v6, 31, v6 :: v_dual_lshlrev_b32 v9, 29, v4
	v_dual_lshlrev_b32 v10, 28, v4 :: v_dual_lshlrev_b32 v11, 27, v4
	v_lshlrev_b32_e32 v48, 26, v4
	v_mul_lo_u32 v5, 0x44, v4
	v_cmp_gt_i32_e64 s3, 0, v9
	v_not_b32_e32 v8, v9
	v_not_b32_e32 v9, v10
	v_cmp_gt_i32_e64 s4, 0, v10
	v_xor_b32_e32 v3, vcc_lo, v3
	s_delay_alu instid0(VALU_DEP_4) | instskip(NEXT) | instid1(VALU_DEP_4)
	v_dual_ashrrev_i32 v8, 31, v8 :: v_dual_bitop2_b32 v6, s2, v6 bitop3:0x14
	v_dual_ashrrev_i32 v9, 31, v9 :: v_dual_lshlrev_b32 v49, 25, v4
	v_lshlrev_b32_e32 v4, 24, v4
	v_not_b32_e32 v10, v11
	v_not_b32_e32 v51, v48
	v_xor_b32_e32 v8, s3, v8
	v_xor_b32_e32 v9, s4, v9
	v_bitop3_b32 v3, v3, v6, exec_lo bitop3:0x80
	v_cmp_gt_i32_e32 vcc_lo, 0, v11
	v_ashrrev_i32_e32 v6, 31, v10
	v_cmp_gt_i32_e64 s2, 0, v48
	v_ashrrev_i32_e32 v10, 31, v51
	v_bitop3_b32 v3, v3, v9, v8 bitop3:0x80
	v_not_b32_e32 v8, v49
	v_not_b32_e32 v9, v4
	v_xor_b32_e32 v6, vcc_lo, v6
	v_xor_b32_e32 v10, s2, v10
	v_cmp_gt_i32_e32 vcc_lo, 0, v49
	v_ashrrev_i32_e32 v8, 31, v8
	v_cmp_gt_i32_e64 s2, 0, v4
	v_ashrrev_i32_e32 v4, 31, v9
	v_add_nc_u32_e32 v53, v2, v5
	v_bitop3_b32 v3, v3, v10, v6 bitop3:0x80
	v_xor_b32_e32 v5, vcc_lo, v8
	s_delay_alu instid0(VALU_DEP_4) | instskip(SKIP_2) | instid1(VALU_DEP_1)
	v_xor_b32_e32 v4, s2, v4
	ds_load_b32 v48, v53 offset:64
	; wave barrier
	v_bitop3_b32 v3, v3, v4, v5 bitop3:0x80
	v_mbcnt_lo_u32_b32 v49, v3, 0
	v_cmp_ne_u32_e64 s2, 0, v3
	s_delay_alu instid0(VALU_DEP_2) | instskip(SKIP_1) | instid1(SALU_CYCLE_1)
	v_cmp_eq_u32_e32 vcc_lo, 0, v49
	s_and_b32 s3, s2, vcc_lo
	s_and_saveexec_b32 s2, s3
	s_cbranch_execz .LBB2771_43
; %bb.42:
	s_wait_dscnt 0x0
	v_bcnt_u32_b32 v3, v3, v48
	ds_store_b32 v53, v3 offset:64
.LBB2771_43:
	s_or_b32 exec_lo, exec_lo, s2
	v_lshrrev_b32_e32 v3, s20, v25
	; wave barrier
	s_delay_alu instid0(VALU_DEP_1) | instskip(NEXT) | instid1(VALU_DEP_1)
	v_and_b32_e32 v4, s6, v3
	v_lshlrev_b32_e32 v8, 30, v4
	v_bitop3_b32 v3, v3, 1, s6 bitop3:0x80
	s_delay_alu instid0(VALU_DEP_1) | instskip(NEXT) | instid1(VALU_DEP_1)
	v_add_co_u32 v3, s2, v3, -1
	v_cndmask_b32_e64 v6, 0, 1, s2
	s_delay_alu instid0(VALU_DEP_4) | instskip(NEXT) | instid1(VALU_DEP_2)
	v_cmp_gt_i32_e64 s2, 0, v8
	v_cmp_ne_u32_e32 vcc_lo, 0, v6
	v_not_b32_e32 v6, v8
	s_delay_alu instid0(VALU_DEP_1) | instskip(SKIP_3) | instid1(VALU_DEP_4)
	v_dual_ashrrev_i32 v6, 31, v6 :: v_dual_lshlrev_b32 v9, 29, v4
	v_dual_lshlrev_b32 v10, 28, v4 :: v_dual_lshlrev_b32 v11, 27, v4
	v_lshlrev_b32_e32 v51, 26, v4
	v_mul_lo_u32 v5, 0x44, v4
	v_cmp_gt_i32_e64 s3, 0, v9
	v_not_b32_e32 v8, v9
	v_not_b32_e32 v9, v10
	v_cmp_gt_i32_e64 s4, 0, v10
	v_xor_b32_e32 v3, vcc_lo, v3
	s_delay_alu instid0(VALU_DEP_4) | instskip(NEXT) | instid1(VALU_DEP_4)
	v_dual_ashrrev_i32 v8, 31, v8 :: v_dual_bitop2_b32 v6, s2, v6 bitop3:0x14
	v_dual_ashrrev_i32 v9, 31, v9 :: v_dual_lshlrev_b32 v52, 25, v4
	v_lshlrev_b32_e32 v4, 24, v4
	v_not_b32_e32 v10, v11
	v_not_b32_e32 v54, v51
	v_xor_b32_e32 v8, s3, v8
	v_xor_b32_e32 v9, s4, v9
	v_bitop3_b32 v3, v3, v6, exec_lo bitop3:0x80
	v_cmp_gt_i32_e32 vcc_lo, 0, v11
	v_ashrrev_i32_e32 v6, 31, v10
	v_cmp_gt_i32_e64 s2, 0, v51
	v_ashrrev_i32_e32 v10, 31, v54
	v_bitop3_b32 v3, v3, v9, v8 bitop3:0x80
	v_not_b32_e32 v8, v52
	v_not_b32_e32 v9, v4
	v_xor_b32_e32 v6, vcc_lo, v6
	v_xor_b32_e32 v10, s2, v10
	v_cmp_gt_i32_e32 vcc_lo, 0, v52
	v_ashrrev_i32_e32 v8, 31, v8
	v_cmp_gt_i32_e64 s2, 0, v4
	v_ashrrev_i32_e32 v4, 31, v9
	v_add_nc_u32_e32 v56, v2, v5
	v_bitop3_b32 v3, v3, v10, v6 bitop3:0x80
	v_xor_b32_e32 v5, vcc_lo, v8
	s_delay_alu instid0(VALU_DEP_4) | instskip(SKIP_2) | instid1(VALU_DEP_1)
	v_xor_b32_e32 v4, s2, v4
	ds_load_b32 v51, v56 offset:64
	; wave barrier
	v_bitop3_b32 v3, v3, v4, v5 bitop3:0x80
	v_mbcnt_lo_u32_b32 v52, v3, 0
	v_cmp_ne_u32_e64 s2, 0, v3
	s_delay_alu instid0(VALU_DEP_2) | instskip(SKIP_1) | instid1(SALU_CYCLE_1)
	v_cmp_eq_u32_e32 vcc_lo, 0, v52
	s_and_b32 s3, s2, vcc_lo
	s_and_saveexec_b32 s2, s3
	s_cbranch_execz .LBB2771_45
; %bb.44:
	s_wait_dscnt 0x0
	v_bcnt_u32_b32 v3, v3, v51
	ds_store_b32 v56, v3 offset:64
.LBB2771_45:
	s_or_b32 exec_lo, exec_lo, s2
	v_lshrrev_b32_e32 v3, s20, v29
	; wave barrier
	s_delay_alu instid0(VALU_DEP_1) | instskip(NEXT) | instid1(VALU_DEP_1)
	v_and_b32_e32 v4, s6, v3
	v_lshlrev_b32_e32 v8, 30, v4
	v_bitop3_b32 v3, v3, 1, s6 bitop3:0x80
	s_delay_alu instid0(VALU_DEP_1) | instskip(NEXT) | instid1(VALU_DEP_1)
	v_add_co_u32 v3, s2, v3, -1
	v_cndmask_b32_e64 v6, 0, 1, s2
	s_delay_alu instid0(VALU_DEP_4) | instskip(NEXT) | instid1(VALU_DEP_2)
	v_cmp_gt_i32_e64 s2, 0, v8
	v_cmp_ne_u32_e32 vcc_lo, 0, v6
	v_not_b32_e32 v6, v8
	s_delay_alu instid0(VALU_DEP_1) | instskip(SKIP_3) | instid1(VALU_DEP_4)
	v_dual_ashrrev_i32 v6, 31, v6 :: v_dual_lshlrev_b32 v9, 29, v4
	v_dual_lshlrev_b32 v10, 28, v4 :: v_dual_lshlrev_b32 v11, 27, v4
	v_lshlrev_b32_e32 v54, 26, v4
	v_mul_lo_u32 v5, 0x44, v4
	v_cmp_gt_i32_e64 s3, 0, v9
	v_not_b32_e32 v8, v9
	v_not_b32_e32 v9, v10
	v_cmp_gt_i32_e64 s4, 0, v10
	v_xor_b32_e32 v3, vcc_lo, v3
	s_delay_alu instid0(VALU_DEP_4) | instskip(NEXT) | instid1(VALU_DEP_4)
	v_dual_ashrrev_i32 v8, 31, v8 :: v_dual_bitop2_b32 v6, s2, v6 bitop3:0x14
	v_dual_ashrrev_i32 v9, 31, v9 :: v_dual_lshlrev_b32 v55, 25, v4
	v_lshlrev_b32_e32 v4, 24, v4
	v_not_b32_e32 v10, v11
	v_not_b32_e32 v57, v54
	v_xor_b32_e32 v8, s3, v8
	v_xor_b32_e32 v9, s4, v9
	v_bitop3_b32 v3, v3, v6, exec_lo bitop3:0x80
	v_cmp_gt_i32_e32 vcc_lo, 0, v11
	v_ashrrev_i32_e32 v6, 31, v10
	v_cmp_gt_i32_e64 s2, 0, v54
	v_ashrrev_i32_e32 v10, 31, v57
	v_bitop3_b32 v3, v3, v9, v8 bitop3:0x80
	v_not_b32_e32 v8, v55
	v_not_b32_e32 v9, v4
	v_xor_b32_e32 v6, vcc_lo, v6
	v_xor_b32_e32 v10, s2, v10
	v_cmp_gt_i32_e32 vcc_lo, 0, v55
	v_ashrrev_i32_e32 v8, 31, v8
	v_cmp_gt_i32_e64 s2, 0, v4
	v_ashrrev_i32_e32 v4, 31, v9
	v_add_nc_u32_e32 v59, v2, v5
	v_bitop3_b32 v3, v3, v10, v6 bitop3:0x80
	v_xor_b32_e32 v5, vcc_lo, v8
	s_delay_alu instid0(VALU_DEP_4) | instskip(SKIP_2) | instid1(VALU_DEP_1)
	v_xor_b32_e32 v4, s2, v4
	ds_load_b32 v54, v59 offset:64
	; wave barrier
	v_bitop3_b32 v3, v3, v4, v5 bitop3:0x80
	v_mbcnt_lo_u32_b32 v55, v3, 0
	v_cmp_ne_u32_e64 s2, 0, v3
	s_delay_alu instid0(VALU_DEP_2) | instskip(SKIP_1) | instid1(SALU_CYCLE_1)
	v_cmp_eq_u32_e32 vcc_lo, 0, v55
	s_and_b32 s3, s2, vcc_lo
	s_and_saveexec_b32 s2, s3
	s_cbranch_execz .LBB2771_47
; %bb.46:
	s_wait_dscnt 0x0
	v_bcnt_u32_b32 v3, v3, v54
	ds_store_b32 v59, v3 offset:64
.LBB2771_47:
	s_or_b32 exec_lo, exec_lo, s2
	v_lshrrev_b32_e32 v3, s20, v28
	; wave barrier
	s_delay_alu instid0(VALU_DEP_1) | instskip(SKIP_1) | instid1(VALU_DEP_2)
	v_and_b32_e32 v4, s6, v3
	v_bitop3_b32 v3, v3, 1, s6 bitop3:0x80
	v_dual_lshlrev_b32 v8, 30, v4 :: v_dual_lshlrev_b32 v9, 29, v4
	s_delay_alu instid0(VALU_DEP_2) | instskip(NEXT) | instid1(VALU_DEP_1)
	v_add_co_u32 v3, s2, v3, -1
	v_cndmask_b32_e64 v6, 0, 1, s2
	s_delay_alu instid0(VALU_DEP_3) | instskip(NEXT) | instid1(VALU_DEP_4)
	v_cmp_gt_i32_e64 s2, 0, v8
	v_cmp_gt_i32_e64 s3, 0, v9
	s_delay_alu instid0(VALU_DEP_3) | instskip(SKIP_2) | instid1(VALU_DEP_2)
	v_cmp_ne_u32_e32 vcc_lo, 0, v6
	v_not_b32_e32 v6, v8
	v_not_b32_e32 v8, v9
	v_dual_ashrrev_i32 v6, 31, v6 :: v_dual_bitop2_b32 v3, vcc_lo, v3 bitop3:0x14
	s_delay_alu instid0(VALU_DEP_2) | instskip(SKIP_3) | instid1(VALU_DEP_3)
	v_ashrrev_i32_e32 v8, 31, v8
	v_dual_lshlrev_b32 v10, 28, v4 :: v_dual_lshlrev_b32 v11, 27, v4
	v_mul_lo_u32 v5, 0x44, v4
	v_dual_lshlrev_b32 v57, 26, v4 :: v_dual_lshlrev_b32 v58, 25, v4
	v_not_b32_e32 v9, v10
	v_lshlrev_b32_e32 v4, 24, v4
	v_cmp_gt_i32_e64 s4, 0, v10
	v_xor_b32_e32 v6, s2, v6
	v_not_b32_e32 v10, v11
	v_ashrrev_i32_e32 v9, 31, v9
	v_not_b32_e32 v60, v57
	v_xor_b32_e32 v8, s3, v8
	v_bitop3_b32 v3, v3, v6, exec_lo bitop3:0x80
	v_cmp_gt_i32_e32 vcc_lo, 0, v11
	v_dual_ashrrev_i32 v6, 31, v10 :: v_dual_bitop2_b32 v9, s4, v9 bitop3:0x14
	v_cmp_gt_i32_e64 s2, 0, v57
	v_ashrrev_i32_e32 v10, 31, v60
	s_delay_alu instid0(VALU_DEP_3)
	v_bitop3_b32 v3, v3, v9, v8 bitop3:0x80
	v_not_b32_e32 v8, v58
	v_not_b32_e32 v9, v4
	v_xor_b32_e32 v6, vcc_lo, v6
	v_xor_b32_e32 v10, s2, v10
	v_cmp_gt_i32_e32 vcc_lo, 0, v58
	v_ashrrev_i32_e32 v8, 31, v8
	v_cmp_gt_i32_e64 s2, 0, v4
	v_ashrrev_i32_e32 v4, 31, v9
	v_add_nc_u32_e32 v62, v2, v5
	v_bitop3_b32 v2, v3, v10, v6 bitop3:0x80
	v_xor_b32_e32 v3, vcc_lo, v8
	s_delay_alu instid0(VALU_DEP_4) | instskip(SKIP_2) | instid1(VALU_DEP_1)
	v_xor_b32_e32 v4, s2, v4
	ds_load_b32 v57, v62 offset:64
	; wave barrier
	v_bitop3_b32 v2, v2, v4, v3 bitop3:0x80
	v_mbcnt_lo_u32_b32 v58, v2, 0
	v_cmp_ne_u32_e64 s2, 0, v2
	s_delay_alu instid0(VALU_DEP_2) | instskip(SKIP_1) | instid1(SALU_CYCLE_1)
	v_cmp_eq_u32_e32 vcc_lo, 0, v58
	s_and_b32 s3, s2, vcc_lo
	s_and_saveexec_b32 s2, s3
	s_cbranch_execz .LBB2771_49
; %bb.48:
	s_wait_dscnt 0x0
	v_bcnt_u32_b32 v2, v2, v57
	ds_store_b32 v62, v2 offset:64
.LBB2771_49:
	s_or_b32 exec_lo, exec_lo, s2
	; wave barrier
	s_wait_dscnt 0x0
	s_barrier_signal -1
	s_barrier_wait -1
	ds_load_2addr_b32 v[10:11], v12 offset0:16 offset1:17
	ds_load_2addr_b32 v[8:9], v12 offset0:18 offset1:19
	;; [unrolled: 1-line block ×4, first 2 shown]
	ds_load_b32 v6, v12 offset:96
	v_min_u32_e32 v63, 0x1e0, v17
	s_mov_b32 s7, exec_lo
	s_wait_dscnt 0x3
	v_add3_u32 v60, v11, v10, v8
	s_wait_dscnt 0x2
	s_delay_alu instid0(VALU_DEP_1) | instskip(SKIP_1) | instid1(VALU_DEP_1)
	v_add3_u32 v60, v60, v9, v4
	s_wait_dscnt 0x1
	v_add3_u32 v60, v60, v5, v2
	s_wait_dscnt 0x0
	s_delay_alu instid0(VALU_DEP_1) | instskip(SKIP_1) | instid1(VALU_DEP_2)
	v_add3_u32 v6, v60, v3, v6
	v_and_b32_e32 v60, 15, v16
	v_mov_b32_dpp v61, v6 row_shr:1 row_mask:0xf bank_mask:0xf
	s_delay_alu instid0(VALU_DEP_2) | instskip(NEXT) | instid1(VALU_DEP_2)
	v_cmp_eq_u32_e32 vcc_lo, 0, v60
	v_cndmask_b32_e64 v61, v61, 0, vcc_lo
	s_delay_alu instid0(VALU_DEP_1) | instskip(SKIP_3) | instid1(VALU_DEP_4)
	v_add_nc_u32_e32 v6, v61, v6
	v_cmp_lt_u32_e64 s2, 1, v60
	v_cmp_lt_u32_e64 s3, 3, v60
	;; [unrolled: 1-line block ×3, first 2 shown]
	v_mov_b32_dpp v61, v6 row_shr:2 row_mask:0xf bank_mask:0xf
	s_delay_alu instid0(VALU_DEP_1) | instskip(NEXT) | instid1(VALU_DEP_1)
	v_cndmask_b32_e64 v61, 0, v61, s2
	v_add_nc_u32_e32 v6, v6, v61
	s_delay_alu instid0(VALU_DEP_1) | instskip(NEXT) | instid1(VALU_DEP_1)
	v_mov_b32_dpp v61, v6 row_shr:4 row_mask:0xf bank_mask:0xf
	v_cndmask_b32_e64 v61, 0, v61, s3
	s_delay_alu instid0(VALU_DEP_1) | instskip(NEXT) | instid1(VALU_DEP_1)
	v_add_nc_u32_e32 v6, v6, v61
	v_mov_b32_dpp v61, v6 row_shr:8 row_mask:0xf bank_mask:0xf
	s_delay_alu instid0(VALU_DEP_1) | instskip(SKIP_1) | instid1(VALU_DEP_2)
	v_cndmask_b32_e64 v60, 0, v61, s4
	v_bfe_i32 v61, v16, 4, 1
	v_add_nc_u32_e32 v6, v6, v60
	ds_swizzle_b32 v60, v6 offset:swizzle(BROADCAST,32,15)
	s_wait_dscnt 0x0
	v_dual_lshrrev_b32 v61, 5, v27 :: v_dual_bitop2_b32 v60, v61, v60 bitop3:0x40
	s_delay_alu instid0(VALU_DEP_1) | instskip(NEXT) | instid1(VALU_DEP_1)
	v_dual_add_nc_u32 v60, v6, v60 :: v_dual_bitop2_b32 v63, 31, v63 bitop3:0x54
	v_cmpx_eq_u32_e64 v27, v63
; %bb.50:
	s_delay_alu instid0(VALU_DEP_3)
	v_lshlrev_b32_e32 v6, 2, v61
	ds_store_b32 v6, v60
; %bb.51:
	s_or_b32 exec_lo, exec_lo, s7
	v_lshlrev_b32_e32 v6, 2, v27
	s_mov_b32 s7, exec_lo
	s_wait_dscnt 0x0
	s_barrier_signal -1
	s_barrier_wait -1
	v_cmpx_gt_u32_e32 16, v27
	s_cbranch_execz .LBB2771_53
; %bb.52:
	ds_load_b32 v63, v6
	s_wait_dscnt 0x0
	v_mov_b32_dpp v64, v63 row_shr:1 row_mask:0xf bank_mask:0xf
	s_delay_alu instid0(VALU_DEP_1) | instskip(NEXT) | instid1(VALU_DEP_1)
	v_cndmask_b32_e64 v64, v64, 0, vcc_lo
	v_add_nc_u32_e32 v63, v64, v63
	s_delay_alu instid0(VALU_DEP_1) | instskip(NEXT) | instid1(VALU_DEP_1)
	v_mov_b32_dpp v64, v63 row_shr:2 row_mask:0xf bank_mask:0xf
	v_cndmask_b32_e64 v64, 0, v64, s2
	s_delay_alu instid0(VALU_DEP_1) | instskip(NEXT) | instid1(VALU_DEP_1)
	v_add_nc_u32_e32 v63, v63, v64
	v_mov_b32_dpp v64, v63 row_shr:4 row_mask:0xf bank_mask:0xf
	s_delay_alu instid0(VALU_DEP_1) | instskip(NEXT) | instid1(VALU_DEP_1)
	v_cndmask_b32_e64 v64, 0, v64, s3
	v_add_nc_u32_e32 v63, v63, v64
	s_delay_alu instid0(VALU_DEP_1) | instskip(NEXT) | instid1(VALU_DEP_1)
	v_mov_b32_dpp v64, v63 row_shr:8 row_mask:0xf bank_mask:0xf
	v_cndmask_b32_e64 v64, 0, v64, s4
	s_delay_alu instid0(VALU_DEP_1)
	v_add_nc_u32_e32 v63, v63, v64
	ds_store_b32 v6, v63
.LBB2771_53:
	s_or_b32 exec_lo, exec_lo, s7
	v_mov_b32_e32 v63, 0
	s_mov_b32 s2, exec_lo
	s_wait_dscnt 0x0
	s_barrier_signal -1
	s_barrier_wait -1
	v_cmpx_lt_u32_e32 31, v27
; %bb.54:
	v_lshl_add_u32 v61, v61, 2, -4
	ds_load_b32 v63, v61
; %bb.55:
	s_or_b32 exec_lo, exec_lo, s2
	v_sub_co_u32 v61, vcc_lo, v16, 1
	s_delay_alu instid0(VALU_DEP_1) | instskip(NEXT) | instid1(VALU_DEP_1)
	v_cmp_gt_i32_e64 s2, 0, v61
	v_cndmask_b32_e64 v61, v61, v16, s2
	s_wait_dscnt 0x0
	v_add_nc_u32_e32 v60, v63, v60
	v_cmp_lt_u32_e64 s2, 0xff, v27
	s_delay_alu instid0(VALU_DEP_3) | instskip(SKIP_4) | instid1(VALU_DEP_2)
	v_lshlrev_b32_e32 v61, 2, v61
	ds_bpermute_b32 v60, v61, v60
	s_wait_dscnt 0x0
	v_cndmask_b32_e32 v60, v60, v63, vcc_lo
	v_cmp_ne_u32_e32 vcc_lo, 0, v27
	v_cndmask_b32_e32 v60, 0, v60, vcc_lo
	v_cmp_gt_u32_e32 vcc_lo, 0x100, v27
	s_delay_alu instid0(VALU_DEP_2) | instskip(NEXT) | instid1(VALU_DEP_1)
	v_add_nc_u32_e32 v10, v60, v10
	v_add_nc_u32_e32 v11, v10, v11
	s_delay_alu instid0(VALU_DEP_1) | instskip(NEXT) | instid1(VALU_DEP_1)
	v_add_nc_u32_e32 v8, v11, v8
	v_add_nc_u32_e32 v9, v8, v9
	s_delay_alu instid0(VALU_DEP_1) | instskip(NEXT) | instid1(VALU_DEP_1)
	;; [unrolled: 3-line block ×3, first 2 shown]
	v_add_nc_u32_e32 v2, v5, v2
	v_add_nc_u32_e32 v3, v2, v3
	ds_store_2addr_b32 v12, v60, v10 offset0:16 offset1:17
	ds_store_2addr_b32 v12, v11, v8 offset0:18 offset1:19
	;; [unrolled: 1-line block ×4, first 2 shown]
	ds_store_b32 v12, v3 offset:96
	s_wait_dscnt 0x0
	s_barrier_signal -1
	s_barrier_wait -1
	ds_load_b32 v60, v14 offset:64
	ds_load_b32 v61, v15 offset:64
	;; [unrolled: 1-line block ×12, first 2 shown]
	v_mov_b64_e32 v[2:3], 0
                                        ; implicit-def: $vgpr4
	s_and_saveexec_b32 s4, vcc_lo
	s_cbranch_execz .LBB2771_59
; %bb.56:
	v_mul_u32_u24_e32 v2, 0x44, v27
	v_dual_mov_b32 v3, 0x1800 :: v_dual_add_nc_u32 v4, 1, v27
	s_mov_b32 s5, exec_lo
	ds_load_b32 v2, v2 offset:64
	v_cmpx_ne_u32_e32 0x100, v4
; %bb.57:
	v_mul_u32_u24_e32 v3, 0x44, v4
	ds_load_b32 v3, v3 offset:64
; %bb.58:
	s_or_b32 exec_lo, exec_lo, s5
	s_wait_dscnt 0x0
	v_dual_mov_b32 v3, 0 :: v_dual_sub_nc_u32 v4, v3, v2
.LBB2771_59:
	s_or_b32 exec_lo, exec_lo, s4
	v_dual_mov_b32 v9, 0 :: v_dual_lshlrev_b32 v5, 3, v27
	s_wait_dscnt 0x0
	s_barrier_signal -1
	s_barrier_wait -1
	s_and_saveexec_b32 s3, vcc_lo
	s_cbranch_execz .LBB2771_69
; %bb.60:
	v_lshl_add_u32 v8, s9, 8, v27
	v_dual_mov_b32 v12, 0 :: v_dual_bitop2_b32 v13, 2.0, v4 bitop3:0x54
	s_mov_b32 s4, 0
	s_mov_b32 s5, s9
	s_delay_alu instid0(VALU_DEP_2)
	v_lshl_add_u64 v[10:11], v[8:9], 2, s[10:11]
	global_store_b32 v8, v13, s[10:11] scale_offset scope:SCOPE_DEV
                                        ; implicit-def: $sgpr7
	s_branch .LBB2771_63
.LBB2771_61:                            ;   in Loop: Header=BB2771_63 Depth=1
	s_or_b32 exec_lo, exec_lo, s8
.LBB2771_62:                            ;   in Loop: Header=BB2771_63 Depth=1
	s_delay_alu instid0(SALU_CYCLE_1) | instskip(SKIP_2) | instid1(VALU_DEP_2)
	s_or_b32 exec_lo, exec_lo, s7
	v_and_b32_e32 v8, 0x3fffffff, v13
	v_cmp_gt_i32_e64 s7, -2.0, v13
	v_add_nc_u32_e32 v12, v8, v12
	s_and_b32 s8, exec_lo, s7
	s_delay_alu instid0(SALU_CYCLE_1) | instskip(NEXT) | instid1(SALU_CYCLE_1)
	s_or_b32 s4, s8, s4
	s_and_not1_b32 exec_lo, exec_lo, s4
	s_cbranch_execz .LBB2771_68
.LBB2771_63:                            ; =>This Loop Header: Depth=1
                                        ;     Child Loop BB2771_66 Depth 2
	s_or_b32 s7, s7, exec_lo
	s_cmp_eq_u32 s5, 0
	s_cbranch_scc1 .LBB2771_67
; %bb.64:                               ;   in Loop: Header=BB2771_63 Depth=1
	s_add_co_i32 s5, s5, -1
	s_mov_b32 s7, exec_lo
	s_wait_xcnt 0x0
	v_lshl_or_b32 v8, s5, 8, v27
	global_load_b32 v13, v8, s[10:11] scale_offset scope:SCOPE_DEV
	s_wait_loadcnt 0x0
	v_cmpx_gt_u32_e32 2.0, v13
	s_cbranch_execz .LBB2771_62
; %bb.65:                               ;   in Loop: Header=BB2771_63 Depth=1
	v_lshl_add_u64 v[14:15], v[8:9], 2, s[10:11]
	s_mov_b32 s8, 0
.LBB2771_66:                            ;   Parent Loop BB2771_63 Depth=1
                                        ; =>  This Inner Loop Header: Depth=2
	global_load_b32 v13, v[14:15], off scope:SCOPE_DEV
	s_wait_loadcnt 0x0
	v_cmp_lt_u32_e32 vcc_lo, 0x3fffffff, v13
	s_or_b32 s8, vcc_lo, s8
	s_wait_xcnt 0x0
	s_and_not1_b32 exec_lo, exec_lo, s8
	s_cbranch_execnz .LBB2771_66
	s_branch .LBB2771_61
.LBB2771_67:                            ;   in Loop: Header=BB2771_63 Depth=1
                                        ; implicit-def: $sgpr5
	s_and_b32 s8, exec_lo, s7
	s_delay_alu instid0(SALU_CYCLE_1)
	s_or_b32 s4, s8, s4
	s_wait_xcnt 0x0
	s_and_not1_b32 exec_lo, exec_lo, s4
	s_cbranch_execnz .LBB2771_63
.LBB2771_68:
	s_or_b32 exec_lo, exec_lo, s4
	v_dual_mov_b32 v13, 0 :: v_dual_add_nc_u32 v8, v12, v4
	s_delay_alu instid0(VALU_DEP_1) | instskip(SKIP_4) | instid1(VALU_DEP_1)
	v_or_b32_e32 v8, 0x80000000, v8
	global_store_b32 v[10:11], v8, off scope:SCOPE_DEV
	global_load_b64 v[8:9], v27, s[12:13] scale_offset
	v_sub_nc_u64_e32 v[10:11], v[12:13], v[2:3]
	s_wait_loadcnt 0x0
	v_add_nc_u64_e32 v[8:9], v[10:11], v[8:9]
	ds_store_b64 v5, v[8:9]
.LBB2771_69:
	s_wait_xcnt 0x0
	s_or_b32 exec_lo, exec_lo, s3
	v_dual_add_nc_u32 v8, v63, v7 :: v_dual_sub_nc_u32 v63, 0, v6
	v_mov_b32_e32 v7, 0
	v_add3_u32 v32, v33, v61, v32
	v_add3_u32 v9, v58, v62, v57
	v_add3_u32 v10, v55, v59, v54
	v_add_nc_u32_e32 v33, v5, v63
	v_add_nc_u64_e32 v[6:7], s[18:19], v[6:7]
	v_add3_u32 v11, v52, v56, v51
	v_add3_u32 v12, v49, v53, v48
	;; [unrolled: 1-line block ×6, first 2 shown]
	v_add_nc_u64_e32 v[6:7], 0x3800, v[6:7]
	v_add3_u32 v34, v35, v38, v34
	v_add3_u32 v30, v31, v60, v30
	v_add_nc_u32_e32 v31, 0xe00, v27
	s_mov_b32 s3, 0
	s_mov_b32 s4, -1
	s_branch .LBB2771_71
.LBB2771_70:                            ;   in Loop: Header=BB2771_71 Depth=1
	s_wait_xcnt 0x0
	s_or_b32 exec_lo, exec_lo, s5
	v_add_nc_u64_e32 v[6:7], 0x4000, v[6:7]
	v_add_nc_u32_e32 v31, 0x1000, v31
	s_xor_b32 s4, s4, -1
	s_addk_co_i32 s3, 0xf000
	s_and_b32 vcc_lo, exec_lo, s4
	s_mov_b32 s4, 0
	s_wait_storecnt 0x0
	s_barrier_signal -1
	s_barrier_wait -1
	s_cbranch_vccnz .LBB2771_87
.LBB2771_71:                            ; =>This Inner Loop Header: Depth=1
	v_add_min_u32_e64 v35, v8, s3, 0x1000
	v_add_min_u32_e64 v37, v30, s3, 0x1000
	;; [unrolled: 1-line block ×5, first 2 shown]
	s_delay_alu instid0(VALU_DEP_4) | instskip(NEXT) | instid1(VALU_DEP_4)
	v_dual_lshlrev_b32 v35, 2, v35 :: v_dual_lshlrev_b32 v37, 2, v37
	v_lshlrev_b32_e32 v38, 2, v38
	v_add_min_u32_e64 v41, v15, s3, 0x1000
	s_mov_b32 s5, exec_lo
	ds_store_b32 v35, v18 offset:2048
	ds_store_b32 v37, v1 offset:2048
	v_add_min_u32_e64 v35, v14, s3, 0x1000
	v_lshlrev_b32_e32 v37, 2, v39
	ds_store_b32 v38, v20 offset:2048
	v_dual_lshlrev_b32 v38, 2, v40 :: v_dual_lshlrev_b32 v39, 2, v41
	v_add_min_u32_e64 v40, v13, s3, 0x1000
	v_lshlrev_b32_e32 v35, 2, v35
	ds_store_b32 v37, v19 offset:2048
	ds_store_b32 v38, v22 offset:2048
	ds_store_b32 v39, v21 offset:2048
	ds_store_b32 v35, v24 offset:2048
	v_add_min_u32_e64 v37, v12, s3, 0x1000
	v_add_min_u32_e64 v38, v11, s3, 0x1000
	v_add_min_u32_e64 v39, v10, s3, 0x1000
	v_lshlrev_b32_e32 v35, 2, v40
	v_add_min_u32_e64 v40, v9, s3, 0x1000
	ds_store_b32 v35, v23 offset:2048
	v_dual_lshlrev_b32 v35, 2, v37 :: v_dual_lshlrev_b32 v37, 2, v38
	v_dual_lshlrev_b32 v38, 2, v39 :: v_dual_lshlrev_b32 v39, 2, v40
	v_add_nc_u32_e32 v40, 0xfffff200, v31
	ds_store_b32 v35, v26 offset:2048
	ds_store_b32 v37, v25 offset:2048
	;; [unrolled: 1-line block ×4, first 2 shown]
	s_wait_storecnt_dscnt 0x0
	s_barrier_signal -1
	s_barrier_wait -1
	v_cmpx_gt_u32_e64 s22, v40
	s_cbranch_execz .LBB2771_73
; %bb.72:                               ;   in Loop: Header=BB2771_71 Depth=1
	ds_load_b32 v35, v33 offset:2048
	s_wait_dscnt 0x0
	v_lshrrev_b32_e32 v37, s20, v35
	s_delay_alu instid0(VALU_DEP_1) | instskip(NEXT) | instid1(VALU_DEP_1)
	v_and_b32_e32 v37, s6, v37
	v_lshlrev_b32_e32 v37, 3, v37
	ds_load_b64 v[38:39], v37
	s_wait_dscnt 0x0
	v_lshl_add_u64 v[38:39], v[38:39], 2, v[6:7]
	global_store_b32 v[38:39], v35, off offset:-14336
.LBB2771_73:                            ;   in Loop: Header=BB2771_71 Depth=1
	s_wait_xcnt 0x0
	s_or_b32 exec_lo, exec_lo, s5
	v_add_nc_u32_e32 v35, 0xfffff400, v31
	s_mov_b32 s5, exec_lo
	s_delay_alu instid0(VALU_DEP_1)
	v_cmpx_gt_u32_e64 s22, v35
	s_cbranch_execz .LBB2771_75
; %bb.74:                               ;   in Loop: Header=BB2771_71 Depth=1
	ds_load_b32 v35, v33 offset:4096
	s_wait_dscnt 0x0
	v_lshrrev_b32_e32 v37, s20, v35
	s_delay_alu instid0(VALU_DEP_1) | instskip(NEXT) | instid1(VALU_DEP_1)
	v_and_b32_e32 v37, s6, v37
	v_lshlrev_b32_e32 v37, 3, v37
	ds_load_b64 v[38:39], v37
	s_wait_dscnt 0x0
	v_lshl_add_u64 v[38:39], v[38:39], 2, v[6:7]
	global_store_b32 v[38:39], v35, off offset:-12288
.LBB2771_75:                            ;   in Loop: Header=BB2771_71 Depth=1
	s_wait_xcnt 0x0
	s_or_b32 exec_lo, exec_lo, s5
	v_add_nc_u32_e32 v35, 0xfffff600, v31
	s_mov_b32 s5, exec_lo
	s_delay_alu instid0(VALU_DEP_1)
	v_cmpx_gt_u32_e64 s22, v35
	s_cbranch_execz .LBB2771_77
; %bb.76:                               ;   in Loop: Header=BB2771_71 Depth=1
	ds_load_b32 v35, v33 offset:6144
	s_wait_dscnt 0x0
	v_lshrrev_b32_e32 v37, s20, v35
	s_delay_alu instid0(VALU_DEP_1) | instskip(NEXT) | instid1(VALU_DEP_1)
	v_and_b32_e32 v37, s6, v37
	v_lshlrev_b32_e32 v37, 3, v37
	ds_load_b64 v[38:39], v37
	s_wait_dscnt 0x0
	v_lshl_add_u64 v[38:39], v[38:39], 2, v[6:7]
	global_store_b32 v[38:39], v35, off offset:-10240
.LBB2771_77:                            ;   in Loop: Header=BB2771_71 Depth=1
	s_wait_xcnt 0x0
	s_or_b32 exec_lo, exec_lo, s5
	v_add_nc_u32_e32 v35, 0xfffff800, v31
	s_mov_b32 s5, exec_lo
	s_delay_alu instid0(VALU_DEP_1)
	v_cmpx_gt_u32_e64 s22, v35
	s_cbranch_execz .LBB2771_79
; %bb.78:                               ;   in Loop: Header=BB2771_71 Depth=1
	ds_load_b32 v35, v33 offset:8192
	s_wait_dscnt 0x0
	v_lshrrev_b32_e32 v37, s20, v35
	s_delay_alu instid0(VALU_DEP_1) | instskip(NEXT) | instid1(VALU_DEP_1)
	v_and_b32_e32 v37, s6, v37
	v_lshlrev_b32_e32 v37, 3, v37
	ds_load_b64 v[38:39], v37
	s_wait_dscnt 0x0
	v_lshl_add_u64 v[38:39], v[38:39], 2, v[6:7]
	global_store_b32 v[38:39], v35, off offset:-8192
.LBB2771_79:                            ;   in Loop: Header=BB2771_71 Depth=1
	s_wait_xcnt 0x0
	s_or_b32 exec_lo, exec_lo, s5
	v_add_nc_u32_e32 v35, 0xfffffa00, v31
	s_mov_b32 s5, exec_lo
	s_delay_alu instid0(VALU_DEP_1)
	v_cmpx_gt_u32_e64 s22, v35
	s_cbranch_execz .LBB2771_81
; %bb.80:                               ;   in Loop: Header=BB2771_71 Depth=1
	ds_load_b32 v35, v33 offset:10240
	s_wait_dscnt 0x0
	v_lshrrev_b32_e32 v37, s20, v35
	s_delay_alu instid0(VALU_DEP_1) | instskip(NEXT) | instid1(VALU_DEP_1)
	v_and_b32_e32 v37, s6, v37
	v_lshlrev_b32_e32 v37, 3, v37
	ds_load_b64 v[38:39], v37
	s_wait_dscnt 0x0
	v_lshl_add_u64 v[38:39], v[38:39], 2, v[6:7]
	global_store_b32 v[38:39], v35, off offset:-6144
.LBB2771_81:                            ;   in Loop: Header=BB2771_71 Depth=1
	s_wait_xcnt 0x0
	s_or_b32 exec_lo, exec_lo, s5
	v_add_nc_u32_e32 v35, 0xfffffc00, v31
	s_mov_b32 s5, exec_lo
	s_delay_alu instid0(VALU_DEP_1)
	v_cmpx_gt_u32_e64 s22, v35
	s_cbranch_execz .LBB2771_83
; %bb.82:                               ;   in Loop: Header=BB2771_71 Depth=1
	ds_load_b32 v35, v33 offset:12288
	s_wait_dscnt 0x0
	v_lshrrev_b32_e32 v37, s20, v35
	s_delay_alu instid0(VALU_DEP_1) | instskip(NEXT) | instid1(VALU_DEP_1)
	v_and_b32_e32 v37, s6, v37
	v_lshlrev_b32_e32 v37, 3, v37
	ds_load_b64 v[38:39], v37
	s_wait_dscnt 0x0
	v_lshl_add_u64 v[38:39], v[38:39], 2, v[6:7]
	global_store_b32 v[38:39], v35, off offset:-4096
.LBB2771_83:                            ;   in Loop: Header=BB2771_71 Depth=1
	s_wait_xcnt 0x0
	s_or_b32 exec_lo, exec_lo, s5
	v_add_nc_u32_e32 v35, 0xfffffe00, v31
	s_mov_b32 s5, exec_lo
	s_delay_alu instid0(VALU_DEP_1)
	v_cmpx_gt_u32_e64 s22, v35
	s_cbranch_execz .LBB2771_85
; %bb.84:                               ;   in Loop: Header=BB2771_71 Depth=1
	ds_load_b32 v35, v33 offset:14336
	s_wait_dscnt 0x0
	v_lshrrev_b32_e32 v37, s20, v35
	s_delay_alu instid0(VALU_DEP_1) | instskip(NEXT) | instid1(VALU_DEP_1)
	v_and_b32_e32 v37, s6, v37
	v_lshlrev_b32_e32 v37, 3, v37
	ds_load_b64 v[38:39], v37
	s_wait_dscnt 0x0
	v_lshl_add_u64 v[38:39], v[38:39], 2, v[6:7]
	global_store_b32 v[38:39], v35, off offset:-2048
.LBB2771_85:                            ;   in Loop: Header=BB2771_71 Depth=1
	s_wait_xcnt 0x0
	s_or_b32 exec_lo, exec_lo, s5
	s_delay_alu instid0(SALU_CYCLE_1)
	s_mov_b32 s5, exec_lo
	v_cmpx_gt_u32_e64 s22, v31
	s_cbranch_execz .LBB2771_70
; %bb.86:                               ;   in Loop: Header=BB2771_71 Depth=1
	ds_load_b32 v35, v33 offset:16384
	s_wait_dscnt 0x0
	v_lshrrev_b32_e32 v37, s20, v35
	s_delay_alu instid0(VALU_DEP_1) | instskip(NEXT) | instid1(VALU_DEP_1)
	v_and_b32_e32 v37, s6, v37
	v_lshlrev_b32_e32 v37, 3, v37
	ds_load_b64 v[38:39], v37
	s_wait_dscnt 0x0
	v_lshl_add_u64 v[38:39], v[38:39], 2, v[6:7]
	global_store_b32 v[38:39], v35, off
	s_branch .LBB2771_70
.LBB2771_87:
	s_add_co_i32 s23, s23, -1
	s_delay_alu instid0(SALU_CYCLE_1) | instskip(SKIP_2) | instid1(SALU_CYCLE_1)
	s_cmp_eq_u32 s9, s23
	s_cselect_b32 s3, -1, 0
	s_xor_b32 s2, s2, -1
	s_and_b32 s3, s2, s3
	s_delay_alu instid0(SALU_CYCLE_1)
	s_and_saveexec_b32 s2, s3
	s_cbranch_execz .LBB2771_89
; %bb.88:
	ds_load_b64 v[6:7], v5
	v_mov_b32_e32 v5, 0
	s_delay_alu instid0(VALU_DEP_1) | instskip(SKIP_1) | instid1(VALU_DEP_1)
	v_add_nc_u64_e32 v[2:3], v[2:3], v[4:5]
	s_wait_dscnt 0x0
	v_add_nc_u64_e32 v[2:3], v[2:3], v[6:7]
	global_store_b64 v27, v[2:3], s[14:15] scale_offset
.LBB2771_89:
	s_wait_xcnt 0x0
	s_or_b32 exec_lo, exec_lo, s2
	s_mov_b32 s2, 0
.LBB2771_90:
	s_delay_alu instid0(SALU_CYCLE_1)
	s_and_b32 vcc_lo, exec_lo, s2
	s_cbranch_vccz .LBB2771_149
; %bb.91:
	s_mov_b32 s25, 0
	v_dual_mov_b32 v3, 0 :: v_dual_lshlrev_b32 v2, 2, v16
	s_lshl_b64 s[2:3], s[24:25], 2
	v_mul_u32_u24_e32 v1, 12, v17
	s_add_nc_u64 s[2:3], s[16:17], s[2:3]
	v_and_b32_e32 v28, 0x3ff, v0
	v_add_nc_u64_e32 v[4:5], s[2:3], v[2:3]
	s_delay_alu instid0(VALU_DEP_3) | instskip(SKIP_1) | instid1(VALU_DEP_2)
	v_lshlrev_b32_e32 v2, 2, v1
	v_bfe_u32 v1, v0, 10, 10
	v_add_nc_u64_e32 v[4:5], v[4:5], v[2:3]
	v_bfe_u32 v2, v0, 20, 10
	s_clause 0xb
	global_load_b32 v14, v[4:5], off
	global_load_b32 v15, v[4:5], off offset:128
	global_load_b32 v18, v[4:5], off offset:256
	;; [unrolled: 1-line block ×11, first 2 shown]
	s_clause 0x1
	s_load_b32 s7, s[0:1], 0x58
	s_load_u16 s2, s[0:1], 0x66
	s_wait_kmcnt 0x0
	s_cmp_lt_u32 s9, s7
	v_mad_u32_u24 v0, v2, s2, v1
	s_cselect_b32 s24, 12, 18
	s_lshl_b32 s8, -1, s21
	s_add_nc_u64 s[0:1], s[26:27], s[24:25]
	s_load_u16 s16, s[0:1], 0x0
	s_wait_kmcnt 0x0
	v_mad_u32 v0, v0, s16, v28
	s_delay_alu instid0(VALU_DEP_1) | instskip(NEXT) | instid1(VALU_DEP_1)
	v_lshrrev_b32_e32 v0, 3, v0
	v_and_b32_e32 v0, 0x1ffffffc, v0
	s_wait_loadcnt 0xb
	v_lshrrev_b32_e32 v4, s20, v14
	s_delay_alu instid0(VALU_DEP_1) | instskip(SKIP_1) | instid1(VALU_DEP_2)
	v_bitop3_b32 v1, v4, 1, s8 bitop3:0x40
	v_bitop3_b32 v2, v4, s8, v4 bitop3:0x30
	v_add_co_u32 v1, s0, v1, -1
	s_delay_alu instid0(VALU_DEP_1) | instskip(NEXT) | instid1(VALU_DEP_3)
	v_cndmask_b32_e64 v4, 0, 1, s0
	v_dual_lshlrev_b32 v5, 30, v2 :: v_dual_lshlrev_b32 v6, 29, v2
	v_dual_lshlrev_b32 v7, 28, v2 :: v_dual_lshlrev_b32 v8, 27, v2
	s_delay_alu instid0(VALU_DEP_3) | instskip(NEXT) | instid1(VALU_DEP_3)
	v_cmp_ne_u32_e32 vcc_lo, 0, v4
	v_not_b32_e32 v4, v5
	v_dual_lshlrev_b32 v9, 26, v2 :: v_dual_lshlrev_b32 v10, 25, v2
	v_lshlrev_b32_e32 v11, 24, v2
	v_cmp_gt_i32_e64 s0, 0, v5
	v_cmp_gt_i32_e64 s1, 0, v6
	v_not_b32_e32 v5, v6
	v_cmp_gt_i32_e64 s2, 0, v7
	v_not_b32_e32 v6, v7
	v_not_b32_e32 v7, v8
	v_ashrrev_i32_e32 v4, 31, v4
	v_cmp_gt_i32_e64 s3, 0, v8
	v_not_b32_e32 v8, v9
	v_dual_ashrrev_i32 v6, 31, v6 :: v_dual_bitop2_b32 v1, vcc_lo, v1 bitop3:0x14
	s_delay_alu instid0(VALU_DEP_4) | instskip(NEXT) | instid1(VALU_DEP_3)
	v_dual_ashrrev_i32 v5, 31, v5 :: v_dual_bitop2_b32 v4, s0, v4 bitop3:0x14
	v_dual_ashrrev_i32 v7, 31, v7 :: v_dual_ashrrev_i32 v8, 31, v8
	v_mul_lo_u32 v2, 0x44, v2
	v_cmp_gt_i32_e64 s4, 0, v9
	v_cmp_gt_i32_e64 s5, 0, v10
	v_not_b32_e32 v9, v10
	v_not_b32_e32 v10, v11
	v_xor_b32_e32 v5, s1, v5
	v_xor_b32_e32 v6, s2, v6
	v_bitop3_b32 v1, v1, v4, exec_lo bitop3:0x80
	v_xor_b32_e32 v7, s3, v7
	v_cmp_gt_i32_e64 s6, 0, v11
	v_dual_ashrrev_i32 v4, 31, v9 :: v_dual_ashrrev_i32 v9, 31, v10
	v_dual_add_nc_u32 v11, v0, v2 :: v_dual_bitop2_b32 v8, s4, v8 bitop3:0x14
	v_bitop3_b32 v1, v1, v6, v5 bitop3:0x80
	s_delay_alu instid0(VALU_DEP_3) | instskip(NEXT) | instid1(VALU_DEP_4)
	v_xor_b32_e32 v4, s5, v4
	v_xor_b32_e32 v5, s6, v9
	v_mul_u32_u24_e32 v10, 36, v28
	s_not_b32 s4, s8
	v_bitop3_b32 v1, v1, v8, v7 bitop3:0x80
	ds_store_2addr_b32 v10, v3, v3 offset0:16 offset1:17
	ds_store_2addr_b32 v10, v3, v3 offset0:18 offset1:19
	ds_store_2addr_b32 v10, v3, v3 offset0:20 offset1:21
	ds_store_2addr_b32 v10, v3, v3 offset0:22 offset1:23
	ds_store_b32 v10, v3 offset:96
	v_bitop3_b32 v1, v1, v5, v4 bitop3:0x80
	s_wait_storecnt 0x0
	s_wait_loadcnt_dscnt 0x0
	s_barrier_signal -1
	s_barrier_wait -1
	v_mbcnt_lo_u32_b32 v5, v1, 0
	v_cmp_ne_u32_e64 s0, 0, v1
	; wave barrier
	s_delay_alu instid0(VALU_DEP_2) | instskip(SKIP_1) | instid1(SALU_CYCLE_1)
	v_cmp_eq_u32_e32 vcc_lo, 0, v5
	s_and_b32 s1, s0, vcc_lo
	s_and_saveexec_b32 s0, s1
; %bb.92:
	v_bcnt_u32_b32 v1, v1, 0
	ds_store_b32 v11, v1 offset:64
; %bb.93:
	s_or_b32 exec_lo, exec_lo, s0
	v_lshrrev_b32_e32 v1, s20, v15
	; wave barrier
	s_delay_alu instid0(VALU_DEP_1) | instskip(NEXT) | instid1(VALU_DEP_1)
	v_and_b32_e32 v2, s4, v1
	v_lshlrev_b32_e32 v6, 30, v2
	v_bitop3_b32 v1, v1, 1, s4 bitop3:0x80
	s_delay_alu instid0(VALU_DEP_1) | instskip(NEXT) | instid1(VALU_DEP_1)
	v_add_co_u32 v1, s0, v1, -1
	v_cndmask_b32_e64 v4, 0, 1, s0
	s_delay_alu instid0(VALU_DEP_4) | instskip(NEXT) | instid1(VALU_DEP_2)
	v_cmp_gt_i32_e64 s0, 0, v6
	v_cmp_ne_u32_e32 vcc_lo, 0, v4
	v_not_b32_e32 v4, v6
	s_delay_alu instid0(VALU_DEP_1) | instskip(SKIP_3) | instid1(VALU_DEP_4)
	v_dual_ashrrev_i32 v4, 31, v4 :: v_dual_lshlrev_b32 v7, 29, v2
	v_dual_lshlrev_b32 v8, 28, v2 :: v_dual_lshlrev_b32 v9, 27, v2
	v_lshlrev_b32_e32 v12, 26, v2
	v_mul_lo_u32 v3, 0x44, v2
	v_cmp_gt_i32_e64 s1, 0, v7
	v_not_b32_e32 v6, v7
	v_not_b32_e32 v7, v8
	v_cmp_gt_i32_e64 s2, 0, v8
	v_xor_b32_e32 v1, vcc_lo, v1
	s_delay_alu instid0(VALU_DEP_4) | instskip(NEXT) | instid1(VALU_DEP_4)
	v_dual_ashrrev_i32 v6, 31, v6 :: v_dual_bitop2_b32 v4, s0, v4 bitop3:0x14
	v_dual_ashrrev_i32 v7, 31, v7 :: v_dual_lshlrev_b32 v13, 25, v2
	v_lshlrev_b32_e32 v2, 24, v2
	v_not_b32_e32 v8, v9
	v_not_b32_e32 v29, v12
	v_xor_b32_e32 v6, s1, v6
	v_xor_b32_e32 v7, s2, v7
	v_bitop3_b32 v1, v1, v4, exec_lo bitop3:0x80
	v_cmp_gt_i32_e32 vcc_lo, 0, v9
	v_ashrrev_i32_e32 v4, 31, v8
	v_cmp_gt_i32_e64 s0, 0, v12
	v_ashrrev_i32_e32 v8, 31, v29
	v_bitop3_b32 v1, v1, v7, v6 bitop3:0x80
	v_not_b32_e32 v6, v13
	v_not_b32_e32 v7, v2
	v_xor_b32_e32 v4, vcc_lo, v4
	v_xor_b32_e32 v8, s0, v8
	v_cmp_gt_i32_e32 vcc_lo, 0, v13
	v_ashrrev_i32_e32 v6, 31, v6
	v_cmp_gt_i32_e64 s0, 0, v2
	v_ashrrev_i32_e32 v2, 31, v7
	v_add_nc_u32_e32 v12, v0, v3
	v_bitop3_b32 v1, v1, v8, v4 bitop3:0x80
	v_xor_b32_e32 v3, vcc_lo, v6
	s_delay_alu instid0(VALU_DEP_4) | instskip(SKIP_2) | instid1(VALU_DEP_1)
	v_xor_b32_e32 v2, s0, v2
	ds_load_b32 v29, v12 offset:64
	; wave barrier
	v_bitop3_b32 v1, v1, v2, v3 bitop3:0x80
	v_mbcnt_lo_u32_b32 v30, v1, 0
	v_cmp_ne_u32_e64 s0, 0, v1
	s_delay_alu instid0(VALU_DEP_2) | instskip(SKIP_1) | instid1(SALU_CYCLE_1)
	v_cmp_eq_u32_e32 vcc_lo, 0, v30
	s_and_b32 s1, s0, vcc_lo
	s_and_saveexec_b32 s0, s1
	s_cbranch_execz .LBB2771_95
; %bb.94:
	s_wait_dscnt 0x0
	v_bcnt_u32_b32 v1, v1, v29
	ds_store_b32 v12, v1 offset:64
.LBB2771_95:
	s_or_b32 exec_lo, exec_lo, s0
	v_lshrrev_b32_e32 v1, s20, v18
	; wave barrier
	s_delay_alu instid0(VALU_DEP_1) | instskip(SKIP_1) | instid1(VALU_DEP_2)
	v_and_b32_e32 v2, s4, v1
	v_bitop3_b32 v1, v1, 1, s4 bitop3:0x80
	v_dual_lshlrev_b32 v6, 30, v2 :: v_dual_lshlrev_b32 v7, 29, v2
	s_delay_alu instid0(VALU_DEP_2) | instskip(NEXT) | instid1(VALU_DEP_1)
	v_add_co_u32 v1, s0, v1, -1
	v_cndmask_b32_e64 v4, 0, 1, s0
	s_delay_alu instid0(VALU_DEP_3) | instskip(NEXT) | instid1(VALU_DEP_4)
	v_cmp_gt_i32_e64 s0, 0, v6
	v_cmp_gt_i32_e64 s1, 0, v7
	s_delay_alu instid0(VALU_DEP_3) | instskip(SKIP_2) | instid1(VALU_DEP_2)
	v_cmp_ne_u32_e32 vcc_lo, 0, v4
	v_not_b32_e32 v4, v6
	v_not_b32_e32 v6, v7
	v_dual_ashrrev_i32 v4, 31, v4 :: v_dual_bitop2_b32 v1, vcc_lo, v1 bitop3:0x14
	s_delay_alu instid0(VALU_DEP_2) | instskip(SKIP_3) | instid1(VALU_DEP_3)
	v_ashrrev_i32_e32 v6, 31, v6
	v_dual_lshlrev_b32 v8, 28, v2 :: v_dual_lshlrev_b32 v9, 27, v2
	v_mul_lo_u32 v3, 0x44, v2
	v_dual_lshlrev_b32 v13, 26, v2 :: v_dual_lshlrev_b32 v31, 25, v2
	v_not_b32_e32 v7, v8
	v_lshlrev_b32_e32 v2, 24, v2
	v_cmp_gt_i32_e64 s2, 0, v8
	v_xor_b32_e32 v4, s0, v4
	v_not_b32_e32 v8, v9
	v_ashrrev_i32_e32 v7, 31, v7
	v_not_b32_e32 v32, v13
	v_xor_b32_e32 v6, s1, v6
	v_bitop3_b32 v1, v1, v4, exec_lo bitop3:0x80
	v_cmp_gt_i32_e32 vcc_lo, 0, v9
	v_dual_ashrrev_i32 v4, 31, v8 :: v_dual_bitop2_b32 v7, s2, v7 bitop3:0x14
	v_cmp_gt_i32_e64 s0, 0, v13
	v_ashrrev_i32_e32 v8, 31, v32
	s_delay_alu instid0(VALU_DEP_3)
	v_bitop3_b32 v1, v1, v7, v6 bitop3:0x80
	v_not_b32_e32 v6, v31
	v_not_b32_e32 v7, v2
	v_xor_b32_e32 v4, vcc_lo, v4
	v_xor_b32_e32 v8, s0, v8
	v_cmp_gt_i32_e32 vcc_lo, 0, v31
	v_ashrrev_i32_e32 v6, 31, v6
	v_cmp_gt_i32_e64 s0, 0, v2
	v_ashrrev_i32_e32 v2, 31, v7
	v_add_nc_u32_e32 v13, v0, v3
	v_bitop3_b32 v1, v1, v8, v4 bitop3:0x80
	v_xor_b32_e32 v3, vcc_lo, v6
	s_delay_alu instid0(VALU_DEP_4) | instskip(SKIP_2) | instid1(VALU_DEP_1)
	v_xor_b32_e32 v2, s0, v2
	ds_load_b32 v31, v13 offset:64
	; wave barrier
	v_bitop3_b32 v1, v1, v2, v3 bitop3:0x80
	v_mbcnt_lo_u32_b32 v32, v1, 0
	v_cmp_ne_u32_e64 s0, 0, v1
	s_delay_alu instid0(VALU_DEP_2) | instskip(SKIP_1) | instid1(SALU_CYCLE_1)
	v_cmp_eq_u32_e32 vcc_lo, 0, v32
	s_and_b32 s1, s0, vcc_lo
	s_and_saveexec_b32 s0, s1
	s_cbranch_execz .LBB2771_97
; %bb.96:
	s_wait_dscnt 0x0
	v_bcnt_u32_b32 v1, v1, v31
	ds_store_b32 v13, v1 offset:64
.LBB2771_97:
	s_or_b32 exec_lo, exec_lo, s0
	v_lshrrev_b32_e32 v1, s20, v19
	; wave barrier
	s_delay_alu instid0(VALU_DEP_1) | instskip(NEXT) | instid1(VALU_DEP_1)
	v_and_b32_e32 v2, s4, v1
	v_lshlrev_b32_e32 v6, 30, v2
	v_bitop3_b32 v1, v1, 1, s4 bitop3:0x80
	s_delay_alu instid0(VALU_DEP_1) | instskip(NEXT) | instid1(VALU_DEP_1)
	v_add_co_u32 v1, s0, v1, -1
	v_cndmask_b32_e64 v4, 0, 1, s0
	s_delay_alu instid0(VALU_DEP_4) | instskip(NEXT) | instid1(VALU_DEP_2)
	v_cmp_gt_i32_e64 s0, 0, v6
	v_cmp_ne_u32_e32 vcc_lo, 0, v4
	v_not_b32_e32 v4, v6
	s_delay_alu instid0(VALU_DEP_1) | instskip(SKIP_3) | instid1(VALU_DEP_4)
	v_dual_ashrrev_i32 v4, 31, v4 :: v_dual_lshlrev_b32 v7, 29, v2
	v_dual_lshlrev_b32 v8, 28, v2 :: v_dual_lshlrev_b32 v9, 27, v2
	v_lshlrev_b32_e32 v33, 26, v2
	v_mul_lo_u32 v3, 0x44, v2
	v_cmp_gt_i32_e64 s1, 0, v7
	v_not_b32_e32 v6, v7
	v_not_b32_e32 v7, v8
	v_cmp_gt_i32_e64 s2, 0, v8
	v_xor_b32_e32 v1, vcc_lo, v1
	s_delay_alu instid0(VALU_DEP_4) | instskip(NEXT) | instid1(VALU_DEP_4)
	v_dual_ashrrev_i32 v6, 31, v6 :: v_dual_bitop2_b32 v4, s0, v4 bitop3:0x14
	v_dual_ashrrev_i32 v7, 31, v7 :: v_dual_lshlrev_b32 v34, 25, v2
	v_lshlrev_b32_e32 v2, 24, v2
	v_not_b32_e32 v8, v9
	v_not_b32_e32 v35, v33
	v_xor_b32_e32 v6, s1, v6
	v_xor_b32_e32 v7, s2, v7
	v_bitop3_b32 v1, v1, v4, exec_lo bitop3:0x80
	v_cmp_gt_i32_e32 vcc_lo, 0, v9
	v_ashrrev_i32_e32 v4, 31, v8
	v_cmp_gt_i32_e64 s0, 0, v33
	v_ashrrev_i32_e32 v8, 31, v35
	v_bitop3_b32 v1, v1, v7, v6 bitop3:0x80
	v_not_b32_e32 v6, v34
	v_not_b32_e32 v7, v2
	v_xor_b32_e32 v4, vcc_lo, v4
	v_xor_b32_e32 v8, s0, v8
	v_cmp_gt_i32_e32 vcc_lo, 0, v34
	v_ashrrev_i32_e32 v6, 31, v6
	v_cmp_gt_i32_e64 s0, 0, v2
	v_ashrrev_i32_e32 v2, 31, v7
	v_add_nc_u32_e32 v37, v0, v3
	v_bitop3_b32 v1, v1, v8, v4 bitop3:0x80
	v_xor_b32_e32 v3, vcc_lo, v6
	s_delay_alu instid0(VALU_DEP_4) | instskip(SKIP_2) | instid1(VALU_DEP_1)
	v_xor_b32_e32 v2, s0, v2
	ds_load_b32 v33, v37 offset:64
	; wave barrier
	v_bitop3_b32 v1, v1, v2, v3 bitop3:0x80
	v_mbcnt_lo_u32_b32 v34, v1, 0
	v_cmp_ne_u32_e64 s0, 0, v1
	s_delay_alu instid0(VALU_DEP_2) | instskip(SKIP_1) | instid1(SALU_CYCLE_1)
	v_cmp_eq_u32_e32 vcc_lo, 0, v34
	s_and_b32 s1, s0, vcc_lo
	s_and_saveexec_b32 s0, s1
	s_cbranch_execz .LBB2771_99
; %bb.98:
	s_wait_dscnt 0x0
	v_bcnt_u32_b32 v1, v1, v33
	ds_store_b32 v37, v1 offset:64
.LBB2771_99:
	s_or_b32 exec_lo, exec_lo, s0
	v_lshrrev_b32_e32 v1, s20, v20
	; wave barrier
	s_delay_alu instid0(VALU_DEP_1) | instskip(NEXT) | instid1(VALU_DEP_1)
	v_and_b32_e32 v2, s4, v1
	v_lshlrev_b32_e32 v6, 30, v2
	v_bitop3_b32 v1, v1, 1, s4 bitop3:0x80
	s_delay_alu instid0(VALU_DEP_1) | instskip(NEXT) | instid1(VALU_DEP_1)
	v_add_co_u32 v1, s0, v1, -1
	v_cndmask_b32_e64 v4, 0, 1, s0
	s_delay_alu instid0(VALU_DEP_4) | instskip(NEXT) | instid1(VALU_DEP_2)
	v_cmp_gt_i32_e64 s0, 0, v6
	v_cmp_ne_u32_e32 vcc_lo, 0, v4
	v_not_b32_e32 v4, v6
	s_delay_alu instid0(VALU_DEP_1) | instskip(SKIP_3) | instid1(VALU_DEP_4)
	v_dual_ashrrev_i32 v4, 31, v4 :: v_dual_lshlrev_b32 v7, 29, v2
	v_dual_lshlrev_b32 v8, 28, v2 :: v_dual_lshlrev_b32 v9, 27, v2
	v_lshlrev_b32_e32 v35, 26, v2
	v_mul_lo_u32 v3, 0x44, v2
	v_cmp_gt_i32_e64 s1, 0, v7
	v_not_b32_e32 v6, v7
	v_not_b32_e32 v7, v8
	v_cmp_gt_i32_e64 s2, 0, v8
	v_xor_b32_e32 v1, vcc_lo, v1
	s_delay_alu instid0(VALU_DEP_4) | instskip(NEXT) | instid1(VALU_DEP_4)
	v_dual_ashrrev_i32 v6, 31, v6 :: v_dual_bitop2_b32 v4, s0, v4 bitop3:0x14
	v_dual_ashrrev_i32 v7, 31, v7 :: v_dual_lshlrev_b32 v36, 25, v2
	v_lshlrev_b32_e32 v2, 24, v2
	v_not_b32_e32 v8, v9
	v_not_b32_e32 v38, v35
	v_xor_b32_e32 v6, s1, v6
	v_xor_b32_e32 v7, s2, v7
	v_bitop3_b32 v1, v1, v4, exec_lo bitop3:0x80
	v_cmp_gt_i32_e32 vcc_lo, 0, v9
	v_ashrrev_i32_e32 v4, 31, v8
	v_cmp_gt_i32_e64 s0, 0, v35
	v_ashrrev_i32_e32 v8, 31, v38
	v_bitop3_b32 v1, v1, v7, v6 bitop3:0x80
	v_not_b32_e32 v6, v36
	v_not_b32_e32 v7, v2
	v_xor_b32_e32 v4, vcc_lo, v4
	v_xor_b32_e32 v8, s0, v8
	v_cmp_gt_i32_e32 vcc_lo, 0, v36
	v_ashrrev_i32_e32 v6, 31, v6
	v_cmp_gt_i32_e64 s0, 0, v2
	v_ashrrev_i32_e32 v2, 31, v7
	v_add_nc_u32_e32 v40, v0, v3
	v_bitop3_b32 v1, v1, v8, v4 bitop3:0x80
	v_xor_b32_e32 v3, vcc_lo, v6
	s_delay_alu instid0(VALU_DEP_4) | instskip(SKIP_2) | instid1(VALU_DEP_1)
	v_xor_b32_e32 v2, s0, v2
	ds_load_b32 v35, v40 offset:64
	; wave barrier
	v_bitop3_b32 v1, v1, v2, v3 bitop3:0x80
	v_mbcnt_lo_u32_b32 v36, v1, 0
	v_cmp_ne_u32_e64 s0, 0, v1
	s_delay_alu instid0(VALU_DEP_2) | instskip(SKIP_1) | instid1(SALU_CYCLE_1)
	v_cmp_eq_u32_e32 vcc_lo, 0, v36
	s_and_b32 s1, s0, vcc_lo
	s_and_saveexec_b32 s0, s1
	s_cbranch_execz .LBB2771_101
; %bb.100:
	s_wait_dscnt 0x0
	v_bcnt_u32_b32 v1, v1, v35
	ds_store_b32 v40, v1 offset:64
.LBB2771_101:
	s_or_b32 exec_lo, exec_lo, s0
	v_lshrrev_b32_e32 v1, s20, v21
	; wave barrier
	s_delay_alu instid0(VALU_DEP_1) | instskip(NEXT) | instid1(VALU_DEP_1)
	v_and_b32_e32 v2, s4, v1
	v_lshlrev_b32_e32 v6, 30, v2
	v_bitop3_b32 v1, v1, 1, s4 bitop3:0x80
	s_delay_alu instid0(VALU_DEP_1) | instskip(NEXT) | instid1(VALU_DEP_1)
	v_add_co_u32 v1, s0, v1, -1
	v_cndmask_b32_e64 v4, 0, 1, s0
	s_delay_alu instid0(VALU_DEP_4) | instskip(NEXT) | instid1(VALU_DEP_2)
	v_cmp_gt_i32_e64 s0, 0, v6
	v_cmp_ne_u32_e32 vcc_lo, 0, v4
	v_not_b32_e32 v4, v6
	s_delay_alu instid0(VALU_DEP_1) | instskip(SKIP_3) | instid1(VALU_DEP_4)
	v_dual_ashrrev_i32 v4, 31, v4 :: v_dual_lshlrev_b32 v7, 29, v2
	v_dual_lshlrev_b32 v8, 28, v2 :: v_dual_lshlrev_b32 v9, 27, v2
	v_lshlrev_b32_e32 v38, 26, v2
	v_mul_lo_u32 v3, 0x44, v2
	v_cmp_gt_i32_e64 s1, 0, v7
	v_not_b32_e32 v6, v7
	v_not_b32_e32 v7, v8
	v_cmp_gt_i32_e64 s2, 0, v8
	v_xor_b32_e32 v1, vcc_lo, v1
	s_delay_alu instid0(VALU_DEP_4) | instskip(NEXT) | instid1(VALU_DEP_4)
	v_dual_ashrrev_i32 v6, 31, v6 :: v_dual_bitop2_b32 v4, s0, v4 bitop3:0x14
	v_dual_ashrrev_i32 v7, 31, v7 :: v_dual_lshlrev_b32 v39, 25, v2
	v_lshlrev_b32_e32 v2, 24, v2
	v_not_b32_e32 v8, v9
	v_not_b32_e32 v41, v38
	v_xor_b32_e32 v6, s1, v6
	v_xor_b32_e32 v7, s2, v7
	v_bitop3_b32 v1, v1, v4, exec_lo bitop3:0x80
	v_cmp_gt_i32_e32 vcc_lo, 0, v9
	v_ashrrev_i32_e32 v4, 31, v8
	v_cmp_gt_i32_e64 s0, 0, v38
	v_ashrrev_i32_e32 v8, 31, v41
	v_bitop3_b32 v1, v1, v7, v6 bitop3:0x80
	v_not_b32_e32 v6, v39
	v_not_b32_e32 v7, v2
	v_xor_b32_e32 v4, vcc_lo, v4
	v_xor_b32_e32 v8, s0, v8
	v_cmp_gt_i32_e32 vcc_lo, 0, v39
	v_ashrrev_i32_e32 v6, 31, v6
	v_cmp_gt_i32_e64 s0, 0, v2
	v_ashrrev_i32_e32 v2, 31, v7
	v_add_nc_u32_e32 v43, v0, v3
	v_bitop3_b32 v1, v1, v8, v4 bitop3:0x80
	v_xor_b32_e32 v3, vcc_lo, v6
	s_delay_alu instid0(VALU_DEP_4) | instskip(SKIP_2) | instid1(VALU_DEP_1)
	v_xor_b32_e32 v2, s0, v2
	ds_load_b32 v38, v43 offset:64
	; wave barrier
	v_bitop3_b32 v1, v1, v2, v3 bitop3:0x80
	v_mbcnt_lo_u32_b32 v39, v1, 0
	v_cmp_ne_u32_e64 s0, 0, v1
	s_delay_alu instid0(VALU_DEP_2) | instskip(SKIP_1) | instid1(SALU_CYCLE_1)
	v_cmp_eq_u32_e32 vcc_lo, 0, v39
	s_and_b32 s1, s0, vcc_lo
	s_and_saveexec_b32 s0, s1
	s_cbranch_execz .LBB2771_103
; %bb.102:
	s_wait_dscnt 0x0
	v_bcnt_u32_b32 v1, v1, v38
	ds_store_b32 v43, v1 offset:64
.LBB2771_103:
	s_or_b32 exec_lo, exec_lo, s0
	v_lshrrev_b32_e32 v1, s20, v22
	; wave barrier
	s_delay_alu instid0(VALU_DEP_1) | instskip(SKIP_1) | instid1(VALU_DEP_2)
	v_and_b32_e32 v2, s4, v1
	v_bitop3_b32 v1, v1, 1, s4 bitop3:0x80
	v_dual_lshlrev_b32 v6, 30, v2 :: v_dual_lshlrev_b32 v7, 29, v2
	s_delay_alu instid0(VALU_DEP_2) | instskip(NEXT) | instid1(VALU_DEP_1)
	v_add_co_u32 v1, s0, v1, -1
	v_cndmask_b32_e64 v4, 0, 1, s0
	s_delay_alu instid0(VALU_DEP_3) | instskip(NEXT) | instid1(VALU_DEP_4)
	v_cmp_gt_i32_e64 s0, 0, v6
	v_cmp_gt_i32_e64 s1, 0, v7
	s_delay_alu instid0(VALU_DEP_3) | instskip(SKIP_2) | instid1(VALU_DEP_2)
	v_cmp_ne_u32_e32 vcc_lo, 0, v4
	v_not_b32_e32 v4, v6
	v_not_b32_e32 v6, v7
	v_dual_ashrrev_i32 v4, 31, v4 :: v_dual_bitop2_b32 v1, vcc_lo, v1 bitop3:0x14
	s_delay_alu instid0(VALU_DEP_2) | instskip(SKIP_3) | instid1(VALU_DEP_3)
	v_ashrrev_i32_e32 v6, 31, v6
	v_dual_lshlrev_b32 v8, 28, v2 :: v_dual_lshlrev_b32 v9, 27, v2
	v_mul_lo_u32 v3, 0x44, v2
	v_dual_lshlrev_b32 v41, 26, v2 :: v_dual_lshlrev_b32 v42, 25, v2
	v_not_b32_e32 v7, v8
	v_lshlrev_b32_e32 v2, 24, v2
	v_cmp_gt_i32_e64 s2, 0, v8
	v_xor_b32_e32 v4, s0, v4
	v_not_b32_e32 v8, v9
	v_ashrrev_i32_e32 v7, 31, v7
	v_not_b32_e32 v44, v41
	v_xor_b32_e32 v6, s1, v6
	v_bitop3_b32 v1, v1, v4, exec_lo bitop3:0x80
	v_cmp_gt_i32_e32 vcc_lo, 0, v9
	v_dual_ashrrev_i32 v4, 31, v8 :: v_dual_bitop2_b32 v7, s2, v7 bitop3:0x14
	v_cmp_gt_i32_e64 s0, 0, v41
	v_ashrrev_i32_e32 v8, 31, v44
	s_delay_alu instid0(VALU_DEP_3)
	v_bitop3_b32 v1, v1, v7, v6 bitop3:0x80
	v_not_b32_e32 v6, v42
	v_not_b32_e32 v7, v2
	v_xor_b32_e32 v4, vcc_lo, v4
	v_xor_b32_e32 v8, s0, v8
	v_cmp_gt_i32_e32 vcc_lo, 0, v42
	v_ashrrev_i32_e32 v6, 31, v6
	v_cmp_gt_i32_e64 s0, 0, v2
	v_ashrrev_i32_e32 v2, 31, v7
	v_add_nc_u32_e32 v46, v0, v3
	v_bitop3_b32 v1, v1, v8, v4 bitop3:0x80
	v_xor_b32_e32 v3, vcc_lo, v6
	s_delay_alu instid0(VALU_DEP_4) | instskip(SKIP_2) | instid1(VALU_DEP_1)
	v_xor_b32_e32 v2, s0, v2
	ds_load_b32 v41, v46 offset:64
	; wave barrier
	v_bitop3_b32 v1, v1, v2, v3 bitop3:0x80
	v_mbcnt_lo_u32_b32 v42, v1, 0
	v_cmp_ne_u32_e64 s0, 0, v1
	s_delay_alu instid0(VALU_DEP_2) | instskip(SKIP_1) | instid1(SALU_CYCLE_1)
	v_cmp_eq_u32_e32 vcc_lo, 0, v42
	s_and_b32 s1, s0, vcc_lo
	s_and_saveexec_b32 s0, s1
	s_cbranch_execz .LBB2771_105
; %bb.104:
	s_wait_dscnt 0x0
	v_bcnt_u32_b32 v1, v1, v41
	ds_store_b32 v46, v1 offset:64
.LBB2771_105:
	s_or_b32 exec_lo, exec_lo, s0
	v_lshrrev_b32_e32 v1, s20, v23
	; wave barrier
	s_delay_alu instid0(VALU_DEP_1) | instskip(NEXT) | instid1(VALU_DEP_1)
	v_and_b32_e32 v2, s4, v1
	v_lshlrev_b32_e32 v6, 30, v2
	v_bitop3_b32 v1, v1, 1, s4 bitop3:0x80
	s_delay_alu instid0(VALU_DEP_1) | instskip(NEXT) | instid1(VALU_DEP_1)
	v_add_co_u32 v1, s0, v1, -1
	v_cndmask_b32_e64 v4, 0, 1, s0
	s_delay_alu instid0(VALU_DEP_4) | instskip(NEXT) | instid1(VALU_DEP_2)
	v_cmp_gt_i32_e64 s0, 0, v6
	v_cmp_ne_u32_e32 vcc_lo, 0, v4
	v_not_b32_e32 v4, v6
	s_delay_alu instid0(VALU_DEP_1) | instskip(SKIP_3) | instid1(VALU_DEP_4)
	v_dual_ashrrev_i32 v4, 31, v4 :: v_dual_lshlrev_b32 v7, 29, v2
	v_dual_lshlrev_b32 v8, 28, v2 :: v_dual_lshlrev_b32 v9, 27, v2
	v_lshlrev_b32_e32 v44, 26, v2
	v_mul_lo_u32 v3, 0x44, v2
	v_cmp_gt_i32_e64 s1, 0, v7
	v_not_b32_e32 v6, v7
	v_not_b32_e32 v7, v8
	v_cmp_gt_i32_e64 s2, 0, v8
	v_xor_b32_e32 v1, vcc_lo, v1
	s_delay_alu instid0(VALU_DEP_4) | instskip(NEXT) | instid1(VALU_DEP_4)
	v_dual_ashrrev_i32 v6, 31, v6 :: v_dual_bitop2_b32 v4, s0, v4 bitop3:0x14
	v_dual_ashrrev_i32 v7, 31, v7 :: v_dual_lshlrev_b32 v45, 25, v2
	v_lshlrev_b32_e32 v2, 24, v2
	v_not_b32_e32 v8, v9
	v_not_b32_e32 v47, v44
	v_xor_b32_e32 v6, s1, v6
	v_xor_b32_e32 v7, s2, v7
	v_bitop3_b32 v1, v1, v4, exec_lo bitop3:0x80
	v_cmp_gt_i32_e32 vcc_lo, 0, v9
	v_ashrrev_i32_e32 v4, 31, v8
	v_cmp_gt_i32_e64 s0, 0, v44
	v_ashrrev_i32_e32 v8, 31, v47
	v_bitop3_b32 v1, v1, v7, v6 bitop3:0x80
	v_not_b32_e32 v6, v45
	v_not_b32_e32 v7, v2
	v_xor_b32_e32 v4, vcc_lo, v4
	v_xor_b32_e32 v8, s0, v8
	v_cmp_gt_i32_e32 vcc_lo, 0, v45
	v_ashrrev_i32_e32 v6, 31, v6
	v_cmp_gt_i32_e64 s0, 0, v2
	v_ashrrev_i32_e32 v2, 31, v7
	v_add_nc_u32_e32 v49, v0, v3
	v_bitop3_b32 v1, v1, v8, v4 bitop3:0x80
	v_xor_b32_e32 v3, vcc_lo, v6
	s_delay_alu instid0(VALU_DEP_4) | instskip(SKIP_2) | instid1(VALU_DEP_1)
	v_xor_b32_e32 v2, s0, v2
	ds_load_b32 v44, v49 offset:64
	; wave barrier
	v_bitop3_b32 v1, v1, v2, v3 bitop3:0x80
	v_mbcnt_lo_u32_b32 v45, v1, 0
	v_cmp_ne_u32_e64 s0, 0, v1
	s_delay_alu instid0(VALU_DEP_2) | instskip(SKIP_1) | instid1(SALU_CYCLE_1)
	v_cmp_eq_u32_e32 vcc_lo, 0, v45
	s_and_b32 s1, s0, vcc_lo
	s_and_saveexec_b32 s0, s1
	s_cbranch_execz .LBB2771_107
; %bb.106:
	s_wait_dscnt 0x0
	v_bcnt_u32_b32 v1, v1, v44
	ds_store_b32 v49, v1 offset:64
.LBB2771_107:
	s_or_b32 exec_lo, exec_lo, s0
	v_lshrrev_b32_e32 v1, s20, v24
	; wave barrier
	s_delay_alu instid0(VALU_DEP_1) | instskip(NEXT) | instid1(VALU_DEP_1)
	v_and_b32_e32 v2, s4, v1
	v_lshlrev_b32_e32 v6, 30, v2
	v_bitop3_b32 v1, v1, 1, s4 bitop3:0x80
	s_delay_alu instid0(VALU_DEP_1) | instskip(NEXT) | instid1(VALU_DEP_1)
	v_add_co_u32 v1, s0, v1, -1
	v_cndmask_b32_e64 v4, 0, 1, s0
	s_delay_alu instid0(VALU_DEP_4) | instskip(NEXT) | instid1(VALU_DEP_2)
	v_cmp_gt_i32_e64 s0, 0, v6
	v_cmp_ne_u32_e32 vcc_lo, 0, v4
	v_not_b32_e32 v4, v6
	s_delay_alu instid0(VALU_DEP_1) | instskip(SKIP_3) | instid1(VALU_DEP_4)
	v_dual_ashrrev_i32 v4, 31, v4 :: v_dual_lshlrev_b32 v7, 29, v2
	v_dual_lshlrev_b32 v8, 28, v2 :: v_dual_lshlrev_b32 v9, 27, v2
	v_lshlrev_b32_e32 v47, 26, v2
	v_mul_lo_u32 v3, 0x44, v2
	v_cmp_gt_i32_e64 s1, 0, v7
	v_not_b32_e32 v6, v7
	v_not_b32_e32 v7, v8
	v_cmp_gt_i32_e64 s2, 0, v8
	v_xor_b32_e32 v1, vcc_lo, v1
	s_delay_alu instid0(VALU_DEP_4) | instskip(NEXT) | instid1(VALU_DEP_4)
	v_dual_ashrrev_i32 v6, 31, v6 :: v_dual_bitop2_b32 v4, s0, v4 bitop3:0x14
	v_dual_ashrrev_i32 v7, 31, v7 :: v_dual_lshlrev_b32 v48, 25, v2
	v_lshlrev_b32_e32 v2, 24, v2
	v_not_b32_e32 v8, v9
	v_not_b32_e32 v50, v47
	v_xor_b32_e32 v6, s1, v6
	v_xor_b32_e32 v7, s2, v7
	v_bitop3_b32 v1, v1, v4, exec_lo bitop3:0x80
	v_cmp_gt_i32_e32 vcc_lo, 0, v9
	v_ashrrev_i32_e32 v4, 31, v8
	v_cmp_gt_i32_e64 s0, 0, v47
	v_ashrrev_i32_e32 v8, 31, v50
	v_bitop3_b32 v1, v1, v7, v6 bitop3:0x80
	v_not_b32_e32 v6, v48
	v_not_b32_e32 v7, v2
	v_xor_b32_e32 v4, vcc_lo, v4
	v_xor_b32_e32 v8, s0, v8
	v_cmp_gt_i32_e32 vcc_lo, 0, v48
	v_ashrrev_i32_e32 v6, 31, v6
	v_cmp_gt_i32_e64 s0, 0, v2
	v_ashrrev_i32_e32 v2, 31, v7
	v_add_nc_u32_e32 v52, v0, v3
	v_bitop3_b32 v1, v1, v8, v4 bitop3:0x80
	v_xor_b32_e32 v3, vcc_lo, v6
	s_delay_alu instid0(VALU_DEP_4) | instskip(SKIP_2) | instid1(VALU_DEP_1)
	v_xor_b32_e32 v2, s0, v2
	ds_load_b32 v47, v52 offset:64
	; wave barrier
	v_bitop3_b32 v1, v1, v2, v3 bitop3:0x80
	v_mbcnt_lo_u32_b32 v48, v1, 0
	v_cmp_ne_u32_e64 s0, 0, v1
	s_delay_alu instid0(VALU_DEP_2) | instskip(SKIP_1) | instid1(SALU_CYCLE_1)
	v_cmp_eq_u32_e32 vcc_lo, 0, v48
	s_and_b32 s1, s0, vcc_lo
	s_and_saveexec_b32 s0, s1
	s_cbranch_execz .LBB2771_109
; %bb.108:
	s_wait_dscnt 0x0
	v_bcnt_u32_b32 v1, v1, v47
	ds_store_b32 v52, v1 offset:64
.LBB2771_109:
	s_or_b32 exec_lo, exec_lo, s0
	v_lshrrev_b32_e32 v1, s20, v25
	; wave barrier
	s_delay_alu instid0(VALU_DEP_1) | instskip(NEXT) | instid1(VALU_DEP_1)
	v_and_b32_e32 v2, s4, v1
	v_lshlrev_b32_e32 v6, 30, v2
	v_bitop3_b32 v1, v1, 1, s4 bitop3:0x80
	s_delay_alu instid0(VALU_DEP_1) | instskip(NEXT) | instid1(VALU_DEP_1)
	v_add_co_u32 v1, s0, v1, -1
	v_cndmask_b32_e64 v4, 0, 1, s0
	s_delay_alu instid0(VALU_DEP_4) | instskip(NEXT) | instid1(VALU_DEP_2)
	v_cmp_gt_i32_e64 s0, 0, v6
	v_cmp_ne_u32_e32 vcc_lo, 0, v4
	v_not_b32_e32 v4, v6
	s_delay_alu instid0(VALU_DEP_1) | instskip(SKIP_3) | instid1(VALU_DEP_4)
	v_dual_ashrrev_i32 v4, 31, v4 :: v_dual_lshlrev_b32 v7, 29, v2
	v_dual_lshlrev_b32 v8, 28, v2 :: v_dual_lshlrev_b32 v9, 27, v2
	v_lshlrev_b32_e32 v50, 26, v2
	v_mul_lo_u32 v3, 0x44, v2
	v_cmp_gt_i32_e64 s1, 0, v7
	v_not_b32_e32 v6, v7
	v_not_b32_e32 v7, v8
	v_cmp_gt_i32_e64 s2, 0, v8
	v_xor_b32_e32 v1, vcc_lo, v1
	s_delay_alu instid0(VALU_DEP_4) | instskip(NEXT) | instid1(VALU_DEP_4)
	v_dual_ashrrev_i32 v6, 31, v6 :: v_dual_bitop2_b32 v4, s0, v4 bitop3:0x14
	v_dual_ashrrev_i32 v7, 31, v7 :: v_dual_lshlrev_b32 v51, 25, v2
	v_lshlrev_b32_e32 v2, 24, v2
	v_not_b32_e32 v8, v9
	v_not_b32_e32 v53, v50
	v_xor_b32_e32 v6, s1, v6
	v_xor_b32_e32 v7, s2, v7
	v_bitop3_b32 v1, v1, v4, exec_lo bitop3:0x80
	v_cmp_gt_i32_e32 vcc_lo, 0, v9
	v_ashrrev_i32_e32 v4, 31, v8
	v_cmp_gt_i32_e64 s0, 0, v50
	v_ashrrev_i32_e32 v8, 31, v53
	v_bitop3_b32 v1, v1, v7, v6 bitop3:0x80
	v_not_b32_e32 v6, v51
	v_not_b32_e32 v7, v2
	v_xor_b32_e32 v4, vcc_lo, v4
	v_xor_b32_e32 v8, s0, v8
	v_cmp_gt_i32_e32 vcc_lo, 0, v51
	v_ashrrev_i32_e32 v6, 31, v6
	v_cmp_gt_i32_e64 s0, 0, v2
	v_ashrrev_i32_e32 v2, 31, v7
	v_add_nc_u32_e32 v55, v0, v3
	v_bitop3_b32 v1, v1, v8, v4 bitop3:0x80
	v_xor_b32_e32 v3, vcc_lo, v6
	s_delay_alu instid0(VALU_DEP_4) | instskip(SKIP_2) | instid1(VALU_DEP_1)
	v_xor_b32_e32 v2, s0, v2
	ds_load_b32 v50, v55 offset:64
	; wave barrier
	v_bitop3_b32 v1, v1, v2, v3 bitop3:0x80
	v_mbcnt_lo_u32_b32 v51, v1, 0
	v_cmp_ne_u32_e64 s0, 0, v1
	s_delay_alu instid0(VALU_DEP_2) | instskip(SKIP_1) | instid1(SALU_CYCLE_1)
	v_cmp_eq_u32_e32 vcc_lo, 0, v51
	s_and_b32 s1, s0, vcc_lo
	s_and_saveexec_b32 s0, s1
	s_cbranch_execz .LBB2771_111
; %bb.110:
	s_wait_dscnt 0x0
	v_bcnt_u32_b32 v1, v1, v50
	ds_store_b32 v55, v1 offset:64
.LBB2771_111:
	s_or_b32 exec_lo, exec_lo, s0
	v_lshrrev_b32_e32 v1, s20, v26
	; wave barrier
	s_delay_alu instid0(VALU_DEP_1) | instskip(SKIP_1) | instid1(VALU_DEP_2)
	v_and_b32_e32 v2, s4, v1
	v_bitop3_b32 v1, v1, 1, s4 bitop3:0x80
	v_dual_lshlrev_b32 v6, 30, v2 :: v_dual_lshlrev_b32 v7, 29, v2
	s_delay_alu instid0(VALU_DEP_2) | instskip(NEXT) | instid1(VALU_DEP_1)
	v_add_co_u32 v1, s0, v1, -1
	v_cndmask_b32_e64 v4, 0, 1, s0
	s_delay_alu instid0(VALU_DEP_3) | instskip(NEXT) | instid1(VALU_DEP_4)
	v_cmp_gt_i32_e64 s0, 0, v6
	v_cmp_gt_i32_e64 s1, 0, v7
	s_delay_alu instid0(VALU_DEP_3) | instskip(SKIP_2) | instid1(VALU_DEP_2)
	v_cmp_ne_u32_e32 vcc_lo, 0, v4
	v_not_b32_e32 v4, v6
	v_not_b32_e32 v6, v7
	v_dual_ashrrev_i32 v4, 31, v4 :: v_dual_bitop2_b32 v1, vcc_lo, v1 bitop3:0x14
	s_delay_alu instid0(VALU_DEP_2) | instskip(SKIP_3) | instid1(VALU_DEP_3)
	v_ashrrev_i32_e32 v6, 31, v6
	v_dual_lshlrev_b32 v8, 28, v2 :: v_dual_lshlrev_b32 v9, 27, v2
	v_mul_lo_u32 v3, 0x44, v2
	v_dual_lshlrev_b32 v53, 26, v2 :: v_dual_lshlrev_b32 v54, 25, v2
	v_not_b32_e32 v7, v8
	v_lshlrev_b32_e32 v2, 24, v2
	v_cmp_gt_i32_e64 s2, 0, v8
	v_xor_b32_e32 v4, s0, v4
	v_not_b32_e32 v8, v9
	v_ashrrev_i32_e32 v7, 31, v7
	v_not_b32_e32 v56, v53
	v_xor_b32_e32 v6, s1, v6
	v_bitop3_b32 v1, v1, v4, exec_lo bitop3:0x80
	v_cmp_gt_i32_e32 vcc_lo, 0, v9
	v_dual_ashrrev_i32 v4, 31, v8 :: v_dual_bitop2_b32 v7, s2, v7 bitop3:0x14
	v_cmp_gt_i32_e64 s0, 0, v53
	v_ashrrev_i32_e32 v8, 31, v56
	s_delay_alu instid0(VALU_DEP_3)
	v_bitop3_b32 v1, v1, v7, v6 bitop3:0x80
	v_not_b32_e32 v6, v54
	v_not_b32_e32 v7, v2
	v_xor_b32_e32 v4, vcc_lo, v4
	v_xor_b32_e32 v8, s0, v8
	v_cmp_gt_i32_e32 vcc_lo, 0, v54
	v_ashrrev_i32_e32 v6, 31, v6
	v_cmp_gt_i32_e64 s0, 0, v2
	v_ashrrev_i32_e32 v2, 31, v7
	v_add_nc_u32_e32 v58, v0, v3
	v_bitop3_b32 v1, v1, v8, v4 bitop3:0x80
	v_xor_b32_e32 v3, vcc_lo, v6
	s_delay_alu instid0(VALU_DEP_4) | instskip(SKIP_2) | instid1(VALU_DEP_1)
	v_xor_b32_e32 v2, s0, v2
	ds_load_b32 v53, v58 offset:64
	; wave barrier
	v_bitop3_b32 v1, v1, v2, v3 bitop3:0x80
	v_mbcnt_lo_u32_b32 v54, v1, 0
	v_cmp_ne_u32_e64 s0, 0, v1
	s_delay_alu instid0(VALU_DEP_2) | instskip(SKIP_1) | instid1(SALU_CYCLE_1)
	v_cmp_eq_u32_e32 vcc_lo, 0, v54
	s_and_b32 s1, s0, vcc_lo
	s_and_saveexec_b32 s0, s1
	s_cbranch_execz .LBB2771_113
; %bb.112:
	s_wait_dscnt 0x0
	v_bcnt_u32_b32 v1, v1, v53
	ds_store_b32 v58, v1 offset:64
.LBB2771_113:
	s_or_b32 exec_lo, exec_lo, s0
	v_lshrrev_b32_e32 v1, s20, v27
	; wave barrier
	s_delay_alu instid0(VALU_DEP_1) | instskip(NEXT) | instid1(VALU_DEP_1)
	v_and_b32_e32 v2, s4, v1
	v_lshlrev_b32_e32 v6, 30, v2
	v_bitop3_b32 v1, v1, 1, s4 bitop3:0x80
	s_delay_alu instid0(VALU_DEP_1) | instskip(NEXT) | instid1(VALU_DEP_1)
	v_add_co_u32 v1, s0, v1, -1
	v_cndmask_b32_e64 v4, 0, 1, s0
	s_delay_alu instid0(VALU_DEP_4) | instskip(NEXT) | instid1(VALU_DEP_2)
	v_cmp_gt_i32_e64 s0, 0, v6
	v_cmp_ne_u32_e32 vcc_lo, 0, v4
	v_not_b32_e32 v4, v6
	s_delay_alu instid0(VALU_DEP_1) | instskip(SKIP_3) | instid1(VALU_DEP_4)
	v_dual_ashrrev_i32 v4, 31, v4 :: v_dual_lshlrev_b32 v7, 29, v2
	v_dual_lshlrev_b32 v8, 28, v2 :: v_dual_lshlrev_b32 v9, 27, v2
	v_lshlrev_b32_e32 v56, 26, v2
	v_mul_lo_u32 v3, 0x44, v2
	v_cmp_gt_i32_e64 s1, 0, v7
	v_not_b32_e32 v6, v7
	v_not_b32_e32 v7, v8
	v_cmp_gt_i32_e64 s2, 0, v8
	v_xor_b32_e32 v1, vcc_lo, v1
	s_delay_alu instid0(VALU_DEP_4) | instskip(NEXT) | instid1(VALU_DEP_4)
	v_dual_ashrrev_i32 v6, 31, v6 :: v_dual_bitop2_b32 v4, s0, v4 bitop3:0x14
	v_dual_ashrrev_i32 v7, 31, v7 :: v_dual_lshlrev_b32 v57, 25, v2
	v_lshlrev_b32_e32 v2, 24, v2
	v_not_b32_e32 v8, v9
	v_not_b32_e32 v59, v56
	v_xor_b32_e32 v6, s1, v6
	v_xor_b32_e32 v7, s2, v7
	v_bitop3_b32 v1, v1, v4, exec_lo bitop3:0x80
	v_cmp_gt_i32_e32 vcc_lo, 0, v9
	v_ashrrev_i32_e32 v4, 31, v8
	v_cmp_gt_i32_e64 s0, 0, v56
	v_ashrrev_i32_e32 v8, 31, v59
	v_bitop3_b32 v1, v1, v7, v6 bitop3:0x80
	v_not_b32_e32 v6, v57
	v_not_b32_e32 v7, v2
	v_xor_b32_e32 v4, vcc_lo, v4
	v_xor_b32_e32 v8, s0, v8
	v_cmp_gt_i32_e32 vcc_lo, 0, v57
	v_ashrrev_i32_e32 v6, 31, v6
	v_cmp_gt_i32_e64 s0, 0, v2
	v_ashrrev_i32_e32 v2, 31, v7
	v_add_nc_u32_e32 v61, v0, v3
	v_bitop3_b32 v0, v1, v8, v4 bitop3:0x80
	v_xor_b32_e32 v1, vcc_lo, v6
	s_delay_alu instid0(VALU_DEP_4) | instskip(SKIP_2) | instid1(VALU_DEP_1)
	v_xor_b32_e32 v2, s0, v2
	ds_load_b32 v56, v61 offset:64
	; wave barrier
	v_bitop3_b32 v0, v0, v2, v1 bitop3:0x80
	v_mbcnt_lo_u32_b32 v57, v0, 0
	v_cmp_ne_u32_e64 s0, 0, v0
	s_delay_alu instid0(VALU_DEP_2) | instskip(SKIP_1) | instid1(SALU_CYCLE_1)
	v_cmp_eq_u32_e32 vcc_lo, 0, v57
	s_and_b32 s1, s0, vcc_lo
	s_and_saveexec_b32 s0, s1
	s_cbranch_execz .LBB2771_115
; %bb.114:
	s_wait_dscnt 0x0
	v_bcnt_u32_b32 v0, v0, v56
	ds_store_b32 v61, v0 offset:64
.LBB2771_115:
	s_or_b32 exec_lo, exec_lo, s0
	; wave barrier
	s_wait_dscnt 0x0
	s_barrier_signal -1
	s_barrier_wait -1
	ds_load_2addr_b32 v[8:9], v10 offset0:16 offset1:17
	ds_load_2addr_b32 v[6:7], v10 offset0:18 offset1:19
	;; [unrolled: 1-line block ×4, first 2 shown]
	ds_load_b32 v4, v10 offset:96
	v_min_u32_e32 v17, 0x1e0, v17
	s_mov_b32 s5, exec_lo
	s_delay_alu instid0(VALU_DEP_1) | instskip(SKIP_3) | instid1(VALU_DEP_1)
	v_or_b32_e32 v62, 31, v17
	s_wait_dscnt 0x3
	v_add3_u32 v59, v9, v8, v6
	s_wait_dscnt 0x2
	v_add3_u32 v59, v59, v7, v2
	s_wait_dscnt 0x1
	s_delay_alu instid0(VALU_DEP_1) | instskip(SKIP_1) | instid1(VALU_DEP_1)
	v_add3_u32 v59, v59, v3, v0
	s_wait_dscnt 0x0
	v_add3_u32 v4, v59, v1, v4
	v_and_b32_e32 v59, 15, v16
	s_delay_alu instid0(VALU_DEP_2) | instskip(NEXT) | instid1(VALU_DEP_2)
	v_mov_b32_dpp v60, v4 row_shr:1 row_mask:0xf bank_mask:0xf
	v_cmp_eq_u32_e32 vcc_lo, 0, v59
	v_cmp_lt_u32_e64 s0, 1, v59
	v_cmp_lt_u32_e64 s1, 3, v59
	;; [unrolled: 1-line block ×3, first 2 shown]
	v_cndmask_b32_e64 v60, v60, 0, vcc_lo
	s_delay_alu instid0(VALU_DEP_1) | instskip(NEXT) | instid1(VALU_DEP_1)
	v_add_nc_u32_e32 v4, v60, v4
	v_mov_b32_dpp v60, v4 row_shr:2 row_mask:0xf bank_mask:0xf
	s_delay_alu instid0(VALU_DEP_1) | instskip(NEXT) | instid1(VALU_DEP_1)
	v_cndmask_b32_e64 v60, 0, v60, s0
	v_add_nc_u32_e32 v4, v4, v60
	s_delay_alu instid0(VALU_DEP_1) | instskip(NEXT) | instid1(VALU_DEP_1)
	v_mov_b32_dpp v60, v4 row_shr:4 row_mask:0xf bank_mask:0xf
	v_cndmask_b32_e64 v60, 0, v60, s1
	s_delay_alu instid0(VALU_DEP_1) | instskip(NEXT) | instid1(VALU_DEP_1)
	v_add_nc_u32_e32 v4, v4, v60
	v_mov_b32_dpp v60, v4 row_shr:8 row_mask:0xf bank_mask:0xf
	s_delay_alu instid0(VALU_DEP_1) | instskip(SKIP_1) | instid1(VALU_DEP_2)
	v_cndmask_b32_e64 v59, 0, v60, s2
	v_bfe_i32 v60, v16, 4, 1
	v_add_nc_u32_e32 v4, v4, v59
	ds_swizzle_b32 v59, v4 offset:swizzle(BROADCAST,32,15)
	s_wait_dscnt 0x0
	v_dual_lshrrev_b32 v59, 5, v28 :: v_dual_bitop2_b32 v60, v60, v59 bitop3:0x40
	s_delay_alu instid0(VALU_DEP_1)
	v_add_nc_u32_e32 v17, v4, v60
	v_cmpx_eq_u32_e64 v28, v62
; %bb.116:
	s_delay_alu instid0(VALU_DEP_3)
	v_lshlrev_b32_e32 v4, 2, v59
	ds_store_b32 v4, v17
; %bb.117:
	s_or_b32 exec_lo, exec_lo, s5
	v_lshlrev_b32_e32 v4, 2, v28
	s_mov_b32 s5, exec_lo
	s_wait_dscnt 0x0
	s_barrier_signal -1
	s_barrier_wait -1
	v_cmpx_gt_u32_e32 16, v28
	s_cbranch_execz .LBB2771_119
; %bb.118:
	ds_load_b32 v60, v4
	s_wait_dscnt 0x0
	v_mov_b32_dpp v62, v60 row_shr:1 row_mask:0xf bank_mask:0xf
	s_delay_alu instid0(VALU_DEP_1) | instskip(NEXT) | instid1(VALU_DEP_1)
	v_cndmask_b32_e64 v62, v62, 0, vcc_lo
	v_add_nc_u32_e32 v60, v62, v60
	s_delay_alu instid0(VALU_DEP_1) | instskip(NEXT) | instid1(VALU_DEP_1)
	v_mov_b32_dpp v62, v60 row_shr:2 row_mask:0xf bank_mask:0xf
	v_cndmask_b32_e64 v62, 0, v62, s0
	s_delay_alu instid0(VALU_DEP_1) | instskip(NEXT) | instid1(VALU_DEP_1)
	v_add_nc_u32_e32 v60, v60, v62
	v_mov_b32_dpp v62, v60 row_shr:4 row_mask:0xf bank_mask:0xf
	s_delay_alu instid0(VALU_DEP_1) | instskip(NEXT) | instid1(VALU_DEP_1)
	v_cndmask_b32_e64 v62, 0, v62, s1
	v_add_nc_u32_e32 v60, v60, v62
	s_delay_alu instid0(VALU_DEP_1) | instskip(NEXT) | instid1(VALU_DEP_1)
	v_mov_b32_dpp v62, v60 row_shr:8 row_mask:0xf bank_mask:0xf
	v_cndmask_b32_e64 v62, 0, v62, s2
	s_delay_alu instid0(VALU_DEP_1)
	v_add_nc_u32_e32 v60, v60, v62
	ds_store_b32 v4, v60
.LBB2771_119:
	s_or_b32 exec_lo, exec_lo, s5
	v_mov_b32_e32 v60, 0
	s_mov_b32 s0, exec_lo
	s_wait_dscnt 0x0
	s_barrier_signal -1
	s_barrier_wait -1
	v_cmpx_lt_u32_e32 31, v28
; %bb.120:
	v_lshl_add_u32 v59, v59, 2, -4
	ds_load_b32 v60, v59
; %bb.121:
	s_or_b32 exec_lo, exec_lo, s0
	v_sub_co_u32 v59, vcc_lo, v16, 1
	s_wait_dscnt 0x0
	v_add_nc_u32_e32 v17, v60, v17
	s_delay_alu instid0(VALU_DEP_2) | instskip(NEXT) | instid1(VALU_DEP_1)
	v_cmp_gt_i32_e64 s0, 0, v59
	v_cndmask_b32_e64 v16, v59, v16, s0
	v_cmp_lt_u32_e64 s0, 0xff, v28
	s_delay_alu instid0(VALU_DEP_2) | instskip(SKIP_4) | instid1(VALU_DEP_2)
	v_lshlrev_b32_e32 v16, 2, v16
	ds_bpermute_b32 v16, v16, v17
	s_wait_dscnt 0x0
	v_cndmask_b32_e32 v16, v16, v60, vcc_lo
	v_cmp_ne_u32_e32 vcc_lo, 0, v28
	v_cndmask_b32_e32 v16, 0, v16, vcc_lo
	v_cmp_gt_u32_e32 vcc_lo, 0x100, v28
	s_delay_alu instid0(VALU_DEP_2) | instskip(NEXT) | instid1(VALU_DEP_1)
	v_add_nc_u32_e32 v8, v16, v8
	v_add_nc_u32_e32 v9, v8, v9
	s_delay_alu instid0(VALU_DEP_1) | instskip(NEXT) | instid1(VALU_DEP_1)
	v_add_nc_u32_e32 v6, v9, v6
	v_add_nc_u32_e32 v7, v6, v7
	s_delay_alu instid0(VALU_DEP_1) | instskip(NEXT) | instid1(VALU_DEP_1)
	;; [unrolled: 3-line block ×3, first 2 shown]
	v_add_nc_u32_e32 v0, v3, v0
	v_add_nc_u32_e32 v1, v0, v1
	ds_store_2addr_b32 v10, v16, v8 offset0:16 offset1:17
	ds_store_2addr_b32 v10, v9, v6 offset0:18 offset1:19
	;; [unrolled: 1-line block ×4, first 2 shown]
	ds_store_b32 v10, v1 offset:96
	s_wait_dscnt 0x0
	s_barrier_signal -1
	s_barrier_wait -1
	ds_load_b32 v59, v12 offset:64
	ds_load_b32 v60, v13 offset:64
	;; [unrolled: 1-line block ×12, first 2 shown]
	v_mov_b64_e32 v[0:1], 0
                                        ; implicit-def: $vgpr2
	s_and_saveexec_b32 s2, vcc_lo
	s_cbranch_execz .LBB2771_125
; %bb.122:
	v_mul_u32_u24_e32 v0, 0x44, v28
	v_dual_mov_b32 v1, 0x1800 :: v_dual_add_nc_u32 v2, 1, v28
	s_mov_b32 s3, exec_lo
	ds_load_b32 v0, v0 offset:64
	v_cmpx_ne_u32_e32 0x100, v2
; %bb.123:
	v_mul_u32_u24_e32 v1, 0x44, v2
	ds_load_b32 v1, v1 offset:64
; %bb.124:
	s_or_b32 exec_lo, exec_lo, s3
	s_wait_dscnt 0x0
	v_dual_mov_b32 v1, 0 :: v_dual_sub_nc_u32 v2, v1, v0
.LBB2771_125:
	s_or_b32 exec_lo, exec_lo, s2
	v_dual_mov_b32 v7, 0 :: v_dual_lshlrev_b32 v3, 3, v28
	s_wait_dscnt 0x0
	s_barrier_signal -1
	s_barrier_wait -1
	s_and_saveexec_b32 s1, vcc_lo
	s_cbranch_execz .LBB2771_135
; %bb.126:
	v_lshl_add_u32 v6, s9, 8, v28
	v_dual_mov_b32 v10, 0 :: v_dual_bitop2_b32 v11, 2.0, v2 bitop3:0x54
	s_mov_b32 s2, 0
	s_mov_b32 s3, s9
	s_delay_alu instid0(VALU_DEP_2)
	v_lshl_add_u64 v[8:9], v[6:7], 2, s[10:11]
	global_store_b32 v6, v11, s[10:11] scale_offset scope:SCOPE_DEV
                                        ; implicit-def: $sgpr5
	s_branch .LBB2771_129
.LBB2771_127:                           ;   in Loop: Header=BB2771_129 Depth=1
	s_or_b32 exec_lo, exec_lo, s6
.LBB2771_128:                           ;   in Loop: Header=BB2771_129 Depth=1
	s_delay_alu instid0(SALU_CYCLE_1) | instskip(SKIP_2) | instid1(VALU_DEP_2)
	s_or_b32 exec_lo, exec_lo, s5
	v_and_b32_e32 v6, 0x3fffffff, v11
	v_cmp_gt_i32_e64 s5, -2.0, v11
	v_add_nc_u32_e32 v10, v6, v10
	s_and_b32 s6, exec_lo, s5
	s_delay_alu instid0(SALU_CYCLE_1) | instskip(NEXT) | instid1(SALU_CYCLE_1)
	s_or_b32 s2, s6, s2
	s_and_not1_b32 exec_lo, exec_lo, s2
	s_cbranch_execz .LBB2771_134
.LBB2771_129:                           ; =>This Loop Header: Depth=1
                                        ;     Child Loop BB2771_132 Depth 2
	s_or_b32 s5, s5, exec_lo
	s_cmp_eq_u32 s3, 0
	s_cbranch_scc1 .LBB2771_133
; %bb.130:                              ;   in Loop: Header=BB2771_129 Depth=1
	s_add_co_i32 s3, s3, -1
	s_mov_b32 s5, exec_lo
	s_wait_xcnt 0x0
	v_lshl_or_b32 v6, s3, 8, v28
	global_load_b32 v11, v6, s[10:11] scale_offset scope:SCOPE_DEV
	s_wait_loadcnt 0x0
	v_cmpx_gt_u32_e32 2.0, v11
	s_cbranch_execz .LBB2771_128
; %bb.131:                              ;   in Loop: Header=BB2771_129 Depth=1
	v_lshl_add_u64 v[12:13], v[6:7], 2, s[10:11]
	s_mov_b32 s6, 0
.LBB2771_132:                           ;   Parent Loop BB2771_129 Depth=1
                                        ; =>  This Inner Loop Header: Depth=2
	global_load_b32 v11, v[12:13], off scope:SCOPE_DEV
	s_wait_loadcnt 0x0
	v_cmp_lt_u32_e32 vcc_lo, 0x3fffffff, v11
	s_or_b32 s6, vcc_lo, s6
	s_wait_xcnt 0x0
	s_and_not1_b32 exec_lo, exec_lo, s6
	s_cbranch_execnz .LBB2771_132
	s_branch .LBB2771_127
.LBB2771_133:                           ;   in Loop: Header=BB2771_129 Depth=1
                                        ; implicit-def: $sgpr3
	s_and_b32 s6, exec_lo, s5
	s_delay_alu instid0(SALU_CYCLE_1)
	s_or_b32 s2, s6, s2
	s_wait_xcnt 0x0
	s_and_not1_b32 exec_lo, exec_lo, s2
	s_cbranch_execnz .LBB2771_129
.LBB2771_134:
	s_or_b32 exec_lo, exec_lo, s2
	v_dual_mov_b32 v11, 0 :: v_dual_add_nc_u32 v6, v10, v2
	s_delay_alu instid0(VALU_DEP_1) | instskip(SKIP_4) | instid1(VALU_DEP_1)
	v_or_b32_e32 v6, 0x80000000, v6
	global_store_b32 v[8:9], v6, off scope:SCOPE_DEV
	global_load_b64 v[6:7], v28, s[12:13] scale_offset
	v_sub_nc_u64_e32 v[8:9], v[10:11], v[0:1]
	s_wait_loadcnt 0x0
	v_add_nc_u64_e32 v[6:7], v[8:9], v[6:7]
	ds_store_b64 v3, v[6:7]
.LBB2771_135:
	s_wait_xcnt 0x0
	s_or_b32 exec_lo, exec_lo, s1
	v_dual_add_nc_u32 v6, v62, v5 :: v_dual_sub_nc_u32 v58, 0, v4
	v_mov_b32_e32 v5, 0
	v_add3_u32 v29, v30, v59, v29
	v_add3_u32 v7, v57, v55, v56
	;; [unrolled: 1-line block ×3, first 2 shown]
	v_add_nc_u32_e32 v30, v3, v58
	v_add_nc_u64_e32 v[4:5], s[18:19], v[4:5]
	v_add3_u32 v9, v51, v49, v50
	v_add3_u32 v10, v48, v46, v47
	;; [unrolled: 1-line block ×6, first 2 shown]
	v_add_nc_u64_e32 v[4:5], 0x2000, v[4:5]
	v_add3_u32 v17, v34, v17, v33
	v_add3_u32 v31, v32, v60, v31
	v_mov_b32_e32 v32, v28
	s_mov_b32 s1, 0
	s_mov_b32 s2, -1
	s_branch .LBB2771_137
.LBB2771_136:                           ;   in Loop: Header=BB2771_137 Depth=1
	s_wait_xcnt 0x0
	s_or_b32 exec_lo, exec_lo, s3
	v_add_nc_u64_e32 v[4:5], 0x4000, v[4:5]
	v_add_nc_u32_e32 v32, 0x1000, v32
	s_xor_b32 s2, s2, -1
	s_addk_co_i32 s1, 0xf000
	s_and_b32 vcc_lo, exec_lo, s2
	s_mov_b32 s2, 0
	s_wait_storecnt 0x0
	s_barrier_signal -1
	s_barrier_wait -1
	s_cbranch_vccnz .LBB2771_147
.LBB2771_137:                           ; =>This Inner Loop Header: Depth=1
	v_add_min_u32_e64 v33, v6, s1, 0x1000
	v_add_min_u32_e64 v34, v29, s1, 0x1000
	;; [unrolled: 1-line block ×5, first 2 shown]
	s_delay_alu instid0(VALU_DEP_4)
	v_dual_lshlrev_b32 v33, 2, v33 :: v_dual_lshlrev_b32 v34, 2, v34
	v_add_min_u32_e64 v38, v13, s1, 0x1000
	v_add_min_u32_e64 v39, v12, s1, 0x1000
	s_mov_b32 s3, exec_lo
	ds_store_b32 v33, v14 offset:2048
	ds_store_b32 v34, v15 offset:2048
	v_dual_lshlrev_b32 v33, 2, v35 :: v_dual_lshlrev_b32 v34, 2, v36
	v_dual_lshlrev_b32 v35, 2, v37 :: v_dual_lshlrev_b32 v36, 2, v38
	v_lshlrev_b32_e32 v37, 2, v39
	ds_store_b32 v33, v18 offset:2048
	ds_store_b32 v34, v19 offset:2048
	;; [unrolled: 1-line block ×5, first 2 shown]
	v_add_min_u32_e64 v33, v11, s1, 0x1000
	v_add_min_u32_e64 v34, v10, s1, 0x1000
	;; [unrolled: 1-line block ×5, first 2 shown]
	s_delay_alu instid0(VALU_DEP_4) | instskip(NEXT) | instid1(VALU_DEP_3)
	v_dual_lshlrev_b32 v33, 2, v33 :: v_dual_lshlrev_b32 v34, 2, v34
	v_dual_lshlrev_b32 v35, 2, v35 :: v_dual_lshlrev_b32 v36, 2, v36
	s_delay_alu instid0(VALU_DEP_3)
	v_lshlrev_b32_e32 v37, 2, v37
	ds_store_b32 v33, v23 offset:2048
	ds_store_b32 v34, v24 offset:2048
	;; [unrolled: 1-line block ×5, first 2 shown]
	s_wait_storecnt_dscnt 0x0
	s_barrier_signal -1
	s_barrier_wait -1
	ds_load_2addr_stride64_b32 v[34:35], v30 offset0:8 offset1:16
	s_wait_dscnt 0x0
	v_dual_lshrrev_b32 v33, s20, v35 :: v_dual_lshrrev_b32 v38, s20, v34
	s_delay_alu instid0(VALU_DEP_1) | instskip(NEXT) | instid1(VALU_DEP_1)
	v_and_b32_e32 v38, s4, v38
	v_dual_lshlrev_b32 v38, 3, v38 :: v_dual_bitop2_b32 v33, s4, v33 bitop3:0x40
	s_delay_alu instid0(VALU_DEP_1)
	v_lshlrev_b32_e32 v33, 3, v33
	ds_load_b64 v[36:37], v33
	ds_load_b32 v33, v30 offset:6144
	s_wait_dscnt 0x1
	v_lshl_add_u64 v[36:37], v[36:37], 2, v[4:5]
	s_wait_dscnt 0x0
	v_lshrrev_b32_e32 v39, s20, v33
	s_delay_alu instid0(VALU_DEP_1) | instskip(NEXT) | instid1(VALU_DEP_1)
	v_and_b32_e32 v39, s4, v39
	v_lshlrev_b32_e32 v40, 3, v39
	ds_load_b64 v[38:39], v38
	ds_load_b64 v[40:41], v40
	s_wait_dscnt 0x1
	v_lshl_add_u64 v[38:39], v[38:39], 2, v[4:5]
	s_wait_dscnt 0x0
	v_lshl_add_u64 v[40:41], v[40:41], 2, v[4:5]
	s_clause 0x2
	global_store_b32 v[38:39], v34, off offset:-8192
	global_store_b32 v[36:37], v35, off offset:-6144
	;; [unrolled: 1-line block ×3, first 2 shown]
	s_wait_xcnt 0x0
	v_cmpx_gt_u32_e32 0x1200, v32
	s_cbranch_execz .LBB2771_139
; %bb.138:                              ;   in Loop: Header=BB2771_137 Depth=1
	ds_load_b32 v33, v30 offset:8192
	s_wait_dscnt 0x0
	v_lshrrev_b32_e32 v34, s20, v33
	s_delay_alu instid0(VALU_DEP_1) | instskip(NEXT) | instid1(VALU_DEP_1)
	v_and_b32_e32 v34, s4, v34
	v_lshlrev_b32_e32 v34, 3, v34
	ds_load_b64 v[34:35], v34
	s_wait_dscnt 0x0
	v_lshl_add_u64 v[34:35], v[34:35], 2, v[4:5]
	global_store_b32 v[34:35], v33, off offset:-2048
.LBB2771_139:                           ;   in Loop: Header=BB2771_137 Depth=1
	s_wait_xcnt 0x0
	s_or_b32 exec_lo, exec_lo, s3
	v_add_nc_u32_e32 v33, 0x800, v32
	s_mov_b32 s3, exec_lo
	s_delay_alu instid0(VALU_DEP_1)
	v_cmpx_gt_u32_e32 0x1800, v33
	s_cbranch_execz .LBB2771_141
; %bb.140:                              ;   in Loop: Header=BB2771_137 Depth=1
	ds_load_b32 v33, v30 offset:10240
	s_wait_dscnt 0x0
	v_lshrrev_b32_e32 v34, s20, v33
	s_delay_alu instid0(VALU_DEP_1) | instskip(NEXT) | instid1(VALU_DEP_1)
	v_and_b32_e32 v34, s4, v34
	v_lshlrev_b32_e32 v34, 3, v34
	ds_load_b64 v[34:35], v34
	s_wait_dscnt 0x0
	v_lshl_add_u64 v[34:35], v[34:35], 2, v[4:5]
	global_store_b32 v[34:35], v33, off
.LBB2771_141:                           ;   in Loop: Header=BB2771_137 Depth=1
	s_wait_xcnt 0x0
	s_or_b32 exec_lo, exec_lo, s3
	s_delay_alu instid0(SALU_CYCLE_1)
	s_mov_b32 s3, exec_lo
	v_cmpx_gt_u32_e32 0xe00, v32
	s_cbranch_execz .LBB2771_143
; %bb.142:                              ;   in Loop: Header=BB2771_137 Depth=1
	ds_load_b32 v33, v30 offset:12288
	s_wait_dscnt 0x0
	v_lshrrev_b32_e32 v34, s20, v33
	s_delay_alu instid0(VALU_DEP_1) | instskip(NEXT) | instid1(VALU_DEP_1)
	v_and_b32_e32 v34, s4, v34
	v_lshlrev_b32_e32 v34, 3, v34
	ds_load_b64 v[34:35], v34
	s_wait_dscnt 0x0
	v_lshl_add_u64 v[34:35], v[34:35], 2, v[4:5]
	global_store_b32 v[34:35], v33, off offset:2048
.LBB2771_143:                           ;   in Loop: Header=BB2771_137 Depth=1
	s_wait_xcnt 0x0
	s_or_b32 exec_lo, exec_lo, s3
	v_add_nc_u32_e32 v33, 0xc00, v32
	s_mov_b32 s3, exec_lo
	s_delay_alu instid0(VALU_DEP_1)
	v_cmpx_gt_u32_e32 0x1800, v33
	s_cbranch_execz .LBB2771_145
; %bb.144:                              ;   in Loop: Header=BB2771_137 Depth=1
	ds_load_b32 v33, v30 offset:14336
	s_wait_dscnt 0x0
	v_lshrrev_b32_e32 v34, s20, v33
	s_delay_alu instid0(VALU_DEP_1) | instskip(NEXT) | instid1(VALU_DEP_1)
	v_and_b32_e32 v34, s4, v34
	v_lshlrev_b32_e32 v34, 3, v34
	ds_load_b64 v[34:35], v34
	s_wait_dscnt 0x0
	v_lshl_add_u64 v[34:35], v[34:35], 2, v[4:5]
	global_store_b32 v[34:35], v33, off offset:4096
.LBB2771_145:                           ;   in Loop: Header=BB2771_137 Depth=1
	s_wait_xcnt 0x0
	s_or_b32 exec_lo, exec_lo, s3
	s_delay_alu instid0(SALU_CYCLE_1)
	s_mov_b32 s3, exec_lo
	v_cmpx_gt_u32_e32 0xa00, v32
	s_cbranch_execz .LBB2771_136
; %bb.146:                              ;   in Loop: Header=BB2771_137 Depth=1
	ds_load_b32 v33, v30 offset:16384
	s_wait_dscnt 0x0
	v_lshrrev_b32_e32 v34, s20, v33
	s_delay_alu instid0(VALU_DEP_1) | instskip(NEXT) | instid1(VALU_DEP_1)
	v_and_b32_e32 v34, s4, v34
	v_lshlrev_b32_e32 v34, 3, v34
	ds_load_b64 v[34:35], v34
	s_wait_dscnt 0x0
	v_lshl_add_u64 v[34:35], v[34:35], 2, v[4:5]
	global_store_b32 v[34:35], v33, off offset:6144
	s_branch .LBB2771_136
.LBB2771_147:
	s_add_co_i32 s7, s7, -1
	s_delay_alu instid0(SALU_CYCLE_1) | instskip(SKIP_2) | instid1(SALU_CYCLE_1)
	s_cmp_eq_u32 s9, s7
	s_cselect_b32 s1, -1, 0
	s_xor_b32 s0, s0, -1
	s_and_b32 s0, s0, s1
	s_delay_alu instid0(SALU_CYCLE_1)
	s_and_saveexec_b32 s1, s0
	s_cbranch_execz .LBB2771_149
; %bb.148:
	ds_load_b64 v[4:5], v3
	v_mov_b32_e32 v3, 0
	s_delay_alu instid0(VALU_DEP_1) | instskip(SKIP_1) | instid1(VALU_DEP_1)
	v_add_nc_u64_e32 v[0:1], v[0:1], v[2:3]
	s_wait_dscnt 0x0
	v_add_nc_u64_e32 v[0:1], v[0:1], v[4:5]
	global_store_b64 v28, v[0:1], s[14:15] scale_offset
.LBB2771_149:
	s_sendmsg sendmsg(MSG_DEALLOC_VGPRS)
	s_endpgm
	.section	.rodata,"a",@progbits
	.p2align	6, 0x0
	.amdhsa_kernel _ZN7rocprim17ROCPRIM_400000_NS6detail17trampoline_kernelINS0_14default_configENS1_35radix_sort_onesweep_config_selectorIjNS0_10empty_typeEEEZZNS1_29radix_sort_onesweep_iterationIS3_Lb0EPKjPjPS5_SB_mNS0_19identity_decomposerENS1_16block_id_wrapperIjLb0EEEEE10hipError_tT1_PNSt15iterator_traitsISG_E10value_typeET2_T3_PNSH_ISM_E10value_typeET4_T5_PSR_SS_PNS1_23onesweep_lookback_stateEbbT6_jjT7_P12ihipStream_tbENKUlT_T0_SG_SL_E_clISA_SA_SB_SB_EEDaSZ_S10_SG_SL_EUlSZ_E_NS1_11comp_targetILNS1_3genE0ELNS1_11target_archE4294967295ELNS1_3gpuE0ELNS1_3repE0EEENS1_47radix_sort_onesweep_sort_config_static_selectorELNS0_4arch9wavefront6targetE0EEEvSG_
		.amdhsa_group_segment_fixed_size 18504
		.amdhsa_private_segment_fixed_size 0
		.amdhsa_kernarg_size 344
		.amdhsa_user_sgpr_count 2
		.amdhsa_user_sgpr_dispatch_ptr 0
		.amdhsa_user_sgpr_queue_ptr 0
		.amdhsa_user_sgpr_kernarg_segment_ptr 1
		.amdhsa_user_sgpr_dispatch_id 0
		.amdhsa_user_sgpr_kernarg_preload_length 0
		.amdhsa_user_sgpr_kernarg_preload_offset 0
		.amdhsa_user_sgpr_private_segment_size 0
		.amdhsa_wavefront_size32 1
		.amdhsa_uses_dynamic_stack 0
		.amdhsa_enable_private_segment 0
		.amdhsa_system_sgpr_workgroup_id_x 1
		.amdhsa_system_sgpr_workgroup_id_y 0
		.amdhsa_system_sgpr_workgroup_id_z 0
		.amdhsa_system_sgpr_workgroup_info 0
		.amdhsa_system_vgpr_workitem_id 2
		.amdhsa_next_free_vgpr 65
		.amdhsa_next_free_sgpr 29
		.amdhsa_named_barrier_count 0
		.amdhsa_reserve_vcc 1
		.amdhsa_float_round_mode_32 0
		.amdhsa_float_round_mode_16_64 0
		.amdhsa_float_denorm_mode_32 3
		.amdhsa_float_denorm_mode_16_64 3
		.amdhsa_fp16_overflow 0
		.amdhsa_memory_ordered 1
		.amdhsa_forward_progress 1
		.amdhsa_inst_pref_size 118
		.amdhsa_round_robin_scheduling 0
		.amdhsa_exception_fp_ieee_invalid_op 0
		.amdhsa_exception_fp_denorm_src 0
		.amdhsa_exception_fp_ieee_div_zero 0
		.amdhsa_exception_fp_ieee_overflow 0
		.amdhsa_exception_fp_ieee_underflow 0
		.amdhsa_exception_fp_ieee_inexact 0
		.amdhsa_exception_int_div_zero 0
	.end_amdhsa_kernel
	.section	.text._ZN7rocprim17ROCPRIM_400000_NS6detail17trampoline_kernelINS0_14default_configENS1_35radix_sort_onesweep_config_selectorIjNS0_10empty_typeEEEZZNS1_29radix_sort_onesweep_iterationIS3_Lb0EPKjPjPS5_SB_mNS0_19identity_decomposerENS1_16block_id_wrapperIjLb0EEEEE10hipError_tT1_PNSt15iterator_traitsISG_E10value_typeET2_T3_PNSH_ISM_E10value_typeET4_T5_PSR_SS_PNS1_23onesweep_lookback_stateEbbT6_jjT7_P12ihipStream_tbENKUlT_T0_SG_SL_E_clISA_SA_SB_SB_EEDaSZ_S10_SG_SL_EUlSZ_E_NS1_11comp_targetILNS1_3genE0ELNS1_11target_archE4294967295ELNS1_3gpuE0ELNS1_3repE0EEENS1_47radix_sort_onesweep_sort_config_static_selectorELNS0_4arch9wavefront6targetE0EEEvSG_,"axG",@progbits,_ZN7rocprim17ROCPRIM_400000_NS6detail17trampoline_kernelINS0_14default_configENS1_35radix_sort_onesweep_config_selectorIjNS0_10empty_typeEEEZZNS1_29radix_sort_onesweep_iterationIS3_Lb0EPKjPjPS5_SB_mNS0_19identity_decomposerENS1_16block_id_wrapperIjLb0EEEEE10hipError_tT1_PNSt15iterator_traitsISG_E10value_typeET2_T3_PNSH_ISM_E10value_typeET4_T5_PSR_SS_PNS1_23onesweep_lookback_stateEbbT6_jjT7_P12ihipStream_tbENKUlT_T0_SG_SL_E_clISA_SA_SB_SB_EEDaSZ_S10_SG_SL_EUlSZ_E_NS1_11comp_targetILNS1_3genE0ELNS1_11target_archE4294967295ELNS1_3gpuE0ELNS1_3repE0EEENS1_47radix_sort_onesweep_sort_config_static_selectorELNS0_4arch9wavefront6targetE0EEEvSG_,comdat
.Lfunc_end2771:
	.size	_ZN7rocprim17ROCPRIM_400000_NS6detail17trampoline_kernelINS0_14default_configENS1_35radix_sort_onesweep_config_selectorIjNS0_10empty_typeEEEZZNS1_29radix_sort_onesweep_iterationIS3_Lb0EPKjPjPS5_SB_mNS0_19identity_decomposerENS1_16block_id_wrapperIjLb0EEEEE10hipError_tT1_PNSt15iterator_traitsISG_E10value_typeET2_T3_PNSH_ISM_E10value_typeET4_T5_PSR_SS_PNS1_23onesweep_lookback_stateEbbT6_jjT7_P12ihipStream_tbENKUlT_T0_SG_SL_E_clISA_SA_SB_SB_EEDaSZ_S10_SG_SL_EUlSZ_E_NS1_11comp_targetILNS1_3genE0ELNS1_11target_archE4294967295ELNS1_3gpuE0ELNS1_3repE0EEENS1_47radix_sort_onesweep_sort_config_static_selectorELNS0_4arch9wavefront6targetE0EEEvSG_, .Lfunc_end2771-_ZN7rocprim17ROCPRIM_400000_NS6detail17trampoline_kernelINS0_14default_configENS1_35radix_sort_onesweep_config_selectorIjNS0_10empty_typeEEEZZNS1_29radix_sort_onesweep_iterationIS3_Lb0EPKjPjPS5_SB_mNS0_19identity_decomposerENS1_16block_id_wrapperIjLb0EEEEE10hipError_tT1_PNSt15iterator_traitsISG_E10value_typeET2_T3_PNSH_ISM_E10value_typeET4_T5_PSR_SS_PNS1_23onesweep_lookback_stateEbbT6_jjT7_P12ihipStream_tbENKUlT_T0_SG_SL_E_clISA_SA_SB_SB_EEDaSZ_S10_SG_SL_EUlSZ_E_NS1_11comp_targetILNS1_3genE0ELNS1_11target_archE4294967295ELNS1_3gpuE0ELNS1_3repE0EEENS1_47radix_sort_onesweep_sort_config_static_selectorELNS0_4arch9wavefront6targetE0EEEvSG_
                                        ; -- End function
	.set _ZN7rocprim17ROCPRIM_400000_NS6detail17trampoline_kernelINS0_14default_configENS1_35radix_sort_onesweep_config_selectorIjNS0_10empty_typeEEEZZNS1_29radix_sort_onesweep_iterationIS3_Lb0EPKjPjPS5_SB_mNS0_19identity_decomposerENS1_16block_id_wrapperIjLb0EEEEE10hipError_tT1_PNSt15iterator_traitsISG_E10value_typeET2_T3_PNSH_ISM_E10value_typeET4_T5_PSR_SS_PNS1_23onesweep_lookback_stateEbbT6_jjT7_P12ihipStream_tbENKUlT_T0_SG_SL_E_clISA_SA_SB_SB_EEDaSZ_S10_SG_SL_EUlSZ_E_NS1_11comp_targetILNS1_3genE0ELNS1_11target_archE4294967295ELNS1_3gpuE0ELNS1_3repE0EEENS1_47radix_sort_onesweep_sort_config_static_selectorELNS0_4arch9wavefront6targetE0EEEvSG_.num_vgpr, 65
	.set _ZN7rocprim17ROCPRIM_400000_NS6detail17trampoline_kernelINS0_14default_configENS1_35radix_sort_onesweep_config_selectorIjNS0_10empty_typeEEEZZNS1_29radix_sort_onesweep_iterationIS3_Lb0EPKjPjPS5_SB_mNS0_19identity_decomposerENS1_16block_id_wrapperIjLb0EEEEE10hipError_tT1_PNSt15iterator_traitsISG_E10value_typeET2_T3_PNSH_ISM_E10value_typeET4_T5_PSR_SS_PNS1_23onesweep_lookback_stateEbbT6_jjT7_P12ihipStream_tbENKUlT_T0_SG_SL_E_clISA_SA_SB_SB_EEDaSZ_S10_SG_SL_EUlSZ_E_NS1_11comp_targetILNS1_3genE0ELNS1_11target_archE4294967295ELNS1_3gpuE0ELNS1_3repE0EEENS1_47radix_sort_onesweep_sort_config_static_selectorELNS0_4arch9wavefront6targetE0EEEvSG_.num_agpr, 0
	.set _ZN7rocprim17ROCPRIM_400000_NS6detail17trampoline_kernelINS0_14default_configENS1_35radix_sort_onesweep_config_selectorIjNS0_10empty_typeEEEZZNS1_29radix_sort_onesweep_iterationIS3_Lb0EPKjPjPS5_SB_mNS0_19identity_decomposerENS1_16block_id_wrapperIjLb0EEEEE10hipError_tT1_PNSt15iterator_traitsISG_E10value_typeET2_T3_PNSH_ISM_E10value_typeET4_T5_PSR_SS_PNS1_23onesweep_lookback_stateEbbT6_jjT7_P12ihipStream_tbENKUlT_T0_SG_SL_E_clISA_SA_SB_SB_EEDaSZ_S10_SG_SL_EUlSZ_E_NS1_11comp_targetILNS1_3genE0ELNS1_11target_archE4294967295ELNS1_3gpuE0ELNS1_3repE0EEENS1_47radix_sort_onesweep_sort_config_static_selectorELNS0_4arch9wavefront6targetE0EEEvSG_.numbered_sgpr, 29
	.set _ZN7rocprim17ROCPRIM_400000_NS6detail17trampoline_kernelINS0_14default_configENS1_35radix_sort_onesweep_config_selectorIjNS0_10empty_typeEEEZZNS1_29radix_sort_onesweep_iterationIS3_Lb0EPKjPjPS5_SB_mNS0_19identity_decomposerENS1_16block_id_wrapperIjLb0EEEEE10hipError_tT1_PNSt15iterator_traitsISG_E10value_typeET2_T3_PNSH_ISM_E10value_typeET4_T5_PSR_SS_PNS1_23onesweep_lookback_stateEbbT6_jjT7_P12ihipStream_tbENKUlT_T0_SG_SL_E_clISA_SA_SB_SB_EEDaSZ_S10_SG_SL_EUlSZ_E_NS1_11comp_targetILNS1_3genE0ELNS1_11target_archE4294967295ELNS1_3gpuE0ELNS1_3repE0EEENS1_47radix_sort_onesweep_sort_config_static_selectorELNS0_4arch9wavefront6targetE0EEEvSG_.num_named_barrier, 0
	.set _ZN7rocprim17ROCPRIM_400000_NS6detail17trampoline_kernelINS0_14default_configENS1_35radix_sort_onesweep_config_selectorIjNS0_10empty_typeEEEZZNS1_29radix_sort_onesweep_iterationIS3_Lb0EPKjPjPS5_SB_mNS0_19identity_decomposerENS1_16block_id_wrapperIjLb0EEEEE10hipError_tT1_PNSt15iterator_traitsISG_E10value_typeET2_T3_PNSH_ISM_E10value_typeET4_T5_PSR_SS_PNS1_23onesweep_lookback_stateEbbT6_jjT7_P12ihipStream_tbENKUlT_T0_SG_SL_E_clISA_SA_SB_SB_EEDaSZ_S10_SG_SL_EUlSZ_E_NS1_11comp_targetILNS1_3genE0ELNS1_11target_archE4294967295ELNS1_3gpuE0ELNS1_3repE0EEENS1_47radix_sort_onesweep_sort_config_static_selectorELNS0_4arch9wavefront6targetE0EEEvSG_.private_seg_size, 0
	.set _ZN7rocprim17ROCPRIM_400000_NS6detail17trampoline_kernelINS0_14default_configENS1_35radix_sort_onesweep_config_selectorIjNS0_10empty_typeEEEZZNS1_29radix_sort_onesweep_iterationIS3_Lb0EPKjPjPS5_SB_mNS0_19identity_decomposerENS1_16block_id_wrapperIjLb0EEEEE10hipError_tT1_PNSt15iterator_traitsISG_E10value_typeET2_T3_PNSH_ISM_E10value_typeET4_T5_PSR_SS_PNS1_23onesweep_lookback_stateEbbT6_jjT7_P12ihipStream_tbENKUlT_T0_SG_SL_E_clISA_SA_SB_SB_EEDaSZ_S10_SG_SL_EUlSZ_E_NS1_11comp_targetILNS1_3genE0ELNS1_11target_archE4294967295ELNS1_3gpuE0ELNS1_3repE0EEENS1_47radix_sort_onesweep_sort_config_static_selectorELNS0_4arch9wavefront6targetE0EEEvSG_.uses_vcc, 1
	.set _ZN7rocprim17ROCPRIM_400000_NS6detail17trampoline_kernelINS0_14default_configENS1_35radix_sort_onesweep_config_selectorIjNS0_10empty_typeEEEZZNS1_29radix_sort_onesweep_iterationIS3_Lb0EPKjPjPS5_SB_mNS0_19identity_decomposerENS1_16block_id_wrapperIjLb0EEEEE10hipError_tT1_PNSt15iterator_traitsISG_E10value_typeET2_T3_PNSH_ISM_E10value_typeET4_T5_PSR_SS_PNS1_23onesweep_lookback_stateEbbT6_jjT7_P12ihipStream_tbENKUlT_T0_SG_SL_E_clISA_SA_SB_SB_EEDaSZ_S10_SG_SL_EUlSZ_E_NS1_11comp_targetILNS1_3genE0ELNS1_11target_archE4294967295ELNS1_3gpuE0ELNS1_3repE0EEENS1_47radix_sort_onesweep_sort_config_static_selectorELNS0_4arch9wavefront6targetE0EEEvSG_.uses_flat_scratch, 0
	.set _ZN7rocprim17ROCPRIM_400000_NS6detail17trampoline_kernelINS0_14default_configENS1_35radix_sort_onesweep_config_selectorIjNS0_10empty_typeEEEZZNS1_29radix_sort_onesweep_iterationIS3_Lb0EPKjPjPS5_SB_mNS0_19identity_decomposerENS1_16block_id_wrapperIjLb0EEEEE10hipError_tT1_PNSt15iterator_traitsISG_E10value_typeET2_T3_PNSH_ISM_E10value_typeET4_T5_PSR_SS_PNS1_23onesweep_lookback_stateEbbT6_jjT7_P12ihipStream_tbENKUlT_T0_SG_SL_E_clISA_SA_SB_SB_EEDaSZ_S10_SG_SL_EUlSZ_E_NS1_11comp_targetILNS1_3genE0ELNS1_11target_archE4294967295ELNS1_3gpuE0ELNS1_3repE0EEENS1_47radix_sort_onesweep_sort_config_static_selectorELNS0_4arch9wavefront6targetE0EEEvSG_.has_dyn_sized_stack, 0
	.set _ZN7rocprim17ROCPRIM_400000_NS6detail17trampoline_kernelINS0_14default_configENS1_35radix_sort_onesweep_config_selectorIjNS0_10empty_typeEEEZZNS1_29radix_sort_onesweep_iterationIS3_Lb0EPKjPjPS5_SB_mNS0_19identity_decomposerENS1_16block_id_wrapperIjLb0EEEEE10hipError_tT1_PNSt15iterator_traitsISG_E10value_typeET2_T3_PNSH_ISM_E10value_typeET4_T5_PSR_SS_PNS1_23onesweep_lookback_stateEbbT6_jjT7_P12ihipStream_tbENKUlT_T0_SG_SL_E_clISA_SA_SB_SB_EEDaSZ_S10_SG_SL_EUlSZ_E_NS1_11comp_targetILNS1_3genE0ELNS1_11target_archE4294967295ELNS1_3gpuE0ELNS1_3repE0EEENS1_47radix_sort_onesweep_sort_config_static_selectorELNS0_4arch9wavefront6targetE0EEEvSG_.has_recursion, 0
	.set _ZN7rocprim17ROCPRIM_400000_NS6detail17trampoline_kernelINS0_14default_configENS1_35radix_sort_onesweep_config_selectorIjNS0_10empty_typeEEEZZNS1_29radix_sort_onesweep_iterationIS3_Lb0EPKjPjPS5_SB_mNS0_19identity_decomposerENS1_16block_id_wrapperIjLb0EEEEE10hipError_tT1_PNSt15iterator_traitsISG_E10value_typeET2_T3_PNSH_ISM_E10value_typeET4_T5_PSR_SS_PNS1_23onesweep_lookback_stateEbbT6_jjT7_P12ihipStream_tbENKUlT_T0_SG_SL_E_clISA_SA_SB_SB_EEDaSZ_S10_SG_SL_EUlSZ_E_NS1_11comp_targetILNS1_3genE0ELNS1_11target_archE4294967295ELNS1_3gpuE0ELNS1_3repE0EEENS1_47radix_sort_onesweep_sort_config_static_selectorELNS0_4arch9wavefront6targetE0EEEvSG_.has_indirect_call, 0
	.section	.AMDGPU.csdata,"",@progbits
; Kernel info:
; codeLenInByte = 15076
; TotalNumSgprs: 31
; NumVgprs: 65
; ScratchSize: 0
; MemoryBound: 0
; FloatMode: 240
; IeeeMode: 1
; LDSByteSize: 18504 bytes/workgroup (compile time only)
; SGPRBlocks: 0
; VGPRBlocks: 4
; NumSGPRsForWavesPerEU: 31
; NumVGPRsForWavesPerEU: 65
; NamedBarCnt: 0
; Occupancy: 12
; WaveLimiterHint : 1
; COMPUTE_PGM_RSRC2:SCRATCH_EN: 0
; COMPUTE_PGM_RSRC2:USER_SGPR: 2
; COMPUTE_PGM_RSRC2:TRAP_HANDLER: 0
; COMPUTE_PGM_RSRC2:TGID_X_EN: 1
; COMPUTE_PGM_RSRC2:TGID_Y_EN: 0
; COMPUTE_PGM_RSRC2:TGID_Z_EN: 0
; COMPUTE_PGM_RSRC2:TIDIG_COMP_CNT: 2
	.section	.text._ZN7rocprim17ROCPRIM_400000_NS6detail17trampoline_kernelINS0_14default_configENS1_35radix_sort_onesweep_config_selectorIjNS0_10empty_typeEEEZZNS1_29radix_sort_onesweep_iterationIS3_Lb0EPKjPjPS5_SB_mNS0_19identity_decomposerENS1_16block_id_wrapperIjLb0EEEEE10hipError_tT1_PNSt15iterator_traitsISG_E10value_typeET2_T3_PNSH_ISM_E10value_typeET4_T5_PSR_SS_PNS1_23onesweep_lookback_stateEbbT6_jjT7_P12ihipStream_tbENKUlT_T0_SG_SL_E_clISA_SA_SB_SB_EEDaSZ_S10_SG_SL_EUlSZ_E_NS1_11comp_targetILNS1_3genE6ELNS1_11target_archE950ELNS1_3gpuE13ELNS1_3repE0EEENS1_47radix_sort_onesweep_sort_config_static_selectorELNS0_4arch9wavefront6targetE0EEEvSG_,"axG",@progbits,_ZN7rocprim17ROCPRIM_400000_NS6detail17trampoline_kernelINS0_14default_configENS1_35radix_sort_onesweep_config_selectorIjNS0_10empty_typeEEEZZNS1_29radix_sort_onesweep_iterationIS3_Lb0EPKjPjPS5_SB_mNS0_19identity_decomposerENS1_16block_id_wrapperIjLb0EEEEE10hipError_tT1_PNSt15iterator_traitsISG_E10value_typeET2_T3_PNSH_ISM_E10value_typeET4_T5_PSR_SS_PNS1_23onesweep_lookback_stateEbbT6_jjT7_P12ihipStream_tbENKUlT_T0_SG_SL_E_clISA_SA_SB_SB_EEDaSZ_S10_SG_SL_EUlSZ_E_NS1_11comp_targetILNS1_3genE6ELNS1_11target_archE950ELNS1_3gpuE13ELNS1_3repE0EEENS1_47radix_sort_onesweep_sort_config_static_selectorELNS0_4arch9wavefront6targetE0EEEvSG_,comdat
	.protected	_ZN7rocprim17ROCPRIM_400000_NS6detail17trampoline_kernelINS0_14default_configENS1_35radix_sort_onesweep_config_selectorIjNS0_10empty_typeEEEZZNS1_29radix_sort_onesweep_iterationIS3_Lb0EPKjPjPS5_SB_mNS0_19identity_decomposerENS1_16block_id_wrapperIjLb0EEEEE10hipError_tT1_PNSt15iterator_traitsISG_E10value_typeET2_T3_PNSH_ISM_E10value_typeET4_T5_PSR_SS_PNS1_23onesweep_lookback_stateEbbT6_jjT7_P12ihipStream_tbENKUlT_T0_SG_SL_E_clISA_SA_SB_SB_EEDaSZ_S10_SG_SL_EUlSZ_E_NS1_11comp_targetILNS1_3genE6ELNS1_11target_archE950ELNS1_3gpuE13ELNS1_3repE0EEENS1_47radix_sort_onesweep_sort_config_static_selectorELNS0_4arch9wavefront6targetE0EEEvSG_ ; -- Begin function _ZN7rocprim17ROCPRIM_400000_NS6detail17trampoline_kernelINS0_14default_configENS1_35radix_sort_onesweep_config_selectorIjNS0_10empty_typeEEEZZNS1_29radix_sort_onesweep_iterationIS3_Lb0EPKjPjPS5_SB_mNS0_19identity_decomposerENS1_16block_id_wrapperIjLb0EEEEE10hipError_tT1_PNSt15iterator_traitsISG_E10value_typeET2_T3_PNSH_ISM_E10value_typeET4_T5_PSR_SS_PNS1_23onesweep_lookback_stateEbbT6_jjT7_P12ihipStream_tbENKUlT_T0_SG_SL_E_clISA_SA_SB_SB_EEDaSZ_S10_SG_SL_EUlSZ_E_NS1_11comp_targetILNS1_3genE6ELNS1_11target_archE950ELNS1_3gpuE13ELNS1_3repE0EEENS1_47radix_sort_onesweep_sort_config_static_selectorELNS0_4arch9wavefront6targetE0EEEvSG_
	.globl	_ZN7rocprim17ROCPRIM_400000_NS6detail17trampoline_kernelINS0_14default_configENS1_35radix_sort_onesweep_config_selectorIjNS0_10empty_typeEEEZZNS1_29radix_sort_onesweep_iterationIS3_Lb0EPKjPjPS5_SB_mNS0_19identity_decomposerENS1_16block_id_wrapperIjLb0EEEEE10hipError_tT1_PNSt15iterator_traitsISG_E10value_typeET2_T3_PNSH_ISM_E10value_typeET4_T5_PSR_SS_PNS1_23onesweep_lookback_stateEbbT6_jjT7_P12ihipStream_tbENKUlT_T0_SG_SL_E_clISA_SA_SB_SB_EEDaSZ_S10_SG_SL_EUlSZ_E_NS1_11comp_targetILNS1_3genE6ELNS1_11target_archE950ELNS1_3gpuE13ELNS1_3repE0EEENS1_47radix_sort_onesweep_sort_config_static_selectorELNS0_4arch9wavefront6targetE0EEEvSG_
	.p2align	8
	.type	_ZN7rocprim17ROCPRIM_400000_NS6detail17trampoline_kernelINS0_14default_configENS1_35radix_sort_onesweep_config_selectorIjNS0_10empty_typeEEEZZNS1_29radix_sort_onesweep_iterationIS3_Lb0EPKjPjPS5_SB_mNS0_19identity_decomposerENS1_16block_id_wrapperIjLb0EEEEE10hipError_tT1_PNSt15iterator_traitsISG_E10value_typeET2_T3_PNSH_ISM_E10value_typeET4_T5_PSR_SS_PNS1_23onesweep_lookback_stateEbbT6_jjT7_P12ihipStream_tbENKUlT_T0_SG_SL_E_clISA_SA_SB_SB_EEDaSZ_S10_SG_SL_EUlSZ_E_NS1_11comp_targetILNS1_3genE6ELNS1_11target_archE950ELNS1_3gpuE13ELNS1_3repE0EEENS1_47radix_sort_onesweep_sort_config_static_selectorELNS0_4arch9wavefront6targetE0EEEvSG_,@function
_ZN7rocprim17ROCPRIM_400000_NS6detail17trampoline_kernelINS0_14default_configENS1_35radix_sort_onesweep_config_selectorIjNS0_10empty_typeEEEZZNS1_29radix_sort_onesweep_iterationIS3_Lb0EPKjPjPS5_SB_mNS0_19identity_decomposerENS1_16block_id_wrapperIjLb0EEEEE10hipError_tT1_PNSt15iterator_traitsISG_E10value_typeET2_T3_PNSH_ISM_E10value_typeET4_T5_PSR_SS_PNS1_23onesweep_lookback_stateEbbT6_jjT7_P12ihipStream_tbENKUlT_T0_SG_SL_E_clISA_SA_SB_SB_EEDaSZ_S10_SG_SL_EUlSZ_E_NS1_11comp_targetILNS1_3genE6ELNS1_11target_archE950ELNS1_3gpuE13ELNS1_3repE0EEENS1_47radix_sort_onesweep_sort_config_static_selectorELNS0_4arch9wavefront6targetE0EEEvSG_: ; @_ZN7rocprim17ROCPRIM_400000_NS6detail17trampoline_kernelINS0_14default_configENS1_35radix_sort_onesweep_config_selectorIjNS0_10empty_typeEEEZZNS1_29radix_sort_onesweep_iterationIS3_Lb0EPKjPjPS5_SB_mNS0_19identity_decomposerENS1_16block_id_wrapperIjLb0EEEEE10hipError_tT1_PNSt15iterator_traitsISG_E10value_typeET2_T3_PNSH_ISM_E10value_typeET4_T5_PSR_SS_PNS1_23onesweep_lookback_stateEbbT6_jjT7_P12ihipStream_tbENKUlT_T0_SG_SL_E_clISA_SA_SB_SB_EEDaSZ_S10_SG_SL_EUlSZ_E_NS1_11comp_targetILNS1_3genE6ELNS1_11target_archE950ELNS1_3gpuE13ELNS1_3repE0EEENS1_47radix_sort_onesweep_sort_config_static_selectorELNS0_4arch9wavefront6targetE0EEEvSG_
; %bb.0:
	.section	.rodata,"a",@progbits
	.p2align	6, 0x0
	.amdhsa_kernel _ZN7rocprim17ROCPRIM_400000_NS6detail17trampoline_kernelINS0_14default_configENS1_35radix_sort_onesweep_config_selectorIjNS0_10empty_typeEEEZZNS1_29radix_sort_onesweep_iterationIS3_Lb0EPKjPjPS5_SB_mNS0_19identity_decomposerENS1_16block_id_wrapperIjLb0EEEEE10hipError_tT1_PNSt15iterator_traitsISG_E10value_typeET2_T3_PNSH_ISM_E10value_typeET4_T5_PSR_SS_PNS1_23onesweep_lookback_stateEbbT6_jjT7_P12ihipStream_tbENKUlT_T0_SG_SL_E_clISA_SA_SB_SB_EEDaSZ_S10_SG_SL_EUlSZ_E_NS1_11comp_targetILNS1_3genE6ELNS1_11target_archE950ELNS1_3gpuE13ELNS1_3repE0EEENS1_47radix_sort_onesweep_sort_config_static_selectorELNS0_4arch9wavefront6targetE0EEEvSG_
		.amdhsa_group_segment_fixed_size 0
		.amdhsa_private_segment_fixed_size 0
		.amdhsa_kernarg_size 88
		.amdhsa_user_sgpr_count 2
		.amdhsa_user_sgpr_dispatch_ptr 0
		.amdhsa_user_sgpr_queue_ptr 0
		.amdhsa_user_sgpr_kernarg_segment_ptr 1
		.amdhsa_user_sgpr_dispatch_id 0
		.amdhsa_user_sgpr_kernarg_preload_length 0
		.amdhsa_user_sgpr_kernarg_preload_offset 0
		.amdhsa_user_sgpr_private_segment_size 0
		.amdhsa_wavefront_size32 1
		.amdhsa_uses_dynamic_stack 0
		.amdhsa_enable_private_segment 0
		.amdhsa_system_sgpr_workgroup_id_x 1
		.amdhsa_system_sgpr_workgroup_id_y 0
		.amdhsa_system_sgpr_workgroup_id_z 0
		.amdhsa_system_sgpr_workgroup_info 0
		.amdhsa_system_vgpr_workitem_id 0
		.amdhsa_next_free_vgpr 1
		.amdhsa_next_free_sgpr 1
		.amdhsa_named_barrier_count 0
		.amdhsa_reserve_vcc 0
		.amdhsa_float_round_mode_32 0
		.amdhsa_float_round_mode_16_64 0
		.amdhsa_float_denorm_mode_32 3
		.amdhsa_float_denorm_mode_16_64 3
		.amdhsa_fp16_overflow 0
		.amdhsa_memory_ordered 1
		.amdhsa_forward_progress 1
		.amdhsa_inst_pref_size 0
		.amdhsa_round_robin_scheduling 0
		.amdhsa_exception_fp_ieee_invalid_op 0
		.amdhsa_exception_fp_denorm_src 0
		.amdhsa_exception_fp_ieee_div_zero 0
		.amdhsa_exception_fp_ieee_overflow 0
		.amdhsa_exception_fp_ieee_underflow 0
		.amdhsa_exception_fp_ieee_inexact 0
		.amdhsa_exception_int_div_zero 0
	.end_amdhsa_kernel
	.section	.text._ZN7rocprim17ROCPRIM_400000_NS6detail17trampoline_kernelINS0_14default_configENS1_35radix_sort_onesweep_config_selectorIjNS0_10empty_typeEEEZZNS1_29radix_sort_onesweep_iterationIS3_Lb0EPKjPjPS5_SB_mNS0_19identity_decomposerENS1_16block_id_wrapperIjLb0EEEEE10hipError_tT1_PNSt15iterator_traitsISG_E10value_typeET2_T3_PNSH_ISM_E10value_typeET4_T5_PSR_SS_PNS1_23onesweep_lookback_stateEbbT6_jjT7_P12ihipStream_tbENKUlT_T0_SG_SL_E_clISA_SA_SB_SB_EEDaSZ_S10_SG_SL_EUlSZ_E_NS1_11comp_targetILNS1_3genE6ELNS1_11target_archE950ELNS1_3gpuE13ELNS1_3repE0EEENS1_47radix_sort_onesweep_sort_config_static_selectorELNS0_4arch9wavefront6targetE0EEEvSG_,"axG",@progbits,_ZN7rocprim17ROCPRIM_400000_NS6detail17trampoline_kernelINS0_14default_configENS1_35radix_sort_onesweep_config_selectorIjNS0_10empty_typeEEEZZNS1_29radix_sort_onesweep_iterationIS3_Lb0EPKjPjPS5_SB_mNS0_19identity_decomposerENS1_16block_id_wrapperIjLb0EEEEE10hipError_tT1_PNSt15iterator_traitsISG_E10value_typeET2_T3_PNSH_ISM_E10value_typeET4_T5_PSR_SS_PNS1_23onesweep_lookback_stateEbbT6_jjT7_P12ihipStream_tbENKUlT_T0_SG_SL_E_clISA_SA_SB_SB_EEDaSZ_S10_SG_SL_EUlSZ_E_NS1_11comp_targetILNS1_3genE6ELNS1_11target_archE950ELNS1_3gpuE13ELNS1_3repE0EEENS1_47radix_sort_onesweep_sort_config_static_selectorELNS0_4arch9wavefront6targetE0EEEvSG_,comdat
.Lfunc_end2772:
	.size	_ZN7rocprim17ROCPRIM_400000_NS6detail17trampoline_kernelINS0_14default_configENS1_35radix_sort_onesweep_config_selectorIjNS0_10empty_typeEEEZZNS1_29radix_sort_onesweep_iterationIS3_Lb0EPKjPjPS5_SB_mNS0_19identity_decomposerENS1_16block_id_wrapperIjLb0EEEEE10hipError_tT1_PNSt15iterator_traitsISG_E10value_typeET2_T3_PNSH_ISM_E10value_typeET4_T5_PSR_SS_PNS1_23onesweep_lookback_stateEbbT6_jjT7_P12ihipStream_tbENKUlT_T0_SG_SL_E_clISA_SA_SB_SB_EEDaSZ_S10_SG_SL_EUlSZ_E_NS1_11comp_targetILNS1_3genE6ELNS1_11target_archE950ELNS1_3gpuE13ELNS1_3repE0EEENS1_47radix_sort_onesweep_sort_config_static_selectorELNS0_4arch9wavefront6targetE0EEEvSG_, .Lfunc_end2772-_ZN7rocprim17ROCPRIM_400000_NS6detail17trampoline_kernelINS0_14default_configENS1_35radix_sort_onesweep_config_selectorIjNS0_10empty_typeEEEZZNS1_29radix_sort_onesweep_iterationIS3_Lb0EPKjPjPS5_SB_mNS0_19identity_decomposerENS1_16block_id_wrapperIjLb0EEEEE10hipError_tT1_PNSt15iterator_traitsISG_E10value_typeET2_T3_PNSH_ISM_E10value_typeET4_T5_PSR_SS_PNS1_23onesweep_lookback_stateEbbT6_jjT7_P12ihipStream_tbENKUlT_T0_SG_SL_E_clISA_SA_SB_SB_EEDaSZ_S10_SG_SL_EUlSZ_E_NS1_11comp_targetILNS1_3genE6ELNS1_11target_archE950ELNS1_3gpuE13ELNS1_3repE0EEENS1_47radix_sort_onesweep_sort_config_static_selectorELNS0_4arch9wavefront6targetE0EEEvSG_
                                        ; -- End function
	.set _ZN7rocprim17ROCPRIM_400000_NS6detail17trampoline_kernelINS0_14default_configENS1_35radix_sort_onesweep_config_selectorIjNS0_10empty_typeEEEZZNS1_29radix_sort_onesweep_iterationIS3_Lb0EPKjPjPS5_SB_mNS0_19identity_decomposerENS1_16block_id_wrapperIjLb0EEEEE10hipError_tT1_PNSt15iterator_traitsISG_E10value_typeET2_T3_PNSH_ISM_E10value_typeET4_T5_PSR_SS_PNS1_23onesweep_lookback_stateEbbT6_jjT7_P12ihipStream_tbENKUlT_T0_SG_SL_E_clISA_SA_SB_SB_EEDaSZ_S10_SG_SL_EUlSZ_E_NS1_11comp_targetILNS1_3genE6ELNS1_11target_archE950ELNS1_3gpuE13ELNS1_3repE0EEENS1_47radix_sort_onesweep_sort_config_static_selectorELNS0_4arch9wavefront6targetE0EEEvSG_.num_vgpr, 0
	.set _ZN7rocprim17ROCPRIM_400000_NS6detail17trampoline_kernelINS0_14default_configENS1_35radix_sort_onesweep_config_selectorIjNS0_10empty_typeEEEZZNS1_29radix_sort_onesweep_iterationIS3_Lb0EPKjPjPS5_SB_mNS0_19identity_decomposerENS1_16block_id_wrapperIjLb0EEEEE10hipError_tT1_PNSt15iterator_traitsISG_E10value_typeET2_T3_PNSH_ISM_E10value_typeET4_T5_PSR_SS_PNS1_23onesweep_lookback_stateEbbT6_jjT7_P12ihipStream_tbENKUlT_T0_SG_SL_E_clISA_SA_SB_SB_EEDaSZ_S10_SG_SL_EUlSZ_E_NS1_11comp_targetILNS1_3genE6ELNS1_11target_archE950ELNS1_3gpuE13ELNS1_3repE0EEENS1_47radix_sort_onesweep_sort_config_static_selectorELNS0_4arch9wavefront6targetE0EEEvSG_.num_agpr, 0
	.set _ZN7rocprim17ROCPRIM_400000_NS6detail17trampoline_kernelINS0_14default_configENS1_35radix_sort_onesweep_config_selectorIjNS0_10empty_typeEEEZZNS1_29radix_sort_onesweep_iterationIS3_Lb0EPKjPjPS5_SB_mNS0_19identity_decomposerENS1_16block_id_wrapperIjLb0EEEEE10hipError_tT1_PNSt15iterator_traitsISG_E10value_typeET2_T3_PNSH_ISM_E10value_typeET4_T5_PSR_SS_PNS1_23onesweep_lookback_stateEbbT6_jjT7_P12ihipStream_tbENKUlT_T0_SG_SL_E_clISA_SA_SB_SB_EEDaSZ_S10_SG_SL_EUlSZ_E_NS1_11comp_targetILNS1_3genE6ELNS1_11target_archE950ELNS1_3gpuE13ELNS1_3repE0EEENS1_47radix_sort_onesweep_sort_config_static_selectorELNS0_4arch9wavefront6targetE0EEEvSG_.numbered_sgpr, 0
	.set _ZN7rocprim17ROCPRIM_400000_NS6detail17trampoline_kernelINS0_14default_configENS1_35radix_sort_onesweep_config_selectorIjNS0_10empty_typeEEEZZNS1_29radix_sort_onesweep_iterationIS3_Lb0EPKjPjPS5_SB_mNS0_19identity_decomposerENS1_16block_id_wrapperIjLb0EEEEE10hipError_tT1_PNSt15iterator_traitsISG_E10value_typeET2_T3_PNSH_ISM_E10value_typeET4_T5_PSR_SS_PNS1_23onesweep_lookback_stateEbbT6_jjT7_P12ihipStream_tbENKUlT_T0_SG_SL_E_clISA_SA_SB_SB_EEDaSZ_S10_SG_SL_EUlSZ_E_NS1_11comp_targetILNS1_3genE6ELNS1_11target_archE950ELNS1_3gpuE13ELNS1_3repE0EEENS1_47radix_sort_onesweep_sort_config_static_selectorELNS0_4arch9wavefront6targetE0EEEvSG_.num_named_barrier, 0
	.set _ZN7rocprim17ROCPRIM_400000_NS6detail17trampoline_kernelINS0_14default_configENS1_35radix_sort_onesweep_config_selectorIjNS0_10empty_typeEEEZZNS1_29radix_sort_onesweep_iterationIS3_Lb0EPKjPjPS5_SB_mNS0_19identity_decomposerENS1_16block_id_wrapperIjLb0EEEEE10hipError_tT1_PNSt15iterator_traitsISG_E10value_typeET2_T3_PNSH_ISM_E10value_typeET4_T5_PSR_SS_PNS1_23onesweep_lookback_stateEbbT6_jjT7_P12ihipStream_tbENKUlT_T0_SG_SL_E_clISA_SA_SB_SB_EEDaSZ_S10_SG_SL_EUlSZ_E_NS1_11comp_targetILNS1_3genE6ELNS1_11target_archE950ELNS1_3gpuE13ELNS1_3repE0EEENS1_47radix_sort_onesweep_sort_config_static_selectorELNS0_4arch9wavefront6targetE0EEEvSG_.private_seg_size, 0
	.set _ZN7rocprim17ROCPRIM_400000_NS6detail17trampoline_kernelINS0_14default_configENS1_35radix_sort_onesweep_config_selectorIjNS0_10empty_typeEEEZZNS1_29radix_sort_onesweep_iterationIS3_Lb0EPKjPjPS5_SB_mNS0_19identity_decomposerENS1_16block_id_wrapperIjLb0EEEEE10hipError_tT1_PNSt15iterator_traitsISG_E10value_typeET2_T3_PNSH_ISM_E10value_typeET4_T5_PSR_SS_PNS1_23onesweep_lookback_stateEbbT6_jjT7_P12ihipStream_tbENKUlT_T0_SG_SL_E_clISA_SA_SB_SB_EEDaSZ_S10_SG_SL_EUlSZ_E_NS1_11comp_targetILNS1_3genE6ELNS1_11target_archE950ELNS1_3gpuE13ELNS1_3repE0EEENS1_47radix_sort_onesweep_sort_config_static_selectorELNS0_4arch9wavefront6targetE0EEEvSG_.uses_vcc, 0
	.set _ZN7rocprim17ROCPRIM_400000_NS6detail17trampoline_kernelINS0_14default_configENS1_35radix_sort_onesweep_config_selectorIjNS0_10empty_typeEEEZZNS1_29radix_sort_onesweep_iterationIS3_Lb0EPKjPjPS5_SB_mNS0_19identity_decomposerENS1_16block_id_wrapperIjLb0EEEEE10hipError_tT1_PNSt15iterator_traitsISG_E10value_typeET2_T3_PNSH_ISM_E10value_typeET4_T5_PSR_SS_PNS1_23onesweep_lookback_stateEbbT6_jjT7_P12ihipStream_tbENKUlT_T0_SG_SL_E_clISA_SA_SB_SB_EEDaSZ_S10_SG_SL_EUlSZ_E_NS1_11comp_targetILNS1_3genE6ELNS1_11target_archE950ELNS1_3gpuE13ELNS1_3repE0EEENS1_47radix_sort_onesweep_sort_config_static_selectorELNS0_4arch9wavefront6targetE0EEEvSG_.uses_flat_scratch, 0
	.set _ZN7rocprim17ROCPRIM_400000_NS6detail17trampoline_kernelINS0_14default_configENS1_35radix_sort_onesweep_config_selectorIjNS0_10empty_typeEEEZZNS1_29radix_sort_onesweep_iterationIS3_Lb0EPKjPjPS5_SB_mNS0_19identity_decomposerENS1_16block_id_wrapperIjLb0EEEEE10hipError_tT1_PNSt15iterator_traitsISG_E10value_typeET2_T3_PNSH_ISM_E10value_typeET4_T5_PSR_SS_PNS1_23onesweep_lookback_stateEbbT6_jjT7_P12ihipStream_tbENKUlT_T0_SG_SL_E_clISA_SA_SB_SB_EEDaSZ_S10_SG_SL_EUlSZ_E_NS1_11comp_targetILNS1_3genE6ELNS1_11target_archE950ELNS1_3gpuE13ELNS1_3repE0EEENS1_47radix_sort_onesweep_sort_config_static_selectorELNS0_4arch9wavefront6targetE0EEEvSG_.has_dyn_sized_stack, 0
	.set _ZN7rocprim17ROCPRIM_400000_NS6detail17trampoline_kernelINS0_14default_configENS1_35radix_sort_onesweep_config_selectorIjNS0_10empty_typeEEEZZNS1_29radix_sort_onesweep_iterationIS3_Lb0EPKjPjPS5_SB_mNS0_19identity_decomposerENS1_16block_id_wrapperIjLb0EEEEE10hipError_tT1_PNSt15iterator_traitsISG_E10value_typeET2_T3_PNSH_ISM_E10value_typeET4_T5_PSR_SS_PNS1_23onesweep_lookback_stateEbbT6_jjT7_P12ihipStream_tbENKUlT_T0_SG_SL_E_clISA_SA_SB_SB_EEDaSZ_S10_SG_SL_EUlSZ_E_NS1_11comp_targetILNS1_3genE6ELNS1_11target_archE950ELNS1_3gpuE13ELNS1_3repE0EEENS1_47radix_sort_onesweep_sort_config_static_selectorELNS0_4arch9wavefront6targetE0EEEvSG_.has_recursion, 0
	.set _ZN7rocprim17ROCPRIM_400000_NS6detail17trampoline_kernelINS0_14default_configENS1_35radix_sort_onesweep_config_selectorIjNS0_10empty_typeEEEZZNS1_29radix_sort_onesweep_iterationIS3_Lb0EPKjPjPS5_SB_mNS0_19identity_decomposerENS1_16block_id_wrapperIjLb0EEEEE10hipError_tT1_PNSt15iterator_traitsISG_E10value_typeET2_T3_PNSH_ISM_E10value_typeET4_T5_PSR_SS_PNS1_23onesweep_lookback_stateEbbT6_jjT7_P12ihipStream_tbENKUlT_T0_SG_SL_E_clISA_SA_SB_SB_EEDaSZ_S10_SG_SL_EUlSZ_E_NS1_11comp_targetILNS1_3genE6ELNS1_11target_archE950ELNS1_3gpuE13ELNS1_3repE0EEENS1_47radix_sort_onesweep_sort_config_static_selectorELNS0_4arch9wavefront6targetE0EEEvSG_.has_indirect_call, 0
	.section	.AMDGPU.csdata,"",@progbits
; Kernel info:
; codeLenInByte = 0
; TotalNumSgprs: 0
; NumVgprs: 0
; ScratchSize: 0
; MemoryBound: 0
; FloatMode: 240
; IeeeMode: 1
; LDSByteSize: 0 bytes/workgroup (compile time only)
; SGPRBlocks: 0
; VGPRBlocks: 0
; NumSGPRsForWavesPerEU: 1
; NumVGPRsForWavesPerEU: 1
; NamedBarCnt: 0
; Occupancy: 16
; WaveLimiterHint : 0
; COMPUTE_PGM_RSRC2:SCRATCH_EN: 0
; COMPUTE_PGM_RSRC2:USER_SGPR: 2
; COMPUTE_PGM_RSRC2:TRAP_HANDLER: 0
; COMPUTE_PGM_RSRC2:TGID_X_EN: 1
; COMPUTE_PGM_RSRC2:TGID_Y_EN: 0
; COMPUTE_PGM_RSRC2:TGID_Z_EN: 0
; COMPUTE_PGM_RSRC2:TIDIG_COMP_CNT: 0
	.section	.text._ZN7rocprim17ROCPRIM_400000_NS6detail17trampoline_kernelINS0_14default_configENS1_35radix_sort_onesweep_config_selectorIjNS0_10empty_typeEEEZZNS1_29radix_sort_onesweep_iterationIS3_Lb0EPKjPjPS5_SB_mNS0_19identity_decomposerENS1_16block_id_wrapperIjLb0EEEEE10hipError_tT1_PNSt15iterator_traitsISG_E10value_typeET2_T3_PNSH_ISM_E10value_typeET4_T5_PSR_SS_PNS1_23onesweep_lookback_stateEbbT6_jjT7_P12ihipStream_tbENKUlT_T0_SG_SL_E_clISA_SA_SB_SB_EEDaSZ_S10_SG_SL_EUlSZ_E_NS1_11comp_targetILNS1_3genE5ELNS1_11target_archE942ELNS1_3gpuE9ELNS1_3repE0EEENS1_47radix_sort_onesweep_sort_config_static_selectorELNS0_4arch9wavefront6targetE0EEEvSG_,"axG",@progbits,_ZN7rocprim17ROCPRIM_400000_NS6detail17trampoline_kernelINS0_14default_configENS1_35radix_sort_onesweep_config_selectorIjNS0_10empty_typeEEEZZNS1_29radix_sort_onesweep_iterationIS3_Lb0EPKjPjPS5_SB_mNS0_19identity_decomposerENS1_16block_id_wrapperIjLb0EEEEE10hipError_tT1_PNSt15iterator_traitsISG_E10value_typeET2_T3_PNSH_ISM_E10value_typeET4_T5_PSR_SS_PNS1_23onesweep_lookback_stateEbbT6_jjT7_P12ihipStream_tbENKUlT_T0_SG_SL_E_clISA_SA_SB_SB_EEDaSZ_S10_SG_SL_EUlSZ_E_NS1_11comp_targetILNS1_3genE5ELNS1_11target_archE942ELNS1_3gpuE9ELNS1_3repE0EEENS1_47radix_sort_onesweep_sort_config_static_selectorELNS0_4arch9wavefront6targetE0EEEvSG_,comdat
	.protected	_ZN7rocprim17ROCPRIM_400000_NS6detail17trampoline_kernelINS0_14default_configENS1_35radix_sort_onesweep_config_selectorIjNS0_10empty_typeEEEZZNS1_29radix_sort_onesweep_iterationIS3_Lb0EPKjPjPS5_SB_mNS0_19identity_decomposerENS1_16block_id_wrapperIjLb0EEEEE10hipError_tT1_PNSt15iterator_traitsISG_E10value_typeET2_T3_PNSH_ISM_E10value_typeET4_T5_PSR_SS_PNS1_23onesweep_lookback_stateEbbT6_jjT7_P12ihipStream_tbENKUlT_T0_SG_SL_E_clISA_SA_SB_SB_EEDaSZ_S10_SG_SL_EUlSZ_E_NS1_11comp_targetILNS1_3genE5ELNS1_11target_archE942ELNS1_3gpuE9ELNS1_3repE0EEENS1_47radix_sort_onesweep_sort_config_static_selectorELNS0_4arch9wavefront6targetE0EEEvSG_ ; -- Begin function _ZN7rocprim17ROCPRIM_400000_NS6detail17trampoline_kernelINS0_14default_configENS1_35radix_sort_onesweep_config_selectorIjNS0_10empty_typeEEEZZNS1_29radix_sort_onesweep_iterationIS3_Lb0EPKjPjPS5_SB_mNS0_19identity_decomposerENS1_16block_id_wrapperIjLb0EEEEE10hipError_tT1_PNSt15iterator_traitsISG_E10value_typeET2_T3_PNSH_ISM_E10value_typeET4_T5_PSR_SS_PNS1_23onesweep_lookback_stateEbbT6_jjT7_P12ihipStream_tbENKUlT_T0_SG_SL_E_clISA_SA_SB_SB_EEDaSZ_S10_SG_SL_EUlSZ_E_NS1_11comp_targetILNS1_3genE5ELNS1_11target_archE942ELNS1_3gpuE9ELNS1_3repE0EEENS1_47radix_sort_onesweep_sort_config_static_selectorELNS0_4arch9wavefront6targetE0EEEvSG_
	.globl	_ZN7rocprim17ROCPRIM_400000_NS6detail17trampoline_kernelINS0_14default_configENS1_35radix_sort_onesweep_config_selectorIjNS0_10empty_typeEEEZZNS1_29radix_sort_onesweep_iterationIS3_Lb0EPKjPjPS5_SB_mNS0_19identity_decomposerENS1_16block_id_wrapperIjLb0EEEEE10hipError_tT1_PNSt15iterator_traitsISG_E10value_typeET2_T3_PNSH_ISM_E10value_typeET4_T5_PSR_SS_PNS1_23onesweep_lookback_stateEbbT6_jjT7_P12ihipStream_tbENKUlT_T0_SG_SL_E_clISA_SA_SB_SB_EEDaSZ_S10_SG_SL_EUlSZ_E_NS1_11comp_targetILNS1_3genE5ELNS1_11target_archE942ELNS1_3gpuE9ELNS1_3repE0EEENS1_47radix_sort_onesweep_sort_config_static_selectorELNS0_4arch9wavefront6targetE0EEEvSG_
	.p2align	8
	.type	_ZN7rocprim17ROCPRIM_400000_NS6detail17trampoline_kernelINS0_14default_configENS1_35radix_sort_onesweep_config_selectorIjNS0_10empty_typeEEEZZNS1_29radix_sort_onesweep_iterationIS3_Lb0EPKjPjPS5_SB_mNS0_19identity_decomposerENS1_16block_id_wrapperIjLb0EEEEE10hipError_tT1_PNSt15iterator_traitsISG_E10value_typeET2_T3_PNSH_ISM_E10value_typeET4_T5_PSR_SS_PNS1_23onesweep_lookback_stateEbbT6_jjT7_P12ihipStream_tbENKUlT_T0_SG_SL_E_clISA_SA_SB_SB_EEDaSZ_S10_SG_SL_EUlSZ_E_NS1_11comp_targetILNS1_3genE5ELNS1_11target_archE942ELNS1_3gpuE9ELNS1_3repE0EEENS1_47radix_sort_onesweep_sort_config_static_selectorELNS0_4arch9wavefront6targetE0EEEvSG_,@function
_ZN7rocprim17ROCPRIM_400000_NS6detail17trampoline_kernelINS0_14default_configENS1_35radix_sort_onesweep_config_selectorIjNS0_10empty_typeEEEZZNS1_29radix_sort_onesweep_iterationIS3_Lb0EPKjPjPS5_SB_mNS0_19identity_decomposerENS1_16block_id_wrapperIjLb0EEEEE10hipError_tT1_PNSt15iterator_traitsISG_E10value_typeET2_T3_PNSH_ISM_E10value_typeET4_T5_PSR_SS_PNS1_23onesweep_lookback_stateEbbT6_jjT7_P12ihipStream_tbENKUlT_T0_SG_SL_E_clISA_SA_SB_SB_EEDaSZ_S10_SG_SL_EUlSZ_E_NS1_11comp_targetILNS1_3genE5ELNS1_11target_archE942ELNS1_3gpuE9ELNS1_3repE0EEENS1_47radix_sort_onesweep_sort_config_static_selectorELNS0_4arch9wavefront6targetE0EEEvSG_: ; @_ZN7rocprim17ROCPRIM_400000_NS6detail17trampoline_kernelINS0_14default_configENS1_35radix_sort_onesweep_config_selectorIjNS0_10empty_typeEEEZZNS1_29radix_sort_onesweep_iterationIS3_Lb0EPKjPjPS5_SB_mNS0_19identity_decomposerENS1_16block_id_wrapperIjLb0EEEEE10hipError_tT1_PNSt15iterator_traitsISG_E10value_typeET2_T3_PNSH_ISM_E10value_typeET4_T5_PSR_SS_PNS1_23onesweep_lookback_stateEbbT6_jjT7_P12ihipStream_tbENKUlT_T0_SG_SL_E_clISA_SA_SB_SB_EEDaSZ_S10_SG_SL_EUlSZ_E_NS1_11comp_targetILNS1_3genE5ELNS1_11target_archE942ELNS1_3gpuE9ELNS1_3repE0EEENS1_47radix_sort_onesweep_sort_config_static_selectorELNS0_4arch9wavefront6targetE0EEEvSG_
; %bb.0:
	.section	.rodata,"a",@progbits
	.p2align	6, 0x0
	.amdhsa_kernel _ZN7rocprim17ROCPRIM_400000_NS6detail17trampoline_kernelINS0_14default_configENS1_35radix_sort_onesweep_config_selectorIjNS0_10empty_typeEEEZZNS1_29radix_sort_onesweep_iterationIS3_Lb0EPKjPjPS5_SB_mNS0_19identity_decomposerENS1_16block_id_wrapperIjLb0EEEEE10hipError_tT1_PNSt15iterator_traitsISG_E10value_typeET2_T3_PNSH_ISM_E10value_typeET4_T5_PSR_SS_PNS1_23onesweep_lookback_stateEbbT6_jjT7_P12ihipStream_tbENKUlT_T0_SG_SL_E_clISA_SA_SB_SB_EEDaSZ_S10_SG_SL_EUlSZ_E_NS1_11comp_targetILNS1_3genE5ELNS1_11target_archE942ELNS1_3gpuE9ELNS1_3repE0EEENS1_47radix_sort_onesweep_sort_config_static_selectorELNS0_4arch9wavefront6targetE0EEEvSG_
		.amdhsa_group_segment_fixed_size 0
		.amdhsa_private_segment_fixed_size 0
		.amdhsa_kernarg_size 88
		.amdhsa_user_sgpr_count 2
		.amdhsa_user_sgpr_dispatch_ptr 0
		.amdhsa_user_sgpr_queue_ptr 0
		.amdhsa_user_sgpr_kernarg_segment_ptr 1
		.amdhsa_user_sgpr_dispatch_id 0
		.amdhsa_user_sgpr_kernarg_preload_length 0
		.amdhsa_user_sgpr_kernarg_preload_offset 0
		.amdhsa_user_sgpr_private_segment_size 0
		.amdhsa_wavefront_size32 1
		.amdhsa_uses_dynamic_stack 0
		.amdhsa_enable_private_segment 0
		.amdhsa_system_sgpr_workgroup_id_x 1
		.amdhsa_system_sgpr_workgroup_id_y 0
		.amdhsa_system_sgpr_workgroup_id_z 0
		.amdhsa_system_sgpr_workgroup_info 0
		.amdhsa_system_vgpr_workitem_id 0
		.amdhsa_next_free_vgpr 1
		.amdhsa_next_free_sgpr 1
		.amdhsa_named_barrier_count 0
		.amdhsa_reserve_vcc 0
		.amdhsa_float_round_mode_32 0
		.amdhsa_float_round_mode_16_64 0
		.amdhsa_float_denorm_mode_32 3
		.amdhsa_float_denorm_mode_16_64 3
		.amdhsa_fp16_overflow 0
		.amdhsa_memory_ordered 1
		.amdhsa_forward_progress 1
		.amdhsa_inst_pref_size 0
		.amdhsa_round_robin_scheduling 0
		.amdhsa_exception_fp_ieee_invalid_op 0
		.amdhsa_exception_fp_denorm_src 0
		.amdhsa_exception_fp_ieee_div_zero 0
		.amdhsa_exception_fp_ieee_overflow 0
		.amdhsa_exception_fp_ieee_underflow 0
		.amdhsa_exception_fp_ieee_inexact 0
		.amdhsa_exception_int_div_zero 0
	.end_amdhsa_kernel
	.section	.text._ZN7rocprim17ROCPRIM_400000_NS6detail17trampoline_kernelINS0_14default_configENS1_35radix_sort_onesweep_config_selectorIjNS0_10empty_typeEEEZZNS1_29radix_sort_onesweep_iterationIS3_Lb0EPKjPjPS5_SB_mNS0_19identity_decomposerENS1_16block_id_wrapperIjLb0EEEEE10hipError_tT1_PNSt15iterator_traitsISG_E10value_typeET2_T3_PNSH_ISM_E10value_typeET4_T5_PSR_SS_PNS1_23onesweep_lookback_stateEbbT6_jjT7_P12ihipStream_tbENKUlT_T0_SG_SL_E_clISA_SA_SB_SB_EEDaSZ_S10_SG_SL_EUlSZ_E_NS1_11comp_targetILNS1_3genE5ELNS1_11target_archE942ELNS1_3gpuE9ELNS1_3repE0EEENS1_47radix_sort_onesweep_sort_config_static_selectorELNS0_4arch9wavefront6targetE0EEEvSG_,"axG",@progbits,_ZN7rocprim17ROCPRIM_400000_NS6detail17trampoline_kernelINS0_14default_configENS1_35radix_sort_onesweep_config_selectorIjNS0_10empty_typeEEEZZNS1_29radix_sort_onesweep_iterationIS3_Lb0EPKjPjPS5_SB_mNS0_19identity_decomposerENS1_16block_id_wrapperIjLb0EEEEE10hipError_tT1_PNSt15iterator_traitsISG_E10value_typeET2_T3_PNSH_ISM_E10value_typeET4_T5_PSR_SS_PNS1_23onesweep_lookback_stateEbbT6_jjT7_P12ihipStream_tbENKUlT_T0_SG_SL_E_clISA_SA_SB_SB_EEDaSZ_S10_SG_SL_EUlSZ_E_NS1_11comp_targetILNS1_3genE5ELNS1_11target_archE942ELNS1_3gpuE9ELNS1_3repE0EEENS1_47radix_sort_onesweep_sort_config_static_selectorELNS0_4arch9wavefront6targetE0EEEvSG_,comdat
.Lfunc_end2773:
	.size	_ZN7rocprim17ROCPRIM_400000_NS6detail17trampoline_kernelINS0_14default_configENS1_35radix_sort_onesweep_config_selectorIjNS0_10empty_typeEEEZZNS1_29radix_sort_onesweep_iterationIS3_Lb0EPKjPjPS5_SB_mNS0_19identity_decomposerENS1_16block_id_wrapperIjLb0EEEEE10hipError_tT1_PNSt15iterator_traitsISG_E10value_typeET2_T3_PNSH_ISM_E10value_typeET4_T5_PSR_SS_PNS1_23onesweep_lookback_stateEbbT6_jjT7_P12ihipStream_tbENKUlT_T0_SG_SL_E_clISA_SA_SB_SB_EEDaSZ_S10_SG_SL_EUlSZ_E_NS1_11comp_targetILNS1_3genE5ELNS1_11target_archE942ELNS1_3gpuE9ELNS1_3repE0EEENS1_47radix_sort_onesweep_sort_config_static_selectorELNS0_4arch9wavefront6targetE0EEEvSG_, .Lfunc_end2773-_ZN7rocprim17ROCPRIM_400000_NS6detail17trampoline_kernelINS0_14default_configENS1_35radix_sort_onesweep_config_selectorIjNS0_10empty_typeEEEZZNS1_29radix_sort_onesweep_iterationIS3_Lb0EPKjPjPS5_SB_mNS0_19identity_decomposerENS1_16block_id_wrapperIjLb0EEEEE10hipError_tT1_PNSt15iterator_traitsISG_E10value_typeET2_T3_PNSH_ISM_E10value_typeET4_T5_PSR_SS_PNS1_23onesweep_lookback_stateEbbT6_jjT7_P12ihipStream_tbENKUlT_T0_SG_SL_E_clISA_SA_SB_SB_EEDaSZ_S10_SG_SL_EUlSZ_E_NS1_11comp_targetILNS1_3genE5ELNS1_11target_archE942ELNS1_3gpuE9ELNS1_3repE0EEENS1_47radix_sort_onesweep_sort_config_static_selectorELNS0_4arch9wavefront6targetE0EEEvSG_
                                        ; -- End function
	.set _ZN7rocprim17ROCPRIM_400000_NS6detail17trampoline_kernelINS0_14default_configENS1_35radix_sort_onesweep_config_selectorIjNS0_10empty_typeEEEZZNS1_29radix_sort_onesweep_iterationIS3_Lb0EPKjPjPS5_SB_mNS0_19identity_decomposerENS1_16block_id_wrapperIjLb0EEEEE10hipError_tT1_PNSt15iterator_traitsISG_E10value_typeET2_T3_PNSH_ISM_E10value_typeET4_T5_PSR_SS_PNS1_23onesweep_lookback_stateEbbT6_jjT7_P12ihipStream_tbENKUlT_T0_SG_SL_E_clISA_SA_SB_SB_EEDaSZ_S10_SG_SL_EUlSZ_E_NS1_11comp_targetILNS1_3genE5ELNS1_11target_archE942ELNS1_3gpuE9ELNS1_3repE0EEENS1_47radix_sort_onesweep_sort_config_static_selectorELNS0_4arch9wavefront6targetE0EEEvSG_.num_vgpr, 0
	.set _ZN7rocprim17ROCPRIM_400000_NS6detail17trampoline_kernelINS0_14default_configENS1_35radix_sort_onesweep_config_selectorIjNS0_10empty_typeEEEZZNS1_29radix_sort_onesweep_iterationIS3_Lb0EPKjPjPS5_SB_mNS0_19identity_decomposerENS1_16block_id_wrapperIjLb0EEEEE10hipError_tT1_PNSt15iterator_traitsISG_E10value_typeET2_T3_PNSH_ISM_E10value_typeET4_T5_PSR_SS_PNS1_23onesweep_lookback_stateEbbT6_jjT7_P12ihipStream_tbENKUlT_T0_SG_SL_E_clISA_SA_SB_SB_EEDaSZ_S10_SG_SL_EUlSZ_E_NS1_11comp_targetILNS1_3genE5ELNS1_11target_archE942ELNS1_3gpuE9ELNS1_3repE0EEENS1_47radix_sort_onesweep_sort_config_static_selectorELNS0_4arch9wavefront6targetE0EEEvSG_.num_agpr, 0
	.set _ZN7rocprim17ROCPRIM_400000_NS6detail17trampoline_kernelINS0_14default_configENS1_35radix_sort_onesweep_config_selectorIjNS0_10empty_typeEEEZZNS1_29radix_sort_onesweep_iterationIS3_Lb0EPKjPjPS5_SB_mNS0_19identity_decomposerENS1_16block_id_wrapperIjLb0EEEEE10hipError_tT1_PNSt15iterator_traitsISG_E10value_typeET2_T3_PNSH_ISM_E10value_typeET4_T5_PSR_SS_PNS1_23onesweep_lookback_stateEbbT6_jjT7_P12ihipStream_tbENKUlT_T0_SG_SL_E_clISA_SA_SB_SB_EEDaSZ_S10_SG_SL_EUlSZ_E_NS1_11comp_targetILNS1_3genE5ELNS1_11target_archE942ELNS1_3gpuE9ELNS1_3repE0EEENS1_47radix_sort_onesweep_sort_config_static_selectorELNS0_4arch9wavefront6targetE0EEEvSG_.numbered_sgpr, 0
	.set _ZN7rocprim17ROCPRIM_400000_NS6detail17trampoline_kernelINS0_14default_configENS1_35radix_sort_onesweep_config_selectorIjNS0_10empty_typeEEEZZNS1_29radix_sort_onesweep_iterationIS3_Lb0EPKjPjPS5_SB_mNS0_19identity_decomposerENS1_16block_id_wrapperIjLb0EEEEE10hipError_tT1_PNSt15iterator_traitsISG_E10value_typeET2_T3_PNSH_ISM_E10value_typeET4_T5_PSR_SS_PNS1_23onesweep_lookback_stateEbbT6_jjT7_P12ihipStream_tbENKUlT_T0_SG_SL_E_clISA_SA_SB_SB_EEDaSZ_S10_SG_SL_EUlSZ_E_NS1_11comp_targetILNS1_3genE5ELNS1_11target_archE942ELNS1_3gpuE9ELNS1_3repE0EEENS1_47radix_sort_onesweep_sort_config_static_selectorELNS0_4arch9wavefront6targetE0EEEvSG_.num_named_barrier, 0
	.set _ZN7rocprim17ROCPRIM_400000_NS6detail17trampoline_kernelINS0_14default_configENS1_35radix_sort_onesweep_config_selectorIjNS0_10empty_typeEEEZZNS1_29radix_sort_onesweep_iterationIS3_Lb0EPKjPjPS5_SB_mNS0_19identity_decomposerENS1_16block_id_wrapperIjLb0EEEEE10hipError_tT1_PNSt15iterator_traitsISG_E10value_typeET2_T3_PNSH_ISM_E10value_typeET4_T5_PSR_SS_PNS1_23onesweep_lookback_stateEbbT6_jjT7_P12ihipStream_tbENKUlT_T0_SG_SL_E_clISA_SA_SB_SB_EEDaSZ_S10_SG_SL_EUlSZ_E_NS1_11comp_targetILNS1_3genE5ELNS1_11target_archE942ELNS1_3gpuE9ELNS1_3repE0EEENS1_47radix_sort_onesweep_sort_config_static_selectorELNS0_4arch9wavefront6targetE0EEEvSG_.private_seg_size, 0
	.set _ZN7rocprim17ROCPRIM_400000_NS6detail17trampoline_kernelINS0_14default_configENS1_35radix_sort_onesweep_config_selectorIjNS0_10empty_typeEEEZZNS1_29radix_sort_onesweep_iterationIS3_Lb0EPKjPjPS5_SB_mNS0_19identity_decomposerENS1_16block_id_wrapperIjLb0EEEEE10hipError_tT1_PNSt15iterator_traitsISG_E10value_typeET2_T3_PNSH_ISM_E10value_typeET4_T5_PSR_SS_PNS1_23onesweep_lookback_stateEbbT6_jjT7_P12ihipStream_tbENKUlT_T0_SG_SL_E_clISA_SA_SB_SB_EEDaSZ_S10_SG_SL_EUlSZ_E_NS1_11comp_targetILNS1_3genE5ELNS1_11target_archE942ELNS1_3gpuE9ELNS1_3repE0EEENS1_47radix_sort_onesweep_sort_config_static_selectorELNS0_4arch9wavefront6targetE0EEEvSG_.uses_vcc, 0
	.set _ZN7rocprim17ROCPRIM_400000_NS6detail17trampoline_kernelINS0_14default_configENS1_35radix_sort_onesweep_config_selectorIjNS0_10empty_typeEEEZZNS1_29radix_sort_onesweep_iterationIS3_Lb0EPKjPjPS5_SB_mNS0_19identity_decomposerENS1_16block_id_wrapperIjLb0EEEEE10hipError_tT1_PNSt15iterator_traitsISG_E10value_typeET2_T3_PNSH_ISM_E10value_typeET4_T5_PSR_SS_PNS1_23onesweep_lookback_stateEbbT6_jjT7_P12ihipStream_tbENKUlT_T0_SG_SL_E_clISA_SA_SB_SB_EEDaSZ_S10_SG_SL_EUlSZ_E_NS1_11comp_targetILNS1_3genE5ELNS1_11target_archE942ELNS1_3gpuE9ELNS1_3repE0EEENS1_47radix_sort_onesweep_sort_config_static_selectorELNS0_4arch9wavefront6targetE0EEEvSG_.uses_flat_scratch, 0
	.set _ZN7rocprim17ROCPRIM_400000_NS6detail17trampoline_kernelINS0_14default_configENS1_35radix_sort_onesweep_config_selectorIjNS0_10empty_typeEEEZZNS1_29radix_sort_onesweep_iterationIS3_Lb0EPKjPjPS5_SB_mNS0_19identity_decomposerENS1_16block_id_wrapperIjLb0EEEEE10hipError_tT1_PNSt15iterator_traitsISG_E10value_typeET2_T3_PNSH_ISM_E10value_typeET4_T5_PSR_SS_PNS1_23onesweep_lookback_stateEbbT6_jjT7_P12ihipStream_tbENKUlT_T0_SG_SL_E_clISA_SA_SB_SB_EEDaSZ_S10_SG_SL_EUlSZ_E_NS1_11comp_targetILNS1_3genE5ELNS1_11target_archE942ELNS1_3gpuE9ELNS1_3repE0EEENS1_47radix_sort_onesweep_sort_config_static_selectorELNS0_4arch9wavefront6targetE0EEEvSG_.has_dyn_sized_stack, 0
	.set _ZN7rocprim17ROCPRIM_400000_NS6detail17trampoline_kernelINS0_14default_configENS1_35radix_sort_onesweep_config_selectorIjNS0_10empty_typeEEEZZNS1_29radix_sort_onesweep_iterationIS3_Lb0EPKjPjPS5_SB_mNS0_19identity_decomposerENS1_16block_id_wrapperIjLb0EEEEE10hipError_tT1_PNSt15iterator_traitsISG_E10value_typeET2_T3_PNSH_ISM_E10value_typeET4_T5_PSR_SS_PNS1_23onesweep_lookback_stateEbbT6_jjT7_P12ihipStream_tbENKUlT_T0_SG_SL_E_clISA_SA_SB_SB_EEDaSZ_S10_SG_SL_EUlSZ_E_NS1_11comp_targetILNS1_3genE5ELNS1_11target_archE942ELNS1_3gpuE9ELNS1_3repE0EEENS1_47radix_sort_onesweep_sort_config_static_selectorELNS0_4arch9wavefront6targetE0EEEvSG_.has_recursion, 0
	.set _ZN7rocprim17ROCPRIM_400000_NS6detail17trampoline_kernelINS0_14default_configENS1_35radix_sort_onesweep_config_selectorIjNS0_10empty_typeEEEZZNS1_29radix_sort_onesweep_iterationIS3_Lb0EPKjPjPS5_SB_mNS0_19identity_decomposerENS1_16block_id_wrapperIjLb0EEEEE10hipError_tT1_PNSt15iterator_traitsISG_E10value_typeET2_T3_PNSH_ISM_E10value_typeET4_T5_PSR_SS_PNS1_23onesweep_lookback_stateEbbT6_jjT7_P12ihipStream_tbENKUlT_T0_SG_SL_E_clISA_SA_SB_SB_EEDaSZ_S10_SG_SL_EUlSZ_E_NS1_11comp_targetILNS1_3genE5ELNS1_11target_archE942ELNS1_3gpuE9ELNS1_3repE0EEENS1_47radix_sort_onesweep_sort_config_static_selectorELNS0_4arch9wavefront6targetE0EEEvSG_.has_indirect_call, 0
	.section	.AMDGPU.csdata,"",@progbits
; Kernel info:
; codeLenInByte = 0
; TotalNumSgprs: 0
; NumVgprs: 0
; ScratchSize: 0
; MemoryBound: 0
; FloatMode: 240
; IeeeMode: 1
; LDSByteSize: 0 bytes/workgroup (compile time only)
; SGPRBlocks: 0
; VGPRBlocks: 0
; NumSGPRsForWavesPerEU: 1
; NumVGPRsForWavesPerEU: 1
; NamedBarCnt: 0
; Occupancy: 16
; WaveLimiterHint : 0
; COMPUTE_PGM_RSRC2:SCRATCH_EN: 0
; COMPUTE_PGM_RSRC2:USER_SGPR: 2
; COMPUTE_PGM_RSRC2:TRAP_HANDLER: 0
; COMPUTE_PGM_RSRC2:TGID_X_EN: 1
; COMPUTE_PGM_RSRC2:TGID_Y_EN: 0
; COMPUTE_PGM_RSRC2:TGID_Z_EN: 0
; COMPUTE_PGM_RSRC2:TIDIG_COMP_CNT: 0
	.section	.text._ZN7rocprim17ROCPRIM_400000_NS6detail17trampoline_kernelINS0_14default_configENS1_35radix_sort_onesweep_config_selectorIjNS0_10empty_typeEEEZZNS1_29radix_sort_onesweep_iterationIS3_Lb0EPKjPjPS5_SB_mNS0_19identity_decomposerENS1_16block_id_wrapperIjLb0EEEEE10hipError_tT1_PNSt15iterator_traitsISG_E10value_typeET2_T3_PNSH_ISM_E10value_typeET4_T5_PSR_SS_PNS1_23onesweep_lookback_stateEbbT6_jjT7_P12ihipStream_tbENKUlT_T0_SG_SL_E_clISA_SA_SB_SB_EEDaSZ_S10_SG_SL_EUlSZ_E_NS1_11comp_targetILNS1_3genE2ELNS1_11target_archE906ELNS1_3gpuE6ELNS1_3repE0EEENS1_47radix_sort_onesweep_sort_config_static_selectorELNS0_4arch9wavefront6targetE0EEEvSG_,"axG",@progbits,_ZN7rocprim17ROCPRIM_400000_NS6detail17trampoline_kernelINS0_14default_configENS1_35radix_sort_onesweep_config_selectorIjNS0_10empty_typeEEEZZNS1_29radix_sort_onesweep_iterationIS3_Lb0EPKjPjPS5_SB_mNS0_19identity_decomposerENS1_16block_id_wrapperIjLb0EEEEE10hipError_tT1_PNSt15iterator_traitsISG_E10value_typeET2_T3_PNSH_ISM_E10value_typeET4_T5_PSR_SS_PNS1_23onesweep_lookback_stateEbbT6_jjT7_P12ihipStream_tbENKUlT_T0_SG_SL_E_clISA_SA_SB_SB_EEDaSZ_S10_SG_SL_EUlSZ_E_NS1_11comp_targetILNS1_3genE2ELNS1_11target_archE906ELNS1_3gpuE6ELNS1_3repE0EEENS1_47radix_sort_onesweep_sort_config_static_selectorELNS0_4arch9wavefront6targetE0EEEvSG_,comdat
	.protected	_ZN7rocprim17ROCPRIM_400000_NS6detail17trampoline_kernelINS0_14default_configENS1_35radix_sort_onesweep_config_selectorIjNS0_10empty_typeEEEZZNS1_29radix_sort_onesweep_iterationIS3_Lb0EPKjPjPS5_SB_mNS0_19identity_decomposerENS1_16block_id_wrapperIjLb0EEEEE10hipError_tT1_PNSt15iterator_traitsISG_E10value_typeET2_T3_PNSH_ISM_E10value_typeET4_T5_PSR_SS_PNS1_23onesweep_lookback_stateEbbT6_jjT7_P12ihipStream_tbENKUlT_T0_SG_SL_E_clISA_SA_SB_SB_EEDaSZ_S10_SG_SL_EUlSZ_E_NS1_11comp_targetILNS1_3genE2ELNS1_11target_archE906ELNS1_3gpuE6ELNS1_3repE0EEENS1_47radix_sort_onesweep_sort_config_static_selectorELNS0_4arch9wavefront6targetE0EEEvSG_ ; -- Begin function _ZN7rocprim17ROCPRIM_400000_NS6detail17trampoline_kernelINS0_14default_configENS1_35radix_sort_onesweep_config_selectorIjNS0_10empty_typeEEEZZNS1_29radix_sort_onesweep_iterationIS3_Lb0EPKjPjPS5_SB_mNS0_19identity_decomposerENS1_16block_id_wrapperIjLb0EEEEE10hipError_tT1_PNSt15iterator_traitsISG_E10value_typeET2_T3_PNSH_ISM_E10value_typeET4_T5_PSR_SS_PNS1_23onesweep_lookback_stateEbbT6_jjT7_P12ihipStream_tbENKUlT_T0_SG_SL_E_clISA_SA_SB_SB_EEDaSZ_S10_SG_SL_EUlSZ_E_NS1_11comp_targetILNS1_3genE2ELNS1_11target_archE906ELNS1_3gpuE6ELNS1_3repE0EEENS1_47radix_sort_onesweep_sort_config_static_selectorELNS0_4arch9wavefront6targetE0EEEvSG_
	.globl	_ZN7rocprim17ROCPRIM_400000_NS6detail17trampoline_kernelINS0_14default_configENS1_35radix_sort_onesweep_config_selectorIjNS0_10empty_typeEEEZZNS1_29radix_sort_onesweep_iterationIS3_Lb0EPKjPjPS5_SB_mNS0_19identity_decomposerENS1_16block_id_wrapperIjLb0EEEEE10hipError_tT1_PNSt15iterator_traitsISG_E10value_typeET2_T3_PNSH_ISM_E10value_typeET4_T5_PSR_SS_PNS1_23onesweep_lookback_stateEbbT6_jjT7_P12ihipStream_tbENKUlT_T0_SG_SL_E_clISA_SA_SB_SB_EEDaSZ_S10_SG_SL_EUlSZ_E_NS1_11comp_targetILNS1_3genE2ELNS1_11target_archE906ELNS1_3gpuE6ELNS1_3repE0EEENS1_47radix_sort_onesweep_sort_config_static_selectorELNS0_4arch9wavefront6targetE0EEEvSG_
	.p2align	8
	.type	_ZN7rocprim17ROCPRIM_400000_NS6detail17trampoline_kernelINS0_14default_configENS1_35radix_sort_onesweep_config_selectorIjNS0_10empty_typeEEEZZNS1_29radix_sort_onesweep_iterationIS3_Lb0EPKjPjPS5_SB_mNS0_19identity_decomposerENS1_16block_id_wrapperIjLb0EEEEE10hipError_tT1_PNSt15iterator_traitsISG_E10value_typeET2_T3_PNSH_ISM_E10value_typeET4_T5_PSR_SS_PNS1_23onesweep_lookback_stateEbbT6_jjT7_P12ihipStream_tbENKUlT_T0_SG_SL_E_clISA_SA_SB_SB_EEDaSZ_S10_SG_SL_EUlSZ_E_NS1_11comp_targetILNS1_3genE2ELNS1_11target_archE906ELNS1_3gpuE6ELNS1_3repE0EEENS1_47radix_sort_onesweep_sort_config_static_selectorELNS0_4arch9wavefront6targetE0EEEvSG_,@function
_ZN7rocprim17ROCPRIM_400000_NS6detail17trampoline_kernelINS0_14default_configENS1_35radix_sort_onesweep_config_selectorIjNS0_10empty_typeEEEZZNS1_29radix_sort_onesweep_iterationIS3_Lb0EPKjPjPS5_SB_mNS0_19identity_decomposerENS1_16block_id_wrapperIjLb0EEEEE10hipError_tT1_PNSt15iterator_traitsISG_E10value_typeET2_T3_PNSH_ISM_E10value_typeET4_T5_PSR_SS_PNS1_23onesweep_lookback_stateEbbT6_jjT7_P12ihipStream_tbENKUlT_T0_SG_SL_E_clISA_SA_SB_SB_EEDaSZ_S10_SG_SL_EUlSZ_E_NS1_11comp_targetILNS1_3genE2ELNS1_11target_archE906ELNS1_3gpuE6ELNS1_3repE0EEENS1_47radix_sort_onesweep_sort_config_static_selectorELNS0_4arch9wavefront6targetE0EEEvSG_: ; @_ZN7rocprim17ROCPRIM_400000_NS6detail17trampoline_kernelINS0_14default_configENS1_35radix_sort_onesweep_config_selectorIjNS0_10empty_typeEEEZZNS1_29radix_sort_onesweep_iterationIS3_Lb0EPKjPjPS5_SB_mNS0_19identity_decomposerENS1_16block_id_wrapperIjLb0EEEEE10hipError_tT1_PNSt15iterator_traitsISG_E10value_typeET2_T3_PNSH_ISM_E10value_typeET4_T5_PSR_SS_PNS1_23onesweep_lookback_stateEbbT6_jjT7_P12ihipStream_tbENKUlT_T0_SG_SL_E_clISA_SA_SB_SB_EEDaSZ_S10_SG_SL_EUlSZ_E_NS1_11comp_targetILNS1_3genE2ELNS1_11target_archE906ELNS1_3gpuE6ELNS1_3repE0EEENS1_47radix_sort_onesweep_sort_config_static_selectorELNS0_4arch9wavefront6targetE0EEEvSG_
; %bb.0:
	.section	.rodata,"a",@progbits
	.p2align	6, 0x0
	.amdhsa_kernel _ZN7rocprim17ROCPRIM_400000_NS6detail17trampoline_kernelINS0_14default_configENS1_35radix_sort_onesweep_config_selectorIjNS0_10empty_typeEEEZZNS1_29radix_sort_onesweep_iterationIS3_Lb0EPKjPjPS5_SB_mNS0_19identity_decomposerENS1_16block_id_wrapperIjLb0EEEEE10hipError_tT1_PNSt15iterator_traitsISG_E10value_typeET2_T3_PNSH_ISM_E10value_typeET4_T5_PSR_SS_PNS1_23onesweep_lookback_stateEbbT6_jjT7_P12ihipStream_tbENKUlT_T0_SG_SL_E_clISA_SA_SB_SB_EEDaSZ_S10_SG_SL_EUlSZ_E_NS1_11comp_targetILNS1_3genE2ELNS1_11target_archE906ELNS1_3gpuE6ELNS1_3repE0EEENS1_47radix_sort_onesweep_sort_config_static_selectorELNS0_4arch9wavefront6targetE0EEEvSG_
		.amdhsa_group_segment_fixed_size 0
		.amdhsa_private_segment_fixed_size 0
		.amdhsa_kernarg_size 88
		.amdhsa_user_sgpr_count 2
		.amdhsa_user_sgpr_dispatch_ptr 0
		.amdhsa_user_sgpr_queue_ptr 0
		.amdhsa_user_sgpr_kernarg_segment_ptr 1
		.amdhsa_user_sgpr_dispatch_id 0
		.amdhsa_user_sgpr_kernarg_preload_length 0
		.amdhsa_user_sgpr_kernarg_preload_offset 0
		.amdhsa_user_sgpr_private_segment_size 0
		.amdhsa_wavefront_size32 1
		.amdhsa_uses_dynamic_stack 0
		.amdhsa_enable_private_segment 0
		.amdhsa_system_sgpr_workgroup_id_x 1
		.amdhsa_system_sgpr_workgroup_id_y 0
		.amdhsa_system_sgpr_workgroup_id_z 0
		.amdhsa_system_sgpr_workgroup_info 0
		.amdhsa_system_vgpr_workitem_id 0
		.amdhsa_next_free_vgpr 1
		.amdhsa_next_free_sgpr 1
		.amdhsa_named_barrier_count 0
		.amdhsa_reserve_vcc 0
		.amdhsa_float_round_mode_32 0
		.amdhsa_float_round_mode_16_64 0
		.amdhsa_float_denorm_mode_32 3
		.amdhsa_float_denorm_mode_16_64 3
		.amdhsa_fp16_overflow 0
		.amdhsa_memory_ordered 1
		.amdhsa_forward_progress 1
		.amdhsa_inst_pref_size 0
		.amdhsa_round_robin_scheduling 0
		.amdhsa_exception_fp_ieee_invalid_op 0
		.amdhsa_exception_fp_denorm_src 0
		.amdhsa_exception_fp_ieee_div_zero 0
		.amdhsa_exception_fp_ieee_overflow 0
		.amdhsa_exception_fp_ieee_underflow 0
		.amdhsa_exception_fp_ieee_inexact 0
		.amdhsa_exception_int_div_zero 0
	.end_amdhsa_kernel
	.section	.text._ZN7rocprim17ROCPRIM_400000_NS6detail17trampoline_kernelINS0_14default_configENS1_35radix_sort_onesweep_config_selectorIjNS0_10empty_typeEEEZZNS1_29radix_sort_onesweep_iterationIS3_Lb0EPKjPjPS5_SB_mNS0_19identity_decomposerENS1_16block_id_wrapperIjLb0EEEEE10hipError_tT1_PNSt15iterator_traitsISG_E10value_typeET2_T3_PNSH_ISM_E10value_typeET4_T5_PSR_SS_PNS1_23onesweep_lookback_stateEbbT6_jjT7_P12ihipStream_tbENKUlT_T0_SG_SL_E_clISA_SA_SB_SB_EEDaSZ_S10_SG_SL_EUlSZ_E_NS1_11comp_targetILNS1_3genE2ELNS1_11target_archE906ELNS1_3gpuE6ELNS1_3repE0EEENS1_47radix_sort_onesweep_sort_config_static_selectorELNS0_4arch9wavefront6targetE0EEEvSG_,"axG",@progbits,_ZN7rocprim17ROCPRIM_400000_NS6detail17trampoline_kernelINS0_14default_configENS1_35radix_sort_onesweep_config_selectorIjNS0_10empty_typeEEEZZNS1_29radix_sort_onesweep_iterationIS3_Lb0EPKjPjPS5_SB_mNS0_19identity_decomposerENS1_16block_id_wrapperIjLb0EEEEE10hipError_tT1_PNSt15iterator_traitsISG_E10value_typeET2_T3_PNSH_ISM_E10value_typeET4_T5_PSR_SS_PNS1_23onesweep_lookback_stateEbbT6_jjT7_P12ihipStream_tbENKUlT_T0_SG_SL_E_clISA_SA_SB_SB_EEDaSZ_S10_SG_SL_EUlSZ_E_NS1_11comp_targetILNS1_3genE2ELNS1_11target_archE906ELNS1_3gpuE6ELNS1_3repE0EEENS1_47radix_sort_onesweep_sort_config_static_selectorELNS0_4arch9wavefront6targetE0EEEvSG_,comdat
.Lfunc_end2774:
	.size	_ZN7rocprim17ROCPRIM_400000_NS6detail17trampoline_kernelINS0_14default_configENS1_35radix_sort_onesweep_config_selectorIjNS0_10empty_typeEEEZZNS1_29radix_sort_onesweep_iterationIS3_Lb0EPKjPjPS5_SB_mNS0_19identity_decomposerENS1_16block_id_wrapperIjLb0EEEEE10hipError_tT1_PNSt15iterator_traitsISG_E10value_typeET2_T3_PNSH_ISM_E10value_typeET4_T5_PSR_SS_PNS1_23onesweep_lookback_stateEbbT6_jjT7_P12ihipStream_tbENKUlT_T0_SG_SL_E_clISA_SA_SB_SB_EEDaSZ_S10_SG_SL_EUlSZ_E_NS1_11comp_targetILNS1_3genE2ELNS1_11target_archE906ELNS1_3gpuE6ELNS1_3repE0EEENS1_47radix_sort_onesweep_sort_config_static_selectorELNS0_4arch9wavefront6targetE0EEEvSG_, .Lfunc_end2774-_ZN7rocprim17ROCPRIM_400000_NS6detail17trampoline_kernelINS0_14default_configENS1_35radix_sort_onesweep_config_selectorIjNS0_10empty_typeEEEZZNS1_29radix_sort_onesweep_iterationIS3_Lb0EPKjPjPS5_SB_mNS0_19identity_decomposerENS1_16block_id_wrapperIjLb0EEEEE10hipError_tT1_PNSt15iterator_traitsISG_E10value_typeET2_T3_PNSH_ISM_E10value_typeET4_T5_PSR_SS_PNS1_23onesweep_lookback_stateEbbT6_jjT7_P12ihipStream_tbENKUlT_T0_SG_SL_E_clISA_SA_SB_SB_EEDaSZ_S10_SG_SL_EUlSZ_E_NS1_11comp_targetILNS1_3genE2ELNS1_11target_archE906ELNS1_3gpuE6ELNS1_3repE0EEENS1_47radix_sort_onesweep_sort_config_static_selectorELNS0_4arch9wavefront6targetE0EEEvSG_
                                        ; -- End function
	.set _ZN7rocprim17ROCPRIM_400000_NS6detail17trampoline_kernelINS0_14default_configENS1_35radix_sort_onesweep_config_selectorIjNS0_10empty_typeEEEZZNS1_29radix_sort_onesweep_iterationIS3_Lb0EPKjPjPS5_SB_mNS0_19identity_decomposerENS1_16block_id_wrapperIjLb0EEEEE10hipError_tT1_PNSt15iterator_traitsISG_E10value_typeET2_T3_PNSH_ISM_E10value_typeET4_T5_PSR_SS_PNS1_23onesweep_lookback_stateEbbT6_jjT7_P12ihipStream_tbENKUlT_T0_SG_SL_E_clISA_SA_SB_SB_EEDaSZ_S10_SG_SL_EUlSZ_E_NS1_11comp_targetILNS1_3genE2ELNS1_11target_archE906ELNS1_3gpuE6ELNS1_3repE0EEENS1_47radix_sort_onesweep_sort_config_static_selectorELNS0_4arch9wavefront6targetE0EEEvSG_.num_vgpr, 0
	.set _ZN7rocprim17ROCPRIM_400000_NS6detail17trampoline_kernelINS0_14default_configENS1_35radix_sort_onesweep_config_selectorIjNS0_10empty_typeEEEZZNS1_29radix_sort_onesweep_iterationIS3_Lb0EPKjPjPS5_SB_mNS0_19identity_decomposerENS1_16block_id_wrapperIjLb0EEEEE10hipError_tT1_PNSt15iterator_traitsISG_E10value_typeET2_T3_PNSH_ISM_E10value_typeET4_T5_PSR_SS_PNS1_23onesweep_lookback_stateEbbT6_jjT7_P12ihipStream_tbENKUlT_T0_SG_SL_E_clISA_SA_SB_SB_EEDaSZ_S10_SG_SL_EUlSZ_E_NS1_11comp_targetILNS1_3genE2ELNS1_11target_archE906ELNS1_3gpuE6ELNS1_3repE0EEENS1_47radix_sort_onesweep_sort_config_static_selectorELNS0_4arch9wavefront6targetE0EEEvSG_.num_agpr, 0
	.set _ZN7rocprim17ROCPRIM_400000_NS6detail17trampoline_kernelINS0_14default_configENS1_35radix_sort_onesweep_config_selectorIjNS0_10empty_typeEEEZZNS1_29radix_sort_onesweep_iterationIS3_Lb0EPKjPjPS5_SB_mNS0_19identity_decomposerENS1_16block_id_wrapperIjLb0EEEEE10hipError_tT1_PNSt15iterator_traitsISG_E10value_typeET2_T3_PNSH_ISM_E10value_typeET4_T5_PSR_SS_PNS1_23onesweep_lookback_stateEbbT6_jjT7_P12ihipStream_tbENKUlT_T0_SG_SL_E_clISA_SA_SB_SB_EEDaSZ_S10_SG_SL_EUlSZ_E_NS1_11comp_targetILNS1_3genE2ELNS1_11target_archE906ELNS1_3gpuE6ELNS1_3repE0EEENS1_47radix_sort_onesweep_sort_config_static_selectorELNS0_4arch9wavefront6targetE0EEEvSG_.numbered_sgpr, 0
	.set _ZN7rocprim17ROCPRIM_400000_NS6detail17trampoline_kernelINS0_14default_configENS1_35radix_sort_onesweep_config_selectorIjNS0_10empty_typeEEEZZNS1_29radix_sort_onesweep_iterationIS3_Lb0EPKjPjPS5_SB_mNS0_19identity_decomposerENS1_16block_id_wrapperIjLb0EEEEE10hipError_tT1_PNSt15iterator_traitsISG_E10value_typeET2_T3_PNSH_ISM_E10value_typeET4_T5_PSR_SS_PNS1_23onesweep_lookback_stateEbbT6_jjT7_P12ihipStream_tbENKUlT_T0_SG_SL_E_clISA_SA_SB_SB_EEDaSZ_S10_SG_SL_EUlSZ_E_NS1_11comp_targetILNS1_3genE2ELNS1_11target_archE906ELNS1_3gpuE6ELNS1_3repE0EEENS1_47radix_sort_onesweep_sort_config_static_selectorELNS0_4arch9wavefront6targetE0EEEvSG_.num_named_barrier, 0
	.set _ZN7rocprim17ROCPRIM_400000_NS6detail17trampoline_kernelINS0_14default_configENS1_35radix_sort_onesweep_config_selectorIjNS0_10empty_typeEEEZZNS1_29radix_sort_onesweep_iterationIS3_Lb0EPKjPjPS5_SB_mNS0_19identity_decomposerENS1_16block_id_wrapperIjLb0EEEEE10hipError_tT1_PNSt15iterator_traitsISG_E10value_typeET2_T3_PNSH_ISM_E10value_typeET4_T5_PSR_SS_PNS1_23onesweep_lookback_stateEbbT6_jjT7_P12ihipStream_tbENKUlT_T0_SG_SL_E_clISA_SA_SB_SB_EEDaSZ_S10_SG_SL_EUlSZ_E_NS1_11comp_targetILNS1_3genE2ELNS1_11target_archE906ELNS1_3gpuE6ELNS1_3repE0EEENS1_47radix_sort_onesweep_sort_config_static_selectorELNS0_4arch9wavefront6targetE0EEEvSG_.private_seg_size, 0
	.set _ZN7rocprim17ROCPRIM_400000_NS6detail17trampoline_kernelINS0_14default_configENS1_35radix_sort_onesweep_config_selectorIjNS0_10empty_typeEEEZZNS1_29radix_sort_onesweep_iterationIS3_Lb0EPKjPjPS5_SB_mNS0_19identity_decomposerENS1_16block_id_wrapperIjLb0EEEEE10hipError_tT1_PNSt15iterator_traitsISG_E10value_typeET2_T3_PNSH_ISM_E10value_typeET4_T5_PSR_SS_PNS1_23onesweep_lookback_stateEbbT6_jjT7_P12ihipStream_tbENKUlT_T0_SG_SL_E_clISA_SA_SB_SB_EEDaSZ_S10_SG_SL_EUlSZ_E_NS1_11comp_targetILNS1_3genE2ELNS1_11target_archE906ELNS1_3gpuE6ELNS1_3repE0EEENS1_47radix_sort_onesweep_sort_config_static_selectorELNS0_4arch9wavefront6targetE0EEEvSG_.uses_vcc, 0
	.set _ZN7rocprim17ROCPRIM_400000_NS6detail17trampoline_kernelINS0_14default_configENS1_35radix_sort_onesweep_config_selectorIjNS0_10empty_typeEEEZZNS1_29radix_sort_onesweep_iterationIS3_Lb0EPKjPjPS5_SB_mNS0_19identity_decomposerENS1_16block_id_wrapperIjLb0EEEEE10hipError_tT1_PNSt15iterator_traitsISG_E10value_typeET2_T3_PNSH_ISM_E10value_typeET4_T5_PSR_SS_PNS1_23onesweep_lookback_stateEbbT6_jjT7_P12ihipStream_tbENKUlT_T0_SG_SL_E_clISA_SA_SB_SB_EEDaSZ_S10_SG_SL_EUlSZ_E_NS1_11comp_targetILNS1_3genE2ELNS1_11target_archE906ELNS1_3gpuE6ELNS1_3repE0EEENS1_47radix_sort_onesweep_sort_config_static_selectorELNS0_4arch9wavefront6targetE0EEEvSG_.uses_flat_scratch, 0
	.set _ZN7rocprim17ROCPRIM_400000_NS6detail17trampoline_kernelINS0_14default_configENS1_35radix_sort_onesweep_config_selectorIjNS0_10empty_typeEEEZZNS1_29radix_sort_onesweep_iterationIS3_Lb0EPKjPjPS5_SB_mNS0_19identity_decomposerENS1_16block_id_wrapperIjLb0EEEEE10hipError_tT1_PNSt15iterator_traitsISG_E10value_typeET2_T3_PNSH_ISM_E10value_typeET4_T5_PSR_SS_PNS1_23onesweep_lookback_stateEbbT6_jjT7_P12ihipStream_tbENKUlT_T0_SG_SL_E_clISA_SA_SB_SB_EEDaSZ_S10_SG_SL_EUlSZ_E_NS1_11comp_targetILNS1_3genE2ELNS1_11target_archE906ELNS1_3gpuE6ELNS1_3repE0EEENS1_47radix_sort_onesweep_sort_config_static_selectorELNS0_4arch9wavefront6targetE0EEEvSG_.has_dyn_sized_stack, 0
	.set _ZN7rocprim17ROCPRIM_400000_NS6detail17trampoline_kernelINS0_14default_configENS1_35radix_sort_onesweep_config_selectorIjNS0_10empty_typeEEEZZNS1_29radix_sort_onesweep_iterationIS3_Lb0EPKjPjPS5_SB_mNS0_19identity_decomposerENS1_16block_id_wrapperIjLb0EEEEE10hipError_tT1_PNSt15iterator_traitsISG_E10value_typeET2_T3_PNSH_ISM_E10value_typeET4_T5_PSR_SS_PNS1_23onesweep_lookback_stateEbbT6_jjT7_P12ihipStream_tbENKUlT_T0_SG_SL_E_clISA_SA_SB_SB_EEDaSZ_S10_SG_SL_EUlSZ_E_NS1_11comp_targetILNS1_3genE2ELNS1_11target_archE906ELNS1_3gpuE6ELNS1_3repE0EEENS1_47radix_sort_onesweep_sort_config_static_selectorELNS0_4arch9wavefront6targetE0EEEvSG_.has_recursion, 0
	.set _ZN7rocprim17ROCPRIM_400000_NS6detail17trampoline_kernelINS0_14default_configENS1_35radix_sort_onesweep_config_selectorIjNS0_10empty_typeEEEZZNS1_29radix_sort_onesweep_iterationIS3_Lb0EPKjPjPS5_SB_mNS0_19identity_decomposerENS1_16block_id_wrapperIjLb0EEEEE10hipError_tT1_PNSt15iterator_traitsISG_E10value_typeET2_T3_PNSH_ISM_E10value_typeET4_T5_PSR_SS_PNS1_23onesweep_lookback_stateEbbT6_jjT7_P12ihipStream_tbENKUlT_T0_SG_SL_E_clISA_SA_SB_SB_EEDaSZ_S10_SG_SL_EUlSZ_E_NS1_11comp_targetILNS1_3genE2ELNS1_11target_archE906ELNS1_3gpuE6ELNS1_3repE0EEENS1_47radix_sort_onesweep_sort_config_static_selectorELNS0_4arch9wavefront6targetE0EEEvSG_.has_indirect_call, 0
	.section	.AMDGPU.csdata,"",@progbits
; Kernel info:
; codeLenInByte = 0
; TotalNumSgprs: 0
; NumVgprs: 0
; ScratchSize: 0
; MemoryBound: 0
; FloatMode: 240
; IeeeMode: 1
; LDSByteSize: 0 bytes/workgroup (compile time only)
; SGPRBlocks: 0
; VGPRBlocks: 0
; NumSGPRsForWavesPerEU: 1
; NumVGPRsForWavesPerEU: 1
; NamedBarCnt: 0
; Occupancy: 16
; WaveLimiterHint : 0
; COMPUTE_PGM_RSRC2:SCRATCH_EN: 0
; COMPUTE_PGM_RSRC2:USER_SGPR: 2
; COMPUTE_PGM_RSRC2:TRAP_HANDLER: 0
; COMPUTE_PGM_RSRC2:TGID_X_EN: 1
; COMPUTE_PGM_RSRC2:TGID_Y_EN: 0
; COMPUTE_PGM_RSRC2:TGID_Z_EN: 0
; COMPUTE_PGM_RSRC2:TIDIG_COMP_CNT: 0
	.section	.text._ZN7rocprim17ROCPRIM_400000_NS6detail17trampoline_kernelINS0_14default_configENS1_35radix_sort_onesweep_config_selectorIjNS0_10empty_typeEEEZZNS1_29radix_sort_onesweep_iterationIS3_Lb0EPKjPjPS5_SB_mNS0_19identity_decomposerENS1_16block_id_wrapperIjLb0EEEEE10hipError_tT1_PNSt15iterator_traitsISG_E10value_typeET2_T3_PNSH_ISM_E10value_typeET4_T5_PSR_SS_PNS1_23onesweep_lookback_stateEbbT6_jjT7_P12ihipStream_tbENKUlT_T0_SG_SL_E_clISA_SA_SB_SB_EEDaSZ_S10_SG_SL_EUlSZ_E_NS1_11comp_targetILNS1_3genE4ELNS1_11target_archE910ELNS1_3gpuE8ELNS1_3repE0EEENS1_47radix_sort_onesweep_sort_config_static_selectorELNS0_4arch9wavefront6targetE0EEEvSG_,"axG",@progbits,_ZN7rocprim17ROCPRIM_400000_NS6detail17trampoline_kernelINS0_14default_configENS1_35radix_sort_onesweep_config_selectorIjNS0_10empty_typeEEEZZNS1_29radix_sort_onesweep_iterationIS3_Lb0EPKjPjPS5_SB_mNS0_19identity_decomposerENS1_16block_id_wrapperIjLb0EEEEE10hipError_tT1_PNSt15iterator_traitsISG_E10value_typeET2_T3_PNSH_ISM_E10value_typeET4_T5_PSR_SS_PNS1_23onesweep_lookback_stateEbbT6_jjT7_P12ihipStream_tbENKUlT_T0_SG_SL_E_clISA_SA_SB_SB_EEDaSZ_S10_SG_SL_EUlSZ_E_NS1_11comp_targetILNS1_3genE4ELNS1_11target_archE910ELNS1_3gpuE8ELNS1_3repE0EEENS1_47radix_sort_onesweep_sort_config_static_selectorELNS0_4arch9wavefront6targetE0EEEvSG_,comdat
	.protected	_ZN7rocprim17ROCPRIM_400000_NS6detail17trampoline_kernelINS0_14default_configENS1_35radix_sort_onesweep_config_selectorIjNS0_10empty_typeEEEZZNS1_29radix_sort_onesweep_iterationIS3_Lb0EPKjPjPS5_SB_mNS0_19identity_decomposerENS1_16block_id_wrapperIjLb0EEEEE10hipError_tT1_PNSt15iterator_traitsISG_E10value_typeET2_T3_PNSH_ISM_E10value_typeET4_T5_PSR_SS_PNS1_23onesweep_lookback_stateEbbT6_jjT7_P12ihipStream_tbENKUlT_T0_SG_SL_E_clISA_SA_SB_SB_EEDaSZ_S10_SG_SL_EUlSZ_E_NS1_11comp_targetILNS1_3genE4ELNS1_11target_archE910ELNS1_3gpuE8ELNS1_3repE0EEENS1_47radix_sort_onesweep_sort_config_static_selectorELNS0_4arch9wavefront6targetE0EEEvSG_ ; -- Begin function _ZN7rocprim17ROCPRIM_400000_NS6detail17trampoline_kernelINS0_14default_configENS1_35radix_sort_onesweep_config_selectorIjNS0_10empty_typeEEEZZNS1_29radix_sort_onesweep_iterationIS3_Lb0EPKjPjPS5_SB_mNS0_19identity_decomposerENS1_16block_id_wrapperIjLb0EEEEE10hipError_tT1_PNSt15iterator_traitsISG_E10value_typeET2_T3_PNSH_ISM_E10value_typeET4_T5_PSR_SS_PNS1_23onesweep_lookback_stateEbbT6_jjT7_P12ihipStream_tbENKUlT_T0_SG_SL_E_clISA_SA_SB_SB_EEDaSZ_S10_SG_SL_EUlSZ_E_NS1_11comp_targetILNS1_3genE4ELNS1_11target_archE910ELNS1_3gpuE8ELNS1_3repE0EEENS1_47radix_sort_onesweep_sort_config_static_selectorELNS0_4arch9wavefront6targetE0EEEvSG_
	.globl	_ZN7rocprim17ROCPRIM_400000_NS6detail17trampoline_kernelINS0_14default_configENS1_35radix_sort_onesweep_config_selectorIjNS0_10empty_typeEEEZZNS1_29radix_sort_onesweep_iterationIS3_Lb0EPKjPjPS5_SB_mNS0_19identity_decomposerENS1_16block_id_wrapperIjLb0EEEEE10hipError_tT1_PNSt15iterator_traitsISG_E10value_typeET2_T3_PNSH_ISM_E10value_typeET4_T5_PSR_SS_PNS1_23onesweep_lookback_stateEbbT6_jjT7_P12ihipStream_tbENKUlT_T0_SG_SL_E_clISA_SA_SB_SB_EEDaSZ_S10_SG_SL_EUlSZ_E_NS1_11comp_targetILNS1_3genE4ELNS1_11target_archE910ELNS1_3gpuE8ELNS1_3repE0EEENS1_47radix_sort_onesweep_sort_config_static_selectorELNS0_4arch9wavefront6targetE0EEEvSG_
	.p2align	8
	.type	_ZN7rocprim17ROCPRIM_400000_NS6detail17trampoline_kernelINS0_14default_configENS1_35radix_sort_onesweep_config_selectorIjNS0_10empty_typeEEEZZNS1_29radix_sort_onesweep_iterationIS3_Lb0EPKjPjPS5_SB_mNS0_19identity_decomposerENS1_16block_id_wrapperIjLb0EEEEE10hipError_tT1_PNSt15iterator_traitsISG_E10value_typeET2_T3_PNSH_ISM_E10value_typeET4_T5_PSR_SS_PNS1_23onesweep_lookback_stateEbbT6_jjT7_P12ihipStream_tbENKUlT_T0_SG_SL_E_clISA_SA_SB_SB_EEDaSZ_S10_SG_SL_EUlSZ_E_NS1_11comp_targetILNS1_3genE4ELNS1_11target_archE910ELNS1_3gpuE8ELNS1_3repE0EEENS1_47radix_sort_onesweep_sort_config_static_selectorELNS0_4arch9wavefront6targetE0EEEvSG_,@function
_ZN7rocprim17ROCPRIM_400000_NS6detail17trampoline_kernelINS0_14default_configENS1_35radix_sort_onesweep_config_selectorIjNS0_10empty_typeEEEZZNS1_29radix_sort_onesweep_iterationIS3_Lb0EPKjPjPS5_SB_mNS0_19identity_decomposerENS1_16block_id_wrapperIjLb0EEEEE10hipError_tT1_PNSt15iterator_traitsISG_E10value_typeET2_T3_PNSH_ISM_E10value_typeET4_T5_PSR_SS_PNS1_23onesweep_lookback_stateEbbT6_jjT7_P12ihipStream_tbENKUlT_T0_SG_SL_E_clISA_SA_SB_SB_EEDaSZ_S10_SG_SL_EUlSZ_E_NS1_11comp_targetILNS1_3genE4ELNS1_11target_archE910ELNS1_3gpuE8ELNS1_3repE0EEENS1_47radix_sort_onesweep_sort_config_static_selectorELNS0_4arch9wavefront6targetE0EEEvSG_: ; @_ZN7rocprim17ROCPRIM_400000_NS6detail17trampoline_kernelINS0_14default_configENS1_35radix_sort_onesweep_config_selectorIjNS0_10empty_typeEEEZZNS1_29radix_sort_onesweep_iterationIS3_Lb0EPKjPjPS5_SB_mNS0_19identity_decomposerENS1_16block_id_wrapperIjLb0EEEEE10hipError_tT1_PNSt15iterator_traitsISG_E10value_typeET2_T3_PNSH_ISM_E10value_typeET4_T5_PSR_SS_PNS1_23onesweep_lookback_stateEbbT6_jjT7_P12ihipStream_tbENKUlT_T0_SG_SL_E_clISA_SA_SB_SB_EEDaSZ_S10_SG_SL_EUlSZ_E_NS1_11comp_targetILNS1_3genE4ELNS1_11target_archE910ELNS1_3gpuE8ELNS1_3repE0EEENS1_47radix_sort_onesweep_sort_config_static_selectorELNS0_4arch9wavefront6targetE0EEEvSG_
; %bb.0:
	.section	.rodata,"a",@progbits
	.p2align	6, 0x0
	.amdhsa_kernel _ZN7rocprim17ROCPRIM_400000_NS6detail17trampoline_kernelINS0_14default_configENS1_35radix_sort_onesweep_config_selectorIjNS0_10empty_typeEEEZZNS1_29radix_sort_onesweep_iterationIS3_Lb0EPKjPjPS5_SB_mNS0_19identity_decomposerENS1_16block_id_wrapperIjLb0EEEEE10hipError_tT1_PNSt15iterator_traitsISG_E10value_typeET2_T3_PNSH_ISM_E10value_typeET4_T5_PSR_SS_PNS1_23onesweep_lookback_stateEbbT6_jjT7_P12ihipStream_tbENKUlT_T0_SG_SL_E_clISA_SA_SB_SB_EEDaSZ_S10_SG_SL_EUlSZ_E_NS1_11comp_targetILNS1_3genE4ELNS1_11target_archE910ELNS1_3gpuE8ELNS1_3repE0EEENS1_47radix_sort_onesweep_sort_config_static_selectorELNS0_4arch9wavefront6targetE0EEEvSG_
		.amdhsa_group_segment_fixed_size 0
		.amdhsa_private_segment_fixed_size 0
		.amdhsa_kernarg_size 88
		.amdhsa_user_sgpr_count 2
		.amdhsa_user_sgpr_dispatch_ptr 0
		.amdhsa_user_sgpr_queue_ptr 0
		.amdhsa_user_sgpr_kernarg_segment_ptr 1
		.amdhsa_user_sgpr_dispatch_id 0
		.amdhsa_user_sgpr_kernarg_preload_length 0
		.amdhsa_user_sgpr_kernarg_preload_offset 0
		.amdhsa_user_sgpr_private_segment_size 0
		.amdhsa_wavefront_size32 1
		.amdhsa_uses_dynamic_stack 0
		.amdhsa_enable_private_segment 0
		.amdhsa_system_sgpr_workgroup_id_x 1
		.amdhsa_system_sgpr_workgroup_id_y 0
		.amdhsa_system_sgpr_workgroup_id_z 0
		.amdhsa_system_sgpr_workgroup_info 0
		.amdhsa_system_vgpr_workitem_id 0
		.amdhsa_next_free_vgpr 1
		.amdhsa_next_free_sgpr 1
		.amdhsa_named_barrier_count 0
		.amdhsa_reserve_vcc 0
		.amdhsa_float_round_mode_32 0
		.amdhsa_float_round_mode_16_64 0
		.amdhsa_float_denorm_mode_32 3
		.amdhsa_float_denorm_mode_16_64 3
		.amdhsa_fp16_overflow 0
		.amdhsa_memory_ordered 1
		.amdhsa_forward_progress 1
		.amdhsa_inst_pref_size 0
		.amdhsa_round_robin_scheduling 0
		.amdhsa_exception_fp_ieee_invalid_op 0
		.amdhsa_exception_fp_denorm_src 0
		.amdhsa_exception_fp_ieee_div_zero 0
		.amdhsa_exception_fp_ieee_overflow 0
		.amdhsa_exception_fp_ieee_underflow 0
		.amdhsa_exception_fp_ieee_inexact 0
		.amdhsa_exception_int_div_zero 0
	.end_amdhsa_kernel
	.section	.text._ZN7rocprim17ROCPRIM_400000_NS6detail17trampoline_kernelINS0_14default_configENS1_35radix_sort_onesweep_config_selectorIjNS0_10empty_typeEEEZZNS1_29radix_sort_onesweep_iterationIS3_Lb0EPKjPjPS5_SB_mNS0_19identity_decomposerENS1_16block_id_wrapperIjLb0EEEEE10hipError_tT1_PNSt15iterator_traitsISG_E10value_typeET2_T3_PNSH_ISM_E10value_typeET4_T5_PSR_SS_PNS1_23onesweep_lookback_stateEbbT6_jjT7_P12ihipStream_tbENKUlT_T0_SG_SL_E_clISA_SA_SB_SB_EEDaSZ_S10_SG_SL_EUlSZ_E_NS1_11comp_targetILNS1_3genE4ELNS1_11target_archE910ELNS1_3gpuE8ELNS1_3repE0EEENS1_47radix_sort_onesweep_sort_config_static_selectorELNS0_4arch9wavefront6targetE0EEEvSG_,"axG",@progbits,_ZN7rocprim17ROCPRIM_400000_NS6detail17trampoline_kernelINS0_14default_configENS1_35radix_sort_onesweep_config_selectorIjNS0_10empty_typeEEEZZNS1_29radix_sort_onesweep_iterationIS3_Lb0EPKjPjPS5_SB_mNS0_19identity_decomposerENS1_16block_id_wrapperIjLb0EEEEE10hipError_tT1_PNSt15iterator_traitsISG_E10value_typeET2_T3_PNSH_ISM_E10value_typeET4_T5_PSR_SS_PNS1_23onesweep_lookback_stateEbbT6_jjT7_P12ihipStream_tbENKUlT_T0_SG_SL_E_clISA_SA_SB_SB_EEDaSZ_S10_SG_SL_EUlSZ_E_NS1_11comp_targetILNS1_3genE4ELNS1_11target_archE910ELNS1_3gpuE8ELNS1_3repE0EEENS1_47radix_sort_onesweep_sort_config_static_selectorELNS0_4arch9wavefront6targetE0EEEvSG_,comdat
.Lfunc_end2775:
	.size	_ZN7rocprim17ROCPRIM_400000_NS6detail17trampoline_kernelINS0_14default_configENS1_35radix_sort_onesweep_config_selectorIjNS0_10empty_typeEEEZZNS1_29radix_sort_onesweep_iterationIS3_Lb0EPKjPjPS5_SB_mNS0_19identity_decomposerENS1_16block_id_wrapperIjLb0EEEEE10hipError_tT1_PNSt15iterator_traitsISG_E10value_typeET2_T3_PNSH_ISM_E10value_typeET4_T5_PSR_SS_PNS1_23onesweep_lookback_stateEbbT6_jjT7_P12ihipStream_tbENKUlT_T0_SG_SL_E_clISA_SA_SB_SB_EEDaSZ_S10_SG_SL_EUlSZ_E_NS1_11comp_targetILNS1_3genE4ELNS1_11target_archE910ELNS1_3gpuE8ELNS1_3repE0EEENS1_47radix_sort_onesweep_sort_config_static_selectorELNS0_4arch9wavefront6targetE0EEEvSG_, .Lfunc_end2775-_ZN7rocprim17ROCPRIM_400000_NS6detail17trampoline_kernelINS0_14default_configENS1_35radix_sort_onesweep_config_selectorIjNS0_10empty_typeEEEZZNS1_29radix_sort_onesweep_iterationIS3_Lb0EPKjPjPS5_SB_mNS0_19identity_decomposerENS1_16block_id_wrapperIjLb0EEEEE10hipError_tT1_PNSt15iterator_traitsISG_E10value_typeET2_T3_PNSH_ISM_E10value_typeET4_T5_PSR_SS_PNS1_23onesweep_lookback_stateEbbT6_jjT7_P12ihipStream_tbENKUlT_T0_SG_SL_E_clISA_SA_SB_SB_EEDaSZ_S10_SG_SL_EUlSZ_E_NS1_11comp_targetILNS1_3genE4ELNS1_11target_archE910ELNS1_3gpuE8ELNS1_3repE0EEENS1_47radix_sort_onesweep_sort_config_static_selectorELNS0_4arch9wavefront6targetE0EEEvSG_
                                        ; -- End function
	.set _ZN7rocprim17ROCPRIM_400000_NS6detail17trampoline_kernelINS0_14default_configENS1_35radix_sort_onesweep_config_selectorIjNS0_10empty_typeEEEZZNS1_29radix_sort_onesweep_iterationIS3_Lb0EPKjPjPS5_SB_mNS0_19identity_decomposerENS1_16block_id_wrapperIjLb0EEEEE10hipError_tT1_PNSt15iterator_traitsISG_E10value_typeET2_T3_PNSH_ISM_E10value_typeET4_T5_PSR_SS_PNS1_23onesweep_lookback_stateEbbT6_jjT7_P12ihipStream_tbENKUlT_T0_SG_SL_E_clISA_SA_SB_SB_EEDaSZ_S10_SG_SL_EUlSZ_E_NS1_11comp_targetILNS1_3genE4ELNS1_11target_archE910ELNS1_3gpuE8ELNS1_3repE0EEENS1_47radix_sort_onesweep_sort_config_static_selectorELNS0_4arch9wavefront6targetE0EEEvSG_.num_vgpr, 0
	.set _ZN7rocprim17ROCPRIM_400000_NS6detail17trampoline_kernelINS0_14default_configENS1_35radix_sort_onesweep_config_selectorIjNS0_10empty_typeEEEZZNS1_29radix_sort_onesweep_iterationIS3_Lb0EPKjPjPS5_SB_mNS0_19identity_decomposerENS1_16block_id_wrapperIjLb0EEEEE10hipError_tT1_PNSt15iterator_traitsISG_E10value_typeET2_T3_PNSH_ISM_E10value_typeET4_T5_PSR_SS_PNS1_23onesweep_lookback_stateEbbT6_jjT7_P12ihipStream_tbENKUlT_T0_SG_SL_E_clISA_SA_SB_SB_EEDaSZ_S10_SG_SL_EUlSZ_E_NS1_11comp_targetILNS1_3genE4ELNS1_11target_archE910ELNS1_3gpuE8ELNS1_3repE0EEENS1_47radix_sort_onesweep_sort_config_static_selectorELNS0_4arch9wavefront6targetE0EEEvSG_.num_agpr, 0
	.set _ZN7rocprim17ROCPRIM_400000_NS6detail17trampoline_kernelINS0_14default_configENS1_35radix_sort_onesweep_config_selectorIjNS0_10empty_typeEEEZZNS1_29radix_sort_onesweep_iterationIS3_Lb0EPKjPjPS5_SB_mNS0_19identity_decomposerENS1_16block_id_wrapperIjLb0EEEEE10hipError_tT1_PNSt15iterator_traitsISG_E10value_typeET2_T3_PNSH_ISM_E10value_typeET4_T5_PSR_SS_PNS1_23onesweep_lookback_stateEbbT6_jjT7_P12ihipStream_tbENKUlT_T0_SG_SL_E_clISA_SA_SB_SB_EEDaSZ_S10_SG_SL_EUlSZ_E_NS1_11comp_targetILNS1_3genE4ELNS1_11target_archE910ELNS1_3gpuE8ELNS1_3repE0EEENS1_47radix_sort_onesweep_sort_config_static_selectorELNS0_4arch9wavefront6targetE0EEEvSG_.numbered_sgpr, 0
	.set _ZN7rocprim17ROCPRIM_400000_NS6detail17trampoline_kernelINS0_14default_configENS1_35radix_sort_onesweep_config_selectorIjNS0_10empty_typeEEEZZNS1_29radix_sort_onesweep_iterationIS3_Lb0EPKjPjPS5_SB_mNS0_19identity_decomposerENS1_16block_id_wrapperIjLb0EEEEE10hipError_tT1_PNSt15iterator_traitsISG_E10value_typeET2_T3_PNSH_ISM_E10value_typeET4_T5_PSR_SS_PNS1_23onesweep_lookback_stateEbbT6_jjT7_P12ihipStream_tbENKUlT_T0_SG_SL_E_clISA_SA_SB_SB_EEDaSZ_S10_SG_SL_EUlSZ_E_NS1_11comp_targetILNS1_3genE4ELNS1_11target_archE910ELNS1_3gpuE8ELNS1_3repE0EEENS1_47radix_sort_onesweep_sort_config_static_selectorELNS0_4arch9wavefront6targetE0EEEvSG_.num_named_barrier, 0
	.set _ZN7rocprim17ROCPRIM_400000_NS6detail17trampoline_kernelINS0_14default_configENS1_35radix_sort_onesweep_config_selectorIjNS0_10empty_typeEEEZZNS1_29radix_sort_onesweep_iterationIS3_Lb0EPKjPjPS5_SB_mNS0_19identity_decomposerENS1_16block_id_wrapperIjLb0EEEEE10hipError_tT1_PNSt15iterator_traitsISG_E10value_typeET2_T3_PNSH_ISM_E10value_typeET4_T5_PSR_SS_PNS1_23onesweep_lookback_stateEbbT6_jjT7_P12ihipStream_tbENKUlT_T0_SG_SL_E_clISA_SA_SB_SB_EEDaSZ_S10_SG_SL_EUlSZ_E_NS1_11comp_targetILNS1_3genE4ELNS1_11target_archE910ELNS1_3gpuE8ELNS1_3repE0EEENS1_47radix_sort_onesweep_sort_config_static_selectorELNS0_4arch9wavefront6targetE0EEEvSG_.private_seg_size, 0
	.set _ZN7rocprim17ROCPRIM_400000_NS6detail17trampoline_kernelINS0_14default_configENS1_35radix_sort_onesweep_config_selectorIjNS0_10empty_typeEEEZZNS1_29radix_sort_onesweep_iterationIS3_Lb0EPKjPjPS5_SB_mNS0_19identity_decomposerENS1_16block_id_wrapperIjLb0EEEEE10hipError_tT1_PNSt15iterator_traitsISG_E10value_typeET2_T3_PNSH_ISM_E10value_typeET4_T5_PSR_SS_PNS1_23onesweep_lookback_stateEbbT6_jjT7_P12ihipStream_tbENKUlT_T0_SG_SL_E_clISA_SA_SB_SB_EEDaSZ_S10_SG_SL_EUlSZ_E_NS1_11comp_targetILNS1_3genE4ELNS1_11target_archE910ELNS1_3gpuE8ELNS1_3repE0EEENS1_47radix_sort_onesweep_sort_config_static_selectorELNS0_4arch9wavefront6targetE0EEEvSG_.uses_vcc, 0
	.set _ZN7rocprim17ROCPRIM_400000_NS6detail17trampoline_kernelINS0_14default_configENS1_35radix_sort_onesweep_config_selectorIjNS0_10empty_typeEEEZZNS1_29radix_sort_onesweep_iterationIS3_Lb0EPKjPjPS5_SB_mNS0_19identity_decomposerENS1_16block_id_wrapperIjLb0EEEEE10hipError_tT1_PNSt15iterator_traitsISG_E10value_typeET2_T3_PNSH_ISM_E10value_typeET4_T5_PSR_SS_PNS1_23onesweep_lookback_stateEbbT6_jjT7_P12ihipStream_tbENKUlT_T0_SG_SL_E_clISA_SA_SB_SB_EEDaSZ_S10_SG_SL_EUlSZ_E_NS1_11comp_targetILNS1_3genE4ELNS1_11target_archE910ELNS1_3gpuE8ELNS1_3repE0EEENS1_47radix_sort_onesweep_sort_config_static_selectorELNS0_4arch9wavefront6targetE0EEEvSG_.uses_flat_scratch, 0
	.set _ZN7rocprim17ROCPRIM_400000_NS6detail17trampoline_kernelINS0_14default_configENS1_35radix_sort_onesweep_config_selectorIjNS0_10empty_typeEEEZZNS1_29radix_sort_onesweep_iterationIS3_Lb0EPKjPjPS5_SB_mNS0_19identity_decomposerENS1_16block_id_wrapperIjLb0EEEEE10hipError_tT1_PNSt15iterator_traitsISG_E10value_typeET2_T3_PNSH_ISM_E10value_typeET4_T5_PSR_SS_PNS1_23onesweep_lookback_stateEbbT6_jjT7_P12ihipStream_tbENKUlT_T0_SG_SL_E_clISA_SA_SB_SB_EEDaSZ_S10_SG_SL_EUlSZ_E_NS1_11comp_targetILNS1_3genE4ELNS1_11target_archE910ELNS1_3gpuE8ELNS1_3repE0EEENS1_47radix_sort_onesweep_sort_config_static_selectorELNS0_4arch9wavefront6targetE0EEEvSG_.has_dyn_sized_stack, 0
	.set _ZN7rocprim17ROCPRIM_400000_NS6detail17trampoline_kernelINS0_14default_configENS1_35radix_sort_onesweep_config_selectorIjNS0_10empty_typeEEEZZNS1_29radix_sort_onesweep_iterationIS3_Lb0EPKjPjPS5_SB_mNS0_19identity_decomposerENS1_16block_id_wrapperIjLb0EEEEE10hipError_tT1_PNSt15iterator_traitsISG_E10value_typeET2_T3_PNSH_ISM_E10value_typeET4_T5_PSR_SS_PNS1_23onesweep_lookback_stateEbbT6_jjT7_P12ihipStream_tbENKUlT_T0_SG_SL_E_clISA_SA_SB_SB_EEDaSZ_S10_SG_SL_EUlSZ_E_NS1_11comp_targetILNS1_3genE4ELNS1_11target_archE910ELNS1_3gpuE8ELNS1_3repE0EEENS1_47radix_sort_onesweep_sort_config_static_selectorELNS0_4arch9wavefront6targetE0EEEvSG_.has_recursion, 0
	.set _ZN7rocprim17ROCPRIM_400000_NS6detail17trampoline_kernelINS0_14default_configENS1_35radix_sort_onesweep_config_selectorIjNS0_10empty_typeEEEZZNS1_29radix_sort_onesweep_iterationIS3_Lb0EPKjPjPS5_SB_mNS0_19identity_decomposerENS1_16block_id_wrapperIjLb0EEEEE10hipError_tT1_PNSt15iterator_traitsISG_E10value_typeET2_T3_PNSH_ISM_E10value_typeET4_T5_PSR_SS_PNS1_23onesweep_lookback_stateEbbT6_jjT7_P12ihipStream_tbENKUlT_T0_SG_SL_E_clISA_SA_SB_SB_EEDaSZ_S10_SG_SL_EUlSZ_E_NS1_11comp_targetILNS1_3genE4ELNS1_11target_archE910ELNS1_3gpuE8ELNS1_3repE0EEENS1_47radix_sort_onesweep_sort_config_static_selectorELNS0_4arch9wavefront6targetE0EEEvSG_.has_indirect_call, 0
	.section	.AMDGPU.csdata,"",@progbits
; Kernel info:
; codeLenInByte = 0
; TotalNumSgprs: 0
; NumVgprs: 0
; ScratchSize: 0
; MemoryBound: 0
; FloatMode: 240
; IeeeMode: 1
; LDSByteSize: 0 bytes/workgroup (compile time only)
; SGPRBlocks: 0
; VGPRBlocks: 0
; NumSGPRsForWavesPerEU: 1
; NumVGPRsForWavesPerEU: 1
; NamedBarCnt: 0
; Occupancy: 16
; WaveLimiterHint : 0
; COMPUTE_PGM_RSRC2:SCRATCH_EN: 0
; COMPUTE_PGM_RSRC2:USER_SGPR: 2
; COMPUTE_PGM_RSRC2:TRAP_HANDLER: 0
; COMPUTE_PGM_RSRC2:TGID_X_EN: 1
; COMPUTE_PGM_RSRC2:TGID_Y_EN: 0
; COMPUTE_PGM_RSRC2:TGID_Z_EN: 0
; COMPUTE_PGM_RSRC2:TIDIG_COMP_CNT: 0
	.section	.text._ZN7rocprim17ROCPRIM_400000_NS6detail17trampoline_kernelINS0_14default_configENS1_35radix_sort_onesweep_config_selectorIjNS0_10empty_typeEEEZZNS1_29radix_sort_onesweep_iterationIS3_Lb0EPKjPjPS5_SB_mNS0_19identity_decomposerENS1_16block_id_wrapperIjLb0EEEEE10hipError_tT1_PNSt15iterator_traitsISG_E10value_typeET2_T3_PNSH_ISM_E10value_typeET4_T5_PSR_SS_PNS1_23onesweep_lookback_stateEbbT6_jjT7_P12ihipStream_tbENKUlT_T0_SG_SL_E_clISA_SA_SB_SB_EEDaSZ_S10_SG_SL_EUlSZ_E_NS1_11comp_targetILNS1_3genE3ELNS1_11target_archE908ELNS1_3gpuE7ELNS1_3repE0EEENS1_47radix_sort_onesweep_sort_config_static_selectorELNS0_4arch9wavefront6targetE0EEEvSG_,"axG",@progbits,_ZN7rocprim17ROCPRIM_400000_NS6detail17trampoline_kernelINS0_14default_configENS1_35radix_sort_onesweep_config_selectorIjNS0_10empty_typeEEEZZNS1_29radix_sort_onesweep_iterationIS3_Lb0EPKjPjPS5_SB_mNS0_19identity_decomposerENS1_16block_id_wrapperIjLb0EEEEE10hipError_tT1_PNSt15iterator_traitsISG_E10value_typeET2_T3_PNSH_ISM_E10value_typeET4_T5_PSR_SS_PNS1_23onesweep_lookback_stateEbbT6_jjT7_P12ihipStream_tbENKUlT_T0_SG_SL_E_clISA_SA_SB_SB_EEDaSZ_S10_SG_SL_EUlSZ_E_NS1_11comp_targetILNS1_3genE3ELNS1_11target_archE908ELNS1_3gpuE7ELNS1_3repE0EEENS1_47radix_sort_onesweep_sort_config_static_selectorELNS0_4arch9wavefront6targetE0EEEvSG_,comdat
	.protected	_ZN7rocprim17ROCPRIM_400000_NS6detail17trampoline_kernelINS0_14default_configENS1_35radix_sort_onesweep_config_selectorIjNS0_10empty_typeEEEZZNS1_29radix_sort_onesweep_iterationIS3_Lb0EPKjPjPS5_SB_mNS0_19identity_decomposerENS1_16block_id_wrapperIjLb0EEEEE10hipError_tT1_PNSt15iterator_traitsISG_E10value_typeET2_T3_PNSH_ISM_E10value_typeET4_T5_PSR_SS_PNS1_23onesweep_lookback_stateEbbT6_jjT7_P12ihipStream_tbENKUlT_T0_SG_SL_E_clISA_SA_SB_SB_EEDaSZ_S10_SG_SL_EUlSZ_E_NS1_11comp_targetILNS1_3genE3ELNS1_11target_archE908ELNS1_3gpuE7ELNS1_3repE0EEENS1_47radix_sort_onesweep_sort_config_static_selectorELNS0_4arch9wavefront6targetE0EEEvSG_ ; -- Begin function _ZN7rocprim17ROCPRIM_400000_NS6detail17trampoline_kernelINS0_14default_configENS1_35radix_sort_onesweep_config_selectorIjNS0_10empty_typeEEEZZNS1_29radix_sort_onesweep_iterationIS3_Lb0EPKjPjPS5_SB_mNS0_19identity_decomposerENS1_16block_id_wrapperIjLb0EEEEE10hipError_tT1_PNSt15iterator_traitsISG_E10value_typeET2_T3_PNSH_ISM_E10value_typeET4_T5_PSR_SS_PNS1_23onesweep_lookback_stateEbbT6_jjT7_P12ihipStream_tbENKUlT_T0_SG_SL_E_clISA_SA_SB_SB_EEDaSZ_S10_SG_SL_EUlSZ_E_NS1_11comp_targetILNS1_3genE3ELNS1_11target_archE908ELNS1_3gpuE7ELNS1_3repE0EEENS1_47radix_sort_onesweep_sort_config_static_selectorELNS0_4arch9wavefront6targetE0EEEvSG_
	.globl	_ZN7rocprim17ROCPRIM_400000_NS6detail17trampoline_kernelINS0_14default_configENS1_35radix_sort_onesweep_config_selectorIjNS0_10empty_typeEEEZZNS1_29radix_sort_onesweep_iterationIS3_Lb0EPKjPjPS5_SB_mNS0_19identity_decomposerENS1_16block_id_wrapperIjLb0EEEEE10hipError_tT1_PNSt15iterator_traitsISG_E10value_typeET2_T3_PNSH_ISM_E10value_typeET4_T5_PSR_SS_PNS1_23onesweep_lookback_stateEbbT6_jjT7_P12ihipStream_tbENKUlT_T0_SG_SL_E_clISA_SA_SB_SB_EEDaSZ_S10_SG_SL_EUlSZ_E_NS1_11comp_targetILNS1_3genE3ELNS1_11target_archE908ELNS1_3gpuE7ELNS1_3repE0EEENS1_47radix_sort_onesweep_sort_config_static_selectorELNS0_4arch9wavefront6targetE0EEEvSG_
	.p2align	8
	.type	_ZN7rocprim17ROCPRIM_400000_NS6detail17trampoline_kernelINS0_14default_configENS1_35radix_sort_onesweep_config_selectorIjNS0_10empty_typeEEEZZNS1_29radix_sort_onesweep_iterationIS3_Lb0EPKjPjPS5_SB_mNS0_19identity_decomposerENS1_16block_id_wrapperIjLb0EEEEE10hipError_tT1_PNSt15iterator_traitsISG_E10value_typeET2_T3_PNSH_ISM_E10value_typeET4_T5_PSR_SS_PNS1_23onesweep_lookback_stateEbbT6_jjT7_P12ihipStream_tbENKUlT_T0_SG_SL_E_clISA_SA_SB_SB_EEDaSZ_S10_SG_SL_EUlSZ_E_NS1_11comp_targetILNS1_3genE3ELNS1_11target_archE908ELNS1_3gpuE7ELNS1_3repE0EEENS1_47radix_sort_onesweep_sort_config_static_selectorELNS0_4arch9wavefront6targetE0EEEvSG_,@function
_ZN7rocprim17ROCPRIM_400000_NS6detail17trampoline_kernelINS0_14default_configENS1_35radix_sort_onesweep_config_selectorIjNS0_10empty_typeEEEZZNS1_29radix_sort_onesweep_iterationIS3_Lb0EPKjPjPS5_SB_mNS0_19identity_decomposerENS1_16block_id_wrapperIjLb0EEEEE10hipError_tT1_PNSt15iterator_traitsISG_E10value_typeET2_T3_PNSH_ISM_E10value_typeET4_T5_PSR_SS_PNS1_23onesweep_lookback_stateEbbT6_jjT7_P12ihipStream_tbENKUlT_T0_SG_SL_E_clISA_SA_SB_SB_EEDaSZ_S10_SG_SL_EUlSZ_E_NS1_11comp_targetILNS1_3genE3ELNS1_11target_archE908ELNS1_3gpuE7ELNS1_3repE0EEENS1_47radix_sort_onesweep_sort_config_static_selectorELNS0_4arch9wavefront6targetE0EEEvSG_: ; @_ZN7rocprim17ROCPRIM_400000_NS6detail17trampoline_kernelINS0_14default_configENS1_35radix_sort_onesweep_config_selectorIjNS0_10empty_typeEEEZZNS1_29radix_sort_onesweep_iterationIS3_Lb0EPKjPjPS5_SB_mNS0_19identity_decomposerENS1_16block_id_wrapperIjLb0EEEEE10hipError_tT1_PNSt15iterator_traitsISG_E10value_typeET2_T3_PNSH_ISM_E10value_typeET4_T5_PSR_SS_PNS1_23onesweep_lookback_stateEbbT6_jjT7_P12ihipStream_tbENKUlT_T0_SG_SL_E_clISA_SA_SB_SB_EEDaSZ_S10_SG_SL_EUlSZ_E_NS1_11comp_targetILNS1_3genE3ELNS1_11target_archE908ELNS1_3gpuE7ELNS1_3repE0EEENS1_47radix_sort_onesweep_sort_config_static_selectorELNS0_4arch9wavefront6targetE0EEEvSG_
; %bb.0:
	.section	.rodata,"a",@progbits
	.p2align	6, 0x0
	.amdhsa_kernel _ZN7rocprim17ROCPRIM_400000_NS6detail17trampoline_kernelINS0_14default_configENS1_35radix_sort_onesweep_config_selectorIjNS0_10empty_typeEEEZZNS1_29radix_sort_onesweep_iterationIS3_Lb0EPKjPjPS5_SB_mNS0_19identity_decomposerENS1_16block_id_wrapperIjLb0EEEEE10hipError_tT1_PNSt15iterator_traitsISG_E10value_typeET2_T3_PNSH_ISM_E10value_typeET4_T5_PSR_SS_PNS1_23onesweep_lookback_stateEbbT6_jjT7_P12ihipStream_tbENKUlT_T0_SG_SL_E_clISA_SA_SB_SB_EEDaSZ_S10_SG_SL_EUlSZ_E_NS1_11comp_targetILNS1_3genE3ELNS1_11target_archE908ELNS1_3gpuE7ELNS1_3repE0EEENS1_47radix_sort_onesweep_sort_config_static_selectorELNS0_4arch9wavefront6targetE0EEEvSG_
		.amdhsa_group_segment_fixed_size 0
		.amdhsa_private_segment_fixed_size 0
		.amdhsa_kernarg_size 88
		.amdhsa_user_sgpr_count 2
		.amdhsa_user_sgpr_dispatch_ptr 0
		.amdhsa_user_sgpr_queue_ptr 0
		.amdhsa_user_sgpr_kernarg_segment_ptr 1
		.amdhsa_user_sgpr_dispatch_id 0
		.amdhsa_user_sgpr_kernarg_preload_length 0
		.amdhsa_user_sgpr_kernarg_preload_offset 0
		.amdhsa_user_sgpr_private_segment_size 0
		.amdhsa_wavefront_size32 1
		.amdhsa_uses_dynamic_stack 0
		.amdhsa_enable_private_segment 0
		.amdhsa_system_sgpr_workgroup_id_x 1
		.amdhsa_system_sgpr_workgroup_id_y 0
		.amdhsa_system_sgpr_workgroup_id_z 0
		.amdhsa_system_sgpr_workgroup_info 0
		.amdhsa_system_vgpr_workitem_id 0
		.amdhsa_next_free_vgpr 1
		.amdhsa_next_free_sgpr 1
		.amdhsa_named_barrier_count 0
		.amdhsa_reserve_vcc 0
		.amdhsa_float_round_mode_32 0
		.amdhsa_float_round_mode_16_64 0
		.amdhsa_float_denorm_mode_32 3
		.amdhsa_float_denorm_mode_16_64 3
		.amdhsa_fp16_overflow 0
		.amdhsa_memory_ordered 1
		.amdhsa_forward_progress 1
		.amdhsa_inst_pref_size 0
		.amdhsa_round_robin_scheduling 0
		.amdhsa_exception_fp_ieee_invalid_op 0
		.amdhsa_exception_fp_denorm_src 0
		.amdhsa_exception_fp_ieee_div_zero 0
		.amdhsa_exception_fp_ieee_overflow 0
		.amdhsa_exception_fp_ieee_underflow 0
		.amdhsa_exception_fp_ieee_inexact 0
		.amdhsa_exception_int_div_zero 0
	.end_amdhsa_kernel
	.section	.text._ZN7rocprim17ROCPRIM_400000_NS6detail17trampoline_kernelINS0_14default_configENS1_35radix_sort_onesweep_config_selectorIjNS0_10empty_typeEEEZZNS1_29radix_sort_onesweep_iterationIS3_Lb0EPKjPjPS5_SB_mNS0_19identity_decomposerENS1_16block_id_wrapperIjLb0EEEEE10hipError_tT1_PNSt15iterator_traitsISG_E10value_typeET2_T3_PNSH_ISM_E10value_typeET4_T5_PSR_SS_PNS1_23onesweep_lookback_stateEbbT6_jjT7_P12ihipStream_tbENKUlT_T0_SG_SL_E_clISA_SA_SB_SB_EEDaSZ_S10_SG_SL_EUlSZ_E_NS1_11comp_targetILNS1_3genE3ELNS1_11target_archE908ELNS1_3gpuE7ELNS1_3repE0EEENS1_47radix_sort_onesweep_sort_config_static_selectorELNS0_4arch9wavefront6targetE0EEEvSG_,"axG",@progbits,_ZN7rocprim17ROCPRIM_400000_NS6detail17trampoline_kernelINS0_14default_configENS1_35radix_sort_onesweep_config_selectorIjNS0_10empty_typeEEEZZNS1_29radix_sort_onesweep_iterationIS3_Lb0EPKjPjPS5_SB_mNS0_19identity_decomposerENS1_16block_id_wrapperIjLb0EEEEE10hipError_tT1_PNSt15iterator_traitsISG_E10value_typeET2_T3_PNSH_ISM_E10value_typeET4_T5_PSR_SS_PNS1_23onesweep_lookback_stateEbbT6_jjT7_P12ihipStream_tbENKUlT_T0_SG_SL_E_clISA_SA_SB_SB_EEDaSZ_S10_SG_SL_EUlSZ_E_NS1_11comp_targetILNS1_3genE3ELNS1_11target_archE908ELNS1_3gpuE7ELNS1_3repE0EEENS1_47radix_sort_onesweep_sort_config_static_selectorELNS0_4arch9wavefront6targetE0EEEvSG_,comdat
.Lfunc_end2776:
	.size	_ZN7rocprim17ROCPRIM_400000_NS6detail17trampoline_kernelINS0_14default_configENS1_35radix_sort_onesweep_config_selectorIjNS0_10empty_typeEEEZZNS1_29radix_sort_onesweep_iterationIS3_Lb0EPKjPjPS5_SB_mNS0_19identity_decomposerENS1_16block_id_wrapperIjLb0EEEEE10hipError_tT1_PNSt15iterator_traitsISG_E10value_typeET2_T3_PNSH_ISM_E10value_typeET4_T5_PSR_SS_PNS1_23onesweep_lookback_stateEbbT6_jjT7_P12ihipStream_tbENKUlT_T0_SG_SL_E_clISA_SA_SB_SB_EEDaSZ_S10_SG_SL_EUlSZ_E_NS1_11comp_targetILNS1_3genE3ELNS1_11target_archE908ELNS1_3gpuE7ELNS1_3repE0EEENS1_47radix_sort_onesweep_sort_config_static_selectorELNS0_4arch9wavefront6targetE0EEEvSG_, .Lfunc_end2776-_ZN7rocprim17ROCPRIM_400000_NS6detail17trampoline_kernelINS0_14default_configENS1_35radix_sort_onesweep_config_selectorIjNS0_10empty_typeEEEZZNS1_29radix_sort_onesweep_iterationIS3_Lb0EPKjPjPS5_SB_mNS0_19identity_decomposerENS1_16block_id_wrapperIjLb0EEEEE10hipError_tT1_PNSt15iterator_traitsISG_E10value_typeET2_T3_PNSH_ISM_E10value_typeET4_T5_PSR_SS_PNS1_23onesweep_lookback_stateEbbT6_jjT7_P12ihipStream_tbENKUlT_T0_SG_SL_E_clISA_SA_SB_SB_EEDaSZ_S10_SG_SL_EUlSZ_E_NS1_11comp_targetILNS1_3genE3ELNS1_11target_archE908ELNS1_3gpuE7ELNS1_3repE0EEENS1_47radix_sort_onesweep_sort_config_static_selectorELNS0_4arch9wavefront6targetE0EEEvSG_
                                        ; -- End function
	.set _ZN7rocprim17ROCPRIM_400000_NS6detail17trampoline_kernelINS0_14default_configENS1_35radix_sort_onesweep_config_selectorIjNS0_10empty_typeEEEZZNS1_29radix_sort_onesweep_iterationIS3_Lb0EPKjPjPS5_SB_mNS0_19identity_decomposerENS1_16block_id_wrapperIjLb0EEEEE10hipError_tT1_PNSt15iterator_traitsISG_E10value_typeET2_T3_PNSH_ISM_E10value_typeET4_T5_PSR_SS_PNS1_23onesweep_lookback_stateEbbT6_jjT7_P12ihipStream_tbENKUlT_T0_SG_SL_E_clISA_SA_SB_SB_EEDaSZ_S10_SG_SL_EUlSZ_E_NS1_11comp_targetILNS1_3genE3ELNS1_11target_archE908ELNS1_3gpuE7ELNS1_3repE0EEENS1_47radix_sort_onesweep_sort_config_static_selectorELNS0_4arch9wavefront6targetE0EEEvSG_.num_vgpr, 0
	.set _ZN7rocprim17ROCPRIM_400000_NS6detail17trampoline_kernelINS0_14default_configENS1_35radix_sort_onesweep_config_selectorIjNS0_10empty_typeEEEZZNS1_29radix_sort_onesweep_iterationIS3_Lb0EPKjPjPS5_SB_mNS0_19identity_decomposerENS1_16block_id_wrapperIjLb0EEEEE10hipError_tT1_PNSt15iterator_traitsISG_E10value_typeET2_T3_PNSH_ISM_E10value_typeET4_T5_PSR_SS_PNS1_23onesweep_lookback_stateEbbT6_jjT7_P12ihipStream_tbENKUlT_T0_SG_SL_E_clISA_SA_SB_SB_EEDaSZ_S10_SG_SL_EUlSZ_E_NS1_11comp_targetILNS1_3genE3ELNS1_11target_archE908ELNS1_3gpuE7ELNS1_3repE0EEENS1_47radix_sort_onesweep_sort_config_static_selectorELNS0_4arch9wavefront6targetE0EEEvSG_.num_agpr, 0
	.set _ZN7rocprim17ROCPRIM_400000_NS6detail17trampoline_kernelINS0_14default_configENS1_35radix_sort_onesweep_config_selectorIjNS0_10empty_typeEEEZZNS1_29radix_sort_onesweep_iterationIS3_Lb0EPKjPjPS5_SB_mNS0_19identity_decomposerENS1_16block_id_wrapperIjLb0EEEEE10hipError_tT1_PNSt15iterator_traitsISG_E10value_typeET2_T3_PNSH_ISM_E10value_typeET4_T5_PSR_SS_PNS1_23onesweep_lookback_stateEbbT6_jjT7_P12ihipStream_tbENKUlT_T0_SG_SL_E_clISA_SA_SB_SB_EEDaSZ_S10_SG_SL_EUlSZ_E_NS1_11comp_targetILNS1_3genE3ELNS1_11target_archE908ELNS1_3gpuE7ELNS1_3repE0EEENS1_47radix_sort_onesweep_sort_config_static_selectorELNS0_4arch9wavefront6targetE0EEEvSG_.numbered_sgpr, 0
	.set _ZN7rocprim17ROCPRIM_400000_NS6detail17trampoline_kernelINS0_14default_configENS1_35radix_sort_onesweep_config_selectorIjNS0_10empty_typeEEEZZNS1_29radix_sort_onesweep_iterationIS3_Lb0EPKjPjPS5_SB_mNS0_19identity_decomposerENS1_16block_id_wrapperIjLb0EEEEE10hipError_tT1_PNSt15iterator_traitsISG_E10value_typeET2_T3_PNSH_ISM_E10value_typeET4_T5_PSR_SS_PNS1_23onesweep_lookback_stateEbbT6_jjT7_P12ihipStream_tbENKUlT_T0_SG_SL_E_clISA_SA_SB_SB_EEDaSZ_S10_SG_SL_EUlSZ_E_NS1_11comp_targetILNS1_3genE3ELNS1_11target_archE908ELNS1_3gpuE7ELNS1_3repE0EEENS1_47radix_sort_onesweep_sort_config_static_selectorELNS0_4arch9wavefront6targetE0EEEvSG_.num_named_barrier, 0
	.set _ZN7rocprim17ROCPRIM_400000_NS6detail17trampoline_kernelINS0_14default_configENS1_35radix_sort_onesweep_config_selectorIjNS0_10empty_typeEEEZZNS1_29radix_sort_onesweep_iterationIS3_Lb0EPKjPjPS5_SB_mNS0_19identity_decomposerENS1_16block_id_wrapperIjLb0EEEEE10hipError_tT1_PNSt15iterator_traitsISG_E10value_typeET2_T3_PNSH_ISM_E10value_typeET4_T5_PSR_SS_PNS1_23onesweep_lookback_stateEbbT6_jjT7_P12ihipStream_tbENKUlT_T0_SG_SL_E_clISA_SA_SB_SB_EEDaSZ_S10_SG_SL_EUlSZ_E_NS1_11comp_targetILNS1_3genE3ELNS1_11target_archE908ELNS1_3gpuE7ELNS1_3repE0EEENS1_47radix_sort_onesweep_sort_config_static_selectorELNS0_4arch9wavefront6targetE0EEEvSG_.private_seg_size, 0
	.set _ZN7rocprim17ROCPRIM_400000_NS6detail17trampoline_kernelINS0_14default_configENS1_35radix_sort_onesweep_config_selectorIjNS0_10empty_typeEEEZZNS1_29radix_sort_onesweep_iterationIS3_Lb0EPKjPjPS5_SB_mNS0_19identity_decomposerENS1_16block_id_wrapperIjLb0EEEEE10hipError_tT1_PNSt15iterator_traitsISG_E10value_typeET2_T3_PNSH_ISM_E10value_typeET4_T5_PSR_SS_PNS1_23onesweep_lookback_stateEbbT6_jjT7_P12ihipStream_tbENKUlT_T0_SG_SL_E_clISA_SA_SB_SB_EEDaSZ_S10_SG_SL_EUlSZ_E_NS1_11comp_targetILNS1_3genE3ELNS1_11target_archE908ELNS1_3gpuE7ELNS1_3repE0EEENS1_47radix_sort_onesweep_sort_config_static_selectorELNS0_4arch9wavefront6targetE0EEEvSG_.uses_vcc, 0
	.set _ZN7rocprim17ROCPRIM_400000_NS6detail17trampoline_kernelINS0_14default_configENS1_35radix_sort_onesweep_config_selectorIjNS0_10empty_typeEEEZZNS1_29radix_sort_onesweep_iterationIS3_Lb0EPKjPjPS5_SB_mNS0_19identity_decomposerENS1_16block_id_wrapperIjLb0EEEEE10hipError_tT1_PNSt15iterator_traitsISG_E10value_typeET2_T3_PNSH_ISM_E10value_typeET4_T5_PSR_SS_PNS1_23onesweep_lookback_stateEbbT6_jjT7_P12ihipStream_tbENKUlT_T0_SG_SL_E_clISA_SA_SB_SB_EEDaSZ_S10_SG_SL_EUlSZ_E_NS1_11comp_targetILNS1_3genE3ELNS1_11target_archE908ELNS1_3gpuE7ELNS1_3repE0EEENS1_47radix_sort_onesweep_sort_config_static_selectorELNS0_4arch9wavefront6targetE0EEEvSG_.uses_flat_scratch, 0
	.set _ZN7rocprim17ROCPRIM_400000_NS6detail17trampoline_kernelINS0_14default_configENS1_35radix_sort_onesweep_config_selectorIjNS0_10empty_typeEEEZZNS1_29radix_sort_onesweep_iterationIS3_Lb0EPKjPjPS5_SB_mNS0_19identity_decomposerENS1_16block_id_wrapperIjLb0EEEEE10hipError_tT1_PNSt15iterator_traitsISG_E10value_typeET2_T3_PNSH_ISM_E10value_typeET4_T5_PSR_SS_PNS1_23onesweep_lookback_stateEbbT6_jjT7_P12ihipStream_tbENKUlT_T0_SG_SL_E_clISA_SA_SB_SB_EEDaSZ_S10_SG_SL_EUlSZ_E_NS1_11comp_targetILNS1_3genE3ELNS1_11target_archE908ELNS1_3gpuE7ELNS1_3repE0EEENS1_47radix_sort_onesweep_sort_config_static_selectorELNS0_4arch9wavefront6targetE0EEEvSG_.has_dyn_sized_stack, 0
	.set _ZN7rocprim17ROCPRIM_400000_NS6detail17trampoline_kernelINS0_14default_configENS1_35radix_sort_onesweep_config_selectorIjNS0_10empty_typeEEEZZNS1_29radix_sort_onesweep_iterationIS3_Lb0EPKjPjPS5_SB_mNS0_19identity_decomposerENS1_16block_id_wrapperIjLb0EEEEE10hipError_tT1_PNSt15iterator_traitsISG_E10value_typeET2_T3_PNSH_ISM_E10value_typeET4_T5_PSR_SS_PNS1_23onesweep_lookback_stateEbbT6_jjT7_P12ihipStream_tbENKUlT_T0_SG_SL_E_clISA_SA_SB_SB_EEDaSZ_S10_SG_SL_EUlSZ_E_NS1_11comp_targetILNS1_3genE3ELNS1_11target_archE908ELNS1_3gpuE7ELNS1_3repE0EEENS1_47radix_sort_onesweep_sort_config_static_selectorELNS0_4arch9wavefront6targetE0EEEvSG_.has_recursion, 0
	.set _ZN7rocprim17ROCPRIM_400000_NS6detail17trampoline_kernelINS0_14default_configENS1_35radix_sort_onesweep_config_selectorIjNS0_10empty_typeEEEZZNS1_29radix_sort_onesweep_iterationIS3_Lb0EPKjPjPS5_SB_mNS0_19identity_decomposerENS1_16block_id_wrapperIjLb0EEEEE10hipError_tT1_PNSt15iterator_traitsISG_E10value_typeET2_T3_PNSH_ISM_E10value_typeET4_T5_PSR_SS_PNS1_23onesweep_lookback_stateEbbT6_jjT7_P12ihipStream_tbENKUlT_T0_SG_SL_E_clISA_SA_SB_SB_EEDaSZ_S10_SG_SL_EUlSZ_E_NS1_11comp_targetILNS1_3genE3ELNS1_11target_archE908ELNS1_3gpuE7ELNS1_3repE0EEENS1_47radix_sort_onesweep_sort_config_static_selectorELNS0_4arch9wavefront6targetE0EEEvSG_.has_indirect_call, 0
	.section	.AMDGPU.csdata,"",@progbits
; Kernel info:
; codeLenInByte = 0
; TotalNumSgprs: 0
; NumVgprs: 0
; ScratchSize: 0
; MemoryBound: 0
; FloatMode: 240
; IeeeMode: 1
; LDSByteSize: 0 bytes/workgroup (compile time only)
; SGPRBlocks: 0
; VGPRBlocks: 0
; NumSGPRsForWavesPerEU: 1
; NumVGPRsForWavesPerEU: 1
; NamedBarCnt: 0
; Occupancy: 16
; WaveLimiterHint : 0
; COMPUTE_PGM_RSRC2:SCRATCH_EN: 0
; COMPUTE_PGM_RSRC2:USER_SGPR: 2
; COMPUTE_PGM_RSRC2:TRAP_HANDLER: 0
; COMPUTE_PGM_RSRC2:TGID_X_EN: 1
; COMPUTE_PGM_RSRC2:TGID_Y_EN: 0
; COMPUTE_PGM_RSRC2:TGID_Z_EN: 0
; COMPUTE_PGM_RSRC2:TIDIG_COMP_CNT: 0
	.section	.text._ZN7rocprim17ROCPRIM_400000_NS6detail17trampoline_kernelINS0_14default_configENS1_35radix_sort_onesweep_config_selectorIjNS0_10empty_typeEEEZZNS1_29radix_sort_onesweep_iterationIS3_Lb0EPKjPjPS5_SB_mNS0_19identity_decomposerENS1_16block_id_wrapperIjLb0EEEEE10hipError_tT1_PNSt15iterator_traitsISG_E10value_typeET2_T3_PNSH_ISM_E10value_typeET4_T5_PSR_SS_PNS1_23onesweep_lookback_stateEbbT6_jjT7_P12ihipStream_tbENKUlT_T0_SG_SL_E_clISA_SA_SB_SB_EEDaSZ_S10_SG_SL_EUlSZ_E_NS1_11comp_targetILNS1_3genE10ELNS1_11target_archE1201ELNS1_3gpuE5ELNS1_3repE0EEENS1_47radix_sort_onesweep_sort_config_static_selectorELNS0_4arch9wavefront6targetE0EEEvSG_,"axG",@progbits,_ZN7rocprim17ROCPRIM_400000_NS6detail17trampoline_kernelINS0_14default_configENS1_35radix_sort_onesweep_config_selectorIjNS0_10empty_typeEEEZZNS1_29radix_sort_onesweep_iterationIS3_Lb0EPKjPjPS5_SB_mNS0_19identity_decomposerENS1_16block_id_wrapperIjLb0EEEEE10hipError_tT1_PNSt15iterator_traitsISG_E10value_typeET2_T3_PNSH_ISM_E10value_typeET4_T5_PSR_SS_PNS1_23onesweep_lookback_stateEbbT6_jjT7_P12ihipStream_tbENKUlT_T0_SG_SL_E_clISA_SA_SB_SB_EEDaSZ_S10_SG_SL_EUlSZ_E_NS1_11comp_targetILNS1_3genE10ELNS1_11target_archE1201ELNS1_3gpuE5ELNS1_3repE0EEENS1_47radix_sort_onesweep_sort_config_static_selectorELNS0_4arch9wavefront6targetE0EEEvSG_,comdat
	.protected	_ZN7rocprim17ROCPRIM_400000_NS6detail17trampoline_kernelINS0_14default_configENS1_35radix_sort_onesweep_config_selectorIjNS0_10empty_typeEEEZZNS1_29radix_sort_onesweep_iterationIS3_Lb0EPKjPjPS5_SB_mNS0_19identity_decomposerENS1_16block_id_wrapperIjLb0EEEEE10hipError_tT1_PNSt15iterator_traitsISG_E10value_typeET2_T3_PNSH_ISM_E10value_typeET4_T5_PSR_SS_PNS1_23onesweep_lookback_stateEbbT6_jjT7_P12ihipStream_tbENKUlT_T0_SG_SL_E_clISA_SA_SB_SB_EEDaSZ_S10_SG_SL_EUlSZ_E_NS1_11comp_targetILNS1_3genE10ELNS1_11target_archE1201ELNS1_3gpuE5ELNS1_3repE0EEENS1_47radix_sort_onesweep_sort_config_static_selectorELNS0_4arch9wavefront6targetE0EEEvSG_ ; -- Begin function _ZN7rocprim17ROCPRIM_400000_NS6detail17trampoline_kernelINS0_14default_configENS1_35radix_sort_onesweep_config_selectorIjNS0_10empty_typeEEEZZNS1_29radix_sort_onesweep_iterationIS3_Lb0EPKjPjPS5_SB_mNS0_19identity_decomposerENS1_16block_id_wrapperIjLb0EEEEE10hipError_tT1_PNSt15iterator_traitsISG_E10value_typeET2_T3_PNSH_ISM_E10value_typeET4_T5_PSR_SS_PNS1_23onesweep_lookback_stateEbbT6_jjT7_P12ihipStream_tbENKUlT_T0_SG_SL_E_clISA_SA_SB_SB_EEDaSZ_S10_SG_SL_EUlSZ_E_NS1_11comp_targetILNS1_3genE10ELNS1_11target_archE1201ELNS1_3gpuE5ELNS1_3repE0EEENS1_47radix_sort_onesweep_sort_config_static_selectorELNS0_4arch9wavefront6targetE0EEEvSG_
	.globl	_ZN7rocprim17ROCPRIM_400000_NS6detail17trampoline_kernelINS0_14default_configENS1_35radix_sort_onesweep_config_selectorIjNS0_10empty_typeEEEZZNS1_29radix_sort_onesweep_iterationIS3_Lb0EPKjPjPS5_SB_mNS0_19identity_decomposerENS1_16block_id_wrapperIjLb0EEEEE10hipError_tT1_PNSt15iterator_traitsISG_E10value_typeET2_T3_PNSH_ISM_E10value_typeET4_T5_PSR_SS_PNS1_23onesweep_lookback_stateEbbT6_jjT7_P12ihipStream_tbENKUlT_T0_SG_SL_E_clISA_SA_SB_SB_EEDaSZ_S10_SG_SL_EUlSZ_E_NS1_11comp_targetILNS1_3genE10ELNS1_11target_archE1201ELNS1_3gpuE5ELNS1_3repE0EEENS1_47radix_sort_onesweep_sort_config_static_selectorELNS0_4arch9wavefront6targetE0EEEvSG_
	.p2align	8
	.type	_ZN7rocprim17ROCPRIM_400000_NS6detail17trampoline_kernelINS0_14default_configENS1_35radix_sort_onesweep_config_selectorIjNS0_10empty_typeEEEZZNS1_29radix_sort_onesweep_iterationIS3_Lb0EPKjPjPS5_SB_mNS0_19identity_decomposerENS1_16block_id_wrapperIjLb0EEEEE10hipError_tT1_PNSt15iterator_traitsISG_E10value_typeET2_T3_PNSH_ISM_E10value_typeET4_T5_PSR_SS_PNS1_23onesweep_lookback_stateEbbT6_jjT7_P12ihipStream_tbENKUlT_T0_SG_SL_E_clISA_SA_SB_SB_EEDaSZ_S10_SG_SL_EUlSZ_E_NS1_11comp_targetILNS1_3genE10ELNS1_11target_archE1201ELNS1_3gpuE5ELNS1_3repE0EEENS1_47radix_sort_onesweep_sort_config_static_selectorELNS0_4arch9wavefront6targetE0EEEvSG_,@function
_ZN7rocprim17ROCPRIM_400000_NS6detail17trampoline_kernelINS0_14default_configENS1_35radix_sort_onesweep_config_selectorIjNS0_10empty_typeEEEZZNS1_29radix_sort_onesweep_iterationIS3_Lb0EPKjPjPS5_SB_mNS0_19identity_decomposerENS1_16block_id_wrapperIjLb0EEEEE10hipError_tT1_PNSt15iterator_traitsISG_E10value_typeET2_T3_PNSH_ISM_E10value_typeET4_T5_PSR_SS_PNS1_23onesweep_lookback_stateEbbT6_jjT7_P12ihipStream_tbENKUlT_T0_SG_SL_E_clISA_SA_SB_SB_EEDaSZ_S10_SG_SL_EUlSZ_E_NS1_11comp_targetILNS1_3genE10ELNS1_11target_archE1201ELNS1_3gpuE5ELNS1_3repE0EEENS1_47radix_sort_onesweep_sort_config_static_selectorELNS0_4arch9wavefront6targetE0EEEvSG_: ; @_ZN7rocprim17ROCPRIM_400000_NS6detail17trampoline_kernelINS0_14default_configENS1_35radix_sort_onesweep_config_selectorIjNS0_10empty_typeEEEZZNS1_29radix_sort_onesweep_iterationIS3_Lb0EPKjPjPS5_SB_mNS0_19identity_decomposerENS1_16block_id_wrapperIjLb0EEEEE10hipError_tT1_PNSt15iterator_traitsISG_E10value_typeET2_T3_PNSH_ISM_E10value_typeET4_T5_PSR_SS_PNS1_23onesweep_lookback_stateEbbT6_jjT7_P12ihipStream_tbENKUlT_T0_SG_SL_E_clISA_SA_SB_SB_EEDaSZ_S10_SG_SL_EUlSZ_E_NS1_11comp_targetILNS1_3genE10ELNS1_11target_archE1201ELNS1_3gpuE5ELNS1_3repE0EEENS1_47radix_sort_onesweep_sort_config_static_selectorELNS0_4arch9wavefront6targetE0EEEvSG_
; %bb.0:
	.section	.rodata,"a",@progbits
	.p2align	6, 0x0
	.amdhsa_kernel _ZN7rocprim17ROCPRIM_400000_NS6detail17trampoline_kernelINS0_14default_configENS1_35radix_sort_onesweep_config_selectorIjNS0_10empty_typeEEEZZNS1_29radix_sort_onesweep_iterationIS3_Lb0EPKjPjPS5_SB_mNS0_19identity_decomposerENS1_16block_id_wrapperIjLb0EEEEE10hipError_tT1_PNSt15iterator_traitsISG_E10value_typeET2_T3_PNSH_ISM_E10value_typeET4_T5_PSR_SS_PNS1_23onesweep_lookback_stateEbbT6_jjT7_P12ihipStream_tbENKUlT_T0_SG_SL_E_clISA_SA_SB_SB_EEDaSZ_S10_SG_SL_EUlSZ_E_NS1_11comp_targetILNS1_3genE10ELNS1_11target_archE1201ELNS1_3gpuE5ELNS1_3repE0EEENS1_47radix_sort_onesweep_sort_config_static_selectorELNS0_4arch9wavefront6targetE0EEEvSG_
		.amdhsa_group_segment_fixed_size 0
		.amdhsa_private_segment_fixed_size 0
		.amdhsa_kernarg_size 88
		.amdhsa_user_sgpr_count 2
		.amdhsa_user_sgpr_dispatch_ptr 0
		.amdhsa_user_sgpr_queue_ptr 0
		.amdhsa_user_sgpr_kernarg_segment_ptr 1
		.amdhsa_user_sgpr_dispatch_id 0
		.amdhsa_user_sgpr_kernarg_preload_length 0
		.amdhsa_user_sgpr_kernarg_preload_offset 0
		.amdhsa_user_sgpr_private_segment_size 0
		.amdhsa_wavefront_size32 1
		.amdhsa_uses_dynamic_stack 0
		.amdhsa_enable_private_segment 0
		.amdhsa_system_sgpr_workgroup_id_x 1
		.amdhsa_system_sgpr_workgroup_id_y 0
		.amdhsa_system_sgpr_workgroup_id_z 0
		.amdhsa_system_sgpr_workgroup_info 0
		.amdhsa_system_vgpr_workitem_id 0
		.amdhsa_next_free_vgpr 1
		.amdhsa_next_free_sgpr 1
		.amdhsa_named_barrier_count 0
		.amdhsa_reserve_vcc 0
		.amdhsa_float_round_mode_32 0
		.amdhsa_float_round_mode_16_64 0
		.amdhsa_float_denorm_mode_32 3
		.amdhsa_float_denorm_mode_16_64 3
		.amdhsa_fp16_overflow 0
		.amdhsa_memory_ordered 1
		.amdhsa_forward_progress 1
		.amdhsa_inst_pref_size 0
		.amdhsa_round_robin_scheduling 0
		.amdhsa_exception_fp_ieee_invalid_op 0
		.amdhsa_exception_fp_denorm_src 0
		.amdhsa_exception_fp_ieee_div_zero 0
		.amdhsa_exception_fp_ieee_overflow 0
		.amdhsa_exception_fp_ieee_underflow 0
		.amdhsa_exception_fp_ieee_inexact 0
		.amdhsa_exception_int_div_zero 0
	.end_amdhsa_kernel
	.section	.text._ZN7rocprim17ROCPRIM_400000_NS6detail17trampoline_kernelINS0_14default_configENS1_35radix_sort_onesweep_config_selectorIjNS0_10empty_typeEEEZZNS1_29radix_sort_onesweep_iterationIS3_Lb0EPKjPjPS5_SB_mNS0_19identity_decomposerENS1_16block_id_wrapperIjLb0EEEEE10hipError_tT1_PNSt15iterator_traitsISG_E10value_typeET2_T3_PNSH_ISM_E10value_typeET4_T5_PSR_SS_PNS1_23onesweep_lookback_stateEbbT6_jjT7_P12ihipStream_tbENKUlT_T0_SG_SL_E_clISA_SA_SB_SB_EEDaSZ_S10_SG_SL_EUlSZ_E_NS1_11comp_targetILNS1_3genE10ELNS1_11target_archE1201ELNS1_3gpuE5ELNS1_3repE0EEENS1_47radix_sort_onesweep_sort_config_static_selectorELNS0_4arch9wavefront6targetE0EEEvSG_,"axG",@progbits,_ZN7rocprim17ROCPRIM_400000_NS6detail17trampoline_kernelINS0_14default_configENS1_35radix_sort_onesweep_config_selectorIjNS0_10empty_typeEEEZZNS1_29radix_sort_onesweep_iterationIS3_Lb0EPKjPjPS5_SB_mNS0_19identity_decomposerENS1_16block_id_wrapperIjLb0EEEEE10hipError_tT1_PNSt15iterator_traitsISG_E10value_typeET2_T3_PNSH_ISM_E10value_typeET4_T5_PSR_SS_PNS1_23onesweep_lookback_stateEbbT6_jjT7_P12ihipStream_tbENKUlT_T0_SG_SL_E_clISA_SA_SB_SB_EEDaSZ_S10_SG_SL_EUlSZ_E_NS1_11comp_targetILNS1_3genE10ELNS1_11target_archE1201ELNS1_3gpuE5ELNS1_3repE0EEENS1_47radix_sort_onesweep_sort_config_static_selectorELNS0_4arch9wavefront6targetE0EEEvSG_,comdat
.Lfunc_end2777:
	.size	_ZN7rocprim17ROCPRIM_400000_NS6detail17trampoline_kernelINS0_14default_configENS1_35radix_sort_onesweep_config_selectorIjNS0_10empty_typeEEEZZNS1_29radix_sort_onesweep_iterationIS3_Lb0EPKjPjPS5_SB_mNS0_19identity_decomposerENS1_16block_id_wrapperIjLb0EEEEE10hipError_tT1_PNSt15iterator_traitsISG_E10value_typeET2_T3_PNSH_ISM_E10value_typeET4_T5_PSR_SS_PNS1_23onesweep_lookback_stateEbbT6_jjT7_P12ihipStream_tbENKUlT_T0_SG_SL_E_clISA_SA_SB_SB_EEDaSZ_S10_SG_SL_EUlSZ_E_NS1_11comp_targetILNS1_3genE10ELNS1_11target_archE1201ELNS1_3gpuE5ELNS1_3repE0EEENS1_47radix_sort_onesweep_sort_config_static_selectorELNS0_4arch9wavefront6targetE0EEEvSG_, .Lfunc_end2777-_ZN7rocprim17ROCPRIM_400000_NS6detail17trampoline_kernelINS0_14default_configENS1_35radix_sort_onesweep_config_selectorIjNS0_10empty_typeEEEZZNS1_29radix_sort_onesweep_iterationIS3_Lb0EPKjPjPS5_SB_mNS0_19identity_decomposerENS1_16block_id_wrapperIjLb0EEEEE10hipError_tT1_PNSt15iterator_traitsISG_E10value_typeET2_T3_PNSH_ISM_E10value_typeET4_T5_PSR_SS_PNS1_23onesweep_lookback_stateEbbT6_jjT7_P12ihipStream_tbENKUlT_T0_SG_SL_E_clISA_SA_SB_SB_EEDaSZ_S10_SG_SL_EUlSZ_E_NS1_11comp_targetILNS1_3genE10ELNS1_11target_archE1201ELNS1_3gpuE5ELNS1_3repE0EEENS1_47radix_sort_onesweep_sort_config_static_selectorELNS0_4arch9wavefront6targetE0EEEvSG_
                                        ; -- End function
	.set _ZN7rocprim17ROCPRIM_400000_NS6detail17trampoline_kernelINS0_14default_configENS1_35radix_sort_onesweep_config_selectorIjNS0_10empty_typeEEEZZNS1_29radix_sort_onesweep_iterationIS3_Lb0EPKjPjPS5_SB_mNS0_19identity_decomposerENS1_16block_id_wrapperIjLb0EEEEE10hipError_tT1_PNSt15iterator_traitsISG_E10value_typeET2_T3_PNSH_ISM_E10value_typeET4_T5_PSR_SS_PNS1_23onesweep_lookback_stateEbbT6_jjT7_P12ihipStream_tbENKUlT_T0_SG_SL_E_clISA_SA_SB_SB_EEDaSZ_S10_SG_SL_EUlSZ_E_NS1_11comp_targetILNS1_3genE10ELNS1_11target_archE1201ELNS1_3gpuE5ELNS1_3repE0EEENS1_47radix_sort_onesweep_sort_config_static_selectorELNS0_4arch9wavefront6targetE0EEEvSG_.num_vgpr, 0
	.set _ZN7rocprim17ROCPRIM_400000_NS6detail17trampoline_kernelINS0_14default_configENS1_35radix_sort_onesweep_config_selectorIjNS0_10empty_typeEEEZZNS1_29radix_sort_onesweep_iterationIS3_Lb0EPKjPjPS5_SB_mNS0_19identity_decomposerENS1_16block_id_wrapperIjLb0EEEEE10hipError_tT1_PNSt15iterator_traitsISG_E10value_typeET2_T3_PNSH_ISM_E10value_typeET4_T5_PSR_SS_PNS1_23onesweep_lookback_stateEbbT6_jjT7_P12ihipStream_tbENKUlT_T0_SG_SL_E_clISA_SA_SB_SB_EEDaSZ_S10_SG_SL_EUlSZ_E_NS1_11comp_targetILNS1_3genE10ELNS1_11target_archE1201ELNS1_3gpuE5ELNS1_3repE0EEENS1_47radix_sort_onesweep_sort_config_static_selectorELNS0_4arch9wavefront6targetE0EEEvSG_.num_agpr, 0
	.set _ZN7rocprim17ROCPRIM_400000_NS6detail17trampoline_kernelINS0_14default_configENS1_35radix_sort_onesweep_config_selectorIjNS0_10empty_typeEEEZZNS1_29radix_sort_onesweep_iterationIS3_Lb0EPKjPjPS5_SB_mNS0_19identity_decomposerENS1_16block_id_wrapperIjLb0EEEEE10hipError_tT1_PNSt15iterator_traitsISG_E10value_typeET2_T3_PNSH_ISM_E10value_typeET4_T5_PSR_SS_PNS1_23onesweep_lookback_stateEbbT6_jjT7_P12ihipStream_tbENKUlT_T0_SG_SL_E_clISA_SA_SB_SB_EEDaSZ_S10_SG_SL_EUlSZ_E_NS1_11comp_targetILNS1_3genE10ELNS1_11target_archE1201ELNS1_3gpuE5ELNS1_3repE0EEENS1_47radix_sort_onesweep_sort_config_static_selectorELNS0_4arch9wavefront6targetE0EEEvSG_.numbered_sgpr, 0
	.set _ZN7rocprim17ROCPRIM_400000_NS6detail17trampoline_kernelINS0_14default_configENS1_35radix_sort_onesweep_config_selectorIjNS0_10empty_typeEEEZZNS1_29radix_sort_onesweep_iterationIS3_Lb0EPKjPjPS5_SB_mNS0_19identity_decomposerENS1_16block_id_wrapperIjLb0EEEEE10hipError_tT1_PNSt15iterator_traitsISG_E10value_typeET2_T3_PNSH_ISM_E10value_typeET4_T5_PSR_SS_PNS1_23onesweep_lookback_stateEbbT6_jjT7_P12ihipStream_tbENKUlT_T0_SG_SL_E_clISA_SA_SB_SB_EEDaSZ_S10_SG_SL_EUlSZ_E_NS1_11comp_targetILNS1_3genE10ELNS1_11target_archE1201ELNS1_3gpuE5ELNS1_3repE0EEENS1_47radix_sort_onesweep_sort_config_static_selectorELNS0_4arch9wavefront6targetE0EEEvSG_.num_named_barrier, 0
	.set _ZN7rocprim17ROCPRIM_400000_NS6detail17trampoline_kernelINS0_14default_configENS1_35radix_sort_onesweep_config_selectorIjNS0_10empty_typeEEEZZNS1_29radix_sort_onesweep_iterationIS3_Lb0EPKjPjPS5_SB_mNS0_19identity_decomposerENS1_16block_id_wrapperIjLb0EEEEE10hipError_tT1_PNSt15iterator_traitsISG_E10value_typeET2_T3_PNSH_ISM_E10value_typeET4_T5_PSR_SS_PNS1_23onesweep_lookback_stateEbbT6_jjT7_P12ihipStream_tbENKUlT_T0_SG_SL_E_clISA_SA_SB_SB_EEDaSZ_S10_SG_SL_EUlSZ_E_NS1_11comp_targetILNS1_3genE10ELNS1_11target_archE1201ELNS1_3gpuE5ELNS1_3repE0EEENS1_47radix_sort_onesweep_sort_config_static_selectorELNS0_4arch9wavefront6targetE0EEEvSG_.private_seg_size, 0
	.set _ZN7rocprim17ROCPRIM_400000_NS6detail17trampoline_kernelINS0_14default_configENS1_35radix_sort_onesweep_config_selectorIjNS0_10empty_typeEEEZZNS1_29radix_sort_onesweep_iterationIS3_Lb0EPKjPjPS5_SB_mNS0_19identity_decomposerENS1_16block_id_wrapperIjLb0EEEEE10hipError_tT1_PNSt15iterator_traitsISG_E10value_typeET2_T3_PNSH_ISM_E10value_typeET4_T5_PSR_SS_PNS1_23onesweep_lookback_stateEbbT6_jjT7_P12ihipStream_tbENKUlT_T0_SG_SL_E_clISA_SA_SB_SB_EEDaSZ_S10_SG_SL_EUlSZ_E_NS1_11comp_targetILNS1_3genE10ELNS1_11target_archE1201ELNS1_3gpuE5ELNS1_3repE0EEENS1_47radix_sort_onesweep_sort_config_static_selectorELNS0_4arch9wavefront6targetE0EEEvSG_.uses_vcc, 0
	.set _ZN7rocprim17ROCPRIM_400000_NS6detail17trampoline_kernelINS0_14default_configENS1_35radix_sort_onesweep_config_selectorIjNS0_10empty_typeEEEZZNS1_29radix_sort_onesweep_iterationIS3_Lb0EPKjPjPS5_SB_mNS0_19identity_decomposerENS1_16block_id_wrapperIjLb0EEEEE10hipError_tT1_PNSt15iterator_traitsISG_E10value_typeET2_T3_PNSH_ISM_E10value_typeET4_T5_PSR_SS_PNS1_23onesweep_lookback_stateEbbT6_jjT7_P12ihipStream_tbENKUlT_T0_SG_SL_E_clISA_SA_SB_SB_EEDaSZ_S10_SG_SL_EUlSZ_E_NS1_11comp_targetILNS1_3genE10ELNS1_11target_archE1201ELNS1_3gpuE5ELNS1_3repE0EEENS1_47radix_sort_onesweep_sort_config_static_selectorELNS0_4arch9wavefront6targetE0EEEvSG_.uses_flat_scratch, 0
	.set _ZN7rocprim17ROCPRIM_400000_NS6detail17trampoline_kernelINS0_14default_configENS1_35radix_sort_onesweep_config_selectorIjNS0_10empty_typeEEEZZNS1_29radix_sort_onesweep_iterationIS3_Lb0EPKjPjPS5_SB_mNS0_19identity_decomposerENS1_16block_id_wrapperIjLb0EEEEE10hipError_tT1_PNSt15iterator_traitsISG_E10value_typeET2_T3_PNSH_ISM_E10value_typeET4_T5_PSR_SS_PNS1_23onesweep_lookback_stateEbbT6_jjT7_P12ihipStream_tbENKUlT_T0_SG_SL_E_clISA_SA_SB_SB_EEDaSZ_S10_SG_SL_EUlSZ_E_NS1_11comp_targetILNS1_3genE10ELNS1_11target_archE1201ELNS1_3gpuE5ELNS1_3repE0EEENS1_47radix_sort_onesweep_sort_config_static_selectorELNS0_4arch9wavefront6targetE0EEEvSG_.has_dyn_sized_stack, 0
	.set _ZN7rocprim17ROCPRIM_400000_NS6detail17trampoline_kernelINS0_14default_configENS1_35radix_sort_onesweep_config_selectorIjNS0_10empty_typeEEEZZNS1_29radix_sort_onesweep_iterationIS3_Lb0EPKjPjPS5_SB_mNS0_19identity_decomposerENS1_16block_id_wrapperIjLb0EEEEE10hipError_tT1_PNSt15iterator_traitsISG_E10value_typeET2_T3_PNSH_ISM_E10value_typeET4_T5_PSR_SS_PNS1_23onesweep_lookback_stateEbbT6_jjT7_P12ihipStream_tbENKUlT_T0_SG_SL_E_clISA_SA_SB_SB_EEDaSZ_S10_SG_SL_EUlSZ_E_NS1_11comp_targetILNS1_3genE10ELNS1_11target_archE1201ELNS1_3gpuE5ELNS1_3repE0EEENS1_47radix_sort_onesweep_sort_config_static_selectorELNS0_4arch9wavefront6targetE0EEEvSG_.has_recursion, 0
	.set _ZN7rocprim17ROCPRIM_400000_NS6detail17trampoline_kernelINS0_14default_configENS1_35radix_sort_onesweep_config_selectorIjNS0_10empty_typeEEEZZNS1_29radix_sort_onesweep_iterationIS3_Lb0EPKjPjPS5_SB_mNS0_19identity_decomposerENS1_16block_id_wrapperIjLb0EEEEE10hipError_tT1_PNSt15iterator_traitsISG_E10value_typeET2_T3_PNSH_ISM_E10value_typeET4_T5_PSR_SS_PNS1_23onesweep_lookback_stateEbbT6_jjT7_P12ihipStream_tbENKUlT_T0_SG_SL_E_clISA_SA_SB_SB_EEDaSZ_S10_SG_SL_EUlSZ_E_NS1_11comp_targetILNS1_3genE10ELNS1_11target_archE1201ELNS1_3gpuE5ELNS1_3repE0EEENS1_47radix_sort_onesweep_sort_config_static_selectorELNS0_4arch9wavefront6targetE0EEEvSG_.has_indirect_call, 0
	.section	.AMDGPU.csdata,"",@progbits
; Kernel info:
; codeLenInByte = 0
; TotalNumSgprs: 0
; NumVgprs: 0
; ScratchSize: 0
; MemoryBound: 0
; FloatMode: 240
; IeeeMode: 1
; LDSByteSize: 0 bytes/workgroup (compile time only)
; SGPRBlocks: 0
; VGPRBlocks: 0
; NumSGPRsForWavesPerEU: 1
; NumVGPRsForWavesPerEU: 1
; NamedBarCnt: 0
; Occupancy: 16
; WaveLimiterHint : 0
; COMPUTE_PGM_RSRC2:SCRATCH_EN: 0
; COMPUTE_PGM_RSRC2:USER_SGPR: 2
; COMPUTE_PGM_RSRC2:TRAP_HANDLER: 0
; COMPUTE_PGM_RSRC2:TGID_X_EN: 1
; COMPUTE_PGM_RSRC2:TGID_Y_EN: 0
; COMPUTE_PGM_RSRC2:TGID_Z_EN: 0
; COMPUTE_PGM_RSRC2:TIDIG_COMP_CNT: 0
	.section	.text._ZN7rocprim17ROCPRIM_400000_NS6detail17trampoline_kernelINS0_14default_configENS1_35radix_sort_onesweep_config_selectorIjNS0_10empty_typeEEEZZNS1_29radix_sort_onesweep_iterationIS3_Lb0EPKjPjPS5_SB_mNS0_19identity_decomposerENS1_16block_id_wrapperIjLb0EEEEE10hipError_tT1_PNSt15iterator_traitsISG_E10value_typeET2_T3_PNSH_ISM_E10value_typeET4_T5_PSR_SS_PNS1_23onesweep_lookback_stateEbbT6_jjT7_P12ihipStream_tbENKUlT_T0_SG_SL_E_clISA_SA_SB_SB_EEDaSZ_S10_SG_SL_EUlSZ_E_NS1_11comp_targetILNS1_3genE9ELNS1_11target_archE1100ELNS1_3gpuE3ELNS1_3repE0EEENS1_47radix_sort_onesweep_sort_config_static_selectorELNS0_4arch9wavefront6targetE0EEEvSG_,"axG",@progbits,_ZN7rocprim17ROCPRIM_400000_NS6detail17trampoline_kernelINS0_14default_configENS1_35radix_sort_onesweep_config_selectorIjNS0_10empty_typeEEEZZNS1_29radix_sort_onesweep_iterationIS3_Lb0EPKjPjPS5_SB_mNS0_19identity_decomposerENS1_16block_id_wrapperIjLb0EEEEE10hipError_tT1_PNSt15iterator_traitsISG_E10value_typeET2_T3_PNSH_ISM_E10value_typeET4_T5_PSR_SS_PNS1_23onesweep_lookback_stateEbbT6_jjT7_P12ihipStream_tbENKUlT_T0_SG_SL_E_clISA_SA_SB_SB_EEDaSZ_S10_SG_SL_EUlSZ_E_NS1_11comp_targetILNS1_3genE9ELNS1_11target_archE1100ELNS1_3gpuE3ELNS1_3repE0EEENS1_47radix_sort_onesweep_sort_config_static_selectorELNS0_4arch9wavefront6targetE0EEEvSG_,comdat
	.protected	_ZN7rocprim17ROCPRIM_400000_NS6detail17trampoline_kernelINS0_14default_configENS1_35radix_sort_onesweep_config_selectorIjNS0_10empty_typeEEEZZNS1_29radix_sort_onesweep_iterationIS3_Lb0EPKjPjPS5_SB_mNS0_19identity_decomposerENS1_16block_id_wrapperIjLb0EEEEE10hipError_tT1_PNSt15iterator_traitsISG_E10value_typeET2_T3_PNSH_ISM_E10value_typeET4_T5_PSR_SS_PNS1_23onesweep_lookback_stateEbbT6_jjT7_P12ihipStream_tbENKUlT_T0_SG_SL_E_clISA_SA_SB_SB_EEDaSZ_S10_SG_SL_EUlSZ_E_NS1_11comp_targetILNS1_3genE9ELNS1_11target_archE1100ELNS1_3gpuE3ELNS1_3repE0EEENS1_47radix_sort_onesweep_sort_config_static_selectorELNS0_4arch9wavefront6targetE0EEEvSG_ ; -- Begin function _ZN7rocprim17ROCPRIM_400000_NS6detail17trampoline_kernelINS0_14default_configENS1_35radix_sort_onesweep_config_selectorIjNS0_10empty_typeEEEZZNS1_29radix_sort_onesweep_iterationIS3_Lb0EPKjPjPS5_SB_mNS0_19identity_decomposerENS1_16block_id_wrapperIjLb0EEEEE10hipError_tT1_PNSt15iterator_traitsISG_E10value_typeET2_T3_PNSH_ISM_E10value_typeET4_T5_PSR_SS_PNS1_23onesweep_lookback_stateEbbT6_jjT7_P12ihipStream_tbENKUlT_T0_SG_SL_E_clISA_SA_SB_SB_EEDaSZ_S10_SG_SL_EUlSZ_E_NS1_11comp_targetILNS1_3genE9ELNS1_11target_archE1100ELNS1_3gpuE3ELNS1_3repE0EEENS1_47radix_sort_onesweep_sort_config_static_selectorELNS0_4arch9wavefront6targetE0EEEvSG_
	.globl	_ZN7rocprim17ROCPRIM_400000_NS6detail17trampoline_kernelINS0_14default_configENS1_35radix_sort_onesweep_config_selectorIjNS0_10empty_typeEEEZZNS1_29radix_sort_onesweep_iterationIS3_Lb0EPKjPjPS5_SB_mNS0_19identity_decomposerENS1_16block_id_wrapperIjLb0EEEEE10hipError_tT1_PNSt15iterator_traitsISG_E10value_typeET2_T3_PNSH_ISM_E10value_typeET4_T5_PSR_SS_PNS1_23onesweep_lookback_stateEbbT6_jjT7_P12ihipStream_tbENKUlT_T0_SG_SL_E_clISA_SA_SB_SB_EEDaSZ_S10_SG_SL_EUlSZ_E_NS1_11comp_targetILNS1_3genE9ELNS1_11target_archE1100ELNS1_3gpuE3ELNS1_3repE0EEENS1_47radix_sort_onesweep_sort_config_static_selectorELNS0_4arch9wavefront6targetE0EEEvSG_
	.p2align	8
	.type	_ZN7rocprim17ROCPRIM_400000_NS6detail17trampoline_kernelINS0_14default_configENS1_35radix_sort_onesweep_config_selectorIjNS0_10empty_typeEEEZZNS1_29radix_sort_onesweep_iterationIS3_Lb0EPKjPjPS5_SB_mNS0_19identity_decomposerENS1_16block_id_wrapperIjLb0EEEEE10hipError_tT1_PNSt15iterator_traitsISG_E10value_typeET2_T3_PNSH_ISM_E10value_typeET4_T5_PSR_SS_PNS1_23onesweep_lookback_stateEbbT6_jjT7_P12ihipStream_tbENKUlT_T0_SG_SL_E_clISA_SA_SB_SB_EEDaSZ_S10_SG_SL_EUlSZ_E_NS1_11comp_targetILNS1_3genE9ELNS1_11target_archE1100ELNS1_3gpuE3ELNS1_3repE0EEENS1_47radix_sort_onesweep_sort_config_static_selectorELNS0_4arch9wavefront6targetE0EEEvSG_,@function
_ZN7rocprim17ROCPRIM_400000_NS6detail17trampoline_kernelINS0_14default_configENS1_35radix_sort_onesweep_config_selectorIjNS0_10empty_typeEEEZZNS1_29radix_sort_onesweep_iterationIS3_Lb0EPKjPjPS5_SB_mNS0_19identity_decomposerENS1_16block_id_wrapperIjLb0EEEEE10hipError_tT1_PNSt15iterator_traitsISG_E10value_typeET2_T3_PNSH_ISM_E10value_typeET4_T5_PSR_SS_PNS1_23onesweep_lookback_stateEbbT6_jjT7_P12ihipStream_tbENKUlT_T0_SG_SL_E_clISA_SA_SB_SB_EEDaSZ_S10_SG_SL_EUlSZ_E_NS1_11comp_targetILNS1_3genE9ELNS1_11target_archE1100ELNS1_3gpuE3ELNS1_3repE0EEENS1_47radix_sort_onesweep_sort_config_static_selectorELNS0_4arch9wavefront6targetE0EEEvSG_: ; @_ZN7rocprim17ROCPRIM_400000_NS6detail17trampoline_kernelINS0_14default_configENS1_35radix_sort_onesweep_config_selectorIjNS0_10empty_typeEEEZZNS1_29radix_sort_onesweep_iterationIS3_Lb0EPKjPjPS5_SB_mNS0_19identity_decomposerENS1_16block_id_wrapperIjLb0EEEEE10hipError_tT1_PNSt15iterator_traitsISG_E10value_typeET2_T3_PNSH_ISM_E10value_typeET4_T5_PSR_SS_PNS1_23onesweep_lookback_stateEbbT6_jjT7_P12ihipStream_tbENKUlT_T0_SG_SL_E_clISA_SA_SB_SB_EEDaSZ_S10_SG_SL_EUlSZ_E_NS1_11comp_targetILNS1_3genE9ELNS1_11target_archE1100ELNS1_3gpuE3ELNS1_3repE0EEENS1_47radix_sort_onesweep_sort_config_static_selectorELNS0_4arch9wavefront6targetE0EEEvSG_
; %bb.0:
	.section	.rodata,"a",@progbits
	.p2align	6, 0x0
	.amdhsa_kernel _ZN7rocprim17ROCPRIM_400000_NS6detail17trampoline_kernelINS0_14default_configENS1_35radix_sort_onesweep_config_selectorIjNS0_10empty_typeEEEZZNS1_29radix_sort_onesweep_iterationIS3_Lb0EPKjPjPS5_SB_mNS0_19identity_decomposerENS1_16block_id_wrapperIjLb0EEEEE10hipError_tT1_PNSt15iterator_traitsISG_E10value_typeET2_T3_PNSH_ISM_E10value_typeET4_T5_PSR_SS_PNS1_23onesweep_lookback_stateEbbT6_jjT7_P12ihipStream_tbENKUlT_T0_SG_SL_E_clISA_SA_SB_SB_EEDaSZ_S10_SG_SL_EUlSZ_E_NS1_11comp_targetILNS1_3genE9ELNS1_11target_archE1100ELNS1_3gpuE3ELNS1_3repE0EEENS1_47radix_sort_onesweep_sort_config_static_selectorELNS0_4arch9wavefront6targetE0EEEvSG_
		.amdhsa_group_segment_fixed_size 0
		.amdhsa_private_segment_fixed_size 0
		.amdhsa_kernarg_size 88
		.amdhsa_user_sgpr_count 2
		.amdhsa_user_sgpr_dispatch_ptr 0
		.amdhsa_user_sgpr_queue_ptr 0
		.amdhsa_user_sgpr_kernarg_segment_ptr 1
		.amdhsa_user_sgpr_dispatch_id 0
		.amdhsa_user_sgpr_kernarg_preload_length 0
		.amdhsa_user_sgpr_kernarg_preload_offset 0
		.amdhsa_user_sgpr_private_segment_size 0
		.amdhsa_wavefront_size32 1
		.amdhsa_uses_dynamic_stack 0
		.amdhsa_enable_private_segment 0
		.amdhsa_system_sgpr_workgroup_id_x 1
		.amdhsa_system_sgpr_workgroup_id_y 0
		.amdhsa_system_sgpr_workgroup_id_z 0
		.amdhsa_system_sgpr_workgroup_info 0
		.amdhsa_system_vgpr_workitem_id 0
		.amdhsa_next_free_vgpr 1
		.amdhsa_next_free_sgpr 1
		.amdhsa_named_barrier_count 0
		.amdhsa_reserve_vcc 0
		.amdhsa_float_round_mode_32 0
		.amdhsa_float_round_mode_16_64 0
		.amdhsa_float_denorm_mode_32 3
		.amdhsa_float_denorm_mode_16_64 3
		.amdhsa_fp16_overflow 0
		.amdhsa_memory_ordered 1
		.amdhsa_forward_progress 1
		.amdhsa_inst_pref_size 0
		.amdhsa_round_robin_scheduling 0
		.amdhsa_exception_fp_ieee_invalid_op 0
		.amdhsa_exception_fp_denorm_src 0
		.amdhsa_exception_fp_ieee_div_zero 0
		.amdhsa_exception_fp_ieee_overflow 0
		.amdhsa_exception_fp_ieee_underflow 0
		.amdhsa_exception_fp_ieee_inexact 0
		.amdhsa_exception_int_div_zero 0
	.end_amdhsa_kernel
	.section	.text._ZN7rocprim17ROCPRIM_400000_NS6detail17trampoline_kernelINS0_14default_configENS1_35radix_sort_onesweep_config_selectorIjNS0_10empty_typeEEEZZNS1_29radix_sort_onesweep_iterationIS3_Lb0EPKjPjPS5_SB_mNS0_19identity_decomposerENS1_16block_id_wrapperIjLb0EEEEE10hipError_tT1_PNSt15iterator_traitsISG_E10value_typeET2_T3_PNSH_ISM_E10value_typeET4_T5_PSR_SS_PNS1_23onesweep_lookback_stateEbbT6_jjT7_P12ihipStream_tbENKUlT_T0_SG_SL_E_clISA_SA_SB_SB_EEDaSZ_S10_SG_SL_EUlSZ_E_NS1_11comp_targetILNS1_3genE9ELNS1_11target_archE1100ELNS1_3gpuE3ELNS1_3repE0EEENS1_47radix_sort_onesweep_sort_config_static_selectorELNS0_4arch9wavefront6targetE0EEEvSG_,"axG",@progbits,_ZN7rocprim17ROCPRIM_400000_NS6detail17trampoline_kernelINS0_14default_configENS1_35radix_sort_onesweep_config_selectorIjNS0_10empty_typeEEEZZNS1_29radix_sort_onesweep_iterationIS3_Lb0EPKjPjPS5_SB_mNS0_19identity_decomposerENS1_16block_id_wrapperIjLb0EEEEE10hipError_tT1_PNSt15iterator_traitsISG_E10value_typeET2_T3_PNSH_ISM_E10value_typeET4_T5_PSR_SS_PNS1_23onesweep_lookback_stateEbbT6_jjT7_P12ihipStream_tbENKUlT_T0_SG_SL_E_clISA_SA_SB_SB_EEDaSZ_S10_SG_SL_EUlSZ_E_NS1_11comp_targetILNS1_3genE9ELNS1_11target_archE1100ELNS1_3gpuE3ELNS1_3repE0EEENS1_47radix_sort_onesweep_sort_config_static_selectorELNS0_4arch9wavefront6targetE0EEEvSG_,comdat
.Lfunc_end2778:
	.size	_ZN7rocprim17ROCPRIM_400000_NS6detail17trampoline_kernelINS0_14default_configENS1_35radix_sort_onesweep_config_selectorIjNS0_10empty_typeEEEZZNS1_29radix_sort_onesweep_iterationIS3_Lb0EPKjPjPS5_SB_mNS0_19identity_decomposerENS1_16block_id_wrapperIjLb0EEEEE10hipError_tT1_PNSt15iterator_traitsISG_E10value_typeET2_T3_PNSH_ISM_E10value_typeET4_T5_PSR_SS_PNS1_23onesweep_lookback_stateEbbT6_jjT7_P12ihipStream_tbENKUlT_T0_SG_SL_E_clISA_SA_SB_SB_EEDaSZ_S10_SG_SL_EUlSZ_E_NS1_11comp_targetILNS1_3genE9ELNS1_11target_archE1100ELNS1_3gpuE3ELNS1_3repE0EEENS1_47radix_sort_onesweep_sort_config_static_selectorELNS0_4arch9wavefront6targetE0EEEvSG_, .Lfunc_end2778-_ZN7rocprim17ROCPRIM_400000_NS6detail17trampoline_kernelINS0_14default_configENS1_35radix_sort_onesweep_config_selectorIjNS0_10empty_typeEEEZZNS1_29radix_sort_onesweep_iterationIS3_Lb0EPKjPjPS5_SB_mNS0_19identity_decomposerENS1_16block_id_wrapperIjLb0EEEEE10hipError_tT1_PNSt15iterator_traitsISG_E10value_typeET2_T3_PNSH_ISM_E10value_typeET4_T5_PSR_SS_PNS1_23onesweep_lookback_stateEbbT6_jjT7_P12ihipStream_tbENKUlT_T0_SG_SL_E_clISA_SA_SB_SB_EEDaSZ_S10_SG_SL_EUlSZ_E_NS1_11comp_targetILNS1_3genE9ELNS1_11target_archE1100ELNS1_3gpuE3ELNS1_3repE0EEENS1_47radix_sort_onesweep_sort_config_static_selectorELNS0_4arch9wavefront6targetE0EEEvSG_
                                        ; -- End function
	.set _ZN7rocprim17ROCPRIM_400000_NS6detail17trampoline_kernelINS0_14default_configENS1_35radix_sort_onesweep_config_selectorIjNS0_10empty_typeEEEZZNS1_29radix_sort_onesweep_iterationIS3_Lb0EPKjPjPS5_SB_mNS0_19identity_decomposerENS1_16block_id_wrapperIjLb0EEEEE10hipError_tT1_PNSt15iterator_traitsISG_E10value_typeET2_T3_PNSH_ISM_E10value_typeET4_T5_PSR_SS_PNS1_23onesweep_lookback_stateEbbT6_jjT7_P12ihipStream_tbENKUlT_T0_SG_SL_E_clISA_SA_SB_SB_EEDaSZ_S10_SG_SL_EUlSZ_E_NS1_11comp_targetILNS1_3genE9ELNS1_11target_archE1100ELNS1_3gpuE3ELNS1_3repE0EEENS1_47radix_sort_onesweep_sort_config_static_selectorELNS0_4arch9wavefront6targetE0EEEvSG_.num_vgpr, 0
	.set _ZN7rocprim17ROCPRIM_400000_NS6detail17trampoline_kernelINS0_14default_configENS1_35radix_sort_onesweep_config_selectorIjNS0_10empty_typeEEEZZNS1_29radix_sort_onesweep_iterationIS3_Lb0EPKjPjPS5_SB_mNS0_19identity_decomposerENS1_16block_id_wrapperIjLb0EEEEE10hipError_tT1_PNSt15iterator_traitsISG_E10value_typeET2_T3_PNSH_ISM_E10value_typeET4_T5_PSR_SS_PNS1_23onesweep_lookback_stateEbbT6_jjT7_P12ihipStream_tbENKUlT_T0_SG_SL_E_clISA_SA_SB_SB_EEDaSZ_S10_SG_SL_EUlSZ_E_NS1_11comp_targetILNS1_3genE9ELNS1_11target_archE1100ELNS1_3gpuE3ELNS1_3repE0EEENS1_47radix_sort_onesweep_sort_config_static_selectorELNS0_4arch9wavefront6targetE0EEEvSG_.num_agpr, 0
	.set _ZN7rocprim17ROCPRIM_400000_NS6detail17trampoline_kernelINS0_14default_configENS1_35radix_sort_onesweep_config_selectorIjNS0_10empty_typeEEEZZNS1_29radix_sort_onesweep_iterationIS3_Lb0EPKjPjPS5_SB_mNS0_19identity_decomposerENS1_16block_id_wrapperIjLb0EEEEE10hipError_tT1_PNSt15iterator_traitsISG_E10value_typeET2_T3_PNSH_ISM_E10value_typeET4_T5_PSR_SS_PNS1_23onesweep_lookback_stateEbbT6_jjT7_P12ihipStream_tbENKUlT_T0_SG_SL_E_clISA_SA_SB_SB_EEDaSZ_S10_SG_SL_EUlSZ_E_NS1_11comp_targetILNS1_3genE9ELNS1_11target_archE1100ELNS1_3gpuE3ELNS1_3repE0EEENS1_47radix_sort_onesweep_sort_config_static_selectorELNS0_4arch9wavefront6targetE0EEEvSG_.numbered_sgpr, 0
	.set _ZN7rocprim17ROCPRIM_400000_NS6detail17trampoline_kernelINS0_14default_configENS1_35radix_sort_onesweep_config_selectorIjNS0_10empty_typeEEEZZNS1_29radix_sort_onesweep_iterationIS3_Lb0EPKjPjPS5_SB_mNS0_19identity_decomposerENS1_16block_id_wrapperIjLb0EEEEE10hipError_tT1_PNSt15iterator_traitsISG_E10value_typeET2_T3_PNSH_ISM_E10value_typeET4_T5_PSR_SS_PNS1_23onesweep_lookback_stateEbbT6_jjT7_P12ihipStream_tbENKUlT_T0_SG_SL_E_clISA_SA_SB_SB_EEDaSZ_S10_SG_SL_EUlSZ_E_NS1_11comp_targetILNS1_3genE9ELNS1_11target_archE1100ELNS1_3gpuE3ELNS1_3repE0EEENS1_47radix_sort_onesweep_sort_config_static_selectorELNS0_4arch9wavefront6targetE0EEEvSG_.num_named_barrier, 0
	.set _ZN7rocprim17ROCPRIM_400000_NS6detail17trampoline_kernelINS0_14default_configENS1_35radix_sort_onesweep_config_selectorIjNS0_10empty_typeEEEZZNS1_29radix_sort_onesweep_iterationIS3_Lb0EPKjPjPS5_SB_mNS0_19identity_decomposerENS1_16block_id_wrapperIjLb0EEEEE10hipError_tT1_PNSt15iterator_traitsISG_E10value_typeET2_T3_PNSH_ISM_E10value_typeET4_T5_PSR_SS_PNS1_23onesweep_lookback_stateEbbT6_jjT7_P12ihipStream_tbENKUlT_T0_SG_SL_E_clISA_SA_SB_SB_EEDaSZ_S10_SG_SL_EUlSZ_E_NS1_11comp_targetILNS1_3genE9ELNS1_11target_archE1100ELNS1_3gpuE3ELNS1_3repE0EEENS1_47radix_sort_onesweep_sort_config_static_selectorELNS0_4arch9wavefront6targetE0EEEvSG_.private_seg_size, 0
	.set _ZN7rocprim17ROCPRIM_400000_NS6detail17trampoline_kernelINS0_14default_configENS1_35radix_sort_onesweep_config_selectorIjNS0_10empty_typeEEEZZNS1_29radix_sort_onesweep_iterationIS3_Lb0EPKjPjPS5_SB_mNS0_19identity_decomposerENS1_16block_id_wrapperIjLb0EEEEE10hipError_tT1_PNSt15iterator_traitsISG_E10value_typeET2_T3_PNSH_ISM_E10value_typeET4_T5_PSR_SS_PNS1_23onesweep_lookback_stateEbbT6_jjT7_P12ihipStream_tbENKUlT_T0_SG_SL_E_clISA_SA_SB_SB_EEDaSZ_S10_SG_SL_EUlSZ_E_NS1_11comp_targetILNS1_3genE9ELNS1_11target_archE1100ELNS1_3gpuE3ELNS1_3repE0EEENS1_47radix_sort_onesweep_sort_config_static_selectorELNS0_4arch9wavefront6targetE0EEEvSG_.uses_vcc, 0
	.set _ZN7rocprim17ROCPRIM_400000_NS6detail17trampoline_kernelINS0_14default_configENS1_35radix_sort_onesweep_config_selectorIjNS0_10empty_typeEEEZZNS1_29radix_sort_onesweep_iterationIS3_Lb0EPKjPjPS5_SB_mNS0_19identity_decomposerENS1_16block_id_wrapperIjLb0EEEEE10hipError_tT1_PNSt15iterator_traitsISG_E10value_typeET2_T3_PNSH_ISM_E10value_typeET4_T5_PSR_SS_PNS1_23onesweep_lookback_stateEbbT6_jjT7_P12ihipStream_tbENKUlT_T0_SG_SL_E_clISA_SA_SB_SB_EEDaSZ_S10_SG_SL_EUlSZ_E_NS1_11comp_targetILNS1_3genE9ELNS1_11target_archE1100ELNS1_3gpuE3ELNS1_3repE0EEENS1_47radix_sort_onesweep_sort_config_static_selectorELNS0_4arch9wavefront6targetE0EEEvSG_.uses_flat_scratch, 0
	.set _ZN7rocprim17ROCPRIM_400000_NS6detail17trampoline_kernelINS0_14default_configENS1_35radix_sort_onesweep_config_selectorIjNS0_10empty_typeEEEZZNS1_29radix_sort_onesweep_iterationIS3_Lb0EPKjPjPS5_SB_mNS0_19identity_decomposerENS1_16block_id_wrapperIjLb0EEEEE10hipError_tT1_PNSt15iterator_traitsISG_E10value_typeET2_T3_PNSH_ISM_E10value_typeET4_T5_PSR_SS_PNS1_23onesweep_lookback_stateEbbT6_jjT7_P12ihipStream_tbENKUlT_T0_SG_SL_E_clISA_SA_SB_SB_EEDaSZ_S10_SG_SL_EUlSZ_E_NS1_11comp_targetILNS1_3genE9ELNS1_11target_archE1100ELNS1_3gpuE3ELNS1_3repE0EEENS1_47radix_sort_onesweep_sort_config_static_selectorELNS0_4arch9wavefront6targetE0EEEvSG_.has_dyn_sized_stack, 0
	.set _ZN7rocprim17ROCPRIM_400000_NS6detail17trampoline_kernelINS0_14default_configENS1_35radix_sort_onesweep_config_selectorIjNS0_10empty_typeEEEZZNS1_29radix_sort_onesweep_iterationIS3_Lb0EPKjPjPS5_SB_mNS0_19identity_decomposerENS1_16block_id_wrapperIjLb0EEEEE10hipError_tT1_PNSt15iterator_traitsISG_E10value_typeET2_T3_PNSH_ISM_E10value_typeET4_T5_PSR_SS_PNS1_23onesweep_lookback_stateEbbT6_jjT7_P12ihipStream_tbENKUlT_T0_SG_SL_E_clISA_SA_SB_SB_EEDaSZ_S10_SG_SL_EUlSZ_E_NS1_11comp_targetILNS1_3genE9ELNS1_11target_archE1100ELNS1_3gpuE3ELNS1_3repE0EEENS1_47radix_sort_onesweep_sort_config_static_selectorELNS0_4arch9wavefront6targetE0EEEvSG_.has_recursion, 0
	.set _ZN7rocprim17ROCPRIM_400000_NS6detail17trampoline_kernelINS0_14default_configENS1_35radix_sort_onesweep_config_selectorIjNS0_10empty_typeEEEZZNS1_29radix_sort_onesweep_iterationIS3_Lb0EPKjPjPS5_SB_mNS0_19identity_decomposerENS1_16block_id_wrapperIjLb0EEEEE10hipError_tT1_PNSt15iterator_traitsISG_E10value_typeET2_T3_PNSH_ISM_E10value_typeET4_T5_PSR_SS_PNS1_23onesweep_lookback_stateEbbT6_jjT7_P12ihipStream_tbENKUlT_T0_SG_SL_E_clISA_SA_SB_SB_EEDaSZ_S10_SG_SL_EUlSZ_E_NS1_11comp_targetILNS1_3genE9ELNS1_11target_archE1100ELNS1_3gpuE3ELNS1_3repE0EEENS1_47radix_sort_onesweep_sort_config_static_selectorELNS0_4arch9wavefront6targetE0EEEvSG_.has_indirect_call, 0
	.section	.AMDGPU.csdata,"",@progbits
; Kernel info:
; codeLenInByte = 0
; TotalNumSgprs: 0
; NumVgprs: 0
; ScratchSize: 0
; MemoryBound: 0
; FloatMode: 240
; IeeeMode: 1
; LDSByteSize: 0 bytes/workgroup (compile time only)
; SGPRBlocks: 0
; VGPRBlocks: 0
; NumSGPRsForWavesPerEU: 1
; NumVGPRsForWavesPerEU: 1
; NamedBarCnt: 0
; Occupancy: 16
; WaveLimiterHint : 0
; COMPUTE_PGM_RSRC2:SCRATCH_EN: 0
; COMPUTE_PGM_RSRC2:USER_SGPR: 2
; COMPUTE_PGM_RSRC2:TRAP_HANDLER: 0
; COMPUTE_PGM_RSRC2:TGID_X_EN: 1
; COMPUTE_PGM_RSRC2:TGID_Y_EN: 0
; COMPUTE_PGM_RSRC2:TGID_Z_EN: 0
; COMPUTE_PGM_RSRC2:TIDIG_COMP_CNT: 0
	.section	.text._ZN7rocprim17ROCPRIM_400000_NS6detail17trampoline_kernelINS0_14default_configENS1_35radix_sort_onesweep_config_selectorIjNS0_10empty_typeEEEZZNS1_29radix_sort_onesweep_iterationIS3_Lb0EPKjPjPS5_SB_mNS0_19identity_decomposerENS1_16block_id_wrapperIjLb0EEEEE10hipError_tT1_PNSt15iterator_traitsISG_E10value_typeET2_T3_PNSH_ISM_E10value_typeET4_T5_PSR_SS_PNS1_23onesweep_lookback_stateEbbT6_jjT7_P12ihipStream_tbENKUlT_T0_SG_SL_E_clISA_SA_SB_SB_EEDaSZ_S10_SG_SL_EUlSZ_E_NS1_11comp_targetILNS1_3genE8ELNS1_11target_archE1030ELNS1_3gpuE2ELNS1_3repE0EEENS1_47radix_sort_onesweep_sort_config_static_selectorELNS0_4arch9wavefront6targetE0EEEvSG_,"axG",@progbits,_ZN7rocprim17ROCPRIM_400000_NS6detail17trampoline_kernelINS0_14default_configENS1_35radix_sort_onesweep_config_selectorIjNS0_10empty_typeEEEZZNS1_29radix_sort_onesweep_iterationIS3_Lb0EPKjPjPS5_SB_mNS0_19identity_decomposerENS1_16block_id_wrapperIjLb0EEEEE10hipError_tT1_PNSt15iterator_traitsISG_E10value_typeET2_T3_PNSH_ISM_E10value_typeET4_T5_PSR_SS_PNS1_23onesweep_lookback_stateEbbT6_jjT7_P12ihipStream_tbENKUlT_T0_SG_SL_E_clISA_SA_SB_SB_EEDaSZ_S10_SG_SL_EUlSZ_E_NS1_11comp_targetILNS1_3genE8ELNS1_11target_archE1030ELNS1_3gpuE2ELNS1_3repE0EEENS1_47radix_sort_onesweep_sort_config_static_selectorELNS0_4arch9wavefront6targetE0EEEvSG_,comdat
	.protected	_ZN7rocprim17ROCPRIM_400000_NS6detail17trampoline_kernelINS0_14default_configENS1_35radix_sort_onesweep_config_selectorIjNS0_10empty_typeEEEZZNS1_29radix_sort_onesweep_iterationIS3_Lb0EPKjPjPS5_SB_mNS0_19identity_decomposerENS1_16block_id_wrapperIjLb0EEEEE10hipError_tT1_PNSt15iterator_traitsISG_E10value_typeET2_T3_PNSH_ISM_E10value_typeET4_T5_PSR_SS_PNS1_23onesweep_lookback_stateEbbT6_jjT7_P12ihipStream_tbENKUlT_T0_SG_SL_E_clISA_SA_SB_SB_EEDaSZ_S10_SG_SL_EUlSZ_E_NS1_11comp_targetILNS1_3genE8ELNS1_11target_archE1030ELNS1_3gpuE2ELNS1_3repE0EEENS1_47radix_sort_onesweep_sort_config_static_selectorELNS0_4arch9wavefront6targetE0EEEvSG_ ; -- Begin function _ZN7rocprim17ROCPRIM_400000_NS6detail17trampoline_kernelINS0_14default_configENS1_35radix_sort_onesweep_config_selectorIjNS0_10empty_typeEEEZZNS1_29radix_sort_onesweep_iterationIS3_Lb0EPKjPjPS5_SB_mNS0_19identity_decomposerENS1_16block_id_wrapperIjLb0EEEEE10hipError_tT1_PNSt15iterator_traitsISG_E10value_typeET2_T3_PNSH_ISM_E10value_typeET4_T5_PSR_SS_PNS1_23onesweep_lookback_stateEbbT6_jjT7_P12ihipStream_tbENKUlT_T0_SG_SL_E_clISA_SA_SB_SB_EEDaSZ_S10_SG_SL_EUlSZ_E_NS1_11comp_targetILNS1_3genE8ELNS1_11target_archE1030ELNS1_3gpuE2ELNS1_3repE0EEENS1_47radix_sort_onesweep_sort_config_static_selectorELNS0_4arch9wavefront6targetE0EEEvSG_
	.globl	_ZN7rocprim17ROCPRIM_400000_NS6detail17trampoline_kernelINS0_14default_configENS1_35radix_sort_onesweep_config_selectorIjNS0_10empty_typeEEEZZNS1_29radix_sort_onesweep_iterationIS3_Lb0EPKjPjPS5_SB_mNS0_19identity_decomposerENS1_16block_id_wrapperIjLb0EEEEE10hipError_tT1_PNSt15iterator_traitsISG_E10value_typeET2_T3_PNSH_ISM_E10value_typeET4_T5_PSR_SS_PNS1_23onesweep_lookback_stateEbbT6_jjT7_P12ihipStream_tbENKUlT_T0_SG_SL_E_clISA_SA_SB_SB_EEDaSZ_S10_SG_SL_EUlSZ_E_NS1_11comp_targetILNS1_3genE8ELNS1_11target_archE1030ELNS1_3gpuE2ELNS1_3repE0EEENS1_47radix_sort_onesweep_sort_config_static_selectorELNS0_4arch9wavefront6targetE0EEEvSG_
	.p2align	8
	.type	_ZN7rocprim17ROCPRIM_400000_NS6detail17trampoline_kernelINS0_14default_configENS1_35radix_sort_onesweep_config_selectorIjNS0_10empty_typeEEEZZNS1_29radix_sort_onesweep_iterationIS3_Lb0EPKjPjPS5_SB_mNS0_19identity_decomposerENS1_16block_id_wrapperIjLb0EEEEE10hipError_tT1_PNSt15iterator_traitsISG_E10value_typeET2_T3_PNSH_ISM_E10value_typeET4_T5_PSR_SS_PNS1_23onesweep_lookback_stateEbbT6_jjT7_P12ihipStream_tbENKUlT_T0_SG_SL_E_clISA_SA_SB_SB_EEDaSZ_S10_SG_SL_EUlSZ_E_NS1_11comp_targetILNS1_3genE8ELNS1_11target_archE1030ELNS1_3gpuE2ELNS1_3repE0EEENS1_47radix_sort_onesweep_sort_config_static_selectorELNS0_4arch9wavefront6targetE0EEEvSG_,@function
_ZN7rocprim17ROCPRIM_400000_NS6detail17trampoline_kernelINS0_14default_configENS1_35radix_sort_onesweep_config_selectorIjNS0_10empty_typeEEEZZNS1_29radix_sort_onesweep_iterationIS3_Lb0EPKjPjPS5_SB_mNS0_19identity_decomposerENS1_16block_id_wrapperIjLb0EEEEE10hipError_tT1_PNSt15iterator_traitsISG_E10value_typeET2_T3_PNSH_ISM_E10value_typeET4_T5_PSR_SS_PNS1_23onesweep_lookback_stateEbbT6_jjT7_P12ihipStream_tbENKUlT_T0_SG_SL_E_clISA_SA_SB_SB_EEDaSZ_S10_SG_SL_EUlSZ_E_NS1_11comp_targetILNS1_3genE8ELNS1_11target_archE1030ELNS1_3gpuE2ELNS1_3repE0EEENS1_47radix_sort_onesweep_sort_config_static_selectorELNS0_4arch9wavefront6targetE0EEEvSG_: ; @_ZN7rocprim17ROCPRIM_400000_NS6detail17trampoline_kernelINS0_14default_configENS1_35radix_sort_onesweep_config_selectorIjNS0_10empty_typeEEEZZNS1_29radix_sort_onesweep_iterationIS3_Lb0EPKjPjPS5_SB_mNS0_19identity_decomposerENS1_16block_id_wrapperIjLb0EEEEE10hipError_tT1_PNSt15iterator_traitsISG_E10value_typeET2_T3_PNSH_ISM_E10value_typeET4_T5_PSR_SS_PNS1_23onesweep_lookback_stateEbbT6_jjT7_P12ihipStream_tbENKUlT_T0_SG_SL_E_clISA_SA_SB_SB_EEDaSZ_S10_SG_SL_EUlSZ_E_NS1_11comp_targetILNS1_3genE8ELNS1_11target_archE1030ELNS1_3gpuE2ELNS1_3repE0EEENS1_47radix_sort_onesweep_sort_config_static_selectorELNS0_4arch9wavefront6targetE0EEEvSG_
; %bb.0:
	.section	.rodata,"a",@progbits
	.p2align	6, 0x0
	.amdhsa_kernel _ZN7rocprim17ROCPRIM_400000_NS6detail17trampoline_kernelINS0_14default_configENS1_35radix_sort_onesweep_config_selectorIjNS0_10empty_typeEEEZZNS1_29radix_sort_onesweep_iterationIS3_Lb0EPKjPjPS5_SB_mNS0_19identity_decomposerENS1_16block_id_wrapperIjLb0EEEEE10hipError_tT1_PNSt15iterator_traitsISG_E10value_typeET2_T3_PNSH_ISM_E10value_typeET4_T5_PSR_SS_PNS1_23onesweep_lookback_stateEbbT6_jjT7_P12ihipStream_tbENKUlT_T0_SG_SL_E_clISA_SA_SB_SB_EEDaSZ_S10_SG_SL_EUlSZ_E_NS1_11comp_targetILNS1_3genE8ELNS1_11target_archE1030ELNS1_3gpuE2ELNS1_3repE0EEENS1_47radix_sort_onesweep_sort_config_static_selectorELNS0_4arch9wavefront6targetE0EEEvSG_
		.amdhsa_group_segment_fixed_size 0
		.amdhsa_private_segment_fixed_size 0
		.amdhsa_kernarg_size 88
		.amdhsa_user_sgpr_count 2
		.amdhsa_user_sgpr_dispatch_ptr 0
		.amdhsa_user_sgpr_queue_ptr 0
		.amdhsa_user_sgpr_kernarg_segment_ptr 1
		.amdhsa_user_sgpr_dispatch_id 0
		.amdhsa_user_sgpr_kernarg_preload_length 0
		.amdhsa_user_sgpr_kernarg_preload_offset 0
		.amdhsa_user_sgpr_private_segment_size 0
		.amdhsa_wavefront_size32 1
		.amdhsa_uses_dynamic_stack 0
		.amdhsa_enable_private_segment 0
		.amdhsa_system_sgpr_workgroup_id_x 1
		.amdhsa_system_sgpr_workgroup_id_y 0
		.amdhsa_system_sgpr_workgroup_id_z 0
		.amdhsa_system_sgpr_workgroup_info 0
		.amdhsa_system_vgpr_workitem_id 0
		.amdhsa_next_free_vgpr 1
		.amdhsa_next_free_sgpr 1
		.amdhsa_named_barrier_count 0
		.amdhsa_reserve_vcc 0
		.amdhsa_float_round_mode_32 0
		.amdhsa_float_round_mode_16_64 0
		.amdhsa_float_denorm_mode_32 3
		.amdhsa_float_denorm_mode_16_64 3
		.amdhsa_fp16_overflow 0
		.amdhsa_memory_ordered 1
		.amdhsa_forward_progress 1
		.amdhsa_inst_pref_size 0
		.amdhsa_round_robin_scheduling 0
		.amdhsa_exception_fp_ieee_invalid_op 0
		.amdhsa_exception_fp_denorm_src 0
		.amdhsa_exception_fp_ieee_div_zero 0
		.amdhsa_exception_fp_ieee_overflow 0
		.amdhsa_exception_fp_ieee_underflow 0
		.amdhsa_exception_fp_ieee_inexact 0
		.amdhsa_exception_int_div_zero 0
	.end_amdhsa_kernel
	.section	.text._ZN7rocprim17ROCPRIM_400000_NS6detail17trampoline_kernelINS0_14default_configENS1_35radix_sort_onesweep_config_selectorIjNS0_10empty_typeEEEZZNS1_29radix_sort_onesweep_iterationIS3_Lb0EPKjPjPS5_SB_mNS0_19identity_decomposerENS1_16block_id_wrapperIjLb0EEEEE10hipError_tT1_PNSt15iterator_traitsISG_E10value_typeET2_T3_PNSH_ISM_E10value_typeET4_T5_PSR_SS_PNS1_23onesweep_lookback_stateEbbT6_jjT7_P12ihipStream_tbENKUlT_T0_SG_SL_E_clISA_SA_SB_SB_EEDaSZ_S10_SG_SL_EUlSZ_E_NS1_11comp_targetILNS1_3genE8ELNS1_11target_archE1030ELNS1_3gpuE2ELNS1_3repE0EEENS1_47radix_sort_onesweep_sort_config_static_selectorELNS0_4arch9wavefront6targetE0EEEvSG_,"axG",@progbits,_ZN7rocprim17ROCPRIM_400000_NS6detail17trampoline_kernelINS0_14default_configENS1_35radix_sort_onesweep_config_selectorIjNS0_10empty_typeEEEZZNS1_29radix_sort_onesweep_iterationIS3_Lb0EPKjPjPS5_SB_mNS0_19identity_decomposerENS1_16block_id_wrapperIjLb0EEEEE10hipError_tT1_PNSt15iterator_traitsISG_E10value_typeET2_T3_PNSH_ISM_E10value_typeET4_T5_PSR_SS_PNS1_23onesweep_lookback_stateEbbT6_jjT7_P12ihipStream_tbENKUlT_T0_SG_SL_E_clISA_SA_SB_SB_EEDaSZ_S10_SG_SL_EUlSZ_E_NS1_11comp_targetILNS1_3genE8ELNS1_11target_archE1030ELNS1_3gpuE2ELNS1_3repE0EEENS1_47radix_sort_onesweep_sort_config_static_selectorELNS0_4arch9wavefront6targetE0EEEvSG_,comdat
.Lfunc_end2779:
	.size	_ZN7rocprim17ROCPRIM_400000_NS6detail17trampoline_kernelINS0_14default_configENS1_35radix_sort_onesweep_config_selectorIjNS0_10empty_typeEEEZZNS1_29radix_sort_onesweep_iterationIS3_Lb0EPKjPjPS5_SB_mNS0_19identity_decomposerENS1_16block_id_wrapperIjLb0EEEEE10hipError_tT1_PNSt15iterator_traitsISG_E10value_typeET2_T3_PNSH_ISM_E10value_typeET4_T5_PSR_SS_PNS1_23onesweep_lookback_stateEbbT6_jjT7_P12ihipStream_tbENKUlT_T0_SG_SL_E_clISA_SA_SB_SB_EEDaSZ_S10_SG_SL_EUlSZ_E_NS1_11comp_targetILNS1_3genE8ELNS1_11target_archE1030ELNS1_3gpuE2ELNS1_3repE0EEENS1_47radix_sort_onesweep_sort_config_static_selectorELNS0_4arch9wavefront6targetE0EEEvSG_, .Lfunc_end2779-_ZN7rocprim17ROCPRIM_400000_NS6detail17trampoline_kernelINS0_14default_configENS1_35radix_sort_onesweep_config_selectorIjNS0_10empty_typeEEEZZNS1_29radix_sort_onesweep_iterationIS3_Lb0EPKjPjPS5_SB_mNS0_19identity_decomposerENS1_16block_id_wrapperIjLb0EEEEE10hipError_tT1_PNSt15iterator_traitsISG_E10value_typeET2_T3_PNSH_ISM_E10value_typeET4_T5_PSR_SS_PNS1_23onesweep_lookback_stateEbbT6_jjT7_P12ihipStream_tbENKUlT_T0_SG_SL_E_clISA_SA_SB_SB_EEDaSZ_S10_SG_SL_EUlSZ_E_NS1_11comp_targetILNS1_3genE8ELNS1_11target_archE1030ELNS1_3gpuE2ELNS1_3repE0EEENS1_47radix_sort_onesweep_sort_config_static_selectorELNS0_4arch9wavefront6targetE0EEEvSG_
                                        ; -- End function
	.set _ZN7rocprim17ROCPRIM_400000_NS6detail17trampoline_kernelINS0_14default_configENS1_35radix_sort_onesweep_config_selectorIjNS0_10empty_typeEEEZZNS1_29radix_sort_onesweep_iterationIS3_Lb0EPKjPjPS5_SB_mNS0_19identity_decomposerENS1_16block_id_wrapperIjLb0EEEEE10hipError_tT1_PNSt15iterator_traitsISG_E10value_typeET2_T3_PNSH_ISM_E10value_typeET4_T5_PSR_SS_PNS1_23onesweep_lookback_stateEbbT6_jjT7_P12ihipStream_tbENKUlT_T0_SG_SL_E_clISA_SA_SB_SB_EEDaSZ_S10_SG_SL_EUlSZ_E_NS1_11comp_targetILNS1_3genE8ELNS1_11target_archE1030ELNS1_3gpuE2ELNS1_3repE0EEENS1_47radix_sort_onesweep_sort_config_static_selectorELNS0_4arch9wavefront6targetE0EEEvSG_.num_vgpr, 0
	.set _ZN7rocprim17ROCPRIM_400000_NS6detail17trampoline_kernelINS0_14default_configENS1_35radix_sort_onesweep_config_selectorIjNS0_10empty_typeEEEZZNS1_29radix_sort_onesweep_iterationIS3_Lb0EPKjPjPS5_SB_mNS0_19identity_decomposerENS1_16block_id_wrapperIjLb0EEEEE10hipError_tT1_PNSt15iterator_traitsISG_E10value_typeET2_T3_PNSH_ISM_E10value_typeET4_T5_PSR_SS_PNS1_23onesweep_lookback_stateEbbT6_jjT7_P12ihipStream_tbENKUlT_T0_SG_SL_E_clISA_SA_SB_SB_EEDaSZ_S10_SG_SL_EUlSZ_E_NS1_11comp_targetILNS1_3genE8ELNS1_11target_archE1030ELNS1_3gpuE2ELNS1_3repE0EEENS1_47radix_sort_onesweep_sort_config_static_selectorELNS0_4arch9wavefront6targetE0EEEvSG_.num_agpr, 0
	.set _ZN7rocprim17ROCPRIM_400000_NS6detail17trampoline_kernelINS0_14default_configENS1_35radix_sort_onesweep_config_selectorIjNS0_10empty_typeEEEZZNS1_29radix_sort_onesweep_iterationIS3_Lb0EPKjPjPS5_SB_mNS0_19identity_decomposerENS1_16block_id_wrapperIjLb0EEEEE10hipError_tT1_PNSt15iterator_traitsISG_E10value_typeET2_T3_PNSH_ISM_E10value_typeET4_T5_PSR_SS_PNS1_23onesweep_lookback_stateEbbT6_jjT7_P12ihipStream_tbENKUlT_T0_SG_SL_E_clISA_SA_SB_SB_EEDaSZ_S10_SG_SL_EUlSZ_E_NS1_11comp_targetILNS1_3genE8ELNS1_11target_archE1030ELNS1_3gpuE2ELNS1_3repE0EEENS1_47radix_sort_onesweep_sort_config_static_selectorELNS0_4arch9wavefront6targetE0EEEvSG_.numbered_sgpr, 0
	.set _ZN7rocprim17ROCPRIM_400000_NS6detail17trampoline_kernelINS0_14default_configENS1_35radix_sort_onesweep_config_selectorIjNS0_10empty_typeEEEZZNS1_29radix_sort_onesweep_iterationIS3_Lb0EPKjPjPS5_SB_mNS0_19identity_decomposerENS1_16block_id_wrapperIjLb0EEEEE10hipError_tT1_PNSt15iterator_traitsISG_E10value_typeET2_T3_PNSH_ISM_E10value_typeET4_T5_PSR_SS_PNS1_23onesweep_lookback_stateEbbT6_jjT7_P12ihipStream_tbENKUlT_T0_SG_SL_E_clISA_SA_SB_SB_EEDaSZ_S10_SG_SL_EUlSZ_E_NS1_11comp_targetILNS1_3genE8ELNS1_11target_archE1030ELNS1_3gpuE2ELNS1_3repE0EEENS1_47radix_sort_onesweep_sort_config_static_selectorELNS0_4arch9wavefront6targetE0EEEvSG_.num_named_barrier, 0
	.set _ZN7rocprim17ROCPRIM_400000_NS6detail17trampoline_kernelINS0_14default_configENS1_35radix_sort_onesweep_config_selectorIjNS0_10empty_typeEEEZZNS1_29radix_sort_onesweep_iterationIS3_Lb0EPKjPjPS5_SB_mNS0_19identity_decomposerENS1_16block_id_wrapperIjLb0EEEEE10hipError_tT1_PNSt15iterator_traitsISG_E10value_typeET2_T3_PNSH_ISM_E10value_typeET4_T5_PSR_SS_PNS1_23onesweep_lookback_stateEbbT6_jjT7_P12ihipStream_tbENKUlT_T0_SG_SL_E_clISA_SA_SB_SB_EEDaSZ_S10_SG_SL_EUlSZ_E_NS1_11comp_targetILNS1_3genE8ELNS1_11target_archE1030ELNS1_3gpuE2ELNS1_3repE0EEENS1_47radix_sort_onesweep_sort_config_static_selectorELNS0_4arch9wavefront6targetE0EEEvSG_.private_seg_size, 0
	.set _ZN7rocprim17ROCPRIM_400000_NS6detail17trampoline_kernelINS0_14default_configENS1_35radix_sort_onesweep_config_selectorIjNS0_10empty_typeEEEZZNS1_29radix_sort_onesweep_iterationIS3_Lb0EPKjPjPS5_SB_mNS0_19identity_decomposerENS1_16block_id_wrapperIjLb0EEEEE10hipError_tT1_PNSt15iterator_traitsISG_E10value_typeET2_T3_PNSH_ISM_E10value_typeET4_T5_PSR_SS_PNS1_23onesweep_lookback_stateEbbT6_jjT7_P12ihipStream_tbENKUlT_T0_SG_SL_E_clISA_SA_SB_SB_EEDaSZ_S10_SG_SL_EUlSZ_E_NS1_11comp_targetILNS1_3genE8ELNS1_11target_archE1030ELNS1_3gpuE2ELNS1_3repE0EEENS1_47radix_sort_onesweep_sort_config_static_selectorELNS0_4arch9wavefront6targetE0EEEvSG_.uses_vcc, 0
	.set _ZN7rocprim17ROCPRIM_400000_NS6detail17trampoline_kernelINS0_14default_configENS1_35radix_sort_onesweep_config_selectorIjNS0_10empty_typeEEEZZNS1_29radix_sort_onesweep_iterationIS3_Lb0EPKjPjPS5_SB_mNS0_19identity_decomposerENS1_16block_id_wrapperIjLb0EEEEE10hipError_tT1_PNSt15iterator_traitsISG_E10value_typeET2_T3_PNSH_ISM_E10value_typeET4_T5_PSR_SS_PNS1_23onesweep_lookback_stateEbbT6_jjT7_P12ihipStream_tbENKUlT_T0_SG_SL_E_clISA_SA_SB_SB_EEDaSZ_S10_SG_SL_EUlSZ_E_NS1_11comp_targetILNS1_3genE8ELNS1_11target_archE1030ELNS1_3gpuE2ELNS1_3repE0EEENS1_47radix_sort_onesweep_sort_config_static_selectorELNS0_4arch9wavefront6targetE0EEEvSG_.uses_flat_scratch, 0
	.set _ZN7rocprim17ROCPRIM_400000_NS6detail17trampoline_kernelINS0_14default_configENS1_35radix_sort_onesweep_config_selectorIjNS0_10empty_typeEEEZZNS1_29radix_sort_onesweep_iterationIS3_Lb0EPKjPjPS5_SB_mNS0_19identity_decomposerENS1_16block_id_wrapperIjLb0EEEEE10hipError_tT1_PNSt15iterator_traitsISG_E10value_typeET2_T3_PNSH_ISM_E10value_typeET4_T5_PSR_SS_PNS1_23onesweep_lookback_stateEbbT6_jjT7_P12ihipStream_tbENKUlT_T0_SG_SL_E_clISA_SA_SB_SB_EEDaSZ_S10_SG_SL_EUlSZ_E_NS1_11comp_targetILNS1_3genE8ELNS1_11target_archE1030ELNS1_3gpuE2ELNS1_3repE0EEENS1_47radix_sort_onesweep_sort_config_static_selectorELNS0_4arch9wavefront6targetE0EEEvSG_.has_dyn_sized_stack, 0
	.set _ZN7rocprim17ROCPRIM_400000_NS6detail17trampoline_kernelINS0_14default_configENS1_35radix_sort_onesweep_config_selectorIjNS0_10empty_typeEEEZZNS1_29radix_sort_onesweep_iterationIS3_Lb0EPKjPjPS5_SB_mNS0_19identity_decomposerENS1_16block_id_wrapperIjLb0EEEEE10hipError_tT1_PNSt15iterator_traitsISG_E10value_typeET2_T3_PNSH_ISM_E10value_typeET4_T5_PSR_SS_PNS1_23onesweep_lookback_stateEbbT6_jjT7_P12ihipStream_tbENKUlT_T0_SG_SL_E_clISA_SA_SB_SB_EEDaSZ_S10_SG_SL_EUlSZ_E_NS1_11comp_targetILNS1_3genE8ELNS1_11target_archE1030ELNS1_3gpuE2ELNS1_3repE0EEENS1_47radix_sort_onesweep_sort_config_static_selectorELNS0_4arch9wavefront6targetE0EEEvSG_.has_recursion, 0
	.set _ZN7rocprim17ROCPRIM_400000_NS6detail17trampoline_kernelINS0_14default_configENS1_35radix_sort_onesweep_config_selectorIjNS0_10empty_typeEEEZZNS1_29radix_sort_onesweep_iterationIS3_Lb0EPKjPjPS5_SB_mNS0_19identity_decomposerENS1_16block_id_wrapperIjLb0EEEEE10hipError_tT1_PNSt15iterator_traitsISG_E10value_typeET2_T3_PNSH_ISM_E10value_typeET4_T5_PSR_SS_PNS1_23onesweep_lookback_stateEbbT6_jjT7_P12ihipStream_tbENKUlT_T0_SG_SL_E_clISA_SA_SB_SB_EEDaSZ_S10_SG_SL_EUlSZ_E_NS1_11comp_targetILNS1_3genE8ELNS1_11target_archE1030ELNS1_3gpuE2ELNS1_3repE0EEENS1_47radix_sort_onesweep_sort_config_static_selectorELNS0_4arch9wavefront6targetE0EEEvSG_.has_indirect_call, 0
	.section	.AMDGPU.csdata,"",@progbits
; Kernel info:
; codeLenInByte = 0
; TotalNumSgprs: 0
; NumVgprs: 0
; ScratchSize: 0
; MemoryBound: 0
; FloatMode: 240
; IeeeMode: 1
; LDSByteSize: 0 bytes/workgroup (compile time only)
; SGPRBlocks: 0
; VGPRBlocks: 0
; NumSGPRsForWavesPerEU: 1
; NumVGPRsForWavesPerEU: 1
; NamedBarCnt: 0
; Occupancy: 16
; WaveLimiterHint : 0
; COMPUTE_PGM_RSRC2:SCRATCH_EN: 0
; COMPUTE_PGM_RSRC2:USER_SGPR: 2
; COMPUTE_PGM_RSRC2:TRAP_HANDLER: 0
; COMPUTE_PGM_RSRC2:TGID_X_EN: 1
; COMPUTE_PGM_RSRC2:TGID_Y_EN: 0
; COMPUTE_PGM_RSRC2:TGID_Z_EN: 0
; COMPUTE_PGM_RSRC2:TIDIG_COMP_CNT: 0
	.section	.text._ZN7rocprim17ROCPRIM_400000_NS6detail17trampoline_kernelINS0_13kernel_configILj256ELj4ELj4294967295EEENS1_37radix_sort_block_sort_config_selectorImNS0_10empty_typeEEEZNS1_21radix_sort_block_sortIS4_Lb1EPKmPmPS6_SC_NS0_19identity_decomposerEEE10hipError_tT1_T2_T3_T4_jRjT5_jjP12ihipStream_tbEUlT_E_NS1_11comp_targetILNS1_3genE0ELNS1_11target_archE4294967295ELNS1_3gpuE0ELNS1_3repE0EEENS1_44radix_sort_block_sort_config_static_selectorELNS0_4arch9wavefront6targetE0EEEvSF_,"axG",@progbits,_ZN7rocprim17ROCPRIM_400000_NS6detail17trampoline_kernelINS0_13kernel_configILj256ELj4ELj4294967295EEENS1_37radix_sort_block_sort_config_selectorImNS0_10empty_typeEEEZNS1_21radix_sort_block_sortIS4_Lb1EPKmPmPS6_SC_NS0_19identity_decomposerEEE10hipError_tT1_T2_T3_T4_jRjT5_jjP12ihipStream_tbEUlT_E_NS1_11comp_targetILNS1_3genE0ELNS1_11target_archE4294967295ELNS1_3gpuE0ELNS1_3repE0EEENS1_44radix_sort_block_sort_config_static_selectorELNS0_4arch9wavefront6targetE0EEEvSF_,comdat
	.protected	_ZN7rocprim17ROCPRIM_400000_NS6detail17trampoline_kernelINS0_13kernel_configILj256ELj4ELj4294967295EEENS1_37radix_sort_block_sort_config_selectorImNS0_10empty_typeEEEZNS1_21radix_sort_block_sortIS4_Lb1EPKmPmPS6_SC_NS0_19identity_decomposerEEE10hipError_tT1_T2_T3_T4_jRjT5_jjP12ihipStream_tbEUlT_E_NS1_11comp_targetILNS1_3genE0ELNS1_11target_archE4294967295ELNS1_3gpuE0ELNS1_3repE0EEENS1_44radix_sort_block_sort_config_static_selectorELNS0_4arch9wavefront6targetE0EEEvSF_ ; -- Begin function _ZN7rocprim17ROCPRIM_400000_NS6detail17trampoline_kernelINS0_13kernel_configILj256ELj4ELj4294967295EEENS1_37radix_sort_block_sort_config_selectorImNS0_10empty_typeEEEZNS1_21radix_sort_block_sortIS4_Lb1EPKmPmPS6_SC_NS0_19identity_decomposerEEE10hipError_tT1_T2_T3_T4_jRjT5_jjP12ihipStream_tbEUlT_E_NS1_11comp_targetILNS1_3genE0ELNS1_11target_archE4294967295ELNS1_3gpuE0ELNS1_3repE0EEENS1_44radix_sort_block_sort_config_static_selectorELNS0_4arch9wavefront6targetE0EEEvSF_
	.globl	_ZN7rocprim17ROCPRIM_400000_NS6detail17trampoline_kernelINS0_13kernel_configILj256ELj4ELj4294967295EEENS1_37radix_sort_block_sort_config_selectorImNS0_10empty_typeEEEZNS1_21radix_sort_block_sortIS4_Lb1EPKmPmPS6_SC_NS0_19identity_decomposerEEE10hipError_tT1_T2_T3_T4_jRjT5_jjP12ihipStream_tbEUlT_E_NS1_11comp_targetILNS1_3genE0ELNS1_11target_archE4294967295ELNS1_3gpuE0ELNS1_3repE0EEENS1_44radix_sort_block_sort_config_static_selectorELNS0_4arch9wavefront6targetE0EEEvSF_
	.p2align	8
	.type	_ZN7rocprim17ROCPRIM_400000_NS6detail17trampoline_kernelINS0_13kernel_configILj256ELj4ELj4294967295EEENS1_37radix_sort_block_sort_config_selectorImNS0_10empty_typeEEEZNS1_21radix_sort_block_sortIS4_Lb1EPKmPmPS6_SC_NS0_19identity_decomposerEEE10hipError_tT1_T2_T3_T4_jRjT5_jjP12ihipStream_tbEUlT_E_NS1_11comp_targetILNS1_3genE0ELNS1_11target_archE4294967295ELNS1_3gpuE0ELNS1_3repE0EEENS1_44radix_sort_block_sort_config_static_selectorELNS0_4arch9wavefront6targetE0EEEvSF_,@function
_ZN7rocprim17ROCPRIM_400000_NS6detail17trampoline_kernelINS0_13kernel_configILj256ELj4ELj4294967295EEENS1_37radix_sort_block_sort_config_selectorImNS0_10empty_typeEEEZNS1_21radix_sort_block_sortIS4_Lb1EPKmPmPS6_SC_NS0_19identity_decomposerEEE10hipError_tT1_T2_T3_T4_jRjT5_jjP12ihipStream_tbEUlT_E_NS1_11comp_targetILNS1_3genE0ELNS1_11target_archE4294967295ELNS1_3gpuE0ELNS1_3repE0EEENS1_44radix_sort_block_sort_config_static_selectorELNS0_4arch9wavefront6targetE0EEEvSF_: ; @_ZN7rocprim17ROCPRIM_400000_NS6detail17trampoline_kernelINS0_13kernel_configILj256ELj4ELj4294967295EEENS1_37radix_sort_block_sort_config_selectorImNS0_10empty_typeEEEZNS1_21radix_sort_block_sortIS4_Lb1EPKmPmPS6_SC_NS0_19identity_decomposerEEE10hipError_tT1_T2_T3_T4_jRjT5_jjP12ihipStream_tbEUlT_E_NS1_11comp_targetILNS1_3genE0ELNS1_11target_archE4294967295ELNS1_3gpuE0ELNS1_3repE0EEENS1_44radix_sort_block_sort_config_static_selectorELNS0_4arch9wavefront6targetE0EEEvSF_
; %bb.0:
	s_clause 0x1
	s_load_b32 s4, s[0:1], 0x20
	s_load_b128 s[20:23], s[0:1], 0x0
	s_bfe_u32 s5, ttmp6, 0x4000c
	s_and_b32 s2, ttmp6, 15
	s_add_co_i32 s5, s5, 1
	s_getreg_b32 s6, hwreg(HW_REG_IB_STS2, 6, 4)
	s_mul_i32 s5, ttmp9, s5
	v_and_b32_e32 v22, 0x3ff, v0
	s_add_co_i32 s2, s2, s5
	s_cmp_eq_u32 s6, 0
	v_mbcnt_lo_u32_b32 v1, -1, 0
	s_cselect_b32 s5, ttmp9, s2
	v_dual_mov_b32 v11, 0 :: v_dual_lshlrev_b32 v2, 2, v22
	s_lshl_b32 s2, s5, 10
	s_mov_b32 s3, 0
	v_lshlrev_b32_e32 v10, 3, v1
	s_delay_alu instid0(VALU_DEP_2) | instskip(SKIP_2) | instid1(SALU_CYCLE_1)
	v_and_b32_e32 v14, 0x380, v2
	s_wait_kmcnt 0x0
	s_lshr_b32 s8, s4, 10
	s_cmp_lg_u32 s5, s8
	s_cselect_b32 s26, -1, 0
	s_lshl_b64 s[24:25], s[2:3], 3
	s_cmp_eq_u32 s5, s8
	s_add_nc_u64 s[6:7], s[20:21], s[24:25]
	s_mov_b32 s5, -1
	v_add_nc_u64_e32 v[2:3], s[6:7], v[10:11]
	v_lshlrev_b32_e32 v10, 3, v14
	s_delay_alu instid0(VALU_DEP_1)
	v_add_nc_u64_e32 v[12:13], v[2:3], v[10:11]
                                        ; implicit-def: $vgpr2_vgpr3_vgpr4_vgpr5_vgpr6_vgpr7_vgpr8_vgpr9
	s_cbranch_scc0 .LBB2780_24
; %bb.1:
	s_load_b64 s[20:21], s[0:1], 0x28
	s_and_not1_b32 vcc_lo, exec_lo, s5
	s_sub_co_i32 s19, s4, s2
	s_cbranch_vccz .LBB2780_25
.LBB2780_2:
	s_and_saveexec_b32 s2, s3
	s_cbranch_execz .LBB2780_4
.LBB2780_3:
	global_load_b64 v[8:9], v[12:13], off offset:768
.LBB2780_4:
	s_wait_xcnt 0x0
	s_or_b32 exec_lo, exec_lo, s2
	s_load_b32 s6, s[0:1], 0x3c
	v_bfe_u32 v11, v0, 10, 10
	v_bfe_u32 v0, v0, 20, 10
	s_get_pc_i64 s[4:5]
	s_add_nc_u64 s[4:5], s[4:5], _ZN7rocprim17ROCPRIM_400000_NS16block_radix_sortImLj256ELj4ENS0_10empty_typeELj1ELj1ELj0ELNS0_26block_radix_rank_algorithmE1ELNS0_18block_padding_hintE2ELNS0_4arch9wavefront6targetE0EE19radix_bits_per_passE@rel64+4
	v_sub_co_u32 v15, s2, v1, 1
	v_and_b32_e32 v14, 0x3e0, v22
	s_load_b32 s27, s[4:5], 0x0
	v_dual_lshlrev_b32 v23, 5, v22 :: v_dual_bitop2_b32 v12, 15, v1 bitop3:0x40
	s_delay_alu instid0(VALU_DEP_3)
	v_cmp_gt_i32_e32 vcc_lo, 0, v15
	v_and_b32_e32 v13, 16, v1
	v_min_u32_e32 v14, 0xe0, v14
	v_and_b32_e32 v17, 7, v1
	s_wait_xcnt 0x0
	v_cmp_eq_u32_e64 s4, 0, v12
	v_cmp_lt_u32_e64 s5, 1, v12
	v_cmp_lt_u32_e64 s7, 7, v12
	s_mov_b32 s14, 0
	v_mul_i32_i24_e32 v16, 0xffffffe4, v22
	s_mov_b32 s15, s14
	s_wait_kmcnt 0x0
	s_lshr_b32 s3, s6, 16
	s_and_b32 s6, s6, 0xffff
	v_mad_u32_u24 v0, v0, s3, v11
	v_lshrrev_b32_e32 v11, 3, v22
	s_mov_b32 s16, s14
	s_mov_b32 s17, s14
	v_cmp_eq_u32_e64 s8, 0, v13
	v_mad_u32 v0, v0, s6, v22
	v_cmp_lt_u32_e64 s6, 3, v12
	v_dual_cndmask_b32 v12, v15, v1, vcc_lo :: v_dual_bitop2_b32 v14, 31, v14 bitop3:0x54
	v_and_b32_e32 v24, 0x7c, v11
	v_lshl_add_u32 v28, v1, 3, v10
	v_mov_b64_e32 v[10:11], s[14:15]
	s_delay_alu instid0(VALU_DEP_4)
	v_lshlrev_b32_e32 v25, 2, v12
	v_mov_b64_e32 v[12:13], s[16:17]
	s_wait_loadcnt 0x2
	v_not_b32_e32 v3, v3
	v_not_b32_e32 v2, v2
	v_lshrrev_b32_e32 v0, 3, v0
	s_wait_loadcnt 0x0
	v_not_b32_e32 v5, v5
	v_not_b32_e32 v4, v4
	;; [unrolled: 1-line block ×6, first 2 shown]
	v_cmp_gt_u32_e64 s0, 8, v22
	v_cmp_lt_u32_e64 s1, 31, v22
	v_cmp_eq_u32_e64 s3, 0, v22
	v_cmp_eq_u32_e64 s9, v22, v14
	v_and_b32_e32 v26, 0x1ffffffc, v0
	v_cmp_eq_u32_e64 s10, 0, v17
	v_cmp_lt_u32_e64 s11, 1, v17
	v_cmp_lt_u32_e64 s12, 3, v17
	v_add_nc_u32_e32 v27, -4, v24
	v_add_nc_u32_e32 v29, v23, v16
	s_add_co_i32 s28, s21, s20
	s_branch .LBB2780_6
.LBB2780_5:                             ;   in Loop: Header=BB2780_6 Depth=1
	s_and_not1_b32 vcc_lo, exec_lo, s13
	s_cbranch_vccz .LBB2780_22
.LBB2780_6:                             ; =>This Inner Loop Header: Depth=1
	v_mov_b64_e32 v[14:15], v[2:3]
	s_min_u32 s13, s27, s21
	ds_store_2addr_b64 v23, v[10:11], v[12:13] offset0:4 offset1:5
	ds_store_2addr_b64 v23, v[10:11], v[12:13] offset0:6 offset1:7
	s_lshl_b32 s29, -1, s13
	s_wait_dscnt 0x0
	s_barrier_signal -1
	s_barrier_wait -1
	v_lshrrev_b64 v[0:1], s20, v[14:15]
	; wave barrier
	s_delay_alu instid0(VALU_DEP_1) | instskip(SKIP_1) | instid1(VALU_DEP_2)
	v_bitop3_b32 v1, v0, 1, s29 bitop3:0x40
	v_bitop3_b32 v2, v0, s29, v0 bitop3:0x30
	v_add_co_u32 v0, s13, v1, -1
	s_delay_alu instid0(VALU_DEP_1) | instskip(NEXT) | instid1(VALU_DEP_3)
	v_cndmask_b32_e64 v1, 0, 1, s13
	v_dual_lshlrev_b32 v3, 30, v2 :: v_dual_lshlrev_b32 v16, 29, v2
	v_dual_lshlrev_b32 v17, 28, v2 :: v_dual_lshlrev_b32 v18, 27, v2
	s_delay_alu instid0(VALU_DEP_3) | instskip(NEXT) | instid1(VALU_DEP_3)
	v_cmp_ne_u32_e32 vcc_lo, 0, v1
	v_not_b32_e32 v1, v3
	v_dual_lshlrev_b32 v19, 26, v2 :: v_dual_lshlrev_b32 v20, 25, v2
	v_lshlrev_b32_e32 v21, 24, v2
	v_cmp_gt_i32_e64 s13, 0, v3
	v_cmp_gt_i32_e64 s14, 0, v16
	v_not_b32_e32 v3, v16
	v_not_b32_e32 v16, v17
	v_ashrrev_i32_e32 v1, 31, v1
	v_cmp_gt_i32_e64 s15, 0, v17
	v_cmp_gt_i32_e64 s16, 0, v18
	v_not_b32_e32 v17, v18
	v_not_b32_e32 v18, v19
	v_dual_ashrrev_i32 v3, 31, v3 :: v_dual_bitop2_b32 v0, vcc_lo, v0 bitop3:0x14
	v_dual_ashrrev_i32 v16, 31, v16 :: v_dual_bitop2_b32 v1, s13, v1 bitop3:0x14
	v_cmp_gt_i32_e64 s17, 0, v19
	v_not_b32_e32 v19, v20
	s_delay_alu instid0(VALU_DEP_4) | instskip(NEXT) | instid1(VALU_DEP_4)
	v_dual_ashrrev_i32 v17, 31, v17 :: v_dual_bitop2_b32 v3, s14, v3 bitop3:0x14
	v_dual_ashrrev_i32 v18, 31, v18 :: v_dual_bitop2_b32 v16, s15, v16 bitop3:0x14
	v_bitop3_b32 v0, v0, v1, exec_lo bitop3:0x80
	v_not_b32_e32 v1, v21
	v_cmp_gt_i32_e64 s18, 0, v20
	v_dual_ashrrev_i32 v19, 31, v19 :: v_dual_bitop2_b32 v17, s16, v17 bitop3:0x14
	s_delay_alu instid0(VALU_DEP_4) | instskip(SKIP_2) | instid1(VALU_DEP_4)
	v_bitop3_b32 v0, v0, v16, v3 bitop3:0x80
	v_cmp_gt_i32_e32 vcc_lo, 0, v21
	v_dual_ashrrev_i32 v1, 31, v1 :: v_dual_bitop2_b32 v3, s17, v18 bitop3:0x14
	v_xor_b32_e32 v16, s18, v19
	v_mov_b64_e32 v[18:19], v[6:7]
	v_mov_b64_e32 v[20:21], v[4:5]
	s_delay_alu instid0(VALU_DEP_4) | instskip(SKIP_1) | instid1(VALU_DEP_1)
	v_xor_b32_e32 v1, vcc_lo, v1
	v_bitop3_b32 v0, v0, v3, v17 bitop3:0x80
	v_bitop3_b32 v0, v0, v1, v16 bitop3:0x80
	v_mov_b64_e32 v[16:17], v[8:9]
	v_lshlrev_b32_e32 v1, 5, v2
	s_delay_alu instid0(VALU_DEP_3) | instskip(SKIP_1) | instid1(VALU_DEP_3)
	v_mbcnt_lo_u32_b32 v8, v0, 0
	v_cmp_ne_u32_e64 s13, 0, v0
	v_add_nc_u32_e32 v9, v26, v1
	s_delay_alu instid0(VALU_DEP_3) | instskip(SKIP_1) | instid1(SALU_CYCLE_1)
	v_cmp_eq_u32_e32 vcc_lo, 0, v8
	s_and_b32 s14, s13, vcc_lo
	s_and_saveexec_b32 s13, s14
; %bb.7:                                ;   in Loop: Header=BB2780_6 Depth=1
	v_bcnt_u32_b32 v0, v0, 0
	ds_store_b32 v9, v0 offset:32
; %bb.8:                                ;   in Loop: Header=BB2780_6 Depth=1
	s_or_b32 exec_lo, exec_lo, s13
	v_lshrrev_b64 v[0:1], s20, v[20:21]
	s_not_b32 s17, s29
	; wave barrier
	s_delay_alu instid0(VALU_DEP_1) | instid1(SALU_CYCLE_1)
	v_and_b32_e32 v1, s17, v0
	v_bitop3_b32 v0, v0, 1, s17 bitop3:0x80
	s_delay_alu instid0(VALU_DEP_2) | instskip(NEXT) | instid1(VALU_DEP_2)
	v_lshlrev_b32_e32 v4, 30, v1
	v_add_co_u32 v0, s13, v0, -1
	s_delay_alu instid0(VALU_DEP_1) | instskip(NEXT) | instid1(VALU_DEP_1)
	v_cndmask_b32_e64 v3, 0, 1, s13
	v_cmp_ne_u32_e32 vcc_lo, 0, v3
	s_delay_alu instid0(VALU_DEP_4) | instskip(NEXT) | instid1(VALU_DEP_1)
	v_not_b32_e32 v3, v4
	v_dual_ashrrev_i32 v3, 31, v3 :: v_dual_lshlrev_b32 v2, 5, v1
	v_dual_lshlrev_b32 v5, 29, v1 :: v_dual_lshlrev_b32 v6, 28, v1
	v_cmp_gt_i32_e64 s13, 0, v4
	v_dual_lshlrev_b32 v7, 27, v1 :: v_dual_lshlrev_b32 v30, 26, v1
	s_delay_alu instid0(VALU_DEP_3) | instskip(SKIP_4) | instid1(VALU_DEP_4)
	v_cmp_gt_i32_e64 s14, 0, v5
	v_not_b32_e32 v4, v5
	v_not_b32_e32 v5, v6
	v_cmp_gt_i32_e64 s15, 0, v6
	v_xor_b32_e32 v0, vcc_lo, v0
	v_dual_ashrrev_i32 v4, 31, v4 :: v_dual_bitop2_b32 v3, s13, v3 bitop3:0x14
	s_delay_alu instid0(VALU_DEP_4)
	v_ashrrev_i32_e32 v5, 31, v5
	v_dual_lshlrev_b32 v31, 25, v1 :: v_dual_lshlrev_b32 v1, 24, v1
	v_cmp_gt_i32_e64 s16, 0, v7
	v_not_b32_e32 v6, v7
	v_not_b32_e32 v7, v30
	v_xor_b32_e32 v4, s14, v4
	v_xor_b32_e32 v5, s15, v5
	v_bitop3_b32 v0, v0, v3, exec_lo bitop3:0x80
	v_ashrrev_i32_e32 v3, 31, v6
	v_cmp_gt_i32_e32 vcc_lo, 0, v30
	v_ashrrev_i32_e32 v6, 31, v7
	v_not_b32_e32 v7, v31
	v_bitop3_b32 v0, v0, v5, v4 bitop3:0x80
	v_not_b32_e32 v4, v1
	v_xor_b32_e32 v3, s16, v3
	s_delay_alu instid0(VALU_DEP_4) | instskip(SKIP_3) | instid1(VALU_DEP_4)
	v_dual_ashrrev_i32 v6, 31, v7 :: v_dual_bitop2_b32 v5, vcc_lo, v6 bitop3:0x14
	v_cmp_gt_i32_e32 vcc_lo, 0, v31
	v_cmp_gt_i32_e64 s13, 0, v1
	v_dual_ashrrev_i32 v1, 31, v4 :: v_dual_add_nc_u32 v31, v26, v2
	v_bitop3_b32 v0, v0, v5, v3 bitop3:0x80
	v_xor_b32_e32 v2, vcc_lo, v6
	s_delay_alu instid0(VALU_DEP_3) | instskip(SKIP_2) | instid1(VALU_DEP_1)
	v_xor_b32_e32 v1, s13, v1
	ds_load_b32 v30, v31 offset:32
	; wave barrier
	v_bitop3_b32 v0, v0, v1, v2 bitop3:0x80
	v_mbcnt_lo_u32_b32 v32, v0, 0
	v_cmp_ne_u32_e64 s13, 0, v0
	s_delay_alu instid0(VALU_DEP_2) | instskip(SKIP_1) | instid1(SALU_CYCLE_1)
	v_cmp_eq_u32_e32 vcc_lo, 0, v32
	s_and_b32 s14, s13, vcc_lo
	s_and_saveexec_b32 s13, s14
	s_cbranch_execz .LBB2780_10
; %bb.9:                                ;   in Loop: Header=BB2780_6 Depth=1
	s_wait_dscnt 0x0
	v_bcnt_u32_b32 v0, v0, v30
	ds_store_b32 v31, v0 offset:32
.LBB2780_10:                            ;   in Loop: Header=BB2780_6 Depth=1
	s_or_b32 exec_lo, exec_lo, s13
	v_lshrrev_b64 v[0:1], s20, v[18:19]
	; wave barrier
	s_delay_alu instid0(VALU_DEP_1) | instskip(SKIP_1) | instid1(VALU_DEP_2)
	v_and_b32_e32 v1, s17, v0
	v_bitop3_b32 v0, v0, 1, s17 bitop3:0x80
	v_lshlrev_b32_e32 v4, 30, v1
	s_delay_alu instid0(VALU_DEP_2) | instskip(NEXT) | instid1(VALU_DEP_1)
	v_add_co_u32 v0, s13, v0, -1
	v_cndmask_b32_e64 v3, 0, 1, s13
	s_delay_alu instid0(VALU_DEP_1) | instskip(NEXT) | instid1(VALU_DEP_4)
	v_cmp_ne_u32_e32 vcc_lo, 0, v3
	v_not_b32_e32 v3, v4
	s_delay_alu instid0(VALU_DEP_1) | instskip(SKIP_3) | instid1(VALU_DEP_3)
	v_dual_ashrrev_i32 v3, 31, v3 :: v_dual_lshlrev_b32 v2, 5, v1
	v_dual_lshlrev_b32 v5, 29, v1 :: v_dual_lshlrev_b32 v6, 28, v1
	v_dual_lshlrev_b32 v7, 27, v1 :: v_dual_lshlrev_b32 v33, 26, v1
	v_cmp_gt_i32_e64 s13, 0, v4
	v_cmp_gt_i32_e64 s14, 0, v5
	v_not_b32_e32 v4, v5
	v_not_b32_e32 v5, v6
	v_cmp_gt_i32_e64 s15, 0, v6
	v_not_b32_e32 v6, v7
	v_xor_b32_e32 v0, vcc_lo, v0
	v_dual_ashrrev_i32 v4, 31, v4 :: v_dual_bitop2_b32 v3, s13, v3 bitop3:0x14
	v_ashrrev_i32_e32 v5, 31, v5
	v_dual_lshlrev_b32 v34, 25, v1 :: v_dual_lshlrev_b32 v1, 24, v1
	v_cmp_gt_i32_e64 s16, 0, v7
	v_not_b32_e32 v7, v33
	v_dual_ashrrev_i32 v6, 31, v6 :: v_dual_bitop2_b32 v4, s14, v4 bitop3:0x14
	v_xor_b32_e32 v5, s15, v5
	v_bitop3_b32 v0, v0, v3, exec_lo bitop3:0x80
	v_cmp_gt_i32_e32 vcc_lo, 0, v33
	v_ashrrev_i32_e32 v3, 31, v7
	v_not_b32_e32 v7, v34
	v_xor_b32_e32 v6, s16, v6
	v_bitop3_b32 v0, v0, v5, v4 bitop3:0x80
	v_not_b32_e32 v4, v1
	v_xor_b32_e32 v3, vcc_lo, v3
	v_cmp_gt_i32_e32 vcc_lo, 0, v34
	v_ashrrev_i32_e32 v5, 31, v7
	v_cmp_gt_i32_e64 s13, 0, v1
	v_dual_ashrrev_i32 v1, 31, v4 :: v_dual_add_nc_u32 v35, v26, v2
	v_bitop3_b32 v0, v0, v3, v6 bitop3:0x80
	s_delay_alu instid0(VALU_DEP_4) | instskip(NEXT) | instid1(VALU_DEP_3)
	v_xor_b32_e32 v2, vcc_lo, v5
	v_xor_b32_e32 v1, s13, v1
	ds_load_b32 v33, v35 offset:32
	; wave barrier
	v_bitop3_b32 v0, v0, v1, v2 bitop3:0x80
	s_delay_alu instid0(VALU_DEP_1) | instskip(SKIP_1) | instid1(VALU_DEP_2)
	v_mbcnt_lo_u32_b32 v34, v0, 0
	v_cmp_ne_u32_e64 s13, 0, v0
	v_cmp_eq_u32_e32 vcc_lo, 0, v34
	s_and_b32 s14, s13, vcc_lo
	s_delay_alu instid0(SALU_CYCLE_1)
	s_and_saveexec_b32 s13, s14
	s_cbranch_execz .LBB2780_12
; %bb.11:                               ;   in Loop: Header=BB2780_6 Depth=1
	s_wait_dscnt 0x0
	v_bcnt_u32_b32 v0, v0, v33
	ds_store_b32 v35, v0 offset:32
.LBB2780_12:                            ;   in Loop: Header=BB2780_6 Depth=1
	s_or_b32 exec_lo, exec_lo, s13
	v_lshrrev_b64 v[0:1], s20, v[16:17]
	; wave barrier
	s_delay_alu instid0(VALU_DEP_1) | instskip(SKIP_1) | instid1(VALU_DEP_2)
	v_and_b32_e32 v1, s17, v0
	v_bitop3_b32 v0, v0, 1, s17 bitop3:0x80
	v_lshlrev_b32_e32 v4, 30, v1
	s_delay_alu instid0(VALU_DEP_2) | instskip(NEXT) | instid1(VALU_DEP_1)
	v_add_co_u32 v0, s13, v0, -1
	v_cndmask_b32_e64 v3, 0, 1, s13
	s_delay_alu instid0(VALU_DEP_1) | instskip(NEXT) | instid1(VALU_DEP_4)
	v_cmp_ne_u32_e32 vcc_lo, 0, v3
	v_not_b32_e32 v3, v4
	s_delay_alu instid0(VALU_DEP_1) | instskip(SKIP_3) | instid1(VALU_DEP_3)
	v_dual_ashrrev_i32 v3, 31, v3 :: v_dual_lshlrev_b32 v2, 5, v1
	v_dual_lshlrev_b32 v5, 29, v1 :: v_dual_lshlrev_b32 v6, 28, v1
	v_dual_lshlrev_b32 v7, 27, v1 :: v_dual_lshlrev_b32 v36, 26, v1
	v_cmp_gt_i32_e64 s13, 0, v4
	v_cmp_gt_i32_e64 s14, 0, v5
	v_not_b32_e32 v4, v5
	v_not_b32_e32 v5, v6
	v_cmp_gt_i32_e64 s15, 0, v6
	v_not_b32_e32 v6, v7
	v_xor_b32_e32 v0, vcc_lo, v0
	v_dual_ashrrev_i32 v4, 31, v4 :: v_dual_bitop2_b32 v3, s13, v3 bitop3:0x14
	v_ashrrev_i32_e32 v5, 31, v5
	v_dual_lshlrev_b32 v37, 25, v1 :: v_dual_lshlrev_b32 v1, 24, v1
	v_cmp_gt_i32_e64 s16, 0, v7
	v_not_b32_e32 v7, v36
	v_dual_ashrrev_i32 v6, 31, v6 :: v_dual_bitop2_b32 v4, s14, v4 bitop3:0x14
	v_xor_b32_e32 v5, s15, v5
	v_bitop3_b32 v0, v0, v3, exec_lo bitop3:0x80
	v_cmp_gt_i32_e32 vcc_lo, 0, v36
	v_ashrrev_i32_e32 v3, 31, v7
	v_not_b32_e32 v7, v37
	v_xor_b32_e32 v6, s16, v6
	v_bitop3_b32 v0, v0, v5, v4 bitop3:0x80
	v_not_b32_e32 v4, v1
	v_xor_b32_e32 v3, vcc_lo, v3
	v_cmp_gt_i32_e32 vcc_lo, 0, v37
	v_ashrrev_i32_e32 v5, 31, v7
	v_cmp_gt_i32_e64 s13, 0, v1
	v_dual_ashrrev_i32 v1, 31, v4 :: v_dual_add_nc_u32 v38, v26, v2
	v_bitop3_b32 v0, v0, v3, v6 bitop3:0x80
	s_delay_alu instid0(VALU_DEP_4) | instskip(NEXT) | instid1(VALU_DEP_3)
	v_xor_b32_e32 v2, vcc_lo, v5
	v_xor_b32_e32 v1, s13, v1
	ds_load_b32 v36, v38 offset:32
	; wave barrier
	v_bitop3_b32 v0, v0, v1, v2 bitop3:0x80
	s_delay_alu instid0(VALU_DEP_1) | instskip(SKIP_1) | instid1(VALU_DEP_2)
	v_mbcnt_lo_u32_b32 v37, v0, 0
	v_cmp_ne_u32_e64 s13, 0, v0
	v_cmp_eq_u32_e32 vcc_lo, 0, v37
	s_and_b32 s14, s13, vcc_lo
	s_delay_alu instid0(SALU_CYCLE_1)
	s_and_saveexec_b32 s13, s14
	s_cbranch_execz .LBB2780_14
; %bb.13:                               ;   in Loop: Header=BB2780_6 Depth=1
	s_wait_dscnt 0x0
	v_bcnt_u32_b32 v0, v0, v36
	ds_store_b32 v38, v0 offset:32
.LBB2780_14:                            ;   in Loop: Header=BB2780_6 Depth=1
	s_or_b32 exec_lo, exec_lo, s13
	; wave barrier
	s_wait_dscnt 0x0
	s_barrier_signal -1
	s_barrier_wait -1
	ds_load_2addr_b64 v[4:7], v23 offset0:4 offset1:5
	ds_load_2addr_b64 v[0:3], v23 offset0:6 offset1:7
	s_wait_dscnt 0x1
	v_add_nc_u32_e32 v39, v5, v4
	s_delay_alu instid0(VALU_DEP_1) | instskip(SKIP_1) | instid1(VALU_DEP_1)
	v_add3_u32 v39, v39, v6, v7
	s_wait_dscnt 0x0
	v_add3_u32 v39, v39, v0, v1
	s_delay_alu instid0(VALU_DEP_1) | instskip(NEXT) | instid1(VALU_DEP_1)
	v_add3_u32 v3, v39, v2, v3
	v_mov_b32_dpp v39, v3 row_shr:1 row_mask:0xf bank_mask:0xf
	s_delay_alu instid0(VALU_DEP_1) | instskip(NEXT) | instid1(VALU_DEP_1)
	v_cndmask_b32_e64 v39, v39, 0, s4
	v_add_nc_u32_e32 v3, v39, v3
	s_delay_alu instid0(VALU_DEP_1) | instskip(NEXT) | instid1(VALU_DEP_1)
	v_mov_b32_dpp v39, v3 row_shr:2 row_mask:0xf bank_mask:0xf
	v_cndmask_b32_e64 v39, 0, v39, s5
	s_delay_alu instid0(VALU_DEP_1) | instskip(NEXT) | instid1(VALU_DEP_1)
	v_add_nc_u32_e32 v3, v3, v39
	v_mov_b32_dpp v39, v3 row_shr:4 row_mask:0xf bank_mask:0xf
	s_delay_alu instid0(VALU_DEP_1) | instskip(NEXT) | instid1(VALU_DEP_1)
	v_cndmask_b32_e64 v39, 0, v39, s6
	v_add_nc_u32_e32 v3, v3, v39
	s_delay_alu instid0(VALU_DEP_1) | instskip(NEXT) | instid1(VALU_DEP_1)
	v_mov_b32_dpp v39, v3 row_shr:8 row_mask:0xf bank_mask:0xf
	v_cndmask_b32_e64 v39, 0, v39, s7
	s_delay_alu instid0(VALU_DEP_1) | instskip(SKIP_3) | instid1(VALU_DEP_1)
	v_add_nc_u32_e32 v3, v3, v39
	ds_swizzle_b32 v39, v3 offset:swizzle(BROADCAST,32,15)
	s_wait_dscnt 0x0
	v_cndmask_b32_e64 v39, v39, 0, s8
	v_add_nc_u32_e32 v3, v3, v39
	s_and_saveexec_b32 s13, s9
; %bb.15:                               ;   in Loop: Header=BB2780_6 Depth=1
	ds_store_b32 v24, v3
; %bb.16:                               ;   in Loop: Header=BB2780_6 Depth=1
	s_or_b32 exec_lo, exec_lo, s13
	s_wait_dscnt 0x0
	s_barrier_signal -1
	s_barrier_wait -1
	s_and_saveexec_b32 s13, s0
	s_cbranch_execz .LBB2780_18
; %bb.17:                               ;   in Loop: Header=BB2780_6 Depth=1
	ds_load_b32 v39, v29
	s_wait_dscnt 0x0
	v_mov_b32_dpp v40, v39 row_shr:1 row_mask:0xf bank_mask:0xf
	s_delay_alu instid0(VALU_DEP_1) | instskip(NEXT) | instid1(VALU_DEP_1)
	v_cndmask_b32_e64 v40, v40, 0, s10
	v_add_nc_u32_e32 v39, v40, v39
	s_delay_alu instid0(VALU_DEP_1) | instskip(NEXT) | instid1(VALU_DEP_1)
	v_mov_b32_dpp v40, v39 row_shr:2 row_mask:0xf bank_mask:0xf
	v_cndmask_b32_e64 v40, 0, v40, s11
	s_delay_alu instid0(VALU_DEP_1) | instskip(NEXT) | instid1(VALU_DEP_1)
	v_add_nc_u32_e32 v39, v39, v40
	v_mov_b32_dpp v40, v39 row_shr:4 row_mask:0xf bank_mask:0xf
	s_delay_alu instid0(VALU_DEP_1) | instskip(NEXT) | instid1(VALU_DEP_1)
	v_cndmask_b32_e64 v40, 0, v40, s12
	v_add_nc_u32_e32 v39, v39, v40
	ds_store_b32 v29, v39
.LBB2780_18:                            ;   in Loop: Header=BB2780_6 Depth=1
	s_or_b32 exec_lo, exec_lo, s13
	v_mov_b32_e32 v39, 0
	s_wait_dscnt 0x0
	s_barrier_signal -1
	s_barrier_wait -1
	s_and_saveexec_b32 s13, s1
; %bb.19:                               ;   in Loop: Header=BB2780_6 Depth=1
	ds_load_b32 v39, v27
; %bb.20:                               ;   in Loop: Header=BB2780_6 Depth=1
	s_or_b32 exec_lo, exec_lo, s13
	s_wait_dscnt 0x0
	v_add_nc_u32_e32 v3, v39, v3
	s_add_co_i32 s20, s20, 8
	s_mov_b32 s13, -1
	s_cmp_ge_u32 s20, s28
	ds_bpermute_b32 v3, v25, v3
	s_wait_dscnt 0x0
	v_cndmask_b32_e64 v3, v3, v39, s2
	s_delay_alu instid0(VALU_DEP_1) | instskip(NEXT) | instid1(VALU_DEP_1)
	v_cndmask_b32_e64 v40, v3, 0, s3
	v_add_nc_u32_e32 v41, v40, v4
	s_delay_alu instid0(VALU_DEP_1) | instskip(NEXT) | instid1(VALU_DEP_1)
	v_add_nc_u32_e32 v4, v41, v5
	v_add_nc_u32_e32 v5, v4, v6
	s_delay_alu instid0(VALU_DEP_1) | instskip(NEXT) | instid1(VALU_DEP_1)
	v_add_nc_u32_e32 v6, v5, v7
	;; [unrolled: 3-line block ×3, first 2 shown]
	v_add_nc_u32_e32 v1, v0, v2
	ds_store_2addr_b64 v23, v[40:41], v[4:5] offset0:4 offset1:5
	ds_store_2addr_b64 v23, v[6:7], v[0:1] offset0:6 offset1:7
	s_wait_dscnt 0x0
	s_barrier_signal -1
	s_barrier_wait -1
	ds_load_b32 v0, v31 offset:32
	ds_load_b32 v1, v35 offset:32
	ds_load_b32 v2, v38 offset:32
	ds_load_b32 v3, v9 offset:32
	v_lshlrev_b32_e32 v4, 3, v8
	v_dual_lshlrev_b32 v5, 3, v32 :: v_dual_lshlrev_b32 v6, 3, v30
	v_dual_lshlrev_b32 v7, 3, v34 :: v_dual_lshlrev_b32 v8, 3, v33
	;; [unrolled: 1-line block ×3, first 2 shown]
	s_wait_dscnt 0x0
	v_dual_lshlrev_b32 v30, 3, v0 :: v_dual_lshlrev_b32 v32, 3, v1
	v_lshlrev_b32_e32 v2, 3, v2
	v_lshl_add_u32 v0, v3, 3, v4
	s_delay_alu instid0(VALU_DEP_3) | instskip(NEXT) | instid1(VALU_DEP_4)
	v_add3_u32 v1, v5, v6, v30
	v_add3_u32 v30, v7, v8, v32
	s_delay_alu instid0(VALU_DEP_4)
	v_add3_u32 v31, v9, v31, v2
                                        ; implicit-def: $vgpr8_vgpr9
                                        ; implicit-def: $vgpr4_vgpr5
	s_cbranch_scc1 .LBB2780_5
; %bb.21:                               ;   in Loop: Header=BB2780_6 Depth=1
	s_barrier_signal -1
	s_barrier_wait -1
	ds_store_b64 v0, v[14:15]
	ds_store_b64 v1, v[20:21]
	;; [unrolled: 1-line block ×4, first 2 shown]
	s_wait_dscnt 0x0
	s_barrier_signal -1
	s_barrier_wait -1
	ds_load_2addr_b64 v[2:5], v28 offset1:32
	ds_load_2addr_b64 v[6:9], v28 offset0:64 offset1:96
	s_add_co_i32 s21, s21, -8
	s_mov_b32 s13, 0
	s_wait_dscnt 0x0
	s_barrier_signal -1
	s_barrier_wait -1
	s_branch .LBB2780_5
.LBB2780_22:
	v_dual_mov_b32 v5, 0 :: v_dual_lshlrev_b32 v4, 3, v22
	s_barrier_signal -1
	s_barrier_wait -1
	ds_store_b64 v0, v[14:15]
	ds_store_b64 v1, v[20:21]
	;; [unrolled: 1-line block ×4, first 2 shown]
	s_wait_dscnt 0x0
	s_barrier_signal -1
	s_barrier_wait -1
	ds_load_2addr_stride64_b64 v[8:11], v4 offset1:4
	ds_load_2addr_stride64_b64 v[0:3], v4 offset0:8 offset1:12
	s_add_nc_u64 s[0:1], s[22:23], s[24:25]
	s_and_not1_b32 vcc_lo, exec_lo, s26
	v_add_nc_u64_e32 v[4:5], s[0:1], v[4:5]
	s_wait_dscnt 0x1
	v_not_b32_e32 v9, v9
	v_not_b32_e32 v8, v8
	;; [unrolled: 1-line block ×4, first 2 shown]
	s_wait_dscnt 0x0
	v_not_b32_e32 v1, v1
	v_not_b32_e32 v0, v0
	s_cbranch_vccnz .LBB2780_32
; %bb.23:
	s_mov_b32 s0, -1
	s_clause 0x2
	global_store_b64 v[4:5], v[8:9], off
	global_store_b64 v[4:5], v[6:7], off offset:2048
	global_store_b64 v[4:5], v[0:1], off offset:4096
	s_cbranch_execz .LBB2780_33
	s_branch .LBB2780_40
.LBB2780_24:
	s_clause 0x2
	global_load_b64 v[2:3], v[12:13], off
	global_load_b64 v[4:5], v[12:13], off offset:256
	global_load_b64 v[6:7], v[12:13], off offset:512
	s_mov_b32 s3, -1
	s_load_b64 s[20:21], s[0:1], 0x28
	s_sub_co_i32 s19, s4, s2
	s_cbranch_execnz .LBB2780_2
.LBB2780_25:
	s_wait_loadcnt 0x2
	v_dual_mov_b32 v2, 0 :: v_dual_bitop2_b32 v11, v1, v14 bitop3:0x54
	s_mov_b32 s2, exec_lo
	s_wait_loadcnt 0x1
	s_delay_alu instid0(VALU_DEP_1)
	v_dual_mov_b32 v3, v2 :: v_dual_mov_b32 v4, v2
	s_wait_loadcnt 0x0
	v_dual_mov_b32 v5, v2 :: v_dual_mov_b32 v6, v2
	v_dual_mov_b32 v7, v2 :: v_dual_mov_b32 v8, v2
	v_mov_b32_e32 v9, v2
	v_cmpx_gt_u32_e64 s19, v11
	s_cbranch_execz .LBB2780_27
; %bb.26:
	global_load_b64 v[14:15], v[12:13], off
	v_dual_mov_b32 v16, v2 :: v_dual_mov_b32 v17, v2
	v_dual_mov_b32 v18, v2 :: v_dual_mov_b32 v19, v2
	;; [unrolled: 1-line block ×3, first 2 shown]
	s_wait_loadcnt 0x0
	v_mov_b64_e32 v[2:3], v[14:15]
	v_mov_b64_e32 v[4:5], v[16:17]
	;; [unrolled: 1-line block ×4, first 2 shown]
.LBB2780_27:
	s_or_b32 exec_lo, exec_lo, s2
	v_or_b32_e32 v14, 32, v11
	s_mov_b32 s2, exec_lo
	s_delay_alu instid0(VALU_DEP_1)
	v_cmpx_gt_u32_e64 s19, v14
	s_cbranch_execz .LBB2780_29
; %bb.28:
	global_load_b64 v[4:5], v[12:13], off offset:256
.LBB2780_29:
	s_wait_xcnt 0x0
	s_or_b32 exec_lo, exec_lo, s2
	v_or_b32_e32 v14, 64, v11
	s_mov_b32 s2, exec_lo
	s_delay_alu instid0(VALU_DEP_1)
	v_cmpx_gt_u32_e64 s19, v14
	s_cbranch_execz .LBB2780_31
; %bb.30:
	global_load_b64 v[6:7], v[12:13], off offset:512
.LBB2780_31:
	s_wait_xcnt 0x0
	s_or_b32 exec_lo, exec_lo, s2
	v_or_b32_e32 v11, 0x60, v11
	s_delay_alu instid0(VALU_DEP_1)
	v_cmp_gt_u32_e64 s3, s19, v11
	s_and_saveexec_b32 s2, s3
	s_cbranch_execnz .LBB2780_3
	s_branch .LBB2780_4
.LBB2780_32:
	s_mov_b32 s0, 0
.LBB2780_33:
	s_mov_b32 s0, exec_lo
	s_wait_xcnt 0x0
	v_cmpx_gt_u32_e64 s19, v22
	s_cbranch_execz .LBB2780_35
; %bb.34:
	global_store_b64 v[4:5], v[8:9], off
.LBB2780_35:
	s_wait_xcnt 0x0
	s_or_b32 exec_lo, exec_lo, s0
	v_add_nc_u32_e32 v8, 0x100, v22
	s_mov_b32 s0, exec_lo
	s_delay_alu instid0(VALU_DEP_1)
	v_cmpx_gt_u32_e64 s19, v8
	s_cbranch_execz .LBB2780_37
; %bb.36:
	global_store_b64 v[4:5], v[6:7], off offset:2048
.LBB2780_37:
	s_wait_xcnt 0x0
	s_or_b32 exec_lo, exec_lo, s0
	v_add_nc_u32_e32 v6, 0x200, v22
	s_mov_b32 s0, exec_lo
	s_delay_alu instid0(VALU_DEP_1)
	v_cmpx_gt_u32_e64 s19, v6
	s_cbranch_execz .LBB2780_39
; %bb.38:
	global_store_b64 v[4:5], v[0:1], off offset:4096
.LBB2780_39:
	s_wait_xcnt 0x0
	s_or_b32 exec_lo, exec_lo, s0
	v_add_nc_u32_e32 v0, 0x300, v22
	s_delay_alu instid0(VALU_DEP_1)
	v_cmp_gt_u32_e64 s0, s19, v0
.LBB2780_40:
	s_wait_xcnt 0x0
	s_delay_alu instid0(VALU_DEP_1)
	s_and_saveexec_b32 s1, s0
	s_cbranch_execnz .LBB2780_42
; %bb.41:
	s_endpgm
.LBB2780_42:
	v_not_b32_e32 v1, v3
	v_not_b32_e32 v0, v2
	global_store_b64 v[4:5], v[0:1], off offset:6144
	s_endpgm
	.section	.rodata,"a",@progbits
	.p2align	6, 0x0
	.amdhsa_kernel _ZN7rocprim17ROCPRIM_400000_NS6detail17trampoline_kernelINS0_13kernel_configILj256ELj4ELj4294967295EEENS1_37radix_sort_block_sort_config_selectorImNS0_10empty_typeEEEZNS1_21radix_sort_block_sortIS4_Lb1EPKmPmPS6_SC_NS0_19identity_decomposerEEE10hipError_tT1_T2_T3_T4_jRjT5_jjP12ihipStream_tbEUlT_E_NS1_11comp_targetILNS1_3genE0ELNS1_11target_archE4294967295ELNS1_3gpuE0ELNS1_3repE0EEENS1_44radix_sort_block_sort_config_static_selectorELNS0_4arch9wavefront6targetE0EEEvSF_
		.amdhsa_group_segment_fixed_size 8224
		.amdhsa_private_segment_fixed_size 0
		.amdhsa_kernarg_size 304
		.amdhsa_user_sgpr_count 2
		.amdhsa_user_sgpr_dispatch_ptr 0
		.amdhsa_user_sgpr_queue_ptr 0
		.amdhsa_user_sgpr_kernarg_segment_ptr 1
		.amdhsa_user_sgpr_dispatch_id 0
		.amdhsa_user_sgpr_kernarg_preload_length 0
		.amdhsa_user_sgpr_kernarg_preload_offset 0
		.amdhsa_user_sgpr_private_segment_size 0
		.amdhsa_wavefront_size32 1
		.amdhsa_uses_dynamic_stack 0
		.amdhsa_enable_private_segment 0
		.amdhsa_system_sgpr_workgroup_id_x 1
		.amdhsa_system_sgpr_workgroup_id_y 0
		.amdhsa_system_sgpr_workgroup_id_z 0
		.amdhsa_system_sgpr_workgroup_info 0
		.amdhsa_system_vgpr_workitem_id 2
		.amdhsa_next_free_vgpr 42
		.amdhsa_next_free_sgpr 30
		.amdhsa_named_barrier_count 0
		.amdhsa_reserve_vcc 1
		.amdhsa_float_round_mode_32 0
		.amdhsa_float_round_mode_16_64 0
		.amdhsa_float_denorm_mode_32 3
		.amdhsa_float_denorm_mode_16_64 3
		.amdhsa_fp16_overflow 0
		.amdhsa_memory_ordered 1
		.amdhsa_forward_progress 1
		.amdhsa_inst_pref_size 28
		.amdhsa_round_robin_scheduling 0
		.amdhsa_exception_fp_ieee_invalid_op 0
		.amdhsa_exception_fp_denorm_src 0
		.amdhsa_exception_fp_ieee_div_zero 0
		.amdhsa_exception_fp_ieee_overflow 0
		.amdhsa_exception_fp_ieee_underflow 0
		.amdhsa_exception_fp_ieee_inexact 0
		.amdhsa_exception_int_div_zero 0
	.end_amdhsa_kernel
	.section	.text._ZN7rocprim17ROCPRIM_400000_NS6detail17trampoline_kernelINS0_13kernel_configILj256ELj4ELj4294967295EEENS1_37radix_sort_block_sort_config_selectorImNS0_10empty_typeEEEZNS1_21radix_sort_block_sortIS4_Lb1EPKmPmPS6_SC_NS0_19identity_decomposerEEE10hipError_tT1_T2_T3_T4_jRjT5_jjP12ihipStream_tbEUlT_E_NS1_11comp_targetILNS1_3genE0ELNS1_11target_archE4294967295ELNS1_3gpuE0ELNS1_3repE0EEENS1_44radix_sort_block_sort_config_static_selectorELNS0_4arch9wavefront6targetE0EEEvSF_,"axG",@progbits,_ZN7rocprim17ROCPRIM_400000_NS6detail17trampoline_kernelINS0_13kernel_configILj256ELj4ELj4294967295EEENS1_37radix_sort_block_sort_config_selectorImNS0_10empty_typeEEEZNS1_21radix_sort_block_sortIS4_Lb1EPKmPmPS6_SC_NS0_19identity_decomposerEEE10hipError_tT1_T2_T3_T4_jRjT5_jjP12ihipStream_tbEUlT_E_NS1_11comp_targetILNS1_3genE0ELNS1_11target_archE4294967295ELNS1_3gpuE0ELNS1_3repE0EEENS1_44radix_sort_block_sort_config_static_selectorELNS0_4arch9wavefront6targetE0EEEvSF_,comdat
.Lfunc_end2780:
	.size	_ZN7rocprim17ROCPRIM_400000_NS6detail17trampoline_kernelINS0_13kernel_configILj256ELj4ELj4294967295EEENS1_37radix_sort_block_sort_config_selectorImNS0_10empty_typeEEEZNS1_21radix_sort_block_sortIS4_Lb1EPKmPmPS6_SC_NS0_19identity_decomposerEEE10hipError_tT1_T2_T3_T4_jRjT5_jjP12ihipStream_tbEUlT_E_NS1_11comp_targetILNS1_3genE0ELNS1_11target_archE4294967295ELNS1_3gpuE0ELNS1_3repE0EEENS1_44radix_sort_block_sort_config_static_selectorELNS0_4arch9wavefront6targetE0EEEvSF_, .Lfunc_end2780-_ZN7rocprim17ROCPRIM_400000_NS6detail17trampoline_kernelINS0_13kernel_configILj256ELj4ELj4294967295EEENS1_37radix_sort_block_sort_config_selectorImNS0_10empty_typeEEEZNS1_21radix_sort_block_sortIS4_Lb1EPKmPmPS6_SC_NS0_19identity_decomposerEEE10hipError_tT1_T2_T3_T4_jRjT5_jjP12ihipStream_tbEUlT_E_NS1_11comp_targetILNS1_3genE0ELNS1_11target_archE4294967295ELNS1_3gpuE0ELNS1_3repE0EEENS1_44radix_sort_block_sort_config_static_selectorELNS0_4arch9wavefront6targetE0EEEvSF_
                                        ; -- End function
	.set _ZN7rocprim17ROCPRIM_400000_NS6detail17trampoline_kernelINS0_13kernel_configILj256ELj4ELj4294967295EEENS1_37radix_sort_block_sort_config_selectorImNS0_10empty_typeEEEZNS1_21radix_sort_block_sortIS4_Lb1EPKmPmPS6_SC_NS0_19identity_decomposerEEE10hipError_tT1_T2_T3_T4_jRjT5_jjP12ihipStream_tbEUlT_E_NS1_11comp_targetILNS1_3genE0ELNS1_11target_archE4294967295ELNS1_3gpuE0ELNS1_3repE0EEENS1_44radix_sort_block_sort_config_static_selectorELNS0_4arch9wavefront6targetE0EEEvSF_.num_vgpr, 42
	.set _ZN7rocprim17ROCPRIM_400000_NS6detail17trampoline_kernelINS0_13kernel_configILj256ELj4ELj4294967295EEENS1_37radix_sort_block_sort_config_selectorImNS0_10empty_typeEEEZNS1_21radix_sort_block_sortIS4_Lb1EPKmPmPS6_SC_NS0_19identity_decomposerEEE10hipError_tT1_T2_T3_T4_jRjT5_jjP12ihipStream_tbEUlT_E_NS1_11comp_targetILNS1_3genE0ELNS1_11target_archE4294967295ELNS1_3gpuE0ELNS1_3repE0EEENS1_44radix_sort_block_sort_config_static_selectorELNS0_4arch9wavefront6targetE0EEEvSF_.num_agpr, 0
	.set _ZN7rocprim17ROCPRIM_400000_NS6detail17trampoline_kernelINS0_13kernel_configILj256ELj4ELj4294967295EEENS1_37radix_sort_block_sort_config_selectorImNS0_10empty_typeEEEZNS1_21radix_sort_block_sortIS4_Lb1EPKmPmPS6_SC_NS0_19identity_decomposerEEE10hipError_tT1_T2_T3_T4_jRjT5_jjP12ihipStream_tbEUlT_E_NS1_11comp_targetILNS1_3genE0ELNS1_11target_archE4294967295ELNS1_3gpuE0ELNS1_3repE0EEENS1_44radix_sort_block_sort_config_static_selectorELNS0_4arch9wavefront6targetE0EEEvSF_.numbered_sgpr, 30
	.set _ZN7rocprim17ROCPRIM_400000_NS6detail17trampoline_kernelINS0_13kernel_configILj256ELj4ELj4294967295EEENS1_37radix_sort_block_sort_config_selectorImNS0_10empty_typeEEEZNS1_21radix_sort_block_sortIS4_Lb1EPKmPmPS6_SC_NS0_19identity_decomposerEEE10hipError_tT1_T2_T3_T4_jRjT5_jjP12ihipStream_tbEUlT_E_NS1_11comp_targetILNS1_3genE0ELNS1_11target_archE4294967295ELNS1_3gpuE0ELNS1_3repE0EEENS1_44radix_sort_block_sort_config_static_selectorELNS0_4arch9wavefront6targetE0EEEvSF_.num_named_barrier, 0
	.set _ZN7rocprim17ROCPRIM_400000_NS6detail17trampoline_kernelINS0_13kernel_configILj256ELj4ELj4294967295EEENS1_37radix_sort_block_sort_config_selectorImNS0_10empty_typeEEEZNS1_21radix_sort_block_sortIS4_Lb1EPKmPmPS6_SC_NS0_19identity_decomposerEEE10hipError_tT1_T2_T3_T4_jRjT5_jjP12ihipStream_tbEUlT_E_NS1_11comp_targetILNS1_3genE0ELNS1_11target_archE4294967295ELNS1_3gpuE0ELNS1_3repE0EEENS1_44radix_sort_block_sort_config_static_selectorELNS0_4arch9wavefront6targetE0EEEvSF_.private_seg_size, 0
	.set _ZN7rocprim17ROCPRIM_400000_NS6detail17trampoline_kernelINS0_13kernel_configILj256ELj4ELj4294967295EEENS1_37radix_sort_block_sort_config_selectorImNS0_10empty_typeEEEZNS1_21radix_sort_block_sortIS4_Lb1EPKmPmPS6_SC_NS0_19identity_decomposerEEE10hipError_tT1_T2_T3_T4_jRjT5_jjP12ihipStream_tbEUlT_E_NS1_11comp_targetILNS1_3genE0ELNS1_11target_archE4294967295ELNS1_3gpuE0ELNS1_3repE0EEENS1_44radix_sort_block_sort_config_static_selectorELNS0_4arch9wavefront6targetE0EEEvSF_.uses_vcc, 1
	.set _ZN7rocprim17ROCPRIM_400000_NS6detail17trampoline_kernelINS0_13kernel_configILj256ELj4ELj4294967295EEENS1_37radix_sort_block_sort_config_selectorImNS0_10empty_typeEEEZNS1_21radix_sort_block_sortIS4_Lb1EPKmPmPS6_SC_NS0_19identity_decomposerEEE10hipError_tT1_T2_T3_T4_jRjT5_jjP12ihipStream_tbEUlT_E_NS1_11comp_targetILNS1_3genE0ELNS1_11target_archE4294967295ELNS1_3gpuE0ELNS1_3repE0EEENS1_44radix_sort_block_sort_config_static_selectorELNS0_4arch9wavefront6targetE0EEEvSF_.uses_flat_scratch, 0
	.set _ZN7rocprim17ROCPRIM_400000_NS6detail17trampoline_kernelINS0_13kernel_configILj256ELj4ELj4294967295EEENS1_37radix_sort_block_sort_config_selectorImNS0_10empty_typeEEEZNS1_21radix_sort_block_sortIS4_Lb1EPKmPmPS6_SC_NS0_19identity_decomposerEEE10hipError_tT1_T2_T3_T4_jRjT5_jjP12ihipStream_tbEUlT_E_NS1_11comp_targetILNS1_3genE0ELNS1_11target_archE4294967295ELNS1_3gpuE0ELNS1_3repE0EEENS1_44radix_sort_block_sort_config_static_selectorELNS0_4arch9wavefront6targetE0EEEvSF_.has_dyn_sized_stack, 0
	.set _ZN7rocprim17ROCPRIM_400000_NS6detail17trampoline_kernelINS0_13kernel_configILj256ELj4ELj4294967295EEENS1_37radix_sort_block_sort_config_selectorImNS0_10empty_typeEEEZNS1_21radix_sort_block_sortIS4_Lb1EPKmPmPS6_SC_NS0_19identity_decomposerEEE10hipError_tT1_T2_T3_T4_jRjT5_jjP12ihipStream_tbEUlT_E_NS1_11comp_targetILNS1_3genE0ELNS1_11target_archE4294967295ELNS1_3gpuE0ELNS1_3repE0EEENS1_44radix_sort_block_sort_config_static_selectorELNS0_4arch9wavefront6targetE0EEEvSF_.has_recursion, 0
	.set _ZN7rocprim17ROCPRIM_400000_NS6detail17trampoline_kernelINS0_13kernel_configILj256ELj4ELj4294967295EEENS1_37radix_sort_block_sort_config_selectorImNS0_10empty_typeEEEZNS1_21radix_sort_block_sortIS4_Lb1EPKmPmPS6_SC_NS0_19identity_decomposerEEE10hipError_tT1_T2_T3_T4_jRjT5_jjP12ihipStream_tbEUlT_E_NS1_11comp_targetILNS1_3genE0ELNS1_11target_archE4294967295ELNS1_3gpuE0ELNS1_3repE0EEENS1_44radix_sort_block_sort_config_static_selectorELNS0_4arch9wavefront6targetE0EEEvSF_.has_indirect_call, 0
	.section	.AMDGPU.csdata,"",@progbits
; Kernel info:
; codeLenInByte = 3516
; TotalNumSgprs: 32
; NumVgprs: 42
; ScratchSize: 0
; MemoryBound: 1
; FloatMode: 240
; IeeeMode: 1
; LDSByteSize: 8224 bytes/workgroup (compile time only)
; SGPRBlocks: 0
; VGPRBlocks: 2
; NumSGPRsForWavesPerEU: 32
; NumVGPRsForWavesPerEU: 42
; NamedBarCnt: 0
; Occupancy: 16
; WaveLimiterHint : 1
; COMPUTE_PGM_RSRC2:SCRATCH_EN: 0
; COMPUTE_PGM_RSRC2:USER_SGPR: 2
; COMPUTE_PGM_RSRC2:TRAP_HANDLER: 0
; COMPUTE_PGM_RSRC2:TGID_X_EN: 1
; COMPUTE_PGM_RSRC2:TGID_Y_EN: 0
; COMPUTE_PGM_RSRC2:TGID_Z_EN: 0
; COMPUTE_PGM_RSRC2:TIDIG_COMP_CNT: 2
	.section	.text._ZN7rocprim17ROCPRIM_400000_NS6detail17trampoline_kernelINS0_13kernel_configILj256ELj4ELj4294967295EEENS1_37radix_sort_block_sort_config_selectorImNS0_10empty_typeEEEZNS1_21radix_sort_block_sortIS4_Lb1EPKmPmPS6_SC_NS0_19identity_decomposerEEE10hipError_tT1_T2_T3_T4_jRjT5_jjP12ihipStream_tbEUlT_E_NS1_11comp_targetILNS1_3genE5ELNS1_11target_archE942ELNS1_3gpuE9ELNS1_3repE0EEENS1_44radix_sort_block_sort_config_static_selectorELNS0_4arch9wavefront6targetE0EEEvSF_,"axG",@progbits,_ZN7rocprim17ROCPRIM_400000_NS6detail17trampoline_kernelINS0_13kernel_configILj256ELj4ELj4294967295EEENS1_37radix_sort_block_sort_config_selectorImNS0_10empty_typeEEEZNS1_21radix_sort_block_sortIS4_Lb1EPKmPmPS6_SC_NS0_19identity_decomposerEEE10hipError_tT1_T2_T3_T4_jRjT5_jjP12ihipStream_tbEUlT_E_NS1_11comp_targetILNS1_3genE5ELNS1_11target_archE942ELNS1_3gpuE9ELNS1_3repE0EEENS1_44radix_sort_block_sort_config_static_selectorELNS0_4arch9wavefront6targetE0EEEvSF_,comdat
	.protected	_ZN7rocprim17ROCPRIM_400000_NS6detail17trampoline_kernelINS0_13kernel_configILj256ELj4ELj4294967295EEENS1_37radix_sort_block_sort_config_selectorImNS0_10empty_typeEEEZNS1_21radix_sort_block_sortIS4_Lb1EPKmPmPS6_SC_NS0_19identity_decomposerEEE10hipError_tT1_T2_T3_T4_jRjT5_jjP12ihipStream_tbEUlT_E_NS1_11comp_targetILNS1_3genE5ELNS1_11target_archE942ELNS1_3gpuE9ELNS1_3repE0EEENS1_44radix_sort_block_sort_config_static_selectorELNS0_4arch9wavefront6targetE0EEEvSF_ ; -- Begin function _ZN7rocprim17ROCPRIM_400000_NS6detail17trampoline_kernelINS0_13kernel_configILj256ELj4ELj4294967295EEENS1_37radix_sort_block_sort_config_selectorImNS0_10empty_typeEEEZNS1_21radix_sort_block_sortIS4_Lb1EPKmPmPS6_SC_NS0_19identity_decomposerEEE10hipError_tT1_T2_T3_T4_jRjT5_jjP12ihipStream_tbEUlT_E_NS1_11comp_targetILNS1_3genE5ELNS1_11target_archE942ELNS1_3gpuE9ELNS1_3repE0EEENS1_44radix_sort_block_sort_config_static_selectorELNS0_4arch9wavefront6targetE0EEEvSF_
	.globl	_ZN7rocprim17ROCPRIM_400000_NS6detail17trampoline_kernelINS0_13kernel_configILj256ELj4ELj4294967295EEENS1_37radix_sort_block_sort_config_selectorImNS0_10empty_typeEEEZNS1_21radix_sort_block_sortIS4_Lb1EPKmPmPS6_SC_NS0_19identity_decomposerEEE10hipError_tT1_T2_T3_T4_jRjT5_jjP12ihipStream_tbEUlT_E_NS1_11comp_targetILNS1_3genE5ELNS1_11target_archE942ELNS1_3gpuE9ELNS1_3repE0EEENS1_44radix_sort_block_sort_config_static_selectorELNS0_4arch9wavefront6targetE0EEEvSF_
	.p2align	8
	.type	_ZN7rocprim17ROCPRIM_400000_NS6detail17trampoline_kernelINS0_13kernel_configILj256ELj4ELj4294967295EEENS1_37radix_sort_block_sort_config_selectorImNS0_10empty_typeEEEZNS1_21radix_sort_block_sortIS4_Lb1EPKmPmPS6_SC_NS0_19identity_decomposerEEE10hipError_tT1_T2_T3_T4_jRjT5_jjP12ihipStream_tbEUlT_E_NS1_11comp_targetILNS1_3genE5ELNS1_11target_archE942ELNS1_3gpuE9ELNS1_3repE0EEENS1_44radix_sort_block_sort_config_static_selectorELNS0_4arch9wavefront6targetE0EEEvSF_,@function
_ZN7rocprim17ROCPRIM_400000_NS6detail17trampoline_kernelINS0_13kernel_configILj256ELj4ELj4294967295EEENS1_37radix_sort_block_sort_config_selectorImNS0_10empty_typeEEEZNS1_21radix_sort_block_sortIS4_Lb1EPKmPmPS6_SC_NS0_19identity_decomposerEEE10hipError_tT1_T2_T3_T4_jRjT5_jjP12ihipStream_tbEUlT_E_NS1_11comp_targetILNS1_3genE5ELNS1_11target_archE942ELNS1_3gpuE9ELNS1_3repE0EEENS1_44radix_sort_block_sort_config_static_selectorELNS0_4arch9wavefront6targetE0EEEvSF_: ; @_ZN7rocprim17ROCPRIM_400000_NS6detail17trampoline_kernelINS0_13kernel_configILj256ELj4ELj4294967295EEENS1_37radix_sort_block_sort_config_selectorImNS0_10empty_typeEEEZNS1_21radix_sort_block_sortIS4_Lb1EPKmPmPS6_SC_NS0_19identity_decomposerEEE10hipError_tT1_T2_T3_T4_jRjT5_jjP12ihipStream_tbEUlT_E_NS1_11comp_targetILNS1_3genE5ELNS1_11target_archE942ELNS1_3gpuE9ELNS1_3repE0EEENS1_44radix_sort_block_sort_config_static_selectorELNS0_4arch9wavefront6targetE0EEEvSF_
; %bb.0:
	.section	.rodata,"a",@progbits
	.p2align	6, 0x0
	.amdhsa_kernel _ZN7rocprim17ROCPRIM_400000_NS6detail17trampoline_kernelINS0_13kernel_configILj256ELj4ELj4294967295EEENS1_37radix_sort_block_sort_config_selectorImNS0_10empty_typeEEEZNS1_21radix_sort_block_sortIS4_Lb1EPKmPmPS6_SC_NS0_19identity_decomposerEEE10hipError_tT1_T2_T3_T4_jRjT5_jjP12ihipStream_tbEUlT_E_NS1_11comp_targetILNS1_3genE5ELNS1_11target_archE942ELNS1_3gpuE9ELNS1_3repE0EEENS1_44radix_sort_block_sort_config_static_selectorELNS0_4arch9wavefront6targetE0EEEvSF_
		.amdhsa_group_segment_fixed_size 0
		.amdhsa_private_segment_fixed_size 0
		.amdhsa_kernarg_size 48
		.amdhsa_user_sgpr_count 2
		.amdhsa_user_sgpr_dispatch_ptr 0
		.amdhsa_user_sgpr_queue_ptr 0
		.amdhsa_user_sgpr_kernarg_segment_ptr 1
		.amdhsa_user_sgpr_dispatch_id 0
		.amdhsa_user_sgpr_kernarg_preload_length 0
		.amdhsa_user_sgpr_kernarg_preload_offset 0
		.amdhsa_user_sgpr_private_segment_size 0
		.amdhsa_wavefront_size32 1
		.amdhsa_uses_dynamic_stack 0
		.amdhsa_enable_private_segment 0
		.amdhsa_system_sgpr_workgroup_id_x 1
		.amdhsa_system_sgpr_workgroup_id_y 0
		.amdhsa_system_sgpr_workgroup_id_z 0
		.amdhsa_system_sgpr_workgroup_info 0
		.amdhsa_system_vgpr_workitem_id 0
		.amdhsa_next_free_vgpr 1
		.amdhsa_next_free_sgpr 1
		.amdhsa_named_barrier_count 0
		.amdhsa_reserve_vcc 0
		.amdhsa_float_round_mode_32 0
		.amdhsa_float_round_mode_16_64 0
		.amdhsa_float_denorm_mode_32 3
		.amdhsa_float_denorm_mode_16_64 3
		.amdhsa_fp16_overflow 0
		.amdhsa_memory_ordered 1
		.amdhsa_forward_progress 1
		.amdhsa_inst_pref_size 0
		.amdhsa_round_robin_scheduling 0
		.amdhsa_exception_fp_ieee_invalid_op 0
		.amdhsa_exception_fp_denorm_src 0
		.amdhsa_exception_fp_ieee_div_zero 0
		.amdhsa_exception_fp_ieee_overflow 0
		.amdhsa_exception_fp_ieee_underflow 0
		.amdhsa_exception_fp_ieee_inexact 0
		.amdhsa_exception_int_div_zero 0
	.end_amdhsa_kernel
	.section	.text._ZN7rocprim17ROCPRIM_400000_NS6detail17trampoline_kernelINS0_13kernel_configILj256ELj4ELj4294967295EEENS1_37radix_sort_block_sort_config_selectorImNS0_10empty_typeEEEZNS1_21radix_sort_block_sortIS4_Lb1EPKmPmPS6_SC_NS0_19identity_decomposerEEE10hipError_tT1_T2_T3_T4_jRjT5_jjP12ihipStream_tbEUlT_E_NS1_11comp_targetILNS1_3genE5ELNS1_11target_archE942ELNS1_3gpuE9ELNS1_3repE0EEENS1_44radix_sort_block_sort_config_static_selectorELNS0_4arch9wavefront6targetE0EEEvSF_,"axG",@progbits,_ZN7rocprim17ROCPRIM_400000_NS6detail17trampoline_kernelINS0_13kernel_configILj256ELj4ELj4294967295EEENS1_37radix_sort_block_sort_config_selectorImNS0_10empty_typeEEEZNS1_21radix_sort_block_sortIS4_Lb1EPKmPmPS6_SC_NS0_19identity_decomposerEEE10hipError_tT1_T2_T3_T4_jRjT5_jjP12ihipStream_tbEUlT_E_NS1_11comp_targetILNS1_3genE5ELNS1_11target_archE942ELNS1_3gpuE9ELNS1_3repE0EEENS1_44radix_sort_block_sort_config_static_selectorELNS0_4arch9wavefront6targetE0EEEvSF_,comdat
.Lfunc_end2781:
	.size	_ZN7rocprim17ROCPRIM_400000_NS6detail17trampoline_kernelINS0_13kernel_configILj256ELj4ELj4294967295EEENS1_37radix_sort_block_sort_config_selectorImNS0_10empty_typeEEEZNS1_21radix_sort_block_sortIS4_Lb1EPKmPmPS6_SC_NS0_19identity_decomposerEEE10hipError_tT1_T2_T3_T4_jRjT5_jjP12ihipStream_tbEUlT_E_NS1_11comp_targetILNS1_3genE5ELNS1_11target_archE942ELNS1_3gpuE9ELNS1_3repE0EEENS1_44radix_sort_block_sort_config_static_selectorELNS0_4arch9wavefront6targetE0EEEvSF_, .Lfunc_end2781-_ZN7rocprim17ROCPRIM_400000_NS6detail17trampoline_kernelINS0_13kernel_configILj256ELj4ELj4294967295EEENS1_37radix_sort_block_sort_config_selectorImNS0_10empty_typeEEEZNS1_21radix_sort_block_sortIS4_Lb1EPKmPmPS6_SC_NS0_19identity_decomposerEEE10hipError_tT1_T2_T3_T4_jRjT5_jjP12ihipStream_tbEUlT_E_NS1_11comp_targetILNS1_3genE5ELNS1_11target_archE942ELNS1_3gpuE9ELNS1_3repE0EEENS1_44radix_sort_block_sort_config_static_selectorELNS0_4arch9wavefront6targetE0EEEvSF_
                                        ; -- End function
	.set _ZN7rocprim17ROCPRIM_400000_NS6detail17trampoline_kernelINS0_13kernel_configILj256ELj4ELj4294967295EEENS1_37radix_sort_block_sort_config_selectorImNS0_10empty_typeEEEZNS1_21radix_sort_block_sortIS4_Lb1EPKmPmPS6_SC_NS0_19identity_decomposerEEE10hipError_tT1_T2_T3_T4_jRjT5_jjP12ihipStream_tbEUlT_E_NS1_11comp_targetILNS1_3genE5ELNS1_11target_archE942ELNS1_3gpuE9ELNS1_3repE0EEENS1_44radix_sort_block_sort_config_static_selectorELNS0_4arch9wavefront6targetE0EEEvSF_.num_vgpr, 0
	.set _ZN7rocprim17ROCPRIM_400000_NS6detail17trampoline_kernelINS0_13kernel_configILj256ELj4ELj4294967295EEENS1_37radix_sort_block_sort_config_selectorImNS0_10empty_typeEEEZNS1_21radix_sort_block_sortIS4_Lb1EPKmPmPS6_SC_NS0_19identity_decomposerEEE10hipError_tT1_T2_T3_T4_jRjT5_jjP12ihipStream_tbEUlT_E_NS1_11comp_targetILNS1_3genE5ELNS1_11target_archE942ELNS1_3gpuE9ELNS1_3repE0EEENS1_44radix_sort_block_sort_config_static_selectorELNS0_4arch9wavefront6targetE0EEEvSF_.num_agpr, 0
	.set _ZN7rocprim17ROCPRIM_400000_NS6detail17trampoline_kernelINS0_13kernel_configILj256ELj4ELj4294967295EEENS1_37radix_sort_block_sort_config_selectorImNS0_10empty_typeEEEZNS1_21radix_sort_block_sortIS4_Lb1EPKmPmPS6_SC_NS0_19identity_decomposerEEE10hipError_tT1_T2_T3_T4_jRjT5_jjP12ihipStream_tbEUlT_E_NS1_11comp_targetILNS1_3genE5ELNS1_11target_archE942ELNS1_3gpuE9ELNS1_3repE0EEENS1_44radix_sort_block_sort_config_static_selectorELNS0_4arch9wavefront6targetE0EEEvSF_.numbered_sgpr, 0
	.set _ZN7rocprim17ROCPRIM_400000_NS6detail17trampoline_kernelINS0_13kernel_configILj256ELj4ELj4294967295EEENS1_37radix_sort_block_sort_config_selectorImNS0_10empty_typeEEEZNS1_21radix_sort_block_sortIS4_Lb1EPKmPmPS6_SC_NS0_19identity_decomposerEEE10hipError_tT1_T2_T3_T4_jRjT5_jjP12ihipStream_tbEUlT_E_NS1_11comp_targetILNS1_3genE5ELNS1_11target_archE942ELNS1_3gpuE9ELNS1_3repE0EEENS1_44radix_sort_block_sort_config_static_selectorELNS0_4arch9wavefront6targetE0EEEvSF_.num_named_barrier, 0
	.set _ZN7rocprim17ROCPRIM_400000_NS6detail17trampoline_kernelINS0_13kernel_configILj256ELj4ELj4294967295EEENS1_37radix_sort_block_sort_config_selectorImNS0_10empty_typeEEEZNS1_21radix_sort_block_sortIS4_Lb1EPKmPmPS6_SC_NS0_19identity_decomposerEEE10hipError_tT1_T2_T3_T4_jRjT5_jjP12ihipStream_tbEUlT_E_NS1_11comp_targetILNS1_3genE5ELNS1_11target_archE942ELNS1_3gpuE9ELNS1_3repE0EEENS1_44radix_sort_block_sort_config_static_selectorELNS0_4arch9wavefront6targetE0EEEvSF_.private_seg_size, 0
	.set _ZN7rocprim17ROCPRIM_400000_NS6detail17trampoline_kernelINS0_13kernel_configILj256ELj4ELj4294967295EEENS1_37radix_sort_block_sort_config_selectorImNS0_10empty_typeEEEZNS1_21radix_sort_block_sortIS4_Lb1EPKmPmPS6_SC_NS0_19identity_decomposerEEE10hipError_tT1_T2_T3_T4_jRjT5_jjP12ihipStream_tbEUlT_E_NS1_11comp_targetILNS1_3genE5ELNS1_11target_archE942ELNS1_3gpuE9ELNS1_3repE0EEENS1_44radix_sort_block_sort_config_static_selectorELNS0_4arch9wavefront6targetE0EEEvSF_.uses_vcc, 0
	.set _ZN7rocprim17ROCPRIM_400000_NS6detail17trampoline_kernelINS0_13kernel_configILj256ELj4ELj4294967295EEENS1_37radix_sort_block_sort_config_selectorImNS0_10empty_typeEEEZNS1_21radix_sort_block_sortIS4_Lb1EPKmPmPS6_SC_NS0_19identity_decomposerEEE10hipError_tT1_T2_T3_T4_jRjT5_jjP12ihipStream_tbEUlT_E_NS1_11comp_targetILNS1_3genE5ELNS1_11target_archE942ELNS1_3gpuE9ELNS1_3repE0EEENS1_44radix_sort_block_sort_config_static_selectorELNS0_4arch9wavefront6targetE0EEEvSF_.uses_flat_scratch, 0
	.set _ZN7rocprim17ROCPRIM_400000_NS6detail17trampoline_kernelINS0_13kernel_configILj256ELj4ELj4294967295EEENS1_37radix_sort_block_sort_config_selectorImNS0_10empty_typeEEEZNS1_21radix_sort_block_sortIS4_Lb1EPKmPmPS6_SC_NS0_19identity_decomposerEEE10hipError_tT1_T2_T3_T4_jRjT5_jjP12ihipStream_tbEUlT_E_NS1_11comp_targetILNS1_3genE5ELNS1_11target_archE942ELNS1_3gpuE9ELNS1_3repE0EEENS1_44radix_sort_block_sort_config_static_selectorELNS0_4arch9wavefront6targetE0EEEvSF_.has_dyn_sized_stack, 0
	.set _ZN7rocprim17ROCPRIM_400000_NS6detail17trampoline_kernelINS0_13kernel_configILj256ELj4ELj4294967295EEENS1_37radix_sort_block_sort_config_selectorImNS0_10empty_typeEEEZNS1_21radix_sort_block_sortIS4_Lb1EPKmPmPS6_SC_NS0_19identity_decomposerEEE10hipError_tT1_T2_T3_T4_jRjT5_jjP12ihipStream_tbEUlT_E_NS1_11comp_targetILNS1_3genE5ELNS1_11target_archE942ELNS1_3gpuE9ELNS1_3repE0EEENS1_44radix_sort_block_sort_config_static_selectorELNS0_4arch9wavefront6targetE0EEEvSF_.has_recursion, 0
	.set _ZN7rocprim17ROCPRIM_400000_NS6detail17trampoline_kernelINS0_13kernel_configILj256ELj4ELj4294967295EEENS1_37radix_sort_block_sort_config_selectorImNS0_10empty_typeEEEZNS1_21radix_sort_block_sortIS4_Lb1EPKmPmPS6_SC_NS0_19identity_decomposerEEE10hipError_tT1_T2_T3_T4_jRjT5_jjP12ihipStream_tbEUlT_E_NS1_11comp_targetILNS1_3genE5ELNS1_11target_archE942ELNS1_3gpuE9ELNS1_3repE0EEENS1_44radix_sort_block_sort_config_static_selectorELNS0_4arch9wavefront6targetE0EEEvSF_.has_indirect_call, 0
	.section	.AMDGPU.csdata,"",@progbits
; Kernel info:
; codeLenInByte = 0
; TotalNumSgprs: 0
; NumVgprs: 0
; ScratchSize: 0
; MemoryBound: 0
; FloatMode: 240
; IeeeMode: 1
; LDSByteSize: 0 bytes/workgroup (compile time only)
; SGPRBlocks: 0
; VGPRBlocks: 0
; NumSGPRsForWavesPerEU: 1
; NumVGPRsForWavesPerEU: 1
; NamedBarCnt: 0
; Occupancy: 16
; WaveLimiterHint : 0
; COMPUTE_PGM_RSRC2:SCRATCH_EN: 0
; COMPUTE_PGM_RSRC2:USER_SGPR: 2
; COMPUTE_PGM_RSRC2:TRAP_HANDLER: 0
; COMPUTE_PGM_RSRC2:TGID_X_EN: 1
; COMPUTE_PGM_RSRC2:TGID_Y_EN: 0
; COMPUTE_PGM_RSRC2:TGID_Z_EN: 0
; COMPUTE_PGM_RSRC2:TIDIG_COMP_CNT: 0
	.section	.text._ZN7rocprim17ROCPRIM_400000_NS6detail17trampoline_kernelINS0_13kernel_configILj256ELj4ELj4294967295EEENS1_37radix_sort_block_sort_config_selectorImNS0_10empty_typeEEEZNS1_21radix_sort_block_sortIS4_Lb1EPKmPmPS6_SC_NS0_19identity_decomposerEEE10hipError_tT1_T2_T3_T4_jRjT5_jjP12ihipStream_tbEUlT_E_NS1_11comp_targetILNS1_3genE4ELNS1_11target_archE910ELNS1_3gpuE8ELNS1_3repE0EEENS1_44radix_sort_block_sort_config_static_selectorELNS0_4arch9wavefront6targetE0EEEvSF_,"axG",@progbits,_ZN7rocprim17ROCPRIM_400000_NS6detail17trampoline_kernelINS0_13kernel_configILj256ELj4ELj4294967295EEENS1_37radix_sort_block_sort_config_selectorImNS0_10empty_typeEEEZNS1_21radix_sort_block_sortIS4_Lb1EPKmPmPS6_SC_NS0_19identity_decomposerEEE10hipError_tT1_T2_T3_T4_jRjT5_jjP12ihipStream_tbEUlT_E_NS1_11comp_targetILNS1_3genE4ELNS1_11target_archE910ELNS1_3gpuE8ELNS1_3repE0EEENS1_44radix_sort_block_sort_config_static_selectorELNS0_4arch9wavefront6targetE0EEEvSF_,comdat
	.protected	_ZN7rocprim17ROCPRIM_400000_NS6detail17trampoline_kernelINS0_13kernel_configILj256ELj4ELj4294967295EEENS1_37radix_sort_block_sort_config_selectorImNS0_10empty_typeEEEZNS1_21radix_sort_block_sortIS4_Lb1EPKmPmPS6_SC_NS0_19identity_decomposerEEE10hipError_tT1_T2_T3_T4_jRjT5_jjP12ihipStream_tbEUlT_E_NS1_11comp_targetILNS1_3genE4ELNS1_11target_archE910ELNS1_3gpuE8ELNS1_3repE0EEENS1_44radix_sort_block_sort_config_static_selectorELNS0_4arch9wavefront6targetE0EEEvSF_ ; -- Begin function _ZN7rocprim17ROCPRIM_400000_NS6detail17trampoline_kernelINS0_13kernel_configILj256ELj4ELj4294967295EEENS1_37radix_sort_block_sort_config_selectorImNS0_10empty_typeEEEZNS1_21radix_sort_block_sortIS4_Lb1EPKmPmPS6_SC_NS0_19identity_decomposerEEE10hipError_tT1_T2_T3_T4_jRjT5_jjP12ihipStream_tbEUlT_E_NS1_11comp_targetILNS1_3genE4ELNS1_11target_archE910ELNS1_3gpuE8ELNS1_3repE0EEENS1_44radix_sort_block_sort_config_static_selectorELNS0_4arch9wavefront6targetE0EEEvSF_
	.globl	_ZN7rocprim17ROCPRIM_400000_NS6detail17trampoline_kernelINS0_13kernel_configILj256ELj4ELj4294967295EEENS1_37radix_sort_block_sort_config_selectorImNS0_10empty_typeEEEZNS1_21radix_sort_block_sortIS4_Lb1EPKmPmPS6_SC_NS0_19identity_decomposerEEE10hipError_tT1_T2_T3_T4_jRjT5_jjP12ihipStream_tbEUlT_E_NS1_11comp_targetILNS1_3genE4ELNS1_11target_archE910ELNS1_3gpuE8ELNS1_3repE0EEENS1_44radix_sort_block_sort_config_static_selectorELNS0_4arch9wavefront6targetE0EEEvSF_
	.p2align	8
	.type	_ZN7rocprim17ROCPRIM_400000_NS6detail17trampoline_kernelINS0_13kernel_configILj256ELj4ELj4294967295EEENS1_37radix_sort_block_sort_config_selectorImNS0_10empty_typeEEEZNS1_21radix_sort_block_sortIS4_Lb1EPKmPmPS6_SC_NS0_19identity_decomposerEEE10hipError_tT1_T2_T3_T4_jRjT5_jjP12ihipStream_tbEUlT_E_NS1_11comp_targetILNS1_3genE4ELNS1_11target_archE910ELNS1_3gpuE8ELNS1_3repE0EEENS1_44radix_sort_block_sort_config_static_selectorELNS0_4arch9wavefront6targetE0EEEvSF_,@function
_ZN7rocprim17ROCPRIM_400000_NS6detail17trampoline_kernelINS0_13kernel_configILj256ELj4ELj4294967295EEENS1_37radix_sort_block_sort_config_selectorImNS0_10empty_typeEEEZNS1_21radix_sort_block_sortIS4_Lb1EPKmPmPS6_SC_NS0_19identity_decomposerEEE10hipError_tT1_T2_T3_T4_jRjT5_jjP12ihipStream_tbEUlT_E_NS1_11comp_targetILNS1_3genE4ELNS1_11target_archE910ELNS1_3gpuE8ELNS1_3repE0EEENS1_44radix_sort_block_sort_config_static_selectorELNS0_4arch9wavefront6targetE0EEEvSF_: ; @_ZN7rocprim17ROCPRIM_400000_NS6detail17trampoline_kernelINS0_13kernel_configILj256ELj4ELj4294967295EEENS1_37radix_sort_block_sort_config_selectorImNS0_10empty_typeEEEZNS1_21radix_sort_block_sortIS4_Lb1EPKmPmPS6_SC_NS0_19identity_decomposerEEE10hipError_tT1_T2_T3_T4_jRjT5_jjP12ihipStream_tbEUlT_E_NS1_11comp_targetILNS1_3genE4ELNS1_11target_archE910ELNS1_3gpuE8ELNS1_3repE0EEENS1_44radix_sort_block_sort_config_static_selectorELNS0_4arch9wavefront6targetE0EEEvSF_
; %bb.0:
	.section	.rodata,"a",@progbits
	.p2align	6, 0x0
	.amdhsa_kernel _ZN7rocprim17ROCPRIM_400000_NS6detail17trampoline_kernelINS0_13kernel_configILj256ELj4ELj4294967295EEENS1_37radix_sort_block_sort_config_selectorImNS0_10empty_typeEEEZNS1_21radix_sort_block_sortIS4_Lb1EPKmPmPS6_SC_NS0_19identity_decomposerEEE10hipError_tT1_T2_T3_T4_jRjT5_jjP12ihipStream_tbEUlT_E_NS1_11comp_targetILNS1_3genE4ELNS1_11target_archE910ELNS1_3gpuE8ELNS1_3repE0EEENS1_44radix_sort_block_sort_config_static_selectorELNS0_4arch9wavefront6targetE0EEEvSF_
		.amdhsa_group_segment_fixed_size 0
		.amdhsa_private_segment_fixed_size 0
		.amdhsa_kernarg_size 48
		.amdhsa_user_sgpr_count 2
		.amdhsa_user_sgpr_dispatch_ptr 0
		.amdhsa_user_sgpr_queue_ptr 0
		.amdhsa_user_sgpr_kernarg_segment_ptr 1
		.amdhsa_user_sgpr_dispatch_id 0
		.amdhsa_user_sgpr_kernarg_preload_length 0
		.amdhsa_user_sgpr_kernarg_preload_offset 0
		.amdhsa_user_sgpr_private_segment_size 0
		.amdhsa_wavefront_size32 1
		.amdhsa_uses_dynamic_stack 0
		.amdhsa_enable_private_segment 0
		.amdhsa_system_sgpr_workgroup_id_x 1
		.amdhsa_system_sgpr_workgroup_id_y 0
		.amdhsa_system_sgpr_workgroup_id_z 0
		.amdhsa_system_sgpr_workgroup_info 0
		.amdhsa_system_vgpr_workitem_id 0
		.amdhsa_next_free_vgpr 1
		.amdhsa_next_free_sgpr 1
		.amdhsa_named_barrier_count 0
		.amdhsa_reserve_vcc 0
		.amdhsa_float_round_mode_32 0
		.amdhsa_float_round_mode_16_64 0
		.amdhsa_float_denorm_mode_32 3
		.amdhsa_float_denorm_mode_16_64 3
		.amdhsa_fp16_overflow 0
		.amdhsa_memory_ordered 1
		.amdhsa_forward_progress 1
		.amdhsa_inst_pref_size 0
		.amdhsa_round_robin_scheduling 0
		.amdhsa_exception_fp_ieee_invalid_op 0
		.amdhsa_exception_fp_denorm_src 0
		.amdhsa_exception_fp_ieee_div_zero 0
		.amdhsa_exception_fp_ieee_overflow 0
		.amdhsa_exception_fp_ieee_underflow 0
		.amdhsa_exception_fp_ieee_inexact 0
		.amdhsa_exception_int_div_zero 0
	.end_amdhsa_kernel
	.section	.text._ZN7rocprim17ROCPRIM_400000_NS6detail17trampoline_kernelINS0_13kernel_configILj256ELj4ELj4294967295EEENS1_37radix_sort_block_sort_config_selectorImNS0_10empty_typeEEEZNS1_21radix_sort_block_sortIS4_Lb1EPKmPmPS6_SC_NS0_19identity_decomposerEEE10hipError_tT1_T2_T3_T4_jRjT5_jjP12ihipStream_tbEUlT_E_NS1_11comp_targetILNS1_3genE4ELNS1_11target_archE910ELNS1_3gpuE8ELNS1_3repE0EEENS1_44radix_sort_block_sort_config_static_selectorELNS0_4arch9wavefront6targetE0EEEvSF_,"axG",@progbits,_ZN7rocprim17ROCPRIM_400000_NS6detail17trampoline_kernelINS0_13kernel_configILj256ELj4ELj4294967295EEENS1_37radix_sort_block_sort_config_selectorImNS0_10empty_typeEEEZNS1_21radix_sort_block_sortIS4_Lb1EPKmPmPS6_SC_NS0_19identity_decomposerEEE10hipError_tT1_T2_T3_T4_jRjT5_jjP12ihipStream_tbEUlT_E_NS1_11comp_targetILNS1_3genE4ELNS1_11target_archE910ELNS1_3gpuE8ELNS1_3repE0EEENS1_44radix_sort_block_sort_config_static_selectorELNS0_4arch9wavefront6targetE0EEEvSF_,comdat
.Lfunc_end2782:
	.size	_ZN7rocprim17ROCPRIM_400000_NS6detail17trampoline_kernelINS0_13kernel_configILj256ELj4ELj4294967295EEENS1_37radix_sort_block_sort_config_selectorImNS0_10empty_typeEEEZNS1_21radix_sort_block_sortIS4_Lb1EPKmPmPS6_SC_NS0_19identity_decomposerEEE10hipError_tT1_T2_T3_T4_jRjT5_jjP12ihipStream_tbEUlT_E_NS1_11comp_targetILNS1_3genE4ELNS1_11target_archE910ELNS1_3gpuE8ELNS1_3repE0EEENS1_44radix_sort_block_sort_config_static_selectorELNS0_4arch9wavefront6targetE0EEEvSF_, .Lfunc_end2782-_ZN7rocprim17ROCPRIM_400000_NS6detail17trampoline_kernelINS0_13kernel_configILj256ELj4ELj4294967295EEENS1_37radix_sort_block_sort_config_selectorImNS0_10empty_typeEEEZNS1_21radix_sort_block_sortIS4_Lb1EPKmPmPS6_SC_NS0_19identity_decomposerEEE10hipError_tT1_T2_T3_T4_jRjT5_jjP12ihipStream_tbEUlT_E_NS1_11comp_targetILNS1_3genE4ELNS1_11target_archE910ELNS1_3gpuE8ELNS1_3repE0EEENS1_44radix_sort_block_sort_config_static_selectorELNS0_4arch9wavefront6targetE0EEEvSF_
                                        ; -- End function
	.set _ZN7rocprim17ROCPRIM_400000_NS6detail17trampoline_kernelINS0_13kernel_configILj256ELj4ELj4294967295EEENS1_37radix_sort_block_sort_config_selectorImNS0_10empty_typeEEEZNS1_21radix_sort_block_sortIS4_Lb1EPKmPmPS6_SC_NS0_19identity_decomposerEEE10hipError_tT1_T2_T3_T4_jRjT5_jjP12ihipStream_tbEUlT_E_NS1_11comp_targetILNS1_3genE4ELNS1_11target_archE910ELNS1_3gpuE8ELNS1_3repE0EEENS1_44radix_sort_block_sort_config_static_selectorELNS0_4arch9wavefront6targetE0EEEvSF_.num_vgpr, 0
	.set _ZN7rocprim17ROCPRIM_400000_NS6detail17trampoline_kernelINS0_13kernel_configILj256ELj4ELj4294967295EEENS1_37radix_sort_block_sort_config_selectorImNS0_10empty_typeEEEZNS1_21radix_sort_block_sortIS4_Lb1EPKmPmPS6_SC_NS0_19identity_decomposerEEE10hipError_tT1_T2_T3_T4_jRjT5_jjP12ihipStream_tbEUlT_E_NS1_11comp_targetILNS1_3genE4ELNS1_11target_archE910ELNS1_3gpuE8ELNS1_3repE0EEENS1_44radix_sort_block_sort_config_static_selectorELNS0_4arch9wavefront6targetE0EEEvSF_.num_agpr, 0
	.set _ZN7rocprim17ROCPRIM_400000_NS6detail17trampoline_kernelINS0_13kernel_configILj256ELj4ELj4294967295EEENS1_37radix_sort_block_sort_config_selectorImNS0_10empty_typeEEEZNS1_21radix_sort_block_sortIS4_Lb1EPKmPmPS6_SC_NS0_19identity_decomposerEEE10hipError_tT1_T2_T3_T4_jRjT5_jjP12ihipStream_tbEUlT_E_NS1_11comp_targetILNS1_3genE4ELNS1_11target_archE910ELNS1_3gpuE8ELNS1_3repE0EEENS1_44radix_sort_block_sort_config_static_selectorELNS0_4arch9wavefront6targetE0EEEvSF_.numbered_sgpr, 0
	.set _ZN7rocprim17ROCPRIM_400000_NS6detail17trampoline_kernelINS0_13kernel_configILj256ELj4ELj4294967295EEENS1_37radix_sort_block_sort_config_selectorImNS0_10empty_typeEEEZNS1_21radix_sort_block_sortIS4_Lb1EPKmPmPS6_SC_NS0_19identity_decomposerEEE10hipError_tT1_T2_T3_T4_jRjT5_jjP12ihipStream_tbEUlT_E_NS1_11comp_targetILNS1_3genE4ELNS1_11target_archE910ELNS1_3gpuE8ELNS1_3repE0EEENS1_44radix_sort_block_sort_config_static_selectorELNS0_4arch9wavefront6targetE0EEEvSF_.num_named_barrier, 0
	.set _ZN7rocprim17ROCPRIM_400000_NS6detail17trampoline_kernelINS0_13kernel_configILj256ELj4ELj4294967295EEENS1_37radix_sort_block_sort_config_selectorImNS0_10empty_typeEEEZNS1_21radix_sort_block_sortIS4_Lb1EPKmPmPS6_SC_NS0_19identity_decomposerEEE10hipError_tT1_T2_T3_T4_jRjT5_jjP12ihipStream_tbEUlT_E_NS1_11comp_targetILNS1_3genE4ELNS1_11target_archE910ELNS1_3gpuE8ELNS1_3repE0EEENS1_44radix_sort_block_sort_config_static_selectorELNS0_4arch9wavefront6targetE0EEEvSF_.private_seg_size, 0
	.set _ZN7rocprim17ROCPRIM_400000_NS6detail17trampoline_kernelINS0_13kernel_configILj256ELj4ELj4294967295EEENS1_37radix_sort_block_sort_config_selectorImNS0_10empty_typeEEEZNS1_21radix_sort_block_sortIS4_Lb1EPKmPmPS6_SC_NS0_19identity_decomposerEEE10hipError_tT1_T2_T3_T4_jRjT5_jjP12ihipStream_tbEUlT_E_NS1_11comp_targetILNS1_3genE4ELNS1_11target_archE910ELNS1_3gpuE8ELNS1_3repE0EEENS1_44radix_sort_block_sort_config_static_selectorELNS0_4arch9wavefront6targetE0EEEvSF_.uses_vcc, 0
	.set _ZN7rocprim17ROCPRIM_400000_NS6detail17trampoline_kernelINS0_13kernel_configILj256ELj4ELj4294967295EEENS1_37radix_sort_block_sort_config_selectorImNS0_10empty_typeEEEZNS1_21radix_sort_block_sortIS4_Lb1EPKmPmPS6_SC_NS0_19identity_decomposerEEE10hipError_tT1_T2_T3_T4_jRjT5_jjP12ihipStream_tbEUlT_E_NS1_11comp_targetILNS1_3genE4ELNS1_11target_archE910ELNS1_3gpuE8ELNS1_3repE0EEENS1_44radix_sort_block_sort_config_static_selectorELNS0_4arch9wavefront6targetE0EEEvSF_.uses_flat_scratch, 0
	.set _ZN7rocprim17ROCPRIM_400000_NS6detail17trampoline_kernelINS0_13kernel_configILj256ELj4ELj4294967295EEENS1_37radix_sort_block_sort_config_selectorImNS0_10empty_typeEEEZNS1_21radix_sort_block_sortIS4_Lb1EPKmPmPS6_SC_NS0_19identity_decomposerEEE10hipError_tT1_T2_T3_T4_jRjT5_jjP12ihipStream_tbEUlT_E_NS1_11comp_targetILNS1_3genE4ELNS1_11target_archE910ELNS1_3gpuE8ELNS1_3repE0EEENS1_44radix_sort_block_sort_config_static_selectorELNS0_4arch9wavefront6targetE0EEEvSF_.has_dyn_sized_stack, 0
	.set _ZN7rocprim17ROCPRIM_400000_NS6detail17trampoline_kernelINS0_13kernel_configILj256ELj4ELj4294967295EEENS1_37radix_sort_block_sort_config_selectorImNS0_10empty_typeEEEZNS1_21radix_sort_block_sortIS4_Lb1EPKmPmPS6_SC_NS0_19identity_decomposerEEE10hipError_tT1_T2_T3_T4_jRjT5_jjP12ihipStream_tbEUlT_E_NS1_11comp_targetILNS1_3genE4ELNS1_11target_archE910ELNS1_3gpuE8ELNS1_3repE0EEENS1_44radix_sort_block_sort_config_static_selectorELNS0_4arch9wavefront6targetE0EEEvSF_.has_recursion, 0
	.set _ZN7rocprim17ROCPRIM_400000_NS6detail17trampoline_kernelINS0_13kernel_configILj256ELj4ELj4294967295EEENS1_37radix_sort_block_sort_config_selectorImNS0_10empty_typeEEEZNS1_21radix_sort_block_sortIS4_Lb1EPKmPmPS6_SC_NS0_19identity_decomposerEEE10hipError_tT1_T2_T3_T4_jRjT5_jjP12ihipStream_tbEUlT_E_NS1_11comp_targetILNS1_3genE4ELNS1_11target_archE910ELNS1_3gpuE8ELNS1_3repE0EEENS1_44radix_sort_block_sort_config_static_selectorELNS0_4arch9wavefront6targetE0EEEvSF_.has_indirect_call, 0
	.section	.AMDGPU.csdata,"",@progbits
; Kernel info:
; codeLenInByte = 0
; TotalNumSgprs: 0
; NumVgprs: 0
; ScratchSize: 0
; MemoryBound: 0
; FloatMode: 240
; IeeeMode: 1
; LDSByteSize: 0 bytes/workgroup (compile time only)
; SGPRBlocks: 0
; VGPRBlocks: 0
; NumSGPRsForWavesPerEU: 1
; NumVGPRsForWavesPerEU: 1
; NamedBarCnt: 0
; Occupancy: 16
; WaveLimiterHint : 0
; COMPUTE_PGM_RSRC2:SCRATCH_EN: 0
; COMPUTE_PGM_RSRC2:USER_SGPR: 2
; COMPUTE_PGM_RSRC2:TRAP_HANDLER: 0
; COMPUTE_PGM_RSRC2:TGID_X_EN: 1
; COMPUTE_PGM_RSRC2:TGID_Y_EN: 0
; COMPUTE_PGM_RSRC2:TGID_Z_EN: 0
; COMPUTE_PGM_RSRC2:TIDIG_COMP_CNT: 0
	.section	.text._ZN7rocprim17ROCPRIM_400000_NS6detail17trampoline_kernelINS0_13kernel_configILj256ELj4ELj4294967295EEENS1_37radix_sort_block_sort_config_selectorImNS0_10empty_typeEEEZNS1_21radix_sort_block_sortIS4_Lb1EPKmPmPS6_SC_NS0_19identity_decomposerEEE10hipError_tT1_T2_T3_T4_jRjT5_jjP12ihipStream_tbEUlT_E_NS1_11comp_targetILNS1_3genE3ELNS1_11target_archE908ELNS1_3gpuE7ELNS1_3repE0EEENS1_44radix_sort_block_sort_config_static_selectorELNS0_4arch9wavefront6targetE0EEEvSF_,"axG",@progbits,_ZN7rocprim17ROCPRIM_400000_NS6detail17trampoline_kernelINS0_13kernel_configILj256ELj4ELj4294967295EEENS1_37radix_sort_block_sort_config_selectorImNS0_10empty_typeEEEZNS1_21radix_sort_block_sortIS4_Lb1EPKmPmPS6_SC_NS0_19identity_decomposerEEE10hipError_tT1_T2_T3_T4_jRjT5_jjP12ihipStream_tbEUlT_E_NS1_11comp_targetILNS1_3genE3ELNS1_11target_archE908ELNS1_3gpuE7ELNS1_3repE0EEENS1_44radix_sort_block_sort_config_static_selectorELNS0_4arch9wavefront6targetE0EEEvSF_,comdat
	.protected	_ZN7rocprim17ROCPRIM_400000_NS6detail17trampoline_kernelINS0_13kernel_configILj256ELj4ELj4294967295EEENS1_37radix_sort_block_sort_config_selectorImNS0_10empty_typeEEEZNS1_21radix_sort_block_sortIS4_Lb1EPKmPmPS6_SC_NS0_19identity_decomposerEEE10hipError_tT1_T2_T3_T4_jRjT5_jjP12ihipStream_tbEUlT_E_NS1_11comp_targetILNS1_3genE3ELNS1_11target_archE908ELNS1_3gpuE7ELNS1_3repE0EEENS1_44radix_sort_block_sort_config_static_selectorELNS0_4arch9wavefront6targetE0EEEvSF_ ; -- Begin function _ZN7rocprim17ROCPRIM_400000_NS6detail17trampoline_kernelINS0_13kernel_configILj256ELj4ELj4294967295EEENS1_37radix_sort_block_sort_config_selectorImNS0_10empty_typeEEEZNS1_21radix_sort_block_sortIS4_Lb1EPKmPmPS6_SC_NS0_19identity_decomposerEEE10hipError_tT1_T2_T3_T4_jRjT5_jjP12ihipStream_tbEUlT_E_NS1_11comp_targetILNS1_3genE3ELNS1_11target_archE908ELNS1_3gpuE7ELNS1_3repE0EEENS1_44radix_sort_block_sort_config_static_selectorELNS0_4arch9wavefront6targetE0EEEvSF_
	.globl	_ZN7rocprim17ROCPRIM_400000_NS6detail17trampoline_kernelINS0_13kernel_configILj256ELj4ELj4294967295EEENS1_37radix_sort_block_sort_config_selectorImNS0_10empty_typeEEEZNS1_21radix_sort_block_sortIS4_Lb1EPKmPmPS6_SC_NS0_19identity_decomposerEEE10hipError_tT1_T2_T3_T4_jRjT5_jjP12ihipStream_tbEUlT_E_NS1_11comp_targetILNS1_3genE3ELNS1_11target_archE908ELNS1_3gpuE7ELNS1_3repE0EEENS1_44radix_sort_block_sort_config_static_selectorELNS0_4arch9wavefront6targetE0EEEvSF_
	.p2align	8
	.type	_ZN7rocprim17ROCPRIM_400000_NS6detail17trampoline_kernelINS0_13kernel_configILj256ELj4ELj4294967295EEENS1_37radix_sort_block_sort_config_selectorImNS0_10empty_typeEEEZNS1_21radix_sort_block_sortIS4_Lb1EPKmPmPS6_SC_NS0_19identity_decomposerEEE10hipError_tT1_T2_T3_T4_jRjT5_jjP12ihipStream_tbEUlT_E_NS1_11comp_targetILNS1_3genE3ELNS1_11target_archE908ELNS1_3gpuE7ELNS1_3repE0EEENS1_44radix_sort_block_sort_config_static_selectorELNS0_4arch9wavefront6targetE0EEEvSF_,@function
_ZN7rocprim17ROCPRIM_400000_NS6detail17trampoline_kernelINS0_13kernel_configILj256ELj4ELj4294967295EEENS1_37radix_sort_block_sort_config_selectorImNS0_10empty_typeEEEZNS1_21radix_sort_block_sortIS4_Lb1EPKmPmPS6_SC_NS0_19identity_decomposerEEE10hipError_tT1_T2_T3_T4_jRjT5_jjP12ihipStream_tbEUlT_E_NS1_11comp_targetILNS1_3genE3ELNS1_11target_archE908ELNS1_3gpuE7ELNS1_3repE0EEENS1_44radix_sort_block_sort_config_static_selectorELNS0_4arch9wavefront6targetE0EEEvSF_: ; @_ZN7rocprim17ROCPRIM_400000_NS6detail17trampoline_kernelINS0_13kernel_configILj256ELj4ELj4294967295EEENS1_37radix_sort_block_sort_config_selectorImNS0_10empty_typeEEEZNS1_21radix_sort_block_sortIS4_Lb1EPKmPmPS6_SC_NS0_19identity_decomposerEEE10hipError_tT1_T2_T3_T4_jRjT5_jjP12ihipStream_tbEUlT_E_NS1_11comp_targetILNS1_3genE3ELNS1_11target_archE908ELNS1_3gpuE7ELNS1_3repE0EEENS1_44radix_sort_block_sort_config_static_selectorELNS0_4arch9wavefront6targetE0EEEvSF_
; %bb.0:
	.section	.rodata,"a",@progbits
	.p2align	6, 0x0
	.amdhsa_kernel _ZN7rocprim17ROCPRIM_400000_NS6detail17trampoline_kernelINS0_13kernel_configILj256ELj4ELj4294967295EEENS1_37radix_sort_block_sort_config_selectorImNS0_10empty_typeEEEZNS1_21radix_sort_block_sortIS4_Lb1EPKmPmPS6_SC_NS0_19identity_decomposerEEE10hipError_tT1_T2_T3_T4_jRjT5_jjP12ihipStream_tbEUlT_E_NS1_11comp_targetILNS1_3genE3ELNS1_11target_archE908ELNS1_3gpuE7ELNS1_3repE0EEENS1_44radix_sort_block_sort_config_static_selectorELNS0_4arch9wavefront6targetE0EEEvSF_
		.amdhsa_group_segment_fixed_size 0
		.amdhsa_private_segment_fixed_size 0
		.amdhsa_kernarg_size 48
		.amdhsa_user_sgpr_count 2
		.amdhsa_user_sgpr_dispatch_ptr 0
		.amdhsa_user_sgpr_queue_ptr 0
		.amdhsa_user_sgpr_kernarg_segment_ptr 1
		.amdhsa_user_sgpr_dispatch_id 0
		.amdhsa_user_sgpr_kernarg_preload_length 0
		.amdhsa_user_sgpr_kernarg_preload_offset 0
		.amdhsa_user_sgpr_private_segment_size 0
		.amdhsa_wavefront_size32 1
		.amdhsa_uses_dynamic_stack 0
		.amdhsa_enable_private_segment 0
		.amdhsa_system_sgpr_workgroup_id_x 1
		.amdhsa_system_sgpr_workgroup_id_y 0
		.amdhsa_system_sgpr_workgroup_id_z 0
		.amdhsa_system_sgpr_workgroup_info 0
		.amdhsa_system_vgpr_workitem_id 0
		.amdhsa_next_free_vgpr 1
		.amdhsa_next_free_sgpr 1
		.amdhsa_named_barrier_count 0
		.amdhsa_reserve_vcc 0
		.amdhsa_float_round_mode_32 0
		.amdhsa_float_round_mode_16_64 0
		.amdhsa_float_denorm_mode_32 3
		.amdhsa_float_denorm_mode_16_64 3
		.amdhsa_fp16_overflow 0
		.amdhsa_memory_ordered 1
		.amdhsa_forward_progress 1
		.amdhsa_inst_pref_size 0
		.amdhsa_round_robin_scheduling 0
		.amdhsa_exception_fp_ieee_invalid_op 0
		.amdhsa_exception_fp_denorm_src 0
		.amdhsa_exception_fp_ieee_div_zero 0
		.amdhsa_exception_fp_ieee_overflow 0
		.amdhsa_exception_fp_ieee_underflow 0
		.amdhsa_exception_fp_ieee_inexact 0
		.amdhsa_exception_int_div_zero 0
	.end_amdhsa_kernel
	.section	.text._ZN7rocprim17ROCPRIM_400000_NS6detail17trampoline_kernelINS0_13kernel_configILj256ELj4ELj4294967295EEENS1_37radix_sort_block_sort_config_selectorImNS0_10empty_typeEEEZNS1_21radix_sort_block_sortIS4_Lb1EPKmPmPS6_SC_NS0_19identity_decomposerEEE10hipError_tT1_T2_T3_T4_jRjT5_jjP12ihipStream_tbEUlT_E_NS1_11comp_targetILNS1_3genE3ELNS1_11target_archE908ELNS1_3gpuE7ELNS1_3repE0EEENS1_44radix_sort_block_sort_config_static_selectorELNS0_4arch9wavefront6targetE0EEEvSF_,"axG",@progbits,_ZN7rocprim17ROCPRIM_400000_NS6detail17trampoline_kernelINS0_13kernel_configILj256ELj4ELj4294967295EEENS1_37radix_sort_block_sort_config_selectorImNS0_10empty_typeEEEZNS1_21radix_sort_block_sortIS4_Lb1EPKmPmPS6_SC_NS0_19identity_decomposerEEE10hipError_tT1_T2_T3_T4_jRjT5_jjP12ihipStream_tbEUlT_E_NS1_11comp_targetILNS1_3genE3ELNS1_11target_archE908ELNS1_3gpuE7ELNS1_3repE0EEENS1_44radix_sort_block_sort_config_static_selectorELNS0_4arch9wavefront6targetE0EEEvSF_,comdat
.Lfunc_end2783:
	.size	_ZN7rocprim17ROCPRIM_400000_NS6detail17trampoline_kernelINS0_13kernel_configILj256ELj4ELj4294967295EEENS1_37radix_sort_block_sort_config_selectorImNS0_10empty_typeEEEZNS1_21radix_sort_block_sortIS4_Lb1EPKmPmPS6_SC_NS0_19identity_decomposerEEE10hipError_tT1_T2_T3_T4_jRjT5_jjP12ihipStream_tbEUlT_E_NS1_11comp_targetILNS1_3genE3ELNS1_11target_archE908ELNS1_3gpuE7ELNS1_3repE0EEENS1_44radix_sort_block_sort_config_static_selectorELNS0_4arch9wavefront6targetE0EEEvSF_, .Lfunc_end2783-_ZN7rocprim17ROCPRIM_400000_NS6detail17trampoline_kernelINS0_13kernel_configILj256ELj4ELj4294967295EEENS1_37radix_sort_block_sort_config_selectorImNS0_10empty_typeEEEZNS1_21radix_sort_block_sortIS4_Lb1EPKmPmPS6_SC_NS0_19identity_decomposerEEE10hipError_tT1_T2_T3_T4_jRjT5_jjP12ihipStream_tbEUlT_E_NS1_11comp_targetILNS1_3genE3ELNS1_11target_archE908ELNS1_3gpuE7ELNS1_3repE0EEENS1_44radix_sort_block_sort_config_static_selectorELNS0_4arch9wavefront6targetE0EEEvSF_
                                        ; -- End function
	.set _ZN7rocprim17ROCPRIM_400000_NS6detail17trampoline_kernelINS0_13kernel_configILj256ELj4ELj4294967295EEENS1_37radix_sort_block_sort_config_selectorImNS0_10empty_typeEEEZNS1_21radix_sort_block_sortIS4_Lb1EPKmPmPS6_SC_NS0_19identity_decomposerEEE10hipError_tT1_T2_T3_T4_jRjT5_jjP12ihipStream_tbEUlT_E_NS1_11comp_targetILNS1_3genE3ELNS1_11target_archE908ELNS1_3gpuE7ELNS1_3repE0EEENS1_44radix_sort_block_sort_config_static_selectorELNS0_4arch9wavefront6targetE0EEEvSF_.num_vgpr, 0
	.set _ZN7rocprim17ROCPRIM_400000_NS6detail17trampoline_kernelINS0_13kernel_configILj256ELj4ELj4294967295EEENS1_37radix_sort_block_sort_config_selectorImNS0_10empty_typeEEEZNS1_21radix_sort_block_sortIS4_Lb1EPKmPmPS6_SC_NS0_19identity_decomposerEEE10hipError_tT1_T2_T3_T4_jRjT5_jjP12ihipStream_tbEUlT_E_NS1_11comp_targetILNS1_3genE3ELNS1_11target_archE908ELNS1_3gpuE7ELNS1_3repE0EEENS1_44radix_sort_block_sort_config_static_selectorELNS0_4arch9wavefront6targetE0EEEvSF_.num_agpr, 0
	.set _ZN7rocprim17ROCPRIM_400000_NS6detail17trampoline_kernelINS0_13kernel_configILj256ELj4ELj4294967295EEENS1_37radix_sort_block_sort_config_selectorImNS0_10empty_typeEEEZNS1_21radix_sort_block_sortIS4_Lb1EPKmPmPS6_SC_NS0_19identity_decomposerEEE10hipError_tT1_T2_T3_T4_jRjT5_jjP12ihipStream_tbEUlT_E_NS1_11comp_targetILNS1_3genE3ELNS1_11target_archE908ELNS1_3gpuE7ELNS1_3repE0EEENS1_44radix_sort_block_sort_config_static_selectorELNS0_4arch9wavefront6targetE0EEEvSF_.numbered_sgpr, 0
	.set _ZN7rocprim17ROCPRIM_400000_NS6detail17trampoline_kernelINS0_13kernel_configILj256ELj4ELj4294967295EEENS1_37radix_sort_block_sort_config_selectorImNS0_10empty_typeEEEZNS1_21radix_sort_block_sortIS4_Lb1EPKmPmPS6_SC_NS0_19identity_decomposerEEE10hipError_tT1_T2_T3_T4_jRjT5_jjP12ihipStream_tbEUlT_E_NS1_11comp_targetILNS1_3genE3ELNS1_11target_archE908ELNS1_3gpuE7ELNS1_3repE0EEENS1_44radix_sort_block_sort_config_static_selectorELNS0_4arch9wavefront6targetE0EEEvSF_.num_named_barrier, 0
	.set _ZN7rocprim17ROCPRIM_400000_NS6detail17trampoline_kernelINS0_13kernel_configILj256ELj4ELj4294967295EEENS1_37radix_sort_block_sort_config_selectorImNS0_10empty_typeEEEZNS1_21radix_sort_block_sortIS4_Lb1EPKmPmPS6_SC_NS0_19identity_decomposerEEE10hipError_tT1_T2_T3_T4_jRjT5_jjP12ihipStream_tbEUlT_E_NS1_11comp_targetILNS1_3genE3ELNS1_11target_archE908ELNS1_3gpuE7ELNS1_3repE0EEENS1_44radix_sort_block_sort_config_static_selectorELNS0_4arch9wavefront6targetE0EEEvSF_.private_seg_size, 0
	.set _ZN7rocprim17ROCPRIM_400000_NS6detail17trampoline_kernelINS0_13kernel_configILj256ELj4ELj4294967295EEENS1_37radix_sort_block_sort_config_selectorImNS0_10empty_typeEEEZNS1_21radix_sort_block_sortIS4_Lb1EPKmPmPS6_SC_NS0_19identity_decomposerEEE10hipError_tT1_T2_T3_T4_jRjT5_jjP12ihipStream_tbEUlT_E_NS1_11comp_targetILNS1_3genE3ELNS1_11target_archE908ELNS1_3gpuE7ELNS1_3repE0EEENS1_44radix_sort_block_sort_config_static_selectorELNS0_4arch9wavefront6targetE0EEEvSF_.uses_vcc, 0
	.set _ZN7rocprim17ROCPRIM_400000_NS6detail17trampoline_kernelINS0_13kernel_configILj256ELj4ELj4294967295EEENS1_37radix_sort_block_sort_config_selectorImNS0_10empty_typeEEEZNS1_21radix_sort_block_sortIS4_Lb1EPKmPmPS6_SC_NS0_19identity_decomposerEEE10hipError_tT1_T2_T3_T4_jRjT5_jjP12ihipStream_tbEUlT_E_NS1_11comp_targetILNS1_3genE3ELNS1_11target_archE908ELNS1_3gpuE7ELNS1_3repE0EEENS1_44radix_sort_block_sort_config_static_selectorELNS0_4arch9wavefront6targetE0EEEvSF_.uses_flat_scratch, 0
	.set _ZN7rocprim17ROCPRIM_400000_NS6detail17trampoline_kernelINS0_13kernel_configILj256ELj4ELj4294967295EEENS1_37radix_sort_block_sort_config_selectorImNS0_10empty_typeEEEZNS1_21radix_sort_block_sortIS4_Lb1EPKmPmPS6_SC_NS0_19identity_decomposerEEE10hipError_tT1_T2_T3_T4_jRjT5_jjP12ihipStream_tbEUlT_E_NS1_11comp_targetILNS1_3genE3ELNS1_11target_archE908ELNS1_3gpuE7ELNS1_3repE0EEENS1_44radix_sort_block_sort_config_static_selectorELNS0_4arch9wavefront6targetE0EEEvSF_.has_dyn_sized_stack, 0
	.set _ZN7rocprim17ROCPRIM_400000_NS6detail17trampoline_kernelINS0_13kernel_configILj256ELj4ELj4294967295EEENS1_37radix_sort_block_sort_config_selectorImNS0_10empty_typeEEEZNS1_21radix_sort_block_sortIS4_Lb1EPKmPmPS6_SC_NS0_19identity_decomposerEEE10hipError_tT1_T2_T3_T4_jRjT5_jjP12ihipStream_tbEUlT_E_NS1_11comp_targetILNS1_3genE3ELNS1_11target_archE908ELNS1_3gpuE7ELNS1_3repE0EEENS1_44radix_sort_block_sort_config_static_selectorELNS0_4arch9wavefront6targetE0EEEvSF_.has_recursion, 0
	.set _ZN7rocprim17ROCPRIM_400000_NS6detail17trampoline_kernelINS0_13kernel_configILj256ELj4ELj4294967295EEENS1_37radix_sort_block_sort_config_selectorImNS0_10empty_typeEEEZNS1_21radix_sort_block_sortIS4_Lb1EPKmPmPS6_SC_NS0_19identity_decomposerEEE10hipError_tT1_T2_T3_T4_jRjT5_jjP12ihipStream_tbEUlT_E_NS1_11comp_targetILNS1_3genE3ELNS1_11target_archE908ELNS1_3gpuE7ELNS1_3repE0EEENS1_44radix_sort_block_sort_config_static_selectorELNS0_4arch9wavefront6targetE0EEEvSF_.has_indirect_call, 0
	.section	.AMDGPU.csdata,"",@progbits
; Kernel info:
; codeLenInByte = 0
; TotalNumSgprs: 0
; NumVgprs: 0
; ScratchSize: 0
; MemoryBound: 0
; FloatMode: 240
; IeeeMode: 1
; LDSByteSize: 0 bytes/workgroup (compile time only)
; SGPRBlocks: 0
; VGPRBlocks: 0
; NumSGPRsForWavesPerEU: 1
; NumVGPRsForWavesPerEU: 1
; NamedBarCnt: 0
; Occupancy: 16
; WaveLimiterHint : 0
; COMPUTE_PGM_RSRC2:SCRATCH_EN: 0
; COMPUTE_PGM_RSRC2:USER_SGPR: 2
; COMPUTE_PGM_RSRC2:TRAP_HANDLER: 0
; COMPUTE_PGM_RSRC2:TGID_X_EN: 1
; COMPUTE_PGM_RSRC2:TGID_Y_EN: 0
; COMPUTE_PGM_RSRC2:TGID_Z_EN: 0
; COMPUTE_PGM_RSRC2:TIDIG_COMP_CNT: 0
	.section	.text._ZN7rocprim17ROCPRIM_400000_NS6detail17trampoline_kernelINS0_13kernel_configILj256ELj4ELj4294967295EEENS1_37radix_sort_block_sort_config_selectorImNS0_10empty_typeEEEZNS1_21radix_sort_block_sortIS4_Lb1EPKmPmPS6_SC_NS0_19identity_decomposerEEE10hipError_tT1_T2_T3_T4_jRjT5_jjP12ihipStream_tbEUlT_E_NS1_11comp_targetILNS1_3genE2ELNS1_11target_archE906ELNS1_3gpuE6ELNS1_3repE0EEENS1_44radix_sort_block_sort_config_static_selectorELNS0_4arch9wavefront6targetE0EEEvSF_,"axG",@progbits,_ZN7rocprim17ROCPRIM_400000_NS6detail17trampoline_kernelINS0_13kernel_configILj256ELj4ELj4294967295EEENS1_37radix_sort_block_sort_config_selectorImNS0_10empty_typeEEEZNS1_21radix_sort_block_sortIS4_Lb1EPKmPmPS6_SC_NS0_19identity_decomposerEEE10hipError_tT1_T2_T3_T4_jRjT5_jjP12ihipStream_tbEUlT_E_NS1_11comp_targetILNS1_3genE2ELNS1_11target_archE906ELNS1_3gpuE6ELNS1_3repE0EEENS1_44radix_sort_block_sort_config_static_selectorELNS0_4arch9wavefront6targetE0EEEvSF_,comdat
	.protected	_ZN7rocprim17ROCPRIM_400000_NS6detail17trampoline_kernelINS0_13kernel_configILj256ELj4ELj4294967295EEENS1_37radix_sort_block_sort_config_selectorImNS0_10empty_typeEEEZNS1_21radix_sort_block_sortIS4_Lb1EPKmPmPS6_SC_NS0_19identity_decomposerEEE10hipError_tT1_T2_T3_T4_jRjT5_jjP12ihipStream_tbEUlT_E_NS1_11comp_targetILNS1_3genE2ELNS1_11target_archE906ELNS1_3gpuE6ELNS1_3repE0EEENS1_44radix_sort_block_sort_config_static_selectorELNS0_4arch9wavefront6targetE0EEEvSF_ ; -- Begin function _ZN7rocprim17ROCPRIM_400000_NS6detail17trampoline_kernelINS0_13kernel_configILj256ELj4ELj4294967295EEENS1_37radix_sort_block_sort_config_selectorImNS0_10empty_typeEEEZNS1_21radix_sort_block_sortIS4_Lb1EPKmPmPS6_SC_NS0_19identity_decomposerEEE10hipError_tT1_T2_T3_T4_jRjT5_jjP12ihipStream_tbEUlT_E_NS1_11comp_targetILNS1_3genE2ELNS1_11target_archE906ELNS1_3gpuE6ELNS1_3repE0EEENS1_44radix_sort_block_sort_config_static_selectorELNS0_4arch9wavefront6targetE0EEEvSF_
	.globl	_ZN7rocprim17ROCPRIM_400000_NS6detail17trampoline_kernelINS0_13kernel_configILj256ELj4ELj4294967295EEENS1_37radix_sort_block_sort_config_selectorImNS0_10empty_typeEEEZNS1_21radix_sort_block_sortIS4_Lb1EPKmPmPS6_SC_NS0_19identity_decomposerEEE10hipError_tT1_T2_T3_T4_jRjT5_jjP12ihipStream_tbEUlT_E_NS1_11comp_targetILNS1_3genE2ELNS1_11target_archE906ELNS1_3gpuE6ELNS1_3repE0EEENS1_44radix_sort_block_sort_config_static_selectorELNS0_4arch9wavefront6targetE0EEEvSF_
	.p2align	8
	.type	_ZN7rocprim17ROCPRIM_400000_NS6detail17trampoline_kernelINS0_13kernel_configILj256ELj4ELj4294967295EEENS1_37radix_sort_block_sort_config_selectorImNS0_10empty_typeEEEZNS1_21radix_sort_block_sortIS4_Lb1EPKmPmPS6_SC_NS0_19identity_decomposerEEE10hipError_tT1_T2_T3_T4_jRjT5_jjP12ihipStream_tbEUlT_E_NS1_11comp_targetILNS1_3genE2ELNS1_11target_archE906ELNS1_3gpuE6ELNS1_3repE0EEENS1_44radix_sort_block_sort_config_static_selectorELNS0_4arch9wavefront6targetE0EEEvSF_,@function
_ZN7rocprim17ROCPRIM_400000_NS6detail17trampoline_kernelINS0_13kernel_configILj256ELj4ELj4294967295EEENS1_37radix_sort_block_sort_config_selectorImNS0_10empty_typeEEEZNS1_21radix_sort_block_sortIS4_Lb1EPKmPmPS6_SC_NS0_19identity_decomposerEEE10hipError_tT1_T2_T3_T4_jRjT5_jjP12ihipStream_tbEUlT_E_NS1_11comp_targetILNS1_3genE2ELNS1_11target_archE906ELNS1_3gpuE6ELNS1_3repE0EEENS1_44radix_sort_block_sort_config_static_selectorELNS0_4arch9wavefront6targetE0EEEvSF_: ; @_ZN7rocprim17ROCPRIM_400000_NS6detail17trampoline_kernelINS0_13kernel_configILj256ELj4ELj4294967295EEENS1_37radix_sort_block_sort_config_selectorImNS0_10empty_typeEEEZNS1_21radix_sort_block_sortIS4_Lb1EPKmPmPS6_SC_NS0_19identity_decomposerEEE10hipError_tT1_T2_T3_T4_jRjT5_jjP12ihipStream_tbEUlT_E_NS1_11comp_targetILNS1_3genE2ELNS1_11target_archE906ELNS1_3gpuE6ELNS1_3repE0EEENS1_44radix_sort_block_sort_config_static_selectorELNS0_4arch9wavefront6targetE0EEEvSF_
; %bb.0:
	.section	.rodata,"a",@progbits
	.p2align	6, 0x0
	.amdhsa_kernel _ZN7rocprim17ROCPRIM_400000_NS6detail17trampoline_kernelINS0_13kernel_configILj256ELj4ELj4294967295EEENS1_37radix_sort_block_sort_config_selectorImNS0_10empty_typeEEEZNS1_21radix_sort_block_sortIS4_Lb1EPKmPmPS6_SC_NS0_19identity_decomposerEEE10hipError_tT1_T2_T3_T4_jRjT5_jjP12ihipStream_tbEUlT_E_NS1_11comp_targetILNS1_3genE2ELNS1_11target_archE906ELNS1_3gpuE6ELNS1_3repE0EEENS1_44radix_sort_block_sort_config_static_selectorELNS0_4arch9wavefront6targetE0EEEvSF_
		.amdhsa_group_segment_fixed_size 0
		.amdhsa_private_segment_fixed_size 0
		.amdhsa_kernarg_size 48
		.amdhsa_user_sgpr_count 2
		.amdhsa_user_sgpr_dispatch_ptr 0
		.amdhsa_user_sgpr_queue_ptr 0
		.amdhsa_user_sgpr_kernarg_segment_ptr 1
		.amdhsa_user_sgpr_dispatch_id 0
		.amdhsa_user_sgpr_kernarg_preload_length 0
		.amdhsa_user_sgpr_kernarg_preload_offset 0
		.amdhsa_user_sgpr_private_segment_size 0
		.amdhsa_wavefront_size32 1
		.amdhsa_uses_dynamic_stack 0
		.amdhsa_enable_private_segment 0
		.amdhsa_system_sgpr_workgroup_id_x 1
		.amdhsa_system_sgpr_workgroup_id_y 0
		.amdhsa_system_sgpr_workgroup_id_z 0
		.amdhsa_system_sgpr_workgroup_info 0
		.amdhsa_system_vgpr_workitem_id 0
		.amdhsa_next_free_vgpr 1
		.amdhsa_next_free_sgpr 1
		.amdhsa_named_barrier_count 0
		.amdhsa_reserve_vcc 0
		.amdhsa_float_round_mode_32 0
		.amdhsa_float_round_mode_16_64 0
		.amdhsa_float_denorm_mode_32 3
		.amdhsa_float_denorm_mode_16_64 3
		.amdhsa_fp16_overflow 0
		.amdhsa_memory_ordered 1
		.amdhsa_forward_progress 1
		.amdhsa_inst_pref_size 0
		.amdhsa_round_robin_scheduling 0
		.amdhsa_exception_fp_ieee_invalid_op 0
		.amdhsa_exception_fp_denorm_src 0
		.amdhsa_exception_fp_ieee_div_zero 0
		.amdhsa_exception_fp_ieee_overflow 0
		.amdhsa_exception_fp_ieee_underflow 0
		.amdhsa_exception_fp_ieee_inexact 0
		.amdhsa_exception_int_div_zero 0
	.end_amdhsa_kernel
	.section	.text._ZN7rocprim17ROCPRIM_400000_NS6detail17trampoline_kernelINS0_13kernel_configILj256ELj4ELj4294967295EEENS1_37radix_sort_block_sort_config_selectorImNS0_10empty_typeEEEZNS1_21radix_sort_block_sortIS4_Lb1EPKmPmPS6_SC_NS0_19identity_decomposerEEE10hipError_tT1_T2_T3_T4_jRjT5_jjP12ihipStream_tbEUlT_E_NS1_11comp_targetILNS1_3genE2ELNS1_11target_archE906ELNS1_3gpuE6ELNS1_3repE0EEENS1_44radix_sort_block_sort_config_static_selectorELNS0_4arch9wavefront6targetE0EEEvSF_,"axG",@progbits,_ZN7rocprim17ROCPRIM_400000_NS6detail17trampoline_kernelINS0_13kernel_configILj256ELj4ELj4294967295EEENS1_37radix_sort_block_sort_config_selectorImNS0_10empty_typeEEEZNS1_21radix_sort_block_sortIS4_Lb1EPKmPmPS6_SC_NS0_19identity_decomposerEEE10hipError_tT1_T2_T3_T4_jRjT5_jjP12ihipStream_tbEUlT_E_NS1_11comp_targetILNS1_3genE2ELNS1_11target_archE906ELNS1_3gpuE6ELNS1_3repE0EEENS1_44radix_sort_block_sort_config_static_selectorELNS0_4arch9wavefront6targetE0EEEvSF_,comdat
.Lfunc_end2784:
	.size	_ZN7rocprim17ROCPRIM_400000_NS6detail17trampoline_kernelINS0_13kernel_configILj256ELj4ELj4294967295EEENS1_37radix_sort_block_sort_config_selectorImNS0_10empty_typeEEEZNS1_21radix_sort_block_sortIS4_Lb1EPKmPmPS6_SC_NS0_19identity_decomposerEEE10hipError_tT1_T2_T3_T4_jRjT5_jjP12ihipStream_tbEUlT_E_NS1_11comp_targetILNS1_3genE2ELNS1_11target_archE906ELNS1_3gpuE6ELNS1_3repE0EEENS1_44radix_sort_block_sort_config_static_selectorELNS0_4arch9wavefront6targetE0EEEvSF_, .Lfunc_end2784-_ZN7rocprim17ROCPRIM_400000_NS6detail17trampoline_kernelINS0_13kernel_configILj256ELj4ELj4294967295EEENS1_37radix_sort_block_sort_config_selectorImNS0_10empty_typeEEEZNS1_21radix_sort_block_sortIS4_Lb1EPKmPmPS6_SC_NS0_19identity_decomposerEEE10hipError_tT1_T2_T3_T4_jRjT5_jjP12ihipStream_tbEUlT_E_NS1_11comp_targetILNS1_3genE2ELNS1_11target_archE906ELNS1_3gpuE6ELNS1_3repE0EEENS1_44radix_sort_block_sort_config_static_selectorELNS0_4arch9wavefront6targetE0EEEvSF_
                                        ; -- End function
	.set _ZN7rocprim17ROCPRIM_400000_NS6detail17trampoline_kernelINS0_13kernel_configILj256ELj4ELj4294967295EEENS1_37radix_sort_block_sort_config_selectorImNS0_10empty_typeEEEZNS1_21radix_sort_block_sortIS4_Lb1EPKmPmPS6_SC_NS0_19identity_decomposerEEE10hipError_tT1_T2_T3_T4_jRjT5_jjP12ihipStream_tbEUlT_E_NS1_11comp_targetILNS1_3genE2ELNS1_11target_archE906ELNS1_3gpuE6ELNS1_3repE0EEENS1_44radix_sort_block_sort_config_static_selectorELNS0_4arch9wavefront6targetE0EEEvSF_.num_vgpr, 0
	.set _ZN7rocprim17ROCPRIM_400000_NS6detail17trampoline_kernelINS0_13kernel_configILj256ELj4ELj4294967295EEENS1_37radix_sort_block_sort_config_selectorImNS0_10empty_typeEEEZNS1_21radix_sort_block_sortIS4_Lb1EPKmPmPS6_SC_NS0_19identity_decomposerEEE10hipError_tT1_T2_T3_T4_jRjT5_jjP12ihipStream_tbEUlT_E_NS1_11comp_targetILNS1_3genE2ELNS1_11target_archE906ELNS1_3gpuE6ELNS1_3repE0EEENS1_44radix_sort_block_sort_config_static_selectorELNS0_4arch9wavefront6targetE0EEEvSF_.num_agpr, 0
	.set _ZN7rocprim17ROCPRIM_400000_NS6detail17trampoline_kernelINS0_13kernel_configILj256ELj4ELj4294967295EEENS1_37radix_sort_block_sort_config_selectorImNS0_10empty_typeEEEZNS1_21radix_sort_block_sortIS4_Lb1EPKmPmPS6_SC_NS0_19identity_decomposerEEE10hipError_tT1_T2_T3_T4_jRjT5_jjP12ihipStream_tbEUlT_E_NS1_11comp_targetILNS1_3genE2ELNS1_11target_archE906ELNS1_3gpuE6ELNS1_3repE0EEENS1_44radix_sort_block_sort_config_static_selectorELNS0_4arch9wavefront6targetE0EEEvSF_.numbered_sgpr, 0
	.set _ZN7rocprim17ROCPRIM_400000_NS6detail17trampoline_kernelINS0_13kernel_configILj256ELj4ELj4294967295EEENS1_37radix_sort_block_sort_config_selectorImNS0_10empty_typeEEEZNS1_21radix_sort_block_sortIS4_Lb1EPKmPmPS6_SC_NS0_19identity_decomposerEEE10hipError_tT1_T2_T3_T4_jRjT5_jjP12ihipStream_tbEUlT_E_NS1_11comp_targetILNS1_3genE2ELNS1_11target_archE906ELNS1_3gpuE6ELNS1_3repE0EEENS1_44radix_sort_block_sort_config_static_selectorELNS0_4arch9wavefront6targetE0EEEvSF_.num_named_barrier, 0
	.set _ZN7rocprim17ROCPRIM_400000_NS6detail17trampoline_kernelINS0_13kernel_configILj256ELj4ELj4294967295EEENS1_37radix_sort_block_sort_config_selectorImNS0_10empty_typeEEEZNS1_21radix_sort_block_sortIS4_Lb1EPKmPmPS6_SC_NS0_19identity_decomposerEEE10hipError_tT1_T2_T3_T4_jRjT5_jjP12ihipStream_tbEUlT_E_NS1_11comp_targetILNS1_3genE2ELNS1_11target_archE906ELNS1_3gpuE6ELNS1_3repE0EEENS1_44radix_sort_block_sort_config_static_selectorELNS0_4arch9wavefront6targetE0EEEvSF_.private_seg_size, 0
	.set _ZN7rocprim17ROCPRIM_400000_NS6detail17trampoline_kernelINS0_13kernel_configILj256ELj4ELj4294967295EEENS1_37radix_sort_block_sort_config_selectorImNS0_10empty_typeEEEZNS1_21radix_sort_block_sortIS4_Lb1EPKmPmPS6_SC_NS0_19identity_decomposerEEE10hipError_tT1_T2_T3_T4_jRjT5_jjP12ihipStream_tbEUlT_E_NS1_11comp_targetILNS1_3genE2ELNS1_11target_archE906ELNS1_3gpuE6ELNS1_3repE0EEENS1_44radix_sort_block_sort_config_static_selectorELNS0_4arch9wavefront6targetE0EEEvSF_.uses_vcc, 0
	.set _ZN7rocprim17ROCPRIM_400000_NS6detail17trampoline_kernelINS0_13kernel_configILj256ELj4ELj4294967295EEENS1_37radix_sort_block_sort_config_selectorImNS0_10empty_typeEEEZNS1_21radix_sort_block_sortIS4_Lb1EPKmPmPS6_SC_NS0_19identity_decomposerEEE10hipError_tT1_T2_T3_T4_jRjT5_jjP12ihipStream_tbEUlT_E_NS1_11comp_targetILNS1_3genE2ELNS1_11target_archE906ELNS1_3gpuE6ELNS1_3repE0EEENS1_44radix_sort_block_sort_config_static_selectorELNS0_4arch9wavefront6targetE0EEEvSF_.uses_flat_scratch, 0
	.set _ZN7rocprim17ROCPRIM_400000_NS6detail17trampoline_kernelINS0_13kernel_configILj256ELj4ELj4294967295EEENS1_37radix_sort_block_sort_config_selectorImNS0_10empty_typeEEEZNS1_21radix_sort_block_sortIS4_Lb1EPKmPmPS6_SC_NS0_19identity_decomposerEEE10hipError_tT1_T2_T3_T4_jRjT5_jjP12ihipStream_tbEUlT_E_NS1_11comp_targetILNS1_3genE2ELNS1_11target_archE906ELNS1_3gpuE6ELNS1_3repE0EEENS1_44radix_sort_block_sort_config_static_selectorELNS0_4arch9wavefront6targetE0EEEvSF_.has_dyn_sized_stack, 0
	.set _ZN7rocprim17ROCPRIM_400000_NS6detail17trampoline_kernelINS0_13kernel_configILj256ELj4ELj4294967295EEENS1_37radix_sort_block_sort_config_selectorImNS0_10empty_typeEEEZNS1_21radix_sort_block_sortIS4_Lb1EPKmPmPS6_SC_NS0_19identity_decomposerEEE10hipError_tT1_T2_T3_T4_jRjT5_jjP12ihipStream_tbEUlT_E_NS1_11comp_targetILNS1_3genE2ELNS1_11target_archE906ELNS1_3gpuE6ELNS1_3repE0EEENS1_44radix_sort_block_sort_config_static_selectorELNS0_4arch9wavefront6targetE0EEEvSF_.has_recursion, 0
	.set _ZN7rocprim17ROCPRIM_400000_NS6detail17trampoline_kernelINS0_13kernel_configILj256ELj4ELj4294967295EEENS1_37radix_sort_block_sort_config_selectorImNS0_10empty_typeEEEZNS1_21radix_sort_block_sortIS4_Lb1EPKmPmPS6_SC_NS0_19identity_decomposerEEE10hipError_tT1_T2_T3_T4_jRjT5_jjP12ihipStream_tbEUlT_E_NS1_11comp_targetILNS1_3genE2ELNS1_11target_archE906ELNS1_3gpuE6ELNS1_3repE0EEENS1_44radix_sort_block_sort_config_static_selectorELNS0_4arch9wavefront6targetE0EEEvSF_.has_indirect_call, 0
	.section	.AMDGPU.csdata,"",@progbits
; Kernel info:
; codeLenInByte = 0
; TotalNumSgprs: 0
; NumVgprs: 0
; ScratchSize: 0
; MemoryBound: 0
; FloatMode: 240
; IeeeMode: 1
; LDSByteSize: 0 bytes/workgroup (compile time only)
; SGPRBlocks: 0
; VGPRBlocks: 0
; NumSGPRsForWavesPerEU: 1
; NumVGPRsForWavesPerEU: 1
; NamedBarCnt: 0
; Occupancy: 16
; WaveLimiterHint : 0
; COMPUTE_PGM_RSRC2:SCRATCH_EN: 0
; COMPUTE_PGM_RSRC2:USER_SGPR: 2
; COMPUTE_PGM_RSRC2:TRAP_HANDLER: 0
; COMPUTE_PGM_RSRC2:TGID_X_EN: 1
; COMPUTE_PGM_RSRC2:TGID_Y_EN: 0
; COMPUTE_PGM_RSRC2:TGID_Z_EN: 0
; COMPUTE_PGM_RSRC2:TIDIG_COMP_CNT: 0
	.section	.text._ZN7rocprim17ROCPRIM_400000_NS6detail17trampoline_kernelINS0_13kernel_configILj256ELj4ELj4294967295EEENS1_37radix_sort_block_sort_config_selectorImNS0_10empty_typeEEEZNS1_21radix_sort_block_sortIS4_Lb1EPKmPmPS6_SC_NS0_19identity_decomposerEEE10hipError_tT1_T2_T3_T4_jRjT5_jjP12ihipStream_tbEUlT_E_NS1_11comp_targetILNS1_3genE10ELNS1_11target_archE1201ELNS1_3gpuE5ELNS1_3repE0EEENS1_44radix_sort_block_sort_config_static_selectorELNS0_4arch9wavefront6targetE0EEEvSF_,"axG",@progbits,_ZN7rocprim17ROCPRIM_400000_NS6detail17trampoline_kernelINS0_13kernel_configILj256ELj4ELj4294967295EEENS1_37radix_sort_block_sort_config_selectorImNS0_10empty_typeEEEZNS1_21radix_sort_block_sortIS4_Lb1EPKmPmPS6_SC_NS0_19identity_decomposerEEE10hipError_tT1_T2_T3_T4_jRjT5_jjP12ihipStream_tbEUlT_E_NS1_11comp_targetILNS1_3genE10ELNS1_11target_archE1201ELNS1_3gpuE5ELNS1_3repE0EEENS1_44radix_sort_block_sort_config_static_selectorELNS0_4arch9wavefront6targetE0EEEvSF_,comdat
	.protected	_ZN7rocprim17ROCPRIM_400000_NS6detail17trampoline_kernelINS0_13kernel_configILj256ELj4ELj4294967295EEENS1_37radix_sort_block_sort_config_selectorImNS0_10empty_typeEEEZNS1_21radix_sort_block_sortIS4_Lb1EPKmPmPS6_SC_NS0_19identity_decomposerEEE10hipError_tT1_T2_T3_T4_jRjT5_jjP12ihipStream_tbEUlT_E_NS1_11comp_targetILNS1_3genE10ELNS1_11target_archE1201ELNS1_3gpuE5ELNS1_3repE0EEENS1_44radix_sort_block_sort_config_static_selectorELNS0_4arch9wavefront6targetE0EEEvSF_ ; -- Begin function _ZN7rocprim17ROCPRIM_400000_NS6detail17trampoline_kernelINS0_13kernel_configILj256ELj4ELj4294967295EEENS1_37radix_sort_block_sort_config_selectorImNS0_10empty_typeEEEZNS1_21radix_sort_block_sortIS4_Lb1EPKmPmPS6_SC_NS0_19identity_decomposerEEE10hipError_tT1_T2_T3_T4_jRjT5_jjP12ihipStream_tbEUlT_E_NS1_11comp_targetILNS1_3genE10ELNS1_11target_archE1201ELNS1_3gpuE5ELNS1_3repE0EEENS1_44radix_sort_block_sort_config_static_selectorELNS0_4arch9wavefront6targetE0EEEvSF_
	.globl	_ZN7rocprim17ROCPRIM_400000_NS6detail17trampoline_kernelINS0_13kernel_configILj256ELj4ELj4294967295EEENS1_37radix_sort_block_sort_config_selectorImNS0_10empty_typeEEEZNS1_21radix_sort_block_sortIS4_Lb1EPKmPmPS6_SC_NS0_19identity_decomposerEEE10hipError_tT1_T2_T3_T4_jRjT5_jjP12ihipStream_tbEUlT_E_NS1_11comp_targetILNS1_3genE10ELNS1_11target_archE1201ELNS1_3gpuE5ELNS1_3repE0EEENS1_44radix_sort_block_sort_config_static_selectorELNS0_4arch9wavefront6targetE0EEEvSF_
	.p2align	8
	.type	_ZN7rocprim17ROCPRIM_400000_NS6detail17trampoline_kernelINS0_13kernel_configILj256ELj4ELj4294967295EEENS1_37radix_sort_block_sort_config_selectorImNS0_10empty_typeEEEZNS1_21radix_sort_block_sortIS4_Lb1EPKmPmPS6_SC_NS0_19identity_decomposerEEE10hipError_tT1_T2_T3_T4_jRjT5_jjP12ihipStream_tbEUlT_E_NS1_11comp_targetILNS1_3genE10ELNS1_11target_archE1201ELNS1_3gpuE5ELNS1_3repE0EEENS1_44radix_sort_block_sort_config_static_selectorELNS0_4arch9wavefront6targetE0EEEvSF_,@function
_ZN7rocprim17ROCPRIM_400000_NS6detail17trampoline_kernelINS0_13kernel_configILj256ELj4ELj4294967295EEENS1_37radix_sort_block_sort_config_selectorImNS0_10empty_typeEEEZNS1_21radix_sort_block_sortIS4_Lb1EPKmPmPS6_SC_NS0_19identity_decomposerEEE10hipError_tT1_T2_T3_T4_jRjT5_jjP12ihipStream_tbEUlT_E_NS1_11comp_targetILNS1_3genE10ELNS1_11target_archE1201ELNS1_3gpuE5ELNS1_3repE0EEENS1_44radix_sort_block_sort_config_static_selectorELNS0_4arch9wavefront6targetE0EEEvSF_: ; @_ZN7rocprim17ROCPRIM_400000_NS6detail17trampoline_kernelINS0_13kernel_configILj256ELj4ELj4294967295EEENS1_37radix_sort_block_sort_config_selectorImNS0_10empty_typeEEEZNS1_21radix_sort_block_sortIS4_Lb1EPKmPmPS6_SC_NS0_19identity_decomposerEEE10hipError_tT1_T2_T3_T4_jRjT5_jjP12ihipStream_tbEUlT_E_NS1_11comp_targetILNS1_3genE10ELNS1_11target_archE1201ELNS1_3gpuE5ELNS1_3repE0EEENS1_44radix_sort_block_sort_config_static_selectorELNS0_4arch9wavefront6targetE0EEEvSF_
; %bb.0:
	.section	.rodata,"a",@progbits
	.p2align	6, 0x0
	.amdhsa_kernel _ZN7rocprim17ROCPRIM_400000_NS6detail17trampoline_kernelINS0_13kernel_configILj256ELj4ELj4294967295EEENS1_37radix_sort_block_sort_config_selectorImNS0_10empty_typeEEEZNS1_21radix_sort_block_sortIS4_Lb1EPKmPmPS6_SC_NS0_19identity_decomposerEEE10hipError_tT1_T2_T3_T4_jRjT5_jjP12ihipStream_tbEUlT_E_NS1_11comp_targetILNS1_3genE10ELNS1_11target_archE1201ELNS1_3gpuE5ELNS1_3repE0EEENS1_44radix_sort_block_sort_config_static_selectorELNS0_4arch9wavefront6targetE0EEEvSF_
		.amdhsa_group_segment_fixed_size 0
		.amdhsa_private_segment_fixed_size 0
		.amdhsa_kernarg_size 48
		.amdhsa_user_sgpr_count 2
		.amdhsa_user_sgpr_dispatch_ptr 0
		.amdhsa_user_sgpr_queue_ptr 0
		.amdhsa_user_sgpr_kernarg_segment_ptr 1
		.amdhsa_user_sgpr_dispatch_id 0
		.amdhsa_user_sgpr_kernarg_preload_length 0
		.amdhsa_user_sgpr_kernarg_preload_offset 0
		.amdhsa_user_sgpr_private_segment_size 0
		.amdhsa_wavefront_size32 1
		.amdhsa_uses_dynamic_stack 0
		.amdhsa_enable_private_segment 0
		.amdhsa_system_sgpr_workgroup_id_x 1
		.amdhsa_system_sgpr_workgroup_id_y 0
		.amdhsa_system_sgpr_workgroup_id_z 0
		.amdhsa_system_sgpr_workgroup_info 0
		.amdhsa_system_vgpr_workitem_id 0
		.amdhsa_next_free_vgpr 1
		.amdhsa_next_free_sgpr 1
		.amdhsa_named_barrier_count 0
		.amdhsa_reserve_vcc 0
		.amdhsa_float_round_mode_32 0
		.amdhsa_float_round_mode_16_64 0
		.amdhsa_float_denorm_mode_32 3
		.amdhsa_float_denorm_mode_16_64 3
		.amdhsa_fp16_overflow 0
		.amdhsa_memory_ordered 1
		.amdhsa_forward_progress 1
		.amdhsa_inst_pref_size 0
		.amdhsa_round_robin_scheduling 0
		.amdhsa_exception_fp_ieee_invalid_op 0
		.amdhsa_exception_fp_denorm_src 0
		.amdhsa_exception_fp_ieee_div_zero 0
		.amdhsa_exception_fp_ieee_overflow 0
		.amdhsa_exception_fp_ieee_underflow 0
		.amdhsa_exception_fp_ieee_inexact 0
		.amdhsa_exception_int_div_zero 0
	.end_amdhsa_kernel
	.section	.text._ZN7rocprim17ROCPRIM_400000_NS6detail17trampoline_kernelINS0_13kernel_configILj256ELj4ELj4294967295EEENS1_37radix_sort_block_sort_config_selectorImNS0_10empty_typeEEEZNS1_21radix_sort_block_sortIS4_Lb1EPKmPmPS6_SC_NS0_19identity_decomposerEEE10hipError_tT1_T2_T3_T4_jRjT5_jjP12ihipStream_tbEUlT_E_NS1_11comp_targetILNS1_3genE10ELNS1_11target_archE1201ELNS1_3gpuE5ELNS1_3repE0EEENS1_44radix_sort_block_sort_config_static_selectorELNS0_4arch9wavefront6targetE0EEEvSF_,"axG",@progbits,_ZN7rocprim17ROCPRIM_400000_NS6detail17trampoline_kernelINS0_13kernel_configILj256ELj4ELj4294967295EEENS1_37radix_sort_block_sort_config_selectorImNS0_10empty_typeEEEZNS1_21radix_sort_block_sortIS4_Lb1EPKmPmPS6_SC_NS0_19identity_decomposerEEE10hipError_tT1_T2_T3_T4_jRjT5_jjP12ihipStream_tbEUlT_E_NS1_11comp_targetILNS1_3genE10ELNS1_11target_archE1201ELNS1_3gpuE5ELNS1_3repE0EEENS1_44radix_sort_block_sort_config_static_selectorELNS0_4arch9wavefront6targetE0EEEvSF_,comdat
.Lfunc_end2785:
	.size	_ZN7rocprim17ROCPRIM_400000_NS6detail17trampoline_kernelINS0_13kernel_configILj256ELj4ELj4294967295EEENS1_37radix_sort_block_sort_config_selectorImNS0_10empty_typeEEEZNS1_21radix_sort_block_sortIS4_Lb1EPKmPmPS6_SC_NS0_19identity_decomposerEEE10hipError_tT1_T2_T3_T4_jRjT5_jjP12ihipStream_tbEUlT_E_NS1_11comp_targetILNS1_3genE10ELNS1_11target_archE1201ELNS1_3gpuE5ELNS1_3repE0EEENS1_44radix_sort_block_sort_config_static_selectorELNS0_4arch9wavefront6targetE0EEEvSF_, .Lfunc_end2785-_ZN7rocprim17ROCPRIM_400000_NS6detail17trampoline_kernelINS0_13kernel_configILj256ELj4ELj4294967295EEENS1_37radix_sort_block_sort_config_selectorImNS0_10empty_typeEEEZNS1_21radix_sort_block_sortIS4_Lb1EPKmPmPS6_SC_NS0_19identity_decomposerEEE10hipError_tT1_T2_T3_T4_jRjT5_jjP12ihipStream_tbEUlT_E_NS1_11comp_targetILNS1_3genE10ELNS1_11target_archE1201ELNS1_3gpuE5ELNS1_3repE0EEENS1_44radix_sort_block_sort_config_static_selectorELNS0_4arch9wavefront6targetE0EEEvSF_
                                        ; -- End function
	.set _ZN7rocprim17ROCPRIM_400000_NS6detail17trampoline_kernelINS0_13kernel_configILj256ELj4ELj4294967295EEENS1_37radix_sort_block_sort_config_selectorImNS0_10empty_typeEEEZNS1_21radix_sort_block_sortIS4_Lb1EPKmPmPS6_SC_NS0_19identity_decomposerEEE10hipError_tT1_T2_T3_T4_jRjT5_jjP12ihipStream_tbEUlT_E_NS1_11comp_targetILNS1_3genE10ELNS1_11target_archE1201ELNS1_3gpuE5ELNS1_3repE0EEENS1_44radix_sort_block_sort_config_static_selectorELNS0_4arch9wavefront6targetE0EEEvSF_.num_vgpr, 0
	.set _ZN7rocprim17ROCPRIM_400000_NS6detail17trampoline_kernelINS0_13kernel_configILj256ELj4ELj4294967295EEENS1_37radix_sort_block_sort_config_selectorImNS0_10empty_typeEEEZNS1_21radix_sort_block_sortIS4_Lb1EPKmPmPS6_SC_NS0_19identity_decomposerEEE10hipError_tT1_T2_T3_T4_jRjT5_jjP12ihipStream_tbEUlT_E_NS1_11comp_targetILNS1_3genE10ELNS1_11target_archE1201ELNS1_3gpuE5ELNS1_3repE0EEENS1_44radix_sort_block_sort_config_static_selectorELNS0_4arch9wavefront6targetE0EEEvSF_.num_agpr, 0
	.set _ZN7rocprim17ROCPRIM_400000_NS6detail17trampoline_kernelINS0_13kernel_configILj256ELj4ELj4294967295EEENS1_37radix_sort_block_sort_config_selectorImNS0_10empty_typeEEEZNS1_21radix_sort_block_sortIS4_Lb1EPKmPmPS6_SC_NS0_19identity_decomposerEEE10hipError_tT1_T2_T3_T4_jRjT5_jjP12ihipStream_tbEUlT_E_NS1_11comp_targetILNS1_3genE10ELNS1_11target_archE1201ELNS1_3gpuE5ELNS1_3repE0EEENS1_44radix_sort_block_sort_config_static_selectorELNS0_4arch9wavefront6targetE0EEEvSF_.numbered_sgpr, 0
	.set _ZN7rocprim17ROCPRIM_400000_NS6detail17trampoline_kernelINS0_13kernel_configILj256ELj4ELj4294967295EEENS1_37radix_sort_block_sort_config_selectorImNS0_10empty_typeEEEZNS1_21radix_sort_block_sortIS4_Lb1EPKmPmPS6_SC_NS0_19identity_decomposerEEE10hipError_tT1_T2_T3_T4_jRjT5_jjP12ihipStream_tbEUlT_E_NS1_11comp_targetILNS1_3genE10ELNS1_11target_archE1201ELNS1_3gpuE5ELNS1_3repE0EEENS1_44radix_sort_block_sort_config_static_selectorELNS0_4arch9wavefront6targetE0EEEvSF_.num_named_barrier, 0
	.set _ZN7rocprim17ROCPRIM_400000_NS6detail17trampoline_kernelINS0_13kernel_configILj256ELj4ELj4294967295EEENS1_37radix_sort_block_sort_config_selectorImNS0_10empty_typeEEEZNS1_21radix_sort_block_sortIS4_Lb1EPKmPmPS6_SC_NS0_19identity_decomposerEEE10hipError_tT1_T2_T3_T4_jRjT5_jjP12ihipStream_tbEUlT_E_NS1_11comp_targetILNS1_3genE10ELNS1_11target_archE1201ELNS1_3gpuE5ELNS1_3repE0EEENS1_44radix_sort_block_sort_config_static_selectorELNS0_4arch9wavefront6targetE0EEEvSF_.private_seg_size, 0
	.set _ZN7rocprim17ROCPRIM_400000_NS6detail17trampoline_kernelINS0_13kernel_configILj256ELj4ELj4294967295EEENS1_37radix_sort_block_sort_config_selectorImNS0_10empty_typeEEEZNS1_21radix_sort_block_sortIS4_Lb1EPKmPmPS6_SC_NS0_19identity_decomposerEEE10hipError_tT1_T2_T3_T4_jRjT5_jjP12ihipStream_tbEUlT_E_NS1_11comp_targetILNS1_3genE10ELNS1_11target_archE1201ELNS1_3gpuE5ELNS1_3repE0EEENS1_44radix_sort_block_sort_config_static_selectorELNS0_4arch9wavefront6targetE0EEEvSF_.uses_vcc, 0
	.set _ZN7rocprim17ROCPRIM_400000_NS6detail17trampoline_kernelINS0_13kernel_configILj256ELj4ELj4294967295EEENS1_37radix_sort_block_sort_config_selectorImNS0_10empty_typeEEEZNS1_21radix_sort_block_sortIS4_Lb1EPKmPmPS6_SC_NS0_19identity_decomposerEEE10hipError_tT1_T2_T3_T4_jRjT5_jjP12ihipStream_tbEUlT_E_NS1_11comp_targetILNS1_3genE10ELNS1_11target_archE1201ELNS1_3gpuE5ELNS1_3repE0EEENS1_44radix_sort_block_sort_config_static_selectorELNS0_4arch9wavefront6targetE0EEEvSF_.uses_flat_scratch, 0
	.set _ZN7rocprim17ROCPRIM_400000_NS6detail17trampoline_kernelINS0_13kernel_configILj256ELj4ELj4294967295EEENS1_37radix_sort_block_sort_config_selectorImNS0_10empty_typeEEEZNS1_21radix_sort_block_sortIS4_Lb1EPKmPmPS6_SC_NS0_19identity_decomposerEEE10hipError_tT1_T2_T3_T4_jRjT5_jjP12ihipStream_tbEUlT_E_NS1_11comp_targetILNS1_3genE10ELNS1_11target_archE1201ELNS1_3gpuE5ELNS1_3repE0EEENS1_44radix_sort_block_sort_config_static_selectorELNS0_4arch9wavefront6targetE0EEEvSF_.has_dyn_sized_stack, 0
	.set _ZN7rocprim17ROCPRIM_400000_NS6detail17trampoline_kernelINS0_13kernel_configILj256ELj4ELj4294967295EEENS1_37radix_sort_block_sort_config_selectorImNS0_10empty_typeEEEZNS1_21radix_sort_block_sortIS4_Lb1EPKmPmPS6_SC_NS0_19identity_decomposerEEE10hipError_tT1_T2_T3_T4_jRjT5_jjP12ihipStream_tbEUlT_E_NS1_11comp_targetILNS1_3genE10ELNS1_11target_archE1201ELNS1_3gpuE5ELNS1_3repE0EEENS1_44radix_sort_block_sort_config_static_selectorELNS0_4arch9wavefront6targetE0EEEvSF_.has_recursion, 0
	.set _ZN7rocprim17ROCPRIM_400000_NS6detail17trampoline_kernelINS0_13kernel_configILj256ELj4ELj4294967295EEENS1_37radix_sort_block_sort_config_selectorImNS0_10empty_typeEEEZNS1_21radix_sort_block_sortIS4_Lb1EPKmPmPS6_SC_NS0_19identity_decomposerEEE10hipError_tT1_T2_T3_T4_jRjT5_jjP12ihipStream_tbEUlT_E_NS1_11comp_targetILNS1_3genE10ELNS1_11target_archE1201ELNS1_3gpuE5ELNS1_3repE0EEENS1_44radix_sort_block_sort_config_static_selectorELNS0_4arch9wavefront6targetE0EEEvSF_.has_indirect_call, 0
	.section	.AMDGPU.csdata,"",@progbits
; Kernel info:
; codeLenInByte = 0
; TotalNumSgprs: 0
; NumVgprs: 0
; ScratchSize: 0
; MemoryBound: 0
; FloatMode: 240
; IeeeMode: 1
; LDSByteSize: 0 bytes/workgroup (compile time only)
; SGPRBlocks: 0
; VGPRBlocks: 0
; NumSGPRsForWavesPerEU: 1
; NumVGPRsForWavesPerEU: 1
; NamedBarCnt: 0
; Occupancy: 16
; WaveLimiterHint : 0
; COMPUTE_PGM_RSRC2:SCRATCH_EN: 0
; COMPUTE_PGM_RSRC2:USER_SGPR: 2
; COMPUTE_PGM_RSRC2:TRAP_HANDLER: 0
; COMPUTE_PGM_RSRC2:TGID_X_EN: 1
; COMPUTE_PGM_RSRC2:TGID_Y_EN: 0
; COMPUTE_PGM_RSRC2:TGID_Z_EN: 0
; COMPUTE_PGM_RSRC2:TIDIG_COMP_CNT: 0
	.section	.text._ZN7rocprim17ROCPRIM_400000_NS6detail17trampoline_kernelINS0_13kernel_configILj256ELj4ELj4294967295EEENS1_37radix_sort_block_sort_config_selectorImNS0_10empty_typeEEEZNS1_21radix_sort_block_sortIS4_Lb1EPKmPmPS6_SC_NS0_19identity_decomposerEEE10hipError_tT1_T2_T3_T4_jRjT5_jjP12ihipStream_tbEUlT_E_NS1_11comp_targetILNS1_3genE10ELNS1_11target_archE1200ELNS1_3gpuE4ELNS1_3repE0EEENS1_44radix_sort_block_sort_config_static_selectorELNS0_4arch9wavefront6targetE0EEEvSF_,"axG",@progbits,_ZN7rocprim17ROCPRIM_400000_NS6detail17trampoline_kernelINS0_13kernel_configILj256ELj4ELj4294967295EEENS1_37radix_sort_block_sort_config_selectorImNS0_10empty_typeEEEZNS1_21radix_sort_block_sortIS4_Lb1EPKmPmPS6_SC_NS0_19identity_decomposerEEE10hipError_tT1_T2_T3_T4_jRjT5_jjP12ihipStream_tbEUlT_E_NS1_11comp_targetILNS1_3genE10ELNS1_11target_archE1200ELNS1_3gpuE4ELNS1_3repE0EEENS1_44radix_sort_block_sort_config_static_selectorELNS0_4arch9wavefront6targetE0EEEvSF_,comdat
	.protected	_ZN7rocprim17ROCPRIM_400000_NS6detail17trampoline_kernelINS0_13kernel_configILj256ELj4ELj4294967295EEENS1_37radix_sort_block_sort_config_selectorImNS0_10empty_typeEEEZNS1_21radix_sort_block_sortIS4_Lb1EPKmPmPS6_SC_NS0_19identity_decomposerEEE10hipError_tT1_T2_T3_T4_jRjT5_jjP12ihipStream_tbEUlT_E_NS1_11comp_targetILNS1_3genE10ELNS1_11target_archE1200ELNS1_3gpuE4ELNS1_3repE0EEENS1_44radix_sort_block_sort_config_static_selectorELNS0_4arch9wavefront6targetE0EEEvSF_ ; -- Begin function _ZN7rocprim17ROCPRIM_400000_NS6detail17trampoline_kernelINS0_13kernel_configILj256ELj4ELj4294967295EEENS1_37radix_sort_block_sort_config_selectorImNS0_10empty_typeEEEZNS1_21radix_sort_block_sortIS4_Lb1EPKmPmPS6_SC_NS0_19identity_decomposerEEE10hipError_tT1_T2_T3_T4_jRjT5_jjP12ihipStream_tbEUlT_E_NS1_11comp_targetILNS1_3genE10ELNS1_11target_archE1200ELNS1_3gpuE4ELNS1_3repE0EEENS1_44radix_sort_block_sort_config_static_selectorELNS0_4arch9wavefront6targetE0EEEvSF_
	.globl	_ZN7rocprim17ROCPRIM_400000_NS6detail17trampoline_kernelINS0_13kernel_configILj256ELj4ELj4294967295EEENS1_37radix_sort_block_sort_config_selectorImNS0_10empty_typeEEEZNS1_21radix_sort_block_sortIS4_Lb1EPKmPmPS6_SC_NS0_19identity_decomposerEEE10hipError_tT1_T2_T3_T4_jRjT5_jjP12ihipStream_tbEUlT_E_NS1_11comp_targetILNS1_3genE10ELNS1_11target_archE1200ELNS1_3gpuE4ELNS1_3repE0EEENS1_44radix_sort_block_sort_config_static_selectorELNS0_4arch9wavefront6targetE0EEEvSF_
	.p2align	8
	.type	_ZN7rocprim17ROCPRIM_400000_NS6detail17trampoline_kernelINS0_13kernel_configILj256ELj4ELj4294967295EEENS1_37radix_sort_block_sort_config_selectorImNS0_10empty_typeEEEZNS1_21radix_sort_block_sortIS4_Lb1EPKmPmPS6_SC_NS0_19identity_decomposerEEE10hipError_tT1_T2_T3_T4_jRjT5_jjP12ihipStream_tbEUlT_E_NS1_11comp_targetILNS1_3genE10ELNS1_11target_archE1200ELNS1_3gpuE4ELNS1_3repE0EEENS1_44radix_sort_block_sort_config_static_selectorELNS0_4arch9wavefront6targetE0EEEvSF_,@function
_ZN7rocprim17ROCPRIM_400000_NS6detail17trampoline_kernelINS0_13kernel_configILj256ELj4ELj4294967295EEENS1_37radix_sort_block_sort_config_selectorImNS0_10empty_typeEEEZNS1_21radix_sort_block_sortIS4_Lb1EPKmPmPS6_SC_NS0_19identity_decomposerEEE10hipError_tT1_T2_T3_T4_jRjT5_jjP12ihipStream_tbEUlT_E_NS1_11comp_targetILNS1_3genE10ELNS1_11target_archE1200ELNS1_3gpuE4ELNS1_3repE0EEENS1_44radix_sort_block_sort_config_static_selectorELNS0_4arch9wavefront6targetE0EEEvSF_: ; @_ZN7rocprim17ROCPRIM_400000_NS6detail17trampoline_kernelINS0_13kernel_configILj256ELj4ELj4294967295EEENS1_37radix_sort_block_sort_config_selectorImNS0_10empty_typeEEEZNS1_21radix_sort_block_sortIS4_Lb1EPKmPmPS6_SC_NS0_19identity_decomposerEEE10hipError_tT1_T2_T3_T4_jRjT5_jjP12ihipStream_tbEUlT_E_NS1_11comp_targetILNS1_3genE10ELNS1_11target_archE1200ELNS1_3gpuE4ELNS1_3repE0EEENS1_44radix_sort_block_sort_config_static_selectorELNS0_4arch9wavefront6targetE0EEEvSF_
; %bb.0:
	.section	.rodata,"a",@progbits
	.p2align	6, 0x0
	.amdhsa_kernel _ZN7rocprim17ROCPRIM_400000_NS6detail17trampoline_kernelINS0_13kernel_configILj256ELj4ELj4294967295EEENS1_37radix_sort_block_sort_config_selectorImNS0_10empty_typeEEEZNS1_21radix_sort_block_sortIS4_Lb1EPKmPmPS6_SC_NS0_19identity_decomposerEEE10hipError_tT1_T2_T3_T4_jRjT5_jjP12ihipStream_tbEUlT_E_NS1_11comp_targetILNS1_3genE10ELNS1_11target_archE1200ELNS1_3gpuE4ELNS1_3repE0EEENS1_44radix_sort_block_sort_config_static_selectorELNS0_4arch9wavefront6targetE0EEEvSF_
		.amdhsa_group_segment_fixed_size 0
		.amdhsa_private_segment_fixed_size 0
		.amdhsa_kernarg_size 48
		.amdhsa_user_sgpr_count 2
		.amdhsa_user_sgpr_dispatch_ptr 0
		.amdhsa_user_sgpr_queue_ptr 0
		.amdhsa_user_sgpr_kernarg_segment_ptr 1
		.amdhsa_user_sgpr_dispatch_id 0
		.amdhsa_user_sgpr_kernarg_preload_length 0
		.amdhsa_user_sgpr_kernarg_preload_offset 0
		.amdhsa_user_sgpr_private_segment_size 0
		.amdhsa_wavefront_size32 1
		.amdhsa_uses_dynamic_stack 0
		.amdhsa_enable_private_segment 0
		.amdhsa_system_sgpr_workgroup_id_x 1
		.amdhsa_system_sgpr_workgroup_id_y 0
		.amdhsa_system_sgpr_workgroup_id_z 0
		.amdhsa_system_sgpr_workgroup_info 0
		.amdhsa_system_vgpr_workitem_id 0
		.amdhsa_next_free_vgpr 1
		.amdhsa_next_free_sgpr 1
		.amdhsa_named_barrier_count 0
		.amdhsa_reserve_vcc 0
		.amdhsa_float_round_mode_32 0
		.amdhsa_float_round_mode_16_64 0
		.amdhsa_float_denorm_mode_32 3
		.amdhsa_float_denorm_mode_16_64 3
		.amdhsa_fp16_overflow 0
		.amdhsa_memory_ordered 1
		.amdhsa_forward_progress 1
		.amdhsa_inst_pref_size 0
		.amdhsa_round_robin_scheduling 0
		.amdhsa_exception_fp_ieee_invalid_op 0
		.amdhsa_exception_fp_denorm_src 0
		.amdhsa_exception_fp_ieee_div_zero 0
		.amdhsa_exception_fp_ieee_overflow 0
		.amdhsa_exception_fp_ieee_underflow 0
		.amdhsa_exception_fp_ieee_inexact 0
		.amdhsa_exception_int_div_zero 0
	.end_amdhsa_kernel
	.section	.text._ZN7rocprim17ROCPRIM_400000_NS6detail17trampoline_kernelINS0_13kernel_configILj256ELj4ELj4294967295EEENS1_37radix_sort_block_sort_config_selectorImNS0_10empty_typeEEEZNS1_21radix_sort_block_sortIS4_Lb1EPKmPmPS6_SC_NS0_19identity_decomposerEEE10hipError_tT1_T2_T3_T4_jRjT5_jjP12ihipStream_tbEUlT_E_NS1_11comp_targetILNS1_3genE10ELNS1_11target_archE1200ELNS1_3gpuE4ELNS1_3repE0EEENS1_44radix_sort_block_sort_config_static_selectorELNS0_4arch9wavefront6targetE0EEEvSF_,"axG",@progbits,_ZN7rocprim17ROCPRIM_400000_NS6detail17trampoline_kernelINS0_13kernel_configILj256ELj4ELj4294967295EEENS1_37radix_sort_block_sort_config_selectorImNS0_10empty_typeEEEZNS1_21radix_sort_block_sortIS4_Lb1EPKmPmPS6_SC_NS0_19identity_decomposerEEE10hipError_tT1_T2_T3_T4_jRjT5_jjP12ihipStream_tbEUlT_E_NS1_11comp_targetILNS1_3genE10ELNS1_11target_archE1200ELNS1_3gpuE4ELNS1_3repE0EEENS1_44radix_sort_block_sort_config_static_selectorELNS0_4arch9wavefront6targetE0EEEvSF_,comdat
.Lfunc_end2786:
	.size	_ZN7rocprim17ROCPRIM_400000_NS6detail17trampoline_kernelINS0_13kernel_configILj256ELj4ELj4294967295EEENS1_37radix_sort_block_sort_config_selectorImNS0_10empty_typeEEEZNS1_21radix_sort_block_sortIS4_Lb1EPKmPmPS6_SC_NS0_19identity_decomposerEEE10hipError_tT1_T2_T3_T4_jRjT5_jjP12ihipStream_tbEUlT_E_NS1_11comp_targetILNS1_3genE10ELNS1_11target_archE1200ELNS1_3gpuE4ELNS1_3repE0EEENS1_44radix_sort_block_sort_config_static_selectorELNS0_4arch9wavefront6targetE0EEEvSF_, .Lfunc_end2786-_ZN7rocprim17ROCPRIM_400000_NS6detail17trampoline_kernelINS0_13kernel_configILj256ELj4ELj4294967295EEENS1_37radix_sort_block_sort_config_selectorImNS0_10empty_typeEEEZNS1_21radix_sort_block_sortIS4_Lb1EPKmPmPS6_SC_NS0_19identity_decomposerEEE10hipError_tT1_T2_T3_T4_jRjT5_jjP12ihipStream_tbEUlT_E_NS1_11comp_targetILNS1_3genE10ELNS1_11target_archE1200ELNS1_3gpuE4ELNS1_3repE0EEENS1_44radix_sort_block_sort_config_static_selectorELNS0_4arch9wavefront6targetE0EEEvSF_
                                        ; -- End function
	.set _ZN7rocprim17ROCPRIM_400000_NS6detail17trampoline_kernelINS0_13kernel_configILj256ELj4ELj4294967295EEENS1_37radix_sort_block_sort_config_selectorImNS0_10empty_typeEEEZNS1_21radix_sort_block_sortIS4_Lb1EPKmPmPS6_SC_NS0_19identity_decomposerEEE10hipError_tT1_T2_T3_T4_jRjT5_jjP12ihipStream_tbEUlT_E_NS1_11comp_targetILNS1_3genE10ELNS1_11target_archE1200ELNS1_3gpuE4ELNS1_3repE0EEENS1_44radix_sort_block_sort_config_static_selectorELNS0_4arch9wavefront6targetE0EEEvSF_.num_vgpr, 0
	.set _ZN7rocprim17ROCPRIM_400000_NS6detail17trampoline_kernelINS0_13kernel_configILj256ELj4ELj4294967295EEENS1_37radix_sort_block_sort_config_selectorImNS0_10empty_typeEEEZNS1_21radix_sort_block_sortIS4_Lb1EPKmPmPS6_SC_NS0_19identity_decomposerEEE10hipError_tT1_T2_T3_T4_jRjT5_jjP12ihipStream_tbEUlT_E_NS1_11comp_targetILNS1_3genE10ELNS1_11target_archE1200ELNS1_3gpuE4ELNS1_3repE0EEENS1_44radix_sort_block_sort_config_static_selectorELNS0_4arch9wavefront6targetE0EEEvSF_.num_agpr, 0
	.set _ZN7rocprim17ROCPRIM_400000_NS6detail17trampoline_kernelINS0_13kernel_configILj256ELj4ELj4294967295EEENS1_37radix_sort_block_sort_config_selectorImNS0_10empty_typeEEEZNS1_21radix_sort_block_sortIS4_Lb1EPKmPmPS6_SC_NS0_19identity_decomposerEEE10hipError_tT1_T2_T3_T4_jRjT5_jjP12ihipStream_tbEUlT_E_NS1_11comp_targetILNS1_3genE10ELNS1_11target_archE1200ELNS1_3gpuE4ELNS1_3repE0EEENS1_44radix_sort_block_sort_config_static_selectorELNS0_4arch9wavefront6targetE0EEEvSF_.numbered_sgpr, 0
	.set _ZN7rocprim17ROCPRIM_400000_NS6detail17trampoline_kernelINS0_13kernel_configILj256ELj4ELj4294967295EEENS1_37radix_sort_block_sort_config_selectorImNS0_10empty_typeEEEZNS1_21radix_sort_block_sortIS4_Lb1EPKmPmPS6_SC_NS0_19identity_decomposerEEE10hipError_tT1_T2_T3_T4_jRjT5_jjP12ihipStream_tbEUlT_E_NS1_11comp_targetILNS1_3genE10ELNS1_11target_archE1200ELNS1_3gpuE4ELNS1_3repE0EEENS1_44radix_sort_block_sort_config_static_selectorELNS0_4arch9wavefront6targetE0EEEvSF_.num_named_barrier, 0
	.set _ZN7rocprim17ROCPRIM_400000_NS6detail17trampoline_kernelINS0_13kernel_configILj256ELj4ELj4294967295EEENS1_37radix_sort_block_sort_config_selectorImNS0_10empty_typeEEEZNS1_21radix_sort_block_sortIS4_Lb1EPKmPmPS6_SC_NS0_19identity_decomposerEEE10hipError_tT1_T2_T3_T4_jRjT5_jjP12ihipStream_tbEUlT_E_NS1_11comp_targetILNS1_3genE10ELNS1_11target_archE1200ELNS1_3gpuE4ELNS1_3repE0EEENS1_44radix_sort_block_sort_config_static_selectorELNS0_4arch9wavefront6targetE0EEEvSF_.private_seg_size, 0
	.set _ZN7rocprim17ROCPRIM_400000_NS6detail17trampoline_kernelINS0_13kernel_configILj256ELj4ELj4294967295EEENS1_37radix_sort_block_sort_config_selectorImNS0_10empty_typeEEEZNS1_21radix_sort_block_sortIS4_Lb1EPKmPmPS6_SC_NS0_19identity_decomposerEEE10hipError_tT1_T2_T3_T4_jRjT5_jjP12ihipStream_tbEUlT_E_NS1_11comp_targetILNS1_3genE10ELNS1_11target_archE1200ELNS1_3gpuE4ELNS1_3repE0EEENS1_44radix_sort_block_sort_config_static_selectorELNS0_4arch9wavefront6targetE0EEEvSF_.uses_vcc, 0
	.set _ZN7rocprim17ROCPRIM_400000_NS6detail17trampoline_kernelINS0_13kernel_configILj256ELj4ELj4294967295EEENS1_37radix_sort_block_sort_config_selectorImNS0_10empty_typeEEEZNS1_21radix_sort_block_sortIS4_Lb1EPKmPmPS6_SC_NS0_19identity_decomposerEEE10hipError_tT1_T2_T3_T4_jRjT5_jjP12ihipStream_tbEUlT_E_NS1_11comp_targetILNS1_3genE10ELNS1_11target_archE1200ELNS1_3gpuE4ELNS1_3repE0EEENS1_44radix_sort_block_sort_config_static_selectorELNS0_4arch9wavefront6targetE0EEEvSF_.uses_flat_scratch, 0
	.set _ZN7rocprim17ROCPRIM_400000_NS6detail17trampoline_kernelINS0_13kernel_configILj256ELj4ELj4294967295EEENS1_37radix_sort_block_sort_config_selectorImNS0_10empty_typeEEEZNS1_21radix_sort_block_sortIS4_Lb1EPKmPmPS6_SC_NS0_19identity_decomposerEEE10hipError_tT1_T2_T3_T4_jRjT5_jjP12ihipStream_tbEUlT_E_NS1_11comp_targetILNS1_3genE10ELNS1_11target_archE1200ELNS1_3gpuE4ELNS1_3repE0EEENS1_44radix_sort_block_sort_config_static_selectorELNS0_4arch9wavefront6targetE0EEEvSF_.has_dyn_sized_stack, 0
	.set _ZN7rocprim17ROCPRIM_400000_NS6detail17trampoline_kernelINS0_13kernel_configILj256ELj4ELj4294967295EEENS1_37radix_sort_block_sort_config_selectorImNS0_10empty_typeEEEZNS1_21radix_sort_block_sortIS4_Lb1EPKmPmPS6_SC_NS0_19identity_decomposerEEE10hipError_tT1_T2_T3_T4_jRjT5_jjP12ihipStream_tbEUlT_E_NS1_11comp_targetILNS1_3genE10ELNS1_11target_archE1200ELNS1_3gpuE4ELNS1_3repE0EEENS1_44radix_sort_block_sort_config_static_selectorELNS0_4arch9wavefront6targetE0EEEvSF_.has_recursion, 0
	.set _ZN7rocprim17ROCPRIM_400000_NS6detail17trampoline_kernelINS0_13kernel_configILj256ELj4ELj4294967295EEENS1_37radix_sort_block_sort_config_selectorImNS0_10empty_typeEEEZNS1_21radix_sort_block_sortIS4_Lb1EPKmPmPS6_SC_NS0_19identity_decomposerEEE10hipError_tT1_T2_T3_T4_jRjT5_jjP12ihipStream_tbEUlT_E_NS1_11comp_targetILNS1_3genE10ELNS1_11target_archE1200ELNS1_3gpuE4ELNS1_3repE0EEENS1_44radix_sort_block_sort_config_static_selectorELNS0_4arch9wavefront6targetE0EEEvSF_.has_indirect_call, 0
	.section	.AMDGPU.csdata,"",@progbits
; Kernel info:
; codeLenInByte = 0
; TotalNumSgprs: 0
; NumVgprs: 0
; ScratchSize: 0
; MemoryBound: 0
; FloatMode: 240
; IeeeMode: 1
; LDSByteSize: 0 bytes/workgroup (compile time only)
; SGPRBlocks: 0
; VGPRBlocks: 0
; NumSGPRsForWavesPerEU: 1
; NumVGPRsForWavesPerEU: 1
; NamedBarCnt: 0
; Occupancy: 16
; WaveLimiterHint : 0
; COMPUTE_PGM_RSRC2:SCRATCH_EN: 0
; COMPUTE_PGM_RSRC2:USER_SGPR: 2
; COMPUTE_PGM_RSRC2:TRAP_HANDLER: 0
; COMPUTE_PGM_RSRC2:TGID_X_EN: 1
; COMPUTE_PGM_RSRC2:TGID_Y_EN: 0
; COMPUTE_PGM_RSRC2:TGID_Z_EN: 0
; COMPUTE_PGM_RSRC2:TIDIG_COMP_CNT: 0
	.section	.text._ZN7rocprim17ROCPRIM_400000_NS6detail17trampoline_kernelINS0_13kernel_configILj256ELj4ELj4294967295EEENS1_37radix_sort_block_sort_config_selectorImNS0_10empty_typeEEEZNS1_21radix_sort_block_sortIS4_Lb1EPKmPmPS6_SC_NS0_19identity_decomposerEEE10hipError_tT1_T2_T3_T4_jRjT5_jjP12ihipStream_tbEUlT_E_NS1_11comp_targetILNS1_3genE9ELNS1_11target_archE1100ELNS1_3gpuE3ELNS1_3repE0EEENS1_44radix_sort_block_sort_config_static_selectorELNS0_4arch9wavefront6targetE0EEEvSF_,"axG",@progbits,_ZN7rocprim17ROCPRIM_400000_NS6detail17trampoline_kernelINS0_13kernel_configILj256ELj4ELj4294967295EEENS1_37radix_sort_block_sort_config_selectorImNS0_10empty_typeEEEZNS1_21radix_sort_block_sortIS4_Lb1EPKmPmPS6_SC_NS0_19identity_decomposerEEE10hipError_tT1_T2_T3_T4_jRjT5_jjP12ihipStream_tbEUlT_E_NS1_11comp_targetILNS1_3genE9ELNS1_11target_archE1100ELNS1_3gpuE3ELNS1_3repE0EEENS1_44radix_sort_block_sort_config_static_selectorELNS0_4arch9wavefront6targetE0EEEvSF_,comdat
	.protected	_ZN7rocprim17ROCPRIM_400000_NS6detail17trampoline_kernelINS0_13kernel_configILj256ELj4ELj4294967295EEENS1_37radix_sort_block_sort_config_selectorImNS0_10empty_typeEEEZNS1_21radix_sort_block_sortIS4_Lb1EPKmPmPS6_SC_NS0_19identity_decomposerEEE10hipError_tT1_T2_T3_T4_jRjT5_jjP12ihipStream_tbEUlT_E_NS1_11comp_targetILNS1_3genE9ELNS1_11target_archE1100ELNS1_3gpuE3ELNS1_3repE0EEENS1_44radix_sort_block_sort_config_static_selectorELNS0_4arch9wavefront6targetE0EEEvSF_ ; -- Begin function _ZN7rocprim17ROCPRIM_400000_NS6detail17trampoline_kernelINS0_13kernel_configILj256ELj4ELj4294967295EEENS1_37radix_sort_block_sort_config_selectorImNS0_10empty_typeEEEZNS1_21radix_sort_block_sortIS4_Lb1EPKmPmPS6_SC_NS0_19identity_decomposerEEE10hipError_tT1_T2_T3_T4_jRjT5_jjP12ihipStream_tbEUlT_E_NS1_11comp_targetILNS1_3genE9ELNS1_11target_archE1100ELNS1_3gpuE3ELNS1_3repE0EEENS1_44radix_sort_block_sort_config_static_selectorELNS0_4arch9wavefront6targetE0EEEvSF_
	.globl	_ZN7rocprim17ROCPRIM_400000_NS6detail17trampoline_kernelINS0_13kernel_configILj256ELj4ELj4294967295EEENS1_37radix_sort_block_sort_config_selectorImNS0_10empty_typeEEEZNS1_21radix_sort_block_sortIS4_Lb1EPKmPmPS6_SC_NS0_19identity_decomposerEEE10hipError_tT1_T2_T3_T4_jRjT5_jjP12ihipStream_tbEUlT_E_NS1_11comp_targetILNS1_3genE9ELNS1_11target_archE1100ELNS1_3gpuE3ELNS1_3repE0EEENS1_44radix_sort_block_sort_config_static_selectorELNS0_4arch9wavefront6targetE0EEEvSF_
	.p2align	8
	.type	_ZN7rocprim17ROCPRIM_400000_NS6detail17trampoline_kernelINS0_13kernel_configILj256ELj4ELj4294967295EEENS1_37radix_sort_block_sort_config_selectorImNS0_10empty_typeEEEZNS1_21radix_sort_block_sortIS4_Lb1EPKmPmPS6_SC_NS0_19identity_decomposerEEE10hipError_tT1_T2_T3_T4_jRjT5_jjP12ihipStream_tbEUlT_E_NS1_11comp_targetILNS1_3genE9ELNS1_11target_archE1100ELNS1_3gpuE3ELNS1_3repE0EEENS1_44radix_sort_block_sort_config_static_selectorELNS0_4arch9wavefront6targetE0EEEvSF_,@function
_ZN7rocprim17ROCPRIM_400000_NS6detail17trampoline_kernelINS0_13kernel_configILj256ELj4ELj4294967295EEENS1_37radix_sort_block_sort_config_selectorImNS0_10empty_typeEEEZNS1_21radix_sort_block_sortIS4_Lb1EPKmPmPS6_SC_NS0_19identity_decomposerEEE10hipError_tT1_T2_T3_T4_jRjT5_jjP12ihipStream_tbEUlT_E_NS1_11comp_targetILNS1_3genE9ELNS1_11target_archE1100ELNS1_3gpuE3ELNS1_3repE0EEENS1_44radix_sort_block_sort_config_static_selectorELNS0_4arch9wavefront6targetE0EEEvSF_: ; @_ZN7rocprim17ROCPRIM_400000_NS6detail17trampoline_kernelINS0_13kernel_configILj256ELj4ELj4294967295EEENS1_37radix_sort_block_sort_config_selectorImNS0_10empty_typeEEEZNS1_21radix_sort_block_sortIS4_Lb1EPKmPmPS6_SC_NS0_19identity_decomposerEEE10hipError_tT1_T2_T3_T4_jRjT5_jjP12ihipStream_tbEUlT_E_NS1_11comp_targetILNS1_3genE9ELNS1_11target_archE1100ELNS1_3gpuE3ELNS1_3repE0EEENS1_44radix_sort_block_sort_config_static_selectorELNS0_4arch9wavefront6targetE0EEEvSF_
; %bb.0:
	.section	.rodata,"a",@progbits
	.p2align	6, 0x0
	.amdhsa_kernel _ZN7rocprim17ROCPRIM_400000_NS6detail17trampoline_kernelINS0_13kernel_configILj256ELj4ELj4294967295EEENS1_37radix_sort_block_sort_config_selectorImNS0_10empty_typeEEEZNS1_21radix_sort_block_sortIS4_Lb1EPKmPmPS6_SC_NS0_19identity_decomposerEEE10hipError_tT1_T2_T3_T4_jRjT5_jjP12ihipStream_tbEUlT_E_NS1_11comp_targetILNS1_3genE9ELNS1_11target_archE1100ELNS1_3gpuE3ELNS1_3repE0EEENS1_44radix_sort_block_sort_config_static_selectorELNS0_4arch9wavefront6targetE0EEEvSF_
		.amdhsa_group_segment_fixed_size 0
		.amdhsa_private_segment_fixed_size 0
		.amdhsa_kernarg_size 48
		.amdhsa_user_sgpr_count 2
		.amdhsa_user_sgpr_dispatch_ptr 0
		.amdhsa_user_sgpr_queue_ptr 0
		.amdhsa_user_sgpr_kernarg_segment_ptr 1
		.amdhsa_user_sgpr_dispatch_id 0
		.amdhsa_user_sgpr_kernarg_preload_length 0
		.amdhsa_user_sgpr_kernarg_preload_offset 0
		.amdhsa_user_sgpr_private_segment_size 0
		.amdhsa_wavefront_size32 1
		.amdhsa_uses_dynamic_stack 0
		.amdhsa_enable_private_segment 0
		.amdhsa_system_sgpr_workgroup_id_x 1
		.amdhsa_system_sgpr_workgroup_id_y 0
		.amdhsa_system_sgpr_workgroup_id_z 0
		.amdhsa_system_sgpr_workgroup_info 0
		.amdhsa_system_vgpr_workitem_id 0
		.amdhsa_next_free_vgpr 1
		.amdhsa_next_free_sgpr 1
		.amdhsa_named_barrier_count 0
		.amdhsa_reserve_vcc 0
		.amdhsa_float_round_mode_32 0
		.amdhsa_float_round_mode_16_64 0
		.amdhsa_float_denorm_mode_32 3
		.amdhsa_float_denorm_mode_16_64 3
		.amdhsa_fp16_overflow 0
		.amdhsa_memory_ordered 1
		.amdhsa_forward_progress 1
		.amdhsa_inst_pref_size 0
		.amdhsa_round_robin_scheduling 0
		.amdhsa_exception_fp_ieee_invalid_op 0
		.amdhsa_exception_fp_denorm_src 0
		.amdhsa_exception_fp_ieee_div_zero 0
		.amdhsa_exception_fp_ieee_overflow 0
		.amdhsa_exception_fp_ieee_underflow 0
		.amdhsa_exception_fp_ieee_inexact 0
		.amdhsa_exception_int_div_zero 0
	.end_amdhsa_kernel
	.section	.text._ZN7rocprim17ROCPRIM_400000_NS6detail17trampoline_kernelINS0_13kernel_configILj256ELj4ELj4294967295EEENS1_37radix_sort_block_sort_config_selectorImNS0_10empty_typeEEEZNS1_21radix_sort_block_sortIS4_Lb1EPKmPmPS6_SC_NS0_19identity_decomposerEEE10hipError_tT1_T2_T3_T4_jRjT5_jjP12ihipStream_tbEUlT_E_NS1_11comp_targetILNS1_3genE9ELNS1_11target_archE1100ELNS1_3gpuE3ELNS1_3repE0EEENS1_44radix_sort_block_sort_config_static_selectorELNS0_4arch9wavefront6targetE0EEEvSF_,"axG",@progbits,_ZN7rocprim17ROCPRIM_400000_NS6detail17trampoline_kernelINS0_13kernel_configILj256ELj4ELj4294967295EEENS1_37radix_sort_block_sort_config_selectorImNS0_10empty_typeEEEZNS1_21radix_sort_block_sortIS4_Lb1EPKmPmPS6_SC_NS0_19identity_decomposerEEE10hipError_tT1_T2_T3_T4_jRjT5_jjP12ihipStream_tbEUlT_E_NS1_11comp_targetILNS1_3genE9ELNS1_11target_archE1100ELNS1_3gpuE3ELNS1_3repE0EEENS1_44radix_sort_block_sort_config_static_selectorELNS0_4arch9wavefront6targetE0EEEvSF_,comdat
.Lfunc_end2787:
	.size	_ZN7rocprim17ROCPRIM_400000_NS6detail17trampoline_kernelINS0_13kernel_configILj256ELj4ELj4294967295EEENS1_37radix_sort_block_sort_config_selectorImNS0_10empty_typeEEEZNS1_21radix_sort_block_sortIS4_Lb1EPKmPmPS6_SC_NS0_19identity_decomposerEEE10hipError_tT1_T2_T3_T4_jRjT5_jjP12ihipStream_tbEUlT_E_NS1_11comp_targetILNS1_3genE9ELNS1_11target_archE1100ELNS1_3gpuE3ELNS1_3repE0EEENS1_44radix_sort_block_sort_config_static_selectorELNS0_4arch9wavefront6targetE0EEEvSF_, .Lfunc_end2787-_ZN7rocprim17ROCPRIM_400000_NS6detail17trampoline_kernelINS0_13kernel_configILj256ELj4ELj4294967295EEENS1_37radix_sort_block_sort_config_selectorImNS0_10empty_typeEEEZNS1_21radix_sort_block_sortIS4_Lb1EPKmPmPS6_SC_NS0_19identity_decomposerEEE10hipError_tT1_T2_T3_T4_jRjT5_jjP12ihipStream_tbEUlT_E_NS1_11comp_targetILNS1_3genE9ELNS1_11target_archE1100ELNS1_3gpuE3ELNS1_3repE0EEENS1_44radix_sort_block_sort_config_static_selectorELNS0_4arch9wavefront6targetE0EEEvSF_
                                        ; -- End function
	.set _ZN7rocprim17ROCPRIM_400000_NS6detail17trampoline_kernelINS0_13kernel_configILj256ELj4ELj4294967295EEENS1_37radix_sort_block_sort_config_selectorImNS0_10empty_typeEEEZNS1_21radix_sort_block_sortIS4_Lb1EPKmPmPS6_SC_NS0_19identity_decomposerEEE10hipError_tT1_T2_T3_T4_jRjT5_jjP12ihipStream_tbEUlT_E_NS1_11comp_targetILNS1_3genE9ELNS1_11target_archE1100ELNS1_3gpuE3ELNS1_3repE0EEENS1_44radix_sort_block_sort_config_static_selectorELNS0_4arch9wavefront6targetE0EEEvSF_.num_vgpr, 0
	.set _ZN7rocprim17ROCPRIM_400000_NS6detail17trampoline_kernelINS0_13kernel_configILj256ELj4ELj4294967295EEENS1_37radix_sort_block_sort_config_selectorImNS0_10empty_typeEEEZNS1_21radix_sort_block_sortIS4_Lb1EPKmPmPS6_SC_NS0_19identity_decomposerEEE10hipError_tT1_T2_T3_T4_jRjT5_jjP12ihipStream_tbEUlT_E_NS1_11comp_targetILNS1_3genE9ELNS1_11target_archE1100ELNS1_3gpuE3ELNS1_3repE0EEENS1_44radix_sort_block_sort_config_static_selectorELNS0_4arch9wavefront6targetE0EEEvSF_.num_agpr, 0
	.set _ZN7rocprim17ROCPRIM_400000_NS6detail17trampoline_kernelINS0_13kernel_configILj256ELj4ELj4294967295EEENS1_37radix_sort_block_sort_config_selectorImNS0_10empty_typeEEEZNS1_21radix_sort_block_sortIS4_Lb1EPKmPmPS6_SC_NS0_19identity_decomposerEEE10hipError_tT1_T2_T3_T4_jRjT5_jjP12ihipStream_tbEUlT_E_NS1_11comp_targetILNS1_3genE9ELNS1_11target_archE1100ELNS1_3gpuE3ELNS1_3repE0EEENS1_44radix_sort_block_sort_config_static_selectorELNS0_4arch9wavefront6targetE0EEEvSF_.numbered_sgpr, 0
	.set _ZN7rocprim17ROCPRIM_400000_NS6detail17trampoline_kernelINS0_13kernel_configILj256ELj4ELj4294967295EEENS1_37radix_sort_block_sort_config_selectorImNS0_10empty_typeEEEZNS1_21radix_sort_block_sortIS4_Lb1EPKmPmPS6_SC_NS0_19identity_decomposerEEE10hipError_tT1_T2_T3_T4_jRjT5_jjP12ihipStream_tbEUlT_E_NS1_11comp_targetILNS1_3genE9ELNS1_11target_archE1100ELNS1_3gpuE3ELNS1_3repE0EEENS1_44radix_sort_block_sort_config_static_selectorELNS0_4arch9wavefront6targetE0EEEvSF_.num_named_barrier, 0
	.set _ZN7rocprim17ROCPRIM_400000_NS6detail17trampoline_kernelINS0_13kernel_configILj256ELj4ELj4294967295EEENS1_37radix_sort_block_sort_config_selectorImNS0_10empty_typeEEEZNS1_21radix_sort_block_sortIS4_Lb1EPKmPmPS6_SC_NS0_19identity_decomposerEEE10hipError_tT1_T2_T3_T4_jRjT5_jjP12ihipStream_tbEUlT_E_NS1_11comp_targetILNS1_3genE9ELNS1_11target_archE1100ELNS1_3gpuE3ELNS1_3repE0EEENS1_44radix_sort_block_sort_config_static_selectorELNS0_4arch9wavefront6targetE0EEEvSF_.private_seg_size, 0
	.set _ZN7rocprim17ROCPRIM_400000_NS6detail17trampoline_kernelINS0_13kernel_configILj256ELj4ELj4294967295EEENS1_37radix_sort_block_sort_config_selectorImNS0_10empty_typeEEEZNS1_21radix_sort_block_sortIS4_Lb1EPKmPmPS6_SC_NS0_19identity_decomposerEEE10hipError_tT1_T2_T3_T4_jRjT5_jjP12ihipStream_tbEUlT_E_NS1_11comp_targetILNS1_3genE9ELNS1_11target_archE1100ELNS1_3gpuE3ELNS1_3repE0EEENS1_44radix_sort_block_sort_config_static_selectorELNS0_4arch9wavefront6targetE0EEEvSF_.uses_vcc, 0
	.set _ZN7rocprim17ROCPRIM_400000_NS6detail17trampoline_kernelINS0_13kernel_configILj256ELj4ELj4294967295EEENS1_37radix_sort_block_sort_config_selectorImNS0_10empty_typeEEEZNS1_21radix_sort_block_sortIS4_Lb1EPKmPmPS6_SC_NS0_19identity_decomposerEEE10hipError_tT1_T2_T3_T4_jRjT5_jjP12ihipStream_tbEUlT_E_NS1_11comp_targetILNS1_3genE9ELNS1_11target_archE1100ELNS1_3gpuE3ELNS1_3repE0EEENS1_44radix_sort_block_sort_config_static_selectorELNS0_4arch9wavefront6targetE0EEEvSF_.uses_flat_scratch, 0
	.set _ZN7rocprim17ROCPRIM_400000_NS6detail17trampoline_kernelINS0_13kernel_configILj256ELj4ELj4294967295EEENS1_37radix_sort_block_sort_config_selectorImNS0_10empty_typeEEEZNS1_21radix_sort_block_sortIS4_Lb1EPKmPmPS6_SC_NS0_19identity_decomposerEEE10hipError_tT1_T2_T3_T4_jRjT5_jjP12ihipStream_tbEUlT_E_NS1_11comp_targetILNS1_3genE9ELNS1_11target_archE1100ELNS1_3gpuE3ELNS1_3repE0EEENS1_44radix_sort_block_sort_config_static_selectorELNS0_4arch9wavefront6targetE0EEEvSF_.has_dyn_sized_stack, 0
	.set _ZN7rocprim17ROCPRIM_400000_NS6detail17trampoline_kernelINS0_13kernel_configILj256ELj4ELj4294967295EEENS1_37radix_sort_block_sort_config_selectorImNS0_10empty_typeEEEZNS1_21radix_sort_block_sortIS4_Lb1EPKmPmPS6_SC_NS0_19identity_decomposerEEE10hipError_tT1_T2_T3_T4_jRjT5_jjP12ihipStream_tbEUlT_E_NS1_11comp_targetILNS1_3genE9ELNS1_11target_archE1100ELNS1_3gpuE3ELNS1_3repE0EEENS1_44radix_sort_block_sort_config_static_selectorELNS0_4arch9wavefront6targetE0EEEvSF_.has_recursion, 0
	.set _ZN7rocprim17ROCPRIM_400000_NS6detail17trampoline_kernelINS0_13kernel_configILj256ELj4ELj4294967295EEENS1_37radix_sort_block_sort_config_selectorImNS0_10empty_typeEEEZNS1_21radix_sort_block_sortIS4_Lb1EPKmPmPS6_SC_NS0_19identity_decomposerEEE10hipError_tT1_T2_T3_T4_jRjT5_jjP12ihipStream_tbEUlT_E_NS1_11comp_targetILNS1_3genE9ELNS1_11target_archE1100ELNS1_3gpuE3ELNS1_3repE0EEENS1_44radix_sort_block_sort_config_static_selectorELNS0_4arch9wavefront6targetE0EEEvSF_.has_indirect_call, 0
	.section	.AMDGPU.csdata,"",@progbits
; Kernel info:
; codeLenInByte = 0
; TotalNumSgprs: 0
; NumVgprs: 0
; ScratchSize: 0
; MemoryBound: 0
; FloatMode: 240
; IeeeMode: 1
; LDSByteSize: 0 bytes/workgroup (compile time only)
; SGPRBlocks: 0
; VGPRBlocks: 0
; NumSGPRsForWavesPerEU: 1
; NumVGPRsForWavesPerEU: 1
; NamedBarCnt: 0
; Occupancy: 16
; WaveLimiterHint : 0
; COMPUTE_PGM_RSRC2:SCRATCH_EN: 0
; COMPUTE_PGM_RSRC2:USER_SGPR: 2
; COMPUTE_PGM_RSRC2:TRAP_HANDLER: 0
; COMPUTE_PGM_RSRC2:TGID_X_EN: 1
; COMPUTE_PGM_RSRC2:TGID_Y_EN: 0
; COMPUTE_PGM_RSRC2:TGID_Z_EN: 0
; COMPUTE_PGM_RSRC2:TIDIG_COMP_CNT: 0
	.section	.text._ZN7rocprim17ROCPRIM_400000_NS6detail17trampoline_kernelINS0_13kernel_configILj256ELj4ELj4294967295EEENS1_37radix_sort_block_sort_config_selectorImNS0_10empty_typeEEEZNS1_21radix_sort_block_sortIS4_Lb1EPKmPmPS6_SC_NS0_19identity_decomposerEEE10hipError_tT1_T2_T3_T4_jRjT5_jjP12ihipStream_tbEUlT_E_NS1_11comp_targetILNS1_3genE8ELNS1_11target_archE1030ELNS1_3gpuE2ELNS1_3repE0EEENS1_44radix_sort_block_sort_config_static_selectorELNS0_4arch9wavefront6targetE0EEEvSF_,"axG",@progbits,_ZN7rocprim17ROCPRIM_400000_NS6detail17trampoline_kernelINS0_13kernel_configILj256ELj4ELj4294967295EEENS1_37radix_sort_block_sort_config_selectorImNS0_10empty_typeEEEZNS1_21radix_sort_block_sortIS4_Lb1EPKmPmPS6_SC_NS0_19identity_decomposerEEE10hipError_tT1_T2_T3_T4_jRjT5_jjP12ihipStream_tbEUlT_E_NS1_11comp_targetILNS1_3genE8ELNS1_11target_archE1030ELNS1_3gpuE2ELNS1_3repE0EEENS1_44radix_sort_block_sort_config_static_selectorELNS0_4arch9wavefront6targetE0EEEvSF_,comdat
	.protected	_ZN7rocprim17ROCPRIM_400000_NS6detail17trampoline_kernelINS0_13kernel_configILj256ELj4ELj4294967295EEENS1_37radix_sort_block_sort_config_selectorImNS0_10empty_typeEEEZNS1_21radix_sort_block_sortIS4_Lb1EPKmPmPS6_SC_NS0_19identity_decomposerEEE10hipError_tT1_T2_T3_T4_jRjT5_jjP12ihipStream_tbEUlT_E_NS1_11comp_targetILNS1_3genE8ELNS1_11target_archE1030ELNS1_3gpuE2ELNS1_3repE0EEENS1_44radix_sort_block_sort_config_static_selectorELNS0_4arch9wavefront6targetE0EEEvSF_ ; -- Begin function _ZN7rocprim17ROCPRIM_400000_NS6detail17trampoline_kernelINS0_13kernel_configILj256ELj4ELj4294967295EEENS1_37radix_sort_block_sort_config_selectorImNS0_10empty_typeEEEZNS1_21radix_sort_block_sortIS4_Lb1EPKmPmPS6_SC_NS0_19identity_decomposerEEE10hipError_tT1_T2_T3_T4_jRjT5_jjP12ihipStream_tbEUlT_E_NS1_11comp_targetILNS1_3genE8ELNS1_11target_archE1030ELNS1_3gpuE2ELNS1_3repE0EEENS1_44radix_sort_block_sort_config_static_selectorELNS0_4arch9wavefront6targetE0EEEvSF_
	.globl	_ZN7rocprim17ROCPRIM_400000_NS6detail17trampoline_kernelINS0_13kernel_configILj256ELj4ELj4294967295EEENS1_37radix_sort_block_sort_config_selectorImNS0_10empty_typeEEEZNS1_21radix_sort_block_sortIS4_Lb1EPKmPmPS6_SC_NS0_19identity_decomposerEEE10hipError_tT1_T2_T3_T4_jRjT5_jjP12ihipStream_tbEUlT_E_NS1_11comp_targetILNS1_3genE8ELNS1_11target_archE1030ELNS1_3gpuE2ELNS1_3repE0EEENS1_44radix_sort_block_sort_config_static_selectorELNS0_4arch9wavefront6targetE0EEEvSF_
	.p2align	8
	.type	_ZN7rocprim17ROCPRIM_400000_NS6detail17trampoline_kernelINS0_13kernel_configILj256ELj4ELj4294967295EEENS1_37radix_sort_block_sort_config_selectorImNS0_10empty_typeEEEZNS1_21radix_sort_block_sortIS4_Lb1EPKmPmPS6_SC_NS0_19identity_decomposerEEE10hipError_tT1_T2_T3_T4_jRjT5_jjP12ihipStream_tbEUlT_E_NS1_11comp_targetILNS1_3genE8ELNS1_11target_archE1030ELNS1_3gpuE2ELNS1_3repE0EEENS1_44radix_sort_block_sort_config_static_selectorELNS0_4arch9wavefront6targetE0EEEvSF_,@function
_ZN7rocprim17ROCPRIM_400000_NS6detail17trampoline_kernelINS0_13kernel_configILj256ELj4ELj4294967295EEENS1_37radix_sort_block_sort_config_selectorImNS0_10empty_typeEEEZNS1_21radix_sort_block_sortIS4_Lb1EPKmPmPS6_SC_NS0_19identity_decomposerEEE10hipError_tT1_T2_T3_T4_jRjT5_jjP12ihipStream_tbEUlT_E_NS1_11comp_targetILNS1_3genE8ELNS1_11target_archE1030ELNS1_3gpuE2ELNS1_3repE0EEENS1_44radix_sort_block_sort_config_static_selectorELNS0_4arch9wavefront6targetE0EEEvSF_: ; @_ZN7rocprim17ROCPRIM_400000_NS6detail17trampoline_kernelINS0_13kernel_configILj256ELj4ELj4294967295EEENS1_37radix_sort_block_sort_config_selectorImNS0_10empty_typeEEEZNS1_21radix_sort_block_sortIS4_Lb1EPKmPmPS6_SC_NS0_19identity_decomposerEEE10hipError_tT1_T2_T3_T4_jRjT5_jjP12ihipStream_tbEUlT_E_NS1_11comp_targetILNS1_3genE8ELNS1_11target_archE1030ELNS1_3gpuE2ELNS1_3repE0EEENS1_44radix_sort_block_sort_config_static_selectorELNS0_4arch9wavefront6targetE0EEEvSF_
; %bb.0:
	.section	.rodata,"a",@progbits
	.p2align	6, 0x0
	.amdhsa_kernel _ZN7rocprim17ROCPRIM_400000_NS6detail17trampoline_kernelINS0_13kernel_configILj256ELj4ELj4294967295EEENS1_37radix_sort_block_sort_config_selectorImNS0_10empty_typeEEEZNS1_21radix_sort_block_sortIS4_Lb1EPKmPmPS6_SC_NS0_19identity_decomposerEEE10hipError_tT1_T2_T3_T4_jRjT5_jjP12ihipStream_tbEUlT_E_NS1_11comp_targetILNS1_3genE8ELNS1_11target_archE1030ELNS1_3gpuE2ELNS1_3repE0EEENS1_44radix_sort_block_sort_config_static_selectorELNS0_4arch9wavefront6targetE0EEEvSF_
		.amdhsa_group_segment_fixed_size 0
		.amdhsa_private_segment_fixed_size 0
		.amdhsa_kernarg_size 48
		.amdhsa_user_sgpr_count 2
		.amdhsa_user_sgpr_dispatch_ptr 0
		.amdhsa_user_sgpr_queue_ptr 0
		.amdhsa_user_sgpr_kernarg_segment_ptr 1
		.amdhsa_user_sgpr_dispatch_id 0
		.amdhsa_user_sgpr_kernarg_preload_length 0
		.amdhsa_user_sgpr_kernarg_preload_offset 0
		.amdhsa_user_sgpr_private_segment_size 0
		.amdhsa_wavefront_size32 1
		.amdhsa_uses_dynamic_stack 0
		.amdhsa_enable_private_segment 0
		.amdhsa_system_sgpr_workgroup_id_x 1
		.amdhsa_system_sgpr_workgroup_id_y 0
		.amdhsa_system_sgpr_workgroup_id_z 0
		.amdhsa_system_sgpr_workgroup_info 0
		.amdhsa_system_vgpr_workitem_id 0
		.amdhsa_next_free_vgpr 1
		.amdhsa_next_free_sgpr 1
		.amdhsa_named_barrier_count 0
		.amdhsa_reserve_vcc 0
		.amdhsa_float_round_mode_32 0
		.amdhsa_float_round_mode_16_64 0
		.amdhsa_float_denorm_mode_32 3
		.amdhsa_float_denorm_mode_16_64 3
		.amdhsa_fp16_overflow 0
		.amdhsa_memory_ordered 1
		.amdhsa_forward_progress 1
		.amdhsa_inst_pref_size 0
		.amdhsa_round_robin_scheduling 0
		.amdhsa_exception_fp_ieee_invalid_op 0
		.amdhsa_exception_fp_denorm_src 0
		.amdhsa_exception_fp_ieee_div_zero 0
		.amdhsa_exception_fp_ieee_overflow 0
		.amdhsa_exception_fp_ieee_underflow 0
		.amdhsa_exception_fp_ieee_inexact 0
		.amdhsa_exception_int_div_zero 0
	.end_amdhsa_kernel
	.section	.text._ZN7rocprim17ROCPRIM_400000_NS6detail17trampoline_kernelINS0_13kernel_configILj256ELj4ELj4294967295EEENS1_37radix_sort_block_sort_config_selectorImNS0_10empty_typeEEEZNS1_21radix_sort_block_sortIS4_Lb1EPKmPmPS6_SC_NS0_19identity_decomposerEEE10hipError_tT1_T2_T3_T4_jRjT5_jjP12ihipStream_tbEUlT_E_NS1_11comp_targetILNS1_3genE8ELNS1_11target_archE1030ELNS1_3gpuE2ELNS1_3repE0EEENS1_44radix_sort_block_sort_config_static_selectorELNS0_4arch9wavefront6targetE0EEEvSF_,"axG",@progbits,_ZN7rocprim17ROCPRIM_400000_NS6detail17trampoline_kernelINS0_13kernel_configILj256ELj4ELj4294967295EEENS1_37radix_sort_block_sort_config_selectorImNS0_10empty_typeEEEZNS1_21radix_sort_block_sortIS4_Lb1EPKmPmPS6_SC_NS0_19identity_decomposerEEE10hipError_tT1_T2_T3_T4_jRjT5_jjP12ihipStream_tbEUlT_E_NS1_11comp_targetILNS1_3genE8ELNS1_11target_archE1030ELNS1_3gpuE2ELNS1_3repE0EEENS1_44radix_sort_block_sort_config_static_selectorELNS0_4arch9wavefront6targetE0EEEvSF_,comdat
.Lfunc_end2788:
	.size	_ZN7rocprim17ROCPRIM_400000_NS6detail17trampoline_kernelINS0_13kernel_configILj256ELj4ELj4294967295EEENS1_37radix_sort_block_sort_config_selectorImNS0_10empty_typeEEEZNS1_21radix_sort_block_sortIS4_Lb1EPKmPmPS6_SC_NS0_19identity_decomposerEEE10hipError_tT1_T2_T3_T4_jRjT5_jjP12ihipStream_tbEUlT_E_NS1_11comp_targetILNS1_3genE8ELNS1_11target_archE1030ELNS1_3gpuE2ELNS1_3repE0EEENS1_44radix_sort_block_sort_config_static_selectorELNS0_4arch9wavefront6targetE0EEEvSF_, .Lfunc_end2788-_ZN7rocprim17ROCPRIM_400000_NS6detail17trampoline_kernelINS0_13kernel_configILj256ELj4ELj4294967295EEENS1_37radix_sort_block_sort_config_selectorImNS0_10empty_typeEEEZNS1_21radix_sort_block_sortIS4_Lb1EPKmPmPS6_SC_NS0_19identity_decomposerEEE10hipError_tT1_T2_T3_T4_jRjT5_jjP12ihipStream_tbEUlT_E_NS1_11comp_targetILNS1_3genE8ELNS1_11target_archE1030ELNS1_3gpuE2ELNS1_3repE0EEENS1_44radix_sort_block_sort_config_static_selectorELNS0_4arch9wavefront6targetE0EEEvSF_
                                        ; -- End function
	.set _ZN7rocprim17ROCPRIM_400000_NS6detail17trampoline_kernelINS0_13kernel_configILj256ELj4ELj4294967295EEENS1_37radix_sort_block_sort_config_selectorImNS0_10empty_typeEEEZNS1_21radix_sort_block_sortIS4_Lb1EPKmPmPS6_SC_NS0_19identity_decomposerEEE10hipError_tT1_T2_T3_T4_jRjT5_jjP12ihipStream_tbEUlT_E_NS1_11comp_targetILNS1_3genE8ELNS1_11target_archE1030ELNS1_3gpuE2ELNS1_3repE0EEENS1_44radix_sort_block_sort_config_static_selectorELNS0_4arch9wavefront6targetE0EEEvSF_.num_vgpr, 0
	.set _ZN7rocprim17ROCPRIM_400000_NS6detail17trampoline_kernelINS0_13kernel_configILj256ELj4ELj4294967295EEENS1_37radix_sort_block_sort_config_selectorImNS0_10empty_typeEEEZNS1_21radix_sort_block_sortIS4_Lb1EPKmPmPS6_SC_NS0_19identity_decomposerEEE10hipError_tT1_T2_T3_T4_jRjT5_jjP12ihipStream_tbEUlT_E_NS1_11comp_targetILNS1_3genE8ELNS1_11target_archE1030ELNS1_3gpuE2ELNS1_3repE0EEENS1_44radix_sort_block_sort_config_static_selectorELNS0_4arch9wavefront6targetE0EEEvSF_.num_agpr, 0
	.set _ZN7rocprim17ROCPRIM_400000_NS6detail17trampoline_kernelINS0_13kernel_configILj256ELj4ELj4294967295EEENS1_37radix_sort_block_sort_config_selectorImNS0_10empty_typeEEEZNS1_21radix_sort_block_sortIS4_Lb1EPKmPmPS6_SC_NS0_19identity_decomposerEEE10hipError_tT1_T2_T3_T4_jRjT5_jjP12ihipStream_tbEUlT_E_NS1_11comp_targetILNS1_3genE8ELNS1_11target_archE1030ELNS1_3gpuE2ELNS1_3repE0EEENS1_44radix_sort_block_sort_config_static_selectorELNS0_4arch9wavefront6targetE0EEEvSF_.numbered_sgpr, 0
	.set _ZN7rocprim17ROCPRIM_400000_NS6detail17trampoline_kernelINS0_13kernel_configILj256ELj4ELj4294967295EEENS1_37radix_sort_block_sort_config_selectorImNS0_10empty_typeEEEZNS1_21radix_sort_block_sortIS4_Lb1EPKmPmPS6_SC_NS0_19identity_decomposerEEE10hipError_tT1_T2_T3_T4_jRjT5_jjP12ihipStream_tbEUlT_E_NS1_11comp_targetILNS1_3genE8ELNS1_11target_archE1030ELNS1_3gpuE2ELNS1_3repE0EEENS1_44radix_sort_block_sort_config_static_selectorELNS0_4arch9wavefront6targetE0EEEvSF_.num_named_barrier, 0
	.set _ZN7rocprim17ROCPRIM_400000_NS6detail17trampoline_kernelINS0_13kernel_configILj256ELj4ELj4294967295EEENS1_37radix_sort_block_sort_config_selectorImNS0_10empty_typeEEEZNS1_21radix_sort_block_sortIS4_Lb1EPKmPmPS6_SC_NS0_19identity_decomposerEEE10hipError_tT1_T2_T3_T4_jRjT5_jjP12ihipStream_tbEUlT_E_NS1_11comp_targetILNS1_3genE8ELNS1_11target_archE1030ELNS1_3gpuE2ELNS1_3repE0EEENS1_44radix_sort_block_sort_config_static_selectorELNS0_4arch9wavefront6targetE0EEEvSF_.private_seg_size, 0
	.set _ZN7rocprim17ROCPRIM_400000_NS6detail17trampoline_kernelINS0_13kernel_configILj256ELj4ELj4294967295EEENS1_37radix_sort_block_sort_config_selectorImNS0_10empty_typeEEEZNS1_21radix_sort_block_sortIS4_Lb1EPKmPmPS6_SC_NS0_19identity_decomposerEEE10hipError_tT1_T2_T3_T4_jRjT5_jjP12ihipStream_tbEUlT_E_NS1_11comp_targetILNS1_3genE8ELNS1_11target_archE1030ELNS1_3gpuE2ELNS1_3repE0EEENS1_44radix_sort_block_sort_config_static_selectorELNS0_4arch9wavefront6targetE0EEEvSF_.uses_vcc, 0
	.set _ZN7rocprim17ROCPRIM_400000_NS6detail17trampoline_kernelINS0_13kernel_configILj256ELj4ELj4294967295EEENS1_37radix_sort_block_sort_config_selectorImNS0_10empty_typeEEEZNS1_21radix_sort_block_sortIS4_Lb1EPKmPmPS6_SC_NS0_19identity_decomposerEEE10hipError_tT1_T2_T3_T4_jRjT5_jjP12ihipStream_tbEUlT_E_NS1_11comp_targetILNS1_3genE8ELNS1_11target_archE1030ELNS1_3gpuE2ELNS1_3repE0EEENS1_44radix_sort_block_sort_config_static_selectorELNS0_4arch9wavefront6targetE0EEEvSF_.uses_flat_scratch, 0
	.set _ZN7rocprim17ROCPRIM_400000_NS6detail17trampoline_kernelINS0_13kernel_configILj256ELj4ELj4294967295EEENS1_37radix_sort_block_sort_config_selectorImNS0_10empty_typeEEEZNS1_21radix_sort_block_sortIS4_Lb1EPKmPmPS6_SC_NS0_19identity_decomposerEEE10hipError_tT1_T2_T3_T4_jRjT5_jjP12ihipStream_tbEUlT_E_NS1_11comp_targetILNS1_3genE8ELNS1_11target_archE1030ELNS1_3gpuE2ELNS1_3repE0EEENS1_44radix_sort_block_sort_config_static_selectorELNS0_4arch9wavefront6targetE0EEEvSF_.has_dyn_sized_stack, 0
	.set _ZN7rocprim17ROCPRIM_400000_NS6detail17trampoline_kernelINS0_13kernel_configILj256ELj4ELj4294967295EEENS1_37radix_sort_block_sort_config_selectorImNS0_10empty_typeEEEZNS1_21radix_sort_block_sortIS4_Lb1EPKmPmPS6_SC_NS0_19identity_decomposerEEE10hipError_tT1_T2_T3_T4_jRjT5_jjP12ihipStream_tbEUlT_E_NS1_11comp_targetILNS1_3genE8ELNS1_11target_archE1030ELNS1_3gpuE2ELNS1_3repE0EEENS1_44radix_sort_block_sort_config_static_selectorELNS0_4arch9wavefront6targetE0EEEvSF_.has_recursion, 0
	.set _ZN7rocprim17ROCPRIM_400000_NS6detail17trampoline_kernelINS0_13kernel_configILj256ELj4ELj4294967295EEENS1_37radix_sort_block_sort_config_selectorImNS0_10empty_typeEEEZNS1_21radix_sort_block_sortIS4_Lb1EPKmPmPS6_SC_NS0_19identity_decomposerEEE10hipError_tT1_T2_T3_T4_jRjT5_jjP12ihipStream_tbEUlT_E_NS1_11comp_targetILNS1_3genE8ELNS1_11target_archE1030ELNS1_3gpuE2ELNS1_3repE0EEENS1_44radix_sort_block_sort_config_static_selectorELNS0_4arch9wavefront6targetE0EEEvSF_.has_indirect_call, 0
	.section	.AMDGPU.csdata,"",@progbits
; Kernel info:
; codeLenInByte = 0
; TotalNumSgprs: 0
; NumVgprs: 0
; ScratchSize: 0
; MemoryBound: 0
; FloatMode: 240
; IeeeMode: 1
; LDSByteSize: 0 bytes/workgroup (compile time only)
; SGPRBlocks: 0
; VGPRBlocks: 0
; NumSGPRsForWavesPerEU: 1
; NumVGPRsForWavesPerEU: 1
; NamedBarCnt: 0
; Occupancy: 16
; WaveLimiterHint : 0
; COMPUTE_PGM_RSRC2:SCRATCH_EN: 0
; COMPUTE_PGM_RSRC2:USER_SGPR: 2
; COMPUTE_PGM_RSRC2:TRAP_HANDLER: 0
; COMPUTE_PGM_RSRC2:TGID_X_EN: 1
; COMPUTE_PGM_RSRC2:TGID_Y_EN: 0
; COMPUTE_PGM_RSRC2:TGID_Z_EN: 0
; COMPUTE_PGM_RSRC2:TIDIG_COMP_CNT: 0
	.section	.text._ZN7rocprim17ROCPRIM_400000_NS6detail44device_merge_sort_compile_time_verifier_archINS1_11comp_targetILNS1_3genE0ELNS1_11target_archE4294967295ELNS1_3gpuE0ELNS1_3repE0EEES8_NS1_28merge_sort_block_sort_configILj256ELj4ELNS0_20block_sort_algorithmE0EEENS0_14default_configENS1_37merge_sort_block_sort_config_selectorImNS0_10empty_typeEEENS1_38merge_sort_block_merge_config_selectorImSE_EEEEvv,"axG",@progbits,_ZN7rocprim17ROCPRIM_400000_NS6detail44device_merge_sort_compile_time_verifier_archINS1_11comp_targetILNS1_3genE0ELNS1_11target_archE4294967295ELNS1_3gpuE0ELNS1_3repE0EEES8_NS1_28merge_sort_block_sort_configILj256ELj4ELNS0_20block_sort_algorithmE0EEENS0_14default_configENS1_37merge_sort_block_sort_config_selectorImNS0_10empty_typeEEENS1_38merge_sort_block_merge_config_selectorImSE_EEEEvv,comdat
	.protected	_ZN7rocprim17ROCPRIM_400000_NS6detail44device_merge_sort_compile_time_verifier_archINS1_11comp_targetILNS1_3genE0ELNS1_11target_archE4294967295ELNS1_3gpuE0ELNS1_3repE0EEES8_NS1_28merge_sort_block_sort_configILj256ELj4ELNS0_20block_sort_algorithmE0EEENS0_14default_configENS1_37merge_sort_block_sort_config_selectorImNS0_10empty_typeEEENS1_38merge_sort_block_merge_config_selectorImSE_EEEEvv ; -- Begin function _ZN7rocprim17ROCPRIM_400000_NS6detail44device_merge_sort_compile_time_verifier_archINS1_11comp_targetILNS1_3genE0ELNS1_11target_archE4294967295ELNS1_3gpuE0ELNS1_3repE0EEES8_NS1_28merge_sort_block_sort_configILj256ELj4ELNS0_20block_sort_algorithmE0EEENS0_14default_configENS1_37merge_sort_block_sort_config_selectorImNS0_10empty_typeEEENS1_38merge_sort_block_merge_config_selectorImSE_EEEEvv
	.globl	_ZN7rocprim17ROCPRIM_400000_NS6detail44device_merge_sort_compile_time_verifier_archINS1_11comp_targetILNS1_3genE0ELNS1_11target_archE4294967295ELNS1_3gpuE0ELNS1_3repE0EEES8_NS1_28merge_sort_block_sort_configILj256ELj4ELNS0_20block_sort_algorithmE0EEENS0_14default_configENS1_37merge_sort_block_sort_config_selectorImNS0_10empty_typeEEENS1_38merge_sort_block_merge_config_selectorImSE_EEEEvv
	.p2align	8
	.type	_ZN7rocprim17ROCPRIM_400000_NS6detail44device_merge_sort_compile_time_verifier_archINS1_11comp_targetILNS1_3genE0ELNS1_11target_archE4294967295ELNS1_3gpuE0ELNS1_3repE0EEES8_NS1_28merge_sort_block_sort_configILj256ELj4ELNS0_20block_sort_algorithmE0EEENS0_14default_configENS1_37merge_sort_block_sort_config_selectorImNS0_10empty_typeEEENS1_38merge_sort_block_merge_config_selectorImSE_EEEEvv,@function
_ZN7rocprim17ROCPRIM_400000_NS6detail44device_merge_sort_compile_time_verifier_archINS1_11comp_targetILNS1_3genE0ELNS1_11target_archE4294967295ELNS1_3gpuE0ELNS1_3repE0EEES8_NS1_28merge_sort_block_sort_configILj256ELj4ELNS0_20block_sort_algorithmE0EEENS0_14default_configENS1_37merge_sort_block_sort_config_selectorImNS0_10empty_typeEEENS1_38merge_sort_block_merge_config_selectorImSE_EEEEvv: ; @_ZN7rocprim17ROCPRIM_400000_NS6detail44device_merge_sort_compile_time_verifier_archINS1_11comp_targetILNS1_3genE0ELNS1_11target_archE4294967295ELNS1_3gpuE0ELNS1_3repE0EEES8_NS1_28merge_sort_block_sort_configILj256ELj4ELNS0_20block_sort_algorithmE0EEENS0_14default_configENS1_37merge_sort_block_sort_config_selectorImNS0_10empty_typeEEENS1_38merge_sort_block_merge_config_selectorImSE_EEEEvv
; %bb.0:
	s_endpgm
	.section	.rodata,"a",@progbits
	.p2align	6, 0x0
	.amdhsa_kernel _ZN7rocprim17ROCPRIM_400000_NS6detail44device_merge_sort_compile_time_verifier_archINS1_11comp_targetILNS1_3genE0ELNS1_11target_archE4294967295ELNS1_3gpuE0ELNS1_3repE0EEES8_NS1_28merge_sort_block_sort_configILj256ELj4ELNS0_20block_sort_algorithmE0EEENS0_14default_configENS1_37merge_sort_block_sort_config_selectorImNS0_10empty_typeEEENS1_38merge_sort_block_merge_config_selectorImSE_EEEEvv
		.amdhsa_group_segment_fixed_size 0
		.amdhsa_private_segment_fixed_size 0
		.amdhsa_kernarg_size 0
		.amdhsa_user_sgpr_count 0
		.amdhsa_user_sgpr_dispatch_ptr 0
		.amdhsa_user_sgpr_queue_ptr 0
		.amdhsa_user_sgpr_kernarg_segment_ptr 0
		.amdhsa_user_sgpr_dispatch_id 0
		.amdhsa_user_sgpr_kernarg_preload_length 0
		.amdhsa_user_sgpr_kernarg_preload_offset 0
		.amdhsa_user_sgpr_private_segment_size 0
		.amdhsa_wavefront_size32 1
		.amdhsa_uses_dynamic_stack 0
		.amdhsa_enable_private_segment 0
		.amdhsa_system_sgpr_workgroup_id_x 1
		.amdhsa_system_sgpr_workgroup_id_y 0
		.amdhsa_system_sgpr_workgroup_id_z 0
		.amdhsa_system_sgpr_workgroup_info 0
		.amdhsa_system_vgpr_workitem_id 0
		.amdhsa_next_free_vgpr 1
		.amdhsa_next_free_sgpr 1
		.amdhsa_named_barrier_count 0
		.amdhsa_reserve_vcc 0
		.amdhsa_float_round_mode_32 0
		.amdhsa_float_round_mode_16_64 0
		.amdhsa_float_denorm_mode_32 3
		.amdhsa_float_denorm_mode_16_64 3
		.amdhsa_fp16_overflow 0
		.amdhsa_memory_ordered 1
		.amdhsa_forward_progress 1
		.amdhsa_inst_pref_size 1
		.amdhsa_round_robin_scheduling 0
		.amdhsa_exception_fp_ieee_invalid_op 0
		.amdhsa_exception_fp_denorm_src 0
		.amdhsa_exception_fp_ieee_div_zero 0
		.amdhsa_exception_fp_ieee_overflow 0
		.amdhsa_exception_fp_ieee_underflow 0
		.amdhsa_exception_fp_ieee_inexact 0
		.amdhsa_exception_int_div_zero 0
	.end_amdhsa_kernel
	.section	.text._ZN7rocprim17ROCPRIM_400000_NS6detail44device_merge_sort_compile_time_verifier_archINS1_11comp_targetILNS1_3genE0ELNS1_11target_archE4294967295ELNS1_3gpuE0ELNS1_3repE0EEES8_NS1_28merge_sort_block_sort_configILj256ELj4ELNS0_20block_sort_algorithmE0EEENS0_14default_configENS1_37merge_sort_block_sort_config_selectorImNS0_10empty_typeEEENS1_38merge_sort_block_merge_config_selectorImSE_EEEEvv,"axG",@progbits,_ZN7rocprim17ROCPRIM_400000_NS6detail44device_merge_sort_compile_time_verifier_archINS1_11comp_targetILNS1_3genE0ELNS1_11target_archE4294967295ELNS1_3gpuE0ELNS1_3repE0EEES8_NS1_28merge_sort_block_sort_configILj256ELj4ELNS0_20block_sort_algorithmE0EEENS0_14default_configENS1_37merge_sort_block_sort_config_selectorImNS0_10empty_typeEEENS1_38merge_sort_block_merge_config_selectorImSE_EEEEvv,comdat
.Lfunc_end2789:
	.size	_ZN7rocprim17ROCPRIM_400000_NS6detail44device_merge_sort_compile_time_verifier_archINS1_11comp_targetILNS1_3genE0ELNS1_11target_archE4294967295ELNS1_3gpuE0ELNS1_3repE0EEES8_NS1_28merge_sort_block_sort_configILj256ELj4ELNS0_20block_sort_algorithmE0EEENS0_14default_configENS1_37merge_sort_block_sort_config_selectorImNS0_10empty_typeEEENS1_38merge_sort_block_merge_config_selectorImSE_EEEEvv, .Lfunc_end2789-_ZN7rocprim17ROCPRIM_400000_NS6detail44device_merge_sort_compile_time_verifier_archINS1_11comp_targetILNS1_3genE0ELNS1_11target_archE4294967295ELNS1_3gpuE0ELNS1_3repE0EEES8_NS1_28merge_sort_block_sort_configILj256ELj4ELNS0_20block_sort_algorithmE0EEENS0_14default_configENS1_37merge_sort_block_sort_config_selectorImNS0_10empty_typeEEENS1_38merge_sort_block_merge_config_selectorImSE_EEEEvv
                                        ; -- End function
	.set _ZN7rocprim17ROCPRIM_400000_NS6detail44device_merge_sort_compile_time_verifier_archINS1_11comp_targetILNS1_3genE0ELNS1_11target_archE4294967295ELNS1_3gpuE0ELNS1_3repE0EEES8_NS1_28merge_sort_block_sort_configILj256ELj4ELNS0_20block_sort_algorithmE0EEENS0_14default_configENS1_37merge_sort_block_sort_config_selectorImNS0_10empty_typeEEENS1_38merge_sort_block_merge_config_selectorImSE_EEEEvv.num_vgpr, 0
	.set _ZN7rocprim17ROCPRIM_400000_NS6detail44device_merge_sort_compile_time_verifier_archINS1_11comp_targetILNS1_3genE0ELNS1_11target_archE4294967295ELNS1_3gpuE0ELNS1_3repE0EEES8_NS1_28merge_sort_block_sort_configILj256ELj4ELNS0_20block_sort_algorithmE0EEENS0_14default_configENS1_37merge_sort_block_sort_config_selectorImNS0_10empty_typeEEENS1_38merge_sort_block_merge_config_selectorImSE_EEEEvv.num_agpr, 0
	.set _ZN7rocprim17ROCPRIM_400000_NS6detail44device_merge_sort_compile_time_verifier_archINS1_11comp_targetILNS1_3genE0ELNS1_11target_archE4294967295ELNS1_3gpuE0ELNS1_3repE0EEES8_NS1_28merge_sort_block_sort_configILj256ELj4ELNS0_20block_sort_algorithmE0EEENS0_14default_configENS1_37merge_sort_block_sort_config_selectorImNS0_10empty_typeEEENS1_38merge_sort_block_merge_config_selectorImSE_EEEEvv.numbered_sgpr, 0
	.set _ZN7rocprim17ROCPRIM_400000_NS6detail44device_merge_sort_compile_time_verifier_archINS1_11comp_targetILNS1_3genE0ELNS1_11target_archE4294967295ELNS1_3gpuE0ELNS1_3repE0EEES8_NS1_28merge_sort_block_sort_configILj256ELj4ELNS0_20block_sort_algorithmE0EEENS0_14default_configENS1_37merge_sort_block_sort_config_selectorImNS0_10empty_typeEEENS1_38merge_sort_block_merge_config_selectorImSE_EEEEvv.num_named_barrier, 0
	.set _ZN7rocprim17ROCPRIM_400000_NS6detail44device_merge_sort_compile_time_verifier_archINS1_11comp_targetILNS1_3genE0ELNS1_11target_archE4294967295ELNS1_3gpuE0ELNS1_3repE0EEES8_NS1_28merge_sort_block_sort_configILj256ELj4ELNS0_20block_sort_algorithmE0EEENS0_14default_configENS1_37merge_sort_block_sort_config_selectorImNS0_10empty_typeEEENS1_38merge_sort_block_merge_config_selectorImSE_EEEEvv.private_seg_size, 0
	.set _ZN7rocprim17ROCPRIM_400000_NS6detail44device_merge_sort_compile_time_verifier_archINS1_11comp_targetILNS1_3genE0ELNS1_11target_archE4294967295ELNS1_3gpuE0ELNS1_3repE0EEES8_NS1_28merge_sort_block_sort_configILj256ELj4ELNS0_20block_sort_algorithmE0EEENS0_14default_configENS1_37merge_sort_block_sort_config_selectorImNS0_10empty_typeEEENS1_38merge_sort_block_merge_config_selectorImSE_EEEEvv.uses_vcc, 0
	.set _ZN7rocprim17ROCPRIM_400000_NS6detail44device_merge_sort_compile_time_verifier_archINS1_11comp_targetILNS1_3genE0ELNS1_11target_archE4294967295ELNS1_3gpuE0ELNS1_3repE0EEES8_NS1_28merge_sort_block_sort_configILj256ELj4ELNS0_20block_sort_algorithmE0EEENS0_14default_configENS1_37merge_sort_block_sort_config_selectorImNS0_10empty_typeEEENS1_38merge_sort_block_merge_config_selectorImSE_EEEEvv.uses_flat_scratch, 0
	.set _ZN7rocprim17ROCPRIM_400000_NS6detail44device_merge_sort_compile_time_verifier_archINS1_11comp_targetILNS1_3genE0ELNS1_11target_archE4294967295ELNS1_3gpuE0ELNS1_3repE0EEES8_NS1_28merge_sort_block_sort_configILj256ELj4ELNS0_20block_sort_algorithmE0EEENS0_14default_configENS1_37merge_sort_block_sort_config_selectorImNS0_10empty_typeEEENS1_38merge_sort_block_merge_config_selectorImSE_EEEEvv.has_dyn_sized_stack, 0
	.set _ZN7rocprim17ROCPRIM_400000_NS6detail44device_merge_sort_compile_time_verifier_archINS1_11comp_targetILNS1_3genE0ELNS1_11target_archE4294967295ELNS1_3gpuE0ELNS1_3repE0EEES8_NS1_28merge_sort_block_sort_configILj256ELj4ELNS0_20block_sort_algorithmE0EEENS0_14default_configENS1_37merge_sort_block_sort_config_selectorImNS0_10empty_typeEEENS1_38merge_sort_block_merge_config_selectorImSE_EEEEvv.has_recursion, 0
	.set _ZN7rocprim17ROCPRIM_400000_NS6detail44device_merge_sort_compile_time_verifier_archINS1_11comp_targetILNS1_3genE0ELNS1_11target_archE4294967295ELNS1_3gpuE0ELNS1_3repE0EEES8_NS1_28merge_sort_block_sort_configILj256ELj4ELNS0_20block_sort_algorithmE0EEENS0_14default_configENS1_37merge_sort_block_sort_config_selectorImNS0_10empty_typeEEENS1_38merge_sort_block_merge_config_selectorImSE_EEEEvv.has_indirect_call, 0
	.section	.AMDGPU.csdata,"",@progbits
; Kernel info:
; codeLenInByte = 4
; TotalNumSgprs: 0
; NumVgprs: 0
; ScratchSize: 0
; MemoryBound: 0
; FloatMode: 240
; IeeeMode: 1
; LDSByteSize: 0 bytes/workgroup (compile time only)
; SGPRBlocks: 0
; VGPRBlocks: 0
; NumSGPRsForWavesPerEU: 1
; NumVGPRsForWavesPerEU: 1
; NamedBarCnt: 0
; Occupancy: 16
; WaveLimiterHint : 0
; COMPUTE_PGM_RSRC2:SCRATCH_EN: 0
; COMPUTE_PGM_RSRC2:USER_SGPR: 0
; COMPUTE_PGM_RSRC2:TRAP_HANDLER: 0
; COMPUTE_PGM_RSRC2:TGID_X_EN: 1
; COMPUTE_PGM_RSRC2:TGID_Y_EN: 0
; COMPUTE_PGM_RSRC2:TGID_Z_EN: 0
; COMPUTE_PGM_RSRC2:TIDIG_COMP_CNT: 0
	.section	.text._ZN7rocprim17ROCPRIM_400000_NS6detail44device_merge_sort_compile_time_verifier_archINS1_11comp_targetILNS1_3genE5ELNS1_11target_archE942ELNS1_3gpuE9ELNS1_3repE0EEES8_NS1_28merge_sort_block_sort_configILj256ELj4ELNS0_20block_sort_algorithmE0EEENS0_14default_configENS1_37merge_sort_block_sort_config_selectorImNS0_10empty_typeEEENS1_38merge_sort_block_merge_config_selectorImSE_EEEEvv,"axG",@progbits,_ZN7rocprim17ROCPRIM_400000_NS6detail44device_merge_sort_compile_time_verifier_archINS1_11comp_targetILNS1_3genE5ELNS1_11target_archE942ELNS1_3gpuE9ELNS1_3repE0EEES8_NS1_28merge_sort_block_sort_configILj256ELj4ELNS0_20block_sort_algorithmE0EEENS0_14default_configENS1_37merge_sort_block_sort_config_selectorImNS0_10empty_typeEEENS1_38merge_sort_block_merge_config_selectorImSE_EEEEvv,comdat
	.protected	_ZN7rocprim17ROCPRIM_400000_NS6detail44device_merge_sort_compile_time_verifier_archINS1_11comp_targetILNS1_3genE5ELNS1_11target_archE942ELNS1_3gpuE9ELNS1_3repE0EEES8_NS1_28merge_sort_block_sort_configILj256ELj4ELNS0_20block_sort_algorithmE0EEENS0_14default_configENS1_37merge_sort_block_sort_config_selectorImNS0_10empty_typeEEENS1_38merge_sort_block_merge_config_selectorImSE_EEEEvv ; -- Begin function _ZN7rocprim17ROCPRIM_400000_NS6detail44device_merge_sort_compile_time_verifier_archINS1_11comp_targetILNS1_3genE5ELNS1_11target_archE942ELNS1_3gpuE9ELNS1_3repE0EEES8_NS1_28merge_sort_block_sort_configILj256ELj4ELNS0_20block_sort_algorithmE0EEENS0_14default_configENS1_37merge_sort_block_sort_config_selectorImNS0_10empty_typeEEENS1_38merge_sort_block_merge_config_selectorImSE_EEEEvv
	.globl	_ZN7rocprim17ROCPRIM_400000_NS6detail44device_merge_sort_compile_time_verifier_archINS1_11comp_targetILNS1_3genE5ELNS1_11target_archE942ELNS1_3gpuE9ELNS1_3repE0EEES8_NS1_28merge_sort_block_sort_configILj256ELj4ELNS0_20block_sort_algorithmE0EEENS0_14default_configENS1_37merge_sort_block_sort_config_selectorImNS0_10empty_typeEEENS1_38merge_sort_block_merge_config_selectorImSE_EEEEvv
	.p2align	8
	.type	_ZN7rocprim17ROCPRIM_400000_NS6detail44device_merge_sort_compile_time_verifier_archINS1_11comp_targetILNS1_3genE5ELNS1_11target_archE942ELNS1_3gpuE9ELNS1_3repE0EEES8_NS1_28merge_sort_block_sort_configILj256ELj4ELNS0_20block_sort_algorithmE0EEENS0_14default_configENS1_37merge_sort_block_sort_config_selectorImNS0_10empty_typeEEENS1_38merge_sort_block_merge_config_selectorImSE_EEEEvv,@function
_ZN7rocprim17ROCPRIM_400000_NS6detail44device_merge_sort_compile_time_verifier_archINS1_11comp_targetILNS1_3genE5ELNS1_11target_archE942ELNS1_3gpuE9ELNS1_3repE0EEES8_NS1_28merge_sort_block_sort_configILj256ELj4ELNS0_20block_sort_algorithmE0EEENS0_14default_configENS1_37merge_sort_block_sort_config_selectorImNS0_10empty_typeEEENS1_38merge_sort_block_merge_config_selectorImSE_EEEEvv: ; @_ZN7rocprim17ROCPRIM_400000_NS6detail44device_merge_sort_compile_time_verifier_archINS1_11comp_targetILNS1_3genE5ELNS1_11target_archE942ELNS1_3gpuE9ELNS1_3repE0EEES8_NS1_28merge_sort_block_sort_configILj256ELj4ELNS0_20block_sort_algorithmE0EEENS0_14default_configENS1_37merge_sort_block_sort_config_selectorImNS0_10empty_typeEEENS1_38merge_sort_block_merge_config_selectorImSE_EEEEvv
; %bb.0:
	s_endpgm
	.section	.rodata,"a",@progbits
	.p2align	6, 0x0
	.amdhsa_kernel _ZN7rocprim17ROCPRIM_400000_NS6detail44device_merge_sort_compile_time_verifier_archINS1_11comp_targetILNS1_3genE5ELNS1_11target_archE942ELNS1_3gpuE9ELNS1_3repE0EEES8_NS1_28merge_sort_block_sort_configILj256ELj4ELNS0_20block_sort_algorithmE0EEENS0_14default_configENS1_37merge_sort_block_sort_config_selectorImNS0_10empty_typeEEENS1_38merge_sort_block_merge_config_selectorImSE_EEEEvv
		.amdhsa_group_segment_fixed_size 0
		.amdhsa_private_segment_fixed_size 0
		.amdhsa_kernarg_size 0
		.amdhsa_user_sgpr_count 0
		.amdhsa_user_sgpr_dispatch_ptr 0
		.amdhsa_user_sgpr_queue_ptr 0
		.amdhsa_user_sgpr_kernarg_segment_ptr 0
		.amdhsa_user_sgpr_dispatch_id 0
		.amdhsa_user_sgpr_kernarg_preload_length 0
		.amdhsa_user_sgpr_kernarg_preload_offset 0
		.amdhsa_user_sgpr_private_segment_size 0
		.amdhsa_wavefront_size32 1
		.amdhsa_uses_dynamic_stack 0
		.amdhsa_enable_private_segment 0
		.amdhsa_system_sgpr_workgroup_id_x 1
		.amdhsa_system_sgpr_workgroup_id_y 0
		.amdhsa_system_sgpr_workgroup_id_z 0
		.amdhsa_system_sgpr_workgroup_info 0
		.amdhsa_system_vgpr_workitem_id 0
		.amdhsa_next_free_vgpr 1
		.amdhsa_next_free_sgpr 1
		.amdhsa_named_barrier_count 0
		.amdhsa_reserve_vcc 0
		.amdhsa_float_round_mode_32 0
		.amdhsa_float_round_mode_16_64 0
		.amdhsa_float_denorm_mode_32 3
		.amdhsa_float_denorm_mode_16_64 3
		.amdhsa_fp16_overflow 0
		.amdhsa_memory_ordered 1
		.amdhsa_forward_progress 1
		.amdhsa_inst_pref_size 1
		.amdhsa_round_robin_scheduling 0
		.amdhsa_exception_fp_ieee_invalid_op 0
		.amdhsa_exception_fp_denorm_src 0
		.amdhsa_exception_fp_ieee_div_zero 0
		.amdhsa_exception_fp_ieee_overflow 0
		.amdhsa_exception_fp_ieee_underflow 0
		.amdhsa_exception_fp_ieee_inexact 0
		.amdhsa_exception_int_div_zero 0
	.end_amdhsa_kernel
	.section	.text._ZN7rocprim17ROCPRIM_400000_NS6detail44device_merge_sort_compile_time_verifier_archINS1_11comp_targetILNS1_3genE5ELNS1_11target_archE942ELNS1_3gpuE9ELNS1_3repE0EEES8_NS1_28merge_sort_block_sort_configILj256ELj4ELNS0_20block_sort_algorithmE0EEENS0_14default_configENS1_37merge_sort_block_sort_config_selectorImNS0_10empty_typeEEENS1_38merge_sort_block_merge_config_selectorImSE_EEEEvv,"axG",@progbits,_ZN7rocprim17ROCPRIM_400000_NS6detail44device_merge_sort_compile_time_verifier_archINS1_11comp_targetILNS1_3genE5ELNS1_11target_archE942ELNS1_3gpuE9ELNS1_3repE0EEES8_NS1_28merge_sort_block_sort_configILj256ELj4ELNS0_20block_sort_algorithmE0EEENS0_14default_configENS1_37merge_sort_block_sort_config_selectorImNS0_10empty_typeEEENS1_38merge_sort_block_merge_config_selectorImSE_EEEEvv,comdat
.Lfunc_end2790:
	.size	_ZN7rocprim17ROCPRIM_400000_NS6detail44device_merge_sort_compile_time_verifier_archINS1_11comp_targetILNS1_3genE5ELNS1_11target_archE942ELNS1_3gpuE9ELNS1_3repE0EEES8_NS1_28merge_sort_block_sort_configILj256ELj4ELNS0_20block_sort_algorithmE0EEENS0_14default_configENS1_37merge_sort_block_sort_config_selectorImNS0_10empty_typeEEENS1_38merge_sort_block_merge_config_selectorImSE_EEEEvv, .Lfunc_end2790-_ZN7rocprim17ROCPRIM_400000_NS6detail44device_merge_sort_compile_time_verifier_archINS1_11comp_targetILNS1_3genE5ELNS1_11target_archE942ELNS1_3gpuE9ELNS1_3repE0EEES8_NS1_28merge_sort_block_sort_configILj256ELj4ELNS0_20block_sort_algorithmE0EEENS0_14default_configENS1_37merge_sort_block_sort_config_selectorImNS0_10empty_typeEEENS1_38merge_sort_block_merge_config_selectorImSE_EEEEvv
                                        ; -- End function
	.set _ZN7rocprim17ROCPRIM_400000_NS6detail44device_merge_sort_compile_time_verifier_archINS1_11comp_targetILNS1_3genE5ELNS1_11target_archE942ELNS1_3gpuE9ELNS1_3repE0EEES8_NS1_28merge_sort_block_sort_configILj256ELj4ELNS0_20block_sort_algorithmE0EEENS0_14default_configENS1_37merge_sort_block_sort_config_selectorImNS0_10empty_typeEEENS1_38merge_sort_block_merge_config_selectorImSE_EEEEvv.num_vgpr, 0
	.set _ZN7rocprim17ROCPRIM_400000_NS6detail44device_merge_sort_compile_time_verifier_archINS1_11comp_targetILNS1_3genE5ELNS1_11target_archE942ELNS1_3gpuE9ELNS1_3repE0EEES8_NS1_28merge_sort_block_sort_configILj256ELj4ELNS0_20block_sort_algorithmE0EEENS0_14default_configENS1_37merge_sort_block_sort_config_selectorImNS0_10empty_typeEEENS1_38merge_sort_block_merge_config_selectorImSE_EEEEvv.num_agpr, 0
	.set _ZN7rocprim17ROCPRIM_400000_NS6detail44device_merge_sort_compile_time_verifier_archINS1_11comp_targetILNS1_3genE5ELNS1_11target_archE942ELNS1_3gpuE9ELNS1_3repE0EEES8_NS1_28merge_sort_block_sort_configILj256ELj4ELNS0_20block_sort_algorithmE0EEENS0_14default_configENS1_37merge_sort_block_sort_config_selectorImNS0_10empty_typeEEENS1_38merge_sort_block_merge_config_selectorImSE_EEEEvv.numbered_sgpr, 0
	.set _ZN7rocprim17ROCPRIM_400000_NS6detail44device_merge_sort_compile_time_verifier_archINS1_11comp_targetILNS1_3genE5ELNS1_11target_archE942ELNS1_3gpuE9ELNS1_3repE0EEES8_NS1_28merge_sort_block_sort_configILj256ELj4ELNS0_20block_sort_algorithmE0EEENS0_14default_configENS1_37merge_sort_block_sort_config_selectorImNS0_10empty_typeEEENS1_38merge_sort_block_merge_config_selectorImSE_EEEEvv.num_named_barrier, 0
	.set _ZN7rocprim17ROCPRIM_400000_NS6detail44device_merge_sort_compile_time_verifier_archINS1_11comp_targetILNS1_3genE5ELNS1_11target_archE942ELNS1_3gpuE9ELNS1_3repE0EEES8_NS1_28merge_sort_block_sort_configILj256ELj4ELNS0_20block_sort_algorithmE0EEENS0_14default_configENS1_37merge_sort_block_sort_config_selectorImNS0_10empty_typeEEENS1_38merge_sort_block_merge_config_selectorImSE_EEEEvv.private_seg_size, 0
	.set _ZN7rocprim17ROCPRIM_400000_NS6detail44device_merge_sort_compile_time_verifier_archINS1_11comp_targetILNS1_3genE5ELNS1_11target_archE942ELNS1_3gpuE9ELNS1_3repE0EEES8_NS1_28merge_sort_block_sort_configILj256ELj4ELNS0_20block_sort_algorithmE0EEENS0_14default_configENS1_37merge_sort_block_sort_config_selectorImNS0_10empty_typeEEENS1_38merge_sort_block_merge_config_selectorImSE_EEEEvv.uses_vcc, 0
	.set _ZN7rocprim17ROCPRIM_400000_NS6detail44device_merge_sort_compile_time_verifier_archINS1_11comp_targetILNS1_3genE5ELNS1_11target_archE942ELNS1_3gpuE9ELNS1_3repE0EEES8_NS1_28merge_sort_block_sort_configILj256ELj4ELNS0_20block_sort_algorithmE0EEENS0_14default_configENS1_37merge_sort_block_sort_config_selectorImNS0_10empty_typeEEENS1_38merge_sort_block_merge_config_selectorImSE_EEEEvv.uses_flat_scratch, 0
	.set _ZN7rocprim17ROCPRIM_400000_NS6detail44device_merge_sort_compile_time_verifier_archINS1_11comp_targetILNS1_3genE5ELNS1_11target_archE942ELNS1_3gpuE9ELNS1_3repE0EEES8_NS1_28merge_sort_block_sort_configILj256ELj4ELNS0_20block_sort_algorithmE0EEENS0_14default_configENS1_37merge_sort_block_sort_config_selectorImNS0_10empty_typeEEENS1_38merge_sort_block_merge_config_selectorImSE_EEEEvv.has_dyn_sized_stack, 0
	.set _ZN7rocprim17ROCPRIM_400000_NS6detail44device_merge_sort_compile_time_verifier_archINS1_11comp_targetILNS1_3genE5ELNS1_11target_archE942ELNS1_3gpuE9ELNS1_3repE0EEES8_NS1_28merge_sort_block_sort_configILj256ELj4ELNS0_20block_sort_algorithmE0EEENS0_14default_configENS1_37merge_sort_block_sort_config_selectorImNS0_10empty_typeEEENS1_38merge_sort_block_merge_config_selectorImSE_EEEEvv.has_recursion, 0
	.set _ZN7rocprim17ROCPRIM_400000_NS6detail44device_merge_sort_compile_time_verifier_archINS1_11comp_targetILNS1_3genE5ELNS1_11target_archE942ELNS1_3gpuE9ELNS1_3repE0EEES8_NS1_28merge_sort_block_sort_configILj256ELj4ELNS0_20block_sort_algorithmE0EEENS0_14default_configENS1_37merge_sort_block_sort_config_selectorImNS0_10empty_typeEEENS1_38merge_sort_block_merge_config_selectorImSE_EEEEvv.has_indirect_call, 0
	.section	.AMDGPU.csdata,"",@progbits
; Kernel info:
; codeLenInByte = 4
; TotalNumSgprs: 0
; NumVgprs: 0
; ScratchSize: 0
; MemoryBound: 0
; FloatMode: 240
; IeeeMode: 1
; LDSByteSize: 0 bytes/workgroup (compile time only)
; SGPRBlocks: 0
; VGPRBlocks: 0
; NumSGPRsForWavesPerEU: 1
; NumVGPRsForWavesPerEU: 1
; NamedBarCnt: 0
; Occupancy: 16
; WaveLimiterHint : 0
; COMPUTE_PGM_RSRC2:SCRATCH_EN: 0
; COMPUTE_PGM_RSRC2:USER_SGPR: 0
; COMPUTE_PGM_RSRC2:TRAP_HANDLER: 0
; COMPUTE_PGM_RSRC2:TGID_X_EN: 1
; COMPUTE_PGM_RSRC2:TGID_Y_EN: 0
; COMPUTE_PGM_RSRC2:TGID_Z_EN: 0
; COMPUTE_PGM_RSRC2:TIDIG_COMP_CNT: 0
	.section	.text._ZN7rocprim17ROCPRIM_400000_NS6detail44device_merge_sort_compile_time_verifier_archINS1_11comp_targetILNS1_3genE4ELNS1_11target_archE910ELNS1_3gpuE8ELNS1_3repE0EEES8_NS1_28merge_sort_block_sort_configILj256ELj4ELNS0_20block_sort_algorithmE0EEENS0_14default_configENS1_37merge_sort_block_sort_config_selectorImNS0_10empty_typeEEENS1_38merge_sort_block_merge_config_selectorImSE_EEEEvv,"axG",@progbits,_ZN7rocprim17ROCPRIM_400000_NS6detail44device_merge_sort_compile_time_verifier_archINS1_11comp_targetILNS1_3genE4ELNS1_11target_archE910ELNS1_3gpuE8ELNS1_3repE0EEES8_NS1_28merge_sort_block_sort_configILj256ELj4ELNS0_20block_sort_algorithmE0EEENS0_14default_configENS1_37merge_sort_block_sort_config_selectorImNS0_10empty_typeEEENS1_38merge_sort_block_merge_config_selectorImSE_EEEEvv,comdat
	.protected	_ZN7rocprim17ROCPRIM_400000_NS6detail44device_merge_sort_compile_time_verifier_archINS1_11comp_targetILNS1_3genE4ELNS1_11target_archE910ELNS1_3gpuE8ELNS1_3repE0EEES8_NS1_28merge_sort_block_sort_configILj256ELj4ELNS0_20block_sort_algorithmE0EEENS0_14default_configENS1_37merge_sort_block_sort_config_selectorImNS0_10empty_typeEEENS1_38merge_sort_block_merge_config_selectorImSE_EEEEvv ; -- Begin function _ZN7rocprim17ROCPRIM_400000_NS6detail44device_merge_sort_compile_time_verifier_archINS1_11comp_targetILNS1_3genE4ELNS1_11target_archE910ELNS1_3gpuE8ELNS1_3repE0EEES8_NS1_28merge_sort_block_sort_configILj256ELj4ELNS0_20block_sort_algorithmE0EEENS0_14default_configENS1_37merge_sort_block_sort_config_selectorImNS0_10empty_typeEEENS1_38merge_sort_block_merge_config_selectorImSE_EEEEvv
	.globl	_ZN7rocprim17ROCPRIM_400000_NS6detail44device_merge_sort_compile_time_verifier_archINS1_11comp_targetILNS1_3genE4ELNS1_11target_archE910ELNS1_3gpuE8ELNS1_3repE0EEES8_NS1_28merge_sort_block_sort_configILj256ELj4ELNS0_20block_sort_algorithmE0EEENS0_14default_configENS1_37merge_sort_block_sort_config_selectorImNS0_10empty_typeEEENS1_38merge_sort_block_merge_config_selectorImSE_EEEEvv
	.p2align	8
	.type	_ZN7rocprim17ROCPRIM_400000_NS6detail44device_merge_sort_compile_time_verifier_archINS1_11comp_targetILNS1_3genE4ELNS1_11target_archE910ELNS1_3gpuE8ELNS1_3repE0EEES8_NS1_28merge_sort_block_sort_configILj256ELj4ELNS0_20block_sort_algorithmE0EEENS0_14default_configENS1_37merge_sort_block_sort_config_selectorImNS0_10empty_typeEEENS1_38merge_sort_block_merge_config_selectorImSE_EEEEvv,@function
_ZN7rocprim17ROCPRIM_400000_NS6detail44device_merge_sort_compile_time_verifier_archINS1_11comp_targetILNS1_3genE4ELNS1_11target_archE910ELNS1_3gpuE8ELNS1_3repE0EEES8_NS1_28merge_sort_block_sort_configILj256ELj4ELNS0_20block_sort_algorithmE0EEENS0_14default_configENS1_37merge_sort_block_sort_config_selectorImNS0_10empty_typeEEENS1_38merge_sort_block_merge_config_selectorImSE_EEEEvv: ; @_ZN7rocprim17ROCPRIM_400000_NS6detail44device_merge_sort_compile_time_verifier_archINS1_11comp_targetILNS1_3genE4ELNS1_11target_archE910ELNS1_3gpuE8ELNS1_3repE0EEES8_NS1_28merge_sort_block_sort_configILj256ELj4ELNS0_20block_sort_algorithmE0EEENS0_14default_configENS1_37merge_sort_block_sort_config_selectorImNS0_10empty_typeEEENS1_38merge_sort_block_merge_config_selectorImSE_EEEEvv
; %bb.0:
	s_endpgm
	.section	.rodata,"a",@progbits
	.p2align	6, 0x0
	.amdhsa_kernel _ZN7rocprim17ROCPRIM_400000_NS6detail44device_merge_sort_compile_time_verifier_archINS1_11comp_targetILNS1_3genE4ELNS1_11target_archE910ELNS1_3gpuE8ELNS1_3repE0EEES8_NS1_28merge_sort_block_sort_configILj256ELj4ELNS0_20block_sort_algorithmE0EEENS0_14default_configENS1_37merge_sort_block_sort_config_selectorImNS0_10empty_typeEEENS1_38merge_sort_block_merge_config_selectorImSE_EEEEvv
		.amdhsa_group_segment_fixed_size 0
		.amdhsa_private_segment_fixed_size 0
		.amdhsa_kernarg_size 0
		.amdhsa_user_sgpr_count 0
		.amdhsa_user_sgpr_dispatch_ptr 0
		.amdhsa_user_sgpr_queue_ptr 0
		.amdhsa_user_sgpr_kernarg_segment_ptr 0
		.amdhsa_user_sgpr_dispatch_id 0
		.amdhsa_user_sgpr_kernarg_preload_length 0
		.amdhsa_user_sgpr_kernarg_preload_offset 0
		.amdhsa_user_sgpr_private_segment_size 0
		.amdhsa_wavefront_size32 1
		.amdhsa_uses_dynamic_stack 0
		.amdhsa_enable_private_segment 0
		.amdhsa_system_sgpr_workgroup_id_x 1
		.amdhsa_system_sgpr_workgroup_id_y 0
		.amdhsa_system_sgpr_workgroup_id_z 0
		.amdhsa_system_sgpr_workgroup_info 0
		.amdhsa_system_vgpr_workitem_id 0
		.amdhsa_next_free_vgpr 1
		.amdhsa_next_free_sgpr 1
		.amdhsa_named_barrier_count 0
		.amdhsa_reserve_vcc 0
		.amdhsa_float_round_mode_32 0
		.amdhsa_float_round_mode_16_64 0
		.amdhsa_float_denorm_mode_32 3
		.amdhsa_float_denorm_mode_16_64 3
		.amdhsa_fp16_overflow 0
		.amdhsa_memory_ordered 1
		.amdhsa_forward_progress 1
		.amdhsa_inst_pref_size 1
		.amdhsa_round_robin_scheduling 0
		.amdhsa_exception_fp_ieee_invalid_op 0
		.amdhsa_exception_fp_denorm_src 0
		.amdhsa_exception_fp_ieee_div_zero 0
		.amdhsa_exception_fp_ieee_overflow 0
		.amdhsa_exception_fp_ieee_underflow 0
		.amdhsa_exception_fp_ieee_inexact 0
		.amdhsa_exception_int_div_zero 0
	.end_amdhsa_kernel
	.section	.text._ZN7rocprim17ROCPRIM_400000_NS6detail44device_merge_sort_compile_time_verifier_archINS1_11comp_targetILNS1_3genE4ELNS1_11target_archE910ELNS1_3gpuE8ELNS1_3repE0EEES8_NS1_28merge_sort_block_sort_configILj256ELj4ELNS0_20block_sort_algorithmE0EEENS0_14default_configENS1_37merge_sort_block_sort_config_selectorImNS0_10empty_typeEEENS1_38merge_sort_block_merge_config_selectorImSE_EEEEvv,"axG",@progbits,_ZN7rocprim17ROCPRIM_400000_NS6detail44device_merge_sort_compile_time_verifier_archINS1_11comp_targetILNS1_3genE4ELNS1_11target_archE910ELNS1_3gpuE8ELNS1_3repE0EEES8_NS1_28merge_sort_block_sort_configILj256ELj4ELNS0_20block_sort_algorithmE0EEENS0_14default_configENS1_37merge_sort_block_sort_config_selectorImNS0_10empty_typeEEENS1_38merge_sort_block_merge_config_selectorImSE_EEEEvv,comdat
.Lfunc_end2791:
	.size	_ZN7rocprim17ROCPRIM_400000_NS6detail44device_merge_sort_compile_time_verifier_archINS1_11comp_targetILNS1_3genE4ELNS1_11target_archE910ELNS1_3gpuE8ELNS1_3repE0EEES8_NS1_28merge_sort_block_sort_configILj256ELj4ELNS0_20block_sort_algorithmE0EEENS0_14default_configENS1_37merge_sort_block_sort_config_selectorImNS0_10empty_typeEEENS1_38merge_sort_block_merge_config_selectorImSE_EEEEvv, .Lfunc_end2791-_ZN7rocprim17ROCPRIM_400000_NS6detail44device_merge_sort_compile_time_verifier_archINS1_11comp_targetILNS1_3genE4ELNS1_11target_archE910ELNS1_3gpuE8ELNS1_3repE0EEES8_NS1_28merge_sort_block_sort_configILj256ELj4ELNS0_20block_sort_algorithmE0EEENS0_14default_configENS1_37merge_sort_block_sort_config_selectorImNS0_10empty_typeEEENS1_38merge_sort_block_merge_config_selectorImSE_EEEEvv
                                        ; -- End function
	.set _ZN7rocprim17ROCPRIM_400000_NS6detail44device_merge_sort_compile_time_verifier_archINS1_11comp_targetILNS1_3genE4ELNS1_11target_archE910ELNS1_3gpuE8ELNS1_3repE0EEES8_NS1_28merge_sort_block_sort_configILj256ELj4ELNS0_20block_sort_algorithmE0EEENS0_14default_configENS1_37merge_sort_block_sort_config_selectorImNS0_10empty_typeEEENS1_38merge_sort_block_merge_config_selectorImSE_EEEEvv.num_vgpr, 0
	.set _ZN7rocprim17ROCPRIM_400000_NS6detail44device_merge_sort_compile_time_verifier_archINS1_11comp_targetILNS1_3genE4ELNS1_11target_archE910ELNS1_3gpuE8ELNS1_3repE0EEES8_NS1_28merge_sort_block_sort_configILj256ELj4ELNS0_20block_sort_algorithmE0EEENS0_14default_configENS1_37merge_sort_block_sort_config_selectorImNS0_10empty_typeEEENS1_38merge_sort_block_merge_config_selectorImSE_EEEEvv.num_agpr, 0
	.set _ZN7rocprim17ROCPRIM_400000_NS6detail44device_merge_sort_compile_time_verifier_archINS1_11comp_targetILNS1_3genE4ELNS1_11target_archE910ELNS1_3gpuE8ELNS1_3repE0EEES8_NS1_28merge_sort_block_sort_configILj256ELj4ELNS0_20block_sort_algorithmE0EEENS0_14default_configENS1_37merge_sort_block_sort_config_selectorImNS0_10empty_typeEEENS1_38merge_sort_block_merge_config_selectorImSE_EEEEvv.numbered_sgpr, 0
	.set _ZN7rocprim17ROCPRIM_400000_NS6detail44device_merge_sort_compile_time_verifier_archINS1_11comp_targetILNS1_3genE4ELNS1_11target_archE910ELNS1_3gpuE8ELNS1_3repE0EEES8_NS1_28merge_sort_block_sort_configILj256ELj4ELNS0_20block_sort_algorithmE0EEENS0_14default_configENS1_37merge_sort_block_sort_config_selectorImNS0_10empty_typeEEENS1_38merge_sort_block_merge_config_selectorImSE_EEEEvv.num_named_barrier, 0
	.set _ZN7rocprim17ROCPRIM_400000_NS6detail44device_merge_sort_compile_time_verifier_archINS1_11comp_targetILNS1_3genE4ELNS1_11target_archE910ELNS1_3gpuE8ELNS1_3repE0EEES8_NS1_28merge_sort_block_sort_configILj256ELj4ELNS0_20block_sort_algorithmE0EEENS0_14default_configENS1_37merge_sort_block_sort_config_selectorImNS0_10empty_typeEEENS1_38merge_sort_block_merge_config_selectorImSE_EEEEvv.private_seg_size, 0
	.set _ZN7rocprim17ROCPRIM_400000_NS6detail44device_merge_sort_compile_time_verifier_archINS1_11comp_targetILNS1_3genE4ELNS1_11target_archE910ELNS1_3gpuE8ELNS1_3repE0EEES8_NS1_28merge_sort_block_sort_configILj256ELj4ELNS0_20block_sort_algorithmE0EEENS0_14default_configENS1_37merge_sort_block_sort_config_selectorImNS0_10empty_typeEEENS1_38merge_sort_block_merge_config_selectorImSE_EEEEvv.uses_vcc, 0
	.set _ZN7rocprim17ROCPRIM_400000_NS6detail44device_merge_sort_compile_time_verifier_archINS1_11comp_targetILNS1_3genE4ELNS1_11target_archE910ELNS1_3gpuE8ELNS1_3repE0EEES8_NS1_28merge_sort_block_sort_configILj256ELj4ELNS0_20block_sort_algorithmE0EEENS0_14default_configENS1_37merge_sort_block_sort_config_selectorImNS0_10empty_typeEEENS1_38merge_sort_block_merge_config_selectorImSE_EEEEvv.uses_flat_scratch, 0
	.set _ZN7rocprim17ROCPRIM_400000_NS6detail44device_merge_sort_compile_time_verifier_archINS1_11comp_targetILNS1_3genE4ELNS1_11target_archE910ELNS1_3gpuE8ELNS1_3repE0EEES8_NS1_28merge_sort_block_sort_configILj256ELj4ELNS0_20block_sort_algorithmE0EEENS0_14default_configENS1_37merge_sort_block_sort_config_selectorImNS0_10empty_typeEEENS1_38merge_sort_block_merge_config_selectorImSE_EEEEvv.has_dyn_sized_stack, 0
	.set _ZN7rocprim17ROCPRIM_400000_NS6detail44device_merge_sort_compile_time_verifier_archINS1_11comp_targetILNS1_3genE4ELNS1_11target_archE910ELNS1_3gpuE8ELNS1_3repE0EEES8_NS1_28merge_sort_block_sort_configILj256ELj4ELNS0_20block_sort_algorithmE0EEENS0_14default_configENS1_37merge_sort_block_sort_config_selectorImNS0_10empty_typeEEENS1_38merge_sort_block_merge_config_selectorImSE_EEEEvv.has_recursion, 0
	.set _ZN7rocprim17ROCPRIM_400000_NS6detail44device_merge_sort_compile_time_verifier_archINS1_11comp_targetILNS1_3genE4ELNS1_11target_archE910ELNS1_3gpuE8ELNS1_3repE0EEES8_NS1_28merge_sort_block_sort_configILj256ELj4ELNS0_20block_sort_algorithmE0EEENS0_14default_configENS1_37merge_sort_block_sort_config_selectorImNS0_10empty_typeEEENS1_38merge_sort_block_merge_config_selectorImSE_EEEEvv.has_indirect_call, 0
	.section	.AMDGPU.csdata,"",@progbits
; Kernel info:
; codeLenInByte = 4
; TotalNumSgprs: 0
; NumVgprs: 0
; ScratchSize: 0
; MemoryBound: 0
; FloatMode: 240
; IeeeMode: 1
; LDSByteSize: 0 bytes/workgroup (compile time only)
; SGPRBlocks: 0
; VGPRBlocks: 0
; NumSGPRsForWavesPerEU: 1
; NumVGPRsForWavesPerEU: 1
; NamedBarCnt: 0
; Occupancy: 16
; WaveLimiterHint : 0
; COMPUTE_PGM_RSRC2:SCRATCH_EN: 0
; COMPUTE_PGM_RSRC2:USER_SGPR: 0
; COMPUTE_PGM_RSRC2:TRAP_HANDLER: 0
; COMPUTE_PGM_RSRC2:TGID_X_EN: 1
; COMPUTE_PGM_RSRC2:TGID_Y_EN: 0
; COMPUTE_PGM_RSRC2:TGID_Z_EN: 0
; COMPUTE_PGM_RSRC2:TIDIG_COMP_CNT: 0
	.section	.text._ZN7rocprim17ROCPRIM_400000_NS6detail44device_merge_sort_compile_time_verifier_archINS1_11comp_targetILNS1_3genE3ELNS1_11target_archE908ELNS1_3gpuE7ELNS1_3repE0EEES8_NS1_28merge_sort_block_sort_configILj256ELj4ELNS0_20block_sort_algorithmE0EEENS0_14default_configENS1_37merge_sort_block_sort_config_selectorImNS0_10empty_typeEEENS1_38merge_sort_block_merge_config_selectorImSE_EEEEvv,"axG",@progbits,_ZN7rocprim17ROCPRIM_400000_NS6detail44device_merge_sort_compile_time_verifier_archINS1_11comp_targetILNS1_3genE3ELNS1_11target_archE908ELNS1_3gpuE7ELNS1_3repE0EEES8_NS1_28merge_sort_block_sort_configILj256ELj4ELNS0_20block_sort_algorithmE0EEENS0_14default_configENS1_37merge_sort_block_sort_config_selectorImNS0_10empty_typeEEENS1_38merge_sort_block_merge_config_selectorImSE_EEEEvv,comdat
	.protected	_ZN7rocprim17ROCPRIM_400000_NS6detail44device_merge_sort_compile_time_verifier_archINS1_11comp_targetILNS1_3genE3ELNS1_11target_archE908ELNS1_3gpuE7ELNS1_3repE0EEES8_NS1_28merge_sort_block_sort_configILj256ELj4ELNS0_20block_sort_algorithmE0EEENS0_14default_configENS1_37merge_sort_block_sort_config_selectorImNS0_10empty_typeEEENS1_38merge_sort_block_merge_config_selectorImSE_EEEEvv ; -- Begin function _ZN7rocprim17ROCPRIM_400000_NS6detail44device_merge_sort_compile_time_verifier_archINS1_11comp_targetILNS1_3genE3ELNS1_11target_archE908ELNS1_3gpuE7ELNS1_3repE0EEES8_NS1_28merge_sort_block_sort_configILj256ELj4ELNS0_20block_sort_algorithmE0EEENS0_14default_configENS1_37merge_sort_block_sort_config_selectorImNS0_10empty_typeEEENS1_38merge_sort_block_merge_config_selectorImSE_EEEEvv
	.globl	_ZN7rocprim17ROCPRIM_400000_NS6detail44device_merge_sort_compile_time_verifier_archINS1_11comp_targetILNS1_3genE3ELNS1_11target_archE908ELNS1_3gpuE7ELNS1_3repE0EEES8_NS1_28merge_sort_block_sort_configILj256ELj4ELNS0_20block_sort_algorithmE0EEENS0_14default_configENS1_37merge_sort_block_sort_config_selectorImNS0_10empty_typeEEENS1_38merge_sort_block_merge_config_selectorImSE_EEEEvv
	.p2align	8
	.type	_ZN7rocprim17ROCPRIM_400000_NS6detail44device_merge_sort_compile_time_verifier_archINS1_11comp_targetILNS1_3genE3ELNS1_11target_archE908ELNS1_3gpuE7ELNS1_3repE0EEES8_NS1_28merge_sort_block_sort_configILj256ELj4ELNS0_20block_sort_algorithmE0EEENS0_14default_configENS1_37merge_sort_block_sort_config_selectorImNS0_10empty_typeEEENS1_38merge_sort_block_merge_config_selectorImSE_EEEEvv,@function
_ZN7rocprim17ROCPRIM_400000_NS6detail44device_merge_sort_compile_time_verifier_archINS1_11comp_targetILNS1_3genE3ELNS1_11target_archE908ELNS1_3gpuE7ELNS1_3repE0EEES8_NS1_28merge_sort_block_sort_configILj256ELj4ELNS0_20block_sort_algorithmE0EEENS0_14default_configENS1_37merge_sort_block_sort_config_selectorImNS0_10empty_typeEEENS1_38merge_sort_block_merge_config_selectorImSE_EEEEvv: ; @_ZN7rocprim17ROCPRIM_400000_NS6detail44device_merge_sort_compile_time_verifier_archINS1_11comp_targetILNS1_3genE3ELNS1_11target_archE908ELNS1_3gpuE7ELNS1_3repE0EEES8_NS1_28merge_sort_block_sort_configILj256ELj4ELNS0_20block_sort_algorithmE0EEENS0_14default_configENS1_37merge_sort_block_sort_config_selectorImNS0_10empty_typeEEENS1_38merge_sort_block_merge_config_selectorImSE_EEEEvv
; %bb.0:
	s_endpgm
	.section	.rodata,"a",@progbits
	.p2align	6, 0x0
	.amdhsa_kernel _ZN7rocprim17ROCPRIM_400000_NS6detail44device_merge_sort_compile_time_verifier_archINS1_11comp_targetILNS1_3genE3ELNS1_11target_archE908ELNS1_3gpuE7ELNS1_3repE0EEES8_NS1_28merge_sort_block_sort_configILj256ELj4ELNS0_20block_sort_algorithmE0EEENS0_14default_configENS1_37merge_sort_block_sort_config_selectorImNS0_10empty_typeEEENS1_38merge_sort_block_merge_config_selectorImSE_EEEEvv
		.amdhsa_group_segment_fixed_size 0
		.amdhsa_private_segment_fixed_size 0
		.amdhsa_kernarg_size 0
		.amdhsa_user_sgpr_count 0
		.amdhsa_user_sgpr_dispatch_ptr 0
		.amdhsa_user_sgpr_queue_ptr 0
		.amdhsa_user_sgpr_kernarg_segment_ptr 0
		.amdhsa_user_sgpr_dispatch_id 0
		.amdhsa_user_sgpr_kernarg_preload_length 0
		.amdhsa_user_sgpr_kernarg_preload_offset 0
		.amdhsa_user_sgpr_private_segment_size 0
		.amdhsa_wavefront_size32 1
		.amdhsa_uses_dynamic_stack 0
		.amdhsa_enable_private_segment 0
		.amdhsa_system_sgpr_workgroup_id_x 1
		.amdhsa_system_sgpr_workgroup_id_y 0
		.amdhsa_system_sgpr_workgroup_id_z 0
		.amdhsa_system_sgpr_workgroup_info 0
		.amdhsa_system_vgpr_workitem_id 0
		.amdhsa_next_free_vgpr 1
		.amdhsa_next_free_sgpr 1
		.amdhsa_named_barrier_count 0
		.amdhsa_reserve_vcc 0
		.amdhsa_float_round_mode_32 0
		.amdhsa_float_round_mode_16_64 0
		.amdhsa_float_denorm_mode_32 3
		.amdhsa_float_denorm_mode_16_64 3
		.amdhsa_fp16_overflow 0
		.amdhsa_memory_ordered 1
		.amdhsa_forward_progress 1
		.amdhsa_inst_pref_size 1
		.amdhsa_round_robin_scheduling 0
		.amdhsa_exception_fp_ieee_invalid_op 0
		.amdhsa_exception_fp_denorm_src 0
		.amdhsa_exception_fp_ieee_div_zero 0
		.amdhsa_exception_fp_ieee_overflow 0
		.amdhsa_exception_fp_ieee_underflow 0
		.amdhsa_exception_fp_ieee_inexact 0
		.amdhsa_exception_int_div_zero 0
	.end_amdhsa_kernel
	.section	.text._ZN7rocprim17ROCPRIM_400000_NS6detail44device_merge_sort_compile_time_verifier_archINS1_11comp_targetILNS1_3genE3ELNS1_11target_archE908ELNS1_3gpuE7ELNS1_3repE0EEES8_NS1_28merge_sort_block_sort_configILj256ELj4ELNS0_20block_sort_algorithmE0EEENS0_14default_configENS1_37merge_sort_block_sort_config_selectorImNS0_10empty_typeEEENS1_38merge_sort_block_merge_config_selectorImSE_EEEEvv,"axG",@progbits,_ZN7rocprim17ROCPRIM_400000_NS6detail44device_merge_sort_compile_time_verifier_archINS1_11comp_targetILNS1_3genE3ELNS1_11target_archE908ELNS1_3gpuE7ELNS1_3repE0EEES8_NS1_28merge_sort_block_sort_configILj256ELj4ELNS0_20block_sort_algorithmE0EEENS0_14default_configENS1_37merge_sort_block_sort_config_selectorImNS0_10empty_typeEEENS1_38merge_sort_block_merge_config_selectorImSE_EEEEvv,comdat
.Lfunc_end2792:
	.size	_ZN7rocprim17ROCPRIM_400000_NS6detail44device_merge_sort_compile_time_verifier_archINS1_11comp_targetILNS1_3genE3ELNS1_11target_archE908ELNS1_3gpuE7ELNS1_3repE0EEES8_NS1_28merge_sort_block_sort_configILj256ELj4ELNS0_20block_sort_algorithmE0EEENS0_14default_configENS1_37merge_sort_block_sort_config_selectorImNS0_10empty_typeEEENS1_38merge_sort_block_merge_config_selectorImSE_EEEEvv, .Lfunc_end2792-_ZN7rocprim17ROCPRIM_400000_NS6detail44device_merge_sort_compile_time_verifier_archINS1_11comp_targetILNS1_3genE3ELNS1_11target_archE908ELNS1_3gpuE7ELNS1_3repE0EEES8_NS1_28merge_sort_block_sort_configILj256ELj4ELNS0_20block_sort_algorithmE0EEENS0_14default_configENS1_37merge_sort_block_sort_config_selectorImNS0_10empty_typeEEENS1_38merge_sort_block_merge_config_selectorImSE_EEEEvv
                                        ; -- End function
	.set _ZN7rocprim17ROCPRIM_400000_NS6detail44device_merge_sort_compile_time_verifier_archINS1_11comp_targetILNS1_3genE3ELNS1_11target_archE908ELNS1_3gpuE7ELNS1_3repE0EEES8_NS1_28merge_sort_block_sort_configILj256ELj4ELNS0_20block_sort_algorithmE0EEENS0_14default_configENS1_37merge_sort_block_sort_config_selectorImNS0_10empty_typeEEENS1_38merge_sort_block_merge_config_selectorImSE_EEEEvv.num_vgpr, 0
	.set _ZN7rocprim17ROCPRIM_400000_NS6detail44device_merge_sort_compile_time_verifier_archINS1_11comp_targetILNS1_3genE3ELNS1_11target_archE908ELNS1_3gpuE7ELNS1_3repE0EEES8_NS1_28merge_sort_block_sort_configILj256ELj4ELNS0_20block_sort_algorithmE0EEENS0_14default_configENS1_37merge_sort_block_sort_config_selectorImNS0_10empty_typeEEENS1_38merge_sort_block_merge_config_selectorImSE_EEEEvv.num_agpr, 0
	.set _ZN7rocprim17ROCPRIM_400000_NS6detail44device_merge_sort_compile_time_verifier_archINS1_11comp_targetILNS1_3genE3ELNS1_11target_archE908ELNS1_3gpuE7ELNS1_3repE0EEES8_NS1_28merge_sort_block_sort_configILj256ELj4ELNS0_20block_sort_algorithmE0EEENS0_14default_configENS1_37merge_sort_block_sort_config_selectorImNS0_10empty_typeEEENS1_38merge_sort_block_merge_config_selectorImSE_EEEEvv.numbered_sgpr, 0
	.set _ZN7rocprim17ROCPRIM_400000_NS6detail44device_merge_sort_compile_time_verifier_archINS1_11comp_targetILNS1_3genE3ELNS1_11target_archE908ELNS1_3gpuE7ELNS1_3repE0EEES8_NS1_28merge_sort_block_sort_configILj256ELj4ELNS0_20block_sort_algorithmE0EEENS0_14default_configENS1_37merge_sort_block_sort_config_selectorImNS0_10empty_typeEEENS1_38merge_sort_block_merge_config_selectorImSE_EEEEvv.num_named_barrier, 0
	.set _ZN7rocprim17ROCPRIM_400000_NS6detail44device_merge_sort_compile_time_verifier_archINS1_11comp_targetILNS1_3genE3ELNS1_11target_archE908ELNS1_3gpuE7ELNS1_3repE0EEES8_NS1_28merge_sort_block_sort_configILj256ELj4ELNS0_20block_sort_algorithmE0EEENS0_14default_configENS1_37merge_sort_block_sort_config_selectorImNS0_10empty_typeEEENS1_38merge_sort_block_merge_config_selectorImSE_EEEEvv.private_seg_size, 0
	.set _ZN7rocprim17ROCPRIM_400000_NS6detail44device_merge_sort_compile_time_verifier_archINS1_11comp_targetILNS1_3genE3ELNS1_11target_archE908ELNS1_3gpuE7ELNS1_3repE0EEES8_NS1_28merge_sort_block_sort_configILj256ELj4ELNS0_20block_sort_algorithmE0EEENS0_14default_configENS1_37merge_sort_block_sort_config_selectorImNS0_10empty_typeEEENS1_38merge_sort_block_merge_config_selectorImSE_EEEEvv.uses_vcc, 0
	.set _ZN7rocprim17ROCPRIM_400000_NS6detail44device_merge_sort_compile_time_verifier_archINS1_11comp_targetILNS1_3genE3ELNS1_11target_archE908ELNS1_3gpuE7ELNS1_3repE0EEES8_NS1_28merge_sort_block_sort_configILj256ELj4ELNS0_20block_sort_algorithmE0EEENS0_14default_configENS1_37merge_sort_block_sort_config_selectorImNS0_10empty_typeEEENS1_38merge_sort_block_merge_config_selectorImSE_EEEEvv.uses_flat_scratch, 0
	.set _ZN7rocprim17ROCPRIM_400000_NS6detail44device_merge_sort_compile_time_verifier_archINS1_11comp_targetILNS1_3genE3ELNS1_11target_archE908ELNS1_3gpuE7ELNS1_3repE0EEES8_NS1_28merge_sort_block_sort_configILj256ELj4ELNS0_20block_sort_algorithmE0EEENS0_14default_configENS1_37merge_sort_block_sort_config_selectorImNS0_10empty_typeEEENS1_38merge_sort_block_merge_config_selectorImSE_EEEEvv.has_dyn_sized_stack, 0
	.set _ZN7rocprim17ROCPRIM_400000_NS6detail44device_merge_sort_compile_time_verifier_archINS1_11comp_targetILNS1_3genE3ELNS1_11target_archE908ELNS1_3gpuE7ELNS1_3repE0EEES8_NS1_28merge_sort_block_sort_configILj256ELj4ELNS0_20block_sort_algorithmE0EEENS0_14default_configENS1_37merge_sort_block_sort_config_selectorImNS0_10empty_typeEEENS1_38merge_sort_block_merge_config_selectorImSE_EEEEvv.has_recursion, 0
	.set _ZN7rocprim17ROCPRIM_400000_NS6detail44device_merge_sort_compile_time_verifier_archINS1_11comp_targetILNS1_3genE3ELNS1_11target_archE908ELNS1_3gpuE7ELNS1_3repE0EEES8_NS1_28merge_sort_block_sort_configILj256ELj4ELNS0_20block_sort_algorithmE0EEENS0_14default_configENS1_37merge_sort_block_sort_config_selectorImNS0_10empty_typeEEENS1_38merge_sort_block_merge_config_selectorImSE_EEEEvv.has_indirect_call, 0
	.section	.AMDGPU.csdata,"",@progbits
; Kernel info:
; codeLenInByte = 4
; TotalNumSgprs: 0
; NumVgprs: 0
; ScratchSize: 0
; MemoryBound: 0
; FloatMode: 240
; IeeeMode: 1
; LDSByteSize: 0 bytes/workgroup (compile time only)
; SGPRBlocks: 0
; VGPRBlocks: 0
; NumSGPRsForWavesPerEU: 1
; NumVGPRsForWavesPerEU: 1
; NamedBarCnt: 0
; Occupancy: 16
; WaveLimiterHint : 0
; COMPUTE_PGM_RSRC2:SCRATCH_EN: 0
; COMPUTE_PGM_RSRC2:USER_SGPR: 0
; COMPUTE_PGM_RSRC2:TRAP_HANDLER: 0
; COMPUTE_PGM_RSRC2:TGID_X_EN: 1
; COMPUTE_PGM_RSRC2:TGID_Y_EN: 0
; COMPUTE_PGM_RSRC2:TGID_Z_EN: 0
; COMPUTE_PGM_RSRC2:TIDIG_COMP_CNT: 0
	.section	.text._ZN7rocprim17ROCPRIM_400000_NS6detail44device_merge_sort_compile_time_verifier_archINS1_11comp_targetILNS1_3genE2ELNS1_11target_archE906ELNS1_3gpuE6ELNS1_3repE0EEES8_NS1_28merge_sort_block_sort_configILj256ELj4ELNS0_20block_sort_algorithmE0EEENS0_14default_configENS1_37merge_sort_block_sort_config_selectorImNS0_10empty_typeEEENS1_38merge_sort_block_merge_config_selectorImSE_EEEEvv,"axG",@progbits,_ZN7rocprim17ROCPRIM_400000_NS6detail44device_merge_sort_compile_time_verifier_archINS1_11comp_targetILNS1_3genE2ELNS1_11target_archE906ELNS1_3gpuE6ELNS1_3repE0EEES8_NS1_28merge_sort_block_sort_configILj256ELj4ELNS0_20block_sort_algorithmE0EEENS0_14default_configENS1_37merge_sort_block_sort_config_selectorImNS0_10empty_typeEEENS1_38merge_sort_block_merge_config_selectorImSE_EEEEvv,comdat
	.protected	_ZN7rocprim17ROCPRIM_400000_NS6detail44device_merge_sort_compile_time_verifier_archINS1_11comp_targetILNS1_3genE2ELNS1_11target_archE906ELNS1_3gpuE6ELNS1_3repE0EEES8_NS1_28merge_sort_block_sort_configILj256ELj4ELNS0_20block_sort_algorithmE0EEENS0_14default_configENS1_37merge_sort_block_sort_config_selectorImNS0_10empty_typeEEENS1_38merge_sort_block_merge_config_selectorImSE_EEEEvv ; -- Begin function _ZN7rocprim17ROCPRIM_400000_NS6detail44device_merge_sort_compile_time_verifier_archINS1_11comp_targetILNS1_3genE2ELNS1_11target_archE906ELNS1_3gpuE6ELNS1_3repE0EEES8_NS1_28merge_sort_block_sort_configILj256ELj4ELNS0_20block_sort_algorithmE0EEENS0_14default_configENS1_37merge_sort_block_sort_config_selectorImNS0_10empty_typeEEENS1_38merge_sort_block_merge_config_selectorImSE_EEEEvv
	.globl	_ZN7rocprim17ROCPRIM_400000_NS6detail44device_merge_sort_compile_time_verifier_archINS1_11comp_targetILNS1_3genE2ELNS1_11target_archE906ELNS1_3gpuE6ELNS1_3repE0EEES8_NS1_28merge_sort_block_sort_configILj256ELj4ELNS0_20block_sort_algorithmE0EEENS0_14default_configENS1_37merge_sort_block_sort_config_selectorImNS0_10empty_typeEEENS1_38merge_sort_block_merge_config_selectorImSE_EEEEvv
	.p2align	8
	.type	_ZN7rocprim17ROCPRIM_400000_NS6detail44device_merge_sort_compile_time_verifier_archINS1_11comp_targetILNS1_3genE2ELNS1_11target_archE906ELNS1_3gpuE6ELNS1_3repE0EEES8_NS1_28merge_sort_block_sort_configILj256ELj4ELNS0_20block_sort_algorithmE0EEENS0_14default_configENS1_37merge_sort_block_sort_config_selectorImNS0_10empty_typeEEENS1_38merge_sort_block_merge_config_selectorImSE_EEEEvv,@function
_ZN7rocprim17ROCPRIM_400000_NS6detail44device_merge_sort_compile_time_verifier_archINS1_11comp_targetILNS1_3genE2ELNS1_11target_archE906ELNS1_3gpuE6ELNS1_3repE0EEES8_NS1_28merge_sort_block_sort_configILj256ELj4ELNS0_20block_sort_algorithmE0EEENS0_14default_configENS1_37merge_sort_block_sort_config_selectorImNS0_10empty_typeEEENS1_38merge_sort_block_merge_config_selectorImSE_EEEEvv: ; @_ZN7rocprim17ROCPRIM_400000_NS6detail44device_merge_sort_compile_time_verifier_archINS1_11comp_targetILNS1_3genE2ELNS1_11target_archE906ELNS1_3gpuE6ELNS1_3repE0EEES8_NS1_28merge_sort_block_sort_configILj256ELj4ELNS0_20block_sort_algorithmE0EEENS0_14default_configENS1_37merge_sort_block_sort_config_selectorImNS0_10empty_typeEEENS1_38merge_sort_block_merge_config_selectorImSE_EEEEvv
; %bb.0:
	s_endpgm
	.section	.rodata,"a",@progbits
	.p2align	6, 0x0
	.amdhsa_kernel _ZN7rocprim17ROCPRIM_400000_NS6detail44device_merge_sort_compile_time_verifier_archINS1_11comp_targetILNS1_3genE2ELNS1_11target_archE906ELNS1_3gpuE6ELNS1_3repE0EEES8_NS1_28merge_sort_block_sort_configILj256ELj4ELNS0_20block_sort_algorithmE0EEENS0_14default_configENS1_37merge_sort_block_sort_config_selectorImNS0_10empty_typeEEENS1_38merge_sort_block_merge_config_selectorImSE_EEEEvv
		.amdhsa_group_segment_fixed_size 0
		.amdhsa_private_segment_fixed_size 0
		.amdhsa_kernarg_size 0
		.amdhsa_user_sgpr_count 0
		.amdhsa_user_sgpr_dispatch_ptr 0
		.amdhsa_user_sgpr_queue_ptr 0
		.amdhsa_user_sgpr_kernarg_segment_ptr 0
		.amdhsa_user_sgpr_dispatch_id 0
		.amdhsa_user_sgpr_kernarg_preload_length 0
		.amdhsa_user_sgpr_kernarg_preload_offset 0
		.amdhsa_user_sgpr_private_segment_size 0
		.amdhsa_wavefront_size32 1
		.amdhsa_uses_dynamic_stack 0
		.amdhsa_enable_private_segment 0
		.amdhsa_system_sgpr_workgroup_id_x 1
		.amdhsa_system_sgpr_workgroup_id_y 0
		.amdhsa_system_sgpr_workgroup_id_z 0
		.amdhsa_system_sgpr_workgroup_info 0
		.amdhsa_system_vgpr_workitem_id 0
		.amdhsa_next_free_vgpr 1
		.amdhsa_next_free_sgpr 1
		.amdhsa_named_barrier_count 0
		.amdhsa_reserve_vcc 0
		.amdhsa_float_round_mode_32 0
		.amdhsa_float_round_mode_16_64 0
		.amdhsa_float_denorm_mode_32 3
		.amdhsa_float_denorm_mode_16_64 3
		.amdhsa_fp16_overflow 0
		.amdhsa_memory_ordered 1
		.amdhsa_forward_progress 1
		.amdhsa_inst_pref_size 1
		.amdhsa_round_robin_scheduling 0
		.amdhsa_exception_fp_ieee_invalid_op 0
		.amdhsa_exception_fp_denorm_src 0
		.amdhsa_exception_fp_ieee_div_zero 0
		.amdhsa_exception_fp_ieee_overflow 0
		.amdhsa_exception_fp_ieee_underflow 0
		.amdhsa_exception_fp_ieee_inexact 0
		.amdhsa_exception_int_div_zero 0
	.end_amdhsa_kernel
	.section	.text._ZN7rocprim17ROCPRIM_400000_NS6detail44device_merge_sort_compile_time_verifier_archINS1_11comp_targetILNS1_3genE2ELNS1_11target_archE906ELNS1_3gpuE6ELNS1_3repE0EEES8_NS1_28merge_sort_block_sort_configILj256ELj4ELNS0_20block_sort_algorithmE0EEENS0_14default_configENS1_37merge_sort_block_sort_config_selectorImNS0_10empty_typeEEENS1_38merge_sort_block_merge_config_selectorImSE_EEEEvv,"axG",@progbits,_ZN7rocprim17ROCPRIM_400000_NS6detail44device_merge_sort_compile_time_verifier_archINS1_11comp_targetILNS1_3genE2ELNS1_11target_archE906ELNS1_3gpuE6ELNS1_3repE0EEES8_NS1_28merge_sort_block_sort_configILj256ELj4ELNS0_20block_sort_algorithmE0EEENS0_14default_configENS1_37merge_sort_block_sort_config_selectorImNS0_10empty_typeEEENS1_38merge_sort_block_merge_config_selectorImSE_EEEEvv,comdat
.Lfunc_end2793:
	.size	_ZN7rocprim17ROCPRIM_400000_NS6detail44device_merge_sort_compile_time_verifier_archINS1_11comp_targetILNS1_3genE2ELNS1_11target_archE906ELNS1_3gpuE6ELNS1_3repE0EEES8_NS1_28merge_sort_block_sort_configILj256ELj4ELNS0_20block_sort_algorithmE0EEENS0_14default_configENS1_37merge_sort_block_sort_config_selectorImNS0_10empty_typeEEENS1_38merge_sort_block_merge_config_selectorImSE_EEEEvv, .Lfunc_end2793-_ZN7rocprim17ROCPRIM_400000_NS6detail44device_merge_sort_compile_time_verifier_archINS1_11comp_targetILNS1_3genE2ELNS1_11target_archE906ELNS1_3gpuE6ELNS1_3repE0EEES8_NS1_28merge_sort_block_sort_configILj256ELj4ELNS0_20block_sort_algorithmE0EEENS0_14default_configENS1_37merge_sort_block_sort_config_selectorImNS0_10empty_typeEEENS1_38merge_sort_block_merge_config_selectorImSE_EEEEvv
                                        ; -- End function
	.set _ZN7rocprim17ROCPRIM_400000_NS6detail44device_merge_sort_compile_time_verifier_archINS1_11comp_targetILNS1_3genE2ELNS1_11target_archE906ELNS1_3gpuE6ELNS1_3repE0EEES8_NS1_28merge_sort_block_sort_configILj256ELj4ELNS0_20block_sort_algorithmE0EEENS0_14default_configENS1_37merge_sort_block_sort_config_selectorImNS0_10empty_typeEEENS1_38merge_sort_block_merge_config_selectorImSE_EEEEvv.num_vgpr, 0
	.set _ZN7rocprim17ROCPRIM_400000_NS6detail44device_merge_sort_compile_time_verifier_archINS1_11comp_targetILNS1_3genE2ELNS1_11target_archE906ELNS1_3gpuE6ELNS1_3repE0EEES8_NS1_28merge_sort_block_sort_configILj256ELj4ELNS0_20block_sort_algorithmE0EEENS0_14default_configENS1_37merge_sort_block_sort_config_selectorImNS0_10empty_typeEEENS1_38merge_sort_block_merge_config_selectorImSE_EEEEvv.num_agpr, 0
	.set _ZN7rocprim17ROCPRIM_400000_NS6detail44device_merge_sort_compile_time_verifier_archINS1_11comp_targetILNS1_3genE2ELNS1_11target_archE906ELNS1_3gpuE6ELNS1_3repE0EEES8_NS1_28merge_sort_block_sort_configILj256ELj4ELNS0_20block_sort_algorithmE0EEENS0_14default_configENS1_37merge_sort_block_sort_config_selectorImNS0_10empty_typeEEENS1_38merge_sort_block_merge_config_selectorImSE_EEEEvv.numbered_sgpr, 0
	.set _ZN7rocprim17ROCPRIM_400000_NS6detail44device_merge_sort_compile_time_verifier_archINS1_11comp_targetILNS1_3genE2ELNS1_11target_archE906ELNS1_3gpuE6ELNS1_3repE0EEES8_NS1_28merge_sort_block_sort_configILj256ELj4ELNS0_20block_sort_algorithmE0EEENS0_14default_configENS1_37merge_sort_block_sort_config_selectorImNS0_10empty_typeEEENS1_38merge_sort_block_merge_config_selectorImSE_EEEEvv.num_named_barrier, 0
	.set _ZN7rocprim17ROCPRIM_400000_NS6detail44device_merge_sort_compile_time_verifier_archINS1_11comp_targetILNS1_3genE2ELNS1_11target_archE906ELNS1_3gpuE6ELNS1_3repE0EEES8_NS1_28merge_sort_block_sort_configILj256ELj4ELNS0_20block_sort_algorithmE0EEENS0_14default_configENS1_37merge_sort_block_sort_config_selectorImNS0_10empty_typeEEENS1_38merge_sort_block_merge_config_selectorImSE_EEEEvv.private_seg_size, 0
	.set _ZN7rocprim17ROCPRIM_400000_NS6detail44device_merge_sort_compile_time_verifier_archINS1_11comp_targetILNS1_3genE2ELNS1_11target_archE906ELNS1_3gpuE6ELNS1_3repE0EEES8_NS1_28merge_sort_block_sort_configILj256ELj4ELNS0_20block_sort_algorithmE0EEENS0_14default_configENS1_37merge_sort_block_sort_config_selectorImNS0_10empty_typeEEENS1_38merge_sort_block_merge_config_selectorImSE_EEEEvv.uses_vcc, 0
	.set _ZN7rocprim17ROCPRIM_400000_NS6detail44device_merge_sort_compile_time_verifier_archINS1_11comp_targetILNS1_3genE2ELNS1_11target_archE906ELNS1_3gpuE6ELNS1_3repE0EEES8_NS1_28merge_sort_block_sort_configILj256ELj4ELNS0_20block_sort_algorithmE0EEENS0_14default_configENS1_37merge_sort_block_sort_config_selectorImNS0_10empty_typeEEENS1_38merge_sort_block_merge_config_selectorImSE_EEEEvv.uses_flat_scratch, 0
	.set _ZN7rocprim17ROCPRIM_400000_NS6detail44device_merge_sort_compile_time_verifier_archINS1_11comp_targetILNS1_3genE2ELNS1_11target_archE906ELNS1_3gpuE6ELNS1_3repE0EEES8_NS1_28merge_sort_block_sort_configILj256ELj4ELNS0_20block_sort_algorithmE0EEENS0_14default_configENS1_37merge_sort_block_sort_config_selectorImNS0_10empty_typeEEENS1_38merge_sort_block_merge_config_selectorImSE_EEEEvv.has_dyn_sized_stack, 0
	.set _ZN7rocprim17ROCPRIM_400000_NS6detail44device_merge_sort_compile_time_verifier_archINS1_11comp_targetILNS1_3genE2ELNS1_11target_archE906ELNS1_3gpuE6ELNS1_3repE0EEES8_NS1_28merge_sort_block_sort_configILj256ELj4ELNS0_20block_sort_algorithmE0EEENS0_14default_configENS1_37merge_sort_block_sort_config_selectorImNS0_10empty_typeEEENS1_38merge_sort_block_merge_config_selectorImSE_EEEEvv.has_recursion, 0
	.set _ZN7rocprim17ROCPRIM_400000_NS6detail44device_merge_sort_compile_time_verifier_archINS1_11comp_targetILNS1_3genE2ELNS1_11target_archE906ELNS1_3gpuE6ELNS1_3repE0EEES8_NS1_28merge_sort_block_sort_configILj256ELj4ELNS0_20block_sort_algorithmE0EEENS0_14default_configENS1_37merge_sort_block_sort_config_selectorImNS0_10empty_typeEEENS1_38merge_sort_block_merge_config_selectorImSE_EEEEvv.has_indirect_call, 0
	.section	.AMDGPU.csdata,"",@progbits
; Kernel info:
; codeLenInByte = 4
; TotalNumSgprs: 0
; NumVgprs: 0
; ScratchSize: 0
; MemoryBound: 0
; FloatMode: 240
; IeeeMode: 1
; LDSByteSize: 0 bytes/workgroup (compile time only)
; SGPRBlocks: 0
; VGPRBlocks: 0
; NumSGPRsForWavesPerEU: 1
; NumVGPRsForWavesPerEU: 1
; NamedBarCnt: 0
; Occupancy: 16
; WaveLimiterHint : 0
; COMPUTE_PGM_RSRC2:SCRATCH_EN: 0
; COMPUTE_PGM_RSRC2:USER_SGPR: 0
; COMPUTE_PGM_RSRC2:TRAP_HANDLER: 0
; COMPUTE_PGM_RSRC2:TGID_X_EN: 1
; COMPUTE_PGM_RSRC2:TGID_Y_EN: 0
; COMPUTE_PGM_RSRC2:TGID_Z_EN: 0
; COMPUTE_PGM_RSRC2:TIDIG_COMP_CNT: 0
	.section	.text._ZN7rocprim17ROCPRIM_400000_NS6detail44device_merge_sort_compile_time_verifier_archINS1_11comp_targetILNS1_3genE10ELNS1_11target_archE1201ELNS1_3gpuE5ELNS1_3repE0EEES8_NS1_28merge_sort_block_sort_configILj256ELj4ELNS0_20block_sort_algorithmE0EEENS0_14default_configENS1_37merge_sort_block_sort_config_selectorImNS0_10empty_typeEEENS1_38merge_sort_block_merge_config_selectorImSE_EEEEvv,"axG",@progbits,_ZN7rocprim17ROCPRIM_400000_NS6detail44device_merge_sort_compile_time_verifier_archINS1_11comp_targetILNS1_3genE10ELNS1_11target_archE1201ELNS1_3gpuE5ELNS1_3repE0EEES8_NS1_28merge_sort_block_sort_configILj256ELj4ELNS0_20block_sort_algorithmE0EEENS0_14default_configENS1_37merge_sort_block_sort_config_selectorImNS0_10empty_typeEEENS1_38merge_sort_block_merge_config_selectorImSE_EEEEvv,comdat
	.protected	_ZN7rocprim17ROCPRIM_400000_NS6detail44device_merge_sort_compile_time_verifier_archINS1_11comp_targetILNS1_3genE10ELNS1_11target_archE1201ELNS1_3gpuE5ELNS1_3repE0EEES8_NS1_28merge_sort_block_sort_configILj256ELj4ELNS0_20block_sort_algorithmE0EEENS0_14default_configENS1_37merge_sort_block_sort_config_selectorImNS0_10empty_typeEEENS1_38merge_sort_block_merge_config_selectorImSE_EEEEvv ; -- Begin function _ZN7rocprim17ROCPRIM_400000_NS6detail44device_merge_sort_compile_time_verifier_archINS1_11comp_targetILNS1_3genE10ELNS1_11target_archE1201ELNS1_3gpuE5ELNS1_3repE0EEES8_NS1_28merge_sort_block_sort_configILj256ELj4ELNS0_20block_sort_algorithmE0EEENS0_14default_configENS1_37merge_sort_block_sort_config_selectorImNS0_10empty_typeEEENS1_38merge_sort_block_merge_config_selectorImSE_EEEEvv
	.globl	_ZN7rocprim17ROCPRIM_400000_NS6detail44device_merge_sort_compile_time_verifier_archINS1_11comp_targetILNS1_3genE10ELNS1_11target_archE1201ELNS1_3gpuE5ELNS1_3repE0EEES8_NS1_28merge_sort_block_sort_configILj256ELj4ELNS0_20block_sort_algorithmE0EEENS0_14default_configENS1_37merge_sort_block_sort_config_selectorImNS0_10empty_typeEEENS1_38merge_sort_block_merge_config_selectorImSE_EEEEvv
	.p2align	8
	.type	_ZN7rocprim17ROCPRIM_400000_NS6detail44device_merge_sort_compile_time_verifier_archINS1_11comp_targetILNS1_3genE10ELNS1_11target_archE1201ELNS1_3gpuE5ELNS1_3repE0EEES8_NS1_28merge_sort_block_sort_configILj256ELj4ELNS0_20block_sort_algorithmE0EEENS0_14default_configENS1_37merge_sort_block_sort_config_selectorImNS0_10empty_typeEEENS1_38merge_sort_block_merge_config_selectorImSE_EEEEvv,@function
_ZN7rocprim17ROCPRIM_400000_NS6detail44device_merge_sort_compile_time_verifier_archINS1_11comp_targetILNS1_3genE10ELNS1_11target_archE1201ELNS1_3gpuE5ELNS1_3repE0EEES8_NS1_28merge_sort_block_sort_configILj256ELj4ELNS0_20block_sort_algorithmE0EEENS0_14default_configENS1_37merge_sort_block_sort_config_selectorImNS0_10empty_typeEEENS1_38merge_sort_block_merge_config_selectorImSE_EEEEvv: ; @_ZN7rocprim17ROCPRIM_400000_NS6detail44device_merge_sort_compile_time_verifier_archINS1_11comp_targetILNS1_3genE10ELNS1_11target_archE1201ELNS1_3gpuE5ELNS1_3repE0EEES8_NS1_28merge_sort_block_sort_configILj256ELj4ELNS0_20block_sort_algorithmE0EEENS0_14default_configENS1_37merge_sort_block_sort_config_selectorImNS0_10empty_typeEEENS1_38merge_sort_block_merge_config_selectorImSE_EEEEvv
; %bb.0:
	s_endpgm
	.section	.rodata,"a",@progbits
	.p2align	6, 0x0
	.amdhsa_kernel _ZN7rocprim17ROCPRIM_400000_NS6detail44device_merge_sort_compile_time_verifier_archINS1_11comp_targetILNS1_3genE10ELNS1_11target_archE1201ELNS1_3gpuE5ELNS1_3repE0EEES8_NS1_28merge_sort_block_sort_configILj256ELj4ELNS0_20block_sort_algorithmE0EEENS0_14default_configENS1_37merge_sort_block_sort_config_selectorImNS0_10empty_typeEEENS1_38merge_sort_block_merge_config_selectorImSE_EEEEvv
		.amdhsa_group_segment_fixed_size 0
		.amdhsa_private_segment_fixed_size 0
		.amdhsa_kernarg_size 0
		.amdhsa_user_sgpr_count 0
		.amdhsa_user_sgpr_dispatch_ptr 0
		.amdhsa_user_sgpr_queue_ptr 0
		.amdhsa_user_sgpr_kernarg_segment_ptr 0
		.amdhsa_user_sgpr_dispatch_id 0
		.amdhsa_user_sgpr_kernarg_preload_length 0
		.amdhsa_user_sgpr_kernarg_preload_offset 0
		.amdhsa_user_sgpr_private_segment_size 0
		.amdhsa_wavefront_size32 1
		.amdhsa_uses_dynamic_stack 0
		.amdhsa_enable_private_segment 0
		.amdhsa_system_sgpr_workgroup_id_x 1
		.amdhsa_system_sgpr_workgroup_id_y 0
		.amdhsa_system_sgpr_workgroup_id_z 0
		.amdhsa_system_sgpr_workgroup_info 0
		.amdhsa_system_vgpr_workitem_id 0
		.amdhsa_next_free_vgpr 1
		.amdhsa_next_free_sgpr 1
		.amdhsa_named_barrier_count 0
		.amdhsa_reserve_vcc 0
		.amdhsa_float_round_mode_32 0
		.amdhsa_float_round_mode_16_64 0
		.amdhsa_float_denorm_mode_32 3
		.amdhsa_float_denorm_mode_16_64 3
		.amdhsa_fp16_overflow 0
		.amdhsa_memory_ordered 1
		.amdhsa_forward_progress 1
		.amdhsa_inst_pref_size 1
		.amdhsa_round_robin_scheduling 0
		.amdhsa_exception_fp_ieee_invalid_op 0
		.amdhsa_exception_fp_denorm_src 0
		.amdhsa_exception_fp_ieee_div_zero 0
		.amdhsa_exception_fp_ieee_overflow 0
		.amdhsa_exception_fp_ieee_underflow 0
		.amdhsa_exception_fp_ieee_inexact 0
		.amdhsa_exception_int_div_zero 0
	.end_amdhsa_kernel
	.section	.text._ZN7rocprim17ROCPRIM_400000_NS6detail44device_merge_sort_compile_time_verifier_archINS1_11comp_targetILNS1_3genE10ELNS1_11target_archE1201ELNS1_3gpuE5ELNS1_3repE0EEES8_NS1_28merge_sort_block_sort_configILj256ELj4ELNS0_20block_sort_algorithmE0EEENS0_14default_configENS1_37merge_sort_block_sort_config_selectorImNS0_10empty_typeEEENS1_38merge_sort_block_merge_config_selectorImSE_EEEEvv,"axG",@progbits,_ZN7rocprim17ROCPRIM_400000_NS6detail44device_merge_sort_compile_time_verifier_archINS1_11comp_targetILNS1_3genE10ELNS1_11target_archE1201ELNS1_3gpuE5ELNS1_3repE0EEES8_NS1_28merge_sort_block_sort_configILj256ELj4ELNS0_20block_sort_algorithmE0EEENS0_14default_configENS1_37merge_sort_block_sort_config_selectorImNS0_10empty_typeEEENS1_38merge_sort_block_merge_config_selectorImSE_EEEEvv,comdat
.Lfunc_end2794:
	.size	_ZN7rocprim17ROCPRIM_400000_NS6detail44device_merge_sort_compile_time_verifier_archINS1_11comp_targetILNS1_3genE10ELNS1_11target_archE1201ELNS1_3gpuE5ELNS1_3repE0EEES8_NS1_28merge_sort_block_sort_configILj256ELj4ELNS0_20block_sort_algorithmE0EEENS0_14default_configENS1_37merge_sort_block_sort_config_selectorImNS0_10empty_typeEEENS1_38merge_sort_block_merge_config_selectorImSE_EEEEvv, .Lfunc_end2794-_ZN7rocprim17ROCPRIM_400000_NS6detail44device_merge_sort_compile_time_verifier_archINS1_11comp_targetILNS1_3genE10ELNS1_11target_archE1201ELNS1_3gpuE5ELNS1_3repE0EEES8_NS1_28merge_sort_block_sort_configILj256ELj4ELNS0_20block_sort_algorithmE0EEENS0_14default_configENS1_37merge_sort_block_sort_config_selectorImNS0_10empty_typeEEENS1_38merge_sort_block_merge_config_selectorImSE_EEEEvv
                                        ; -- End function
	.set _ZN7rocprim17ROCPRIM_400000_NS6detail44device_merge_sort_compile_time_verifier_archINS1_11comp_targetILNS1_3genE10ELNS1_11target_archE1201ELNS1_3gpuE5ELNS1_3repE0EEES8_NS1_28merge_sort_block_sort_configILj256ELj4ELNS0_20block_sort_algorithmE0EEENS0_14default_configENS1_37merge_sort_block_sort_config_selectorImNS0_10empty_typeEEENS1_38merge_sort_block_merge_config_selectorImSE_EEEEvv.num_vgpr, 0
	.set _ZN7rocprim17ROCPRIM_400000_NS6detail44device_merge_sort_compile_time_verifier_archINS1_11comp_targetILNS1_3genE10ELNS1_11target_archE1201ELNS1_3gpuE5ELNS1_3repE0EEES8_NS1_28merge_sort_block_sort_configILj256ELj4ELNS0_20block_sort_algorithmE0EEENS0_14default_configENS1_37merge_sort_block_sort_config_selectorImNS0_10empty_typeEEENS1_38merge_sort_block_merge_config_selectorImSE_EEEEvv.num_agpr, 0
	.set _ZN7rocprim17ROCPRIM_400000_NS6detail44device_merge_sort_compile_time_verifier_archINS1_11comp_targetILNS1_3genE10ELNS1_11target_archE1201ELNS1_3gpuE5ELNS1_3repE0EEES8_NS1_28merge_sort_block_sort_configILj256ELj4ELNS0_20block_sort_algorithmE0EEENS0_14default_configENS1_37merge_sort_block_sort_config_selectorImNS0_10empty_typeEEENS1_38merge_sort_block_merge_config_selectorImSE_EEEEvv.numbered_sgpr, 0
	.set _ZN7rocprim17ROCPRIM_400000_NS6detail44device_merge_sort_compile_time_verifier_archINS1_11comp_targetILNS1_3genE10ELNS1_11target_archE1201ELNS1_3gpuE5ELNS1_3repE0EEES8_NS1_28merge_sort_block_sort_configILj256ELj4ELNS0_20block_sort_algorithmE0EEENS0_14default_configENS1_37merge_sort_block_sort_config_selectorImNS0_10empty_typeEEENS1_38merge_sort_block_merge_config_selectorImSE_EEEEvv.num_named_barrier, 0
	.set _ZN7rocprim17ROCPRIM_400000_NS6detail44device_merge_sort_compile_time_verifier_archINS1_11comp_targetILNS1_3genE10ELNS1_11target_archE1201ELNS1_3gpuE5ELNS1_3repE0EEES8_NS1_28merge_sort_block_sort_configILj256ELj4ELNS0_20block_sort_algorithmE0EEENS0_14default_configENS1_37merge_sort_block_sort_config_selectorImNS0_10empty_typeEEENS1_38merge_sort_block_merge_config_selectorImSE_EEEEvv.private_seg_size, 0
	.set _ZN7rocprim17ROCPRIM_400000_NS6detail44device_merge_sort_compile_time_verifier_archINS1_11comp_targetILNS1_3genE10ELNS1_11target_archE1201ELNS1_3gpuE5ELNS1_3repE0EEES8_NS1_28merge_sort_block_sort_configILj256ELj4ELNS0_20block_sort_algorithmE0EEENS0_14default_configENS1_37merge_sort_block_sort_config_selectorImNS0_10empty_typeEEENS1_38merge_sort_block_merge_config_selectorImSE_EEEEvv.uses_vcc, 0
	.set _ZN7rocprim17ROCPRIM_400000_NS6detail44device_merge_sort_compile_time_verifier_archINS1_11comp_targetILNS1_3genE10ELNS1_11target_archE1201ELNS1_3gpuE5ELNS1_3repE0EEES8_NS1_28merge_sort_block_sort_configILj256ELj4ELNS0_20block_sort_algorithmE0EEENS0_14default_configENS1_37merge_sort_block_sort_config_selectorImNS0_10empty_typeEEENS1_38merge_sort_block_merge_config_selectorImSE_EEEEvv.uses_flat_scratch, 0
	.set _ZN7rocprim17ROCPRIM_400000_NS6detail44device_merge_sort_compile_time_verifier_archINS1_11comp_targetILNS1_3genE10ELNS1_11target_archE1201ELNS1_3gpuE5ELNS1_3repE0EEES8_NS1_28merge_sort_block_sort_configILj256ELj4ELNS0_20block_sort_algorithmE0EEENS0_14default_configENS1_37merge_sort_block_sort_config_selectorImNS0_10empty_typeEEENS1_38merge_sort_block_merge_config_selectorImSE_EEEEvv.has_dyn_sized_stack, 0
	.set _ZN7rocprim17ROCPRIM_400000_NS6detail44device_merge_sort_compile_time_verifier_archINS1_11comp_targetILNS1_3genE10ELNS1_11target_archE1201ELNS1_3gpuE5ELNS1_3repE0EEES8_NS1_28merge_sort_block_sort_configILj256ELj4ELNS0_20block_sort_algorithmE0EEENS0_14default_configENS1_37merge_sort_block_sort_config_selectorImNS0_10empty_typeEEENS1_38merge_sort_block_merge_config_selectorImSE_EEEEvv.has_recursion, 0
	.set _ZN7rocprim17ROCPRIM_400000_NS6detail44device_merge_sort_compile_time_verifier_archINS1_11comp_targetILNS1_3genE10ELNS1_11target_archE1201ELNS1_3gpuE5ELNS1_3repE0EEES8_NS1_28merge_sort_block_sort_configILj256ELj4ELNS0_20block_sort_algorithmE0EEENS0_14default_configENS1_37merge_sort_block_sort_config_selectorImNS0_10empty_typeEEENS1_38merge_sort_block_merge_config_selectorImSE_EEEEvv.has_indirect_call, 0
	.section	.AMDGPU.csdata,"",@progbits
; Kernel info:
; codeLenInByte = 4
; TotalNumSgprs: 0
; NumVgprs: 0
; ScratchSize: 0
; MemoryBound: 0
; FloatMode: 240
; IeeeMode: 1
; LDSByteSize: 0 bytes/workgroup (compile time only)
; SGPRBlocks: 0
; VGPRBlocks: 0
; NumSGPRsForWavesPerEU: 1
; NumVGPRsForWavesPerEU: 1
; NamedBarCnt: 0
; Occupancy: 16
; WaveLimiterHint : 0
; COMPUTE_PGM_RSRC2:SCRATCH_EN: 0
; COMPUTE_PGM_RSRC2:USER_SGPR: 0
; COMPUTE_PGM_RSRC2:TRAP_HANDLER: 0
; COMPUTE_PGM_RSRC2:TGID_X_EN: 1
; COMPUTE_PGM_RSRC2:TGID_Y_EN: 0
; COMPUTE_PGM_RSRC2:TGID_Z_EN: 0
; COMPUTE_PGM_RSRC2:TIDIG_COMP_CNT: 0
	.section	.text._ZN7rocprim17ROCPRIM_400000_NS6detail44device_merge_sort_compile_time_verifier_archINS1_11comp_targetILNS1_3genE10ELNS1_11target_archE1200ELNS1_3gpuE4ELNS1_3repE0EEENS3_ILS4_10ELS5_1201ELS6_5ELS7_0EEENS1_28merge_sort_block_sort_configILj256ELj4ELNS0_20block_sort_algorithmE0EEENS0_14default_configENS1_37merge_sort_block_sort_config_selectorImNS0_10empty_typeEEENS1_38merge_sort_block_merge_config_selectorImSF_EEEEvv,"axG",@progbits,_ZN7rocprim17ROCPRIM_400000_NS6detail44device_merge_sort_compile_time_verifier_archINS1_11comp_targetILNS1_3genE10ELNS1_11target_archE1200ELNS1_3gpuE4ELNS1_3repE0EEENS3_ILS4_10ELS5_1201ELS6_5ELS7_0EEENS1_28merge_sort_block_sort_configILj256ELj4ELNS0_20block_sort_algorithmE0EEENS0_14default_configENS1_37merge_sort_block_sort_config_selectorImNS0_10empty_typeEEENS1_38merge_sort_block_merge_config_selectorImSF_EEEEvv,comdat
	.protected	_ZN7rocprim17ROCPRIM_400000_NS6detail44device_merge_sort_compile_time_verifier_archINS1_11comp_targetILNS1_3genE10ELNS1_11target_archE1200ELNS1_3gpuE4ELNS1_3repE0EEENS3_ILS4_10ELS5_1201ELS6_5ELS7_0EEENS1_28merge_sort_block_sort_configILj256ELj4ELNS0_20block_sort_algorithmE0EEENS0_14default_configENS1_37merge_sort_block_sort_config_selectorImNS0_10empty_typeEEENS1_38merge_sort_block_merge_config_selectorImSF_EEEEvv ; -- Begin function _ZN7rocprim17ROCPRIM_400000_NS6detail44device_merge_sort_compile_time_verifier_archINS1_11comp_targetILNS1_3genE10ELNS1_11target_archE1200ELNS1_3gpuE4ELNS1_3repE0EEENS3_ILS4_10ELS5_1201ELS6_5ELS7_0EEENS1_28merge_sort_block_sort_configILj256ELj4ELNS0_20block_sort_algorithmE0EEENS0_14default_configENS1_37merge_sort_block_sort_config_selectorImNS0_10empty_typeEEENS1_38merge_sort_block_merge_config_selectorImSF_EEEEvv
	.globl	_ZN7rocprim17ROCPRIM_400000_NS6detail44device_merge_sort_compile_time_verifier_archINS1_11comp_targetILNS1_3genE10ELNS1_11target_archE1200ELNS1_3gpuE4ELNS1_3repE0EEENS3_ILS4_10ELS5_1201ELS6_5ELS7_0EEENS1_28merge_sort_block_sort_configILj256ELj4ELNS0_20block_sort_algorithmE0EEENS0_14default_configENS1_37merge_sort_block_sort_config_selectorImNS0_10empty_typeEEENS1_38merge_sort_block_merge_config_selectorImSF_EEEEvv
	.p2align	8
	.type	_ZN7rocprim17ROCPRIM_400000_NS6detail44device_merge_sort_compile_time_verifier_archINS1_11comp_targetILNS1_3genE10ELNS1_11target_archE1200ELNS1_3gpuE4ELNS1_3repE0EEENS3_ILS4_10ELS5_1201ELS6_5ELS7_0EEENS1_28merge_sort_block_sort_configILj256ELj4ELNS0_20block_sort_algorithmE0EEENS0_14default_configENS1_37merge_sort_block_sort_config_selectorImNS0_10empty_typeEEENS1_38merge_sort_block_merge_config_selectorImSF_EEEEvv,@function
_ZN7rocprim17ROCPRIM_400000_NS6detail44device_merge_sort_compile_time_verifier_archINS1_11comp_targetILNS1_3genE10ELNS1_11target_archE1200ELNS1_3gpuE4ELNS1_3repE0EEENS3_ILS4_10ELS5_1201ELS6_5ELS7_0EEENS1_28merge_sort_block_sort_configILj256ELj4ELNS0_20block_sort_algorithmE0EEENS0_14default_configENS1_37merge_sort_block_sort_config_selectorImNS0_10empty_typeEEENS1_38merge_sort_block_merge_config_selectorImSF_EEEEvv: ; @_ZN7rocprim17ROCPRIM_400000_NS6detail44device_merge_sort_compile_time_verifier_archINS1_11comp_targetILNS1_3genE10ELNS1_11target_archE1200ELNS1_3gpuE4ELNS1_3repE0EEENS3_ILS4_10ELS5_1201ELS6_5ELS7_0EEENS1_28merge_sort_block_sort_configILj256ELj4ELNS0_20block_sort_algorithmE0EEENS0_14default_configENS1_37merge_sort_block_sort_config_selectorImNS0_10empty_typeEEENS1_38merge_sort_block_merge_config_selectorImSF_EEEEvv
; %bb.0:
	s_endpgm
	.section	.rodata,"a",@progbits
	.p2align	6, 0x0
	.amdhsa_kernel _ZN7rocprim17ROCPRIM_400000_NS6detail44device_merge_sort_compile_time_verifier_archINS1_11comp_targetILNS1_3genE10ELNS1_11target_archE1200ELNS1_3gpuE4ELNS1_3repE0EEENS3_ILS4_10ELS5_1201ELS6_5ELS7_0EEENS1_28merge_sort_block_sort_configILj256ELj4ELNS0_20block_sort_algorithmE0EEENS0_14default_configENS1_37merge_sort_block_sort_config_selectorImNS0_10empty_typeEEENS1_38merge_sort_block_merge_config_selectorImSF_EEEEvv
		.amdhsa_group_segment_fixed_size 0
		.amdhsa_private_segment_fixed_size 0
		.amdhsa_kernarg_size 0
		.amdhsa_user_sgpr_count 0
		.amdhsa_user_sgpr_dispatch_ptr 0
		.amdhsa_user_sgpr_queue_ptr 0
		.amdhsa_user_sgpr_kernarg_segment_ptr 0
		.amdhsa_user_sgpr_dispatch_id 0
		.amdhsa_user_sgpr_kernarg_preload_length 0
		.amdhsa_user_sgpr_kernarg_preload_offset 0
		.amdhsa_user_sgpr_private_segment_size 0
		.amdhsa_wavefront_size32 1
		.amdhsa_uses_dynamic_stack 0
		.amdhsa_enable_private_segment 0
		.amdhsa_system_sgpr_workgroup_id_x 1
		.amdhsa_system_sgpr_workgroup_id_y 0
		.amdhsa_system_sgpr_workgroup_id_z 0
		.amdhsa_system_sgpr_workgroup_info 0
		.amdhsa_system_vgpr_workitem_id 0
		.amdhsa_next_free_vgpr 1
		.amdhsa_next_free_sgpr 1
		.amdhsa_named_barrier_count 0
		.amdhsa_reserve_vcc 0
		.amdhsa_float_round_mode_32 0
		.amdhsa_float_round_mode_16_64 0
		.amdhsa_float_denorm_mode_32 3
		.amdhsa_float_denorm_mode_16_64 3
		.amdhsa_fp16_overflow 0
		.amdhsa_memory_ordered 1
		.amdhsa_forward_progress 1
		.amdhsa_inst_pref_size 1
		.amdhsa_round_robin_scheduling 0
		.amdhsa_exception_fp_ieee_invalid_op 0
		.amdhsa_exception_fp_denorm_src 0
		.amdhsa_exception_fp_ieee_div_zero 0
		.amdhsa_exception_fp_ieee_overflow 0
		.amdhsa_exception_fp_ieee_underflow 0
		.amdhsa_exception_fp_ieee_inexact 0
		.amdhsa_exception_int_div_zero 0
	.end_amdhsa_kernel
	.section	.text._ZN7rocprim17ROCPRIM_400000_NS6detail44device_merge_sort_compile_time_verifier_archINS1_11comp_targetILNS1_3genE10ELNS1_11target_archE1200ELNS1_3gpuE4ELNS1_3repE0EEENS3_ILS4_10ELS5_1201ELS6_5ELS7_0EEENS1_28merge_sort_block_sort_configILj256ELj4ELNS0_20block_sort_algorithmE0EEENS0_14default_configENS1_37merge_sort_block_sort_config_selectorImNS0_10empty_typeEEENS1_38merge_sort_block_merge_config_selectorImSF_EEEEvv,"axG",@progbits,_ZN7rocprim17ROCPRIM_400000_NS6detail44device_merge_sort_compile_time_verifier_archINS1_11comp_targetILNS1_3genE10ELNS1_11target_archE1200ELNS1_3gpuE4ELNS1_3repE0EEENS3_ILS4_10ELS5_1201ELS6_5ELS7_0EEENS1_28merge_sort_block_sort_configILj256ELj4ELNS0_20block_sort_algorithmE0EEENS0_14default_configENS1_37merge_sort_block_sort_config_selectorImNS0_10empty_typeEEENS1_38merge_sort_block_merge_config_selectorImSF_EEEEvv,comdat
.Lfunc_end2795:
	.size	_ZN7rocprim17ROCPRIM_400000_NS6detail44device_merge_sort_compile_time_verifier_archINS1_11comp_targetILNS1_3genE10ELNS1_11target_archE1200ELNS1_3gpuE4ELNS1_3repE0EEENS3_ILS4_10ELS5_1201ELS6_5ELS7_0EEENS1_28merge_sort_block_sort_configILj256ELj4ELNS0_20block_sort_algorithmE0EEENS0_14default_configENS1_37merge_sort_block_sort_config_selectorImNS0_10empty_typeEEENS1_38merge_sort_block_merge_config_selectorImSF_EEEEvv, .Lfunc_end2795-_ZN7rocprim17ROCPRIM_400000_NS6detail44device_merge_sort_compile_time_verifier_archINS1_11comp_targetILNS1_3genE10ELNS1_11target_archE1200ELNS1_3gpuE4ELNS1_3repE0EEENS3_ILS4_10ELS5_1201ELS6_5ELS7_0EEENS1_28merge_sort_block_sort_configILj256ELj4ELNS0_20block_sort_algorithmE0EEENS0_14default_configENS1_37merge_sort_block_sort_config_selectorImNS0_10empty_typeEEENS1_38merge_sort_block_merge_config_selectorImSF_EEEEvv
                                        ; -- End function
	.set _ZN7rocprim17ROCPRIM_400000_NS6detail44device_merge_sort_compile_time_verifier_archINS1_11comp_targetILNS1_3genE10ELNS1_11target_archE1200ELNS1_3gpuE4ELNS1_3repE0EEENS3_ILS4_10ELS5_1201ELS6_5ELS7_0EEENS1_28merge_sort_block_sort_configILj256ELj4ELNS0_20block_sort_algorithmE0EEENS0_14default_configENS1_37merge_sort_block_sort_config_selectorImNS0_10empty_typeEEENS1_38merge_sort_block_merge_config_selectorImSF_EEEEvv.num_vgpr, 0
	.set _ZN7rocprim17ROCPRIM_400000_NS6detail44device_merge_sort_compile_time_verifier_archINS1_11comp_targetILNS1_3genE10ELNS1_11target_archE1200ELNS1_3gpuE4ELNS1_3repE0EEENS3_ILS4_10ELS5_1201ELS6_5ELS7_0EEENS1_28merge_sort_block_sort_configILj256ELj4ELNS0_20block_sort_algorithmE0EEENS0_14default_configENS1_37merge_sort_block_sort_config_selectorImNS0_10empty_typeEEENS1_38merge_sort_block_merge_config_selectorImSF_EEEEvv.num_agpr, 0
	.set _ZN7rocprim17ROCPRIM_400000_NS6detail44device_merge_sort_compile_time_verifier_archINS1_11comp_targetILNS1_3genE10ELNS1_11target_archE1200ELNS1_3gpuE4ELNS1_3repE0EEENS3_ILS4_10ELS5_1201ELS6_5ELS7_0EEENS1_28merge_sort_block_sort_configILj256ELj4ELNS0_20block_sort_algorithmE0EEENS0_14default_configENS1_37merge_sort_block_sort_config_selectorImNS0_10empty_typeEEENS1_38merge_sort_block_merge_config_selectorImSF_EEEEvv.numbered_sgpr, 0
	.set _ZN7rocprim17ROCPRIM_400000_NS6detail44device_merge_sort_compile_time_verifier_archINS1_11comp_targetILNS1_3genE10ELNS1_11target_archE1200ELNS1_3gpuE4ELNS1_3repE0EEENS3_ILS4_10ELS5_1201ELS6_5ELS7_0EEENS1_28merge_sort_block_sort_configILj256ELj4ELNS0_20block_sort_algorithmE0EEENS0_14default_configENS1_37merge_sort_block_sort_config_selectorImNS0_10empty_typeEEENS1_38merge_sort_block_merge_config_selectorImSF_EEEEvv.num_named_barrier, 0
	.set _ZN7rocprim17ROCPRIM_400000_NS6detail44device_merge_sort_compile_time_verifier_archINS1_11comp_targetILNS1_3genE10ELNS1_11target_archE1200ELNS1_3gpuE4ELNS1_3repE0EEENS3_ILS4_10ELS5_1201ELS6_5ELS7_0EEENS1_28merge_sort_block_sort_configILj256ELj4ELNS0_20block_sort_algorithmE0EEENS0_14default_configENS1_37merge_sort_block_sort_config_selectorImNS0_10empty_typeEEENS1_38merge_sort_block_merge_config_selectorImSF_EEEEvv.private_seg_size, 0
	.set _ZN7rocprim17ROCPRIM_400000_NS6detail44device_merge_sort_compile_time_verifier_archINS1_11comp_targetILNS1_3genE10ELNS1_11target_archE1200ELNS1_3gpuE4ELNS1_3repE0EEENS3_ILS4_10ELS5_1201ELS6_5ELS7_0EEENS1_28merge_sort_block_sort_configILj256ELj4ELNS0_20block_sort_algorithmE0EEENS0_14default_configENS1_37merge_sort_block_sort_config_selectorImNS0_10empty_typeEEENS1_38merge_sort_block_merge_config_selectorImSF_EEEEvv.uses_vcc, 0
	.set _ZN7rocprim17ROCPRIM_400000_NS6detail44device_merge_sort_compile_time_verifier_archINS1_11comp_targetILNS1_3genE10ELNS1_11target_archE1200ELNS1_3gpuE4ELNS1_3repE0EEENS3_ILS4_10ELS5_1201ELS6_5ELS7_0EEENS1_28merge_sort_block_sort_configILj256ELj4ELNS0_20block_sort_algorithmE0EEENS0_14default_configENS1_37merge_sort_block_sort_config_selectorImNS0_10empty_typeEEENS1_38merge_sort_block_merge_config_selectorImSF_EEEEvv.uses_flat_scratch, 0
	.set _ZN7rocprim17ROCPRIM_400000_NS6detail44device_merge_sort_compile_time_verifier_archINS1_11comp_targetILNS1_3genE10ELNS1_11target_archE1200ELNS1_3gpuE4ELNS1_3repE0EEENS3_ILS4_10ELS5_1201ELS6_5ELS7_0EEENS1_28merge_sort_block_sort_configILj256ELj4ELNS0_20block_sort_algorithmE0EEENS0_14default_configENS1_37merge_sort_block_sort_config_selectorImNS0_10empty_typeEEENS1_38merge_sort_block_merge_config_selectorImSF_EEEEvv.has_dyn_sized_stack, 0
	.set _ZN7rocprim17ROCPRIM_400000_NS6detail44device_merge_sort_compile_time_verifier_archINS1_11comp_targetILNS1_3genE10ELNS1_11target_archE1200ELNS1_3gpuE4ELNS1_3repE0EEENS3_ILS4_10ELS5_1201ELS6_5ELS7_0EEENS1_28merge_sort_block_sort_configILj256ELj4ELNS0_20block_sort_algorithmE0EEENS0_14default_configENS1_37merge_sort_block_sort_config_selectorImNS0_10empty_typeEEENS1_38merge_sort_block_merge_config_selectorImSF_EEEEvv.has_recursion, 0
	.set _ZN7rocprim17ROCPRIM_400000_NS6detail44device_merge_sort_compile_time_verifier_archINS1_11comp_targetILNS1_3genE10ELNS1_11target_archE1200ELNS1_3gpuE4ELNS1_3repE0EEENS3_ILS4_10ELS5_1201ELS6_5ELS7_0EEENS1_28merge_sort_block_sort_configILj256ELj4ELNS0_20block_sort_algorithmE0EEENS0_14default_configENS1_37merge_sort_block_sort_config_selectorImNS0_10empty_typeEEENS1_38merge_sort_block_merge_config_selectorImSF_EEEEvv.has_indirect_call, 0
	.section	.AMDGPU.csdata,"",@progbits
; Kernel info:
; codeLenInByte = 4
; TotalNumSgprs: 0
; NumVgprs: 0
; ScratchSize: 0
; MemoryBound: 0
; FloatMode: 240
; IeeeMode: 1
; LDSByteSize: 0 bytes/workgroup (compile time only)
; SGPRBlocks: 0
; VGPRBlocks: 0
; NumSGPRsForWavesPerEU: 1
; NumVGPRsForWavesPerEU: 1
; NamedBarCnt: 0
; Occupancy: 16
; WaveLimiterHint : 0
; COMPUTE_PGM_RSRC2:SCRATCH_EN: 0
; COMPUTE_PGM_RSRC2:USER_SGPR: 0
; COMPUTE_PGM_RSRC2:TRAP_HANDLER: 0
; COMPUTE_PGM_RSRC2:TGID_X_EN: 1
; COMPUTE_PGM_RSRC2:TGID_Y_EN: 0
; COMPUTE_PGM_RSRC2:TGID_Z_EN: 0
; COMPUTE_PGM_RSRC2:TIDIG_COMP_CNT: 0
	.section	.text._ZN7rocprim17ROCPRIM_400000_NS6detail44device_merge_sort_compile_time_verifier_archINS1_11comp_targetILNS1_3genE9ELNS1_11target_archE1100ELNS1_3gpuE3ELNS1_3repE0EEES8_NS1_28merge_sort_block_sort_configILj256ELj4ELNS0_20block_sort_algorithmE0EEENS0_14default_configENS1_37merge_sort_block_sort_config_selectorImNS0_10empty_typeEEENS1_38merge_sort_block_merge_config_selectorImSE_EEEEvv,"axG",@progbits,_ZN7rocprim17ROCPRIM_400000_NS6detail44device_merge_sort_compile_time_verifier_archINS1_11comp_targetILNS1_3genE9ELNS1_11target_archE1100ELNS1_3gpuE3ELNS1_3repE0EEES8_NS1_28merge_sort_block_sort_configILj256ELj4ELNS0_20block_sort_algorithmE0EEENS0_14default_configENS1_37merge_sort_block_sort_config_selectorImNS0_10empty_typeEEENS1_38merge_sort_block_merge_config_selectorImSE_EEEEvv,comdat
	.protected	_ZN7rocprim17ROCPRIM_400000_NS6detail44device_merge_sort_compile_time_verifier_archINS1_11comp_targetILNS1_3genE9ELNS1_11target_archE1100ELNS1_3gpuE3ELNS1_3repE0EEES8_NS1_28merge_sort_block_sort_configILj256ELj4ELNS0_20block_sort_algorithmE0EEENS0_14default_configENS1_37merge_sort_block_sort_config_selectorImNS0_10empty_typeEEENS1_38merge_sort_block_merge_config_selectorImSE_EEEEvv ; -- Begin function _ZN7rocprim17ROCPRIM_400000_NS6detail44device_merge_sort_compile_time_verifier_archINS1_11comp_targetILNS1_3genE9ELNS1_11target_archE1100ELNS1_3gpuE3ELNS1_3repE0EEES8_NS1_28merge_sort_block_sort_configILj256ELj4ELNS0_20block_sort_algorithmE0EEENS0_14default_configENS1_37merge_sort_block_sort_config_selectorImNS0_10empty_typeEEENS1_38merge_sort_block_merge_config_selectorImSE_EEEEvv
	.globl	_ZN7rocprim17ROCPRIM_400000_NS6detail44device_merge_sort_compile_time_verifier_archINS1_11comp_targetILNS1_3genE9ELNS1_11target_archE1100ELNS1_3gpuE3ELNS1_3repE0EEES8_NS1_28merge_sort_block_sort_configILj256ELj4ELNS0_20block_sort_algorithmE0EEENS0_14default_configENS1_37merge_sort_block_sort_config_selectorImNS0_10empty_typeEEENS1_38merge_sort_block_merge_config_selectorImSE_EEEEvv
	.p2align	8
	.type	_ZN7rocprim17ROCPRIM_400000_NS6detail44device_merge_sort_compile_time_verifier_archINS1_11comp_targetILNS1_3genE9ELNS1_11target_archE1100ELNS1_3gpuE3ELNS1_3repE0EEES8_NS1_28merge_sort_block_sort_configILj256ELj4ELNS0_20block_sort_algorithmE0EEENS0_14default_configENS1_37merge_sort_block_sort_config_selectorImNS0_10empty_typeEEENS1_38merge_sort_block_merge_config_selectorImSE_EEEEvv,@function
_ZN7rocprim17ROCPRIM_400000_NS6detail44device_merge_sort_compile_time_verifier_archINS1_11comp_targetILNS1_3genE9ELNS1_11target_archE1100ELNS1_3gpuE3ELNS1_3repE0EEES8_NS1_28merge_sort_block_sort_configILj256ELj4ELNS0_20block_sort_algorithmE0EEENS0_14default_configENS1_37merge_sort_block_sort_config_selectorImNS0_10empty_typeEEENS1_38merge_sort_block_merge_config_selectorImSE_EEEEvv: ; @_ZN7rocprim17ROCPRIM_400000_NS6detail44device_merge_sort_compile_time_verifier_archINS1_11comp_targetILNS1_3genE9ELNS1_11target_archE1100ELNS1_3gpuE3ELNS1_3repE0EEES8_NS1_28merge_sort_block_sort_configILj256ELj4ELNS0_20block_sort_algorithmE0EEENS0_14default_configENS1_37merge_sort_block_sort_config_selectorImNS0_10empty_typeEEENS1_38merge_sort_block_merge_config_selectorImSE_EEEEvv
; %bb.0:
	s_endpgm
	.section	.rodata,"a",@progbits
	.p2align	6, 0x0
	.amdhsa_kernel _ZN7rocprim17ROCPRIM_400000_NS6detail44device_merge_sort_compile_time_verifier_archINS1_11comp_targetILNS1_3genE9ELNS1_11target_archE1100ELNS1_3gpuE3ELNS1_3repE0EEES8_NS1_28merge_sort_block_sort_configILj256ELj4ELNS0_20block_sort_algorithmE0EEENS0_14default_configENS1_37merge_sort_block_sort_config_selectorImNS0_10empty_typeEEENS1_38merge_sort_block_merge_config_selectorImSE_EEEEvv
		.amdhsa_group_segment_fixed_size 0
		.amdhsa_private_segment_fixed_size 0
		.amdhsa_kernarg_size 0
		.amdhsa_user_sgpr_count 0
		.amdhsa_user_sgpr_dispatch_ptr 0
		.amdhsa_user_sgpr_queue_ptr 0
		.amdhsa_user_sgpr_kernarg_segment_ptr 0
		.amdhsa_user_sgpr_dispatch_id 0
		.amdhsa_user_sgpr_kernarg_preload_length 0
		.amdhsa_user_sgpr_kernarg_preload_offset 0
		.amdhsa_user_sgpr_private_segment_size 0
		.amdhsa_wavefront_size32 1
		.amdhsa_uses_dynamic_stack 0
		.amdhsa_enable_private_segment 0
		.amdhsa_system_sgpr_workgroup_id_x 1
		.amdhsa_system_sgpr_workgroup_id_y 0
		.amdhsa_system_sgpr_workgroup_id_z 0
		.amdhsa_system_sgpr_workgroup_info 0
		.amdhsa_system_vgpr_workitem_id 0
		.amdhsa_next_free_vgpr 1
		.amdhsa_next_free_sgpr 1
		.amdhsa_named_barrier_count 0
		.amdhsa_reserve_vcc 0
		.amdhsa_float_round_mode_32 0
		.amdhsa_float_round_mode_16_64 0
		.amdhsa_float_denorm_mode_32 3
		.amdhsa_float_denorm_mode_16_64 3
		.amdhsa_fp16_overflow 0
		.amdhsa_memory_ordered 1
		.amdhsa_forward_progress 1
		.amdhsa_inst_pref_size 1
		.amdhsa_round_robin_scheduling 0
		.amdhsa_exception_fp_ieee_invalid_op 0
		.amdhsa_exception_fp_denorm_src 0
		.amdhsa_exception_fp_ieee_div_zero 0
		.amdhsa_exception_fp_ieee_overflow 0
		.amdhsa_exception_fp_ieee_underflow 0
		.amdhsa_exception_fp_ieee_inexact 0
		.amdhsa_exception_int_div_zero 0
	.end_amdhsa_kernel
	.section	.text._ZN7rocprim17ROCPRIM_400000_NS6detail44device_merge_sort_compile_time_verifier_archINS1_11comp_targetILNS1_3genE9ELNS1_11target_archE1100ELNS1_3gpuE3ELNS1_3repE0EEES8_NS1_28merge_sort_block_sort_configILj256ELj4ELNS0_20block_sort_algorithmE0EEENS0_14default_configENS1_37merge_sort_block_sort_config_selectorImNS0_10empty_typeEEENS1_38merge_sort_block_merge_config_selectorImSE_EEEEvv,"axG",@progbits,_ZN7rocprim17ROCPRIM_400000_NS6detail44device_merge_sort_compile_time_verifier_archINS1_11comp_targetILNS1_3genE9ELNS1_11target_archE1100ELNS1_3gpuE3ELNS1_3repE0EEES8_NS1_28merge_sort_block_sort_configILj256ELj4ELNS0_20block_sort_algorithmE0EEENS0_14default_configENS1_37merge_sort_block_sort_config_selectorImNS0_10empty_typeEEENS1_38merge_sort_block_merge_config_selectorImSE_EEEEvv,comdat
.Lfunc_end2796:
	.size	_ZN7rocprim17ROCPRIM_400000_NS6detail44device_merge_sort_compile_time_verifier_archINS1_11comp_targetILNS1_3genE9ELNS1_11target_archE1100ELNS1_3gpuE3ELNS1_3repE0EEES8_NS1_28merge_sort_block_sort_configILj256ELj4ELNS0_20block_sort_algorithmE0EEENS0_14default_configENS1_37merge_sort_block_sort_config_selectorImNS0_10empty_typeEEENS1_38merge_sort_block_merge_config_selectorImSE_EEEEvv, .Lfunc_end2796-_ZN7rocprim17ROCPRIM_400000_NS6detail44device_merge_sort_compile_time_verifier_archINS1_11comp_targetILNS1_3genE9ELNS1_11target_archE1100ELNS1_3gpuE3ELNS1_3repE0EEES8_NS1_28merge_sort_block_sort_configILj256ELj4ELNS0_20block_sort_algorithmE0EEENS0_14default_configENS1_37merge_sort_block_sort_config_selectorImNS0_10empty_typeEEENS1_38merge_sort_block_merge_config_selectorImSE_EEEEvv
                                        ; -- End function
	.set _ZN7rocprim17ROCPRIM_400000_NS6detail44device_merge_sort_compile_time_verifier_archINS1_11comp_targetILNS1_3genE9ELNS1_11target_archE1100ELNS1_3gpuE3ELNS1_3repE0EEES8_NS1_28merge_sort_block_sort_configILj256ELj4ELNS0_20block_sort_algorithmE0EEENS0_14default_configENS1_37merge_sort_block_sort_config_selectorImNS0_10empty_typeEEENS1_38merge_sort_block_merge_config_selectorImSE_EEEEvv.num_vgpr, 0
	.set _ZN7rocprim17ROCPRIM_400000_NS6detail44device_merge_sort_compile_time_verifier_archINS1_11comp_targetILNS1_3genE9ELNS1_11target_archE1100ELNS1_3gpuE3ELNS1_3repE0EEES8_NS1_28merge_sort_block_sort_configILj256ELj4ELNS0_20block_sort_algorithmE0EEENS0_14default_configENS1_37merge_sort_block_sort_config_selectorImNS0_10empty_typeEEENS1_38merge_sort_block_merge_config_selectorImSE_EEEEvv.num_agpr, 0
	.set _ZN7rocprim17ROCPRIM_400000_NS6detail44device_merge_sort_compile_time_verifier_archINS1_11comp_targetILNS1_3genE9ELNS1_11target_archE1100ELNS1_3gpuE3ELNS1_3repE0EEES8_NS1_28merge_sort_block_sort_configILj256ELj4ELNS0_20block_sort_algorithmE0EEENS0_14default_configENS1_37merge_sort_block_sort_config_selectorImNS0_10empty_typeEEENS1_38merge_sort_block_merge_config_selectorImSE_EEEEvv.numbered_sgpr, 0
	.set _ZN7rocprim17ROCPRIM_400000_NS6detail44device_merge_sort_compile_time_verifier_archINS1_11comp_targetILNS1_3genE9ELNS1_11target_archE1100ELNS1_3gpuE3ELNS1_3repE0EEES8_NS1_28merge_sort_block_sort_configILj256ELj4ELNS0_20block_sort_algorithmE0EEENS0_14default_configENS1_37merge_sort_block_sort_config_selectorImNS0_10empty_typeEEENS1_38merge_sort_block_merge_config_selectorImSE_EEEEvv.num_named_barrier, 0
	.set _ZN7rocprim17ROCPRIM_400000_NS6detail44device_merge_sort_compile_time_verifier_archINS1_11comp_targetILNS1_3genE9ELNS1_11target_archE1100ELNS1_3gpuE3ELNS1_3repE0EEES8_NS1_28merge_sort_block_sort_configILj256ELj4ELNS0_20block_sort_algorithmE0EEENS0_14default_configENS1_37merge_sort_block_sort_config_selectorImNS0_10empty_typeEEENS1_38merge_sort_block_merge_config_selectorImSE_EEEEvv.private_seg_size, 0
	.set _ZN7rocprim17ROCPRIM_400000_NS6detail44device_merge_sort_compile_time_verifier_archINS1_11comp_targetILNS1_3genE9ELNS1_11target_archE1100ELNS1_3gpuE3ELNS1_3repE0EEES8_NS1_28merge_sort_block_sort_configILj256ELj4ELNS0_20block_sort_algorithmE0EEENS0_14default_configENS1_37merge_sort_block_sort_config_selectorImNS0_10empty_typeEEENS1_38merge_sort_block_merge_config_selectorImSE_EEEEvv.uses_vcc, 0
	.set _ZN7rocprim17ROCPRIM_400000_NS6detail44device_merge_sort_compile_time_verifier_archINS1_11comp_targetILNS1_3genE9ELNS1_11target_archE1100ELNS1_3gpuE3ELNS1_3repE0EEES8_NS1_28merge_sort_block_sort_configILj256ELj4ELNS0_20block_sort_algorithmE0EEENS0_14default_configENS1_37merge_sort_block_sort_config_selectorImNS0_10empty_typeEEENS1_38merge_sort_block_merge_config_selectorImSE_EEEEvv.uses_flat_scratch, 0
	.set _ZN7rocprim17ROCPRIM_400000_NS6detail44device_merge_sort_compile_time_verifier_archINS1_11comp_targetILNS1_3genE9ELNS1_11target_archE1100ELNS1_3gpuE3ELNS1_3repE0EEES8_NS1_28merge_sort_block_sort_configILj256ELj4ELNS0_20block_sort_algorithmE0EEENS0_14default_configENS1_37merge_sort_block_sort_config_selectorImNS0_10empty_typeEEENS1_38merge_sort_block_merge_config_selectorImSE_EEEEvv.has_dyn_sized_stack, 0
	.set _ZN7rocprim17ROCPRIM_400000_NS6detail44device_merge_sort_compile_time_verifier_archINS1_11comp_targetILNS1_3genE9ELNS1_11target_archE1100ELNS1_3gpuE3ELNS1_3repE0EEES8_NS1_28merge_sort_block_sort_configILj256ELj4ELNS0_20block_sort_algorithmE0EEENS0_14default_configENS1_37merge_sort_block_sort_config_selectorImNS0_10empty_typeEEENS1_38merge_sort_block_merge_config_selectorImSE_EEEEvv.has_recursion, 0
	.set _ZN7rocprim17ROCPRIM_400000_NS6detail44device_merge_sort_compile_time_verifier_archINS1_11comp_targetILNS1_3genE9ELNS1_11target_archE1100ELNS1_3gpuE3ELNS1_3repE0EEES8_NS1_28merge_sort_block_sort_configILj256ELj4ELNS0_20block_sort_algorithmE0EEENS0_14default_configENS1_37merge_sort_block_sort_config_selectorImNS0_10empty_typeEEENS1_38merge_sort_block_merge_config_selectorImSE_EEEEvv.has_indirect_call, 0
	.section	.AMDGPU.csdata,"",@progbits
; Kernel info:
; codeLenInByte = 4
; TotalNumSgprs: 0
; NumVgprs: 0
; ScratchSize: 0
; MemoryBound: 0
; FloatMode: 240
; IeeeMode: 1
; LDSByteSize: 0 bytes/workgroup (compile time only)
; SGPRBlocks: 0
; VGPRBlocks: 0
; NumSGPRsForWavesPerEU: 1
; NumVGPRsForWavesPerEU: 1
; NamedBarCnt: 0
; Occupancy: 16
; WaveLimiterHint : 0
; COMPUTE_PGM_RSRC2:SCRATCH_EN: 0
; COMPUTE_PGM_RSRC2:USER_SGPR: 0
; COMPUTE_PGM_RSRC2:TRAP_HANDLER: 0
; COMPUTE_PGM_RSRC2:TGID_X_EN: 1
; COMPUTE_PGM_RSRC2:TGID_Y_EN: 0
; COMPUTE_PGM_RSRC2:TGID_Z_EN: 0
; COMPUTE_PGM_RSRC2:TIDIG_COMP_CNT: 0
	.section	.text._ZN7rocprim17ROCPRIM_400000_NS6detail44device_merge_sort_compile_time_verifier_archINS1_11comp_targetILNS1_3genE8ELNS1_11target_archE1030ELNS1_3gpuE2ELNS1_3repE0EEES8_NS1_28merge_sort_block_sort_configILj256ELj4ELNS0_20block_sort_algorithmE0EEENS0_14default_configENS1_37merge_sort_block_sort_config_selectorImNS0_10empty_typeEEENS1_38merge_sort_block_merge_config_selectorImSE_EEEEvv,"axG",@progbits,_ZN7rocprim17ROCPRIM_400000_NS6detail44device_merge_sort_compile_time_verifier_archINS1_11comp_targetILNS1_3genE8ELNS1_11target_archE1030ELNS1_3gpuE2ELNS1_3repE0EEES8_NS1_28merge_sort_block_sort_configILj256ELj4ELNS0_20block_sort_algorithmE0EEENS0_14default_configENS1_37merge_sort_block_sort_config_selectorImNS0_10empty_typeEEENS1_38merge_sort_block_merge_config_selectorImSE_EEEEvv,comdat
	.protected	_ZN7rocprim17ROCPRIM_400000_NS6detail44device_merge_sort_compile_time_verifier_archINS1_11comp_targetILNS1_3genE8ELNS1_11target_archE1030ELNS1_3gpuE2ELNS1_3repE0EEES8_NS1_28merge_sort_block_sort_configILj256ELj4ELNS0_20block_sort_algorithmE0EEENS0_14default_configENS1_37merge_sort_block_sort_config_selectorImNS0_10empty_typeEEENS1_38merge_sort_block_merge_config_selectorImSE_EEEEvv ; -- Begin function _ZN7rocprim17ROCPRIM_400000_NS6detail44device_merge_sort_compile_time_verifier_archINS1_11comp_targetILNS1_3genE8ELNS1_11target_archE1030ELNS1_3gpuE2ELNS1_3repE0EEES8_NS1_28merge_sort_block_sort_configILj256ELj4ELNS0_20block_sort_algorithmE0EEENS0_14default_configENS1_37merge_sort_block_sort_config_selectorImNS0_10empty_typeEEENS1_38merge_sort_block_merge_config_selectorImSE_EEEEvv
	.globl	_ZN7rocprim17ROCPRIM_400000_NS6detail44device_merge_sort_compile_time_verifier_archINS1_11comp_targetILNS1_3genE8ELNS1_11target_archE1030ELNS1_3gpuE2ELNS1_3repE0EEES8_NS1_28merge_sort_block_sort_configILj256ELj4ELNS0_20block_sort_algorithmE0EEENS0_14default_configENS1_37merge_sort_block_sort_config_selectorImNS0_10empty_typeEEENS1_38merge_sort_block_merge_config_selectorImSE_EEEEvv
	.p2align	8
	.type	_ZN7rocprim17ROCPRIM_400000_NS6detail44device_merge_sort_compile_time_verifier_archINS1_11comp_targetILNS1_3genE8ELNS1_11target_archE1030ELNS1_3gpuE2ELNS1_3repE0EEES8_NS1_28merge_sort_block_sort_configILj256ELj4ELNS0_20block_sort_algorithmE0EEENS0_14default_configENS1_37merge_sort_block_sort_config_selectorImNS0_10empty_typeEEENS1_38merge_sort_block_merge_config_selectorImSE_EEEEvv,@function
_ZN7rocprim17ROCPRIM_400000_NS6detail44device_merge_sort_compile_time_verifier_archINS1_11comp_targetILNS1_3genE8ELNS1_11target_archE1030ELNS1_3gpuE2ELNS1_3repE0EEES8_NS1_28merge_sort_block_sort_configILj256ELj4ELNS0_20block_sort_algorithmE0EEENS0_14default_configENS1_37merge_sort_block_sort_config_selectorImNS0_10empty_typeEEENS1_38merge_sort_block_merge_config_selectorImSE_EEEEvv: ; @_ZN7rocprim17ROCPRIM_400000_NS6detail44device_merge_sort_compile_time_verifier_archINS1_11comp_targetILNS1_3genE8ELNS1_11target_archE1030ELNS1_3gpuE2ELNS1_3repE0EEES8_NS1_28merge_sort_block_sort_configILj256ELj4ELNS0_20block_sort_algorithmE0EEENS0_14default_configENS1_37merge_sort_block_sort_config_selectorImNS0_10empty_typeEEENS1_38merge_sort_block_merge_config_selectorImSE_EEEEvv
; %bb.0:
	s_endpgm
	.section	.rodata,"a",@progbits
	.p2align	6, 0x0
	.amdhsa_kernel _ZN7rocprim17ROCPRIM_400000_NS6detail44device_merge_sort_compile_time_verifier_archINS1_11comp_targetILNS1_3genE8ELNS1_11target_archE1030ELNS1_3gpuE2ELNS1_3repE0EEES8_NS1_28merge_sort_block_sort_configILj256ELj4ELNS0_20block_sort_algorithmE0EEENS0_14default_configENS1_37merge_sort_block_sort_config_selectorImNS0_10empty_typeEEENS1_38merge_sort_block_merge_config_selectorImSE_EEEEvv
		.amdhsa_group_segment_fixed_size 0
		.amdhsa_private_segment_fixed_size 0
		.amdhsa_kernarg_size 0
		.amdhsa_user_sgpr_count 0
		.amdhsa_user_sgpr_dispatch_ptr 0
		.amdhsa_user_sgpr_queue_ptr 0
		.amdhsa_user_sgpr_kernarg_segment_ptr 0
		.amdhsa_user_sgpr_dispatch_id 0
		.amdhsa_user_sgpr_kernarg_preload_length 0
		.amdhsa_user_sgpr_kernarg_preload_offset 0
		.amdhsa_user_sgpr_private_segment_size 0
		.amdhsa_wavefront_size32 1
		.amdhsa_uses_dynamic_stack 0
		.amdhsa_enable_private_segment 0
		.amdhsa_system_sgpr_workgroup_id_x 1
		.amdhsa_system_sgpr_workgroup_id_y 0
		.amdhsa_system_sgpr_workgroup_id_z 0
		.amdhsa_system_sgpr_workgroup_info 0
		.amdhsa_system_vgpr_workitem_id 0
		.amdhsa_next_free_vgpr 1
		.amdhsa_next_free_sgpr 1
		.amdhsa_named_barrier_count 0
		.amdhsa_reserve_vcc 0
		.amdhsa_float_round_mode_32 0
		.amdhsa_float_round_mode_16_64 0
		.amdhsa_float_denorm_mode_32 3
		.amdhsa_float_denorm_mode_16_64 3
		.amdhsa_fp16_overflow 0
		.amdhsa_memory_ordered 1
		.amdhsa_forward_progress 1
		.amdhsa_inst_pref_size 1
		.amdhsa_round_robin_scheduling 0
		.amdhsa_exception_fp_ieee_invalid_op 0
		.amdhsa_exception_fp_denorm_src 0
		.amdhsa_exception_fp_ieee_div_zero 0
		.amdhsa_exception_fp_ieee_overflow 0
		.amdhsa_exception_fp_ieee_underflow 0
		.amdhsa_exception_fp_ieee_inexact 0
		.amdhsa_exception_int_div_zero 0
	.end_amdhsa_kernel
	.section	.text._ZN7rocprim17ROCPRIM_400000_NS6detail44device_merge_sort_compile_time_verifier_archINS1_11comp_targetILNS1_3genE8ELNS1_11target_archE1030ELNS1_3gpuE2ELNS1_3repE0EEES8_NS1_28merge_sort_block_sort_configILj256ELj4ELNS0_20block_sort_algorithmE0EEENS0_14default_configENS1_37merge_sort_block_sort_config_selectorImNS0_10empty_typeEEENS1_38merge_sort_block_merge_config_selectorImSE_EEEEvv,"axG",@progbits,_ZN7rocprim17ROCPRIM_400000_NS6detail44device_merge_sort_compile_time_verifier_archINS1_11comp_targetILNS1_3genE8ELNS1_11target_archE1030ELNS1_3gpuE2ELNS1_3repE0EEES8_NS1_28merge_sort_block_sort_configILj256ELj4ELNS0_20block_sort_algorithmE0EEENS0_14default_configENS1_37merge_sort_block_sort_config_selectorImNS0_10empty_typeEEENS1_38merge_sort_block_merge_config_selectorImSE_EEEEvv,comdat
.Lfunc_end2797:
	.size	_ZN7rocprim17ROCPRIM_400000_NS6detail44device_merge_sort_compile_time_verifier_archINS1_11comp_targetILNS1_3genE8ELNS1_11target_archE1030ELNS1_3gpuE2ELNS1_3repE0EEES8_NS1_28merge_sort_block_sort_configILj256ELj4ELNS0_20block_sort_algorithmE0EEENS0_14default_configENS1_37merge_sort_block_sort_config_selectorImNS0_10empty_typeEEENS1_38merge_sort_block_merge_config_selectorImSE_EEEEvv, .Lfunc_end2797-_ZN7rocprim17ROCPRIM_400000_NS6detail44device_merge_sort_compile_time_verifier_archINS1_11comp_targetILNS1_3genE8ELNS1_11target_archE1030ELNS1_3gpuE2ELNS1_3repE0EEES8_NS1_28merge_sort_block_sort_configILj256ELj4ELNS0_20block_sort_algorithmE0EEENS0_14default_configENS1_37merge_sort_block_sort_config_selectorImNS0_10empty_typeEEENS1_38merge_sort_block_merge_config_selectorImSE_EEEEvv
                                        ; -- End function
	.set _ZN7rocprim17ROCPRIM_400000_NS6detail44device_merge_sort_compile_time_verifier_archINS1_11comp_targetILNS1_3genE8ELNS1_11target_archE1030ELNS1_3gpuE2ELNS1_3repE0EEES8_NS1_28merge_sort_block_sort_configILj256ELj4ELNS0_20block_sort_algorithmE0EEENS0_14default_configENS1_37merge_sort_block_sort_config_selectorImNS0_10empty_typeEEENS1_38merge_sort_block_merge_config_selectorImSE_EEEEvv.num_vgpr, 0
	.set _ZN7rocprim17ROCPRIM_400000_NS6detail44device_merge_sort_compile_time_verifier_archINS1_11comp_targetILNS1_3genE8ELNS1_11target_archE1030ELNS1_3gpuE2ELNS1_3repE0EEES8_NS1_28merge_sort_block_sort_configILj256ELj4ELNS0_20block_sort_algorithmE0EEENS0_14default_configENS1_37merge_sort_block_sort_config_selectorImNS0_10empty_typeEEENS1_38merge_sort_block_merge_config_selectorImSE_EEEEvv.num_agpr, 0
	.set _ZN7rocprim17ROCPRIM_400000_NS6detail44device_merge_sort_compile_time_verifier_archINS1_11comp_targetILNS1_3genE8ELNS1_11target_archE1030ELNS1_3gpuE2ELNS1_3repE0EEES8_NS1_28merge_sort_block_sort_configILj256ELj4ELNS0_20block_sort_algorithmE0EEENS0_14default_configENS1_37merge_sort_block_sort_config_selectorImNS0_10empty_typeEEENS1_38merge_sort_block_merge_config_selectorImSE_EEEEvv.numbered_sgpr, 0
	.set _ZN7rocprim17ROCPRIM_400000_NS6detail44device_merge_sort_compile_time_verifier_archINS1_11comp_targetILNS1_3genE8ELNS1_11target_archE1030ELNS1_3gpuE2ELNS1_3repE0EEES8_NS1_28merge_sort_block_sort_configILj256ELj4ELNS0_20block_sort_algorithmE0EEENS0_14default_configENS1_37merge_sort_block_sort_config_selectorImNS0_10empty_typeEEENS1_38merge_sort_block_merge_config_selectorImSE_EEEEvv.num_named_barrier, 0
	.set _ZN7rocprim17ROCPRIM_400000_NS6detail44device_merge_sort_compile_time_verifier_archINS1_11comp_targetILNS1_3genE8ELNS1_11target_archE1030ELNS1_3gpuE2ELNS1_3repE0EEES8_NS1_28merge_sort_block_sort_configILj256ELj4ELNS0_20block_sort_algorithmE0EEENS0_14default_configENS1_37merge_sort_block_sort_config_selectorImNS0_10empty_typeEEENS1_38merge_sort_block_merge_config_selectorImSE_EEEEvv.private_seg_size, 0
	.set _ZN7rocprim17ROCPRIM_400000_NS6detail44device_merge_sort_compile_time_verifier_archINS1_11comp_targetILNS1_3genE8ELNS1_11target_archE1030ELNS1_3gpuE2ELNS1_3repE0EEES8_NS1_28merge_sort_block_sort_configILj256ELj4ELNS0_20block_sort_algorithmE0EEENS0_14default_configENS1_37merge_sort_block_sort_config_selectorImNS0_10empty_typeEEENS1_38merge_sort_block_merge_config_selectorImSE_EEEEvv.uses_vcc, 0
	.set _ZN7rocprim17ROCPRIM_400000_NS6detail44device_merge_sort_compile_time_verifier_archINS1_11comp_targetILNS1_3genE8ELNS1_11target_archE1030ELNS1_3gpuE2ELNS1_3repE0EEES8_NS1_28merge_sort_block_sort_configILj256ELj4ELNS0_20block_sort_algorithmE0EEENS0_14default_configENS1_37merge_sort_block_sort_config_selectorImNS0_10empty_typeEEENS1_38merge_sort_block_merge_config_selectorImSE_EEEEvv.uses_flat_scratch, 0
	.set _ZN7rocprim17ROCPRIM_400000_NS6detail44device_merge_sort_compile_time_verifier_archINS1_11comp_targetILNS1_3genE8ELNS1_11target_archE1030ELNS1_3gpuE2ELNS1_3repE0EEES8_NS1_28merge_sort_block_sort_configILj256ELj4ELNS0_20block_sort_algorithmE0EEENS0_14default_configENS1_37merge_sort_block_sort_config_selectorImNS0_10empty_typeEEENS1_38merge_sort_block_merge_config_selectorImSE_EEEEvv.has_dyn_sized_stack, 0
	.set _ZN7rocprim17ROCPRIM_400000_NS6detail44device_merge_sort_compile_time_verifier_archINS1_11comp_targetILNS1_3genE8ELNS1_11target_archE1030ELNS1_3gpuE2ELNS1_3repE0EEES8_NS1_28merge_sort_block_sort_configILj256ELj4ELNS0_20block_sort_algorithmE0EEENS0_14default_configENS1_37merge_sort_block_sort_config_selectorImNS0_10empty_typeEEENS1_38merge_sort_block_merge_config_selectorImSE_EEEEvv.has_recursion, 0
	.set _ZN7rocprim17ROCPRIM_400000_NS6detail44device_merge_sort_compile_time_verifier_archINS1_11comp_targetILNS1_3genE8ELNS1_11target_archE1030ELNS1_3gpuE2ELNS1_3repE0EEES8_NS1_28merge_sort_block_sort_configILj256ELj4ELNS0_20block_sort_algorithmE0EEENS0_14default_configENS1_37merge_sort_block_sort_config_selectorImNS0_10empty_typeEEENS1_38merge_sort_block_merge_config_selectorImSE_EEEEvv.has_indirect_call, 0
	.section	.AMDGPU.csdata,"",@progbits
; Kernel info:
; codeLenInByte = 4
; TotalNumSgprs: 0
; NumVgprs: 0
; ScratchSize: 0
; MemoryBound: 0
; FloatMode: 240
; IeeeMode: 1
; LDSByteSize: 0 bytes/workgroup (compile time only)
; SGPRBlocks: 0
; VGPRBlocks: 0
; NumSGPRsForWavesPerEU: 1
; NumVGPRsForWavesPerEU: 1
; NamedBarCnt: 0
; Occupancy: 16
; WaveLimiterHint : 0
; COMPUTE_PGM_RSRC2:SCRATCH_EN: 0
; COMPUTE_PGM_RSRC2:USER_SGPR: 0
; COMPUTE_PGM_RSRC2:TRAP_HANDLER: 0
; COMPUTE_PGM_RSRC2:TGID_X_EN: 1
; COMPUTE_PGM_RSRC2:TGID_Y_EN: 0
; COMPUTE_PGM_RSRC2:TGID_Z_EN: 0
; COMPUTE_PGM_RSRC2:TIDIG_COMP_CNT: 0
	.section	.text._ZN7rocprim17ROCPRIM_400000_NS6detail17trampoline_kernelINS0_14default_configENS1_38merge_sort_block_merge_config_selectorImNS0_10empty_typeEEEZZNS1_27merge_sort_block_merge_implIS3_PmPS5_jNS1_19radix_merge_compareILb1ELb0EmNS0_19identity_decomposerEEEEE10hipError_tT0_T1_T2_jT3_P12ihipStream_tbPNSt15iterator_traitsISE_E10value_typeEPNSK_ISF_E10value_typeEPSG_NS1_7vsmem_tEENKUlT_SE_SF_SG_E_clIS8_S8_S9_S9_EESD_ST_SE_SF_SG_EUlST_E_NS1_11comp_targetILNS1_3genE0ELNS1_11target_archE4294967295ELNS1_3gpuE0ELNS1_3repE0EEENS1_48merge_mergepath_partition_config_static_selectorELNS0_4arch9wavefront6targetE0EEEvSF_,"axG",@progbits,_ZN7rocprim17ROCPRIM_400000_NS6detail17trampoline_kernelINS0_14default_configENS1_38merge_sort_block_merge_config_selectorImNS0_10empty_typeEEEZZNS1_27merge_sort_block_merge_implIS3_PmPS5_jNS1_19radix_merge_compareILb1ELb0EmNS0_19identity_decomposerEEEEE10hipError_tT0_T1_T2_jT3_P12ihipStream_tbPNSt15iterator_traitsISE_E10value_typeEPNSK_ISF_E10value_typeEPSG_NS1_7vsmem_tEENKUlT_SE_SF_SG_E_clIS8_S8_S9_S9_EESD_ST_SE_SF_SG_EUlST_E_NS1_11comp_targetILNS1_3genE0ELNS1_11target_archE4294967295ELNS1_3gpuE0ELNS1_3repE0EEENS1_48merge_mergepath_partition_config_static_selectorELNS0_4arch9wavefront6targetE0EEEvSF_,comdat
	.protected	_ZN7rocprim17ROCPRIM_400000_NS6detail17trampoline_kernelINS0_14default_configENS1_38merge_sort_block_merge_config_selectorImNS0_10empty_typeEEEZZNS1_27merge_sort_block_merge_implIS3_PmPS5_jNS1_19radix_merge_compareILb1ELb0EmNS0_19identity_decomposerEEEEE10hipError_tT0_T1_T2_jT3_P12ihipStream_tbPNSt15iterator_traitsISE_E10value_typeEPNSK_ISF_E10value_typeEPSG_NS1_7vsmem_tEENKUlT_SE_SF_SG_E_clIS8_S8_S9_S9_EESD_ST_SE_SF_SG_EUlST_E_NS1_11comp_targetILNS1_3genE0ELNS1_11target_archE4294967295ELNS1_3gpuE0ELNS1_3repE0EEENS1_48merge_mergepath_partition_config_static_selectorELNS0_4arch9wavefront6targetE0EEEvSF_ ; -- Begin function _ZN7rocprim17ROCPRIM_400000_NS6detail17trampoline_kernelINS0_14default_configENS1_38merge_sort_block_merge_config_selectorImNS0_10empty_typeEEEZZNS1_27merge_sort_block_merge_implIS3_PmPS5_jNS1_19radix_merge_compareILb1ELb0EmNS0_19identity_decomposerEEEEE10hipError_tT0_T1_T2_jT3_P12ihipStream_tbPNSt15iterator_traitsISE_E10value_typeEPNSK_ISF_E10value_typeEPSG_NS1_7vsmem_tEENKUlT_SE_SF_SG_E_clIS8_S8_S9_S9_EESD_ST_SE_SF_SG_EUlST_E_NS1_11comp_targetILNS1_3genE0ELNS1_11target_archE4294967295ELNS1_3gpuE0ELNS1_3repE0EEENS1_48merge_mergepath_partition_config_static_selectorELNS0_4arch9wavefront6targetE0EEEvSF_
	.globl	_ZN7rocprim17ROCPRIM_400000_NS6detail17trampoline_kernelINS0_14default_configENS1_38merge_sort_block_merge_config_selectorImNS0_10empty_typeEEEZZNS1_27merge_sort_block_merge_implIS3_PmPS5_jNS1_19radix_merge_compareILb1ELb0EmNS0_19identity_decomposerEEEEE10hipError_tT0_T1_T2_jT3_P12ihipStream_tbPNSt15iterator_traitsISE_E10value_typeEPNSK_ISF_E10value_typeEPSG_NS1_7vsmem_tEENKUlT_SE_SF_SG_E_clIS8_S8_S9_S9_EESD_ST_SE_SF_SG_EUlST_E_NS1_11comp_targetILNS1_3genE0ELNS1_11target_archE4294967295ELNS1_3gpuE0ELNS1_3repE0EEENS1_48merge_mergepath_partition_config_static_selectorELNS0_4arch9wavefront6targetE0EEEvSF_
	.p2align	8
	.type	_ZN7rocprim17ROCPRIM_400000_NS6detail17trampoline_kernelINS0_14default_configENS1_38merge_sort_block_merge_config_selectorImNS0_10empty_typeEEEZZNS1_27merge_sort_block_merge_implIS3_PmPS5_jNS1_19radix_merge_compareILb1ELb0EmNS0_19identity_decomposerEEEEE10hipError_tT0_T1_T2_jT3_P12ihipStream_tbPNSt15iterator_traitsISE_E10value_typeEPNSK_ISF_E10value_typeEPSG_NS1_7vsmem_tEENKUlT_SE_SF_SG_E_clIS8_S8_S9_S9_EESD_ST_SE_SF_SG_EUlST_E_NS1_11comp_targetILNS1_3genE0ELNS1_11target_archE4294967295ELNS1_3gpuE0ELNS1_3repE0EEENS1_48merge_mergepath_partition_config_static_selectorELNS0_4arch9wavefront6targetE0EEEvSF_,@function
_ZN7rocprim17ROCPRIM_400000_NS6detail17trampoline_kernelINS0_14default_configENS1_38merge_sort_block_merge_config_selectorImNS0_10empty_typeEEEZZNS1_27merge_sort_block_merge_implIS3_PmPS5_jNS1_19radix_merge_compareILb1ELb0EmNS0_19identity_decomposerEEEEE10hipError_tT0_T1_T2_jT3_P12ihipStream_tbPNSt15iterator_traitsISE_E10value_typeEPNSK_ISF_E10value_typeEPSG_NS1_7vsmem_tEENKUlT_SE_SF_SG_E_clIS8_S8_S9_S9_EESD_ST_SE_SF_SG_EUlST_E_NS1_11comp_targetILNS1_3genE0ELNS1_11target_archE4294967295ELNS1_3gpuE0ELNS1_3repE0EEENS1_48merge_mergepath_partition_config_static_selectorELNS0_4arch9wavefront6targetE0EEEvSF_: ; @_ZN7rocprim17ROCPRIM_400000_NS6detail17trampoline_kernelINS0_14default_configENS1_38merge_sort_block_merge_config_selectorImNS0_10empty_typeEEEZZNS1_27merge_sort_block_merge_implIS3_PmPS5_jNS1_19radix_merge_compareILb1ELb0EmNS0_19identity_decomposerEEEEE10hipError_tT0_T1_T2_jT3_P12ihipStream_tbPNSt15iterator_traitsISE_E10value_typeEPNSK_ISF_E10value_typeEPSG_NS1_7vsmem_tEENKUlT_SE_SF_SG_E_clIS8_S8_S9_S9_EESD_ST_SE_SF_SG_EUlST_E_NS1_11comp_targetILNS1_3genE0ELNS1_11target_archE4294967295ELNS1_3gpuE0ELNS1_3repE0EEENS1_48merge_mergepath_partition_config_static_selectorELNS0_4arch9wavefront6targetE0EEEvSF_
; %bb.0:
	s_load_b32 s2, s[0:1], 0x0
	s_bfe_u32 s3, ttmp6, 0x4000c
	s_and_b32 s4, ttmp6, 15
	s_add_co_i32 s3, s3, 1
	s_getreg_b32 s5, hwreg(HW_REG_IB_STS2, 6, 4)
	s_mul_i32 s3, ttmp9, s3
	s_delay_alu instid0(SALU_CYCLE_1) | instskip(SKIP_2) | instid1(SALU_CYCLE_1)
	s_add_co_i32 s4, s4, s3
	s_cmp_eq_u32 s5, 0
	s_cselect_b32 s3, ttmp9, s4
	v_lshl_or_b32 v8, s3, 7, v0
	s_wait_kmcnt 0x0
	s_delay_alu instid0(VALU_DEP_1)
	v_cmp_gt_u32_e32 vcc_lo, s2, v8
	s_and_saveexec_b32 s2, vcc_lo
	s_cbranch_execz .LBB2798_6
; %bb.1:
	s_load_b64 s[2:3], s[0:1], 0x4
	s_wait_kmcnt 0x0
	s_lshr_b32 s4, s2, 9
	s_delay_alu instid0(SALU_CYCLE_1) | instskip(NEXT) | instid1(SALU_CYCLE_1)
	s_and_b32 s4, s4, 0x7ffffe
	s_sub_co_i32 s5, 0, s4
	s_add_co_i32 s4, s4, -1
	s_delay_alu instid0(SALU_CYCLE_1) | instskip(SKIP_2) | instid1(VALU_DEP_1)
	v_and_b32_e32 v1, s4, v8
	v_and_b32_e32 v0, s5, v8
	s_mov_b32 s4, exec_lo
	v_dual_lshlrev_b32 v1, 10, v1 :: v_dual_lshlrev_b32 v0, 10, v0
	s_delay_alu instid0(VALU_DEP_1) | instskip(SKIP_1) | instid1(VALU_DEP_2)
	v_add_min_u32_e64 v2, v0, s2, s3
	v_min_u32_e32 v0, s3, v0
	v_add_min_u32_e64 v3, v2, s2, s3
	s_load_b64 s[2:3], s[0:1], 0x20
	s_delay_alu instid0(VALU_DEP_1) | instskip(NEXT) | instid1(VALU_DEP_1)
	v_dual_sub_nc_u32 v4, v3, v0 :: v_dual_sub_nc_u32 v3, v3, v2
	v_min_u32_e32 v10, v4, v1
	v_sub_nc_u32_e32 v1, v2, v0
	s_delay_alu instid0(VALU_DEP_2) | instskip(NEXT) | instid1(VALU_DEP_2)
	v_sub_nc_u32_e64 v9, v10, v3 clamp
	v_min_u32_e32 v11, v10, v1
	s_delay_alu instid0(VALU_DEP_1)
	v_cmpx_lt_u32_e64 v9, v11
	s_cbranch_execz .LBB2798_5
; %bb.2:
	s_wait_xcnt 0x0
	s_load_b64 s[0:1], s[0:1], 0x10
	v_mov_b32_e32 v3, 0
	s_delay_alu instid0(VALU_DEP_1) | instskip(SKIP_1) | instid1(VALU_DEP_1)
	v_mov_b32_e32 v1, v3
	s_wait_kmcnt 0x0
	v_lshl_add_u64 v[4:5], v[0:1], 3, s[0:1]
	v_lshl_add_u64 v[6:7], v[2:3], 3, s[0:1]
	s_mov_b32 s0, 0
.LBB2798_3:                             ; =>This Inner Loop Header: Depth=1
	v_add_nc_u32_e32 v1, v11, v9
	s_delay_alu instid0(VALU_DEP_1) | instskip(NEXT) | instid1(VALU_DEP_1)
	v_dual_mov_b32 v13, v3 :: v_dual_lshrrev_b32 v2, 1, v1
	v_xad_u32 v12, v2, -1, v10
	v_lshl_add_u64 v[14:15], v[2:3], 3, v[4:5]
	v_add_nc_u32_e32 v1, 1, v2
	s_delay_alu instid0(VALU_DEP_3)
	v_lshl_add_u64 v[12:13], v[12:13], 3, v[6:7]
	s_clause 0x1
	global_load_b64 v[16:17], v[14:15], off
	global_load_b64 v[18:19], v[12:13], off
	s_wait_loadcnt 0x0
	v_cmp_gt_u64_e32 vcc_lo, v[18:19], v[16:17]
	v_dual_cndmask_b32 v11, v11, v2, vcc_lo :: v_dual_cndmask_b32 v9, v1, v9, vcc_lo
	s_delay_alu instid0(VALU_DEP_1) | instskip(SKIP_1) | instid1(SALU_CYCLE_1)
	v_cmp_ge_u32_e32 vcc_lo, v9, v11
	s_or_b32 s0, vcc_lo, s0
	s_and_not1_b32 exec_lo, exec_lo, s0
	s_cbranch_execnz .LBB2798_3
; %bb.4:
	s_or_b32 exec_lo, exec_lo, s0
.LBB2798_5:
	s_delay_alu instid0(SALU_CYCLE_1)
	s_or_b32 exec_lo, exec_lo, s4
	v_add_nc_u32_e32 v0, v9, v0
	s_wait_kmcnt 0x0
	global_store_b32 v8, v0, s[2:3] scale_offset
.LBB2798_6:
	s_endpgm
	.section	.rodata,"a",@progbits
	.p2align	6, 0x0
	.amdhsa_kernel _ZN7rocprim17ROCPRIM_400000_NS6detail17trampoline_kernelINS0_14default_configENS1_38merge_sort_block_merge_config_selectorImNS0_10empty_typeEEEZZNS1_27merge_sort_block_merge_implIS3_PmPS5_jNS1_19radix_merge_compareILb1ELb0EmNS0_19identity_decomposerEEEEE10hipError_tT0_T1_T2_jT3_P12ihipStream_tbPNSt15iterator_traitsISE_E10value_typeEPNSK_ISF_E10value_typeEPSG_NS1_7vsmem_tEENKUlT_SE_SF_SG_E_clIS8_S8_S9_S9_EESD_ST_SE_SF_SG_EUlST_E_NS1_11comp_targetILNS1_3genE0ELNS1_11target_archE4294967295ELNS1_3gpuE0ELNS1_3repE0EEENS1_48merge_mergepath_partition_config_static_selectorELNS0_4arch9wavefront6targetE0EEEvSF_
		.amdhsa_group_segment_fixed_size 0
		.amdhsa_private_segment_fixed_size 0
		.amdhsa_kernarg_size 40
		.amdhsa_user_sgpr_count 2
		.amdhsa_user_sgpr_dispatch_ptr 0
		.amdhsa_user_sgpr_queue_ptr 0
		.amdhsa_user_sgpr_kernarg_segment_ptr 1
		.amdhsa_user_sgpr_dispatch_id 0
		.amdhsa_user_sgpr_kernarg_preload_length 0
		.amdhsa_user_sgpr_kernarg_preload_offset 0
		.amdhsa_user_sgpr_private_segment_size 0
		.amdhsa_wavefront_size32 1
		.amdhsa_uses_dynamic_stack 0
		.amdhsa_enable_private_segment 0
		.amdhsa_system_sgpr_workgroup_id_x 1
		.amdhsa_system_sgpr_workgroup_id_y 0
		.amdhsa_system_sgpr_workgroup_id_z 0
		.amdhsa_system_sgpr_workgroup_info 0
		.amdhsa_system_vgpr_workitem_id 0
		.amdhsa_next_free_vgpr 20
		.amdhsa_next_free_sgpr 6
		.amdhsa_named_barrier_count 0
		.amdhsa_reserve_vcc 1
		.amdhsa_float_round_mode_32 0
		.amdhsa_float_round_mode_16_64 0
		.amdhsa_float_denorm_mode_32 3
		.amdhsa_float_denorm_mode_16_64 3
		.amdhsa_fp16_overflow 0
		.amdhsa_memory_ordered 1
		.amdhsa_forward_progress 1
		.amdhsa_inst_pref_size 4
		.amdhsa_round_robin_scheduling 0
		.amdhsa_exception_fp_ieee_invalid_op 0
		.amdhsa_exception_fp_denorm_src 0
		.amdhsa_exception_fp_ieee_div_zero 0
		.amdhsa_exception_fp_ieee_overflow 0
		.amdhsa_exception_fp_ieee_underflow 0
		.amdhsa_exception_fp_ieee_inexact 0
		.amdhsa_exception_int_div_zero 0
	.end_amdhsa_kernel
	.section	.text._ZN7rocprim17ROCPRIM_400000_NS6detail17trampoline_kernelINS0_14default_configENS1_38merge_sort_block_merge_config_selectorImNS0_10empty_typeEEEZZNS1_27merge_sort_block_merge_implIS3_PmPS5_jNS1_19radix_merge_compareILb1ELb0EmNS0_19identity_decomposerEEEEE10hipError_tT0_T1_T2_jT3_P12ihipStream_tbPNSt15iterator_traitsISE_E10value_typeEPNSK_ISF_E10value_typeEPSG_NS1_7vsmem_tEENKUlT_SE_SF_SG_E_clIS8_S8_S9_S9_EESD_ST_SE_SF_SG_EUlST_E_NS1_11comp_targetILNS1_3genE0ELNS1_11target_archE4294967295ELNS1_3gpuE0ELNS1_3repE0EEENS1_48merge_mergepath_partition_config_static_selectorELNS0_4arch9wavefront6targetE0EEEvSF_,"axG",@progbits,_ZN7rocprim17ROCPRIM_400000_NS6detail17trampoline_kernelINS0_14default_configENS1_38merge_sort_block_merge_config_selectorImNS0_10empty_typeEEEZZNS1_27merge_sort_block_merge_implIS3_PmPS5_jNS1_19radix_merge_compareILb1ELb0EmNS0_19identity_decomposerEEEEE10hipError_tT0_T1_T2_jT3_P12ihipStream_tbPNSt15iterator_traitsISE_E10value_typeEPNSK_ISF_E10value_typeEPSG_NS1_7vsmem_tEENKUlT_SE_SF_SG_E_clIS8_S8_S9_S9_EESD_ST_SE_SF_SG_EUlST_E_NS1_11comp_targetILNS1_3genE0ELNS1_11target_archE4294967295ELNS1_3gpuE0ELNS1_3repE0EEENS1_48merge_mergepath_partition_config_static_selectorELNS0_4arch9wavefront6targetE0EEEvSF_,comdat
.Lfunc_end2798:
	.size	_ZN7rocprim17ROCPRIM_400000_NS6detail17trampoline_kernelINS0_14default_configENS1_38merge_sort_block_merge_config_selectorImNS0_10empty_typeEEEZZNS1_27merge_sort_block_merge_implIS3_PmPS5_jNS1_19radix_merge_compareILb1ELb0EmNS0_19identity_decomposerEEEEE10hipError_tT0_T1_T2_jT3_P12ihipStream_tbPNSt15iterator_traitsISE_E10value_typeEPNSK_ISF_E10value_typeEPSG_NS1_7vsmem_tEENKUlT_SE_SF_SG_E_clIS8_S8_S9_S9_EESD_ST_SE_SF_SG_EUlST_E_NS1_11comp_targetILNS1_3genE0ELNS1_11target_archE4294967295ELNS1_3gpuE0ELNS1_3repE0EEENS1_48merge_mergepath_partition_config_static_selectorELNS0_4arch9wavefront6targetE0EEEvSF_, .Lfunc_end2798-_ZN7rocprim17ROCPRIM_400000_NS6detail17trampoline_kernelINS0_14default_configENS1_38merge_sort_block_merge_config_selectorImNS0_10empty_typeEEEZZNS1_27merge_sort_block_merge_implIS3_PmPS5_jNS1_19radix_merge_compareILb1ELb0EmNS0_19identity_decomposerEEEEE10hipError_tT0_T1_T2_jT3_P12ihipStream_tbPNSt15iterator_traitsISE_E10value_typeEPNSK_ISF_E10value_typeEPSG_NS1_7vsmem_tEENKUlT_SE_SF_SG_E_clIS8_S8_S9_S9_EESD_ST_SE_SF_SG_EUlST_E_NS1_11comp_targetILNS1_3genE0ELNS1_11target_archE4294967295ELNS1_3gpuE0ELNS1_3repE0EEENS1_48merge_mergepath_partition_config_static_selectorELNS0_4arch9wavefront6targetE0EEEvSF_
                                        ; -- End function
	.set _ZN7rocprim17ROCPRIM_400000_NS6detail17trampoline_kernelINS0_14default_configENS1_38merge_sort_block_merge_config_selectorImNS0_10empty_typeEEEZZNS1_27merge_sort_block_merge_implIS3_PmPS5_jNS1_19radix_merge_compareILb1ELb0EmNS0_19identity_decomposerEEEEE10hipError_tT0_T1_T2_jT3_P12ihipStream_tbPNSt15iterator_traitsISE_E10value_typeEPNSK_ISF_E10value_typeEPSG_NS1_7vsmem_tEENKUlT_SE_SF_SG_E_clIS8_S8_S9_S9_EESD_ST_SE_SF_SG_EUlST_E_NS1_11comp_targetILNS1_3genE0ELNS1_11target_archE4294967295ELNS1_3gpuE0ELNS1_3repE0EEENS1_48merge_mergepath_partition_config_static_selectorELNS0_4arch9wavefront6targetE0EEEvSF_.num_vgpr, 20
	.set _ZN7rocprim17ROCPRIM_400000_NS6detail17trampoline_kernelINS0_14default_configENS1_38merge_sort_block_merge_config_selectorImNS0_10empty_typeEEEZZNS1_27merge_sort_block_merge_implIS3_PmPS5_jNS1_19radix_merge_compareILb1ELb0EmNS0_19identity_decomposerEEEEE10hipError_tT0_T1_T2_jT3_P12ihipStream_tbPNSt15iterator_traitsISE_E10value_typeEPNSK_ISF_E10value_typeEPSG_NS1_7vsmem_tEENKUlT_SE_SF_SG_E_clIS8_S8_S9_S9_EESD_ST_SE_SF_SG_EUlST_E_NS1_11comp_targetILNS1_3genE0ELNS1_11target_archE4294967295ELNS1_3gpuE0ELNS1_3repE0EEENS1_48merge_mergepath_partition_config_static_selectorELNS0_4arch9wavefront6targetE0EEEvSF_.num_agpr, 0
	.set _ZN7rocprim17ROCPRIM_400000_NS6detail17trampoline_kernelINS0_14default_configENS1_38merge_sort_block_merge_config_selectorImNS0_10empty_typeEEEZZNS1_27merge_sort_block_merge_implIS3_PmPS5_jNS1_19radix_merge_compareILb1ELb0EmNS0_19identity_decomposerEEEEE10hipError_tT0_T1_T2_jT3_P12ihipStream_tbPNSt15iterator_traitsISE_E10value_typeEPNSK_ISF_E10value_typeEPSG_NS1_7vsmem_tEENKUlT_SE_SF_SG_E_clIS8_S8_S9_S9_EESD_ST_SE_SF_SG_EUlST_E_NS1_11comp_targetILNS1_3genE0ELNS1_11target_archE4294967295ELNS1_3gpuE0ELNS1_3repE0EEENS1_48merge_mergepath_partition_config_static_selectorELNS0_4arch9wavefront6targetE0EEEvSF_.numbered_sgpr, 6
	.set _ZN7rocprim17ROCPRIM_400000_NS6detail17trampoline_kernelINS0_14default_configENS1_38merge_sort_block_merge_config_selectorImNS0_10empty_typeEEEZZNS1_27merge_sort_block_merge_implIS3_PmPS5_jNS1_19radix_merge_compareILb1ELb0EmNS0_19identity_decomposerEEEEE10hipError_tT0_T1_T2_jT3_P12ihipStream_tbPNSt15iterator_traitsISE_E10value_typeEPNSK_ISF_E10value_typeEPSG_NS1_7vsmem_tEENKUlT_SE_SF_SG_E_clIS8_S8_S9_S9_EESD_ST_SE_SF_SG_EUlST_E_NS1_11comp_targetILNS1_3genE0ELNS1_11target_archE4294967295ELNS1_3gpuE0ELNS1_3repE0EEENS1_48merge_mergepath_partition_config_static_selectorELNS0_4arch9wavefront6targetE0EEEvSF_.num_named_barrier, 0
	.set _ZN7rocprim17ROCPRIM_400000_NS6detail17trampoline_kernelINS0_14default_configENS1_38merge_sort_block_merge_config_selectorImNS0_10empty_typeEEEZZNS1_27merge_sort_block_merge_implIS3_PmPS5_jNS1_19radix_merge_compareILb1ELb0EmNS0_19identity_decomposerEEEEE10hipError_tT0_T1_T2_jT3_P12ihipStream_tbPNSt15iterator_traitsISE_E10value_typeEPNSK_ISF_E10value_typeEPSG_NS1_7vsmem_tEENKUlT_SE_SF_SG_E_clIS8_S8_S9_S9_EESD_ST_SE_SF_SG_EUlST_E_NS1_11comp_targetILNS1_3genE0ELNS1_11target_archE4294967295ELNS1_3gpuE0ELNS1_3repE0EEENS1_48merge_mergepath_partition_config_static_selectorELNS0_4arch9wavefront6targetE0EEEvSF_.private_seg_size, 0
	.set _ZN7rocprim17ROCPRIM_400000_NS6detail17trampoline_kernelINS0_14default_configENS1_38merge_sort_block_merge_config_selectorImNS0_10empty_typeEEEZZNS1_27merge_sort_block_merge_implIS3_PmPS5_jNS1_19radix_merge_compareILb1ELb0EmNS0_19identity_decomposerEEEEE10hipError_tT0_T1_T2_jT3_P12ihipStream_tbPNSt15iterator_traitsISE_E10value_typeEPNSK_ISF_E10value_typeEPSG_NS1_7vsmem_tEENKUlT_SE_SF_SG_E_clIS8_S8_S9_S9_EESD_ST_SE_SF_SG_EUlST_E_NS1_11comp_targetILNS1_3genE0ELNS1_11target_archE4294967295ELNS1_3gpuE0ELNS1_3repE0EEENS1_48merge_mergepath_partition_config_static_selectorELNS0_4arch9wavefront6targetE0EEEvSF_.uses_vcc, 1
	.set _ZN7rocprim17ROCPRIM_400000_NS6detail17trampoline_kernelINS0_14default_configENS1_38merge_sort_block_merge_config_selectorImNS0_10empty_typeEEEZZNS1_27merge_sort_block_merge_implIS3_PmPS5_jNS1_19radix_merge_compareILb1ELb0EmNS0_19identity_decomposerEEEEE10hipError_tT0_T1_T2_jT3_P12ihipStream_tbPNSt15iterator_traitsISE_E10value_typeEPNSK_ISF_E10value_typeEPSG_NS1_7vsmem_tEENKUlT_SE_SF_SG_E_clIS8_S8_S9_S9_EESD_ST_SE_SF_SG_EUlST_E_NS1_11comp_targetILNS1_3genE0ELNS1_11target_archE4294967295ELNS1_3gpuE0ELNS1_3repE0EEENS1_48merge_mergepath_partition_config_static_selectorELNS0_4arch9wavefront6targetE0EEEvSF_.uses_flat_scratch, 0
	.set _ZN7rocprim17ROCPRIM_400000_NS6detail17trampoline_kernelINS0_14default_configENS1_38merge_sort_block_merge_config_selectorImNS0_10empty_typeEEEZZNS1_27merge_sort_block_merge_implIS3_PmPS5_jNS1_19radix_merge_compareILb1ELb0EmNS0_19identity_decomposerEEEEE10hipError_tT0_T1_T2_jT3_P12ihipStream_tbPNSt15iterator_traitsISE_E10value_typeEPNSK_ISF_E10value_typeEPSG_NS1_7vsmem_tEENKUlT_SE_SF_SG_E_clIS8_S8_S9_S9_EESD_ST_SE_SF_SG_EUlST_E_NS1_11comp_targetILNS1_3genE0ELNS1_11target_archE4294967295ELNS1_3gpuE0ELNS1_3repE0EEENS1_48merge_mergepath_partition_config_static_selectorELNS0_4arch9wavefront6targetE0EEEvSF_.has_dyn_sized_stack, 0
	.set _ZN7rocprim17ROCPRIM_400000_NS6detail17trampoline_kernelINS0_14default_configENS1_38merge_sort_block_merge_config_selectorImNS0_10empty_typeEEEZZNS1_27merge_sort_block_merge_implIS3_PmPS5_jNS1_19radix_merge_compareILb1ELb0EmNS0_19identity_decomposerEEEEE10hipError_tT0_T1_T2_jT3_P12ihipStream_tbPNSt15iterator_traitsISE_E10value_typeEPNSK_ISF_E10value_typeEPSG_NS1_7vsmem_tEENKUlT_SE_SF_SG_E_clIS8_S8_S9_S9_EESD_ST_SE_SF_SG_EUlST_E_NS1_11comp_targetILNS1_3genE0ELNS1_11target_archE4294967295ELNS1_3gpuE0ELNS1_3repE0EEENS1_48merge_mergepath_partition_config_static_selectorELNS0_4arch9wavefront6targetE0EEEvSF_.has_recursion, 0
	.set _ZN7rocprim17ROCPRIM_400000_NS6detail17trampoline_kernelINS0_14default_configENS1_38merge_sort_block_merge_config_selectorImNS0_10empty_typeEEEZZNS1_27merge_sort_block_merge_implIS3_PmPS5_jNS1_19radix_merge_compareILb1ELb0EmNS0_19identity_decomposerEEEEE10hipError_tT0_T1_T2_jT3_P12ihipStream_tbPNSt15iterator_traitsISE_E10value_typeEPNSK_ISF_E10value_typeEPSG_NS1_7vsmem_tEENKUlT_SE_SF_SG_E_clIS8_S8_S9_S9_EESD_ST_SE_SF_SG_EUlST_E_NS1_11comp_targetILNS1_3genE0ELNS1_11target_archE4294967295ELNS1_3gpuE0ELNS1_3repE0EEENS1_48merge_mergepath_partition_config_static_selectorELNS0_4arch9wavefront6targetE0EEEvSF_.has_indirect_call, 0
	.section	.AMDGPU.csdata,"",@progbits
; Kernel info:
; codeLenInByte = 428
; TotalNumSgprs: 8
; NumVgprs: 20
; ScratchSize: 0
; MemoryBound: 0
; FloatMode: 240
; IeeeMode: 1
; LDSByteSize: 0 bytes/workgroup (compile time only)
; SGPRBlocks: 0
; VGPRBlocks: 1
; NumSGPRsForWavesPerEU: 8
; NumVGPRsForWavesPerEU: 20
; NamedBarCnt: 0
; Occupancy: 16
; WaveLimiterHint : 0
; COMPUTE_PGM_RSRC2:SCRATCH_EN: 0
; COMPUTE_PGM_RSRC2:USER_SGPR: 2
; COMPUTE_PGM_RSRC2:TRAP_HANDLER: 0
; COMPUTE_PGM_RSRC2:TGID_X_EN: 1
; COMPUTE_PGM_RSRC2:TGID_Y_EN: 0
; COMPUTE_PGM_RSRC2:TGID_Z_EN: 0
; COMPUTE_PGM_RSRC2:TIDIG_COMP_CNT: 0
	.section	.text._ZN7rocprim17ROCPRIM_400000_NS6detail17trampoline_kernelINS0_14default_configENS1_38merge_sort_block_merge_config_selectorImNS0_10empty_typeEEEZZNS1_27merge_sort_block_merge_implIS3_PmPS5_jNS1_19radix_merge_compareILb1ELb0EmNS0_19identity_decomposerEEEEE10hipError_tT0_T1_T2_jT3_P12ihipStream_tbPNSt15iterator_traitsISE_E10value_typeEPNSK_ISF_E10value_typeEPSG_NS1_7vsmem_tEENKUlT_SE_SF_SG_E_clIS8_S8_S9_S9_EESD_ST_SE_SF_SG_EUlST_E_NS1_11comp_targetILNS1_3genE10ELNS1_11target_archE1201ELNS1_3gpuE5ELNS1_3repE0EEENS1_48merge_mergepath_partition_config_static_selectorELNS0_4arch9wavefront6targetE0EEEvSF_,"axG",@progbits,_ZN7rocprim17ROCPRIM_400000_NS6detail17trampoline_kernelINS0_14default_configENS1_38merge_sort_block_merge_config_selectorImNS0_10empty_typeEEEZZNS1_27merge_sort_block_merge_implIS3_PmPS5_jNS1_19radix_merge_compareILb1ELb0EmNS0_19identity_decomposerEEEEE10hipError_tT0_T1_T2_jT3_P12ihipStream_tbPNSt15iterator_traitsISE_E10value_typeEPNSK_ISF_E10value_typeEPSG_NS1_7vsmem_tEENKUlT_SE_SF_SG_E_clIS8_S8_S9_S9_EESD_ST_SE_SF_SG_EUlST_E_NS1_11comp_targetILNS1_3genE10ELNS1_11target_archE1201ELNS1_3gpuE5ELNS1_3repE0EEENS1_48merge_mergepath_partition_config_static_selectorELNS0_4arch9wavefront6targetE0EEEvSF_,comdat
	.protected	_ZN7rocprim17ROCPRIM_400000_NS6detail17trampoline_kernelINS0_14default_configENS1_38merge_sort_block_merge_config_selectorImNS0_10empty_typeEEEZZNS1_27merge_sort_block_merge_implIS3_PmPS5_jNS1_19radix_merge_compareILb1ELb0EmNS0_19identity_decomposerEEEEE10hipError_tT0_T1_T2_jT3_P12ihipStream_tbPNSt15iterator_traitsISE_E10value_typeEPNSK_ISF_E10value_typeEPSG_NS1_7vsmem_tEENKUlT_SE_SF_SG_E_clIS8_S8_S9_S9_EESD_ST_SE_SF_SG_EUlST_E_NS1_11comp_targetILNS1_3genE10ELNS1_11target_archE1201ELNS1_3gpuE5ELNS1_3repE0EEENS1_48merge_mergepath_partition_config_static_selectorELNS0_4arch9wavefront6targetE0EEEvSF_ ; -- Begin function _ZN7rocprim17ROCPRIM_400000_NS6detail17trampoline_kernelINS0_14default_configENS1_38merge_sort_block_merge_config_selectorImNS0_10empty_typeEEEZZNS1_27merge_sort_block_merge_implIS3_PmPS5_jNS1_19radix_merge_compareILb1ELb0EmNS0_19identity_decomposerEEEEE10hipError_tT0_T1_T2_jT3_P12ihipStream_tbPNSt15iterator_traitsISE_E10value_typeEPNSK_ISF_E10value_typeEPSG_NS1_7vsmem_tEENKUlT_SE_SF_SG_E_clIS8_S8_S9_S9_EESD_ST_SE_SF_SG_EUlST_E_NS1_11comp_targetILNS1_3genE10ELNS1_11target_archE1201ELNS1_3gpuE5ELNS1_3repE0EEENS1_48merge_mergepath_partition_config_static_selectorELNS0_4arch9wavefront6targetE0EEEvSF_
	.globl	_ZN7rocprim17ROCPRIM_400000_NS6detail17trampoline_kernelINS0_14default_configENS1_38merge_sort_block_merge_config_selectorImNS0_10empty_typeEEEZZNS1_27merge_sort_block_merge_implIS3_PmPS5_jNS1_19radix_merge_compareILb1ELb0EmNS0_19identity_decomposerEEEEE10hipError_tT0_T1_T2_jT3_P12ihipStream_tbPNSt15iterator_traitsISE_E10value_typeEPNSK_ISF_E10value_typeEPSG_NS1_7vsmem_tEENKUlT_SE_SF_SG_E_clIS8_S8_S9_S9_EESD_ST_SE_SF_SG_EUlST_E_NS1_11comp_targetILNS1_3genE10ELNS1_11target_archE1201ELNS1_3gpuE5ELNS1_3repE0EEENS1_48merge_mergepath_partition_config_static_selectorELNS0_4arch9wavefront6targetE0EEEvSF_
	.p2align	8
	.type	_ZN7rocprim17ROCPRIM_400000_NS6detail17trampoline_kernelINS0_14default_configENS1_38merge_sort_block_merge_config_selectorImNS0_10empty_typeEEEZZNS1_27merge_sort_block_merge_implIS3_PmPS5_jNS1_19radix_merge_compareILb1ELb0EmNS0_19identity_decomposerEEEEE10hipError_tT0_T1_T2_jT3_P12ihipStream_tbPNSt15iterator_traitsISE_E10value_typeEPNSK_ISF_E10value_typeEPSG_NS1_7vsmem_tEENKUlT_SE_SF_SG_E_clIS8_S8_S9_S9_EESD_ST_SE_SF_SG_EUlST_E_NS1_11comp_targetILNS1_3genE10ELNS1_11target_archE1201ELNS1_3gpuE5ELNS1_3repE0EEENS1_48merge_mergepath_partition_config_static_selectorELNS0_4arch9wavefront6targetE0EEEvSF_,@function
_ZN7rocprim17ROCPRIM_400000_NS6detail17trampoline_kernelINS0_14default_configENS1_38merge_sort_block_merge_config_selectorImNS0_10empty_typeEEEZZNS1_27merge_sort_block_merge_implIS3_PmPS5_jNS1_19radix_merge_compareILb1ELb0EmNS0_19identity_decomposerEEEEE10hipError_tT0_T1_T2_jT3_P12ihipStream_tbPNSt15iterator_traitsISE_E10value_typeEPNSK_ISF_E10value_typeEPSG_NS1_7vsmem_tEENKUlT_SE_SF_SG_E_clIS8_S8_S9_S9_EESD_ST_SE_SF_SG_EUlST_E_NS1_11comp_targetILNS1_3genE10ELNS1_11target_archE1201ELNS1_3gpuE5ELNS1_3repE0EEENS1_48merge_mergepath_partition_config_static_selectorELNS0_4arch9wavefront6targetE0EEEvSF_: ; @_ZN7rocprim17ROCPRIM_400000_NS6detail17trampoline_kernelINS0_14default_configENS1_38merge_sort_block_merge_config_selectorImNS0_10empty_typeEEEZZNS1_27merge_sort_block_merge_implIS3_PmPS5_jNS1_19radix_merge_compareILb1ELb0EmNS0_19identity_decomposerEEEEE10hipError_tT0_T1_T2_jT3_P12ihipStream_tbPNSt15iterator_traitsISE_E10value_typeEPNSK_ISF_E10value_typeEPSG_NS1_7vsmem_tEENKUlT_SE_SF_SG_E_clIS8_S8_S9_S9_EESD_ST_SE_SF_SG_EUlST_E_NS1_11comp_targetILNS1_3genE10ELNS1_11target_archE1201ELNS1_3gpuE5ELNS1_3repE0EEENS1_48merge_mergepath_partition_config_static_selectorELNS0_4arch9wavefront6targetE0EEEvSF_
; %bb.0:
	.section	.rodata,"a",@progbits
	.p2align	6, 0x0
	.amdhsa_kernel _ZN7rocprim17ROCPRIM_400000_NS6detail17trampoline_kernelINS0_14default_configENS1_38merge_sort_block_merge_config_selectorImNS0_10empty_typeEEEZZNS1_27merge_sort_block_merge_implIS3_PmPS5_jNS1_19radix_merge_compareILb1ELb0EmNS0_19identity_decomposerEEEEE10hipError_tT0_T1_T2_jT3_P12ihipStream_tbPNSt15iterator_traitsISE_E10value_typeEPNSK_ISF_E10value_typeEPSG_NS1_7vsmem_tEENKUlT_SE_SF_SG_E_clIS8_S8_S9_S9_EESD_ST_SE_SF_SG_EUlST_E_NS1_11comp_targetILNS1_3genE10ELNS1_11target_archE1201ELNS1_3gpuE5ELNS1_3repE0EEENS1_48merge_mergepath_partition_config_static_selectorELNS0_4arch9wavefront6targetE0EEEvSF_
		.amdhsa_group_segment_fixed_size 0
		.amdhsa_private_segment_fixed_size 0
		.amdhsa_kernarg_size 40
		.amdhsa_user_sgpr_count 2
		.amdhsa_user_sgpr_dispatch_ptr 0
		.amdhsa_user_sgpr_queue_ptr 0
		.amdhsa_user_sgpr_kernarg_segment_ptr 1
		.amdhsa_user_sgpr_dispatch_id 0
		.amdhsa_user_sgpr_kernarg_preload_length 0
		.amdhsa_user_sgpr_kernarg_preload_offset 0
		.amdhsa_user_sgpr_private_segment_size 0
		.amdhsa_wavefront_size32 1
		.amdhsa_uses_dynamic_stack 0
		.amdhsa_enable_private_segment 0
		.amdhsa_system_sgpr_workgroup_id_x 1
		.amdhsa_system_sgpr_workgroup_id_y 0
		.amdhsa_system_sgpr_workgroup_id_z 0
		.amdhsa_system_sgpr_workgroup_info 0
		.amdhsa_system_vgpr_workitem_id 0
		.amdhsa_next_free_vgpr 1
		.amdhsa_next_free_sgpr 1
		.amdhsa_named_barrier_count 0
		.amdhsa_reserve_vcc 0
		.amdhsa_float_round_mode_32 0
		.amdhsa_float_round_mode_16_64 0
		.amdhsa_float_denorm_mode_32 3
		.amdhsa_float_denorm_mode_16_64 3
		.amdhsa_fp16_overflow 0
		.amdhsa_memory_ordered 1
		.amdhsa_forward_progress 1
		.amdhsa_inst_pref_size 0
		.amdhsa_round_robin_scheduling 0
		.amdhsa_exception_fp_ieee_invalid_op 0
		.amdhsa_exception_fp_denorm_src 0
		.amdhsa_exception_fp_ieee_div_zero 0
		.amdhsa_exception_fp_ieee_overflow 0
		.amdhsa_exception_fp_ieee_underflow 0
		.amdhsa_exception_fp_ieee_inexact 0
		.amdhsa_exception_int_div_zero 0
	.end_amdhsa_kernel
	.section	.text._ZN7rocprim17ROCPRIM_400000_NS6detail17trampoline_kernelINS0_14default_configENS1_38merge_sort_block_merge_config_selectorImNS0_10empty_typeEEEZZNS1_27merge_sort_block_merge_implIS3_PmPS5_jNS1_19radix_merge_compareILb1ELb0EmNS0_19identity_decomposerEEEEE10hipError_tT0_T1_T2_jT3_P12ihipStream_tbPNSt15iterator_traitsISE_E10value_typeEPNSK_ISF_E10value_typeEPSG_NS1_7vsmem_tEENKUlT_SE_SF_SG_E_clIS8_S8_S9_S9_EESD_ST_SE_SF_SG_EUlST_E_NS1_11comp_targetILNS1_3genE10ELNS1_11target_archE1201ELNS1_3gpuE5ELNS1_3repE0EEENS1_48merge_mergepath_partition_config_static_selectorELNS0_4arch9wavefront6targetE0EEEvSF_,"axG",@progbits,_ZN7rocprim17ROCPRIM_400000_NS6detail17trampoline_kernelINS0_14default_configENS1_38merge_sort_block_merge_config_selectorImNS0_10empty_typeEEEZZNS1_27merge_sort_block_merge_implIS3_PmPS5_jNS1_19radix_merge_compareILb1ELb0EmNS0_19identity_decomposerEEEEE10hipError_tT0_T1_T2_jT3_P12ihipStream_tbPNSt15iterator_traitsISE_E10value_typeEPNSK_ISF_E10value_typeEPSG_NS1_7vsmem_tEENKUlT_SE_SF_SG_E_clIS8_S8_S9_S9_EESD_ST_SE_SF_SG_EUlST_E_NS1_11comp_targetILNS1_3genE10ELNS1_11target_archE1201ELNS1_3gpuE5ELNS1_3repE0EEENS1_48merge_mergepath_partition_config_static_selectorELNS0_4arch9wavefront6targetE0EEEvSF_,comdat
.Lfunc_end2799:
	.size	_ZN7rocprim17ROCPRIM_400000_NS6detail17trampoline_kernelINS0_14default_configENS1_38merge_sort_block_merge_config_selectorImNS0_10empty_typeEEEZZNS1_27merge_sort_block_merge_implIS3_PmPS5_jNS1_19radix_merge_compareILb1ELb0EmNS0_19identity_decomposerEEEEE10hipError_tT0_T1_T2_jT3_P12ihipStream_tbPNSt15iterator_traitsISE_E10value_typeEPNSK_ISF_E10value_typeEPSG_NS1_7vsmem_tEENKUlT_SE_SF_SG_E_clIS8_S8_S9_S9_EESD_ST_SE_SF_SG_EUlST_E_NS1_11comp_targetILNS1_3genE10ELNS1_11target_archE1201ELNS1_3gpuE5ELNS1_3repE0EEENS1_48merge_mergepath_partition_config_static_selectorELNS0_4arch9wavefront6targetE0EEEvSF_, .Lfunc_end2799-_ZN7rocprim17ROCPRIM_400000_NS6detail17trampoline_kernelINS0_14default_configENS1_38merge_sort_block_merge_config_selectorImNS0_10empty_typeEEEZZNS1_27merge_sort_block_merge_implIS3_PmPS5_jNS1_19radix_merge_compareILb1ELb0EmNS0_19identity_decomposerEEEEE10hipError_tT0_T1_T2_jT3_P12ihipStream_tbPNSt15iterator_traitsISE_E10value_typeEPNSK_ISF_E10value_typeEPSG_NS1_7vsmem_tEENKUlT_SE_SF_SG_E_clIS8_S8_S9_S9_EESD_ST_SE_SF_SG_EUlST_E_NS1_11comp_targetILNS1_3genE10ELNS1_11target_archE1201ELNS1_3gpuE5ELNS1_3repE0EEENS1_48merge_mergepath_partition_config_static_selectorELNS0_4arch9wavefront6targetE0EEEvSF_
                                        ; -- End function
	.set _ZN7rocprim17ROCPRIM_400000_NS6detail17trampoline_kernelINS0_14default_configENS1_38merge_sort_block_merge_config_selectorImNS0_10empty_typeEEEZZNS1_27merge_sort_block_merge_implIS3_PmPS5_jNS1_19radix_merge_compareILb1ELb0EmNS0_19identity_decomposerEEEEE10hipError_tT0_T1_T2_jT3_P12ihipStream_tbPNSt15iterator_traitsISE_E10value_typeEPNSK_ISF_E10value_typeEPSG_NS1_7vsmem_tEENKUlT_SE_SF_SG_E_clIS8_S8_S9_S9_EESD_ST_SE_SF_SG_EUlST_E_NS1_11comp_targetILNS1_3genE10ELNS1_11target_archE1201ELNS1_3gpuE5ELNS1_3repE0EEENS1_48merge_mergepath_partition_config_static_selectorELNS0_4arch9wavefront6targetE0EEEvSF_.num_vgpr, 0
	.set _ZN7rocprim17ROCPRIM_400000_NS6detail17trampoline_kernelINS0_14default_configENS1_38merge_sort_block_merge_config_selectorImNS0_10empty_typeEEEZZNS1_27merge_sort_block_merge_implIS3_PmPS5_jNS1_19radix_merge_compareILb1ELb0EmNS0_19identity_decomposerEEEEE10hipError_tT0_T1_T2_jT3_P12ihipStream_tbPNSt15iterator_traitsISE_E10value_typeEPNSK_ISF_E10value_typeEPSG_NS1_7vsmem_tEENKUlT_SE_SF_SG_E_clIS8_S8_S9_S9_EESD_ST_SE_SF_SG_EUlST_E_NS1_11comp_targetILNS1_3genE10ELNS1_11target_archE1201ELNS1_3gpuE5ELNS1_3repE0EEENS1_48merge_mergepath_partition_config_static_selectorELNS0_4arch9wavefront6targetE0EEEvSF_.num_agpr, 0
	.set _ZN7rocprim17ROCPRIM_400000_NS6detail17trampoline_kernelINS0_14default_configENS1_38merge_sort_block_merge_config_selectorImNS0_10empty_typeEEEZZNS1_27merge_sort_block_merge_implIS3_PmPS5_jNS1_19radix_merge_compareILb1ELb0EmNS0_19identity_decomposerEEEEE10hipError_tT0_T1_T2_jT3_P12ihipStream_tbPNSt15iterator_traitsISE_E10value_typeEPNSK_ISF_E10value_typeEPSG_NS1_7vsmem_tEENKUlT_SE_SF_SG_E_clIS8_S8_S9_S9_EESD_ST_SE_SF_SG_EUlST_E_NS1_11comp_targetILNS1_3genE10ELNS1_11target_archE1201ELNS1_3gpuE5ELNS1_3repE0EEENS1_48merge_mergepath_partition_config_static_selectorELNS0_4arch9wavefront6targetE0EEEvSF_.numbered_sgpr, 0
	.set _ZN7rocprim17ROCPRIM_400000_NS6detail17trampoline_kernelINS0_14default_configENS1_38merge_sort_block_merge_config_selectorImNS0_10empty_typeEEEZZNS1_27merge_sort_block_merge_implIS3_PmPS5_jNS1_19radix_merge_compareILb1ELb0EmNS0_19identity_decomposerEEEEE10hipError_tT0_T1_T2_jT3_P12ihipStream_tbPNSt15iterator_traitsISE_E10value_typeEPNSK_ISF_E10value_typeEPSG_NS1_7vsmem_tEENKUlT_SE_SF_SG_E_clIS8_S8_S9_S9_EESD_ST_SE_SF_SG_EUlST_E_NS1_11comp_targetILNS1_3genE10ELNS1_11target_archE1201ELNS1_3gpuE5ELNS1_3repE0EEENS1_48merge_mergepath_partition_config_static_selectorELNS0_4arch9wavefront6targetE0EEEvSF_.num_named_barrier, 0
	.set _ZN7rocprim17ROCPRIM_400000_NS6detail17trampoline_kernelINS0_14default_configENS1_38merge_sort_block_merge_config_selectorImNS0_10empty_typeEEEZZNS1_27merge_sort_block_merge_implIS3_PmPS5_jNS1_19radix_merge_compareILb1ELb0EmNS0_19identity_decomposerEEEEE10hipError_tT0_T1_T2_jT3_P12ihipStream_tbPNSt15iterator_traitsISE_E10value_typeEPNSK_ISF_E10value_typeEPSG_NS1_7vsmem_tEENKUlT_SE_SF_SG_E_clIS8_S8_S9_S9_EESD_ST_SE_SF_SG_EUlST_E_NS1_11comp_targetILNS1_3genE10ELNS1_11target_archE1201ELNS1_3gpuE5ELNS1_3repE0EEENS1_48merge_mergepath_partition_config_static_selectorELNS0_4arch9wavefront6targetE0EEEvSF_.private_seg_size, 0
	.set _ZN7rocprim17ROCPRIM_400000_NS6detail17trampoline_kernelINS0_14default_configENS1_38merge_sort_block_merge_config_selectorImNS0_10empty_typeEEEZZNS1_27merge_sort_block_merge_implIS3_PmPS5_jNS1_19radix_merge_compareILb1ELb0EmNS0_19identity_decomposerEEEEE10hipError_tT0_T1_T2_jT3_P12ihipStream_tbPNSt15iterator_traitsISE_E10value_typeEPNSK_ISF_E10value_typeEPSG_NS1_7vsmem_tEENKUlT_SE_SF_SG_E_clIS8_S8_S9_S9_EESD_ST_SE_SF_SG_EUlST_E_NS1_11comp_targetILNS1_3genE10ELNS1_11target_archE1201ELNS1_3gpuE5ELNS1_3repE0EEENS1_48merge_mergepath_partition_config_static_selectorELNS0_4arch9wavefront6targetE0EEEvSF_.uses_vcc, 0
	.set _ZN7rocprim17ROCPRIM_400000_NS6detail17trampoline_kernelINS0_14default_configENS1_38merge_sort_block_merge_config_selectorImNS0_10empty_typeEEEZZNS1_27merge_sort_block_merge_implIS3_PmPS5_jNS1_19radix_merge_compareILb1ELb0EmNS0_19identity_decomposerEEEEE10hipError_tT0_T1_T2_jT3_P12ihipStream_tbPNSt15iterator_traitsISE_E10value_typeEPNSK_ISF_E10value_typeEPSG_NS1_7vsmem_tEENKUlT_SE_SF_SG_E_clIS8_S8_S9_S9_EESD_ST_SE_SF_SG_EUlST_E_NS1_11comp_targetILNS1_3genE10ELNS1_11target_archE1201ELNS1_3gpuE5ELNS1_3repE0EEENS1_48merge_mergepath_partition_config_static_selectorELNS0_4arch9wavefront6targetE0EEEvSF_.uses_flat_scratch, 0
	.set _ZN7rocprim17ROCPRIM_400000_NS6detail17trampoline_kernelINS0_14default_configENS1_38merge_sort_block_merge_config_selectorImNS0_10empty_typeEEEZZNS1_27merge_sort_block_merge_implIS3_PmPS5_jNS1_19radix_merge_compareILb1ELb0EmNS0_19identity_decomposerEEEEE10hipError_tT0_T1_T2_jT3_P12ihipStream_tbPNSt15iterator_traitsISE_E10value_typeEPNSK_ISF_E10value_typeEPSG_NS1_7vsmem_tEENKUlT_SE_SF_SG_E_clIS8_S8_S9_S9_EESD_ST_SE_SF_SG_EUlST_E_NS1_11comp_targetILNS1_3genE10ELNS1_11target_archE1201ELNS1_3gpuE5ELNS1_3repE0EEENS1_48merge_mergepath_partition_config_static_selectorELNS0_4arch9wavefront6targetE0EEEvSF_.has_dyn_sized_stack, 0
	.set _ZN7rocprim17ROCPRIM_400000_NS6detail17trampoline_kernelINS0_14default_configENS1_38merge_sort_block_merge_config_selectorImNS0_10empty_typeEEEZZNS1_27merge_sort_block_merge_implIS3_PmPS5_jNS1_19radix_merge_compareILb1ELb0EmNS0_19identity_decomposerEEEEE10hipError_tT0_T1_T2_jT3_P12ihipStream_tbPNSt15iterator_traitsISE_E10value_typeEPNSK_ISF_E10value_typeEPSG_NS1_7vsmem_tEENKUlT_SE_SF_SG_E_clIS8_S8_S9_S9_EESD_ST_SE_SF_SG_EUlST_E_NS1_11comp_targetILNS1_3genE10ELNS1_11target_archE1201ELNS1_3gpuE5ELNS1_3repE0EEENS1_48merge_mergepath_partition_config_static_selectorELNS0_4arch9wavefront6targetE0EEEvSF_.has_recursion, 0
	.set _ZN7rocprim17ROCPRIM_400000_NS6detail17trampoline_kernelINS0_14default_configENS1_38merge_sort_block_merge_config_selectorImNS0_10empty_typeEEEZZNS1_27merge_sort_block_merge_implIS3_PmPS5_jNS1_19radix_merge_compareILb1ELb0EmNS0_19identity_decomposerEEEEE10hipError_tT0_T1_T2_jT3_P12ihipStream_tbPNSt15iterator_traitsISE_E10value_typeEPNSK_ISF_E10value_typeEPSG_NS1_7vsmem_tEENKUlT_SE_SF_SG_E_clIS8_S8_S9_S9_EESD_ST_SE_SF_SG_EUlST_E_NS1_11comp_targetILNS1_3genE10ELNS1_11target_archE1201ELNS1_3gpuE5ELNS1_3repE0EEENS1_48merge_mergepath_partition_config_static_selectorELNS0_4arch9wavefront6targetE0EEEvSF_.has_indirect_call, 0
	.section	.AMDGPU.csdata,"",@progbits
; Kernel info:
; codeLenInByte = 0
; TotalNumSgprs: 0
; NumVgprs: 0
; ScratchSize: 0
; MemoryBound: 0
; FloatMode: 240
; IeeeMode: 1
; LDSByteSize: 0 bytes/workgroup (compile time only)
; SGPRBlocks: 0
; VGPRBlocks: 0
; NumSGPRsForWavesPerEU: 1
; NumVGPRsForWavesPerEU: 1
; NamedBarCnt: 0
; Occupancy: 16
; WaveLimiterHint : 0
; COMPUTE_PGM_RSRC2:SCRATCH_EN: 0
; COMPUTE_PGM_RSRC2:USER_SGPR: 2
; COMPUTE_PGM_RSRC2:TRAP_HANDLER: 0
; COMPUTE_PGM_RSRC2:TGID_X_EN: 1
; COMPUTE_PGM_RSRC2:TGID_Y_EN: 0
; COMPUTE_PGM_RSRC2:TGID_Z_EN: 0
; COMPUTE_PGM_RSRC2:TIDIG_COMP_CNT: 0
	.section	.text._ZN7rocprim17ROCPRIM_400000_NS6detail17trampoline_kernelINS0_14default_configENS1_38merge_sort_block_merge_config_selectorImNS0_10empty_typeEEEZZNS1_27merge_sort_block_merge_implIS3_PmPS5_jNS1_19radix_merge_compareILb1ELb0EmNS0_19identity_decomposerEEEEE10hipError_tT0_T1_T2_jT3_P12ihipStream_tbPNSt15iterator_traitsISE_E10value_typeEPNSK_ISF_E10value_typeEPSG_NS1_7vsmem_tEENKUlT_SE_SF_SG_E_clIS8_S8_S9_S9_EESD_ST_SE_SF_SG_EUlST_E_NS1_11comp_targetILNS1_3genE5ELNS1_11target_archE942ELNS1_3gpuE9ELNS1_3repE0EEENS1_48merge_mergepath_partition_config_static_selectorELNS0_4arch9wavefront6targetE0EEEvSF_,"axG",@progbits,_ZN7rocprim17ROCPRIM_400000_NS6detail17trampoline_kernelINS0_14default_configENS1_38merge_sort_block_merge_config_selectorImNS0_10empty_typeEEEZZNS1_27merge_sort_block_merge_implIS3_PmPS5_jNS1_19radix_merge_compareILb1ELb0EmNS0_19identity_decomposerEEEEE10hipError_tT0_T1_T2_jT3_P12ihipStream_tbPNSt15iterator_traitsISE_E10value_typeEPNSK_ISF_E10value_typeEPSG_NS1_7vsmem_tEENKUlT_SE_SF_SG_E_clIS8_S8_S9_S9_EESD_ST_SE_SF_SG_EUlST_E_NS1_11comp_targetILNS1_3genE5ELNS1_11target_archE942ELNS1_3gpuE9ELNS1_3repE0EEENS1_48merge_mergepath_partition_config_static_selectorELNS0_4arch9wavefront6targetE0EEEvSF_,comdat
	.protected	_ZN7rocprim17ROCPRIM_400000_NS6detail17trampoline_kernelINS0_14default_configENS1_38merge_sort_block_merge_config_selectorImNS0_10empty_typeEEEZZNS1_27merge_sort_block_merge_implIS3_PmPS5_jNS1_19radix_merge_compareILb1ELb0EmNS0_19identity_decomposerEEEEE10hipError_tT0_T1_T2_jT3_P12ihipStream_tbPNSt15iterator_traitsISE_E10value_typeEPNSK_ISF_E10value_typeEPSG_NS1_7vsmem_tEENKUlT_SE_SF_SG_E_clIS8_S8_S9_S9_EESD_ST_SE_SF_SG_EUlST_E_NS1_11comp_targetILNS1_3genE5ELNS1_11target_archE942ELNS1_3gpuE9ELNS1_3repE0EEENS1_48merge_mergepath_partition_config_static_selectorELNS0_4arch9wavefront6targetE0EEEvSF_ ; -- Begin function _ZN7rocprim17ROCPRIM_400000_NS6detail17trampoline_kernelINS0_14default_configENS1_38merge_sort_block_merge_config_selectorImNS0_10empty_typeEEEZZNS1_27merge_sort_block_merge_implIS3_PmPS5_jNS1_19radix_merge_compareILb1ELb0EmNS0_19identity_decomposerEEEEE10hipError_tT0_T1_T2_jT3_P12ihipStream_tbPNSt15iterator_traitsISE_E10value_typeEPNSK_ISF_E10value_typeEPSG_NS1_7vsmem_tEENKUlT_SE_SF_SG_E_clIS8_S8_S9_S9_EESD_ST_SE_SF_SG_EUlST_E_NS1_11comp_targetILNS1_3genE5ELNS1_11target_archE942ELNS1_3gpuE9ELNS1_3repE0EEENS1_48merge_mergepath_partition_config_static_selectorELNS0_4arch9wavefront6targetE0EEEvSF_
	.globl	_ZN7rocprim17ROCPRIM_400000_NS6detail17trampoline_kernelINS0_14default_configENS1_38merge_sort_block_merge_config_selectorImNS0_10empty_typeEEEZZNS1_27merge_sort_block_merge_implIS3_PmPS5_jNS1_19radix_merge_compareILb1ELb0EmNS0_19identity_decomposerEEEEE10hipError_tT0_T1_T2_jT3_P12ihipStream_tbPNSt15iterator_traitsISE_E10value_typeEPNSK_ISF_E10value_typeEPSG_NS1_7vsmem_tEENKUlT_SE_SF_SG_E_clIS8_S8_S9_S9_EESD_ST_SE_SF_SG_EUlST_E_NS1_11comp_targetILNS1_3genE5ELNS1_11target_archE942ELNS1_3gpuE9ELNS1_3repE0EEENS1_48merge_mergepath_partition_config_static_selectorELNS0_4arch9wavefront6targetE0EEEvSF_
	.p2align	8
	.type	_ZN7rocprim17ROCPRIM_400000_NS6detail17trampoline_kernelINS0_14default_configENS1_38merge_sort_block_merge_config_selectorImNS0_10empty_typeEEEZZNS1_27merge_sort_block_merge_implIS3_PmPS5_jNS1_19radix_merge_compareILb1ELb0EmNS0_19identity_decomposerEEEEE10hipError_tT0_T1_T2_jT3_P12ihipStream_tbPNSt15iterator_traitsISE_E10value_typeEPNSK_ISF_E10value_typeEPSG_NS1_7vsmem_tEENKUlT_SE_SF_SG_E_clIS8_S8_S9_S9_EESD_ST_SE_SF_SG_EUlST_E_NS1_11comp_targetILNS1_3genE5ELNS1_11target_archE942ELNS1_3gpuE9ELNS1_3repE0EEENS1_48merge_mergepath_partition_config_static_selectorELNS0_4arch9wavefront6targetE0EEEvSF_,@function
_ZN7rocprim17ROCPRIM_400000_NS6detail17trampoline_kernelINS0_14default_configENS1_38merge_sort_block_merge_config_selectorImNS0_10empty_typeEEEZZNS1_27merge_sort_block_merge_implIS3_PmPS5_jNS1_19radix_merge_compareILb1ELb0EmNS0_19identity_decomposerEEEEE10hipError_tT0_T1_T2_jT3_P12ihipStream_tbPNSt15iterator_traitsISE_E10value_typeEPNSK_ISF_E10value_typeEPSG_NS1_7vsmem_tEENKUlT_SE_SF_SG_E_clIS8_S8_S9_S9_EESD_ST_SE_SF_SG_EUlST_E_NS1_11comp_targetILNS1_3genE5ELNS1_11target_archE942ELNS1_3gpuE9ELNS1_3repE0EEENS1_48merge_mergepath_partition_config_static_selectorELNS0_4arch9wavefront6targetE0EEEvSF_: ; @_ZN7rocprim17ROCPRIM_400000_NS6detail17trampoline_kernelINS0_14default_configENS1_38merge_sort_block_merge_config_selectorImNS0_10empty_typeEEEZZNS1_27merge_sort_block_merge_implIS3_PmPS5_jNS1_19radix_merge_compareILb1ELb0EmNS0_19identity_decomposerEEEEE10hipError_tT0_T1_T2_jT3_P12ihipStream_tbPNSt15iterator_traitsISE_E10value_typeEPNSK_ISF_E10value_typeEPSG_NS1_7vsmem_tEENKUlT_SE_SF_SG_E_clIS8_S8_S9_S9_EESD_ST_SE_SF_SG_EUlST_E_NS1_11comp_targetILNS1_3genE5ELNS1_11target_archE942ELNS1_3gpuE9ELNS1_3repE0EEENS1_48merge_mergepath_partition_config_static_selectorELNS0_4arch9wavefront6targetE0EEEvSF_
; %bb.0:
	.section	.rodata,"a",@progbits
	.p2align	6, 0x0
	.amdhsa_kernel _ZN7rocprim17ROCPRIM_400000_NS6detail17trampoline_kernelINS0_14default_configENS1_38merge_sort_block_merge_config_selectorImNS0_10empty_typeEEEZZNS1_27merge_sort_block_merge_implIS3_PmPS5_jNS1_19radix_merge_compareILb1ELb0EmNS0_19identity_decomposerEEEEE10hipError_tT0_T1_T2_jT3_P12ihipStream_tbPNSt15iterator_traitsISE_E10value_typeEPNSK_ISF_E10value_typeEPSG_NS1_7vsmem_tEENKUlT_SE_SF_SG_E_clIS8_S8_S9_S9_EESD_ST_SE_SF_SG_EUlST_E_NS1_11comp_targetILNS1_3genE5ELNS1_11target_archE942ELNS1_3gpuE9ELNS1_3repE0EEENS1_48merge_mergepath_partition_config_static_selectorELNS0_4arch9wavefront6targetE0EEEvSF_
		.amdhsa_group_segment_fixed_size 0
		.amdhsa_private_segment_fixed_size 0
		.amdhsa_kernarg_size 40
		.amdhsa_user_sgpr_count 2
		.amdhsa_user_sgpr_dispatch_ptr 0
		.amdhsa_user_sgpr_queue_ptr 0
		.amdhsa_user_sgpr_kernarg_segment_ptr 1
		.amdhsa_user_sgpr_dispatch_id 0
		.amdhsa_user_sgpr_kernarg_preload_length 0
		.amdhsa_user_sgpr_kernarg_preload_offset 0
		.amdhsa_user_sgpr_private_segment_size 0
		.amdhsa_wavefront_size32 1
		.amdhsa_uses_dynamic_stack 0
		.amdhsa_enable_private_segment 0
		.amdhsa_system_sgpr_workgroup_id_x 1
		.amdhsa_system_sgpr_workgroup_id_y 0
		.amdhsa_system_sgpr_workgroup_id_z 0
		.amdhsa_system_sgpr_workgroup_info 0
		.amdhsa_system_vgpr_workitem_id 0
		.amdhsa_next_free_vgpr 1
		.amdhsa_next_free_sgpr 1
		.amdhsa_named_barrier_count 0
		.amdhsa_reserve_vcc 0
		.amdhsa_float_round_mode_32 0
		.amdhsa_float_round_mode_16_64 0
		.amdhsa_float_denorm_mode_32 3
		.amdhsa_float_denorm_mode_16_64 3
		.amdhsa_fp16_overflow 0
		.amdhsa_memory_ordered 1
		.amdhsa_forward_progress 1
		.amdhsa_inst_pref_size 0
		.amdhsa_round_robin_scheduling 0
		.amdhsa_exception_fp_ieee_invalid_op 0
		.amdhsa_exception_fp_denorm_src 0
		.amdhsa_exception_fp_ieee_div_zero 0
		.amdhsa_exception_fp_ieee_overflow 0
		.amdhsa_exception_fp_ieee_underflow 0
		.amdhsa_exception_fp_ieee_inexact 0
		.amdhsa_exception_int_div_zero 0
	.end_amdhsa_kernel
	.section	.text._ZN7rocprim17ROCPRIM_400000_NS6detail17trampoline_kernelINS0_14default_configENS1_38merge_sort_block_merge_config_selectorImNS0_10empty_typeEEEZZNS1_27merge_sort_block_merge_implIS3_PmPS5_jNS1_19radix_merge_compareILb1ELb0EmNS0_19identity_decomposerEEEEE10hipError_tT0_T1_T2_jT3_P12ihipStream_tbPNSt15iterator_traitsISE_E10value_typeEPNSK_ISF_E10value_typeEPSG_NS1_7vsmem_tEENKUlT_SE_SF_SG_E_clIS8_S8_S9_S9_EESD_ST_SE_SF_SG_EUlST_E_NS1_11comp_targetILNS1_3genE5ELNS1_11target_archE942ELNS1_3gpuE9ELNS1_3repE0EEENS1_48merge_mergepath_partition_config_static_selectorELNS0_4arch9wavefront6targetE0EEEvSF_,"axG",@progbits,_ZN7rocprim17ROCPRIM_400000_NS6detail17trampoline_kernelINS0_14default_configENS1_38merge_sort_block_merge_config_selectorImNS0_10empty_typeEEEZZNS1_27merge_sort_block_merge_implIS3_PmPS5_jNS1_19radix_merge_compareILb1ELb0EmNS0_19identity_decomposerEEEEE10hipError_tT0_T1_T2_jT3_P12ihipStream_tbPNSt15iterator_traitsISE_E10value_typeEPNSK_ISF_E10value_typeEPSG_NS1_7vsmem_tEENKUlT_SE_SF_SG_E_clIS8_S8_S9_S9_EESD_ST_SE_SF_SG_EUlST_E_NS1_11comp_targetILNS1_3genE5ELNS1_11target_archE942ELNS1_3gpuE9ELNS1_3repE0EEENS1_48merge_mergepath_partition_config_static_selectorELNS0_4arch9wavefront6targetE0EEEvSF_,comdat
.Lfunc_end2800:
	.size	_ZN7rocprim17ROCPRIM_400000_NS6detail17trampoline_kernelINS0_14default_configENS1_38merge_sort_block_merge_config_selectorImNS0_10empty_typeEEEZZNS1_27merge_sort_block_merge_implIS3_PmPS5_jNS1_19radix_merge_compareILb1ELb0EmNS0_19identity_decomposerEEEEE10hipError_tT0_T1_T2_jT3_P12ihipStream_tbPNSt15iterator_traitsISE_E10value_typeEPNSK_ISF_E10value_typeEPSG_NS1_7vsmem_tEENKUlT_SE_SF_SG_E_clIS8_S8_S9_S9_EESD_ST_SE_SF_SG_EUlST_E_NS1_11comp_targetILNS1_3genE5ELNS1_11target_archE942ELNS1_3gpuE9ELNS1_3repE0EEENS1_48merge_mergepath_partition_config_static_selectorELNS0_4arch9wavefront6targetE0EEEvSF_, .Lfunc_end2800-_ZN7rocprim17ROCPRIM_400000_NS6detail17trampoline_kernelINS0_14default_configENS1_38merge_sort_block_merge_config_selectorImNS0_10empty_typeEEEZZNS1_27merge_sort_block_merge_implIS3_PmPS5_jNS1_19radix_merge_compareILb1ELb0EmNS0_19identity_decomposerEEEEE10hipError_tT0_T1_T2_jT3_P12ihipStream_tbPNSt15iterator_traitsISE_E10value_typeEPNSK_ISF_E10value_typeEPSG_NS1_7vsmem_tEENKUlT_SE_SF_SG_E_clIS8_S8_S9_S9_EESD_ST_SE_SF_SG_EUlST_E_NS1_11comp_targetILNS1_3genE5ELNS1_11target_archE942ELNS1_3gpuE9ELNS1_3repE0EEENS1_48merge_mergepath_partition_config_static_selectorELNS0_4arch9wavefront6targetE0EEEvSF_
                                        ; -- End function
	.set _ZN7rocprim17ROCPRIM_400000_NS6detail17trampoline_kernelINS0_14default_configENS1_38merge_sort_block_merge_config_selectorImNS0_10empty_typeEEEZZNS1_27merge_sort_block_merge_implIS3_PmPS5_jNS1_19radix_merge_compareILb1ELb0EmNS0_19identity_decomposerEEEEE10hipError_tT0_T1_T2_jT3_P12ihipStream_tbPNSt15iterator_traitsISE_E10value_typeEPNSK_ISF_E10value_typeEPSG_NS1_7vsmem_tEENKUlT_SE_SF_SG_E_clIS8_S8_S9_S9_EESD_ST_SE_SF_SG_EUlST_E_NS1_11comp_targetILNS1_3genE5ELNS1_11target_archE942ELNS1_3gpuE9ELNS1_3repE0EEENS1_48merge_mergepath_partition_config_static_selectorELNS0_4arch9wavefront6targetE0EEEvSF_.num_vgpr, 0
	.set _ZN7rocprim17ROCPRIM_400000_NS6detail17trampoline_kernelINS0_14default_configENS1_38merge_sort_block_merge_config_selectorImNS0_10empty_typeEEEZZNS1_27merge_sort_block_merge_implIS3_PmPS5_jNS1_19radix_merge_compareILb1ELb0EmNS0_19identity_decomposerEEEEE10hipError_tT0_T1_T2_jT3_P12ihipStream_tbPNSt15iterator_traitsISE_E10value_typeEPNSK_ISF_E10value_typeEPSG_NS1_7vsmem_tEENKUlT_SE_SF_SG_E_clIS8_S8_S9_S9_EESD_ST_SE_SF_SG_EUlST_E_NS1_11comp_targetILNS1_3genE5ELNS1_11target_archE942ELNS1_3gpuE9ELNS1_3repE0EEENS1_48merge_mergepath_partition_config_static_selectorELNS0_4arch9wavefront6targetE0EEEvSF_.num_agpr, 0
	.set _ZN7rocprim17ROCPRIM_400000_NS6detail17trampoline_kernelINS0_14default_configENS1_38merge_sort_block_merge_config_selectorImNS0_10empty_typeEEEZZNS1_27merge_sort_block_merge_implIS3_PmPS5_jNS1_19radix_merge_compareILb1ELb0EmNS0_19identity_decomposerEEEEE10hipError_tT0_T1_T2_jT3_P12ihipStream_tbPNSt15iterator_traitsISE_E10value_typeEPNSK_ISF_E10value_typeEPSG_NS1_7vsmem_tEENKUlT_SE_SF_SG_E_clIS8_S8_S9_S9_EESD_ST_SE_SF_SG_EUlST_E_NS1_11comp_targetILNS1_3genE5ELNS1_11target_archE942ELNS1_3gpuE9ELNS1_3repE0EEENS1_48merge_mergepath_partition_config_static_selectorELNS0_4arch9wavefront6targetE0EEEvSF_.numbered_sgpr, 0
	.set _ZN7rocprim17ROCPRIM_400000_NS6detail17trampoline_kernelINS0_14default_configENS1_38merge_sort_block_merge_config_selectorImNS0_10empty_typeEEEZZNS1_27merge_sort_block_merge_implIS3_PmPS5_jNS1_19radix_merge_compareILb1ELb0EmNS0_19identity_decomposerEEEEE10hipError_tT0_T1_T2_jT3_P12ihipStream_tbPNSt15iterator_traitsISE_E10value_typeEPNSK_ISF_E10value_typeEPSG_NS1_7vsmem_tEENKUlT_SE_SF_SG_E_clIS8_S8_S9_S9_EESD_ST_SE_SF_SG_EUlST_E_NS1_11comp_targetILNS1_3genE5ELNS1_11target_archE942ELNS1_3gpuE9ELNS1_3repE0EEENS1_48merge_mergepath_partition_config_static_selectorELNS0_4arch9wavefront6targetE0EEEvSF_.num_named_barrier, 0
	.set _ZN7rocprim17ROCPRIM_400000_NS6detail17trampoline_kernelINS0_14default_configENS1_38merge_sort_block_merge_config_selectorImNS0_10empty_typeEEEZZNS1_27merge_sort_block_merge_implIS3_PmPS5_jNS1_19radix_merge_compareILb1ELb0EmNS0_19identity_decomposerEEEEE10hipError_tT0_T1_T2_jT3_P12ihipStream_tbPNSt15iterator_traitsISE_E10value_typeEPNSK_ISF_E10value_typeEPSG_NS1_7vsmem_tEENKUlT_SE_SF_SG_E_clIS8_S8_S9_S9_EESD_ST_SE_SF_SG_EUlST_E_NS1_11comp_targetILNS1_3genE5ELNS1_11target_archE942ELNS1_3gpuE9ELNS1_3repE0EEENS1_48merge_mergepath_partition_config_static_selectorELNS0_4arch9wavefront6targetE0EEEvSF_.private_seg_size, 0
	.set _ZN7rocprim17ROCPRIM_400000_NS6detail17trampoline_kernelINS0_14default_configENS1_38merge_sort_block_merge_config_selectorImNS0_10empty_typeEEEZZNS1_27merge_sort_block_merge_implIS3_PmPS5_jNS1_19radix_merge_compareILb1ELb0EmNS0_19identity_decomposerEEEEE10hipError_tT0_T1_T2_jT3_P12ihipStream_tbPNSt15iterator_traitsISE_E10value_typeEPNSK_ISF_E10value_typeEPSG_NS1_7vsmem_tEENKUlT_SE_SF_SG_E_clIS8_S8_S9_S9_EESD_ST_SE_SF_SG_EUlST_E_NS1_11comp_targetILNS1_3genE5ELNS1_11target_archE942ELNS1_3gpuE9ELNS1_3repE0EEENS1_48merge_mergepath_partition_config_static_selectorELNS0_4arch9wavefront6targetE0EEEvSF_.uses_vcc, 0
	.set _ZN7rocprim17ROCPRIM_400000_NS6detail17trampoline_kernelINS0_14default_configENS1_38merge_sort_block_merge_config_selectorImNS0_10empty_typeEEEZZNS1_27merge_sort_block_merge_implIS3_PmPS5_jNS1_19radix_merge_compareILb1ELb0EmNS0_19identity_decomposerEEEEE10hipError_tT0_T1_T2_jT3_P12ihipStream_tbPNSt15iterator_traitsISE_E10value_typeEPNSK_ISF_E10value_typeEPSG_NS1_7vsmem_tEENKUlT_SE_SF_SG_E_clIS8_S8_S9_S9_EESD_ST_SE_SF_SG_EUlST_E_NS1_11comp_targetILNS1_3genE5ELNS1_11target_archE942ELNS1_3gpuE9ELNS1_3repE0EEENS1_48merge_mergepath_partition_config_static_selectorELNS0_4arch9wavefront6targetE0EEEvSF_.uses_flat_scratch, 0
	.set _ZN7rocprim17ROCPRIM_400000_NS6detail17trampoline_kernelINS0_14default_configENS1_38merge_sort_block_merge_config_selectorImNS0_10empty_typeEEEZZNS1_27merge_sort_block_merge_implIS3_PmPS5_jNS1_19radix_merge_compareILb1ELb0EmNS0_19identity_decomposerEEEEE10hipError_tT0_T1_T2_jT3_P12ihipStream_tbPNSt15iterator_traitsISE_E10value_typeEPNSK_ISF_E10value_typeEPSG_NS1_7vsmem_tEENKUlT_SE_SF_SG_E_clIS8_S8_S9_S9_EESD_ST_SE_SF_SG_EUlST_E_NS1_11comp_targetILNS1_3genE5ELNS1_11target_archE942ELNS1_3gpuE9ELNS1_3repE0EEENS1_48merge_mergepath_partition_config_static_selectorELNS0_4arch9wavefront6targetE0EEEvSF_.has_dyn_sized_stack, 0
	.set _ZN7rocprim17ROCPRIM_400000_NS6detail17trampoline_kernelINS0_14default_configENS1_38merge_sort_block_merge_config_selectorImNS0_10empty_typeEEEZZNS1_27merge_sort_block_merge_implIS3_PmPS5_jNS1_19radix_merge_compareILb1ELb0EmNS0_19identity_decomposerEEEEE10hipError_tT0_T1_T2_jT3_P12ihipStream_tbPNSt15iterator_traitsISE_E10value_typeEPNSK_ISF_E10value_typeEPSG_NS1_7vsmem_tEENKUlT_SE_SF_SG_E_clIS8_S8_S9_S9_EESD_ST_SE_SF_SG_EUlST_E_NS1_11comp_targetILNS1_3genE5ELNS1_11target_archE942ELNS1_3gpuE9ELNS1_3repE0EEENS1_48merge_mergepath_partition_config_static_selectorELNS0_4arch9wavefront6targetE0EEEvSF_.has_recursion, 0
	.set _ZN7rocprim17ROCPRIM_400000_NS6detail17trampoline_kernelINS0_14default_configENS1_38merge_sort_block_merge_config_selectorImNS0_10empty_typeEEEZZNS1_27merge_sort_block_merge_implIS3_PmPS5_jNS1_19radix_merge_compareILb1ELb0EmNS0_19identity_decomposerEEEEE10hipError_tT0_T1_T2_jT3_P12ihipStream_tbPNSt15iterator_traitsISE_E10value_typeEPNSK_ISF_E10value_typeEPSG_NS1_7vsmem_tEENKUlT_SE_SF_SG_E_clIS8_S8_S9_S9_EESD_ST_SE_SF_SG_EUlST_E_NS1_11comp_targetILNS1_3genE5ELNS1_11target_archE942ELNS1_3gpuE9ELNS1_3repE0EEENS1_48merge_mergepath_partition_config_static_selectorELNS0_4arch9wavefront6targetE0EEEvSF_.has_indirect_call, 0
	.section	.AMDGPU.csdata,"",@progbits
; Kernel info:
; codeLenInByte = 0
; TotalNumSgprs: 0
; NumVgprs: 0
; ScratchSize: 0
; MemoryBound: 0
; FloatMode: 240
; IeeeMode: 1
; LDSByteSize: 0 bytes/workgroup (compile time only)
; SGPRBlocks: 0
; VGPRBlocks: 0
; NumSGPRsForWavesPerEU: 1
; NumVGPRsForWavesPerEU: 1
; NamedBarCnt: 0
; Occupancy: 16
; WaveLimiterHint : 0
; COMPUTE_PGM_RSRC2:SCRATCH_EN: 0
; COMPUTE_PGM_RSRC2:USER_SGPR: 2
; COMPUTE_PGM_RSRC2:TRAP_HANDLER: 0
; COMPUTE_PGM_RSRC2:TGID_X_EN: 1
; COMPUTE_PGM_RSRC2:TGID_Y_EN: 0
; COMPUTE_PGM_RSRC2:TGID_Z_EN: 0
; COMPUTE_PGM_RSRC2:TIDIG_COMP_CNT: 0
	.section	.text._ZN7rocprim17ROCPRIM_400000_NS6detail17trampoline_kernelINS0_14default_configENS1_38merge_sort_block_merge_config_selectorImNS0_10empty_typeEEEZZNS1_27merge_sort_block_merge_implIS3_PmPS5_jNS1_19radix_merge_compareILb1ELb0EmNS0_19identity_decomposerEEEEE10hipError_tT0_T1_T2_jT3_P12ihipStream_tbPNSt15iterator_traitsISE_E10value_typeEPNSK_ISF_E10value_typeEPSG_NS1_7vsmem_tEENKUlT_SE_SF_SG_E_clIS8_S8_S9_S9_EESD_ST_SE_SF_SG_EUlST_E_NS1_11comp_targetILNS1_3genE4ELNS1_11target_archE910ELNS1_3gpuE8ELNS1_3repE0EEENS1_48merge_mergepath_partition_config_static_selectorELNS0_4arch9wavefront6targetE0EEEvSF_,"axG",@progbits,_ZN7rocprim17ROCPRIM_400000_NS6detail17trampoline_kernelINS0_14default_configENS1_38merge_sort_block_merge_config_selectorImNS0_10empty_typeEEEZZNS1_27merge_sort_block_merge_implIS3_PmPS5_jNS1_19radix_merge_compareILb1ELb0EmNS0_19identity_decomposerEEEEE10hipError_tT0_T1_T2_jT3_P12ihipStream_tbPNSt15iterator_traitsISE_E10value_typeEPNSK_ISF_E10value_typeEPSG_NS1_7vsmem_tEENKUlT_SE_SF_SG_E_clIS8_S8_S9_S9_EESD_ST_SE_SF_SG_EUlST_E_NS1_11comp_targetILNS1_3genE4ELNS1_11target_archE910ELNS1_3gpuE8ELNS1_3repE0EEENS1_48merge_mergepath_partition_config_static_selectorELNS0_4arch9wavefront6targetE0EEEvSF_,comdat
	.protected	_ZN7rocprim17ROCPRIM_400000_NS6detail17trampoline_kernelINS0_14default_configENS1_38merge_sort_block_merge_config_selectorImNS0_10empty_typeEEEZZNS1_27merge_sort_block_merge_implIS3_PmPS5_jNS1_19radix_merge_compareILb1ELb0EmNS0_19identity_decomposerEEEEE10hipError_tT0_T1_T2_jT3_P12ihipStream_tbPNSt15iterator_traitsISE_E10value_typeEPNSK_ISF_E10value_typeEPSG_NS1_7vsmem_tEENKUlT_SE_SF_SG_E_clIS8_S8_S9_S9_EESD_ST_SE_SF_SG_EUlST_E_NS1_11comp_targetILNS1_3genE4ELNS1_11target_archE910ELNS1_3gpuE8ELNS1_3repE0EEENS1_48merge_mergepath_partition_config_static_selectorELNS0_4arch9wavefront6targetE0EEEvSF_ ; -- Begin function _ZN7rocprim17ROCPRIM_400000_NS6detail17trampoline_kernelINS0_14default_configENS1_38merge_sort_block_merge_config_selectorImNS0_10empty_typeEEEZZNS1_27merge_sort_block_merge_implIS3_PmPS5_jNS1_19radix_merge_compareILb1ELb0EmNS0_19identity_decomposerEEEEE10hipError_tT0_T1_T2_jT3_P12ihipStream_tbPNSt15iterator_traitsISE_E10value_typeEPNSK_ISF_E10value_typeEPSG_NS1_7vsmem_tEENKUlT_SE_SF_SG_E_clIS8_S8_S9_S9_EESD_ST_SE_SF_SG_EUlST_E_NS1_11comp_targetILNS1_3genE4ELNS1_11target_archE910ELNS1_3gpuE8ELNS1_3repE0EEENS1_48merge_mergepath_partition_config_static_selectorELNS0_4arch9wavefront6targetE0EEEvSF_
	.globl	_ZN7rocprim17ROCPRIM_400000_NS6detail17trampoline_kernelINS0_14default_configENS1_38merge_sort_block_merge_config_selectorImNS0_10empty_typeEEEZZNS1_27merge_sort_block_merge_implIS3_PmPS5_jNS1_19radix_merge_compareILb1ELb0EmNS0_19identity_decomposerEEEEE10hipError_tT0_T1_T2_jT3_P12ihipStream_tbPNSt15iterator_traitsISE_E10value_typeEPNSK_ISF_E10value_typeEPSG_NS1_7vsmem_tEENKUlT_SE_SF_SG_E_clIS8_S8_S9_S9_EESD_ST_SE_SF_SG_EUlST_E_NS1_11comp_targetILNS1_3genE4ELNS1_11target_archE910ELNS1_3gpuE8ELNS1_3repE0EEENS1_48merge_mergepath_partition_config_static_selectorELNS0_4arch9wavefront6targetE0EEEvSF_
	.p2align	8
	.type	_ZN7rocprim17ROCPRIM_400000_NS6detail17trampoline_kernelINS0_14default_configENS1_38merge_sort_block_merge_config_selectorImNS0_10empty_typeEEEZZNS1_27merge_sort_block_merge_implIS3_PmPS5_jNS1_19radix_merge_compareILb1ELb0EmNS0_19identity_decomposerEEEEE10hipError_tT0_T1_T2_jT3_P12ihipStream_tbPNSt15iterator_traitsISE_E10value_typeEPNSK_ISF_E10value_typeEPSG_NS1_7vsmem_tEENKUlT_SE_SF_SG_E_clIS8_S8_S9_S9_EESD_ST_SE_SF_SG_EUlST_E_NS1_11comp_targetILNS1_3genE4ELNS1_11target_archE910ELNS1_3gpuE8ELNS1_3repE0EEENS1_48merge_mergepath_partition_config_static_selectorELNS0_4arch9wavefront6targetE0EEEvSF_,@function
_ZN7rocprim17ROCPRIM_400000_NS6detail17trampoline_kernelINS0_14default_configENS1_38merge_sort_block_merge_config_selectorImNS0_10empty_typeEEEZZNS1_27merge_sort_block_merge_implIS3_PmPS5_jNS1_19radix_merge_compareILb1ELb0EmNS0_19identity_decomposerEEEEE10hipError_tT0_T1_T2_jT3_P12ihipStream_tbPNSt15iterator_traitsISE_E10value_typeEPNSK_ISF_E10value_typeEPSG_NS1_7vsmem_tEENKUlT_SE_SF_SG_E_clIS8_S8_S9_S9_EESD_ST_SE_SF_SG_EUlST_E_NS1_11comp_targetILNS1_3genE4ELNS1_11target_archE910ELNS1_3gpuE8ELNS1_3repE0EEENS1_48merge_mergepath_partition_config_static_selectorELNS0_4arch9wavefront6targetE0EEEvSF_: ; @_ZN7rocprim17ROCPRIM_400000_NS6detail17trampoline_kernelINS0_14default_configENS1_38merge_sort_block_merge_config_selectorImNS0_10empty_typeEEEZZNS1_27merge_sort_block_merge_implIS3_PmPS5_jNS1_19radix_merge_compareILb1ELb0EmNS0_19identity_decomposerEEEEE10hipError_tT0_T1_T2_jT3_P12ihipStream_tbPNSt15iterator_traitsISE_E10value_typeEPNSK_ISF_E10value_typeEPSG_NS1_7vsmem_tEENKUlT_SE_SF_SG_E_clIS8_S8_S9_S9_EESD_ST_SE_SF_SG_EUlST_E_NS1_11comp_targetILNS1_3genE4ELNS1_11target_archE910ELNS1_3gpuE8ELNS1_3repE0EEENS1_48merge_mergepath_partition_config_static_selectorELNS0_4arch9wavefront6targetE0EEEvSF_
; %bb.0:
	.section	.rodata,"a",@progbits
	.p2align	6, 0x0
	.amdhsa_kernel _ZN7rocprim17ROCPRIM_400000_NS6detail17trampoline_kernelINS0_14default_configENS1_38merge_sort_block_merge_config_selectorImNS0_10empty_typeEEEZZNS1_27merge_sort_block_merge_implIS3_PmPS5_jNS1_19radix_merge_compareILb1ELb0EmNS0_19identity_decomposerEEEEE10hipError_tT0_T1_T2_jT3_P12ihipStream_tbPNSt15iterator_traitsISE_E10value_typeEPNSK_ISF_E10value_typeEPSG_NS1_7vsmem_tEENKUlT_SE_SF_SG_E_clIS8_S8_S9_S9_EESD_ST_SE_SF_SG_EUlST_E_NS1_11comp_targetILNS1_3genE4ELNS1_11target_archE910ELNS1_3gpuE8ELNS1_3repE0EEENS1_48merge_mergepath_partition_config_static_selectorELNS0_4arch9wavefront6targetE0EEEvSF_
		.amdhsa_group_segment_fixed_size 0
		.amdhsa_private_segment_fixed_size 0
		.amdhsa_kernarg_size 40
		.amdhsa_user_sgpr_count 2
		.amdhsa_user_sgpr_dispatch_ptr 0
		.amdhsa_user_sgpr_queue_ptr 0
		.amdhsa_user_sgpr_kernarg_segment_ptr 1
		.amdhsa_user_sgpr_dispatch_id 0
		.amdhsa_user_sgpr_kernarg_preload_length 0
		.amdhsa_user_sgpr_kernarg_preload_offset 0
		.amdhsa_user_sgpr_private_segment_size 0
		.amdhsa_wavefront_size32 1
		.amdhsa_uses_dynamic_stack 0
		.amdhsa_enable_private_segment 0
		.amdhsa_system_sgpr_workgroup_id_x 1
		.amdhsa_system_sgpr_workgroup_id_y 0
		.amdhsa_system_sgpr_workgroup_id_z 0
		.amdhsa_system_sgpr_workgroup_info 0
		.amdhsa_system_vgpr_workitem_id 0
		.amdhsa_next_free_vgpr 1
		.amdhsa_next_free_sgpr 1
		.amdhsa_named_barrier_count 0
		.amdhsa_reserve_vcc 0
		.amdhsa_float_round_mode_32 0
		.amdhsa_float_round_mode_16_64 0
		.amdhsa_float_denorm_mode_32 3
		.amdhsa_float_denorm_mode_16_64 3
		.amdhsa_fp16_overflow 0
		.amdhsa_memory_ordered 1
		.amdhsa_forward_progress 1
		.amdhsa_inst_pref_size 0
		.amdhsa_round_robin_scheduling 0
		.amdhsa_exception_fp_ieee_invalid_op 0
		.amdhsa_exception_fp_denorm_src 0
		.amdhsa_exception_fp_ieee_div_zero 0
		.amdhsa_exception_fp_ieee_overflow 0
		.amdhsa_exception_fp_ieee_underflow 0
		.amdhsa_exception_fp_ieee_inexact 0
		.amdhsa_exception_int_div_zero 0
	.end_amdhsa_kernel
	.section	.text._ZN7rocprim17ROCPRIM_400000_NS6detail17trampoline_kernelINS0_14default_configENS1_38merge_sort_block_merge_config_selectorImNS0_10empty_typeEEEZZNS1_27merge_sort_block_merge_implIS3_PmPS5_jNS1_19radix_merge_compareILb1ELb0EmNS0_19identity_decomposerEEEEE10hipError_tT0_T1_T2_jT3_P12ihipStream_tbPNSt15iterator_traitsISE_E10value_typeEPNSK_ISF_E10value_typeEPSG_NS1_7vsmem_tEENKUlT_SE_SF_SG_E_clIS8_S8_S9_S9_EESD_ST_SE_SF_SG_EUlST_E_NS1_11comp_targetILNS1_3genE4ELNS1_11target_archE910ELNS1_3gpuE8ELNS1_3repE0EEENS1_48merge_mergepath_partition_config_static_selectorELNS0_4arch9wavefront6targetE0EEEvSF_,"axG",@progbits,_ZN7rocprim17ROCPRIM_400000_NS6detail17trampoline_kernelINS0_14default_configENS1_38merge_sort_block_merge_config_selectorImNS0_10empty_typeEEEZZNS1_27merge_sort_block_merge_implIS3_PmPS5_jNS1_19radix_merge_compareILb1ELb0EmNS0_19identity_decomposerEEEEE10hipError_tT0_T1_T2_jT3_P12ihipStream_tbPNSt15iterator_traitsISE_E10value_typeEPNSK_ISF_E10value_typeEPSG_NS1_7vsmem_tEENKUlT_SE_SF_SG_E_clIS8_S8_S9_S9_EESD_ST_SE_SF_SG_EUlST_E_NS1_11comp_targetILNS1_3genE4ELNS1_11target_archE910ELNS1_3gpuE8ELNS1_3repE0EEENS1_48merge_mergepath_partition_config_static_selectorELNS0_4arch9wavefront6targetE0EEEvSF_,comdat
.Lfunc_end2801:
	.size	_ZN7rocprim17ROCPRIM_400000_NS6detail17trampoline_kernelINS0_14default_configENS1_38merge_sort_block_merge_config_selectorImNS0_10empty_typeEEEZZNS1_27merge_sort_block_merge_implIS3_PmPS5_jNS1_19radix_merge_compareILb1ELb0EmNS0_19identity_decomposerEEEEE10hipError_tT0_T1_T2_jT3_P12ihipStream_tbPNSt15iterator_traitsISE_E10value_typeEPNSK_ISF_E10value_typeEPSG_NS1_7vsmem_tEENKUlT_SE_SF_SG_E_clIS8_S8_S9_S9_EESD_ST_SE_SF_SG_EUlST_E_NS1_11comp_targetILNS1_3genE4ELNS1_11target_archE910ELNS1_3gpuE8ELNS1_3repE0EEENS1_48merge_mergepath_partition_config_static_selectorELNS0_4arch9wavefront6targetE0EEEvSF_, .Lfunc_end2801-_ZN7rocprim17ROCPRIM_400000_NS6detail17trampoline_kernelINS0_14default_configENS1_38merge_sort_block_merge_config_selectorImNS0_10empty_typeEEEZZNS1_27merge_sort_block_merge_implIS3_PmPS5_jNS1_19radix_merge_compareILb1ELb0EmNS0_19identity_decomposerEEEEE10hipError_tT0_T1_T2_jT3_P12ihipStream_tbPNSt15iterator_traitsISE_E10value_typeEPNSK_ISF_E10value_typeEPSG_NS1_7vsmem_tEENKUlT_SE_SF_SG_E_clIS8_S8_S9_S9_EESD_ST_SE_SF_SG_EUlST_E_NS1_11comp_targetILNS1_3genE4ELNS1_11target_archE910ELNS1_3gpuE8ELNS1_3repE0EEENS1_48merge_mergepath_partition_config_static_selectorELNS0_4arch9wavefront6targetE0EEEvSF_
                                        ; -- End function
	.set _ZN7rocprim17ROCPRIM_400000_NS6detail17trampoline_kernelINS0_14default_configENS1_38merge_sort_block_merge_config_selectorImNS0_10empty_typeEEEZZNS1_27merge_sort_block_merge_implIS3_PmPS5_jNS1_19radix_merge_compareILb1ELb0EmNS0_19identity_decomposerEEEEE10hipError_tT0_T1_T2_jT3_P12ihipStream_tbPNSt15iterator_traitsISE_E10value_typeEPNSK_ISF_E10value_typeEPSG_NS1_7vsmem_tEENKUlT_SE_SF_SG_E_clIS8_S8_S9_S9_EESD_ST_SE_SF_SG_EUlST_E_NS1_11comp_targetILNS1_3genE4ELNS1_11target_archE910ELNS1_3gpuE8ELNS1_3repE0EEENS1_48merge_mergepath_partition_config_static_selectorELNS0_4arch9wavefront6targetE0EEEvSF_.num_vgpr, 0
	.set _ZN7rocprim17ROCPRIM_400000_NS6detail17trampoline_kernelINS0_14default_configENS1_38merge_sort_block_merge_config_selectorImNS0_10empty_typeEEEZZNS1_27merge_sort_block_merge_implIS3_PmPS5_jNS1_19radix_merge_compareILb1ELb0EmNS0_19identity_decomposerEEEEE10hipError_tT0_T1_T2_jT3_P12ihipStream_tbPNSt15iterator_traitsISE_E10value_typeEPNSK_ISF_E10value_typeEPSG_NS1_7vsmem_tEENKUlT_SE_SF_SG_E_clIS8_S8_S9_S9_EESD_ST_SE_SF_SG_EUlST_E_NS1_11comp_targetILNS1_3genE4ELNS1_11target_archE910ELNS1_3gpuE8ELNS1_3repE0EEENS1_48merge_mergepath_partition_config_static_selectorELNS0_4arch9wavefront6targetE0EEEvSF_.num_agpr, 0
	.set _ZN7rocprim17ROCPRIM_400000_NS6detail17trampoline_kernelINS0_14default_configENS1_38merge_sort_block_merge_config_selectorImNS0_10empty_typeEEEZZNS1_27merge_sort_block_merge_implIS3_PmPS5_jNS1_19radix_merge_compareILb1ELb0EmNS0_19identity_decomposerEEEEE10hipError_tT0_T1_T2_jT3_P12ihipStream_tbPNSt15iterator_traitsISE_E10value_typeEPNSK_ISF_E10value_typeEPSG_NS1_7vsmem_tEENKUlT_SE_SF_SG_E_clIS8_S8_S9_S9_EESD_ST_SE_SF_SG_EUlST_E_NS1_11comp_targetILNS1_3genE4ELNS1_11target_archE910ELNS1_3gpuE8ELNS1_3repE0EEENS1_48merge_mergepath_partition_config_static_selectorELNS0_4arch9wavefront6targetE0EEEvSF_.numbered_sgpr, 0
	.set _ZN7rocprim17ROCPRIM_400000_NS6detail17trampoline_kernelINS0_14default_configENS1_38merge_sort_block_merge_config_selectorImNS0_10empty_typeEEEZZNS1_27merge_sort_block_merge_implIS3_PmPS5_jNS1_19radix_merge_compareILb1ELb0EmNS0_19identity_decomposerEEEEE10hipError_tT0_T1_T2_jT3_P12ihipStream_tbPNSt15iterator_traitsISE_E10value_typeEPNSK_ISF_E10value_typeEPSG_NS1_7vsmem_tEENKUlT_SE_SF_SG_E_clIS8_S8_S9_S9_EESD_ST_SE_SF_SG_EUlST_E_NS1_11comp_targetILNS1_3genE4ELNS1_11target_archE910ELNS1_3gpuE8ELNS1_3repE0EEENS1_48merge_mergepath_partition_config_static_selectorELNS0_4arch9wavefront6targetE0EEEvSF_.num_named_barrier, 0
	.set _ZN7rocprim17ROCPRIM_400000_NS6detail17trampoline_kernelINS0_14default_configENS1_38merge_sort_block_merge_config_selectorImNS0_10empty_typeEEEZZNS1_27merge_sort_block_merge_implIS3_PmPS5_jNS1_19radix_merge_compareILb1ELb0EmNS0_19identity_decomposerEEEEE10hipError_tT0_T1_T2_jT3_P12ihipStream_tbPNSt15iterator_traitsISE_E10value_typeEPNSK_ISF_E10value_typeEPSG_NS1_7vsmem_tEENKUlT_SE_SF_SG_E_clIS8_S8_S9_S9_EESD_ST_SE_SF_SG_EUlST_E_NS1_11comp_targetILNS1_3genE4ELNS1_11target_archE910ELNS1_3gpuE8ELNS1_3repE0EEENS1_48merge_mergepath_partition_config_static_selectorELNS0_4arch9wavefront6targetE0EEEvSF_.private_seg_size, 0
	.set _ZN7rocprim17ROCPRIM_400000_NS6detail17trampoline_kernelINS0_14default_configENS1_38merge_sort_block_merge_config_selectorImNS0_10empty_typeEEEZZNS1_27merge_sort_block_merge_implIS3_PmPS5_jNS1_19radix_merge_compareILb1ELb0EmNS0_19identity_decomposerEEEEE10hipError_tT0_T1_T2_jT3_P12ihipStream_tbPNSt15iterator_traitsISE_E10value_typeEPNSK_ISF_E10value_typeEPSG_NS1_7vsmem_tEENKUlT_SE_SF_SG_E_clIS8_S8_S9_S9_EESD_ST_SE_SF_SG_EUlST_E_NS1_11comp_targetILNS1_3genE4ELNS1_11target_archE910ELNS1_3gpuE8ELNS1_3repE0EEENS1_48merge_mergepath_partition_config_static_selectorELNS0_4arch9wavefront6targetE0EEEvSF_.uses_vcc, 0
	.set _ZN7rocprim17ROCPRIM_400000_NS6detail17trampoline_kernelINS0_14default_configENS1_38merge_sort_block_merge_config_selectorImNS0_10empty_typeEEEZZNS1_27merge_sort_block_merge_implIS3_PmPS5_jNS1_19radix_merge_compareILb1ELb0EmNS0_19identity_decomposerEEEEE10hipError_tT0_T1_T2_jT3_P12ihipStream_tbPNSt15iterator_traitsISE_E10value_typeEPNSK_ISF_E10value_typeEPSG_NS1_7vsmem_tEENKUlT_SE_SF_SG_E_clIS8_S8_S9_S9_EESD_ST_SE_SF_SG_EUlST_E_NS1_11comp_targetILNS1_3genE4ELNS1_11target_archE910ELNS1_3gpuE8ELNS1_3repE0EEENS1_48merge_mergepath_partition_config_static_selectorELNS0_4arch9wavefront6targetE0EEEvSF_.uses_flat_scratch, 0
	.set _ZN7rocprim17ROCPRIM_400000_NS6detail17trampoline_kernelINS0_14default_configENS1_38merge_sort_block_merge_config_selectorImNS0_10empty_typeEEEZZNS1_27merge_sort_block_merge_implIS3_PmPS5_jNS1_19radix_merge_compareILb1ELb0EmNS0_19identity_decomposerEEEEE10hipError_tT0_T1_T2_jT3_P12ihipStream_tbPNSt15iterator_traitsISE_E10value_typeEPNSK_ISF_E10value_typeEPSG_NS1_7vsmem_tEENKUlT_SE_SF_SG_E_clIS8_S8_S9_S9_EESD_ST_SE_SF_SG_EUlST_E_NS1_11comp_targetILNS1_3genE4ELNS1_11target_archE910ELNS1_3gpuE8ELNS1_3repE0EEENS1_48merge_mergepath_partition_config_static_selectorELNS0_4arch9wavefront6targetE0EEEvSF_.has_dyn_sized_stack, 0
	.set _ZN7rocprim17ROCPRIM_400000_NS6detail17trampoline_kernelINS0_14default_configENS1_38merge_sort_block_merge_config_selectorImNS0_10empty_typeEEEZZNS1_27merge_sort_block_merge_implIS3_PmPS5_jNS1_19radix_merge_compareILb1ELb0EmNS0_19identity_decomposerEEEEE10hipError_tT0_T1_T2_jT3_P12ihipStream_tbPNSt15iterator_traitsISE_E10value_typeEPNSK_ISF_E10value_typeEPSG_NS1_7vsmem_tEENKUlT_SE_SF_SG_E_clIS8_S8_S9_S9_EESD_ST_SE_SF_SG_EUlST_E_NS1_11comp_targetILNS1_3genE4ELNS1_11target_archE910ELNS1_3gpuE8ELNS1_3repE0EEENS1_48merge_mergepath_partition_config_static_selectorELNS0_4arch9wavefront6targetE0EEEvSF_.has_recursion, 0
	.set _ZN7rocprim17ROCPRIM_400000_NS6detail17trampoline_kernelINS0_14default_configENS1_38merge_sort_block_merge_config_selectorImNS0_10empty_typeEEEZZNS1_27merge_sort_block_merge_implIS3_PmPS5_jNS1_19radix_merge_compareILb1ELb0EmNS0_19identity_decomposerEEEEE10hipError_tT0_T1_T2_jT3_P12ihipStream_tbPNSt15iterator_traitsISE_E10value_typeEPNSK_ISF_E10value_typeEPSG_NS1_7vsmem_tEENKUlT_SE_SF_SG_E_clIS8_S8_S9_S9_EESD_ST_SE_SF_SG_EUlST_E_NS1_11comp_targetILNS1_3genE4ELNS1_11target_archE910ELNS1_3gpuE8ELNS1_3repE0EEENS1_48merge_mergepath_partition_config_static_selectorELNS0_4arch9wavefront6targetE0EEEvSF_.has_indirect_call, 0
	.section	.AMDGPU.csdata,"",@progbits
; Kernel info:
; codeLenInByte = 0
; TotalNumSgprs: 0
; NumVgprs: 0
; ScratchSize: 0
; MemoryBound: 0
; FloatMode: 240
; IeeeMode: 1
; LDSByteSize: 0 bytes/workgroup (compile time only)
; SGPRBlocks: 0
; VGPRBlocks: 0
; NumSGPRsForWavesPerEU: 1
; NumVGPRsForWavesPerEU: 1
; NamedBarCnt: 0
; Occupancy: 16
; WaveLimiterHint : 0
; COMPUTE_PGM_RSRC2:SCRATCH_EN: 0
; COMPUTE_PGM_RSRC2:USER_SGPR: 2
; COMPUTE_PGM_RSRC2:TRAP_HANDLER: 0
; COMPUTE_PGM_RSRC2:TGID_X_EN: 1
; COMPUTE_PGM_RSRC2:TGID_Y_EN: 0
; COMPUTE_PGM_RSRC2:TGID_Z_EN: 0
; COMPUTE_PGM_RSRC2:TIDIG_COMP_CNT: 0
	.section	.text._ZN7rocprim17ROCPRIM_400000_NS6detail17trampoline_kernelINS0_14default_configENS1_38merge_sort_block_merge_config_selectorImNS0_10empty_typeEEEZZNS1_27merge_sort_block_merge_implIS3_PmPS5_jNS1_19radix_merge_compareILb1ELb0EmNS0_19identity_decomposerEEEEE10hipError_tT0_T1_T2_jT3_P12ihipStream_tbPNSt15iterator_traitsISE_E10value_typeEPNSK_ISF_E10value_typeEPSG_NS1_7vsmem_tEENKUlT_SE_SF_SG_E_clIS8_S8_S9_S9_EESD_ST_SE_SF_SG_EUlST_E_NS1_11comp_targetILNS1_3genE3ELNS1_11target_archE908ELNS1_3gpuE7ELNS1_3repE0EEENS1_48merge_mergepath_partition_config_static_selectorELNS0_4arch9wavefront6targetE0EEEvSF_,"axG",@progbits,_ZN7rocprim17ROCPRIM_400000_NS6detail17trampoline_kernelINS0_14default_configENS1_38merge_sort_block_merge_config_selectorImNS0_10empty_typeEEEZZNS1_27merge_sort_block_merge_implIS3_PmPS5_jNS1_19radix_merge_compareILb1ELb0EmNS0_19identity_decomposerEEEEE10hipError_tT0_T1_T2_jT3_P12ihipStream_tbPNSt15iterator_traitsISE_E10value_typeEPNSK_ISF_E10value_typeEPSG_NS1_7vsmem_tEENKUlT_SE_SF_SG_E_clIS8_S8_S9_S9_EESD_ST_SE_SF_SG_EUlST_E_NS1_11comp_targetILNS1_3genE3ELNS1_11target_archE908ELNS1_3gpuE7ELNS1_3repE0EEENS1_48merge_mergepath_partition_config_static_selectorELNS0_4arch9wavefront6targetE0EEEvSF_,comdat
	.protected	_ZN7rocprim17ROCPRIM_400000_NS6detail17trampoline_kernelINS0_14default_configENS1_38merge_sort_block_merge_config_selectorImNS0_10empty_typeEEEZZNS1_27merge_sort_block_merge_implIS3_PmPS5_jNS1_19radix_merge_compareILb1ELb0EmNS0_19identity_decomposerEEEEE10hipError_tT0_T1_T2_jT3_P12ihipStream_tbPNSt15iterator_traitsISE_E10value_typeEPNSK_ISF_E10value_typeEPSG_NS1_7vsmem_tEENKUlT_SE_SF_SG_E_clIS8_S8_S9_S9_EESD_ST_SE_SF_SG_EUlST_E_NS1_11comp_targetILNS1_3genE3ELNS1_11target_archE908ELNS1_3gpuE7ELNS1_3repE0EEENS1_48merge_mergepath_partition_config_static_selectorELNS0_4arch9wavefront6targetE0EEEvSF_ ; -- Begin function _ZN7rocprim17ROCPRIM_400000_NS6detail17trampoline_kernelINS0_14default_configENS1_38merge_sort_block_merge_config_selectorImNS0_10empty_typeEEEZZNS1_27merge_sort_block_merge_implIS3_PmPS5_jNS1_19radix_merge_compareILb1ELb0EmNS0_19identity_decomposerEEEEE10hipError_tT0_T1_T2_jT3_P12ihipStream_tbPNSt15iterator_traitsISE_E10value_typeEPNSK_ISF_E10value_typeEPSG_NS1_7vsmem_tEENKUlT_SE_SF_SG_E_clIS8_S8_S9_S9_EESD_ST_SE_SF_SG_EUlST_E_NS1_11comp_targetILNS1_3genE3ELNS1_11target_archE908ELNS1_3gpuE7ELNS1_3repE0EEENS1_48merge_mergepath_partition_config_static_selectorELNS0_4arch9wavefront6targetE0EEEvSF_
	.globl	_ZN7rocprim17ROCPRIM_400000_NS6detail17trampoline_kernelINS0_14default_configENS1_38merge_sort_block_merge_config_selectorImNS0_10empty_typeEEEZZNS1_27merge_sort_block_merge_implIS3_PmPS5_jNS1_19radix_merge_compareILb1ELb0EmNS0_19identity_decomposerEEEEE10hipError_tT0_T1_T2_jT3_P12ihipStream_tbPNSt15iterator_traitsISE_E10value_typeEPNSK_ISF_E10value_typeEPSG_NS1_7vsmem_tEENKUlT_SE_SF_SG_E_clIS8_S8_S9_S9_EESD_ST_SE_SF_SG_EUlST_E_NS1_11comp_targetILNS1_3genE3ELNS1_11target_archE908ELNS1_3gpuE7ELNS1_3repE0EEENS1_48merge_mergepath_partition_config_static_selectorELNS0_4arch9wavefront6targetE0EEEvSF_
	.p2align	8
	.type	_ZN7rocprim17ROCPRIM_400000_NS6detail17trampoline_kernelINS0_14default_configENS1_38merge_sort_block_merge_config_selectorImNS0_10empty_typeEEEZZNS1_27merge_sort_block_merge_implIS3_PmPS5_jNS1_19radix_merge_compareILb1ELb0EmNS0_19identity_decomposerEEEEE10hipError_tT0_T1_T2_jT3_P12ihipStream_tbPNSt15iterator_traitsISE_E10value_typeEPNSK_ISF_E10value_typeEPSG_NS1_7vsmem_tEENKUlT_SE_SF_SG_E_clIS8_S8_S9_S9_EESD_ST_SE_SF_SG_EUlST_E_NS1_11comp_targetILNS1_3genE3ELNS1_11target_archE908ELNS1_3gpuE7ELNS1_3repE0EEENS1_48merge_mergepath_partition_config_static_selectorELNS0_4arch9wavefront6targetE0EEEvSF_,@function
_ZN7rocprim17ROCPRIM_400000_NS6detail17trampoline_kernelINS0_14default_configENS1_38merge_sort_block_merge_config_selectorImNS0_10empty_typeEEEZZNS1_27merge_sort_block_merge_implIS3_PmPS5_jNS1_19radix_merge_compareILb1ELb0EmNS0_19identity_decomposerEEEEE10hipError_tT0_T1_T2_jT3_P12ihipStream_tbPNSt15iterator_traitsISE_E10value_typeEPNSK_ISF_E10value_typeEPSG_NS1_7vsmem_tEENKUlT_SE_SF_SG_E_clIS8_S8_S9_S9_EESD_ST_SE_SF_SG_EUlST_E_NS1_11comp_targetILNS1_3genE3ELNS1_11target_archE908ELNS1_3gpuE7ELNS1_3repE0EEENS1_48merge_mergepath_partition_config_static_selectorELNS0_4arch9wavefront6targetE0EEEvSF_: ; @_ZN7rocprim17ROCPRIM_400000_NS6detail17trampoline_kernelINS0_14default_configENS1_38merge_sort_block_merge_config_selectorImNS0_10empty_typeEEEZZNS1_27merge_sort_block_merge_implIS3_PmPS5_jNS1_19radix_merge_compareILb1ELb0EmNS0_19identity_decomposerEEEEE10hipError_tT0_T1_T2_jT3_P12ihipStream_tbPNSt15iterator_traitsISE_E10value_typeEPNSK_ISF_E10value_typeEPSG_NS1_7vsmem_tEENKUlT_SE_SF_SG_E_clIS8_S8_S9_S9_EESD_ST_SE_SF_SG_EUlST_E_NS1_11comp_targetILNS1_3genE3ELNS1_11target_archE908ELNS1_3gpuE7ELNS1_3repE0EEENS1_48merge_mergepath_partition_config_static_selectorELNS0_4arch9wavefront6targetE0EEEvSF_
; %bb.0:
	.section	.rodata,"a",@progbits
	.p2align	6, 0x0
	.amdhsa_kernel _ZN7rocprim17ROCPRIM_400000_NS6detail17trampoline_kernelINS0_14default_configENS1_38merge_sort_block_merge_config_selectorImNS0_10empty_typeEEEZZNS1_27merge_sort_block_merge_implIS3_PmPS5_jNS1_19radix_merge_compareILb1ELb0EmNS0_19identity_decomposerEEEEE10hipError_tT0_T1_T2_jT3_P12ihipStream_tbPNSt15iterator_traitsISE_E10value_typeEPNSK_ISF_E10value_typeEPSG_NS1_7vsmem_tEENKUlT_SE_SF_SG_E_clIS8_S8_S9_S9_EESD_ST_SE_SF_SG_EUlST_E_NS1_11comp_targetILNS1_3genE3ELNS1_11target_archE908ELNS1_3gpuE7ELNS1_3repE0EEENS1_48merge_mergepath_partition_config_static_selectorELNS0_4arch9wavefront6targetE0EEEvSF_
		.amdhsa_group_segment_fixed_size 0
		.amdhsa_private_segment_fixed_size 0
		.amdhsa_kernarg_size 40
		.amdhsa_user_sgpr_count 2
		.amdhsa_user_sgpr_dispatch_ptr 0
		.amdhsa_user_sgpr_queue_ptr 0
		.amdhsa_user_sgpr_kernarg_segment_ptr 1
		.amdhsa_user_sgpr_dispatch_id 0
		.amdhsa_user_sgpr_kernarg_preload_length 0
		.amdhsa_user_sgpr_kernarg_preload_offset 0
		.amdhsa_user_sgpr_private_segment_size 0
		.amdhsa_wavefront_size32 1
		.amdhsa_uses_dynamic_stack 0
		.amdhsa_enable_private_segment 0
		.amdhsa_system_sgpr_workgroup_id_x 1
		.amdhsa_system_sgpr_workgroup_id_y 0
		.amdhsa_system_sgpr_workgroup_id_z 0
		.amdhsa_system_sgpr_workgroup_info 0
		.amdhsa_system_vgpr_workitem_id 0
		.amdhsa_next_free_vgpr 1
		.amdhsa_next_free_sgpr 1
		.amdhsa_named_barrier_count 0
		.amdhsa_reserve_vcc 0
		.amdhsa_float_round_mode_32 0
		.amdhsa_float_round_mode_16_64 0
		.amdhsa_float_denorm_mode_32 3
		.amdhsa_float_denorm_mode_16_64 3
		.amdhsa_fp16_overflow 0
		.amdhsa_memory_ordered 1
		.amdhsa_forward_progress 1
		.amdhsa_inst_pref_size 0
		.amdhsa_round_robin_scheduling 0
		.amdhsa_exception_fp_ieee_invalid_op 0
		.amdhsa_exception_fp_denorm_src 0
		.amdhsa_exception_fp_ieee_div_zero 0
		.amdhsa_exception_fp_ieee_overflow 0
		.amdhsa_exception_fp_ieee_underflow 0
		.amdhsa_exception_fp_ieee_inexact 0
		.amdhsa_exception_int_div_zero 0
	.end_amdhsa_kernel
	.section	.text._ZN7rocprim17ROCPRIM_400000_NS6detail17trampoline_kernelINS0_14default_configENS1_38merge_sort_block_merge_config_selectorImNS0_10empty_typeEEEZZNS1_27merge_sort_block_merge_implIS3_PmPS5_jNS1_19radix_merge_compareILb1ELb0EmNS0_19identity_decomposerEEEEE10hipError_tT0_T1_T2_jT3_P12ihipStream_tbPNSt15iterator_traitsISE_E10value_typeEPNSK_ISF_E10value_typeEPSG_NS1_7vsmem_tEENKUlT_SE_SF_SG_E_clIS8_S8_S9_S9_EESD_ST_SE_SF_SG_EUlST_E_NS1_11comp_targetILNS1_3genE3ELNS1_11target_archE908ELNS1_3gpuE7ELNS1_3repE0EEENS1_48merge_mergepath_partition_config_static_selectorELNS0_4arch9wavefront6targetE0EEEvSF_,"axG",@progbits,_ZN7rocprim17ROCPRIM_400000_NS6detail17trampoline_kernelINS0_14default_configENS1_38merge_sort_block_merge_config_selectorImNS0_10empty_typeEEEZZNS1_27merge_sort_block_merge_implIS3_PmPS5_jNS1_19radix_merge_compareILb1ELb0EmNS0_19identity_decomposerEEEEE10hipError_tT0_T1_T2_jT3_P12ihipStream_tbPNSt15iterator_traitsISE_E10value_typeEPNSK_ISF_E10value_typeEPSG_NS1_7vsmem_tEENKUlT_SE_SF_SG_E_clIS8_S8_S9_S9_EESD_ST_SE_SF_SG_EUlST_E_NS1_11comp_targetILNS1_3genE3ELNS1_11target_archE908ELNS1_3gpuE7ELNS1_3repE0EEENS1_48merge_mergepath_partition_config_static_selectorELNS0_4arch9wavefront6targetE0EEEvSF_,comdat
.Lfunc_end2802:
	.size	_ZN7rocprim17ROCPRIM_400000_NS6detail17trampoline_kernelINS0_14default_configENS1_38merge_sort_block_merge_config_selectorImNS0_10empty_typeEEEZZNS1_27merge_sort_block_merge_implIS3_PmPS5_jNS1_19radix_merge_compareILb1ELb0EmNS0_19identity_decomposerEEEEE10hipError_tT0_T1_T2_jT3_P12ihipStream_tbPNSt15iterator_traitsISE_E10value_typeEPNSK_ISF_E10value_typeEPSG_NS1_7vsmem_tEENKUlT_SE_SF_SG_E_clIS8_S8_S9_S9_EESD_ST_SE_SF_SG_EUlST_E_NS1_11comp_targetILNS1_3genE3ELNS1_11target_archE908ELNS1_3gpuE7ELNS1_3repE0EEENS1_48merge_mergepath_partition_config_static_selectorELNS0_4arch9wavefront6targetE0EEEvSF_, .Lfunc_end2802-_ZN7rocprim17ROCPRIM_400000_NS6detail17trampoline_kernelINS0_14default_configENS1_38merge_sort_block_merge_config_selectorImNS0_10empty_typeEEEZZNS1_27merge_sort_block_merge_implIS3_PmPS5_jNS1_19radix_merge_compareILb1ELb0EmNS0_19identity_decomposerEEEEE10hipError_tT0_T1_T2_jT3_P12ihipStream_tbPNSt15iterator_traitsISE_E10value_typeEPNSK_ISF_E10value_typeEPSG_NS1_7vsmem_tEENKUlT_SE_SF_SG_E_clIS8_S8_S9_S9_EESD_ST_SE_SF_SG_EUlST_E_NS1_11comp_targetILNS1_3genE3ELNS1_11target_archE908ELNS1_3gpuE7ELNS1_3repE0EEENS1_48merge_mergepath_partition_config_static_selectorELNS0_4arch9wavefront6targetE0EEEvSF_
                                        ; -- End function
	.set _ZN7rocprim17ROCPRIM_400000_NS6detail17trampoline_kernelINS0_14default_configENS1_38merge_sort_block_merge_config_selectorImNS0_10empty_typeEEEZZNS1_27merge_sort_block_merge_implIS3_PmPS5_jNS1_19radix_merge_compareILb1ELb0EmNS0_19identity_decomposerEEEEE10hipError_tT0_T1_T2_jT3_P12ihipStream_tbPNSt15iterator_traitsISE_E10value_typeEPNSK_ISF_E10value_typeEPSG_NS1_7vsmem_tEENKUlT_SE_SF_SG_E_clIS8_S8_S9_S9_EESD_ST_SE_SF_SG_EUlST_E_NS1_11comp_targetILNS1_3genE3ELNS1_11target_archE908ELNS1_3gpuE7ELNS1_3repE0EEENS1_48merge_mergepath_partition_config_static_selectorELNS0_4arch9wavefront6targetE0EEEvSF_.num_vgpr, 0
	.set _ZN7rocprim17ROCPRIM_400000_NS6detail17trampoline_kernelINS0_14default_configENS1_38merge_sort_block_merge_config_selectorImNS0_10empty_typeEEEZZNS1_27merge_sort_block_merge_implIS3_PmPS5_jNS1_19radix_merge_compareILb1ELb0EmNS0_19identity_decomposerEEEEE10hipError_tT0_T1_T2_jT3_P12ihipStream_tbPNSt15iterator_traitsISE_E10value_typeEPNSK_ISF_E10value_typeEPSG_NS1_7vsmem_tEENKUlT_SE_SF_SG_E_clIS8_S8_S9_S9_EESD_ST_SE_SF_SG_EUlST_E_NS1_11comp_targetILNS1_3genE3ELNS1_11target_archE908ELNS1_3gpuE7ELNS1_3repE0EEENS1_48merge_mergepath_partition_config_static_selectorELNS0_4arch9wavefront6targetE0EEEvSF_.num_agpr, 0
	.set _ZN7rocprim17ROCPRIM_400000_NS6detail17trampoline_kernelINS0_14default_configENS1_38merge_sort_block_merge_config_selectorImNS0_10empty_typeEEEZZNS1_27merge_sort_block_merge_implIS3_PmPS5_jNS1_19radix_merge_compareILb1ELb0EmNS0_19identity_decomposerEEEEE10hipError_tT0_T1_T2_jT3_P12ihipStream_tbPNSt15iterator_traitsISE_E10value_typeEPNSK_ISF_E10value_typeEPSG_NS1_7vsmem_tEENKUlT_SE_SF_SG_E_clIS8_S8_S9_S9_EESD_ST_SE_SF_SG_EUlST_E_NS1_11comp_targetILNS1_3genE3ELNS1_11target_archE908ELNS1_3gpuE7ELNS1_3repE0EEENS1_48merge_mergepath_partition_config_static_selectorELNS0_4arch9wavefront6targetE0EEEvSF_.numbered_sgpr, 0
	.set _ZN7rocprim17ROCPRIM_400000_NS6detail17trampoline_kernelINS0_14default_configENS1_38merge_sort_block_merge_config_selectorImNS0_10empty_typeEEEZZNS1_27merge_sort_block_merge_implIS3_PmPS5_jNS1_19radix_merge_compareILb1ELb0EmNS0_19identity_decomposerEEEEE10hipError_tT0_T1_T2_jT3_P12ihipStream_tbPNSt15iterator_traitsISE_E10value_typeEPNSK_ISF_E10value_typeEPSG_NS1_7vsmem_tEENKUlT_SE_SF_SG_E_clIS8_S8_S9_S9_EESD_ST_SE_SF_SG_EUlST_E_NS1_11comp_targetILNS1_3genE3ELNS1_11target_archE908ELNS1_3gpuE7ELNS1_3repE0EEENS1_48merge_mergepath_partition_config_static_selectorELNS0_4arch9wavefront6targetE0EEEvSF_.num_named_barrier, 0
	.set _ZN7rocprim17ROCPRIM_400000_NS6detail17trampoline_kernelINS0_14default_configENS1_38merge_sort_block_merge_config_selectorImNS0_10empty_typeEEEZZNS1_27merge_sort_block_merge_implIS3_PmPS5_jNS1_19radix_merge_compareILb1ELb0EmNS0_19identity_decomposerEEEEE10hipError_tT0_T1_T2_jT3_P12ihipStream_tbPNSt15iterator_traitsISE_E10value_typeEPNSK_ISF_E10value_typeEPSG_NS1_7vsmem_tEENKUlT_SE_SF_SG_E_clIS8_S8_S9_S9_EESD_ST_SE_SF_SG_EUlST_E_NS1_11comp_targetILNS1_3genE3ELNS1_11target_archE908ELNS1_3gpuE7ELNS1_3repE0EEENS1_48merge_mergepath_partition_config_static_selectorELNS0_4arch9wavefront6targetE0EEEvSF_.private_seg_size, 0
	.set _ZN7rocprim17ROCPRIM_400000_NS6detail17trampoline_kernelINS0_14default_configENS1_38merge_sort_block_merge_config_selectorImNS0_10empty_typeEEEZZNS1_27merge_sort_block_merge_implIS3_PmPS5_jNS1_19radix_merge_compareILb1ELb0EmNS0_19identity_decomposerEEEEE10hipError_tT0_T1_T2_jT3_P12ihipStream_tbPNSt15iterator_traitsISE_E10value_typeEPNSK_ISF_E10value_typeEPSG_NS1_7vsmem_tEENKUlT_SE_SF_SG_E_clIS8_S8_S9_S9_EESD_ST_SE_SF_SG_EUlST_E_NS1_11comp_targetILNS1_3genE3ELNS1_11target_archE908ELNS1_3gpuE7ELNS1_3repE0EEENS1_48merge_mergepath_partition_config_static_selectorELNS0_4arch9wavefront6targetE0EEEvSF_.uses_vcc, 0
	.set _ZN7rocprim17ROCPRIM_400000_NS6detail17trampoline_kernelINS0_14default_configENS1_38merge_sort_block_merge_config_selectorImNS0_10empty_typeEEEZZNS1_27merge_sort_block_merge_implIS3_PmPS5_jNS1_19radix_merge_compareILb1ELb0EmNS0_19identity_decomposerEEEEE10hipError_tT0_T1_T2_jT3_P12ihipStream_tbPNSt15iterator_traitsISE_E10value_typeEPNSK_ISF_E10value_typeEPSG_NS1_7vsmem_tEENKUlT_SE_SF_SG_E_clIS8_S8_S9_S9_EESD_ST_SE_SF_SG_EUlST_E_NS1_11comp_targetILNS1_3genE3ELNS1_11target_archE908ELNS1_3gpuE7ELNS1_3repE0EEENS1_48merge_mergepath_partition_config_static_selectorELNS0_4arch9wavefront6targetE0EEEvSF_.uses_flat_scratch, 0
	.set _ZN7rocprim17ROCPRIM_400000_NS6detail17trampoline_kernelINS0_14default_configENS1_38merge_sort_block_merge_config_selectorImNS0_10empty_typeEEEZZNS1_27merge_sort_block_merge_implIS3_PmPS5_jNS1_19radix_merge_compareILb1ELb0EmNS0_19identity_decomposerEEEEE10hipError_tT0_T1_T2_jT3_P12ihipStream_tbPNSt15iterator_traitsISE_E10value_typeEPNSK_ISF_E10value_typeEPSG_NS1_7vsmem_tEENKUlT_SE_SF_SG_E_clIS8_S8_S9_S9_EESD_ST_SE_SF_SG_EUlST_E_NS1_11comp_targetILNS1_3genE3ELNS1_11target_archE908ELNS1_3gpuE7ELNS1_3repE0EEENS1_48merge_mergepath_partition_config_static_selectorELNS0_4arch9wavefront6targetE0EEEvSF_.has_dyn_sized_stack, 0
	.set _ZN7rocprim17ROCPRIM_400000_NS6detail17trampoline_kernelINS0_14default_configENS1_38merge_sort_block_merge_config_selectorImNS0_10empty_typeEEEZZNS1_27merge_sort_block_merge_implIS3_PmPS5_jNS1_19radix_merge_compareILb1ELb0EmNS0_19identity_decomposerEEEEE10hipError_tT0_T1_T2_jT3_P12ihipStream_tbPNSt15iterator_traitsISE_E10value_typeEPNSK_ISF_E10value_typeEPSG_NS1_7vsmem_tEENKUlT_SE_SF_SG_E_clIS8_S8_S9_S9_EESD_ST_SE_SF_SG_EUlST_E_NS1_11comp_targetILNS1_3genE3ELNS1_11target_archE908ELNS1_3gpuE7ELNS1_3repE0EEENS1_48merge_mergepath_partition_config_static_selectorELNS0_4arch9wavefront6targetE0EEEvSF_.has_recursion, 0
	.set _ZN7rocprim17ROCPRIM_400000_NS6detail17trampoline_kernelINS0_14default_configENS1_38merge_sort_block_merge_config_selectorImNS0_10empty_typeEEEZZNS1_27merge_sort_block_merge_implIS3_PmPS5_jNS1_19radix_merge_compareILb1ELb0EmNS0_19identity_decomposerEEEEE10hipError_tT0_T1_T2_jT3_P12ihipStream_tbPNSt15iterator_traitsISE_E10value_typeEPNSK_ISF_E10value_typeEPSG_NS1_7vsmem_tEENKUlT_SE_SF_SG_E_clIS8_S8_S9_S9_EESD_ST_SE_SF_SG_EUlST_E_NS1_11comp_targetILNS1_3genE3ELNS1_11target_archE908ELNS1_3gpuE7ELNS1_3repE0EEENS1_48merge_mergepath_partition_config_static_selectorELNS0_4arch9wavefront6targetE0EEEvSF_.has_indirect_call, 0
	.section	.AMDGPU.csdata,"",@progbits
; Kernel info:
; codeLenInByte = 0
; TotalNumSgprs: 0
; NumVgprs: 0
; ScratchSize: 0
; MemoryBound: 0
; FloatMode: 240
; IeeeMode: 1
; LDSByteSize: 0 bytes/workgroup (compile time only)
; SGPRBlocks: 0
; VGPRBlocks: 0
; NumSGPRsForWavesPerEU: 1
; NumVGPRsForWavesPerEU: 1
; NamedBarCnt: 0
; Occupancy: 16
; WaveLimiterHint : 0
; COMPUTE_PGM_RSRC2:SCRATCH_EN: 0
; COMPUTE_PGM_RSRC2:USER_SGPR: 2
; COMPUTE_PGM_RSRC2:TRAP_HANDLER: 0
; COMPUTE_PGM_RSRC2:TGID_X_EN: 1
; COMPUTE_PGM_RSRC2:TGID_Y_EN: 0
; COMPUTE_PGM_RSRC2:TGID_Z_EN: 0
; COMPUTE_PGM_RSRC2:TIDIG_COMP_CNT: 0
	.section	.text._ZN7rocprim17ROCPRIM_400000_NS6detail17trampoline_kernelINS0_14default_configENS1_38merge_sort_block_merge_config_selectorImNS0_10empty_typeEEEZZNS1_27merge_sort_block_merge_implIS3_PmPS5_jNS1_19radix_merge_compareILb1ELb0EmNS0_19identity_decomposerEEEEE10hipError_tT0_T1_T2_jT3_P12ihipStream_tbPNSt15iterator_traitsISE_E10value_typeEPNSK_ISF_E10value_typeEPSG_NS1_7vsmem_tEENKUlT_SE_SF_SG_E_clIS8_S8_S9_S9_EESD_ST_SE_SF_SG_EUlST_E_NS1_11comp_targetILNS1_3genE2ELNS1_11target_archE906ELNS1_3gpuE6ELNS1_3repE0EEENS1_48merge_mergepath_partition_config_static_selectorELNS0_4arch9wavefront6targetE0EEEvSF_,"axG",@progbits,_ZN7rocprim17ROCPRIM_400000_NS6detail17trampoline_kernelINS0_14default_configENS1_38merge_sort_block_merge_config_selectorImNS0_10empty_typeEEEZZNS1_27merge_sort_block_merge_implIS3_PmPS5_jNS1_19radix_merge_compareILb1ELb0EmNS0_19identity_decomposerEEEEE10hipError_tT0_T1_T2_jT3_P12ihipStream_tbPNSt15iterator_traitsISE_E10value_typeEPNSK_ISF_E10value_typeEPSG_NS1_7vsmem_tEENKUlT_SE_SF_SG_E_clIS8_S8_S9_S9_EESD_ST_SE_SF_SG_EUlST_E_NS1_11comp_targetILNS1_3genE2ELNS1_11target_archE906ELNS1_3gpuE6ELNS1_3repE0EEENS1_48merge_mergepath_partition_config_static_selectorELNS0_4arch9wavefront6targetE0EEEvSF_,comdat
	.protected	_ZN7rocprim17ROCPRIM_400000_NS6detail17trampoline_kernelINS0_14default_configENS1_38merge_sort_block_merge_config_selectorImNS0_10empty_typeEEEZZNS1_27merge_sort_block_merge_implIS3_PmPS5_jNS1_19radix_merge_compareILb1ELb0EmNS0_19identity_decomposerEEEEE10hipError_tT0_T1_T2_jT3_P12ihipStream_tbPNSt15iterator_traitsISE_E10value_typeEPNSK_ISF_E10value_typeEPSG_NS1_7vsmem_tEENKUlT_SE_SF_SG_E_clIS8_S8_S9_S9_EESD_ST_SE_SF_SG_EUlST_E_NS1_11comp_targetILNS1_3genE2ELNS1_11target_archE906ELNS1_3gpuE6ELNS1_3repE0EEENS1_48merge_mergepath_partition_config_static_selectorELNS0_4arch9wavefront6targetE0EEEvSF_ ; -- Begin function _ZN7rocprim17ROCPRIM_400000_NS6detail17trampoline_kernelINS0_14default_configENS1_38merge_sort_block_merge_config_selectorImNS0_10empty_typeEEEZZNS1_27merge_sort_block_merge_implIS3_PmPS5_jNS1_19radix_merge_compareILb1ELb0EmNS0_19identity_decomposerEEEEE10hipError_tT0_T1_T2_jT3_P12ihipStream_tbPNSt15iterator_traitsISE_E10value_typeEPNSK_ISF_E10value_typeEPSG_NS1_7vsmem_tEENKUlT_SE_SF_SG_E_clIS8_S8_S9_S9_EESD_ST_SE_SF_SG_EUlST_E_NS1_11comp_targetILNS1_3genE2ELNS1_11target_archE906ELNS1_3gpuE6ELNS1_3repE0EEENS1_48merge_mergepath_partition_config_static_selectorELNS0_4arch9wavefront6targetE0EEEvSF_
	.globl	_ZN7rocprim17ROCPRIM_400000_NS6detail17trampoline_kernelINS0_14default_configENS1_38merge_sort_block_merge_config_selectorImNS0_10empty_typeEEEZZNS1_27merge_sort_block_merge_implIS3_PmPS5_jNS1_19radix_merge_compareILb1ELb0EmNS0_19identity_decomposerEEEEE10hipError_tT0_T1_T2_jT3_P12ihipStream_tbPNSt15iterator_traitsISE_E10value_typeEPNSK_ISF_E10value_typeEPSG_NS1_7vsmem_tEENKUlT_SE_SF_SG_E_clIS8_S8_S9_S9_EESD_ST_SE_SF_SG_EUlST_E_NS1_11comp_targetILNS1_3genE2ELNS1_11target_archE906ELNS1_3gpuE6ELNS1_3repE0EEENS1_48merge_mergepath_partition_config_static_selectorELNS0_4arch9wavefront6targetE0EEEvSF_
	.p2align	8
	.type	_ZN7rocprim17ROCPRIM_400000_NS6detail17trampoline_kernelINS0_14default_configENS1_38merge_sort_block_merge_config_selectorImNS0_10empty_typeEEEZZNS1_27merge_sort_block_merge_implIS3_PmPS5_jNS1_19radix_merge_compareILb1ELb0EmNS0_19identity_decomposerEEEEE10hipError_tT0_T1_T2_jT3_P12ihipStream_tbPNSt15iterator_traitsISE_E10value_typeEPNSK_ISF_E10value_typeEPSG_NS1_7vsmem_tEENKUlT_SE_SF_SG_E_clIS8_S8_S9_S9_EESD_ST_SE_SF_SG_EUlST_E_NS1_11comp_targetILNS1_3genE2ELNS1_11target_archE906ELNS1_3gpuE6ELNS1_3repE0EEENS1_48merge_mergepath_partition_config_static_selectorELNS0_4arch9wavefront6targetE0EEEvSF_,@function
_ZN7rocprim17ROCPRIM_400000_NS6detail17trampoline_kernelINS0_14default_configENS1_38merge_sort_block_merge_config_selectorImNS0_10empty_typeEEEZZNS1_27merge_sort_block_merge_implIS3_PmPS5_jNS1_19radix_merge_compareILb1ELb0EmNS0_19identity_decomposerEEEEE10hipError_tT0_T1_T2_jT3_P12ihipStream_tbPNSt15iterator_traitsISE_E10value_typeEPNSK_ISF_E10value_typeEPSG_NS1_7vsmem_tEENKUlT_SE_SF_SG_E_clIS8_S8_S9_S9_EESD_ST_SE_SF_SG_EUlST_E_NS1_11comp_targetILNS1_3genE2ELNS1_11target_archE906ELNS1_3gpuE6ELNS1_3repE0EEENS1_48merge_mergepath_partition_config_static_selectorELNS0_4arch9wavefront6targetE0EEEvSF_: ; @_ZN7rocprim17ROCPRIM_400000_NS6detail17trampoline_kernelINS0_14default_configENS1_38merge_sort_block_merge_config_selectorImNS0_10empty_typeEEEZZNS1_27merge_sort_block_merge_implIS3_PmPS5_jNS1_19radix_merge_compareILb1ELb0EmNS0_19identity_decomposerEEEEE10hipError_tT0_T1_T2_jT3_P12ihipStream_tbPNSt15iterator_traitsISE_E10value_typeEPNSK_ISF_E10value_typeEPSG_NS1_7vsmem_tEENKUlT_SE_SF_SG_E_clIS8_S8_S9_S9_EESD_ST_SE_SF_SG_EUlST_E_NS1_11comp_targetILNS1_3genE2ELNS1_11target_archE906ELNS1_3gpuE6ELNS1_3repE0EEENS1_48merge_mergepath_partition_config_static_selectorELNS0_4arch9wavefront6targetE0EEEvSF_
; %bb.0:
	.section	.rodata,"a",@progbits
	.p2align	6, 0x0
	.amdhsa_kernel _ZN7rocprim17ROCPRIM_400000_NS6detail17trampoline_kernelINS0_14default_configENS1_38merge_sort_block_merge_config_selectorImNS0_10empty_typeEEEZZNS1_27merge_sort_block_merge_implIS3_PmPS5_jNS1_19radix_merge_compareILb1ELb0EmNS0_19identity_decomposerEEEEE10hipError_tT0_T1_T2_jT3_P12ihipStream_tbPNSt15iterator_traitsISE_E10value_typeEPNSK_ISF_E10value_typeEPSG_NS1_7vsmem_tEENKUlT_SE_SF_SG_E_clIS8_S8_S9_S9_EESD_ST_SE_SF_SG_EUlST_E_NS1_11comp_targetILNS1_3genE2ELNS1_11target_archE906ELNS1_3gpuE6ELNS1_3repE0EEENS1_48merge_mergepath_partition_config_static_selectorELNS0_4arch9wavefront6targetE0EEEvSF_
		.amdhsa_group_segment_fixed_size 0
		.amdhsa_private_segment_fixed_size 0
		.amdhsa_kernarg_size 40
		.amdhsa_user_sgpr_count 2
		.amdhsa_user_sgpr_dispatch_ptr 0
		.amdhsa_user_sgpr_queue_ptr 0
		.amdhsa_user_sgpr_kernarg_segment_ptr 1
		.amdhsa_user_sgpr_dispatch_id 0
		.amdhsa_user_sgpr_kernarg_preload_length 0
		.amdhsa_user_sgpr_kernarg_preload_offset 0
		.amdhsa_user_sgpr_private_segment_size 0
		.amdhsa_wavefront_size32 1
		.amdhsa_uses_dynamic_stack 0
		.amdhsa_enable_private_segment 0
		.amdhsa_system_sgpr_workgroup_id_x 1
		.amdhsa_system_sgpr_workgroup_id_y 0
		.amdhsa_system_sgpr_workgroup_id_z 0
		.amdhsa_system_sgpr_workgroup_info 0
		.amdhsa_system_vgpr_workitem_id 0
		.amdhsa_next_free_vgpr 1
		.amdhsa_next_free_sgpr 1
		.amdhsa_named_barrier_count 0
		.amdhsa_reserve_vcc 0
		.amdhsa_float_round_mode_32 0
		.amdhsa_float_round_mode_16_64 0
		.amdhsa_float_denorm_mode_32 3
		.amdhsa_float_denorm_mode_16_64 3
		.amdhsa_fp16_overflow 0
		.amdhsa_memory_ordered 1
		.amdhsa_forward_progress 1
		.amdhsa_inst_pref_size 0
		.amdhsa_round_robin_scheduling 0
		.amdhsa_exception_fp_ieee_invalid_op 0
		.amdhsa_exception_fp_denorm_src 0
		.amdhsa_exception_fp_ieee_div_zero 0
		.amdhsa_exception_fp_ieee_overflow 0
		.amdhsa_exception_fp_ieee_underflow 0
		.amdhsa_exception_fp_ieee_inexact 0
		.amdhsa_exception_int_div_zero 0
	.end_amdhsa_kernel
	.section	.text._ZN7rocprim17ROCPRIM_400000_NS6detail17trampoline_kernelINS0_14default_configENS1_38merge_sort_block_merge_config_selectorImNS0_10empty_typeEEEZZNS1_27merge_sort_block_merge_implIS3_PmPS5_jNS1_19radix_merge_compareILb1ELb0EmNS0_19identity_decomposerEEEEE10hipError_tT0_T1_T2_jT3_P12ihipStream_tbPNSt15iterator_traitsISE_E10value_typeEPNSK_ISF_E10value_typeEPSG_NS1_7vsmem_tEENKUlT_SE_SF_SG_E_clIS8_S8_S9_S9_EESD_ST_SE_SF_SG_EUlST_E_NS1_11comp_targetILNS1_3genE2ELNS1_11target_archE906ELNS1_3gpuE6ELNS1_3repE0EEENS1_48merge_mergepath_partition_config_static_selectorELNS0_4arch9wavefront6targetE0EEEvSF_,"axG",@progbits,_ZN7rocprim17ROCPRIM_400000_NS6detail17trampoline_kernelINS0_14default_configENS1_38merge_sort_block_merge_config_selectorImNS0_10empty_typeEEEZZNS1_27merge_sort_block_merge_implIS3_PmPS5_jNS1_19radix_merge_compareILb1ELb0EmNS0_19identity_decomposerEEEEE10hipError_tT0_T1_T2_jT3_P12ihipStream_tbPNSt15iterator_traitsISE_E10value_typeEPNSK_ISF_E10value_typeEPSG_NS1_7vsmem_tEENKUlT_SE_SF_SG_E_clIS8_S8_S9_S9_EESD_ST_SE_SF_SG_EUlST_E_NS1_11comp_targetILNS1_3genE2ELNS1_11target_archE906ELNS1_3gpuE6ELNS1_3repE0EEENS1_48merge_mergepath_partition_config_static_selectorELNS0_4arch9wavefront6targetE0EEEvSF_,comdat
.Lfunc_end2803:
	.size	_ZN7rocprim17ROCPRIM_400000_NS6detail17trampoline_kernelINS0_14default_configENS1_38merge_sort_block_merge_config_selectorImNS0_10empty_typeEEEZZNS1_27merge_sort_block_merge_implIS3_PmPS5_jNS1_19radix_merge_compareILb1ELb0EmNS0_19identity_decomposerEEEEE10hipError_tT0_T1_T2_jT3_P12ihipStream_tbPNSt15iterator_traitsISE_E10value_typeEPNSK_ISF_E10value_typeEPSG_NS1_7vsmem_tEENKUlT_SE_SF_SG_E_clIS8_S8_S9_S9_EESD_ST_SE_SF_SG_EUlST_E_NS1_11comp_targetILNS1_3genE2ELNS1_11target_archE906ELNS1_3gpuE6ELNS1_3repE0EEENS1_48merge_mergepath_partition_config_static_selectorELNS0_4arch9wavefront6targetE0EEEvSF_, .Lfunc_end2803-_ZN7rocprim17ROCPRIM_400000_NS6detail17trampoline_kernelINS0_14default_configENS1_38merge_sort_block_merge_config_selectorImNS0_10empty_typeEEEZZNS1_27merge_sort_block_merge_implIS3_PmPS5_jNS1_19radix_merge_compareILb1ELb0EmNS0_19identity_decomposerEEEEE10hipError_tT0_T1_T2_jT3_P12ihipStream_tbPNSt15iterator_traitsISE_E10value_typeEPNSK_ISF_E10value_typeEPSG_NS1_7vsmem_tEENKUlT_SE_SF_SG_E_clIS8_S8_S9_S9_EESD_ST_SE_SF_SG_EUlST_E_NS1_11comp_targetILNS1_3genE2ELNS1_11target_archE906ELNS1_3gpuE6ELNS1_3repE0EEENS1_48merge_mergepath_partition_config_static_selectorELNS0_4arch9wavefront6targetE0EEEvSF_
                                        ; -- End function
	.set _ZN7rocprim17ROCPRIM_400000_NS6detail17trampoline_kernelINS0_14default_configENS1_38merge_sort_block_merge_config_selectorImNS0_10empty_typeEEEZZNS1_27merge_sort_block_merge_implIS3_PmPS5_jNS1_19radix_merge_compareILb1ELb0EmNS0_19identity_decomposerEEEEE10hipError_tT0_T1_T2_jT3_P12ihipStream_tbPNSt15iterator_traitsISE_E10value_typeEPNSK_ISF_E10value_typeEPSG_NS1_7vsmem_tEENKUlT_SE_SF_SG_E_clIS8_S8_S9_S9_EESD_ST_SE_SF_SG_EUlST_E_NS1_11comp_targetILNS1_3genE2ELNS1_11target_archE906ELNS1_3gpuE6ELNS1_3repE0EEENS1_48merge_mergepath_partition_config_static_selectorELNS0_4arch9wavefront6targetE0EEEvSF_.num_vgpr, 0
	.set _ZN7rocprim17ROCPRIM_400000_NS6detail17trampoline_kernelINS0_14default_configENS1_38merge_sort_block_merge_config_selectorImNS0_10empty_typeEEEZZNS1_27merge_sort_block_merge_implIS3_PmPS5_jNS1_19radix_merge_compareILb1ELb0EmNS0_19identity_decomposerEEEEE10hipError_tT0_T1_T2_jT3_P12ihipStream_tbPNSt15iterator_traitsISE_E10value_typeEPNSK_ISF_E10value_typeEPSG_NS1_7vsmem_tEENKUlT_SE_SF_SG_E_clIS8_S8_S9_S9_EESD_ST_SE_SF_SG_EUlST_E_NS1_11comp_targetILNS1_3genE2ELNS1_11target_archE906ELNS1_3gpuE6ELNS1_3repE0EEENS1_48merge_mergepath_partition_config_static_selectorELNS0_4arch9wavefront6targetE0EEEvSF_.num_agpr, 0
	.set _ZN7rocprim17ROCPRIM_400000_NS6detail17trampoline_kernelINS0_14default_configENS1_38merge_sort_block_merge_config_selectorImNS0_10empty_typeEEEZZNS1_27merge_sort_block_merge_implIS3_PmPS5_jNS1_19radix_merge_compareILb1ELb0EmNS0_19identity_decomposerEEEEE10hipError_tT0_T1_T2_jT3_P12ihipStream_tbPNSt15iterator_traitsISE_E10value_typeEPNSK_ISF_E10value_typeEPSG_NS1_7vsmem_tEENKUlT_SE_SF_SG_E_clIS8_S8_S9_S9_EESD_ST_SE_SF_SG_EUlST_E_NS1_11comp_targetILNS1_3genE2ELNS1_11target_archE906ELNS1_3gpuE6ELNS1_3repE0EEENS1_48merge_mergepath_partition_config_static_selectorELNS0_4arch9wavefront6targetE0EEEvSF_.numbered_sgpr, 0
	.set _ZN7rocprim17ROCPRIM_400000_NS6detail17trampoline_kernelINS0_14default_configENS1_38merge_sort_block_merge_config_selectorImNS0_10empty_typeEEEZZNS1_27merge_sort_block_merge_implIS3_PmPS5_jNS1_19radix_merge_compareILb1ELb0EmNS0_19identity_decomposerEEEEE10hipError_tT0_T1_T2_jT3_P12ihipStream_tbPNSt15iterator_traitsISE_E10value_typeEPNSK_ISF_E10value_typeEPSG_NS1_7vsmem_tEENKUlT_SE_SF_SG_E_clIS8_S8_S9_S9_EESD_ST_SE_SF_SG_EUlST_E_NS1_11comp_targetILNS1_3genE2ELNS1_11target_archE906ELNS1_3gpuE6ELNS1_3repE0EEENS1_48merge_mergepath_partition_config_static_selectorELNS0_4arch9wavefront6targetE0EEEvSF_.num_named_barrier, 0
	.set _ZN7rocprim17ROCPRIM_400000_NS6detail17trampoline_kernelINS0_14default_configENS1_38merge_sort_block_merge_config_selectorImNS0_10empty_typeEEEZZNS1_27merge_sort_block_merge_implIS3_PmPS5_jNS1_19radix_merge_compareILb1ELb0EmNS0_19identity_decomposerEEEEE10hipError_tT0_T1_T2_jT3_P12ihipStream_tbPNSt15iterator_traitsISE_E10value_typeEPNSK_ISF_E10value_typeEPSG_NS1_7vsmem_tEENKUlT_SE_SF_SG_E_clIS8_S8_S9_S9_EESD_ST_SE_SF_SG_EUlST_E_NS1_11comp_targetILNS1_3genE2ELNS1_11target_archE906ELNS1_3gpuE6ELNS1_3repE0EEENS1_48merge_mergepath_partition_config_static_selectorELNS0_4arch9wavefront6targetE0EEEvSF_.private_seg_size, 0
	.set _ZN7rocprim17ROCPRIM_400000_NS6detail17trampoline_kernelINS0_14default_configENS1_38merge_sort_block_merge_config_selectorImNS0_10empty_typeEEEZZNS1_27merge_sort_block_merge_implIS3_PmPS5_jNS1_19radix_merge_compareILb1ELb0EmNS0_19identity_decomposerEEEEE10hipError_tT0_T1_T2_jT3_P12ihipStream_tbPNSt15iterator_traitsISE_E10value_typeEPNSK_ISF_E10value_typeEPSG_NS1_7vsmem_tEENKUlT_SE_SF_SG_E_clIS8_S8_S9_S9_EESD_ST_SE_SF_SG_EUlST_E_NS1_11comp_targetILNS1_3genE2ELNS1_11target_archE906ELNS1_3gpuE6ELNS1_3repE0EEENS1_48merge_mergepath_partition_config_static_selectorELNS0_4arch9wavefront6targetE0EEEvSF_.uses_vcc, 0
	.set _ZN7rocprim17ROCPRIM_400000_NS6detail17trampoline_kernelINS0_14default_configENS1_38merge_sort_block_merge_config_selectorImNS0_10empty_typeEEEZZNS1_27merge_sort_block_merge_implIS3_PmPS5_jNS1_19radix_merge_compareILb1ELb0EmNS0_19identity_decomposerEEEEE10hipError_tT0_T1_T2_jT3_P12ihipStream_tbPNSt15iterator_traitsISE_E10value_typeEPNSK_ISF_E10value_typeEPSG_NS1_7vsmem_tEENKUlT_SE_SF_SG_E_clIS8_S8_S9_S9_EESD_ST_SE_SF_SG_EUlST_E_NS1_11comp_targetILNS1_3genE2ELNS1_11target_archE906ELNS1_3gpuE6ELNS1_3repE0EEENS1_48merge_mergepath_partition_config_static_selectorELNS0_4arch9wavefront6targetE0EEEvSF_.uses_flat_scratch, 0
	.set _ZN7rocprim17ROCPRIM_400000_NS6detail17trampoline_kernelINS0_14default_configENS1_38merge_sort_block_merge_config_selectorImNS0_10empty_typeEEEZZNS1_27merge_sort_block_merge_implIS3_PmPS5_jNS1_19radix_merge_compareILb1ELb0EmNS0_19identity_decomposerEEEEE10hipError_tT0_T1_T2_jT3_P12ihipStream_tbPNSt15iterator_traitsISE_E10value_typeEPNSK_ISF_E10value_typeEPSG_NS1_7vsmem_tEENKUlT_SE_SF_SG_E_clIS8_S8_S9_S9_EESD_ST_SE_SF_SG_EUlST_E_NS1_11comp_targetILNS1_3genE2ELNS1_11target_archE906ELNS1_3gpuE6ELNS1_3repE0EEENS1_48merge_mergepath_partition_config_static_selectorELNS0_4arch9wavefront6targetE0EEEvSF_.has_dyn_sized_stack, 0
	.set _ZN7rocprim17ROCPRIM_400000_NS6detail17trampoline_kernelINS0_14default_configENS1_38merge_sort_block_merge_config_selectorImNS0_10empty_typeEEEZZNS1_27merge_sort_block_merge_implIS3_PmPS5_jNS1_19radix_merge_compareILb1ELb0EmNS0_19identity_decomposerEEEEE10hipError_tT0_T1_T2_jT3_P12ihipStream_tbPNSt15iterator_traitsISE_E10value_typeEPNSK_ISF_E10value_typeEPSG_NS1_7vsmem_tEENKUlT_SE_SF_SG_E_clIS8_S8_S9_S9_EESD_ST_SE_SF_SG_EUlST_E_NS1_11comp_targetILNS1_3genE2ELNS1_11target_archE906ELNS1_3gpuE6ELNS1_3repE0EEENS1_48merge_mergepath_partition_config_static_selectorELNS0_4arch9wavefront6targetE0EEEvSF_.has_recursion, 0
	.set _ZN7rocprim17ROCPRIM_400000_NS6detail17trampoline_kernelINS0_14default_configENS1_38merge_sort_block_merge_config_selectorImNS0_10empty_typeEEEZZNS1_27merge_sort_block_merge_implIS3_PmPS5_jNS1_19radix_merge_compareILb1ELb0EmNS0_19identity_decomposerEEEEE10hipError_tT0_T1_T2_jT3_P12ihipStream_tbPNSt15iterator_traitsISE_E10value_typeEPNSK_ISF_E10value_typeEPSG_NS1_7vsmem_tEENKUlT_SE_SF_SG_E_clIS8_S8_S9_S9_EESD_ST_SE_SF_SG_EUlST_E_NS1_11comp_targetILNS1_3genE2ELNS1_11target_archE906ELNS1_3gpuE6ELNS1_3repE0EEENS1_48merge_mergepath_partition_config_static_selectorELNS0_4arch9wavefront6targetE0EEEvSF_.has_indirect_call, 0
	.section	.AMDGPU.csdata,"",@progbits
; Kernel info:
; codeLenInByte = 0
; TotalNumSgprs: 0
; NumVgprs: 0
; ScratchSize: 0
; MemoryBound: 0
; FloatMode: 240
; IeeeMode: 1
; LDSByteSize: 0 bytes/workgroup (compile time only)
; SGPRBlocks: 0
; VGPRBlocks: 0
; NumSGPRsForWavesPerEU: 1
; NumVGPRsForWavesPerEU: 1
; NamedBarCnt: 0
; Occupancy: 16
; WaveLimiterHint : 0
; COMPUTE_PGM_RSRC2:SCRATCH_EN: 0
; COMPUTE_PGM_RSRC2:USER_SGPR: 2
; COMPUTE_PGM_RSRC2:TRAP_HANDLER: 0
; COMPUTE_PGM_RSRC2:TGID_X_EN: 1
; COMPUTE_PGM_RSRC2:TGID_Y_EN: 0
; COMPUTE_PGM_RSRC2:TGID_Z_EN: 0
; COMPUTE_PGM_RSRC2:TIDIG_COMP_CNT: 0
	.section	.text._ZN7rocprim17ROCPRIM_400000_NS6detail17trampoline_kernelINS0_14default_configENS1_38merge_sort_block_merge_config_selectorImNS0_10empty_typeEEEZZNS1_27merge_sort_block_merge_implIS3_PmPS5_jNS1_19radix_merge_compareILb1ELb0EmNS0_19identity_decomposerEEEEE10hipError_tT0_T1_T2_jT3_P12ihipStream_tbPNSt15iterator_traitsISE_E10value_typeEPNSK_ISF_E10value_typeEPSG_NS1_7vsmem_tEENKUlT_SE_SF_SG_E_clIS8_S8_S9_S9_EESD_ST_SE_SF_SG_EUlST_E_NS1_11comp_targetILNS1_3genE9ELNS1_11target_archE1100ELNS1_3gpuE3ELNS1_3repE0EEENS1_48merge_mergepath_partition_config_static_selectorELNS0_4arch9wavefront6targetE0EEEvSF_,"axG",@progbits,_ZN7rocprim17ROCPRIM_400000_NS6detail17trampoline_kernelINS0_14default_configENS1_38merge_sort_block_merge_config_selectorImNS0_10empty_typeEEEZZNS1_27merge_sort_block_merge_implIS3_PmPS5_jNS1_19radix_merge_compareILb1ELb0EmNS0_19identity_decomposerEEEEE10hipError_tT0_T1_T2_jT3_P12ihipStream_tbPNSt15iterator_traitsISE_E10value_typeEPNSK_ISF_E10value_typeEPSG_NS1_7vsmem_tEENKUlT_SE_SF_SG_E_clIS8_S8_S9_S9_EESD_ST_SE_SF_SG_EUlST_E_NS1_11comp_targetILNS1_3genE9ELNS1_11target_archE1100ELNS1_3gpuE3ELNS1_3repE0EEENS1_48merge_mergepath_partition_config_static_selectorELNS0_4arch9wavefront6targetE0EEEvSF_,comdat
	.protected	_ZN7rocprim17ROCPRIM_400000_NS6detail17trampoline_kernelINS0_14default_configENS1_38merge_sort_block_merge_config_selectorImNS0_10empty_typeEEEZZNS1_27merge_sort_block_merge_implIS3_PmPS5_jNS1_19radix_merge_compareILb1ELb0EmNS0_19identity_decomposerEEEEE10hipError_tT0_T1_T2_jT3_P12ihipStream_tbPNSt15iterator_traitsISE_E10value_typeEPNSK_ISF_E10value_typeEPSG_NS1_7vsmem_tEENKUlT_SE_SF_SG_E_clIS8_S8_S9_S9_EESD_ST_SE_SF_SG_EUlST_E_NS1_11comp_targetILNS1_3genE9ELNS1_11target_archE1100ELNS1_3gpuE3ELNS1_3repE0EEENS1_48merge_mergepath_partition_config_static_selectorELNS0_4arch9wavefront6targetE0EEEvSF_ ; -- Begin function _ZN7rocprim17ROCPRIM_400000_NS6detail17trampoline_kernelINS0_14default_configENS1_38merge_sort_block_merge_config_selectorImNS0_10empty_typeEEEZZNS1_27merge_sort_block_merge_implIS3_PmPS5_jNS1_19radix_merge_compareILb1ELb0EmNS0_19identity_decomposerEEEEE10hipError_tT0_T1_T2_jT3_P12ihipStream_tbPNSt15iterator_traitsISE_E10value_typeEPNSK_ISF_E10value_typeEPSG_NS1_7vsmem_tEENKUlT_SE_SF_SG_E_clIS8_S8_S9_S9_EESD_ST_SE_SF_SG_EUlST_E_NS1_11comp_targetILNS1_3genE9ELNS1_11target_archE1100ELNS1_3gpuE3ELNS1_3repE0EEENS1_48merge_mergepath_partition_config_static_selectorELNS0_4arch9wavefront6targetE0EEEvSF_
	.globl	_ZN7rocprim17ROCPRIM_400000_NS6detail17trampoline_kernelINS0_14default_configENS1_38merge_sort_block_merge_config_selectorImNS0_10empty_typeEEEZZNS1_27merge_sort_block_merge_implIS3_PmPS5_jNS1_19radix_merge_compareILb1ELb0EmNS0_19identity_decomposerEEEEE10hipError_tT0_T1_T2_jT3_P12ihipStream_tbPNSt15iterator_traitsISE_E10value_typeEPNSK_ISF_E10value_typeEPSG_NS1_7vsmem_tEENKUlT_SE_SF_SG_E_clIS8_S8_S9_S9_EESD_ST_SE_SF_SG_EUlST_E_NS1_11comp_targetILNS1_3genE9ELNS1_11target_archE1100ELNS1_3gpuE3ELNS1_3repE0EEENS1_48merge_mergepath_partition_config_static_selectorELNS0_4arch9wavefront6targetE0EEEvSF_
	.p2align	8
	.type	_ZN7rocprim17ROCPRIM_400000_NS6detail17trampoline_kernelINS0_14default_configENS1_38merge_sort_block_merge_config_selectorImNS0_10empty_typeEEEZZNS1_27merge_sort_block_merge_implIS3_PmPS5_jNS1_19radix_merge_compareILb1ELb0EmNS0_19identity_decomposerEEEEE10hipError_tT0_T1_T2_jT3_P12ihipStream_tbPNSt15iterator_traitsISE_E10value_typeEPNSK_ISF_E10value_typeEPSG_NS1_7vsmem_tEENKUlT_SE_SF_SG_E_clIS8_S8_S9_S9_EESD_ST_SE_SF_SG_EUlST_E_NS1_11comp_targetILNS1_3genE9ELNS1_11target_archE1100ELNS1_3gpuE3ELNS1_3repE0EEENS1_48merge_mergepath_partition_config_static_selectorELNS0_4arch9wavefront6targetE0EEEvSF_,@function
_ZN7rocprim17ROCPRIM_400000_NS6detail17trampoline_kernelINS0_14default_configENS1_38merge_sort_block_merge_config_selectorImNS0_10empty_typeEEEZZNS1_27merge_sort_block_merge_implIS3_PmPS5_jNS1_19radix_merge_compareILb1ELb0EmNS0_19identity_decomposerEEEEE10hipError_tT0_T1_T2_jT3_P12ihipStream_tbPNSt15iterator_traitsISE_E10value_typeEPNSK_ISF_E10value_typeEPSG_NS1_7vsmem_tEENKUlT_SE_SF_SG_E_clIS8_S8_S9_S9_EESD_ST_SE_SF_SG_EUlST_E_NS1_11comp_targetILNS1_3genE9ELNS1_11target_archE1100ELNS1_3gpuE3ELNS1_3repE0EEENS1_48merge_mergepath_partition_config_static_selectorELNS0_4arch9wavefront6targetE0EEEvSF_: ; @_ZN7rocprim17ROCPRIM_400000_NS6detail17trampoline_kernelINS0_14default_configENS1_38merge_sort_block_merge_config_selectorImNS0_10empty_typeEEEZZNS1_27merge_sort_block_merge_implIS3_PmPS5_jNS1_19radix_merge_compareILb1ELb0EmNS0_19identity_decomposerEEEEE10hipError_tT0_T1_T2_jT3_P12ihipStream_tbPNSt15iterator_traitsISE_E10value_typeEPNSK_ISF_E10value_typeEPSG_NS1_7vsmem_tEENKUlT_SE_SF_SG_E_clIS8_S8_S9_S9_EESD_ST_SE_SF_SG_EUlST_E_NS1_11comp_targetILNS1_3genE9ELNS1_11target_archE1100ELNS1_3gpuE3ELNS1_3repE0EEENS1_48merge_mergepath_partition_config_static_selectorELNS0_4arch9wavefront6targetE0EEEvSF_
; %bb.0:
	.section	.rodata,"a",@progbits
	.p2align	6, 0x0
	.amdhsa_kernel _ZN7rocprim17ROCPRIM_400000_NS6detail17trampoline_kernelINS0_14default_configENS1_38merge_sort_block_merge_config_selectorImNS0_10empty_typeEEEZZNS1_27merge_sort_block_merge_implIS3_PmPS5_jNS1_19radix_merge_compareILb1ELb0EmNS0_19identity_decomposerEEEEE10hipError_tT0_T1_T2_jT3_P12ihipStream_tbPNSt15iterator_traitsISE_E10value_typeEPNSK_ISF_E10value_typeEPSG_NS1_7vsmem_tEENKUlT_SE_SF_SG_E_clIS8_S8_S9_S9_EESD_ST_SE_SF_SG_EUlST_E_NS1_11comp_targetILNS1_3genE9ELNS1_11target_archE1100ELNS1_3gpuE3ELNS1_3repE0EEENS1_48merge_mergepath_partition_config_static_selectorELNS0_4arch9wavefront6targetE0EEEvSF_
		.amdhsa_group_segment_fixed_size 0
		.amdhsa_private_segment_fixed_size 0
		.amdhsa_kernarg_size 40
		.amdhsa_user_sgpr_count 2
		.amdhsa_user_sgpr_dispatch_ptr 0
		.amdhsa_user_sgpr_queue_ptr 0
		.amdhsa_user_sgpr_kernarg_segment_ptr 1
		.amdhsa_user_sgpr_dispatch_id 0
		.amdhsa_user_sgpr_kernarg_preload_length 0
		.amdhsa_user_sgpr_kernarg_preload_offset 0
		.amdhsa_user_sgpr_private_segment_size 0
		.amdhsa_wavefront_size32 1
		.amdhsa_uses_dynamic_stack 0
		.amdhsa_enable_private_segment 0
		.amdhsa_system_sgpr_workgroup_id_x 1
		.amdhsa_system_sgpr_workgroup_id_y 0
		.amdhsa_system_sgpr_workgroup_id_z 0
		.amdhsa_system_sgpr_workgroup_info 0
		.amdhsa_system_vgpr_workitem_id 0
		.amdhsa_next_free_vgpr 1
		.amdhsa_next_free_sgpr 1
		.amdhsa_named_barrier_count 0
		.amdhsa_reserve_vcc 0
		.amdhsa_float_round_mode_32 0
		.amdhsa_float_round_mode_16_64 0
		.amdhsa_float_denorm_mode_32 3
		.amdhsa_float_denorm_mode_16_64 3
		.amdhsa_fp16_overflow 0
		.amdhsa_memory_ordered 1
		.amdhsa_forward_progress 1
		.amdhsa_inst_pref_size 0
		.amdhsa_round_robin_scheduling 0
		.amdhsa_exception_fp_ieee_invalid_op 0
		.amdhsa_exception_fp_denorm_src 0
		.amdhsa_exception_fp_ieee_div_zero 0
		.amdhsa_exception_fp_ieee_overflow 0
		.amdhsa_exception_fp_ieee_underflow 0
		.amdhsa_exception_fp_ieee_inexact 0
		.amdhsa_exception_int_div_zero 0
	.end_amdhsa_kernel
	.section	.text._ZN7rocprim17ROCPRIM_400000_NS6detail17trampoline_kernelINS0_14default_configENS1_38merge_sort_block_merge_config_selectorImNS0_10empty_typeEEEZZNS1_27merge_sort_block_merge_implIS3_PmPS5_jNS1_19radix_merge_compareILb1ELb0EmNS0_19identity_decomposerEEEEE10hipError_tT0_T1_T2_jT3_P12ihipStream_tbPNSt15iterator_traitsISE_E10value_typeEPNSK_ISF_E10value_typeEPSG_NS1_7vsmem_tEENKUlT_SE_SF_SG_E_clIS8_S8_S9_S9_EESD_ST_SE_SF_SG_EUlST_E_NS1_11comp_targetILNS1_3genE9ELNS1_11target_archE1100ELNS1_3gpuE3ELNS1_3repE0EEENS1_48merge_mergepath_partition_config_static_selectorELNS0_4arch9wavefront6targetE0EEEvSF_,"axG",@progbits,_ZN7rocprim17ROCPRIM_400000_NS6detail17trampoline_kernelINS0_14default_configENS1_38merge_sort_block_merge_config_selectorImNS0_10empty_typeEEEZZNS1_27merge_sort_block_merge_implIS3_PmPS5_jNS1_19radix_merge_compareILb1ELb0EmNS0_19identity_decomposerEEEEE10hipError_tT0_T1_T2_jT3_P12ihipStream_tbPNSt15iterator_traitsISE_E10value_typeEPNSK_ISF_E10value_typeEPSG_NS1_7vsmem_tEENKUlT_SE_SF_SG_E_clIS8_S8_S9_S9_EESD_ST_SE_SF_SG_EUlST_E_NS1_11comp_targetILNS1_3genE9ELNS1_11target_archE1100ELNS1_3gpuE3ELNS1_3repE0EEENS1_48merge_mergepath_partition_config_static_selectorELNS0_4arch9wavefront6targetE0EEEvSF_,comdat
.Lfunc_end2804:
	.size	_ZN7rocprim17ROCPRIM_400000_NS6detail17trampoline_kernelINS0_14default_configENS1_38merge_sort_block_merge_config_selectorImNS0_10empty_typeEEEZZNS1_27merge_sort_block_merge_implIS3_PmPS5_jNS1_19radix_merge_compareILb1ELb0EmNS0_19identity_decomposerEEEEE10hipError_tT0_T1_T2_jT3_P12ihipStream_tbPNSt15iterator_traitsISE_E10value_typeEPNSK_ISF_E10value_typeEPSG_NS1_7vsmem_tEENKUlT_SE_SF_SG_E_clIS8_S8_S9_S9_EESD_ST_SE_SF_SG_EUlST_E_NS1_11comp_targetILNS1_3genE9ELNS1_11target_archE1100ELNS1_3gpuE3ELNS1_3repE0EEENS1_48merge_mergepath_partition_config_static_selectorELNS0_4arch9wavefront6targetE0EEEvSF_, .Lfunc_end2804-_ZN7rocprim17ROCPRIM_400000_NS6detail17trampoline_kernelINS0_14default_configENS1_38merge_sort_block_merge_config_selectorImNS0_10empty_typeEEEZZNS1_27merge_sort_block_merge_implIS3_PmPS5_jNS1_19radix_merge_compareILb1ELb0EmNS0_19identity_decomposerEEEEE10hipError_tT0_T1_T2_jT3_P12ihipStream_tbPNSt15iterator_traitsISE_E10value_typeEPNSK_ISF_E10value_typeEPSG_NS1_7vsmem_tEENKUlT_SE_SF_SG_E_clIS8_S8_S9_S9_EESD_ST_SE_SF_SG_EUlST_E_NS1_11comp_targetILNS1_3genE9ELNS1_11target_archE1100ELNS1_3gpuE3ELNS1_3repE0EEENS1_48merge_mergepath_partition_config_static_selectorELNS0_4arch9wavefront6targetE0EEEvSF_
                                        ; -- End function
	.set _ZN7rocprim17ROCPRIM_400000_NS6detail17trampoline_kernelINS0_14default_configENS1_38merge_sort_block_merge_config_selectorImNS0_10empty_typeEEEZZNS1_27merge_sort_block_merge_implIS3_PmPS5_jNS1_19radix_merge_compareILb1ELb0EmNS0_19identity_decomposerEEEEE10hipError_tT0_T1_T2_jT3_P12ihipStream_tbPNSt15iterator_traitsISE_E10value_typeEPNSK_ISF_E10value_typeEPSG_NS1_7vsmem_tEENKUlT_SE_SF_SG_E_clIS8_S8_S9_S9_EESD_ST_SE_SF_SG_EUlST_E_NS1_11comp_targetILNS1_3genE9ELNS1_11target_archE1100ELNS1_3gpuE3ELNS1_3repE0EEENS1_48merge_mergepath_partition_config_static_selectorELNS0_4arch9wavefront6targetE0EEEvSF_.num_vgpr, 0
	.set _ZN7rocprim17ROCPRIM_400000_NS6detail17trampoline_kernelINS0_14default_configENS1_38merge_sort_block_merge_config_selectorImNS0_10empty_typeEEEZZNS1_27merge_sort_block_merge_implIS3_PmPS5_jNS1_19radix_merge_compareILb1ELb0EmNS0_19identity_decomposerEEEEE10hipError_tT0_T1_T2_jT3_P12ihipStream_tbPNSt15iterator_traitsISE_E10value_typeEPNSK_ISF_E10value_typeEPSG_NS1_7vsmem_tEENKUlT_SE_SF_SG_E_clIS8_S8_S9_S9_EESD_ST_SE_SF_SG_EUlST_E_NS1_11comp_targetILNS1_3genE9ELNS1_11target_archE1100ELNS1_3gpuE3ELNS1_3repE0EEENS1_48merge_mergepath_partition_config_static_selectorELNS0_4arch9wavefront6targetE0EEEvSF_.num_agpr, 0
	.set _ZN7rocprim17ROCPRIM_400000_NS6detail17trampoline_kernelINS0_14default_configENS1_38merge_sort_block_merge_config_selectorImNS0_10empty_typeEEEZZNS1_27merge_sort_block_merge_implIS3_PmPS5_jNS1_19radix_merge_compareILb1ELb0EmNS0_19identity_decomposerEEEEE10hipError_tT0_T1_T2_jT3_P12ihipStream_tbPNSt15iterator_traitsISE_E10value_typeEPNSK_ISF_E10value_typeEPSG_NS1_7vsmem_tEENKUlT_SE_SF_SG_E_clIS8_S8_S9_S9_EESD_ST_SE_SF_SG_EUlST_E_NS1_11comp_targetILNS1_3genE9ELNS1_11target_archE1100ELNS1_3gpuE3ELNS1_3repE0EEENS1_48merge_mergepath_partition_config_static_selectorELNS0_4arch9wavefront6targetE0EEEvSF_.numbered_sgpr, 0
	.set _ZN7rocprim17ROCPRIM_400000_NS6detail17trampoline_kernelINS0_14default_configENS1_38merge_sort_block_merge_config_selectorImNS0_10empty_typeEEEZZNS1_27merge_sort_block_merge_implIS3_PmPS5_jNS1_19radix_merge_compareILb1ELb0EmNS0_19identity_decomposerEEEEE10hipError_tT0_T1_T2_jT3_P12ihipStream_tbPNSt15iterator_traitsISE_E10value_typeEPNSK_ISF_E10value_typeEPSG_NS1_7vsmem_tEENKUlT_SE_SF_SG_E_clIS8_S8_S9_S9_EESD_ST_SE_SF_SG_EUlST_E_NS1_11comp_targetILNS1_3genE9ELNS1_11target_archE1100ELNS1_3gpuE3ELNS1_3repE0EEENS1_48merge_mergepath_partition_config_static_selectorELNS0_4arch9wavefront6targetE0EEEvSF_.num_named_barrier, 0
	.set _ZN7rocprim17ROCPRIM_400000_NS6detail17trampoline_kernelINS0_14default_configENS1_38merge_sort_block_merge_config_selectorImNS0_10empty_typeEEEZZNS1_27merge_sort_block_merge_implIS3_PmPS5_jNS1_19radix_merge_compareILb1ELb0EmNS0_19identity_decomposerEEEEE10hipError_tT0_T1_T2_jT3_P12ihipStream_tbPNSt15iterator_traitsISE_E10value_typeEPNSK_ISF_E10value_typeEPSG_NS1_7vsmem_tEENKUlT_SE_SF_SG_E_clIS8_S8_S9_S9_EESD_ST_SE_SF_SG_EUlST_E_NS1_11comp_targetILNS1_3genE9ELNS1_11target_archE1100ELNS1_3gpuE3ELNS1_3repE0EEENS1_48merge_mergepath_partition_config_static_selectorELNS0_4arch9wavefront6targetE0EEEvSF_.private_seg_size, 0
	.set _ZN7rocprim17ROCPRIM_400000_NS6detail17trampoline_kernelINS0_14default_configENS1_38merge_sort_block_merge_config_selectorImNS0_10empty_typeEEEZZNS1_27merge_sort_block_merge_implIS3_PmPS5_jNS1_19radix_merge_compareILb1ELb0EmNS0_19identity_decomposerEEEEE10hipError_tT0_T1_T2_jT3_P12ihipStream_tbPNSt15iterator_traitsISE_E10value_typeEPNSK_ISF_E10value_typeEPSG_NS1_7vsmem_tEENKUlT_SE_SF_SG_E_clIS8_S8_S9_S9_EESD_ST_SE_SF_SG_EUlST_E_NS1_11comp_targetILNS1_3genE9ELNS1_11target_archE1100ELNS1_3gpuE3ELNS1_3repE0EEENS1_48merge_mergepath_partition_config_static_selectorELNS0_4arch9wavefront6targetE0EEEvSF_.uses_vcc, 0
	.set _ZN7rocprim17ROCPRIM_400000_NS6detail17trampoline_kernelINS0_14default_configENS1_38merge_sort_block_merge_config_selectorImNS0_10empty_typeEEEZZNS1_27merge_sort_block_merge_implIS3_PmPS5_jNS1_19radix_merge_compareILb1ELb0EmNS0_19identity_decomposerEEEEE10hipError_tT0_T1_T2_jT3_P12ihipStream_tbPNSt15iterator_traitsISE_E10value_typeEPNSK_ISF_E10value_typeEPSG_NS1_7vsmem_tEENKUlT_SE_SF_SG_E_clIS8_S8_S9_S9_EESD_ST_SE_SF_SG_EUlST_E_NS1_11comp_targetILNS1_3genE9ELNS1_11target_archE1100ELNS1_3gpuE3ELNS1_3repE0EEENS1_48merge_mergepath_partition_config_static_selectorELNS0_4arch9wavefront6targetE0EEEvSF_.uses_flat_scratch, 0
	.set _ZN7rocprim17ROCPRIM_400000_NS6detail17trampoline_kernelINS0_14default_configENS1_38merge_sort_block_merge_config_selectorImNS0_10empty_typeEEEZZNS1_27merge_sort_block_merge_implIS3_PmPS5_jNS1_19radix_merge_compareILb1ELb0EmNS0_19identity_decomposerEEEEE10hipError_tT0_T1_T2_jT3_P12ihipStream_tbPNSt15iterator_traitsISE_E10value_typeEPNSK_ISF_E10value_typeEPSG_NS1_7vsmem_tEENKUlT_SE_SF_SG_E_clIS8_S8_S9_S9_EESD_ST_SE_SF_SG_EUlST_E_NS1_11comp_targetILNS1_3genE9ELNS1_11target_archE1100ELNS1_3gpuE3ELNS1_3repE0EEENS1_48merge_mergepath_partition_config_static_selectorELNS0_4arch9wavefront6targetE0EEEvSF_.has_dyn_sized_stack, 0
	.set _ZN7rocprim17ROCPRIM_400000_NS6detail17trampoline_kernelINS0_14default_configENS1_38merge_sort_block_merge_config_selectorImNS0_10empty_typeEEEZZNS1_27merge_sort_block_merge_implIS3_PmPS5_jNS1_19radix_merge_compareILb1ELb0EmNS0_19identity_decomposerEEEEE10hipError_tT0_T1_T2_jT3_P12ihipStream_tbPNSt15iterator_traitsISE_E10value_typeEPNSK_ISF_E10value_typeEPSG_NS1_7vsmem_tEENKUlT_SE_SF_SG_E_clIS8_S8_S9_S9_EESD_ST_SE_SF_SG_EUlST_E_NS1_11comp_targetILNS1_3genE9ELNS1_11target_archE1100ELNS1_3gpuE3ELNS1_3repE0EEENS1_48merge_mergepath_partition_config_static_selectorELNS0_4arch9wavefront6targetE0EEEvSF_.has_recursion, 0
	.set _ZN7rocprim17ROCPRIM_400000_NS6detail17trampoline_kernelINS0_14default_configENS1_38merge_sort_block_merge_config_selectorImNS0_10empty_typeEEEZZNS1_27merge_sort_block_merge_implIS3_PmPS5_jNS1_19radix_merge_compareILb1ELb0EmNS0_19identity_decomposerEEEEE10hipError_tT0_T1_T2_jT3_P12ihipStream_tbPNSt15iterator_traitsISE_E10value_typeEPNSK_ISF_E10value_typeEPSG_NS1_7vsmem_tEENKUlT_SE_SF_SG_E_clIS8_S8_S9_S9_EESD_ST_SE_SF_SG_EUlST_E_NS1_11comp_targetILNS1_3genE9ELNS1_11target_archE1100ELNS1_3gpuE3ELNS1_3repE0EEENS1_48merge_mergepath_partition_config_static_selectorELNS0_4arch9wavefront6targetE0EEEvSF_.has_indirect_call, 0
	.section	.AMDGPU.csdata,"",@progbits
; Kernel info:
; codeLenInByte = 0
; TotalNumSgprs: 0
; NumVgprs: 0
; ScratchSize: 0
; MemoryBound: 0
; FloatMode: 240
; IeeeMode: 1
; LDSByteSize: 0 bytes/workgroup (compile time only)
; SGPRBlocks: 0
; VGPRBlocks: 0
; NumSGPRsForWavesPerEU: 1
; NumVGPRsForWavesPerEU: 1
; NamedBarCnt: 0
; Occupancy: 16
; WaveLimiterHint : 0
; COMPUTE_PGM_RSRC2:SCRATCH_EN: 0
; COMPUTE_PGM_RSRC2:USER_SGPR: 2
; COMPUTE_PGM_RSRC2:TRAP_HANDLER: 0
; COMPUTE_PGM_RSRC2:TGID_X_EN: 1
; COMPUTE_PGM_RSRC2:TGID_Y_EN: 0
; COMPUTE_PGM_RSRC2:TGID_Z_EN: 0
; COMPUTE_PGM_RSRC2:TIDIG_COMP_CNT: 0
	.section	.text._ZN7rocprim17ROCPRIM_400000_NS6detail17trampoline_kernelINS0_14default_configENS1_38merge_sort_block_merge_config_selectorImNS0_10empty_typeEEEZZNS1_27merge_sort_block_merge_implIS3_PmPS5_jNS1_19radix_merge_compareILb1ELb0EmNS0_19identity_decomposerEEEEE10hipError_tT0_T1_T2_jT3_P12ihipStream_tbPNSt15iterator_traitsISE_E10value_typeEPNSK_ISF_E10value_typeEPSG_NS1_7vsmem_tEENKUlT_SE_SF_SG_E_clIS8_S8_S9_S9_EESD_ST_SE_SF_SG_EUlST_E_NS1_11comp_targetILNS1_3genE8ELNS1_11target_archE1030ELNS1_3gpuE2ELNS1_3repE0EEENS1_48merge_mergepath_partition_config_static_selectorELNS0_4arch9wavefront6targetE0EEEvSF_,"axG",@progbits,_ZN7rocprim17ROCPRIM_400000_NS6detail17trampoline_kernelINS0_14default_configENS1_38merge_sort_block_merge_config_selectorImNS0_10empty_typeEEEZZNS1_27merge_sort_block_merge_implIS3_PmPS5_jNS1_19radix_merge_compareILb1ELb0EmNS0_19identity_decomposerEEEEE10hipError_tT0_T1_T2_jT3_P12ihipStream_tbPNSt15iterator_traitsISE_E10value_typeEPNSK_ISF_E10value_typeEPSG_NS1_7vsmem_tEENKUlT_SE_SF_SG_E_clIS8_S8_S9_S9_EESD_ST_SE_SF_SG_EUlST_E_NS1_11comp_targetILNS1_3genE8ELNS1_11target_archE1030ELNS1_3gpuE2ELNS1_3repE0EEENS1_48merge_mergepath_partition_config_static_selectorELNS0_4arch9wavefront6targetE0EEEvSF_,comdat
	.protected	_ZN7rocprim17ROCPRIM_400000_NS6detail17trampoline_kernelINS0_14default_configENS1_38merge_sort_block_merge_config_selectorImNS0_10empty_typeEEEZZNS1_27merge_sort_block_merge_implIS3_PmPS5_jNS1_19radix_merge_compareILb1ELb0EmNS0_19identity_decomposerEEEEE10hipError_tT0_T1_T2_jT3_P12ihipStream_tbPNSt15iterator_traitsISE_E10value_typeEPNSK_ISF_E10value_typeEPSG_NS1_7vsmem_tEENKUlT_SE_SF_SG_E_clIS8_S8_S9_S9_EESD_ST_SE_SF_SG_EUlST_E_NS1_11comp_targetILNS1_3genE8ELNS1_11target_archE1030ELNS1_3gpuE2ELNS1_3repE0EEENS1_48merge_mergepath_partition_config_static_selectorELNS0_4arch9wavefront6targetE0EEEvSF_ ; -- Begin function _ZN7rocprim17ROCPRIM_400000_NS6detail17trampoline_kernelINS0_14default_configENS1_38merge_sort_block_merge_config_selectorImNS0_10empty_typeEEEZZNS1_27merge_sort_block_merge_implIS3_PmPS5_jNS1_19radix_merge_compareILb1ELb0EmNS0_19identity_decomposerEEEEE10hipError_tT0_T1_T2_jT3_P12ihipStream_tbPNSt15iterator_traitsISE_E10value_typeEPNSK_ISF_E10value_typeEPSG_NS1_7vsmem_tEENKUlT_SE_SF_SG_E_clIS8_S8_S9_S9_EESD_ST_SE_SF_SG_EUlST_E_NS1_11comp_targetILNS1_3genE8ELNS1_11target_archE1030ELNS1_3gpuE2ELNS1_3repE0EEENS1_48merge_mergepath_partition_config_static_selectorELNS0_4arch9wavefront6targetE0EEEvSF_
	.globl	_ZN7rocprim17ROCPRIM_400000_NS6detail17trampoline_kernelINS0_14default_configENS1_38merge_sort_block_merge_config_selectorImNS0_10empty_typeEEEZZNS1_27merge_sort_block_merge_implIS3_PmPS5_jNS1_19radix_merge_compareILb1ELb0EmNS0_19identity_decomposerEEEEE10hipError_tT0_T1_T2_jT3_P12ihipStream_tbPNSt15iterator_traitsISE_E10value_typeEPNSK_ISF_E10value_typeEPSG_NS1_7vsmem_tEENKUlT_SE_SF_SG_E_clIS8_S8_S9_S9_EESD_ST_SE_SF_SG_EUlST_E_NS1_11comp_targetILNS1_3genE8ELNS1_11target_archE1030ELNS1_3gpuE2ELNS1_3repE0EEENS1_48merge_mergepath_partition_config_static_selectorELNS0_4arch9wavefront6targetE0EEEvSF_
	.p2align	8
	.type	_ZN7rocprim17ROCPRIM_400000_NS6detail17trampoline_kernelINS0_14default_configENS1_38merge_sort_block_merge_config_selectorImNS0_10empty_typeEEEZZNS1_27merge_sort_block_merge_implIS3_PmPS5_jNS1_19radix_merge_compareILb1ELb0EmNS0_19identity_decomposerEEEEE10hipError_tT0_T1_T2_jT3_P12ihipStream_tbPNSt15iterator_traitsISE_E10value_typeEPNSK_ISF_E10value_typeEPSG_NS1_7vsmem_tEENKUlT_SE_SF_SG_E_clIS8_S8_S9_S9_EESD_ST_SE_SF_SG_EUlST_E_NS1_11comp_targetILNS1_3genE8ELNS1_11target_archE1030ELNS1_3gpuE2ELNS1_3repE0EEENS1_48merge_mergepath_partition_config_static_selectorELNS0_4arch9wavefront6targetE0EEEvSF_,@function
_ZN7rocprim17ROCPRIM_400000_NS6detail17trampoline_kernelINS0_14default_configENS1_38merge_sort_block_merge_config_selectorImNS0_10empty_typeEEEZZNS1_27merge_sort_block_merge_implIS3_PmPS5_jNS1_19radix_merge_compareILb1ELb0EmNS0_19identity_decomposerEEEEE10hipError_tT0_T1_T2_jT3_P12ihipStream_tbPNSt15iterator_traitsISE_E10value_typeEPNSK_ISF_E10value_typeEPSG_NS1_7vsmem_tEENKUlT_SE_SF_SG_E_clIS8_S8_S9_S9_EESD_ST_SE_SF_SG_EUlST_E_NS1_11comp_targetILNS1_3genE8ELNS1_11target_archE1030ELNS1_3gpuE2ELNS1_3repE0EEENS1_48merge_mergepath_partition_config_static_selectorELNS0_4arch9wavefront6targetE0EEEvSF_: ; @_ZN7rocprim17ROCPRIM_400000_NS6detail17trampoline_kernelINS0_14default_configENS1_38merge_sort_block_merge_config_selectorImNS0_10empty_typeEEEZZNS1_27merge_sort_block_merge_implIS3_PmPS5_jNS1_19radix_merge_compareILb1ELb0EmNS0_19identity_decomposerEEEEE10hipError_tT0_T1_T2_jT3_P12ihipStream_tbPNSt15iterator_traitsISE_E10value_typeEPNSK_ISF_E10value_typeEPSG_NS1_7vsmem_tEENKUlT_SE_SF_SG_E_clIS8_S8_S9_S9_EESD_ST_SE_SF_SG_EUlST_E_NS1_11comp_targetILNS1_3genE8ELNS1_11target_archE1030ELNS1_3gpuE2ELNS1_3repE0EEENS1_48merge_mergepath_partition_config_static_selectorELNS0_4arch9wavefront6targetE0EEEvSF_
; %bb.0:
	.section	.rodata,"a",@progbits
	.p2align	6, 0x0
	.amdhsa_kernel _ZN7rocprim17ROCPRIM_400000_NS6detail17trampoline_kernelINS0_14default_configENS1_38merge_sort_block_merge_config_selectorImNS0_10empty_typeEEEZZNS1_27merge_sort_block_merge_implIS3_PmPS5_jNS1_19radix_merge_compareILb1ELb0EmNS0_19identity_decomposerEEEEE10hipError_tT0_T1_T2_jT3_P12ihipStream_tbPNSt15iterator_traitsISE_E10value_typeEPNSK_ISF_E10value_typeEPSG_NS1_7vsmem_tEENKUlT_SE_SF_SG_E_clIS8_S8_S9_S9_EESD_ST_SE_SF_SG_EUlST_E_NS1_11comp_targetILNS1_3genE8ELNS1_11target_archE1030ELNS1_3gpuE2ELNS1_3repE0EEENS1_48merge_mergepath_partition_config_static_selectorELNS0_4arch9wavefront6targetE0EEEvSF_
		.amdhsa_group_segment_fixed_size 0
		.amdhsa_private_segment_fixed_size 0
		.amdhsa_kernarg_size 40
		.amdhsa_user_sgpr_count 2
		.amdhsa_user_sgpr_dispatch_ptr 0
		.amdhsa_user_sgpr_queue_ptr 0
		.amdhsa_user_sgpr_kernarg_segment_ptr 1
		.amdhsa_user_sgpr_dispatch_id 0
		.amdhsa_user_sgpr_kernarg_preload_length 0
		.amdhsa_user_sgpr_kernarg_preload_offset 0
		.amdhsa_user_sgpr_private_segment_size 0
		.amdhsa_wavefront_size32 1
		.amdhsa_uses_dynamic_stack 0
		.amdhsa_enable_private_segment 0
		.amdhsa_system_sgpr_workgroup_id_x 1
		.amdhsa_system_sgpr_workgroup_id_y 0
		.amdhsa_system_sgpr_workgroup_id_z 0
		.amdhsa_system_sgpr_workgroup_info 0
		.amdhsa_system_vgpr_workitem_id 0
		.amdhsa_next_free_vgpr 1
		.amdhsa_next_free_sgpr 1
		.amdhsa_named_barrier_count 0
		.amdhsa_reserve_vcc 0
		.amdhsa_float_round_mode_32 0
		.amdhsa_float_round_mode_16_64 0
		.amdhsa_float_denorm_mode_32 3
		.amdhsa_float_denorm_mode_16_64 3
		.amdhsa_fp16_overflow 0
		.amdhsa_memory_ordered 1
		.amdhsa_forward_progress 1
		.amdhsa_inst_pref_size 0
		.amdhsa_round_robin_scheduling 0
		.amdhsa_exception_fp_ieee_invalid_op 0
		.amdhsa_exception_fp_denorm_src 0
		.amdhsa_exception_fp_ieee_div_zero 0
		.amdhsa_exception_fp_ieee_overflow 0
		.amdhsa_exception_fp_ieee_underflow 0
		.amdhsa_exception_fp_ieee_inexact 0
		.amdhsa_exception_int_div_zero 0
	.end_amdhsa_kernel
	.section	.text._ZN7rocprim17ROCPRIM_400000_NS6detail17trampoline_kernelINS0_14default_configENS1_38merge_sort_block_merge_config_selectorImNS0_10empty_typeEEEZZNS1_27merge_sort_block_merge_implIS3_PmPS5_jNS1_19radix_merge_compareILb1ELb0EmNS0_19identity_decomposerEEEEE10hipError_tT0_T1_T2_jT3_P12ihipStream_tbPNSt15iterator_traitsISE_E10value_typeEPNSK_ISF_E10value_typeEPSG_NS1_7vsmem_tEENKUlT_SE_SF_SG_E_clIS8_S8_S9_S9_EESD_ST_SE_SF_SG_EUlST_E_NS1_11comp_targetILNS1_3genE8ELNS1_11target_archE1030ELNS1_3gpuE2ELNS1_3repE0EEENS1_48merge_mergepath_partition_config_static_selectorELNS0_4arch9wavefront6targetE0EEEvSF_,"axG",@progbits,_ZN7rocprim17ROCPRIM_400000_NS6detail17trampoline_kernelINS0_14default_configENS1_38merge_sort_block_merge_config_selectorImNS0_10empty_typeEEEZZNS1_27merge_sort_block_merge_implIS3_PmPS5_jNS1_19radix_merge_compareILb1ELb0EmNS0_19identity_decomposerEEEEE10hipError_tT0_T1_T2_jT3_P12ihipStream_tbPNSt15iterator_traitsISE_E10value_typeEPNSK_ISF_E10value_typeEPSG_NS1_7vsmem_tEENKUlT_SE_SF_SG_E_clIS8_S8_S9_S9_EESD_ST_SE_SF_SG_EUlST_E_NS1_11comp_targetILNS1_3genE8ELNS1_11target_archE1030ELNS1_3gpuE2ELNS1_3repE0EEENS1_48merge_mergepath_partition_config_static_selectorELNS0_4arch9wavefront6targetE0EEEvSF_,comdat
.Lfunc_end2805:
	.size	_ZN7rocprim17ROCPRIM_400000_NS6detail17trampoline_kernelINS0_14default_configENS1_38merge_sort_block_merge_config_selectorImNS0_10empty_typeEEEZZNS1_27merge_sort_block_merge_implIS3_PmPS5_jNS1_19radix_merge_compareILb1ELb0EmNS0_19identity_decomposerEEEEE10hipError_tT0_T1_T2_jT3_P12ihipStream_tbPNSt15iterator_traitsISE_E10value_typeEPNSK_ISF_E10value_typeEPSG_NS1_7vsmem_tEENKUlT_SE_SF_SG_E_clIS8_S8_S9_S9_EESD_ST_SE_SF_SG_EUlST_E_NS1_11comp_targetILNS1_3genE8ELNS1_11target_archE1030ELNS1_3gpuE2ELNS1_3repE0EEENS1_48merge_mergepath_partition_config_static_selectorELNS0_4arch9wavefront6targetE0EEEvSF_, .Lfunc_end2805-_ZN7rocprim17ROCPRIM_400000_NS6detail17trampoline_kernelINS0_14default_configENS1_38merge_sort_block_merge_config_selectorImNS0_10empty_typeEEEZZNS1_27merge_sort_block_merge_implIS3_PmPS5_jNS1_19radix_merge_compareILb1ELb0EmNS0_19identity_decomposerEEEEE10hipError_tT0_T1_T2_jT3_P12ihipStream_tbPNSt15iterator_traitsISE_E10value_typeEPNSK_ISF_E10value_typeEPSG_NS1_7vsmem_tEENKUlT_SE_SF_SG_E_clIS8_S8_S9_S9_EESD_ST_SE_SF_SG_EUlST_E_NS1_11comp_targetILNS1_3genE8ELNS1_11target_archE1030ELNS1_3gpuE2ELNS1_3repE0EEENS1_48merge_mergepath_partition_config_static_selectorELNS0_4arch9wavefront6targetE0EEEvSF_
                                        ; -- End function
	.set _ZN7rocprim17ROCPRIM_400000_NS6detail17trampoline_kernelINS0_14default_configENS1_38merge_sort_block_merge_config_selectorImNS0_10empty_typeEEEZZNS1_27merge_sort_block_merge_implIS3_PmPS5_jNS1_19radix_merge_compareILb1ELb0EmNS0_19identity_decomposerEEEEE10hipError_tT0_T1_T2_jT3_P12ihipStream_tbPNSt15iterator_traitsISE_E10value_typeEPNSK_ISF_E10value_typeEPSG_NS1_7vsmem_tEENKUlT_SE_SF_SG_E_clIS8_S8_S9_S9_EESD_ST_SE_SF_SG_EUlST_E_NS1_11comp_targetILNS1_3genE8ELNS1_11target_archE1030ELNS1_3gpuE2ELNS1_3repE0EEENS1_48merge_mergepath_partition_config_static_selectorELNS0_4arch9wavefront6targetE0EEEvSF_.num_vgpr, 0
	.set _ZN7rocprim17ROCPRIM_400000_NS6detail17trampoline_kernelINS0_14default_configENS1_38merge_sort_block_merge_config_selectorImNS0_10empty_typeEEEZZNS1_27merge_sort_block_merge_implIS3_PmPS5_jNS1_19radix_merge_compareILb1ELb0EmNS0_19identity_decomposerEEEEE10hipError_tT0_T1_T2_jT3_P12ihipStream_tbPNSt15iterator_traitsISE_E10value_typeEPNSK_ISF_E10value_typeEPSG_NS1_7vsmem_tEENKUlT_SE_SF_SG_E_clIS8_S8_S9_S9_EESD_ST_SE_SF_SG_EUlST_E_NS1_11comp_targetILNS1_3genE8ELNS1_11target_archE1030ELNS1_3gpuE2ELNS1_3repE0EEENS1_48merge_mergepath_partition_config_static_selectorELNS0_4arch9wavefront6targetE0EEEvSF_.num_agpr, 0
	.set _ZN7rocprim17ROCPRIM_400000_NS6detail17trampoline_kernelINS0_14default_configENS1_38merge_sort_block_merge_config_selectorImNS0_10empty_typeEEEZZNS1_27merge_sort_block_merge_implIS3_PmPS5_jNS1_19radix_merge_compareILb1ELb0EmNS0_19identity_decomposerEEEEE10hipError_tT0_T1_T2_jT3_P12ihipStream_tbPNSt15iterator_traitsISE_E10value_typeEPNSK_ISF_E10value_typeEPSG_NS1_7vsmem_tEENKUlT_SE_SF_SG_E_clIS8_S8_S9_S9_EESD_ST_SE_SF_SG_EUlST_E_NS1_11comp_targetILNS1_3genE8ELNS1_11target_archE1030ELNS1_3gpuE2ELNS1_3repE0EEENS1_48merge_mergepath_partition_config_static_selectorELNS0_4arch9wavefront6targetE0EEEvSF_.numbered_sgpr, 0
	.set _ZN7rocprim17ROCPRIM_400000_NS6detail17trampoline_kernelINS0_14default_configENS1_38merge_sort_block_merge_config_selectorImNS0_10empty_typeEEEZZNS1_27merge_sort_block_merge_implIS3_PmPS5_jNS1_19radix_merge_compareILb1ELb0EmNS0_19identity_decomposerEEEEE10hipError_tT0_T1_T2_jT3_P12ihipStream_tbPNSt15iterator_traitsISE_E10value_typeEPNSK_ISF_E10value_typeEPSG_NS1_7vsmem_tEENKUlT_SE_SF_SG_E_clIS8_S8_S9_S9_EESD_ST_SE_SF_SG_EUlST_E_NS1_11comp_targetILNS1_3genE8ELNS1_11target_archE1030ELNS1_3gpuE2ELNS1_3repE0EEENS1_48merge_mergepath_partition_config_static_selectorELNS0_4arch9wavefront6targetE0EEEvSF_.num_named_barrier, 0
	.set _ZN7rocprim17ROCPRIM_400000_NS6detail17trampoline_kernelINS0_14default_configENS1_38merge_sort_block_merge_config_selectorImNS0_10empty_typeEEEZZNS1_27merge_sort_block_merge_implIS3_PmPS5_jNS1_19radix_merge_compareILb1ELb0EmNS0_19identity_decomposerEEEEE10hipError_tT0_T1_T2_jT3_P12ihipStream_tbPNSt15iterator_traitsISE_E10value_typeEPNSK_ISF_E10value_typeEPSG_NS1_7vsmem_tEENKUlT_SE_SF_SG_E_clIS8_S8_S9_S9_EESD_ST_SE_SF_SG_EUlST_E_NS1_11comp_targetILNS1_3genE8ELNS1_11target_archE1030ELNS1_3gpuE2ELNS1_3repE0EEENS1_48merge_mergepath_partition_config_static_selectorELNS0_4arch9wavefront6targetE0EEEvSF_.private_seg_size, 0
	.set _ZN7rocprim17ROCPRIM_400000_NS6detail17trampoline_kernelINS0_14default_configENS1_38merge_sort_block_merge_config_selectorImNS0_10empty_typeEEEZZNS1_27merge_sort_block_merge_implIS3_PmPS5_jNS1_19radix_merge_compareILb1ELb0EmNS0_19identity_decomposerEEEEE10hipError_tT0_T1_T2_jT3_P12ihipStream_tbPNSt15iterator_traitsISE_E10value_typeEPNSK_ISF_E10value_typeEPSG_NS1_7vsmem_tEENKUlT_SE_SF_SG_E_clIS8_S8_S9_S9_EESD_ST_SE_SF_SG_EUlST_E_NS1_11comp_targetILNS1_3genE8ELNS1_11target_archE1030ELNS1_3gpuE2ELNS1_3repE0EEENS1_48merge_mergepath_partition_config_static_selectorELNS0_4arch9wavefront6targetE0EEEvSF_.uses_vcc, 0
	.set _ZN7rocprim17ROCPRIM_400000_NS6detail17trampoline_kernelINS0_14default_configENS1_38merge_sort_block_merge_config_selectorImNS0_10empty_typeEEEZZNS1_27merge_sort_block_merge_implIS3_PmPS5_jNS1_19radix_merge_compareILb1ELb0EmNS0_19identity_decomposerEEEEE10hipError_tT0_T1_T2_jT3_P12ihipStream_tbPNSt15iterator_traitsISE_E10value_typeEPNSK_ISF_E10value_typeEPSG_NS1_7vsmem_tEENKUlT_SE_SF_SG_E_clIS8_S8_S9_S9_EESD_ST_SE_SF_SG_EUlST_E_NS1_11comp_targetILNS1_3genE8ELNS1_11target_archE1030ELNS1_3gpuE2ELNS1_3repE0EEENS1_48merge_mergepath_partition_config_static_selectorELNS0_4arch9wavefront6targetE0EEEvSF_.uses_flat_scratch, 0
	.set _ZN7rocprim17ROCPRIM_400000_NS6detail17trampoline_kernelINS0_14default_configENS1_38merge_sort_block_merge_config_selectorImNS0_10empty_typeEEEZZNS1_27merge_sort_block_merge_implIS3_PmPS5_jNS1_19radix_merge_compareILb1ELb0EmNS0_19identity_decomposerEEEEE10hipError_tT0_T1_T2_jT3_P12ihipStream_tbPNSt15iterator_traitsISE_E10value_typeEPNSK_ISF_E10value_typeEPSG_NS1_7vsmem_tEENKUlT_SE_SF_SG_E_clIS8_S8_S9_S9_EESD_ST_SE_SF_SG_EUlST_E_NS1_11comp_targetILNS1_3genE8ELNS1_11target_archE1030ELNS1_3gpuE2ELNS1_3repE0EEENS1_48merge_mergepath_partition_config_static_selectorELNS0_4arch9wavefront6targetE0EEEvSF_.has_dyn_sized_stack, 0
	.set _ZN7rocprim17ROCPRIM_400000_NS6detail17trampoline_kernelINS0_14default_configENS1_38merge_sort_block_merge_config_selectorImNS0_10empty_typeEEEZZNS1_27merge_sort_block_merge_implIS3_PmPS5_jNS1_19radix_merge_compareILb1ELb0EmNS0_19identity_decomposerEEEEE10hipError_tT0_T1_T2_jT3_P12ihipStream_tbPNSt15iterator_traitsISE_E10value_typeEPNSK_ISF_E10value_typeEPSG_NS1_7vsmem_tEENKUlT_SE_SF_SG_E_clIS8_S8_S9_S9_EESD_ST_SE_SF_SG_EUlST_E_NS1_11comp_targetILNS1_3genE8ELNS1_11target_archE1030ELNS1_3gpuE2ELNS1_3repE0EEENS1_48merge_mergepath_partition_config_static_selectorELNS0_4arch9wavefront6targetE0EEEvSF_.has_recursion, 0
	.set _ZN7rocprim17ROCPRIM_400000_NS6detail17trampoline_kernelINS0_14default_configENS1_38merge_sort_block_merge_config_selectorImNS0_10empty_typeEEEZZNS1_27merge_sort_block_merge_implIS3_PmPS5_jNS1_19radix_merge_compareILb1ELb0EmNS0_19identity_decomposerEEEEE10hipError_tT0_T1_T2_jT3_P12ihipStream_tbPNSt15iterator_traitsISE_E10value_typeEPNSK_ISF_E10value_typeEPSG_NS1_7vsmem_tEENKUlT_SE_SF_SG_E_clIS8_S8_S9_S9_EESD_ST_SE_SF_SG_EUlST_E_NS1_11comp_targetILNS1_3genE8ELNS1_11target_archE1030ELNS1_3gpuE2ELNS1_3repE0EEENS1_48merge_mergepath_partition_config_static_selectorELNS0_4arch9wavefront6targetE0EEEvSF_.has_indirect_call, 0
	.section	.AMDGPU.csdata,"",@progbits
; Kernel info:
; codeLenInByte = 0
; TotalNumSgprs: 0
; NumVgprs: 0
; ScratchSize: 0
; MemoryBound: 0
; FloatMode: 240
; IeeeMode: 1
; LDSByteSize: 0 bytes/workgroup (compile time only)
; SGPRBlocks: 0
; VGPRBlocks: 0
; NumSGPRsForWavesPerEU: 1
; NumVGPRsForWavesPerEU: 1
; NamedBarCnt: 0
; Occupancy: 16
; WaveLimiterHint : 0
; COMPUTE_PGM_RSRC2:SCRATCH_EN: 0
; COMPUTE_PGM_RSRC2:USER_SGPR: 2
; COMPUTE_PGM_RSRC2:TRAP_HANDLER: 0
; COMPUTE_PGM_RSRC2:TGID_X_EN: 1
; COMPUTE_PGM_RSRC2:TGID_Y_EN: 0
; COMPUTE_PGM_RSRC2:TGID_Z_EN: 0
; COMPUTE_PGM_RSRC2:TIDIG_COMP_CNT: 0
	.section	.text._ZN7rocprim17ROCPRIM_400000_NS6detail17trampoline_kernelINS0_14default_configENS1_38merge_sort_block_merge_config_selectorImNS0_10empty_typeEEEZZNS1_27merge_sort_block_merge_implIS3_PmPS5_jNS1_19radix_merge_compareILb1ELb0EmNS0_19identity_decomposerEEEEE10hipError_tT0_T1_T2_jT3_P12ihipStream_tbPNSt15iterator_traitsISE_E10value_typeEPNSK_ISF_E10value_typeEPSG_NS1_7vsmem_tEENKUlT_SE_SF_SG_E_clIS8_S8_S9_S9_EESD_ST_SE_SF_SG_EUlST_E0_NS1_11comp_targetILNS1_3genE0ELNS1_11target_archE4294967295ELNS1_3gpuE0ELNS1_3repE0EEENS1_38merge_mergepath_config_static_selectorELNS0_4arch9wavefront6targetE0EEEvSF_,"axG",@progbits,_ZN7rocprim17ROCPRIM_400000_NS6detail17trampoline_kernelINS0_14default_configENS1_38merge_sort_block_merge_config_selectorImNS0_10empty_typeEEEZZNS1_27merge_sort_block_merge_implIS3_PmPS5_jNS1_19radix_merge_compareILb1ELb0EmNS0_19identity_decomposerEEEEE10hipError_tT0_T1_T2_jT3_P12ihipStream_tbPNSt15iterator_traitsISE_E10value_typeEPNSK_ISF_E10value_typeEPSG_NS1_7vsmem_tEENKUlT_SE_SF_SG_E_clIS8_S8_S9_S9_EESD_ST_SE_SF_SG_EUlST_E0_NS1_11comp_targetILNS1_3genE0ELNS1_11target_archE4294967295ELNS1_3gpuE0ELNS1_3repE0EEENS1_38merge_mergepath_config_static_selectorELNS0_4arch9wavefront6targetE0EEEvSF_,comdat
	.protected	_ZN7rocprim17ROCPRIM_400000_NS6detail17trampoline_kernelINS0_14default_configENS1_38merge_sort_block_merge_config_selectorImNS0_10empty_typeEEEZZNS1_27merge_sort_block_merge_implIS3_PmPS5_jNS1_19radix_merge_compareILb1ELb0EmNS0_19identity_decomposerEEEEE10hipError_tT0_T1_T2_jT3_P12ihipStream_tbPNSt15iterator_traitsISE_E10value_typeEPNSK_ISF_E10value_typeEPSG_NS1_7vsmem_tEENKUlT_SE_SF_SG_E_clIS8_S8_S9_S9_EESD_ST_SE_SF_SG_EUlST_E0_NS1_11comp_targetILNS1_3genE0ELNS1_11target_archE4294967295ELNS1_3gpuE0ELNS1_3repE0EEENS1_38merge_mergepath_config_static_selectorELNS0_4arch9wavefront6targetE0EEEvSF_ ; -- Begin function _ZN7rocprim17ROCPRIM_400000_NS6detail17trampoline_kernelINS0_14default_configENS1_38merge_sort_block_merge_config_selectorImNS0_10empty_typeEEEZZNS1_27merge_sort_block_merge_implIS3_PmPS5_jNS1_19radix_merge_compareILb1ELb0EmNS0_19identity_decomposerEEEEE10hipError_tT0_T1_T2_jT3_P12ihipStream_tbPNSt15iterator_traitsISE_E10value_typeEPNSK_ISF_E10value_typeEPSG_NS1_7vsmem_tEENKUlT_SE_SF_SG_E_clIS8_S8_S9_S9_EESD_ST_SE_SF_SG_EUlST_E0_NS1_11comp_targetILNS1_3genE0ELNS1_11target_archE4294967295ELNS1_3gpuE0ELNS1_3repE0EEENS1_38merge_mergepath_config_static_selectorELNS0_4arch9wavefront6targetE0EEEvSF_
	.globl	_ZN7rocprim17ROCPRIM_400000_NS6detail17trampoline_kernelINS0_14default_configENS1_38merge_sort_block_merge_config_selectorImNS0_10empty_typeEEEZZNS1_27merge_sort_block_merge_implIS3_PmPS5_jNS1_19radix_merge_compareILb1ELb0EmNS0_19identity_decomposerEEEEE10hipError_tT0_T1_T2_jT3_P12ihipStream_tbPNSt15iterator_traitsISE_E10value_typeEPNSK_ISF_E10value_typeEPSG_NS1_7vsmem_tEENKUlT_SE_SF_SG_E_clIS8_S8_S9_S9_EESD_ST_SE_SF_SG_EUlST_E0_NS1_11comp_targetILNS1_3genE0ELNS1_11target_archE4294967295ELNS1_3gpuE0ELNS1_3repE0EEENS1_38merge_mergepath_config_static_selectorELNS0_4arch9wavefront6targetE0EEEvSF_
	.p2align	8
	.type	_ZN7rocprim17ROCPRIM_400000_NS6detail17trampoline_kernelINS0_14default_configENS1_38merge_sort_block_merge_config_selectorImNS0_10empty_typeEEEZZNS1_27merge_sort_block_merge_implIS3_PmPS5_jNS1_19radix_merge_compareILb1ELb0EmNS0_19identity_decomposerEEEEE10hipError_tT0_T1_T2_jT3_P12ihipStream_tbPNSt15iterator_traitsISE_E10value_typeEPNSK_ISF_E10value_typeEPSG_NS1_7vsmem_tEENKUlT_SE_SF_SG_E_clIS8_S8_S9_S9_EESD_ST_SE_SF_SG_EUlST_E0_NS1_11comp_targetILNS1_3genE0ELNS1_11target_archE4294967295ELNS1_3gpuE0ELNS1_3repE0EEENS1_38merge_mergepath_config_static_selectorELNS0_4arch9wavefront6targetE0EEEvSF_,@function
_ZN7rocprim17ROCPRIM_400000_NS6detail17trampoline_kernelINS0_14default_configENS1_38merge_sort_block_merge_config_selectorImNS0_10empty_typeEEEZZNS1_27merge_sort_block_merge_implIS3_PmPS5_jNS1_19radix_merge_compareILb1ELb0EmNS0_19identity_decomposerEEEEE10hipError_tT0_T1_T2_jT3_P12ihipStream_tbPNSt15iterator_traitsISE_E10value_typeEPNSK_ISF_E10value_typeEPSG_NS1_7vsmem_tEENKUlT_SE_SF_SG_E_clIS8_S8_S9_S9_EESD_ST_SE_SF_SG_EUlST_E0_NS1_11comp_targetILNS1_3genE0ELNS1_11target_archE4294967295ELNS1_3gpuE0ELNS1_3repE0EEENS1_38merge_mergepath_config_static_selectorELNS0_4arch9wavefront6targetE0EEEvSF_: ; @_ZN7rocprim17ROCPRIM_400000_NS6detail17trampoline_kernelINS0_14default_configENS1_38merge_sort_block_merge_config_selectorImNS0_10empty_typeEEEZZNS1_27merge_sort_block_merge_implIS3_PmPS5_jNS1_19radix_merge_compareILb1ELb0EmNS0_19identity_decomposerEEEEE10hipError_tT0_T1_T2_jT3_P12ihipStream_tbPNSt15iterator_traitsISE_E10value_typeEPNSK_ISF_E10value_typeEPSG_NS1_7vsmem_tEENKUlT_SE_SF_SG_E_clIS8_S8_S9_S9_EESD_ST_SE_SF_SG_EUlST_E0_NS1_11comp_targetILNS1_3genE0ELNS1_11target_archE4294967295ELNS1_3gpuE0ELNS1_3repE0EEENS1_38merge_mergepath_config_static_selectorELNS0_4arch9wavefront6targetE0EEEvSF_
; %bb.0:
	s_bfe_u32 s2, ttmp6, 0x40010
	s_and_b32 s4, ttmp7, 0xffff
	s_add_co_i32 s5, s2, 1
	s_clause 0x1
	s_load_b32 s6, s[0:1], 0x30
	s_load_b64 s[2:3], s[0:1], 0x40
	s_bfe_u32 s8, ttmp6, 0x4000c
	s_mul_i32 s5, s4, s5
	s_bfe_u32 s7, ttmp6, 0x40004
	s_add_co_i32 s8, s8, 1
	s_bfe_u32 s9, ttmp6, 0x40014
	s_add_co_i32 s7, s7, s5
	s_and_b32 s5, ttmp6, 15
	s_mul_i32 s8, ttmp9, s8
	s_lshr_b32 s10, ttmp7, 16
	s_add_co_i32 s9, s9, 1
	s_add_co_i32 s5, s5, s8
	s_mul_i32 s8, s10, s9
	s_bfe_u32 s9, ttmp6, 0x40008
	s_getreg_b32 s11, hwreg(HW_REG_IB_STS2, 6, 4)
	s_add_co_i32 s9, s9, s8
	s_cmp_eq_u32 s11, 0
	s_cselect_b32 s8, s10, s9
	s_cselect_b32 s4, s4, s7
	s_wait_kmcnt 0x0
	s_mul_i32 s8, s3, s8
	s_cselect_b32 s3, ttmp9, s5
	s_add_co_i32 s4, s8, s4
	s_mov_b32 s5, 0
	s_mul_i32 s4, s4, s2
	s_delay_alu instid0(SALU_CYCLE_1) | instskip(NEXT) | instid1(SALU_CYCLE_1)
	s_add_co_i32 s4, s4, s3
	s_cmp_ge_u32 s4, s6
	s_cbranch_scc1 .LBB2806_43
; %bb.1:
	v_mov_b32_e32 v21, 0
	s_add_nc_u64 s[6:7], s[0:1], 64
	v_lshlrev_b32_e32 v20, 3, v0
	global_load_b32 v1, v21, s[6:7] offset:14
	s_clause 0x2
	s_load_b64 s[8:9], s[0:1], 0x28
	s_load_b64 s[10:11], s[0:1], 0x38
	;; [unrolled: 1-line block ×3, first 2 shown]
	s_wait_kmcnt 0x0
	s_lshr_b32 s22, s8, 10
	s_delay_alu instid0(SALU_CYCLE_1) | instskip(SKIP_2) | instid1(SALU_CYCLE_1)
	s_cmp_lg_u32 s4, s22
	s_cselect_b32 s14, -1, 0
	s_lshl_b64 s[12:13], s[4:5], 2
	s_add_nc_u64 s[10:11], s[10:11], s[12:13]
	s_load_b64 s[12:13], s[10:11], 0x0
	s_wait_xcnt 0x0
	s_lshr_b32 s10, s9, 9
	s_delay_alu instid0(SALU_CYCLE_1) | instskip(NEXT) | instid1(SALU_CYCLE_1)
	s_and_b32 s10, s10, 0x7ffffe
	s_sub_co_i32 s11, 0, s10
	s_lshl_b32 s10, s4, 10
	s_and_b32 s15, s4, s11
	s_or_b32 s11, s4, s11
	s_lshl_b32 s18, s15, 11
	s_lshl_b32 s15, s15, 10
	s_add_co_i32 s18, s18, s9
	s_sub_co_i32 s19, s10, s15
	s_sub_co_i32 s15, s18, s15
	s_add_co_i32 s18, s18, s19
	s_min_u32 s20, s8, s15
	s_add_co_i32 s15, s15, s9
	s_wait_kmcnt 0x0
	s_sub_co_i32 s9, s18, s12
	s_sub_co_i32 s19, s18, s13
	s_min_u32 s18, s8, s9
	s_add_co_i32 s9, s19, 0x400
	s_cmp_eq_u32 s11, -1
	s_mov_b32 s19, s5
	s_cselect_b32 s9, s15, s9
	s_cselect_b32 s11, s20, s13
	s_mov_b32 s13, s5
	s_min_u32 s15, s9, s8
	s_lshl_b64 s[20:21], s[18:19], 3
	s_sub_co_i32 s9, s11, s12
	s_lshl_b64 s[12:13], s[12:13], 3
	s_sub_co_i32 s15, s15, s18
	s_cmp_lt_u32 s3, s2
	s_mov_b32 s3, s5
	s_cselect_b32 s2, 12, 18
	s_add_nc_u64 s[12:13], s[16:17], s[12:13]
	s_add_nc_u64 s[2:3], s[6:7], s[2:3]
	s_cmp_eq_u32 s4, s22
	s_load_u16 s2, s[2:3], 0x0
	s_add_nc_u64 s[6:7], s[16:17], s[20:21]
	s_wait_loadcnt 0x0
	v_lshrrev_b32_e32 v2, 16, v1
	v_and_b32_e32 v1, 0xffff, v1
	s_delay_alu instid0(VALU_DEP_1) | instskip(SKIP_1) | instid1(VALU_DEP_1)
	v_mul_lo_u32 v1, v1, v2
	s_wait_kmcnt 0x0
	v_mul_lo_u32 v1, v1, s2
	s_mov_b32 s2, -1
	s_delay_alu instid0(VALU_DEP_1) | instskip(NEXT) | instid1(VALU_DEP_1)
	v_add_nc_u32_e32 v24, v1, v0
	v_add_nc_u32_e32 v22, v24, v1
	s_cbranch_scc1 .LBB2806_3
; %bb.2:
	v_sub_co_u32 v4, vcc_lo, v0, s9
	v_dual_mov_b32 v5, v21 :: v_dual_mov_b32 v25, v21
	v_add_nc_u64_e32 v[2:3], s[12:13], v[20:21]
	v_sub_co_u32 v8, s2, v24, s9
	s_delay_alu instid0(VALU_DEP_3) | instskip(SKIP_3) | instid1(VALU_DEP_4)
	v_lshl_add_u64 v[4:5], v[4:5], 3, s[6:7]
	v_dual_mov_b32 v9, v21 :: v_dual_mov_b32 v23, v21
	v_lshl_add_u64 v[6:7], v[24:25], 3, s[12:13]
	v_dual_mov_b32 v11, v21 :: v_dual_add_nc_u32 v12, v22, v1
	v_dual_cndmask_b32 v3, v5, v3 :: v_dual_cndmask_b32 v2, v4, v2
	s_delay_alu instid0(VALU_DEP_4) | instskip(SKIP_3) | instid1(VALU_DEP_4)
	v_lshl_add_u64 v[4:5], v[8:9], 3, s[6:7]
	v_sub_co_u32 v10, vcc_lo, v22, s9
	v_mov_b32_e32 v13, v21
	v_lshl_add_u64 v[8:9], v[22:23], 3, s[12:13]
	v_dual_cndmask_b32 v5, v5, v7, s2 :: v_dual_cndmask_b32 v4, v4, v6, s2
	s_delay_alu instid0(VALU_DEP_4) | instskip(NEXT) | instid1(VALU_DEP_4)
	v_lshl_add_u64 v[6:7], v[10:11], 3, s[6:7]
	v_lshl_add_u64 v[10:11], v[12:13], 3, s[12:13]
	v_sub_co_u32 v14, s2, v12, s9
	s_delay_alu instid0(VALU_DEP_3) | instskip(NEXT) | instid1(VALU_DEP_4)
	v_dual_mov_b32 v15, v21 :: v_dual_cndmask_b32 v7, v7, v9, vcc_lo
	v_dual_add_nc_u32 v12, v12, v1 :: v_dual_cndmask_b32 v6, v6, v8, vcc_lo
	v_mov_b32_e32 v17, v21
	s_delay_alu instid0(VALU_DEP_3) | instskip(SKIP_1) | instid1(VALU_DEP_4)
	v_lshl_add_u64 v[8:9], v[14:15], 3, s[6:7]
	v_mov_b32_e32 v27, v21
	v_lshl_add_u64 v[14:15], v[12:13], 3, s[12:13]
	v_sub_co_u32 v16, vcc_lo, v12, s9
	s_delay_alu instid0(VALU_DEP_4) | instskip(SKIP_1) | instid1(VALU_DEP_3)
	v_dual_add_nc_u32 v12, v12, v1 :: v_dual_cndmask_b32 v19, v9, v11, s2
	v_cndmask_b32_e64 v18, v8, v10, s2
	v_lshl_add_u64 v[8:9], v[16:17], 3, s[6:7]
	global_load_b64 v[2:3], v[2:3], off
	v_lshl_add_u64 v[10:11], v[12:13], 3, s[12:13]
	v_add_nc_u32_e32 v16, v12, v1
	v_sub_co_u32 v12, s2, v12, s9
	v_cndmask_b32_e32 v33, v9, v15, vcc_lo
	global_load_b64 v[4:5], v[4:5], off
	v_lshl_add_u64 v[28:29], v[16:17], 3, s[12:13]
	v_lshl_add_u64 v[12:13], v[12:13], 3, s[6:7]
	v_add_nc_u32_e32 v26, v16, v1
	v_sub_co_u32 v16, s3, v16, s9
	global_load_b64 v[6:7], v[6:7], off
	s_add_co_i32 s11, s15, s9
	v_lshl_add_u64 v[30:31], v[26:27], 3, s[12:13]
	v_sub_co_u32 v26, s4, v26, s9
	v_lshl_add_u64 v[16:17], v[16:17], 3, s[6:7]
	v_cndmask_b32_e32 v32, v8, v14, vcc_lo
	s_delay_alu instid0(VALU_DEP_3) | instskip(SKIP_1) | instid1(VALU_DEP_4)
	v_lshl_add_u64 v[8:9], v[26:27], 3, s[6:7]
	v_dual_cndmask_b32 v27, v13, v11, s2 :: v_dual_cndmask_b32 v26, v12, v10, s2
	v_dual_cndmask_b32 v29, v17, v29, s3 :: v_dual_cndmask_b32 v28, v16, v28, s3
	s_delay_alu instid0(VALU_DEP_3)
	v_dual_cndmask_b32 v31, v9, v31, s4 :: v_dual_cndmask_b32 v30, v8, v30, s4
	global_load_b64 v[8:9], v[18:19], off
	global_load_b64 v[10:11], v[32:33], off
	;; [unrolled: 1-line block ×5, first 2 shown]
	s_cbranch_execz .LBB2806_4
	s_branch .LBB2806_19
.LBB2806_3:
                                        ; implicit-def: $vgpr2_vgpr3_vgpr4_vgpr5_vgpr6_vgpr7_vgpr8_vgpr9_vgpr10_vgpr11_vgpr12_vgpr13_vgpr14_vgpr15_vgpr16_vgpr17
                                        ; implicit-def: $sgpr11
	s_and_not1_b32 vcc_lo, exec_lo, s2
	s_cbranch_vccnz .LBB2806_19
.LBB2806_4:
	s_wait_loadcnt 0x7
	s_wait_xcnt 0x7
	v_mov_b32_e32 v2, 0
	s_add_co_i32 s11, s15, s9
	s_mov_b32 s2, exec_lo
	s_wait_loadcnt 0x6
	s_wait_xcnt 0x6
	v_dual_mov_b32 v3, v2 :: v_dual_mov_b32 v4, v2
	s_wait_loadcnt 0x5
	s_wait_xcnt 0x5
	v_dual_mov_b32 v5, v2 :: v_dual_mov_b32 v6, v2
	s_wait_loadcnt 0x4
	v_dual_mov_b32 v7, v2 :: v_dual_mov_b32 v8, v2
	s_wait_loadcnt 0x3
	;; [unrolled: 2-line block ×5, first 2 shown]
	v_dual_mov_b32 v15, v2 :: v_dual_mov_b32 v16, v2
	v_mov_b32_e32 v17, v2
	v_cmpx_gt_u32_e64 s11, v0
	s_cbranch_execnz .LBB2806_44
; %bb.5:
	s_or_b32 exec_lo, exec_lo, s2
	s_delay_alu instid0(SALU_CYCLE_1)
	s_mov_b32 s2, exec_lo
	v_cmpx_gt_u32_e64 s11, v24
	s_cbranch_execnz .LBB2806_45
.LBB2806_6:
	s_or_b32 exec_lo, exec_lo, s2
	s_delay_alu instid0(SALU_CYCLE_1)
	s_mov_b32 s2, exec_lo
	v_cmpx_gt_u32_e64 s11, v22
	s_cbranch_execz .LBB2806_8
.LBB2806_7:
	v_sub_co_u32 v18, vcc_lo, v22, s9
	v_mov_b32_e32 v23, 0
	s_delay_alu instid0(VALU_DEP_1) | instskip(SKIP_1) | instid1(VALU_DEP_1)
	v_lshl_add_u64 v[6:7], v[22:23], 3, s[12:13]
	v_mov_b32_e32 v19, v23
	v_lshl_add_u64 v[18:19], v[18:19], 3, s[6:7]
	s_delay_alu instid0(VALU_DEP_1)
	v_dual_cndmask_b32 v7, v19, v7 :: v_dual_cndmask_b32 v6, v18, v6
	global_load_b64 v[6:7], v[6:7], off
.LBB2806_8:
	s_wait_xcnt 0x0
	s_or_b32 exec_lo, exec_lo, s2
	v_add_nc_u32_e32 v18, v22, v1
	s_mov_b32 s2, exec_lo
	s_delay_alu instid0(VALU_DEP_1)
	v_cmpx_gt_u32_e64 s11, v18
	s_cbranch_execz .LBB2806_10
; %bb.9:
	v_sub_co_u32 v22, vcc_lo, v18, s9
	v_mov_b32_e32 v19, 0
	s_delay_alu instid0(VALU_DEP_1) | instskip(SKIP_1) | instid1(VALU_DEP_1)
	v_lshl_add_u64 v[8:9], v[18:19], 3, s[12:13]
	v_mov_b32_e32 v23, v19
	v_lshl_add_u64 v[22:23], v[22:23], 3, s[6:7]
	s_delay_alu instid0(VALU_DEP_1)
	v_dual_cndmask_b32 v9, v23, v9 :: v_dual_cndmask_b32 v8, v22, v8
	global_load_b64 v[8:9], v[8:9], off
.LBB2806_10:
	s_wait_xcnt 0x0
	s_or_b32 exec_lo, exec_lo, s2
	v_add_nc_u32_e32 v18, v18, v1
	s_mov_b32 s2, exec_lo
	s_delay_alu instid0(VALU_DEP_1)
	v_cmpx_gt_u32_e64 s11, v18
	s_cbranch_execz .LBB2806_12
; %bb.11:
	v_sub_co_u32 v22, vcc_lo, v18, s9
	v_mov_b32_e32 v19, 0
	s_delay_alu instid0(VALU_DEP_1) | instskip(SKIP_1) | instid1(VALU_DEP_1)
	v_lshl_add_u64 v[10:11], v[18:19], 3, s[12:13]
	v_mov_b32_e32 v23, v19
	v_lshl_add_u64 v[22:23], v[22:23], 3, s[6:7]
	s_delay_alu instid0(VALU_DEP_1)
	v_dual_cndmask_b32 v11, v23, v11 :: v_dual_cndmask_b32 v10, v22, v10
	global_load_b64 v[10:11], v[10:11], off
.LBB2806_12:
	;; [unrolled: 18-line block ×4, first 2 shown]
	s_wait_xcnt 0x0
	s_or_b32 exec_lo, exec_lo, s2
	v_add_nc_u32_e32 v18, v18, v1
	s_mov_b32 s2, exec_lo
	s_delay_alu instid0(VALU_DEP_1)
	v_cmpx_gt_u32_e64 s11, v18
	s_cbranch_execz .LBB2806_18
; %bb.17:
	v_mov_b32_e32 v19, 0
	s_delay_alu instid0(VALU_DEP_1) | instskip(SKIP_1) | instid1(VALU_DEP_1)
	v_lshl_add_u64 v[16:17], v[18:19], 3, s[12:13]
	v_sub_co_u32 v18, vcc_lo, v18, s9
	v_lshl_add_u64 v[18:19], v[18:19], 3, s[6:7]
	s_delay_alu instid0(VALU_DEP_1)
	v_dual_cndmask_b32 v17, v19, v17 :: v_dual_cndmask_b32 v16, v18, v16
	global_load_b64 v[16:17], v[16:17], off
.LBB2806_18:
	s_wait_xcnt 0x0
	s_or_b32 exec_lo, exec_lo, s2
.LBB2806_19:
	s_load_b64 s[12:13], s[0:1], 0x10
	v_min_u32_e32 v18, s11, v20
	s_wait_xcnt 0x0
	s_mov_b32 s0, exec_lo
	s_wait_loadcnt 0x0
	ds_store_2addr_stride64_b64 v20, v[2:3], v[4:5] offset1:2
	ds_store_2addr_stride64_b64 v20, v[6:7], v[8:9] offset0:4 offset1:6
	ds_store_2addr_stride64_b64 v20, v[10:11], v[12:13] offset0:8 offset1:10
	;; [unrolled: 1-line block ×3, first 2 shown]
	s_wait_dscnt 0x0
	s_barrier_signal -1
	v_sub_nc_u32_e64 v1, v18, s15 clamp
	v_min_u32_e32 v19, s9, v18
	s_barrier_wait -1
	s_delay_alu instid0(VALU_DEP_1)
	v_cmpx_lt_u32_e64 v1, v19
	s_cbranch_execz .LBB2806_23
; %bb.20:
	v_lshlrev_b32_e32 v21, 3, v18
	s_mov_b32 s1, 0
	s_delay_alu instid0(VALU_DEP_1)
	v_lshl_add_u32 v21, s9, 3, v21
.LBB2806_21:                            ; =>This Inner Loop Header: Depth=1
	v_add_nc_u32_e32 v22, v19, v1
	s_delay_alu instid0(VALU_DEP_1) | instskip(NEXT) | instid1(VALU_DEP_1)
	v_lshrrev_b32_e32 v26, 1, v22
	v_not_b32_e32 v22, v26
	v_lshlrev_b32_e32 v23, 3, v26
	s_delay_alu instid0(VALU_DEP_2)
	v_lshl_add_u32 v24, v22, 3, v21
	ds_load_b64 v[22:23], v23
	ds_load_b64 v[24:25], v24
	s_wait_dscnt 0x0
	v_cmp_gt_u64_e32 vcc_lo, v[24:25], v[22:23]
	v_add_nc_u32_e32 v22, 1, v26
	s_delay_alu instid0(VALU_DEP_1) | instskip(NEXT) | instid1(VALU_DEP_1)
	v_dual_cndmask_b32 v1, v22, v1, vcc_lo :: v_dual_cndmask_b32 v19, v19, v26, vcc_lo
	v_cmp_ge_u32_e32 vcc_lo, v1, v19
	s_or_b32 s1, vcc_lo, s1
	s_delay_alu instid0(SALU_CYCLE_1)
	s_and_not1_b32 exec_lo, exec_lo, s1
	s_cbranch_execnz .LBB2806_21
; %bb.22:
	s_or_b32 exec_lo, exec_lo, s1
.LBB2806_23:
	s_delay_alu instid0(SALU_CYCLE_1) | instskip(SKIP_2) | instid1(VALU_DEP_2)
	s_or_b32 exec_lo, exec_lo, s0
	v_sub_nc_u32_e32 v18, v18, v1
	v_cmp_ge_u32_e32 vcc_lo, s9, v1
	v_add_nc_u32_e32 v18, s9, v18
	s_delay_alu instid0(VALU_DEP_1) | instskip(SKIP_1) | instid1(SALU_CYCLE_1)
	v_cmp_ge_u32_e64 s0, s11, v18
	s_or_b32 s0, vcc_lo, s0
	s_and_saveexec_b32 s15, s0
	s_cbranch_execz .LBB2806_29
; %bb.24:
	v_cmp_gt_u32_e32 vcc_lo, s9, v1
                                        ; implicit-def: $vgpr2_vgpr3
	s_and_saveexec_b32 s0, vcc_lo
; %bb.25:
	v_lshlrev_b32_e32 v2, 3, v1
	ds_load_b64 v[2:3], v2
; %bb.26:
	s_or_b32 exec_lo, exec_lo, s0
	v_cmp_le_u32_e64 s0, s11, v18
	s_mov_b32 s2, exec_lo
                                        ; implicit-def: $vgpr4_vgpr5
	v_cmpx_gt_u32_e64 s11, v18
; %bb.27:
	v_lshlrev_b32_e32 v4, 3, v18
	ds_load_b64 v[4:5], v4
; %bb.28:
	s_or_b32 exec_lo, exec_lo, s2
	s_wait_dscnt 0x0
	v_cmp_le_u64_e64 s1, v[4:5], v[2:3]
	s_and_b32 s1, vcc_lo, s1
	s_delay_alu instid0(SALU_CYCLE_1) | instskip(SKIP_1) | instid1(VALU_DEP_1)
	s_or_b32 vcc_lo, s0, s1
	v_dual_mov_b32 v21, s9 :: v_dual_cndmask_b32 v6, v18, v1
	v_dual_cndmask_b32 v7, s11, v21 :: v_dual_add_nc_u32 v10, 1, v6
	s_delay_alu instid0(VALU_DEP_1) | instskip(SKIP_1) | instid1(VALU_DEP_2)
	v_add_min_u32_e64 v6, v7, -1, v10
	v_cndmask_b32_e32 v1, v1, v10, vcc_lo
	v_lshlrev_b32_e32 v6, 3, v6
	s_delay_alu instid0(VALU_DEP_2)
	v_cmp_gt_u32_e64 s1, s9, v1
	ds_load_b64 v[6:7], v6
	s_wait_dscnt 0x0
	v_dual_cndmask_b32 v9, v7, v5 :: v_dual_cndmask_b32 v8, v6, v4
	v_dual_cndmask_b32 v7, v3, v7 :: v_dual_cndmask_b32 v6, v2, v6
	;; [unrolled: 1-line block ×3, first 2 shown]
	v_cndmask_b32_e32 v2, v4, v2, vcc_lo
	s_delay_alu instid0(VALU_DEP_3) | instskip(NEXT) | instid1(VALU_DEP_3)
	v_cmp_le_u64_e64 s0, v[8:9], v[6:7]
	v_cmp_le_u32_e64 s2, s11, v14
	s_and_b32 s0, s1, s0
	s_delay_alu instid0(SALU_CYCLE_1) | instskip(NEXT) | instid1(SALU_CYCLE_1)
	s_or_b32 s0, s2, s0
	v_cndmask_b32_e64 v10, v14, v1, s0
	s_delay_alu instid0(VALU_DEP_1) | instskip(NEXT) | instid1(VALU_DEP_1)
	v_dual_cndmask_b32 v11, s11, v21, s0 :: v_dual_add_nc_u32 v15, 1, v10
	v_add_min_u32_e64 v10, v11, -1, v15
	s_delay_alu instid0(VALU_DEP_1) | instskip(NEXT) | instid1(VALU_DEP_1)
	v_dual_cndmask_b32 v1, v1, v15, s0 :: v_dual_lshlrev_b32 v10, 3, v10
	v_cmp_gt_u32_e64 s2, s9, v1
	ds_load_b64 v[10:11], v10
	s_wait_dscnt 0x0
	v_dual_cndmask_b32 v13, v11, v9, s0 :: v_dual_cndmask_b32 v12, v10, v8, s0
	v_dual_cndmask_b32 v11, v7, v11, s0 :: v_dual_cndmask_b32 v10, v6, v10, s0
	;; [unrolled: 1-line block ×3, first 2 shown]
	v_cndmask_b32_e64 v4, v8, v6, s0
	s_delay_alu instid0(VALU_DEP_3) | instskip(NEXT) | instid1(VALU_DEP_3)
	v_cmp_le_u64_e64 s1, v[12:13], v[10:11]
	v_cmp_le_u32_e64 s3, s11, v18
	s_and_b32 s1, s2, s1
	s_delay_alu instid0(SALU_CYCLE_1) | instskip(NEXT) | instid1(SALU_CYCLE_1)
	s_or_b32 s1, s3, s1
	v_cndmask_b32_e64 v14, v18, v1, s1
	v_cndmask_b32_e64 v15, s11, v21, s1
	v_dual_cndmask_b32 v7, v13, v11, s1 :: v_dual_cndmask_b32 v6, v12, v10, s1
	s_delay_alu instid0(VALU_DEP_3) | instskip(NEXT) | instid1(VALU_DEP_1)
	v_add_nc_u32_e32 v19, 1, v14
	v_add_min_u32_e64 v14, v15, -1, v19
	v_dual_cndmask_b32 v1, v1, v19, s1 :: v_dual_cndmask_b32 v24, v19, v18, s1
	s_delay_alu instid0(VALU_DEP_2) | instskip(NEXT) | instid1(VALU_DEP_2)
	v_lshlrev_b32_e32 v14, 3, v14
	v_cmp_gt_u32_e64 s3, s9, v1
	s_delay_alu instid0(VALU_DEP_3) | instskip(SKIP_4) | instid1(VALU_DEP_1)
	v_cmp_le_u32_e64 s4, s11, v24
	ds_load_b64 v[14:15], v14
	s_wait_dscnt 0x0
	v_dual_cndmask_b32 v17, v15, v13, s1 :: v_dual_cndmask_b32 v16, v14, v12, s1
	v_dual_cndmask_b32 v15, v11, v15, s1 :: v_dual_cndmask_b32 v14, v10, v14, s1
	v_cmp_le_u64_e64 s2, v[16:17], v[14:15]
	s_and_b32 s2, s3, s2
	s_delay_alu instid0(SALU_CYCLE_1) | instskip(NEXT) | instid1(SALU_CYCLE_1)
	s_or_b32 s2, s4, s2
	v_cndmask_b32_e64 v18, v24, v1, s2
	v_cndmask_b32_e64 v19, s11, v21, s2
	;; [unrolled: 1-line block ×3, first 2 shown]
	s_delay_alu instid0(VALU_DEP_3) | instskip(NEXT) | instid1(VALU_DEP_1)
	v_add_nc_u32_e32 v25, 1, v18
	v_add_min_u32_e64 v18, v19, -1, v25
	v_cndmask_b32_e64 v1, v1, v25, s2
	s_delay_alu instid0(VALU_DEP_2) | instskip(NEXT) | instid1(VALU_DEP_2)
	v_dual_cndmask_b32 v28, v25, v24, s2 :: v_dual_lshlrev_b32 v18, 3, v18
	v_cmp_gt_u32_e64 s4, s9, v1
	s_delay_alu instid0(VALU_DEP_2) | instskip(SKIP_4) | instid1(VALU_DEP_1)
	v_cmp_le_u32_e64 s5, s11, v28
	ds_load_b64 v[18:19], v18
	s_wait_dscnt 0x0
	v_dual_cndmask_b32 v23, v19, v17, s2 :: v_dual_cndmask_b32 v22, v18, v16, s2
	v_dual_cndmask_b32 v19, v15, v19, s2 :: v_dual_cndmask_b32 v18, v14, v18, s2
	v_cmp_le_u64_e64 s3, v[22:23], v[18:19]
	s_and_b32 s3, s4, s3
	s_delay_alu instid0(SALU_CYCLE_1) | instskip(NEXT) | instid1(SALU_CYCLE_1)
	s_or_b32 s3, s5, s3
	v_cndmask_b32_e64 v24, v28, v1, s3
	v_cndmask_b32_e64 v25, s11, v21, s3
	v_dual_cndmask_b32 v11, v23, v19, s3 :: v_dual_cndmask_b32 v10, v22, v18, s3
	s_delay_alu instid0(VALU_DEP_3) | instskip(NEXT) | instid1(VALU_DEP_1)
	v_add_nc_u32_e32 v29, 1, v24
	v_add_min_u32_e64 v24, v25, -1, v29
	v_cndmask_b32_e64 v1, v1, v29, s3
	v_cndmask_b32_e64 v32, v29, v28, s3
	s_delay_alu instid0(VALU_DEP_3) | instskip(NEXT) | instid1(VALU_DEP_3)
	v_lshlrev_b32_e32 v24, 3, v24
	v_cmp_gt_u32_e64 s5, s9, v1
	s_delay_alu instid0(VALU_DEP_3) | instskip(SKIP_4) | instid1(VALU_DEP_1)
	v_cmp_le_u32_e64 s6, s11, v32
	ds_load_b64 v[24:25], v24
	s_wait_dscnt 0x0
	v_dual_cndmask_b32 v27, v25, v23, s3 :: v_dual_cndmask_b32 v26, v24, v22, s3
	v_dual_cndmask_b32 v25, v19, v25, s3 :: v_dual_cndmask_b32 v24, v18, v24, s3
	v_cmp_le_u64_e64 s4, v[26:27], v[24:25]
	s_and_b32 s4, s5, s4
	s_delay_alu instid0(SALU_CYCLE_1) | instskip(NEXT) | instid1(SALU_CYCLE_1)
	s_or_b32 s4, s6, s4
	v_cndmask_b32_e64 v28, v32, v1, s4
	v_cndmask_b32_e64 v29, s11, v21, s4
	s_delay_alu instid0(VALU_DEP_2) | instskip(NEXT) | instid1(VALU_DEP_1)
	v_dual_cndmask_b32 v13, v27, v25, s4 :: v_dual_add_nc_u32 v33, 1, v28
	v_add_min_u32_e64 v28, v29, -1, v33
	v_cndmask_b32_e64 v1, v1, v33, s4
	v_cndmask_b32_e64 v36, v33, v32, s4
	s_delay_alu instid0(VALU_DEP_3) | instskip(NEXT) | instid1(VALU_DEP_3)
	v_lshlrev_b32_e32 v28, 3, v28
	v_cmp_gt_u32_e64 s6, s9, v1
	s_delay_alu instid0(VALU_DEP_3) | instskip(SKIP_4) | instid1(VALU_DEP_1)
	v_cmp_le_u32_e64 s7, s11, v36
	ds_load_b64 v[28:29], v28
	s_wait_dscnt 0x0
	v_dual_cndmask_b32 v31, v29, v27, s4 :: v_dual_cndmask_b32 v30, v28, v26, s4
	v_dual_cndmask_b32 v29, v25, v29, s4 :: v_dual_cndmask_b32 v28, v24, v28, s4
	v_cmp_le_u64_e64 s5, v[30:31], v[28:29]
	s_and_b32 s5, s6, s5
	s_delay_alu instid0(SALU_CYCLE_1) | instskip(NEXT) | instid1(SALU_CYCLE_1)
	s_or_b32 s5, s7, s5
	v_cndmask_b32_e64 v32, v36, v1, s5
	v_cndmask_b32_e64 v21, s11, v21, s5
	;; [unrolled: 1-line block ×3, first 2 shown]
	s_delay_alu instid0(VALU_DEP_3) | instskip(NEXT) | instid1(VALU_DEP_1)
	v_add_nc_u32_e32 v37, 1, v32
	v_add_min_u32_e64 v21, v21, -1, v37
	v_cndmask_b32_e64 v1, v1, v37, s5
	s_delay_alu instid0(VALU_DEP_2) | instskip(NEXT) | instid1(VALU_DEP_2)
	v_dual_cndmask_b32 v12, v37, v36, s5 :: v_dual_lshlrev_b32 v21, 3, v21
	v_cmp_gt_u32_e64 s0, s9, v1
	s_delay_alu instid0(VALU_DEP_2)
	v_cmp_le_u32_e64 s1, s11, v12
	v_cndmask_b32_e64 v12, v26, v24, s4
	ds_load_b64 v[32:33], v21
	v_dual_cndmask_b32 v9, v17, v15, s2 :: v_dual_cndmask_b32 v15, v31, v29, s5
	s_wait_dscnt 0x0
	v_dual_cndmask_b32 v35, v33, v31, s5 :: v_dual_cndmask_b32 v34, v32, v30, s5
	v_dual_cndmask_b32 v33, v29, v33, s5 :: v_dual_cndmask_b32 v32, v28, v32, s5
	s_delay_alu instid0(VALU_DEP_1) | instskip(SKIP_1) | instid1(SALU_CYCLE_1)
	v_cmp_le_u64_e32 vcc_lo, v[34:35], v[32:33]
	s_and_b32 s0, s0, vcc_lo
	s_or_b32 vcc_lo, s1, s0
	v_dual_cndmask_b32 v17, v35, v33 :: v_dual_cndmask_b32 v16, v34, v32
.LBB2806_29:
	s_or_b32 exec_lo, exec_lo, s15
	v_or_b32_e32 v25, 0x80, v0
	v_lshrrev_b32_e32 v1, 2, v0
	v_or_b32_e32 v22, 0x100, v0
	v_lshlrev_b32_e32 v18, 3, v20
	s_delay_alu instid0(VALU_DEP_4) | instskip(SKIP_1) | instid1(VALU_DEP_3)
	v_lshrrev_b32_e32 v19, 2, v25
	s_barrier_signal -1
	v_lshrrev_b32_e32 v21, 2, v22
	s_delay_alu instid0(VALU_DEP_3)
	v_lshl_add_u32 v18, v1, 3, v18
	s_barrier_wait -1
	s_barrier_signal -1
	s_barrier_wait -1
	ds_store_2addr_b64 v18, v[2:3], v[4:5] offset1:1
	ds_store_2addr_b64 v18, v[6:7], v[8:9] offset0:2 offset1:3
	v_and_b32_e32 v2, 56, v19
	v_and_b32_e32 v1, 24, v1
	v_or_b32_e32 v24, 0x180, v0
	v_and_b32_e32 v3, 0x58, v21
	v_or_b32_e32 v23, 0x200, v0
	s_delay_alu instid0(VALU_DEP_4) | instskip(NEXT) | instid1(VALU_DEP_4)
	v_dual_add_nc_u32 v6, v2, v20 :: v_dual_add_nc_u32 v26, v1, v20
	v_lshrrev_b32_e32 v1, 2, v24
	ds_store_2addr_b64 v18, v[10:11], v[12:13] offset0:4 offset1:5
	ds_store_2addr_b64 v18, v[14:15], v[16:17] offset0:6 offset1:7
	v_or_b32_e32 v19, 0x280, v0
	v_add_nc_u32_e32 v7, v3, v20
	v_or_b32_e32 v18, 0x300, v0
	v_lshrrev_b32_e32 v3, 2, v23
	v_and_b32_e32 v2, 0x78, v1
	v_or_b32_e32 v1, 0x380, v0
	s_delay_alu instid0(VALU_DEP_4) | instskip(SKIP_1) | instid1(VALU_DEP_2)
	v_dual_lshrrev_b32 v4, 2, v19 :: v_dual_lshrrev_b32 v5, 2, v18
	s_mov_b32 s11, 0
	v_dual_add_nc_u32 v8, v2, v20 :: v_dual_lshrrev_b32 v2, 2, v1
	v_mov_b32_e32 v21, 0
	v_and_b32_e32 v3, 0x98, v3
	s_lshl_b64 s[0:1], s[10:11], 3
	v_and_b32_e32 v4, 0xb8, v4
	v_and_b32_e32 v5, 0xd8, v5
	;; [unrolled: 1-line block ×3, first 2 shown]
	s_wait_kmcnt 0x0
	s_add_nc_u64 s[0:1], s[12:13], s[0:1]
	v_dual_add_nc_u32 v9, v3, v20 :: v_dual_add_nc_u32 v27, v4, v20
	v_add_nc_u64_e32 v[2:3], s[0:1], v[20:21]
	v_dual_add_nc_u32 v28, v5, v20 :: v_dual_add_nc_u32 v20, v10, v20
	s_and_b32 vcc_lo, exec_lo, s14
	s_wait_dscnt 0x0
	s_cbranch_vccz .LBB2806_31
; %bb.30:
	s_barrier_signal -1
	s_barrier_wait -1
	ds_load_b64 v[10:11], v26
	ds_load_b64 v[12:13], v6 offset:1024
	ds_load_b64 v[14:15], v7 offset:2048
	;; [unrolled: 1-line block ×7, first 2 shown]
	s_mov_b32 s11, -1
	s_wait_dscnt 0x7
	global_store_b64 v[2:3], v[10:11], off
	s_wait_dscnt 0x6
	global_store_b64 v[2:3], v[12:13], off offset:1024
	s_wait_dscnt 0x5
	global_store_b64 v[2:3], v[14:15], off offset:2048
	;; [unrolled: 2-line block ×6, first 2 shown]
	s_cbranch_execz .LBB2806_32
	s_branch .LBB2806_41
.LBB2806_31:
                                        ; implicit-def: $vgpr4_vgpr5
.LBB2806_32:
	s_barrier_signal -1
	s_barrier_wait -1
	s_wait_storecnt_dscnt 0x0
	s_wait_xcnt 0x3
	ds_load_b64 v[16:17], v6 offset:1024
	ds_load_b64 v[14:15], v7 offset:2048
	;; [unrolled: 1-line block ×7, first 2 shown]
	s_sub_co_i32 s0, s8, s10
	s_mov_b32 s1, exec_lo
	s_wait_xcnt 0x0
	v_cmpx_gt_u32_e64 s0, v0
	s_cbranch_execnz .LBB2806_46
; %bb.33:
	s_or_b32 exec_lo, exec_lo, s1
	s_delay_alu instid0(SALU_CYCLE_1)
	s_mov_b32 s1, exec_lo
	v_cmpx_gt_u32_e64 s0, v25
	s_cbranch_execnz .LBB2806_47
.LBB2806_34:
	s_or_b32 exec_lo, exec_lo, s1
	s_delay_alu instid0(SALU_CYCLE_1)
	s_mov_b32 s1, exec_lo
	v_cmpx_gt_u32_e64 s0, v22
	s_cbranch_execnz .LBB2806_48
.LBB2806_35:
	s_or_b32 exec_lo, exec_lo, s1
	s_delay_alu instid0(SALU_CYCLE_1)
	s_mov_b32 s1, exec_lo
	v_cmpx_gt_u32_e64 s0, v24
	s_cbranch_execnz .LBB2806_49
.LBB2806_36:
	s_or_b32 exec_lo, exec_lo, s1
	s_delay_alu instid0(SALU_CYCLE_1)
	s_mov_b32 s1, exec_lo
	v_cmpx_gt_u32_e64 s0, v23
	s_cbranch_execnz .LBB2806_50
.LBB2806_37:
	s_or_b32 exec_lo, exec_lo, s1
	s_delay_alu instid0(SALU_CYCLE_1)
	s_mov_b32 s1, exec_lo
	v_cmpx_gt_u32_e64 s0, v19
	s_cbranch_execnz .LBB2806_51
.LBB2806_38:
	s_or_b32 exec_lo, exec_lo, s1
	s_delay_alu instid0(SALU_CYCLE_1)
	s_mov_b32 s1, exec_lo
	v_cmpx_gt_u32_e64 s0, v18
	s_cbranch_execz .LBB2806_40
.LBB2806_39:
	s_wait_dscnt 0x1
	global_store_b64 v[2:3], v[6:7], off offset:6144
.LBB2806_40:
	s_wait_xcnt 0x0
	s_or_b32 exec_lo, exec_lo, s1
	v_cmp_gt_u32_e64 s11, s0, v1
.LBB2806_41:
	s_wait_xcnt 0x0
	s_delay_alu instid0(VALU_DEP_1)
	s_and_saveexec_b32 s0, s11
	s_cbranch_execz .LBB2806_43
; %bb.42:
	s_wait_dscnt 0x0
	global_store_b64 v[2:3], v[4:5], off offset:7168
.LBB2806_43:
	s_endpgm
.LBB2806_44:
	v_dual_mov_b32 v21, v2 :: v_dual_mov_b32 v5, v2
	v_sub_co_u32 v4, vcc_lo, v0, s9
	v_dual_mov_b32 v18, v2 :: v_dual_mov_b32 v19, v2
	s_delay_alu instid0(VALU_DEP_3) | instskip(NEXT) | instid1(VALU_DEP_3)
	v_add_nc_u64_e32 v[6:7], s[12:13], v[20:21]
	v_lshl_add_u64 v[4:5], v[4:5], 3, s[6:7]
	v_dual_mov_b32 v8, v2 :: v_dual_mov_b32 v9, v2
	v_dual_mov_b32 v10, v2 :: v_dual_mov_b32 v11, v2
	;; [unrolled: 1-line block ×3, first 2 shown]
	s_delay_alu instid0(VALU_DEP_4)
	v_dual_cndmask_b32 v5, v5, v7 :: v_dual_cndmask_b32 v4, v4, v6
	v_dual_mov_b32 v6, v2 :: v_dual_mov_b32 v7, v2
	v_dual_mov_b32 v14, v2 :: v_dual_mov_b32 v15, v2
	global_load_b64 v[4:5], v[4:5], off
	v_dual_mov_b32 v16, v2 :: v_dual_mov_b32 v17, v2
	s_wait_loadcnt 0x0
	v_mov_b64_e32 v[2:3], v[4:5]
	v_mov_b64_e32 v[4:5], v[6:7]
	;; [unrolled: 1-line block ×8, first 2 shown]
	s_or_b32 exec_lo, exec_lo, s2
	s_delay_alu instid0(SALU_CYCLE_1)
	s_mov_b32 s2, exec_lo
	v_cmpx_gt_u32_e64 s11, v24
	s_cbranch_execz .LBB2806_6
.LBB2806_45:
	v_mov_b32_e32 v25, 0
	s_delay_alu instid0(VALU_DEP_1) | instskip(SKIP_1) | instid1(VALU_DEP_1)
	v_lshl_add_u64 v[4:5], v[24:25], 3, s[12:13]
	v_sub_co_u32 v24, vcc_lo, v24, s9
	v_lshl_add_u64 v[18:19], v[24:25], 3, s[6:7]
	s_delay_alu instid0(VALU_DEP_1) | instskip(SKIP_3) | instid1(SALU_CYCLE_1)
	v_dual_cndmask_b32 v5, v19, v5 :: v_dual_cndmask_b32 v4, v18, v4
	global_load_b64 v[4:5], v[4:5], off
	s_wait_xcnt 0x0
	s_or_b32 exec_lo, exec_lo, s2
	s_mov_b32 s2, exec_lo
	v_cmpx_gt_u32_e64 s11, v22
	s_cbranch_execnz .LBB2806_7
	s_branch .LBB2806_8
.LBB2806_46:
	ds_load_b64 v[20:21], v26
	s_wait_dscnt 0x0
	global_store_b64 v[2:3], v[20:21], off
	s_wait_xcnt 0x0
	s_or_b32 exec_lo, exec_lo, s1
	s_delay_alu instid0(SALU_CYCLE_1)
	s_mov_b32 s1, exec_lo
	v_cmpx_gt_u32_e64 s0, v25
	s_cbranch_execz .LBB2806_34
.LBB2806_47:
	s_wait_dscnt 0x6
	global_store_b64 v[2:3], v[16:17], off offset:1024
	s_wait_xcnt 0x0
	s_or_b32 exec_lo, exec_lo, s1
	s_delay_alu instid0(SALU_CYCLE_1)
	s_mov_b32 s1, exec_lo
	v_cmpx_gt_u32_e64 s0, v22
	s_cbranch_execz .LBB2806_35
.LBB2806_48:
	s_wait_dscnt 0x5
	global_store_b64 v[2:3], v[14:15], off offset:2048
	s_wait_xcnt 0x0
	s_or_b32 exec_lo, exec_lo, s1
	s_delay_alu instid0(SALU_CYCLE_1)
	s_mov_b32 s1, exec_lo
	v_cmpx_gt_u32_e64 s0, v24
	s_cbranch_execz .LBB2806_36
.LBB2806_49:
	s_wait_dscnt 0x4
	global_store_b64 v[2:3], v[12:13], off offset:3072
	s_wait_xcnt 0x0
	s_or_b32 exec_lo, exec_lo, s1
	s_delay_alu instid0(SALU_CYCLE_1)
	s_mov_b32 s1, exec_lo
	v_cmpx_gt_u32_e64 s0, v23
	s_cbranch_execz .LBB2806_37
.LBB2806_50:
	s_wait_dscnt 0x3
	global_store_b64 v[2:3], v[10:11], off offset:4096
	s_wait_xcnt 0x0
	s_or_b32 exec_lo, exec_lo, s1
	s_delay_alu instid0(SALU_CYCLE_1)
	s_mov_b32 s1, exec_lo
	v_cmpx_gt_u32_e64 s0, v19
	s_cbranch_execz .LBB2806_38
.LBB2806_51:
	s_wait_dscnt 0x2
	global_store_b64 v[2:3], v[8:9], off offset:5120
	s_wait_xcnt 0x0
	s_or_b32 exec_lo, exec_lo, s1
	s_delay_alu instid0(SALU_CYCLE_1)
	s_mov_b32 s1, exec_lo
	v_cmpx_gt_u32_e64 s0, v18
	s_cbranch_execnz .LBB2806_39
	s_branch .LBB2806_40
	.section	.rodata,"a",@progbits
	.p2align	6, 0x0
	.amdhsa_kernel _ZN7rocprim17ROCPRIM_400000_NS6detail17trampoline_kernelINS0_14default_configENS1_38merge_sort_block_merge_config_selectorImNS0_10empty_typeEEEZZNS1_27merge_sort_block_merge_implIS3_PmPS5_jNS1_19radix_merge_compareILb1ELb0EmNS0_19identity_decomposerEEEEE10hipError_tT0_T1_T2_jT3_P12ihipStream_tbPNSt15iterator_traitsISE_E10value_typeEPNSK_ISF_E10value_typeEPSG_NS1_7vsmem_tEENKUlT_SE_SF_SG_E_clIS8_S8_S9_S9_EESD_ST_SE_SF_SG_EUlST_E0_NS1_11comp_targetILNS1_3genE0ELNS1_11target_archE4294967295ELNS1_3gpuE0ELNS1_3repE0EEENS1_38merge_mergepath_config_static_selectorELNS0_4arch9wavefront6targetE0EEEvSF_
		.amdhsa_group_segment_fixed_size 8448
		.amdhsa_private_segment_fixed_size 0
		.amdhsa_kernarg_size 320
		.amdhsa_user_sgpr_count 2
		.amdhsa_user_sgpr_dispatch_ptr 0
		.amdhsa_user_sgpr_queue_ptr 0
		.amdhsa_user_sgpr_kernarg_segment_ptr 1
		.amdhsa_user_sgpr_dispatch_id 0
		.amdhsa_user_sgpr_kernarg_preload_length 0
		.amdhsa_user_sgpr_kernarg_preload_offset 0
		.amdhsa_user_sgpr_private_segment_size 0
		.amdhsa_wavefront_size32 1
		.amdhsa_uses_dynamic_stack 0
		.amdhsa_enable_private_segment 0
		.amdhsa_system_sgpr_workgroup_id_x 1
		.amdhsa_system_sgpr_workgroup_id_y 1
		.amdhsa_system_sgpr_workgroup_id_z 1
		.amdhsa_system_sgpr_workgroup_info 0
		.amdhsa_system_vgpr_workitem_id 0
		.amdhsa_next_free_vgpr 38
		.amdhsa_next_free_sgpr 23
		.amdhsa_named_barrier_count 0
		.amdhsa_reserve_vcc 1
		.amdhsa_float_round_mode_32 0
		.amdhsa_float_round_mode_16_64 0
		.amdhsa_float_denorm_mode_32 3
		.amdhsa_float_denorm_mode_16_64 3
		.amdhsa_fp16_overflow 0
		.amdhsa_memory_ordered 1
		.amdhsa_forward_progress 1
		.amdhsa_inst_pref_size 35
		.amdhsa_round_robin_scheduling 0
		.amdhsa_exception_fp_ieee_invalid_op 0
		.amdhsa_exception_fp_denorm_src 0
		.amdhsa_exception_fp_ieee_div_zero 0
		.amdhsa_exception_fp_ieee_overflow 0
		.amdhsa_exception_fp_ieee_underflow 0
		.amdhsa_exception_fp_ieee_inexact 0
		.amdhsa_exception_int_div_zero 0
	.end_amdhsa_kernel
	.section	.text._ZN7rocprim17ROCPRIM_400000_NS6detail17trampoline_kernelINS0_14default_configENS1_38merge_sort_block_merge_config_selectorImNS0_10empty_typeEEEZZNS1_27merge_sort_block_merge_implIS3_PmPS5_jNS1_19radix_merge_compareILb1ELb0EmNS0_19identity_decomposerEEEEE10hipError_tT0_T1_T2_jT3_P12ihipStream_tbPNSt15iterator_traitsISE_E10value_typeEPNSK_ISF_E10value_typeEPSG_NS1_7vsmem_tEENKUlT_SE_SF_SG_E_clIS8_S8_S9_S9_EESD_ST_SE_SF_SG_EUlST_E0_NS1_11comp_targetILNS1_3genE0ELNS1_11target_archE4294967295ELNS1_3gpuE0ELNS1_3repE0EEENS1_38merge_mergepath_config_static_selectorELNS0_4arch9wavefront6targetE0EEEvSF_,"axG",@progbits,_ZN7rocprim17ROCPRIM_400000_NS6detail17trampoline_kernelINS0_14default_configENS1_38merge_sort_block_merge_config_selectorImNS0_10empty_typeEEEZZNS1_27merge_sort_block_merge_implIS3_PmPS5_jNS1_19radix_merge_compareILb1ELb0EmNS0_19identity_decomposerEEEEE10hipError_tT0_T1_T2_jT3_P12ihipStream_tbPNSt15iterator_traitsISE_E10value_typeEPNSK_ISF_E10value_typeEPSG_NS1_7vsmem_tEENKUlT_SE_SF_SG_E_clIS8_S8_S9_S9_EESD_ST_SE_SF_SG_EUlST_E0_NS1_11comp_targetILNS1_3genE0ELNS1_11target_archE4294967295ELNS1_3gpuE0ELNS1_3repE0EEENS1_38merge_mergepath_config_static_selectorELNS0_4arch9wavefront6targetE0EEEvSF_,comdat
.Lfunc_end2806:
	.size	_ZN7rocprim17ROCPRIM_400000_NS6detail17trampoline_kernelINS0_14default_configENS1_38merge_sort_block_merge_config_selectorImNS0_10empty_typeEEEZZNS1_27merge_sort_block_merge_implIS3_PmPS5_jNS1_19radix_merge_compareILb1ELb0EmNS0_19identity_decomposerEEEEE10hipError_tT0_T1_T2_jT3_P12ihipStream_tbPNSt15iterator_traitsISE_E10value_typeEPNSK_ISF_E10value_typeEPSG_NS1_7vsmem_tEENKUlT_SE_SF_SG_E_clIS8_S8_S9_S9_EESD_ST_SE_SF_SG_EUlST_E0_NS1_11comp_targetILNS1_3genE0ELNS1_11target_archE4294967295ELNS1_3gpuE0ELNS1_3repE0EEENS1_38merge_mergepath_config_static_selectorELNS0_4arch9wavefront6targetE0EEEvSF_, .Lfunc_end2806-_ZN7rocprim17ROCPRIM_400000_NS6detail17trampoline_kernelINS0_14default_configENS1_38merge_sort_block_merge_config_selectorImNS0_10empty_typeEEEZZNS1_27merge_sort_block_merge_implIS3_PmPS5_jNS1_19radix_merge_compareILb1ELb0EmNS0_19identity_decomposerEEEEE10hipError_tT0_T1_T2_jT3_P12ihipStream_tbPNSt15iterator_traitsISE_E10value_typeEPNSK_ISF_E10value_typeEPSG_NS1_7vsmem_tEENKUlT_SE_SF_SG_E_clIS8_S8_S9_S9_EESD_ST_SE_SF_SG_EUlST_E0_NS1_11comp_targetILNS1_3genE0ELNS1_11target_archE4294967295ELNS1_3gpuE0ELNS1_3repE0EEENS1_38merge_mergepath_config_static_selectorELNS0_4arch9wavefront6targetE0EEEvSF_
                                        ; -- End function
	.set _ZN7rocprim17ROCPRIM_400000_NS6detail17trampoline_kernelINS0_14default_configENS1_38merge_sort_block_merge_config_selectorImNS0_10empty_typeEEEZZNS1_27merge_sort_block_merge_implIS3_PmPS5_jNS1_19radix_merge_compareILb1ELb0EmNS0_19identity_decomposerEEEEE10hipError_tT0_T1_T2_jT3_P12ihipStream_tbPNSt15iterator_traitsISE_E10value_typeEPNSK_ISF_E10value_typeEPSG_NS1_7vsmem_tEENKUlT_SE_SF_SG_E_clIS8_S8_S9_S9_EESD_ST_SE_SF_SG_EUlST_E0_NS1_11comp_targetILNS1_3genE0ELNS1_11target_archE4294967295ELNS1_3gpuE0ELNS1_3repE0EEENS1_38merge_mergepath_config_static_selectorELNS0_4arch9wavefront6targetE0EEEvSF_.num_vgpr, 38
	.set _ZN7rocprim17ROCPRIM_400000_NS6detail17trampoline_kernelINS0_14default_configENS1_38merge_sort_block_merge_config_selectorImNS0_10empty_typeEEEZZNS1_27merge_sort_block_merge_implIS3_PmPS5_jNS1_19radix_merge_compareILb1ELb0EmNS0_19identity_decomposerEEEEE10hipError_tT0_T1_T2_jT3_P12ihipStream_tbPNSt15iterator_traitsISE_E10value_typeEPNSK_ISF_E10value_typeEPSG_NS1_7vsmem_tEENKUlT_SE_SF_SG_E_clIS8_S8_S9_S9_EESD_ST_SE_SF_SG_EUlST_E0_NS1_11comp_targetILNS1_3genE0ELNS1_11target_archE4294967295ELNS1_3gpuE0ELNS1_3repE0EEENS1_38merge_mergepath_config_static_selectorELNS0_4arch9wavefront6targetE0EEEvSF_.num_agpr, 0
	.set _ZN7rocprim17ROCPRIM_400000_NS6detail17trampoline_kernelINS0_14default_configENS1_38merge_sort_block_merge_config_selectorImNS0_10empty_typeEEEZZNS1_27merge_sort_block_merge_implIS3_PmPS5_jNS1_19radix_merge_compareILb1ELb0EmNS0_19identity_decomposerEEEEE10hipError_tT0_T1_T2_jT3_P12ihipStream_tbPNSt15iterator_traitsISE_E10value_typeEPNSK_ISF_E10value_typeEPSG_NS1_7vsmem_tEENKUlT_SE_SF_SG_E_clIS8_S8_S9_S9_EESD_ST_SE_SF_SG_EUlST_E0_NS1_11comp_targetILNS1_3genE0ELNS1_11target_archE4294967295ELNS1_3gpuE0ELNS1_3repE0EEENS1_38merge_mergepath_config_static_selectorELNS0_4arch9wavefront6targetE0EEEvSF_.numbered_sgpr, 23
	.set _ZN7rocprim17ROCPRIM_400000_NS6detail17trampoline_kernelINS0_14default_configENS1_38merge_sort_block_merge_config_selectorImNS0_10empty_typeEEEZZNS1_27merge_sort_block_merge_implIS3_PmPS5_jNS1_19radix_merge_compareILb1ELb0EmNS0_19identity_decomposerEEEEE10hipError_tT0_T1_T2_jT3_P12ihipStream_tbPNSt15iterator_traitsISE_E10value_typeEPNSK_ISF_E10value_typeEPSG_NS1_7vsmem_tEENKUlT_SE_SF_SG_E_clIS8_S8_S9_S9_EESD_ST_SE_SF_SG_EUlST_E0_NS1_11comp_targetILNS1_3genE0ELNS1_11target_archE4294967295ELNS1_3gpuE0ELNS1_3repE0EEENS1_38merge_mergepath_config_static_selectorELNS0_4arch9wavefront6targetE0EEEvSF_.num_named_barrier, 0
	.set _ZN7rocprim17ROCPRIM_400000_NS6detail17trampoline_kernelINS0_14default_configENS1_38merge_sort_block_merge_config_selectorImNS0_10empty_typeEEEZZNS1_27merge_sort_block_merge_implIS3_PmPS5_jNS1_19radix_merge_compareILb1ELb0EmNS0_19identity_decomposerEEEEE10hipError_tT0_T1_T2_jT3_P12ihipStream_tbPNSt15iterator_traitsISE_E10value_typeEPNSK_ISF_E10value_typeEPSG_NS1_7vsmem_tEENKUlT_SE_SF_SG_E_clIS8_S8_S9_S9_EESD_ST_SE_SF_SG_EUlST_E0_NS1_11comp_targetILNS1_3genE0ELNS1_11target_archE4294967295ELNS1_3gpuE0ELNS1_3repE0EEENS1_38merge_mergepath_config_static_selectorELNS0_4arch9wavefront6targetE0EEEvSF_.private_seg_size, 0
	.set _ZN7rocprim17ROCPRIM_400000_NS6detail17trampoline_kernelINS0_14default_configENS1_38merge_sort_block_merge_config_selectorImNS0_10empty_typeEEEZZNS1_27merge_sort_block_merge_implIS3_PmPS5_jNS1_19radix_merge_compareILb1ELb0EmNS0_19identity_decomposerEEEEE10hipError_tT0_T1_T2_jT3_P12ihipStream_tbPNSt15iterator_traitsISE_E10value_typeEPNSK_ISF_E10value_typeEPSG_NS1_7vsmem_tEENKUlT_SE_SF_SG_E_clIS8_S8_S9_S9_EESD_ST_SE_SF_SG_EUlST_E0_NS1_11comp_targetILNS1_3genE0ELNS1_11target_archE4294967295ELNS1_3gpuE0ELNS1_3repE0EEENS1_38merge_mergepath_config_static_selectorELNS0_4arch9wavefront6targetE0EEEvSF_.uses_vcc, 1
	.set _ZN7rocprim17ROCPRIM_400000_NS6detail17trampoline_kernelINS0_14default_configENS1_38merge_sort_block_merge_config_selectorImNS0_10empty_typeEEEZZNS1_27merge_sort_block_merge_implIS3_PmPS5_jNS1_19radix_merge_compareILb1ELb0EmNS0_19identity_decomposerEEEEE10hipError_tT0_T1_T2_jT3_P12ihipStream_tbPNSt15iterator_traitsISE_E10value_typeEPNSK_ISF_E10value_typeEPSG_NS1_7vsmem_tEENKUlT_SE_SF_SG_E_clIS8_S8_S9_S9_EESD_ST_SE_SF_SG_EUlST_E0_NS1_11comp_targetILNS1_3genE0ELNS1_11target_archE4294967295ELNS1_3gpuE0ELNS1_3repE0EEENS1_38merge_mergepath_config_static_selectorELNS0_4arch9wavefront6targetE0EEEvSF_.uses_flat_scratch, 0
	.set _ZN7rocprim17ROCPRIM_400000_NS6detail17trampoline_kernelINS0_14default_configENS1_38merge_sort_block_merge_config_selectorImNS0_10empty_typeEEEZZNS1_27merge_sort_block_merge_implIS3_PmPS5_jNS1_19radix_merge_compareILb1ELb0EmNS0_19identity_decomposerEEEEE10hipError_tT0_T1_T2_jT3_P12ihipStream_tbPNSt15iterator_traitsISE_E10value_typeEPNSK_ISF_E10value_typeEPSG_NS1_7vsmem_tEENKUlT_SE_SF_SG_E_clIS8_S8_S9_S9_EESD_ST_SE_SF_SG_EUlST_E0_NS1_11comp_targetILNS1_3genE0ELNS1_11target_archE4294967295ELNS1_3gpuE0ELNS1_3repE0EEENS1_38merge_mergepath_config_static_selectorELNS0_4arch9wavefront6targetE0EEEvSF_.has_dyn_sized_stack, 0
	.set _ZN7rocprim17ROCPRIM_400000_NS6detail17trampoline_kernelINS0_14default_configENS1_38merge_sort_block_merge_config_selectorImNS0_10empty_typeEEEZZNS1_27merge_sort_block_merge_implIS3_PmPS5_jNS1_19radix_merge_compareILb1ELb0EmNS0_19identity_decomposerEEEEE10hipError_tT0_T1_T2_jT3_P12ihipStream_tbPNSt15iterator_traitsISE_E10value_typeEPNSK_ISF_E10value_typeEPSG_NS1_7vsmem_tEENKUlT_SE_SF_SG_E_clIS8_S8_S9_S9_EESD_ST_SE_SF_SG_EUlST_E0_NS1_11comp_targetILNS1_3genE0ELNS1_11target_archE4294967295ELNS1_3gpuE0ELNS1_3repE0EEENS1_38merge_mergepath_config_static_selectorELNS0_4arch9wavefront6targetE0EEEvSF_.has_recursion, 0
	.set _ZN7rocprim17ROCPRIM_400000_NS6detail17trampoline_kernelINS0_14default_configENS1_38merge_sort_block_merge_config_selectorImNS0_10empty_typeEEEZZNS1_27merge_sort_block_merge_implIS3_PmPS5_jNS1_19radix_merge_compareILb1ELb0EmNS0_19identity_decomposerEEEEE10hipError_tT0_T1_T2_jT3_P12ihipStream_tbPNSt15iterator_traitsISE_E10value_typeEPNSK_ISF_E10value_typeEPSG_NS1_7vsmem_tEENKUlT_SE_SF_SG_E_clIS8_S8_S9_S9_EESD_ST_SE_SF_SG_EUlST_E0_NS1_11comp_targetILNS1_3genE0ELNS1_11target_archE4294967295ELNS1_3gpuE0ELNS1_3repE0EEENS1_38merge_mergepath_config_static_selectorELNS0_4arch9wavefront6targetE0EEEvSF_.has_indirect_call, 0
	.section	.AMDGPU.csdata,"",@progbits
; Kernel info:
; codeLenInByte = 4368
; TotalNumSgprs: 25
; NumVgprs: 38
; ScratchSize: 0
; MemoryBound: 0
; FloatMode: 240
; IeeeMode: 1
; LDSByteSize: 8448 bytes/workgroup (compile time only)
; SGPRBlocks: 0
; VGPRBlocks: 2
; NumSGPRsForWavesPerEU: 25
; NumVGPRsForWavesPerEU: 38
; NamedBarCnt: 0
; Occupancy: 16
; WaveLimiterHint : 1
; COMPUTE_PGM_RSRC2:SCRATCH_EN: 0
; COMPUTE_PGM_RSRC2:USER_SGPR: 2
; COMPUTE_PGM_RSRC2:TRAP_HANDLER: 0
; COMPUTE_PGM_RSRC2:TGID_X_EN: 1
; COMPUTE_PGM_RSRC2:TGID_Y_EN: 1
; COMPUTE_PGM_RSRC2:TGID_Z_EN: 1
; COMPUTE_PGM_RSRC2:TIDIG_COMP_CNT: 0
	.section	.text._ZN7rocprim17ROCPRIM_400000_NS6detail17trampoline_kernelINS0_14default_configENS1_38merge_sort_block_merge_config_selectorImNS0_10empty_typeEEEZZNS1_27merge_sort_block_merge_implIS3_PmPS5_jNS1_19radix_merge_compareILb1ELb0EmNS0_19identity_decomposerEEEEE10hipError_tT0_T1_T2_jT3_P12ihipStream_tbPNSt15iterator_traitsISE_E10value_typeEPNSK_ISF_E10value_typeEPSG_NS1_7vsmem_tEENKUlT_SE_SF_SG_E_clIS8_S8_S9_S9_EESD_ST_SE_SF_SG_EUlST_E0_NS1_11comp_targetILNS1_3genE10ELNS1_11target_archE1201ELNS1_3gpuE5ELNS1_3repE0EEENS1_38merge_mergepath_config_static_selectorELNS0_4arch9wavefront6targetE0EEEvSF_,"axG",@progbits,_ZN7rocprim17ROCPRIM_400000_NS6detail17trampoline_kernelINS0_14default_configENS1_38merge_sort_block_merge_config_selectorImNS0_10empty_typeEEEZZNS1_27merge_sort_block_merge_implIS3_PmPS5_jNS1_19radix_merge_compareILb1ELb0EmNS0_19identity_decomposerEEEEE10hipError_tT0_T1_T2_jT3_P12ihipStream_tbPNSt15iterator_traitsISE_E10value_typeEPNSK_ISF_E10value_typeEPSG_NS1_7vsmem_tEENKUlT_SE_SF_SG_E_clIS8_S8_S9_S9_EESD_ST_SE_SF_SG_EUlST_E0_NS1_11comp_targetILNS1_3genE10ELNS1_11target_archE1201ELNS1_3gpuE5ELNS1_3repE0EEENS1_38merge_mergepath_config_static_selectorELNS0_4arch9wavefront6targetE0EEEvSF_,comdat
	.protected	_ZN7rocprim17ROCPRIM_400000_NS6detail17trampoline_kernelINS0_14default_configENS1_38merge_sort_block_merge_config_selectorImNS0_10empty_typeEEEZZNS1_27merge_sort_block_merge_implIS3_PmPS5_jNS1_19radix_merge_compareILb1ELb0EmNS0_19identity_decomposerEEEEE10hipError_tT0_T1_T2_jT3_P12ihipStream_tbPNSt15iterator_traitsISE_E10value_typeEPNSK_ISF_E10value_typeEPSG_NS1_7vsmem_tEENKUlT_SE_SF_SG_E_clIS8_S8_S9_S9_EESD_ST_SE_SF_SG_EUlST_E0_NS1_11comp_targetILNS1_3genE10ELNS1_11target_archE1201ELNS1_3gpuE5ELNS1_3repE0EEENS1_38merge_mergepath_config_static_selectorELNS0_4arch9wavefront6targetE0EEEvSF_ ; -- Begin function _ZN7rocprim17ROCPRIM_400000_NS6detail17trampoline_kernelINS0_14default_configENS1_38merge_sort_block_merge_config_selectorImNS0_10empty_typeEEEZZNS1_27merge_sort_block_merge_implIS3_PmPS5_jNS1_19radix_merge_compareILb1ELb0EmNS0_19identity_decomposerEEEEE10hipError_tT0_T1_T2_jT3_P12ihipStream_tbPNSt15iterator_traitsISE_E10value_typeEPNSK_ISF_E10value_typeEPSG_NS1_7vsmem_tEENKUlT_SE_SF_SG_E_clIS8_S8_S9_S9_EESD_ST_SE_SF_SG_EUlST_E0_NS1_11comp_targetILNS1_3genE10ELNS1_11target_archE1201ELNS1_3gpuE5ELNS1_3repE0EEENS1_38merge_mergepath_config_static_selectorELNS0_4arch9wavefront6targetE0EEEvSF_
	.globl	_ZN7rocprim17ROCPRIM_400000_NS6detail17trampoline_kernelINS0_14default_configENS1_38merge_sort_block_merge_config_selectorImNS0_10empty_typeEEEZZNS1_27merge_sort_block_merge_implIS3_PmPS5_jNS1_19radix_merge_compareILb1ELb0EmNS0_19identity_decomposerEEEEE10hipError_tT0_T1_T2_jT3_P12ihipStream_tbPNSt15iterator_traitsISE_E10value_typeEPNSK_ISF_E10value_typeEPSG_NS1_7vsmem_tEENKUlT_SE_SF_SG_E_clIS8_S8_S9_S9_EESD_ST_SE_SF_SG_EUlST_E0_NS1_11comp_targetILNS1_3genE10ELNS1_11target_archE1201ELNS1_3gpuE5ELNS1_3repE0EEENS1_38merge_mergepath_config_static_selectorELNS0_4arch9wavefront6targetE0EEEvSF_
	.p2align	8
	.type	_ZN7rocprim17ROCPRIM_400000_NS6detail17trampoline_kernelINS0_14default_configENS1_38merge_sort_block_merge_config_selectorImNS0_10empty_typeEEEZZNS1_27merge_sort_block_merge_implIS3_PmPS5_jNS1_19radix_merge_compareILb1ELb0EmNS0_19identity_decomposerEEEEE10hipError_tT0_T1_T2_jT3_P12ihipStream_tbPNSt15iterator_traitsISE_E10value_typeEPNSK_ISF_E10value_typeEPSG_NS1_7vsmem_tEENKUlT_SE_SF_SG_E_clIS8_S8_S9_S9_EESD_ST_SE_SF_SG_EUlST_E0_NS1_11comp_targetILNS1_3genE10ELNS1_11target_archE1201ELNS1_3gpuE5ELNS1_3repE0EEENS1_38merge_mergepath_config_static_selectorELNS0_4arch9wavefront6targetE0EEEvSF_,@function
_ZN7rocprim17ROCPRIM_400000_NS6detail17trampoline_kernelINS0_14default_configENS1_38merge_sort_block_merge_config_selectorImNS0_10empty_typeEEEZZNS1_27merge_sort_block_merge_implIS3_PmPS5_jNS1_19radix_merge_compareILb1ELb0EmNS0_19identity_decomposerEEEEE10hipError_tT0_T1_T2_jT3_P12ihipStream_tbPNSt15iterator_traitsISE_E10value_typeEPNSK_ISF_E10value_typeEPSG_NS1_7vsmem_tEENKUlT_SE_SF_SG_E_clIS8_S8_S9_S9_EESD_ST_SE_SF_SG_EUlST_E0_NS1_11comp_targetILNS1_3genE10ELNS1_11target_archE1201ELNS1_3gpuE5ELNS1_3repE0EEENS1_38merge_mergepath_config_static_selectorELNS0_4arch9wavefront6targetE0EEEvSF_: ; @_ZN7rocprim17ROCPRIM_400000_NS6detail17trampoline_kernelINS0_14default_configENS1_38merge_sort_block_merge_config_selectorImNS0_10empty_typeEEEZZNS1_27merge_sort_block_merge_implIS3_PmPS5_jNS1_19radix_merge_compareILb1ELb0EmNS0_19identity_decomposerEEEEE10hipError_tT0_T1_T2_jT3_P12ihipStream_tbPNSt15iterator_traitsISE_E10value_typeEPNSK_ISF_E10value_typeEPSG_NS1_7vsmem_tEENKUlT_SE_SF_SG_E_clIS8_S8_S9_S9_EESD_ST_SE_SF_SG_EUlST_E0_NS1_11comp_targetILNS1_3genE10ELNS1_11target_archE1201ELNS1_3gpuE5ELNS1_3repE0EEENS1_38merge_mergepath_config_static_selectorELNS0_4arch9wavefront6targetE0EEEvSF_
; %bb.0:
	.section	.rodata,"a",@progbits
	.p2align	6, 0x0
	.amdhsa_kernel _ZN7rocprim17ROCPRIM_400000_NS6detail17trampoline_kernelINS0_14default_configENS1_38merge_sort_block_merge_config_selectorImNS0_10empty_typeEEEZZNS1_27merge_sort_block_merge_implIS3_PmPS5_jNS1_19radix_merge_compareILb1ELb0EmNS0_19identity_decomposerEEEEE10hipError_tT0_T1_T2_jT3_P12ihipStream_tbPNSt15iterator_traitsISE_E10value_typeEPNSK_ISF_E10value_typeEPSG_NS1_7vsmem_tEENKUlT_SE_SF_SG_E_clIS8_S8_S9_S9_EESD_ST_SE_SF_SG_EUlST_E0_NS1_11comp_targetILNS1_3genE10ELNS1_11target_archE1201ELNS1_3gpuE5ELNS1_3repE0EEENS1_38merge_mergepath_config_static_selectorELNS0_4arch9wavefront6targetE0EEEvSF_
		.amdhsa_group_segment_fixed_size 0
		.amdhsa_private_segment_fixed_size 0
		.amdhsa_kernarg_size 64
		.amdhsa_user_sgpr_count 2
		.amdhsa_user_sgpr_dispatch_ptr 0
		.amdhsa_user_sgpr_queue_ptr 0
		.amdhsa_user_sgpr_kernarg_segment_ptr 1
		.amdhsa_user_sgpr_dispatch_id 0
		.amdhsa_user_sgpr_kernarg_preload_length 0
		.amdhsa_user_sgpr_kernarg_preload_offset 0
		.amdhsa_user_sgpr_private_segment_size 0
		.amdhsa_wavefront_size32 1
		.amdhsa_uses_dynamic_stack 0
		.amdhsa_enable_private_segment 0
		.amdhsa_system_sgpr_workgroup_id_x 1
		.amdhsa_system_sgpr_workgroup_id_y 0
		.amdhsa_system_sgpr_workgroup_id_z 0
		.amdhsa_system_sgpr_workgroup_info 0
		.amdhsa_system_vgpr_workitem_id 0
		.amdhsa_next_free_vgpr 1
		.amdhsa_next_free_sgpr 1
		.amdhsa_named_barrier_count 0
		.amdhsa_reserve_vcc 0
		.amdhsa_float_round_mode_32 0
		.amdhsa_float_round_mode_16_64 0
		.amdhsa_float_denorm_mode_32 3
		.amdhsa_float_denorm_mode_16_64 3
		.amdhsa_fp16_overflow 0
		.amdhsa_memory_ordered 1
		.amdhsa_forward_progress 1
		.amdhsa_inst_pref_size 0
		.amdhsa_round_robin_scheduling 0
		.amdhsa_exception_fp_ieee_invalid_op 0
		.amdhsa_exception_fp_denorm_src 0
		.amdhsa_exception_fp_ieee_div_zero 0
		.amdhsa_exception_fp_ieee_overflow 0
		.amdhsa_exception_fp_ieee_underflow 0
		.amdhsa_exception_fp_ieee_inexact 0
		.amdhsa_exception_int_div_zero 0
	.end_amdhsa_kernel
	.section	.text._ZN7rocprim17ROCPRIM_400000_NS6detail17trampoline_kernelINS0_14default_configENS1_38merge_sort_block_merge_config_selectorImNS0_10empty_typeEEEZZNS1_27merge_sort_block_merge_implIS3_PmPS5_jNS1_19radix_merge_compareILb1ELb0EmNS0_19identity_decomposerEEEEE10hipError_tT0_T1_T2_jT3_P12ihipStream_tbPNSt15iterator_traitsISE_E10value_typeEPNSK_ISF_E10value_typeEPSG_NS1_7vsmem_tEENKUlT_SE_SF_SG_E_clIS8_S8_S9_S9_EESD_ST_SE_SF_SG_EUlST_E0_NS1_11comp_targetILNS1_3genE10ELNS1_11target_archE1201ELNS1_3gpuE5ELNS1_3repE0EEENS1_38merge_mergepath_config_static_selectorELNS0_4arch9wavefront6targetE0EEEvSF_,"axG",@progbits,_ZN7rocprim17ROCPRIM_400000_NS6detail17trampoline_kernelINS0_14default_configENS1_38merge_sort_block_merge_config_selectorImNS0_10empty_typeEEEZZNS1_27merge_sort_block_merge_implIS3_PmPS5_jNS1_19radix_merge_compareILb1ELb0EmNS0_19identity_decomposerEEEEE10hipError_tT0_T1_T2_jT3_P12ihipStream_tbPNSt15iterator_traitsISE_E10value_typeEPNSK_ISF_E10value_typeEPSG_NS1_7vsmem_tEENKUlT_SE_SF_SG_E_clIS8_S8_S9_S9_EESD_ST_SE_SF_SG_EUlST_E0_NS1_11comp_targetILNS1_3genE10ELNS1_11target_archE1201ELNS1_3gpuE5ELNS1_3repE0EEENS1_38merge_mergepath_config_static_selectorELNS0_4arch9wavefront6targetE0EEEvSF_,comdat
.Lfunc_end2807:
	.size	_ZN7rocprim17ROCPRIM_400000_NS6detail17trampoline_kernelINS0_14default_configENS1_38merge_sort_block_merge_config_selectorImNS0_10empty_typeEEEZZNS1_27merge_sort_block_merge_implIS3_PmPS5_jNS1_19radix_merge_compareILb1ELb0EmNS0_19identity_decomposerEEEEE10hipError_tT0_T1_T2_jT3_P12ihipStream_tbPNSt15iterator_traitsISE_E10value_typeEPNSK_ISF_E10value_typeEPSG_NS1_7vsmem_tEENKUlT_SE_SF_SG_E_clIS8_S8_S9_S9_EESD_ST_SE_SF_SG_EUlST_E0_NS1_11comp_targetILNS1_3genE10ELNS1_11target_archE1201ELNS1_3gpuE5ELNS1_3repE0EEENS1_38merge_mergepath_config_static_selectorELNS0_4arch9wavefront6targetE0EEEvSF_, .Lfunc_end2807-_ZN7rocprim17ROCPRIM_400000_NS6detail17trampoline_kernelINS0_14default_configENS1_38merge_sort_block_merge_config_selectorImNS0_10empty_typeEEEZZNS1_27merge_sort_block_merge_implIS3_PmPS5_jNS1_19radix_merge_compareILb1ELb0EmNS0_19identity_decomposerEEEEE10hipError_tT0_T1_T2_jT3_P12ihipStream_tbPNSt15iterator_traitsISE_E10value_typeEPNSK_ISF_E10value_typeEPSG_NS1_7vsmem_tEENKUlT_SE_SF_SG_E_clIS8_S8_S9_S9_EESD_ST_SE_SF_SG_EUlST_E0_NS1_11comp_targetILNS1_3genE10ELNS1_11target_archE1201ELNS1_3gpuE5ELNS1_3repE0EEENS1_38merge_mergepath_config_static_selectorELNS0_4arch9wavefront6targetE0EEEvSF_
                                        ; -- End function
	.set _ZN7rocprim17ROCPRIM_400000_NS6detail17trampoline_kernelINS0_14default_configENS1_38merge_sort_block_merge_config_selectorImNS0_10empty_typeEEEZZNS1_27merge_sort_block_merge_implIS3_PmPS5_jNS1_19radix_merge_compareILb1ELb0EmNS0_19identity_decomposerEEEEE10hipError_tT0_T1_T2_jT3_P12ihipStream_tbPNSt15iterator_traitsISE_E10value_typeEPNSK_ISF_E10value_typeEPSG_NS1_7vsmem_tEENKUlT_SE_SF_SG_E_clIS8_S8_S9_S9_EESD_ST_SE_SF_SG_EUlST_E0_NS1_11comp_targetILNS1_3genE10ELNS1_11target_archE1201ELNS1_3gpuE5ELNS1_3repE0EEENS1_38merge_mergepath_config_static_selectorELNS0_4arch9wavefront6targetE0EEEvSF_.num_vgpr, 0
	.set _ZN7rocprim17ROCPRIM_400000_NS6detail17trampoline_kernelINS0_14default_configENS1_38merge_sort_block_merge_config_selectorImNS0_10empty_typeEEEZZNS1_27merge_sort_block_merge_implIS3_PmPS5_jNS1_19radix_merge_compareILb1ELb0EmNS0_19identity_decomposerEEEEE10hipError_tT0_T1_T2_jT3_P12ihipStream_tbPNSt15iterator_traitsISE_E10value_typeEPNSK_ISF_E10value_typeEPSG_NS1_7vsmem_tEENKUlT_SE_SF_SG_E_clIS8_S8_S9_S9_EESD_ST_SE_SF_SG_EUlST_E0_NS1_11comp_targetILNS1_3genE10ELNS1_11target_archE1201ELNS1_3gpuE5ELNS1_3repE0EEENS1_38merge_mergepath_config_static_selectorELNS0_4arch9wavefront6targetE0EEEvSF_.num_agpr, 0
	.set _ZN7rocprim17ROCPRIM_400000_NS6detail17trampoline_kernelINS0_14default_configENS1_38merge_sort_block_merge_config_selectorImNS0_10empty_typeEEEZZNS1_27merge_sort_block_merge_implIS3_PmPS5_jNS1_19radix_merge_compareILb1ELb0EmNS0_19identity_decomposerEEEEE10hipError_tT0_T1_T2_jT3_P12ihipStream_tbPNSt15iterator_traitsISE_E10value_typeEPNSK_ISF_E10value_typeEPSG_NS1_7vsmem_tEENKUlT_SE_SF_SG_E_clIS8_S8_S9_S9_EESD_ST_SE_SF_SG_EUlST_E0_NS1_11comp_targetILNS1_3genE10ELNS1_11target_archE1201ELNS1_3gpuE5ELNS1_3repE0EEENS1_38merge_mergepath_config_static_selectorELNS0_4arch9wavefront6targetE0EEEvSF_.numbered_sgpr, 0
	.set _ZN7rocprim17ROCPRIM_400000_NS6detail17trampoline_kernelINS0_14default_configENS1_38merge_sort_block_merge_config_selectorImNS0_10empty_typeEEEZZNS1_27merge_sort_block_merge_implIS3_PmPS5_jNS1_19radix_merge_compareILb1ELb0EmNS0_19identity_decomposerEEEEE10hipError_tT0_T1_T2_jT3_P12ihipStream_tbPNSt15iterator_traitsISE_E10value_typeEPNSK_ISF_E10value_typeEPSG_NS1_7vsmem_tEENKUlT_SE_SF_SG_E_clIS8_S8_S9_S9_EESD_ST_SE_SF_SG_EUlST_E0_NS1_11comp_targetILNS1_3genE10ELNS1_11target_archE1201ELNS1_3gpuE5ELNS1_3repE0EEENS1_38merge_mergepath_config_static_selectorELNS0_4arch9wavefront6targetE0EEEvSF_.num_named_barrier, 0
	.set _ZN7rocprim17ROCPRIM_400000_NS6detail17trampoline_kernelINS0_14default_configENS1_38merge_sort_block_merge_config_selectorImNS0_10empty_typeEEEZZNS1_27merge_sort_block_merge_implIS3_PmPS5_jNS1_19radix_merge_compareILb1ELb0EmNS0_19identity_decomposerEEEEE10hipError_tT0_T1_T2_jT3_P12ihipStream_tbPNSt15iterator_traitsISE_E10value_typeEPNSK_ISF_E10value_typeEPSG_NS1_7vsmem_tEENKUlT_SE_SF_SG_E_clIS8_S8_S9_S9_EESD_ST_SE_SF_SG_EUlST_E0_NS1_11comp_targetILNS1_3genE10ELNS1_11target_archE1201ELNS1_3gpuE5ELNS1_3repE0EEENS1_38merge_mergepath_config_static_selectorELNS0_4arch9wavefront6targetE0EEEvSF_.private_seg_size, 0
	.set _ZN7rocprim17ROCPRIM_400000_NS6detail17trampoline_kernelINS0_14default_configENS1_38merge_sort_block_merge_config_selectorImNS0_10empty_typeEEEZZNS1_27merge_sort_block_merge_implIS3_PmPS5_jNS1_19radix_merge_compareILb1ELb0EmNS0_19identity_decomposerEEEEE10hipError_tT0_T1_T2_jT3_P12ihipStream_tbPNSt15iterator_traitsISE_E10value_typeEPNSK_ISF_E10value_typeEPSG_NS1_7vsmem_tEENKUlT_SE_SF_SG_E_clIS8_S8_S9_S9_EESD_ST_SE_SF_SG_EUlST_E0_NS1_11comp_targetILNS1_3genE10ELNS1_11target_archE1201ELNS1_3gpuE5ELNS1_3repE0EEENS1_38merge_mergepath_config_static_selectorELNS0_4arch9wavefront6targetE0EEEvSF_.uses_vcc, 0
	.set _ZN7rocprim17ROCPRIM_400000_NS6detail17trampoline_kernelINS0_14default_configENS1_38merge_sort_block_merge_config_selectorImNS0_10empty_typeEEEZZNS1_27merge_sort_block_merge_implIS3_PmPS5_jNS1_19radix_merge_compareILb1ELb0EmNS0_19identity_decomposerEEEEE10hipError_tT0_T1_T2_jT3_P12ihipStream_tbPNSt15iterator_traitsISE_E10value_typeEPNSK_ISF_E10value_typeEPSG_NS1_7vsmem_tEENKUlT_SE_SF_SG_E_clIS8_S8_S9_S9_EESD_ST_SE_SF_SG_EUlST_E0_NS1_11comp_targetILNS1_3genE10ELNS1_11target_archE1201ELNS1_3gpuE5ELNS1_3repE0EEENS1_38merge_mergepath_config_static_selectorELNS0_4arch9wavefront6targetE0EEEvSF_.uses_flat_scratch, 0
	.set _ZN7rocprim17ROCPRIM_400000_NS6detail17trampoline_kernelINS0_14default_configENS1_38merge_sort_block_merge_config_selectorImNS0_10empty_typeEEEZZNS1_27merge_sort_block_merge_implIS3_PmPS5_jNS1_19radix_merge_compareILb1ELb0EmNS0_19identity_decomposerEEEEE10hipError_tT0_T1_T2_jT3_P12ihipStream_tbPNSt15iterator_traitsISE_E10value_typeEPNSK_ISF_E10value_typeEPSG_NS1_7vsmem_tEENKUlT_SE_SF_SG_E_clIS8_S8_S9_S9_EESD_ST_SE_SF_SG_EUlST_E0_NS1_11comp_targetILNS1_3genE10ELNS1_11target_archE1201ELNS1_3gpuE5ELNS1_3repE0EEENS1_38merge_mergepath_config_static_selectorELNS0_4arch9wavefront6targetE0EEEvSF_.has_dyn_sized_stack, 0
	.set _ZN7rocprim17ROCPRIM_400000_NS6detail17trampoline_kernelINS0_14default_configENS1_38merge_sort_block_merge_config_selectorImNS0_10empty_typeEEEZZNS1_27merge_sort_block_merge_implIS3_PmPS5_jNS1_19radix_merge_compareILb1ELb0EmNS0_19identity_decomposerEEEEE10hipError_tT0_T1_T2_jT3_P12ihipStream_tbPNSt15iterator_traitsISE_E10value_typeEPNSK_ISF_E10value_typeEPSG_NS1_7vsmem_tEENKUlT_SE_SF_SG_E_clIS8_S8_S9_S9_EESD_ST_SE_SF_SG_EUlST_E0_NS1_11comp_targetILNS1_3genE10ELNS1_11target_archE1201ELNS1_3gpuE5ELNS1_3repE0EEENS1_38merge_mergepath_config_static_selectorELNS0_4arch9wavefront6targetE0EEEvSF_.has_recursion, 0
	.set _ZN7rocprim17ROCPRIM_400000_NS6detail17trampoline_kernelINS0_14default_configENS1_38merge_sort_block_merge_config_selectorImNS0_10empty_typeEEEZZNS1_27merge_sort_block_merge_implIS3_PmPS5_jNS1_19radix_merge_compareILb1ELb0EmNS0_19identity_decomposerEEEEE10hipError_tT0_T1_T2_jT3_P12ihipStream_tbPNSt15iterator_traitsISE_E10value_typeEPNSK_ISF_E10value_typeEPSG_NS1_7vsmem_tEENKUlT_SE_SF_SG_E_clIS8_S8_S9_S9_EESD_ST_SE_SF_SG_EUlST_E0_NS1_11comp_targetILNS1_3genE10ELNS1_11target_archE1201ELNS1_3gpuE5ELNS1_3repE0EEENS1_38merge_mergepath_config_static_selectorELNS0_4arch9wavefront6targetE0EEEvSF_.has_indirect_call, 0
	.section	.AMDGPU.csdata,"",@progbits
; Kernel info:
; codeLenInByte = 0
; TotalNumSgprs: 0
; NumVgprs: 0
; ScratchSize: 0
; MemoryBound: 0
; FloatMode: 240
; IeeeMode: 1
; LDSByteSize: 0 bytes/workgroup (compile time only)
; SGPRBlocks: 0
; VGPRBlocks: 0
; NumSGPRsForWavesPerEU: 1
; NumVGPRsForWavesPerEU: 1
; NamedBarCnt: 0
; Occupancy: 16
; WaveLimiterHint : 0
; COMPUTE_PGM_RSRC2:SCRATCH_EN: 0
; COMPUTE_PGM_RSRC2:USER_SGPR: 2
; COMPUTE_PGM_RSRC2:TRAP_HANDLER: 0
; COMPUTE_PGM_RSRC2:TGID_X_EN: 1
; COMPUTE_PGM_RSRC2:TGID_Y_EN: 0
; COMPUTE_PGM_RSRC2:TGID_Z_EN: 0
; COMPUTE_PGM_RSRC2:TIDIG_COMP_CNT: 0
	.section	.text._ZN7rocprim17ROCPRIM_400000_NS6detail17trampoline_kernelINS0_14default_configENS1_38merge_sort_block_merge_config_selectorImNS0_10empty_typeEEEZZNS1_27merge_sort_block_merge_implIS3_PmPS5_jNS1_19radix_merge_compareILb1ELb0EmNS0_19identity_decomposerEEEEE10hipError_tT0_T1_T2_jT3_P12ihipStream_tbPNSt15iterator_traitsISE_E10value_typeEPNSK_ISF_E10value_typeEPSG_NS1_7vsmem_tEENKUlT_SE_SF_SG_E_clIS8_S8_S9_S9_EESD_ST_SE_SF_SG_EUlST_E0_NS1_11comp_targetILNS1_3genE5ELNS1_11target_archE942ELNS1_3gpuE9ELNS1_3repE0EEENS1_38merge_mergepath_config_static_selectorELNS0_4arch9wavefront6targetE0EEEvSF_,"axG",@progbits,_ZN7rocprim17ROCPRIM_400000_NS6detail17trampoline_kernelINS0_14default_configENS1_38merge_sort_block_merge_config_selectorImNS0_10empty_typeEEEZZNS1_27merge_sort_block_merge_implIS3_PmPS5_jNS1_19radix_merge_compareILb1ELb0EmNS0_19identity_decomposerEEEEE10hipError_tT0_T1_T2_jT3_P12ihipStream_tbPNSt15iterator_traitsISE_E10value_typeEPNSK_ISF_E10value_typeEPSG_NS1_7vsmem_tEENKUlT_SE_SF_SG_E_clIS8_S8_S9_S9_EESD_ST_SE_SF_SG_EUlST_E0_NS1_11comp_targetILNS1_3genE5ELNS1_11target_archE942ELNS1_3gpuE9ELNS1_3repE0EEENS1_38merge_mergepath_config_static_selectorELNS0_4arch9wavefront6targetE0EEEvSF_,comdat
	.protected	_ZN7rocprim17ROCPRIM_400000_NS6detail17trampoline_kernelINS0_14default_configENS1_38merge_sort_block_merge_config_selectorImNS0_10empty_typeEEEZZNS1_27merge_sort_block_merge_implIS3_PmPS5_jNS1_19radix_merge_compareILb1ELb0EmNS0_19identity_decomposerEEEEE10hipError_tT0_T1_T2_jT3_P12ihipStream_tbPNSt15iterator_traitsISE_E10value_typeEPNSK_ISF_E10value_typeEPSG_NS1_7vsmem_tEENKUlT_SE_SF_SG_E_clIS8_S8_S9_S9_EESD_ST_SE_SF_SG_EUlST_E0_NS1_11comp_targetILNS1_3genE5ELNS1_11target_archE942ELNS1_3gpuE9ELNS1_3repE0EEENS1_38merge_mergepath_config_static_selectorELNS0_4arch9wavefront6targetE0EEEvSF_ ; -- Begin function _ZN7rocprim17ROCPRIM_400000_NS6detail17trampoline_kernelINS0_14default_configENS1_38merge_sort_block_merge_config_selectorImNS0_10empty_typeEEEZZNS1_27merge_sort_block_merge_implIS3_PmPS5_jNS1_19radix_merge_compareILb1ELb0EmNS0_19identity_decomposerEEEEE10hipError_tT0_T1_T2_jT3_P12ihipStream_tbPNSt15iterator_traitsISE_E10value_typeEPNSK_ISF_E10value_typeEPSG_NS1_7vsmem_tEENKUlT_SE_SF_SG_E_clIS8_S8_S9_S9_EESD_ST_SE_SF_SG_EUlST_E0_NS1_11comp_targetILNS1_3genE5ELNS1_11target_archE942ELNS1_3gpuE9ELNS1_3repE0EEENS1_38merge_mergepath_config_static_selectorELNS0_4arch9wavefront6targetE0EEEvSF_
	.globl	_ZN7rocprim17ROCPRIM_400000_NS6detail17trampoline_kernelINS0_14default_configENS1_38merge_sort_block_merge_config_selectorImNS0_10empty_typeEEEZZNS1_27merge_sort_block_merge_implIS3_PmPS5_jNS1_19radix_merge_compareILb1ELb0EmNS0_19identity_decomposerEEEEE10hipError_tT0_T1_T2_jT3_P12ihipStream_tbPNSt15iterator_traitsISE_E10value_typeEPNSK_ISF_E10value_typeEPSG_NS1_7vsmem_tEENKUlT_SE_SF_SG_E_clIS8_S8_S9_S9_EESD_ST_SE_SF_SG_EUlST_E0_NS1_11comp_targetILNS1_3genE5ELNS1_11target_archE942ELNS1_3gpuE9ELNS1_3repE0EEENS1_38merge_mergepath_config_static_selectorELNS0_4arch9wavefront6targetE0EEEvSF_
	.p2align	8
	.type	_ZN7rocprim17ROCPRIM_400000_NS6detail17trampoline_kernelINS0_14default_configENS1_38merge_sort_block_merge_config_selectorImNS0_10empty_typeEEEZZNS1_27merge_sort_block_merge_implIS3_PmPS5_jNS1_19radix_merge_compareILb1ELb0EmNS0_19identity_decomposerEEEEE10hipError_tT0_T1_T2_jT3_P12ihipStream_tbPNSt15iterator_traitsISE_E10value_typeEPNSK_ISF_E10value_typeEPSG_NS1_7vsmem_tEENKUlT_SE_SF_SG_E_clIS8_S8_S9_S9_EESD_ST_SE_SF_SG_EUlST_E0_NS1_11comp_targetILNS1_3genE5ELNS1_11target_archE942ELNS1_3gpuE9ELNS1_3repE0EEENS1_38merge_mergepath_config_static_selectorELNS0_4arch9wavefront6targetE0EEEvSF_,@function
_ZN7rocprim17ROCPRIM_400000_NS6detail17trampoline_kernelINS0_14default_configENS1_38merge_sort_block_merge_config_selectorImNS0_10empty_typeEEEZZNS1_27merge_sort_block_merge_implIS3_PmPS5_jNS1_19radix_merge_compareILb1ELb0EmNS0_19identity_decomposerEEEEE10hipError_tT0_T1_T2_jT3_P12ihipStream_tbPNSt15iterator_traitsISE_E10value_typeEPNSK_ISF_E10value_typeEPSG_NS1_7vsmem_tEENKUlT_SE_SF_SG_E_clIS8_S8_S9_S9_EESD_ST_SE_SF_SG_EUlST_E0_NS1_11comp_targetILNS1_3genE5ELNS1_11target_archE942ELNS1_3gpuE9ELNS1_3repE0EEENS1_38merge_mergepath_config_static_selectorELNS0_4arch9wavefront6targetE0EEEvSF_: ; @_ZN7rocprim17ROCPRIM_400000_NS6detail17trampoline_kernelINS0_14default_configENS1_38merge_sort_block_merge_config_selectorImNS0_10empty_typeEEEZZNS1_27merge_sort_block_merge_implIS3_PmPS5_jNS1_19radix_merge_compareILb1ELb0EmNS0_19identity_decomposerEEEEE10hipError_tT0_T1_T2_jT3_P12ihipStream_tbPNSt15iterator_traitsISE_E10value_typeEPNSK_ISF_E10value_typeEPSG_NS1_7vsmem_tEENKUlT_SE_SF_SG_E_clIS8_S8_S9_S9_EESD_ST_SE_SF_SG_EUlST_E0_NS1_11comp_targetILNS1_3genE5ELNS1_11target_archE942ELNS1_3gpuE9ELNS1_3repE0EEENS1_38merge_mergepath_config_static_selectorELNS0_4arch9wavefront6targetE0EEEvSF_
; %bb.0:
	.section	.rodata,"a",@progbits
	.p2align	6, 0x0
	.amdhsa_kernel _ZN7rocprim17ROCPRIM_400000_NS6detail17trampoline_kernelINS0_14default_configENS1_38merge_sort_block_merge_config_selectorImNS0_10empty_typeEEEZZNS1_27merge_sort_block_merge_implIS3_PmPS5_jNS1_19radix_merge_compareILb1ELb0EmNS0_19identity_decomposerEEEEE10hipError_tT0_T1_T2_jT3_P12ihipStream_tbPNSt15iterator_traitsISE_E10value_typeEPNSK_ISF_E10value_typeEPSG_NS1_7vsmem_tEENKUlT_SE_SF_SG_E_clIS8_S8_S9_S9_EESD_ST_SE_SF_SG_EUlST_E0_NS1_11comp_targetILNS1_3genE5ELNS1_11target_archE942ELNS1_3gpuE9ELNS1_3repE0EEENS1_38merge_mergepath_config_static_selectorELNS0_4arch9wavefront6targetE0EEEvSF_
		.amdhsa_group_segment_fixed_size 0
		.amdhsa_private_segment_fixed_size 0
		.amdhsa_kernarg_size 64
		.amdhsa_user_sgpr_count 2
		.amdhsa_user_sgpr_dispatch_ptr 0
		.amdhsa_user_sgpr_queue_ptr 0
		.amdhsa_user_sgpr_kernarg_segment_ptr 1
		.amdhsa_user_sgpr_dispatch_id 0
		.amdhsa_user_sgpr_kernarg_preload_length 0
		.amdhsa_user_sgpr_kernarg_preload_offset 0
		.amdhsa_user_sgpr_private_segment_size 0
		.amdhsa_wavefront_size32 1
		.amdhsa_uses_dynamic_stack 0
		.amdhsa_enable_private_segment 0
		.amdhsa_system_sgpr_workgroup_id_x 1
		.amdhsa_system_sgpr_workgroup_id_y 0
		.amdhsa_system_sgpr_workgroup_id_z 0
		.amdhsa_system_sgpr_workgroup_info 0
		.amdhsa_system_vgpr_workitem_id 0
		.amdhsa_next_free_vgpr 1
		.amdhsa_next_free_sgpr 1
		.amdhsa_named_barrier_count 0
		.amdhsa_reserve_vcc 0
		.amdhsa_float_round_mode_32 0
		.amdhsa_float_round_mode_16_64 0
		.amdhsa_float_denorm_mode_32 3
		.amdhsa_float_denorm_mode_16_64 3
		.amdhsa_fp16_overflow 0
		.amdhsa_memory_ordered 1
		.amdhsa_forward_progress 1
		.amdhsa_inst_pref_size 0
		.amdhsa_round_robin_scheduling 0
		.amdhsa_exception_fp_ieee_invalid_op 0
		.amdhsa_exception_fp_denorm_src 0
		.amdhsa_exception_fp_ieee_div_zero 0
		.amdhsa_exception_fp_ieee_overflow 0
		.amdhsa_exception_fp_ieee_underflow 0
		.amdhsa_exception_fp_ieee_inexact 0
		.amdhsa_exception_int_div_zero 0
	.end_amdhsa_kernel
	.section	.text._ZN7rocprim17ROCPRIM_400000_NS6detail17trampoline_kernelINS0_14default_configENS1_38merge_sort_block_merge_config_selectorImNS0_10empty_typeEEEZZNS1_27merge_sort_block_merge_implIS3_PmPS5_jNS1_19radix_merge_compareILb1ELb0EmNS0_19identity_decomposerEEEEE10hipError_tT0_T1_T2_jT3_P12ihipStream_tbPNSt15iterator_traitsISE_E10value_typeEPNSK_ISF_E10value_typeEPSG_NS1_7vsmem_tEENKUlT_SE_SF_SG_E_clIS8_S8_S9_S9_EESD_ST_SE_SF_SG_EUlST_E0_NS1_11comp_targetILNS1_3genE5ELNS1_11target_archE942ELNS1_3gpuE9ELNS1_3repE0EEENS1_38merge_mergepath_config_static_selectorELNS0_4arch9wavefront6targetE0EEEvSF_,"axG",@progbits,_ZN7rocprim17ROCPRIM_400000_NS6detail17trampoline_kernelINS0_14default_configENS1_38merge_sort_block_merge_config_selectorImNS0_10empty_typeEEEZZNS1_27merge_sort_block_merge_implIS3_PmPS5_jNS1_19radix_merge_compareILb1ELb0EmNS0_19identity_decomposerEEEEE10hipError_tT0_T1_T2_jT3_P12ihipStream_tbPNSt15iterator_traitsISE_E10value_typeEPNSK_ISF_E10value_typeEPSG_NS1_7vsmem_tEENKUlT_SE_SF_SG_E_clIS8_S8_S9_S9_EESD_ST_SE_SF_SG_EUlST_E0_NS1_11comp_targetILNS1_3genE5ELNS1_11target_archE942ELNS1_3gpuE9ELNS1_3repE0EEENS1_38merge_mergepath_config_static_selectorELNS0_4arch9wavefront6targetE0EEEvSF_,comdat
.Lfunc_end2808:
	.size	_ZN7rocprim17ROCPRIM_400000_NS6detail17trampoline_kernelINS0_14default_configENS1_38merge_sort_block_merge_config_selectorImNS0_10empty_typeEEEZZNS1_27merge_sort_block_merge_implIS3_PmPS5_jNS1_19radix_merge_compareILb1ELb0EmNS0_19identity_decomposerEEEEE10hipError_tT0_T1_T2_jT3_P12ihipStream_tbPNSt15iterator_traitsISE_E10value_typeEPNSK_ISF_E10value_typeEPSG_NS1_7vsmem_tEENKUlT_SE_SF_SG_E_clIS8_S8_S9_S9_EESD_ST_SE_SF_SG_EUlST_E0_NS1_11comp_targetILNS1_3genE5ELNS1_11target_archE942ELNS1_3gpuE9ELNS1_3repE0EEENS1_38merge_mergepath_config_static_selectorELNS0_4arch9wavefront6targetE0EEEvSF_, .Lfunc_end2808-_ZN7rocprim17ROCPRIM_400000_NS6detail17trampoline_kernelINS0_14default_configENS1_38merge_sort_block_merge_config_selectorImNS0_10empty_typeEEEZZNS1_27merge_sort_block_merge_implIS3_PmPS5_jNS1_19radix_merge_compareILb1ELb0EmNS0_19identity_decomposerEEEEE10hipError_tT0_T1_T2_jT3_P12ihipStream_tbPNSt15iterator_traitsISE_E10value_typeEPNSK_ISF_E10value_typeEPSG_NS1_7vsmem_tEENKUlT_SE_SF_SG_E_clIS8_S8_S9_S9_EESD_ST_SE_SF_SG_EUlST_E0_NS1_11comp_targetILNS1_3genE5ELNS1_11target_archE942ELNS1_3gpuE9ELNS1_3repE0EEENS1_38merge_mergepath_config_static_selectorELNS0_4arch9wavefront6targetE0EEEvSF_
                                        ; -- End function
	.set _ZN7rocprim17ROCPRIM_400000_NS6detail17trampoline_kernelINS0_14default_configENS1_38merge_sort_block_merge_config_selectorImNS0_10empty_typeEEEZZNS1_27merge_sort_block_merge_implIS3_PmPS5_jNS1_19radix_merge_compareILb1ELb0EmNS0_19identity_decomposerEEEEE10hipError_tT0_T1_T2_jT3_P12ihipStream_tbPNSt15iterator_traitsISE_E10value_typeEPNSK_ISF_E10value_typeEPSG_NS1_7vsmem_tEENKUlT_SE_SF_SG_E_clIS8_S8_S9_S9_EESD_ST_SE_SF_SG_EUlST_E0_NS1_11comp_targetILNS1_3genE5ELNS1_11target_archE942ELNS1_3gpuE9ELNS1_3repE0EEENS1_38merge_mergepath_config_static_selectorELNS0_4arch9wavefront6targetE0EEEvSF_.num_vgpr, 0
	.set _ZN7rocprim17ROCPRIM_400000_NS6detail17trampoline_kernelINS0_14default_configENS1_38merge_sort_block_merge_config_selectorImNS0_10empty_typeEEEZZNS1_27merge_sort_block_merge_implIS3_PmPS5_jNS1_19radix_merge_compareILb1ELb0EmNS0_19identity_decomposerEEEEE10hipError_tT0_T1_T2_jT3_P12ihipStream_tbPNSt15iterator_traitsISE_E10value_typeEPNSK_ISF_E10value_typeEPSG_NS1_7vsmem_tEENKUlT_SE_SF_SG_E_clIS8_S8_S9_S9_EESD_ST_SE_SF_SG_EUlST_E0_NS1_11comp_targetILNS1_3genE5ELNS1_11target_archE942ELNS1_3gpuE9ELNS1_3repE0EEENS1_38merge_mergepath_config_static_selectorELNS0_4arch9wavefront6targetE0EEEvSF_.num_agpr, 0
	.set _ZN7rocprim17ROCPRIM_400000_NS6detail17trampoline_kernelINS0_14default_configENS1_38merge_sort_block_merge_config_selectorImNS0_10empty_typeEEEZZNS1_27merge_sort_block_merge_implIS3_PmPS5_jNS1_19radix_merge_compareILb1ELb0EmNS0_19identity_decomposerEEEEE10hipError_tT0_T1_T2_jT3_P12ihipStream_tbPNSt15iterator_traitsISE_E10value_typeEPNSK_ISF_E10value_typeEPSG_NS1_7vsmem_tEENKUlT_SE_SF_SG_E_clIS8_S8_S9_S9_EESD_ST_SE_SF_SG_EUlST_E0_NS1_11comp_targetILNS1_3genE5ELNS1_11target_archE942ELNS1_3gpuE9ELNS1_3repE0EEENS1_38merge_mergepath_config_static_selectorELNS0_4arch9wavefront6targetE0EEEvSF_.numbered_sgpr, 0
	.set _ZN7rocprim17ROCPRIM_400000_NS6detail17trampoline_kernelINS0_14default_configENS1_38merge_sort_block_merge_config_selectorImNS0_10empty_typeEEEZZNS1_27merge_sort_block_merge_implIS3_PmPS5_jNS1_19radix_merge_compareILb1ELb0EmNS0_19identity_decomposerEEEEE10hipError_tT0_T1_T2_jT3_P12ihipStream_tbPNSt15iterator_traitsISE_E10value_typeEPNSK_ISF_E10value_typeEPSG_NS1_7vsmem_tEENKUlT_SE_SF_SG_E_clIS8_S8_S9_S9_EESD_ST_SE_SF_SG_EUlST_E0_NS1_11comp_targetILNS1_3genE5ELNS1_11target_archE942ELNS1_3gpuE9ELNS1_3repE0EEENS1_38merge_mergepath_config_static_selectorELNS0_4arch9wavefront6targetE0EEEvSF_.num_named_barrier, 0
	.set _ZN7rocprim17ROCPRIM_400000_NS6detail17trampoline_kernelINS0_14default_configENS1_38merge_sort_block_merge_config_selectorImNS0_10empty_typeEEEZZNS1_27merge_sort_block_merge_implIS3_PmPS5_jNS1_19radix_merge_compareILb1ELb0EmNS0_19identity_decomposerEEEEE10hipError_tT0_T1_T2_jT3_P12ihipStream_tbPNSt15iterator_traitsISE_E10value_typeEPNSK_ISF_E10value_typeEPSG_NS1_7vsmem_tEENKUlT_SE_SF_SG_E_clIS8_S8_S9_S9_EESD_ST_SE_SF_SG_EUlST_E0_NS1_11comp_targetILNS1_3genE5ELNS1_11target_archE942ELNS1_3gpuE9ELNS1_3repE0EEENS1_38merge_mergepath_config_static_selectorELNS0_4arch9wavefront6targetE0EEEvSF_.private_seg_size, 0
	.set _ZN7rocprim17ROCPRIM_400000_NS6detail17trampoline_kernelINS0_14default_configENS1_38merge_sort_block_merge_config_selectorImNS0_10empty_typeEEEZZNS1_27merge_sort_block_merge_implIS3_PmPS5_jNS1_19radix_merge_compareILb1ELb0EmNS0_19identity_decomposerEEEEE10hipError_tT0_T1_T2_jT3_P12ihipStream_tbPNSt15iterator_traitsISE_E10value_typeEPNSK_ISF_E10value_typeEPSG_NS1_7vsmem_tEENKUlT_SE_SF_SG_E_clIS8_S8_S9_S9_EESD_ST_SE_SF_SG_EUlST_E0_NS1_11comp_targetILNS1_3genE5ELNS1_11target_archE942ELNS1_3gpuE9ELNS1_3repE0EEENS1_38merge_mergepath_config_static_selectorELNS0_4arch9wavefront6targetE0EEEvSF_.uses_vcc, 0
	.set _ZN7rocprim17ROCPRIM_400000_NS6detail17trampoline_kernelINS0_14default_configENS1_38merge_sort_block_merge_config_selectorImNS0_10empty_typeEEEZZNS1_27merge_sort_block_merge_implIS3_PmPS5_jNS1_19radix_merge_compareILb1ELb0EmNS0_19identity_decomposerEEEEE10hipError_tT0_T1_T2_jT3_P12ihipStream_tbPNSt15iterator_traitsISE_E10value_typeEPNSK_ISF_E10value_typeEPSG_NS1_7vsmem_tEENKUlT_SE_SF_SG_E_clIS8_S8_S9_S9_EESD_ST_SE_SF_SG_EUlST_E0_NS1_11comp_targetILNS1_3genE5ELNS1_11target_archE942ELNS1_3gpuE9ELNS1_3repE0EEENS1_38merge_mergepath_config_static_selectorELNS0_4arch9wavefront6targetE0EEEvSF_.uses_flat_scratch, 0
	.set _ZN7rocprim17ROCPRIM_400000_NS6detail17trampoline_kernelINS0_14default_configENS1_38merge_sort_block_merge_config_selectorImNS0_10empty_typeEEEZZNS1_27merge_sort_block_merge_implIS3_PmPS5_jNS1_19radix_merge_compareILb1ELb0EmNS0_19identity_decomposerEEEEE10hipError_tT0_T1_T2_jT3_P12ihipStream_tbPNSt15iterator_traitsISE_E10value_typeEPNSK_ISF_E10value_typeEPSG_NS1_7vsmem_tEENKUlT_SE_SF_SG_E_clIS8_S8_S9_S9_EESD_ST_SE_SF_SG_EUlST_E0_NS1_11comp_targetILNS1_3genE5ELNS1_11target_archE942ELNS1_3gpuE9ELNS1_3repE0EEENS1_38merge_mergepath_config_static_selectorELNS0_4arch9wavefront6targetE0EEEvSF_.has_dyn_sized_stack, 0
	.set _ZN7rocprim17ROCPRIM_400000_NS6detail17trampoline_kernelINS0_14default_configENS1_38merge_sort_block_merge_config_selectorImNS0_10empty_typeEEEZZNS1_27merge_sort_block_merge_implIS3_PmPS5_jNS1_19radix_merge_compareILb1ELb0EmNS0_19identity_decomposerEEEEE10hipError_tT0_T1_T2_jT3_P12ihipStream_tbPNSt15iterator_traitsISE_E10value_typeEPNSK_ISF_E10value_typeEPSG_NS1_7vsmem_tEENKUlT_SE_SF_SG_E_clIS8_S8_S9_S9_EESD_ST_SE_SF_SG_EUlST_E0_NS1_11comp_targetILNS1_3genE5ELNS1_11target_archE942ELNS1_3gpuE9ELNS1_3repE0EEENS1_38merge_mergepath_config_static_selectorELNS0_4arch9wavefront6targetE0EEEvSF_.has_recursion, 0
	.set _ZN7rocprim17ROCPRIM_400000_NS6detail17trampoline_kernelINS0_14default_configENS1_38merge_sort_block_merge_config_selectorImNS0_10empty_typeEEEZZNS1_27merge_sort_block_merge_implIS3_PmPS5_jNS1_19radix_merge_compareILb1ELb0EmNS0_19identity_decomposerEEEEE10hipError_tT0_T1_T2_jT3_P12ihipStream_tbPNSt15iterator_traitsISE_E10value_typeEPNSK_ISF_E10value_typeEPSG_NS1_7vsmem_tEENKUlT_SE_SF_SG_E_clIS8_S8_S9_S9_EESD_ST_SE_SF_SG_EUlST_E0_NS1_11comp_targetILNS1_3genE5ELNS1_11target_archE942ELNS1_3gpuE9ELNS1_3repE0EEENS1_38merge_mergepath_config_static_selectorELNS0_4arch9wavefront6targetE0EEEvSF_.has_indirect_call, 0
	.section	.AMDGPU.csdata,"",@progbits
; Kernel info:
; codeLenInByte = 0
; TotalNumSgprs: 0
; NumVgprs: 0
; ScratchSize: 0
; MemoryBound: 0
; FloatMode: 240
; IeeeMode: 1
; LDSByteSize: 0 bytes/workgroup (compile time only)
; SGPRBlocks: 0
; VGPRBlocks: 0
; NumSGPRsForWavesPerEU: 1
; NumVGPRsForWavesPerEU: 1
; NamedBarCnt: 0
; Occupancy: 16
; WaveLimiterHint : 0
; COMPUTE_PGM_RSRC2:SCRATCH_EN: 0
; COMPUTE_PGM_RSRC2:USER_SGPR: 2
; COMPUTE_PGM_RSRC2:TRAP_HANDLER: 0
; COMPUTE_PGM_RSRC2:TGID_X_EN: 1
; COMPUTE_PGM_RSRC2:TGID_Y_EN: 0
; COMPUTE_PGM_RSRC2:TGID_Z_EN: 0
; COMPUTE_PGM_RSRC2:TIDIG_COMP_CNT: 0
	.section	.text._ZN7rocprim17ROCPRIM_400000_NS6detail17trampoline_kernelINS0_14default_configENS1_38merge_sort_block_merge_config_selectorImNS0_10empty_typeEEEZZNS1_27merge_sort_block_merge_implIS3_PmPS5_jNS1_19radix_merge_compareILb1ELb0EmNS0_19identity_decomposerEEEEE10hipError_tT0_T1_T2_jT3_P12ihipStream_tbPNSt15iterator_traitsISE_E10value_typeEPNSK_ISF_E10value_typeEPSG_NS1_7vsmem_tEENKUlT_SE_SF_SG_E_clIS8_S8_S9_S9_EESD_ST_SE_SF_SG_EUlST_E0_NS1_11comp_targetILNS1_3genE4ELNS1_11target_archE910ELNS1_3gpuE8ELNS1_3repE0EEENS1_38merge_mergepath_config_static_selectorELNS0_4arch9wavefront6targetE0EEEvSF_,"axG",@progbits,_ZN7rocprim17ROCPRIM_400000_NS6detail17trampoline_kernelINS0_14default_configENS1_38merge_sort_block_merge_config_selectorImNS0_10empty_typeEEEZZNS1_27merge_sort_block_merge_implIS3_PmPS5_jNS1_19radix_merge_compareILb1ELb0EmNS0_19identity_decomposerEEEEE10hipError_tT0_T1_T2_jT3_P12ihipStream_tbPNSt15iterator_traitsISE_E10value_typeEPNSK_ISF_E10value_typeEPSG_NS1_7vsmem_tEENKUlT_SE_SF_SG_E_clIS8_S8_S9_S9_EESD_ST_SE_SF_SG_EUlST_E0_NS1_11comp_targetILNS1_3genE4ELNS1_11target_archE910ELNS1_3gpuE8ELNS1_3repE0EEENS1_38merge_mergepath_config_static_selectorELNS0_4arch9wavefront6targetE0EEEvSF_,comdat
	.protected	_ZN7rocprim17ROCPRIM_400000_NS6detail17trampoline_kernelINS0_14default_configENS1_38merge_sort_block_merge_config_selectorImNS0_10empty_typeEEEZZNS1_27merge_sort_block_merge_implIS3_PmPS5_jNS1_19radix_merge_compareILb1ELb0EmNS0_19identity_decomposerEEEEE10hipError_tT0_T1_T2_jT3_P12ihipStream_tbPNSt15iterator_traitsISE_E10value_typeEPNSK_ISF_E10value_typeEPSG_NS1_7vsmem_tEENKUlT_SE_SF_SG_E_clIS8_S8_S9_S9_EESD_ST_SE_SF_SG_EUlST_E0_NS1_11comp_targetILNS1_3genE4ELNS1_11target_archE910ELNS1_3gpuE8ELNS1_3repE0EEENS1_38merge_mergepath_config_static_selectorELNS0_4arch9wavefront6targetE0EEEvSF_ ; -- Begin function _ZN7rocprim17ROCPRIM_400000_NS6detail17trampoline_kernelINS0_14default_configENS1_38merge_sort_block_merge_config_selectorImNS0_10empty_typeEEEZZNS1_27merge_sort_block_merge_implIS3_PmPS5_jNS1_19radix_merge_compareILb1ELb0EmNS0_19identity_decomposerEEEEE10hipError_tT0_T1_T2_jT3_P12ihipStream_tbPNSt15iterator_traitsISE_E10value_typeEPNSK_ISF_E10value_typeEPSG_NS1_7vsmem_tEENKUlT_SE_SF_SG_E_clIS8_S8_S9_S9_EESD_ST_SE_SF_SG_EUlST_E0_NS1_11comp_targetILNS1_3genE4ELNS1_11target_archE910ELNS1_3gpuE8ELNS1_3repE0EEENS1_38merge_mergepath_config_static_selectorELNS0_4arch9wavefront6targetE0EEEvSF_
	.globl	_ZN7rocprim17ROCPRIM_400000_NS6detail17trampoline_kernelINS0_14default_configENS1_38merge_sort_block_merge_config_selectorImNS0_10empty_typeEEEZZNS1_27merge_sort_block_merge_implIS3_PmPS5_jNS1_19radix_merge_compareILb1ELb0EmNS0_19identity_decomposerEEEEE10hipError_tT0_T1_T2_jT3_P12ihipStream_tbPNSt15iterator_traitsISE_E10value_typeEPNSK_ISF_E10value_typeEPSG_NS1_7vsmem_tEENKUlT_SE_SF_SG_E_clIS8_S8_S9_S9_EESD_ST_SE_SF_SG_EUlST_E0_NS1_11comp_targetILNS1_3genE4ELNS1_11target_archE910ELNS1_3gpuE8ELNS1_3repE0EEENS1_38merge_mergepath_config_static_selectorELNS0_4arch9wavefront6targetE0EEEvSF_
	.p2align	8
	.type	_ZN7rocprim17ROCPRIM_400000_NS6detail17trampoline_kernelINS0_14default_configENS1_38merge_sort_block_merge_config_selectorImNS0_10empty_typeEEEZZNS1_27merge_sort_block_merge_implIS3_PmPS5_jNS1_19radix_merge_compareILb1ELb0EmNS0_19identity_decomposerEEEEE10hipError_tT0_T1_T2_jT3_P12ihipStream_tbPNSt15iterator_traitsISE_E10value_typeEPNSK_ISF_E10value_typeEPSG_NS1_7vsmem_tEENKUlT_SE_SF_SG_E_clIS8_S8_S9_S9_EESD_ST_SE_SF_SG_EUlST_E0_NS1_11comp_targetILNS1_3genE4ELNS1_11target_archE910ELNS1_3gpuE8ELNS1_3repE0EEENS1_38merge_mergepath_config_static_selectorELNS0_4arch9wavefront6targetE0EEEvSF_,@function
_ZN7rocprim17ROCPRIM_400000_NS6detail17trampoline_kernelINS0_14default_configENS1_38merge_sort_block_merge_config_selectorImNS0_10empty_typeEEEZZNS1_27merge_sort_block_merge_implIS3_PmPS5_jNS1_19radix_merge_compareILb1ELb0EmNS0_19identity_decomposerEEEEE10hipError_tT0_T1_T2_jT3_P12ihipStream_tbPNSt15iterator_traitsISE_E10value_typeEPNSK_ISF_E10value_typeEPSG_NS1_7vsmem_tEENKUlT_SE_SF_SG_E_clIS8_S8_S9_S9_EESD_ST_SE_SF_SG_EUlST_E0_NS1_11comp_targetILNS1_3genE4ELNS1_11target_archE910ELNS1_3gpuE8ELNS1_3repE0EEENS1_38merge_mergepath_config_static_selectorELNS0_4arch9wavefront6targetE0EEEvSF_: ; @_ZN7rocprim17ROCPRIM_400000_NS6detail17trampoline_kernelINS0_14default_configENS1_38merge_sort_block_merge_config_selectorImNS0_10empty_typeEEEZZNS1_27merge_sort_block_merge_implIS3_PmPS5_jNS1_19radix_merge_compareILb1ELb0EmNS0_19identity_decomposerEEEEE10hipError_tT0_T1_T2_jT3_P12ihipStream_tbPNSt15iterator_traitsISE_E10value_typeEPNSK_ISF_E10value_typeEPSG_NS1_7vsmem_tEENKUlT_SE_SF_SG_E_clIS8_S8_S9_S9_EESD_ST_SE_SF_SG_EUlST_E0_NS1_11comp_targetILNS1_3genE4ELNS1_11target_archE910ELNS1_3gpuE8ELNS1_3repE0EEENS1_38merge_mergepath_config_static_selectorELNS0_4arch9wavefront6targetE0EEEvSF_
; %bb.0:
	.section	.rodata,"a",@progbits
	.p2align	6, 0x0
	.amdhsa_kernel _ZN7rocprim17ROCPRIM_400000_NS6detail17trampoline_kernelINS0_14default_configENS1_38merge_sort_block_merge_config_selectorImNS0_10empty_typeEEEZZNS1_27merge_sort_block_merge_implIS3_PmPS5_jNS1_19radix_merge_compareILb1ELb0EmNS0_19identity_decomposerEEEEE10hipError_tT0_T1_T2_jT3_P12ihipStream_tbPNSt15iterator_traitsISE_E10value_typeEPNSK_ISF_E10value_typeEPSG_NS1_7vsmem_tEENKUlT_SE_SF_SG_E_clIS8_S8_S9_S9_EESD_ST_SE_SF_SG_EUlST_E0_NS1_11comp_targetILNS1_3genE4ELNS1_11target_archE910ELNS1_3gpuE8ELNS1_3repE0EEENS1_38merge_mergepath_config_static_selectorELNS0_4arch9wavefront6targetE0EEEvSF_
		.amdhsa_group_segment_fixed_size 0
		.amdhsa_private_segment_fixed_size 0
		.amdhsa_kernarg_size 64
		.amdhsa_user_sgpr_count 2
		.amdhsa_user_sgpr_dispatch_ptr 0
		.amdhsa_user_sgpr_queue_ptr 0
		.amdhsa_user_sgpr_kernarg_segment_ptr 1
		.amdhsa_user_sgpr_dispatch_id 0
		.amdhsa_user_sgpr_kernarg_preload_length 0
		.amdhsa_user_sgpr_kernarg_preload_offset 0
		.amdhsa_user_sgpr_private_segment_size 0
		.amdhsa_wavefront_size32 1
		.amdhsa_uses_dynamic_stack 0
		.amdhsa_enable_private_segment 0
		.amdhsa_system_sgpr_workgroup_id_x 1
		.amdhsa_system_sgpr_workgroup_id_y 0
		.amdhsa_system_sgpr_workgroup_id_z 0
		.amdhsa_system_sgpr_workgroup_info 0
		.amdhsa_system_vgpr_workitem_id 0
		.amdhsa_next_free_vgpr 1
		.amdhsa_next_free_sgpr 1
		.amdhsa_named_barrier_count 0
		.amdhsa_reserve_vcc 0
		.amdhsa_float_round_mode_32 0
		.amdhsa_float_round_mode_16_64 0
		.amdhsa_float_denorm_mode_32 3
		.amdhsa_float_denorm_mode_16_64 3
		.amdhsa_fp16_overflow 0
		.amdhsa_memory_ordered 1
		.amdhsa_forward_progress 1
		.amdhsa_inst_pref_size 0
		.amdhsa_round_robin_scheduling 0
		.amdhsa_exception_fp_ieee_invalid_op 0
		.amdhsa_exception_fp_denorm_src 0
		.amdhsa_exception_fp_ieee_div_zero 0
		.amdhsa_exception_fp_ieee_overflow 0
		.amdhsa_exception_fp_ieee_underflow 0
		.amdhsa_exception_fp_ieee_inexact 0
		.amdhsa_exception_int_div_zero 0
	.end_amdhsa_kernel
	.section	.text._ZN7rocprim17ROCPRIM_400000_NS6detail17trampoline_kernelINS0_14default_configENS1_38merge_sort_block_merge_config_selectorImNS0_10empty_typeEEEZZNS1_27merge_sort_block_merge_implIS3_PmPS5_jNS1_19radix_merge_compareILb1ELb0EmNS0_19identity_decomposerEEEEE10hipError_tT0_T1_T2_jT3_P12ihipStream_tbPNSt15iterator_traitsISE_E10value_typeEPNSK_ISF_E10value_typeEPSG_NS1_7vsmem_tEENKUlT_SE_SF_SG_E_clIS8_S8_S9_S9_EESD_ST_SE_SF_SG_EUlST_E0_NS1_11comp_targetILNS1_3genE4ELNS1_11target_archE910ELNS1_3gpuE8ELNS1_3repE0EEENS1_38merge_mergepath_config_static_selectorELNS0_4arch9wavefront6targetE0EEEvSF_,"axG",@progbits,_ZN7rocprim17ROCPRIM_400000_NS6detail17trampoline_kernelINS0_14default_configENS1_38merge_sort_block_merge_config_selectorImNS0_10empty_typeEEEZZNS1_27merge_sort_block_merge_implIS3_PmPS5_jNS1_19radix_merge_compareILb1ELb0EmNS0_19identity_decomposerEEEEE10hipError_tT0_T1_T2_jT3_P12ihipStream_tbPNSt15iterator_traitsISE_E10value_typeEPNSK_ISF_E10value_typeEPSG_NS1_7vsmem_tEENKUlT_SE_SF_SG_E_clIS8_S8_S9_S9_EESD_ST_SE_SF_SG_EUlST_E0_NS1_11comp_targetILNS1_3genE4ELNS1_11target_archE910ELNS1_3gpuE8ELNS1_3repE0EEENS1_38merge_mergepath_config_static_selectorELNS0_4arch9wavefront6targetE0EEEvSF_,comdat
.Lfunc_end2809:
	.size	_ZN7rocprim17ROCPRIM_400000_NS6detail17trampoline_kernelINS0_14default_configENS1_38merge_sort_block_merge_config_selectorImNS0_10empty_typeEEEZZNS1_27merge_sort_block_merge_implIS3_PmPS5_jNS1_19radix_merge_compareILb1ELb0EmNS0_19identity_decomposerEEEEE10hipError_tT0_T1_T2_jT3_P12ihipStream_tbPNSt15iterator_traitsISE_E10value_typeEPNSK_ISF_E10value_typeEPSG_NS1_7vsmem_tEENKUlT_SE_SF_SG_E_clIS8_S8_S9_S9_EESD_ST_SE_SF_SG_EUlST_E0_NS1_11comp_targetILNS1_3genE4ELNS1_11target_archE910ELNS1_3gpuE8ELNS1_3repE0EEENS1_38merge_mergepath_config_static_selectorELNS0_4arch9wavefront6targetE0EEEvSF_, .Lfunc_end2809-_ZN7rocprim17ROCPRIM_400000_NS6detail17trampoline_kernelINS0_14default_configENS1_38merge_sort_block_merge_config_selectorImNS0_10empty_typeEEEZZNS1_27merge_sort_block_merge_implIS3_PmPS5_jNS1_19radix_merge_compareILb1ELb0EmNS0_19identity_decomposerEEEEE10hipError_tT0_T1_T2_jT3_P12ihipStream_tbPNSt15iterator_traitsISE_E10value_typeEPNSK_ISF_E10value_typeEPSG_NS1_7vsmem_tEENKUlT_SE_SF_SG_E_clIS8_S8_S9_S9_EESD_ST_SE_SF_SG_EUlST_E0_NS1_11comp_targetILNS1_3genE4ELNS1_11target_archE910ELNS1_3gpuE8ELNS1_3repE0EEENS1_38merge_mergepath_config_static_selectorELNS0_4arch9wavefront6targetE0EEEvSF_
                                        ; -- End function
	.set _ZN7rocprim17ROCPRIM_400000_NS6detail17trampoline_kernelINS0_14default_configENS1_38merge_sort_block_merge_config_selectorImNS0_10empty_typeEEEZZNS1_27merge_sort_block_merge_implIS3_PmPS5_jNS1_19radix_merge_compareILb1ELb0EmNS0_19identity_decomposerEEEEE10hipError_tT0_T1_T2_jT3_P12ihipStream_tbPNSt15iterator_traitsISE_E10value_typeEPNSK_ISF_E10value_typeEPSG_NS1_7vsmem_tEENKUlT_SE_SF_SG_E_clIS8_S8_S9_S9_EESD_ST_SE_SF_SG_EUlST_E0_NS1_11comp_targetILNS1_3genE4ELNS1_11target_archE910ELNS1_3gpuE8ELNS1_3repE0EEENS1_38merge_mergepath_config_static_selectorELNS0_4arch9wavefront6targetE0EEEvSF_.num_vgpr, 0
	.set _ZN7rocprim17ROCPRIM_400000_NS6detail17trampoline_kernelINS0_14default_configENS1_38merge_sort_block_merge_config_selectorImNS0_10empty_typeEEEZZNS1_27merge_sort_block_merge_implIS3_PmPS5_jNS1_19radix_merge_compareILb1ELb0EmNS0_19identity_decomposerEEEEE10hipError_tT0_T1_T2_jT3_P12ihipStream_tbPNSt15iterator_traitsISE_E10value_typeEPNSK_ISF_E10value_typeEPSG_NS1_7vsmem_tEENKUlT_SE_SF_SG_E_clIS8_S8_S9_S9_EESD_ST_SE_SF_SG_EUlST_E0_NS1_11comp_targetILNS1_3genE4ELNS1_11target_archE910ELNS1_3gpuE8ELNS1_3repE0EEENS1_38merge_mergepath_config_static_selectorELNS0_4arch9wavefront6targetE0EEEvSF_.num_agpr, 0
	.set _ZN7rocprim17ROCPRIM_400000_NS6detail17trampoline_kernelINS0_14default_configENS1_38merge_sort_block_merge_config_selectorImNS0_10empty_typeEEEZZNS1_27merge_sort_block_merge_implIS3_PmPS5_jNS1_19radix_merge_compareILb1ELb0EmNS0_19identity_decomposerEEEEE10hipError_tT0_T1_T2_jT3_P12ihipStream_tbPNSt15iterator_traitsISE_E10value_typeEPNSK_ISF_E10value_typeEPSG_NS1_7vsmem_tEENKUlT_SE_SF_SG_E_clIS8_S8_S9_S9_EESD_ST_SE_SF_SG_EUlST_E0_NS1_11comp_targetILNS1_3genE4ELNS1_11target_archE910ELNS1_3gpuE8ELNS1_3repE0EEENS1_38merge_mergepath_config_static_selectorELNS0_4arch9wavefront6targetE0EEEvSF_.numbered_sgpr, 0
	.set _ZN7rocprim17ROCPRIM_400000_NS6detail17trampoline_kernelINS0_14default_configENS1_38merge_sort_block_merge_config_selectorImNS0_10empty_typeEEEZZNS1_27merge_sort_block_merge_implIS3_PmPS5_jNS1_19radix_merge_compareILb1ELb0EmNS0_19identity_decomposerEEEEE10hipError_tT0_T1_T2_jT3_P12ihipStream_tbPNSt15iterator_traitsISE_E10value_typeEPNSK_ISF_E10value_typeEPSG_NS1_7vsmem_tEENKUlT_SE_SF_SG_E_clIS8_S8_S9_S9_EESD_ST_SE_SF_SG_EUlST_E0_NS1_11comp_targetILNS1_3genE4ELNS1_11target_archE910ELNS1_3gpuE8ELNS1_3repE0EEENS1_38merge_mergepath_config_static_selectorELNS0_4arch9wavefront6targetE0EEEvSF_.num_named_barrier, 0
	.set _ZN7rocprim17ROCPRIM_400000_NS6detail17trampoline_kernelINS0_14default_configENS1_38merge_sort_block_merge_config_selectorImNS0_10empty_typeEEEZZNS1_27merge_sort_block_merge_implIS3_PmPS5_jNS1_19radix_merge_compareILb1ELb0EmNS0_19identity_decomposerEEEEE10hipError_tT0_T1_T2_jT3_P12ihipStream_tbPNSt15iterator_traitsISE_E10value_typeEPNSK_ISF_E10value_typeEPSG_NS1_7vsmem_tEENKUlT_SE_SF_SG_E_clIS8_S8_S9_S9_EESD_ST_SE_SF_SG_EUlST_E0_NS1_11comp_targetILNS1_3genE4ELNS1_11target_archE910ELNS1_3gpuE8ELNS1_3repE0EEENS1_38merge_mergepath_config_static_selectorELNS0_4arch9wavefront6targetE0EEEvSF_.private_seg_size, 0
	.set _ZN7rocprim17ROCPRIM_400000_NS6detail17trampoline_kernelINS0_14default_configENS1_38merge_sort_block_merge_config_selectorImNS0_10empty_typeEEEZZNS1_27merge_sort_block_merge_implIS3_PmPS5_jNS1_19radix_merge_compareILb1ELb0EmNS0_19identity_decomposerEEEEE10hipError_tT0_T1_T2_jT3_P12ihipStream_tbPNSt15iterator_traitsISE_E10value_typeEPNSK_ISF_E10value_typeEPSG_NS1_7vsmem_tEENKUlT_SE_SF_SG_E_clIS8_S8_S9_S9_EESD_ST_SE_SF_SG_EUlST_E0_NS1_11comp_targetILNS1_3genE4ELNS1_11target_archE910ELNS1_3gpuE8ELNS1_3repE0EEENS1_38merge_mergepath_config_static_selectorELNS0_4arch9wavefront6targetE0EEEvSF_.uses_vcc, 0
	.set _ZN7rocprim17ROCPRIM_400000_NS6detail17trampoline_kernelINS0_14default_configENS1_38merge_sort_block_merge_config_selectorImNS0_10empty_typeEEEZZNS1_27merge_sort_block_merge_implIS3_PmPS5_jNS1_19radix_merge_compareILb1ELb0EmNS0_19identity_decomposerEEEEE10hipError_tT0_T1_T2_jT3_P12ihipStream_tbPNSt15iterator_traitsISE_E10value_typeEPNSK_ISF_E10value_typeEPSG_NS1_7vsmem_tEENKUlT_SE_SF_SG_E_clIS8_S8_S9_S9_EESD_ST_SE_SF_SG_EUlST_E0_NS1_11comp_targetILNS1_3genE4ELNS1_11target_archE910ELNS1_3gpuE8ELNS1_3repE0EEENS1_38merge_mergepath_config_static_selectorELNS0_4arch9wavefront6targetE0EEEvSF_.uses_flat_scratch, 0
	.set _ZN7rocprim17ROCPRIM_400000_NS6detail17trampoline_kernelINS0_14default_configENS1_38merge_sort_block_merge_config_selectorImNS0_10empty_typeEEEZZNS1_27merge_sort_block_merge_implIS3_PmPS5_jNS1_19radix_merge_compareILb1ELb0EmNS0_19identity_decomposerEEEEE10hipError_tT0_T1_T2_jT3_P12ihipStream_tbPNSt15iterator_traitsISE_E10value_typeEPNSK_ISF_E10value_typeEPSG_NS1_7vsmem_tEENKUlT_SE_SF_SG_E_clIS8_S8_S9_S9_EESD_ST_SE_SF_SG_EUlST_E0_NS1_11comp_targetILNS1_3genE4ELNS1_11target_archE910ELNS1_3gpuE8ELNS1_3repE0EEENS1_38merge_mergepath_config_static_selectorELNS0_4arch9wavefront6targetE0EEEvSF_.has_dyn_sized_stack, 0
	.set _ZN7rocprim17ROCPRIM_400000_NS6detail17trampoline_kernelINS0_14default_configENS1_38merge_sort_block_merge_config_selectorImNS0_10empty_typeEEEZZNS1_27merge_sort_block_merge_implIS3_PmPS5_jNS1_19radix_merge_compareILb1ELb0EmNS0_19identity_decomposerEEEEE10hipError_tT0_T1_T2_jT3_P12ihipStream_tbPNSt15iterator_traitsISE_E10value_typeEPNSK_ISF_E10value_typeEPSG_NS1_7vsmem_tEENKUlT_SE_SF_SG_E_clIS8_S8_S9_S9_EESD_ST_SE_SF_SG_EUlST_E0_NS1_11comp_targetILNS1_3genE4ELNS1_11target_archE910ELNS1_3gpuE8ELNS1_3repE0EEENS1_38merge_mergepath_config_static_selectorELNS0_4arch9wavefront6targetE0EEEvSF_.has_recursion, 0
	.set _ZN7rocprim17ROCPRIM_400000_NS6detail17trampoline_kernelINS0_14default_configENS1_38merge_sort_block_merge_config_selectorImNS0_10empty_typeEEEZZNS1_27merge_sort_block_merge_implIS3_PmPS5_jNS1_19radix_merge_compareILb1ELb0EmNS0_19identity_decomposerEEEEE10hipError_tT0_T1_T2_jT3_P12ihipStream_tbPNSt15iterator_traitsISE_E10value_typeEPNSK_ISF_E10value_typeEPSG_NS1_7vsmem_tEENKUlT_SE_SF_SG_E_clIS8_S8_S9_S9_EESD_ST_SE_SF_SG_EUlST_E0_NS1_11comp_targetILNS1_3genE4ELNS1_11target_archE910ELNS1_3gpuE8ELNS1_3repE0EEENS1_38merge_mergepath_config_static_selectorELNS0_4arch9wavefront6targetE0EEEvSF_.has_indirect_call, 0
	.section	.AMDGPU.csdata,"",@progbits
; Kernel info:
; codeLenInByte = 0
; TotalNumSgprs: 0
; NumVgprs: 0
; ScratchSize: 0
; MemoryBound: 0
; FloatMode: 240
; IeeeMode: 1
; LDSByteSize: 0 bytes/workgroup (compile time only)
; SGPRBlocks: 0
; VGPRBlocks: 0
; NumSGPRsForWavesPerEU: 1
; NumVGPRsForWavesPerEU: 1
; NamedBarCnt: 0
; Occupancy: 16
; WaveLimiterHint : 0
; COMPUTE_PGM_RSRC2:SCRATCH_EN: 0
; COMPUTE_PGM_RSRC2:USER_SGPR: 2
; COMPUTE_PGM_RSRC2:TRAP_HANDLER: 0
; COMPUTE_PGM_RSRC2:TGID_X_EN: 1
; COMPUTE_PGM_RSRC2:TGID_Y_EN: 0
; COMPUTE_PGM_RSRC2:TGID_Z_EN: 0
; COMPUTE_PGM_RSRC2:TIDIG_COMP_CNT: 0
	.section	.text._ZN7rocprim17ROCPRIM_400000_NS6detail17trampoline_kernelINS0_14default_configENS1_38merge_sort_block_merge_config_selectorImNS0_10empty_typeEEEZZNS1_27merge_sort_block_merge_implIS3_PmPS5_jNS1_19radix_merge_compareILb1ELb0EmNS0_19identity_decomposerEEEEE10hipError_tT0_T1_T2_jT3_P12ihipStream_tbPNSt15iterator_traitsISE_E10value_typeEPNSK_ISF_E10value_typeEPSG_NS1_7vsmem_tEENKUlT_SE_SF_SG_E_clIS8_S8_S9_S9_EESD_ST_SE_SF_SG_EUlST_E0_NS1_11comp_targetILNS1_3genE3ELNS1_11target_archE908ELNS1_3gpuE7ELNS1_3repE0EEENS1_38merge_mergepath_config_static_selectorELNS0_4arch9wavefront6targetE0EEEvSF_,"axG",@progbits,_ZN7rocprim17ROCPRIM_400000_NS6detail17trampoline_kernelINS0_14default_configENS1_38merge_sort_block_merge_config_selectorImNS0_10empty_typeEEEZZNS1_27merge_sort_block_merge_implIS3_PmPS5_jNS1_19radix_merge_compareILb1ELb0EmNS0_19identity_decomposerEEEEE10hipError_tT0_T1_T2_jT3_P12ihipStream_tbPNSt15iterator_traitsISE_E10value_typeEPNSK_ISF_E10value_typeEPSG_NS1_7vsmem_tEENKUlT_SE_SF_SG_E_clIS8_S8_S9_S9_EESD_ST_SE_SF_SG_EUlST_E0_NS1_11comp_targetILNS1_3genE3ELNS1_11target_archE908ELNS1_3gpuE7ELNS1_3repE0EEENS1_38merge_mergepath_config_static_selectorELNS0_4arch9wavefront6targetE0EEEvSF_,comdat
	.protected	_ZN7rocprim17ROCPRIM_400000_NS6detail17trampoline_kernelINS0_14default_configENS1_38merge_sort_block_merge_config_selectorImNS0_10empty_typeEEEZZNS1_27merge_sort_block_merge_implIS3_PmPS5_jNS1_19radix_merge_compareILb1ELb0EmNS0_19identity_decomposerEEEEE10hipError_tT0_T1_T2_jT3_P12ihipStream_tbPNSt15iterator_traitsISE_E10value_typeEPNSK_ISF_E10value_typeEPSG_NS1_7vsmem_tEENKUlT_SE_SF_SG_E_clIS8_S8_S9_S9_EESD_ST_SE_SF_SG_EUlST_E0_NS1_11comp_targetILNS1_3genE3ELNS1_11target_archE908ELNS1_3gpuE7ELNS1_3repE0EEENS1_38merge_mergepath_config_static_selectorELNS0_4arch9wavefront6targetE0EEEvSF_ ; -- Begin function _ZN7rocprim17ROCPRIM_400000_NS6detail17trampoline_kernelINS0_14default_configENS1_38merge_sort_block_merge_config_selectorImNS0_10empty_typeEEEZZNS1_27merge_sort_block_merge_implIS3_PmPS5_jNS1_19radix_merge_compareILb1ELb0EmNS0_19identity_decomposerEEEEE10hipError_tT0_T1_T2_jT3_P12ihipStream_tbPNSt15iterator_traitsISE_E10value_typeEPNSK_ISF_E10value_typeEPSG_NS1_7vsmem_tEENKUlT_SE_SF_SG_E_clIS8_S8_S9_S9_EESD_ST_SE_SF_SG_EUlST_E0_NS1_11comp_targetILNS1_3genE3ELNS1_11target_archE908ELNS1_3gpuE7ELNS1_3repE0EEENS1_38merge_mergepath_config_static_selectorELNS0_4arch9wavefront6targetE0EEEvSF_
	.globl	_ZN7rocprim17ROCPRIM_400000_NS6detail17trampoline_kernelINS0_14default_configENS1_38merge_sort_block_merge_config_selectorImNS0_10empty_typeEEEZZNS1_27merge_sort_block_merge_implIS3_PmPS5_jNS1_19radix_merge_compareILb1ELb0EmNS0_19identity_decomposerEEEEE10hipError_tT0_T1_T2_jT3_P12ihipStream_tbPNSt15iterator_traitsISE_E10value_typeEPNSK_ISF_E10value_typeEPSG_NS1_7vsmem_tEENKUlT_SE_SF_SG_E_clIS8_S8_S9_S9_EESD_ST_SE_SF_SG_EUlST_E0_NS1_11comp_targetILNS1_3genE3ELNS1_11target_archE908ELNS1_3gpuE7ELNS1_3repE0EEENS1_38merge_mergepath_config_static_selectorELNS0_4arch9wavefront6targetE0EEEvSF_
	.p2align	8
	.type	_ZN7rocprim17ROCPRIM_400000_NS6detail17trampoline_kernelINS0_14default_configENS1_38merge_sort_block_merge_config_selectorImNS0_10empty_typeEEEZZNS1_27merge_sort_block_merge_implIS3_PmPS5_jNS1_19radix_merge_compareILb1ELb0EmNS0_19identity_decomposerEEEEE10hipError_tT0_T1_T2_jT3_P12ihipStream_tbPNSt15iterator_traitsISE_E10value_typeEPNSK_ISF_E10value_typeEPSG_NS1_7vsmem_tEENKUlT_SE_SF_SG_E_clIS8_S8_S9_S9_EESD_ST_SE_SF_SG_EUlST_E0_NS1_11comp_targetILNS1_3genE3ELNS1_11target_archE908ELNS1_3gpuE7ELNS1_3repE0EEENS1_38merge_mergepath_config_static_selectorELNS0_4arch9wavefront6targetE0EEEvSF_,@function
_ZN7rocprim17ROCPRIM_400000_NS6detail17trampoline_kernelINS0_14default_configENS1_38merge_sort_block_merge_config_selectorImNS0_10empty_typeEEEZZNS1_27merge_sort_block_merge_implIS3_PmPS5_jNS1_19radix_merge_compareILb1ELb0EmNS0_19identity_decomposerEEEEE10hipError_tT0_T1_T2_jT3_P12ihipStream_tbPNSt15iterator_traitsISE_E10value_typeEPNSK_ISF_E10value_typeEPSG_NS1_7vsmem_tEENKUlT_SE_SF_SG_E_clIS8_S8_S9_S9_EESD_ST_SE_SF_SG_EUlST_E0_NS1_11comp_targetILNS1_3genE3ELNS1_11target_archE908ELNS1_3gpuE7ELNS1_3repE0EEENS1_38merge_mergepath_config_static_selectorELNS0_4arch9wavefront6targetE0EEEvSF_: ; @_ZN7rocprim17ROCPRIM_400000_NS6detail17trampoline_kernelINS0_14default_configENS1_38merge_sort_block_merge_config_selectorImNS0_10empty_typeEEEZZNS1_27merge_sort_block_merge_implIS3_PmPS5_jNS1_19radix_merge_compareILb1ELb0EmNS0_19identity_decomposerEEEEE10hipError_tT0_T1_T2_jT3_P12ihipStream_tbPNSt15iterator_traitsISE_E10value_typeEPNSK_ISF_E10value_typeEPSG_NS1_7vsmem_tEENKUlT_SE_SF_SG_E_clIS8_S8_S9_S9_EESD_ST_SE_SF_SG_EUlST_E0_NS1_11comp_targetILNS1_3genE3ELNS1_11target_archE908ELNS1_3gpuE7ELNS1_3repE0EEENS1_38merge_mergepath_config_static_selectorELNS0_4arch9wavefront6targetE0EEEvSF_
; %bb.0:
	.section	.rodata,"a",@progbits
	.p2align	6, 0x0
	.amdhsa_kernel _ZN7rocprim17ROCPRIM_400000_NS6detail17trampoline_kernelINS0_14default_configENS1_38merge_sort_block_merge_config_selectorImNS0_10empty_typeEEEZZNS1_27merge_sort_block_merge_implIS3_PmPS5_jNS1_19radix_merge_compareILb1ELb0EmNS0_19identity_decomposerEEEEE10hipError_tT0_T1_T2_jT3_P12ihipStream_tbPNSt15iterator_traitsISE_E10value_typeEPNSK_ISF_E10value_typeEPSG_NS1_7vsmem_tEENKUlT_SE_SF_SG_E_clIS8_S8_S9_S9_EESD_ST_SE_SF_SG_EUlST_E0_NS1_11comp_targetILNS1_3genE3ELNS1_11target_archE908ELNS1_3gpuE7ELNS1_3repE0EEENS1_38merge_mergepath_config_static_selectorELNS0_4arch9wavefront6targetE0EEEvSF_
		.amdhsa_group_segment_fixed_size 0
		.amdhsa_private_segment_fixed_size 0
		.amdhsa_kernarg_size 64
		.amdhsa_user_sgpr_count 2
		.amdhsa_user_sgpr_dispatch_ptr 0
		.amdhsa_user_sgpr_queue_ptr 0
		.amdhsa_user_sgpr_kernarg_segment_ptr 1
		.amdhsa_user_sgpr_dispatch_id 0
		.amdhsa_user_sgpr_kernarg_preload_length 0
		.amdhsa_user_sgpr_kernarg_preload_offset 0
		.amdhsa_user_sgpr_private_segment_size 0
		.amdhsa_wavefront_size32 1
		.amdhsa_uses_dynamic_stack 0
		.amdhsa_enable_private_segment 0
		.amdhsa_system_sgpr_workgroup_id_x 1
		.amdhsa_system_sgpr_workgroup_id_y 0
		.amdhsa_system_sgpr_workgroup_id_z 0
		.amdhsa_system_sgpr_workgroup_info 0
		.amdhsa_system_vgpr_workitem_id 0
		.amdhsa_next_free_vgpr 1
		.amdhsa_next_free_sgpr 1
		.amdhsa_named_barrier_count 0
		.amdhsa_reserve_vcc 0
		.amdhsa_float_round_mode_32 0
		.amdhsa_float_round_mode_16_64 0
		.amdhsa_float_denorm_mode_32 3
		.amdhsa_float_denorm_mode_16_64 3
		.amdhsa_fp16_overflow 0
		.amdhsa_memory_ordered 1
		.amdhsa_forward_progress 1
		.amdhsa_inst_pref_size 0
		.amdhsa_round_robin_scheduling 0
		.amdhsa_exception_fp_ieee_invalid_op 0
		.amdhsa_exception_fp_denorm_src 0
		.amdhsa_exception_fp_ieee_div_zero 0
		.amdhsa_exception_fp_ieee_overflow 0
		.amdhsa_exception_fp_ieee_underflow 0
		.amdhsa_exception_fp_ieee_inexact 0
		.amdhsa_exception_int_div_zero 0
	.end_amdhsa_kernel
	.section	.text._ZN7rocprim17ROCPRIM_400000_NS6detail17trampoline_kernelINS0_14default_configENS1_38merge_sort_block_merge_config_selectorImNS0_10empty_typeEEEZZNS1_27merge_sort_block_merge_implIS3_PmPS5_jNS1_19radix_merge_compareILb1ELb0EmNS0_19identity_decomposerEEEEE10hipError_tT0_T1_T2_jT3_P12ihipStream_tbPNSt15iterator_traitsISE_E10value_typeEPNSK_ISF_E10value_typeEPSG_NS1_7vsmem_tEENKUlT_SE_SF_SG_E_clIS8_S8_S9_S9_EESD_ST_SE_SF_SG_EUlST_E0_NS1_11comp_targetILNS1_3genE3ELNS1_11target_archE908ELNS1_3gpuE7ELNS1_3repE0EEENS1_38merge_mergepath_config_static_selectorELNS0_4arch9wavefront6targetE0EEEvSF_,"axG",@progbits,_ZN7rocprim17ROCPRIM_400000_NS6detail17trampoline_kernelINS0_14default_configENS1_38merge_sort_block_merge_config_selectorImNS0_10empty_typeEEEZZNS1_27merge_sort_block_merge_implIS3_PmPS5_jNS1_19radix_merge_compareILb1ELb0EmNS0_19identity_decomposerEEEEE10hipError_tT0_T1_T2_jT3_P12ihipStream_tbPNSt15iterator_traitsISE_E10value_typeEPNSK_ISF_E10value_typeEPSG_NS1_7vsmem_tEENKUlT_SE_SF_SG_E_clIS8_S8_S9_S9_EESD_ST_SE_SF_SG_EUlST_E0_NS1_11comp_targetILNS1_3genE3ELNS1_11target_archE908ELNS1_3gpuE7ELNS1_3repE0EEENS1_38merge_mergepath_config_static_selectorELNS0_4arch9wavefront6targetE0EEEvSF_,comdat
.Lfunc_end2810:
	.size	_ZN7rocprim17ROCPRIM_400000_NS6detail17trampoline_kernelINS0_14default_configENS1_38merge_sort_block_merge_config_selectorImNS0_10empty_typeEEEZZNS1_27merge_sort_block_merge_implIS3_PmPS5_jNS1_19radix_merge_compareILb1ELb0EmNS0_19identity_decomposerEEEEE10hipError_tT0_T1_T2_jT3_P12ihipStream_tbPNSt15iterator_traitsISE_E10value_typeEPNSK_ISF_E10value_typeEPSG_NS1_7vsmem_tEENKUlT_SE_SF_SG_E_clIS8_S8_S9_S9_EESD_ST_SE_SF_SG_EUlST_E0_NS1_11comp_targetILNS1_3genE3ELNS1_11target_archE908ELNS1_3gpuE7ELNS1_3repE0EEENS1_38merge_mergepath_config_static_selectorELNS0_4arch9wavefront6targetE0EEEvSF_, .Lfunc_end2810-_ZN7rocprim17ROCPRIM_400000_NS6detail17trampoline_kernelINS0_14default_configENS1_38merge_sort_block_merge_config_selectorImNS0_10empty_typeEEEZZNS1_27merge_sort_block_merge_implIS3_PmPS5_jNS1_19radix_merge_compareILb1ELb0EmNS0_19identity_decomposerEEEEE10hipError_tT0_T1_T2_jT3_P12ihipStream_tbPNSt15iterator_traitsISE_E10value_typeEPNSK_ISF_E10value_typeEPSG_NS1_7vsmem_tEENKUlT_SE_SF_SG_E_clIS8_S8_S9_S9_EESD_ST_SE_SF_SG_EUlST_E0_NS1_11comp_targetILNS1_3genE3ELNS1_11target_archE908ELNS1_3gpuE7ELNS1_3repE0EEENS1_38merge_mergepath_config_static_selectorELNS0_4arch9wavefront6targetE0EEEvSF_
                                        ; -- End function
	.set _ZN7rocprim17ROCPRIM_400000_NS6detail17trampoline_kernelINS0_14default_configENS1_38merge_sort_block_merge_config_selectorImNS0_10empty_typeEEEZZNS1_27merge_sort_block_merge_implIS3_PmPS5_jNS1_19radix_merge_compareILb1ELb0EmNS0_19identity_decomposerEEEEE10hipError_tT0_T1_T2_jT3_P12ihipStream_tbPNSt15iterator_traitsISE_E10value_typeEPNSK_ISF_E10value_typeEPSG_NS1_7vsmem_tEENKUlT_SE_SF_SG_E_clIS8_S8_S9_S9_EESD_ST_SE_SF_SG_EUlST_E0_NS1_11comp_targetILNS1_3genE3ELNS1_11target_archE908ELNS1_3gpuE7ELNS1_3repE0EEENS1_38merge_mergepath_config_static_selectorELNS0_4arch9wavefront6targetE0EEEvSF_.num_vgpr, 0
	.set _ZN7rocprim17ROCPRIM_400000_NS6detail17trampoline_kernelINS0_14default_configENS1_38merge_sort_block_merge_config_selectorImNS0_10empty_typeEEEZZNS1_27merge_sort_block_merge_implIS3_PmPS5_jNS1_19radix_merge_compareILb1ELb0EmNS0_19identity_decomposerEEEEE10hipError_tT0_T1_T2_jT3_P12ihipStream_tbPNSt15iterator_traitsISE_E10value_typeEPNSK_ISF_E10value_typeEPSG_NS1_7vsmem_tEENKUlT_SE_SF_SG_E_clIS8_S8_S9_S9_EESD_ST_SE_SF_SG_EUlST_E0_NS1_11comp_targetILNS1_3genE3ELNS1_11target_archE908ELNS1_3gpuE7ELNS1_3repE0EEENS1_38merge_mergepath_config_static_selectorELNS0_4arch9wavefront6targetE0EEEvSF_.num_agpr, 0
	.set _ZN7rocprim17ROCPRIM_400000_NS6detail17trampoline_kernelINS0_14default_configENS1_38merge_sort_block_merge_config_selectorImNS0_10empty_typeEEEZZNS1_27merge_sort_block_merge_implIS3_PmPS5_jNS1_19radix_merge_compareILb1ELb0EmNS0_19identity_decomposerEEEEE10hipError_tT0_T1_T2_jT3_P12ihipStream_tbPNSt15iterator_traitsISE_E10value_typeEPNSK_ISF_E10value_typeEPSG_NS1_7vsmem_tEENKUlT_SE_SF_SG_E_clIS8_S8_S9_S9_EESD_ST_SE_SF_SG_EUlST_E0_NS1_11comp_targetILNS1_3genE3ELNS1_11target_archE908ELNS1_3gpuE7ELNS1_3repE0EEENS1_38merge_mergepath_config_static_selectorELNS0_4arch9wavefront6targetE0EEEvSF_.numbered_sgpr, 0
	.set _ZN7rocprim17ROCPRIM_400000_NS6detail17trampoline_kernelINS0_14default_configENS1_38merge_sort_block_merge_config_selectorImNS0_10empty_typeEEEZZNS1_27merge_sort_block_merge_implIS3_PmPS5_jNS1_19radix_merge_compareILb1ELb0EmNS0_19identity_decomposerEEEEE10hipError_tT0_T1_T2_jT3_P12ihipStream_tbPNSt15iterator_traitsISE_E10value_typeEPNSK_ISF_E10value_typeEPSG_NS1_7vsmem_tEENKUlT_SE_SF_SG_E_clIS8_S8_S9_S9_EESD_ST_SE_SF_SG_EUlST_E0_NS1_11comp_targetILNS1_3genE3ELNS1_11target_archE908ELNS1_3gpuE7ELNS1_3repE0EEENS1_38merge_mergepath_config_static_selectorELNS0_4arch9wavefront6targetE0EEEvSF_.num_named_barrier, 0
	.set _ZN7rocprim17ROCPRIM_400000_NS6detail17trampoline_kernelINS0_14default_configENS1_38merge_sort_block_merge_config_selectorImNS0_10empty_typeEEEZZNS1_27merge_sort_block_merge_implIS3_PmPS5_jNS1_19radix_merge_compareILb1ELb0EmNS0_19identity_decomposerEEEEE10hipError_tT0_T1_T2_jT3_P12ihipStream_tbPNSt15iterator_traitsISE_E10value_typeEPNSK_ISF_E10value_typeEPSG_NS1_7vsmem_tEENKUlT_SE_SF_SG_E_clIS8_S8_S9_S9_EESD_ST_SE_SF_SG_EUlST_E0_NS1_11comp_targetILNS1_3genE3ELNS1_11target_archE908ELNS1_3gpuE7ELNS1_3repE0EEENS1_38merge_mergepath_config_static_selectorELNS0_4arch9wavefront6targetE0EEEvSF_.private_seg_size, 0
	.set _ZN7rocprim17ROCPRIM_400000_NS6detail17trampoline_kernelINS0_14default_configENS1_38merge_sort_block_merge_config_selectorImNS0_10empty_typeEEEZZNS1_27merge_sort_block_merge_implIS3_PmPS5_jNS1_19radix_merge_compareILb1ELb0EmNS0_19identity_decomposerEEEEE10hipError_tT0_T1_T2_jT3_P12ihipStream_tbPNSt15iterator_traitsISE_E10value_typeEPNSK_ISF_E10value_typeEPSG_NS1_7vsmem_tEENKUlT_SE_SF_SG_E_clIS8_S8_S9_S9_EESD_ST_SE_SF_SG_EUlST_E0_NS1_11comp_targetILNS1_3genE3ELNS1_11target_archE908ELNS1_3gpuE7ELNS1_3repE0EEENS1_38merge_mergepath_config_static_selectorELNS0_4arch9wavefront6targetE0EEEvSF_.uses_vcc, 0
	.set _ZN7rocprim17ROCPRIM_400000_NS6detail17trampoline_kernelINS0_14default_configENS1_38merge_sort_block_merge_config_selectorImNS0_10empty_typeEEEZZNS1_27merge_sort_block_merge_implIS3_PmPS5_jNS1_19radix_merge_compareILb1ELb0EmNS0_19identity_decomposerEEEEE10hipError_tT0_T1_T2_jT3_P12ihipStream_tbPNSt15iterator_traitsISE_E10value_typeEPNSK_ISF_E10value_typeEPSG_NS1_7vsmem_tEENKUlT_SE_SF_SG_E_clIS8_S8_S9_S9_EESD_ST_SE_SF_SG_EUlST_E0_NS1_11comp_targetILNS1_3genE3ELNS1_11target_archE908ELNS1_3gpuE7ELNS1_3repE0EEENS1_38merge_mergepath_config_static_selectorELNS0_4arch9wavefront6targetE0EEEvSF_.uses_flat_scratch, 0
	.set _ZN7rocprim17ROCPRIM_400000_NS6detail17trampoline_kernelINS0_14default_configENS1_38merge_sort_block_merge_config_selectorImNS0_10empty_typeEEEZZNS1_27merge_sort_block_merge_implIS3_PmPS5_jNS1_19radix_merge_compareILb1ELb0EmNS0_19identity_decomposerEEEEE10hipError_tT0_T1_T2_jT3_P12ihipStream_tbPNSt15iterator_traitsISE_E10value_typeEPNSK_ISF_E10value_typeEPSG_NS1_7vsmem_tEENKUlT_SE_SF_SG_E_clIS8_S8_S9_S9_EESD_ST_SE_SF_SG_EUlST_E0_NS1_11comp_targetILNS1_3genE3ELNS1_11target_archE908ELNS1_3gpuE7ELNS1_3repE0EEENS1_38merge_mergepath_config_static_selectorELNS0_4arch9wavefront6targetE0EEEvSF_.has_dyn_sized_stack, 0
	.set _ZN7rocprim17ROCPRIM_400000_NS6detail17trampoline_kernelINS0_14default_configENS1_38merge_sort_block_merge_config_selectorImNS0_10empty_typeEEEZZNS1_27merge_sort_block_merge_implIS3_PmPS5_jNS1_19radix_merge_compareILb1ELb0EmNS0_19identity_decomposerEEEEE10hipError_tT0_T1_T2_jT3_P12ihipStream_tbPNSt15iterator_traitsISE_E10value_typeEPNSK_ISF_E10value_typeEPSG_NS1_7vsmem_tEENKUlT_SE_SF_SG_E_clIS8_S8_S9_S9_EESD_ST_SE_SF_SG_EUlST_E0_NS1_11comp_targetILNS1_3genE3ELNS1_11target_archE908ELNS1_3gpuE7ELNS1_3repE0EEENS1_38merge_mergepath_config_static_selectorELNS0_4arch9wavefront6targetE0EEEvSF_.has_recursion, 0
	.set _ZN7rocprim17ROCPRIM_400000_NS6detail17trampoline_kernelINS0_14default_configENS1_38merge_sort_block_merge_config_selectorImNS0_10empty_typeEEEZZNS1_27merge_sort_block_merge_implIS3_PmPS5_jNS1_19radix_merge_compareILb1ELb0EmNS0_19identity_decomposerEEEEE10hipError_tT0_T1_T2_jT3_P12ihipStream_tbPNSt15iterator_traitsISE_E10value_typeEPNSK_ISF_E10value_typeEPSG_NS1_7vsmem_tEENKUlT_SE_SF_SG_E_clIS8_S8_S9_S9_EESD_ST_SE_SF_SG_EUlST_E0_NS1_11comp_targetILNS1_3genE3ELNS1_11target_archE908ELNS1_3gpuE7ELNS1_3repE0EEENS1_38merge_mergepath_config_static_selectorELNS0_4arch9wavefront6targetE0EEEvSF_.has_indirect_call, 0
	.section	.AMDGPU.csdata,"",@progbits
; Kernel info:
; codeLenInByte = 0
; TotalNumSgprs: 0
; NumVgprs: 0
; ScratchSize: 0
; MemoryBound: 0
; FloatMode: 240
; IeeeMode: 1
; LDSByteSize: 0 bytes/workgroup (compile time only)
; SGPRBlocks: 0
; VGPRBlocks: 0
; NumSGPRsForWavesPerEU: 1
; NumVGPRsForWavesPerEU: 1
; NamedBarCnt: 0
; Occupancy: 16
; WaveLimiterHint : 0
; COMPUTE_PGM_RSRC2:SCRATCH_EN: 0
; COMPUTE_PGM_RSRC2:USER_SGPR: 2
; COMPUTE_PGM_RSRC2:TRAP_HANDLER: 0
; COMPUTE_PGM_RSRC2:TGID_X_EN: 1
; COMPUTE_PGM_RSRC2:TGID_Y_EN: 0
; COMPUTE_PGM_RSRC2:TGID_Z_EN: 0
; COMPUTE_PGM_RSRC2:TIDIG_COMP_CNT: 0
	.section	.text._ZN7rocprim17ROCPRIM_400000_NS6detail17trampoline_kernelINS0_14default_configENS1_38merge_sort_block_merge_config_selectorImNS0_10empty_typeEEEZZNS1_27merge_sort_block_merge_implIS3_PmPS5_jNS1_19radix_merge_compareILb1ELb0EmNS0_19identity_decomposerEEEEE10hipError_tT0_T1_T2_jT3_P12ihipStream_tbPNSt15iterator_traitsISE_E10value_typeEPNSK_ISF_E10value_typeEPSG_NS1_7vsmem_tEENKUlT_SE_SF_SG_E_clIS8_S8_S9_S9_EESD_ST_SE_SF_SG_EUlST_E0_NS1_11comp_targetILNS1_3genE2ELNS1_11target_archE906ELNS1_3gpuE6ELNS1_3repE0EEENS1_38merge_mergepath_config_static_selectorELNS0_4arch9wavefront6targetE0EEEvSF_,"axG",@progbits,_ZN7rocprim17ROCPRIM_400000_NS6detail17trampoline_kernelINS0_14default_configENS1_38merge_sort_block_merge_config_selectorImNS0_10empty_typeEEEZZNS1_27merge_sort_block_merge_implIS3_PmPS5_jNS1_19radix_merge_compareILb1ELb0EmNS0_19identity_decomposerEEEEE10hipError_tT0_T1_T2_jT3_P12ihipStream_tbPNSt15iterator_traitsISE_E10value_typeEPNSK_ISF_E10value_typeEPSG_NS1_7vsmem_tEENKUlT_SE_SF_SG_E_clIS8_S8_S9_S9_EESD_ST_SE_SF_SG_EUlST_E0_NS1_11comp_targetILNS1_3genE2ELNS1_11target_archE906ELNS1_3gpuE6ELNS1_3repE0EEENS1_38merge_mergepath_config_static_selectorELNS0_4arch9wavefront6targetE0EEEvSF_,comdat
	.protected	_ZN7rocprim17ROCPRIM_400000_NS6detail17trampoline_kernelINS0_14default_configENS1_38merge_sort_block_merge_config_selectorImNS0_10empty_typeEEEZZNS1_27merge_sort_block_merge_implIS3_PmPS5_jNS1_19radix_merge_compareILb1ELb0EmNS0_19identity_decomposerEEEEE10hipError_tT0_T1_T2_jT3_P12ihipStream_tbPNSt15iterator_traitsISE_E10value_typeEPNSK_ISF_E10value_typeEPSG_NS1_7vsmem_tEENKUlT_SE_SF_SG_E_clIS8_S8_S9_S9_EESD_ST_SE_SF_SG_EUlST_E0_NS1_11comp_targetILNS1_3genE2ELNS1_11target_archE906ELNS1_3gpuE6ELNS1_3repE0EEENS1_38merge_mergepath_config_static_selectorELNS0_4arch9wavefront6targetE0EEEvSF_ ; -- Begin function _ZN7rocprim17ROCPRIM_400000_NS6detail17trampoline_kernelINS0_14default_configENS1_38merge_sort_block_merge_config_selectorImNS0_10empty_typeEEEZZNS1_27merge_sort_block_merge_implIS3_PmPS5_jNS1_19radix_merge_compareILb1ELb0EmNS0_19identity_decomposerEEEEE10hipError_tT0_T1_T2_jT3_P12ihipStream_tbPNSt15iterator_traitsISE_E10value_typeEPNSK_ISF_E10value_typeEPSG_NS1_7vsmem_tEENKUlT_SE_SF_SG_E_clIS8_S8_S9_S9_EESD_ST_SE_SF_SG_EUlST_E0_NS1_11comp_targetILNS1_3genE2ELNS1_11target_archE906ELNS1_3gpuE6ELNS1_3repE0EEENS1_38merge_mergepath_config_static_selectorELNS0_4arch9wavefront6targetE0EEEvSF_
	.globl	_ZN7rocprim17ROCPRIM_400000_NS6detail17trampoline_kernelINS0_14default_configENS1_38merge_sort_block_merge_config_selectorImNS0_10empty_typeEEEZZNS1_27merge_sort_block_merge_implIS3_PmPS5_jNS1_19radix_merge_compareILb1ELb0EmNS0_19identity_decomposerEEEEE10hipError_tT0_T1_T2_jT3_P12ihipStream_tbPNSt15iterator_traitsISE_E10value_typeEPNSK_ISF_E10value_typeEPSG_NS1_7vsmem_tEENKUlT_SE_SF_SG_E_clIS8_S8_S9_S9_EESD_ST_SE_SF_SG_EUlST_E0_NS1_11comp_targetILNS1_3genE2ELNS1_11target_archE906ELNS1_3gpuE6ELNS1_3repE0EEENS1_38merge_mergepath_config_static_selectorELNS0_4arch9wavefront6targetE0EEEvSF_
	.p2align	8
	.type	_ZN7rocprim17ROCPRIM_400000_NS6detail17trampoline_kernelINS0_14default_configENS1_38merge_sort_block_merge_config_selectorImNS0_10empty_typeEEEZZNS1_27merge_sort_block_merge_implIS3_PmPS5_jNS1_19radix_merge_compareILb1ELb0EmNS0_19identity_decomposerEEEEE10hipError_tT0_T1_T2_jT3_P12ihipStream_tbPNSt15iterator_traitsISE_E10value_typeEPNSK_ISF_E10value_typeEPSG_NS1_7vsmem_tEENKUlT_SE_SF_SG_E_clIS8_S8_S9_S9_EESD_ST_SE_SF_SG_EUlST_E0_NS1_11comp_targetILNS1_3genE2ELNS1_11target_archE906ELNS1_3gpuE6ELNS1_3repE0EEENS1_38merge_mergepath_config_static_selectorELNS0_4arch9wavefront6targetE0EEEvSF_,@function
_ZN7rocprim17ROCPRIM_400000_NS6detail17trampoline_kernelINS0_14default_configENS1_38merge_sort_block_merge_config_selectorImNS0_10empty_typeEEEZZNS1_27merge_sort_block_merge_implIS3_PmPS5_jNS1_19radix_merge_compareILb1ELb0EmNS0_19identity_decomposerEEEEE10hipError_tT0_T1_T2_jT3_P12ihipStream_tbPNSt15iterator_traitsISE_E10value_typeEPNSK_ISF_E10value_typeEPSG_NS1_7vsmem_tEENKUlT_SE_SF_SG_E_clIS8_S8_S9_S9_EESD_ST_SE_SF_SG_EUlST_E0_NS1_11comp_targetILNS1_3genE2ELNS1_11target_archE906ELNS1_3gpuE6ELNS1_3repE0EEENS1_38merge_mergepath_config_static_selectorELNS0_4arch9wavefront6targetE0EEEvSF_: ; @_ZN7rocprim17ROCPRIM_400000_NS6detail17trampoline_kernelINS0_14default_configENS1_38merge_sort_block_merge_config_selectorImNS0_10empty_typeEEEZZNS1_27merge_sort_block_merge_implIS3_PmPS5_jNS1_19radix_merge_compareILb1ELb0EmNS0_19identity_decomposerEEEEE10hipError_tT0_T1_T2_jT3_P12ihipStream_tbPNSt15iterator_traitsISE_E10value_typeEPNSK_ISF_E10value_typeEPSG_NS1_7vsmem_tEENKUlT_SE_SF_SG_E_clIS8_S8_S9_S9_EESD_ST_SE_SF_SG_EUlST_E0_NS1_11comp_targetILNS1_3genE2ELNS1_11target_archE906ELNS1_3gpuE6ELNS1_3repE0EEENS1_38merge_mergepath_config_static_selectorELNS0_4arch9wavefront6targetE0EEEvSF_
; %bb.0:
	.section	.rodata,"a",@progbits
	.p2align	6, 0x0
	.amdhsa_kernel _ZN7rocprim17ROCPRIM_400000_NS6detail17trampoline_kernelINS0_14default_configENS1_38merge_sort_block_merge_config_selectorImNS0_10empty_typeEEEZZNS1_27merge_sort_block_merge_implIS3_PmPS5_jNS1_19radix_merge_compareILb1ELb0EmNS0_19identity_decomposerEEEEE10hipError_tT0_T1_T2_jT3_P12ihipStream_tbPNSt15iterator_traitsISE_E10value_typeEPNSK_ISF_E10value_typeEPSG_NS1_7vsmem_tEENKUlT_SE_SF_SG_E_clIS8_S8_S9_S9_EESD_ST_SE_SF_SG_EUlST_E0_NS1_11comp_targetILNS1_3genE2ELNS1_11target_archE906ELNS1_3gpuE6ELNS1_3repE0EEENS1_38merge_mergepath_config_static_selectorELNS0_4arch9wavefront6targetE0EEEvSF_
		.amdhsa_group_segment_fixed_size 0
		.amdhsa_private_segment_fixed_size 0
		.amdhsa_kernarg_size 64
		.amdhsa_user_sgpr_count 2
		.amdhsa_user_sgpr_dispatch_ptr 0
		.amdhsa_user_sgpr_queue_ptr 0
		.amdhsa_user_sgpr_kernarg_segment_ptr 1
		.amdhsa_user_sgpr_dispatch_id 0
		.amdhsa_user_sgpr_kernarg_preload_length 0
		.amdhsa_user_sgpr_kernarg_preload_offset 0
		.amdhsa_user_sgpr_private_segment_size 0
		.amdhsa_wavefront_size32 1
		.amdhsa_uses_dynamic_stack 0
		.amdhsa_enable_private_segment 0
		.amdhsa_system_sgpr_workgroup_id_x 1
		.amdhsa_system_sgpr_workgroup_id_y 0
		.amdhsa_system_sgpr_workgroup_id_z 0
		.amdhsa_system_sgpr_workgroup_info 0
		.amdhsa_system_vgpr_workitem_id 0
		.amdhsa_next_free_vgpr 1
		.amdhsa_next_free_sgpr 1
		.amdhsa_named_barrier_count 0
		.amdhsa_reserve_vcc 0
		.amdhsa_float_round_mode_32 0
		.amdhsa_float_round_mode_16_64 0
		.amdhsa_float_denorm_mode_32 3
		.amdhsa_float_denorm_mode_16_64 3
		.amdhsa_fp16_overflow 0
		.amdhsa_memory_ordered 1
		.amdhsa_forward_progress 1
		.amdhsa_inst_pref_size 0
		.amdhsa_round_robin_scheduling 0
		.amdhsa_exception_fp_ieee_invalid_op 0
		.amdhsa_exception_fp_denorm_src 0
		.amdhsa_exception_fp_ieee_div_zero 0
		.amdhsa_exception_fp_ieee_overflow 0
		.amdhsa_exception_fp_ieee_underflow 0
		.amdhsa_exception_fp_ieee_inexact 0
		.amdhsa_exception_int_div_zero 0
	.end_amdhsa_kernel
	.section	.text._ZN7rocprim17ROCPRIM_400000_NS6detail17trampoline_kernelINS0_14default_configENS1_38merge_sort_block_merge_config_selectorImNS0_10empty_typeEEEZZNS1_27merge_sort_block_merge_implIS3_PmPS5_jNS1_19radix_merge_compareILb1ELb0EmNS0_19identity_decomposerEEEEE10hipError_tT0_T1_T2_jT3_P12ihipStream_tbPNSt15iterator_traitsISE_E10value_typeEPNSK_ISF_E10value_typeEPSG_NS1_7vsmem_tEENKUlT_SE_SF_SG_E_clIS8_S8_S9_S9_EESD_ST_SE_SF_SG_EUlST_E0_NS1_11comp_targetILNS1_3genE2ELNS1_11target_archE906ELNS1_3gpuE6ELNS1_3repE0EEENS1_38merge_mergepath_config_static_selectorELNS0_4arch9wavefront6targetE0EEEvSF_,"axG",@progbits,_ZN7rocprim17ROCPRIM_400000_NS6detail17trampoline_kernelINS0_14default_configENS1_38merge_sort_block_merge_config_selectorImNS0_10empty_typeEEEZZNS1_27merge_sort_block_merge_implIS3_PmPS5_jNS1_19radix_merge_compareILb1ELb0EmNS0_19identity_decomposerEEEEE10hipError_tT0_T1_T2_jT3_P12ihipStream_tbPNSt15iterator_traitsISE_E10value_typeEPNSK_ISF_E10value_typeEPSG_NS1_7vsmem_tEENKUlT_SE_SF_SG_E_clIS8_S8_S9_S9_EESD_ST_SE_SF_SG_EUlST_E0_NS1_11comp_targetILNS1_3genE2ELNS1_11target_archE906ELNS1_3gpuE6ELNS1_3repE0EEENS1_38merge_mergepath_config_static_selectorELNS0_4arch9wavefront6targetE0EEEvSF_,comdat
.Lfunc_end2811:
	.size	_ZN7rocprim17ROCPRIM_400000_NS6detail17trampoline_kernelINS0_14default_configENS1_38merge_sort_block_merge_config_selectorImNS0_10empty_typeEEEZZNS1_27merge_sort_block_merge_implIS3_PmPS5_jNS1_19radix_merge_compareILb1ELb0EmNS0_19identity_decomposerEEEEE10hipError_tT0_T1_T2_jT3_P12ihipStream_tbPNSt15iterator_traitsISE_E10value_typeEPNSK_ISF_E10value_typeEPSG_NS1_7vsmem_tEENKUlT_SE_SF_SG_E_clIS8_S8_S9_S9_EESD_ST_SE_SF_SG_EUlST_E0_NS1_11comp_targetILNS1_3genE2ELNS1_11target_archE906ELNS1_3gpuE6ELNS1_3repE0EEENS1_38merge_mergepath_config_static_selectorELNS0_4arch9wavefront6targetE0EEEvSF_, .Lfunc_end2811-_ZN7rocprim17ROCPRIM_400000_NS6detail17trampoline_kernelINS0_14default_configENS1_38merge_sort_block_merge_config_selectorImNS0_10empty_typeEEEZZNS1_27merge_sort_block_merge_implIS3_PmPS5_jNS1_19radix_merge_compareILb1ELb0EmNS0_19identity_decomposerEEEEE10hipError_tT0_T1_T2_jT3_P12ihipStream_tbPNSt15iterator_traitsISE_E10value_typeEPNSK_ISF_E10value_typeEPSG_NS1_7vsmem_tEENKUlT_SE_SF_SG_E_clIS8_S8_S9_S9_EESD_ST_SE_SF_SG_EUlST_E0_NS1_11comp_targetILNS1_3genE2ELNS1_11target_archE906ELNS1_3gpuE6ELNS1_3repE0EEENS1_38merge_mergepath_config_static_selectorELNS0_4arch9wavefront6targetE0EEEvSF_
                                        ; -- End function
	.set _ZN7rocprim17ROCPRIM_400000_NS6detail17trampoline_kernelINS0_14default_configENS1_38merge_sort_block_merge_config_selectorImNS0_10empty_typeEEEZZNS1_27merge_sort_block_merge_implIS3_PmPS5_jNS1_19radix_merge_compareILb1ELb0EmNS0_19identity_decomposerEEEEE10hipError_tT0_T1_T2_jT3_P12ihipStream_tbPNSt15iterator_traitsISE_E10value_typeEPNSK_ISF_E10value_typeEPSG_NS1_7vsmem_tEENKUlT_SE_SF_SG_E_clIS8_S8_S9_S9_EESD_ST_SE_SF_SG_EUlST_E0_NS1_11comp_targetILNS1_3genE2ELNS1_11target_archE906ELNS1_3gpuE6ELNS1_3repE0EEENS1_38merge_mergepath_config_static_selectorELNS0_4arch9wavefront6targetE0EEEvSF_.num_vgpr, 0
	.set _ZN7rocprim17ROCPRIM_400000_NS6detail17trampoline_kernelINS0_14default_configENS1_38merge_sort_block_merge_config_selectorImNS0_10empty_typeEEEZZNS1_27merge_sort_block_merge_implIS3_PmPS5_jNS1_19radix_merge_compareILb1ELb0EmNS0_19identity_decomposerEEEEE10hipError_tT0_T1_T2_jT3_P12ihipStream_tbPNSt15iterator_traitsISE_E10value_typeEPNSK_ISF_E10value_typeEPSG_NS1_7vsmem_tEENKUlT_SE_SF_SG_E_clIS8_S8_S9_S9_EESD_ST_SE_SF_SG_EUlST_E0_NS1_11comp_targetILNS1_3genE2ELNS1_11target_archE906ELNS1_3gpuE6ELNS1_3repE0EEENS1_38merge_mergepath_config_static_selectorELNS0_4arch9wavefront6targetE0EEEvSF_.num_agpr, 0
	.set _ZN7rocprim17ROCPRIM_400000_NS6detail17trampoline_kernelINS0_14default_configENS1_38merge_sort_block_merge_config_selectorImNS0_10empty_typeEEEZZNS1_27merge_sort_block_merge_implIS3_PmPS5_jNS1_19radix_merge_compareILb1ELb0EmNS0_19identity_decomposerEEEEE10hipError_tT0_T1_T2_jT3_P12ihipStream_tbPNSt15iterator_traitsISE_E10value_typeEPNSK_ISF_E10value_typeEPSG_NS1_7vsmem_tEENKUlT_SE_SF_SG_E_clIS8_S8_S9_S9_EESD_ST_SE_SF_SG_EUlST_E0_NS1_11comp_targetILNS1_3genE2ELNS1_11target_archE906ELNS1_3gpuE6ELNS1_3repE0EEENS1_38merge_mergepath_config_static_selectorELNS0_4arch9wavefront6targetE0EEEvSF_.numbered_sgpr, 0
	.set _ZN7rocprim17ROCPRIM_400000_NS6detail17trampoline_kernelINS0_14default_configENS1_38merge_sort_block_merge_config_selectorImNS0_10empty_typeEEEZZNS1_27merge_sort_block_merge_implIS3_PmPS5_jNS1_19radix_merge_compareILb1ELb0EmNS0_19identity_decomposerEEEEE10hipError_tT0_T1_T2_jT3_P12ihipStream_tbPNSt15iterator_traitsISE_E10value_typeEPNSK_ISF_E10value_typeEPSG_NS1_7vsmem_tEENKUlT_SE_SF_SG_E_clIS8_S8_S9_S9_EESD_ST_SE_SF_SG_EUlST_E0_NS1_11comp_targetILNS1_3genE2ELNS1_11target_archE906ELNS1_3gpuE6ELNS1_3repE0EEENS1_38merge_mergepath_config_static_selectorELNS0_4arch9wavefront6targetE0EEEvSF_.num_named_barrier, 0
	.set _ZN7rocprim17ROCPRIM_400000_NS6detail17trampoline_kernelINS0_14default_configENS1_38merge_sort_block_merge_config_selectorImNS0_10empty_typeEEEZZNS1_27merge_sort_block_merge_implIS3_PmPS5_jNS1_19radix_merge_compareILb1ELb0EmNS0_19identity_decomposerEEEEE10hipError_tT0_T1_T2_jT3_P12ihipStream_tbPNSt15iterator_traitsISE_E10value_typeEPNSK_ISF_E10value_typeEPSG_NS1_7vsmem_tEENKUlT_SE_SF_SG_E_clIS8_S8_S9_S9_EESD_ST_SE_SF_SG_EUlST_E0_NS1_11comp_targetILNS1_3genE2ELNS1_11target_archE906ELNS1_3gpuE6ELNS1_3repE0EEENS1_38merge_mergepath_config_static_selectorELNS0_4arch9wavefront6targetE0EEEvSF_.private_seg_size, 0
	.set _ZN7rocprim17ROCPRIM_400000_NS6detail17trampoline_kernelINS0_14default_configENS1_38merge_sort_block_merge_config_selectorImNS0_10empty_typeEEEZZNS1_27merge_sort_block_merge_implIS3_PmPS5_jNS1_19radix_merge_compareILb1ELb0EmNS0_19identity_decomposerEEEEE10hipError_tT0_T1_T2_jT3_P12ihipStream_tbPNSt15iterator_traitsISE_E10value_typeEPNSK_ISF_E10value_typeEPSG_NS1_7vsmem_tEENKUlT_SE_SF_SG_E_clIS8_S8_S9_S9_EESD_ST_SE_SF_SG_EUlST_E0_NS1_11comp_targetILNS1_3genE2ELNS1_11target_archE906ELNS1_3gpuE6ELNS1_3repE0EEENS1_38merge_mergepath_config_static_selectorELNS0_4arch9wavefront6targetE0EEEvSF_.uses_vcc, 0
	.set _ZN7rocprim17ROCPRIM_400000_NS6detail17trampoline_kernelINS0_14default_configENS1_38merge_sort_block_merge_config_selectorImNS0_10empty_typeEEEZZNS1_27merge_sort_block_merge_implIS3_PmPS5_jNS1_19radix_merge_compareILb1ELb0EmNS0_19identity_decomposerEEEEE10hipError_tT0_T1_T2_jT3_P12ihipStream_tbPNSt15iterator_traitsISE_E10value_typeEPNSK_ISF_E10value_typeEPSG_NS1_7vsmem_tEENKUlT_SE_SF_SG_E_clIS8_S8_S9_S9_EESD_ST_SE_SF_SG_EUlST_E0_NS1_11comp_targetILNS1_3genE2ELNS1_11target_archE906ELNS1_3gpuE6ELNS1_3repE0EEENS1_38merge_mergepath_config_static_selectorELNS0_4arch9wavefront6targetE0EEEvSF_.uses_flat_scratch, 0
	.set _ZN7rocprim17ROCPRIM_400000_NS6detail17trampoline_kernelINS0_14default_configENS1_38merge_sort_block_merge_config_selectorImNS0_10empty_typeEEEZZNS1_27merge_sort_block_merge_implIS3_PmPS5_jNS1_19radix_merge_compareILb1ELb0EmNS0_19identity_decomposerEEEEE10hipError_tT0_T1_T2_jT3_P12ihipStream_tbPNSt15iterator_traitsISE_E10value_typeEPNSK_ISF_E10value_typeEPSG_NS1_7vsmem_tEENKUlT_SE_SF_SG_E_clIS8_S8_S9_S9_EESD_ST_SE_SF_SG_EUlST_E0_NS1_11comp_targetILNS1_3genE2ELNS1_11target_archE906ELNS1_3gpuE6ELNS1_3repE0EEENS1_38merge_mergepath_config_static_selectorELNS0_4arch9wavefront6targetE0EEEvSF_.has_dyn_sized_stack, 0
	.set _ZN7rocprim17ROCPRIM_400000_NS6detail17trampoline_kernelINS0_14default_configENS1_38merge_sort_block_merge_config_selectorImNS0_10empty_typeEEEZZNS1_27merge_sort_block_merge_implIS3_PmPS5_jNS1_19radix_merge_compareILb1ELb0EmNS0_19identity_decomposerEEEEE10hipError_tT0_T1_T2_jT3_P12ihipStream_tbPNSt15iterator_traitsISE_E10value_typeEPNSK_ISF_E10value_typeEPSG_NS1_7vsmem_tEENKUlT_SE_SF_SG_E_clIS8_S8_S9_S9_EESD_ST_SE_SF_SG_EUlST_E0_NS1_11comp_targetILNS1_3genE2ELNS1_11target_archE906ELNS1_3gpuE6ELNS1_3repE0EEENS1_38merge_mergepath_config_static_selectorELNS0_4arch9wavefront6targetE0EEEvSF_.has_recursion, 0
	.set _ZN7rocprim17ROCPRIM_400000_NS6detail17trampoline_kernelINS0_14default_configENS1_38merge_sort_block_merge_config_selectorImNS0_10empty_typeEEEZZNS1_27merge_sort_block_merge_implIS3_PmPS5_jNS1_19radix_merge_compareILb1ELb0EmNS0_19identity_decomposerEEEEE10hipError_tT0_T1_T2_jT3_P12ihipStream_tbPNSt15iterator_traitsISE_E10value_typeEPNSK_ISF_E10value_typeEPSG_NS1_7vsmem_tEENKUlT_SE_SF_SG_E_clIS8_S8_S9_S9_EESD_ST_SE_SF_SG_EUlST_E0_NS1_11comp_targetILNS1_3genE2ELNS1_11target_archE906ELNS1_3gpuE6ELNS1_3repE0EEENS1_38merge_mergepath_config_static_selectorELNS0_4arch9wavefront6targetE0EEEvSF_.has_indirect_call, 0
	.section	.AMDGPU.csdata,"",@progbits
; Kernel info:
; codeLenInByte = 0
; TotalNumSgprs: 0
; NumVgprs: 0
; ScratchSize: 0
; MemoryBound: 0
; FloatMode: 240
; IeeeMode: 1
; LDSByteSize: 0 bytes/workgroup (compile time only)
; SGPRBlocks: 0
; VGPRBlocks: 0
; NumSGPRsForWavesPerEU: 1
; NumVGPRsForWavesPerEU: 1
; NamedBarCnt: 0
; Occupancy: 16
; WaveLimiterHint : 0
; COMPUTE_PGM_RSRC2:SCRATCH_EN: 0
; COMPUTE_PGM_RSRC2:USER_SGPR: 2
; COMPUTE_PGM_RSRC2:TRAP_HANDLER: 0
; COMPUTE_PGM_RSRC2:TGID_X_EN: 1
; COMPUTE_PGM_RSRC2:TGID_Y_EN: 0
; COMPUTE_PGM_RSRC2:TGID_Z_EN: 0
; COMPUTE_PGM_RSRC2:TIDIG_COMP_CNT: 0
	.section	.text._ZN7rocprim17ROCPRIM_400000_NS6detail17trampoline_kernelINS0_14default_configENS1_38merge_sort_block_merge_config_selectorImNS0_10empty_typeEEEZZNS1_27merge_sort_block_merge_implIS3_PmPS5_jNS1_19radix_merge_compareILb1ELb0EmNS0_19identity_decomposerEEEEE10hipError_tT0_T1_T2_jT3_P12ihipStream_tbPNSt15iterator_traitsISE_E10value_typeEPNSK_ISF_E10value_typeEPSG_NS1_7vsmem_tEENKUlT_SE_SF_SG_E_clIS8_S8_S9_S9_EESD_ST_SE_SF_SG_EUlST_E0_NS1_11comp_targetILNS1_3genE9ELNS1_11target_archE1100ELNS1_3gpuE3ELNS1_3repE0EEENS1_38merge_mergepath_config_static_selectorELNS0_4arch9wavefront6targetE0EEEvSF_,"axG",@progbits,_ZN7rocprim17ROCPRIM_400000_NS6detail17trampoline_kernelINS0_14default_configENS1_38merge_sort_block_merge_config_selectorImNS0_10empty_typeEEEZZNS1_27merge_sort_block_merge_implIS3_PmPS5_jNS1_19radix_merge_compareILb1ELb0EmNS0_19identity_decomposerEEEEE10hipError_tT0_T1_T2_jT3_P12ihipStream_tbPNSt15iterator_traitsISE_E10value_typeEPNSK_ISF_E10value_typeEPSG_NS1_7vsmem_tEENKUlT_SE_SF_SG_E_clIS8_S8_S9_S9_EESD_ST_SE_SF_SG_EUlST_E0_NS1_11comp_targetILNS1_3genE9ELNS1_11target_archE1100ELNS1_3gpuE3ELNS1_3repE0EEENS1_38merge_mergepath_config_static_selectorELNS0_4arch9wavefront6targetE0EEEvSF_,comdat
	.protected	_ZN7rocprim17ROCPRIM_400000_NS6detail17trampoline_kernelINS0_14default_configENS1_38merge_sort_block_merge_config_selectorImNS0_10empty_typeEEEZZNS1_27merge_sort_block_merge_implIS3_PmPS5_jNS1_19radix_merge_compareILb1ELb0EmNS0_19identity_decomposerEEEEE10hipError_tT0_T1_T2_jT3_P12ihipStream_tbPNSt15iterator_traitsISE_E10value_typeEPNSK_ISF_E10value_typeEPSG_NS1_7vsmem_tEENKUlT_SE_SF_SG_E_clIS8_S8_S9_S9_EESD_ST_SE_SF_SG_EUlST_E0_NS1_11comp_targetILNS1_3genE9ELNS1_11target_archE1100ELNS1_3gpuE3ELNS1_3repE0EEENS1_38merge_mergepath_config_static_selectorELNS0_4arch9wavefront6targetE0EEEvSF_ ; -- Begin function _ZN7rocprim17ROCPRIM_400000_NS6detail17trampoline_kernelINS0_14default_configENS1_38merge_sort_block_merge_config_selectorImNS0_10empty_typeEEEZZNS1_27merge_sort_block_merge_implIS3_PmPS5_jNS1_19radix_merge_compareILb1ELb0EmNS0_19identity_decomposerEEEEE10hipError_tT0_T1_T2_jT3_P12ihipStream_tbPNSt15iterator_traitsISE_E10value_typeEPNSK_ISF_E10value_typeEPSG_NS1_7vsmem_tEENKUlT_SE_SF_SG_E_clIS8_S8_S9_S9_EESD_ST_SE_SF_SG_EUlST_E0_NS1_11comp_targetILNS1_3genE9ELNS1_11target_archE1100ELNS1_3gpuE3ELNS1_3repE0EEENS1_38merge_mergepath_config_static_selectorELNS0_4arch9wavefront6targetE0EEEvSF_
	.globl	_ZN7rocprim17ROCPRIM_400000_NS6detail17trampoline_kernelINS0_14default_configENS1_38merge_sort_block_merge_config_selectorImNS0_10empty_typeEEEZZNS1_27merge_sort_block_merge_implIS3_PmPS5_jNS1_19radix_merge_compareILb1ELb0EmNS0_19identity_decomposerEEEEE10hipError_tT0_T1_T2_jT3_P12ihipStream_tbPNSt15iterator_traitsISE_E10value_typeEPNSK_ISF_E10value_typeEPSG_NS1_7vsmem_tEENKUlT_SE_SF_SG_E_clIS8_S8_S9_S9_EESD_ST_SE_SF_SG_EUlST_E0_NS1_11comp_targetILNS1_3genE9ELNS1_11target_archE1100ELNS1_3gpuE3ELNS1_3repE0EEENS1_38merge_mergepath_config_static_selectorELNS0_4arch9wavefront6targetE0EEEvSF_
	.p2align	8
	.type	_ZN7rocprim17ROCPRIM_400000_NS6detail17trampoline_kernelINS0_14default_configENS1_38merge_sort_block_merge_config_selectorImNS0_10empty_typeEEEZZNS1_27merge_sort_block_merge_implIS3_PmPS5_jNS1_19radix_merge_compareILb1ELb0EmNS0_19identity_decomposerEEEEE10hipError_tT0_T1_T2_jT3_P12ihipStream_tbPNSt15iterator_traitsISE_E10value_typeEPNSK_ISF_E10value_typeEPSG_NS1_7vsmem_tEENKUlT_SE_SF_SG_E_clIS8_S8_S9_S9_EESD_ST_SE_SF_SG_EUlST_E0_NS1_11comp_targetILNS1_3genE9ELNS1_11target_archE1100ELNS1_3gpuE3ELNS1_3repE0EEENS1_38merge_mergepath_config_static_selectorELNS0_4arch9wavefront6targetE0EEEvSF_,@function
_ZN7rocprim17ROCPRIM_400000_NS6detail17trampoline_kernelINS0_14default_configENS1_38merge_sort_block_merge_config_selectorImNS0_10empty_typeEEEZZNS1_27merge_sort_block_merge_implIS3_PmPS5_jNS1_19radix_merge_compareILb1ELb0EmNS0_19identity_decomposerEEEEE10hipError_tT0_T1_T2_jT3_P12ihipStream_tbPNSt15iterator_traitsISE_E10value_typeEPNSK_ISF_E10value_typeEPSG_NS1_7vsmem_tEENKUlT_SE_SF_SG_E_clIS8_S8_S9_S9_EESD_ST_SE_SF_SG_EUlST_E0_NS1_11comp_targetILNS1_3genE9ELNS1_11target_archE1100ELNS1_3gpuE3ELNS1_3repE0EEENS1_38merge_mergepath_config_static_selectorELNS0_4arch9wavefront6targetE0EEEvSF_: ; @_ZN7rocprim17ROCPRIM_400000_NS6detail17trampoline_kernelINS0_14default_configENS1_38merge_sort_block_merge_config_selectorImNS0_10empty_typeEEEZZNS1_27merge_sort_block_merge_implIS3_PmPS5_jNS1_19radix_merge_compareILb1ELb0EmNS0_19identity_decomposerEEEEE10hipError_tT0_T1_T2_jT3_P12ihipStream_tbPNSt15iterator_traitsISE_E10value_typeEPNSK_ISF_E10value_typeEPSG_NS1_7vsmem_tEENKUlT_SE_SF_SG_E_clIS8_S8_S9_S9_EESD_ST_SE_SF_SG_EUlST_E0_NS1_11comp_targetILNS1_3genE9ELNS1_11target_archE1100ELNS1_3gpuE3ELNS1_3repE0EEENS1_38merge_mergepath_config_static_selectorELNS0_4arch9wavefront6targetE0EEEvSF_
; %bb.0:
	.section	.rodata,"a",@progbits
	.p2align	6, 0x0
	.amdhsa_kernel _ZN7rocprim17ROCPRIM_400000_NS6detail17trampoline_kernelINS0_14default_configENS1_38merge_sort_block_merge_config_selectorImNS0_10empty_typeEEEZZNS1_27merge_sort_block_merge_implIS3_PmPS5_jNS1_19radix_merge_compareILb1ELb0EmNS0_19identity_decomposerEEEEE10hipError_tT0_T1_T2_jT3_P12ihipStream_tbPNSt15iterator_traitsISE_E10value_typeEPNSK_ISF_E10value_typeEPSG_NS1_7vsmem_tEENKUlT_SE_SF_SG_E_clIS8_S8_S9_S9_EESD_ST_SE_SF_SG_EUlST_E0_NS1_11comp_targetILNS1_3genE9ELNS1_11target_archE1100ELNS1_3gpuE3ELNS1_3repE0EEENS1_38merge_mergepath_config_static_selectorELNS0_4arch9wavefront6targetE0EEEvSF_
		.amdhsa_group_segment_fixed_size 0
		.amdhsa_private_segment_fixed_size 0
		.amdhsa_kernarg_size 64
		.amdhsa_user_sgpr_count 2
		.amdhsa_user_sgpr_dispatch_ptr 0
		.amdhsa_user_sgpr_queue_ptr 0
		.amdhsa_user_sgpr_kernarg_segment_ptr 1
		.amdhsa_user_sgpr_dispatch_id 0
		.amdhsa_user_sgpr_kernarg_preload_length 0
		.amdhsa_user_sgpr_kernarg_preload_offset 0
		.amdhsa_user_sgpr_private_segment_size 0
		.amdhsa_wavefront_size32 1
		.amdhsa_uses_dynamic_stack 0
		.amdhsa_enable_private_segment 0
		.amdhsa_system_sgpr_workgroup_id_x 1
		.amdhsa_system_sgpr_workgroup_id_y 0
		.amdhsa_system_sgpr_workgroup_id_z 0
		.amdhsa_system_sgpr_workgroup_info 0
		.amdhsa_system_vgpr_workitem_id 0
		.amdhsa_next_free_vgpr 1
		.amdhsa_next_free_sgpr 1
		.amdhsa_named_barrier_count 0
		.amdhsa_reserve_vcc 0
		.amdhsa_float_round_mode_32 0
		.amdhsa_float_round_mode_16_64 0
		.amdhsa_float_denorm_mode_32 3
		.amdhsa_float_denorm_mode_16_64 3
		.amdhsa_fp16_overflow 0
		.amdhsa_memory_ordered 1
		.amdhsa_forward_progress 1
		.amdhsa_inst_pref_size 0
		.amdhsa_round_robin_scheduling 0
		.amdhsa_exception_fp_ieee_invalid_op 0
		.amdhsa_exception_fp_denorm_src 0
		.amdhsa_exception_fp_ieee_div_zero 0
		.amdhsa_exception_fp_ieee_overflow 0
		.amdhsa_exception_fp_ieee_underflow 0
		.amdhsa_exception_fp_ieee_inexact 0
		.amdhsa_exception_int_div_zero 0
	.end_amdhsa_kernel
	.section	.text._ZN7rocprim17ROCPRIM_400000_NS6detail17trampoline_kernelINS0_14default_configENS1_38merge_sort_block_merge_config_selectorImNS0_10empty_typeEEEZZNS1_27merge_sort_block_merge_implIS3_PmPS5_jNS1_19radix_merge_compareILb1ELb0EmNS0_19identity_decomposerEEEEE10hipError_tT0_T1_T2_jT3_P12ihipStream_tbPNSt15iterator_traitsISE_E10value_typeEPNSK_ISF_E10value_typeEPSG_NS1_7vsmem_tEENKUlT_SE_SF_SG_E_clIS8_S8_S9_S9_EESD_ST_SE_SF_SG_EUlST_E0_NS1_11comp_targetILNS1_3genE9ELNS1_11target_archE1100ELNS1_3gpuE3ELNS1_3repE0EEENS1_38merge_mergepath_config_static_selectorELNS0_4arch9wavefront6targetE0EEEvSF_,"axG",@progbits,_ZN7rocprim17ROCPRIM_400000_NS6detail17trampoline_kernelINS0_14default_configENS1_38merge_sort_block_merge_config_selectorImNS0_10empty_typeEEEZZNS1_27merge_sort_block_merge_implIS3_PmPS5_jNS1_19radix_merge_compareILb1ELb0EmNS0_19identity_decomposerEEEEE10hipError_tT0_T1_T2_jT3_P12ihipStream_tbPNSt15iterator_traitsISE_E10value_typeEPNSK_ISF_E10value_typeEPSG_NS1_7vsmem_tEENKUlT_SE_SF_SG_E_clIS8_S8_S9_S9_EESD_ST_SE_SF_SG_EUlST_E0_NS1_11comp_targetILNS1_3genE9ELNS1_11target_archE1100ELNS1_3gpuE3ELNS1_3repE0EEENS1_38merge_mergepath_config_static_selectorELNS0_4arch9wavefront6targetE0EEEvSF_,comdat
.Lfunc_end2812:
	.size	_ZN7rocprim17ROCPRIM_400000_NS6detail17trampoline_kernelINS0_14default_configENS1_38merge_sort_block_merge_config_selectorImNS0_10empty_typeEEEZZNS1_27merge_sort_block_merge_implIS3_PmPS5_jNS1_19radix_merge_compareILb1ELb0EmNS0_19identity_decomposerEEEEE10hipError_tT0_T1_T2_jT3_P12ihipStream_tbPNSt15iterator_traitsISE_E10value_typeEPNSK_ISF_E10value_typeEPSG_NS1_7vsmem_tEENKUlT_SE_SF_SG_E_clIS8_S8_S9_S9_EESD_ST_SE_SF_SG_EUlST_E0_NS1_11comp_targetILNS1_3genE9ELNS1_11target_archE1100ELNS1_3gpuE3ELNS1_3repE0EEENS1_38merge_mergepath_config_static_selectorELNS0_4arch9wavefront6targetE0EEEvSF_, .Lfunc_end2812-_ZN7rocprim17ROCPRIM_400000_NS6detail17trampoline_kernelINS0_14default_configENS1_38merge_sort_block_merge_config_selectorImNS0_10empty_typeEEEZZNS1_27merge_sort_block_merge_implIS3_PmPS5_jNS1_19radix_merge_compareILb1ELb0EmNS0_19identity_decomposerEEEEE10hipError_tT0_T1_T2_jT3_P12ihipStream_tbPNSt15iterator_traitsISE_E10value_typeEPNSK_ISF_E10value_typeEPSG_NS1_7vsmem_tEENKUlT_SE_SF_SG_E_clIS8_S8_S9_S9_EESD_ST_SE_SF_SG_EUlST_E0_NS1_11comp_targetILNS1_3genE9ELNS1_11target_archE1100ELNS1_3gpuE3ELNS1_3repE0EEENS1_38merge_mergepath_config_static_selectorELNS0_4arch9wavefront6targetE0EEEvSF_
                                        ; -- End function
	.set _ZN7rocprim17ROCPRIM_400000_NS6detail17trampoline_kernelINS0_14default_configENS1_38merge_sort_block_merge_config_selectorImNS0_10empty_typeEEEZZNS1_27merge_sort_block_merge_implIS3_PmPS5_jNS1_19radix_merge_compareILb1ELb0EmNS0_19identity_decomposerEEEEE10hipError_tT0_T1_T2_jT3_P12ihipStream_tbPNSt15iterator_traitsISE_E10value_typeEPNSK_ISF_E10value_typeEPSG_NS1_7vsmem_tEENKUlT_SE_SF_SG_E_clIS8_S8_S9_S9_EESD_ST_SE_SF_SG_EUlST_E0_NS1_11comp_targetILNS1_3genE9ELNS1_11target_archE1100ELNS1_3gpuE3ELNS1_3repE0EEENS1_38merge_mergepath_config_static_selectorELNS0_4arch9wavefront6targetE0EEEvSF_.num_vgpr, 0
	.set _ZN7rocprim17ROCPRIM_400000_NS6detail17trampoline_kernelINS0_14default_configENS1_38merge_sort_block_merge_config_selectorImNS0_10empty_typeEEEZZNS1_27merge_sort_block_merge_implIS3_PmPS5_jNS1_19radix_merge_compareILb1ELb0EmNS0_19identity_decomposerEEEEE10hipError_tT0_T1_T2_jT3_P12ihipStream_tbPNSt15iterator_traitsISE_E10value_typeEPNSK_ISF_E10value_typeEPSG_NS1_7vsmem_tEENKUlT_SE_SF_SG_E_clIS8_S8_S9_S9_EESD_ST_SE_SF_SG_EUlST_E0_NS1_11comp_targetILNS1_3genE9ELNS1_11target_archE1100ELNS1_3gpuE3ELNS1_3repE0EEENS1_38merge_mergepath_config_static_selectorELNS0_4arch9wavefront6targetE0EEEvSF_.num_agpr, 0
	.set _ZN7rocprim17ROCPRIM_400000_NS6detail17trampoline_kernelINS0_14default_configENS1_38merge_sort_block_merge_config_selectorImNS0_10empty_typeEEEZZNS1_27merge_sort_block_merge_implIS3_PmPS5_jNS1_19radix_merge_compareILb1ELb0EmNS0_19identity_decomposerEEEEE10hipError_tT0_T1_T2_jT3_P12ihipStream_tbPNSt15iterator_traitsISE_E10value_typeEPNSK_ISF_E10value_typeEPSG_NS1_7vsmem_tEENKUlT_SE_SF_SG_E_clIS8_S8_S9_S9_EESD_ST_SE_SF_SG_EUlST_E0_NS1_11comp_targetILNS1_3genE9ELNS1_11target_archE1100ELNS1_3gpuE3ELNS1_3repE0EEENS1_38merge_mergepath_config_static_selectorELNS0_4arch9wavefront6targetE0EEEvSF_.numbered_sgpr, 0
	.set _ZN7rocprim17ROCPRIM_400000_NS6detail17trampoline_kernelINS0_14default_configENS1_38merge_sort_block_merge_config_selectorImNS0_10empty_typeEEEZZNS1_27merge_sort_block_merge_implIS3_PmPS5_jNS1_19radix_merge_compareILb1ELb0EmNS0_19identity_decomposerEEEEE10hipError_tT0_T1_T2_jT3_P12ihipStream_tbPNSt15iterator_traitsISE_E10value_typeEPNSK_ISF_E10value_typeEPSG_NS1_7vsmem_tEENKUlT_SE_SF_SG_E_clIS8_S8_S9_S9_EESD_ST_SE_SF_SG_EUlST_E0_NS1_11comp_targetILNS1_3genE9ELNS1_11target_archE1100ELNS1_3gpuE3ELNS1_3repE0EEENS1_38merge_mergepath_config_static_selectorELNS0_4arch9wavefront6targetE0EEEvSF_.num_named_barrier, 0
	.set _ZN7rocprim17ROCPRIM_400000_NS6detail17trampoline_kernelINS0_14default_configENS1_38merge_sort_block_merge_config_selectorImNS0_10empty_typeEEEZZNS1_27merge_sort_block_merge_implIS3_PmPS5_jNS1_19radix_merge_compareILb1ELb0EmNS0_19identity_decomposerEEEEE10hipError_tT0_T1_T2_jT3_P12ihipStream_tbPNSt15iterator_traitsISE_E10value_typeEPNSK_ISF_E10value_typeEPSG_NS1_7vsmem_tEENKUlT_SE_SF_SG_E_clIS8_S8_S9_S9_EESD_ST_SE_SF_SG_EUlST_E0_NS1_11comp_targetILNS1_3genE9ELNS1_11target_archE1100ELNS1_3gpuE3ELNS1_3repE0EEENS1_38merge_mergepath_config_static_selectorELNS0_4arch9wavefront6targetE0EEEvSF_.private_seg_size, 0
	.set _ZN7rocprim17ROCPRIM_400000_NS6detail17trampoline_kernelINS0_14default_configENS1_38merge_sort_block_merge_config_selectorImNS0_10empty_typeEEEZZNS1_27merge_sort_block_merge_implIS3_PmPS5_jNS1_19radix_merge_compareILb1ELb0EmNS0_19identity_decomposerEEEEE10hipError_tT0_T1_T2_jT3_P12ihipStream_tbPNSt15iterator_traitsISE_E10value_typeEPNSK_ISF_E10value_typeEPSG_NS1_7vsmem_tEENKUlT_SE_SF_SG_E_clIS8_S8_S9_S9_EESD_ST_SE_SF_SG_EUlST_E0_NS1_11comp_targetILNS1_3genE9ELNS1_11target_archE1100ELNS1_3gpuE3ELNS1_3repE0EEENS1_38merge_mergepath_config_static_selectorELNS0_4arch9wavefront6targetE0EEEvSF_.uses_vcc, 0
	.set _ZN7rocprim17ROCPRIM_400000_NS6detail17trampoline_kernelINS0_14default_configENS1_38merge_sort_block_merge_config_selectorImNS0_10empty_typeEEEZZNS1_27merge_sort_block_merge_implIS3_PmPS5_jNS1_19radix_merge_compareILb1ELb0EmNS0_19identity_decomposerEEEEE10hipError_tT0_T1_T2_jT3_P12ihipStream_tbPNSt15iterator_traitsISE_E10value_typeEPNSK_ISF_E10value_typeEPSG_NS1_7vsmem_tEENKUlT_SE_SF_SG_E_clIS8_S8_S9_S9_EESD_ST_SE_SF_SG_EUlST_E0_NS1_11comp_targetILNS1_3genE9ELNS1_11target_archE1100ELNS1_3gpuE3ELNS1_3repE0EEENS1_38merge_mergepath_config_static_selectorELNS0_4arch9wavefront6targetE0EEEvSF_.uses_flat_scratch, 0
	.set _ZN7rocprim17ROCPRIM_400000_NS6detail17trampoline_kernelINS0_14default_configENS1_38merge_sort_block_merge_config_selectorImNS0_10empty_typeEEEZZNS1_27merge_sort_block_merge_implIS3_PmPS5_jNS1_19radix_merge_compareILb1ELb0EmNS0_19identity_decomposerEEEEE10hipError_tT0_T1_T2_jT3_P12ihipStream_tbPNSt15iterator_traitsISE_E10value_typeEPNSK_ISF_E10value_typeEPSG_NS1_7vsmem_tEENKUlT_SE_SF_SG_E_clIS8_S8_S9_S9_EESD_ST_SE_SF_SG_EUlST_E0_NS1_11comp_targetILNS1_3genE9ELNS1_11target_archE1100ELNS1_3gpuE3ELNS1_3repE0EEENS1_38merge_mergepath_config_static_selectorELNS0_4arch9wavefront6targetE0EEEvSF_.has_dyn_sized_stack, 0
	.set _ZN7rocprim17ROCPRIM_400000_NS6detail17trampoline_kernelINS0_14default_configENS1_38merge_sort_block_merge_config_selectorImNS0_10empty_typeEEEZZNS1_27merge_sort_block_merge_implIS3_PmPS5_jNS1_19radix_merge_compareILb1ELb0EmNS0_19identity_decomposerEEEEE10hipError_tT0_T1_T2_jT3_P12ihipStream_tbPNSt15iterator_traitsISE_E10value_typeEPNSK_ISF_E10value_typeEPSG_NS1_7vsmem_tEENKUlT_SE_SF_SG_E_clIS8_S8_S9_S9_EESD_ST_SE_SF_SG_EUlST_E0_NS1_11comp_targetILNS1_3genE9ELNS1_11target_archE1100ELNS1_3gpuE3ELNS1_3repE0EEENS1_38merge_mergepath_config_static_selectorELNS0_4arch9wavefront6targetE0EEEvSF_.has_recursion, 0
	.set _ZN7rocprim17ROCPRIM_400000_NS6detail17trampoline_kernelINS0_14default_configENS1_38merge_sort_block_merge_config_selectorImNS0_10empty_typeEEEZZNS1_27merge_sort_block_merge_implIS3_PmPS5_jNS1_19radix_merge_compareILb1ELb0EmNS0_19identity_decomposerEEEEE10hipError_tT0_T1_T2_jT3_P12ihipStream_tbPNSt15iterator_traitsISE_E10value_typeEPNSK_ISF_E10value_typeEPSG_NS1_7vsmem_tEENKUlT_SE_SF_SG_E_clIS8_S8_S9_S9_EESD_ST_SE_SF_SG_EUlST_E0_NS1_11comp_targetILNS1_3genE9ELNS1_11target_archE1100ELNS1_3gpuE3ELNS1_3repE0EEENS1_38merge_mergepath_config_static_selectorELNS0_4arch9wavefront6targetE0EEEvSF_.has_indirect_call, 0
	.section	.AMDGPU.csdata,"",@progbits
; Kernel info:
; codeLenInByte = 0
; TotalNumSgprs: 0
; NumVgprs: 0
; ScratchSize: 0
; MemoryBound: 0
; FloatMode: 240
; IeeeMode: 1
; LDSByteSize: 0 bytes/workgroup (compile time only)
; SGPRBlocks: 0
; VGPRBlocks: 0
; NumSGPRsForWavesPerEU: 1
; NumVGPRsForWavesPerEU: 1
; NamedBarCnt: 0
; Occupancy: 16
; WaveLimiterHint : 0
; COMPUTE_PGM_RSRC2:SCRATCH_EN: 0
; COMPUTE_PGM_RSRC2:USER_SGPR: 2
; COMPUTE_PGM_RSRC2:TRAP_HANDLER: 0
; COMPUTE_PGM_RSRC2:TGID_X_EN: 1
; COMPUTE_PGM_RSRC2:TGID_Y_EN: 0
; COMPUTE_PGM_RSRC2:TGID_Z_EN: 0
; COMPUTE_PGM_RSRC2:TIDIG_COMP_CNT: 0
	.section	.text._ZN7rocprim17ROCPRIM_400000_NS6detail17trampoline_kernelINS0_14default_configENS1_38merge_sort_block_merge_config_selectorImNS0_10empty_typeEEEZZNS1_27merge_sort_block_merge_implIS3_PmPS5_jNS1_19radix_merge_compareILb1ELb0EmNS0_19identity_decomposerEEEEE10hipError_tT0_T1_T2_jT3_P12ihipStream_tbPNSt15iterator_traitsISE_E10value_typeEPNSK_ISF_E10value_typeEPSG_NS1_7vsmem_tEENKUlT_SE_SF_SG_E_clIS8_S8_S9_S9_EESD_ST_SE_SF_SG_EUlST_E0_NS1_11comp_targetILNS1_3genE8ELNS1_11target_archE1030ELNS1_3gpuE2ELNS1_3repE0EEENS1_38merge_mergepath_config_static_selectorELNS0_4arch9wavefront6targetE0EEEvSF_,"axG",@progbits,_ZN7rocprim17ROCPRIM_400000_NS6detail17trampoline_kernelINS0_14default_configENS1_38merge_sort_block_merge_config_selectorImNS0_10empty_typeEEEZZNS1_27merge_sort_block_merge_implIS3_PmPS5_jNS1_19radix_merge_compareILb1ELb0EmNS0_19identity_decomposerEEEEE10hipError_tT0_T1_T2_jT3_P12ihipStream_tbPNSt15iterator_traitsISE_E10value_typeEPNSK_ISF_E10value_typeEPSG_NS1_7vsmem_tEENKUlT_SE_SF_SG_E_clIS8_S8_S9_S9_EESD_ST_SE_SF_SG_EUlST_E0_NS1_11comp_targetILNS1_3genE8ELNS1_11target_archE1030ELNS1_3gpuE2ELNS1_3repE0EEENS1_38merge_mergepath_config_static_selectorELNS0_4arch9wavefront6targetE0EEEvSF_,comdat
	.protected	_ZN7rocprim17ROCPRIM_400000_NS6detail17trampoline_kernelINS0_14default_configENS1_38merge_sort_block_merge_config_selectorImNS0_10empty_typeEEEZZNS1_27merge_sort_block_merge_implIS3_PmPS5_jNS1_19radix_merge_compareILb1ELb0EmNS0_19identity_decomposerEEEEE10hipError_tT0_T1_T2_jT3_P12ihipStream_tbPNSt15iterator_traitsISE_E10value_typeEPNSK_ISF_E10value_typeEPSG_NS1_7vsmem_tEENKUlT_SE_SF_SG_E_clIS8_S8_S9_S9_EESD_ST_SE_SF_SG_EUlST_E0_NS1_11comp_targetILNS1_3genE8ELNS1_11target_archE1030ELNS1_3gpuE2ELNS1_3repE0EEENS1_38merge_mergepath_config_static_selectorELNS0_4arch9wavefront6targetE0EEEvSF_ ; -- Begin function _ZN7rocprim17ROCPRIM_400000_NS6detail17trampoline_kernelINS0_14default_configENS1_38merge_sort_block_merge_config_selectorImNS0_10empty_typeEEEZZNS1_27merge_sort_block_merge_implIS3_PmPS5_jNS1_19radix_merge_compareILb1ELb0EmNS0_19identity_decomposerEEEEE10hipError_tT0_T1_T2_jT3_P12ihipStream_tbPNSt15iterator_traitsISE_E10value_typeEPNSK_ISF_E10value_typeEPSG_NS1_7vsmem_tEENKUlT_SE_SF_SG_E_clIS8_S8_S9_S9_EESD_ST_SE_SF_SG_EUlST_E0_NS1_11comp_targetILNS1_3genE8ELNS1_11target_archE1030ELNS1_3gpuE2ELNS1_3repE0EEENS1_38merge_mergepath_config_static_selectorELNS0_4arch9wavefront6targetE0EEEvSF_
	.globl	_ZN7rocprim17ROCPRIM_400000_NS6detail17trampoline_kernelINS0_14default_configENS1_38merge_sort_block_merge_config_selectorImNS0_10empty_typeEEEZZNS1_27merge_sort_block_merge_implIS3_PmPS5_jNS1_19radix_merge_compareILb1ELb0EmNS0_19identity_decomposerEEEEE10hipError_tT0_T1_T2_jT3_P12ihipStream_tbPNSt15iterator_traitsISE_E10value_typeEPNSK_ISF_E10value_typeEPSG_NS1_7vsmem_tEENKUlT_SE_SF_SG_E_clIS8_S8_S9_S9_EESD_ST_SE_SF_SG_EUlST_E0_NS1_11comp_targetILNS1_3genE8ELNS1_11target_archE1030ELNS1_3gpuE2ELNS1_3repE0EEENS1_38merge_mergepath_config_static_selectorELNS0_4arch9wavefront6targetE0EEEvSF_
	.p2align	8
	.type	_ZN7rocprim17ROCPRIM_400000_NS6detail17trampoline_kernelINS0_14default_configENS1_38merge_sort_block_merge_config_selectorImNS0_10empty_typeEEEZZNS1_27merge_sort_block_merge_implIS3_PmPS5_jNS1_19radix_merge_compareILb1ELb0EmNS0_19identity_decomposerEEEEE10hipError_tT0_T1_T2_jT3_P12ihipStream_tbPNSt15iterator_traitsISE_E10value_typeEPNSK_ISF_E10value_typeEPSG_NS1_7vsmem_tEENKUlT_SE_SF_SG_E_clIS8_S8_S9_S9_EESD_ST_SE_SF_SG_EUlST_E0_NS1_11comp_targetILNS1_3genE8ELNS1_11target_archE1030ELNS1_3gpuE2ELNS1_3repE0EEENS1_38merge_mergepath_config_static_selectorELNS0_4arch9wavefront6targetE0EEEvSF_,@function
_ZN7rocprim17ROCPRIM_400000_NS6detail17trampoline_kernelINS0_14default_configENS1_38merge_sort_block_merge_config_selectorImNS0_10empty_typeEEEZZNS1_27merge_sort_block_merge_implIS3_PmPS5_jNS1_19radix_merge_compareILb1ELb0EmNS0_19identity_decomposerEEEEE10hipError_tT0_T1_T2_jT3_P12ihipStream_tbPNSt15iterator_traitsISE_E10value_typeEPNSK_ISF_E10value_typeEPSG_NS1_7vsmem_tEENKUlT_SE_SF_SG_E_clIS8_S8_S9_S9_EESD_ST_SE_SF_SG_EUlST_E0_NS1_11comp_targetILNS1_3genE8ELNS1_11target_archE1030ELNS1_3gpuE2ELNS1_3repE0EEENS1_38merge_mergepath_config_static_selectorELNS0_4arch9wavefront6targetE0EEEvSF_: ; @_ZN7rocprim17ROCPRIM_400000_NS6detail17trampoline_kernelINS0_14default_configENS1_38merge_sort_block_merge_config_selectorImNS0_10empty_typeEEEZZNS1_27merge_sort_block_merge_implIS3_PmPS5_jNS1_19radix_merge_compareILb1ELb0EmNS0_19identity_decomposerEEEEE10hipError_tT0_T1_T2_jT3_P12ihipStream_tbPNSt15iterator_traitsISE_E10value_typeEPNSK_ISF_E10value_typeEPSG_NS1_7vsmem_tEENKUlT_SE_SF_SG_E_clIS8_S8_S9_S9_EESD_ST_SE_SF_SG_EUlST_E0_NS1_11comp_targetILNS1_3genE8ELNS1_11target_archE1030ELNS1_3gpuE2ELNS1_3repE0EEENS1_38merge_mergepath_config_static_selectorELNS0_4arch9wavefront6targetE0EEEvSF_
; %bb.0:
	.section	.rodata,"a",@progbits
	.p2align	6, 0x0
	.amdhsa_kernel _ZN7rocprim17ROCPRIM_400000_NS6detail17trampoline_kernelINS0_14default_configENS1_38merge_sort_block_merge_config_selectorImNS0_10empty_typeEEEZZNS1_27merge_sort_block_merge_implIS3_PmPS5_jNS1_19radix_merge_compareILb1ELb0EmNS0_19identity_decomposerEEEEE10hipError_tT0_T1_T2_jT3_P12ihipStream_tbPNSt15iterator_traitsISE_E10value_typeEPNSK_ISF_E10value_typeEPSG_NS1_7vsmem_tEENKUlT_SE_SF_SG_E_clIS8_S8_S9_S9_EESD_ST_SE_SF_SG_EUlST_E0_NS1_11comp_targetILNS1_3genE8ELNS1_11target_archE1030ELNS1_3gpuE2ELNS1_3repE0EEENS1_38merge_mergepath_config_static_selectorELNS0_4arch9wavefront6targetE0EEEvSF_
		.amdhsa_group_segment_fixed_size 0
		.amdhsa_private_segment_fixed_size 0
		.amdhsa_kernarg_size 64
		.amdhsa_user_sgpr_count 2
		.amdhsa_user_sgpr_dispatch_ptr 0
		.amdhsa_user_sgpr_queue_ptr 0
		.amdhsa_user_sgpr_kernarg_segment_ptr 1
		.amdhsa_user_sgpr_dispatch_id 0
		.amdhsa_user_sgpr_kernarg_preload_length 0
		.amdhsa_user_sgpr_kernarg_preload_offset 0
		.amdhsa_user_sgpr_private_segment_size 0
		.amdhsa_wavefront_size32 1
		.amdhsa_uses_dynamic_stack 0
		.amdhsa_enable_private_segment 0
		.amdhsa_system_sgpr_workgroup_id_x 1
		.amdhsa_system_sgpr_workgroup_id_y 0
		.amdhsa_system_sgpr_workgroup_id_z 0
		.amdhsa_system_sgpr_workgroup_info 0
		.amdhsa_system_vgpr_workitem_id 0
		.amdhsa_next_free_vgpr 1
		.amdhsa_next_free_sgpr 1
		.amdhsa_named_barrier_count 0
		.amdhsa_reserve_vcc 0
		.amdhsa_float_round_mode_32 0
		.amdhsa_float_round_mode_16_64 0
		.amdhsa_float_denorm_mode_32 3
		.amdhsa_float_denorm_mode_16_64 3
		.amdhsa_fp16_overflow 0
		.amdhsa_memory_ordered 1
		.amdhsa_forward_progress 1
		.amdhsa_inst_pref_size 0
		.amdhsa_round_robin_scheduling 0
		.amdhsa_exception_fp_ieee_invalid_op 0
		.amdhsa_exception_fp_denorm_src 0
		.amdhsa_exception_fp_ieee_div_zero 0
		.amdhsa_exception_fp_ieee_overflow 0
		.amdhsa_exception_fp_ieee_underflow 0
		.amdhsa_exception_fp_ieee_inexact 0
		.amdhsa_exception_int_div_zero 0
	.end_amdhsa_kernel
	.section	.text._ZN7rocprim17ROCPRIM_400000_NS6detail17trampoline_kernelINS0_14default_configENS1_38merge_sort_block_merge_config_selectorImNS0_10empty_typeEEEZZNS1_27merge_sort_block_merge_implIS3_PmPS5_jNS1_19radix_merge_compareILb1ELb0EmNS0_19identity_decomposerEEEEE10hipError_tT0_T1_T2_jT3_P12ihipStream_tbPNSt15iterator_traitsISE_E10value_typeEPNSK_ISF_E10value_typeEPSG_NS1_7vsmem_tEENKUlT_SE_SF_SG_E_clIS8_S8_S9_S9_EESD_ST_SE_SF_SG_EUlST_E0_NS1_11comp_targetILNS1_3genE8ELNS1_11target_archE1030ELNS1_3gpuE2ELNS1_3repE0EEENS1_38merge_mergepath_config_static_selectorELNS0_4arch9wavefront6targetE0EEEvSF_,"axG",@progbits,_ZN7rocprim17ROCPRIM_400000_NS6detail17trampoline_kernelINS0_14default_configENS1_38merge_sort_block_merge_config_selectorImNS0_10empty_typeEEEZZNS1_27merge_sort_block_merge_implIS3_PmPS5_jNS1_19radix_merge_compareILb1ELb0EmNS0_19identity_decomposerEEEEE10hipError_tT0_T1_T2_jT3_P12ihipStream_tbPNSt15iterator_traitsISE_E10value_typeEPNSK_ISF_E10value_typeEPSG_NS1_7vsmem_tEENKUlT_SE_SF_SG_E_clIS8_S8_S9_S9_EESD_ST_SE_SF_SG_EUlST_E0_NS1_11comp_targetILNS1_3genE8ELNS1_11target_archE1030ELNS1_3gpuE2ELNS1_3repE0EEENS1_38merge_mergepath_config_static_selectorELNS0_4arch9wavefront6targetE0EEEvSF_,comdat
.Lfunc_end2813:
	.size	_ZN7rocprim17ROCPRIM_400000_NS6detail17trampoline_kernelINS0_14default_configENS1_38merge_sort_block_merge_config_selectorImNS0_10empty_typeEEEZZNS1_27merge_sort_block_merge_implIS3_PmPS5_jNS1_19radix_merge_compareILb1ELb0EmNS0_19identity_decomposerEEEEE10hipError_tT0_T1_T2_jT3_P12ihipStream_tbPNSt15iterator_traitsISE_E10value_typeEPNSK_ISF_E10value_typeEPSG_NS1_7vsmem_tEENKUlT_SE_SF_SG_E_clIS8_S8_S9_S9_EESD_ST_SE_SF_SG_EUlST_E0_NS1_11comp_targetILNS1_3genE8ELNS1_11target_archE1030ELNS1_3gpuE2ELNS1_3repE0EEENS1_38merge_mergepath_config_static_selectorELNS0_4arch9wavefront6targetE0EEEvSF_, .Lfunc_end2813-_ZN7rocprim17ROCPRIM_400000_NS6detail17trampoline_kernelINS0_14default_configENS1_38merge_sort_block_merge_config_selectorImNS0_10empty_typeEEEZZNS1_27merge_sort_block_merge_implIS3_PmPS5_jNS1_19radix_merge_compareILb1ELb0EmNS0_19identity_decomposerEEEEE10hipError_tT0_T1_T2_jT3_P12ihipStream_tbPNSt15iterator_traitsISE_E10value_typeEPNSK_ISF_E10value_typeEPSG_NS1_7vsmem_tEENKUlT_SE_SF_SG_E_clIS8_S8_S9_S9_EESD_ST_SE_SF_SG_EUlST_E0_NS1_11comp_targetILNS1_3genE8ELNS1_11target_archE1030ELNS1_3gpuE2ELNS1_3repE0EEENS1_38merge_mergepath_config_static_selectorELNS0_4arch9wavefront6targetE0EEEvSF_
                                        ; -- End function
	.set _ZN7rocprim17ROCPRIM_400000_NS6detail17trampoline_kernelINS0_14default_configENS1_38merge_sort_block_merge_config_selectorImNS0_10empty_typeEEEZZNS1_27merge_sort_block_merge_implIS3_PmPS5_jNS1_19radix_merge_compareILb1ELb0EmNS0_19identity_decomposerEEEEE10hipError_tT0_T1_T2_jT3_P12ihipStream_tbPNSt15iterator_traitsISE_E10value_typeEPNSK_ISF_E10value_typeEPSG_NS1_7vsmem_tEENKUlT_SE_SF_SG_E_clIS8_S8_S9_S9_EESD_ST_SE_SF_SG_EUlST_E0_NS1_11comp_targetILNS1_3genE8ELNS1_11target_archE1030ELNS1_3gpuE2ELNS1_3repE0EEENS1_38merge_mergepath_config_static_selectorELNS0_4arch9wavefront6targetE0EEEvSF_.num_vgpr, 0
	.set _ZN7rocprim17ROCPRIM_400000_NS6detail17trampoline_kernelINS0_14default_configENS1_38merge_sort_block_merge_config_selectorImNS0_10empty_typeEEEZZNS1_27merge_sort_block_merge_implIS3_PmPS5_jNS1_19radix_merge_compareILb1ELb0EmNS0_19identity_decomposerEEEEE10hipError_tT0_T1_T2_jT3_P12ihipStream_tbPNSt15iterator_traitsISE_E10value_typeEPNSK_ISF_E10value_typeEPSG_NS1_7vsmem_tEENKUlT_SE_SF_SG_E_clIS8_S8_S9_S9_EESD_ST_SE_SF_SG_EUlST_E0_NS1_11comp_targetILNS1_3genE8ELNS1_11target_archE1030ELNS1_3gpuE2ELNS1_3repE0EEENS1_38merge_mergepath_config_static_selectorELNS0_4arch9wavefront6targetE0EEEvSF_.num_agpr, 0
	.set _ZN7rocprim17ROCPRIM_400000_NS6detail17trampoline_kernelINS0_14default_configENS1_38merge_sort_block_merge_config_selectorImNS0_10empty_typeEEEZZNS1_27merge_sort_block_merge_implIS3_PmPS5_jNS1_19radix_merge_compareILb1ELb0EmNS0_19identity_decomposerEEEEE10hipError_tT0_T1_T2_jT3_P12ihipStream_tbPNSt15iterator_traitsISE_E10value_typeEPNSK_ISF_E10value_typeEPSG_NS1_7vsmem_tEENKUlT_SE_SF_SG_E_clIS8_S8_S9_S9_EESD_ST_SE_SF_SG_EUlST_E0_NS1_11comp_targetILNS1_3genE8ELNS1_11target_archE1030ELNS1_3gpuE2ELNS1_3repE0EEENS1_38merge_mergepath_config_static_selectorELNS0_4arch9wavefront6targetE0EEEvSF_.numbered_sgpr, 0
	.set _ZN7rocprim17ROCPRIM_400000_NS6detail17trampoline_kernelINS0_14default_configENS1_38merge_sort_block_merge_config_selectorImNS0_10empty_typeEEEZZNS1_27merge_sort_block_merge_implIS3_PmPS5_jNS1_19radix_merge_compareILb1ELb0EmNS0_19identity_decomposerEEEEE10hipError_tT0_T1_T2_jT3_P12ihipStream_tbPNSt15iterator_traitsISE_E10value_typeEPNSK_ISF_E10value_typeEPSG_NS1_7vsmem_tEENKUlT_SE_SF_SG_E_clIS8_S8_S9_S9_EESD_ST_SE_SF_SG_EUlST_E0_NS1_11comp_targetILNS1_3genE8ELNS1_11target_archE1030ELNS1_3gpuE2ELNS1_3repE0EEENS1_38merge_mergepath_config_static_selectorELNS0_4arch9wavefront6targetE0EEEvSF_.num_named_barrier, 0
	.set _ZN7rocprim17ROCPRIM_400000_NS6detail17trampoline_kernelINS0_14default_configENS1_38merge_sort_block_merge_config_selectorImNS0_10empty_typeEEEZZNS1_27merge_sort_block_merge_implIS3_PmPS5_jNS1_19radix_merge_compareILb1ELb0EmNS0_19identity_decomposerEEEEE10hipError_tT0_T1_T2_jT3_P12ihipStream_tbPNSt15iterator_traitsISE_E10value_typeEPNSK_ISF_E10value_typeEPSG_NS1_7vsmem_tEENKUlT_SE_SF_SG_E_clIS8_S8_S9_S9_EESD_ST_SE_SF_SG_EUlST_E0_NS1_11comp_targetILNS1_3genE8ELNS1_11target_archE1030ELNS1_3gpuE2ELNS1_3repE0EEENS1_38merge_mergepath_config_static_selectorELNS0_4arch9wavefront6targetE0EEEvSF_.private_seg_size, 0
	.set _ZN7rocprim17ROCPRIM_400000_NS6detail17trampoline_kernelINS0_14default_configENS1_38merge_sort_block_merge_config_selectorImNS0_10empty_typeEEEZZNS1_27merge_sort_block_merge_implIS3_PmPS5_jNS1_19radix_merge_compareILb1ELb0EmNS0_19identity_decomposerEEEEE10hipError_tT0_T1_T2_jT3_P12ihipStream_tbPNSt15iterator_traitsISE_E10value_typeEPNSK_ISF_E10value_typeEPSG_NS1_7vsmem_tEENKUlT_SE_SF_SG_E_clIS8_S8_S9_S9_EESD_ST_SE_SF_SG_EUlST_E0_NS1_11comp_targetILNS1_3genE8ELNS1_11target_archE1030ELNS1_3gpuE2ELNS1_3repE0EEENS1_38merge_mergepath_config_static_selectorELNS0_4arch9wavefront6targetE0EEEvSF_.uses_vcc, 0
	.set _ZN7rocprim17ROCPRIM_400000_NS6detail17trampoline_kernelINS0_14default_configENS1_38merge_sort_block_merge_config_selectorImNS0_10empty_typeEEEZZNS1_27merge_sort_block_merge_implIS3_PmPS5_jNS1_19radix_merge_compareILb1ELb0EmNS0_19identity_decomposerEEEEE10hipError_tT0_T1_T2_jT3_P12ihipStream_tbPNSt15iterator_traitsISE_E10value_typeEPNSK_ISF_E10value_typeEPSG_NS1_7vsmem_tEENKUlT_SE_SF_SG_E_clIS8_S8_S9_S9_EESD_ST_SE_SF_SG_EUlST_E0_NS1_11comp_targetILNS1_3genE8ELNS1_11target_archE1030ELNS1_3gpuE2ELNS1_3repE0EEENS1_38merge_mergepath_config_static_selectorELNS0_4arch9wavefront6targetE0EEEvSF_.uses_flat_scratch, 0
	.set _ZN7rocprim17ROCPRIM_400000_NS6detail17trampoline_kernelINS0_14default_configENS1_38merge_sort_block_merge_config_selectorImNS0_10empty_typeEEEZZNS1_27merge_sort_block_merge_implIS3_PmPS5_jNS1_19radix_merge_compareILb1ELb0EmNS0_19identity_decomposerEEEEE10hipError_tT0_T1_T2_jT3_P12ihipStream_tbPNSt15iterator_traitsISE_E10value_typeEPNSK_ISF_E10value_typeEPSG_NS1_7vsmem_tEENKUlT_SE_SF_SG_E_clIS8_S8_S9_S9_EESD_ST_SE_SF_SG_EUlST_E0_NS1_11comp_targetILNS1_3genE8ELNS1_11target_archE1030ELNS1_3gpuE2ELNS1_3repE0EEENS1_38merge_mergepath_config_static_selectorELNS0_4arch9wavefront6targetE0EEEvSF_.has_dyn_sized_stack, 0
	.set _ZN7rocprim17ROCPRIM_400000_NS6detail17trampoline_kernelINS0_14default_configENS1_38merge_sort_block_merge_config_selectorImNS0_10empty_typeEEEZZNS1_27merge_sort_block_merge_implIS3_PmPS5_jNS1_19radix_merge_compareILb1ELb0EmNS0_19identity_decomposerEEEEE10hipError_tT0_T1_T2_jT3_P12ihipStream_tbPNSt15iterator_traitsISE_E10value_typeEPNSK_ISF_E10value_typeEPSG_NS1_7vsmem_tEENKUlT_SE_SF_SG_E_clIS8_S8_S9_S9_EESD_ST_SE_SF_SG_EUlST_E0_NS1_11comp_targetILNS1_3genE8ELNS1_11target_archE1030ELNS1_3gpuE2ELNS1_3repE0EEENS1_38merge_mergepath_config_static_selectorELNS0_4arch9wavefront6targetE0EEEvSF_.has_recursion, 0
	.set _ZN7rocprim17ROCPRIM_400000_NS6detail17trampoline_kernelINS0_14default_configENS1_38merge_sort_block_merge_config_selectorImNS0_10empty_typeEEEZZNS1_27merge_sort_block_merge_implIS3_PmPS5_jNS1_19radix_merge_compareILb1ELb0EmNS0_19identity_decomposerEEEEE10hipError_tT0_T1_T2_jT3_P12ihipStream_tbPNSt15iterator_traitsISE_E10value_typeEPNSK_ISF_E10value_typeEPSG_NS1_7vsmem_tEENKUlT_SE_SF_SG_E_clIS8_S8_S9_S9_EESD_ST_SE_SF_SG_EUlST_E0_NS1_11comp_targetILNS1_3genE8ELNS1_11target_archE1030ELNS1_3gpuE2ELNS1_3repE0EEENS1_38merge_mergepath_config_static_selectorELNS0_4arch9wavefront6targetE0EEEvSF_.has_indirect_call, 0
	.section	.AMDGPU.csdata,"",@progbits
; Kernel info:
; codeLenInByte = 0
; TotalNumSgprs: 0
; NumVgprs: 0
; ScratchSize: 0
; MemoryBound: 0
; FloatMode: 240
; IeeeMode: 1
; LDSByteSize: 0 bytes/workgroup (compile time only)
; SGPRBlocks: 0
; VGPRBlocks: 0
; NumSGPRsForWavesPerEU: 1
; NumVGPRsForWavesPerEU: 1
; NamedBarCnt: 0
; Occupancy: 16
; WaveLimiterHint : 0
; COMPUTE_PGM_RSRC2:SCRATCH_EN: 0
; COMPUTE_PGM_RSRC2:USER_SGPR: 2
; COMPUTE_PGM_RSRC2:TRAP_HANDLER: 0
; COMPUTE_PGM_RSRC2:TGID_X_EN: 1
; COMPUTE_PGM_RSRC2:TGID_Y_EN: 0
; COMPUTE_PGM_RSRC2:TGID_Z_EN: 0
; COMPUTE_PGM_RSRC2:TIDIG_COMP_CNT: 0
	.section	.text._ZN7rocprim17ROCPRIM_400000_NS6detail17trampoline_kernelINS0_14default_configENS1_38merge_sort_block_merge_config_selectorImNS0_10empty_typeEEEZZNS1_27merge_sort_block_merge_implIS3_PmPS5_jNS1_19radix_merge_compareILb1ELb0EmNS0_19identity_decomposerEEEEE10hipError_tT0_T1_T2_jT3_P12ihipStream_tbPNSt15iterator_traitsISE_E10value_typeEPNSK_ISF_E10value_typeEPSG_NS1_7vsmem_tEENKUlT_SE_SF_SG_E_clIS8_S8_S9_S9_EESD_ST_SE_SF_SG_EUlST_E1_NS1_11comp_targetILNS1_3genE0ELNS1_11target_archE4294967295ELNS1_3gpuE0ELNS1_3repE0EEENS1_36merge_oddeven_config_static_selectorELNS0_4arch9wavefront6targetE0EEEvSF_,"axG",@progbits,_ZN7rocprim17ROCPRIM_400000_NS6detail17trampoline_kernelINS0_14default_configENS1_38merge_sort_block_merge_config_selectorImNS0_10empty_typeEEEZZNS1_27merge_sort_block_merge_implIS3_PmPS5_jNS1_19radix_merge_compareILb1ELb0EmNS0_19identity_decomposerEEEEE10hipError_tT0_T1_T2_jT3_P12ihipStream_tbPNSt15iterator_traitsISE_E10value_typeEPNSK_ISF_E10value_typeEPSG_NS1_7vsmem_tEENKUlT_SE_SF_SG_E_clIS8_S8_S9_S9_EESD_ST_SE_SF_SG_EUlST_E1_NS1_11comp_targetILNS1_3genE0ELNS1_11target_archE4294967295ELNS1_3gpuE0ELNS1_3repE0EEENS1_36merge_oddeven_config_static_selectorELNS0_4arch9wavefront6targetE0EEEvSF_,comdat
	.protected	_ZN7rocprim17ROCPRIM_400000_NS6detail17trampoline_kernelINS0_14default_configENS1_38merge_sort_block_merge_config_selectorImNS0_10empty_typeEEEZZNS1_27merge_sort_block_merge_implIS3_PmPS5_jNS1_19radix_merge_compareILb1ELb0EmNS0_19identity_decomposerEEEEE10hipError_tT0_T1_T2_jT3_P12ihipStream_tbPNSt15iterator_traitsISE_E10value_typeEPNSK_ISF_E10value_typeEPSG_NS1_7vsmem_tEENKUlT_SE_SF_SG_E_clIS8_S8_S9_S9_EESD_ST_SE_SF_SG_EUlST_E1_NS1_11comp_targetILNS1_3genE0ELNS1_11target_archE4294967295ELNS1_3gpuE0ELNS1_3repE0EEENS1_36merge_oddeven_config_static_selectorELNS0_4arch9wavefront6targetE0EEEvSF_ ; -- Begin function _ZN7rocprim17ROCPRIM_400000_NS6detail17trampoline_kernelINS0_14default_configENS1_38merge_sort_block_merge_config_selectorImNS0_10empty_typeEEEZZNS1_27merge_sort_block_merge_implIS3_PmPS5_jNS1_19radix_merge_compareILb1ELb0EmNS0_19identity_decomposerEEEEE10hipError_tT0_T1_T2_jT3_P12ihipStream_tbPNSt15iterator_traitsISE_E10value_typeEPNSK_ISF_E10value_typeEPSG_NS1_7vsmem_tEENKUlT_SE_SF_SG_E_clIS8_S8_S9_S9_EESD_ST_SE_SF_SG_EUlST_E1_NS1_11comp_targetILNS1_3genE0ELNS1_11target_archE4294967295ELNS1_3gpuE0ELNS1_3repE0EEENS1_36merge_oddeven_config_static_selectorELNS0_4arch9wavefront6targetE0EEEvSF_
	.globl	_ZN7rocprim17ROCPRIM_400000_NS6detail17trampoline_kernelINS0_14default_configENS1_38merge_sort_block_merge_config_selectorImNS0_10empty_typeEEEZZNS1_27merge_sort_block_merge_implIS3_PmPS5_jNS1_19radix_merge_compareILb1ELb0EmNS0_19identity_decomposerEEEEE10hipError_tT0_T1_T2_jT3_P12ihipStream_tbPNSt15iterator_traitsISE_E10value_typeEPNSK_ISF_E10value_typeEPSG_NS1_7vsmem_tEENKUlT_SE_SF_SG_E_clIS8_S8_S9_S9_EESD_ST_SE_SF_SG_EUlST_E1_NS1_11comp_targetILNS1_3genE0ELNS1_11target_archE4294967295ELNS1_3gpuE0ELNS1_3repE0EEENS1_36merge_oddeven_config_static_selectorELNS0_4arch9wavefront6targetE0EEEvSF_
	.p2align	8
	.type	_ZN7rocprim17ROCPRIM_400000_NS6detail17trampoline_kernelINS0_14default_configENS1_38merge_sort_block_merge_config_selectorImNS0_10empty_typeEEEZZNS1_27merge_sort_block_merge_implIS3_PmPS5_jNS1_19radix_merge_compareILb1ELb0EmNS0_19identity_decomposerEEEEE10hipError_tT0_T1_T2_jT3_P12ihipStream_tbPNSt15iterator_traitsISE_E10value_typeEPNSK_ISF_E10value_typeEPSG_NS1_7vsmem_tEENKUlT_SE_SF_SG_E_clIS8_S8_S9_S9_EESD_ST_SE_SF_SG_EUlST_E1_NS1_11comp_targetILNS1_3genE0ELNS1_11target_archE4294967295ELNS1_3gpuE0ELNS1_3repE0EEENS1_36merge_oddeven_config_static_selectorELNS0_4arch9wavefront6targetE0EEEvSF_,@function
_ZN7rocprim17ROCPRIM_400000_NS6detail17trampoline_kernelINS0_14default_configENS1_38merge_sort_block_merge_config_selectorImNS0_10empty_typeEEEZZNS1_27merge_sort_block_merge_implIS3_PmPS5_jNS1_19radix_merge_compareILb1ELb0EmNS0_19identity_decomposerEEEEE10hipError_tT0_T1_T2_jT3_P12ihipStream_tbPNSt15iterator_traitsISE_E10value_typeEPNSK_ISF_E10value_typeEPSG_NS1_7vsmem_tEENKUlT_SE_SF_SG_E_clIS8_S8_S9_S9_EESD_ST_SE_SF_SG_EUlST_E1_NS1_11comp_targetILNS1_3genE0ELNS1_11target_archE4294967295ELNS1_3gpuE0ELNS1_3repE0EEENS1_36merge_oddeven_config_static_selectorELNS0_4arch9wavefront6targetE0EEEvSF_: ; @_ZN7rocprim17ROCPRIM_400000_NS6detail17trampoline_kernelINS0_14default_configENS1_38merge_sort_block_merge_config_selectorImNS0_10empty_typeEEEZZNS1_27merge_sort_block_merge_implIS3_PmPS5_jNS1_19radix_merge_compareILb1ELb0EmNS0_19identity_decomposerEEEEE10hipError_tT0_T1_T2_jT3_P12ihipStream_tbPNSt15iterator_traitsISE_E10value_typeEPNSK_ISF_E10value_typeEPSG_NS1_7vsmem_tEENKUlT_SE_SF_SG_E_clIS8_S8_S9_S9_EESD_ST_SE_SF_SG_EUlST_E1_NS1_11comp_targetILNS1_3genE0ELNS1_11target_archE4294967295ELNS1_3gpuE0ELNS1_3repE0EEENS1_36merge_oddeven_config_static_selectorELNS0_4arch9wavefront6targetE0EEEvSF_
; %bb.0:
	s_load_b32 s10, s[0:1], 0x20
	s_bfe_u32 s2, ttmp6, 0x4000c
	s_and_b32 s3, ttmp6, 15
	s_add_co_i32 s2, s2, 1
	s_getreg_b32 s4, hwreg(HW_REG_IB_STS2, 6, 4)
	s_mul_i32 s2, ttmp9, s2
	s_mov_b32 s9, 0
	s_add_co_i32 s3, s3, s2
	s_cmp_eq_u32 s4, 0
	s_cselect_b32 s13, ttmp9, s3
	s_wait_kmcnt 0x0
	s_lshr_b32 s2, s10, 8
	s_delay_alu instid0(SALU_CYCLE_1) | instskip(SKIP_4) | instid1(SALU_CYCLE_1)
	s_cmp_lg_u32 s13, s2
	s_cselect_b32 s3, -1, 0
	s_cmp_eq_u32 s13, s2
	s_cselect_b32 s11, -1, 0
	s_lshl_b32 s8, s13, 8
	s_sub_co_i32 s2, s10, s8
	s_delay_alu instid0(SALU_CYCLE_1) | instskip(SKIP_1) | instid1(SALU_CYCLE_1)
	v_cmp_gt_u32_e64 s2, s2, v0
	s_or_b32 s4, s3, s2
	s_and_saveexec_b32 s5, s4
	s_cbranch_execz .LBB2814_20
; %bb.1:
	s_clause 0x1
	s_load_b128 s[4:7], s[0:1], 0x0
	s_load_b32 s12, s[0:1], 0x24
	s_lshl_b64 s[14:15], s[8:9], 3
	v_add_nc_u32_e32 v1, s8, v0
	s_wait_kmcnt 0x0
	s_add_nc_u64 s[0:1], s[4:5], s[14:15]
	global_load_b64 v[2:3], v0, s[0:1] scale_offset
	s_wait_xcnt 0x0
	s_lshr_b32 s0, s12, 8
	s_delay_alu instid0(SALU_CYCLE_1) | instskip(NEXT) | instid1(SALU_CYCLE_1)
	s_sub_co_i32 s1, 0, s0
	s_and_b32 s1, s13, s1
	s_delay_alu instid0(SALU_CYCLE_1) | instskip(SKIP_4) | instid1(SALU_CYCLE_1)
	s_and_b32 s0, s1, s0
	s_lshl_b32 s13, s1, 8
	s_sub_co_i32 s1, 0, s12
	s_cmp_eq_u32 s0, 0
	s_cselect_b32 s0, -1, 0
	s_and_b32 s14, s0, exec_lo
	s_cselect_b32 s1, s12, s1
	s_delay_alu instid0(SALU_CYCLE_1) | instskip(NEXT) | instid1(SALU_CYCLE_1)
	s_add_co_i32 s1, s1, s13
	s_cmp_gt_u32 s10, s1
	s_cbranch_scc1 .LBB2814_3
; %bb.2:
	v_cmp_gt_u32_e32 vcc_lo, s10, v1
	s_or_b32 s8, vcc_lo, s3
	s_delay_alu instid0(SALU_CYCLE_1)
	s_and_b32 s9, s8, exec_lo
	s_cbranch_execz .LBB2814_4
	s_branch .LBB2814_18
.LBB2814_3:
.LBB2814_4:
	s_min_u32 s3, s1, s10
	s_and_b32 vcc_lo, exec_lo, s11
	s_add_co_i32 s8, s13, s3
	s_add_co_i32 s12, s3, s12
	v_subrev_nc_u32_e32 v0, s8, v1
	s_min_u32 s8, s13, s3
	s_delay_alu instid0(VALU_DEP_1) | instid1(SALU_CYCLE_1)
	v_add_nc_u32_e32 v0, s8, v0
	s_min_u32 s8, s12, s10
	s_cbranch_vccz .LBB2814_12
; %bb.5:
                                        ; implicit-def: $vgpr1
	s_and_saveexec_b32 s10, s2
	s_cbranch_execz .LBB2814_11
; %bb.6:
	v_mov_b32_e32 v1, s3
	s_cmp_ge_u32 s1, s8
	s_cbranch_scc1 .LBB2814_10
; %bb.7:
	v_dual_mov_b32 v4, s8 :: v_dual_mov_b32 v1, s3
	s_mov_b32 s2, 0
.LBB2814_8:                             ; =>This Inner Loop Header: Depth=1
	s_delay_alu instid0(VALU_DEP_1) | instskip(NEXT) | instid1(VALU_DEP_1)
	v_add_nc_u32_e32 v5, v1, v4
	v_lshrrev_b32_e32 v5, 1, v5
	global_load_b64 v[6:7], v5, s[4:5] scale_offset
	s_wait_loadcnt 0x0
	v_cmp_gt_u64_e32 vcc_lo, v[6:7], v[2:3]
	v_cndmask_b32_e64 v8, 0, 1, vcc_lo
	v_cmp_le_u64_e32 vcc_lo, v[2:3], v[6:7]
	v_cndmask_b32_e64 v6, 0, 1, vcc_lo
	s_delay_alu instid0(VALU_DEP_1) | instskip(NEXT) | instid1(VALU_DEP_1)
	v_cndmask_b32_e64 v6, v6, v8, s0
	v_and_b32_e32 v6, 1, v6
	s_delay_alu instid0(VALU_DEP_1) | instskip(SKIP_1) | instid1(VALU_DEP_1)
	v_cmp_eq_u32_e32 vcc_lo, 1, v6
	v_dual_cndmask_b32 v4, v5, v4 :: v_dual_add_nc_u32 v7, 1, v5
	v_cndmask_b32_e32 v1, v1, v7, vcc_lo
	s_delay_alu instid0(VALU_DEP_1) | instskip(SKIP_1) | instid1(SALU_CYCLE_1)
	v_cmp_ge_u32_e32 vcc_lo, v1, v4
	s_or_b32 s2, vcc_lo, s2
	s_and_not1_b32 exec_lo, exec_lo, s2
	s_cbranch_execnz .LBB2814_8
; %bb.9:
	s_or_b32 exec_lo, exec_lo, s2
.LBB2814_10:
	s_delay_alu instid0(VALU_DEP_1)
	v_add_nc_u32_e32 v1, v1, v0
	s_or_b32 s9, s9, exec_lo
.LBB2814_11:
	s_or_b32 exec_lo, exec_lo, s10
	s_branch .LBB2814_18
.LBB2814_12:
                                        ; implicit-def: $vgpr1
	s_cbranch_execz .LBB2814_18
; %bb.13:
	v_mov_b32_e32 v1, s3
	s_cmp_ge_u32 s1, s8
	s_cbranch_scc1 .LBB2814_17
; %bb.14:
	v_dual_mov_b32 v4, s8 :: v_dual_mov_b32 v1, s3
	s_mov_b32 s1, 0
.LBB2814_15:                            ; =>This Inner Loop Header: Depth=1
	s_delay_alu instid0(VALU_DEP_1) | instskip(NEXT) | instid1(VALU_DEP_1)
	v_add_nc_u32_e32 v5, v1, v4
	v_lshrrev_b32_e32 v5, 1, v5
	global_load_b64 v[6:7], v5, s[4:5] scale_offset
	s_wait_loadcnt 0x0
	v_cmp_gt_u64_e32 vcc_lo, v[6:7], v[2:3]
	v_cndmask_b32_e64 v8, 0, 1, vcc_lo
	v_cmp_le_u64_e32 vcc_lo, v[2:3], v[6:7]
	v_cndmask_b32_e64 v6, 0, 1, vcc_lo
	s_delay_alu instid0(VALU_DEP_1) | instskip(NEXT) | instid1(VALU_DEP_1)
	v_cndmask_b32_e64 v6, v6, v8, s0
	v_and_b32_e32 v6, 1, v6
	s_delay_alu instid0(VALU_DEP_1) | instskip(SKIP_1) | instid1(VALU_DEP_1)
	v_cmp_eq_u32_e32 vcc_lo, 1, v6
	v_dual_cndmask_b32 v4, v5, v4 :: v_dual_add_nc_u32 v7, 1, v5
	v_cndmask_b32_e32 v1, v1, v7, vcc_lo
	s_delay_alu instid0(VALU_DEP_1) | instskip(SKIP_1) | instid1(SALU_CYCLE_1)
	v_cmp_ge_u32_e32 vcc_lo, v1, v4
	s_or_b32 s1, vcc_lo, s1
	s_and_not1_b32 exec_lo, exec_lo, s1
	s_cbranch_execnz .LBB2814_15
; %bb.16:
	s_or_b32 exec_lo, exec_lo, s1
.LBB2814_17:
	s_delay_alu instid0(VALU_DEP_1)
	v_add_nc_u32_e32 v1, v1, v0
	s_mov_b32 s9, -1
.LBB2814_18:
	s_delay_alu instid0(SALU_CYCLE_1)
	s_and_b32 exec_lo, exec_lo, s9
	s_cbranch_execz .LBB2814_20
; %bb.19:
	s_wait_loadcnt 0x0
	global_store_b64 v1, v[2:3], s[6:7] scale_offset
.LBB2814_20:
	s_endpgm
	.section	.rodata,"a",@progbits
	.p2align	6, 0x0
	.amdhsa_kernel _ZN7rocprim17ROCPRIM_400000_NS6detail17trampoline_kernelINS0_14default_configENS1_38merge_sort_block_merge_config_selectorImNS0_10empty_typeEEEZZNS1_27merge_sort_block_merge_implIS3_PmPS5_jNS1_19radix_merge_compareILb1ELb0EmNS0_19identity_decomposerEEEEE10hipError_tT0_T1_T2_jT3_P12ihipStream_tbPNSt15iterator_traitsISE_E10value_typeEPNSK_ISF_E10value_typeEPSG_NS1_7vsmem_tEENKUlT_SE_SF_SG_E_clIS8_S8_S9_S9_EESD_ST_SE_SF_SG_EUlST_E1_NS1_11comp_targetILNS1_3genE0ELNS1_11target_archE4294967295ELNS1_3gpuE0ELNS1_3repE0EEENS1_36merge_oddeven_config_static_selectorELNS0_4arch9wavefront6targetE0EEEvSF_
		.amdhsa_group_segment_fixed_size 0
		.amdhsa_private_segment_fixed_size 0
		.amdhsa_kernarg_size 48
		.amdhsa_user_sgpr_count 2
		.amdhsa_user_sgpr_dispatch_ptr 0
		.amdhsa_user_sgpr_queue_ptr 0
		.amdhsa_user_sgpr_kernarg_segment_ptr 1
		.amdhsa_user_sgpr_dispatch_id 0
		.amdhsa_user_sgpr_kernarg_preload_length 0
		.amdhsa_user_sgpr_kernarg_preload_offset 0
		.amdhsa_user_sgpr_private_segment_size 0
		.amdhsa_wavefront_size32 1
		.amdhsa_uses_dynamic_stack 0
		.amdhsa_enable_private_segment 0
		.amdhsa_system_sgpr_workgroup_id_x 1
		.amdhsa_system_sgpr_workgroup_id_y 0
		.amdhsa_system_sgpr_workgroup_id_z 0
		.amdhsa_system_sgpr_workgroup_info 0
		.amdhsa_system_vgpr_workitem_id 0
		.amdhsa_next_free_vgpr 9
		.amdhsa_next_free_sgpr 16
		.amdhsa_named_barrier_count 0
		.amdhsa_reserve_vcc 1
		.amdhsa_float_round_mode_32 0
		.amdhsa_float_round_mode_16_64 0
		.amdhsa_float_denorm_mode_32 3
		.amdhsa_float_denorm_mode_16_64 3
		.amdhsa_fp16_overflow 0
		.amdhsa_memory_ordered 1
		.amdhsa_forward_progress 1
		.amdhsa_inst_pref_size 5
		.amdhsa_round_robin_scheduling 0
		.amdhsa_exception_fp_ieee_invalid_op 0
		.amdhsa_exception_fp_denorm_src 0
		.amdhsa_exception_fp_ieee_div_zero 0
		.amdhsa_exception_fp_ieee_overflow 0
		.amdhsa_exception_fp_ieee_underflow 0
		.amdhsa_exception_fp_ieee_inexact 0
		.amdhsa_exception_int_div_zero 0
	.end_amdhsa_kernel
	.section	.text._ZN7rocprim17ROCPRIM_400000_NS6detail17trampoline_kernelINS0_14default_configENS1_38merge_sort_block_merge_config_selectorImNS0_10empty_typeEEEZZNS1_27merge_sort_block_merge_implIS3_PmPS5_jNS1_19radix_merge_compareILb1ELb0EmNS0_19identity_decomposerEEEEE10hipError_tT0_T1_T2_jT3_P12ihipStream_tbPNSt15iterator_traitsISE_E10value_typeEPNSK_ISF_E10value_typeEPSG_NS1_7vsmem_tEENKUlT_SE_SF_SG_E_clIS8_S8_S9_S9_EESD_ST_SE_SF_SG_EUlST_E1_NS1_11comp_targetILNS1_3genE0ELNS1_11target_archE4294967295ELNS1_3gpuE0ELNS1_3repE0EEENS1_36merge_oddeven_config_static_selectorELNS0_4arch9wavefront6targetE0EEEvSF_,"axG",@progbits,_ZN7rocprim17ROCPRIM_400000_NS6detail17trampoline_kernelINS0_14default_configENS1_38merge_sort_block_merge_config_selectorImNS0_10empty_typeEEEZZNS1_27merge_sort_block_merge_implIS3_PmPS5_jNS1_19radix_merge_compareILb1ELb0EmNS0_19identity_decomposerEEEEE10hipError_tT0_T1_T2_jT3_P12ihipStream_tbPNSt15iterator_traitsISE_E10value_typeEPNSK_ISF_E10value_typeEPSG_NS1_7vsmem_tEENKUlT_SE_SF_SG_E_clIS8_S8_S9_S9_EESD_ST_SE_SF_SG_EUlST_E1_NS1_11comp_targetILNS1_3genE0ELNS1_11target_archE4294967295ELNS1_3gpuE0ELNS1_3repE0EEENS1_36merge_oddeven_config_static_selectorELNS0_4arch9wavefront6targetE0EEEvSF_,comdat
.Lfunc_end2814:
	.size	_ZN7rocprim17ROCPRIM_400000_NS6detail17trampoline_kernelINS0_14default_configENS1_38merge_sort_block_merge_config_selectorImNS0_10empty_typeEEEZZNS1_27merge_sort_block_merge_implIS3_PmPS5_jNS1_19radix_merge_compareILb1ELb0EmNS0_19identity_decomposerEEEEE10hipError_tT0_T1_T2_jT3_P12ihipStream_tbPNSt15iterator_traitsISE_E10value_typeEPNSK_ISF_E10value_typeEPSG_NS1_7vsmem_tEENKUlT_SE_SF_SG_E_clIS8_S8_S9_S9_EESD_ST_SE_SF_SG_EUlST_E1_NS1_11comp_targetILNS1_3genE0ELNS1_11target_archE4294967295ELNS1_3gpuE0ELNS1_3repE0EEENS1_36merge_oddeven_config_static_selectorELNS0_4arch9wavefront6targetE0EEEvSF_, .Lfunc_end2814-_ZN7rocprim17ROCPRIM_400000_NS6detail17trampoline_kernelINS0_14default_configENS1_38merge_sort_block_merge_config_selectorImNS0_10empty_typeEEEZZNS1_27merge_sort_block_merge_implIS3_PmPS5_jNS1_19radix_merge_compareILb1ELb0EmNS0_19identity_decomposerEEEEE10hipError_tT0_T1_T2_jT3_P12ihipStream_tbPNSt15iterator_traitsISE_E10value_typeEPNSK_ISF_E10value_typeEPSG_NS1_7vsmem_tEENKUlT_SE_SF_SG_E_clIS8_S8_S9_S9_EESD_ST_SE_SF_SG_EUlST_E1_NS1_11comp_targetILNS1_3genE0ELNS1_11target_archE4294967295ELNS1_3gpuE0ELNS1_3repE0EEENS1_36merge_oddeven_config_static_selectorELNS0_4arch9wavefront6targetE0EEEvSF_
                                        ; -- End function
	.set _ZN7rocprim17ROCPRIM_400000_NS6detail17trampoline_kernelINS0_14default_configENS1_38merge_sort_block_merge_config_selectorImNS0_10empty_typeEEEZZNS1_27merge_sort_block_merge_implIS3_PmPS5_jNS1_19radix_merge_compareILb1ELb0EmNS0_19identity_decomposerEEEEE10hipError_tT0_T1_T2_jT3_P12ihipStream_tbPNSt15iterator_traitsISE_E10value_typeEPNSK_ISF_E10value_typeEPSG_NS1_7vsmem_tEENKUlT_SE_SF_SG_E_clIS8_S8_S9_S9_EESD_ST_SE_SF_SG_EUlST_E1_NS1_11comp_targetILNS1_3genE0ELNS1_11target_archE4294967295ELNS1_3gpuE0ELNS1_3repE0EEENS1_36merge_oddeven_config_static_selectorELNS0_4arch9wavefront6targetE0EEEvSF_.num_vgpr, 9
	.set _ZN7rocprim17ROCPRIM_400000_NS6detail17trampoline_kernelINS0_14default_configENS1_38merge_sort_block_merge_config_selectorImNS0_10empty_typeEEEZZNS1_27merge_sort_block_merge_implIS3_PmPS5_jNS1_19radix_merge_compareILb1ELb0EmNS0_19identity_decomposerEEEEE10hipError_tT0_T1_T2_jT3_P12ihipStream_tbPNSt15iterator_traitsISE_E10value_typeEPNSK_ISF_E10value_typeEPSG_NS1_7vsmem_tEENKUlT_SE_SF_SG_E_clIS8_S8_S9_S9_EESD_ST_SE_SF_SG_EUlST_E1_NS1_11comp_targetILNS1_3genE0ELNS1_11target_archE4294967295ELNS1_3gpuE0ELNS1_3repE0EEENS1_36merge_oddeven_config_static_selectorELNS0_4arch9wavefront6targetE0EEEvSF_.num_agpr, 0
	.set _ZN7rocprim17ROCPRIM_400000_NS6detail17trampoline_kernelINS0_14default_configENS1_38merge_sort_block_merge_config_selectorImNS0_10empty_typeEEEZZNS1_27merge_sort_block_merge_implIS3_PmPS5_jNS1_19radix_merge_compareILb1ELb0EmNS0_19identity_decomposerEEEEE10hipError_tT0_T1_T2_jT3_P12ihipStream_tbPNSt15iterator_traitsISE_E10value_typeEPNSK_ISF_E10value_typeEPSG_NS1_7vsmem_tEENKUlT_SE_SF_SG_E_clIS8_S8_S9_S9_EESD_ST_SE_SF_SG_EUlST_E1_NS1_11comp_targetILNS1_3genE0ELNS1_11target_archE4294967295ELNS1_3gpuE0ELNS1_3repE0EEENS1_36merge_oddeven_config_static_selectorELNS0_4arch9wavefront6targetE0EEEvSF_.numbered_sgpr, 16
	.set _ZN7rocprim17ROCPRIM_400000_NS6detail17trampoline_kernelINS0_14default_configENS1_38merge_sort_block_merge_config_selectorImNS0_10empty_typeEEEZZNS1_27merge_sort_block_merge_implIS3_PmPS5_jNS1_19radix_merge_compareILb1ELb0EmNS0_19identity_decomposerEEEEE10hipError_tT0_T1_T2_jT3_P12ihipStream_tbPNSt15iterator_traitsISE_E10value_typeEPNSK_ISF_E10value_typeEPSG_NS1_7vsmem_tEENKUlT_SE_SF_SG_E_clIS8_S8_S9_S9_EESD_ST_SE_SF_SG_EUlST_E1_NS1_11comp_targetILNS1_3genE0ELNS1_11target_archE4294967295ELNS1_3gpuE0ELNS1_3repE0EEENS1_36merge_oddeven_config_static_selectorELNS0_4arch9wavefront6targetE0EEEvSF_.num_named_barrier, 0
	.set _ZN7rocprim17ROCPRIM_400000_NS6detail17trampoline_kernelINS0_14default_configENS1_38merge_sort_block_merge_config_selectorImNS0_10empty_typeEEEZZNS1_27merge_sort_block_merge_implIS3_PmPS5_jNS1_19radix_merge_compareILb1ELb0EmNS0_19identity_decomposerEEEEE10hipError_tT0_T1_T2_jT3_P12ihipStream_tbPNSt15iterator_traitsISE_E10value_typeEPNSK_ISF_E10value_typeEPSG_NS1_7vsmem_tEENKUlT_SE_SF_SG_E_clIS8_S8_S9_S9_EESD_ST_SE_SF_SG_EUlST_E1_NS1_11comp_targetILNS1_3genE0ELNS1_11target_archE4294967295ELNS1_3gpuE0ELNS1_3repE0EEENS1_36merge_oddeven_config_static_selectorELNS0_4arch9wavefront6targetE0EEEvSF_.private_seg_size, 0
	.set _ZN7rocprim17ROCPRIM_400000_NS6detail17trampoline_kernelINS0_14default_configENS1_38merge_sort_block_merge_config_selectorImNS0_10empty_typeEEEZZNS1_27merge_sort_block_merge_implIS3_PmPS5_jNS1_19radix_merge_compareILb1ELb0EmNS0_19identity_decomposerEEEEE10hipError_tT0_T1_T2_jT3_P12ihipStream_tbPNSt15iterator_traitsISE_E10value_typeEPNSK_ISF_E10value_typeEPSG_NS1_7vsmem_tEENKUlT_SE_SF_SG_E_clIS8_S8_S9_S9_EESD_ST_SE_SF_SG_EUlST_E1_NS1_11comp_targetILNS1_3genE0ELNS1_11target_archE4294967295ELNS1_3gpuE0ELNS1_3repE0EEENS1_36merge_oddeven_config_static_selectorELNS0_4arch9wavefront6targetE0EEEvSF_.uses_vcc, 1
	.set _ZN7rocprim17ROCPRIM_400000_NS6detail17trampoline_kernelINS0_14default_configENS1_38merge_sort_block_merge_config_selectorImNS0_10empty_typeEEEZZNS1_27merge_sort_block_merge_implIS3_PmPS5_jNS1_19radix_merge_compareILb1ELb0EmNS0_19identity_decomposerEEEEE10hipError_tT0_T1_T2_jT3_P12ihipStream_tbPNSt15iterator_traitsISE_E10value_typeEPNSK_ISF_E10value_typeEPSG_NS1_7vsmem_tEENKUlT_SE_SF_SG_E_clIS8_S8_S9_S9_EESD_ST_SE_SF_SG_EUlST_E1_NS1_11comp_targetILNS1_3genE0ELNS1_11target_archE4294967295ELNS1_3gpuE0ELNS1_3repE0EEENS1_36merge_oddeven_config_static_selectorELNS0_4arch9wavefront6targetE0EEEvSF_.uses_flat_scratch, 0
	.set _ZN7rocprim17ROCPRIM_400000_NS6detail17trampoline_kernelINS0_14default_configENS1_38merge_sort_block_merge_config_selectorImNS0_10empty_typeEEEZZNS1_27merge_sort_block_merge_implIS3_PmPS5_jNS1_19radix_merge_compareILb1ELb0EmNS0_19identity_decomposerEEEEE10hipError_tT0_T1_T2_jT3_P12ihipStream_tbPNSt15iterator_traitsISE_E10value_typeEPNSK_ISF_E10value_typeEPSG_NS1_7vsmem_tEENKUlT_SE_SF_SG_E_clIS8_S8_S9_S9_EESD_ST_SE_SF_SG_EUlST_E1_NS1_11comp_targetILNS1_3genE0ELNS1_11target_archE4294967295ELNS1_3gpuE0ELNS1_3repE0EEENS1_36merge_oddeven_config_static_selectorELNS0_4arch9wavefront6targetE0EEEvSF_.has_dyn_sized_stack, 0
	.set _ZN7rocprim17ROCPRIM_400000_NS6detail17trampoline_kernelINS0_14default_configENS1_38merge_sort_block_merge_config_selectorImNS0_10empty_typeEEEZZNS1_27merge_sort_block_merge_implIS3_PmPS5_jNS1_19radix_merge_compareILb1ELb0EmNS0_19identity_decomposerEEEEE10hipError_tT0_T1_T2_jT3_P12ihipStream_tbPNSt15iterator_traitsISE_E10value_typeEPNSK_ISF_E10value_typeEPSG_NS1_7vsmem_tEENKUlT_SE_SF_SG_E_clIS8_S8_S9_S9_EESD_ST_SE_SF_SG_EUlST_E1_NS1_11comp_targetILNS1_3genE0ELNS1_11target_archE4294967295ELNS1_3gpuE0ELNS1_3repE0EEENS1_36merge_oddeven_config_static_selectorELNS0_4arch9wavefront6targetE0EEEvSF_.has_recursion, 0
	.set _ZN7rocprim17ROCPRIM_400000_NS6detail17trampoline_kernelINS0_14default_configENS1_38merge_sort_block_merge_config_selectorImNS0_10empty_typeEEEZZNS1_27merge_sort_block_merge_implIS3_PmPS5_jNS1_19radix_merge_compareILb1ELb0EmNS0_19identity_decomposerEEEEE10hipError_tT0_T1_T2_jT3_P12ihipStream_tbPNSt15iterator_traitsISE_E10value_typeEPNSK_ISF_E10value_typeEPSG_NS1_7vsmem_tEENKUlT_SE_SF_SG_E_clIS8_S8_S9_S9_EESD_ST_SE_SF_SG_EUlST_E1_NS1_11comp_targetILNS1_3genE0ELNS1_11target_archE4294967295ELNS1_3gpuE0ELNS1_3repE0EEENS1_36merge_oddeven_config_static_selectorELNS0_4arch9wavefront6targetE0EEEvSF_.has_indirect_call, 0
	.section	.AMDGPU.csdata,"",@progbits
; Kernel info:
; codeLenInByte = 636
; TotalNumSgprs: 18
; NumVgprs: 9
; ScratchSize: 0
; MemoryBound: 0
; FloatMode: 240
; IeeeMode: 1
; LDSByteSize: 0 bytes/workgroup (compile time only)
; SGPRBlocks: 0
; VGPRBlocks: 0
; NumSGPRsForWavesPerEU: 18
; NumVGPRsForWavesPerEU: 9
; NamedBarCnt: 0
; Occupancy: 16
; WaveLimiterHint : 0
; COMPUTE_PGM_RSRC2:SCRATCH_EN: 0
; COMPUTE_PGM_RSRC2:USER_SGPR: 2
; COMPUTE_PGM_RSRC2:TRAP_HANDLER: 0
; COMPUTE_PGM_RSRC2:TGID_X_EN: 1
; COMPUTE_PGM_RSRC2:TGID_Y_EN: 0
; COMPUTE_PGM_RSRC2:TGID_Z_EN: 0
; COMPUTE_PGM_RSRC2:TIDIG_COMP_CNT: 0
	.section	.text._ZN7rocprim17ROCPRIM_400000_NS6detail17trampoline_kernelINS0_14default_configENS1_38merge_sort_block_merge_config_selectorImNS0_10empty_typeEEEZZNS1_27merge_sort_block_merge_implIS3_PmPS5_jNS1_19radix_merge_compareILb1ELb0EmNS0_19identity_decomposerEEEEE10hipError_tT0_T1_T2_jT3_P12ihipStream_tbPNSt15iterator_traitsISE_E10value_typeEPNSK_ISF_E10value_typeEPSG_NS1_7vsmem_tEENKUlT_SE_SF_SG_E_clIS8_S8_S9_S9_EESD_ST_SE_SF_SG_EUlST_E1_NS1_11comp_targetILNS1_3genE10ELNS1_11target_archE1201ELNS1_3gpuE5ELNS1_3repE0EEENS1_36merge_oddeven_config_static_selectorELNS0_4arch9wavefront6targetE0EEEvSF_,"axG",@progbits,_ZN7rocprim17ROCPRIM_400000_NS6detail17trampoline_kernelINS0_14default_configENS1_38merge_sort_block_merge_config_selectorImNS0_10empty_typeEEEZZNS1_27merge_sort_block_merge_implIS3_PmPS5_jNS1_19radix_merge_compareILb1ELb0EmNS0_19identity_decomposerEEEEE10hipError_tT0_T1_T2_jT3_P12ihipStream_tbPNSt15iterator_traitsISE_E10value_typeEPNSK_ISF_E10value_typeEPSG_NS1_7vsmem_tEENKUlT_SE_SF_SG_E_clIS8_S8_S9_S9_EESD_ST_SE_SF_SG_EUlST_E1_NS1_11comp_targetILNS1_3genE10ELNS1_11target_archE1201ELNS1_3gpuE5ELNS1_3repE0EEENS1_36merge_oddeven_config_static_selectorELNS0_4arch9wavefront6targetE0EEEvSF_,comdat
	.protected	_ZN7rocprim17ROCPRIM_400000_NS6detail17trampoline_kernelINS0_14default_configENS1_38merge_sort_block_merge_config_selectorImNS0_10empty_typeEEEZZNS1_27merge_sort_block_merge_implIS3_PmPS5_jNS1_19radix_merge_compareILb1ELb0EmNS0_19identity_decomposerEEEEE10hipError_tT0_T1_T2_jT3_P12ihipStream_tbPNSt15iterator_traitsISE_E10value_typeEPNSK_ISF_E10value_typeEPSG_NS1_7vsmem_tEENKUlT_SE_SF_SG_E_clIS8_S8_S9_S9_EESD_ST_SE_SF_SG_EUlST_E1_NS1_11comp_targetILNS1_3genE10ELNS1_11target_archE1201ELNS1_3gpuE5ELNS1_3repE0EEENS1_36merge_oddeven_config_static_selectorELNS0_4arch9wavefront6targetE0EEEvSF_ ; -- Begin function _ZN7rocprim17ROCPRIM_400000_NS6detail17trampoline_kernelINS0_14default_configENS1_38merge_sort_block_merge_config_selectorImNS0_10empty_typeEEEZZNS1_27merge_sort_block_merge_implIS3_PmPS5_jNS1_19radix_merge_compareILb1ELb0EmNS0_19identity_decomposerEEEEE10hipError_tT0_T1_T2_jT3_P12ihipStream_tbPNSt15iterator_traitsISE_E10value_typeEPNSK_ISF_E10value_typeEPSG_NS1_7vsmem_tEENKUlT_SE_SF_SG_E_clIS8_S8_S9_S9_EESD_ST_SE_SF_SG_EUlST_E1_NS1_11comp_targetILNS1_3genE10ELNS1_11target_archE1201ELNS1_3gpuE5ELNS1_3repE0EEENS1_36merge_oddeven_config_static_selectorELNS0_4arch9wavefront6targetE0EEEvSF_
	.globl	_ZN7rocprim17ROCPRIM_400000_NS6detail17trampoline_kernelINS0_14default_configENS1_38merge_sort_block_merge_config_selectorImNS0_10empty_typeEEEZZNS1_27merge_sort_block_merge_implIS3_PmPS5_jNS1_19radix_merge_compareILb1ELb0EmNS0_19identity_decomposerEEEEE10hipError_tT0_T1_T2_jT3_P12ihipStream_tbPNSt15iterator_traitsISE_E10value_typeEPNSK_ISF_E10value_typeEPSG_NS1_7vsmem_tEENKUlT_SE_SF_SG_E_clIS8_S8_S9_S9_EESD_ST_SE_SF_SG_EUlST_E1_NS1_11comp_targetILNS1_3genE10ELNS1_11target_archE1201ELNS1_3gpuE5ELNS1_3repE0EEENS1_36merge_oddeven_config_static_selectorELNS0_4arch9wavefront6targetE0EEEvSF_
	.p2align	8
	.type	_ZN7rocprim17ROCPRIM_400000_NS6detail17trampoline_kernelINS0_14default_configENS1_38merge_sort_block_merge_config_selectorImNS0_10empty_typeEEEZZNS1_27merge_sort_block_merge_implIS3_PmPS5_jNS1_19radix_merge_compareILb1ELb0EmNS0_19identity_decomposerEEEEE10hipError_tT0_T1_T2_jT3_P12ihipStream_tbPNSt15iterator_traitsISE_E10value_typeEPNSK_ISF_E10value_typeEPSG_NS1_7vsmem_tEENKUlT_SE_SF_SG_E_clIS8_S8_S9_S9_EESD_ST_SE_SF_SG_EUlST_E1_NS1_11comp_targetILNS1_3genE10ELNS1_11target_archE1201ELNS1_3gpuE5ELNS1_3repE0EEENS1_36merge_oddeven_config_static_selectorELNS0_4arch9wavefront6targetE0EEEvSF_,@function
_ZN7rocprim17ROCPRIM_400000_NS6detail17trampoline_kernelINS0_14default_configENS1_38merge_sort_block_merge_config_selectorImNS0_10empty_typeEEEZZNS1_27merge_sort_block_merge_implIS3_PmPS5_jNS1_19radix_merge_compareILb1ELb0EmNS0_19identity_decomposerEEEEE10hipError_tT0_T1_T2_jT3_P12ihipStream_tbPNSt15iterator_traitsISE_E10value_typeEPNSK_ISF_E10value_typeEPSG_NS1_7vsmem_tEENKUlT_SE_SF_SG_E_clIS8_S8_S9_S9_EESD_ST_SE_SF_SG_EUlST_E1_NS1_11comp_targetILNS1_3genE10ELNS1_11target_archE1201ELNS1_3gpuE5ELNS1_3repE0EEENS1_36merge_oddeven_config_static_selectorELNS0_4arch9wavefront6targetE0EEEvSF_: ; @_ZN7rocprim17ROCPRIM_400000_NS6detail17trampoline_kernelINS0_14default_configENS1_38merge_sort_block_merge_config_selectorImNS0_10empty_typeEEEZZNS1_27merge_sort_block_merge_implIS3_PmPS5_jNS1_19radix_merge_compareILb1ELb0EmNS0_19identity_decomposerEEEEE10hipError_tT0_T1_T2_jT3_P12ihipStream_tbPNSt15iterator_traitsISE_E10value_typeEPNSK_ISF_E10value_typeEPSG_NS1_7vsmem_tEENKUlT_SE_SF_SG_E_clIS8_S8_S9_S9_EESD_ST_SE_SF_SG_EUlST_E1_NS1_11comp_targetILNS1_3genE10ELNS1_11target_archE1201ELNS1_3gpuE5ELNS1_3repE0EEENS1_36merge_oddeven_config_static_selectorELNS0_4arch9wavefront6targetE0EEEvSF_
; %bb.0:
	.section	.rodata,"a",@progbits
	.p2align	6, 0x0
	.amdhsa_kernel _ZN7rocprim17ROCPRIM_400000_NS6detail17trampoline_kernelINS0_14default_configENS1_38merge_sort_block_merge_config_selectorImNS0_10empty_typeEEEZZNS1_27merge_sort_block_merge_implIS3_PmPS5_jNS1_19radix_merge_compareILb1ELb0EmNS0_19identity_decomposerEEEEE10hipError_tT0_T1_T2_jT3_P12ihipStream_tbPNSt15iterator_traitsISE_E10value_typeEPNSK_ISF_E10value_typeEPSG_NS1_7vsmem_tEENKUlT_SE_SF_SG_E_clIS8_S8_S9_S9_EESD_ST_SE_SF_SG_EUlST_E1_NS1_11comp_targetILNS1_3genE10ELNS1_11target_archE1201ELNS1_3gpuE5ELNS1_3repE0EEENS1_36merge_oddeven_config_static_selectorELNS0_4arch9wavefront6targetE0EEEvSF_
		.amdhsa_group_segment_fixed_size 0
		.amdhsa_private_segment_fixed_size 0
		.amdhsa_kernarg_size 48
		.amdhsa_user_sgpr_count 2
		.amdhsa_user_sgpr_dispatch_ptr 0
		.amdhsa_user_sgpr_queue_ptr 0
		.amdhsa_user_sgpr_kernarg_segment_ptr 1
		.amdhsa_user_sgpr_dispatch_id 0
		.amdhsa_user_sgpr_kernarg_preload_length 0
		.amdhsa_user_sgpr_kernarg_preload_offset 0
		.amdhsa_user_sgpr_private_segment_size 0
		.amdhsa_wavefront_size32 1
		.amdhsa_uses_dynamic_stack 0
		.amdhsa_enable_private_segment 0
		.amdhsa_system_sgpr_workgroup_id_x 1
		.amdhsa_system_sgpr_workgroup_id_y 0
		.amdhsa_system_sgpr_workgroup_id_z 0
		.amdhsa_system_sgpr_workgroup_info 0
		.amdhsa_system_vgpr_workitem_id 0
		.amdhsa_next_free_vgpr 1
		.amdhsa_next_free_sgpr 1
		.amdhsa_named_barrier_count 0
		.amdhsa_reserve_vcc 0
		.amdhsa_float_round_mode_32 0
		.amdhsa_float_round_mode_16_64 0
		.amdhsa_float_denorm_mode_32 3
		.amdhsa_float_denorm_mode_16_64 3
		.amdhsa_fp16_overflow 0
		.amdhsa_memory_ordered 1
		.amdhsa_forward_progress 1
		.amdhsa_inst_pref_size 0
		.amdhsa_round_robin_scheduling 0
		.amdhsa_exception_fp_ieee_invalid_op 0
		.amdhsa_exception_fp_denorm_src 0
		.amdhsa_exception_fp_ieee_div_zero 0
		.amdhsa_exception_fp_ieee_overflow 0
		.amdhsa_exception_fp_ieee_underflow 0
		.amdhsa_exception_fp_ieee_inexact 0
		.amdhsa_exception_int_div_zero 0
	.end_amdhsa_kernel
	.section	.text._ZN7rocprim17ROCPRIM_400000_NS6detail17trampoline_kernelINS0_14default_configENS1_38merge_sort_block_merge_config_selectorImNS0_10empty_typeEEEZZNS1_27merge_sort_block_merge_implIS3_PmPS5_jNS1_19radix_merge_compareILb1ELb0EmNS0_19identity_decomposerEEEEE10hipError_tT0_T1_T2_jT3_P12ihipStream_tbPNSt15iterator_traitsISE_E10value_typeEPNSK_ISF_E10value_typeEPSG_NS1_7vsmem_tEENKUlT_SE_SF_SG_E_clIS8_S8_S9_S9_EESD_ST_SE_SF_SG_EUlST_E1_NS1_11comp_targetILNS1_3genE10ELNS1_11target_archE1201ELNS1_3gpuE5ELNS1_3repE0EEENS1_36merge_oddeven_config_static_selectorELNS0_4arch9wavefront6targetE0EEEvSF_,"axG",@progbits,_ZN7rocprim17ROCPRIM_400000_NS6detail17trampoline_kernelINS0_14default_configENS1_38merge_sort_block_merge_config_selectorImNS0_10empty_typeEEEZZNS1_27merge_sort_block_merge_implIS3_PmPS5_jNS1_19radix_merge_compareILb1ELb0EmNS0_19identity_decomposerEEEEE10hipError_tT0_T1_T2_jT3_P12ihipStream_tbPNSt15iterator_traitsISE_E10value_typeEPNSK_ISF_E10value_typeEPSG_NS1_7vsmem_tEENKUlT_SE_SF_SG_E_clIS8_S8_S9_S9_EESD_ST_SE_SF_SG_EUlST_E1_NS1_11comp_targetILNS1_3genE10ELNS1_11target_archE1201ELNS1_3gpuE5ELNS1_3repE0EEENS1_36merge_oddeven_config_static_selectorELNS0_4arch9wavefront6targetE0EEEvSF_,comdat
.Lfunc_end2815:
	.size	_ZN7rocprim17ROCPRIM_400000_NS6detail17trampoline_kernelINS0_14default_configENS1_38merge_sort_block_merge_config_selectorImNS0_10empty_typeEEEZZNS1_27merge_sort_block_merge_implIS3_PmPS5_jNS1_19radix_merge_compareILb1ELb0EmNS0_19identity_decomposerEEEEE10hipError_tT0_T1_T2_jT3_P12ihipStream_tbPNSt15iterator_traitsISE_E10value_typeEPNSK_ISF_E10value_typeEPSG_NS1_7vsmem_tEENKUlT_SE_SF_SG_E_clIS8_S8_S9_S9_EESD_ST_SE_SF_SG_EUlST_E1_NS1_11comp_targetILNS1_3genE10ELNS1_11target_archE1201ELNS1_3gpuE5ELNS1_3repE0EEENS1_36merge_oddeven_config_static_selectorELNS0_4arch9wavefront6targetE0EEEvSF_, .Lfunc_end2815-_ZN7rocprim17ROCPRIM_400000_NS6detail17trampoline_kernelINS0_14default_configENS1_38merge_sort_block_merge_config_selectorImNS0_10empty_typeEEEZZNS1_27merge_sort_block_merge_implIS3_PmPS5_jNS1_19radix_merge_compareILb1ELb0EmNS0_19identity_decomposerEEEEE10hipError_tT0_T1_T2_jT3_P12ihipStream_tbPNSt15iterator_traitsISE_E10value_typeEPNSK_ISF_E10value_typeEPSG_NS1_7vsmem_tEENKUlT_SE_SF_SG_E_clIS8_S8_S9_S9_EESD_ST_SE_SF_SG_EUlST_E1_NS1_11comp_targetILNS1_3genE10ELNS1_11target_archE1201ELNS1_3gpuE5ELNS1_3repE0EEENS1_36merge_oddeven_config_static_selectorELNS0_4arch9wavefront6targetE0EEEvSF_
                                        ; -- End function
	.set _ZN7rocprim17ROCPRIM_400000_NS6detail17trampoline_kernelINS0_14default_configENS1_38merge_sort_block_merge_config_selectorImNS0_10empty_typeEEEZZNS1_27merge_sort_block_merge_implIS3_PmPS5_jNS1_19radix_merge_compareILb1ELb0EmNS0_19identity_decomposerEEEEE10hipError_tT0_T1_T2_jT3_P12ihipStream_tbPNSt15iterator_traitsISE_E10value_typeEPNSK_ISF_E10value_typeEPSG_NS1_7vsmem_tEENKUlT_SE_SF_SG_E_clIS8_S8_S9_S9_EESD_ST_SE_SF_SG_EUlST_E1_NS1_11comp_targetILNS1_3genE10ELNS1_11target_archE1201ELNS1_3gpuE5ELNS1_3repE0EEENS1_36merge_oddeven_config_static_selectorELNS0_4arch9wavefront6targetE0EEEvSF_.num_vgpr, 0
	.set _ZN7rocprim17ROCPRIM_400000_NS6detail17trampoline_kernelINS0_14default_configENS1_38merge_sort_block_merge_config_selectorImNS0_10empty_typeEEEZZNS1_27merge_sort_block_merge_implIS3_PmPS5_jNS1_19radix_merge_compareILb1ELb0EmNS0_19identity_decomposerEEEEE10hipError_tT0_T1_T2_jT3_P12ihipStream_tbPNSt15iterator_traitsISE_E10value_typeEPNSK_ISF_E10value_typeEPSG_NS1_7vsmem_tEENKUlT_SE_SF_SG_E_clIS8_S8_S9_S9_EESD_ST_SE_SF_SG_EUlST_E1_NS1_11comp_targetILNS1_3genE10ELNS1_11target_archE1201ELNS1_3gpuE5ELNS1_3repE0EEENS1_36merge_oddeven_config_static_selectorELNS0_4arch9wavefront6targetE0EEEvSF_.num_agpr, 0
	.set _ZN7rocprim17ROCPRIM_400000_NS6detail17trampoline_kernelINS0_14default_configENS1_38merge_sort_block_merge_config_selectorImNS0_10empty_typeEEEZZNS1_27merge_sort_block_merge_implIS3_PmPS5_jNS1_19radix_merge_compareILb1ELb0EmNS0_19identity_decomposerEEEEE10hipError_tT0_T1_T2_jT3_P12ihipStream_tbPNSt15iterator_traitsISE_E10value_typeEPNSK_ISF_E10value_typeEPSG_NS1_7vsmem_tEENKUlT_SE_SF_SG_E_clIS8_S8_S9_S9_EESD_ST_SE_SF_SG_EUlST_E1_NS1_11comp_targetILNS1_3genE10ELNS1_11target_archE1201ELNS1_3gpuE5ELNS1_3repE0EEENS1_36merge_oddeven_config_static_selectorELNS0_4arch9wavefront6targetE0EEEvSF_.numbered_sgpr, 0
	.set _ZN7rocprim17ROCPRIM_400000_NS6detail17trampoline_kernelINS0_14default_configENS1_38merge_sort_block_merge_config_selectorImNS0_10empty_typeEEEZZNS1_27merge_sort_block_merge_implIS3_PmPS5_jNS1_19radix_merge_compareILb1ELb0EmNS0_19identity_decomposerEEEEE10hipError_tT0_T1_T2_jT3_P12ihipStream_tbPNSt15iterator_traitsISE_E10value_typeEPNSK_ISF_E10value_typeEPSG_NS1_7vsmem_tEENKUlT_SE_SF_SG_E_clIS8_S8_S9_S9_EESD_ST_SE_SF_SG_EUlST_E1_NS1_11comp_targetILNS1_3genE10ELNS1_11target_archE1201ELNS1_3gpuE5ELNS1_3repE0EEENS1_36merge_oddeven_config_static_selectorELNS0_4arch9wavefront6targetE0EEEvSF_.num_named_barrier, 0
	.set _ZN7rocprim17ROCPRIM_400000_NS6detail17trampoline_kernelINS0_14default_configENS1_38merge_sort_block_merge_config_selectorImNS0_10empty_typeEEEZZNS1_27merge_sort_block_merge_implIS3_PmPS5_jNS1_19radix_merge_compareILb1ELb0EmNS0_19identity_decomposerEEEEE10hipError_tT0_T1_T2_jT3_P12ihipStream_tbPNSt15iterator_traitsISE_E10value_typeEPNSK_ISF_E10value_typeEPSG_NS1_7vsmem_tEENKUlT_SE_SF_SG_E_clIS8_S8_S9_S9_EESD_ST_SE_SF_SG_EUlST_E1_NS1_11comp_targetILNS1_3genE10ELNS1_11target_archE1201ELNS1_3gpuE5ELNS1_3repE0EEENS1_36merge_oddeven_config_static_selectorELNS0_4arch9wavefront6targetE0EEEvSF_.private_seg_size, 0
	.set _ZN7rocprim17ROCPRIM_400000_NS6detail17trampoline_kernelINS0_14default_configENS1_38merge_sort_block_merge_config_selectorImNS0_10empty_typeEEEZZNS1_27merge_sort_block_merge_implIS3_PmPS5_jNS1_19radix_merge_compareILb1ELb0EmNS0_19identity_decomposerEEEEE10hipError_tT0_T1_T2_jT3_P12ihipStream_tbPNSt15iterator_traitsISE_E10value_typeEPNSK_ISF_E10value_typeEPSG_NS1_7vsmem_tEENKUlT_SE_SF_SG_E_clIS8_S8_S9_S9_EESD_ST_SE_SF_SG_EUlST_E1_NS1_11comp_targetILNS1_3genE10ELNS1_11target_archE1201ELNS1_3gpuE5ELNS1_3repE0EEENS1_36merge_oddeven_config_static_selectorELNS0_4arch9wavefront6targetE0EEEvSF_.uses_vcc, 0
	.set _ZN7rocprim17ROCPRIM_400000_NS6detail17trampoline_kernelINS0_14default_configENS1_38merge_sort_block_merge_config_selectorImNS0_10empty_typeEEEZZNS1_27merge_sort_block_merge_implIS3_PmPS5_jNS1_19radix_merge_compareILb1ELb0EmNS0_19identity_decomposerEEEEE10hipError_tT0_T1_T2_jT3_P12ihipStream_tbPNSt15iterator_traitsISE_E10value_typeEPNSK_ISF_E10value_typeEPSG_NS1_7vsmem_tEENKUlT_SE_SF_SG_E_clIS8_S8_S9_S9_EESD_ST_SE_SF_SG_EUlST_E1_NS1_11comp_targetILNS1_3genE10ELNS1_11target_archE1201ELNS1_3gpuE5ELNS1_3repE0EEENS1_36merge_oddeven_config_static_selectorELNS0_4arch9wavefront6targetE0EEEvSF_.uses_flat_scratch, 0
	.set _ZN7rocprim17ROCPRIM_400000_NS6detail17trampoline_kernelINS0_14default_configENS1_38merge_sort_block_merge_config_selectorImNS0_10empty_typeEEEZZNS1_27merge_sort_block_merge_implIS3_PmPS5_jNS1_19radix_merge_compareILb1ELb0EmNS0_19identity_decomposerEEEEE10hipError_tT0_T1_T2_jT3_P12ihipStream_tbPNSt15iterator_traitsISE_E10value_typeEPNSK_ISF_E10value_typeEPSG_NS1_7vsmem_tEENKUlT_SE_SF_SG_E_clIS8_S8_S9_S9_EESD_ST_SE_SF_SG_EUlST_E1_NS1_11comp_targetILNS1_3genE10ELNS1_11target_archE1201ELNS1_3gpuE5ELNS1_3repE0EEENS1_36merge_oddeven_config_static_selectorELNS0_4arch9wavefront6targetE0EEEvSF_.has_dyn_sized_stack, 0
	.set _ZN7rocprim17ROCPRIM_400000_NS6detail17trampoline_kernelINS0_14default_configENS1_38merge_sort_block_merge_config_selectorImNS0_10empty_typeEEEZZNS1_27merge_sort_block_merge_implIS3_PmPS5_jNS1_19radix_merge_compareILb1ELb0EmNS0_19identity_decomposerEEEEE10hipError_tT0_T1_T2_jT3_P12ihipStream_tbPNSt15iterator_traitsISE_E10value_typeEPNSK_ISF_E10value_typeEPSG_NS1_7vsmem_tEENKUlT_SE_SF_SG_E_clIS8_S8_S9_S9_EESD_ST_SE_SF_SG_EUlST_E1_NS1_11comp_targetILNS1_3genE10ELNS1_11target_archE1201ELNS1_3gpuE5ELNS1_3repE0EEENS1_36merge_oddeven_config_static_selectorELNS0_4arch9wavefront6targetE0EEEvSF_.has_recursion, 0
	.set _ZN7rocprim17ROCPRIM_400000_NS6detail17trampoline_kernelINS0_14default_configENS1_38merge_sort_block_merge_config_selectorImNS0_10empty_typeEEEZZNS1_27merge_sort_block_merge_implIS3_PmPS5_jNS1_19radix_merge_compareILb1ELb0EmNS0_19identity_decomposerEEEEE10hipError_tT0_T1_T2_jT3_P12ihipStream_tbPNSt15iterator_traitsISE_E10value_typeEPNSK_ISF_E10value_typeEPSG_NS1_7vsmem_tEENKUlT_SE_SF_SG_E_clIS8_S8_S9_S9_EESD_ST_SE_SF_SG_EUlST_E1_NS1_11comp_targetILNS1_3genE10ELNS1_11target_archE1201ELNS1_3gpuE5ELNS1_3repE0EEENS1_36merge_oddeven_config_static_selectorELNS0_4arch9wavefront6targetE0EEEvSF_.has_indirect_call, 0
	.section	.AMDGPU.csdata,"",@progbits
; Kernel info:
; codeLenInByte = 0
; TotalNumSgprs: 0
; NumVgprs: 0
; ScratchSize: 0
; MemoryBound: 0
; FloatMode: 240
; IeeeMode: 1
; LDSByteSize: 0 bytes/workgroup (compile time only)
; SGPRBlocks: 0
; VGPRBlocks: 0
; NumSGPRsForWavesPerEU: 1
; NumVGPRsForWavesPerEU: 1
; NamedBarCnt: 0
; Occupancy: 16
; WaveLimiterHint : 0
; COMPUTE_PGM_RSRC2:SCRATCH_EN: 0
; COMPUTE_PGM_RSRC2:USER_SGPR: 2
; COMPUTE_PGM_RSRC2:TRAP_HANDLER: 0
; COMPUTE_PGM_RSRC2:TGID_X_EN: 1
; COMPUTE_PGM_RSRC2:TGID_Y_EN: 0
; COMPUTE_PGM_RSRC2:TGID_Z_EN: 0
; COMPUTE_PGM_RSRC2:TIDIG_COMP_CNT: 0
	.section	.text._ZN7rocprim17ROCPRIM_400000_NS6detail17trampoline_kernelINS0_14default_configENS1_38merge_sort_block_merge_config_selectorImNS0_10empty_typeEEEZZNS1_27merge_sort_block_merge_implIS3_PmPS5_jNS1_19radix_merge_compareILb1ELb0EmNS0_19identity_decomposerEEEEE10hipError_tT0_T1_T2_jT3_P12ihipStream_tbPNSt15iterator_traitsISE_E10value_typeEPNSK_ISF_E10value_typeEPSG_NS1_7vsmem_tEENKUlT_SE_SF_SG_E_clIS8_S8_S9_S9_EESD_ST_SE_SF_SG_EUlST_E1_NS1_11comp_targetILNS1_3genE5ELNS1_11target_archE942ELNS1_3gpuE9ELNS1_3repE0EEENS1_36merge_oddeven_config_static_selectorELNS0_4arch9wavefront6targetE0EEEvSF_,"axG",@progbits,_ZN7rocprim17ROCPRIM_400000_NS6detail17trampoline_kernelINS0_14default_configENS1_38merge_sort_block_merge_config_selectorImNS0_10empty_typeEEEZZNS1_27merge_sort_block_merge_implIS3_PmPS5_jNS1_19radix_merge_compareILb1ELb0EmNS0_19identity_decomposerEEEEE10hipError_tT0_T1_T2_jT3_P12ihipStream_tbPNSt15iterator_traitsISE_E10value_typeEPNSK_ISF_E10value_typeEPSG_NS1_7vsmem_tEENKUlT_SE_SF_SG_E_clIS8_S8_S9_S9_EESD_ST_SE_SF_SG_EUlST_E1_NS1_11comp_targetILNS1_3genE5ELNS1_11target_archE942ELNS1_3gpuE9ELNS1_3repE0EEENS1_36merge_oddeven_config_static_selectorELNS0_4arch9wavefront6targetE0EEEvSF_,comdat
	.protected	_ZN7rocprim17ROCPRIM_400000_NS6detail17trampoline_kernelINS0_14default_configENS1_38merge_sort_block_merge_config_selectorImNS0_10empty_typeEEEZZNS1_27merge_sort_block_merge_implIS3_PmPS5_jNS1_19radix_merge_compareILb1ELb0EmNS0_19identity_decomposerEEEEE10hipError_tT0_T1_T2_jT3_P12ihipStream_tbPNSt15iterator_traitsISE_E10value_typeEPNSK_ISF_E10value_typeEPSG_NS1_7vsmem_tEENKUlT_SE_SF_SG_E_clIS8_S8_S9_S9_EESD_ST_SE_SF_SG_EUlST_E1_NS1_11comp_targetILNS1_3genE5ELNS1_11target_archE942ELNS1_3gpuE9ELNS1_3repE0EEENS1_36merge_oddeven_config_static_selectorELNS0_4arch9wavefront6targetE0EEEvSF_ ; -- Begin function _ZN7rocprim17ROCPRIM_400000_NS6detail17trampoline_kernelINS0_14default_configENS1_38merge_sort_block_merge_config_selectorImNS0_10empty_typeEEEZZNS1_27merge_sort_block_merge_implIS3_PmPS5_jNS1_19radix_merge_compareILb1ELb0EmNS0_19identity_decomposerEEEEE10hipError_tT0_T1_T2_jT3_P12ihipStream_tbPNSt15iterator_traitsISE_E10value_typeEPNSK_ISF_E10value_typeEPSG_NS1_7vsmem_tEENKUlT_SE_SF_SG_E_clIS8_S8_S9_S9_EESD_ST_SE_SF_SG_EUlST_E1_NS1_11comp_targetILNS1_3genE5ELNS1_11target_archE942ELNS1_3gpuE9ELNS1_3repE0EEENS1_36merge_oddeven_config_static_selectorELNS0_4arch9wavefront6targetE0EEEvSF_
	.globl	_ZN7rocprim17ROCPRIM_400000_NS6detail17trampoline_kernelINS0_14default_configENS1_38merge_sort_block_merge_config_selectorImNS0_10empty_typeEEEZZNS1_27merge_sort_block_merge_implIS3_PmPS5_jNS1_19radix_merge_compareILb1ELb0EmNS0_19identity_decomposerEEEEE10hipError_tT0_T1_T2_jT3_P12ihipStream_tbPNSt15iterator_traitsISE_E10value_typeEPNSK_ISF_E10value_typeEPSG_NS1_7vsmem_tEENKUlT_SE_SF_SG_E_clIS8_S8_S9_S9_EESD_ST_SE_SF_SG_EUlST_E1_NS1_11comp_targetILNS1_3genE5ELNS1_11target_archE942ELNS1_3gpuE9ELNS1_3repE0EEENS1_36merge_oddeven_config_static_selectorELNS0_4arch9wavefront6targetE0EEEvSF_
	.p2align	8
	.type	_ZN7rocprim17ROCPRIM_400000_NS6detail17trampoline_kernelINS0_14default_configENS1_38merge_sort_block_merge_config_selectorImNS0_10empty_typeEEEZZNS1_27merge_sort_block_merge_implIS3_PmPS5_jNS1_19radix_merge_compareILb1ELb0EmNS0_19identity_decomposerEEEEE10hipError_tT0_T1_T2_jT3_P12ihipStream_tbPNSt15iterator_traitsISE_E10value_typeEPNSK_ISF_E10value_typeEPSG_NS1_7vsmem_tEENKUlT_SE_SF_SG_E_clIS8_S8_S9_S9_EESD_ST_SE_SF_SG_EUlST_E1_NS1_11comp_targetILNS1_3genE5ELNS1_11target_archE942ELNS1_3gpuE9ELNS1_3repE0EEENS1_36merge_oddeven_config_static_selectorELNS0_4arch9wavefront6targetE0EEEvSF_,@function
_ZN7rocprim17ROCPRIM_400000_NS6detail17trampoline_kernelINS0_14default_configENS1_38merge_sort_block_merge_config_selectorImNS0_10empty_typeEEEZZNS1_27merge_sort_block_merge_implIS3_PmPS5_jNS1_19radix_merge_compareILb1ELb0EmNS0_19identity_decomposerEEEEE10hipError_tT0_T1_T2_jT3_P12ihipStream_tbPNSt15iterator_traitsISE_E10value_typeEPNSK_ISF_E10value_typeEPSG_NS1_7vsmem_tEENKUlT_SE_SF_SG_E_clIS8_S8_S9_S9_EESD_ST_SE_SF_SG_EUlST_E1_NS1_11comp_targetILNS1_3genE5ELNS1_11target_archE942ELNS1_3gpuE9ELNS1_3repE0EEENS1_36merge_oddeven_config_static_selectorELNS0_4arch9wavefront6targetE0EEEvSF_: ; @_ZN7rocprim17ROCPRIM_400000_NS6detail17trampoline_kernelINS0_14default_configENS1_38merge_sort_block_merge_config_selectorImNS0_10empty_typeEEEZZNS1_27merge_sort_block_merge_implIS3_PmPS5_jNS1_19radix_merge_compareILb1ELb0EmNS0_19identity_decomposerEEEEE10hipError_tT0_T1_T2_jT3_P12ihipStream_tbPNSt15iterator_traitsISE_E10value_typeEPNSK_ISF_E10value_typeEPSG_NS1_7vsmem_tEENKUlT_SE_SF_SG_E_clIS8_S8_S9_S9_EESD_ST_SE_SF_SG_EUlST_E1_NS1_11comp_targetILNS1_3genE5ELNS1_11target_archE942ELNS1_3gpuE9ELNS1_3repE0EEENS1_36merge_oddeven_config_static_selectorELNS0_4arch9wavefront6targetE0EEEvSF_
; %bb.0:
	.section	.rodata,"a",@progbits
	.p2align	6, 0x0
	.amdhsa_kernel _ZN7rocprim17ROCPRIM_400000_NS6detail17trampoline_kernelINS0_14default_configENS1_38merge_sort_block_merge_config_selectorImNS0_10empty_typeEEEZZNS1_27merge_sort_block_merge_implIS3_PmPS5_jNS1_19radix_merge_compareILb1ELb0EmNS0_19identity_decomposerEEEEE10hipError_tT0_T1_T2_jT3_P12ihipStream_tbPNSt15iterator_traitsISE_E10value_typeEPNSK_ISF_E10value_typeEPSG_NS1_7vsmem_tEENKUlT_SE_SF_SG_E_clIS8_S8_S9_S9_EESD_ST_SE_SF_SG_EUlST_E1_NS1_11comp_targetILNS1_3genE5ELNS1_11target_archE942ELNS1_3gpuE9ELNS1_3repE0EEENS1_36merge_oddeven_config_static_selectorELNS0_4arch9wavefront6targetE0EEEvSF_
		.amdhsa_group_segment_fixed_size 0
		.amdhsa_private_segment_fixed_size 0
		.amdhsa_kernarg_size 48
		.amdhsa_user_sgpr_count 2
		.amdhsa_user_sgpr_dispatch_ptr 0
		.amdhsa_user_sgpr_queue_ptr 0
		.amdhsa_user_sgpr_kernarg_segment_ptr 1
		.amdhsa_user_sgpr_dispatch_id 0
		.amdhsa_user_sgpr_kernarg_preload_length 0
		.amdhsa_user_sgpr_kernarg_preload_offset 0
		.amdhsa_user_sgpr_private_segment_size 0
		.amdhsa_wavefront_size32 1
		.amdhsa_uses_dynamic_stack 0
		.amdhsa_enable_private_segment 0
		.amdhsa_system_sgpr_workgroup_id_x 1
		.amdhsa_system_sgpr_workgroup_id_y 0
		.amdhsa_system_sgpr_workgroup_id_z 0
		.amdhsa_system_sgpr_workgroup_info 0
		.amdhsa_system_vgpr_workitem_id 0
		.amdhsa_next_free_vgpr 1
		.amdhsa_next_free_sgpr 1
		.amdhsa_named_barrier_count 0
		.amdhsa_reserve_vcc 0
		.amdhsa_float_round_mode_32 0
		.amdhsa_float_round_mode_16_64 0
		.amdhsa_float_denorm_mode_32 3
		.amdhsa_float_denorm_mode_16_64 3
		.amdhsa_fp16_overflow 0
		.amdhsa_memory_ordered 1
		.amdhsa_forward_progress 1
		.amdhsa_inst_pref_size 0
		.amdhsa_round_robin_scheduling 0
		.amdhsa_exception_fp_ieee_invalid_op 0
		.amdhsa_exception_fp_denorm_src 0
		.amdhsa_exception_fp_ieee_div_zero 0
		.amdhsa_exception_fp_ieee_overflow 0
		.amdhsa_exception_fp_ieee_underflow 0
		.amdhsa_exception_fp_ieee_inexact 0
		.amdhsa_exception_int_div_zero 0
	.end_amdhsa_kernel
	.section	.text._ZN7rocprim17ROCPRIM_400000_NS6detail17trampoline_kernelINS0_14default_configENS1_38merge_sort_block_merge_config_selectorImNS0_10empty_typeEEEZZNS1_27merge_sort_block_merge_implIS3_PmPS5_jNS1_19radix_merge_compareILb1ELb0EmNS0_19identity_decomposerEEEEE10hipError_tT0_T1_T2_jT3_P12ihipStream_tbPNSt15iterator_traitsISE_E10value_typeEPNSK_ISF_E10value_typeEPSG_NS1_7vsmem_tEENKUlT_SE_SF_SG_E_clIS8_S8_S9_S9_EESD_ST_SE_SF_SG_EUlST_E1_NS1_11comp_targetILNS1_3genE5ELNS1_11target_archE942ELNS1_3gpuE9ELNS1_3repE0EEENS1_36merge_oddeven_config_static_selectorELNS0_4arch9wavefront6targetE0EEEvSF_,"axG",@progbits,_ZN7rocprim17ROCPRIM_400000_NS6detail17trampoline_kernelINS0_14default_configENS1_38merge_sort_block_merge_config_selectorImNS0_10empty_typeEEEZZNS1_27merge_sort_block_merge_implIS3_PmPS5_jNS1_19radix_merge_compareILb1ELb0EmNS0_19identity_decomposerEEEEE10hipError_tT0_T1_T2_jT3_P12ihipStream_tbPNSt15iterator_traitsISE_E10value_typeEPNSK_ISF_E10value_typeEPSG_NS1_7vsmem_tEENKUlT_SE_SF_SG_E_clIS8_S8_S9_S9_EESD_ST_SE_SF_SG_EUlST_E1_NS1_11comp_targetILNS1_3genE5ELNS1_11target_archE942ELNS1_3gpuE9ELNS1_3repE0EEENS1_36merge_oddeven_config_static_selectorELNS0_4arch9wavefront6targetE0EEEvSF_,comdat
.Lfunc_end2816:
	.size	_ZN7rocprim17ROCPRIM_400000_NS6detail17trampoline_kernelINS0_14default_configENS1_38merge_sort_block_merge_config_selectorImNS0_10empty_typeEEEZZNS1_27merge_sort_block_merge_implIS3_PmPS5_jNS1_19radix_merge_compareILb1ELb0EmNS0_19identity_decomposerEEEEE10hipError_tT0_T1_T2_jT3_P12ihipStream_tbPNSt15iterator_traitsISE_E10value_typeEPNSK_ISF_E10value_typeEPSG_NS1_7vsmem_tEENKUlT_SE_SF_SG_E_clIS8_S8_S9_S9_EESD_ST_SE_SF_SG_EUlST_E1_NS1_11comp_targetILNS1_3genE5ELNS1_11target_archE942ELNS1_3gpuE9ELNS1_3repE0EEENS1_36merge_oddeven_config_static_selectorELNS0_4arch9wavefront6targetE0EEEvSF_, .Lfunc_end2816-_ZN7rocprim17ROCPRIM_400000_NS6detail17trampoline_kernelINS0_14default_configENS1_38merge_sort_block_merge_config_selectorImNS0_10empty_typeEEEZZNS1_27merge_sort_block_merge_implIS3_PmPS5_jNS1_19radix_merge_compareILb1ELb0EmNS0_19identity_decomposerEEEEE10hipError_tT0_T1_T2_jT3_P12ihipStream_tbPNSt15iterator_traitsISE_E10value_typeEPNSK_ISF_E10value_typeEPSG_NS1_7vsmem_tEENKUlT_SE_SF_SG_E_clIS8_S8_S9_S9_EESD_ST_SE_SF_SG_EUlST_E1_NS1_11comp_targetILNS1_3genE5ELNS1_11target_archE942ELNS1_3gpuE9ELNS1_3repE0EEENS1_36merge_oddeven_config_static_selectorELNS0_4arch9wavefront6targetE0EEEvSF_
                                        ; -- End function
	.set _ZN7rocprim17ROCPRIM_400000_NS6detail17trampoline_kernelINS0_14default_configENS1_38merge_sort_block_merge_config_selectorImNS0_10empty_typeEEEZZNS1_27merge_sort_block_merge_implIS3_PmPS5_jNS1_19radix_merge_compareILb1ELb0EmNS0_19identity_decomposerEEEEE10hipError_tT0_T1_T2_jT3_P12ihipStream_tbPNSt15iterator_traitsISE_E10value_typeEPNSK_ISF_E10value_typeEPSG_NS1_7vsmem_tEENKUlT_SE_SF_SG_E_clIS8_S8_S9_S9_EESD_ST_SE_SF_SG_EUlST_E1_NS1_11comp_targetILNS1_3genE5ELNS1_11target_archE942ELNS1_3gpuE9ELNS1_3repE0EEENS1_36merge_oddeven_config_static_selectorELNS0_4arch9wavefront6targetE0EEEvSF_.num_vgpr, 0
	.set _ZN7rocprim17ROCPRIM_400000_NS6detail17trampoline_kernelINS0_14default_configENS1_38merge_sort_block_merge_config_selectorImNS0_10empty_typeEEEZZNS1_27merge_sort_block_merge_implIS3_PmPS5_jNS1_19radix_merge_compareILb1ELb0EmNS0_19identity_decomposerEEEEE10hipError_tT0_T1_T2_jT3_P12ihipStream_tbPNSt15iterator_traitsISE_E10value_typeEPNSK_ISF_E10value_typeEPSG_NS1_7vsmem_tEENKUlT_SE_SF_SG_E_clIS8_S8_S9_S9_EESD_ST_SE_SF_SG_EUlST_E1_NS1_11comp_targetILNS1_3genE5ELNS1_11target_archE942ELNS1_3gpuE9ELNS1_3repE0EEENS1_36merge_oddeven_config_static_selectorELNS0_4arch9wavefront6targetE0EEEvSF_.num_agpr, 0
	.set _ZN7rocprim17ROCPRIM_400000_NS6detail17trampoline_kernelINS0_14default_configENS1_38merge_sort_block_merge_config_selectorImNS0_10empty_typeEEEZZNS1_27merge_sort_block_merge_implIS3_PmPS5_jNS1_19radix_merge_compareILb1ELb0EmNS0_19identity_decomposerEEEEE10hipError_tT0_T1_T2_jT3_P12ihipStream_tbPNSt15iterator_traitsISE_E10value_typeEPNSK_ISF_E10value_typeEPSG_NS1_7vsmem_tEENKUlT_SE_SF_SG_E_clIS8_S8_S9_S9_EESD_ST_SE_SF_SG_EUlST_E1_NS1_11comp_targetILNS1_3genE5ELNS1_11target_archE942ELNS1_3gpuE9ELNS1_3repE0EEENS1_36merge_oddeven_config_static_selectorELNS0_4arch9wavefront6targetE0EEEvSF_.numbered_sgpr, 0
	.set _ZN7rocprim17ROCPRIM_400000_NS6detail17trampoline_kernelINS0_14default_configENS1_38merge_sort_block_merge_config_selectorImNS0_10empty_typeEEEZZNS1_27merge_sort_block_merge_implIS3_PmPS5_jNS1_19radix_merge_compareILb1ELb0EmNS0_19identity_decomposerEEEEE10hipError_tT0_T1_T2_jT3_P12ihipStream_tbPNSt15iterator_traitsISE_E10value_typeEPNSK_ISF_E10value_typeEPSG_NS1_7vsmem_tEENKUlT_SE_SF_SG_E_clIS8_S8_S9_S9_EESD_ST_SE_SF_SG_EUlST_E1_NS1_11comp_targetILNS1_3genE5ELNS1_11target_archE942ELNS1_3gpuE9ELNS1_3repE0EEENS1_36merge_oddeven_config_static_selectorELNS0_4arch9wavefront6targetE0EEEvSF_.num_named_barrier, 0
	.set _ZN7rocprim17ROCPRIM_400000_NS6detail17trampoline_kernelINS0_14default_configENS1_38merge_sort_block_merge_config_selectorImNS0_10empty_typeEEEZZNS1_27merge_sort_block_merge_implIS3_PmPS5_jNS1_19radix_merge_compareILb1ELb0EmNS0_19identity_decomposerEEEEE10hipError_tT0_T1_T2_jT3_P12ihipStream_tbPNSt15iterator_traitsISE_E10value_typeEPNSK_ISF_E10value_typeEPSG_NS1_7vsmem_tEENKUlT_SE_SF_SG_E_clIS8_S8_S9_S9_EESD_ST_SE_SF_SG_EUlST_E1_NS1_11comp_targetILNS1_3genE5ELNS1_11target_archE942ELNS1_3gpuE9ELNS1_3repE0EEENS1_36merge_oddeven_config_static_selectorELNS0_4arch9wavefront6targetE0EEEvSF_.private_seg_size, 0
	.set _ZN7rocprim17ROCPRIM_400000_NS6detail17trampoline_kernelINS0_14default_configENS1_38merge_sort_block_merge_config_selectorImNS0_10empty_typeEEEZZNS1_27merge_sort_block_merge_implIS3_PmPS5_jNS1_19radix_merge_compareILb1ELb0EmNS0_19identity_decomposerEEEEE10hipError_tT0_T1_T2_jT3_P12ihipStream_tbPNSt15iterator_traitsISE_E10value_typeEPNSK_ISF_E10value_typeEPSG_NS1_7vsmem_tEENKUlT_SE_SF_SG_E_clIS8_S8_S9_S9_EESD_ST_SE_SF_SG_EUlST_E1_NS1_11comp_targetILNS1_3genE5ELNS1_11target_archE942ELNS1_3gpuE9ELNS1_3repE0EEENS1_36merge_oddeven_config_static_selectorELNS0_4arch9wavefront6targetE0EEEvSF_.uses_vcc, 0
	.set _ZN7rocprim17ROCPRIM_400000_NS6detail17trampoline_kernelINS0_14default_configENS1_38merge_sort_block_merge_config_selectorImNS0_10empty_typeEEEZZNS1_27merge_sort_block_merge_implIS3_PmPS5_jNS1_19radix_merge_compareILb1ELb0EmNS0_19identity_decomposerEEEEE10hipError_tT0_T1_T2_jT3_P12ihipStream_tbPNSt15iterator_traitsISE_E10value_typeEPNSK_ISF_E10value_typeEPSG_NS1_7vsmem_tEENKUlT_SE_SF_SG_E_clIS8_S8_S9_S9_EESD_ST_SE_SF_SG_EUlST_E1_NS1_11comp_targetILNS1_3genE5ELNS1_11target_archE942ELNS1_3gpuE9ELNS1_3repE0EEENS1_36merge_oddeven_config_static_selectorELNS0_4arch9wavefront6targetE0EEEvSF_.uses_flat_scratch, 0
	.set _ZN7rocprim17ROCPRIM_400000_NS6detail17trampoline_kernelINS0_14default_configENS1_38merge_sort_block_merge_config_selectorImNS0_10empty_typeEEEZZNS1_27merge_sort_block_merge_implIS3_PmPS5_jNS1_19radix_merge_compareILb1ELb0EmNS0_19identity_decomposerEEEEE10hipError_tT0_T1_T2_jT3_P12ihipStream_tbPNSt15iterator_traitsISE_E10value_typeEPNSK_ISF_E10value_typeEPSG_NS1_7vsmem_tEENKUlT_SE_SF_SG_E_clIS8_S8_S9_S9_EESD_ST_SE_SF_SG_EUlST_E1_NS1_11comp_targetILNS1_3genE5ELNS1_11target_archE942ELNS1_3gpuE9ELNS1_3repE0EEENS1_36merge_oddeven_config_static_selectorELNS0_4arch9wavefront6targetE0EEEvSF_.has_dyn_sized_stack, 0
	.set _ZN7rocprim17ROCPRIM_400000_NS6detail17trampoline_kernelINS0_14default_configENS1_38merge_sort_block_merge_config_selectorImNS0_10empty_typeEEEZZNS1_27merge_sort_block_merge_implIS3_PmPS5_jNS1_19radix_merge_compareILb1ELb0EmNS0_19identity_decomposerEEEEE10hipError_tT0_T1_T2_jT3_P12ihipStream_tbPNSt15iterator_traitsISE_E10value_typeEPNSK_ISF_E10value_typeEPSG_NS1_7vsmem_tEENKUlT_SE_SF_SG_E_clIS8_S8_S9_S9_EESD_ST_SE_SF_SG_EUlST_E1_NS1_11comp_targetILNS1_3genE5ELNS1_11target_archE942ELNS1_3gpuE9ELNS1_3repE0EEENS1_36merge_oddeven_config_static_selectorELNS0_4arch9wavefront6targetE0EEEvSF_.has_recursion, 0
	.set _ZN7rocprim17ROCPRIM_400000_NS6detail17trampoline_kernelINS0_14default_configENS1_38merge_sort_block_merge_config_selectorImNS0_10empty_typeEEEZZNS1_27merge_sort_block_merge_implIS3_PmPS5_jNS1_19radix_merge_compareILb1ELb0EmNS0_19identity_decomposerEEEEE10hipError_tT0_T1_T2_jT3_P12ihipStream_tbPNSt15iterator_traitsISE_E10value_typeEPNSK_ISF_E10value_typeEPSG_NS1_7vsmem_tEENKUlT_SE_SF_SG_E_clIS8_S8_S9_S9_EESD_ST_SE_SF_SG_EUlST_E1_NS1_11comp_targetILNS1_3genE5ELNS1_11target_archE942ELNS1_3gpuE9ELNS1_3repE0EEENS1_36merge_oddeven_config_static_selectorELNS0_4arch9wavefront6targetE0EEEvSF_.has_indirect_call, 0
	.section	.AMDGPU.csdata,"",@progbits
; Kernel info:
; codeLenInByte = 0
; TotalNumSgprs: 0
; NumVgprs: 0
; ScratchSize: 0
; MemoryBound: 0
; FloatMode: 240
; IeeeMode: 1
; LDSByteSize: 0 bytes/workgroup (compile time only)
; SGPRBlocks: 0
; VGPRBlocks: 0
; NumSGPRsForWavesPerEU: 1
; NumVGPRsForWavesPerEU: 1
; NamedBarCnt: 0
; Occupancy: 16
; WaveLimiterHint : 0
; COMPUTE_PGM_RSRC2:SCRATCH_EN: 0
; COMPUTE_PGM_RSRC2:USER_SGPR: 2
; COMPUTE_PGM_RSRC2:TRAP_HANDLER: 0
; COMPUTE_PGM_RSRC2:TGID_X_EN: 1
; COMPUTE_PGM_RSRC2:TGID_Y_EN: 0
; COMPUTE_PGM_RSRC2:TGID_Z_EN: 0
; COMPUTE_PGM_RSRC2:TIDIG_COMP_CNT: 0
	.section	.text._ZN7rocprim17ROCPRIM_400000_NS6detail17trampoline_kernelINS0_14default_configENS1_38merge_sort_block_merge_config_selectorImNS0_10empty_typeEEEZZNS1_27merge_sort_block_merge_implIS3_PmPS5_jNS1_19radix_merge_compareILb1ELb0EmNS0_19identity_decomposerEEEEE10hipError_tT0_T1_T2_jT3_P12ihipStream_tbPNSt15iterator_traitsISE_E10value_typeEPNSK_ISF_E10value_typeEPSG_NS1_7vsmem_tEENKUlT_SE_SF_SG_E_clIS8_S8_S9_S9_EESD_ST_SE_SF_SG_EUlST_E1_NS1_11comp_targetILNS1_3genE4ELNS1_11target_archE910ELNS1_3gpuE8ELNS1_3repE0EEENS1_36merge_oddeven_config_static_selectorELNS0_4arch9wavefront6targetE0EEEvSF_,"axG",@progbits,_ZN7rocprim17ROCPRIM_400000_NS6detail17trampoline_kernelINS0_14default_configENS1_38merge_sort_block_merge_config_selectorImNS0_10empty_typeEEEZZNS1_27merge_sort_block_merge_implIS3_PmPS5_jNS1_19radix_merge_compareILb1ELb0EmNS0_19identity_decomposerEEEEE10hipError_tT0_T1_T2_jT3_P12ihipStream_tbPNSt15iterator_traitsISE_E10value_typeEPNSK_ISF_E10value_typeEPSG_NS1_7vsmem_tEENKUlT_SE_SF_SG_E_clIS8_S8_S9_S9_EESD_ST_SE_SF_SG_EUlST_E1_NS1_11comp_targetILNS1_3genE4ELNS1_11target_archE910ELNS1_3gpuE8ELNS1_3repE0EEENS1_36merge_oddeven_config_static_selectorELNS0_4arch9wavefront6targetE0EEEvSF_,comdat
	.protected	_ZN7rocprim17ROCPRIM_400000_NS6detail17trampoline_kernelINS0_14default_configENS1_38merge_sort_block_merge_config_selectorImNS0_10empty_typeEEEZZNS1_27merge_sort_block_merge_implIS3_PmPS5_jNS1_19radix_merge_compareILb1ELb0EmNS0_19identity_decomposerEEEEE10hipError_tT0_T1_T2_jT3_P12ihipStream_tbPNSt15iterator_traitsISE_E10value_typeEPNSK_ISF_E10value_typeEPSG_NS1_7vsmem_tEENKUlT_SE_SF_SG_E_clIS8_S8_S9_S9_EESD_ST_SE_SF_SG_EUlST_E1_NS1_11comp_targetILNS1_3genE4ELNS1_11target_archE910ELNS1_3gpuE8ELNS1_3repE0EEENS1_36merge_oddeven_config_static_selectorELNS0_4arch9wavefront6targetE0EEEvSF_ ; -- Begin function _ZN7rocprim17ROCPRIM_400000_NS6detail17trampoline_kernelINS0_14default_configENS1_38merge_sort_block_merge_config_selectorImNS0_10empty_typeEEEZZNS1_27merge_sort_block_merge_implIS3_PmPS5_jNS1_19radix_merge_compareILb1ELb0EmNS0_19identity_decomposerEEEEE10hipError_tT0_T1_T2_jT3_P12ihipStream_tbPNSt15iterator_traitsISE_E10value_typeEPNSK_ISF_E10value_typeEPSG_NS1_7vsmem_tEENKUlT_SE_SF_SG_E_clIS8_S8_S9_S9_EESD_ST_SE_SF_SG_EUlST_E1_NS1_11comp_targetILNS1_3genE4ELNS1_11target_archE910ELNS1_3gpuE8ELNS1_3repE0EEENS1_36merge_oddeven_config_static_selectorELNS0_4arch9wavefront6targetE0EEEvSF_
	.globl	_ZN7rocprim17ROCPRIM_400000_NS6detail17trampoline_kernelINS0_14default_configENS1_38merge_sort_block_merge_config_selectorImNS0_10empty_typeEEEZZNS1_27merge_sort_block_merge_implIS3_PmPS5_jNS1_19radix_merge_compareILb1ELb0EmNS0_19identity_decomposerEEEEE10hipError_tT0_T1_T2_jT3_P12ihipStream_tbPNSt15iterator_traitsISE_E10value_typeEPNSK_ISF_E10value_typeEPSG_NS1_7vsmem_tEENKUlT_SE_SF_SG_E_clIS8_S8_S9_S9_EESD_ST_SE_SF_SG_EUlST_E1_NS1_11comp_targetILNS1_3genE4ELNS1_11target_archE910ELNS1_3gpuE8ELNS1_3repE0EEENS1_36merge_oddeven_config_static_selectorELNS0_4arch9wavefront6targetE0EEEvSF_
	.p2align	8
	.type	_ZN7rocprim17ROCPRIM_400000_NS6detail17trampoline_kernelINS0_14default_configENS1_38merge_sort_block_merge_config_selectorImNS0_10empty_typeEEEZZNS1_27merge_sort_block_merge_implIS3_PmPS5_jNS1_19radix_merge_compareILb1ELb0EmNS0_19identity_decomposerEEEEE10hipError_tT0_T1_T2_jT3_P12ihipStream_tbPNSt15iterator_traitsISE_E10value_typeEPNSK_ISF_E10value_typeEPSG_NS1_7vsmem_tEENKUlT_SE_SF_SG_E_clIS8_S8_S9_S9_EESD_ST_SE_SF_SG_EUlST_E1_NS1_11comp_targetILNS1_3genE4ELNS1_11target_archE910ELNS1_3gpuE8ELNS1_3repE0EEENS1_36merge_oddeven_config_static_selectorELNS0_4arch9wavefront6targetE0EEEvSF_,@function
_ZN7rocprim17ROCPRIM_400000_NS6detail17trampoline_kernelINS0_14default_configENS1_38merge_sort_block_merge_config_selectorImNS0_10empty_typeEEEZZNS1_27merge_sort_block_merge_implIS3_PmPS5_jNS1_19radix_merge_compareILb1ELb0EmNS0_19identity_decomposerEEEEE10hipError_tT0_T1_T2_jT3_P12ihipStream_tbPNSt15iterator_traitsISE_E10value_typeEPNSK_ISF_E10value_typeEPSG_NS1_7vsmem_tEENKUlT_SE_SF_SG_E_clIS8_S8_S9_S9_EESD_ST_SE_SF_SG_EUlST_E1_NS1_11comp_targetILNS1_3genE4ELNS1_11target_archE910ELNS1_3gpuE8ELNS1_3repE0EEENS1_36merge_oddeven_config_static_selectorELNS0_4arch9wavefront6targetE0EEEvSF_: ; @_ZN7rocprim17ROCPRIM_400000_NS6detail17trampoline_kernelINS0_14default_configENS1_38merge_sort_block_merge_config_selectorImNS0_10empty_typeEEEZZNS1_27merge_sort_block_merge_implIS3_PmPS5_jNS1_19radix_merge_compareILb1ELb0EmNS0_19identity_decomposerEEEEE10hipError_tT0_T1_T2_jT3_P12ihipStream_tbPNSt15iterator_traitsISE_E10value_typeEPNSK_ISF_E10value_typeEPSG_NS1_7vsmem_tEENKUlT_SE_SF_SG_E_clIS8_S8_S9_S9_EESD_ST_SE_SF_SG_EUlST_E1_NS1_11comp_targetILNS1_3genE4ELNS1_11target_archE910ELNS1_3gpuE8ELNS1_3repE0EEENS1_36merge_oddeven_config_static_selectorELNS0_4arch9wavefront6targetE0EEEvSF_
; %bb.0:
	.section	.rodata,"a",@progbits
	.p2align	6, 0x0
	.amdhsa_kernel _ZN7rocprim17ROCPRIM_400000_NS6detail17trampoline_kernelINS0_14default_configENS1_38merge_sort_block_merge_config_selectorImNS0_10empty_typeEEEZZNS1_27merge_sort_block_merge_implIS3_PmPS5_jNS1_19radix_merge_compareILb1ELb0EmNS0_19identity_decomposerEEEEE10hipError_tT0_T1_T2_jT3_P12ihipStream_tbPNSt15iterator_traitsISE_E10value_typeEPNSK_ISF_E10value_typeEPSG_NS1_7vsmem_tEENKUlT_SE_SF_SG_E_clIS8_S8_S9_S9_EESD_ST_SE_SF_SG_EUlST_E1_NS1_11comp_targetILNS1_3genE4ELNS1_11target_archE910ELNS1_3gpuE8ELNS1_3repE0EEENS1_36merge_oddeven_config_static_selectorELNS0_4arch9wavefront6targetE0EEEvSF_
		.amdhsa_group_segment_fixed_size 0
		.amdhsa_private_segment_fixed_size 0
		.amdhsa_kernarg_size 48
		.amdhsa_user_sgpr_count 2
		.amdhsa_user_sgpr_dispatch_ptr 0
		.amdhsa_user_sgpr_queue_ptr 0
		.amdhsa_user_sgpr_kernarg_segment_ptr 1
		.amdhsa_user_sgpr_dispatch_id 0
		.amdhsa_user_sgpr_kernarg_preload_length 0
		.amdhsa_user_sgpr_kernarg_preload_offset 0
		.amdhsa_user_sgpr_private_segment_size 0
		.amdhsa_wavefront_size32 1
		.amdhsa_uses_dynamic_stack 0
		.amdhsa_enable_private_segment 0
		.amdhsa_system_sgpr_workgroup_id_x 1
		.amdhsa_system_sgpr_workgroup_id_y 0
		.amdhsa_system_sgpr_workgroup_id_z 0
		.amdhsa_system_sgpr_workgroup_info 0
		.amdhsa_system_vgpr_workitem_id 0
		.amdhsa_next_free_vgpr 1
		.amdhsa_next_free_sgpr 1
		.amdhsa_named_barrier_count 0
		.amdhsa_reserve_vcc 0
		.amdhsa_float_round_mode_32 0
		.amdhsa_float_round_mode_16_64 0
		.amdhsa_float_denorm_mode_32 3
		.amdhsa_float_denorm_mode_16_64 3
		.amdhsa_fp16_overflow 0
		.amdhsa_memory_ordered 1
		.amdhsa_forward_progress 1
		.amdhsa_inst_pref_size 0
		.amdhsa_round_robin_scheduling 0
		.amdhsa_exception_fp_ieee_invalid_op 0
		.amdhsa_exception_fp_denorm_src 0
		.amdhsa_exception_fp_ieee_div_zero 0
		.amdhsa_exception_fp_ieee_overflow 0
		.amdhsa_exception_fp_ieee_underflow 0
		.amdhsa_exception_fp_ieee_inexact 0
		.amdhsa_exception_int_div_zero 0
	.end_amdhsa_kernel
	.section	.text._ZN7rocprim17ROCPRIM_400000_NS6detail17trampoline_kernelINS0_14default_configENS1_38merge_sort_block_merge_config_selectorImNS0_10empty_typeEEEZZNS1_27merge_sort_block_merge_implIS3_PmPS5_jNS1_19radix_merge_compareILb1ELb0EmNS0_19identity_decomposerEEEEE10hipError_tT0_T1_T2_jT3_P12ihipStream_tbPNSt15iterator_traitsISE_E10value_typeEPNSK_ISF_E10value_typeEPSG_NS1_7vsmem_tEENKUlT_SE_SF_SG_E_clIS8_S8_S9_S9_EESD_ST_SE_SF_SG_EUlST_E1_NS1_11comp_targetILNS1_3genE4ELNS1_11target_archE910ELNS1_3gpuE8ELNS1_3repE0EEENS1_36merge_oddeven_config_static_selectorELNS0_4arch9wavefront6targetE0EEEvSF_,"axG",@progbits,_ZN7rocprim17ROCPRIM_400000_NS6detail17trampoline_kernelINS0_14default_configENS1_38merge_sort_block_merge_config_selectorImNS0_10empty_typeEEEZZNS1_27merge_sort_block_merge_implIS3_PmPS5_jNS1_19radix_merge_compareILb1ELb0EmNS0_19identity_decomposerEEEEE10hipError_tT0_T1_T2_jT3_P12ihipStream_tbPNSt15iterator_traitsISE_E10value_typeEPNSK_ISF_E10value_typeEPSG_NS1_7vsmem_tEENKUlT_SE_SF_SG_E_clIS8_S8_S9_S9_EESD_ST_SE_SF_SG_EUlST_E1_NS1_11comp_targetILNS1_3genE4ELNS1_11target_archE910ELNS1_3gpuE8ELNS1_3repE0EEENS1_36merge_oddeven_config_static_selectorELNS0_4arch9wavefront6targetE0EEEvSF_,comdat
.Lfunc_end2817:
	.size	_ZN7rocprim17ROCPRIM_400000_NS6detail17trampoline_kernelINS0_14default_configENS1_38merge_sort_block_merge_config_selectorImNS0_10empty_typeEEEZZNS1_27merge_sort_block_merge_implIS3_PmPS5_jNS1_19radix_merge_compareILb1ELb0EmNS0_19identity_decomposerEEEEE10hipError_tT0_T1_T2_jT3_P12ihipStream_tbPNSt15iterator_traitsISE_E10value_typeEPNSK_ISF_E10value_typeEPSG_NS1_7vsmem_tEENKUlT_SE_SF_SG_E_clIS8_S8_S9_S9_EESD_ST_SE_SF_SG_EUlST_E1_NS1_11comp_targetILNS1_3genE4ELNS1_11target_archE910ELNS1_3gpuE8ELNS1_3repE0EEENS1_36merge_oddeven_config_static_selectorELNS0_4arch9wavefront6targetE0EEEvSF_, .Lfunc_end2817-_ZN7rocprim17ROCPRIM_400000_NS6detail17trampoline_kernelINS0_14default_configENS1_38merge_sort_block_merge_config_selectorImNS0_10empty_typeEEEZZNS1_27merge_sort_block_merge_implIS3_PmPS5_jNS1_19radix_merge_compareILb1ELb0EmNS0_19identity_decomposerEEEEE10hipError_tT0_T1_T2_jT3_P12ihipStream_tbPNSt15iterator_traitsISE_E10value_typeEPNSK_ISF_E10value_typeEPSG_NS1_7vsmem_tEENKUlT_SE_SF_SG_E_clIS8_S8_S9_S9_EESD_ST_SE_SF_SG_EUlST_E1_NS1_11comp_targetILNS1_3genE4ELNS1_11target_archE910ELNS1_3gpuE8ELNS1_3repE0EEENS1_36merge_oddeven_config_static_selectorELNS0_4arch9wavefront6targetE0EEEvSF_
                                        ; -- End function
	.set _ZN7rocprim17ROCPRIM_400000_NS6detail17trampoline_kernelINS0_14default_configENS1_38merge_sort_block_merge_config_selectorImNS0_10empty_typeEEEZZNS1_27merge_sort_block_merge_implIS3_PmPS5_jNS1_19radix_merge_compareILb1ELb0EmNS0_19identity_decomposerEEEEE10hipError_tT0_T1_T2_jT3_P12ihipStream_tbPNSt15iterator_traitsISE_E10value_typeEPNSK_ISF_E10value_typeEPSG_NS1_7vsmem_tEENKUlT_SE_SF_SG_E_clIS8_S8_S9_S9_EESD_ST_SE_SF_SG_EUlST_E1_NS1_11comp_targetILNS1_3genE4ELNS1_11target_archE910ELNS1_3gpuE8ELNS1_3repE0EEENS1_36merge_oddeven_config_static_selectorELNS0_4arch9wavefront6targetE0EEEvSF_.num_vgpr, 0
	.set _ZN7rocprim17ROCPRIM_400000_NS6detail17trampoline_kernelINS0_14default_configENS1_38merge_sort_block_merge_config_selectorImNS0_10empty_typeEEEZZNS1_27merge_sort_block_merge_implIS3_PmPS5_jNS1_19radix_merge_compareILb1ELb0EmNS0_19identity_decomposerEEEEE10hipError_tT0_T1_T2_jT3_P12ihipStream_tbPNSt15iterator_traitsISE_E10value_typeEPNSK_ISF_E10value_typeEPSG_NS1_7vsmem_tEENKUlT_SE_SF_SG_E_clIS8_S8_S9_S9_EESD_ST_SE_SF_SG_EUlST_E1_NS1_11comp_targetILNS1_3genE4ELNS1_11target_archE910ELNS1_3gpuE8ELNS1_3repE0EEENS1_36merge_oddeven_config_static_selectorELNS0_4arch9wavefront6targetE0EEEvSF_.num_agpr, 0
	.set _ZN7rocprim17ROCPRIM_400000_NS6detail17trampoline_kernelINS0_14default_configENS1_38merge_sort_block_merge_config_selectorImNS0_10empty_typeEEEZZNS1_27merge_sort_block_merge_implIS3_PmPS5_jNS1_19radix_merge_compareILb1ELb0EmNS0_19identity_decomposerEEEEE10hipError_tT0_T1_T2_jT3_P12ihipStream_tbPNSt15iterator_traitsISE_E10value_typeEPNSK_ISF_E10value_typeEPSG_NS1_7vsmem_tEENKUlT_SE_SF_SG_E_clIS8_S8_S9_S9_EESD_ST_SE_SF_SG_EUlST_E1_NS1_11comp_targetILNS1_3genE4ELNS1_11target_archE910ELNS1_3gpuE8ELNS1_3repE0EEENS1_36merge_oddeven_config_static_selectorELNS0_4arch9wavefront6targetE0EEEvSF_.numbered_sgpr, 0
	.set _ZN7rocprim17ROCPRIM_400000_NS6detail17trampoline_kernelINS0_14default_configENS1_38merge_sort_block_merge_config_selectorImNS0_10empty_typeEEEZZNS1_27merge_sort_block_merge_implIS3_PmPS5_jNS1_19radix_merge_compareILb1ELb0EmNS0_19identity_decomposerEEEEE10hipError_tT0_T1_T2_jT3_P12ihipStream_tbPNSt15iterator_traitsISE_E10value_typeEPNSK_ISF_E10value_typeEPSG_NS1_7vsmem_tEENKUlT_SE_SF_SG_E_clIS8_S8_S9_S9_EESD_ST_SE_SF_SG_EUlST_E1_NS1_11comp_targetILNS1_3genE4ELNS1_11target_archE910ELNS1_3gpuE8ELNS1_3repE0EEENS1_36merge_oddeven_config_static_selectorELNS0_4arch9wavefront6targetE0EEEvSF_.num_named_barrier, 0
	.set _ZN7rocprim17ROCPRIM_400000_NS6detail17trampoline_kernelINS0_14default_configENS1_38merge_sort_block_merge_config_selectorImNS0_10empty_typeEEEZZNS1_27merge_sort_block_merge_implIS3_PmPS5_jNS1_19radix_merge_compareILb1ELb0EmNS0_19identity_decomposerEEEEE10hipError_tT0_T1_T2_jT3_P12ihipStream_tbPNSt15iterator_traitsISE_E10value_typeEPNSK_ISF_E10value_typeEPSG_NS1_7vsmem_tEENKUlT_SE_SF_SG_E_clIS8_S8_S9_S9_EESD_ST_SE_SF_SG_EUlST_E1_NS1_11comp_targetILNS1_3genE4ELNS1_11target_archE910ELNS1_3gpuE8ELNS1_3repE0EEENS1_36merge_oddeven_config_static_selectorELNS0_4arch9wavefront6targetE0EEEvSF_.private_seg_size, 0
	.set _ZN7rocprim17ROCPRIM_400000_NS6detail17trampoline_kernelINS0_14default_configENS1_38merge_sort_block_merge_config_selectorImNS0_10empty_typeEEEZZNS1_27merge_sort_block_merge_implIS3_PmPS5_jNS1_19radix_merge_compareILb1ELb0EmNS0_19identity_decomposerEEEEE10hipError_tT0_T1_T2_jT3_P12ihipStream_tbPNSt15iterator_traitsISE_E10value_typeEPNSK_ISF_E10value_typeEPSG_NS1_7vsmem_tEENKUlT_SE_SF_SG_E_clIS8_S8_S9_S9_EESD_ST_SE_SF_SG_EUlST_E1_NS1_11comp_targetILNS1_3genE4ELNS1_11target_archE910ELNS1_3gpuE8ELNS1_3repE0EEENS1_36merge_oddeven_config_static_selectorELNS0_4arch9wavefront6targetE0EEEvSF_.uses_vcc, 0
	.set _ZN7rocprim17ROCPRIM_400000_NS6detail17trampoline_kernelINS0_14default_configENS1_38merge_sort_block_merge_config_selectorImNS0_10empty_typeEEEZZNS1_27merge_sort_block_merge_implIS3_PmPS5_jNS1_19radix_merge_compareILb1ELb0EmNS0_19identity_decomposerEEEEE10hipError_tT0_T1_T2_jT3_P12ihipStream_tbPNSt15iterator_traitsISE_E10value_typeEPNSK_ISF_E10value_typeEPSG_NS1_7vsmem_tEENKUlT_SE_SF_SG_E_clIS8_S8_S9_S9_EESD_ST_SE_SF_SG_EUlST_E1_NS1_11comp_targetILNS1_3genE4ELNS1_11target_archE910ELNS1_3gpuE8ELNS1_3repE0EEENS1_36merge_oddeven_config_static_selectorELNS0_4arch9wavefront6targetE0EEEvSF_.uses_flat_scratch, 0
	.set _ZN7rocprim17ROCPRIM_400000_NS6detail17trampoline_kernelINS0_14default_configENS1_38merge_sort_block_merge_config_selectorImNS0_10empty_typeEEEZZNS1_27merge_sort_block_merge_implIS3_PmPS5_jNS1_19radix_merge_compareILb1ELb0EmNS0_19identity_decomposerEEEEE10hipError_tT0_T1_T2_jT3_P12ihipStream_tbPNSt15iterator_traitsISE_E10value_typeEPNSK_ISF_E10value_typeEPSG_NS1_7vsmem_tEENKUlT_SE_SF_SG_E_clIS8_S8_S9_S9_EESD_ST_SE_SF_SG_EUlST_E1_NS1_11comp_targetILNS1_3genE4ELNS1_11target_archE910ELNS1_3gpuE8ELNS1_3repE0EEENS1_36merge_oddeven_config_static_selectorELNS0_4arch9wavefront6targetE0EEEvSF_.has_dyn_sized_stack, 0
	.set _ZN7rocprim17ROCPRIM_400000_NS6detail17trampoline_kernelINS0_14default_configENS1_38merge_sort_block_merge_config_selectorImNS0_10empty_typeEEEZZNS1_27merge_sort_block_merge_implIS3_PmPS5_jNS1_19radix_merge_compareILb1ELb0EmNS0_19identity_decomposerEEEEE10hipError_tT0_T1_T2_jT3_P12ihipStream_tbPNSt15iterator_traitsISE_E10value_typeEPNSK_ISF_E10value_typeEPSG_NS1_7vsmem_tEENKUlT_SE_SF_SG_E_clIS8_S8_S9_S9_EESD_ST_SE_SF_SG_EUlST_E1_NS1_11comp_targetILNS1_3genE4ELNS1_11target_archE910ELNS1_3gpuE8ELNS1_3repE0EEENS1_36merge_oddeven_config_static_selectorELNS0_4arch9wavefront6targetE0EEEvSF_.has_recursion, 0
	.set _ZN7rocprim17ROCPRIM_400000_NS6detail17trampoline_kernelINS0_14default_configENS1_38merge_sort_block_merge_config_selectorImNS0_10empty_typeEEEZZNS1_27merge_sort_block_merge_implIS3_PmPS5_jNS1_19radix_merge_compareILb1ELb0EmNS0_19identity_decomposerEEEEE10hipError_tT0_T1_T2_jT3_P12ihipStream_tbPNSt15iterator_traitsISE_E10value_typeEPNSK_ISF_E10value_typeEPSG_NS1_7vsmem_tEENKUlT_SE_SF_SG_E_clIS8_S8_S9_S9_EESD_ST_SE_SF_SG_EUlST_E1_NS1_11comp_targetILNS1_3genE4ELNS1_11target_archE910ELNS1_3gpuE8ELNS1_3repE0EEENS1_36merge_oddeven_config_static_selectorELNS0_4arch9wavefront6targetE0EEEvSF_.has_indirect_call, 0
	.section	.AMDGPU.csdata,"",@progbits
; Kernel info:
; codeLenInByte = 0
; TotalNumSgprs: 0
; NumVgprs: 0
; ScratchSize: 0
; MemoryBound: 0
; FloatMode: 240
; IeeeMode: 1
; LDSByteSize: 0 bytes/workgroup (compile time only)
; SGPRBlocks: 0
; VGPRBlocks: 0
; NumSGPRsForWavesPerEU: 1
; NumVGPRsForWavesPerEU: 1
; NamedBarCnt: 0
; Occupancy: 16
; WaveLimiterHint : 0
; COMPUTE_PGM_RSRC2:SCRATCH_EN: 0
; COMPUTE_PGM_RSRC2:USER_SGPR: 2
; COMPUTE_PGM_RSRC2:TRAP_HANDLER: 0
; COMPUTE_PGM_RSRC2:TGID_X_EN: 1
; COMPUTE_PGM_RSRC2:TGID_Y_EN: 0
; COMPUTE_PGM_RSRC2:TGID_Z_EN: 0
; COMPUTE_PGM_RSRC2:TIDIG_COMP_CNT: 0
	.section	.text._ZN7rocprim17ROCPRIM_400000_NS6detail17trampoline_kernelINS0_14default_configENS1_38merge_sort_block_merge_config_selectorImNS0_10empty_typeEEEZZNS1_27merge_sort_block_merge_implIS3_PmPS5_jNS1_19radix_merge_compareILb1ELb0EmNS0_19identity_decomposerEEEEE10hipError_tT0_T1_T2_jT3_P12ihipStream_tbPNSt15iterator_traitsISE_E10value_typeEPNSK_ISF_E10value_typeEPSG_NS1_7vsmem_tEENKUlT_SE_SF_SG_E_clIS8_S8_S9_S9_EESD_ST_SE_SF_SG_EUlST_E1_NS1_11comp_targetILNS1_3genE3ELNS1_11target_archE908ELNS1_3gpuE7ELNS1_3repE0EEENS1_36merge_oddeven_config_static_selectorELNS0_4arch9wavefront6targetE0EEEvSF_,"axG",@progbits,_ZN7rocprim17ROCPRIM_400000_NS6detail17trampoline_kernelINS0_14default_configENS1_38merge_sort_block_merge_config_selectorImNS0_10empty_typeEEEZZNS1_27merge_sort_block_merge_implIS3_PmPS5_jNS1_19radix_merge_compareILb1ELb0EmNS0_19identity_decomposerEEEEE10hipError_tT0_T1_T2_jT3_P12ihipStream_tbPNSt15iterator_traitsISE_E10value_typeEPNSK_ISF_E10value_typeEPSG_NS1_7vsmem_tEENKUlT_SE_SF_SG_E_clIS8_S8_S9_S9_EESD_ST_SE_SF_SG_EUlST_E1_NS1_11comp_targetILNS1_3genE3ELNS1_11target_archE908ELNS1_3gpuE7ELNS1_3repE0EEENS1_36merge_oddeven_config_static_selectorELNS0_4arch9wavefront6targetE0EEEvSF_,comdat
	.protected	_ZN7rocprim17ROCPRIM_400000_NS6detail17trampoline_kernelINS0_14default_configENS1_38merge_sort_block_merge_config_selectorImNS0_10empty_typeEEEZZNS1_27merge_sort_block_merge_implIS3_PmPS5_jNS1_19radix_merge_compareILb1ELb0EmNS0_19identity_decomposerEEEEE10hipError_tT0_T1_T2_jT3_P12ihipStream_tbPNSt15iterator_traitsISE_E10value_typeEPNSK_ISF_E10value_typeEPSG_NS1_7vsmem_tEENKUlT_SE_SF_SG_E_clIS8_S8_S9_S9_EESD_ST_SE_SF_SG_EUlST_E1_NS1_11comp_targetILNS1_3genE3ELNS1_11target_archE908ELNS1_3gpuE7ELNS1_3repE0EEENS1_36merge_oddeven_config_static_selectorELNS0_4arch9wavefront6targetE0EEEvSF_ ; -- Begin function _ZN7rocprim17ROCPRIM_400000_NS6detail17trampoline_kernelINS0_14default_configENS1_38merge_sort_block_merge_config_selectorImNS0_10empty_typeEEEZZNS1_27merge_sort_block_merge_implIS3_PmPS5_jNS1_19radix_merge_compareILb1ELb0EmNS0_19identity_decomposerEEEEE10hipError_tT0_T1_T2_jT3_P12ihipStream_tbPNSt15iterator_traitsISE_E10value_typeEPNSK_ISF_E10value_typeEPSG_NS1_7vsmem_tEENKUlT_SE_SF_SG_E_clIS8_S8_S9_S9_EESD_ST_SE_SF_SG_EUlST_E1_NS1_11comp_targetILNS1_3genE3ELNS1_11target_archE908ELNS1_3gpuE7ELNS1_3repE0EEENS1_36merge_oddeven_config_static_selectorELNS0_4arch9wavefront6targetE0EEEvSF_
	.globl	_ZN7rocprim17ROCPRIM_400000_NS6detail17trampoline_kernelINS0_14default_configENS1_38merge_sort_block_merge_config_selectorImNS0_10empty_typeEEEZZNS1_27merge_sort_block_merge_implIS3_PmPS5_jNS1_19radix_merge_compareILb1ELb0EmNS0_19identity_decomposerEEEEE10hipError_tT0_T1_T2_jT3_P12ihipStream_tbPNSt15iterator_traitsISE_E10value_typeEPNSK_ISF_E10value_typeEPSG_NS1_7vsmem_tEENKUlT_SE_SF_SG_E_clIS8_S8_S9_S9_EESD_ST_SE_SF_SG_EUlST_E1_NS1_11comp_targetILNS1_3genE3ELNS1_11target_archE908ELNS1_3gpuE7ELNS1_3repE0EEENS1_36merge_oddeven_config_static_selectorELNS0_4arch9wavefront6targetE0EEEvSF_
	.p2align	8
	.type	_ZN7rocprim17ROCPRIM_400000_NS6detail17trampoline_kernelINS0_14default_configENS1_38merge_sort_block_merge_config_selectorImNS0_10empty_typeEEEZZNS1_27merge_sort_block_merge_implIS3_PmPS5_jNS1_19radix_merge_compareILb1ELb0EmNS0_19identity_decomposerEEEEE10hipError_tT0_T1_T2_jT3_P12ihipStream_tbPNSt15iterator_traitsISE_E10value_typeEPNSK_ISF_E10value_typeEPSG_NS1_7vsmem_tEENKUlT_SE_SF_SG_E_clIS8_S8_S9_S9_EESD_ST_SE_SF_SG_EUlST_E1_NS1_11comp_targetILNS1_3genE3ELNS1_11target_archE908ELNS1_3gpuE7ELNS1_3repE0EEENS1_36merge_oddeven_config_static_selectorELNS0_4arch9wavefront6targetE0EEEvSF_,@function
_ZN7rocprim17ROCPRIM_400000_NS6detail17trampoline_kernelINS0_14default_configENS1_38merge_sort_block_merge_config_selectorImNS0_10empty_typeEEEZZNS1_27merge_sort_block_merge_implIS3_PmPS5_jNS1_19radix_merge_compareILb1ELb0EmNS0_19identity_decomposerEEEEE10hipError_tT0_T1_T2_jT3_P12ihipStream_tbPNSt15iterator_traitsISE_E10value_typeEPNSK_ISF_E10value_typeEPSG_NS1_7vsmem_tEENKUlT_SE_SF_SG_E_clIS8_S8_S9_S9_EESD_ST_SE_SF_SG_EUlST_E1_NS1_11comp_targetILNS1_3genE3ELNS1_11target_archE908ELNS1_3gpuE7ELNS1_3repE0EEENS1_36merge_oddeven_config_static_selectorELNS0_4arch9wavefront6targetE0EEEvSF_: ; @_ZN7rocprim17ROCPRIM_400000_NS6detail17trampoline_kernelINS0_14default_configENS1_38merge_sort_block_merge_config_selectorImNS0_10empty_typeEEEZZNS1_27merge_sort_block_merge_implIS3_PmPS5_jNS1_19radix_merge_compareILb1ELb0EmNS0_19identity_decomposerEEEEE10hipError_tT0_T1_T2_jT3_P12ihipStream_tbPNSt15iterator_traitsISE_E10value_typeEPNSK_ISF_E10value_typeEPSG_NS1_7vsmem_tEENKUlT_SE_SF_SG_E_clIS8_S8_S9_S9_EESD_ST_SE_SF_SG_EUlST_E1_NS1_11comp_targetILNS1_3genE3ELNS1_11target_archE908ELNS1_3gpuE7ELNS1_3repE0EEENS1_36merge_oddeven_config_static_selectorELNS0_4arch9wavefront6targetE0EEEvSF_
; %bb.0:
	.section	.rodata,"a",@progbits
	.p2align	6, 0x0
	.amdhsa_kernel _ZN7rocprim17ROCPRIM_400000_NS6detail17trampoline_kernelINS0_14default_configENS1_38merge_sort_block_merge_config_selectorImNS0_10empty_typeEEEZZNS1_27merge_sort_block_merge_implIS3_PmPS5_jNS1_19radix_merge_compareILb1ELb0EmNS0_19identity_decomposerEEEEE10hipError_tT0_T1_T2_jT3_P12ihipStream_tbPNSt15iterator_traitsISE_E10value_typeEPNSK_ISF_E10value_typeEPSG_NS1_7vsmem_tEENKUlT_SE_SF_SG_E_clIS8_S8_S9_S9_EESD_ST_SE_SF_SG_EUlST_E1_NS1_11comp_targetILNS1_3genE3ELNS1_11target_archE908ELNS1_3gpuE7ELNS1_3repE0EEENS1_36merge_oddeven_config_static_selectorELNS0_4arch9wavefront6targetE0EEEvSF_
		.amdhsa_group_segment_fixed_size 0
		.amdhsa_private_segment_fixed_size 0
		.amdhsa_kernarg_size 48
		.amdhsa_user_sgpr_count 2
		.amdhsa_user_sgpr_dispatch_ptr 0
		.amdhsa_user_sgpr_queue_ptr 0
		.amdhsa_user_sgpr_kernarg_segment_ptr 1
		.amdhsa_user_sgpr_dispatch_id 0
		.amdhsa_user_sgpr_kernarg_preload_length 0
		.amdhsa_user_sgpr_kernarg_preload_offset 0
		.amdhsa_user_sgpr_private_segment_size 0
		.amdhsa_wavefront_size32 1
		.amdhsa_uses_dynamic_stack 0
		.amdhsa_enable_private_segment 0
		.amdhsa_system_sgpr_workgroup_id_x 1
		.amdhsa_system_sgpr_workgroup_id_y 0
		.amdhsa_system_sgpr_workgroup_id_z 0
		.amdhsa_system_sgpr_workgroup_info 0
		.amdhsa_system_vgpr_workitem_id 0
		.amdhsa_next_free_vgpr 1
		.amdhsa_next_free_sgpr 1
		.amdhsa_named_barrier_count 0
		.amdhsa_reserve_vcc 0
		.amdhsa_float_round_mode_32 0
		.amdhsa_float_round_mode_16_64 0
		.amdhsa_float_denorm_mode_32 3
		.amdhsa_float_denorm_mode_16_64 3
		.amdhsa_fp16_overflow 0
		.amdhsa_memory_ordered 1
		.amdhsa_forward_progress 1
		.amdhsa_inst_pref_size 0
		.amdhsa_round_robin_scheduling 0
		.amdhsa_exception_fp_ieee_invalid_op 0
		.amdhsa_exception_fp_denorm_src 0
		.amdhsa_exception_fp_ieee_div_zero 0
		.amdhsa_exception_fp_ieee_overflow 0
		.amdhsa_exception_fp_ieee_underflow 0
		.amdhsa_exception_fp_ieee_inexact 0
		.amdhsa_exception_int_div_zero 0
	.end_amdhsa_kernel
	.section	.text._ZN7rocprim17ROCPRIM_400000_NS6detail17trampoline_kernelINS0_14default_configENS1_38merge_sort_block_merge_config_selectorImNS0_10empty_typeEEEZZNS1_27merge_sort_block_merge_implIS3_PmPS5_jNS1_19radix_merge_compareILb1ELb0EmNS0_19identity_decomposerEEEEE10hipError_tT0_T1_T2_jT3_P12ihipStream_tbPNSt15iterator_traitsISE_E10value_typeEPNSK_ISF_E10value_typeEPSG_NS1_7vsmem_tEENKUlT_SE_SF_SG_E_clIS8_S8_S9_S9_EESD_ST_SE_SF_SG_EUlST_E1_NS1_11comp_targetILNS1_3genE3ELNS1_11target_archE908ELNS1_3gpuE7ELNS1_3repE0EEENS1_36merge_oddeven_config_static_selectorELNS0_4arch9wavefront6targetE0EEEvSF_,"axG",@progbits,_ZN7rocprim17ROCPRIM_400000_NS6detail17trampoline_kernelINS0_14default_configENS1_38merge_sort_block_merge_config_selectorImNS0_10empty_typeEEEZZNS1_27merge_sort_block_merge_implIS3_PmPS5_jNS1_19radix_merge_compareILb1ELb0EmNS0_19identity_decomposerEEEEE10hipError_tT0_T1_T2_jT3_P12ihipStream_tbPNSt15iterator_traitsISE_E10value_typeEPNSK_ISF_E10value_typeEPSG_NS1_7vsmem_tEENKUlT_SE_SF_SG_E_clIS8_S8_S9_S9_EESD_ST_SE_SF_SG_EUlST_E1_NS1_11comp_targetILNS1_3genE3ELNS1_11target_archE908ELNS1_3gpuE7ELNS1_3repE0EEENS1_36merge_oddeven_config_static_selectorELNS0_4arch9wavefront6targetE0EEEvSF_,comdat
.Lfunc_end2818:
	.size	_ZN7rocprim17ROCPRIM_400000_NS6detail17trampoline_kernelINS0_14default_configENS1_38merge_sort_block_merge_config_selectorImNS0_10empty_typeEEEZZNS1_27merge_sort_block_merge_implIS3_PmPS5_jNS1_19radix_merge_compareILb1ELb0EmNS0_19identity_decomposerEEEEE10hipError_tT0_T1_T2_jT3_P12ihipStream_tbPNSt15iterator_traitsISE_E10value_typeEPNSK_ISF_E10value_typeEPSG_NS1_7vsmem_tEENKUlT_SE_SF_SG_E_clIS8_S8_S9_S9_EESD_ST_SE_SF_SG_EUlST_E1_NS1_11comp_targetILNS1_3genE3ELNS1_11target_archE908ELNS1_3gpuE7ELNS1_3repE0EEENS1_36merge_oddeven_config_static_selectorELNS0_4arch9wavefront6targetE0EEEvSF_, .Lfunc_end2818-_ZN7rocprim17ROCPRIM_400000_NS6detail17trampoline_kernelINS0_14default_configENS1_38merge_sort_block_merge_config_selectorImNS0_10empty_typeEEEZZNS1_27merge_sort_block_merge_implIS3_PmPS5_jNS1_19radix_merge_compareILb1ELb0EmNS0_19identity_decomposerEEEEE10hipError_tT0_T1_T2_jT3_P12ihipStream_tbPNSt15iterator_traitsISE_E10value_typeEPNSK_ISF_E10value_typeEPSG_NS1_7vsmem_tEENKUlT_SE_SF_SG_E_clIS8_S8_S9_S9_EESD_ST_SE_SF_SG_EUlST_E1_NS1_11comp_targetILNS1_3genE3ELNS1_11target_archE908ELNS1_3gpuE7ELNS1_3repE0EEENS1_36merge_oddeven_config_static_selectorELNS0_4arch9wavefront6targetE0EEEvSF_
                                        ; -- End function
	.set _ZN7rocprim17ROCPRIM_400000_NS6detail17trampoline_kernelINS0_14default_configENS1_38merge_sort_block_merge_config_selectorImNS0_10empty_typeEEEZZNS1_27merge_sort_block_merge_implIS3_PmPS5_jNS1_19radix_merge_compareILb1ELb0EmNS0_19identity_decomposerEEEEE10hipError_tT0_T1_T2_jT3_P12ihipStream_tbPNSt15iterator_traitsISE_E10value_typeEPNSK_ISF_E10value_typeEPSG_NS1_7vsmem_tEENKUlT_SE_SF_SG_E_clIS8_S8_S9_S9_EESD_ST_SE_SF_SG_EUlST_E1_NS1_11comp_targetILNS1_3genE3ELNS1_11target_archE908ELNS1_3gpuE7ELNS1_3repE0EEENS1_36merge_oddeven_config_static_selectorELNS0_4arch9wavefront6targetE0EEEvSF_.num_vgpr, 0
	.set _ZN7rocprim17ROCPRIM_400000_NS6detail17trampoline_kernelINS0_14default_configENS1_38merge_sort_block_merge_config_selectorImNS0_10empty_typeEEEZZNS1_27merge_sort_block_merge_implIS3_PmPS5_jNS1_19radix_merge_compareILb1ELb0EmNS0_19identity_decomposerEEEEE10hipError_tT0_T1_T2_jT3_P12ihipStream_tbPNSt15iterator_traitsISE_E10value_typeEPNSK_ISF_E10value_typeEPSG_NS1_7vsmem_tEENKUlT_SE_SF_SG_E_clIS8_S8_S9_S9_EESD_ST_SE_SF_SG_EUlST_E1_NS1_11comp_targetILNS1_3genE3ELNS1_11target_archE908ELNS1_3gpuE7ELNS1_3repE0EEENS1_36merge_oddeven_config_static_selectorELNS0_4arch9wavefront6targetE0EEEvSF_.num_agpr, 0
	.set _ZN7rocprim17ROCPRIM_400000_NS6detail17trampoline_kernelINS0_14default_configENS1_38merge_sort_block_merge_config_selectorImNS0_10empty_typeEEEZZNS1_27merge_sort_block_merge_implIS3_PmPS5_jNS1_19radix_merge_compareILb1ELb0EmNS0_19identity_decomposerEEEEE10hipError_tT0_T1_T2_jT3_P12ihipStream_tbPNSt15iterator_traitsISE_E10value_typeEPNSK_ISF_E10value_typeEPSG_NS1_7vsmem_tEENKUlT_SE_SF_SG_E_clIS8_S8_S9_S9_EESD_ST_SE_SF_SG_EUlST_E1_NS1_11comp_targetILNS1_3genE3ELNS1_11target_archE908ELNS1_3gpuE7ELNS1_3repE0EEENS1_36merge_oddeven_config_static_selectorELNS0_4arch9wavefront6targetE0EEEvSF_.numbered_sgpr, 0
	.set _ZN7rocprim17ROCPRIM_400000_NS6detail17trampoline_kernelINS0_14default_configENS1_38merge_sort_block_merge_config_selectorImNS0_10empty_typeEEEZZNS1_27merge_sort_block_merge_implIS3_PmPS5_jNS1_19radix_merge_compareILb1ELb0EmNS0_19identity_decomposerEEEEE10hipError_tT0_T1_T2_jT3_P12ihipStream_tbPNSt15iterator_traitsISE_E10value_typeEPNSK_ISF_E10value_typeEPSG_NS1_7vsmem_tEENKUlT_SE_SF_SG_E_clIS8_S8_S9_S9_EESD_ST_SE_SF_SG_EUlST_E1_NS1_11comp_targetILNS1_3genE3ELNS1_11target_archE908ELNS1_3gpuE7ELNS1_3repE0EEENS1_36merge_oddeven_config_static_selectorELNS0_4arch9wavefront6targetE0EEEvSF_.num_named_barrier, 0
	.set _ZN7rocprim17ROCPRIM_400000_NS6detail17trampoline_kernelINS0_14default_configENS1_38merge_sort_block_merge_config_selectorImNS0_10empty_typeEEEZZNS1_27merge_sort_block_merge_implIS3_PmPS5_jNS1_19radix_merge_compareILb1ELb0EmNS0_19identity_decomposerEEEEE10hipError_tT0_T1_T2_jT3_P12ihipStream_tbPNSt15iterator_traitsISE_E10value_typeEPNSK_ISF_E10value_typeEPSG_NS1_7vsmem_tEENKUlT_SE_SF_SG_E_clIS8_S8_S9_S9_EESD_ST_SE_SF_SG_EUlST_E1_NS1_11comp_targetILNS1_3genE3ELNS1_11target_archE908ELNS1_3gpuE7ELNS1_3repE0EEENS1_36merge_oddeven_config_static_selectorELNS0_4arch9wavefront6targetE0EEEvSF_.private_seg_size, 0
	.set _ZN7rocprim17ROCPRIM_400000_NS6detail17trampoline_kernelINS0_14default_configENS1_38merge_sort_block_merge_config_selectorImNS0_10empty_typeEEEZZNS1_27merge_sort_block_merge_implIS3_PmPS5_jNS1_19radix_merge_compareILb1ELb0EmNS0_19identity_decomposerEEEEE10hipError_tT0_T1_T2_jT3_P12ihipStream_tbPNSt15iterator_traitsISE_E10value_typeEPNSK_ISF_E10value_typeEPSG_NS1_7vsmem_tEENKUlT_SE_SF_SG_E_clIS8_S8_S9_S9_EESD_ST_SE_SF_SG_EUlST_E1_NS1_11comp_targetILNS1_3genE3ELNS1_11target_archE908ELNS1_3gpuE7ELNS1_3repE0EEENS1_36merge_oddeven_config_static_selectorELNS0_4arch9wavefront6targetE0EEEvSF_.uses_vcc, 0
	.set _ZN7rocprim17ROCPRIM_400000_NS6detail17trampoline_kernelINS0_14default_configENS1_38merge_sort_block_merge_config_selectorImNS0_10empty_typeEEEZZNS1_27merge_sort_block_merge_implIS3_PmPS5_jNS1_19radix_merge_compareILb1ELb0EmNS0_19identity_decomposerEEEEE10hipError_tT0_T1_T2_jT3_P12ihipStream_tbPNSt15iterator_traitsISE_E10value_typeEPNSK_ISF_E10value_typeEPSG_NS1_7vsmem_tEENKUlT_SE_SF_SG_E_clIS8_S8_S9_S9_EESD_ST_SE_SF_SG_EUlST_E1_NS1_11comp_targetILNS1_3genE3ELNS1_11target_archE908ELNS1_3gpuE7ELNS1_3repE0EEENS1_36merge_oddeven_config_static_selectorELNS0_4arch9wavefront6targetE0EEEvSF_.uses_flat_scratch, 0
	.set _ZN7rocprim17ROCPRIM_400000_NS6detail17trampoline_kernelINS0_14default_configENS1_38merge_sort_block_merge_config_selectorImNS0_10empty_typeEEEZZNS1_27merge_sort_block_merge_implIS3_PmPS5_jNS1_19radix_merge_compareILb1ELb0EmNS0_19identity_decomposerEEEEE10hipError_tT0_T1_T2_jT3_P12ihipStream_tbPNSt15iterator_traitsISE_E10value_typeEPNSK_ISF_E10value_typeEPSG_NS1_7vsmem_tEENKUlT_SE_SF_SG_E_clIS8_S8_S9_S9_EESD_ST_SE_SF_SG_EUlST_E1_NS1_11comp_targetILNS1_3genE3ELNS1_11target_archE908ELNS1_3gpuE7ELNS1_3repE0EEENS1_36merge_oddeven_config_static_selectorELNS0_4arch9wavefront6targetE0EEEvSF_.has_dyn_sized_stack, 0
	.set _ZN7rocprim17ROCPRIM_400000_NS6detail17trampoline_kernelINS0_14default_configENS1_38merge_sort_block_merge_config_selectorImNS0_10empty_typeEEEZZNS1_27merge_sort_block_merge_implIS3_PmPS5_jNS1_19radix_merge_compareILb1ELb0EmNS0_19identity_decomposerEEEEE10hipError_tT0_T1_T2_jT3_P12ihipStream_tbPNSt15iterator_traitsISE_E10value_typeEPNSK_ISF_E10value_typeEPSG_NS1_7vsmem_tEENKUlT_SE_SF_SG_E_clIS8_S8_S9_S9_EESD_ST_SE_SF_SG_EUlST_E1_NS1_11comp_targetILNS1_3genE3ELNS1_11target_archE908ELNS1_3gpuE7ELNS1_3repE0EEENS1_36merge_oddeven_config_static_selectorELNS0_4arch9wavefront6targetE0EEEvSF_.has_recursion, 0
	.set _ZN7rocprim17ROCPRIM_400000_NS6detail17trampoline_kernelINS0_14default_configENS1_38merge_sort_block_merge_config_selectorImNS0_10empty_typeEEEZZNS1_27merge_sort_block_merge_implIS3_PmPS5_jNS1_19radix_merge_compareILb1ELb0EmNS0_19identity_decomposerEEEEE10hipError_tT0_T1_T2_jT3_P12ihipStream_tbPNSt15iterator_traitsISE_E10value_typeEPNSK_ISF_E10value_typeEPSG_NS1_7vsmem_tEENKUlT_SE_SF_SG_E_clIS8_S8_S9_S9_EESD_ST_SE_SF_SG_EUlST_E1_NS1_11comp_targetILNS1_3genE3ELNS1_11target_archE908ELNS1_3gpuE7ELNS1_3repE0EEENS1_36merge_oddeven_config_static_selectorELNS0_4arch9wavefront6targetE0EEEvSF_.has_indirect_call, 0
	.section	.AMDGPU.csdata,"",@progbits
; Kernel info:
; codeLenInByte = 0
; TotalNumSgprs: 0
; NumVgprs: 0
; ScratchSize: 0
; MemoryBound: 0
; FloatMode: 240
; IeeeMode: 1
; LDSByteSize: 0 bytes/workgroup (compile time only)
; SGPRBlocks: 0
; VGPRBlocks: 0
; NumSGPRsForWavesPerEU: 1
; NumVGPRsForWavesPerEU: 1
; NamedBarCnt: 0
; Occupancy: 16
; WaveLimiterHint : 0
; COMPUTE_PGM_RSRC2:SCRATCH_EN: 0
; COMPUTE_PGM_RSRC2:USER_SGPR: 2
; COMPUTE_PGM_RSRC2:TRAP_HANDLER: 0
; COMPUTE_PGM_RSRC2:TGID_X_EN: 1
; COMPUTE_PGM_RSRC2:TGID_Y_EN: 0
; COMPUTE_PGM_RSRC2:TGID_Z_EN: 0
; COMPUTE_PGM_RSRC2:TIDIG_COMP_CNT: 0
	.section	.text._ZN7rocprim17ROCPRIM_400000_NS6detail17trampoline_kernelINS0_14default_configENS1_38merge_sort_block_merge_config_selectorImNS0_10empty_typeEEEZZNS1_27merge_sort_block_merge_implIS3_PmPS5_jNS1_19radix_merge_compareILb1ELb0EmNS0_19identity_decomposerEEEEE10hipError_tT0_T1_T2_jT3_P12ihipStream_tbPNSt15iterator_traitsISE_E10value_typeEPNSK_ISF_E10value_typeEPSG_NS1_7vsmem_tEENKUlT_SE_SF_SG_E_clIS8_S8_S9_S9_EESD_ST_SE_SF_SG_EUlST_E1_NS1_11comp_targetILNS1_3genE2ELNS1_11target_archE906ELNS1_3gpuE6ELNS1_3repE0EEENS1_36merge_oddeven_config_static_selectorELNS0_4arch9wavefront6targetE0EEEvSF_,"axG",@progbits,_ZN7rocprim17ROCPRIM_400000_NS6detail17trampoline_kernelINS0_14default_configENS1_38merge_sort_block_merge_config_selectorImNS0_10empty_typeEEEZZNS1_27merge_sort_block_merge_implIS3_PmPS5_jNS1_19radix_merge_compareILb1ELb0EmNS0_19identity_decomposerEEEEE10hipError_tT0_T1_T2_jT3_P12ihipStream_tbPNSt15iterator_traitsISE_E10value_typeEPNSK_ISF_E10value_typeEPSG_NS1_7vsmem_tEENKUlT_SE_SF_SG_E_clIS8_S8_S9_S9_EESD_ST_SE_SF_SG_EUlST_E1_NS1_11comp_targetILNS1_3genE2ELNS1_11target_archE906ELNS1_3gpuE6ELNS1_3repE0EEENS1_36merge_oddeven_config_static_selectorELNS0_4arch9wavefront6targetE0EEEvSF_,comdat
	.protected	_ZN7rocprim17ROCPRIM_400000_NS6detail17trampoline_kernelINS0_14default_configENS1_38merge_sort_block_merge_config_selectorImNS0_10empty_typeEEEZZNS1_27merge_sort_block_merge_implIS3_PmPS5_jNS1_19radix_merge_compareILb1ELb0EmNS0_19identity_decomposerEEEEE10hipError_tT0_T1_T2_jT3_P12ihipStream_tbPNSt15iterator_traitsISE_E10value_typeEPNSK_ISF_E10value_typeEPSG_NS1_7vsmem_tEENKUlT_SE_SF_SG_E_clIS8_S8_S9_S9_EESD_ST_SE_SF_SG_EUlST_E1_NS1_11comp_targetILNS1_3genE2ELNS1_11target_archE906ELNS1_3gpuE6ELNS1_3repE0EEENS1_36merge_oddeven_config_static_selectorELNS0_4arch9wavefront6targetE0EEEvSF_ ; -- Begin function _ZN7rocprim17ROCPRIM_400000_NS6detail17trampoline_kernelINS0_14default_configENS1_38merge_sort_block_merge_config_selectorImNS0_10empty_typeEEEZZNS1_27merge_sort_block_merge_implIS3_PmPS5_jNS1_19radix_merge_compareILb1ELb0EmNS0_19identity_decomposerEEEEE10hipError_tT0_T1_T2_jT3_P12ihipStream_tbPNSt15iterator_traitsISE_E10value_typeEPNSK_ISF_E10value_typeEPSG_NS1_7vsmem_tEENKUlT_SE_SF_SG_E_clIS8_S8_S9_S9_EESD_ST_SE_SF_SG_EUlST_E1_NS1_11comp_targetILNS1_3genE2ELNS1_11target_archE906ELNS1_3gpuE6ELNS1_3repE0EEENS1_36merge_oddeven_config_static_selectorELNS0_4arch9wavefront6targetE0EEEvSF_
	.globl	_ZN7rocprim17ROCPRIM_400000_NS6detail17trampoline_kernelINS0_14default_configENS1_38merge_sort_block_merge_config_selectorImNS0_10empty_typeEEEZZNS1_27merge_sort_block_merge_implIS3_PmPS5_jNS1_19radix_merge_compareILb1ELb0EmNS0_19identity_decomposerEEEEE10hipError_tT0_T1_T2_jT3_P12ihipStream_tbPNSt15iterator_traitsISE_E10value_typeEPNSK_ISF_E10value_typeEPSG_NS1_7vsmem_tEENKUlT_SE_SF_SG_E_clIS8_S8_S9_S9_EESD_ST_SE_SF_SG_EUlST_E1_NS1_11comp_targetILNS1_3genE2ELNS1_11target_archE906ELNS1_3gpuE6ELNS1_3repE0EEENS1_36merge_oddeven_config_static_selectorELNS0_4arch9wavefront6targetE0EEEvSF_
	.p2align	8
	.type	_ZN7rocprim17ROCPRIM_400000_NS6detail17trampoline_kernelINS0_14default_configENS1_38merge_sort_block_merge_config_selectorImNS0_10empty_typeEEEZZNS1_27merge_sort_block_merge_implIS3_PmPS5_jNS1_19radix_merge_compareILb1ELb0EmNS0_19identity_decomposerEEEEE10hipError_tT0_T1_T2_jT3_P12ihipStream_tbPNSt15iterator_traitsISE_E10value_typeEPNSK_ISF_E10value_typeEPSG_NS1_7vsmem_tEENKUlT_SE_SF_SG_E_clIS8_S8_S9_S9_EESD_ST_SE_SF_SG_EUlST_E1_NS1_11comp_targetILNS1_3genE2ELNS1_11target_archE906ELNS1_3gpuE6ELNS1_3repE0EEENS1_36merge_oddeven_config_static_selectorELNS0_4arch9wavefront6targetE0EEEvSF_,@function
_ZN7rocprim17ROCPRIM_400000_NS6detail17trampoline_kernelINS0_14default_configENS1_38merge_sort_block_merge_config_selectorImNS0_10empty_typeEEEZZNS1_27merge_sort_block_merge_implIS3_PmPS5_jNS1_19radix_merge_compareILb1ELb0EmNS0_19identity_decomposerEEEEE10hipError_tT0_T1_T2_jT3_P12ihipStream_tbPNSt15iterator_traitsISE_E10value_typeEPNSK_ISF_E10value_typeEPSG_NS1_7vsmem_tEENKUlT_SE_SF_SG_E_clIS8_S8_S9_S9_EESD_ST_SE_SF_SG_EUlST_E1_NS1_11comp_targetILNS1_3genE2ELNS1_11target_archE906ELNS1_3gpuE6ELNS1_3repE0EEENS1_36merge_oddeven_config_static_selectorELNS0_4arch9wavefront6targetE0EEEvSF_: ; @_ZN7rocprim17ROCPRIM_400000_NS6detail17trampoline_kernelINS0_14default_configENS1_38merge_sort_block_merge_config_selectorImNS0_10empty_typeEEEZZNS1_27merge_sort_block_merge_implIS3_PmPS5_jNS1_19radix_merge_compareILb1ELb0EmNS0_19identity_decomposerEEEEE10hipError_tT0_T1_T2_jT3_P12ihipStream_tbPNSt15iterator_traitsISE_E10value_typeEPNSK_ISF_E10value_typeEPSG_NS1_7vsmem_tEENKUlT_SE_SF_SG_E_clIS8_S8_S9_S9_EESD_ST_SE_SF_SG_EUlST_E1_NS1_11comp_targetILNS1_3genE2ELNS1_11target_archE906ELNS1_3gpuE6ELNS1_3repE0EEENS1_36merge_oddeven_config_static_selectorELNS0_4arch9wavefront6targetE0EEEvSF_
; %bb.0:
	.section	.rodata,"a",@progbits
	.p2align	6, 0x0
	.amdhsa_kernel _ZN7rocprim17ROCPRIM_400000_NS6detail17trampoline_kernelINS0_14default_configENS1_38merge_sort_block_merge_config_selectorImNS0_10empty_typeEEEZZNS1_27merge_sort_block_merge_implIS3_PmPS5_jNS1_19radix_merge_compareILb1ELb0EmNS0_19identity_decomposerEEEEE10hipError_tT0_T1_T2_jT3_P12ihipStream_tbPNSt15iterator_traitsISE_E10value_typeEPNSK_ISF_E10value_typeEPSG_NS1_7vsmem_tEENKUlT_SE_SF_SG_E_clIS8_S8_S9_S9_EESD_ST_SE_SF_SG_EUlST_E1_NS1_11comp_targetILNS1_3genE2ELNS1_11target_archE906ELNS1_3gpuE6ELNS1_3repE0EEENS1_36merge_oddeven_config_static_selectorELNS0_4arch9wavefront6targetE0EEEvSF_
		.amdhsa_group_segment_fixed_size 0
		.amdhsa_private_segment_fixed_size 0
		.amdhsa_kernarg_size 48
		.amdhsa_user_sgpr_count 2
		.amdhsa_user_sgpr_dispatch_ptr 0
		.amdhsa_user_sgpr_queue_ptr 0
		.amdhsa_user_sgpr_kernarg_segment_ptr 1
		.amdhsa_user_sgpr_dispatch_id 0
		.amdhsa_user_sgpr_kernarg_preload_length 0
		.amdhsa_user_sgpr_kernarg_preload_offset 0
		.amdhsa_user_sgpr_private_segment_size 0
		.amdhsa_wavefront_size32 1
		.amdhsa_uses_dynamic_stack 0
		.amdhsa_enable_private_segment 0
		.amdhsa_system_sgpr_workgroup_id_x 1
		.amdhsa_system_sgpr_workgroup_id_y 0
		.amdhsa_system_sgpr_workgroup_id_z 0
		.amdhsa_system_sgpr_workgroup_info 0
		.amdhsa_system_vgpr_workitem_id 0
		.amdhsa_next_free_vgpr 1
		.amdhsa_next_free_sgpr 1
		.amdhsa_named_barrier_count 0
		.amdhsa_reserve_vcc 0
		.amdhsa_float_round_mode_32 0
		.amdhsa_float_round_mode_16_64 0
		.amdhsa_float_denorm_mode_32 3
		.amdhsa_float_denorm_mode_16_64 3
		.amdhsa_fp16_overflow 0
		.amdhsa_memory_ordered 1
		.amdhsa_forward_progress 1
		.amdhsa_inst_pref_size 0
		.amdhsa_round_robin_scheduling 0
		.amdhsa_exception_fp_ieee_invalid_op 0
		.amdhsa_exception_fp_denorm_src 0
		.amdhsa_exception_fp_ieee_div_zero 0
		.amdhsa_exception_fp_ieee_overflow 0
		.amdhsa_exception_fp_ieee_underflow 0
		.amdhsa_exception_fp_ieee_inexact 0
		.amdhsa_exception_int_div_zero 0
	.end_amdhsa_kernel
	.section	.text._ZN7rocprim17ROCPRIM_400000_NS6detail17trampoline_kernelINS0_14default_configENS1_38merge_sort_block_merge_config_selectorImNS0_10empty_typeEEEZZNS1_27merge_sort_block_merge_implIS3_PmPS5_jNS1_19radix_merge_compareILb1ELb0EmNS0_19identity_decomposerEEEEE10hipError_tT0_T1_T2_jT3_P12ihipStream_tbPNSt15iterator_traitsISE_E10value_typeEPNSK_ISF_E10value_typeEPSG_NS1_7vsmem_tEENKUlT_SE_SF_SG_E_clIS8_S8_S9_S9_EESD_ST_SE_SF_SG_EUlST_E1_NS1_11comp_targetILNS1_3genE2ELNS1_11target_archE906ELNS1_3gpuE6ELNS1_3repE0EEENS1_36merge_oddeven_config_static_selectorELNS0_4arch9wavefront6targetE0EEEvSF_,"axG",@progbits,_ZN7rocprim17ROCPRIM_400000_NS6detail17trampoline_kernelINS0_14default_configENS1_38merge_sort_block_merge_config_selectorImNS0_10empty_typeEEEZZNS1_27merge_sort_block_merge_implIS3_PmPS5_jNS1_19radix_merge_compareILb1ELb0EmNS0_19identity_decomposerEEEEE10hipError_tT0_T1_T2_jT3_P12ihipStream_tbPNSt15iterator_traitsISE_E10value_typeEPNSK_ISF_E10value_typeEPSG_NS1_7vsmem_tEENKUlT_SE_SF_SG_E_clIS8_S8_S9_S9_EESD_ST_SE_SF_SG_EUlST_E1_NS1_11comp_targetILNS1_3genE2ELNS1_11target_archE906ELNS1_3gpuE6ELNS1_3repE0EEENS1_36merge_oddeven_config_static_selectorELNS0_4arch9wavefront6targetE0EEEvSF_,comdat
.Lfunc_end2819:
	.size	_ZN7rocprim17ROCPRIM_400000_NS6detail17trampoline_kernelINS0_14default_configENS1_38merge_sort_block_merge_config_selectorImNS0_10empty_typeEEEZZNS1_27merge_sort_block_merge_implIS3_PmPS5_jNS1_19radix_merge_compareILb1ELb0EmNS0_19identity_decomposerEEEEE10hipError_tT0_T1_T2_jT3_P12ihipStream_tbPNSt15iterator_traitsISE_E10value_typeEPNSK_ISF_E10value_typeEPSG_NS1_7vsmem_tEENKUlT_SE_SF_SG_E_clIS8_S8_S9_S9_EESD_ST_SE_SF_SG_EUlST_E1_NS1_11comp_targetILNS1_3genE2ELNS1_11target_archE906ELNS1_3gpuE6ELNS1_3repE0EEENS1_36merge_oddeven_config_static_selectorELNS0_4arch9wavefront6targetE0EEEvSF_, .Lfunc_end2819-_ZN7rocprim17ROCPRIM_400000_NS6detail17trampoline_kernelINS0_14default_configENS1_38merge_sort_block_merge_config_selectorImNS0_10empty_typeEEEZZNS1_27merge_sort_block_merge_implIS3_PmPS5_jNS1_19radix_merge_compareILb1ELb0EmNS0_19identity_decomposerEEEEE10hipError_tT0_T1_T2_jT3_P12ihipStream_tbPNSt15iterator_traitsISE_E10value_typeEPNSK_ISF_E10value_typeEPSG_NS1_7vsmem_tEENKUlT_SE_SF_SG_E_clIS8_S8_S9_S9_EESD_ST_SE_SF_SG_EUlST_E1_NS1_11comp_targetILNS1_3genE2ELNS1_11target_archE906ELNS1_3gpuE6ELNS1_3repE0EEENS1_36merge_oddeven_config_static_selectorELNS0_4arch9wavefront6targetE0EEEvSF_
                                        ; -- End function
	.set _ZN7rocprim17ROCPRIM_400000_NS6detail17trampoline_kernelINS0_14default_configENS1_38merge_sort_block_merge_config_selectorImNS0_10empty_typeEEEZZNS1_27merge_sort_block_merge_implIS3_PmPS5_jNS1_19radix_merge_compareILb1ELb0EmNS0_19identity_decomposerEEEEE10hipError_tT0_T1_T2_jT3_P12ihipStream_tbPNSt15iterator_traitsISE_E10value_typeEPNSK_ISF_E10value_typeEPSG_NS1_7vsmem_tEENKUlT_SE_SF_SG_E_clIS8_S8_S9_S9_EESD_ST_SE_SF_SG_EUlST_E1_NS1_11comp_targetILNS1_3genE2ELNS1_11target_archE906ELNS1_3gpuE6ELNS1_3repE0EEENS1_36merge_oddeven_config_static_selectorELNS0_4arch9wavefront6targetE0EEEvSF_.num_vgpr, 0
	.set _ZN7rocprim17ROCPRIM_400000_NS6detail17trampoline_kernelINS0_14default_configENS1_38merge_sort_block_merge_config_selectorImNS0_10empty_typeEEEZZNS1_27merge_sort_block_merge_implIS3_PmPS5_jNS1_19radix_merge_compareILb1ELb0EmNS0_19identity_decomposerEEEEE10hipError_tT0_T1_T2_jT3_P12ihipStream_tbPNSt15iterator_traitsISE_E10value_typeEPNSK_ISF_E10value_typeEPSG_NS1_7vsmem_tEENKUlT_SE_SF_SG_E_clIS8_S8_S9_S9_EESD_ST_SE_SF_SG_EUlST_E1_NS1_11comp_targetILNS1_3genE2ELNS1_11target_archE906ELNS1_3gpuE6ELNS1_3repE0EEENS1_36merge_oddeven_config_static_selectorELNS0_4arch9wavefront6targetE0EEEvSF_.num_agpr, 0
	.set _ZN7rocprim17ROCPRIM_400000_NS6detail17trampoline_kernelINS0_14default_configENS1_38merge_sort_block_merge_config_selectorImNS0_10empty_typeEEEZZNS1_27merge_sort_block_merge_implIS3_PmPS5_jNS1_19radix_merge_compareILb1ELb0EmNS0_19identity_decomposerEEEEE10hipError_tT0_T1_T2_jT3_P12ihipStream_tbPNSt15iterator_traitsISE_E10value_typeEPNSK_ISF_E10value_typeEPSG_NS1_7vsmem_tEENKUlT_SE_SF_SG_E_clIS8_S8_S9_S9_EESD_ST_SE_SF_SG_EUlST_E1_NS1_11comp_targetILNS1_3genE2ELNS1_11target_archE906ELNS1_3gpuE6ELNS1_3repE0EEENS1_36merge_oddeven_config_static_selectorELNS0_4arch9wavefront6targetE0EEEvSF_.numbered_sgpr, 0
	.set _ZN7rocprim17ROCPRIM_400000_NS6detail17trampoline_kernelINS0_14default_configENS1_38merge_sort_block_merge_config_selectorImNS0_10empty_typeEEEZZNS1_27merge_sort_block_merge_implIS3_PmPS5_jNS1_19radix_merge_compareILb1ELb0EmNS0_19identity_decomposerEEEEE10hipError_tT0_T1_T2_jT3_P12ihipStream_tbPNSt15iterator_traitsISE_E10value_typeEPNSK_ISF_E10value_typeEPSG_NS1_7vsmem_tEENKUlT_SE_SF_SG_E_clIS8_S8_S9_S9_EESD_ST_SE_SF_SG_EUlST_E1_NS1_11comp_targetILNS1_3genE2ELNS1_11target_archE906ELNS1_3gpuE6ELNS1_3repE0EEENS1_36merge_oddeven_config_static_selectorELNS0_4arch9wavefront6targetE0EEEvSF_.num_named_barrier, 0
	.set _ZN7rocprim17ROCPRIM_400000_NS6detail17trampoline_kernelINS0_14default_configENS1_38merge_sort_block_merge_config_selectorImNS0_10empty_typeEEEZZNS1_27merge_sort_block_merge_implIS3_PmPS5_jNS1_19radix_merge_compareILb1ELb0EmNS0_19identity_decomposerEEEEE10hipError_tT0_T1_T2_jT3_P12ihipStream_tbPNSt15iterator_traitsISE_E10value_typeEPNSK_ISF_E10value_typeEPSG_NS1_7vsmem_tEENKUlT_SE_SF_SG_E_clIS8_S8_S9_S9_EESD_ST_SE_SF_SG_EUlST_E1_NS1_11comp_targetILNS1_3genE2ELNS1_11target_archE906ELNS1_3gpuE6ELNS1_3repE0EEENS1_36merge_oddeven_config_static_selectorELNS0_4arch9wavefront6targetE0EEEvSF_.private_seg_size, 0
	.set _ZN7rocprim17ROCPRIM_400000_NS6detail17trampoline_kernelINS0_14default_configENS1_38merge_sort_block_merge_config_selectorImNS0_10empty_typeEEEZZNS1_27merge_sort_block_merge_implIS3_PmPS5_jNS1_19radix_merge_compareILb1ELb0EmNS0_19identity_decomposerEEEEE10hipError_tT0_T1_T2_jT3_P12ihipStream_tbPNSt15iterator_traitsISE_E10value_typeEPNSK_ISF_E10value_typeEPSG_NS1_7vsmem_tEENKUlT_SE_SF_SG_E_clIS8_S8_S9_S9_EESD_ST_SE_SF_SG_EUlST_E1_NS1_11comp_targetILNS1_3genE2ELNS1_11target_archE906ELNS1_3gpuE6ELNS1_3repE0EEENS1_36merge_oddeven_config_static_selectorELNS0_4arch9wavefront6targetE0EEEvSF_.uses_vcc, 0
	.set _ZN7rocprim17ROCPRIM_400000_NS6detail17trampoline_kernelINS0_14default_configENS1_38merge_sort_block_merge_config_selectorImNS0_10empty_typeEEEZZNS1_27merge_sort_block_merge_implIS3_PmPS5_jNS1_19radix_merge_compareILb1ELb0EmNS0_19identity_decomposerEEEEE10hipError_tT0_T1_T2_jT3_P12ihipStream_tbPNSt15iterator_traitsISE_E10value_typeEPNSK_ISF_E10value_typeEPSG_NS1_7vsmem_tEENKUlT_SE_SF_SG_E_clIS8_S8_S9_S9_EESD_ST_SE_SF_SG_EUlST_E1_NS1_11comp_targetILNS1_3genE2ELNS1_11target_archE906ELNS1_3gpuE6ELNS1_3repE0EEENS1_36merge_oddeven_config_static_selectorELNS0_4arch9wavefront6targetE0EEEvSF_.uses_flat_scratch, 0
	.set _ZN7rocprim17ROCPRIM_400000_NS6detail17trampoline_kernelINS0_14default_configENS1_38merge_sort_block_merge_config_selectorImNS0_10empty_typeEEEZZNS1_27merge_sort_block_merge_implIS3_PmPS5_jNS1_19radix_merge_compareILb1ELb0EmNS0_19identity_decomposerEEEEE10hipError_tT0_T1_T2_jT3_P12ihipStream_tbPNSt15iterator_traitsISE_E10value_typeEPNSK_ISF_E10value_typeEPSG_NS1_7vsmem_tEENKUlT_SE_SF_SG_E_clIS8_S8_S9_S9_EESD_ST_SE_SF_SG_EUlST_E1_NS1_11comp_targetILNS1_3genE2ELNS1_11target_archE906ELNS1_3gpuE6ELNS1_3repE0EEENS1_36merge_oddeven_config_static_selectorELNS0_4arch9wavefront6targetE0EEEvSF_.has_dyn_sized_stack, 0
	.set _ZN7rocprim17ROCPRIM_400000_NS6detail17trampoline_kernelINS0_14default_configENS1_38merge_sort_block_merge_config_selectorImNS0_10empty_typeEEEZZNS1_27merge_sort_block_merge_implIS3_PmPS5_jNS1_19radix_merge_compareILb1ELb0EmNS0_19identity_decomposerEEEEE10hipError_tT0_T1_T2_jT3_P12ihipStream_tbPNSt15iterator_traitsISE_E10value_typeEPNSK_ISF_E10value_typeEPSG_NS1_7vsmem_tEENKUlT_SE_SF_SG_E_clIS8_S8_S9_S9_EESD_ST_SE_SF_SG_EUlST_E1_NS1_11comp_targetILNS1_3genE2ELNS1_11target_archE906ELNS1_3gpuE6ELNS1_3repE0EEENS1_36merge_oddeven_config_static_selectorELNS0_4arch9wavefront6targetE0EEEvSF_.has_recursion, 0
	.set _ZN7rocprim17ROCPRIM_400000_NS6detail17trampoline_kernelINS0_14default_configENS1_38merge_sort_block_merge_config_selectorImNS0_10empty_typeEEEZZNS1_27merge_sort_block_merge_implIS3_PmPS5_jNS1_19radix_merge_compareILb1ELb0EmNS0_19identity_decomposerEEEEE10hipError_tT0_T1_T2_jT3_P12ihipStream_tbPNSt15iterator_traitsISE_E10value_typeEPNSK_ISF_E10value_typeEPSG_NS1_7vsmem_tEENKUlT_SE_SF_SG_E_clIS8_S8_S9_S9_EESD_ST_SE_SF_SG_EUlST_E1_NS1_11comp_targetILNS1_3genE2ELNS1_11target_archE906ELNS1_3gpuE6ELNS1_3repE0EEENS1_36merge_oddeven_config_static_selectorELNS0_4arch9wavefront6targetE0EEEvSF_.has_indirect_call, 0
	.section	.AMDGPU.csdata,"",@progbits
; Kernel info:
; codeLenInByte = 0
; TotalNumSgprs: 0
; NumVgprs: 0
; ScratchSize: 0
; MemoryBound: 0
; FloatMode: 240
; IeeeMode: 1
; LDSByteSize: 0 bytes/workgroup (compile time only)
; SGPRBlocks: 0
; VGPRBlocks: 0
; NumSGPRsForWavesPerEU: 1
; NumVGPRsForWavesPerEU: 1
; NamedBarCnt: 0
; Occupancy: 16
; WaveLimiterHint : 0
; COMPUTE_PGM_RSRC2:SCRATCH_EN: 0
; COMPUTE_PGM_RSRC2:USER_SGPR: 2
; COMPUTE_PGM_RSRC2:TRAP_HANDLER: 0
; COMPUTE_PGM_RSRC2:TGID_X_EN: 1
; COMPUTE_PGM_RSRC2:TGID_Y_EN: 0
; COMPUTE_PGM_RSRC2:TGID_Z_EN: 0
; COMPUTE_PGM_RSRC2:TIDIG_COMP_CNT: 0
	.section	.text._ZN7rocprim17ROCPRIM_400000_NS6detail17trampoline_kernelINS0_14default_configENS1_38merge_sort_block_merge_config_selectorImNS0_10empty_typeEEEZZNS1_27merge_sort_block_merge_implIS3_PmPS5_jNS1_19radix_merge_compareILb1ELb0EmNS0_19identity_decomposerEEEEE10hipError_tT0_T1_T2_jT3_P12ihipStream_tbPNSt15iterator_traitsISE_E10value_typeEPNSK_ISF_E10value_typeEPSG_NS1_7vsmem_tEENKUlT_SE_SF_SG_E_clIS8_S8_S9_S9_EESD_ST_SE_SF_SG_EUlST_E1_NS1_11comp_targetILNS1_3genE9ELNS1_11target_archE1100ELNS1_3gpuE3ELNS1_3repE0EEENS1_36merge_oddeven_config_static_selectorELNS0_4arch9wavefront6targetE0EEEvSF_,"axG",@progbits,_ZN7rocprim17ROCPRIM_400000_NS6detail17trampoline_kernelINS0_14default_configENS1_38merge_sort_block_merge_config_selectorImNS0_10empty_typeEEEZZNS1_27merge_sort_block_merge_implIS3_PmPS5_jNS1_19radix_merge_compareILb1ELb0EmNS0_19identity_decomposerEEEEE10hipError_tT0_T1_T2_jT3_P12ihipStream_tbPNSt15iterator_traitsISE_E10value_typeEPNSK_ISF_E10value_typeEPSG_NS1_7vsmem_tEENKUlT_SE_SF_SG_E_clIS8_S8_S9_S9_EESD_ST_SE_SF_SG_EUlST_E1_NS1_11comp_targetILNS1_3genE9ELNS1_11target_archE1100ELNS1_3gpuE3ELNS1_3repE0EEENS1_36merge_oddeven_config_static_selectorELNS0_4arch9wavefront6targetE0EEEvSF_,comdat
	.protected	_ZN7rocprim17ROCPRIM_400000_NS6detail17trampoline_kernelINS0_14default_configENS1_38merge_sort_block_merge_config_selectorImNS0_10empty_typeEEEZZNS1_27merge_sort_block_merge_implIS3_PmPS5_jNS1_19radix_merge_compareILb1ELb0EmNS0_19identity_decomposerEEEEE10hipError_tT0_T1_T2_jT3_P12ihipStream_tbPNSt15iterator_traitsISE_E10value_typeEPNSK_ISF_E10value_typeEPSG_NS1_7vsmem_tEENKUlT_SE_SF_SG_E_clIS8_S8_S9_S9_EESD_ST_SE_SF_SG_EUlST_E1_NS1_11comp_targetILNS1_3genE9ELNS1_11target_archE1100ELNS1_3gpuE3ELNS1_3repE0EEENS1_36merge_oddeven_config_static_selectorELNS0_4arch9wavefront6targetE0EEEvSF_ ; -- Begin function _ZN7rocprim17ROCPRIM_400000_NS6detail17trampoline_kernelINS0_14default_configENS1_38merge_sort_block_merge_config_selectorImNS0_10empty_typeEEEZZNS1_27merge_sort_block_merge_implIS3_PmPS5_jNS1_19radix_merge_compareILb1ELb0EmNS0_19identity_decomposerEEEEE10hipError_tT0_T1_T2_jT3_P12ihipStream_tbPNSt15iterator_traitsISE_E10value_typeEPNSK_ISF_E10value_typeEPSG_NS1_7vsmem_tEENKUlT_SE_SF_SG_E_clIS8_S8_S9_S9_EESD_ST_SE_SF_SG_EUlST_E1_NS1_11comp_targetILNS1_3genE9ELNS1_11target_archE1100ELNS1_3gpuE3ELNS1_3repE0EEENS1_36merge_oddeven_config_static_selectorELNS0_4arch9wavefront6targetE0EEEvSF_
	.globl	_ZN7rocprim17ROCPRIM_400000_NS6detail17trampoline_kernelINS0_14default_configENS1_38merge_sort_block_merge_config_selectorImNS0_10empty_typeEEEZZNS1_27merge_sort_block_merge_implIS3_PmPS5_jNS1_19radix_merge_compareILb1ELb0EmNS0_19identity_decomposerEEEEE10hipError_tT0_T1_T2_jT3_P12ihipStream_tbPNSt15iterator_traitsISE_E10value_typeEPNSK_ISF_E10value_typeEPSG_NS1_7vsmem_tEENKUlT_SE_SF_SG_E_clIS8_S8_S9_S9_EESD_ST_SE_SF_SG_EUlST_E1_NS1_11comp_targetILNS1_3genE9ELNS1_11target_archE1100ELNS1_3gpuE3ELNS1_3repE0EEENS1_36merge_oddeven_config_static_selectorELNS0_4arch9wavefront6targetE0EEEvSF_
	.p2align	8
	.type	_ZN7rocprim17ROCPRIM_400000_NS6detail17trampoline_kernelINS0_14default_configENS1_38merge_sort_block_merge_config_selectorImNS0_10empty_typeEEEZZNS1_27merge_sort_block_merge_implIS3_PmPS5_jNS1_19radix_merge_compareILb1ELb0EmNS0_19identity_decomposerEEEEE10hipError_tT0_T1_T2_jT3_P12ihipStream_tbPNSt15iterator_traitsISE_E10value_typeEPNSK_ISF_E10value_typeEPSG_NS1_7vsmem_tEENKUlT_SE_SF_SG_E_clIS8_S8_S9_S9_EESD_ST_SE_SF_SG_EUlST_E1_NS1_11comp_targetILNS1_3genE9ELNS1_11target_archE1100ELNS1_3gpuE3ELNS1_3repE0EEENS1_36merge_oddeven_config_static_selectorELNS0_4arch9wavefront6targetE0EEEvSF_,@function
_ZN7rocprim17ROCPRIM_400000_NS6detail17trampoline_kernelINS0_14default_configENS1_38merge_sort_block_merge_config_selectorImNS0_10empty_typeEEEZZNS1_27merge_sort_block_merge_implIS3_PmPS5_jNS1_19radix_merge_compareILb1ELb0EmNS0_19identity_decomposerEEEEE10hipError_tT0_T1_T2_jT3_P12ihipStream_tbPNSt15iterator_traitsISE_E10value_typeEPNSK_ISF_E10value_typeEPSG_NS1_7vsmem_tEENKUlT_SE_SF_SG_E_clIS8_S8_S9_S9_EESD_ST_SE_SF_SG_EUlST_E1_NS1_11comp_targetILNS1_3genE9ELNS1_11target_archE1100ELNS1_3gpuE3ELNS1_3repE0EEENS1_36merge_oddeven_config_static_selectorELNS0_4arch9wavefront6targetE0EEEvSF_: ; @_ZN7rocprim17ROCPRIM_400000_NS6detail17trampoline_kernelINS0_14default_configENS1_38merge_sort_block_merge_config_selectorImNS0_10empty_typeEEEZZNS1_27merge_sort_block_merge_implIS3_PmPS5_jNS1_19radix_merge_compareILb1ELb0EmNS0_19identity_decomposerEEEEE10hipError_tT0_T1_T2_jT3_P12ihipStream_tbPNSt15iterator_traitsISE_E10value_typeEPNSK_ISF_E10value_typeEPSG_NS1_7vsmem_tEENKUlT_SE_SF_SG_E_clIS8_S8_S9_S9_EESD_ST_SE_SF_SG_EUlST_E1_NS1_11comp_targetILNS1_3genE9ELNS1_11target_archE1100ELNS1_3gpuE3ELNS1_3repE0EEENS1_36merge_oddeven_config_static_selectorELNS0_4arch9wavefront6targetE0EEEvSF_
; %bb.0:
	.section	.rodata,"a",@progbits
	.p2align	6, 0x0
	.amdhsa_kernel _ZN7rocprim17ROCPRIM_400000_NS6detail17trampoline_kernelINS0_14default_configENS1_38merge_sort_block_merge_config_selectorImNS0_10empty_typeEEEZZNS1_27merge_sort_block_merge_implIS3_PmPS5_jNS1_19radix_merge_compareILb1ELb0EmNS0_19identity_decomposerEEEEE10hipError_tT0_T1_T2_jT3_P12ihipStream_tbPNSt15iterator_traitsISE_E10value_typeEPNSK_ISF_E10value_typeEPSG_NS1_7vsmem_tEENKUlT_SE_SF_SG_E_clIS8_S8_S9_S9_EESD_ST_SE_SF_SG_EUlST_E1_NS1_11comp_targetILNS1_3genE9ELNS1_11target_archE1100ELNS1_3gpuE3ELNS1_3repE0EEENS1_36merge_oddeven_config_static_selectorELNS0_4arch9wavefront6targetE0EEEvSF_
		.amdhsa_group_segment_fixed_size 0
		.amdhsa_private_segment_fixed_size 0
		.amdhsa_kernarg_size 48
		.amdhsa_user_sgpr_count 2
		.amdhsa_user_sgpr_dispatch_ptr 0
		.amdhsa_user_sgpr_queue_ptr 0
		.amdhsa_user_sgpr_kernarg_segment_ptr 1
		.amdhsa_user_sgpr_dispatch_id 0
		.amdhsa_user_sgpr_kernarg_preload_length 0
		.amdhsa_user_sgpr_kernarg_preload_offset 0
		.amdhsa_user_sgpr_private_segment_size 0
		.amdhsa_wavefront_size32 1
		.amdhsa_uses_dynamic_stack 0
		.amdhsa_enable_private_segment 0
		.amdhsa_system_sgpr_workgroup_id_x 1
		.amdhsa_system_sgpr_workgroup_id_y 0
		.amdhsa_system_sgpr_workgroup_id_z 0
		.amdhsa_system_sgpr_workgroup_info 0
		.amdhsa_system_vgpr_workitem_id 0
		.amdhsa_next_free_vgpr 1
		.amdhsa_next_free_sgpr 1
		.amdhsa_named_barrier_count 0
		.amdhsa_reserve_vcc 0
		.amdhsa_float_round_mode_32 0
		.amdhsa_float_round_mode_16_64 0
		.amdhsa_float_denorm_mode_32 3
		.amdhsa_float_denorm_mode_16_64 3
		.amdhsa_fp16_overflow 0
		.amdhsa_memory_ordered 1
		.amdhsa_forward_progress 1
		.amdhsa_inst_pref_size 0
		.amdhsa_round_robin_scheduling 0
		.amdhsa_exception_fp_ieee_invalid_op 0
		.amdhsa_exception_fp_denorm_src 0
		.amdhsa_exception_fp_ieee_div_zero 0
		.amdhsa_exception_fp_ieee_overflow 0
		.amdhsa_exception_fp_ieee_underflow 0
		.amdhsa_exception_fp_ieee_inexact 0
		.amdhsa_exception_int_div_zero 0
	.end_amdhsa_kernel
	.section	.text._ZN7rocprim17ROCPRIM_400000_NS6detail17trampoline_kernelINS0_14default_configENS1_38merge_sort_block_merge_config_selectorImNS0_10empty_typeEEEZZNS1_27merge_sort_block_merge_implIS3_PmPS5_jNS1_19radix_merge_compareILb1ELb0EmNS0_19identity_decomposerEEEEE10hipError_tT0_T1_T2_jT3_P12ihipStream_tbPNSt15iterator_traitsISE_E10value_typeEPNSK_ISF_E10value_typeEPSG_NS1_7vsmem_tEENKUlT_SE_SF_SG_E_clIS8_S8_S9_S9_EESD_ST_SE_SF_SG_EUlST_E1_NS1_11comp_targetILNS1_3genE9ELNS1_11target_archE1100ELNS1_3gpuE3ELNS1_3repE0EEENS1_36merge_oddeven_config_static_selectorELNS0_4arch9wavefront6targetE0EEEvSF_,"axG",@progbits,_ZN7rocprim17ROCPRIM_400000_NS6detail17trampoline_kernelINS0_14default_configENS1_38merge_sort_block_merge_config_selectorImNS0_10empty_typeEEEZZNS1_27merge_sort_block_merge_implIS3_PmPS5_jNS1_19radix_merge_compareILb1ELb0EmNS0_19identity_decomposerEEEEE10hipError_tT0_T1_T2_jT3_P12ihipStream_tbPNSt15iterator_traitsISE_E10value_typeEPNSK_ISF_E10value_typeEPSG_NS1_7vsmem_tEENKUlT_SE_SF_SG_E_clIS8_S8_S9_S9_EESD_ST_SE_SF_SG_EUlST_E1_NS1_11comp_targetILNS1_3genE9ELNS1_11target_archE1100ELNS1_3gpuE3ELNS1_3repE0EEENS1_36merge_oddeven_config_static_selectorELNS0_4arch9wavefront6targetE0EEEvSF_,comdat
.Lfunc_end2820:
	.size	_ZN7rocprim17ROCPRIM_400000_NS6detail17trampoline_kernelINS0_14default_configENS1_38merge_sort_block_merge_config_selectorImNS0_10empty_typeEEEZZNS1_27merge_sort_block_merge_implIS3_PmPS5_jNS1_19radix_merge_compareILb1ELb0EmNS0_19identity_decomposerEEEEE10hipError_tT0_T1_T2_jT3_P12ihipStream_tbPNSt15iterator_traitsISE_E10value_typeEPNSK_ISF_E10value_typeEPSG_NS1_7vsmem_tEENKUlT_SE_SF_SG_E_clIS8_S8_S9_S9_EESD_ST_SE_SF_SG_EUlST_E1_NS1_11comp_targetILNS1_3genE9ELNS1_11target_archE1100ELNS1_3gpuE3ELNS1_3repE0EEENS1_36merge_oddeven_config_static_selectorELNS0_4arch9wavefront6targetE0EEEvSF_, .Lfunc_end2820-_ZN7rocprim17ROCPRIM_400000_NS6detail17trampoline_kernelINS0_14default_configENS1_38merge_sort_block_merge_config_selectorImNS0_10empty_typeEEEZZNS1_27merge_sort_block_merge_implIS3_PmPS5_jNS1_19radix_merge_compareILb1ELb0EmNS0_19identity_decomposerEEEEE10hipError_tT0_T1_T2_jT3_P12ihipStream_tbPNSt15iterator_traitsISE_E10value_typeEPNSK_ISF_E10value_typeEPSG_NS1_7vsmem_tEENKUlT_SE_SF_SG_E_clIS8_S8_S9_S9_EESD_ST_SE_SF_SG_EUlST_E1_NS1_11comp_targetILNS1_3genE9ELNS1_11target_archE1100ELNS1_3gpuE3ELNS1_3repE0EEENS1_36merge_oddeven_config_static_selectorELNS0_4arch9wavefront6targetE0EEEvSF_
                                        ; -- End function
	.set _ZN7rocprim17ROCPRIM_400000_NS6detail17trampoline_kernelINS0_14default_configENS1_38merge_sort_block_merge_config_selectorImNS0_10empty_typeEEEZZNS1_27merge_sort_block_merge_implIS3_PmPS5_jNS1_19radix_merge_compareILb1ELb0EmNS0_19identity_decomposerEEEEE10hipError_tT0_T1_T2_jT3_P12ihipStream_tbPNSt15iterator_traitsISE_E10value_typeEPNSK_ISF_E10value_typeEPSG_NS1_7vsmem_tEENKUlT_SE_SF_SG_E_clIS8_S8_S9_S9_EESD_ST_SE_SF_SG_EUlST_E1_NS1_11comp_targetILNS1_3genE9ELNS1_11target_archE1100ELNS1_3gpuE3ELNS1_3repE0EEENS1_36merge_oddeven_config_static_selectorELNS0_4arch9wavefront6targetE0EEEvSF_.num_vgpr, 0
	.set _ZN7rocprim17ROCPRIM_400000_NS6detail17trampoline_kernelINS0_14default_configENS1_38merge_sort_block_merge_config_selectorImNS0_10empty_typeEEEZZNS1_27merge_sort_block_merge_implIS3_PmPS5_jNS1_19radix_merge_compareILb1ELb0EmNS0_19identity_decomposerEEEEE10hipError_tT0_T1_T2_jT3_P12ihipStream_tbPNSt15iterator_traitsISE_E10value_typeEPNSK_ISF_E10value_typeEPSG_NS1_7vsmem_tEENKUlT_SE_SF_SG_E_clIS8_S8_S9_S9_EESD_ST_SE_SF_SG_EUlST_E1_NS1_11comp_targetILNS1_3genE9ELNS1_11target_archE1100ELNS1_3gpuE3ELNS1_3repE0EEENS1_36merge_oddeven_config_static_selectorELNS0_4arch9wavefront6targetE0EEEvSF_.num_agpr, 0
	.set _ZN7rocprim17ROCPRIM_400000_NS6detail17trampoline_kernelINS0_14default_configENS1_38merge_sort_block_merge_config_selectorImNS0_10empty_typeEEEZZNS1_27merge_sort_block_merge_implIS3_PmPS5_jNS1_19radix_merge_compareILb1ELb0EmNS0_19identity_decomposerEEEEE10hipError_tT0_T1_T2_jT3_P12ihipStream_tbPNSt15iterator_traitsISE_E10value_typeEPNSK_ISF_E10value_typeEPSG_NS1_7vsmem_tEENKUlT_SE_SF_SG_E_clIS8_S8_S9_S9_EESD_ST_SE_SF_SG_EUlST_E1_NS1_11comp_targetILNS1_3genE9ELNS1_11target_archE1100ELNS1_3gpuE3ELNS1_3repE0EEENS1_36merge_oddeven_config_static_selectorELNS0_4arch9wavefront6targetE0EEEvSF_.numbered_sgpr, 0
	.set _ZN7rocprim17ROCPRIM_400000_NS6detail17trampoline_kernelINS0_14default_configENS1_38merge_sort_block_merge_config_selectorImNS0_10empty_typeEEEZZNS1_27merge_sort_block_merge_implIS3_PmPS5_jNS1_19radix_merge_compareILb1ELb0EmNS0_19identity_decomposerEEEEE10hipError_tT0_T1_T2_jT3_P12ihipStream_tbPNSt15iterator_traitsISE_E10value_typeEPNSK_ISF_E10value_typeEPSG_NS1_7vsmem_tEENKUlT_SE_SF_SG_E_clIS8_S8_S9_S9_EESD_ST_SE_SF_SG_EUlST_E1_NS1_11comp_targetILNS1_3genE9ELNS1_11target_archE1100ELNS1_3gpuE3ELNS1_3repE0EEENS1_36merge_oddeven_config_static_selectorELNS0_4arch9wavefront6targetE0EEEvSF_.num_named_barrier, 0
	.set _ZN7rocprim17ROCPRIM_400000_NS6detail17trampoline_kernelINS0_14default_configENS1_38merge_sort_block_merge_config_selectorImNS0_10empty_typeEEEZZNS1_27merge_sort_block_merge_implIS3_PmPS5_jNS1_19radix_merge_compareILb1ELb0EmNS0_19identity_decomposerEEEEE10hipError_tT0_T1_T2_jT3_P12ihipStream_tbPNSt15iterator_traitsISE_E10value_typeEPNSK_ISF_E10value_typeEPSG_NS1_7vsmem_tEENKUlT_SE_SF_SG_E_clIS8_S8_S9_S9_EESD_ST_SE_SF_SG_EUlST_E1_NS1_11comp_targetILNS1_3genE9ELNS1_11target_archE1100ELNS1_3gpuE3ELNS1_3repE0EEENS1_36merge_oddeven_config_static_selectorELNS0_4arch9wavefront6targetE0EEEvSF_.private_seg_size, 0
	.set _ZN7rocprim17ROCPRIM_400000_NS6detail17trampoline_kernelINS0_14default_configENS1_38merge_sort_block_merge_config_selectorImNS0_10empty_typeEEEZZNS1_27merge_sort_block_merge_implIS3_PmPS5_jNS1_19radix_merge_compareILb1ELb0EmNS0_19identity_decomposerEEEEE10hipError_tT0_T1_T2_jT3_P12ihipStream_tbPNSt15iterator_traitsISE_E10value_typeEPNSK_ISF_E10value_typeEPSG_NS1_7vsmem_tEENKUlT_SE_SF_SG_E_clIS8_S8_S9_S9_EESD_ST_SE_SF_SG_EUlST_E1_NS1_11comp_targetILNS1_3genE9ELNS1_11target_archE1100ELNS1_3gpuE3ELNS1_3repE0EEENS1_36merge_oddeven_config_static_selectorELNS0_4arch9wavefront6targetE0EEEvSF_.uses_vcc, 0
	.set _ZN7rocprim17ROCPRIM_400000_NS6detail17trampoline_kernelINS0_14default_configENS1_38merge_sort_block_merge_config_selectorImNS0_10empty_typeEEEZZNS1_27merge_sort_block_merge_implIS3_PmPS5_jNS1_19radix_merge_compareILb1ELb0EmNS0_19identity_decomposerEEEEE10hipError_tT0_T1_T2_jT3_P12ihipStream_tbPNSt15iterator_traitsISE_E10value_typeEPNSK_ISF_E10value_typeEPSG_NS1_7vsmem_tEENKUlT_SE_SF_SG_E_clIS8_S8_S9_S9_EESD_ST_SE_SF_SG_EUlST_E1_NS1_11comp_targetILNS1_3genE9ELNS1_11target_archE1100ELNS1_3gpuE3ELNS1_3repE0EEENS1_36merge_oddeven_config_static_selectorELNS0_4arch9wavefront6targetE0EEEvSF_.uses_flat_scratch, 0
	.set _ZN7rocprim17ROCPRIM_400000_NS6detail17trampoline_kernelINS0_14default_configENS1_38merge_sort_block_merge_config_selectorImNS0_10empty_typeEEEZZNS1_27merge_sort_block_merge_implIS3_PmPS5_jNS1_19radix_merge_compareILb1ELb0EmNS0_19identity_decomposerEEEEE10hipError_tT0_T1_T2_jT3_P12ihipStream_tbPNSt15iterator_traitsISE_E10value_typeEPNSK_ISF_E10value_typeEPSG_NS1_7vsmem_tEENKUlT_SE_SF_SG_E_clIS8_S8_S9_S9_EESD_ST_SE_SF_SG_EUlST_E1_NS1_11comp_targetILNS1_3genE9ELNS1_11target_archE1100ELNS1_3gpuE3ELNS1_3repE0EEENS1_36merge_oddeven_config_static_selectorELNS0_4arch9wavefront6targetE0EEEvSF_.has_dyn_sized_stack, 0
	.set _ZN7rocprim17ROCPRIM_400000_NS6detail17trampoline_kernelINS0_14default_configENS1_38merge_sort_block_merge_config_selectorImNS0_10empty_typeEEEZZNS1_27merge_sort_block_merge_implIS3_PmPS5_jNS1_19radix_merge_compareILb1ELb0EmNS0_19identity_decomposerEEEEE10hipError_tT0_T1_T2_jT3_P12ihipStream_tbPNSt15iterator_traitsISE_E10value_typeEPNSK_ISF_E10value_typeEPSG_NS1_7vsmem_tEENKUlT_SE_SF_SG_E_clIS8_S8_S9_S9_EESD_ST_SE_SF_SG_EUlST_E1_NS1_11comp_targetILNS1_3genE9ELNS1_11target_archE1100ELNS1_3gpuE3ELNS1_3repE0EEENS1_36merge_oddeven_config_static_selectorELNS0_4arch9wavefront6targetE0EEEvSF_.has_recursion, 0
	.set _ZN7rocprim17ROCPRIM_400000_NS6detail17trampoline_kernelINS0_14default_configENS1_38merge_sort_block_merge_config_selectorImNS0_10empty_typeEEEZZNS1_27merge_sort_block_merge_implIS3_PmPS5_jNS1_19radix_merge_compareILb1ELb0EmNS0_19identity_decomposerEEEEE10hipError_tT0_T1_T2_jT3_P12ihipStream_tbPNSt15iterator_traitsISE_E10value_typeEPNSK_ISF_E10value_typeEPSG_NS1_7vsmem_tEENKUlT_SE_SF_SG_E_clIS8_S8_S9_S9_EESD_ST_SE_SF_SG_EUlST_E1_NS1_11comp_targetILNS1_3genE9ELNS1_11target_archE1100ELNS1_3gpuE3ELNS1_3repE0EEENS1_36merge_oddeven_config_static_selectorELNS0_4arch9wavefront6targetE0EEEvSF_.has_indirect_call, 0
	.section	.AMDGPU.csdata,"",@progbits
; Kernel info:
; codeLenInByte = 0
; TotalNumSgprs: 0
; NumVgprs: 0
; ScratchSize: 0
; MemoryBound: 0
; FloatMode: 240
; IeeeMode: 1
; LDSByteSize: 0 bytes/workgroup (compile time only)
; SGPRBlocks: 0
; VGPRBlocks: 0
; NumSGPRsForWavesPerEU: 1
; NumVGPRsForWavesPerEU: 1
; NamedBarCnt: 0
; Occupancy: 16
; WaveLimiterHint : 0
; COMPUTE_PGM_RSRC2:SCRATCH_EN: 0
; COMPUTE_PGM_RSRC2:USER_SGPR: 2
; COMPUTE_PGM_RSRC2:TRAP_HANDLER: 0
; COMPUTE_PGM_RSRC2:TGID_X_EN: 1
; COMPUTE_PGM_RSRC2:TGID_Y_EN: 0
; COMPUTE_PGM_RSRC2:TGID_Z_EN: 0
; COMPUTE_PGM_RSRC2:TIDIG_COMP_CNT: 0
	.section	.text._ZN7rocprim17ROCPRIM_400000_NS6detail17trampoline_kernelINS0_14default_configENS1_38merge_sort_block_merge_config_selectorImNS0_10empty_typeEEEZZNS1_27merge_sort_block_merge_implIS3_PmPS5_jNS1_19radix_merge_compareILb1ELb0EmNS0_19identity_decomposerEEEEE10hipError_tT0_T1_T2_jT3_P12ihipStream_tbPNSt15iterator_traitsISE_E10value_typeEPNSK_ISF_E10value_typeEPSG_NS1_7vsmem_tEENKUlT_SE_SF_SG_E_clIS8_S8_S9_S9_EESD_ST_SE_SF_SG_EUlST_E1_NS1_11comp_targetILNS1_3genE8ELNS1_11target_archE1030ELNS1_3gpuE2ELNS1_3repE0EEENS1_36merge_oddeven_config_static_selectorELNS0_4arch9wavefront6targetE0EEEvSF_,"axG",@progbits,_ZN7rocprim17ROCPRIM_400000_NS6detail17trampoline_kernelINS0_14default_configENS1_38merge_sort_block_merge_config_selectorImNS0_10empty_typeEEEZZNS1_27merge_sort_block_merge_implIS3_PmPS5_jNS1_19radix_merge_compareILb1ELb0EmNS0_19identity_decomposerEEEEE10hipError_tT0_T1_T2_jT3_P12ihipStream_tbPNSt15iterator_traitsISE_E10value_typeEPNSK_ISF_E10value_typeEPSG_NS1_7vsmem_tEENKUlT_SE_SF_SG_E_clIS8_S8_S9_S9_EESD_ST_SE_SF_SG_EUlST_E1_NS1_11comp_targetILNS1_3genE8ELNS1_11target_archE1030ELNS1_3gpuE2ELNS1_3repE0EEENS1_36merge_oddeven_config_static_selectorELNS0_4arch9wavefront6targetE0EEEvSF_,comdat
	.protected	_ZN7rocprim17ROCPRIM_400000_NS6detail17trampoline_kernelINS0_14default_configENS1_38merge_sort_block_merge_config_selectorImNS0_10empty_typeEEEZZNS1_27merge_sort_block_merge_implIS3_PmPS5_jNS1_19radix_merge_compareILb1ELb0EmNS0_19identity_decomposerEEEEE10hipError_tT0_T1_T2_jT3_P12ihipStream_tbPNSt15iterator_traitsISE_E10value_typeEPNSK_ISF_E10value_typeEPSG_NS1_7vsmem_tEENKUlT_SE_SF_SG_E_clIS8_S8_S9_S9_EESD_ST_SE_SF_SG_EUlST_E1_NS1_11comp_targetILNS1_3genE8ELNS1_11target_archE1030ELNS1_3gpuE2ELNS1_3repE0EEENS1_36merge_oddeven_config_static_selectorELNS0_4arch9wavefront6targetE0EEEvSF_ ; -- Begin function _ZN7rocprim17ROCPRIM_400000_NS6detail17trampoline_kernelINS0_14default_configENS1_38merge_sort_block_merge_config_selectorImNS0_10empty_typeEEEZZNS1_27merge_sort_block_merge_implIS3_PmPS5_jNS1_19radix_merge_compareILb1ELb0EmNS0_19identity_decomposerEEEEE10hipError_tT0_T1_T2_jT3_P12ihipStream_tbPNSt15iterator_traitsISE_E10value_typeEPNSK_ISF_E10value_typeEPSG_NS1_7vsmem_tEENKUlT_SE_SF_SG_E_clIS8_S8_S9_S9_EESD_ST_SE_SF_SG_EUlST_E1_NS1_11comp_targetILNS1_3genE8ELNS1_11target_archE1030ELNS1_3gpuE2ELNS1_3repE0EEENS1_36merge_oddeven_config_static_selectorELNS0_4arch9wavefront6targetE0EEEvSF_
	.globl	_ZN7rocprim17ROCPRIM_400000_NS6detail17trampoline_kernelINS0_14default_configENS1_38merge_sort_block_merge_config_selectorImNS0_10empty_typeEEEZZNS1_27merge_sort_block_merge_implIS3_PmPS5_jNS1_19radix_merge_compareILb1ELb0EmNS0_19identity_decomposerEEEEE10hipError_tT0_T1_T2_jT3_P12ihipStream_tbPNSt15iterator_traitsISE_E10value_typeEPNSK_ISF_E10value_typeEPSG_NS1_7vsmem_tEENKUlT_SE_SF_SG_E_clIS8_S8_S9_S9_EESD_ST_SE_SF_SG_EUlST_E1_NS1_11comp_targetILNS1_3genE8ELNS1_11target_archE1030ELNS1_3gpuE2ELNS1_3repE0EEENS1_36merge_oddeven_config_static_selectorELNS0_4arch9wavefront6targetE0EEEvSF_
	.p2align	8
	.type	_ZN7rocprim17ROCPRIM_400000_NS6detail17trampoline_kernelINS0_14default_configENS1_38merge_sort_block_merge_config_selectorImNS0_10empty_typeEEEZZNS1_27merge_sort_block_merge_implIS3_PmPS5_jNS1_19radix_merge_compareILb1ELb0EmNS0_19identity_decomposerEEEEE10hipError_tT0_T1_T2_jT3_P12ihipStream_tbPNSt15iterator_traitsISE_E10value_typeEPNSK_ISF_E10value_typeEPSG_NS1_7vsmem_tEENKUlT_SE_SF_SG_E_clIS8_S8_S9_S9_EESD_ST_SE_SF_SG_EUlST_E1_NS1_11comp_targetILNS1_3genE8ELNS1_11target_archE1030ELNS1_3gpuE2ELNS1_3repE0EEENS1_36merge_oddeven_config_static_selectorELNS0_4arch9wavefront6targetE0EEEvSF_,@function
_ZN7rocprim17ROCPRIM_400000_NS6detail17trampoline_kernelINS0_14default_configENS1_38merge_sort_block_merge_config_selectorImNS0_10empty_typeEEEZZNS1_27merge_sort_block_merge_implIS3_PmPS5_jNS1_19radix_merge_compareILb1ELb0EmNS0_19identity_decomposerEEEEE10hipError_tT0_T1_T2_jT3_P12ihipStream_tbPNSt15iterator_traitsISE_E10value_typeEPNSK_ISF_E10value_typeEPSG_NS1_7vsmem_tEENKUlT_SE_SF_SG_E_clIS8_S8_S9_S9_EESD_ST_SE_SF_SG_EUlST_E1_NS1_11comp_targetILNS1_3genE8ELNS1_11target_archE1030ELNS1_3gpuE2ELNS1_3repE0EEENS1_36merge_oddeven_config_static_selectorELNS0_4arch9wavefront6targetE0EEEvSF_: ; @_ZN7rocprim17ROCPRIM_400000_NS6detail17trampoline_kernelINS0_14default_configENS1_38merge_sort_block_merge_config_selectorImNS0_10empty_typeEEEZZNS1_27merge_sort_block_merge_implIS3_PmPS5_jNS1_19radix_merge_compareILb1ELb0EmNS0_19identity_decomposerEEEEE10hipError_tT0_T1_T2_jT3_P12ihipStream_tbPNSt15iterator_traitsISE_E10value_typeEPNSK_ISF_E10value_typeEPSG_NS1_7vsmem_tEENKUlT_SE_SF_SG_E_clIS8_S8_S9_S9_EESD_ST_SE_SF_SG_EUlST_E1_NS1_11comp_targetILNS1_3genE8ELNS1_11target_archE1030ELNS1_3gpuE2ELNS1_3repE0EEENS1_36merge_oddeven_config_static_selectorELNS0_4arch9wavefront6targetE0EEEvSF_
; %bb.0:
	.section	.rodata,"a",@progbits
	.p2align	6, 0x0
	.amdhsa_kernel _ZN7rocprim17ROCPRIM_400000_NS6detail17trampoline_kernelINS0_14default_configENS1_38merge_sort_block_merge_config_selectorImNS0_10empty_typeEEEZZNS1_27merge_sort_block_merge_implIS3_PmPS5_jNS1_19radix_merge_compareILb1ELb0EmNS0_19identity_decomposerEEEEE10hipError_tT0_T1_T2_jT3_P12ihipStream_tbPNSt15iterator_traitsISE_E10value_typeEPNSK_ISF_E10value_typeEPSG_NS1_7vsmem_tEENKUlT_SE_SF_SG_E_clIS8_S8_S9_S9_EESD_ST_SE_SF_SG_EUlST_E1_NS1_11comp_targetILNS1_3genE8ELNS1_11target_archE1030ELNS1_3gpuE2ELNS1_3repE0EEENS1_36merge_oddeven_config_static_selectorELNS0_4arch9wavefront6targetE0EEEvSF_
		.amdhsa_group_segment_fixed_size 0
		.amdhsa_private_segment_fixed_size 0
		.amdhsa_kernarg_size 48
		.amdhsa_user_sgpr_count 2
		.amdhsa_user_sgpr_dispatch_ptr 0
		.amdhsa_user_sgpr_queue_ptr 0
		.amdhsa_user_sgpr_kernarg_segment_ptr 1
		.amdhsa_user_sgpr_dispatch_id 0
		.amdhsa_user_sgpr_kernarg_preload_length 0
		.amdhsa_user_sgpr_kernarg_preload_offset 0
		.amdhsa_user_sgpr_private_segment_size 0
		.amdhsa_wavefront_size32 1
		.amdhsa_uses_dynamic_stack 0
		.amdhsa_enable_private_segment 0
		.amdhsa_system_sgpr_workgroup_id_x 1
		.amdhsa_system_sgpr_workgroup_id_y 0
		.amdhsa_system_sgpr_workgroup_id_z 0
		.amdhsa_system_sgpr_workgroup_info 0
		.amdhsa_system_vgpr_workitem_id 0
		.amdhsa_next_free_vgpr 1
		.amdhsa_next_free_sgpr 1
		.amdhsa_named_barrier_count 0
		.amdhsa_reserve_vcc 0
		.amdhsa_float_round_mode_32 0
		.amdhsa_float_round_mode_16_64 0
		.amdhsa_float_denorm_mode_32 3
		.amdhsa_float_denorm_mode_16_64 3
		.amdhsa_fp16_overflow 0
		.amdhsa_memory_ordered 1
		.amdhsa_forward_progress 1
		.amdhsa_inst_pref_size 0
		.amdhsa_round_robin_scheduling 0
		.amdhsa_exception_fp_ieee_invalid_op 0
		.amdhsa_exception_fp_denorm_src 0
		.amdhsa_exception_fp_ieee_div_zero 0
		.amdhsa_exception_fp_ieee_overflow 0
		.amdhsa_exception_fp_ieee_underflow 0
		.amdhsa_exception_fp_ieee_inexact 0
		.amdhsa_exception_int_div_zero 0
	.end_amdhsa_kernel
	.section	.text._ZN7rocprim17ROCPRIM_400000_NS6detail17trampoline_kernelINS0_14default_configENS1_38merge_sort_block_merge_config_selectorImNS0_10empty_typeEEEZZNS1_27merge_sort_block_merge_implIS3_PmPS5_jNS1_19radix_merge_compareILb1ELb0EmNS0_19identity_decomposerEEEEE10hipError_tT0_T1_T2_jT3_P12ihipStream_tbPNSt15iterator_traitsISE_E10value_typeEPNSK_ISF_E10value_typeEPSG_NS1_7vsmem_tEENKUlT_SE_SF_SG_E_clIS8_S8_S9_S9_EESD_ST_SE_SF_SG_EUlST_E1_NS1_11comp_targetILNS1_3genE8ELNS1_11target_archE1030ELNS1_3gpuE2ELNS1_3repE0EEENS1_36merge_oddeven_config_static_selectorELNS0_4arch9wavefront6targetE0EEEvSF_,"axG",@progbits,_ZN7rocprim17ROCPRIM_400000_NS6detail17trampoline_kernelINS0_14default_configENS1_38merge_sort_block_merge_config_selectorImNS0_10empty_typeEEEZZNS1_27merge_sort_block_merge_implIS3_PmPS5_jNS1_19radix_merge_compareILb1ELb0EmNS0_19identity_decomposerEEEEE10hipError_tT0_T1_T2_jT3_P12ihipStream_tbPNSt15iterator_traitsISE_E10value_typeEPNSK_ISF_E10value_typeEPSG_NS1_7vsmem_tEENKUlT_SE_SF_SG_E_clIS8_S8_S9_S9_EESD_ST_SE_SF_SG_EUlST_E1_NS1_11comp_targetILNS1_3genE8ELNS1_11target_archE1030ELNS1_3gpuE2ELNS1_3repE0EEENS1_36merge_oddeven_config_static_selectorELNS0_4arch9wavefront6targetE0EEEvSF_,comdat
.Lfunc_end2821:
	.size	_ZN7rocprim17ROCPRIM_400000_NS6detail17trampoline_kernelINS0_14default_configENS1_38merge_sort_block_merge_config_selectorImNS0_10empty_typeEEEZZNS1_27merge_sort_block_merge_implIS3_PmPS5_jNS1_19radix_merge_compareILb1ELb0EmNS0_19identity_decomposerEEEEE10hipError_tT0_T1_T2_jT3_P12ihipStream_tbPNSt15iterator_traitsISE_E10value_typeEPNSK_ISF_E10value_typeEPSG_NS1_7vsmem_tEENKUlT_SE_SF_SG_E_clIS8_S8_S9_S9_EESD_ST_SE_SF_SG_EUlST_E1_NS1_11comp_targetILNS1_3genE8ELNS1_11target_archE1030ELNS1_3gpuE2ELNS1_3repE0EEENS1_36merge_oddeven_config_static_selectorELNS0_4arch9wavefront6targetE0EEEvSF_, .Lfunc_end2821-_ZN7rocprim17ROCPRIM_400000_NS6detail17trampoline_kernelINS0_14default_configENS1_38merge_sort_block_merge_config_selectorImNS0_10empty_typeEEEZZNS1_27merge_sort_block_merge_implIS3_PmPS5_jNS1_19radix_merge_compareILb1ELb0EmNS0_19identity_decomposerEEEEE10hipError_tT0_T1_T2_jT3_P12ihipStream_tbPNSt15iterator_traitsISE_E10value_typeEPNSK_ISF_E10value_typeEPSG_NS1_7vsmem_tEENKUlT_SE_SF_SG_E_clIS8_S8_S9_S9_EESD_ST_SE_SF_SG_EUlST_E1_NS1_11comp_targetILNS1_3genE8ELNS1_11target_archE1030ELNS1_3gpuE2ELNS1_3repE0EEENS1_36merge_oddeven_config_static_selectorELNS0_4arch9wavefront6targetE0EEEvSF_
                                        ; -- End function
	.set _ZN7rocprim17ROCPRIM_400000_NS6detail17trampoline_kernelINS0_14default_configENS1_38merge_sort_block_merge_config_selectorImNS0_10empty_typeEEEZZNS1_27merge_sort_block_merge_implIS3_PmPS5_jNS1_19radix_merge_compareILb1ELb0EmNS0_19identity_decomposerEEEEE10hipError_tT0_T1_T2_jT3_P12ihipStream_tbPNSt15iterator_traitsISE_E10value_typeEPNSK_ISF_E10value_typeEPSG_NS1_7vsmem_tEENKUlT_SE_SF_SG_E_clIS8_S8_S9_S9_EESD_ST_SE_SF_SG_EUlST_E1_NS1_11comp_targetILNS1_3genE8ELNS1_11target_archE1030ELNS1_3gpuE2ELNS1_3repE0EEENS1_36merge_oddeven_config_static_selectorELNS0_4arch9wavefront6targetE0EEEvSF_.num_vgpr, 0
	.set _ZN7rocprim17ROCPRIM_400000_NS6detail17trampoline_kernelINS0_14default_configENS1_38merge_sort_block_merge_config_selectorImNS0_10empty_typeEEEZZNS1_27merge_sort_block_merge_implIS3_PmPS5_jNS1_19radix_merge_compareILb1ELb0EmNS0_19identity_decomposerEEEEE10hipError_tT0_T1_T2_jT3_P12ihipStream_tbPNSt15iterator_traitsISE_E10value_typeEPNSK_ISF_E10value_typeEPSG_NS1_7vsmem_tEENKUlT_SE_SF_SG_E_clIS8_S8_S9_S9_EESD_ST_SE_SF_SG_EUlST_E1_NS1_11comp_targetILNS1_3genE8ELNS1_11target_archE1030ELNS1_3gpuE2ELNS1_3repE0EEENS1_36merge_oddeven_config_static_selectorELNS0_4arch9wavefront6targetE0EEEvSF_.num_agpr, 0
	.set _ZN7rocprim17ROCPRIM_400000_NS6detail17trampoline_kernelINS0_14default_configENS1_38merge_sort_block_merge_config_selectorImNS0_10empty_typeEEEZZNS1_27merge_sort_block_merge_implIS3_PmPS5_jNS1_19radix_merge_compareILb1ELb0EmNS0_19identity_decomposerEEEEE10hipError_tT0_T1_T2_jT3_P12ihipStream_tbPNSt15iterator_traitsISE_E10value_typeEPNSK_ISF_E10value_typeEPSG_NS1_7vsmem_tEENKUlT_SE_SF_SG_E_clIS8_S8_S9_S9_EESD_ST_SE_SF_SG_EUlST_E1_NS1_11comp_targetILNS1_3genE8ELNS1_11target_archE1030ELNS1_3gpuE2ELNS1_3repE0EEENS1_36merge_oddeven_config_static_selectorELNS0_4arch9wavefront6targetE0EEEvSF_.numbered_sgpr, 0
	.set _ZN7rocprim17ROCPRIM_400000_NS6detail17trampoline_kernelINS0_14default_configENS1_38merge_sort_block_merge_config_selectorImNS0_10empty_typeEEEZZNS1_27merge_sort_block_merge_implIS3_PmPS5_jNS1_19radix_merge_compareILb1ELb0EmNS0_19identity_decomposerEEEEE10hipError_tT0_T1_T2_jT3_P12ihipStream_tbPNSt15iterator_traitsISE_E10value_typeEPNSK_ISF_E10value_typeEPSG_NS1_7vsmem_tEENKUlT_SE_SF_SG_E_clIS8_S8_S9_S9_EESD_ST_SE_SF_SG_EUlST_E1_NS1_11comp_targetILNS1_3genE8ELNS1_11target_archE1030ELNS1_3gpuE2ELNS1_3repE0EEENS1_36merge_oddeven_config_static_selectorELNS0_4arch9wavefront6targetE0EEEvSF_.num_named_barrier, 0
	.set _ZN7rocprim17ROCPRIM_400000_NS6detail17trampoline_kernelINS0_14default_configENS1_38merge_sort_block_merge_config_selectorImNS0_10empty_typeEEEZZNS1_27merge_sort_block_merge_implIS3_PmPS5_jNS1_19radix_merge_compareILb1ELb0EmNS0_19identity_decomposerEEEEE10hipError_tT0_T1_T2_jT3_P12ihipStream_tbPNSt15iterator_traitsISE_E10value_typeEPNSK_ISF_E10value_typeEPSG_NS1_7vsmem_tEENKUlT_SE_SF_SG_E_clIS8_S8_S9_S9_EESD_ST_SE_SF_SG_EUlST_E1_NS1_11comp_targetILNS1_3genE8ELNS1_11target_archE1030ELNS1_3gpuE2ELNS1_3repE0EEENS1_36merge_oddeven_config_static_selectorELNS0_4arch9wavefront6targetE0EEEvSF_.private_seg_size, 0
	.set _ZN7rocprim17ROCPRIM_400000_NS6detail17trampoline_kernelINS0_14default_configENS1_38merge_sort_block_merge_config_selectorImNS0_10empty_typeEEEZZNS1_27merge_sort_block_merge_implIS3_PmPS5_jNS1_19radix_merge_compareILb1ELb0EmNS0_19identity_decomposerEEEEE10hipError_tT0_T1_T2_jT3_P12ihipStream_tbPNSt15iterator_traitsISE_E10value_typeEPNSK_ISF_E10value_typeEPSG_NS1_7vsmem_tEENKUlT_SE_SF_SG_E_clIS8_S8_S9_S9_EESD_ST_SE_SF_SG_EUlST_E1_NS1_11comp_targetILNS1_3genE8ELNS1_11target_archE1030ELNS1_3gpuE2ELNS1_3repE0EEENS1_36merge_oddeven_config_static_selectorELNS0_4arch9wavefront6targetE0EEEvSF_.uses_vcc, 0
	.set _ZN7rocprim17ROCPRIM_400000_NS6detail17trampoline_kernelINS0_14default_configENS1_38merge_sort_block_merge_config_selectorImNS0_10empty_typeEEEZZNS1_27merge_sort_block_merge_implIS3_PmPS5_jNS1_19radix_merge_compareILb1ELb0EmNS0_19identity_decomposerEEEEE10hipError_tT0_T1_T2_jT3_P12ihipStream_tbPNSt15iterator_traitsISE_E10value_typeEPNSK_ISF_E10value_typeEPSG_NS1_7vsmem_tEENKUlT_SE_SF_SG_E_clIS8_S8_S9_S9_EESD_ST_SE_SF_SG_EUlST_E1_NS1_11comp_targetILNS1_3genE8ELNS1_11target_archE1030ELNS1_3gpuE2ELNS1_3repE0EEENS1_36merge_oddeven_config_static_selectorELNS0_4arch9wavefront6targetE0EEEvSF_.uses_flat_scratch, 0
	.set _ZN7rocprim17ROCPRIM_400000_NS6detail17trampoline_kernelINS0_14default_configENS1_38merge_sort_block_merge_config_selectorImNS0_10empty_typeEEEZZNS1_27merge_sort_block_merge_implIS3_PmPS5_jNS1_19radix_merge_compareILb1ELb0EmNS0_19identity_decomposerEEEEE10hipError_tT0_T1_T2_jT3_P12ihipStream_tbPNSt15iterator_traitsISE_E10value_typeEPNSK_ISF_E10value_typeEPSG_NS1_7vsmem_tEENKUlT_SE_SF_SG_E_clIS8_S8_S9_S9_EESD_ST_SE_SF_SG_EUlST_E1_NS1_11comp_targetILNS1_3genE8ELNS1_11target_archE1030ELNS1_3gpuE2ELNS1_3repE0EEENS1_36merge_oddeven_config_static_selectorELNS0_4arch9wavefront6targetE0EEEvSF_.has_dyn_sized_stack, 0
	.set _ZN7rocprim17ROCPRIM_400000_NS6detail17trampoline_kernelINS0_14default_configENS1_38merge_sort_block_merge_config_selectorImNS0_10empty_typeEEEZZNS1_27merge_sort_block_merge_implIS3_PmPS5_jNS1_19radix_merge_compareILb1ELb0EmNS0_19identity_decomposerEEEEE10hipError_tT0_T1_T2_jT3_P12ihipStream_tbPNSt15iterator_traitsISE_E10value_typeEPNSK_ISF_E10value_typeEPSG_NS1_7vsmem_tEENKUlT_SE_SF_SG_E_clIS8_S8_S9_S9_EESD_ST_SE_SF_SG_EUlST_E1_NS1_11comp_targetILNS1_3genE8ELNS1_11target_archE1030ELNS1_3gpuE2ELNS1_3repE0EEENS1_36merge_oddeven_config_static_selectorELNS0_4arch9wavefront6targetE0EEEvSF_.has_recursion, 0
	.set _ZN7rocprim17ROCPRIM_400000_NS6detail17trampoline_kernelINS0_14default_configENS1_38merge_sort_block_merge_config_selectorImNS0_10empty_typeEEEZZNS1_27merge_sort_block_merge_implIS3_PmPS5_jNS1_19radix_merge_compareILb1ELb0EmNS0_19identity_decomposerEEEEE10hipError_tT0_T1_T2_jT3_P12ihipStream_tbPNSt15iterator_traitsISE_E10value_typeEPNSK_ISF_E10value_typeEPSG_NS1_7vsmem_tEENKUlT_SE_SF_SG_E_clIS8_S8_S9_S9_EESD_ST_SE_SF_SG_EUlST_E1_NS1_11comp_targetILNS1_3genE8ELNS1_11target_archE1030ELNS1_3gpuE2ELNS1_3repE0EEENS1_36merge_oddeven_config_static_selectorELNS0_4arch9wavefront6targetE0EEEvSF_.has_indirect_call, 0
	.section	.AMDGPU.csdata,"",@progbits
; Kernel info:
; codeLenInByte = 0
; TotalNumSgprs: 0
; NumVgprs: 0
; ScratchSize: 0
; MemoryBound: 0
; FloatMode: 240
; IeeeMode: 1
; LDSByteSize: 0 bytes/workgroup (compile time only)
; SGPRBlocks: 0
; VGPRBlocks: 0
; NumSGPRsForWavesPerEU: 1
; NumVGPRsForWavesPerEU: 1
; NamedBarCnt: 0
; Occupancy: 16
; WaveLimiterHint : 0
; COMPUTE_PGM_RSRC2:SCRATCH_EN: 0
; COMPUTE_PGM_RSRC2:USER_SGPR: 2
; COMPUTE_PGM_RSRC2:TRAP_HANDLER: 0
; COMPUTE_PGM_RSRC2:TGID_X_EN: 1
; COMPUTE_PGM_RSRC2:TGID_Y_EN: 0
; COMPUTE_PGM_RSRC2:TGID_Z_EN: 0
; COMPUTE_PGM_RSRC2:TIDIG_COMP_CNT: 0
	.section	.text._ZN7rocprim17ROCPRIM_400000_NS6detail17trampoline_kernelINS0_14default_configENS1_25transform_config_selectorImLb1EEEZNS1_14transform_implILb1ES3_S5_PmS7_NS0_8identityImEEEE10hipError_tT2_T3_mT4_P12ihipStream_tbEUlT_E_NS1_11comp_targetILNS1_3genE0ELNS1_11target_archE4294967295ELNS1_3gpuE0ELNS1_3repE0EEENS1_30default_config_static_selectorELNS0_4arch9wavefront6targetE0EEEvT1_,"axG",@progbits,_ZN7rocprim17ROCPRIM_400000_NS6detail17trampoline_kernelINS0_14default_configENS1_25transform_config_selectorImLb1EEEZNS1_14transform_implILb1ES3_S5_PmS7_NS0_8identityImEEEE10hipError_tT2_T3_mT4_P12ihipStream_tbEUlT_E_NS1_11comp_targetILNS1_3genE0ELNS1_11target_archE4294967295ELNS1_3gpuE0ELNS1_3repE0EEENS1_30default_config_static_selectorELNS0_4arch9wavefront6targetE0EEEvT1_,comdat
	.protected	_ZN7rocprim17ROCPRIM_400000_NS6detail17trampoline_kernelINS0_14default_configENS1_25transform_config_selectorImLb1EEEZNS1_14transform_implILb1ES3_S5_PmS7_NS0_8identityImEEEE10hipError_tT2_T3_mT4_P12ihipStream_tbEUlT_E_NS1_11comp_targetILNS1_3genE0ELNS1_11target_archE4294967295ELNS1_3gpuE0ELNS1_3repE0EEENS1_30default_config_static_selectorELNS0_4arch9wavefront6targetE0EEEvT1_ ; -- Begin function _ZN7rocprim17ROCPRIM_400000_NS6detail17trampoline_kernelINS0_14default_configENS1_25transform_config_selectorImLb1EEEZNS1_14transform_implILb1ES3_S5_PmS7_NS0_8identityImEEEE10hipError_tT2_T3_mT4_P12ihipStream_tbEUlT_E_NS1_11comp_targetILNS1_3genE0ELNS1_11target_archE4294967295ELNS1_3gpuE0ELNS1_3repE0EEENS1_30default_config_static_selectorELNS0_4arch9wavefront6targetE0EEEvT1_
	.globl	_ZN7rocprim17ROCPRIM_400000_NS6detail17trampoline_kernelINS0_14default_configENS1_25transform_config_selectorImLb1EEEZNS1_14transform_implILb1ES3_S5_PmS7_NS0_8identityImEEEE10hipError_tT2_T3_mT4_P12ihipStream_tbEUlT_E_NS1_11comp_targetILNS1_3genE0ELNS1_11target_archE4294967295ELNS1_3gpuE0ELNS1_3repE0EEENS1_30default_config_static_selectorELNS0_4arch9wavefront6targetE0EEEvT1_
	.p2align	8
	.type	_ZN7rocprim17ROCPRIM_400000_NS6detail17trampoline_kernelINS0_14default_configENS1_25transform_config_selectorImLb1EEEZNS1_14transform_implILb1ES3_S5_PmS7_NS0_8identityImEEEE10hipError_tT2_T3_mT4_P12ihipStream_tbEUlT_E_NS1_11comp_targetILNS1_3genE0ELNS1_11target_archE4294967295ELNS1_3gpuE0ELNS1_3repE0EEENS1_30default_config_static_selectorELNS0_4arch9wavefront6targetE0EEEvT1_,@function
_ZN7rocprim17ROCPRIM_400000_NS6detail17trampoline_kernelINS0_14default_configENS1_25transform_config_selectorImLb1EEEZNS1_14transform_implILb1ES3_S5_PmS7_NS0_8identityImEEEE10hipError_tT2_T3_mT4_P12ihipStream_tbEUlT_E_NS1_11comp_targetILNS1_3genE0ELNS1_11target_archE4294967295ELNS1_3gpuE0ELNS1_3repE0EEENS1_30default_config_static_selectorELNS0_4arch9wavefront6targetE0EEEvT1_: ; @_ZN7rocprim17ROCPRIM_400000_NS6detail17trampoline_kernelINS0_14default_configENS1_25transform_config_selectorImLb1EEEZNS1_14transform_implILb1ES3_S5_PmS7_NS0_8identityImEEEE10hipError_tT2_T3_mT4_P12ihipStream_tbEUlT_E_NS1_11comp_targetILNS1_3genE0ELNS1_11target_archE4294967295ELNS1_3gpuE0ELNS1_3repE0EEENS1_30default_config_static_selectorELNS0_4arch9wavefront6targetE0EEEvT1_
; %bb.0:
	s_clause 0x1
	s_load_b32 s2, s[0:1], 0x28
	s_load_b32 s3, s[0:1], 0x10
	s_bfe_u32 s4, ttmp6, 0x4000c
	s_and_b32 s5, ttmp6, 15
	s_add_co_i32 s4, s4, 1
	s_getreg_b32 s6, hwreg(HW_REG_IB_STS2, 6, 4)
	s_mul_i32 s4, ttmp9, s4
	s_delay_alu instid0(SALU_CYCLE_1)
	s_add_co_i32 s5, s5, s4
	s_cmp_eq_u32 s6, 0
	s_cselect_b32 s4, ttmp9, s5
	s_wait_kmcnt 0x0
	s_add_co_i32 s5, s2, -1
	s_lshl_b32 s2, s4, 7
	s_cmp_lg_u32 s4, s5
	s_cselect_b32 s4, -1, 0
	s_sub_co_i32 s3, s3, s2
	s_delay_alu instid0(SALU_CYCLE_1) | instskip(SKIP_2) | instid1(SALU_CYCLE_1)
	v_cmp_gt_u32_e32 vcc_lo, s3, v0
	s_mov_b32 s3, 0
	s_or_b32 s4, vcc_lo, s4
	s_and_saveexec_b32 s5, s4
	s_cbranch_execz .LBB2822_2
; %bb.1:
	s_clause 0x1
	s_load_b128 s[4:7], s[0:1], 0x0
	s_load_b64 s[8:9], s[0:1], 0x18
	s_lshl_b64 s[2:3], s[2:3], 3
	s_wait_kmcnt 0x0
	s_lshl_b64 s[0:1], s[6:7], 3
	s_delay_alu instid0(SALU_CYCLE_1)
	s_add_nc_u64 s[4:5], s[4:5], s[0:1]
	s_add_nc_u64 s[0:1], s[8:9], s[0:1]
	;; [unrolled: 1-line block ×4, first 2 shown]
	global_load_b64 v[2:3], v0, s[4:5] scale_offset
	s_wait_loadcnt 0x0
	global_store_b64 v0, v[2:3], s[0:1] scale_offset
.LBB2822_2:
	s_endpgm
	.section	.rodata,"a",@progbits
	.p2align	6, 0x0
	.amdhsa_kernel _ZN7rocprim17ROCPRIM_400000_NS6detail17trampoline_kernelINS0_14default_configENS1_25transform_config_selectorImLb1EEEZNS1_14transform_implILb1ES3_S5_PmS7_NS0_8identityImEEEE10hipError_tT2_T3_mT4_P12ihipStream_tbEUlT_E_NS1_11comp_targetILNS1_3genE0ELNS1_11target_archE4294967295ELNS1_3gpuE0ELNS1_3repE0EEENS1_30default_config_static_selectorELNS0_4arch9wavefront6targetE0EEEvT1_
		.amdhsa_group_segment_fixed_size 0
		.amdhsa_private_segment_fixed_size 0
		.amdhsa_kernarg_size 296
		.amdhsa_user_sgpr_count 2
		.amdhsa_user_sgpr_dispatch_ptr 0
		.amdhsa_user_sgpr_queue_ptr 0
		.amdhsa_user_sgpr_kernarg_segment_ptr 1
		.amdhsa_user_sgpr_dispatch_id 0
		.amdhsa_user_sgpr_kernarg_preload_length 0
		.amdhsa_user_sgpr_kernarg_preload_offset 0
		.amdhsa_user_sgpr_private_segment_size 0
		.amdhsa_wavefront_size32 1
		.amdhsa_uses_dynamic_stack 0
		.amdhsa_enable_private_segment 0
		.amdhsa_system_sgpr_workgroup_id_x 1
		.amdhsa_system_sgpr_workgroup_id_y 0
		.amdhsa_system_sgpr_workgroup_id_z 0
		.amdhsa_system_sgpr_workgroup_info 0
		.amdhsa_system_vgpr_workitem_id 0
		.amdhsa_next_free_vgpr 4
		.amdhsa_next_free_sgpr 10
		.amdhsa_named_barrier_count 0
		.amdhsa_reserve_vcc 1
		.amdhsa_float_round_mode_32 0
		.amdhsa_float_round_mode_16_64 0
		.amdhsa_float_denorm_mode_32 3
		.amdhsa_float_denorm_mode_16_64 3
		.amdhsa_fp16_overflow 0
		.amdhsa_memory_ordered 1
		.amdhsa_forward_progress 1
		.amdhsa_inst_pref_size 2
		.amdhsa_round_robin_scheduling 0
		.amdhsa_exception_fp_ieee_invalid_op 0
		.amdhsa_exception_fp_denorm_src 0
		.amdhsa_exception_fp_ieee_div_zero 0
		.amdhsa_exception_fp_ieee_overflow 0
		.amdhsa_exception_fp_ieee_underflow 0
		.amdhsa_exception_fp_ieee_inexact 0
		.amdhsa_exception_int_div_zero 0
	.end_amdhsa_kernel
	.section	.text._ZN7rocprim17ROCPRIM_400000_NS6detail17trampoline_kernelINS0_14default_configENS1_25transform_config_selectorImLb1EEEZNS1_14transform_implILb1ES3_S5_PmS7_NS0_8identityImEEEE10hipError_tT2_T3_mT4_P12ihipStream_tbEUlT_E_NS1_11comp_targetILNS1_3genE0ELNS1_11target_archE4294967295ELNS1_3gpuE0ELNS1_3repE0EEENS1_30default_config_static_selectorELNS0_4arch9wavefront6targetE0EEEvT1_,"axG",@progbits,_ZN7rocprim17ROCPRIM_400000_NS6detail17trampoline_kernelINS0_14default_configENS1_25transform_config_selectorImLb1EEEZNS1_14transform_implILb1ES3_S5_PmS7_NS0_8identityImEEEE10hipError_tT2_T3_mT4_P12ihipStream_tbEUlT_E_NS1_11comp_targetILNS1_3genE0ELNS1_11target_archE4294967295ELNS1_3gpuE0ELNS1_3repE0EEENS1_30default_config_static_selectorELNS0_4arch9wavefront6targetE0EEEvT1_,comdat
.Lfunc_end2822:
	.size	_ZN7rocprim17ROCPRIM_400000_NS6detail17trampoline_kernelINS0_14default_configENS1_25transform_config_selectorImLb1EEEZNS1_14transform_implILb1ES3_S5_PmS7_NS0_8identityImEEEE10hipError_tT2_T3_mT4_P12ihipStream_tbEUlT_E_NS1_11comp_targetILNS1_3genE0ELNS1_11target_archE4294967295ELNS1_3gpuE0ELNS1_3repE0EEENS1_30default_config_static_selectorELNS0_4arch9wavefront6targetE0EEEvT1_, .Lfunc_end2822-_ZN7rocprim17ROCPRIM_400000_NS6detail17trampoline_kernelINS0_14default_configENS1_25transform_config_selectorImLb1EEEZNS1_14transform_implILb1ES3_S5_PmS7_NS0_8identityImEEEE10hipError_tT2_T3_mT4_P12ihipStream_tbEUlT_E_NS1_11comp_targetILNS1_3genE0ELNS1_11target_archE4294967295ELNS1_3gpuE0ELNS1_3repE0EEENS1_30default_config_static_selectorELNS0_4arch9wavefront6targetE0EEEvT1_
                                        ; -- End function
	.set _ZN7rocprim17ROCPRIM_400000_NS6detail17trampoline_kernelINS0_14default_configENS1_25transform_config_selectorImLb1EEEZNS1_14transform_implILb1ES3_S5_PmS7_NS0_8identityImEEEE10hipError_tT2_T3_mT4_P12ihipStream_tbEUlT_E_NS1_11comp_targetILNS1_3genE0ELNS1_11target_archE4294967295ELNS1_3gpuE0ELNS1_3repE0EEENS1_30default_config_static_selectorELNS0_4arch9wavefront6targetE0EEEvT1_.num_vgpr, 4
	.set _ZN7rocprim17ROCPRIM_400000_NS6detail17trampoline_kernelINS0_14default_configENS1_25transform_config_selectorImLb1EEEZNS1_14transform_implILb1ES3_S5_PmS7_NS0_8identityImEEEE10hipError_tT2_T3_mT4_P12ihipStream_tbEUlT_E_NS1_11comp_targetILNS1_3genE0ELNS1_11target_archE4294967295ELNS1_3gpuE0ELNS1_3repE0EEENS1_30default_config_static_selectorELNS0_4arch9wavefront6targetE0EEEvT1_.num_agpr, 0
	.set _ZN7rocprim17ROCPRIM_400000_NS6detail17trampoline_kernelINS0_14default_configENS1_25transform_config_selectorImLb1EEEZNS1_14transform_implILb1ES3_S5_PmS7_NS0_8identityImEEEE10hipError_tT2_T3_mT4_P12ihipStream_tbEUlT_E_NS1_11comp_targetILNS1_3genE0ELNS1_11target_archE4294967295ELNS1_3gpuE0ELNS1_3repE0EEENS1_30default_config_static_selectorELNS0_4arch9wavefront6targetE0EEEvT1_.numbered_sgpr, 10
	.set _ZN7rocprim17ROCPRIM_400000_NS6detail17trampoline_kernelINS0_14default_configENS1_25transform_config_selectorImLb1EEEZNS1_14transform_implILb1ES3_S5_PmS7_NS0_8identityImEEEE10hipError_tT2_T3_mT4_P12ihipStream_tbEUlT_E_NS1_11comp_targetILNS1_3genE0ELNS1_11target_archE4294967295ELNS1_3gpuE0ELNS1_3repE0EEENS1_30default_config_static_selectorELNS0_4arch9wavefront6targetE0EEEvT1_.num_named_barrier, 0
	.set _ZN7rocprim17ROCPRIM_400000_NS6detail17trampoline_kernelINS0_14default_configENS1_25transform_config_selectorImLb1EEEZNS1_14transform_implILb1ES3_S5_PmS7_NS0_8identityImEEEE10hipError_tT2_T3_mT4_P12ihipStream_tbEUlT_E_NS1_11comp_targetILNS1_3genE0ELNS1_11target_archE4294967295ELNS1_3gpuE0ELNS1_3repE0EEENS1_30default_config_static_selectorELNS0_4arch9wavefront6targetE0EEEvT1_.private_seg_size, 0
	.set _ZN7rocprim17ROCPRIM_400000_NS6detail17trampoline_kernelINS0_14default_configENS1_25transform_config_selectorImLb1EEEZNS1_14transform_implILb1ES3_S5_PmS7_NS0_8identityImEEEE10hipError_tT2_T3_mT4_P12ihipStream_tbEUlT_E_NS1_11comp_targetILNS1_3genE0ELNS1_11target_archE4294967295ELNS1_3gpuE0ELNS1_3repE0EEENS1_30default_config_static_selectorELNS0_4arch9wavefront6targetE0EEEvT1_.uses_vcc, 1
	.set _ZN7rocprim17ROCPRIM_400000_NS6detail17trampoline_kernelINS0_14default_configENS1_25transform_config_selectorImLb1EEEZNS1_14transform_implILb1ES3_S5_PmS7_NS0_8identityImEEEE10hipError_tT2_T3_mT4_P12ihipStream_tbEUlT_E_NS1_11comp_targetILNS1_3genE0ELNS1_11target_archE4294967295ELNS1_3gpuE0ELNS1_3repE0EEENS1_30default_config_static_selectorELNS0_4arch9wavefront6targetE0EEEvT1_.uses_flat_scratch, 0
	.set _ZN7rocprim17ROCPRIM_400000_NS6detail17trampoline_kernelINS0_14default_configENS1_25transform_config_selectorImLb1EEEZNS1_14transform_implILb1ES3_S5_PmS7_NS0_8identityImEEEE10hipError_tT2_T3_mT4_P12ihipStream_tbEUlT_E_NS1_11comp_targetILNS1_3genE0ELNS1_11target_archE4294967295ELNS1_3gpuE0ELNS1_3repE0EEENS1_30default_config_static_selectorELNS0_4arch9wavefront6targetE0EEEvT1_.has_dyn_sized_stack, 0
	.set _ZN7rocprim17ROCPRIM_400000_NS6detail17trampoline_kernelINS0_14default_configENS1_25transform_config_selectorImLb1EEEZNS1_14transform_implILb1ES3_S5_PmS7_NS0_8identityImEEEE10hipError_tT2_T3_mT4_P12ihipStream_tbEUlT_E_NS1_11comp_targetILNS1_3genE0ELNS1_11target_archE4294967295ELNS1_3gpuE0ELNS1_3repE0EEENS1_30default_config_static_selectorELNS0_4arch9wavefront6targetE0EEEvT1_.has_recursion, 0
	.set _ZN7rocprim17ROCPRIM_400000_NS6detail17trampoline_kernelINS0_14default_configENS1_25transform_config_selectorImLb1EEEZNS1_14transform_implILb1ES3_S5_PmS7_NS0_8identityImEEEE10hipError_tT2_T3_mT4_P12ihipStream_tbEUlT_E_NS1_11comp_targetILNS1_3genE0ELNS1_11target_archE4294967295ELNS1_3gpuE0ELNS1_3repE0EEENS1_30default_config_static_selectorELNS0_4arch9wavefront6targetE0EEEvT1_.has_indirect_call, 0
	.section	.AMDGPU.csdata,"",@progbits
; Kernel info:
; codeLenInByte = 192
; TotalNumSgprs: 12
; NumVgprs: 4
; ScratchSize: 0
; MemoryBound: 0
; FloatMode: 240
; IeeeMode: 1
; LDSByteSize: 0 bytes/workgroup (compile time only)
; SGPRBlocks: 0
; VGPRBlocks: 0
; NumSGPRsForWavesPerEU: 12
; NumVGPRsForWavesPerEU: 4
; NamedBarCnt: 0
; Occupancy: 16
; WaveLimiterHint : 0
; COMPUTE_PGM_RSRC2:SCRATCH_EN: 0
; COMPUTE_PGM_RSRC2:USER_SGPR: 2
; COMPUTE_PGM_RSRC2:TRAP_HANDLER: 0
; COMPUTE_PGM_RSRC2:TGID_X_EN: 1
; COMPUTE_PGM_RSRC2:TGID_Y_EN: 0
; COMPUTE_PGM_RSRC2:TGID_Z_EN: 0
; COMPUTE_PGM_RSRC2:TIDIG_COMP_CNT: 0
	.section	.text._ZN7rocprim17ROCPRIM_400000_NS6detail17trampoline_kernelINS0_14default_configENS1_25transform_config_selectorImLb1EEEZNS1_14transform_implILb1ES3_S5_PmS7_NS0_8identityImEEEE10hipError_tT2_T3_mT4_P12ihipStream_tbEUlT_E_NS1_11comp_targetILNS1_3genE10ELNS1_11target_archE1201ELNS1_3gpuE5ELNS1_3repE0EEENS1_30default_config_static_selectorELNS0_4arch9wavefront6targetE0EEEvT1_,"axG",@progbits,_ZN7rocprim17ROCPRIM_400000_NS6detail17trampoline_kernelINS0_14default_configENS1_25transform_config_selectorImLb1EEEZNS1_14transform_implILb1ES3_S5_PmS7_NS0_8identityImEEEE10hipError_tT2_T3_mT4_P12ihipStream_tbEUlT_E_NS1_11comp_targetILNS1_3genE10ELNS1_11target_archE1201ELNS1_3gpuE5ELNS1_3repE0EEENS1_30default_config_static_selectorELNS0_4arch9wavefront6targetE0EEEvT1_,comdat
	.protected	_ZN7rocprim17ROCPRIM_400000_NS6detail17trampoline_kernelINS0_14default_configENS1_25transform_config_selectorImLb1EEEZNS1_14transform_implILb1ES3_S5_PmS7_NS0_8identityImEEEE10hipError_tT2_T3_mT4_P12ihipStream_tbEUlT_E_NS1_11comp_targetILNS1_3genE10ELNS1_11target_archE1201ELNS1_3gpuE5ELNS1_3repE0EEENS1_30default_config_static_selectorELNS0_4arch9wavefront6targetE0EEEvT1_ ; -- Begin function _ZN7rocprim17ROCPRIM_400000_NS6detail17trampoline_kernelINS0_14default_configENS1_25transform_config_selectorImLb1EEEZNS1_14transform_implILb1ES3_S5_PmS7_NS0_8identityImEEEE10hipError_tT2_T3_mT4_P12ihipStream_tbEUlT_E_NS1_11comp_targetILNS1_3genE10ELNS1_11target_archE1201ELNS1_3gpuE5ELNS1_3repE0EEENS1_30default_config_static_selectorELNS0_4arch9wavefront6targetE0EEEvT1_
	.globl	_ZN7rocprim17ROCPRIM_400000_NS6detail17trampoline_kernelINS0_14default_configENS1_25transform_config_selectorImLb1EEEZNS1_14transform_implILb1ES3_S5_PmS7_NS0_8identityImEEEE10hipError_tT2_T3_mT4_P12ihipStream_tbEUlT_E_NS1_11comp_targetILNS1_3genE10ELNS1_11target_archE1201ELNS1_3gpuE5ELNS1_3repE0EEENS1_30default_config_static_selectorELNS0_4arch9wavefront6targetE0EEEvT1_
	.p2align	8
	.type	_ZN7rocprim17ROCPRIM_400000_NS6detail17trampoline_kernelINS0_14default_configENS1_25transform_config_selectorImLb1EEEZNS1_14transform_implILb1ES3_S5_PmS7_NS0_8identityImEEEE10hipError_tT2_T3_mT4_P12ihipStream_tbEUlT_E_NS1_11comp_targetILNS1_3genE10ELNS1_11target_archE1201ELNS1_3gpuE5ELNS1_3repE0EEENS1_30default_config_static_selectorELNS0_4arch9wavefront6targetE0EEEvT1_,@function
_ZN7rocprim17ROCPRIM_400000_NS6detail17trampoline_kernelINS0_14default_configENS1_25transform_config_selectorImLb1EEEZNS1_14transform_implILb1ES3_S5_PmS7_NS0_8identityImEEEE10hipError_tT2_T3_mT4_P12ihipStream_tbEUlT_E_NS1_11comp_targetILNS1_3genE10ELNS1_11target_archE1201ELNS1_3gpuE5ELNS1_3repE0EEENS1_30default_config_static_selectorELNS0_4arch9wavefront6targetE0EEEvT1_: ; @_ZN7rocprim17ROCPRIM_400000_NS6detail17trampoline_kernelINS0_14default_configENS1_25transform_config_selectorImLb1EEEZNS1_14transform_implILb1ES3_S5_PmS7_NS0_8identityImEEEE10hipError_tT2_T3_mT4_P12ihipStream_tbEUlT_E_NS1_11comp_targetILNS1_3genE10ELNS1_11target_archE1201ELNS1_3gpuE5ELNS1_3repE0EEENS1_30default_config_static_selectorELNS0_4arch9wavefront6targetE0EEEvT1_
; %bb.0:
	.section	.rodata,"a",@progbits
	.p2align	6, 0x0
	.amdhsa_kernel _ZN7rocprim17ROCPRIM_400000_NS6detail17trampoline_kernelINS0_14default_configENS1_25transform_config_selectorImLb1EEEZNS1_14transform_implILb1ES3_S5_PmS7_NS0_8identityImEEEE10hipError_tT2_T3_mT4_P12ihipStream_tbEUlT_E_NS1_11comp_targetILNS1_3genE10ELNS1_11target_archE1201ELNS1_3gpuE5ELNS1_3repE0EEENS1_30default_config_static_selectorELNS0_4arch9wavefront6targetE0EEEvT1_
		.amdhsa_group_segment_fixed_size 0
		.amdhsa_private_segment_fixed_size 0
		.amdhsa_kernarg_size 40
		.amdhsa_user_sgpr_count 2
		.amdhsa_user_sgpr_dispatch_ptr 0
		.amdhsa_user_sgpr_queue_ptr 0
		.amdhsa_user_sgpr_kernarg_segment_ptr 1
		.amdhsa_user_sgpr_dispatch_id 0
		.amdhsa_user_sgpr_kernarg_preload_length 0
		.amdhsa_user_sgpr_kernarg_preload_offset 0
		.amdhsa_user_sgpr_private_segment_size 0
		.amdhsa_wavefront_size32 1
		.amdhsa_uses_dynamic_stack 0
		.amdhsa_enable_private_segment 0
		.amdhsa_system_sgpr_workgroup_id_x 1
		.amdhsa_system_sgpr_workgroup_id_y 0
		.amdhsa_system_sgpr_workgroup_id_z 0
		.amdhsa_system_sgpr_workgroup_info 0
		.amdhsa_system_vgpr_workitem_id 0
		.amdhsa_next_free_vgpr 1
		.amdhsa_next_free_sgpr 1
		.amdhsa_named_barrier_count 0
		.amdhsa_reserve_vcc 0
		.amdhsa_float_round_mode_32 0
		.amdhsa_float_round_mode_16_64 0
		.amdhsa_float_denorm_mode_32 3
		.amdhsa_float_denorm_mode_16_64 3
		.amdhsa_fp16_overflow 0
		.amdhsa_memory_ordered 1
		.amdhsa_forward_progress 1
		.amdhsa_inst_pref_size 0
		.amdhsa_round_robin_scheduling 0
		.amdhsa_exception_fp_ieee_invalid_op 0
		.amdhsa_exception_fp_denorm_src 0
		.amdhsa_exception_fp_ieee_div_zero 0
		.amdhsa_exception_fp_ieee_overflow 0
		.amdhsa_exception_fp_ieee_underflow 0
		.amdhsa_exception_fp_ieee_inexact 0
		.amdhsa_exception_int_div_zero 0
	.end_amdhsa_kernel
	.section	.text._ZN7rocprim17ROCPRIM_400000_NS6detail17trampoline_kernelINS0_14default_configENS1_25transform_config_selectorImLb1EEEZNS1_14transform_implILb1ES3_S5_PmS7_NS0_8identityImEEEE10hipError_tT2_T3_mT4_P12ihipStream_tbEUlT_E_NS1_11comp_targetILNS1_3genE10ELNS1_11target_archE1201ELNS1_3gpuE5ELNS1_3repE0EEENS1_30default_config_static_selectorELNS0_4arch9wavefront6targetE0EEEvT1_,"axG",@progbits,_ZN7rocprim17ROCPRIM_400000_NS6detail17trampoline_kernelINS0_14default_configENS1_25transform_config_selectorImLb1EEEZNS1_14transform_implILb1ES3_S5_PmS7_NS0_8identityImEEEE10hipError_tT2_T3_mT4_P12ihipStream_tbEUlT_E_NS1_11comp_targetILNS1_3genE10ELNS1_11target_archE1201ELNS1_3gpuE5ELNS1_3repE0EEENS1_30default_config_static_selectorELNS0_4arch9wavefront6targetE0EEEvT1_,comdat
.Lfunc_end2823:
	.size	_ZN7rocprim17ROCPRIM_400000_NS6detail17trampoline_kernelINS0_14default_configENS1_25transform_config_selectorImLb1EEEZNS1_14transform_implILb1ES3_S5_PmS7_NS0_8identityImEEEE10hipError_tT2_T3_mT4_P12ihipStream_tbEUlT_E_NS1_11comp_targetILNS1_3genE10ELNS1_11target_archE1201ELNS1_3gpuE5ELNS1_3repE0EEENS1_30default_config_static_selectorELNS0_4arch9wavefront6targetE0EEEvT1_, .Lfunc_end2823-_ZN7rocprim17ROCPRIM_400000_NS6detail17trampoline_kernelINS0_14default_configENS1_25transform_config_selectorImLb1EEEZNS1_14transform_implILb1ES3_S5_PmS7_NS0_8identityImEEEE10hipError_tT2_T3_mT4_P12ihipStream_tbEUlT_E_NS1_11comp_targetILNS1_3genE10ELNS1_11target_archE1201ELNS1_3gpuE5ELNS1_3repE0EEENS1_30default_config_static_selectorELNS0_4arch9wavefront6targetE0EEEvT1_
                                        ; -- End function
	.set _ZN7rocprim17ROCPRIM_400000_NS6detail17trampoline_kernelINS0_14default_configENS1_25transform_config_selectorImLb1EEEZNS1_14transform_implILb1ES3_S5_PmS7_NS0_8identityImEEEE10hipError_tT2_T3_mT4_P12ihipStream_tbEUlT_E_NS1_11comp_targetILNS1_3genE10ELNS1_11target_archE1201ELNS1_3gpuE5ELNS1_3repE0EEENS1_30default_config_static_selectorELNS0_4arch9wavefront6targetE0EEEvT1_.num_vgpr, 0
	.set _ZN7rocprim17ROCPRIM_400000_NS6detail17trampoline_kernelINS0_14default_configENS1_25transform_config_selectorImLb1EEEZNS1_14transform_implILb1ES3_S5_PmS7_NS0_8identityImEEEE10hipError_tT2_T3_mT4_P12ihipStream_tbEUlT_E_NS1_11comp_targetILNS1_3genE10ELNS1_11target_archE1201ELNS1_3gpuE5ELNS1_3repE0EEENS1_30default_config_static_selectorELNS0_4arch9wavefront6targetE0EEEvT1_.num_agpr, 0
	.set _ZN7rocprim17ROCPRIM_400000_NS6detail17trampoline_kernelINS0_14default_configENS1_25transform_config_selectorImLb1EEEZNS1_14transform_implILb1ES3_S5_PmS7_NS0_8identityImEEEE10hipError_tT2_T3_mT4_P12ihipStream_tbEUlT_E_NS1_11comp_targetILNS1_3genE10ELNS1_11target_archE1201ELNS1_3gpuE5ELNS1_3repE0EEENS1_30default_config_static_selectorELNS0_4arch9wavefront6targetE0EEEvT1_.numbered_sgpr, 0
	.set _ZN7rocprim17ROCPRIM_400000_NS6detail17trampoline_kernelINS0_14default_configENS1_25transform_config_selectorImLb1EEEZNS1_14transform_implILb1ES3_S5_PmS7_NS0_8identityImEEEE10hipError_tT2_T3_mT4_P12ihipStream_tbEUlT_E_NS1_11comp_targetILNS1_3genE10ELNS1_11target_archE1201ELNS1_3gpuE5ELNS1_3repE0EEENS1_30default_config_static_selectorELNS0_4arch9wavefront6targetE0EEEvT1_.num_named_barrier, 0
	.set _ZN7rocprim17ROCPRIM_400000_NS6detail17trampoline_kernelINS0_14default_configENS1_25transform_config_selectorImLb1EEEZNS1_14transform_implILb1ES3_S5_PmS7_NS0_8identityImEEEE10hipError_tT2_T3_mT4_P12ihipStream_tbEUlT_E_NS1_11comp_targetILNS1_3genE10ELNS1_11target_archE1201ELNS1_3gpuE5ELNS1_3repE0EEENS1_30default_config_static_selectorELNS0_4arch9wavefront6targetE0EEEvT1_.private_seg_size, 0
	.set _ZN7rocprim17ROCPRIM_400000_NS6detail17trampoline_kernelINS0_14default_configENS1_25transform_config_selectorImLb1EEEZNS1_14transform_implILb1ES3_S5_PmS7_NS0_8identityImEEEE10hipError_tT2_T3_mT4_P12ihipStream_tbEUlT_E_NS1_11comp_targetILNS1_3genE10ELNS1_11target_archE1201ELNS1_3gpuE5ELNS1_3repE0EEENS1_30default_config_static_selectorELNS0_4arch9wavefront6targetE0EEEvT1_.uses_vcc, 0
	.set _ZN7rocprim17ROCPRIM_400000_NS6detail17trampoline_kernelINS0_14default_configENS1_25transform_config_selectorImLb1EEEZNS1_14transform_implILb1ES3_S5_PmS7_NS0_8identityImEEEE10hipError_tT2_T3_mT4_P12ihipStream_tbEUlT_E_NS1_11comp_targetILNS1_3genE10ELNS1_11target_archE1201ELNS1_3gpuE5ELNS1_3repE0EEENS1_30default_config_static_selectorELNS0_4arch9wavefront6targetE0EEEvT1_.uses_flat_scratch, 0
	.set _ZN7rocprim17ROCPRIM_400000_NS6detail17trampoline_kernelINS0_14default_configENS1_25transform_config_selectorImLb1EEEZNS1_14transform_implILb1ES3_S5_PmS7_NS0_8identityImEEEE10hipError_tT2_T3_mT4_P12ihipStream_tbEUlT_E_NS1_11comp_targetILNS1_3genE10ELNS1_11target_archE1201ELNS1_3gpuE5ELNS1_3repE0EEENS1_30default_config_static_selectorELNS0_4arch9wavefront6targetE0EEEvT1_.has_dyn_sized_stack, 0
	.set _ZN7rocprim17ROCPRIM_400000_NS6detail17trampoline_kernelINS0_14default_configENS1_25transform_config_selectorImLb1EEEZNS1_14transform_implILb1ES3_S5_PmS7_NS0_8identityImEEEE10hipError_tT2_T3_mT4_P12ihipStream_tbEUlT_E_NS1_11comp_targetILNS1_3genE10ELNS1_11target_archE1201ELNS1_3gpuE5ELNS1_3repE0EEENS1_30default_config_static_selectorELNS0_4arch9wavefront6targetE0EEEvT1_.has_recursion, 0
	.set _ZN7rocprim17ROCPRIM_400000_NS6detail17trampoline_kernelINS0_14default_configENS1_25transform_config_selectorImLb1EEEZNS1_14transform_implILb1ES3_S5_PmS7_NS0_8identityImEEEE10hipError_tT2_T3_mT4_P12ihipStream_tbEUlT_E_NS1_11comp_targetILNS1_3genE10ELNS1_11target_archE1201ELNS1_3gpuE5ELNS1_3repE0EEENS1_30default_config_static_selectorELNS0_4arch9wavefront6targetE0EEEvT1_.has_indirect_call, 0
	.section	.AMDGPU.csdata,"",@progbits
; Kernel info:
; codeLenInByte = 0
; TotalNumSgprs: 0
; NumVgprs: 0
; ScratchSize: 0
; MemoryBound: 0
; FloatMode: 240
; IeeeMode: 1
; LDSByteSize: 0 bytes/workgroup (compile time only)
; SGPRBlocks: 0
; VGPRBlocks: 0
; NumSGPRsForWavesPerEU: 1
; NumVGPRsForWavesPerEU: 1
; NamedBarCnt: 0
; Occupancy: 16
; WaveLimiterHint : 0
; COMPUTE_PGM_RSRC2:SCRATCH_EN: 0
; COMPUTE_PGM_RSRC2:USER_SGPR: 2
; COMPUTE_PGM_RSRC2:TRAP_HANDLER: 0
; COMPUTE_PGM_RSRC2:TGID_X_EN: 1
; COMPUTE_PGM_RSRC2:TGID_Y_EN: 0
; COMPUTE_PGM_RSRC2:TGID_Z_EN: 0
; COMPUTE_PGM_RSRC2:TIDIG_COMP_CNT: 0
	.section	.text._ZN7rocprim17ROCPRIM_400000_NS6detail17trampoline_kernelINS0_14default_configENS1_25transform_config_selectorImLb1EEEZNS1_14transform_implILb1ES3_S5_PmS7_NS0_8identityImEEEE10hipError_tT2_T3_mT4_P12ihipStream_tbEUlT_E_NS1_11comp_targetILNS1_3genE5ELNS1_11target_archE942ELNS1_3gpuE9ELNS1_3repE0EEENS1_30default_config_static_selectorELNS0_4arch9wavefront6targetE0EEEvT1_,"axG",@progbits,_ZN7rocprim17ROCPRIM_400000_NS6detail17trampoline_kernelINS0_14default_configENS1_25transform_config_selectorImLb1EEEZNS1_14transform_implILb1ES3_S5_PmS7_NS0_8identityImEEEE10hipError_tT2_T3_mT4_P12ihipStream_tbEUlT_E_NS1_11comp_targetILNS1_3genE5ELNS1_11target_archE942ELNS1_3gpuE9ELNS1_3repE0EEENS1_30default_config_static_selectorELNS0_4arch9wavefront6targetE0EEEvT1_,comdat
	.protected	_ZN7rocprim17ROCPRIM_400000_NS6detail17trampoline_kernelINS0_14default_configENS1_25transform_config_selectorImLb1EEEZNS1_14transform_implILb1ES3_S5_PmS7_NS0_8identityImEEEE10hipError_tT2_T3_mT4_P12ihipStream_tbEUlT_E_NS1_11comp_targetILNS1_3genE5ELNS1_11target_archE942ELNS1_3gpuE9ELNS1_3repE0EEENS1_30default_config_static_selectorELNS0_4arch9wavefront6targetE0EEEvT1_ ; -- Begin function _ZN7rocprim17ROCPRIM_400000_NS6detail17trampoline_kernelINS0_14default_configENS1_25transform_config_selectorImLb1EEEZNS1_14transform_implILb1ES3_S5_PmS7_NS0_8identityImEEEE10hipError_tT2_T3_mT4_P12ihipStream_tbEUlT_E_NS1_11comp_targetILNS1_3genE5ELNS1_11target_archE942ELNS1_3gpuE9ELNS1_3repE0EEENS1_30default_config_static_selectorELNS0_4arch9wavefront6targetE0EEEvT1_
	.globl	_ZN7rocprim17ROCPRIM_400000_NS6detail17trampoline_kernelINS0_14default_configENS1_25transform_config_selectorImLb1EEEZNS1_14transform_implILb1ES3_S5_PmS7_NS0_8identityImEEEE10hipError_tT2_T3_mT4_P12ihipStream_tbEUlT_E_NS1_11comp_targetILNS1_3genE5ELNS1_11target_archE942ELNS1_3gpuE9ELNS1_3repE0EEENS1_30default_config_static_selectorELNS0_4arch9wavefront6targetE0EEEvT1_
	.p2align	8
	.type	_ZN7rocprim17ROCPRIM_400000_NS6detail17trampoline_kernelINS0_14default_configENS1_25transform_config_selectorImLb1EEEZNS1_14transform_implILb1ES3_S5_PmS7_NS0_8identityImEEEE10hipError_tT2_T3_mT4_P12ihipStream_tbEUlT_E_NS1_11comp_targetILNS1_3genE5ELNS1_11target_archE942ELNS1_3gpuE9ELNS1_3repE0EEENS1_30default_config_static_selectorELNS0_4arch9wavefront6targetE0EEEvT1_,@function
_ZN7rocprim17ROCPRIM_400000_NS6detail17trampoline_kernelINS0_14default_configENS1_25transform_config_selectorImLb1EEEZNS1_14transform_implILb1ES3_S5_PmS7_NS0_8identityImEEEE10hipError_tT2_T3_mT4_P12ihipStream_tbEUlT_E_NS1_11comp_targetILNS1_3genE5ELNS1_11target_archE942ELNS1_3gpuE9ELNS1_3repE0EEENS1_30default_config_static_selectorELNS0_4arch9wavefront6targetE0EEEvT1_: ; @_ZN7rocprim17ROCPRIM_400000_NS6detail17trampoline_kernelINS0_14default_configENS1_25transform_config_selectorImLb1EEEZNS1_14transform_implILb1ES3_S5_PmS7_NS0_8identityImEEEE10hipError_tT2_T3_mT4_P12ihipStream_tbEUlT_E_NS1_11comp_targetILNS1_3genE5ELNS1_11target_archE942ELNS1_3gpuE9ELNS1_3repE0EEENS1_30default_config_static_selectorELNS0_4arch9wavefront6targetE0EEEvT1_
; %bb.0:
	.section	.rodata,"a",@progbits
	.p2align	6, 0x0
	.amdhsa_kernel _ZN7rocprim17ROCPRIM_400000_NS6detail17trampoline_kernelINS0_14default_configENS1_25transform_config_selectorImLb1EEEZNS1_14transform_implILb1ES3_S5_PmS7_NS0_8identityImEEEE10hipError_tT2_T3_mT4_P12ihipStream_tbEUlT_E_NS1_11comp_targetILNS1_3genE5ELNS1_11target_archE942ELNS1_3gpuE9ELNS1_3repE0EEENS1_30default_config_static_selectorELNS0_4arch9wavefront6targetE0EEEvT1_
		.amdhsa_group_segment_fixed_size 0
		.amdhsa_private_segment_fixed_size 0
		.amdhsa_kernarg_size 40
		.amdhsa_user_sgpr_count 2
		.amdhsa_user_sgpr_dispatch_ptr 0
		.amdhsa_user_sgpr_queue_ptr 0
		.amdhsa_user_sgpr_kernarg_segment_ptr 1
		.amdhsa_user_sgpr_dispatch_id 0
		.amdhsa_user_sgpr_kernarg_preload_length 0
		.amdhsa_user_sgpr_kernarg_preload_offset 0
		.amdhsa_user_sgpr_private_segment_size 0
		.amdhsa_wavefront_size32 1
		.amdhsa_uses_dynamic_stack 0
		.amdhsa_enable_private_segment 0
		.amdhsa_system_sgpr_workgroup_id_x 1
		.amdhsa_system_sgpr_workgroup_id_y 0
		.amdhsa_system_sgpr_workgroup_id_z 0
		.amdhsa_system_sgpr_workgroup_info 0
		.amdhsa_system_vgpr_workitem_id 0
		.amdhsa_next_free_vgpr 1
		.amdhsa_next_free_sgpr 1
		.amdhsa_named_barrier_count 0
		.amdhsa_reserve_vcc 0
		.amdhsa_float_round_mode_32 0
		.amdhsa_float_round_mode_16_64 0
		.amdhsa_float_denorm_mode_32 3
		.amdhsa_float_denorm_mode_16_64 3
		.amdhsa_fp16_overflow 0
		.amdhsa_memory_ordered 1
		.amdhsa_forward_progress 1
		.amdhsa_inst_pref_size 0
		.amdhsa_round_robin_scheduling 0
		.amdhsa_exception_fp_ieee_invalid_op 0
		.amdhsa_exception_fp_denorm_src 0
		.amdhsa_exception_fp_ieee_div_zero 0
		.amdhsa_exception_fp_ieee_overflow 0
		.amdhsa_exception_fp_ieee_underflow 0
		.amdhsa_exception_fp_ieee_inexact 0
		.amdhsa_exception_int_div_zero 0
	.end_amdhsa_kernel
	.section	.text._ZN7rocprim17ROCPRIM_400000_NS6detail17trampoline_kernelINS0_14default_configENS1_25transform_config_selectorImLb1EEEZNS1_14transform_implILb1ES3_S5_PmS7_NS0_8identityImEEEE10hipError_tT2_T3_mT4_P12ihipStream_tbEUlT_E_NS1_11comp_targetILNS1_3genE5ELNS1_11target_archE942ELNS1_3gpuE9ELNS1_3repE0EEENS1_30default_config_static_selectorELNS0_4arch9wavefront6targetE0EEEvT1_,"axG",@progbits,_ZN7rocprim17ROCPRIM_400000_NS6detail17trampoline_kernelINS0_14default_configENS1_25transform_config_selectorImLb1EEEZNS1_14transform_implILb1ES3_S5_PmS7_NS0_8identityImEEEE10hipError_tT2_T3_mT4_P12ihipStream_tbEUlT_E_NS1_11comp_targetILNS1_3genE5ELNS1_11target_archE942ELNS1_3gpuE9ELNS1_3repE0EEENS1_30default_config_static_selectorELNS0_4arch9wavefront6targetE0EEEvT1_,comdat
.Lfunc_end2824:
	.size	_ZN7rocprim17ROCPRIM_400000_NS6detail17trampoline_kernelINS0_14default_configENS1_25transform_config_selectorImLb1EEEZNS1_14transform_implILb1ES3_S5_PmS7_NS0_8identityImEEEE10hipError_tT2_T3_mT4_P12ihipStream_tbEUlT_E_NS1_11comp_targetILNS1_3genE5ELNS1_11target_archE942ELNS1_3gpuE9ELNS1_3repE0EEENS1_30default_config_static_selectorELNS0_4arch9wavefront6targetE0EEEvT1_, .Lfunc_end2824-_ZN7rocprim17ROCPRIM_400000_NS6detail17trampoline_kernelINS0_14default_configENS1_25transform_config_selectorImLb1EEEZNS1_14transform_implILb1ES3_S5_PmS7_NS0_8identityImEEEE10hipError_tT2_T3_mT4_P12ihipStream_tbEUlT_E_NS1_11comp_targetILNS1_3genE5ELNS1_11target_archE942ELNS1_3gpuE9ELNS1_3repE0EEENS1_30default_config_static_selectorELNS0_4arch9wavefront6targetE0EEEvT1_
                                        ; -- End function
	.set _ZN7rocprim17ROCPRIM_400000_NS6detail17trampoline_kernelINS0_14default_configENS1_25transform_config_selectorImLb1EEEZNS1_14transform_implILb1ES3_S5_PmS7_NS0_8identityImEEEE10hipError_tT2_T3_mT4_P12ihipStream_tbEUlT_E_NS1_11comp_targetILNS1_3genE5ELNS1_11target_archE942ELNS1_3gpuE9ELNS1_3repE0EEENS1_30default_config_static_selectorELNS0_4arch9wavefront6targetE0EEEvT1_.num_vgpr, 0
	.set _ZN7rocprim17ROCPRIM_400000_NS6detail17trampoline_kernelINS0_14default_configENS1_25transform_config_selectorImLb1EEEZNS1_14transform_implILb1ES3_S5_PmS7_NS0_8identityImEEEE10hipError_tT2_T3_mT4_P12ihipStream_tbEUlT_E_NS1_11comp_targetILNS1_3genE5ELNS1_11target_archE942ELNS1_3gpuE9ELNS1_3repE0EEENS1_30default_config_static_selectorELNS0_4arch9wavefront6targetE0EEEvT1_.num_agpr, 0
	.set _ZN7rocprim17ROCPRIM_400000_NS6detail17trampoline_kernelINS0_14default_configENS1_25transform_config_selectorImLb1EEEZNS1_14transform_implILb1ES3_S5_PmS7_NS0_8identityImEEEE10hipError_tT2_T3_mT4_P12ihipStream_tbEUlT_E_NS1_11comp_targetILNS1_3genE5ELNS1_11target_archE942ELNS1_3gpuE9ELNS1_3repE0EEENS1_30default_config_static_selectorELNS0_4arch9wavefront6targetE0EEEvT1_.numbered_sgpr, 0
	.set _ZN7rocprim17ROCPRIM_400000_NS6detail17trampoline_kernelINS0_14default_configENS1_25transform_config_selectorImLb1EEEZNS1_14transform_implILb1ES3_S5_PmS7_NS0_8identityImEEEE10hipError_tT2_T3_mT4_P12ihipStream_tbEUlT_E_NS1_11comp_targetILNS1_3genE5ELNS1_11target_archE942ELNS1_3gpuE9ELNS1_3repE0EEENS1_30default_config_static_selectorELNS0_4arch9wavefront6targetE0EEEvT1_.num_named_barrier, 0
	.set _ZN7rocprim17ROCPRIM_400000_NS6detail17trampoline_kernelINS0_14default_configENS1_25transform_config_selectorImLb1EEEZNS1_14transform_implILb1ES3_S5_PmS7_NS0_8identityImEEEE10hipError_tT2_T3_mT4_P12ihipStream_tbEUlT_E_NS1_11comp_targetILNS1_3genE5ELNS1_11target_archE942ELNS1_3gpuE9ELNS1_3repE0EEENS1_30default_config_static_selectorELNS0_4arch9wavefront6targetE0EEEvT1_.private_seg_size, 0
	.set _ZN7rocprim17ROCPRIM_400000_NS6detail17trampoline_kernelINS0_14default_configENS1_25transform_config_selectorImLb1EEEZNS1_14transform_implILb1ES3_S5_PmS7_NS0_8identityImEEEE10hipError_tT2_T3_mT4_P12ihipStream_tbEUlT_E_NS1_11comp_targetILNS1_3genE5ELNS1_11target_archE942ELNS1_3gpuE9ELNS1_3repE0EEENS1_30default_config_static_selectorELNS0_4arch9wavefront6targetE0EEEvT1_.uses_vcc, 0
	.set _ZN7rocprim17ROCPRIM_400000_NS6detail17trampoline_kernelINS0_14default_configENS1_25transform_config_selectorImLb1EEEZNS1_14transform_implILb1ES3_S5_PmS7_NS0_8identityImEEEE10hipError_tT2_T3_mT4_P12ihipStream_tbEUlT_E_NS1_11comp_targetILNS1_3genE5ELNS1_11target_archE942ELNS1_3gpuE9ELNS1_3repE0EEENS1_30default_config_static_selectorELNS0_4arch9wavefront6targetE0EEEvT1_.uses_flat_scratch, 0
	.set _ZN7rocprim17ROCPRIM_400000_NS6detail17trampoline_kernelINS0_14default_configENS1_25transform_config_selectorImLb1EEEZNS1_14transform_implILb1ES3_S5_PmS7_NS0_8identityImEEEE10hipError_tT2_T3_mT4_P12ihipStream_tbEUlT_E_NS1_11comp_targetILNS1_3genE5ELNS1_11target_archE942ELNS1_3gpuE9ELNS1_3repE0EEENS1_30default_config_static_selectorELNS0_4arch9wavefront6targetE0EEEvT1_.has_dyn_sized_stack, 0
	.set _ZN7rocprim17ROCPRIM_400000_NS6detail17trampoline_kernelINS0_14default_configENS1_25transform_config_selectorImLb1EEEZNS1_14transform_implILb1ES3_S5_PmS7_NS0_8identityImEEEE10hipError_tT2_T3_mT4_P12ihipStream_tbEUlT_E_NS1_11comp_targetILNS1_3genE5ELNS1_11target_archE942ELNS1_3gpuE9ELNS1_3repE0EEENS1_30default_config_static_selectorELNS0_4arch9wavefront6targetE0EEEvT1_.has_recursion, 0
	.set _ZN7rocprim17ROCPRIM_400000_NS6detail17trampoline_kernelINS0_14default_configENS1_25transform_config_selectorImLb1EEEZNS1_14transform_implILb1ES3_S5_PmS7_NS0_8identityImEEEE10hipError_tT2_T3_mT4_P12ihipStream_tbEUlT_E_NS1_11comp_targetILNS1_3genE5ELNS1_11target_archE942ELNS1_3gpuE9ELNS1_3repE0EEENS1_30default_config_static_selectorELNS0_4arch9wavefront6targetE0EEEvT1_.has_indirect_call, 0
	.section	.AMDGPU.csdata,"",@progbits
; Kernel info:
; codeLenInByte = 0
; TotalNumSgprs: 0
; NumVgprs: 0
; ScratchSize: 0
; MemoryBound: 0
; FloatMode: 240
; IeeeMode: 1
; LDSByteSize: 0 bytes/workgroup (compile time only)
; SGPRBlocks: 0
; VGPRBlocks: 0
; NumSGPRsForWavesPerEU: 1
; NumVGPRsForWavesPerEU: 1
; NamedBarCnt: 0
; Occupancy: 16
; WaveLimiterHint : 0
; COMPUTE_PGM_RSRC2:SCRATCH_EN: 0
; COMPUTE_PGM_RSRC2:USER_SGPR: 2
; COMPUTE_PGM_RSRC2:TRAP_HANDLER: 0
; COMPUTE_PGM_RSRC2:TGID_X_EN: 1
; COMPUTE_PGM_RSRC2:TGID_Y_EN: 0
; COMPUTE_PGM_RSRC2:TGID_Z_EN: 0
; COMPUTE_PGM_RSRC2:TIDIG_COMP_CNT: 0
	.section	.text._ZN7rocprim17ROCPRIM_400000_NS6detail17trampoline_kernelINS0_14default_configENS1_25transform_config_selectorImLb1EEEZNS1_14transform_implILb1ES3_S5_PmS7_NS0_8identityImEEEE10hipError_tT2_T3_mT4_P12ihipStream_tbEUlT_E_NS1_11comp_targetILNS1_3genE4ELNS1_11target_archE910ELNS1_3gpuE8ELNS1_3repE0EEENS1_30default_config_static_selectorELNS0_4arch9wavefront6targetE0EEEvT1_,"axG",@progbits,_ZN7rocprim17ROCPRIM_400000_NS6detail17trampoline_kernelINS0_14default_configENS1_25transform_config_selectorImLb1EEEZNS1_14transform_implILb1ES3_S5_PmS7_NS0_8identityImEEEE10hipError_tT2_T3_mT4_P12ihipStream_tbEUlT_E_NS1_11comp_targetILNS1_3genE4ELNS1_11target_archE910ELNS1_3gpuE8ELNS1_3repE0EEENS1_30default_config_static_selectorELNS0_4arch9wavefront6targetE0EEEvT1_,comdat
	.protected	_ZN7rocprim17ROCPRIM_400000_NS6detail17trampoline_kernelINS0_14default_configENS1_25transform_config_selectorImLb1EEEZNS1_14transform_implILb1ES3_S5_PmS7_NS0_8identityImEEEE10hipError_tT2_T3_mT4_P12ihipStream_tbEUlT_E_NS1_11comp_targetILNS1_3genE4ELNS1_11target_archE910ELNS1_3gpuE8ELNS1_3repE0EEENS1_30default_config_static_selectorELNS0_4arch9wavefront6targetE0EEEvT1_ ; -- Begin function _ZN7rocprim17ROCPRIM_400000_NS6detail17trampoline_kernelINS0_14default_configENS1_25transform_config_selectorImLb1EEEZNS1_14transform_implILb1ES3_S5_PmS7_NS0_8identityImEEEE10hipError_tT2_T3_mT4_P12ihipStream_tbEUlT_E_NS1_11comp_targetILNS1_3genE4ELNS1_11target_archE910ELNS1_3gpuE8ELNS1_3repE0EEENS1_30default_config_static_selectorELNS0_4arch9wavefront6targetE0EEEvT1_
	.globl	_ZN7rocprim17ROCPRIM_400000_NS6detail17trampoline_kernelINS0_14default_configENS1_25transform_config_selectorImLb1EEEZNS1_14transform_implILb1ES3_S5_PmS7_NS0_8identityImEEEE10hipError_tT2_T3_mT4_P12ihipStream_tbEUlT_E_NS1_11comp_targetILNS1_3genE4ELNS1_11target_archE910ELNS1_3gpuE8ELNS1_3repE0EEENS1_30default_config_static_selectorELNS0_4arch9wavefront6targetE0EEEvT1_
	.p2align	8
	.type	_ZN7rocprim17ROCPRIM_400000_NS6detail17trampoline_kernelINS0_14default_configENS1_25transform_config_selectorImLb1EEEZNS1_14transform_implILb1ES3_S5_PmS7_NS0_8identityImEEEE10hipError_tT2_T3_mT4_P12ihipStream_tbEUlT_E_NS1_11comp_targetILNS1_3genE4ELNS1_11target_archE910ELNS1_3gpuE8ELNS1_3repE0EEENS1_30default_config_static_selectorELNS0_4arch9wavefront6targetE0EEEvT1_,@function
_ZN7rocprim17ROCPRIM_400000_NS6detail17trampoline_kernelINS0_14default_configENS1_25transform_config_selectorImLb1EEEZNS1_14transform_implILb1ES3_S5_PmS7_NS0_8identityImEEEE10hipError_tT2_T3_mT4_P12ihipStream_tbEUlT_E_NS1_11comp_targetILNS1_3genE4ELNS1_11target_archE910ELNS1_3gpuE8ELNS1_3repE0EEENS1_30default_config_static_selectorELNS0_4arch9wavefront6targetE0EEEvT1_: ; @_ZN7rocprim17ROCPRIM_400000_NS6detail17trampoline_kernelINS0_14default_configENS1_25transform_config_selectorImLb1EEEZNS1_14transform_implILb1ES3_S5_PmS7_NS0_8identityImEEEE10hipError_tT2_T3_mT4_P12ihipStream_tbEUlT_E_NS1_11comp_targetILNS1_3genE4ELNS1_11target_archE910ELNS1_3gpuE8ELNS1_3repE0EEENS1_30default_config_static_selectorELNS0_4arch9wavefront6targetE0EEEvT1_
; %bb.0:
	.section	.rodata,"a",@progbits
	.p2align	6, 0x0
	.amdhsa_kernel _ZN7rocprim17ROCPRIM_400000_NS6detail17trampoline_kernelINS0_14default_configENS1_25transform_config_selectorImLb1EEEZNS1_14transform_implILb1ES3_S5_PmS7_NS0_8identityImEEEE10hipError_tT2_T3_mT4_P12ihipStream_tbEUlT_E_NS1_11comp_targetILNS1_3genE4ELNS1_11target_archE910ELNS1_3gpuE8ELNS1_3repE0EEENS1_30default_config_static_selectorELNS0_4arch9wavefront6targetE0EEEvT1_
		.amdhsa_group_segment_fixed_size 0
		.amdhsa_private_segment_fixed_size 0
		.amdhsa_kernarg_size 40
		.amdhsa_user_sgpr_count 2
		.amdhsa_user_sgpr_dispatch_ptr 0
		.amdhsa_user_sgpr_queue_ptr 0
		.amdhsa_user_sgpr_kernarg_segment_ptr 1
		.amdhsa_user_sgpr_dispatch_id 0
		.amdhsa_user_sgpr_kernarg_preload_length 0
		.amdhsa_user_sgpr_kernarg_preload_offset 0
		.amdhsa_user_sgpr_private_segment_size 0
		.amdhsa_wavefront_size32 1
		.amdhsa_uses_dynamic_stack 0
		.amdhsa_enable_private_segment 0
		.amdhsa_system_sgpr_workgroup_id_x 1
		.amdhsa_system_sgpr_workgroup_id_y 0
		.amdhsa_system_sgpr_workgroup_id_z 0
		.amdhsa_system_sgpr_workgroup_info 0
		.amdhsa_system_vgpr_workitem_id 0
		.amdhsa_next_free_vgpr 1
		.amdhsa_next_free_sgpr 1
		.amdhsa_named_barrier_count 0
		.amdhsa_reserve_vcc 0
		.amdhsa_float_round_mode_32 0
		.amdhsa_float_round_mode_16_64 0
		.amdhsa_float_denorm_mode_32 3
		.amdhsa_float_denorm_mode_16_64 3
		.amdhsa_fp16_overflow 0
		.amdhsa_memory_ordered 1
		.amdhsa_forward_progress 1
		.amdhsa_inst_pref_size 0
		.amdhsa_round_robin_scheduling 0
		.amdhsa_exception_fp_ieee_invalid_op 0
		.amdhsa_exception_fp_denorm_src 0
		.amdhsa_exception_fp_ieee_div_zero 0
		.amdhsa_exception_fp_ieee_overflow 0
		.amdhsa_exception_fp_ieee_underflow 0
		.amdhsa_exception_fp_ieee_inexact 0
		.amdhsa_exception_int_div_zero 0
	.end_amdhsa_kernel
	.section	.text._ZN7rocprim17ROCPRIM_400000_NS6detail17trampoline_kernelINS0_14default_configENS1_25transform_config_selectorImLb1EEEZNS1_14transform_implILb1ES3_S5_PmS7_NS0_8identityImEEEE10hipError_tT2_T3_mT4_P12ihipStream_tbEUlT_E_NS1_11comp_targetILNS1_3genE4ELNS1_11target_archE910ELNS1_3gpuE8ELNS1_3repE0EEENS1_30default_config_static_selectorELNS0_4arch9wavefront6targetE0EEEvT1_,"axG",@progbits,_ZN7rocprim17ROCPRIM_400000_NS6detail17trampoline_kernelINS0_14default_configENS1_25transform_config_selectorImLb1EEEZNS1_14transform_implILb1ES3_S5_PmS7_NS0_8identityImEEEE10hipError_tT2_T3_mT4_P12ihipStream_tbEUlT_E_NS1_11comp_targetILNS1_3genE4ELNS1_11target_archE910ELNS1_3gpuE8ELNS1_3repE0EEENS1_30default_config_static_selectorELNS0_4arch9wavefront6targetE0EEEvT1_,comdat
.Lfunc_end2825:
	.size	_ZN7rocprim17ROCPRIM_400000_NS6detail17trampoline_kernelINS0_14default_configENS1_25transform_config_selectorImLb1EEEZNS1_14transform_implILb1ES3_S5_PmS7_NS0_8identityImEEEE10hipError_tT2_T3_mT4_P12ihipStream_tbEUlT_E_NS1_11comp_targetILNS1_3genE4ELNS1_11target_archE910ELNS1_3gpuE8ELNS1_3repE0EEENS1_30default_config_static_selectorELNS0_4arch9wavefront6targetE0EEEvT1_, .Lfunc_end2825-_ZN7rocprim17ROCPRIM_400000_NS6detail17trampoline_kernelINS0_14default_configENS1_25transform_config_selectorImLb1EEEZNS1_14transform_implILb1ES3_S5_PmS7_NS0_8identityImEEEE10hipError_tT2_T3_mT4_P12ihipStream_tbEUlT_E_NS1_11comp_targetILNS1_3genE4ELNS1_11target_archE910ELNS1_3gpuE8ELNS1_3repE0EEENS1_30default_config_static_selectorELNS0_4arch9wavefront6targetE0EEEvT1_
                                        ; -- End function
	.set _ZN7rocprim17ROCPRIM_400000_NS6detail17trampoline_kernelINS0_14default_configENS1_25transform_config_selectorImLb1EEEZNS1_14transform_implILb1ES3_S5_PmS7_NS0_8identityImEEEE10hipError_tT2_T3_mT4_P12ihipStream_tbEUlT_E_NS1_11comp_targetILNS1_3genE4ELNS1_11target_archE910ELNS1_3gpuE8ELNS1_3repE0EEENS1_30default_config_static_selectorELNS0_4arch9wavefront6targetE0EEEvT1_.num_vgpr, 0
	.set _ZN7rocprim17ROCPRIM_400000_NS6detail17trampoline_kernelINS0_14default_configENS1_25transform_config_selectorImLb1EEEZNS1_14transform_implILb1ES3_S5_PmS7_NS0_8identityImEEEE10hipError_tT2_T3_mT4_P12ihipStream_tbEUlT_E_NS1_11comp_targetILNS1_3genE4ELNS1_11target_archE910ELNS1_3gpuE8ELNS1_3repE0EEENS1_30default_config_static_selectorELNS0_4arch9wavefront6targetE0EEEvT1_.num_agpr, 0
	.set _ZN7rocprim17ROCPRIM_400000_NS6detail17trampoline_kernelINS0_14default_configENS1_25transform_config_selectorImLb1EEEZNS1_14transform_implILb1ES3_S5_PmS7_NS0_8identityImEEEE10hipError_tT2_T3_mT4_P12ihipStream_tbEUlT_E_NS1_11comp_targetILNS1_3genE4ELNS1_11target_archE910ELNS1_3gpuE8ELNS1_3repE0EEENS1_30default_config_static_selectorELNS0_4arch9wavefront6targetE0EEEvT1_.numbered_sgpr, 0
	.set _ZN7rocprim17ROCPRIM_400000_NS6detail17trampoline_kernelINS0_14default_configENS1_25transform_config_selectorImLb1EEEZNS1_14transform_implILb1ES3_S5_PmS7_NS0_8identityImEEEE10hipError_tT2_T3_mT4_P12ihipStream_tbEUlT_E_NS1_11comp_targetILNS1_3genE4ELNS1_11target_archE910ELNS1_3gpuE8ELNS1_3repE0EEENS1_30default_config_static_selectorELNS0_4arch9wavefront6targetE0EEEvT1_.num_named_barrier, 0
	.set _ZN7rocprim17ROCPRIM_400000_NS6detail17trampoline_kernelINS0_14default_configENS1_25transform_config_selectorImLb1EEEZNS1_14transform_implILb1ES3_S5_PmS7_NS0_8identityImEEEE10hipError_tT2_T3_mT4_P12ihipStream_tbEUlT_E_NS1_11comp_targetILNS1_3genE4ELNS1_11target_archE910ELNS1_3gpuE8ELNS1_3repE0EEENS1_30default_config_static_selectorELNS0_4arch9wavefront6targetE0EEEvT1_.private_seg_size, 0
	.set _ZN7rocprim17ROCPRIM_400000_NS6detail17trampoline_kernelINS0_14default_configENS1_25transform_config_selectorImLb1EEEZNS1_14transform_implILb1ES3_S5_PmS7_NS0_8identityImEEEE10hipError_tT2_T3_mT4_P12ihipStream_tbEUlT_E_NS1_11comp_targetILNS1_3genE4ELNS1_11target_archE910ELNS1_3gpuE8ELNS1_3repE0EEENS1_30default_config_static_selectorELNS0_4arch9wavefront6targetE0EEEvT1_.uses_vcc, 0
	.set _ZN7rocprim17ROCPRIM_400000_NS6detail17trampoline_kernelINS0_14default_configENS1_25transform_config_selectorImLb1EEEZNS1_14transform_implILb1ES3_S5_PmS7_NS0_8identityImEEEE10hipError_tT2_T3_mT4_P12ihipStream_tbEUlT_E_NS1_11comp_targetILNS1_3genE4ELNS1_11target_archE910ELNS1_3gpuE8ELNS1_3repE0EEENS1_30default_config_static_selectorELNS0_4arch9wavefront6targetE0EEEvT1_.uses_flat_scratch, 0
	.set _ZN7rocprim17ROCPRIM_400000_NS6detail17trampoline_kernelINS0_14default_configENS1_25transform_config_selectorImLb1EEEZNS1_14transform_implILb1ES3_S5_PmS7_NS0_8identityImEEEE10hipError_tT2_T3_mT4_P12ihipStream_tbEUlT_E_NS1_11comp_targetILNS1_3genE4ELNS1_11target_archE910ELNS1_3gpuE8ELNS1_3repE0EEENS1_30default_config_static_selectorELNS0_4arch9wavefront6targetE0EEEvT1_.has_dyn_sized_stack, 0
	.set _ZN7rocprim17ROCPRIM_400000_NS6detail17trampoline_kernelINS0_14default_configENS1_25transform_config_selectorImLb1EEEZNS1_14transform_implILb1ES3_S5_PmS7_NS0_8identityImEEEE10hipError_tT2_T3_mT4_P12ihipStream_tbEUlT_E_NS1_11comp_targetILNS1_3genE4ELNS1_11target_archE910ELNS1_3gpuE8ELNS1_3repE0EEENS1_30default_config_static_selectorELNS0_4arch9wavefront6targetE0EEEvT1_.has_recursion, 0
	.set _ZN7rocprim17ROCPRIM_400000_NS6detail17trampoline_kernelINS0_14default_configENS1_25transform_config_selectorImLb1EEEZNS1_14transform_implILb1ES3_S5_PmS7_NS0_8identityImEEEE10hipError_tT2_T3_mT4_P12ihipStream_tbEUlT_E_NS1_11comp_targetILNS1_3genE4ELNS1_11target_archE910ELNS1_3gpuE8ELNS1_3repE0EEENS1_30default_config_static_selectorELNS0_4arch9wavefront6targetE0EEEvT1_.has_indirect_call, 0
	.section	.AMDGPU.csdata,"",@progbits
; Kernel info:
; codeLenInByte = 0
; TotalNumSgprs: 0
; NumVgprs: 0
; ScratchSize: 0
; MemoryBound: 0
; FloatMode: 240
; IeeeMode: 1
; LDSByteSize: 0 bytes/workgroup (compile time only)
; SGPRBlocks: 0
; VGPRBlocks: 0
; NumSGPRsForWavesPerEU: 1
; NumVGPRsForWavesPerEU: 1
; NamedBarCnt: 0
; Occupancy: 16
; WaveLimiterHint : 0
; COMPUTE_PGM_RSRC2:SCRATCH_EN: 0
; COMPUTE_PGM_RSRC2:USER_SGPR: 2
; COMPUTE_PGM_RSRC2:TRAP_HANDLER: 0
; COMPUTE_PGM_RSRC2:TGID_X_EN: 1
; COMPUTE_PGM_RSRC2:TGID_Y_EN: 0
; COMPUTE_PGM_RSRC2:TGID_Z_EN: 0
; COMPUTE_PGM_RSRC2:TIDIG_COMP_CNT: 0
	.section	.text._ZN7rocprim17ROCPRIM_400000_NS6detail17trampoline_kernelINS0_14default_configENS1_25transform_config_selectorImLb1EEEZNS1_14transform_implILb1ES3_S5_PmS7_NS0_8identityImEEEE10hipError_tT2_T3_mT4_P12ihipStream_tbEUlT_E_NS1_11comp_targetILNS1_3genE3ELNS1_11target_archE908ELNS1_3gpuE7ELNS1_3repE0EEENS1_30default_config_static_selectorELNS0_4arch9wavefront6targetE0EEEvT1_,"axG",@progbits,_ZN7rocprim17ROCPRIM_400000_NS6detail17trampoline_kernelINS0_14default_configENS1_25transform_config_selectorImLb1EEEZNS1_14transform_implILb1ES3_S5_PmS7_NS0_8identityImEEEE10hipError_tT2_T3_mT4_P12ihipStream_tbEUlT_E_NS1_11comp_targetILNS1_3genE3ELNS1_11target_archE908ELNS1_3gpuE7ELNS1_3repE0EEENS1_30default_config_static_selectorELNS0_4arch9wavefront6targetE0EEEvT1_,comdat
	.protected	_ZN7rocprim17ROCPRIM_400000_NS6detail17trampoline_kernelINS0_14default_configENS1_25transform_config_selectorImLb1EEEZNS1_14transform_implILb1ES3_S5_PmS7_NS0_8identityImEEEE10hipError_tT2_T3_mT4_P12ihipStream_tbEUlT_E_NS1_11comp_targetILNS1_3genE3ELNS1_11target_archE908ELNS1_3gpuE7ELNS1_3repE0EEENS1_30default_config_static_selectorELNS0_4arch9wavefront6targetE0EEEvT1_ ; -- Begin function _ZN7rocprim17ROCPRIM_400000_NS6detail17trampoline_kernelINS0_14default_configENS1_25transform_config_selectorImLb1EEEZNS1_14transform_implILb1ES3_S5_PmS7_NS0_8identityImEEEE10hipError_tT2_T3_mT4_P12ihipStream_tbEUlT_E_NS1_11comp_targetILNS1_3genE3ELNS1_11target_archE908ELNS1_3gpuE7ELNS1_3repE0EEENS1_30default_config_static_selectorELNS0_4arch9wavefront6targetE0EEEvT1_
	.globl	_ZN7rocprim17ROCPRIM_400000_NS6detail17trampoline_kernelINS0_14default_configENS1_25transform_config_selectorImLb1EEEZNS1_14transform_implILb1ES3_S5_PmS7_NS0_8identityImEEEE10hipError_tT2_T3_mT4_P12ihipStream_tbEUlT_E_NS1_11comp_targetILNS1_3genE3ELNS1_11target_archE908ELNS1_3gpuE7ELNS1_3repE0EEENS1_30default_config_static_selectorELNS0_4arch9wavefront6targetE0EEEvT1_
	.p2align	8
	.type	_ZN7rocprim17ROCPRIM_400000_NS6detail17trampoline_kernelINS0_14default_configENS1_25transform_config_selectorImLb1EEEZNS1_14transform_implILb1ES3_S5_PmS7_NS0_8identityImEEEE10hipError_tT2_T3_mT4_P12ihipStream_tbEUlT_E_NS1_11comp_targetILNS1_3genE3ELNS1_11target_archE908ELNS1_3gpuE7ELNS1_3repE0EEENS1_30default_config_static_selectorELNS0_4arch9wavefront6targetE0EEEvT1_,@function
_ZN7rocprim17ROCPRIM_400000_NS6detail17trampoline_kernelINS0_14default_configENS1_25transform_config_selectorImLb1EEEZNS1_14transform_implILb1ES3_S5_PmS7_NS0_8identityImEEEE10hipError_tT2_T3_mT4_P12ihipStream_tbEUlT_E_NS1_11comp_targetILNS1_3genE3ELNS1_11target_archE908ELNS1_3gpuE7ELNS1_3repE0EEENS1_30default_config_static_selectorELNS0_4arch9wavefront6targetE0EEEvT1_: ; @_ZN7rocprim17ROCPRIM_400000_NS6detail17trampoline_kernelINS0_14default_configENS1_25transform_config_selectorImLb1EEEZNS1_14transform_implILb1ES3_S5_PmS7_NS0_8identityImEEEE10hipError_tT2_T3_mT4_P12ihipStream_tbEUlT_E_NS1_11comp_targetILNS1_3genE3ELNS1_11target_archE908ELNS1_3gpuE7ELNS1_3repE0EEENS1_30default_config_static_selectorELNS0_4arch9wavefront6targetE0EEEvT1_
; %bb.0:
	.section	.rodata,"a",@progbits
	.p2align	6, 0x0
	.amdhsa_kernel _ZN7rocprim17ROCPRIM_400000_NS6detail17trampoline_kernelINS0_14default_configENS1_25transform_config_selectorImLb1EEEZNS1_14transform_implILb1ES3_S5_PmS7_NS0_8identityImEEEE10hipError_tT2_T3_mT4_P12ihipStream_tbEUlT_E_NS1_11comp_targetILNS1_3genE3ELNS1_11target_archE908ELNS1_3gpuE7ELNS1_3repE0EEENS1_30default_config_static_selectorELNS0_4arch9wavefront6targetE0EEEvT1_
		.amdhsa_group_segment_fixed_size 0
		.amdhsa_private_segment_fixed_size 0
		.amdhsa_kernarg_size 40
		.amdhsa_user_sgpr_count 2
		.amdhsa_user_sgpr_dispatch_ptr 0
		.amdhsa_user_sgpr_queue_ptr 0
		.amdhsa_user_sgpr_kernarg_segment_ptr 1
		.amdhsa_user_sgpr_dispatch_id 0
		.amdhsa_user_sgpr_kernarg_preload_length 0
		.amdhsa_user_sgpr_kernarg_preload_offset 0
		.amdhsa_user_sgpr_private_segment_size 0
		.amdhsa_wavefront_size32 1
		.amdhsa_uses_dynamic_stack 0
		.amdhsa_enable_private_segment 0
		.amdhsa_system_sgpr_workgroup_id_x 1
		.amdhsa_system_sgpr_workgroup_id_y 0
		.amdhsa_system_sgpr_workgroup_id_z 0
		.amdhsa_system_sgpr_workgroup_info 0
		.amdhsa_system_vgpr_workitem_id 0
		.amdhsa_next_free_vgpr 1
		.amdhsa_next_free_sgpr 1
		.amdhsa_named_barrier_count 0
		.amdhsa_reserve_vcc 0
		.amdhsa_float_round_mode_32 0
		.amdhsa_float_round_mode_16_64 0
		.amdhsa_float_denorm_mode_32 3
		.amdhsa_float_denorm_mode_16_64 3
		.amdhsa_fp16_overflow 0
		.amdhsa_memory_ordered 1
		.amdhsa_forward_progress 1
		.amdhsa_inst_pref_size 0
		.amdhsa_round_robin_scheduling 0
		.amdhsa_exception_fp_ieee_invalid_op 0
		.amdhsa_exception_fp_denorm_src 0
		.amdhsa_exception_fp_ieee_div_zero 0
		.amdhsa_exception_fp_ieee_overflow 0
		.amdhsa_exception_fp_ieee_underflow 0
		.amdhsa_exception_fp_ieee_inexact 0
		.amdhsa_exception_int_div_zero 0
	.end_amdhsa_kernel
	.section	.text._ZN7rocprim17ROCPRIM_400000_NS6detail17trampoline_kernelINS0_14default_configENS1_25transform_config_selectorImLb1EEEZNS1_14transform_implILb1ES3_S5_PmS7_NS0_8identityImEEEE10hipError_tT2_T3_mT4_P12ihipStream_tbEUlT_E_NS1_11comp_targetILNS1_3genE3ELNS1_11target_archE908ELNS1_3gpuE7ELNS1_3repE0EEENS1_30default_config_static_selectorELNS0_4arch9wavefront6targetE0EEEvT1_,"axG",@progbits,_ZN7rocprim17ROCPRIM_400000_NS6detail17trampoline_kernelINS0_14default_configENS1_25transform_config_selectorImLb1EEEZNS1_14transform_implILb1ES3_S5_PmS7_NS0_8identityImEEEE10hipError_tT2_T3_mT4_P12ihipStream_tbEUlT_E_NS1_11comp_targetILNS1_3genE3ELNS1_11target_archE908ELNS1_3gpuE7ELNS1_3repE0EEENS1_30default_config_static_selectorELNS0_4arch9wavefront6targetE0EEEvT1_,comdat
.Lfunc_end2826:
	.size	_ZN7rocprim17ROCPRIM_400000_NS6detail17trampoline_kernelINS0_14default_configENS1_25transform_config_selectorImLb1EEEZNS1_14transform_implILb1ES3_S5_PmS7_NS0_8identityImEEEE10hipError_tT2_T3_mT4_P12ihipStream_tbEUlT_E_NS1_11comp_targetILNS1_3genE3ELNS1_11target_archE908ELNS1_3gpuE7ELNS1_3repE0EEENS1_30default_config_static_selectorELNS0_4arch9wavefront6targetE0EEEvT1_, .Lfunc_end2826-_ZN7rocprim17ROCPRIM_400000_NS6detail17trampoline_kernelINS0_14default_configENS1_25transform_config_selectorImLb1EEEZNS1_14transform_implILb1ES3_S5_PmS7_NS0_8identityImEEEE10hipError_tT2_T3_mT4_P12ihipStream_tbEUlT_E_NS1_11comp_targetILNS1_3genE3ELNS1_11target_archE908ELNS1_3gpuE7ELNS1_3repE0EEENS1_30default_config_static_selectorELNS0_4arch9wavefront6targetE0EEEvT1_
                                        ; -- End function
	.set _ZN7rocprim17ROCPRIM_400000_NS6detail17trampoline_kernelINS0_14default_configENS1_25transform_config_selectorImLb1EEEZNS1_14transform_implILb1ES3_S5_PmS7_NS0_8identityImEEEE10hipError_tT2_T3_mT4_P12ihipStream_tbEUlT_E_NS1_11comp_targetILNS1_3genE3ELNS1_11target_archE908ELNS1_3gpuE7ELNS1_3repE0EEENS1_30default_config_static_selectorELNS0_4arch9wavefront6targetE0EEEvT1_.num_vgpr, 0
	.set _ZN7rocprim17ROCPRIM_400000_NS6detail17trampoline_kernelINS0_14default_configENS1_25transform_config_selectorImLb1EEEZNS1_14transform_implILb1ES3_S5_PmS7_NS0_8identityImEEEE10hipError_tT2_T3_mT4_P12ihipStream_tbEUlT_E_NS1_11comp_targetILNS1_3genE3ELNS1_11target_archE908ELNS1_3gpuE7ELNS1_3repE0EEENS1_30default_config_static_selectorELNS0_4arch9wavefront6targetE0EEEvT1_.num_agpr, 0
	.set _ZN7rocprim17ROCPRIM_400000_NS6detail17trampoline_kernelINS0_14default_configENS1_25transform_config_selectorImLb1EEEZNS1_14transform_implILb1ES3_S5_PmS7_NS0_8identityImEEEE10hipError_tT2_T3_mT4_P12ihipStream_tbEUlT_E_NS1_11comp_targetILNS1_3genE3ELNS1_11target_archE908ELNS1_3gpuE7ELNS1_3repE0EEENS1_30default_config_static_selectorELNS0_4arch9wavefront6targetE0EEEvT1_.numbered_sgpr, 0
	.set _ZN7rocprim17ROCPRIM_400000_NS6detail17trampoline_kernelINS0_14default_configENS1_25transform_config_selectorImLb1EEEZNS1_14transform_implILb1ES3_S5_PmS7_NS0_8identityImEEEE10hipError_tT2_T3_mT4_P12ihipStream_tbEUlT_E_NS1_11comp_targetILNS1_3genE3ELNS1_11target_archE908ELNS1_3gpuE7ELNS1_3repE0EEENS1_30default_config_static_selectorELNS0_4arch9wavefront6targetE0EEEvT1_.num_named_barrier, 0
	.set _ZN7rocprim17ROCPRIM_400000_NS6detail17trampoline_kernelINS0_14default_configENS1_25transform_config_selectorImLb1EEEZNS1_14transform_implILb1ES3_S5_PmS7_NS0_8identityImEEEE10hipError_tT2_T3_mT4_P12ihipStream_tbEUlT_E_NS1_11comp_targetILNS1_3genE3ELNS1_11target_archE908ELNS1_3gpuE7ELNS1_3repE0EEENS1_30default_config_static_selectorELNS0_4arch9wavefront6targetE0EEEvT1_.private_seg_size, 0
	.set _ZN7rocprim17ROCPRIM_400000_NS6detail17trampoline_kernelINS0_14default_configENS1_25transform_config_selectorImLb1EEEZNS1_14transform_implILb1ES3_S5_PmS7_NS0_8identityImEEEE10hipError_tT2_T3_mT4_P12ihipStream_tbEUlT_E_NS1_11comp_targetILNS1_3genE3ELNS1_11target_archE908ELNS1_3gpuE7ELNS1_3repE0EEENS1_30default_config_static_selectorELNS0_4arch9wavefront6targetE0EEEvT1_.uses_vcc, 0
	.set _ZN7rocprim17ROCPRIM_400000_NS6detail17trampoline_kernelINS0_14default_configENS1_25transform_config_selectorImLb1EEEZNS1_14transform_implILb1ES3_S5_PmS7_NS0_8identityImEEEE10hipError_tT2_T3_mT4_P12ihipStream_tbEUlT_E_NS1_11comp_targetILNS1_3genE3ELNS1_11target_archE908ELNS1_3gpuE7ELNS1_3repE0EEENS1_30default_config_static_selectorELNS0_4arch9wavefront6targetE0EEEvT1_.uses_flat_scratch, 0
	.set _ZN7rocprim17ROCPRIM_400000_NS6detail17trampoline_kernelINS0_14default_configENS1_25transform_config_selectorImLb1EEEZNS1_14transform_implILb1ES3_S5_PmS7_NS0_8identityImEEEE10hipError_tT2_T3_mT4_P12ihipStream_tbEUlT_E_NS1_11comp_targetILNS1_3genE3ELNS1_11target_archE908ELNS1_3gpuE7ELNS1_3repE0EEENS1_30default_config_static_selectorELNS0_4arch9wavefront6targetE0EEEvT1_.has_dyn_sized_stack, 0
	.set _ZN7rocprim17ROCPRIM_400000_NS6detail17trampoline_kernelINS0_14default_configENS1_25transform_config_selectorImLb1EEEZNS1_14transform_implILb1ES3_S5_PmS7_NS0_8identityImEEEE10hipError_tT2_T3_mT4_P12ihipStream_tbEUlT_E_NS1_11comp_targetILNS1_3genE3ELNS1_11target_archE908ELNS1_3gpuE7ELNS1_3repE0EEENS1_30default_config_static_selectorELNS0_4arch9wavefront6targetE0EEEvT1_.has_recursion, 0
	.set _ZN7rocprim17ROCPRIM_400000_NS6detail17trampoline_kernelINS0_14default_configENS1_25transform_config_selectorImLb1EEEZNS1_14transform_implILb1ES3_S5_PmS7_NS0_8identityImEEEE10hipError_tT2_T3_mT4_P12ihipStream_tbEUlT_E_NS1_11comp_targetILNS1_3genE3ELNS1_11target_archE908ELNS1_3gpuE7ELNS1_3repE0EEENS1_30default_config_static_selectorELNS0_4arch9wavefront6targetE0EEEvT1_.has_indirect_call, 0
	.section	.AMDGPU.csdata,"",@progbits
; Kernel info:
; codeLenInByte = 0
; TotalNumSgprs: 0
; NumVgprs: 0
; ScratchSize: 0
; MemoryBound: 0
; FloatMode: 240
; IeeeMode: 1
; LDSByteSize: 0 bytes/workgroup (compile time only)
; SGPRBlocks: 0
; VGPRBlocks: 0
; NumSGPRsForWavesPerEU: 1
; NumVGPRsForWavesPerEU: 1
; NamedBarCnt: 0
; Occupancy: 16
; WaveLimiterHint : 0
; COMPUTE_PGM_RSRC2:SCRATCH_EN: 0
; COMPUTE_PGM_RSRC2:USER_SGPR: 2
; COMPUTE_PGM_RSRC2:TRAP_HANDLER: 0
; COMPUTE_PGM_RSRC2:TGID_X_EN: 1
; COMPUTE_PGM_RSRC2:TGID_Y_EN: 0
; COMPUTE_PGM_RSRC2:TGID_Z_EN: 0
; COMPUTE_PGM_RSRC2:TIDIG_COMP_CNT: 0
	.section	.text._ZN7rocprim17ROCPRIM_400000_NS6detail17trampoline_kernelINS0_14default_configENS1_25transform_config_selectorImLb1EEEZNS1_14transform_implILb1ES3_S5_PmS7_NS0_8identityImEEEE10hipError_tT2_T3_mT4_P12ihipStream_tbEUlT_E_NS1_11comp_targetILNS1_3genE2ELNS1_11target_archE906ELNS1_3gpuE6ELNS1_3repE0EEENS1_30default_config_static_selectorELNS0_4arch9wavefront6targetE0EEEvT1_,"axG",@progbits,_ZN7rocprim17ROCPRIM_400000_NS6detail17trampoline_kernelINS0_14default_configENS1_25transform_config_selectorImLb1EEEZNS1_14transform_implILb1ES3_S5_PmS7_NS0_8identityImEEEE10hipError_tT2_T3_mT4_P12ihipStream_tbEUlT_E_NS1_11comp_targetILNS1_3genE2ELNS1_11target_archE906ELNS1_3gpuE6ELNS1_3repE0EEENS1_30default_config_static_selectorELNS0_4arch9wavefront6targetE0EEEvT1_,comdat
	.protected	_ZN7rocprim17ROCPRIM_400000_NS6detail17trampoline_kernelINS0_14default_configENS1_25transform_config_selectorImLb1EEEZNS1_14transform_implILb1ES3_S5_PmS7_NS0_8identityImEEEE10hipError_tT2_T3_mT4_P12ihipStream_tbEUlT_E_NS1_11comp_targetILNS1_3genE2ELNS1_11target_archE906ELNS1_3gpuE6ELNS1_3repE0EEENS1_30default_config_static_selectorELNS0_4arch9wavefront6targetE0EEEvT1_ ; -- Begin function _ZN7rocprim17ROCPRIM_400000_NS6detail17trampoline_kernelINS0_14default_configENS1_25transform_config_selectorImLb1EEEZNS1_14transform_implILb1ES3_S5_PmS7_NS0_8identityImEEEE10hipError_tT2_T3_mT4_P12ihipStream_tbEUlT_E_NS1_11comp_targetILNS1_3genE2ELNS1_11target_archE906ELNS1_3gpuE6ELNS1_3repE0EEENS1_30default_config_static_selectorELNS0_4arch9wavefront6targetE0EEEvT1_
	.globl	_ZN7rocprim17ROCPRIM_400000_NS6detail17trampoline_kernelINS0_14default_configENS1_25transform_config_selectorImLb1EEEZNS1_14transform_implILb1ES3_S5_PmS7_NS0_8identityImEEEE10hipError_tT2_T3_mT4_P12ihipStream_tbEUlT_E_NS1_11comp_targetILNS1_3genE2ELNS1_11target_archE906ELNS1_3gpuE6ELNS1_3repE0EEENS1_30default_config_static_selectorELNS0_4arch9wavefront6targetE0EEEvT1_
	.p2align	8
	.type	_ZN7rocprim17ROCPRIM_400000_NS6detail17trampoline_kernelINS0_14default_configENS1_25transform_config_selectorImLb1EEEZNS1_14transform_implILb1ES3_S5_PmS7_NS0_8identityImEEEE10hipError_tT2_T3_mT4_P12ihipStream_tbEUlT_E_NS1_11comp_targetILNS1_3genE2ELNS1_11target_archE906ELNS1_3gpuE6ELNS1_3repE0EEENS1_30default_config_static_selectorELNS0_4arch9wavefront6targetE0EEEvT1_,@function
_ZN7rocprim17ROCPRIM_400000_NS6detail17trampoline_kernelINS0_14default_configENS1_25transform_config_selectorImLb1EEEZNS1_14transform_implILb1ES3_S5_PmS7_NS0_8identityImEEEE10hipError_tT2_T3_mT4_P12ihipStream_tbEUlT_E_NS1_11comp_targetILNS1_3genE2ELNS1_11target_archE906ELNS1_3gpuE6ELNS1_3repE0EEENS1_30default_config_static_selectorELNS0_4arch9wavefront6targetE0EEEvT1_: ; @_ZN7rocprim17ROCPRIM_400000_NS6detail17trampoline_kernelINS0_14default_configENS1_25transform_config_selectorImLb1EEEZNS1_14transform_implILb1ES3_S5_PmS7_NS0_8identityImEEEE10hipError_tT2_T3_mT4_P12ihipStream_tbEUlT_E_NS1_11comp_targetILNS1_3genE2ELNS1_11target_archE906ELNS1_3gpuE6ELNS1_3repE0EEENS1_30default_config_static_selectorELNS0_4arch9wavefront6targetE0EEEvT1_
; %bb.0:
	.section	.rodata,"a",@progbits
	.p2align	6, 0x0
	.amdhsa_kernel _ZN7rocprim17ROCPRIM_400000_NS6detail17trampoline_kernelINS0_14default_configENS1_25transform_config_selectorImLb1EEEZNS1_14transform_implILb1ES3_S5_PmS7_NS0_8identityImEEEE10hipError_tT2_T3_mT4_P12ihipStream_tbEUlT_E_NS1_11comp_targetILNS1_3genE2ELNS1_11target_archE906ELNS1_3gpuE6ELNS1_3repE0EEENS1_30default_config_static_selectorELNS0_4arch9wavefront6targetE0EEEvT1_
		.amdhsa_group_segment_fixed_size 0
		.amdhsa_private_segment_fixed_size 0
		.amdhsa_kernarg_size 40
		.amdhsa_user_sgpr_count 2
		.amdhsa_user_sgpr_dispatch_ptr 0
		.amdhsa_user_sgpr_queue_ptr 0
		.amdhsa_user_sgpr_kernarg_segment_ptr 1
		.amdhsa_user_sgpr_dispatch_id 0
		.amdhsa_user_sgpr_kernarg_preload_length 0
		.amdhsa_user_sgpr_kernarg_preload_offset 0
		.amdhsa_user_sgpr_private_segment_size 0
		.amdhsa_wavefront_size32 1
		.amdhsa_uses_dynamic_stack 0
		.amdhsa_enable_private_segment 0
		.amdhsa_system_sgpr_workgroup_id_x 1
		.amdhsa_system_sgpr_workgroup_id_y 0
		.amdhsa_system_sgpr_workgroup_id_z 0
		.amdhsa_system_sgpr_workgroup_info 0
		.amdhsa_system_vgpr_workitem_id 0
		.amdhsa_next_free_vgpr 1
		.amdhsa_next_free_sgpr 1
		.amdhsa_named_barrier_count 0
		.amdhsa_reserve_vcc 0
		.amdhsa_float_round_mode_32 0
		.amdhsa_float_round_mode_16_64 0
		.amdhsa_float_denorm_mode_32 3
		.amdhsa_float_denorm_mode_16_64 3
		.amdhsa_fp16_overflow 0
		.amdhsa_memory_ordered 1
		.amdhsa_forward_progress 1
		.amdhsa_inst_pref_size 0
		.amdhsa_round_robin_scheduling 0
		.amdhsa_exception_fp_ieee_invalid_op 0
		.amdhsa_exception_fp_denorm_src 0
		.amdhsa_exception_fp_ieee_div_zero 0
		.amdhsa_exception_fp_ieee_overflow 0
		.amdhsa_exception_fp_ieee_underflow 0
		.amdhsa_exception_fp_ieee_inexact 0
		.amdhsa_exception_int_div_zero 0
	.end_amdhsa_kernel
	.section	.text._ZN7rocprim17ROCPRIM_400000_NS6detail17trampoline_kernelINS0_14default_configENS1_25transform_config_selectorImLb1EEEZNS1_14transform_implILb1ES3_S5_PmS7_NS0_8identityImEEEE10hipError_tT2_T3_mT4_P12ihipStream_tbEUlT_E_NS1_11comp_targetILNS1_3genE2ELNS1_11target_archE906ELNS1_3gpuE6ELNS1_3repE0EEENS1_30default_config_static_selectorELNS0_4arch9wavefront6targetE0EEEvT1_,"axG",@progbits,_ZN7rocprim17ROCPRIM_400000_NS6detail17trampoline_kernelINS0_14default_configENS1_25transform_config_selectorImLb1EEEZNS1_14transform_implILb1ES3_S5_PmS7_NS0_8identityImEEEE10hipError_tT2_T3_mT4_P12ihipStream_tbEUlT_E_NS1_11comp_targetILNS1_3genE2ELNS1_11target_archE906ELNS1_3gpuE6ELNS1_3repE0EEENS1_30default_config_static_selectorELNS0_4arch9wavefront6targetE0EEEvT1_,comdat
.Lfunc_end2827:
	.size	_ZN7rocprim17ROCPRIM_400000_NS6detail17trampoline_kernelINS0_14default_configENS1_25transform_config_selectorImLb1EEEZNS1_14transform_implILb1ES3_S5_PmS7_NS0_8identityImEEEE10hipError_tT2_T3_mT4_P12ihipStream_tbEUlT_E_NS1_11comp_targetILNS1_3genE2ELNS1_11target_archE906ELNS1_3gpuE6ELNS1_3repE0EEENS1_30default_config_static_selectorELNS0_4arch9wavefront6targetE0EEEvT1_, .Lfunc_end2827-_ZN7rocprim17ROCPRIM_400000_NS6detail17trampoline_kernelINS0_14default_configENS1_25transform_config_selectorImLb1EEEZNS1_14transform_implILb1ES3_S5_PmS7_NS0_8identityImEEEE10hipError_tT2_T3_mT4_P12ihipStream_tbEUlT_E_NS1_11comp_targetILNS1_3genE2ELNS1_11target_archE906ELNS1_3gpuE6ELNS1_3repE0EEENS1_30default_config_static_selectorELNS0_4arch9wavefront6targetE0EEEvT1_
                                        ; -- End function
	.set _ZN7rocprim17ROCPRIM_400000_NS6detail17trampoline_kernelINS0_14default_configENS1_25transform_config_selectorImLb1EEEZNS1_14transform_implILb1ES3_S5_PmS7_NS0_8identityImEEEE10hipError_tT2_T3_mT4_P12ihipStream_tbEUlT_E_NS1_11comp_targetILNS1_3genE2ELNS1_11target_archE906ELNS1_3gpuE6ELNS1_3repE0EEENS1_30default_config_static_selectorELNS0_4arch9wavefront6targetE0EEEvT1_.num_vgpr, 0
	.set _ZN7rocprim17ROCPRIM_400000_NS6detail17trampoline_kernelINS0_14default_configENS1_25transform_config_selectorImLb1EEEZNS1_14transform_implILb1ES3_S5_PmS7_NS0_8identityImEEEE10hipError_tT2_T3_mT4_P12ihipStream_tbEUlT_E_NS1_11comp_targetILNS1_3genE2ELNS1_11target_archE906ELNS1_3gpuE6ELNS1_3repE0EEENS1_30default_config_static_selectorELNS0_4arch9wavefront6targetE0EEEvT1_.num_agpr, 0
	.set _ZN7rocprim17ROCPRIM_400000_NS6detail17trampoline_kernelINS0_14default_configENS1_25transform_config_selectorImLb1EEEZNS1_14transform_implILb1ES3_S5_PmS7_NS0_8identityImEEEE10hipError_tT2_T3_mT4_P12ihipStream_tbEUlT_E_NS1_11comp_targetILNS1_3genE2ELNS1_11target_archE906ELNS1_3gpuE6ELNS1_3repE0EEENS1_30default_config_static_selectorELNS0_4arch9wavefront6targetE0EEEvT1_.numbered_sgpr, 0
	.set _ZN7rocprim17ROCPRIM_400000_NS6detail17trampoline_kernelINS0_14default_configENS1_25transform_config_selectorImLb1EEEZNS1_14transform_implILb1ES3_S5_PmS7_NS0_8identityImEEEE10hipError_tT2_T3_mT4_P12ihipStream_tbEUlT_E_NS1_11comp_targetILNS1_3genE2ELNS1_11target_archE906ELNS1_3gpuE6ELNS1_3repE0EEENS1_30default_config_static_selectorELNS0_4arch9wavefront6targetE0EEEvT1_.num_named_barrier, 0
	.set _ZN7rocprim17ROCPRIM_400000_NS6detail17trampoline_kernelINS0_14default_configENS1_25transform_config_selectorImLb1EEEZNS1_14transform_implILb1ES3_S5_PmS7_NS0_8identityImEEEE10hipError_tT2_T3_mT4_P12ihipStream_tbEUlT_E_NS1_11comp_targetILNS1_3genE2ELNS1_11target_archE906ELNS1_3gpuE6ELNS1_3repE0EEENS1_30default_config_static_selectorELNS0_4arch9wavefront6targetE0EEEvT1_.private_seg_size, 0
	.set _ZN7rocprim17ROCPRIM_400000_NS6detail17trampoline_kernelINS0_14default_configENS1_25transform_config_selectorImLb1EEEZNS1_14transform_implILb1ES3_S5_PmS7_NS0_8identityImEEEE10hipError_tT2_T3_mT4_P12ihipStream_tbEUlT_E_NS1_11comp_targetILNS1_3genE2ELNS1_11target_archE906ELNS1_3gpuE6ELNS1_3repE0EEENS1_30default_config_static_selectorELNS0_4arch9wavefront6targetE0EEEvT1_.uses_vcc, 0
	.set _ZN7rocprim17ROCPRIM_400000_NS6detail17trampoline_kernelINS0_14default_configENS1_25transform_config_selectorImLb1EEEZNS1_14transform_implILb1ES3_S5_PmS7_NS0_8identityImEEEE10hipError_tT2_T3_mT4_P12ihipStream_tbEUlT_E_NS1_11comp_targetILNS1_3genE2ELNS1_11target_archE906ELNS1_3gpuE6ELNS1_3repE0EEENS1_30default_config_static_selectorELNS0_4arch9wavefront6targetE0EEEvT1_.uses_flat_scratch, 0
	.set _ZN7rocprim17ROCPRIM_400000_NS6detail17trampoline_kernelINS0_14default_configENS1_25transform_config_selectorImLb1EEEZNS1_14transform_implILb1ES3_S5_PmS7_NS0_8identityImEEEE10hipError_tT2_T3_mT4_P12ihipStream_tbEUlT_E_NS1_11comp_targetILNS1_3genE2ELNS1_11target_archE906ELNS1_3gpuE6ELNS1_3repE0EEENS1_30default_config_static_selectorELNS0_4arch9wavefront6targetE0EEEvT1_.has_dyn_sized_stack, 0
	.set _ZN7rocprim17ROCPRIM_400000_NS6detail17trampoline_kernelINS0_14default_configENS1_25transform_config_selectorImLb1EEEZNS1_14transform_implILb1ES3_S5_PmS7_NS0_8identityImEEEE10hipError_tT2_T3_mT4_P12ihipStream_tbEUlT_E_NS1_11comp_targetILNS1_3genE2ELNS1_11target_archE906ELNS1_3gpuE6ELNS1_3repE0EEENS1_30default_config_static_selectorELNS0_4arch9wavefront6targetE0EEEvT1_.has_recursion, 0
	.set _ZN7rocprim17ROCPRIM_400000_NS6detail17trampoline_kernelINS0_14default_configENS1_25transform_config_selectorImLb1EEEZNS1_14transform_implILb1ES3_S5_PmS7_NS0_8identityImEEEE10hipError_tT2_T3_mT4_P12ihipStream_tbEUlT_E_NS1_11comp_targetILNS1_3genE2ELNS1_11target_archE906ELNS1_3gpuE6ELNS1_3repE0EEENS1_30default_config_static_selectorELNS0_4arch9wavefront6targetE0EEEvT1_.has_indirect_call, 0
	.section	.AMDGPU.csdata,"",@progbits
; Kernel info:
; codeLenInByte = 0
; TotalNumSgprs: 0
; NumVgprs: 0
; ScratchSize: 0
; MemoryBound: 0
; FloatMode: 240
; IeeeMode: 1
; LDSByteSize: 0 bytes/workgroup (compile time only)
; SGPRBlocks: 0
; VGPRBlocks: 0
; NumSGPRsForWavesPerEU: 1
; NumVGPRsForWavesPerEU: 1
; NamedBarCnt: 0
; Occupancy: 16
; WaveLimiterHint : 0
; COMPUTE_PGM_RSRC2:SCRATCH_EN: 0
; COMPUTE_PGM_RSRC2:USER_SGPR: 2
; COMPUTE_PGM_RSRC2:TRAP_HANDLER: 0
; COMPUTE_PGM_RSRC2:TGID_X_EN: 1
; COMPUTE_PGM_RSRC2:TGID_Y_EN: 0
; COMPUTE_PGM_RSRC2:TGID_Z_EN: 0
; COMPUTE_PGM_RSRC2:TIDIG_COMP_CNT: 0
	.section	.text._ZN7rocprim17ROCPRIM_400000_NS6detail17trampoline_kernelINS0_14default_configENS1_25transform_config_selectorImLb1EEEZNS1_14transform_implILb1ES3_S5_PmS7_NS0_8identityImEEEE10hipError_tT2_T3_mT4_P12ihipStream_tbEUlT_E_NS1_11comp_targetILNS1_3genE9ELNS1_11target_archE1100ELNS1_3gpuE3ELNS1_3repE0EEENS1_30default_config_static_selectorELNS0_4arch9wavefront6targetE0EEEvT1_,"axG",@progbits,_ZN7rocprim17ROCPRIM_400000_NS6detail17trampoline_kernelINS0_14default_configENS1_25transform_config_selectorImLb1EEEZNS1_14transform_implILb1ES3_S5_PmS7_NS0_8identityImEEEE10hipError_tT2_T3_mT4_P12ihipStream_tbEUlT_E_NS1_11comp_targetILNS1_3genE9ELNS1_11target_archE1100ELNS1_3gpuE3ELNS1_3repE0EEENS1_30default_config_static_selectorELNS0_4arch9wavefront6targetE0EEEvT1_,comdat
	.protected	_ZN7rocprim17ROCPRIM_400000_NS6detail17trampoline_kernelINS0_14default_configENS1_25transform_config_selectorImLb1EEEZNS1_14transform_implILb1ES3_S5_PmS7_NS0_8identityImEEEE10hipError_tT2_T3_mT4_P12ihipStream_tbEUlT_E_NS1_11comp_targetILNS1_3genE9ELNS1_11target_archE1100ELNS1_3gpuE3ELNS1_3repE0EEENS1_30default_config_static_selectorELNS0_4arch9wavefront6targetE0EEEvT1_ ; -- Begin function _ZN7rocprim17ROCPRIM_400000_NS6detail17trampoline_kernelINS0_14default_configENS1_25transform_config_selectorImLb1EEEZNS1_14transform_implILb1ES3_S5_PmS7_NS0_8identityImEEEE10hipError_tT2_T3_mT4_P12ihipStream_tbEUlT_E_NS1_11comp_targetILNS1_3genE9ELNS1_11target_archE1100ELNS1_3gpuE3ELNS1_3repE0EEENS1_30default_config_static_selectorELNS0_4arch9wavefront6targetE0EEEvT1_
	.globl	_ZN7rocprim17ROCPRIM_400000_NS6detail17trampoline_kernelINS0_14default_configENS1_25transform_config_selectorImLb1EEEZNS1_14transform_implILb1ES3_S5_PmS7_NS0_8identityImEEEE10hipError_tT2_T3_mT4_P12ihipStream_tbEUlT_E_NS1_11comp_targetILNS1_3genE9ELNS1_11target_archE1100ELNS1_3gpuE3ELNS1_3repE0EEENS1_30default_config_static_selectorELNS0_4arch9wavefront6targetE0EEEvT1_
	.p2align	8
	.type	_ZN7rocprim17ROCPRIM_400000_NS6detail17trampoline_kernelINS0_14default_configENS1_25transform_config_selectorImLb1EEEZNS1_14transform_implILb1ES3_S5_PmS7_NS0_8identityImEEEE10hipError_tT2_T3_mT4_P12ihipStream_tbEUlT_E_NS1_11comp_targetILNS1_3genE9ELNS1_11target_archE1100ELNS1_3gpuE3ELNS1_3repE0EEENS1_30default_config_static_selectorELNS0_4arch9wavefront6targetE0EEEvT1_,@function
_ZN7rocprim17ROCPRIM_400000_NS6detail17trampoline_kernelINS0_14default_configENS1_25transform_config_selectorImLb1EEEZNS1_14transform_implILb1ES3_S5_PmS7_NS0_8identityImEEEE10hipError_tT2_T3_mT4_P12ihipStream_tbEUlT_E_NS1_11comp_targetILNS1_3genE9ELNS1_11target_archE1100ELNS1_3gpuE3ELNS1_3repE0EEENS1_30default_config_static_selectorELNS0_4arch9wavefront6targetE0EEEvT1_: ; @_ZN7rocprim17ROCPRIM_400000_NS6detail17trampoline_kernelINS0_14default_configENS1_25transform_config_selectorImLb1EEEZNS1_14transform_implILb1ES3_S5_PmS7_NS0_8identityImEEEE10hipError_tT2_T3_mT4_P12ihipStream_tbEUlT_E_NS1_11comp_targetILNS1_3genE9ELNS1_11target_archE1100ELNS1_3gpuE3ELNS1_3repE0EEENS1_30default_config_static_selectorELNS0_4arch9wavefront6targetE0EEEvT1_
; %bb.0:
	.section	.rodata,"a",@progbits
	.p2align	6, 0x0
	.amdhsa_kernel _ZN7rocprim17ROCPRIM_400000_NS6detail17trampoline_kernelINS0_14default_configENS1_25transform_config_selectorImLb1EEEZNS1_14transform_implILb1ES3_S5_PmS7_NS0_8identityImEEEE10hipError_tT2_T3_mT4_P12ihipStream_tbEUlT_E_NS1_11comp_targetILNS1_3genE9ELNS1_11target_archE1100ELNS1_3gpuE3ELNS1_3repE0EEENS1_30default_config_static_selectorELNS0_4arch9wavefront6targetE0EEEvT1_
		.amdhsa_group_segment_fixed_size 0
		.amdhsa_private_segment_fixed_size 0
		.amdhsa_kernarg_size 40
		.amdhsa_user_sgpr_count 2
		.amdhsa_user_sgpr_dispatch_ptr 0
		.amdhsa_user_sgpr_queue_ptr 0
		.amdhsa_user_sgpr_kernarg_segment_ptr 1
		.amdhsa_user_sgpr_dispatch_id 0
		.amdhsa_user_sgpr_kernarg_preload_length 0
		.amdhsa_user_sgpr_kernarg_preload_offset 0
		.amdhsa_user_sgpr_private_segment_size 0
		.amdhsa_wavefront_size32 1
		.amdhsa_uses_dynamic_stack 0
		.amdhsa_enable_private_segment 0
		.amdhsa_system_sgpr_workgroup_id_x 1
		.amdhsa_system_sgpr_workgroup_id_y 0
		.amdhsa_system_sgpr_workgroup_id_z 0
		.amdhsa_system_sgpr_workgroup_info 0
		.amdhsa_system_vgpr_workitem_id 0
		.amdhsa_next_free_vgpr 1
		.amdhsa_next_free_sgpr 1
		.amdhsa_named_barrier_count 0
		.amdhsa_reserve_vcc 0
		.amdhsa_float_round_mode_32 0
		.amdhsa_float_round_mode_16_64 0
		.amdhsa_float_denorm_mode_32 3
		.amdhsa_float_denorm_mode_16_64 3
		.amdhsa_fp16_overflow 0
		.amdhsa_memory_ordered 1
		.amdhsa_forward_progress 1
		.amdhsa_inst_pref_size 0
		.amdhsa_round_robin_scheduling 0
		.amdhsa_exception_fp_ieee_invalid_op 0
		.amdhsa_exception_fp_denorm_src 0
		.amdhsa_exception_fp_ieee_div_zero 0
		.amdhsa_exception_fp_ieee_overflow 0
		.amdhsa_exception_fp_ieee_underflow 0
		.amdhsa_exception_fp_ieee_inexact 0
		.amdhsa_exception_int_div_zero 0
	.end_amdhsa_kernel
	.section	.text._ZN7rocprim17ROCPRIM_400000_NS6detail17trampoline_kernelINS0_14default_configENS1_25transform_config_selectorImLb1EEEZNS1_14transform_implILb1ES3_S5_PmS7_NS0_8identityImEEEE10hipError_tT2_T3_mT4_P12ihipStream_tbEUlT_E_NS1_11comp_targetILNS1_3genE9ELNS1_11target_archE1100ELNS1_3gpuE3ELNS1_3repE0EEENS1_30default_config_static_selectorELNS0_4arch9wavefront6targetE0EEEvT1_,"axG",@progbits,_ZN7rocprim17ROCPRIM_400000_NS6detail17trampoline_kernelINS0_14default_configENS1_25transform_config_selectorImLb1EEEZNS1_14transform_implILb1ES3_S5_PmS7_NS0_8identityImEEEE10hipError_tT2_T3_mT4_P12ihipStream_tbEUlT_E_NS1_11comp_targetILNS1_3genE9ELNS1_11target_archE1100ELNS1_3gpuE3ELNS1_3repE0EEENS1_30default_config_static_selectorELNS0_4arch9wavefront6targetE0EEEvT1_,comdat
.Lfunc_end2828:
	.size	_ZN7rocprim17ROCPRIM_400000_NS6detail17trampoline_kernelINS0_14default_configENS1_25transform_config_selectorImLb1EEEZNS1_14transform_implILb1ES3_S5_PmS7_NS0_8identityImEEEE10hipError_tT2_T3_mT4_P12ihipStream_tbEUlT_E_NS1_11comp_targetILNS1_3genE9ELNS1_11target_archE1100ELNS1_3gpuE3ELNS1_3repE0EEENS1_30default_config_static_selectorELNS0_4arch9wavefront6targetE0EEEvT1_, .Lfunc_end2828-_ZN7rocprim17ROCPRIM_400000_NS6detail17trampoline_kernelINS0_14default_configENS1_25transform_config_selectorImLb1EEEZNS1_14transform_implILb1ES3_S5_PmS7_NS0_8identityImEEEE10hipError_tT2_T3_mT4_P12ihipStream_tbEUlT_E_NS1_11comp_targetILNS1_3genE9ELNS1_11target_archE1100ELNS1_3gpuE3ELNS1_3repE0EEENS1_30default_config_static_selectorELNS0_4arch9wavefront6targetE0EEEvT1_
                                        ; -- End function
	.set _ZN7rocprim17ROCPRIM_400000_NS6detail17trampoline_kernelINS0_14default_configENS1_25transform_config_selectorImLb1EEEZNS1_14transform_implILb1ES3_S5_PmS7_NS0_8identityImEEEE10hipError_tT2_T3_mT4_P12ihipStream_tbEUlT_E_NS1_11comp_targetILNS1_3genE9ELNS1_11target_archE1100ELNS1_3gpuE3ELNS1_3repE0EEENS1_30default_config_static_selectorELNS0_4arch9wavefront6targetE0EEEvT1_.num_vgpr, 0
	.set _ZN7rocprim17ROCPRIM_400000_NS6detail17trampoline_kernelINS0_14default_configENS1_25transform_config_selectorImLb1EEEZNS1_14transform_implILb1ES3_S5_PmS7_NS0_8identityImEEEE10hipError_tT2_T3_mT4_P12ihipStream_tbEUlT_E_NS1_11comp_targetILNS1_3genE9ELNS1_11target_archE1100ELNS1_3gpuE3ELNS1_3repE0EEENS1_30default_config_static_selectorELNS0_4arch9wavefront6targetE0EEEvT1_.num_agpr, 0
	.set _ZN7rocprim17ROCPRIM_400000_NS6detail17trampoline_kernelINS0_14default_configENS1_25transform_config_selectorImLb1EEEZNS1_14transform_implILb1ES3_S5_PmS7_NS0_8identityImEEEE10hipError_tT2_T3_mT4_P12ihipStream_tbEUlT_E_NS1_11comp_targetILNS1_3genE9ELNS1_11target_archE1100ELNS1_3gpuE3ELNS1_3repE0EEENS1_30default_config_static_selectorELNS0_4arch9wavefront6targetE0EEEvT1_.numbered_sgpr, 0
	.set _ZN7rocprim17ROCPRIM_400000_NS6detail17trampoline_kernelINS0_14default_configENS1_25transform_config_selectorImLb1EEEZNS1_14transform_implILb1ES3_S5_PmS7_NS0_8identityImEEEE10hipError_tT2_T3_mT4_P12ihipStream_tbEUlT_E_NS1_11comp_targetILNS1_3genE9ELNS1_11target_archE1100ELNS1_3gpuE3ELNS1_3repE0EEENS1_30default_config_static_selectorELNS0_4arch9wavefront6targetE0EEEvT1_.num_named_barrier, 0
	.set _ZN7rocprim17ROCPRIM_400000_NS6detail17trampoline_kernelINS0_14default_configENS1_25transform_config_selectorImLb1EEEZNS1_14transform_implILb1ES3_S5_PmS7_NS0_8identityImEEEE10hipError_tT2_T3_mT4_P12ihipStream_tbEUlT_E_NS1_11comp_targetILNS1_3genE9ELNS1_11target_archE1100ELNS1_3gpuE3ELNS1_3repE0EEENS1_30default_config_static_selectorELNS0_4arch9wavefront6targetE0EEEvT1_.private_seg_size, 0
	.set _ZN7rocprim17ROCPRIM_400000_NS6detail17trampoline_kernelINS0_14default_configENS1_25transform_config_selectorImLb1EEEZNS1_14transform_implILb1ES3_S5_PmS7_NS0_8identityImEEEE10hipError_tT2_T3_mT4_P12ihipStream_tbEUlT_E_NS1_11comp_targetILNS1_3genE9ELNS1_11target_archE1100ELNS1_3gpuE3ELNS1_3repE0EEENS1_30default_config_static_selectorELNS0_4arch9wavefront6targetE0EEEvT1_.uses_vcc, 0
	.set _ZN7rocprim17ROCPRIM_400000_NS6detail17trampoline_kernelINS0_14default_configENS1_25transform_config_selectorImLb1EEEZNS1_14transform_implILb1ES3_S5_PmS7_NS0_8identityImEEEE10hipError_tT2_T3_mT4_P12ihipStream_tbEUlT_E_NS1_11comp_targetILNS1_3genE9ELNS1_11target_archE1100ELNS1_3gpuE3ELNS1_3repE0EEENS1_30default_config_static_selectorELNS0_4arch9wavefront6targetE0EEEvT1_.uses_flat_scratch, 0
	.set _ZN7rocprim17ROCPRIM_400000_NS6detail17trampoline_kernelINS0_14default_configENS1_25transform_config_selectorImLb1EEEZNS1_14transform_implILb1ES3_S5_PmS7_NS0_8identityImEEEE10hipError_tT2_T3_mT4_P12ihipStream_tbEUlT_E_NS1_11comp_targetILNS1_3genE9ELNS1_11target_archE1100ELNS1_3gpuE3ELNS1_3repE0EEENS1_30default_config_static_selectorELNS0_4arch9wavefront6targetE0EEEvT1_.has_dyn_sized_stack, 0
	.set _ZN7rocprim17ROCPRIM_400000_NS6detail17trampoline_kernelINS0_14default_configENS1_25transform_config_selectorImLb1EEEZNS1_14transform_implILb1ES3_S5_PmS7_NS0_8identityImEEEE10hipError_tT2_T3_mT4_P12ihipStream_tbEUlT_E_NS1_11comp_targetILNS1_3genE9ELNS1_11target_archE1100ELNS1_3gpuE3ELNS1_3repE0EEENS1_30default_config_static_selectorELNS0_4arch9wavefront6targetE0EEEvT1_.has_recursion, 0
	.set _ZN7rocprim17ROCPRIM_400000_NS6detail17trampoline_kernelINS0_14default_configENS1_25transform_config_selectorImLb1EEEZNS1_14transform_implILb1ES3_S5_PmS7_NS0_8identityImEEEE10hipError_tT2_T3_mT4_P12ihipStream_tbEUlT_E_NS1_11comp_targetILNS1_3genE9ELNS1_11target_archE1100ELNS1_3gpuE3ELNS1_3repE0EEENS1_30default_config_static_selectorELNS0_4arch9wavefront6targetE0EEEvT1_.has_indirect_call, 0
	.section	.AMDGPU.csdata,"",@progbits
; Kernel info:
; codeLenInByte = 0
; TotalNumSgprs: 0
; NumVgprs: 0
; ScratchSize: 0
; MemoryBound: 0
; FloatMode: 240
; IeeeMode: 1
; LDSByteSize: 0 bytes/workgroup (compile time only)
; SGPRBlocks: 0
; VGPRBlocks: 0
; NumSGPRsForWavesPerEU: 1
; NumVGPRsForWavesPerEU: 1
; NamedBarCnt: 0
; Occupancy: 16
; WaveLimiterHint : 0
; COMPUTE_PGM_RSRC2:SCRATCH_EN: 0
; COMPUTE_PGM_RSRC2:USER_SGPR: 2
; COMPUTE_PGM_RSRC2:TRAP_HANDLER: 0
; COMPUTE_PGM_RSRC2:TGID_X_EN: 1
; COMPUTE_PGM_RSRC2:TGID_Y_EN: 0
; COMPUTE_PGM_RSRC2:TGID_Z_EN: 0
; COMPUTE_PGM_RSRC2:TIDIG_COMP_CNT: 0
	.section	.text._ZN7rocprim17ROCPRIM_400000_NS6detail17trampoline_kernelINS0_14default_configENS1_25transform_config_selectorImLb1EEEZNS1_14transform_implILb1ES3_S5_PmS7_NS0_8identityImEEEE10hipError_tT2_T3_mT4_P12ihipStream_tbEUlT_E_NS1_11comp_targetILNS1_3genE8ELNS1_11target_archE1030ELNS1_3gpuE2ELNS1_3repE0EEENS1_30default_config_static_selectorELNS0_4arch9wavefront6targetE0EEEvT1_,"axG",@progbits,_ZN7rocprim17ROCPRIM_400000_NS6detail17trampoline_kernelINS0_14default_configENS1_25transform_config_selectorImLb1EEEZNS1_14transform_implILb1ES3_S5_PmS7_NS0_8identityImEEEE10hipError_tT2_T3_mT4_P12ihipStream_tbEUlT_E_NS1_11comp_targetILNS1_3genE8ELNS1_11target_archE1030ELNS1_3gpuE2ELNS1_3repE0EEENS1_30default_config_static_selectorELNS0_4arch9wavefront6targetE0EEEvT1_,comdat
	.protected	_ZN7rocprim17ROCPRIM_400000_NS6detail17trampoline_kernelINS0_14default_configENS1_25transform_config_selectorImLb1EEEZNS1_14transform_implILb1ES3_S5_PmS7_NS0_8identityImEEEE10hipError_tT2_T3_mT4_P12ihipStream_tbEUlT_E_NS1_11comp_targetILNS1_3genE8ELNS1_11target_archE1030ELNS1_3gpuE2ELNS1_3repE0EEENS1_30default_config_static_selectorELNS0_4arch9wavefront6targetE0EEEvT1_ ; -- Begin function _ZN7rocprim17ROCPRIM_400000_NS6detail17trampoline_kernelINS0_14default_configENS1_25transform_config_selectorImLb1EEEZNS1_14transform_implILb1ES3_S5_PmS7_NS0_8identityImEEEE10hipError_tT2_T3_mT4_P12ihipStream_tbEUlT_E_NS1_11comp_targetILNS1_3genE8ELNS1_11target_archE1030ELNS1_3gpuE2ELNS1_3repE0EEENS1_30default_config_static_selectorELNS0_4arch9wavefront6targetE0EEEvT1_
	.globl	_ZN7rocprim17ROCPRIM_400000_NS6detail17trampoline_kernelINS0_14default_configENS1_25transform_config_selectorImLb1EEEZNS1_14transform_implILb1ES3_S5_PmS7_NS0_8identityImEEEE10hipError_tT2_T3_mT4_P12ihipStream_tbEUlT_E_NS1_11comp_targetILNS1_3genE8ELNS1_11target_archE1030ELNS1_3gpuE2ELNS1_3repE0EEENS1_30default_config_static_selectorELNS0_4arch9wavefront6targetE0EEEvT1_
	.p2align	8
	.type	_ZN7rocprim17ROCPRIM_400000_NS6detail17trampoline_kernelINS0_14default_configENS1_25transform_config_selectorImLb1EEEZNS1_14transform_implILb1ES3_S5_PmS7_NS0_8identityImEEEE10hipError_tT2_T3_mT4_P12ihipStream_tbEUlT_E_NS1_11comp_targetILNS1_3genE8ELNS1_11target_archE1030ELNS1_3gpuE2ELNS1_3repE0EEENS1_30default_config_static_selectorELNS0_4arch9wavefront6targetE0EEEvT1_,@function
_ZN7rocprim17ROCPRIM_400000_NS6detail17trampoline_kernelINS0_14default_configENS1_25transform_config_selectorImLb1EEEZNS1_14transform_implILb1ES3_S5_PmS7_NS0_8identityImEEEE10hipError_tT2_T3_mT4_P12ihipStream_tbEUlT_E_NS1_11comp_targetILNS1_3genE8ELNS1_11target_archE1030ELNS1_3gpuE2ELNS1_3repE0EEENS1_30default_config_static_selectorELNS0_4arch9wavefront6targetE0EEEvT1_: ; @_ZN7rocprim17ROCPRIM_400000_NS6detail17trampoline_kernelINS0_14default_configENS1_25transform_config_selectorImLb1EEEZNS1_14transform_implILb1ES3_S5_PmS7_NS0_8identityImEEEE10hipError_tT2_T3_mT4_P12ihipStream_tbEUlT_E_NS1_11comp_targetILNS1_3genE8ELNS1_11target_archE1030ELNS1_3gpuE2ELNS1_3repE0EEENS1_30default_config_static_selectorELNS0_4arch9wavefront6targetE0EEEvT1_
; %bb.0:
	.section	.rodata,"a",@progbits
	.p2align	6, 0x0
	.amdhsa_kernel _ZN7rocprim17ROCPRIM_400000_NS6detail17trampoline_kernelINS0_14default_configENS1_25transform_config_selectorImLb1EEEZNS1_14transform_implILb1ES3_S5_PmS7_NS0_8identityImEEEE10hipError_tT2_T3_mT4_P12ihipStream_tbEUlT_E_NS1_11comp_targetILNS1_3genE8ELNS1_11target_archE1030ELNS1_3gpuE2ELNS1_3repE0EEENS1_30default_config_static_selectorELNS0_4arch9wavefront6targetE0EEEvT1_
		.amdhsa_group_segment_fixed_size 0
		.amdhsa_private_segment_fixed_size 0
		.amdhsa_kernarg_size 40
		.amdhsa_user_sgpr_count 2
		.amdhsa_user_sgpr_dispatch_ptr 0
		.amdhsa_user_sgpr_queue_ptr 0
		.amdhsa_user_sgpr_kernarg_segment_ptr 1
		.amdhsa_user_sgpr_dispatch_id 0
		.amdhsa_user_sgpr_kernarg_preload_length 0
		.amdhsa_user_sgpr_kernarg_preload_offset 0
		.amdhsa_user_sgpr_private_segment_size 0
		.amdhsa_wavefront_size32 1
		.amdhsa_uses_dynamic_stack 0
		.amdhsa_enable_private_segment 0
		.amdhsa_system_sgpr_workgroup_id_x 1
		.amdhsa_system_sgpr_workgroup_id_y 0
		.amdhsa_system_sgpr_workgroup_id_z 0
		.amdhsa_system_sgpr_workgroup_info 0
		.amdhsa_system_vgpr_workitem_id 0
		.amdhsa_next_free_vgpr 1
		.amdhsa_next_free_sgpr 1
		.amdhsa_named_barrier_count 0
		.amdhsa_reserve_vcc 0
		.amdhsa_float_round_mode_32 0
		.amdhsa_float_round_mode_16_64 0
		.amdhsa_float_denorm_mode_32 3
		.amdhsa_float_denorm_mode_16_64 3
		.amdhsa_fp16_overflow 0
		.amdhsa_memory_ordered 1
		.amdhsa_forward_progress 1
		.amdhsa_inst_pref_size 0
		.amdhsa_round_robin_scheduling 0
		.amdhsa_exception_fp_ieee_invalid_op 0
		.amdhsa_exception_fp_denorm_src 0
		.amdhsa_exception_fp_ieee_div_zero 0
		.amdhsa_exception_fp_ieee_overflow 0
		.amdhsa_exception_fp_ieee_underflow 0
		.amdhsa_exception_fp_ieee_inexact 0
		.amdhsa_exception_int_div_zero 0
	.end_amdhsa_kernel
	.section	.text._ZN7rocprim17ROCPRIM_400000_NS6detail17trampoline_kernelINS0_14default_configENS1_25transform_config_selectorImLb1EEEZNS1_14transform_implILb1ES3_S5_PmS7_NS0_8identityImEEEE10hipError_tT2_T3_mT4_P12ihipStream_tbEUlT_E_NS1_11comp_targetILNS1_3genE8ELNS1_11target_archE1030ELNS1_3gpuE2ELNS1_3repE0EEENS1_30default_config_static_selectorELNS0_4arch9wavefront6targetE0EEEvT1_,"axG",@progbits,_ZN7rocprim17ROCPRIM_400000_NS6detail17trampoline_kernelINS0_14default_configENS1_25transform_config_selectorImLb1EEEZNS1_14transform_implILb1ES3_S5_PmS7_NS0_8identityImEEEE10hipError_tT2_T3_mT4_P12ihipStream_tbEUlT_E_NS1_11comp_targetILNS1_3genE8ELNS1_11target_archE1030ELNS1_3gpuE2ELNS1_3repE0EEENS1_30default_config_static_selectorELNS0_4arch9wavefront6targetE0EEEvT1_,comdat
.Lfunc_end2829:
	.size	_ZN7rocprim17ROCPRIM_400000_NS6detail17trampoline_kernelINS0_14default_configENS1_25transform_config_selectorImLb1EEEZNS1_14transform_implILb1ES3_S5_PmS7_NS0_8identityImEEEE10hipError_tT2_T3_mT4_P12ihipStream_tbEUlT_E_NS1_11comp_targetILNS1_3genE8ELNS1_11target_archE1030ELNS1_3gpuE2ELNS1_3repE0EEENS1_30default_config_static_selectorELNS0_4arch9wavefront6targetE0EEEvT1_, .Lfunc_end2829-_ZN7rocprim17ROCPRIM_400000_NS6detail17trampoline_kernelINS0_14default_configENS1_25transform_config_selectorImLb1EEEZNS1_14transform_implILb1ES3_S5_PmS7_NS0_8identityImEEEE10hipError_tT2_T3_mT4_P12ihipStream_tbEUlT_E_NS1_11comp_targetILNS1_3genE8ELNS1_11target_archE1030ELNS1_3gpuE2ELNS1_3repE0EEENS1_30default_config_static_selectorELNS0_4arch9wavefront6targetE0EEEvT1_
                                        ; -- End function
	.set _ZN7rocprim17ROCPRIM_400000_NS6detail17trampoline_kernelINS0_14default_configENS1_25transform_config_selectorImLb1EEEZNS1_14transform_implILb1ES3_S5_PmS7_NS0_8identityImEEEE10hipError_tT2_T3_mT4_P12ihipStream_tbEUlT_E_NS1_11comp_targetILNS1_3genE8ELNS1_11target_archE1030ELNS1_3gpuE2ELNS1_3repE0EEENS1_30default_config_static_selectorELNS0_4arch9wavefront6targetE0EEEvT1_.num_vgpr, 0
	.set _ZN7rocprim17ROCPRIM_400000_NS6detail17trampoline_kernelINS0_14default_configENS1_25transform_config_selectorImLb1EEEZNS1_14transform_implILb1ES3_S5_PmS7_NS0_8identityImEEEE10hipError_tT2_T3_mT4_P12ihipStream_tbEUlT_E_NS1_11comp_targetILNS1_3genE8ELNS1_11target_archE1030ELNS1_3gpuE2ELNS1_3repE0EEENS1_30default_config_static_selectorELNS0_4arch9wavefront6targetE0EEEvT1_.num_agpr, 0
	.set _ZN7rocprim17ROCPRIM_400000_NS6detail17trampoline_kernelINS0_14default_configENS1_25transform_config_selectorImLb1EEEZNS1_14transform_implILb1ES3_S5_PmS7_NS0_8identityImEEEE10hipError_tT2_T3_mT4_P12ihipStream_tbEUlT_E_NS1_11comp_targetILNS1_3genE8ELNS1_11target_archE1030ELNS1_3gpuE2ELNS1_3repE0EEENS1_30default_config_static_selectorELNS0_4arch9wavefront6targetE0EEEvT1_.numbered_sgpr, 0
	.set _ZN7rocprim17ROCPRIM_400000_NS6detail17trampoline_kernelINS0_14default_configENS1_25transform_config_selectorImLb1EEEZNS1_14transform_implILb1ES3_S5_PmS7_NS0_8identityImEEEE10hipError_tT2_T3_mT4_P12ihipStream_tbEUlT_E_NS1_11comp_targetILNS1_3genE8ELNS1_11target_archE1030ELNS1_3gpuE2ELNS1_3repE0EEENS1_30default_config_static_selectorELNS0_4arch9wavefront6targetE0EEEvT1_.num_named_barrier, 0
	.set _ZN7rocprim17ROCPRIM_400000_NS6detail17trampoline_kernelINS0_14default_configENS1_25transform_config_selectorImLb1EEEZNS1_14transform_implILb1ES3_S5_PmS7_NS0_8identityImEEEE10hipError_tT2_T3_mT4_P12ihipStream_tbEUlT_E_NS1_11comp_targetILNS1_3genE8ELNS1_11target_archE1030ELNS1_3gpuE2ELNS1_3repE0EEENS1_30default_config_static_selectorELNS0_4arch9wavefront6targetE0EEEvT1_.private_seg_size, 0
	.set _ZN7rocprim17ROCPRIM_400000_NS6detail17trampoline_kernelINS0_14default_configENS1_25transform_config_selectorImLb1EEEZNS1_14transform_implILb1ES3_S5_PmS7_NS0_8identityImEEEE10hipError_tT2_T3_mT4_P12ihipStream_tbEUlT_E_NS1_11comp_targetILNS1_3genE8ELNS1_11target_archE1030ELNS1_3gpuE2ELNS1_3repE0EEENS1_30default_config_static_selectorELNS0_4arch9wavefront6targetE0EEEvT1_.uses_vcc, 0
	.set _ZN7rocprim17ROCPRIM_400000_NS6detail17trampoline_kernelINS0_14default_configENS1_25transform_config_selectorImLb1EEEZNS1_14transform_implILb1ES3_S5_PmS7_NS0_8identityImEEEE10hipError_tT2_T3_mT4_P12ihipStream_tbEUlT_E_NS1_11comp_targetILNS1_3genE8ELNS1_11target_archE1030ELNS1_3gpuE2ELNS1_3repE0EEENS1_30default_config_static_selectorELNS0_4arch9wavefront6targetE0EEEvT1_.uses_flat_scratch, 0
	.set _ZN7rocprim17ROCPRIM_400000_NS6detail17trampoline_kernelINS0_14default_configENS1_25transform_config_selectorImLb1EEEZNS1_14transform_implILb1ES3_S5_PmS7_NS0_8identityImEEEE10hipError_tT2_T3_mT4_P12ihipStream_tbEUlT_E_NS1_11comp_targetILNS1_3genE8ELNS1_11target_archE1030ELNS1_3gpuE2ELNS1_3repE0EEENS1_30default_config_static_selectorELNS0_4arch9wavefront6targetE0EEEvT1_.has_dyn_sized_stack, 0
	.set _ZN7rocprim17ROCPRIM_400000_NS6detail17trampoline_kernelINS0_14default_configENS1_25transform_config_selectorImLb1EEEZNS1_14transform_implILb1ES3_S5_PmS7_NS0_8identityImEEEE10hipError_tT2_T3_mT4_P12ihipStream_tbEUlT_E_NS1_11comp_targetILNS1_3genE8ELNS1_11target_archE1030ELNS1_3gpuE2ELNS1_3repE0EEENS1_30default_config_static_selectorELNS0_4arch9wavefront6targetE0EEEvT1_.has_recursion, 0
	.set _ZN7rocprim17ROCPRIM_400000_NS6detail17trampoline_kernelINS0_14default_configENS1_25transform_config_selectorImLb1EEEZNS1_14transform_implILb1ES3_S5_PmS7_NS0_8identityImEEEE10hipError_tT2_T3_mT4_P12ihipStream_tbEUlT_E_NS1_11comp_targetILNS1_3genE8ELNS1_11target_archE1030ELNS1_3gpuE2ELNS1_3repE0EEENS1_30default_config_static_selectorELNS0_4arch9wavefront6targetE0EEEvT1_.has_indirect_call, 0
	.section	.AMDGPU.csdata,"",@progbits
; Kernel info:
; codeLenInByte = 0
; TotalNumSgprs: 0
; NumVgprs: 0
; ScratchSize: 0
; MemoryBound: 0
; FloatMode: 240
; IeeeMode: 1
; LDSByteSize: 0 bytes/workgroup (compile time only)
; SGPRBlocks: 0
; VGPRBlocks: 0
; NumSGPRsForWavesPerEU: 1
; NumVGPRsForWavesPerEU: 1
; NamedBarCnt: 0
; Occupancy: 16
; WaveLimiterHint : 0
; COMPUTE_PGM_RSRC2:SCRATCH_EN: 0
; COMPUTE_PGM_RSRC2:USER_SGPR: 2
; COMPUTE_PGM_RSRC2:TRAP_HANDLER: 0
; COMPUTE_PGM_RSRC2:TGID_X_EN: 1
; COMPUTE_PGM_RSRC2:TGID_Y_EN: 0
; COMPUTE_PGM_RSRC2:TGID_Z_EN: 0
; COMPUTE_PGM_RSRC2:TIDIG_COMP_CNT: 0
	.section	.text._ZN7rocprim17ROCPRIM_400000_NS6detail17trampoline_kernelINS0_14default_configENS1_38merge_sort_block_merge_config_selectorImNS0_10empty_typeEEEZZNS1_27merge_sort_block_merge_implIS3_PmPS5_jNS1_19radix_merge_compareILb1ELb1EmNS0_19identity_decomposerEEEEE10hipError_tT0_T1_T2_jT3_P12ihipStream_tbPNSt15iterator_traitsISE_E10value_typeEPNSK_ISF_E10value_typeEPSG_NS1_7vsmem_tEENKUlT_SE_SF_SG_E_clIS8_S8_S9_S9_EESD_ST_SE_SF_SG_EUlST_E_NS1_11comp_targetILNS1_3genE0ELNS1_11target_archE4294967295ELNS1_3gpuE0ELNS1_3repE0EEENS1_48merge_mergepath_partition_config_static_selectorELNS0_4arch9wavefront6targetE0EEEvSF_,"axG",@progbits,_ZN7rocprim17ROCPRIM_400000_NS6detail17trampoline_kernelINS0_14default_configENS1_38merge_sort_block_merge_config_selectorImNS0_10empty_typeEEEZZNS1_27merge_sort_block_merge_implIS3_PmPS5_jNS1_19radix_merge_compareILb1ELb1EmNS0_19identity_decomposerEEEEE10hipError_tT0_T1_T2_jT3_P12ihipStream_tbPNSt15iterator_traitsISE_E10value_typeEPNSK_ISF_E10value_typeEPSG_NS1_7vsmem_tEENKUlT_SE_SF_SG_E_clIS8_S8_S9_S9_EESD_ST_SE_SF_SG_EUlST_E_NS1_11comp_targetILNS1_3genE0ELNS1_11target_archE4294967295ELNS1_3gpuE0ELNS1_3repE0EEENS1_48merge_mergepath_partition_config_static_selectorELNS0_4arch9wavefront6targetE0EEEvSF_,comdat
	.protected	_ZN7rocprim17ROCPRIM_400000_NS6detail17trampoline_kernelINS0_14default_configENS1_38merge_sort_block_merge_config_selectorImNS0_10empty_typeEEEZZNS1_27merge_sort_block_merge_implIS3_PmPS5_jNS1_19radix_merge_compareILb1ELb1EmNS0_19identity_decomposerEEEEE10hipError_tT0_T1_T2_jT3_P12ihipStream_tbPNSt15iterator_traitsISE_E10value_typeEPNSK_ISF_E10value_typeEPSG_NS1_7vsmem_tEENKUlT_SE_SF_SG_E_clIS8_S8_S9_S9_EESD_ST_SE_SF_SG_EUlST_E_NS1_11comp_targetILNS1_3genE0ELNS1_11target_archE4294967295ELNS1_3gpuE0ELNS1_3repE0EEENS1_48merge_mergepath_partition_config_static_selectorELNS0_4arch9wavefront6targetE0EEEvSF_ ; -- Begin function _ZN7rocprim17ROCPRIM_400000_NS6detail17trampoline_kernelINS0_14default_configENS1_38merge_sort_block_merge_config_selectorImNS0_10empty_typeEEEZZNS1_27merge_sort_block_merge_implIS3_PmPS5_jNS1_19radix_merge_compareILb1ELb1EmNS0_19identity_decomposerEEEEE10hipError_tT0_T1_T2_jT3_P12ihipStream_tbPNSt15iterator_traitsISE_E10value_typeEPNSK_ISF_E10value_typeEPSG_NS1_7vsmem_tEENKUlT_SE_SF_SG_E_clIS8_S8_S9_S9_EESD_ST_SE_SF_SG_EUlST_E_NS1_11comp_targetILNS1_3genE0ELNS1_11target_archE4294967295ELNS1_3gpuE0ELNS1_3repE0EEENS1_48merge_mergepath_partition_config_static_selectorELNS0_4arch9wavefront6targetE0EEEvSF_
	.globl	_ZN7rocprim17ROCPRIM_400000_NS6detail17trampoline_kernelINS0_14default_configENS1_38merge_sort_block_merge_config_selectorImNS0_10empty_typeEEEZZNS1_27merge_sort_block_merge_implIS3_PmPS5_jNS1_19radix_merge_compareILb1ELb1EmNS0_19identity_decomposerEEEEE10hipError_tT0_T1_T2_jT3_P12ihipStream_tbPNSt15iterator_traitsISE_E10value_typeEPNSK_ISF_E10value_typeEPSG_NS1_7vsmem_tEENKUlT_SE_SF_SG_E_clIS8_S8_S9_S9_EESD_ST_SE_SF_SG_EUlST_E_NS1_11comp_targetILNS1_3genE0ELNS1_11target_archE4294967295ELNS1_3gpuE0ELNS1_3repE0EEENS1_48merge_mergepath_partition_config_static_selectorELNS0_4arch9wavefront6targetE0EEEvSF_
	.p2align	8
	.type	_ZN7rocprim17ROCPRIM_400000_NS6detail17trampoline_kernelINS0_14default_configENS1_38merge_sort_block_merge_config_selectorImNS0_10empty_typeEEEZZNS1_27merge_sort_block_merge_implIS3_PmPS5_jNS1_19radix_merge_compareILb1ELb1EmNS0_19identity_decomposerEEEEE10hipError_tT0_T1_T2_jT3_P12ihipStream_tbPNSt15iterator_traitsISE_E10value_typeEPNSK_ISF_E10value_typeEPSG_NS1_7vsmem_tEENKUlT_SE_SF_SG_E_clIS8_S8_S9_S9_EESD_ST_SE_SF_SG_EUlST_E_NS1_11comp_targetILNS1_3genE0ELNS1_11target_archE4294967295ELNS1_3gpuE0ELNS1_3repE0EEENS1_48merge_mergepath_partition_config_static_selectorELNS0_4arch9wavefront6targetE0EEEvSF_,@function
_ZN7rocprim17ROCPRIM_400000_NS6detail17trampoline_kernelINS0_14default_configENS1_38merge_sort_block_merge_config_selectorImNS0_10empty_typeEEEZZNS1_27merge_sort_block_merge_implIS3_PmPS5_jNS1_19radix_merge_compareILb1ELb1EmNS0_19identity_decomposerEEEEE10hipError_tT0_T1_T2_jT3_P12ihipStream_tbPNSt15iterator_traitsISE_E10value_typeEPNSK_ISF_E10value_typeEPSG_NS1_7vsmem_tEENKUlT_SE_SF_SG_E_clIS8_S8_S9_S9_EESD_ST_SE_SF_SG_EUlST_E_NS1_11comp_targetILNS1_3genE0ELNS1_11target_archE4294967295ELNS1_3gpuE0ELNS1_3repE0EEENS1_48merge_mergepath_partition_config_static_selectorELNS0_4arch9wavefront6targetE0EEEvSF_: ; @_ZN7rocprim17ROCPRIM_400000_NS6detail17trampoline_kernelINS0_14default_configENS1_38merge_sort_block_merge_config_selectorImNS0_10empty_typeEEEZZNS1_27merge_sort_block_merge_implIS3_PmPS5_jNS1_19radix_merge_compareILb1ELb1EmNS0_19identity_decomposerEEEEE10hipError_tT0_T1_T2_jT3_P12ihipStream_tbPNSt15iterator_traitsISE_E10value_typeEPNSK_ISF_E10value_typeEPSG_NS1_7vsmem_tEENKUlT_SE_SF_SG_E_clIS8_S8_S9_S9_EESD_ST_SE_SF_SG_EUlST_E_NS1_11comp_targetILNS1_3genE0ELNS1_11target_archE4294967295ELNS1_3gpuE0ELNS1_3repE0EEENS1_48merge_mergepath_partition_config_static_selectorELNS0_4arch9wavefront6targetE0EEEvSF_
; %bb.0:
	s_load_b32 s2, s[0:1], 0x0
	s_bfe_u32 s3, ttmp6, 0x4000c
	s_and_b32 s4, ttmp6, 15
	s_add_co_i32 s3, s3, 1
	s_getreg_b32 s5, hwreg(HW_REG_IB_STS2, 6, 4)
	s_mul_i32 s3, ttmp9, s3
	s_delay_alu instid0(SALU_CYCLE_1) | instskip(SKIP_2) | instid1(SALU_CYCLE_1)
	s_add_co_i32 s4, s4, s3
	s_cmp_eq_u32 s5, 0
	s_cselect_b32 s3, ttmp9, s4
	v_lshl_or_b32 v8, s3, 7, v0
	s_wait_kmcnt 0x0
	s_delay_alu instid0(VALU_DEP_1)
	v_cmp_gt_u32_e32 vcc_lo, s2, v8
	s_and_saveexec_b32 s2, vcc_lo
	s_cbranch_execz .LBB2830_6
; %bb.1:
	s_load_b64 s[2:3], s[0:1], 0x4
	s_wait_kmcnt 0x0
	s_lshr_b32 s4, s2, 9
	s_delay_alu instid0(SALU_CYCLE_1) | instskip(NEXT) | instid1(SALU_CYCLE_1)
	s_and_b32 s4, s4, 0x7ffffe
	s_sub_co_i32 s5, 0, s4
	s_add_co_i32 s4, s4, -1
	s_delay_alu instid0(SALU_CYCLE_1) | instskip(SKIP_2) | instid1(VALU_DEP_1)
	v_and_b32_e32 v1, s4, v8
	v_and_b32_e32 v0, s5, v8
	s_load_b128 s[4:7], s[0:1], 0x18
	v_dual_lshlrev_b32 v1, 10, v1 :: v_dual_lshlrev_b32 v0, 10, v0
	s_delay_alu instid0(VALU_DEP_1) | instskip(SKIP_1) | instid1(VALU_DEP_2)
	v_add_min_u32_e64 v2, v0, s2, s3
	v_min_u32_e32 v0, s3, v0
	v_add_min_u32_e64 v3, v2, s2, s3
	s_mov_b32 s2, exec_lo
	s_delay_alu instid0(VALU_DEP_1) | instskip(NEXT) | instid1(VALU_DEP_1)
	v_dual_sub_nc_u32 v4, v3, v0 :: v_dual_sub_nc_u32 v3, v3, v2
	v_min_u32_e32 v10, v4, v1
	v_sub_nc_u32_e32 v1, v2, v0
	s_delay_alu instid0(VALU_DEP_2) | instskip(NEXT) | instid1(VALU_DEP_2)
	v_sub_nc_u32_e64 v9, v10, v3 clamp
	v_min_u32_e32 v11, v10, v1
	s_delay_alu instid0(VALU_DEP_1)
	v_cmpx_lt_u32_e64 v9, v11
	s_cbranch_execz .LBB2830_5
; %bb.2:
	s_wait_xcnt 0x0
	s_load_b64 s[0:1], s[0:1], 0x10
	v_mov_b32_e32 v3, 0
	s_delay_alu instid0(VALU_DEP_1) | instskip(SKIP_1) | instid1(VALU_DEP_1)
	v_mov_b32_e32 v1, v3
	s_wait_kmcnt 0x0
	v_lshl_add_u64 v[4:5], v[0:1], 3, s[0:1]
	v_lshl_add_u64 v[6:7], v[2:3], 3, s[0:1]
	s_mov_b32 s0, 0
.LBB2830_3:                             ; =>This Inner Loop Header: Depth=1
	v_add_nc_u32_e32 v1, v11, v9
	s_delay_alu instid0(VALU_DEP_1) | instskip(NEXT) | instid1(VALU_DEP_1)
	v_dual_mov_b32 v13, v3 :: v_dual_lshrrev_b32 v2, 1, v1
	v_xad_u32 v12, v2, -1, v10
	v_lshl_add_u64 v[14:15], v[2:3], 3, v[4:5]
	v_add_nc_u32_e32 v1, 1, v2
	s_delay_alu instid0(VALU_DEP_3)
	v_lshl_add_u64 v[12:13], v[12:13], 3, v[6:7]
	s_clause 0x1
	global_load_b64 v[16:17], v[14:15], off
	global_load_b64 v[18:19], v[12:13], off
	s_wait_loadcnt 0x1
	s_wait_xcnt 0x0
	v_and_b32_e32 v13, s5, v17
	v_and_b32_e32 v12, s4, v16
	s_wait_loadcnt 0x0
	v_and_b32_e32 v15, s5, v19
	v_and_b32_e32 v14, s4, v18
	s_delay_alu instid0(VALU_DEP_1) | instskip(SKIP_1) | instid1(VALU_DEP_1)
	v_cmp_gt_u64_e32 vcc_lo, v[14:15], v[12:13]
	v_dual_cndmask_b32 v11, v11, v2, vcc_lo :: v_dual_cndmask_b32 v9, v1, v9, vcc_lo
	v_cmp_ge_u32_e32 vcc_lo, v9, v11
	s_or_b32 s0, vcc_lo, s0
	s_delay_alu instid0(SALU_CYCLE_1)
	s_and_not1_b32 exec_lo, exec_lo, s0
	s_cbranch_execnz .LBB2830_3
; %bb.4:
	s_or_b32 exec_lo, exec_lo, s0
.LBB2830_5:
	s_delay_alu instid0(SALU_CYCLE_1)
	s_or_b32 exec_lo, exec_lo, s2
	v_add_nc_u32_e32 v0, v9, v0
	s_wait_kmcnt 0x0
	global_store_b32 v8, v0, s[6:7] scale_offset
.LBB2830_6:
	s_endpgm
	.section	.rodata,"a",@progbits
	.p2align	6, 0x0
	.amdhsa_kernel _ZN7rocprim17ROCPRIM_400000_NS6detail17trampoline_kernelINS0_14default_configENS1_38merge_sort_block_merge_config_selectorImNS0_10empty_typeEEEZZNS1_27merge_sort_block_merge_implIS3_PmPS5_jNS1_19radix_merge_compareILb1ELb1EmNS0_19identity_decomposerEEEEE10hipError_tT0_T1_T2_jT3_P12ihipStream_tbPNSt15iterator_traitsISE_E10value_typeEPNSK_ISF_E10value_typeEPSG_NS1_7vsmem_tEENKUlT_SE_SF_SG_E_clIS8_S8_S9_S9_EESD_ST_SE_SF_SG_EUlST_E_NS1_11comp_targetILNS1_3genE0ELNS1_11target_archE4294967295ELNS1_3gpuE0ELNS1_3repE0EEENS1_48merge_mergepath_partition_config_static_selectorELNS0_4arch9wavefront6targetE0EEEvSF_
		.amdhsa_group_segment_fixed_size 0
		.amdhsa_private_segment_fixed_size 0
		.amdhsa_kernarg_size 40
		.amdhsa_user_sgpr_count 2
		.amdhsa_user_sgpr_dispatch_ptr 0
		.amdhsa_user_sgpr_queue_ptr 0
		.amdhsa_user_sgpr_kernarg_segment_ptr 1
		.amdhsa_user_sgpr_dispatch_id 0
		.amdhsa_user_sgpr_kernarg_preload_length 0
		.amdhsa_user_sgpr_kernarg_preload_offset 0
		.amdhsa_user_sgpr_private_segment_size 0
		.amdhsa_wavefront_size32 1
		.amdhsa_uses_dynamic_stack 0
		.amdhsa_enable_private_segment 0
		.amdhsa_system_sgpr_workgroup_id_x 1
		.amdhsa_system_sgpr_workgroup_id_y 0
		.amdhsa_system_sgpr_workgroup_id_z 0
		.amdhsa_system_sgpr_workgroup_info 0
		.amdhsa_system_vgpr_workitem_id 0
		.amdhsa_next_free_vgpr 20
		.amdhsa_next_free_sgpr 8
		.amdhsa_named_barrier_count 0
		.amdhsa_reserve_vcc 1
		.amdhsa_float_round_mode_32 0
		.amdhsa_float_round_mode_16_64 0
		.amdhsa_float_denorm_mode_32 3
		.amdhsa_float_denorm_mode_16_64 3
		.amdhsa_fp16_overflow 0
		.amdhsa_memory_ordered 1
		.amdhsa_forward_progress 1
		.amdhsa_inst_pref_size 4
		.amdhsa_round_robin_scheduling 0
		.amdhsa_exception_fp_ieee_invalid_op 0
		.amdhsa_exception_fp_denorm_src 0
		.amdhsa_exception_fp_ieee_div_zero 0
		.amdhsa_exception_fp_ieee_overflow 0
		.amdhsa_exception_fp_ieee_underflow 0
		.amdhsa_exception_fp_ieee_inexact 0
		.amdhsa_exception_int_div_zero 0
	.end_amdhsa_kernel
	.section	.text._ZN7rocprim17ROCPRIM_400000_NS6detail17trampoline_kernelINS0_14default_configENS1_38merge_sort_block_merge_config_selectorImNS0_10empty_typeEEEZZNS1_27merge_sort_block_merge_implIS3_PmPS5_jNS1_19radix_merge_compareILb1ELb1EmNS0_19identity_decomposerEEEEE10hipError_tT0_T1_T2_jT3_P12ihipStream_tbPNSt15iterator_traitsISE_E10value_typeEPNSK_ISF_E10value_typeEPSG_NS1_7vsmem_tEENKUlT_SE_SF_SG_E_clIS8_S8_S9_S9_EESD_ST_SE_SF_SG_EUlST_E_NS1_11comp_targetILNS1_3genE0ELNS1_11target_archE4294967295ELNS1_3gpuE0ELNS1_3repE0EEENS1_48merge_mergepath_partition_config_static_selectorELNS0_4arch9wavefront6targetE0EEEvSF_,"axG",@progbits,_ZN7rocprim17ROCPRIM_400000_NS6detail17trampoline_kernelINS0_14default_configENS1_38merge_sort_block_merge_config_selectorImNS0_10empty_typeEEEZZNS1_27merge_sort_block_merge_implIS3_PmPS5_jNS1_19radix_merge_compareILb1ELb1EmNS0_19identity_decomposerEEEEE10hipError_tT0_T1_T2_jT3_P12ihipStream_tbPNSt15iterator_traitsISE_E10value_typeEPNSK_ISF_E10value_typeEPSG_NS1_7vsmem_tEENKUlT_SE_SF_SG_E_clIS8_S8_S9_S9_EESD_ST_SE_SF_SG_EUlST_E_NS1_11comp_targetILNS1_3genE0ELNS1_11target_archE4294967295ELNS1_3gpuE0ELNS1_3repE0EEENS1_48merge_mergepath_partition_config_static_selectorELNS0_4arch9wavefront6targetE0EEEvSF_,comdat
.Lfunc_end2830:
	.size	_ZN7rocprim17ROCPRIM_400000_NS6detail17trampoline_kernelINS0_14default_configENS1_38merge_sort_block_merge_config_selectorImNS0_10empty_typeEEEZZNS1_27merge_sort_block_merge_implIS3_PmPS5_jNS1_19radix_merge_compareILb1ELb1EmNS0_19identity_decomposerEEEEE10hipError_tT0_T1_T2_jT3_P12ihipStream_tbPNSt15iterator_traitsISE_E10value_typeEPNSK_ISF_E10value_typeEPSG_NS1_7vsmem_tEENKUlT_SE_SF_SG_E_clIS8_S8_S9_S9_EESD_ST_SE_SF_SG_EUlST_E_NS1_11comp_targetILNS1_3genE0ELNS1_11target_archE4294967295ELNS1_3gpuE0ELNS1_3repE0EEENS1_48merge_mergepath_partition_config_static_selectorELNS0_4arch9wavefront6targetE0EEEvSF_, .Lfunc_end2830-_ZN7rocprim17ROCPRIM_400000_NS6detail17trampoline_kernelINS0_14default_configENS1_38merge_sort_block_merge_config_selectorImNS0_10empty_typeEEEZZNS1_27merge_sort_block_merge_implIS3_PmPS5_jNS1_19radix_merge_compareILb1ELb1EmNS0_19identity_decomposerEEEEE10hipError_tT0_T1_T2_jT3_P12ihipStream_tbPNSt15iterator_traitsISE_E10value_typeEPNSK_ISF_E10value_typeEPSG_NS1_7vsmem_tEENKUlT_SE_SF_SG_E_clIS8_S8_S9_S9_EESD_ST_SE_SF_SG_EUlST_E_NS1_11comp_targetILNS1_3genE0ELNS1_11target_archE4294967295ELNS1_3gpuE0ELNS1_3repE0EEENS1_48merge_mergepath_partition_config_static_selectorELNS0_4arch9wavefront6targetE0EEEvSF_
                                        ; -- End function
	.set _ZN7rocprim17ROCPRIM_400000_NS6detail17trampoline_kernelINS0_14default_configENS1_38merge_sort_block_merge_config_selectorImNS0_10empty_typeEEEZZNS1_27merge_sort_block_merge_implIS3_PmPS5_jNS1_19radix_merge_compareILb1ELb1EmNS0_19identity_decomposerEEEEE10hipError_tT0_T1_T2_jT3_P12ihipStream_tbPNSt15iterator_traitsISE_E10value_typeEPNSK_ISF_E10value_typeEPSG_NS1_7vsmem_tEENKUlT_SE_SF_SG_E_clIS8_S8_S9_S9_EESD_ST_SE_SF_SG_EUlST_E_NS1_11comp_targetILNS1_3genE0ELNS1_11target_archE4294967295ELNS1_3gpuE0ELNS1_3repE0EEENS1_48merge_mergepath_partition_config_static_selectorELNS0_4arch9wavefront6targetE0EEEvSF_.num_vgpr, 20
	.set _ZN7rocprim17ROCPRIM_400000_NS6detail17trampoline_kernelINS0_14default_configENS1_38merge_sort_block_merge_config_selectorImNS0_10empty_typeEEEZZNS1_27merge_sort_block_merge_implIS3_PmPS5_jNS1_19radix_merge_compareILb1ELb1EmNS0_19identity_decomposerEEEEE10hipError_tT0_T1_T2_jT3_P12ihipStream_tbPNSt15iterator_traitsISE_E10value_typeEPNSK_ISF_E10value_typeEPSG_NS1_7vsmem_tEENKUlT_SE_SF_SG_E_clIS8_S8_S9_S9_EESD_ST_SE_SF_SG_EUlST_E_NS1_11comp_targetILNS1_3genE0ELNS1_11target_archE4294967295ELNS1_3gpuE0ELNS1_3repE0EEENS1_48merge_mergepath_partition_config_static_selectorELNS0_4arch9wavefront6targetE0EEEvSF_.num_agpr, 0
	.set _ZN7rocprim17ROCPRIM_400000_NS6detail17trampoline_kernelINS0_14default_configENS1_38merge_sort_block_merge_config_selectorImNS0_10empty_typeEEEZZNS1_27merge_sort_block_merge_implIS3_PmPS5_jNS1_19radix_merge_compareILb1ELb1EmNS0_19identity_decomposerEEEEE10hipError_tT0_T1_T2_jT3_P12ihipStream_tbPNSt15iterator_traitsISE_E10value_typeEPNSK_ISF_E10value_typeEPSG_NS1_7vsmem_tEENKUlT_SE_SF_SG_E_clIS8_S8_S9_S9_EESD_ST_SE_SF_SG_EUlST_E_NS1_11comp_targetILNS1_3genE0ELNS1_11target_archE4294967295ELNS1_3gpuE0ELNS1_3repE0EEENS1_48merge_mergepath_partition_config_static_selectorELNS0_4arch9wavefront6targetE0EEEvSF_.numbered_sgpr, 8
	.set _ZN7rocprim17ROCPRIM_400000_NS6detail17trampoline_kernelINS0_14default_configENS1_38merge_sort_block_merge_config_selectorImNS0_10empty_typeEEEZZNS1_27merge_sort_block_merge_implIS3_PmPS5_jNS1_19radix_merge_compareILb1ELb1EmNS0_19identity_decomposerEEEEE10hipError_tT0_T1_T2_jT3_P12ihipStream_tbPNSt15iterator_traitsISE_E10value_typeEPNSK_ISF_E10value_typeEPSG_NS1_7vsmem_tEENKUlT_SE_SF_SG_E_clIS8_S8_S9_S9_EESD_ST_SE_SF_SG_EUlST_E_NS1_11comp_targetILNS1_3genE0ELNS1_11target_archE4294967295ELNS1_3gpuE0ELNS1_3repE0EEENS1_48merge_mergepath_partition_config_static_selectorELNS0_4arch9wavefront6targetE0EEEvSF_.num_named_barrier, 0
	.set _ZN7rocprim17ROCPRIM_400000_NS6detail17trampoline_kernelINS0_14default_configENS1_38merge_sort_block_merge_config_selectorImNS0_10empty_typeEEEZZNS1_27merge_sort_block_merge_implIS3_PmPS5_jNS1_19radix_merge_compareILb1ELb1EmNS0_19identity_decomposerEEEEE10hipError_tT0_T1_T2_jT3_P12ihipStream_tbPNSt15iterator_traitsISE_E10value_typeEPNSK_ISF_E10value_typeEPSG_NS1_7vsmem_tEENKUlT_SE_SF_SG_E_clIS8_S8_S9_S9_EESD_ST_SE_SF_SG_EUlST_E_NS1_11comp_targetILNS1_3genE0ELNS1_11target_archE4294967295ELNS1_3gpuE0ELNS1_3repE0EEENS1_48merge_mergepath_partition_config_static_selectorELNS0_4arch9wavefront6targetE0EEEvSF_.private_seg_size, 0
	.set _ZN7rocprim17ROCPRIM_400000_NS6detail17trampoline_kernelINS0_14default_configENS1_38merge_sort_block_merge_config_selectorImNS0_10empty_typeEEEZZNS1_27merge_sort_block_merge_implIS3_PmPS5_jNS1_19radix_merge_compareILb1ELb1EmNS0_19identity_decomposerEEEEE10hipError_tT0_T1_T2_jT3_P12ihipStream_tbPNSt15iterator_traitsISE_E10value_typeEPNSK_ISF_E10value_typeEPSG_NS1_7vsmem_tEENKUlT_SE_SF_SG_E_clIS8_S8_S9_S9_EESD_ST_SE_SF_SG_EUlST_E_NS1_11comp_targetILNS1_3genE0ELNS1_11target_archE4294967295ELNS1_3gpuE0ELNS1_3repE0EEENS1_48merge_mergepath_partition_config_static_selectorELNS0_4arch9wavefront6targetE0EEEvSF_.uses_vcc, 1
	.set _ZN7rocprim17ROCPRIM_400000_NS6detail17trampoline_kernelINS0_14default_configENS1_38merge_sort_block_merge_config_selectorImNS0_10empty_typeEEEZZNS1_27merge_sort_block_merge_implIS3_PmPS5_jNS1_19radix_merge_compareILb1ELb1EmNS0_19identity_decomposerEEEEE10hipError_tT0_T1_T2_jT3_P12ihipStream_tbPNSt15iterator_traitsISE_E10value_typeEPNSK_ISF_E10value_typeEPSG_NS1_7vsmem_tEENKUlT_SE_SF_SG_E_clIS8_S8_S9_S9_EESD_ST_SE_SF_SG_EUlST_E_NS1_11comp_targetILNS1_3genE0ELNS1_11target_archE4294967295ELNS1_3gpuE0ELNS1_3repE0EEENS1_48merge_mergepath_partition_config_static_selectorELNS0_4arch9wavefront6targetE0EEEvSF_.uses_flat_scratch, 0
	.set _ZN7rocprim17ROCPRIM_400000_NS6detail17trampoline_kernelINS0_14default_configENS1_38merge_sort_block_merge_config_selectorImNS0_10empty_typeEEEZZNS1_27merge_sort_block_merge_implIS3_PmPS5_jNS1_19radix_merge_compareILb1ELb1EmNS0_19identity_decomposerEEEEE10hipError_tT0_T1_T2_jT3_P12ihipStream_tbPNSt15iterator_traitsISE_E10value_typeEPNSK_ISF_E10value_typeEPSG_NS1_7vsmem_tEENKUlT_SE_SF_SG_E_clIS8_S8_S9_S9_EESD_ST_SE_SF_SG_EUlST_E_NS1_11comp_targetILNS1_3genE0ELNS1_11target_archE4294967295ELNS1_3gpuE0ELNS1_3repE0EEENS1_48merge_mergepath_partition_config_static_selectorELNS0_4arch9wavefront6targetE0EEEvSF_.has_dyn_sized_stack, 0
	.set _ZN7rocprim17ROCPRIM_400000_NS6detail17trampoline_kernelINS0_14default_configENS1_38merge_sort_block_merge_config_selectorImNS0_10empty_typeEEEZZNS1_27merge_sort_block_merge_implIS3_PmPS5_jNS1_19radix_merge_compareILb1ELb1EmNS0_19identity_decomposerEEEEE10hipError_tT0_T1_T2_jT3_P12ihipStream_tbPNSt15iterator_traitsISE_E10value_typeEPNSK_ISF_E10value_typeEPSG_NS1_7vsmem_tEENKUlT_SE_SF_SG_E_clIS8_S8_S9_S9_EESD_ST_SE_SF_SG_EUlST_E_NS1_11comp_targetILNS1_3genE0ELNS1_11target_archE4294967295ELNS1_3gpuE0ELNS1_3repE0EEENS1_48merge_mergepath_partition_config_static_selectorELNS0_4arch9wavefront6targetE0EEEvSF_.has_recursion, 0
	.set _ZN7rocprim17ROCPRIM_400000_NS6detail17trampoline_kernelINS0_14default_configENS1_38merge_sort_block_merge_config_selectorImNS0_10empty_typeEEEZZNS1_27merge_sort_block_merge_implIS3_PmPS5_jNS1_19radix_merge_compareILb1ELb1EmNS0_19identity_decomposerEEEEE10hipError_tT0_T1_T2_jT3_P12ihipStream_tbPNSt15iterator_traitsISE_E10value_typeEPNSK_ISF_E10value_typeEPSG_NS1_7vsmem_tEENKUlT_SE_SF_SG_E_clIS8_S8_S9_S9_EESD_ST_SE_SF_SG_EUlST_E_NS1_11comp_targetILNS1_3genE0ELNS1_11target_archE4294967295ELNS1_3gpuE0ELNS1_3repE0EEENS1_48merge_mergepath_partition_config_static_selectorELNS0_4arch9wavefront6targetE0EEEvSF_.has_indirect_call, 0
	.section	.AMDGPU.csdata,"",@progbits
; Kernel info:
; codeLenInByte = 456
; TotalNumSgprs: 10
; NumVgprs: 20
; ScratchSize: 0
; MemoryBound: 0
; FloatMode: 240
; IeeeMode: 1
; LDSByteSize: 0 bytes/workgroup (compile time only)
; SGPRBlocks: 0
; VGPRBlocks: 1
; NumSGPRsForWavesPerEU: 10
; NumVGPRsForWavesPerEU: 20
; NamedBarCnt: 0
; Occupancy: 16
; WaveLimiterHint : 0
; COMPUTE_PGM_RSRC2:SCRATCH_EN: 0
; COMPUTE_PGM_RSRC2:USER_SGPR: 2
; COMPUTE_PGM_RSRC2:TRAP_HANDLER: 0
; COMPUTE_PGM_RSRC2:TGID_X_EN: 1
; COMPUTE_PGM_RSRC2:TGID_Y_EN: 0
; COMPUTE_PGM_RSRC2:TGID_Z_EN: 0
; COMPUTE_PGM_RSRC2:TIDIG_COMP_CNT: 0
	.section	.text._ZN7rocprim17ROCPRIM_400000_NS6detail17trampoline_kernelINS0_14default_configENS1_38merge_sort_block_merge_config_selectorImNS0_10empty_typeEEEZZNS1_27merge_sort_block_merge_implIS3_PmPS5_jNS1_19radix_merge_compareILb1ELb1EmNS0_19identity_decomposerEEEEE10hipError_tT0_T1_T2_jT3_P12ihipStream_tbPNSt15iterator_traitsISE_E10value_typeEPNSK_ISF_E10value_typeEPSG_NS1_7vsmem_tEENKUlT_SE_SF_SG_E_clIS8_S8_S9_S9_EESD_ST_SE_SF_SG_EUlST_E_NS1_11comp_targetILNS1_3genE10ELNS1_11target_archE1201ELNS1_3gpuE5ELNS1_3repE0EEENS1_48merge_mergepath_partition_config_static_selectorELNS0_4arch9wavefront6targetE0EEEvSF_,"axG",@progbits,_ZN7rocprim17ROCPRIM_400000_NS6detail17trampoline_kernelINS0_14default_configENS1_38merge_sort_block_merge_config_selectorImNS0_10empty_typeEEEZZNS1_27merge_sort_block_merge_implIS3_PmPS5_jNS1_19radix_merge_compareILb1ELb1EmNS0_19identity_decomposerEEEEE10hipError_tT0_T1_T2_jT3_P12ihipStream_tbPNSt15iterator_traitsISE_E10value_typeEPNSK_ISF_E10value_typeEPSG_NS1_7vsmem_tEENKUlT_SE_SF_SG_E_clIS8_S8_S9_S9_EESD_ST_SE_SF_SG_EUlST_E_NS1_11comp_targetILNS1_3genE10ELNS1_11target_archE1201ELNS1_3gpuE5ELNS1_3repE0EEENS1_48merge_mergepath_partition_config_static_selectorELNS0_4arch9wavefront6targetE0EEEvSF_,comdat
	.protected	_ZN7rocprim17ROCPRIM_400000_NS6detail17trampoline_kernelINS0_14default_configENS1_38merge_sort_block_merge_config_selectorImNS0_10empty_typeEEEZZNS1_27merge_sort_block_merge_implIS3_PmPS5_jNS1_19radix_merge_compareILb1ELb1EmNS0_19identity_decomposerEEEEE10hipError_tT0_T1_T2_jT3_P12ihipStream_tbPNSt15iterator_traitsISE_E10value_typeEPNSK_ISF_E10value_typeEPSG_NS1_7vsmem_tEENKUlT_SE_SF_SG_E_clIS8_S8_S9_S9_EESD_ST_SE_SF_SG_EUlST_E_NS1_11comp_targetILNS1_3genE10ELNS1_11target_archE1201ELNS1_3gpuE5ELNS1_3repE0EEENS1_48merge_mergepath_partition_config_static_selectorELNS0_4arch9wavefront6targetE0EEEvSF_ ; -- Begin function _ZN7rocprim17ROCPRIM_400000_NS6detail17trampoline_kernelINS0_14default_configENS1_38merge_sort_block_merge_config_selectorImNS0_10empty_typeEEEZZNS1_27merge_sort_block_merge_implIS3_PmPS5_jNS1_19radix_merge_compareILb1ELb1EmNS0_19identity_decomposerEEEEE10hipError_tT0_T1_T2_jT3_P12ihipStream_tbPNSt15iterator_traitsISE_E10value_typeEPNSK_ISF_E10value_typeEPSG_NS1_7vsmem_tEENKUlT_SE_SF_SG_E_clIS8_S8_S9_S9_EESD_ST_SE_SF_SG_EUlST_E_NS1_11comp_targetILNS1_3genE10ELNS1_11target_archE1201ELNS1_3gpuE5ELNS1_3repE0EEENS1_48merge_mergepath_partition_config_static_selectorELNS0_4arch9wavefront6targetE0EEEvSF_
	.globl	_ZN7rocprim17ROCPRIM_400000_NS6detail17trampoline_kernelINS0_14default_configENS1_38merge_sort_block_merge_config_selectorImNS0_10empty_typeEEEZZNS1_27merge_sort_block_merge_implIS3_PmPS5_jNS1_19radix_merge_compareILb1ELb1EmNS0_19identity_decomposerEEEEE10hipError_tT0_T1_T2_jT3_P12ihipStream_tbPNSt15iterator_traitsISE_E10value_typeEPNSK_ISF_E10value_typeEPSG_NS1_7vsmem_tEENKUlT_SE_SF_SG_E_clIS8_S8_S9_S9_EESD_ST_SE_SF_SG_EUlST_E_NS1_11comp_targetILNS1_3genE10ELNS1_11target_archE1201ELNS1_3gpuE5ELNS1_3repE0EEENS1_48merge_mergepath_partition_config_static_selectorELNS0_4arch9wavefront6targetE0EEEvSF_
	.p2align	8
	.type	_ZN7rocprim17ROCPRIM_400000_NS6detail17trampoline_kernelINS0_14default_configENS1_38merge_sort_block_merge_config_selectorImNS0_10empty_typeEEEZZNS1_27merge_sort_block_merge_implIS3_PmPS5_jNS1_19radix_merge_compareILb1ELb1EmNS0_19identity_decomposerEEEEE10hipError_tT0_T1_T2_jT3_P12ihipStream_tbPNSt15iterator_traitsISE_E10value_typeEPNSK_ISF_E10value_typeEPSG_NS1_7vsmem_tEENKUlT_SE_SF_SG_E_clIS8_S8_S9_S9_EESD_ST_SE_SF_SG_EUlST_E_NS1_11comp_targetILNS1_3genE10ELNS1_11target_archE1201ELNS1_3gpuE5ELNS1_3repE0EEENS1_48merge_mergepath_partition_config_static_selectorELNS0_4arch9wavefront6targetE0EEEvSF_,@function
_ZN7rocprim17ROCPRIM_400000_NS6detail17trampoline_kernelINS0_14default_configENS1_38merge_sort_block_merge_config_selectorImNS0_10empty_typeEEEZZNS1_27merge_sort_block_merge_implIS3_PmPS5_jNS1_19radix_merge_compareILb1ELb1EmNS0_19identity_decomposerEEEEE10hipError_tT0_T1_T2_jT3_P12ihipStream_tbPNSt15iterator_traitsISE_E10value_typeEPNSK_ISF_E10value_typeEPSG_NS1_7vsmem_tEENKUlT_SE_SF_SG_E_clIS8_S8_S9_S9_EESD_ST_SE_SF_SG_EUlST_E_NS1_11comp_targetILNS1_3genE10ELNS1_11target_archE1201ELNS1_3gpuE5ELNS1_3repE0EEENS1_48merge_mergepath_partition_config_static_selectorELNS0_4arch9wavefront6targetE0EEEvSF_: ; @_ZN7rocprim17ROCPRIM_400000_NS6detail17trampoline_kernelINS0_14default_configENS1_38merge_sort_block_merge_config_selectorImNS0_10empty_typeEEEZZNS1_27merge_sort_block_merge_implIS3_PmPS5_jNS1_19radix_merge_compareILb1ELb1EmNS0_19identity_decomposerEEEEE10hipError_tT0_T1_T2_jT3_P12ihipStream_tbPNSt15iterator_traitsISE_E10value_typeEPNSK_ISF_E10value_typeEPSG_NS1_7vsmem_tEENKUlT_SE_SF_SG_E_clIS8_S8_S9_S9_EESD_ST_SE_SF_SG_EUlST_E_NS1_11comp_targetILNS1_3genE10ELNS1_11target_archE1201ELNS1_3gpuE5ELNS1_3repE0EEENS1_48merge_mergepath_partition_config_static_selectorELNS0_4arch9wavefront6targetE0EEEvSF_
; %bb.0:
	.section	.rodata,"a",@progbits
	.p2align	6, 0x0
	.amdhsa_kernel _ZN7rocprim17ROCPRIM_400000_NS6detail17trampoline_kernelINS0_14default_configENS1_38merge_sort_block_merge_config_selectorImNS0_10empty_typeEEEZZNS1_27merge_sort_block_merge_implIS3_PmPS5_jNS1_19radix_merge_compareILb1ELb1EmNS0_19identity_decomposerEEEEE10hipError_tT0_T1_T2_jT3_P12ihipStream_tbPNSt15iterator_traitsISE_E10value_typeEPNSK_ISF_E10value_typeEPSG_NS1_7vsmem_tEENKUlT_SE_SF_SG_E_clIS8_S8_S9_S9_EESD_ST_SE_SF_SG_EUlST_E_NS1_11comp_targetILNS1_3genE10ELNS1_11target_archE1201ELNS1_3gpuE5ELNS1_3repE0EEENS1_48merge_mergepath_partition_config_static_selectorELNS0_4arch9wavefront6targetE0EEEvSF_
		.amdhsa_group_segment_fixed_size 0
		.amdhsa_private_segment_fixed_size 0
		.amdhsa_kernarg_size 40
		.amdhsa_user_sgpr_count 2
		.amdhsa_user_sgpr_dispatch_ptr 0
		.amdhsa_user_sgpr_queue_ptr 0
		.amdhsa_user_sgpr_kernarg_segment_ptr 1
		.amdhsa_user_sgpr_dispatch_id 0
		.amdhsa_user_sgpr_kernarg_preload_length 0
		.amdhsa_user_sgpr_kernarg_preload_offset 0
		.amdhsa_user_sgpr_private_segment_size 0
		.amdhsa_wavefront_size32 1
		.amdhsa_uses_dynamic_stack 0
		.amdhsa_enable_private_segment 0
		.amdhsa_system_sgpr_workgroup_id_x 1
		.amdhsa_system_sgpr_workgroup_id_y 0
		.amdhsa_system_sgpr_workgroup_id_z 0
		.amdhsa_system_sgpr_workgroup_info 0
		.amdhsa_system_vgpr_workitem_id 0
		.amdhsa_next_free_vgpr 1
		.amdhsa_next_free_sgpr 1
		.amdhsa_named_barrier_count 0
		.amdhsa_reserve_vcc 0
		.amdhsa_float_round_mode_32 0
		.amdhsa_float_round_mode_16_64 0
		.amdhsa_float_denorm_mode_32 3
		.amdhsa_float_denorm_mode_16_64 3
		.amdhsa_fp16_overflow 0
		.amdhsa_memory_ordered 1
		.amdhsa_forward_progress 1
		.amdhsa_inst_pref_size 0
		.amdhsa_round_robin_scheduling 0
		.amdhsa_exception_fp_ieee_invalid_op 0
		.amdhsa_exception_fp_denorm_src 0
		.amdhsa_exception_fp_ieee_div_zero 0
		.amdhsa_exception_fp_ieee_overflow 0
		.amdhsa_exception_fp_ieee_underflow 0
		.amdhsa_exception_fp_ieee_inexact 0
		.amdhsa_exception_int_div_zero 0
	.end_amdhsa_kernel
	.section	.text._ZN7rocprim17ROCPRIM_400000_NS6detail17trampoline_kernelINS0_14default_configENS1_38merge_sort_block_merge_config_selectorImNS0_10empty_typeEEEZZNS1_27merge_sort_block_merge_implIS3_PmPS5_jNS1_19radix_merge_compareILb1ELb1EmNS0_19identity_decomposerEEEEE10hipError_tT0_T1_T2_jT3_P12ihipStream_tbPNSt15iterator_traitsISE_E10value_typeEPNSK_ISF_E10value_typeEPSG_NS1_7vsmem_tEENKUlT_SE_SF_SG_E_clIS8_S8_S9_S9_EESD_ST_SE_SF_SG_EUlST_E_NS1_11comp_targetILNS1_3genE10ELNS1_11target_archE1201ELNS1_3gpuE5ELNS1_3repE0EEENS1_48merge_mergepath_partition_config_static_selectorELNS0_4arch9wavefront6targetE0EEEvSF_,"axG",@progbits,_ZN7rocprim17ROCPRIM_400000_NS6detail17trampoline_kernelINS0_14default_configENS1_38merge_sort_block_merge_config_selectorImNS0_10empty_typeEEEZZNS1_27merge_sort_block_merge_implIS3_PmPS5_jNS1_19radix_merge_compareILb1ELb1EmNS0_19identity_decomposerEEEEE10hipError_tT0_T1_T2_jT3_P12ihipStream_tbPNSt15iterator_traitsISE_E10value_typeEPNSK_ISF_E10value_typeEPSG_NS1_7vsmem_tEENKUlT_SE_SF_SG_E_clIS8_S8_S9_S9_EESD_ST_SE_SF_SG_EUlST_E_NS1_11comp_targetILNS1_3genE10ELNS1_11target_archE1201ELNS1_3gpuE5ELNS1_3repE0EEENS1_48merge_mergepath_partition_config_static_selectorELNS0_4arch9wavefront6targetE0EEEvSF_,comdat
.Lfunc_end2831:
	.size	_ZN7rocprim17ROCPRIM_400000_NS6detail17trampoline_kernelINS0_14default_configENS1_38merge_sort_block_merge_config_selectorImNS0_10empty_typeEEEZZNS1_27merge_sort_block_merge_implIS3_PmPS5_jNS1_19radix_merge_compareILb1ELb1EmNS0_19identity_decomposerEEEEE10hipError_tT0_T1_T2_jT3_P12ihipStream_tbPNSt15iterator_traitsISE_E10value_typeEPNSK_ISF_E10value_typeEPSG_NS1_7vsmem_tEENKUlT_SE_SF_SG_E_clIS8_S8_S9_S9_EESD_ST_SE_SF_SG_EUlST_E_NS1_11comp_targetILNS1_3genE10ELNS1_11target_archE1201ELNS1_3gpuE5ELNS1_3repE0EEENS1_48merge_mergepath_partition_config_static_selectorELNS0_4arch9wavefront6targetE0EEEvSF_, .Lfunc_end2831-_ZN7rocprim17ROCPRIM_400000_NS6detail17trampoline_kernelINS0_14default_configENS1_38merge_sort_block_merge_config_selectorImNS0_10empty_typeEEEZZNS1_27merge_sort_block_merge_implIS3_PmPS5_jNS1_19radix_merge_compareILb1ELb1EmNS0_19identity_decomposerEEEEE10hipError_tT0_T1_T2_jT3_P12ihipStream_tbPNSt15iterator_traitsISE_E10value_typeEPNSK_ISF_E10value_typeEPSG_NS1_7vsmem_tEENKUlT_SE_SF_SG_E_clIS8_S8_S9_S9_EESD_ST_SE_SF_SG_EUlST_E_NS1_11comp_targetILNS1_3genE10ELNS1_11target_archE1201ELNS1_3gpuE5ELNS1_3repE0EEENS1_48merge_mergepath_partition_config_static_selectorELNS0_4arch9wavefront6targetE0EEEvSF_
                                        ; -- End function
	.set _ZN7rocprim17ROCPRIM_400000_NS6detail17trampoline_kernelINS0_14default_configENS1_38merge_sort_block_merge_config_selectorImNS0_10empty_typeEEEZZNS1_27merge_sort_block_merge_implIS3_PmPS5_jNS1_19radix_merge_compareILb1ELb1EmNS0_19identity_decomposerEEEEE10hipError_tT0_T1_T2_jT3_P12ihipStream_tbPNSt15iterator_traitsISE_E10value_typeEPNSK_ISF_E10value_typeEPSG_NS1_7vsmem_tEENKUlT_SE_SF_SG_E_clIS8_S8_S9_S9_EESD_ST_SE_SF_SG_EUlST_E_NS1_11comp_targetILNS1_3genE10ELNS1_11target_archE1201ELNS1_3gpuE5ELNS1_3repE0EEENS1_48merge_mergepath_partition_config_static_selectorELNS0_4arch9wavefront6targetE0EEEvSF_.num_vgpr, 0
	.set _ZN7rocprim17ROCPRIM_400000_NS6detail17trampoline_kernelINS0_14default_configENS1_38merge_sort_block_merge_config_selectorImNS0_10empty_typeEEEZZNS1_27merge_sort_block_merge_implIS3_PmPS5_jNS1_19radix_merge_compareILb1ELb1EmNS0_19identity_decomposerEEEEE10hipError_tT0_T1_T2_jT3_P12ihipStream_tbPNSt15iterator_traitsISE_E10value_typeEPNSK_ISF_E10value_typeEPSG_NS1_7vsmem_tEENKUlT_SE_SF_SG_E_clIS8_S8_S9_S9_EESD_ST_SE_SF_SG_EUlST_E_NS1_11comp_targetILNS1_3genE10ELNS1_11target_archE1201ELNS1_3gpuE5ELNS1_3repE0EEENS1_48merge_mergepath_partition_config_static_selectorELNS0_4arch9wavefront6targetE0EEEvSF_.num_agpr, 0
	.set _ZN7rocprim17ROCPRIM_400000_NS6detail17trampoline_kernelINS0_14default_configENS1_38merge_sort_block_merge_config_selectorImNS0_10empty_typeEEEZZNS1_27merge_sort_block_merge_implIS3_PmPS5_jNS1_19radix_merge_compareILb1ELb1EmNS0_19identity_decomposerEEEEE10hipError_tT0_T1_T2_jT3_P12ihipStream_tbPNSt15iterator_traitsISE_E10value_typeEPNSK_ISF_E10value_typeEPSG_NS1_7vsmem_tEENKUlT_SE_SF_SG_E_clIS8_S8_S9_S9_EESD_ST_SE_SF_SG_EUlST_E_NS1_11comp_targetILNS1_3genE10ELNS1_11target_archE1201ELNS1_3gpuE5ELNS1_3repE0EEENS1_48merge_mergepath_partition_config_static_selectorELNS0_4arch9wavefront6targetE0EEEvSF_.numbered_sgpr, 0
	.set _ZN7rocprim17ROCPRIM_400000_NS6detail17trampoline_kernelINS0_14default_configENS1_38merge_sort_block_merge_config_selectorImNS0_10empty_typeEEEZZNS1_27merge_sort_block_merge_implIS3_PmPS5_jNS1_19radix_merge_compareILb1ELb1EmNS0_19identity_decomposerEEEEE10hipError_tT0_T1_T2_jT3_P12ihipStream_tbPNSt15iterator_traitsISE_E10value_typeEPNSK_ISF_E10value_typeEPSG_NS1_7vsmem_tEENKUlT_SE_SF_SG_E_clIS8_S8_S9_S9_EESD_ST_SE_SF_SG_EUlST_E_NS1_11comp_targetILNS1_3genE10ELNS1_11target_archE1201ELNS1_3gpuE5ELNS1_3repE0EEENS1_48merge_mergepath_partition_config_static_selectorELNS0_4arch9wavefront6targetE0EEEvSF_.num_named_barrier, 0
	.set _ZN7rocprim17ROCPRIM_400000_NS6detail17trampoline_kernelINS0_14default_configENS1_38merge_sort_block_merge_config_selectorImNS0_10empty_typeEEEZZNS1_27merge_sort_block_merge_implIS3_PmPS5_jNS1_19radix_merge_compareILb1ELb1EmNS0_19identity_decomposerEEEEE10hipError_tT0_T1_T2_jT3_P12ihipStream_tbPNSt15iterator_traitsISE_E10value_typeEPNSK_ISF_E10value_typeEPSG_NS1_7vsmem_tEENKUlT_SE_SF_SG_E_clIS8_S8_S9_S9_EESD_ST_SE_SF_SG_EUlST_E_NS1_11comp_targetILNS1_3genE10ELNS1_11target_archE1201ELNS1_3gpuE5ELNS1_3repE0EEENS1_48merge_mergepath_partition_config_static_selectorELNS0_4arch9wavefront6targetE0EEEvSF_.private_seg_size, 0
	.set _ZN7rocprim17ROCPRIM_400000_NS6detail17trampoline_kernelINS0_14default_configENS1_38merge_sort_block_merge_config_selectorImNS0_10empty_typeEEEZZNS1_27merge_sort_block_merge_implIS3_PmPS5_jNS1_19radix_merge_compareILb1ELb1EmNS0_19identity_decomposerEEEEE10hipError_tT0_T1_T2_jT3_P12ihipStream_tbPNSt15iterator_traitsISE_E10value_typeEPNSK_ISF_E10value_typeEPSG_NS1_7vsmem_tEENKUlT_SE_SF_SG_E_clIS8_S8_S9_S9_EESD_ST_SE_SF_SG_EUlST_E_NS1_11comp_targetILNS1_3genE10ELNS1_11target_archE1201ELNS1_3gpuE5ELNS1_3repE0EEENS1_48merge_mergepath_partition_config_static_selectorELNS0_4arch9wavefront6targetE0EEEvSF_.uses_vcc, 0
	.set _ZN7rocprim17ROCPRIM_400000_NS6detail17trampoline_kernelINS0_14default_configENS1_38merge_sort_block_merge_config_selectorImNS0_10empty_typeEEEZZNS1_27merge_sort_block_merge_implIS3_PmPS5_jNS1_19radix_merge_compareILb1ELb1EmNS0_19identity_decomposerEEEEE10hipError_tT0_T1_T2_jT3_P12ihipStream_tbPNSt15iterator_traitsISE_E10value_typeEPNSK_ISF_E10value_typeEPSG_NS1_7vsmem_tEENKUlT_SE_SF_SG_E_clIS8_S8_S9_S9_EESD_ST_SE_SF_SG_EUlST_E_NS1_11comp_targetILNS1_3genE10ELNS1_11target_archE1201ELNS1_3gpuE5ELNS1_3repE0EEENS1_48merge_mergepath_partition_config_static_selectorELNS0_4arch9wavefront6targetE0EEEvSF_.uses_flat_scratch, 0
	.set _ZN7rocprim17ROCPRIM_400000_NS6detail17trampoline_kernelINS0_14default_configENS1_38merge_sort_block_merge_config_selectorImNS0_10empty_typeEEEZZNS1_27merge_sort_block_merge_implIS3_PmPS5_jNS1_19radix_merge_compareILb1ELb1EmNS0_19identity_decomposerEEEEE10hipError_tT0_T1_T2_jT3_P12ihipStream_tbPNSt15iterator_traitsISE_E10value_typeEPNSK_ISF_E10value_typeEPSG_NS1_7vsmem_tEENKUlT_SE_SF_SG_E_clIS8_S8_S9_S9_EESD_ST_SE_SF_SG_EUlST_E_NS1_11comp_targetILNS1_3genE10ELNS1_11target_archE1201ELNS1_3gpuE5ELNS1_3repE0EEENS1_48merge_mergepath_partition_config_static_selectorELNS0_4arch9wavefront6targetE0EEEvSF_.has_dyn_sized_stack, 0
	.set _ZN7rocprim17ROCPRIM_400000_NS6detail17trampoline_kernelINS0_14default_configENS1_38merge_sort_block_merge_config_selectorImNS0_10empty_typeEEEZZNS1_27merge_sort_block_merge_implIS3_PmPS5_jNS1_19radix_merge_compareILb1ELb1EmNS0_19identity_decomposerEEEEE10hipError_tT0_T1_T2_jT3_P12ihipStream_tbPNSt15iterator_traitsISE_E10value_typeEPNSK_ISF_E10value_typeEPSG_NS1_7vsmem_tEENKUlT_SE_SF_SG_E_clIS8_S8_S9_S9_EESD_ST_SE_SF_SG_EUlST_E_NS1_11comp_targetILNS1_3genE10ELNS1_11target_archE1201ELNS1_3gpuE5ELNS1_3repE0EEENS1_48merge_mergepath_partition_config_static_selectorELNS0_4arch9wavefront6targetE0EEEvSF_.has_recursion, 0
	.set _ZN7rocprim17ROCPRIM_400000_NS6detail17trampoline_kernelINS0_14default_configENS1_38merge_sort_block_merge_config_selectorImNS0_10empty_typeEEEZZNS1_27merge_sort_block_merge_implIS3_PmPS5_jNS1_19radix_merge_compareILb1ELb1EmNS0_19identity_decomposerEEEEE10hipError_tT0_T1_T2_jT3_P12ihipStream_tbPNSt15iterator_traitsISE_E10value_typeEPNSK_ISF_E10value_typeEPSG_NS1_7vsmem_tEENKUlT_SE_SF_SG_E_clIS8_S8_S9_S9_EESD_ST_SE_SF_SG_EUlST_E_NS1_11comp_targetILNS1_3genE10ELNS1_11target_archE1201ELNS1_3gpuE5ELNS1_3repE0EEENS1_48merge_mergepath_partition_config_static_selectorELNS0_4arch9wavefront6targetE0EEEvSF_.has_indirect_call, 0
	.section	.AMDGPU.csdata,"",@progbits
; Kernel info:
; codeLenInByte = 0
; TotalNumSgprs: 0
; NumVgprs: 0
; ScratchSize: 0
; MemoryBound: 0
; FloatMode: 240
; IeeeMode: 1
; LDSByteSize: 0 bytes/workgroup (compile time only)
; SGPRBlocks: 0
; VGPRBlocks: 0
; NumSGPRsForWavesPerEU: 1
; NumVGPRsForWavesPerEU: 1
; NamedBarCnt: 0
; Occupancy: 16
; WaveLimiterHint : 0
; COMPUTE_PGM_RSRC2:SCRATCH_EN: 0
; COMPUTE_PGM_RSRC2:USER_SGPR: 2
; COMPUTE_PGM_RSRC2:TRAP_HANDLER: 0
; COMPUTE_PGM_RSRC2:TGID_X_EN: 1
; COMPUTE_PGM_RSRC2:TGID_Y_EN: 0
; COMPUTE_PGM_RSRC2:TGID_Z_EN: 0
; COMPUTE_PGM_RSRC2:TIDIG_COMP_CNT: 0
	.section	.text._ZN7rocprim17ROCPRIM_400000_NS6detail17trampoline_kernelINS0_14default_configENS1_38merge_sort_block_merge_config_selectorImNS0_10empty_typeEEEZZNS1_27merge_sort_block_merge_implIS3_PmPS5_jNS1_19radix_merge_compareILb1ELb1EmNS0_19identity_decomposerEEEEE10hipError_tT0_T1_T2_jT3_P12ihipStream_tbPNSt15iterator_traitsISE_E10value_typeEPNSK_ISF_E10value_typeEPSG_NS1_7vsmem_tEENKUlT_SE_SF_SG_E_clIS8_S8_S9_S9_EESD_ST_SE_SF_SG_EUlST_E_NS1_11comp_targetILNS1_3genE5ELNS1_11target_archE942ELNS1_3gpuE9ELNS1_3repE0EEENS1_48merge_mergepath_partition_config_static_selectorELNS0_4arch9wavefront6targetE0EEEvSF_,"axG",@progbits,_ZN7rocprim17ROCPRIM_400000_NS6detail17trampoline_kernelINS0_14default_configENS1_38merge_sort_block_merge_config_selectorImNS0_10empty_typeEEEZZNS1_27merge_sort_block_merge_implIS3_PmPS5_jNS1_19radix_merge_compareILb1ELb1EmNS0_19identity_decomposerEEEEE10hipError_tT0_T1_T2_jT3_P12ihipStream_tbPNSt15iterator_traitsISE_E10value_typeEPNSK_ISF_E10value_typeEPSG_NS1_7vsmem_tEENKUlT_SE_SF_SG_E_clIS8_S8_S9_S9_EESD_ST_SE_SF_SG_EUlST_E_NS1_11comp_targetILNS1_3genE5ELNS1_11target_archE942ELNS1_3gpuE9ELNS1_3repE0EEENS1_48merge_mergepath_partition_config_static_selectorELNS0_4arch9wavefront6targetE0EEEvSF_,comdat
	.protected	_ZN7rocprim17ROCPRIM_400000_NS6detail17trampoline_kernelINS0_14default_configENS1_38merge_sort_block_merge_config_selectorImNS0_10empty_typeEEEZZNS1_27merge_sort_block_merge_implIS3_PmPS5_jNS1_19radix_merge_compareILb1ELb1EmNS0_19identity_decomposerEEEEE10hipError_tT0_T1_T2_jT3_P12ihipStream_tbPNSt15iterator_traitsISE_E10value_typeEPNSK_ISF_E10value_typeEPSG_NS1_7vsmem_tEENKUlT_SE_SF_SG_E_clIS8_S8_S9_S9_EESD_ST_SE_SF_SG_EUlST_E_NS1_11comp_targetILNS1_3genE5ELNS1_11target_archE942ELNS1_3gpuE9ELNS1_3repE0EEENS1_48merge_mergepath_partition_config_static_selectorELNS0_4arch9wavefront6targetE0EEEvSF_ ; -- Begin function _ZN7rocprim17ROCPRIM_400000_NS6detail17trampoline_kernelINS0_14default_configENS1_38merge_sort_block_merge_config_selectorImNS0_10empty_typeEEEZZNS1_27merge_sort_block_merge_implIS3_PmPS5_jNS1_19radix_merge_compareILb1ELb1EmNS0_19identity_decomposerEEEEE10hipError_tT0_T1_T2_jT3_P12ihipStream_tbPNSt15iterator_traitsISE_E10value_typeEPNSK_ISF_E10value_typeEPSG_NS1_7vsmem_tEENKUlT_SE_SF_SG_E_clIS8_S8_S9_S9_EESD_ST_SE_SF_SG_EUlST_E_NS1_11comp_targetILNS1_3genE5ELNS1_11target_archE942ELNS1_3gpuE9ELNS1_3repE0EEENS1_48merge_mergepath_partition_config_static_selectorELNS0_4arch9wavefront6targetE0EEEvSF_
	.globl	_ZN7rocprim17ROCPRIM_400000_NS6detail17trampoline_kernelINS0_14default_configENS1_38merge_sort_block_merge_config_selectorImNS0_10empty_typeEEEZZNS1_27merge_sort_block_merge_implIS3_PmPS5_jNS1_19radix_merge_compareILb1ELb1EmNS0_19identity_decomposerEEEEE10hipError_tT0_T1_T2_jT3_P12ihipStream_tbPNSt15iterator_traitsISE_E10value_typeEPNSK_ISF_E10value_typeEPSG_NS1_7vsmem_tEENKUlT_SE_SF_SG_E_clIS8_S8_S9_S9_EESD_ST_SE_SF_SG_EUlST_E_NS1_11comp_targetILNS1_3genE5ELNS1_11target_archE942ELNS1_3gpuE9ELNS1_3repE0EEENS1_48merge_mergepath_partition_config_static_selectorELNS0_4arch9wavefront6targetE0EEEvSF_
	.p2align	8
	.type	_ZN7rocprim17ROCPRIM_400000_NS6detail17trampoline_kernelINS0_14default_configENS1_38merge_sort_block_merge_config_selectorImNS0_10empty_typeEEEZZNS1_27merge_sort_block_merge_implIS3_PmPS5_jNS1_19radix_merge_compareILb1ELb1EmNS0_19identity_decomposerEEEEE10hipError_tT0_T1_T2_jT3_P12ihipStream_tbPNSt15iterator_traitsISE_E10value_typeEPNSK_ISF_E10value_typeEPSG_NS1_7vsmem_tEENKUlT_SE_SF_SG_E_clIS8_S8_S9_S9_EESD_ST_SE_SF_SG_EUlST_E_NS1_11comp_targetILNS1_3genE5ELNS1_11target_archE942ELNS1_3gpuE9ELNS1_3repE0EEENS1_48merge_mergepath_partition_config_static_selectorELNS0_4arch9wavefront6targetE0EEEvSF_,@function
_ZN7rocprim17ROCPRIM_400000_NS6detail17trampoline_kernelINS0_14default_configENS1_38merge_sort_block_merge_config_selectorImNS0_10empty_typeEEEZZNS1_27merge_sort_block_merge_implIS3_PmPS5_jNS1_19radix_merge_compareILb1ELb1EmNS0_19identity_decomposerEEEEE10hipError_tT0_T1_T2_jT3_P12ihipStream_tbPNSt15iterator_traitsISE_E10value_typeEPNSK_ISF_E10value_typeEPSG_NS1_7vsmem_tEENKUlT_SE_SF_SG_E_clIS8_S8_S9_S9_EESD_ST_SE_SF_SG_EUlST_E_NS1_11comp_targetILNS1_3genE5ELNS1_11target_archE942ELNS1_3gpuE9ELNS1_3repE0EEENS1_48merge_mergepath_partition_config_static_selectorELNS0_4arch9wavefront6targetE0EEEvSF_: ; @_ZN7rocprim17ROCPRIM_400000_NS6detail17trampoline_kernelINS0_14default_configENS1_38merge_sort_block_merge_config_selectorImNS0_10empty_typeEEEZZNS1_27merge_sort_block_merge_implIS3_PmPS5_jNS1_19radix_merge_compareILb1ELb1EmNS0_19identity_decomposerEEEEE10hipError_tT0_T1_T2_jT3_P12ihipStream_tbPNSt15iterator_traitsISE_E10value_typeEPNSK_ISF_E10value_typeEPSG_NS1_7vsmem_tEENKUlT_SE_SF_SG_E_clIS8_S8_S9_S9_EESD_ST_SE_SF_SG_EUlST_E_NS1_11comp_targetILNS1_3genE5ELNS1_11target_archE942ELNS1_3gpuE9ELNS1_3repE0EEENS1_48merge_mergepath_partition_config_static_selectorELNS0_4arch9wavefront6targetE0EEEvSF_
; %bb.0:
	.section	.rodata,"a",@progbits
	.p2align	6, 0x0
	.amdhsa_kernel _ZN7rocprim17ROCPRIM_400000_NS6detail17trampoline_kernelINS0_14default_configENS1_38merge_sort_block_merge_config_selectorImNS0_10empty_typeEEEZZNS1_27merge_sort_block_merge_implIS3_PmPS5_jNS1_19radix_merge_compareILb1ELb1EmNS0_19identity_decomposerEEEEE10hipError_tT0_T1_T2_jT3_P12ihipStream_tbPNSt15iterator_traitsISE_E10value_typeEPNSK_ISF_E10value_typeEPSG_NS1_7vsmem_tEENKUlT_SE_SF_SG_E_clIS8_S8_S9_S9_EESD_ST_SE_SF_SG_EUlST_E_NS1_11comp_targetILNS1_3genE5ELNS1_11target_archE942ELNS1_3gpuE9ELNS1_3repE0EEENS1_48merge_mergepath_partition_config_static_selectorELNS0_4arch9wavefront6targetE0EEEvSF_
		.amdhsa_group_segment_fixed_size 0
		.amdhsa_private_segment_fixed_size 0
		.amdhsa_kernarg_size 40
		.amdhsa_user_sgpr_count 2
		.amdhsa_user_sgpr_dispatch_ptr 0
		.amdhsa_user_sgpr_queue_ptr 0
		.amdhsa_user_sgpr_kernarg_segment_ptr 1
		.amdhsa_user_sgpr_dispatch_id 0
		.amdhsa_user_sgpr_kernarg_preload_length 0
		.amdhsa_user_sgpr_kernarg_preload_offset 0
		.amdhsa_user_sgpr_private_segment_size 0
		.amdhsa_wavefront_size32 1
		.amdhsa_uses_dynamic_stack 0
		.amdhsa_enable_private_segment 0
		.amdhsa_system_sgpr_workgroup_id_x 1
		.amdhsa_system_sgpr_workgroup_id_y 0
		.amdhsa_system_sgpr_workgroup_id_z 0
		.amdhsa_system_sgpr_workgroup_info 0
		.amdhsa_system_vgpr_workitem_id 0
		.amdhsa_next_free_vgpr 1
		.amdhsa_next_free_sgpr 1
		.amdhsa_named_barrier_count 0
		.amdhsa_reserve_vcc 0
		.amdhsa_float_round_mode_32 0
		.amdhsa_float_round_mode_16_64 0
		.amdhsa_float_denorm_mode_32 3
		.amdhsa_float_denorm_mode_16_64 3
		.amdhsa_fp16_overflow 0
		.amdhsa_memory_ordered 1
		.amdhsa_forward_progress 1
		.amdhsa_inst_pref_size 0
		.amdhsa_round_robin_scheduling 0
		.amdhsa_exception_fp_ieee_invalid_op 0
		.amdhsa_exception_fp_denorm_src 0
		.amdhsa_exception_fp_ieee_div_zero 0
		.amdhsa_exception_fp_ieee_overflow 0
		.amdhsa_exception_fp_ieee_underflow 0
		.amdhsa_exception_fp_ieee_inexact 0
		.amdhsa_exception_int_div_zero 0
	.end_amdhsa_kernel
	.section	.text._ZN7rocprim17ROCPRIM_400000_NS6detail17trampoline_kernelINS0_14default_configENS1_38merge_sort_block_merge_config_selectorImNS0_10empty_typeEEEZZNS1_27merge_sort_block_merge_implIS3_PmPS5_jNS1_19radix_merge_compareILb1ELb1EmNS0_19identity_decomposerEEEEE10hipError_tT0_T1_T2_jT3_P12ihipStream_tbPNSt15iterator_traitsISE_E10value_typeEPNSK_ISF_E10value_typeEPSG_NS1_7vsmem_tEENKUlT_SE_SF_SG_E_clIS8_S8_S9_S9_EESD_ST_SE_SF_SG_EUlST_E_NS1_11comp_targetILNS1_3genE5ELNS1_11target_archE942ELNS1_3gpuE9ELNS1_3repE0EEENS1_48merge_mergepath_partition_config_static_selectorELNS0_4arch9wavefront6targetE0EEEvSF_,"axG",@progbits,_ZN7rocprim17ROCPRIM_400000_NS6detail17trampoline_kernelINS0_14default_configENS1_38merge_sort_block_merge_config_selectorImNS0_10empty_typeEEEZZNS1_27merge_sort_block_merge_implIS3_PmPS5_jNS1_19radix_merge_compareILb1ELb1EmNS0_19identity_decomposerEEEEE10hipError_tT0_T1_T2_jT3_P12ihipStream_tbPNSt15iterator_traitsISE_E10value_typeEPNSK_ISF_E10value_typeEPSG_NS1_7vsmem_tEENKUlT_SE_SF_SG_E_clIS8_S8_S9_S9_EESD_ST_SE_SF_SG_EUlST_E_NS1_11comp_targetILNS1_3genE5ELNS1_11target_archE942ELNS1_3gpuE9ELNS1_3repE0EEENS1_48merge_mergepath_partition_config_static_selectorELNS0_4arch9wavefront6targetE0EEEvSF_,comdat
.Lfunc_end2832:
	.size	_ZN7rocprim17ROCPRIM_400000_NS6detail17trampoline_kernelINS0_14default_configENS1_38merge_sort_block_merge_config_selectorImNS0_10empty_typeEEEZZNS1_27merge_sort_block_merge_implIS3_PmPS5_jNS1_19radix_merge_compareILb1ELb1EmNS0_19identity_decomposerEEEEE10hipError_tT0_T1_T2_jT3_P12ihipStream_tbPNSt15iterator_traitsISE_E10value_typeEPNSK_ISF_E10value_typeEPSG_NS1_7vsmem_tEENKUlT_SE_SF_SG_E_clIS8_S8_S9_S9_EESD_ST_SE_SF_SG_EUlST_E_NS1_11comp_targetILNS1_3genE5ELNS1_11target_archE942ELNS1_3gpuE9ELNS1_3repE0EEENS1_48merge_mergepath_partition_config_static_selectorELNS0_4arch9wavefront6targetE0EEEvSF_, .Lfunc_end2832-_ZN7rocprim17ROCPRIM_400000_NS6detail17trampoline_kernelINS0_14default_configENS1_38merge_sort_block_merge_config_selectorImNS0_10empty_typeEEEZZNS1_27merge_sort_block_merge_implIS3_PmPS5_jNS1_19radix_merge_compareILb1ELb1EmNS0_19identity_decomposerEEEEE10hipError_tT0_T1_T2_jT3_P12ihipStream_tbPNSt15iterator_traitsISE_E10value_typeEPNSK_ISF_E10value_typeEPSG_NS1_7vsmem_tEENKUlT_SE_SF_SG_E_clIS8_S8_S9_S9_EESD_ST_SE_SF_SG_EUlST_E_NS1_11comp_targetILNS1_3genE5ELNS1_11target_archE942ELNS1_3gpuE9ELNS1_3repE0EEENS1_48merge_mergepath_partition_config_static_selectorELNS0_4arch9wavefront6targetE0EEEvSF_
                                        ; -- End function
	.set _ZN7rocprim17ROCPRIM_400000_NS6detail17trampoline_kernelINS0_14default_configENS1_38merge_sort_block_merge_config_selectorImNS0_10empty_typeEEEZZNS1_27merge_sort_block_merge_implIS3_PmPS5_jNS1_19radix_merge_compareILb1ELb1EmNS0_19identity_decomposerEEEEE10hipError_tT0_T1_T2_jT3_P12ihipStream_tbPNSt15iterator_traitsISE_E10value_typeEPNSK_ISF_E10value_typeEPSG_NS1_7vsmem_tEENKUlT_SE_SF_SG_E_clIS8_S8_S9_S9_EESD_ST_SE_SF_SG_EUlST_E_NS1_11comp_targetILNS1_3genE5ELNS1_11target_archE942ELNS1_3gpuE9ELNS1_3repE0EEENS1_48merge_mergepath_partition_config_static_selectorELNS0_4arch9wavefront6targetE0EEEvSF_.num_vgpr, 0
	.set _ZN7rocprim17ROCPRIM_400000_NS6detail17trampoline_kernelINS0_14default_configENS1_38merge_sort_block_merge_config_selectorImNS0_10empty_typeEEEZZNS1_27merge_sort_block_merge_implIS3_PmPS5_jNS1_19radix_merge_compareILb1ELb1EmNS0_19identity_decomposerEEEEE10hipError_tT0_T1_T2_jT3_P12ihipStream_tbPNSt15iterator_traitsISE_E10value_typeEPNSK_ISF_E10value_typeEPSG_NS1_7vsmem_tEENKUlT_SE_SF_SG_E_clIS8_S8_S9_S9_EESD_ST_SE_SF_SG_EUlST_E_NS1_11comp_targetILNS1_3genE5ELNS1_11target_archE942ELNS1_3gpuE9ELNS1_3repE0EEENS1_48merge_mergepath_partition_config_static_selectorELNS0_4arch9wavefront6targetE0EEEvSF_.num_agpr, 0
	.set _ZN7rocprim17ROCPRIM_400000_NS6detail17trampoline_kernelINS0_14default_configENS1_38merge_sort_block_merge_config_selectorImNS0_10empty_typeEEEZZNS1_27merge_sort_block_merge_implIS3_PmPS5_jNS1_19radix_merge_compareILb1ELb1EmNS0_19identity_decomposerEEEEE10hipError_tT0_T1_T2_jT3_P12ihipStream_tbPNSt15iterator_traitsISE_E10value_typeEPNSK_ISF_E10value_typeEPSG_NS1_7vsmem_tEENKUlT_SE_SF_SG_E_clIS8_S8_S9_S9_EESD_ST_SE_SF_SG_EUlST_E_NS1_11comp_targetILNS1_3genE5ELNS1_11target_archE942ELNS1_3gpuE9ELNS1_3repE0EEENS1_48merge_mergepath_partition_config_static_selectorELNS0_4arch9wavefront6targetE0EEEvSF_.numbered_sgpr, 0
	.set _ZN7rocprim17ROCPRIM_400000_NS6detail17trampoline_kernelINS0_14default_configENS1_38merge_sort_block_merge_config_selectorImNS0_10empty_typeEEEZZNS1_27merge_sort_block_merge_implIS3_PmPS5_jNS1_19radix_merge_compareILb1ELb1EmNS0_19identity_decomposerEEEEE10hipError_tT0_T1_T2_jT3_P12ihipStream_tbPNSt15iterator_traitsISE_E10value_typeEPNSK_ISF_E10value_typeEPSG_NS1_7vsmem_tEENKUlT_SE_SF_SG_E_clIS8_S8_S9_S9_EESD_ST_SE_SF_SG_EUlST_E_NS1_11comp_targetILNS1_3genE5ELNS1_11target_archE942ELNS1_3gpuE9ELNS1_3repE0EEENS1_48merge_mergepath_partition_config_static_selectorELNS0_4arch9wavefront6targetE0EEEvSF_.num_named_barrier, 0
	.set _ZN7rocprim17ROCPRIM_400000_NS6detail17trampoline_kernelINS0_14default_configENS1_38merge_sort_block_merge_config_selectorImNS0_10empty_typeEEEZZNS1_27merge_sort_block_merge_implIS3_PmPS5_jNS1_19radix_merge_compareILb1ELb1EmNS0_19identity_decomposerEEEEE10hipError_tT0_T1_T2_jT3_P12ihipStream_tbPNSt15iterator_traitsISE_E10value_typeEPNSK_ISF_E10value_typeEPSG_NS1_7vsmem_tEENKUlT_SE_SF_SG_E_clIS8_S8_S9_S9_EESD_ST_SE_SF_SG_EUlST_E_NS1_11comp_targetILNS1_3genE5ELNS1_11target_archE942ELNS1_3gpuE9ELNS1_3repE0EEENS1_48merge_mergepath_partition_config_static_selectorELNS0_4arch9wavefront6targetE0EEEvSF_.private_seg_size, 0
	.set _ZN7rocprim17ROCPRIM_400000_NS6detail17trampoline_kernelINS0_14default_configENS1_38merge_sort_block_merge_config_selectorImNS0_10empty_typeEEEZZNS1_27merge_sort_block_merge_implIS3_PmPS5_jNS1_19radix_merge_compareILb1ELb1EmNS0_19identity_decomposerEEEEE10hipError_tT0_T1_T2_jT3_P12ihipStream_tbPNSt15iterator_traitsISE_E10value_typeEPNSK_ISF_E10value_typeEPSG_NS1_7vsmem_tEENKUlT_SE_SF_SG_E_clIS8_S8_S9_S9_EESD_ST_SE_SF_SG_EUlST_E_NS1_11comp_targetILNS1_3genE5ELNS1_11target_archE942ELNS1_3gpuE9ELNS1_3repE0EEENS1_48merge_mergepath_partition_config_static_selectorELNS0_4arch9wavefront6targetE0EEEvSF_.uses_vcc, 0
	.set _ZN7rocprim17ROCPRIM_400000_NS6detail17trampoline_kernelINS0_14default_configENS1_38merge_sort_block_merge_config_selectorImNS0_10empty_typeEEEZZNS1_27merge_sort_block_merge_implIS3_PmPS5_jNS1_19radix_merge_compareILb1ELb1EmNS0_19identity_decomposerEEEEE10hipError_tT0_T1_T2_jT3_P12ihipStream_tbPNSt15iterator_traitsISE_E10value_typeEPNSK_ISF_E10value_typeEPSG_NS1_7vsmem_tEENKUlT_SE_SF_SG_E_clIS8_S8_S9_S9_EESD_ST_SE_SF_SG_EUlST_E_NS1_11comp_targetILNS1_3genE5ELNS1_11target_archE942ELNS1_3gpuE9ELNS1_3repE0EEENS1_48merge_mergepath_partition_config_static_selectorELNS0_4arch9wavefront6targetE0EEEvSF_.uses_flat_scratch, 0
	.set _ZN7rocprim17ROCPRIM_400000_NS6detail17trampoline_kernelINS0_14default_configENS1_38merge_sort_block_merge_config_selectorImNS0_10empty_typeEEEZZNS1_27merge_sort_block_merge_implIS3_PmPS5_jNS1_19radix_merge_compareILb1ELb1EmNS0_19identity_decomposerEEEEE10hipError_tT0_T1_T2_jT3_P12ihipStream_tbPNSt15iterator_traitsISE_E10value_typeEPNSK_ISF_E10value_typeEPSG_NS1_7vsmem_tEENKUlT_SE_SF_SG_E_clIS8_S8_S9_S9_EESD_ST_SE_SF_SG_EUlST_E_NS1_11comp_targetILNS1_3genE5ELNS1_11target_archE942ELNS1_3gpuE9ELNS1_3repE0EEENS1_48merge_mergepath_partition_config_static_selectorELNS0_4arch9wavefront6targetE0EEEvSF_.has_dyn_sized_stack, 0
	.set _ZN7rocprim17ROCPRIM_400000_NS6detail17trampoline_kernelINS0_14default_configENS1_38merge_sort_block_merge_config_selectorImNS0_10empty_typeEEEZZNS1_27merge_sort_block_merge_implIS3_PmPS5_jNS1_19radix_merge_compareILb1ELb1EmNS0_19identity_decomposerEEEEE10hipError_tT0_T1_T2_jT3_P12ihipStream_tbPNSt15iterator_traitsISE_E10value_typeEPNSK_ISF_E10value_typeEPSG_NS1_7vsmem_tEENKUlT_SE_SF_SG_E_clIS8_S8_S9_S9_EESD_ST_SE_SF_SG_EUlST_E_NS1_11comp_targetILNS1_3genE5ELNS1_11target_archE942ELNS1_3gpuE9ELNS1_3repE0EEENS1_48merge_mergepath_partition_config_static_selectorELNS0_4arch9wavefront6targetE0EEEvSF_.has_recursion, 0
	.set _ZN7rocprim17ROCPRIM_400000_NS6detail17trampoline_kernelINS0_14default_configENS1_38merge_sort_block_merge_config_selectorImNS0_10empty_typeEEEZZNS1_27merge_sort_block_merge_implIS3_PmPS5_jNS1_19radix_merge_compareILb1ELb1EmNS0_19identity_decomposerEEEEE10hipError_tT0_T1_T2_jT3_P12ihipStream_tbPNSt15iterator_traitsISE_E10value_typeEPNSK_ISF_E10value_typeEPSG_NS1_7vsmem_tEENKUlT_SE_SF_SG_E_clIS8_S8_S9_S9_EESD_ST_SE_SF_SG_EUlST_E_NS1_11comp_targetILNS1_3genE5ELNS1_11target_archE942ELNS1_3gpuE9ELNS1_3repE0EEENS1_48merge_mergepath_partition_config_static_selectorELNS0_4arch9wavefront6targetE0EEEvSF_.has_indirect_call, 0
	.section	.AMDGPU.csdata,"",@progbits
; Kernel info:
; codeLenInByte = 0
; TotalNumSgprs: 0
; NumVgprs: 0
; ScratchSize: 0
; MemoryBound: 0
; FloatMode: 240
; IeeeMode: 1
; LDSByteSize: 0 bytes/workgroup (compile time only)
; SGPRBlocks: 0
; VGPRBlocks: 0
; NumSGPRsForWavesPerEU: 1
; NumVGPRsForWavesPerEU: 1
; NamedBarCnt: 0
; Occupancy: 16
; WaveLimiterHint : 0
; COMPUTE_PGM_RSRC2:SCRATCH_EN: 0
; COMPUTE_PGM_RSRC2:USER_SGPR: 2
; COMPUTE_PGM_RSRC2:TRAP_HANDLER: 0
; COMPUTE_PGM_RSRC2:TGID_X_EN: 1
; COMPUTE_PGM_RSRC2:TGID_Y_EN: 0
; COMPUTE_PGM_RSRC2:TGID_Z_EN: 0
; COMPUTE_PGM_RSRC2:TIDIG_COMP_CNT: 0
	.section	.text._ZN7rocprim17ROCPRIM_400000_NS6detail17trampoline_kernelINS0_14default_configENS1_38merge_sort_block_merge_config_selectorImNS0_10empty_typeEEEZZNS1_27merge_sort_block_merge_implIS3_PmPS5_jNS1_19radix_merge_compareILb1ELb1EmNS0_19identity_decomposerEEEEE10hipError_tT0_T1_T2_jT3_P12ihipStream_tbPNSt15iterator_traitsISE_E10value_typeEPNSK_ISF_E10value_typeEPSG_NS1_7vsmem_tEENKUlT_SE_SF_SG_E_clIS8_S8_S9_S9_EESD_ST_SE_SF_SG_EUlST_E_NS1_11comp_targetILNS1_3genE4ELNS1_11target_archE910ELNS1_3gpuE8ELNS1_3repE0EEENS1_48merge_mergepath_partition_config_static_selectorELNS0_4arch9wavefront6targetE0EEEvSF_,"axG",@progbits,_ZN7rocprim17ROCPRIM_400000_NS6detail17trampoline_kernelINS0_14default_configENS1_38merge_sort_block_merge_config_selectorImNS0_10empty_typeEEEZZNS1_27merge_sort_block_merge_implIS3_PmPS5_jNS1_19radix_merge_compareILb1ELb1EmNS0_19identity_decomposerEEEEE10hipError_tT0_T1_T2_jT3_P12ihipStream_tbPNSt15iterator_traitsISE_E10value_typeEPNSK_ISF_E10value_typeEPSG_NS1_7vsmem_tEENKUlT_SE_SF_SG_E_clIS8_S8_S9_S9_EESD_ST_SE_SF_SG_EUlST_E_NS1_11comp_targetILNS1_3genE4ELNS1_11target_archE910ELNS1_3gpuE8ELNS1_3repE0EEENS1_48merge_mergepath_partition_config_static_selectorELNS0_4arch9wavefront6targetE0EEEvSF_,comdat
	.protected	_ZN7rocprim17ROCPRIM_400000_NS6detail17trampoline_kernelINS0_14default_configENS1_38merge_sort_block_merge_config_selectorImNS0_10empty_typeEEEZZNS1_27merge_sort_block_merge_implIS3_PmPS5_jNS1_19radix_merge_compareILb1ELb1EmNS0_19identity_decomposerEEEEE10hipError_tT0_T1_T2_jT3_P12ihipStream_tbPNSt15iterator_traitsISE_E10value_typeEPNSK_ISF_E10value_typeEPSG_NS1_7vsmem_tEENKUlT_SE_SF_SG_E_clIS8_S8_S9_S9_EESD_ST_SE_SF_SG_EUlST_E_NS1_11comp_targetILNS1_3genE4ELNS1_11target_archE910ELNS1_3gpuE8ELNS1_3repE0EEENS1_48merge_mergepath_partition_config_static_selectorELNS0_4arch9wavefront6targetE0EEEvSF_ ; -- Begin function _ZN7rocprim17ROCPRIM_400000_NS6detail17trampoline_kernelINS0_14default_configENS1_38merge_sort_block_merge_config_selectorImNS0_10empty_typeEEEZZNS1_27merge_sort_block_merge_implIS3_PmPS5_jNS1_19radix_merge_compareILb1ELb1EmNS0_19identity_decomposerEEEEE10hipError_tT0_T1_T2_jT3_P12ihipStream_tbPNSt15iterator_traitsISE_E10value_typeEPNSK_ISF_E10value_typeEPSG_NS1_7vsmem_tEENKUlT_SE_SF_SG_E_clIS8_S8_S9_S9_EESD_ST_SE_SF_SG_EUlST_E_NS1_11comp_targetILNS1_3genE4ELNS1_11target_archE910ELNS1_3gpuE8ELNS1_3repE0EEENS1_48merge_mergepath_partition_config_static_selectorELNS0_4arch9wavefront6targetE0EEEvSF_
	.globl	_ZN7rocprim17ROCPRIM_400000_NS6detail17trampoline_kernelINS0_14default_configENS1_38merge_sort_block_merge_config_selectorImNS0_10empty_typeEEEZZNS1_27merge_sort_block_merge_implIS3_PmPS5_jNS1_19radix_merge_compareILb1ELb1EmNS0_19identity_decomposerEEEEE10hipError_tT0_T1_T2_jT3_P12ihipStream_tbPNSt15iterator_traitsISE_E10value_typeEPNSK_ISF_E10value_typeEPSG_NS1_7vsmem_tEENKUlT_SE_SF_SG_E_clIS8_S8_S9_S9_EESD_ST_SE_SF_SG_EUlST_E_NS1_11comp_targetILNS1_3genE4ELNS1_11target_archE910ELNS1_3gpuE8ELNS1_3repE0EEENS1_48merge_mergepath_partition_config_static_selectorELNS0_4arch9wavefront6targetE0EEEvSF_
	.p2align	8
	.type	_ZN7rocprim17ROCPRIM_400000_NS6detail17trampoline_kernelINS0_14default_configENS1_38merge_sort_block_merge_config_selectorImNS0_10empty_typeEEEZZNS1_27merge_sort_block_merge_implIS3_PmPS5_jNS1_19radix_merge_compareILb1ELb1EmNS0_19identity_decomposerEEEEE10hipError_tT0_T1_T2_jT3_P12ihipStream_tbPNSt15iterator_traitsISE_E10value_typeEPNSK_ISF_E10value_typeEPSG_NS1_7vsmem_tEENKUlT_SE_SF_SG_E_clIS8_S8_S9_S9_EESD_ST_SE_SF_SG_EUlST_E_NS1_11comp_targetILNS1_3genE4ELNS1_11target_archE910ELNS1_3gpuE8ELNS1_3repE0EEENS1_48merge_mergepath_partition_config_static_selectorELNS0_4arch9wavefront6targetE0EEEvSF_,@function
_ZN7rocprim17ROCPRIM_400000_NS6detail17trampoline_kernelINS0_14default_configENS1_38merge_sort_block_merge_config_selectorImNS0_10empty_typeEEEZZNS1_27merge_sort_block_merge_implIS3_PmPS5_jNS1_19radix_merge_compareILb1ELb1EmNS0_19identity_decomposerEEEEE10hipError_tT0_T1_T2_jT3_P12ihipStream_tbPNSt15iterator_traitsISE_E10value_typeEPNSK_ISF_E10value_typeEPSG_NS1_7vsmem_tEENKUlT_SE_SF_SG_E_clIS8_S8_S9_S9_EESD_ST_SE_SF_SG_EUlST_E_NS1_11comp_targetILNS1_3genE4ELNS1_11target_archE910ELNS1_3gpuE8ELNS1_3repE0EEENS1_48merge_mergepath_partition_config_static_selectorELNS0_4arch9wavefront6targetE0EEEvSF_: ; @_ZN7rocprim17ROCPRIM_400000_NS6detail17trampoline_kernelINS0_14default_configENS1_38merge_sort_block_merge_config_selectorImNS0_10empty_typeEEEZZNS1_27merge_sort_block_merge_implIS3_PmPS5_jNS1_19radix_merge_compareILb1ELb1EmNS0_19identity_decomposerEEEEE10hipError_tT0_T1_T2_jT3_P12ihipStream_tbPNSt15iterator_traitsISE_E10value_typeEPNSK_ISF_E10value_typeEPSG_NS1_7vsmem_tEENKUlT_SE_SF_SG_E_clIS8_S8_S9_S9_EESD_ST_SE_SF_SG_EUlST_E_NS1_11comp_targetILNS1_3genE4ELNS1_11target_archE910ELNS1_3gpuE8ELNS1_3repE0EEENS1_48merge_mergepath_partition_config_static_selectorELNS0_4arch9wavefront6targetE0EEEvSF_
; %bb.0:
	.section	.rodata,"a",@progbits
	.p2align	6, 0x0
	.amdhsa_kernel _ZN7rocprim17ROCPRIM_400000_NS6detail17trampoline_kernelINS0_14default_configENS1_38merge_sort_block_merge_config_selectorImNS0_10empty_typeEEEZZNS1_27merge_sort_block_merge_implIS3_PmPS5_jNS1_19radix_merge_compareILb1ELb1EmNS0_19identity_decomposerEEEEE10hipError_tT0_T1_T2_jT3_P12ihipStream_tbPNSt15iterator_traitsISE_E10value_typeEPNSK_ISF_E10value_typeEPSG_NS1_7vsmem_tEENKUlT_SE_SF_SG_E_clIS8_S8_S9_S9_EESD_ST_SE_SF_SG_EUlST_E_NS1_11comp_targetILNS1_3genE4ELNS1_11target_archE910ELNS1_3gpuE8ELNS1_3repE0EEENS1_48merge_mergepath_partition_config_static_selectorELNS0_4arch9wavefront6targetE0EEEvSF_
		.amdhsa_group_segment_fixed_size 0
		.amdhsa_private_segment_fixed_size 0
		.amdhsa_kernarg_size 40
		.amdhsa_user_sgpr_count 2
		.amdhsa_user_sgpr_dispatch_ptr 0
		.amdhsa_user_sgpr_queue_ptr 0
		.amdhsa_user_sgpr_kernarg_segment_ptr 1
		.amdhsa_user_sgpr_dispatch_id 0
		.amdhsa_user_sgpr_kernarg_preload_length 0
		.amdhsa_user_sgpr_kernarg_preload_offset 0
		.amdhsa_user_sgpr_private_segment_size 0
		.amdhsa_wavefront_size32 1
		.amdhsa_uses_dynamic_stack 0
		.amdhsa_enable_private_segment 0
		.amdhsa_system_sgpr_workgroup_id_x 1
		.amdhsa_system_sgpr_workgroup_id_y 0
		.amdhsa_system_sgpr_workgroup_id_z 0
		.amdhsa_system_sgpr_workgroup_info 0
		.amdhsa_system_vgpr_workitem_id 0
		.amdhsa_next_free_vgpr 1
		.amdhsa_next_free_sgpr 1
		.amdhsa_named_barrier_count 0
		.amdhsa_reserve_vcc 0
		.amdhsa_float_round_mode_32 0
		.amdhsa_float_round_mode_16_64 0
		.amdhsa_float_denorm_mode_32 3
		.amdhsa_float_denorm_mode_16_64 3
		.amdhsa_fp16_overflow 0
		.amdhsa_memory_ordered 1
		.amdhsa_forward_progress 1
		.amdhsa_inst_pref_size 0
		.amdhsa_round_robin_scheduling 0
		.amdhsa_exception_fp_ieee_invalid_op 0
		.amdhsa_exception_fp_denorm_src 0
		.amdhsa_exception_fp_ieee_div_zero 0
		.amdhsa_exception_fp_ieee_overflow 0
		.amdhsa_exception_fp_ieee_underflow 0
		.amdhsa_exception_fp_ieee_inexact 0
		.amdhsa_exception_int_div_zero 0
	.end_amdhsa_kernel
	.section	.text._ZN7rocprim17ROCPRIM_400000_NS6detail17trampoline_kernelINS0_14default_configENS1_38merge_sort_block_merge_config_selectorImNS0_10empty_typeEEEZZNS1_27merge_sort_block_merge_implIS3_PmPS5_jNS1_19radix_merge_compareILb1ELb1EmNS0_19identity_decomposerEEEEE10hipError_tT0_T1_T2_jT3_P12ihipStream_tbPNSt15iterator_traitsISE_E10value_typeEPNSK_ISF_E10value_typeEPSG_NS1_7vsmem_tEENKUlT_SE_SF_SG_E_clIS8_S8_S9_S9_EESD_ST_SE_SF_SG_EUlST_E_NS1_11comp_targetILNS1_3genE4ELNS1_11target_archE910ELNS1_3gpuE8ELNS1_3repE0EEENS1_48merge_mergepath_partition_config_static_selectorELNS0_4arch9wavefront6targetE0EEEvSF_,"axG",@progbits,_ZN7rocprim17ROCPRIM_400000_NS6detail17trampoline_kernelINS0_14default_configENS1_38merge_sort_block_merge_config_selectorImNS0_10empty_typeEEEZZNS1_27merge_sort_block_merge_implIS3_PmPS5_jNS1_19radix_merge_compareILb1ELb1EmNS0_19identity_decomposerEEEEE10hipError_tT0_T1_T2_jT3_P12ihipStream_tbPNSt15iterator_traitsISE_E10value_typeEPNSK_ISF_E10value_typeEPSG_NS1_7vsmem_tEENKUlT_SE_SF_SG_E_clIS8_S8_S9_S9_EESD_ST_SE_SF_SG_EUlST_E_NS1_11comp_targetILNS1_3genE4ELNS1_11target_archE910ELNS1_3gpuE8ELNS1_3repE0EEENS1_48merge_mergepath_partition_config_static_selectorELNS0_4arch9wavefront6targetE0EEEvSF_,comdat
.Lfunc_end2833:
	.size	_ZN7rocprim17ROCPRIM_400000_NS6detail17trampoline_kernelINS0_14default_configENS1_38merge_sort_block_merge_config_selectorImNS0_10empty_typeEEEZZNS1_27merge_sort_block_merge_implIS3_PmPS5_jNS1_19radix_merge_compareILb1ELb1EmNS0_19identity_decomposerEEEEE10hipError_tT0_T1_T2_jT3_P12ihipStream_tbPNSt15iterator_traitsISE_E10value_typeEPNSK_ISF_E10value_typeEPSG_NS1_7vsmem_tEENKUlT_SE_SF_SG_E_clIS8_S8_S9_S9_EESD_ST_SE_SF_SG_EUlST_E_NS1_11comp_targetILNS1_3genE4ELNS1_11target_archE910ELNS1_3gpuE8ELNS1_3repE0EEENS1_48merge_mergepath_partition_config_static_selectorELNS0_4arch9wavefront6targetE0EEEvSF_, .Lfunc_end2833-_ZN7rocprim17ROCPRIM_400000_NS6detail17trampoline_kernelINS0_14default_configENS1_38merge_sort_block_merge_config_selectorImNS0_10empty_typeEEEZZNS1_27merge_sort_block_merge_implIS3_PmPS5_jNS1_19radix_merge_compareILb1ELb1EmNS0_19identity_decomposerEEEEE10hipError_tT0_T1_T2_jT3_P12ihipStream_tbPNSt15iterator_traitsISE_E10value_typeEPNSK_ISF_E10value_typeEPSG_NS1_7vsmem_tEENKUlT_SE_SF_SG_E_clIS8_S8_S9_S9_EESD_ST_SE_SF_SG_EUlST_E_NS1_11comp_targetILNS1_3genE4ELNS1_11target_archE910ELNS1_3gpuE8ELNS1_3repE0EEENS1_48merge_mergepath_partition_config_static_selectorELNS0_4arch9wavefront6targetE0EEEvSF_
                                        ; -- End function
	.set _ZN7rocprim17ROCPRIM_400000_NS6detail17trampoline_kernelINS0_14default_configENS1_38merge_sort_block_merge_config_selectorImNS0_10empty_typeEEEZZNS1_27merge_sort_block_merge_implIS3_PmPS5_jNS1_19radix_merge_compareILb1ELb1EmNS0_19identity_decomposerEEEEE10hipError_tT0_T1_T2_jT3_P12ihipStream_tbPNSt15iterator_traitsISE_E10value_typeEPNSK_ISF_E10value_typeEPSG_NS1_7vsmem_tEENKUlT_SE_SF_SG_E_clIS8_S8_S9_S9_EESD_ST_SE_SF_SG_EUlST_E_NS1_11comp_targetILNS1_3genE4ELNS1_11target_archE910ELNS1_3gpuE8ELNS1_3repE0EEENS1_48merge_mergepath_partition_config_static_selectorELNS0_4arch9wavefront6targetE0EEEvSF_.num_vgpr, 0
	.set _ZN7rocprim17ROCPRIM_400000_NS6detail17trampoline_kernelINS0_14default_configENS1_38merge_sort_block_merge_config_selectorImNS0_10empty_typeEEEZZNS1_27merge_sort_block_merge_implIS3_PmPS5_jNS1_19radix_merge_compareILb1ELb1EmNS0_19identity_decomposerEEEEE10hipError_tT0_T1_T2_jT3_P12ihipStream_tbPNSt15iterator_traitsISE_E10value_typeEPNSK_ISF_E10value_typeEPSG_NS1_7vsmem_tEENKUlT_SE_SF_SG_E_clIS8_S8_S9_S9_EESD_ST_SE_SF_SG_EUlST_E_NS1_11comp_targetILNS1_3genE4ELNS1_11target_archE910ELNS1_3gpuE8ELNS1_3repE0EEENS1_48merge_mergepath_partition_config_static_selectorELNS0_4arch9wavefront6targetE0EEEvSF_.num_agpr, 0
	.set _ZN7rocprim17ROCPRIM_400000_NS6detail17trampoline_kernelINS0_14default_configENS1_38merge_sort_block_merge_config_selectorImNS0_10empty_typeEEEZZNS1_27merge_sort_block_merge_implIS3_PmPS5_jNS1_19radix_merge_compareILb1ELb1EmNS0_19identity_decomposerEEEEE10hipError_tT0_T1_T2_jT3_P12ihipStream_tbPNSt15iterator_traitsISE_E10value_typeEPNSK_ISF_E10value_typeEPSG_NS1_7vsmem_tEENKUlT_SE_SF_SG_E_clIS8_S8_S9_S9_EESD_ST_SE_SF_SG_EUlST_E_NS1_11comp_targetILNS1_3genE4ELNS1_11target_archE910ELNS1_3gpuE8ELNS1_3repE0EEENS1_48merge_mergepath_partition_config_static_selectorELNS0_4arch9wavefront6targetE0EEEvSF_.numbered_sgpr, 0
	.set _ZN7rocprim17ROCPRIM_400000_NS6detail17trampoline_kernelINS0_14default_configENS1_38merge_sort_block_merge_config_selectorImNS0_10empty_typeEEEZZNS1_27merge_sort_block_merge_implIS3_PmPS5_jNS1_19radix_merge_compareILb1ELb1EmNS0_19identity_decomposerEEEEE10hipError_tT0_T1_T2_jT3_P12ihipStream_tbPNSt15iterator_traitsISE_E10value_typeEPNSK_ISF_E10value_typeEPSG_NS1_7vsmem_tEENKUlT_SE_SF_SG_E_clIS8_S8_S9_S9_EESD_ST_SE_SF_SG_EUlST_E_NS1_11comp_targetILNS1_3genE4ELNS1_11target_archE910ELNS1_3gpuE8ELNS1_3repE0EEENS1_48merge_mergepath_partition_config_static_selectorELNS0_4arch9wavefront6targetE0EEEvSF_.num_named_barrier, 0
	.set _ZN7rocprim17ROCPRIM_400000_NS6detail17trampoline_kernelINS0_14default_configENS1_38merge_sort_block_merge_config_selectorImNS0_10empty_typeEEEZZNS1_27merge_sort_block_merge_implIS3_PmPS5_jNS1_19radix_merge_compareILb1ELb1EmNS0_19identity_decomposerEEEEE10hipError_tT0_T1_T2_jT3_P12ihipStream_tbPNSt15iterator_traitsISE_E10value_typeEPNSK_ISF_E10value_typeEPSG_NS1_7vsmem_tEENKUlT_SE_SF_SG_E_clIS8_S8_S9_S9_EESD_ST_SE_SF_SG_EUlST_E_NS1_11comp_targetILNS1_3genE4ELNS1_11target_archE910ELNS1_3gpuE8ELNS1_3repE0EEENS1_48merge_mergepath_partition_config_static_selectorELNS0_4arch9wavefront6targetE0EEEvSF_.private_seg_size, 0
	.set _ZN7rocprim17ROCPRIM_400000_NS6detail17trampoline_kernelINS0_14default_configENS1_38merge_sort_block_merge_config_selectorImNS0_10empty_typeEEEZZNS1_27merge_sort_block_merge_implIS3_PmPS5_jNS1_19radix_merge_compareILb1ELb1EmNS0_19identity_decomposerEEEEE10hipError_tT0_T1_T2_jT3_P12ihipStream_tbPNSt15iterator_traitsISE_E10value_typeEPNSK_ISF_E10value_typeEPSG_NS1_7vsmem_tEENKUlT_SE_SF_SG_E_clIS8_S8_S9_S9_EESD_ST_SE_SF_SG_EUlST_E_NS1_11comp_targetILNS1_3genE4ELNS1_11target_archE910ELNS1_3gpuE8ELNS1_3repE0EEENS1_48merge_mergepath_partition_config_static_selectorELNS0_4arch9wavefront6targetE0EEEvSF_.uses_vcc, 0
	.set _ZN7rocprim17ROCPRIM_400000_NS6detail17trampoline_kernelINS0_14default_configENS1_38merge_sort_block_merge_config_selectorImNS0_10empty_typeEEEZZNS1_27merge_sort_block_merge_implIS3_PmPS5_jNS1_19radix_merge_compareILb1ELb1EmNS0_19identity_decomposerEEEEE10hipError_tT0_T1_T2_jT3_P12ihipStream_tbPNSt15iterator_traitsISE_E10value_typeEPNSK_ISF_E10value_typeEPSG_NS1_7vsmem_tEENKUlT_SE_SF_SG_E_clIS8_S8_S9_S9_EESD_ST_SE_SF_SG_EUlST_E_NS1_11comp_targetILNS1_3genE4ELNS1_11target_archE910ELNS1_3gpuE8ELNS1_3repE0EEENS1_48merge_mergepath_partition_config_static_selectorELNS0_4arch9wavefront6targetE0EEEvSF_.uses_flat_scratch, 0
	.set _ZN7rocprim17ROCPRIM_400000_NS6detail17trampoline_kernelINS0_14default_configENS1_38merge_sort_block_merge_config_selectorImNS0_10empty_typeEEEZZNS1_27merge_sort_block_merge_implIS3_PmPS5_jNS1_19radix_merge_compareILb1ELb1EmNS0_19identity_decomposerEEEEE10hipError_tT0_T1_T2_jT3_P12ihipStream_tbPNSt15iterator_traitsISE_E10value_typeEPNSK_ISF_E10value_typeEPSG_NS1_7vsmem_tEENKUlT_SE_SF_SG_E_clIS8_S8_S9_S9_EESD_ST_SE_SF_SG_EUlST_E_NS1_11comp_targetILNS1_3genE4ELNS1_11target_archE910ELNS1_3gpuE8ELNS1_3repE0EEENS1_48merge_mergepath_partition_config_static_selectorELNS0_4arch9wavefront6targetE0EEEvSF_.has_dyn_sized_stack, 0
	.set _ZN7rocprim17ROCPRIM_400000_NS6detail17trampoline_kernelINS0_14default_configENS1_38merge_sort_block_merge_config_selectorImNS0_10empty_typeEEEZZNS1_27merge_sort_block_merge_implIS3_PmPS5_jNS1_19radix_merge_compareILb1ELb1EmNS0_19identity_decomposerEEEEE10hipError_tT0_T1_T2_jT3_P12ihipStream_tbPNSt15iterator_traitsISE_E10value_typeEPNSK_ISF_E10value_typeEPSG_NS1_7vsmem_tEENKUlT_SE_SF_SG_E_clIS8_S8_S9_S9_EESD_ST_SE_SF_SG_EUlST_E_NS1_11comp_targetILNS1_3genE4ELNS1_11target_archE910ELNS1_3gpuE8ELNS1_3repE0EEENS1_48merge_mergepath_partition_config_static_selectorELNS0_4arch9wavefront6targetE0EEEvSF_.has_recursion, 0
	.set _ZN7rocprim17ROCPRIM_400000_NS6detail17trampoline_kernelINS0_14default_configENS1_38merge_sort_block_merge_config_selectorImNS0_10empty_typeEEEZZNS1_27merge_sort_block_merge_implIS3_PmPS5_jNS1_19radix_merge_compareILb1ELb1EmNS0_19identity_decomposerEEEEE10hipError_tT0_T1_T2_jT3_P12ihipStream_tbPNSt15iterator_traitsISE_E10value_typeEPNSK_ISF_E10value_typeEPSG_NS1_7vsmem_tEENKUlT_SE_SF_SG_E_clIS8_S8_S9_S9_EESD_ST_SE_SF_SG_EUlST_E_NS1_11comp_targetILNS1_3genE4ELNS1_11target_archE910ELNS1_3gpuE8ELNS1_3repE0EEENS1_48merge_mergepath_partition_config_static_selectorELNS0_4arch9wavefront6targetE0EEEvSF_.has_indirect_call, 0
	.section	.AMDGPU.csdata,"",@progbits
; Kernel info:
; codeLenInByte = 0
; TotalNumSgprs: 0
; NumVgprs: 0
; ScratchSize: 0
; MemoryBound: 0
; FloatMode: 240
; IeeeMode: 1
; LDSByteSize: 0 bytes/workgroup (compile time only)
; SGPRBlocks: 0
; VGPRBlocks: 0
; NumSGPRsForWavesPerEU: 1
; NumVGPRsForWavesPerEU: 1
; NamedBarCnt: 0
; Occupancy: 16
; WaveLimiterHint : 0
; COMPUTE_PGM_RSRC2:SCRATCH_EN: 0
; COMPUTE_PGM_RSRC2:USER_SGPR: 2
; COMPUTE_PGM_RSRC2:TRAP_HANDLER: 0
; COMPUTE_PGM_RSRC2:TGID_X_EN: 1
; COMPUTE_PGM_RSRC2:TGID_Y_EN: 0
; COMPUTE_PGM_RSRC2:TGID_Z_EN: 0
; COMPUTE_PGM_RSRC2:TIDIG_COMP_CNT: 0
	.section	.text._ZN7rocprim17ROCPRIM_400000_NS6detail17trampoline_kernelINS0_14default_configENS1_38merge_sort_block_merge_config_selectorImNS0_10empty_typeEEEZZNS1_27merge_sort_block_merge_implIS3_PmPS5_jNS1_19radix_merge_compareILb1ELb1EmNS0_19identity_decomposerEEEEE10hipError_tT0_T1_T2_jT3_P12ihipStream_tbPNSt15iterator_traitsISE_E10value_typeEPNSK_ISF_E10value_typeEPSG_NS1_7vsmem_tEENKUlT_SE_SF_SG_E_clIS8_S8_S9_S9_EESD_ST_SE_SF_SG_EUlST_E_NS1_11comp_targetILNS1_3genE3ELNS1_11target_archE908ELNS1_3gpuE7ELNS1_3repE0EEENS1_48merge_mergepath_partition_config_static_selectorELNS0_4arch9wavefront6targetE0EEEvSF_,"axG",@progbits,_ZN7rocprim17ROCPRIM_400000_NS6detail17trampoline_kernelINS0_14default_configENS1_38merge_sort_block_merge_config_selectorImNS0_10empty_typeEEEZZNS1_27merge_sort_block_merge_implIS3_PmPS5_jNS1_19radix_merge_compareILb1ELb1EmNS0_19identity_decomposerEEEEE10hipError_tT0_T1_T2_jT3_P12ihipStream_tbPNSt15iterator_traitsISE_E10value_typeEPNSK_ISF_E10value_typeEPSG_NS1_7vsmem_tEENKUlT_SE_SF_SG_E_clIS8_S8_S9_S9_EESD_ST_SE_SF_SG_EUlST_E_NS1_11comp_targetILNS1_3genE3ELNS1_11target_archE908ELNS1_3gpuE7ELNS1_3repE0EEENS1_48merge_mergepath_partition_config_static_selectorELNS0_4arch9wavefront6targetE0EEEvSF_,comdat
	.protected	_ZN7rocprim17ROCPRIM_400000_NS6detail17trampoline_kernelINS0_14default_configENS1_38merge_sort_block_merge_config_selectorImNS0_10empty_typeEEEZZNS1_27merge_sort_block_merge_implIS3_PmPS5_jNS1_19radix_merge_compareILb1ELb1EmNS0_19identity_decomposerEEEEE10hipError_tT0_T1_T2_jT3_P12ihipStream_tbPNSt15iterator_traitsISE_E10value_typeEPNSK_ISF_E10value_typeEPSG_NS1_7vsmem_tEENKUlT_SE_SF_SG_E_clIS8_S8_S9_S9_EESD_ST_SE_SF_SG_EUlST_E_NS1_11comp_targetILNS1_3genE3ELNS1_11target_archE908ELNS1_3gpuE7ELNS1_3repE0EEENS1_48merge_mergepath_partition_config_static_selectorELNS0_4arch9wavefront6targetE0EEEvSF_ ; -- Begin function _ZN7rocprim17ROCPRIM_400000_NS6detail17trampoline_kernelINS0_14default_configENS1_38merge_sort_block_merge_config_selectorImNS0_10empty_typeEEEZZNS1_27merge_sort_block_merge_implIS3_PmPS5_jNS1_19radix_merge_compareILb1ELb1EmNS0_19identity_decomposerEEEEE10hipError_tT0_T1_T2_jT3_P12ihipStream_tbPNSt15iterator_traitsISE_E10value_typeEPNSK_ISF_E10value_typeEPSG_NS1_7vsmem_tEENKUlT_SE_SF_SG_E_clIS8_S8_S9_S9_EESD_ST_SE_SF_SG_EUlST_E_NS1_11comp_targetILNS1_3genE3ELNS1_11target_archE908ELNS1_3gpuE7ELNS1_3repE0EEENS1_48merge_mergepath_partition_config_static_selectorELNS0_4arch9wavefront6targetE0EEEvSF_
	.globl	_ZN7rocprim17ROCPRIM_400000_NS6detail17trampoline_kernelINS0_14default_configENS1_38merge_sort_block_merge_config_selectorImNS0_10empty_typeEEEZZNS1_27merge_sort_block_merge_implIS3_PmPS5_jNS1_19radix_merge_compareILb1ELb1EmNS0_19identity_decomposerEEEEE10hipError_tT0_T1_T2_jT3_P12ihipStream_tbPNSt15iterator_traitsISE_E10value_typeEPNSK_ISF_E10value_typeEPSG_NS1_7vsmem_tEENKUlT_SE_SF_SG_E_clIS8_S8_S9_S9_EESD_ST_SE_SF_SG_EUlST_E_NS1_11comp_targetILNS1_3genE3ELNS1_11target_archE908ELNS1_3gpuE7ELNS1_3repE0EEENS1_48merge_mergepath_partition_config_static_selectorELNS0_4arch9wavefront6targetE0EEEvSF_
	.p2align	8
	.type	_ZN7rocprim17ROCPRIM_400000_NS6detail17trampoline_kernelINS0_14default_configENS1_38merge_sort_block_merge_config_selectorImNS0_10empty_typeEEEZZNS1_27merge_sort_block_merge_implIS3_PmPS5_jNS1_19radix_merge_compareILb1ELb1EmNS0_19identity_decomposerEEEEE10hipError_tT0_T1_T2_jT3_P12ihipStream_tbPNSt15iterator_traitsISE_E10value_typeEPNSK_ISF_E10value_typeEPSG_NS1_7vsmem_tEENKUlT_SE_SF_SG_E_clIS8_S8_S9_S9_EESD_ST_SE_SF_SG_EUlST_E_NS1_11comp_targetILNS1_3genE3ELNS1_11target_archE908ELNS1_3gpuE7ELNS1_3repE0EEENS1_48merge_mergepath_partition_config_static_selectorELNS0_4arch9wavefront6targetE0EEEvSF_,@function
_ZN7rocprim17ROCPRIM_400000_NS6detail17trampoline_kernelINS0_14default_configENS1_38merge_sort_block_merge_config_selectorImNS0_10empty_typeEEEZZNS1_27merge_sort_block_merge_implIS3_PmPS5_jNS1_19radix_merge_compareILb1ELb1EmNS0_19identity_decomposerEEEEE10hipError_tT0_T1_T2_jT3_P12ihipStream_tbPNSt15iterator_traitsISE_E10value_typeEPNSK_ISF_E10value_typeEPSG_NS1_7vsmem_tEENKUlT_SE_SF_SG_E_clIS8_S8_S9_S9_EESD_ST_SE_SF_SG_EUlST_E_NS1_11comp_targetILNS1_3genE3ELNS1_11target_archE908ELNS1_3gpuE7ELNS1_3repE0EEENS1_48merge_mergepath_partition_config_static_selectorELNS0_4arch9wavefront6targetE0EEEvSF_: ; @_ZN7rocprim17ROCPRIM_400000_NS6detail17trampoline_kernelINS0_14default_configENS1_38merge_sort_block_merge_config_selectorImNS0_10empty_typeEEEZZNS1_27merge_sort_block_merge_implIS3_PmPS5_jNS1_19radix_merge_compareILb1ELb1EmNS0_19identity_decomposerEEEEE10hipError_tT0_T1_T2_jT3_P12ihipStream_tbPNSt15iterator_traitsISE_E10value_typeEPNSK_ISF_E10value_typeEPSG_NS1_7vsmem_tEENKUlT_SE_SF_SG_E_clIS8_S8_S9_S9_EESD_ST_SE_SF_SG_EUlST_E_NS1_11comp_targetILNS1_3genE3ELNS1_11target_archE908ELNS1_3gpuE7ELNS1_3repE0EEENS1_48merge_mergepath_partition_config_static_selectorELNS0_4arch9wavefront6targetE0EEEvSF_
; %bb.0:
	.section	.rodata,"a",@progbits
	.p2align	6, 0x0
	.amdhsa_kernel _ZN7rocprim17ROCPRIM_400000_NS6detail17trampoline_kernelINS0_14default_configENS1_38merge_sort_block_merge_config_selectorImNS0_10empty_typeEEEZZNS1_27merge_sort_block_merge_implIS3_PmPS5_jNS1_19radix_merge_compareILb1ELb1EmNS0_19identity_decomposerEEEEE10hipError_tT0_T1_T2_jT3_P12ihipStream_tbPNSt15iterator_traitsISE_E10value_typeEPNSK_ISF_E10value_typeEPSG_NS1_7vsmem_tEENKUlT_SE_SF_SG_E_clIS8_S8_S9_S9_EESD_ST_SE_SF_SG_EUlST_E_NS1_11comp_targetILNS1_3genE3ELNS1_11target_archE908ELNS1_3gpuE7ELNS1_3repE0EEENS1_48merge_mergepath_partition_config_static_selectorELNS0_4arch9wavefront6targetE0EEEvSF_
		.amdhsa_group_segment_fixed_size 0
		.amdhsa_private_segment_fixed_size 0
		.amdhsa_kernarg_size 40
		.amdhsa_user_sgpr_count 2
		.amdhsa_user_sgpr_dispatch_ptr 0
		.amdhsa_user_sgpr_queue_ptr 0
		.amdhsa_user_sgpr_kernarg_segment_ptr 1
		.amdhsa_user_sgpr_dispatch_id 0
		.amdhsa_user_sgpr_kernarg_preload_length 0
		.amdhsa_user_sgpr_kernarg_preload_offset 0
		.amdhsa_user_sgpr_private_segment_size 0
		.amdhsa_wavefront_size32 1
		.amdhsa_uses_dynamic_stack 0
		.amdhsa_enable_private_segment 0
		.amdhsa_system_sgpr_workgroup_id_x 1
		.amdhsa_system_sgpr_workgroup_id_y 0
		.amdhsa_system_sgpr_workgroup_id_z 0
		.amdhsa_system_sgpr_workgroup_info 0
		.amdhsa_system_vgpr_workitem_id 0
		.amdhsa_next_free_vgpr 1
		.amdhsa_next_free_sgpr 1
		.amdhsa_named_barrier_count 0
		.amdhsa_reserve_vcc 0
		.amdhsa_float_round_mode_32 0
		.amdhsa_float_round_mode_16_64 0
		.amdhsa_float_denorm_mode_32 3
		.amdhsa_float_denorm_mode_16_64 3
		.amdhsa_fp16_overflow 0
		.amdhsa_memory_ordered 1
		.amdhsa_forward_progress 1
		.amdhsa_inst_pref_size 0
		.amdhsa_round_robin_scheduling 0
		.amdhsa_exception_fp_ieee_invalid_op 0
		.amdhsa_exception_fp_denorm_src 0
		.amdhsa_exception_fp_ieee_div_zero 0
		.amdhsa_exception_fp_ieee_overflow 0
		.amdhsa_exception_fp_ieee_underflow 0
		.amdhsa_exception_fp_ieee_inexact 0
		.amdhsa_exception_int_div_zero 0
	.end_amdhsa_kernel
	.section	.text._ZN7rocprim17ROCPRIM_400000_NS6detail17trampoline_kernelINS0_14default_configENS1_38merge_sort_block_merge_config_selectorImNS0_10empty_typeEEEZZNS1_27merge_sort_block_merge_implIS3_PmPS5_jNS1_19radix_merge_compareILb1ELb1EmNS0_19identity_decomposerEEEEE10hipError_tT0_T1_T2_jT3_P12ihipStream_tbPNSt15iterator_traitsISE_E10value_typeEPNSK_ISF_E10value_typeEPSG_NS1_7vsmem_tEENKUlT_SE_SF_SG_E_clIS8_S8_S9_S9_EESD_ST_SE_SF_SG_EUlST_E_NS1_11comp_targetILNS1_3genE3ELNS1_11target_archE908ELNS1_3gpuE7ELNS1_3repE0EEENS1_48merge_mergepath_partition_config_static_selectorELNS0_4arch9wavefront6targetE0EEEvSF_,"axG",@progbits,_ZN7rocprim17ROCPRIM_400000_NS6detail17trampoline_kernelINS0_14default_configENS1_38merge_sort_block_merge_config_selectorImNS0_10empty_typeEEEZZNS1_27merge_sort_block_merge_implIS3_PmPS5_jNS1_19radix_merge_compareILb1ELb1EmNS0_19identity_decomposerEEEEE10hipError_tT0_T1_T2_jT3_P12ihipStream_tbPNSt15iterator_traitsISE_E10value_typeEPNSK_ISF_E10value_typeEPSG_NS1_7vsmem_tEENKUlT_SE_SF_SG_E_clIS8_S8_S9_S9_EESD_ST_SE_SF_SG_EUlST_E_NS1_11comp_targetILNS1_3genE3ELNS1_11target_archE908ELNS1_3gpuE7ELNS1_3repE0EEENS1_48merge_mergepath_partition_config_static_selectorELNS0_4arch9wavefront6targetE0EEEvSF_,comdat
.Lfunc_end2834:
	.size	_ZN7rocprim17ROCPRIM_400000_NS6detail17trampoline_kernelINS0_14default_configENS1_38merge_sort_block_merge_config_selectorImNS0_10empty_typeEEEZZNS1_27merge_sort_block_merge_implIS3_PmPS5_jNS1_19radix_merge_compareILb1ELb1EmNS0_19identity_decomposerEEEEE10hipError_tT0_T1_T2_jT3_P12ihipStream_tbPNSt15iterator_traitsISE_E10value_typeEPNSK_ISF_E10value_typeEPSG_NS1_7vsmem_tEENKUlT_SE_SF_SG_E_clIS8_S8_S9_S9_EESD_ST_SE_SF_SG_EUlST_E_NS1_11comp_targetILNS1_3genE3ELNS1_11target_archE908ELNS1_3gpuE7ELNS1_3repE0EEENS1_48merge_mergepath_partition_config_static_selectorELNS0_4arch9wavefront6targetE0EEEvSF_, .Lfunc_end2834-_ZN7rocprim17ROCPRIM_400000_NS6detail17trampoline_kernelINS0_14default_configENS1_38merge_sort_block_merge_config_selectorImNS0_10empty_typeEEEZZNS1_27merge_sort_block_merge_implIS3_PmPS5_jNS1_19radix_merge_compareILb1ELb1EmNS0_19identity_decomposerEEEEE10hipError_tT0_T1_T2_jT3_P12ihipStream_tbPNSt15iterator_traitsISE_E10value_typeEPNSK_ISF_E10value_typeEPSG_NS1_7vsmem_tEENKUlT_SE_SF_SG_E_clIS8_S8_S9_S9_EESD_ST_SE_SF_SG_EUlST_E_NS1_11comp_targetILNS1_3genE3ELNS1_11target_archE908ELNS1_3gpuE7ELNS1_3repE0EEENS1_48merge_mergepath_partition_config_static_selectorELNS0_4arch9wavefront6targetE0EEEvSF_
                                        ; -- End function
	.set _ZN7rocprim17ROCPRIM_400000_NS6detail17trampoline_kernelINS0_14default_configENS1_38merge_sort_block_merge_config_selectorImNS0_10empty_typeEEEZZNS1_27merge_sort_block_merge_implIS3_PmPS5_jNS1_19radix_merge_compareILb1ELb1EmNS0_19identity_decomposerEEEEE10hipError_tT0_T1_T2_jT3_P12ihipStream_tbPNSt15iterator_traitsISE_E10value_typeEPNSK_ISF_E10value_typeEPSG_NS1_7vsmem_tEENKUlT_SE_SF_SG_E_clIS8_S8_S9_S9_EESD_ST_SE_SF_SG_EUlST_E_NS1_11comp_targetILNS1_3genE3ELNS1_11target_archE908ELNS1_3gpuE7ELNS1_3repE0EEENS1_48merge_mergepath_partition_config_static_selectorELNS0_4arch9wavefront6targetE0EEEvSF_.num_vgpr, 0
	.set _ZN7rocprim17ROCPRIM_400000_NS6detail17trampoline_kernelINS0_14default_configENS1_38merge_sort_block_merge_config_selectorImNS0_10empty_typeEEEZZNS1_27merge_sort_block_merge_implIS3_PmPS5_jNS1_19radix_merge_compareILb1ELb1EmNS0_19identity_decomposerEEEEE10hipError_tT0_T1_T2_jT3_P12ihipStream_tbPNSt15iterator_traitsISE_E10value_typeEPNSK_ISF_E10value_typeEPSG_NS1_7vsmem_tEENKUlT_SE_SF_SG_E_clIS8_S8_S9_S9_EESD_ST_SE_SF_SG_EUlST_E_NS1_11comp_targetILNS1_3genE3ELNS1_11target_archE908ELNS1_3gpuE7ELNS1_3repE0EEENS1_48merge_mergepath_partition_config_static_selectorELNS0_4arch9wavefront6targetE0EEEvSF_.num_agpr, 0
	.set _ZN7rocprim17ROCPRIM_400000_NS6detail17trampoline_kernelINS0_14default_configENS1_38merge_sort_block_merge_config_selectorImNS0_10empty_typeEEEZZNS1_27merge_sort_block_merge_implIS3_PmPS5_jNS1_19radix_merge_compareILb1ELb1EmNS0_19identity_decomposerEEEEE10hipError_tT0_T1_T2_jT3_P12ihipStream_tbPNSt15iterator_traitsISE_E10value_typeEPNSK_ISF_E10value_typeEPSG_NS1_7vsmem_tEENKUlT_SE_SF_SG_E_clIS8_S8_S9_S9_EESD_ST_SE_SF_SG_EUlST_E_NS1_11comp_targetILNS1_3genE3ELNS1_11target_archE908ELNS1_3gpuE7ELNS1_3repE0EEENS1_48merge_mergepath_partition_config_static_selectorELNS0_4arch9wavefront6targetE0EEEvSF_.numbered_sgpr, 0
	.set _ZN7rocprim17ROCPRIM_400000_NS6detail17trampoline_kernelINS0_14default_configENS1_38merge_sort_block_merge_config_selectorImNS0_10empty_typeEEEZZNS1_27merge_sort_block_merge_implIS3_PmPS5_jNS1_19radix_merge_compareILb1ELb1EmNS0_19identity_decomposerEEEEE10hipError_tT0_T1_T2_jT3_P12ihipStream_tbPNSt15iterator_traitsISE_E10value_typeEPNSK_ISF_E10value_typeEPSG_NS1_7vsmem_tEENKUlT_SE_SF_SG_E_clIS8_S8_S9_S9_EESD_ST_SE_SF_SG_EUlST_E_NS1_11comp_targetILNS1_3genE3ELNS1_11target_archE908ELNS1_3gpuE7ELNS1_3repE0EEENS1_48merge_mergepath_partition_config_static_selectorELNS0_4arch9wavefront6targetE0EEEvSF_.num_named_barrier, 0
	.set _ZN7rocprim17ROCPRIM_400000_NS6detail17trampoline_kernelINS0_14default_configENS1_38merge_sort_block_merge_config_selectorImNS0_10empty_typeEEEZZNS1_27merge_sort_block_merge_implIS3_PmPS5_jNS1_19radix_merge_compareILb1ELb1EmNS0_19identity_decomposerEEEEE10hipError_tT0_T1_T2_jT3_P12ihipStream_tbPNSt15iterator_traitsISE_E10value_typeEPNSK_ISF_E10value_typeEPSG_NS1_7vsmem_tEENKUlT_SE_SF_SG_E_clIS8_S8_S9_S9_EESD_ST_SE_SF_SG_EUlST_E_NS1_11comp_targetILNS1_3genE3ELNS1_11target_archE908ELNS1_3gpuE7ELNS1_3repE0EEENS1_48merge_mergepath_partition_config_static_selectorELNS0_4arch9wavefront6targetE0EEEvSF_.private_seg_size, 0
	.set _ZN7rocprim17ROCPRIM_400000_NS6detail17trampoline_kernelINS0_14default_configENS1_38merge_sort_block_merge_config_selectorImNS0_10empty_typeEEEZZNS1_27merge_sort_block_merge_implIS3_PmPS5_jNS1_19radix_merge_compareILb1ELb1EmNS0_19identity_decomposerEEEEE10hipError_tT0_T1_T2_jT3_P12ihipStream_tbPNSt15iterator_traitsISE_E10value_typeEPNSK_ISF_E10value_typeEPSG_NS1_7vsmem_tEENKUlT_SE_SF_SG_E_clIS8_S8_S9_S9_EESD_ST_SE_SF_SG_EUlST_E_NS1_11comp_targetILNS1_3genE3ELNS1_11target_archE908ELNS1_3gpuE7ELNS1_3repE0EEENS1_48merge_mergepath_partition_config_static_selectorELNS0_4arch9wavefront6targetE0EEEvSF_.uses_vcc, 0
	.set _ZN7rocprim17ROCPRIM_400000_NS6detail17trampoline_kernelINS0_14default_configENS1_38merge_sort_block_merge_config_selectorImNS0_10empty_typeEEEZZNS1_27merge_sort_block_merge_implIS3_PmPS5_jNS1_19radix_merge_compareILb1ELb1EmNS0_19identity_decomposerEEEEE10hipError_tT0_T1_T2_jT3_P12ihipStream_tbPNSt15iterator_traitsISE_E10value_typeEPNSK_ISF_E10value_typeEPSG_NS1_7vsmem_tEENKUlT_SE_SF_SG_E_clIS8_S8_S9_S9_EESD_ST_SE_SF_SG_EUlST_E_NS1_11comp_targetILNS1_3genE3ELNS1_11target_archE908ELNS1_3gpuE7ELNS1_3repE0EEENS1_48merge_mergepath_partition_config_static_selectorELNS0_4arch9wavefront6targetE0EEEvSF_.uses_flat_scratch, 0
	.set _ZN7rocprim17ROCPRIM_400000_NS6detail17trampoline_kernelINS0_14default_configENS1_38merge_sort_block_merge_config_selectorImNS0_10empty_typeEEEZZNS1_27merge_sort_block_merge_implIS3_PmPS5_jNS1_19radix_merge_compareILb1ELb1EmNS0_19identity_decomposerEEEEE10hipError_tT0_T1_T2_jT3_P12ihipStream_tbPNSt15iterator_traitsISE_E10value_typeEPNSK_ISF_E10value_typeEPSG_NS1_7vsmem_tEENKUlT_SE_SF_SG_E_clIS8_S8_S9_S9_EESD_ST_SE_SF_SG_EUlST_E_NS1_11comp_targetILNS1_3genE3ELNS1_11target_archE908ELNS1_3gpuE7ELNS1_3repE0EEENS1_48merge_mergepath_partition_config_static_selectorELNS0_4arch9wavefront6targetE0EEEvSF_.has_dyn_sized_stack, 0
	.set _ZN7rocprim17ROCPRIM_400000_NS6detail17trampoline_kernelINS0_14default_configENS1_38merge_sort_block_merge_config_selectorImNS0_10empty_typeEEEZZNS1_27merge_sort_block_merge_implIS3_PmPS5_jNS1_19radix_merge_compareILb1ELb1EmNS0_19identity_decomposerEEEEE10hipError_tT0_T1_T2_jT3_P12ihipStream_tbPNSt15iterator_traitsISE_E10value_typeEPNSK_ISF_E10value_typeEPSG_NS1_7vsmem_tEENKUlT_SE_SF_SG_E_clIS8_S8_S9_S9_EESD_ST_SE_SF_SG_EUlST_E_NS1_11comp_targetILNS1_3genE3ELNS1_11target_archE908ELNS1_3gpuE7ELNS1_3repE0EEENS1_48merge_mergepath_partition_config_static_selectorELNS0_4arch9wavefront6targetE0EEEvSF_.has_recursion, 0
	.set _ZN7rocprim17ROCPRIM_400000_NS6detail17trampoline_kernelINS0_14default_configENS1_38merge_sort_block_merge_config_selectorImNS0_10empty_typeEEEZZNS1_27merge_sort_block_merge_implIS3_PmPS5_jNS1_19radix_merge_compareILb1ELb1EmNS0_19identity_decomposerEEEEE10hipError_tT0_T1_T2_jT3_P12ihipStream_tbPNSt15iterator_traitsISE_E10value_typeEPNSK_ISF_E10value_typeEPSG_NS1_7vsmem_tEENKUlT_SE_SF_SG_E_clIS8_S8_S9_S9_EESD_ST_SE_SF_SG_EUlST_E_NS1_11comp_targetILNS1_3genE3ELNS1_11target_archE908ELNS1_3gpuE7ELNS1_3repE0EEENS1_48merge_mergepath_partition_config_static_selectorELNS0_4arch9wavefront6targetE0EEEvSF_.has_indirect_call, 0
	.section	.AMDGPU.csdata,"",@progbits
; Kernel info:
; codeLenInByte = 0
; TotalNumSgprs: 0
; NumVgprs: 0
; ScratchSize: 0
; MemoryBound: 0
; FloatMode: 240
; IeeeMode: 1
; LDSByteSize: 0 bytes/workgroup (compile time only)
; SGPRBlocks: 0
; VGPRBlocks: 0
; NumSGPRsForWavesPerEU: 1
; NumVGPRsForWavesPerEU: 1
; NamedBarCnt: 0
; Occupancy: 16
; WaveLimiterHint : 0
; COMPUTE_PGM_RSRC2:SCRATCH_EN: 0
; COMPUTE_PGM_RSRC2:USER_SGPR: 2
; COMPUTE_PGM_RSRC2:TRAP_HANDLER: 0
; COMPUTE_PGM_RSRC2:TGID_X_EN: 1
; COMPUTE_PGM_RSRC2:TGID_Y_EN: 0
; COMPUTE_PGM_RSRC2:TGID_Z_EN: 0
; COMPUTE_PGM_RSRC2:TIDIG_COMP_CNT: 0
	.section	.text._ZN7rocprim17ROCPRIM_400000_NS6detail17trampoline_kernelINS0_14default_configENS1_38merge_sort_block_merge_config_selectorImNS0_10empty_typeEEEZZNS1_27merge_sort_block_merge_implIS3_PmPS5_jNS1_19radix_merge_compareILb1ELb1EmNS0_19identity_decomposerEEEEE10hipError_tT0_T1_T2_jT3_P12ihipStream_tbPNSt15iterator_traitsISE_E10value_typeEPNSK_ISF_E10value_typeEPSG_NS1_7vsmem_tEENKUlT_SE_SF_SG_E_clIS8_S8_S9_S9_EESD_ST_SE_SF_SG_EUlST_E_NS1_11comp_targetILNS1_3genE2ELNS1_11target_archE906ELNS1_3gpuE6ELNS1_3repE0EEENS1_48merge_mergepath_partition_config_static_selectorELNS0_4arch9wavefront6targetE0EEEvSF_,"axG",@progbits,_ZN7rocprim17ROCPRIM_400000_NS6detail17trampoline_kernelINS0_14default_configENS1_38merge_sort_block_merge_config_selectorImNS0_10empty_typeEEEZZNS1_27merge_sort_block_merge_implIS3_PmPS5_jNS1_19radix_merge_compareILb1ELb1EmNS0_19identity_decomposerEEEEE10hipError_tT0_T1_T2_jT3_P12ihipStream_tbPNSt15iterator_traitsISE_E10value_typeEPNSK_ISF_E10value_typeEPSG_NS1_7vsmem_tEENKUlT_SE_SF_SG_E_clIS8_S8_S9_S9_EESD_ST_SE_SF_SG_EUlST_E_NS1_11comp_targetILNS1_3genE2ELNS1_11target_archE906ELNS1_3gpuE6ELNS1_3repE0EEENS1_48merge_mergepath_partition_config_static_selectorELNS0_4arch9wavefront6targetE0EEEvSF_,comdat
	.protected	_ZN7rocprim17ROCPRIM_400000_NS6detail17trampoline_kernelINS0_14default_configENS1_38merge_sort_block_merge_config_selectorImNS0_10empty_typeEEEZZNS1_27merge_sort_block_merge_implIS3_PmPS5_jNS1_19radix_merge_compareILb1ELb1EmNS0_19identity_decomposerEEEEE10hipError_tT0_T1_T2_jT3_P12ihipStream_tbPNSt15iterator_traitsISE_E10value_typeEPNSK_ISF_E10value_typeEPSG_NS1_7vsmem_tEENKUlT_SE_SF_SG_E_clIS8_S8_S9_S9_EESD_ST_SE_SF_SG_EUlST_E_NS1_11comp_targetILNS1_3genE2ELNS1_11target_archE906ELNS1_3gpuE6ELNS1_3repE0EEENS1_48merge_mergepath_partition_config_static_selectorELNS0_4arch9wavefront6targetE0EEEvSF_ ; -- Begin function _ZN7rocprim17ROCPRIM_400000_NS6detail17trampoline_kernelINS0_14default_configENS1_38merge_sort_block_merge_config_selectorImNS0_10empty_typeEEEZZNS1_27merge_sort_block_merge_implIS3_PmPS5_jNS1_19radix_merge_compareILb1ELb1EmNS0_19identity_decomposerEEEEE10hipError_tT0_T1_T2_jT3_P12ihipStream_tbPNSt15iterator_traitsISE_E10value_typeEPNSK_ISF_E10value_typeEPSG_NS1_7vsmem_tEENKUlT_SE_SF_SG_E_clIS8_S8_S9_S9_EESD_ST_SE_SF_SG_EUlST_E_NS1_11comp_targetILNS1_3genE2ELNS1_11target_archE906ELNS1_3gpuE6ELNS1_3repE0EEENS1_48merge_mergepath_partition_config_static_selectorELNS0_4arch9wavefront6targetE0EEEvSF_
	.globl	_ZN7rocprim17ROCPRIM_400000_NS6detail17trampoline_kernelINS0_14default_configENS1_38merge_sort_block_merge_config_selectorImNS0_10empty_typeEEEZZNS1_27merge_sort_block_merge_implIS3_PmPS5_jNS1_19radix_merge_compareILb1ELb1EmNS0_19identity_decomposerEEEEE10hipError_tT0_T1_T2_jT3_P12ihipStream_tbPNSt15iterator_traitsISE_E10value_typeEPNSK_ISF_E10value_typeEPSG_NS1_7vsmem_tEENKUlT_SE_SF_SG_E_clIS8_S8_S9_S9_EESD_ST_SE_SF_SG_EUlST_E_NS1_11comp_targetILNS1_3genE2ELNS1_11target_archE906ELNS1_3gpuE6ELNS1_3repE0EEENS1_48merge_mergepath_partition_config_static_selectorELNS0_4arch9wavefront6targetE0EEEvSF_
	.p2align	8
	.type	_ZN7rocprim17ROCPRIM_400000_NS6detail17trampoline_kernelINS0_14default_configENS1_38merge_sort_block_merge_config_selectorImNS0_10empty_typeEEEZZNS1_27merge_sort_block_merge_implIS3_PmPS5_jNS1_19radix_merge_compareILb1ELb1EmNS0_19identity_decomposerEEEEE10hipError_tT0_T1_T2_jT3_P12ihipStream_tbPNSt15iterator_traitsISE_E10value_typeEPNSK_ISF_E10value_typeEPSG_NS1_7vsmem_tEENKUlT_SE_SF_SG_E_clIS8_S8_S9_S9_EESD_ST_SE_SF_SG_EUlST_E_NS1_11comp_targetILNS1_3genE2ELNS1_11target_archE906ELNS1_3gpuE6ELNS1_3repE0EEENS1_48merge_mergepath_partition_config_static_selectorELNS0_4arch9wavefront6targetE0EEEvSF_,@function
_ZN7rocprim17ROCPRIM_400000_NS6detail17trampoline_kernelINS0_14default_configENS1_38merge_sort_block_merge_config_selectorImNS0_10empty_typeEEEZZNS1_27merge_sort_block_merge_implIS3_PmPS5_jNS1_19radix_merge_compareILb1ELb1EmNS0_19identity_decomposerEEEEE10hipError_tT0_T1_T2_jT3_P12ihipStream_tbPNSt15iterator_traitsISE_E10value_typeEPNSK_ISF_E10value_typeEPSG_NS1_7vsmem_tEENKUlT_SE_SF_SG_E_clIS8_S8_S9_S9_EESD_ST_SE_SF_SG_EUlST_E_NS1_11comp_targetILNS1_3genE2ELNS1_11target_archE906ELNS1_3gpuE6ELNS1_3repE0EEENS1_48merge_mergepath_partition_config_static_selectorELNS0_4arch9wavefront6targetE0EEEvSF_: ; @_ZN7rocprim17ROCPRIM_400000_NS6detail17trampoline_kernelINS0_14default_configENS1_38merge_sort_block_merge_config_selectorImNS0_10empty_typeEEEZZNS1_27merge_sort_block_merge_implIS3_PmPS5_jNS1_19radix_merge_compareILb1ELb1EmNS0_19identity_decomposerEEEEE10hipError_tT0_T1_T2_jT3_P12ihipStream_tbPNSt15iterator_traitsISE_E10value_typeEPNSK_ISF_E10value_typeEPSG_NS1_7vsmem_tEENKUlT_SE_SF_SG_E_clIS8_S8_S9_S9_EESD_ST_SE_SF_SG_EUlST_E_NS1_11comp_targetILNS1_3genE2ELNS1_11target_archE906ELNS1_3gpuE6ELNS1_3repE0EEENS1_48merge_mergepath_partition_config_static_selectorELNS0_4arch9wavefront6targetE0EEEvSF_
; %bb.0:
	.section	.rodata,"a",@progbits
	.p2align	6, 0x0
	.amdhsa_kernel _ZN7rocprim17ROCPRIM_400000_NS6detail17trampoline_kernelINS0_14default_configENS1_38merge_sort_block_merge_config_selectorImNS0_10empty_typeEEEZZNS1_27merge_sort_block_merge_implIS3_PmPS5_jNS1_19radix_merge_compareILb1ELb1EmNS0_19identity_decomposerEEEEE10hipError_tT0_T1_T2_jT3_P12ihipStream_tbPNSt15iterator_traitsISE_E10value_typeEPNSK_ISF_E10value_typeEPSG_NS1_7vsmem_tEENKUlT_SE_SF_SG_E_clIS8_S8_S9_S9_EESD_ST_SE_SF_SG_EUlST_E_NS1_11comp_targetILNS1_3genE2ELNS1_11target_archE906ELNS1_3gpuE6ELNS1_3repE0EEENS1_48merge_mergepath_partition_config_static_selectorELNS0_4arch9wavefront6targetE0EEEvSF_
		.amdhsa_group_segment_fixed_size 0
		.amdhsa_private_segment_fixed_size 0
		.amdhsa_kernarg_size 40
		.amdhsa_user_sgpr_count 2
		.amdhsa_user_sgpr_dispatch_ptr 0
		.amdhsa_user_sgpr_queue_ptr 0
		.amdhsa_user_sgpr_kernarg_segment_ptr 1
		.amdhsa_user_sgpr_dispatch_id 0
		.amdhsa_user_sgpr_kernarg_preload_length 0
		.amdhsa_user_sgpr_kernarg_preload_offset 0
		.amdhsa_user_sgpr_private_segment_size 0
		.amdhsa_wavefront_size32 1
		.amdhsa_uses_dynamic_stack 0
		.amdhsa_enable_private_segment 0
		.amdhsa_system_sgpr_workgroup_id_x 1
		.amdhsa_system_sgpr_workgroup_id_y 0
		.amdhsa_system_sgpr_workgroup_id_z 0
		.amdhsa_system_sgpr_workgroup_info 0
		.amdhsa_system_vgpr_workitem_id 0
		.amdhsa_next_free_vgpr 1
		.amdhsa_next_free_sgpr 1
		.amdhsa_named_barrier_count 0
		.amdhsa_reserve_vcc 0
		.amdhsa_float_round_mode_32 0
		.amdhsa_float_round_mode_16_64 0
		.amdhsa_float_denorm_mode_32 3
		.amdhsa_float_denorm_mode_16_64 3
		.amdhsa_fp16_overflow 0
		.amdhsa_memory_ordered 1
		.amdhsa_forward_progress 1
		.amdhsa_inst_pref_size 0
		.amdhsa_round_robin_scheduling 0
		.amdhsa_exception_fp_ieee_invalid_op 0
		.amdhsa_exception_fp_denorm_src 0
		.amdhsa_exception_fp_ieee_div_zero 0
		.amdhsa_exception_fp_ieee_overflow 0
		.amdhsa_exception_fp_ieee_underflow 0
		.amdhsa_exception_fp_ieee_inexact 0
		.amdhsa_exception_int_div_zero 0
	.end_amdhsa_kernel
	.section	.text._ZN7rocprim17ROCPRIM_400000_NS6detail17trampoline_kernelINS0_14default_configENS1_38merge_sort_block_merge_config_selectorImNS0_10empty_typeEEEZZNS1_27merge_sort_block_merge_implIS3_PmPS5_jNS1_19radix_merge_compareILb1ELb1EmNS0_19identity_decomposerEEEEE10hipError_tT0_T1_T2_jT3_P12ihipStream_tbPNSt15iterator_traitsISE_E10value_typeEPNSK_ISF_E10value_typeEPSG_NS1_7vsmem_tEENKUlT_SE_SF_SG_E_clIS8_S8_S9_S9_EESD_ST_SE_SF_SG_EUlST_E_NS1_11comp_targetILNS1_3genE2ELNS1_11target_archE906ELNS1_3gpuE6ELNS1_3repE0EEENS1_48merge_mergepath_partition_config_static_selectorELNS0_4arch9wavefront6targetE0EEEvSF_,"axG",@progbits,_ZN7rocprim17ROCPRIM_400000_NS6detail17trampoline_kernelINS0_14default_configENS1_38merge_sort_block_merge_config_selectorImNS0_10empty_typeEEEZZNS1_27merge_sort_block_merge_implIS3_PmPS5_jNS1_19radix_merge_compareILb1ELb1EmNS0_19identity_decomposerEEEEE10hipError_tT0_T1_T2_jT3_P12ihipStream_tbPNSt15iterator_traitsISE_E10value_typeEPNSK_ISF_E10value_typeEPSG_NS1_7vsmem_tEENKUlT_SE_SF_SG_E_clIS8_S8_S9_S9_EESD_ST_SE_SF_SG_EUlST_E_NS1_11comp_targetILNS1_3genE2ELNS1_11target_archE906ELNS1_3gpuE6ELNS1_3repE0EEENS1_48merge_mergepath_partition_config_static_selectorELNS0_4arch9wavefront6targetE0EEEvSF_,comdat
.Lfunc_end2835:
	.size	_ZN7rocprim17ROCPRIM_400000_NS6detail17trampoline_kernelINS0_14default_configENS1_38merge_sort_block_merge_config_selectorImNS0_10empty_typeEEEZZNS1_27merge_sort_block_merge_implIS3_PmPS5_jNS1_19radix_merge_compareILb1ELb1EmNS0_19identity_decomposerEEEEE10hipError_tT0_T1_T2_jT3_P12ihipStream_tbPNSt15iterator_traitsISE_E10value_typeEPNSK_ISF_E10value_typeEPSG_NS1_7vsmem_tEENKUlT_SE_SF_SG_E_clIS8_S8_S9_S9_EESD_ST_SE_SF_SG_EUlST_E_NS1_11comp_targetILNS1_3genE2ELNS1_11target_archE906ELNS1_3gpuE6ELNS1_3repE0EEENS1_48merge_mergepath_partition_config_static_selectorELNS0_4arch9wavefront6targetE0EEEvSF_, .Lfunc_end2835-_ZN7rocprim17ROCPRIM_400000_NS6detail17trampoline_kernelINS0_14default_configENS1_38merge_sort_block_merge_config_selectorImNS0_10empty_typeEEEZZNS1_27merge_sort_block_merge_implIS3_PmPS5_jNS1_19radix_merge_compareILb1ELb1EmNS0_19identity_decomposerEEEEE10hipError_tT0_T1_T2_jT3_P12ihipStream_tbPNSt15iterator_traitsISE_E10value_typeEPNSK_ISF_E10value_typeEPSG_NS1_7vsmem_tEENKUlT_SE_SF_SG_E_clIS8_S8_S9_S9_EESD_ST_SE_SF_SG_EUlST_E_NS1_11comp_targetILNS1_3genE2ELNS1_11target_archE906ELNS1_3gpuE6ELNS1_3repE0EEENS1_48merge_mergepath_partition_config_static_selectorELNS0_4arch9wavefront6targetE0EEEvSF_
                                        ; -- End function
	.set _ZN7rocprim17ROCPRIM_400000_NS6detail17trampoline_kernelINS0_14default_configENS1_38merge_sort_block_merge_config_selectorImNS0_10empty_typeEEEZZNS1_27merge_sort_block_merge_implIS3_PmPS5_jNS1_19radix_merge_compareILb1ELb1EmNS0_19identity_decomposerEEEEE10hipError_tT0_T1_T2_jT3_P12ihipStream_tbPNSt15iterator_traitsISE_E10value_typeEPNSK_ISF_E10value_typeEPSG_NS1_7vsmem_tEENKUlT_SE_SF_SG_E_clIS8_S8_S9_S9_EESD_ST_SE_SF_SG_EUlST_E_NS1_11comp_targetILNS1_3genE2ELNS1_11target_archE906ELNS1_3gpuE6ELNS1_3repE0EEENS1_48merge_mergepath_partition_config_static_selectorELNS0_4arch9wavefront6targetE0EEEvSF_.num_vgpr, 0
	.set _ZN7rocprim17ROCPRIM_400000_NS6detail17trampoline_kernelINS0_14default_configENS1_38merge_sort_block_merge_config_selectorImNS0_10empty_typeEEEZZNS1_27merge_sort_block_merge_implIS3_PmPS5_jNS1_19radix_merge_compareILb1ELb1EmNS0_19identity_decomposerEEEEE10hipError_tT0_T1_T2_jT3_P12ihipStream_tbPNSt15iterator_traitsISE_E10value_typeEPNSK_ISF_E10value_typeEPSG_NS1_7vsmem_tEENKUlT_SE_SF_SG_E_clIS8_S8_S9_S9_EESD_ST_SE_SF_SG_EUlST_E_NS1_11comp_targetILNS1_3genE2ELNS1_11target_archE906ELNS1_3gpuE6ELNS1_3repE0EEENS1_48merge_mergepath_partition_config_static_selectorELNS0_4arch9wavefront6targetE0EEEvSF_.num_agpr, 0
	.set _ZN7rocprim17ROCPRIM_400000_NS6detail17trampoline_kernelINS0_14default_configENS1_38merge_sort_block_merge_config_selectorImNS0_10empty_typeEEEZZNS1_27merge_sort_block_merge_implIS3_PmPS5_jNS1_19radix_merge_compareILb1ELb1EmNS0_19identity_decomposerEEEEE10hipError_tT0_T1_T2_jT3_P12ihipStream_tbPNSt15iterator_traitsISE_E10value_typeEPNSK_ISF_E10value_typeEPSG_NS1_7vsmem_tEENKUlT_SE_SF_SG_E_clIS8_S8_S9_S9_EESD_ST_SE_SF_SG_EUlST_E_NS1_11comp_targetILNS1_3genE2ELNS1_11target_archE906ELNS1_3gpuE6ELNS1_3repE0EEENS1_48merge_mergepath_partition_config_static_selectorELNS0_4arch9wavefront6targetE0EEEvSF_.numbered_sgpr, 0
	.set _ZN7rocprim17ROCPRIM_400000_NS6detail17trampoline_kernelINS0_14default_configENS1_38merge_sort_block_merge_config_selectorImNS0_10empty_typeEEEZZNS1_27merge_sort_block_merge_implIS3_PmPS5_jNS1_19radix_merge_compareILb1ELb1EmNS0_19identity_decomposerEEEEE10hipError_tT0_T1_T2_jT3_P12ihipStream_tbPNSt15iterator_traitsISE_E10value_typeEPNSK_ISF_E10value_typeEPSG_NS1_7vsmem_tEENKUlT_SE_SF_SG_E_clIS8_S8_S9_S9_EESD_ST_SE_SF_SG_EUlST_E_NS1_11comp_targetILNS1_3genE2ELNS1_11target_archE906ELNS1_3gpuE6ELNS1_3repE0EEENS1_48merge_mergepath_partition_config_static_selectorELNS0_4arch9wavefront6targetE0EEEvSF_.num_named_barrier, 0
	.set _ZN7rocprim17ROCPRIM_400000_NS6detail17trampoline_kernelINS0_14default_configENS1_38merge_sort_block_merge_config_selectorImNS0_10empty_typeEEEZZNS1_27merge_sort_block_merge_implIS3_PmPS5_jNS1_19radix_merge_compareILb1ELb1EmNS0_19identity_decomposerEEEEE10hipError_tT0_T1_T2_jT3_P12ihipStream_tbPNSt15iterator_traitsISE_E10value_typeEPNSK_ISF_E10value_typeEPSG_NS1_7vsmem_tEENKUlT_SE_SF_SG_E_clIS8_S8_S9_S9_EESD_ST_SE_SF_SG_EUlST_E_NS1_11comp_targetILNS1_3genE2ELNS1_11target_archE906ELNS1_3gpuE6ELNS1_3repE0EEENS1_48merge_mergepath_partition_config_static_selectorELNS0_4arch9wavefront6targetE0EEEvSF_.private_seg_size, 0
	.set _ZN7rocprim17ROCPRIM_400000_NS6detail17trampoline_kernelINS0_14default_configENS1_38merge_sort_block_merge_config_selectorImNS0_10empty_typeEEEZZNS1_27merge_sort_block_merge_implIS3_PmPS5_jNS1_19radix_merge_compareILb1ELb1EmNS0_19identity_decomposerEEEEE10hipError_tT0_T1_T2_jT3_P12ihipStream_tbPNSt15iterator_traitsISE_E10value_typeEPNSK_ISF_E10value_typeEPSG_NS1_7vsmem_tEENKUlT_SE_SF_SG_E_clIS8_S8_S9_S9_EESD_ST_SE_SF_SG_EUlST_E_NS1_11comp_targetILNS1_3genE2ELNS1_11target_archE906ELNS1_3gpuE6ELNS1_3repE0EEENS1_48merge_mergepath_partition_config_static_selectorELNS0_4arch9wavefront6targetE0EEEvSF_.uses_vcc, 0
	.set _ZN7rocprim17ROCPRIM_400000_NS6detail17trampoline_kernelINS0_14default_configENS1_38merge_sort_block_merge_config_selectorImNS0_10empty_typeEEEZZNS1_27merge_sort_block_merge_implIS3_PmPS5_jNS1_19radix_merge_compareILb1ELb1EmNS0_19identity_decomposerEEEEE10hipError_tT0_T1_T2_jT3_P12ihipStream_tbPNSt15iterator_traitsISE_E10value_typeEPNSK_ISF_E10value_typeEPSG_NS1_7vsmem_tEENKUlT_SE_SF_SG_E_clIS8_S8_S9_S9_EESD_ST_SE_SF_SG_EUlST_E_NS1_11comp_targetILNS1_3genE2ELNS1_11target_archE906ELNS1_3gpuE6ELNS1_3repE0EEENS1_48merge_mergepath_partition_config_static_selectorELNS0_4arch9wavefront6targetE0EEEvSF_.uses_flat_scratch, 0
	.set _ZN7rocprim17ROCPRIM_400000_NS6detail17trampoline_kernelINS0_14default_configENS1_38merge_sort_block_merge_config_selectorImNS0_10empty_typeEEEZZNS1_27merge_sort_block_merge_implIS3_PmPS5_jNS1_19radix_merge_compareILb1ELb1EmNS0_19identity_decomposerEEEEE10hipError_tT0_T1_T2_jT3_P12ihipStream_tbPNSt15iterator_traitsISE_E10value_typeEPNSK_ISF_E10value_typeEPSG_NS1_7vsmem_tEENKUlT_SE_SF_SG_E_clIS8_S8_S9_S9_EESD_ST_SE_SF_SG_EUlST_E_NS1_11comp_targetILNS1_3genE2ELNS1_11target_archE906ELNS1_3gpuE6ELNS1_3repE0EEENS1_48merge_mergepath_partition_config_static_selectorELNS0_4arch9wavefront6targetE0EEEvSF_.has_dyn_sized_stack, 0
	.set _ZN7rocprim17ROCPRIM_400000_NS6detail17trampoline_kernelINS0_14default_configENS1_38merge_sort_block_merge_config_selectorImNS0_10empty_typeEEEZZNS1_27merge_sort_block_merge_implIS3_PmPS5_jNS1_19radix_merge_compareILb1ELb1EmNS0_19identity_decomposerEEEEE10hipError_tT0_T1_T2_jT3_P12ihipStream_tbPNSt15iterator_traitsISE_E10value_typeEPNSK_ISF_E10value_typeEPSG_NS1_7vsmem_tEENKUlT_SE_SF_SG_E_clIS8_S8_S9_S9_EESD_ST_SE_SF_SG_EUlST_E_NS1_11comp_targetILNS1_3genE2ELNS1_11target_archE906ELNS1_3gpuE6ELNS1_3repE0EEENS1_48merge_mergepath_partition_config_static_selectorELNS0_4arch9wavefront6targetE0EEEvSF_.has_recursion, 0
	.set _ZN7rocprim17ROCPRIM_400000_NS6detail17trampoline_kernelINS0_14default_configENS1_38merge_sort_block_merge_config_selectorImNS0_10empty_typeEEEZZNS1_27merge_sort_block_merge_implIS3_PmPS5_jNS1_19radix_merge_compareILb1ELb1EmNS0_19identity_decomposerEEEEE10hipError_tT0_T1_T2_jT3_P12ihipStream_tbPNSt15iterator_traitsISE_E10value_typeEPNSK_ISF_E10value_typeEPSG_NS1_7vsmem_tEENKUlT_SE_SF_SG_E_clIS8_S8_S9_S9_EESD_ST_SE_SF_SG_EUlST_E_NS1_11comp_targetILNS1_3genE2ELNS1_11target_archE906ELNS1_3gpuE6ELNS1_3repE0EEENS1_48merge_mergepath_partition_config_static_selectorELNS0_4arch9wavefront6targetE0EEEvSF_.has_indirect_call, 0
	.section	.AMDGPU.csdata,"",@progbits
; Kernel info:
; codeLenInByte = 0
; TotalNumSgprs: 0
; NumVgprs: 0
; ScratchSize: 0
; MemoryBound: 0
; FloatMode: 240
; IeeeMode: 1
; LDSByteSize: 0 bytes/workgroup (compile time only)
; SGPRBlocks: 0
; VGPRBlocks: 0
; NumSGPRsForWavesPerEU: 1
; NumVGPRsForWavesPerEU: 1
; NamedBarCnt: 0
; Occupancy: 16
; WaveLimiterHint : 0
; COMPUTE_PGM_RSRC2:SCRATCH_EN: 0
; COMPUTE_PGM_RSRC2:USER_SGPR: 2
; COMPUTE_PGM_RSRC2:TRAP_HANDLER: 0
; COMPUTE_PGM_RSRC2:TGID_X_EN: 1
; COMPUTE_PGM_RSRC2:TGID_Y_EN: 0
; COMPUTE_PGM_RSRC2:TGID_Z_EN: 0
; COMPUTE_PGM_RSRC2:TIDIG_COMP_CNT: 0
	.section	.text._ZN7rocprim17ROCPRIM_400000_NS6detail17trampoline_kernelINS0_14default_configENS1_38merge_sort_block_merge_config_selectorImNS0_10empty_typeEEEZZNS1_27merge_sort_block_merge_implIS3_PmPS5_jNS1_19radix_merge_compareILb1ELb1EmNS0_19identity_decomposerEEEEE10hipError_tT0_T1_T2_jT3_P12ihipStream_tbPNSt15iterator_traitsISE_E10value_typeEPNSK_ISF_E10value_typeEPSG_NS1_7vsmem_tEENKUlT_SE_SF_SG_E_clIS8_S8_S9_S9_EESD_ST_SE_SF_SG_EUlST_E_NS1_11comp_targetILNS1_3genE9ELNS1_11target_archE1100ELNS1_3gpuE3ELNS1_3repE0EEENS1_48merge_mergepath_partition_config_static_selectorELNS0_4arch9wavefront6targetE0EEEvSF_,"axG",@progbits,_ZN7rocprim17ROCPRIM_400000_NS6detail17trampoline_kernelINS0_14default_configENS1_38merge_sort_block_merge_config_selectorImNS0_10empty_typeEEEZZNS1_27merge_sort_block_merge_implIS3_PmPS5_jNS1_19radix_merge_compareILb1ELb1EmNS0_19identity_decomposerEEEEE10hipError_tT0_T1_T2_jT3_P12ihipStream_tbPNSt15iterator_traitsISE_E10value_typeEPNSK_ISF_E10value_typeEPSG_NS1_7vsmem_tEENKUlT_SE_SF_SG_E_clIS8_S8_S9_S9_EESD_ST_SE_SF_SG_EUlST_E_NS1_11comp_targetILNS1_3genE9ELNS1_11target_archE1100ELNS1_3gpuE3ELNS1_3repE0EEENS1_48merge_mergepath_partition_config_static_selectorELNS0_4arch9wavefront6targetE0EEEvSF_,comdat
	.protected	_ZN7rocprim17ROCPRIM_400000_NS6detail17trampoline_kernelINS0_14default_configENS1_38merge_sort_block_merge_config_selectorImNS0_10empty_typeEEEZZNS1_27merge_sort_block_merge_implIS3_PmPS5_jNS1_19radix_merge_compareILb1ELb1EmNS0_19identity_decomposerEEEEE10hipError_tT0_T1_T2_jT3_P12ihipStream_tbPNSt15iterator_traitsISE_E10value_typeEPNSK_ISF_E10value_typeEPSG_NS1_7vsmem_tEENKUlT_SE_SF_SG_E_clIS8_S8_S9_S9_EESD_ST_SE_SF_SG_EUlST_E_NS1_11comp_targetILNS1_3genE9ELNS1_11target_archE1100ELNS1_3gpuE3ELNS1_3repE0EEENS1_48merge_mergepath_partition_config_static_selectorELNS0_4arch9wavefront6targetE0EEEvSF_ ; -- Begin function _ZN7rocprim17ROCPRIM_400000_NS6detail17trampoline_kernelINS0_14default_configENS1_38merge_sort_block_merge_config_selectorImNS0_10empty_typeEEEZZNS1_27merge_sort_block_merge_implIS3_PmPS5_jNS1_19radix_merge_compareILb1ELb1EmNS0_19identity_decomposerEEEEE10hipError_tT0_T1_T2_jT3_P12ihipStream_tbPNSt15iterator_traitsISE_E10value_typeEPNSK_ISF_E10value_typeEPSG_NS1_7vsmem_tEENKUlT_SE_SF_SG_E_clIS8_S8_S9_S9_EESD_ST_SE_SF_SG_EUlST_E_NS1_11comp_targetILNS1_3genE9ELNS1_11target_archE1100ELNS1_3gpuE3ELNS1_3repE0EEENS1_48merge_mergepath_partition_config_static_selectorELNS0_4arch9wavefront6targetE0EEEvSF_
	.globl	_ZN7rocprim17ROCPRIM_400000_NS6detail17trampoline_kernelINS0_14default_configENS1_38merge_sort_block_merge_config_selectorImNS0_10empty_typeEEEZZNS1_27merge_sort_block_merge_implIS3_PmPS5_jNS1_19radix_merge_compareILb1ELb1EmNS0_19identity_decomposerEEEEE10hipError_tT0_T1_T2_jT3_P12ihipStream_tbPNSt15iterator_traitsISE_E10value_typeEPNSK_ISF_E10value_typeEPSG_NS1_7vsmem_tEENKUlT_SE_SF_SG_E_clIS8_S8_S9_S9_EESD_ST_SE_SF_SG_EUlST_E_NS1_11comp_targetILNS1_3genE9ELNS1_11target_archE1100ELNS1_3gpuE3ELNS1_3repE0EEENS1_48merge_mergepath_partition_config_static_selectorELNS0_4arch9wavefront6targetE0EEEvSF_
	.p2align	8
	.type	_ZN7rocprim17ROCPRIM_400000_NS6detail17trampoline_kernelINS0_14default_configENS1_38merge_sort_block_merge_config_selectorImNS0_10empty_typeEEEZZNS1_27merge_sort_block_merge_implIS3_PmPS5_jNS1_19radix_merge_compareILb1ELb1EmNS0_19identity_decomposerEEEEE10hipError_tT0_T1_T2_jT3_P12ihipStream_tbPNSt15iterator_traitsISE_E10value_typeEPNSK_ISF_E10value_typeEPSG_NS1_7vsmem_tEENKUlT_SE_SF_SG_E_clIS8_S8_S9_S9_EESD_ST_SE_SF_SG_EUlST_E_NS1_11comp_targetILNS1_3genE9ELNS1_11target_archE1100ELNS1_3gpuE3ELNS1_3repE0EEENS1_48merge_mergepath_partition_config_static_selectorELNS0_4arch9wavefront6targetE0EEEvSF_,@function
_ZN7rocprim17ROCPRIM_400000_NS6detail17trampoline_kernelINS0_14default_configENS1_38merge_sort_block_merge_config_selectorImNS0_10empty_typeEEEZZNS1_27merge_sort_block_merge_implIS3_PmPS5_jNS1_19radix_merge_compareILb1ELb1EmNS0_19identity_decomposerEEEEE10hipError_tT0_T1_T2_jT3_P12ihipStream_tbPNSt15iterator_traitsISE_E10value_typeEPNSK_ISF_E10value_typeEPSG_NS1_7vsmem_tEENKUlT_SE_SF_SG_E_clIS8_S8_S9_S9_EESD_ST_SE_SF_SG_EUlST_E_NS1_11comp_targetILNS1_3genE9ELNS1_11target_archE1100ELNS1_3gpuE3ELNS1_3repE0EEENS1_48merge_mergepath_partition_config_static_selectorELNS0_4arch9wavefront6targetE0EEEvSF_: ; @_ZN7rocprim17ROCPRIM_400000_NS6detail17trampoline_kernelINS0_14default_configENS1_38merge_sort_block_merge_config_selectorImNS0_10empty_typeEEEZZNS1_27merge_sort_block_merge_implIS3_PmPS5_jNS1_19radix_merge_compareILb1ELb1EmNS0_19identity_decomposerEEEEE10hipError_tT0_T1_T2_jT3_P12ihipStream_tbPNSt15iterator_traitsISE_E10value_typeEPNSK_ISF_E10value_typeEPSG_NS1_7vsmem_tEENKUlT_SE_SF_SG_E_clIS8_S8_S9_S9_EESD_ST_SE_SF_SG_EUlST_E_NS1_11comp_targetILNS1_3genE9ELNS1_11target_archE1100ELNS1_3gpuE3ELNS1_3repE0EEENS1_48merge_mergepath_partition_config_static_selectorELNS0_4arch9wavefront6targetE0EEEvSF_
; %bb.0:
	.section	.rodata,"a",@progbits
	.p2align	6, 0x0
	.amdhsa_kernel _ZN7rocprim17ROCPRIM_400000_NS6detail17trampoline_kernelINS0_14default_configENS1_38merge_sort_block_merge_config_selectorImNS0_10empty_typeEEEZZNS1_27merge_sort_block_merge_implIS3_PmPS5_jNS1_19radix_merge_compareILb1ELb1EmNS0_19identity_decomposerEEEEE10hipError_tT0_T1_T2_jT3_P12ihipStream_tbPNSt15iterator_traitsISE_E10value_typeEPNSK_ISF_E10value_typeEPSG_NS1_7vsmem_tEENKUlT_SE_SF_SG_E_clIS8_S8_S9_S9_EESD_ST_SE_SF_SG_EUlST_E_NS1_11comp_targetILNS1_3genE9ELNS1_11target_archE1100ELNS1_3gpuE3ELNS1_3repE0EEENS1_48merge_mergepath_partition_config_static_selectorELNS0_4arch9wavefront6targetE0EEEvSF_
		.amdhsa_group_segment_fixed_size 0
		.amdhsa_private_segment_fixed_size 0
		.amdhsa_kernarg_size 40
		.amdhsa_user_sgpr_count 2
		.amdhsa_user_sgpr_dispatch_ptr 0
		.amdhsa_user_sgpr_queue_ptr 0
		.amdhsa_user_sgpr_kernarg_segment_ptr 1
		.amdhsa_user_sgpr_dispatch_id 0
		.amdhsa_user_sgpr_kernarg_preload_length 0
		.amdhsa_user_sgpr_kernarg_preload_offset 0
		.amdhsa_user_sgpr_private_segment_size 0
		.amdhsa_wavefront_size32 1
		.amdhsa_uses_dynamic_stack 0
		.amdhsa_enable_private_segment 0
		.amdhsa_system_sgpr_workgroup_id_x 1
		.amdhsa_system_sgpr_workgroup_id_y 0
		.amdhsa_system_sgpr_workgroup_id_z 0
		.amdhsa_system_sgpr_workgroup_info 0
		.amdhsa_system_vgpr_workitem_id 0
		.amdhsa_next_free_vgpr 1
		.amdhsa_next_free_sgpr 1
		.amdhsa_named_barrier_count 0
		.amdhsa_reserve_vcc 0
		.amdhsa_float_round_mode_32 0
		.amdhsa_float_round_mode_16_64 0
		.amdhsa_float_denorm_mode_32 3
		.amdhsa_float_denorm_mode_16_64 3
		.amdhsa_fp16_overflow 0
		.amdhsa_memory_ordered 1
		.amdhsa_forward_progress 1
		.amdhsa_inst_pref_size 0
		.amdhsa_round_robin_scheduling 0
		.amdhsa_exception_fp_ieee_invalid_op 0
		.amdhsa_exception_fp_denorm_src 0
		.amdhsa_exception_fp_ieee_div_zero 0
		.amdhsa_exception_fp_ieee_overflow 0
		.amdhsa_exception_fp_ieee_underflow 0
		.amdhsa_exception_fp_ieee_inexact 0
		.amdhsa_exception_int_div_zero 0
	.end_amdhsa_kernel
	.section	.text._ZN7rocprim17ROCPRIM_400000_NS6detail17trampoline_kernelINS0_14default_configENS1_38merge_sort_block_merge_config_selectorImNS0_10empty_typeEEEZZNS1_27merge_sort_block_merge_implIS3_PmPS5_jNS1_19radix_merge_compareILb1ELb1EmNS0_19identity_decomposerEEEEE10hipError_tT0_T1_T2_jT3_P12ihipStream_tbPNSt15iterator_traitsISE_E10value_typeEPNSK_ISF_E10value_typeEPSG_NS1_7vsmem_tEENKUlT_SE_SF_SG_E_clIS8_S8_S9_S9_EESD_ST_SE_SF_SG_EUlST_E_NS1_11comp_targetILNS1_3genE9ELNS1_11target_archE1100ELNS1_3gpuE3ELNS1_3repE0EEENS1_48merge_mergepath_partition_config_static_selectorELNS0_4arch9wavefront6targetE0EEEvSF_,"axG",@progbits,_ZN7rocprim17ROCPRIM_400000_NS6detail17trampoline_kernelINS0_14default_configENS1_38merge_sort_block_merge_config_selectorImNS0_10empty_typeEEEZZNS1_27merge_sort_block_merge_implIS3_PmPS5_jNS1_19radix_merge_compareILb1ELb1EmNS0_19identity_decomposerEEEEE10hipError_tT0_T1_T2_jT3_P12ihipStream_tbPNSt15iterator_traitsISE_E10value_typeEPNSK_ISF_E10value_typeEPSG_NS1_7vsmem_tEENKUlT_SE_SF_SG_E_clIS8_S8_S9_S9_EESD_ST_SE_SF_SG_EUlST_E_NS1_11comp_targetILNS1_3genE9ELNS1_11target_archE1100ELNS1_3gpuE3ELNS1_3repE0EEENS1_48merge_mergepath_partition_config_static_selectorELNS0_4arch9wavefront6targetE0EEEvSF_,comdat
.Lfunc_end2836:
	.size	_ZN7rocprim17ROCPRIM_400000_NS6detail17trampoline_kernelINS0_14default_configENS1_38merge_sort_block_merge_config_selectorImNS0_10empty_typeEEEZZNS1_27merge_sort_block_merge_implIS3_PmPS5_jNS1_19radix_merge_compareILb1ELb1EmNS0_19identity_decomposerEEEEE10hipError_tT0_T1_T2_jT3_P12ihipStream_tbPNSt15iterator_traitsISE_E10value_typeEPNSK_ISF_E10value_typeEPSG_NS1_7vsmem_tEENKUlT_SE_SF_SG_E_clIS8_S8_S9_S9_EESD_ST_SE_SF_SG_EUlST_E_NS1_11comp_targetILNS1_3genE9ELNS1_11target_archE1100ELNS1_3gpuE3ELNS1_3repE0EEENS1_48merge_mergepath_partition_config_static_selectorELNS0_4arch9wavefront6targetE0EEEvSF_, .Lfunc_end2836-_ZN7rocprim17ROCPRIM_400000_NS6detail17trampoline_kernelINS0_14default_configENS1_38merge_sort_block_merge_config_selectorImNS0_10empty_typeEEEZZNS1_27merge_sort_block_merge_implIS3_PmPS5_jNS1_19radix_merge_compareILb1ELb1EmNS0_19identity_decomposerEEEEE10hipError_tT0_T1_T2_jT3_P12ihipStream_tbPNSt15iterator_traitsISE_E10value_typeEPNSK_ISF_E10value_typeEPSG_NS1_7vsmem_tEENKUlT_SE_SF_SG_E_clIS8_S8_S9_S9_EESD_ST_SE_SF_SG_EUlST_E_NS1_11comp_targetILNS1_3genE9ELNS1_11target_archE1100ELNS1_3gpuE3ELNS1_3repE0EEENS1_48merge_mergepath_partition_config_static_selectorELNS0_4arch9wavefront6targetE0EEEvSF_
                                        ; -- End function
	.set _ZN7rocprim17ROCPRIM_400000_NS6detail17trampoline_kernelINS0_14default_configENS1_38merge_sort_block_merge_config_selectorImNS0_10empty_typeEEEZZNS1_27merge_sort_block_merge_implIS3_PmPS5_jNS1_19radix_merge_compareILb1ELb1EmNS0_19identity_decomposerEEEEE10hipError_tT0_T1_T2_jT3_P12ihipStream_tbPNSt15iterator_traitsISE_E10value_typeEPNSK_ISF_E10value_typeEPSG_NS1_7vsmem_tEENKUlT_SE_SF_SG_E_clIS8_S8_S9_S9_EESD_ST_SE_SF_SG_EUlST_E_NS1_11comp_targetILNS1_3genE9ELNS1_11target_archE1100ELNS1_3gpuE3ELNS1_3repE0EEENS1_48merge_mergepath_partition_config_static_selectorELNS0_4arch9wavefront6targetE0EEEvSF_.num_vgpr, 0
	.set _ZN7rocprim17ROCPRIM_400000_NS6detail17trampoline_kernelINS0_14default_configENS1_38merge_sort_block_merge_config_selectorImNS0_10empty_typeEEEZZNS1_27merge_sort_block_merge_implIS3_PmPS5_jNS1_19radix_merge_compareILb1ELb1EmNS0_19identity_decomposerEEEEE10hipError_tT0_T1_T2_jT3_P12ihipStream_tbPNSt15iterator_traitsISE_E10value_typeEPNSK_ISF_E10value_typeEPSG_NS1_7vsmem_tEENKUlT_SE_SF_SG_E_clIS8_S8_S9_S9_EESD_ST_SE_SF_SG_EUlST_E_NS1_11comp_targetILNS1_3genE9ELNS1_11target_archE1100ELNS1_3gpuE3ELNS1_3repE0EEENS1_48merge_mergepath_partition_config_static_selectorELNS0_4arch9wavefront6targetE0EEEvSF_.num_agpr, 0
	.set _ZN7rocprim17ROCPRIM_400000_NS6detail17trampoline_kernelINS0_14default_configENS1_38merge_sort_block_merge_config_selectorImNS0_10empty_typeEEEZZNS1_27merge_sort_block_merge_implIS3_PmPS5_jNS1_19radix_merge_compareILb1ELb1EmNS0_19identity_decomposerEEEEE10hipError_tT0_T1_T2_jT3_P12ihipStream_tbPNSt15iterator_traitsISE_E10value_typeEPNSK_ISF_E10value_typeEPSG_NS1_7vsmem_tEENKUlT_SE_SF_SG_E_clIS8_S8_S9_S9_EESD_ST_SE_SF_SG_EUlST_E_NS1_11comp_targetILNS1_3genE9ELNS1_11target_archE1100ELNS1_3gpuE3ELNS1_3repE0EEENS1_48merge_mergepath_partition_config_static_selectorELNS0_4arch9wavefront6targetE0EEEvSF_.numbered_sgpr, 0
	.set _ZN7rocprim17ROCPRIM_400000_NS6detail17trampoline_kernelINS0_14default_configENS1_38merge_sort_block_merge_config_selectorImNS0_10empty_typeEEEZZNS1_27merge_sort_block_merge_implIS3_PmPS5_jNS1_19radix_merge_compareILb1ELb1EmNS0_19identity_decomposerEEEEE10hipError_tT0_T1_T2_jT3_P12ihipStream_tbPNSt15iterator_traitsISE_E10value_typeEPNSK_ISF_E10value_typeEPSG_NS1_7vsmem_tEENKUlT_SE_SF_SG_E_clIS8_S8_S9_S9_EESD_ST_SE_SF_SG_EUlST_E_NS1_11comp_targetILNS1_3genE9ELNS1_11target_archE1100ELNS1_3gpuE3ELNS1_3repE0EEENS1_48merge_mergepath_partition_config_static_selectorELNS0_4arch9wavefront6targetE0EEEvSF_.num_named_barrier, 0
	.set _ZN7rocprim17ROCPRIM_400000_NS6detail17trampoline_kernelINS0_14default_configENS1_38merge_sort_block_merge_config_selectorImNS0_10empty_typeEEEZZNS1_27merge_sort_block_merge_implIS3_PmPS5_jNS1_19radix_merge_compareILb1ELb1EmNS0_19identity_decomposerEEEEE10hipError_tT0_T1_T2_jT3_P12ihipStream_tbPNSt15iterator_traitsISE_E10value_typeEPNSK_ISF_E10value_typeEPSG_NS1_7vsmem_tEENKUlT_SE_SF_SG_E_clIS8_S8_S9_S9_EESD_ST_SE_SF_SG_EUlST_E_NS1_11comp_targetILNS1_3genE9ELNS1_11target_archE1100ELNS1_3gpuE3ELNS1_3repE0EEENS1_48merge_mergepath_partition_config_static_selectorELNS0_4arch9wavefront6targetE0EEEvSF_.private_seg_size, 0
	.set _ZN7rocprim17ROCPRIM_400000_NS6detail17trampoline_kernelINS0_14default_configENS1_38merge_sort_block_merge_config_selectorImNS0_10empty_typeEEEZZNS1_27merge_sort_block_merge_implIS3_PmPS5_jNS1_19radix_merge_compareILb1ELb1EmNS0_19identity_decomposerEEEEE10hipError_tT0_T1_T2_jT3_P12ihipStream_tbPNSt15iterator_traitsISE_E10value_typeEPNSK_ISF_E10value_typeEPSG_NS1_7vsmem_tEENKUlT_SE_SF_SG_E_clIS8_S8_S9_S9_EESD_ST_SE_SF_SG_EUlST_E_NS1_11comp_targetILNS1_3genE9ELNS1_11target_archE1100ELNS1_3gpuE3ELNS1_3repE0EEENS1_48merge_mergepath_partition_config_static_selectorELNS0_4arch9wavefront6targetE0EEEvSF_.uses_vcc, 0
	.set _ZN7rocprim17ROCPRIM_400000_NS6detail17trampoline_kernelINS0_14default_configENS1_38merge_sort_block_merge_config_selectorImNS0_10empty_typeEEEZZNS1_27merge_sort_block_merge_implIS3_PmPS5_jNS1_19radix_merge_compareILb1ELb1EmNS0_19identity_decomposerEEEEE10hipError_tT0_T1_T2_jT3_P12ihipStream_tbPNSt15iterator_traitsISE_E10value_typeEPNSK_ISF_E10value_typeEPSG_NS1_7vsmem_tEENKUlT_SE_SF_SG_E_clIS8_S8_S9_S9_EESD_ST_SE_SF_SG_EUlST_E_NS1_11comp_targetILNS1_3genE9ELNS1_11target_archE1100ELNS1_3gpuE3ELNS1_3repE0EEENS1_48merge_mergepath_partition_config_static_selectorELNS0_4arch9wavefront6targetE0EEEvSF_.uses_flat_scratch, 0
	.set _ZN7rocprim17ROCPRIM_400000_NS6detail17trampoline_kernelINS0_14default_configENS1_38merge_sort_block_merge_config_selectorImNS0_10empty_typeEEEZZNS1_27merge_sort_block_merge_implIS3_PmPS5_jNS1_19radix_merge_compareILb1ELb1EmNS0_19identity_decomposerEEEEE10hipError_tT0_T1_T2_jT3_P12ihipStream_tbPNSt15iterator_traitsISE_E10value_typeEPNSK_ISF_E10value_typeEPSG_NS1_7vsmem_tEENKUlT_SE_SF_SG_E_clIS8_S8_S9_S9_EESD_ST_SE_SF_SG_EUlST_E_NS1_11comp_targetILNS1_3genE9ELNS1_11target_archE1100ELNS1_3gpuE3ELNS1_3repE0EEENS1_48merge_mergepath_partition_config_static_selectorELNS0_4arch9wavefront6targetE0EEEvSF_.has_dyn_sized_stack, 0
	.set _ZN7rocprim17ROCPRIM_400000_NS6detail17trampoline_kernelINS0_14default_configENS1_38merge_sort_block_merge_config_selectorImNS0_10empty_typeEEEZZNS1_27merge_sort_block_merge_implIS3_PmPS5_jNS1_19radix_merge_compareILb1ELb1EmNS0_19identity_decomposerEEEEE10hipError_tT0_T1_T2_jT3_P12ihipStream_tbPNSt15iterator_traitsISE_E10value_typeEPNSK_ISF_E10value_typeEPSG_NS1_7vsmem_tEENKUlT_SE_SF_SG_E_clIS8_S8_S9_S9_EESD_ST_SE_SF_SG_EUlST_E_NS1_11comp_targetILNS1_3genE9ELNS1_11target_archE1100ELNS1_3gpuE3ELNS1_3repE0EEENS1_48merge_mergepath_partition_config_static_selectorELNS0_4arch9wavefront6targetE0EEEvSF_.has_recursion, 0
	.set _ZN7rocprim17ROCPRIM_400000_NS6detail17trampoline_kernelINS0_14default_configENS1_38merge_sort_block_merge_config_selectorImNS0_10empty_typeEEEZZNS1_27merge_sort_block_merge_implIS3_PmPS5_jNS1_19radix_merge_compareILb1ELb1EmNS0_19identity_decomposerEEEEE10hipError_tT0_T1_T2_jT3_P12ihipStream_tbPNSt15iterator_traitsISE_E10value_typeEPNSK_ISF_E10value_typeEPSG_NS1_7vsmem_tEENKUlT_SE_SF_SG_E_clIS8_S8_S9_S9_EESD_ST_SE_SF_SG_EUlST_E_NS1_11comp_targetILNS1_3genE9ELNS1_11target_archE1100ELNS1_3gpuE3ELNS1_3repE0EEENS1_48merge_mergepath_partition_config_static_selectorELNS0_4arch9wavefront6targetE0EEEvSF_.has_indirect_call, 0
	.section	.AMDGPU.csdata,"",@progbits
; Kernel info:
; codeLenInByte = 0
; TotalNumSgprs: 0
; NumVgprs: 0
; ScratchSize: 0
; MemoryBound: 0
; FloatMode: 240
; IeeeMode: 1
; LDSByteSize: 0 bytes/workgroup (compile time only)
; SGPRBlocks: 0
; VGPRBlocks: 0
; NumSGPRsForWavesPerEU: 1
; NumVGPRsForWavesPerEU: 1
; NamedBarCnt: 0
; Occupancy: 16
; WaveLimiterHint : 0
; COMPUTE_PGM_RSRC2:SCRATCH_EN: 0
; COMPUTE_PGM_RSRC2:USER_SGPR: 2
; COMPUTE_PGM_RSRC2:TRAP_HANDLER: 0
; COMPUTE_PGM_RSRC2:TGID_X_EN: 1
; COMPUTE_PGM_RSRC2:TGID_Y_EN: 0
; COMPUTE_PGM_RSRC2:TGID_Z_EN: 0
; COMPUTE_PGM_RSRC2:TIDIG_COMP_CNT: 0
	.section	.text._ZN7rocprim17ROCPRIM_400000_NS6detail17trampoline_kernelINS0_14default_configENS1_38merge_sort_block_merge_config_selectorImNS0_10empty_typeEEEZZNS1_27merge_sort_block_merge_implIS3_PmPS5_jNS1_19radix_merge_compareILb1ELb1EmNS0_19identity_decomposerEEEEE10hipError_tT0_T1_T2_jT3_P12ihipStream_tbPNSt15iterator_traitsISE_E10value_typeEPNSK_ISF_E10value_typeEPSG_NS1_7vsmem_tEENKUlT_SE_SF_SG_E_clIS8_S8_S9_S9_EESD_ST_SE_SF_SG_EUlST_E_NS1_11comp_targetILNS1_3genE8ELNS1_11target_archE1030ELNS1_3gpuE2ELNS1_3repE0EEENS1_48merge_mergepath_partition_config_static_selectorELNS0_4arch9wavefront6targetE0EEEvSF_,"axG",@progbits,_ZN7rocprim17ROCPRIM_400000_NS6detail17trampoline_kernelINS0_14default_configENS1_38merge_sort_block_merge_config_selectorImNS0_10empty_typeEEEZZNS1_27merge_sort_block_merge_implIS3_PmPS5_jNS1_19radix_merge_compareILb1ELb1EmNS0_19identity_decomposerEEEEE10hipError_tT0_T1_T2_jT3_P12ihipStream_tbPNSt15iterator_traitsISE_E10value_typeEPNSK_ISF_E10value_typeEPSG_NS1_7vsmem_tEENKUlT_SE_SF_SG_E_clIS8_S8_S9_S9_EESD_ST_SE_SF_SG_EUlST_E_NS1_11comp_targetILNS1_3genE8ELNS1_11target_archE1030ELNS1_3gpuE2ELNS1_3repE0EEENS1_48merge_mergepath_partition_config_static_selectorELNS0_4arch9wavefront6targetE0EEEvSF_,comdat
	.protected	_ZN7rocprim17ROCPRIM_400000_NS6detail17trampoline_kernelINS0_14default_configENS1_38merge_sort_block_merge_config_selectorImNS0_10empty_typeEEEZZNS1_27merge_sort_block_merge_implIS3_PmPS5_jNS1_19radix_merge_compareILb1ELb1EmNS0_19identity_decomposerEEEEE10hipError_tT0_T1_T2_jT3_P12ihipStream_tbPNSt15iterator_traitsISE_E10value_typeEPNSK_ISF_E10value_typeEPSG_NS1_7vsmem_tEENKUlT_SE_SF_SG_E_clIS8_S8_S9_S9_EESD_ST_SE_SF_SG_EUlST_E_NS1_11comp_targetILNS1_3genE8ELNS1_11target_archE1030ELNS1_3gpuE2ELNS1_3repE0EEENS1_48merge_mergepath_partition_config_static_selectorELNS0_4arch9wavefront6targetE0EEEvSF_ ; -- Begin function _ZN7rocprim17ROCPRIM_400000_NS6detail17trampoline_kernelINS0_14default_configENS1_38merge_sort_block_merge_config_selectorImNS0_10empty_typeEEEZZNS1_27merge_sort_block_merge_implIS3_PmPS5_jNS1_19radix_merge_compareILb1ELb1EmNS0_19identity_decomposerEEEEE10hipError_tT0_T1_T2_jT3_P12ihipStream_tbPNSt15iterator_traitsISE_E10value_typeEPNSK_ISF_E10value_typeEPSG_NS1_7vsmem_tEENKUlT_SE_SF_SG_E_clIS8_S8_S9_S9_EESD_ST_SE_SF_SG_EUlST_E_NS1_11comp_targetILNS1_3genE8ELNS1_11target_archE1030ELNS1_3gpuE2ELNS1_3repE0EEENS1_48merge_mergepath_partition_config_static_selectorELNS0_4arch9wavefront6targetE0EEEvSF_
	.globl	_ZN7rocprim17ROCPRIM_400000_NS6detail17trampoline_kernelINS0_14default_configENS1_38merge_sort_block_merge_config_selectorImNS0_10empty_typeEEEZZNS1_27merge_sort_block_merge_implIS3_PmPS5_jNS1_19radix_merge_compareILb1ELb1EmNS0_19identity_decomposerEEEEE10hipError_tT0_T1_T2_jT3_P12ihipStream_tbPNSt15iterator_traitsISE_E10value_typeEPNSK_ISF_E10value_typeEPSG_NS1_7vsmem_tEENKUlT_SE_SF_SG_E_clIS8_S8_S9_S9_EESD_ST_SE_SF_SG_EUlST_E_NS1_11comp_targetILNS1_3genE8ELNS1_11target_archE1030ELNS1_3gpuE2ELNS1_3repE0EEENS1_48merge_mergepath_partition_config_static_selectorELNS0_4arch9wavefront6targetE0EEEvSF_
	.p2align	8
	.type	_ZN7rocprim17ROCPRIM_400000_NS6detail17trampoline_kernelINS0_14default_configENS1_38merge_sort_block_merge_config_selectorImNS0_10empty_typeEEEZZNS1_27merge_sort_block_merge_implIS3_PmPS5_jNS1_19radix_merge_compareILb1ELb1EmNS0_19identity_decomposerEEEEE10hipError_tT0_T1_T2_jT3_P12ihipStream_tbPNSt15iterator_traitsISE_E10value_typeEPNSK_ISF_E10value_typeEPSG_NS1_7vsmem_tEENKUlT_SE_SF_SG_E_clIS8_S8_S9_S9_EESD_ST_SE_SF_SG_EUlST_E_NS1_11comp_targetILNS1_3genE8ELNS1_11target_archE1030ELNS1_3gpuE2ELNS1_3repE0EEENS1_48merge_mergepath_partition_config_static_selectorELNS0_4arch9wavefront6targetE0EEEvSF_,@function
_ZN7rocprim17ROCPRIM_400000_NS6detail17trampoline_kernelINS0_14default_configENS1_38merge_sort_block_merge_config_selectorImNS0_10empty_typeEEEZZNS1_27merge_sort_block_merge_implIS3_PmPS5_jNS1_19radix_merge_compareILb1ELb1EmNS0_19identity_decomposerEEEEE10hipError_tT0_T1_T2_jT3_P12ihipStream_tbPNSt15iterator_traitsISE_E10value_typeEPNSK_ISF_E10value_typeEPSG_NS1_7vsmem_tEENKUlT_SE_SF_SG_E_clIS8_S8_S9_S9_EESD_ST_SE_SF_SG_EUlST_E_NS1_11comp_targetILNS1_3genE8ELNS1_11target_archE1030ELNS1_3gpuE2ELNS1_3repE0EEENS1_48merge_mergepath_partition_config_static_selectorELNS0_4arch9wavefront6targetE0EEEvSF_: ; @_ZN7rocprim17ROCPRIM_400000_NS6detail17trampoline_kernelINS0_14default_configENS1_38merge_sort_block_merge_config_selectorImNS0_10empty_typeEEEZZNS1_27merge_sort_block_merge_implIS3_PmPS5_jNS1_19radix_merge_compareILb1ELb1EmNS0_19identity_decomposerEEEEE10hipError_tT0_T1_T2_jT3_P12ihipStream_tbPNSt15iterator_traitsISE_E10value_typeEPNSK_ISF_E10value_typeEPSG_NS1_7vsmem_tEENKUlT_SE_SF_SG_E_clIS8_S8_S9_S9_EESD_ST_SE_SF_SG_EUlST_E_NS1_11comp_targetILNS1_3genE8ELNS1_11target_archE1030ELNS1_3gpuE2ELNS1_3repE0EEENS1_48merge_mergepath_partition_config_static_selectorELNS0_4arch9wavefront6targetE0EEEvSF_
; %bb.0:
	.section	.rodata,"a",@progbits
	.p2align	6, 0x0
	.amdhsa_kernel _ZN7rocprim17ROCPRIM_400000_NS6detail17trampoline_kernelINS0_14default_configENS1_38merge_sort_block_merge_config_selectorImNS0_10empty_typeEEEZZNS1_27merge_sort_block_merge_implIS3_PmPS5_jNS1_19radix_merge_compareILb1ELb1EmNS0_19identity_decomposerEEEEE10hipError_tT0_T1_T2_jT3_P12ihipStream_tbPNSt15iterator_traitsISE_E10value_typeEPNSK_ISF_E10value_typeEPSG_NS1_7vsmem_tEENKUlT_SE_SF_SG_E_clIS8_S8_S9_S9_EESD_ST_SE_SF_SG_EUlST_E_NS1_11comp_targetILNS1_3genE8ELNS1_11target_archE1030ELNS1_3gpuE2ELNS1_3repE0EEENS1_48merge_mergepath_partition_config_static_selectorELNS0_4arch9wavefront6targetE0EEEvSF_
		.amdhsa_group_segment_fixed_size 0
		.amdhsa_private_segment_fixed_size 0
		.amdhsa_kernarg_size 40
		.amdhsa_user_sgpr_count 2
		.amdhsa_user_sgpr_dispatch_ptr 0
		.amdhsa_user_sgpr_queue_ptr 0
		.amdhsa_user_sgpr_kernarg_segment_ptr 1
		.amdhsa_user_sgpr_dispatch_id 0
		.amdhsa_user_sgpr_kernarg_preload_length 0
		.amdhsa_user_sgpr_kernarg_preload_offset 0
		.amdhsa_user_sgpr_private_segment_size 0
		.amdhsa_wavefront_size32 1
		.amdhsa_uses_dynamic_stack 0
		.amdhsa_enable_private_segment 0
		.amdhsa_system_sgpr_workgroup_id_x 1
		.amdhsa_system_sgpr_workgroup_id_y 0
		.amdhsa_system_sgpr_workgroup_id_z 0
		.amdhsa_system_sgpr_workgroup_info 0
		.amdhsa_system_vgpr_workitem_id 0
		.amdhsa_next_free_vgpr 1
		.amdhsa_next_free_sgpr 1
		.amdhsa_named_barrier_count 0
		.amdhsa_reserve_vcc 0
		.amdhsa_float_round_mode_32 0
		.amdhsa_float_round_mode_16_64 0
		.amdhsa_float_denorm_mode_32 3
		.amdhsa_float_denorm_mode_16_64 3
		.amdhsa_fp16_overflow 0
		.amdhsa_memory_ordered 1
		.amdhsa_forward_progress 1
		.amdhsa_inst_pref_size 0
		.amdhsa_round_robin_scheduling 0
		.amdhsa_exception_fp_ieee_invalid_op 0
		.amdhsa_exception_fp_denorm_src 0
		.amdhsa_exception_fp_ieee_div_zero 0
		.amdhsa_exception_fp_ieee_overflow 0
		.amdhsa_exception_fp_ieee_underflow 0
		.amdhsa_exception_fp_ieee_inexact 0
		.amdhsa_exception_int_div_zero 0
	.end_amdhsa_kernel
	.section	.text._ZN7rocprim17ROCPRIM_400000_NS6detail17trampoline_kernelINS0_14default_configENS1_38merge_sort_block_merge_config_selectorImNS0_10empty_typeEEEZZNS1_27merge_sort_block_merge_implIS3_PmPS5_jNS1_19radix_merge_compareILb1ELb1EmNS0_19identity_decomposerEEEEE10hipError_tT0_T1_T2_jT3_P12ihipStream_tbPNSt15iterator_traitsISE_E10value_typeEPNSK_ISF_E10value_typeEPSG_NS1_7vsmem_tEENKUlT_SE_SF_SG_E_clIS8_S8_S9_S9_EESD_ST_SE_SF_SG_EUlST_E_NS1_11comp_targetILNS1_3genE8ELNS1_11target_archE1030ELNS1_3gpuE2ELNS1_3repE0EEENS1_48merge_mergepath_partition_config_static_selectorELNS0_4arch9wavefront6targetE0EEEvSF_,"axG",@progbits,_ZN7rocprim17ROCPRIM_400000_NS6detail17trampoline_kernelINS0_14default_configENS1_38merge_sort_block_merge_config_selectorImNS0_10empty_typeEEEZZNS1_27merge_sort_block_merge_implIS3_PmPS5_jNS1_19radix_merge_compareILb1ELb1EmNS0_19identity_decomposerEEEEE10hipError_tT0_T1_T2_jT3_P12ihipStream_tbPNSt15iterator_traitsISE_E10value_typeEPNSK_ISF_E10value_typeEPSG_NS1_7vsmem_tEENKUlT_SE_SF_SG_E_clIS8_S8_S9_S9_EESD_ST_SE_SF_SG_EUlST_E_NS1_11comp_targetILNS1_3genE8ELNS1_11target_archE1030ELNS1_3gpuE2ELNS1_3repE0EEENS1_48merge_mergepath_partition_config_static_selectorELNS0_4arch9wavefront6targetE0EEEvSF_,comdat
.Lfunc_end2837:
	.size	_ZN7rocprim17ROCPRIM_400000_NS6detail17trampoline_kernelINS0_14default_configENS1_38merge_sort_block_merge_config_selectorImNS0_10empty_typeEEEZZNS1_27merge_sort_block_merge_implIS3_PmPS5_jNS1_19radix_merge_compareILb1ELb1EmNS0_19identity_decomposerEEEEE10hipError_tT0_T1_T2_jT3_P12ihipStream_tbPNSt15iterator_traitsISE_E10value_typeEPNSK_ISF_E10value_typeEPSG_NS1_7vsmem_tEENKUlT_SE_SF_SG_E_clIS8_S8_S9_S9_EESD_ST_SE_SF_SG_EUlST_E_NS1_11comp_targetILNS1_3genE8ELNS1_11target_archE1030ELNS1_3gpuE2ELNS1_3repE0EEENS1_48merge_mergepath_partition_config_static_selectorELNS0_4arch9wavefront6targetE0EEEvSF_, .Lfunc_end2837-_ZN7rocprim17ROCPRIM_400000_NS6detail17trampoline_kernelINS0_14default_configENS1_38merge_sort_block_merge_config_selectorImNS0_10empty_typeEEEZZNS1_27merge_sort_block_merge_implIS3_PmPS5_jNS1_19radix_merge_compareILb1ELb1EmNS0_19identity_decomposerEEEEE10hipError_tT0_T1_T2_jT3_P12ihipStream_tbPNSt15iterator_traitsISE_E10value_typeEPNSK_ISF_E10value_typeEPSG_NS1_7vsmem_tEENKUlT_SE_SF_SG_E_clIS8_S8_S9_S9_EESD_ST_SE_SF_SG_EUlST_E_NS1_11comp_targetILNS1_3genE8ELNS1_11target_archE1030ELNS1_3gpuE2ELNS1_3repE0EEENS1_48merge_mergepath_partition_config_static_selectorELNS0_4arch9wavefront6targetE0EEEvSF_
                                        ; -- End function
	.set _ZN7rocprim17ROCPRIM_400000_NS6detail17trampoline_kernelINS0_14default_configENS1_38merge_sort_block_merge_config_selectorImNS0_10empty_typeEEEZZNS1_27merge_sort_block_merge_implIS3_PmPS5_jNS1_19radix_merge_compareILb1ELb1EmNS0_19identity_decomposerEEEEE10hipError_tT0_T1_T2_jT3_P12ihipStream_tbPNSt15iterator_traitsISE_E10value_typeEPNSK_ISF_E10value_typeEPSG_NS1_7vsmem_tEENKUlT_SE_SF_SG_E_clIS8_S8_S9_S9_EESD_ST_SE_SF_SG_EUlST_E_NS1_11comp_targetILNS1_3genE8ELNS1_11target_archE1030ELNS1_3gpuE2ELNS1_3repE0EEENS1_48merge_mergepath_partition_config_static_selectorELNS0_4arch9wavefront6targetE0EEEvSF_.num_vgpr, 0
	.set _ZN7rocprim17ROCPRIM_400000_NS6detail17trampoline_kernelINS0_14default_configENS1_38merge_sort_block_merge_config_selectorImNS0_10empty_typeEEEZZNS1_27merge_sort_block_merge_implIS3_PmPS5_jNS1_19radix_merge_compareILb1ELb1EmNS0_19identity_decomposerEEEEE10hipError_tT0_T1_T2_jT3_P12ihipStream_tbPNSt15iterator_traitsISE_E10value_typeEPNSK_ISF_E10value_typeEPSG_NS1_7vsmem_tEENKUlT_SE_SF_SG_E_clIS8_S8_S9_S9_EESD_ST_SE_SF_SG_EUlST_E_NS1_11comp_targetILNS1_3genE8ELNS1_11target_archE1030ELNS1_3gpuE2ELNS1_3repE0EEENS1_48merge_mergepath_partition_config_static_selectorELNS0_4arch9wavefront6targetE0EEEvSF_.num_agpr, 0
	.set _ZN7rocprim17ROCPRIM_400000_NS6detail17trampoline_kernelINS0_14default_configENS1_38merge_sort_block_merge_config_selectorImNS0_10empty_typeEEEZZNS1_27merge_sort_block_merge_implIS3_PmPS5_jNS1_19radix_merge_compareILb1ELb1EmNS0_19identity_decomposerEEEEE10hipError_tT0_T1_T2_jT3_P12ihipStream_tbPNSt15iterator_traitsISE_E10value_typeEPNSK_ISF_E10value_typeEPSG_NS1_7vsmem_tEENKUlT_SE_SF_SG_E_clIS8_S8_S9_S9_EESD_ST_SE_SF_SG_EUlST_E_NS1_11comp_targetILNS1_3genE8ELNS1_11target_archE1030ELNS1_3gpuE2ELNS1_3repE0EEENS1_48merge_mergepath_partition_config_static_selectorELNS0_4arch9wavefront6targetE0EEEvSF_.numbered_sgpr, 0
	.set _ZN7rocprim17ROCPRIM_400000_NS6detail17trampoline_kernelINS0_14default_configENS1_38merge_sort_block_merge_config_selectorImNS0_10empty_typeEEEZZNS1_27merge_sort_block_merge_implIS3_PmPS5_jNS1_19radix_merge_compareILb1ELb1EmNS0_19identity_decomposerEEEEE10hipError_tT0_T1_T2_jT3_P12ihipStream_tbPNSt15iterator_traitsISE_E10value_typeEPNSK_ISF_E10value_typeEPSG_NS1_7vsmem_tEENKUlT_SE_SF_SG_E_clIS8_S8_S9_S9_EESD_ST_SE_SF_SG_EUlST_E_NS1_11comp_targetILNS1_3genE8ELNS1_11target_archE1030ELNS1_3gpuE2ELNS1_3repE0EEENS1_48merge_mergepath_partition_config_static_selectorELNS0_4arch9wavefront6targetE0EEEvSF_.num_named_barrier, 0
	.set _ZN7rocprim17ROCPRIM_400000_NS6detail17trampoline_kernelINS0_14default_configENS1_38merge_sort_block_merge_config_selectorImNS0_10empty_typeEEEZZNS1_27merge_sort_block_merge_implIS3_PmPS5_jNS1_19radix_merge_compareILb1ELb1EmNS0_19identity_decomposerEEEEE10hipError_tT0_T1_T2_jT3_P12ihipStream_tbPNSt15iterator_traitsISE_E10value_typeEPNSK_ISF_E10value_typeEPSG_NS1_7vsmem_tEENKUlT_SE_SF_SG_E_clIS8_S8_S9_S9_EESD_ST_SE_SF_SG_EUlST_E_NS1_11comp_targetILNS1_3genE8ELNS1_11target_archE1030ELNS1_3gpuE2ELNS1_3repE0EEENS1_48merge_mergepath_partition_config_static_selectorELNS0_4arch9wavefront6targetE0EEEvSF_.private_seg_size, 0
	.set _ZN7rocprim17ROCPRIM_400000_NS6detail17trampoline_kernelINS0_14default_configENS1_38merge_sort_block_merge_config_selectorImNS0_10empty_typeEEEZZNS1_27merge_sort_block_merge_implIS3_PmPS5_jNS1_19radix_merge_compareILb1ELb1EmNS0_19identity_decomposerEEEEE10hipError_tT0_T1_T2_jT3_P12ihipStream_tbPNSt15iterator_traitsISE_E10value_typeEPNSK_ISF_E10value_typeEPSG_NS1_7vsmem_tEENKUlT_SE_SF_SG_E_clIS8_S8_S9_S9_EESD_ST_SE_SF_SG_EUlST_E_NS1_11comp_targetILNS1_3genE8ELNS1_11target_archE1030ELNS1_3gpuE2ELNS1_3repE0EEENS1_48merge_mergepath_partition_config_static_selectorELNS0_4arch9wavefront6targetE0EEEvSF_.uses_vcc, 0
	.set _ZN7rocprim17ROCPRIM_400000_NS6detail17trampoline_kernelINS0_14default_configENS1_38merge_sort_block_merge_config_selectorImNS0_10empty_typeEEEZZNS1_27merge_sort_block_merge_implIS3_PmPS5_jNS1_19radix_merge_compareILb1ELb1EmNS0_19identity_decomposerEEEEE10hipError_tT0_T1_T2_jT3_P12ihipStream_tbPNSt15iterator_traitsISE_E10value_typeEPNSK_ISF_E10value_typeEPSG_NS1_7vsmem_tEENKUlT_SE_SF_SG_E_clIS8_S8_S9_S9_EESD_ST_SE_SF_SG_EUlST_E_NS1_11comp_targetILNS1_3genE8ELNS1_11target_archE1030ELNS1_3gpuE2ELNS1_3repE0EEENS1_48merge_mergepath_partition_config_static_selectorELNS0_4arch9wavefront6targetE0EEEvSF_.uses_flat_scratch, 0
	.set _ZN7rocprim17ROCPRIM_400000_NS6detail17trampoline_kernelINS0_14default_configENS1_38merge_sort_block_merge_config_selectorImNS0_10empty_typeEEEZZNS1_27merge_sort_block_merge_implIS3_PmPS5_jNS1_19radix_merge_compareILb1ELb1EmNS0_19identity_decomposerEEEEE10hipError_tT0_T1_T2_jT3_P12ihipStream_tbPNSt15iterator_traitsISE_E10value_typeEPNSK_ISF_E10value_typeEPSG_NS1_7vsmem_tEENKUlT_SE_SF_SG_E_clIS8_S8_S9_S9_EESD_ST_SE_SF_SG_EUlST_E_NS1_11comp_targetILNS1_3genE8ELNS1_11target_archE1030ELNS1_3gpuE2ELNS1_3repE0EEENS1_48merge_mergepath_partition_config_static_selectorELNS0_4arch9wavefront6targetE0EEEvSF_.has_dyn_sized_stack, 0
	.set _ZN7rocprim17ROCPRIM_400000_NS6detail17trampoline_kernelINS0_14default_configENS1_38merge_sort_block_merge_config_selectorImNS0_10empty_typeEEEZZNS1_27merge_sort_block_merge_implIS3_PmPS5_jNS1_19radix_merge_compareILb1ELb1EmNS0_19identity_decomposerEEEEE10hipError_tT0_T1_T2_jT3_P12ihipStream_tbPNSt15iterator_traitsISE_E10value_typeEPNSK_ISF_E10value_typeEPSG_NS1_7vsmem_tEENKUlT_SE_SF_SG_E_clIS8_S8_S9_S9_EESD_ST_SE_SF_SG_EUlST_E_NS1_11comp_targetILNS1_3genE8ELNS1_11target_archE1030ELNS1_3gpuE2ELNS1_3repE0EEENS1_48merge_mergepath_partition_config_static_selectorELNS0_4arch9wavefront6targetE0EEEvSF_.has_recursion, 0
	.set _ZN7rocprim17ROCPRIM_400000_NS6detail17trampoline_kernelINS0_14default_configENS1_38merge_sort_block_merge_config_selectorImNS0_10empty_typeEEEZZNS1_27merge_sort_block_merge_implIS3_PmPS5_jNS1_19radix_merge_compareILb1ELb1EmNS0_19identity_decomposerEEEEE10hipError_tT0_T1_T2_jT3_P12ihipStream_tbPNSt15iterator_traitsISE_E10value_typeEPNSK_ISF_E10value_typeEPSG_NS1_7vsmem_tEENKUlT_SE_SF_SG_E_clIS8_S8_S9_S9_EESD_ST_SE_SF_SG_EUlST_E_NS1_11comp_targetILNS1_3genE8ELNS1_11target_archE1030ELNS1_3gpuE2ELNS1_3repE0EEENS1_48merge_mergepath_partition_config_static_selectorELNS0_4arch9wavefront6targetE0EEEvSF_.has_indirect_call, 0
	.section	.AMDGPU.csdata,"",@progbits
; Kernel info:
; codeLenInByte = 0
; TotalNumSgprs: 0
; NumVgprs: 0
; ScratchSize: 0
; MemoryBound: 0
; FloatMode: 240
; IeeeMode: 1
; LDSByteSize: 0 bytes/workgroup (compile time only)
; SGPRBlocks: 0
; VGPRBlocks: 0
; NumSGPRsForWavesPerEU: 1
; NumVGPRsForWavesPerEU: 1
; NamedBarCnt: 0
; Occupancy: 16
; WaveLimiterHint : 0
; COMPUTE_PGM_RSRC2:SCRATCH_EN: 0
; COMPUTE_PGM_RSRC2:USER_SGPR: 2
; COMPUTE_PGM_RSRC2:TRAP_HANDLER: 0
; COMPUTE_PGM_RSRC2:TGID_X_EN: 1
; COMPUTE_PGM_RSRC2:TGID_Y_EN: 0
; COMPUTE_PGM_RSRC2:TGID_Z_EN: 0
; COMPUTE_PGM_RSRC2:TIDIG_COMP_CNT: 0
	.section	.text._ZN7rocprim17ROCPRIM_400000_NS6detail17trampoline_kernelINS0_14default_configENS1_38merge_sort_block_merge_config_selectorImNS0_10empty_typeEEEZZNS1_27merge_sort_block_merge_implIS3_PmPS5_jNS1_19radix_merge_compareILb1ELb1EmNS0_19identity_decomposerEEEEE10hipError_tT0_T1_T2_jT3_P12ihipStream_tbPNSt15iterator_traitsISE_E10value_typeEPNSK_ISF_E10value_typeEPSG_NS1_7vsmem_tEENKUlT_SE_SF_SG_E_clIS8_S8_S9_S9_EESD_ST_SE_SF_SG_EUlST_E0_NS1_11comp_targetILNS1_3genE0ELNS1_11target_archE4294967295ELNS1_3gpuE0ELNS1_3repE0EEENS1_38merge_mergepath_config_static_selectorELNS0_4arch9wavefront6targetE0EEEvSF_,"axG",@progbits,_ZN7rocprim17ROCPRIM_400000_NS6detail17trampoline_kernelINS0_14default_configENS1_38merge_sort_block_merge_config_selectorImNS0_10empty_typeEEEZZNS1_27merge_sort_block_merge_implIS3_PmPS5_jNS1_19radix_merge_compareILb1ELb1EmNS0_19identity_decomposerEEEEE10hipError_tT0_T1_T2_jT3_P12ihipStream_tbPNSt15iterator_traitsISE_E10value_typeEPNSK_ISF_E10value_typeEPSG_NS1_7vsmem_tEENKUlT_SE_SF_SG_E_clIS8_S8_S9_S9_EESD_ST_SE_SF_SG_EUlST_E0_NS1_11comp_targetILNS1_3genE0ELNS1_11target_archE4294967295ELNS1_3gpuE0ELNS1_3repE0EEENS1_38merge_mergepath_config_static_selectorELNS0_4arch9wavefront6targetE0EEEvSF_,comdat
	.protected	_ZN7rocprim17ROCPRIM_400000_NS6detail17trampoline_kernelINS0_14default_configENS1_38merge_sort_block_merge_config_selectorImNS0_10empty_typeEEEZZNS1_27merge_sort_block_merge_implIS3_PmPS5_jNS1_19radix_merge_compareILb1ELb1EmNS0_19identity_decomposerEEEEE10hipError_tT0_T1_T2_jT3_P12ihipStream_tbPNSt15iterator_traitsISE_E10value_typeEPNSK_ISF_E10value_typeEPSG_NS1_7vsmem_tEENKUlT_SE_SF_SG_E_clIS8_S8_S9_S9_EESD_ST_SE_SF_SG_EUlST_E0_NS1_11comp_targetILNS1_3genE0ELNS1_11target_archE4294967295ELNS1_3gpuE0ELNS1_3repE0EEENS1_38merge_mergepath_config_static_selectorELNS0_4arch9wavefront6targetE0EEEvSF_ ; -- Begin function _ZN7rocprim17ROCPRIM_400000_NS6detail17trampoline_kernelINS0_14default_configENS1_38merge_sort_block_merge_config_selectorImNS0_10empty_typeEEEZZNS1_27merge_sort_block_merge_implIS3_PmPS5_jNS1_19radix_merge_compareILb1ELb1EmNS0_19identity_decomposerEEEEE10hipError_tT0_T1_T2_jT3_P12ihipStream_tbPNSt15iterator_traitsISE_E10value_typeEPNSK_ISF_E10value_typeEPSG_NS1_7vsmem_tEENKUlT_SE_SF_SG_E_clIS8_S8_S9_S9_EESD_ST_SE_SF_SG_EUlST_E0_NS1_11comp_targetILNS1_3genE0ELNS1_11target_archE4294967295ELNS1_3gpuE0ELNS1_3repE0EEENS1_38merge_mergepath_config_static_selectorELNS0_4arch9wavefront6targetE0EEEvSF_
	.globl	_ZN7rocprim17ROCPRIM_400000_NS6detail17trampoline_kernelINS0_14default_configENS1_38merge_sort_block_merge_config_selectorImNS0_10empty_typeEEEZZNS1_27merge_sort_block_merge_implIS3_PmPS5_jNS1_19radix_merge_compareILb1ELb1EmNS0_19identity_decomposerEEEEE10hipError_tT0_T1_T2_jT3_P12ihipStream_tbPNSt15iterator_traitsISE_E10value_typeEPNSK_ISF_E10value_typeEPSG_NS1_7vsmem_tEENKUlT_SE_SF_SG_E_clIS8_S8_S9_S9_EESD_ST_SE_SF_SG_EUlST_E0_NS1_11comp_targetILNS1_3genE0ELNS1_11target_archE4294967295ELNS1_3gpuE0ELNS1_3repE0EEENS1_38merge_mergepath_config_static_selectorELNS0_4arch9wavefront6targetE0EEEvSF_
	.p2align	8
	.type	_ZN7rocprim17ROCPRIM_400000_NS6detail17trampoline_kernelINS0_14default_configENS1_38merge_sort_block_merge_config_selectorImNS0_10empty_typeEEEZZNS1_27merge_sort_block_merge_implIS3_PmPS5_jNS1_19radix_merge_compareILb1ELb1EmNS0_19identity_decomposerEEEEE10hipError_tT0_T1_T2_jT3_P12ihipStream_tbPNSt15iterator_traitsISE_E10value_typeEPNSK_ISF_E10value_typeEPSG_NS1_7vsmem_tEENKUlT_SE_SF_SG_E_clIS8_S8_S9_S9_EESD_ST_SE_SF_SG_EUlST_E0_NS1_11comp_targetILNS1_3genE0ELNS1_11target_archE4294967295ELNS1_3gpuE0ELNS1_3repE0EEENS1_38merge_mergepath_config_static_selectorELNS0_4arch9wavefront6targetE0EEEvSF_,@function
_ZN7rocprim17ROCPRIM_400000_NS6detail17trampoline_kernelINS0_14default_configENS1_38merge_sort_block_merge_config_selectorImNS0_10empty_typeEEEZZNS1_27merge_sort_block_merge_implIS3_PmPS5_jNS1_19radix_merge_compareILb1ELb1EmNS0_19identity_decomposerEEEEE10hipError_tT0_T1_T2_jT3_P12ihipStream_tbPNSt15iterator_traitsISE_E10value_typeEPNSK_ISF_E10value_typeEPSG_NS1_7vsmem_tEENKUlT_SE_SF_SG_E_clIS8_S8_S9_S9_EESD_ST_SE_SF_SG_EUlST_E0_NS1_11comp_targetILNS1_3genE0ELNS1_11target_archE4294967295ELNS1_3gpuE0ELNS1_3repE0EEENS1_38merge_mergepath_config_static_selectorELNS0_4arch9wavefront6targetE0EEEvSF_: ; @_ZN7rocprim17ROCPRIM_400000_NS6detail17trampoline_kernelINS0_14default_configENS1_38merge_sort_block_merge_config_selectorImNS0_10empty_typeEEEZZNS1_27merge_sort_block_merge_implIS3_PmPS5_jNS1_19radix_merge_compareILb1ELb1EmNS0_19identity_decomposerEEEEE10hipError_tT0_T1_T2_jT3_P12ihipStream_tbPNSt15iterator_traitsISE_E10value_typeEPNSK_ISF_E10value_typeEPSG_NS1_7vsmem_tEENKUlT_SE_SF_SG_E_clIS8_S8_S9_S9_EESD_ST_SE_SF_SG_EUlST_E0_NS1_11comp_targetILNS1_3genE0ELNS1_11target_archE4294967295ELNS1_3gpuE0ELNS1_3repE0EEENS1_38merge_mergepath_config_static_selectorELNS0_4arch9wavefront6targetE0EEEvSF_
; %bb.0:
	s_bfe_u32 s2, ttmp6, 0x40010
	s_and_b32 s4, ttmp7, 0xffff
	s_add_co_i32 s5, s2, 1
	s_clause 0x1
	s_load_b32 s6, s[0:1], 0x30
	s_load_b64 s[2:3], s[0:1], 0x48
	s_bfe_u32 s8, ttmp6, 0x4000c
	s_mul_i32 s5, s4, s5
	s_bfe_u32 s7, ttmp6, 0x40004
	s_add_co_i32 s8, s8, 1
	s_bfe_u32 s9, ttmp6, 0x40014
	s_add_co_i32 s7, s7, s5
	s_and_b32 s5, ttmp6, 15
	s_mul_i32 s8, ttmp9, s8
	s_lshr_b32 s10, ttmp7, 16
	s_add_co_i32 s9, s9, 1
	s_add_co_i32 s5, s5, s8
	s_mul_i32 s8, s10, s9
	s_bfe_u32 s9, ttmp6, 0x40008
	s_getreg_b32 s11, hwreg(HW_REG_IB_STS2, 6, 4)
	s_add_co_i32 s9, s9, s8
	s_cmp_eq_u32 s11, 0
	s_cselect_b32 s8, s10, s9
	s_cselect_b32 s4, s4, s7
	s_wait_kmcnt 0x0
	s_mul_i32 s8, s3, s8
	s_cselect_b32 s3, ttmp9, s5
	s_add_co_i32 s4, s8, s4
	s_mov_b32 s5, 0
	s_mul_i32 s4, s4, s2
	s_delay_alu instid0(SALU_CYCLE_1) | instskip(NEXT) | instid1(SALU_CYCLE_1)
	s_add_co_i32 s4, s4, s3
	s_cmp_ge_u32 s4, s6
	s_cbranch_scc1 .LBB2838_43
; %bb.1:
	v_mov_b32_e32 v21, 0
	s_add_nc_u64 s[6:7], s[0:1], 0x48
	v_lshlrev_b32_e32 v20, 3, v0
	global_load_b32 v1, v21, s[6:7] offset:14
	s_clause 0x2
	s_load_b64 s[8:9], s[0:1], 0x28
	s_load_b64 s[10:11], s[0:1], 0x40
	s_load_b64 s[12:13], s[0:1], 0x8
	s_wait_kmcnt 0x0
	s_lshr_b32 s22, s8, 10
	s_delay_alu instid0(SALU_CYCLE_1) | instskip(SKIP_2) | instid1(SALU_CYCLE_1)
	s_cmp_lg_u32 s4, s22
	s_cselect_b32 s16, -1, 0
	s_lshl_b64 s[14:15], s[4:5], 2
	s_add_nc_u64 s[10:11], s[10:11], s[14:15]
	s_load_b64 s[14:15], s[10:11], 0x0
	s_wait_xcnt 0x0
	s_lshr_b32 s10, s9, 9
	s_delay_alu instid0(SALU_CYCLE_1) | instskip(NEXT) | instid1(SALU_CYCLE_1)
	s_and_b32 s10, s10, 0x7ffffe
	s_sub_co_i32 s11, 0, s10
	s_lshl_b32 s10, s4, 10
	s_and_b32 s17, s4, s11
	s_or_b32 s11, s4, s11
	s_lshl_b32 s18, s17, 11
	s_lshl_b32 s17, s17, 10
	s_add_co_i32 s18, s18, s9
	s_sub_co_i32 s19, s10, s17
	s_sub_co_i32 s17, s18, s17
	s_add_co_i32 s18, s18, s19
	s_min_u32 s20, s8, s17
	s_add_co_i32 s17, s17, s9
	s_wait_kmcnt 0x0
	s_sub_co_i32 s9, s18, s14
	s_sub_co_i32 s19, s18, s15
	s_min_u32 s18, s8, s9
	s_add_co_i32 s9, s19, 0x400
	s_cmp_eq_u32 s11, -1
	s_mov_b32 s19, s5
	s_cselect_b32 s9, s17, s9
	s_cselect_b32 s11, s20, s15
	s_mov_b32 s15, s5
	s_min_u32 s17, s9, s8
	s_lshl_b64 s[20:21], s[18:19], 3
	s_sub_co_i32 s9, s11, s14
	s_lshl_b64 s[14:15], s[14:15], 3
	s_sub_co_i32 s17, s17, s18
	s_cmp_lt_u32 s3, s2
	s_mov_b32 s3, s5
	s_cselect_b32 s2, 12, 18
	s_add_nc_u64 s[14:15], s[12:13], s[14:15]
	s_add_nc_u64 s[2:3], s[6:7], s[2:3]
	s_cmp_eq_u32 s4, s22
	s_load_u16 s2, s[2:3], 0x0
	s_add_nc_u64 s[6:7], s[12:13], s[20:21]
	s_wait_loadcnt 0x0
	v_lshrrev_b32_e32 v2, 16, v1
	v_and_b32_e32 v1, 0xffff, v1
	s_delay_alu instid0(VALU_DEP_1) | instskip(SKIP_1) | instid1(VALU_DEP_1)
	v_mul_lo_u32 v1, v1, v2
	s_wait_kmcnt 0x0
	v_mul_lo_u32 v1, v1, s2
	s_mov_b32 s2, -1
	s_delay_alu instid0(VALU_DEP_1) | instskip(NEXT) | instid1(VALU_DEP_1)
	v_add_nc_u32_e32 v24, v1, v0
	v_add_nc_u32_e32 v22, v24, v1
	s_cbranch_scc1 .LBB2838_3
; %bb.2:
	v_sub_co_u32 v4, vcc_lo, v0, s9
	v_dual_mov_b32 v5, v21 :: v_dual_mov_b32 v25, v21
	v_add_nc_u64_e32 v[2:3], s[14:15], v[20:21]
	v_sub_co_u32 v8, s2, v24, s9
	s_delay_alu instid0(VALU_DEP_3) | instskip(SKIP_3) | instid1(VALU_DEP_4)
	v_lshl_add_u64 v[4:5], v[4:5], 3, s[6:7]
	v_dual_mov_b32 v9, v21 :: v_dual_mov_b32 v23, v21
	v_lshl_add_u64 v[6:7], v[24:25], 3, s[14:15]
	v_dual_mov_b32 v11, v21 :: v_dual_add_nc_u32 v12, v22, v1
	v_dual_cndmask_b32 v3, v5, v3 :: v_dual_cndmask_b32 v2, v4, v2
	s_delay_alu instid0(VALU_DEP_4) | instskip(SKIP_3) | instid1(VALU_DEP_4)
	v_lshl_add_u64 v[4:5], v[8:9], 3, s[6:7]
	v_sub_co_u32 v10, vcc_lo, v22, s9
	v_mov_b32_e32 v13, v21
	v_lshl_add_u64 v[8:9], v[22:23], 3, s[14:15]
	v_dual_cndmask_b32 v5, v5, v7, s2 :: v_dual_cndmask_b32 v4, v4, v6, s2
	s_delay_alu instid0(VALU_DEP_4) | instskip(NEXT) | instid1(VALU_DEP_4)
	v_lshl_add_u64 v[6:7], v[10:11], 3, s[6:7]
	v_lshl_add_u64 v[10:11], v[12:13], 3, s[14:15]
	v_sub_co_u32 v14, s2, v12, s9
	s_delay_alu instid0(VALU_DEP_3) | instskip(NEXT) | instid1(VALU_DEP_4)
	v_dual_mov_b32 v15, v21 :: v_dual_cndmask_b32 v7, v7, v9, vcc_lo
	v_dual_add_nc_u32 v12, v12, v1 :: v_dual_cndmask_b32 v6, v6, v8, vcc_lo
	v_mov_b32_e32 v17, v21
	s_delay_alu instid0(VALU_DEP_3) | instskip(SKIP_1) | instid1(VALU_DEP_4)
	v_lshl_add_u64 v[8:9], v[14:15], 3, s[6:7]
	v_mov_b32_e32 v27, v21
	v_lshl_add_u64 v[14:15], v[12:13], 3, s[14:15]
	v_sub_co_u32 v16, vcc_lo, v12, s9
	s_delay_alu instid0(VALU_DEP_4) | instskip(SKIP_1) | instid1(VALU_DEP_3)
	v_dual_add_nc_u32 v12, v12, v1 :: v_dual_cndmask_b32 v19, v9, v11, s2
	v_cndmask_b32_e64 v18, v8, v10, s2
	v_lshl_add_u64 v[8:9], v[16:17], 3, s[6:7]
	global_load_b64 v[2:3], v[2:3], off
	v_lshl_add_u64 v[10:11], v[12:13], 3, s[14:15]
	v_add_nc_u32_e32 v16, v12, v1
	v_sub_co_u32 v12, s2, v12, s9
	v_cndmask_b32_e32 v33, v9, v15, vcc_lo
	global_load_b64 v[4:5], v[4:5], off
	v_lshl_add_u64 v[28:29], v[16:17], 3, s[14:15]
	v_lshl_add_u64 v[12:13], v[12:13], 3, s[6:7]
	v_add_nc_u32_e32 v26, v16, v1
	v_sub_co_u32 v16, s3, v16, s9
	global_load_b64 v[6:7], v[6:7], off
	s_add_co_i32 s11, s17, s9
	v_lshl_add_u64 v[30:31], v[26:27], 3, s[14:15]
	v_sub_co_u32 v26, s4, v26, s9
	v_lshl_add_u64 v[16:17], v[16:17], 3, s[6:7]
	v_cndmask_b32_e32 v32, v8, v14, vcc_lo
	s_delay_alu instid0(VALU_DEP_3) | instskip(SKIP_1) | instid1(VALU_DEP_4)
	v_lshl_add_u64 v[8:9], v[26:27], 3, s[6:7]
	v_dual_cndmask_b32 v27, v13, v11, s2 :: v_dual_cndmask_b32 v26, v12, v10, s2
	v_dual_cndmask_b32 v29, v17, v29, s3 :: v_dual_cndmask_b32 v28, v16, v28, s3
	s_delay_alu instid0(VALU_DEP_3)
	v_dual_cndmask_b32 v31, v9, v31, s4 :: v_dual_cndmask_b32 v30, v8, v30, s4
	global_load_b64 v[8:9], v[18:19], off
	global_load_b64 v[10:11], v[32:33], off
	;; [unrolled: 1-line block ×5, first 2 shown]
	s_load_b64 s[12:13], s[0:1], 0x38
	s_cbranch_execz .LBB2838_4
	s_branch .LBB2838_19
.LBB2838_3:
                                        ; implicit-def: $vgpr2_vgpr3_vgpr4_vgpr5_vgpr6_vgpr7_vgpr8_vgpr9_vgpr10_vgpr11_vgpr12_vgpr13_vgpr14_vgpr15_vgpr16_vgpr17
                                        ; implicit-def: $sgpr11
	s_load_b64 s[12:13], s[0:1], 0x38
	s_and_not1_b32 vcc_lo, exec_lo, s2
	s_cbranch_vccnz .LBB2838_19
.LBB2838_4:
	s_wait_loadcnt 0x7
	v_mov_b32_e32 v2, 0
	s_add_co_i32 s11, s17, s9
	s_mov_b32 s2, exec_lo
	s_wait_loadcnt 0x6
	s_delay_alu instid0(VALU_DEP_1)
	v_dual_mov_b32 v3, v2 :: v_dual_mov_b32 v4, v2
	s_wait_loadcnt 0x5
	v_dual_mov_b32 v5, v2 :: v_dual_mov_b32 v6, v2
	s_wait_loadcnt 0x4
	;; [unrolled: 2-line block ×6, first 2 shown]
	v_dual_mov_b32 v15, v2 :: v_dual_mov_b32 v16, v2
	v_mov_b32_e32 v17, v2
	v_cmpx_gt_u32_e64 s11, v0
	s_cbranch_execnz .LBB2838_44
; %bb.5:
	s_or_b32 exec_lo, exec_lo, s2
	s_delay_alu instid0(SALU_CYCLE_1)
	s_mov_b32 s2, exec_lo
	v_cmpx_gt_u32_e64 s11, v24
	s_cbranch_execnz .LBB2838_45
.LBB2838_6:
	s_or_b32 exec_lo, exec_lo, s2
	s_delay_alu instid0(SALU_CYCLE_1)
	s_mov_b32 s2, exec_lo
	v_cmpx_gt_u32_e64 s11, v22
	s_cbranch_execz .LBB2838_8
.LBB2838_7:
	v_sub_co_u32 v18, vcc_lo, v22, s9
	v_mov_b32_e32 v23, 0
	s_delay_alu instid0(VALU_DEP_1) | instskip(SKIP_1) | instid1(VALU_DEP_1)
	v_lshl_add_u64 v[6:7], v[22:23], 3, s[14:15]
	v_mov_b32_e32 v19, v23
	v_lshl_add_u64 v[18:19], v[18:19], 3, s[6:7]
	s_delay_alu instid0(VALU_DEP_1)
	v_dual_cndmask_b32 v7, v19, v7 :: v_dual_cndmask_b32 v6, v18, v6
	global_load_b64 v[6:7], v[6:7], off
.LBB2838_8:
	s_wait_xcnt 0x0
	s_or_b32 exec_lo, exec_lo, s2
	v_add_nc_u32_e32 v18, v22, v1
	s_mov_b32 s2, exec_lo
	s_delay_alu instid0(VALU_DEP_1)
	v_cmpx_gt_u32_e64 s11, v18
	s_cbranch_execz .LBB2838_10
; %bb.9:
	v_sub_co_u32 v22, vcc_lo, v18, s9
	v_mov_b32_e32 v19, 0
	s_delay_alu instid0(VALU_DEP_1) | instskip(SKIP_1) | instid1(VALU_DEP_1)
	v_lshl_add_u64 v[8:9], v[18:19], 3, s[14:15]
	v_mov_b32_e32 v23, v19
	v_lshl_add_u64 v[22:23], v[22:23], 3, s[6:7]
	s_delay_alu instid0(VALU_DEP_1)
	v_dual_cndmask_b32 v9, v23, v9 :: v_dual_cndmask_b32 v8, v22, v8
	global_load_b64 v[8:9], v[8:9], off
.LBB2838_10:
	s_wait_xcnt 0x0
	s_or_b32 exec_lo, exec_lo, s2
	v_add_nc_u32_e32 v18, v18, v1
	s_mov_b32 s2, exec_lo
	s_delay_alu instid0(VALU_DEP_1)
	v_cmpx_gt_u32_e64 s11, v18
	s_cbranch_execz .LBB2838_12
; %bb.11:
	v_sub_co_u32 v22, vcc_lo, v18, s9
	v_mov_b32_e32 v19, 0
	s_delay_alu instid0(VALU_DEP_1) | instskip(SKIP_1) | instid1(VALU_DEP_1)
	v_lshl_add_u64 v[10:11], v[18:19], 3, s[14:15]
	v_mov_b32_e32 v23, v19
	v_lshl_add_u64 v[22:23], v[22:23], 3, s[6:7]
	s_delay_alu instid0(VALU_DEP_1)
	v_dual_cndmask_b32 v11, v23, v11 :: v_dual_cndmask_b32 v10, v22, v10
	global_load_b64 v[10:11], v[10:11], off
.LBB2838_12:
	;; [unrolled: 18-line block ×4, first 2 shown]
	s_wait_xcnt 0x0
	s_or_b32 exec_lo, exec_lo, s2
	v_add_nc_u32_e32 v18, v18, v1
	s_mov_b32 s2, exec_lo
	s_delay_alu instid0(VALU_DEP_1)
	v_cmpx_gt_u32_e64 s11, v18
	s_cbranch_execz .LBB2838_18
; %bb.17:
	v_mov_b32_e32 v19, 0
	s_delay_alu instid0(VALU_DEP_1) | instskip(SKIP_1) | instid1(VALU_DEP_1)
	v_lshl_add_u64 v[16:17], v[18:19], 3, s[14:15]
	v_sub_co_u32 v18, vcc_lo, v18, s9
	v_lshl_add_u64 v[18:19], v[18:19], 3, s[6:7]
	s_delay_alu instid0(VALU_DEP_1)
	v_dual_cndmask_b32 v17, v19, v17 :: v_dual_cndmask_b32 v16, v18, v16
	global_load_b64 v[16:17], v[16:17], off
.LBB2838_18:
	s_wait_xcnt 0x0
	s_or_b32 exec_lo, exec_lo, s2
.LBB2838_19:
	s_load_b64 s[14:15], s[0:1], 0x10
	v_min_u32_e32 v18, s11, v20
	s_wait_xcnt 0x0
	s_mov_b32 s0, exec_lo
	s_wait_loadcnt 0x0
	ds_store_2addr_stride64_b64 v20, v[2:3], v[4:5] offset1:2
	ds_store_2addr_stride64_b64 v20, v[6:7], v[8:9] offset0:4 offset1:6
	ds_store_2addr_stride64_b64 v20, v[10:11], v[12:13] offset0:8 offset1:10
	;; [unrolled: 1-line block ×3, first 2 shown]
	s_wait_dscnt 0x0
	s_barrier_signal -1
	v_sub_nc_u32_e64 v1, v18, s17 clamp
	v_min_u32_e32 v19, s9, v18
	s_barrier_wait -1
	s_delay_alu instid0(VALU_DEP_1)
	v_cmpx_lt_u32_e64 v1, v19
	s_cbranch_execz .LBB2838_23
; %bb.20:
	v_lshlrev_b32_e32 v21, 3, v18
	s_mov_b32 s1, 0
	s_delay_alu instid0(VALU_DEP_1)
	v_lshl_add_u32 v21, s9, 3, v21
.LBB2838_21:                            ; =>This Inner Loop Header: Depth=1
	v_add_nc_u32_e32 v22, v19, v1
	s_delay_alu instid0(VALU_DEP_1) | instskip(NEXT) | instid1(VALU_DEP_1)
	v_lshrrev_b32_e32 v26, 1, v22
	v_not_b32_e32 v22, v26
	v_lshlrev_b32_e32 v23, 3, v26
	s_delay_alu instid0(VALU_DEP_2)
	v_lshl_add_u32 v24, v22, 3, v21
	ds_load_b64 v[22:23], v23
	ds_load_b64 v[24:25], v24
	s_wait_dscnt 0x1
	s_wait_kmcnt 0x0
	v_and_b32_e32 v23, s13, v23
	v_and_b32_e32 v22, s12, v22
	s_wait_dscnt 0x0
	v_and_b32_e32 v25, s13, v25
	v_and_b32_e32 v24, s12, v24
	s_delay_alu instid0(VALU_DEP_1) | instskip(SKIP_1) | instid1(VALU_DEP_1)
	v_cmp_gt_u64_e32 vcc_lo, v[24:25], v[22:23]
	v_dual_cndmask_b32 v19, v19, v26 :: v_dual_add_nc_u32 v22, 1, v26
	v_cndmask_b32_e32 v1, v22, v1, vcc_lo
	s_delay_alu instid0(VALU_DEP_1) | instskip(SKIP_1) | instid1(SALU_CYCLE_1)
	v_cmp_ge_u32_e32 vcc_lo, v1, v19
	s_or_b32 s1, vcc_lo, s1
	s_and_not1_b32 exec_lo, exec_lo, s1
	s_cbranch_execnz .LBB2838_21
; %bb.22:
	s_or_b32 exec_lo, exec_lo, s1
.LBB2838_23:
	s_delay_alu instid0(SALU_CYCLE_1) | instskip(SKIP_2) | instid1(VALU_DEP_2)
	s_or_b32 exec_lo, exec_lo, s0
	v_sub_nc_u32_e32 v18, v18, v1
	v_cmp_ge_u32_e32 vcc_lo, s9, v1
	v_add_nc_u32_e32 v18, s9, v18
	s_delay_alu instid0(VALU_DEP_1) | instskip(SKIP_1) | instid1(SALU_CYCLE_1)
	v_cmp_ge_u32_e64 s0, s11, v18
	s_or_b32 s0, vcc_lo, s0
	s_and_saveexec_b32 s17, s0
	s_cbranch_execz .LBB2838_29
; %bb.24:
	v_cmp_gt_u32_e32 vcc_lo, s9, v1
                                        ; implicit-def: $vgpr2_vgpr3
	s_and_saveexec_b32 s0, vcc_lo
; %bb.25:
	v_lshlrev_b32_e32 v2, 3, v1
	ds_load_b64 v[2:3], v2
; %bb.26:
	s_or_b32 exec_lo, exec_lo, s0
	v_cmp_le_u32_e64 s0, s11, v18
	s_mov_b32 s2, exec_lo
                                        ; implicit-def: $vgpr4_vgpr5
	v_cmpx_gt_u32_e64 s11, v18
; %bb.27:
	v_lshlrev_b32_e32 v4, 3, v18
	ds_load_b64 v[4:5], v4
; %bb.28:
	s_or_b32 exec_lo, exec_lo, s2
	s_wait_dscnt 0x0
	s_wait_kmcnt 0x0
	v_dual_mov_b32 v10, s9 :: v_dual_bitop2_b32 v7, s13, v5 bitop3:0x40
	v_and_b32_e32 v6, s12, v4
	v_and_b32_e32 v9, s13, v3
	;; [unrolled: 1-line block ×3, first 2 shown]
	s_delay_alu instid0(VALU_DEP_1) | instskip(SKIP_1) | instid1(SALU_CYCLE_1)
	v_cmp_le_u64_e64 s1, v[6:7], v[8:9]
	s_and_b32 s1, vcc_lo, s1
	s_or_b32 vcc_lo, s0, s1
	v_cndmask_b32_e32 v6, v18, v1, vcc_lo
	v_cndmask_b32_e32 v7, s11, v10, vcc_lo
	s_delay_alu instid0(VALU_DEP_2) | instskip(NEXT) | instid1(VALU_DEP_1)
	v_add_nc_u32_e32 v11, 1, v6
	v_add_min_u32_e64 v6, v7, -1, v11
	s_delay_alu instid0(VALU_DEP_1)
	v_dual_cndmask_b32 v1, v1, v11 :: v_dual_lshlrev_b32 v6, 3, v6
	v_cndmask_b32_e32 v11, v11, v18, vcc_lo
	ds_load_b64 v[6:7], v6
	v_cmp_gt_u32_e64 s1, s9, v1
	v_cmp_le_u32_e64 s2, s11, v11
	s_wait_dscnt 0x0
	v_dual_cndmask_b32 v12, v7, v5 :: v_dual_cndmask_b32 v13, v6, v4
	v_dual_cndmask_b32 v14, v3, v7 :: v_dual_cndmask_b32 v15, v2, v6
	s_delay_alu instid0(VALU_DEP_2) | instskip(NEXT) | instid1(VALU_DEP_3)
	v_dual_cndmask_b32 v2, v4, v2, vcc_lo :: v_dual_bitop2_b32 v7, s13, v12 bitop3:0x40
	v_and_b32_e32 v6, s12, v13
	s_delay_alu instid0(VALU_DEP_3) | instskip(NEXT) | instid1(VALU_DEP_4)
	v_and_b32_e32 v9, s13, v14
	v_and_b32_e32 v8, s12, v15
	v_cndmask_b32_e32 v3, v5, v3, vcc_lo
	s_delay_alu instid0(VALU_DEP_2) | instskip(SKIP_1) | instid1(SALU_CYCLE_1)
	v_cmp_le_u64_e64 s0, v[6:7], v[8:9]
	s_and_b32 s0, s1, s0
	s_or_b32 s0, s2, s0
	s_delay_alu instid0(SALU_CYCLE_1) | instskip(SKIP_2) | instid1(VALU_DEP_3)
	v_cndmask_b32_e64 v6, v11, v1, s0
	v_cndmask_b32_e64 v7, s11, v10, s0
	v_dual_cndmask_b32 v5, v12, v14, s0 :: v_dual_cndmask_b32 v4, v13, v15, s0
	v_add_nc_u32_e32 v16, 1, v6
	s_delay_alu instid0(VALU_DEP_1) | instskip(SKIP_1) | instid1(VALU_DEP_2)
	v_add_min_u32_e64 v6, v7, -1, v16
	v_dual_cndmask_b32 v1, v1, v16, s0 :: v_dual_cndmask_b32 v11, v16, v11, s0
	v_lshlrev_b32_e32 v6, 3, v6
	s_delay_alu instid0(VALU_DEP_2) | instskip(NEXT) | instid1(VALU_DEP_3)
	v_cmp_gt_u32_e64 s2, s9, v1
	v_cmp_le_u32_e64 s3, s11, v11
	ds_load_b64 v[6:7], v6
	s_wait_dscnt 0x0
	v_dual_cndmask_b32 v17, v7, v12, s0 :: v_dual_cndmask_b32 v18, v6, v13, s0
	v_dual_cndmask_b32 v21, v15, v6, s0 :: v_dual_cndmask_b32 v19, v14, v7, s0
	s_delay_alu instid0(VALU_DEP_2) | instskip(NEXT) | instid1(VALU_DEP_3)
	v_and_b32_e32 v7, s13, v17
	v_and_b32_e32 v6, s12, v18
	s_delay_alu instid0(VALU_DEP_3) | instskip(NEXT) | instid1(VALU_DEP_4)
	v_and_b32_e32 v8, s12, v21
	v_and_b32_e32 v9, s13, v19
	s_delay_alu instid0(VALU_DEP_1) | instskip(SKIP_1) | instid1(SALU_CYCLE_1)
	v_cmp_le_u64_e64 s1, v[6:7], v[8:9]
	s_and_b32 s1, s2, s1
	s_or_b32 s1, s3, s1
	s_delay_alu instid0(SALU_CYCLE_1) | instskip(SKIP_1) | instid1(VALU_DEP_2)
	v_cndmask_b32_e64 v6, v11, v1, s1
	v_cndmask_b32_e64 v7, s11, v10, s1
	v_add_nc_u32_e32 v16, 1, v6
	s_delay_alu instid0(VALU_DEP_1) | instskip(NEXT) | instid1(VALU_DEP_1)
	v_add_min_u32_e64 v6, v7, -1, v16
	v_dual_lshlrev_b32 v6, 3, v6 :: v_dual_cndmask_b32 v1, v1, v16, s1
	v_cndmask_b32_e64 v11, v16, v11, s1
	ds_load_b64 v[6:7], v6
	v_cmp_gt_u32_e64 s3, s9, v1
	v_cmp_le_u32_e64 s4, s11, v11
	s_wait_dscnt 0x0
	v_dual_cndmask_b32 v22, v7, v17, s1 :: v_dual_cndmask_b32 v23, v6, v18, s1
	v_dual_cndmask_b32 v24, v19, v7, s1 :: v_dual_cndmask_b32 v25, v21, v6, s1
	s_delay_alu instid0(VALU_DEP_2) | instskip(NEXT) | instid1(VALU_DEP_3)
	v_and_b32_e32 v7, s13, v22
	v_and_b32_e32 v6, s12, v23
	s_delay_alu instid0(VALU_DEP_3) | instskip(NEXT) | instid1(VALU_DEP_4)
	v_and_b32_e32 v9, s13, v24
	v_and_b32_e32 v8, s12, v25
	s_delay_alu instid0(VALU_DEP_1) | instskip(SKIP_1) | instid1(SALU_CYCLE_1)
	v_cmp_le_u64_e64 s2, v[6:7], v[8:9]
	s_and_b32 s2, s3, s2
	s_or_b32 s2, s4, s2
	s_delay_alu instid0(SALU_CYCLE_1) | instskip(SKIP_1) | instid1(VALU_DEP_2)
	v_cndmask_b32_e64 v6, v11, v1, s2
	v_cndmask_b32_e64 v7, s11, v10, s2
	v_add_nc_u32_e32 v16, 1, v6
	s_delay_alu instid0(VALU_DEP_1) | instskip(SKIP_1) | instid1(VALU_DEP_2)
	v_add_min_u32_e64 v6, v7, -1, v16
	v_dual_cndmask_b32 v1, v1, v16, s2 :: v_dual_cndmask_b32 v11, v16, v11, s2
	v_lshlrev_b32_e32 v6, 3, v6
	s_delay_alu instid0(VALU_DEP_2) | instskip(NEXT) | instid1(VALU_DEP_3)
	v_cmp_gt_u32_e64 s4, s9, v1
	v_cmp_le_u32_e64 s5, s11, v11
	ds_load_b64 v[6:7], v6
	s_wait_dscnt 0x0
	v_dual_cndmask_b32 v26, v7, v22, s2 :: v_dual_cndmask_b32 v27, v6, v23, s2
	v_dual_cndmask_b32 v29, v25, v6, s2 :: v_dual_cndmask_b32 v28, v24, v7, s2
	s_delay_alu instid0(VALU_DEP_2) | instskip(NEXT) | instid1(VALU_DEP_3)
	v_and_b32_e32 v7, s13, v26
	v_and_b32_e32 v6, s12, v27
	s_delay_alu instid0(VALU_DEP_3) | instskip(NEXT) | instid1(VALU_DEP_4)
	v_and_b32_e32 v8, s12, v29
	v_and_b32_e32 v9, s13, v28
	s_delay_alu instid0(VALU_DEP_1) | instskip(SKIP_1) | instid1(SALU_CYCLE_1)
	v_cmp_le_u64_e64 s3, v[6:7], v[8:9]
	s_and_b32 s3, s4, s3
	s_or_b32 s3, s5, s3
	s_delay_alu instid0(SALU_CYCLE_1) | instskip(SKIP_1) | instid1(VALU_DEP_2)
	v_cndmask_b32_e64 v6, v11, v1, s3
	v_cndmask_b32_e64 v7, s11, v10, s3
	v_add_nc_u32_e32 v16, 1, v6
	s_delay_alu instid0(VALU_DEP_1) | instskip(NEXT) | instid1(VALU_DEP_1)
	v_add_min_u32_e64 v6, v7, -1, v16
	v_dual_lshlrev_b32 v6, 3, v6 :: v_dual_cndmask_b32 v1, v1, v16, s3
	v_cndmask_b32_e64 v11, v16, v11, s3
	ds_load_b64 v[6:7], v6
	v_cmp_gt_u32_e64 s5, s9, v1
	v_cmp_le_u32_e64 s6, s11, v11
	s_wait_dscnt 0x0
	v_dual_cndmask_b32 v30, v7, v26, s3 :: v_dual_cndmask_b32 v31, v6, v27, s3
	v_dual_cndmask_b32 v33, v29, v6, s3 :: v_dual_cndmask_b32 v32, v28, v7, s3
	s_delay_alu instid0(VALU_DEP_2) | instskip(NEXT) | instid1(VALU_DEP_3)
	v_and_b32_e32 v7, s13, v30
	v_and_b32_e32 v6, s12, v31
	s_delay_alu instid0(VALU_DEP_3) | instskip(NEXT) | instid1(VALU_DEP_4)
	v_and_b32_e32 v8, s12, v33
	v_and_b32_e32 v9, s13, v32
	s_delay_alu instid0(VALU_DEP_1) | instskip(SKIP_1) | instid1(SALU_CYCLE_1)
	v_cmp_le_u64_e64 s4, v[6:7], v[8:9]
	s_and_b32 s4, s5, s4
	s_or_b32 s4, s6, s4
	s_delay_alu instid0(SALU_CYCLE_1) | instskip(SKIP_1) | instid1(VALU_DEP_2)
	v_cndmask_b32_e64 v6, v11, v1, s4
	v_cndmask_b32_e64 v7, s11, v10, s4
	v_add_nc_u32_e32 v16, 1, v6
	s_delay_alu instid0(VALU_DEP_1) | instskip(SKIP_1) | instid1(VALU_DEP_2)
	v_add_min_u32_e64 v6, v7, -1, v16
	v_dual_cndmask_b32 v1, v1, v16, s4 :: v_dual_cndmask_b32 v16, v16, v11, s4
	v_dual_cndmask_b32 v11, v26, v28, s3 :: v_dual_lshlrev_b32 v6, 3, v6
	s_delay_alu instid0(VALU_DEP_2) | instskip(NEXT) | instid1(VALU_DEP_3)
	v_cmp_gt_u32_e64 s6, s9, v1
	v_cmp_le_u32_e64 s7, s11, v16
	ds_load_b64 v[6:7], v6
	s_wait_dscnt 0x0
	v_dual_cndmask_b32 v34, v7, v30, s4 :: v_dual_cndmask_b32 v35, v6, v31, s4
	v_dual_cndmask_b32 v37, v33, v6, s4 :: v_dual_cndmask_b32 v36, v32, v7, s4
	s_delay_alu instid0(VALU_DEP_2) | instskip(NEXT) | instid1(VALU_DEP_3)
	v_and_b32_e32 v7, s13, v34
	v_and_b32_e32 v6, s12, v35
	s_delay_alu instid0(VALU_DEP_3) | instskip(NEXT) | instid1(VALU_DEP_4)
	v_and_b32_e32 v8, s12, v37
	v_and_b32_e32 v9, s13, v36
	s_delay_alu instid0(VALU_DEP_1) | instskip(SKIP_1) | instid1(SALU_CYCLE_1)
	v_cmp_le_u64_e64 s5, v[6:7], v[8:9]
	s_and_b32 s5, s6, s5
	s_or_b32 s5, s7, s5
	s_delay_alu instid0(SALU_CYCLE_1) | instskip(SKIP_1) | instid1(VALU_DEP_2)
	v_cndmask_b32_e64 v6, v16, v1, s5
	v_cndmask_b32_e64 v7, s11, v10, s5
	v_add_nc_u32_e32 v10, 1, v6
	s_delay_alu instid0(VALU_DEP_1) | instskip(NEXT) | instid1(VALU_DEP_1)
	v_add_min_u32_e64 v6, v7, -1, v10
	v_dual_cndmask_b32 v7, v17, v19, s1 :: v_dual_lshlrev_b32 v6, 3, v6
	v_dual_cndmask_b32 v1, v1, v10, s5 :: v_dual_cndmask_b32 v16, v10, v16, s5
	v_cndmask_b32_e64 v10, v27, v29, s3
	ds_load_b64 v[8:9], v6
	v_cndmask_b32_e64 v6, v18, v21, s1
	v_cmp_le_u32_e64 s1, s11, v16
	v_cmp_gt_u32_e64 s0, s9, v1
	s_wait_dscnt 0x0
	v_dual_cndmask_b32 v17, v9, v34, s5 :: v_dual_cndmask_b32 v18, v8, v35, s5
	v_dual_cndmask_b32 v19, v36, v9, s5 :: v_dual_cndmask_b32 v21, v37, v8, s5
	s_delay_alu instid0(VALU_DEP_2) | instskip(NEXT) | instid1(VALU_DEP_3)
	v_dual_cndmask_b32 v9, v22, v24, s2 :: v_dual_bitop2_b32 v13, s13, v17 bitop3:0x40
	v_dual_cndmask_b32 v8, v23, v25, s2 :: v_dual_bitop2_b32 v12, s12, v18 bitop3:0x40
	s_delay_alu instid0(VALU_DEP_3) | instskip(NEXT) | instid1(VALU_DEP_4)
	v_and_b32_e32 v15, s13, v19
	v_and_b32_e32 v14, s12, v21
	s_delay_alu instid0(VALU_DEP_1) | instskip(SKIP_3) | instid1(SALU_CYCLE_1)
	v_cmp_le_u64_e32 vcc_lo, v[12:13], v[14:15]
	v_dual_cndmask_b32 v13, v30, v32, s4 :: v_dual_cndmask_b32 v12, v31, v33, s4
	v_dual_cndmask_b32 v15, v34, v36, s5 :: v_dual_cndmask_b32 v14, v35, v37, s5
	s_and_b32 s0, s0, vcc_lo
	s_or_b32 vcc_lo, s1, s0
	v_dual_cndmask_b32 v17, v17, v19 :: v_dual_cndmask_b32 v16, v18, v21
.LBB2838_29:
	s_or_b32 exec_lo, exec_lo, s17
	v_or_b32_e32 v25, 0x80, v0
	v_lshrrev_b32_e32 v1, 2, v0
	v_or_b32_e32 v22, 0x100, v0
	v_lshlrev_b32_e32 v18, 3, v20
	s_delay_alu instid0(VALU_DEP_4) | instskip(SKIP_1) | instid1(VALU_DEP_3)
	v_lshrrev_b32_e32 v19, 2, v25
	s_barrier_signal -1
	v_lshrrev_b32_e32 v21, 2, v22
	s_delay_alu instid0(VALU_DEP_3)
	v_lshl_add_u32 v18, v1, 3, v18
	s_barrier_wait -1
	s_barrier_signal -1
	s_barrier_wait -1
	ds_store_2addr_b64 v18, v[2:3], v[4:5] offset1:1
	ds_store_2addr_b64 v18, v[6:7], v[8:9] offset0:2 offset1:3
	v_and_b32_e32 v2, 56, v19
	v_and_b32_e32 v1, 24, v1
	v_or_b32_e32 v24, 0x180, v0
	v_and_b32_e32 v3, 0x58, v21
	v_or_b32_e32 v23, 0x200, v0
	s_delay_alu instid0(VALU_DEP_4) | instskip(NEXT) | instid1(VALU_DEP_4)
	v_dual_add_nc_u32 v6, v2, v20 :: v_dual_add_nc_u32 v26, v1, v20
	v_lshrrev_b32_e32 v1, 2, v24
	ds_store_2addr_b64 v18, v[10:11], v[12:13] offset0:4 offset1:5
	ds_store_2addr_b64 v18, v[14:15], v[16:17] offset0:6 offset1:7
	v_or_b32_e32 v19, 0x280, v0
	v_add_nc_u32_e32 v7, v3, v20
	v_or_b32_e32 v18, 0x300, v0
	v_lshrrev_b32_e32 v3, 2, v23
	v_and_b32_e32 v2, 0x78, v1
	v_or_b32_e32 v1, 0x380, v0
	s_delay_alu instid0(VALU_DEP_4) | instskip(SKIP_1) | instid1(VALU_DEP_2)
	v_dual_lshrrev_b32 v4, 2, v19 :: v_dual_lshrrev_b32 v5, 2, v18
	s_mov_b32 s11, 0
	v_dual_add_nc_u32 v8, v2, v20 :: v_dual_lshrrev_b32 v2, 2, v1
	v_mov_b32_e32 v21, 0
	v_and_b32_e32 v3, 0x98, v3
	s_lshl_b64 s[0:1], s[10:11], 3
	v_and_b32_e32 v4, 0xb8, v4
	v_and_b32_e32 v5, 0xd8, v5
	;; [unrolled: 1-line block ×3, first 2 shown]
	s_wait_kmcnt 0x0
	s_add_nc_u64 s[0:1], s[14:15], s[0:1]
	v_dual_add_nc_u32 v9, v3, v20 :: v_dual_add_nc_u32 v27, v4, v20
	v_add_nc_u64_e32 v[2:3], s[0:1], v[20:21]
	v_dual_add_nc_u32 v28, v5, v20 :: v_dual_add_nc_u32 v20, v10, v20
	s_and_b32 vcc_lo, exec_lo, s16
	s_wait_dscnt 0x0
	s_cbranch_vccz .LBB2838_31
; %bb.30:
	s_barrier_signal -1
	s_barrier_wait -1
	ds_load_b64 v[10:11], v26
	ds_load_b64 v[12:13], v6 offset:1024
	ds_load_b64 v[14:15], v7 offset:2048
	ds_load_b64 v[16:17], v8 offset:3072
	ds_load_b64 v[30:31], v9 offset:4096
	ds_load_b64 v[32:33], v27 offset:5120
	ds_load_b64 v[34:35], v28 offset:6144
	ds_load_b64 v[4:5], v20 offset:7168
	s_mov_b32 s11, -1
	s_wait_dscnt 0x7
	global_store_b64 v[2:3], v[10:11], off
	s_wait_dscnt 0x6
	global_store_b64 v[2:3], v[12:13], off offset:1024
	s_wait_dscnt 0x5
	global_store_b64 v[2:3], v[14:15], off offset:2048
	;; [unrolled: 2-line block ×6, first 2 shown]
	s_cbranch_execz .LBB2838_32
	s_branch .LBB2838_41
.LBB2838_31:
                                        ; implicit-def: $vgpr4_vgpr5
.LBB2838_32:
	s_barrier_signal -1
	s_barrier_wait -1
	s_wait_storecnt_dscnt 0x0
	s_wait_xcnt 0x3
	ds_load_b64 v[16:17], v6 offset:1024
	ds_load_b64 v[14:15], v7 offset:2048
	;; [unrolled: 1-line block ×7, first 2 shown]
	s_sub_co_i32 s0, s8, s10
	s_mov_b32 s1, exec_lo
	s_wait_xcnt 0x0
	v_cmpx_gt_u32_e64 s0, v0
	s_cbranch_execnz .LBB2838_46
; %bb.33:
	s_or_b32 exec_lo, exec_lo, s1
	s_delay_alu instid0(SALU_CYCLE_1)
	s_mov_b32 s1, exec_lo
	v_cmpx_gt_u32_e64 s0, v25
	s_cbranch_execnz .LBB2838_47
.LBB2838_34:
	s_or_b32 exec_lo, exec_lo, s1
	s_delay_alu instid0(SALU_CYCLE_1)
	s_mov_b32 s1, exec_lo
	v_cmpx_gt_u32_e64 s0, v22
	s_cbranch_execnz .LBB2838_48
.LBB2838_35:
	s_or_b32 exec_lo, exec_lo, s1
	s_delay_alu instid0(SALU_CYCLE_1)
	s_mov_b32 s1, exec_lo
	v_cmpx_gt_u32_e64 s0, v24
	s_cbranch_execnz .LBB2838_49
.LBB2838_36:
	s_or_b32 exec_lo, exec_lo, s1
	s_delay_alu instid0(SALU_CYCLE_1)
	s_mov_b32 s1, exec_lo
	v_cmpx_gt_u32_e64 s0, v23
	s_cbranch_execnz .LBB2838_50
.LBB2838_37:
	s_or_b32 exec_lo, exec_lo, s1
	s_delay_alu instid0(SALU_CYCLE_1)
	s_mov_b32 s1, exec_lo
	v_cmpx_gt_u32_e64 s0, v19
	s_cbranch_execnz .LBB2838_51
.LBB2838_38:
	s_or_b32 exec_lo, exec_lo, s1
	s_delay_alu instid0(SALU_CYCLE_1)
	s_mov_b32 s1, exec_lo
	v_cmpx_gt_u32_e64 s0, v18
	s_cbranch_execz .LBB2838_40
.LBB2838_39:
	s_wait_dscnt 0x1
	global_store_b64 v[2:3], v[6:7], off offset:6144
.LBB2838_40:
	s_wait_xcnt 0x0
	s_or_b32 exec_lo, exec_lo, s1
	v_cmp_gt_u32_e64 s11, s0, v1
.LBB2838_41:
	s_wait_xcnt 0x0
	s_delay_alu instid0(VALU_DEP_1)
	s_and_saveexec_b32 s0, s11
	s_cbranch_execz .LBB2838_43
; %bb.42:
	s_wait_dscnt 0x0
	global_store_b64 v[2:3], v[4:5], off offset:7168
.LBB2838_43:
	s_endpgm
.LBB2838_44:
	v_dual_mov_b32 v21, v2 :: v_dual_mov_b32 v5, v2
	v_sub_co_u32 v4, vcc_lo, v0, s9
	v_dual_mov_b32 v18, v2 :: v_dual_mov_b32 v19, v2
	s_delay_alu instid0(VALU_DEP_3) | instskip(NEXT) | instid1(VALU_DEP_3)
	v_add_nc_u64_e32 v[6:7], s[14:15], v[20:21]
	v_lshl_add_u64 v[4:5], v[4:5], 3, s[6:7]
	v_dual_mov_b32 v8, v2 :: v_dual_mov_b32 v9, v2
	v_dual_mov_b32 v10, v2 :: v_dual_mov_b32 v11, v2
	;; [unrolled: 1-line block ×3, first 2 shown]
	s_delay_alu instid0(VALU_DEP_4)
	v_dual_cndmask_b32 v5, v5, v7 :: v_dual_cndmask_b32 v4, v4, v6
	v_dual_mov_b32 v6, v2 :: v_dual_mov_b32 v7, v2
	v_dual_mov_b32 v14, v2 :: v_dual_mov_b32 v15, v2
	global_load_b64 v[4:5], v[4:5], off
	v_dual_mov_b32 v16, v2 :: v_dual_mov_b32 v17, v2
	s_wait_loadcnt 0x0
	v_mov_b64_e32 v[2:3], v[4:5]
	v_mov_b64_e32 v[4:5], v[6:7]
	;; [unrolled: 1-line block ×8, first 2 shown]
	s_or_b32 exec_lo, exec_lo, s2
	s_delay_alu instid0(SALU_CYCLE_1)
	s_mov_b32 s2, exec_lo
	v_cmpx_gt_u32_e64 s11, v24
	s_cbranch_execz .LBB2838_6
.LBB2838_45:
	v_mov_b32_e32 v25, 0
	s_delay_alu instid0(VALU_DEP_1) | instskip(SKIP_1) | instid1(VALU_DEP_1)
	v_lshl_add_u64 v[4:5], v[24:25], 3, s[14:15]
	v_sub_co_u32 v24, vcc_lo, v24, s9
	v_lshl_add_u64 v[18:19], v[24:25], 3, s[6:7]
	s_delay_alu instid0(VALU_DEP_1) | instskip(SKIP_3) | instid1(SALU_CYCLE_1)
	v_dual_cndmask_b32 v5, v19, v5 :: v_dual_cndmask_b32 v4, v18, v4
	global_load_b64 v[4:5], v[4:5], off
	s_wait_xcnt 0x0
	s_or_b32 exec_lo, exec_lo, s2
	s_mov_b32 s2, exec_lo
	v_cmpx_gt_u32_e64 s11, v22
	s_cbranch_execnz .LBB2838_7
	s_branch .LBB2838_8
.LBB2838_46:
	ds_load_b64 v[20:21], v26
	s_wait_dscnt 0x0
	global_store_b64 v[2:3], v[20:21], off
	s_wait_xcnt 0x0
	s_or_b32 exec_lo, exec_lo, s1
	s_delay_alu instid0(SALU_CYCLE_1)
	s_mov_b32 s1, exec_lo
	v_cmpx_gt_u32_e64 s0, v25
	s_cbranch_execz .LBB2838_34
.LBB2838_47:
	s_wait_dscnt 0x6
	global_store_b64 v[2:3], v[16:17], off offset:1024
	s_wait_xcnt 0x0
	s_or_b32 exec_lo, exec_lo, s1
	s_delay_alu instid0(SALU_CYCLE_1)
	s_mov_b32 s1, exec_lo
	v_cmpx_gt_u32_e64 s0, v22
	s_cbranch_execz .LBB2838_35
.LBB2838_48:
	s_wait_dscnt 0x5
	global_store_b64 v[2:3], v[14:15], off offset:2048
	s_wait_xcnt 0x0
	s_or_b32 exec_lo, exec_lo, s1
	s_delay_alu instid0(SALU_CYCLE_1)
	s_mov_b32 s1, exec_lo
	v_cmpx_gt_u32_e64 s0, v24
	s_cbranch_execz .LBB2838_36
.LBB2838_49:
	s_wait_dscnt 0x4
	global_store_b64 v[2:3], v[12:13], off offset:3072
	s_wait_xcnt 0x0
	s_or_b32 exec_lo, exec_lo, s1
	s_delay_alu instid0(SALU_CYCLE_1)
	s_mov_b32 s1, exec_lo
	v_cmpx_gt_u32_e64 s0, v23
	s_cbranch_execz .LBB2838_37
.LBB2838_50:
	s_wait_dscnt 0x3
	global_store_b64 v[2:3], v[10:11], off offset:4096
	s_wait_xcnt 0x0
	s_or_b32 exec_lo, exec_lo, s1
	s_delay_alu instid0(SALU_CYCLE_1)
	s_mov_b32 s1, exec_lo
	v_cmpx_gt_u32_e64 s0, v19
	s_cbranch_execz .LBB2838_38
.LBB2838_51:
	s_wait_dscnt 0x2
	global_store_b64 v[2:3], v[8:9], off offset:5120
	s_wait_xcnt 0x0
	s_or_b32 exec_lo, exec_lo, s1
	s_delay_alu instid0(SALU_CYCLE_1)
	s_mov_b32 s1, exec_lo
	v_cmpx_gt_u32_e64 s0, v18
	s_cbranch_execnz .LBB2838_39
	s_branch .LBB2838_40
	.section	.rodata,"a",@progbits
	.p2align	6, 0x0
	.amdhsa_kernel _ZN7rocprim17ROCPRIM_400000_NS6detail17trampoline_kernelINS0_14default_configENS1_38merge_sort_block_merge_config_selectorImNS0_10empty_typeEEEZZNS1_27merge_sort_block_merge_implIS3_PmPS5_jNS1_19radix_merge_compareILb1ELb1EmNS0_19identity_decomposerEEEEE10hipError_tT0_T1_T2_jT3_P12ihipStream_tbPNSt15iterator_traitsISE_E10value_typeEPNSK_ISF_E10value_typeEPSG_NS1_7vsmem_tEENKUlT_SE_SF_SG_E_clIS8_S8_S9_S9_EESD_ST_SE_SF_SG_EUlST_E0_NS1_11comp_targetILNS1_3genE0ELNS1_11target_archE4294967295ELNS1_3gpuE0ELNS1_3repE0EEENS1_38merge_mergepath_config_static_selectorELNS0_4arch9wavefront6targetE0EEEvSF_
		.amdhsa_group_segment_fixed_size 8448
		.amdhsa_private_segment_fixed_size 0
		.amdhsa_kernarg_size 328
		.amdhsa_user_sgpr_count 2
		.amdhsa_user_sgpr_dispatch_ptr 0
		.amdhsa_user_sgpr_queue_ptr 0
		.amdhsa_user_sgpr_kernarg_segment_ptr 1
		.amdhsa_user_sgpr_dispatch_id 0
		.amdhsa_user_sgpr_kernarg_preload_length 0
		.amdhsa_user_sgpr_kernarg_preload_offset 0
		.amdhsa_user_sgpr_private_segment_size 0
		.amdhsa_wavefront_size32 1
		.amdhsa_uses_dynamic_stack 0
		.amdhsa_enable_private_segment 0
		.amdhsa_system_sgpr_workgroup_id_x 1
		.amdhsa_system_sgpr_workgroup_id_y 1
		.amdhsa_system_sgpr_workgroup_id_z 1
		.amdhsa_system_sgpr_workgroup_info 0
		.amdhsa_system_vgpr_workitem_id 0
		.amdhsa_next_free_vgpr 38
		.amdhsa_next_free_sgpr 23
		.amdhsa_named_barrier_count 0
		.amdhsa_reserve_vcc 1
		.amdhsa_float_round_mode_32 0
		.amdhsa_float_round_mode_16_64 0
		.amdhsa_float_denorm_mode_32 3
		.amdhsa_float_denorm_mode_16_64 3
		.amdhsa_fp16_overflow 0
		.amdhsa_memory_ordered 1
		.amdhsa_forward_progress 1
		.amdhsa_inst_pref_size 36
		.amdhsa_round_robin_scheduling 0
		.amdhsa_exception_fp_ieee_invalid_op 0
		.amdhsa_exception_fp_denorm_src 0
		.amdhsa_exception_fp_ieee_div_zero 0
		.amdhsa_exception_fp_ieee_overflow 0
		.amdhsa_exception_fp_ieee_underflow 0
		.amdhsa_exception_fp_ieee_inexact 0
		.amdhsa_exception_int_div_zero 0
	.end_amdhsa_kernel
	.section	.text._ZN7rocprim17ROCPRIM_400000_NS6detail17trampoline_kernelINS0_14default_configENS1_38merge_sort_block_merge_config_selectorImNS0_10empty_typeEEEZZNS1_27merge_sort_block_merge_implIS3_PmPS5_jNS1_19radix_merge_compareILb1ELb1EmNS0_19identity_decomposerEEEEE10hipError_tT0_T1_T2_jT3_P12ihipStream_tbPNSt15iterator_traitsISE_E10value_typeEPNSK_ISF_E10value_typeEPSG_NS1_7vsmem_tEENKUlT_SE_SF_SG_E_clIS8_S8_S9_S9_EESD_ST_SE_SF_SG_EUlST_E0_NS1_11comp_targetILNS1_3genE0ELNS1_11target_archE4294967295ELNS1_3gpuE0ELNS1_3repE0EEENS1_38merge_mergepath_config_static_selectorELNS0_4arch9wavefront6targetE0EEEvSF_,"axG",@progbits,_ZN7rocprim17ROCPRIM_400000_NS6detail17trampoline_kernelINS0_14default_configENS1_38merge_sort_block_merge_config_selectorImNS0_10empty_typeEEEZZNS1_27merge_sort_block_merge_implIS3_PmPS5_jNS1_19radix_merge_compareILb1ELb1EmNS0_19identity_decomposerEEEEE10hipError_tT0_T1_T2_jT3_P12ihipStream_tbPNSt15iterator_traitsISE_E10value_typeEPNSK_ISF_E10value_typeEPSG_NS1_7vsmem_tEENKUlT_SE_SF_SG_E_clIS8_S8_S9_S9_EESD_ST_SE_SF_SG_EUlST_E0_NS1_11comp_targetILNS1_3genE0ELNS1_11target_archE4294967295ELNS1_3gpuE0ELNS1_3repE0EEENS1_38merge_mergepath_config_static_selectorELNS0_4arch9wavefront6targetE0EEEvSF_,comdat
.Lfunc_end2838:
	.size	_ZN7rocprim17ROCPRIM_400000_NS6detail17trampoline_kernelINS0_14default_configENS1_38merge_sort_block_merge_config_selectorImNS0_10empty_typeEEEZZNS1_27merge_sort_block_merge_implIS3_PmPS5_jNS1_19radix_merge_compareILb1ELb1EmNS0_19identity_decomposerEEEEE10hipError_tT0_T1_T2_jT3_P12ihipStream_tbPNSt15iterator_traitsISE_E10value_typeEPNSK_ISF_E10value_typeEPSG_NS1_7vsmem_tEENKUlT_SE_SF_SG_E_clIS8_S8_S9_S9_EESD_ST_SE_SF_SG_EUlST_E0_NS1_11comp_targetILNS1_3genE0ELNS1_11target_archE4294967295ELNS1_3gpuE0ELNS1_3repE0EEENS1_38merge_mergepath_config_static_selectorELNS0_4arch9wavefront6targetE0EEEvSF_, .Lfunc_end2838-_ZN7rocprim17ROCPRIM_400000_NS6detail17trampoline_kernelINS0_14default_configENS1_38merge_sort_block_merge_config_selectorImNS0_10empty_typeEEEZZNS1_27merge_sort_block_merge_implIS3_PmPS5_jNS1_19radix_merge_compareILb1ELb1EmNS0_19identity_decomposerEEEEE10hipError_tT0_T1_T2_jT3_P12ihipStream_tbPNSt15iterator_traitsISE_E10value_typeEPNSK_ISF_E10value_typeEPSG_NS1_7vsmem_tEENKUlT_SE_SF_SG_E_clIS8_S8_S9_S9_EESD_ST_SE_SF_SG_EUlST_E0_NS1_11comp_targetILNS1_3genE0ELNS1_11target_archE4294967295ELNS1_3gpuE0ELNS1_3repE0EEENS1_38merge_mergepath_config_static_selectorELNS0_4arch9wavefront6targetE0EEEvSF_
                                        ; -- End function
	.set _ZN7rocprim17ROCPRIM_400000_NS6detail17trampoline_kernelINS0_14default_configENS1_38merge_sort_block_merge_config_selectorImNS0_10empty_typeEEEZZNS1_27merge_sort_block_merge_implIS3_PmPS5_jNS1_19radix_merge_compareILb1ELb1EmNS0_19identity_decomposerEEEEE10hipError_tT0_T1_T2_jT3_P12ihipStream_tbPNSt15iterator_traitsISE_E10value_typeEPNSK_ISF_E10value_typeEPSG_NS1_7vsmem_tEENKUlT_SE_SF_SG_E_clIS8_S8_S9_S9_EESD_ST_SE_SF_SG_EUlST_E0_NS1_11comp_targetILNS1_3genE0ELNS1_11target_archE4294967295ELNS1_3gpuE0ELNS1_3repE0EEENS1_38merge_mergepath_config_static_selectorELNS0_4arch9wavefront6targetE0EEEvSF_.num_vgpr, 38
	.set _ZN7rocprim17ROCPRIM_400000_NS6detail17trampoline_kernelINS0_14default_configENS1_38merge_sort_block_merge_config_selectorImNS0_10empty_typeEEEZZNS1_27merge_sort_block_merge_implIS3_PmPS5_jNS1_19radix_merge_compareILb1ELb1EmNS0_19identity_decomposerEEEEE10hipError_tT0_T1_T2_jT3_P12ihipStream_tbPNSt15iterator_traitsISE_E10value_typeEPNSK_ISF_E10value_typeEPSG_NS1_7vsmem_tEENKUlT_SE_SF_SG_E_clIS8_S8_S9_S9_EESD_ST_SE_SF_SG_EUlST_E0_NS1_11comp_targetILNS1_3genE0ELNS1_11target_archE4294967295ELNS1_3gpuE0ELNS1_3repE0EEENS1_38merge_mergepath_config_static_selectorELNS0_4arch9wavefront6targetE0EEEvSF_.num_agpr, 0
	.set _ZN7rocprim17ROCPRIM_400000_NS6detail17trampoline_kernelINS0_14default_configENS1_38merge_sort_block_merge_config_selectorImNS0_10empty_typeEEEZZNS1_27merge_sort_block_merge_implIS3_PmPS5_jNS1_19radix_merge_compareILb1ELb1EmNS0_19identity_decomposerEEEEE10hipError_tT0_T1_T2_jT3_P12ihipStream_tbPNSt15iterator_traitsISE_E10value_typeEPNSK_ISF_E10value_typeEPSG_NS1_7vsmem_tEENKUlT_SE_SF_SG_E_clIS8_S8_S9_S9_EESD_ST_SE_SF_SG_EUlST_E0_NS1_11comp_targetILNS1_3genE0ELNS1_11target_archE4294967295ELNS1_3gpuE0ELNS1_3repE0EEENS1_38merge_mergepath_config_static_selectorELNS0_4arch9wavefront6targetE0EEEvSF_.numbered_sgpr, 23
	.set _ZN7rocprim17ROCPRIM_400000_NS6detail17trampoline_kernelINS0_14default_configENS1_38merge_sort_block_merge_config_selectorImNS0_10empty_typeEEEZZNS1_27merge_sort_block_merge_implIS3_PmPS5_jNS1_19radix_merge_compareILb1ELb1EmNS0_19identity_decomposerEEEEE10hipError_tT0_T1_T2_jT3_P12ihipStream_tbPNSt15iterator_traitsISE_E10value_typeEPNSK_ISF_E10value_typeEPSG_NS1_7vsmem_tEENKUlT_SE_SF_SG_E_clIS8_S8_S9_S9_EESD_ST_SE_SF_SG_EUlST_E0_NS1_11comp_targetILNS1_3genE0ELNS1_11target_archE4294967295ELNS1_3gpuE0ELNS1_3repE0EEENS1_38merge_mergepath_config_static_selectorELNS0_4arch9wavefront6targetE0EEEvSF_.num_named_barrier, 0
	.set _ZN7rocprim17ROCPRIM_400000_NS6detail17trampoline_kernelINS0_14default_configENS1_38merge_sort_block_merge_config_selectorImNS0_10empty_typeEEEZZNS1_27merge_sort_block_merge_implIS3_PmPS5_jNS1_19radix_merge_compareILb1ELb1EmNS0_19identity_decomposerEEEEE10hipError_tT0_T1_T2_jT3_P12ihipStream_tbPNSt15iterator_traitsISE_E10value_typeEPNSK_ISF_E10value_typeEPSG_NS1_7vsmem_tEENKUlT_SE_SF_SG_E_clIS8_S8_S9_S9_EESD_ST_SE_SF_SG_EUlST_E0_NS1_11comp_targetILNS1_3genE0ELNS1_11target_archE4294967295ELNS1_3gpuE0ELNS1_3repE0EEENS1_38merge_mergepath_config_static_selectorELNS0_4arch9wavefront6targetE0EEEvSF_.private_seg_size, 0
	.set _ZN7rocprim17ROCPRIM_400000_NS6detail17trampoline_kernelINS0_14default_configENS1_38merge_sort_block_merge_config_selectorImNS0_10empty_typeEEEZZNS1_27merge_sort_block_merge_implIS3_PmPS5_jNS1_19radix_merge_compareILb1ELb1EmNS0_19identity_decomposerEEEEE10hipError_tT0_T1_T2_jT3_P12ihipStream_tbPNSt15iterator_traitsISE_E10value_typeEPNSK_ISF_E10value_typeEPSG_NS1_7vsmem_tEENKUlT_SE_SF_SG_E_clIS8_S8_S9_S9_EESD_ST_SE_SF_SG_EUlST_E0_NS1_11comp_targetILNS1_3genE0ELNS1_11target_archE4294967295ELNS1_3gpuE0ELNS1_3repE0EEENS1_38merge_mergepath_config_static_selectorELNS0_4arch9wavefront6targetE0EEEvSF_.uses_vcc, 1
	.set _ZN7rocprim17ROCPRIM_400000_NS6detail17trampoline_kernelINS0_14default_configENS1_38merge_sort_block_merge_config_selectorImNS0_10empty_typeEEEZZNS1_27merge_sort_block_merge_implIS3_PmPS5_jNS1_19radix_merge_compareILb1ELb1EmNS0_19identity_decomposerEEEEE10hipError_tT0_T1_T2_jT3_P12ihipStream_tbPNSt15iterator_traitsISE_E10value_typeEPNSK_ISF_E10value_typeEPSG_NS1_7vsmem_tEENKUlT_SE_SF_SG_E_clIS8_S8_S9_S9_EESD_ST_SE_SF_SG_EUlST_E0_NS1_11comp_targetILNS1_3genE0ELNS1_11target_archE4294967295ELNS1_3gpuE0ELNS1_3repE0EEENS1_38merge_mergepath_config_static_selectorELNS0_4arch9wavefront6targetE0EEEvSF_.uses_flat_scratch, 0
	.set _ZN7rocprim17ROCPRIM_400000_NS6detail17trampoline_kernelINS0_14default_configENS1_38merge_sort_block_merge_config_selectorImNS0_10empty_typeEEEZZNS1_27merge_sort_block_merge_implIS3_PmPS5_jNS1_19radix_merge_compareILb1ELb1EmNS0_19identity_decomposerEEEEE10hipError_tT0_T1_T2_jT3_P12ihipStream_tbPNSt15iterator_traitsISE_E10value_typeEPNSK_ISF_E10value_typeEPSG_NS1_7vsmem_tEENKUlT_SE_SF_SG_E_clIS8_S8_S9_S9_EESD_ST_SE_SF_SG_EUlST_E0_NS1_11comp_targetILNS1_3genE0ELNS1_11target_archE4294967295ELNS1_3gpuE0ELNS1_3repE0EEENS1_38merge_mergepath_config_static_selectorELNS0_4arch9wavefront6targetE0EEEvSF_.has_dyn_sized_stack, 0
	.set _ZN7rocprim17ROCPRIM_400000_NS6detail17trampoline_kernelINS0_14default_configENS1_38merge_sort_block_merge_config_selectorImNS0_10empty_typeEEEZZNS1_27merge_sort_block_merge_implIS3_PmPS5_jNS1_19radix_merge_compareILb1ELb1EmNS0_19identity_decomposerEEEEE10hipError_tT0_T1_T2_jT3_P12ihipStream_tbPNSt15iterator_traitsISE_E10value_typeEPNSK_ISF_E10value_typeEPSG_NS1_7vsmem_tEENKUlT_SE_SF_SG_E_clIS8_S8_S9_S9_EESD_ST_SE_SF_SG_EUlST_E0_NS1_11comp_targetILNS1_3genE0ELNS1_11target_archE4294967295ELNS1_3gpuE0ELNS1_3repE0EEENS1_38merge_mergepath_config_static_selectorELNS0_4arch9wavefront6targetE0EEEvSF_.has_recursion, 0
	.set _ZN7rocprim17ROCPRIM_400000_NS6detail17trampoline_kernelINS0_14default_configENS1_38merge_sort_block_merge_config_selectorImNS0_10empty_typeEEEZZNS1_27merge_sort_block_merge_implIS3_PmPS5_jNS1_19radix_merge_compareILb1ELb1EmNS0_19identity_decomposerEEEEE10hipError_tT0_T1_T2_jT3_P12ihipStream_tbPNSt15iterator_traitsISE_E10value_typeEPNSK_ISF_E10value_typeEPSG_NS1_7vsmem_tEENKUlT_SE_SF_SG_E_clIS8_S8_S9_S9_EESD_ST_SE_SF_SG_EUlST_E0_NS1_11comp_targetILNS1_3genE0ELNS1_11target_archE4294967295ELNS1_3gpuE0ELNS1_3repE0EEENS1_38merge_mergepath_config_static_selectorELNS0_4arch9wavefront6targetE0EEEvSF_.has_indirect_call, 0
	.section	.AMDGPU.csdata,"",@progbits
; Kernel info:
; codeLenInByte = 4572
; TotalNumSgprs: 25
; NumVgprs: 38
; ScratchSize: 0
; MemoryBound: 0
; FloatMode: 240
; IeeeMode: 1
; LDSByteSize: 8448 bytes/workgroup (compile time only)
; SGPRBlocks: 0
; VGPRBlocks: 2
; NumSGPRsForWavesPerEU: 25
; NumVGPRsForWavesPerEU: 38
; NamedBarCnt: 0
; Occupancy: 16
; WaveLimiterHint : 1
; COMPUTE_PGM_RSRC2:SCRATCH_EN: 0
; COMPUTE_PGM_RSRC2:USER_SGPR: 2
; COMPUTE_PGM_RSRC2:TRAP_HANDLER: 0
; COMPUTE_PGM_RSRC2:TGID_X_EN: 1
; COMPUTE_PGM_RSRC2:TGID_Y_EN: 1
; COMPUTE_PGM_RSRC2:TGID_Z_EN: 1
; COMPUTE_PGM_RSRC2:TIDIG_COMP_CNT: 0
	.section	.text._ZN7rocprim17ROCPRIM_400000_NS6detail17trampoline_kernelINS0_14default_configENS1_38merge_sort_block_merge_config_selectorImNS0_10empty_typeEEEZZNS1_27merge_sort_block_merge_implIS3_PmPS5_jNS1_19radix_merge_compareILb1ELb1EmNS0_19identity_decomposerEEEEE10hipError_tT0_T1_T2_jT3_P12ihipStream_tbPNSt15iterator_traitsISE_E10value_typeEPNSK_ISF_E10value_typeEPSG_NS1_7vsmem_tEENKUlT_SE_SF_SG_E_clIS8_S8_S9_S9_EESD_ST_SE_SF_SG_EUlST_E0_NS1_11comp_targetILNS1_3genE10ELNS1_11target_archE1201ELNS1_3gpuE5ELNS1_3repE0EEENS1_38merge_mergepath_config_static_selectorELNS0_4arch9wavefront6targetE0EEEvSF_,"axG",@progbits,_ZN7rocprim17ROCPRIM_400000_NS6detail17trampoline_kernelINS0_14default_configENS1_38merge_sort_block_merge_config_selectorImNS0_10empty_typeEEEZZNS1_27merge_sort_block_merge_implIS3_PmPS5_jNS1_19radix_merge_compareILb1ELb1EmNS0_19identity_decomposerEEEEE10hipError_tT0_T1_T2_jT3_P12ihipStream_tbPNSt15iterator_traitsISE_E10value_typeEPNSK_ISF_E10value_typeEPSG_NS1_7vsmem_tEENKUlT_SE_SF_SG_E_clIS8_S8_S9_S9_EESD_ST_SE_SF_SG_EUlST_E0_NS1_11comp_targetILNS1_3genE10ELNS1_11target_archE1201ELNS1_3gpuE5ELNS1_3repE0EEENS1_38merge_mergepath_config_static_selectorELNS0_4arch9wavefront6targetE0EEEvSF_,comdat
	.protected	_ZN7rocprim17ROCPRIM_400000_NS6detail17trampoline_kernelINS0_14default_configENS1_38merge_sort_block_merge_config_selectorImNS0_10empty_typeEEEZZNS1_27merge_sort_block_merge_implIS3_PmPS5_jNS1_19radix_merge_compareILb1ELb1EmNS0_19identity_decomposerEEEEE10hipError_tT0_T1_T2_jT3_P12ihipStream_tbPNSt15iterator_traitsISE_E10value_typeEPNSK_ISF_E10value_typeEPSG_NS1_7vsmem_tEENKUlT_SE_SF_SG_E_clIS8_S8_S9_S9_EESD_ST_SE_SF_SG_EUlST_E0_NS1_11comp_targetILNS1_3genE10ELNS1_11target_archE1201ELNS1_3gpuE5ELNS1_3repE0EEENS1_38merge_mergepath_config_static_selectorELNS0_4arch9wavefront6targetE0EEEvSF_ ; -- Begin function _ZN7rocprim17ROCPRIM_400000_NS6detail17trampoline_kernelINS0_14default_configENS1_38merge_sort_block_merge_config_selectorImNS0_10empty_typeEEEZZNS1_27merge_sort_block_merge_implIS3_PmPS5_jNS1_19radix_merge_compareILb1ELb1EmNS0_19identity_decomposerEEEEE10hipError_tT0_T1_T2_jT3_P12ihipStream_tbPNSt15iterator_traitsISE_E10value_typeEPNSK_ISF_E10value_typeEPSG_NS1_7vsmem_tEENKUlT_SE_SF_SG_E_clIS8_S8_S9_S9_EESD_ST_SE_SF_SG_EUlST_E0_NS1_11comp_targetILNS1_3genE10ELNS1_11target_archE1201ELNS1_3gpuE5ELNS1_3repE0EEENS1_38merge_mergepath_config_static_selectorELNS0_4arch9wavefront6targetE0EEEvSF_
	.globl	_ZN7rocprim17ROCPRIM_400000_NS6detail17trampoline_kernelINS0_14default_configENS1_38merge_sort_block_merge_config_selectorImNS0_10empty_typeEEEZZNS1_27merge_sort_block_merge_implIS3_PmPS5_jNS1_19radix_merge_compareILb1ELb1EmNS0_19identity_decomposerEEEEE10hipError_tT0_T1_T2_jT3_P12ihipStream_tbPNSt15iterator_traitsISE_E10value_typeEPNSK_ISF_E10value_typeEPSG_NS1_7vsmem_tEENKUlT_SE_SF_SG_E_clIS8_S8_S9_S9_EESD_ST_SE_SF_SG_EUlST_E0_NS1_11comp_targetILNS1_3genE10ELNS1_11target_archE1201ELNS1_3gpuE5ELNS1_3repE0EEENS1_38merge_mergepath_config_static_selectorELNS0_4arch9wavefront6targetE0EEEvSF_
	.p2align	8
	.type	_ZN7rocprim17ROCPRIM_400000_NS6detail17trampoline_kernelINS0_14default_configENS1_38merge_sort_block_merge_config_selectorImNS0_10empty_typeEEEZZNS1_27merge_sort_block_merge_implIS3_PmPS5_jNS1_19radix_merge_compareILb1ELb1EmNS0_19identity_decomposerEEEEE10hipError_tT0_T1_T2_jT3_P12ihipStream_tbPNSt15iterator_traitsISE_E10value_typeEPNSK_ISF_E10value_typeEPSG_NS1_7vsmem_tEENKUlT_SE_SF_SG_E_clIS8_S8_S9_S9_EESD_ST_SE_SF_SG_EUlST_E0_NS1_11comp_targetILNS1_3genE10ELNS1_11target_archE1201ELNS1_3gpuE5ELNS1_3repE0EEENS1_38merge_mergepath_config_static_selectorELNS0_4arch9wavefront6targetE0EEEvSF_,@function
_ZN7rocprim17ROCPRIM_400000_NS6detail17trampoline_kernelINS0_14default_configENS1_38merge_sort_block_merge_config_selectorImNS0_10empty_typeEEEZZNS1_27merge_sort_block_merge_implIS3_PmPS5_jNS1_19radix_merge_compareILb1ELb1EmNS0_19identity_decomposerEEEEE10hipError_tT0_T1_T2_jT3_P12ihipStream_tbPNSt15iterator_traitsISE_E10value_typeEPNSK_ISF_E10value_typeEPSG_NS1_7vsmem_tEENKUlT_SE_SF_SG_E_clIS8_S8_S9_S9_EESD_ST_SE_SF_SG_EUlST_E0_NS1_11comp_targetILNS1_3genE10ELNS1_11target_archE1201ELNS1_3gpuE5ELNS1_3repE0EEENS1_38merge_mergepath_config_static_selectorELNS0_4arch9wavefront6targetE0EEEvSF_: ; @_ZN7rocprim17ROCPRIM_400000_NS6detail17trampoline_kernelINS0_14default_configENS1_38merge_sort_block_merge_config_selectorImNS0_10empty_typeEEEZZNS1_27merge_sort_block_merge_implIS3_PmPS5_jNS1_19radix_merge_compareILb1ELb1EmNS0_19identity_decomposerEEEEE10hipError_tT0_T1_T2_jT3_P12ihipStream_tbPNSt15iterator_traitsISE_E10value_typeEPNSK_ISF_E10value_typeEPSG_NS1_7vsmem_tEENKUlT_SE_SF_SG_E_clIS8_S8_S9_S9_EESD_ST_SE_SF_SG_EUlST_E0_NS1_11comp_targetILNS1_3genE10ELNS1_11target_archE1201ELNS1_3gpuE5ELNS1_3repE0EEENS1_38merge_mergepath_config_static_selectorELNS0_4arch9wavefront6targetE0EEEvSF_
; %bb.0:
	.section	.rodata,"a",@progbits
	.p2align	6, 0x0
	.amdhsa_kernel _ZN7rocprim17ROCPRIM_400000_NS6detail17trampoline_kernelINS0_14default_configENS1_38merge_sort_block_merge_config_selectorImNS0_10empty_typeEEEZZNS1_27merge_sort_block_merge_implIS3_PmPS5_jNS1_19radix_merge_compareILb1ELb1EmNS0_19identity_decomposerEEEEE10hipError_tT0_T1_T2_jT3_P12ihipStream_tbPNSt15iterator_traitsISE_E10value_typeEPNSK_ISF_E10value_typeEPSG_NS1_7vsmem_tEENKUlT_SE_SF_SG_E_clIS8_S8_S9_S9_EESD_ST_SE_SF_SG_EUlST_E0_NS1_11comp_targetILNS1_3genE10ELNS1_11target_archE1201ELNS1_3gpuE5ELNS1_3repE0EEENS1_38merge_mergepath_config_static_selectorELNS0_4arch9wavefront6targetE0EEEvSF_
		.amdhsa_group_segment_fixed_size 0
		.amdhsa_private_segment_fixed_size 0
		.amdhsa_kernarg_size 72
		.amdhsa_user_sgpr_count 2
		.amdhsa_user_sgpr_dispatch_ptr 0
		.amdhsa_user_sgpr_queue_ptr 0
		.amdhsa_user_sgpr_kernarg_segment_ptr 1
		.amdhsa_user_sgpr_dispatch_id 0
		.amdhsa_user_sgpr_kernarg_preload_length 0
		.amdhsa_user_sgpr_kernarg_preload_offset 0
		.amdhsa_user_sgpr_private_segment_size 0
		.amdhsa_wavefront_size32 1
		.amdhsa_uses_dynamic_stack 0
		.amdhsa_enable_private_segment 0
		.amdhsa_system_sgpr_workgroup_id_x 1
		.amdhsa_system_sgpr_workgroup_id_y 0
		.amdhsa_system_sgpr_workgroup_id_z 0
		.amdhsa_system_sgpr_workgroup_info 0
		.amdhsa_system_vgpr_workitem_id 0
		.amdhsa_next_free_vgpr 1
		.amdhsa_next_free_sgpr 1
		.amdhsa_named_barrier_count 0
		.amdhsa_reserve_vcc 0
		.amdhsa_float_round_mode_32 0
		.amdhsa_float_round_mode_16_64 0
		.amdhsa_float_denorm_mode_32 3
		.amdhsa_float_denorm_mode_16_64 3
		.amdhsa_fp16_overflow 0
		.amdhsa_memory_ordered 1
		.amdhsa_forward_progress 1
		.amdhsa_inst_pref_size 0
		.amdhsa_round_robin_scheduling 0
		.amdhsa_exception_fp_ieee_invalid_op 0
		.amdhsa_exception_fp_denorm_src 0
		.amdhsa_exception_fp_ieee_div_zero 0
		.amdhsa_exception_fp_ieee_overflow 0
		.amdhsa_exception_fp_ieee_underflow 0
		.amdhsa_exception_fp_ieee_inexact 0
		.amdhsa_exception_int_div_zero 0
	.end_amdhsa_kernel
	.section	.text._ZN7rocprim17ROCPRIM_400000_NS6detail17trampoline_kernelINS0_14default_configENS1_38merge_sort_block_merge_config_selectorImNS0_10empty_typeEEEZZNS1_27merge_sort_block_merge_implIS3_PmPS5_jNS1_19radix_merge_compareILb1ELb1EmNS0_19identity_decomposerEEEEE10hipError_tT0_T1_T2_jT3_P12ihipStream_tbPNSt15iterator_traitsISE_E10value_typeEPNSK_ISF_E10value_typeEPSG_NS1_7vsmem_tEENKUlT_SE_SF_SG_E_clIS8_S8_S9_S9_EESD_ST_SE_SF_SG_EUlST_E0_NS1_11comp_targetILNS1_3genE10ELNS1_11target_archE1201ELNS1_3gpuE5ELNS1_3repE0EEENS1_38merge_mergepath_config_static_selectorELNS0_4arch9wavefront6targetE0EEEvSF_,"axG",@progbits,_ZN7rocprim17ROCPRIM_400000_NS6detail17trampoline_kernelINS0_14default_configENS1_38merge_sort_block_merge_config_selectorImNS0_10empty_typeEEEZZNS1_27merge_sort_block_merge_implIS3_PmPS5_jNS1_19radix_merge_compareILb1ELb1EmNS0_19identity_decomposerEEEEE10hipError_tT0_T1_T2_jT3_P12ihipStream_tbPNSt15iterator_traitsISE_E10value_typeEPNSK_ISF_E10value_typeEPSG_NS1_7vsmem_tEENKUlT_SE_SF_SG_E_clIS8_S8_S9_S9_EESD_ST_SE_SF_SG_EUlST_E0_NS1_11comp_targetILNS1_3genE10ELNS1_11target_archE1201ELNS1_3gpuE5ELNS1_3repE0EEENS1_38merge_mergepath_config_static_selectorELNS0_4arch9wavefront6targetE0EEEvSF_,comdat
.Lfunc_end2839:
	.size	_ZN7rocprim17ROCPRIM_400000_NS6detail17trampoline_kernelINS0_14default_configENS1_38merge_sort_block_merge_config_selectorImNS0_10empty_typeEEEZZNS1_27merge_sort_block_merge_implIS3_PmPS5_jNS1_19radix_merge_compareILb1ELb1EmNS0_19identity_decomposerEEEEE10hipError_tT0_T1_T2_jT3_P12ihipStream_tbPNSt15iterator_traitsISE_E10value_typeEPNSK_ISF_E10value_typeEPSG_NS1_7vsmem_tEENKUlT_SE_SF_SG_E_clIS8_S8_S9_S9_EESD_ST_SE_SF_SG_EUlST_E0_NS1_11comp_targetILNS1_3genE10ELNS1_11target_archE1201ELNS1_3gpuE5ELNS1_3repE0EEENS1_38merge_mergepath_config_static_selectorELNS0_4arch9wavefront6targetE0EEEvSF_, .Lfunc_end2839-_ZN7rocprim17ROCPRIM_400000_NS6detail17trampoline_kernelINS0_14default_configENS1_38merge_sort_block_merge_config_selectorImNS0_10empty_typeEEEZZNS1_27merge_sort_block_merge_implIS3_PmPS5_jNS1_19radix_merge_compareILb1ELb1EmNS0_19identity_decomposerEEEEE10hipError_tT0_T1_T2_jT3_P12ihipStream_tbPNSt15iterator_traitsISE_E10value_typeEPNSK_ISF_E10value_typeEPSG_NS1_7vsmem_tEENKUlT_SE_SF_SG_E_clIS8_S8_S9_S9_EESD_ST_SE_SF_SG_EUlST_E0_NS1_11comp_targetILNS1_3genE10ELNS1_11target_archE1201ELNS1_3gpuE5ELNS1_3repE0EEENS1_38merge_mergepath_config_static_selectorELNS0_4arch9wavefront6targetE0EEEvSF_
                                        ; -- End function
	.set _ZN7rocprim17ROCPRIM_400000_NS6detail17trampoline_kernelINS0_14default_configENS1_38merge_sort_block_merge_config_selectorImNS0_10empty_typeEEEZZNS1_27merge_sort_block_merge_implIS3_PmPS5_jNS1_19radix_merge_compareILb1ELb1EmNS0_19identity_decomposerEEEEE10hipError_tT0_T1_T2_jT3_P12ihipStream_tbPNSt15iterator_traitsISE_E10value_typeEPNSK_ISF_E10value_typeEPSG_NS1_7vsmem_tEENKUlT_SE_SF_SG_E_clIS8_S8_S9_S9_EESD_ST_SE_SF_SG_EUlST_E0_NS1_11comp_targetILNS1_3genE10ELNS1_11target_archE1201ELNS1_3gpuE5ELNS1_3repE0EEENS1_38merge_mergepath_config_static_selectorELNS0_4arch9wavefront6targetE0EEEvSF_.num_vgpr, 0
	.set _ZN7rocprim17ROCPRIM_400000_NS6detail17trampoline_kernelINS0_14default_configENS1_38merge_sort_block_merge_config_selectorImNS0_10empty_typeEEEZZNS1_27merge_sort_block_merge_implIS3_PmPS5_jNS1_19radix_merge_compareILb1ELb1EmNS0_19identity_decomposerEEEEE10hipError_tT0_T1_T2_jT3_P12ihipStream_tbPNSt15iterator_traitsISE_E10value_typeEPNSK_ISF_E10value_typeEPSG_NS1_7vsmem_tEENKUlT_SE_SF_SG_E_clIS8_S8_S9_S9_EESD_ST_SE_SF_SG_EUlST_E0_NS1_11comp_targetILNS1_3genE10ELNS1_11target_archE1201ELNS1_3gpuE5ELNS1_3repE0EEENS1_38merge_mergepath_config_static_selectorELNS0_4arch9wavefront6targetE0EEEvSF_.num_agpr, 0
	.set _ZN7rocprim17ROCPRIM_400000_NS6detail17trampoline_kernelINS0_14default_configENS1_38merge_sort_block_merge_config_selectorImNS0_10empty_typeEEEZZNS1_27merge_sort_block_merge_implIS3_PmPS5_jNS1_19radix_merge_compareILb1ELb1EmNS0_19identity_decomposerEEEEE10hipError_tT0_T1_T2_jT3_P12ihipStream_tbPNSt15iterator_traitsISE_E10value_typeEPNSK_ISF_E10value_typeEPSG_NS1_7vsmem_tEENKUlT_SE_SF_SG_E_clIS8_S8_S9_S9_EESD_ST_SE_SF_SG_EUlST_E0_NS1_11comp_targetILNS1_3genE10ELNS1_11target_archE1201ELNS1_3gpuE5ELNS1_3repE0EEENS1_38merge_mergepath_config_static_selectorELNS0_4arch9wavefront6targetE0EEEvSF_.numbered_sgpr, 0
	.set _ZN7rocprim17ROCPRIM_400000_NS6detail17trampoline_kernelINS0_14default_configENS1_38merge_sort_block_merge_config_selectorImNS0_10empty_typeEEEZZNS1_27merge_sort_block_merge_implIS3_PmPS5_jNS1_19radix_merge_compareILb1ELb1EmNS0_19identity_decomposerEEEEE10hipError_tT0_T1_T2_jT3_P12ihipStream_tbPNSt15iterator_traitsISE_E10value_typeEPNSK_ISF_E10value_typeEPSG_NS1_7vsmem_tEENKUlT_SE_SF_SG_E_clIS8_S8_S9_S9_EESD_ST_SE_SF_SG_EUlST_E0_NS1_11comp_targetILNS1_3genE10ELNS1_11target_archE1201ELNS1_3gpuE5ELNS1_3repE0EEENS1_38merge_mergepath_config_static_selectorELNS0_4arch9wavefront6targetE0EEEvSF_.num_named_barrier, 0
	.set _ZN7rocprim17ROCPRIM_400000_NS6detail17trampoline_kernelINS0_14default_configENS1_38merge_sort_block_merge_config_selectorImNS0_10empty_typeEEEZZNS1_27merge_sort_block_merge_implIS3_PmPS5_jNS1_19radix_merge_compareILb1ELb1EmNS0_19identity_decomposerEEEEE10hipError_tT0_T1_T2_jT3_P12ihipStream_tbPNSt15iterator_traitsISE_E10value_typeEPNSK_ISF_E10value_typeEPSG_NS1_7vsmem_tEENKUlT_SE_SF_SG_E_clIS8_S8_S9_S9_EESD_ST_SE_SF_SG_EUlST_E0_NS1_11comp_targetILNS1_3genE10ELNS1_11target_archE1201ELNS1_3gpuE5ELNS1_3repE0EEENS1_38merge_mergepath_config_static_selectorELNS0_4arch9wavefront6targetE0EEEvSF_.private_seg_size, 0
	.set _ZN7rocprim17ROCPRIM_400000_NS6detail17trampoline_kernelINS0_14default_configENS1_38merge_sort_block_merge_config_selectorImNS0_10empty_typeEEEZZNS1_27merge_sort_block_merge_implIS3_PmPS5_jNS1_19radix_merge_compareILb1ELb1EmNS0_19identity_decomposerEEEEE10hipError_tT0_T1_T2_jT3_P12ihipStream_tbPNSt15iterator_traitsISE_E10value_typeEPNSK_ISF_E10value_typeEPSG_NS1_7vsmem_tEENKUlT_SE_SF_SG_E_clIS8_S8_S9_S9_EESD_ST_SE_SF_SG_EUlST_E0_NS1_11comp_targetILNS1_3genE10ELNS1_11target_archE1201ELNS1_3gpuE5ELNS1_3repE0EEENS1_38merge_mergepath_config_static_selectorELNS0_4arch9wavefront6targetE0EEEvSF_.uses_vcc, 0
	.set _ZN7rocprim17ROCPRIM_400000_NS6detail17trampoline_kernelINS0_14default_configENS1_38merge_sort_block_merge_config_selectorImNS0_10empty_typeEEEZZNS1_27merge_sort_block_merge_implIS3_PmPS5_jNS1_19radix_merge_compareILb1ELb1EmNS0_19identity_decomposerEEEEE10hipError_tT0_T1_T2_jT3_P12ihipStream_tbPNSt15iterator_traitsISE_E10value_typeEPNSK_ISF_E10value_typeEPSG_NS1_7vsmem_tEENKUlT_SE_SF_SG_E_clIS8_S8_S9_S9_EESD_ST_SE_SF_SG_EUlST_E0_NS1_11comp_targetILNS1_3genE10ELNS1_11target_archE1201ELNS1_3gpuE5ELNS1_3repE0EEENS1_38merge_mergepath_config_static_selectorELNS0_4arch9wavefront6targetE0EEEvSF_.uses_flat_scratch, 0
	.set _ZN7rocprim17ROCPRIM_400000_NS6detail17trampoline_kernelINS0_14default_configENS1_38merge_sort_block_merge_config_selectorImNS0_10empty_typeEEEZZNS1_27merge_sort_block_merge_implIS3_PmPS5_jNS1_19radix_merge_compareILb1ELb1EmNS0_19identity_decomposerEEEEE10hipError_tT0_T1_T2_jT3_P12ihipStream_tbPNSt15iterator_traitsISE_E10value_typeEPNSK_ISF_E10value_typeEPSG_NS1_7vsmem_tEENKUlT_SE_SF_SG_E_clIS8_S8_S9_S9_EESD_ST_SE_SF_SG_EUlST_E0_NS1_11comp_targetILNS1_3genE10ELNS1_11target_archE1201ELNS1_3gpuE5ELNS1_3repE0EEENS1_38merge_mergepath_config_static_selectorELNS0_4arch9wavefront6targetE0EEEvSF_.has_dyn_sized_stack, 0
	.set _ZN7rocprim17ROCPRIM_400000_NS6detail17trampoline_kernelINS0_14default_configENS1_38merge_sort_block_merge_config_selectorImNS0_10empty_typeEEEZZNS1_27merge_sort_block_merge_implIS3_PmPS5_jNS1_19radix_merge_compareILb1ELb1EmNS0_19identity_decomposerEEEEE10hipError_tT0_T1_T2_jT3_P12ihipStream_tbPNSt15iterator_traitsISE_E10value_typeEPNSK_ISF_E10value_typeEPSG_NS1_7vsmem_tEENKUlT_SE_SF_SG_E_clIS8_S8_S9_S9_EESD_ST_SE_SF_SG_EUlST_E0_NS1_11comp_targetILNS1_3genE10ELNS1_11target_archE1201ELNS1_3gpuE5ELNS1_3repE0EEENS1_38merge_mergepath_config_static_selectorELNS0_4arch9wavefront6targetE0EEEvSF_.has_recursion, 0
	.set _ZN7rocprim17ROCPRIM_400000_NS6detail17trampoline_kernelINS0_14default_configENS1_38merge_sort_block_merge_config_selectorImNS0_10empty_typeEEEZZNS1_27merge_sort_block_merge_implIS3_PmPS5_jNS1_19radix_merge_compareILb1ELb1EmNS0_19identity_decomposerEEEEE10hipError_tT0_T1_T2_jT3_P12ihipStream_tbPNSt15iterator_traitsISE_E10value_typeEPNSK_ISF_E10value_typeEPSG_NS1_7vsmem_tEENKUlT_SE_SF_SG_E_clIS8_S8_S9_S9_EESD_ST_SE_SF_SG_EUlST_E0_NS1_11comp_targetILNS1_3genE10ELNS1_11target_archE1201ELNS1_3gpuE5ELNS1_3repE0EEENS1_38merge_mergepath_config_static_selectorELNS0_4arch9wavefront6targetE0EEEvSF_.has_indirect_call, 0
	.section	.AMDGPU.csdata,"",@progbits
; Kernel info:
; codeLenInByte = 0
; TotalNumSgprs: 0
; NumVgprs: 0
; ScratchSize: 0
; MemoryBound: 0
; FloatMode: 240
; IeeeMode: 1
; LDSByteSize: 0 bytes/workgroup (compile time only)
; SGPRBlocks: 0
; VGPRBlocks: 0
; NumSGPRsForWavesPerEU: 1
; NumVGPRsForWavesPerEU: 1
; NamedBarCnt: 0
; Occupancy: 16
; WaveLimiterHint : 0
; COMPUTE_PGM_RSRC2:SCRATCH_EN: 0
; COMPUTE_PGM_RSRC2:USER_SGPR: 2
; COMPUTE_PGM_RSRC2:TRAP_HANDLER: 0
; COMPUTE_PGM_RSRC2:TGID_X_EN: 1
; COMPUTE_PGM_RSRC2:TGID_Y_EN: 0
; COMPUTE_PGM_RSRC2:TGID_Z_EN: 0
; COMPUTE_PGM_RSRC2:TIDIG_COMP_CNT: 0
	.section	.text._ZN7rocprim17ROCPRIM_400000_NS6detail17trampoline_kernelINS0_14default_configENS1_38merge_sort_block_merge_config_selectorImNS0_10empty_typeEEEZZNS1_27merge_sort_block_merge_implIS3_PmPS5_jNS1_19radix_merge_compareILb1ELb1EmNS0_19identity_decomposerEEEEE10hipError_tT0_T1_T2_jT3_P12ihipStream_tbPNSt15iterator_traitsISE_E10value_typeEPNSK_ISF_E10value_typeEPSG_NS1_7vsmem_tEENKUlT_SE_SF_SG_E_clIS8_S8_S9_S9_EESD_ST_SE_SF_SG_EUlST_E0_NS1_11comp_targetILNS1_3genE5ELNS1_11target_archE942ELNS1_3gpuE9ELNS1_3repE0EEENS1_38merge_mergepath_config_static_selectorELNS0_4arch9wavefront6targetE0EEEvSF_,"axG",@progbits,_ZN7rocprim17ROCPRIM_400000_NS6detail17trampoline_kernelINS0_14default_configENS1_38merge_sort_block_merge_config_selectorImNS0_10empty_typeEEEZZNS1_27merge_sort_block_merge_implIS3_PmPS5_jNS1_19radix_merge_compareILb1ELb1EmNS0_19identity_decomposerEEEEE10hipError_tT0_T1_T2_jT3_P12ihipStream_tbPNSt15iterator_traitsISE_E10value_typeEPNSK_ISF_E10value_typeEPSG_NS1_7vsmem_tEENKUlT_SE_SF_SG_E_clIS8_S8_S9_S9_EESD_ST_SE_SF_SG_EUlST_E0_NS1_11comp_targetILNS1_3genE5ELNS1_11target_archE942ELNS1_3gpuE9ELNS1_3repE0EEENS1_38merge_mergepath_config_static_selectorELNS0_4arch9wavefront6targetE0EEEvSF_,comdat
	.protected	_ZN7rocprim17ROCPRIM_400000_NS6detail17trampoline_kernelINS0_14default_configENS1_38merge_sort_block_merge_config_selectorImNS0_10empty_typeEEEZZNS1_27merge_sort_block_merge_implIS3_PmPS5_jNS1_19radix_merge_compareILb1ELb1EmNS0_19identity_decomposerEEEEE10hipError_tT0_T1_T2_jT3_P12ihipStream_tbPNSt15iterator_traitsISE_E10value_typeEPNSK_ISF_E10value_typeEPSG_NS1_7vsmem_tEENKUlT_SE_SF_SG_E_clIS8_S8_S9_S9_EESD_ST_SE_SF_SG_EUlST_E0_NS1_11comp_targetILNS1_3genE5ELNS1_11target_archE942ELNS1_3gpuE9ELNS1_3repE0EEENS1_38merge_mergepath_config_static_selectorELNS0_4arch9wavefront6targetE0EEEvSF_ ; -- Begin function _ZN7rocprim17ROCPRIM_400000_NS6detail17trampoline_kernelINS0_14default_configENS1_38merge_sort_block_merge_config_selectorImNS0_10empty_typeEEEZZNS1_27merge_sort_block_merge_implIS3_PmPS5_jNS1_19radix_merge_compareILb1ELb1EmNS0_19identity_decomposerEEEEE10hipError_tT0_T1_T2_jT3_P12ihipStream_tbPNSt15iterator_traitsISE_E10value_typeEPNSK_ISF_E10value_typeEPSG_NS1_7vsmem_tEENKUlT_SE_SF_SG_E_clIS8_S8_S9_S9_EESD_ST_SE_SF_SG_EUlST_E0_NS1_11comp_targetILNS1_3genE5ELNS1_11target_archE942ELNS1_3gpuE9ELNS1_3repE0EEENS1_38merge_mergepath_config_static_selectorELNS0_4arch9wavefront6targetE0EEEvSF_
	.globl	_ZN7rocprim17ROCPRIM_400000_NS6detail17trampoline_kernelINS0_14default_configENS1_38merge_sort_block_merge_config_selectorImNS0_10empty_typeEEEZZNS1_27merge_sort_block_merge_implIS3_PmPS5_jNS1_19radix_merge_compareILb1ELb1EmNS0_19identity_decomposerEEEEE10hipError_tT0_T1_T2_jT3_P12ihipStream_tbPNSt15iterator_traitsISE_E10value_typeEPNSK_ISF_E10value_typeEPSG_NS1_7vsmem_tEENKUlT_SE_SF_SG_E_clIS8_S8_S9_S9_EESD_ST_SE_SF_SG_EUlST_E0_NS1_11comp_targetILNS1_3genE5ELNS1_11target_archE942ELNS1_3gpuE9ELNS1_3repE0EEENS1_38merge_mergepath_config_static_selectorELNS0_4arch9wavefront6targetE0EEEvSF_
	.p2align	8
	.type	_ZN7rocprim17ROCPRIM_400000_NS6detail17trampoline_kernelINS0_14default_configENS1_38merge_sort_block_merge_config_selectorImNS0_10empty_typeEEEZZNS1_27merge_sort_block_merge_implIS3_PmPS5_jNS1_19radix_merge_compareILb1ELb1EmNS0_19identity_decomposerEEEEE10hipError_tT0_T1_T2_jT3_P12ihipStream_tbPNSt15iterator_traitsISE_E10value_typeEPNSK_ISF_E10value_typeEPSG_NS1_7vsmem_tEENKUlT_SE_SF_SG_E_clIS8_S8_S9_S9_EESD_ST_SE_SF_SG_EUlST_E0_NS1_11comp_targetILNS1_3genE5ELNS1_11target_archE942ELNS1_3gpuE9ELNS1_3repE0EEENS1_38merge_mergepath_config_static_selectorELNS0_4arch9wavefront6targetE0EEEvSF_,@function
_ZN7rocprim17ROCPRIM_400000_NS6detail17trampoline_kernelINS0_14default_configENS1_38merge_sort_block_merge_config_selectorImNS0_10empty_typeEEEZZNS1_27merge_sort_block_merge_implIS3_PmPS5_jNS1_19radix_merge_compareILb1ELb1EmNS0_19identity_decomposerEEEEE10hipError_tT0_T1_T2_jT3_P12ihipStream_tbPNSt15iterator_traitsISE_E10value_typeEPNSK_ISF_E10value_typeEPSG_NS1_7vsmem_tEENKUlT_SE_SF_SG_E_clIS8_S8_S9_S9_EESD_ST_SE_SF_SG_EUlST_E0_NS1_11comp_targetILNS1_3genE5ELNS1_11target_archE942ELNS1_3gpuE9ELNS1_3repE0EEENS1_38merge_mergepath_config_static_selectorELNS0_4arch9wavefront6targetE0EEEvSF_: ; @_ZN7rocprim17ROCPRIM_400000_NS6detail17trampoline_kernelINS0_14default_configENS1_38merge_sort_block_merge_config_selectorImNS0_10empty_typeEEEZZNS1_27merge_sort_block_merge_implIS3_PmPS5_jNS1_19radix_merge_compareILb1ELb1EmNS0_19identity_decomposerEEEEE10hipError_tT0_T1_T2_jT3_P12ihipStream_tbPNSt15iterator_traitsISE_E10value_typeEPNSK_ISF_E10value_typeEPSG_NS1_7vsmem_tEENKUlT_SE_SF_SG_E_clIS8_S8_S9_S9_EESD_ST_SE_SF_SG_EUlST_E0_NS1_11comp_targetILNS1_3genE5ELNS1_11target_archE942ELNS1_3gpuE9ELNS1_3repE0EEENS1_38merge_mergepath_config_static_selectorELNS0_4arch9wavefront6targetE0EEEvSF_
; %bb.0:
	.section	.rodata,"a",@progbits
	.p2align	6, 0x0
	.amdhsa_kernel _ZN7rocprim17ROCPRIM_400000_NS6detail17trampoline_kernelINS0_14default_configENS1_38merge_sort_block_merge_config_selectorImNS0_10empty_typeEEEZZNS1_27merge_sort_block_merge_implIS3_PmPS5_jNS1_19radix_merge_compareILb1ELb1EmNS0_19identity_decomposerEEEEE10hipError_tT0_T1_T2_jT3_P12ihipStream_tbPNSt15iterator_traitsISE_E10value_typeEPNSK_ISF_E10value_typeEPSG_NS1_7vsmem_tEENKUlT_SE_SF_SG_E_clIS8_S8_S9_S9_EESD_ST_SE_SF_SG_EUlST_E0_NS1_11comp_targetILNS1_3genE5ELNS1_11target_archE942ELNS1_3gpuE9ELNS1_3repE0EEENS1_38merge_mergepath_config_static_selectorELNS0_4arch9wavefront6targetE0EEEvSF_
		.amdhsa_group_segment_fixed_size 0
		.amdhsa_private_segment_fixed_size 0
		.amdhsa_kernarg_size 72
		.amdhsa_user_sgpr_count 2
		.amdhsa_user_sgpr_dispatch_ptr 0
		.amdhsa_user_sgpr_queue_ptr 0
		.amdhsa_user_sgpr_kernarg_segment_ptr 1
		.amdhsa_user_sgpr_dispatch_id 0
		.amdhsa_user_sgpr_kernarg_preload_length 0
		.amdhsa_user_sgpr_kernarg_preload_offset 0
		.amdhsa_user_sgpr_private_segment_size 0
		.amdhsa_wavefront_size32 1
		.amdhsa_uses_dynamic_stack 0
		.amdhsa_enable_private_segment 0
		.amdhsa_system_sgpr_workgroup_id_x 1
		.amdhsa_system_sgpr_workgroup_id_y 0
		.amdhsa_system_sgpr_workgroup_id_z 0
		.amdhsa_system_sgpr_workgroup_info 0
		.amdhsa_system_vgpr_workitem_id 0
		.amdhsa_next_free_vgpr 1
		.amdhsa_next_free_sgpr 1
		.amdhsa_named_barrier_count 0
		.amdhsa_reserve_vcc 0
		.amdhsa_float_round_mode_32 0
		.amdhsa_float_round_mode_16_64 0
		.amdhsa_float_denorm_mode_32 3
		.amdhsa_float_denorm_mode_16_64 3
		.amdhsa_fp16_overflow 0
		.amdhsa_memory_ordered 1
		.amdhsa_forward_progress 1
		.amdhsa_inst_pref_size 0
		.amdhsa_round_robin_scheduling 0
		.amdhsa_exception_fp_ieee_invalid_op 0
		.amdhsa_exception_fp_denorm_src 0
		.amdhsa_exception_fp_ieee_div_zero 0
		.amdhsa_exception_fp_ieee_overflow 0
		.amdhsa_exception_fp_ieee_underflow 0
		.amdhsa_exception_fp_ieee_inexact 0
		.amdhsa_exception_int_div_zero 0
	.end_amdhsa_kernel
	.section	.text._ZN7rocprim17ROCPRIM_400000_NS6detail17trampoline_kernelINS0_14default_configENS1_38merge_sort_block_merge_config_selectorImNS0_10empty_typeEEEZZNS1_27merge_sort_block_merge_implIS3_PmPS5_jNS1_19radix_merge_compareILb1ELb1EmNS0_19identity_decomposerEEEEE10hipError_tT0_T1_T2_jT3_P12ihipStream_tbPNSt15iterator_traitsISE_E10value_typeEPNSK_ISF_E10value_typeEPSG_NS1_7vsmem_tEENKUlT_SE_SF_SG_E_clIS8_S8_S9_S9_EESD_ST_SE_SF_SG_EUlST_E0_NS1_11comp_targetILNS1_3genE5ELNS1_11target_archE942ELNS1_3gpuE9ELNS1_3repE0EEENS1_38merge_mergepath_config_static_selectorELNS0_4arch9wavefront6targetE0EEEvSF_,"axG",@progbits,_ZN7rocprim17ROCPRIM_400000_NS6detail17trampoline_kernelINS0_14default_configENS1_38merge_sort_block_merge_config_selectorImNS0_10empty_typeEEEZZNS1_27merge_sort_block_merge_implIS3_PmPS5_jNS1_19radix_merge_compareILb1ELb1EmNS0_19identity_decomposerEEEEE10hipError_tT0_T1_T2_jT3_P12ihipStream_tbPNSt15iterator_traitsISE_E10value_typeEPNSK_ISF_E10value_typeEPSG_NS1_7vsmem_tEENKUlT_SE_SF_SG_E_clIS8_S8_S9_S9_EESD_ST_SE_SF_SG_EUlST_E0_NS1_11comp_targetILNS1_3genE5ELNS1_11target_archE942ELNS1_3gpuE9ELNS1_3repE0EEENS1_38merge_mergepath_config_static_selectorELNS0_4arch9wavefront6targetE0EEEvSF_,comdat
.Lfunc_end2840:
	.size	_ZN7rocprim17ROCPRIM_400000_NS6detail17trampoline_kernelINS0_14default_configENS1_38merge_sort_block_merge_config_selectorImNS0_10empty_typeEEEZZNS1_27merge_sort_block_merge_implIS3_PmPS5_jNS1_19radix_merge_compareILb1ELb1EmNS0_19identity_decomposerEEEEE10hipError_tT0_T1_T2_jT3_P12ihipStream_tbPNSt15iterator_traitsISE_E10value_typeEPNSK_ISF_E10value_typeEPSG_NS1_7vsmem_tEENKUlT_SE_SF_SG_E_clIS8_S8_S9_S9_EESD_ST_SE_SF_SG_EUlST_E0_NS1_11comp_targetILNS1_3genE5ELNS1_11target_archE942ELNS1_3gpuE9ELNS1_3repE0EEENS1_38merge_mergepath_config_static_selectorELNS0_4arch9wavefront6targetE0EEEvSF_, .Lfunc_end2840-_ZN7rocprim17ROCPRIM_400000_NS6detail17trampoline_kernelINS0_14default_configENS1_38merge_sort_block_merge_config_selectorImNS0_10empty_typeEEEZZNS1_27merge_sort_block_merge_implIS3_PmPS5_jNS1_19radix_merge_compareILb1ELb1EmNS0_19identity_decomposerEEEEE10hipError_tT0_T1_T2_jT3_P12ihipStream_tbPNSt15iterator_traitsISE_E10value_typeEPNSK_ISF_E10value_typeEPSG_NS1_7vsmem_tEENKUlT_SE_SF_SG_E_clIS8_S8_S9_S9_EESD_ST_SE_SF_SG_EUlST_E0_NS1_11comp_targetILNS1_3genE5ELNS1_11target_archE942ELNS1_3gpuE9ELNS1_3repE0EEENS1_38merge_mergepath_config_static_selectorELNS0_4arch9wavefront6targetE0EEEvSF_
                                        ; -- End function
	.set _ZN7rocprim17ROCPRIM_400000_NS6detail17trampoline_kernelINS0_14default_configENS1_38merge_sort_block_merge_config_selectorImNS0_10empty_typeEEEZZNS1_27merge_sort_block_merge_implIS3_PmPS5_jNS1_19radix_merge_compareILb1ELb1EmNS0_19identity_decomposerEEEEE10hipError_tT0_T1_T2_jT3_P12ihipStream_tbPNSt15iterator_traitsISE_E10value_typeEPNSK_ISF_E10value_typeEPSG_NS1_7vsmem_tEENKUlT_SE_SF_SG_E_clIS8_S8_S9_S9_EESD_ST_SE_SF_SG_EUlST_E0_NS1_11comp_targetILNS1_3genE5ELNS1_11target_archE942ELNS1_3gpuE9ELNS1_3repE0EEENS1_38merge_mergepath_config_static_selectorELNS0_4arch9wavefront6targetE0EEEvSF_.num_vgpr, 0
	.set _ZN7rocprim17ROCPRIM_400000_NS6detail17trampoline_kernelINS0_14default_configENS1_38merge_sort_block_merge_config_selectorImNS0_10empty_typeEEEZZNS1_27merge_sort_block_merge_implIS3_PmPS5_jNS1_19radix_merge_compareILb1ELb1EmNS0_19identity_decomposerEEEEE10hipError_tT0_T1_T2_jT3_P12ihipStream_tbPNSt15iterator_traitsISE_E10value_typeEPNSK_ISF_E10value_typeEPSG_NS1_7vsmem_tEENKUlT_SE_SF_SG_E_clIS8_S8_S9_S9_EESD_ST_SE_SF_SG_EUlST_E0_NS1_11comp_targetILNS1_3genE5ELNS1_11target_archE942ELNS1_3gpuE9ELNS1_3repE0EEENS1_38merge_mergepath_config_static_selectorELNS0_4arch9wavefront6targetE0EEEvSF_.num_agpr, 0
	.set _ZN7rocprim17ROCPRIM_400000_NS6detail17trampoline_kernelINS0_14default_configENS1_38merge_sort_block_merge_config_selectorImNS0_10empty_typeEEEZZNS1_27merge_sort_block_merge_implIS3_PmPS5_jNS1_19radix_merge_compareILb1ELb1EmNS0_19identity_decomposerEEEEE10hipError_tT0_T1_T2_jT3_P12ihipStream_tbPNSt15iterator_traitsISE_E10value_typeEPNSK_ISF_E10value_typeEPSG_NS1_7vsmem_tEENKUlT_SE_SF_SG_E_clIS8_S8_S9_S9_EESD_ST_SE_SF_SG_EUlST_E0_NS1_11comp_targetILNS1_3genE5ELNS1_11target_archE942ELNS1_3gpuE9ELNS1_3repE0EEENS1_38merge_mergepath_config_static_selectorELNS0_4arch9wavefront6targetE0EEEvSF_.numbered_sgpr, 0
	.set _ZN7rocprim17ROCPRIM_400000_NS6detail17trampoline_kernelINS0_14default_configENS1_38merge_sort_block_merge_config_selectorImNS0_10empty_typeEEEZZNS1_27merge_sort_block_merge_implIS3_PmPS5_jNS1_19radix_merge_compareILb1ELb1EmNS0_19identity_decomposerEEEEE10hipError_tT0_T1_T2_jT3_P12ihipStream_tbPNSt15iterator_traitsISE_E10value_typeEPNSK_ISF_E10value_typeEPSG_NS1_7vsmem_tEENKUlT_SE_SF_SG_E_clIS8_S8_S9_S9_EESD_ST_SE_SF_SG_EUlST_E0_NS1_11comp_targetILNS1_3genE5ELNS1_11target_archE942ELNS1_3gpuE9ELNS1_3repE0EEENS1_38merge_mergepath_config_static_selectorELNS0_4arch9wavefront6targetE0EEEvSF_.num_named_barrier, 0
	.set _ZN7rocprim17ROCPRIM_400000_NS6detail17trampoline_kernelINS0_14default_configENS1_38merge_sort_block_merge_config_selectorImNS0_10empty_typeEEEZZNS1_27merge_sort_block_merge_implIS3_PmPS5_jNS1_19radix_merge_compareILb1ELb1EmNS0_19identity_decomposerEEEEE10hipError_tT0_T1_T2_jT3_P12ihipStream_tbPNSt15iterator_traitsISE_E10value_typeEPNSK_ISF_E10value_typeEPSG_NS1_7vsmem_tEENKUlT_SE_SF_SG_E_clIS8_S8_S9_S9_EESD_ST_SE_SF_SG_EUlST_E0_NS1_11comp_targetILNS1_3genE5ELNS1_11target_archE942ELNS1_3gpuE9ELNS1_3repE0EEENS1_38merge_mergepath_config_static_selectorELNS0_4arch9wavefront6targetE0EEEvSF_.private_seg_size, 0
	.set _ZN7rocprim17ROCPRIM_400000_NS6detail17trampoline_kernelINS0_14default_configENS1_38merge_sort_block_merge_config_selectorImNS0_10empty_typeEEEZZNS1_27merge_sort_block_merge_implIS3_PmPS5_jNS1_19radix_merge_compareILb1ELb1EmNS0_19identity_decomposerEEEEE10hipError_tT0_T1_T2_jT3_P12ihipStream_tbPNSt15iterator_traitsISE_E10value_typeEPNSK_ISF_E10value_typeEPSG_NS1_7vsmem_tEENKUlT_SE_SF_SG_E_clIS8_S8_S9_S9_EESD_ST_SE_SF_SG_EUlST_E0_NS1_11comp_targetILNS1_3genE5ELNS1_11target_archE942ELNS1_3gpuE9ELNS1_3repE0EEENS1_38merge_mergepath_config_static_selectorELNS0_4arch9wavefront6targetE0EEEvSF_.uses_vcc, 0
	.set _ZN7rocprim17ROCPRIM_400000_NS6detail17trampoline_kernelINS0_14default_configENS1_38merge_sort_block_merge_config_selectorImNS0_10empty_typeEEEZZNS1_27merge_sort_block_merge_implIS3_PmPS5_jNS1_19radix_merge_compareILb1ELb1EmNS0_19identity_decomposerEEEEE10hipError_tT0_T1_T2_jT3_P12ihipStream_tbPNSt15iterator_traitsISE_E10value_typeEPNSK_ISF_E10value_typeEPSG_NS1_7vsmem_tEENKUlT_SE_SF_SG_E_clIS8_S8_S9_S9_EESD_ST_SE_SF_SG_EUlST_E0_NS1_11comp_targetILNS1_3genE5ELNS1_11target_archE942ELNS1_3gpuE9ELNS1_3repE0EEENS1_38merge_mergepath_config_static_selectorELNS0_4arch9wavefront6targetE0EEEvSF_.uses_flat_scratch, 0
	.set _ZN7rocprim17ROCPRIM_400000_NS6detail17trampoline_kernelINS0_14default_configENS1_38merge_sort_block_merge_config_selectorImNS0_10empty_typeEEEZZNS1_27merge_sort_block_merge_implIS3_PmPS5_jNS1_19radix_merge_compareILb1ELb1EmNS0_19identity_decomposerEEEEE10hipError_tT0_T1_T2_jT3_P12ihipStream_tbPNSt15iterator_traitsISE_E10value_typeEPNSK_ISF_E10value_typeEPSG_NS1_7vsmem_tEENKUlT_SE_SF_SG_E_clIS8_S8_S9_S9_EESD_ST_SE_SF_SG_EUlST_E0_NS1_11comp_targetILNS1_3genE5ELNS1_11target_archE942ELNS1_3gpuE9ELNS1_3repE0EEENS1_38merge_mergepath_config_static_selectorELNS0_4arch9wavefront6targetE0EEEvSF_.has_dyn_sized_stack, 0
	.set _ZN7rocprim17ROCPRIM_400000_NS6detail17trampoline_kernelINS0_14default_configENS1_38merge_sort_block_merge_config_selectorImNS0_10empty_typeEEEZZNS1_27merge_sort_block_merge_implIS3_PmPS5_jNS1_19radix_merge_compareILb1ELb1EmNS0_19identity_decomposerEEEEE10hipError_tT0_T1_T2_jT3_P12ihipStream_tbPNSt15iterator_traitsISE_E10value_typeEPNSK_ISF_E10value_typeEPSG_NS1_7vsmem_tEENKUlT_SE_SF_SG_E_clIS8_S8_S9_S9_EESD_ST_SE_SF_SG_EUlST_E0_NS1_11comp_targetILNS1_3genE5ELNS1_11target_archE942ELNS1_3gpuE9ELNS1_3repE0EEENS1_38merge_mergepath_config_static_selectorELNS0_4arch9wavefront6targetE0EEEvSF_.has_recursion, 0
	.set _ZN7rocprim17ROCPRIM_400000_NS6detail17trampoline_kernelINS0_14default_configENS1_38merge_sort_block_merge_config_selectorImNS0_10empty_typeEEEZZNS1_27merge_sort_block_merge_implIS3_PmPS5_jNS1_19radix_merge_compareILb1ELb1EmNS0_19identity_decomposerEEEEE10hipError_tT0_T1_T2_jT3_P12ihipStream_tbPNSt15iterator_traitsISE_E10value_typeEPNSK_ISF_E10value_typeEPSG_NS1_7vsmem_tEENKUlT_SE_SF_SG_E_clIS8_S8_S9_S9_EESD_ST_SE_SF_SG_EUlST_E0_NS1_11comp_targetILNS1_3genE5ELNS1_11target_archE942ELNS1_3gpuE9ELNS1_3repE0EEENS1_38merge_mergepath_config_static_selectorELNS0_4arch9wavefront6targetE0EEEvSF_.has_indirect_call, 0
	.section	.AMDGPU.csdata,"",@progbits
; Kernel info:
; codeLenInByte = 0
; TotalNumSgprs: 0
; NumVgprs: 0
; ScratchSize: 0
; MemoryBound: 0
; FloatMode: 240
; IeeeMode: 1
; LDSByteSize: 0 bytes/workgroup (compile time only)
; SGPRBlocks: 0
; VGPRBlocks: 0
; NumSGPRsForWavesPerEU: 1
; NumVGPRsForWavesPerEU: 1
; NamedBarCnt: 0
; Occupancy: 16
; WaveLimiterHint : 0
; COMPUTE_PGM_RSRC2:SCRATCH_EN: 0
; COMPUTE_PGM_RSRC2:USER_SGPR: 2
; COMPUTE_PGM_RSRC2:TRAP_HANDLER: 0
; COMPUTE_PGM_RSRC2:TGID_X_EN: 1
; COMPUTE_PGM_RSRC2:TGID_Y_EN: 0
; COMPUTE_PGM_RSRC2:TGID_Z_EN: 0
; COMPUTE_PGM_RSRC2:TIDIG_COMP_CNT: 0
	.section	.text._ZN7rocprim17ROCPRIM_400000_NS6detail17trampoline_kernelINS0_14default_configENS1_38merge_sort_block_merge_config_selectorImNS0_10empty_typeEEEZZNS1_27merge_sort_block_merge_implIS3_PmPS5_jNS1_19radix_merge_compareILb1ELb1EmNS0_19identity_decomposerEEEEE10hipError_tT0_T1_T2_jT3_P12ihipStream_tbPNSt15iterator_traitsISE_E10value_typeEPNSK_ISF_E10value_typeEPSG_NS1_7vsmem_tEENKUlT_SE_SF_SG_E_clIS8_S8_S9_S9_EESD_ST_SE_SF_SG_EUlST_E0_NS1_11comp_targetILNS1_3genE4ELNS1_11target_archE910ELNS1_3gpuE8ELNS1_3repE0EEENS1_38merge_mergepath_config_static_selectorELNS0_4arch9wavefront6targetE0EEEvSF_,"axG",@progbits,_ZN7rocprim17ROCPRIM_400000_NS6detail17trampoline_kernelINS0_14default_configENS1_38merge_sort_block_merge_config_selectorImNS0_10empty_typeEEEZZNS1_27merge_sort_block_merge_implIS3_PmPS5_jNS1_19radix_merge_compareILb1ELb1EmNS0_19identity_decomposerEEEEE10hipError_tT0_T1_T2_jT3_P12ihipStream_tbPNSt15iterator_traitsISE_E10value_typeEPNSK_ISF_E10value_typeEPSG_NS1_7vsmem_tEENKUlT_SE_SF_SG_E_clIS8_S8_S9_S9_EESD_ST_SE_SF_SG_EUlST_E0_NS1_11comp_targetILNS1_3genE4ELNS1_11target_archE910ELNS1_3gpuE8ELNS1_3repE0EEENS1_38merge_mergepath_config_static_selectorELNS0_4arch9wavefront6targetE0EEEvSF_,comdat
	.protected	_ZN7rocprim17ROCPRIM_400000_NS6detail17trampoline_kernelINS0_14default_configENS1_38merge_sort_block_merge_config_selectorImNS0_10empty_typeEEEZZNS1_27merge_sort_block_merge_implIS3_PmPS5_jNS1_19radix_merge_compareILb1ELb1EmNS0_19identity_decomposerEEEEE10hipError_tT0_T1_T2_jT3_P12ihipStream_tbPNSt15iterator_traitsISE_E10value_typeEPNSK_ISF_E10value_typeEPSG_NS1_7vsmem_tEENKUlT_SE_SF_SG_E_clIS8_S8_S9_S9_EESD_ST_SE_SF_SG_EUlST_E0_NS1_11comp_targetILNS1_3genE4ELNS1_11target_archE910ELNS1_3gpuE8ELNS1_3repE0EEENS1_38merge_mergepath_config_static_selectorELNS0_4arch9wavefront6targetE0EEEvSF_ ; -- Begin function _ZN7rocprim17ROCPRIM_400000_NS6detail17trampoline_kernelINS0_14default_configENS1_38merge_sort_block_merge_config_selectorImNS0_10empty_typeEEEZZNS1_27merge_sort_block_merge_implIS3_PmPS5_jNS1_19radix_merge_compareILb1ELb1EmNS0_19identity_decomposerEEEEE10hipError_tT0_T1_T2_jT3_P12ihipStream_tbPNSt15iterator_traitsISE_E10value_typeEPNSK_ISF_E10value_typeEPSG_NS1_7vsmem_tEENKUlT_SE_SF_SG_E_clIS8_S8_S9_S9_EESD_ST_SE_SF_SG_EUlST_E0_NS1_11comp_targetILNS1_3genE4ELNS1_11target_archE910ELNS1_3gpuE8ELNS1_3repE0EEENS1_38merge_mergepath_config_static_selectorELNS0_4arch9wavefront6targetE0EEEvSF_
	.globl	_ZN7rocprim17ROCPRIM_400000_NS6detail17trampoline_kernelINS0_14default_configENS1_38merge_sort_block_merge_config_selectorImNS0_10empty_typeEEEZZNS1_27merge_sort_block_merge_implIS3_PmPS5_jNS1_19radix_merge_compareILb1ELb1EmNS0_19identity_decomposerEEEEE10hipError_tT0_T1_T2_jT3_P12ihipStream_tbPNSt15iterator_traitsISE_E10value_typeEPNSK_ISF_E10value_typeEPSG_NS1_7vsmem_tEENKUlT_SE_SF_SG_E_clIS8_S8_S9_S9_EESD_ST_SE_SF_SG_EUlST_E0_NS1_11comp_targetILNS1_3genE4ELNS1_11target_archE910ELNS1_3gpuE8ELNS1_3repE0EEENS1_38merge_mergepath_config_static_selectorELNS0_4arch9wavefront6targetE0EEEvSF_
	.p2align	8
	.type	_ZN7rocprim17ROCPRIM_400000_NS6detail17trampoline_kernelINS0_14default_configENS1_38merge_sort_block_merge_config_selectorImNS0_10empty_typeEEEZZNS1_27merge_sort_block_merge_implIS3_PmPS5_jNS1_19radix_merge_compareILb1ELb1EmNS0_19identity_decomposerEEEEE10hipError_tT0_T1_T2_jT3_P12ihipStream_tbPNSt15iterator_traitsISE_E10value_typeEPNSK_ISF_E10value_typeEPSG_NS1_7vsmem_tEENKUlT_SE_SF_SG_E_clIS8_S8_S9_S9_EESD_ST_SE_SF_SG_EUlST_E0_NS1_11comp_targetILNS1_3genE4ELNS1_11target_archE910ELNS1_3gpuE8ELNS1_3repE0EEENS1_38merge_mergepath_config_static_selectorELNS0_4arch9wavefront6targetE0EEEvSF_,@function
_ZN7rocprim17ROCPRIM_400000_NS6detail17trampoline_kernelINS0_14default_configENS1_38merge_sort_block_merge_config_selectorImNS0_10empty_typeEEEZZNS1_27merge_sort_block_merge_implIS3_PmPS5_jNS1_19radix_merge_compareILb1ELb1EmNS0_19identity_decomposerEEEEE10hipError_tT0_T1_T2_jT3_P12ihipStream_tbPNSt15iterator_traitsISE_E10value_typeEPNSK_ISF_E10value_typeEPSG_NS1_7vsmem_tEENKUlT_SE_SF_SG_E_clIS8_S8_S9_S9_EESD_ST_SE_SF_SG_EUlST_E0_NS1_11comp_targetILNS1_3genE4ELNS1_11target_archE910ELNS1_3gpuE8ELNS1_3repE0EEENS1_38merge_mergepath_config_static_selectorELNS0_4arch9wavefront6targetE0EEEvSF_: ; @_ZN7rocprim17ROCPRIM_400000_NS6detail17trampoline_kernelINS0_14default_configENS1_38merge_sort_block_merge_config_selectorImNS0_10empty_typeEEEZZNS1_27merge_sort_block_merge_implIS3_PmPS5_jNS1_19radix_merge_compareILb1ELb1EmNS0_19identity_decomposerEEEEE10hipError_tT0_T1_T2_jT3_P12ihipStream_tbPNSt15iterator_traitsISE_E10value_typeEPNSK_ISF_E10value_typeEPSG_NS1_7vsmem_tEENKUlT_SE_SF_SG_E_clIS8_S8_S9_S9_EESD_ST_SE_SF_SG_EUlST_E0_NS1_11comp_targetILNS1_3genE4ELNS1_11target_archE910ELNS1_3gpuE8ELNS1_3repE0EEENS1_38merge_mergepath_config_static_selectorELNS0_4arch9wavefront6targetE0EEEvSF_
; %bb.0:
	.section	.rodata,"a",@progbits
	.p2align	6, 0x0
	.amdhsa_kernel _ZN7rocprim17ROCPRIM_400000_NS6detail17trampoline_kernelINS0_14default_configENS1_38merge_sort_block_merge_config_selectorImNS0_10empty_typeEEEZZNS1_27merge_sort_block_merge_implIS3_PmPS5_jNS1_19radix_merge_compareILb1ELb1EmNS0_19identity_decomposerEEEEE10hipError_tT0_T1_T2_jT3_P12ihipStream_tbPNSt15iterator_traitsISE_E10value_typeEPNSK_ISF_E10value_typeEPSG_NS1_7vsmem_tEENKUlT_SE_SF_SG_E_clIS8_S8_S9_S9_EESD_ST_SE_SF_SG_EUlST_E0_NS1_11comp_targetILNS1_3genE4ELNS1_11target_archE910ELNS1_3gpuE8ELNS1_3repE0EEENS1_38merge_mergepath_config_static_selectorELNS0_4arch9wavefront6targetE0EEEvSF_
		.amdhsa_group_segment_fixed_size 0
		.amdhsa_private_segment_fixed_size 0
		.amdhsa_kernarg_size 72
		.amdhsa_user_sgpr_count 2
		.amdhsa_user_sgpr_dispatch_ptr 0
		.amdhsa_user_sgpr_queue_ptr 0
		.amdhsa_user_sgpr_kernarg_segment_ptr 1
		.amdhsa_user_sgpr_dispatch_id 0
		.amdhsa_user_sgpr_kernarg_preload_length 0
		.amdhsa_user_sgpr_kernarg_preload_offset 0
		.amdhsa_user_sgpr_private_segment_size 0
		.amdhsa_wavefront_size32 1
		.amdhsa_uses_dynamic_stack 0
		.amdhsa_enable_private_segment 0
		.amdhsa_system_sgpr_workgroup_id_x 1
		.amdhsa_system_sgpr_workgroup_id_y 0
		.amdhsa_system_sgpr_workgroup_id_z 0
		.amdhsa_system_sgpr_workgroup_info 0
		.amdhsa_system_vgpr_workitem_id 0
		.amdhsa_next_free_vgpr 1
		.amdhsa_next_free_sgpr 1
		.amdhsa_named_barrier_count 0
		.amdhsa_reserve_vcc 0
		.amdhsa_float_round_mode_32 0
		.amdhsa_float_round_mode_16_64 0
		.amdhsa_float_denorm_mode_32 3
		.amdhsa_float_denorm_mode_16_64 3
		.amdhsa_fp16_overflow 0
		.amdhsa_memory_ordered 1
		.amdhsa_forward_progress 1
		.amdhsa_inst_pref_size 0
		.amdhsa_round_robin_scheduling 0
		.amdhsa_exception_fp_ieee_invalid_op 0
		.amdhsa_exception_fp_denorm_src 0
		.amdhsa_exception_fp_ieee_div_zero 0
		.amdhsa_exception_fp_ieee_overflow 0
		.amdhsa_exception_fp_ieee_underflow 0
		.amdhsa_exception_fp_ieee_inexact 0
		.amdhsa_exception_int_div_zero 0
	.end_amdhsa_kernel
	.section	.text._ZN7rocprim17ROCPRIM_400000_NS6detail17trampoline_kernelINS0_14default_configENS1_38merge_sort_block_merge_config_selectorImNS0_10empty_typeEEEZZNS1_27merge_sort_block_merge_implIS3_PmPS5_jNS1_19radix_merge_compareILb1ELb1EmNS0_19identity_decomposerEEEEE10hipError_tT0_T1_T2_jT3_P12ihipStream_tbPNSt15iterator_traitsISE_E10value_typeEPNSK_ISF_E10value_typeEPSG_NS1_7vsmem_tEENKUlT_SE_SF_SG_E_clIS8_S8_S9_S9_EESD_ST_SE_SF_SG_EUlST_E0_NS1_11comp_targetILNS1_3genE4ELNS1_11target_archE910ELNS1_3gpuE8ELNS1_3repE0EEENS1_38merge_mergepath_config_static_selectorELNS0_4arch9wavefront6targetE0EEEvSF_,"axG",@progbits,_ZN7rocprim17ROCPRIM_400000_NS6detail17trampoline_kernelINS0_14default_configENS1_38merge_sort_block_merge_config_selectorImNS0_10empty_typeEEEZZNS1_27merge_sort_block_merge_implIS3_PmPS5_jNS1_19radix_merge_compareILb1ELb1EmNS0_19identity_decomposerEEEEE10hipError_tT0_T1_T2_jT3_P12ihipStream_tbPNSt15iterator_traitsISE_E10value_typeEPNSK_ISF_E10value_typeEPSG_NS1_7vsmem_tEENKUlT_SE_SF_SG_E_clIS8_S8_S9_S9_EESD_ST_SE_SF_SG_EUlST_E0_NS1_11comp_targetILNS1_3genE4ELNS1_11target_archE910ELNS1_3gpuE8ELNS1_3repE0EEENS1_38merge_mergepath_config_static_selectorELNS0_4arch9wavefront6targetE0EEEvSF_,comdat
.Lfunc_end2841:
	.size	_ZN7rocprim17ROCPRIM_400000_NS6detail17trampoline_kernelINS0_14default_configENS1_38merge_sort_block_merge_config_selectorImNS0_10empty_typeEEEZZNS1_27merge_sort_block_merge_implIS3_PmPS5_jNS1_19radix_merge_compareILb1ELb1EmNS0_19identity_decomposerEEEEE10hipError_tT0_T1_T2_jT3_P12ihipStream_tbPNSt15iterator_traitsISE_E10value_typeEPNSK_ISF_E10value_typeEPSG_NS1_7vsmem_tEENKUlT_SE_SF_SG_E_clIS8_S8_S9_S9_EESD_ST_SE_SF_SG_EUlST_E0_NS1_11comp_targetILNS1_3genE4ELNS1_11target_archE910ELNS1_3gpuE8ELNS1_3repE0EEENS1_38merge_mergepath_config_static_selectorELNS0_4arch9wavefront6targetE0EEEvSF_, .Lfunc_end2841-_ZN7rocprim17ROCPRIM_400000_NS6detail17trampoline_kernelINS0_14default_configENS1_38merge_sort_block_merge_config_selectorImNS0_10empty_typeEEEZZNS1_27merge_sort_block_merge_implIS3_PmPS5_jNS1_19radix_merge_compareILb1ELb1EmNS0_19identity_decomposerEEEEE10hipError_tT0_T1_T2_jT3_P12ihipStream_tbPNSt15iterator_traitsISE_E10value_typeEPNSK_ISF_E10value_typeEPSG_NS1_7vsmem_tEENKUlT_SE_SF_SG_E_clIS8_S8_S9_S9_EESD_ST_SE_SF_SG_EUlST_E0_NS1_11comp_targetILNS1_3genE4ELNS1_11target_archE910ELNS1_3gpuE8ELNS1_3repE0EEENS1_38merge_mergepath_config_static_selectorELNS0_4arch9wavefront6targetE0EEEvSF_
                                        ; -- End function
	.set _ZN7rocprim17ROCPRIM_400000_NS6detail17trampoline_kernelINS0_14default_configENS1_38merge_sort_block_merge_config_selectorImNS0_10empty_typeEEEZZNS1_27merge_sort_block_merge_implIS3_PmPS5_jNS1_19radix_merge_compareILb1ELb1EmNS0_19identity_decomposerEEEEE10hipError_tT0_T1_T2_jT3_P12ihipStream_tbPNSt15iterator_traitsISE_E10value_typeEPNSK_ISF_E10value_typeEPSG_NS1_7vsmem_tEENKUlT_SE_SF_SG_E_clIS8_S8_S9_S9_EESD_ST_SE_SF_SG_EUlST_E0_NS1_11comp_targetILNS1_3genE4ELNS1_11target_archE910ELNS1_3gpuE8ELNS1_3repE0EEENS1_38merge_mergepath_config_static_selectorELNS0_4arch9wavefront6targetE0EEEvSF_.num_vgpr, 0
	.set _ZN7rocprim17ROCPRIM_400000_NS6detail17trampoline_kernelINS0_14default_configENS1_38merge_sort_block_merge_config_selectorImNS0_10empty_typeEEEZZNS1_27merge_sort_block_merge_implIS3_PmPS5_jNS1_19radix_merge_compareILb1ELb1EmNS0_19identity_decomposerEEEEE10hipError_tT0_T1_T2_jT3_P12ihipStream_tbPNSt15iterator_traitsISE_E10value_typeEPNSK_ISF_E10value_typeEPSG_NS1_7vsmem_tEENKUlT_SE_SF_SG_E_clIS8_S8_S9_S9_EESD_ST_SE_SF_SG_EUlST_E0_NS1_11comp_targetILNS1_3genE4ELNS1_11target_archE910ELNS1_3gpuE8ELNS1_3repE0EEENS1_38merge_mergepath_config_static_selectorELNS0_4arch9wavefront6targetE0EEEvSF_.num_agpr, 0
	.set _ZN7rocprim17ROCPRIM_400000_NS6detail17trampoline_kernelINS0_14default_configENS1_38merge_sort_block_merge_config_selectorImNS0_10empty_typeEEEZZNS1_27merge_sort_block_merge_implIS3_PmPS5_jNS1_19radix_merge_compareILb1ELb1EmNS0_19identity_decomposerEEEEE10hipError_tT0_T1_T2_jT3_P12ihipStream_tbPNSt15iterator_traitsISE_E10value_typeEPNSK_ISF_E10value_typeEPSG_NS1_7vsmem_tEENKUlT_SE_SF_SG_E_clIS8_S8_S9_S9_EESD_ST_SE_SF_SG_EUlST_E0_NS1_11comp_targetILNS1_3genE4ELNS1_11target_archE910ELNS1_3gpuE8ELNS1_3repE0EEENS1_38merge_mergepath_config_static_selectorELNS0_4arch9wavefront6targetE0EEEvSF_.numbered_sgpr, 0
	.set _ZN7rocprim17ROCPRIM_400000_NS6detail17trampoline_kernelINS0_14default_configENS1_38merge_sort_block_merge_config_selectorImNS0_10empty_typeEEEZZNS1_27merge_sort_block_merge_implIS3_PmPS5_jNS1_19radix_merge_compareILb1ELb1EmNS0_19identity_decomposerEEEEE10hipError_tT0_T1_T2_jT3_P12ihipStream_tbPNSt15iterator_traitsISE_E10value_typeEPNSK_ISF_E10value_typeEPSG_NS1_7vsmem_tEENKUlT_SE_SF_SG_E_clIS8_S8_S9_S9_EESD_ST_SE_SF_SG_EUlST_E0_NS1_11comp_targetILNS1_3genE4ELNS1_11target_archE910ELNS1_3gpuE8ELNS1_3repE0EEENS1_38merge_mergepath_config_static_selectorELNS0_4arch9wavefront6targetE0EEEvSF_.num_named_barrier, 0
	.set _ZN7rocprim17ROCPRIM_400000_NS6detail17trampoline_kernelINS0_14default_configENS1_38merge_sort_block_merge_config_selectorImNS0_10empty_typeEEEZZNS1_27merge_sort_block_merge_implIS3_PmPS5_jNS1_19radix_merge_compareILb1ELb1EmNS0_19identity_decomposerEEEEE10hipError_tT0_T1_T2_jT3_P12ihipStream_tbPNSt15iterator_traitsISE_E10value_typeEPNSK_ISF_E10value_typeEPSG_NS1_7vsmem_tEENKUlT_SE_SF_SG_E_clIS8_S8_S9_S9_EESD_ST_SE_SF_SG_EUlST_E0_NS1_11comp_targetILNS1_3genE4ELNS1_11target_archE910ELNS1_3gpuE8ELNS1_3repE0EEENS1_38merge_mergepath_config_static_selectorELNS0_4arch9wavefront6targetE0EEEvSF_.private_seg_size, 0
	.set _ZN7rocprim17ROCPRIM_400000_NS6detail17trampoline_kernelINS0_14default_configENS1_38merge_sort_block_merge_config_selectorImNS0_10empty_typeEEEZZNS1_27merge_sort_block_merge_implIS3_PmPS5_jNS1_19radix_merge_compareILb1ELb1EmNS0_19identity_decomposerEEEEE10hipError_tT0_T1_T2_jT3_P12ihipStream_tbPNSt15iterator_traitsISE_E10value_typeEPNSK_ISF_E10value_typeEPSG_NS1_7vsmem_tEENKUlT_SE_SF_SG_E_clIS8_S8_S9_S9_EESD_ST_SE_SF_SG_EUlST_E0_NS1_11comp_targetILNS1_3genE4ELNS1_11target_archE910ELNS1_3gpuE8ELNS1_3repE0EEENS1_38merge_mergepath_config_static_selectorELNS0_4arch9wavefront6targetE0EEEvSF_.uses_vcc, 0
	.set _ZN7rocprim17ROCPRIM_400000_NS6detail17trampoline_kernelINS0_14default_configENS1_38merge_sort_block_merge_config_selectorImNS0_10empty_typeEEEZZNS1_27merge_sort_block_merge_implIS3_PmPS5_jNS1_19radix_merge_compareILb1ELb1EmNS0_19identity_decomposerEEEEE10hipError_tT0_T1_T2_jT3_P12ihipStream_tbPNSt15iterator_traitsISE_E10value_typeEPNSK_ISF_E10value_typeEPSG_NS1_7vsmem_tEENKUlT_SE_SF_SG_E_clIS8_S8_S9_S9_EESD_ST_SE_SF_SG_EUlST_E0_NS1_11comp_targetILNS1_3genE4ELNS1_11target_archE910ELNS1_3gpuE8ELNS1_3repE0EEENS1_38merge_mergepath_config_static_selectorELNS0_4arch9wavefront6targetE0EEEvSF_.uses_flat_scratch, 0
	.set _ZN7rocprim17ROCPRIM_400000_NS6detail17trampoline_kernelINS0_14default_configENS1_38merge_sort_block_merge_config_selectorImNS0_10empty_typeEEEZZNS1_27merge_sort_block_merge_implIS3_PmPS5_jNS1_19radix_merge_compareILb1ELb1EmNS0_19identity_decomposerEEEEE10hipError_tT0_T1_T2_jT3_P12ihipStream_tbPNSt15iterator_traitsISE_E10value_typeEPNSK_ISF_E10value_typeEPSG_NS1_7vsmem_tEENKUlT_SE_SF_SG_E_clIS8_S8_S9_S9_EESD_ST_SE_SF_SG_EUlST_E0_NS1_11comp_targetILNS1_3genE4ELNS1_11target_archE910ELNS1_3gpuE8ELNS1_3repE0EEENS1_38merge_mergepath_config_static_selectorELNS0_4arch9wavefront6targetE0EEEvSF_.has_dyn_sized_stack, 0
	.set _ZN7rocprim17ROCPRIM_400000_NS6detail17trampoline_kernelINS0_14default_configENS1_38merge_sort_block_merge_config_selectorImNS0_10empty_typeEEEZZNS1_27merge_sort_block_merge_implIS3_PmPS5_jNS1_19radix_merge_compareILb1ELb1EmNS0_19identity_decomposerEEEEE10hipError_tT0_T1_T2_jT3_P12ihipStream_tbPNSt15iterator_traitsISE_E10value_typeEPNSK_ISF_E10value_typeEPSG_NS1_7vsmem_tEENKUlT_SE_SF_SG_E_clIS8_S8_S9_S9_EESD_ST_SE_SF_SG_EUlST_E0_NS1_11comp_targetILNS1_3genE4ELNS1_11target_archE910ELNS1_3gpuE8ELNS1_3repE0EEENS1_38merge_mergepath_config_static_selectorELNS0_4arch9wavefront6targetE0EEEvSF_.has_recursion, 0
	.set _ZN7rocprim17ROCPRIM_400000_NS6detail17trampoline_kernelINS0_14default_configENS1_38merge_sort_block_merge_config_selectorImNS0_10empty_typeEEEZZNS1_27merge_sort_block_merge_implIS3_PmPS5_jNS1_19radix_merge_compareILb1ELb1EmNS0_19identity_decomposerEEEEE10hipError_tT0_T1_T2_jT3_P12ihipStream_tbPNSt15iterator_traitsISE_E10value_typeEPNSK_ISF_E10value_typeEPSG_NS1_7vsmem_tEENKUlT_SE_SF_SG_E_clIS8_S8_S9_S9_EESD_ST_SE_SF_SG_EUlST_E0_NS1_11comp_targetILNS1_3genE4ELNS1_11target_archE910ELNS1_3gpuE8ELNS1_3repE0EEENS1_38merge_mergepath_config_static_selectorELNS0_4arch9wavefront6targetE0EEEvSF_.has_indirect_call, 0
	.section	.AMDGPU.csdata,"",@progbits
; Kernel info:
; codeLenInByte = 0
; TotalNumSgprs: 0
; NumVgprs: 0
; ScratchSize: 0
; MemoryBound: 0
; FloatMode: 240
; IeeeMode: 1
; LDSByteSize: 0 bytes/workgroup (compile time only)
; SGPRBlocks: 0
; VGPRBlocks: 0
; NumSGPRsForWavesPerEU: 1
; NumVGPRsForWavesPerEU: 1
; NamedBarCnt: 0
; Occupancy: 16
; WaveLimiterHint : 0
; COMPUTE_PGM_RSRC2:SCRATCH_EN: 0
; COMPUTE_PGM_RSRC2:USER_SGPR: 2
; COMPUTE_PGM_RSRC2:TRAP_HANDLER: 0
; COMPUTE_PGM_RSRC2:TGID_X_EN: 1
; COMPUTE_PGM_RSRC2:TGID_Y_EN: 0
; COMPUTE_PGM_RSRC2:TGID_Z_EN: 0
; COMPUTE_PGM_RSRC2:TIDIG_COMP_CNT: 0
	.section	.text._ZN7rocprim17ROCPRIM_400000_NS6detail17trampoline_kernelINS0_14default_configENS1_38merge_sort_block_merge_config_selectorImNS0_10empty_typeEEEZZNS1_27merge_sort_block_merge_implIS3_PmPS5_jNS1_19radix_merge_compareILb1ELb1EmNS0_19identity_decomposerEEEEE10hipError_tT0_T1_T2_jT3_P12ihipStream_tbPNSt15iterator_traitsISE_E10value_typeEPNSK_ISF_E10value_typeEPSG_NS1_7vsmem_tEENKUlT_SE_SF_SG_E_clIS8_S8_S9_S9_EESD_ST_SE_SF_SG_EUlST_E0_NS1_11comp_targetILNS1_3genE3ELNS1_11target_archE908ELNS1_3gpuE7ELNS1_3repE0EEENS1_38merge_mergepath_config_static_selectorELNS0_4arch9wavefront6targetE0EEEvSF_,"axG",@progbits,_ZN7rocprim17ROCPRIM_400000_NS6detail17trampoline_kernelINS0_14default_configENS1_38merge_sort_block_merge_config_selectorImNS0_10empty_typeEEEZZNS1_27merge_sort_block_merge_implIS3_PmPS5_jNS1_19radix_merge_compareILb1ELb1EmNS0_19identity_decomposerEEEEE10hipError_tT0_T1_T2_jT3_P12ihipStream_tbPNSt15iterator_traitsISE_E10value_typeEPNSK_ISF_E10value_typeEPSG_NS1_7vsmem_tEENKUlT_SE_SF_SG_E_clIS8_S8_S9_S9_EESD_ST_SE_SF_SG_EUlST_E0_NS1_11comp_targetILNS1_3genE3ELNS1_11target_archE908ELNS1_3gpuE7ELNS1_3repE0EEENS1_38merge_mergepath_config_static_selectorELNS0_4arch9wavefront6targetE0EEEvSF_,comdat
	.protected	_ZN7rocprim17ROCPRIM_400000_NS6detail17trampoline_kernelINS0_14default_configENS1_38merge_sort_block_merge_config_selectorImNS0_10empty_typeEEEZZNS1_27merge_sort_block_merge_implIS3_PmPS5_jNS1_19radix_merge_compareILb1ELb1EmNS0_19identity_decomposerEEEEE10hipError_tT0_T1_T2_jT3_P12ihipStream_tbPNSt15iterator_traitsISE_E10value_typeEPNSK_ISF_E10value_typeEPSG_NS1_7vsmem_tEENKUlT_SE_SF_SG_E_clIS8_S8_S9_S9_EESD_ST_SE_SF_SG_EUlST_E0_NS1_11comp_targetILNS1_3genE3ELNS1_11target_archE908ELNS1_3gpuE7ELNS1_3repE0EEENS1_38merge_mergepath_config_static_selectorELNS0_4arch9wavefront6targetE0EEEvSF_ ; -- Begin function _ZN7rocprim17ROCPRIM_400000_NS6detail17trampoline_kernelINS0_14default_configENS1_38merge_sort_block_merge_config_selectorImNS0_10empty_typeEEEZZNS1_27merge_sort_block_merge_implIS3_PmPS5_jNS1_19radix_merge_compareILb1ELb1EmNS0_19identity_decomposerEEEEE10hipError_tT0_T1_T2_jT3_P12ihipStream_tbPNSt15iterator_traitsISE_E10value_typeEPNSK_ISF_E10value_typeEPSG_NS1_7vsmem_tEENKUlT_SE_SF_SG_E_clIS8_S8_S9_S9_EESD_ST_SE_SF_SG_EUlST_E0_NS1_11comp_targetILNS1_3genE3ELNS1_11target_archE908ELNS1_3gpuE7ELNS1_3repE0EEENS1_38merge_mergepath_config_static_selectorELNS0_4arch9wavefront6targetE0EEEvSF_
	.globl	_ZN7rocprim17ROCPRIM_400000_NS6detail17trampoline_kernelINS0_14default_configENS1_38merge_sort_block_merge_config_selectorImNS0_10empty_typeEEEZZNS1_27merge_sort_block_merge_implIS3_PmPS5_jNS1_19radix_merge_compareILb1ELb1EmNS0_19identity_decomposerEEEEE10hipError_tT0_T1_T2_jT3_P12ihipStream_tbPNSt15iterator_traitsISE_E10value_typeEPNSK_ISF_E10value_typeEPSG_NS1_7vsmem_tEENKUlT_SE_SF_SG_E_clIS8_S8_S9_S9_EESD_ST_SE_SF_SG_EUlST_E0_NS1_11comp_targetILNS1_3genE3ELNS1_11target_archE908ELNS1_3gpuE7ELNS1_3repE0EEENS1_38merge_mergepath_config_static_selectorELNS0_4arch9wavefront6targetE0EEEvSF_
	.p2align	8
	.type	_ZN7rocprim17ROCPRIM_400000_NS6detail17trampoline_kernelINS0_14default_configENS1_38merge_sort_block_merge_config_selectorImNS0_10empty_typeEEEZZNS1_27merge_sort_block_merge_implIS3_PmPS5_jNS1_19radix_merge_compareILb1ELb1EmNS0_19identity_decomposerEEEEE10hipError_tT0_T1_T2_jT3_P12ihipStream_tbPNSt15iterator_traitsISE_E10value_typeEPNSK_ISF_E10value_typeEPSG_NS1_7vsmem_tEENKUlT_SE_SF_SG_E_clIS8_S8_S9_S9_EESD_ST_SE_SF_SG_EUlST_E0_NS1_11comp_targetILNS1_3genE3ELNS1_11target_archE908ELNS1_3gpuE7ELNS1_3repE0EEENS1_38merge_mergepath_config_static_selectorELNS0_4arch9wavefront6targetE0EEEvSF_,@function
_ZN7rocprim17ROCPRIM_400000_NS6detail17trampoline_kernelINS0_14default_configENS1_38merge_sort_block_merge_config_selectorImNS0_10empty_typeEEEZZNS1_27merge_sort_block_merge_implIS3_PmPS5_jNS1_19radix_merge_compareILb1ELb1EmNS0_19identity_decomposerEEEEE10hipError_tT0_T1_T2_jT3_P12ihipStream_tbPNSt15iterator_traitsISE_E10value_typeEPNSK_ISF_E10value_typeEPSG_NS1_7vsmem_tEENKUlT_SE_SF_SG_E_clIS8_S8_S9_S9_EESD_ST_SE_SF_SG_EUlST_E0_NS1_11comp_targetILNS1_3genE3ELNS1_11target_archE908ELNS1_3gpuE7ELNS1_3repE0EEENS1_38merge_mergepath_config_static_selectorELNS0_4arch9wavefront6targetE0EEEvSF_: ; @_ZN7rocprim17ROCPRIM_400000_NS6detail17trampoline_kernelINS0_14default_configENS1_38merge_sort_block_merge_config_selectorImNS0_10empty_typeEEEZZNS1_27merge_sort_block_merge_implIS3_PmPS5_jNS1_19radix_merge_compareILb1ELb1EmNS0_19identity_decomposerEEEEE10hipError_tT0_T1_T2_jT3_P12ihipStream_tbPNSt15iterator_traitsISE_E10value_typeEPNSK_ISF_E10value_typeEPSG_NS1_7vsmem_tEENKUlT_SE_SF_SG_E_clIS8_S8_S9_S9_EESD_ST_SE_SF_SG_EUlST_E0_NS1_11comp_targetILNS1_3genE3ELNS1_11target_archE908ELNS1_3gpuE7ELNS1_3repE0EEENS1_38merge_mergepath_config_static_selectorELNS0_4arch9wavefront6targetE0EEEvSF_
; %bb.0:
	.section	.rodata,"a",@progbits
	.p2align	6, 0x0
	.amdhsa_kernel _ZN7rocprim17ROCPRIM_400000_NS6detail17trampoline_kernelINS0_14default_configENS1_38merge_sort_block_merge_config_selectorImNS0_10empty_typeEEEZZNS1_27merge_sort_block_merge_implIS3_PmPS5_jNS1_19radix_merge_compareILb1ELb1EmNS0_19identity_decomposerEEEEE10hipError_tT0_T1_T2_jT3_P12ihipStream_tbPNSt15iterator_traitsISE_E10value_typeEPNSK_ISF_E10value_typeEPSG_NS1_7vsmem_tEENKUlT_SE_SF_SG_E_clIS8_S8_S9_S9_EESD_ST_SE_SF_SG_EUlST_E0_NS1_11comp_targetILNS1_3genE3ELNS1_11target_archE908ELNS1_3gpuE7ELNS1_3repE0EEENS1_38merge_mergepath_config_static_selectorELNS0_4arch9wavefront6targetE0EEEvSF_
		.amdhsa_group_segment_fixed_size 0
		.amdhsa_private_segment_fixed_size 0
		.amdhsa_kernarg_size 72
		.amdhsa_user_sgpr_count 2
		.amdhsa_user_sgpr_dispatch_ptr 0
		.amdhsa_user_sgpr_queue_ptr 0
		.amdhsa_user_sgpr_kernarg_segment_ptr 1
		.amdhsa_user_sgpr_dispatch_id 0
		.amdhsa_user_sgpr_kernarg_preload_length 0
		.amdhsa_user_sgpr_kernarg_preload_offset 0
		.amdhsa_user_sgpr_private_segment_size 0
		.amdhsa_wavefront_size32 1
		.amdhsa_uses_dynamic_stack 0
		.amdhsa_enable_private_segment 0
		.amdhsa_system_sgpr_workgroup_id_x 1
		.amdhsa_system_sgpr_workgroup_id_y 0
		.amdhsa_system_sgpr_workgroup_id_z 0
		.amdhsa_system_sgpr_workgroup_info 0
		.amdhsa_system_vgpr_workitem_id 0
		.amdhsa_next_free_vgpr 1
		.amdhsa_next_free_sgpr 1
		.amdhsa_named_barrier_count 0
		.amdhsa_reserve_vcc 0
		.amdhsa_float_round_mode_32 0
		.amdhsa_float_round_mode_16_64 0
		.amdhsa_float_denorm_mode_32 3
		.amdhsa_float_denorm_mode_16_64 3
		.amdhsa_fp16_overflow 0
		.amdhsa_memory_ordered 1
		.amdhsa_forward_progress 1
		.amdhsa_inst_pref_size 0
		.amdhsa_round_robin_scheduling 0
		.amdhsa_exception_fp_ieee_invalid_op 0
		.amdhsa_exception_fp_denorm_src 0
		.amdhsa_exception_fp_ieee_div_zero 0
		.amdhsa_exception_fp_ieee_overflow 0
		.amdhsa_exception_fp_ieee_underflow 0
		.amdhsa_exception_fp_ieee_inexact 0
		.amdhsa_exception_int_div_zero 0
	.end_amdhsa_kernel
	.section	.text._ZN7rocprim17ROCPRIM_400000_NS6detail17trampoline_kernelINS0_14default_configENS1_38merge_sort_block_merge_config_selectorImNS0_10empty_typeEEEZZNS1_27merge_sort_block_merge_implIS3_PmPS5_jNS1_19radix_merge_compareILb1ELb1EmNS0_19identity_decomposerEEEEE10hipError_tT0_T1_T2_jT3_P12ihipStream_tbPNSt15iterator_traitsISE_E10value_typeEPNSK_ISF_E10value_typeEPSG_NS1_7vsmem_tEENKUlT_SE_SF_SG_E_clIS8_S8_S9_S9_EESD_ST_SE_SF_SG_EUlST_E0_NS1_11comp_targetILNS1_3genE3ELNS1_11target_archE908ELNS1_3gpuE7ELNS1_3repE0EEENS1_38merge_mergepath_config_static_selectorELNS0_4arch9wavefront6targetE0EEEvSF_,"axG",@progbits,_ZN7rocprim17ROCPRIM_400000_NS6detail17trampoline_kernelINS0_14default_configENS1_38merge_sort_block_merge_config_selectorImNS0_10empty_typeEEEZZNS1_27merge_sort_block_merge_implIS3_PmPS5_jNS1_19radix_merge_compareILb1ELb1EmNS0_19identity_decomposerEEEEE10hipError_tT0_T1_T2_jT3_P12ihipStream_tbPNSt15iterator_traitsISE_E10value_typeEPNSK_ISF_E10value_typeEPSG_NS1_7vsmem_tEENKUlT_SE_SF_SG_E_clIS8_S8_S9_S9_EESD_ST_SE_SF_SG_EUlST_E0_NS1_11comp_targetILNS1_3genE3ELNS1_11target_archE908ELNS1_3gpuE7ELNS1_3repE0EEENS1_38merge_mergepath_config_static_selectorELNS0_4arch9wavefront6targetE0EEEvSF_,comdat
.Lfunc_end2842:
	.size	_ZN7rocprim17ROCPRIM_400000_NS6detail17trampoline_kernelINS0_14default_configENS1_38merge_sort_block_merge_config_selectorImNS0_10empty_typeEEEZZNS1_27merge_sort_block_merge_implIS3_PmPS5_jNS1_19radix_merge_compareILb1ELb1EmNS0_19identity_decomposerEEEEE10hipError_tT0_T1_T2_jT3_P12ihipStream_tbPNSt15iterator_traitsISE_E10value_typeEPNSK_ISF_E10value_typeEPSG_NS1_7vsmem_tEENKUlT_SE_SF_SG_E_clIS8_S8_S9_S9_EESD_ST_SE_SF_SG_EUlST_E0_NS1_11comp_targetILNS1_3genE3ELNS1_11target_archE908ELNS1_3gpuE7ELNS1_3repE0EEENS1_38merge_mergepath_config_static_selectorELNS0_4arch9wavefront6targetE0EEEvSF_, .Lfunc_end2842-_ZN7rocprim17ROCPRIM_400000_NS6detail17trampoline_kernelINS0_14default_configENS1_38merge_sort_block_merge_config_selectorImNS0_10empty_typeEEEZZNS1_27merge_sort_block_merge_implIS3_PmPS5_jNS1_19radix_merge_compareILb1ELb1EmNS0_19identity_decomposerEEEEE10hipError_tT0_T1_T2_jT3_P12ihipStream_tbPNSt15iterator_traitsISE_E10value_typeEPNSK_ISF_E10value_typeEPSG_NS1_7vsmem_tEENKUlT_SE_SF_SG_E_clIS8_S8_S9_S9_EESD_ST_SE_SF_SG_EUlST_E0_NS1_11comp_targetILNS1_3genE3ELNS1_11target_archE908ELNS1_3gpuE7ELNS1_3repE0EEENS1_38merge_mergepath_config_static_selectorELNS0_4arch9wavefront6targetE0EEEvSF_
                                        ; -- End function
	.set _ZN7rocprim17ROCPRIM_400000_NS6detail17trampoline_kernelINS0_14default_configENS1_38merge_sort_block_merge_config_selectorImNS0_10empty_typeEEEZZNS1_27merge_sort_block_merge_implIS3_PmPS5_jNS1_19radix_merge_compareILb1ELb1EmNS0_19identity_decomposerEEEEE10hipError_tT0_T1_T2_jT3_P12ihipStream_tbPNSt15iterator_traitsISE_E10value_typeEPNSK_ISF_E10value_typeEPSG_NS1_7vsmem_tEENKUlT_SE_SF_SG_E_clIS8_S8_S9_S9_EESD_ST_SE_SF_SG_EUlST_E0_NS1_11comp_targetILNS1_3genE3ELNS1_11target_archE908ELNS1_3gpuE7ELNS1_3repE0EEENS1_38merge_mergepath_config_static_selectorELNS0_4arch9wavefront6targetE0EEEvSF_.num_vgpr, 0
	.set _ZN7rocprim17ROCPRIM_400000_NS6detail17trampoline_kernelINS0_14default_configENS1_38merge_sort_block_merge_config_selectorImNS0_10empty_typeEEEZZNS1_27merge_sort_block_merge_implIS3_PmPS5_jNS1_19radix_merge_compareILb1ELb1EmNS0_19identity_decomposerEEEEE10hipError_tT0_T1_T2_jT3_P12ihipStream_tbPNSt15iterator_traitsISE_E10value_typeEPNSK_ISF_E10value_typeEPSG_NS1_7vsmem_tEENKUlT_SE_SF_SG_E_clIS8_S8_S9_S9_EESD_ST_SE_SF_SG_EUlST_E0_NS1_11comp_targetILNS1_3genE3ELNS1_11target_archE908ELNS1_3gpuE7ELNS1_3repE0EEENS1_38merge_mergepath_config_static_selectorELNS0_4arch9wavefront6targetE0EEEvSF_.num_agpr, 0
	.set _ZN7rocprim17ROCPRIM_400000_NS6detail17trampoline_kernelINS0_14default_configENS1_38merge_sort_block_merge_config_selectorImNS0_10empty_typeEEEZZNS1_27merge_sort_block_merge_implIS3_PmPS5_jNS1_19radix_merge_compareILb1ELb1EmNS0_19identity_decomposerEEEEE10hipError_tT0_T1_T2_jT3_P12ihipStream_tbPNSt15iterator_traitsISE_E10value_typeEPNSK_ISF_E10value_typeEPSG_NS1_7vsmem_tEENKUlT_SE_SF_SG_E_clIS8_S8_S9_S9_EESD_ST_SE_SF_SG_EUlST_E0_NS1_11comp_targetILNS1_3genE3ELNS1_11target_archE908ELNS1_3gpuE7ELNS1_3repE0EEENS1_38merge_mergepath_config_static_selectorELNS0_4arch9wavefront6targetE0EEEvSF_.numbered_sgpr, 0
	.set _ZN7rocprim17ROCPRIM_400000_NS6detail17trampoline_kernelINS0_14default_configENS1_38merge_sort_block_merge_config_selectorImNS0_10empty_typeEEEZZNS1_27merge_sort_block_merge_implIS3_PmPS5_jNS1_19radix_merge_compareILb1ELb1EmNS0_19identity_decomposerEEEEE10hipError_tT0_T1_T2_jT3_P12ihipStream_tbPNSt15iterator_traitsISE_E10value_typeEPNSK_ISF_E10value_typeEPSG_NS1_7vsmem_tEENKUlT_SE_SF_SG_E_clIS8_S8_S9_S9_EESD_ST_SE_SF_SG_EUlST_E0_NS1_11comp_targetILNS1_3genE3ELNS1_11target_archE908ELNS1_3gpuE7ELNS1_3repE0EEENS1_38merge_mergepath_config_static_selectorELNS0_4arch9wavefront6targetE0EEEvSF_.num_named_barrier, 0
	.set _ZN7rocprim17ROCPRIM_400000_NS6detail17trampoline_kernelINS0_14default_configENS1_38merge_sort_block_merge_config_selectorImNS0_10empty_typeEEEZZNS1_27merge_sort_block_merge_implIS3_PmPS5_jNS1_19radix_merge_compareILb1ELb1EmNS0_19identity_decomposerEEEEE10hipError_tT0_T1_T2_jT3_P12ihipStream_tbPNSt15iterator_traitsISE_E10value_typeEPNSK_ISF_E10value_typeEPSG_NS1_7vsmem_tEENKUlT_SE_SF_SG_E_clIS8_S8_S9_S9_EESD_ST_SE_SF_SG_EUlST_E0_NS1_11comp_targetILNS1_3genE3ELNS1_11target_archE908ELNS1_3gpuE7ELNS1_3repE0EEENS1_38merge_mergepath_config_static_selectorELNS0_4arch9wavefront6targetE0EEEvSF_.private_seg_size, 0
	.set _ZN7rocprim17ROCPRIM_400000_NS6detail17trampoline_kernelINS0_14default_configENS1_38merge_sort_block_merge_config_selectorImNS0_10empty_typeEEEZZNS1_27merge_sort_block_merge_implIS3_PmPS5_jNS1_19radix_merge_compareILb1ELb1EmNS0_19identity_decomposerEEEEE10hipError_tT0_T1_T2_jT3_P12ihipStream_tbPNSt15iterator_traitsISE_E10value_typeEPNSK_ISF_E10value_typeEPSG_NS1_7vsmem_tEENKUlT_SE_SF_SG_E_clIS8_S8_S9_S9_EESD_ST_SE_SF_SG_EUlST_E0_NS1_11comp_targetILNS1_3genE3ELNS1_11target_archE908ELNS1_3gpuE7ELNS1_3repE0EEENS1_38merge_mergepath_config_static_selectorELNS0_4arch9wavefront6targetE0EEEvSF_.uses_vcc, 0
	.set _ZN7rocprim17ROCPRIM_400000_NS6detail17trampoline_kernelINS0_14default_configENS1_38merge_sort_block_merge_config_selectorImNS0_10empty_typeEEEZZNS1_27merge_sort_block_merge_implIS3_PmPS5_jNS1_19radix_merge_compareILb1ELb1EmNS0_19identity_decomposerEEEEE10hipError_tT0_T1_T2_jT3_P12ihipStream_tbPNSt15iterator_traitsISE_E10value_typeEPNSK_ISF_E10value_typeEPSG_NS1_7vsmem_tEENKUlT_SE_SF_SG_E_clIS8_S8_S9_S9_EESD_ST_SE_SF_SG_EUlST_E0_NS1_11comp_targetILNS1_3genE3ELNS1_11target_archE908ELNS1_3gpuE7ELNS1_3repE0EEENS1_38merge_mergepath_config_static_selectorELNS0_4arch9wavefront6targetE0EEEvSF_.uses_flat_scratch, 0
	.set _ZN7rocprim17ROCPRIM_400000_NS6detail17trampoline_kernelINS0_14default_configENS1_38merge_sort_block_merge_config_selectorImNS0_10empty_typeEEEZZNS1_27merge_sort_block_merge_implIS3_PmPS5_jNS1_19radix_merge_compareILb1ELb1EmNS0_19identity_decomposerEEEEE10hipError_tT0_T1_T2_jT3_P12ihipStream_tbPNSt15iterator_traitsISE_E10value_typeEPNSK_ISF_E10value_typeEPSG_NS1_7vsmem_tEENKUlT_SE_SF_SG_E_clIS8_S8_S9_S9_EESD_ST_SE_SF_SG_EUlST_E0_NS1_11comp_targetILNS1_3genE3ELNS1_11target_archE908ELNS1_3gpuE7ELNS1_3repE0EEENS1_38merge_mergepath_config_static_selectorELNS0_4arch9wavefront6targetE0EEEvSF_.has_dyn_sized_stack, 0
	.set _ZN7rocprim17ROCPRIM_400000_NS6detail17trampoline_kernelINS0_14default_configENS1_38merge_sort_block_merge_config_selectorImNS0_10empty_typeEEEZZNS1_27merge_sort_block_merge_implIS3_PmPS5_jNS1_19radix_merge_compareILb1ELb1EmNS0_19identity_decomposerEEEEE10hipError_tT0_T1_T2_jT3_P12ihipStream_tbPNSt15iterator_traitsISE_E10value_typeEPNSK_ISF_E10value_typeEPSG_NS1_7vsmem_tEENKUlT_SE_SF_SG_E_clIS8_S8_S9_S9_EESD_ST_SE_SF_SG_EUlST_E0_NS1_11comp_targetILNS1_3genE3ELNS1_11target_archE908ELNS1_3gpuE7ELNS1_3repE0EEENS1_38merge_mergepath_config_static_selectorELNS0_4arch9wavefront6targetE0EEEvSF_.has_recursion, 0
	.set _ZN7rocprim17ROCPRIM_400000_NS6detail17trampoline_kernelINS0_14default_configENS1_38merge_sort_block_merge_config_selectorImNS0_10empty_typeEEEZZNS1_27merge_sort_block_merge_implIS3_PmPS5_jNS1_19radix_merge_compareILb1ELb1EmNS0_19identity_decomposerEEEEE10hipError_tT0_T1_T2_jT3_P12ihipStream_tbPNSt15iterator_traitsISE_E10value_typeEPNSK_ISF_E10value_typeEPSG_NS1_7vsmem_tEENKUlT_SE_SF_SG_E_clIS8_S8_S9_S9_EESD_ST_SE_SF_SG_EUlST_E0_NS1_11comp_targetILNS1_3genE3ELNS1_11target_archE908ELNS1_3gpuE7ELNS1_3repE0EEENS1_38merge_mergepath_config_static_selectorELNS0_4arch9wavefront6targetE0EEEvSF_.has_indirect_call, 0
	.section	.AMDGPU.csdata,"",@progbits
; Kernel info:
; codeLenInByte = 0
; TotalNumSgprs: 0
; NumVgprs: 0
; ScratchSize: 0
; MemoryBound: 0
; FloatMode: 240
; IeeeMode: 1
; LDSByteSize: 0 bytes/workgroup (compile time only)
; SGPRBlocks: 0
; VGPRBlocks: 0
; NumSGPRsForWavesPerEU: 1
; NumVGPRsForWavesPerEU: 1
; NamedBarCnt: 0
; Occupancy: 16
; WaveLimiterHint : 0
; COMPUTE_PGM_RSRC2:SCRATCH_EN: 0
; COMPUTE_PGM_RSRC2:USER_SGPR: 2
; COMPUTE_PGM_RSRC2:TRAP_HANDLER: 0
; COMPUTE_PGM_RSRC2:TGID_X_EN: 1
; COMPUTE_PGM_RSRC2:TGID_Y_EN: 0
; COMPUTE_PGM_RSRC2:TGID_Z_EN: 0
; COMPUTE_PGM_RSRC2:TIDIG_COMP_CNT: 0
	.section	.text._ZN7rocprim17ROCPRIM_400000_NS6detail17trampoline_kernelINS0_14default_configENS1_38merge_sort_block_merge_config_selectorImNS0_10empty_typeEEEZZNS1_27merge_sort_block_merge_implIS3_PmPS5_jNS1_19radix_merge_compareILb1ELb1EmNS0_19identity_decomposerEEEEE10hipError_tT0_T1_T2_jT3_P12ihipStream_tbPNSt15iterator_traitsISE_E10value_typeEPNSK_ISF_E10value_typeEPSG_NS1_7vsmem_tEENKUlT_SE_SF_SG_E_clIS8_S8_S9_S9_EESD_ST_SE_SF_SG_EUlST_E0_NS1_11comp_targetILNS1_3genE2ELNS1_11target_archE906ELNS1_3gpuE6ELNS1_3repE0EEENS1_38merge_mergepath_config_static_selectorELNS0_4arch9wavefront6targetE0EEEvSF_,"axG",@progbits,_ZN7rocprim17ROCPRIM_400000_NS6detail17trampoline_kernelINS0_14default_configENS1_38merge_sort_block_merge_config_selectorImNS0_10empty_typeEEEZZNS1_27merge_sort_block_merge_implIS3_PmPS5_jNS1_19radix_merge_compareILb1ELb1EmNS0_19identity_decomposerEEEEE10hipError_tT0_T1_T2_jT3_P12ihipStream_tbPNSt15iterator_traitsISE_E10value_typeEPNSK_ISF_E10value_typeEPSG_NS1_7vsmem_tEENKUlT_SE_SF_SG_E_clIS8_S8_S9_S9_EESD_ST_SE_SF_SG_EUlST_E0_NS1_11comp_targetILNS1_3genE2ELNS1_11target_archE906ELNS1_3gpuE6ELNS1_3repE0EEENS1_38merge_mergepath_config_static_selectorELNS0_4arch9wavefront6targetE0EEEvSF_,comdat
	.protected	_ZN7rocprim17ROCPRIM_400000_NS6detail17trampoline_kernelINS0_14default_configENS1_38merge_sort_block_merge_config_selectorImNS0_10empty_typeEEEZZNS1_27merge_sort_block_merge_implIS3_PmPS5_jNS1_19radix_merge_compareILb1ELb1EmNS0_19identity_decomposerEEEEE10hipError_tT0_T1_T2_jT3_P12ihipStream_tbPNSt15iterator_traitsISE_E10value_typeEPNSK_ISF_E10value_typeEPSG_NS1_7vsmem_tEENKUlT_SE_SF_SG_E_clIS8_S8_S9_S9_EESD_ST_SE_SF_SG_EUlST_E0_NS1_11comp_targetILNS1_3genE2ELNS1_11target_archE906ELNS1_3gpuE6ELNS1_3repE0EEENS1_38merge_mergepath_config_static_selectorELNS0_4arch9wavefront6targetE0EEEvSF_ ; -- Begin function _ZN7rocprim17ROCPRIM_400000_NS6detail17trampoline_kernelINS0_14default_configENS1_38merge_sort_block_merge_config_selectorImNS0_10empty_typeEEEZZNS1_27merge_sort_block_merge_implIS3_PmPS5_jNS1_19radix_merge_compareILb1ELb1EmNS0_19identity_decomposerEEEEE10hipError_tT0_T1_T2_jT3_P12ihipStream_tbPNSt15iterator_traitsISE_E10value_typeEPNSK_ISF_E10value_typeEPSG_NS1_7vsmem_tEENKUlT_SE_SF_SG_E_clIS8_S8_S9_S9_EESD_ST_SE_SF_SG_EUlST_E0_NS1_11comp_targetILNS1_3genE2ELNS1_11target_archE906ELNS1_3gpuE6ELNS1_3repE0EEENS1_38merge_mergepath_config_static_selectorELNS0_4arch9wavefront6targetE0EEEvSF_
	.globl	_ZN7rocprim17ROCPRIM_400000_NS6detail17trampoline_kernelINS0_14default_configENS1_38merge_sort_block_merge_config_selectorImNS0_10empty_typeEEEZZNS1_27merge_sort_block_merge_implIS3_PmPS5_jNS1_19radix_merge_compareILb1ELb1EmNS0_19identity_decomposerEEEEE10hipError_tT0_T1_T2_jT3_P12ihipStream_tbPNSt15iterator_traitsISE_E10value_typeEPNSK_ISF_E10value_typeEPSG_NS1_7vsmem_tEENKUlT_SE_SF_SG_E_clIS8_S8_S9_S9_EESD_ST_SE_SF_SG_EUlST_E0_NS1_11comp_targetILNS1_3genE2ELNS1_11target_archE906ELNS1_3gpuE6ELNS1_3repE0EEENS1_38merge_mergepath_config_static_selectorELNS0_4arch9wavefront6targetE0EEEvSF_
	.p2align	8
	.type	_ZN7rocprim17ROCPRIM_400000_NS6detail17trampoline_kernelINS0_14default_configENS1_38merge_sort_block_merge_config_selectorImNS0_10empty_typeEEEZZNS1_27merge_sort_block_merge_implIS3_PmPS5_jNS1_19radix_merge_compareILb1ELb1EmNS0_19identity_decomposerEEEEE10hipError_tT0_T1_T2_jT3_P12ihipStream_tbPNSt15iterator_traitsISE_E10value_typeEPNSK_ISF_E10value_typeEPSG_NS1_7vsmem_tEENKUlT_SE_SF_SG_E_clIS8_S8_S9_S9_EESD_ST_SE_SF_SG_EUlST_E0_NS1_11comp_targetILNS1_3genE2ELNS1_11target_archE906ELNS1_3gpuE6ELNS1_3repE0EEENS1_38merge_mergepath_config_static_selectorELNS0_4arch9wavefront6targetE0EEEvSF_,@function
_ZN7rocprim17ROCPRIM_400000_NS6detail17trampoline_kernelINS0_14default_configENS1_38merge_sort_block_merge_config_selectorImNS0_10empty_typeEEEZZNS1_27merge_sort_block_merge_implIS3_PmPS5_jNS1_19radix_merge_compareILb1ELb1EmNS0_19identity_decomposerEEEEE10hipError_tT0_T1_T2_jT3_P12ihipStream_tbPNSt15iterator_traitsISE_E10value_typeEPNSK_ISF_E10value_typeEPSG_NS1_7vsmem_tEENKUlT_SE_SF_SG_E_clIS8_S8_S9_S9_EESD_ST_SE_SF_SG_EUlST_E0_NS1_11comp_targetILNS1_3genE2ELNS1_11target_archE906ELNS1_3gpuE6ELNS1_3repE0EEENS1_38merge_mergepath_config_static_selectorELNS0_4arch9wavefront6targetE0EEEvSF_: ; @_ZN7rocprim17ROCPRIM_400000_NS6detail17trampoline_kernelINS0_14default_configENS1_38merge_sort_block_merge_config_selectorImNS0_10empty_typeEEEZZNS1_27merge_sort_block_merge_implIS3_PmPS5_jNS1_19radix_merge_compareILb1ELb1EmNS0_19identity_decomposerEEEEE10hipError_tT0_T1_T2_jT3_P12ihipStream_tbPNSt15iterator_traitsISE_E10value_typeEPNSK_ISF_E10value_typeEPSG_NS1_7vsmem_tEENKUlT_SE_SF_SG_E_clIS8_S8_S9_S9_EESD_ST_SE_SF_SG_EUlST_E0_NS1_11comp_targetILNS1_3genE2ELNS1_11target_archE906ELNS1_3gpuE6ELNS1_3repE0EEENS1_38merge_mergepath_config_static_selectorELNS0_4arch9wavefront6targetE0EEEvSF_
; %bb.0:
	.section	.rodata,"a",@progbits
	.p2align	6, 0x0
	.amdhsa_kernel _ZN7rocprim17ROCPRIM_400000_NS6detail17trampoline_kernelINS0_14default_configENS1_38merge_sort_block_merge_config_selectorImNS0_10empty_typeEEEZZNS1_27merge_sort_block_merge_implIS3_PmPS5_jNS1_19radix_merge_compareILb1ELb1EmNS0_19identity_decomposerEEEEE10hipError_tT0_T1_T2_jT3_P12ihipStream_tbPNSt15iterator_traitsISE_E10value_typeEPNSK_ISF_E10value_typeEPSG_NS1_7vsmem_tEENKUlT_SE_SF_SG_E_clIS8_S8_S9_S9_EESD_ST_SE_SF_SG_EUlST_E0_NS1_11comp_targetILNS1_3genE2ELNS1_11target_archE906ELNS1_3gpuE6ELNS1_3repE0EEENS1_38merge_mergepath_config_static_selectorELNS0_4arch9wavefront6targetE0EEEvSF_
		.amdhsa_group_segment_fixed_size 0
		.amdhsa_private_segment_fixed_size 0
		.amdhsa_kernarg_size 72
		.amdhsa_user_sgpr_count 2
		.amdhsa_user_sgpr_dispatch_ptr 0
		.amdhsa_user_sgpr_queue_ptr 0
		.amdhsa_user_sgpr_kernarg_segment_ptr 1
		.amdhsa_user_sgpr_dispatch_id 0
		.amdhsa_user_sgpr_kernarg_preload_length 0
		.amdhsa_user_sgpr_kernarg_preload_offset 0
		.amdhsa_user_sgpr_private_segment_size 0
		.amdhsa_wavefront_size32 1
		.amdhsa_uses_dynamic_stack 0
		.amdhsa_enable_private_segment 0
		.amdhsa_system_sgpr_workgroup_id_x 1
		.amdhsa_system_sgpr_workgroup_id_y 0
		.amdhsa_system_sgpr_workgroup_id_z 0
		.amdhsa_system_sgpr_workgroup_info 0
		.amdhsa_system_vgpr_workitem_id 0
		.amdhsa_next_free_vgpr 1
		.amdhsa_next_free_sgpr 1
		.amdhsa_named_barrier_count 0
		.amdhsa_reserve_vcc 0
		.amdhsa_float_round_mode_32 0
		.amdhsa_float_round_mode_16_64 0
		.amdhsa_float_denorm_mode_32 3
		.amdhsa_float_denorm_mode_16_64 3
		.amdhsa_fp16_overflow 0
		.amdhsa_memory_ordered 1
		.amdhsa_forward_progress 1
		.amdhsa_inst_pref_size 0
		.amdhsa_round_robin_scheduling 0
		.amdhsa_exception_fp_ieee_invalid_op 0
		.amdhsa_exception_fp_denorm_src 0
		.amdhsa_exception_fp_ieee_div_zero 0
		.amdhsa_exception_fp_ieee_overflow 0
		.amdhsa_exception_fp_ieee_underflow 0
		.amdhsa_exception_fp_ieee_inexact 0
		.amdhsa_exception_int_div_zero 0
	.end_amdhsa_kernel
	.section	.text._ZN7rocprim17ROCPRIM_400000_NS6detail17trampoline_kernelINS0_14default_configENS1_38merge_sort_block_merge_config_selectorImNS0_10empty_typeEEEZZNS1_27merge_sort_block_merge_implIS3_PmPS5_jNS1_19radix_merge_compareILb1ELb1EmNS0_19identity_decomposerEEEEE10hipError_tT0_T1_T2_jT3_P12ihipStream_tbPNSt15iterator_traitsISE_E10value_typeEPNSK_ISF_E10value_typeEPSG_NS1_7vsmem_tEENKUlT_SE_SF_SG_E_clIS8_S8_S9_S9_EESD_ST_SE_SF_SG_EUlST_E0_NS1_11comp_targetILNS1_3genE2ELNS1_11target_archE906ELNS1_3gpuE6ELNS1_3repE0EEENS1_38merge_mergepath_config_static_selectorELNS0_4arch9wavefront6targetE0EEEvSF_,"axG",@progbits,_ZN7rocprim17ROCPRIM_400000_NS6detail17trampoline_kernelINS0_14default_configENS1_38merge_sort_block_merge_config_selectorImNS0_10empty_typeEEEZZNS1_27merge_sort_block_merge_implIS3_PmPS5_jNS1_19radix_merge_compareILb1ELb1EmNS0_19identity_decomposerEEEEE10hipError_tT0_T1_T2_jT3_P12ihipStream_tbPNSt15iterator_traitsISE_E10value_typeEPNSK_ISF_E10value_typeEPSG_NS1_7vsmem_tEENKUlT_SE_SF_SG_E_clIS8_S8_S9_S9_EESD_ST_SE_SF_SG_EUlST_E0_NS1_11comp_targetILNS1_3genE2ELNS1_11target_archE906ELNS1_3gpuE6ELNS1_3repE0EEENS1_38merge_mergepath_config_static_selectorELNS0_4arch9wavefront6targetE0EEEvSF_,comdat
.Lfunc_end2843:
	.size	_ZN7rocprim17ROCPRIM_400000_NS6detail17trampoline_kernelINS0_14default_configENS1_38merge_sort_block_merge_config_selectorImNS0_10empty_typeEEEZZNS1_27merge_sort_block_merge_implIS3_PmPS5_jNS1_19radix_merge_compareILb1ELb1EmNS0_19identity_decomposerEEEEE10hipError_tT0_T1_T2_jT3_P12ihipStream_tbPNSt15iterator_traitsISE_E10value_typeEPNSK_ISF_E10value_typeEPSG_NS1_7vsmem_tEENKUlT_SE_SF_SG_E_clIS8_S8_S9_S9_EESD_ST_SE_SF_SG_EUlST_E0_NS1_11comp_targetILNS1_3genE2ELNS1_11target_archE906ELNS1_3gpuE6ELNS1_3repE0EEENS1_38merge_mergepath_config_static_selectorELNS0_4arch9wavefront6targetE0EEEvSF_, .Lfunc_end2843-_ZN7rocprim17ROCPRIM_400000_NS6detail17trampoline_kernelINS0_14default_configENS1_38merge_sort_block_merge_config_selectorImNS0_10empty_typeEEEZZNS1_27merge_sort_block_merge_implIS3_PmPS5_jNS1_19radix_merge_compareILb1ELb1EmNS0_19identity_decomposerEEEEE10hipError_tT0_T1_T2_jT3_P12ihipStream_tbPNSt15iterator_traitsISE_E10value_typeEPNSK_ISF_E10value_typeEPSG_NS1_7vsmem_tEENKUlT_SE_SF_SG_E_clIS8_S8_S9_S9_EESD_ST_SE_SF_SG_EUlST_E0_NS1_11comp_targetILNS1_3genE2ELNS1_11target_archE906ELNS1_3gpuE6ELNS1_3repE0EEENS1_38merge_mergepath_config_static_selectorELNS0_4arch9wavefront6targetE0EEEvSF_
                                        ; -- End function
	.set _ZN7rocprim17ROCPRIM_400000_NS6detail17trampoline_kernelINS0_14default_configENS1_38merge_sort_block_merge_config_selectorImNS0_10empty_typeEEEZZNS1_27merge_sort_block_merge_implIS3_PmPS5_jNS1_19radix_merge_compareILb1ELb1EmNS0_19identity_decomposerEEEEE10hipError_tT0_T1_T2_jT3_P12ihipStream_tbPNSt15iterator_traitsISE_E10value_typeEPNSK_ISF_E10value_typeEPSG_NS1_7vsmem_tEENKUlT_SE_SF_SG_E_clIS8_S8_S9_S9_EESD_ST_SE_SF_SG_EUlST_E0_NS1_11comp_targetILNS1_3genE2ELNS1_11target_archE906ELNS1_3gpuE6ELNS1_3repE0EEENS1_38merge_mergepath_config_static_selectorELNS0_4arch9wavefront6targetE0EEEvSF_.num_vgpr, 0
	.set _ZN7rocprim17ROCPRIM_400000_NS6detail17trampoline_kernelINS0_14default_configENS1_38merge_sort_block_merge_config_selectorImNS0_10empty_typeEEEZZNS1_27merge_sort_block_merge_implIS3_PmPS5_jNS1_19radix_merge_compareILb1ELb1EmNS0_19identity_decomposerEEEEE10hipError_tT0_T1_T2_jT3_P12ihipStream_tbPNSt15iterator_traitsISE_E10value_typeEPNSK_ISF_E10value_typeEPSG_NS1_7vsmem_tEENKUlT_SE_SF_SG_E_clIS8_S8_S9_S9_EESD_ST_SE_SF_SG_EUlST_E0_NS1_11comp_targetILNS1_3genE2ELNS1_11target_archE906ELNS1_3gpuE6ELNS1_3repE0EEENS1_38merge_mergepath_config_static_selectorELNS0_4arch9wavefront6targetE0EEEvSF_.num_agpr, 0
	.set _ZN7rocprim17ROCPRIM_400000_NS6detail17trampoline_kernelINS0_14default_configENS1_38merge_sort_block_merge_config_selectorImNS0_10empty_typeEEEZZNS1_27merge_sort_block_merge_implIS3_PmPS5_jNS1_19radix_merge_compareILb1ELb1EmNS0_19identity_decomposerEEEEE10hipError_tT0_T1_T2_jT3_P12ihipStream_tbPNSt15iterator_traitsISE_E10value_typeEPNSK_ISF_E10value_typeEPSG_NS1_7vsmem_tEENKUlT_SE_SF_SG_E_clIS8_S8_S9_S9_EESD_ST_SE_SF_SG_EUlST_E0_NS1_11comp_targetILNS1_3genE2ELNS1_11target_archE906ELNS1_3gpuE6ELNS1_3repE0EEENS1_38merge_mergepath_config_static_selectorELNS0_4arch9wavefront6targetE0EEEvSF_.numbered_sgpr, 0
	.set _ZN7rocprim17ROCPRIM_400000_NS6detail17trampoline_kernelINS0_14default_configENS1_38merge_sort_block_merge_config_selectorImNS0_10empty_typeEEEZZNS1_27merge_sort_block_merge_implIS3_PmPS5_jNS1_19radix_merge_compareILb1ELb1EmNS0_19identity_decomposerEEEEE10hipError_tT0_T1_T2_jT3_P12ihipStream_tbPNSt15iterator_traitsISE_E10value_typeEPNSK_ISF_E10value_typeEPSG_NS1_7vsmem_tEENKUlT_SE_SF_SG_E_clIS8_S8_S9_S9_EESD_ST_SE_SF_SG_EUlST_E0_NS1_11comp_targetILNS1_3genE2ELNS1_11target_archE906ELNS1_3gpuE6ELNS1_3repE0EEENS1_38merge_mergepath_config_static_selectorELNS0_4arch9wavefront6targetE0EEEvSF_.num_named_barrier, 0
	.set _ZN7rocprim17ROCPRIM_400000_NS6detail17trampoline_kernelINS0_14default_configENS1_38merge_sort_block_merge_config_selectorImNS0_10empty_typeEEEZZNS1_27merge_sort_block_merge_implIS3_PmPS5_jNS1_19radix_merge_compareILb1ELb1EmNS0_19identity_decomposerEEEEE10hipError_tT0_T1_T2_jT3_P12ihipStream_tbPNSt15iterator_traitsISE_E10value_typeEPNSK_ISF_E10value_typeEPSG_NS1_7vsmem_tEENKUlT_SE_SF_SG_E_clIS8_S8_S9_S9_EESD_ST_SE_SF_SG_EUlST_E0_NS1_11comp_targetILNS1_3genE2ELNS1_11target_archE906ELNS1_3gpuE6ELNS1_3repE0EEENS1_38merge_mergepath_config_static_selectorELNS0_4arch9wavefront6targetE0EEEvSF_.private_seg_size, 0
	.set _ZN7rocprim17ROCPRIM_400000_NS6detail17trampoline_kernelINS0_14default_configENS1_38merge_sort_block_merge_config_selectorImNS0_10empty_typeEEEZZNS1_27merge_sort_block_merge_implIS3_PmPS5_jNS1_19radix_merge_compareILb1ELb1EmNS0_19identity_decomposerEEEEE10hipError_tT0_T1_T2_jT3_P12ihipStream_tbPNSt15iterator_traitsISE_E10value_typeEPNSK_ISF_E10value_typeEPSG_NS1_7vsmem_tEENKUlT_SE_SF_SG_E_clIS8_S8_S9_S9_EESD_ST_SE_SF_SG_EUlST_E0_NS1_11comp_targetILNS1_3genE2ELNS1_11target_archE906ELNS1_3gpuE6ELNS1_3repE0EEENS1_38merge_mergepath_config_static_selectorELNS0_4arch9wavefront6targetE0EEEvSF_.uses_vcc, 0
	.set _ZN7rocprim17ROCPRIM_400000_NS6detail17trampoline_kernelINS0_14default_configENS1_38merge_sort_block_merge_config_selectorImNS0_10empty_typeEEEZZNS1_27merge_sort_block_merge_implIS3_PmPS5_jNS1_19radix_merge_compareILb1ELb1EmNS0_19identity_decomposerEEEEE10hipError_tT0_T1_T2_jT3_P12ihipStream_tbPNSt15iterator_traitsISE_E10value_typeEPNSK_ISF_E10value_typeEPSG_NS1_7vsmem_tEENKUlT_SE_SF_SG_E_clIS8_S8_S9_S9_EESD_ST_SE_SF_SG_EUlST_E0_NS1_11comp_targetILNS1_3genE2ELNS1_11target_archE906ELNS1_3gpuE6ELNS1_3repE0EEENS1_38merge_mergepath_config_static_selectorELNS0_4arch9wavefront6targetE0EEEvSF_.uses_flat_scratch, 0
	.set _ZN7rocprim17ROCPRIM_400000_NS6detail17trampoline_kernelINS0_14default_configENS1_38merge_sort_block_merge_config_selectorImNS0_10empty_typeEEEZZNS1_27merge_sort_block_merge_implIS3_PmPS5_jNS1_19radix_merge_compareILb1ELb1EmNS0_19identity_decomposerEEEEE10hipError_tT0_T1_T2_jT3_P12ihipStream_tbPNSt15iterator_traitsISE_E10value_typeEPNSK_ISF_E10value_typeEPSG_NS1_7vsmem_tEENKUlT_SE_SF_SG_E_clIS8_S8_S9_S9_EESD_ST_SE_SF_SG_EUlST_E0_NS1_11comp_targetILNS1_3genE2ELNS1_11target_archE906ELNS1_3gpuE6ELNS1_3repE0EEENS1_38merge_mergepath_config_static_selectorELNS0_4arch9wavefront6targetE0EEEvSF_.has_dyn_sized_stack, 0
	.set _ZN7rocprim17ROCPRIM_400000_NS6detail17trampoline_kernelINS0_14default_configENS1_38merge_sort_block_merge_config_selectorImNS0_10empty_typeEEEZZNS1_27merge_sort_block_merge_implIS3_PmPS5_jNS1_19radix_merge_compareILb1ELb1EmNS0_19identity_decomposerEEEEE10hipError_tT0_T1_T2_jT3_P12ihipStream_tbPNSt15iterator_traitsISE_E10value_typeEPNSK_ISF_E10value_typeEPSG_NS1_7vsmem_tEENKUlT_SE_SF_SG_E_clIS8_S8_S9_S9_EESD_ST_SE_SF_SG_EUlST_E0_NS1_11comp_targetILNS1_3genE2ELNS1_11target_archE906ELNS1_3gpuE6ELNS1_3repE0EEENS1_38merge_mergepath_config_static_selectorELNS0_4arch9wavefront6targetE0EEEvSF_.has_recursion, 0
	.set _ZN7rocprim17ROCPRIM_400000_NS6detail17trampoline_kernelINS0_14default_configENS1_38merge_sort_block_merge_config_selectorImNS0_10empty_typeEEEZZNS1_27merge_sort_block_merge_implIS3_PmPS5_jNS1_19radix_merge_compareILb1ELb1EmNS0_19identity_decomposerEEEEE10hipError_tT0_T1_T2_jT3_P12ihipStream_tbPNSt15iterator_traitsISE_E10value_typeEPNSK_ISF_E10value_typeEPSG_NS1_7vsmem_tEENKUlT_SE_SF_SG_E_clIS8_S8_S9_S9_EESD_ST_SE_SF_SG_EUlST_E0_NS1_11comp_targetILNS1_3genE2ELNS1_11target_archE906ELNS1_3gpuE6ELNS1_3repE0EEENS1_38merge_mergepath_config_static_selectorELNS0_4arch9wavefront6targetE0EEEvSF_.has_indirect_call, 0
	.section	.AMDGPU.csdata,"",@progbits
; Kernel info:
; codeLenInByte = 0
; TotalNumSgprs: 0
; NumVgprs: 0
; ScratchSize: 0
; MemoryBound: 0
; FloatMode: 240
; IeeeMode: 1
; LDSByteSize: 0 bytes/workgroup (compile time only)
; SGPRBlocks: 0
; VGPRBlocks: 0
; NumSGPRsForWavesPerEU: 1
; NumVGPRsForWavesPerEU: 1
; NamedBarCnt: 0
; Occupancy: 16
; WaveLimiterHint : 0
; COMPUTE_PGM_RSRC2:SCRATCH_EN: 0
; COMPUTE_PGM_RSRC2:USER_SGPR: 2
; COMPUTE_PGM_RSRC2:TRAP_HANDLER: 0
; COMPUTE_PGM_RSRC2:TGID_X_EN: 1
; COMPUTE_PGM_RSRC2:TGID_Y_EN: 0
; COMPUTE_PGM_RSRC2:TGID_Z_EN: 0
; COMPUTE_PGM_RSRC2:TIDIG_COMP_CNT: 0
	.section	.text._ZN7rocprim17ROCPRIM_400000_NS6detail17trampoline_kernelINS0_14default_configENS1_38merge_sort_block_merge_config_selectorImNS0_10empty_typeEEEZZNS1_27merge_sort_block_merge_implIS3_PmPS5_jNS1_19radix_merge_compareILb1ELb1EmNS0_19identity_decomposerEEEEE10hipError_tT0_T1_T2_jT3_P12ihipStream_tbPNSt15iterator_traitsISE_E10value_typeEPNSK_ISF_E10value_typeEPSG_NS1_7vsmem_tEENKUlT_SE_SF_SG_E_clIS8_S8_S9_S9_EESD_ST_SE_SF_SG_EUlST_E0_NS1_11comp_targetILNS1_3genE9ELNS1_11target_archE1100ELNS1_3gpuE3ELNS1_3repE0EEENS1_38merge_mergepath_config_static_selectorELNS0_4arch9wavefront6targetE0EEEvSF_,"axG",@progbits,_ZN7rocprim17ROCPRIM_400000_NS6detail17trampoline_kernelINS0_14default_configENS1_38merge_sort_block_merge_config_selectorImNS0_10empty_typeEEEZZNS1_27merge_sort_block_merge_implIS3_PmPS5_jNS1_19radix_merge_compareILb1ELb1EmNS0_19identity_decomposerEEEEE10hipError_tT0_T1_T2_jT3_P12ihipStream_tbPNSt15iterator_traitsISE_E10value_typeEPNSK_ISF_E10value_typeEPSG_NS1_7vsmem_tEENKUlT_SE_SF_SG_E_clIS8_S8_S9_S9_EESD_ST_SE_SF_SG_EUlST_E0_NS1_11comp_targetILNS1_3genE9ELNS1_11target_archE1100ELNS1_3gpuE3ELNS1_3repE0EEENS1_38merge_mergepath_config_static_selectorELNS0_4arch9wavefront6targetE0EEEvSF_,comdat
	.protected	_ZN7rocprim17ROCPRIM_400000_NS6detail17trampoline_kernelINS0_14default_configENS1_38merge_sort_block_merge_config_selectorImNS0_10empty_typeEEEZZNS1_27merge_sort_block_merge_implIS3_PmPS5_jNS1_19radix_merge_compareILb1ELb1EmNS0_19identity_decomposerEEEEE10hipError_tT0_T1_T2_jT3_P12ihipStream_tbPNSt15iterator_traitsISE_E10value_typeEPNSK_ISF_E10value_typeEPSG_NS1_7vsmem_tEENKUlT_SE_SF_SG_E_clIS8_S8_S9_S9_EESD_ST_SE_SF_SG_EUlST_E0_NS1_11comp_targetILNS1_3genE9ELNS1_11target_archE1100ELNS1_3gpuE3ELNS1_3repE0EEENS1_38merge_mergepath_config_static_selectorELNS0_4arch9wavefront6targetE0EEEvSF_ ; -- Begin function _ZN7rocprim17ROCPRIM_400000_NS6detail17trampoline_kernelINS0_14default_configENS1_38merge_sort_block_merge_config_selectorImNS0_10empty_typeEEEZZNS1_27merge_sort_block_merge_implIS3_PmPS5_jNS1_19radix_merge_compareILb1ELb1EmNS0_19identity_decomposerEEEEE10hipError_tT0_T1_T2_jT3_P12ihipStream_tbPNSt15iterator_traitsISE_E10value_typeEPNSK_ISF_E10value_typeEPSG_NS1_7vsmem_tEENKUlT_SE_SF_SG_E_clIS8_S8_S9_S9_EESD_ST_SE_SF_SG_EUlST_E0_NS1_11comp_targetILNS1_3genE9ELNS1_11target_archE1100ELNS1_3gpuE3ELNS1_3repE0EEENS1_38merge_mergepath_config_static_selectorELNS0_4arch9wavefront6targetE0EEEvSF_
	.globl	_ZN7rocprim17ROCPRIM_400000_NS6detail17trampoline_kernelINS0_14default_configENS1_38merge_sort_block_merge_config_selectorImNS0_10empty_typeEEEZZNS1_27merge_sort_block_merge_implIS3_PmPS5_jNS1_19radix_merge_compareILb1ELb1EmNS0_19identity_decomposerEEEEE10hipError_tT0_T1_T2_jT3_P12ihipStream_tbPNSt15iterator_traitsISE_E10value_typeEPNSK_ISF_E10value_typeEPSG_NS1_7vsmem_tEENKUlT_SE_SF_SG_E_clIS8_S8_S9_S9_EESD_ST_SE_SF_SG_EUlST_E0_NS1_11comp_targetILNS1_3genE9ELNS1_11target_archE1100ELNS1_3gpuE3ELNS1_3repE0EEENS1_38merge_mergepath_config_static_selectorELNS0_4arch9wavefront6targetE0EEEvSF_
	.p2align	8
	.type	_ZN7rocprim17ROCPRIM_400000_NS6detail17trampoline_kernelINS0_14default_configENS1_38merge_sort_block_merge_config_selectorImNS0_10empty_typeEEEZZNS1_27merge_sort_block_merge_implIS3_PmPS5_jNS1_19radix_merge_compareILb1ELb1EmNS0_19identity_decomposerEEEEE10hipError_tT0_T1_T2_jT3_P12ihipStream_tbPNSt15iterator_traitsISE_E10value_typeEPNSK_ISF_E10value_typeEPSG_NS1_7vsmem_tEENKUlT_SE_SF_SG_E_clIS8_S8_S9_S9_EESD_ST_SE_SF_SG_EUlST_E0_NS1_11comp_targetILNS1_3genE9ELNS1_11target_archE1100ELNS1_3gpuE3ELNS1_3repE0EEENS1_38merge_mergepath_config_static_selectorELNS0_4arch9wavefront6targetE0EEEvSF_,@function
_ZN7rocprim17ROCPRIM_400000_NS6detail17trampoline_kernelINS0_14default_configENS1_38merge_sort_block_merge_config_selectorImNS0_10empty_typeEEEZZNS1_27merge_sort_block_merge_implIS3_PmPS5_jNS1_19radix_merge_compareILb1ELb1EmNS0_19identity_decomposerEEEEE10hipError_tT0_T1_T2_jT3_P12ihipStream_tbPNSt15iterator_traitsISE_E10value_typeEPNSK_ISF_E10value_typeEPSG_NS1_7vsmem_tEENKUlT_SE_SF_SG_E_clIS8_S8_S9_S9_EESD_ST_SE_SF_SG_EUlST_E0_NS1_11comp_targetILNS1_3genE9ELNS1_11target_archE1100ELNS1_3gpuE3ELNS1_3repE0EEENS1_38merge_mergepath_config_static_selectorELNS0_4arch9wavefront6targetE0EEEvSF_: ; @_ZN7rocprim17ROCPRIM_400000_NS6detail17trampoline_kernelINS0_14default_configENS1_38merge_sort_block_merge_config_selectorImNS0_10empty_typeEEEZZNS1_27merge_sort_block_merge_implIS3_PmPS5_jNS1_19radix_merge_compareILb1ELb1EmNS0_19identity_decomposerEEEEE10hipError_tT0_T1_T2_jT3_P12ihipStream_tbPNSt15iterator_traitsISE_E10value_typeEPNSK_ISF_E10value_typeEPSG_NS1_7vsmem_tEENKUlT_SE_SF_SG_E_clIS8_S8_S9_S9_EESD_ST_SE_SF_SG_EUlST_E0_NS1_11comp_targetILNS1_3genE9ELNS1_11target_archE1100ELNS1_3gpuE3ELNS1_3repE0EEENS1_38merge_mergepath_config_static_selectorELNS0_4arch9wavefront6targetE0EEEvSF_
; %bb.0:
	.section	.rodata,"a",@progbits
	.p2align	6, 0x0
	.amdhsa_kernel _ZN7rocprim17ROCPRIM_400000_NS6detail17trampoline_kernelINS0_14default_configENS1_38merge_sort_block_merge_config_selectorImNS0_10empty_typeEEEZZNS1_27merge_sort_block_merge_implIS3_PmPS5_jNS1_19radix_merge_compareILb1ELb1EmNS0_19identity_decomposerEEEEE10hipError_tT0_T1_T2_jT3_P12ihipStream_tbPNSt15iterator_traitsISE_E10value_typeEPNSK_ISF_E10value_typeEPSG_NS1_7vsmem_tEENKUlT_SE_SF_SG_E_clIS8_S8_S9_S9_EESD_ST_SE_SF_SG_EUlST_E0_NS1_11comp_targetILNS1_3genE9ELNS1_11target_archE1100ELNS1_3gpuE3ELNS1_3repE0EEENS1_38merge_mergepath_config_static_selectorELNS0_4arch9wavefront6targetE0EEEvSF_
		.amdhsa_group_segment_fixed_size 0
		.amdhsa_private_segment_fixed_size 0
		.amdhsa_kernarg_size 72
		.amdhsa_user_sgpr_count 2
		.amdhsa_user_sgpr_dispatch_ptr 0
		.amdhsa_user_sgpr_queue_ptr 0
		.amdhsa_user_sgpr_kernarg_segment_ptr 1
		.amdhsa_user_sgpr_dispatch_id 0
		.amdhsa_user_sgpr_kernarg_preload_length 0
		.amdhsa_user_sgpr_kernarg_preload_offset 0
		.amdhsa_user_sgpr_private_segment_size 0
		.amdhsa_wavefront_size32 1
		.amdhsa_uses_dynamic_stack 0
		.amdhsa_enable_private_segment 0
		.amdhsa_system_sgpr_workgroup_id_x 1
		.amdhsa_system_sgpr_workgroup_id_y 0
		.amdhsa_system_sgpr_workgroup_id_z 0
		.amdhsa_system_sgpr_workgroup_info 0
		.amdhsa_system_vgpr_workitem_id 0
		.amdhsa_next_free_vgpr 1
		.amdhsa_next_free_sgpr 1
		.amdhsa_named_barrier_count 0
		.amdhsa_reserve_vcc 0
		.amdhsa_float_round_mode_32 0
		.amdhsa_float_round_mode_16_64 0
		.amdhsa_float_denorm_mode_32 3
		.amdhsa_float_denorm_mode_16_64 3
		.amdhsa_fp16_overflow 0
		.amdhsa_memory_ordered 1
		.amdhsa_forward_progress 1
		.amdhsa_inst_pref_size 0
		.amdhsa_round_robin_scheduling 0
		.amdhsa_exception_fp_ieee_invalid_op 0
		.amdhsa_exception_fp_denorm_src 0
		.amdhsa_exception_fp_ieee_div_zero 0
		.amdhsa_exception_fp_ieee_overflow 0
		.amdhsa_exception_fp_ieee_underflow 0
		.amdhsa_exception_fp_ieee_inexact 0
		.amdhsa_exception_int_div_zero 0
	.end_amdhsa_kernel
	.section	.text._ZN7rocprim17ROCPRIM_400000_NS6detail17trampoline_kernelINS0_14default_configENS1_38merge_sort_block_merge_config_selectorImNS0_10empty_typeEEEZZNS1_27merge_sort_block_merge_implIS3_PmPS5_jNS1_19radix_merge_compareILb1ELb1EmNS0_19identity_decomposerEEEEE10hipError_tT0_T1_T2_jT3_P12ihipStream_tbPNSt15iterator_traitsISE_E10value_typeEPNSK_ISF_E10value_typeEPSG_NS1_7vsmem_tEENKUlT_SE_SF_SG_E_clIS8_S8_S9_S9_EESD_ST_SE_SF_SG_EUlST_E0_NS1_11comp_targetILNS1_3genE9ELNS1_11target_archE1100ELNS1_3gpuE3ELNS1_3repE0EEENS1_38merge_mergepath_config_static_selectorELNS0_4arch9wavefront6targetE0EEEvSF_,"axG",@progbits,_ZN7rocprim17ROCPRIM_400000_NS6detail17trampoline_kernelINS0_14default_configENS1_38merge_sort_block_merge_config_selectorImNS0_10empty_typeEEEZZNS1_27merge_sort_block_merge_implIS3_PmPS5_jNS1_19radix_merge_compareILb1ELb1EmNS0_19identity_decomposerEEEEE10hipError_tT0_T1_T2_jT3_P12ihipStream_tbPNSt15iterator_traitsISE_E10value_typeEPNSK_ISF_E10value_typeEPSG_NS1_7vsmem_tEENKUlT_SE_SF_SG_E_clIS8_S8_S9_S9_EESD_ST_SE_SF_SG_EUlST_E0_NS1_11comp_targetILNS1_3genE9ELNS1_11target_archE1100ELNS1_3gpuE3ELNS1_3repE0EEENS1_38merge_mergepath_config_static_selectorELNS0_4arch9wavefront6targetE0EEEvSF_,comdat
.Lfunc_end2844:
	.size	_ZN7rocprim17ROCPRIM_400000_NS6detail17trampoline_kernelINS0_14default_configENS1_38merge_sort_block_merge_config_selectorImNS0_10empty_typeEEEZZNS1_27merge_sort_block_merge_implIS3_PmPS5_jNS1_19radix_merge_compareILb1ELb1EmNS0_19identity_decomposerEEEEE10hipError_tT0_T1_T2_jT3_P12ihipStream_tbPNSt15iterator_traitsISE_E10value_typeEPNSK_ISF_E10value_typeEPSG_NS1_7vsmem_tEENKUlT_SE_SF_SG_E_clIS8_S8_S9_S9_EESD_ST_SE_SF_SG_EUlST_E0_NS1_11comp_targetILNS1_3genE9ELNS1_11target_archE1100ELNS1_3gpuE3ELNS1_3repE0EEENS1_38merge_mergepath_config_static_selectorELNS0_4arch9wavefront6targetE0EEEvSF_, .Lfunc_end2844-_ZN7rocprim17ROCPRIM_400000_NS6detail17trampoline_kernelINS0_14default_configENS1_38merge_sort_block_merge_config_selectorImNS0_10empty_typeEEEZZNS1_27merge_sort_block_merge_implIS3_PmPS5_jNS1_19radix_merge_compareILb1ELb1EmNS0_19identity_decomposerEEEEE10hipError_tT0_T1_T2_jT3_P12ihipStream_tbPNSt15iterator_traitsISE_E10value_typeEPNSK_ISF_E10value_typeEPSG_NS1_7vsmem_tEENKUlT_SE_SF_SG_E_clIS8_S8_S9_S9_EESD_ST_SE_SF_SG_EUlST_E0_NS1_11comp_targetILNS1_3genE9ELNS1_11target_archE1100ELNS1_3gpuE3ELNS1_3repE0EEENS1_38merge_mergepath_config_static_selectorELNS0_4arch9wavefront6targetE0EEEvSF_
                                        ; -- End function
	.set _ZN7rocprim17ROCPRIM_400000_NS6detail17trampoline_kernelINS0_14default_configENS1_38merge_sort_block_merge_config_selectorImNS0_10empty_typeEEEZZNS1_27merge_sort_block_merge_implIS3_PmPS5_jNS1_19radix_merge_compareILb1ELb1EmNS0_19identity_decomposerEEEEE10hipError_tT0_T1_T2_jT3_P12ihipStream_tbPNSt15iterator_traitsISE_E10value_typeEPNSK_ISF_E10value_typeEPSG_NS1_7vsmem_tEENKUlT_SE_SF_SG_E_clIS8_S8_S9_S9_EESD_ST_SE_SF_SG_EUlST_E0_NS1_11comp_targetILNS1_3genE9ELNS1_11target_archE1100ELNS1_3gpuE3ELNS1_3repE0EEENS1_38merge_mergepath_config_static_selectorELNS0_4arch9wavefront6targetE0EEEvSF_.num_vgpr, 0
	.set _ZN7rocprim17ROCPRIM_400000_NS6detail17trampoline_kernelINS0_14default_configENS1_38merge_sort_block_merge_config_selectorImNS0_10empty_typeEEEZZNS1_27merge_sort_block_merge_implIS3_PmPS5_jNS1_19radix_merge_compareILb1ELb1EmNS0_19identity_decomposerEEEEE10hipError_tT0_T1_T2_jT3_P12ihipStream_tbPNSt15iterator_traitsISE_E10value_typeEPNSK_ISF_E10value_typeEPSG_NS1_7vsmem_tEENKUlT_SE_SF_SG_E_clIS8_S8_S9_S9_EESD_ST_SE_SF_SG_EUlST_E0_NS1_11comp_targetILNS1_3genE9ELNS1_11target_archE1100ELNS1_3gpuE3ELNS1_3repE0EEENS1_38merge_mergepath_config_static_selectorELNS0_4arch9wavefront6targetE0EEEvSF_.num_agpr, 0
	.set _ZN7rocprim17ROCPRIM_400000_NS6detail17trampoline_kernelINS0_14default_configENS1_38merge_sort_block_merge_config_selectorImNS0_10empty_typeEEEZZNS1_27merge_sort_block_merge_implIS3_PmPS5_jNS1_19radix_merge_compareILb1ELb1EmNS0_19identity_decomposerEEEEE10hipError_tT0_T1_T2_jT3_P12ihipStream_tbPNSt15iterator_traitsISE_E10value_typeEPNSK_ISF_E10value_typeEPSG_NS1_7vsmem_tEENKUlT_SE_SF_SG_E_clIS8_S8_S9_S9_EESD_ST_SE_SF_SG_EUlST_E0_NS1_11comp_targetILNS1_3genE9ELNS1_11target_archE1100ELNS1_3gpuE3ELNS1_3repE0EEENS1_38merge_mergepath_config_static_selectorELNS0_4arch9wavefront6targetE0EEEvSF_.numbered_sgpr, 0
	.set _ZN7rocprim17ROCPRIM_400000_NS6detail17trampoline_kernelINS0_14default_configENS1_38merge_sort_block_merge_config_selectorImNS0_10empty_typeEEEZZNS1_27merge_sort_block_merge_implIS3_PmPS5_jNS1_19radix_merge_compareILb1ELb1EmNS0_19identity_decomposerEEEEE10hipError_tT0_T1_T2_jT3_P12ihipStream_tbPNSt15iterator_traitsISE_E10value_typeEPNSK_ISF_E10value_typeEPSG_NS1_7vsmem_tEENKUlT_SE_SF_SG_E_clIS8_S8_S9_S9_EESD_ST_SE_SF_SG_EUlST_E0_NS1_11comp_targetILNS1_3genE9ELNS1_11target_archE1100ELNS1_3gpuE3ELNS1_3repE0EEENS1_38merge_mergepath_config_static_selectorELNS0_4arch9wavefront6targetE0EEEvSF_.num_named_barrier, 0
	.set _ZN7rocprim17ROCPRIM_400000_NS6detail17trampoline_kernelINS0_14default_configENS1_38merge_sort_block_merge_config_selectorImNS0_10empty_typeEEEZZNS1_27merge_sort_block_merge_implIS3_PmPS5_jNS1_19radix_merge_compareILb1ELb1EmNS0_19identity_decomposerEEEEE10hipError_tT0_T1_T2_jT3_P12ihipStream_tbPNSt15iterator_traitsISE_E10value_typeEPNSK_ISF_E10value_typeEPSG_NS1_7vsmem_tEENKUlT_SE_SF_SG_E_clIS8_S8_S9_S9_EESD_ST_SE_SF_SG_EUlST_E0_NS1_11comp_targetILNS1_3genE9ELNS1_11target_archE1100ELNS1_3gpuE3ELNS1_3repE0EEENS1_38merge_mergepath_config_static_selectorELNS0_4arch9wavefront6targetE0EEEvSF_.private_seg_size, 0
	.set _ZN7rocprim17ROCPRIM_400000_NS6detail17trampoline_kernelINS0_14default_configENS1_38merge_sort_block_merge_config_selectorImNS0_10empty_typeEEEZZNS1_27merge_sort_block_merge_implIS3_PmPS5_jNS1_19radix_merge_compareILb1ELb1EmNS0_19identity_decomposerEEEEE10hipError_tT0_T1_T2_jT3_P12ihipStream_tbPNSt15iterator_traitsISE_E10value_typeEPNSK_ISF_E10value_typeEPSG_NS1_7vsmem_tEENKUlT_SE_SF_SG_E_clIS8_S8_S9_S9_EESD_ST_SE_SF_SG_EUlST_E0_NS1_11comp_targetILNS1_3genE9ELNS1_11target_archE1100ELNS1_3gpuE3ELNS1_3repE0EEENS1_38merge_mergepath_config_static_selectorELNS0_4arch9wavefront6targetE0EEEvSF_.uses_vcc, 0
	.set _ZN7rocprim17ROCPRIM_400000_NS6detail17trampoline_kernelINS0_14default_configENS1_38merge_sort_block_merge_config_selectorImNS0_10empty_typeEEEZZNS1_27merge_sort_block_merge_implIS3_PmPS5_jNS1_19radix_merge_compareILb1ELb1EmNS0_19identity_decomposerEEEEE10hipError_tT0_T1_T2_jT3_P12ihipStream_tbPNSt15iterator_traitsISE_E10value_typeEPNSK_ISF_E10value_typeEPSG_NS1_7vsmem_tEENKUlT_SE_SF_SG_E_clIS8_S8_S9_S9_EESD_ST_SE_SF_SG_EUlST_E0_NS1_11comp_targetILNS1_3genE9ELNS1_11target_archE1100ELNS1_3gpuE3ELNS1_3repE0EEENS1_38merge_mergepath_config_static_selectorELNS0_4arch9wavefront6targetE0EEEvSF_.uses_flat_scratch, 0
	.set _ZN7rocprim17ROCPRIM_400000_NS6detail17trampoline_kernelINS0_14default_configENS1_38merge_sort_block_merge_config_selectorImNS0_10empty_typeEEEZZNS1_27merge_sort_block_merge_implIS3_PmPS5_jNS1_19radix_merge_compareILb1ELb1EmNS0_19identity_decomposerEEEEE10hipError_tT0_T1_T2_jT3_P12ihipStream_tbPNSt15iterator_traitsISE_E10value_typeEPNSK_ISF_E10value_typeEPSG_NS1_7vsmem_tEENKUlT_SE_SF_SG_E_clIS8_S8_S9_S9_EESD_ST_SE_SF_SG_EUlST_E0_NS1_11comp_targetILNS1_3genE9ELNS1_11target_archE1100ELNS1_3gpuE3ELNS1_3repE0EEENS1_38merge_mergepath_config_static_selectorELNS0_4arch9wavefront6targetE0EEEvSF_.has_dyn_sized_stack, 0
	.set _ZN7rocprim17ROCPRIM_400000_NS6detail17trampoline_kernelINS0_14default_configENS1_38merge_sort_block_merge_config_selectorImNS0_10empty_typeEEEZZNS1_27merge_sort_block_merge_implIS3_PmPS5_jNS1_19radix_merge_compareILb1ELb1EmNS0_19identity_decomposerEEEEE10hipError_tT0_T1_T2_jT3_P12ihipStream_tbPNSt15iterator_traitsISE_E10value_typeEPNSK_ISF_E10value_typeEPSG_NS1_7vsmem_tEENKUlT_SE_SF_SG_E_clIS8_S8_S9_S9_EESD_ST_SE_SF_SG_EUlST_E0_NS1_11comp_targetILNS1_3genE9ELNS1_11target_archE1100ELNS1_3gpuE3ELNS1_3repE0EEENS1_38merge_mergepath_config_static_selectorELNS0_4arch9wavefront6targetE0EEEvSF_.has_recursion, 0
	.set _ZN7rocprim17ROCPRIM_400000_NS6detail17trampoline_kernelINS0_14default_configENS1_38merge_sort_block_merge_config_selectorImNS0_10empty_typeEEEZZNS1_27merge_sort_block_merge_implIS3_PmPS5_jNS1_19radix_merge_compareILb1ELb1EmNS0_19identity_decomposerEEEEE10hipError_tT0_T1_T2_jT3_P12ihipStream_tbPNSt15iterator_traitsISE_E10value_typeEPNSK_ISF_E10value_typeEPSG_NS1_7vsmem_tEENKUlT_SE_SF_SG_E_clIS8_S8_S9_S9_EESD_ST_SE_SF_SG_EUlST_E0_NS1_11comp_targetILNS1_3genE9ELNS1_11target_archE1100ELNS1_3gpuE3ELNS1_3repE0EEENS1_38merge_mergepath_config_static_selectorELNS0_4arch9wavefront6targetE0EEEvSF_.has_indirect_call, 0
	.section	.AMDGPU.csdata,"",@progbits
; Kernel info:
; codeLenInByte = 0
; TotalNumSgprs: 0
; NumVgprs: 0
; ScratchSize: 0
; MemoryBound: 0
; FloatMode: 240
; IeeeMode: 1
; LDSByteSize: 0 bytes/workgroup (compile time only)
; SGPRBlocks: 0
; VGPRBlocks: 0
; NumSGPRsForWavesPerEU: 1
; NumVGPRsForWavesPerEU: 1
; NamedBarCnt: 0
; Occupancy: 16
; WaveLimiterHint : 0
; COMPUTE_PGM_RSRC2:SCRATCH_EN: 0
; COMPUTE_PGM_RSRC2:USER_SGPR: 2
; COMPUTE_PGM_RSRC2:TRAP_HANDLER: 0
; COMPUTE_PGM_RSRC2:TGID_X_EN: 1
; COMPUTE_PGM_RSRC2:TGID_Y_EN: 0
; COMPUTE_PGM_RSRC2:TGID_Z_EN: 0
; COMPUTE_PGM_RSRC2:TIDIG_COMP_CNT: 0
	.section	.text._ZN7rocprim17ROCPRIM_400000_NS6detail17trampoline_kernelINS0_14default_configENS1_38merge_sort_block_merge_config_selectorImNS0_10empty_typeEEEZZNS1_27merge_sort_block_merge_implIS3_PmPS5_jNS1_19radix_merge_compareILb1ELb1EmNS0_19identity_decomposerEEEEE10hipError_tT0_T1_T2_jT3_P12ihipStream_tbPNSt15iterator_traitsISE_E10value_typeEPNSK_ISF_E10value_typeEPSG_NS1_7vsmem_tEENKUlT_SE_SF_SG_E_clIS8_S8_S9_S9_EESD_ST_SE_SF_SG_EUlST_E0_NS1_11comp_targetILNS1_3genE8ELNS1_11target_archE1030ELNS1_3gpuE2ELNS1_3repE0EEENS1_38merge_mergepath_config_static_selectorELNS0_4arch9wavefront6targetE0EEEvSF_,"axG",@progbits,_ZN7rocprim17ROCPRIM_400000_NS6detail17trampoline_kernelINS0_14default_configENS1_38merge_sort_block_merge_config_selectorImNS0_10empty_typeEEEZZNS1_27merge_sort_block_merge_implIS3_PmPS5_jNS1_19radix_merge_compareILb1ELb1EmNS0_19identity_decomposerEEEEE10hipError_tT0_T1_T2_jT3_P12ihipStream_tbPNSt15iterator_traitsISE_E10value_typeEPNSK_ISF_E10value_typeEPSG_NS1_7vsmem_tEENKUlT_SE_SF_SG_E_clIS8_S8_S9_S9_EESD_ST_SE_SF_SG_EUlST_E0_NS1_11comp_targetILNS1_3genE8ELNS1_11target_archE1030ELNS1_3gpuE2ELNS1_3repE0EEENS1_38merge_mergepath_config_static_selectorELNS0_4arch9wavefront6targetE0EEEvSF_,comdat
	.protected	_ZN7rocprim17ROCPRIM_400000_NS6detail17trampoline_kernelINS0_14default_configENS1_38merge_sort_block_merge_config_selectorImNS0_10empty_typeEEEZZNS1_27merge_sort_block_merge_implIS3_PmPS5_jNS1_19radix_merge_compareILb1ELb1EmNS0_19identity_decomposerEEEEE10hipError_tT0_T1_T2_jT3_P12ihipStream_tbPNSt15iterator_traitsISE_E10value_typeEPNSK_ISF_E10value_typeEPSG_NS1_7vsmem_tEENKUlT_SE_SF_SG_E_clIS8_S8_S9_S9_EESD_ST_SE_SF_SG_EUlST_E0_NS1_11comp_targetILNS1_3genE8ELNS1_11target_archE1030ELNS1_3gpuE2ELNS1_3repE0EEENS1_38merge_mergepath_config_static_selectorELNS0_4arch9wavefront6targetE0EEEvSF_ ; -- Begin function _ZN7rocprim17ROCPRIM_400000_NS6detail17trampoline_kernelINS0_14default_configENS1_38merge_sort_block_merge_config_selectorImNS0_10empty_typeEEEZZNS1_27merge_sort_block_merge_implIS3_PmPS5_jNS1_19radix_merge_compareILb1ELb1EmNS0_19identity_decomposerEEEEE10hipError_tT0_T1_T2_jT3_P12ihipStream_tbPNSt15iterator_traitsISE_E10value_typeEPNSK_ISF_E10value_typeEPSG_NS1_7vsmem_tEENKUlT_SE_SF_SG_E_clIS8_S8_S9_S9_EESD_ST_SE_SF_SG_EUlST_E0_NS1_11comp_targetILNS1_3genE8ELNS1_11target_archE1030ELNS1_3gpuE2ELNS1_3repE0EEENS1_38merge_mergepath_config_static_selectorELNS0_4arch9wavefront6targetE0EEEvSF_
	.globl	_ZN7rocprim17ROCPRIM_400000_NS6detail17trampoline_kernelINS0_14default_configENS1_38merge_sort_block_merge_config_selectorImNS0_10empty_typeEEEZZNS1_27merge_sort_block_merge_implIS3_PmPS5_jNS1_19radix_merge_compareILb1ELb1EmNS0_19identity_decomposerEEEEE10hipError_tT0_T1_T2_jT3_P12ihipStream_tbPNSt15iterator_traitsISE_E10value_typeEPNSK_ISF_E10value_typeEPSG_NS1_7vsmem_tEENKUlT_SE_SF_SG_E_clIS8_S8_S9_S9_EESD_ST_SE_SF_SG_EUlST_E0_NS1_11comp_targetILNS1_3genE8ELNS1_11target_archE1030ELNS1_3gpuE2ELNS1_3repE0EEENS1_38merge_mergepath_config_static_selectorELNS0_4arch9wavefront6targetE0EEEvSF_
	.p2align	8
	.type	_ZN7rocprim17ROCPRIM_400000_NS6detail17trampoline_kernelINS0_14default_configENS1_38merge_sort_block_merge_config_selectorImNS0_10empty_typeEEEZZNS1_27merge_sort_block_merge_implIS3_PmPS5_jNS1_19radix_merge_compareILb1ELb1EmNS0_19identity_decomposerEEEEE10hipError_tT0_T1_T2_jT3_P12ihipStream_tbPNSt15iterator_traitsISE_E10value_typeEPNSK_ISF_E10value_typeEPSG_NS1_7vsmem_tEENKUlT_SE_SF_SG_E_clIS8_S8_S9_S9_EESD_ST_SE_SF_SG_EUlST_E0_NS1_11comp_targetILNS1_3genE8ELNS1_11target_archE1030ELNS1_3gpuE2ELNS1_3repE0EEENS1_38merge_mergepath_config_static_selectorELNS0_4arch9wavefront6targetE0EEEvSF_,@function
_ZN7rocprim17ROCPRIM_400000_NS6detail17trampoline_kernelINS0_14default_configENS1_38merge_sort_block_merge_config_selectorImNS0_10empty_typeEEEZZNS1_27merge_sort_block_merge_implIS3_PmPS5_jNS1_19radix_merge_compareILb1ELb1EmNS0_19identity_decomposerEEEEE10hipError_tT0_T1_T2_jT3_P12ihipStream_tbPNSt15iterator_traitsISE_E10value_typeEPNSK_ISF_E10value_typeEPSG_NS1_7vsmem_tEENKUlT_SE_SF_SG_E_clIS8_S8_S9_S9_EESD_ST_SE_SF_SG_EUlST_E0_NS1_11comp_targetILNS1_3genE8ELNS1_11target_archE1030ELNS1_3gpuE2ELNS1_3repE0EEENS1_38merge_mergepath_config_static_selectorELNS0_4arch9wavefront6targetE0EEEvSF_: ; @_ZN7rocprim17ROCPRIM_400000_NS6detail17trampoline_kernelINS0_14default_configENS1_38merge_sort_block_merge_config_selectorImNS0_10empty_typeEEEZZNS1_27merge_sort_block_merge_implIS3_PmPS5_jNS1_19radix_merge_compareILb1ELb1EmNS0_19identity_decomposerEEEEE10hipError_tT0_T1_T2_jT3_P12ihipStream_tbPNSt15iterator_traitsISE_E10value_typeEPNSK_ISF_E10value_typeEPSG_NS1_7vsmem_tEENKUlT_SE_SF_SG_E_clIS8_S8_S9_S9_EESD_ST_SE_SF_SG_EUlST_E0_NS1_11comp_targetILNS1_3genE8ELNS1_11target_archE1030ELNS1_3gpuE2ELNS1_3repE0EEENS1_38merge_mergepath_config_static_selectorELNS0_4arch9wavefront6targetE0EEEvSF_
; %bb.0:
	.section	.rodata,"a",@progbits
	.p2align	6, 0x0
	.amdhsa_kernel _ZN7rocprim17ROCPRIM_400000_NS6detail17trampoline_kernelINS0_14default_configENS1_38merge_sort_block_merge_config_selectorImNS0_10empty_typeEEEZZNS1_27merge_sort_block_merge_implIS3_PmPS5_jNS1_19radix_merge_compareILb1ELb1EmNS0_19identity_decomposerEEEEE10hipError_tT0_T1_T2_jT3_P12ihipStream_tbPNSt15iterator_traitsISE_E10value_typeEPNSK_ISF_E10value_typeEPSG_NS1_7vsmem_tEENKUlT_SE_SF_SG_E_clIS8_S8_S9_S9_EESD_ST_SE_SF_SG_EUlST_E0_NS1_11comp_targetILNS1_3genE8ELNS1_11target_archE1030ELNS1_3gpuE2ELNS1_3repE0EEENS1_38merge_mergepath_config_static_selectorELNS0_4arch9wavefront6targetE0EEEvSF_
		.amdhsa_group_segment_fixed_size 0
		.amdhsa_private_segment_fixed_size 0
		.amdhsa_kernarg_size 72
		.amdhsa_user_sgpr_count 2
		.amdhsa_user_sgpr_dispatch_ptr 0
		.amdhsa_user_sgpr_queue_ptr 0
		.amdhsa_user_sgpr_kernarg_segment_ptr 1
		.amdhsa_user_sgpr_dispatch_id 0
		.amdhsa_user_sgpr_kernarg_preload_length 0
		.amdhsa_user_sgpr_kernarg_preload_offset 0
		.amdhsa_user_sgpr_private_segment_size 0
		.amdhsa_wavefront_size32 1
		.amdhsa_uses_dynamic_stack 0
		.amdhsa_enable_private_segment 0
		.amdhsa_system_sgpr_workgroup_id_x 1
		.amdhsa_system_sgpr_workgroup_id_y 0
		.amdhsa_system_sgpr_workgroup_id_z 0
		.amdhsa_system_sgpr_workgroup_info 0
		.amdhsa_system_vgpr_workitem_id 0
		.amdhsa_next_free_vgpr 1
		.amdhsa_next_free_sgpr 1
		.amdhsa_named_barrier_count 0
		.amdhsa_reserve_vcc 0
		.amdhsa_float_round_mode_32 0
		.amdhsa_float_round_mode_16_64 0
		.amdhsa_float_denorm_mode_32 3
		.amdhsa_float_denorm_mode_16_64 3
		.amdhsa_fp16_overflow 0
		.amdhsa_memory_ordered 1
		.amdhsa_forward_progress 1
		.amdhsa_inst_pref_size 0
		.amdhsa_round_robin_scheduling 0
		.amdhsa_exception_fp_ieee_invalid_op 0
		.amdhsa_exception_fp_denorm_src 0
		.amdhsa_exception_fp_ieee_div_zero 0
		.amdhsa_exception_fp_ieee_overflow 0
		.amdhsa_exception_fp_ieee_underflow 0
		.amdhsa_exception_fp_ieee_inexact 0
		.amdhsa_exception_int_div_zero 0
	.end_amdhsa_kernel
	.section	.text._ZN7rocprim17ROCPRIM_400000_NS6detail17trampoline_kernelINS0_14default_configENS1_38merge_sort_block_merge_config_selectorImNS0_10empty_typeEEEZZNS1_27merge_sort_block_merge_implIS3_PmPS5_jNS1_19radix_merge_compareILb1ELb1EmNS0_19identity_decomposerEEEEE10hipError_tT0_T1_T2_jT3_P12ihipStream_tbPNSt15iterator_traitsISE_E10value_typeEPNSK_ISF_E10value_typeEPSG_NS1_7vsmem_tEENKUlT_SE_SF_SG_E_clIS8_S8_S9_S9_EESD_ST_SE_SF_SG_EUlST_E0_NS1_11comp_targetILNS1_3genE8ELNS1_11target_archE1030ELNS1_3gpuE2ELNS1_3repE0EEENS1_38merge_mergepath_config_static_selectorELNS0_4arch9wavefront6targetE0EEEvSF_,"axG",@progbits,_ZN7rocprim17ROCPRIM_400000_NS6detail17trampoline_kernelINS0_14default_configENS1_38merge_sort_block_merge_config_selectorImNS0_10empty_typeEEEZZNS1_27merge_sort_block_merge_implIS3_PmPS5_jNS1_19radix_merge_compareILb1ELb1EmNS0_19identity_decomposerEEEEE10hipError_tT0_T1_T2_jT3_P12ihipStream_tbPNSt15iterator_traitsISE_E10value_typeEPNSK_ISF_E10value_typeEPSG_NS1_7vsmem_tEENKUlT_SE_SF_SG_E_clIS8_S8_S9_S9_EESD_ST_SE_SF_SG_EUlST_E0_NS1_11comp_targetILNS1_3genE8ELNS1_11target_archE1030ELNS1_3gpuE2ELNS1_3repE0EEENS1_38merge_mergepath_config_static_selectorELNS0_4arch9wavefront6targetE0EEEvSF_,comdat
.Lfunc_end2845:
	.size	_ZN7rocprim17ROCPRIM_400000_NS6detail17trampoline_kernelINS0_14default_configENS1_38merge_sort_block_merge_config_selectorImNS0_10empty_typeEEEZZNS1_27merge_sort_block_merge_implIS3_PmPS5_jNS1_19radix_merge_compareILb1ELb1EmNS0_19identity_decomposerEEEEE10hipError_tT0_T1_T2_jT3_P12ihipStream_tbPNSt15iterator_traitsISE_E10value_typeEPNSK_ISF_E10value_typeEPSG_NS1_7vsmem_tEENKUlT_SE_SF_SG_E_clIS8_S8_S9_S9_EESD_ST_SE_SF_SG_EUlST_E0_NS1_11comp_targetILNS1_3genE8ELNS1_11target_archE1030ELNS1_3gpuE2ELNS1_3repE0EEENS1_38merge_mergepath_config_static_selectorELNS0_4arch9wavefront6targetE0EEEvSF_, .Lfunc_end2845-_ZN7rocprim17ROCPRIM_400000_NS6detail17trampoline_kernelINS0_14default_configENS1_38merge_sort_block_merge_config_selectorImNS0_10empty_typeEEEZZNS1_27merge_sort_block_merge_implIS3_PmPS5_jNS1_19radix_merge_compareILb1ELb1EmNS0_19identity_decomposerEEEEE10hipError_tT0_T1_T2_jT3_P12ihipStream_tbPNSt15iterator_traitsISE_E10value_typeEPNSK_ISF_E10value_typeEPSG_NS1_7vsmem_tEENKUlT_SE_SF_SG_E_clIS8_S8_S9_S9_EESD_ST_SE_SF_SG_EUlST_E0_NS1_11comp_targetILNS1_3genE8ELNS1_11target_archE1030ELNS1_3gpuE2ELNS1_3repE0EEENS1_38merge_mergepath_config_static_selectorELNS0_4arch9wavefront6targetE0EEEvSF_
                                        ; -- End function
	.set _ZN7rocprim17ROCPRIM_400000_NS6detail17trampoline_kernelINS0_14default_configENS1_38merge_sort_block_merge_config_selectorImNS0_10empty_typeEEEZZNS1_27merge_sort_block_merge_implIS3_PmPS5_jNS1_19radix_merge_compareILb1ELb1EmNS0_19identity_decomposerEEEEE10hipError_tT0_T1_T2_jT3_P12ihipStream_tbPNSt15iterator_traitsISE_E10value_typeEPNSK_ISF_E10value_typeEPSG_NS1_7vsmem_tEENKUlT_SE_SF_SG_E_clIS8_S8_S9_S9_EESD_ST_SE_SF_SG_EUlST_E0_NS1_11comp_targetILNS1_3genE8ELNS1_11target_archE1030ELNS1_3gpuE2ELNS1_3repE0EEENS1_38merge_mergepath_config_static_selectorELNS0_4arch9wavefront6targetE0EEEvSF_.num_vgpr, 0
	.set _ZN7rocprim17ROCPRIM_400000_NS6detail17trampoline_kernelINS0_14default_configENS1_38merge_sort_block_merge_config_selectorImNS0_10empty_typeEEEZZNS1_27merge_sort_block_merge_implIS3_PmPS5_jNS1_19radix_merge_compareILb1ELb1EmNS0_19identity_decomposerEEEEE10hipError_tT0_T1_T2_jT3_P12ihipStream_tbPNSt15iterator_traitsISE_E10value_typeEPNSK_ISF_E10value_typeEPSG_NS1_7vsmem_tEENKUlT_SE_SF_SG_E_clIS8_S8_S9_S9_EESD_ST_SE_SF_SG_EUlST_E0_NS1_11comp_targetILNS1_3genE8ELNS1_11target_archE1030ELNS1_3gpuE2ELNS1_3repE0EEENS1_38merge_mergepath_config_static_selectorELNS0_4arch9wavefront6targetE0EEEvSF_.num_agpr, 0
	.set _ZN7rocprim17ROCPRIM_400000_NS6detail17trampoline_kernelINS0_14default_configENS1_38merge_sort_block_merge_config_selectorImNS0_10empty_typeEEEZZNS1_27merge_sort_block_merge_implIS3_PmPS5_jNS1_19radix_merge_compareILb1ELb1EmNS0_19identity_decomposerEEEEE10hipError_tT0_T1_T2_jT3_P12ihipStream_tbPNSt15iterator_traitsISE_E10value_typeEPNSK_ISF_E10value_typeEPSG_NS1_7vsmem_tEENKUlT_SE_SF_SG_E_clIS8_S8_S9_S9_EESD_ST_SE_SF_SG_EUlST_E0_NS1_11comp_targetILNS1_3genE8ELNS1_11target_archE1030ELNS1_3gpuE2ELNS1_3repE0EEENS1_38merge_mergepath_config_static_selectorELNS0_4arch9wavefront6targetE0EEEvSF_.numbered_sgpr, 0
	.set _ZN7rocprim17ROCPRIM_400000_NS6detail17trampoline_kernelINS0_14default_configENS1_38merge_sort_block_merge_config_selectorImNS0_10empty_typeEEEZZNS1_27merge_sort_block_merge_implIS3_PmPS5_jNS1_19radix_merge_compareILb1ELb1EmNS0_19identity_decomposerEEEEE10hipError_tT0_T1_T2_jT3_P12ihipStream_tbPNSt15iterator_traitsISE_E10value_typeEPNSK_ISF_E10value_typeEPSG_NS1_7vsmem_tEENKUlT_SE_SF_SG_E_clIS8_S8_S9_S9_EESD_ST_SE_SF_SG_EUlST_E0_NS1_11comp_targetILNS1_3genE8ELNS1_11target_archE1030ELNS1_3gpuE2ELNS1_3repE0EEENS1_38merge_mergepath_config_static_selectorELNS0_4arch9wavefront6targetE0EEEvSF_.num_named_barrier, 0
	.set _ZN7rocprim17ROCPRIM_400000_NS6detail17trampoline_kernelINS0_14default_configENS1_38merge_sort_block_merge_config_selectorImNS0_10empty_typeEEEZZNS1_27merge_sort_block_merge_implIS3_PmPS5_jNS1_19radix_merge_compareILb1ELb1EmNS0_19identity_decomposerEEEEE10hipError_tT0_T1_T2_jT3_P12ihipStream_tbPNSt15iterator_traitsISE_E10value_typeEPNSK_ISF_E10value_typeEPSG_NS1_7vsmem_tEENKUlT_SE_SF_SG_E_clIS8_S8_S9_S9_EESD_ST_SE_SF_SG_EUlST_E0_NS1_11comp_targetILNS1_3genE8ELNS1_11target_archE1030ELNS1_3gpuE2ELNS1_3repE0EEENS1_38merge_mergepath_config_static_selectorELNS0_4arch9wavefront6targetE0EEEvSF_.private_seg_size, 0
	.set _ZN7rocprim17ROCPRIM_400000_NS6detail17trampoline_kernelINS0_14default_configENS1_38merge_sort_block_merge_config_selectorImNS0_10empty_typeEEEZZNS1_27merge_sort_block_merge_implIS3_PmPS5_jNS1_19radix_merge_compareILb1ELb1EmNS0_19identity_decomposerEEEEE10hipError_tT0_T1_T2_jT3_P12ihipStream_tbPNSt15iterator_traitsISE_E10value_typeEPNSK_ISF_E10value_typeEPSG_NS1_7vsmem_tEENKUlT_SE_SF_SG_E_clIS8_S8_S9_S9_EESD_ST_SE_SF_SG_EUlST_E0_NS1_11comp_targetILNS1_3genE8ELNS1_11target_archE1030ELNS1_3gpuE2ELNS1_3repE0EEENS1_38merge_mergepath_config_static_selectorELNS0_4arch9wavefront6targetE0EEEvSF_.uses_vcc, 0
	.set _ZN7rocprim17ROCPRIM_400000_NS6detail17trampoline_kernelINS0_14default_configENS1_38merge_sort_block_merge_config_selectorImNS0_10empty_typeEEEZZNS1_27merge_sort_block_merge_implIS3_PmPS5_jNS1_19radix_merge_compareILb1ELb1EmNS0_19identity_decomposerEEEEE10hipError_tT0_T1_T2_jT3_P12ihipStream_tbPNSt15iterator_traitsISE_E10value_typeEPNSK_ISF_E10value_typeEPSG_NS1_7vsmem_tEENKUlT_SE_SF_SG_E_clIS8_S8_S9_S9_EESD_ST_SE_SF_SG_EUlST_E0_NS1_11comp_targetILNS1_3genE8ELNS1_11target_archE1030ELNS1_3gpuE2ELNS1_3repE0EEENS1_38merge_mergepath_config_static_selectorELNS0_4arch9wavefront6targetE0EEEvSF_.uses_flat_scratch, 0
	.set _ZN7rocprim17ROCPRIM_400000_NS6detail17trampoline_kernelINS0_14default_configENS1_38merge_sort_block_merge_config_selectorImNS0_10empty_typeEEEZZNS1_27merge_sort_block_merge_implIS3_PmPS5_jNS1_19radix_merge_compareILb1ELb1EmNS0_19identity_decomposerEEEEE10hipError_tT0_T1_T2_jT3_P12ihipStream_tbPNSt15iterator_traitsISE_E10value_typeEPNSK_ISF_E10value_typeEPSG_NS1_7vsmem_tEENKUlT_SE_SF_SG_E_clIS8_S8_S9_S9_EESD_ST_SE_SF_SG_EUlST_E0_NS1_11comp_targetILNS1_3genE8ELNS1_11target_archE1030ELNS1_3gpuE2ELNS1_3repE0EEENS1_38merge_mergepath_config_static_selectorELNS0_4arch9wavefront6targetE0EEEvSF_.has_dyn_sized_stack, 0
	.set _ZN7rocprim17ROCPRIM_400000_NS6detail17trampoline_kernelINS0_14default_configENS1_38merge_sort_block_merge_config_selectorImNS0_10empty_typeEEEZZNS1_27merge_sort_block_merge_implIS3_PmPS5_jNS1_19radix_merge_compareILb1ELb1EmNS0_19identity_decomposerEEEEE10hipError_tT0_T1_T2_jT3_P12ihipStream_tbPNSt15iterator_traitsISE_E10value_typeEPNSK_ISF_E10value_typeEPSG_NS1_7vsmem_tEENKUlT_SE_SF_SG_E_clIS8_S8_S9_S9_EESD_ST_SE_SF_SG_EUlST_E0_NS1_11comp_targetILNS1_3genE8ELNS1_11target_archE1030ELNS1_3gpuE2ELNS1_3repE0EEENS1_38merge_mergepath_config_static_selectorELNS0_4arch9wavefront6targetE0EEEvSF_.has_recursion, 0
	.set _ZN7rocprim17ROCPRIM_400000_NS6detail17trampoline_kernelINS0_14default_configENS1_38merge_sort_block_merge_config_selectorImNS0_10empty_typeEEEZZNS1_27merge_sort_block_merge_implIS3_PmPS5_jNS1_19radix_merge_compareILb1ELb1EmNS0_19identity_decomposerEEEEE10hipError_tT0_T1_T2_jT3_P12ihipStream_tbPNSt15iterator_traitsISE_E10value_typeEPNSK_ISF_E10value_typeEPSG_NS1_7vsmem_tEENKUlT_SE_SF_SG_E_clIS8_S8_S9_S9_EESD_ST_SE_SF_SG_EUlST_E0_NS1_11comp_targetILNS1_3genE8ELNS1_11target_archE1030ELNS1_3gpuE2ELNS1_3repE0EEENS1_38merge_mergepath_config_static_selectorELNS0_4arch9wavefront6targetE0EEEvSF_.has_indirect_call, 0
	.section	.AMDGPU.csdata,"",@progbits
; Kernel info:
; codeLenInByte = 0
; TotalNumSgprs: 0
; NumVgprs: 0
; ScratchSize: 0
; MemoryBound: 0
; FloatMode: 240
; IeeeMode: 1
; LDSByteSize: 0 bytes/workgroup (compile time only)
; SGPRBlocks: 0
; VGPRBlocks: 0
; NumSGPRsForWavesPerEU: 1
; NumVGPRsForWavesPerEU: 1
; NamedBarCnt: 0
; Occupancy: 16
; WaveLimiterHint : 0
; COMPUTE_PGM_RSRC2:SCRATCH_EN: 0
; COMPUTE_PGM_RSRC2:USER_SGPR: 2
; COMPUTE_PGM_RSRC2:TRAP_HANDLER: 0
; COMPUTE_PGM_RSRC2:TGID_X_EN: 1
; COMPUTE_PGM_RSRC2:TGID_Y_EN: 0
; COMPUTE_PGM_RSRC2:TGID_Z_EN: 0
; COMPUTE_PGM_RSRC2:TIDIG_COMP_CNT: 0
	.section	.text._ZN7rocprim17ROCPRIM_400000_NS6detail17trampoline_kernelINS0_14default_configENS1_38merge_sort_block_merge_config_selectorImNS0_10empty_typeEEEZZNS1_27merge_sort_block_merge_implIS3_PmPS5_jNS1_19radix_merge_compareILb1ELb1EmNS0_19identity_decomposerEEEEE10hipError_tT0_T1_T2_jT3_P12ihipStream_tbPNSt15iterator_traitsISE_E10value_typeEPNSK_ISF_E10value_typeEPSG_NS1_7vsmem_tEENKUlT_SE_SF_SG_E_clIS8_S8_S9_S9_EESD_ST_SE_SF_SG_EUlST_E1_NS1_11comp_targetILNS1_3genE0ELNS1_11target_archE4294967295ELNS1_3gpuE0ELNS1_3repE0EEENS1_36merge_oddeven_config_static_selectorELNS0_4arch9wavefront6targetE0EEEvSF_,"axG",@progbits,_ZN7rocprim17ROCPRIM_400000_NS6detail17trampoline_kernelINS0_14default_configENS1_38merge_sort_block_merge_config_selectorImNS0_10empty_typeEEEZZNS1_27merge_sort_block_merge_implIS3_PmPS5_jNS1_19radix_merge_compareILb1ELb1EmNS0_19identity_decomposerEEEEE10hipError_tT0_T1_T2_jT3_P12ihipStream_tbPNSt15iterator_traitsISE_E10value_typeEPNSK_ISF_E10value_typeEPSG_NS1_7vsmem_tEENKUlT_SE_SF_SG_E_clIS8_S8_S9_S9_EESD_ST_SE_SF_SG_EUlST_E1_NS1_11comp_targetILNS1_3genE0ELNS1_11target_archE4294967295ELNS1_3gpuE0ELNS1_3repE0EEENS1_36merge_oddeven_config_static_selectorELNS0_4arch9wavefront6targetE0EEEvSF_,comdat
	.protected	_ZN7rocprim17ROCPRIM_400000_NS6detail17trampoline_kernelINS0_14default_configENS1_38merge_sort_block_merge_config_selectorImNS0_10empty_typeEEEZZNS1_27merge_sort_block_merge_implIS3_PmPS5_jNS1_19radix_merge_compareILb1ELb1EmNS0_19identity_decomposerEEEEE10hipError_tT0_T1_T2_jT3_P12ihipStream_tbPNSt15iterator_traitsISE_E10value_typeEPNSK_ISF_E10value_typeEPSG_NS1_7vsmem_tEENKUlT_SE_SF_SG_E_clIS8_S8_S9_S9_EESD_ST_SE_SF_SG_EUlST_E1_NS1_11comp_targetILNS1_3genE0ELNS1_11target_archE4294967295ELNS1_3gpuE0ELNS1_3repE0EEENS1_36merge_oddeven_config_static_selectorELNS0_4arch9wavefront6targetE0EEEvSF_ ; -- Begin function _ZN7rocprim17ROCPRIM_400000_NS6detail17trampoline_kernelINS0_14default_configENS1_38merge_sort_block_merge_config_selectorImNS0_10empty_typeEEEZZNS1_27merge_sort_block_merge_implIS3_PmPS5_jNS1_19radix_merge_compareILb1ELb1EmNS0_19identity_decomposerEEEEE10hipError_tT0_T1_T2_jT3_P12ihipStream_tbPNSt15iterator_traitsISE_E10value_typeEPNSK_ISF_E10value_typeEPSG_NS1_7vsmem_tEENKUlT_SE_SF_SG_E_clIS8_S8_S9_S9_EESD_ST_SE_SF_SG_EUlST_E1_NS1_11comp_targetILNS1_3genE0ELNS1_11target_archE4294967295ELNS1_3gpuE0ELNS1_3repE0EEENS1_36merge_oddeven_config_static_selectorELNS0_4arch9wavefront6targetE0EEEvSF_
	.globl	_ZN7rocprim17ROCPRIM_400000_NS6detail17trampoline_kernelINS0_14default_configENS1_38merge_sort_block_merge_config_selectorImNS0_10empty_typeEEEZZNS1_27merge_sort_block_merge_implIS3_PmPS5_jNS1_19radix_merge_compareILb1ELb1EmNS0_19identity_decomposerEEEEE10hipError_tT0_T1_T2_jT3_P12ihipStream_tbPNSt15iterator_traitsISE_E10value_typeEPNSK_ISF_E10value_typeEPSG_NS1_7vsmem_tEENKUlT_SE_SF_SG_E_clIS8_S8_S9_S9_EESD_ST_SE_SF_SG_EUlST_E1_NS1_11comp_targetILNS1_3genE0ELNS1_11target_archE4294967295ELNS1_3gpuE0ELNS1_3repE0EEENS1_36merge_oddeven_config_static_selectorELNS0_4arch9wavefront6targetE0EEEvSF_
	.p2align	8
	.type	_ZN7rocprim17ROCPRIM_400000_NS6detail17trampoline_kernelINS0_14default_configENS1_38merge_sort_block_merge_config_selectorImNS0_10empty_typeEEEZZNS1_27merge_sort_block_merge_implIS3_PmPS5_jNS1_19radix_merge_compareILb1ELb1EmNS0_19identity_decomposerEEEEE10hipError_tT0_T1_T2_jT3_P12ihipStream_tbPNSt15iterator_traitsISE_E10value_typeEPNSK_ISF_E10value_typeEPSG_NS1_7vsmem_tEENKUlT_SE_SF_SG_E_clIS8_S8_S9_S9_EESD_ST_SE_SF_SG_EUlST_E1_NS1_11comp_targetILNS1_3genE0ELNS1_11target_archE4294967295ELNS1_3gpuE0ELNS1_3repE0EEENS1_36merge_oddeven_config_static_selectorELNS0_4arch9wavefront6targetE0EEEvSF_,@function
_ZN7rocprim17ROCPRIM_400000_NS6detail17trampoline_kernelINS0_14default_configENS1_38merge_sort_block_merge_config_selectorImNS0_10empty_typeEEEZZNS1_27merge_sort_block_merge_implIS3_PmPS5_jNS1_19radix_merge_compareILb1ELb1EmNS0_19identity_decomposerEEEEE10hipError_tT0_T1_T2_jT3_P12ihipStream_tbPNSt15iterator_traitsISE_E10value_typeEPNSK_ISF_E10value_typeEPSG_NS1_7vsmem_tEENKUlT_SE_SF_SG_E_clIS8_S8_S9_S9_EESD_ST_SE_SF_SG_EUlST_E1_NS1_11comp_targetILNS1_3genE0ELNS1_11target_archE4294967295ELNS1_3gpuE0ELNS1_3repE0EEENS1_36merge_oddeven_config_static_selectorELNS0_4arch9wavefront6targetE0EEEvSF_: ; @_ZN7rocprim17ROCPRIM_400000_NS6detail17trampoline_kernelINS0_14default_configENS1_38merge_sort_block_merge_config_selectorImNS0_10empty_typeEEEZZNS1_27merge_sort_block_merge_implIS3_PmPS5_jNS1_19radix_merge_compareILb1ELb1EmNS0_19identity_decomposerEEEEE10hipError_tT0_T1_T2_jT3_P12ihipStream_tbPNSt15iterator_traitsISE_E10value_typeEPNSK_ISF_E10value_typeEPSG_NS1_7vsmem_tEENKUlT_SE_SF_SG_E_clIS8_S8_S9_S9_EESD_ST_SE_SF_SG_EUlST_E1_NS1_11comp_targetILNS1_3genE0ELNS1_11target_archE4294967295ELNS1_3gpuE0ELNS1_3repE0EEENS1_36merge_oddeven_config_static_selectorELNS0_4arch9wavefront6targetE0EEEvSF_
; %bb.0:
	s_load_b32 s11, s[0:1], 0x20
	s_bfe_u32 s2, ttmp6, 0x4000c
	s_and_b32 s3, ttmp6, 15
	s_add_co_i32 s2, s2, 1
	s_getreg_b32 s4, hwreg(HW_REG_IB_STS2, 6, 4)
	s_mul_i32 s2, ttmp9, s2
	s_mov_b32 s9, 0
	s_add_co_i32 s3, s3, s2
	s_cmp_eq_u32 s4, 0
	s_cselect_b32 s2, ttmp9, s3
	s_wait_kmcnt 0x0
	s_lshr_b32 s3, s11, 8
	s_delay_alu instid0(SALU_CYCLE_1) | instskip(SKIP_4) | instid1(SALU_CYCLE_1)
	s_cmp_lg_u32 s2, s3
	s_cselect_b32 s15, -1, 0
	s_cmp_eq_u32 s2, s3
	s_cselect_b32 s12, -1, 0
	s_lshl_b32 s8, s2, 8
	s_sub_co_i32 s3, s11, s8
	s_delay_alu instid0(SALU_CYCLE_1) | instskip(SKIP_1) | instid1(SALU_CYCLE_1)
	v_cmp_gt_u32_e64 s3, s3, v0
	s_or_b32 s4, s15, s3
	s_and_saveexec_b32 s5, s4
	s_cbranch_execz .LBB2846_20
; %bb.1:
	s_clause 0x1
	s_load_b128 s[4:7], s[0:1], 0x0
	s_load_b32 s13, s[0:1], 0x24
	s_lshl_b64 s[16:17], s[8:9], 3
	v_add_nc_u32_e32 v5, s8, v0
	s_wait_kmcnt 0x0
	s_add_nc_u64 s[16:17], s[4:5], s[16:17]
	s_lshr_b32 s10, s13, 8
	global_load_b64 v[2:3], v0, s[16:17] scale_offset
	s_sub_co_i32 s14, 0, s10
	s_wait_xcnt 0x0
	s_sub_co_i32 s16, 0, s13
	s_and_b32 s2, s2, s14
	s_delay_alu instid0(SALU_CYCLE_1) | instskip(SKIP_3) | instid1(SALU_CYCLE_1)
	s_and_b32 s10, s2, s10
	s_lshl_b32 s14, s2, 8
	s_cmp_eq_u32 s10, 0
	s_cselect_b32 s2, -1, 0
	s_and_b32 s10, s2, exec_lo
	s_cselect_b32 s10, s13, s16
	s_delay_alu instid0(SALU_CYCLE_1) | instskip(NEXT) | instid1(SALU_CYCLE_1)
	s_add_co_i32 s10, s10, s14
	s_cmp_gt_u32 s11, s10
	s_cbranch_scc1 .LBB2846_3
; %bb.2:
	v_cmp_gt_u32_e32 vcc_lo, s11, v5
	s_or_b32 s9, vcc_lo, s15
	s_delay_alu instid0(SALU_CYCLE_1)
	s_and_b32 s9, s9, exec_lo
	s_cbranch_execz .LBB2846_4
	s_branch .LBB2846_18
.LBB2846_3:
.LBB2846_4:
	s_load_b64 s[0:1], s[0:1], 0x28
	s_min_u32 s8, s10, s11
	s_and_b32 vcc_lo, exec_lo, s12
	s_add_co_i32 s15, s14, s8
	s_min_u32 s14, s14, s8
	v_subrev_nc_u32_e32 v0, s15, v5
	s_add_co_i32 s13, s8, s13
	s_delay_alu instid0(SALU_CYCLE_1)
	s_min_u32 s11, s13, s11
	s_wait_loadcnt 0x0
	s_wait_kmcnt 0x0
	v_dual_add_nc_u32 v4, s14, v0 :: v_dual_bitop2_b32 v1, s1, v3 bitop3:0x40
	v_and_b32_e32 v0, s0, v2
	s_cbranch_vccz .LBB2846_12
; %bb.5:
                                        ; implicit-def: $vgpr5
	s_and_saveexec_b32 s12, s3
	s_cbranch_execz .LBB2846_11
; %bb.6:
	v_mov_b32_e32 v5, s8
	s_cmp_ge_u32 s10, s11
	s_cbranch_scc1 .LBB2846_10
; %bb.7:
	v_dual_mov_b32 v6, s11 :: v_dual_mov_b32 v5, s8
	s_mov_b32 s3, 0
.LBB2846_8:                             ; =>This Inner Loop Header: Depth=1
	s_delay_alu instid0(VALU_DEP_1) | instskip(NEXT) | instid1(VALU_DEP_1)
	v_add_nc_u32_e32 v7, v5, v6
	v_lshrrev_b32_e32 v7, 1, v7
	global_load_b64 v[8:9], v7, s[4:5] scale_offset
	s_wait_loadcnt 0x0
	v_and_b32_e32 v9, s1, v9
	v_and_b32_e32 v8, s0, v8
	s_delay_alu instid0(VALU_DEP_1) | instskip(SKIP_4) | instid1(VALU_DEP_1)
	v_cmp_gt_u64_e32 vcc_lo, v[8:9], v[0:1]
	v_cndmask_b32_e64 v10, 0, 1, vcc_lo
	v_cmp_le_u64_e32 vcc_lo, v[0:1], v[8:9]
	v_add_nc_u32_e32 v9, 1, v7
	v_cndmask_b32_e64 v8, 0, 1, vcc_lo
	v_cndmask_b32_e64 v8, v8, v10, s2
	s_delay_alu instid0(VALU_DEP_1) | instskip(NEXT) | instid1(VALU_DEP_1)
	v_and_b32_e32 v8, 1, v8
	v_cmp_eq_u32_e32 vcc_lo, 1, v8
	v_dual_cndmask_b32 v6, v7, v6 :: v_dual_cndmask_b32 v5, v5, v9
	s_delay_alu instid0(VALU_DEP_1) | instskip(SKIP_1) | instid1(SALU_CYCLE_1)
	v_cmp_ge_u32_e32 vcc_lo, v5, v6
	s_or_b32 s3, vcc_lo, s3
	s_and_not1_b32 exec_lo, exec_lo, s3
	s_cbranch_execnz .LBB2846_8
; %bb.9:
	s_or_b32 exec_lo, exec_lo, s3
.LBB2846_10:
	s_delay_alu instid0(VALU_DEP_1)
	v_add_nc_u32_e32 v5, v5, v4
	s_or_b32 s9, s9, exec_lo
.LBB2846_11:
	s_or_b32 exec_lo, exec_lo, s12
	s_branch .LBB2846_18
.LBB2846_12:
                                        ; implicit-def: $vgpr5
	s_cbranch_execz .LBB2846_18
; %bb.13:
	v_mov_b32_e32 v5, s8
	s_cmp_ge_u32 s10, s11
	s_cbranch_scc1 .LBB2846_17
; %bb.14:
	v_dual_mov_b32 v6, s11 :: v_dual_mov_b32 v5, s8
	s_mov_b32 s3, 0
.LBB2846_15:                            ; =>This Inner Loop Header: Depth=1
	s_delay_alu instid0(VALU_DEP_1) | instskip(NEXT) | instid1(VALU_DEP_1)
	v_add_nc_u32_e32 v7, v5, v6
	v_lshrrev_b32_e32 v7, 1, v7
	global_load_b64 v[8:9], v7, s[4:5] scale_offset
	s_wait_loadcnt 0x0
	v_and_b32_e32 v9, s1, v9
	v_and_b32_e32 v8, s0, v8
	s_delay_alu instid0(VALU_DEP_1) | instskip(SKIP_4) | instid1(VALU_DEP_1)
	v_cmp_gt_u64_e32 vcc_lo, v[8:9], v[0:1]
	v_cndmask_b32_e64 v10, 0, 1, vcc_lo
	v_cmp_le_u64_e32 vcc_lo, v[0:1], v[8:9]
	v_add_nc_u32_e32 v9, 1, v7
	v_cndmask_b32_e64 v8, 0, 1, vcc_lo
	v_cndmask_b32_e64 v8, v8, v10, s2
	s_delay_alu instid0(VALU_DEP_1) | instskip(NEXT) | instid1(VALU_DEP_1)
	v_and_b32_e32 v8, 1, v8
	v_cmp_eq_u32_e32 vcc_lo, 1, v8
	v_dual_cndmask_b32 v6, v7, v6 :: v_dual_cndmask_b32 v5, v5, v9
	s_delay_alu instid0(VALU_DEP_1) | instskip(SKIP_1) | instid1(SALU_CYCLE_1)
	v_cmp_ge_u32_e32 vcc_lo, v5, v6
	s_or_b32 s3, vcc_lo, s3
	s_and_not1_b32 exec_lo, exec_lo, s3
	s_cbranch_execnz .LBB2846_15
; %bb.16:
	s_or_b32 exec_lo, exec_lo, s3
.LBB2846_17:
	s_delay_alu instid0(VALU_DEP_1)
	v_add_nc_u32_e32 v5, v5, v4
	s_mov_b32 s9, -1
.LBB2846_18:
	s_delay_alu instid0(SALU_CYCLE_1)
	s_and_b32 exec_lo, exec_lo, s9
	s_cbranch_execz .LBB2846_20
; %bb.19:
	s_wait_loadcnt 0x0
	global_store_b64 v5, v[2:3], s[6:7] scale_offset
.LBB2846_20:
	s_endpgm
	.section	.rodata,"a",@progbits
	.p2align	6, 0x0
	.amdhsa_kernel _ZN7rocprim17ROCPRIM_400000_NS6detail17trampoline_kernelINS0_14default_configENS1_38merge_sort_block_merge_config_selectorImNS0_10empty_typeEEEZZNS1_27merge_sort_block_merge_implIS3_PmPS5_jNS1_19radix_merge_compareILb1ELb1EmNS0_19identity_decomposerEEEEE10hipError_tT0_T1_T2_jT3_P12ihipStream_tbPNSt15iterator_traitsISE_E10value_typeEPNSK_ISF_E10value_typeEPSG_NS1_7vsmem_tEENKUlT_SE_SF_SG_E_clIS8_S8_S9_S9_EESD_ST_SE_SF_SG_EUlST_E1_NS1_11comp_targetILNS1_3genE0ELNS1_11target_archE4294967295ELNS1_3gpuE0ELNS1_3repE0EEENS1_36merge_oddeven_config_static_selectorELNS0_4arch9wavefront6targetE0EEEvSF_
		.amdhsa_group_segment_fixed_size 0
		.amdhsa_private_segment_fixed_size 0
		.amdhsa_kernarg_size 48
		.amdhsa_user_sgpr_count 2
		.amdhsa_user_sgpr_dispatch_ptr 0
		.amdhsa_user_sgpr_queue_ptr 0
		.amdhsa_user_sgpr_kernarg_segment_ptr 1
		.amdhsa_user_sgpr_dispatch_id 0
		.amdhsa_user_sgpr_kernarg_preload_length 0
		.amdhsa_user_sgpr_kernarg_preload_offset 0
		.amdhsa_user_sgpr_private_segment_size 0
		.amdhsa_wavefront_size32 1
		.amdhsa_uses_dynamic_stack 0
		.amdhsa_enable_private_segment 0
		.amdhsa_system_sgpr_workgroup_id_x 1
		.amdhsa_system_sgpr_workgroup_id_y 0
		.amdhsa_system_sgpr_workgroup_id_z 0
		.amdhsa_system_sgpr_workgroup_info 0
		.amdhsa_system_vgpr_workitem_id 0
		.amdhsa_next_free_vgpr 11
		.amdhsa_next_free_sgpr 18
		.amdhsa_named_barrier_count 0
		.amdhsa_reserve_vcc 1
		.amdhsa_float_round_mode_32 0
		.amdhsa_float_round_mode_16_64 0
		.amdhsa_float_denorm_mode_32 3
		.amdhsa_float_denorm_mode_16_64 3
		.amdhsa_fp16_overflow 0
		.amdhsa_memory_ordered 1
		.amdhsa_forward_progress 1
		.amdhsa_inst_pref_size 6
		.amdhsa_round_robin_scheduling 0
		.amdhsa_exception_fp_ieee_invalid_op 0
		.amdhsa_exception_fp_denorm_src 0
		.amdhsa_exception_fp_ieee_div_zero 0
		.amdhsa_exception_fp_ieee_overflow 0
		.amdhsa_exception_fp_ieee_underflow 0
		.amdhsa_exception_fp_ieee_inexact 0
		.amdhsa_exception_int_div_zero 0
	.end_amdhsa_kernel
	.section	.text._ZN7rocprim17ROCPRIM_400000_NS6detail17trampoline_kernelINS0_14default_configENS1_38merge_sort_block_merge_config_selectorImNS0_10empty_typeEEEZZNS1_27merge_sort_block_merge_implIS3_PmPS5_jNS1_19radix_merge_compareILb1ELb1EmNS0_19identity_decomposerEEEEE10hipError_tT0_T1_T2_jT3_P12ihipStream_tbPNSt15iterator_traitsISE_E10value_typeEPNSK_ISF_E10value_typeEPSG_NS1_7vsmem_tEENKUlT_SE_SF_SG_E_clIS8_S8_S9_S9_EESD_ST_SE_SF_SG_EUlST_E1_NS1_11comp_targetILNS1_3genE0ELNS1_11target_archE4294967295ELNS1_3gpuE0ELNS1_3repE0EEENS1_36merge_oddeven_config_static_selectorELNS0_4arch9wavefront6targetE0EEEvSF_,"axG",@progbits,_ZN7rocprim17ROCPRIM_400000_NS6detail17trampoline_kernelINS0_14default_configENS1_38merge_sort_block_merge_config_selectorImNS0_10empty_typeEEEZZNS1_27merge_sort_block_merge_implIS3_PmPS5_jNS1_19radix_merge_compareILb1ELb1EmNS0_19identity_decomposerEEEEE10hipError_tT0_T1_T2_jT3_P12ihipStream_tbPNSt15iterator_traitsISE_E10value_typeEPNSK_ISF_E10value_typeEPSG_NS1_7vsmem_tEENKUlT_SE_SF_SG_E_clIS8_S8_S9_S9_EESD_ST_SE_SF_SG_EUlST_E1_NS1_11comp_targetILNS1_3genE0ELNS1_11target_archE4294967295ELNS1_3gpuE0ELNS1_3repE0EEENS1_36merge_oddeven_config_static_selectorELNS0_4arch9wavefront6targetE0EEEvSF_,comdat
.Lfunc_end2846:
	.size	_ZN7rocprim17ROCPRIM_400000_NS6detail17trampoline_kernelINS0_14default_configENS1_38merge_sort_block_merge_config_selectorImNS0_10empty_typeEEEZZNS1_27merge_sort_block_merge_implIS3_PmPS5_jNS1_19radix_merge_compareILb1ELb1EmNS0_19identity_decomposerEEEEE10hipError_tT0_T1_T2_jT3_P12ihipStream_tbPNSt15iterator_traitsISE_E10value_typeEPNSK_ISF_E10value_typeEPSG_NS1_7vsmem_tEENKUlT_SE_SF_SG_E_clIS8_S8_S9_S9_EESD_ST_SE_SF_SG_EUlST_E1_NS1_11comp_targetILNS1_3genE0ELNS1_11target_archE4294967295ELNS1_3gpuE0ELNS1_3repE0EEENS1_36merge_oddeven_config_static_selectorELNS0_4arch9wavefront6targetE0EEEvSF_, .Lfunc_end2846-_ZN7rocprim17ROCPRIM_400000_NS6detail17trampoline_kernelINS0_14default_configENS1_38merge_sort_block_merge_config_selectorImNS0_10empty_typeEEEZZNS1_27merge_sort_block_merge_implIS3_PmPS5_jNS1_19radix_merge_compareILb1ELb1EmNS0_19identity_decomposerEEEEE10hipError_tT0_T1_T2_jT3_P12ihipStream_tbPNSt15iterator_traitsISE_E10value_typeEPNSK_ISF_E10value_typeEPSG_NS1_7vsmem_tEENKUlT_SE_SF_SG_E_clIS8_S8_S9_S9_EESD_ST_SE_SF_SG_EUlST_E1_NS1_11comp_targetILNS1_3genE0ELNS1_11target_archE4294967295ELNS1_3gpuE0ELNS1_3repE0EEENS1_36merge_oddeven_config_static_selectorELNS0_4arch9wavefront6targetE0EEEvSF_
                                        ; -- End function
	.set _ZN7rocprim17ROCPRIM_400000_NS6detail17trampoline_kernelINS0_14default_configENS1_38merge_sort_block_merge_config_selectorImNS0_10empty_typeEEEZZNS1_27merge_sort_block_merge_implIS3_PmPS5_jNS1_19radix_merge_compareILb1ELb1EmNS0_19identity_decomposerEEEEE10hipError_tT0_T1_T2_jT3_P12ihipStream_tbPNSt15iterator_traitsISE_E10value_typeEPNSK_ISF_E10value_typeEPSG_NS1_7vsmem_tEENKUlT_SE_SF_SG_E_clIS8_S8_S9_S9_EESD_ST_SE_SF_SG_EUlST_E1_NS1_11comp_targetILNS1_3genE0ELNS1_11target_archE4294967295ELNS1_3gpuE0ELNS1_3repE0EEENS1_36merge_oddeven_config_static_selectorELNS0_4arch9wavefront6targetE0EEEvSF_.num_vgpr, 11
	.set _ZN7rocprim17ROCPRIM_400000_NS6detail17trampoline_kernelINS0_14default_configENS1_38merge_sort_block_merge_config_selectorImNS0_10empty_typeEEEZZNS1_27merge_sort_block_merge_implIS3_PmPS5_jNS1_19radix_merge_compareILb1ELb1EmNS0_19identity_decomposerEEEEE10hipError_tT0_T1_T2_jT3_P12ihipStream_tbPNSt15iterator_traitsISE_E10value_typeEPNSK_ISF_E10value_typeEPSG_NS1_7vsmem_tEENKUlT_SE_SF_SG_E_clIS8_S8_S9_S9_EESD_ST_SE_SF_SG_EUlST_E1_NS1_11comp_targetILNS1_3genE0ELNS1_11target_archE4294967295ELNS1_3gpuE0ELNS1_3repE0EEENS1_36merge_oddeven_config_static_selectorELNS0_4arch9wavefront6targetE0EEEvSF_.num_agpr, 0
	.set _ZN7rocprim17ROCPRIM_400000_NS6detail17trampoline_kernelINS0_14default_configENS1_38merge_sort_block_merge_config_selectorImNS0_10empty_typeEEEZZNS1_27merge_sort_block_merge_implIS3_PmPS5_jNS1_19radix_merge_compareILb1ELb1EmNS0_19identity_decomposerEEEEE10hipError_tT0_T1_T2_jT3_P12ihipStream_tbPNSt15iterator_traitsISE_E10value_typeEPNSK_ISF_E10value_typeEPSG_NS1_7vsmem_tEENKUlT_SE_SF_SG_E_clIS8_S8_S9_S9_EESD_ST_SE_SF_SG_EUlST_E1_NS1_11comp_targetILNS1_3genE0ELNS1_11target_archE4294967295ELNS1_3gpuE0ELNS1_3repE0EEENS1_36merge_oddeven_config_static_selectorELNS0_4arch9wavefront6targetE0EEEvSF_.numbered_sgpr, 18
	.set _ZN7rocprim17ROCPRIM_400000_NS6detail17trampoline_kernelINS0_14default_configENS1_38merge_sort_block_merge_config_selectorImNS0_10empty_typeEEEZZNS1_27merge_sort_block_merge_implIS3_PmPS5_jNS1_19radix_merge_compareILb1ELb1EmNS0_19identity_decomposerEEEEE10hipError_tT0_T1_T2_jT3_P12ihipStream_tbPNSt15iterator_traitsISE_E10value_typeEPNSK_ISF_E10value_typeEPSG_NS1_7vsmem_tEENKUlT_SE_SF_SG_E_clIS8_S8_S9_S9_EESD_ST_SE_SF_SG_EUlST_E1_NS1_11comp_targetILNS1_3genE0ELNS1_11target_archE4294967295ELNS1_3gpuE0ELNS1_3repE0EEENS1_36merge_oddeven_config_static_selectorELNS0_4arch9wavefront6targetE0EEEvSF_.num_named_barrier, 0
	.set _ZN7rocprim17ROCPRIM_400000_NS6detail17trampoline_kernelINS0_14default_configENS1_38merge_sort_block_merge_config_selectorImNS0_10empty_typeEEEZZNS1_27merge_sort_block_merge_implIS3_PmPS5_jNS1_19radix_merge_compareILb1ELb1EmNS0_19identity_decomposerEEEEE10hipError_tT0_T1_T2_jT3_P12ihipStream_tbPNSt15iterator_traitsISE_E10value_typeEPNSK_ISF_E10value_typeEPSG_NS1_7vsmem_tEENKUlT_SE_SF_SG_E_clIS8_S8_S9_S9_EESD_ST_SE_SF_SG_EUlST_E1_NS1_11comp_targetILNS1_3genE0ELNS1_11target_archE4294967295ELNS1_3gpuE0ELNS1_3repE0EEENS1_36merge_oddeven_config_static_selectorELNS0_4arch9wavefront6targetE0EEEvSF_.private_seg_size, 0
	.set _ZN7rocprim17ROCPRIM_400000_NS6detail17trampoline_kernelINS0_14default_configENS1_38merge_sort_block_merge_config_selectorImNS0_10empty_typeEEEZZNS1_27merge_sort_block_merge_implIS3_PmPS5_jNS1_19radix_merge_compareILb1ELb1EmNS0_19identity_decomposerEEEEE10hipError_tT0_T1_T2_jT3_P12ihipStream_tbPNSt15iterator_traitsISE_E10value_typeEPNSK_ISF_E10value_typeEPSG_NS1_7vsmem_tEENKUlT_SE_SF_SG_E_clIS8_S8_S9_S9_EESD_ST_SE_SF_SG_EUlST_E1_NS1_11comp_targetILNS1_3genE0ELNS1_11target_archE4294967295ELNS1_3gpuE0ELNS1_3repE0EEENS1_36merge_oddeven_config_static_selectorELNS0_4arch9wavefront6targetE0EEEvSF_.uses_vcc, 1
	.set _ZN7rocprim17ROCPRIM_400000_NS6detail17trampoline_kernelINS0_14default_configENS1_38merge_sort_block_merge_config_selectorImNS0_10empty_typeEEEZZNS1_27merge_sort_block_merge_implIS3_PmPS5_jNS1_19radix_merge_compareILb1ELb1EmNS0_19identity_decomposerEEEEE10hipError_tT0_T1_T2_jT3_P12ihipStream_tbPNSt15iterator_traitsISE_E10value_typeEPNSK_ISF_E10value_typeEPSG_NS1_7vsmem_tEENKUlT_SE_SF_SG_E_clIS8_S8_S9_S9_EESD_ST_SE_SF_SG_EUlST_E1_NS1_11comp_targetILNS1_3genE0ELNS1_11target_archE4294967295ELNS1_3gpuE0ELNS1_3repE0EEENS1_36merge_oddeven_config_static_selectorELNS0_4arch9wavefront6targetE0EEEvSF_.uses_flat_scratch, 0
	.set _ZN7rocprim17ROCPRIM_400000_NS6detail17trampoline_kernelINS0_14default_configENS1_38merge_sort_block_merge_config_selectorImNS0_10empty_typeEEEZZNS1_27merge_sort_block_merge_implIS3_PmPS5_jNS1_19radix_merge_compareILb1ELb1EmNS0_19identity_decomposerEEEEE10hipError_tT0_T1_T2_jT3_P12ihipStream_tbPNSt15iterator_traitsISE_E10value_typeEPNSK_ISF_E10value_typeEPSG_NS1_7vsmem_tEENKUlT_SE_SF_SG_E_clIS8_S8_S9_S9_EESD_ST_SE_SF_SG_EUlST_E1_NS1_11comp_targetILNS1_3genE0ELNS1_11target_archE4294967295ELNS1_3gpuE0ELNS1_3repE0EEENS1_36merge_oddeven_config_static_selectorELNS0_4arch9wavefront6targetE0EEEvSF_.has_dyn_sized_stack, 0
	.set _ZN7rocprim17ROCPRIM_400000_NS6detail17trampoline_kernelINS0_14default_configENS1_38merge_sort_block_merge_config_selectorImNS0_10empty_typeEEEZZNS1_27merge_sort_block_merge_implIS3_PmPS5_jNS1_19radix_merge_compareILb1ELb1EmNS0_19identity_decomposerEEEEE10hipError_tT0_T1_T2_jT3_P12ihipStream_tbPNSt15iterator_traitsISE_E10value_typeEPNSK_ISF_E10value_typeEPSG_NS1_7vsmem_tEENKUlT_SE_SF_SG_E_clIS8_S8_S9_S9_EESD_ST_SE_SF_SG_EUlST_E1_NS1_11comp_targetILNS1_3genE0ELNS1_11target_archE4294967295ELNS1_3gpuE0ELNS1_3repE0EEENS1_36merge_oddeven_config_static_selectorELNS0_4arch9wavefront6targetE0EEEvSF_.has_recursion, 0
	.set _ZN7rocprim17ROCPRIM_400000_NS6detail17trampoline_kernelINS0_14default_configENS1_38merge_sort_block_merge_config_selectorImNS0_10empty_typeEEEZZNS1_27merge_sort_block_merge_implIS3_PmPS5_jNS1_19radix_merge_compareILb1ELb1EmNS0_19identity_decomposerEEEEE10hipError_tT0_T1_T2_jT3_P12ihipStream_tbPNSt15iterator_traitsISE_E10value_typeEPNSK_ISF_E10value_typeEPSG_NS1_7vsmem_tEENKUlT_SE_SF_SG_E_clIS8_S8_S9_S9_EESD_ST_SE_SF_SG_EUlST_E1_NS1_11comp_targetILNS1_3genE0ELNS1_11target_archE4294967295ELNS1_3gpuE0ELNS1_3repE0EEENS1_36merge_oddeven_config_static_selectorELNS0_4arch9wavefront6targetE0EEEvSF_.has_indirect_call, 0
	.section	.AMDGPU.csdata,"",@progbits
; Kernel info:
; codeLenInByte = 676
; TotalNumSgprs: 20
; NumVgprs: 11
; ScratchSize: 0
; MemoryBound: 0
; FloatMode: 240
; IeeeMode: 1
; LDSByteSize: 0 bytes/workgroup (compile time only)
; SGPRBlocks: 0
; VGPRBlocks: 0
; NumSGPRsForWavesPerEU: 20
; NumVGPRsForWavesPerEU: 11
; NamedBarCnt: 0
; Occupancy: 16
; WaveLimiterHint : 0
; COMPUTE_PGM_RSRC2:SCRATCH_EN: 0
; COMPUTE_PGM_RSRC2:USER_SGPR: 2
; COMPUTE_PGM_RSRC2:TRAP_HANDLER: 0
; COMPUTE_PGM_RSRC2:TGID_X_EN: 1
; COMPUTE_PGM_RSRC2:TGID_Y_EN: 0
; COMPUTE_PGM_RSRC2:TGID_Z_EN: 0
; COMPUTE_PGM_RSRC2:TIDIG_COMP_CNT: 0
	.section	.text._ZN7rocprim17ROCPRIM_400000_NS6detail17trampoline_kernelINS0_14default_configENS1_38merge_sort_block_merge_config_selectorImNS0_10empty_typeEEEZZNS1_27merge_sort_block_merge_implIS3_PmPS5_jNS1_19radix_merge_compareILb1ELb1EmNS0_19identity_decomposerEEEEE10hipError_tT0_T1_T2_jT3_P12ihipStream_tbPNSt15iterator_traitsISE_E10value_typeEPNSK_ISF_E10value_typeEPSG_NS1_7vsmem_tEENKUlT_SE_SF_SG_E_clIS8_S8_S9_S9_EESD_ST_SE_SF_SG_EUlST_E1_NS1_11comp_targetILNS1_3genE10ELNS1_11target_archE1201ELNS1_3gpuE5ELNS1_3repE0EEENS1_36merge_oddeven_config_static_selectorELNS0_4arch9wavefront6targetE0EEEvSF_,"axG",@progbits,_ZN7rocprim17ROCPRIM_400000_NS6detail17trampoline_kernelINS0_14default_configENS1_38merge_sort_block_merge_config_selectorImNS0_10empty_typeEEEZZNS1_27merge_sort_block_merge_implIS3_PmPS5_jNS1_19radix_merge_compareILb1ELb1EmNS0_19identity_decomposerEEEEE10hipError_tT0_T1_T2_jT3_P12ihipStream_tbPNSt15iterator_traitsISE_E10value_typeEPNSK_ISF_E10value_typeEPSG_NS1_7vsmem_tEENKUlT_SE_SF_SG_E_clIS8_S8_S9_S9_EESD_ST_SE_SF_SG_EUlST_E1_NS1_11comp_targetILNS1_3genE10ELNS1_11target_archE1201ELNS1_3gpuE5ELNS1_3repE0EEENS1_36merge_oddeven_config_static_selectorELNS0_4arch9wavefront6targetE0EEEvSF_,comdat
	.protected	_ZN7rocprim17ROCPRIM_400000_NS6detail17trampoline_kernelINS0_14default_configENS1_38merge_sort_block_merge_config_selectorImNS0_10empty_typeEEEZZNS1_27merge_sort_block_merge_implIS3_PmPS5_jNS1_19radix_merge_compareILb1ELb1EmNS0_19identity_decomposerEEEEE10hipError_tT0_T1_T2_jT3_P12ihipStream_tbPNSt15iterator_traitsISE_E10value_typeEPNSK_ISF_E10value_typeEPSG_NS1_7vsmem_tEENKUlT_SE_SF_SG_E_clIS8_S8_S9_S9_EESD_ST_SE_SF_SG_EUlST_E1_NS1_11comp_targetILNS1_3genE10ELNS1_11target_archE1201ELNS1_3gpuE5ELNS1_3repE0EEENS1_36merge_oddeven_config_static_selectorELNS0_4arch9wavefront6targetE0EEEvSF_ ; -- Begin function _ZN7rocprim17ROCPRIM_400000_NS6detail17trampoline_kernelINS0_14default_configENS1_38merge_sort_block_merge_config_selectorImNS0_10empty_typeEEEZZNS1_27merge_sort_block_merge_implIS3_PmPS5_jNS1_19radix_merge_compareILb1ELb1EmNS0_19identity_decomposerEEEEE10hipError_tT0_T1_T2_jT3_P12ihipStream_tbPNSt15iterator_traitsISE_E10value_typeEPNSK_ISF_E10value_typeEPSG_NS1_7vsmem_tEENKUlT_SE_SF_SG_E_clIS8_S8_S9_S9_EESD_ST_SE_SF_SG_EUlST_E1_NS1_11comp_targetILNS1_3genE10ELNS1_11target_archE1201ELNS1_3gpuE5ELNS1_3repE0EEENS1_36merge_oddeven_config_static_selectorELNS0_4arch9wavefront6targetE0EEEvSF_
	.globl	_ZN7rocprim17ROCPRIM_400000_NS6detail17trampoline_kernelINS0_14default_configENS1_38merge_sort_block_merge_config_selectorImNS0_10empty_typeEEEZZNS1_27merge_sort_block_merge_implIS3_PmPS5_jNS1_19radix_merge_compareILb1ELb1EmNS0_19identity_decomposerEEEEE10hipError_tT0_T1_T2_jT3_P12ihipStream_tbPNSt15iterator_traitsISE_E10value_typeEPNSK_ISF_E10value_typeEPSG_NS1_7vsmem_tEENKUlT_SE_SF_SG_E_clIS8_S8_S9_S9_EESD_ST_SE_SF_SG_EUlST_E1_NS1_11comp_targetILNS1_3genE10ELNS1_11target_archE1201ELNS1_3gpuE5ELNS1_3repE0EEENS1_36merge_oddeven_config_static_selectorELNS0_4arch9wavefront6targetE0EEEvSF_
	.p2align	8
	.type	_ZN7rocprim17ROCPRIM_400000_NS6detail17trampoline_kernelINS0_14default_configENS1_38merge_sort_block_merge_config_selectorImNS0_10empty_typeEEEZZNS1_27merge_sort_block_merge_implIS3_PmPS5_jNS1_19radix_merge_compareILb1ELb1EmNS0_19identity_decomposerEEEEE10hipError_tT0_T1_T2_jT3_P12ihipStream_tbPNSt15iterator_traitsISE_E10value_typeEPNSK_ISF_E10value_typeEPSG_NS1_7vsmem_tEENKUlT_SE_SF_SG_E_clIS8_S8_S9_S9_EESD_ST_SE_SF_SG_EUlST_E1_NS1_11comp_targetILNS1_3genE10ELNS1_11target_archE1201ELNS1_3gpuE5ELNS1_3repE0EEENS1_36merge_oddeven_config_static_selectorELNS0_4arch9wavefront6targetE0EEEvSF_,@function
_ZN7rocprim17ROCPRIM_400000_NS6detail17trampoline_kernelINS0_14default_configENS1_38merge_sort_block_merge_config_selectorImNS0_10empty_typeEEEZZNS1_27merge_sort_block_merge_implIS3_PmPS5_jNS1_19radix_merge_compareILb1ELb1EmNS0_19identity_decomposerEEEEE10hipError_tT0_T1_T2_jT3_P12ihipStream_tbPNSt15iterator_traitsISE_E10value_typeEPNSK_ISF_E10value_typeEPSG_NS1_7vsmem_tEENKUlT_SE_SF_SG_E_clIS8_S8_S9_S9_EESD_ST_SE_SF_SG_EUlST_E1_NS1_11comp_targetILNS1_3genE10ELNS1_11target_archE1201ELNS1_3gpuE5ELNS1_3repE0EEENS1_36merge_oddeven_config_static_selectorELNS0_4arch9wavefront6targetE0EEEvSF_: ; @_ZN7rocprim17ROCPRIM_400000_NS6detail17trampoline_kernelINS0_14default_configENS1_38merge_sort_block_merge_config_selectorImNS0_10empty_typeEEEZZNS1_27merge_sort_block_merge_implIS3_PmPS5_jNS1_19radix_merge_compareILb1ELb1EmNS0_19identity_decomposerEEEEE10hipError_tT0_T1_T2_jT3_P12ihipStream_tbPNSt15iterator_traitsISE_E10value_typeEPNSK_ISF_E10value_typeEPSG_NS1_7vsmem_tEENKUlT_SE_SF_SG_E_clIS8_S8_S9_S9_EESD_ST_SE_SF_SG_EUlST_E1_NS1_11comp_targetILNS1_3genE10ELNS1_11target_archE1201ELNS1_3gpuE5ELNS1_3repE0EEENS1_36merge_oddeven_config_static_selectorELNS0_4arch9wavefront6targetE0EEEvSF_
; %bb.0:
	.section	.rodata,"a",@progbits
	.p2align	6, 0x0
	.amdhsa_kernel _ZN7rocprim17ROCPRIM_400000_NS6detail17trampoline_kernelINS0_14default_configENS1_38merge_sort_block_merge_config_selectorImNS0_10empty_typeEEEZZNS1_27merge_sort_block_merge_implIS3_PmPS5_jNS1_19radix_merge_compareILb1ELb1EmNS0_19identity_decomposerEEEEE10hipError_tT0_T1_T2_jT3_P12ihipStream_tbPNSt15iterator_traitsISE_E10value_typeEPNSK_ISF_E10value_typeEPSG_NS1_7vsmem_tEENKUlT_SE_SF_SG_E_clIS8_S8_S9_S9_EESD_ST_SE_SF_SG_EUlST_E1_NS1_11comp_targetILNS1_3genE10ELNS1_11target_archE1201ELNS1_3gpuE5ELNS1_3repE0EEENS1_36merge_oddeven_config_static_selectorELNS0_4arch9wavefront6targetE0EEEvSF_
		.amdhsa_group_segment_fixed_size 0
		.amdhsa_private_segment_fixed_size 0
		.amdhsa_kernarg_size 48
		.amdhsa_user_sgpr_count 2
		.amdhsa_user_sgpr_dispatch_ptr 0
		.amdhsa_user_sgpr_queue_ptr 0
		.amdhsa_user_sgpr_kernarg_segment_ptr 1
		.amdhsa_user_sgpr_dispatch_id 0
		.amdhsa_user_sgpr_kernarg_preload_length 0
		.amdhsa_user_sgpr_kernarg_preload_offset 0
		.amdhsa_user_sgpr_private_segment_size 0
		.amdhsa_wavefront_size32 1
		.amdhsa_uses_dynamic_stack 0
		.amdhsa_enable_private_segment 0
		.amdhsa_system_sgpr_workgroup_id_x 1
		.amdhsa_system_sgpr_workgroup_id_y 0
		.amdhsa_system_sgpr_workgroup_id_z 0
		.amdhsa_system_sgpr_workgroup_info 0
		.amdhsa_system_vgpr_workitem_id 0
		.amdhsa_next_free_vgpr 1
		.amdhsa_next_free_sgpr 1
		.amdhsa_named_barrier_count 0
		.amdhsa_reserve_vcc 0
		.amdhsa_float_round_mode_32 0
		.amdhsa_float_round_mode_16_64 0
		.amdhsa_float_denorm_mode_32 3
		.amdhsa_float_denorm_mode_16_64 3
		.amdhsa_fp16_overflow 0
		.amdhsa_memory_ordered 1
		.amdhsa_forward_progress 1
		.amdhsa_inst_pref_size 0
		.amdhsa_round_robin_scheduling 0
		.amdhsa_exception_fp_ieee_invalid_op 0
		.amdhsa_exception_fp_denorm_src 0
		.amdhsa_exception_fp_ieee_div_zero 0
		.amdhsa_exception_fp_ieee_overflow 0
		.amdhsa_exception_fp_ieee_underflow 0
		.amdhsa_exception_fp_ieee_inexact 0
		.amdhsa_exception_int_div_zero 0
	.end_amdhsa_kernel
	.section	.text._ZN7rocprim17ROCPRIM_400000_NS6detail17trampoline_kernelINS0_14default_configENS1_38merge_sort_block_merge_config_selectorImNS0_10empty_typeEEEZZNS1_27merge_sort_block_merge_implIS3_PmPS5_jNS1_19radix_merge_compareILb1ELb1EmNS0_19identity_decomposerEEEEE10hipError_tT0_T1_T2_jT3_P12ihipStream_tbPNSt15iterator_traitsISE_E10value_typeEPNSK_ISF_E10value_typeEPSG_NS1_7vsmem_tEENKUlT_SE_SF_SG_E_clIS8_S8_S9_S9_EESD_ST_SE_SF_SG_EUlST_E1_NS1_11comp_targetILNS1_3genE10ELNS1_11target_archE1201ELNS1_3gpuE5ELNS1_3repE0EEENS1_36merge_oddeven_config_static_selectorELNS0_4arch9wavefront6targetE0EEEvSF_,"axG",@progbits,_ZN7rocprim17ROCPRIM_400000_NS6detail17trampoline_kernelINS0_14default_configENS1_38merge_sort_block_merge_config_selectorImNS0_10empty_typeEEEZZNS1_27merge_sort_block_merge_implIS3_PmPS5_jNS1_19radix_merge_compareILb1ELb1EmNS0_19identity_decomposerEEEEE10hipError_tT0_T1_T2_jT3_P12ihipStream_tbPNSt15iterator_traitsISE_E10value_typeEPNSK_ISF_E10value_typeEPSG_NS1_7vsmem_tEENKUlT_SE_SF_SG_E_clIS8_S8_S9_S9_EESD_ST_SE_SF_SG_EUlST_E1_NS1_11comp_targetILNS1_3genE10ELNS1_11target_archE1201ELNS1_3gpuE5ELNS1_3repE0EEENS1_36merge_oddeven_config_static_selectorELNS0_4arch9wavefront6targetE0EEEvSF_,comdat
.Lfunc_end2847:
	.size	_ZN7rocprim17ROCPRIM_400000_NS6detail17trampoline_kernelINS0_14default_configENS1_38merge_sort_block_merge_config_selectorImNS0_10empty_typeEEEZZNS1_27merge_sort_block_merge_implIS3_PmPS5_jNS1_19radix_merge_compareILb1ELb1EmNS0_19identity_decomposerEEEEE10hipError_tT0_T1_T2_jT3_P12ihipStream_tbPNSt15iterator_traitsISE_E10value_typeEPNSK_ISF_E10value_typeEPSG_NS1_7vsmem_tEENKUlT_SE_SF_SG_E_clIS8_S8_S9_S9_EESD_ST_SE_SF_SG_EUlST_E1_NS1_11comp_targetILNS1_3genE10ELNS1_11target_archE1201ELNS1_3gpuE5ELNS1_3repE0EEENS1_36merge_oddeven_config_static_selectorELNS0_4arch9wavefront6targetE0EEEvSF_, .Lfunc_end2847-_ZN7rocprim17ROCPRIM_400000_NS6detail17trampoline_kernelINS0_14default_configENS1_38merge_sort_block_merge_config_selectorImNS0_10empty_typeEEEZZNS1_27merge_sort_block_merge_implIS3_PmPS5_jNS1_19radix_merge_compareILb1ELb1EmNS0_19identity_decomposerEEEEE10hipError_tT0_T1_T2_jT3_P12ihipStream_tbPNSt15iterator_traitsISE_E10value_typeEPNSK_ISF_E10value_typeEPSG_NS1_7vsmem_tEENKUlT_SE_SF_SG_E_clIS8_S8_S9_S9_EESD_ST_SE_SF_SG_EUlST_E1_NS1_11comp_targetILNS1_3genE10ELNS1_11target_archE1201ELNS1_3gpuE5ELNS1_3repE0EEENS1_36merge_oddeven_config_static_selectorELNS0_4arch9wavefront6targetE0EEEvSF_
                                        ; -- End function
	.set _ZN7rocprim17ROCPRIM_400000_NS6detail17trampoline_kernelINS0_14default_configENS1_38merge_sort_block_merge_config_selectorImNS0_10empty_typeEEEZZNS1_27merge_sort_block_merge_implIS3_PmPS5_jNS1_19radix_merge_compareILb1ELb1EmNS0_19identity_decomposerEEEEE10hipError_tT0_T1_T2_jT3_P12ihipStream_tbPNSt15iterator_traitsISE_E10value_typeEPNSK_ISF_E10value_typeEPSG_NS1_7vsmem_tEENKUlT_SE_SF_SG_E_clIS8_S8_S9_S9_EESD_ST_SE_SF_SG_EUlST_E1_NS1_11comp_targetILNS1_3genE10ELNS1_11target_archE1201ELNS1_3gpuE5ELNS1_3repE0EEENS1_36merge_oddeven_config_static_selectorELNS0_4arch9wavefront6targetE0EEEvSF_.num_vgpr, 0
	.set _ZN7rocprim17ROCPRIM_400000_NS6detail17trampoline_kernelINS0_14default_configENS1_38merge_sort_block_merge_config_selectorImNS0_10empty_typeEEEZZNS1_27merge_sort_block_merge_implIS3_PmPS5_jNS1_19radix_merge_compareILb1ELb1EmNS0_19identity_decomposerEEEEE10hipError_tT0_T1_T2_jT3_P12ihipStream_tbPNSt15iterator_traitsISE_E10value_typeEPNSK_ISF_E10value_typeEPSG_NS1_7vsmem_tEENKUlT_SE_SF_SG_E_clIS8_S8_S9_S9_EESD_ST_SE_SF_SG_EUlST_E1_NS1_11comp_targetILNS1_3genE10ELNS1_11target_archE1201ELNS1_3gpuE5ELNS1_3repE0EEENS1_36merge_oddeven_config_static_selectorELNS0_4arch9wavefront6targetE0EEEvSF_.num_agpr, 0
	.set _ZN7rocprim17ROCPRIM_400000_NS6detail17trampoline_kernelINS0_14default_configENS1_38merge_sort_block_merge_config_selectorImNS0_10empty_typeEEEZZNS1_27merge_sort_block_merge_implIS3_PmPS5_jNS1_19radix_merge_compareILb1ELb1EmNS0_19identity_decomposerEEEEE10hipError_tT0_T1_T2_jT3_P12ihipStream_tbPNSt15iterator_traitsISE_E10value_typeEPNSK_ISF_E10value_typeEPSG_NS1_7vsmem_tEENKUlT_SE_SF_SG_E_clIS8_S8_S9_S9_EESD_ST_SE_SF_SG_EUlST_E1_NS1_11comp_targetILNS1_3genE10ELNS1_11target_archE1201ELNS1_3gpuE5ELNS1_3repE0EEENS1_36merge_oddeven_config_static_selectorELNS0_4arch9wavefront6targetE0EEEvSF_.numbered_sgpr, 0
	.set _ZN7rocprim17ROCPRIM_400000_NS6detail17trampoline_kernelINS0_14default_configENS1_38merge_sort_block_merge_config_selectorImNS0_10empty_typeEEEZZNS1_27merge_sort_block_merge_implIS3_PmPS5_jNS1_19radix_merge_compareILb1ELb1EmNS0_19identity_decomposerEEEEE10hipError_tT0_T1_T2_jT3_P12ihipStream_tbPNSt15iterator_traitsISE_E10value_typeEPNSK_ISF_E10value_typeEPSG_NS1_7vsmem_tEENKUlT_SE_SF_SG_E_clIS8_S8_S9_S9_EESD_ST_SE_SF_SG_EUlST_E1_NS1_11comp_targetILNS1_3genE10ELNS1_11target_archE1201ELNS1_3gpuE5ELNS1_3repE0EEENS1_36merge_oddeven_config_static_selectorELNS0_4arch9wavefront6targetE0EEEvSF_.num_named_barrier, 0
	.set _ZN7rocprim17ROCPRIM_400000_NS6detail17trampoline_kernelINS0_14default_configENS1_38merge_sort_block_merge_config_selectorImNS0_10empty_typeEEEZZNS1_27merge_sort_block_merge_implIS3_PmPS5_jNS1_19radix_merge_compareILb1ELb1EmNS0_19identity_decomposerEEEEE10hipError_tT0_T1_T2_jT3_P12ihipStream_tbPNSt15iterator_traitsISE_E10value_typeEPNSK_ISF_E10value_typeEPSG_NS1_7vsmem_tEENKUlT_SE_SF_SG_E_clIS8_S8_S9_S9_EESD_ST_SE_SF_SG_EUlST_E1_NS1_11comp_targetILNS1_3genE10ELNS1_11target_archE1201ELNS1_3gpuE5ELNS1_3repE0EEENS1_36merge_oddeven_config_static_selectorELNS0_4arch9wavefront6targetE0EEEvSF_.private_seg_size, 0
	.set _ZN7rocprim17ROCPRIM_400000_NS6detail17trampoline_kernelINS0_14default_configENS1_38merge_sort_block_merge_config_selectorImNS0_10empty_typeEEEZZNS1_27merge_sort_block_merge_implIS3_PmPS5_jNS1_19radix_merge_compareILb1ELb1EmNS0_19identity_decomposerEEEEE10hipError_tT0_T1_T2_jT3_P12ihipStream_tbPNSt15iterator_traitsISE_E10value_typeEPNSK_ISF_E10value_typeEPSG_NS1_7vsmem_tEENKUlT_SE_SF_SG_E_clIS8_S8_S9_S9_EESD_ST_SE_SF_SG_EUlST_E1_NS1_11comp_targetILNS1_3genE10ELNS1_11target_archE1201ELNS1_3gpuE5ELNS1_3repE0EEENS1_36merge_oddeven_config_static_selectorELNS0_4arch9wavefront6targetE0EEEvSF_.uses_vcc, 0
	.set _ZN7rocprim17ROCPRIM_400000_NS6detail17trampoline_kernelINS0_14default_configENS1_38merge_sort_block_merge_config_selectorImNS0_10empty_typeEEEZZNS1_27merge_sort_block_merge_implIS3_PmPS5_jNS1_19radix_merge_compareILb1ELb1EmNS0_19identity_decomposerEEEEE10hipError_tT0_T1_T2_jT3_P12ihipStream_tbPNSt15iterator_traitsISE_E10value_typeEPNSK_ISF_E10value_typeEPSG_NS1_7vsmem_tEENKUlT_SE_SF_SG_E_clIS8_S8_S9_S9_EESD_ST_SE_SF_SG_EUlST_E1_NS1_11comp_targetILNS1_3genE10ELNS1_11target_archE1201ELNS1_3gpuE5ELNS1_3repE0EEENS1_36merge_oddeven_config_static_selectorELNS0_4arch9wavefront6targetE0EEEvSF_.uses_flat_scratch, 0
	.set _ZN7rocprim17ROCPRIM_400000_NS6detail17trampoline_kernelINS0_14default_configENS1_38merge_sort_block_merge_config_selectorImNS0_10empty_typeEEEZZNS1_27merge_sort_block_merge_implIS3_PmPS5_jNS1_19radix_merge_compareILb1ELb1EmNS0_19identity_decomposerEEEEE10hipError_tT0_T1_T2_jT3_P12ihipStream_tbPNSt15iterator_traitsISE_E10value_typeEPNSK_ISF_E10value_typeEPSG_NS1_7vsmem_tEENKUlT_SE_SF_SG_E_clIS8_S8_S9_S9_EESD_ST_SE_SF_SG_EUlST_E1_NS1_11comp_targetILNS1_3genE10ELNS1_11target_archE1201ELNS1_3gpuE5ELNS1_3repE0EEENS1_36merge_oddeven_config_static_selectorELNS0_4arch9wavefront6targetE0EEEvSF_.has_dyn_sized_stack, 0
	.set _ZN7rocprim17ROCPRIM_400000_NS6detail17trampoline_kernelINS0_14default_configENS1_38merge_sort_block_merge_config_selectorImNS0_10empty_typeEEEZZNS1_27merge_sort_block_merge_implIS3_PmPS5_jNS1_19radix_merge_compareILb1ELb1EmNS0_19identity_decomposerEEEEE10hipError_tT0_T1_T2_jT3_P12ihipStream_tbPNSt15iterator_traitsISE_E10value_typeEPNSK_ISF_E10value_typeEPSG_NS1_7vsmem_tEENKUlT_SE_SF_SG_E_clIS8_S8_S9_S9_EESD_ST_SE_SF_SG_EUlST_E1_NS1_11comp_targetILNS1_3genE10ELNS1_11target_archE1201ELNS1_3gpuE5ELNS1_3repE0EEENS1_36merge_oddeven_config_static_selectorELNS0_4arch9wavefront6targetE0EEEvSF_.has_recursion, 0
	.set _ZN7rocprim17ROCPRIM_400000_NS6detail17trampoline_kernelINS0_14default_configENS1_38merge_sort_block_merge_config_selectorImNS0_10empty_typeEEEZZNS1_27merge_sort_block_merge_implIS3_PmPS5_jNS1_19radix_merge_compareILb1ELb1EmNS0_19identity_decomposerEEEEE10hipError_tT0_T1_T2_jT3_P12ihipStream_tbPNSt15iterator_traitsISE_E10value_typeEPNSK_ISF_E10value_typeEPSG_NS1_7vsmem_tEENKUlT_SE_SF_SG_E_clIS8_S8_S9_S9_EESD_ST_SE_SF_SG_EUlST_E1_NS1_11comp_targetILNS1_3genE10ELNS1_11target_archE1201ELNS1_3gpuE5ELNS1_3repE0EEENS1_36merge_oddeven_config_static_selectorELNS0_4arch9wavefront6targetE0EEEvSF_.has_indirect_call, 0
	.section	.AMDGPU.csdata,"",@progbits
; Kernel info:
; codeLenInByte = 0
; TotalNumSgprs: 0
; NumVgprs: 0
; ScratchSize: 0
; MemoryBound: 0
; FloatMode: 240
; IeeeMode: 1
; LDSByteSize: 0 bytes/workgroup (compile time only)
; SGPRBlocks: 0
; VGPRBlocks: 0
; NumSGPRsForWavesPerEU: 1
; NumVGPRsForWavesPerEU: 1
; NamedBarCnt: 0
; Occupancy: 16
; WaveLimiterHint : 0
; COMPUTE_PGM_RSRC2:SCRATCH_EN: 0
; COMPUTE_PGM_RSRC2:USER_SGPR: 2
; COMPUTE_PGM_RSRC2:TRAP_HANDLER: 0
; COMPUTE_PGM_RSRC2:TGID_X_EN: 1
; COMPUTE_PGM_RSRC2:TGID_Y_EN: 0
; COMPUTE_PGM_RSRC2:TGID_Z_EN: 0
; COMPUTE_PGM_RSRC2:TIDIG_COMP_CNT: 0
	.section	.text._ZN7rocprim17ROCPRIM_400000_NS6detail17trampoline_kernelINS0_14default_configENS1_38merge_sort_block_merge_config_selectorImNS0_10empty_typeEEEZZNS1_27merge_sort_block_merge_implIS3_PmPS5_jNS1_19radix_merge_compareILb1ELb1EmNS0_19identity_decomposerEEEEE10hipError_tT0_T1_T2_jT3_P12ihipStream_tbPNSt15iterator_traitsISE_E10value_typeEPNSK_ISF_E10value_typeEPSG_NS1_7vsmem_tEENKUlT_SE_SF_SG_E_clIS8_S8_S9_S9_EESD_ST_SE_SF_SG_EUlST_E1_NS1_11comp_targetILNS1_3genE5ELNS1_11target_archE942ELNS1_3gpuE9ELNS1_3repE0EEENS1_36merge_oddeven_config_static_selectorELNS0_4arch9wavefront6targetE0EEEvSF_,"axG",@progbits,_ZN7rocprim17ROCPRIM_400000_NS6detail17trampoline_kernelINS0_14default_configENS1_38merge_sort_block_merge_config_selectorImNS0_10empty_typeEEEZZNS1_27merge_sort_block_merge_implIS3_PmPS5_jNS1_19radix_merge_compareILb1ELb1EmNS0_19identity_decomposerEEEEE10hipError_tT0_T1_T2_jT3_P12ihipStream_tbPNSt15iterator_traitsISE_E10value_typeEPNSK_ISF_E10value_typeEPSG_NS1_7vsmem_tEENKUlT_SE_SF_SG_E_clIS8_S8_S9_S9_EESD_ST_SE_SF_SG_EUlST_E1_NS1_11comp_targetILNS1_3genE5ELNS1_11target_archE942ELNS1_3gpuE9ELNS1_3repE0EEENS1_36merge_oddeven_config_static_selectorELNS0_4arch9wavefront6targetE0EEEvSF_,comdat
	.protected	_ZN7rocprim17ROCPRIM_400000_NS6detail17trampoline_kernelINS0_14default_configENS1_38merge_sort_block_merge_config_selectorImNS0_10empty_typeEEEZZNS1_27merge_sort_block_merge_implIS3_PmPS5_jNS1_19radix_merge_compareILb1ELb1EmNS0_19identity_decomposerEEEEE10hipError_tT0_T1_T2_jT3_P12ihipStream_tbPNSt15iterator_traitsISE_E10value_typeEPNSK_ISF_E10value_typeEPSG_NS1_7vsmem_tEENKUlT_SE_SF_SG_E_clIS8_S8_S9_S9_EESD_ST_SE_SF_SG_EUlST_E1_NS1_11comp_targetILNS1_3genE5ELNS1_11target_archE942ELNS1_3gpuE9ELNS1_3repE0EEENS1_36merge_oddeven_config_static_selectorELNS0_4arch9wavefront6targetE0EEEvSF_ ; -- Begin function _ZN7rocprim17ROCPRIM_400000_NS6detail17trampoline_kernelINS0_14default_configENS1_38merge_sort_block_merge_config_selectorImNS0_10empty_typeEEEZZNS1_27merge_sort_block_merge_implIS3_PmPS5_jNS1_19radix_merge_compareILb1ELb1EmNS0_19identity_decomposerEEEEE10hipError_tT0_T1_T2_jT3_P12ihipStream_tbPNSt15iterator_traitsISE_E10value_typeEPNSK_ISF_E10value_typeEPSG_NS1_7vsmem_tEENKUlT_SE_SF_SG_E_clIS8_S8_S9_S9_EESD_ST_SE_SF_SG_EUlST_E1_NS1_11comp_targetILNS1_3genE5ELNS1_11target_archE942ELNS1_3gpuE9ELNS1_3repE0EEENS1_36merge_oddeven_config_static_selectorELNS0_4arch9wavefront6targetE0EEEvSF_
	.globl	_ZN7rocprim17ROCPRIM_400000_NS6detail17trampoline_kernelINS0_14default_configENS1_38merge_sort_block_merge_config_selectorImNS0_10empty_typeEEEZZNS1_27merge_sort_block_merge_implIS3_PmPS5_jNS1_19radix_merge_compareILb1ELb1EmNS0_19identity_decomposerEEEEE10hipError_tT0_T1_T2_jT3_P12ihipStream_tbPNSt15iterator_traitsISE_E10value_typeEPNSK_ISF_E10value_typeEPSG_NS1_7vsmem_tEENKUlT_SE_SF_SG_E_clIS8_S8_S9_S9_EESD_ST_SE_SF_SG_EUlST_E1_NS1_11comp_targetILNS1_3genE5ELNS1_11target_archE942ELNS1_3gpuE9ELNS1_3repE0EEENS1_36merge_oddeven_config_static_selectorELNS0_4arch9wavefront6targetE0EEEvSF_
	.p2align	8
	.type	_ZN7rocprim17ROCPRIM_400000_NS6detail17trampoline_kernelINS0_14default_configENS1_38merge_sort_block_merge_config_selectorImNS0_10empty_typeEEEZZNS1_27merge_sort_block_merge_implIS3_PmPS5_jNS1_19radix_merge_compareILb1ELb1EmNS0_19identity_decomposerEEEEE10hipError_tT0_T1_T2_jT3_P12ihipStream_tbPNSt15iterator_traitsISE_E10value_typeEPNSK_ISF_E10value_typeEPSG_NS1_7vsmem_tEENKUlT_SE_SF_SG_E_clIS8_S8_S9_S9_EESD_ST_SE_SF_SG_EUlST_E1_NS1_11comp_targetILNS1_3genE5ELNS1_11target_archE942ELNS1_3gpuE9ELNS1_3repE0EEENS1_36merge_oddeven_config_static_selectorELNS0_4arch9wavefront6targetE0EEEvSF_,@function
_ZN7rocprim17ROCPRIM_400000_NS6detail17trampoline_kernelINS0_14default_configENS1_38merge_sort_block_merge_config_selectorImNS0_10empty_typeEEEZZNS1_27merge_sort_block_merge_implIS3_PmPS5_jNS1_19radix_merge_compareILb1ELb1EmNS0_19identity_decomposerEEEEE10hipError_tT0_T1_T2_jT3_P12ihipStream_tbPNSt15iterator_traitsISE_E10value_typeEPNSK_ISF_E10value_typeEPSG_NS1_7vsmem_tEENKUlT_SE_SF_SG_E_clIS8_S8_S9_S9_EESD_ST_SE_SF_SG_EUlST_E1_NS1_11comp_targetILNS1_3genE5ELNS1_11target_archE942ELNS1_3gpuE9ELNS1_3repE0EEENS1_36merge_oddeven_config_static_selectorELNS0_4arch9wavefront6targetE0EEEvSF_: ; @_ZN7rocprim17ROCPRIM_400000_NS6detail17trampoline_kernelINS0_14default_configENS1_38merge_sort_block_merge_config_selectorImNS0_10empty_typeEEEZZNS1_27merge_sort_block_merge_implIS3_PmPS5_jNS1_19radix_merge_compareILb1ELb1EmNS0_19identity_decomposerEEEEE10hipError_tT0_T1_T2_jT3_P12ihipStream_tbPNSt15iterator_traitsISE_E10value_typeEPNSK_ISF_E10value_typeEPSG_NS1_7vsmem_tEENKUlT_SE_SF_SG_E_clIS8_S8_S9_S9_EESD_ST_SE_SF_SG_EUlST_E1_NS1_11comp_targetILNS1_3genE5ELNS1_11target_archE942ELNS1_3gpuE9ELNS1_3repE0EEENS1_36merge_oddeven_config_static_selectorELNS0_4arch9wavefront6targetE0EEEvSF_
; %bb.0:
	.section	.rodata,"a",@progbits
	.p2align	6, 0x0
	.amdhsa_kernel _ZN7rocprim17ROCPRIM_400000_NS6detail17trampoline_kernelINS0_14default_configENS1_38merge_sort_block_merge_config_selectorImNS0_10empty_typeEEEZZNS1_27merge_sort_block_merge_implIS3_PmPS5_jNS1_19radix_merge_compareILb1ELb1EmNS0_19identity_decomposerEEEEE10hipError_tT0_T1_T2_jT3_P12ihipStream_tbPNSt15iterator_traitsISE_E10value_typeEPNSK_ISF_E10value_typeEPSG_NS1_7vsmem_tEENKUlT_SE_SF_SG_E_clIS8_S8_S9_S9_EESD_ST_SE_SF_SG_EUlST_E1_NS1_11comp_targetILNS1_3genE5ELNS1_11target_archE942ELNS1_3gpuE9ELNS1_3repE0EEENS1_36merge_oddeven_config_static_selectorELNS0_4arch9wavefront6targetE0EEEvSF_
		.amdhsa_group_segment_fixed_size 0
		.amdhsa_private_segment_fixed_size 0
		.amdhsa_kernarg_size 48
		.amdhsa_user_sgpr_count 2
		.amdhsa_user_sgpr_dispatch_ptr 0
		.amdhsa_user_sgpr_queue_ptr 0
		.amdhsa_user_sgpr_kernarg_segment_ptr 1
		.amdhsa_user_sgpr_dispatch_id 0
		.amdhsa_user_sgpr_kernarg_preload_length 0
		.amdhsa_user_sgpr_kernarg_preload_offset 0
		.amdhsa_user_sgpr_private_segment_size 0
		.amdhsa_wavefront_size32 1
		.amdhsa_uses_dynamic_stack 0
		.amdhsa_enable_private_segment 0
		.amdhsa_system_sgpr_workgroup_id_x 1
		.amdhsa_system_sgpr_workgroup_id_y 0
		.amdhsa_system_sgpr_workgroup_id_z 0
		.amdhsa_system_sgpr_workgroup_info 0
		.amdhsa_system_vgpr_workitem_id 0
		.amdhsa_next_free_vgpr 1
		.amdhsa_next_free_sgpr 1
		.amdhsa_named_barrier_count 0
		.amdhsa_reserve_vcc 0
		.amdhsa_float_round_mode_32 0
		.amdhsa_float_round_mode_16_64 0
		.amdhsa_float_denorm_mode_32 3
		.amdhsa_float_denorm_mode_16_64 3
		.amdhsa_fp16_overflow 0
		.amdhsa_memory_ordered 1
		.amdhsa_forward_progress 1
		.amdhsa_inst_pref_size 0
		.amdhsa_round_robin_scheduling 0
		.amdhsa_exception_fp_ieee_invalid_op 0
		.amdhsa_exception_fp_denorm_src 0
		.amdhsa_exception_fp_ieee_div_zero 0
		.amdhsa_exception_fp_ieee_overflow 0
		.amdhsa_exception_fp_ieee_underflow 0
		.amdhsa_exception_fp_ieee_inexact 0
		.amdhsa_exception_int_div_zero 0
	.end_amdhsa_kernel
	.section	.text._ZN7rocprim17ROCPRIM_400000_NS6detail17trampoline_kernelINS0_14default_configENS1_38merge_sort_block_merge_config_selectorImNS0_10empty_typeEEEZZNS1_27merge_sort_block_merge_implIS3_PmPS5_jNS1_19radix_merge_compareILb1ELb1EmNS0_19identity_decomposerEEEEE10hipError_tT0_T1_T2_jT3_P12ihipStream_tbPNSt15iterator_traitsISE_E10value_typeEPNSK_ISF_E10value_typeEPSG_NS1_7vsmem_tEENKUlT_SE_SF_SG_E_clIS8_S8_S9_S9_EESD_ST_SE_SF_SG_EUlST_E1_NS1_11comp_targetILNS1_3genE5ELNS1_11target_archE942ELNS1_3gpuE9ELNS1_3repE0EEENS1_36merge_oddeven_config_static_selectorELNS0_4arch9wavefront6targetE0EEEvSF_,"axG",@progbits,_ZN7rocprim17ROCPRIM_400000_NS6detail17trampoline_kernelINS0_14default_configENS1_38merge_sort_block_merge_config_selectorImNS0_10empty_typeEEEZZNS1_27merge_sort_block_merge_implIS3_PmPS5_jNS1_19radix_merge_compareILb1ELb1EmNS0_19identity_decomposerEEEEE10hipError_tT0_T1_T2_jT3_P12ihipStream_tbPNSt15iterator_traitsISE_E10value_typeEPNSK_ISF_E10value_typeEPSG_NS1_7vsmem_tEENKUlT_SE_SF_SG_E_clIS8_S8_S9_S9_EESD_ST_SE_SF_SG_EUlST_E1_NS1_11comp_targetILNS1_3genE5ELNS1_11target_archE942ELNS1_3gpuE9ELNS1_3repE0EEENS1_36merge_oddeven_config_static_selectorELNS0_4arch9wavefront6targetE0EEEvSF_,comdat
.Lfunc_end2848:
	.size	_ZN7rocprim17ROCPRIM_400000_NS6detail17trampoline_kernelINS0_14default_configENS1_38merge_sort_block_merge_config_selectorImNS0_10empty_typeEEEZZNS1_27merge_sort_block_merge_implIS3_PmPS5_jNS1_19radix_merge_compareILb1ELb1EmNS0_19identity_decomposerEEEEE10hipError_tT0_T1_T2_jT3_P12ihipStream_tbPNSt15iterator_traitsISE_E10value_typeEPNSK_ISF_E10value_typeEPSG_NS1_7vsmem_tEENKUlT_SE_SF_SG_E_clIS8_S8_S9_S9_EESD_ST_SE_SF_SG_EUlST_E1_NS1_11comp_targetILNS1_3genE5ELNS1_11target_archE942ELNS1_3gpuE9ELNS1_3repE0EEENS1_36merge_oddeven_config_static_selectorELNS0_4arch9wavefront6targetE0EEEvSF_, .Lfunc_end2848-_ZN7rocprim17ROCPRIM_400000_NS6detail17trampoline_kernelINS0_14default_configENS1_38merge_sort_block_merge_config_selectorImNS0_10empty_typeEEEZZNS1_27merge_sort_block_merge_implIS3_PmPS5_jNS1_19radix_merge_compareILb1ELb1EmNS0_19identity_decomposerEEEEE10hipError_tT0_T1_T2_jT3_P12ihipStream_tbPNSt15iterator_traitsISE_E10value_typeEPNSK_ISF_E10value_typeEPSG_NS1_7vsmem_tEENKUlT_SE_SF_SG_E_clIS8_S8_S9_S9_EESD_ST_SE_SF_SG_EUlST_E1_NS1_11comp_targetILNS1_3genE5ELNS1_11target_archE942ELNS1_3gpuE9ELNS1_3repE0EEENS1_36merge_oddeven_config_static_selectorELNS0_4arch9wavefront6targetE0EEEvSF_
                                        ; -- End function
	.set _ZN7rocprim17ROCPRIM_400000_NS6detail17trampoline_kernelINS0_14default_configENS1_38merge_sort_block_merge_config_selectorImNS0_10empty_typeEEEZZNS1_27merge_sort_block_merge_implIS3_PmPS5_jNS1_19radix_merge_compareILb1ELb1EmNS0_19identity_decomposerEEEEE10hipError_tT0_T1_T2_jT3_P12ihipStream_tbPNSt15iterator_traitsISE_E10value_typeEPNSK_ISF_E10value_typeEPSG_NS1_7vsmem_tEENKUlT_SE_SF_SG_E_clIS8_S8_S9_S9_EESD_ST_SE_SF_SG_EUlST_E1_NS1_11comp_targetILNS1_3genE5ELNS1_11target_archE942ELNS1_3gpuE9ELNS1_3repE0EEENS1_36merge_oddeven_config_static_selectorELNS0_4arch9wavefront6targetE0EEEvSF_.num_vgpr, 0
	.set _ZN7rocprim17ROCPRIM_400000_NS6detail17trampoline_kernelINS0_14default_configENS1_38merge_sort_block_merge_config_selectorImNS0_10empty_typeEEEZZNS1_27merge_sort_block_merge_implIS3_PmPS5_jNS1_19radix_merge_compareILb1ELb1EmNS0_19identity_decomposerEEEEE10hipError_tT0_T1_T2_jT3_P12ihipStream_tbPNSt15iterator_traitsISE_E10value_typeEPNSK_ISF_E10value_typeEPSG_NS1_7vsmem_tEENKUlT_SE_SF_SG_E_clIS8_S8_S9_S9_EESD_ST_SE_SF_SG_EUlST_E1_NS1_11comp_targetILNS1_3genE5ELNS1_11target_archE942ELNS1_3gpuE9ELNS1_3repE0EEENS1_36merge_oddeven_config_static_selectorELNS0_4arch9wavefront6targetE0EEEvSF_.num_agpr, 0
	.set _ZN7rocprim17ROCPRIM_400000_NS6detail17trampoline_kernelINS0_14default_configENS1_38merge_sort_block_merge_config_selectorImNS0_10empty_typeEEEZZNS1_27merge_sort_block_merge_implIS3_PmPS5_jNS1_19radix_merge_compareILb1ELb1EmNS0_19identity_decomposerEEEEE10hipError_tT0_T1_T2_jT3_P12ihipStream_tbPNSt15iterator_traitsISE_E10value_typeEPNSK_ISF_E10value_typeEPSG_NS1_7vsmem_tEENKUlT_SE_SF_SG_E_clIS8_S8_S9_S9_EESD_ST_SE_SF_SG_EUlST_E1_NS1_11comp_targetILNS1_3genE5ELNS1_11target_archE942ELNS1_3gpuE9ELNS1_3repE0EEENS1_36merge_oddeven_config_static_selectorELNS0_4arch9wavefront6targetE0EEEvSF_.numbered_sgpr, 0
	.set _ZN7rocprim17ROCPRIM_400000_NS6detail17trampoline_kernelINS0_14default_configENS1_38merge_sort_block_merge_config_selectorImNS0_10empty_typeEEEZZNS1_27merge_sort_block_merge_implIS3_PmPS5_jNS1_19radix_merge_compareILb1ELb1EmNS0_19identity_decomposerEEEEE10hipError_tT0_T1_T2_jT3_P12ihipStream_tbPNSt15iterator_traitsISE_E10value_typeEPNSK_ISF_E10value_typeEPSG_NS1_7vsmem_tEENKUlT_SE_SF_SG_E_clIS8_S8_S9_S9_EESD_ST_SE_SF_SG_EUlST_E1_NS1_11comp_targetILNS1_3genE5ELNS1_11target_archE942ELNS1_3gpuE9ELNS1_3repE0EEENS1_36merge_oddeven_config_static_selectorELNS0_4arch9wavefront6targetE0EEEvSF_.num_named_barrier, 0
	.set _ZN7rocprim17ROCPRIM_400000_NS6detail17trampoline_kernelINS0_14default_configENS1_38merge_sort_block_merge_config_selectorImNS0_10empty_typeEEEZZNS1_27merge_sort_block_merge_implIS3_PmPS5_jNS1_19radix_merge_compareILb1ELb1EmNS0_19identity_decomposerEEEEE10hipError_tT0_T1_T2_jT3_P12ihipStream_tbPNSt15iterator_traitsISE_E10value_typeEPNSK_ISF_E10value_typeEPSG_NS1_7vsmem_tEENKUlT_SE_SF_SG_E_clIS8_S8_S9_S9_EESD_ST_SE_SF_SG_EUlST_E1_NS1_11comp_targetILNS1_3genE5ELNS1_11target_archE942ELNS1_3gpuE9ELNS1_3repE0EEENS1_36merge_oddeven_config_static_selectorELNS0_4arch9wavefront6targetE0EEEvSF_.private_seg_size, 0
	.set _ZN7rocprim17ROCPRIM_400000_NS6detail17trampoline_kernelINS0_14default_configENS1_38merge_sort_block_merge_config_selectorImNS0_10empty_typeEEEZZNS1_27merge_sort_block_merge_implIS3_PmPS5_jNS1_19radix_merge_compareILb1ELb1EmNS0_19identity_decomposerEEEEE10hipError_tT0_T1_T2_jT3_P12ihipStream_tbPNSt15iterator_traitsISE_E10value_typeEPNSK_ISF_E10value_typeEPSG_NS1_7vsmem_tEENKUlT_SE_SF_SG_E_clIS8_S8_S9_S9_EESD_ST_SE_SF_SG_EUlST_E1_NS1_11comp_targetILNS1_3genE5ELNS1_11target_archE942ELNS1_3gpuE9ELNS1_3repE0EEENS1_36merge_oddeven_config_static_selectorELNS0_4arch9wavefront6targetE0EEEvSF_.uses_vcc, 0
	.set _ZN7rocprim17ROCPRIM_400000_NS6detail17trampoline_kernelINS0_14default_configENS1_38merge_sort_block_merge_config_selectorImNS0_10empty_typeEEEZZNS1_27merge_sort_block_merge_implIS3_PmPS5_jNS1_19radix_merge_compareILb1ELb1EmNS0_19identity_decomposerEEEEE10hipError_tT0_T1_T2_jT3_P12ihipStream_tbPNSt15iterator_traitsISE_E10value_typeEPNSK_ISF_E10value_typeEPSG_NS1_7vsmem_tEENKUlT_SE_SF_SG_E_clIS8_S8_S9_S9_EESD_ST_SE_SF_SG_EUlST_E1_NS1_11comp_targetILNS1_3genE5ELNS1_11target_archE942ELNS1_3gpuE9ELNS1_3repE0EEENS1_36merge_oddeven_config_static_selectorELNS0_4arch9wavefront6targetE0EEEvSF_.uses_flat_scratch, 0
	.set _ZN7rocprim17ROCPRIM_400000_NS6detail17trampoline_kernelINS0_14default_configENS1_38merge_sort_block_merge_config_selectorImNS0_10empty_typeEEEZZNS1_27merge_sort_block_merge_implIS3_PmPS5_jNS1_19radix_merge_compareILb1ELb1EmNS0_19identity_decomposerEEEEE10hipError_tT0_T1_T2_jT3_P12ihipStream_tbPNSt15iterator_traitsISE_E10value_typeEPNSK_ISF_E10value_typeEPSG_NS1_7vsmem_tEENKUlT_SE_SF_SG_E_clIS8_S8_S9_S9_EESD_ST_SE_SF_SG_EUlST_E1_NS1_11comp_targetILNS1_3genE5ELNS1_11target_archE942ELNS1_3gpuE9ELNS1_3repE0EEENS1_36merge_oddeven_config_static_selectorELNS0_4arch9wavefront6targetE0EEEvSF_.has_dyn_sized_stack, 0
	.set _ZN7rocprim17ROCPRIM_400000_NS6detail17trampoline_kernelINS0_14default_configENS1_38merge_sort_block_merge_config_selectorImNS0_10empty_typeEEEZZNS1_27merge_sort_block_merge_implIS3_PmPS5_jNS1_19radix_merge_compareILb1ELb1EmNS0_19identity_decomposerEEEEE10hipError_tT0_T1_T2_jT3_P12ihipStream_tbPNSt15iterator_traitsISE_E10value_typeEPNSK_ISF_E10value_typeEPSG_NS1_7vsmem_tEENKUlT_SE_SF_SG_E_clIS8_S8_S9_S9_EESD_ST_SE_SF_SG_EUlST_E1_NS1_11comp_targetILNS1_3genE5ELNS1_11target_archE942ELNS1_3gpuE9ELNS1_3repE0EEENS1_36merge_oddeven_config_static_selectorELNS0_4arch9wavefront6targetE0EEEvSF_.has_recursion, 0
	.set _ZN7rocprim17ROCPRIM_400000_NS6detail17trampoline_kernelINS0_14default_configENS1_38merge_sort_block_merge_config_selectorImNS0_10empty_typeEEEZZNS1_27merge_sort_block_merge_implIS3_PmPS5_jNS1_19radix_merge_compareILb1ELb1EmNS0_19identity_decomposerEEEEE10hipError_tT0_T1_T2_jT3_P12ihipStream_tbPNSt15iterator_traitsISE_E10value_typeEPNSK_ISF_E10value_typeEPSG_NS1_7vsmem_tEENKUlT_SE_SF_SG_E_clIS8_S8_S9_S9_EESD_ST_SE_SF_SG_EUlST_E1_NS1_11comp_targetILNS1_3genE5ELNS1_11target_archE942ELNS1_3gpuE9ELNS1_3repE0EEENS1_36merge_oddeven_config_static_selectorELNS0_4arch9wavefront6targetE0EEEvSF_.has_indirect_call, 0
	.section	.AMDGPU.csdata,"",@progbits
; Kernel info:
; codeLenInByte = 0
; TotalNumSgprs: 0
; NumVgprs: 0
; ScratchSize: 0
; MemoryBound: 0
; FloatMode: 240
; IeeeMode: 1
; LDSByteSize: 0 bytes/workgroup (compile time only)
; SGPRBlocks: 0
; VGPRBlocks: 0
; NumSGPRsForWavesPerEU: 1
; NumVGPRsForWavesPerEU: 1
; NamedBarCnt: 0
; Occupancy: 16
; WaveLimiterHint : 0
; COMPUTE_PGM_RSRC2:SCRATCH_EN: 0
; COMPUTE_PGM_RSRC2:USER_SGPR: 2
; COMPUTE_PGM_RSRC2:TRAP_HANDLER: 0
; COMPUTE_PGM_RSRC2:TGID_X_EN: 1
; COMPUTE_PGM_RSRC2:TGID_Y_EN: 0
; COMPUTE_PGM_RSRC2:TGID_Z_EN: 0
; COMPUTE_PGM_RSRC2:TIDIG_COMP_CNT: 0
	.section	.text._ZN7rocprim17ROCPRIM_400000_NS6detail17trampoline_kernelINS0_14default_configENS1_38merge_sort_block_merge_config_selectorImNS0_10empty_typeEEEZZNS1_27merge_sort_block_merge_implIS3_PmPS5_jNS1_19radix_merge_compareILb1ELb1EmNS0_19identity_decomposerEEEEE10hipError_tT0_T1_T2_jT3_P12ihipStream_tbPNSt15iterator_traitsISE_E10value_typeEPNSK_ISF_E10value_typeEPSG_NS1_7vsmem_tEENKUlT_SE_SF_SG_E_clIS8_S8_S9_S9_EESD_ST_SE_SF_SG_EUlST_E1_NS1_11comp_targetILNS1_3genE4ELNS1_11target_archE910ELNS1_3gpuE8ELNS1_3repE0EEENS1_36merge_oddeven_config_static_selectorELNS0_4arch9wavefront6targetE0EEEvSF_,"axG",@progbits,_ZN7rocprim17ROCPRIM_400000_NS6detail17trampoline_kernelINS0_14default_configENS1_38merge_sort_block_merge_config_selectorImNS0_10empty_typeEEEZZNS1_27merge_sort_block_merge_implIS3_PmPS5_jNS1_19radix_merge_compareILb1ELb1EmNS0_19identity_decomposerEEEEE10hipError_tT0_T1_T2_jT3_P12ihipStream_tbPNSt15iterator_traitsISE_E10value_typeEPNSK_ISF_E10value_typeEPSG_NS1_7vsmem_tEENKUlT_SE_SF_SG_E_clIS8_S8_S9_S9_EESD_ST_SE_SF_SG_EUlST_E1_NS1_11comp_targetILNS1_3genE4ELNS1_11target_archE910ELNS1_3gpuE8ELNS1_3repE0EEENS1_36merge_oddeven_config_static_selectorELNS0_4arch9wavefront6targetE0EEEvSF_,comdat
	.protected	_ZN7rocprim17ROCPRIM_400000_NS6detail17trampoline_kernelINS0_14default_configENS1_38merge_sort_block_merge_config_selectorImNS0_10empty_typeEEEZZNS1_27merge_sort_block_merge_implIS3_PmPS5_jNS1_19radix_merge_compareILb1ELb1EmNS0_19identity_decomposerEEEEE10hipError_tT0_T1_T2_jT3_P12ihipStream_tbPNSt15iterator_traitsISE_E10value_typeEPNSK_ISF_E10value_typeEPSG_NS1_7vsmem_tEENKUlT_SE_SF_SG_E_clIS8_S8_S9_S9_EESD_ST_SE_SF_SG_EUlST_E1_NS1_11comp_targetILNS1_3genE4ELNS1_11target_archE910ELNS1_3gpuE8ELNS1_3repE0EEENS1_36merge_oddeven_config_static_selectorELNS0_4arch9wavefront6targetE0EEEvSF_ ; -- Begin function _ZN7rocprim17ROCPRIM_400000_NS6detail17trampoline_kernelINS0_14default_configENS1_38merge_sort_block_merge_config_selectorImNS0_10empty_typeEEEZZNS1_27merge_sort_block_merge_implIS3_PmPS5_jNS1_19radix_merge_compareILb1ELb1EmNS0_19identity_decomposerEEEEE10hipError_tT0_T1_T2_jT3_P12ihipStream_tbPNSt15iterator_traitsISE_E10value_typeEPNSK_ISF_E10value_typeEPSG_NS1_7vsmem_tEENKUlT_SE_SF_SG_E_clIS8_S8_S9_S9_EESD_ST_SE_SF_SG_EUlST_E1_NS1_11comp_targetILNS1_3genE4ELNS1_11target_archE910ELNS1_3gpuE8ELNS1_3repE0EEENS1_36merge_oddeven_config_static_selectorELNS0_4arch9wavefront6targetE0EEEvSF_
	.globl	_ZN7rocprim17ROCPRIM_400000_NS6detail17trampoline_kernelINS0_14default_configENS1_38merge_sort_block_merge_config_selectorImNS0_10empty_typeEEEZZNS1_27merge_sort_block_merge_implIS3_PmPS5_jNS1_19radix_merge_compareILb1ELb1EmNS0_19identity_decomposerEEEEE10hipError_tT0_T1_T2_jT3_P12ihipStream_tbPNSt15iterator_traitsISE_E10value_typeEPNSK_ISF_E10value_typeEPSG_NS1_7vsmem_tEENKUlT_SE_SF_SG_E_clIS8_S8_S9_S9_EESD_ST_SE_SF_SG_EUlST_E1_NS1_11comp_targetILNS1_3genE4ELNS1_11target_archE910ELNS1_3gpuE8ELNS1_3repE0EEENS1_36merge_oddeven_config_static_selectorELNS0_4arch9wavefront6targetE0EEEvSF_
	.p2align	8
	.type	_ZN7rocprim17ROCPRIM_400000_NS6detail17trampoline_kernelINS0_14default_configENS1_38merge_sort_block_merge_config_selectorImNS0_10empty_typeEEEZZNS1_27merge_sort_block_merge_implIS3_PmPS5_jNS1_19radix_merge_compareILb1ELb1EmNS0_19identity_decomposerEEEEE10hipError_tT0_T1_T2_jT3_P12ihipStream_tbPNSt15iterator_traitsISE_E10value_typeEPNSK_ISF_E10value_typeEPSG_NS1_7vsmem_tEENKUlT_SE_SF_SG_E_clIS8_S8_S9_S9_EESD_ST_SE_SF_SG_EUlST_E1_NS1_11comp_targetILNS1_3genE4ELNS1_11target_archE910ELNS1_3gpuE8ELNS1_3repE0EEENS1_36merge_oddeven_config_static_selectorELNS0_4arch9wavefront6targetE0EEEvSF_,@function
_ZN7rocprim17ROCPRIM_400000_NS6detail17trampoline_kernelINS0_14default_configENS1_38merge_sort_block_merge_config_selectorImNS0_10empty_typeEEEZZNS1_27merge_sort_block_merge_implIS3_PmPS5_jNS1_19radix_merge_compareILb1ELb1EmNS0_19identity_decomposerEEEEE10hipError_tT0_T1_T2_jT3_P12ihipStream_tbPNSt15iterator_traitsISE_E10value_typeEPNSK_ISF_E10value_typeEPSG_NS1_7vsmem_tEENKUlT_SE_SF_SG_E_clIS8_S8_S9_S9_EESD_ST_SE_SF_SG_EUlST_E1_NS1_11comp_targetILNS1_3genE4ELNS1_11target_archE910ELNS1_3gpuE8ELNS1_3repE0EEENS1_36merge_oddeven_config_static_selectorELNS0_4arch9wavefront6targetE0EEEvSF_: ; @_ZN7rocprim17ROCPRIM_400000_NS6detail17trampoline_kernelINS0_14default_configENS1_38merge_sort_block_merge_config_selectorImNS0_10empty_typeEEEZZNS1_27merge_sort_block_merge_implIS3_PmPS5_jNS1_19radix_merge_compareILb1ELb1EmNS0_19identity_decomposerEEEEE10hipError_tT0_T1_T2_jT3_P12ihipStream_tbPNSt15iterator_traitsISE_E10value_typeEPNSK_ISF_E10value_typeEPSG_NS1_7vsmem_tEENKUlT_SE_SF_SG_E_clIS8_S8_S9_S9_EESD_ST_SE_SF_SG_EUlST_E1_NS1_11comp_targetILNS1_3genE4ELNS1_11target_archE910ELNS1_3gpuE8ELNS1_3repE0EEENS1_36merge_oddeven_config_static_selectorELNS0_4arch9wavefront6targetE0EEEvSF_
; %bb.0:
	.section	.rodata,"a",@progbits
	.p2align	6, 0x0
	.amdhsa_kernel _ZN7rocprim17ROCPRIM_400000_NS6detail17trampoline_kernelINS0_14default_configENS1_38merge_sort_block_merge_config_selectorImNS0_10empty_typeEEEZZNS1_27merge_sort_block_merge_implIS3_PmPS5_jNS1_19radix_merge_compareILb1ELb1EmNS0_19identity_decomposerEEEEE10hipError_tT0_T1_T2_jT3_P12ihipStream_tbPNSt15iterator_traitsISE_E10value_typeEPNSK_ISF_E10value_typeEPSG_NS1_7vsmem_tEENKUlT_SE_SF_SG_E_clIS8_S8_S9_S9_EESD_ST_SE_SF_SG_EUlST_E1_NS1_11comp_targetILNS1_3genE4ELNS1_11target_archE910ELNS1_3gpuE8ELNS1_3repE0EEENS1_36merge_oddeven_config_static_selectorELNS0_4arch9wavefront6targetE0EEEvSF_
		.amdhsa_group_segment_fixed_size 0
		.amdhsa_private_segment_fixed_size 0
		.amdhsa_kernarg_size 48
		.amdhsa_user_sgpr_count 2
		.amdhsa_user_sgpr_dispatch_ptr 0
		.amdhsa_user_sgpr_queue_ptr 0
		.amdhsa_user_sgpr_kernarg_segment_ptr 1
		.amdhsa_user_sgpr_dispatch_id 0
		.amdhsa_user_sgpr_kernarg_preload_length 0
		.amdhsa_user_sgpr_kernarg_preload_offset 0
		.amdhsa_user_sgpr_private_segment_size 0
		.amdhsa_wavefront_size32 1
		.amdhsa_uses_dynamic_stack 0
		.amdhsa_enable_private_segment 0
		.amdhsa_system_sgpr_workgroup_id_x 1
		.amdhsa_system_sgpr_workgroup_id_y 0
		.amdhsa_system_sgpr_workgroup_id_z 0
		.amdhsa_system_sgpr_workgroup_info 0
		.amdhsa_system_vgpr_workitem_id 0
		.amdhsa_next_free_vgpr 1
		.amdhsa_next_free_sgpr 1
		.amdhsa_named_barrier_count 0
		.amdhsa_reserve_vcc 0
		.amdhsa_float_round_mode_32 0
		.amdhsa_float_round_mode_16_64 0
		.amdhsa_float_denorm_mode_32 3
		.amdhsa_float_denorm_mode_16_64 3
		.amdhsa_fp16_overflow 0
		.amdhsa_memory_ordered 1
		.amdhsa_forward_progress 1
		.amdhsa_inst_pref_size 0
		.amdhsa_round_robin_scheduling 0
		.amdhsa_exception_fp_ieee_invalid_op 0
		.amdhsa_exception_fp_denorm_src 0
		.amdhsa_exception_fp_ieee_div_zero 0
		.amdhsa_exception_fp_ieee_overflow 0
		.amdhsa_exception_fp_ieee_underflow 0
		.amdhsa_exception_fp_ieee_inexact 0
		.amdhsa_exception_int_div_zero 0
	.end_amdhsa_kernel
	.section	.text._ZN7rocprim17ROCPRIM_400000_NS6detail17trampoline_kernelINS0_14default_configENS1_38merge_sort_block_merge_config_selectorImNS0_10empty_typeEEEZZNS1_27merge_sort_block_merge_implIS3_PmPS5_jNS1_19radix_merge_compareILb1ELb1EmNS0_19identity_decomposerEEEEE10hipError_tT0_T1_T2_jT3_P12ihipStream_tbPNSt15iterator_traitsISE_E10value_typeEPNSK_ISF_E10value_typeEPSG_NS1_7vsmem_tEENKUlT_SE_SF_SG_E_clIS8_S8_S9_S9_EESD_ST_SE_SF_SG_EUlST_E1_NS1_11comp_targetILNS1_3genE4ELNS1_11target_archE910ELNS1_3gpuE8ELNS1_3repE0EEENS1_36merge_oddeven_config_static_selectorELNS0_4arch9wavefront6targetE0EEEvSF_,"axG",@progbits,_ZN7rocprim17ROCPRIM_400000_NS6detail17trampoline_kernelINS0_14default_configENS1_38merge_sort_block_merge_config_selectorImNS0_10empty_typeEEEZZNS1_27merge_sort_block_merge_implIS3_PmPS5_jNS1_19radix_merge_compareILb1ELb1EmNS0_19identity_decomposerEEEEE10hipError_tT0_T1_T2_jT3_P12ihipStream_tbPNSt15iterator_traitsISE_E10value_typeEPNSK_ISF_E10value_typeEPSG_NS1_7vsmem_tEENKUlT_SE_SF_SG_E_clIS8_S8_S9_S9_EESD_ST_SE_SF_SG_EUlST_E1_NS1_11comp_targetILNS1_3genE4ELNS1_11target_archE910ELNS1_3gpuE8ELNS1_3repE0EEENS1_36merge_oddeven_config_static_selectorELNS0_4arch9wavefront6targetE0EEEvSF_,comdat
.Lfunc_end2849:
	.size	_ZN7rocprim17ROCPRIM_400000_NS6detail17trampoline_kernelINS0_14default_configENS1_38merge_sort_block_merge_config_selectorImNS0_10empty_typeEEEZZNS1_27merge_sort_block_merge_implIS3_PmPS5_jNS1_19radix_merge_compareILb1ELb1EmNS0_19identity_decomposerEEEEE10hipError_tT0_T1_T2_jT3_P12ihipStream_tbPNSt15iterator_traitsISE_E10value_typeEPNSK_ISF_E10value_typeEPSG_NS1_7vsmem_tEENKUlT_SE_SF_SG_E_clIS8_S8_S9_S9_EESD_ST_SE_SF_SG_EUlST_E1_NS1_11comp_targetILNS1_3genE4ELNS1_11target_archE910ELNS1_3gpuE8ELNS1_3repE0EEENS1_36merge_oddeven_config_static_selectorELNS0_4arch9wavefront6targetE0EEEvSF_, .Lfunc_end2849-_ZN7rocprim17ROCPRIM_400000_NS6detail17trampoline_kernelINS0_14default_configENS1_38merge_sort_block_merge_config_selectorImNS0_10empty_typeEEEZZNS1_27merge_sort_block_merge_implIS3_PmPS5_jNS1_19radix_merge_compareILb1ELb1EmNS0_19identity_decomposerEEEEE10hipError_tT0_T1_T2_jT3_P12ihipStream_tbPNSt15iterator_traitsISE_E10value_typeEPNSK_ISF_E10value_typeEPSG_NS1_7vsmem_tEENKUlT_SE_SF_SG_E_clIS8_S8_S9_S9_EESD_ST_SE_SF_SG_EUlST_E1_NS1_11comp_targetILNS1_3genE4ELNS1_11target_archE910ELNS1_3gpuE8ELNS1_3repE0EEENS1_36merge_oddeven_config_static_selectorELNS0_4arch9wavefront6targetE0EEEvSF_
                                        ; -- End function
	.set _ZN7rocprim17ROCPRIM_400000_NS6detail17trampoline_kernelINS0_14default_configENS1_38merge_sort_block_merge_config_selectorImNS0_10empty_typeEEEZZNS1_27merge_sort_block_merge_implIS3_PmPS5_jNS1_19radix_merge_compareILb1ELb1EmNS0_19identity_decomposerEEEEE10hipError_tT0_T1_T2_jT3_P12ihipStream_tbPNSt15iterator_traitsISE_E10value_typeEPNSK_ISF_E10value_typeEPSG_NS1_7vsmem_tEENKUlT_SE_SF_SG_E_clIS8_S8_S9_S9_EESD_ST_SE_SF_SG_EUlST_E1_NS1_11comp_targetILNS1_3genE4ELNS1_11target_archE910ELNS1_3gpuE8ELNS1_3repE0EEENS1_36merge_oddeven_config_static_selectorELNS0_4arch9wavefront6targetE0EEEvSF_.num_vgpr, 0
	.set _ZN7rocprim17ROCPRIM_400000_NS6detail17trampoline_kernelINS0_14default_configENS1_38merge_sort_block_merge_config_selectorImNS0_10empty_typeEEEZZNS1_27merge_sort_block_merge_implIS3_PmPS5_jNS1_19radix_merge_compareILb1ELb1EmNS0_19identity_decomposerEEEEE10hipError_tT0_T1_T2_jT3_P12ihipStream_tbPNSt15iterator_traitsISE_E10value_typeEPNSK_ISF_E10value_typeEPSG_NS1_7vsmem_tEENKUlT_SE_SF_SG_E_clIS8_S8_S9_S9_EESD_ST_SE_SF_SG_EUlST_E1_NS1_11comp_targetILNS1_3genE4ELNS1_11target_archE910ELNS1_3gpuE8ELNS1_3repE0EEENS1_36merge_oddeven_config_static_selectorELNS0_4arch9wavefront6targetE0EEEvSF_.num_agpr, 0
	.set _ZN7rocprim17ROCPRIM_400000_NS6detail17trampoline_kernelINS0_14default_configENS1_38merge_sort_block_merge_config_selectorImNS0_10empty_typeEEEZZNS1_27merge_sort_block_merge_implIS3_PmPS5_jNS1_19radix_merge_compareILb1ELb1EmNS0_19identity_decomposerEEEEE10hipError_tT0_T1_T2_jT3_P12ihipStream_tbPNSt15iterator_traitsISE_E10value_typeEPNSK_ISF_E10value_typeEPSG_NS1_7vsmem_tEENKUlT_SE_SF_SG_E_clIS8_S8_S9_S9_EESD_ST_SE_SF_SG_EUlST_E1_NS1_11comp_targetILNS1_3genE4ELNS1_11target_archE910ELNS1_3gpuE8ELNS1_3repE0EEENS1_36merge_oddeven_config_static_selectorELNS0_4arch9wavefront6targetE0EEEvSF_.numbered_sgpr, 0
	.set _ZN7rocprim17ROCPRIM_400000_NS6detail17trampoline_kernelINS0_14default_configENS1_38merge_sort_block_merge_config_selectorImNS0_10empty_typeEEEZZNS1_27merge_sort_block_merge_implIS3_PmPS5_jNS1_19radix_merge_compareILb1ELb1EmNS0_19identity_decomposerEEEEE10hipError_tT0_T1_T2_jT3_P12ihipStream_tbPNSt15iterator_traitsISE_E10value_typeEPNSK_ISF_E10value_typeEPSG_NS1_7vsmem_tEENKUlT_SE_SF_SG_E_clIS8_S8_S9_S9_EESD_ST_SE_SF_SG_EUlST_E1_NS1_11comp_targetILNS1_3genE4ELNS1_11target_archE910ELNS1_3gpuE8ELNS1_3repE0EEENS1_36merge_oddeven_config_static_selectorELNS0_4arch9wavefront6targetE0EEEvSF_.num_named_barrier, 0
	.set _ZN7rocprim17ROCPRIM_400000_NS6detail17trampoline_kernelINS0_14default_configENS1_38merge_sort_block_merge_config_selectorImNS0_10empty_typeEEEZZNS1_27merge_sort_block_merge_implIS3_PmPS5_jNS1_19radix_merge_compareILb1ELb1EmNS0_19identity_decomposerEEEEE10hipError_tT0_T1_T2_jT3_P12ihipStream_tbPNSt15iterator_traitsISE_E10value_typeEPNSK_ISF_E10value_typeEPSG_NS1_7vsmem_tEENKUlT_SE_SF_SG_E_clIS8_S8_S9_S9_EESD_ST_SE_SF_SG_EUlST_E1_NS1_11comp_targetILNS1_3genE4ELNS1_11target_archE910ELNS1_3gpuE8ELNS1_3repE0EEENS1_36merge_oddeven_config_static_selectorELNS0_4arch9wavefront6targetE0EEEvSF_.private_seg_size, 0
	.set _ZN7rocprim17ROCPRIM_400000_NS6detail17trampoline_kernelINS0_14default_configENS1_38merge_sort_block_merge_config_selectorImNS0_10empty_typeEEEZZNS1_27merge_sort_block_merge_implIS3_PmPS5_jNS1_19radix_merge_compareILb1ELb1EmNS0_19identity_decomposerEEEEE10hipError_tT0_T1_T2_jT3_P12ihipStream_tbPNSt15iterator_traitsISE_E10value_typeEPNSK_ISF_E10value_typeEPSG_NS1_7vsmem_tEENKUlT_SE_SF_SG_E_clIS8_S8_S9_S9_EESD_ST_SE_SF_SG_EUlST_E1_NS1_11comp_targetILNS1_3genE4ELNS1_11target_archE910ELNS1_3gpuE8ELNS1_3repE0EEENS1_36merge_oddeven_config_static_selectorELNS0_4arch9wavefront6targetE0EEEvSF_.uses_vcc, 0
	.set _ZN7rocprim17ROCPRIM_400000_NS6detail17trampoline_kernelINS0_14default_configENS1_38merge_sort_block_merge_config_selectorImNS0_10empty_typeEEEZZNS1_27merge_sort_block_merge_implIS3_PmPS5_jNS1_19radix_merge_compareILb1ELb1EmNS0_19identity_decomposerEEEEE10hipError_tT0_T1_T2_jT3_P12ihipStream_tbPNSt15iterator_traitsISE_E10value_typeEPNSK_ISF_E10value_typeEPSG_NS1_7vsmem_tEENKUlT_SE_SF_SG_E_clIS8_S8_S9_S9_EESD_ST_SE_SF_SG_EUlST_E1_NS1_11comp_targetILNS1_3genE4ELNS1_11target_archE910ELNS1_3gpuE8ELNS1_3repE0EEENS1_36merge_oddeven_config_static_selectorELNS0_4arch9wavefront6targetE0EEEvSF_.uses_flat_scratch, 0
	.set _ZN7rocprim17ROCPRIM_400000_NS6detail17trampoline_kernelINS0_14default_configENS1_38merge_sort_block_merge_config_selectorImNS0_10empty_typeEEEZZNS1_27merge_sort_block_merge_implIS3_PmPS5_jNS1_19radix_merge_compareILb1ELb1EmNS0_19identity_decomposerEEEEE10hipError_tT0_T1_T2_jT3_P12ihipStream_tbPNSt15iterator_traitsISE_E10value_typeEPNSK_ISF_E10value_typeEPSG_NS1_7vsmem_tEENKUlT_SE_SF_SG_E_clIS8_S8_S9_S9_EESD_ST_SE_SF_SG_EUlST_E1_NS1_11comp_targetILNS1_3genE4ELNS1_11target_archE910ELNS1_3gpuE8ELNS1_3repE0EEENS1_36merge_oddeven_config_static_selectorELNS0_4arch9wavefront6targetE0EEEvSF_.has_dyn_sized_stack, 0
	.set _ZN7rocprim17ROCPRIM_400000_NS6detail17trampoline_kernelINS0_14default_configENS1_38merge_sort_block_merge_config_selectorImNS0_10empty_typeEEEZZNS1_27merge_sort_block_merge_implIS3_PmPS5_jNS1_19radix_merge_compareILb1ELb1EmNS0_19identity_decomposerEEEEE10hipError_tT0_T1_T2_jT3_P12ihipStream_tbPNSt15iterator_traitsISE_E10value_typeEPNSK_ISF_E10value_typeEPSG_NS1_7vsmem_tEENKUlT_SE_SF_SG_E_clIS8_S8_S9_S9_EESD_ST_SE_SF_SG_EUlST_E1_NS1_11comp_targetILNS1_3genE4ELNS1_11target_archE910ELNS1_3gpuE8ELNS1_3repE0EEENS1_36merge_oddeven_config_static_selectorELNS0_4arch9wavefront6targetE0EEEvSF_.has_recursion, 0
	.set _ZN7rocprim17ROCPRIM_400000_NS6detail17trampoline_kernelINS0_14default_configENS1_38merge_sort_block_merge_config_selectorImNS0_10empty_typeEEEZZNS1_27merge_sort_block_merge_implIS3_PmPS5_jNS1_19radix_merge_compareILb1ELb1EmNS0_19identity_decomposerEEEEE10hipError_tT0_T1_T2_jT3_P12ihipStream_tbPNSt15iterator_traitsISE_E10value_typeEPNSK_ISF_E10value_typeEPSG_NS1_7vsmem_tEENKUlT_SE_SF_SG_E_clIS8_S8_S9_S9_EESD_ST_SE_SF_SG_EUlST_E1_NS1_11comp_targetILNS1_3genE4ELNS1_11target_archE910ELNS1_3gpuE8ELNS1_3repE0EEENS1_36merge_oddeven_config_static_selectorELNS0_4arch9wavefront6targetE0EEEvSF_.has_indirect_call, 0
	.section	.AMDGPU.csdata,"",@progbits
; Kernel info:
; codeLenInByte = 0
; TotalNumSgprs: 0
; NumVgprs: 0
; ScratchSize: 0
; MemoryBound: 0
; FloatMode: 240
; IeeeMode: 1
; LDSByteSize: 0 bytes/workgroup (compile time only)
; SGPRBlocks: 0
; VGPRBlocks: 0
; NumSGPRsForWavesPerEU: 1
; NumVGPRsForWavesPerEU: 1
; NamedBarCnt: 0
; Occupancy: 16
; WaveLimiterHint : 0
; COMPUTE_PGM_RSRC2:SCRATCH_EN: 0
; COMPUTE_PGM_RSRC2:USER_SGPR: 2
; COMPUTE_PGM_RSRC2:TRAP_HANDLER: 0
; COMPUTE_PGM_RSRC2:TGID_X_EN: 1
; COMPUTE_PGM_RSRC2:TGID_Y_EN: 0
; COMPUTE_PGM_RSRC2:TGID_Z_EN: 0
; COMPUTE_PGM_RSRC2:TIDIG_COMP_CNT: 0
	.section	.text._ZN7rocprim17ROCPRIM_400000_NS6detail17trampoline_kernelINS0_14default_configENS1_38merge_sort_block_merge_config_selectorImNS0_10empty_typeEEEZZNS1_27merge_sort_block_merge_implIS3_PmPS5_jNS1_19radix_merge_compareILb1ELb1EmNS0_19identity_decomposerEEEEE10hipError_tT0_T1_T2_jT3_P12ihipStream_tbPNSt15iterator_traitsISE_E10value_typeEPNSK_ISF_E10value_typeEPSG_NS1_7vsmem_tEENKUlT_SE_SF_SG_E_clIS8_S8_S9_S9_EESD_ST_SE_SF_SG_EUlST_E1_NS1_11comp_targetILNS1_3genE3ELNS1_11target_archE908ELNS1_3gpuE7ELNS1_3repE0EEENS1_36merge_oddeven_config_static_selectorELNS0_4arch9wavefront6targetE0EEEvSF_,"axG",@progbits,_ZN7rocprim17ROCPRIM_400000_NS6detail17trampoline_kernelINS0_14default_configENS1_38merge_sort_block_merge_config_selectorImNS0_10empty_typeEEEZZNS1_27merge_sort_block_merge_implIS3_PmPS5_jNS1_19radix_merge_compareILb1ELb1EmNS0_19identity_decomposerEEEEE10hipError_tT0_T1_T2_jT3_P12ihipStream_tbPNSt15iterator_traitsISE_E10value_typeEPNSK_ISF_E10value_typeEPSG_NS1_7vsmem_tEENKUlT_SE_SF_SG_E_clIS8_S8_S9_S9_EESD_ST_SE_SF_SG_EUlST_E1_NS1_11comp_targetILNS1_3genE3ELNS1_11target_archE908ELNS1_3gpuE7ELNS1_3repE0EEENS1_36merge_oddeven_config_static_selectorELNS0_4arch9wavefront6targetE0EEEvSF_,comdat
	.protected	_ZN7rocprim17ROCPRIM_400000_NS6detail17trampoline_kernelINS0_14default_configENS1_38merge_sort_block_merge_config_selectorImNS0_10empty_typeEEEZZNS1_27merge_sort_block_merge_implIS3_PmPS5_jNS1_19radix_merge_compareILb1ELb1EmNS0_19identity_decomposerEEEEE10hipError_tT0_T1_T2_jT3_P12ihipStream_tbPNSt15iterator_traitsISE_E10value_typeEPNSK_ISF_E10value_typeEPSG_NS1_7vsmem_tEENKUlT_SE_SF_SG_E_clIS8_S8_S9_S9_EESD_ST_SE_SF_SG_EUlST_E1_NS1_11comp_targetILNS1_3genE3ELNS1_11target_archE908ELNS1_3gpuE7ELNS1_3repE0EEENS1_36merge_oddeven_config_static_selectorELNS0_4arch9wavefront6targetE0EEEvSF_ ; -- Begin function _ZN7rocprim17ROCPRIM_400000_NS6detail17trampoline_kernelINS0_14default_configENS1_38merge_sort_block_merge_config_selectorImNS0_10empty_typeEEEZZNS1_27merge_sort_block_merge_implIS3_PmPS5_jNS1_19radix_merge_compareILb1ELb1EmNS0_19identity_decomposerEEEEE10hipError_tT0_T1_T2_jT3_P12ihipStream_tbPNSt15iterator_traitsISE_E10value_typeEPNSK_ISF_E10value_typeEPSG_NS1_7vsmem_tEENKUlT_SE_SF_SG_E_clIS8_S8_S9_S9_EESD_ST_SE_SF_SG_EUlST_E1_NS1_11comp_targetILNS1_3genE3ELNS1_11target_archE908ELNS1_3gpuE7ELNS1_3repE0EEENS1_36merge_oddeven_config_static_selectorELNS0_4arch9wavefront6targetE0EEEvSF_
	.globl	_ZN7rocprim17ROCPRIM_400000_NS6detail17trampoline_kernelINS0_14default_configENS1_38merge_sort_block_merge_config_selectorImNS0_10empty_typeEEEZZNS1_27merge_sort_block_merge_implIS3_PmPS5_jNS1_19radix_merge_compareILb1ELb1EmNS0_19identity_decomposerEEEEE10hipError_tT0_T1_T2_jT3_P12ihipStream_tbPNSt15iterator_traitsISE_E10value_typeEPNSK_ISF_E10value_typeEPSG_NS1_7vsmem_tEENKUlT_SE_SF_SG_E_clIS8_S8_S9_S9_EESD_ST_SE_SF_SG_EUlST_E1_NS1_11comp_targetILNS1_3genE3ELNS1_11target_archE908ELNS1_3gpuE7ELNS1_3repE0EEENS1_36merge_oddeven_config_static_selectorELNS0_4arch9wavefront6targetE0EEEvSF_
	.p2align	8
	.type	_ZN7rocprim17ROCPRIM_400000_NS6detail17trampoline_kernelINS0_14default_configENS1_38merge_sort_block_merge_config_selectorImNS0_10empty_typeEEEZZNS1_27merge_sort_block_merge_implIS3_PmPS5_jNS1_19radix_merge_compareILb1ELb1EmNS0_19identity_decomposerEEEEE10hipError_tT0_T1_T2_jT3_P12ihipStream_tbPNSt15iterator_traitsISE_E10value_typeEPNSK_ISF_E10value_typeEPSG_NS1_7vsmem_tEENKUlT_SE_SF_SG_E_clIS8_S8_S9_S9_EESD_ST_SE_SF_SG_EUlST_E1_NS1_11comp_targetILNS1_3genE3ELNS1_11target_archE908ELNS1_3gpuE7ELNS1_3repE0EEENS1_36merge_oddeven_config_static_selectorELNS0_4arch9wavefront6targetE0EEEvSF_,@function
_ZN7rocprim17ROCPRIM_400000_NS6detail17trampoline_kernelINS0_14default_configENS1_38merge_sort_block_merge_config_selectorImNS0_10empty_typeEEEZZNS1_27merge_sort_block_merge_implIS3_PmPS5_jNS1_19radix_merge_compareILb1ELb1EmNS0_19identity_decomposerEEEEE10hipError_tT0_T1_T2_jT3_P12ihipStream_tbPNSt15iterator_traitsISE_E10value_typeEPNSK_ISF_E10value_typeEPSG_NS1_7vsmem_tEENKUlT_SE_SF_SG_E_clIS8_S8_S9_S9_EESD_ST_SE_SF_SG_EUlST_E1_NS1_11comp_targetILNS1_3genE3ELNS1_11target_archE908ELNS1_3gpuE7ELNS1_3repE0EEENS1_36merge_oddeven_config_static_selectorELNS0_4arch9wavefront6targetE0EEEvSF_: ; @_ZN7rocprim17ROCPRIM_400000_NS6detail17trampoline_kernelINS0_14default_configENS1_38merge_sort_block_merge_config_selectorImNS0_10empty_typeEEEZZNS1_27merge_sort_block_merge_implIS3_PmPS5_jNS1_19radix_merge_compareILb1ELb1EmNS0_19identity_decomposerEEEEE10hipError_tT0_T1_T2_jT3_P12ihipStream_tbPNSt15iterator_traitsISE_E10value_typeEPNSK_ISF_E10value_typeEPSG_NS1_7vsmem_tEENKUlT_SE_SF_SG_E_clIS8_S8_S9_S9_EESD_ST_SE_SF_SG_EUlST_E1_NS1_11comp_targetILNS1_3genE3ELNS1_11target_archE908ELNS1_3gpuE7ELNS1_3repE0EEENS1_36merge_oddeven_config_static_selectorELNS0_4arch9wavefront6targetE0EEEvSF_
; %bb.0:
	.section	.rodata,"a",@progbits
	.p2align	6, 0x0
	.amdhsa_kernel _ZN7rocprim17ROCPRIM_400000_NS6detail17trampoline_kernelINS0_14default_configENS1_38merge_sort_block_merge_config_selectorImNS0_10empty_typeEEEZZNS1_27merge_sort_block_merge_implIS3_PmPS5_jNS1_19radix_merge_compareILb1ELb1EmNS0_19identity_decomposerEEEEE10hipError_tT0_T1_T2_jT3_P12ihipStream_tbPNSt15iterator_traitsISE_E10value_typeEPNSK_ISF_E10value_typeEPSG_NS1_7vsmem_tEENKUlT_SE_SF_SG_E_clIS8_S8_S9_S9_EESD_ST_SE_SF_SG_EUlST_E1_NS1_11comp_targetILNS1_3genE3ELNS1_11target_archE908ELNS1_3gpuE7ELNS1_3repE0EEENS1_36merge_oddeven_config_static_selectorELNS0_4arch9wavefront6targetE0EEEvSF_
		.amdhsa_group_segment_fixed_size 0
		.amdhsa_private_segment_fixed_size 0
		.amdhsa_kernarg_size 48
		.amdhsa_user_sgpr_count 2
		.amdhsa_user_sgpr_dispatch_ptr 0
		.amdhsa_user_sgpr_queue_ptr 0
		.amdhsa_user_sgpr_kernarg_segment_ptr 1
		.amdhsa_user_sgpr_dispatch_id 0
		.amdhsa_user_sgpr_kernarg_preload_length 0
		.amdhsa_user_sgpr_kernarg_preload_offset 0
		.amdhsa_user_sgpr_private_segment_size 0
		.amdhsa_wavefront_size32 1
		.amdhsa_uses_dynamic_stack 0
		.amdhsa_enable_private_segment 0
		.amdhsa_system_sgpr_workgroup_id_x 1
		.amdhsa_system_sgpr_workgroup_id_y 0
		.amdhsa_system_sgpr_workgroup_id_z 0
		.amdhsa_system_sgpr_workgroup_info 0
		.amdhsa_system_vgpr_workitem_id 0
		.amdhsa_next_free_vgpr 1
		.amdhsa_next_free_sgpr 1
		.amdhsa_named_barrier_count 0
		.amdhsa_reserve_vcc 0
		.amdhsa_float_round_mode_32 0
		.amdhsa_float_round_mode_16_64 0
		.amdhsa_float_denorm_mode_32 3
		.amdhsa_float_denorm_mode_16_64 3
		.amdhsa_fp16_overflow 0
		.amdhsa_memory_ordered 1
		.amdhsa_forward_progress 1
		.amdhsa_inst_pref_size 0
		.amdhsa_round_robin_scheduling 0
		.amdhsa_exception_fp_ieee_invalid_op 0
		.amdhsa_exception_fp_denorm_src 0
		.amdhsa_exception_fp_ieee_div_zero 0
		.amdhsa_exception_fp_ieee_overflow 0
		.amdhsa_exception_fp_ieee_underflow 0
		.amdhsa_exception_fp_ieee_inexact 0
		.amdhsa_exception_int_div_zero 0
	.end_amdhsa_kernel
	.section	.text._ZN7rocprim17ROCPRIM_400000_NS6detail17trampoline_kernelINS0_14default_configENS1_38merge_sort_block_merge_config_selectorImNS0_10empty_typeEEEZZNS1_27merge_sort_block_merge_implIS3_PmPS5_jNS1_19radix_merge_compareILb1ELb1EmNS0_19identity_decomposerEEEEE10hipError_tT0_T1_T2_jT3_P12ihipStream_tbPNSt15iterator_traitsISE_E10value_typeEPNSK_ISF_E10value_typeEPSG_NS1_7vsmem_tEENKUlT_SE_SF_SG_E_clIS8_S8_S9_S9_EESD_ST_SE_SF_SG_EUlST_E1_NS1_11comp_targetILNS1_3genE3ELNS1_11target_archE908ELNS1_3gpuE7ELNS1_3repE0EEENS1_36merge_oddeven_config_static_selectorELNS0_4arch9wavefront6targetE0EEEvSF_,"axG",@progbits,_ZN7rocprim17ROCPRIM_400000_NS6detail17trampoline_kernelINS0_14default_configENS1_38merge_sort_block_merge_config_selectorImNS0_10empty_typeEEEZZNS1_27merge_sort_block_merge_implIS3_PmPS5_jNS1_19radix_merge_compareILb1ELb1EmNS0_19identity_decomposerEEEEE10hipError_tT0_T1_T2_jT3_P12ihipStream_tbPNSt15iterator_traitsISE_E10value_typeEPNSK_ISF_E10value_typeEPSG_NS1_7vsmem_tEENKUlT_SE_SF_SG_E_clIS8_S8_S9_S9_EESD_ST_SE_SF_SG_EUlST_E1_NS1_11comp_targetILNS1_3genE3ELNS1_11target_archE908ELNS1_3gpuE7ELNS1_3repE0EEENS1_36merge_oddeven_config_static_selectorELNS0_4arch9wavefront6targetE0EEEvSF_,comdat
.Lfunc_end2850:
	.size	_ZN7rocprim17ROCPRIM_400000_NS6detail17trampoline_kernelINS0_14default_configENS1_38merge_sort_block_merge_config_selectorImNS0_10empty_typeEEEZZNS1_27merge_sort_block_merge_implIS3_PmPS5_jNS1_19radix_merge_compareILb1ELb1EmNS0_19identity_decomposerEEEEE10hipError_tT0_T1_T2_jT3_P12ihipStream_tbPNSt15iterator_traitsISE_E10value_typeEPNSK_ISF_E10value_typeEPSG_NS1_7vsmem_tEENKUlT_SE_SF_SG_E_clIS8_S8_S9_S9_EESD_ST_SE_SF_SG_EUlST_E1_NS1_11comp_targetILNS1_3genE3ELNS1_11target_archE908ELNS1_3gpuE7ELNS1_3repE0EEENS1_36merge_oddeven_config_static_selectorELNS0_4arch9wavefront6targetE0EEEvSF_, .Lfunc_end2850-_ZN7rocprim17ROCPRIM_400000_NS6detail17trampoline_kernelINS0_14default_configENS1_38merge_sort_block_merge_config_selectorImNS0_10empty_typeEEEZZNS1_27merge_sort_block_merge_implIS3_PmPS5_jNS1_19radix_merge_compareILb1ELb1EmNS0_19identity_decomposerEEEEE10hipError_tT0_T1_T2_jT3_P12ihipStream_tbPNSt15iterator_traitsISE_E10value_typeEPNSK_ISF_E10value_typeEPSG_NS1_7vsmem_tEENKUlT_SE_SF_SG_E_clIS8_S8_S9_S9_EESD_ST_SE_SF_SG_EUlST_E1_NS1_11comp_targetILNS1_3genE3ELNS1_11target_archE908ELNS1_3gpuE7ELNS1_3repE0EEENS1_36merge_oddeven_config_static_selectorELNS0_4arch9wavefront6targetE0EEEvSF_
                                        ; -- End function
	.set _ZN7rocprim17ROCPRIM_400000_NS6detail17trampoline_kernelINS0_14default_configENS1_38merge_sort_block_merge_config_selectorImNS0_10empty_typeEEEZZNS1_27merge_sort_block_merge_implIS3_PmPS5_jNS1_19radix_merge_compareILb1ELb1EmNS0_19identity_decomposerEEEEE10hipError_tT0_T1_T2_jT3_P12ihipStream_tbPNSt15iterator_traitsISE_E10value_typeEPNSK_ISF_E10value_typeEPSG_NS1_7vsmem_tEENKUlT_SE_SF_SG_E_clIS8_S8_S9_S9_EESD_ST_SE_SF_SG_EUlST_E1_NS1_11comp_targetILNS1_3genE3ELNS1_11target_archE908ELNS1_3gpuE7ELNS1_3repE0EEENS1_36merge_oddeven_config_static_selectorELNS0_4arch9wavefront6targetE0EEEvSF_.num_vgpr, 0
	.set _ZN7rocprim17ROCPRIM_400000_NS6detail17trampoline_kernelINS0_14default_configENS1_38merge_sort_block_merge_config_selectorImNS0_10empty_typeEEEZZNS1_27merge_sort_block_merge_implIS3_PmPS5_jNS1_19radix_merge_compareILb1ELb1EmNS0_19identity_decomposerEEEEE10hipError_tT0_T1_T2_jT3_P12ihipStream_tbPNSt15iterator_traitsISE_E10value_typeEPNSK_ISF_E10value_typeEPSG_NS1_7vsmem_tEENKUlT_SE_SF_SG_E_clIS8_S8_S9_S9_EESD_ST_SE_SF_SG_EUlST_E1_NS1_11comp_targetILNS1_3genE3ELNS1_11target_archE908ELNS1_3gpuE7ELNS1_3repE0EEENS1_36merge_oddeven_config_static_selectorELNS0_4arch9wavefront6targetE0EEEvSF_.num_agpr, 0
	.set _ZN7rocprim17ROCPRIM_400000_NS6detail17trampoline_kernelINS0_14default_configENS1_38merge_sort_block_merge_config_selectorImNS0_10empty_typeEEEZZNS1_27merge_sort_block_merge_implIS3_PmPS5_jNS1_19radix_merge_compareILb1ELb1EmNS0_19identity_decomposerEEEEE10hipError_tT0_T1_T2_jT3_P12ihipStream_tbPNSt15iterator_traitsISE_E10value_typeEPNSK_ISF_E10value_typeEPSG_NS1_7vsmem_tEENKUlT_SE_SF_SG_E_clIS8_S8_S9_S9_EESD_ST_SE_SF_SG_EUlST_E1_NS1_11comp_targetILNS1_3genE3ELNS1_11target_archE908ELNS1_3gpuE7ELNS1_3repE0EEENS1_36merge_oddeven_config_static_selectorELNS0_4arch9wavefront6targetE0EEEvSF_.numbered_sgpr, 0
	.set _ZN7rocprim17ROCPRIM_400000_NS6detail17trampoline_kernelINS0_14default_configENS1_38merge_sort_block_merge_config_selectorImNS0_10empty_typeEEEZZNS1_27merge_sort_block_merge_implIS3_PmPS5_jNS1_19radix_merge_compareILb1ELb1EmNS0_19identity_decomposerEEEEE10hipError_tT0_T1_T2_jT3_P12ihipStream_tbPNSt15iterator_traitsISE_E10value_typeEPNSK_ISF_E10value_typeEPSG_NS1_7vsmem_tEENKUlT_SE_SF_SG_E_clIS8_S8_S9_S9_EESD_ST_SE_SF_SG_EUlST_E1_NS1_11comp_targetILNS1_3genE3ELNS1_11target_archE908ELNS1_3gpuE7ELNS1_3repE0EEENS1_36merge_oddeven_config_static_selectorELNS0_4arch9wavefront6targetE0EEEvSF_.num_named_barrier, 0
	.set _ZN7rocprim17ROCPRIM_400000_NS6detail17trampoline_kernelINS0_14default_configENS1_38merge_sort_block_merge_config_selectorImNS0_10empty_typeEEEZZNS1_27merge_sort_block_merge_implIS3_PmPS5_jNS1_19radix_merge_compareILb1ELb1EmNS0_19identity_decomposerEEEEE10hipError_tT0_T1_T2_jT3_P12ihipStream_tbPNSt15iterator_traitsISE_E10value_typeEPNSK_ISF_E10value_typeEPSG_NS1_7vsmem_tEENKUlT_SE_SF_SG_E_clIS8_S8_S9_S9_EESD_ST_SE_SF_SG_EUlST_E1_NS1_11comp_targetILNS1_3genE3ELNS1_11target_archE908ELNS1_3gpuE7ELNS1_3repE0EEENS1_36merge_oddeven_config_static_selectorELNS0_4arch9wavefront6targetE0EEEvSF_.private_seg_size, 0
	.set _ZN7rocprim17ROCPRIM_400000_NS6detail17trampoline_kernelINS0_14default_configENS1_38merge_sort_block_merge_config_selectorImNS0_10empty_typeEEEZZNS1_27merge_sort_block_merge_implIS3_PmPS5_jNS1_19radix_merge_compareILb1ELb1EmNS0_19identity_decomposerEEEEE10hipError_tT0_T1_T2_jT3_P12ihipStream_tbPNSt15iterator_traitsISE_E10value_typeEPNSK_ISF_E10value_typeEPSG_NS1_7vsmem_tEENKUlT_SE_SF_SG_E_clIS8_S8_S9_S9_EESD_ST_SE_SF_SG_EUlST_E1_NS1_11comp_targetILNS1_3genE3ELNS1_11target_archE908ELNS1_3gpuE7ELNS1_3repE0EEENS1_36merge_oddeven_config_static_selectorELNS0_4arch9wavefront6targetE0EEEvSF_.uses_vcc, 0
	.set _ZN7rocprim17ROCPRIM_400000_NS6detail17trampoline_kernelINS0_14default_configENS1_38merge_sort_block_merge_config_selectorImNS0_10empty_typeEEEZZNS1_27merge_sort_block_merge_implIS3_PmPS5_jNS1_19radix_merge_compareILb1ELb1EmNS0_19identity_decomposerEEEEE10hipError_tT0_T1_T2_jT3_P12ihipStream_tbPNSt15iterator_traitsISE_E10value_typeEPNSK_ISF_E10value_typeEPSG_NS1_7vsmem_tEENKUlT_SE_SF_SG_E_clIS8_S8_S9_S9_EESD_ST_SE_SF_SG_EUlST_E1_NS1_11comp_targetILNS1_3genE3ELNS1_11target_archE908ELNS1_3gpuE7ELNS1_3repE0EEENS1_36merge_oddeven_config_static_selectorELNS0_4arch9wavefront6targetE0EEEvSF_.uses_flat_scratch, 0
	.set _ZN7rocprim17ROCPRIM_400000_NS6detail17trampoline_kernelINS0_14default_configENS1_38merge_sort_block_merge_config_selectorImNS0_10empty_typeEEEZZNS1_27merge_sort_block_merge_implIS3_PmPS5_jNS1_19radix_merge_compareILb1ELb1EmNS0_19identity_decomposerEEEEE10hipError_tT0_T1_T2_jT3_P12ihipStream_tbPNSt15iterator_traitsISE_E10value_typeEPNSK_ISF_E10value_typeEPSG_NS1_7vsmem_tEENKUlT_SE_SF_SG_E_clIS8_S8_S9_S9_EESD_ST_SE_SF_SG_EUlST_E1_NS1_11comp_targetILNS1_3genE3ELNS1_11target_archE908ELNS1_3gpuE7ELNS1_3repE0EEENS1_36merge_oddeven_config_static_selectorELNS0_4arch9wavefront6targetE0EEEvSF_.has_dyn_sized_stack, 0
	.set _ZN7rocprim17ROCPRIM_400000_NS6detail17trampoline_kernelINS0_14default_configENS1_38merge_sort_block_merge_config_selectorImNS0_10empty_typeEEEZZNS1_27merge_sort_block_merge_implIS3_PmPS5_jNS1_19radix_merge_compareILb1ELb1EmNS0_19identity_decomposerEEEEE10hipError_tT0_T1_T2_jT3_P12ihipStream_tbPNSt15iterator_traitsISE_E10value_typeEPNSK_ISF_E10value_typeEPSG_NS1_7vsmem_tEENKUlT_SE_SF_SG_E_clIS8_S8_S9_S9_EESD_ST_SE_SF_SG_EUlST_E1_NS1_11comp_targetILNS1_3genE3ELNS1_11target_archE908ELNS1_3gpuE7ELNS1_3repE0EEENS1_36merge_oddeven_config_static_selectorELNS0_4arch9wavefront6targetE0EEEvSF_.has_recursion, 0
	.set _ZN7rocprim17ROCPRIM_400000_NS6detail17trampoline_kernelINS0_14default_configENS1_38merge_sort_block_merge_config_selectorImNS0_10empty_typeEEEZZNS1_27merge_sort_block_merge_implIS3_PmPS5_jNS1_19radix_merge_compareILb1ELb1EmNS0_19identity_decomposerEEEEE10hipError_tT0_T1_T2_jT3_P12ihipStream_tbPNSt15iterator_traitsISE_E10value_typeEPNSK_ISF_E10value_typeEPSG_NS1_7vsmem_tEENKUlT_SE_SF_SG_E_clIS8_S8_S9_S9_EESD_ST_SE_SF_SG_EUlST_E1_NS1_11comp_targetILNS1_3genE3ELNS1_11target_archE908ELNS1_3gpuE7ELNS1_3repE0EEENS1_36merge_oddeven_config_static_selectorELNS0_4arch9wavefront6targetE0EEEvSF_.has_indirect_call, 0
	.section	.AMDGPU.csdata,"",@progbits
; Kernel info:
; codeLenInByte = 0
; TotalNumSgprs: 0
; NumVgprs: 0
; ScratchSize: 0
; MemoryBound: 0
; FloatMode: 240
; IeeeMode: 1
; LDSByteSize: 0 bytes/workgroup (compile time only)
; SGPRBlocks: 0
; VGPRBlocks: 0
; NumSGPRsForWavesPerEU: 1
; NumVGPRsForWavesPerEU: 1
; NamedBarCnt: 0
; Occupancy: 16
; WaveLimiterHint : 0
; COMPUTE_PGM_RSRC2:SCRATCH_EN: 0
; COMPUTE_PGM_RSRC2:USER_SGPR: 2
; COMPUTE_PGM_RSRC2:TRAP_HANDLER: 0
; COMPUTE_PGM_RSRC2:TGID_X_EN: 1
; COMPUTE_PGM_RSRC2:TGID_Y_EN: 0
; COMPUTE_PGM_RSRC2:TGID_Z_EN: 0
; COMPUTE_PGM_RSRC2:TIDIG_COMP_CNT: 0
	.section	.text._ZN7rocprim17ROCPRIM_400000_NS6detail17trampoline_kernelINS0_14default_configENS1_38merge_sort_block_merge_config_selectorImNS0_10empty_typeEEEZZNS1_27merge_sort_block_merge_implIS3_PmPS5_jNS1_19radix_merge_compareILb1ELb1EmNS0_19identity_decomposerEEEEE10hipError_tT0_T1_T2_jT3_P12ihipStream_tbPNSt15iterator_traitsISE_E10value_typeEPNSK_ISF_E10value_typeEPSG_NS1_7vsmem_tEENKUlT_SE_SF_SG_E_clIS8_S8_S9_S9_EESD_ST_SE_SF_SG_EUlST_E1_NS1_11comp_targetILNS1_3genE2ELNS1_11target_archE906ELNS1_3gpuE6ELNS1_3repE0EEENS1_36merge_oddeven_config_static_selectorELNS0_4arch9wavefront6targetE0EEEvSF_,"axG",@progbits,_ZN7rocprim17ROCPRIM_400000_NS6detail17trampoline_kernelINS0_14default_configENS1_38merge_sort_block_merge_config_selectorImNS0_10empty_typeEEEZZNS1_27merge_sort_block_merge_implIS3_PmPS5_jNS1_19radix_merge_compareILb1ELb1EmNS0_19identity_decomposerEEEEE10hipError_tT0_T1_T2_jT3_P12ihipStream_tbPNSt15iterator_traitsISE_E10value_typeEPNSK_ISF_E10value_typeEPSG_NS1_7vsmem_tEENKUlT_SE_SF_SG_E_clIS8_S8_S9_S9_EESD_ST_SE_SF_SG_EUlST_E1_NS1_11comp_targetILNS1_3genE2ELNS1_11target_archE906ELNS1_3gpuE6ELNS1_3repE0EEENS1_36merge_oddeven_config_static_selectorELNS0_4arch9wavefront6targetE0EEEvSF_,comdat
	.protected	_ZN7rocprim17ROCPRIM_400000_NS6detail17trampoline_kernelINS0_14default_configENS1_38merge_sort_block_merge_config_selectorImNS0_10empty_typeEEEZZNS1_27merge_sort_block_merge_implIS3_PmPS5_jNS1_19radix_merge_compareILb1ELb1EmNS0_19identity_decomposerEEEEE10hipError_tT0_T1_T2_jT3_P12ihipStream_tbPNSt15iterator_traitsISE_E10value_typeEPNSK_ISF_E10value_typeEPSG_NS1_7vsmem_tEENKUlT_SE_SF_SG_E_clIS8_S8_S9_S9_EESD_ST_SE_SF_SG_EUlST_E1_NS1_11comp_targetILNS1_3genE2ELNS1_11target_archE906ELNS1_3gpuE6ELNS1_3repE0EEENS1_36merge_oddeven_config_static_selectorELNS0_4arch9wavefront6targetE0EEEvSF_ ; -- Begin function _ZN7rocprim17ROCPRIM_400000_NS6detail17trampoline_kernelINS0_14default_configENS1_38merge_sort_block_merge_config_selectorImNS0_10empty_typeEEEZZNS1_27merge_sort_block_merge_implIS3_PmPS5_jNS1_19radix_merge_compareILb1ELb1EmNS0_19identity_decomposerEEEEE10hipError_tT0_T1_T2_jT3_P12ihipStream_tbPNSt15iterator_traitsISE_E10value_typeEPNSK_ISF_E10value_typeEPSG_NS1_7vsmem_tEENKUlT_SE_SF_SG_E_clIS8_S8_S9_S9_EESD_ST_SE_SF_SG_EUlST_E1_NS1_11comp_targetILNS1_3genE2ELNS1_11target_archE906ELNS1_3gpuE6ELNS1_3repE0EEENS1_36merge_oddeven_config_static_selectorELNS0_4arch9wavefront6targetE0EEEvSF_
	.globl	_ZN7rocprim17ROCPRIM_400000_NS6detail17trampoline_kernelINS0_14default_configENS1_38merge_sort_block_merge_config_selectorImNS0_10empty_typeEEEZZNS1_27merge_sort_block_merge_implIS3_PmPS5_jNS1_19radix_merge_compareILb1ELb1EmNS0_19identity_decomposerEEEEE10hipError_tT0_T1_T2_jT3_P12ihipStream_tbPNSt15iterator_traitsISE_E10value_typeEPNSK_ISF_E10value_typeEPSG_NS1_7vsmem_tEENKUlT_SE_SF_SG_E_clIS8_S8_S9_S9_EESD_ST_SE_SF_SG_EUlST_E1_NS1_11comp_targetILNS1_3genE2ELNS1_11target_archE906ELNS1_3gpuE6ELNS1_3repE0EEENS1_36merge_oddeven_config_static_selectorELNS0_4arch9wavefront6targetE0EEEvSF_
	.p2align	8
	.type	_ZN7rocprim17ROCPRIM_400000_NS6detail17trampoline_kernelINS0_14default_configENS1_38merge_sort_block_merge_config_selectorImNS0_10empty_typeEEEZZNS1_27merge_sort_block_merge_implIS3_PmPS5_jNS1_19radix_merge_compareILb1ELb1EmNS0_19identity_decomposerEEEEE10hipError_tT0_T1_T2_jT3_P12ihipStream_tbPNSt15iterator_traitsISE_E10value_typeEPNSK_ISF_E10value_typeEPSG_NS1_7vsmem_tEENKUlT_SE_SF_SG_E_clIS8_S8_S9_S9_EESD_ST_SE_SF_SG_EUlST_E1_NS1_11comp_targetILNS1_3genE2ELNS1_11target_archE906ELNS1_3gpuE6ELNS1_3repE0EEENS1_36merge_oddeven_config_static_selectorELNS0_4arch9wavefront6targetE0EEEvSF_,@function
_ZN7rocprim17ROCPRIM_400000_NS6detail17trampoline_kernelINS0_14default_configENS1_38merge_sort_block_merge_config_selectorImNS0_10empty_typeEEEZZNS1_27merge_sort_block_merge_implIS3_PmPS5_jNS1_19radix_merge_compareILb1ELb1EmNS0_19identity_decomposerEEEEE10hipError_tT0_T1_T2_jT3_P12ihipStream_tbPNSt15iterator_traitsISE_E10value_typeEPNSK_ISF_E10value_typeEPSG_NS1_7vsmem_tEENKUlT_SE_SF_SG_E_clIS8_S8_S9_S9_EESD_ST_SE_SF_SG_EUlST_E1_NS1_11comp_targetILNS1_3genE2ELNS1_11target_archE906ELNS1_3gpuE6ELNS1_3repE0EEENS1_36merge_oddeven_config_static_selectorELNS0_4arch9wavefront6targetE0EEEvSF_: ; @_ZN7rocprim17ROCPRIM_400000_NS6detail17trampoline_kernelINS0_14default_configENS1_38merge_sort_block_merge_config_selectorImNS0_10empty_typeEEEZZNS1_27merge_sort_block_merge_implIS3_PmPS5_jNS1_19radix_merge_compareILb1ELb1EmNS0_19identity_decomposerEEEEE10hipError_tT0_T1_T2_jT3_P12ihipStream_tbPNSt15iterator_traitsISE_E10value_typeEPNSK_ISF_E10value_typeEPSG_NS1_7vsmem_tEENKUlT_SE_SF_SG_E_clIS8_S8_S9_S9_EESD_ST_SE_SF_SG_EUlST_E1_NS1_11comp_targetILNS1_3genE2ELNS1_11target_archE906ELNS1_3gpuE6ELNS1_3repE0EEENS1_36merge_oddeven_config_static_selectorELNS0_4arch9wavefront6targetE0EEEvSF_
; %bb.0:
	.section	.rodata,"a",@progbits
	.p2align	6, 0x0
	.amdhsa_kernel _ZN7rocprim17ROCPRIM_400000_NS6detail17trampoline_kernelINS0_14default_configENS1_38merge_sort_block_merge_config_selectorImNS0_10empty_typeEEEZZNS1_27merge_sort_block_merge_implIS3_PmPS5_jNS1_19radix_merge_compareILb1ELb1EmNS0_19identity_decomposerEEEEE10hipError_tT0_T1_T2_jT3_P12ihipStream_tbPNSt15iterator_traitsISE_E10value_typeEPNSK_ISF_E10value_typeEPSG_NS1_7vsmem_tEENKUlT_SE_SF_SG_E_clIS8_S8_S9_S9_EESD_ST_SE_SF_SG_EUlST_E1_NS1_11comp_targetILNS1_3genE2ELNS1_11target_archE906ELNS1_3gpuE6ELNS1_3repE0EEENS1_36merge_oddeven_config_static_selectorELNS0_4arch9wavefront6targetE0EEEvSF_
		.amdhsa_group_segment_fixed_size 0
		.amdhsa_private_segment_fixed_size 0
		.amdhsa_kernarg_size 48
		.amdhsa_user_sgpr_count 2
		.amdhsa_user_sgpr_dispatch_ptr 0
		.amdhsa_user_sgpr_queue_ptr 0
		.amdhsa_user_sgpr_kernarg_segment_ptr 1
		.amdhsa_user_sgpr_dispatch_id 0
		.amdhsa_user_sgpr_kernarg_preload_length 0
		.amdhsa_user_sgpr_kernarg_preload_offset 0
		.amdhsa_user_sgpr_private_segment_size 0
		.amdhsa_wavefront_size32 1
		.amdhsa_uses_dynamic_stack 0
		.amdhsa_enable_private_segment 0
		.amdhsa_system_sgpr_workgroup_id_x 1
		.amdhsa_system_sgpr_workgroup_id_y 0
		.amdhsa_system_sgpr_workgroup_id_z 0
		.amdhsa_system_sgpr_workgroup_info 0
		.amdhsa_system_vgpr_workitem_id 0
		.amdhsa_next_free_vgpr 1
		.amdhsa_next_free_sgpr 1
		.amdhsa_named_barrier_count 0
		.amdhsa_reserve_vcc 0
		.amdhsa_float_round_mode_32 0
		.amdhsa_float_round_mode_16_64 0
		.amdhsa_float_denorm_mode_32 3
		.amdhsa_float_denorm_mode_16_64 3
		.amdhsa_fp16_overflow 0
		.amdhsa_memory_ordered 1
		.amdhsa_forward_progress 1
		.amdhsa_inst_pref_size 0
		.amdhsa_round_robin_scheduling 0
		.amdhsa_exception_fp_ieee_invalid_op 0
		.amdhsa_exception_fp_denorm_src 0
		.amdhsa_exception_fp_ieee_div_zero 0
		.amdhsa_exception_fp_ieee_overflow 0
		.amdhsa_exception_fp_ieee_underflow 0
		.amdhsa_exception_fp_ieee_inexact 0
		.amdhsa_exception_int_div_zero 0
	.end_amdhsa_kernel
	.section	.text._ZN7rocprim17ROCPRIM_400000_NS6detail17trampoline_kernelINS0_14default_configENS1_38merge_sort_block_merge_config_selectorImNS0_10empty_typeEEEZZNS1_27merge_sort_block_merge_implIS3_PmPS5_jNS1_19radix_merge_compareILb1ELb1EmNS0_19identity_decomposerEEEEE10hipError_tT0_T1_T2_jT3_P12ihipStream_tbPNSt15iterator_traitsISE_E10value_typeEPNSK_ISF_E10value_typeEPSG_NS1_7vsmem_tEENKUlT_SE_SF_SG_E_clIS8_S8_S9_S9_EESD_ST_SE_SF_SG_EUlST_E1_NS1_11comp_targetILNS1_3genE2ELNS1_11target_archE906ELNS1_3gpuE6ELNS1_3repE0EEENS1_36merge_oddeven_config_static_selectorELNS0_4arch9wavefront6targetE0EEEvSF_,"axG",@progbits,_ZN7rocprim17ROCPRIM_400000_NS6detail17trampoline_kernelINS0_14default_configENS1_38merge_sort_block_merge_config_selectorImNS0_10empty_typeEEEZZNS1_27merge_sort_block_merge_implIS3_PmPS5_jNS1_19radix_merge_compareILb1ELb1EmNS0_19identity_decomposerEEEEE10hipError_tT0_T1_T2_jT3_P12ihipStream_tbPNSt15iterator_traitsISE_E10value_typeEPNSK_ISF_E10value_typeEPSG_NS1_7vsmem_tEENKUlT_SE_SF_SG_E_clIS8_S8_S9_S9_EESD_ST_SE_SF_SG_EUlST_E1_NS1_11comp_targetILNS1_3genE2ELNS1_11target_archE906ELNS1_3gpuE6ELNS1_3repE0EEENS1_36merge_oddeven_config_static_selectorELNS0_4arch9wavefront6targetE0EEEvSF_,comdat
.Lfunc_end2851:
	.size	_ZN7rocprim17ROCPRIM_400000_NS6detail17trampoline_kernelINS0_14default_configENS1_38merge_sort_block_merge_config_selectorImNS0_10empty_typeEEEZZNS1_27merge_sort_block_merge_implIS3_PmPS5_jNS1_19radix_merge_compareILb1ELb1EmNS0_19identity_decomposerEEEEE10hipError_tT0_T1_T2_jT3_P12ihipStream_tbPNSt15iterator_traitsISE_E10value_typeEPNSK_ISF_E10value_typeEPSG_NS1_7vsmem_tEENKUlT_SE_SF_SG_E_clIS8_S8_S9_S9_EESD_ST_SE_SF_SG_EUlST_E1_NS1_11comp_targetILNS1_3genE2ELNS1_11target_archE906ELNS1_3gpuE6ELNS1_3repE0EEENS1_36merge_oddeven_config_static_selectorELNS0_4arch9wavefront6targetE0EEEvSF_, .Lfunc_end2851-_ZN7rocprim17ROCPRIM_400000_NS6detail17trampoline_kernelINS0_14default_configENS1_38merge_sort_block_merge_config_selectorImNS0_10empty_typeEEEZZNS1_27merge_sort_block_merge_implIS3_PmPS5_jNS1_19radix_merge_compareILb1ELb1EmNS0_19identity_decomposerEEEEE10hipError_tT0_T1_T2_jT3_P12ihipStream_tbPNSt15iterator_traitsISE_E10value_typeEPNSK_ISF_E10value_typeEPSG_NS1_7vsmem_tEENKUlT_SE_SF_SG_E_clIS8_S8_S9_S9_EESD_ST_SE_SF_SG_EUlST_E1_NS1_11comp_targetILNS1_3genE2ELNS1_11target_archE906ELNS1_3gpuE6ELNS1_3repE0EEENS1_36merge_oddeven_config_static_selectorELNS0_4arch9wavefront6targetE0EEEvSF_
                                        ; -- End function
	.set _ZN7rocprim17ROCPRIM_400000_NS6detail17trampoline_kernelINS0_14default_configENS1_38merge_sort_block_merge_config_selectorImNS0_10empty_typeEEEZZNS1_27merge_sort_block_merge_implIS3_PmPS5_jNS1_19radix_merge_compareILb1ELb1EmNS0_19identity_decomposerEEEEE10hipError_tT0_T1_T2_jT3_P12ihipStream_tbPNSt15iterator_traitsISE_E10value_typeEPNSK_ISF_E10value_typeEPSG_NS1_7vsmem_tEENKUlT_SE_SF_SG_E_clIS8_S8_S9_S9_EESD_ST_SE_SF_SG_EUlST_E1_NS1_11comp_targetILNS1_3genE2ELNS1_11target_archE906ELNS1_3gpuE6ELNS1_3repE0EEENS1_36merge_oddeven_config_static_selectorELNS0_4arch9wavefront6targetE0EEEvSF_.num_vgpr, 0
	.set _ZN7rocprim17ROCPRIM_400000_NS6detail17trampoline_kernelINS0_14default_configENS1_38merge_sort_block_merge_config_selectorImNS0_10empty_typeEEEZZNS1_27merge_sort_block_merge_implIS3_PmPS5_jNS1_19radix_merge_compareILb1ELb1EmNS0_19identity_decomposerEEEEE10hipError_tT0_T1_T2_jT3_P12ihipStream_tbPNSt15iterator_traitsISE_E10value_typeEPNSK_ISF_E10value_typeEPSG_NS1_7vsmem_tEENKUlT_SE_SF_SG_E_clIS8_S8_S9_S9_EESD_ST_SE_SF_SG_EUlST_E1_NS1_11comp_targetILNS1_3genE2ELNS1_11target_archE906ELNS1_3gpuE6ELNS1_3repE0EEENS1_36merge_oddeven_config_static_selectorELNS0_4arch9wavefront6targetE0EEEvSF_.num_agpr, 0
	.set _ZN7rocprim17ROCPRIM_400000_NS6detail17trampoline_kernelINS0_14default_configENS1_38merge_sort_block_merge_config_selectorImNS0_10empty_typeEEEZZNS1_27merge_sort_block_merge_implIS3_PmPS5_jNS1_19radix_merge_compareILb1ELb1EmNS0_19identity_decomposerEEEEE10hipError_tT0_T1_T2_jT3_P12ihipStream_tbPNSt15iterator_traitsISE_E10value_typeEPNSK_ISF_E10value_typeEPSG_NS1_7vsmem_tEENKUlT_SE_SF_SG_E_clIS8_S8_S9_S9_EESD_ST_SE_SF_SG_EUlST_E1_NS1_11comp_targetILNS1_3genE2ELNS1_11target_archE906ELNS1_3gpuE6ELNS1_3repE0EEENS1_36merge_oddeven_config_static_selectorELNS0_4arch9wavefront6targetE0EEEvSF_.numbered_sgpr, 0
	.set _ZN7rocprim17ROCPRIM_400000_NS6detail17trampoline_kernelINS0_14default_configENS1_38merge_sort_block_merge_config_selectorImNS0_10empty_typeEEEZZNS1_27merge_sort_block_merge_implIS3_PmPS5_jNS1_19radix_merge_compareILb1ELb1EmNS0_19identity_decomposerEEEEE10hipError_tT0_T1_T2_jT3_P12ihipStream_tbPNSt15iterator_traitsISE_E10value_typeEPNSK_ISF_E10value_typeEPSG_NS1_7vsmem_tEENKUlT_SE_SF_SG_E_clIS8_S8_S9_S9_EESD_ST_SE_SF_SG_EUlST_E1_NS1_11comp_targetILNS1_3genE2ELNS1_11target_archE906ELNS1_3gpuE6ELNS1_3repE0EEENS1_36merge_oddeven_config_static_selectorELNS0_4arch9wavefront6targetE0EEEvSF_.num_named_barrier, 0
	.set _ZN7rocprim17ROCPRIM_400000_NS6detail17trampoline_kernelINS0_14default_configENS1_38merge_sort_block_merge_config_selectorImNS0_10empty_typeEEEZZNS1_27merge_sort_block_merge_implIS3_PmPS5_jNS1_19radix_merge_compareILb1ELb1EmNS0_19identity_decomposerEEEEE10hipError_tT0_T1_T2_jT3_P12ihipStream_tbPNSt15iterator_traitsISE_E10value_typeEPNSK_ISF_E10value_typeEPSG_NS1_7vsmem_tEENKUlT_SE_SF_SG_E_clIS8_S8_S9_S9_EESD_ST_SE_SF_SG_EUlST_E1_NS1_11comp_targetILNS1_3genE2ELNS1_11target_archE906ELNS1_3gpuE6ELNS1_3repE0EEENS1_36merge_oddeven_config_static_selectorELNS0_4arch9wavefront6targetE0EEEvSF_.private_seg_size, 0
	.set _ZN7rocprim17ROCPRIM_400000_NS6detail17trampoline_kernelINS0_14default_configENS1_38merge_sort_block_merge_config_selectorImNS0_10empty_typeEEEZZNS1_27merge_sort_block_merge_implIS3_PmPS5_jNS1_19radix_merge_compareILb1ELb1EmNS0_19identity_decomposerEEEEE10hipError_tT0_T1_T2_jT3_P12ihipStream_tbPNSt15iterator_traitsISE_E10value_typeEPNSK_ISF_E10value_typeEPSG_NS1_7vsmem_tEENKUlT_SE_SF_SG_E_clIS8_S8_S9_S9_EESD_ST_SE_SF_SG_EUlST_E1_NS1_11comp_targetILNS1_3genE2ELNS1_11target_archE906ELNS1_3gpuE6ELNS1_3repE0EEENS1_36merge_oddeven_config_static_selectorELNS0_4arch9wavefront6targetE0EEEvSF_.uses_vcc, 0
	.set _ZN7rocprim17ROCPRIM_400000_NS6detail17trampoline_kernelINS0_14default_configENS1_38merge_sort_block_merge_config_selectorImNS0_10empty_typeEEEZZNS1_27merge_sort_block_merge_implIS3_PmPS5_jNS1_19radix_merge_compareILb1ELb1EmNS0_19identity_decomposerEEEEE10hipError_tT0_T1_T2_jT3_P12ihipStream_tbPNSt15iterator_traitsISE_E10value_typeEPNSK_ISF_E10value_typeEPSG_NS1_7vsmem_tEENKUlT_SE_SF_SG_E_clIS8_S8_S9_S9_EESD_ST_SE_SF_SG_EUlST_E1_NS1_11comp_targetILNS1_3genE2ELNS1_11target_archE906ELNS1_3gpuE6ELNS1_3repE0EEENS1_36merge_oddeven_config_static_selectorELNS0_4arch9wavefront6targetE0EEEvSF_.uses_flat_scratch, 0
	.set _ZN7rocprim17ROCPRIM_400000_NS6detail17trampoline_kernelINS0_14default_configENS1_38merge_sort_block_merge_config_selectorImNS0_10empty_typeEEEZZNS1_27merge_sort_block_merge_implIS3_PmPS5_jNS1_19radix_merge_compareILb1ELb1EmNS0_19identity_decomposerEEEEE10hipError_tT0_T1_T2_jT3_P12ihipStream_tbPNSt15iterator_traitsISE_E10value_typeEPNSK_ISF_E10value_typeEPSG_NS1_7vsmem_tEENKUlT_SE_SF_SG_E_clIS8_S8_S9_S9_EESD_ST_SE_SF_SG_EUlST_E1_NS1_11comp_targetILNS1_3genE2ELNS1_11target_archE906ELNS1_3gpuE6ELNS1_3repE0EEENS1_36merge_oddeven_config_static_selectorELNS0_4arch9wavefront6targetE0EEEvSF_.has_dyn_sized_stack, 0
	.set _ZN7rocprim17ROCPRIM_400000_NS6detail17trampoline_kernelINS0_14default_configENS1_38merge_sort_block_merge_config_selectorImNS0_10empty_typeEEEZZNS1_27merge_sort_block_merge_implIS3_PmPS5_jNS1_19radix_merge_compareILb1ELb1EmNS0_19identity_decomposerEEEEE10hipError_tT0_T1_T2_jT3_P12ihipStream_tbPNSt15iterator_traitsISE_E10value_typeEPNSK_ISF_E10value_typeEPSG_NS1_7vsmem_tEENKUlT_SE_SF_SG_E_clIS8_S8_S9_S9_EESD_ST_SE_SF_SG_EUlST_E1_NS1_11comp_targetILNS1_3genE2ELNS1_11target_archE906ELNS1_3gpuE6ELNS1_3repE0EEENS1_36merge_oddeven_config_static_selectorELNS0_4arch9wavefront6targetE0EEEvSF_.has_recursion, 0
	.set _ZN7rocprim17ROCPRIM_400000_NS6detail17trampoline_kernelINS0_14default_configENS1_38merge_sort_block_merge_config_selectorImNS0_10empty_typeEEEZZNS1_27merge_sort_block_merge_implIS3_PmPS5_jNS1_19radix_merge_compareILb1ELb1EmNS0_19identity_decomposerEEEEE10hipError_tT0_T1_T2_jT3_P12ihipStream_tbPNSt15iterator_traitsISE_E10value_typeEPNSK_ISF_E10value_typeEPSG_NS1_7vsmem_tEENKUlT_SE_SF_SG_E_clIS8_S8_S9_S9_EESD_ST_SE_SF_SG_EUlST_E1_NS1_11comp_targetILNS1_3genE2ELNS1_11target_archE906ELNS1_3gpuE6ELNS1_3repE0EEENS1_36merge_oddeven_config_static_selectorELNS0_4arch9wavefront6targetE0EEEvSF_.has_indirect_call, 0
	.section	.AMDGPU.csdata,"",@progbits
; Kernel info:
; codeLenInByte = 0
; TotalNumSgprs: 0
; NumVgprs: 0
; ScratchSize: 0
; MemoryBound: 0
; FloatMode: 240
; IeeeMode: 1
; LDSByteSize: 0 bytes/workgroup (compile time only)
; SGPRBlocks: 0
; VGPRBlocks: 0
; NumSGPRsForWavesPerEU: 1
; NumVGPRsForWavesPerEU: 1
; NamedBarCnt: 0
; Occupancy: 16
; WaveLimiterHint : 0
; COMPUTE_PGM_RSRC2:SCRATCH_EN: 0
; COMPUTE_PGM_RSRC2:USER_SGPR: 2
; COMPUTE_PGM_RSRC2:TRAP_HANDLER: 0
; COMPUTE_PGM_RSRC2:TGID_X_EN: 1
; COMPUTE_PGM_RSRC2:TGID_Y_EN: 0
; COMPUTE_PGM_RSRC2:TGID_Z_EN: 0
; COMPUTE_PGM_RSRC2:TIDIG_COMP_CNT: 0
	.section	.text._ZN7rocprim17ROCPRIM_400000_NS6detail17trampoline_kernelINS0_14default_configENS1_38merge_sort_block_merge_config_selectorImNS0_10empty_typeEEEZZNS1_27merge_sort_block_merge_implIS3_PmPS5_jNS1_19radix_merge_compareILb1ELb1EmNS0_19identity_decomposerEEEEE10hipError_tT0_T1_T2_jT3_P12ihipStream_tbPNSt15iterator_traitsISE_E10value_typeEPNSK_ISF_E10value_typeEPSG_NS1_7vsmem_tEENKUlT_SE_SF_SG_E_clIS8_S8_S9_S9_EESD_ST_SE_SF_SG_EUlST_E1_NS1_11comp_targetILNS1_3genE9ELNS1_11target_archE1100ELNS1_3gpuE3ELNS1_3repE0EEENS1_36merge_oddeven_config_static_selectorELNS0_4arch9wavefront6targetE0EEEvSF_,"axG",@progbits,_ZN7rocprim17ROCPRIM_400000_NS6detail17trampoline_kernelINS0_14default_configENS1_38merge_sort_block_merge_config_selectorImNS0_10empty_typeEEEZZNS1_27merge_sort_block_merge_implIS3_PmPS5_jNS1_19radix_merge_compareILb1ELb1EmNS0_19identity_decomposerEEEEE10hipError_tT0_T1_T2_jT3_P12ihipStream_tbPNSt15iterator_traitsISE_E10value_typeEPNSK_ISF_E10value_typeEPSG_NS1_7vsmem_tEENKUlT_SE_SF_SG_E_clIS8_S8_S9_S9_EESD_ST_SE_SF_SG_EUlST_E1_NS1_11comp_targetILNS1_3genE9ELNS1_11target_archE1100ELNS1_3gpuE3ELNS1_3repE0EEENS1_36merge_oddeven_config_static_selectorELNS0_4arch9wavefront6targetE0EEEvSF_,comdat
	.protected	_ZN7rocprim17ROCPRIM_400000_NS6detail17trampoline_kernelINS0_14default_configENS1_38merge_sort_block_merge_config_selectorImNS0_10empty_typeEEEZZNS1_27merge_sort_block_merge_implIS3_PmPS5_jNS1_19radix_merge_compareILb1ELb1EmNS0_19identity_decomposerEEEEE10hipError_tT0_T1_T2_jT3_P12ihipStream_tbPNSt15iterator_traitsISE_E10value_typeEPNSK_ISF_E10value_typeEPSG_NS1_7vsmem_tEENKUlT_SE_SF_SG_E_clIS8_S8_S9_S9_EESD_ST_SE_SF_SG_EUlST_E1_NS1_11comp_targetILNS1_3genE9ELNS1_11target_archE1100ELNS1_3gpuE3ELNS1_3repE0EEENS1_36merge_oddeven_config_static_selectorELNS0_4arch9wavefront6targetE0EEEvSF_ ; -- Begin function _ZN7rocprim17ROCPRIM_400000_NS6detail17trampoline_kernelINS0_14default_configENS1_38merge_sort_block_merge_config_selectorImNS0_10empty_typeEEEZZNS1_27merge_sort_block_merge_implIS3_PmPS5_jNS1_19radix_merge_compareILb1ELb1EmNS0_19identity_decomposerEEEEE10hipError_tT0_T1_T2_jT3_P12ihipStream_tbPNSt15iterator_traitsISE_E10value_typeEPNSK_ISF_E10value_typeEPSG_NS1_7vsmem_tEENKUlT_SE_SF_SG_E_clIS8_S8_S9_S9_EESD_ST_SE_SF_SG_EUlST_E1_NS1_11comp_targetILNS1_3genE9ELNS1_11target_archE1100ELNS1_3gpuE3ELNS1_3repE0EEENS1_36merge_oddeven_config_static_selectorELNS0_4arch9wavefront6targetE0EEEvSF_
	.globl	_ZN7rocprim17ROCPRIM_400000_NS6detail17trampoline_kernelINS0_14default_configENS1_38merge_sort_block_merge_config_selectorImNS0_10empty_typeEEEZZNS1_27merge_sort_block_merge_implIS3_PmPS5_jNS1_19radix_merge_compareILb1ELb1EmNS0_19identity_decomposerEEEEE10hipError_tT0_T1_T2_jT3_P12ihipStream_tbPNSt15iterator_traitsISE_E10value_typeEPNSK_ISF_E10value_typeEPSG_NS1_7vsmem_tEENKUlT_SE_SF_SG_E_clIS8_S8_S9_S9_EESD_ST_SE_SF_SG_EUlST_E1_NS1_11comp_targetILNS1_3genE9ELNS1_11target_archE1100ELNS1_3gpuE3ELNS1_3repE0EEENS1_36merge_oddeven_config_static_selectorELNS0_4arch9wavefront6targetE0EEEvSF_
	.p2align	8
	.type	_ZN7rocprim17ROCPRIM_400000_NS6detail17trampoline_kernelINS0_14default_configENS1_38merge_sort_block_merge_config_selectorImNS0_10empty_typeEEEZZNS1_27merge_sort_block_merge_implIS3_PmPS5_jNS1_19radix_merge_compareILb1ELb1EmNS0_19identity_decomposerEEEEE10hipError_tT0_T1_T2_jT3_P12ihipStream_tbPNSt15iterator_traitsISE_E10value_typeEPNSK_ISF_E10value_typeEPSG_NS1_7vsmem_tEENKUlT_SE_SF_SG_E_clIS8_S8_S9_S9_EESD_ST_SE_SF_SG_EUlST_E1_NS1_11comp_targetILNS1_3genE9ELNS1_11target_archE1100ELNS1_3gpuE3ELNS1_3repE0EEENS1_36merge_oddeven_config_static_selectorELNS0_4arch9wavefront6targetE0EEEvSF_,@function
_ZN7rocprim17ROCPRIM_400000_NS6detail17trampoline_kernelINS0_14default_configENS1_38merge_sort_block_merge_config_selectorImNS0_10empty_typeEEEZZNS1_27merge_sort_block_merge_implIS3_PmPS5_jNS1_19radix_merge_compareILb1ELb1EmNS0_19identity_decomposerEEEEE10hipError_tT0_T1_T2_jT3_P12ihipStream_tbPNSt15iterator_traitsISE_E10value_typeEPNSK_ISF_E10value_typeEPSG_NS1_7vsmem_tEENKUlT_SE_SF_SG_E_clIS8_S8_S9_S9_EESD_ST_SE_SF_SG_EUlST_E1_NS1_11comp_targetILNS1_3genE9ELNS1_11target_archE1100ELNS1_3gpuE3ELNS1_3repE0EEENS1_36merge_oddeven_config_static_selectorELNS0_4arch9wavefront6targetE0EEEvSF_: ; @_ZN7rocprim17ROCPRIM_400000_NS6detail17trampoline_kernelINS0_14default_configENS1_38merge_sort_block_merge_config_selectorImNS0_10empty_typeEEEZZNS1_27merge_sort_block_merge_implIS3_PmPS5_jNS1_19radix_merge_compareILb1ELb1EmNS0_19identity_decomposerEEEEE10hipError_tT0_T1_T2_jT3_P12ihipStream_tbPNSt15iterator_traitsISE_E10value_typeEPNSK_ISF_E10value_typeEPSG_NS1_7vsmem_tEENKUlT_SE_SF_SG_E_clIS8_S8_S9_S9_EESD_ST_SE_SF_SG_EUlST_E1_NS1_11comp_targetILNS1_3genE9ELNS1_11target_archE1100ELNS1_3gpuE3ELNS1_3repE0EEENS1_36merge_oddeven_config_static_selectorELNS0_4arch9wavefront6targetE0EEEvSF_
; %bb.0:
	.section	.rodata,"a",@progbits
	.p2align	6, 0x0
	.amdhsa_kernel _ZN7rocprim17ROCPRIM_400000_NS6detail17trampoline_kernelINS0_14default_configENS1_38merge_sort_block_merge_config_selectorImNS0_10empty_typeEEEZZNS1_27merge_sort_block_merge_implIS3_PmPS5_jNS1_19radix_merge_compareILb1ELb1EmNS0_19identity_decomposerEEEEE10hipError_tT0_T1_T2_jT3_P12ihipStream_tbPNSt15iterator_traitsISE_E10value_typeEPNSK_ISF_E10value_typeEPSG_NS1_7vsmem_tEENKUlT_SE_SF_SG_E_clIS8_S8_S9_S9_EESD_ST_SE_SF_SG_EUlST_E1_NS1_11comp_targetILNS1_3genE9ELNS1_11target_archE1100ELNS1_3gpuE3ELNS1_3repE0EEENS1_36merge_oddeven_config_static_selectorELNS0_4arch9wavefront6targetE0EEEvSF_
		.amdhsa_group_segment_fixed_size 0
		.amdhsa_private_segment_fixed_size 0
		.amdhsa_kernarg_size 48
		.amdhsa_user_sgpr_count 2
		.amdhsa_user_sgpr_dispatch_ptr 0
		.amdhsa_user_sgpr_queue_ptr 0
		.amdhsa_user_sgpr_kernarg_segment_ptr 1
		.amdhsa_user_sgpr_dispatch_id 0
		.amdhsa_user_sgpr_kernarg_preload_length 0
		.amdhsa_user_sgpr_kernarg_preload_offset 0
		.amdhsa_user_sgpr_private_segment_size 0
		.amdhsa_wavefront_size32 1
		.amdhsa_uses_dynamic_stack 0
		.amdhsa_enable_private_segment 0
		.amdhsa_system_sgpr_workgroup_id_x 1
		.amdhsa_system_sgpr_workgroup_id_y 0
		.amdhsa_system_sgpr_workgroup_id_z 0
		.amdhsa_system_sgpr_workgroup_info 0
		.amdhsa_system_vgpr_workitem_id 0
		.amdhsa_next_free_vgpr 1
		.amdhsa_next_free_sgpr 1
		.amdhsa_named_barrier_count 0
		.amdhsa_reserve_vcc 0
		.amdhsa_float_round_mode_32 0
		.amdhsa_float_round_mode_16_64 0
		.amdhsa_float_denorm_mode_32 3
		.amdhsa_float_denorm_mode_16_64 3
		.amdhsa_fp16_overflow 0
		.amdhsa_memory_ordered 1
		.amdhsa_forward_progress 1
		.amdhsa_inst_pref_size 0
		.amdhsa_round_robin_scheduling 0
		.amdhsa_exception_fp_ieee_invalid_op 0
		.amdhsa_exception_fp_denorm_src 0
		.amdhsa_exception_fp_ieee_div_zero 0
		.amdhsa_exception_fp_ieee_overflow 0
		.amdhsa_exception_fp_ieee_underflow 0
		.amdhsa_exception_fp_ieee_inexact 0
		.amdhsa_exception_int_div_zero 0
	.end_amdhsa_kernel
	.section	.text._ZN7rocprim17ROCPRIM_400000_NS6detail17trampoline_kernelINS0_14default_configENS1_38merge_sort_block_merge_config_selectorImNS0_10empty_typeEEEZZNS1_27merge_sort_block_merge_implIS3_PmPS5_jNS1_19radix_merge_compareILb1ELb1EmNS0_19identity_decomposerEEEEE10hipError_tT0_T1_T2_jT3_P12ihipStream_tbPNSt15iterator_traitsISE_E10value_typeEPNSK_ISF_E10value_typeEPSG_NS1_7vsmem_tEENKUlT_SE_SF_SG_E_clIS8_S8_S9_S9_EESD_ST_SE_SF_SG_EUlST_E1_NS1_11comp_targetILNS1_3genE9ELNS1_11target_archE1100ELNS1_3gpuE3ELNS1_3repE0EEENS1_36merge_oddeven_config_static_selectorELNS0_4arch9wavefront6targetE0EEEvSF_,"axG",@progbits,_ZN7rocprim17ROCPRIM_400000_NS6detail17trampoline_kernelINS0_14default_configENS1_38merge_sort_block_merge_config_selectorImNS0_10empty_typeEEEZZNS1_27merge_sort_block_merge_implIS3_PmPS5_jNS1_19radix_merge_compareILb1ELb1EmNS0_19identity_decomposerEEEEE10hipError_tT0_T1_T2_jT3_P12ihipStream_tbPNSt15iterator_traitsISE_E10value_typeEPNSK_ISF_E10value_typeEPSG_NS1_7vsmem_tEENKUlT_SE_SF_SG_E_clIS8_S8_S9_S9_EESD_ST_SE_SF_SG_EUlST_E1_NS1_11comp_targetILNS1_3genE9ELNS1_11target_archE1100ELNS1_3gpuE3ELNS1_3repE0EEENS1_36merge_oddeven_config_static_selectorELNS0_4arch9wavefront6targetE0EEEvSF_,comdat
.Lfunc_end2852:
	.size	_ZN7rocprim17ROCPRIM_400000_NS6detail17trampoline_kernelINS0_14default_configENS1_38merge_sort_block_merge_config_selectorImNS0_10empty_typeEEEZZNS1_27merge_sort_block_merge_implIS3_PmPS5_jNS1_19radix_merge_compareILb1ELb1EmNS0_19identity_decomposerEEEEE10hipError_tT0_T1_T2_jT3_P12ihipStream_tbPNSt15iterator_traitsISE_E10value_typeEPNSK_ISF_E10value_typeEPSG_NS1_7vsmem_tEENKUlT_SE_SF_SG_E_clIS8_S8_S9_S9_EESD_ST_SE_SF_SG_EUlST_E1_NS1_11comp_targetILNS1_3genE9ELNS1_11target_archE1100ELNS1_3gpuE3ELNS1_3repE0EEENS1_36merge_oddeven_config_static_selectorELNS0_4arch9wavefront6targetE0EEEvSF_, .Lfunc_end2852-_ZN7rocprim17ROCPRIM_400000_NS6detail17trampoline_kernelINS0_14default_configENS1_38merge_sort_block_merge_config_selectorImNS0_10empty_typeEEEZZNS1_27merge_sort_block_merge_implIS3_PmPS5_jNS1_19radix_merge_compareILb1ELb1EmNS0_19identity_decomposerEEEEE10hipError_tT0_T1_T2_jT3_P12ihipStream_tbPNSt15iterator_traitsISE_E10value_typeEPNSK_ISF_E10value_typeEPSG_NS1_7vsmem_tEENKUlT_SE_SF_SG_E_clIS8_S8_S9_S9_EESD_ST_SE_SF_SG_EUlST_E1_NS1_11comp_targetILNS1_3genE9ELNS1_11target_archE1100ELNS1_3gpuE3ELNS1_3repE0EEENS1_36merge_oddeven_config_static_selectorELNS0_4arch9wavefront6targetE0EEEvSF_
                                        ; -- End function
	.set _ZN7rocprim17ROCPRIM_400000_NS6detail17trampoline_kernelINS0_14default_configENS1_38merge_sort_block_merge_config_selectorImNS0_10empty_typeEEEZZNS1_27merge_sort_block_merge_implIS3_PmPS5_jNS1_19radix_merge_compareILb1ELb1EmNS0_19identity_decomposerEEEEE10hipError_tT0_T1_T2_jT3_P12ihipStream_tbPNSt15iterator_traitsISE_E10value_typeEPNSK_ISF_E10value_typeEPSG_NS1_7vsmem_tEENKUlT_SE_SF_SG_E_clIS8_S8_S9_S9_EESD_ST_SE_SF_SG_EUlST_E1_NS1_11comp_targetILNS1_3genE9ELNS1_11target_archE1100ELNS1_3gpuE3ELNS1_3repE0EEENS1_36merge_oddeven_config_static_selectorELNS0_4arch9wavefront6targetE0EEEvSF_.num_vgpr, 0
	.set _ZN7rocprim17ROCPRIM_400000_NS6detail17trampoline_kernelINS0_14default_configENS1_38merge_sort_block_merge_config_selectorImNS0_10empty_typeEEEZZNS1_27merge_sort_block_merge_implIS3_PmPS5_jNS1_19radix_merge_compareILb1ELb1EmNS0_19identity_decomposerEEEEE10hipError_tT0_T1_T2_jT3_P12ihipStream_tbPNSt15iterator_traitsISE_E10value_typeEPNSK_ISF_E10value_typeEPSG_NS1_7vsmem_tEENKUlT_SE_SF_SG_E_clIS8_S8_S9_S9_EESD_ST_SE_SF_SG_EUlST_E1_NS1_11comp_targetILNS1_3genE9ELNS1_11target_archE1100ELNS1_3gpuE3ELNS1_3repE0EEENS1_36merge_oddeven_config_static_selectorELNS0_4arch9wavefront6targetE0EEEvSF_.num_agpr, 0
	.set _ZN7rocprim17ROCPRIM_400000_NS6detail17trampoline_kernelINS0_14default_configENS1_38merge_sort_block_merge_config_selectorImNS0_10empty_typeEEEZZNS1_27merge_sort_block_merge_implIS3_PmPS5_jNS1_19radix_merge_compareILb1ELb1EmNS0_19identity_decomposerEEEEE10hipError_tT0_T1_T2_jT3_P12ihipStream_tbPNSt15iterator_traitsISE_E10value_typeEPNSK_ISF_E10value_typeEPSG_NS1_7vsmem_tEENKUlT_SE_SF_SG_E_clIS8_S8_S9_S9_EESD_ST_SE_SF_SG_EUlST_E1_NS1_11comp_targetILNS1_3genE9ELNS1_11target_archE1100ELNS1_3gpuE3ELNS1_3repE0EEENS1_36merge_oddeven_config_static_selectorELNS0_4arch9wavefront6targetE0EEEvSF_.numbered_sgpr, 0
	.set _ZN7rocprim17ROCPRIM_400000_NS6detail17trampoline_kernelINS0_14default_configENS1_38merge_sort_block_merge_config_selectorImNS0_10empty_typeEEEZZNS1_27merge_sort_block_merge_implIS3_PmPS5_jNS1_19radix_merge_compareILb1ELb1EmNS0_19identity_decomposerEEEEE10hipError_tT0_T1_T2_jT3_P12ihipStream_tbPNSt15iterator_traitsISE_E10value_typeEPNSK_ISF_E10value_typeEPSG_NS1_7vsmem_tEENKUlT_SE_SF_SG_E_clIS8_S8_S9_S9_EESD_ST_SE_SF_SG_EUlST_E1_NS1_11comp_targetILNS1_3genE9ELNS1_11target_archE1100ELNS1_3gpuE3ELNS1_3repE0EEENS1_36merge_oddeven_config_static_selectorELNS0_4arch9wavefront6targetE0EEEvSF_.num_named_barrier, 0
	.set _ZN7rocprim17ROCPRIM_400000_NS6detail17trampoline_kernelINS0_14default_configENS1_38merge_sort_block_merge_config_selectorImNS0_10empty_typeEEEZZNS1_27merge_sort_block_merge_implIS3_PmPS5_jNS1_19radix_merge_compareILb1ELb1EmNS0_19identity_decomposerEEEEE10hipError_tT0_T1_T2_jT3_P12ihipStream_tbPNSt15iterator_traitsISE_E10value_typeEPNSK_ISF_E10value_typeEPSG_NS1_7vsmem_tEENKUlT_SE_SF_SG_E_clIS8_S8_S9_S9_EESD_ST_SE_SF_SG_EUlST_E1_NS1_11comp_targetILNS1_3genE9ELNS1_11target_archE1100ELNS1_3gpuE3ELNS1_3repE0EEENS1_36merge_oddeven_config_static_selectorELNS0_4arch9wavefront6targetE0EEEvSF_.private_seg_size, 0
	.set _ZN7rocprim17ROCPRIM_400000_NS6detail17trampoline_kernelINS0_14default_configENS1_38merge_sort_block_merge_config_selectorImNS0_10empty_typeEEEZZNS1_27merge_sort_block_merge_implIS3_PmPS5_jNS1_19radix_merge_compareILb1ELb1EmNS0_19identity_decomposerEEEEE10hipError_tT0_T1_T2_jT3_P12ihipStream_tbPNSt15iterator_traitsISE_E10value_typeEPNSK_ISF_E10value_typeEPSG_NS1_7vsmem_tEENKUlT_SE_SF_SG_E_clIS8_S8_S9_S9_EESD_ST_SE_SF_SG_EUlST_E1_NS1_11comp_targetILNS1_3genE9ELNS1_11target_archE1100ELNS1_3gpuE3ELNS1_3repE0EEENS1_36merge_oddeven_config_static_selectorELNS0_4arch9wavefront6targetE0EEEvSF_.uses_vcc, 0
	.set _ZN7rocprim17ROCPRIM_400000_NS6detail17trampoline_kernelINS0_14default_configENS1_38merge_sort_block_merge_config_selectorImNS0_10empty_typeEEEZZNS1_27merge_sort_block_merge_implIS3_PmPS5_jNS1_19radix_merge_compareILb1ELb1EmNS0_19identity_decomposerEEEEE10hipError_tT0_T1_T2_jT3_P12ihipStream_tbPNSt15iterator_traitsISE_E10value_typeEPNSK_ISF_E10value_typeEPSG_NS1_7vsmem_tEENKUlT_SE_SF_SG_E_clIS8_S8_S9_S9_EESD_ST_SE_SF_SG_EUlST_E1_NS1_11comp_targetILNS1_3genE9ELNS1_11target_archE1100ELNS1_3gpuE3ELNS1_3repE0EEENS1_36merge_oddeven_config_static_selectorELNS0_4arch9wavefront6targetE0EEEvSF_.uses_flat_scratch, 0
	.set _ZN7rocprim17ROCPRIM_400000_NS6detail17trampoline_kernelINS0_14default_configENS1_38merge_sort_block_merge_config_selectorImNS0_10empty_typeEEEZZNS1_27merge_sort_block_merge_implIS3_PmPS5_jNS1_19radix_merge_compareILb1ELb1EmNS0_19identity_decomposerEEEEE10hipError_tT0_T1_T2_jT3_P12ihipStream_tbPNSt15iterator_traitsISE_E10value_typeEPNSK_ISF_E10value_typeEPSG_NS1_7vsmem_tEENKUlT_SE_SF_SG_E_clIS8_S8_S9_S9_EESD_ST_SE_SF_SG_EUlST_E1_NS1_11comp_targetILNS1_3genE9ELNS1_11target_archE1100ELNS1_3gpuE3ELNS1_3repE0EEENS1_36merge_oddeven_config_static_selectorELNS0_4arch9wavefront6targetE0EEEvSF_.has_dyn_sized_stack, 0
	.set _ZN7rocprim17ROCPRIM_400000_NS6detail17trampoline_kernelINS0_14default_configENS1_38merge_sort_block_merge_config_selectorImNS0_10empty_typeEEEZZNS1_27merge_sort_block_merge_implIS3_PmPS5_jNS1_19radix_merge_compareILb1ELb1EmNS0_19identity_decomposerEEEEE10hipError_tT0_T1_T2_jT3_P12ihipStream_tbPNSt15iterator_traitsISE_E10value_typeEPNSK_ISF_E10value_typeEPSG_NS1_7vsmem_tEENKUlT_SE_SF_SG_E_clIS8_S8_S9_S9_EESD_ST_SE_SF_SG_EUlST_E1_NS1_11comp_targetILNS1_3genE9ELNS1_11target_archE1100ELNS1_3gpuE3ELNS1_3repE0EEENS1_36merge_oddeven_config_static_selectorELNS0_4arch9wavefront6targetE0EEEvSF_.has_recursion, 0
	.set _ZN7rocprim17ROCPRIM_400000_NS6detail17trampoline_kernelINS0_14default_configENS1_38merge_sort_block_merge_config_selectorImNS0_10empty_typeEEEZZNS1_27merge_sort_block_merge_implIS3_PmPS5_jNS1_19radix_merge_compareILb1ELb1EmNS0_19identity_decomposerEEEEE10hipError_tT0_T1_T2_jT3_P12ihipStream_tbPNSt15iterator_traitsISE_E10value_typeEPNSK_ISF_E10value_typeEPSG_NS1_7vsmem_tEENKUlT_SE_SF_SG_E_clIS8_S8_S9_S9_EESD_ST_SE_SF_SG_EUlST_E1_NS1_11comp_targetILNS1_3genE9ELNS1_11target_archE1100ELNS1_3gpuE3ELNS1_3repE0EEENS1_36merge_oddeven_config_static_selectorELNS0_4arch9wavefront6targetE0EEEvSF_.has_indirect_call, 0
	.section	.AMDGPU.csdata,"",@progbits
; Kernel info:
; codeLenInByte = 0
; TotalNumSgprs: 0
; NumVgprs: 0
; ScratchSize: 0
; MemoryBound: 0
; FloatMode: 240
; IeeeMode: 1
; LDSByteSize: 0 bytes/workgroup (compile time only)
; SGPRBlocks: 0
; VGPRBlocks: 0
; NumSGPRsForWavesPerEU: 1
; NumVGPRsForWavesPerEU: 1
; NamedBarCnt: 0
; Occupancy: 16
; WaveLimiterHint : 0
; COMPUTE_PGM_RSRC2:SCRATCH_EN: 0
; COMPUTE_PGM_RSRC2:USER_SGPR: 2
; COMPUTE_PGM_RSRC2:TRAP_HANDLER: 0
; COMPUTE_PGM_RSRC2:TGID_X_EN: 1
; COMPUTE_PGM_RSRC2:TGID_Y_EN: 0
; COMPUTE_PGM_RSRC2:TGID_Z_EN: 0
; COMPUTE_PGM_RSRC2:TIDIG_COMP_CNT: 0
	.section	.text._ZN7rocprim17ROCPRIM_400000_NS6detail17trampoline_kernelINS0_14default_configENS1_38merge_sort_block_merge_config_selectorImNS0_10empty_typeEEEZZNS1_27merge_sort_block_merge_implIS3_PmPS5_jNS1_19radix_merge_compareILb1ELb1EmNS0_19identity_decomposerEEEEE10hipError_tT0_T1_T2_jT3_P12ihipStream_tbPNSt15iterator_traitsISE_E10value_typeEPNSK_ISF_E10value_typeEPSG_NS1_7vsmem_tEENKUlT_SE_SF_SG_E_clIS8_S8_S9_S9_EESD_ST_SE_SF_SG_EUlST_E1_NS1_11comp_targetILNS1_3genE8ELNS1_11target_archE1030ELNS1_3gpuE2ELNS1_3repE0EEENS1_36merge_oddeven_config_static_selectorELNS0_4arch9wavefront6targetE0EEEvSF_,"axG",@progbits,_ZN7rocprim17ROCPRIM_400000_NS6detail17trampoline_kernelINS0_14default_configENS1_38merge_sort_block_merge_config_selectorImNS0_10empty_typeEEEZZNS1_27merge_sort_block_merge_implIS3_PmPS5_jNS1_19radix_merge_compareILb1ELb1EmNS0_19identity_decomposerEEEEE10hipError_tT0_T1_T2_jT3_P12ihipStream_tbPNSt15iterator_traitsISE_E10value_typeEPNSK_ISF_E10value_typeEPSG_NS1_7vsmem_tEENKUlT_SE_SF_SG_E_clIS8_S8_S9_S9_EESD_ST_SE_SF_SG_EUlST_E1_NS1_11comp_targetILNS1_3genE8ELNS1_11target_archE1030ELNS1_3gpuE2ELNS1_3repE0EEENS1_36merge_oddeven_config_static_selectorELNS0_4arch9wavefront6targetE0EEEvSF_,comdat
	.protected	_ZN7rocprim17ROCPRIM_400000_NS6detail17trampoline_kernelINS0_14default_configENS1_38merge_sort_block_merge_config_selectorImNS0_10empty_typeEEEZZNS1_27merge_sort_block_merge_implIS3_PmPS5_jNS1_19radix_merge_compareILb1ELb1EmNS0_19identity_decomposerEEEEE10hipError_tT0_T1_T2_jT3_P12ihipStream_tbPNSt15iterator_traitsISE_E10value_typeEPNSK_ISF_E10value_typeEPSG_NS1_7vsmem_tEENKUlT_SE_SF_SG_E_clIS8_S8_S9_S9_EESD_ST_SE_SF_SG_EUlST_E1_NS1_11comp_targetILNS1_3genE8ELNS1_11target_archE1030ELNS1_3gpuE2ELNS1_3repE0EEENS1_36merge_oddeven_config_static_selectorELNS0_4arch9wavefront6targetE0EEEvSF_ ; -- Begin function _ZN7rocprim17ROCPRIM_400000_NS6detail17trampoline_kernelINS0_14default_configENS1_38merge_sort_block_merge_config_selectorImNS0_10empty_typeEEEZZNS1_27merge_sort_block_merge_implIS3_PmPS5_jNS1_19radix_merge_compareILb1ELb1EmNS0_19identity_decomposerEEEEE10hipError_tT0_T1_T2_jT3_P12ihipStream_tbPNSt15iterator_traitsISE_E10value_typeEPNSK_ISF_E10value_typeEPSG_NS1_7vsmem_tEENKUlT_SE_SF_SG_E_clIS8_S8_S9_S9_EESD_ST_SE_SF_SG_EUlST_E1_NS1_11comp_targetILNS1_3genE8ELNS1_11target_archE1030ELNS1_3gpuE2ELNS1_3repE0EEENS1_36merge_oddeven_config_static_selectorELNS0_4arch9wavefront6targetE0EEEvSF_
	.globl	_ZN7rocprim17ROCPRIM_400000_NS6detail17trampoline_kernelINS0_14default_configENS1_38merge_sort_block_merge_config_selectorImNS0_10empty_typeEEEZZNS1_27merge_sort_block_merge_implIS3_PmPS5_jNS1_19radix_merge_compareILb1ELb1EmNS0_19identity_decomposerEEEEE10hipError_tT0_T1_T2_jT3_P12ihipStream_tbPNSt15iterator_traitsISE_E10value_typeEPNSK_ISF_E10value_typeEPSG_NS1_7vsmem_tEENKUlT_SE_SF_SG_E_clIS8_S8_S9_S9_EESD_ST_SE_SF_SG_EUlST_E1_NS1_11comp_targetILNS1_3genE8ELNS1_11target_archE1030ELNS1_3gpuE2ELNS1_3repE0EEENS1_36merge_oddeven_config_static_selectorELNS0_4arch9wavefront6targetE0EEEvSF_
	.p2align	8
	.type	_ZN7rocprim17ROCPRIM_400000_NS6detail17trampoline_kernelINS0_14default_configENS1_38merge_sort_block_merge_config_selectorImNS0_10empty_typeEEEZZNS1_27merge_sort_block_merge_implIS3_PmPS5_jNS1_19radix_merge_compareILb1ELb1EmNS0_19identity_decomposerEEEEE10hipError_tT0_T1_T2_jT3_P12ihipStream_tbPNSt15iterator_traitsISE_E10value_typeEPNSK_ISF_E10value_typeEPSG_NS1_7vsmem_tEENKUlT_SE_SF_SG_E_clIS8_S8_S9_S9_EESD_ST_SE_SF_SG_EUlST_E1_NS1_11comp_targetILNS1_3genE8ELNS1_11target_archE1030ELNS1_3gpuE2ELNS1_3repE0EEENS1_36merge_oddeven_config_static_selectorELNS0_4arch9wavefront6targetE0EEEvSF_,@function
_ZN7rocprim17ROCPRIM_400000_NS6detail17trampoline_kernelINS0_14default_configENS1_38merge_sort_block_merge_config_selectorImNS0_10empty_typeEEEZZNS1_27merge_sort_block_merge_implIS3_PmPS5_jNS1_19radix_merge_compareILb1ELb1EmNS0_19identity_decomposerEEEEE10hipError_tT0_T1_T2_jT3_P12ihipStream_tbPNSt15iterator_traitsISE_E10value_typeEPNSK_ISF_E10value_typeEPSG_NS1_7vsmem_tEENKUlT_SE_SF_SG_E_clIS8_S8_S9_S9_EESD_ST_SE_SF_SG_EUlST_E1_NS1_11comp_targetILNS1_3genE8ELNS1_11target_archE1030ELNS1_3gpuE2ELNS1_3repE0EEENS1_36merge_oddeven_config_static_selectorELNS0_4arch9wavefront6targetE0EEEvSF_: ; @_ZN7rocprim17ROCPRIM_400000_NS6detail17trampoline_kernelINS0_14default_configENS1_38merge_sort_block_merge_config_selectorImNS0_10empty_typeEEEZZNS1_27merge_sort_block_merge_implIS3_PmPS5_jNS1_19radix_merge_compareILb1ELb1EmNS0_19identity_decomposerEEEEE10hipError_tT0_T1_T2_jT3_P12ihipStream_tbPNSt15iterator_traitsISE_E10value_typeEPNSK_ISF_E10value_typeEPSG_NS1_7vsmem_tEENKUlT_SE_SF_SG_E_clIS8_S8_S9_S9_EESD_ST_SE_SF_SG_EUlST_E1_NS1_11comp_targetILNS1_3genE8ELNS1_11target_archE1030ELNS1_3gpuE2ELNS1_3repE0EEENS1_36merge_oddeven_config_static_selectorELNS0_4arch9wavefront6targetE0EEEvSF_
; %bb.0:
	.section	.rodata,"a",@progbits
	.p2align	6, 0x0
	.amdhsa_kernel _ZN7rocprim17ROCPRIM_400000_NS6detail17trampoline_kernelINS0_14default_configENS1_38merge_sort_block_merge_config_selectorImNS0_10empty_typeEEEZZNS1_27merge_sort_block_merge_implIS3_PmPS5_jNS1_19radix_merge_compareILb1ELb1EmNS0_19identity_decomposerEEEEE10hipError_tT0_T1_T2_jT3_P12ihipStream_tbPNSt15iterator_traitsISE_E10value_typeEPNSK_ISF_E10value_typeEPSG_NS1_7vsmem_tEENKUlT_SE_SF_SG_E_clIS8_S8_S9_S9_EESD_ST_SE_SF_SG_EUlST_E1_NS1_11comp_targetILNS1_3genE8ELNS1_11target_archE1030ELNS1_3gpuE2ELNS1_3repE0EEENS1_36merge_oddeven_config_static_selectorELNS0_4arch9wavefront6targetE0EEEvSF_
		.amdhsa_group_segment_fixed_size 0
		.amdhsa_private_segment_fixed_size 0
		.amdhsa_kernarg_size 48
		.amdhsa_user_sgpr_count 2
		.amdhsa_user_sgpr_dispatch_ptr 0
		.amdhsa_user_sgpr_queue_ptr 0
		.amdhsa_user_sgpr_kernarg_segment_ptr 1
		.amdhsa_user_sgpr_dispatch_id 0
		.amdhsa_user_sgpr_kernarg_preload_length 0
		.amdhsa_user_sgpr_kernarg_preload_offset 0
		.amdhsa_user_sgpr_private_segment_size 0
		.amdhsa_wavefront_size32 1
		.amdhsa_uses_dynamic_stack 0
		.amdhsa_enable_private_segment 0
		.amdhsa_system_sgpr_workgroup_id_x 1
		.amdhsa_system_sgpr_workgroup_id_y 0
		.amdhsa_system_sgpr_workgroup_id_z 0
		.amdhsa_system_sgpr_workgroup_info 0
		.amdhsa_system_vgpr_workitem_id 0
		.amdhsa_next_free_vgpr 1
		.amdhsa_next_free_sgpr 1
		.amdhsa_named_barrier_count 0
		.amdhsa_reserve_vcc 0
		.amdhsa_float_round_mode_32 0
		.amdhsa_float_round_mode_16_64 0
		.amdhsa_float_denorm_mode_32 3
		.amdhsa_float_denorm_mode_16_64 3
		.amdhsa_fp16_overflow 0
		.amdhsa_memory_ordered 1
		.amdhsa_forward_progress 1
		.amdhsa_inst_pref_size 0
		.amdhsa_round_robin_scheduling 0
		.amdhsa_exception_fp_ieee_invalid_op 0
		.amdhsa_exception_fp_denorm_src 0
		.amdhsa_exception_fp_ieee_div_zero 0
		.amdhsa_exception_fp_ieee_overflow 0
		.amdhsa_exception_fp_ieee_underflow 0
		.amdhsa_exception_fp_ieee_inexact 0
		.amdhsa_exception_int_div_zero 0
	.end_amdhsa_kernel
	.section	.text._ZN7rocprim17ROCPRIM_400000_NS6detail17trampoline_kernelINS0_14default_configENS1_38merge_sort_block_merge_config_selectorImNS0_10empty_typeEEEZZNS1_27merge_sort_block_merge_implIS3_PmPS5_jNS1_19radix_merge_compareILb1ELb1EmNS0_19identity_decomposerEEEEE10hipError_tT0_T1_T2_jT3_P12ihipStream_tbPNSt15iterator_traitsISE_E10value_typeEPNSK_ISF_E10value_typeEPSG_NS1_7vsmem_tEENKUlT_SE_SF_SG_E_clIS8_S8_S9_S9_EESD_ST_SE_SF_SG_EUlST_E1_NS1_11comp_targetILNS1_3genE8ELNS1_11target_archE1030ELNS1_3gpuE2ELNS1_3repE0EEENS1_36merge_oddeven_config_static_selectorELNS0_4arch9wavefront6targetE0EEEvSF_,"axG",@progbits,_ZN7rocprim17ROCPRIM_400000_NS6detail17trampoline_kernelINS0_14default_configENS1_38merge_sort_block_merge_config_selectorImNS0_10empty_typeEEEZZNS1_27merge_sort_block_merge_implIS3_PmPS5_jNS1_19radix_merge_compareILb1ELb1EmNS0_19identity_decomposerEEEEE10hipError_tT0_T1_T2_jT3_P12ihipStream_tbPNSt15iterator_traitsISE_E10value_typeEPNSK_ISF_E10value_typeEPSG_NS1_7vsmem_tEENKUlT_SE_SF_SG_E_clIS8_S8_S9_S9_EESD_ST_SE_SF_SG_EUlST_E1_NS1_11comp_targetILNS1_3genE8ELNS1_11target_archE1030ELNS1_3gpuE2ELNS1_3repE0EEENS1_36merge_oddeven_config_static_selectorELNS0_4arch9wavefront6targetE0EEEvSF_,comdat
.Lfunc_end2853:
	.size	_ZN7rocprim17ROCPRIM_400000_NS6detail17trampoline_kernelINS0_14default_configENS1_38merge_sort_block_merge_config_selectorImNS0_10empty_typeEEEZZNS1_27merge_sort_block_merge_implIS3_PmPS5_jNS1_19radix_merge_compareILb1ELb1EmNS0_19identity_decomposerEEEEE10hipError_tT0_T1_T2_jT3_P12ihipStream_tbPNSt15iterator_traitsISE_E10value_typeEPNSK_ISF_E10value_typeEPSG_NS1_7vsmem_tEENKUlT_SE_SF_SG_E_clIS8_S8_S9_S9_EESD_ST_SE_SF_SG_EUlST_E1_NS1_11comp_targetILNS1_3genE8ELNS1_11target_archE1030ELNS1_3gpuE2ELNS1_3repE0EEENS1_36merge_oddeven_config_static_selectorELNS0_4arch9wavefront6targetE0EEEvSF_, .Lfunc_end2853-_ZN7rocprim17ROCPRIM_400000_NS6detail17trampoline_kernelINS0_14default_configENS1_38merge_sort_block_merge_config_selectorImNS0_10empty_typeEEEZZNS1_27merge_sort_block_merge_implIS3_PmPS5_jNS1_19radix_merge_compareILb1ELb1EmNS0_19identity_decomposerEEEEE10hipError_tT0_T1_T2_jT3_P12ihipStream_tbPNSt15iterator_traitsISE_E10value_typeEPNSK_ISF_E10value_typeEPSG_NS1_7vsmem_tEENKUlT_SE_SF_SG_E_clIS8_S8_S9_S9_EESD_ST_SE_SF_SG_EUlST_E1_NS1_11comp_targetILNS1_3genE8ELNS1_11target_archE1030ELNS1_3gpuE2ELNS1_3repE0EEENS1_36merge_oddeven_config_static_selectorELNS0_4arch9wavefront6targetE0EEEvSF_
                                        ; -- End function
	.set _ZN7rocprim17ROCPRIM_400000_NS6detail17trampoline_kernelINS0_14default_configENS1_38merge_sort_block_merge_config_selectorImNS0_10empty_typeEEEZZNS1_27merge_sort_block_merge_implIS3_PmPS5_jNS1_19radix_merge_compareILb1ELb1EmNS0_19identity_decomposerEEEEE10hipError_tT0_T1_T2_jT3_P12ihipStream_tbPNSt15iterator_traitsISE_E10value_typeEPNSK_ISF_E10value_typeEPSG_NS1_7vsmem_tEENKUlT_SE_SF_SG_E_clIS8_S8_S9_S9_EESD_ST_SE_SF_SG_EUlST_E1_NS1_11comp_targetILNS1_3genE8ELNS1_11target_archE1030ELNS1_3gpuE2ELNS1_3repE0EEENS1_36merge_oddeven_config_static_selectorELNS0_4arch9wavefront6targetE0EEEvSF_.num_vgpr, 0
	.set _ZN7rocprim17ROCPRIM_400000_NS6detail17trampoline_kernelINS0_14default_configENS1_38merge_sort_block_merge_config_selectorImNS0_10empty_typeEEEZZNS1_27merge_sort_block_merge_implIS3_PmPS5_jNS1_19radix_merge_compareILb1ELb1EmNS0_19identity_decomposerEEEEE10hipError_tT0_T1_T2_jT3_P12ihipStream_tbPNSt15iterator_traitsISE_E10value_typeEPNSK_ISF_E10value_typeEPSG_NS1_7vsmem_tEENKUlT_SE_SF_SG_E_clIS8_S8_S9_S9_EESD_ST_SE_SF_SG_EUlST_E1_NS1_11comp_targetILNS1_3genE8ELNS1_11target_archE1030ELNS1_3gpuE2ELNS1_3repE0EEENS1_36merge_oddeven_config_static_selectorELNS0_4arch9wavefront6targetE0EEEvSF_.num_agpr, 0
	.set _ZN7rocprim17ROCPRIM_400000_NS6detail17trampoline_kernelINS0_14default_configENS1_38merge_sort_block_merge_config_selectorImNS0_10empty_typeEEEZZNS1_27merge_sort_block_merge_implIS3_PmPS5_jNS1_19radix_merge_compareILb1ELb1EmNS0_19identity_decomposerEEEEE10hipError_tT0_T1_T2_jT3_P12ihipStream_tbPNSt15iterator_traitsISE_E10value_typeEPNSK_ISF_E10value_typeEPSG_NS1_7vsmem_tEENKUlT_SE_SF_SG_E_clIS8_S8_S9_S9_EESD_ST_SE_SF_SG_EUlST_E1_NS1_11comp_targetILNS1_3genE8ELNS1_11target_archE1030ELNS1_3gpuE2ELNS1_3repE0EEENS1_36merge_oddeven_config_static_selectorELNS0_4arch9wavefront6targetE0EEEvSF_.numbered_sgpr, 0
	.set _ZN7rocprim17ROCPRIM_400000_NS6detail17trampoline_kernelINS0_14default_configENS1_38merge_sort_block_merge_config_selectorImNS0_10empty_typeEEEZZNS1_27merge_sort_block_merge_implIS3_PmPS5_jNS1_19radix_merge_compareILb1ELb1EmNS0_19identity_decomposerEEEEE10hipError_tT0_T1_T2_jT3_P12ihipStream_tbPNSt15iterator_traitsISE_E10value_typeEPNSK_ISF_E10value_typeEPSG_NS1_7vsmem_tEENKUlT_SE_SF_SG_E_clIS8_S8_S9_S9_EESD_ST_SE_SF_SG_EUlST_E1_NS1_11comp_targetILNS1_3genE8ELNS1_11target_archE1030ELNS1_3gpuE2ELNS1_3repE0EEENS1_36merge_oddeven_config_static_selectorELNS0_4arch9wavefront6targetE0EEEvSF_.num_named_barrier, 0
	.set _ZN7rocprim17ROCPRIM_400000_NS6detail17trampoline_kernelINS0_14default_configENS1_38merge_sort_block_merge_config_selectorImNS0_10empty_typeEEEZZNS1_27merge_sort_block_merge_implIS3_PmPS5_jNS1_19radix_merge_compareILb1ELb1EmNS0_19identity_decomposerEEEEE10hipError_tT0_T1_T2_jT3_P12ihipStream_tbPNSt15iterator_traitsISE_E10value_typeEPNSK_ISF_E10value_typeEPSG_NS1_7vsmem_tEENKUlT_SE_SF_SG_E_clIS8_S8_S9_S9_EESD_ST_SE_SF_SG_EUlST_E1_NS1_11comp_targetILNS1_3genE8ELNS1_11target_archE1030ELNS1_3gpuE2ELNS1_3repE0EEENS1_36merge_oddeven_config_static_selectorELNS0_4arch9wavefront6targetE0EEEvSF_.private_seg_size, 0
	.set _ZN7rocprim17ROCPRIM_400000_NS6detail17trampoline_kernelINS0_14default_configENS1_38merge_sort_block_merge_config_selectorImNS0_10empty_typeEEEZZNS1_27merge_sort_block_merge_implIS3_PmPS5_jNS1_19radix_merge_compareILb1ELb1EmNS0_19identity_decomposerEEEEE10hipError_tT0_T1_T2_jT3_P12ihipStream_tbPNSt15iterator_traitsISE_E10value_typeEPNSK_ISF_E10value_typeEPSG_NS1_7vsmem_tEENKUlT_SE_SF_SG_E_clIS8_S8_S9_S9_EESD_ST_SE_SF_SG_EUlST_E1_NS1_11comp_targetILNS1_3genE8ELNS1_11target_archE1030ELNS1_3gpuE2ELNS1_3repE0EEENS1_36merge_oddeven_config_static_selectorELNS0_4arch9wavefront6targetE0EEEvSF_.uses_vcc, 0
	.set _ZN7rocprim17ROCPRIM_400000_NS6detail17trampoline_kernelINS0_14default_configENS1_38merge_sort_block_merge_config_selectorImNS0_10empty_typeEEEZZNS1_27merge_sort_block_merge_implIS3_PmPS5_jNS1_19radix_merge_compareILb1ELb1EmNS0_19identity_decomposerEEEEE10hipError_tT0_T1_T2_jT3_P12ihipStream_tbPNSt15iterator_traitsISE_E10value_typeEPNSK_ISF_E10value_typeEPSG_NS1_7vsmem_tEENKUlT_SE_SF_SG_E_clIS8_S8_S9_S9_EESD_ST_SE_SF_SG_EUlST_E1_NS1_11comp_targetILNS1_3genE8ELNS1_11target_archE1030ELNS1_3gpuE2ELNS1_3repE0EEENS1_36merge_oddeven_config_static_selectorELNS0_4arch9wavefront6targetE0EEEvSF_.uses_flat_scratch, 0
	.set _ZN7rocprim17ROCPRIM_400000_NS6detail17trampoline_kernelINS0_14default_configENS1_38merge_sort_block_merge_config_selectorImNS0_10empty_typeEEEZZNS1_27merge_sort_block_merge_implIS3_PmPS5_jNS1_19radix_merge_compareILb1ELb1EmNS0_19identity_decomposerEEEEE10hipError_tT0_T1_T2_jT3_P12ihipStream_tbPNSt15iterator_traitsISE_E10value_typeEPNSK_ISF_E10value_typeEPSG_NS1_7vsmem_tEENKUlT_SE_SF_SG_E_clIS8_S8_S9_S9_EESD_ST_SE_SF_SG_EUlST_E1_NS1_11comp_targetILNS1_3genE8ELNS1_11target_archE1030ELNS1_3gpuE2ELNS1_3repE0EEENS1_36merge_oddeven_config_static_selectorELNS0_4arch9wavefront6targetE0EEEvSF_.has_dyn_sized_stack, 0
	.set _ZN7rocprim17ROCPRIM_400000_NS6detail17trampoline_kernelINS0_14default_configENS1_38merge_sort_block_merge_config_selectorImNS0_10empty_typeEEEZZNS1_27merge_sort_block_merge_implIS3_PmPS5_jNS1_19radix_merge_compareILb1ELb1EmNS0_19identity_decomposerEEEEE10hipError_tT0_T1_T2_jT3_P12ihipStream_tbPNSt15iterator_traitsISE_E10value_typeEPNSK_ISF_E10value_typeEPSG_NS1_7vsmem_tEENKUlT_SE_SF_SG_E_clIS8_S8_S9_S9_EESD_ST_SE_SF_SG_EUlST_E1_NS1_11comp_targetILNS1_3genE8ELNS1_11target_archE1030ELNS1_3gpuE2ELNS1_3repE0EEENS1_36merge_oddeven_config_static_selectorELNS0_4arch9wavefront6targetE0EEEvSF_.has_recursion, 0
	.set _ZN7rocprim17ROCPRIM_400000_NS6detail17trampoline_kernelINS0_14default_configENS1_38merge_sort_block_merge_config_selectorImNS0_10empty_typeEEEZZNS1_27merge_sort_block_merge_implIS3_PmPS5_jNS1_19radix_merge_compareILb1ELb1EmNS0_19identity_decomposerEEEEE10hipError_tT0_T1_T2_jT3_P12ihipStream_tbPNSt15iterator_traitsISE_E10value_typeEPNSK_ISF_E10value_typeEPSG_NS1_7vsmem_tEENKUlT_SE_SF_SG_E_clIS8_S8_S9_S9_EESD_ST_SE_SF_SG_EUlST_E1_NS1_11comp_targetILNS1_3genE8ELNS1_11target_archE1030ELNS1_3gpuE2ELNS1_3repE0EEENS1_36merge_oddeven_config_static_selectorELNS0_4arch9wavefront6targetE0EEEvSF_.has_indirect_call, 0
	.section	.AMDGPU.csdata,"",@progbits
; Kernel info:
; codeLenInByte = 0
; TotalNumSgprs: 0
; NumVgprs: 0
; ScratchSize: 0
; MemoryBound: 0
; FloatMode: 240
; IeeeMode: 1
; LDSByteSize: 0 bytes/workgroup (compile time only)
; SGPRBlocks: 0
; VGPRBlocks: 0
; NumSGPRsForWavesPerEU: 1
; NumVGPRsForWavesPerEU: 1
; NamedBarCnt: 0
; Occupancy: 16
; WaveLimiterHint : 0
; COMPUTE_PGM_RSRC2:SCRATCH_EN: 0
; COMPUTE_PGM_RSRC2:USER_SGPR: 2
; COMPUTE_PGM_RSRC2:TRAP_HANDLER: 0
; COMPUTE_PGM_RSRC2:TGID_X_EN: 1
; COMPUTE_PGM_RSRC2:TGID_Y_EN: 0
; COMPUTE_PGM_RSRC2:TGID_Z_EN: 0
; COMPUTE_PGM_RSRC2:TIDIG_COMP_CNT: 0
	.section	.text._ZN7rocprim17ROCPRIM_400000_NS6detail17trampoline_kernelINS0_14default_configENS1_35radix_sort_onesweep_config_selectorImNS0_10empty_typeEEEZNS1_34radix_sort_onesweep_global_offsetsIS3_Lb1EPKmPS5_mNS0_19identity_decomposerEEE10hipError_tT1_T2_PT3_SF_jT4_jjP12ihipStream_tbEUlT_E_NS1_11comp_targetILNS1_3genE0ELNS1_11target_archE4294967295ELNS1_3gpuE0ELNS1_3repE0EEENS1_52radix_sort_onesweep_histogram_config_static_selectorELNS0_4arch9wavefront6targetE0EEEvSD_,"axG",@progbits,_ZN7rocprim17ROCPRIM_400000_NS6detail17trampoline_kernelINS0_14default_configENS1_35radix_sort_onesweep_config_selectorImNS0_10empty_typeEEEZNS1_34radix_sort_onesweep_global_offsetsIS3_Lb1EPKmPS5_mNS0_19identity_decomposerEEE10hipError_tT1_T2_PT3_SF_jT4_jjP12ihipStream_tbEUlT_E_NS1_11comp_targetILNS1_3genE0ELNS1_11target_archE4294967295ELNS1_3gpuE0ELNS1_3repE0EEENS1_52radix_sort_onesweep_histogram_config_static_selectorELNS0_4arch9wavefront6targetE0EEEvSD_,comdat
	.protected	_ZN7rocprim17ROCPRIM_400000_NS6detail17trampoline_kernelINS0_14default_configENS1_35radix_sort_onesweep_config_selectorImNS0_10empty_typeEEEZNS1_34radix_sort_onesweep_global_offsetsIS3_Lb1EPKmPS5_mNS0_19identity_decomposerEEE10hipError_tT1_T2_PT3_SF_jT4_jjP12ihipStream_tbEUlT_E_NS1_11comp_targetILNS1_3genE0ELNS1_11target_archE4294967295ELNS1_3gpuE0ELNS1_3repE0EEENS1_52radix_sort_onesweep_histogram_config_static_selectorELNS0_4arch9wavefront6targetE0EEEvSD_ ; -- Begin function _ZN7rocprim17ROCPRIM_400000_NS6detail17trampoline_kernelINS0_14default_configENS1_35radix_sort_onesweep_config_selectorImNS0_10empty_typeEEEZNS1_34radix_sort_onesweep_global_offsetsIS3_Lb1EPKmPS5_mNS0_19identity_decomposerEEE10hipError_tT1_T2_PT3_SF_jT4_jjP12ihipStream_tbEUlT_E_NS1_11comp_targetILNS1_3genE0ELNS1_11target_archE4294967295ELNS1_3gpuE0ELNS1_3repE0EEENS1_52radix_sort_onesweep_histogram_config_static_selectorELNS0_4arch9wavefront6targetE0EEEvSD_
	.globl	_ZN7rocprim17ROCPRIM_400000_NS6detail17trampoline_kernelINS0_14default_configENS1_35radix_sort_onesweep_config_selectorImNS0_10empty_typeEEEZNS1_34radix_sort_onesweep_global_offsetsIS3_Lb1EPKmPS5_mNS0_19identity_decomposerEEE10hipError_tT1_T2_PT3_SF_jT4_jjP12ihipStream_tbEUlT_E_NS1_11comp_targetILNS1_3genE0ELNS1_11target_archE4294967295ELNS1_3gpuE0ELNS1_3repE0EEENS1_52radix_sort_onesweep_histogram_config_static_selectorELNS0_4arch9wavefront6targetE0EEEvSD_
	.p2align	8
	.type	_ZN7rocprim17ROCPRIM_400000_NS6detail17trampoline_kernelINS0_14default_configENS1_35radix_sort_onesweep_config_selectorImNS0_10empty_typeEEEZNS1_34radix_sort_onesweep_global_offsetsIS3_Lb1EPKmPS5_mNS0_19identity_decomposerEEE10hipError_tT1_T2_PT3_SF_jT4_jjP12ihipStream_tbEUlT_E_NS1_11comp_targetILNS1_3genE0ELNS1_11target_archE4294967295ELNS1_3gpuE0ELNS1_3repE0EEENS1_52radix_sort_onesweep_histogram_config_static_selectorELNS0_4arch9wavefront6targetE0EEEvSD_,@function
_ZN7rocprim17ROCPRIM_400000_NS6detail17trampoline_kernelINS0_14default_configENS1_35radix_sort_onesweep_config_selectorImNS0_10empty_typeEEEZNS1_34radix_sort_onesweep_global_offsetsIS3_Lb1EPKmPS5_mNS0_19identity_decomposerEEE10hipError_tT1_T2_PT3_SF_jT4_jjP12ihipStream_tbEUlT_E_NS1_11comp_targetILNS1_3genE0ELNS1_11target_archE4294967295ELNS1_3gpuE0ELNS1_3repE0EEENS1_52radix_sort_onesweep_histogram_config_static_selectorELNS0_4arch9wavefront6targetE0EEEvSD_: ; @_ZN7rocprim17ROCPRIM_400000_NS6detail17trampoline_kernelINS0_14default_configENS1_35radix_sort_onesweep_config_selectorImNS0_10empty_typeEEEZNS1_34radix_sort_onesweep_global_offsetsIS3_Lb1EPKmPS5_mNS0_19identity_decomposerEEE10hipError_tT1_T2_PT3_SF_jT4_jjP12ihipStream_tbEUlT_E_NS1_11comp_targetILNS1_3genE0ELNS1_11target_archE4294967295ELNS1_3gpuE0ELNS1_3repE0EEENS1_52radix_sort_onesweep_histogram_config_static_selectorELNS0_4arch9wavefront6targetE0EEEvSD_
; %bb.0:
	s_clause 0x1
	s_load_b64 s[8:9], s[0:1], 0x18
	s_load_b128 s[4:7], s[0:1], 0x0
	s_bfe_u32 s10, ttmp6, 0x4000c
	s_load_b64 s[2:3], s[0:1], 0x24
	s_add_co_i32 s10, s10, 1
	s_and_b32 s11, ttmp6, 15
	s_mul_i32 s10, ttmp9, s10
	s_getreg_b32 s12, hwreg(HW_REG_IB_STS2, 6, 4)
	s_add_co_i32 s10, s11, s10
	s_cmp_eq_u32 s12, 0
	s_mov_b32 s11, 0
	s_cselect_b32 s10, ttmp9, s10
	s_wait_kmcnt 0x0
	v_cmp_le_u64_e64 s9, s[8:9], s[10:11]
	s_lshl_b64 s[10:11], s[10:11], 15
	s_delay_alu instid0(SALU_CYCLE_1)
	s_add_nc_u64 s[4:5], s[4:5], s[10:11]
	s_and_b32 vcc_lo, exec_lo, s9
	s_mov_b32 s9, -1
	s_cbranch_vccz .LBB2854_321
; %bb.1:
	s_load_b32 s0, s[0:1], 0x10
	s_wait_xcnt 0x0
	s_lshl_b32 s1, s8, 12
                                        ; implicit-def: $vgpr16_vgpr17
	s_wait_kmcnt 0x0
	s_sub_co_i32 s1, s0, s1
	s_mov_b32 s0, exec_lo
	v_cmpx_gt_u32_e64 s1, v0
	s_cbranch_execz .LBB2854_3
; %bb.2:
	global_load_b64 v[2:3], v0, s[4:5] scale_offset
	s_wait_loadcnt 0x0
	v_not_b32_e32 v17, v3
	v_not_b32_e32 v16, v2
.LBB2854_3:
	s_or_b32 exec_lo, exec_lo, s0
	v_or_b32_e32 v24, 0x200, v0
	s_mov_b32 s0, exec_lo
                                        ; implicit-def: $vgpr14_vgpr15
	s_delay_alu instid0(VALU_DEP_1)
	v_cmpx_gt_u32_e64 s1, v24
	s_cbranch_execz .LBB2854_5
; %bb.4:
	global_load_b64 v[2:3], v0, s[4:5] offset:4096 scale_offset
	s_wait_loadcnt 0x0
	v_not_b32_e32 v15, v3
	v_not_b32_e32 v14, v2
.LBB2854_5:
	s_or_b32 exec_lo, exec_lo, s0
	v_or_b32_e32 v23, 0x400, v0
	s_mov_b32 s0, exec_lo
                                        ; implicit-def: $vgpr12_vgpr13
	s_delay_alu instid0(VALU_DEP_1)
	v_cmpx_gt_u32_e64 s1, v23
	s_cbranch_execz .LBB2854_7
; %bb.6:
	global_load_b64 v[2:3], v0, s[4:5] offset:8192 scale_offset
	s_wait_loadcnt 0x0
	v_not_b32_e32 v13, v3
	v_not_b32_e32 v12, v2
.LBB2854_7:
	s_or_b32 exec_lo, exec_lo, s0
	v_or_b32_e32 v22, 0x600, v0
	s_mov_b32 s0, exec_lo
                                        ; implicit-def: $vgpr10_vgpr11
	s_delay_alu instid0(VALU_DEP_1)
	v_cmpx_gt_u32_e64 s1, v22
	s_cbranch_execz .LBB2854_9
; %bb.8:
	global_load_b64 v[2:3], v0, s[4:5] offset:12288 scale_offset
	s_wait_loadcnt 0x0
	v_not_b32_e32 v11, v3
	v_not_b32_e32 v10, v2
.LBB2854_9:
	s_or_b32 exec_lo, exec_lo, s0
	v_or_b32_e32 v21, 0x800, v0
	s_mov_b32 s0, exec_lo
                                        ; implicit-def: $vgpr8_vgpr9
	s_delay_alu instid0(VALU_DEP_1)
	v_cmpx_gt_u32_e64 s1, v21
	s_cbranch_execz .LBB2854_11
; %bb.10:
	global_load_b64 v[2:3], v0, s[4:5] offset:16384 scale_offset
	s_wait_loadcnt 0x0
	v_not_b32_e32 v9, v3
	v_not_b32_e32 v8, v2
.LBB2854_11:
	s_or_b32 exec_lo, exec_lo, s0
	v_or_b32_e32 v20, 0xa00, v0
	s_mov_b32 s0, exec_lo
                                        ; implicit-def: $vgpr6_vgpr7
	s_delay_alu instid0(VALU_DEP_1)
	v_cmpx_gt_u32_e64 s1, v20
	s_cbranch_execz .LBB2854_13
; %bb.12:
	global_load_b64 v[2:3], v0, s[4:5] offset:20480 scale_offset
	s_wait_loadcnt 0x0
	v_not_b32_e32 v7, v3
	v_not_b32_e32 v6, v2
.LBB2854_13:
	s_or_b32 exec_lo, exec_lo, s0
	v_or_b32_e32 v19, 0xc00, v0
	s_mov_b32 s0, exec_lo
                                        ; implicit-def: $vgpr4_vgpr5
	s_delay_alu instid0(VALU_DEP_1)
	v_cmpx_gt_u32_e64 s1, v19
	s_cbranch_execz .LBB2854_15
; %bb.14:
	global_load_b64 v[2:3], v0, s[4:5] offset:24576 scale_offset
	s_wait_loadcnt 0x0
	v_not_b32_e32 v5, v3
	v_not_b32_e32 v4, v2
.LBB2854_15:
	s_or_b32 exec_lo, exec_lo, s0
	v_or_b32_e32 v18, 0xe00, v0
	s_mov_b32 s0, exec_lo
                                        ; implicit-def: $vgpr2_vgpr3
	s_delay_alu instid0(VALU_DEP_1)
	v_cmpx_gt_u32_e64 s1, v18
	s_cbranch_execz .LBB2854_17
; %bb.16:
	global_load_b64 v[2:3], v0, s[4:5] offset:28672 scale_offset
	s_wait_loadcnt 0x0
	v_not_b32_e32 v3, v3
	v_not_b32_e32 v2, v2
.LBB2854_17:
	s_or_b32 exec_lo, exec_lo, s0
	v_or_b32_e32 v1, 0xfffffe00, v0
	v_dual_mov_b32 v26, 0 :: v_dual_lshlrev_b32 v25, 2, v0
	s_mov_b32 s0, 0
.LBB2854_18:                            ; =>This Inner Loop Header: Depth=1
	s_delay_alu instid0(VALU_DEP_2) | instskip(SKIP_4) | instid1(SALU_CYCLE_1)
	v_add_nc_u32_e32 v1, 0x200, v1
	ds_store_b32 v25, v26
	v_add_nc_u32_e32 v25, 0x800, v25
	v_cmp_lt_u32_e32 vcc_lo, 0x1dff, v1
	s_or_b32 s0, vcc_lo, s0
	s_and_not1_b32 exec_lo, exec_lo, s0
	s_cbranch_execnz .LBB2854_18
; %bb.19:
	s_or_b32 exec_lo, exec_lo, s0
	s_cmp_le_u32 s3, s2
	v_cmp_le_u32_e32 vcc_lo, s1, v0
	s_cselect_b32 s8, -1, 0
	s_wait_dscnt 0x0
	s_and_b32 s0, s8, exec_lo
	s_cselect_b32 s9, 8, 10
	s_delay_alu instid0(SALU_CYCLE_1)
	v_dual_mov_b32 v25, s9 :: v_dual_bitop2_b32 v1, 3, v0 bitop3:0x40
	s_nor_b32 s10, s8, vcc_lo
	s_barrier_signal -1
	s_barrier_wait -1
	s_and_saveexec_b32 s0, s10
	s_cbranch_execz .LBB2854_21
; %bb.20:
	v_lshrrev_b64 v[26:27], s2, v[16:17]
	s_sub_co_i32 s10, s3, s2
	v_lshlrev_b32_e32 v25, 2, v1
	s_min_u32 s10, s10, 8
	s_delay_alu instid0(VALU_DEP_2) | instid1(SALU_CYCLE_1)
	v_bfe_u32 v26, v26, 0, s10
	s_delay_alu instid0(VALU_DEP_1)
	v_lshl_or_b32 v25, v26, 4, v25
	v_mov_b32_e32 v26, 1
	ds_add_u32 v25, v26
	v_mov_b32_e32 v25, 0
.LBB2854_21:
	s_or_b32 exec_lo, exec_lo, s0
	s_mov_b32 s11, -1
	s_mov_b32 s10, exec_lo
	s_delay_alu instid0(VALU_DEP_1)
	v_cmpx_gt_i32_e32 10, v25
; %bb.22:
	v_cmp_eq_u32_e64 s0, 0, v25
	s_or_not1_b32 s11, s0, exec_lo
; %bb.23:
	s_or_b32 exec_lo, exec_lo, s10
	s_and_saveexec_b32 s10, s11
	s_cbranch_execz .LBB2854_56
; %bb.24:
	s_add_co_i32 s11, s2, 8
	s_delay_alu instid0(SALU_CYCLE_1) | instskip(SKIP_1) | instid1(SALU_CYCLE_1)
	s_cmp_le_u32 s3, s11
	s_cselect_b32 s0, -1, 0
	s_and_b32 s12, s0, exec_lo
	s_cselect_b32 s12, 8, 10
	s_delay_alu instid0(SALU_CYCLE_1) | instskip(SKIP_1) | instid1(SALU_CYCLE_1)
	v_mov_b32_e32 v25, s12
	s_nor_b32 s12, s0, vcc_lo
	s_and_saveexec_b32 s0, s12
	s_cbranch_execz .LBB2854_26
; %bb.25:
	v_lshrrev_b64 v[26:27], s11, v[16:17]
	s_sub_co_i32 s11, s3, s11
	v_lshlrev_b32_e32 v25, 2, v1
	s_min_u32 s11, s11, 8
	s_delay_alu instid0(VALU_DEP_2) | instid1(SALU_CYCLE_1)
	v_bfe_u32 v26, v26, 0, s11
	s_delay_alu instid0(VALU_DEP_1)
	v_lshl_or_b32 v25, v26, 4, v25
	v_mov_b32_e32 v26, 1
	ds_add_u32 v25, v26 offset:4096
	v_mov_b32_e32 v25, 0
.LBB2854_26:
	s_or_b32 exec_lo, exec_lo, s0
	s_mov_b32 s11, -1
	s_mov_b32 s12, exec_lo
	s_delay_alu instid0(VALU_DEP_1)
	v_cmpx_gt_i32_e32 10, v25
; %bb.27:
	v_cmp_eq_u32_e64 s0, 0, v25
	s_or_not1_b32 s11, s0, exec_lo
; %bb.28:
	s_or_b32 exec_lo, exec_lo, s12
	s_delay_alu instid0(SALU_CYCLE_1)
	s_and_b32 exec_lo, exec_lo, s11
	s_cbranch_execz .LBB2854_56
; %bb.29:
	s_add_co_i32 s11, s2, 16
	s_delay_alu instid0(SALU_CYCLE_1) | instskip(SKIP_1) | instid1(SALU_CYCLE_1)
	s_cmp_le_u32 s3, s11
	s_cselect_b32 s0, -1, 0
	s_and_b32 s12, s0, exec_lo
	s_cselect_b32 s12, 8, 10
	s_delay_alu instid0(SALU_CYCLE_1) | instskip(SKIP_1) | instid1(SALU_CYCLE_1)
	v_mov_b32_e32 v25, s12
	s_nor_b32 s12, s0, vcc_lo
	s_and_saveexec_b32 s0, s12
	s_cbranch_execz .LBB2854_31
; %bb.30:
	v_lshrrev_b64 v[26:27], s11, v[16:17]
	s_sub_co_i32 s11, s3, s11
	v_lshlrev_b32_e32 v25, 2, v1
	s_min_u32 s11, s11, 8
	s_delay_alu instid0(VALU_DEP_2) | instid1(SALU_CYCLE_1)
	v_bfe_u32 v26, v26, 0, s11
	s_delay_alu instid0(VALU_DEP_1)
	v_lshl_or_b32 v25, v26, 4, v25
	v_mov_b32_e32 v26, 1
	ds_add_u32 v25, v26 offset:8192
	v_mov_b32_e32 v25, 0
.LBB2854_31:
	s_or_b32 exec_lo, exec_lo, s0
	s_mov_b32 s11, -1
	s_mov_b32 s12, exec_lo
	s_delay_alu instid0(VALU_DEP_1)
	v_cmpx_gt_i32_e32 10, v25
; %bb.32:
	v_cmp_eq_u32_e64 s0, 0, v25
	s_or_not1_b32 s11, s0, exec_lo
; %bb.33:
	s_or_b32 exec_lo, exec_lo, s12
	s_delay_alu instid0(SALU_CYCLE_1)
	s_and_b32 exec_lo, exec_lo, s11
	;; [unrolled: 38-line block ×6, first 2 shown]
	s_cbranch_execz .LBB2854_56
; %bb.54:
	s_add_co_i32 s0, s2, 56
	s_delay_alu instid0(SALU_CYCLE_1) | instskip(SKIP_2) | instid1(SALU_CYCLE_1)
	s_cmp_gt_u32 s3, s0
	s_cselect_b32 s11, -1, 0
	s_xor_b32 s12, vcc_lo, -1
	s_and_b32 s11, s11, s12
	s_delay_alu instid0(SALU_CYCLE_1)
	s_and_b32 exec_lo, exec_lo, s11
	s_cbranch_execz .LBB2854_56
; %bb.55:
	v_lshrrev_b64 v[16:17], s0, v[16:17]
	s_sub_co_i32 s0, s3, s0
	v_lshlrev_b32_e32 v17, 2, v1
	s_min_u32 s0, s0, 8
	s_delay_alu instid0(VALU_DEP_2) | instid1(SALU_CYCLE_1)
	v_bfe_u32 v16, v16, 0, s0
	s_delay_alu instid0(VALU_DEP_1)
	v_lshl_or_b32 v16, v16, 4, v17
	v_mov_b32_e32 v17, 1
	ds_add_u32 v16, v17 offset:28672
.LBB2854_56:
	s_or_b32 exec_lo, exec_lo, s10
	v_cmp_le_u32_e32 vcc_lo, s1, v24
	v_mov_b32_e32 v16, s9
	s_nor_b32 s10, s8, vcc_lo
	s_delay_alu instid0(SALU_CYCLE_1)
	s_and_saveexec_b32 s0, s10
	s_cbranch_execz .LBB2854_58
; %bb.57:
	v_lshrrev_b64 v[16:17], s2, v[14:15]
	s_sub_co_i32 s10, s3, s2
	v_lshlrev_b32_e32 v17, 2, v1
	s_min_u32 s10, s10, 8
	s_delay_alu instid0(VALU_DEP_2) | instid1(SALU_CYCLE_1)
	v_bfe_u32 v16, v16, 0, s10
	s_delay_alu instid0(VALU_DEP_1)
	v_lshl_or_b32 v16, v16, 4, v17
	v_mov_b32_e32 v17, 1
	ds_add_u32 v16, v17
	v_mov_b32_e32 v16, 0
.LBB2854_58:
	s_or_b32 exec_lo, exec_lo, s0
	s_mov_b32 s11, -1
	s_mov_b32 s10, exec_lo
	s_delay_alu instid0(VALU_DEP_1)
	v_cmpx_gt_i32_e32 10, v16
; %bb.59:
	v_cmp_eq_u32_e64 s0, 0, v16
	s_or_not1_b32 s11, s0, exec_lo
; %bb.60:
	s_or_b32 exec_lo, exec_lo, s10
	s_and_saveexec_b32 s10, s11
	s_cbranch_execz .LBB2854_93
; %bb.61:
	s_add_co_i32 s11, s2, 8
	s_delay_alu instid0(SALU_CYCLE_1) | instskip(SKIP_1) | instid1(SALU_CYCLE_1)
	s_cmp_le_u32 s3, s11
	s_cselect_b32 s0, -1, 0
	s_and_b32 s12, s0, exec_lo
	s_cselect_b32 s12, 8, 10
	s_delay_alu instid0(SALU_CYCLE_1) | instskip(SKIP_1) | instid1(SALU_CYCLE_1)
	v_mov_b32_e32 v16, s12
	s_nor_b32 s12, s0, vcc_lo
	s_and_saveexec_b32 s0, s12
	s_cbranch_execz .LBB2854_63
; %bb.62:
	v_lshrrev_b64 v[16:17], s11, v[14:15]
	s_sub_co_i32 s11, s3, s11
	v_lshlrev_b32_e32 v17, 2, v1
	s_min_u32 s11, s11, 8
	s_delay_alu instid0(VALU_DEP_2) | instid1(SALU_CYCLE_1)
	v_bfe_u32 v16, v16, 0, s11
	s_delay_alu instid0(VALU_DEP_1)
	v_lshl_or_b32 v16, v16, 4, v17
	v_mov_b32_e32 v17, 1
	ds_add_u32 v16, v17 offset:4096
	v_mov_b32_e32 v16, 0
.LBB2854_63:
	s_or_b32 exec_lo, exec_lo, s0
	s_mov_b32 s11, -1
	s_mov_b32 s12, exec_lo
	s_delay_alu instid0(VALU_DEP_1)
	v_cmpx_gt_i32_e32 10, v16
; %bb.64:
	v_cmp_eq_u32_e64 s0, 0, v16
	s_or_not1_b32 s11, s0, exec_lo
; %bb.65:
	s_or_b32 exec_lo, exec_lo, s12
	s_delay_alu instid0(SALU_CYCLE_1)
	s_and_b32 exec_lo, exec_lo, s11
	s_cbranch_execz .LBB2854_93
; %bb.66:
	s_add_co_i32 s11, s2, 16
	s_delay_alu instid0(SALU_CYCLE_1) | instskip(SKIP_1) | instid1(SALU_CYCLE_1)
	s_cmp_le_u32 s3, s11
	s_cselect_b32 s0, -1, 0
	s_and_b32 s12, s0, exec_lo
	s_cselect_b32 s12, 8, 10
	s_delay_alu instid0(SALU_CYCLE_1) | instskip(SKIP_1) | instid1(SALU_CYCLE_1)
	v_mov_b32_e32 v16, s12
	s_nor_b32 s12, s0, vcc_lo
	s_and_saveexec_b32 s0, s12
	s_cbranch_execz .LBB2854_68
; %bb.67:
	v_lshrrev_b64 v[16:17], s11, v[14:15]
	s_sub_co_i32 s11, s3, s11
	v_lshlrev_b32_e32 v17, 2, v1
	s_min_u32 s11, s11, 8
	s_delay_alu instid0(VALU_DEP_2) | instid1(SALU_CYCLE_1)
	v_bfe_u32 v16, v16, 0, s11
	s_delay_alu instid0(VALU_DEP_1)
	v_lshl_or_b32 v16, v16, 4, v17
	v_mov_b32_e32 v17, 1
	ds_add_u32 v16, v17 offset:8192
	v_mov_b32_e32 v16, 0
.LBB2854_68:
	s_or_b32 exec_lo, exec_lo, s0
	s_mov_b32 s11, -1
	s_mov_b32 s12, exec_lo
	s_delay_alu instid0(VALU_DEP_1)
	v_cmpx_gt_i32_e32 10, v16
; %bb.69:
	v_cmp_eq_u32_e64 s0, 0, v16
	s_or_not1_b32 s11, s0, exec_lo
; %bb.70:
	s_or_b32 exec_lo, exec_lo, s12
	s_delay_alu instid0(SALU_CYCLE_1)
	s_and_b32 exec_lo, exec_lo, s11
	;; [unrolled: 38-line block ×6, first 2 shown]
	s_cbranch_execz .LBB2854_93
; %bb.91:
	s_add_co_i32 s0, s2, 56
	s_delay_alu instid0(SALU_CYCLE_1) | instskip(SKIP_2) | instid1(SALU_CYCLE_1)
	s_cmp_gt_u32 s3, s0
	s_cselect_b32 s11, -1, 0
	s_xor_b32 s12, vcc_lo, -1
	s_and_b32 s11, s11, s12
	s_delay_alu instid0(SALU_CYCLE_1)
	s_and_b32 exec_lo, exec_lo, s11
	s_cbranch_execz .LBB2854_93
; %bb.92:
	v_lshrrev_b64 v[14:15], s0, v[14:15]
	s_sub_co_i32 s0, s3, s0
	v_lshlrev_b32_e32 v15, 2, v1
	s_min_u32 s0, s0, 8
	s_delay_alu instid0(VALU_DEP_2) | instid1(SALU_CYCLE_1)
	v_bfe_u32 v14, v14, 0, s0
	s_delay_alu instid0(VALU_DEP_1)
	v_lshl_or_b32 v14, v14, 4, v15
	v_mov_b32_e32 v15, 1
	ds_add_u32 v14, v15 offset:28672
.LBB2854_93:
	s_or_b32 exec_lo, exec_lo, s10
	v_cmp_le_u32_e32 vcc_lo, s1, v23
	v_mov_b32_e32 v14, s9
	s_nor_b32 s10, s8, vcc_lo
	s_delay_alu instid0(SALU_CYCLE_1)
	s_and_saveexec_b32 s0, s10
	s_cbranch_execz .LBB2854_95
; %bb.94:
	v_lshrrev_b64 v[14:15], s2, v[12:13]
	s_sub_co_i32 s10, s3, s2
	v_lshlrev_b32_e32 v15, 2, v1
	s_min_u32 s10, s10, 8
	s_delay_alu instid0(VALU_DEP_2) | instid1(SALU_CYCLE_1)
	v_bfe_u32 v14, v14, 0, s10
	s_delay_alu instid0(VALU_DEP_1)
	v_lshl_or_b32 v14, v14, 4, v15
	v_mov_b32_e32 v15, 1
	ds_add_u32 v14, v15
	v_mov_b32_e32 v14, 0
.LBB2854_95:
	s_or_b32 exec_lo, exec_lo, s0
	s_mov_b32 s11, -1
	s_mov_b32 s10, exec_lo
	s_delay_alu instid0(VALU_DEP_1)
	v_cmpx_gt_i32_e32 10, v14
; %bb.96:
	v_cmp_eq_u32_e64 s0, 0, v14
	s_or_not1_b32 s11, s0, exec_lo
; %bb.97:
	s_or_b32 exec_lo, exec_lo, s10
	s_and_saveexec_b32 s10, s11
	s_cbranch_execz .LBB2854_130
; %bb.98:
	s_add_co_i32 s11, s2, 8
	s_delay_alu instid0(SALU_CYCLE_1) | instskip(SKIP_1) | instid1(SALU_CYCLE_1)
	s_cmp_le_u32 s3, s11
	s_cselect_b32 s0, -1, 0
	s_and_b32 s12, s0, exec_lo
	s_cselect_b32 s12, 8, 10
	s_delay_alu instid0(SALU_CYCLE_1) | instskip(SKIP_1) | instid1(SALU_CYCLE_1)
	v_mov_b32_e32 v14, s12
	s_nor_b32 s12, s0, vcc_lo
	s_and_saveexec_b32 s0, s12
	s_cbranch_execz .LBB2854_100
; %bb.99:
	v_lshrrev_b64 v[14:15], s11, v[12:13]
	s_sub_co_i32 s11, s3, s11
	v_lshlrev_b32_e32 v15, 2, v1
	s_min_u32 s11, s11, 8
	s_delay_alu instid0(VALU_DEP_2) | instid1(SALU_CYCLE_1)
	v_bfe_u32 v14, v14, 0, s11
	s_delay_alu instid0(VALU_DEP_1)
	v_lshl_or_b32 v14, v14, 4, v15
	v_mov_b32_e32 v15, 1
	ds_add_u32 v14, v15 offset:4096
	v_mov_b32_e32 v14, 0
.LBB2854_100:
	s_or_b32 exec_lo, exec_lo, s0
	s_mov_b32 s11, -1
	s_mov_b32 s12, exec_lo
	s_delay_alu instid0(VALU_DEP_1)
	v_cmpx_gt_i32_e32 10, v14
; %bb.101:
	v_cmp_eq_u32_e64 s0, 0, v14
	s_or_not1_b32 s11, s0, exec_lo
; %bb.102:
	s_or_b32 exec_lo, exec_lo, s12
	s_delay_alu instid0(SALU_CYCLE_1)
	s_and_b32 exec_lo, exec_lo, s11
	s_cbranch_execz .LBB2854_130
; %bb.103:
	s_add_co_i32 s11, s2, 16
	s_delay_alu instid0(SALU_CYCLE_1) | instskip(SKIP_1) | instid1(SALU_CYCLE_1)
	s_cmp_le_u32 s3, s11
	s_cselect_b32 s0, -1, 0
	s_and_b32 s12, s0, exec_lo
	s_cselect_b32 s12, 8, 10
	s_delay_alu instid0(SALU_CYCLE_1) | instskip(SKIP_1) | instid1(SALU_CYCLE_1)
	v_mov_b32_e32 v14, s12
	s_nor_b32 s12, s0, vcc_lo
	s_and_saveexec_b32 s0, s12
	s_cbranch_execz .LBB2854_105
; %bb.104:
	v_lshrrev_b64 v[14:15], s11, v[12:13]
	s_sub_co_i32 s11, s3, s11
	v_lshlrev_b32_e32 v15, 2, v1
	s_min_u32 s11, s11, 8
	s_delay_alu instid0(VALU_DEP_2) | instid1(SALU_CYCLE_1)
	v_bfe_u32 v14, v14, 0, s11
	s_delay_alu instid0(VALU_DEP_1)
	v_lshl_or_b32 v14, v14, 4, v15
	v_mov_b32_e32 v15, 1
	ds_add_u32 v14, v15 offset:8192
	v_mov_b32_e32 v14, 0
.LBB2854_105:
	s_or_b32 exec_lo, exec_lo, s0
	s_mov_b32 s11, -1
	s_mov_b32 s12, exec_lo
	s_delay_alu instid0(VALU_DEP_1)
	v_cmpx_gt_i32_e32 10, v14
; %bb.106:
	v_cmp_eq_u32_e64 s0, 0, v14
	s_or_not1_b32 s11, s0, exec_lo
; %bb.107:
	s_or_b32 exec_lo, exec_lo, s12
	s_delay_alu instid0(SALU_CYCLE_1)
	s_and_b32 exec_lo, exec_lo, s11
	;; [unrolled: 38-line block ×6, first 2 shown]
	s_cbranch_execz .LBB2854_130
; %bb.128:
	s_add_co_i32 s0, s2, 56
	s_delay_alu instid0(SALU_CYCLE_1) | instskip(SKIP_2) | instid1(SALU_CYCLE_1)
	s_cmp_gt_u32 s3, s0
	s_cselect_b32 s11, -1, 0
	s_xor_b32 s12, vcc_lo, -1
	s_and_b32 s11, s11, s12
	s_delay_alu instid0(SALU_CYCLE_1)
	s_and_b32 exec_lo, exec_lo, s11
	s_cbranch_execz .LBB2854_130
; %bb.129:
	v_lshrrev_b64 v[12:13], s0, v[12:13]
	s_sub_co_i32 s0, s3, s0
	v_lshlrev_b32_e32 v13, 2, v1
	s_min_u32 s0, s0, 8
	s_delay_alu instid0(VALU_DEP_2) | instid1(SALU_CYCLE_1)
	v_bfe_u32 v12, v12, 0, s0
	s_delay_alu instid0(VALU_DEP_1)
	v_lshl_or_b32 v12, v12, 4, v13
	v_mov_b32_e32 v13, 1
	ds_add_u32 v12, v13 offset:28672
.LBB2854_130:
	s_or_b32 exec_lo, exec_lo, s10
	v_cmp_le_u32_e32 vcc_lo, s1, v22
	v_mov_b32_e32 v12, s9
	s_nor_b32 s10, s8, vcc_lo
	s_delay_alu instid0(SALU_CYCLE_1)
	s_and_saveexec_b32 s0, s10
	s_cbranch_execz .LBB2854_132
; %bb.131:
	v_lshrrev_b64 v[12:13], s2, v[10:11]
	s_sub_co_i32 s10, s3, s2
	v_lshlrev_b32_e32 v13, 2, v1
	s_min_u32 s10, s10, 8
	s_delay_alu instid0(VALU_DEP_2) | instid1(SALU_CYCLE_1)
	v_bfe_u32 v12, v12, 0, s10
	s_delay_alu instid0(VALU_DEP_1)
	v_lshl_or_b32 v12, v12, 4, v13
	v_mov_b32_e32 v13, 1
	ds_add_u32 v12, v13
	v_mov_b32_e32 v12, 0
.LBB2854_132:
	s_or_b32 exec_lo, exec_lo, s0
	s_mov_b32 s11, -1
	s_mov_b32 s10, exec_lo
	s_delay_alu instid0(VALU_DEP_1)
	v_cmpx_gt_i32_e32 10, v12
; %bb.133:
	v_cmp_eq_u32_e64 s0, 0, v12
	s_or_not1_b32 s11, s0, exec_lo
; %bb.134:
	s_or_b32 exec_lo, exec_lo, s10
	s_and_saveexec_b32 s10, s11
	s_cbranch_execz .LBB2854_167
; %bb.135:
	s_add_co_i32 s11, s2, 8
	s_delay_alu instid0(SALU_CYCLE_1) | instskip(SKIP_1) | instid1(SALU_CYCLE_1)
	s_cmp_le_u32 s3, s11
	s_cselect_b32 s0, -1, 0
	s_and_b32 s12, s0, exec_lo
	s_cselect_b32 s12, 8, 10
	s_delay_alu instid0(SALU_CYCLE_1) | instskip(SKIP_1) | instid1(SALU_CYCLE_1)
	v_mov_b32_e32 v12, s12
	s_nor_b32 s12, s0, vcc_lo
	s_and_saveexec_b32 s0, s12
	s_cbranch_execz .LBB2854_137
; %bb.136:
	v_lshrrev_b64 v[12:13], s11, v[10:11]
	s_sub_co_i32 s11, s3, s11
	v_lshlrev_b32_e32 v13, 2, v1
	s_min_u32 s11, s11, 8
	s_delay_alu instid0(VALU_DEP_2) | instid1(SALU_CYCLE_1)
	v_bfe_u32 v12, v12, 0, s11
	s_delay_alu instid0(VALU_DEP_1)
	v_lshl_or_b32 v12, v12, 4, v13
	v_mov_b32_e32 v13, 1
	ds_add_u32 v12, v13 offset:4096
	v_mov_b32_e32 v12, 0
.LBB2854_137:
	s_or_b32 exec_lo, exec_lo, s0
	s_mov_b32 s11, -1
	s_mov_b32 s12, exec_lo
	s_delay_alu instid0(VALU_DEP_1)
	v_cmpx_gt_i32_e32 10, v12
; %bb.138:
	v_cmp_eq_u32_e64 s0, 0, v12
	s_or_not1_b32 s11, s0, exec_lo
; %bb.139:
	s_or_b32 exec_lo, exec_lo, s12
	s_delay_alu instid0(SALU_CYCLE_1)
	s_and_b32 exec_lo, exec_lo, s11
	s_cbranch_execz .LBB2854_167
; %bb.140:
	s_add_co_i32 s11, s2, 16
	s_delay_alu instid0(SALU_CYCLE_1) | instskip(SKIP_1) | instid1(SALU_CYCLE_1)
	s_cmp_le_u32 s3, s11
	s_cselect_b32 s0, -1, 0
	s_and_b32 s12, s0, exec_lo
	s_cselect_b32 s12, 8, 10
	s_delay_alu instid0(SALU_CYCLE_1) | instskip(SKIP_1) | instid1(SALU_CYCLE_1)
	v_mov_b32_e32 v12, s12
	s_nor_b32 s12, s0, vcc_lo
	s_and_saveexec_b32 s0, s12
	s_cbranch_execz .LBB2854_142
; %bb.141:
	v_lshrrev_b64 v[12:13], s11, v[10:11]
	s_sub_co_i32 s11, s3, s11
	v_lshlrev_b32_e32 v13, 2, v1
	s_min_u32 s11, s11, 8
	s_delay_alu instid0(VALU_DEP_2) | instid1(SALU_CYCLE_1)
	v_bfe_u32 v12, v12, 0, s11
	s_delay_alu instid0(VALU_DEP_1)
	v_lshl_or_b32 v12, v12, 4, v13
	v_mov_b32_e32 v13, 1
	ds_add_u32 v12, v13 offset:8192
	v_mov_b32_e32 v12, 0
.LBB2854_142:
	s_or_b32 exec_lo, exec_lo, s0
	s_mov_b32 s11, -1
	s_mov_b32 s12, exec_lo
	s_delay_alu instid0(VALU_DEP_1)
	v_cmpx_gt_i32_e32 10, v12
; %bb.143:
	v_cmp_eq_u32_e64 s0, 0, v12
	s_or_not1_b32 s11, s0, exec_lo
; %bb.144:
	s_or_b32 exec_lo, exec_lo, s12
	s_delay_alu instid0(SALU_CYCLE_1)
	s_and_b32 exec_lo, exec_lo, s11
	;; [unrolled: 38-line block ×6, first 2 shown]
	s_cbranch_execz .LBB2854_167
; %bb.165:
	s_add_co_i32 s0, s2, 56
	s_delay_alu instid0(SALU_CYCLE_1) | instskip(SKIP_2) | instid1(SALU_CYCLE_1)
	s_cmp_gt_u32 s3, s0
	s_cselect_b32 s11, -1, 0
	s_xor_b32 s12, vcc_lo, -1
	s_and_b32 s11, s11, s12
	s_delay_alu instid0(SALU_CYCLE_1)
	s_and_b32 exec_lo, exec_lo, s11
	s_cbranch_execz .LBB2854_167
; %bb.166:
	v_lshrrev_b64 v[10:11], s0, v[10:11]
	s_sub_co_i32 s0, s3, s0
	v_lshlrev_b32_e32 v11, 2, v1
	s_min_u32 s0, s0, 8
	s_delay_alu instid0(VALU_DEP_2) | instid1(SALU_CYCLE_1)
	v_bfe_u32 v10, v10, 0, s0
	s_delay_alu instid0(VALU_DEP_1)
	v_lshl_or_b32 v10, v10, 4, v11
	v_mov_b32_e32 v11, 1
	ds_add_u32 v10, v11 offset:28672
.LBB2854_167:
	s_or_b32 exec_lo, exec_lo, s10
	v_cmp_le_u32_e32 vcc_lo, s1, v21
	v_mov_b32_e32 v10, s9
	s_nor_b32 s10, s8, vcc_lo
	s_delay_alu instid0(SALU_CYCLE_1)
	s_and_saveexec_b32 s0, s10
	s_cbranch_execz .LBB2854_169
; %bb.168:
	v_lshrrev_b64 v[10:11], s2, v[8:9]
	s_sub_co_i32 s10, s3, s2
	v_lshlrev_b32_e32 v11, 2, v1
	s_min_u32 s10, s10, 8
	s_delay_alu instid0(VALU_DEP_2) | instid1(SALU_CYCLE_1)
	v_bfe_u32 v10, v10, 0, s10
	s_delay_alu instid0(VALU_DEP_1)
	v_lshl_or_b32 v10, v10, 4, v11
	v_mov_b32_e32 v11, 1
	ds_add_u32 v10, v11
	v_mov_b32_e32 v10, 0
.LBB2854_169:
	s_or_b32 exec_lo, exec_lo, s0
	s_mov_b32 s11, -1
	s_mov_b32 s10, exec_lo
	s_delay_alu instid0(VALU_DEP_1)
	v_cmpx_gt_i32_e32 10, v10
; %bb.170:
	v_cmp_eq_u32_e64 s0, 0, v10
	s_or_not1_b32 s11, s0, exec_lo
; %bb.171:
	s_or_b32 exec_lo, exec_lo, s10
	s_and_saveexec_b32 s10, s11
	s_cbranch_execz .LBB2854_204
; %bb.172:
	s_add_co_i32 s11, s2, 8
	s_delay_alu instid0(SALU_CYCLE_1) | instskip(SKIP_1) | instid1(SALU_CYCLE_1)
	s_cmp_le_u32 s3, s11
	s_cselect_b32 s0, -1, 0
	s_and_b32 s12, s0, exec_lo
	s_cselect_b32 s12, 8, 10
	s_delay_alu instid0(SALU_CYCLE_1) | instskip(SKIP_1) | instid1(SALU_CYCLE_1)
	v_mov_b32_e32 v10, s12
	s_nor_b32 s12, s0, vcc_lo
	s_and_saveexec_b32 s0, s12
	s_cbranch_execz .LBB2854_174
; %bb.173:
	v_lshrrev_b64 v[10:11], s11, v[8:9]
	s_sub_co_i32 s11, s3, s11
	v_lshlrev_b32_e32 v11, 2, v1
	s_min_u32 s11, s11, 8
	s_delay_alu instid0(VALU_DEP_2) | instid1(SALU_CYCLE_1)
	v_bfe_u32 v10, v10, 0, s11
	s_delay_alu instid0(VALU_DEP_1)
	v_lshl_or_b32 v10, v10, 4, v11
	v_mov_b32_e32 v11, 1
	ds_add_u32 v10, v11 offset:4096
	v_mov_b32_e32 v10, 0
.LBB2854_174:
	s_or_b32 exec_lo, exec_lo, s0
	s_mov_b32 s11, -1
	s_mov_b32 s12, exec_lo
	s_delay_alu instid0(VALU_DEP_1)
	v_cmpx_gt_i32_e32 10, v10
; %bb.175:
	v_cmp_eq_u32_e64 s0, 0, v10
	s_or_not1_b32 s11, s0, exec_lo
; %bb.176:
	s_or_b32 exec_lo, exec_lo, s12
	s_delay_alu instid0(SALU_CYCLE_1)
	s_and_b32 exec_lo, exec_lo, s11
	s_cbranch_execz .LBB2854_204
; %bb.177:
	s_add_co_i32 s11, s2, 16
	s_delay_alu instid0(SALU_CYCLE_1) | instskip(SKIP_1) | instid1(SALU_CYCLE_1)
	s_cmp_le_u32 s3, s11
	s_cselect_b32 s0, -1, 0
	s_and_b32 s12, s0, exec_lo
	s_cselect_b32 s12, 8, 10
	s_delay_alu instid0(SALU_CYCLE_1) | instskip(SKIP_1) | instid1(SALU_CYCLE_1)
	v_mov_b32_e32 v10, s12
	s_nor_b32 s12, s0, vcc_lo
	s_and_saveexec_b32 s0, s12
	s_cbranch_execz .LBB2854_179
; %bb.178:
	v_lshrrev_b64 v[10:11], s11, v[8:9]
	s_sub_co_i32 s11, s3, s11
	v_lshlrev_b32_e32 v11, 2, v1
	s_min_u32 s11, s11, 8
	s_delay_alu instid0(VALU_DEP_2) | instid1(SALU_CYCLE_1)
	v_bfe_u32 v10, v10, 0, s11
	s_delay_alu instid0(VALU_DEP_1)
	v_lshl_or_b32 v10, v10, 4, v11
	v_mov_b32_e32 v11, 1
	ds_add_u32 v10, v11 offset:8192
	v_mov_b32_e32 v10, 0
.LBB2854_179:
	s_or_b32 exec_lo, exec_lo, s0
	s_mov_b32 s11, -1
	s_mov_b32 s12, exec_lo
	s_delay_alu instid0(VALU_DEP_1)
	v_cmpx_gt_i32_e32 10, v10
; %bb.180:
	v_cmp_eq_u32_e64 s0, 0, v10
	s_or_not1_b32 s11, s0, exec_lo
; %bb.181:
	s_or_b32 exec_lo, exec_lo, s12
	s_delay_alu instid0(SALU_CYCLE_1)
	s_and_b32 exec_lo, exec_lo, s11
	;; [unrolled: 38-line block ×6, first 2 shown]
	s_cbranch_execz .LBB2854_204
; %bb.202:
	s_add_co_i32 s0, s2, 56
	s_delay_alu instid0(SALU_CYCLE_1) | instskip(SKIP_2) | instid1(SALU_CYCLE_1)
	s_cmp_gt_u32 s3, s0
	s_cselect_b32 s11, -1, 0
	s_xor_b32 s12, vcc_lo, -1
	s_and_b32 s11, s11, s12
	s_delay_alu instid0(SALU_CYCLE_1)
	s_and_b32 exec_lo, exec_lo, s11
	s_cbranch_execz .LBB2854_204
; %bb.203:
	v_lshrrev_b64 v[8:9], s0, v[8:9]
	s_sub_co_i32 s0, s3, s0
	v_lshlrev_b32_e32 v9, 2, v1
	s_min_u32 s0, s0, 8
	s_delay_alu instid0(VALU_DEP_2) | instid1(SALU_CYCLE_1)
	v_bfe_u32 v8, v8, 0, s0
	s_delay_alu instid0(VALU_DEP_1)
	v_lshl_or_b32 v8, v8, 4, v9
	v_mov_b32_e32 v9, 1
	ds_add_u32 v8, v9 offset:28672
.LBB2854_204:
	s_or_b32 exec_lo, exec_lo, s10
	v_cmp_le_u32_e32 vcc_lo, s1, v20
	v_mov_b32_e32 v8, s9
	s_nor_b32 s10, s8, vcc_lo
	s_delay_alu instid0(SALU_CYCLE_1)
	s_and_saveexec_b32 s0, s10
	s_cbranch_execz .LBB2854_206
; %bb.205:
	v_lshrrev_b64 v[8:9], s2, v[6:7]
	s_sub_co_i32 s10, s3, s2
	v_lshlrev_b32_e32 v9, 2, v1
	s_min_u32 s10, s10, 8
	s_delay_alu instid0(VALU_DEP_2) | instid1(SALU_CYCLE_1)
	v_bfe_u32 v8, v8, 0, s10
	s_delay_alu instid0(VALU_DEP_1)
	v_lshl_or_b32 v8, v8, 4, v9
	v_mov_b32_e32 v9, 1
	ds_add_u32 v8, v9
	v_mov_b32_e32 v8, 0
.LBB2854_206:
	s_or_b32 exec_lo, exec_lo, s0
	s_mov_b32 s11, -1
	s_mov_b32 s10, exec_lo
	s_delay_alu instid0(VALU_DEP_1)
	v_cmpx_gt_i32_e32 10, v8
; %bb.207:
	v_cmp_eq_u32_e64 s0, 0, v8
	s_or_not1_b32 s11, s0, exec_lo
; %bb.208:
	s_or_b32 exec_lo, exec_lo, s10
	s_and_saveexec_b32 s10, s11
	s_cbranch_execz .LBB2854_241
; %bb.209:
	s_add_co_i32 s11, s2, 8
	s_delay_alu instid0(SALU_CYCLE_1) | instskip(SKIP_1) | instid1(SALU_CYCLE_1)
	s_cmp_le_u32 s3, s11
	s_cselect_b32 s0, -1, 0
	s_and_b32 s12, s0, exec_lo
	s_cselect_b32 s12, 8, 10
	s_delay_alu instid0(SALU_CYCLE_1) | instskip(SKIP_1) | instid1(SALU_CYCLE_1)
	v_mov_b32_e32 v8, s12
	s_nor_b32 s12, s0, vcc_lo
	s_and_saveexec_b32 s0, s12
	s_cbranch_execz .LBB2854_211
; %bb.210:
	v_lshrrev_b64 v[8:9], s11, v[6:7]
	s_sub_co_i32 s11, s3, s11
	v_lshlrev_b32_e32 v9, 2, v1
	s_min_u32 s11, s11, 8
	s_delay_alu instid0(VALU_DEP_2) | instid1(SALU_CYCLE_1)
	v_bfe_u32 v8, v8, 0, s11
	s_delay_alu instid0(VALU_DEP_1)
	v_lshl_or_b32 v8, v8, 4, v9
	v_mov_b32_e32 v9, 1
	ds_add_u32 v8, v9 offset:4096
	v_mov_b32_e32 v8, 0
.LBB2854_211:
	s_or_b32 exec_lo, exec_lo, s0
	s_mov_b32 s11, -1
	s_mov_b32 s12, exec_lo
	s_delay_alu instid0(VALU_DEP_1)
	v_cmpx_gt_i32_e32 10, v8
; %bb.212:
	v_cmp_eq_u32_e64 s0, 0, v8
	s_or_not1_b32 s11, s0, exec_lo
; %bb.213:
	s_or_b32 exec_lo, exec_lo, s12
	s_delay_alu instid0(SALU_CYCLE_1)
	s_and_b32 exec_lo, exec_lo, s11
	s_cbranch_execz .LBB2854_241
; %bb.214:
	s_add_co_i32 s11, s2, 16
	s_delay_alu instid0(SALU_CYCLE_1) | instskip(SKIP_1) | instid1(SALU_CYCLE_1)
	s_cmp_le_u32 s3, s11
	s_cselect_b32 s0, -1, 0
	s_and_b32 s12, s0, exec_lo
	s_cselect_b32 s12, 8, 10
	s_delay_alu instid0(SALU_CYCLE_1) | instskip(SKIP_1) | instid1(SALU_CYCLE_1)
	v_mov_b32_e32 v8, s12
	s_nor_b32 s12, s0, vcc_lo
	s_and_saveexec_b32 s0, s12
	s_cbranch_execz .LBB2854_216
; %bb.215:
	v_lshrrev_b64 v[8:9], s11, v[6:7]
	s_sub_co_i32 s11, s3, s11
	v_lshlrev_b32_e32 v9, 2, v1
	s_min_u32 s11, s11, 8
	s_delay_alu instid0(VALU_DEP_2) | instid1(SALU_CYCLE_1)
	v_bfe_u32 v8, v8, 0, s11
	s_delay_alu instid0(VALU_DEP_1)
	v_lshl_or_b32 v8, v8, 4, v9
	v_mov_b32_e32 v9, 1
	ds_add_u32 v8, v9 offset:8192
	v_mov_b32_e32 v8, 0
.LBB2854_216:
	s_or_b32 exec_lo, exec_lo, s0
	s_mov_b32 s11, -1
	s_mov_b32 s12, exec_lo
	s_delay_alu instid0(VALU_DEP_1)
	v_cmpx_gt_i32_e32 10, v8
; %bb.217:
	v_cmp_eq_u32_e64 s0, 0, v8
	s_or_not1_b32 s11, s0, exec_lo
; %bb.218:
	s_or_b32 exec_lo, exec_lo, s12
	s_delay_alu instid0(SALU_CYCLE_1)
	s_and_b32 exec_lo, exec_lo, s11
	;; [unrolled: 38-line block ×6, first 2 shown]
	s_cbranch_execz .LBB2854_241
; %bb.239:
	s_add_co_i32 s0, s2, 56
	s_delay_alu instid0(SALU_CYCLE_1) | instskip(SKIP_2) | instid1(SALU_CYCLE_1)
	s_cmp_gt_u32 s3, s0
	s_cselect_b32 s11, -1, 0
	s_xor_b32 s12, vcc_lo, -1
	s_and_b32 s11, s11, s12
	s_delay_alu instid0(SALU_CYCLE_1)
	s_and_b32 exec_lo, exec_lo, s11
	s_cbranch_execz .LBB2854_241
; %bb.240:
	v_lshrrev_b64 v[6:7], s0, v[6:7]
	s_sub_co_i32 s0, s3, s0
	v_lshlrev_b32_e32 v7, 2, v1
	s_min_u32 s0, s0, 8
	s_delay_alu instid0(VALU_DEP_2) | instid1(SALU_CYCLE_1)
	v_bfe_u32 v6, v6, 0, s0
	s_delay_alu instid0(VALU_DEP_1)
	v_lshl_or_b32 v6, v6, 4, v7
	v_mov_b32_e32 v7, 1
	ds_add_u32 v6, v7 offset:28672
.LBB2854_241:
	s_or_b32 exec_lo, exec_lo, s10
	v_cmp_le_u32_e32 vcc_lo, s1, v19
	v_mov_b32_e32 v6, s9
	s_nor_b32 s10, s8, vcc_lo
	s_delay_alu instid0(SALU_CYCLE_1)
	s_and_saveexec_b32 s0, s10
	s_cbranch_execz .LBB2854_243
; %bb.242:
	v_lshrrev_b64 v[6:7], s2, v[4:5]
	s_sub_co_i32 s10, s3, s2
	v_lshlrev_b32_e32 v7, 2, v1
	s_min_u32 s10, s10, 8
	s_delay_alu instid0(VALU_DEP_2) | instid1(SALU_CYCLE_1)
	v_bfe_u32 v6, v6, 0, s10
	s_delay_alu instid0(VALU_DEP_1)
	v_lshl_or_b32 v6, v6, 4, v7
	v_mov_b32_e32 v7, 1
	ds_add_u32 v6, v7
	v_mov_b32_e32 v6, 0
.LBB2854_243:
	s_or_b32 exec_lo, exec_lo, s0
	s_mov_b32 s11, -1
	s_mov_b32 s10, exec_lo
	s_delay_alu instid0(VALU_DEP_1)
	v_cmpx_gt_i32_e32 10, v6
; %bb.244:
	v_cmp_eq_u32_e64 s0, 0, v6
	s_or_not1_b32 s11, s0, exec_lo
; %bb.245:
	s_or_b32 exec_lo, exec_lo, s10
	s_and_saveexec_b32 s10, s11
	s_cbranch_execz .LBB2854_278
; %bb.246:
	s_add_co_i32 s11, s2, 8
	s_delay_alu instid0(SALU_CYCLE_1) | instskip(SKIP_1) | instid1(SALU_CYCLE_1)
	s_cmp_le_u32 s3, s11
	s_cselect_b32 s0, -1, 0
	s_and_b32 s12, s0, exec_lo
	s_cselect_b32 s12, 8, 10
	s_delay_alu instid0(SALU_CYCLE_1) | instskip(SKIP_1) | instid1(SALU_CYCLE_1)
	v_mov_b32_e32 v6, s12
	s_nor_b32 s12, s0, vcc_lo
	s_and_saveexec_b32 s0, s12
	s_cbranch_execz .LBB2854_248
; %bb.247:
	v_lshrrev_b64 v[6:7], s11, v[4:5]
	s_sub_co_i32 s11, s3, s11
	v_lshlrev_b32_e32 v7, 2, v1
	s_min_u32 s11, s11, 8
	s_delay_alu instid0(VALU_DEP_2) | instid1(SALU_CYCLE_1)
	v_bfe_u32 v6, v6, 0, s11
	s_delay_alu instid0(VALU_DEP_1)
	v_lshl_or_b32 v6, v6, 4, v7
	v_mov_b32_e32 v7, 1
	ds_add_u32 v6, v7 offset:4096
	v_mov_b32_e32 v6, 0
.LBB2854_248:
	s_or_b32 exec_lo, exec_lo, s0
	s_mov_b32 s11, -1
	s_mov_b32 s12, exec_lo
	s_delay_alu instid0(VALU_DEP_1)
	v_cmpx_gt_i32_e32 10, v6
; %bb.249:
	v_cmp_eq_u32_e64 s0, 0, v6
	s_or_not1_b32 s11, s0, exec_lo
; %bb.250:
	s_or_b32 exec_lo, exec_lo, s12
	s_delay_alu instid0(SALU_CYCLE_1)
	s_and_b32 exec_lo, exec_lo, s11
	s_cbranch_execz .LBB2854_278
; %bb.251:
	s_add_co_i32 s11, s2, 16
	s_delay_alu instid0(SALU_CYCLE_1) | instskip(SKIP_1) | instid1(SALU_CYCLE_1)
	s_cmp_le_u32 s3, s11
	s_cselect_b32 s0, -1, 0
	s_and_b32 s12, s0, exec_lo
	s_cselect_b32 s12, 8, 10
	s_delay_alu instid0(SALU_CYCLE_1) | instskip(SKIP_1) | instid1(SALU_CYCLE_1)
	v_mov_b32_e32 v6, s12
	s_nor_b32 s12, s0, vcc_lo
	s_and_saveexec_b32 s0, s12
	s_cbranch_execz .LBB2854_253
; %bb.252:
	v_lshrrev_b64 v[6:7], s11, v[4:5]
	s_sub_co_i32 s11, s3, s11
	v_lshlrev_b32_e32 v7, 2, v1
	s_min_u32 s11, s11, 8
	s_delay_alu instid0(VALU_DEP_2) | instid1(SALU_CYCLE_1)
	v_bfe_u32 v6, v6, 0, s11
	s_delay_alu instid0(VALU_DEP_1)
	v_lshl_or_b32 v6, v6, 4, v7
	v_mov_b32_e32 v7, 1
	ds_add_u32 v6, v7 offset:8192
	v_mov_b32_e32 v6, 0
.LBB2854_253:
	s_or_b32 exec_lo, exec_lo, s0
	s_mov_b32 s11, -1
	s_mov_b32 s12, exec_lo
	s_delay_alu instid0(VALU_DEP_1)
	v_cmpx_gt_i32_e32 10, v6
; %bb.254:
	v_cmp_eq_u32_e64 s0, 0, v6
	s_or_not1_b32 s11, s0, exec_lo
; %bb.255:
	s_or_b32 exec_lo, exec_lo, s12
	s_delay_alu instid0(SALU_CYCLE_1)
	s_and_b32 exec_lo, exec_lo, s11
	;; [unrolled: 38-line block ×6, first 2 shown]
	s_cbranch_execz .LBB2854_278
; %bb.276:
	s_add_co_i32 s0, s2, 56
	s_delay_alu instid0(SALU_CYCLE_1) | instskip(SKIP_2) | instid1(SALU_CYCLE_1)
	s_cmp_gt_u32 s3, s0
	s_cselect_b32 s11, -1, 0
	s_xor_b32 s12, vcc_lo, -1
	s_and_b32 s11, s11, s12
	s_delay_alu instid0(SALU_CYCLE_1)
	s_and_b32 exec_lo, exec_lo, s11
	s_cbranch_execz .LBB2854_278
; %bb.277:
	v_lshrrev_b64 v[4:5], s0, v[4:5]
	s_sub_co_i32 s0, s3, s0
	v_lshlrev_b32_e32 v5, 2, v1
	s_min_u32 s0, s0, 8
	s_delay_alu instid0(VALU_DEP_2) | instid1(SALU_CYCLE_1)
	v_bfe_u32 v4, v4, 0, s0
	s_delay_alu instid0(VALU_DEP_1)
	v_lshl_or_b32 v4, v4, 4, v5
	v_mov_b32_e32 v5, 1
	ds_add_u32 v4, v5 offset:28672
.LBB2854_278:
	s_or_b32 exec_lo, exec_lo, s10
	v_cmp_le_u32_e32 vcc_lo, s1, v18
	v_mov_b32_e32 v4, s9
	s_nor_b32 s1, s8, vcc_lo
	s_delay_alu instid0(SALU_CYCLE_1)
	s_and_saveexec_b32 s0, s1
	s_cbranch_execz .LBB2854_280
; %bb.279:
	v_lshrrev_b64 v[4:5], s2, v[2:3]
	s_sub_co_i32 s1, s3, s2
	v_lshlrev_b32_e32 v5, 2, v1
	s_min_u32 s1, s1, 8
	s_delay_alu instid0(VALU_DEP_2) | instid1(SALU_CYCLE_1)
	v_bfe_u32 v4, v4, 0, s1
	s_delay_alu instid0(VALU_DEP_1)
	v_lshl_or_b32 v4, v4, 4, v5
	v_mov_b32_e32 v5, 1
	ds_add_u32 v4, v5
	v_mov_b32_e32 v4, 0
.LBB2854_280:
	s_or_b32 exec_lo, exec_lo, s0
	s_mov_b32 s8, -1
	s_mov_b32 s1, exec_lo
	s_delay_alu instid0(VALU_DEP_1)
	v_cmpx_gt_i32_e32 10, v4
; %bb.281:
	v_cmp_eq_u32_e64 s0, 0, v4
	s_or_not1_b32 s8, s0, exec_lo
; %bb.282:
	s_or_b32 exec_lo, exec_lo, s1
	s_and_saveexec_b32 s1, s8
	s_cbranch_execz .LBB2854_315
; %bb.283:
	s_add_co_i32 s8, s2, 8
	s_delay_alu instid0(SALU_CYCLE_1) | instskip(SKIP_1) | instid1(SALU_CYCLE_1)
	s_cmp_le_u32 s3, s8
	s_cselect_b32 s0, -1, 0
	s_and_b32 s9, s0, exec_lo
	s_cselect_b32 s9, 8, 10
	s_delay_alu instid0(SALU_CYCLE_1) | instskip(SKIP_1) | instid1(SALU_CYCLE_1)
	v_mov_b32_e32 v4, s9
	s_nor_b32 s9, s0, vcc_lo
	s_and_saveexec_b32 s0, s9
	s_cbranch_execz .LBB2854_285
; %bb.284:
	v_lshrrev_b64 v[4:5], s8, v[2:3]
	s_sub_co_i32 s8, s3, s8
	v_lshlrev_b32_e32 v5, 2, v1
	s_min_u32 s8, s8, 8
	s_delay_alu instid0(VALU_DEP_2) | instid1(SALU_CYCLE_1)
	v_bfe_u32 v4, v4, 0, s8
	s_delay_alu instid0(VALU_DEP_1)
	v_lshl_or_b32 v4, v4, 4, v5
	v_mov_b32_e32 v5, 1
	ds_add_u32 v4, v5 offset:4096
	v_mov_b32_e32 v4, 0
.LBB2854_285:
	s_or_b32 exec_lo, exec_lo, s0
	s_mov_b32 s8, -1
	s_mov_b32 s9, exec_lo
	s_delay_alu instid0(VALU_DEP_1)
	v_cmpx_gt_i32_e32 10, v4
; %bb.286:
	v_cmp_eq_u32_e64 s0, 0, v4
	s_or_not1_b32 s8, s0, exec_lo
; %bb.287:
	s_or_b32 exec_lo, exec_lo, s9
	s_delay_alu instid0(SALU_CYCLE_1)
	s_and_b32 exec_lo, exec_lo, s8
	s_cbranch_execz .LBB2854_315
; %bb.288:
	s_add_co_i32 s8, s2, 16
	s_delay_alu instid0(SALU_CYCLE_1) | instskip(SKIP_1) | instid1(SALU_CYCLE_1)
	s_cmp_le_u32 s3, s8
	s_cselect_b32 s0, -1, 0
	s_and_b32 s9, s0, exec_lo
	s_cselect_b32 s9, 8, 10
	s_delay_alu instid0(SALU_CYCLE_1) | instskip(SKIP_1) | instid1(SALU_CYCLE_1)
	v_mov_b32_e32 v4, s9
	s_nor_b32 s9, s0, vcc_lo
	s_and_saveexec_b32 s0, s9
	s_cbranch_execz .LBB2854_290
; %bb.289:
	v_lshrrev_b64 v[4:5], s8, v[2:3]
	s_sub_co_i32 s8, s3, s8
	v_lshlrev_b32_e32 v5, 2, v1
	s_min_u32 s8, s8, 8
	s_delay_alu instid0(VALU_DEP_2) | instid1(SALU_CYCLE_1)
	v_bfe_u32 v4, v4, 0, s8
	s_delay_alu instid0(VALU_DEP_1)
	v_lshl_or_b32 v4, v4, 4, v5
	v_mov_b32_e32 v5, 1
	ds_add_u32 v4, v5 offset:8192
	v_mov_b32_e32 v4, 0
.LBB2854_290:
	s_or_b32 exec_lo, exec_lo, s0
	s_mov_b32 s8, -1
	s_mov_b32 s9, exec_lo
	s_delay_alu instid0(VALU_DEP_1)
	v_cmpx_gt_i32_e32 10, v4
; %bb.291:
	v_cmp_eq_u32_e64 s0, 0, v4
	s_or_not1_b32 s8, s0, exec_lo
; %bb.292:
	s_or_b32 exec_lo, exec_lo, s9
	s_delay_alu instid0(SALU_CYCLE_1)
	s_and_b32 exec_lo, exec_lo, s8
	;; [unrolled: 38-line block ×6, first 2 shown]
	s_cbranch_execz .LBB2854_315
; %bb.313:
	s_add_co_i32 s0, s2, 56
	s_delay_alu instid0(SALU_CYCLE_1) | instskip(SKIP_2) | instid1(SALU_CYCLE_1)
	s_cmp_gt_u32 s3, s0
	s_cselect_b32 s8, -1, 0
	s_xor_b32 s9, vcc_lo, -1
	s_and_b32 s8, s8, s9
	s_delay_alu instid0(SALU_CYCLE_1)
	s_and_b32 exec_lo, exec_lo, s8
	s_cbranch_execz .LBB2854_315
; %bb.314:
	v_lshrrev_b64 v[2:3], s0, v[2:3]
	s_sub_co_i32 s0, s3, s0
	v_lshlrev_b32_e32 v1, 2, v1
	s_min_u32 s0, s0, 8
	s_delay_alu instid0(VALU_DEP_2) | instid1(SALU_CYCLE_1)
	v_bfe_u32 v2, v2, 0, s0
	s_delay_alu instid0(VALU_DEP_1)
	v_lshl_or_b32 v1, v2, 4, v1
	v_mov_b32_e32 v2, 1
	ds_add_u32 v1, v2 offset:28672
.LBB2854_315:
	s_or_b32 exec_lo, exec_lo, s1
	s_cmp_gt_u32 s3, s2
	s_wait_dscnt 0x0
	s_barrier_signal -1
	s_barrier_wait -1
	s_cbranch_scc0 .LBB2854_320
; %bb.316:
	v_dual_lshlrev_b32 v1, 4, v0 :: v_dual_mov_b32 v3, 0
	v_mov_b32_e32 v4, v0
	s_mov_b32 s0, s2
	v_cmp_gt_u32_e32 vcc_lo, 0x100, v0
	s_branch .LBB2854_318
.LBB2854_317:                           ;   in Loop: Header=BB2854_318 Depth=1
	s_wait_xcnt 0x0
	s_or_b32 exec_lo, exec_lo, s1
	v_add_nc_u32_e32 v4, 0x100, v4
	v_add_nc_u32_e32 v1, 0x1000, v1
	s_add_co_i32 s0, s0, 8
	s_delay_alu instid0(SALU_CYCLE_1)
	s_cmp_lt_u32 s0, s3
	s_cbranch_scc0 .LBB2854_320
.LBB2854_318:                           ; =>This Inner Loop Header: Depth=1
	s_and_saveexec_b32 s1, vcc_lo
	s_cbranch_execz .LBB2854_317
; %bb.319:                              ;   in Loop: Header=BB2854_318 Depth=1
	ds_load_2addr_b32 v[6:7], v1 offset1:1
	ds_load_2addr_b32 v[8:9], v1 offset0:2 offset1:3
	s_wait_dscnt 0x1
	v_add_nc_u32_e32 v2, v7, v6
	s_wait_dscnt 0x0
	s_delay_alu instid0(VALU_DEP_1)
	v_add3_u32 v2, v2, v8, v9
	global_atomic_add_u64 v4, v[2:3], s[6:7] scale_offset scope:SCOPE_DEV
	s_branch .LBB2854_317
.LBB2854_320:
	s_mov_b32 s9, 0
.LBB2854_321:
	s_delay_alu instid0(SALU_CYCLE_1)
	s_and_b32 vcc_lo, exec_lo, s9
	s_cbranch_vccz .LBB2854_417
; %bb.322:
	s_clause 0x7
	global_load_b64 v[16:17], v0, s[4:5] scale_offset
	global_load_b64 v[14:15], v0, s[4:5] offset:4096 scale_offset
	global_load_b64 v[12:13], v0, s[4:5] offset:8192 scale_offset
	;; [unrolled: 1-line block ×7, first 2 shown]
	s_cmp_eq_u32 s2, 0
	v_dual_mov_b32 v18, 0 :: v_dual_lshlrev_b32 v24, 2, v0
	s_cselect_b32 s1, -1, 0
	s_cmp_eq_u32 s3, 64
	v_or_b32_e32 v1, 0xfffffe00, v0
	s_wait_xcnt 0x0
	s_cselect_b32 s4, -1, 0
	s_mov_b32 s0, 0
	s_and_b32 s1, s1, s4
	s_delay_alu instid0(SALU_CYCLE_1)
	s_and_b32 vcc_lo, exec_lo, s1
	s_mov_b32 s1, -1
	s_cbranch_vccnz .LBB2854_412
; %bb.323:
	v_or_b32_e32 v19, 0xfffffe00, v0
	v_lshlrev_b32_e32 v20, 2, v0
.LBB2854_324:                           ; =>This Inner Loop Header: Depth=1
	s_delay_alu instid0(VALU_DEP_2) | instskip(SKIP_4) | instid1(SALU_CYCLE_1)
	v_add_nc_u32_e32 v19, 0x200, v19
	ds_store_b32 v20, v18
	v_add_nc_u32_e32 v20, 0x800, v20
	v_cmp_lt_u32_e32 vcc_lo, 0x1dff, v19
	s_or_b32 s0, vcc_lo, s0
	s_and_not1_b32 exec_lo, exec_lo, s0
	s_cbranch_execnz .LBB2854_324
; %bb.325:
	s_or_b32 exec_lo, exec_lo, s0
	s_cmp_gt_u32 s3, s2
	s_wait_storecnt 0x0
	s_wait_loadcnt_dscnt 0x0
	s_cselect_b32 s0, -1, 0
	s_barrier_signal -1
	s_and_b32 vcc_lo, exec_lo, s0
	s_barrier_wait -1
	s_cbranch_vccz .LBB2854_406
; %bb.326:
	v_not_b32_e32 v21, v17
	v_not_b32_e32 v20, v16
	s_sub_co_i32 s1, s3, s2
	v_and_b32_e32 v25, 3, v0
	s_min_u32 s1, s1, 8
	s_add_co_i32 s4, s2, 8
	v_lshrrev_b64 v[18:19], s2, v[20:21]
	s_lshl_b32 s1, -1, s1
	v_dual_mov_b32 v19, 1 :: v_dual_lshlrev_b32 v26, 2, v25
	s_mov_b32 s9, -1
	s_mov_b32 s8, 0
	s_delay_alu instid0(VALU_DEP_2) | instskip(SKIP_3) | instid1(VALU_DEP_1)
	v_bitop3_b32 v18, v18, s1, v18 bitop3:0x30
	s_not_b32 s1, s1
	s_cmp_le_u32 s3, s4
	s_cselect_b32 s5, -1, 0
	v_lshl_or_b32 v18, v18, 4, v26
	s_and_b32 vcc_lo, exec_lo, s5
	ds_add_u32 v18, v19
	v_not_b32_e32 v19, v15
	v_not_b32_e32 v18, v14
	s_delay_alu instid0(VALU_DEP_1)
	v_lshrrev_b64 v[22:23], s2, v[18:19]
                                        ; implicit-def: $vgpr23
	s_cbranch_vccz .LBB2854_328
; %bb.327:
	s_delay_alu instid0(VALU_DEP_1) | instskip(SKIP_2) | instid1(VALU_DEP_1)
	v_and_b32_e32 v23, s1, v22
	s_mov_b32 s9, 0
	s_mov_b32 s8, -1
	v_lshlrev_b32_e32 v23, 4, v23
.LBB2854_328:
	s_and_not1_b32 vcc_lo, exec_lo, s9
	s_cbranch_vccnz .LBB2854_344
; %bb.329:
	v_lshrrev_b64 v[28:29], s4, v[20:21]
	s_sub_co_i32 s9, s3, s4
	s_delay_alu instid0(SALU_CYCLE_1) | instskip(NEXT) | instid1(SALU_CYCLE_1)
	s_min_u32 s9, s9, 8
	s_lshl_b32 s10, -1, s9
	s_add_co_i32 s9, s2, 16
	s_delay_alu instid0(VALU_DEP_1) | instskip(SKIP_3) | instid1(VALU_DEP_1)
	v_bitop3_b32 v23, v28, s10, v28 bitop3:0x30
	s_not_b32 s11, s10
	s_cmp_gt_u32 s3, s9
	s_cselect_b32 s10, -1, 0
	v_lshl_or_b32 v27, v23, 4, v26
	v_mov_b32_e32 v23, 1
	s_cmp_le_u32 s3, s9
	ds_add_u32 v27, v23 offset:4096
	s_cbranch_scc1 .LBB2854_336
; %bb.330:
	v_lshrrev_b64 v[28:29], s9, v[20:21]
	s_sub_co_i32 s12, s3, s9
	s_delay_alu instid0(SALU_CYCLE_1)
	s_min_u32 s12, s12, 8
	s_delay_alu instid0(VALU_DEP_1) | instid1(SALU_CYCLE_1)
	v_bfe_u32 v27, v28, 0, s12
	s_add_co_i32 s12, s2, 24
	s_delay_alu instid0(SALU_CYCLE_1) | instskip(NEXT) | instid1(VALU_DEP_1)
	s_cmp_le_u32 s3, s12
	v_lshl_or_b32 v27, v27, 4, v26
	ds_add_u32 v27, v23 offset:8192
	s_cbranch_scc1 .LBB2854_336
; %bb.331:
	v_lshrrev_b64 v[28:29], s12, v[20:21]
	s_sub_co_i32 s12, s3, s12
	s_delay_alu instid0(SALU_CYCLE_1)
	s_min_u32 s12, s12, 8
	s_delay_alu instid0(VALU_DEP_1) | instid1(SALU_CYCLE_1)
	v_bfe_u32 v27, v28, 0, s12
	s_add_co_i32 s12, s2, 32
	s_delay_alu instid0(SALU_CYCLE_1) | instskip(NEXT) | instid1(VALU_DEP_1)
	s_cmp_le_u32 s3, s12
	v_lshl_or_b32 v28, v27, 4, v26
	v_mov_b32_e32 v27, 1
	ds_add_u32 v28, v27 offset:12288
	s_cbranch_scc1 .LBB2854_336
; %bb.332:
	v_lshrrev_b64 v[28:29], s12, v[20:21]
	s_sub_co_i32 s12, s3, s12
	s_delay_alu instid0(SALU_CYCLE_1)
	s_min_u32 s12, s12, 8
	s_delay_alu instid0(VALU_DEP_1) | instid1(SALU_CYCLE_1)
	v_bfe_u32 v28, v28, 0, s12
	s_add_co_i32 s12, s2, 40
	s_delay_alu instid0(SALU_CYCLE_1) | instskip(NEXT) | instid1(VALU_DEP_1)
	s_cmp_le_u32 s3, s12
	v_lshl_or_b32 v28, v28, 4, v26
	ds_add_u32 v28, v27 offset:16384
	s_cbranch_scc1 .LBB2854_336
; %bb.333:
	v_lshrrev_b64 v[28:29], s12, v[20:21]
	s_sub_co_i32 s12, s3, s12
	s_delay_alu instid0(SALU_CYCLE_1)
	s_min_u32 s12, s12, 8
	s_delay_alu instid0(VALU_DEP_1) | instid1(SALU_CYCLE_1)
	v_bfe_u32 v27, v28, 0, s12
	s_add_co_i32 s12, s2, 48
	s_delay_alu instid0(SALU_CYCLE_1) | instskip(NEXT) | instid1(VALU_DEP_1)
	s_cmp_le_u32 s3, s12
	v_lshl_or_b32 v28, v27, 4, v26
	v_mov_b32_e32 v27, 1
	ds_add_u32 v28, v27 offset:20480
	s_cbranch_scc1 .LBB2854_336
; %bb.334:
	v_lshrrev_b64 v[28:29], s12, v[20:21]
	s_sub_co_i32 s12, s3, s12
	s_delay_alu instid0(SALU_CYCLE_1)
	s_min_u32 s12, s12, 8
	s_delay_alu instid0(VALU_DEP_1) | instid1(SALU_CYCLE_1)
	v_bfe_u32 v28, v28, 0, s12
	s_add_co_i32 s12, s2, 56
	s_delay_alu instid0(SALU_CYCLE_1) | instskip(NEXT) | instid1(VALU_DEP_1)
	s_cmp_le_u32 s3, s12
	v_lshl_or_b32 v28, v28, 4, v26
	ds_add_u32 v28, v27 offset:24576
	s_cbranch_scc1 .LBB2854_336
; %bb.335:
	v_lshrrev_b64 v[20:21], s12, v[20:21]
	s_sub_co_i32 s12, s3, s12
	v_mov_b32_e32 v21, 1
	s_min_u32 s12, s12, 8
	s_delay_alu instid0(VALU_DEP_2) | instid1(SALU_CYCLE_1)
	v_bfe_u32 v20, v20, 0, s12
	s_delay_alu instid0(VALU_DEP_1)
	v_lshl_or_b32 v20, v20, 4, v26
	ds_add_u32 v20, v21 offset:28672
.LBB2854_336:
	v_lshrrev_b64 v[20:21], s4, v[18:19]
	v_and_b32_e32 v21, s1, v22
	s_and_not1_b32 vcc_lo, exec_lo, s10
	s_delay_alu instid0(VALU_DEP_1) | instskip(NEXT) | instid1(VALU_DEP_3)
	v_lshl_or_b32 v21, v21, 4, v26
	v_and_b32_e32 v20, s11, v20
	s_delay_alu instid0(VALU_DEP_1)
	v_lshl_or_b32 v20, v20, 4, v26
	ds_add_u32 v21, v23
	ds_add_u32 v20, v23 offset:4096
	s_cbranch_vccnz .LBB2854_343
; %bb.337:
	v_lshrrev_b64 v[20:21], s9, v[18:19]
	s_sub_co_i32 s9, s3, s9
	s_delay_alu instid0(SALU_CYCLE_1)
	s_min_u32 s9, s9, 8
	s_delay_alu instid0(VALU_DEP_1) | instid1(SALU_CYCLE_1)
	v_bfe_u32 v20, v20, 0, s9
	s_add_co_i32 s9, s2, 24
	s_delay_alu instid0(SALU_CYCLE_1) | instskip(NEXT) | instid1(VALU_DEP_1)
	s_cmp_gt_u32 s3, s9
	v_lshl_or_b32 v21, v20, 4, v26
	v_mov_b32_e32 v20, 1
	ds_add_u32 v21, v20 offset:8192
	s_cbranch_scc0 .LBB2854_343
; %bb.338:
	v_lshrrev_b64 v[22:23], s9, v[18:19]
	s_sub_co_i32 s9, s3, s9
	s_delay_alu instid0(SALU_CYCLE_1)
	s_min_u32 s9, s9, 8
	s_delay_alu instid0(VALU_DEP_1) | instid1(SALU_CYCLE_1)
	v_bfe_u32 v21, v22, 0, s9
	s_add_co_i32 s9, s2, 32
	s_delay_alu instid0(SALU_CYCLE_1) | instskip(NEXT) | instid1(VALU_DEP_1)
	s_cmp_gt_u32 s3, s9
	v_lshl_or_b32 v21, v21, 4, v26
	ds_add_u32 v21, v20 offset:12288
	s_cbranch_scc0 .LBB2854_343
; %bb.339:
	v_lshrrev_b64 v[20:21], s9, v[18:19]
	s_sub_co_i32 s9, s3, s9
	s_delay_alu instid0(SALU_CYCLE_1)
	s_min_u32 s9, s9, 8
	s_delay_alu instid0(VALU_DEP_1) | instid1(SALU_CYCLE_1)
	v_bfe_u32 v20, v20, 0, s9
	s_add_co_i32 s9, s2, 40
	s_delay_alu instid0(SALU_CYCLE_1) | instskip(NEXT) | instid1(VALU_DEP_1)
	s_cmp_gt_u32 s3, s9
	v_lshl_or_b32 v21, v20, 4, v26
	v_mov_b32_e32 v20, 1
	ds_add_u32 v21, v20 offset:16384
	s_cbranch_scc0 .LBB2854_343
; %bb.340:
	v_lshrrev_b64 v[22:23], s9, v[18:19]
	s_sub_co_i32 s9, s3, s9
	s_delay_alu instid0(SALU_CYCLE_1)
	s_min_u32 s9, s9, 8
	s_delay_alu instid0(VALU_DEP_1) | instid1(SALU_CYCLE_1)
	v_bfe_u32 v21, v22, 0, s9
	s_add_co_i32 s9, s2, 48
	s_delay_alu instid0(SALU_CYCLE_1) | instskip(NEXT) | instid1(VALU_DEP_1)
	s_cmp_gt_u32 s3, s9
	v_lshl_or_b32 v21, v21, 4, v26
	ds_add_u32 v21, v20 offset:20480
	s_cbranch_scc0 .LBB2854_343
; %bb.341:
	v_lshrrev_b64 v[20:21], s9, v[18:19]
	s_sub_co_i32 s9, s3, s9
	v_mov_b32_e32 v21, 1
	s_min_u32 s9, s9, 8
                                        ; implicit-def: $vgpr23
	s_delay_alu instid0(VALU_DEP_2) | instid1(SALU_CYCLE_1)
	v_bfe_u32 v20, v20, 0, s9
	s_add_co_i32 s9, s2, 56
	s_delay_alu instid0(SALU_CYCLE_1) | instskip(NEXT) | instid1(VALU_DEP_1)
	s_cmp_gt_u32 s3, s9
	v_lshl_or_b32 v20, v20, 4, v26
	ds_add_u32 v20, v21 offset:24576
	s_cbranch_scc0 .LBB2854_344
; %bb.342:
	v_lshrrev_b64 v[18:19], s9, v[18:19]
	s_sub_co_i32 s8, s3, s9
	s_delay_alu instid0(SALU_CYCLE_1)
	s_min_u32 s8, s8, 8
	s_delay_alu instid0(VALU_DEP_1) | instid1(SALU_CYCLE_1)
	v_bfe_u32 v18, v18, 0, s8
	s_mov_b32 s8, -1
	s_delay_alu instid0(VALU_DEP_1)
	v_lshl_add_u32 v23, v18, 4, 0x7000
	s_branch .LBB2854_344
.LBB2854_343:
                                        ; implicit-def: $vgpr23
.LBB2854_344:
	s_and_b32 vcc_lo, exec_lo, s8
	s_cbranch_vccz .LBB2854_346
; %bb.345:
	s_delay_alu instid0(VALU_DEP_1)
	v_lshl_add_u32 v18, v25, 2, v23
	v_mov_b32_e32 v19, 1
	ds_add_u32 v18, v19
.LBB2854_346:
	v_not_b32_e32 v21, v13
	v_not_b32_e32 v20, v12
	s_and_b32 vcc_lo, exec_lo, s5
	s_delay_alu instid0(VALU_DEP_1) | instskip(NEXT) | instid1(VALU_DEP_1)
	v_lshrrev_b64 v[18:19], s2, v[20:21]
	v_dual_mov_b32 v19, 1 :: v_dual_bitop2_b32 v18, s1, v18 bitop3:0x40
	s_delay_alu instid0(VALU_DEP_1) | instskip(SKIP_3) | instid1(VALU_DEP_1)
	v_lshl_or_b32 v18, v18, 4, v26
	ds_add_u32 v18, v19
	v_not_b32_e32 v19, v11
	v_not_b32_e32 v18, v10
	v_lshrrev_b64 v[22:23], s2, v[18:19]
	s_cbranch_vccz .LBB2854_348
; %bb.347:
	s_delay_alu instid0(VALU_DEP_1) | instskip(SKIP_1) | instid1(VALU_DEP_1)
	v_and_b32_e32 v23, s1, v22
	s_mov_b32 s8, -1
	v_lshlrev_b32_e32 v23, 4, v23
	s_cbranch_execz .LBB2854_349
	s_branch .LBB2854_364
.LBB2854_348:
	s_mov_b32 s8, 0
                                        ; implicit-def: $vgpr23
.LBB2854_349:
	v_lshrrev_b64 v[28:29], s4, v[20:21]
	s_sub_co_i32 s9, s3, s4
	s_delay_alu instid0(SALU_CYCLE_1) | instskip(NEXT) | instid1(SALU_CYCLE_1)
	s_min_u32 s9, s9, 8
	s_lshl_b32 s10, -1, s9
	s_add_co_i32 s9, s2, 16
	s_delay_alu instid0(VALU_DEP_1) | instskip(SKIP_3) | instid1(VALU_DEP_1)
	v_bitop3_b32 v23, v28, s10, v28 bitop3:0x30
	s_not_b32 s11, s10
	s_cmp_gt_u32 s3, s9
	s_cselect_b32 s10, -1, 0
	v_lshl_or_b32 v27, v23, 4, v26
	v_mov_b32_e32 v23, 1
	s_cmp_le_u32 s3, s9
	ds_add_u32 v27, v23 offset:4096
	s_cbranch_scc1 .LBB2854_356
; %bb.350:
	v_lshrrev_b64 v[28:29], s9, v[20:21]
	s_sub_co_i32 s12, s3, s9
	s_delay_alu instid0(SALU_CYCLE_1)
	s_min_u32 s12, s12, 8
	s_delay_alu instid0(VALU_DEP_1) | instid1(SALU_CYCLE_1)
	v_bfe_u32 v27, v28, 0, s12
	s_add_co_i32 s12, s2, 24
	s_delay_alu instid0(SALU_CYCLE_1) | instskip(NEXT) | instid1(VALU_DEP_1)
	s_cmp_le_u32 s3, s12
	v_lshl_or_b32 v27, v27, 4, v26
	ds_add_u32 v27, v23 offset:8192
	s_cbranch_scc1 .LBB2854_356
; %bb.351:
	v_lshrrev_b64 v[28:29], s12, v[20:21]
	s_sub_co_i32 s12, s3, s12
	s_delay_alu instid0(SALU_CYCLE_1)
	s_min_u32 s12, s12, 8
	s_delay_alu instid0(VALU_DEP_1) | instid1(SALU_CYCLE_1)
	v_bfe_u32 v27, v28, 0, s12
	s_add_co_i32 s12, s2, 32
	s_delay_alu instid0(SALU_CYCLE_1) | instskip(NEXT) | instid1(VALU_DEP_1)
	s_cmp_le_u32 s3, s12
	v_lshl_or_b32 v28, v27, 4, v26
	v_mov_b32_e32 v27, 1
	ds_add_u32 v28, v27 offset:12288
	s_cbranch_scc1 .LBB2854_356
; %bb.352:
	v_lshrrev_b64 v[28:29], s12, v[20:21]
	s_sub_co_i32 s12, s3, s12
	s_delay_alu instid0(SALU_CYCLE_1)
	s_min_u32 s12, s12, 8
	s_delay_alu instid0(VALU_DEP_1) | instid1(SALU_CYCLE_1)
	v_bfe_u32 v28, v28, 0, s12
	s_add_co_i32 s12, s2, 40
	s_delay_alu instid0(SALU_CYCLE_1) | instskip(NEXT) | instid1(VALU_DEP_1)
	s_cmp_le_u32 s3, s12
	v_lshl_or_b32 v28, v28, 4, v26
	ds_add_u32 v28, v27 offset:16384
	s_cbranch_scc1 .LBB2854_356
; %bb.353:
	v_lshrrev_b64 v[28:29], s12, v[20:21]
	s_sub_co_i32 s12, s3, s12
	s_delay_alu instid0(SALU_CYCLE_1)
	s_min_u32 s12, s12, 8
	s_delay_alu instid0(VALU_DEP_1) | instid1(SALU_CYCLE_1)
	v_bfe_u32 v27, v28, 0, s12
	s_add_co_i32 s12, s2, 48
	s_delay_alu instid0(SALU_CYCLE_1) | instskip(NEXT) | instid1(VALU_DEP_1)
	s_cmp_le_u32 s3, s12
	v_lshl_or_b32 v28, v27, 4, v26
	v_mov_b32_e32 v27, 1
	ds_add_u32 v28, v27 offset:20480
	s_cbranch_scc1 .LBB2854_356
; %bb.354:
	v_lshrrev_b64 v[28:29], s12, v[20:21]
	s_sub_co_i32 s12, s3, s12
	s_delay_alu instid0(SALU_CYCLE_1)
	s_min_u32 s12, s12, 8
	s_delay_alu instid0(VALU_DEP_1) | instid1(SALU_CYCLE_1)
	v_bfe_u32 v28, v28, 0, s12
	s_add_co_i32 s12, s2, 56
	s_delay_alu instid0(SALU_CYCLE_1) | instskip(NEXT) | instid1(VALU_DEP_1)
	s_cmp_le_u32 s3, s12
	v_lshl_or_b32 v28, v28, 4, v26
	ds_add_u32 v28, v27 offset:24576
	s_cbranch_scc1 .LBB2854_356
; %bb.355:
	v_lshrrev_b64 v[20:21], s12, v[20:21]
	s_sub_co_i32 s12, s3, s12
	v_mov_b32_e32 v21, 1
	s_min_u32 s12, s12, 8
	s_delay_alu instid0(VALU_DEP_2) | instid1(SALU_CYCLE_1)
	v_bfe_u32 v20, v20, 0, s12
	s_delay_alu instid0(VALU_DEP_1)
	v_lshl_or_b32 v20, v20, 4, v26
	ds_add_u32 v20, v21 offset:28672
.LBB2854_356:
	v_lshrrev_b64 v[20:21], s4, v[18:19]
	v_and_b32_e32 v21, s1, v22
	s_and_not1_b32 vcc_lo, exec_lo, s10
	s_delay_alu instid0(VALU_DEP_1) | instskip(NEXT) | instid1(VALU_DEP_3)
	v_lshl_or_b32 v21, v21, 4, v26
	v_and_b32_e32 v20, s11, v20
	s_delay_alu instid0(VALU_DEP_1)
	v_lshl_or_b32 v20, v20, 4, v26
	ds_add_u32 v21, v23
	ds_add_u32 v20, v23 offset:4096
	s_cbranch_vccnz .LBB2854_363
; %bb.357:
	v_lshrrev_b64 v[20:21], s9, v[18:19]
	s_sub_co_i32 s9, s3, s9
	s_delay_alu instid0(SALU_CYCLE_1)
	s_min_u32 s9, s9, 8
	s_delay_alu instid0(VALU_DEP_1) | instid1(SALU_CYCLE_1)
	v_bfe_u32 v20, v20, 0, s9
	s_add_co_i32 s9, s2, 24
	s_delay_alu instid0(SALU_CYCLE_1) | instskip(NEXT) | instid1(VALU_DEP_1)
	s_cmp_gt_u32 s3, s9
	v_lshl_or_b32 v21, v20, 4, v26
	v_mov_b32_e32 v20, 1
	ds_add_u32 v21, v20 offset:8192
	s_cbranch_scc0 .LBB2854_363
; %bb.358:
	v_lshrrev_b64 v[22:23], s9, v[18:19]
	s_sub_co_i32 s9, s3, s9
	s_delay_alu instid0(SALU_CYCLE_1)
	s_min_u32 s9, s9, 8
	s_delay_alu instid0(VALU_DEP_1) | instid1(SALU_CYCLE_1)
	v_bfe_u32 v21, v22, 0, s9
	s_add_co_i32 s9, s2, 32
	s_delay_alu instid0(SALU_CYCLE_1) | instskip(NEXT) | instid1(VALU_DEP_1)
	s_cmp_gt_u32 s3, s9
	v_lshl_or_b32 v21, v21, 4, v26
	ds_add_u32 v21, v20 offset:12288
	s_cbranch_scc0 .LBB2854_363
; %bb.359:
	v_lshrrev_b64 v[20:21], s9, v[18:19]
	s_sub_co_i32 s9, s3, s9
	s_delay_alu instid0(SALU_CYCLE_1)
	s_min_u32 s9, s9, 8
	s_delay_alu instid0(VALU_DEP_1) | instid1(SALU_CYCLE_1)
	v_bfe_u32 v20, v20, 0, s9
	s_add_co_i32 s9, s2, 40
	s_delay_alu instid0(SALU_CYCLE_1) | instskip(NEXT) | instid1(VALU_DEP_1)
	s_cmp_gt_u32 s3, s9
	v_lshl_or_b32 v21, v20, 4, v26
	v_mov_b32_e32 v20, 1
	ds_add_u32 v21, v20 offset:16384
	s_cbranch_scc0 .LBB2854_363
; %bb.360:
	v_lshrrev_b64 v[22:23], s9, v[18:19]
	s_sub_co_i32 s9, s3, s9
	s_delay_alu instid0(SALU_CYCLE_1)
	s_min_u32 s9, s9, 8
	s_delay_alu instid0(VALU_DEP_1) | instid1(SALU_CYCLE_1)
	v_bfe_u32 v21, v22, 0, s9
	s_add_co_i32 s9, s2, 48
	s_delay_alu instid0(SALU_CYCLE_1) | instskip(NEXT) | instid1(VALU_DEP_1)
	s_cmp_gt_u32 s3, s9
	v_lshl_or_b32 v21, v21, 4, v26
	ds_add_u32 v21, v20 offset:20480
	s_cbranch_scc0 .LBB2854_363
; %bb.361:
	v_lshrrev_b64 v[20:21], s9, v[18:19]
	s_sub_co_i32 s9, s3, s9
	v_mov_b32_e32 v21, 1
	s_min_u32 s9, s9, 8
                                        ; implicit-def: $vgpr23
	s_delay_alu instid0(VALU_DEP_2) | instid1(SALU_CYCLE_1)
	v_bfe_u32 v20, v20, 0, s9
	s_add_co_i32 s9, s2, 56
	s_delay_alu instid0(SALU_CYCLE_1) | instskip(NEXT) | instid1(VALU_DEP_1)
	s_cmp_gt_u32 s3, s9
	v_lshl_or_b32 v20, v20, 4, v26
	ds_add_u32 v20, v21 offset:24576
	s_cbranch_scc0 .LBB2854_364
; %bb.362:
	v_lshrrev_b64 v[18:19], s9, v[18:19]
	s_sub_co_i32 s8, s3, s9
	s_delay_alu instid0(SALU_CYCLE_1)
	s_min_u32 s8, s8, 8
	s_delay_alu instid0(VALU_DEP_1) | instid1(SALU_CYCLE_1)
	v_bfe_u32 v18, v18, 0, s8
	s_mov_b32 s8, -1
	s_delay_alu instid0(VALU_DEP_1)
	v_lshl_add_u32 v23, v18, 4, 0x7000
	s_branch .LBB2854_364
.LBB2854_363:
                                        ; implicit-def: $vgpr23
.LBB2854_364:
	s_and_b32 vcc_lo, exec_lo, s8
	s_cbranch_vccz .LBB2854_366
; %bb.365:
	s_delay_alu instid0(VALU_DEP_1)
	v_lshl_add_u32 v18, v25, 2, v23
	v_mov_b32_e32 v19, 1
	ds_add_u32 v18, v19
.LBB2854_366:
	v_not_b32_e32 v21, v9
	v_not_b32_e32 v20, v8
	s_and_b32 vcc_lo, exec_lo, s5
	s_delay_alu instid0(VALU_DEP_1) | instskip(NEXT) | instid1(VALU_DEP_1)
	v_lshrrev_b64 v[18:19], s2, v[20:21]
	v_dual_mov_b32 v19, 1 :: v_dual_bitop2_b32 v18, s1, v18 bitop3:0x40
	s_delay_alu instid0(VALU_DEP_1) | instskip(SKIP_3) | instid1(VALU_DEP_1)
	v_lshl_or_b32 v18, v18, 4, v26
	ds_add_u32 v18, v19
	v_not_b32_e32 v19, v7
	v_not_b32_e32 v18, v6
	v_lshrrev_b64 v[22:23], s2, v[18:19]
	s_cbranch_vccz .LBB2854_368
; %bb.367:
	s_delay_alu instid0(VALU_DEP_1) | instskip(SKIP_1) | instid1(VALU_DEP_1)
	v_and_b32_e32 v23, s1, v22
	s_mov_b32 s8, -1
	v_lshlrev_b32_e32 v23, 4, v23
	s_cbranch_execz .LBB2854_369
	s_branch .LBB2854_384
.LBB2854_368:
	s_mov_b32 s8, 0
                                        ; implicit-def: $vgpr23
.LBB2854_369:
	v_lshrrev_b64 v[28:29], s4, v[20:21]
	s_sub_co_i32 s9, s3, s4
	s_delay_alu instid0(SALU_CYCLE_1) | instskip(NEXT) | instid1(SALU_CYCLE_1)
	s_min_u32 s9, s9, 8
	s_lshl_b32 s10, -1, s9
	s_add_co_i32 s9, s2, 16
	s_delay_alu instid0(VALU_DEP_1) | instskip(SKIP_3) | instid1(VALU_DEP_1)
	v_bitop3_b32 v23, v28, s10, v28 bitop3:0x30
	s_not_b32 s11, s10
	s_cmp_gt_u32 s3, s9
	s_cselect_b32 s10, -1, 0
	v_lshl_or_b32 v27, v23, 4, v26
	v_mov_b32_e32 v23, 1
	s_cmp_le_u32 s3, s9
	ds_add_u32 v27, v23 offset:4096
	s_cbranch_scc1 .LBB2854_376
; %bb.370:
	v_lshrrev_b64 v[28:29], s9, v[20:21]
	s_sub_co_i32 s12, s3, s9
	s_delay_alu instid0(SALU_CYCLE_1)
	s_min_u32 s12, s12, 8
	s_delay_alu instid0(VALU_DEP_1) | instid1(SALU_CYCLE_1)
	v_bfe_u32 v27, v28, 0, s12
	s_add_co_i32 s12, s2, 24
	s_delay_alu instid0(SALU_CYCLE_1) | instskip(NEXT) | instid1(VALU_DEP_1)
	s_cmp_le_u32 s3, s12
	v_lshl_or_b32 v27, v27, 4, v26
	ds_add_u32 v27, v23 offset:8192
	s_cbranch_scc1 .LBB2854_376
; %bb.371:
	v_lshrrev_b64 v[28:29], s12, v[20:21]
	s_sub_co_i32 s12, s3, s12
	s_delay_alu instid0(SALU_CYCLE_1)
	s_min_u32 s12, s12, 8
	s_delay_alu instid0(VALU_DEP_1) | instid1(SALU_CYCLE_1)
	v_bfe_u32 v27, v28, 0, s12
	s_add_co_i32 s12, s2, 32
	s_delay_alu instid0(SALU_CYCLE_1) | instskip(NEXT) | instid1(VALU_DEP_1)
	s_cmp_le_u32 s3, s12
	v_lshl_or_b32 v28, v27, 4, v26
	v_mov_b32_e32 v27, 1
	ds_add_u32 v28, v27 offset:12288
	s_cbranch_scc1 .LBB2854_376
; %bb.372:
	v_lshrrev_b64 v[28:29], s12, v[20:21]
	s_sub_co_i32 s12, s3, s12
	s_delay_alu instid0(SALU_CYCLE_1)
	s_min_u32 s12, s12, 8
	s_delay_alu instid0(VALU_DEP_1) | instid1(SALU_CYCLE_1)
	v_bfe_u32 v28, v28, 0, s12
	s_add_co_i32 s12, s2, 40
	s_delay_alu instid0(SALU_CYCLE_1) | instskip(NEXT) | instid1(VALU_DEP_1)
	s_cmp_le_u32 s3, s12
	v_lshl_or_b32 v28, v28, 4, v26
	ds_add_u32 v28, v27 offset:16384
	s_cbranch_scc1 .LBB2854_376
; %bb.373:
	v_lshrrev_b64 v[28:29], s12, v[20:21]
	s_sub_co_i32 s12, s3, s12
	s_delay_alu instid0(SALU_CYCLE_1)
	s_min_u32 s12, s12, 8
	s_delay_alu instid0(VALU_DEP_1) | instid1(SALU_CYCLE_1)
	v_bfe_u32 v27, v28, 0, s12
	s_add_co_i32 s12, s2, 48
	s_delay_alu instid0(SALU_CYCLE_1) | instskip(NEXT) | instid1(VALU_DEP_1)
	s_cmp_le_u32 s3, s12
	v_lshl_or_b32 v28, v27, 4, v26
	v_mov_b32_e32 v27, 1
	ds_add_u32 v28, v27 offset:20480
	s_cbranch_scc1 .LBB2854_376
; %bb.374:
	v_lshrrev_b64 v[28:29], s12, v[20:21]
	s_sub_co_i32 s12, s3, s12
	s_delay_alu instid0(SALU_CYCLE_1)
	s_min_u32 s12, s12, 8
	s_delay_alu instid0(VALU_DEP_1) | instid1(SALU_CYCLE_1)
	v_bfe_u32 v28, v28, 0, s12
	s_add_co_i32 s12, s2, 56
	s_delay_alu instid0(SALU_CYCLE_1) | instskip(NEXT) | instid1(VALU_DEP_1)
	s_cmp_le_u32 s3, s12
	v_lshl_or_b32 v28, v28, 4, v26
	ds_add_u32 v28, v27 offset:24576
	s_cbranch_scc1 .LBB2854_376
; %bb.375:
	v_lshrrev_b64 v[20:21], s12, v[20:21]
	s_sub_co_i32 s12, s3, s12
	v_mov_b32_e32 v21, 1
	s_min_u32 s12, s12, 8
	s_delay_alu instid0(VALU_DEP_2) | instid1(SALU_CYCLE_1)
	v_bfe_u32 v20, v20, 0, s12
	s_delay_alu instid0(VALU_DEP_1)
	v_lshl_or_b32 v20, v20, 4, v26
	ds_add_u32 v20, v21 offset:28672
.LBB2854_376:
	v_lshrrev_b64 v[20:21], s4, v[18:19]
	v_and_b32_e32 v21, s1, v22
	s_and_not1_b32 vcc_lo, exec_lo, s10
	s_delay_alu instid0(VALU_DEP_1) | instskip(NEXT) | instid1(VALU_DEP_3)
	v_lshl_or_b32 v21, v21, 4, v26
	v_and_b32_e32 v20, s11, v20
	s_delay_alu instid0(VALU_DEP_1)
	v_lshl_or_b32 v20, v20, 4, v26
	ds_add_u32 v21, v23
	ds_add_u32 v20, v23 offset:4096
	s_cbranch_vccnz .LBB2854_383
; %bb.377:
	v_lshrrev_b64 v[20:21], s9, v[18:19]
	s_sub_co_i32 s9, s3, s9
	s_delay_alu instid0(SALU_CYCLE_1)
	s_min_u32 s9, s9, 8
	s_delay_alu instid0(VALU_DEP_1) | instid1(SALU_CYCLE_1)
	v_bfe_u32 v20, v20, 0, s9
	s_add_co_i32 s9, s2, 24
	s_delay_alu instid0(SALU_CYCLE_1) | instskip(NEXT) | instid1(VALU_DEP_1)
	s_cmp_gt_u32 s3, s9
	v_lshl_or_b32 v21, v20, 4, v26
	v_mov_b32_e32 v20, 1
	ds_add_u32 v21, v20 offset:8192
	s_cbranch_scc0 .LBB2854_383
; %bb.378:
	v_lshrrev_b64 v[22:23], s9, v[18:19]
	s_sub_co_i32 s9, s3, s9
	s_delay_alu instid0(SALU_CYCLE_1)
	s_min_u32 s9, s9, 8
	s_delay_alu instid0(VALU_DEP_1) | instid1(SALU_CYCLE_1)
	v_bfe_u32 v21, v22, 0, s9
	s_add_co_i32 s9, s2, 32
	s_delay_alu instid0(SALU_CYCLE_1) | instskip(NEXT) | instid1(VALU_DEP_1)
	s_cmp_gt_u32 s3, s9
	v_lshl_or_b32 v21, v21, 4, v26
	ds_add_u32 v21, v20 offset:12288
	s_cbranch_scc0 .LBB2854_383
; %bb.379:
	v_lshrrev_b64 v[20:21], s9, v[18:19]
	s_sub_co_i32 s9, s3, s9
	s_delay_alu instid0(SALU_CYCLE_1)
	s_min_u32 s9, s9, 8
	s_delay_alu instid0(VALU_DEP_1) | instid1(SALU_CYCLE_1)
	v_bfe_u32 v20, v20, 0, s9
	s_add_co_i32 s9, s2, 40
	s_delay_alu instid0(SALU_CYCLE_1) | instskip(NEXT) | instid1(VALU_DEP_1)
	s_cmp_gt_u32 s3, s9
	v_lshl_or_b32 v21, v20, 4, v26
	v_mov_b32_e32 v20, 1
	ds_add_u32 v21, v20 offset:16384
	s_cbranch_scc0 .LBB2854_383
; %bb.380:
	v_lshrrev_b64 v[22:23], s9, v[18:19]
	s_sub_co_i32 s9, s3, s9
	s_delay_alu instid0(SALU_CYCLE_1)
	s_min_u32 s9, s9, 8
	s_delay_alu instid0(VALU_DEP_1) | instid1(SALU_CYCLE_1)
	v_bfe_u32 v21, v22, 0, s9
	s_add_co_i32 s9, s2, 48
	s_delay_alu instid0(SALU_CYCLE_1) | instskip(NEXT) | instid1(VALU_DEP_1)
	s_cmp_gt_u32 s3, s9
	v_lshl_or_b32 v21, v21, 4, v26
	ds_add_u32 v21, v20 offset:20480
	s_cbranch_scc0 .LBB2854_383
; %bb.381:
	v_lshrrev_b64 v[20:21], s9, v[18:19]
	s_sub_co_i32 s9, s3, s9
	v_mov_b32_e32 v21, 1
	s_min_u32 s9, s9, 8
                                        ; implicit-def: $vgpr23
	s_delay_alu instid0(VALU_DEP_2) | instid1(SALU_CYCLE_1)
	v_bfe_u32 v20, v20, 0, s9
	s_add_co_i32 s9, s2, 56
	s_delay_alu instid0(SALU_CYCLE_1) | instskip(NEXT) | instid1(VALU_DEP_1)
	s_cmp_gt_u32 s3, s9
	v_lshl_or_b32 v20, v20, 4, v26
	ds_add_u32 v20, v21 offset:24576
	s_cbranch_scc0 .LBB2854_384
; %bb.382:
	v_lshrrev_b64 v[18:19], s9, v[18:19]
	s_sub_co_i32 s8, s3, s9
	s_delay_alu instid0(SALU_CYCLE_1)
	s_min_u32 s8, s8, 8
	s_delay_alu instid0(VALU_DEP_1) | instid1(SALU_CYCLE_1)
	v_bfe_u32 v18, v18, 0, s8
	s_mov_b32 s8, -1
	s_delay_alu instid0(VALU_DEP_1)
	v_lshl_add_u32 v23, v18, 4, 0x7000
	s_branch .LBB2854_384
.LBB2854_383:
                                        ; implicit-def: $vgpr23
.LBB2854_384:
	s_and_b32 vcc_lo, exec_lo, s8
	s_cbranch_vccz .LBB2854_386
; %bb.385:
	s_delay_alu instid0(VALU_DEP_1)
	v_lshl_add_u32 v18, v25, 2, v23
	v_mov_b32_e32 v19, 1
	ds_add_u32 v18, v19
.LBB2854_386:
	v_not_b32_e32 v21, v5
	v_not_b32_e32 v20, v4
	s_and_b32 vcc_lo, exec_lo, s5
	s_delay_alu instid0(VALU_DEP_1) | instskip(NEXT) | instid1(VALU_DEP_1)
	v_lshrrev_b64 v[18:19], s2, v[20:21]
	v_dual_mov_b32 v19, 1 :: v_dual_bitop2_b32 v18, s1, v18 bitop3:0x40
	s_delay_alu instid0(VALU_DEP_1) | instskip(SKIP_3) | instid1(VALU_DEP_1)
	v_lshl_or_b32 v18, v18, 4, v26
	ds_add_u32 v18, v19
	v_not_b32_e32 v19, v3
	v_not_b32_e32 v18, v2
	v_lshrrev_b64 v[22:23], s2, v[18:19]
	s_cbranch_vccz .LBB2854_388
; %bb.387:
	s_delay_alu instid0(VALU_DEP_1) | instskip(SKIP_1) | instid1(VALU_DEP_1)
	v_and_b32_e32 v23, s1, v22
	s_mov_b32 s5, -1
	v_lshlrev_b32_e32 v23, 4, v23
	s_cbranch_execz .LBB2854_389
	s_branch .LBB2854_404
.LBB2854_388:
	s_mov_b32 s5, 0
                                        ; implicit-def: $vgpr23
.LBB2854_389:
	v_lshrrev_b64 v[28:29], s4, v[20:21]
	s_sub_co_i32 s8, s3, s4
	s_delay_alu instid0(SALU_CYCLE_1) | instskip(NEXT) | instid1(SALU_CYCLE_1)
	s_min_u32 s8, s8, 8
	s_lshl_b32 s9, -1, s8
	s_add_co_i32 s8, s2, 16
	s_delay_alu instid0(VALU_DEP_1) | instskip(SKIP_3) | instid1(VALU_DEP_1)
	v_bitop3_b32 v23, v28, s9, v28 bitop3:0x30
	s_not_b32 s10, s9
	s_cmp_gt_u32 s3, s8
	s_cselect_b32 s9, -1, 0
	v_lshl_or_b32 v27, v23, 4, v26
	v_mov_b32_e32 v23, 1
	s_cmp_le_u32 s3, s8
	ds_add_u32 v27, v23 offset:4096
	s_cbranch_scc1 .LBB2854_396
; %bb.390:
	v_lshrrev_b64 v[28:29], s8, v[20:21]
	s_sub_co_i32 s11, s3, s8
	s_delay_alu instid0(SALU_CYCLE_1)
	s_min_u32 s11, s11, 8
	s_delay_alu instid0(VALU_DEP_1) | instid1(SALU_CYCLE_1)
	v_bfe_u32 v27, v28, 0, s11
	s_add_co_i32 s11, s2, 24
	s_delay_alu instid0(SALU_CYCLE_1) | instskip(NEXT) | instid1(VALU_DEP_1)
	s_cmp_le_u32 s3, s11
	v_lshl_or_b32 v27, v27, 4, v26
	ds_add_u32 v27, v23 offset:8192
	s_cbranch_scc1 .LBB2854_396
; %bb.391:
	v_lshrrev_b64 v[28:29], s11, v[20:21]
	s_sub_co_i32 s11, s3, s11
	s_delay_alu instid0(SALU_CYCLE_1)
	s_min_u32 s11, s11, 8
	s_delay_alu instid0(VALU_DEP_1) | instid1(SALU_CYCLE_1)
	v_bfe_u32 v27, v28, 0, s11
	s_add_co_i32 s11, s2, 32
	s_delay_alu instid0(SALU_CYCLE_1) | instskip(NEXT) | instid1(VALU_DEP_1)
	s_cmp_le_u32 s3, s11
	v_lshl_or_b32 v28, v27, 4, v26
	v_mov_b32_e32 v27, 1
	ds_add_u32 v28, v27 offset:12288
	s_cbranch_scc1 .LBB2854_396
; %bb.392:
	v_lshrrev_b64 v[28:29], s11, v[20:21]
	s_sub_co_i32 s11, s3, s11
	s_delay_alu instid0(SALU_CYCLE_1)
	s_min_u32 s11, s11, 8
	s_delay_alu instid0(VALU_DEP_1) | instid1(SALU_CYCLE_1)
	v_bfe_u32 v28, v28, 0, s11
	s_add_co_i32 s11, s2, 40
	s_delay_alu instid0(SALU_CYCLE_1) | instskip(NEXT) | instid1(VALU_DEP_1)
	s_cmp_le_u32 s3, s11
	v_lshl_or_b32 v28, v28, 4, v26
	ds_add_u32 v28, v27 offset:16384
	s_cbranch_scc1 .LBB2854_396
; %bb.393:
	v_lshrrev_b64 v[28:29], s11, v[20:21]
	s_sub_co_i32 s11, s3, s11
	s_delay_alu instid0(SALU_CYCLE_1)
	s_min_u32 s11, s11, 8
	s_delay_alu instid0(VALU_DEP_1) | instid1(SALU_CYCLE_1)
	v_bfe_u32 v27, v28, 0, s11
	s_add_co_i32 s11, s2, 48
	s_delay_alu instid0(SALU_CYCLE_1) | instskip(NEXT) | instid1(VALU_DEP_1)
	s_cmp_le_u32 s3, s11
	v_lshl_or_b32 v28, v27, 4, v26
	v_mov_b32_e32 v27, 1
	ds_add_u32 v28, v27 offset:20480
	s_cbranch_scc1 .LBB2854_396
; %bb.394:
	v_lshrrev_b64 v[28:29], s11, v[20:21]
	s_sub_co_i32 s11, s3, s11
	s_delay_alu instid0(SALU_CYCLE_1)
	s_min_u32 s11, s11, 8
	s_delay_alu instid0(VALU_DEP_1) | instid1(SALU_CYCLE_1)
	v_bfe_u32 v28, v28, 0, s11
	s_add_co_i32 s11, s2, 56
	s_delay_alu instid0(SALU_CYCLE_1) | instskip(NEXT) | instid1(VALU_DEP_1)
	s_cmp_le_u32 s3, s11
	v_lshl_or_b32 v28, v28, 4, v26
	ds_add_u32 v28, v27 offset:24576
	s_cbranch_scc1 .LBB2854_396
; %bb.395:
	v_lshrrev_b64 v[20:21], s11, v[20:21]
	s_sub_co_i32 s11, s3, s11
	v_mov_b32_e32 v21, 1
	s_min_u32 s11, s11, 8
	s_delay_alu instid0(VALU_DEP_2) | instid1(SALU_CYCLE_1)
	v_bfe_u32 v20, v20, 0, s11
	s_delay_alu instid0(VALU_DEP_1)
	v_lshl_or_b32 v20, v20, 4, v26
	ds_add_u32 v20, v21 offset:28672
.LBB2854_396:
	v_lshrrev_b64 v[20:21], s4, v[18:19]
	v_and_b32_e32 v21, s1, v22
	s_and_not1_b32 vcc_lo, exec_lo, s9
	s_delay_alu instid0(VALU_DEP_1) | instskip(NEXT) | instid1(VALU_DEP_3)
	v_lshl_or_b32 v21, v21, 4, v26
	v_and_b32_e32 v20, s10, v20
	s_delay_alu instid0(VALU_DEP_1)
	v_lshl_or_b32 v20, v20, 4, v26
	ds_add_u32 v21, v23
	ds_add_u32 v20, v23 offset:4096
	s_cbranch_vccnz .LBB2854_403
; %bb.397:
	v_lshrrev_b64 v[20:21], s8, v[18:19]
	s_sub_co_i32 s1, s3, s8
	s_delay_alu instid0(SALU_CYCLE_1)
	s_min_u32 s1, s1, 8
	s_delay_alu instid0(VALU_DEP_1) | instid1(SALU_CYCLE_1)
	v_bfe_u32 v20, v20, 0, s1
	s_add_co_i32 s1, s2, 24
	s_delay_alu instid0(SALU_CYCLE_1) | instskip(NEXT) | instid1(VALU_DEP_1)
	s_cmp_gt_u32 s3, s1
	v_lshl_or_b32 v21, v20, 4, v26
	v_mov_b32_e32 v20, 1
	ds_add_u32 v21, v20 offset:8192
	s_cbranch_scc0 .LBB2854_403
; %bb.398:
	v_lshrrev_b64 v[22:23], s1, v[18:19]
	s_sub_co_i32 s1, s3, s1
	s_delay_alu instid0(SALU_CYCLE_1)
	s_min_u32 s1, s1, 8
	s_delay_alu instid0(VALU_DEP_1) | instid1(SALU_CYCLE_1)
	v_bfe_u32 v21, v22, 0, s1
	s_add_co_i32 s1, s2, 32
	s_delay_alu instid0(SALU_CYCLE_1) | instskip(NEXT) | instid1(VALU_DEP_1)
	s_cmp_gt_u32 s3, s1
	v_lshl_or_b32 v21, v21, 4, v26
	ds_add_u32 v21, v20 offset:12288
	s_cbranch_scc0 .LBB2854_403
; %bb.399:
	v_lshrrev_b64 v[20:21], s1, v[18:19]
	s_sub_co_i32 s1, s3, s1
	s_delay_alu instid0(SALU_CYCLE_1)
	s_min_u32 s1, s1, 8
	s_delay_alu instid0(VALU_DEP_1) | instid1(SALU_CYCLE_1)
	v_bfe_u32 v20, v20, 0, s1
	s_add_co_i32 s1, s2, 40
	s_delay_alu instid0(SALU_CYCLE_1) | instskip(NEXT) | instid1(VALU_DEP_1)
	s_cmp_gt_u32 s3, s1
	v_lshl_or_b32 v21, v20, 4, v26
	v_mov_b32_e32 v20, 1
	ds_add_u32 v21, v20 offset:16384
	s_cbranch_scc0 .LBB2854_403
; %bb.400:
	v_lshrrev_b64 v[22:23], s1, v[18:19]
	s_sub_co_i32 s1, s3, s1
	s_delay_alu instid0(SALU_CYCLE_1)
	s_min_u32 s1, s1, 8
	s_delay_alu instid0(VALU_DEP_1) | instid1(SALU_CYCLE_1)
	v_bfe_u32 v21, v22, 0, s1
	s_add_co_i32 s1, s2, 48
	s_delay_alu instid0(SALU_CYCLE_1) | instskip(NEXT) | instid1(VALU_DEP_1)
	s_cmp_gt_u32 s3, s1
	v_lshl_or_b32 v21, v21, 4, v26
	ds_add_u32 v21, v20 offset:20480
	s_cbranch_scc0 .LBB2854_403
; %bb.401:
	v_lshrrev_b64 v[20:21], s1, v[18:19]
	s_sub_co_i32 s1, s3, s1
	v_mov_b32_e32 v21, 1
	s_min_u32 s1, s1, 8
                                        ; implicit-def: $vgpr23
	s_delay_alu instid0(VALU_DEP_2) | instid1(SALU_CYCLE_1)
	v_bfe_u32 v20, v20, 0, s1
	s_add_co_i32 s1, s2, 56
	s_delay_alu instid0(SALU_CYCLE_1) | instskip(NEXT) | instid1(VALU_DEP_1)
	s_cmp_gt_u32 s3, s1
	v_lshl_or_b32 v20, v20, 4, v26
	ds_add_u32 v20, v21 offset:24576
	s_cbranch_scc0 .LBB2854_404
; %bb.402:
	v_lshrrev_b64 v[18:19], s1, v[18:19]
	s_sub_co_i32 s1, s3, s1
	s_mov_b32 s5, -1
	s_min_u32 s1, s1, 8
	s_delay_alu instid0(VALU_DEP_1) | instid1(SALU_CYCLE_1)
	v_bfe_u32 v18, v18, 0, s1
	s_delay_alu instid0(VALU_DEP_1)
	v_lshl_add_u32 v23, v18, 4, 0x7000
	s_branch .LBB2854_404
.LBB2854_403:
                                        ; implicit-def: $vgpr23
.LBB2854_404:
	s_and_b32 vcc_lo, exec_lo, s5
	s_cbranch_vccz .LBB2854_406
; %bb.405:
	s_delay_alu instid0(VALU_DEP_1)
	v_lshl_add_u32 v18, v25, 2, v23
	v_mov_b32_e32 v19, 1
	ds_add_u32 v18, v19
.LBB2854_406:
	s_and_b32 vcc_lo, exec_lo, s0
	s_wait_dscnt 0x0
	s_barrier_signal -1
	s_barrier_wait -1
	s_cbranch_vccz .LBB2854_411
; %bb.407:
	v_dual_mov_b32 v19, 0 :: v_dual_lshlrev_b32 v20, 4, v0
	v_mov_b32_e32 v21, v0
	v_cmp_gt_u32_e32 vcc_lo, 0x100, v0
	s_branch .LBB2854_409
.LBB2854_408:                           ;   in Loop: Header=BB2854_409 Depth=1
	s_wait_xcnt 0x0
	s_or_b32 exec_lo, exec_lo, s0
	v_add_nc_u32_e32 v21, 0x100, v21
	v_add_nc_u32_e32 v20, 0x1000, v20
	s_add_co_i32 s2, s2, 8
	s_delay_alu instid0(SALU_CYCLE_1)
	s_cmp_ge_u32 s2, s3
	s_cbranch_scc1 .LBB2854_411
.LBB2854_409:                           ; =>This Inner Loop Header: Depth=1
	s_and_saveexec_b32 s0, vcc_lo
	s_cbranch_execz .LBB2854_408
; %bb.410:                              ;   in Loop: Header=BB2854_409 Depth=1
	ds_load_2addr_b32 v[22:23], v20 offset1:1
	ds_load_2addr_b32 v[26:27], v20 offset0:2 offset1:3
	s_wait_dscnt 0x1
	v_add_nc_u32_e32 v18, v23, v22
	s_wait_dscnt 0x0
	s_delay_alu instid0(VALU_DEP_1)
	v_add3_u32 v18, v18, v26, v27
	global_atomic_add_u64 v21, v[18:19], s[6:7] scale_offset scope:SCOPE_DEV
	s_branch .LBB2854_408
.LBB2854_411:
	s_mov_b32 s1, 0
.LBB2854_412:
	s_delay_alu instid0(SALU_CYCLE_1)
	s_and_b32 vcc_lo, exec_lo, s1
	s_cbranch_vccz .LBB2854_417
; %bb.413:
	v_mov_b32_e32 v18, 0
	s_mov_b32 s0, 0
.LBB2854_414:                           ; =>This Inner Loop Header: Depth=1
	v_add_nc_u32_e32 v1, 0x200, v1
	ds_store_b32 v24, v18
	v_add_nc_u32_e32 v24, 0x800, v24
	v_cmp_lt_u32_e32 vcc_lo, 0x1dff, v1
	s_or_b32 s0, vcc_lo, s0
	s_delay_alu instid0(SALU_CYCLE_1)
	s_and_not1_b32 exec_lo, exec_lo, s0
	s_cbranch_execnz .LBB2854_414
; %bb.415:
	s_or_b32 exec_lo, exec_lo, s0
	s_wait_loadcnt 0x7
	v_not_b32_e32 v1, v17
	v_not_b32_e32 v16, v16
	v_dual_mov_b32 v19, 1 :: v_dual_bitop2_b32 v17, 3, v0 bitop3:0x40
	s_wait_storecnt 0x0
	s_wait_loadcnt_dscnt 0x0
	s_barrier_signal -1
	s_delay_alu instid0(VALU_DEP_1) | instskip(SKIP_2) | instid1(VALU_DEP_2)
	v_dual_lshlrev_b32 v18, 4, v16 :: v_dual_lshlrev_b32 v17, 2, v17
	v_dual_lshrrev_b32 v20, 4, v16 :: v_dual_lshrrev_b32 v21, 12, v16
	s_barrier_wait -1
	v_and_or_b32 v18, 0xff0, v18, v17
	v_not_b32_e32 v14, v14
	v_not_b32_e32 v15, v15
	v_lshrrev_b32_e32 v22, 6, v1
	v_not_b32_e32 v12, v12
	ds_add_u32 v18, v19
	v_and_or_b32 v18, 0xff0, v20, v17
	v_and_or_b32 v20, 0xff0, v21, v17
	v_lshrrev_b32_e32 v21, 20, v16
	v_alignbit_b32 v16, v1, v16, 30
	ds_add_u32 v18, v19 offset:4096
	ds_add_u32 v20, v19 offset:8192
	v_and_b32_e32 v20, 0x3fc, v22
	v_and_or_b32 v18, 0xff0, v21, v17
	v_and_b32_e32 v16, 0x3fc, v16
	v_dual_lshrrev_b32 v21, 14, v1 :: v_dual_lshrrev_b32 v1, 22, v1
	v_not_b32_e32 v13, v13
	ds_add_u32 v18, v19 offset:12288
	v_lshl_or_b32 v16, v16, 2, v17
	v_lshl_or_b32 v18, v20, 2, v17
	v_and_b32_e32 v20, 0x3fc, v21
	v_and_b32_e32 v1, 0x3fc, v1
	v_lshlrev_b32_e32 v21, 4, v14
	ds_add_u32 v16, v19 offset:16384
	ds_add_u32 v18, v19 offset:20480
	v_not_b32_e32 v10, v10
	v_lshl_or_b32 v16, v20, 2, v17
	v_lshrrev_b32_e32 v20, 4, v14
	v_lshl_or_b32 v1, v1, 2, v17
	v_and_or_b32 v18, 0xff0, v21, v17
	v_lshrrev_b32_e32 v21, 12, v14
	ds_add_u32 v16, v19 offset:24576
	ds_add_u32 v1, v19 offset:28672
	ds_add_u32 v18, v19
	v_and_or_b32 v1, 0xff0, v20, v17
	v_lshrrev_b32_e32 v18, 20, v14
	v_alignbit_b32 v14, v15, v14, 30
	v_lshrrev_b32_e32 v20, 6, v15
	v_and_or_b32 v16, 0xff0, v21, v17
	ds_add_u32 v1, v19 offset:4096
	ds_add_u32 v16, v19 offset:8192
	v_and_or_b32 v1, 0xff0, v18, v17
	v_and_b32_e32 v14, 0x3fc, v14
	v_lshrrev_b32_e32 v18, 14, v15
	v_and_b32_e32 v16, 0x3fc, v20
	v_lshrrev_b32_e32 v15, 22, v15
	ds_add_u32 v1, v19 offset:12288
	v_lshl_or_b32 v1, v14, 2, v17
	v_not_b32_e32 v11, v11
	v_lshl_or_b32 v14, v16, 2, v17
	v_and_b32_e32 v16, 0x3fc, v18
	v_lshlrev_b32_e32 v18, 4, v12
	v_and_b32_e32 v15, 0x3fc, v15
	ds_add_u32 v1, v19 offset:16384
	ds_add_u32 v14, v19 offset:20480
	v_not_b32_e32 v8, v8
	v_lshl_or_b32 v1, v16, 2, v17
	v_lshrrev_b32_e32 v16, 4, v12
	v_lshl_or_b32 v14, v15, 2, v17
	v_and_or_b32 v15, 0xff0, v18, v17
	v_lshrrev_b32_e32 v18, 12, v12
	ds_add_u32 v1, v19 offset:24576
	ds_add_u32 v14, v19 offset:28672
	ds_add_u32 v15, v19
	v_and_or_b32 v1, 0xff0, v16, v17
	v_alignbit_b32 v15, v13, v12, 30
	v_and_or_b32 v14, 0xff0, v18, v17
	v_dual_lshrrev_b32 v16, 6, v13 :: v_dual_lshrrev_b32 v12, 20, v12
	ds_add_u32 v1, v19 offset:4096
	ds_add_u32 v14, v19 offset:8192
	v_and_b32_e32 v1, 0x3fc, v15
	v_and_b32_e32 v14, 0x3fc, v16
	v_and_or_b32 v12, 0xff0, v12, v17
	v_dual_lshrrev_b32 v15, 14, v13 :: v_dual_lshrrev_b32 v13, 22, v13
	s_delay_alu instid0(VALU_DEP_4) | instskip(NEXT) | instid1(VALU_DEP_4)
	v_lshl_or_b32 v1, v1, 2, v17
	v_lshl_or_b32 v14, v14, 2, v17
	ds_add_u32 v12, v19 offset:12288
	v_and_b32_e32 v12, 0x3fc, v15
	v_and_b32_e32 v13, 0x3fc, v13
	ds_add_u32 v1, v19 offset:16384
	ds_add_u32 v14, v19 offset:20480
	v_dual_lshlrev_b32 v1, 4, v10 :: v_dual_lshrrev_b32 v14, 4, v10
	v_lshl_or_b32 v12, v12, 2, v17
	v_lshl_or_b32 v13, v13, 2, v17
	v_lshrrev_b32_e32 v15, 12, v10
	s_delay_alu instid0(VALU_DEP_4)
	v_and_or_b32 v1, 0xff0, v1, v17
	ds_add_u32 v12, v19 offset:24576
	ds_add_u32 v13, v19 offset:28672
	v_and_or_b32 v12, 0xff0, v14, v17
	v_not_b32_e32 v9, v9
	ds_add_u32 v1, v19
	v_lshrrev_b32_e32 v1, 20, v10
	v_and_or_b32 v13, 0xff0, v15, v17
	v_alignbit_b32 v10, v11, v10, 30
	ds_add_u32 v12, v19 offset:4096
	ds_add_u32 v13, v19 offset:8192
	v_dual_lshrrev_b32 v12, 6, v11 :: v_dual_lshrrev_b32 v13, 14, v11
	v_and_or_b32 v1, 0xff0, v1, v17
	v_and_b32_e32 v10, 0x3fc, v10
	v_lshrrev_b32_e32 v11, 22, v11
	s_delay_alu instid0(VALU_DEP_4)
	v_and_b32_e32 v12, 0x3fc, v12
	v_not_b32_e32 v6, v6
	ds_add_u32 v1, v19 offset:12288
	v_lshl_or_b32 v1, v10, 2, v17
	v_and_b32_e32 v10, 0x3fc, v13
	v_lshlrev_b32_e32 v13, 4, v8
	v_and_b32_e32 v11, 0x3fc, v11
	v_lshl_or_b32 v12, v12, 2, v17
	ds_add_u32 v1, v19 offset:16384
	v_lshl_or_b32 v1, v10, 2, v17
	v_not_b32_e32 v7, v7
	v_lshl_or_b32 v10, v11, 2, v17
	ds_add_u32 v12, v19 offset:20480
	v_lshrrev_b32_e32 v12, 4, v8
	v_and_or_b32 v11, 0xff0, v13, v17
	ds_add_u32 v1, v19 offset:24576
	ds_add_u32 v10, v19 offset:28672
	v_lshrrev_b32_e32 v1, 12, v8
	v_not_b32_e32 v4, v4
	v_and_or_b32 v10, 0xff0, v12, v17
	ds_add_u32 v11, v19
	v_alignbit_b32 v11, v9, v8, 30
	v_dual_lshrrev_b32 v12, 6, v9 :: v_dual_lshrrev_b32 v8, 20, v8
	v_and_or_b32 v1, 0xff0, v1, v17
	ds_add_u32 v10, v19 offset:4096
	v_and_b32_e32 v10, 0x3fc, v11
	v_and_b32_e32 v11, 0x3fc, v12
	v_not_b32_e32 v5, v5
	ds_add_u32 v1, v19 offset:8192
	v_and_or_b32 v1, 0xff0, v8, v17
	v_dual_lshrrev_b32 v8, 14, v9 :: v_dual_lshrrev_b32 v9, 22, v9
	v_lshl_or_b32 v10, v10, 2, v17
	v_lshl_or_b32 v11, v11, 2, v17
	ds_add_u32 v1, v19 offset:12288
	v_and_b32_e32 v1, 0x3fc, v8
	v_and_b32_e32 v8, 0x3fc, v9
	v_lshlrev_b32_e32 v9, 4, v6
	ds_add_u32 v10, v19 offset:16384
	ds_add_u32 v11, v19 offset:20480
	v_lshrrev_b32_e32 v10, 4, v6
	v_lshl_or_b32 v1, v1, 2, v17
	v_lshrrev_b32_e32 v11, 12, v6
	v_lshl_or_b32 v8, v8, 2, v17
	v_and_or_b32 v9, 0xff0, v9, v17
	v_not_b32_e32 v2, v2
	ds_add_u32 v1, v19 offset:24576
	v_and_or_b32 v1, 0xff0, v10, v17
	ds_add_u32 v8, v19 offset:28672
	ds_add_u32 v9, v19
	v_lshrrev_b32_e32 v8, 20, v6
	v_and_or_b32 v10, 0xff0, v11, v17
	ds_add_u32 v1, v19 offset:4096
	ds_add_u32 v10, v19 offset:8192
	v_alignbit_b32 v1, v7, v6, 30
	v_dual_lshrrev_b32 v6, 6, v7 :: v_dual_lshrrev_b32 v9, 14, v7
	v_and_or_b32 v8, 0xff0, v8, v17
	v_lshrrev_b32_e32 v7, 22, v7
	s_delay_alu instid0(VALU_DEP_4) | instskip(NEXT) | instid1(VALU_DEP_4)
	v_and_b32_e32 v1, 0x3fc, v1
	v_and_b32_e32 v6, 0x3fc, v6
	v_not_b32_e32 v3, v3
	ds_add_u32 v8, v19 offset:12288
	v_and_b32_e32 v8, 0x3fc, v9
	v_lshl_or_b32 v1, v1, 2, v17
	v_lshlrev_b32_e32 v9, 4, v4
	v_and_b32_e32 v7, 0x3fc, v7
	v_lshl_or_b32 v6, v6, 2, v17
	v_lshl_or_b32 v8, v8, 2, v17
	ds_add_u32 v1, v19 offset:16384
	ds_add_u32 v6, v19 offset:20480
	v_lshl_or_b32 v7, v7, 2, v17
	v_and_or_b32 v1, 0xff0, v9, v17
	ds_add_u32 v8, v19 offset:24576
	ds_add_u32 v7, v19 offset:28672
	v_dual_lshrrev_b32 v6, 4, v4 :: v_dual_lshrrev_b32 v7, 12, v4
	ds_add_u32 v1, v19
	v_alignbit_b32 v1, v5, v4, 30
	v_dual_lshrrev_b32 v8, 6, v5 :: v_dual_lshrrev_b32 v4, 20, v4
	v_and_or_b32 v6, 0xff0, v6, v17
	v_and_or_b32 v7, 0xff0, v7, v17
	s_delay_alu instid0(VALU_DEP_4) | instskip(NEXT) | instid1(VALU_DEP_4)
	v_and_b32_e32 v1, 0x3fc, v1
	v_and_b32_e32 v8, 0x3fc, v8
	ds_add_u32 v6, v19 offset:4096
	ds_add_u32 v7, v19 offset:8192
	v_and_or_b32 v4, 0xff0, v4, v17
	v_dual_lshrrev_b32 v7, 14, v5 :: v_dual_lshrrev_b32 v5, 22, v5
	v_lshl_or_b32 v1, v1, 2, v17
	v_lshl_or_b32 v6, v8, 2, v17
	ds_add_u32 v4, v19 offset:12288
	ds_add_u32 v1, v19 offset:16384
	;; [unrolled: 1-line block ×3, first 2 shown]
	v_and_b32_e32 v1, 0x3fc, v7
	v_and_b32_e32 v4, 0x3fc, v5
	v_dual_lshlrev_b32 v5, 4, v2 :: v_dual_lshrrev_b32 v6, 4, v2
	v_lshrrev_b32_e32 v7, 12, v2
	s_delay_alu instid0(VALU_DEP_4) | instskip(NEXT) | instid1(VALU_DEP_4)
	v_lshl_or_b32 v1, v1, 2, v17
	v_lshl_or_b32 v4, v4, 2, v17
	s_delay_alu instid0(VALU_DEP_4)
	v_and_or_b32 v5, 0xff0, v5, v17
	v_and_or_b32 v6, 0xff0, v6, v17
	v_and_or_b32 v7, 0xff0, v7, v17
	ds_add_u32 v1, v19 offset:24576
	ds_add_u32 v4, v19 offset:28672
	ds_add_u32 v5, v19
	ds_add_u32 v6, v19 offset:4096
	ds_add_u32 v7, v19 offset:8192
	v_alignbit_b32 v1, v3, v2, 30
	v_dual_lshrrev_b32 v4, 6, v3 :: v_dual_lshrrev_b32 v5, 14, v3
	v_dual_lshrrev_b32 v3, 22, v3 :: v_dual_lshrrev_b32 v2, 20, v2
	s_delay_alu instid0(VALU_DEP_3) | instskip(NEXT) | instid1(VALU_DEP_3)
	v_and_b32_e32 v1, 0x3fc, v1
	v_and_b32_e32 v4, 0x3fc, v4
	s_delay_alu instid0(VALU_DEP_4) | instskip(NEXT) | instid1(VALU_DEP_4)
	v_and_b32_e32 v5, 0x3fc, v5
	v_and_b32_e32 v3, 0x3fc, v3
	v_and_or_b32 v2, 0xff0, v2, v17
	v_lshl_or_b32 v1, v1, 2, v17
	v_lshl_or_b32 v4, v4, 2, v17
	;; [unrolled: 1-line block ×4, first 2 shown]
	ds_add_u32 v2, v19 offset:12288
	ds_add_u32 v1, v19 offset:16384
	;; [unrolled: 1-line block ×5, first 2 shown]
	s_wait_dscnt 0x0
	s_barrier_signal -1
	s_barrier_wait -1
	s_mov_b32 s0, exec_lo
	v_cmpx_gt_u32_e32 0x100, v0
	s_cbranch_execz .LBB2854_417
; %bb.416:
	v_lshlrev_b32_e32 v1, 4, v0
	ds_load_2addr_b32 v[2:3], v1 offset1:1
	ds_load_2addr_b32 v[4:5], v1 offset0:2 offset1:3
	s_wait_dscnt 0x1
	v_dual_mov_b32 v3, 0 :: v_dual_add_nc_u32 v2, v3, v2
	v_add_nc_u32_e32 v6, 0x1008, v1
	s_wait_dscnt 0x0
	s_delay_alu instid0(VALU_DEP_2)
	v_add3_u32 v2, v2, v4, v5
	v_add_nc_u32_e32 v4, 0x1000, v1
	global_atomic_add_u64 v0, v[2:3], s[6:7] scale_offset scope:SCOPE_DEV
	ds_load_2addr_b32 v[4:5], v4 offset1:1
	ds_load_2addr_b32 v[6:7], v6 offset1:1
	s_wait_dscnt 0x1
	s_wait_xcnt 0x0
	v_add_nc_u32_e32 v2, v5, v4
	v_or_b32_e32 v4, 0x2000, v1
	s_wait_dscnt 0x0
	s_delay_alu instid0(VALU_DEP_2)
	v_add3_u32 v2, v2, v6, v7
	v_or_b32_e32 v6, 0x2008, v1
	global_atomic_add_u64 v0, v[2:3], s[6:7] offset:2048 scale_offset scope:SCOPE_DEV
	ds_load_2addr_b32 v[4:5], v4 offset1:1
	ds_load_2addr_b32 v[6:7], v6 offset1:1
	s_wait_dscnt 0x1
	s_wait_xcnt 0x0
	v_add_nc_u32_e32 v2, v5, v4
	v_add_nc_u32_e32 v4, 0x3000, v1
	s_wait_dscnt 0x0
	s_delay_alu instid0(VALU_DEP_2)
	v_add3_u32 v2, v2, v6, v7
	v_add_nc_u32_e32 v6, 0x3008, v1
	global_atomic_add_u64 v0, v[2:3], s[6:7] offset:4096 scale_offset scope:SCOPE_DEV
	ds_load_2addr_b32 v[4:5], v4 offset1:1
	ds_load_2addr_b32 v[6:7], v6 offset1:1
	s_wait_dscnt 0x1
	s_wait_xcnt 0x0
	v_add_nc_u32_e32 v2, v5, v4
	v_or_b32_e32 v4, 0x4000, v1
	s_wait_dscnt 0x0
	s_delay_alu instid0(VALU_DEP_2)
	v_add3_u32 v2, v2, v6, v7
	v_or_b32_e32 v6, 0x4008, v1
	global_atomic_add_u64 v0, v[2:3], s[6:7] offset:6144 scale_offset scope:SCOPE_DEV
	ds_load_2addr_b32 v[4:5], v4 offset1:1
	ds_load_2addr_b32 v[6:7], v6 offset1:1
	s_wait_dscnt 0x1
	s_wait_xcnt 0x0
	v_add_nc_u32_e32 v2, v5, v4
	v_add_nc_u32_e32 v4, 0x5000, v1
	s_wait_dscnt 0x0
	s_delay_alu instid0(VALU_DEP_2)
	v_add3_u32 v2, v2, v6, v7
	v_add_nc_u32_e32 v6, 0x5008, v1
	global_atomic_add_u64 v0, v[2:3], s[6:7] offset:8192 scale_offset scope:SCOPE_DEV
	ds_load_2addr_b32 v[4:5], v4 offset1:1
	ds_load_2addr_b32 v[6:7], v6 offset1:1
	s_wait_dscnt 0x1
	s_wait_xcnt 0x0
	v_add_nc_u32_e32 v2, v5, v4
	v_or_b32_e32 v4, 0x6000, v1
	s_wait_dscnt 0x0
	s_delay_alu instid0(VALU_DEP_2)
	v_add3_u32 v2, v2, v6, v7
	v_or_b32_e32 v6, 0x6008, v1
	global_atomic_add_u64 v0, v[2:3], s[6:7] offset:10240 scale_offset scope:SCOPE_DEV
	ds_load_2addr_b32 v[4:5], v4 offset1:1
	ds_load_2addr_b32 v[6:7], v6 offset1:1
	s_wait_dscnt 0x1
	s_wait_xcnt 0x0
	v_add_nc_u32_e32 v2, v5, v4
	v_add_nc_u32_e32 v4, 0x7000, v1
	;; [unrolled: 1-line block ×3, first 2 shown]
	s_wait_dscnt 0x0
	s_delay_alu instid0(VALU_DEP_3)
	v_add3_u32 v2, v2, v6, v7
	global_atomic_add_u64 v0, v[2:3], s[6:7] offset:12288 scale_offset scope:SCOPE_DEV
	ds_load_2addr_b32 v[4:5], v4 offset1:1
	ds_load_2addr_b32 v[6:7], v1 offset1:1
	s_wait_dscnt 0x1
	v_add_nc_u32_e32 v1, v5, v4
	s_wait_dscnt 0x0
	s_wait_xcnt 0x0
	s_delay_alu instid0(VALU_DEP_1)
	v_add3_u32 v2, v1, v6, v7
	global_atomic_add_u64 v0, v[2:3], s[6:7] offset:14336 scale_offset scope:SCOPE_DEV
.LBB2854_417:
	s_endpgm
	.section	.rodata,"a",@progbits
	.p2align	6, 0x0
	.amdhsa_kernel _ZN7rocprim17ROCPRIM_400000_NS6detail17trampoline_kernelINS0_14default_configENS1_35radix_sort_onesweep_config_selectorImNS0_10empty_typeEEEZNS1_34radix_sort_onesweep_global_offsetsIS3_Lb1EPKmPS5_mNS0_19identity_decomposerEEE10hipError_tT1_T2_PT3_SF_jT4_jjP12ihipStream_tbEUlT_E_NS1_11comp_targetILNS1_3genE0ELNS1_11target_archE4294967295ELNS1_3gpuE0ELNS1_3repE0EEENS1_52radix_sort_onesweep_histogram_config_static_selectorELNS0_4arch9wavefront6targetE0EEEvSD_
		.amdhsa_group_segment_fixed_size 32768
		.amdhsa_private_segment_fixed_size 0
		.amdhsa_kernarg_size 48
		.amdhsa_user_sgpr_count 2
		.amdhsa_user_sgpr_dispatch_ptr 0
		.amdhsa_user_sgpr_queue_ptr 0
		.amdhsa_user_sgpr_kernarg_segment_ptr 1
		.amdhsa_user_sgpr_dispatch_id 0
		.amdhsa_user_sgpr_kernarg_preload_length 0
		.amdhsa_user_sgpr_kernarg_preload_offset 0
		.amdhsa_user_sgpr_private_segment_size 0
		.amdhsa_wavefront_size32 1
		.amdhsa_uses_dynamic_stack 0
		.amdhsa_enable_private_segment 0
		.amdhsa_system_sgpr_workgroup_id_x 1
		.amdhsa_system_sgpr_workgroup_id_y 0
		.amdhsa_system_sgpr_workgroup_id_z 0
		.amdhsa_system_sgpr_workgroup_info 0
		.amdhsa_system_vgpr_workitem_id 0
		.amdhsa_next_free_vgpr 30
		.amdhsa_next_free_sgpr 13
		.amdhsa_named_barrier_count 0
		.amdhsa_reserve_vcc 1
		.amdhsa_float_round_mode_32 0
		.amdhsa_float_round_mode_16_64 0
		.amdhsa_float_denorm_mode_32 3
		.amdhsa_float_denorm_mode_16_64 3
		.amdhsa_fp16_overflow 0
		.amdhsa_memory_ordered 1
		.amdhsa_forward_progress 1
		.amdhsa_inst_pref_size 134
		.amdhsa_round_robin_scheduling 0
		.amdhsa_exception_fp_ieee_invalid_op 0
		.amdhsa_exception_fp_denorm_src 0
		.amdhsa_exception_fp_ieee_div_zero 0
		.amdhsa_exception_fp_ieee_overflow 0
		.amdhsa_exception_fp_ieee_underflow 0
		.amdhsa_exception_fp_ieee_inexact 0
		.amdhsa_exception_int_div_zero 0
	.end_amdhsa_kernel
	.section	.text._ZN7rocprim17ROCPRIM_400000_NS6detail17trampoline_kernelINS0_14default_configENS1_35radix_sort_onesweep_config_selectorImNS0_10empty_typeEEEZNS1_34radix_sort_onesweep_global_offsetsIS3_Lb1EPKmPS5_mNS0_19identity_decomposerEEE10hipError_tT1_T2_PT3_SF_jT4_jjP12ihipStream_tbEUlT_E_NS1_11comp_targetILNS1_3genE0ELNS1_11target_archE4294967295ELNS1_3gpuE0ELNS1_3repE0EEENS1_52radix_sort_onesweep_histogram_config_static_selectorELNS0_4arch9wavefront6targetE0EEEvSD_,"axG",@progbits,_ZN7rocprim17ROCPRIM_400000_NS6detail17trampoline_kernelINS0_14default_configENS1_35radix_sort_onesweep_config_selectorImNS0_10empty_typeEEEZNS1_34radix_sort_onesweep_global_offsetsIS3_Lb1EPKmPS5_mNS0_19identity_decomposerEEE10hipError_tT1_T2_PT3_SF_jT4_jjP12ihipStream_tbEUlT_E_NS1_11comp_targetILNS1_3genE0ELNS1_11target_archE4294967295ELNS1_3gpuE0ELNS1_3repE0EEENS1_52radix_sort_onesweep_histogram_config_static_selectorELNS0_4arch9wavefront6targetE0EEEvSD_,comdat
.Lfunc_end2854:
	.size	_ZN7rocprim17ROCPRIM_400000_NS6detail17trampoline_kernelINS0_14default_configENS1_35radix_sort_onesweep_config_selectorImNS0_10empty_typeEEEZNS1_34radix_sort_onesweep_global_offsetsIS3_Lb1EPKmPS5_mNS0_19identity_decomposerEEE10hipError_tT1_T2_PT3_SF_jT4_jjP12ihipStream_tbEUlT_E_NS1_11comp_targetILNS1_3genE0ELNS1_11target_archE4294967295ELNS1_3gpuE0ELNS1_3repE0EEENS1_52radix_sort_onesweep_histogram_config_static_selectorELNS0_4arch9wavefront6targetE0EEEvSD_, .Lfunc_end2854-_ZN7rocprim17ROCPRIM_400000_NS6detail17trampoline_kernelINS0_14default_configENS1_35radix_sort_onesweep_config_selectorImNS0_10empty_typeEEEZNS1_34radix_sort_onesweep_global_offsetsIS3_Lb1EPKmPS5_mNS0_19identity_decomposerEEE10hipError_tT1_T2_PT3_SF_jT4_jjP12ihipStream_tbEUlT_E_NS1_11comp_targetILNS1_3genE0ELNS1_11target_archE4294967295ELNS1_3gpuE0ELNS1_3repE0EEENS1_52radix_sort_onesweep_histogram_config_static_selectorELNS0_4arch9wavefront6targetE0EEEvSD_
                                        ; -- End function
	.set _ZN7rocprim17ROCPRIM_400000_NS6detail17trampoline_kernelINS0_14default_configENS1_35radix_sort_onesweep_config_selectorImNS0_10empty_typeEEEZNS1_34radix_sort_onesweep_global_offsetsIS3_Lb1EPKmPS5_mNS0_19identity_decomposerEEE10hipError_tT1_T2_PT3_SF_jT4_jjP12ihipStream_tbEUlT_E_NS1_11comp_targetILNS1_3genE0ELNS1_11target_archE4294967295ELNS1_3gpuE0ELNS1_3repE0EEENS1_52radix_sort_onesweep_histogram_config_static_selectorELNS0_4arch9wavefront6targetE0EEEvSD_.num_vgpr, 30
	.set _ZN7rocprim17ROCPRIM_400000_NS6detail17trampoline_kernelINS0_14default_configENS1_35radix_sort_onesweep_config_selectorImNS0_10empty_typeEEEZNS1_34radix_sort_onesweep_global_offsetsIS3_Lb1EPKmPS5_mNS0_19identity_decomposerEEE10hipError_tT1_T2_PT3_SF_jT4_jjP12ihipStream_tbEUlT_E_NS1_11comp_targetILNS1_3genE0ELNS1_11target_archE4294967295ELNS1_3gpuE0ELNS1_3repE0EEENS1_52radix_sort_onesweep_histogram_config_static_selectorELNS0_4arch9wavefront6targetE0EEEvSD_.num_agpr, 0
	.set _ZN7rocprim17ROCPRIM_400000_NS6detail17trampoline_kernelINS0_14default_configENS1_35radix_sort_onesweep_config_selectorImNS0_10empty_typeEEEZNS1_34radix_sort_onesweep_global_offsetsIS3_Lb1EPKmPS5_mNS0_19identity_decomposerEEE10hipError_tT1_T2_PT3_SF_jT4_jjP12ihipStream_tbEUlT_E_NS1_11comp_targetILNS1_3genE0ELNS1_11target_archE4294967295ELNS1_3gpuE0ELNS1_3repE0EEENS1_52radix_sort_onesweep_histogram_config_static_selectorELNS0_4arch9wavefront6targetE0EEEvSD_.numbered_sgpr, 13
	.set _ZN7rocprim17ROCPRIM_400000_NS6detail17trampoline_kernelINS0_14default_configENS1_35radix_sort_onesweep_config_selectorImNS0_10empty_typeEEEZNS1_34radix_sort_onesweep_global_offsetsIS3_Lb1EPKmPS5_mNS0_19identity_decomposerEEE10hipError_tT1_T2_PT3_SF_jT4_jjP12ihipStream_tbEUlT_E_NS1_11comp_targetILNS1_3genE0ELNS1_11target_archE4294967295ELNS1_3gpuE0ELNS1_3repE0EEENS1_52radix_sort_onesweep_histogram_config_static_selectorELNS0_4arch9wavefront6targetE0EEEvSD_.num_named_barrier, 0
	.set _ZN7rocprim17ROCPRIM_400000_NS6detail17trampoline_kernelINS0_14default_configENS1_35radix_sort_onesweep_config_selectorImNS0_10empty_typeEEEZNS1_34radix_sort_onesweep_global_offsetsIS3_Lb1EPKmPS5_mNS0_19identity_decomposerEEE10hipError_tT1_T2_PT3_SF_jT4_jjP12ihipStream_tbEUlT_E_NS1_11comp_targetILNS1_3genE0ELNS1_11target_archE4294967295ELNS1_3gpuE0ELNS1_3repE0EEENS1_52radix_sort_onesweep_histogram_config_static_selectorELNS0_4arch9wavefront6targetE0EEEvSD_.private_seg_size, 0
	.set _ZN7rocprim17ROCPRIM_400000_NS6detail17trampoline_kernelINS0_14default_configENS1_35radix_sort_onesweep_config_selectorImNS0_10empty_typeEEEZNS1_34radix_sort_onesweep_global_offsetsIS3_Lb1EPKmPS5_mNS0_19identity_decomposerEEE10hipError_tT1_T2_PT3_SF_jT4_jjP12ihipStream_tbEUlT_E_NS1_11comp_targetILNS1_3genE0ELNS1_11target_archE4294967295ELNS1_3gpuE0ELNS1_3repE0EEENS1_52radix_sort_onesweep_histogram_config_static_selectorELNS0_4arch9wavefront6targetE0EEEvSD_.uses_vcc, 1
	.set _ZN7rocprim17ROCPRIM_400000_NS6detail17trampoline_kernelINS0_14default_configENS1_35radix_sort_onesweep_config_selectorImNS0_10empty_typeEEEZNS1_34radix_sort_onesweep_global_offsetsIS3_Lb1EPKmPS5_mNS0_19identity_decomposerEEE10hipError_tT1_T2_PT3_SF_jT4_jjP12ihipStream_tbEUlT_E_NS1_11comp_targetILNS1_3genE0ELNS1_11target_archE4294967295ELNS1_3gpuE0ELNS1_3repE0EEENS1_52radix_sort_onesweep_histogram_config_static_selectorELNS0_4arch9wavefront6targetE0EEEvSD_.uses_flat_scratch, 0
	.set _ZN7rocprim17ROCPRIM_400000_NS6detail17trampoline_kernelINS0_14default_configENS1_35radix_sort_onesweep_config_selectorImNS0_10empty_typeEEEZNS1_34radix_sort_onesweep_global_offsetsIS3_Lb1EPKmPS5_mNS0_19identity_decomposerEEE10hipError_tT1_T2_PT3_SF_jT4_jjP12ihipStream_tbEUlT_E_NS1_11comp_targetILNS1_3genE0ELNS1_11target_archE4294967295ELNS1_3gpuE0ELNS1_3repE0EEENS1_52radix_sort_onesweep_histogram_config_static_selectorELNS0_4arch9wavefront6targetE0EEEvSD_.has_dyn_sized_stack, 0
	.set _ZN7rocprim17ROCPRIM_400000_NS6detail17trampoline_kernelINS0_14default_configENS1_35radix_sort_onesweep_config_selectorImNS0_10empty_typeEEEZNS1_34radix_sort_onesweep_global_offsetsIS3_Lb1EPKmPS5_mNS0_19identity_decomposerEEE10hipError_tT1_T2_PT3_SF_jT4_jjP12ihipStream_tbEUlT_E_NS1_11comp_targetILNS1_3genE0ELNS1_11target_archE4294967295ELNS1_3gpuE0ELNS1_3repE0EEENS1_52radix_sort_onesweep_histogram_config_static_selectorELNS0_4arch9wavefront6targetE0EEEvSD_.has_recursion, 0
	.set _ZN7rocprim17ROCPRIM_400000_NS6detail17trampoline_kernelINS0_14default_configENS1_35radix_sort_onesweep_config_selectorImNS0_10empty_typeEEEZNS1_34radix_sort_onesweep_global_offsetsIS3_Lb1EPKmPS5_mNS0_19identity_decomposerEEE10hipError_tT1_T2_PT3_SF_jT4_jjP12ihipStream_tbEUlT_E_NS1_11comp_targetILNS1_3genE0ELNS1_11target_archE4294967295ELNS1_3gpuE0ELNS1_3repE0EEENS1_52radix_sort_onesweep_histogram_config_static_selectorELNS0_4arch9wavefront6targetE0EEEvSD_.has_indirect_call, 0
	.section	.AMDGPU.csdata,"",@progbits
; Kernel info:
; codeLenInByte = 17128
; TotalNumSgprs: 15
; NumVgprs: 30
; ScratchSize: 0
; MemoryBound: 0
; FloatMode: 240
; IeeeMode: 1
; LDSByteSize: 32768 bytes/workgroup (compile time only)
; SGPRBlocks: 0
; VGPRBlocks: 1
; NumSGPRsForWavesPerEU: 15
; NumVGPRsForWavesPerEU: 30
; NamedBarCnt: 0
; Occupancy: 16
; WaveLimiterHint : 1
; COMPUTE_PGM_RSRC2:SCRATCH_EN: 0
; COMPUTE_PGM_RSRC2:USER_SGPR: 2
; COMPUTE_PGM_RSRC2:TRAP_HANDLER: 0
; COMPUTE_PGM_RSRC2:TGID_X_EN: 1
; COMPUTE_PGM_RSRC2:TGID_Y_EN: 0
; COMPUTE_PGM_RSRC2:TGID_Z_EN: 0
; COMPUTE_PGM_RSRC2:TIDIG_COMP_CNT: 0
	.section	.text._ZN7rocprim17ROCPRIM_400000_NS6detail17trampoline_kernelINS0_14default_configENS1_35radix_sort_onesweep_config_selectorImNS0_10empty_typeEEEZNS1_34radix_sort_onesweep_global_offsetsIS3_Lb1EPKmPS5_mNS0_19identity_decomposerEEE10hipError_tT1_T2_PT3_SF_jT4_jjP12ihipStream_tbEUlT_E_NS1_11comp_targetILNS1_3genE6ELNS1_11target_archE950ELNS1_3gpuE13ELNS1_3repE0EEENS1_52radix_sort_onesweep_histogram_config_static_selectorELNS0_4arch9wavefront6targetE0EEEvSD_,"axG",@progbits,_ZN7rocprim17ROCPRIM_400000_NS6detail17trampoline_kernelINS0_14default_configENS1_35radix_sort_onesweep_config_selectorImNS0_10empty_typeEEEZNS1_34radix_sort_onesweep_global_offsetsIS3_Lb1EPKmPS5_mNS0_19identity_decomposerEEE10hipError_tT1_T2_PT3_SF_jT4_jjP12ihipStream_tbEUlT_E_NS1_11comp_targetILNS1_3genE6ELNS1_11target_archE950ELNS1_3gpuE13ELNS1_3repE0EEENS1_52radix_sort_onesweep_histogram_config_static_selectorELNS0_4arch9wavefront6targetE0EEEvSD_,comdat
	.protected	_ZN7rocprim17ROCPRIM_400000_NS6detail17trampoline_kernelINS0_14default_configENS1_35radix_sort_onesweep_config_selectorImNS0_10empty_typeEEEZNS1_34radix_sort_onesweep_global_offsetsIS3_Lb1EPKmPS5_mNS0_19identity_decomposerEEE10hipError_tT1_T2_PT3_SF_jT4_jjP12ihipStream_tbEUlT_E_NS1_11comp_targetILNS1_3genE6ELNS1_11target_archE950ELNS1_3gpuE13ELNS1_3repE0EEENS1_52radix_sort_onesweep_histogram_config_static_selectorELNS0_4arch9wavefront6targetE0EEEvSD_ ; -- Begin function _ZN7rocprim17ROCPRIM_400000_NS6detail17trampoline_kernelINS0_14default_configENS1_35radix_sort_onesweep_config_selectorImNS0_10empty_typeEEEZNS1_34radix_sort_onesweep_global_offsetsIS3_Lb1EPKmPS5_mNS0_19identity_decomposerEEE10hipError_tT1_T2_PT3_SF_jT4_jjP12ihipStream_tbEUlT_E_NS1_11comp_targetILNS1_3genE6ELNS1_11target_archE950ELNS1_3gpuE13ELNS1_3repE0EEENS1_52radix_sort_onesweep_histogram_config_static_selectorELNS0_4arch9wavefront6targetE0EEEvSD_
	.globl	_ZN7rocprim17ROCPRIM_400000_NS6detail17trampoline_kernelINS0_14default_configENS1_35radix_sort_onesweep_config_selectorImNS0_10empty_typeEEEZNS1_34radix_sort_onesweep_global_offsetsIS3_Lb1EPKmPS5_mNS0_19identity_decomposerEEE10hipError_tT1_T2_PT3_SF_jT4_jjP12ihipStream_tbEUlT_E_NS1_11comp_targetILNS1_3genE6ELNS1_11target_archE950ELNS1_3gpuE13ELNS1_3repE0EEENS1_52radix_sort_onesweep_histogram_config_static_selectorELNS0_4arch9wavefront6targetE0EEEvSD_
	.p2align	8
	.type	_ZN7rocprim17ROCPRIM_400000_NS6detail17trampoline_kernelINS0_14default_configENS1_35radix_sort_onesweep_config_selectorImNS0_10empty_typeEEEZNS1_34radix_sort_onesweep_global_offsetsIS3_Lb1EPKmPS5_mNS0_19identity_decomposerEEE10hipError_tT1_T2_PT3_SF_jT4_jjP12ihipStream_tbEUlT_E_NS1_11comp_targetILNS1_3genE6ELNS1_11target_archE950ELNS1_3gpuE13ELNS1_3repE0EEENS1_52radix_sort_onesweep_histogram_config_static_selectorELNS0_4arch9wavefront6targetE0EEEvSD_,@function
_ZN7rocprim17ROCPRIM_400000_NS6detail17trampoline_kernelINS0_14default_configENS1_35radix_sort_onesweep_config_selectorImNS0_10empty_typeEEEZNS1_34radix_sort_onesweep_global_offsetsIS3_Lb1EPKmPS5_mNS0_19identity_decomposerEEE10hipError_tT1_T2_PT3_SF_jT4_jjP12ihipStream_tbEUlT_E_NS1_11comp_targetILNS1_3genE6ELNS1_11target_archE950ELNS1_3gpuE13ELNS1_3repE0EEENS1_52radix_sort_onesweep_histogram_config_static_selectorELNS0_4arch9wavefront6targetE0EEEvSD_: ; @_ZN7rocprim17ROCPRIM_400000_NS6detail17trampoline_kernelINS0_14default_configENS1_35radix_sort_onesweep_config_selectorImNS0_10empty_typeEEEZNS1_34radix_sort_onesweep_global_offsetsIS3_Lb1EPKmPS5_mNS0_19identity_decomposerEEE10hipError_tT1_T2_PT3_SF_jT4_jjP12ihipStream_tbEUlT_E_NS1_11comp_targetILNS1_3genE6ELNS1_11target_archE950ELNS1_3gpuE13ELNS1_3repE0EEENS1_52radix_sort_onesweep_histogram_config_static_selectorELNS0_4arch9wavefront6targetE0EEEvSD_
; %bb.0:
	.section	.rodata,"a",@progbits
	.p2align	6, 0x0
	.amdhsa_kernel _ZN7rocprim17ROCPRIM_400000_NS6detail17trampoline_kernelINS0_14default_configENS1_35radix_sort_onesweep_config_selectorImNS0_10empty_typeEEEZNS1_34radix_sort_onesweep_global_offsetsIS3_Lb1EPKmPS5_mNS0_19identity_decomposerEEE10hipError_tT1_T2_PT3_SF_jT4_jjP12ihipStream_tbEUlT_E_NS1_11comp_targetILNS1_3genE6ELNS1_11target_archE950ELNS1_3gpuE13ELNS1_3repE0EEENS1_52radix_sort_onesweep_histogram_config_static_selectorELNS0_4arch9wavefront6targetE0EEEvSD_
		.amdhsa_group_segment_fixed_size 0
		.amdhsa_private_segment_fixed_size 0
		.amdhsa_kernarg_size 48
		.amdhsa_user_sgpr_count 2
		.amdhsa_user_sgpr_dispatch_ptr 0
		.amdhsa_user_sgpr_queue_ptr 0
		.amdhsa_user_sgpr_kernarg_segment_ptr 1
		.amdhsa_user_sgpr_dispatch_id 0
		.amdhsa_user_sgpr_kernarg_preload_length 0
		.amdhsa_user_sgpr_kernarg_preload_offset 0
		.amdhsa_user_sgpr_private_segment_size 0
		.amdhsa_wavefront_size32 1
		.amdhsa_uses_dynamic_stack 0
		.amdhsa_enable_private_segment 0
		.amdhsa_system_sgpr_workgroup_id_x 1
		.amdhsa_system_sgpr_workgroup_id_y 0
		.amdhsa_system_sgpr_workgroup_id_z 0
		.amdhsa_system_sgpr_workgroup_info 0
		.amdhsa_system_vgpr_workitem_id 0
		.amdhsa_next_free_vgpr 1
		.amdhsa_next_free_sgpr 1
		.amdhsa_named_barrier_count 0
		.amdhsa_reserve_vcc 0
		.amdhsa_float_round_mode_32 0
		.amdhsa_float_round_mode_16_64 0
		.amdhsa_float_denorm_mode_32 3
		.amdhsa_float_denorm_mode_16_64 3
		.amdhsa_fp16_overflow 0
		.amdhsa_memory_ordered 1
		.amdhsa_forward_progress 1
		.amdhsa_inst_pref_size 0
		.amdhsa_round_robin_scheduling 0
		.amdhsa_exception_fp_ieee_invalid_op 0
		.amdhsa_exception_fp_denorm_src 0
		.amdhsa_exception_fp_ieee_div_zero 0
		.amdhsa_exception_fp_ieee_overflow 0
		.amdhsa_exception_fp_ieee_underflow 0
		.amdhsa_exception_fp_ieee_inexact 0
		.amdhsa_exception_int_div_zero 0
	.end_amdhsa_kernel
	.section	.text._ZN7rocprim17ROCPRIM_400000_NS6detail17trampoline_kernelINS0_14default_configENS1_35radix_sort_onesweep_config_selectorImNS0_10empty_typeEEEZNS1_34radix_sort_onesweep_global_offsetsIS3_Lb1EPKmPS5_mNS0_19identity_decomposerEEE10hipError_tT1_T2_PT3_SF_jT4_jjP12ihipStream_tbEUlT_E_NS1_11comp_targetILNS1_3genE6ELNS1_11target_archE950ELNS1_3gpuE13ELNS1_3repE0EEENS1_52radix_sort_onesweep_histogram_config_static_selectorELNS0_4arch9wavefront6targetE0EEEvSD_,"axG",@progbits,_ZN7rocprim17ROCPRIM_400000_NS6detail17trampoline_kernelINS0_14default_configENS1_35radix_sort_onesweep_config_selectorImNS0_10empty_typeEEEZNS1_34radix_sort_onesweep_global_offsetsIS3_Lb1EPKmPS5_mNS0_19identity_decomposerEEE10hipError_tT1_T2_PT3_SF_jT4_jjP12ihipStream_tbEUlT_E_NS1_11comp_targetILNS1_3genE6ELNS1_11target_archE950ELNS1_3gpuE13ELNS1_3repE0EEENS1_52radix_sort_onesweep_histogram_config_static_selectorELNS0_4arch9wavefront6targetE0EEEvSD_,comdat
.Lfunc_end2855:
	.size	_ZN7rocprim17ROCPRIM_400000_NS6detail17trampoline_kernelINS0_14default_configENS1_35radix_sort_onesweep_config_selectorImNS0_10empty_typeEEEZNS1_34radix_sort_onesweep_global_offsetsIS3_Lb1EPKmPS5_mNS0_19identity_decomposerEEE10hipError_tT1_T2_PT3_SF_jT4_jjP12ihipStream_tbEUlT_E_NS1_11comp_targetILNS1_3genE6ELNS1_11target_archE950ELNS1_3gpuE13ELNS1_3repE0EEENS1_52radix_sort_onesweep_histogram_config_static_selectorELNS0_4arch9wavefront6targetE0EEEvSD_, .Lfunc_end2855-_ZN7rocprim17ROCPRIM_400000_NS6detail17trampoline_kernelINS0_14default_configENS1_35radix_sort_onesweep_config_selectorImNS0_10empty_typeEEEZNS1_34radix_sort_onesweep_global_offsetsIS3_Lb1EPKmPS5_mNS0_19identity_decomposerEEE10hipError_tT1_T2_PT3_SF_jT4_jjP12ihipStream_tbEUlT_E_NS1_11comp_targetILNS1_3genE6ELNS1_11target_archE950ELNS1_3gpuE13ELNS1_3repE0EEENS1_52radix_sort_onesweep_histogram_config_static_selectorELNS0_4arch9wavefront6targetE0EEEvSD_
                                        ; -- End function
	.set _ZN7rocprim17ROCPRIM_400000_NS6detail17trampoline_kernelINS0_14default_configENS1_35radix_sort_onesweep_config_selectorImNS0_10empty_typeEEEZNS1_34radix_sort_onesweep_global_offsetsIS3_Lb1EPKmPS5_mNS0_19identity_decomposerEEE10hipError_tT1_T2_PT3_SF_jT4_jjP12ihipStream_tbEUlT_E_NS1_11comp_targetILNS1_3genE6ELNS1_11target_archE950ELNS1_3gpuE13ELNS1_3repE0EEENS1_52radix_sort_onesweep_histogram_config_static_selectorELNS0_4arch9wavefront6targetE0EEEvSD_.num_vgpr, 0
	.set _ZN7rocprim17ROCPRIM_400000_NS6detail17trampoline_kernelINS0_14default_configENS1_35radix_sort_onesweep_config_selectorImNS0_10empty_typeEEEZNS1_34radix_sort_onesweep_global_offsetsIS3_Lb1EPKmPS5_mNS0_19identity_decomposerEEE10hipError_tT1_T2_PT3_SF_jT4_jjP12ihipStream_tbEUlT_E_NS1_11comp_targetILNS1_3genE6ELNS1_11target_archE950ELNS1_3gpuE13ELNS1_3repE0EEENS1_52radix_sort_onesweep_histogram_config_static_selectorELNS0_4arch9wavefront6targetE0EEEvSD_.num_agpr, 0
	.set _ZN7rocprim17ROCPRIM_400000_NS6detail17trampoline_kernelINS0_14default_configENS1_35radix_sort_onesweep_config_selectorImNS0_10empty_typeEEEZNS1_34radix_sort_onesweep_global_offsetsIS3_Lb1EPKmPS5_mNS0_19identity_decomposerEEE10hipError_tT1_T2_PT3_SF_jT4_jjP12ihipStream_tbEUlT_E_NS1_11comp_targetILNS1_3genE6ELNS1_11target_archE950ELNS1_3gpuE13ELNS1_3repE0EEENS1_52radix_sort_onesweep_histogram_config_static_selectorELNS0_4arch9wavefront6targetE0EEEvSD_.numbered_sgpr, 0
	.set _ZN7rocprim17ROCPRIM_400000_NS6detail17trampoline_kernelINS0_14default_configENS1_35radix_sort_onesweep_config_selectorImNS0_10empty_typeEEEZNS1_34radix_sort_onesweep_global_offsetsIS3_Lb1EPKmPS5_mNS0_19identity_decomposerEEE10hipError_tT1_T2_PT3_SF_jT4_jjP12ihipStream_tbEUlT_E_NS1_11comp_targetILNS1_3genE6ELNS1_11target_archE950ELNS1_3gpuE13ELNS1_3repE0EEENS1_52radix_sort_onesweep_histogram_config_static_selectorELNS0_4arch9wavefront6targetE0EEEvSD_.num_named_barrier, 0
	.set _ZN7rocprim17ROCPRIM_400000_NS6detail17trampoline_kernelINS0_14default_configENS1_35radix_sort_onesweep_config_selectorImNS0_10empty_typeEEEZNS1_34radix_sort_onesweep_global_offsetsIS3_Lb1EPKmPS5_mNS0_19identity_decomposerEEE10hipError_tT1_T2_PT3_SF_jT4_jjP12ihipStream_tbEUlT_E_NS1_11comp_targetILNS1_3genE6ELNS1_11target_archE950ELNS1_3gpuE13ELNS1_3repE0EEENS1_52radix_sort_onesweep_histogram_config_static_selectorELNS0_4arch9wavefront6targetE0EEEvSD_.private_seg_size, 0
	.set _ZN7rocprim17ROCPRIM_400000_NS6detail17trampoline_kernelINS0_14default_configENS1_35radix_sort_onesweep_config_selectorImNS0_10empty_typeEEEZNS1_34radix_sort_onesweep_global_offsetsIS3_Lb1EPKmPS5_mNS0_19identity_decomposerEEE10hipError_tT1_T2_PT3_SF_jT4_jjP12ihipStream_tbEUlT_E_NS1_11comp_targetILNS1_3genE6ELNS1_11target_archE950ELNS1_3gpuE13ELNS1_3repE0EEENS1_52radix_sort_onesweep_histogram_config_static_selectorELNS0_4arch9wavefront6targetE0EEEvSD_.uses_vcc, 0
	.set _ZN7rocprim17ROCPRIM_400000_NS6detail17trampoline_kernelINS0_14default_configENS1_35radix_sort_onesweep_config_selectorImNS0_10empty_typeEEEZNS1_34radix_sort_onesweep_global_offsetsIS3_Lb1EPKmPS5_mNS0_19identity_decomposerEEE10hipError_tT1_T2_PT3_SF_jT4_jjP12ihipStream_tbEUlT_E_NS1_11comp_targetILNS1_3genE6ELNS1_11target_archE950ELNS1_3gpuE13ELNS1_3repE0EEENS1_52radix_sort_onesweep_histogram_config_static_selectorELNS0_4arch9wavefront6targetE0EEEvSD_.uses_flat_scratch, 0
	.set _ZN7rocprim17ROCPRIM_400000_NS6detail17trampoline_kernelINS0_14default_configENS1_35radix_sort_onesweep_config_selectorImNS0_10empty_typeEEEZNS1_34radix_sort_onesweep_global_offsetsIS3_Lb1EPKmPS5_mNS0_19identity_decomposerEEE10hipError_tT1_T2_PT3_SF_jT4_jjP12ihipStream_tbEUlT_E_NS1_11comp_targetILNS1_3genE6ELNS1_11target_archE950ELNS1_3gpuE13ELNS1_3repE0EEENS1_52radix_sort_onesweep_histogram_config_static_selectorELNS0_4arch9wavefront6targetE0EEEvSD_.has_dyn_sized_stack, 0
	.set _ZN7rocprim17ROCPRIM_400000_NS6detail17trampoline_kernelINS0_14default_configENS1_35radix_sort_onesweep_config_selectorImNS0_10empty_typeEEEZNS1_34radix_sort_onesweep_global_offsetsIS3_Lb1EPKmPS5_mNS0_19identity_decomposerEEE10hipError_tT1_T2_PT3_SF_jT4_jjP12ihipStream_tbEUlT_E_NS1_11comp_targetILNS1_3genE6ELNS1_11target_archE950ELNS1_3gpuE13ELNS1_3repE0EEENS1_52radix_sort_onesweep_histogram_config_static_selectorELNS0_4arch9wavefront6targetE0EEEvSD_.has_recursion, 0
	.set _ZN7rocprim17ROCPRIM_400000_NS6detail17trampoline_kernelINS0_14default_configENS1_35radix_sort_onesweep_config_selectorImNS0_10empty_typeEEEZNS1_34radix_sort_onesweep_global_offsetsIS3_Lb1EPKmPS5_mNS0_19identity_decomposerEEE10hipError_tT1_T2_PT3_SF_jT4_jjP12ihipStream_tbEUlT_E_NS1_11comp_targetILNS1_3genE6ELNS1_11target_archE950ELNS1_3gpuE13ELNS1_3repE0EEENS1_52radix_sort_onesweep_histogram_config_static_selectorELNS0_4arch9wavefront6targetE0EEEvSD_.has_indirect_call, 0
	.section	.AMDGPU.csdata,"",@progbits
; Kernel info:
; codeLenInByte = 0
; TotalNumSgprs: 0
; NumVgprs: 0
; ScratchSize: 0
; MemoryBound: 0
; FloatMode: 240
; IeeeMode: 1
; LDSByteSize: 0 bytes/workgroup (compile time only)
; SGPRBlocks: 0
; VGPRBlocks: 0
; NumSGPRsForWavesPerEU: 1
; NumVGPRsForWavesPerEU: 1
; NamedBarCnt: 0
; Occupancy: 16
; WaveLimiterHint : 0
; COMPUTE_PGM_RSRC2:SCRATCH_EN: 0
; COMPUTE_PGM_RSRC2:USER_SGPR: 2
; COMPUTE_PGM_RSRC2:TRAP_HANDLER: 0
; COMPUTE_PGM_RSRC2:TGID_X_EN: 1
; COMPUTE_PGM_RSRC2:TGID_Y_EN: 0
; COMPUTE_PGM_RSRC2:TGID_Z_EN: 0
; COMPUTE_PGM_RSRC2:TIDIG_COMP_CNT: 0
	.section	.text._ZN7rocprim17ROCPRIM_400000_NS6detail17trampoline_kernelINS0_14default_configENS1_35radix_sort_onesweep_config_selectorImNS0_10empty_typeEEEZNS1_34radix_sort_onesweep_global_offsetsIS3_Lb1EPKmPS5_mNS0_19identity_decomposerEEE10hipError_tT1_T2_PT3_SF_jT4_jjP12ihipStream_tbEUlT_E_NS1_11comp_targetILNS1_3genE5ELNS1_11target_archE942ELNS1_3gpuE9ELNS1_3repE0EEENS1_52radix_sort_onesweep_histogram_config_static_selectorELNS0_4arch9wavefront6targetE0EEEvSD_,"axG",@progbits,_ZN7rocprim17ROCPRIM_400000_NS6detail17trampoline_kernelINS0_14default_configENS1_35radix_sort_onesweep_config_selectorImNS0_10empty_typeEEEZNS1_34radix_sort_onesweep_global_offsetsIS3_Lb1EPKmPS5_mNS0_19identity_decomposerEEE10hipError_tT1_T2_PT3_SF_jT4_jjP12ihipStream_tbEUlT_E_NS1_11comp_targetILNS1_3genE5ELNS1_11target_archE942ELNS1_3gpuE9ELNS1_3repE0EEENS1_52radix_sort_onesweep_histogram_config_static_selectorELNS0_4arch9wavefront6targetE0EEEvSD_,comdat
	.protected	_ZN7rocprim17ROCPRIM_400000_NS6detail17trampoline_kernelINS0_14default_configENS1_35radix_sort_onesweep_config_selectorImNS0_10empty_typeEEEZNS1_34radix_sort_onesweep_global_offsetsIS3_Lb1EPKmPS5_mNS0_19identity_decomposerEEE10hipError_tT1_T2_PT3_SF_jT4_jjP12ihipStream_tbEUlT_E_NS1_11comp_targetILNS1_3genE5ELNS1_11target_archE942ELNS1_3gpuE9ELNS1_3repE0EEENS1_52radix_sort_onesweep_histogram_config_static_selectorELNS0_4arch9wavefront6targetE0EEEvSD_ ; -- Begin function _ZN7rocprim17ROCPRIM_400000_NS6detail17trampoline_kernelINS0_14default_configENS1_35radix_sort_onesweep_config_selectorImNS0_10empty_typeEEEZNS1_34radix_sort_onesweep_global_offsetsIS3_Lb1EPKmPS5_mNS0_19identity_decomposerEEE10hipError_tT1_T2_PT3_SF_jT4_jjP12ihipStream_tbEUlT_E_NS1_11comp_targetILNS1_3genE5ELNS1_11target_archE942ELNS1_3gpuE9ELNS1_3repE0EEENS1_52radix_sort_onesweep_histogram_config_static_selectorELNS0_4arch9wavefront6targetE0EEEvSD_
	.globl	_ZN7rocprim17ROCPRIM_400000_NS6detail17trampoline_kernelINS0_14default_configENS1_35radix_sort_onesweep_config_selectorImNS0_10empty_typeEEEZNS1_34radix_sort_onesweep_global_offsetsIS3_Lb1EPKmPS5_mNS0_19identity_decomposerEEE10hipError_tT1_T2_PT3_SF_jT4_jjP12ihipStream_tbEUlT_E_NS1_11comp_targetILNS1_3genE5ELNS1_11target_archE942ELNS1_3gpuE9ELNS1_3repE0EEENS1_52radix_sort_onesweep_histogram_config_static_selectorELNS0_4arch9wavefront6targetE0EEEvSD_
	.p2align	8
	.type	_ZN7rocprim17ROCPRIM_400000_NS6detail17trampoline_kernelINS0_14default_configENS1_35radix_sort_onesweep_config_selectorImNS0_10empty_typeEEEZNS1_34radix_sort_onesweep_global_offsetsIS3_Lb1EPKmPS5_mNS0_19identity_decomposerEEE10hipError_tT1_T2_PT3_SF_jT4_jjP12ihipStream_tbEUlT_E_NS1_11comp_targetILNS1_3genE5ELNS1_11target_archE942ELNS1_3gpuE9ELNS1_3repE0EEENS1_52radix_sort_onesweep_histogram_config_static_selectorELNS0_4arch9wavefront6targetE0EEEvSD_,@function
_ZN7rocprim17ROCPRIM_400000_NS6detail17trampoline_kernelINS0_14default_configENS1_35radix_sort_onesweep_config_selectorImNS0_10empty_typeEEEZNS1_34radix_sort_onesweep_global_offsetsIS3_Lb1EPKmPS5_mNS0_19identity_decomposerEEE10hipError_tT1_T2_PT3_SF_jT4_jjP12ihipStream_tbEUlT_E_NS1_11comp_targetILNS1_3genE5ELNS1_11target_archE942ELNS1_3gpuE9ELNS1_3repE0EEENS1_52radix_sort_onesweep_histogram_config_static_selectorELNS0_4arch9wavefront6targetE0EEEvSD_: ; @_ZN7rocprim17ROCPRIM_400000_NS6detail17trampoline_kernelINS0_14default_configENS1_35radix_sort_onesweep_config_selectorImNS0_10empty_typeEEEZNS1_34radix_sort_onesweep_global_offsetsIS3_Lb1EPKmPS5_mNS0_19identity_decomposerEEE10hipError_tT1_T2_PT3_SF_jT4_jjP12ihipStream_tbEUlT_E_NS1_11comp_targetILNS1_3genE5ELNS1_11target_archE942ELNS1_3gpuE9ELNS1_3repE0EEENS1_52radix_sort_onesweep_histogram_config_static_selectorELNS0_4arch9wavefront6targetE0EEEvSD_
; %bb.0:
	.section	.rodata,"a",@progbits
	.p2align	6, 0x0
	.amdhsa_kernel _ZN7rocprim17ROCPRIM_400000_NS6detail17trampoline_kernelINS0_14default_configENS1_35radix_sort_onesweep_config_selectorImNS0_10empty_typeEEEZNS1_34radix_sort_onesweep_global_offsetsIS3_Lb1EPKmPS5_mNS0_19identity_decomposerEEE10hipError_tT1_T2_PT3_SF_jT4_jjP12ihipStream_tbEUlT_E_NS1_11comp_targetILNS1_3genE5ELNS1_11target_archE942ELNS1_3gpuE9ELNS1_3repE0EEENS1_52radix_sort_onesweep_histogram_config_static_selectorELNS0_4arch9wavefront6targetE0EEEvSD_
		.amdhsa_group_segment_fixed_size 0
		.amdhsa_private_segment_fixed_size 0
		.amdhsa_kernarg_size 48
		.amdhsa_user_sgpr_count 2
		.amdhsa_user_sgpr_dispatch_ptr 0
		.amdhsa_user_sgpr_queue_ptr 0
		.amdhsa_user_sgpr_kernarg_segment_ptr 1
		.amdhsa_user_sgpr_dispatch_id 0
		.amdhsa_user_sgpr_kernarg_preload_length 0
		.amdhsa_user_sgpr_kernarg_preload_offset 0
		.amdhsa_user_sgpr_private_segment_size 0
		.amdhsa_wavefront_size32 1
		.amdhsa_uses_dynamic_stack 0
		.amdhsa_enable_private_segment 0
		.amdhsa_system_sgpr_workgroup_id_x 1
		.amdhsa_system_sgpr_workgroup_id_y 0
		.amdhsa_system_sgpr_workgroup_id_z 0
		.amdhsa_system_sgpr_workgroup_info 0
		.amdhsa_system_vgpr_workitem_id 0
		.amdhsa_next_free_vgpr 1
		.amdhsa_next_free_sgpr 1
		.amdhsa_named_barrier_count 0
		.amdhsa_reserve_vcc 0
		.amdhsa_float_round_mode_32 0
		.amdhsa_float_round_mode_16_64 0
		.amdhsa_float_denorm_mode_32 3
		.amdhsa_float_denorm_mode_16_64 3
		.amdhsa_fp16_overflow 0
		.amdhsa_memory_ordered 1
		.amdhsa_forward_progress 1
		.amdhsa_inst_pref_size 0
		.amdhsa_round_robin_scheduling 0
		.amdhsa_exception_fp_ieee_invalid_op 0
		.amdhsa_exception_fp_denorm_src 0
		.amdhsa_exception_fp_ieee_div_zero 0
		.amdhsa_exception_fp_ieee_overflow 0
		.amdhsa_exception_fp_ieee_underflow 0
		.amdhsa_exception_fp_ieee_inexact 0
		.amdhsa_exception_int_div_zero 0
	.end_amdhsa_kernel
	.section	.text._ZN7rocprim17ROCPRIM_400000_NS6detail17trampoline_kernelINS0_14default_configENS1_35radix_sort_onesweep_config_selectorImNS0_10empty_typeEEEZNS1_34radix_sort_onesweep_global_offsetsIS3_Lb1EPKmPS5_mNS0_19identity_decomposerEEE10hipError_tT1_T2_PT3_SF_jT4_jjP12ihipStream_tbEUlT_E_NS1_11comp_targetILNS1_3genE5ELNS1_11target_archE942ELNS1_3gpuE9ELNS1_3repE0EEENS1_52radix_sort_onesweep_histogram_config_static_selectorELNS0_4arch9wavefront6targetE0EEEvSD_,"axG",@progbits,_ZN7rocprim17ROCPRIM_400000_NS6detail17trampoline_kernelINS0_14default_configENS1_35radix_sort_onesweep_config_selectorImNS0_10empty_typeEEEZNS1_34radix_sort_onesweep_global_offsetsIS3_Lb1EPKmPS5_mNS0_19identity_decomposerEEE10hipError_tT1_T2_PT3_SF_jT4_jjP12ihipStream_tbEUlT_E_NS1_11comp_targetILNS1_3genE5ELNS1_11target_archE942ELNS1_3gpuE9ELNS1_3repE0EEENS1_52radix_sort_onesweep_histogram_config_static_selectorELNS0_4arch9wavefront6targetE0EEEvSD_,comdat
.Lfunc_end2856:
	.size	_ZN7rocprim17ROCPRIM_400000_NS6detail17trampoline_kernelINS0_14default_configENS1_35radix_sort_onesweep_config_selectorImNS0_10empty_typeEEEZNS1_34radix_sort_onesweep_global_offsetsIS3_Lb1EPKmPS5_mNS0_19identity_decomposerEEE10hipError_tT1_T2_PT3_SF_jT4_jjP12ihipStream_tbEUlT_E_NS1_11comp_targetILNS1_3genE5ELNS1_11target_archE942ELNS1_3gpuE9ELNS1_3repE0EEENS1_52radix_sort_onesweep_histogram_config_static_selectorELNS0_4arch9wavefront6targetE0EEEvSD_, .Lfunc_end2856-_ZN7rocprim17ROCPRIM_400000_NS6detail17trampoline_kernelINS0_14default_configENS1_35radix_sort_onesweep_config_selectorImNS0_10empty_typeEEEZNS1_34radix_sort_onesweep_global_offsetsIS3_Lb1EPKmPS5_mNS0_19identity_decomposerEEE10hipError_tT1_T2_PT3_SF_jT4_jjP12ihipStream_tbEUlT_E_NS1_11comp_targetILNS1_3genE5ELNS1_11target_archE942ELNS1_3gpuE9ELNS1_3repE0EEENS1_52radix_sort_onesweep_histogram_config_static_selectorELNS0_4arch9wavefront6targetE0EEEvSD_
                                        ; -- End function
	.set _ZN7rocprim17ROCPRIM_400000_NS6detail17trampoline_kernelINS0_14default_configENS1_35radix_sort_onesweep_config_selectorImNS0_10empty_typeEEEZNS1_34radix_sort_onesweep_global_offsetsIS3_Lb1EPKmPS5_mNS0_19identity_decomposerEEE10hipError_tT1_T2_PT3_SF_jT4_jjP12ihipStream_tbEUlT_E_NS1_11comp_targetILNS1_3genE5ELNS1_11target_archE942ELNS1_3gpuE9ELNS1_3repE0EEENS1_52radix_sort_onesweep_histogram_config_static_selectorELNS0_4arch9wavefront6targetE0EEEvSD_.num_vgpr, 0
	.set _ZN7rocprim17ROCPRIM_400000_NS6detail17trampoline_kernelINS0_14default_configENS1_35radix_sort_onesweep_config_selectorImNS0_10empty_typeEEEZNS1_34radix_sort_onesweep_global_offsetsIS3_Lb1EPKmPS5_mNS0_19identity_decomposerEEE10hipError_tT1_T2_PT3_SF_jT4_jjP12ihipStream_tbEUlT_E_NS1_11comp_targetILNS1_3genE5ELNS1_11target_archE942ELNS1_3gpuE9ELNS1_3repE0EEENS1_52radix_sort_onesweep_histogram_config_static_selectorELNS0_4arch9wavefront6targetE0EEEvSD_.num_agpr, 0
	.set _ZN7rocprim17ROCPRIM_400000_NS6detail17trampoline_kernelINS0_14default_configENS1_35radix_sort_onesweep_config_selectorImNS0_10empty_typeEEEZNS1_34radix_sort_onesweep_global_offsetsIS3_Lb1EPKmPS5_mNS0_19identity_decomposerEEE10hipError_tT1_T2_PT3_SF_jT4_jjP12ihipStream_tbEUlT_E_NS1_11comp_targetILNS1_3genE5ELNS1_11target_archE942ELNS1_3gpuE9ELNS1_3repE0EEENS1_52radix_sort_onesweep_histogram_config_static_selectorELNS0_4arch9wavefront6targetE0EEEvSD_.numbered_sgpr, 0
	.set _ZN7rocprim17ROCPRIM_400000_NS6detail17trampoline_kernelINS0_14default_configENS1_35radix_sort_onesweep_config_selectorImNS0_10empty_typeEEEZNS1_34radix_sort_onesweep_global_offsetsIS3_Lb1EPKmPS5_mNS0_19identity_decomposerEEE10hipError_tT1_T2_PT3_SF_jT4_jjP12ihipStream_tbEUlT_E_NS1_11comp_targetILNS1_3genE5ELNS1_11target_archE942ELNS1_3gpuE9ELNS1_3repE0EEENS1_52radix_sort_onesweep_histogram_config_static_selectorELNS0_4arch9wavefront6targetE0EEEvSD_.num_named_barrier, 0
	.set _ZN7rocprim17ROCPRIM_400000_NS6detail17trampoline_kernelINS0_14default_configENS1_35radix_sort_onesweep_config_selectorImNS0_10empty_typeEEEZNS1_34radix_sort_onesweep_global_offsetsIS3_Lb1EPKmPS5_mNS0_19identity_decomposerEEE10hipError_tT1_T2_PT3_SF_jT4_jjP12ihipStream_tbEUlT_E_NS1_11comp_targetILNS1_3genE5ELNS1_11target_archE942ELNS1_3gpuE9ELNS1_3repE0EEENS1_52radix_sort_onesweep_histogram_config_static_selectorELNS0_4arch9wavefront6targetE0EEEvSD_.private_seg_size, 0
	.set _ZN7rocprim17ROCPRIM_400000_NS6detail17trampoline_kernelINS0_14default_configENS1_35radix_sort_onesweep_config_selectorImNS0_10empty_typeEEEZNS1_34radix_sort_onesweep_global_offsetsIS3_Lb1EPKmPS5_mNS0_19identity_decomposerEEE10hipError_tT1_T2_PT3_SF_jT4_jjP12ihipStream_tbEUlT_E_NS1_11comp_targetILNS1_3genE5ELNS1_11target_archE942ELNS1_3gpuE9ELNS1_3repE0EEENS1_52radix_sort_onesweep_histogram_config_static_selectorELNS0_4arch9wavefront6targetE0EEEvSD_.uses_vcc, 0
	.set _ZN7rocprim17ROCPRIM_400000_NS6detail17trampoline_kernelINS0_14default_configENS1_35radix_sort_onesweep_config_selectorImNS0_10empty_typeEEEZNS1_34radix_sort_onesweep_global_offsetsIS3_Lb1EPKmPS5_mNS0_19identity_decomposerEEE10hipError_tT1_T2_PT3_SF_jT4_jjP12ihipStream_tbEUlT_E_NS1_11comp_targetILNS1_3genE5ELNS1_11target_archE942ELNS1_3gpuE9ELNS1_3repE0EEENS1_52radix_sort_onesweep_histogram_config_static_selectorELNS0_4arch9wavefront6targetE0EEEvSD_.uses_flat_scratch, 0
	.set _ZN7rocprim17ROCPRIM_400000_NS6detail17trampoline_kernelINS0_14default_configENS1_35radix_sort_onesweep_config_selectorImNS0_10empty_typeEEEZNS1_34radix_sort_onesweep_global_offsetsIS3_Lb1EPKmPS5_mNS0_19identity_decomposerEEE10hipError_tT1_T2_PT3_SF_jT4_jjP12ihipStream_tbEUlT_E_NS1_11comp_targetILNS1_3genE5ELNS1_11target_archE942ELNS1_3gpuE9ELNS1_3repE0EEENS1_52radix_sort_onesweep_histogram_config_static_selectorELNS0_4arch9wavefront6targetE0EEEvSD_.has_dyn_sized_stack, 0
	.set _ZN7rocprim17ROCPRIM_400000_NS6detail17trampoline_kernelINS0_14default_configENS1_35radix_sort_onesweep_config_selectorImNS0_10empty_typeEEEZNS1_34radix_sort_onesweep_global_offsetsIS3_Lb1EPKmPS5_mNS0_19identity_decomposerEEE10hipError_tT1_T2_PT3_SF_jT4_jjP12ihipStream_tbEUlT_E_NS1_11comp_targetILNS1_3genE5ELNS1_11target_archE942ELNS1_3gpuE9ELNS1_3repE0EEENS1_52radix_sort_onesweep_histogram_config_static_selectorELNS0_4arch9wavefront6targetE0EEEvSD_.has_recursion, 0
	.set _ZN7rocprim17ROCPRIM_400000_NS6detail17trampoline_kernelINS0_14default_configENS1_35radix_sort_onesweep_config_selectorImNS0_10empty_typeEEEZNS1_34radix_sort_onesweep_global_offsetsIS3_Lb1EPKmPS5_mNS0_19identity_decomposerEEE10hipError_tT1_T2_PT3_SF_jT4_jjP12ihipStream_tbEUlT_E_NS1_11comp_targetILNS1_3genE5ELNS1_11target_archE942ELNS1_3gpuE9ELNS1_3repE0EEENS1_52radix_sort_onesweep_histogram_config_static_selectorELNS0_4arch9wavefront6targetE0EEEvSD_.has_indirect_call, 0
	.section	.AMDGPU.csdata,"",@progbits
; Kernel info:
; codeLenInByte = 0
; TotalNumSgprs: 0
; NumVgprs: 0
; ScratchSize: 0
; MemoryBound: 0
; FloatMode: 240
; IeeeMode: 1
; LDSByteSize: 0 bytes/workgroup (compile time only)
; SGPRBlocks: 0
; VGPRBlocks: 0
; NumSGPRsForWavesPerEU: 1
; NumVGPRsForWavesPerEU: 1
; NamedBarCnt: 0
; Occupancy: 16
; WaveLimiterHint : 0
; COMPUTE_PGM_RSRC2:SCRATCH_EN: 0
; COMPUTE_PGM_RSRC2:USER_SGPR: 2
; COMPUTE_PGM_RSRC2:TRAP_HANDLER: 0
; COMPUTE_PGM_RSRC2:TGID_X_EN: 1
; COMPUTE_PGM_RSRC2:TGID_Y_EN: 0
; COMPUTE_PGM_RSRC2:TGID_Z_EN: 0
; COMPUTE_PGM_RSRC2:TIDIG_COMP_CNT: 0
	.section	.text._ZN7rocprim17ROCPRIM_400000_NS6detail17trampoline_kernelINS0_14default_configENS1_35radix_sort_onesweep_config_selectorImNS0_10empty_typeEEEZNS1_34radix_sort_onesweep_global_offsetsIS3_Lb1EPKmPS5_mNS0_19identity_decomposerEEE10hipError_tT1_T2_PT3_SF_jT4_jjP12ihipStream_tbEUlT_E_NS1_11comp_targetILNS1_3genE2ELNS1_11target_archE906ELNS1_3gpuE6ELNS1_3repE0EEENS1_52radix_sort_onesweep_histogram_config_static_selectorELNS0_4arch9wavefront6targetE0EEEvSD_,"axG",@progbits,_ZN7rocprim17ROCPRIM_400000_NS6detail17trampoline_kernelINS0_14default_configENS1_35radix_sort_onesweep_config_selectorImNS0_10empty_typeEEEZNS1_34radix_sort_onesweep_global_offsetsIS3_Lb1EPKmPS5_mNS0_19identity_decomposerEEE10hipError_tT1_T2_PT3_SF_jT4_jjP12ihipStream_tbEUlT_E_NS1_11comp_targetILNS1_3genE2ELNS1_11target_archE906ELNS1_3gpuE6ELNS1_3repE0EEENS1_52radix_sort_onesweep_histogram_config_static_selectorELNS0_4arch9wavefront6targetE0EEEvSD_,comdat
	.protected	_ZN7rocprim17ROCPRIM_400000_NS6detail17trampoline_kernelINS0_14default_configENS1_35radix_sort_onesweep_config_selectorImNS0_10empty_typeEEEZNS1_34radix_sort_onesweep_global_offsetsIS3_Lb1EPKmPS5_mNS0_19identity_decomposerEEE10hipError_tT1_T2_PT3_SF_jT4_jjP12ihipStream_tbEUlT_E_NS1_11comp_targetILNS1_3genE2ELNS1_11target_archE906ELNS1_3gpuE6ELNS1_3repE0EEENS1_52radix_sort_onesweep_histogram_config_static_selectorELNS0_4arch9wavefront6targetE0EEEvSD_ ; -- Begin function _ZN7rocprim17ROCPRIM_400000_NS6detail17trampoline_kernelINS0_14default_configENS1_35radix_sort_onesweep_config_selectorImNS0_10empty_typeEEEZNS1_34radix_sort_onesweep_global_offsetsIS3_Lb1EPKmPS5_mNS0_19identity_decomposerEEE10hipError_tT1_T2_PT3_SF_jT4_jjP12ihipStream_tbEUlT_E_NS1_11comp_targetILNS1_3genE2ELNS1_11target_archE906ELNS1_3gpuE6ELNS1_3repE0EEENS1_52radix_sort_onesweep_histogram_config_static_selectorELNS0_4arch9wavefront6targetE0EEEvSD_
	.globl	_ZN7rocprim17ROCPRIM_400000_NS6detail17trampoline_kernelINS0_14default_configENS1_35radix_sort_onesweep_config_selectorImNS0_10empty_typeEEEZNS1_34radix_sort_onesweep_global_offsetsIS3_Lb1EPKmPS5_mNS0_19identity_decomposerEEE10hipError_tT1_T2_PT3_SF_jT4_jjP12ihipStream_tbEUlT_E_NS1_11comp_targetILNS1_3genE2ELNS1_11target_archE906ELNS1_3gpuE6ELNS1_3repE0EEENS1_52radix_sort_onesweep_histogram_config_static_selectorELNS0_4arch9wavefront6targetE0EEEvSD_
	.p2align	8
	.type	_ZN7rocprim17ROCPRIM_400000_NS6detail17trampoline_kernelINS0_14default_configENS1_35radix_sort_onesweep_config_selectorImNS0_10empty_typeEEEZNS1_34radix_sort_onesweep_global_offsetsIS3_Lb1EPKmPS5_mNS0_19identity_decomposerEEE10hipError_tT1_T2_PT3_SF_jT4_jjP12ihipStream_tbEUlT_E_NS1_11comp_targetILNS1_3genE2ELNS1_11target_archE906ELNS1_3gpuE6ELNS1_3repE0EEENS1_52radix_sort_onesweep_histogram_config_static_selectorELNS0_4arch9wavefront6targetE0EEEvSD_,@function
_ZN7rocprim17ROCPRIM_400000_NS6detail17trampoline_kernelINS0_14default_configENS1_35radix_sort_onesweep_config_selectorImNS0_10empty_typeEEEZNS1_34radix_sort_onesweep_global_offsetsIS3_Lb1EPKmPS5_mNS0_19identity_decomposerEEE10hipError_tT1_T2_PT3_SF_jT4_jjP12ihipStream_tbEUlT_E_NS1_11comp_targetILNS1_3genE2ELNS1_11target_archE906ELNS1_3gpuE6ELNS1_3repE0EEENS1_52radix_sort_onesweep_histogram_config_static_selectorELNS0_4arch9wavefront6targetE0EEEvSD_: ; @_ZN7rocprim17ROCPRIM_400000_NS6detail17trampoline_kernelINS0_14default_configENS1_35radix_sort_onesweep_config_selectorImNS0_10empty_typeEEEZNS1_34radix_sort_onesweep_global_offsetsIS3_Lb1EPKmPS5_mNS0_19identity_decomposerEEE10hipError_tT1_T2_PT3_SF_jT4_jjP12ihipStream_tbEUlT_E_NS1_11comp_targetILNS1_3genE2ELNS1_11target_archE906ELNS1_3gpuE6ELNS1_3repE0EEENS1_52radix_sort_onesweep_histogram_config_static_selectorELNS0_4arch9wavefront6targetE0EEEvSD_
; %bb.0:
	.section	.rodata,"a",@progbits
	.p2align	6, 0x0
	.amdhsa_kernel _ZN7rocprim17ROCPRIM_400000_NS6detail17trampoline_kernelINS0_14default_configENS1_35radix_sort_onesweep_config_selectorImNS0_10empty_typeEEEZNS1_34radix_sort_onesweep_global_offsetsIS3_Lb1EPKmPS5_mNS0_19identity_decomposerEEE10hipError_tT1_T2_PT3_SF_jT4_jjP12ihipStream_tbEUlT_E_NS1_11comp_targetILNS1_3genE2ELNS1_11target_archE906ELNS1_3gpuE6ELNS1_3repE0EEENS1_52radix_sort_onesweep_histogram_config_static_selectorELNS0_4arch9wavefront6targetE0EEEvSD_
		.amdhsa_group_segment_fixed_size 0
		.amdhsa_private_segment_fixed_size 0
		.amdhsa_kernarg_size 48
		.amdhsa_user_sgpr_count 2
		.amdhsa_user_sgpr_dispatch_ptr 0
		.amdhsa_user_sgpr_queue_ptr 0
		.amdhsa_user_sgpr_kernarg_segment_ptr 1
		.amdhsa_user_sgpr_dispatch_id 0
		.amdhsa_user_sgpr_kernarg_preload_length 0
		.amdhsa_user_sgpr_kernarg_preload_offset 0
		.amdhsa_user_sgpr_private_segment_size 0
		.amdhsa_wavefront_size32 1
		.amdhsa_uses_dynamic_stack 0
		.amdhsa_enable_private_segment 0
		.amdhsa_system_sgpr_workgroup_id_x 1
		.amdhsa_system_sgpr_workgroup_id_y 0
		.amdhsa_system_sgpr_workgroup_id_z 0
		.amdhsa_system_sgpr_workgroup_info 0
		.amdhsa_system_vgpr_workitem_id 0
		.amdhsa_next_free_vgpr 1
		.amdhsa_next_free_sgpr 1
		.amdhsa_named_barrier_count 0
		.amdhsa_reserve_vcc 0
		.amdhsa_float_round_mode_32 0
		.amdhsa_float_round_mode_16_64 0
		.amdhsa_float_denorm_mode_32 3
		.amdhsa_float_denorm_mode_16_64 3
		.amdhsa_fp16_overflow 0
		.amdhsa_memory_ordered 1
		.amdhsa_forward_progress 1
		.amdhsa_inst_pref_size 0
		.amdhsa_round_robin_scheduling 0
		.amdhsa_exception_fp_ieee_invalid_op 0
		.amdhsa_exception_fp_denorm_src 0
		.amdhsa_exception_fp_ieee_div_zero 0
		.amdhsa_exception_fp_ieee_overflow 0
		.amdhsa_exception_fp_ieee_underflow 0
		.amdhsa_exception_fp_ieee_inexact 0
		.amdhsa_exception_int_div_zero 0
	.end_amdhsa_kernel
	.section	.text._ZN7rocprim17ROCPRIM_400000_NS6detail17trampoline_kernelINS0_14default_configENS1_35radix_sort_onesweep_config_selectorImNS0_10empty_typeEEEZNS1_34radix_sort_onesweep_global_offsetsIS3_Lb1EPKmPS5_mNS0_19identity_decomposerEEE10hipError_tT1_T2_PT3_SF_jT4_jjP12ihipStream_tbEUlT_E_NS1_11comp_targetILNS1_3genE2ELNS1_11target_archE906ELNS1_3gpuE6ELNS1_3repE0EEENS1_52radix_sort_onesweep_histogram_config_static_selectorELNS0_4arch9wavefront6targetE0EEEvSD_,"axG",@progbits,_ZN7rocprim17ROCPRIM_400000_NS6detail17trampoline_kernelINS0_14default_configENS1_35radix_sort_onesweep_config_selectorImNS0_10empty_typeEEEZNS1_34radix_sort_onesweep_global_offsetsIS3_Lb1EPKmPS5_mNS0_19identity_decomposerEEE10hipError_tT1_T2_PT3_SF_jT4_jjP12ihipStream_tbEUlT_E_NS1_11comp_targetILNS1_3genE2ELNS1_11target_archE906ELNS1_3gpuE6ELNS1_3repE0EEENS1_52radix_sort_onesweep_histogram_config_static_selectorELNS0_4arch9wavefront6targetE0EEEvSD_,comdat
.Lfunc_end2857:
	.size	_ZN7rocprim17ROCPRIM_400000_NS6detail17trampoline_kernelINS0_14default_configENS1_35radix_sort_onesweep_config_selectorImNS0_10empty_typeEEEZNS1_34radix_sort_onesweep_global_offsetsIS3_Lb1EPKmPS5_mNS0_19identity_decomposerEEE10hipError_tT1_T2_PT3_SF_jT4_jjP12ihipStream_tbEUlT_E_NS1_11comp_targetILNS1_3genE2ELNS1_11target_archE906ELNS1_3gpuE6ELNS1_3repE0EEENS1_52radix_sort_onesweep_histogram_config_static_selectorELNS0_4arch9wavefront6targetE0EEEvSD_, .Lfunc_end2857-_ZN7rocprim17ROCPRIM_400000_NS6detail17trampoline_kernelINS0_14default_configENS1_35radix_sort_onesweep_config_selectorImNS0_10empty_typeEEEZNS1_34radix_sort_onesweep_global_offsetsIS3_Lb1EPKmPS5_mNS0_19identity_decomposerEEE10hipError_tT1_T2_PT3_SF_jT4_jjP12ihipStream_tbEUlT_E_NS1_11comp_targetILNS1_3genE2ELNS1_11target_archE906ELNS1_3gpuE6ELNS1_3repE0EEENS1_52radix_sort_onesweep_histogram_config_static_selectorELNS0_4arch9wavefront6targetE0EEEvSD_
                                        ; -- End function
	.set _ZN7rocprim17ROCPRIM_400000_NS6detail17trampoline_kernelINS0_14default_configENS1_35radix_sort_onesweep_config_selectorImNS0_10empty_typeEEEZNS1_34radix_sort_onesweep_global_offsetsIS3_Lb1EPKmPS5_mNS0_19identity_decomposerEEE10hipError_tT1_T2_PT3_SF_jT4_jjP12ihipStream_tbEUlT_E_NS1_11comp_targetILNS1_3genE2ELNS1_11target_archE906ELNS1_3gpuE6ELNS1_3repE0EEENS1_52radix_sort_onesweep_histogram_config_static_selectorELNS0_4arch9wavefront6targetE0EEEvSD_.num_vgpr, 0
	.set _ZN7rocprim17ROCPRIM_400000_NS6detail17trampoline_kernelINS0_14default_configENS1_35radix_sort_onesweep_config_selectorImNS0_10empty_typeEEEZNS1_34radix_sort_onesweep_global_offsetsIS3_Lb1EPKmPS5_mNS0_19identity_decomposerEEE10hipError_tT1_T2_PT3_SF_jT4_jjP12ihipStream_tbEUlT_E_NS1_11comp_targetILNS1_3genE2ELNS1_11target_archE906ELNS1_3gpuE6ELNS1_3repE0EEENS1_52radix_sort_onesweep_histogram_config_static_selectorELNS0_4arch9wavefront6targetE0EEEvSD_.num_agpr, 0
	.set _ZN7rocprim17ROCPRIM_400000_NS6detail17trampoline_kernelINS0_14default_configENS1_35radix_sort_onesweep_config_selectorImNS0_10empty_typeEEEZNS1_34radix_sort_onesweep_global_offsetsIS3_Lb1EPKmPS5_mNS0_19identity_decomposerEEE10hipError_tT1_T2_PT3_SF_jT4_jjP12ihipStream_tbEUlT_E_NS1_11comp_targetILNS1_3genE2ELNS1_11target_archE906ELNS1_3gpuE6ELNS1_3repE0EEENS1_52radix_sort_onesweep_histogram_config_static_selectorELNS0_4arch9wavefront6targetE0EEEvSD_.numbered_sgpr, 0
	.set _ZN7rocprim17ROCPRIM_400000_NS6detail17trampoline_kernelINS0_14default_configENS1_35radix_sort_onesweep_config_selectorImNS0_10empty_typeEEEZNS1_34radix_sort_onesweep_global_offsetsIS3_Lb1EPKmPS5_mNS0_19identity_decomposerEEE10hipError_tT1_T2_PT3_SF_jT4_jjP12ihipStream_tbEUlT_E_NS1_11comp_targetILNS1_3genE2ELNS1_11target_archE906ELNS1_3gpuE6ELNS1_3repE0EEENS1_52radix_sort_onesweep_histogram_config_static_selectorELNS0_4arch9wavefront6targetE0EEEvSD_.num_named_barrier, 0
	.set _ZN7rocprim17ROCPRIM_400000_NS6detail17trampoline_kernelINS0_14default_configENS1_35radix_sort_onesweep_config_selectorImNS0_10empty_typeEEEZNS1_34radix_sort_onesweep_global_offsetsIS3_Lb1EPKmPS5_mNS0_19identity_decomposerEEE10hipError_tT1_T2_PT3_SF_jT4_jjP12ihipStream_tbEUlT_E_NS1_11comp_targetILNS1_3genE2ELNS1_11target_archE906ELNS1_3gpuE6ELNS1_3repE0EEENS1_52radix_sort_onesweep_histogram_config_static_selectorELNS0_4arch9wavefront6targetE0EEEvSD_.private_seg_size, 0
	.set _ZN7rocprim17ROCPRIM_400000_NS6detail17trampoline_kernelINS0_14default_configENS1_35radix_sort_onesweep_config_selectorImNS0_10empty_typeEEEZNS1_34radix_sort_onesweep_global_offsetsIS3_Lb1EPKmPS5_mNS0_19identity_decomposerEEE10hipError_tT1_T2_PT3_SF_jT4_jjP12ihipStream_tbEUlT_E_NS1_11comp_targetILNS1_3genE2ELNS1_11target_archE906ELNS1_3gpuE6ELNS1_3repE0EEENS1_52radix_sort_onesweep_histogram_config_static_selectorELNS0_4arch9wavefront6targetE0EEEvSD_.uses_vcc, 0
	.set _ZN7rocprim17ROCPRIM_400000_NS6detail17trampoline_kernelINS0_14default_configENS1_35radix_sort_onesweep_config_selectorImNS0_10empty_typeEEEZNS1_34radix_sort_onesweep_global_offsetsIS3_Lb1EPKmPS5_mNS0_19identity_decomposerEEE10hipError_tT1_T2_PT3_SF_jT4_jjP12ihipStream_tbEUlT_E_NS1_11comp_targetILNS1_3genE2ELNS1_11target_archE906ELNS1_3gpuE6ELNS1_3repE0EEENS1_52radix_sort_onesweep_histogram_config_static_selectorELNS0_4arch9wavefront6targetE0EEEvSD_.uses_flat_scratch, 0
	.set _ZN7rocprim17ROCPRIM_400000_NS6detail17trampoline_kernelINS0_14default_configENS1_35radix_sort_onesweep_config_selectorImNS0_10empty_typeEEEZNS1_34radix_sort_onesweep_global_offsetsIS3_Lb1EPKmPS5_mNS0_19identity_decomposerEEE10hipError_tT1_T2_PT3_SF_jT4_jjP12ihipStream_tbEUlT_E_NS1_11comp_targetILNS1_3genE2ELNS1_11target_archE906ELNS1_3gpuE6ELNS1_3repE0EEENS1_52radix_sort_onesweep_histogram_config_static_selectorELNS0_4arch9wavefront6targetE0EEEvSD_.has_dyn_sized_stack, 0
	.set _ZN7rocprim17ROCPRIM_400000_NS6detail17trampoline_kernelINS0_14default_configENS1_35radix_sort_onesweep_config_selectorImNS0_10empty_typeEEEZNS1_34radix_sort_onesweep_global_offsetsIS3_Lb1EPKmPS5_mNS0_19identity_decomposerEEE10hipError_tT1_T2_PT3_SF_jT4_jjP12ihipStream_tbEUlT_E_NS1_11comp_targetILNS1_3genE2ELNS1_11target_archE906ELNS1_3gpuE6ELNS1_3repE0EEENS1_52radix_sort_onesweep_histogram_config_static_selectorELNS0_4arch9wavefront6targetE0EEEvSD_.has_recursion, 0
	.set _ZN7rocprim17ROCPRIM_400000_NS6detail17trampoline_kernelINS0_14default_configENS1_35radix_sort_onesweep_config_selectorImNS0_10empty_typeEEEZNS1_34radix_sort_onesweep_global_offsetsIS3_Lb1EPKmPS5_mNS0_19identity_decomposerEEE10hipError_tT1_T2_PT3_SF_jT4_jjP12ihipStream_tbEUlT_E_NS1_11comp_targetILNS1_3genE2ELNS1_11target_archE906ELNS1_3gpuE6ELNS1_3repE0EEENS1_52radix_sort_onesweep_histogram_config_static_selectorELNS0_4arch9wavefront6targetE0EEEvSD_.has_indirect_call, 0
	.section	.AMDGPU.csdata,"",@progbits
; Kernel info:
; codeLenInByte = 0
; TotalNumSgprs: 0
; NumVgprs: 0
; ScratchSize: 0
; MemoryBound: 0
; FloatMode: 240
; IeeeMode: 1
; LDSByteSize: 0 bytes/workgroup (compile time only)
; SGPRBlocks: 0
; VGPRBlocks: 0
; NumSGPRsForWavesPerEU: 1
; NumVGPRsForWavesPerEU: 1
; NamedBarCnt: 0
; Occupancy: 16
; WaveLimiterHint : 0
; COMPUTE_PGM_RSRC2:SCRATCH_EN: 0
; COMPUTE_PGM_RSRC2:USER_SGPR: 2
; COMPUTE_PGM_RSRC2:TRAP_HANDLER: 0
; COMPUTE_PGM_RSRC2:TGID_X_EN: 1
; COMPUTE_PGM_RSRC2:TGID_Y_EN: 0
; COMPUTE_PGM_RSRC2:TGID_Z_EN: 0
; COMPUTE_PGM_RSRC2:TIDIG_COMP_CNT: 0
	.section	.text._ZN7rocprim17ROCPRIM_400000_NS6detail17trampoline_kernelINS0_14default_configENS1_35radix_sort_onesweep_config_selectorImNS0_10empty_typeEEEZNS1_34radix_sort_onesweep_global_offsetsIS3_Lb1EPKmPS5_mNS0_19identity_decomposerEEE10hipError_tT1_T2_PT3_SF_jT4_jjP12ihipStream_tbEUlT_E_NS1_11comp_targetILNS1_3genE4ELNS1_11target_archE910ELNS1_3gpuE8ELNS1_3repE0EEENS1_52radix_sort_onesweep_histogram_config_static_selectorELNS0_4arch9wavefront6targetE0EEEvSD_,"axG",@progbits,_ZN7rocprim17ROCPRIM_400000_NS6detail17trampoline_kernelINS0_14default_configENS1_35radix_sort_onesweep_config_selectorImNS0_10empty_typeEEEZNS1_34radix_sort_onesweep_global_offsetsIS3_Lb1EPKmPS5_mNS0_19identity_decomposerEEE10hipError_tT1_T2_PT3_SF_jT4_jjP12ihipStream_tbEUlT_E_NS1_11comp_targetILNS1_3genE4ELNS1_11target_archE910ELNS1_3gpuE8ELNS1_3repE0EEENS1_52radix_sort_onesweep_histogram_config_static_selectorELNS0_4arch9wavefront6targetE0EEEvSD_,comdat
	.protected	_ZN7rocprim17ROCPRIM_400000_NS6detail17trampoline_kernelINS0_14default_configENS1_35radix_sort_onesweep_config_selectorImNS0_10empty_typeEEEZNS1_34radix_sort_onesweep_global_offsetsIS3_Lb1EPKmPS5_mNS0_19identity_decomposerEEE10hipError_tT1_T2_PT3_SF_jT4_jjP12ihipStream_tbEUlT_E_NS1_11comp_targetILNS1_3genE4ELNS1_11target_archE910ELNS1_3gpuE8ELNS1_3repE0EEENS1_52radix_sort_onesweep_histogram_config_static_selectorELNS0_4arch9wavefront6targetE0EEEvSD_ ; -- Begin function _ZN7rocprim17ROCPRIM_400000_NS6detail17trampoline_kernelINS0_14default_configENS1_35radix_sort_onesweep_config_selectorImNS0_10empty_typeEEEZNS1_34radix_sort_onesweep_global_offsetsIS3_Lb1EPKmPS5_mNS0_19identity_decomposerEEE10hipError_tT1_T2_PT3_SF_jT4_jjP12ihipStream_tbEUlT_E_NS1_11comp_targetILNS1_3genE4ELNS1_11target_archE910ELNS1_3gpuE8ELNS1_3repE0EEENS1_52radix_sort_onesweep_histogram_config_static_selectorELNS0_4arch9wavefront6targetE0EEEvSD_
	.globl	_ZN7rocprim17ROCPRIM_400000_NS6detail17trampoline_kernelINS0_14default_configENS1_35radix_sort_onesweep_config_selectorImNS0_10empty_typeEEEZNS1_34radix_sort_onesweep_global_offsetsIS3_Lb1EPKmPS5_mNS0_19identity_decomposerEEE10hipError_tT1_T2_PT3_SF_jT4_jjP12ihipStream_tbEUlT_E_NS1_11comp_targetILNS1_3genE4ELNS1_11target_archE910ELNS1_3gpuE8ELNS1_3repE0EEENS1_52radix_sort_onesweep_histogram_config_static_selectorELNS0_4arch9wavefront6targetE0EEEvSD_
	.p2align	8
	.type	_ZN7rocprim17ROCPRIM_400000_NS6detail17trampoline_kernelINS0_14default_configENS1_35radix_sort_onesweep_config_selectorImNS0_10empty_typeEEEZNS1_34radix_sort_onesweep_global_offsetsIS3_Lb1EPKmPS5_mNS0_19identity_decomposerEEE10hipError_tT1_T2_PT3_SF_jT4_jjP12ihipStream_tbEUlT_E_NS1_11comp_targetILNS1_3genE4ELNS1_11target_archE910ELNS1_3gpuE8ELNS1_3repE0EEENS1_52radix_sort_onesweep_histogram_config_static_selectorELNS0_4arch9wavefront6targetE0EEEvSD_,@function
_ZN7rocprim17ROCPRIM_400000_NS6detail17trampoline_kernelINS0_14default_configENS1_35radix_sort_onesweep_config_selectorImNS0_10empty_typeEEEZNS1_34radix_sort_onesweep_global_offsetsIS3_Lb1EPKmPS5_mNS0_19identity_decomposerEEE10hipError_tT1_T2_PT3_SF_jT4_jjP12ihipStream_tbEUlT_E_NS1_11comp_targetILNS1_3genE4ELNS1_11target_archE910ELNS1_3gpuE8ELNS1_3repE0EEENS1_52radix_sort_onesweep_histogram_config_static_selectorELNS0_4arch9wavefront6targetE0EEEvSD_: ; @_ZN7rocprim17ROCPRIM_400000_NS6detail17trampoline_kernelINS0_14default_configENS1_35radix_sort_onesweep_config_selectorImNS0_10empty_typeEEEZNS1_34radix_sort_onesweep_global_offsetsIS3_Lb1EPKmPS5_mNS0_19identity_decomposerEEE10hipError_tT1_T2_PT3_SF_jT4_jjP12ihipStream_tbEUlT_E_NS1_11comp_targetILNS1_3genE4ELNS1_11target_archE910ELNS1_3gpuE8ELNS1_3repE0EEENS1_52radix_sort_onesweep_histogram_config_static_selectorELNS0_4arch9wavefront6targetE0EEEvSD_
; %bb.0:
	.section	.rodata,"a",@progbits
	.p2align	6, 0x0
	.amdhsa_kernel _ZN7rocprim17ROCPRIM_400000_NS6detail17trampoline_kernelINS0_14default_configENS1_35radix_sort_onesweep_config_selectorImNS0_10empty_typeEEEZNS1_34radix_sort_onesweep_global_offsetsIS3_Lb1EPKmPS5_mNS0_19identity_decomposerEEE10hipError_tT1_T2_PT3_SF_jT4_jjP12ihipStream_tbEUlT_E_NS1_11comp_targetILNS1_3genE4ELNS1_11target_archE910ELNS1_3gpuE8ELNS1_3repE0EEENS1_52radix_sort_onesweep_histogram_config_static_selectorELNS0_4arch9wavefront6targetE0EEEvSD_
		.amdhsa_group_segment_fixed_size 0
		.amdhsa_private_segment_fixed_size 0
		.amdhsa_kernarg_size 48
		.amdhsa_user_sgpr_count 2
		.amdhsa_user_sgpr_dispatch_ptr 0
		.amdhsa_user_sgpr_queue_ptr 0
		.amdhsa_user_sgpr_kernarg_segment_ptr 1
		.amdhsa_user_sgpr_dispatch_id 0
		.amdhsa_user_sgpr_kernarg_preload_length 0
		.amdhsa_user_sgpr_kernarg_preload_offset 0
		.amdhsa_user_sgpr_private_segment_size 0
		.amdhsa_wavefront_size32 1
		.amdhsa_uses_dynamic_stack 0
		.amdhsa_enable_private_segment 0
		.amdhsa_system_sgpr_workgroup_id_x 1
		.amdhsa_system_sgpr_workgroup_id_y 0
		.amdhsa_system_sgpr_workgroup_id_z 0
		.amdhsa_system_sgpr_workgroup_info 0
		.amdhsa_system_vgpr_workitem_id 0
		.amdhsa_next_free_vgpr 1
		.amdhsa_next_free_sgpr 1
		.amdhsa_named_barrier_count 0
		.amdhsa_reserve_vcc 0
		.amdhsa_float_round_mode_32 0
		.amdhsa_float_round_mode_16_64 0
		.amdhsa_float_denorm_mode_32 3
		.amdhsa_float_denorm_mode_16_64 3
		.amdhsa_fp16_overflow 0
		.amdhsa_memory_ordered 1
		.amdhsa_forward_progress 1
		.amdhsa_inst_pref_size 0
		.amdhsa_round_robin_scheduling 0
		.amdhsa_exception_fp_ieee_invalid_op 0
		.amdhsa_exception_fp_denorm_src 0
		.amdhsa_exception_fp_ieee_div_zero 0
		.amdhsa_exception_fp_ieee_overflow 0
		.amdhsa_exception_fp_ieee_underflow 0
		.amdhsa_exception_fp_ieee_inexact 0
		.amdhsa_exception_int_div_zero 0
	.end_amdhsa_kernel
	.section	.text._ZN7rocprim17ROCPRIM_400000_NS6detail17trampoline_kernelINS0_14default_configENS1_35radix_sort_onesweep_config_selectorImNS0_10empty_typeEEEZNS1_34radix_sort_onesweep_global_offsetsIS3_Lb1EPKmPS5_mNS0_19identity_decomposerEEE10hipError_tT1_T2_PT3_SF_jT4_jjP12ihipStream_tbEUlT_E_NS1_11comp_targetILNS1_3genE4ELNS1_11target_archE910ELNS1_3gpuE8ELNS1_3repE0EEENS1_52radix_sort_onesweep_histogram_config_static_selectorELNS0_4arch9wavefront6targetE0EEEvSD_,"axG",@progbits,_ZN7rocprim17ROCPRIM_400000_NS6detail17trampoline_kernelINS0_14default_configENS1_35radix_sort_onesweep_config_selectorImNS0_10empty_typeEEEZNS1_34radix_sort_onesweep_global_offsetsIS3_Lb1EPKmPS5_mNS0_19identity_decomposerEEE10hipError_tT1_T2_PT3_SF_jT4_jjP12ihipStream_tbEUlT_E_NS1_11comp_targetILNS1_3genE4ELNS1_11target_archE910ELNS1_3gpuE8ELNS1_3repE0EEENS1_52radix_sort_onesweep_histogram_config_static_selectorELNS0_4arch9wavefront6targetE0EEEvSD_,comdat
.Lfunc_end2858:
	.size	_ZN7rocprim17ROCPRIM_400000_NS6detail17trampoline_kernelINS0_14default_configENS1_35radix_sort_onesweep_config_selectorImNS0_10empty_typeEEEZNS1_34radix_sort_onesweep_global_offsetsIS3_Lb1EPKmPS5_mNS0_19identity_decomposerEEE10hipError_tT1_T2_PT3_SF_jT4_jjP12ihipStream_tbEUlT_E_NS1_11comp_targetILNS1_3genE4ELNS1_11target_archE910ELNS1_3gpuE8ELNS1_3repE0EEENS1_52radix_sort_onesweep_histogram_config_static_selectorELNS0_4arch9wavefront6targetE0EEEvSD_, .Lfunc_end2858-_ZN7rocprim17ROCPRIM_400000_NS6detail17trampoline_kernelINS0_14default_configENS1_35radix_sort_onesweep_config_selectorImNS0_10empty_typeEEEZNS1_34radix_sort_onesweep_global_offsetsIS3_Lb1EPKmPS5_mNS0_19identity_decomposerEEE10hipError_tT1_T2_PT3_SF_jT4_jjP12ihipStream_tbEUlT_E_NS1_11comp_targetILNS1_3genE4ELNS1_11target_archE910ELNS1_3gpuE8ELNS1_3repE0EEENS1_52radix_sort_onesweep_histogram_config_static_selectorELNS0_4arch9wavefront6targetE0EEEvSD_
                                        ; -- End function
	.set _ZN7rocprim17ROCPRIM_400000_NS6detail17trampoline_kernelINS0_14default_configENS1_35radix_sort_onesweep_config_selectorImNS0_10empty_typeEEEZNS1_34radix_sort_onesweep_global_offsetsIS3_Lb1EPKmPS5_mNS0_19identity_decomposerEEE10hipError_tT1_T2_PT3_SF_jT4_jjP12ihipStream_tbEUlT_E_NS1_11comp_targetILNS1_3genE4ELNS1_11target_archE910ELNS1_3gpuE8ELNS1_3repE0EEENS1_52radix_sort_onesweep_histogram_config_static_selectorELNS0_4arch9wavefront6targetE0EEEvSD_.num_vgpr, 0
	.set _ZN7rocprim17ROCPRIM_400000_NS6detail17trampoline_kernelINS0_14default_configENS1_35radix_sort_onesweep_config_selectorImNS0_10empty_typeEEEZNS1_34radix_sort_onesweep_global_offsetsIS3_Lb1EPKmPS5_mNS0_19identity_decomposerEEE10hipError_tT1_T2_PT3_SF_jT4_jjP12ihipStream_tbEUlT_E_NS1_11comp_targetILNS1_3genE4ELNS1_11target_archE910ELNS1_3gpuE8ELNS1_3repE0EEENS1_52radix_sort_onesweep_histogram_config_static_selectorELNS0_4arch9wavefront6targetE0EEEvSD_.num_agpr, 0
	.set _ZN7rocprim17ROCPRIM_400000_NS6detail17trampoline_kernelINS0_14default_configENS1_35radix_sort_onesweep_config_selectorImNS0_10empty_typeEEEZNS1_34radix_sort_onesweep_global_offsetsIS3_Lb1EPKmPS5_mNS0_19identity_decomposerEEE10hipError_tT1_T2_PT3_SF_jT4_jjP12ihipStream_tbEUlT_E_NS1_11comp_targetILNS1_3genE4ELNS1_11target_archE910ELNS1_3gpuE8ELNS1_3repE0EEENS1_52radix_sort_onesweep_histogram_config_static_selectorELNS0_4arch9wavefront6targetE0EEEvSD_.numbered_sgpr, 0
	.set _ZN7rocprim17ROCPRIM_400000_NS6detail17trampoline_kernelINS0_14default_configENS1_35radix_sort_onesweep_config_selectorImNS0_10empty_typeEEEZNS1_34radix_sort_onesweep_global_offsetsIS3_Lb1EPKmPS5_mNS0_19identity_decomposerEEE10hipError_tT1_T2_PT3_SF_jT4_jjP12ihipStream_tbEUlT_E_NS1_11comp_targetILNS1_3genE4ELNS1_11target_archE910ELNS1_3gpuE8ELNS1_3repE0EEENS1_52radix_sort_onesweep_histogram_config_static_selectorELNS0_4arch9wavefront6targetE0EEEvSD_.num_named_barrier, 0
	.set _ZN7rocprim17ROCPRIM_400000_NS6detail17trampoline_kernelINS0_14default_configENS1_35radix_sort_onesweep_config_selectorImNS0_10empty_typeEEEZNS1_34radix_sort_onesweep_global_offsetsIS3_Lb1EPKmPS5_mNS0_19identity_decomposerEEE10hipError_tT1_T2_PT3_SF_jT4_jjP12ihipStream_tbEUlT_E_NS1_11comp_targetILNS1_3genE4ELNS1_11target_archE910ELNS1_3gpuE8ELNS1_3repE0EEENS1_52radix_sort_onesweep_histogram_config_static_selectorELNS0_4arch9wavefront6targetE0EEEvSD_.private_seg_size, 0
	.set _ZN7rocprim17ROCPRIM_400000_NS6detail17trampoline_kernelINS0_14default_configENS1_35radix_sort_onesweep_config_selectorImNS0_10empty_typeEEEZNS1_34radix_sort_onesweep_global_offsetsIS3_Lb1EPKmPS5_mNS0_19identity_decomposerEEE10hipError_tT1_T2_PT3_SF_jT4_jjP12ihipStream_tbEUlT_E_NS1_11comp_targetILNS1_3genE4ELNS1_11target_archE910ELNS1_3gpuE8ELNS1_3repE0EEENS1_52radix_sort_onesweep_histogram_config_static_selectorELNS0_4arch9wavefront6targetE0EEEvSD_.uses_vcc, 0
	.set _ZN7rocprim17ROCPRIM_400000_NS6detail17trampoline_kernelINS0_14default_configENS1_35radix_sort_onesweep_config_selectorImNS0_10empty_typeEEEZNS1_34radix_sort_onesweep_global_offsetsIS3_Lb1EPKmPS5_mNS0_19identity_decomposerEEE10hipError_tT1_T2_PT3_SF_jT4_jjP12ihipStream_tbEUlT_E_NS1_11comp_targetILNS1_3genE4ELNS1_11target_archE910ELNS1_3gpuE8ELNS1_3repE0EEENS1_52radix_sort_onesweep_histogram_config_static_selectorELNS0_4arch9wavefront6targetE0EEEvSD_.uses_flat_scratch, 0
	.set _ZN7rocprim17ROCPRIM_400000_NS6detail17trampoline_kernelINS0_14default_configENS1_35radix_sort_onesweep_config_selectorImNS0_10empty_typeEEEZNS1_34radix_sort_onesweep_global_offsetsIS3_Lb1EPKmPS5_mNS0_19identity_decomposerEEE10hipError_tT1_T2_PT3_SF_jT4_jjP12ihipStream_tbEUlT_E_NS1_11comp_targetILNS1_3genE4ELNS1_11target_archE910ELNS1_3gpuE8ELNS1_3repE0EEENS1_52radix_sort_onesweep_histogram_config_static_selectorELNS0_4arch9wavefront6targetE0EEEvSD_.has_dyn_sized_stack, 0
	.set _ZN7rocprim17ROCPRIM_400000_NS6detail17trampoline_kernelINS0_14default_configENS1_35radix_sort_onesweep_config_selectorImNS0_10empty_typeEEEZNS1_34radix_sort_onesweep_global_offsetsIS3_Lb1EPKmPS5_mNS0_19identity_decomposerEEE10hipError_tT1_T2_PT3_SF_jT4_jjP12ihipStream_tbEUlT_E_NS1_11comp_targetILNS1_3genE4ELNS1_11target_archE910ELNS1_3gpuE8ELNS1_3repE0EEENS1_52radix_sort_onesweep_histogram_config_static_selectorELNS0_4arch9wavefront6targetE0EEEvSD_.has_recursion, 0
	.set _ZN7rocprim17ROCPRIM_400000_NS6detail17trampoline_kernelINS0_14default_configENS1_35radix_sort_onesweep_config_selectorImNS0_10empty_typeEEEZNS1_34radix_sort_onesweep_global_offsetsIS3_Lb1EPKmPS5_mNS0_19identity_decomposerEEE10hipError_tT1_T2_PT3_SF_jT4_jjP12ihipStream_tbEUlT_E_NS1_11comp_targetILNS1_3genE4ELNS1_11target_archE910ELNS1_3gpuE8ELNS1_3repE0EEENS1_52radix_sort_onesweep_histogram_config_static_selectorELNS0_4arch9wavefront6targetE0EEEvSD_.has_indirect_call, 0
	.section	.AMDGPU.csdata,"",@progbits
; Kernel info:
; codeLenInByte = 0
; TotalNumSgprs: 0
; NumVgprs: 0
; ScratchSize: 0
; MemoryBound: 0
; FloatMode: 240
; IeeeMode: 1
; LDSByteSize: 0 bytes/workgroup (compile time only)
; SGPRBlocks: 0
; VGPRBlocks: 0
; NumSGPRsForWavesPerEU: 1
; NumVGPRsForWavesPerEU: 1
; NamedBarCnt: 0
; Occupancy: 16
; WaveLimiterHint : 0
; COMPUTE_PGM_RSRC2:SCRATCH_EN: 0
; COMPUTE_PGM_RSRC2:USER_SGPR: 2
; COMPUTE_PGM_RSRC2:TRAP_HANDLER: 0
; COMPUTE_PGM_RSRC2:TGID_X_EN: 1
; COMPUTE_PGM_RSRC2:TGID_Y_EN: 0
; COMPUTE_PGM_RSRC2:TGID_Z_EN: 0
; COMPUTE_PGM_RSRC2:TIDIG_COMP_CNT: 0
	.section	.text._ZN7rocprim17ROCPRIM_400000_NS6detail17trampoline_kernelINS0_14default_configENS1_35radix_sort_onesweep_config_selectorImNS0_10empty_typeEEEZNS1_34radix_sort_onesweep_global_offsetsIS3_Lb1EPKmPS5_mNS0_19identity_decomposerEEE10hipError_tT1_T2_PT3_SF_jT4_jjP12ihipStream_tbEUlT_E_NS1_11comp_targetILNS1_3genE3ELNS1_11target_archE908ELNS1_3gpuE7ELNS1_3repE0EEENS1_52radix_sort_onesweep_histogram_config_static_selectorELNS0_4arch9wavefront6targetE0EEEvSD_,"axG",@progbits,_ZN7rocprim17ROCPRIM_400000_NS6detail17trampoline_kernelINS0_14default_configENS1_35radix_sort_onesweep_config_selectorImNS0_10empty_typeEEEZNS1_34radix_sort_onesweep_global_offsetsIS3_Lb1EPKmPS5_mNS0_19identity_decomposerEEE10hipError_tT1_T2_PT3_SF_jT4_jjP12ihipStream_tbEUlT_E_NS1_11comp_targetILNS1_3genE3ELNS1_11target_archE908ELNS1_3gpuE7ELNS1_3repE0EEENS1_52radix_sort_onesweep_histogram_config_static_selectorELNS0_4arch9wavefront6targetE0EEEvSD_,comdat
	.protected	_ZN7rocprim17ROCPRIM_400000_NS6detail17trampoline_kernelINS0_14default_configENS1_35radix_sort_onesweep_config_selectorImNS0_10empty_typeEEEZNS1_34radix_sort_onesweep_global_offsetsIS3_Lb1EPKmPS5_mNS0_19identity_decomposerEEE10hipError_tT1_T2_PT3_SF_jT4_jjP12ihipStream_tbEUlT_E_NS1_11comp_targetILNS1_3genE3ELNS1_11target_archE908ELNS1_3gpuE7ELNS1_3repE0EEENS1_52radix_sort_onesweep_histogram_config_static_selectorELNS0_4arch9wavefront6targetE0EEEvSD_ ; -- Begin function _ZN7rocprim17ROCPRIM_400000_NS6detail17trampoline_kernelINS0_14default_configENS1_35radix_sort_onesweep_config_selectorImNS0_10empty_typeEEEZNS1_34radix_sort_onesweep_global_offsetsIS3_Lb1EPKmPS5_mNS0_19identity_decomposerEEE10hipError_tT1_T2_PT3_SF_jT4_jjP12ihipStream_tbEUlT_E_NS1_11comp_targetILNS1_3genE3ELNS1_11target_archE908ELNS1_3gpuE7ELNS1_3repE0EEENS1_52radix_sort_onesweep_histogram_config_static_selectorELNS0_4arch9wavefront6targetE0EEEvSD_
	.globl	_ZN7rocprim17ROCPRIM_400000_NS6detail17trampoline_kernelINS0_14default_configENS1_35radix_sort_onesweep_config_selectorImNS0_10empty_typeEEEZNS1_34radix_sort_onesweep_global_offsetsIS3_Lb1EPKmPS5_mNS0_19identity_decomposerEEE10hipError_tT1_T2_PT3_SF_jT4_jjP12ihipStream_tbEUlT_E_NS1_11comp_targetILNS1_3genE3ELNS1_11target_archE908ELNS1_3gpuE7ELNS1_3repE0EEENS1_52radix_sort_onesweep_histogram_config_static_selectorELNS0_4arch9wavefront6targetE0EEEvSD_
	.p2align	8
	.type	_ZN7rocprim17ROCPRIM_400000_NS6detail17trampoline_kernelINS0_14default_configENS1_35radix_sort_onesweep_config_selectorImNS0_10empty_typeEEEZNS1_34radix_sort_onesweep_global_offsetsIS3_Lb1EPKmPS5_mNS0_19identity_decomposerEEE10hipError_tT1_T2_PT3_SF_jT4_jjP12ihipStream_tbEUlT_E_NS1_11comp_targetILNS1_3genE3ELNS1_11target_archE908ELNS1_3gpuE7ELNS1_3repE0EEENS1_52radix_sort_onesweep_histogram_config_static_selectorELNS0_4arch9wavefront6targetE0EEEvSD_,@function
_ZN7rocprim17ROCPRIM_400000_NS6detail17trampoline_kernelINS0_14default_configENS1_35radix_sort_onesweep_config_selectorImNS0_10empty_typeEEEZNS1_34radix_sort_onesweep_global_offsetsIS3_Lb1EPKmPS5_mNS0_19identity_decomposerEEE10hipError_tT1_T2_PT3_SF_jT4_jjP12ihipStream_tbEUlT_E_NS1_11comp_targetILNS1_3genE3ELNS1_11target_archE908ELNS1_3gpuE7ELNS1_3repE0EEENS1_52radix_sort_onesweep_histogram_config_static_selectorELNS0_4arch9wavefront6targetE0EEEvSD_: ; @_ZN7rocprim17ROCPRIM_400000_NS6detail17trampoline_kernelINS0_14default_configENS1_35radix_sort_onesweep_config_selectorImNS0_10empty_typeEEEZNS1_34radix_sort_onesweep_global_offsetsIS3_Lb1EPKmPS5_mNS0_19identity_decomposerEEE10hipError_tT1_T2_PT3_SF_jT4_jjP12ihipStream_tbEUlT_E_NS1_11comp_targetILNS1_3genE3ELNS1_11target_archE908ELNS1_3gpuE7ELNS1_3repE0EEENS1_52radix_sort_onesweep_histogram_config_static_selectorELNS0_4arch9wavefront6targetE0EEEvSD_
; %bb.0:
	.section	.rodata,"a",@progbits
	.p2align	6, 0x0
	.amdhsa_kernel _ZN7rocprim17ROCPRIM_400000_NS6detail17trampoline_kernelINS0_14default_configENS1_35radix_sort_onesweep_config_selectorImNS0_10empty_typeEEEZNS1_34radix_sort_onesweep_global_offsetsIS3_Lb1EPKmPS5_mNS0_19identity_decomposerEEE10hipError_tT1_T2_PT3_SF_jT4_jjP12ihipStream_tbEUlT_E_NS1_11comp_targetILNS1_3genE3ELNS1_11target_archE908ELNS1_3gpuE7ELNS1_3repE0EEENS1_52radix_sort_onesweep_histogram_config_static_selectorELNS0_4arch9wavefront6targetE0EEEvSD_
		.amdhsa_group_segment_fixed_size 0
		.amdhsa_private_segment_fixed_size 0
		.amdhsa_kernarg_size 48
		.amdhsa_user_sgpr_count 2
		.amdhsa_user_sgpr_dispatch_ptr 0
		.amdhsa_user_sgpr_queue_ptr 0
		.amdhsa_user_sgpr_kernarg_segment_ptr 1
		.amdhsa_user_sgpr_dispatch_id 0
		.amdhsa_user_sgpr_kernarg_preload_length 0
		.amdhsa_user_sgpr_kernarg_preload_offset 0
		.amdhsa_user_sgpr_private_segment_size 0
		.amdhsa_wavefront_size32 1
		.amdhsa_uses_dynamic_stack 0
		.amdhsa_enable_private_segment 0
		.amdhsa_system_sgpr_workgroup_id_x 1
		.amdhsa_system_sgpr_workgroup_id_y 0
		.amdhsa_system_sgpr_workgroup_id_z 0
		.amdhsa_system_sgpr_workgroup_info 0
		.amdhsa_system_vgpr_workitem_id 0
		.amdhsa_next_free_vgpr 1
		.amdhsa_next_free_sgpr 1
		.amdhsa_named_barrier_count 0
		.amdhsa_reserve_vcc 0
		.amdhsa_float_round_mode_32 0
		.amdhsa_float_round_mode_16_64 0
		.amdhsa_float_denorm_mode_32 3
		.amdhsa_float_denorm_mode_16_64 3
		.amdhsa_fp16_overflow 0
		.amdhsa_memory_ordered 1
		.amdhsa_forward_progress 1
		.amdhsa_inst_pref_size 0
		.amdhsa_round_robin_scheduling 0
		.amdhsa_exception_fp_ieee_invalid_op 0
		.amdhsa_exception_fp_denorm_src 0
		.amdhsa_exception_fp_ieee_div_zero 0
		.amdhsa_exception_fp_ieee_overflow 0
		.amdhsa_exception_fp_ieee_underflow 0
		.amdhsa_exception_fp_ieee_inexact 0
		.amdhsa_exception_int_div_zero 0
	.end_amdhsa_kernel
	.section	.text._ZN7rocprim17ROCPRIM_400000_NS6detail17trampoline_kernelINS0_14default_configENS1_35radix_sort_onesweep_config_selectorImNS0_10empty_typeEEEZNS1_34radix_sort_onesweep_global_offsetsIS3_Lb1EPKmPS5_mNS0_19identity_decomposerEEE10hipError_tT1_T2_PT3_SF_jT4_jjP12ihipStream_tbEUlT_E_NS1_11comp_targetILNS1_3genE3ELNS1_11target_archE908ELNS1_3gpuE7ELNS1_3repE0EEENS1_52radix_sort_onesweep_histogram_config_static_selectorELNS0_4arch9wavefront6targetE0EEEvSD_,"axG",@progbits,_ZN7rocprim17ROCPRIM_400000_NS6detail17trampoline_kernelINS0_14default_configENS1_35radix_sort_onesweep_config_selectorImNS0_10empty_typeEEEZNS1_34radix_sort_onesweep_global_offsetsIS3_Lb1EPKmPS5_mNS0_19identity_decomposerEEE10hipError_tT1_T2_PT3_SF_jT4_jjP12ihipStream_tbEUlT_E_NS1_11comp_targetILNS1_3genE3ELNS1_11target_archE908ELNS1_3gpuE7ELNS1_3repE0EEENS1_52radix_sort_onesweep_histogram_config_static_selectorELNS0_4arch9wavefront6targetE0EEEvSD_,comdat
.Lfunc_end2859:
	.size	_ZN7rocprim17ROCPRIM_400000_NS6detail17trampoline_kernelINS0_14default_configENS1_35radix_sort_onesweep_config_selectorImNS0_10empty_typeEEEZNS1_34radix_sort_onesweep_global_offsetsIS3_Lb1EPKmPS5_mNS0_19identity_decomposerEEE10hipError_tT1_T2_PT3_SF_jT4_jjP12ihipStream_tbEUlT_E_NS1_11comp_targetILNS1_3genE3ELNS1_11target_archE908ELNS1_3gpuE7ELNS1_3repE0EEENS1_52radix_sort_onesweep_histogram_config_static_selectorELNS0_4arch9wavefront6targetE0EEEvSD_, .Lfunc_end2859-_ZN7rocprim17ROCPRIM_400000_NS6detail17trampoline_kernelINS0_14default_configENS1_35radix_sort_onesweep_config_selectorImNS0_10empty_typeEEEZNS1_34radix_sort_onesweep_global_offsetsIS3_Lb1EPKmPS5_mNS0_19identity_decomposerEEE10hipError_tT1_T2_PT3_SF_jT4_jjP12ihipStream_tbEUlT_E_NS1_11comp_targetILNS1_3genE3ELNS1_11target_archE908ELNS1_3gpuE7ELNS1_3repE0EEENS1_52radix_sort_onesweep_histogram_config_static_selectorELNS0_4arch9wavefront6targetE0EEEvSD_
                                        ; -- End function
	.set _ZN7rocprim17ROCPRIM_400000_NS6detail17trampoline_kernelINS0_14default_configENS1_35radix_sort_onesweep_config_selectorImNS0_10empty_typeEEEZNS1_34radix_sort_onesweep_global_offsetsIS3_Lb1EPKmPS5_mNS0_19identity_decomposerEEE10hipError_tT1_T2_PT3_SF_jT4_jjP12ihipStream_tbEUlT_E_NS1_11comp_targetILNS1_3genE3ELNS1_11target_archE908ELNS1_3gpuE7ELNS1_3repE0EEENS1_52radix_sort_onesweep_histogram_config_static_selectorELNS0_4arch9wavefront6targetE0EEEvSD_.num_vgpr, 0
	.set _ZN7rocprim17ROCPRIM_400000_NS6detail17trampoline_kernelINS0_14default_configENS1_35radix_sort_onesweep_config_selectorImNS0_10empty_typeEEEZNS1_34radix_sort_onesweep_global_offsetsIS3_Lb1EPKmPS5_mNS0_19identity_decomposerEEE10hipError_tT1_T2_PT3_SF_jT4_jjP12ihipStream_tbEUlT_E_NS1_11comp_targetILNS1_3genE3ELNS1_11target_archE908ELNS1_3gpuE7ELNS1_3repE0EEENS1_52radix_sort_onesweep_histogram_config_static_selectorELNS0_4arch9wavefront6targetE0EEEvSD_.num_agpr, 0
	.set _ZN7rocprim17ROCPRIM_400000_NS6detail17trampoline_kernelINS0_14default_configENS1_35radix_sort_onesweep_config_selectorImNS0_10empty_typeEEEZNS1_34radix_sort_onesweep_global_offsetsIS3_Lb1EPKmPS5_mNS0_19identity_decomposerEEE10hipError_tT1_T2_PT3_SF_jT4_jjP12ihipStream_tbEUlT_E_NS1_11comp_targetILNS1_3genE3ELNS1_11target_archE908ELNS1_3gpuE7ELNS1_3repE0EEENS1_52radix_sort_onesweep_histogram_config_static_selectorELNS0_4arch9wavefront6targetE0EEEvSD_.numbered_sgpr, 0
	.set _ZN7rocprim17ROCPRIM_400000_NS6detail17trampoline_kernelINS0_14default_configENS1_35radix_sort_onesweep_config_selectorImNS0_10empty_typeEEEZNS1_34radix_sort_onesweep_global_offsetsIS3_Lb1EPKmPS5_mNS0_19identity_decomposerEEE10hipError_tT1_T2_PT3_SF_jT4_jjP12ihipStream_tbEUlT_E_NS1_11comp_targetILNS1_3genE3ELNS1_11target_archE908ELNS1_3gpuE7ELNS1_3repE0EEENS1_52radix_sort_onesweep_histogram_config_static_selectorELNS0_4arch9wavefront6targetE0EEEvSD_.num_named_barrier, 0
	.set _ZN7rocprim17ROCPRIM_400000_NS6detail17trampoline_kernelINS0_14default_configENS1_35radix_sort_onesweep_config_selectorImNS0_10empty_typeEEEZNS1_34radix_sort_onesweep_global_offsetsIS3_Lb1EPKmPS5_mNS0_19identity_decomposerEEE10hipError_tT1_T2_PT3_SF_jT4_jjP12ihipStream_tbEUlT_E_NS1_11comp_targetILNS1_3genE3ELNS1_11target_archE908ELNS1_3gpuE7ELNS1_3repE0EEENS1_52radix_sort_onesweep_histogram_config_static_selectorELNS0_4arch9wavefront6targetE0EEEvSD_.private_seg_size, 0
	.set _ZN7rocprim17ROCPRIM_400000_NS6detail17trampoline_kernelINS0_14default_configENS1_35radix_sort_onesweep_config_selectorImNS0_10empty_typeEEEZNS1_34radix_sort_onesweep_global_offsetsIS3_Lb1EPKmPS5_mNS0_19identity_decomposerEEE10hipError_tT1_T2_PT3_SF_jT4_jjP12ihipStream_tbEUlT_E_NS1_11comp_targetILNS1_3genE3ELNS1_11target_archE908ELNS1_3gpuE7ELNS1_3repE0EEENS1_52radix_sort_onesweep_histogram_config_static_selectorELNS0_4arch9wavefront6targetE0EEEvSD_.uses_vcc, 0
	.set _ZN7rocprim17ROCPRIM_400000_NS6detail17trampoline_kernelINS0_14default_configENS1_35radix_sort_onesweep_config_selectorImNS0_10empty_typeEEEZNS1_34radix_sort_onesweep_global_offsetsIS3_Lb1EPKmPS5_mNS0_19identity_decomposerEEE10hipError_tT1_T2_PT3_SF_jT4_jjP12ihipStream_tbEUlT_E_NS1_11comp_targetILNS1_3genE3ELNS1_11target_archE908ELNS1_3gpuE7ELNS1_3repE0EEENS1_52radix_sort_onesweep_histogram_config_static_selectorELNS0_4arch9wavefront6targetE0EEEvSD_.uses_flat_scratch, 0
	.set _ZN7rocprim17ROCPRIM_400000_NS6detail17trampoline_kernelINS0_14default_configENS1_35radix_sort_onesweep_config_selectorImNS0_10empty_typeEEEZNS1_34radix_sort_onesweep_global_offsetsIS3_Lb1EPKmPS5_mNS0_19identity_decomposerEEE10hipError_tT1_T2_PT3_SF_jT4_jjP12ihipStream_tbEUlT_E_NS1_11comp_targetILNS1_3genE3ELNS1_11target_archE908ELNS1_3gpuE7ELNS1_3repE0EEENS1_52radix_sort_onesweep_histogram_config_static_selectorELNS0_4arch9wavefront6targetE0EEEvSD_.has_dyn_sized_stack, 0
	.set _ZN7rocprim17ROCPRIM_400000_NS6detail17trampoline_kernelINS0_14default_configENS1_35radix_sort_onesweep_config_selectorImNS0_10empty_typeEEEZNS1_34radix_sort_onesweep_global_offsetsIS3_Lb1EPKmPS5_mNS0_19identity_decomposerEEE10hipError_tT1_T2_PT3_SF_jT4_jjP12ihipStream_tbEUlT_E_NS1_11comp_targetILNS1_3genE3ELNS1_11target_archE908ELNS1_3gpuE7ELNS1_3repE0EEENS1_52radix_sort_onesweep_histogram_config_static_selectorELNS0_4arch9wavefront6targetE0EEEvSD_.has_recursion, 0
	.set _ZN7rocprim17ROCPRIM_400000_NS6detail17trampoline_kernelINS0_14default_configENS1_35radix_sort_onesweep_config_selectorImNS0_10empty_typeEEEZNS1_34radix_sort_onesweep_global_offsetsIS3_Lb1EPKmPS5_mNS0_19identity_decomposerEEE10hipError_tT1_T2_PT3_SF_jT4_jjP12ihipStream_tbEUlT_E_NS1_11comp_targetILNS1_3genE3ELNS1_11target_archE908ELNS1_3gpuE7ELNS1_3repE0EEENS1_52radix_sort_onesweep_histogram_config_static_selectorELNS0_4arch9wavefront6targetE0EEEvSD_.has_indirect_call, 0
	.section	.AMDGPU.csdata,"",@progbits
; Kernel info:
; codeLenInByte = 0
; TotalNumSgprs: 0
; NumVgprs: 0
; ScratchSize: 0
; MemoryBound: 0
; FloatMode: 240
; IeeeMode: 1
; LDSByteSize: 0 bytes/workgroup (compile time only)
; SGPRBlocks: 0
; VGPRBlocks: 0
; NumSGPRsForWavesPerEU: 1
; NumVGPRsForWavesPerEU: 1
; NamedBarCnt: 0
; Occupancy: 16
; WaveLimiterHint : 0
; COMPUTE_PGM_RSRC2:SCRATCH_EN: 0
; COMPUTE_PGM_RSRC2:USER_SGPR: 2
; COMPUTE_PGM_RSRC2:TRAP_HANDLER: 0
; COMPUTE_PGM_RSRC2:TGID_X_EN: 1
; COMPUTE_PGM_RSRC2:TGID_Y_EN: 0
; COMPUTE_PGM_RSRC2:TGID_Z_EN: 0
; COMPUTE_PGM_RSRC2:TIDIG_COMP_CNT: 0
	.section	.text._ZN7rocprim17ROCPRIM_400000_NS6detail17trampoline_kernelINS0_14default_configENS1_35radix_sort_onesweep_config_selectorImNS0_10empty_typeEEEZNS1_34radix_sort_onesweep_global_offsetsIS3_Lb1EPKmPS5_mNS0_19identity_decomposerEEE10hipError_tT1_T2_PT3_SF_jT4_jjP12ihipStream_tbEUlT_E_NS1_11comp_targetILNS1_3genE10ELNS1_11target_archE1201ELNS1_3gpuE5ELNS1_3repE0EEENS1_52radix_sort_onesweep_histogram_config_static_selectorELNS0_4arch9wavefront6targetE0EEEvSD_,"axG",@progbits,_ZN7rocprim17ROCPRIM_400000_NS6detail17trampoline_kernelINS0_14default_configENS1_35radix_sort_onesweep_config_selectorImNS0_10empty_typeEEEZNS1_34radix_sort_onesweep_global_offsetsIS3_Lb1EPKmPS5_mNS0_19identity_decomposerEEE10hipError_tT1_T2_PT3_SF_jT4_jjP12ihipStream_tbEUlT_E_NS1_11comp_targetILNS1_3genE10ELNS1_11target_archE1201ELNS1_3gpuE5ELNS1_3repE0EEENS1_52radix_sort_onesweep_histogram_config_static_selectorELNS0_4arch9wavefront6targetE0EEEvSD_,comdat
	.protected	_ZN7rocprim17ROCPRIM_400000_NS6detail17trampoline_kernelINS0_14default_configENS1_35radix_sort_onesweep_config_selectorImNS0_10empty_typeEEEZNS1_34radix_sort_onesweep_global_offsetsIS3_Lb1EPKmPS5_mNS0_19identity_decomposerEEE10hipError_tT1_T2_PT3_SF_jT4_jjP12ihipStream_tbEUlT_E_NS1_11comp_targetILNS1_3genE10ELNS1_11target_archE1201ELNS1_3gpuE5ELNS1_3repE0EEENS1_52radix_sort_onesweep_histogram_config_static_selectorELNS0_4arch9wavefront6targetE0EEEvSD_ ; -- Begin function _ZN7rocprim17ROCPRIM_400000_NS6detail17trampoline_kernelINS0_14default_configENS1_35radix_sort_onesweep_config_selectorImNS0_10empty_typeEEEZNS1_34radix_sort_onesweep_global_offsetsIS3_Lb1EPKmPS5_mNS0_19identity_decomposerEEE10hipError_tT1_T2_PT3_SF_jT4_jjP12ihipStream_tbEUlT_E_NS1_11comp_targetILNS1_3genE10ELNS1_11target_archE1201ELNS1_3gpuE5ELNS1_3repE0EEENS1_52radix_sort_onesweep_histogram_config_static_selectorELNS0_4arch9wavefront6targetE0EEEvSD_
	.globl	_ZN7rocprim17ROCPRIM_400000_NS6detail17trampoline_kernelINS0_14default_configENS1_35radix_sort_onesweep_config_selectorImNS0_10empty_typeEEEZNS1_34radix_sort_onesweep_global_offsetsIS3_Lb1EPKmPS5_mNS0_19identity_decomposerEEE10hipError_tT1_T2_PT3_SF_jT4_jjP12ihipStream_tbEUlT_E_NS1_11comp_targetILNS1_3genE10ELNS1_11target_archE1201ELNS1_3gpuE5ELNS1_3repE0EEENS1_52radix_sort_onesweep_histogram_config_static_selectorELNS0_4arch9wavefront6targetE0EEEvSD_
	.p2align	8
	.type	_ZN7rocprim17ROCPRIM_400000_NS6detail17trampoline_kernelINS0_14default_configENS1_35radix_sort_onesweep_config_selectorImNS0_10empty_typeEEEZNS1_34radix_sort_onesweep_global_offsetsIS3_Lb1EPKmPS5_mNS0_19identity_decomposerEEE10hipError_tT1_T2_PT3_SF_jT4_jjP12ihipStream_tbEUlT_E_NS1_11comp_targetILNS1_3genE10ELNS1_11target_archE1201ELNS1_3gpuE5ELNS1_3repE0EEENS1_52radix_sort_onesweep_histogram_config_static_selectorELNS0_4arch9wavefront6targetE0EEEvSD_,@function
_ZN7rocprim17ROCPRIM_400000_NS6detail17trampoline_kernelINS0_14default_configENS1_35radix_sort_onesweep_config_selectorImNS0_10empty_typeEEEZNS1_34radix_sort_onesweep_global_offsetsIS3_Lb1EPKmPS5_mNS0_19identity_decomposerEEE10hipError_tT1_T2_PT3_SF_jT4_jjP12ihipStream_tbEUlT_E_NS1_11comp_targetILNS1_3genE10ELNS1_11target_archE1201ELNS1_3gpuE5ELNS1_3repE0EEENS1_52radix_sort_onesweep_histogram_config_static_selectorELNS0_4arch9wavefront6targetE0EEEvSD_: ; @_ZN7rocprim17ROCPRIM_400000_NS6detail17trampoline_kernelINS0_14default_configENS1_35radix_sort_onesweep_config_selectorImNS0_10empty_typeEEEZNS1_34radix_sort_onesweep_global_offsetsIS3_Lb1EPKmPS5_mNS0_19identity_decomposerEEE10hipError_tT1_T2_PT3_SF_jT4_jjP12ihipStream_tbEUlT_E_NS1_11comp_targetILNS1_3genE10ELNS1_11target_archE1201ELNS1_3gpuE5ELNS1_3repE0EEENS1_52radix_sort_onesweep_histogram_config_static_selectorELNS0_4arch9wavefront6targetE0EEEvSD_
; %bb.0:
	.section	.rodata,"a",@progbits
	.p2align	6, 0x0
	.amdhsa_kernel _ZN7rocprim17ROCPRIM_400000_NS6detail17trampoline_kernelINS0_14default_configENS1_35radix_sort_onesweep_config_selectorImNS0_10empty_typeEEEZNS1_34radix_sort_onesweep_global_offsetsIS3_Lb1EPKmPS5_mNS0_19identity_decomposerEEE10hipError_tT1_T2_PT3_SF_jT4_jjP12ihipStream_tbEUlT_E_NS1_11comp_targetILNS1_3genE10ELNS1_11target_archE1201ELNS1_3gpuE5ELNS1_3repE0EEENS1_52radix_sort_onesweep_histogram_config_static_selectorELNS0_4arch9wavefront6targetE0EEEvSD_
		.amdhsa_group_segment_fixed_size 0
		.amdhsa_private_segment_fixed_size 0
		.amdhsa_kernarg_size 48
		.amdhsa_user_sgpr_count 2
		.amdhsa_user_sgpr_dispatch_ptr 0
		.amdhsa_user_sgpr_queue_ptr 0
		.amdhsa_user_sgpr_kernarg_segment_ptr 1
		.amdhsa_user_sgpr_dispatch_id 0
		.amdhsa_user_sgpr_kernarg_preload_length 0
		.amdhsa_user_sgpr_kernarg_preload_offset 0
		.amdhsa_user_sgpr_private_segment_size 0
		.amdhsa_wavefront_size32 1
		.amdhsa_uses_dynamic_stack 0
		.amdhsa_enable_private_segment 0
		.amdhsa_system_sgpr_workgroup_id_x 1
		.amdhsa_system_sgpr_workgroup_id_y 0
		.amdhsa_system_sgpr_workgroup_id_z 0
		.amdhsa_system_sgpr_workgroup_info 0
		.amdhsa_system_vgpr_workitem_id 0
		.amdhsa_next_free_vgpr 1
		.amdhsa_next_free_sgpr 1
		.amdhsa_named_barrier_count 0
		.amdhsa_reserve_vcc 0
		.amdhsa_float_round_mode_32 0
		.amdhsa_float_round_mode_16_64 0
		.amdhsa_float_denorm_mode_32 3
		.amdhsa_float_denorm_mode_16_64 3
		.amdhsa_fp16_overflow 0
		.amdhsa_memory_ordered 1
		.amdhsa_forward_progress 1
		.amdhsa_inst_pref_size 0
		.amdhsa_round_robin_scheduling 0
		.amdhsa_exception_fp_ieee_invalid_op 0
		.amdhsa_exception_fp_denorm_src 0
		.amdhsa_exception_fp_ieee_div_zero 0
		.amdhsa_exception_fp_ieee_overflow 0
		.amdhsa_exception_fp_ieee_underflow 0
		.amdhsa_exception_fp_ieee_inexact 0
		.amdhsa_exception_int_div_zero 0
	.end_amdhsa_kernel
	.section	.text._ZN7rocprim17ROCPRIM_400000_NS6detail17trampoline_kernelINS0_14default_configENS1_35radix_sort_onesweep_config_selectorImNS0_10empty_typeEEEZNS1_34radix_sort_onesweep_global_offsetsIS3_Lb1EPKmPS5_mNS0_19identity_decomposerEEE10hipError_tT1_T2_PT3_SF_jT4_jjP12ihipStream_tbEUlT_E_NS1_11comp_targetILNS1_3genE10ELNS1_11target_archE1201ELNS1_3gpuE5ELNS1_3repE0EEENS1_52radix_sort_onesweep_histogram_config_static_selectorELNS0_4arch9wavefront6targetE0EEEvSD_,"axG",@progbits,_ZN7rocprim17ROCPRIM_400000_NS6detail17trampoline_kernelINS0_14default_configENS1_35radix_sort_onesweep_config_selectorImNS0_10empty_typeEEEZNS1_34radix_sort_onesweep_global_offsetsIS3_Lb1EPKmPS5_mNS0_19identity_decomposerEEE10hipError_tT1_T2_PT3_SF_jT4_jjP12ihipStream_tbEUlT_E_NS1_11comp_targetILNS1_3genE10ELNS1_11target_archE1201ELNS1_3gpuE5ELNS1_3repE0EEENS1_52radix_sort_onesweep_histogram_config_static_selectorELNS0_4arch9wavefront6targetE0EEEvSD_,comdat
.Lfunc_end2860:
	.size	_ZN7rocprim17ROCPRIM_400000_NS6detail17trampoline_kernelINS0_14default_configENS1_35radix_sort_onesweep_config_selectorImNS0_10empty_typeEEEZNS1_34radix_sort_onesweep_global_offsetsIS3_Lb1EPKmPS5_mNS0_19identity_decomposerEEE10hipError_tT1_T2_PT3_SF_jT4_jjP12ihipStream_tbEUlT_E_NS1_11comp_targetILNS1_3genE10ELNS1_11target_archE1201ELNS1_3gpuE5ELNS1_3repE0EEENS1_52radix_sort_onesweep_histogram_config_static_selectorELNS0_4arch9wavefront6targetE0EEEvSD_, .Lfunc_end2860-_ZN7rocprim17ROCPRIM_400000_NS6detail17trampoline_kernelINS0_14default_configENS1_35radix_sort_onesweep_config_selectorImNS0_10empty_typeEEEZNS1_34radix_sort_onesweep_global_offsetsIS3_Lb1EPKmPS5_mNS0_19identity_decomposerEEE10hipError_tT1_T2_PT3_SF_jT4_jjP12ihipStream_tbEUlT_E_NS1_11comp_targetILNS1_3genE10ELNS1_11target_archE1201ELNS1_3gpuE5ELNS1_3repE0EEENS1_52radix_sort_onesweep_histogram_config_static_selectorELNS0_4arch9wavefront6targetE0EEEvSD_
                                        ; -- End function
	.set _ZN7rocprim17ROCPRIM_400000_NS6detail17trampoline_kernelINS0_14default_configENS1_35radix_sort_onesweep_config_selectorImNS0_10empty_typeEEEZNS1_34radix_sort_onesweep_global_offsetsIS3_Lb1EPKmPS5_mNS0_19identity_decomposerEEE10hipError_tT1_T2_PT3_SF_jT4_jjP12ihipStream_tbEUlT_E_NS1_11comp_targetILNS1_3genE10ELNS1_11target_archE1201ELNS1_3gpuE5ELNS1_3repE0EEENS1_52radix_sort_onesweep_histogram_config_static_selectorELNS0_4arch9wavefront6targetE0EEEvSD_.num_vgpr, 0
	.set _ZN7rocprim17ROCPRIM_400000_NS6detail17trampoline_kernelINS0_14default_configENS1_35radix_sort_onesweep_config_selectorImNS0_10empty_typeEEEZNS1_34radix_sort_onesweep_global_offsetsIS3_Lb1EPKmPS5_mNS0_19identity_decomposerEEE10hipError_tT1_T2_PT3_SF_jT4_jjP12ihipStream_tbEUlT_E_NS1_11comp_targetILNS1_3genE10ELNS1_11target_archE1201ELNS1_3gpuE5ELNS1_3repE0EEENS1_52radix_sort_onesweep_histogram_config_static_selectorELNS0_4arch9wavefront6targetE0EEEvSD_.num_agpr, 0
	.set _ZN7rocprim17ROCPRIM_400000_NS6detail17trampoline_kernelINS0_14default_configENS1_35radix_sort_onesweep_config_selectorImNS0_10empty_typeEEEZNS1_34radix_sort_onesweep_global_offsetsIS3_Lb1EPKmPS5_mNS0_19identity_decomposerEEE10hipError_tT1_T2_PT3_SF_jT4_jjP12ihipStream_tbEUlT_E_NS1_11comp_targetILNS1_3genE10ELNS1_11target_archE1201ELNS1_3gpuE5ELNS1_3repE0EEENS1_52radix_sort_onesweep_histogram_config_static_selectorELNS0_4arch9wavefront6targetE0EEEvSD_.numbered_sgpr, 0
	.set _ZN7rocprim17ROCPRIM_400000_NS6detail17trampoline_kernelINS0_14default_configENS1_35radix_sort_onesweep_config_selectorImNS0_10empty_typeEEEZNS1_34radix_sort_onesweep_global_offsetsIS3_Lb1EPKmPS5_mNS0_19identity_decomposerEEE10hipError_tT1_T2_PT3_SF_jT4_jjP12ihipStream_tbEUlT_E_NS1_11comp_targetILNS1_3genE10ELNS1_11target_archE1201ELNS1_3gpuE5ELNS1_3repE0EEENS1_52radix_sort_onesweep_histogram_config_static_selectorELNS0_4arch9wavefront6targetE0EEEvSD_.num_named_barrier, 0
	.set _ZN7rocprim17ROCPRIM_400000_NS6detail17trampoline_kernelINS0_14default_configENS1_35radix_sort_onesweep_config_selectorImNS0_10empty_typeEEEZNS1_34radix_sort_onesweep_global_offsetsIS3_Lb1EPKmPS5_mNS0_19identity_decomposerEEE10hipError_tT1_T2_PT3_SF_jT4_jjP12ihipStream_tbEUlT_E_NS1_11comp_targetILNS1_3genE10ELNS1_11target_archE1201ELNS1_3gpuE5ELNS1_3repE0EEENS1_52radix_sort_onesweep_histogram_config_static_selectorELNS0_4arch9wavefront6targetE0EEEvSD_.private_seg_size, 0
	.set _ZN7rocprim17ROCPRIM_400000_NS6detail17trampoline_kernelINS0_14default_configENS1_35radix_sort_onesweep_config_selectorImNS0_10empty_typeEEEZNS1_34radix_sort_onesweep_global_offsetsIS3_Lb1EPKmPS5_mNS0_19identity_decomposerEEE10hipError_tT1_T2_PT3_SF_jT4_jjP12ihipStream_tbEUlT_E_NS1_11comp_targetILNS1_3genE10ELNS1_11target_archE1201ELNS1_3gpuE5ELNS1_3repE0EEENS1_52radix_sort_onesweep_histogram_config_static_selectorELNS0_4arch9wavefront6targetE0EEEvSD_.uses_vcc, 0
	.set _ZN7rocprim17ROCPRIM_400000_NS6detail17trampoline_kernelINS0_14default_configENS1_35radix_sort_onesweep_config_selectorImNS0_10empty_typeEEEZNS1_34radix_sort_onesweep_global_offsetsIS3_Lb1EPKmPS5_mNS0_19identity_decomposerEEE10hipError_tT1_T2_PT3_SF_jT4_jjP12ihipStream_tbEUlT_E_NS1_11comp_targetILNS1_3genE10ELNS1_11target_archE1201ELNS1_3gpuE5ELNS1_3repE0EEENS1_52radix_sort_onesweep_histogram_config_static_selectorELNS0_4arch9wavefront6targetE0EEEvSD_.uses_flat_scratch, 0
	.set _ZN7rocprim17ROCPRIM_400000_NS6detail17trampoline_kernelINS0_14default_configENS1_35radix_sort_onesweep_config_selectorImNS0_10empty_typeEEEZNS1_34radix_sort_onesweep_global_offsetsIS3_Lb1EPKmPS5_mNS0_19identity_decomposerEEE10hipError_tT1_T2_PT3_SF_jT4_jjP12ihipStream_tbEUlT_E_NS1_11comp_targetILNS1_3genE10ELNS1_11target_archE1201ELNS1_3gpuE5ELNS1_3repE0EEENS1_52radix_sort_onesweep_histogram_config_static_selectorELNS0_4arch9wavefront6targetE0EEEvSD_.has_dyn_sized_stack, 0
	.set _ZN7rocprim17ROCPRIM_400000_NS6detail17trampoline_kernelINS0_14default_configENS1_35radix_sort_onesweep_config_selectorImNS0_10empty_typeEEEZNS1_34radix_sort_onesweep_global_offsetsIS3_Lb1EPKmPS5_mNS0_19identity_decomposerEEE10hipError_tT1_T2_PT3_SF_jT4_jjP12ihipStream_tbEUlT_E_NS1_11comp_targetILNS1_3genE10ELNS1_11target_archE1201ELNS1_3gpuE5ELNS1_3repE0EEENS1_52radix_sort_onesweep_histogram_config_static_selectorELNS0_4arch9wavefront6targetE0EEEvSD_.has_recursion, 0
	.set _ZN7rocprim17ROCPRIM_400000_NS6detail17trampoline_kernelINS0_14default_configENS1_35radix_sort_onesweep_config_selectorImNS0_10empty_typeEEEZNS1_34radix_sort_onesweep_global_offsetsIS3_Lb1EPKmPS5_mNS0_19identity_decomposerEEE10hipError_tT1_T2_PT3_SF_jT4_jjP12ihipStream_tbEUlT_E_NS1_11comp_targetILNS1_3genE10ELNS1_11target_archE1201ELNS1_3gpuE5ELNS1_3repE0EEENS1_52radix_sort_onesweep_histogram_config_static_selectorELNS0_4arch9wavefront6targetE0EEEvSD_.has_indirect_call, 0
	.section	.AMDGPU.csdata,"",@progbits
; Kernel info:
; codeLenInByte = 0
; TotalNumSgprs: 0
; NumVgprs: 0
; ScratchSize: 0
; MemoryBound: 0
; FloatMode: 240
; IeeeMode: 1
; LDSByteSize: 0 bytes/workgroup (compile time only)
; SGPRBlocks: 0
; VGPRBlocks: 0
; NumSGPRsForWavesPerEU: 1
; NumVGPRsForWavesPerEU: 1
; NamedBarCnt: 0
; Occupancy: 16
; WaveLimiterHint : 0
; COMPUTE_PGM_RSRC2:SCRATCH_EN: 0
; COMPUTE_PGM_RSRC2:USER_SGPR: 2
; COMPUTE_PGM_RSRC2:TRAP_HANDLER: 0
; COMPUTE_PGM_RSRC2:TGID_X_EN: 1
; COMPUTE_PGM_RSRC2:TGID_Y_EN: 0
; COMPUTE_PGM_RSRC2:TGID_Z_EN: 0
; COMPUTE_PGM_RSRC2:TIDIG_COMP_CNT: 0
	.section	.text._ZN7rocprim17ROCPRIM_400000_NS6detail17trampoline_kernelINS0_14default_configENS1_35radix_sort_onesweep_config_selectorImNS0_10empty_typeEEEZNS1_34radix_sort_onesweep_global_offsetsIS3_Lb1EPKmPS5_mNS0_19identity_decomposerEEE10hipError_tT1_T2_PT3_SF_jT4_jjP12ihipStream_tbEUlT_E_NS1_11comp_targetILNS1_3genE9ELNS1_11target_archE1100ELNS1_3gpuE3ELNS1_3repE0EEENS1_52radix_sort_onesweep_histogram_config_static_selectorELNS0_4arch9wavefront6targetE0EEEvSD_,"axG",@progbits,_ZN7rocprim17ROCPRIM_400000_NS6detail17trampoline_kernelINS0_14default_configENS1_35radix_sort_onesweep_config_selectorImNS0_10empty_typeEEEZNS1_34radix_sort_onesweep_global_offsetsIS3_Lb1EPKmPS5_mNS0_19identity_decomposerEEE10hipError_tT1_T2_PT3_SF_jT4_jjP12ihipStream_tbEUlT_E_NS1_11comp_targetILNS1_3genE9ELNS1_11target_archE1100ELNS1_3gpuE3ELNS1_3repE0EEENS1_52radix_sort_onesweep_histogram_config_static_selectorELNS0_4arch9wavefront6targetE0EEEvSD_,comdat
	.protected	_ZN7rocprim17ROCPRIM_400000_NS6detail17trampoline_kernelINS0_14default_configENS1_35radix_sort_onesweep_config_selectorImNS0_10empty_typeEEEZNS1_34radix_sort_onesweep_global_offsetsIS3_Lb1EPKmPS5_mNS0_19identity_decomposerEEE10hipError_tT1_T2_PT3_SF_jT4_jjP12ihipStream_tbEUlT_E_NS1_11comp_targetILNS1_3genE9ELNS1_11target_archE1100ELNS1_3gpuE3ELNS1_3repE0EEENS1_52radix_sort_onesweep_histogram_config_static_selectorELNS0_4arch9wavefront6targetE0EEEvSD_ ; -- Begin function _ZN7rocprim17ROCPRIM_400000_NS6detail17trampoline_kernelINS0_14default_configENS1_35radix_sort_onesweep_config_selectorImNS0_10empty_typeEEEZNS1_34radix_sort_onesweep_global_offsetsIS3_Lb1EPKmPS5_mNS0_19identity_decomposerEEE10hipError_tT1_T2_PT3_SF_jT4_jjP12ihipStream_tbEUlT_E_NS1_11comp_targetILNS1_3genE9ELNS1_11target_archE1100ELNS1_3gpuE3ELNS1_3repE0EEENS1_52radix_sort_onesweep_histogram_config_static_selectorELNS0_4arch9wavefront6targetE0EEEvSD_
	.globl	_ZN7rocprim17ROCPRIM_400000_NS6detail17trampoline_kernelINS0_14default_configENS1_35radix_sort_onesweep_config_selectorImNS0_10empty_typeEEEZNS1_34radix_sort_onesweep_global_offsetsIS3_Lb1EPKmPS5_mNS0_19identity_decomposerEEE10hipError_tT1_T2_PT3_SF_jT4_jjP12ihipStream_tbEUlT_E_NS1_11comp_targetILNS1_3genE9ELNS1_11target_archE1100ELNS1_3gpuE3ELNS1_3repE0EEENS1_52radix_sort_onesweep_histogram_config_static_selectorELNS0_4arch9wavefront6targetE0EEEvSD_
	.p2align	8
	.type	_ZN7rocprim17ROCPRIM_400000_NS6detail17trampoline_kernelINS0_14default_configENS1_35radix_sort_onesweep_config_selectorImNS0_10empty_typeEEEZNS1_34radix_sort_onesweep_global_offsetsIS3_Lb1EPKmPS5_mNS0_19identity_decomposerEEE10hipError_tT1_T2_PT3_SF_jT4_jjP12ihipStream_tbEUlT_E_NS1_11comp_targetILNS1_3genE9ELNS1_11target_archE1100ELNS1_3gpuE3ELNS1_3repE0EEENS1_52radix_sort_onesweep_histogram_config_static_selectorELNS0_4arch9wavefront6targetE0EEEvSD_,@function
_ZN7rocprim17ROCPRIM_400000_NS6detail17trampoline_kernelINS0_14default_configENS1_35radix_sort_onesweep_config_selectorImNS0_10empty_typeEEEZNS1_34radix_sort_onesweep_global_offsetsIS3_Lb1EPKmPS5_mNS0_19identity_decomposerEEE10hipError_tT1_T2_PT3_SF_jT4_jjP12ihipStream_tbEUlT_E_NS1_11comp_targetILNS1_3genE9ELNS1_11target_archE1100ELNS1_3gpuE3ELNS1_3repE0EEENS1_52radix_sort_onesweep_histogram_config_static_selectorELNS0_4arch9wavefront6targetE0EEEvSD_: ; @_ZN7rocprim17ROCPRIM_400000_NS6detail17trampoline_kernelINS0_14default_configENS1_35radix_sort_onesweep_config_selectorImNS0_10empty_typeEEEZNS1_34radix_sort_onesweep_global_offsetsIS3_Lb1EPKmPS5_mNS0_19identity_decomposerEEE10hipError_tT1_T2_PT3_SF_jT4_jjP12ihipStream_tbEUlT_E_NS1_11comp_targetILNS1_3genE9ELNS1_11target_archE1100ELNS1_3gpuE3ELNS1_3repE0EEENS1_52radix_sort_onesweep_histogram_config_static_selectorELNS0_4arch9wavefront6targetE0EEEvSD_
; %bb.0:
	.section	.rodata,"a",@progbits
	.p2align	6, 0x0
	.amdhsa_kernel _ZN7rocprim17ROCPRIM_400000_NS6detail17trampoline_kernelINS0_14default_configENS1_35radix_sort_onesweep_config_selectorImNS0_10empty_typeEEEZNS1_34radix_sort_onesweep_global_offsetsIS3_Lb1EPKmPS5_mNS0_19identity_decomposerEEE10hipError_tT1_T2_PT3_SF_jT4_jjP12ihipStream_tbEUlT_E_NS1_11comp_targetILNS1_3genE9ELNS1_11target_archE1100ELNS1_3gpuE3ELNS1_3repE0EEENS1_52radix_sort_onesweep_histogram_config_static_selectorELNS0_4arch9wavefront6targetE0EEEvSD_
		.amdhsa_group_segment_fixed_size 0
		.amdhsa_private_segment_fixed_size 0
		.amdhsa_kernarg_size 48
		.amdhsa_user_sgpr_count 2
		.amdhsa_user_sgpr_dispatch_ptr 0
		.amdhsa_user_sgpr_queue_ptr 0
		.amdhsa_user_sgpr_kernarg_segment_ptr 1
		.amdhsa_user_sgpr_dispatch_id 0
		.amdhsa_user_sgpr_kernarg_preload_length 0
		.amdhsa_user_sgpr_kernarg_preload_offset 0
		.amdhsa_user_sgpr_private_segment_size 0
		.amdhsa_wavefront_size32 1
		.amdhsa_uses_dynamic_stack 0
		.amdhsa_enable_private_segment 0
		.amdhsa_system_sgpr_workgroup_id_x 1
		.amdhsa_system_sgpr_workgroup_id_y 0
		.amdhsa_system_sgpr_workgroup_id_z 0
		.amdhsa_system_sgpr_workgroup_info 0
		.amdhsa_system_vgpr_workitem_id 0
		.amdhsa_next_free_vgpr 1
		.amdhsa_next_free_sgpr 1
		.amdhsa_named_barrier_count 0
		.amdhsa_reserve_vcc 0
		.amdhsa_float_round_mode_32 0
		.amdhsa_float_round_mode_16_64 0
		.amdhsa_float_denorm_mode_32 3
		.amdhsa_float_denorm_mode_16_64 3
		.amdhsa_fp16_overflow 0
		.amdhsa_memory_ordered 1
		.amdhsa_forward_progress 1
		.amdhsa_inst_pref_size 0
		.amdhsa_round_robin_scheduling 0
		.amdhsa_exception_fp_ieee_invalid_op 0
		.amdhsa_exception_fp_denorm_src 0
		.amdhsa_exception_fp_ieee_div_zero 0
		.amdhsa_exception_fp_ieee_overflow 0
		.amdhsa_exception_fp_ieee_underflow 0
		.amdhsa_exception_fp_ieee_inexact 0
		.amdhsa_exception_int_div_zero 0
	.end_amdhsa_kernel
	.section	.text._ZN7rocprim17ROCPRIM_400000_NS6detail17trampoline_kernelINS0_14default_configENS1_35radix_sort_onesweep_config_selectorImNS0_10empty_typeEEEZNS1_34radix_sort_onesweep_global_offsetsIS3_Lb1EPKmPS5_mNS0_19identity_decomposerEEE10hipError_tT1_T2_PT3_SF_jT4_jjP12ihipStream_tbEUlT_E_NS1_11comp_targetILNS1_3genE9ELNS1_11target_archE1100ELNS1_3gpuE3ELNS1_3repE0EEENS1_52radix_sort_onesweep_histogram_config_static_selectorELNS0_4arch9wavefront6targetE0EEEvSD_,"axG",@progbits,_ZN7rocprim17ROCPRIM_400000_NS6detail17trampoline_kernelINS0_14default_configENS1_35radix_sort_onesweep_config_selectorImNS0_10empty_typeEEEZNS1_34radix_sort_onesweep_global_offsetsIS3_Lb1EPKmPS5_mNS0_19identity_decomposerEEE10hipError_tT1_T2_PT3_SF_jT4_jjP12ihipStream_tbEUlT_E_NS1_11comp_targetILNS1_3genE9ELNS1_11target_archE1100ELNS1_3gpuE3ELNS1_3repE0EEENS1_52radix_sort_onesweep_histogram_config_static_selectorELNS0_4arch9wavefront6targetE0EEEvSD_,comdat
.Lfunc_end2861:
	.size	_ZN7rocprim17ROCPRIM_400000_NS6detail17trampoline_kernelINS0_14default_configENS1_35radix_sort_onesweep_config_selectorImNS0_10empty_typeEEEZNS1_34radix_sort_onesweep_global_offsetsIS3_Lb1EPKmPS5_mNS0_19identity_decomposerEEE10hipError_tT1_T2_PT3_SF_jT4_jjP12ihipStream_tbEUlT_E_NS1_11comp_targetILNS1_3genE9ELNS1_11target_archE1100ELNS1_3gpuE3ELNS1_3repE0EEENS1_52radix_sort_onesweep_histogram_config_static_selectorELNS0_4arch9wavefront6targetE0EEEvSD_, .Lfunc_end2861-_ZN7rocprim17ROCPRIM_400000_NS6detail17trampoline_kernelINS0_14default_configENS1_35radix_sort_onesweep_config_selectorImNS0_10empty_typeEEEZNS1_34radix_sort_onesweep_global_offsetsIS3_Lb1EPKmPS5_mNS0_19identity_decomposerEEE10hipError_tT1_T2_PT3_SF_jT4_jjP12ihipStream_tbEUlT_E_NS1_11comp_targetILNS1_3genE9ELNS1_11target_archE1100ELNS1_3gpuE3ELNS1_3repE0EEENS1_52radix_sort_onesweep_histogram_config_static_selectorELNS0_4arch9wavefront6targetE0EEEvSD_
                                        ; -- End function
	.set _ZN7rocprim17ROCPRIM_400000_NS6detail17trampoline_kernelINS0_14default_configENS1_35radix_sort_onesweep_config_selectorImNS0_10empty_typeEEEZNS1_34radix_sort_onesweep_global_offsetsIS3_Lb1EPKmPS5_mNS0_19identity_decomposerEEE10hipError_tT1_T2_PT3_SF_jT4_jjP12ihipStream_tbEUlT_E_NS1_11comp_targetILNS1_3genE9ELNS1_11target_archE1100ELNS1_3gpuE3ELNS1_3repE0EEENS1_52radix_sort_onesweep_histogram_config_static_selectorELNS0_4arch9wavefront6targetE0EEEvSD_.num_vgpr, 0
	.set _ZN7rocprim17ROCPRIM_400000_NS6detail17trampoline_kernelINS0_14default_configENS1_35radix_sort_onesweep_config_selectorImNS0_10empty_typeEEEZNS1_34radix_sort_onesweep_global_offsetsIS3_Lb1EPKmPS5_mNS0_19identity_decomposerEEE10hipError_tT1_T2_PT3_SF_jT4_jjP12ihipStream_tbEUlT_E_NS1_11comp_targetILNS1_3genE9ELNS1_11target_archE1100ELNS1_3gpuE3ELNS1_3repE0EEENS1_52radix_sort_onesweep_histogram_config_static_selectorELNS0_4arch9wavefront6targetE0EEEvSD_.num_agpr, 0
	.set _ZN7rocprim17ROCPRIM_400000_NS6detail17trampoline_kernelINS0_14default_configENS1_35radix_sort_onesweep_config_selectorImNS0_10empty_typeEEEZNS1_34radix_sort_onesweep_global_offsetsIS3_Lb1EPKmPS5_mNS0_19identity_decomposerEEE10hipError_tT1_T2_PT3_SF_jT4_jjP12ihipStream_tbEUlT_E_NS1_11comp_targetILNS1_3genE9ELNS1_11target_archE1100ELNS1_3gpuE3ELNS1_3repE0EEENS1_52radix_sort_onesweep_histogram_config_static_selectorELNS0_4arch9wavefront6targetE0EEEvSD_.numbered_sgpr, 0
	.set _ZN7rocprim17ROCPRIM_400000_NS6detail17trampoline_kernelINS0_14default_configENS1_35radix_sort_onesweep_config_selectorImNS0_10empty_typeEEEZNS1_34radix_sort_onesweep_global_offsetsIS3_Lb1EPKmPS5_mNS0_19identity_decomposerEEE10hipError_tT1_T2_PT3_SF_jT4_jjP12ihipStream_tbEUlT_E_NS1_11comp_targetILNS1_3genE9ELNS1_11target_archE1100ELNS1_3gpuE3ELNS1_3repE0EEENS1_52radix_sort_onesweep_histogram_config_static_selectorELNS0_4arch9wavefront6targetE0EEEvSD_.num_named_barrier, 0
	.set _ZN7rocprim17ROCPRIM_400000_NS6detail17trampoline_kernelINS0_14default_configENS1_35radix_sort_onesweep_config_selectorImNS0_10empty_typeEEEZNS1_34radix_sort_onesweep_global_offsetsIS3_Lb1EPKmPS5_mNS0_19identity_decomposerEEE10hipError_tT1_T2_PT3_SF_jT4_jjP12ihipStream_tbEUlT_E_NS1_11comp_targetILNS1_3genE9ELNS1_11target_archE1100ELNS1_3gpuE3ELNS1_3repE0EEENS1_52radix_sort_onesweep_histogram_config_static_selectorELNS0_4arch9wavefront6targetE0EEEvSD_.private_seg_size, 0
	.set _ZN7rocprim17ROCPRIM_400000_NS6detail17trampoline_kernelINS0_14default_configENS1_35radix_sort_onesweep_config_selectorImNS0_10empty_typeEEEZNS1_34radix_sort_onesweep_global_offsetsIS3_Lb1EPKmPS5_mNS0_19identity_decomposerEEE10hipError_tT1_T2_PT3_SF_jT4_jjP12ihipStream_tbEUlT_E_NS1_11comp_targetILNS1_3genE9ELNS1_11target_archE1100ELNS1_3gpuE3ELNS1_3repE0EEENS1_52radix_sort_onesweep_histogram_config_static_selectorELNS0_4arch9wavefront6targetE0EEEvSD_.uses_vcc, 0
	.set _ZN7rocprim17ROCPRIM_400000_NS6detail17trampoline_kernelINS0_14default_configENS1_35radix_sort_onesweep_config_selectorImNS0_10empty_typeEEEZNS1_34radix_sort_onesweep_global_offsetsIS3_Lb1EPKmPS5_mNS0_19identity_decomposerEEE10hipError_tT1_T2_PT3_SF_jT4_jjP12ihipStream_tbEUlT_E_NS1_11comp_targetILNS1_3genE9ELNS1_11target_archE1100ELNS1_3gpuE3ELNS1_3repE0EEENS1_52radix_sort_onesweep_histogram_config_static_selectorELNS0_4arch9wavefront6targetE0EEEvSD_.uses_flat_scratch, 0
	.set _ZN7rocprim17ROCPRIM_400000_NS6detail17trampoline_kernelINS0_14default_configENS1_35radix_sort_onesweep_config_selectorImNS0_10empty_typeEEEZNS1_34radix_sort_onesweep_global_offsetsIS3_Lb1EPKmPS5_mNS0_19identity_decomposerEEE10hipError_tT1_T2_PT3_SF_jT4_jjP12ihipStream_tbEUlT_E_NS1_11comp_targetILNS1_3genE9ELNS1_11target_archE1100ELNS1_3gpuE3ELNS1_3repE0EEENS1_52radix_sort_onesweep_histogram_config_static_selectorELNS0_4arch9wavefront6targetE0EEEvSD_.has_dyn_sized_stack, 0
	.set _ZN7rocprim17ROCPRIM_400000_NS6detail17trampoline_kernelINS0_14default_configENS1_35radix_sort_onesweep_config_selectorImNS0_10empty_typeEEEZNS1_34radix_sort_onesweep_global_offsetsIS3_Lb1EPKmPS5_mNS0_19identity_decomposerEEE10hipError_tT1_T2_PT3_SF_jT4_jjP12ihipStream_tbEUlT_E_NS1_11comp_targetILNS1_3genE9ELNS1_11target_archE1100ELNS1_3gpuE3ELNS1_3repE0EEENS1_52radix_sort_onesweep_histogram_config_static_selectorELNS0_4arch9wavefront6targetE0EEEvSD_.has_recursion, 0
	.set _ZN7rocprim17ROCPRIM_400000_NS6detail17trampoline_kernelINS0_14default_configENS1_35radix_sort_onesweep_config_selectorImNS0_10empty_typeEEEZNS1_34radix_sort_onesweep_global_offsetsIS3_Lb1EPKmPS5_mNS0_19identity_decomposerEEE10hipError_tT1_T2_PT3_SF_jT4_jjP12ihipStream_tbEUlT_E_NS1_11comp_targetILNS1_3genE9ELNS1_11target_archE1100ELNS1_3gpuE3ELNS1_3repE0EEENS1_52radix_sort_onesweep_histogram_config_static_selectorELNS0_4arch9wavefront6targetE0EEEvSD_.has_indirect_call, 0
	.section	.AMDGPU.csdata,"",@progbits
; Kernel info:
; codeLenInByte = 0
; TotalNumSgprs: 0
; NumVgprs: 0
; ScratchSize: 0
; MemoryBound: 0
; FloatMode: 240
; IeeeMode: 1
; LDSByteSize: 0 bytes/workgroup (compile time only)
; SGPRBlocks: 0
; VGPRBlocks: 0
; NumSGPRsForWavesPerEU: 1
; NumVGPRsForWavesPerEU: 1
; NamedBarCnt: 0
; Occupancy: 16
; WaveLimiterHint : 0
; COMPUTE_PGM_RSRC2:SCRATCH_EN: 0
; COMPUTE_PGM_RSRC2:USER_SGPR: 2
; COMPUTE_PGM_RSRC2:TRAP_HANDLER: 0
; COMPUTE_PGM_RSRC2:TGID_X_EN: 1
; COMPUTE_PGM_RSRC2:TGID_Y_EN: 0
; COMPUTE_PGM_RSRC2:TGID_Z_EN: 0
; COMPUTE_PGM_RSRC2:TIDIG_COMP_CNT: 0
	.section	.text._ZN7rocprim17ROCPRIM_400000_NS6detail17trampoline_kernelINS0_14default_configENS1_35radix_sort_onesweep_config_selectorImNS0_10empty_typeEEEZNS1_34radix_sort_onesweep_global_offsetsIS3_Lb1EPKmPS5_mNS0_19identity_decomposerEEE10hipError_tT1_T2_PT3_SF_jT4_jjP12ihipStream_tbEUlT_E_NS1_11comp_targetILNS1_3genE8ELNS1_11target_archE1030ELNS1_3gpuE2ELNS1_3repE0EEENS1_52radix_sort_onesweep_histogram_config_static_selectorELNS0_4arch9wavefront6targetE0EEEvSD_,"axG",@progbits,_ZN7rocprim17ROCPRIM_400000_NS6detail17trampoline_kernelINS0_14default_configENS1_35radix_sort_onesweep_config_selectorImNS0_10empty_typeEEEZNS1_34radix_sort_onesweep_global_offsetsIS3_Lb1EPKmPS5_mNS0_19identity_decomposerEEE10hipError_tT1_T2_PT3_SF_jT4_jjP12ihipStream_tbEUlT_E_NS1_11comp_targetILNS1_3genE8ELNS1_11target_archE1030ELNS1_3gpuE2ELNS1_3repE0EEENS1_52radix_sort_onesweep_histogram_config_static_selectorELNS0_4arch9wavefront6targetE0EEEvSD_,comdat
	.protected	_ZN7rocprim17ROCPRIM_400000_NS6detail17trampoline_kernelINS0_14default_configENS1_35radix_sort_onesweep_config_selectorImNS0_10empty_typeEEEZNS1_34radix_sort_onesweep_global_offsetsIS3_Lb1EPKmPS5_mNS0_19identity_decomposerEEE10hipError_tT1_T2_PT3_SF_jT4_jjP12ihipStream_tbEUlT_E_NS1_11comp_targetILNS1_3genE8ELNS1_11target_archE1030ELNS1_3gpuE2ELNS1_3repE0EEENS1_52radix_sort_onesweep_histogram_config_static_selectorELNS0_4arch9wavefront6targetE0EEEvSD_ ; -- Begin function _ZN7rocprim17ROCPRIM_400000_NS6detail17trampoline_kernelINS0_14default_configENS1_35radix_sort_onesweep_config_selectorImNS0_10empty_typeEEEZNS1_34radix_sort_onesweep_global_offsetsIS3_Lb1EPKmPS5_mNS0_19identity_decomposerEEE10hipError_tT1_T2_PT3_SF_jT4_jjP12ihipStream_tbEUlT_E_NS1_11comp_targetILNS1_3genE8ELNS1_11target_archE1030ELNS1_3gpuE2ELNS1_3repE0EEENS1_52radix_sort_onesweep_histogram_config_static_selectorELNS0_4arch9wavefront6targetE0EEEvSD_
	.globl	_ZN7rocprim17ROCPRIM_400000_NS6detail17trampoline_kernelINS0_14default_configENS1_35radix_sort_onesweep_config_selectorImNS0_10empty_typeEEEZNS1_34radix_sort_onesweep_global_offsetsIS3_Lb1EPKmPS5_mNS0_19identity_decomposerEEE10hipError_tT1_T2_PT3_SF_jT4_jjP12ihipStream_tbEUlT_E_NS1_11comp_targetILNS1_3genE8ELNS1_11target_archE1030ELNS1_3gpuE2ELNS1_3repE0EEENS1_52radix_sort_onesweep_histogram_config_static_selectorELNS0_4arch9wavefront6targetE0EEEvSD_
	.p2align	8
	.type	_ZN7rocprim17ROCPRIM_400000_NS6detail17trampoline_kernelINS0_14default_configENS1_35radix_sort_onesweep_config_selectorImNS0_10empty_typeEEEZNS1_34radix_sort_onesweep_global_offsetsIS3_Lb1EPKmPS5_mNS0_19identity_decomposerEEE10hipError_tT1_T2_PT3_SF_jT4_jjP12ihipStream_tbEUlT_E_NS1_11comp_targetILNS1_3genE8ELNS1_11target_archE1030ELNS1_3gpuE2ELNS1_3repE0EEENS1_52radix_sort_onesweep_histogram_config_static_selectorELNS0_4arch9wavefront6targetE0EEEvSD_,@function
_ZN7rocprim17ROCPRIM_400000_NS6detail17trampoline_kernelINS0_14default_configENS1_35radix_sort_onesweep_config_selectorImNS0_10empty_typeEEEZNS1_34radix_sort_onesweep_global_offsetsIS3_Lb1EPKmPS5_mNS0_19identity_decomposerEEE10hipError_tT1_T2_PT3_SF_jT4_jjP12ihipStream_tbEUlT_E_NS1_11comp_targetILNS1_3genE8ELNS1_11target_archE1030ELNS1_3gpuE2ELNS1_3repE0EEENS1_52radix_sort_onesweep_histogram_config_static_selectorELNS0_4arch9wavefront6targetE0EEEvSD_: ; @_ZN7rocprim17ROCPRIM_400000_NS6detail17trampoline_kernelINS0_14default_configENS1_35radix_sort_onesweep_config_selectorImNS0_10empty_typeEEEZNS1_34radix_sort_onesweep_global_offsetsIS3_Lb1EPKmPS5_mNS0_19identity_decomposerEEE10hipError_tT1_T2_PT3_SF_jT4_jjP12ihipStream_tbEUlT_E_NS1_11comp_targetILNS1_3genE8ELNS1_11target_archE1030ELNS1_3gpuE2ELNS1_3repE0EEENS1_52radix_sort_onesweep_histogram_config_static_selectorELNS0_4arch9wavefront6targetE0EEEvSD_
; %bb.0:
	.section	.rodata,"a",@progbits
	.p2align	6, 0x0
	.amdhsa_kernel _ZN7rocprim17ROCPRIM_400000_NS6detail17trampoline_kernelINS0_14default_configENS1_35radix_sort_onesweep_config_selectorImNS0_10empty_typeEEEZNS1_34radix_sort_onesweep_global_offsetsIS3_Lb1EPKmPS5_mNS0_19identity_decomposerEEE10hipError_tT1_T2_PT3_SF_jT4_jjP12ihipStream_tbEUlT_E_NS1_11comp_targetILNS1_3genE8ELNS1_11target_archE1030ELNS1_3gpuE2ELNS1_3repE0EEENS1_52radix_sort_onesweep_histogram_config_static_selectorELNS0_4arch9wavefront6targetE0EEEvSD_
		.amdhsa_group_segment_fixed_size 0
		.amdhsa_private_segment_fixed_size 0
		.amdhsa_kernarg_size 48
		.amdhsa_user_sgpr_count 2
		.amdhsa_user_sgpr_dispatch_ptr 0
		.amdhsa_user_sgpr_queue_ptr 0
		.amdhsa_user_sgpr_kernarg_segment_ptr 1
		.amdhsa_user_sgpr_dispatch_id 0
		.amdhsa_user_sgpr_kernarg_preload_length 0
		.amdhsa_user_sgpr_kernarg_preload_offset 0
		.amdhsa_user_sgpr_private_segment_size 0
		.amdhsa_wavefront_size32 1
		.amdhsa_uses_dynamic_stack 0
		.amdhsa_enable_private_segment 0
		.amdhsa_system_sgpr_workgroup_id_x 1
		.amdhsa_system_sgpr_workgroup_id_y 0
		.amdhsa_system_sgpr_workgroup_id_z 0
		.amdhsa_system_sgpr_workgroup_info 0
		.amdhsa_system_vgpr_workitem_id 0
		.amdhsa_next_free_vgpr 1
		.amdhsa_next_free_sgpr 1
		.amdhsa_named_barrier_count 0
		.amdhsa_reserve_vcc 0
		.amdhsa_float_round_mode_32 0
		.amdhsa_float_round_mode_16_64 0
		.amdhsa_float_denorm_mode_32 3
		.amdhsa_float_denorm_mode_16_64 3
		.amdhsa_fp16_overflow 0
		.amdhsa_memory_ordered 1
		.amdhsa_forward_progress 1
		.amdhsa_inst_pref_size 0
		.amdhsa_round_robin_scheduling 0
		.amdhsa_exception_fp_ieee_invalid_op 0
		.amdhsa_exception_fp_denorm_src 0
		.amdhsa_exception_fp_ieee_div_zero 0
		.amdhsa_exception_fp_ieee_overflow 0
		.amdhsa_exception_fp_ieee_underflow 0
		.amdhsa_exception_fp_ieee_inexact 0
		.amdhsa_exception_int_div_zero 0
	.end_amdhsa_kernel
	.section	.text._ZN7rocprim17ROCPRIM_400000_NS6detail17trampoline_kernelINS0_14default_configENS1_35radix_sort_onesweep_config_selectorImNS0_10empty_typeEEEZNS1_34radix_sort_onesweep_global_offsetsIS3_Lb1EPKmPS5_mNS0_19identity_decomposerEEE10hipError_tT1_T2_PT3_SF_jT4_jjP12ihipStream_tbEUlT_E_NS1_11comp_targetILNS1_3genE8ELNS1_11target_archE1030ELNS1_3gpuE2ELNS1_3repE0EEENS1_52radix_sort_onesweep_histogram_config_static_selectorELNS0_4arch9wavefront6targetE0EEEvSD_,"axG",@progbits,_ZN7rocprim17ROCPRIM_400000_NS6detail17trampoline_kernelINS0_14default_configENS1_35radix_sort_onesweep_config_selectorImNS0_10empty_typeEEEZNS1_34radix_sort_onesweep_global_offsetsIS3_Lb1EPKmPS5_mNS0_19identity_decomposerEEE10hipError_tT1_T2_PT3_SF_jT4_jjP12ihipStream_tbEUlT_E_NS1_11comp_targetILNS1_3genE8ELNS1_11target_archE1030ELNS1_3gpuE2ELNS1_3repE0EEENS1_52radix_sort_onesweep_histogram_config_static_selectorELNS0_4arch9wavefront6targetE0EEEvSD_,comdat
.Lfunc_end2862:
	.size	_ZN7rocprim17ROCPRIM_400000_NS6detail17trampoline_kernelINS0_14default_configENS1_35radix_sort_onesweep_config_selectorImNS0_10empty_typeEEEZNS1_34radix_sort_onesweep_global_offsetsIS3_Lb1EPKmPS5_mNS0_19identity_decomposerEEE10hipError_tT1_T2_PT3_SF_jT4_jjP12ihipStream_tbEUlT_E_NS1_11comp_targetILNS1_3genE8ELNS1_11target_archE1030ELNS1_3gpuE2ELNS1_3repE0EEENS1_52radix_sort_onesweep_histogram_config_static_selectorELNS0_4arch9wavefront6targetE0EEEvSD_, .Lfunc_end2862-_ZN7rocprim17ROCPRIM_400000_NS6detail17trampoline_kernelINS0_14default_configENS1_35radix_sort_onesweep_config_selectorImNS0_10empty_typeEEEZNS1_34radix_sort_onesweep_global_offsetsIS3_Lb1EPKmPS5_mNS0_19identity_decomposerEEE10hipError_tT1_T2_PT3_SF_jT4_jjP12ihipStream_tbEUlT_E_NS1_11comp_targetILNS1_3genE8ELNS1_11target_archE1030ELNS1_3gpuE2ELNS1_3repE0EEENS1_52radix_sort_onesweep_histogram_config_static_selectorELNS0_4arch9wavefront6targetE0EEEvSD_
                                        ; -- End function
	.set _ZN7rocprim17ROCPRIM_400000_NS6detail17trampoline_kernelINS0_14default_configENS1_35radix_sort_onesweep_config_selectorImNS0_10empty_typeEEEZNS1_34radix_sort_onesweep_global_offsetsIS3_Lb1EPKmPS5_mNS0_19identity_decomposerEEE10hipError_tT1_T2_PT3_SF_jT4_jjP12ihipStream_tbEUlT_E_NS1_11comp_targetILNS1_3genE8ELNS1_11target_archE1030ELNS1_3gpuE2ELNS1_3repE0EEENS1_52radix_sort_onesweep_histogram_config_static_selectorELNS0_4arch9wavefront6targetE0EEEvSD_.num_vgpr, 0
	.set _ZN7rocprim17ROCPRIM_400000_NS6detail17trampoline_kernelINS0_14default_configENS1_35radix_sort_onesweep_config_selectorImNS0_10empty_typeEEEZNS1_34radix_sort_onesweep_global_offsetsIS3_Lb1EPKmPS5_mNS0_19identity_decomposerEEE10hipError_tT1_T2_PT3_SF_jT4_jjP12ihipStream_tbEUlT_E_NS1_11comp_targetILNS1_3genE8ELNS1_11target_archE1030ELNS1_3gpuE2ELNS1_3repE0EEENS1_52radix_sort_onesweep_histogram_config_static_selectorELNS0_4arch9wavefront6targetE0EEEvSD_.num_agpr, 0
	.set _ZN7rocprim17ROCPRIM_400000_NS6detail17trampoline_kernelINS0_14default_configENS1_35radix_sort_onesweep_config_selectorImNS0_10empty_typeEEEZNS1_34radix_sort_onesweep_global_offsetsIS3_Lb1EPKmPS5_mNS0_19identity_decomposerEEE10hipError_tT1_T2_PT3_SF_jT4_jjP12ihipStream_tbEUlT_E_NS1_11comp_targetILNS1_3genE8ELNS1_11target_archE1030ELNS1_3gpuE2ELNS1_3repE0EEENS1_52radix_sort_onesweep_histogram_config_static_selectorELNS0_4arch9wavefront6targetE0EEEvSD_.numbered_sgpr, 0
	.set _ZN7rocprim17ROCPRIM_400000_NS6detail17trampoline_kernelINS0_14default_configENS1_35radix_sort_onesweep_config_selectorImNS0_10empty_typeEEEZNS1_34radix_sort_onesweep_global_offsetsIS3_Lb1EPKmPS5_mNS0_19identity_decomposerEEE10hipError_tT1_T2_PT3_SF_jT4_jjP12ihipStream_tbEUlT_E_NS1_11comp_targetILNS1_3genE8ELNS1_11target_archE1030ELNS1_3gpuE2ELNS1_3repE0EEENS1_52radix_sort_onesweep_histogram_config_static_selectorELNS0_4arch9wavefront6targetE0EEEvSD_.num_named_barrier, 0
	.set _ZN7rocprim17ROCPRIM_400000_NS6detail17trampoline_kernelINS0_14default_configENS1_35radix_sort_onesweep_config_selectorImNS0_10empty_typeEEEZNS1_34radix_sort_onesweep_global_offsetsIS3_Lb1EPKmPS5_mNS0_19identity_decomposerEEE10hipError_tT1_T2_PT3_SF_jT4_jjP12ihipStream_tbEUlT_E_NS1_11comp_targetILNS1_3genE8ELNS1_11target_archE1030ELNS1_3gpuE2ELNS1_3repE0EEENS1_52radix_sort_onesweep_histogram_config_static_selectorELNS0_4arch9wavefront6targetE0EEEvSD_.private_seg_size, 0
	.set _ZN7rocprim17ROCPRIM_400000_NS6detail17trampoline_kernelINS0_14default_configENS1_35radix_sort_onesweep_config_selectorImNS0_10empty_typeEEEZNS1_34radix_sort_onesweep_global_offsetsIS3_Lb1EPKmPS5_mNS0_19identity_decomposerEEE10hipError_tT1_T2_PT3_SF_jT4_jjP12ihipStream_tbEUlT_E_NS1_11comp_targetILNS1_3genE8ELNS1_11target_archE1030ELNS1_3gpuE2ELNS1_3repE0EEENS1_52radix_sort_onesweep_histogram_config_static_selectorELNS0_4arch9wavefront6targetE0EEEvSD_.uses_vcc, 0
	.set _ZN7rocprim17ROCPRIM_400000_NS6detail17trampoline_kernelINS0_14default_configENS1_35radix_sort_onesweep_config_selectorImNS0_10empty_typeEEEZNS1_34radix_sort_onesweep_global_offsetsIS3_Lb1EPKmPS5_mNS0_19identity_decomposerEEE10hipError_tT1_T2_PT3_SF_jT4_jjP12ihipStream_tbEUlT_E_NS1_11comp_targetILNS1_3genE8ELNS1_11target_archE1030ELNS1_3gpuE2ELNS1_3repE0EEENS1_52radix_sort_onesweep_histogram_config_static_selectorELNS0_4arch9wavefront6targetE0EEEvSD_.uses_flat_scratch, 0
	.set _ZN7rocprim17ROCPRIM_400000_NS6detail17trampoline_kernelINS0_14default_configENS1_35radix_sort_onesweep_config_selectorImNS0_10empty_typeEEEZNS1_34radix_sort_onesweep_global_offsetsIS3_Lb1EPKmPS5_mNS0_19identity_decomposerEEE10hipError_tT1_T2_PT3_SF_jT4_jjP12ihipStream_tbEUlT_E_NS1_11comp_targetILNS1_3genE8ELNS1_11target_archE1030ELNS1_3gpuE2ELNS1_3repE0EEENS1_52radix_sort_onesweep_histogram_config_static_selectorELNS0_4arch9wavefront6targetE0EEEvSD_.has_dyn_sized_stack, 0
	.set _ZN7rocprim17ROCPRIM_400000_NS6detail17trampoline_kernelINS0_14default_configENS1_35radix_sort_onesweep_config_selectorImNS0_10empty_typeEEEZNS1_34radix_sort_onesweep_global_offsetsIS3_Lb1EPKmPS5_mNS0_19identity_decomposerEEE10hipError_tT1_T2_PT3_SF_jT4_jjP12ihipStream_tbEUlT_E_NS1_11comp_targetILNS1_3genE8ELNS1_11target_archE1030ELNS1_3gpuE2ELNS1_3repE0EEENS1_52radix_sort_onesweep_histogram_config_static_selectorELNS0_4arch9wavefront6targetE0EEEvSD_.has_recursion, 0
	.set _ZN7rocprim17ROCPRIM_400000_NS6detail17trampoline_kernelINS0_14default_configENS1_35radix_sort_onesweep_config_selectorImNS0_10empty_typeEEEZNS1_34radix_sort_onesweep_global_offsetsIS3_Lb1EPKmPS5_mNS0_19identity_decomposerEEE10hipError_tT1_T2_PT3_SF_jT4_jjP12ihipStream_tbEUlT_E_NS1_11comp_targetILNS1_3genE8ELNS1_11target_archE1030ELNS1_3gpuE2ELNS1_3repE0EEENS1_52radix_sort_onesweep_histogram_config_static_selectorELNS0_4arch9wavefront6targetE0EEEvSD_.has_indirect_call, 0
	.section	.AMDGPU.csdata,"",@progbits
; Kernel info:
; codeLenInByte = 0
; TotalNumSgprs: 0
; NumVgprs: 0
; ScratchSize: 0
; MemoryBound: 0
; FloatMode: 240
; IeeeMode: 1
; LDSByteSize: 0 bytes/workgroup (compile time only)
; SGPRBlocks: 0
; VGPRBlocks: 0
; NumSGPRsForWavesPerEU: 1
; NumVGPRsForWavesPerEU: 1
; NamedBarCnt: 0
; Occupancy: 16
; WaveLimiterHint : 0
; COMPUTE_PGM_RSRC2:SCRATCH_EN: 0
; COMPUTE_PGM_RSRC2:USER_SGPR: 2
; COMPUTE_PGM_RSRC2:TRAP_HANDLER: 0
; COMPUTE_PGM_RSRC2:TGID_X_EN: 1
; COMPUTE_PGM_RSRC2:TGID_Y_EN: 0
; COMPUTE_PGM_RSRC2:TGID_Z_EN: 0
; COMPUTE_PGM_RSRC2:TIDIG_COMP_CNT: 0
	.section	.text._ZN7rocprim17ROCPRIM_400000_NS6detail17trampoline_kernelINS0_14default_configENS1_35radix_sort_onesweep_config_selectorImNS0_10empty_typeEEEZNS1_34radix_sort_onesweep_global_offsetsIS3_Lb1EPKmPS5_mNS0_19identity_decomposerEEE10hipError_tT1_T2_PT3_SF_jT4_jjP12ihipStream_tbEUlT_E0_NS1_11comp_targetILNS1_3genE0ELNS1_11target_archE4294967295ELNS1_3gpuE0ELNS1_3repE0EEENS1_52radix_sort_onesweep_histogram_config_static_selectorELNS0_4arch9wavefront6targetE0EEEvSD_,"axG",@progbits,_ZN7rocprim17ROCPRIM_400000_NS6detail17trampoline_kernelINS0_14default_configENS1_35radix_sort_onesweep_config_selectorImNS0_10empty_typeEEEZNS1_34radix_sort_onesweep_global_offsetsIS3_Lb1EPKmPS5_mNS0_19identity_decomposerEEE10hipError_tT1_T2_PT3_SF_jT4_jjP12ihipStream_tbEUlT_E0_NS1_11comp_targetILNS1_3genE0ELNS1_11target_archE4294967295ELNS1_3gpuE0ELNS1_3repE0EEENS1_52radix_sort_onesweep_histogram_config_static_selectorELNS0_4arch9wavefront6targetE0EEEvSD_,comdat
	.protected	_ZN7rocprim17ROCPRIM_400000_NS6detail17trampoline_kernelINS0_14default_configENS1_35radix_sort_onesweep_config_selectorImNS0_10empty_typeEEEZNS1_34radix_sort_onesweep_global_offsetsIS3_Lb1EPKmPS5_mNS0_19identity_decomposerEEE10hipError_tT1_T2_PT3_SF_jT4_jjP12ihipStream_tbEUlT_E0_NS1_11comp_targetILNS1_3genE0ELNS1_11target_archE4294967295ELNS1_3gpuE0ELNS1_3repE0EEENS1_52radix_sort_onesweep_histogram_config_static_selectorELNS0_4arch9wavefront6targetE0EEEvSD_ ; -- Begin function _ZN7rocprim17ROCPRIM_400000_NS6detail17trampoline_kernelINS0_14default_configENS1_35radix_sort_onesweep_config_selectorImNS0_10empty_typeEEEZNS1_34radix_sort_onesweep_global_offsetsIS3_Lb1EPKmPS5_mNS0_19identity_decomposerEEE10hipError_tT1_T2_PT3_SF_jT4_jjP12ihipStream_tbEUlT_E0_NS1_11comp_targetILNS1_3genE0ELNS1_11target_archE4294967295ELNS1_3gpuE0ELNS1_3repE0EEENS1_52radix_sort_onesweep_histogram_config_static_selectorELNS0_4arch9wavefront6targetE0EEEvSD_
	.globl	_ZN7rocprim17ROCPRIM_400000_NS6detail17trampoline_kernelINS0_14default_configENS1_35radix_sort_onesweep_config_selectorImNS0_10empty_typeEEEZNS1_34radix_sort_onesweep_global_offsetsIS3_Lb1EPKmPS5_mNS0_19identity_decomposerEEE10hipError_tT1_T2_PT3_SF_jT4_jjP12ihipStream_tbEUlT_E0_NS1_11comp_targetILNS1_3genE0ELNS1_11target_archE4294967295ELNS1_3gpuE0ELNS1_3repE0EEENS1_52radix_sort_onesweep_histogram_config_static_selectorELNS0_4arch9wavefront6targetE0EEEvSD_
	.p2align	8
	.type	_ZN7rocprim17ROCPRIM_400000_NS6detail17trampoline_kernelINS0_14default_configENS1_35radix_sort_onesweep_config_selectorImNS0_10empty_typeEEEZNS1_34radix_sort_onesweep_global_offsetsIS3_Lb1EPKmPS5_mNS0_19identity_decomposerEEE10hipError_tT1_T2_PT3_SF_jT4_jjP12ihipStream_tbEUlT_E0_NS1_11comp_targetILNS1_3genE0ELNS1_11target_archE4294967295ELNS1_3gpuE0ELNS1_3repE0EEENS1_52radix_sort_onesweep_histogram_config_static_selectorELNS0_4arch9wavefront6targetE0EEEvSD_,@function
_ZN7rocprim17ROCPRIM_400000_NS6detail17trampoline_kernelINS0_14default_configENS1_35radix_sort_onesweep_config_selectorImNS0_10empty_typeEEEZNS1_34radix_sort_onesweep_global_offsetsIS3_Lb1EPKmPS5_mNS0_19identity_decomposerEEE10hipError_tT1_T2_PT3_SF_jT4_jjP12ihipStream_tbEUlT_E0_NS1_11comp_targetILNS1_3genE0ELNS1_11target_archE4294967295ELNS1_3gpuE0ELNS1_3repE0EEENS1_52radix_sort_onesweep_histogram_config_static_selectorELNS0_4arch9wavefront6targetE0EEEvSD_: ; @_ZN7rocprim17ROCPRIM_400000_NS6detail17trampoline_kernelINS0_14default_configENS1_35radix_sort_onesweep_config_selectorImNS0_10empty_typeEEEZNS1_34radix_sort_onesweep_global_offsetsIS3_Lb1EPKmPS5_mNS0_19identity_decomposerEEE10hipError_tT1_T2_PT3_SF_jT4_jjP12ihipStream_tbEUlT_E0_NS1_11comp_targetILNS1_3genE0ELNS1_11target_archE4294967295ELNS1_3gpuE0ELNS1_3repE0EEENS1_52radix_sort_onesweep_histogram_config_static_selectorELNS0_4arch9wavefront6targetE0EEEvSD_
; %bb.0:
	s_load_b64 s[0:1], s[0:1], 0x0
	s_bfe_u32 s2, ttmp6, 0x4000c
	s_and_b32 s3, ttmp6, 15
	s_add_co_i32 s2, s2, 1
	s_getreg_b32 s4, hwreg(HW_REG_IB_STS2, 6, 4)
	s_mul_i32 s2, ttmp9, s2
	v_cmp_gt_u32_e32 vcc_lo, 0x100, v0
	s_add_co_i32 s3, s3, s2
	s_cmp_eq_u32 s4, 0
                                        ; implicit-def: $vgpr2_vgpr3
	s_cselect_b32 s2, ttmp9, s3
	s_mov_b32 s3, 0
	s_lshl_b32 s2, s2, 8
	s_delay_alu instid0(SALU_CYCLE_1)
	s_lshl_b64 s[2:3], s[2:3], 3
	s_wait_kmcnt 0x0
	s_add_nc_u64 s[6:7], s[0:1], s[2:3]
	s_and_saveexec_b32 s0, vcc_lo
	s_cbranch_execz .LBB2863_2
; %bb.1:
	global_load_b64 v[2:3], v0, s[6:7] scale_offset
.LBB2863_2:
	s_wait_xcnt 0x0
	s_or_b32 exec_lo, exec_lo, s0
	v_mbcnt_lo_u32_b32 v1, -1, 0
	s_wait_loadcnt 0x0
	v_mov_b32_dpp v6, v2 row_shr:1 row_mask:0xf bank_mask:0xf
	v_mov_b32_dpp v9, v3 row_shr:1 row_mask:0xf bank_mask:0xf
	s_delay_alu instid0(VALU_DEP_3) | instskip(NEXT) | instid1(VALU_DEP_1)
	v_dual_mov_b32 v4, v2 :: v_dual_bitop2_b32 v10, 15, v1 bitop3:0x40
	v_cmp_ne_u32_e64 s0, 0, v10
	s_and_saveexec_b32 s1, s0
; %bb.3:
	v_mov_b32_e32 v8, 0
	s_delay_alu instid0(VALU_DEP_1) | instskip(NEXT) | instid1(VALU_DEP_1)
	v_mov_b32_e32 v7, v8
	v_add_nc_u64_e32 v[4:5], v[2:3], v[6:7]
	s_delay_alu instid0(VALU_DEP_1)
	v_add_nc_u64_e32 v[2:3], v[8:9], v[4:5]
; %bb.4:
	s_or_b32 exec_lo, exec_lo, s1
	v_mov_b32_dpp v6, v4 row_shr:2 row_mask:0xf bank_mask:0xf
	s_delay_alu instid0(VALU_DEP_2)
	v_mov_b32_dpp v9, v3 row_shr:2 row_mask:0xf bank_mask:0xf
	v_cmp_lt_u32_e64 s1, 1, v10
	s_and_saveexec_b32 s2, s1
; %bb.5:
	v_mov_b32_e32 v8, 0
	s_delay_alu instid0(VALU_DEP_1) | instskip(NEXT) | instid1(VALU_DEP_1)
	v_mov_b32_e32 v7, v8
	v_add_nc_u64_e32 v[4:5], v[2:3], v[6:7]
	s_delay_alu instid0(VALU_DEP_1)
	v_add_nc_u64_e32 v[2:3], v[8:9], v[4:5]
; %bb.6:
	s_or_b32 exec_lo, exec_lo, s2
	v_mov_b32_dpp v6, v4 row_shr:4 row_mask:0xf bank_mask:0xf
	s_delay_alu instid0(VALU_DEP_2)
	v_mov_b32_dpp v9, v3 row_shr:4 row_mask:0xf bank_mask:0xf
	v_cmp_lt_u32_e64 s2, 3, v10
	;; [unrolled: 14-line block ×3, first 2 shown]
	s_and_saveexec_b32 s4, s3
; %bb.9:
	v_mov_b32_e32 v8, 0
	s_delay_alu instid0(VALU_DEP_1) | instskip(NEXT) | instid1(VALU_DEP_1)
	v_mov_b32_e32 v7, v8
	v_add_nc_u64_e32 v[4:5], v[2:3], v[6:7]
	s_delay_alu instid0(VALU_DEP_1)
	v_add_nc_u64_e32 v[2:3], v[8:9], v[4:5]
; %bb.10:
	s_or_b32 exec_lo, exec_lo, s4
	ds_swizzle_b32 v4, v4 offset:swizzle(BROADCAST,32,15)
	ds_swizzle_b32 v7, v3 offset:swizzle(BROADCAST,32,15)
	v_and_b32_e32 v5, 16, v1
	s_mov_b32 s5, exec_lo
	s_delay_alu instid0(VALU_DEP_1)
	v_cmpx_ne_u32_e32 0, v5
	s_cbranch_execz .LBB2863_12
; %bb.11:
	v_mov_b32_e32 v6, 0
	s_delay_alu instid0(VALU_DEP_1) | instskip(SKIP_1) | instid1(VALU_DEP_1)
	v_mov_b32_e32 v5, v6
	s_wait_dscnt 0x1
	v_add_nc_u64_e32 v[2:3], v[2:3], v[4:5]
	s_wait_dscnt 0x0
	s_delay_alu instid0(VALU_DEP_1)
	v_add_nc_u64_e32 v[2:3], v[2:3], v[6:7]
.LBB2863_12:
	s_or_b32 exec_lo, exec_lo, s5
	s_wait_dscnt 0x1
	v_dual_lshrrev_b32 v12, 5, v0 :: v_dual_bitop2_b32 v4, 31, v0 bitop3:0x54
	s_mov_b32 s5, exec_lo
	s_delay_alu instid0(VALU_DEP_1)
	v_cmpx_eq_u32_e64 v0, v4
; %bb.13:
	s_delay_alu instid0(VALU_DEP_2)
	v_lshlrev_b32_e32 v4, 3, v12
	ds_store_b64 v4, v[2:3]
; %bb.14:
	s_or_b32 exec_lo, exec_lo, s5
	s_delay_alu instid0(SALU_CYCLE_1)
	s_mov_b32 s5, exec_lo
	s_wait_dscnt 0x0
	s_barrier_signal -1
	s_barrier_wait -1
	v_cmpx_gt_u32_e32 16, v0
	s_cbranch_execz .LBB2863_24
; %bb.15:
	v_lshlrev_b32_e32 v13, 3, v0
	ds_load_b64 v[4:5], v13
	s_wait_dscnt 0x0
	v_mov_b32_dpp v8, v4 row_shr:1 row_mask:0xf bank_mask:0xf
	v_mov_b32_dpp v11, v5 row_shr:1 row_mask:0xf bank_mask:0xf
	v_mov_b32_e32 v6, v4
	s_and_saveexec_b32 s4, s0
; %bb.16:
	v_mov_b32_e32 v10, 0
	s_delay_alu instid0(VALU_DEP_1) | instskip(NEXT) | instid1(VALU_DEP_1)
	v_mov_b32_e32 v9, v10
	v_add_nc_u64_e32 v[6:7], v[4:5], v[8:9]
	s_delay_alu instid0(VALU_DEP_1)
	v_add_nc_u64_e32 v[4:5], v[10:11], v[6:7]
; %bb.17:
	s_or_b32 exec_lo, exec_lo, s4
	v_mov_b32_dpp v8, v6 row_shr:2 row_mask:0xf bank_mask:0xf
	s_delay_alu instid0(VALU_DEP_2)
	v_mov_b32_dpp v11, v5 row_shr:2 row_mask:0xf bank_mask:0xf
	s_and_saveexec_b32 s0, s1
; %bb.18:
	v_mov_b32_e32 v10, 0
	s_delay_alu instid0(VALU_DEP_1) | instskip(NEXT) | instid1(VALU_DEP_1)
	v_mov_b32_e32 v9, v10
	v_add_nc_u64_e32 v[6:7], v[4:5], v[8:9]
	s_delay_alu instid0(VALU_DEP_1)
	v_add_nc_u64_e32 v[4:5], v[10:11], v[6:7]
; %bb.19:
	s_or_b32 exec_lo, exec_lo, s0
	v_mov_b32_dpp v8, v6 row_shr:4 row_mask:0xf bank_mask:0xf
	s_delay_alu instid0(VALU_DEP_2)
	v_mov_b32_dpp v11, v5 row_shr:4 row_mask:0xf bank_mask:0xf
	;; [unrolled: 13-line block ×3, first 2 shown]
	s_and_saveexec_b32 s0, s3
; %bb.22:
	v_mov_b32_e32 v8, 0
	s_delay_alu instid0(VALU_DEP_1) | instskip(NEXT) | instid1(VALU_DEP_1)
	v_mov_b32_e32 v7, v8
	v_add_nc_u64_e32 v[4:5], v[4:5], v[6:7]
	s_delay_alu instid0(VALU_DEP_1)
	v_add_nc_u64_e32 v[4:5], v[4:5], v[8:9]
; %bb.23:
	s_or_b32 exec_lo, exec_lo, s0
	ds_store_b64 v13, v[4:5]
.LBB2863_24:
	s_or_b32 exec_lo, exec_lo, s5
	v_mov_b64_e32 v[4:5], 0
	s_mov_b32 s1, exec_lo
	s_wait_dscnt 0x0
	s_barrier_signal -1
	s_barrier_wait -1
	v_cmpx_lt_u32_e32 31, v0
; %bb.25:
	v_lshl_add_u32 v4, v12, 3, -8
	ds_load_b64 v[4:5], v4
; %bb.26:
	s_or_b32 exec_lo, exec_lo, s1
	v_add_nc_u32_e32 v6, -1, v1
	s_wait_dscnt 0x0
	v_add_nc_u64_e32 v[2:3], v[4:5], v[2:3]
	s_delay_alu instid0(VALU_DEP_2) | instskip(NEXT) | instid1(VALU_DEP_1)
	v_cmp_gt_i32_e64 s0, 0, v6
	v_cndmask_b32_e64 v6, v6, v1, s0
	s_delay_alu instid0(VALU_DEP_1)
	v_lshlrev_b32_e32 v6, 2, v6
	ds_bpermute_b32 v2, v6, v2
	ds_bpermute_b32 v3, v6, v3
	s_and_saveexec_b32 s0, vcc_lo
	s_cbranch_execz .LBB2863_28
; %bb.27:
	v_cmp_eq_u32_e32 vcc_lo, 0, v1
	s_wait_dscnt 0x0
	v_dual_cndmask_b32 v3, v3, v5 :: v_dual_cndmask_b32 v2, v2, v4
	global_store_b64 v0, v[2:3], s[6:7] scale_offset
.LBB2863_28:
	s_endpgm
	.section	.rodata,"a",@progbits
	.p2align	6, 0x0
	.amdhsa_kernel _ZN7rocprim17ROCPRIM_400000_NS6detail17trampoline_kernelINS0_14default_configENS1_35radix_sort_onesweep_config_selectorImNS0_10empty_typeEEEZNS1_34radix_sort_onesweep_global_offsetsIS3_Lb1EPKmPS5_mNS0_19identity_decomposerEEE10hipError_tT1_T2_PT3_SF_jT4_jjP12ihipStream_tbEUlT_E0_NS1_11comp_targetILNS1_3genE0ELNS1_11target_archE4294967295ELNS1_3gpuE0ELNS1_3repE0EEENS1_52radix_sort_onesweep_histogram_config_static_selectorELNS0_4arch9wavefront6targetE0EEEvSD_
		.amdhsa_group_segment_fixed_size 128
		.amdhsa_private_segment_fixed_size 0
		.amdhsa_kernarg_size 8
		.amdhsa_user_sgpr_count 2
		.amdhsa_user_sgpr_dispatch_ptr 0
		.amdhsa_user_sgpr_queue_ptr 0
		.amdhsa_user_sgpr_kernarg_segment_ptr 1
		.amdhsa_user_sgpr_dispatch_id 0
		.amdhsa_user_sgpr_kernarg_preload_length 0
		.amdhsa_user_sgpr_kernarg_preload_offset 0
		.amdhsa_user_sgpr_private_segment_size 0
		.amdhsa_wavefront_size32 1
		.amdhsa_uses_dynamic_stack 0
		.amdhsa_enable_private_segment 0
		.amdhsa_system_sgpr_workgroup_id_x 1
		.amdhsa_system_sgpr_workgroup_id_y 0
		.amdhsa_system_sgpr_workgroup_id_z 0
		.amdhsa_system_sgpr_workgroup_info 0
		.amdhsa_system_vgpr_workitem_id 0
		.amdhsa_next_free_vgpr 14
		.amdhsa_next_free_sgpr 8
		.amdhsa_named_barrier_count 0
		.amdhsa_reserve_vcc 1
		.amdhsa_float_round_mode_32 0
		.amdhsa_float_round_mode_16_64 0
		.amdhsa_float_denorm_mode_32 3
		.amdhsa_float_denorm_mode_16_64 3
		.amdhsa_fp16_overflow 0
		.amdhsa_memory_ordered 1
		.amdhsa_forward_progress 1
		.amdhsa_inst_pref_size 7
		.amdhsa_round_robin_scheduling 0
		.amdhsa_exception_fp_ieee_invalid_op 0
		.amdhsa_exception_fp_denorm_src 0
		.amdhsa_exception_fp_ieee_div_zero 0
		.amdhsa_exception_fp_ieee_overflow 0
		.amdhsa_exception_fp_ieee_underflow 0
		.amdhsa_exception_fp_ieee_inexact 0
		.amdhsa_exception_int_div_zero 0
	.end_amdhsa_kernel
	.section	.text._ZN7rocprim17ROCPRIM_400000_NS6detail17trampoline_kernelINS0_14default_configENS1_35radix_sort_onesweep_config_selectorImNS0_10empty_typeEEEZNS1_34radix_sort_onesweep_global_offsetsIS3_Lb1EPKmPS5_mNS0_19identity_decomposerEEE10hipError_tT1_T2_PT3_SF_jT4_jjP12ihipStream_tbEUlT_E0_NS1_11comp_targetILNS1_3genE0ELNS1_11target_archE4294967295ELNS1_3gpuE0ELNS1_3repE0EEENS1_52radix_sort_onesweep_histogram_config_static_selectorELNS0_4arch9wavefront6targetE0EEEvSD_,"axG",@progbits,_ZN7rocprim17ROCPRIM_400000_NS6detail17trampoline_kernelINS0_14default_configENS1_35radix_sort_onesweep_config_selectorImNS0_10empty_typeEEEZNS1_34radix_sort_onesweep_global_offsetsIS3_Lb1EPKmPS5_mNS0_19identity_decomposerEEE10hipError_tT1_T2_PT3_SF_jT4_jjP12ihipStream_tbEUlT_E0_NS1_11comp_targetILNS1_3genE0ELNS1_11target_archE4294967295ELNS1_3gpuE0ELNS1_3repE0EEENS1_52radix_sort_onesweep_histogram_config_static_selectorELNS0_4arch9wavefront6targetE0EEEvSD_,comdat
.Lfunc_end2863:
	.size	_ZN7rocprim17ROCPRIM_400000_NS6detail17trampoline_kernelINS0_14default_configENS1_35radix_sort_onesweep_config_selectorImNS0_10empty_typeEEEZNS1_34radix_sort_onesweep_global_offsetsIS3_Lb1EPKmPS5_mNS0_19identity_decomposerEEE10hipError_tT1_T2_PT3_SF_jT4_jjP12ihipStream_tbEUlT_E0_NS1_11comp_targetILNS1_3genE0ELNS1_11target_archE4294967295ELNS1_3gpuE0ELNS1_3repE0EEENS1_52radix_sort_onesweep_histogram_config_static_selectorELNS0_4arch9wavefront6targetE0EEEvSD_, .Lfunc_end2863-_ZN7rocprim17ROCPRIM_400000_NS6detail17trampoline_kernelINS0_14default_configENS1_35radix_sort_onesweep_config_selectorImNS0_10empty_typeEEEZNS1_34radix_sort_onesweep_global_offsetsIS3_Lb1EPKmPS5_mNS0_19identity_decomposerEEE10hipError_tT1_T2_PT3_SF_jT4_jjP12ihipStream_tbEUlT_E0_NS1_11comp_targetILNS1_3genE0ELNS1_11target_archE4294967295ELNS1_3gpuE0ELNS1_3repE0EEENS1_52radix_sort_onesweep_histogram_config_static_selectorELNS0_4arch9wavefront6targetE0EEEvSD_
                                        ; -- End function
	.set _ZN7rocprim17ROCPRIM_400000_NS6detail17trampoline_kernelINS0_14default_configENS1_35radix_sort_onesweep_config_selectorImNS0_10empty_typeEEEZNS1_34radix_sort_onesweep_global_offsetsIS3_Lb1EPKmPS5_mNS0_19identity_decomposerEEE10hipError_tT1_T2_PT3_SF_jT4_jjP12ihipStream_tbEUlT_E0_NS1_11comp_targetILNS1_3genE0ELNS1_11target_archE4294967295ELNS1_3gpuE0ELNS1_3repE0EEENS1_52radix_sort_onesweep_histogram_config_static_selectorELNS0_4arch9wavefront6targetE0EEEvSD_.num_vgpr, 14
	.set _ZN7rocprim17ROCPRIM_400000_NS6detail17trampoline_kernelINS0_14default_configENS1_35radix_sort_onesweep_config_selectorImNS0_10empty_typeEEEZNS1_34radix_sort_onesweep_global_offsetsIS3_Lb1EPKmPS5_mNS0_19identity_decomposerEEE10hipError_tT1_T2_PT3_SF_jT4_jjP12ihipStream_tbEUlT_E0_NS1_11comp_targetILNS1_3genE0ELNS1_11target_archE4294967295ELNS1_3gpuE0ELNS1_3repE0EEENS1_52radix_sort_onesweep_histogram_config_static_selectorELNS0_4arch9wavefront6targetE0EEEvSD_.num_agpr, 0
	.set _ZN7rocprim17ROCPRIM_400000_NS6detail17trampoline_kernelINS0_14default_configENS1_35radix_sort_onesweep_config_selectorImNS0_10empty_typeEEEZNS1_34radix_sort_onesweep_global_offsetsIS3_Lb1EPKmPS5_mNS0_19identity_decomposerEEE10hipError_tT1_T2_PT3_SF_jT4_jjP12ihipStream_tbEUlT_E0_NS1_11comp_targetILNS1_3genE0ELNS1_11target_archE4294967295ELNS1_3gpuE0ELNS1_3repE0EEENS1_52radix_sort_onesweep_histogram_config_static_selectorELNS0_4arch9wavefront6targetE0EEEvSD_.numbered_sgpr, 8
	.set _ZN7rocprim17ROCPRIM_400000_NS6detail17trampoline_kernelINS0_14default_configENS1_35radix_sort_onesweep_config_selectorImNS0_10empty_typeEEEZNS1_34radix_sort_onesweep_global_offsetsIS3_Lb1EPKmPS5_mNS0_19identity_decomposerEEE10hipError_tT1_T2_PT3_SF_jT4_jjP12ihipStream_tbEUlT_E0_NS1_11comp_targetILNS1_3genE0ELNS1_11target_archE4294967295ELNS1_3gpuE0ELNS1_3repE0EEENS1_52radix_sort_onesweep_histogram_config_static_selectorELNS0_4arch9wavefront6targetE0EEEvSD_.num_named_barrier, 0
	.set _ZN7rocprim17ROCPRIM_400000_NS6detail17trampoline_kernelINS0_14default_configENS1_35radix_sort_onesweep_config_selectorImNS0_10empty_typeEEEZNS1_34radix_sort_onesweep_global_offsetsIS3_Lb1EPKmPS5_mNS0_19identity_decomposerEEE10hipError_tT1_T2_PT3_SF_jT4_jjP12ihipStream_tbEUlT_E0_NS1_11comp_targetILNS1_3genE0ELNS1_11target_archE4294967295ELNS1_3gpuE0ELNS1_3repE0EEENS1_52radix_sort_onesweep_histogram_config_static_selectorELNS0_4arch9wavefront6targetE0EEEvSD_.private_seg_size, 0
	.set _ZN7rocprim17ROCPRIM_400000_NS6detail17trampoline_kernelINS0_14default_configENS1_35radix_sort_onesweep_config_selectorImNS0_10empty_typeEEEZNS1_34radix_sort_onesweep_global_offsetsIS3_Lb1EPKmPS5_mNS0_19identity_decomposerEEE10hipError_tT1_T2_PT3_SF_jT4_jjP12ihipStream_tbEUlT_E0_NS1_11comp_targetILNS1_3genE0ELNS1_11target_archE4294967295ELNS1_3gpuE0ELNS1_3repE0EEENS1_52radix_sort_onesweep_histogram_config_static_selectorELNS0_4arch9wavefront6targetE0EEEvSD_.uses_vcc, 1
	.set _ZN7rocprim17ROCPRIM_400000_NS6detail17trampoline_kernelINS0_14default_configENS1_35radix_sort_onesweep_config_selectorImNS0_10empty_typeEEEZNS1_34radix_sort_onesweep_global_offsetsIS3_Lb1EPKmPS5_mNS0_19identity_decomposerEEE10hipError_tT1_T2_PT3_SF_jT4_jjP12ihipStream_tbEUlT_E0_NS1_11comp_targetILNS1_3genE0ELNS1_11target_archE4294967295ELNS1_3gpuE0ELNS1_3repE0EEENS1_52radix_sort_onesweep_histogram_config_static_selectorELNS0_4arch9wavefront6targetE0EEEvSD_.uses_flat_scratch, 0
	.set _ZN7rocprim17ROCPRIM_400000_NS6detail17trampoline_kernelINS0_14default_configENS1_35radix_sort_onesweep_config_selectorImNS0_10empty_typeEEEZNS1_34radix_sort_onesweep_global_offsetsIS3_Lb1EPKmPS5_mNS0_19identity_decomposerEEE10hipError_tT1_T2_PT3_SF_jT4_jjP12ihipStream_tbEUlT_E0_NS1_11comp_targetILNS1_3genE0ELNS1_11target_archE4294967295ELNS1_3gpuE0ELNS1_3repE0EEENS1_52radix_sort_onesweep_histogram_config_static_selectorELNS0_4arch9wavefront6targetE0EEEvSD_.has_dyn_sized_stack, 0
	.set _ZN7rocprim17ROCPRIM_400000_NS6detail17trampoline_kernelINS0_14default_configENS1_35radix_sort_onesweep_config_selectorImNS0_10empty_typeEEEZNS1_34radix_sort_onesweep_global_offsetsIS3_Lb1EPKmPS5_mNS0_19identity_decomposerEEE10hipError_tT1_T2_PT3_SF_jT4_jjP12ihipStream_tbEUlT_E0_NS1_11comp_targetILNS1_3genE0ELNS1_11target_archE4294967295ELNS1_3gpuE0ELNS1_3repE0EEENS1_52radix_sort_onesweep_histogram_config_static_selectorELNS0_4arch9wavefront6targetE0EEEvSD_.has_recursion, 0
	.set _ZN7rocprim17ROCPRIM_400000_NS6detail17trampoline_kernelINS0_14default_configENS1_35radix_sort_onesweep_config_selectorImNS0_10empty_typeEEEZNS1_34radix_sort_onesweep_global_offsetsIS3_Lb1EPKmPS5_mNS0_19identity_decomposerEEE10hipError_tT1_T2_PT3_SF_jT4_jjP12ihipStream_tbEUlT_E0_NS1_11comp_targetILNS1_3genE0ELNS1_11target_archE4294967295ELNS1_3gpuE0ELNS1_3repE0EEENS1_52radix_sort_onesweep_histogram_config_static_selectorELNS0_4arch9wavefront6targetE0EEEvSD_.has_indirect_call, 0
	.section	.AMDGPU.csdata,"",@progbits
; Kernel info:
; codeLenInByte = 896
; TotalNumSgprs: 10
; NumVgprs: 14
; ScratchSize: 0
; MemoryBound: 0
; FloatMode: 240
; IeeeMode: 1
; LDSByteSize: 128 bytes/workgroup (compile time only)
; SGPRBlocks: 0
; VGPRBlocks: 0
; NumSGPRsForWavesPerEU: 10
; NumVGPRsForWavesPerEU: 14
; NamedBarCnt: 0
; Occupancy: 16
; WaveLimiterHint : 0
; COMPUTE_PGM_RSRC2:SCRATCH_EN: 0
; COMPUTE_PGM_RSRC2:USER_SGPR: 2
; COMPUTE_PGM_RSRC2:TRAP_HANDLER: 0
; COMPUTE_PGM_RSRC2:TGID_X_EN: 1
; COMPUTE_PGM_RSRC2:TGID_Y_EN: 0
; COMPUTE_PGM_RSRC2:TGID_Z_EN: 0
; COMPUTE_PGM_RSRC2:TIDIG_COMP_CNT: 0
	.section	.text._ZN7rocprim17ROCPRIM_400000_NS6detail17trampoline_kernelINS0_14default_configENS1_35radix_sort_onesweep_config_selectorImNS0_10empty_typeEEEZNS1_34radix_sort_onesweep_global_offsetsIS3_Lb1EPKmPS5_mNS0_19identity_decomposerEEE10hipError_tT1_T2_PT3_SF_jT4_jjP12ihipStream_tbEUlT_E0_NS1_11comp_targetILNS1_3genE6ELNS1_11target_archE950ELNS1_3gpuE13ELNS1_3repE0EEENS1_52radix_sort_onesweep_histogram_config_static_selectorELNS0_4arch9wavefront6targetE0EEEvSD_,"axG",@progbits,_ZN7rocprim17ROCPRIM_400000_NS6detail17trampoline_kernelINS0_14default_configENS1_35radix_sort_onesweep_config_selectorImNS0_10empty_typeEEEZNS1_34radix_sort_onesweep_global_offsetsIS3_Lb1EPKmPS5_mNS0_19identity_decomposerEEE10hipError_tT1_T2_PT3_SF_jT4_jjP12ihipStream_tbEUlT_E0_NS1_11comp_targetILNS1_3genE6ELNS1_11target_archE950ELNS1_3gpuE13ELNS1_3repE0EEENS1_52radix_sort_onesweep_histogram_config_static_selectorELNS0_4arch9wavefront6targetE0EEEvSD_,comdat
	.protected	_ZN7rocprim17ROCPRIM_400000_NS6detail17trampoline_kernelINS0_14default_configENS1_35radix_sort_onesweep_config_selectorImNS0_10empty_typeEEEZNS1_34radix_sort_onesweep_global_offsetsIS3_Lb1EPKmPS5_mNS0_19identity_decomposerEEE10hipError_tT1_T2_PT3_SF_jT4_jjP12ihipStream_tbEUlT_E0_NS1_11comp_targetILNS1_3genE6ELNS1_11target_archE950ELNS1_3gpuE13ELNS1_3repE0EEENS1_52radix_sort_onesweep_histogram_config_static_selectorELNS0_4arch9wavefront6targetE0EEEvSD_ ; -- Begin function _ZN7rocprim17ROCPRIM_400000_NS6detail17trampoline_kernelINS0_14default_configENS1_35radix_sort_onesweep_config_selectorImNS0_10empty_typeEEEZNS1_34radix_sort_onesweep_global_offsetsIS3_Lb1EPKmPS5_mNS0_19identity_decomposerEEE10hipError_tT1_T2_PT3_SF_jT4_jjP12ihipStream_tbEUlT_E0_NS1_11comp_targetILNS1_3genE6ELNS1_11target_archE950ELNS1_3gpuE13ELNS1_3repE0EEENS1_52radix_sort_onesweep_histogram_config_static_selectorELNS0_4arch9wavefront6targetE0EEEvSD_
	.globl	_ZN7rocprim17ROCPRIM_400000_NS6detail17trampoline_kernelINS0_14default_configENS1_35radix_sort_onesweep_config_selectorImNS0_10empty_typeEEEZNS1_34radix_sort_onesweep_global_offsetsIS3_Lb1EPKmPS5_mNS0_19identity_decomposerEEE10hipError_tT1_T2_PT3_SF_jT4_jjP12ihipStream_tbEUlT_E0_NS1_11comp_targetILNS1_3genE6ELNS1_11target_archE950ELNS1_3gpuE13ELNS1_3repE0EEENS1_52radix_sort_onesweep_histogram_config_static_selectorELNS0_4arch9wavefront6targetE0EEEvSD_
	.p2align	8
	.type	_ZN7rocprim17ROCPRIM_400000_NS6detail17trampoline_kernelINS0_14default_configENS1_35radix_sort_onesweep_config_selectorImNS0_10empty_typeEEEZNS1_34radix_sort_onesweep_global_offsetsIS3_Lb1EPKmPS5_mNS0_19identity_decomposerEEE10hipError_tT1_T2_PT3_SF_jT4_jjP12ihipStream_tbEUlT_E0_NS1_11comp_targetILNS1_3genE6ELNS1_11target_archE950ELNS1_3gpuE13ELNS1_3repE0EEENS1_52radix_sort_onesweep_histogram_config_static_selectorELNS0_4arch9wavefront6targetE0EEEvSD_,@function
_ZN7rocprim17ROCPRIM_400000_NS6detail17trampoline_kernelINS0_14default_configENS1_35radix_sort_onesweep_config_selectorImNS0_10empty_typeEEEZNS1_34radix_sort_onesweep_global_offsetsIS3_Lb1EPKmPS5_mNS0_19identity_decomposerEEE10hipError_tT1_T2_PT3_SF_jT4_jjP12ihipStream_tbEUlT_E0_NS1_11comp_targetILNS1_3genE6ELNS1_11target_archE950ELNS1_3gpuE13ELNS1_3repE0EEENS1_52radix_sort_onesweep_histogram_config_static_selectorELNS0_4arch9wavefront6targetE0EEEvSD_: ; @_ZN7rocprim17ROCPRIM_400000_NS6detail17trampoline_kernelINS0_14default_configENS1_35radix_sort_onesweep_config_selectorImNS0_10empty_typeEEEZNS1_34radix_sort_onesweep_global_offsetsIS3_Lb1EPKmPS5_mNS0_19identity_decomposerEEE10hipError_tT1_T2_PT3_SF_jT4_jjP12ihipStream_tbEUlT_E0_NS1_11comp_targetILNS1_3genE6ELNS1_11target_archE950ELNS1_3gpuE13ELNS1_3repE0EEENS1_52radix_sort_onesweep_histogram_config_static_selectorELNS0_4arch9wavefront6targetE0EEEvSD_
; %bb.0:
	.section	.rodata,"a",@progbits
	.p2align	6, 0x0
	.amdhsa_kernel _ZN7rocprim17ROCPRIM_400000_NS6detail17trampoline_kernelINS0_14default_configENS1_35radix_sort_onesweep_config_selectorImNS0_10empty_typeEEEZNS1_34radix_sort_onesweep_global_offsetsIS3_Lb1EPKmPS5_mNS0_19identity_decomposerEEE10hipError_tT1_T2_PT3_SF_jT4_jjP12ihipStream_tbEUlT_E0_NS1_11comp_targetILNS1_3genE6ELNS1_11target_archE950ELNS1_3gpuE13ELNS1_3repE0EEENS1_52radix_sort_onesweep_histogram_config_static_selectorELNS0_4arch9wavefront6targetE0EEEvSD_
		.amdhsa_group_segment_fixed_size 0
		.amdhsa_private_segment_fixed_size 0
		.amdhsa_kernarg_size 8
		.amdhsa_user_sgpr_count 2
		.amdhsa_user_sgpr_dispatch_ptr 0
		.amdhsa_user_sgpr_queue_ptr 0
		.amdhsa_user_sgpr_kernarg_segment_ptr 1
		.amdhsa_user_sgpr_dispatch_id 0
		.amdhsa_user_sgpr_kernarg_preload_length 0
		.amdhsa_user_sgpr_kernarg_preload_offset 0
		.amdhsa_user_sgpr_private_segment_size 0
		.amdhsa_wavefront_size32 1
		.amdhsa_uses_dynamic_stack 0
		.amdhsa_enable_private_segment 0
		.amdhsa_system_sgpr_workgroup_id_x 1
		.amdhsa_system_sgpr_workgroup_id_y 0
		.amdhsa_system_sgpr_workgroup_id_z 0
		.amdhsa_system_sgpr_workgroup_info 0
		.amdhsa_system_vgpr_workitem_id 0
		.amdhsa_next_free_vgpr 1
		.amdhsa_next_free_sgpr 1
		.amdhsa_named_barrier_count 0
		.amdhsa_reserve_vcc 0
		.amdhsa_float_round_mode_32 0
		.amdhsa_float_round_mode_16_64 0
		.amdhsa_float_denorm_mode_32 3
		.amdhsa_float_denorm_mode_16_64 3
		.amdhsa_fp16_overflow 0
		.amdhsa_memory_ordered 1
		.amdhsa_forward_progress 1
		.amdhsa_inst_pref_size 0
		.amdhsa_round_robin_scheduling 0
		.amdhsa_exception_fp_ieee_invalid_op 0
		.amdhsa_exception_fp_denorm_src 0
		.amdhsa_exception_fp_ieee_div_zero 0
		.amdhsa_exception_fp_ieee_overflow 0
		.amdhsa_exception_fp_ieee_underflow 0
		.amdhsa_exception_fp_ieee_inexact 0
		.amdhsa_exception_int_div_zero 0
	.end_amdhsa_kernel
	.section	.text._ZN7rocprim17ROCPRIM_400000_NS6detail17trampoline_kernelINS0_14default_configENS1_35radix_sort_onesweep_config_selectorImNS0_10empty_typeEEEZNS1_34radix_sort_onesweep_global_offsetsIS3_Lb1EPKmPS5_mNS0_19identity_decomposerEEE10hipError_tT1_T2_PT3_SF_jT4_jjP12ihipStream_tbEUlT_E0_NS1_11comp_targetILNS1_3genE6ELNS1_11target_archE950ELNS1_3gpuE13ELNS1_3repE0EEENS1_52radix_sort_onesweep_histogram_config_static_selectorELNS0_4arch9wavefront6targetE0EEEvSD_,"axG",@progbits,_ZN7rocprim17ROCPRIM_400000_NS6detail17trampoline_kernelINS0_14default_configENS1_35radix_sort_onesweep_config_selectorImNS0_10empty_typeEEEZNS1_34radix_sort_onesweep_global_offsetsIS3_Lb1EPKmPS5_mNS0_19identity_decomposerEEE10hipError_tT1_T2_PT3_SF_jT4_jjP12ihipStream_tbEUlT_E0_NS1_11comp_targetILNS1_3genE6ELNS1_11target_archE950ELNS1_3gpuE13ELNS1_3repE0EEENS1_52radix_sort_onesweep_histogram_config_static_selectorELNS0_4arch9wavefront6targetE0EEEvSD_,comdat
.Lfunc_end2864:
	.size	_ZN7rocprim17ROCPRIM_400000_NS6detail17trampoline_kernelINS0_14default_configENS1_35radix_sort_onesweep_config_selectorImNS0_10empty_typeEEEZNS1_34radix_sort_onesweep_global_offsetsIS3_Lb1EPKmPS5_mNS0_19identity_decomposerEEE10hipError_tT1_T2_PT3_SF_jT4_jjP12ihipStream_tbEUlT_E0_NS1_11comp_targetILNS1_3genE6ELNS1_11target_archE950ELNS1_3gpuE13ELNS1_3repE0EEENS1_52radix_sort_onesweep_histogram_config_static_selectorELNS0_4arch9wavefront6targetE0EEEvSD_, .Lfunc_end2864-_ZN7rocprim17ROCPRIM_400000_NS6detail17trampoline_kernelINS0_14default_configENS1_35radix_sort_onesweep_config_selectorImNS0_10empty_typeEEEZNS1_34radix_sort_onesweep_global_offsetsIS3_Lb1EPKmPS5_mNS0_19identity_decomposerEEE10hipError_tT1_T2_PT3_SF_jT4_jjP12ihipStream_tbEUlT_E0_NS1_11comp_targetILNS1_3genE6ELNS1_11target_archE950ELNS1_3gpuE13ELNS1_3repE0EEENS1_52radix_sort_onesweep_histogram_config_static_selectorELNS0_4arch9wavefront6targetE0EEEvSD_
                                        ; -- End function
	.set _ZN7rocprim17ROCPRIM_400000_NS6detail17trampoline_kernelINS0_14default_configENS1_35radix_sort_onesweep_config_selectorImNS0_10empty_typeEEEZNS1_34radix_sort_onesweep_global_offsetsIS3_Lb1EPKmPS5_mNS0_19identity_decomposerEEE10hipError_tT1_T2_PT3_SF_jT4_jjP12ihipStream_tbEUlT_E0_NS1_11comp_targetILNS1_3genE6ELNS1_11target_archE950ELNS1_3gpuE13ELNS1_3repE0EEENS1_52radix_sort_onesweep_histogram_config_static_selectorELNS0_4arch9wavefront6targetE0EEEvSD_.num_vgpr, 0
	.set _ZN7rocprim17ROCPRIM_400000_NS6detail17trampoline_kernelINS0_14default_configENS1_35radix_sort_onesweep_config_selectorImNS0_10empty_typeEEEZNS1_34radix_sort_onesweep_global_offsetsIS3_Lb1EPKmPS5_mNS0_19identity_decomposerEEE10hipError_tT1_T2_PT3_SF_jT4_jjP12ihipStream_tbEUlT_E0_NS1_11comp_targetILNS1_3genE6ELNS1_11target_archE950ELNS1_3gpuE13ELNS1_3repE0EEENS1_52radix_sort_onesweep_histogram_config_static_selectorELNS0_4arch9wavefront6targetE0EEEvSD_.num_agpr, 0
	.set _ZN7rocprim17ROCPRIM_400000_NS6detail17trampoline_kernelINS0_14default_configENS1_35radix_sort_onesweep_config_selectorImNS0_10empty_typeEEEZNS1_34radix_sort_onesweep_global_offsetsIS3_Lb1EPKmPS5_mNS0_19identity_decomposerEEE10hipError_tT1_T2_PT3_SF_jT4_jjP12ihipStream_tbEUlT_E0_NS1_11comp_targetILNS1_3genE6ELNS1_11target_archE950ELNS1_3gpuE13ELNS1_3repE0EEENS1_52radix_sort_onesweep_histogram_config_static_selectorELNS0_4arch9wavefront6targetE0EEEvSD_.numbered_sgpr, 0
	.set _ZN7rocprim17ROCPRIM_400000_NS6detail17trampoline_kernelINS0_14default_configENS1_35radix_sort_onesweep_config_selectorImNS0_10empty_typeEEEZNS1_34radix_sort_onesweep_global_offsetsIS3_Lb1EPKmPS5_mNS0_19identity_decomposerEEE10hipError_tT1_T2_PT3_SF_jT4_jjP12ihipStream_tbEUlT_E0_NS1_11comp_targetILNS1_3genE6ELNS1_11target_archE950ELNS1_3gpuE13ELNS1_3repE0EEENS1_52radix_sort_onesweep_histogram_config_static_selectorELNS0_4arch9wavefront6targetE0EEEvSD_.num_named_barrier, 0
	.set _ZN7rocprim17ROCPRIM_400000_NS6detail17trampoline_kernelINS0_14default_configENS1_35radix_sort_onesweep_config_selectorImNS0_10empty_typeEEEZNS1_34radix_sort_onesweep_global_offsetsIS3_Lb1EPKmPS5_mNS0_19identity_decomposerEEE10hipError_tT1_T2_PT3_SF_jT4_jjP12ihipStream_tbEUlT_E0_NS1_11comp_targetILNS1_3genE6ELNS1_11target_archE950ELNS1_3gpuE13ELNS1_3repE0EEENS1_52radix_sort_onesweep_histogram_config_static_selectorELNS0_4arch9wavefront6targetE0EEEvSD_.private_seg_size, 0
	.set _ZN7rocprim17ROCPRIM_400000_NS6detail17trampoline_kernelINS0_14default_configENS1_35radix_sort_onesweep_config_selectorImNS0_10empty_typeEEEZNS1_34radix_sort_onesweep_global_offsetsIS3_Lb1EPKmPS5_mNS0_19identity_decomposerEEE10hipError_tT1_T2_PT3_SF_jT4_jjP12ihipStream_tbEUlT_E0_NS1_11comp_targetILNS1_3genE6ELNS1_11target_archE950ELNS1_3gpuE13ELNS1_3repE0EEENS1_52radix_sort_onesweep_histogram_config_static_selectorELNS0_4arch9wavefront6targetE0EEEvSD_.uses_vcc, 0
	.set _ZN7rocprim17ROCPRIM_400000_NS6detail17trampoline_kernelINS0_14default_configENS1_35radix_sort_onesweep_config_selectorImNS0_10empty_typeEEEZNS1_34radix_sort_onesweep_global_offsetsIS3_Lb1EPKmPS5_mNS0_19identity_decomposerEEE10hipError_tT1_T2_PT3_SF_jT4_jjP12ihipStream_tbEUlT_E0_NS1_11comp_targetILNS1_3genE6ELNS1_11target_archE950ELNS1_3gpuE13ELNS1_3repE0EEENS1_52radix_sort_onesweep_histogram_config_static_selectorELNS0_4arch9wavefront6targetE0EEEvSD_.uses_flat_scratch, 0
	.set _ZN7rocprim17ROCPRIM_400000_NS6detail17trampoline_kernelINS0_14default_configENS1_35radix_sort_onesweep_config_selectorImNS0_10empty_typeEEEZNS1_34radix_sort_onesweep_global_offsetsIS3_Lb1EPKmPS5_mNS0_19identity_decomposerEEE10hipError_tT1_T2_PT3_SF_jT4_jjP12ihipStream_tbEUlT_E0_NS1_11comp_targetILNS1_3genE6ELNS1_11target_archE950ELNS1_3gpuE13ELNS1_3repE0EEENS1_52radix_sort_onesweep_histogram_config_static_selectorELNS0_4arch9wavefront6targetE0EEEvSD_.has_dyn_sized_stack, 0
	.set _ZN7rocprim17ROCPRIM_400000_NS6detail17trampoline_kernelINS0_14default_configENS1_35radix_sort_onesweep_config_selectorImNS0_10empty_typeEEEZNS1_34radix_sort_onesweep_global_offsetsIS3_Lb1EPKmPS5_mNS0_19identity_decomposerEEE10hipError_tT1_T2_PT3_SF_jT4_jjP12ihipStream_tbEUlT_E0_NS1_11comp_targetILNS1_3genE6ELNS1_11target_archE950ELNS1_3gpuE13ELNS1_3repE0EEENS1_52radix_sort_onesweep_histogram_config_static_selectorELNS0_4arch9wavefront6targetE0EEEvSD_.has_recursion, 0
	.set _ZN7rocprim17ROCPRIM_400000_NS6detail17trampoline_kernelINS0_14default_configENS1_35radix_sort_onesweep_config_selectorImNS0_10empty_typeEEEZNS1_34radix_sort_onesweep_global_offsetsIS3_Lb1EPKmPS5_mNS0_19identity_decomposerEEE10hipError_tT1_T2_PT3_SF_jT4_jjP12ihipStream_tbEUlT_E0_NS1_11comp_targetILNS1_3genE6ELNS1_11target_archE950ELNS1_3gpuE13ELNS1_3repE0EEENS1_52radix_sort_onesweep_histogram_config_static_selectorELNS0_4arch9wavefront6targetE0EEEvSD_.has_indirect_call, 0
	.section	.AMDGPU.csdata,"",@progbits
; Kernel info:
; codeLenInByte = 0
; TotalNumSgprs: 0
; NumVgprs: 0
; ScratchSize: 0
; MemoryBound: 0
; FloatMode: 240
; IeeeMode: 1
; LDSByteSize: 0 bytes/workgroup (compile time only)
; SGPRBlocks: 0
; VGPRBlocks: 0
; NumSGPRsForWavesPerEU: 1
; NumVGPRsForWavesPerEU: 1
; NamedBarCnt: 0
; Occupancy: 16
; WaveLimiterHint : 0
; COMPUTE_PGM_RSRC2:SCRATCH_EN: 0
; COMPUTE_PGM_RSRC2:USER_SGPR: 2
; COMPUTE_PGM_RSRC2:TRAP_HANDLER: 0
; COMPUTE_PGM_RSRC2:TGID_X_EN: 1
; COMPUTE_PGM_RSRC2:TGID_Y_EN: 0
; COMPUTE_PGM_RSRC2:TGID_Z_EN: 0
; COMPUTE_PGM_RSRC2:TIDIG_COMP_CNT: 0
	.section	.text._ZN7rocprim17ROCPRIM_400000_NS6detail17trampoline_kernelINS0_14default_configENS1_35radix_sort_onesweep_config_selectorImNS0_10empty_typeEEEZNS1_34radix_sort_onesweep_global_offsetsIS3_Lb1EPKmPS5_mNS0_19identity_decomposerEEE10hipError_tT1_T2_PT3_SF_jT4_jjP12ihipStream_tbEUlT_E0_NS1_11comp_targetILNS1_3genE5ELNS1_11target_archE942ELNS1_3gpuE9ELNS1_3repE0EEENS1_52radix_sort_onesweep_histogram_config_static_selectorELNS0_4arch9wavefront6targetE0EEEvSD_,"axG",@progbits,_ZN7rocprim17ROCPRIM_400000_NS6detail17trampoline_kernelINS0_14default_configENS1_35radix_sort_onesweep_config_selectorImNS0_10empty_typeEEEZNS1_34radix_sort_onesweep_global_offsetsIS3_Lb1EPKmPS5_mNS0_19identity_decomposerEEE10hipError_tT1_T2_PT3_SF_jT4_jjP12ihipStream_tbEUlT_E0_NS1_11comp_targetILNS1_3genE5ELNS1_11target_archE942ELNS1_3gpuE9ELNS1_3repE0EEENS1_52radix_sort_onesweep_histogram_config_static_selectorELNS0_4arch9wavefront6targetE0EEEvSD_,comdat
	.protected	_ZN7rocprim17ROCPRIM_400000_NS6detail17trampoline_kernelINS0_14default_configENS1_35radix_sort_onesweep_config_selectorImNS0_10empty_typeEEEZNS1_34radix_sort_onesweep_global_offsetsIS3_Lb1EPKmPS5_mNS0_19identity_decomposerEEE10hipError_tT1_T2_PT3_SF_jT4_jjP12ihipStream_tbEUlT_E0_NS1_11comp_targetILNS1_3genE5ELNS1_11target_archE942ELNS1_3gpuE9ELNS1_3repE0EEENS1_52radix_sort_onesweep_histogram_config_static_selectorELNS0_4arch9wavefront6targetE0EEEvSD_ ; -- Begin function _ZN7rocprim17ROCPRIM_400000_NS6detail17trampoline_kernelINS0_14default_configENS1_35radix_sort_onesweep_config_selectorImNS0_10empty_typeEEEZNS1_34radix_sort_onesweep_global_offsetsIS3_Lb1EPKmPS5_mNS0_19identity_decomposerEEE10hipError_tT1_T2_PT3_SF_jT4_jjP12ihipStream_tbEUlT_E0_NS1_11comp_targetILNS1_3genE5ELNS1_11target_archE942ELNS1_3gpuE9ELNS1_3repE0EEENS1_52radix_sort_onesweep_histogram_config_static_selectorELNS0_4arch9wavefront6targetE0EEEvSD_
	.globl	_ZN7rocprim17ROCPRIM_400000_NS6detail17trampoline_kernelINS0_14default_configENS1_35radix_sort_onesweep_config_selectorImNS0_10empty_typeEEEZNS1_34radix_sort_onesweep_global_offsetsIS3_Lb1EPKmPS5_mNS0_19identity_decomposerEEE10hipError_tT1_T2_PT3_SF_jT4_jjP12ihipStream_tbEUlT_E0_NS1_11comp_targetILNS1_3genE5ELNS1_11target_archE942ELNS1_3gpuE9ELNS1_3repE0EEENS1_52radix_sort_onesweep_histogram_config_static_selectorELNS0_4arch9wavefront6targetE0EEEvSD_
	.p2align	8
	.type	_ZN7rocprim17ROCPRIM_400000_NS6detail17trampoline_kernelINS0_14default_configENS1_35radix_sort_onesweep_config_selectorImNS0_10empty_typeEEEZNS1_34radix_sort_onesweep_global_offsetsIS3_Lb1EPKmPS5_mNS0_19identity_decomposerEEE10hipError_tT1_T2_PT3_SF_jT4_jjP12ihipStream_tbEUlT_E0_NS1_11comp_targetILNS1_3genE5ELNS1_11target_archE942ELNS1_3gpuE9ELNS1_3repE0EEENS1_52radix_sort_onesweep_histogram_config_static_selectorELNS0_4arch9wavefront6targetE0EEEvSD_,@function
_ZN7rocprim17ROCPRIM_400000_NS6detail17trampoline_kernelINS0_14default_configENS1_35radix_sort_onesweep_config_selectorImNS0_10empty_typeEEEZNS1_34radix_sort_onesweep_global_offsetsIS3_Lb1EPKmPS5_mNS0_19identity_decomposerEEE10hipError_tT1_T2_PT3_SF_jT4_jjP12ihipStream_tbEUlT_E0_NS1_11comp_targetILNS1_3genE5ELNS1_11target_archE942ELNS1_3gpuE9ELNS1_3repE0EEENS1_52radix_sort_onesweep_histogram_config_static_selectorELNS0_4arch9wavefront6targetE0EEEvSD_: ; @_ZN7rocprim17ROCPRIM_400000_NS6detail17trampoline_kernelINS0_14default_configENS1_35radix_sort_onesweep_config_selectorImNS0_10empty_typeEEEZNS1_34radix_sort_onesweep_global_offsetsIS3_Lb1EPKmPS5_mNS0_19identity_decomposerEEE10hipError_tT1_T2_PT3_SF_jT4_jjP12ihipStream_tbEUlT_E0_NS1_11comp_targetILNS1_3genE5ELNS1_11target_archE942ELNS1_3gpuE9ELNS1_3repE0EEENS1_52radix_sort_onesweep_histogram_config_static_selectorELNS0_4arch9wavefront6targetE0EEEvSD_
; %bb.0:
	.section	.rodata,"a",@progbits
	.p2align	6, 0x0
	.amdhsa_kernel _ZN7rocprim17ROCPRIM_400000_NS6detail17trampoline_kernelINS0_14default_configENS1_35radix_sort_onesweep_config_selectorImNS0_10empty_typeEEEZNS1_34radix_sort_onesweep_global_offsetsIS3_Lb1EPKmPS5_mNS0_19identity_decomposerEEE10hipError_tT1_T2_PT3_SF_jT4_jjP12ihipStream_tbEUlT_E0_NS1_11comp_targetILNS1_3genE5ELNS1_11target_archE942ELNS1_3gpuE9ELNS1_3repE0EEENS1_52radix_sort_onesweep_histogram_config_static_selectorELNS0_4arch9wavefront6targetE0EEEvSD_
		.amdhsa_group_segment_fixed_size 0
		.amdhsa_private_segment_fixed_size 0
		.amdhsa_kernarg_size 8
		.amdhsa_user_sgpr_count 2
		.amdhsa_user_sgpr_dispatch_ptr 0
		.amdhsa_user_sgpr_queue_ptr 0
		.amdhsa_user_sgpr_kernarg_segment_ptr 1
		.amdhsa_user_sgpr_dispatch_id 0
		.amdhsa_user_sgpr_kernarg_preload_length 0
		.amdhsa_user_sgpr_kernarg_preload_offset 0
		.amdhsa_user_sgpr_private_segment_size 0
		.amdhsa_wavefront_size32 1
		.amdhsa_uses_dynamic_stack 0
		.amdhsa_enable_private_segment 0
		.amdhsa_system_sgpr_workgroup_id_x 1
		.amdhsa_system_sgpr_workgroup_id_y 0
		.amdhsa_system_sgpr_workgroup_id_z 0
		.amdhsa_system_sgpr_workgroup_info 0
		.amdhsa_system_vgpr_workitem_id 0
		.amdhsa_next_free_vgpr 1
		.amdhsa_next_free_sgpr 1
		.amdhsa_named_barrier_count 0
		.amdhsa_reserve_vcc 0
		.amdhsa_float_round_mode_32 0
		.amdhsa_float_round_mode_16_64 0
		.amdhsa_float_denorm_mode_32 3
		.amdhsa_float_denorm_mode_16_64 3
		.amdhsa_fp16_overflow 0
		.amdhsa_memory_ordered 1
		.amdhsa_forward_progress 1
		.amdhsa_inst_pref_size 0
		.amdhsa_round_robin_scheduling 0
		.amdhsa_exception_fp_ieee_invalid_op 0
		.amdhsa_exception_fp_denorm_src 0
		.amdhsa_exception_fp_ieee_div_zero 0
		.amdhsa_exception_fp_ieee_overflow 0
		.amdhsa_exception_fp_ieee_underflow 0
		.amdhsa_exception_fp_ieee_inexact 0
		.amdhsa_exception_int_div_zero 0
	.end_amdhsa_kernel
	.section	.text._ZN7rocprim17ROCPRIM_400000_NS6detail17trampoline_kernelINS0_14default_configENS1_35radix_sort_onesweep_config_selectorImNS0_10empty_typeEEEZNS1_34radix_sort_onesweep_global_offsetsIS3_Lb1EPKmPS5_mNS0_19identity_decomposerEEE10hipError_tT1_T2_PT3_SF_jT4_jjP12ihipStream_tbEUlT_E0_NS1_11comp_targetILNS1_3genE5ELNS1_11target_archE942ELNS1_3gpuE9ELNS1_3repE0EEENS1_52radix_sort_onesweep_histogram_config_static_selectorELNS0_4arch9wavefront6targetE0EEEvSD_,"axG",@progbits,_ZN7rocprim17ROCPRIM_400000_NS6detail17trampoline_kernelINS0_14default_configENS1_35radix_sort_onesweep_config_selectorImNS0_10empty_typeEEEZNS1_34radix_sort_onesweep_global_offsetsIS3_Lb1EPKmPS5_mNS0_19identity_decomposerEEE10hipError_tT1_T2_PT3_SF_jT4_jjP12ihipStream_tbEUlT_E0_NS1_11comp_targetILNS1_3genE5ELNS1_11target_archE942ELNS1_3gpuE9ELNS1_3repE0EEENS1_52radix_sort_onesweep_histogram_config_static_selectorELNS0_4arch9wavefront6targetE0EEEvSD_,comdat
.Lfunc_end2865:
	.size	_ZN7rocprim17ROCPRIM_400000_NS6detail17trampoline_kernelINS0_14default_configENS1_35radix_sort_onesweep_config_selectorImNS0_10empty_typeEEEZNS1_34radix_sort_onesweep_global_offsetsIS3_Lb1EPKmPS5_mNS0_19identity_decomposerEEE10hipError_tT1_T2_PT3_SF_jT4_jjP12ihipStream_tbEUlT_E0_NS1_11comp_targetILNS1_3genE5ELNS1_11target_archE942ELNS1_3gpuE9ELNS1_3repE0EEENS1_52radix_sort_onesweep_histogram_config_static_selectorELNS0_4arch9wavefront6targetE0EEEvSD_, .Lfunc_end2865-_ZN7rocprim17ROCPRIM_400000_NS6detail17trampoline_kernelINS0_14default_configENS1_35radix_sort_onesweep_config_selectorImNS0_10empty_typeEEEZNS1_34radix_sort_onesweep_global_offsetsIS3_Lb1EPKmPS5_mNS0_19identity_decomposerEEE10hipError_tT1_T2_PT3_SF_jT4_jjP12ihipStream_tbEUlT_E0_NS1_11comp_targetILNS1_3genE5ELNS1_11target_archE942ELNS1_3gpuE9ELNS1_3repE0EEENS1_52radix_sort_onesweep_histogram_config_static_selectorELNS0_4arch9wavefront6targetE0EEEvSD_
                                        ; -- End function
	.set _ZN7rocprim17ROCPRIM_400000_NS6detail17trampoline_kernelINS0_14default_configENS1_35radix_sort_onesweep_config_selectorImNS0_10empty_typeEEEZNS1_34radix_sort_onesweep_global_offsetsIS3_Lb1EPKmPS5_mNS0_19identity_decomposerEEE10hipError_tT1_T2_PT3_SF_jT4_jjP12ihipStream_tbEUlT_E0_NS1_11comp_targetILNS1_3genE5ELNS1_11target_archE942ELNS1_3gpuE9ELNS1_3repE0EEENS1_52radix_sort_onesweep_histogram_config_static_selectorELNS0_4arch9wavefront6targetE0EEEvSD_.num_vgpr, 0
	.set _ZN7rocprim17ROCPRIM_400000_NS6detail17trampoline_kernelINS0_14default_configENS1_35radix_sort_onesweep_config_selectorImNS0_10empty_typeEEEZNS1_34radix_sort_onesweep_global_offsetsIS3_Lb1EPKmPS5_mNS0_19identity_decomposerEEE10hipError_tT1_T2_PT3_SF_jT4_jjP12ihipStream_tbEUlT_E0_NS1_11comp_targetILNS1_3genE5ELNS1_11target_archE942ELNS1_3gpuE9ELNS1_3repE0EEENS1_52radix_sort_onesweep_histogram_config_static_selectorELNS0_4arch9wavefront6targetE0EEEvSD_.num_agpr, 0
	.set _ZN7rocprim17ROCPRIM_400000_NS6detail17trampoline_kernelINS0_14default_configENS1_35radix_sort_onesweep_config_selectorImNS0_10empty_typeEEEZNS1_34radix_sort_onesweep_global_offsetsIS3_Lb1EPKmPS5_mNS0_19identity_decomposerEEE10hipError_tT1_T2_PT3_SF_jT4_jjP12ihipStream_tbEUlT_E0_NS1_11comp_targetILNS1_3genE5ELNS1_11target_archE942ELNS1_3gpuE9ELNS1_3repE0EEENS1_52radix_sort_onesweep_histogram_config_static_selectorELNS0_4arch9wavefront6targetE0EEEvSD_.numbered_sgpr, 0
	.set _ZN7rocprim17ROCPRIM_400000_NS6detail17trampoline_kernelINS0_14default_configENS1_35radix_sort_onesweep_config_selectorImNS0_10empty_typeEEEZNS1_34radix_sort_onesweep_global_offsetsIS3_Lb1EPKmPS5_mNS0_19identity_decomposerEEE10hipError_tT1_T2_PT3_SF_jT4_jjP12ihipStream_tbEUlT_E0_NS1_11comp_targetILNS1_3genE5ELNS1_11target_archE942ELNS1_3gpuE9ELNS1_3repE0EEENS1_52radix_sort_onesweep_histogram_config_static_selectorELNS0_4arch9wavefront6targetE0EEEvSD_.num_named_barrier, 0
	.set _ZN7rocprim17ROCPRIM_400000_NS6detail17trampoline_kernelINS0_14default_configENS1_35radix_sort_onesweep_config_selectorImNS0_10empty_typeEEEZNS1_34radix_sort_onesweep_global_offsetsIS3_Lb1EPKmPS5_mNS0_19identity_decomposerEEE10hipError_tT1_T2_PT3_SF_jT4_jjP12ihipStream_tbEUlT_E0_NS1_11comp_targetILNS1_3genE5ELNS1_11target_archE942ELNS1_3gpuE9ELNS1_3repE0EEENS1_52radix_sort_onesweep_histogram_config_static_selectorELNS0_4arch9wavefront6targetE0EEEvSD_.private_seg_size, 0
	.set _ZN7rocprim17ROCPRIM_400000_NS6detail17trampoline_kernelINS0_14default_configENS1_35radix_sort_onesweep_config_selectorImNS0_10empty_typeEEEZNS1_34radix_sort_onesweep_global_offsetsIS3_Lb1EPKmPS5_mNS0_19identity_decomposerEEE10hipError_tT1_T2_PT3_SF_jT4_jjP12ihipStream_tbEUlT_E0_NS1_11comp_targetILNS1_3genE5ELNS1_11target_archE942ELNS1_3gpuE9ELNS1_3repE0EEENS1_52radix_sort_onesweep_histogram_config_static_selectorELNS0_4arch9wavefront6targetE0EEEvSD_.uses_vcc, 0
	.set _ZN7rocprim17ROCPRIM_400000_NS6detail17trampoline_kernelINS0_14default_configENS1_35radix_sort_onesweep_config_selectorImNS0_10empty_typeEEEZNS1_34radix_sort_onesweep_global_offsetsIS3_Lb1EPKmPS5_mNS0_19identity_decomposerEEE10hipError_tT1_T2_PT3_SF_jT4_jjP12ihipStream_tbEUlT_E0_NS1_11comp_targetILNS1_3genE5ELNS1_11target_archE942ELNS1_3gpuE9ELNS1_3repE0EEENS1_52radix_sort_onesweep_histogram_config_static_selectorELNS0_4arch9wavefront6targetE0EEEvSD_.uses_flat_scratch, 0
	.set _ZN7rocprim17ROCPRIM_400000_NS6detail17trampoline_kernelINS0_14default_configENS1_35radix_sort_onesweep_config_selectorImNS0_10empty_typeEEEZNS1_34radix_sort_onesweep_global_offsetsIS3_Lb1EPKmPS5_mNS0_19identity_decomposerEEE10hipError_tT1_T2_PT3_SF_jT4_jjP12ihipStream_tbEUlT_E0_NS1_11comp_targetILNS1_3genE5ELNS1_11target_archE942ELNS1_3gpuE9ELNS1_3repE0EEENS1_52radix_sort_onesweep_histogram_config_static_selectorELNS0_4arch9wavefront6targetE0EEEvSD_.has_dyn_sized_stack, 0
	.set _ZN7rocprim17ROCPRIM_400000_NS6detail17trampoline_kernelINS0_14default_configENS1_35radix_sort_onesweep_config_selectorImNS0_10empty_typeEEEZNS1_34radix_sort_onesweep_global_offsetsIS3_Lb1EPKmPS5_mNS0_19identity_decomposerEEE10hipError_tT1_T2_PT3_SF_jT4_jjP12ihipStream_tbEUlT_E0_NS1_11comp_targetILNS1_3genE5ELNS1_11target_archE942ELNS1_3gpuE9ELNS1_3repE0EEENS1_52radix_sort_onesweep_histogram_config_static_selectorELNS0_4arch9wavefront6targetE0EEEvSD_.has_recursion, 0
	.set _ZN7rocprim17ROCPRIM_400000_NS6detail17trampoline_kernelINS0_14default_configENS1_35radix_sort_onesweep_config_selectorImNS0_10empty_typeEEEZNS1_34radix_sort_onesweep_global_offsetsIS3_Lb1EPKmPS5_mNS0_19identity_decomposerEEE10hipError_tT1_T2_PT3_SF_jT4_jjP12ihipStream_tbEUlT_E0_NS1_11comp_targetILNS1_3genE5ELNS1_11target_archE942ELNS1_3gpuE9ELNS1_3repE0EEENS1_52radix_sort_onesweep_histogram_config_static_selectorELNS0_4arch9wavefront6targetE0EEEvSD_.has_indirect_call, 0
	.section	.AMDGPU.csdata,"",@progbits
; Kernel info:
; codeLenInByte = 0
; TotalNumSgprs: 0
; NumVgprs: 0
; ScratchSize: 0
; MemoryBound: 0
; FloatMode: 240
; IeeeMode: 1
; LDSByteSize: 0 bytes/workgroup (compile time only)
; SGPRBlocks: 0
; VGPRBlocks: 0
; NumSGPRsForWavesPerEU: 1
; NumVGPRsForWavesPerEU: 1
; NamedBarCnt: 0
; Occupancy: 16
; WaveLimiterHint : 0
; COMPUTE_PGM_RSRC2:SCRATCH_EN: 0
; COMPUTE_PGM_RSRC2:USER_SGPR: 2
; COMPUTE_PGM_RSRC2:TRAP_HANDLER: 0
; COMPUTE_PGM_RSRC2:TGID_X_EN: 1
; COMPUTE_PGM_RSRC2:TGID_Y_EN: 0
; COMPUTE_PGM_RSRC2:TGID_Z_EN: 0
; COMPUTE_PGM_RSRC2:TIDIG_COMP_CNT: 0
	.section	.text._ZN7rocprim17ROCPRIM_400000_NS6detail17trampoline_kernelINS0_14default_configENS1_35radix_sort_onesweep_config_selectorImNS0_10empty_typeEEEZNS1_34radix_sort_onesweep_global_offsetsIS3_Lb1EPKmPS5_mNS0_19identity_decomposerEEE10hipError_tT1_T2_PT3_SF_jT4_jjP12ihipStream_tbEUlT_E0_NS1_11comp_targetILNS1_3genE2ELNS1_11target_archE906ELNS1_3gpuE6ELNS1_3repE0EEENS1_52radix_sort_onesweep_histogram_config_static_selectorELNS0_4arch9wavefront6targetE0EEEvSD_,"axG",@progbits,_ZN7rocprim17ROCPRIM_400000_NS6detail17trampoline_kernelINS0_14default_configENS1_35radix_sort_onesweep_config_selectorImNS0_10empty_typeEEEZNS1_34radix_sort_onesweep_global_offsetsIS3_Lb1EPKmPS5_mNS0_19identity_decomposerEEE10hipError_tT1_T2_PT3_SF_jT4_jjP12ihipStream_tbEUlT_E0_NS1_11comp_targetILNS1_3genE2ELNS1_11target_archE906ELNS1_3gpuE6ELNS1_3repE0EEENS1_52radix_sort_onesweep_histogram_config_static_selectorELNS0_4arch9wavefront6targetE0EEEvSD_,comdat
	.protected	_ZN7rocprim17ROCPRIM_400000_NS6detail17trampoline_kernelINS0_14default_configENS1_35radix_sort_onesweep_config_selectorImNS0_10empty_typeEEEZNS1_34radix_sort_onesweep_global_offsetsIS3_Lb1EPKmPS5_mNS0_19identity_decomposerEEE10hipError_tT1_T2_PT3_SF_jT4_jjP12ihipStream_tbEUlT_E0_NS1_11comp_targetILNS1_3genE2ELNS1_11target_archE906ELNS1_3gpuE6ELNS1_3repE0EEENS1_52radix_sort_onesweep_histogram_config_static_selectorELNS0_4arch9wavefront6targetE0EEEvSD_ ; -- Begin function _ZN7rocprim17ROCPRIM_400000_NS6detail17trampoline_kernelINS0_14default_configENS1_35radix_sort_onesweep_config_selectorImNS0_10empty_typeEEEZNS1_34radix_sort_onesweep_global_offsetsIS3_Lb1EPKmPS5_mNS0_19identity_decomposerEEE10hipError_tT1_T2_PT3_SF_jT4_jjP12ihipStream_tbEUlT_E0_NS1_11comp_targetILNS1_3genE2ELNS1_11target_archE906ELNS1_3gpuE6ELNS1_3repE0EEENS1_52radix_sort_onesweep_histogram_config_static_selectorELNS0_4arch9wavefront6targetE0EEEvSD_
	.globl	_ZN7rocprim17ROCPRIM_400000_NS6detail17trampoline_kernelINS0_14default_configENS1_35radix_sort_onesweep_config_selectorImNS0_10empty_typeEEEZNS1_34radix_sort_onesweep_global_offsetsIS3_Lb1EPKmPS5_mNS0_19identity_decomposerEEE10hipError_tT1_T2_PT3_SF_jT4_jjP12ihipStream_tbEUlT_E0_NS1_11comp_targetILNS1_3genE2ELNS1_11target_archE906ELNS1_3gpuE6ELNS1_3repE0EEENS1_52radix_sort_onesweep_histogram_config_static_selectorELNS0_4arch9wavefront6targetE0EEEvSD_
	.p2align	8
	.type	_ZN7rocprim17ROCPRIM_400000_NS6detail17trampoline_kernelINS0_14default_configENS1_35radix_sort_onesweep_config_selectorImNS0_10empty_typeEEEZNS1_34radix_sort_onesweep_global_offsetsIS3_Lb1EPKmPS5_mNS0_19identity_decomposerEEE10hipError_tT1_T2_PT3_SF_jT4_jjP12ihipStream_tbEUlT_E0_NS1_11comp_targetILNS1_3genE2ELNS1_11target_archE906ELNS1_3gpuE6ELNS1_3repE0EEENS1_52radix_sort_onesweep_histogram_config_static_selectorELNS0_4arch9wavefront6targetE0EEEvSD_,@function
_ZN7rocprim17ROCPRIM_400000_NS6detail17trampoline_kernelINS0_14default_configENS1_35radix_sort_onesweep_config_selectorImNS0_10empty_typeEEEZNS1_34radix_sort_onesweep_global_offsetsIS3_Lb1EPKmPS5_mNS0_19identity_decomposerEEE10hipError_tT1_T2_PT3_SF_jT4_jjP12ihipStream_tbEUlT_E0_NS1_11comp_targetILNS1_3genE2ELNS1_11target_archE906ELNS1_3gpuE6ELNS1_3repE0EEENS1_52radix_sort_onesweep_histogram_config_static_selectorELNS0_4arch9wavefront6targetE0EEEvSD_: ; @_ZN7rocprim17ROCPRIM_400000_NS6detail17trampoline_kernelINS0_14default_configENS1_35radix_sort_onesweep_config_selectorImNS0_10empty_typeEEEZNS1_34radix_sort_onesweep_global_offsetsIS3_Lb1EPKmPS5_mNS0_19identity_decomposerEEE10hipError_tT1_T2_PT3_SF_jT4_jjP12ihipStream_tbEUlT_E0_NS1_11comp_targetILNS1_3genE2ELNS1_11target_archE906ELNS1_3gpuE6ELNS1_3repE0EEENS1_52radix_sort_onesweep_histogram_config_static_selectorELNS0_4arch9wavefront6targetE0EEEvSD_
; %bb.0:
	.section	.rodata,"a",@progbits
	.p2align	6, 0x0
	.amdhsa_kernel _ZN7rocprim17ROCPRIM_400000_NS6detail17trampoline_kernelINS0_14default_configENS1_35radix_sort_onesweep_config_selectorImNS0_10empty_typeEEEZNS1_34radix_sort_onesweep_global_offsetsIS3_Lb1EPKmPS5_mNS0_19identity_decomposerEEE10hipError_tT1_T2_PT3_SF_jT4_jjP12ihipStream_tbEUlT_E0_NS1_11comp_targetILNS1_3genE2ELNS1_11target_archE906ELNS1_3gpuE6ELNS1_3repE0EEENS1_52radix_sort_onesweep_histogram_config_static_selectorELNS0_4arch9wavefront6targetE0EEEvSD_
		.amdhsa_group_segment_fixed_size 0
		.amdhsa_private_segment_fixed_size 0
		.amdhsa_kernarg_size 8
		.amdhsa_user_sgpr_count 2
		.amdhsa_user_sgpr_dispatch_ptr 0
		.amdhsa_user_sgpr_queue_ptr 0
		.amdhsa_user_sgpr_kernarg_segment_ptr 1
		.amdhsa_user_sgpr_dispatch_id 0
		.amdhsa_user_sgpr_kernarg_preload_length 0
		.amdhsa_user_sgpr_kernarg_preload_offset 0
		.amdhsa_user_sgpr_private_segment_size 0
		.amdhsa_wavefront_size32 1
		.amdhsa_uses_dynamic_stack 0
		.amdhsa_enable_private_segment 0
		.amdhsa_system_sgpr_workgroup_id_x 1
		.amdhsa_system_sgpr_workgroup_id_y 0
		.amdhsa_system_sgpr_workgroup_id_z 0
		.amdhsa_system_sgpr_workgroup_info 0
		.amdhsa_system_vgpr_workitem_id 0
		.amdhsa_next_free_vgpr 1
		.amdhsa_next_free_sgpr 1
		.amdhsa_named_barrier_count 0
		.amdhsa_reserve_vcc 0
		.amdhsa_float_round_mode_32 0
		.amdhsa_float_round_mode_16_64 0
		.amdhsa_float_denorm_mode_32 3
		.amdhsa_float_denorm_mode_16_64 3
		.amdhsa_fp16_overflow 0
		.amdhsa_memory_ordered 1
		.amdhsa_forward_progress 1
		.amdhsa_inst_pref_size 0
		.amdhsa_round_robin_scheduling 0
		.amdhsa_exception_fp_ieee_invalid_op 0
		.amdhsa_exception_fp_denorm_src 0
		.amdhsa_exception_fp_ieee_div_zero 0
		.amdhsa_exception_fp_ieee_overflow 0
		.amdhsa_exception_fp_ieee_underflow 0
		.amdhsa_exception_fp_ieee_inexact 0
		.amdhsa_exception_int_div_zero 0
	.end_amdhsa_kernel
	.section	.text._ZN7rocprim17ROCPRIM_400000_NS6detail17trampoline_kernelINS0_14default_configENS1_35radix_sort_onesweep_config_selectorImNS0_10empty_typeEEEZNS1_34radix_sort_onesweep_global_offsetsIS3_Lb1EPKmPS5_mNS0_19identity_decomposerEEE10hipError_tT1_T2_PT3_SF_jT4_jjP12ihipStream_tbEUlT_E0_NS1_11comp_targetILNS1_3genE2ELNS1_11target_archE906ELNS1_3gpuE6ELNS1_3repE0EEENS1_52radix_sort_onesweep_histogram_config_static_selectorELNS0_4arch9wavefront6targetE0EEEvSD_,"axG",@progbits,_ZN7rocprim17ROCPRIM_400000_NS6detail17trampoline_kernelINS0_14default_configENS1_35radix_sort_onesweep_config_selectorImNS0_10empty_typeEEEZNS1_34radix_sort_onesweep_global_offsetsIS3_Lb1EPKmPS5_mNS0_19identity_decomposerEEE10hipError_tT1_T2_PT3_SF_jT4_jjP12ihipStream_tbEUlT_E0_NS1_11comp_targetILNS1_3genE2ELNS1_11target_archE906ELNS1_3gpuE6ELNS1_3repE0EEENS1_52radix_sort_onesweep_histogram_config_static_selectorELNS0_4arch9wavefront6targetE0EEEvSD_,comdat
.Lfunc_end2866:
	.size	_ZN7rocprim17ROCPRIM_400000_NS6detail17trampoline_kernelINS0_14default_configENS1_35radix_sort_onesweep_config_selectorImNS0_10empty_typeEEEZNS1_34radix_sort_onesweep_global_offsetsIS3_Lb1EPKmPS5_mNS0_19identity_decomposerEEE10hipError_tT1_T2_PT3_SF_jT4_jjP12ihipStream_tbEUlT_E0_NS1_11comp_targetILNS1_3genE2ELNS1_11target_archE906ELNS1_3gpuE6ELNS1_3repE0EEENS1_52radix_sort_onesweep_histogram_config_static_selectorELNS0_4arch9wavefront6targetE0EEEvSD_, .Lfunc_end2866-_ZN7rocprim17ROCPRIM_400000_NS6detail17trampoline_kernelINS0_14default_configENS1_35radix_sort_onesweep_config_selectorImNS0_10empty_typeEEEZNS1_34radix_sort_onesweep_global_offsetsIS3_Lb1EPKmPS5_mNS0_19identity_decomposerEEE10hipError_tT1_T2_PT3_SF_jT4_jjP12ihipStream_tbEUlT_E0_NS1_11comp_targetILNS1_3genE2ELNS1_11target_archE906ELNS1_3gpuE6ELNS1_3repE0EEENS1_52radix_sort_onesweep_histogram_config_static_selectorELNS0_4arch9wavefront6targetE0EEEvSD_
                                        ; -- End function
	.set _ZN7rocprim17ROCPRIM_400000_NS6detail17trampoline_kernelINS0_14default_configENS1_35radix_sort_onesweep_config_selectorImNS0_10empty_typeEEEZNS1_34radix_sort_onesweep_global_offsetsIS3_Lb1EPKmPS5_mNS0_19identity_decomposerEEE10hipError_tT1_T2_PT3_SF_jT4_jjP12ihipStream_tbEUlT_E0_NS1_11comp_targetILNS1_3genE2ELNS1_11target_archE906ELNS1_3gpuE6ELNS1_3repE0EEENS1_52radix_sort_onesweep_histogram_config_static_selectorELNS0_4arch9wavefront6targetE0EEEvSD_.num_vgpr, 0
	.set _ZN7rocprim17ROCPRIM_400000_NS6detail17trampoline_kernelINS0_14default_configENS1_35radix_sort_onesweep_config_selectorImNS0_10empty_typeEEEZNS1_34radix_sort_onesweep_global_offsetsIS3_Lb1EPKmPS5_mNS0_19identity_decomposerEEE10hipError_tT1_T2_PT3_SF_jT4_jjP12ihipStream_tbEUlT_E0_NS1_11comp_targetILNS1_3genE2ELNS1_11target_archE906ELNS1_3gpuE6ELNS1_3repE0EEENS1_52radix_sort_onesweep_histogram_config_static_selectorELNS0_4arch9wavefront6targetE0EEEvSD_.num_agpr, 0
	.set _ZN7rocprim17ROCPRIM_400000_NS6detail17trampoline_kernelINS0_14default_configENS1_35radix_sort_onesweep_config_selectorImNS0_10empty_typeEEEZNS1_34radix_sort_onesweep_global_offsetsIS3_Lb1EPKmPS5_mNS0_19identity_decomposerEEE10hipError_tT1_T2_PT3_SF_jT4_jjP12ihipStream_tbEUlT_E0_NS1_11comp_targetILNS1_3genE2ELNS1_11target_archE906ELNS1_3gpuE6ELNS1_3repE0EEENS1_52radix_sort_onesweep_histogram_config_static_selectorELNS0_4arch9wavefront6targetE0EEEvSD_.numbered_sgpr, 0
	.set _ZN7rocprim17ROCPRIM_400000_NS6detail17trampoline_kernelINS0_14default_configENS1_35radix_sort_onesweep_config_selectorImNS0_10empty_typeEEEZNS1_34radix_sort_onesweep_global_offsetsIS3_Lb1EPKmPS5_mNS0_19identity_decomposerEEE10hipError_tT1_T2_PT3_SF_jT4_jjP12ihipStream_tbEUlT_E0_NS1_11comp_targetILNS1_3genE2ELNS1_11target_archE906ELNS1_3gpuE6ELNS1_3repE0EEENS1_52radix_sort_onesweep_histogram_config_static_selectorELNS0_4arch9wavefront6targetE0EEEvSD_.num_named_barrier, 0
	.set _ZN7rocprim17ROCPRIM_400000_NS6detail17trampoline_kernelINS0_14default_configENS1_35radix_sort_onesweep_config_selectorImNS0_10empty_typeEEEZNS1_34radix_sort_onesweep_global_offsetsIS3_Lb1EPKmPS5_mNS0_19identity_decomposerEEE10hipError_tT1_T2_PT3_SF_jT4_jjP12ihipStream_tbEUlT_E0_NS1_11comp_targetILNS1_3genE2ELNS1_11target_archE906ELNS1_3gpuE6ELNS1_3repE0EEENS1_52radix_sort_onesweep_histogram_config_static_selectorELNS0_4arch9wavefront6targetE0EEEvSD_.private_seg_size, 0
	.set _ZN7rocprim17ROCPRIM_400000_NS6detail17trampoline_kernelINS0_14default_configENS1_35radix_sort_onesweep_config_selectorImNS0_10empty_typeEEEZNS1_34radix_sort_onesweep_global_offsetsIS3_Lb1EPKmPS5_mNS0_19identity_decomposerEEE10hipError_tT1_T2_PT3_SF_jT4_jjP12ihipStream_tbEUlT_E0_NS1_11comp_targetILNS1_3genE2ELNS1_11target_archE906ELNS1_3gpuE6ELNS1_3repE0EEENS1_52radix_sort_onesweep_histogram_config_static_selectorELNS0_4arch9wavefront6targetE0EEEvSD_.uses_vcc, 0
	.set _ZN7rocprim17ROCPRIM_400000_NS6detail17trampoline_kernelINS0_14default_configENS1_35radix_sort_onesweep_config_selectorImNS0_10empty_typeEEEZNS1_34radix_sort_onesweep_global_offsetsIS3_Lb1EPKmPS5_mNS0_19identity_decomposerEEE10hipError_tT1_T2_PT3_SF_jT4_jjP12ihipStream_tbEUlT_E0_NS1_11comp_targetILNS1_3genE2ELNS1_11target_archE906ELNS1_3gpuE6ELNS1_3repE0EEENS1_52radix_sort_onesweep_histogram_config_static_selectorELNS0_4arch9wavefront6targetE0EEEvSD_.uses_flat_scratch, 0
	.set _ZN7rocprim17ROCPRIM_400000_NS6detail17trampoline_kernelINS0_14default_configENS1_35radix_sort_onesweep_config_selectorImNS0_10empty_typeEEEZNS1_34radix_sort_onesweep_global_offsetsIS3_Lb1EPKmPS5_mNS0_19identity_decomposerEEE10hipError_tT1_T2_PT3_SF_jT4_jjP12ihipStream_tbEUlT_E0_NS1_11comp_targetILNS1_3genE2ELNS1_11target_archE906ELNS1_3gpuE6ELNS1_3repE0EEENS1_52radix_sort_onesweep_histogram_config_static_selectorELNS0_4arch9wavefront6targetE0EEEvSD_.has_dyn_sized_stack, 0
	.set _ZN7rocprim17ROCPRIM_400000_NS6detail17trampoline_kernelINS0_14default_configENS1_35radix_sort_onesweep_config_selectorImNS0_10empty_typeEEEZNS1_34radix_sort_onesweep_global_offsetsIS3_Lb1EPKmPS5_mNS0_19identity_decomposerEEE10hipError_tT1_T2_PT3_SF_jT4_jjP12ihipStream_tbEUlT_E0_NS1_11comp_targetILNS1_3genE2ELNS1_11target_archE906ELNS1_3gpuE6ELNS1_3repE0EEENS1_52radix_sort_onesweep_histogram_config_static_selectorELNS0_4arch9wavefront6targetE0EEEvSD_.has_recursion, 0
	.set _ZN7rocprim17ROCPRIM_400000_NS6detail17trampoline_kernelINS0_14default_configENS1_35radix_sort_onesweep_config_selectorImNS0_10empty_typeEEEZNS1_34radix_sort_onesweep_global_offsetsIS3_Lb1EPKmPS5_mNS0_19identity_decomposerEEE10hipError_tT1_T2_PT3_SF_jT4_jjP12ihipStream_tbEUlT_E0_NS1_11comp_targetILNS1_3genE2ELNS1_11target_archE906ELNS1_3gpuE6ELNS1_3repE0EEENS1_52radix_sort_onesweep_histogram_config_static_selectorELNS0_4arch9wavefront6targetE0EEEvSD_.has_indirect_call, 0
	.section	.AMDGPU.csdata,"",@progbits
; Kernel info:
; codeLenInByte = 0
; TotalNumSgprs: 0
; NumVgprs: 0
; ScratchSize: 0
; MemoryBound: 0
; FloatMode: 240
; IeeeMode: 1
; LDSByteSize: 0 bytes/workgroup (compile time only)
; SGPRBlocks: 0
; VGPRBlocks: 0
; NumSGPRsForWavesPerEU: 1
; NumVGPRsForWavesPerEU: 1
; NamedBarCnt: 0
; Occupancy: 16
; WaveLimiterHint : 0
; COMPUTE_PGM_RSRC2:SCRATCH_EN: 0
; COMPUTE_PGM_RSRC2:USER_SGPR: 2
; COMPUTE_PGM_RSRC2:TRAP_HANDLER: 0
; COMPUTE_PGM_RSRC2:TGID_X_EN: 1
; COMPUTE_PGM_RSRC2:TGID_Y_EN: 0
; COMPUTE_PGM_RSRC2:TGID_Z_EN: 0
; COMPUTE_PGM_RSRC2:TIDIG_COMP_CNT: 0
	.section	.text._ZN7rocprim17ROCPRIM_400000_NS6detail17trampoline_kernelINS0_14default_configENS1_35radix_sort_onesweep_config_selectorImNS0_10empty_typeEEEZNS1_34radix_sort_onesweep_global_offsetsIS3_Lb1EPKmPS5_mNS0_19identity_decomposerEEE10hipError_tT1_T2_PT3_SF_jT4_jjP12ihipStream_tbEUlT_E0_NS1_11comp_targetILNS1_3genE4ELNS1_11target_archE910ELNS1_3gpuE8ELNS1_3repE0EEENS1_52radix_sort_onesweep_histogram_config_static_selectorELNS0_4arch9wavefront6targetE0EEEvSD_,"axG",@progbits,_ZN7rocprim17ROCPRIM_400000_NS6detail17trampoline_kernelINS0_14default_configENS1_35radix_sort_onesweep_config_selectorImNS0_10empty_typeEEEZNS1_34radix_sort_onesweep_global_offsetsIS3_Lb1EPKmPS5_mNS0_19identity_decomposerEEE10hipError_tT1_T2_PT3_SF_jT4_jjP12ihipStream_tbEUlT_E0_NS1_11comp_targetILNS1_3genE4ELNS1_11target_archE910ELNS1_3gpuE8ELNS1_3repE0EEENS1_52radix_sort_onesweep_histogram_config_static_selectorELNS0_4arch9wavefront6targetE0EEEvSD_,comdat
	.protected	_ZN7rocprim17ROCPRIM_400000_NS6detail17trampoline_kernelINS0_14default_configENS1_35radix_sort_onesweep_config_selectorImNS0_10empty_typeEEEZNS1_34radix_sort_onesweep_global_offsetsIS3_Lb1EPKmPS5_mNS0_19identity_decomposerEEE10hipError_tT1_T2_PT3_SF_jT4_jjP12ihipStream_tbEUlT_E0_NS1_11comp_targetILNS1_3genE4ELNS1_11target_archE910ELNS1_3gpuE8ELNS1_3repE0EEENS1_52radix_sort_onesweep_histogram_config_static_selectorELNS0_4arch9wavefront6targetE0EEEvSD_ ; -- Begin function _ZN7rocprim17ROCPRIM_400000_NS6detail17trampoline_kernelINS0_14default_configENS1_35radix_sort_onesweep_config_selectorImNS0_10empty_typeEEEZNS1_34radix_sort_onesweep_global_offsetsIS3_Lb1EPKmPS5_mNS0_19identity_decomposerEEE10hipError_tT1_T2_PT3_SF_jT4_jjP12ihipStream_tbEUlT_E0_NS1_11comp_targetILNS1_3genE4ELNS1_11target_archE910ELNS1_3gpuE8ELNS1_3repE0EEENS1_52radix_sort_onesweep_histogram_config_static_selectorELNS0_4arch9wavefront6targetE0EEEvSD_
	.globl	_ZN7rocprim17ROCPRIM_400000_NS6detail17trampoline_kernelINS0_14default_configENS1_35radix_sort_onesweep_config_selectorImNS0_10empty_typeEEEZNS1_34radix_sort_onesweep_global_offsetsIS3_Lb1EPKmPS5_mNS0_19identity_decomposerEEE10hipError_tT1_T2_PT3_SF_jT4_jjP12ihipStream_tbEUlT_E0_NS1_11comp_targetILNS1_3genE4ELNS1_11target_archE910ELNS1_3gpuE8ELNS1_3repE0EEENS1_52radix_sort_onesweep_histogram_config_static_selectorELNS0_4arch9wavefront6targetE0EEEvSD_
	.p2align	8
	.type	_ZN7rocprim17ROCPRIM_400000_NS6detail17trampoline_kernelINS0_14default_configENS1_35radix_sort_onesweep_config_selectorImNS0_10empty_typeEEEZNS1_34radix_sort_onesweep_global_offsetsIS3_Lb1EPKmPS5_mNS0_19identity_decomposerEEE10hipError_tT1_T2_PT3_SF_jT4_jjP12ihipStream_tbEUlT_E0_NS1_11comp_targetILNS1_3genE4ELNS1_11target_archE910ELNS1_3gpuE8ELNS1_3repE0EEENS1_52radix_sort_onesweep_histogram_config_static_selectorELNS0_4arch9wavefront6targetE0EEEvSD_,@function
_ZN7rocprim17ROCPRIM_400000_NS6detail17trampoline_kernelINS0_14default_configENS1_35radix_sort_onesweep_config_selectorImNS0_10empty_typeEEEZNS1_34radix_sort_onesweep_global_offsetsIS3_Lb1EPKmPS5_mNS0_19identity_decomposerEEE10hipError_tT1_T2_PT3_SF_jT4_jjP12ihipStream_tbEUlT_E0_NS1_11comp_targetILNS1_3genE4ELNS1_11target_archE910ELNS1_3gpuE8ELNS1_3repE0EEENS1_52radix_sort_onesweep_histogram_config_static_selectorELNS0_4arch9wavefront6targetE0EEEvSD_: ; @_ZN7rocprim17ROCPRIM_400000_NS6detail17trampoline_kernelINS0_14default_configENS1_35radix_sort_onesweep_config_selectorImNS0_10empty_typeEEEZNS1_34radix_sort_onesweep_global_offsetsIS3_Lb1EPKmPS5_mNS0_19identity_decomposerEEE10hipError_tT1_T2_PT3_SF_jT4_jjP12ihipStream_tbEUlT_E0_NS1_11comp_targetILNS1_3genE4ELNS1_11target_archE910ELNS1_3gpuE8ELNS1_3repE0EEENS1_52radix_sort_onesweep_histogram_config_static_selectorELNS0_4arch9wavefront6targetE0EEEvSD_
; %bb.0:
	.section	.rodata,"a",@progbits
	.p2align	6, 0x0
	.amdhsa_kernel _ZN7rocprim17ROCPRIM_400000_NS6detail17trampoline_kernelINS0_14default_configENS1_35radix_sort_onesweep_config_selectorImNS0_10empty_typeEEEZNS1_34radix_sort_onesweep_global_offsetsIS3_Lb1EPKmPS5_mNS0_19identity_decomposerEEE10hipError_tT1_T2_PT3_SF_jT4_jjP12ihipStream_tbEUlT_E0_NS1_11comp_targetILNS1_3genE4ELNS1_11target_archE910ELNS1_3gpuE8ELNS1_3repE0EEENS1_52radix_sort_onesweep_histogram_config_static_selectorELNS0_4arch9wavefront6targetE0EEEvSD_
		.amdhsa_group_segment_fixed_size 0
		.amdhsa_private_segment_fixed_size 0
		.amdhsa_kernarg_size 8
		.amdhsa_user_sgpr_count 2
		.amdhsa_user_sgpr_dispatch_ptr 0
		.amdhsa_user_sgpr_queue_ptr 0
		.amdhsa_user_sgpr_kernarg_segment_ptr 1
		.amdhsa_user_sgpr_dispatch_id 0
		.amdhsa_user_sgpr_kernarg_preload_length 0
		.amdhsa_user_sgpr_kernarg_preload_offset 0
		.amdhsa_user_sgpr_private_segment_size 0
		.amdhsa_wavefront_size32 1
		.amdhsa_uses_dynamic_stack 0
		.amdhsa_enable_private_segment 0
		.amdhsa_system_sgpr_workgroup_id_x 1
		.amdhsa_system_sgpr_workgroup_id_y 0
		.amdhsa_system_sgpr_workgroup_id_z 0
		.amdhsa_system_sgpr_workgroup_info 0
		.amdhsa_system_vgpr_workitem_id 0
		.amdhsa_next_free_vgpr 1
		.amdhsa_next_free_sgpr 1
		.amdhsa_named_barrier_count 0
		.amdhsa_reserve_vcc 0
		.amdhsa_float_round_mode_32 0
		.amdhsa_float_round_mode_16_64 0
		.amdhsa_float_denorm_mode_32 3
		.amdhsa_float_denorm_mode_16_64 3
		.amdhsa_fp16_overflow 0
		.amdhsa_memory_ordered 1
		.amdhsa_forward_progress 1
		.amdhsa_inst_pref_size 0
		.amdhsa_round_robin_scheduling 0
		.amdhsa_exception_fp_ieee_invalid_op 0
		.amdhsa_exception_fp_denorm_src 0
		.amdhsa_exception_fp_ieee_div_zero 0
		.amdhsa_exception_fp_ieee_overflow 0
		.amdhsa_exception_fp_ieee_underflow 0
		.amdhsa_exception_fp_ieee_inexact 0
		.amdhsa_exception_int_div_zero 0
	.end_amdhsa_kernel
	.section	.text._ZN7rocprim17ROCPRIM_400000_NS6detail17trampoline_kernelINS0_14default_configENS1_35radix_sort_onesweep_config_selectorImNS0_10empty_typeEEEZNS1_34radix_sort_onesweep_global_offsetsIS3_Lb1EPKmPS5_mNS0_19identity_decomposerEEE10hipError_tT1_T2_PT3_SF_jT4_jjP12ihipStream_tbEUlT_E0_NS1_11comp_targetILNS1_3genE4ELNS1_11target_archE910ELNS1_3gpuE8ELNS1_3repE0EEENS1_52radix_sort_onesweep_histogram_config_static_selectorELNS0_4arch9wavefront6targetE0EEEvSD_,"axG",@progbits,_ZN7rocprim17ROCPRIM_400000_NS6detail17trampoline_kernelINS0_14default_configENS1_35radix_sort_onesweep_config_selectorImNS0_10empty_typeEEEZNS1_34radix_sort_onesweep_global_offsetsIS3_Lb1EPKmPS5_mNS0_19identity_decomposerEEE10hipError_tT1_T2_PT3_SF_jT4_jjP12ihipStream_tbEUlT_E0_NS1_11comp_targetILNS1_3genE4ELNS1_11target_archE910ELNS1_3gpuE8ELNS1_3repE0EEENS1_52radix_sort_onesweep_histogram_config_static_selectorELNS0_4arch9wavefront6targetE0EEEvSD_,comdat
.Lfunc_end2867:
	.size	_ZN7rocprim17ROCPRIM_400000_NS6detail17trampoline_kernelINS0_14default_configENS1_35radix_sort_onesweep_config_selectorImNS0_10empty_typeEEEZNS1_34radix_sort_onesweep_global_offsetsIS3_Lb1EPKmPS5_mNS0_19identity_decomposerEEE10hipError_tT1_T2_PT3_SF_jT4_jjP12ihipStream_tbEUlT_E0_NS1_11comp_targetILNS1_3genE4ELNS1_11target_archE910ELNS1_3gpuE8ELNS1_3repE0EEENS1_52radix_sort_onesweep_histogram_config_static_selectorELNS0_4arch9wavefront6targetE0EEEvSD_, .Lfunc_end2867-_ZN7rocprim17ROCPRIM_400000_NS6detail17trampoline_kernelINS0_14default_configENS1_35radix_sort_onesweep_config_selectorImNS0_10empty_typeEEEZNS1_34radix_sort_onesweep_global_offsetsIS3_Lb1EPKmPS5_mNS0_19identity_decomposerEEE10hipError_tT1_T2_PT3_SF_jT4_jjP12ihipStream_tbEUlT_E0_NS1_11comp_targetILNS1_3genE4ELNS1_11target_archE910ELNS1_3gpuE8ELNS1_3repE0EEENS1_52radix_sort_onesweep_histogram_config_static_selectorELNS0_4arch9wavefront6targetE0EEEvSD_
                                        ; -- End function
	.set _ZN7rocprim17ROCPRIM_400000_NS6detail17trampoline_kernelINS0_14default_configENS1_35radix_sort_onesweep_config_selectorImNS0_10empty_typeEEEZNS1_34radix_sort_onesweep_global_offsetsIS3_Lb1EPKmPS5_mNS0_19identity_decomposerEEE10hipError_tT1_T2_PT3_SF_jT4_jjP12ihipStream_tbEUlT_E0_NS1_11comp_targetILNS1_3genE4ELNS1_11target_archE910ELNS1_3gpuE8ELNS1_3repE0EEENS1_52radix_sort_onesweep_histogram_config_static_selectorELNS0_4arch9wavefront6targetE0EEEvSD_.num_vgpr, 0
	.set _ZN7rocprim17ROCPRIM_400000_NS6detail17trampoline_kernelINS0_14default_configENS1_35radix_sort_onesweep_config_selectorImNS0_10empty_typeEEEZNS1_34radix_sort_onesweep_global_offsetsIS3_Lb1EPKmPS5_mNS0_19identity_decomposerEEE10hipError_tT1_T2_PT3_SF_jT4_jjP12ihipStream_tbEUlT_E0_NS1_11comp_targetILNS1_3genE4ELNS1_11target_archE910ELNS1_3gpuE8ELNS1_3repE0EEENS1_52radix_sort_onesweep_histogram_config_static_selectorELNS0_4arch9wavefront6targetE0EEEvSD_.num_agpr, 0
	.set _ZN7rocprim17ROCPRIM_400000_NS6detail17trampoline_kernelINS0_14default_configENS1_35radix_sort_onesweep_config_selectorImNS0_10empty_typeEEEZNS1_34radix_sort_onesweep_global_offsetsIS3_Lb1EPKmPS5_mNS0_19identity_decomposerEEE10hipError_tT1_T2_PT3_SF_jT4_jjP12ihipStream_tbEUlT_E0_NS1_11comp_targetILNS1_3genE4ELNS1_11target_archE910ELNS1_3gpuE8ELNS1_3repE0EEENS1_52radix_sort_onesweep_histogram_config_static_selectorELNS0_4arch9wavefront6targetE0EEEvSD_.numbered_sgpr, 0
	.set _ZN7rocprim17ROCPRIM_400000_NS6detail17trampoline_kernelINS0_14default_configENS1_35radix_sort_onesweep_config_selectorImNS0_10empty_typeEEEZNS1_34radix_sort_onesweep_global_offsetsIS3_Lb1EPKmPS5_mNS0_19identity_decomposerEEE10hipError_tT1_T2_PT3_SF_jT4_jjP12ihipStream_tbEUlT_E0_NS1_11comp_targetILNS1_3genE4ELNS1_11target_archE910ELNS1_3gpuE8ELNS1_3repE0EEENS1_52radix_sort_onesweep_histogram_config_static_selectorELNS0_4arch9wavefront6targetE0EEEvSD_.num_named_barrier, 0
	.set _ZN7rocprim17ROCPRIM_400000_NS6detail17trampoline_kernelINS0_14default_configENS1_35radix_sort_onesweep_config_selectorImNS0_10empty_typeEEEZNS1_34radix_sort_onesweep_global_offsetsIS3_Lb1EPKmPS5_mNS0_19identity_decomposerEEE10hipError_tT1_T2_PT3_SF_jT4_jjP12ihipStream_tbEUlT_E0_NS1_11comp_targetILNS1_3genE4ELNS1_11target_archE910ELNS1_3gpuE8ELNS1_3repE0EEENS1_52radix_sort_onesweep_histogram_config_static_selectorELNS0_4arch9wavefront6targetE0EEEvSD_.private_seg_size, 0
	.set _ZN7rocprim17ROCPRIM_400000_NS6detail17trampoline_kernelINS0_14default_configENS1_35radix_sort_onesweep_config_selectorImNS0_10empty_typeEEEZNS1_34radix_sort_onesweep_global_offsetsIS3_Lb1EPKmPS5_mNS0_19identity_decomposerEEE10hipError_tT1_T2_PT3_SF_jT4_jjP12ihipStream_tbEUlT_E0_NS1_11comp_targetILNS1_3genE4ELNS1_11target_archE910ELNS1_3gpuE8ELNS1_3repE0EEENS1_52radix_sort_onesweep_histogram_config_static_selectorELNS0_4arch9wavefront6targetE0EEEvSD_.uses_vcc, 0
	.set _ZN7rocprim17ROCPRIM_400000_NS6detail17trampoline_kernelINS0_14default_configENS1_35radix_sort_onesweep_config_selectorImNS0_10empty_typeEEEZNS1_34radix_sort_onesweep_global_offsetsIS3_Lb1EPKmPS5_mNS0_19identity_decomposerEEE10hipError_tT1_T2_PT3_SF_jT4_jjP12ihipStream_tbEUlT_E0_NS1_11comp_targetILNS1_3genE4ELNS1_11target_archE910ELNS1_3gpuE8ELNS1_3repE0EEENS1_52radix_sort_onesweep_histogram_config_static_selectorELNS0_4arch9wavefront6targetE0EEEvSD_.uses_flat_scratch, 0
	.set _ZN7rocprim17ROCPRIM_400000_NS6detail17trampoline_kernelINS0_14default_configENS1_35radix_sort_onesweep_config_selectorImNS0_10empty_typeEEEZNS1_34radix_sort_onesweep_global_offsetsIS3_Lb1EPKmPS5_mNS0_19identity_decomposerEEE10hipError_tT1_T2_PT3_SF_jT4_jjP12ihipStream_tbEUlT_E0_NS1_11comp_targetILNS1_3genE4ELNS1_11target_archE910ELNS1_3gpuE8ELNS1_3repE0EEENS1_52radix_sort_onesweep_histogram_config_static_selectorELNS0_4arch9wavefront6targetE0EEEvSD_.has_dyn_sized_stack, 0
	.set _ZN7rocprim17ROCPRIM_400000_NS6detail17trampoline_kernelINS0_14default_configENS1_35radix_sort_onesweep_config_selectorImNS0_10empty_typeEEEZNS1_34radix_sort_onesweep_global_offsetsIS3_Lb1EPKmPS5_mNS0_19identity_decomposerEEE10hipError_tT1_T2_PT3_SF_jT4_jjP12ihipStream_tbEUlT_E0_NS1_11comp_targetILNS1_3genE4ELNS1_11target_archE910ELNS1_3gpuE8ELNS1_3repE0EEENS1_52radix_sort_onesweep_histogram_config_static_selectorELNS0_4arch9wavefront6targetE0EEEvSD_.has_recursion, 0
	.set _ZN7rocprim17ROCPRIM_400000_NS6detail17trampoline_kernelINS0_14default_configENS1_35radix_sort_onesweep_config_selectorImNS0_10empty_typeEEEZNS1_34radix_sort_onesweep_global_offsetsIS3_Lb1EPKmPS5_mNS0_19identity_decomposerEEE10hipError_tT1_T2_PT3_SF_jT4_jjP12ihipStream_tbEUlT_E0_NS1_11comp_targetILNS1_3genE4ELNS1_11target_archE910ELNS1_3gpuE8ELNS1_3repE0EEENS1_52radix_sort_onesweep_histogram_config_static_selectorELNS0_4arch9wavefront6targetE0EEEvSD_.has_indirect_call, 0
	.section	.AMDGPU.csdata,"",@progbits
; Kernel info:
; codeLenInByte = 0
; TotalNumSgprs: 0
; NumVgprs: 0
; ScratchSize: 0
; MemoryBound: 0
; FloatMode: 240
; IeeeMode: 1
; LDSByteSize: 0 bytes/workgroup (compile time only)
; SGPRBlocks: 0
; VGPRBlocks: 0
; NumSGPRsForWavesPerEU: 1
; NumVGPRsForWavesPerEU: 1
; NamedBarCnt: 0
; Occupancy: 16
; WaveLimiterHint : 0
; COMPUTE_PGM_RSRC2:SCRATCH_EN: 0
; COMPUTE_PGM_RSRC2:USER_SGPR: 2
; COMPUTE_PGM_RSRC2:TRAP_HANDLER: 0
; COMPUTE_PGM_RSRC2:TGID_X_EN: 1
; COMPUTE_PGM_RSRC2:TGID_Y_EN: 0
; COMPUTE_PGM_RSRC2:TGID_Z_EN: 0
; COMPUTE_PGM_RSRC2:TIDIG_COMP_CNT: 0
	.section	.text._ZN7rocprim17ROCPRIM_400000_NS6detail17trampoline_kernelINS0_14default_configENS1_35radix_sort_onesweep_config_selectorImNS0_10empty_typeEEEZNS1_34radix_sort_onesweep_global_offsetsIS3_Lb1EPKmPS5_mNS0_19identity_decomposerEEE10hipError_tT1_T2_PT3_SF_jT4_jjP12ihipStream_tbEUlT_E0_NS1_11comp_targetILNS1_3genE3ELNS1_11target_archE908ELNS1_3gpuE7ELNS1_3repE0EEENS1_52radix_sort_onesweep_histogram_config_static_selectorELNS0_4arch9wavefront6targetE0EEEvSD_,"axG",@progbits,_ZN7rocprim17ROCPRIM_400000_NS6detail17trampoline_kernelINS0_14default_configENS1_35radix_sort_onesweep_config_selectorImNS0_10empty_typeEEEZNS1_34radix_sort_onesweep_global_offsetsIS3_Lb1EPKmPS5_mNS0_19identity_decomposerEEE10hipError_tT1_T2_PT3_SF_jT4_jjP12ihipStream_tbEUlT_E0_NS1_11comp_targetILNS1_3genE3ELNS1_11target_archE908ELNS1_3gpuE7ELNS1_3repE0EEENS1_52radix_sort_onesweep_histogram_config_static_selectorELNS0_4arch9wavefront6targetE0EEEvSD_,comdat
	.protected	_ZN7rocprim17ROCPRIM_400000_NS6detail17trampoline_kernelINS0_14default_configENS1_35radix_sort_onesweep_config_selectorImNS0_10empty_typeEEEZNS1_34radix_sort_onesweep_global_offsetsIS3_Lb1EPKmPS5_mNS0_19identity_decomposerEEE10hipError_tT1_T2_PT3_SF_jT4_jjP12ihipStream_tbEUlT_E0_NS1_11comp_targetILNS1_3genE3ELNS1_11target_archE908ELNS1_3gpuE7ELNS1_3repE0EEENS1_52radix_sort_onesweep_histogram_config_static_selectorELNS0_4arch9wavefront6targetE0EEEvSD_ ; -- Begin function _ZN7rocprim17ROCPRIM_400000_NS6detail17trampoline_kernelINS0_14default_configENS1_35radix_sort_onesweep_config_selectorImNS0_10empty_typeEEEZNS1_34radix_sort_onesweep_global_offsetsIS3_Lb1EPKmPS5_mNS0_19identity_decomposerEEE10hipError_tT1_T2_PT3_SF_jT4_jjP12ihipStream_tbEUlT_E0_NS1_11comp_targetILNS1_3genE3ELNS1_11target_archE908ELNS1_3gpuE7ELNS1_3repE0EEENS1_52radix_sort_onesweep_histogram_config_static_selectorELNS0_4arch9wavefront6targetE0EEEvSD_
	.globl	_ZN7rocprim17ROCPRIM_400000_NS6detail17trampoline_kernelINS0_14default_configENS1_35radix_sort_onesweep_config_selectorImNS0_10empty_typeEEEZNS1_34radix_sort_onesweep_global_offsetsIS3_Lb1EPKmPS5_mNS0_19identity_decomposerEEE10hipError_tT1_T2_PT3_SF_jT4_jjP12ihipStream_tbEUlT_E0_NS1_11comp_targetILNS1_3genE3ELNS1_11target_archE908ELNS1_3gpuE7ELNS1_3repE0EEENS1_52radix_sort_onesweep_histogram_config_static_selectorELNS0_4arch9wavefront6targetE0EEEvSD_
	.p2align	8
	.type	_ZN7rocprim17ROCPRIM_400000_NS6detail17trampoline_kernelINS0_14default_configENS1_35radix_sort_onesweep_config_selectorImNS0_10empty_typeEEEZNS1_34radix_sort_onesweep_global_offsetsIS3_Lb1EPKmPS5_mNS0_19identity_decomposerEEE10hipError_tT1_T2_PT3_SF_jT4_jjP12ihipStream_tbEUlT_E0_NS1_11comp_targetILNS1_3genE3ELNS1_11target_archE908ELNS1_3gpuE7ELNS1_3repE0EEENS1_52radix_sort_onesweep_histogram_config_static_selectorELNS0_4arch9wavefront6targetE0EEEvSD_,@function
_ZN7rocprim17ROCPRIM_400000_NS6detail17trampoline_kernelINS0_14default_configENS1_35radix_sort_onesweep_config_selectorImNS0_10empty_typeEEEZNS1_34radix_sort_onesweep_global_offsetsIS3_Lb1EPKmPS5_mNS0_19identity_decomposerEEE10hipError_tT1_T2_PT3_SF_jT4_jjP12ihipStream_tbEUlT_E0_NS1_11comp_targetILNS1_3genE3ELNS1_11target_archE908ELNS1_3gpuE7ELNS1_3repE0EEENS1_52radix_sort_onesweep_histogram_config_static_selectorELNS0_4arch9wavefront6targetE0EEEvSD_: ; @_ZN7rocprim17ROCPRIM_400000_NS6detail17trampoline_kernelINS0_14default_configENS1_35radix_sort_onesweep_config_selectorImNS0_10empty_typeEEEZNS1_34radix_sort_onesweep_global_offsetsIS3_Lb1EPKmPS5_mNS0_19identity_decomposerEEE10hipError_tT1_T2_PT3_SF_jT4_jjP12ihipStream_tbEUlT_E0_NS1_11comp_targetILNS1_3genE3ELNS1_11target_archE908ELNS1_3gpuE7ELNS1_3repE0EEENS1_52radix_sort_onesweep_histogram_config_static_selectorELNS0_4arch9wavefront6targetE0EEEvSD_
; %bb.0:
	.section	.rodata,"a",@progbits
	.p2align	6, 0x0
	.amdhsa_kernel _ZN7rocprim17ROCPRIM_400000_NS6detail17trampoline_kernelINS0_14default_configENS1_35radix_sort_onesweep_config_selectorImNS0_10empty_typeEEEZNS1_34radix_sort_onesweep_global_offsetsIS3_Lb1EPKmPS5_mNS0_19identity_decomposerEEE10hipError_tT1_T2_PT3_SF_jT4_jjP12ihipStream_tbEUlT_E0_NS1_11comp_targetILNS1_3genE3ELNS1_11target_archE908ELNS1_3gpuE7ELNS1_3repE0EEENS1_52radix_sort_onesweep_histogram_config_static_selectorELNS0_4arch9wavefront6targetE0EEEvSD_
		.amdhsa_group_segment_fixed_size 0
		.amdhsa_private_segment_fixed_size 0
		.amdhsa_kernarg_size 8
		.amdhsa_user_sgpr_count 2
		.amdhsa_user_sgpr_dispatch_ptr 0
		.amdhsa_user_sgpr_queue_ptr 0
		.amdhsa_user_sgpr_kernarg_segment_ptr 1
		.amdhsa_user_sgpr_dispatch_id 0
		.amdhsa_user_sgpr_kernarg_preload_length 0
		.amdhsa_user_sgpr_kernarg_preload_offset 0
		.amdhsa_user_sgpr_private_segment_size 0
		.amdhsa_wavefront_size32 1
		.amdhsa_uses_dynamic_stack 0
		.amdhsa_enable_private_segment 0
		.amdhsa_system_sgpr_workgroup_id_x 1
		.amdhsa_system_sgpr_workgroup_id_y 0
		.amdhsa_system_sgpr_workgroup_id_z 0
		.amdhsa_system_sgpr_workgroup_info 0
		.amdhsa_system_vgpr_workitem_id 0
		.amdhsa_next_free_vgpr 1
		.amdhsa_next_free_sgpr 1
		.amdhsa_named_barrier_count 0
		.amdhsa_reserve_vcc 0
		.amdhsa_float_round_mode_32 0
		.amdhsa_float_round_mode_16_64 0
		.amdhsa_float_denorm_mode_32 3
		.amdhsa_float_denorm_mode_16_64 3
		.amdhsa_fp16_overflow 0
		.amdhsa_memory_ordered 1
		.amdhsa_forward_progress 1
		.amdhsa_inst_pref_size 0
		.amdhsa_round_robin_scheduling 0
		.amdhsa_exception_fp_ieee_invalid_op 0
		.amdhsa_exception_fp_denorm_src 0
		.amdhsa_exception_fp_ieee_div_zero 0
		.amdhsa_exception_fp_ieee_overflow 0
		.amdhsa_exception_fp_ieee_underflow 0
		.amdhsa_exception_fp_ieee_inexact 0
		.amdhsa_exception_int_div_zero 0
	.end_amdhsa_kernel
	.section	.text._ZN7rocprim17ROCPRIM_400000_NS6detail17trampoline_kernelINS0_14default_configENS1_35radix_sort_onesweep_config_selectorImNS0_10empty_typeEEEZNS1_34radix_sort_onesweep_global_offsetsIS3_Lb1EPKmPS5_mNS0_19identity_decomposerEEE10hipError_tT1_T2_PT3_SF_jT4_jjP12ihipStream_tbEUlT_E0_NS1_11comp_targetILNS1_3genE3ELNS1_11target_archE908ELNS1_3gpuE7ELNS1_3repE0EEENS1_52radix_sort_onesweep_histogram_config_static_selectorELNS0_4arch9wavefront6targetE0EEEvSD_,"axG",@progbits,_ZN7rocprim17ROCPRIM_400000_NS6detail17trampoline_kernelINS0_14default_configENS1_35radix_sort_onesweep_config_selectorImNS0_10empty_typeEEEZNS1_34radix_sort_onesweep_global_offsetsIS3_Lb1EPKmPS5_mNS0_19identity_decomposerEEE10hipError_tT1_T2_PT3_SF_jT4_jjP12ihipStream_tbEUlT_E0_NS1_11comp_targetILNS1_3genE3ELNS1_11target_archE908ELNS1_3gpuE7ELNS1_3repE0EEENS1_52radix_sort_onesweep_histogram_config_static_selectorELNS0_4arch9wavefront6targetE0EEEvSD_,comdat
.Lfunc_end2868:
	.size	_ZN7rocprim17ROCPRIM_400000_NS6detail17trampoline_kernelINS0_14default_configENS1_35radix_sort_onesweep_config_selectorImNS0_10empty_typeEEEZNS1_34radix_sort_onesweep_global_offsetsIS3_Lb1EPKmPS5_mNS0_19identity_decomposerEEE10hipError_tT1_T2_PT3_SF_jT4_jjP12ihipStream_tbEUlT_E0_NS1_11comp_targetILNS1_3genE3ELNS1_11target_archE908ELNS1_3gpuE7ELNS1_3repE0EEENS1_52radix_sort_onesweep_histogram_config_static_selectorELNS0_4arch9wavefront6targetE0EEEvSD_, .Lfunc_end2868-_ZN7rocprim17ROCPRIM_400000_NS6detail17trampoline_kernelINS0_14default_configENS1_35radix_sort_onesweep_config_selectorImNS0_10empty_typeEEEZNS1_34radix_sort_onesweep_global_offsetsIS3_Lb1EPKmPS5_mNS0_19identity_decomposerEEE10hipError_tT1_T2_PT3_SF_jT4_jjP12ihipStream_tbEUlT_E0_NS1_11comp_targetILNS1_3genE3ELNS1_11target_archE908ELNS1_3gpuE7ELNS1_3repE0EEENS1_52radix_sort_onesweep_histogram_config_static_selectorELNS0_4arch9wavefront6targetE0EEEvSD_
                                        ; -- End function
	.set _ZN7rocprim17ROCPRIM_400000_NS6detail17trampoline_kernelINS0_14default_configENS1_35radix_sort_onesweep_config_selectorImNS0_10empty_typeEEEZNS1_34radix_sort_onesweep_global_offsetsIS3_Lb1EPKmPS5_mNS0_19identity_decomposerEEE10hipError_tT1_T2_PT3_SF_jT4_jjP12ihipStream_tbEUlT_E0_NS1_11comp_targetILNS1_3genE3ELNS1_11target_archE908ELNS1_3gpuE7ELNS1_3repE0EEENS1_52radix_sort_onesweep_histogram_config_static_selectorELNS0_4arch9wavefront6targetE0EEEvSD_.num_vgpr, 0
	.set _ZN7rocprim17ROCPRIM_400000_NS6detail17trampoline_kernelINS0_14default_configENS1_35radix_sort_onesweep_config_selectorImNS0_10empty_typeEEEZNS1_34radix_sort_onesweep_global_offsetsIS3_Lb1EPKmPS5_mNS0_19identity_decomposerEEE10hipError_tT1_T2_PT3_SF_jT4_jjP12ihipStream_tbEUlT_E0_NS1_11comp_targetILNS1_3genE3ELNS1_11target_archE908ELNS1_3gpuE7ELNS1_3repE0EEENS1_52radix_sort_onesweep_histogram_config_static_selectorELNS0_4arch9wavefront6targetE0EEEvSD_.num_agpr, 0
	.set _ZN7rocprim17ROCPRIM_400000_NS6detail17trampoline_kernelINS0_14default_configENS1_35radix_sort_onesweep_config_selectorImNS0_10empty_typeEEEZNS1_34radix_sort_onesweep_global_offsetsIS3_Lb1EPKmPS5_mNS0_19identity_decomposerEEE10hipError_tT1_T2_PT3_SF_jT4_jjP12ihipStream_tbEUlT_E0_NS1_11comp_targetILNS1_3genE3ELNS1_11target_archE908ELNS1_3gpuE7ELNS1_3repE0EEENS1_52radix_sort_onesweep_histogram_config_static_selectorELNS0_4arch9wavefront6targetE0EEEvSD_.numbered_sgpr, 0
	.set _ZN7rocprim17ROCPRIM_400000_NS6detail17trampoline_kernelINS0_14default_configENS1_35radix_sort_onesweep_config_selectorImNS0_10empty_typeEEEZNS1_34radix_sort_onesweep_global_offsetsIS3_Lb1EPKmPS5_mNS0_19identity_decomposerEEE10hipError_tT1_T2_PT3_SF_jT4_jjP12ihipStream_tbEUlT_E0_NS1_11comp_targetILNS1_3genE3ELNS1_11target_archE908ELNS1_3gpuE7ELNS1_3repE0EEENS1_52radix_sort_onesweep_histogram_config_static_selectorELNS0_4arch9wavefront6targetE0EEEvSD_.num_named_barrier, 0
	.set _ZN7rocprim17ROCPRIM_400000_NS6detail17trampoline_kernelINS0_14default_configENS1_35radix_sort_onesweep_config_selectorImNS0_10empty_typeEEEZNS1_34radix_sort_onesweep_global_offsetsIS3_Lb1EPKmPS5_mNS0_19identity_decomposerEEE10hipError_tT1_T2_PT3_SF_jT4_jjP12ihipStream_tbEUlT_E0_NS1_11comp_targetILNS1_3genE3ELNS1_11target_archE908ELNS1_3gpuE7ELNS1_3repE0EEENS1_52radix_sort_onesweep_histogram_config_static_selectorELNS0_4arch9wavefront6targetE0EEEvSD_.private_seg_size, 0
	.set _ZN7rocprim17ROCPRIM_400000_NS6detail17trampoline_kernelINS0_14default_configENS1_35radix_sort_onesweep_config_selectorImNS0_10empty_typeEEEZNS1_34radix_sort_onesweep_global_offsetsIS3_Lb1EPKmPS5_mNS0_19identity_decomposerEEE10hipError_tT1_T2_PT3_SF_jT4_jjP12ihipStream_tbEUlT_E0_NS1_11comp_targetILNS1_3genE3ELNS1_11target_archE908ELNS1_3gpuE7ELNS1_3repE0EEENS1_52radix_sort_onesweep_histogram_config_static_selectorELNS0_4arch9wavefront6targetE0EEEvSD_.uses_vcc, 0
	.set _ZN7rocprim17ROCPRIM_400000_NS6detail17trampoline_kernelINS0_14default_configENS1_35radix_sort_onesweep_config_selectorImNS0_10empty_typeEEEZNS1_34radix_sort_onesweep_global_offsetsIS3_Lb1EPKmPS5_mNS0_19identity_decomposerEEE10hipError_tT1_T2_PT3_SF_jT4_jjP12ihipStream_tbEUlT_E0_NS1_11comp_targetILNS1_3genE3ELNS1_11target_archE908ELNS1_3gpuE7ELNS1_3repE0EEENS1_52radix_sort_onesweep_histogram_config_static_selectorELNS0_4arch9wavefront6targetE0EEEvSD_.uses_flat_scratch, 0
	.set _ZN7rocprim17ROCPRIM_400000_NS6detail17trampoline_kernelINS0_14default_configENS1_35radix_sort_onesweep_config_selectorImNS0_10empty_typeEEEZNS1_34radix_sort_onesweep_global_offsetsIS3_Lb1EPKmPS5_mNS0_19identity_decomposerEEE10hipError_tT1_T2_PT3_SF_jT4_jjP12ihipStream_tbEUlT_E0_NS1_11comp_targetILNS1_3genE3ELNS1_11target_archE908ELNS1_3gpuE7ELNS1_3repE0EEENS1_52radix_sort_onesweep_histogram_config_static_selectorELNS0_4arch9wavefront6targetE0EEEvSD_.has_dyn_sized_stack, 0
	.set _ZN7rocprim17ROCPRIM_400000_NS6detail17trampoline_kernelINS0_14default_configENS1_35radix_sort_onesweep_config_selectorImNS0_10empty_typeEEEZNS1_34radix_sort_onesweep_global_offsetsIS3_Lb1EPKmPS5_mNS0_19identity_decomposerEEE10hipError_tT1_T2_PT3_SF_jT4_jjP12ihipStream_tbEUlT_E0_NS1_11comp_targetILNS1_3genE3ELNS1_11target_archE908ELNS1_3gpuE7ELNS1_3repE0EEENS1_52radix_sort_onesweep_histogram_config_static_selectorELNS0_4arch9wavefront6targetE0EEEvSD_.has_recursion, 0
	.set _ZN7rocprim17ROCPRIM_400000_NS6detail17trampoline_kernelINS0_14default_configENS1_35radix_sort_onesweep_config_selectorImNS0_10empty_typeEEEZNS1_34radix_sort_onesweep_global_offsetsIS3_Lb1EPKmPS5_mNS0_19identity_decomposerEEE10hipError_tT1_T2_PT3_SF_jT4_jjP12ihipStream_tbEUlT_E0_NS1_11comp_targetILNS1_3genE3ELNS1_11target_archE908ELNS1_3gpuE7ELNS1_3repE0EEENS1_52radix_sort_onesweep_histogram_config_static_selectorELNS0_4arch9wavefront6targetE0EEEvSD_.has_indirect_call, 0
	.section	.AMDGPU.csdata,"",@progbits
; Kernel info:
; codeLenInByte = 0
; TotalNumSgprs: 0
; NumVgprs: 0
; ScratchSize: 0
; MemoryBound: 0
; FloatMode: 240
; IeeeMode: 1
; LDSByteSize: 0 bytes/workgroup (compile time only)
; SGPRBlocks: 0
; VGPRBlocks: 0
; NumSGPRsForWavesPerEU: 1
; NumVGPRsForWavesPerEU: 1
; NamedBarCnt: 0
; Occupancy: 16
; WaveLimiterHint : 0
; COMPUTE_PGM_RSRC2:SCRATCH_EN: 0
; COMPUTE_PGM_RSRC2:USER_SGPR: 2
; COMPUTE_PGM_RSRC2:TRAP_HANDLER: 0
; COMPUTE_PGM_RSRC2:TGID_X_EN: 1
; COMPUTE_PGM_RSRC2:TGID_Y_EN: 0
; COMPUTE_PGM_RSRC2:TGID_Z_EN: 0
; COMPUTE_PGM_RSRC2:TIDIG_COMP_CNT: 0
	.section	.text._ZN7rocprim17ROCPRIM_400000_NS6detail17trampoline_kernelINS0_14default_configENS1_35radix_sort_onesweep_config_selectorImNS0_10empty_typeEEEZNS1_34radix_sort_onesweep_global_offsetsIS3_Lb1EPKmPS5_mNS0_19identity_decomposerEEE10hipError_tT1_T2_PT3_SF_jT4_jjP12ihipStream_tbEUlT_E0_NS1_11comp_targetILNS1_3genE10ELNS1_11target_archE1201ELNS1_3gpuE5ELNS1_3repE0EEENS1_52radix_sort_onesweep_histogram_config_static_selectorELNS0_4arch9wavefront6targetE0EEEvSD_,"axG",@progbits,_ZN7rocprim17ROCPRIM_400000_NS6detail17trampoline_kernelINS0_14default_configENS1_35radix_sort_onesweep_config_selectorImNS0_10empty_typeEEEZNS1_34radix_sort_onesweep_global_offsetsIS3_Lb1EPKmPS5_mNS0_19identity_decomposerEEE10hipError_tT1_T2_PT3_SF_jT4_jjP12ihipStream_tbEUlT_E0_NS1_11comp_targetILNS1_3genE10ELNS1_11target_archE1201ELNS1_3gpuE5ELNS1_3repE0EEENS1_52radix_sort_onesweep_histogram_config_static_selectorELNS0_4arch9wavefront6targetE0EEEvSD_,comdat
	.protected	_ZN7rocprim17ROCPRIM_400000_NS6detail17trampoline_kernelINS0_14default_configENS1_35radix_sort_onesweep_config_selectorImNS0_10empty_typeEEEZNS1_34radix_sort_onesweep_global_offsetsIS3_Lb1EPKmPS5_mNS0_19identity_decomposerEEE10hipError_tT1_T2_PT3_SF_jT4_jjP12ihipStream_tbEUlT_E0_NS1_11comp_targetILNS1_3genE10ELNS1_11target_archE1201ELNS1_3gpuE5ELNS1_3repE0EEENS1_52radix_sort_onesweep_histogram_config_static_selectorELNS0_4arch9wavefront6targetE0EEEvSD_ ; -- Begin function _ZN7rocprim17ROCPRIM_400000_NS6detail17trampoline_kernelINS0_14default_configENS1_35radix_sort_onesweep_config_selectorImNS0_10empty_typeEEEZNS1_34radix_sort_onesweep_global_offsetsIS3_Lb1EPKmPS5_mNS0_19identity_decomposerEEE10hipError_tT1_T2_PT3_SF_jT4_jjP12ihipStream_tbEUlT_E0_NS1_11comp_targetILNS1_3genE10ELNS1_11target_archE1201ELNS1_3gpuE5ELNS1_3repE0EEENS1_52radix_sort_onesweep_histogram_config_static_selectorELNS0_4arch9wavefront6targetE0EEEvSD_
	.globl	_ZN7rocprim17ROCPRIM_400000_NS6detail17trampoline_kernelINS0_14default_configENS1_35radix_sort_onesweep_config_selectorImNS0_10empty_typeEEEZNS1_34radix_sort_onesweep_global_offsetsIS3_Lb1EPKmPS5_mNS0_19identity_decomposerEEE10hipError_tT1_T2_PT3_SF_jT4_jjP12ihipStream_tbEUlT_E0_NS1_11comp_targetILNS1_3genE10ELNS1_11target_archE1201ELNS1_3gpuE5ELNS1_3repE0EEENS1_52radix_sort_onesweep_histogram_config_static_selectorELNS0_4arch9wavefront6targetE0EEEvSD_
	.p2align	8
	.type	_ZN7rocprim17ROCPRIM_400000_NS6detail17trampoline_kernelINS0_14default_configENS1_35radix_sort_onesweep_config_selectorImNS0_10empty_typeEEEZNS1_34radix_sort_onesweep_global_offsetsIS3_Lb1EPKmPS5_mNS0_19identity_decomposerEEE10hipError_tT1_T2_PT3_SF_jT4_jjP12ihipStream_tbEUlT_E0_NS1_11comp_targetILNS1_3genE10ELNS1_11target_archE1201ELNS1_3gpuE5ELNS1_3repE0EEENS1_52radix_sort_onesweep_histogram_config_static_selectorELNS0_4arch9wavefront6targetE0EEEvSD_,@function
_ZN7rocprim17ROCPRIM_400000_NS6detail17trampoline_kernelINS0_14default_configENS1_35radix_sort_onesweep_config_selectorImNS0_10empty_typeEEEZNS1_34radix_sort_onesweep_global_offsetsIS3_Lb1EPKmPS5_mNS0_19identity_decomposerEEE10hipError_tT1_T2_PT3_SF_jT4_jjP12ihipStream_tbEUlT_E0_NS1_11comp_targetILNS1_3genE10ELNS1_11target_archE1201ELNS1_3gpuE5ELNS1_3repE0EEENS1_52radix_sort_onesweep_histogram_config_static_selectorELNS0_4arch9wavefront6targetE0EEEvSD_: ; @_ZN7rocprim17ROCPRIM_400000_NS6detail17trampoline_kernelINS0_14default_configENS1_35radix_sort_onesweep_config_selectorImNS0_10empty_typeEEEZNS1_34radix_sort_onesweep_global_offsetsIS3_Lb1EPKmPS5_mNS0_19identity_decomposerEEE10hipError_tT1_T2_PT3_SF_jT4_jjP12ihipStream_tbEUlT_E0_NS1_11comp_targetILNS1_3genE10ELNS1_11target_archE1201ELNS1_3gpuE5ELNS1_3repE0EEENS1_52radix_sort_onesweep_histogram_config_static_selectorELNS0_4arch9wavefront6targetE0EEEvSD_
; %bb.0:
	.section	.rodata,"a",@progbits
	.p2align	6, 0x0
	.amdhsa_kernel _ZN7rocprim17ROCPRIM_400000_NS6detail17trampoline_kernelINS0_14default_configENS1_35radix_sort_onesweep_config_selectorImNS0_10empty_typeEEEZNS1_34radix_sort_onesweep_global_offsetsIS3_Lb1EPKmPS5_mNS0_19identity_decomposerEEE10hipError_tT1_T2_PT3_SF_jT4_jjP12ihipStream_tbEUlT_E0_NS1_11comp_targetILNS1_3genE10ELNS1_11target_archE1201ELNS1_3gpuE5ELNS1_3repE0EEENS1_52radix_sort_onesweep_histogram_config_static_selectorELNS0_4arch9wavefront6targetE0EEEvSD_
		.amdhsa_group_segment_fixed_size 0
		.amdhsa_private_segment_fixed_size 0
		.amdhsa_kernarg_size 8
		.amdhsa_user_sgpr_count 2
		.amdhsa_user_sgpr_dispatch_ptr 0
		.amdhsa_user_sgpr_queue_ptr 0
		.amdhsa_user_sgpr_kernarg_segment_ptr 1
		.amdhsa_user_sgpr_dispatch_id 0
		.amdhsa_user_sgpr_kernarg_preload_length 0
		.amdhsa_user_sgpr_kernarg_preload_offset 0
		.amdhsa_user_sgpr_private_segment_size 0
		.amdhsa_wavefront_size32 1
		.amdhsa_uses_dynamic_stack 0
		.amdhsa_enable_private_segment 0
		.amdhsa_system_sgpr_workgroup_id_x 1
		.amdhsa_system_sgpr_workgroup_id_y 0
		.amdhsa_system_sgpr_workgroup_id_z 0
		.amdhsa_system_sgpr_workgroup_info 0
		.amdhsa_system_vgpr_workitem_id 0
		.amdhsa_next_free_vgpr 1
		.amdhsa_next_free_sgpr 1
		.amdhsa_named_barrier_count 0
		.amdhsa_reserve_vcc 0
		.amdhsa_float_round_mode_32 0
		.amdhsa_float_round_mode_16_64 0
		.amdhsa_float_denorm_mode_32 3
		.amdhsa_float_denorm_mode_16_64 3
		.amdhsa_fp16_overflow 0
		.amdhsa_memory_ordered 1
		.amdhsa_forward_progress 1
		.amdhsa_inst_pref_size 0
		.amdhsa_round_robin_scheduling 0
		.amdhsa_exception_fp_ieee_invalid_op 0
		.amdhsa_exception_fp_denorm_src 0
		.amdhsa_exception_fp_ieee_div_zero 0
		.amdhsa_exception_fp_ieee_overflow 0
		.amdhsa_exception_fp_ieee_underflow 0
		.amdhsa_exception_fp_ieee_inexact 0
		.amdhsa_exception_int_div_zero 0
	.end_amdhsa_kernel
	.section	.text._ZN7rocprim17ROCPRIM_400000_NS6detail17trampoline_kernelINS0_14default_configENS1_35radix_sort_onesweep_config_selectorImNS0_10empty_typeEEEZNS1_34radix_sort_onesweep_global_offsetsIS3_Lb1EPKmPS5_mNS0_19identity_decomposerEEE10hipError_tT1_T2_PT3_SF_jT4_jjP12ihipStream_tbEUlT_E0_NS1_11comp_targetILNS1_3genE10ELNS1_11target_archE1201ELNS1_3gpuE5ELNS1_3repE0EEENS1_52radix_sort_onesweep_histogram_config_static_selectorELNS0_4arch9wavefront6targetE0EEEvSD_,"axG",@progbits,_ZN7rocprim17ROCPRIM_400000_NS6detail17trampoline_kernelINS0_14default_configENS1_35radix_sort_onesweep_config_selectorImNS0_10empty_typeEEEZNS1_34radix_sort_onesweep_global_offsetsIS3_Lb1EPKmPS5_mNS0_19identity_decomposerEEE10hipError_tT1_T2_PT3_SF_jT4_jjP12ihipStream_tbEUlT_E0_NS1_11comp_targetILNS1_3genE10ELNS1_11target_archE1201ELNS1_3gpuE5ELNS1_3repE0EEENS1_52radix_sort_onesweep_histogram_config_static_selectorELNS0_4arch9wavefront6targetE0EEEvSD_,comdat
.Lfunc_end2869:
	.size	_ZN7rocprim17ROCPRIM_400000_NS6detail17trampoline_kernelINS0_14default_configENS1_35radix_sort_onesweep_config_selectorImNS0_10empty_typeEEEZNS1_34radix_sort_onesweep_global_offsetsIS3_Lb1EPKmPS5_mNS0_19identity_decomposerEEE10hipError_tT1_T2_PT3_SF_jT4_jjP12ihipStream_tbEUlT_E0_NS1_11comp_targetILNS1_3genE10ELNS1_11target_archE1201ELNS1_3gpuE5ELNS1_3repE0EEENS1_52radix_sort_onesweep_histogram_config_static_selectorELNS0_4arch9wavefront6targetE0EEEvSD_, .Lfunc_end2869-_ZN7rocprim17ROCPRIM_400000_NS6detail17trampoline_kernelINS0_14default_configENS1_35radix_sort_onesweep_config_selectorImNS0_10empty_typeEEEZNS1_34radix_sort_onesweep_global_offsetsIS3_Lb1EPKmPS5_mNS0_19identity_decomposerEEE10hipError_tT1_T2_PT3_SF_jT4_jjP12ihipStream_tbEUlT_E0_NS1_11comp_targetILNS1_3genE10ELNS1_11target_archE1201ELNS1_3gpuE5ELNS1_3repE0EEENS1_52radix_sort_onesweep_histogram_config_static_selectorELNS0_4arch9wavefront6targetE0EEEvSD_
                                        ; -- End function
	.set _ZN7rocprim17ROCPRIM_400000_NS6detail17trampoline_kernelINS0_14default_configENS1_35radix_sort_onesweep_config_selectorImNS0_10empty_typeEEEZNS1_34radix_sort_onesweep_global_offsetsIS3_Lb1EPKmPS5_mNS0_19identity_decomposerEEE10hipError_tT1_T2_PT3_SF_jT4_jjP12ihipStream_tbEUlT_E0_NS1_11comp_targetILNS1_3genE10ELNS1_11target_archE1201ELNS1_3gpuE5ELNS1_3repE0EEENS1_52radix_sort_onesweep_histogram_config_static_selectorELNS0_4arch9wavefront6targetE0EEEvSD_.num_vgpr, 0
	.set _ZN7rocprim17ROCPRIM_400000_NS6detail17trampoline_kernelINS0_14default_configENS1_35radix_sort_onesweep_config_selectorImNS0_10empty_typeEEEZNS1_34radix_sort_onesweep_global_offsetsIS3_Lb1EPKmPS5_mNS0_19identity_decomposerEEE10hipError_tT1_T2_PT3_SF_jT4_jjP12ihipStream_tbEUlT_E0_NS1_11comp_targetILNS1_3genE10ELNS1_11target_archE1201ELNS1_3gpuE5ELNS1_3repE0EEENS1_52radix_sort_onesweep_histogram_config_static_selectorELNS0_4arch9wavefront6targetE0EEEvSD_.num_agpr, 0
	.set _ZN7rocprim17ROCPRIM_400000_NS6detail17trampoline_kernelINS0_14default_configENS1_35radix_sort_onesweep_config_selectorImNS0_10empty_typeEEEZNS1_34radix_sort_onesweep_global_offsetsIS3_Lb1EPKmPS5_mNS0_19identity_decomposerEEE10hipError_tT1_T2_PT3_SF_jT4_jjP12ihipStream_tbEUlT_E0_NS1_11comp_targetILNS1_3genE10ELNS1_11target_archE1201ELNS1_3gpuE5ELNS1_3repE0EEENS1_52radix_sort_onesweep_histogram_config_static_selectorELNS0_4arch9wavefront6targetE0EEEvSD_.numbered_sgpr, 0
	.set _ZN7rocprim17ROCPRIM_400000_NS6detail17trampoline_kernelINS0_14default_configENS1_35radix_sort_onesweep_config_selectorImNS0_10empty_typeEEEZNS1_34radix_sort_onesweep_global_offsetsIS3_Lb1EPKmPS5_mNS0_19identity_decomposerEEE10hipError_tT1_T2_PT3_SF_jT4_jjP12ihipStream_tbEUlT_E0_NS1_11comp_targetILNS1_3genE10ELNS1_11target_archE1201ELNS1_3gpuE5ELNS1_3repE0EEENS1_52radix_sort_onesweep_histogram_config_static_selectorELNS0_4arch9wavefront6targetE0EEEvSD_.num_named_barrier, 0
	.set _ZN7rocprim17ROCPRIM_400000_NS6detail17trampoline_kernelINS0_14default_configENS1_35radix_sort_onesweep_config_selectorImNS0_10empty_typeEEEZNS1_34radix_sort_onesweep_global_offsetsIS3_Lb1EPKmPS5_mNS0_19identity_decomposerEEE10hipError_tT1_T2_PT3_SF_jT4_jjP12ihipStream_tbEUlT_E0_NS1_11comp_targetILNS1_3genE10ELNS1_11target_archE1201ELNS1_3gpuE5ELNS1_3repE0EEENS1_52radix_sort_onesweep_histogram_config_static_selectorELNS0_4arch9wavefront6targetE0EEEvSD_.private_seg_size, 0
	.set _ZN7rocprim17ROCPRIM_400000_NS6detail17trampoline_kernelINS0_14default_configENS1_35radix_sort_onesweep_config_selectorImNS0_10empty_typeEEEZNS1_34radix_sort_onesweep_global_offsetsIS3_Lb1EPKmPS5_mNS0_19identity_decomposerEEE10hipError_tT1_T2_PT3_SF_jT4_jjP12ihipStream_tbEUlT_E0_NS1_11comp_targetILNS1_3genE10ELNS1_11target_archE1201ELNS1_3gpuE5ELNS1_3repE0EEENS1_52radix_sort_onesweep_histogram_config_static_selectorELNS0_4arch9wavefront6targetE0EEEvSD_.uses_vcc, 0
	.set _ZN7rocprim17ROCPRIM_400000_NS6detail17trampoline_kernelINS0_14default_configENS1_35radix_sort_onesweep_config_selectorImNS0_10empty_typeEEEZNS1_34radix_sort_onesweep_global_offsetsIS3_Lb1EPKmPS5_mNS0_19identity_decomposerEEE10hipError_tT1_T2_PT3_SF_jT4_jjP12ihipStream_tbEUlT_E0_NS1_11comp_targetILNS1_3genE10ELNS1_11target_archE1201ELNS1_3gpuE5ELNS1_3repE0EEENS1_52radix_sort_onesweep_histogram_config_static_selectorELNS0_4arch9wavefront6targetE0EEEvSD_.uses_flat_scratch, 0
	.set _ZN7rocprim17ROCPRIM_400000_NS6detail17trampoline_kernelINS0_14default_configENS1_35radix_sort_onesweep_config_selectorImNS0_10empty_typeEEEZNS1_34radix_sort_onesweep_global_offsetsIS3_Lb1EPKmPS5_mNS0_19identity_decomposerEEE10hipError_tT1_T2_PT3_SF_jT4_jjP12ihipStream_tbEUlT_E0_NS1_11comp_targetILNS1_3genE10ELNS1_11target_archE1201ELNS1_3gpuE5ELNS1_3repE0EEENS1_52radix_sort_onesweep_histogram_config_static_selectorELNS0_4arch9wavefront6targetE0EEEvSD_.has_dyn_sized_stack, 0
	.set _ZN7rocprim17ROCPRIM_400000_NS6detail17trampoline_kernelINS0_14default_configENS1_35radix_sort_onesweep_config_selectorImNS0_10empty_typeEEEZNS1_34radix_sort_onesweep_global_offsetsIS3_Lb1EPKmPS5_mNS0_19identity_decomposerEEE10hipError_tT1_T2_PT3_SF_jT4_jjP12ihipStream_tbEUlT_E0_NS1_11comp_targetILNS1_3genE10ELNS1_11target_archE1201ELNS1_3gpuE5ELNS1_3repE0EEENS1_52radix_sort_onesweep_histogram_config_static_selectorELNS0_4arch9wavefront6targetE0EEEvSD_.has_recursion, 0
	.set _ZN7rocprim17ROCPRIM_400000_NS6detail17trampoline_kernelINS0_14default_configENS1_35radix_sort_onesweep_config_selectorImNS0_10empty_typeEEEZNS1_34radix_sort_onesweep_global_offsetsIS3_Lb1EPKmPS5_mNS0_19identity_decomposerEEE10hipError_tT1_T2_PT3_SF_jT4_jjP12ihipStream_tbEUlT_E0_NS1_11comp_targetILNS1_3genE10ELNS1_11target_archE1201ELNS1_3gpuE5ELNS1_3repE0EEENS1_52radix_sort_onesweep_histogram_config_static_selectorELNS0_4arch9wavefront6targetE0EEEvSD_.has_indirect_call, 0
	.section	.AMDGPU.csdata,"",@progbits
; Kernel info:
; codeLenInByte = 0
; TotalNumSgprs: 0
; NumVgprs: 0
; ScratchSize: 0
; MemoryBound: 0
; FloatMode: 240
; IeeeMode: 1
; LDSByteSize: 0 bytes/workgroup (compile time only)
; SGPRBlocks: 0
; VGPRBlocks: 0
; NumSGPRsForWavesPerEU: 1
; NumVGPRsForWavesPerEU: 1
; NamedBarCnt: 0
; Occupancy: 16
; WaveLimiterHint : 0
; COMPUTE_PGM_RSRC2:SCRATCH_EN: 0
; COMPUTE_PGM_RSRC2:USER_SGPR: 2
; COMPUTE_PGM_RSRC2:TRAP_HANDLER: 0
; COMPUTE_PGM_RSRC2:TGID_X_EN: 1
; COMPUTE_PGM_RSRC2:TGID_Y_EN: 0
; COMPUTE_PGM_RSRC2:TGID_Z_EN: 0
; COMPUTE_PGM_RSRC2:TIDIG_COMP_CNT: 0
	.section	.text._ZN7rocprim17ROCPRIM_400000_NS6detail17trampoline_kernelINS0_14default_configENS1_35radix_sort_onesweep_config_selectorImNS0_10empty_typeEEEZNS1_34radix_sort_onesweep_global_offsetsIS3_Lb1EPKmPS5_mNS0_19identity_decomposerEEE10hipError_tT1_T2_PT3_SF_jT4_jjP12ihipStream_tbEUlT_E0_NS1_11comp_targetILNS1_3genE9ELNS1_11target_archE1100ELNS1_3gpuE3ELNS1_3repE0EEENS1_52radix_sort_onesweep_histogram_config_static_selectorELNS0_4arch9wavefront6targetE0EEEvSD_,"axG",@progbits,_ZN7rocprim17ROCPRIM_400000_NS6detail17trampoline_kernelINS0_14default_configENS1_35radix_sort_onesweep_config_selectorImNS0_10empty_typeEEEZNS1_34radix_sort_onesweep_global_offsetsIS3_Lb1EPKmPS5_mNS0_19identity_decomposerEEE10hipError_tT1_T2_PT3_SF_jT4_jjP12ihipStream_tbEUlT_E0_NS1_11comp_targetILNS1_3genE9ELNS1_11target_archE1100ELNS1_3gpuE3ELNS1_3repE0EEENS1_52radix_sort_onesweep_histogram_config_static_selectorELNS0_4arch9wavefront6targetE0EEEvSD_,comdat
	.protected	_ZN7rocprim17ROCPRIM_400000_NS6detail17trampoline_kernelINS0_14default_configENS1_35radix_sort_onesweep_config_selectorImNS0_10empty_typeEEEZNS1_34radix_sort_onesweep_global_offsetsIS3_Lb1EPKmPS5_mNS0_19identity_decomposerEEE10hipError_tT1_T2_PT3_SF_jT4_jjP12ihipStream_tbEUlT_E0_NS1_11comp_targetILNS1_3genE9ELNS1_11target_archE1100ELNS1_3gpuE3ELNS1_3repE0EEENS1_52radix_sort_onesweep_histogram_config_static_selectorELNS0_4arch9wavefront6targetE0EEEvSD_ ; -- Begin function _ZN7rocprim17ROCPRIM_400000_NS6detail17trampoline_kernelINS0_14default_configENS1_35radix_sort_onesweep_config_selectorImNS0_10empty_typeEEEZNS1_34radix_sort_onesweep_global_offsetsIS3_Lb1EPKmPS5_mNS0_19identity_decomposerEEE10hipError_tT1_T2_PT3_SF_jT4_jjP12ihipStream_tbEUlT_E0_NS1_11comp_targetILNS1_3genE9ELNS1_11target_archE1100ELNS1_3gpuE3ELNS1_3repE0EEENS1_52radix_sort_onesweep_histogram_config_static_selectorELNS0_4arch9wavefront6targetE0EEEvSD_
	.globl	_ZN7rocprim17ROCPRIM_400000_NS6detail17trampoline_kernelINS0_14default_configENS1_35radix_sort_onesweep_config_selectorImNS0_10empty_typeEEEZNS1_34radix_sort_onesweep_global_offsetsIS3_Lb1EPKmPS5_mNS0_19identity_decomposerEEE10hipError_tT1_T2_PT3_SF_jT4_jjP12ihipStream_tbEUlT_E0_NS1_11comp_targetILNS1_3genE9ELNS1_11target_archE1100ELNS1_3gpuE3ELNS1_3repE0EEENS1_52radix_sort_onesweep_histogram_config_static_selectorELNS0_4arch9wavefront6targetE0EEEvSD_
	.p2align	8
	.type	_ZN7rocprim17ROCPRIM_400000_NS6detail17trampoline_kernelINS0_14default_configENS1_35radix_sort_onesweep_config_selectorImNS0_10empty_typeEEEZNS1_34radix_sort_onesweep_global_offsetsIS3_Lb1EPKmPS5_mNS0_19identity_decomposerEEE10hipError_tT1_T2_PT3_SF_jT4_jjP12ihipStream_tbEUlT_E0_NS1_11comp_targetILNS1_3genE9ELNS1_11target_archE1100ELNS1_3gpuE3ELNS1_3repE0EEENS1_52radix_sort_onesweep_histogram_config_static_selectorELNS0_4arch9wavefront6targetE0EEEvSD_,@function
_ZN7rocprim17ROCPRIM_400000_NS6detail17trampoline_kernelINS0_14default_configENS1_35radix_sort_onesweep_config_selectorImNS0_10empty_typeEEEZNS1_34radix_sort_onesweep_global_offsetsIS3_Lb1EPKmPS5_mNS0_19identity_decomposerEEE10hipError_tT1_T2_PT3_SF_jT4_jjP12ihipStream_tbEUlT_E0_NS1_11comp_targetILNS1_3genE9ELNS1_11target_archE1100ELNS1_3gpuE3ELNS1_3repE0EEENS1_52radix_sort_onesweep_histogram_config_static_selectorELNS0_4arch9wavefront6targetE0EEEvSD_: ; @_ZN7rocprim17ROCPRIM_400000_NS6detail17trampoline_kernelINS0_14default_configENS1_35radix_sort_onesweep_config_selectorImNS0_10empty_typeEEEZNS1_34radix_sort_onesweep_global_offsetsIS3_Lb1EPKmPS5_mNS0_19identity_decomposerEEE10hipError_tT1_T2_PT3_SF_jT4_jjP12ihipStream_tbEUlT_E0_NS1_11comp_targetILNS1_3genE9ELNS1_11target_archE1100ELNS1_3gpuE3ELNS1_3repE0EEENS1_52radix_sort_onesweep_histogram_config_static_selectorELNS0_4arch9wavefront6targetE0EEEvSD_
; %bb.0:
	.section	.rodata,"a",@progbits
	.p2align	6, 0x0
	.amdhsa_kernel _ZN7rocprim17ROCPRIM_400000_NS6detail17trampoline_kernelINS0_14default_configENS1_35radix_sort_onesweep_config_selectorImNS0_10empty_typeEEEZNS1_34radix_sort_onesweep_global_offsetsIS3_Lb1EPKmPS5_mNS0_19identity_decomposerEEE10hipError_tT1_T2_PT3_SF_jT4_jjP12ihipStream_tbEUlT_E0_NS1_11comp_targetILNS1_3genE9ELNS1_11target_archE1100ELNS1_3gpuE3ELNS1_3repE0EEENS1_52radix_sort_onesweep_histogram_config_static_selectorELNS0_4arch9wavefront6targetE0EEEvSD_
		.amdhsa_group_segment_fixed_size 0
		.amdhsa_private_segment_fixed_size 0
		.amdhsa_kernarg_size 8
		.amdhsa_user_sgpr_count 2
		.amdhsa_user_sgpr_dispatch_ptr 0
		.amdhsa_user_sgpr_queue_ptr 0
		.amdhsa_user_sgpr_kernarg_segment_ptr 1
		.amdhsa_user_sgpr_dispatch_id 0
		.amdhsa_user_sgpr_kernarg_preload_length 0
		.amdhsa_user_sgpr_kernarg_preload_offset 0
		.amdhsa_user_sgpr_private_segment_size 0
		.amdhsa_wavefront_size32 1
		.amdhsa_uses_dynamic_stack 0
		.amdhsa_enable_private_segment 0
		.amdhsa_system_sgpr_workgroup_id_x 1
		.amdhsa_system_sgpr_workgroup_id_y 0
		.amdhsa_system_sgpr_workgroup_id_z 0
		.amdhsa_system_sgpr_workgroup_info 0
		.amdhsa_system_vgpr_workitem_id 0
		.amdhsa_next_free_vgpr 1
		.amdhsa_next_free_sgpr 1
		.amdhsa_named_barrier_count 0
		.amdhsa_reserve_vcc 0
		.amdhsa_float_round_mode_32 0
		.amdhsa_float_round_mode_16_64 0
		.amdhsa_float_denorm_mode_32 3
		.amdhsa_float_denorm_mode_16_64 3
		.amdhsa_fp16_overflow 0
		.amdhsa_memory_ordered 1
		.amdhsa_forward_progress 1
		.amdhsa_inst_pref_size 0
		.amdhsa_round_robin_scheduling 0
		.amdhsa_exception_fp_ieee_invalid_op 0
		.amdhsa_exception_fp_denorm_src 0
		.amdhsa_exception_fp_ieee_div_zero 0
		.amdhsa_exception_fp_ieee_overflow 0
		.amdhsa_exception_fp_ieee_underflow 0
		.amdhsa_exception_fp_ieee_inexact 0
		.amdhsa_exception_int_div_zero 0
	.end_amdhsa_kernel
	.section	.text._ZN7rocprim17ROCPRIM_400000_NS6detail17trampoline_kernelINS0_14default_configENS1_35radix_sort_onesweep_config_selectorImNS0_10empty_typeEEEZNS1_34radix_sort_onesweep_global_offsetsIS3_Lb1EPKmPS5_mNS0_19identity_decomposerEEE10hipError_tT1_T2_PT3_SF_jT4_jjP12ihipStream_tbEUlT_E0_NS1_11comp_targetILNS1_3genE9ELNS1_11target_archE1100ELNS1_3gpuE3ELNS1_3repE0EEENS1_52radix_sort_onesweep_histogram_config_static_selectorELNS0_4arch9wavefront6targetE0EEEvSD_,"axG",@progbits,_ZN7rocprim17ROCPRIM_400000_NS6detail17trampoline_kernelINS0_14default_configENS1_35radix_sort_onesweep_config_selectorImNS0_10empty_typeEEEZNS1_34radix_sort_onesweep_global_offsetsIS3_Lb1EPKmPS5_mNS0_19identity_decomposerEEE10hipError_tT1_T2_PT3_SF_jT4_jjP12ihipStream_tbEUlT_E0_NS1_11comp_targetILNS1_3genE9ELNS1_11target_archE1100ELNS1_3gpuE3ELNS1_3repE0EEENS1_52radix_sort_onesweep_histogram_config_static_selectorELNS0_4arch9wavefront6targetE0EEEvSD_,comdat
.Lfunc_end2870:
	.size	_ZN7rocprim17ROCPRIM_400000_NS6detail17trampoline_kernelINS0_14default_configENS1_35radix_sort_onesweep_config_selectorImNS0_10empty_typeEEEZNS1_34radix_sort_onesweep_global_offsetsIS3_Lb1EPKmPS5_mNS0_19identity_decomposerEEE10hipError_tT1_T2_PT3_SF_jT4_jjP12ihipStream_tbEUlT_E0_NS1_11comp_targetILNS1_3genE9ELNS1_11target_archE1100ELNS1_3gpuE3ELNS1_3repE0EEENS1_52radix_sort_onesweep_histogram_config_static_selectorELNS0_4arch9wavefront6targetE0EEEvSD_, .Lfunc_end2870-_ZN7rocprim17ROCPRIM_400000_NS6detail17trampoline_kernelINS0_14default_configENS1_35radix_sort_onesweep_config_selectorImNS0_10empty_typeEEEZNS1_34radix_sort_onesweep_global_offsetsIS3_Lb1EPKmPS5_mNS0_19identity_decomposerEEE10hipError_tT1_T2_PT3_SF_jT4_jjP12ihipStream_tbEUlT_E0_NS1_11comp_targetILNS1_3genE9ELNS1_11target_archE1100ELNS1_3gpuE3ELNS1_3repE0EEENS1_52radix_sort_onesweep_histogram_config_static_selectorELNS0_4arch9wavefront6targetE0EEEvSD_
                                        ; -- End function
	.set _ZN7rocprim17ROCPRIM_400000_NS6detail17trampoline_kernelINS0_14default_configENS1_35radix_sort_onesweep_config_selectorImNS0_10empty_typeEEEZNS1_34radix_sort_onesweep_global_offsetsIS3_Lb1EPKmPS5_mNS0_19identity_decomposerEEE10hipError_tT1_T2_PT3_SF_jT4_jjP12ihipStream_tbEUlT_E0_NS1_11comp_targetILNS1_3genE9ELNS1_11target_archE1100ELNS1_3gpuE3ELNS1_3repE0EEENS1_52radix_sort_onesweep_histogram_config_static_selectorELNS0_4arch9wavefront6targetE0EEEvSD_.num_vgpr, 0
	.set _ZN7rocprim17ROCPRIM_400000_NS6detail17trampoline_kernelINS0_14default_configENS1_35radix_sort_onesweep_config_selectorImNS0_10empty_typeEEEZNS1_34radix_sort_onesweep_global_offsetsIS3_Lb1EPKmPS5_mNS0_19identity_decomposerEEE10hipError_tT1_T2_PT3_SF_jT4_jjP12ihipStream_tbEUlT_E0_NS1_11comp_targetILNS1_3genE9ELNS1_11target_archE1100ELNS1_3gpuE3ELNS1_3repE0EEENS1_52radix_sort_onesweep_histogram_config_static_selectorELNS0_4arch9wavefront6targetE0EEEvSD_.num_agpr, 0
	.set _ZN7rocprim17ROCPRIM_400000_NS6detail17trampoline_kernelINS0_14default_configENS1_35radix_sort_onesweep_config_selectorImNS0_10empty_typeEEEZNS1_34radix_sort_onesweep_global_offsetsIS3_Lb1EPKmPS5_mNS0_19identity_decomposerEEE10hipError_tT1_T2_PT3_SF_jT4_jjP12ihipStream_tbEUlT_E0_NS1_11comp_targetILNS1_3genE9ELNS1_11target_archE1100ELNS1_3gpuE3ELNS1_3repE0EEENS1_52radix_sort_onesweep_histogram_config_static_selectorELNS0_4arch9wavefront6targetE0EEEvSD_.numbered_sgpr, 0
	.set _ZN7rocprim17ROCPRIM_400000_NS6detail17trampoline_kernelINS0_14default_configENS1_35radix_sort_onesweep_config_selectorImNS0_10empty_typeEEEZNS1_34radix_sort_onesweep_global_offsetsIS3_Lb1EPKmPS5_mNS0_19identity_decomposerEEE10hipError_tT1_T2_PT3_SF_jT4_jjP12ihipStream_tbEUlT_E0_NS1_11comp_targetILNS1_3genE9ELNS1_11target_archE1100ELNS1_3gpuE3ELNS1_3repE0EEENS1_52radix_sort_onesweep_histogram_config_static_selectorELNS0_4arch9wavefront6targetE0EEEvSD_.num_named_barrier, 0
	.set _ZN7rocprim17ROCPRIM_400000_NS6detail17trampoline_kernelINS0_14default_configENS1_35radix_sort_onesweep_config_selectorImNS0_10empty_typeEEEZNS1_34radix_sort_onesweep_global_offsetsIS3_Lb1EPKmPS5_mNS0_19identity_decomposerEEE10hipError_tT1_T2_PT3_SF_jT4_jjP12ihipStream_tbEUlT_E0_NS1_11comp_targetILNS1_3genE9ELNS1_11target_archE1100ELNS1_3gpuE3ELNS1_3repE0EEENS1_52radix_sort_onesweep_histogram_config_static_selectorELNS0_4arch9wavefront6targetE0EEEvSD_.private_seg_size, 0
	.set _ZN7rocprim17ROCPRIM_400000_NS6detail17trampoline_kernelINS0_14default_configENS1_35radix_sort_onesweep_config_selectorImNS0_10empty_typeEEEZNS1_34radix_sort_onesweep_global_offsetsIS3_Lb1EPKmPS5_mNS0_19identity_decomposerEEE10hipError_tT1_T2_PT3_SF_jT4_jjP12ihipStream_tbEUlT_E0_NS1_11comp_targetILNS1_3genE9ELNS1_11target_archE1100ELNS1_3gpuE3ELNS1_3repE0EEENS1_52radix_sort_onesweep_histogram_config_static_selectorELNS0_4arch9wavefront6targetE0EEEvSD_.uses_vcc, 0
	.set _ZN7rocprim17ROCPRIM_400000_NS6detail17trampoline_kernelINS0_14default_configENS1_35radix_sort_onesweep_config_selectorImNS0_10empty_typeEEEZNS1_34radix_sort_onesweep_global_offsetsIS3_Lb1EPKmPS5_mNS0_19identity_decomposerEEE10hipError_tT1_T2_PT3_SF_jT4_jjP12ihipStream_tbEUlT_E0_NS1_11comp_targetILNS1_3genE9ELNS1_11target_archE1100ELNS1_3gpuE3ELNS1_3repE0EEENS1_52radix_sort_onesweep_histogram_config_static_selectorELNS0_4arch9wavefront6targetE0EEEvSD_.uses_flat_scratch, 0
	.set _ZN7rocprim17ROCPRIM_400000_NS6detail17trampoline_kernelINS0_14default_configENS1_35radix_sort_onesweep_config_selectorImNS0_10empty_typeEEEZNS1_34radix_sort_onesweep_global_offsetsIS3_Lb1EPKmPS5_mNS0_19identity_decomposerEEE10hipError_tT1_T2_PT3_SF_jT4_jjP12ihipStream_tbEUlT_E0_NS1_11comp_targetILNS1_3genE9ELNS1_11target_archE1100ELNS1_3gpuE3ELNS1_3repE0EEENS1_52radix_sort_onesweep_histogram_config_static_selectorELNS0_4arch9wavefront6targetE0EEEvSD_.has_dyn_sized_stack, 0
	.set _ZN7rocprim17ROCPRIM_400000_NS6detail17trampoline_kernelINS0_14default_configENS1_35radix_sort_onesweep_config_selectorImNS0_10empty_typeEEEZNS1_34radix_sort_onesweep_global_offsetsIS3_Lb1EPKmPS5_mNS0_19identity_decomposerEEE10hipError_tT1_T2_PT3_SF_jT4_jjP12ihipStream_tbEUlT_E0_NS1_11comp_targetILNS1_3genE9ELNS1_11target_archE1100ELNS1_3gpuE3ELNS1_3repE0EEENS1_52radix_sort_onesweep_histogram_config_static_selectorELNS0_4arch9wavefront6targetE0EEEvSD_.has_recursion, 0
	.set _ZN7rocprim17ROCPRIM_400000_NS6detail17trampoline_kernelINS0_14default_configENS1_35radix_sort_onesweep_config_selectorImNS0_10empty_typeEEEZNS1_34radix_sort_onesweep_global_offsetsIS3_Lb1EPKmPS5_mNS0_19identity_decomposerEEE10hipError_tT1_T2_PT3_SF_jT4_jjP12ihipStream_tbEUlT_E0_NS1_11comp_targetILNS1_3genE9ELNS1_11target_archE1100ELNS1_3gpuE3ELNS1_3repE0EEENS1_52radix_sort_onesweep_histogram_config_static_selectorELNS0_4arch9wavefront6targetE0EEEvSD_.has_indirect_call, 0
	.section	.AMDGPU.csdata,"",@progbits
; Kernel info:
; codeLenInByte = 0
; TotalNumSgprs: 0
; NumVgprs: 0
; ScratchSize: 0
; MemoryBound: 0
; FloatMode: 240
; IeeeMode: 1
; LDSByteSize: 0 bytes/workgroup (compile time only)
; SGPRBlocks: 0
; VGPRBlocks: 0
; NumSGPRsForWavesPerEU: 1
; NumVGPRsForWavesPerEU: 1
; NamedBarCnt: 0
; Occupancy: 16
; WaveLimiterHint : 0
; COMPUTE_PGM_RSRC2:SCRATCH_EN: 0
; COMPUTE_PGM_RSRC2:USER_SGPR: 2
; COMPUTE_PGM_RSRC2:TRAP_HANDLER: 0
; COMPUTE_PGM_RSRC2:TGID_X_EN: 1
; COMPUTE_PGM_RSRC2:TGID_Y_EN: 0
; COMPUTE_PGM_RSRC2:TGID_Z_EN: 0
; COMPUTE_PGM_RSRC2:TIDIG_COMP_CNT: 0
	.section	.text._ZN7rocprim17ROCPRIM_400000_NS6detail17trampoline_kernelINS0_14default_configENS1_35radix_sort_onesweep_config_selectorImNS0_10empty_typeEEEZNS1_34radix_sort_onesweep_global_offsetsIS3_Lb1EPKmPS5_mNS0_19identity_decomposerEEE10hipError_tT1_T2_PT3_SF_jT4_jjP12ihipStream_tbEUlT_E0_NS1_11comp_targetILNS1_3genE8ELNS1_11target_archE1030ELNS1_3gpuE2ELNS1_3repE0EEENS1_52radix_sort_onesweep_histogram_config_static_selectorELNS0_4arch9wavefront6targetE0EEEvSD_,"axG",@progbits,_ZN7rocprim17ROCPRIM_400000_NS6detail17trampoline_kernelINS0_14default_configENS1_35radix_sort_onesweep_config_selectorImNS0_10empty_typeEEEZNS1_34radix_sort_onesweep_global_offsetsIS3_Lb1EPKmPS5_mNS0_19identity_decomposerEEE10hipError_tT1_T2_PT3_SF_jT4_jjP12ihipStream_tbEUlT_E0_NS1_11comp_targetILNS1_3genE8ELNS1_11target_archE1030ELNS1_3gpuE2ELNS1_3repE0EEENS1_52radix_sort_onesweep_histogram_config_static_selectorELNS0_4arch9wavefront6targetE0EEEvSD_,comdat
	.protected	_ZN7rocprim17ROCPRIM_400000_NS6detail17trampoline_kernelINS0_14default_configENS1_35radix_sort_onesweep_config_selectorImNS0_10empty_typeEEEZNS1_34radix_sort_onesweep_global_offsetsIS3_Lb1EPKmPS5_mNS0_19identity_decomposerEEE10hipError_tT1_T2_PT3_SF_jT4_jjP12ihipStream_tbEUlT_E0_NS1_11comp_targetILNS1_3genE8ELNS1_11target_archE1030ELNS1_3gpuE2ELNS1_3repE0EEENS1_52radix_sort_onesweep_histogram_config_static_selectorELNS0_4arch9wavefront6targetE0EEEvSD_ ; -- Begin function _ZN7rocprim17ROCPRIM_400000_NS6detail17trampoline_kernelINS0_14default_configENS1_35radix_sort_onesweep_config_selectorImNS0_10empty_typeEEEZNS1_34radix_sort_onesweep_global_offsetsIS3_Lb1EPKmPS5_mNS0_19identity_decomposerEEE10hipError_tT1_T2_PT3_SF_jT4_jjP12ihipStream_tbEUlT_E0_NS1_11comp_targetILNS1_3genE8ELNS1_11target_archE1030ELNS1_3gpuE2ELNS1_3repE0EEENS1_52radix_sort_onesweep_histogram_config_static_selectorELNS0_4arch9wavefront6targetE0EEEvSD_
	.globl	_ZN7rocprim17ROCPRIM_400000_NS6detail17trampoline_kernelINS0_14default_configENS1_35radix_sort_onesweep_config_selectorImNS0_10empty_typeEEEZNS1_34radix_sort_onesweep_global_offsetsIS3_Lb1EPKmPS5_mNS0_19identity_decomposerEEE10hipError_tT1_T2_PT3_SF_jT4_jjP12ihipStream_tbEUlT_E0_NS1_11comp_targetILNS1_3genE8ELNS1_11target_archE1030ELNS1_3gpuE2ELNS1_3repE0EEENS1_52radix_sort_onesweep_histogram_config_static_selectorELNS0_4arch9wavefront6targetE0EEEvSD_
	.p2align	8
	.type	_ZN7rocprim17ROCPRIM_400000_NS6detail17trampoline_kernelINS0_14default_configENS1_35radix_sort_onesweep_config_selectorImNS0_10empty_typeEEEZNS1_34radix_sort_onesweep_global_offsetsIS3_Lb1EPKmPS5_mNS0_19identity_decomposerEEE10hipError_tT1_T2_PT3_SF_jT4_jjP12ihipStream_tbEUlT_E0_NS1_11comp_targetILNS1_3genE8ELNS1_11target_archE1030ELNS1_3gpuE2ELNS1_3repE0EEENS1_52radix_sort_onesweep_histogram_config_static_selectorELNS0_4arch9wavefront6targetE0EEEvSD_,@function
_ZN7rocprim17ROCPRIM_400000_NS6detail17trampoline_kernelINS0_14default_configENS1_35radix_sort_onesweep_config_selectorImNS0_10empty_typeEEEZNS1_34radix_sort_onesweep_global_offsetsIS3_Lb1EPKmPS5_mNS0_19identity_decomposerEEE10hipError_tT1_T2_PT3_SF_jT4_jjP12ihipStream_tbEUlT_E0_NS1_11comp_targetILNS1_3genE8ELNS1_11target_archE1030ELNS1_3gpuE2ELNS1_3repE0EEENS1_52radix_sort_onesweep_histogram_config_static_selectorELNS0_4arch9wavefront6targetE0EEEvSD_: ; @_ZN7rocprim17ROCPRIM_400000_NS6detail17trampoline_kernelINS0_14default_configENS1_35radix_sort_onesweep_config_selectorImNS0_10empty_typeEEEZNS1_34radix_sort_onesweep_global_offsetsIS3_Lb1EPKmPS5_mNS0_19identity_decomposerEEE10hipError_tT1_T2_PT3_SF_jT4_jjP12ihipStream_tbEUlT_E0_NS1_11comp_targetILNS1_3genE8ELNS1_11target_archE1030ELNS1_3gpuE2ELNS1_3repE0EEENS1_52radix_sort_onesweep_histogram_config_static_selectorELNS0_4arch9wavefront6targetE0EEEvSD_
; %bb.0:
	.section	.rodata,"a",@progbits
	.p2align	6, 0x0
	.amdhsa_kernel _ZN7rocprim17ROCPRIM_400000_NS6detail17trampoline_kernelINS0_14default_configENS1_35radix_sort_onesweep_config_selectorImNS0_10empty_typeEEEZNS1_34radix_sort_onesweep_global_offsetsIS3_Lb1EPKmPS5_mNS0_19identity_decomposerEEE10hipError_tT1_T2_PT3_SF_jT4_jjP12ihipStream_tbEUlT_E0_NS1_11comp_targetILNS1_3genE8ELNS1_11target_archE1030ELNS1_3gpuE2ELNS1_3repE0EEENS1_52radix_sort_onesweep_histogram_config_static_selectorELNS0_4arch9wavefront6targetE0EEEvSD_
		.amdhsa_group_segment_fixed_size 0
		.amdhsa_private_segment_fixed_size 0
		.amdhsa_kernarg_size 8
		.amdhsa_user_sgpr_count 2
		.amdhsa_user_sgpr_dispatch_ptr 0
		.amdhsa_user_sgpr_queue_ptr 0
		.amdhsa_user_sgpr_kernarg_segment_ptr 1
		.amdhsa_user_sgpr_dispatch_id 0
		.amdhsa_user_sgpr_kernarg_preload_length 0
		.amdhsa_user_sgpr_kernarg_preload_offset 0
		.amdhsa_user_sgpr_private_segment_size 0
		.amdhsa_wavefront_size32 1
		.amdhsa_uses_dynamic_stack 0
		.amdhsa_enable_private_segment 0
		.amdhsa_system_sgpr_workgroup_id_x 1
		.amdhsa_system_sgpr_workgroup_id_y 0
		.amdhsa_system_sgpr_workgroup_id_z 0
		.amdhsa_system_sgpr_workgroup_info 0
		.amdhsa_system_vgpr_workitem_id 0
		.amdhsa_next_free_vgpr 1
		.amdhsa_next_free_sgpr 1
		.amdhsa_named_barrier_count 0
		.amdhsa_reserve_vcc 0
		.amdhsa_float_round_mode_32 0
		.amdhsa_float_round_mode_16_64 0
		.amdhsa_float_denorm_mode_32 3
		.amdhsa_float_denorm_mode_16_64 3
		.amdhsa_fp16_overflow 0
		.amdhsa_memory_ordered 1
		.amdhsa_forward_progress 1
		.amdhsa_inst_pref_size 0
		.amdhsa_round_robin_scheduling 0
		.amdhsa_exception_fp_ieee_invalid_op 0
		.amdhsa_exception_fp_denorm_src 0
		.amdhsa_exception_fp_ieee_div_zero 0
		.amdhsa_exception_fp_ieee_overflow 0
		.amdhsa_exception_fp_ieee_underflow 0
		.amdhsa_exception_fp_ieee_inexact 0
		.amdhsa_exception_int_div_zero 0
	.end_amdhsa_kernel
	.section	.text._ZN7rocprim17ROCPRIM_400000_NS6detail17trampoline_kernelINS0_14default_configENS1_35radix_sort_onesweep_config_selectorImNS0_10empty_typeEEEZNS1_34radix_sort_onesweep_global_offsetsIS3_Lb1EPKmPS5_mNS0_19identity_decomposerEEE10hipError_tT1_T2_PT3_SF_jT4_jjP12ihipStream_tbEUlT_E0_NS1_11comp_targetILNS1_3genE8ELNS1_11target_archE1030ELNS1_3gpuE2ELNS1_3repE0EEENS1_52radix_sort_onesweep_histogram_config_static_selectorELNS0_4arch9wavefront6targetE0EEEvSD_,"axG",@progbits,_ZN7rocprim17ROCPRIM_400000_NS6detail17trampoline_kernelINS0_14default_configENS1_35radix_sort_onesweep_config_selectorImNS0_10empty_typeEEEZNS1_34radix_sort_onesweep_global_offsetsIS3_Lb1EPKmPS5_mNS0_19identity_decomposerEEE10hipError_tT1_T2_PT3_SF_jT4_jjP12ihipStream_tbEUlT_E0_NS1_11comp_targetILNS1_3genE8ELNS1_11target_archE1030ELNS1_3gpuE2ELNS1_3repE0EEENS1_52radix_sort_onesweep_histogram_config_static_selectorELNS0_4arch9wavefront6targetE0EEEvSD_,comdat
.Lfunc_end2871:
	.size	_ZN7rocprim17ROCPRIM_400000_NS6detail17trampoline_kernelINS0_14default_configENS1_35radix_sort_onesweep_config_selectorImNS0_10empty_typeEEEZNS1_34radix_sort_onesweep_global_offsetsIS3_Lb1EPKmPS5_mNS0_19identity_decomposerEEE10hipError_tT1_T2_PT3_SF_jT4_jjP12ihipStream_tbEUlT_E0_NS1_11comp_targetILNS1_3genE8ELNS1_11target_archE1030ELNS1_3gpuE2ELNS1_3repE0EEENS1_52radix_sort_onesweep_histogram_config_static_selectorELNS0_4arch9wavefront6targetE0EEEvSD_, .Lfunc_end2871-_ZN7rocprim17ROCPRIM_400000_NS6detail17trampoline_kernelINS0_14default_configENS1_35radix_sort_onesweep_config_selectorImNS0_10empty_typeEEEZNS1_34radix_sort_onesweep_global_offsetsIS3_Lb1EPKmPS5_mNS0_19identity_decomposerEEE10hipError_tT1_T2_PT3_SF_jT4_jjP12ihipStream_tbEUlT_E0_NS1_11comp_targetILNS1_3genE8ELNS1_11target_archE1030ELNS1_3gpuE2ELNS1_3repE0EEENS1_52radix_sort_onesweep_histogram_config_static_selectorELNS0_4arch9wavefront6targetE0EEEvSD_
                                        ; -- End function
	.set _ZN7rocprim17ROCPRIM_400000_NS6detail17trampoline_kernelINS0_14default_configENS1_35radix_sort_onesweep_config_selectorImNS0_10empty_typeEEEZNS1_34radix_sort_onesweep_global_offsetsIS3_Lb1EPKmPS5_mNS0_19identity_decomposerEEE10hipError_tT1_T2_PT3_SF_jT4_jjP12ihipStream_tbEUlT_E0_NS1_11comp_targetILNS1_3genE8ELNS1_11target_archE1030ELNS1_3gpuE2ELNS1_3repE0EEENS1_52radix_sort_onesweep_histogram_config_static_selectorELNS0_4arch9wavefront6targetE0EEEvSD_.num_vgpr, 0
	.set _ZN7rocprim17ROCPRIM_400000_NS6detail17trampoline_kernelINS0_14default_configENS1_35radix_sort_onesweep_config_selectorImNS0_10empty_typeEEEZNS1_34radix_sort_onesweep_global_offsetsIS3_Lb1EPKmPS5_mNS0_19identity_decomposerEEE10hipError_tT1_T2_PT3_SF_jT4_jjP12ihipStream_tbEUlT_E0_NS1_11comp_targetILNS1_3genE8ELNS1_11target_archE1030ELNS1_3gpuE2ELNS1_3repE0EEENS1_52radix_sort_onesweep_histogram_config_static_selectorELNS0_4arch9wavefront6targetE0EEEvSD_.num_agpr, 0
	.set _ZN7rocprim17ROCPRIM_400000_NS6detail17trampoline_kernelINS0_14default_configENS1_35radix_sort_onesweep_config_selectorImNS0_10empty_typeEEEZNS1_34radix_sort_onesweep_global_offsetsIS3_Lb1EPKmPS5_mNS0_19identity_decomposerEEE10hipError_tT1_T2_PT3_SF_jT4_jjP12ihipStream_tbEUlT_E0_NS1_11comp_targetILNS1_3genE8ELNS1_11target_archE1030ELNS1_3gpuE2ELNS1_3repE0EEENS1_52radix_sort_onesweep_histogram_config_static_selectorELNS0_4arch9wavefront6targetE0EEEvSD_.numbered_sgpr, 0
	.set _ZN7rocprim17ROCPRIM_400000_NS6detail17trampoline_kernelINS0_14default_configENS1_35radix_sort_onesweep_config_selectorImNS0_10empty_typeEEEZNS1_34radix_sort_onesweep_global_offsetsIS3_Lb1EPKmPS5_mNS0_19identity_decomposerEEE10hipError_tT1_T2_PT3_SF_jT4_jjP12ihipStream_tbEUlT_E0_NS1_11comp_targetILNS1_3genE8ELNS1_11target_archE1030ELNS1_3gpuE2ELNS1_3repE0EEENS1_52radix_sort_onesweep_histogram_config_static_selectorELNS0_4arch9wavefront6targetE0EEEvSD_.num_named_barrier, 0
	.set _ZN7rocprim17ROCPRIM_400000_NS6detail17trampoline_kernelINS0_14default_configENS1_35radix_sort_onesweep_config_selectorImNS0_10empty_typeEEEZNS1_34radix_sort_onesweep_global_offsetsIS3_Lb1EPKmPS5_mNS0_19identity_decomposerEEE10hipError_tT1_T2_PT3_SF_jT4_jjP12ihipStream_tbEUlT_E0_NS1_11comp_targetILNS1_3genE8ELNS1_11target_archE1030ELNS1_3gpuE2ELNS1_3repE0EEENS1_52radix_sort_onesweep_histogram_config_static_selectorELNS0_4arch9wavefront6targetE0EEEvSD_.private_seg_size, 0
	.set _ZN7rocprim17ROCPRIM_400000_NS6detail17trampoline_kernelINS0_14default_configENS1_35radix_sort_onesweep_config_selectorImNS0_10empty_typeEEEZNS1_34radix_sort_onesweep_global_offsetsIS3_Lb1EPKmPS5_mNS0_19identity_decomposerEEE10hipError_tT1_T2_PT3_SF_jT4_jjP12ihipStream_tbEUlT_E0_NS1_11comp_targetILNS1_3genE8ELNS1_11target_archE1030ELNS1_3gpuE2ELNS1_3repE0EEENS1_52radix_sort_onesweep_histogram_config_static_selectorELNS0_4arch9wavefront6targetE0EEEvSD_.uses_vcc, 0
	.set _ZN7rocprim17ROCPRIM_400000_NS6detail17trampoline_kernelINS0_14default_configENS1_35radix_sort_onesweep_config_selectorImNS0_10empty_typeEEEZNS1_34radix_sort_onesweep_global_offsetsIS3_Lb1EPKmPS5_mNS0_19identity_decomposerEEE10hipError_tT1_T2_PT3_SF_jT4_jjP12ihipStream_tbEUlT_E0_NS1_11comp_targetILNS1_3genE8ELNS1_11target_archE1030ELNS1_3gpuE2ELNS1_3repE0EEENS1_52radix_sort_onesweep_histogram_config_static_selectorELNS0_4arch9wavefront6targetE0EEEvSD_.uses_flat_scratch, 0
	.set _ZN7rocprim17ROCPRIM_400000_NS6detail17trampoline_kernelINS0_14default_configENS1_35radix_sort_onesweep_config_selectorImNS0_10empty_typeEEEZNS1_34radix_sort_onesweep_global_offsetsIS3_Lb1EPKmPS5_mNS0_19identity_decomposerEEE10hipError_tT1_T2_PT3_SF_jT4_jjP12ihipStream_tbEUlT_E0_NS1_11comp_targetILNS1_3genE8ELNS1_11target_archE1030ELNS1_3gpuE2ELNS1_3repE0EEENS1_52radix_sort_onesweep_histogram_config_static_selectorELNS0_4arch9wavefront6targetE0EEEvSD_.has_dyn_sized_stack, 0
	.set _ZN7rocprim17ROCPRIM_400000_NS6detail17trampoline_kernelINS0_14default_configENS1_35radix_sort_onesweep_config_selectorImNS0_10empty_typeEEEZNS1_34radix_sort_onesweep_global_offsetsIS3_Lb1EPKmPS5_mNS0_19identity_decomposerEEE10hipError_tT1_T2_PT3_SF_jT4_jjP12ihipStream_tbEUlT_E0_NS1_11comp_targetILNS1_3genE8ELNS1_11target_archE1030ELNS1_3gpuE2ELNS1_3repE0EEENS1_52radix_sort_onesweep_histogram_config_static_selectorELNS0_4arch9wavefront6targetE0EEEvSD_.has_recursion, 0
	.set _ZN7rocprim17ROCPRIM_400000_NS6detail17trampoline_kernelINS0_14default_configENS1_35radix_sort_onesweep_config_selectorImNS0_10empty_typeEEEZNS1_34radix_sort_onesweep_global_offsetsIS3_Lb1EPKmPS5_mNS0_19identity_decomposerEEE10hipError_tT1_T2_PT3_SF_jT4_jjP12ihipStream_tbEUlT_E0_NS1_11comp_targetILNS1_3genE8ELNS1_11target_archE1030ELNS1_3gpuE2ELNS1_3repE0EEENS1_52radix_sort_onesweep_histogram_config_static_selectorELNS0_4arch9wavefront6targetE0EEEvSD_.has_indirect_call, 0
	.section	.AMDGPU.csdata,"",@progbits
; Kernel info:
; codeLenInByte = 0
; TotalNumSgprs: 0
; NumVgprs: 0
; ScratchSize: 0
; MemoryBound: 0
; FloatMode: 240
; IeeeMode: 1
; LDSByteSize: 0 bytes/workgroup (compile time only)
; SGPRBlocks: 0
; VGPRBlocks: 0
; NumSGPRsForWavesPerEU: 1
; NumVGPRsForWavesPerEU: 1
; NamedBarCnt: 0
; Occupancy: 16
; WaveLimiterHint : 0
; COMPUTE_PGM_RSRC2:SCRATCH_EN: 0
; COMPUTE_PGM_RSRC2:USER_SGPR: 2
; COMPUTE_PGM_RSRC2:TRAP_HANDLER: 0
; COMPUTE_PGM_RSRC2:TGID_X_EN: 1
; COMPUTE_PGM_RSRC2:TGID_Y_EN: 0
; COMPUTE_PGM_RSRC2:TGID_Z_EN: 0
; COMPUTE_PGM_RSRC2:TIDIG_COMP_CNT: 0
	.section	.text._ZN7rocprim17ROCPRIM_400000_NS6detail17trampoline_kernelINS0_14default_configENS1_25transform_config_selectorImLb1EEEZNS1_14transform_implILb1ES3_S5_PKmPmNS0_8identityImEEEE10hipError_tT2_T3_mT4_P12ihipStream_tbEUlT_E_NS1_11comp_targetILNS1_3genE0ELNS1_11target_archE4294967295ELNS1_3gpuE0ELNS1_3repE0EEENS1_30default_config_static_selectorELNS0_4arch9wavefront6targetE0EEEvT1_,"axG",@progbits,_ZN7rocprim17ROCPRIM_400000_NS6detail17trampoline_kernelINS0_14default_configENS1_25transform_config_selectorImLb1EEEZNS1_14transform_implILb1ES3_S5_PKmPmNS0_8identityImEEEE10hipError_tT2_T3_mT4_P12ihipStream_tbEUlT_E_NS1_11comp_targetILNS1_3genE0ELNS1_11target_archE4294967295ELNS1_3gpuE0ELNS1_3repE0EEENS1_30default_config_static_selectorELNS0_4arch9wavefront6targetE0EEEvT1_,comdat
	.protected	_ZN7rocprim17ROCPRIM_400000_NS6detail17trampoline_kernelINS0_14default_configENS1_25transform_config_selectorImLb1EEEZNS1_14transform_implILb1ES3_S5_PKmPmNS0_8identityImEEEE10hipError_tT2_T3_mT4_P12ihipStream_tbEUlT_E_NS1_11comp_targetILNS1_3genE0ELNS1_11target_archE4294967295ELNS1_3gpuE0ELNS1_3repE0EEENS1_30default_config_static_selectorELNS0_4arch9wavefront6targetE0EEEvT1_ ; -- Begin function _ZN7rocprim17ROCPRIM_400000_NS6detail17trampoline_kernelINS0_14default_configENS1_25transform_config_selectorImLb1EEEZNS1_14transform_implILb1ES3_S5_PKmPmNS0_8identityImEEEE10hipError_tT2_T3_mT4_P12ihipStream_tbEUlT_E_NS1_11comp_targetILNS1_3genE0ELNS1_11target_archE4294967295ELNS1_3gpuE0ELNS1_3repE0EEENS1_30default_config_static_selectorELNS0_4arch9wavefront6targetE0EEEvT1_
	.globl	_ZN7rocprim17ROCPRIM_400000_NS6detail17trampoline_kernelINS0_14default_configENS1_25transform_config_selectorImLb1EEEZNS1_14transform_implILb1ES3_S5_PKmPmNS0_8identityImEEEE10hipError_tT2_T3_mT4_P12ihipStream_tbEUlT_E_NS1_11comp_targetILNS1_3genE0ELNS1_11target_archE4294967295ELNS1_3gpuE0ELNS1_3repE0EEENS1_30default_config_static_selectorELNS0_4arch9wavefront6targetE0EEEvT1_
	.p2align	8
	.type	_ZN7rocprim17ROCPRIM_400000_NS6detail17trampoline_kernelINS0_14default_configENS1_25transform_config_selectorImLb1EEEZNS1_14transform_implILb1ES3_S5_PKmPmNS0_8identityImEEEE10hipError_tT2_T3_mT4_P12ihipStream_tbEUlT_E_NS1_11comp_targetILNS1_3genE0ELNS1_11target_archE4294967295ELNS1_3gpuE0ELNS1_3repE0EEENS1_30default_config_static_selectorELNS0_4arch9wavefront6targetE0EEEvT1_,@function
_ZN7rocprim17ROCPRIM_400000_NS6detail17trampoline_kernelINS0_14default_configENS1_25transform_config_selectorImLb1EEEZNS1_14transform_implILb1ES3_S5_PKmPmNS0_8identityImEEEE10hipError_tT2_T3_mT4_P12ihipStream_tbEUlT_E_NS1_11comp_targetILNS1_3genE0ELNS1_11target_archE4294967295ELNS1_3gpuE0ELNS1_3repE0EEENS1_30default_config_static_selectorELNS0_4arch9wavefront6targetE0EEEvT1_: ; @_ZN7rocprim17ROCPRIM_400000_NS6detail17trampoline_kernelINS0_14default_configENS1_25transform_config_selectorImLb1EEEZNS1_14transform_implILb1ES3_S5_PKmPmNS0_8identityImEEEE10hipError_tT2_T3_mT4_P12ihipStream_tbEUlT_E_NS1_11comp_targetILNS1_3genE0ELNS1_11target_archE4294967295ELNS1_3gpuE0ELNS1_3repE0EEENS1_30default_config_static_selectorELNS0_4arch9wavefront6targetE0EEEvT1_
; %bb.0:
	s_clause 0x1
	s_load_b32 s2, s[0:1], 0x28
	s_load_b32 s3, s[0:1], 0x10
	s_bfe_u32 s4, ttmp6, 0x4000c
	s_and_b32 s5, ttmp6, 15
	s_add_co_i32 s4, s4, 1
	s_getreg_b32 s6, hwreg(HW_REG_IB_STS2, 6, 4)
	s_mul_i32 s4, ttmp9, s4
	s_delay_alu instid0(SALU_CYCLE_1)
	s_add_co_i32 s5, s5, s4
	s_cmp_eq_u32 s6, 0
	s_cselect_b32 s4, ttmp9, s5
	s_wait_kmcnt 0x0
	s_add_co_i32 s5, s2, -1
	s_lshl_b32 s2, s4, 7
	s_cmp_lg_u32 s4, s5
	s_cselect_b32 s4, -1, 0
	s_sub_co_i32 s3, s3, s2
	s_delay_alu instid0(SALU_CYCLE_1) | instskip(SKIP_2) | instid1(SALU_CYCLE_1)
	v_cmp_gt_u32_e32 vcc_lo, s3, v0
	s_mov_b32 s3, 0
	s_or_b32 s4, vcc_lo, s4
	s_and_saveexec_b32 s5, s4
	s_cbranch_execz .LBB2872_2
; %bb.1:
	s_clause 0x1
	s_load_b128 s[4:7], s[0:1], 0x0
	s_load_b64 s[8:9], s[0:1], 0x18
	s_lshl_b64 s[2:3], s[2:3], 3
	s_wait_kmcnt 0x0
	s_lshl_b64 s[0:1], s[6:7], 3
	s_delay_alu instid0(SALU_CYCLE_1)
	s_add_nc_u64 s[4:5], s[4:5], s[0:1]
	s_add_nc_u64 s[0:1], s[8:9], s[0:1]
	;; [unrolled: 1-line block ×4, first 2 shown]
	global_load_b64 v[2:3], v0, s[4:5] scale_offset
	s_wait_loadcnt 0x0
	global_store_b64 v0, v[2:3], s[0:1] scale_offset
.LBB2872_2:
	s_endpgm
	.section	.rodata,"a",@progbits
	.p2align	6, 0x0
	.amdhsa_kernel _ZN7rocprim17ROCPRIM_400000_NS6detail17trampoline_kernelINS0_14default_configENS1_25transform_config_selectorImLb1EEEZNS1_14transform_implILb1ES3_S5_PKmPmNS0_8identityImEEEE10hipError_tT2_T3_mT4_P12ihipStream_tbEUlT_E_NS1_11comp_targetILNS1_3genE0ELNS1_11target_archE4294967295ELNS1_3gpuE0ELNS1_3repE0EEENS1_30default_config_static_selectorELNS0_4arch9wavefront6targetE0EEEvT1_
		.amdhsa_group_segment_fixed_size 0
		.amdhsa_private_segment_fixed_size 0
		.amdhsa_kernarg_size 296
		.amdhsa_user_sgpr_count 2
		.amdhsa_user_sgpr_dispatch_ptr 0
		.amdhsa_user_sgpr_queue_ptr 0
		.amdhsa_user_sgpr_kernarg_segment_ptr 1
		.amdhsa_user_sgpr_dispatch_id 0
		.amdhsa_user_sgpr_kernarg_preload_length 0
		.amdhsa_user_sgpr_kernarg_preload_offset 0
		.amdhsa_user_sgpr_private_segment_size 0
		.amdhsa_wavefront_size32 1
		.amdhsa_uses_dynamic_stack 0
		.amdhsa_enable_private_segment 0
		.amdhsa_system_sgpr_workgroup_id_x 1
		.amdhsa_system_sgpr_workgroup_id_y 0
		.amdhsa_system_sgpr_workgroup_id_z 0
		.amdhsa_system_sgpr_workgroup_info 0
		.amdhsa_system_vgpr_workitem_id 0
		.amdhsa_next_free_vgpr 4
		.amdhsa_next_free_sgpr 10
		.amdhsa_named_barrier_count 0
		.amdhsa_reserve_vcc 1
		.amdhsa_float_round_mode_32 0
		.amdhsa_float_round_mode_16_64 0
		.amdhsa_float_denorm_mode_32 3
		.amdhsa_float_denorm_mode_16_64 3
		.amdhsa_fp16_overflow 0
		.amdhsa_memory_ordered 1
		.amdhsa_forward_progress 1
		.amdhsa_inst_pref_size 2
		.amdhsa_round_robin_scheduling 0
		.amdhsa_exception_fp_ieee_invalid_op 0
		.amdhsa_exception_fp_denorm_src 0
		.amdhsa_exception_fp_ieee_div_zero 0
		.amdhsa_exception_fp_ieee_overflow 0
		.amdhsa_exception_fp_ieee_underflow 0
		.amdhsa_exception_fp_ieee_inexact 0
		.amdhsa_exception_int_div_zero 0
	.end_amdhsa_kernel
	.section	.text._ZN7rocprim17ROCPRIM_400000_NS6detail17trampoline_kernelINS0_14default_configENS1_25transform_config_selectorImLb1EEEZNS1_14transform_implILb1ES3_S5_PKmPmNS0_8identityImEEEE10hipError_tT2_T3_mT4_P12ihipStream_tbEUlT_E_NS1_11comp_targetILNS1_3genE0ELNS1_11target_archE4294967295ELNS1_3gpuE0ELNS1_3repE0EEENS1_30default_config_static_selectorELNS0_4arch9wavefront6targetE0EEEvT1_,"axG",@progbits,_ZN7rocprim17ROCPRIM_400000_NS6detail17trampoline_kernelINS0_14default_configENS1_25transform_config_selectorImLb1EEEZNS1_14transform_implILb1ES3_S5_PKmPmNS0_8identityImEEEE10hipError_tT2_T3_mT4_P12ihipStream_tbEUlT_E_NS1_11comp_targetILNS1_3genE0ELNS1_11target_archE4294967295ELNS1_3gpuE0ELNS1_3repE0EEENS1_30default_config_static_selectorELNS0_4arch9wavefront6targetE0EEEvT1_,comdat
.Lfunc_end2872:
	.size	_ZN7rocprim17ROCPRIM_400000_NS6detail17trampoline_kernelINS0_14default_configENS1_25transform_config_selectorImLb1EEEZNS1_14transform_implILb1ES3_S5_PKmPmNS0_8identityImEEEE10hipError_tT2_T3_mT4_P12ihipStream_tbEUlT_E_NS1_11comp_targetILNS1_3genE0ELNS1_11target_archE4294967295ELNS1_3gpuE0ELNS1_3repE0EEENS1_30default_config_static_selectorELNS0_4arch9wavefront6targetE0EEEvT1_, .Lfunc_end2872-_ZN7rocprim17ROCPRIM_400000_NS6detail17trampoline_kernelINS0_14default_configENS1_25transform_config_selectorImLb1EEEZNS1_14transform_implILb1ES3_S5_PKmPmNS0_8identityImEEEE10hipError_tT2_T3_mT4_P12ihipStream_tbEUlT_E_NS1_11comp_targetILNS1_3genE0ELNS1_11target_archE4294967295ELNS1_3gpuE0ELNS1_3repE0EEENS1_30default_config_static_selectorELNS0_4arch9wavefront6targetE0EEEvT1_
                                        ; -- End function
	.set _ZN7rocprim17ROCPRIM_400000_NS6detail17trampoline_kernelINS0_14default_configENS1_25transform_config_selectorImLb1EEEZNS1_14transform_implILb1ES3_S5_PKmPmNS0_8identityImEEEE10hipError_tT2_T3_mT4_P12ihipStream_tbEUlT_E_NS1_11comp_targetILNS1_3genE0ELNS1_11target_archE4294967295ELNS1_3gpuE0ELNS1_3repE0EEENS1_30default_config_static_selectorELNS0_4arch9wavefront6targetE0EEEvT1_.num_vgpr, 4
	.set _ZN7rocprim17ROCPRIM_400000_NS6detail17trampoline_kernelINS0_14default_configENS1_25transform_config_selectorImLb1EEEZNS1_14transform_implILb1ES3_S5_PKmPmNS0_8identityImEEEE10hipError_tT2_T3_mT4_P12ihipStream_tbEUlT_E_NS1_11comp_targetILNS1_3genE0ELNS1_11target_archE4294967295ELNS1_3gpuE0ELNS1_3repE0EEENS1_30default_config_static_selectorELNS0_4arch9wavefront6targetE0EEEvT1_.num_agpr, 0
	.set _ZN7rocprim17ROCPRIM_400000_NS6detail17trampoline_kernelINS0_14default_configENS1_25transform_config_selectorImLb1EEEZNS1_14transform_implILb1ES3_S5_PKmPmNS0_8identityImEEEE10hipError_tT2_T3_mT4_P12ihipStream_tbEUlT_E_NS1_11comp_targetILNS1_3genE0ELNS1_11target_archE4294967295ELNS1_3gpuE0ELNS1_3repE0EEENS1_30default_config_static_selectorELNS0_4arch9wavefront6targetE0EEEvT1_.numbered_sgpr, 10
	.set _ZN7rocprim17ROCPRIM_400000_NS6detail17trampoline_kernelINS0_14default_configENS1_25transform_config_selectorImLb1EEEZNS1_14transform_implILb1ES3_S5_PKmPmNS0_8identityImEEEE10hipError_tT2_T3_mT4_P12ihipStream_tbEUlT_E_NS1_11comp_targetILNS1_3genE0ELNS1_11target_archE4294967295ELNS1_3gpuE0ELNS1_3repE0EEENS1_30default_config_static_selectorELNS0_4arch9wavefront6targetE0EEEvT1_.num_named_barrier, 0
	.set _ZN7rocprim17ROCPRIM_400000_NS6detail17trampoline_kernelINS0_14default_configENS1_25transform_config_selectorImLb1EEEZNS1_14transform_implILb1ES3_S5_PKmPmNS0_8identityImEEEE10hipError_tT2_T3_mT4_P12ihipStream_tbEUlT_E_NS1_11comp_targetILNS1_3genE0ELNS1_11target_archE4294967295ELNS1_3gpuE0ELNS1_3repE0EEENS1_30default_config_static_selectorELNS0_4arch9wavefront6targetE0EEEvT1_.private_seg_size, 0
	.set _ZN7rocprim17ROCPRIM_400000_NS6detail17trampoline_kernelINS0_14default_configENS1_25transform_config_selectorImLb1EEEZNS1_14transform_implILb1ES3_S5_PKmPmNS0_8identityImEEEE10hipError_tT2_T3_mT4_P12ihipStream_tbEUlT_E_NS1_11comp_targetILNS1_3genE0ELNS1_11target_archE4294967295ELNS1_3gpuE0ELNS1_3repE0EEENS1_30default_config_static_selectorELNS0_4arch9wavefront6targetE0EEEvT1_.uses_vcc, 1
	.set _ZN7rocprim17ROCPRIM_400000_NS6detail17trampoline_kernelINS0_14default_configENS1_25transform_config_selectorImLb1EEEZNS1_14transform_implILb1ES3_S5_PKmPmNS0_8identityImEEEE10hipError_tT2_T3_mT4_P12ihipStream_tbEUlT_E_NS1_11comp_targetILNS1_3genE0ELNS1_11target_archE4294967295ELNS1_3gpuE0ELNS1_3repE0EEENS1_30default_config_static_selectorELNS0_4arch9wavefront6targetE0EEEvT1_.uses_flat_scratch, 0
	.set _ZN7rocprim17ROCPRIM_400000_NS6detail17trampoline_kernelINS0_14default_configENS1_25transform_config_selectorImLb1EEEZNS1_14transform_implILb1ES3_S5_PKmPmNS0_8identityImEEEE10hipError_tT2_T3_mT4_P12ihipStream_tbEUlT_E_NS1_11comp_targetILNS1_3genE0ELNS1_11target_archE4294967295ELNS1_3gpuE0ELNS1_3repE0EEENS1_30default_config_static_selectorELNS0_4arch9wavefront6targetE0EEEvT1_.has_dyn_sized_stack, 0
	.set _ZN7rocprim17ROCPRIM_400000_NS6detail17trampoline_kernelINS0_14default_configENS1_25transform_config_selectorImLb1EEEZNS1_14transform_implILb1ES3_S5_PKmPmNS0_8identityImEEEE10hipError_tT2_T3_mT4_P12ihipStream_tbEUlT_E_NS1_11comp_targetILNS1_3genE0ELNS1_11target_archE4294967295ELNS1_3gpuE0ELNS1_3repE0EEENS1_30default_config_static_selectorELNS0_4arch9wavefront6targetE0EEEvT1_.has_recursion, 0
	.set _ZN7rocprim17ROCPRIM_400000_NS6detail17trampoline_kernelINS0_14default_configENS1_25transform_config_selectorImLb1EEEZNS1_14transform_implILb1ES3_S5_PKmPmNS0_8identityImEEEE10hipError_tT2_T3_mT4_P12ihipStream_tbEUlT_E_NS1_11comp_targetILNS1_3genE0ELNS1_11target_archE4294967295ELNS1_3gpuE0ELNS1_3repE0EEENS1_30default_config_static_selectorELNS0_4arch9wavefront6targetE0EEEvT1_.has_indirect_call, 0
	.section	.AMDGPU.csdata,"",@progbits
; Kernel info:
; codeLenInByte = 192
; TotalNumSgprs: 12
; NumVgprs: 4
; ScratchSize: 0
; MemoryBound: 0
; FloatMode: 240
; IeeeMode: 1
; LDSByteSize: 0 bytes/workgroup (compile time only)
; SGPRBlocks: 0
; VGPRBlocks: 0
; NumSGPRsForWavesPerEU: 12
; NumVGPRsForWavesPerEU: 4
; NamedBarCnt: 0
; Occupancy: 16
; WaveLimiterHint : 0
; COMPUTE_PGM_RSRC2:SCRATCH_EN: 0
; COMPUTE_PGM_RSRC2:USER_SGPR: 2
; COMPUTE_PGM_RSRC2:TRAP_HANDLER: 0
; COMPUTE_PGM_RSRC2:TGID_X_EN: 1
; COMPUTE_PGM_RSRC2:TGID_Y_EN: 0
; COMPUTE_PGM_RSRC2:TGID_Z_EN: 0
; COMPUTE_PGM_RSRC2:TIDIG_COMP_CNT: 0
	.section	.text._ZN7rocprim17ROCPRIM_400000_NS6detail17trampoline_kernelINS0_14default_configENS1_25transform_config_selectorImLb1EEEZNS1_14transform_implILb1ES3_S5_PKmPmNS0_8identityImEEEE10hipError_tT2_T3_mT4_P12ihipStream_tbEUlT_E_NS1_11comp_targetILNS1_3genE10ELNS1_11target_archE1201ELNS1_3gpuE5ELNS1_3repE0EEENS1_30default_config_static_selectorELNS0_4arch9wavefront6targetE0EEEvT1_,"axG",@progbits,_ZN7rocprim17ROCPRIM_400000_NS6detail17trampoline_kernelINS0_14default_configENS1_25transform_config_selectorImLb1EEEZNS1_14transform_implILb1ES3_S5_PKmPmNS0_8identityImEEEE10hipError_tT2_T3_mT4_P12ihipStream_tbEUlT_E_NS1_11comp_targetILNS1_3genE10ELNS1_11target_archE1201ELNS1_3gpuE5ELNS1_3repE0EEENS1_30default_config_static_selectorELNS0_4arch9wavefront6targetE0EEEvT1_,comdat
	.protected	_ZN7rocprim17ROCPRIM_400000_NS6detail17trampoline_kernelINS0_14default_configENS1_25transform_config_selectorImLb1EEEZNS1_14transform_implILb1ES3_S5_PKmPmNS0_8identityImEEEE10hipError_tT2_T3_mT4_P12ihipStream_tbEUlT_E_NS1_11comp_targetILNS1_3genE10ELNS1_11target_archE1201ELNS1_3gpuE5ELNS1_3repE0EEENS1_30default_config_static_selectorELNS0_4arch9wavefront6targetE0EEEvT1_ ; -- Begin function _ZN7rocprim17ROCPRIM_400000_NS6detail17trampoline_kernelINS0_14default_configENS1_25transform_config_selectorImLb1EEEZNS1_14transform_implILb1ES3_S5_PKmPmNS0_8identityImEEEE10hipError_tT2_T3_mT4_P12ihipStream_tbEUlT_E_NS1_11comp_targetILNS1_3genE10ELNS1_11target_archE1201ELNS1_3gpuE5ELNS1_3repE0EEENS1_30default_config_static_selectorELNS0_4arch9wavefront6targetE0EEEvT1_
	.globl	_ZN7rocprim17ROCPRIM_400000_NS6detail17trampoline_kernelINS0_14default_configENS1_25transform_config_selectorImLb1EEEZNS1_14transform_implILb1ES3_S5_PKmPmNS0_8identityImEEEE10hipError_tT2_T3_mT4_P12ihipStream_tbEUlT_E_NS1_11comp_targetILNS1_3genE10ELNS1_11target_archE1201ELNS1_3gpuE5ELNS1_3repE0EEENS1_30default_config_static_selectorELNS0_4arch9wavefront6targetE0EEEvT1_
	.p2align	8
	.type	_ZN7rocprim17ROCPRIM_400000_NS6detail17trampoline_kernelINS0_14default_configENS1_25transform_config_selectorImLb1EEEZNS1_14transform_implILb1ES3_S5_PKmPmNS0_8identityImEEEE10hipError_tT2_T3_mT4_P12ihipStream_tbEUlT_E_NS1_11comp_targetILNS1_3genE10ELNS1_11target_archE1201ELNS1_3gpuE5ELNS1_3repE0EEENS1_30default_config_static_selectorELNS0_4arch9wavefront6targetE0EEEvT1_,@function
_ZN7rocprim17ROCPRIM_400000_NS6detail17trampoline_kernelINS0_14default_configENS1_25transform_config_selectorImLb1EEEZNS1_14transform_implILb1ES3_S5_PKmPmNS0_8identityImEEEE10hipError_tT2_T3_mT4_P12ihipStream_tbEUlT_E_NS1_11comp_targetILNS1_3genE10ELNS1_11target_archE1201ELNS1_3gpuE5ELNS1_3repE0EEENS1_30default_config_static_selectorELNS0_4arch9wavefront6targetE0EEEvT1_: ; @_ZN7rocprim17ROCPRIM_400000_NS6detail17trampoline_kernelINS0_14default_configENS1_25transform_config_selectorImLb1EEEZNS1_14transform_implILb1ES3_S5_PKmPmNS0_8identityImEEEE10hipError_tT2_T3_mT4_P12ihipStream_tbEUlT_E_NS1_11comp_targetILNS1_3genE10ELNS1_11target_archE1201ELNS1_3gpuE5ELNS1_3repE0EEENS1_30default_config_static_selectorELNS0_4arch9wavefront6targetE0EEEvT1_
; %bb.0:
	.section	.rodata,"a",@progbits
	.p2align	6, 0x0
	.amdhsa_kernel _ZN7rocprim17ROCPRIM_400000_NS6detail17trampoline_kernelINS0_14default_configENS1_25transform_config_selectorImLb1EEEZNS1_14transform_implILb1ES3_S5_PKmPmNS0_8identityImEEEE10hipError_tT2_T3_mT4_P12ihipStream_tbEUlT_E_NS1_11comp_targetILNS1_3genE10ELNS1_11target_archE1201ELNS1_3gpuE5ELNS1_3repE0EEENS1_30default_config_static_selectorELNS0_4arch9wavefront6targetE0EEEvT1_
		.amdhsa_group_segment_fixed_size 0
		.amdhsa_private_segment_fixed_size 0
		.amdhsa_kernarg_size 40
		.amdhsa_user_sgpr_count 2
		.amdhsa_user_sgpr_dispatch_ptr 0
		.amdhsa_user_sgpr_queue_ptr 0
		.amdhsa_user_sgpr_kernarg_segment_ptr 1
		.amdhsa_user_sgpr_dispatch_id 0
		.amdhsa_user_sgpr_kernarg_preload_length 0
		.amdhsa_user_sgpr_kernarg_preload_offset 0
		.amdhsa_user_sgpr_private_segment_size 0
		.amdhsa_wavefront_size32 1
		.amdhsa_uses_dynamic_stack 0
		.amdhsa_enable_private_segment 0
		.amdhsa_system_sgpr_workgroup_id_x 1
		.amdhsa_system_sgpr_workgroup_id_y 0
		.amdhsa_system_sgpr_workgroup_id_z 0
		.amdhsa_system_sgpr_workgroup_info 0
		.amdhsa_system_vgpr_workitem_id 0
		.amdhsa_next_free_vgpr 1
		.amdhsa_next_free_sgpr 1
		.amdhsa_named_barrier_count 0
		.amdhsa_reserve_vcc 0
		.amdhsa_float_round_mode_32 0
		.amdhsa_float_round_mode_16_64 0
		.amdhsa_float_denorm_mode_32 3
		.amdhsa_float_denorm_mode_16_64 3
		.amdhsa_fp16_overflow 0
		.amdhsa_memory_ordered 1
		.amdhsa_forward_progress 1
		.amdhsa_inst_pref_size 0
		.amdhsa_round_robin_scheduling 0
		.amdhsa_exception_fp_ieee_invalid_op 0
		.amdhsa_exception_fp_denorm_src 0
		.amdhsa_exception_fp_ieee_div_zero 0
		.amdhsa_exception_fp_ieee_overflow 0
		.amdhsa_exception_fp_ieee_underflow 0
		.amdhsa_exception_fp_ieee_inexact 0
		.amdhsa_exception_int_div_zero 0
	.end_amdhsa_kernel
	.section	.text._ZN7rocprim17ROCPRIM_400000_NS6detail17trampoline_kernelINS0_14default_configENS1_25transform_config_selectorImLb1EEEZNS1_14transform_implILb1ES3_S5_PKmPmNS0_8identityImEEEE10hipError_tT2_T3_mT4_P12ihipStream_tbEUlT_E_NS1_11comp_targetILNS1_3genE10ELNS1_11target_archE1201ELNS1_3gpuE5ELNS1_3repE0EEENS1_30default_config_static_selectorELNS0_4arch9wavefront6targetE0EEEvT1_,"axG",@progbits,_ZN7rocprim17ROCPRIM_400000_NS6detail17trampoline_kernelINS0_14default_configENS1_25transform_config_selectorImLb1EEEZNS1_14transform_implILb1ES3_S5_PKmPmNS0_8identityImEEEE10hipError_tT2_T3_mT4_P12ihipStream_tbEUlT_E_NS1_11comp_targetILNS1_3genE10ELNS1_11target_archE1201ELNS1_3gpuE5ELNS1_3repE0EEENS1_30default_config_static_selectorELNS0_4arch9wavefront6targetE0EEEvT1_,comdat
.Lfunc_end2873:
	.size	_ZN7rocprim17ROCPRIM_400000_NS6detail17trampoline_kernelINS0_14default_configENS1_25transform_config_selectorImLb1EEEZNS1_14transform_implILb1ES3_S5_PKmPmNS0_8identityImEEEE10hipError_tT2_T3_mT4_P12ihipStream_tbEUlT_E_NS1_11comp_targetILNS1_3genE10ELNS1_11target_archE1201ELNS1_3gpuE5ELNS1_3repE0EEENS1_30default_config_static_selectorELNS0_4arch9wavefront6targetE0EEEvT1_, .Lfunc_end2873-_ZN7rocprim17ROCPRIM_400000_NS6detail17trampoline_kernelINS0_14default_configENS1_25transform_config_selectorImLb1EEEZNS1_14transform_implILb1ES3_S5_PKmPmNS0_8identityImEEEE10hipError_tT2_T3_mT4_P12ihipStream_tbEUlT_E_NS1_11comp_targetILNS1_3genE10ELNS1_11target_archE1201ELNS1_3gpuE5ELNS1_3repE0EEENS1_30default_config_static_selectorELNS0_4arch9wavefront6targetE0EEEvT1_
                                        ; -- End function
	.set _ZN7rocprim17ROCPRIM_400000_NS6detail17trampoline_kernelINS0_14default_configENS1_25transform_config_selectorImLb1EEEZNS1_14transform_implILb1ES3_S5_PKmPmNS0_8identityImEEEE10hipError_tT2_T3_mT4_P12ihipStream_tbEUlT_E_NS1_11comp_targetILNS1_3genE10ELNS1_11target_archE1201ELNS1_3gpuE5ELNS1_3repE0EEENS1_30default_config_static_selectorELNS0_4arch9wavefront6targetE0EEEvT1_.num_vgpr, 0
	.set _ZN7rocprim17ROCPRIM_400000_NS6detail17trampoline_kernelINS0_14default_configENS1_25transform_config_selectorImLb1EEEZNS1_14transform_implILb1ES3_S5_PKmPmNS0_8identityImEEEE10hipError_tT2_T3_mT4_P12ihipStream_tbEUlT_E_NS1_11comp_targetILNS1_3genE10ELNS1_11target_archE1201ELNS1_3gpuE5ELNS1_3repE0EEENS1_30default_config_static_selectorELNS0_4arch9wavefront6targetE0EEEvT1_.num_agpr, 0
	.set _ZN7rocprim17ROCPRIM_400000_NS6detail17trampoline_kernelINS0_14default_configENS1_25transform_config_selectorImLb1EEEZNS1_14transform_implILb1ES3_S5_PKmPmNS0_8identityImEEEE10hipError_tT2_T3_mT4_P12ihipStream_tbEUlT_E_NS1_11comp_targetILNS1_3genE10ELNS1_11target_archE1201ELNS1_3gpuE5ELNS1_3repE0EEENS1_30default_config_static_selectorELNS0_4arch9wavefront6targetE0EEEvT1_.numbered_sgpr, 0
	.set _ZN7rocprim17ROCPRIM_400000_NS6detail17trampoline_kernelINS0_14default_configENS1_25transform_config_selectorImLb1EEEZNS1_14transform_implILb1ES3_S5_PKmPmNS0_8identityImEEEE10hipError_tT2_T3_mT4_P12ihipStream_tbEUlT_E_NS1_11comp_targetILNS1_3genE10ELNS1_11target_archE1201ELNS1_3gpuE5ELNS1_3repE0EEENS1_30default_config_static_selectorELNS0_4arch9wavefront6targetE0EEEvT1_.num_named_barrier, 0
	.set _ZN7rocprim17ROCPRIM_400000_NS6detail17trampoline_kernelINS0_14default_configENS1_25transform_config_selectorImLb1EEEZNS1_14transform_implILb1ES3_S5_PKmPmNS0_8identityImEEEE10hipError_tT2_T3_mT4_P12ihipStream_tbEUlT_E_NS1_11comp_targetILNS1_3genE10ELNS1_11target_archE1201ELNS1_3gpuE5ELNS1_3repE0EEENS1_30default_config_static_selectorELNS0_4arch9wavefront6targetE0EEEvT1_.private_seg_size, 0
	.set _ZN7rocprim17ROCPRIM_400000_NS6detail17trampoline_kernelINS0_14default_configENS1_25transform_config_selectorImLb1EEEZNS1_14transform_implILb1ES3_S5_PKmPmNS0_8identityImEEEE10hipError_tT2_T3_mT4_P12ihipStream_tbEUlT_E_NS1_11comp_targetILNS1_3genE10ELNS1_11target_archE1201ELNS1_3gpuE5ELNS1_3repE0EEENS1_30default_config_static_selectorELNS0_4arch9wavefront6targetE0EEEvT1_.uses_vcc, 0
	.set _ZN7rocprim17ROCPRIM_400000_NS6detail17trampoline_kernelINS0_14default_configENS1_25transform_config_selectorImLb1EEEZNS1_14transform_implILb1ES3_S5_PKmPmNS0_8identityImEEEE10hipError_tT2_T3_mT4_P12ihipStream_tbEUlT_E_NS1_11comp_targetILNS1_3genE10ELNS1_11target_archE1201ELNS1_3gpuE5ELNS1_3repE0EEENS1_30default_config_static_selectorELNS0_4arch9wavefront6targetE0EEEvT1_.uses_flat_scratch, 0
	.set _ZN7rocprim17ROCPRIM_400000_NS6detail17trampoline_kernelINS0_14default_configENS1_25transform_config_selectorImLb1EEEZNS1_14transform_implILb1ES3_S5_PKmPmNS0_8identityImEEEE10hipError_tT2_T3_mT4_P12ihipStream_tbEUlT_E_NS1_11comp_targetILNS1_3genE10ELNS1_11target_archE1201ELNS1_3gpuE5ELNS1_3repE0EEENS1_30default_config_static_selectorELNS0_4arch9wavefront6targetE0EEEvT1_.has_dyn_sized_stack, 0
	.set _ZN7rocprim17ROCPRIM_400000_NS6detail17trampoline_kernelINS0_14default_configENS1_25transform_config_selectorImLb1EEEZNS1_14transform_implILb1ES3_S5_PKmPmNS0_8identityImEEEE10hipError_tT2_T3_mT4_P12ihipStream_tbEUlT_E_NS1_11comp_targetILNS1_3genE10ELNS1_11target_archE1201ELNS1_3gpuE5ELNS1_3repE0EEENS1_30default_config_static_selectorELNS0_4arch9wavefront6targetE0EEEvT1_.has_recursion, 0
	.set _ZN7rocprim17ROCPRIM_400000_NS6detail17trampoline_kernelINS0_14default_configENS1_25transform_config_selectorImLb1EEEZNS1_14transform_implILb1ES3_S5_PKmPmNS0_8identityImEEEE10hipError_tT2_T3_mT4_P12ihipStream_tbEUlT_E_NS1_11comp_targetILNS1_3genE10ELNS1_11target_archE1201ELNS1_3gpuE5ELNS1_3repE0EEENS1_30default_config_static_selectorELNS0_4arch9wavefront6targetE0EEEvT1_.has_indirect_call, 0
	.section	.AMDGPU.csdata,"",@progbits
; Kernel info:
; codeLenInByte = 0
; TotalNumSgprs: 0
; NumVgprs: 0
; ScratchSize: 0
; MemoryBound: 0
; FloatMode: 240
; IeeeMode: 1
; LDSByteSize: 0 bytes/workgroup (compile time only)
; SGPRBlocks: 0
; VGPRBlocks: 0
; NumSGPRsForWavesPerEU: 1
; NumVGPRsForWavesPerEU: 1
; NamedBarCnt: 0
; Occupancy: 16
; WaveLimiterHint : 0
; COMPUTE_PGM_RSRC2:SCRATCH_EN: 0
; COMPUTE_PGM_RSRC2:USER_SGPR: 2
; COMPUTE_PGM_RSRC2:TRAP_HANDLER: 0
; COMPUTE_PGM_RSRC2:TGID_X_EN: 1
; COMPUTE_PGM_RSRC2:TGID_Y_EN: 0
; COMPUTE_PGM_RSRC2:TGID_Z_EN: 0
; COMPUTE_PGM_RSRC2:TIDIG_COMP_CNT: 0
	.section	.text._ZN7rocprim17ROCPRIM_400000_NS6detail17trampoline_kernelINS0_14default_configENS1_25transform_config_selectorImLb1EEEZNS1_14transform_implILb1ES3_S5_PKmPmNS0_8identityImEEEE10hipError_tT2_T3_mT4_P12ihipStream_tbEUlT_E_NS1_11comp_targetILNS1_3genE5ELNS1_11target_archE942ELNS1_3gpuE9ELNS1_3repE0EEENS1_30default_config_static_selectorELNS0_4arch9wavefront6targetE0EEEvT1_,"axG",@progbits,_ZN7rocprim17ROCPRIM_400000_NS6detail17trampoline_kernelINS0_14default_configENS1_25transform_config_selectorImLb1EEEZNS1_14transform_implILb1ES3_S5_PKmPmNS0_8identityImEEEE10hipError_tT2_T3_mT4_P12ihipStream_tbEUlT_E_NS1_11comp_targetILNS1_3genE5ELNS1_11target_archE942ELNS1_3gpuE9ELNS1_3repE0EEENS1_30default_config_static_selectorELNS0_4arch9wavefront6targetE0EEEvT1_,comdat
	.protected	_ZN7rocprim17ROCPRIM_400000_NS6detail17trampoline_kernelINS0_14default_configENS1_25transform_config_selectorImLb1EEEZNS1_14transform_implILb1ES3_S5_PKmPmNS0_8identityImEEEE10hipError_tT2_T3_mT4_P12ihipStream_tbEUlT_E_NS1_11comp_targetILNS1_3genE5ELNS1_11target_archE942ELNS1_3gpuE9ELNS1_3repE0EEENS1_30default_config_static_selectorELNS0_4arch9wavefront6targetE0EEEvT1_ ; -- Begin function _ZN7rocprim17ROCPRIM_400000_NS6detail17trampoline_kernelINS0_14default_configENS1_25transform_config_selectorImLb1EEEZNS1_14transform_implILb1ES3_S5_PKmPmNS0_8identityImEEEE10hipError_tT2_T3_mT4_P12ihipStream_tbEUlT_E_NS1_11comp_targetILNS1_3genE5ELNS1_11target_archE942ELNS1_3gpuE9ELNS1_3repE0EEENS1_30default_config_static_selectorELNS0_4arch9wavefront6targetE0EEEvT1_
	.globl	_ZN7rocprim17ROCPRIM_400000_NS6detail17trampoline_kernelINS0_14default_configENS1_25transform_config_selectorImLb1EEEZNS1_14transform_implILb1ES3_S5_PKmPmNS0_8identityImEEEE10hipError_tT2_T3_mT4_P12ihipStream_tbEUlT_E_NS1_11comp_targetILNS1_3genE5ELNS1_11target_archE942ELNS1_3gpuE9ELNS1_3repE0EEENS1_30default_config_static_selectorELNS0_4arch9wavefront6targetE0EEEvT1_
	.p2align	8
	.type	_ZN7rocprim17ROCPRIM_400000_NS6detail17trampoline_kernelINS0_14default_configENS1_25transform_config_selectorImLb1EEEZNS1_14transform_implILb1ES3_S5_PKmPmNS0_8identityImEEEE10hipError_tT2_T3_mT4_P12ihipStream_tbEUlT_E_NS1_11comp_targetILNS1_3genE5ELNS1_11target_archE942ELNS1_3gpuE9ELNS1_3repE0EEENS1_30default_config_static_selectorELNS0_4arch9wavefront6targetE0EEEvT1_,@function
_ZN7rocprim17ROCPRIM_400000_NS6detail17trampoline_kernelINS0_14default_configENS1_25transform_config_selectorImLb1EEEZNS1_14transform_implILb1ES3_S5_PKmPmNS0_8identityImEEEE10hipError_tT2_T3_mT4_P12ihipStream_tbEUlT_E_NS1_11comp_targetILNS1_3genE5ELNS1_11target_archE942ELNS1_3gpuE9ELNS1_3repE0EEENS1_30default_config_static_selectorELNS0_4arch9wavefront6targetE0EEEvT1_: ; @_ZN7rocprim17ROCPRIM_400000_NS6detail17trampoline_kernelINS0_14default_configENS1_25transform_config_selectorImLb1EEEZNS1_14transform_implILb1ES3_S5_PKmPmNS0_8identityImEEEE10hipError_tT2_T3_mT4_P12ihipStream_tbEUlT_E_NS1_11comp_targetILNS1_3genE5ELNS1_11target_archE942ELNS1_3gpuE9ELNS1_3repE0EEENS1_30default_config_static_selectorELNS0_4arch9wavefront6targetE0EEEvT1_
; %bb.0:
	.section	.rodata,"a",@progbits
	.p2align	6, 0x0
	.amdhsa_kernel _ZN7rocprim17ROCPRIM_400000_NS6detail17trampoline_kernelINS0_14default_configENS1_25transform_config_selectorImLb1EEEZNS1_14transform_implILb1ES3_S5_PKmPmNS0_8identityImEEEE10hipError_tT2_T3_mT4_P12ihipStream_tbEUlT_E_NS1_11comp_targetILNS1_3genE5ELNS1_11target_archE942ELNS1_3gpuE9ELNS1_3repE0EEENS1_30default_config_static_selectorELNS0_4arch9wavefront6targetE0EEEvT1_
		.amdhsa_group_segment_fixed_size 0
		.amdhsa_private_segment_fixed_size 0
		.amdhsa_kernarg_size 40
		.amdhsa_user_sgpr_count 2
		.amdhsa_user_sgpr_dispatch_ptr 0
		.amdhsa_user_sgpr_queue_ptr 0
		.amdhsa_user_sgpr_kernarg_segment_ptr 1
		.amdhsa_user_sgpr_dispatch_id 0
		.amdhsa_user_sgpr_kernarg_preload_length 0
		.amdhsa_user_sgpr_kernarg_preload_offset 0
		.amdhsa_user_sgpr_private_segment_size 0
		.amdhsa_wavefront_size32 1
		.amdhsa_uses_dynamic_stack 0
		.amdhsa_enable_private_segment 0
		.amdhsa_system_sgpr_workgroup_id_x 1
		.amdhsa_system_sgpr_workgroup_id_y 0
		.amdhsa_system_sgpr_workgroup_id_z 0
		.amdhsa_system_sgpr_workgroup_info 0
		.amdhsa_system_vgpr_workitem_id 0
		.amdhsa_next_free_vgpr 1
		.amdhsa_next_free_sgpr 1
		.amdhsa_named_barrier_count 0
		.amdhsa_reserve_vcc 0
		.amdhsa_float_round_mode_32 0
		.amdhsa_float_round_mode_16_64 0
		.amdhsa_float_denorm_mode_32 3
		.amdhsa_float_denorm_mode_16_64 3
		.amdhsa_fp16_overflow 0
		.amdhsa_memory_ordered 1
		.amdhsa_forward_progress 1
		.amdhsa_inst_pref_size 0
		.amdhsa_round_robin_scheduling 0
		.amdhsa_exception_fp_ieee_invalid_op 0
		.amdhsa_exception_fp_denorm_src 0
		.amdhsa_exception_fp_ieee_div_zero 0
		.amdhsa_exception_fp_ieee_overflow 0
		.amdhsa_exception_fp_ieee_underflow 0
		.amdhsa_exception_fp_ieee_inexact 0
		.amdhsa_exception_int_div_zero 0
	.end_amdhsa_kernel
	.section	.text._ZN7rocprim17ROCPRIM_400000_NS6detail17trampoline_kernelINS0_14default_configENS1_25transform_config_selectorImLb1EEEZNS1_14transform_implILb1ES3_S5_PKmPmNS0_8identityImEEEE10hipError_tT2_T3_mT4_P12ihipStream_tbEUlT_E_NS1_11comp_targetILNS1_3genE5ELNS1_11target_archE942ELNS1_3gpuE9ELNS1_3repE0EEENS1_30default_config_static_selectorELNS0_4arch9wavefront6targetE0EEEvT1_,"axG",@progbits,_ZN7rocprim17ROCPRIM_400000_NS6detail17trampoline_kernelINS0_14default_configENS1_25transform_config_selectorImLb1EEEZNS1_14transform_implILb1ES3_S5_PKmPmNS0_8identityImEEEE10hipError_tT2_T3_mT4_P12ihipStream_tbEUlT_E_NS1_11comp_targetILNS1_3genE5ELNS1_11target_archE942ELNS1_3gpuE9ELNS1_3repE0EEENS1_30default_config_static_selectorELNS0_4arch9wavefront6targetE0EEEvT1_,comdat
.Lfunc_end2874:
	.size	_ZN7rocprim17ROCPRIM_400000_NS6detail17trampoline_kernelINS0_14default_configENS1_25transform_config_selectorImLb1EEEZNS1_14transform_implILb1ES3_S5_PKmPmNS0_8identityImEEEE10hipError_tT2_T3_mT4_P12ihipStream_tbEUlT_E_NS1_11comp_targetILNS1_3genE5ELNS1_11target_archE942ELNS1_3gpuE9ELNS1_3repE0EEENS1_30default_config_static_selectorELNS0_4arch9wavefront6targetE0EEEvT1_, .Lfunc_end2874-_ZN7rocprim17ROCPRIM_400000_NS6detail17trampoline_kernelINS0_14default_configENS1_25transform_config_selectorImLb1EEEZNS1_14transform_implILb1ES3_S5_PKmPmNS0_8identityImEEEE10hipError_tT2_T3_mT4_P12ihipStream_tbEUlT_E_NS1_11comp_targetILNS1_3genE5ELNS1_11target_archE942ELNS1_3gpuE9ELNS1_3repE0EEENS1_30default_config_static_selectorELNS0_4arch9wavefront6targetE0EEEvT1_
                                        ; -- End function
	.set _ZN7rocprim17ROCPRIM_400000_NS6detail17trampoline_kernelINS0_14default_configENS1_25transform_config_selectorImLb1EEEZNS1_14transform_implILb1ES3_S5_PKmPmNS0_8identityImEEEE10hipError_tT2_T3_mT4_P12ihipStream_tbEUlT_E_NS1_11comp_targetILNS1_3genE5ELNS1_11target_archE942ELNS1_3gpuE9ELNS1_3repE0EEENS1_30default_config_static_selectorELNS0_4arch9wavefront6targetE0EEEvT1_.num_vgpr, 0
	.set _ZN7rocprim17ROCPRIM_400000_NS6detail17trampoline_kernelINS0_14default_configENS1_25transform_config_selectorImLb1EEEZNS1_14transform_implILb1ES3_S5_PKmPmNS0_8identityImEEEE10hipError_tT2_T3_mT4_P12ihipStream_tbEUlT_E_NS1_11comp_targetILNS1_3genE5ELNS1_11target_archE942ELNS1_3gpuE9ELNS1_3repE0EEENS1_30default_config_static_selectorELNS0_4arch9wavefront6targetE0EEEvT1_.num_agpr, 0
	.set _ZN7rocprim17ROCPRIM_400000_NS6detail17trampoline_kernelINS0_14default_configENS1_25transform_config_selectorImLb1EEEZNS1_14transform_implILb1ES3_S5_PKmPmNS0_8identityImEEEE10hipError_tT2_T3_mT4_P12ihipStream_tbEUlT_E_NS1_11comp_targetILNS1_3genE5ELNS1_11target_archE942ELNS1_3gpuE9ELNS1_3repE0EEENS1_30default_config_static_selectorELNS0_4arch9wavefront6targetE0EEEvT1_.numbered_sgpr, 0
	.set _ZN7rocprim17ROCPRIM_400000_NS6detail17trampoline_kernelINS0_14default_configENS1_25transform_config_selectorImLb1EEEZNS1_14transform_implILb1ES3_S5_PKmPmNS0_8identityImEEEE10hipError_tT2_T3_mT4_P12ihipStream_tbEUlT_E_NS1_11comp_targetILNS1_3genE5ELNS1_11target_archE942ELNS1_3gpuE9ELNS1_3repE0EEENS1_30default_config_static_selectorELNS0_4arch9wavefront6targetE0EEEvT1_.num_named_barrier, 0
	.set _ZN7rocprim17ROCPRIM_400000_NS6detail17trampoline_kernelINS0_14default_configENS1_25transform_config_selectorImLb1EEEZNS1_14transform_implILb1ES3_S5_PKmPmNS0_8identityImEEEE10hipError_tT2_T3_mT4_P12ihipStream_tbEUlT_E_NS1_11comp_targetILNS1_3genE5ELNS1_11target_archE942ELNS1_3gpuE9ELNS1_3repE0EEENS1_30default_config_static_selectorELNS0_4arch9wavefront6targetE0EEEvT1_.private_seg_size, 0
	.set _ZN7rocprim17ROCPRIM_400000_NS6detail17trampoline_kernelINS0_14default_configENS1_25transform_config_selectorImLb1EEEZNS1_14transform_implILb1ES3_S5_PKmPmNS0_8identityImEEEE10hipError_tT2_T3_mT4_P12ihipStream_tbEUlT_E_NS1_11comp_targetILNS1_3genE5ELNS1_11target_archE942ELNS1_3gpuE9ELNS1_3repE0EEENS1_30default_config_static_selectorELNS0_4arch9wavefront6targetE0EEEvT1_.uses_vcc, 0
	.set _ZN7rocprim17ROCPRIM_400000_NS6detail17trampoline_kernelINS0_14default_configENS1_25transform_config_selectorImLb1EEEZNS1_14transform_implILb1ES3_S5_PKmPmNS0_8identityImEEEE10hipError_tT2_T3_mT4_P12ihipStream_tbEUlT_E_NS1_11comp_targetILNS1_3genE5ELNS1_11target_archE942ELNS1_3gpuE9ELNS1_3repE0EEENS1_30default_config_static_selectorELNS0_4arch9wavefront6targetE0EEEvT1_.uses_flat_scratch, 0
	.set _ZN7rocprim17ROCPRIM_400000_NS6detail17trampoline_kernelINS0_14default_configENS1_25transform_config_selectorImLb1EEEZNS1_14transform_implILb1ES3_S5_PKmPmNS0_8identityImEEEE10hipError_tT2_T3_mT4_P12ihipStream_tbEUlT_E_NS1_11comp_targetILNS1_3genE5ELNS1_11target_archE942ELNS1_3gpuE9ELNS1_3repE0EEENS1_30default_config_static_selectorELNS0_4arch9wavefront6targetE0EEEvT1_.has_dyn_sized_stack, 0
	.set _ZN7rocprim17ROCPRIM_400000_NS6detail17trampoline_kernelINS0_14default_configENS1_25transform_config_selectorImLb1EEEZNS1_14transform_implILb1ES3_S5_PKmPmNS0_8identityImEEEE10hipError_tT2_T3_mT4_P12ihipStream_tbEUlT_E_NS1_11comp_targetILNS1_3genE5ELNS1_11target_archE942ELNS1_3gpuE9ELNS1_3repE0EEENS1_30default_config_static_selectorELNS0_4arch9wavefront6targetE0EEEvT1_.has_recursion, 0
	.set _ZN7rocprim17ROCPRIM_400000_NS6detail17trampoline_kernelINS0_14default_configENS1_25transform_config_selectorImLb1EEEZNS1_14transform_implILb1ES3_S5_PKmPmNS0_8identityImEEEE10hipError_tT2_T3_mT4_P12ihipStream_tbEUlT_E_NS1_11comp_targetILNS1_3genE5ELNS1_11target_archE942ELNS1_3gpuE9ELNS1_3repE0EEENS1_30default_config_static_selectorELNS0_4arch9wavefront6targetE0EEEvT1_.has_indirect_call, 0
	.section	.AMDGPU.csdata,"",@progbits
; Kernel info:
; codeLenInByte = 0
; TotalNumSgprs: 0
; NumVgprs: 0
; ScratchSize: 0
; MemoryBound: 0
; FloatMode: 240
; IeeeMode: 1
; LDSByteSize: 0 bytes/workgroup (compile time only)
; SGPRBlocks: 0
; VGPRBlocks: 0
; NumSGPRsForWavesPerEU: 1
; NumVGPRsForWavesPerEU: 1
; NamedBarCnt: 0
; Occupancy: 16
; WaveLimiterHint : 0
; COMPUTE_PGM_RSRC2:SCRATCH_EN: 0
; COMPUTE_PGM_RSRC2:USER_SGPR: 2
; COMPUTE_PGM_RSRC2:TRAP_HANDLER: 0
; COMPUTE_PGM_RSRC2:TGID_X_EN: 1
; COMPUTE_PGM_RSRC2:TGID_Y_EN: 0
; COMPUTE_PGM_RSRC2:TGID_Z_EN: 0
; COMPUTE_PGM_RSRC2:TIDIG_COMP_CNT: 0
	.section	.text._ZN7rocprim17ROCPRIM_400000_NS6detail17trampoline_kernelINS0_14default_configENS1_25transform_config_selectorImLb1EEEZNS1_14transform_implILb1ES3_S5_PKmPmNS0_8identityImEEEE10hipError_tT2_T3_mT4_P12ihipStream_tbEUlT_E_NS1_11comp_targetILNS1_3genE4ELNS1_11target_archE910ELNS1_3gpuE8ELNS1_3repE0EEENS1_30default_config_static_selectorELNS0_4arch9wavefront6targetE0EEEvT1_,"axG",@progbits,_ZN7rocprim17ROCPRIM_400000_NS6detail17trampoline_kernelINS0_14default_configENS1_25transform_config_selectorImLb1EEEZNS1_14transform_implILb1ES3_S5_PKmPmNS0_8identityImEEEE10hipError_tT2_T3_mT4_P12ihipStream_tbEUlT_E_NS1_11comp_targetILNS1_3genE4ELNS1_11target_archE910ELNS1_3gpuE8ELNS1_3repE0EEENS1_30default_config_static_selectorELNS0_4arch9wavefront6targetE0EEEvT1_,comdat
	.protected	_ZN7rocprim17ROCPRIM_400000_NS6detail17trampoline_kernelINS0_14default_configENS1_25transform_config_selectorImLb1EEEZNS1_14transform_implILb1ES3_S5_PKmPmNS0_8identityImEEEE10hipError_tT2_T3_mT4_P12ihipStream_tbEUlT_E_NS1_11comp_targetILNS1_3genE4ELNS1_11target_archE910ELNS1_3gpuE8ELNS1_3repE0EEENS1_30default_config_static_selectorELNS0_4arch9wavefront6targetE0EEEvT1_ ; -- Begin function _ZN7rocprim17ROCPRIM_400000_NS6detail17trampoline_kernelINS0_14default_configENS1_25transform_config_selectorImLb1EEEZNS1_14transform_implILb1ES3_S5_PKmPmNS0_8identityImEEEE10hipError_tT2_T3_mT4_P12ihipStream_tbEUlT_E_NS1_11comp_targetILNS1_3genE4ELNS1_11target_archE910ELNS1_3gpuE8ELNS1_3repE0EEENS1_30default_config_static_selectorELNS0_4arch9wavefront6targetE0EEEvT1_
	.globl	_ZN7rocprim17ROCPRIM_400000_NS6detail17trampoline_kernelINS0_14default_configENS1_25transform_config_selectorImLb1EEEZNS1_14transform_implILb1ES3_S5_PKmPmNS0_8identityImEEEE10hipError_tT2_T3_mT4_P12ihipStream_tbEUlT_E_NS1_11comp_targetILNS1_3genE4ELNS1_11target_archE910ELNS1_3gpuE8ELNS1_3repE0EEENS1_30default_config_static_selectorELNS0_4arch9wavefront6targetE0EEEvT1_
	.p2align	8
	.type	_ZN7rocprim17ROCPRIM_400000_NS6detail17trampoline_kernelINS0_14default_configENS1_25transform_config_selectorImLb1EEEZNS1_14transform_implILb1ES3_S5_PKmPmNS0_8identityImEEEE10hipError_tT2_T3_mT4_P12ihipStream_tbEUlT_E_NS1_11comp_targetILNS1_3genE4ELNS1_11target_archE910ELNS1_3gpuE8ELNS1_3repE0EEENS1_30default_config_static_selectorELNS0_4arch9wavefront6targetE0EEEvT1_,@function
_ZN7rocprim17ROCPRIM_400000_NS6detail17trampoline_kernelINS0_14default_configENS1_25transform_config_selectorImLb1EEEZNS1_14transform_implILb1ES3_S5_PKmPmNS0_8identityImEEEE10hipError_tT2_T3_mT4_P12ihipStream_tbEUlT_E_NS1_11comp_targetILNS1_3genE4ELNS1_11target_archE910ELNS1_3gpuE8ELNS1_3repE0EEENS1_30default_config_static_selectorELNS0_4arch9wavefront6targetE0EEEvT1_: ; @_ZN7rocprim17ROCPRIM_400000_NS6detail17trampoline_kernelINS0_14default_configENS1_25transform_config_selectorImLb1EEEZNS1_14transform_implILb1ES3_S5_PKmPmNS0_8identityImEEEE10hipError_tT2_T3_mT4_P12ihipStream_tbEUlT_E_NS1_11comp_targetILNS1_3genE4ELNS1_11target_archE910ELNS1_3gpuE8ELNS1_3repE0EEENS1_30default_config_static_selectorELNS0_4arch9wavefront6targetE0EEEvT1_
; %bb.0:
	.section	.rodata,"a",@progbits
	.p2align	6, 0x0
	.amdhsa_kernel _ZN7rocprim17ROCPRIM_400000_NS6detail17trampoline_kernelINS0_14default_configENS1_25transform_config_selectorImLb1EEEZNS1_14transform_implILb1ES3_S5_PKmPmNS0_8identityImEEEE10hipError_tT2_T3_mT4_P12ihipStream_tbEUlT_E_NS1_11comp_targetILNS1_3genE4ELNS1_11target_archE910ELNS1_3gpuE8ELNS1_3repE0EEENS1_30default_config_static_selectorELNS0_4arch9wavefront6targetE0EEEvT1_
		.amdhsa_group_segment_fixed_size 0
		.amdhsa_private_segment_fixed_size 0
		.amdhsa_kernarg_size 40
		.amdhsa_user_sgpr_count 2
		.amdhsa_user_sgpr_dispatch_ptr 0
		.amdhsa_user_sgpr_queue_ptr 0
		.amdhsa_user_sgpr_kernarg_segment_ptr 1
		.amdhsa_user_sgpr_dispatch_id 0
		.amdhsa_user_sgpr_kernarg_preload_length 0
		.amdhsa_user_sgpr_kernarg_preload_offset 0
		.amdhsa_user_sgpr_private_segment_size 0
		.amdhsa_wavefront_size32 1
		.amdhsa_uses_dynamic_stack 0
		.amdhsa_enable_private_segment 0
		.amdhsa_system_sgpr_workgroup_id_x 1
		.amdhsa_system_sgpr_workgroup_id_y 0
		.amdhsa_system_sgpr_workgroup_id_z 0
		.amdhsa_system_sgpr_workgroup_info 0
		.amdhsa_system_vgpr_workitem_id 0
		.amdhsa_next_free_vgpr 1
		.amdhsa_next_free_sgpr 1
		.amdhsa_named_barrier_count 0
		.amdhsa_reserve_vcc 0
		.amdhsa_float_round_mode_32 0
		.amdhsa_float_round_mode_16_64 0
		.amdhsa_float_denorm_mode_32 3
		.amdhsa_float_denorm_mode_16_64 3
		.amdhsa_fp16_overflow 0
		.amdhsa_memory_ordered 1
		.amdhsa_forward_progress 1
		.amdhsa_inst_pref_size 0
		.amdhsa_round_robin_scheduling 0
		.amdhsa_exception_fp_ieee_invalid_op 0
		.amdhsa_exception_fp_denorm_src 0
		.amdhsa_exception_fp_ieee_div_zero 0
		.amdhsa_exception_fp_ieee_overflow 0
		.amdhsa_exception_fp_ieee_underflow 0
		.amdhsa_exception_fp_ieee_inexact 0
		.amdhsa_exception_int_div_zero 0
	.end_amdhsa_kernel
	.section	.text._ZN7rocprim17ROCPRIM_400000_NS6detail17trampoline_kernelINS0_14default_configENS1_25transform_config_selectorImLb1EEEZNS1_14transform_implILb1ES3_S5_PKmPmNS0_8identityImEEEE10hipError_tT2_T3_mT4_P12ihipStream_tbEUlT_E_NS1_11comp_targetILNS1_3genE4ELNS1_11target_archE910ELNS1_3gpuE8ELNS1_3repE0EEENS1_30default_config_static_selectorELNS0_4arch9wavefront6targetE0EEEvT1_,"axG",@progbits,_ZN7rocprim17ROCPRIM_400000_NS6detail17trampoline_kernelINS0_14default_configENS1_25transform_config_selectorImLb1EEEZNS1_14transform_implILb1ES3_S5_PKmPmNS0_8identityImEEEE10hipError_tT2_T3_mT4_P12ihipStream_tbEUlT_E_NS1_11comp_targetILNS1_3genE4ELNS1_11target_archE910ELNS1_3gpuE8ELNS1_3repE0EEENS1_30default_config_static_selectorELNS0_4arch9wavefront6targetE0EEEvT1_,comdat
.Lfunc_end2875:
	.size	_ZN7rocprim17ROCPRIM_400000_NS6detail17trampoline_kernelINS0_14default_configENS1_25transform_config_selectorImLb1EEEZNS1_14transform_implILb1ES3_S5_PKmPmNS0_8identityImEEEE10hipError_tT2_T3_mT4_P12ihipStream_tbEUlT_E_NS1_11comp_targetILNS1_3genE4ELNS1_11target_archE910ELNS1_3gpuE8ELNS1_3repE0EEENS1_30default_config_static_selectorELNS0_4arch9wavefront6targetE0EEEvT1_, .Lfunc_end2875-_ZN7rocprim17ROCPRIM_400000_NS6detail17trampoline_kernelINS0_14default_configENS1_25transform_config_selectorImLb1EEEZNS1_14transform_implILb1ES3_S5_PKmPmNS0_8identityImEEEE10hipError_tT2_T3_mT4_P12ihipStream_tbEUlT_E_NS1_11comp_targetILNS1_3genE4ELNS1_11target_archE910ELNS1_3gpuE8ELNS1_3repE0EEENS1_30default_config_static_selectorELNS0_4arch9wavefront6targetE0EEEvT1_
                                        ; -- End function
	.set _ZN7rocprim17ROCPRIM_400000_NS6detail17trampoline_kernelINS0_14default_configENS1_25transform_config_selectorImLb1EEEZNS1_14transform_implILb1ES3_S5_PKmPmNS0_8identityImEEEE10hipError_tT2_T3_mT4_P12ihipStream_tbEUlT_E_NS1_11comp_targetILNS1_3genE4ELNS1_11target_archE910ELNS1_3gpuE8ELNS1_3repE0EEENS1_30default_config_static_selectorELNS0_4arch9wavefront6targetE0EEEvT1_.num_vgpr, 0
	.set _ZN7rocprim17ROCPRIM_400000_NS6detail17trampoline_kernelINS0_14default_configENS1_25transform_config_selectorImLb1EEEZNS1_14transform_implILb1ES3_S5_PKmPmNS0_8identityImEEEE10hipError_tT2_T3_mT4_P12ihipStream_tbEUlT_E_NS1_11comp_targetILNS1_3genE4ELNS1_11target_archE910ELNS1_3gpuE8ELNS1_3repE0EEENS1_30default_config_static_selectorELNS0_4arch9wavefront6targetE0EEEvT1_.num_agpr, 0
	.set _ZN7rocprim17ROCPRIM_400000_NS6detail17trampoline_kernelINS0_14default_configENS1_25transform_config_selectorImLb1EEEZNS1_14transform_implILb1ES3_S5_PKmPmNS0_8identityImEEEE10hipError_tT2_T3_mT4_P12ihipStream_tbEUlT_E_NS1_11comp_targetILNS1_3genE4ELNS1_11target_archE910ELNS1_3gpuE8ELNS1_3repE0EEENS1_30default_config_static_selectorELNS0_4arch9wavefront6targetE0EEEvT1_.numbered_sgpr, 0
	.set _ZN7rocprim17ROCPRIM_400000_NS6detail17trampoline_kernelINS0_14default_configENS1_25transform_config_selectorImLb1EEEZNS1_14transform_implILb1ES3_S5_PKmPmNS0_8identityImEEEE10hipError_tT2_T3_mT4_P12ihipStream_tbEUlT_E_NS1_11comp_targetILNS1_3genE4ELNS1_11target_archE910ELNS1_3gpuE8ELNS1_3repE0EEENS1_30default_config_static_selectorELNS0_4arch9wavefront6targetE0EEEvT1_.num_named_barrier, 0
	.set _ZN7rocprim17ROCPRIM_400000_NS6detail17trampoline_kernelINS0_14default_configENS1_25transform_config_selectorImLb1EEEZNS1_14transform_implILb1ES3_S5_PKmPmNS0_8identityImEEEE10hipError_tT2_T3_mT4_P12ihipStream_tbEUlT_E_NS1_11comp_targetILNS1_3genE4ELNS1_11target_archE910ELNS1_3gpuE8ELNS1_3repE0EEENS1_30default_config_static_selectorELNS0_4arch9wavefront6targetE0EEEvT1_.private_seg_size, 0
	.set _ZN7rocprim17ROCPRIM_400000_NS6detail17trampoline_kernelINS0_14default_configENS1_25transform_config_selectorImLb1EEEZNS1_14transform_implILb1ES3_S5_PKmPmNS0_8identityImEEEE10hipError_tT2_T3_mT4_P12ihipStream_tbEUlT_E_NS1_11comp_targetILNS1_3genE4ELNS1_11target_archE910ELNS1_3gpuE8ELNS1_3repE0EEENS1_30default_config_static_selectorELNS0_4arch9wavefront6targetE0EEEvT1_.uses_vcc, 0
	.set _ZN7rocprim17ROCPRIM_400000_NS6detail17trampoline_kernelINS0_14default_configENS1_25transform_config_selectorImLb1EEEZNS1_14transform_implILb1ES3_S5_PKmPmNS0_8identityImEEEE10hipError_tT2_T3_mT4_P12ihipStream_tbEUlT_E_NS1_11comp_targetILNS1_3genE4ELNS1_11target_archE910ELNS1_3gpuE8ELNS1_3repE0EEENS1_30default_config_static_selectorELNS0_4arch9wavefront6targetE0EEEvT1_.uses_flat_scratch, 0
	.set _ZN7rocprim17ROCPRIM_400000_NS6detail17trampoline_kernelINS0_14default_configENS1_25transform_config_selectorImLb1EEEZNS1_14transform_implILb1ES3_S5_PKmPmNS0_8identityImEEEE10hipError_tT2_T3_mT4_P12ihipStream_tbEUlT_E_NS1_11comp_targetILNS1_3genE4ELNS1_11target_archE910ELNS1_3gpuE8ELNS1_3repE0EEENS1_30default_config_static_selectorELNS0_4arch9wavefront6targetE0EEEvT1_.has_dyn_sized_stack, 0
	.set _ZN7rocprim17ROCPRIM_400000_NS6detail17trampoline_kernelINS0_14default_configENS1_25transform_config_selectorImLb1EEEZNS1_14transform_implILb1ES3_S5_PKmPmNS0_8identityImEEEE10hipError_tT2_T3_mT4_P12ihipStream_tbEUlT_E_NS1_11comp_targetILNS1_3genE4ELNS1_11target_archE910ELNS1_3gpuE8ELNS1_3repE0EEENS1_30default_config_static_selectorELNS0_4arch9wavefront6targetE0EEEvT1_.has_recursion, 0
	.set _ZN7rocprim17ROCPRIM_400000_NS6detail17trampoline_kernelINS0_14default_configENS1_25transform_config_selectorImLb1EEEZNS1_14transform_implILb1ES3_S5_PKmPmNS0_8identityImEEEE10hipError_tT2_T3_mT4_P12ihipStream_tbEUlT_E_NS1_11comp_targetILNS1_3genE4ELNS1_11target_archE910ELNS1_3gpuE8ELNS1_3repE0EEENS1_30default_config_static_selectorELNS0_4arch9wavefront6targetE0EEEvT1_.has_indirect_call, 0
	.section	.AMDGPU.csdata,"",@progbits
; Kernel info:
; codeLenInByte = 0
; TotalNumSgprs: 0
; NumVgprs: 0
; ScratchSize: 0
; MemoryBound: 0
; FloatMode: 240
; IeeeMode: 1
; LDSByteSize: 0 bytes/workgroup (compile time only)
; SGPRBlocks: 0
; VGPRBlocks: 0
; NumSGPRsForWavesPerEU: 1
; NumVGPRsForWavesPerEU: 1
; NamedBarCnt: 0
; Occupancy: 16
; WaveLimiterHint : 0
; COMPUTE_PGM_RSRC2:SCRATCH_EN: 0
; COMPUTE_PGM_RSRC2:USER_SGPR: 2
; COMPUTE_PGM_RSRC2:TRAP_HANDLER: 0
; COMPUTE_PGM_RSRC2:TGID_X_EN: 1
; COMPUTE_PGM_RSRC2:TGID_Y_EN: 0
; COMPUTE_PGM_RSRC2:TGID_Z_EN: 0
; COMPUTE_PGM_RSRC2:TIDIG_COMP_CNT: 0
	.section	.text._ZN7rocprim17ROCPRIM_400000_NS6detail17trampoline_kernelINS0_14default_configENS1_25transform_config_selectorImLb1EEEZNS1_14transform_implILb1ES3_S5_PKmPmNS0_8identityImEEEE10hipError_tT2_T3_mT4_P12ihipStream_tbEUlT_E_NS1_11comp_targetILNS1_3genE3ELNS1_11target_archE908ELNS1_3gpuE7ELNS1_3repE0EEENS1_30default_config_static_selectorELNS0_4arch9wavefront6targetE0EEEvT1_,"axG",@progbits,_ZN7rocprim17ROCPRIM_400000_NS6detail17trampoline_kernelINS0_14default_configENS1_25transform_config_selectorImLb1EEEZNS1_14transform_implILb1ES3_S5_PKmPmNS0_8identityImEEEE10hipError_tT2_T3_mT4_P12ihipStream_tbEUlT_E_NS1_11comp_targetILNS1_3genE3ELNS1_11target_archE908ELNS1_3gpuE7ELNS1_3repE0EEENS1_30default_config_static_selectorELNS0_4arch9wavefront6targetE0EEEvT1_,comdat
	.protected	_ZN7rocprim17ROCPRIM_400000_NS6detail17trampoline_kernelINS0_14default_configENS1_25transform_config_selectorImLb1EEEZNS1_14transform_implILb1ES3_S5_PKmPmNS0_8identityImEEEE10hipError_tT2_T3_mT4_P12ihipStream_tbEUlT_E_NS1_11comp_targetILNS1_3genE3ELNS1_11target_archE908ELNS1_3gpuE7ELNS1_3repE0EEENS1_30default_config_static_selectorELNS0_4arch9wavefront6targetE0EEEvT1_ ; -- Begin function _ZN7rocprim17ROCPRIM_400000_NS6detail17trampoline_kernelINS0_14default_configENS1_25transform_config_selectorImLb1EEEZNS1_14transform_implILb1ES3_S5_PKmPmNS0_8identityImEEEE10hipError_tT2_T3_mT4_P12ihipStream_tbEUlT_E_NS1_11comp_targetILNS1_3genE3ELNS1_11target_archE908ELNS1_3gpuE7ELNS1_3repE0EEENS1_30default_config_static_selectorELNS0_4arch9wavefront6targetE0EEEvT1_
	.globl	_ZN7rocprim17ROCPRIM_400000_NS6detail17trampoline_kernelINS0_14default_configENS1_25transform_config_selectorImLb1EEEZNS1_14transform_implILb1ES3_S5_PKmPmNS0_8identityImEEEE10hipError_tT2_T3_mT4_P12ihipStream_tbEUlT_E_NS1_11comp_targetILNS1_3genE3ELNS1_11target_archE908ELNS1_3gpuE7ELNS1_3repE0EEENS1_30default_config_static_selectorELNS0_4arch9wavefront6targetE0EEEvT1_
	.p2align	8
	.type	_ZN7rocprim17ROCPRIM_400000_NS6detail17trampoline_kernelINS0_14default_configENS1_25transform_config_selectorImLb1EEEZNS1_14transform_implILb1ES3_S5_PKmPmNS0_8identityImEEEE10hipError_tT2_T3_mT4_P12ihipStream_tbEUlT_E_NS1_11comp_targetILNS1_3genE3ELNS1_11target_archE908ELNS1_3gpuE7ELNS1_3repE0EEENS1_30default_config_static_selectorELNS0_4arch9wavefront6targetE0EEEvT1_,@function
_ZN7rocprim17ROCPRIM_400000_NS6detail17trampoline_kernelINS0_14default_configENS1_25transform_config_selectorImLb1EEEZNS1_14transform_implILb1ES3_S5_PKmPmNS0_8identityImEEEE10hipError_tT2_T3_mT4_P12ihipStream_tbEUlT_E_NS1_11comp_targetILNS1_3genE3ELNS1_11target_archE908ELNS1_3gpuE7ELNS1_3repE0EEENS1_30default_config_static_selectorELNS0_4arch9wavefront6targetE0EEEvT1_: ; @_ZN7rocprim17ROCPRIM_400000_NS6detail17trampoline_kernelINS0_14default_configENS1_25transform_config_selectorImLb1EEEZNS1_14transform_implILb1ES3_S5_PKmPmNS0_8identityImEEEE10hipError_tT2_T3_mT4_P12ihipStream_tbEUlT_E_NS1_11comp_targetILNS1_3genE3ELNS1_11target_archE908ELNS1_3gpuE7ELNS1_3repE0EEENS1_30default_config_static_selectorELNS0_4arch9wavefront6targetE0EEEvT1_
; %bb.0:
	.section	.rodata,"a",@progbits
	.p2align	6, 0x0
	.amdhsa_kernel _ZN7rocprim17ROCPRIM_400000_NS6detail17trampoline_kernelINS0_14default_configENS1_25transform_config_selectorImLb1EEEZNS1_14transform_implILb1ES3_S5_PKmPmNS0_8identityImEEEE10hipError_tT2_T3_mT4_P12ihipStream_tbEUlT_E_NS1_11comp_targetILNS1_3genE3ELNS1_11target_archE908ELNS1_3gpuE7ELNS1_3repE0EEENS1_30default_config_static_selectorELNS0_4arch9wavefront6targetE0EEEvT1_
		.amdhsa_group_segment_fixed_size 0
		.amdhsa_private_segment_fixed_size 0
		.amdhsa_kernarg_size 40
		.amdhsa_user_sgpr_count 2
		.amdhsa_user_sgpr_dispatch_ptr 0
		.amdhsa_user_sgpr_queue_ptr 0
		.amdhsa_user_sgpr_kernarg_segment_ptr 1
		.amdhsa_user_sgpr_dispatch_id 0
		.amdhsa_user_sgpr_kernarg_preload_length 0
		.amdhsa_user_sgpr_kernarg_preload_offset 0
		.amdhsa_user_sgpr_private_segment_size 0
		.amdhsa_wavefront_size32 1
		.amdhsa_uses_dynamic_stack 0
		.amdhsa_enable_private_segment 0
		.amdhsa_system_sgpr_workgroup_id_x 1
		.amdhsa_system_sgpr_workgroup_id_y 0
		.amdhsa_system_sgpr_workgroup_id_z 0
		.amdhsa_system_sgpr_workgroup_info 0
		.amdhsa_system_vgpr_workitem_id 0
		.amdhsa_next_free_vgpr 1
		.amdhsa_next_free_sgpr 1
		.amdhsa_named_barrier_count 0
		.amdhsa_reserve_vcc 0
		.amdhsa_float_round_mode_32 0
		.amdhsa_float_round_mode_16_64 0
		.amdhsa_float_denorm_mode_32 3
		.amdhsa_float_denorm_mode_16_64 3
		.amdhsa_fp16_overflow 0
		.amdhsa_memory_ordered 1
		.amdhsa_forward_progress 1
		.amdhsa_inst_pref_size 0
		.amdhsa_round_robin_scheduling 0
		.amdhsa_exception_fp_ieee_invalid_op 0
		.amdhsa_exception_fp_denorm_src 0
		.amdhsa_exception_fp_ieee_div_zero 0
		.amdhsa_exception_fp_ieee_overflow 0
		.amdhsa_exception_fp_ieee_underflow 0
		.amdhsa_exception_fp_ieee_inexact 0
		.amdhsa_exception_int_div_zero 0
	.end_amdhsa_kernel
	.section	.text._ZN7rocprim17ROCPRIM_400000_NS6detail17trampoline_kernelINS0_14default_configENS1_25transform_config_selectorImLb1EEEZNS1_14transform_implILb1ES3_S5_PKmPmNS0_8identityImEEEE10hipError_tT2_T3_mT4_P12ihipStream_tbEUlT_E_NS1_11comp_targetILNS1_3genE3ELNS1_11target_archE908ELNS1_3gpuE7ELNS1_3repE0EEENS1_30default_config_static_selectorELNS0_4arch9wavefront6targetE0EEEvT1_,"axG",@progbits,_ZN7rocprim17ROCPRIM_400000_NS6detail17trampoline_kernelINS0_14default_configENS1_25transform_config_selectorImLb1EEEZNS1_14transform_implILb1ES3_S5_PKmPmNS0_8identityImEEEE10hipError_tT2_T3_mT4_P12ihipStream_tbEUlT_E_NS1_11comp_targetILNS1_3genE3ELNS1_11target_archE908ELNS1_3gpuE7ELNS1_3repE0EEENS1_30default_config_static_selectorELNS0_4arch9wavefront6targetE0EEEvT1_,comdat
.Lfunc_end2876:
	.size	_ZN7rocprim17ROCPRIM_400000_NS6detail17trampoline_kernelINS0_14default_configENS1_25transform_config_selectorImLb1EEEZNS1_14transform_implILb1ES3_S5_PKmPmNS0_8identityImEEEE10hipError_tT2_T3_mT4_P12ihipStream_tbEUlT_E_NS1_11comp_targetILNS1_3genE3ELNS1_11target_archE908ELNS1_3gpuE7ELNS1_3repE0EEENS1_30default_config_static_selectorELNS0_4arch9wavefront6targetE0EEEvT1_, .Lfunc_end2876-_ZN7rocprim17ROCPRIM_400000_NS6detail17trampoline_kernelINS0_14default_configENS1_25transform_config_selectorImLb1EEEZNS1_14transform_implILb1ES3_S5_PKmPmNS0_8identityImEEEE10hipError_tT2_T3_mT4_P12ihipStream_tbEUlT_E_NS1_11comp_targetILNS1_3genE3ELNS1_11target_archE908ELNS1_3gpuE7ELNS1_3repE0EEENS1_30default_config_static_selectorELNS0_4arch9wavefront6targetE0EEEvT1_
                                        ; -- End function
	.set _ZN7rocprim17ROCPRIM_400000_NS6detail17trampoline_kernelINS0_14default_configENS1_25transform_config_selectorImLb1EEEZNS1_14transform_implILb1ES3_S5_PKmPmNS0_8identityImEEEE10hipError_tT2_T3_mT4_P12ihipStream_tbEUlT_E_NS1_11comp_targetILNS1_3genE3ELNS1_11target_archE908ELNS1_3gpuE7ELNS1_3repE0EEENS1_30default_config_static_selectorELNS0_4arch9wavefront6targetE0EEEvT1_.num_vgpr, 0
	.set _ZN7rocprim17ROCPRIM_400000_NS6detail17trampoline_kernelINS0_14default_configENS1_25transform_config_selectorImLb1EEEZNS1_14transform_implILb1ES3_S5_PKmPmNS0_8identityImEEEE10hipError_tT2_T3_mT4_P12ihipStream_tbEUlT_E_NS1_11comp_targetILNS1_3genE3ELNS1_11target_archE908ELNS1_3gpuE7ELNS1_3repE0EEENS1_30default_config_static_selectorELNS0_4arch9wavefront6targetE0EEEvT1_.num_agpr, 0
	.set _ZN7rocprim17ROCPRIM_400000_NS6detail17trampoline_kernelINS0_14default_configENS1_25transform_config_selectorImLb1EEEZNS1_14transform_implILb1ES3_S5_PKmPmNS0_8identityImEEEE10hipError_tT2_T3_mT4_P12ihipStream_tbEUlT_E_NS1_11comp_targetILNS1_3genE3ELNS1_11target_archE908ELNS1_3gpuE7ELNS1_3repE0EEENS1_30default_config_static_selectorELNS0_4arch9wavefront6targetE0EEEvT1_.numbered_sgpr, 0
	.set _ZN7rocprim17ROCPRIM_400000_NS6detail17trampoline_kernelINS0_14default_configENS1_25transform_config_selectorImLb1EEEZNS1_14transform_implILb1ES3_S5_PKmPmNS0_8identityImEEEE10hipError_tT2_T3_mT4_P12ihipStream_tbEUlT_E_NS1_11comp_targetILNS1_3genE3ELNS1_11target_archE908ELNS1_3gpuE7ELNS1_3repE0EEENS1_30default_config_static_selectorELNS0_4arch9wavefront6targetE0EEEvT1_.num_named_barrier, 0
	.set _ZN7rocprim17ROCPRIM_400000_NS6detail17trampoline_kernelINS0_14default_configENS1_25transform_config_selectorImLb1EEEZNS1_14transform_implILb1ES3_S5_PKmPmNS0_8identityImEEEE10hipError_tT2_T3_mT4_P12ihipStream_tbEUlT_E_NS1_11comp_targetILNS1_3genE3ELNS1_11target_archE908ELNS1_3gpuE7ELNS1_3repE0EEENS1_30default_config_static_selectorELNS0_4arch9wavefront6targetE0EEEvT1_.private_seg_size, 0
	.set _ZN7rocprim17ROCPRIM_400000_NS6detail17trampoline_kernelINS0_14default_configENS1_25transform_config_selectorImLb1EEEZNS1_14transform_implILb1ES3_S5_PKmPmNS0_8identityImEEEE10hipError_tT2_T3_mT4_P12ihipStream_tbEUlT_E_NS1_11comp_targetILNS1_3genE3ELNS1_11target_archE908ELNS1_3gpuE7ELNS1_3repE0EEENS1_30default_config_static_selectorELNS0_4arch9wavefront6targetE0EEEvT1_.uses_vcc, 0
	.set _ZN7rocprim17ROCPRIM_400000_NS6detail17trampoline_kernelINS0_14default_configENS1_25transform_config_selectorImLb1EEEZNS1_14transform_implILb1ES3_S5_PKmPmNS0_8identityImEEEE10hipError_tT2_T3_mT4_P12ihipStream_tbEUlT_E_NS1_11comp_targetILNS1_3genE3ELNS1_11target_archE908ELNS1_3gpuE7ELNS1_3repE0EEENS1_30default_config_static_selectorELNS0_4arch9wavefront6targetE0EEEvT1_.uses_flat_scratch, 0
	.set _ZN7rocprim17ROCPRIM_400000_NS6detail17trampoline_kernelINS0_14default_configENS1_25transform_config_selectorImLb1EEEZNS1_14transform_implILb1ES3_S5_PKmPmNS0_8identityImEEEE10hipError_tT2_T3_mT4_P12ihipStream_tbEUlT_E_NS1_11comp_targetILNS1_3genE3ELNS1_11target_archE908ELNS1_3gpuE7ELNS1_3repE0EEENS1_30default_config_static_selectorELNS0_4arch9wavefront6targetE0EEEvT1_.has_dyn_sized_stack, 0
	.set _ZN7rocprim17ROCPRIM_400000_NS6detail17trampoline_kernelINS0_14default_configENS1_25transform_config_selectorImLb1EEEZNS1_14transform_implILb1ES3_S5_PKmPmNS0_8identityImEEEE10hipError_tT2_T3_mT4_P12ihipStream_tbEUlT_E_NS1_11comp_targetILNS1_3genE3ELNS1_11target_archE908ELNS1_3gpuE7ELNS1_3repE0EEENS1_30default_config_static_selectorELNS0_4arch9wavefront6targetE0EEEvT1_.has_recursion, 0
	.set _ZN7rocprim17ROCPRIM_400000_NS6detail17trampoline_kernelINS0_14default_configENS1_25transform_config_selectorImLb1EEEZNS1_14transform_implILb1ES3_S5_PKmPmNS0_8identityImEEEE10hipError_tT2_T3_mT4_P12ihipStream_tbEUlT_E_NS1_11comp_targetILNS1_3genE3ELNS1_11target_archE908ELNS1_3gpuE7ELNS1_3repE0EEENS1_30default_config_static_selectorELNS0_4arch9wavefront6targetE0EEEvT1_.has_indirect_call, 0
	.section	.AMDGPU.csdata,"",@progbits
; Kernel info:
; codeLenInByte = 0
; TotalNumSgprs: 0
; NumVgprs: 0
; ScratchSize: 0
; MemoryBound: 0
; FloatMode: 240
; IeeeMode: 1
; LDSByteSize: 0 bytes/workgroup (compile time only)
; SGPRBlocks: 0
; VGPRBlocks: 0
; NumSGPRsForWavesPerEU: 1
; NumVGPRsForWavesPerEU: 1
; NamedBarCnt: 0
; Occupancy: 16
; WaveLimiterHint : 0
; COMPUTE_PGM_RSRC2:SCRATCH_EN: 0
; COMPUTE_PGM_RSRC2:USER_SGPR: 2
; COMPUTE_PGM_RSRC2:TRAP_HANDLER: 0
; COMPUTE_PGM_RSRC2:TGID_X_EN: 1
; COMPUTE_PGM_RSRC2:TGID_Y_EN: 0
; COMPUTE_PGM_RSRC2:TGID_Z_EN: 0
; COMPUTE_PGM_RSRC2:TIDIG_COMP_CNT: 0
	.section	.text._ZN7rocprim17ROCPRIM_400000_NS6detail17trampoline_kernelINS0_14default_configENS1_25transform_config_selectorImLb1EEEZNS1_14transform_implILb1ES3_S5_PKmPmNS0_8identityImEEEE10hipError_tT2_T3_mT4_P12ihipStream_tbEUlT_E_NS1_11comp_targetILNS1_3genE2ELNS1_11target_archE906ELNS1_3gpuE6ELNS1_3repE0EEENS1_30default_config_static_selectorELNS0_4arch9wavefront6targetE0EEEvT1_,"axG",@progbits,_ZN7rocprim17ROCPRIM_400000_NS6detail17trampoline_kernelINS0_14default_configENS1_25transform_config_selectorImLb1EEEZNS1_14transform_implILb1ES3_S5_PKmPmNS0_8identityImEEEE10hipError_tT2_T3_mT4_P12ihipStream_tbEUlT_E_NS1_11comp_targetILNS1_3genE2ELNS1_11target_archE906ELNS1_3gpuE6ELNS1_3repE0EEENS1_30default_config_static_selectorELNS0_4arch9wavefront6targetE0EEEvT1_,comdat
	.protected	_ZN7rocprim17ROCPRIM_400000_NS6detail17trampoline_kernelINS0_14default_configENS1_25transform_config_selectorImLb1EEEZNS1_14transform_implILb1ES3_S5_PKmPmNS0_8identityImEEEE10hipError_tT2_T3_mT4_P12ihipStream_tbEUlT_E_NS1_11comp_targetILNS1_3genE2ELNS1_11target_archE906ELNS1_3gpuE6ELNS1_3repE0EEENS1_30default_config_static_selectorELNS0_4arch9wavefront6targetE0EEEvT1_ ; -- Begin function _ZN7rocprim17ROCPRIM_400000_NS6detail17trampoline_kernelINS0_14default_configENS1_25transform_config_selectorImLb1EEEZNS1_14transform_implILb1ES3_S5_PKmPmNS0_8identityImEEEE10hipError_tT2_T3_mT4_P12ihipStream_tbEUlT_E_NS1_11comp_targetILNS1_3genE2ELNS1_11target_archE906ELNS1_3gpuE6ELNS1_3repE0EEENS1_30default_config_static_selectorELNS0_4arch9wavefront6targetE0EEEvT1_
	.globl	_ZN7rocprim17ROCPRIM_400000_NS6detail17trampoline_kernelINS0_14default_configENS1_25transform_config_selectorImLb1EEEZNS1_14transform_implILb1ES3_S5_PKmPmNS0_8identityImEEEE10hipError_tT2_T3_mT4_P12ihipStream_tbEUlT_E_NS1_11comp_targetILNS1_3genE2ELNS1_11target_archE906ELNS1_3gpuE6ELNS1_3repE0EEENS1_30default_config_static_selectorELNS0_4arch9wavefront6targetE0EEEvT1_
	.p2align	8
	.type	_ZN7rocprim17ROCPRIM_400000_NS6detail17trampoline_kernelINS0_14default_configENS1_25transform_config_selectorImLb1EEEZNS1_14transform_implILb1ES3_S5_PKmPmNS0_8identityImEEEE10hipError_tT2_T3_mT4_P12ihipStream_tbEUlT_E_NS1_11comp_targetILNS1_3genE2ELNS1_11target_archE906ELNS1_3gpuE6ELNS1_3repE0EEENS1_30default_config_static_selectorELNS0_4arch9wavefront6targetE0EEEvT1_,@function
_ZN7rocprim17ROCPRIM_400000_NS6detail17trampoline_kernelINS0_14default_configENS1_25transform_config_selectorImLb1EEEZNS1_14transform_implILb1ES3_S5_PKmPmNS0_8identityImEEEE10hipError_tT2_T3_mT4_P12ihipStream_tbEUlT_E_NS1_11comp_targetILNS1_3genE2ELNS1_11target_archE906ELNS1_3gpuE6ELNS1_3repE0EEENS1_30default_config_static_selectorELNS0_4arch9wavefront6targetE0EEEvT1_: ; @_ZN7rocprim17ROCPRIM_400000_NS6detail17trampoline_kernelINS0_14default_configENS1_25transform_config_selectorImLb1EEEZNS1_14transform_implILb1ES3_S5_PKmPmNS0_8identityImEEEE10hipError_tT2_T3_mT4_P12ihipStream_tbEUlT_E_NS1_11comp_targetILNS1_3genE2ELNS1_11target_archE906ELNS1_3gpuE6ELNS1_3repE0EEENS1_30default_config_static_selectorELNS0_4arch9wavefront6targetE0EEEvT1_
; %bb.0:
	.section	.rodata,"a",@progbits
	.p2align	6, 0x0
	.amdhsa_kernel _ZN7rocprim17ROCPRIM_400000_NS6detail17trampoline_kernelINS0_14default_configENS1_25transform_config_selectorImLb1EEEZNS1_14transform_implILb1ES3_S5_PKmPmNS0_8identityImEEEE10hipError_tT2_T3_mT4_P12ihipStream_tbEUlT_E_NS1_11comp_targetILNS1_3genE2ELNS1_11target_archE906ELNS1_3gpuE6ELNS1_3repE0EEENS1_30default_config_static_selectorELNS0_4arch9wavefront6targetE0EEEvT1_
		.amdhsa_group_segment_fixed_size 0
		.amdhsa_private_segment_fixed_size 0
		.amdhsa_kernarg_size 40
		.amdhsa_user_sgpr_count 2
		.amdhsa_user_sgpr_dispatch_ptr 0
		.amdhsa_user_sgpr_queue_ptr 0
		.amdhsa_user_sgpr_kernarg_segment_ptr 1
		.amdhsa_user_sgpr_dispatch_id 0
		.amdhsa_user_sgpr_kernarg_preload_length 0
		.amdhsa_user_sgpr_kernarg_preload_offset 0
		.amdhsa_user_sgpr_private_segment_size 0
		.amdhsa_wavefront_size32 1
		.amdhsa_uses_dynamic_stack 0
		.amdhsa_enable_private_segment 0
		.amdhsa_system_sgpr_workgroup_id_x 1
		.amdhsa_system_sgpr_workgroup_id_y 0
		.amdhsa_system_sgpr_workgroup_id_z 0
		.amdhsa_system_sgpr_workgroup_info 0
		.amdhsa_system_vgpr_workitem_id 0
		.amdhsa_next_free_vgpr 1
		.amdhsa_next_free_sgpr 1
		.amdhsa_named_barrier_count 0
		.amdhsa_reserve_vcc 0
		.amdhsa_float_round_mode_32 0
		.amdhsa_float_round_mode_16_64 0
		.amdhsa_float_denorm_mode_32 3
		.amdhsa_float_denorm_mode_16_64 3
		.amdhsa_fp16_overflow 0
		.amdhsa_memory_ordered 1
		.amdhsa_forward_progress 1
		.amdhsa_inst_pref_size 0
		.amdhsa_round_robin_scheduling 0
		.amdhsa_exception_fp_ieee_invalid_op 0
		.amdhsa_exception_fp_denorm_src 0
		.amdhsa_exception_fp_ieee_div_zero 0
		.amdhsa_exception_fp_ieee_overflow 0
		.amdhsa_exception_fp_ieee_underflow 0
		.amdhsa_exception_fp_ieee_inexact 0
		.amdhsa_exception_int_div_zero 0
	.end_amdhsa_kernel
	.section	.text._ZN7rocprim17ROCPRIM_400000_NS6detail17trampoline_kernelINS0_14default_configENS1_25transform_config_selectorImLb1EEEZNS1_14transform_implILb1ES3_S5_PKmPmNS0_8identityImEEEE10hipError_tT2_T3_mT4_P12ihipStream_tbEUlT_E_NS1_11comp_targetILNS1_3genE2ELNS1_11target_archE906ELNS1_3gpuE6ELNS1_3repE0EEENS1_30default_config_static_selectorELNS0_4arch9wavefront6targetE0EEEvT1_,"axG",@progbits,_ZN7rocprim17ROCPRIM_400000_NS6detail17trampoline_kernelINS0_14default_configENS1_25transform_config_selectorImLb1EEEZNS1_14transform_implILb1ES3_S5_PKmPmNS0_8identityImEEEE10hipError_tT2_T3_mT4_P12ihipStream_tbEUlT_E_NS1_11comp_targetILNS1_3genE2ELNS1_11target_archE906ELNS1_3gpuE6ELNS1_3repE0EEENS1_30default_config_static_selectorELNS0_4arch9wavefront6targetE0EEEvT1_,comdat
.Lfunc_end2877:
	.size	_ZN7rocprim17ROCPRIM_400000_NS6detail17trampoline_kernelINS0_14default_configENS1_25transform_config_selectorImLb1EEEZNS1_14transform_implILb1ES3_S5_PKmPmNS0_8identityImEEEE10hipError_tT2_T3_mT4_P12ihipStream_tbEUlT_E_NS1_11comp_targetILNS1_3genE2ELNS1_11target_archE906ELNS1_3gpuE6ELNS1_3repE0EEENS1_30default_config_static_selectorELNS0_4arch9wavefront6targetE0EEEvT1_, .Lfunc_end2877-_ZN7rocprim17ROCPRIM_400000_NS6detail17trampoline_kernelINS0_14default_configENS1_25transform_config_selectorImLb1EEEZNS1_14transform_implILb1ES3_S5_PKmPmNS0_8identityImEEEE10hipError_tT2_T3_mT4_P12ihipStream_tbEUlT_E_NS1_11comp_targetILNS1_3genE2ELNS1_11target_archE906ELNS1_3gpuE6ELNS1_3repE0EEENS1_30default_config_static_selectorELNS0_4arch9wavefront6targetE0EEEvT1_
                                        ; -- End function
	.set _ZN7rocprim17ROCPRIM_400000_NS6detail17trampoline_kernelINS0_14default_configENS1_25transform_config_selectorImLb1EEEZNS1_14transform_implILb1ES3_S5_PKmPmNS0_8identityImEEEE10hipError_tT2_T3_mT4_P12ihipStream_tbEUlT_E_NS1_11comp_targetILNS1_3genE2ELNS1_11target_archE906ELNS1_3gpuE6ELNS1_3repE0EEENS1_30default_config_static_selectorELNS0_4arch9wavefront6targetE0EEEvT1_.num_vgpr, 0
	.set _ZN7rocprim17ROCPRIM_400000_NS6detail17trampoline_kernelINS0_14default_configENS1_25transform_config_selectorImLb1EEEZNS1_14transform_implILb1ES3_S5_PKmPmNS0_8identityImEEEE10hipError_tT2_T3_mT4_P12ihipStream_tbEUlT_E_NS1_11comp_targetILNS1_3genE2ELNS1_11target_archE906ELNS1_3gpuE6ELNS1_3repE0EEENS1_30default_config_static_selectorELNS0_4arch9wavefront6targetE0EEEvT1_.num_agpr, 0
	.set _ZN7rocprim17ROCPRIM_400000_NS6detail17trampoline_kernelINS0_14default_configENS1_25transform_config_selectorImLb1EEEZNS1_14transform_implILb1ES3_S5_PKmPmNS0_8identityImEEEE10hipError_tT2_T3_mT4_P12ihipStream_tbEUlT_E_NS1_11comp_targetILNS1_3genE2ELNS1_11target_archE906ELNS1_3gpuE6ELNS1_3repE0EEENS1_30default_config_static_selectorELNS0_4arch9wavefront6targetE0EEEvT1_.numbered_sgpr, 0
	.set _ZN7rocprim17ROCPRIM_400000_NS6detail17trampoline_kernelINS0_14default_configENS1_25transform_config_selectorImLb1EEEZNS1_14transform_implILb1ES3_S5_PKmPmNS0_8identityImEEEE10hipError_tT2_T3_mT4_P12ihipStream_tbEUlT_E_NS1_11comp_targetILNS1_3genE2ELNS1_11target_archE906ELNS1_3gpuE6ELNS1_3repE0EEENS1_30default_config_static_selectorELNS0_4arch9wavefront6targetE0EEEvT1_.num_named_barrier, 0
	.set _ZN7rocprim17ROCPRIM_400000_NS6detail17trampoline_kernelINS0_14default_configENS1_25transform_config_selectorImLb1EEEZNS1_14transform_implILb1ES3_S5_PKmPmNS0_8identityImEEEE10hipError_tT2_T3_mT4_P12ihipStream_tbEUlT_E_NS1_11comp_targetILNS1_3genE2ELNS1_11target_archE906ELNS1_3gpuE6ELNS1_3repE0EEENS1_30default_config_static_selectorELNS0_4arch9wavefront6targetE0EEEvT1_.private_seg_size, 0
	.set _ZN7rocprim17ROCPRIM_400000_NS6detail17trampoline_kernelINS0_14default_configENS1_25transform_config_selectorImLb1EEEZNS1_14transform_implILb1ES3_S5_PKmPmNS0_8identityImEEEE10hipError_tT2_T3_mT4_P12ihipStream_tbEUlT_E_NS1_11comp_targetILNS1_3genE2ELNS1_11target_archE906ELNS1_3gpuE6ELNS1_3repE0EEENS1_30default_config_static_selectorELNS0_4arch9wavefront6targetE0EEEvT1_.uses_vcc, 0
	.set _ZN7rocprim17ROCPRIM_400000_NS6detail17trampoline_kernelINS0_14default_configENS1_25transform_config_selectorImLb1EEEZNS1_14transform_implILb1ES3_S5_PKmPmNS0_8identityImEEEE10hipError_tT2_T3_mT4_P12ihipStream_tbEUlT_E_NS1_11comp_targetILNS1_3genE2ELNS1_11target_archE906ELNS1_3gpuE6ELNS1_3repE0EEENS1_30default_config_static_selectorELNS0_4arch9wavefront6targetE0EEEvT1_.uses_flat_scratch, 0
	.set _ZN7rocprim17ROCPRIM_400000_NS6detail17trampoline_kernelINS0_14default_configENS1_25transform_config_selectorImLb1EEEZNS1_14transform_implILb1ES3_S5_PKmPmNS0_8identityImEEEE10hipError_tT2_T3_mT4_P12ihipStream_tbEUlT_E_NS1_11comp_targetILNS1_3genE2ELNS1_11target_archE906ELNS1_3gpuE6ELNS1_3repE0EEENS1_30default_config_static_selectorELNS0_4arch9wavefront6targetE0EEEvT1_.has_dyn_sized_stack, 0
	.set _ZN7rocprim17ROCPRIM_400000_NS6detail17trampoline_kernelINS0_14default_configENS1_25transform_config_selectorImLb1EEEZNS1_14transform_implILb1ES3_S5_PKmPmNS0_8identityImEEEE10hipError_tT2_T3_mT4_P12ihipStream_tbEUlT_E_NS1_11comp_targetILNS1_3genE2ELNS1_11target_archE906ELNS1_3gpuE6ELNS1_3repE0EEENS1_30default_config_static_selectorELNS0_4arch9wavefront6targetE0EEEvT1_.has_recursion, 0
	.set _ZN7rocprim17ROCPRIM_400000_NS6detail17trampoline_kernelINS0_14default_configENS1_25transform_config_selectorImLb1EEEZNS1_14transform_implILb1ES3_S5_PKmPmNS0_8identityImEEEE10hipError_tT2_T3_mT4_P12ihipStream_tbEUlT_E_NS1_11comp_targetILNS1_3genE2ELNS1_11target_archE906ELNS1_3gpuE6ELNS1_3repE0EEENS1_30default_config_static_selectorELNS0_4arch9wavefront6targetE0EEEvT1_.has_indirect_call, 0
	.section	.AMDGPU.csdata,"",@progbits
; Kernel info:
; codeLenInByte = 0
; TotalNumSgprs: 0
; NumVgprs: 0
; ScratchSize: 0
; MemoryBound: 0
; FloatMode: 240
; IeeeMode: 1
; LDSByteSize: 0 bytes/workgroup (compile time only)
; SGPRBlocks: 0
; VGPRBlocks: 0
; NumSGPRsForWavesPerEU: 1
; NumVGPRsForWavesPerEU: 1
; NamedBarCnt: 0
; Occupancy: 16
; WaveLimiterHint : 0
; COMPUTE_PGM_RSRC2:SCRATCH_EN: 0
; COMPUTE_PGM_RSRC2:USER_SGPR: 2
; COMPUTE_PGM_RSRC2:TRAP_HANDLER: 0
; COMPUTE_PGM_RSRC2:TGID_X_EN: 1
; COMPUTE_PGM_RSRC2:TGID_Y_EN: 0
; COMPUTE_PGM_RSRC2:TGID_Z_EN: 0
; COMPUTE_PGM_RSRC2:TIDIG_COMP_CNT: 0
	.section	.text._ZN7rocprim17ROCPRIM_400000_NS6detail17trampoline_kernelINS0_14default_configENS1_25transform_config_selectorImLb1EEEZNS1_14transform_implILb1ES3_S5_PKmPmNS0_8identityImEEEE10hipError_tT2_T3_mT4_P12ihipStream_tbEUlT_E_NS1_11comp_targetILNS1_3genE9ELNS1_11target_archE1100ELNS1_3gpuE3ELNS1_3repE0EEENS1_30default_config_static_selectorELNS0_4arch9wavefront6targetE0EEEvT1_,"axG",@progbits,_ZN7rocprim17ROCPRIM_400000_NS6detail17trampoline_kernelINS0_14default_configENS1_25transform_config_selectorImLb1EEEZNS1_14transform_implILb1ES3_S5_PKmPmNS0_8identityImEEEE10hipError_tT2_T3_mT4_P12ihipStream_tbEUlT_E_NS1_11comp_targetILNS1_3genE9ELNS1_11target_archE1100ELNS1_3gpuE3ELNS1_3repE0EEENS1_30default_config_static_selectorELNS0_4arch9wavefront6targetE0EEEvT1_,comdat
	.protected	_ZN7rocprim17ROCPRIM_400000_NS6detail17trampoline_kernelINS0_14default_configENS1_25transform_config_selectorImLb1EEEZNS1_14transform_implILb1ES3_S5_PKmPmNS0_8identityImEEEE10hipError_tT2_T3_mT4_P12ihipStream_tbEUlT_E_NS1_11comp_targetILNS1_3genE9ELNS1_11target_archE1100ELNS1_3gpuE3ELNS1_3repE0EEENS1_30default_config_static_selectorELNS0_4arch9wavefront6targetE0EEEvT1_ ; -- Begin function _ZN7rocprim17ROCPRIM_400000_NS6detail17trampoline_kernelINS0_14default_configENS1_25transform_config_selectorImLb1EEEZNS1_14transform_implILb1ES3_S5_PKmPmNS0_8identityImEEEE10hipError_tT2_T3_mT4_P12ihipStream_tbEUlT_E_NS1_11comp_targetILNS1_3genE9ELNS1_11target_archE1100ELNS1_3gpuE3ELNS1_3repE0EEENS1_30default_config_static_selectorELNS0_4arch9wavefront6targetE0EEEvT1_
	.globl	_ZN7rocprim17ROCPRIM_400000_NS6detail17trampoline_kernelINS0_14default_configENS1_25transform_config_selectorImLb1EEEZNS1_14transform_implILb1ES3_S5_PKmPmNS0_8identityImEEEE10hipError_tT2_T3_mT4_P12ihipStream_tbEUlT_E_NS1_11comp_targetILNS1_3genE9ELNS1_11target_archE1100ELNS1_3gpuE3ELNS1_3repE0EEENS1_30default_config_static_selectorELNS0_4arch9wavefront6targetE0EEEvT1_
	.p2align	8
	.type	_ZN7rocprim17ROCPRIM_400000_NS6detail17trampoline_kernelINS0_14default_configENS1_25transform_config_selectorImLb1EEEZNS1_14transform_implILb1ES3_S5_PKmPmNS0_8identityImEEEE10hipError_tT2_T3_mT4_P12ihipStream_tbEUlT_E_NS1_11comp_targetILNS1_3genE9ELNS1_11target_archE1100ELNS1_3gpuE3ELNS1_3repE0EEENS1_30default_config_static_selectorELNS0_4arch9wavefront6targetE0EEEvT1_,@function
_ZN7rocprim17ROCPRIM_400000_NS6detail17trampoline_kernelINS0_14default_configENS1_25transform_config_selectorImLb1EEEZNS1_14transform_implILb1ES3_S5_PKmPmNS0_8identityImEEEE10hipError_tT2_T3_mT4_P12ihipStream_tbEUlT_E_NS1_11comp_targetILNS1_3genE9ELNS1_11target_archE1100ELNS1_3gpuE3ELNS1_3repE0EEENS1_30default_config_static_selectorELNS0_4arch9wavefront6targetE0EEEvT1_: ; @_ZN7rocprim17ROCPRIM_400000_NS6detail17trampoline_kernelINS0_14default_configENS1_25transform_config_selectorImLb1EEEZNS1_14transform_implILb1ES3_S5_PKmPmNS0_8identityImEEEE10hipError_tT2_T3_mT4_P12ihipStream_tbEUlT_E_NS1_11comp_targetILNS1_3genE9ELNS1_11target_archE1100ELNS1_3gpuE3ELNS1_3repE0EEENS1_30default_config_static_selectorELNS0_4arch9wavefront6targetE0EEEvT1_
; %bb.0:
	.section	.rodata,"a",@progbits
	.p2align	6, 0x0
	.amdhsa_kernel _ZN7rocprim17ROCPRIM_400000_NS6detail17trampoline_kernelINS0_14default_configENS1_25transform_config_selectorImLb1EEEZNS1_14transform_implILb1ES3_S5_PKmPmNS0_8identityImEEEE10hipError_tT2_T3_mT4_P12ihipStream_tbEUlT_E_NS1_11comp_targetILNS1_3genE9ELNS1_11target_archE1100ELNS1_3gpuE3ELNS1_3repE0EEENS1_30default_config_static_selectorELNS0_4arch9wavefront6targetE0EEEvT1_
		.amdhsa_group_segment_fixed_size 0
		.amdhsa_private_segment_fixed_size 0
		.amdhsa_kernarg_size 40
		.amdhsa_user_sgpr_count 2
		.amdhsa_user_sgpr_dispatch_ptr 0
		.amdhsa_user_sgpr_queue_ptr 0
		.amdhsa_user_sgpr_kernarg_segment_ptr 1
		.amdhsa_user_sgpr_dispatch_id 0
		.amdhsa_user_sgpr_kernarg_preload_length 0
		.amdhsa_user_sgpr_kernarg_preload_offset 0
		.amdhsa_user_sgpr_private_segment_size 0
		.amdhsa_wavefront_size32 1
		.amdhsa_uses_dynamic_stack 0
		.amdhsa_enable_private_segment 0
		.amdhsa_system_sgpr_workgroup_id_x 1
		.amdhsa_system_sgpr_workgroup_id_y 0
		.amdhsa_system_sgpr_workgroup_id_z 0
		.amdhsa_system_sgpr_workgroup_info 0
		.amdhsa_system_vgpr_workitem_id 0
		.amdhsa_next_free_vgpr 1
		.amdhsa_next_free_sgpr 1
		.amdhsa_named_barrier_count 0
		.amdhsa_reserve_vcc 0
		.amdhsa_float_round_mode_32 0
		.amdhsa_float_round_mode_16_64 0
		.amdhsa_float_denorm_mode_32 3
		.amdhsa_float_denorm_mode_16_64 3
		.amdhsa_fp16_overflow 0
		.amdhsa_memory_ordered 1
		.amdhsa_forward_progress 1
		.amdhsa_inst_pref_size 0
		.amdhsa_round_robin_scheduling 0
		.amdhsa_exception_fp_ieee_invalid_op 0
		.amdhsa_exception_fp_denorm_src 0
		.amdhsa_exception_fp_ieee_div_zero 0
		.amdhsa_exception_fp_ieee_overflow 0
		.amdhsa_exception_fp_ieee_underflow 0
		.amdhsa_exception_fp_ieee_inexact 0
		.amdhsa_exception_int_div_zero 0
	.end_amdhsa_kernel
	.section	.text._ZN7rocprim17ROCPRIM_400000_NS6detail17trampoline_kernelINS0_14default_configENS1_25transform_config_selectorImLb1EEEZNS1_14transform_implILb1ES3_S5_PKmPmNS0_8identityImEEEE10hipError_tT2_T3_mT4_P12ihipStream_tbEUlT_E_NS1_11comp_targetILNS1_3genE9ELNS1_11target_archE1100ELNS1_3gpuE3ELNS1_3repE0EEENS1_30default_config_static_selectorELNS0_4arch9wavefront6targetE0EEEvT1_,"axG",@progbits,_ZN7rocprim17ROCPRIM_400000_NS6detail17trampoline_kernelINS0_14default_configENS1_25transform_config_selectorImLb1EEEZNS1_14transform_implILb1ES3_S5_PKmPmNS0_8identityImEEEE10hipError_tT2_T3_mT4_P12ihipStream_tbEUlT_E_NS1_11comp_targetILNS1_3genE9ELNS1_11target_archE1100ELNS1_3gpuE3ELNS1_3repE0EEENS1_30default_config_static_selectorELNS0_4arch9wavefront6targetE0EEEvT1_,comdat
.Lfunc_end2878:
	.size	_ZN7rocprim17ROCPRIM_400000_NS6detail17trampoline_kernelINS0_14default_configENS1_25transform_config_selectorImLb1EEEZNS1_14transform_implILb1ES3_S5_PKmPmNS0_8identityImEEEE10hipError_tT2_T3_mT4_P12ihipStream_tbEUlT_E_NS1_11comp_targetILNS1_3genE9ELNS1_11target_archE1100ELNS1_3gpuE3ELNS1_3repE0EEENS1_30default_config_static_selectorELNS0_4arch9wavefront6targetE0EEEvT1_, .Lfunc_end2878-_ZN7rocprim17ROCPRIM_400000_NS6detail17trampoline_kernelINS0_14default_configENS1_25transform_config_selectorImLb1EEEZNS1_14transform_implILb1ES3_S5_PKmPmNS0_8identityImEEEE10hipError_tT2_T3_mT4_P12ihipStream_tbEUlT_E_NS1_11comp_targetILNS1_3genE9ELNS1_11target_archE1100ELNS1_3gpuE3ELNS1_3repE0EEENS1_30default_config_static_selectorELNS0_4arch9wavefront6targetE0EEEvT1_
                                        ; -- End function
	.set _ZN7rocprim17ROCPRIM_400000_NS6detail17trampoline_kernelINS0_14default_configENS1_25transform_config_selectorImLb1EEEZNS1_14transform_implILb1ES3_S5_PKmPmNS0_8identityImEEEE10hipError_tT2_T3_mT4_P12ihipStream_tbEUlT_E_NS1_11comp_targetILNS1_3genE9ELNS1_11target_archE1100ELNS1_3gpuE3ELNS1_3repE0EEENS1_30default_config_static_selectorELNS0_4arch9wavefront6targetE0EEEvT1_.num_vgpr, 0
	.set _ZN7rocprim17ROCPRIM_400000_NS6detail17trampoline_kernelINS0_14default_configENS1_25transform_config_selectorImLb1EEEZNS1_14transform_implILb1ES3_S5_PKmPmNS0_8identityImEEEE10hipError_tT2_T3_mT4_P12ihipStream_tbEUlT_E_NS1_11comp_targetILNS1_3genE9ELNS1_11target_archE1100ELNS1_3gpuE3ELNS1_3repE0EEENS1_30default_config_static_selectorELNS0_4arch9wavefront6targetE0EEEvT1_.num_agpr, 0
	.set _ZN7rocprim17ROCPRIM_400000_NS6detail17trampoline_kernelINS0_14default_configENS1_25transform_config_selectorImLb1EEEZNS1_14transform_implILb1ES3_S5_PKmPmNS0_8identityImEEEE10hipError_tT2_T3_mT4_P12ihipStream_tbEUlT_E_NS1_11comp_targetILNS1_3genE9ELNS1_11target_archE1100ELNS1_3gpuE3ELNS1_3repE0EEENS1_30default_config_static_selectorELNS0_4arch9wavefront6targetE0EEEvT1_.numbered_sgpr, 0
	.set _ZN7rocprim17ROCPRIM_400000_NS6detail17trampoline_kernelINS0_14default_configENS1_25transform_config_selectorImLb1EEEZNS1_14transform_implILb1ES3_S5_PKmPmNS0_8identityImEEEE10hipError_tT2_T3_mT4_P12ihipStream_tbEUlT_E_NS1_11comp_targetILNS1_3genE9ELNS1_11target_archE1100ELNS1_3gpuE3ELNS1_3repE0EEENS1_30default_config_static_selectorELNS0_4arch9wavefront6targetE0EEEvT1_.num_named_barrier, 0
	.set _ZN7rocprim17ROCPRIM_400000_NS6detail17trampoline_kernelINS0_14default_configENS1_25transform_config_selectorImLb1EEEZNS1_14transform_implILb1ES3_S5_PKmPmNS0_8identityImEEEE10hipError_tT2_T3_mT4_P12ihipStream_tbEUlT_E_NS1_11comp_targetILNS1_3genE9ELNS1_11target_archE1100ELNS1_3gpuE3ELNS1_3repE0EEENS1_30default_config_static_selectorELNS0_4arch9wavefront6targetE0EEEvT1_.private_seg_size, 0
	.set _ZN7rocprim17ROCPRIM_400000_NS6detail17trampoline_kernelINS0_14default_configENS1_25transform_config_selectorImLb1EEEZNS1_14transform_implILb1ES3_S5_PKmPmNS0_8identityImEEEE10hipError_tT2_T3_mT4_P12ihipStream_tbEUlT_E_NS1_11comp_targetILNS1_3genE9ELNS1_11target_archE1100ELNS1_3gpuE3ELNS1_3repE0EEENS1_30default_config_static_selectorELNS0_4arch9wavefront6targetE0EEEvT1_.uses_vcc, 0
	.set _ZN7rocprim17ROCPRIM_400000_NS6detail17trampoline_kernelINS0_14default_configENS1_25transform_config_selectorImLb1EEEZNS1_14transform_implILb1ES3_S5_PKmPmNS0_8identityImEEEE10hipError_tT2_T3_mT4_P12ihipStream_tbEUlT_E_NS1_11comp_targetILNS1_3genE9ELNS1_11target_archE1100ELNS1_3gpuE3ELNS1_3repE0EEENS1_30default_config_static_selectorELNS0_4arch9wavefront6targetE0EEEvT1_.uses_flat_scratch, 0
	.set _ZN7rocprim17ROCPRIM_400000_NS6detail17trampoline_kernelINS0_14default_configENS1_25transform_config_selectorImLb1EEEZNS1_14transform_implILb1ES3_S5_PKmPmNS0_8identityImEEEE10hipError_tT2_T3_mT4_P12ihipStream_tbEUlT_E_NS1_11comp_targetILNS1_3genE9ELNS1_11target_archE1100ELNS1_3gpuE3ELNS1_3repE0EEENS1_30default_config_static_selectorELNS0_4arch9wavefront6targetE0EEEvT1_.has_dyn_sized_stack, 0
	.set _ZN7rocprim17ROCPRIM_400000_NS6detail17trampoline_kernelINS0_14default_configENS1_25transform_config_selectorImLb1EEEZNS1_14transform_implILb1ES3_S5_PKmPmNS0_8identityImEEEE10hipError_tT2_T3_mT4_P12ihipStream_tbEUlT_E_NS1_11comp_targetILNS1_3genE9ELNS1_11target_archE1100ELNS1_3gpuE3ELNS1_3repE0EEENS1_30default_config_static_selectorELNS0_4arch9wavefront6targetE0EEEvT1_.has_recursion, 0
	.set _ZN7rocprim17ROCPRIM_400000_NS6detail17trampoline_kernelINS0_14default_configENS1_25transform_config_selectorImLb1EEEZNS1_14transform_implILb1ES3_S5_PKmPmNS0_8identityImEEEE10hipError_tT2_T3_mT4_P12ihipStream_tbEUlT_E_NS1_11comp_targetILNS1_3genE9ELNS1_11target_archE1100ELNS1_3gpuE3ELNS1_3repE0EEENS1_30default_config_static_selectorELNS0_4arch9wavefront6targetE0EEEvT1_.has_indirect_call, 0
	.section	.AMDGPU.csdata,"",@progbits
; Kernel info:
; codeLenInByte = 0
; TotalNumSgprs: 0
; NumVgprs: 0
; ScratchSize: 0
; MemoryBound: 0
; FloatMode: 240
; IeeeMode: 1
; LDSByteSize: 0 bytes/workgroup (compile time only)
; SGPRBlocks: 0
; VGPRBlocks: 0
; NumSGPRsForWavesPerEU: 1
; NumVGPRsForWavesPerEU: 1
; NamedBarCnt: 0
; Occupancy: 16
; WaveLimiterHint : 0
; COMPUTE_PGM_RSRC2:SCRATCH_EN: 0
; COMPUTE_PGM_RSRC2:USER_SGPR: 2
; COMPUTE_PGM_RSRC2:TRAP_HANDLER: 0
; COMPUTE_PGM_RSRC2:TGID_X_EN: 1
; COMPUTE_PGM_RSRC2:TGID_Y_EN: 0
; COMPUTE_PGM_RSRC2:TGID_Z_EN: 0
; COMPUTE_PGM_RSRC2:TIDIG_COMP_CNT: 0
	.section	.text._ZN7rocprim17ROCPRIM_400000_NS6detail17trampoline_kernelINS0_14default_configENS1_25transform_config_selectorImLb1EEEZNS1_14transform_implILb1ES3_S5_PKmPmNS0_8identityImEEEE10hipError_tT2_T3_mT4_P12ihipStream_tbEUlT_E_NS1_11comp_targetILNS1_3genE8ELNS1_11target_archE1030ELNS1_3gpuE2ELNS1_3repE0EEENS1_30default_config_static_selectorELNS0_4arch9wavefront6targetE0EEEvT1_,"axG",@progbits,_ZN7rocprim17ROCPRIM_400000_NS6detail17trampoline_kernelINS0_14default_configENS1_25transform_config_selectorImLb1EEEZNS1_14transform_implILb1ES3_S5_PKmPmNS0_8identityImEEEE10hipError_tT2_T3_mT4_P12ihipStream_tbEUlT_E_NS1_11comp_targetILNS1_3genE8ELNS1_11target_archE1030ELNS1_3gpuE2ELNS1_3repE0EEENS1_30default_config_static_selectorELNS0_4arch9wavefront6targetE0EEEvT1_,comdat
	.protected	_ZN7rocprim17ROCPRIM_400000_NS6detail17trampoline_kernelINS0_14default_configENS1_25transform_config_selectorImLb1EEEZNS1_14transform_implILb1ES3_S5_PKmPmNS0_8identityImEEEE10hipError_tT2_T3_mT4_P12ihipStream_tbEUlT_E_NS1_11comp_targetILNS1_3genE8ELNS1_11target_archE1030ELNS1_3gpuE2ELNS1_3repE0EEENS1_30default_config_static_selectorELNS0_4arch9wavefront6targetE0EEEvT1_ ; -- Begin function _ZN7rocprim17ROCPRIM_400000_NS6detail17trampoline_kernelINS0_14default_configENS1_25transform_config_selectorImLb1EEEZNS1_14transform_implILb1ES3_S5_PKmPmNS0_8identityImEEEE10hipError_tT2_T3_mT4_P12ihipStream_tbEUlT_E_NS1_11comp_targetILNS1_3genE8ELNS1_11target_archE1030ELNS1_3gpuE2ELNS1_3repE0EEENS1_30default_config_static_selectorELNS0_4arch9wavefront6targetE0EEEvT1_
	.globl	_ZN7rocprim17ROCPRIM_400000_NS6detail17trampoline_kernelINS0_14default_configENS1_25transform_config_selectorImLb1EEEZNS1_14transform_implILb1ES3_S5_PKmPmNS0_8identityImEEEE10hipError_tT2_T3_mT4_P12ihipStream_tbEUlT_E_NS1_11comp_targetILNS1_3genE8ELNS1_11target_archE1030ELNS1_3gpuE2ELNS1_3repE0EEENS1_30default_config_static_selectorELNS0_4arch9wavefront6targetE0EEEvT1_
	.p2align	8
	.type	_ZN7rocprim17ROCPRIM_400000_NS6detail17trampoline_kernelINS0_14default_configENS1_25transform_config_selectorImLb1EEEZNS1_14transform_implILb1ES3_S5_PKmPmNS0_8identityImEEEE10hipError_tT2_T3_mT4_P12ihipStream_tbEUlT_E_NS1_11comp_targetILNS1_3genE8ELNS1_11target_archE1030ELNS1_3gpuE2ELNS1_3repE0EEENS1_30default_config_static_selectorELNS0_4arch9wavefront6targetE0EEEvT1_,@function
_ZN7rocprim17ROCPRIM_400000_NS6detail17trampoline_kernelINS0_14default_configENS1_25transform_config_selectorImLb1EEEZNS1_14transform_implILb1ES3_S5_PKmPmNS0_8identityImEEEE10hipError_tT2_T3_mT4_P12ihipStream_tbEUlT_E_NS1_11comp_targetILNS1_3genE8ELNS1_11target_archE1030ELNS1_3gpuE2ELNS1_3repE0EEENS1_30default_config_static_selectorELNS0_4arch9wavefront6targetE0EEEvT1_: ; @_ZN7rocprim17ROCPRIM_400000_NS6detail17trampoline_kernelINS0_14default_configENS1_25transform_config_selectorImLb1EEEZNS1_14transform_implILb1ES3_S5_PKmPmNS0_8identityImEEEE10hipError_tT2_T3_mT4_P12ihipStream_tbEUlT_E_NS1_11comp_targetILNS1_3genE8ELNS1_11target_archE1030ELNS1_3gpuE2ELNS1_3repE0EEENS1_30default_config_static_selectorELNS0_4arch9wavefront6targetE0EEEvT1_
; %bb.0:
	.section	.rodata,"a",@progbits
	.p2align	6, 0x0
	.amdhsa_kernel _ZN7rocprim17ROCPRIM_400000_NS6detail17trampoline_kernelINS0_14default_configENS1_25transform_config_selectorImLb1EEEZNS1_14transform_implILb1ES3_S5_PKmPmNS0_8identityImEEEE10hipError_tT2_T3_mT4_P12ihipStream_tbEUlT_E_NS1_11comp_targetILNS1_3genE8ELNS1_11target_archE1030ELNS1_3gpuE2ELNS1_3repE0EEENS1_30default_config_static_selectorELNS0_4arch9wavefront6targetE0EEEvT1_
		.amdhsa_group_segment_fixed_size 0
		.amdhsa_private_segment_fixed_size 0
		.amdhsa_kernarg_size 40
		.amdhsa_user_sgpr_count 2
		.amdhsa_user_sgpr_dispatch_ptr 0
		.amdhsa_user_sgpr_queue_ptr 0
		.amdhsa_user_sgpr_kernarg_segment_ptr 1
		.amdhsa_user_sgpr_dispatch_id 0
		.amdhsa_user_sgpr_kernarg_preload_length 0
		.amdhsa_user_sgpr_kernarg_preload_offset 0
		.amdhsa_user_sgpr_private_segment_size 0
		.amdhsa_wavefront_size32 1
		.amdhsa_uses_dynamic_stack 0
		.amdhsa_enable_private_segment 0
		.amdhsa_system_sgpr_workgroup_id_x 1
		.amdhsa_system_sgpr_workgroup_id_y 0
		.amdhsa_system_sgpr_workgroup_id_z 0
		.amdhsa_system_sgpr_workgroup_info 0
		.amdhsa_system_vgpr_workitem_id 0
		.amdhsa_next_free_vgpr 1
		.amdhsa_next_free_sgpr 1
		.amdhsa_named_barrier_count 0
		.amdhsa_reserve_vcc 0
		.amdhsa_float_round_mode_32 0
		.amdhsa_float_round_mode_16_64 0
		.amdhsa_float_denorm_mode_32 3
		.amdhsa_float_denorm_mode_16_64 3
		.amdhsa_fp16_overflow 0
		.amdhsa_memory_ordered 1
		.amdhsa_forward_progress 1
		.amdhsa_inst_pref_size 0
		.amdhsa_round_robin_scheduling 0
		.amdhsa_exception_fp_ieee_invalid_op 0
		.amdhsa_exception_fp_denorm_src 0
		.amdhsa_exception_fp_ieee_div_zero 0
		.amdhsa_exception_fp_ieee_overflow 0
		.amdhsa_exception_fp_ieee_underflow 0
		.amdhsa_exception_fp_ieee_inexact 0
		.amdhsa_exception_int_div_zero 0
	.end_amdhsa_kernel
	.section	.text._ZN7rocprim17ROCPRIM_400000_NS6detail17trampoline_kernelINS0_14default_configENS1_25transform_config_selectorImLb1EEEZNS1_14transform_implILb1ES3_S5_PKmPmNS0_8identityImEEEE10hipError_tT2_T3_mT4_P12ihipStream_tbEUlT_E_NS1_11comp_targetILNS1_3genE8ELNS1_11target_archE1030ELNS1_3gpuE2ELNS1_3repE0EEENS1_30default_config_static_selectorELNS0_4arch9wavefront6targetE0EEEvT1_,"axG",@progbits,_ZN7rocprim17ROCPRIM_400000_NS6detail17trampoline_kernelINS0_14default_configENS1_25transform_config_selectorImLb1EEEZNS1_14transform_implILb1ES3_S5_PKmPmNS0_8identityImEEEE10hipError_tT2_T3_mT4_P12ihipStream_tbEUlT_E_NS1_11comp_targetILNS1_3genE8ELNS1_11target_archE1030ELNS1_3gpuE2ELNS1_3repE0EEENS1_30default_config_static_selectorELNS0_4arch9wavefront6targetE0EEEvT1_,comdat
.Lfunc_end2879:
	.size	_ZN7rocprim17ROCPRIM_400000_NS6detail17trampoline_kernelINS0_14default_configENS1_25transform_config_selectorImLb1EEEZNS1_14transform_implILb1ES3_S5_PKmPmNS0_8identityImEEEE10hipError_tT2_T3_mT4_P12ihipStream_tbEUlT_E_NS1_11comp_targetILNS1_3genE8ELNS1_11target_archE1030ELNS1_3gpuE2ELNS1_3repE0EEENS1_30default_config_static_selectorELNS0_4arch9wavefront6targetE0EEEvT1_, .Lfunc_end2879-_ZN7rocprim17ROCPRIM_400000_NS6detail17trampoline_kernelINS0_14default_configENS1_25transform_config_selectorImLb1EEEZNS1_14transform_implILb1ES3_S5_PKmPmNS0_8identityImEEEE10hipError_tT2_T3_mT4_P12ihipStream_tbEUlT_E_NS1_11comp_targetILNS1_3genE8ELNS1_11target_archE1030ELNS1_3gpuE2ELNS1_3repE0EEENS1_30default_config_static_selectorELNS0_4arch9wavefront6targetE0EEEvT1_
                                        ; -- End function
	.set _ZN7rocprim17ROCPRIM_400000_NS6detail17trampoline_kernelINS0_14default_configENS1_25transform_config_selectorImLb1EEEZNS1_14transform_implILb1ES3_S5_PKmPmNS0_8identityImEEEE10hipError_tT2_T3_mT4_P12ihipStream_tbEUlT_E_NS1_11comp_targetILNS1_3genE8ELNS1_11target_archE1030ELNS1_3gpuE2ELNS1_3repE0EEENS1_30default_config_static_selectorELNS0_4arch9wavefront6targetE0EEEvT1_.num_vgpr, 0
	.set _ZN7rocprim17ROCPRIM_400000_NS6detail17trampoline_kernelINS0_14default_configENS1_25transform_config_selectorImLb1EEEZNS1_14transform_implILb1ES3_S5_PKmPmNS0_8identityImEEEE10hipError_tT2_T3_mT4_P12ihipStream_tbEUlT_E_NS1_11comp_targetILNS1_3genE8ELNS1_11target_archE1030ELNS1_3gpuE2ELNS1_3repE0EEENS1_30default_config_static_selectorELNS0_4arch9wavefront6targetE0EEEvT1_.num_agpr, 0
	.set _ZN7rocprim17ROCPRIM_400000_NS6detail17trampoline_kernelINS0_14default_configENS1_25transform_config_selectorImLb1EEEZNS1_14transform_implILb1ES3_S5_PKmPmNS0_8identityImEEEE10hipError_tT2_T3_mT4_P12ihipStream_tbEUlT_E_NS1_11comp_targetILNS1_3genE8ELNS1_11target_archE1030ELNS1_3gpuE2ELNS1_3repE0EEENS1_30default_config_static_selectorELNS0_4arch9wavefront6targetE0EEEvT1_.numbered_sgpr, 0
	.set _ZN7rocprim17ROCPRIM_400000_NS6detail17trampoline_kernelINS0_14default_configENS1_25transform_config_selectorImLb1EEEZNS1_14transform_implILb1ES3_S5_PKmPmNS0_8identityImEEEE10hipError_tT2_T3_mT4_P12ihipStream_tbEUlT_E_NS1_11comp_targetILNS1_3genE8ELNS1_11target_archE1030ELNS1_3gpuE2ELNS1_3repE0EEENS1_30default_config_static_selectorELNS0_4arch9wavefront6targetE0EEEvT1_.num_named_barrier, 0
	.set _ZN7rocprim17ROCPRIM_400000_NS6detail17trampoline_kernelINS0_14default_configENS1_25transform_config_selectorImLb1EEEZNS1_14transform_implILb1ES3_S5_PKmPmNS0_8identityImEEEE10hipError_tT2_T3_mT4_P12ihipStream_tbEUlT_E_NS1_11comp_targetILNS1_3genE8ELNS1_11target_archE1030ELNS1_3gpuE2ELNS1_3repE0EEENS1_30default_config_static_selectorELNS0_4arch9wavefront6targetE0EEEvT1_.private_seg_size, 0
	.set _ZN7rocprim17ROCPRIM_400000_NS6detail17trampoline_kernelINS0_14default_configENS1_25transform_config_selectorImLb1EEEZNS1_14transform_implILb1ES3_S5_PKmPmNS0_8identityImEEEE10hipError_tT2_T3_mT4_P12ihipStream_tbEUlT_E_NS1_11comp_targetILNS1_3genE8ELNS1_11target_archE1030ELNS1_3gpuE2ELNS1_3repE0EEENS1_30default_config_static_selectorELNS0_4arch9wavefront6targetE0EEEvT1_.uses_vcc, 0
	.set _ZN7rocprim17ROCPRIM_400000_NS6detail17trampoline_kernelINS0_14default_configENS1_25transform_config_selectorImLb1EEEZNS1_14transform_implILb1ES3_S5_PKmPmNS0_8identityImEEEE10hipError_tT2_T3_mT4_P12ihipStream_tbEUlT_E_NS1_11comp_targetILNS1_3genE8ELNS1_11target_archE1030ELNS1_3gpuE2ELNS1_3repE0EEENS1_30default_config_static_selectorELNS0_4arch9wavefront6targetE0EEEvT1_.uses_flat_scratch, 0
	.set _ZN7rocprim17ROCPRIM_400000_NS6detail17trampoline_kernelINS0_14default_configENS1_25transform_config_selectorImLb1EEEZNS1_14transform_implILb1ES3_S5_PKmPmNS0_8identityImEEEE10hipError_tT2_T3_mT4_P12ihipStream_tbEUlT_E_NS1_11comp_targetILNS1_3genE8ELNS1_11target_archE1030ELNS1_3gpuE2ELNS1_3repE0EEENS1_30default_config_static_selectorELNS0_4arch9wavefront6targetE0EEEvT1_.has_dyn_sized_stack, 0
	.set _ZN7rocprim17ROCPRIM_400000_NS6detail17trampoline_kernelINS0_14default_configENS1_25transform_config_selectorImLb1EEEZNS1_14transform_implILb1ES3_S5_PKmPmNS0_8identityImEEEE10hipError_tT2_T3_mT4_P12ihipStream_tbEUlT_E_NS1_11comp_targetILNS1_3genE8ELNS1_11target_archE1030ELNS1_3gpuE2ELNS1_3repE0EEENS1_30default_config_static_selectorELNS0_4arch9wavefront6targetE0EEEvT1_.has_recursion, 0
	.set _ZN7rocprim17ROCPRIM_400000_NS6detail17trampoline_kernelINS0_14default_configENS1_25transform_config_selectorImLb1EEEZNS1_14transform_implILb1ES3_S5_PKmPmNS0_8identityImEEEE10hipError_tT2_T3_mT4_P12ihipStream_tbEUlT_E_NS1_11comp_targetILNS1_3genE8ELNS1_11target_archE1030ELNS1_3gpuE2ELNS1_3repE0EEENS1_30default_config_static_selectorELNS0_4arch9wavefront6targetE0EEEvT1_.has_indirect_call, 0
	.section	.AMDGPU.csdata,"",@progbits
; Kernel info:
; codeLenInByte = 0
; TotalNumSgprs: 0
; NumVgprs: 0
; ScratchSize: 0
; MemoryBound: 0
; FloatMode: 240
; IeeeMode: 1
; LDSByteSize: 0 bytes/workgroup (compile time only)
; SGPRBlocks: 0
; VGPRBlocks: 0
; NumSGPRsForWavesPerEU: 1
; NumVGPRsForWavesPerEU: 1
; NamedBarCnt: 0
; Occupancy: 16
; WaveLimiterHint : 0
; COMPUTE_PGM_RSRC2:SCRATCH_EN: 0
; COMPUTE_PGM_RSRC2:USER_SGPR: 2
; COMPUTE_PGM_RSRC2:TRAP_HANDLER: 0
; COMPUTE_PGM_RSRC2:TGID_X_EN: 1
; COMPUTE_PGM_RSRC2:TGID_Y_EN: 0
; COMPUTE_PGM_RSRC2:TGID_Z_EN: 0
; COMPUTE_PGM_RSRC2:TIDIG_COMP_CNT: 0
	.section	.text._ZN7rocprim17ROCPRIM_400000_NS6detail17trampoline_kernelINS0_14default_configENS1_35radix_sort_onesweep_config_selectorImNS0_10empty_typeEEEZZNS1_29radix_sort_onesweep_iterationIS3_Lb1EPKmPmPS5_SB_mNS0_19identity_decomposerENS1_16block_id_wrapperIjLb1EEEEE10hipError_tT1_PNSt15iterator_traitsISG_E10value_typeET2_T3_PNSH_ISM_E10value_typeET4_T5_PSR_SS_PNS1_23onesweep_lookback_stateEbbT6_jjT7_P12ihipStream_tbENKUlT_T0_SG_SL_E_clIS9_SA_SB_SB_EEDaSZ_S10_SG_SL_EUlSZ_E_NS1_11comp_targetILNS1_3genE0ELNS1_11target_archE4294967295ELNS1_3gpuE0ELNS1_3repE0EEENS1_47radix_sort_onesweep_sort_config_static_selectorELNS0_4arch9wavefront6targetE0EEEvSG_,"axG",@progbits,_ZN7rocprim17ROCPRIM_400000_NS6detail17trampoline_kernelINS0_14default_configENS1_35radix_sort_onesweep_config_selectorImNS0_10empty_typeEEEZZNS1_29radix_sort_onesweep_iterationIS3_Lb1EPKmPmPS5_SB_mNS0_19identity_decomposerENS1_16block_id_wrapperIjLb1EEEEE10hipError_tT1_PNSt15iterator_traitsISG_E10value_typeET2_T3_PNSH_ISM_E10value_typeET4_T5_PSR_SS_PNS1_23onesweep_lookback_stateEbbT6_jjT7_P12ihipStream_tbENKUlT_T0_SG_SL_E_clIS9_SA_SB_SB_EEDaSZ_S10_SG_SL_EUlSZ_E_NS1_11comp_targetILNS1_3genE0ELNS1_11target_archE4294967295ELNS1_3gpuE0ELNS1_3repE0EEENS1_47radix_sort_onesweep_sort_config_static_selectorELNS0_4arch9wavefront6targetE0EEEvSG_,comdat
	.protected	_ZN7rocprim17ROCPRIM_400000_NS6detail17trampoline_kernelINS0_14default_configENS1_35radix_sort_onesweep_config_selectorImNS0_10empty_typeEEEZZNS1_29radix_sort_onesweep_iterationIS3_Lb1EPKmPmPS5_SB_mNS0_19identity_decomposerENS1_16block_id_wrapperIjLb1EEEEE10hipError_tT1_PNSt15iterator_traitsISG_E10value_typeET2_T3_PNSH_ISM_E10value_typeET4_T5_PSR_SS_PNS1_23onesweep_lookback_stateEbbT6_jjT7_P12ihipStream_tbENKUlT_T0_SG_SL_E_clIS9_SA_SB_SB_EEDaSZ_S10_SG_SL_EUlSZ_E_NS1_11comp_targetILNS1_3genE0ELNS1_11target_archE4294967295ELNS1_3gpuE0ELNS1_3repE0EEENS1_47radix_sort_onesweep_sort_config_static_selectorELNS0_4arch9wavefront6targetE0EEEvSG_ ; -- Begin function _ZN7rocprim17ROCPRIM_400000_NS6detail17trampoline_kernelINS0_14default_configENS1_35radix_sort_onesweep_config_selectorImNS0_10empty_typeEEEZZNS1_29radix_sort_onesweep_iterationIS3_Lb1EPKmPmPS5_SB_mNS0_19identity_decomposerENS1_16block_id_wrapperIjLb1EEEEE10hipError_tT1_PNSt15iterator_traitsISG_E10value_typeET2_T3_PNSH_ISM_E10value_typeET4_T5_PSR_SS_PNS1_23onesweep_lookback_stateEbbT6_jjT7_P12ihipStream_tbENKUlT_T0_SG_SL_E_clIS9_SA_SB_SB_EEDaSZ_S10_SG_SL_EUlSZ_E_NS1_11comp_targetILNS1_3genE0ELNS1_11target_archE4294967295ELNS1_3gpuE0ELNS1_3repE0EEENS1_47radix_sort_onesweep_sort_config_static_selectorELNS0_4arch9wavefront6targetE0EEEvSG_
	.globl	_ZN7rocprim17ROCPRIM_400000_NS6detail17trampoline_kernelINS0_14default_configENS1_35radix_sort_onesweep_config_selectorImNS0_10empty_typeEEEZZNS1_29radix_sort_onesweep_iterationIS3_Lb1EPKmPmPS5_SB_mNS0_19identity_decomposerENS1_16block_id_wrapperIjLb1EEEEE10hipError_tT1_PNSt15iterator_traitsISG_E10value_typeET2_T3_PNSH_ISM_E10value_typeET4_T5_PSR_SS_PNS1_23onesweep_lookback_stateEbbT6_jjT7_P12ihipStream_tbENKUlT_T0_SG_SL_E_clIS9_SA_SB_SB_EEDaSZ_S10_SG_SL_EUlSZ_E_NS1_11comp_targetILNS1_3genE0ELNS1_11target_archE4294967295ELNS1_3gpuE0ELNS1_3repE0EEENS1_47radix_sort_onesweep_sort_config_static_selectorELNS0_4arch9wavefront6targetE0EEEvSG_
	.p2align	8
	.type	_ZN7rocprim17ROCPRIM_400000_NS6detail17trampoline_kernelINS0_14default_configENS1_35radix_sort_onesweep_config_selectorImNS0_10empty_typeEEEZZNS1_29radix_sort_onesweep_iterationIS3_Lb1EPKmPmPS5_SB_mNS0_19identity_decomposerENS1_16block_id_wrapperIjLb1EEEEE10hipError_tT1_PNSt15iterator_traitsISG_E10value_typeET2_T3_PNSH_ISM_E10value_typeET4_T5_PSR_SS_PNS1_23onesweep_lookback_stateEbbT6_jjT7_P12ihipStream_tbENKUlT_T0_SG_SL_E_clIS9_SA_SB_SB_EEDaSZ_S10_SG_SL_EUlSZ_E_NS1_11comp_targetILNS1_3genE0ELNS1_11target_archE4294967295ELNS1_3gpuE0ELNS1_3repE0EEENS1_47radix_sort_onesweep_sort_config_static_selectorELNS0_4arch9wavefront6targetE0EEEvSG_,@function
_ZN7rocprim17ROCPRIM_400000_NS6detail17trampoline_kernelINS0_14default_configENS1_35radix_sort_onesweep_config_selectorImNS0_10empty_typeEEEZZNS1_29radix_sort_onesweep_iterationIS3_Lb1EPKmPmPS5_SB_mNS0_19identity_decomposerENS1_16block_id_wrapperIjLb1EEEEE10hipError_tT1_PNSt15iterator_traitsISG_E10value_typeET2_T3_PNSH_ISM_E10value_typeET4_T5_PSR_SS_PNS1_23onesweep_lookback_stateEbbT6_jjT7_P12ihipStream_tbENKUlT_T0_SG_SL_E_clIS9_SA_SB_SB_EEDaSZ_S10_SG_SL_EUlSZ_E_NS1_11comp_targetILNS1_3genE0ELNS1_11target_archE4294967295ELNS1_3gpuE0ELNS1_3repE0EEENS1_47radix_sort_onesweep_sort_config_static_selectorELNS0_4arch9wavefront6targetE0EEEvSG_: ; @_ZN7rocprim17ROCPRIM_400000_NS6detail17trampoline_kernelINS0_14default_configENS1_35radix_sort_onesweep_config_selectorImNS0_10empty_typeEEEZZNS1_29radix_sort_onesweep_iterationIS3_Lb1EPKmPmPS5_SB_mNS0_19identity_decomposerENS1_16block_id_wrapperIjLb1EEEEE10hipError_tT1_PNSt15iterator_traitsISG_E10value_typeET2_T3_PNSH_ISM_E10value_typeET4_T5_PSR_SS_PNS1_23onesweep_lookback_stateEbbT6_jjT7_P12ihipStream_tbENKUlT_T0_SG_SL_E_clIS9_SA_SB_SB_EEDaSZ_S10_SG_SL_EUlSZ_E_NS1_11comp_targetILNS1_3genE0ELNS1_11target_archE4294967295ELNS1_3gpuE0ELNS1_3repE0EEENS1_47radix_sort_onesweep_sort_config_static_selectorELNS0_4arch9wavefront6targetE0EEEvSG_
; %bb.0:
	s_clause 0x1
	s_load_b128 s[8:11], s[0:1], 0x28
	s_load_b64 s[20:21], s[0:1], 0x38
	v_and_b32_e32 v32, 0x3ff, v0
	s_delay_alu instid0(VALU_DEP_1)
	v_cmp_eq_u32_e64 s2, 0, v32
	s_and_saveexec_b32 s3, s2
	s_cbranch_execz .LBB2880_4
; %bb.1:
	s_mov_b32 s5, exec_lo
	s_mov_b32 s4, exec_lo
	v_mbcnt_lo_u32_b32 v1, s5, 0
                                        ; implicit-def: $vgpr2
	s_delay_alu instid0(VALU_DEP_1)
	v_cmpx_eq_u32_e32 0, v1
	s_cbranch_execz .LBB2880_3
; %bb.2:
	s_load_b64 s[6:7], s[0:1], 0x50
	s_bcnt1_i32_b32 s5, s5
	s_delay_alu instid0(SALU_CYCLE_1)
	v_dual_mov_b32 v2, 0 :: v_dual_mov_b32 v3, s5
	s_wait_xcnt 0x0
	s_wait_kmcnt 0x0
	global_atomic_add_u32 v2, v2, v3, s[6:7] th:TH_ATOMIC_RETURN scope:SCOPE_DEV
.LBB2880_3:
	s_wait_xcnt 0x0
	s_or_b32 exec_lo, exec_lo, s4
	s_wait_loadcnt 0x0
	v_readfirstlane_b32 s4, v2
	s_delay_alu instid0(VALU_DEP_1)
	v_dual_mov_b32 v2, 0 :: v_dual_add_nc_u32 v1, s4, v1
	ds_store_b32 v2, v1 offset:18496
.LBB2880_4:
	s_or_b32 exec_lo, exec_lo, s3
	v_dual_mov_b32 v7, 0 :: v_dual_lshlrev_b32 v2, 3, v32
	s_clause 0x2
	s_load_b128 s[12:15], s[0:1], 0x0
	s_load_b32 s3, s[0:1], 0x20
	s_load_b96 s[16:18], s[0:1], 0x44
	s_wait_dscnt 0x0
	s_barrier_signal -1
	s_barrier_wait -1
	ds_load_b32 v1, v7 offset:18496
	v_mbcnt_lo_u32_b32 v33, -1, 0
	s_mov_b32 s4, -1
	s_add_nc_u64 s[22:23], s[0:1], 0x58
	s_getreg_b32 s7, hwreg(HW_REG_IB_STS2, 6, 4)
	s_wait_dscnt 0x0
	s_barrier_signal -1
	s_barrier_wait -1
	s_wait_kmcnt 0x0
	v_cmp_le_u32_e32 vcc_lo, s18, v1
	v_readfirstlane_b32 s19, v1
	s_cbranch_vccz .LBB2880_70
; %bb.5:
	s_lshl_b32 s4, s19, 12
	s_mov_b32 s5, 0
	v_lshlrev_b32_e32 v6, 3, v33
	s_lshl_b64 s[4:5], s[4:5], 3
	v_and_b32_e32 v1, 0x1f00, v2
	s_add_nc_u64 s[4:5], s[12:13], s[4:5]
	v_mov_b64_e32 v[4:5], -1
	v_add_nc_u64_e32 v[8:9], s[4:5], v[6:7]
	s_lshl_b32 s4, s18, 12
	v_dual_lshlrev_b32 v6, 3, v1 :: v_dual_bitop2_b32 v1, v33, v1 bitop3:0x54
	s_sub_co_i32 s18, s3, s4
	s_mov_b32 s3, exec_lo
	s_delay_alu instid0(VALU_DEP_1)
	v_add_nc_u64_e32 v[20:21], v[8:9], v[6:7]
	v_mov_b64_e32 v[6:7], -1
	v_cmpx_gt_u32_e64 s18, v1
	s_cbranch_execz .LBB2880_7
; %bb.6:
	global_load_b64 v[6:7], v[20:21], off
	s_wait_loadcnt 0x0
	v_not_b32_e32 v7, v7
	v_not_b32_e32 v6, v6
.LBB2880_7:
	s_or_b32 exec_lo, exec_lo, s3
	v_or_b32_e32 v3, 32, v1
	s_mov_b32 s3, exec_lo
	s_delay_alu instid0(VALU_DEP_1)
	v_cmpx_gt_u32_e64 s18, v3
	s_cbranch_execz .LBB2880_9
; %bb.8:
	global_load_b64 v[4:5], v[20:21], off offset:256
	s_wait_loadcnt 0x0
	v_not_b32_e32 v5, v5
	v_not_b32_e32 v4, v4
.LBB2880_9:
	s_or_b32 exec_lo, exec_lo, s3
	v_mov_b64_e32 v[8:9], -1
	v_mov_b64_e32 v[10:11], -1
	v_or_b32_e32 v3, 64, v1
	s_mov_b32 s3, exec_lo
	s_delay_alu instid0(VALU_DEP_1)
	v_cmpx_gt_u32_e64 s18, v3
	s_cbranch_execz .LBB2880_11
; %bb.10:
	global_load_b64 v[10:11], v[20:21], off offset:512
	s_wait_loadcnt 0x0
	v_not_b32_e32 v11, v11
	v_not_b32_e32 v10, v10
.LBB2880_11:
	s_or_b32 exec_lo, exec_lo, s3
	v_or_b32_e32 v3, 0x60, v1
	s_mov_b32 s3, exec_lo
	s_delay_alu instid0(VALU_DEP_1)
	v_cmpx_gt_u32_e64 s18, v3
	s_cbranch_execz .LBB2880_13
; %bb.12:
	global_load_b64 v[8:9], v[20:21], off offset:768
	s_wait_loadcnt 0x0
	v_not_b32_e32 v9, v9
	v_not_b32_e32 v8, v8
.LBB2880_13:
	s_or_b32 exec_lo, exec_lo, s3
	v_mov_b64_e32 v[12:13], -1
	v_mov_b64_e32 v[14:15], -1
	v_or_b32_e32 v3, 0x80, v1
	s_mov_b32 s3, exec_lo
	s_delay_alu instid0(VALU_DEP_1)
	v_cmpx_gt_u32_e64 s18, v3
	s_cbranch_execz .LBB2880_15
; %bb.14:
	global_load_b64 v[14:15], v[20:21], off offset:1024
	s_wait_loadcnt 0x0
	v_not_b32_e32 v15, v15
	v_not_b32_e32 v14, v14
.LBB2880_15:
	;; [unrolled: 26-line block ×3, first 2 shown]
	s_or_b32 exec_lo, exec_lo, s3
	v_or_b32_e32 v1, 0xe0, v1
	s_mov_b32 s3, exec_lo
	s_delay_alu instid0(VALU_DEP_1)
	v_cmpx_gt_u32_e64 s18, v1
	s_cbranch_execz .LBB2880_21
; %bb.20:
	global_load_b64 v[16:17], v[20:21], off offset:1792
	s_wait_loadcnt 0x0
	v_not_b32_e32 v17, v17
	v_not_b32_e32 v16, v16
.LBB2880_21:
	s_or_b32 exec_lo, exec_lo, s3
	s_clause 0x1
	s_load_b32 s24, s[0:1], 0x58
	s_load_u16 s3, s[0:1], 0x66
	s_bfe_u32 s4, ttmp6, 0x4000c
	s_and_b32 s5, ttmp6, 15
	s_add_co_i32 s4, s4, 1
	v_lshrrev_b64 v[20:21], s16, v[6:7]
	s_mul_i32 s4, ttmp9, s4
	v_bfe_u32 v1, v0, 10, 10
	s_add_co_i32 s5, s5, s4
	s_cmp_eq_u32 s7, 0
	v_bfe_u32 v3, v0, 20, 10
	s_cselect_b32 s4, ttmp9, s5
	s_mov_b32 s5, 0
	s_wait_kmcnt 0x0
	s_cmp_lt_u32 s4, s24
	v_mad_u32_u24 v1, v3, s3, v1
	s_cselect_b32 s4, 12, 18
	s_lshl_b32 s25, -1, s17
	s_add_nc_u64 s[4:5], s[22:23], s[4:5]
	v_bitop3_b32 v3, v20, 1, s25 bitop3:0x40
	v_bitop3_b32 v22, v20, s25, v20 bitop3:0x30
	s_load_u16 s26, s[4:5], 0x0
	s_not_b32 s25, s25
	s_delay_alu instid0(VALU_DEP_2) | instskip(NEXT) | instid1(VALU_DEP_1)
	v_add_co_u32 v3, s3, v3, -1
	v_cndmask_b32_e64 v20, 0, 1, s3
	v_dual_lshlrev_b32 v21, 30, v22 :: v_dual_lshlrev_b32 v23, 29, v22
	v_dual_lshlrev_b32 v24, 28, v22 :: v_dual_lshlrev_b32 v25, 27, v22
	s_delay_alu instid0(VALU_DEP_3) | instskip(NEXT) | instid1(VALU_DEP_3)
	v_cmp_ne_u32_e32 vcc_lo, 0, v20
	v_not_b32_e32 v20, v21
	v_lshlrev_b32_e32 v28, 24, v22
	v_cmp_gt_i32_e64 s3, 0, v21
	s_wait_xcnt 0x0
	v_cmp_gt_i32_e64 s4, 0, v23
	v_not_b32_e32 v21, v23
	v_not_b32_e32 v23, v24
	v_dual_ashrrev_i32 v20, 31, v20 :: v_dual_lshlrev_b32 v26, 26, v22
	v_lshlrev_b32_e32 v27, 25, v22
	v_cmp_gt_i32_e64 s5, 0, v24
	v_dual_ashrrev_i32 v21, 31, v21 :: v_dual_bitop2_b32 v3, vcc_lo, v3 bitop3:0x14
	s_delay_alu instid0(VALU_DEP_4)
	v_dual_ashrrev_i32 v23, 31, v23 :: v_dual_bitop2_b32 v20, s3, v20 bitop3:0x14
	v_cmp_gt_i32_e64 s6, 0, v25
	v_not_b32_e32 v24, v25
	v_not_b32_e32 v25, v26
	v_xor_b32_e32 v21, s4, v21
	v_xor_b32_e32 v23, s5, v23
	v_bitop3_b32 v3, v3, v20, exec_lo bitop3:0x80
	s_wait_kmcnt 0x0
	v_mad_u32 v1, v1, s26, v32
	v_cmp_gt_i32_e32 vcc_lo, 0, v26
	v_dual_ashrrev_i32 v20, 31, v24 :: v_dual_ashrrev_i32 v24, 31, v25
	v_not_b32_e32 v25, v27
	v_bitop3_b32 v21, v3, v23, v21 bitop3:0x80
	v_not_b32_e32 v3, v28
	s_delay_alu instid0(VALU_DEP_4)
	v_xor_b32_e32 v20, s6, v20
	v_xor_b32_e32 v23, vcc_lo, v24
	v_cmp_gt_i32_e32 vcc_lo, 0, v27
	v_ashrrev_i32_e32 v24, 31, v25
	v_cmp_gt_i32_e64 s3, 0, v28
	v_dual_ashrrev_i32 v25, 31, v3 :: v_dual_lshrrev_b32 v1, 5, v1
	v_bitop3_b32 v21, v21, v23, v20 bitop3:0x80
	s_delay_alu instid0(VALU_DEP_4) | instskip(SKIP_1) | instid1(VALU_DEP_4)
	v_xor_b32_e32 v23, vcc_lo, v24
	v_mul_u32_u24_e32 v3, 36, v32
	v_dual_mov_b32 v25, 0 :: v_dual_bitop2_b32 v24, s3, v25 bitop3:0x14
	v_lshlrev_b32_e32 v20, 2, v1
	ds_store_2addr_b32 v3, v25, v25 offset0:16 offset1:17
	ds_store_2addr_b32 v3, v25, v25 offset0:18 offset1:19
	;; [unrolled: 1-line block ×4, first 2 shown]
	v_bitop3_b32 v21, v21, v24, v23 bitop3:0x80
	v_mad_u32 v28, 0x44, v22, v20
	ds_store_b32 v3, v25 offset:96
	s_wait_dscnt 0x0
	s_barrier_signal -1
	v_mbcnt_lo_u32_b32 v1, v21, 0
	v_cmp_ne_u32_e64 s3, 0, v21
	s_barrier_wait -1
	s_delay_alu instid0(VALU_DEP_2) | instskip(SKIP_1) | instid1(SALU_CYCLE_1)
	v_cmp_eq_u32_e32 vcc_lo, 0, v1
	; wave barrier
	s_and_b32 s4, s3, vcc_lo
	s_and_saveexec_b32 s3, s4
; %bb.22:
	v_bcnt_u32_b32 v21, v21, 0
	ds_store_b32 v28, v21 offset:64
; %bb.23:
	s_or_b32 exec_lo, exec_lo, s3
	v_lshrrev_b64 v[22:23], s16, v[4:5]
	; wave barrier
	s_delay_alu instid0(VALU_DEP_1) | instskip(SKIP_1) | instid1(VALU_DEP_2)
	v_and_b32_e32 v21, s25, v22
	v_bitop3_b32 v22, v22, 1, s25 bitop3:0x80
	v_lshlrev_b32_e32 v24, 30, v21
	s_delay_alu instid0(VALU_DEP_2) | instskip(NEXT) | instid1(VALU_DEP_1)
	v_add_co_u32 v22, s3, v22, -1
	v_cndmask_b32_e64 v23, 0, 1, s3
	s_delay_alu instid0(VALU_DEP_1) | instskip(NEXT) | instid1(VALU_DEP_4)
	v_cmp_ne_u32_e32 vcc_lo, 0, v23
	v_not_b32_e32 v23, v24
	s_delay_alu instid0(VALU_DEP_1) | instskip(SKIP_4) | instid1(VALU_DEP_4)
	v_dual_ashrrev_i32 v23, 31, v23 :: v_dual_bitop2_b32 v22, vcc_lo, v22 bitop3:0x14
	v_dual_lshlrev_b32 v25, 29, v21 :: v_dual_lshlrev_b32 v26, 28, v21
	v_lshlrev_b32_e32 v27, 27, v21
	v_cmp_gt_i32_e64 s3, 0, v24
	v_mad_u32 v29, 0x44, v21, v20
	v_cmp_gt_i32_e64 s4, 0, v25
	v_not_b32_e32 v24, v25
	v_not_b32_e32 v25, v26
	v_dual_lshlrev_b32 v30, 26, v21 :: v_dual_lshlrev_b32 v31, 25, v21
	v_lshlrev_b32_e32 v21, 24, v21
	v_cmp_gt_i32_e64 s5, 0, v26
	v_not_b32_e32 v26, v27
	v_dual_ashrrev_i32 v24, 31, v24 :: v_dual_ashrrev_i32 v25, 31, v25
	v_xor_b32_e32 v23, s3, v23
	v_cmp_gt_i32_e64 s6, 0, v27
	v_not_b32_e32 v27, v30
	s_delay_alu instid0(VALU_DEP_4)
	v_dual_ashrrev_i32 v26, 31, v26 :: v_dual_bitop2_b32 v24, s4, v24 bitop3:0x14
	v_xor_b32_e32 v25, s5, v25
	v_bitop3_b32 v22, v22, v23, exec_lo bitop3:0x80
	v_cmp_gt_i32_e32 vcc_lo, 0, v30
	v_ashrrev_i32_e32 v23, 31, v27
	v_not_b32_e32 v27, v31
	v_xor_b32_e32 v26, s6, v26
	v_bitop3_b32 v22, v22, v25, v24 bitop3:0x80
	v_not_b32_e32 v24, v21
	v_xor_b32_e32 v23, vcc_lo, v23
	v_cmp_gt_i32_e32 vcc_lo, 0, v31
	v_ashrrev_i32_e32 v25, 31, v27
	v_cmp_gt_i32_e64 s3, 0, v21
	v_ashrrev_i32_e32 v21, 31, v24
	v_bitop3_b32 v22, v22, v23, v26 bitop3:0x80
	ds_load_b32 v34, v29 offset:64
	v_xor_b32_e32 v23, vcc_lo, v25
	v_xor_b32_e32 v21, s3, v21
	; wave barrier
	s_delay_alu instid0(VALU_DEP_1) | instskip(NEXT) | instid1(VALU_DEP_1)
	v_bitop3_b32 v21, v22, v21, v23 bitop3:0x80
	v_mbcnt_lo_u32_b32 v35, v21, 0
	v_cmp_ne_u32_e64 s3, 0, v21
	s_delay_alu instid0(VALU_DEP_2) | instskip(SKIP_1) | instid1(SALU_CYCLE_1)
	v_cmp_eq_u32_e32 vcc_lo, 0, v35
	s_and_b32 s4, s3, vcc_lo
	s_and_saveexec_b32 s3, s4
	s_cbranch_execz .LBB2880_25
; %bb.24:
	s_wait_dscnt 0x0
	v_bcnt_u32_b32 v21, v21, v34
	ds_store_b32 v29, v21 offset:64
.LBB2880_25:
	s_or_b32 exec_lo, exec_lo, s3
	v_lshrrev_b64 v[22:23], s16, v[10:11]
	; wave barrier
	s_delay_alu instid0(VALU_DEP_1) | instskip(SKIP_1) | instid1(VALU_DEP_2)
	v_and_b32_e32 v21, s25, v22
	v_bitop3_b32 v22, v22, 1, s25 bitop3:0x80
	v_lshlrev_b32_e32 v24, 30, v21
	s_delay_alu instid0(VALU_DEP_2) | instskip(NEXT) | instid1(VALU_DEP_1)
	v_add_co_u32 v22, s3, v22, -1
	v_cndmask_b32_e64 v23, 0, 1, s3
	s_delay_alu instid0(VALU_DEP_1) | instskip(NEXT) | instid1(VALU_DEP_4)
	v_cmp_ne_u32_e32 vcc_lo, 0, v23
	v_not_b32_e32 v23, v24
	s_delay_alu instid0(VALU_DEP_1) | instskip(SKIP_4) | instid1(VALU_DEP_4)
	v_dual_ashrrev_i32 v23, 31, v23 :: v_dual_bitop2_b32 v22, vcc_lo, v22 bitop3:0x14
	v_dual_lshlrev_b32 v25, 29, v21 :: v_dual_lshlrev_b32 v26, 28, v21
	v_lshlrev_b32_e32 v27, 27, v21
	v_cmp_gt_i32_e64 s3, 0, v24
	v_mad_u32 v30, 0x44, v21, v20
	v_cmp_gt_i32_e64 s4, 0, v25
	v_not_b32_e32 v24, v25
	v_not_b32_e32 v25, v26
	v_dual_lshlrev_b32 v31, 26, v21 :: v_dual_lshlrev_b32 v36, 25, v21
	v_lshlrev_b32_e32 v21, 24, v21
	v_cmp_gt_i32_e64 s5, 0, v26
	v_not_b32_e32 v26, v27
	v_dual_ashrrev_i32 v24, 31, v24 :: v_dual_ashrrev_i32 v25, 31, v25
	v_xor_b32_e32 v23, s3, v23
	v_cmp_gt_i32_e64 s6, 0, v27
	v_not_b32_e32 v27, v31
	s_delay_alu instid0(VALU_DEP_4)
	v_dual_ashrrev_i32 v26, 31, v26 :: v_dual_bitop2_b32 v24, s4, v24 bitop3:0x14
	v_xor_b32_e32 v25, s5, v25
	v_bitop3_b32 v22, v22, v23, exec_lo bitop3:0x80
	v_cmp_gt_i32_e32 vcc_lo, 0, v31
	v_ashrrev_i32_e32 v23, 31, v27
	v_not_b32_e32 v27, v36
	v_xor_b32_e32 v26, s6, v26
	v_bitop3_b32 v22, v22, v25, v24 bitop3:0x80
	v_not_b32_e32 v24, v21
	v_xor_b32_e32 v23, vcc_lo, v23
	v_cmp_gt_i32_e32 vcc_lo, 0, v36
	v_ashrrev_i32_e32 v25, 31, v27
	v_cmp_gt_i32_e64 s3, 0, v21
	v_ashrrev_i32_e32 v21, 31, v24
	v_bitop3_b32 v22, v22, v23, v26 bitop3:0x80
	ds_load_b32 v36, v30 offset:64
	v_xor_b32_e32 v23, vcc_lo, v25
	v_xor_b32_e32 v21, s3, v21
	; wave barrier
	s_delay_alu instid0(VALU_DEP_1) | instskip(NEXT) | instid1(VALU_DEP_1)
	v_bitop3_b32 v21, v22, v21, v23 bitop3:0x80
	v_mbcnt_lo_u32_b32 v37, v21, 0
	v_cmp_ne_u32_e64 s3, 0, v21
	s_delay_alu instid0(VALU_DEP_2) | instskip(SKIP_1) | instid1(SALU_CYCLE_1)
	v_cmp_eq_u32_e32 vcc_lo, 0, v37
	s_and_b32 s4, s3, vcc_lo
	s_and_saveexec_b32 s3, s4
	s_cbranch_execz .LBB2880_27
; %bb.26:
	s_wait_dscnt 0x0
	v_bcnt_u32_b32 v21, v21, v36
	ds_store_b32 v30, v21 offset:64
.LBB2880_27:
	;; [unrolled: 64-line block ×6, first 2 shown]
	s_or_b32 exec_lo, exec_lo, s3
	v_lshrrev_b64 v[22:23], s16, v[16:17]
	; wave barrier
	s_delay_alu instid0(VALU_DEP_1) | instskip(SKIP_1) | instid1(VALU_DEP_2)
	v_and_b32_e32 v21, s25, v22
	v_bitop3_b32 v22, v22, 1, s25 bitop3:0x80
	v_mad_u32 v51, 0x44, v21, v20
	s_delay_alu instid0(VALU_DEP_2) | instskip(NEXT) | instid1(VALU_DEP_1)
	v_add_co_u32 v20, s3, v22, -1
	v_cndmask_b32_e64 v22, 0, 1, s3
	v_lshlrev_b32_e32 v23, 30, v21
	s_delay_alu instid0(VALU_DEP_2) | instskip(NEXT) | instid1(VALU_DEP_2)
	v_cmp_ne_u32_e32 vcc_lo, 0, v22
	v_not_b32_e32 v22, v23
	s_delay_alu instid0(VALU_DEP_1) | instskip(SKIP_4) | instid1(VALU_DEP_4)
	v_dual_ashrrev_i32 v22, 31, v22 :: v_dual_bitop2_b32 v20, vcc_lo, v20 bitop3:0x14
	v_dual_lshlrev_b32 v24, 29, v21 :: v_dual_lshlrev_b32 v25, 28, v21
	v_lshlrev_b32_e32 v26, 27, v21
	v_cmp_gt_i32_e64 s3, 0, v23
	v_dual_lshlrev_b32 v27, 26, v21 :: v_dual_lshlrev_b32 v49, 25, v21
	v_cmp_gt_i32_e64 s4, 0, v24
	v_not_b32_e32 v23, v24
	v_not_b32_e32 v24, v25
	v_lshlrev_b32_e32 v21, 24, v21
	v_cmp_gt_i32_e64 s5, 0, v25
	v_not_b32_e32 v25, v26
	s_delay_alu instid0(VALU_DEP_4) | instskip(SKIP_3) | instid1(VALU_DEP_4)
	v_dual_ashrrev_i32 v23, 31, v23 :: v_dual_ashrrev_i32 v24, 31, v24
	v_xor_b32_e32 v22, s3, v22
	v_cmp_gt_i32_e64 s6, 0, v26
	v_not_b32_e32 v26, v27
	v_dual_ashrrev_i32 v25, 31, v25 :: v_dual_bitop2_b32 v23, s4, v23 bitop3:0x14
	v_xor_b32_e32 v24, s5, v24
	v_bitop3_b32 v20, v20, v22, exec_lo bitop3:0x80
	v_cmp_gt_i32_e32 vcc_lo, 0, v27
	v_ashrrev_i32_e32 v22, 31, v26
	v_not_b32_e32 v26, v49
	v_xor_b32_e32 v25, s6, v25
	v_bitop3_b32 v20, v20, v24, v23 bitop3:0x80
	v_not_b32_e32 v23, v21
	v_xor_b32_e32 v22, vcc_lo, v22
	v_cmp_gt_i32_e32 vcc_lo, 0, v49
	v_ashrrev_i32_e32 v24, 31, v26
	v_cmp_gt_i32_e64 s3, 0, v21
	v_ashrrev_i32_e32 v21, 31, v23
	v_bitop3_b32 v20, v20, v22, v25 bitop3:0x80
	ds_load_b32 v49, v51 offset:64
	v_xor_b32_e32 v22, vcc_lo, v24
	v_xor_b32_e32 v21, s3, v21
	; wave barrier
	s_delay_alu instid0(VALU_DEP_1) | instskip(NEXT) | instid1(VALU_DEP_1)
	v_bitop3_b32 v20, v20, v21, v22 bitop3:0x80
	v_mbcnt_lo_u32_b32 v50, v20, 0
	v_cmp_ne_u32_e64 s3, 0, v20
	s_delay_alu instid0(VALU_DEP_2) | instskip(SKIP_1) | instid1(SALU_CYCLE_1)
	v_cmp_eq_u32_e32 vcc_lo, 0, v50
	s_and_b32 s4, s3, vcc_lo
	s_and_saveexec_b32 s3, s4
	s_cbranch_execz .LBB2880_37
; %bb.36:
	s_wait_dscnt 0x0
	v_bcnt_u32_b32 v20, v20, v49
	ds_store_b32 v51, v20 offset:64
.LBB2880_37:
	s_or_b32 exec_lo, exec_lo, s3
	; wave barrier
	s_wait_dscnt 0x0
	s_barrier_signal -1
	s_barrier_wait -1
	ds_load_2addr_b32 v[26:27], v3 offset0:16 offset1:17
	ds_load_2addr_b32 v[24:25], v3 offset0:18 offset1:19
	;; [unrolled: 1-line block ×4, first 2 shown]
	ds_load_b32 v52, v3 offset:96
	v_bfe_i32 v55, v33, 4, 1
	s_mov_b32 s26, exec_lo
	s_wait_dscnt 0x3
	v_add3_u32 v53, v27, v26, v24
	s_wait_dscnt 0x2
	s_delay_alu instid0(VALU_DEP_1) | instskip(SKIP_1) | instid1(VALU_DEP_1)
	v_add3_u32 v53, v53, v25, v22
	s_wait_dscnt 0x1
	v_add3_u32 v53, v53, v23, v20
	s_wait_dscnt 0x0
	s_delay_alu instid0(VALU_DEP_1) | instskip(SKIP_1) | instid1(VALU_DEP_2)
	v_add3_u32 v52, v53, v21, v52
	v_and_b32_e32 v53, 15, v33
	v_mov_b32_dpp v54, v52 row_shr:1 row_mask:0xf bank_mask:0xf
	s_delay_alu instid0(VALU_DEP_2) | instskip(NEXT) | instid1(VALU_DEP_2)
	v_cmp_eq_u32_e32 vcc_lo, 0, v53
	v_cndmask_b32_e64 v54, v54, 0, vcc_lo
	s_delay_alu instid0(VALU_DEP_1) | instskip(SKIP_3) | instid1(VALU_DEP_4)
	v_add_nc_u32_e32 v52, v54, v52
	v_cmp_lt_u32_e64 s3, 1, v53
	v_cmp_lt_u32_e64 s4, 3, v53
	;; [unrolled: 1-line block ×3, first 2 shown]
	v_mov_b32_dpp v54, v52 row_shr:2 row_mask:0xf bank_mask:0xf
	s_delay_alu instid0(VALU_DEP_1) | instskip(NEXT) | instid1(VALU_DEP_1)
	v_cndmask_b32_e64 v54, 0, v54, s3
	v_add_nc_u32_e32 v52, v52, v54
	s_delay_alu instid0(VALU_DEP_1) | instskip(NEXT) | instid1(VALU_DEP_1)
	v_mov_b32_dpp v54, v52 row_shr:4 row_mask:0xf bank_mask:0xf
	v_cndmask_b32_e64 v54, 0, v54, s4
	s_delay_alu instid0(VALU_DEP_1) | instskip(NEXT) | instid1(VALU_DEP_1)
	v_add_nc_u32_e32 v52, v52, v54
	v_mov_b32_dpp v54, v52 row_shr:8 row_mask:0xf bank_mask:0xf
	s_delay_alu instid0(VALU_DEP_1) | instskip(SKIP_1) | instid1(VALU_DEP_2)
	v_cndmask_b32_e64 v53, 0, v54, s5
	v_and_b32_e32 v54, 0x3e0, v32
	v_add_nc_u32_e32 v52, v52, v53
	s_delay_alu instid0(VALU_DEP_2) | instskip(SKIP_3) | instid1(VALU_DEP_1)
	v_min_u32_e32 v54, 0x1e0, v54
	ds_swizzle_b32 v53, v52 offset:swizzle(BROADCAST,32,15)
	s_wait_dscnt 0x0
	v_dual_lshrrev_b32 v53, 5, v32 :: v_dual_bitop2_b32 v55, v55, v53 bitop3:0x40
	v_dual_add_nc_u32 v52, v52, v55 :: v_dual_bitop2_b32 v54, 31, v54 bitop3:0x54
	s_delay_alu instid0(VALU_DEP_1)
	v_cmpx_eq_u32_e64 v32, v54
; %bb.38:
	s_delay_alu instid0(VALU_DEP_3)
	v_lshlrev_b32_e32 v54, 2, v53
	ds_store_b32 v54, v52
; %bb.39:
	s_or_b32 exec_lo, exec_lo, s26
	s_delay_alu instid0(SALU_CYCLE_1)
	s_mov_b32 s26, exec_lo
	s_wait_dscnt 0x0
	s_barrier_signal -1
	s_barrier_wait -1
	v_cmpx_gt_u32_e32 16, v32
	s_cbranch_execz .LBB2880_41
; %bb.40:
	v_lshlrev_b32_e32 v54, 2, v32
	ds_load_b32 v55, v54
	s_wait_dscnt 0x0
	v_mov_b32_dpp v56, v55 row_shr:1 row_mask:0xf bank_mask:0xf
	s_delay_alu instid0(VALU_DEP_1) | instskip(NEXT) | instid1(VALU_DEP_1)
	v_cndmask_b32_e64 v56, v56, 0, vcc_lo
	v_add_nc_u32_e32 v55, v56, v55
	s_delay_alu instid0(VALU_DEP_1) | instskip(NEXT) | instid1(VALU_DEP_1)
	v_mov_b32_dpp v56, v55 row_shr:2 row_mask:0xf bank_mask:0xf
	v_cndmask_b32_e64 v56, 0, v56, s3
	s_delay_alu instid0(VALU_DEP_1) | instskip(NEXT) | instid1(VALU_DEP_1)
	v_add_nc_u32_e32 v55, v55, v56
	v_mov_b32_dpp v56, v55 row_shr:4 row_mask:0xf bank_mask:0xf
	s_delay_alu instid0(VALU_DEP_1) | instskip(NEXT) | instid1(VALU_DEP_1)
	v_cndmask_b32_e64 v56, 0, v56, s4
	v_add_nc_u32_e32 v55, v55, v56
	s_delay_alu instid0(VALU_DEP_1) | instskip(NEXT) | instid1(VALU_DEP_1)
	v_mov_b32_dpp v56, v55 row_shr:8 row_mask:0xf bank_mask:0xf
	v_cndmask_b32_e64 v56, 0, v56, s5
	s_delay_alu instid0(VALU_DEP_1)
	v_add_nc_u32_e32 v55, v55, v56
	ds_store_b32 v54, v55
.LBB2880_41:
	s_or_b32 exec_lo, exec_lo, s26
	v_mov_b32_e32 v54, 0
	s_mov_b32 s3, exec_lo
	s_wait_dscnt 0x0
	s_barrier_signal -1
	s_barrier_wait -1
	v_cmpx_lt_u32_e32 31, v32
; %bb.42:
	v_lshl_add_u32 v53, v53, 2, -4
	ds_load_b32 v54, v53
; %bb.43:
	s_or_b32 exec_lo, exec_lo, s3
	v_sub_co_u32 v53, vcc_lo, v33, 1
	s_wait_dscnt 0x0
	v_add_nc_u32_e32 v52, v54, v52
	s_delay_alu instid0(VALU_DEP_2) | instskip(NEXT) | instid1(VALU_DEP_1)
	v_cmp_gt_i32_e64 s3, 0, v53
	v_cndmask_b32_e64 v53, v53, v33, s3
	v_cmp_lt_u32_e64 s3, 0xff, v32
	s_delay_alu instid0(VALU_DEP_2) | instskip(SKIP_4) | instid1(VALU_DEP_2)
	v_lshlrev_b32_e32 v53, 2, v53
	ds_bpermute_b32 v52, v53, v52
	s_wait_dscnt 0x0
	v_cndmask_b32_e32 v52, v52, v54, vcc_lo
	v_cmp_gt_u32_e32 vcc_lo, 0x100, v32
	v_cndmask_b32_e64 v52, v52, 0, s2
	s_delay_alu instid0(VALU_DEP_1) | instskip(NEXT) | instid1(VALU_DEP_1)
	v_add_nc_u32_e32 v26, v52, v26
	v_add_nc_u32_e32 v27, v26, v27
	s_delay_alu instid0(VALU_DEP_1) | instskip(NEXT) | instid1(VALU_DEP_1)
	v_add_nc_u32_e32 v24, v27, v24
	v_add_nc_u32_e32 v25, v24, v25
	;; [unrolled: 3-line block ×4, first 2 shown]
	ds_store_2addr_b32 v3, v52, v26 offset0:16 offset1:17
	ds_store_2addr_b32 v3, v27, v24 offset0:18 offset1:19
	;; [unrolled: 1-line block ×4, first 2 shown]
	ds_store_b32 v3, v21 offset:96
	s_wait_dscnt 0x0
	s_barrier_signal -1
	s_barrier_wait -1
	ds_load_b32 v54, v28 offset:64
	ds_load_b32 v23, v29 offset:64
	ds_load_b32 v52, v30 offset:64
	ds_load_b32 v53, v31 offset:64
	ds_load_b32 v43, v43 offset:64
	ds_load_b32 v45, v45 offset:64
	ds_load_b32 v48, v48 offset:64
	ds_load_b32 v51, v51 offset:64
	v_mov_b64_e32 v[20:21], 0
                                        ; implicit-def: $vgpr22
	s_and_saveexec_b32 s5, vcc_lo
	s_cbranch_execz .LBB2880_47
; %bb.44:
	v_mul_u32_u24_e32 v3, 0x44, v32
	v_add_nc_u32_e32 v21, 1, v32
	s_mov_b32 s6, exec_lo
	ds_load_b32 v20, v3 offset:64
	v_mov_b32_e32 v3, 0x1000
	v_cmpx_ne_u32_e32 0x100, v21
; %bb.45:
	v_mul_u32_u24_e32 v3, 0x44, v21
	ds_load_b32 v3, v3 offset:64
; %bb.46:
	s_or_b32 exec_lo, exec_lo, s6
	s_wait_dscnt 0x0
	v_dual_mov_b32 v21, 0 :: v_dual_sub_nc_u32 v22, v3, v20
.LBB2880_47:
	s_or_b32 exec_lo, exec_lo, s5
	v_mov_b32_e32 v25, 0
	s_wait_dscnt 0x0
	s_barrier_signal -1
	s_barrier_wait -1
	s_and_saveexec_b32 s4, vcc_lo
	s_cbranch_execz .LBB2880_57
; %bb.48:
	v_lshl_add_u32 v24, s19, 8, v32
	v_dual_mov_b32 v28, 0 :: v_dual_bitop2_b32 v3, 2.0, v22 bitop3:0x54
	s_mov_b32 s5, 0
	s_mov_b32 s6, s19
	s_delay_alu instid0(VALU_DEP_2)
	v_lshl_add_u64 v[26:27], v[24:25], 2, s[20:21]
	global_store_b32 v24, v3, s[20:21] scale_offset scope:SCOPE_DEV
                                        ; implicit-def: $sgpr26
	s_branch .LBB2880_51
.LBB2880_49:                            ;   in Loop: Header=BB2880_51 Depth=1
	s_or_b32 exec_lo, exec_lo, s27
.LBB2880_50:                            ;   in Loop: Header=BB2880_51 Depth=1
	s_delay_alu instid0(SALU_CYCLE_1) | instskip(SKIP_2) | instid1(VALU_DEP_2)
	s_or_b32 exec_lo, exec_lo, s26
	v_and_b32_e32 v24, 0x3fffffff, v3
	v_cmp_gt_i32_e64 s26, -2.0, v3
	v_add_nc_u32_e32 v28, v24, v28
	s_and_b32 s27, exec_lo, s26
	s_delay_alu instid0(SALU_CYCLE_1) | instskip(NEXT) | instid1(SALU_CYCLE_1)
	s_or_b32 s5, s27, s5
	s_and_not1_b32 exec_lo, exec_lo, s5
	s_cbranch_execz .LBB2880_56
.LBB2880_51:                            ; =>This Loop Header: Depth=1
                                        ;     Child Loop BB2880_54 Depth 2
	s_or_b32 s26, s26, exec_lo
	s_cmp_eq_u32 s6, 0
	s_cbranch_scc1 .LBB2880_55
; %bb.52:                               ;   in Loop: Header=BB2880_51 Depth=1
	s_add_co_i32 s6, s6, -1
	s_mov_b32 s26, exec_lo
	s_wait_xcnt 0x0
	v_lshl_or_b32 v24, s6, 8, v32
	global_load_b32 v3, v24, s[20:21] scale_offset scope:SCOPE_DEV
	s_wait_loadcnt 0x0
	v_cmpx_gt_u32_e32 2.0, v3
	s_cbranch_execz .LBB2880_50
; %bb.53:                               ;   in Loop: Header=BB2880_51 Depth=1
	v_lshl_add_u64 v[30:31], v[24:25], 2, s[20:21]
	s_mov_b32 s27, 0
.LBB2880_54:                            ;   Parent Loop BB2880_51 Depth=1
                                        ; =>  This Inner Loop Header: Depth=2
	global_load_b32 v3, v[30:31], off scope:SCOPE_DEV
	s_wait_loadcnt 0x0
	v_cmp_lt_u32_e32 vcc_lo, 0x3fffffff, v3
	s_or_b32 s27, vcc_lo, s27
	s_wait_xcnt 0x0
	s_and_not1_b32 exec_lo, exec_lo, s27
	s_cbranch_execnz .LBB2880_54
	s_branch .LBB2880_49
.LBB2880_55:                            ;   in Loop: Header=BB2880_51 Depth=1
                                        ; implicit-def: $sgpr6
	s_and_b32 s27, exec_lo, s26
	s_delay_alu instid0(SALU_CYCLE_1)
	s_or_b32 s5, s27, s5
	s_wait_xcnt 0x0
	s_and_not1_b32 exec_lo, exec_lo, s5
	s_cbranch_execnz .LBB2880_51
.LBB2880_56:
	s_or_b32 exec_lo, exec_lo, s5
	v_dual_add_nc_u32 v3, v28, v22 :: v_dual_mov_b32 v29, 0
	s_delay_alu instid0(VALU_DEP_1)
	v_or_b32_e32 v3, 0x80000000, v3
	global_store_b32 v[26:27], v3, off scope:SCOPE_DEV
	global_load_b64 v[24:25], v32, s[8:9] scale_offset
	s_wait_xcnt 0x1
	v_sub_nc_u64_e32 v[26:27], v[28:29], v[20:21]
	s_wait_loadcnt 0x0
	s_delay_alu instid0(VALU_DEP_1)
	v_add_nc_u64_e32 v[24:25], v[26:27], v[24:25]
	ds_store_b64 v2, v[24:25]
.LBB2880_57:
	s_wait_xcnt 0x0
	s_or_b32 exec_lo, exec_lo, s4
	v_dual_mov_b32 v3, 0 :: v_dual_add_nc_u32 v1, v54, v1
	v_add3_u32 v26, v47, v48, v46
	v_add3_u32 v27, v44, v45, v42
	;; [unrolled: 1-line block ×3, first 2 shown]
	s_delay_alu instid0(VALU_DEP_4)
	v_add_nc_u64_e32 v[24:25], s[14:15], v[2:3]
	v_add3_u32 v3, v50, v51, v49
	v_add3_u32 v29, v39, v53, v38
	;; [unrolled: 1-line block ×4, first 2 shown]
	v_mov_b32_e32 v31, v32
	s_mov_b32 s5, -1
	v_add_nc_u64_e32 v[24:25], 0x3000, v[24:25]
	s_mov_b32 s4, 0
	s_branch .LBB2880_59
.LBB2880_58:                            ;   in Loop: Header=BB2880_59 Depth=1
	s_wait_xcnt 0x0
	s_or_b32 exec_lo, exec_lo, s6
	v_add_nc_u64_e32 v[24:25], 0x4000, v[24:25]
	v_add_nc_u32_e32 v31, 0x800, v31
	s_xor_b32 s5, s5, -1
	s_addk_co_i32 s4, 0xf800
	s_and_b32 vcc_lo, exec_lo, s5
	s_mov_b32 s5, 0
	s_wait_storecnt 0x0
	s_barrier_signal -1
	s_barrier_wait -1
	s_cbranch_vccnz .LBB2880_67
.LBB2880_59:                            ; =>This Inner Loop Header: Depth=1
	v_add_min_u32_e64 v34, v1, s4, 0x800
	v_add_min_u32_e64 v35, v23, s4, 0x800
	;; [unrolled: 1-line block ×5, first 2 shown]
	s_delay_alu instid0(VALU_DEP_4) | instskip(NEXT) | instid1(VALU_DEP_3)
	v_dual_lshlrev_b32 v34, 3, v34 :: v_dual_lshlrev_b32 v35, 3, v35
	v_dual_lshlrev_b32 v36, 3, v36 :: v_dual_lshlrev_b32 v37, 3, v37
	s_mov_b32 s6, exec_lo
	ds_store_b64 v34, v[6:7] offset:2048
	ds_store_b64 v35, v[4:5] offset:2048
	;; [unrolled: 1-line block ×3, first 2 shown]
	v_add_min_u32_e64 v34, v27, s4, 0x800
	v_add_min_u32_e64 v35, v26, s4, 0x800
	;; [unrolled: 1-line block ×3, first 2 shown]
	v_lshlrev_b32_e32 v38, 3, v38
	s_delay_alu instid0(VALU_DEP_3) | instskip(NEXT) | instid1(VALU_DEP_3)
	v_dual_lshlrev_b32 v34, 3, v34 :: v_dual_lshlrev_b32 v35, 3, v35
	v_lshlrev_b32_e32 v36, 3, v36
	ds_store_b64 v37, v[8:9] offset:2048
	ds_store_b64 v38, v[14:15] offset:2048
	;; [unrolled: 1-line block ×5, first 2 shown]
	s_wait_storecnt_dscnt 0x0
	s_barrier_signal -1
	s_barrier_wait -1
	v_cmpx_gt_u32_e64 s18, v31
	s_cbranch_execz .LBB2880_61
; %bb.60:                               ;   in Loop: Header=BB2880_59 Depth=1
	ds_load_b64 v[34:35], v2 offset:2048
	s_wait_dscnt 0x0
	v_lshrrev_b64 v[36:37], s16, v[34:35]
	v_not_b32_e32 v35, v35
	v_not_b32_e32 v34, v34
	s_delay_alu instid0(VALU_DEP_3) | instskip(NEXT) | instid1(VALU_DEP_1)
	v_and_b32_e32 v36, s25, v36
	v_lshlrev_b32_e32 v36, 3, v36
	ds_load_b64 v[36:37], v36
	s_wait_dscnt 0x0
	v_lshl_add_u64 v[36:37], v[36:37], 3, v[24:25]
	global_store_b64 v[36:37], v[34:35], off offset:-12288
.LBB2880_61:                            ;   in Loop: Header=BB2880_59 Depth=1
	s_wait_xcnt 0x0
	s_or_b32 exec_lo, exec_lo, s6
	v_add_nc_u32_e32 v34, 0x200, v31
	s_mov_b32 s6, exec_lo
	s_delay_alu instid0(VALU_DEP_1)
	v_cmpx_gt_u32_e64 s18, v34
	s_cbranch_execz .LBB2880_63
; %bb.62:                               ;   in Loop: Header=BB2880_59 Depth=1
	ds_load_b64 v[34:35], v2 offset:6144
	s_wait_dscnt 0x0
	v_lshrrev_b64 v[36:37], s16, v[34:35]
	v_not_b32_e32 v35, v35
	v_not_b32_e32 v34, v34
	s_delay_alu instid0(VALU_DEP_3) | instskip(NEXT) | instid1(VALU_DEP_1)
	v_and_b32_e32 v36, s25, v36
	v_lshlrev_b32_e32 v36, 3, v36
	ds_load_b64 v[36:37], v36
	s_wait_dscnt 0x0
	v_lshl_add_u64 v[36:37], v[36:37], 3, v[24:25]
	global_store_b64 v[36:37], v[34:35], off offset:-8192
.LBB2880_63:                            ;   in Loop: Header=BB2880_59 Depth=1
	s_wait_xcnt 0x0
	s_or_b32 exec_lo, exec_lo, s6
	v_add_nc_u32_e32 v34, 0x400, v31
	s_mov_b32 s6, exec_lo
	s_delay_alu instid0(VALU_DEP_1)
	;; [unrolled: 21-line block ×3, first 2 shown]
	v_cmpx_gt_u32_e64 s18, v34
	s_cbranch_execz .LBB2880_58
; %bb.66:                               ;   in Loop: Header=BB2880_59 Depth=1
	ds_load_b64 v[34:35], v2 offset:14336
	s_wait_dscnt 0x0
	v_lshrrev_b64 v[36:37], s16, v[34:35]
	v_not_b32_e32 v35, v35
	v_not_b32_e32 v34, v34
	s_delay_alu instid0(VALU_DEP_3) | instskip(NEXT) | instid1(VALU_DEP_1)
	v_and_b32_e32 v36, s25, v36
	v_lshlrev_b32_e32 v36, 3, v36
	ds_load_b64 v[36:37], v36
	s_wait_dscnt 0x0
	v_lshl_add_u64 v[36:37], v[36:37], 3, v[24:25]
	global_store_b64 v[36:37], v[34:35], off
	s_branch .LBB2880_58
.LBB2880_67:
	s_add_co_i32 s24, s24, -1
	s_delay_alu instid0(SALU_CYCLE_1) | instskip(SKIP_2) | instid1(SALU_CYCLE_1)
	s_cmp_eq_u32 s19, s24
	s_cselect_b32 s4, -1, 0
	s_xor_b32 s3, s3, -1
	s_and_b32 s4, s3, s4
	s_delay_alu instid0(SALU_CYCLE_1)
	s_and_saveexec_b32 s3, s4
	s_cbranch_execz .LBB2880_69
; %bb.68:
	ds_load_b64 v[4:5], v2
	v_mov_b32_e32 v23, 0
	s_delay_alu instid0(VALU_DEP_1) | instskip(SKIP_1) | instid1(VALU_DEP_1)
	v_add_nc_u64_e32 v[6:7], v[20:21], v[22:23]
	s_wait_dscnt 0x0
	v_add_nc_u64_e32 v[4:5], v[6:7], v[4:5]
	global_store_b64 v32, v[4:5], s[10:11] scale_offset
.LBB2880_69:
	s_wait_xcnt 0x0
	s_or_b32 exec_lo, exec_lo, s3
	s_mov_b32 s4, 0
.LBB2880_70:
	s_delay_alu instid0(SALU_CYCLE_1)
	s_and_b32 vcc_lo, exec_lo, s4
	s_cbranch_vccz .LBB2880_111
; %bb.71:
	s_lshl_b32 s4, s19, 12
	s_mov_b32 s5, 0
	v_dual_mov_b32 v21, 0 :: v_dual_lshlrev_b32 v20, 3, v33
	s_lshl_b64 s[24:25], s[4:5], 3
	v_lshlrev_b32_e32 v1, 6, v32
	s_add_nc_u64 s[12:13], s[12:13], s[24:25]
	s_bfe_u32 s3, ttmp6, 0x4000c
	v_add_nc_u64_e32 v[4:5], s[12:13], v[20:21]
	s_add_co_i32 s3, s3, 1
	v_and_b32_e32 v20, 0xf800, v1
	s_and_b32 s4, ttmp6, 15
	s_mul_i32 s3, ttmp9, s3
	v_bfe_u32 v3, v0, 10, 10
	s_add_co_i32 s4, s4, s3
	v_add_nc_u64_e32 v[4:5], v[4:5], v[20:21]
	s_cmp_eq_u32 s7, 0
	v_bfe_u32 v20, v0, 20, 10
	s_cselect_b32 s3, ttmp9, s4
	s_clause 0x7
	global_load_b64 v[22:23], v[4:5], off
	global_load_b64 v[18:19], v[4:5], off offset:256
	global_load_b64 v[6:7], v[4:5], off offset:512
	;; [unrolled: 1-line block ×7, first 2 shown]
	s_clause 0x1
	s_load_b32 s12, s[0:1], 0x58
	s_load_u16 s6, s[0:1], 0x66
	s_wait_kmcnt 0x0
	s_cmp_lt_u32 s3, s12
	s_cselect_b32 s4, 12, 18
	s_lshl_b32 s13, -1, s17
	s_add_nc_u64 s[0:1], s[22:23], s[4:5]
	s_load_u16 s0, s[0:1], 0x0
	s_wait_loadcnt 0x7
	v_not_b32_e32 v5, v23
	v_not_b32_e32 v4, v22
	s_delay_alu instid0(VALU_DEP_1) | instskip(SKIP_1) | instid1(VALU_DEP_2)
	v_lshrrev_b64 v[0:1], s16, v[4:5]
	v_mad_u32_u24 v1, v20, s6, v3
	v_bitop3_b32 v3, v0, 1, s13 bitop3:0x40
	v_bitop3_b32 v22, v0, s13, v0 bitop3:0x30
	s_wait_kmcnt 0x0
	s_delay_alu instid0(VALU_DEP_3) | instskip(NEXT) | instid1(VALU_DEP_3)
	v_mad_u32 v0, v1, s0, v32
	v_add_co_u32 v1, s0, v3, -1
	s_delay_alu instid0(VALU_DEP_1) | instskip(SKIP_3) | instid1(VALU_DEP_4)
	v_cndmask_b32_e64 v3, 0, 1, s0
	v_dual_lshlrev_b32 v20, 30, v22 :: v_dual_lshlrev_b32 v23, 29, v22
	v_dual_lshlrev_b32 v24, 28, v22 :: v_dual_lshlrev_b32 v25, 27, v22
	v_lshlrev_b32_e32 v26, 26, v22
	v_cmp_ne_u32_e32 vcc_lo, 0, v3
	s_delay_alu instid0(VALU_DEP_4)
	v_not_b32_e32 v3, v20
	v_cmp_gt_i32_e64 s0, 0, v20
	v_cmp_gt_i32_e64 s1, 0, v23
	v_not_b32_e32 v20, v23
	v_not_b32_e32 v23, v24
	v_dual_ashrrev_i32 v3, 31, v3 :: v_dual_bitop2_b32 v1, vcc_lo, v1 bitop3:0x14
	v_dual_lshlrev_b32 v27, 25, v22 :: v_dual_lshlrev_b32 v28, 24, v22
	v_cmp_gt_i32_e64 s3, 0, v24
	v_cmp_gt_i32_e64 s4, 0, v25
	v_not_b32_e32 v24, v25
	v_not_b32_e32 v25, v26
	v_dual_ashrrev_i32 v20, 31, v20 :: v_dual_ashrrev_i32 v23, 31, v23
	s_delay_alu instid0(VALU_DEP_3)
	v_dual_ashrrev_i32 v24, 31, v24 :: v_dual_bitop2_b32 v3, s0, v3 bitop3:0x14
	v_cmp_gt_i32_e64 s5, 0, v26
	v_cmp_gt_i32_e64 s6, 0, v27
	v_not_b32_e32 v26, v27
	v_not_b32_e32 v27, v28
	v_dual_ashrrev_i32 v25, 31, v25 :: v_dual_bitop2_b32 v20, s1, v20 bitop3:0x14
	v_xor_b32_e32 v23, s3, v23
	v_bitop3_b32 v1, v1, v3, exec_lo bitop3:0x80
	v_cmp_gt_i32_e64 s7, 0, v28
	v_dual_ashrrev_i32 v3, 31, v26 :: v_dual_ashrrev_i32 v26, 31, v27
	v_xor_b32_e32 v24, s4, v24
	v_dual_lshrrev_b32 v0, 5, v0 :: v_dual_bitop2_b32 v25, s5, v25 bitop3:0x14
	v_bitop3_b32 v1, v1, v23, v20 bitop3:0x80
	s_delay_alu instid0(VALU_DEP_4)
	v_xor_b32_e32 v3, s6, v3
	v_xor_b32_e32 v23, s7, v26
	v_mul_u32_u24_e32 v26, 36, v32
	v_lshlrev_b32_e32 v20, 2, v0
	v_bitop3_b32 v1, v1, v25, v24 bitop3:0x80
	s_not_b32 s7, s13
	ds_store_2addr_b32 v26, v21, v21 offset0:16 offset1:17
	ds_store_2addr_b32 v26, v21, v21 offset0:18 offset1:19
	;; [unrolled: 1-line block ×4, first 2 shown]
	v_mad_u32 v27, 0x44, v22, v20
	v_bitop3_b32 v0, v1, v23, v3 bitop3:0x80
	ds_store_b32 v26, v21 offset:96
	s_wait_storecnt 0x0
	s_wait_loadcnt_dscnt 0x0
	s_barrier_signal -1
	s_barrier_wait -1
	v_mbcnt_lo_u32_b32 v3, v0, 0
	v_cmp_ne_u32_e64 s0, 0, v0
	; wave barrier
	s_delay_alu instid0(VALU_DEP_2) | instskip(SKIP_1) | instid1(SALU_CYCLE_1)
	v_cmp_eq_u32_e32 vcc_lo, 0, v3
	s_and_b32 s1, s0, vcc_lo
	s_and_saveexec_b32 s0, s1
; %bb.72:
	v_bcnt_u32_b32 v0, v0, 0
	ds_store_b32 v27, v0 offset:64
; %bb.73:
	s_or_b32 exec_lo, exec_lo, s0
	v_not_b32_e32 v1, v19
	v_not_b32_e32 v0, v18
	; wave barrier
	s_delay_alu instid0(VALU_DEP_1) | instskip(NEXT) | instid1(VALU_DEP_1)
	v_lshrrev_b64 v[18:19], s16, v[0:1]
	v_and_b32_e32 v19, s7, v18
	v_bitop3_b32 v18, v18, 1, s7 bitop3:0x80
	s_delay_alu instid0(VALU_DEP_2) | instskip(NEXT) | instid1(VALU_DEP_2)
	v_lshlrev_b32_e32 v22, 30, v19
	v_add_co_u32 v18, s0, v18, -1
	s_delay_alu instid0(VALU_DEP_1) | instskip(NEXT) | instid1(VALU_DEP_1)
	v_cndmask_b32_e64 v21, 0, 1, s0
	v_cmp_ne_u32_e32 vcc_lo, 0, v21
	s_delay_alu instid0(VALU_DEP_4) | instskip(NEXT) | instid1(VALU_DEP_1)
	v_not_b32_e32 v21, v22
	v_dual_ashrrev_i32 v21, 31, v21 :: v_dual_bitop2_b32 v18, vcc_lo, v18 bitop3:0x14
	v_dual_lshlrev_b32 v23, 29, v19 :: v_dual_lshlrev_b32 v24, 28, v19
	v_dual_lshlrev_b32 v25, 27, v19 :: v_dual_lshlrev_b32 v29, 26, v19
	v_lshlrev_b32_e32 v30, 25, v19
	v_cmp_gt_i32_e64 s0, 0, v22
	s_delay_alu instid0(VALU_DEP_4)
	v_cmp_gt_i32_e64 s1, 0, v23
	v_not_b32_e32 v22, v23
	v_not_b32_e32 v23, v24
	v_mad_u32 v28, 0x44, v19, v20
	v_lshlrev_b32_e32 v19, 24, v19
	v_cmp_gt_i32_e64 s3, 0, v24
	v_cmp_gt_i32_e64 s4, 0, v25
	v_not_b32_e32 v24, v25
	v_not_b32_e32 v25, v29
	v_dual_ashrrev_i32 v22, 31, v22 :: v_dual_ashrrev_i32 v23, 31, v23
	s_delay_alu instid0(VALU_DEP_3) | instskip(SKIP_1) | instid1(VALU_DEP_3)
	v_dual_ashrrev_i32 v24, 31, v24 :: v_dual_bitop2_b32 v21, s0, v21 bitop3:0x14
	v_cmp_gt_i32_e64 s5, 0, v29
	v_dual_ashrrev_i32 v25, 31, v25 :: v_dual_bitop2_b32 v22, s1, v22 bitop3:0x14
	s_delay_alu instid0(VALU_DEP_3)
	v_bitop3_b32 v18, v18, v21, exec_lo bitop3:0x80
	v_not_b32_e32 v21, v30
	v_xor_b32_e32 v23, s3, v23
	v_not_b32_e32 v29, v19
	v_cmp_gt_i32_e64 s6, 0, v30
	v_xor_b32_e32 v24, s4, v24
	v_xor_b32_e32 v25, s5, v25
	v_ashrrev_i32_e32 v21, 31, v21
	v_bitop3_b32 v18, v18, v23, v22 bitop3:0x80
	v_cmp_gt_i32_e32 vcc_lo, 0, v19
	v_ashrrev_i32_e32 v19, 31, v29
	ds_load_b32 v30, v28 offset:64
	v_xor_b32_e32 v21, s6, v21
	v_bitop3_b32 v18, v18, v25, v24 bitop3:0x80
	v_xor_b32_e32 v19, vcc_lo, v19
	; wave barrier
	s_delay_alu instid0(VALU_DEP_1) | instskip(NEXT) | instid1(VALU_DEP_1)
	v_bitop3_b32 v18, v18, v19, v21 bitop3:0x80
	v_mbcnt_lo_u32_b32 v31, v18, 0
	v_cmp_ne_u32_e64 s0, 0, v18
	s_delay_alu instid0(VALU_DEP_2) | instskip(SKIP_1) | instid1(SALU_CYCLE_1)
	v_cmp_eq_u32_e32 vcc_lo, 0, v31
	s_and_b32 s1, s0, vcc_lo
	s_and_saveexec_b32 s0, s1
	s_cbranch_execz .LBB2880_75
; %bb.74:
	s_wait_dscnt 0x0
	v_bcnt_u32_b32 v18, v18, v30
	ds_store_b32 v28, v18 offset:64
.LBB2880_75:
	s_or_b32 exec_lo, exec_lo, s0
	v_not_b32_e32 v7, v7
	v_not_b32_e32 v6, v6
	; wave barrier
	s_delay_alu instid0(VALU_DEP_1) | instskip(NEXT) | instid1(VALU_DEP_1)
	v_lshrrev_b64 v[18:19], s16, v[6:7]
	v_and_b32_e32 v19, s7, v18
	v_bitop3_b32 v18, v18, 1, s7 bitop3:0x80
	s_delay_alu instid0(VALU_DEP_2) | instskip(NEXT) | instid1(VALU_DEP_2)
	v_lshlrev_b32_e32 v22, 30, v19
	v_add_co_u32 v18, s0, v18, -1
	s_delay_alu instid0(VALU_DEP_1) | instskip(NEXT) | instid1(VALU_DEP_1)
	v_cndmask_b32_e64 v21, 0, 1, s0
	v_cmp_ne_u32_e32 vcc_lo, 0, v21
	s_delay_alu instid0(VALU_DEP_4) | instskip(NEXT) | instid1(VALU_DEP_1)
	v_not_b32_e32 v21, v22
	v_dual_ashrrev_i32 v21, 31, v21 :: v_dual_bitop2_b32 v18, vcc_lo, v18 bitop3:0x14
	v_dual_lshlrev_b32 v23, 29, v19 :: v_dual_lshlrev_b32 v24, 28, v19
	v_dual_lshlrev_b32 v25, 27, v19 :: v_dual_lshlrev_b32 v34, 26, v19
	v_lshlrev_b32_e32 v35, 25, v19
	v_cmp_gt_i32_e64 s0, 0, v22
	s_delay_alu instid0(VALU_DEP_4)
	v_cmp_gt_i32_e64 s1, 0, v23
	v_not_b32_e32 v22, v23
	v_not_b32_e32 v23, v24
	v_mad_u32 v29, 0x44, v19, v20
	v_lshlrev_b32_e32 v19, 24, v19
	v_cmp_gt_i32_e64 s3, 0, v24
	v_cmp_gt_i32_e64 s4, 0, v25
	v_not_b32_e32 v24, v25
	v_not_b32_e32 v25, v34
	v_dual_ashrrev_i32 v22, 31, v22 :: v_dual_ashrrev_i32 v23, 31, v23
	s_delay_alu instid0(VALU_DEP_3) | instskip(SKIP_1) | instid1(VALU_DEP_3)
	v_dual_ashrrev_i32 v24, 31, v24 :: v_dual_bitop2_b32 v21, s0, v21 bitop3:0x14
	v_cmp_gt_i32_e64 s5, 0, v34
	v_dual_ashrrev_i32 v25, 31, v25 :: v_dual_bitop2_b32 v22, s1, v22 bitop3:0x14
	s_delay_alu instid0(VALU_DEP_3)
	v_bitop3_b32 v18, v18, v21, exec_lo bitop3:0x80
	v_not_b32_e32 v21, v35
	v_xor_b32_e32 v23, s3, v23
	v_not_b32_e32 v34, v19
	v_cmp_gt_i32_e64 s6, 0, v35
	v_xor_b32_e32 v24, s4, v24
	v_xor_b32_e32 v25, s5, v25
	v_ashrrev_i32_e32 v21, 31, v21
	v_bitop3_b32 v18, v18, v23, v22 bitop3:0x80
	v_cmp_gt_i32_e32 vcc_lo, 0, v19
	v_ashrrev_i32_e32 v19, 31, v34
	ds_load_b32 v34, v29 offset:64
	v_xor_b32_e32 v21, s6, v21
	v_bitop3_b32 v18, v18, v25, v24 bitop3:0x80
	v_xor_b32_e32 v19, vcc_lo, v19
	; wave barrier
	s_delay_alu instid0(VALU_DEP_1) | instskip(NEXT) | instid1(VALU_DEP_1)
	v_bitop3_b32 v18, v18, v19, v21 bitop3:0x80
	v_mbcnt_lo_u32_b32 v35, v18, 0
	v_cmp_ne_u32_e64 s0, 0, v18
	s_delay_alu instid0(VALU_DEP_2) | instskip(SKIP_1) | instid1(SALU_CYCLE_1)
	v_cmp_eq_u32_e32 vcc_lo, 0, v35
	s_and_b32 s1, s0, vcc_lo
	s_and_saveexec_b32 s0, s1
	s_cbranch_execz .LBB2880_77
; %bb.76:
	s_wait_dscnt 0x0
	v_bcnt_u32_b32 v18, v18, v34
	ds_store_b32 v29, v18 offset:64
.LBB2880_77:
	s_or_b32 exec_lo, exec_lo, s0
	v_not_b32_e32 v9, v9
	v_not_b32_e32 v8, v8
	; wave barrier
	s_delay_alu instid0(VALU_DEP_1) | instskip(NEXT) | instid1(VALU_DEP_1)
	v_lshrrev_b64 v[18:19], s16, v[8:9]
	v_and_b32_e32 v19, s7, v18
	v_bitop3_b32 v18, v18, 1, s7 bitop3:0x80
	s_delay_alu instid0(VALU_DEP_2) | instskip(NEXT) | instid1(VALU_DEP_2)
	v_lshlrev_b32_e32 v22, 30, v19
	v_add_co_u32 v18, s0, v18, -1
	s_delay_alu instid0(VALU_DEP_1) | instskip(NEXT) | instid1(VALU_DEP_1)
	v_cndmask_b32_e64 v21, 0, 1, s0
	v_cmp_ne_u32_e32 vcc_lo, 0, v21
	s_delay_alu instid0(VALU_DEP_4) | instskip(NEXT) | instid1(VALU_DEP_1)
	v_not_b32_e32 v21, v22
	v_dual_ashrrev_i32 v21, 31, v21 :: v_dual_bitop2_b32 v18, vcc_lo, v18 bitop3:0x14
	v_dual_lshlrev_b32 v23, 29, v19 :: v_dual_lshlrev_b32 v24, 28, v19
	v_dual_lshlrev_b32 v25, 27, v19 :: v_dual_lshlrev_b32 v36, 26, v19
	v_lshlrev_b32_e32 v37, 25, v19
	v_cmp_gt_i32_e64 s0, 0, v22
	s_delay_alu instid0(VALU_DEP_4)
	v_cmp_gt_i32_e64 s1, 0, v23
	v_not_b32_e32 v22, v23
	v_not_b32_e32 v23, v24
	v_mad_u32 v38, 0x44, v19, v20
	v_lshlrev_b32_e32 v19, 24, v19
	v_cmp_gt_i32_e64 s3, 0, v24
	v_cmp_gt_i32_e64 s4, 0, v25
	v_not_b32_e32 v24, v25
	v_not_b32_e32 v25, v36
	v_dual_ashrrev_i32 v22, 31, v22 :: v_dual_ashrrev_i32 v23, 31, v23
	s_delay_alu instid0(VALU_DEP_3) | instskip(SKIP_1) | instid1(VALU_DEP_3)
	v_dual_ashrrev_i32 v24, 31, v24 :: v_dual_bitop2_b32 v21, s0, v21 bitop3:0x14
	v_cmp_gt_i32_e64 s5, 0, v36
	v_dual_ashrrev_i32 v25, 31, v25 :: v_dual_bitop2_b32 v22, s1, v22 bitop3:0x14
	s_delay_alu instid0(VALU_DEP_3)
	v_bitop3_b32 v18, v18, v21, exec_lo bitop3:0x80
	v_not_b32_e32 v21, v37
	v_xor_b32_e32 v23, s3, v23
	v_not_b32_e32 v36, v19
	v_cmp_gt_i32_e64 s6, 0, v37
	v_xor_b32_e32 v24, s4, v24
	v_xor_b32_e32 v25, s5, v25
	v_ashrrev_i32_e32 v21, 31, v21
	v_bitop3_b32 v18, v18, v23, v22 bitop3:0x80
	v_cmp_gt_i32_e32 vcc_lo, 0, v19
	v_ashrrev_i32_e32 v19, 31, v36
	ds_load_b32 v36, v38 offset:64
	v_xor_b32_e32 v21, s6, v21
	v_bitop3_b32 v18, v18, v25, v24 bitop3:0x80
	v_xor_b32_e32 v19, vcc_lo, v19
	; wave barrier
	s_delay_alu instid0(VALU_DEP_1) | instskip(NEXT) | instid1(VALU_DEP_1)
	v_bitop3_b32 v18, v18, v19, v21 bitop3:0x80
	v_mbcnt_lo_u32_b32 v37, v18, 0
	v_cmp_ne_u32_e64 s0, 0, v18
	s_delay_alu instid0(VALU_DEP_2) | instskip(SKIP_1) | instid1(SALU_CYCLE_1)
	v_cmp_eq_u32_e32 vcc_lo, 0, v37
	s_and_b32 s1, s0, vcc_lo
	s_and_saveexec_b32 s0, s1
	s_cbranch_execz .LBB2880_79
; %bb.78:
	s_wait_dscnt 0x0
	v_bcnt_u32_b32 v18, v18, v36
	ds_store_b32 v38, v18 offset:64
.LBB2880_79:
	s_or_b32 exec_lo, exec_lo, s0
	v_not_b32_e32 v11, v11
	v_not_b32_e32 v10, v10
	; wave barrier
	s_delay_alu instid0(VALU_DEP_1) | instskip(NEXT) | instid1(VALU_DEP_1)
	v_lshrrev_b64 v[18:19], s16, v[10:11]
	v_and_b32_e32 v19, s7, v18
	v_bitop3_b32 v18, v18, 1, s7 bitop3:0x80
	s_delay_alu instid0(VALU_DEP_2) | instskip(NEXT) | instid1(VALU_DEP_2)
	v_lshlrev_b32_e32 v22, 30, v19
	v_add_co_u32 v18, s0, v18, -1
	s_delay_alu instid0(VALU_DEP_1) | instskip(NEXT) | instid1(VALU_DEP_1)
	v_cndmask_b32_e64 v21, 0, 1, s0
	v_cmp_ne_u32_e32 vcc_lo, 0, v21
	s_delay_alu instid0(VALU_DEP_4) | instskip(NEXT) | instid1(VALU_DEP_1)
	v_not_b32_e32 v21, v22
	v_dual_ashrrev_i32 v21, 31, v21 :: v_dual_bitop2_b32 v18, vcc_lo, v18 bitop3:0x14
	v_dual_lshlrev_b32 v23, 29, v19 :: v_dual_lshlrev_b32 v24, 28, v19
	v_dual_lshlrev_b32 v25, 27, v19 :: v_dual_lshlrev_b32 v39, 26, v19
	v_lshlrev_b32_e32 v40, 25, v19
	v_cmp_gt_i32_e64 s0, 0, v22
	s_delay_alu instid0(VALU_DEP_4)
	v_cmp_gt_i32_e64 s1, 0, v23
	v_not_b32_e32 v22, v23
	v_not_b32_e32 v23, v24
	v_mad_u32 v41, 0x44, v19, v20
	v_lshlrev_b32_e32 v19, 24, v19
	v_cmp_gt_i32_e64 s3, 0, v24
	v_cmp_gt_i32_e64 s4, 0, v25
	v_not_b32_e32 v24, v25
	v_not_b32_e32 v25, v39
	v_dual_ashrrev_i32 v22, 31, v22 :: v_dual_ashrrev_i32 v23, 31, v23
	s_delay_alu instid0(VALU_DEP_3) | instskip(SKIP_1) | instid1(VALU_DEP_3)
	v_dual_ashrrev_i32 v24, 31, v24 :: v_dual_bitop2_b32 v21, s0, v21 bitop3:0x14
	v_cmp_gt_i32_e64 s5, 0, v39
	v_dual_ashrrev_i32 v25, 31, v25 :: v_dual_bitop2_b32 v22, s1, v22 bitop3:0x14
	s_delay_alu instid0(VALU_DEP_3)
	v_bitop3_b32 v18, v18, v21, exec_lo bitop3:0x80
	v_not_b32_e32 v21, v40
	v_xor_b32_e32 v23, s3, v23
	v_not_b32_e32 v39, v19
	v_cmp_gt_i32_e64 s6, 0, v40
	v_xor_b32_e32 v24, s4, v24
	v_xor_b32_e32 v25, s5, v25
	v_ashrrev_i32_e32 v21, 31, v21
	v_bitop3_b32 v18, v18, v23, v22 bitop3:0x80
	v_cmp_gt_i32_e32 vcc_lo, 0, v19
	v_ashrrev_i32_e32 v19, 31, v39
	ds_load_b32 v39, v41 offset:64
	v_xor_b32_e32 v21, s6, v21
	v_bitop3_b32 v18, v18, v25, v24 bitop3:0x80
	v_xor_b32_e32 v19, vcc_lo, v19
	; wave barrier
	s_delay_alu instid0(VALU_DEP_1) | instskip(NEXT) | instid1(VALU_DEP_1)
	v_bitop3_b32 v18, v18, v19, v21 bitop3:0x80
	v_mbcnt_lo_u32_b32 v40, v18, 0
	v_cmp_ne_u32_e64 s0, 0, v18
	s_delay_alu instid0(VALU_DEP_2) | instskip(SKIP_1) | instid1(SALU_CYCLE_1)
	v_cmp_eq_u32_e32 vcc_lo, 0, v40
	s_and_b32 s1, s0, vcc_lo
	s_and_saveexec_b32 s0, s1
	s_cbranch_execz .LBB2880_81
; %bb.80:
	s_wait_dscnt 0x0
	v_bcnt_u32_b32 v18, v18, v39
	ds_store_b32 v41, v18 offset:64
.LBB2880_81:
	s_or_b32 exec_lo, exec_lo, s0
	v_not_b32_e32 v15, v15
	v_not_b32_e32 v14, v14
	; wave barrier
	s_delay_alu instid0(VALU_DEP_1) | instskip(NEXT) | instid1(VALU_DEP_1)
	v_lshrrev_b64 v[18:19], s16, v[14:15]
	v_and_b32_e32 v19, s7, v18
	v_bitop3_b32 v18, v18, 1, s7 bitop3:0x80
	s_delay_alu instid0(VALU_DEP_2) | instskip(NEXT) | instid1(VALU_DEP_2)
	v_lshlrev_b32_e32 v22, 30, v19
	v_add_co_u32 v18, s0, v18, -1
	s_delay_alu instid0(VALU_DEP_1) | instskip(NEXT) | instid1(VALU_DEP_1)
	v_cndmask_b32_e64 v21, 0, 1, s0
	v_cmp_ne_u32_e32 vcc_lo, 0, v21
	s_delay_alu instid0(VALU_DEP_4) | instskip(NEXT) | instid1(VALU_DEP_1)
	v_not_b32_e32 v21, v22
	v_dual_ashrrev_i32 v21, 31, v21 :: v_dual_bitop2_b32 v18, vcc_lo, v18 bitop3:0x14
	v_dual_lshlrev_b32 v23, 29, v19 :: v_dual_lshlrev_b32 v24, 28, v19
	v_dual_lshlrev_b32 v25, 27, v19 :: v_dual_lshlrev_b32 v42, 26, v19
	v_lshlrev_b32_e32 v43, 25, v19
	v_cmp_gt_i32_e64 s0, 0, v22
	s_delay_alu instid0(VALU_DEP_4)
	v_cmp_gt_i32_e64 s1, 0, v23
	v_not_b32_e32 v22, v23
	v_not_b32_e32 v23, v24
	v_mad_u32 v44, 0x44, v19, v20
	v_lshlrev_b32_e32 v19, 24, v19
	v_cmp_gt_i32_e64 s3, 0, v24
	v_cmp_gt_i32_e64 s4, 0, v25
	v_not_b32_e32 v24, v25
	v_not_b32_e32 v25, v42
	v_dual_ashrrev_i32 v22, 31, v22 :: v_dual_ashrrev_i32 v23, 31, v23
	s_delay_alu instid0(VALU_DEP_3) | instskip(SKIP_1) | instid1(VALU_DEP_3)
	v_dual_ashrrev_i32 v24, 31, v24 :: v_dual_bitop2_b32 v21, s0, v21 bitop3:0x14
	v_cmp_gt_i32_e64 s5, 0, v42
	v_dual_ashrrev_i32 v25, 31, v25 :: v_dual_bitop2_b32 v22, s1, v22 bitop3:0x14
	s_delay_alu instid0(VALU_DEP_3)
	v_bitop3_b32 v18, v18, v21, exec_lo bitop3:0x80
	v_not_b32_e32 v21, v43
	v_xor_b32_e32 v23, s3, v23
	v_not_b32_e32 v42, v19
	v_cmp_gt_i32_e64 s6, 0, v43
	v_xor_b32_e32 v24, s4, v24
	v_xor_b32_e32 v25, s5, v25
	v_ashrrev_i32_e32 v21, 31, v21
	v_bitop3_b32 v18, v18, v23, v22 bitop3:0x80
	v_cmp_gt_i32_e32 vcc_lo, 0, v19
	v_ashrrev_i32_e32 v19, 31, v42
	ds_load_b32 v42, v44 offset:64
	v_xor_b32_e32 v21, s6, v21
	v_bitop3_b32 v18, v18, v25, v24 bitop3:0x80
	v_xor_b32_e32 v19, vcc_lo, v19
	; wave barrier
	s_delay_alu instid0(VALU_DEP_1) | instskip(NEXT) | instid1(VALU_DEP_1)
	v_bitop3_b32 v18, v18, v19, v21 bitop3:0x80
	v_mbcnt_lo_u32_b32 v43, v18, 0
	v_cmp_ne_u32_e64 s0, 0, v18
	s_delay_alu instid0(VALU_DEP_2) | instskip(SKIP_1) | instid1(SALU_CYCLE_1)
	v_cmp_eq_u32_e32 vcc_lo, 0, v43
	s_and_b32 s1, s0, vcc_lo
	s_and_saveexec_b32 s0, s1
	s_cbranch_execz .LBB2880_83
; %bb.82:
	s_wait_dscnt 0x0
	v_bcnt_u32_b32 v18, v18, v42
	ds_store_b32 v44, v18 offset:64
.LBB2880_83:
	s_or_b32 exec_lo, exec_lo, s0
	v_not_b32_e32 v17, v17
	v_not_b32_e32 v16, v16
	; wave barrier
	s_delay_alu instid0(VALU_DEP_1) | instskip(NEXT) | instid1(VALU_DEP_1)
	v_lshrrev_b64 v[18:19], s16, v[16:17]
	v_and_b32_e32 v19, s7, v18
	v_bitop3_b32 v18, v18, 1, s7 bitop3:0x80
	s_delay_alu instid0(VALU_DEP_2) | instskip(NEXT) | instid1(VALU_DEP_2)
	v_lshlrev_b32_e32 v22, 30, v19
	v_add_co_u32 v18, s0, v18, -1
	s_delay_alu instid0(VALU_DEP_1) | instskip(NEXT) | instid1(VALU_DEP_1)
	v_cndmask_b32_e64 v21, 0, 1, s0
	v_cmp_ne_u32_e32 vcc_lo, 0, v21
	s_delay_alu instid0(VALU_DEP_4) | instskip(NEXT) | instid1(VALU_DEP_1)
	v_not_b32_e32 v21, v22
	v_dual_ashrrev_i32 v21, 31, v21 :: v_dual_bitop2_b32 v18, vcc_lo, v18 bitop3:0x14
	v_dual_lshlrev_b32 v23, 29, v19 :: v_dual_lshlrev_b32 v24, 28, v19
	v_dual_lshlrev_b32 v25, 27, v19 :: v_dual_lshlrev_b32 v45, 26, v19
	v_lshlrev_b32_e32 v46, 25, v19
	v_cmp_gt_i32_e64 s0, 0, v22
	s_delay_alu instid0(VALU_DEP_4)
	v_cmp_gt_i32_e64 s1, 0, v23
	v_not_b32_e32 v22, v23
	v_not_b32_e32 v23, v24
	v_mad_u32 v47, 0x44, v19, v20
	v_lshlrev_b32_e32 v19, 24, v19
	v_cmp_gt_i32_e64 s3, 0, v24
	v_cmp_gt_i32_e64 s4, 0, v25
	v_not_b32_e32 v24, v25
	v_not_b32_e32 v25, v45
	v_dual_ashrrev_i32 v22, 31, v22 :: v_dual_ashrrev_i32 v23, 31, v23
	s_delay_alu instid0(VALU_DEP_3) | instskip(SKIP_1) | instid1(VALU_DEP_3)
	v_dual_ashrrev_i32 v24, 31, v24 :: v_dual_bitop2_b32 v21, s0, v21 bitop3:0x14
	v_cmp_gt_i32_e64 s5, 0, v45
	v_dual_ashrrev_i32 v25, 31, v25 :: v_dual_bitop2_b32 v22, s1, v22 bitop3:0x14
	s_delay_alu instid0(VALU_DEP_3)
	v_bitop3_b32 v18, v18, v21, exec_lo bitop3:0x80
	v_not_b32_e32 v21, v46
	v_xor_b32_e32 v23, s3, v23
	v_not_b32_e32 v45, v19
	v_cmp_gt_i32_e64 s6, 0, v46
	v_xor_b32_e32 v24, s4, v24
	v_xor_b32_e32 v25, s5, v25
	v_ashrrev_i32_e32 v21, 31, v21
	v_bitop3_b32 v18, v18, v23, v22 bitop3:0x80
	v_cmp_gt_i32_e32 vcc_lo, 0, v19
	v_ashrrev_i32_e32 v19, 31, v45
	ds_load_b32 v45, v47 offset:64
	v_xor_b32_e32 v21, s6, v21
	v_bitop3_b32 v18, v18, v25, v24 bitop3:0x80
	v_xor_b32_e32 v19, vcc_lo, v19
	; wave barrier
	s_delay_alu instid0(VALU_DEP_1) | instskip(NEXT) | instid1(VALU_DEP_1)
	v_bitop3_b32 v18, v18, v19, v21 bitop3:0x80
	v_mbcnt_lo_u32_b32 v46, v18, 0
	v_cmp_ne_u32_e64 s0, 0, v18
	s_delay_alu instid0(VALU_DEP_2) | instskip(SKIP_1) | instid1(SALU_CYCLE_1)
	v_cmp_eq_u32_e32 vcc_lo, 0, v46
	s_and_b32 s1, s0, vcc_lo
	s_and_saveexec_b32 s0, s1
	s_cbranch_execz .LBB2880_85
; %bb.84:
	s_wait_dscnt 0x0
	v_bcnt_u32_b32 v18, v18, v45
	ds_store_b32 v47, v18 offset:64
.LBB2880_85:
	s_or_b32 exec_lo, exec_lo, s0
	v_not_b32_e32 v13, v13
	v_not_b32_e32 v12, v12
	; wave barrier
	s_delay_alu instid0(VALU_DEP_1) | instskip(NEXT) | instid1(VALU_DEP_1)
	v_lshrrev_b64 v[18:19], s16, v[12:13]
	v_and_b32_e32 v19, s7, v18
	v_bitop3_b32 v18, v18, 1, s7 bitop3:0x80
	s_delay_alu instid0(VALU_DEP_2) | instskip(NEXT) | instid1(VALU_DEP_2)
	v_mad_u32 v50, 0x44, v19, v20
	v_add_co_u32 v18, s0, v18, -1
	s_delay_alu instid0(VALU_DEP_1) | instskip(SKIP_1) | instid1(VALU_DEP_2)
	v_cndmask_b32_e64 v20, 0, 1, s0
	v_lshlrev_b32_e32 v21, 30, v19
	v_cmp_ne_u32_e32 vcc_lo, 0, v20
	s_delay_alu instid0(VALU_DEP_2) | instskip(NEXT) | instid1(VALU_DEP_1)
	v_not_b32_e32 v20, v21
	v_dual_ashrrev_i32 v20, 31, v20 :: v_dual_bitop2_b32 v18, vcc_lo, v18 bitop3:0x14
	v_dual_lshlrev_b32 v22, 29, v19 :: v_dual_lshlrev_b32 v23, 28, v19
	v_dual_lshlrev_b32 v24, 27, v19 :: v_dual_lshlrev_b32 v25, 26, v19
	v_lshlrev_b32_e32 v48, 25, v19
	v_cmp_gt_i32_e64 s0, 0, v21
	s_delay_alu instid0(VALU_DEP_4)
	v_cmp_gt_i32_e64 s1, 0, v22
	v_not_b32_e32 v21, v22
	v_not_b32_e32 v22, v23
	v_lshlrev_b32_e32 v19, 24, v19
	v_cmp_gt_i32_e64 s3, 0, v23
	v_cmp_gt_i32_e64 s4, 0, v24
	v_not_b32_e32 v23, v24
	v_not_b32_e32 v24, v25
	v_dual_ashrrev_i32 v21, 31, v21 :: v_dual_ashrrev_i32 v22, 31, v22
	s_delay_alu instid0(VALU_DEP_3) | instskip(SKIP_1) | instid1(VALU_DEP_3)
	v_dual_ashrrev_i32 v23, 31, v23 :: v_dual_bitop2_b32 v20, s0, v20 bitop3:0x14
	v_cmp_gt_i32_e64 s5, 0, v25
	v_dual_ashrrev_i32 v24, 31, v24 :: v_dual_bitop2_b32 v21, s1, v21 bitop3:0x14
	s_delay_alu instid0(VALU_DEP_3)
	v_bitop3_b32 v18, v18, v20, exec_lo bitop3:0x80
	v_not_b32_e32 v20, v48
	v_xor_b32_e32 v22, s3, v22
	v_not_b32_e32 v25, v19
	v_cmp_gt_i32_e64 s6, 0, v48
	v_xor_b32_e32 v23, s4, v23
	v_xor_b32_e32 v24, s5, v24
	v_ashrrev_i32_e32 v20, 31, v20
	v_bitop3_b32 v18, v18, v22, v21 bitop3:0x80
	v_cmp_gt_i32_e32 vcc_lo, 0, v19
	v_ashrrev_i32_e32 v19, 31, v25
	ds_load_b32 v48, v50 offset:64
	v_xor_b32_e32 v20, s6, v20
	v_bitop3_b32 v18, v18, v24, v23 bitop3:0x80
	v_xor_b32_e32 v19, vcc_lo, v19
	; wave barrier
	s_delay_alu instid0(VALU_DEP_1) | instskip(NEXT) | instid1(VALU_DEP_1)
	v_bitop3_b32 v18, v18, v19, v20 bitop3:0x80
	v_mbcnt_lo_u32_b32 v49, v18, 0
	v_cmp_ne_u32_e64 s0, 0, v18
	s_delay_alu instid0(VALU_DEP_2) | instskip(SKIP_1) | instid1(SALU_CYCLE_1)
	v_cmp_eq_u32_e32 vcc_lo, 0, v49
	s_and_b32 s1, s0, vcc_lo
	s_and_saveexec_b32 s0, s1
	s_cbranch_execz .LBB2880_87
; %bb.86:
	s_wait_dscnt 0x0
	v_bcnt_u32_b32 v18, v18, v48
	ds_store_b32 v50, v18 offset:64
.LBB2880_87:
	s_or_b32 exec_lo, exec_lo, s0
	; wave barrier
	s_wait_dscnt 0x0
	s_barrier_signal -1
	s_barrier_wait -1
	ds_load_2addr_b32 v[24:25], v26 offset0:16 offset1:17
	ds_load_2addr_b32 v[22:23], v26 offset0:18 offset1:19
	;; [unrolled: 1-line block ×4, first 2 shown]
	ds_load_b32 v51, v26 offset:96
	v_bfe_i32 v54, v33, 4, 1
	s_mov_b32 s5, exec_lo
	s_wait_dscnt 0x3
	v_add3_u32 v52, v25, v24, v22
	s_wait_dscnt 0x2
	s_delay_alu instid0(VALU_DEP_1) | instskip(SKIP_1) | instid1(VALU_DEP_1)
	v_add3_u32 v52, v52, v23, v20
	s_wait_dscnt 0x1
	v_add3_u32 v52, v52, v21, v18
	s_wait_dscnt 0x0
	s_delay_alu instid0(VALU_DEP_1) | instskip(SKIP_1) | instid1(VALU_DEP_2)
	v_add3_u32 v51, v52, v19, v51
	v_and_b32_e32 v52, 15, v33
	v_mov_b32_dpp v53, v51 row_shr:1 row_mask:0xf bank_mask:0xf
	s_delay_alu instid0(VALU_DEP_2) | instskip(NEXT) | instid1(VALU_DEP_2)
	v_cmp_eq_u32_e32 vcc_lo, 0, v52
	v_cndmask_b32_e64 v53, v53, 0, vcc_lo
	s_delay_alu instid0(VALU_DEP_1) | instskip(SKIP_3) | instid1(VALU_DEP_4)
	v_add_nc_u32_e32 v51, v53, v51
	v_cmp_lt_u32_e64 s0, 1, v52
	v_cmp_lt_u32_e64 s1, 3, v52
	;; [unrolled: 1-line block ×3, first 2 shown]
	v_mov_b32_dpp v53, v51 row_shr:2 row_mask:0xf bank_mask:0xf
	s_delay_alu instid0(VALU_DEP_1) | instskip(NEXT) | instid1(VALU_DEP_1)
	v_cndmask_b32_e64 v53, 0, v53, s0
	v_add_nc_u32_e32 v51, v51, v53
	s_delay_alu instid0(VALU_DEP_1) | instskip(NEXT) | instid1(VALU_DEP_1)
	v_mov_b32_dpp v53, v51 row_shr:4 row_mask:0xf bank_mask:0xf
	v_cndmask_b32_e64 v53, 0, v53, s1
	s_delay_alu instid0(VALU_DEP_1) | instskip(NEXT) | instid1(VALU_DEP_1)
	v_add_nc_u32_e32 v51, v51, v53
	v_mov_b32_dpp v53, v51 row_shr:8 row_mask:0xf bank_mask:0xf
	s_delay_alu instid0(VALU_DEP_1) | instskip(SKIP_1) | instid1(VALU_DEP_2)
	v_cndmask_b32_e64 v52, 0, v53, s3
	v_and_b32_e32 v53, 0x3e0, v32
	v_add_nc_u32_e32 v51, v51, v52
	s_delay_alu instid0(VALU_DEP_2) | instskip(SKIP_4) | instid1(VALU_DEP_1)
	v_min_u32_e32 v53, 0x1e0, v53
	ds_swizzle_b32 v52, v51 offset:swizzle(BROADCAST,32,15)
	v_or_b32_e32 v53, 31, v53
	s_wait_dscnt 0x0
	v_and_b32_e32 v54, v54, v52
	v_dual_lshrrev_b32 v52, 5, v32 :: v_dual_add_nc_u32 v51, v51, v54
	s_delay_alu instid0(VALU_DEP_3)
	v_cmpx_eq_u32_e64 v32, v53
; %bb.88:
	s_delay_alu instid0(VALU_DEP_2)
	v_lshlrev_b32_e32 v53, 2, v52
	ds_store_b32 v53, v51
; %bb.89:
	s_or_b32 exec_lo, exec_lo, s5
	s_delay_alu instid0(SALU_CYCLE_1)
	s_mov_b32 s5, exec_lo
	s_wait_dscnt 0x0
	s_barrier_signal -1
	s_barrier_wait -1
	v_cmpx_gt_u32_e32 16, v32
	s_cbranch_execz .LBB2880_91
; %bb.90:
	v_lshlrev_b32_e32 v53, 2, v32
	ds_load_b32 v54, v53
	s_wait_dscnt 0x0
	v_mov_b32_dpp v55, v54 row_shr:1 row_mask:0xf bank_mask:0xf
	s_delay_alu instid0(VALU_DEP_1) | instskip(NEXT) | instid1(VALU_DEP_1)
	v_cndmask_b32_e64 v55, v55, 0, vcc_lo
	v_add_nc_u32_e32 v54, v55, v54
	s_delay_alu instid0(VALU_DEP_1) | instskip(NEXT) | instid1(VALU_DEP_1)
	v_mov_b32_dpp v55, v54 row_shr:2 row_mask:0xf bank_mask:0xf
	v_cndmask_b32_e64 v55, 0, v55, s0
	s_delay_alu instid0(VALU_DEP_1) | instskip(NEXT) | instid1(VALU_DEP_1)
	v_add_nc_u32_e32 v54, v54, v55
	v_mov_b32_dpp v55, v54 row_shr:4 row_mask:0xf bank_mask:0xf
	s_delay_alu instid0(VALU_DEP_1) | instskip(NEXT) | instid1(VALU_DEP_1)
	v_cndmask_b32_e64 v55, 0, v55, s1
	v_add_nc_u32_e32 v54, v54, v55
	s_delay_alu instid0(VALU_DEP_1) | instskip(NEXT) | instid1(VALU_DEP_1)
	v_mov_b32_dpp v55, v54 row_shr:8 row_mask:0xf bank_mask:0xf
	v_cndmask_b32_e64 v55, 0, v55, s3
	s_delay_alu instid0(VALU_DEP_1)
	v_add_nc_u32_e32 v54, v54, v55
	ds_store_b32 v53, v54
.LBB2880_91:
	s_or_b32 exec_lo, exec_lo, s5
	v_mov_b32_e32 v53, 0
	s_mov_b32 s0, exec_lo
	s_wait_dscnt 0x0
	s_barrier_signal -1
	s_barrier_wait -1
	v_cmpx_lt_u32_e32 31, v32
; %bb.92:
	v_lshl_add_u32 v52, v52, 2, -4
	ds_load_b32 v53, v52
; %bb.93:
	s_or_b32 exec_lo, exec_lo, s0
	v_sub_co_u32 v52, vcc_lo, v33, 1
	s_wait_dscnt 0x0
	v_add_nc_u32_e32 v51, v53, v51
	s_delay_alu instid0(VALU_DEP_2) | instskip(NEXT) | instid1(VALU_DEP_1)
	v_cmp_gt_i32_e64 s0, 0, v52
	v_cndmask_b32_e64 v33, v52, v33, s0
	v_cmp_lt_u32_e64 s0, 0xff, v32
	s_delay_alu instid0(VALU_DEP_2) | instskip(SKIP_4) | instid1(VALU_DEP_2)
	v_lshlrev_b32_e32 v33, 2, v33
	ds_bpermute_b32 v33, v33, v51
	s_wait_dscnt 0x0
	v_cndmask_b32_e32 v33, v33, v53, vcc_lo
	v_cmp_gt_u32_e32 vcc_lo, 0x100, v32
	v_cndmask_b32_e64 v33, v33, 0, s2
	s_delay_alu instid0(VALU_DEP_1) | instskip(NEXT) | instid1(VALU_DEP_1)
	v_add_nc_u32_e32 v24, v33, v24
	v_add_nc_u32_e32 v25, v24, v25
	s_delay_alu instid0(VALU_DEP_1) | instskip(NEXT) | instid1(VALU_DEP_1)
	v_add_nc_u32_e32 v22, v25, v22
	v_add_nc_u32_e32 v23, v22, v23
	;; [unrolled: 3-line block ×4, first 2 shown]
	ds_store_2addr_b32 v26, v33, v24 offset0:16 offset1:17
	ds_store_2addr_b32 v26, v25, v22 offset0:18 offset1:19
	;; [unrolled: 1-line block ×4, first 2 shown]
	ds_store_b32 v26, v19 offset:96
	s_wait_dscnt 0x0
	s_barrier_signal -1
	s_barrier_wait -1
	ds_load_b32 v51, v27 offset:64
	ds_load_b32 v21, v28 offset:64
	;; [unrolled: 1-line block ×8, first 2 shown]
	v_mov_b64_e32 v[18:19], 0
                                        ; implicit-def: $vgpr20
	s_and_saveexec_b32 s2, vcc_lo
	s_cbranch_execz .LBB2880_97
; %bb.94:
	v_mul_u32_u24_e32 v18, 0x44, v32
	v_dual_mov_b32 v19, 0x1000 :: v_dual_add_nc_u32 v20, 1, v32
	s_mov_b32 s3, exec_lo
	ds_load_b32 v18, v18 offset:64
	v_cmpx_ne_u32_e32 0x100, v20
; %bb.95:
	v_mul_u32_u24_e32 v19, 0x44, v20
	ds_load_b32 v19, v19 offset:64
; %bb.96:
	s_or_b32 exec_lo, exec_lo, s3
	s_wait_dscnt 0x0
	v_dual_mov_b32 v19, 0 :: v_dual_sub_nc_u32 v20, v19, v18
.LBB2880_97:
	s_or_b32 exec_lo, exec_lo, s2
	v_mov_b32_e32 v23, 0
	s_wait_dscnt 0x0
	s_barrier_signal -1
	s_barrier_wait -1
	s_and_saveexec_b32 s1, vcc_lo
	s_cbranch_execz .LBB2880_107
; %bb.98:
	v_lshl_add_u32 v22, s19, 8, v32
	v_dual_mov_b32 v26, 0 :: v_dual_bitop2_b32 v27, 2.0, v20 bitop3:0x54
	s_mov_b32 s2, 0
	s_mov_b32 s3, s19
	s_delay_alu instid0(VALU_DEP_2)
	v_lshl_add_u64 v[24:25], v[22:23], 2, s[20:21]
	global_store_b32 v22, v27, s[20:21] scale_offset scope:SCOPE_DEV
                                        ; implicit-def: $sgpr4
	s_branch .LBB2880_101
.LBB2880_99:                            ;   in Loop: Header=BB2880_101 Depth=1
	s_or_b32 exec_lo, exec_lo, s5
.LBB2880_100:                           ;   in Loop: Header=BB2880_101 Depth=1
	s_delay_alu instid0(SALU_CYCLE_1) | instskip(SKIP_2) | instid1(VALU_DEP_2)
	s_or_b32 exec_lo, exec_lo, s4
	v_and_b32_e32 v22, 0x3fffffff, v27
	v_cmp_gt_i32_e64 s4, -2.0, v27
	v_add_nc_u32_e32 v26, v22, v26
	s_and_b32 s5, exec_lo, s4
	s_delay_alu instid0(SALU_CYCLE_1) | instskip(NEXT) | instid1(SALU_CYCLE_1)
	s_or_b32 s2, s5, s2
	s_and_not1_b32 exec_lo, exec_lo, s2
	s_cbranch_execz .LBB2880_106
.LBB2880_101:                           ; =>This Loop Header: Depth=1
                                        ;     Child Loop BB2880_104 Depth 2
	s_or_b32 s4, s4, exec_lo
	s_cmp_eq_u32 s3, 0
	s_cbranch_scc1 .LBB2880_105
; %bb.102:                              ;   in Loop: Header=BB2880_101 Depth=1
	s_add_co_i32 s3, s3, -1
	s_mov_b32 s4, exec_lo
	s_wait_xcnt 0x0
	v_lshl_or_b32 v22, s3, 8, v32
	global_load_b32 v27, v22, s[20:21] scale_offset scope:SCOPE_DEV
	s_wait_loadcnt 0x0
	v_cmpx_gt_u32_e32 2.0, v27
	s_cbranch_execz .LBB2880_100
; %bb.103:                              ;   in Loop: Header=BB2880_101 Depth=1
	v_lshl_add_u64 v[28:29], v[22:23], 2, s[20:21]
	s_mov_b32 s5, 0
.LBB2880_104:                           ;   Parent Loop BB2880_101 Depth=1
                                        ; =>  This Inner Loop Header: Depth=2
	global_load_b32 v27, v[28:29], off scope:SCOPE_DEV
	s_wait_loadcnt 0x0
	v_cmp_lt_u32_e32 vcc_lo, 0x3fffffff, v27
	s_or_b32 s5, vcc_lo, s5
	s_wait_xcnt 0x0
	s_and_not1_b32 exec_lo, exec_lo, s5
	s_cbranch_execnz .LBB2880_104
	s_branch .LBB2880_99
.LBB2880_105:                           ;   in Loop: Header=BB2880_101 Depth=1
                                        ; implicit-def: $sgpr3
	s_and_b32 s5, exec_lo, s4
	s_delay_alu instid0(SALU_CYCLE_1)
	s_or_b32 s2, s5, s2
	s_wait_xcnt 0x0
	s_and_not1_b32 exec_lo, exec_lo, s2
	s_cbranch_execnz .LBB2880_101
.LBB2880_106:
	s_or_b32 exec_lo, exec_lo, s2
	v_dual_mov_b32 v27, 0 :: v_dual_add_nc_u32 v22, v26, v20
	s_delay_alu instid0(VALU_DEP_1) | instskip(SKIP_4) | instid1(VALU_DEP_1)
	v_or_b32_e32 v22, 0x80000000, v22
	global_store_b32 v[24:25], v22, off scope:SCOPE_DEV
	global_load_b64 v[22:23], v32, s[8:9] scale_offset
	v_sub_nc_u64_e32 v[24:25], v[26:27], v[18:19]
	s_wait_loadcnt 0x0
	v_add_nc_u64_e32 v[22:23], v[24:25], v[22:23]
	ds_store_b64 v2, v[22:23]
.LBB2880_107:
	s_wait_xcnt 0x0
	s_or_b32 exec_lo, exec_lo, s1
	v_dual_mov_b32 v3, 0 :: v_dual_add_nc_u32 v24, v51, v3
	v_add3_u32 v25, v49, v50, v48
	v_add3_u32 v26, v46, v47, v45
	;; [unrolled: 1-line block ×4, first 2 shown]
	v_add_nc_u64_e32 v[22:23], s[14:15], v[2:3]
	v_add3_u32 v29, v37, v38, v36
	v_add3_u32 v3, v35, v33, v34
	;; [unrolled: 1-line block ×3, first 2 shown]
	s_mov_b32 s2, -1
	s_mov_b32 s1, 0
.LBB2880_108:                           ; =>This Inner Loop Header: Depth=1
	s_wait_xcnt 0x3
	v_add_min_u32_e64 v30, v24, s1, 0x800
	v_add_min_u32_e64 v31, v21, s1, 0x800
	;; [unrolled: 1-line block ×5, first 2 shown]
	s_wait_xcnt 0x2
	v_add_min_u32_e64 v36, v27, s1, 0x800
	v_add_min_u32_e64 v37, v26, s1, 0x800
	s_wait_xcnt 0x1
	v_add_min_u32_e64 v38, v25, s1, 0x800
	v_dual_lshlrev_b32 v30, 3, v30 :: v_dual_lshlrev_b32 v31, 3, v31
	v_dual_lshlrev_b32 v33, 3, v33 :: v_dual_lshlrev_b32 v34, 3, v34
	;; [unrolled: 1-line block ×3, first 2 shown]
	s_delay_alu instid0(VALU_DEP_4)
	v_dual_lshlrev_b32 v37, 3, v37 :: v_dual_lshlrev_b32 v38, 3, v38
	ds_store_b64 v30, v[4:5] offset:2048
	ds_store_b64 v31, v[0:1] offset:2048
	;; [unrolled: 1-line block ×8, first 2 shown]
	s_wait_storecnt_dscnt 0x0
	s_barrier_signal -1
	s_barrier_wait -1
	ds_load_2addr_stride64_b64 v[34:37], v2 offset0:4 offset1:12
	s_wait_xcnt 0x0
	ds_load_2addr_stride64_b64 v[38:41], v2 offset0:20 offset1:28
	s_addk_co_i32 s1, 0xf800
	s_and_b32 vcc_lo, exec_lo, s2
	s_mov_b32 s2, 0
	s_wait_dscnt 0x1
	v_lshrrev_b64 v[30:31], s16, v[34:35]
	s_wait_dscnt 0x0
	v_lshrrev_b64 v[44:45], s16, v[38:39]
	v_lshrrev_b64 v[42:43], s16, v[36:37]
	;; [unrolled: 1-line block ×3, first 2 shown]
	v_not_b32_e32 v35, v35
	v_not_b32_e32 v34, v34
	;; [unrolled: 1-line block ×4, first 2 shown]
	v_and_b32_e32 v33, s7, v44
	v_and_b32_e32 v31, s7, v42
	;; [unrolled: 1-line block ×3, first 2 shown]
	v_not_b32_e32 v39, v39
	v_not_b32_e32 v38, v38
	v_dual_lshlrev_b32 v33, 3, v33 :: v_dual_bitop2_b32 v30, s7, v30 bitop3:0x40
	s_delay_alu instid0(VALU_DEP_4) | instskip(SKIP_2) | instid1(VALU_DEP_4)
	v_dual_lshlrev_b32 v43, 3, v31 :: v_dual_lshlrev_b32 v46, 3, v42
	v_not_b32_e32 v41, v41
	v_not_b32_e32 v40, v40
	v_lshlrev_b32_e32 v30, 3, v30
	ds_load_b64 v[30:31], v30
	ds_load_b64 v[42:43], v43
	;; [unrolled: 1-line block ×4, first 2 shown]
	s_wait_dscnt 0x3
	v_lshl_add_u64 v[30:31], v[30:31], 3, v[22:23]
	s_wait_dscnt 0x2
	v_lshl_add_u64 v[42:43], v[42:43], 3, v[22:23]
	;; [unrolled: 2-line block ×4, first 2 shown]
	v_add_nc_u64_e32 v[22:23], 0x4000, v[22:23]
	s_clause 0x3
	global_store_b64 v[30:31], v[34:35], off
	global_store_b64 v[42:43], v[36:37], off offset:4096
	global_store_b64 v[44:45], v[38:39], off offset:8192
	;; [unrolled: 1-line block ×3, first 2 shown]
	s_wait_storecnt 0x0
	s_barrier_signal -1
	s_barrier_wait -1
	s_cbranch_vccnz .LBB2880_108
; %bb.109:
	s_add_co_i32 s12, s12, -1
	s_delay_alu instid0(SALU_CYCLE_1) | instskip(SKIP_2) | instid1(SALU_CYCLE_1)
	s_cmp_eq_u32 s19, s12
	s_cselect_b32 s1, -1, 0
	s_xor_b32 s0, s0, -1
	s_and_b32 s0, s0, s1
	s_wait_xcnt 0x0
	s_and_saveexec_b32 s1, s0
	s_cbranch_execz .LBB2880_111
; %bb.110:
	ds_load_b64 v[0:1], v2
	v_mov_b32_e32 v21, 0
	s_delay_alu instid0(VALU_DEP_1) | instskip(SKIP_1) | instid1(VALU_DEP_1)
	v_add_nc_u64_e32 v[2:3], v[18:19], v[20:21]
	s_wait_dscnt 0x0
	v_add_nc_u64_e32 v[0:1], v[2:3], v[0:1]
	global_store_b64 v32, v[0:1], s[10:11] scale_offset
.LBB2880_111:
	s_endpgm
	.section	.rodata,"a",@progbits
	.p2align	6, 0x0
	.amdhsa_kernel _ZN7rocprim17ROCPRIM_400000_NS6detail17trampoline_kernelINS0_14default_configENS1_35radix_sort_onesweep_config_selectorImNS0_10empty_typeEEEZZNS1_29radix_sort_onesweep_iterationIS3_Lb1EPKmPmPS5_SB_mNS0_19identity_decomposerENS1_16block_id_wrapperIjLb1EEEEE10hipError_tT1_PNSt15iterator_traitsISG_E10value_typeET2_T3_PNSH_ISM_E10value_typeET4_T5_PSR_SS_PNS1_23onesweep_lookback_stateEbbT6_jjT7_P12ihipStream_tbENKUlT_T0_SG_SL_E_clIS9_SA_SB_SB_EEDaSZ_S10_SG_SL_EUlSZ_E_NS1_11comp_targetILNS1_3genE0ELNS1_11target_archE4294967295ELNS1_3gpuE0ELNS1_3repE0EEENS1_47radix_sort_onesweep_sort_config_static_selectorELNS0_4arch9wavefront6targetE0EEEvSG_
		.amdhsa_group_segment_fixed_size 18504
		.amdhsa_private_segment_fixed_size 0
		.amdhsa_kernarg_size 344
		.amdhsa_user_sgpr_count 2
		.amdhsa_user_sgpr_dispatch_ptr 0
		.amdhsa_user_sgpr_queue_ptr 0
		.amdhsa_user_sgpr_kernarg_segment_ptr 1
		.amdhsa_user_sgpr_dispatch_id 0
		.amdhsa_user_sgpr_kernarg_preload_length 0
		.amdhsa_user_sgpr_kernarg_preload_offset 0
		.amdhsa_user_sgpr_private_segment_size 0
		.amdhsa_wavefront_size32 1
		.amdhsa_uses_dynamic_stack 0
		.amdhsa_enable_private_segment 0
		.amdhsa_system_sgpr_workgroup_id_x 1
		.amdhsa_system_sgpr_workgroup_id_y 0
		.amdhsa_system_sgpr_workgroup_id_z 0
		.amdhsa_system_sgpr_workgroup_info 0
		.amdhsa_system_vgpr_workitem_id 2
		.amdhsa_next_free_vgpr 57
		.amdhsa_next_free_sgpr 28
		.amdhsa_named_barrier_count 0
		.amdhsa_reserve_vcc 1
		.amdhsa_float_round_mode_32 0
		.amdhsa_float_round_mode_16_64 0
		.amdhsa_float_denorm_mode_32 3
		.amdhsa_float_denorm_mode_16_64 3
		.amdhsa_fp16_overflow 0
		.amdhsa_memory_ordered 1
		.amdhsa_forward_progress 1
		.amdhsa_inst_pref_size 89
		.amdhsa_round_robin_scheduling 0
		.amdhsa_exception_fp_ieee_invalid_op 0
		.amdhsa_exception_fp_denorm_src 0
		.amdhsa_exception_fp_ieee_div_zero 0
		.amdhsa_exception_fp_ieee_overflow 0
		.amdhsa_exception_fp_ieee_underflow 0
		.amdhsa_exception_fp_ieee_inexact 0
		.amdhsa_exception_int_div_zero 0
	.end_amdhsa_kernel
	.section	.text._ZN7rocprim17ROCPRIM_400000_NS6detail17trampoline_kernelINS0_14default_configENS1_35radix_sort_onesweep_config_selectorImNS0_10empty_typeEEEZZNS1_29radix_sort_onesweep_iterationIS3_Lb1EPKmPmPS5_SB_mNS0_19identity_decomposerENS1_16block_id_wrapperIjLb1EEEEE10hipError_tT1_PNSt15iterator_traitsISG_E10value_typeET2_T3_PNSH_ISM_E10value_typeET4_T5_PSR_SS_PNS1_23onesweep_lookback_stateEbbT6_jjT7_P12ihipStream_tbENKUlT_T0_SG_SL_E_clIS9_SA_SB_SB_EEDaSZ_S10_SG_SL_EUlSZ_E_NS1_11comp_targetILNS1_3genE0ELNS1_11target_archE4294967295ELNS1_3gpuE0ELNS1_3repE0EEENS1_47radix_sort_onesweep_sort_config_static_selectorELNS0_4arch9wavefront6targetE0EEEvSG_,"axG",@progbits,_ZN7rocprim17ROCPRIM_400000_NS6detail17trampoline_kernelINS0_14default_configENS1_35radix_sort_onesweep_config_selectorImNS0_10empty_typeEEEZZNS1_29radix_sort_onesweep_iterationIS3_Lb1EPKmPmPS5_SB_mNS0_19identity_decomposerENS1_16block_id_wrapperIjLb1EEEEE10hipError_tT1_PNSt15iterator_traitsISG_E10value_typeET2_T3_PNSH_ISM_E10value_typeET4_T5_PSR_SS_PNS1_23onesweep_lookback_stateEbbT6_jjT7_P12ihipStream_tbENKUlT_T0_SG_SL_E_clIS9_SA_SB_SB_EEDaSZ_S10_SG_SL_EUlSZ_E_NS1_11comp_targetILNS1_3genE0ELNS1_11target_archE4294967295ELNS1_3gpuE0ELNS1_3repE0EEENS1_47radix_sort_onesweep_sort_config_static_selectorELNS0_4arch9wavefront6targetE0EEEvSG_,comdat
.Lfunc_end2880:
	.size	_ZN7rocprim17ROCPRIM_400000_NS6detail17trampoline_kernelINS0_14default_configENS1_35radix_sort_onesweep_config_selectorImNS0_10empty_typeEEEZZNS1_29radix_sort_onesweep_iterationIS3_Lb1EPKmPmPS5_SB_mNS0_19identity_decomposerENS1_16block_id_wrapperIjLb1EEEEE10hipError_tT1_PNSt15iterator_traitsISG_E10value_typeET2_T3_PNSH_ISM_E10value_typeET4_T5_PSR_SS_PNS1_23onesweep_lookback_stateEbbT6_jjT7_P12ihipStream_tbENKUlT_T0_SG_SL_E_clIS9_SA_SB_SB_EEDaSZ_S10_SG_SL_EUlSZ_E_NS1_11comp_targetILNS1_3genE0ELNS1_11target_archE4294967295ELNS1_3gpuE0ELNS1_3repE0EEENS1_47radix_sort_onesweep_sort_config_static_selectorELNS0_4arch9wavefront6targetE0EEEvSG_, .Lfunc_end2880-_ZN7rocprim17ROCPRIM_400000_NS6detail17trampoline_kernelINS0_14default_configENS1_35radix_sort_onesweep_config_selectorImNS0_10empty_typeEEEZZNS1_29radix_sort_onesweep_iterationIS3_Lb1EPKmPmPS5_SB_mNS0_19identity_decomposerENS1_16block_id_wrapperIjLb1EEEEE10hipError_tT1_PNSt15iterator_traitsISG_E10value_typeET2_T3_PNSH_ISM_E10value_typeET4_T5_PSR_SS_PNS1_23onesweep_lookback_stateEbbT6_jjT7_P12ihipStream_tbENKUlT_T0_SG_SL_E_clIS9_SA_SB_SB_EEDaSZ_S10_SG_SL_EUlSZ_E_NS1_11comp_targetILNS1_3genE0ELNS1_11target_archE4294967295ELNS1_3gpuE0ELNS1_3repE0EEENS1_47radix_sort_onesweep_sort_config_static_selectorELNS0_4arch9wavefront6targetE0EEEvSG_
                                        ; -- End function
	.set _ZN7rocprim17ROCPRIM_400000_NS6detail17trampoline_kernelINS0_14default_configENS1_35radix_sort_onesweep_config_selectorImNS0_10empty_typeEEEZZNS1_29radix_sort_onesweep_iterationIS3_Lb1EPKmPmPS5_SB_mNS0_19identity_decomposerENS1_16block_id_wrapperIjLb1EEEEE10hipError_tT1_PNSt15iterator_traitsISG_E10value_typeET2_T3_PNSH_ISM_E10value_typeET4_T5_PSR_SS_PNS1_23onesweep_lookback_stateEbbT6_jjT7_P12ihipStream_tbENKUlT_T0_SG_SL_E_clIS9_SA_SB_SB_EEDaSZ_S10_SG_SL_EUlSZ_E_NS1_11comp_targetILNS1_3genE0ELNS1_11target_archE4294967295ELNS1_3gpuE0ELNS1_3repE0EEENS1_47radix_sort_onesweep_sort_config_static_selectorELNS0_4arch9wavefront6targetE0EEEvSG_.num_vgpr, 57
	.set _ZN7rocprim17ROCPRIM_400000_NS6detail17trampoline_kernelINS0_14default_configENS1_35radix_sort_onesweep_config_selectorImNS0_10empty_typeEEEZZNS1_29radix_sort_onesweep_iterationIS3_Lb1EPKmPmPS5_SB_mNS0_19identity_decomposerENS1_16block_id_wrapperIjLb1EEEEE10hipError_tT1_PNSt15iterator_traitsISG_E10value_typeET2_T3_PNSH_ISM_E10value_typeET4_T5_PSR_SS_PNS1_23onesweep_lookback_stateEbbT6_jjT7_P12ihipStream_tbENKUlT_T0_SG_SL_E_clIS9_SA_SB_SB_EEDaSZ_S10_SG_SL_EUlSZ_E_NS1_11comp_targetILNS1_3genE0ELNS1_11target_archE4294967295ELNS1_3gpuE0ELNS1_3repE0EEENS1_47radix_sort_onesweep_sort_config_static_selectorELNS0_4arch9wavefront6targetE0EEEvSG_.num_agpr, 0
	.set _ZN7rocprim17ROCPRIM_400000_NS6detail17trampoline_kernelINS0_14default_configENS1_35radix_sort_onesweep_config_selectorImNS0_10empty_typeEEEZZNS1_29radix_sort_onesweep_iterationIS3_Lb1EPKmPmPS5_SB_mNS0_19identity_decomposerENS1_16block_id_wrapperIjLb1EEEEE10hipError_tT1_PNSt15iterator_traitsISG_E10value_typeET2_T3_PNSH_ISM_E10value_typeET4_T5_PSR_SS_PNS1_23onesweep_lookback_stateEbbT6_jjT7_P12ihipStream_tbENKUlT_T0_SG_SL_E_clIS9_SA_SB_SB_EEDaSZ_S10_SG_SL_EUlSZ_E_NS1_11comp_targetILNS1_3genE0ELNS1_11target_archE4294967295ELNS1_3gpuE0ELNS1_3repE0EEENS1_47radix_sort_onesweep_sort_config_static_selectorELNS0_4arch9wavefront6targetE0EEEvSG_.numbered_sgpr, 28
	.set _ZN7rocprim17ROCPRIM_400000_NS6detail17trampoline_kernelINS0_14default_configENS1_35radix_sort_onesweep_config_selectorImNS0_10empty_typeEEEZZNS1_29radix_sort_onesweep_iterationIS3_Lb1EPKmPmPS5_SB_mNS0_19identity_decomposerENS1_16block_id_wrapperIjLb1EEEEE10hipError_tT1_PNSt15iterator_traitsISG_E10value_typeET2_T3_PNSH_ISM_E10value_typeET4_T5_PSR_SS_PNS1_23onesweep_lookback_stateEbbT6_jjT7_P12ihipStream_tbENKUlT_T0_SG_SL_E_clIS9_SA_SB_SB_EEDaSZ_S10_SG_SL_EUlSZ_E_NS1_11comp_targetILNS1_3genE0ELNS1_11target_archE4294967295ELNS1_3gpuE0ELNS1_3repE0EEENS1_47radix_sort_onesweep_sort_config_static_selectorELNS0_4arch9wavefront6targetE0EEEvSG_.num_named_barrier, 0
	.set _ZN7rocprim17ROCPRIM_400000_NS6detail17trampoline_kernelINS0_14default_configENS1_35radix_sort_onesweep_config_selectorImNS0_10empty_typeEEEZZNS1_29radix_sort_onesweep_iterationIS3_Lb1EPKmPmPS5_SB_mNS0_19identity_decomposerENS1_16block_id_wrapperIjLb1EEEEE10hipError_tT1_PNSt15iterator_traitsISG_E10value_typeET2_T3_PNSH_ISM_E10value_typeET4_T5_PSR_SS_PNS1_23onesweep_lookback_stateEbbT6_jjT7_P12ihipStream_tbENKUlT_T0_SG_SL_E_clIS9_SA_SB_SB_EEDaSZ_S10_SG_SL_EUlSZ_E_NS1_11comp_targetILNS1_3genE0ELNS1_11target_archE4294967295ELNS1_3gpuE0ELNS1_3repE0EEENS1_47radix_sort_onesweep_sort_config_static_selectorELNS0_4arch9wavefront6targetE0EEEvSG_.private_seg_size, 0
	.set _ZN7rocprim17ROCPRIM_400000_NS6detail17trampoline_kernelINS0_14default_configENS1_35radix_sort_onesweep_config_selectorImNS0_10empty_typeEEEZZNS1_29radix_sort_onesweep_iterationIS3_Lb1EPKmPmPS5_SB_mNS0_19identity_decomposerENS1_16block_id_wrapperIjLb1EEEEE10hipError_tT1_PNSt15iterator_traitsISG_E10value_typeET2_T3_PNSH_ISM_E10value_typeET4_T5_PSR_SS_PNS1_23onesweep_lookback_stateEbbT6_jjT7_P12ihipStream_tbENKUlT_T0_SG_SL_E_clIS9_SA_SB_SB_EEDaSZ_S10_SG_SL_EUlSZ_E_NS1_11comp_targetILNS1_3genE0ELNS1_11target_archE4294967295ELNS1_3gpuE0ELNS1_3repE0EEENS1_47radix_sort_onesweep_sort_config_static_selectorELNS0_4arch9wavefront6targetE0EEEvSG_.uses_vcc, 1
	.set _ZN7rocprim17ROCPRIM_400000_NS6detail17trampoline_kernelINS0_14default_configENS1_35radix_sort_onesweep_config_selectorImNS0_10empty_typeEEEZZNS1_29radix_sort_onesweep_iterationIS3_Lb1EPKmPmPS5_SB_mNS0_19identity_decomposerENS1_16block_id_wrapperIjLb1EEEEE10hipError_tT1_PNSt15iterator_traitsISG_E10value_typeET2_T3_PNSH_ISM_E10value_typeET4_T5_PSR_SS_PNS1_23onesweep_lookback_stateEbbT6_jjT7_P12ihipStream_tbENKUlT_T0_SG_SL_E_clIS9_SA_SB_SB_EEDaSZ_S10_SG_SL_EUlSZ_E_NS1_11comp_targetILNS1_3genE0ELNS1_11target_archE4294967295ELNS1_3gpuE0ELNS1_3repE0EEENS1_47radix_sort_onesweep_sort_config_static_selectorELNS0_4arch9wavefront6targetE0EEEvSG_.uses_flat_scratch, 0
	.set _ZN7rocprim17ROCPRIM_400000_NS6detail17trampoline_kernelINS0_14default_configENS1_35radix_sort_onesweep_config_selectorImNS0_10empty_typeEEEZZNS1_29radix_sort_onesweep_iterationIS3_Lb1EPKmPmPS5_SB_mNS0_19identity_decomposerENS1_16block_id_wrapperIjLb1EEEEE10hipError_tT1_PNSt15iterator_traitsISG_E10value_typeET2_T3_PNSH_ISM_E10value_typeET4_T5_PSR_SS_PNS1_23onesweep_lookback_stateEbbT6_jjT7_P12ihipStream_tbENKUlT_T0_SG_SL_E_clIS9_SA_SB_SB_EEDaSZ_S10_SG_SL_EUlSZ_E_NS1_11comp_targetILNS1_3genE0ELNS1_11target_archE4294967295ELNS1_3gpuE0ELNS1_3repE0EEENS1_47radix_sort_onesweep_sort_config_static_selectorELNS0_4arch9wavefront6targetE0EEEvSG_.has_dyn_sized_stack, 0
	.set _ZN7rocprim17ROCPRIM_400000_NS6detail17trampoline_kernelINS0_14default_configENS1_35radix_sort_onesweep_config_selectorImNS0_10empty_typeEEEZZNS1_29radix_sort_onesweep_iterationIS3_Lb1EPKmPmPS5_SB_mNS0_19identity_decomposerENS1_16block_id_wrapperIjLb1EEEEE10hipError_tT1_PNSt15iterator_traitsISG_E10value_typeET2_T3_PNSH_ISM_E10value_typeET4_T5_PSR_SS_PNS1_23onesweep_lookback_stateEbbT6_jjT7_P12ihipStream_tbENKUlT_T0_SG_SL_E_clIS9_SA_SB_SB_EEDaSZ_S10_SG_SL_EUlSZ_E_NS1_11comp_targetILNS1_3genE0ELNS1_11target_archE4294967295ELNS1_3gpuE0ELNS1_3repE0EEENS1_47radix_sort_onesweep_sort_config_static_selectorELNS0_4arch9wavefront6targetE0EEEvSG_.has_recursion, 0
	.set _ZN7rocprim17ROCPRIM_400000_NS6detail17trampoline_kernelINS0_14default_configENS1_35radix_sort_onesweep_config_selectorImNS0_10empty_typeEEEZZNS1_29radix_sort_onesweep_iterationIS3_Lb1EPKmPmPS5_SB_mNS0_19identity_decomposerENS1_16block_id_wrapperIjLb1EEEEE10hipError_tT1_PNSt15iterator_traitsISG_E10value_typeET2_T3_PNSH_ISM_E10value_typeET4_T5_PSR_SS_PNS1_23onesweep_lookback_stateEbbT6_jjT7_P12ihipStream_tbENKUlT_T0_SG_SL_E_clIS9_SA_SB_SB_EEDaSZ_S10_SG_SL_EUlSZ_E_NS1_11comp_targetILNS1_3genE0ELNS1_11target_archE4294967295ELNS1_3gpuE0ELNS1_3repE0EEENS1_47radix_sort_onesweep_sort_config_static_selectorELNS0_4arch9wavefront6targetE0EEEvSG_.has_indirect_call, 0
	.section	.AMDGPU.csdata,"",@progbits
; Kernel info:
; codeLenInByte = 11328
; TotalNumSgprs: 30
; NumVgprs: 57
; ScratchSize: 0
; MemoryBound: 1
; FloatMode: 240
; IeeeMode: 1
; LDSByteSize: 18504 bytes/workgroup (compile time only)
; SGPRBlocks: 0
; VGPRBlocks: 3
; NumSGPRsForWavesPerEU: 30
; NumVGPRsForWavesPerEU: 57
; NamedBarCnt: 0
; Occupancy: 16
; WaveLimiterHint : 1
; COMPUTE_PGM_RSRC2:SCRATCH_EN: 0
; COMPUTE_PGM_RSRC2:USER_SGPR: 2
; COMPUTE_PGM_RSRC2:TRAP_HANDLER: 0
; COMPUTE_PGM_RSRC2:TGID_X_EN: 1
; COMPUTE_PGM_RSRC2:TGID_Y_EN: 0
; COMPUTE_PGM_RSRC2:TGID_Z_EN: 0
; COMPUTE_PGM_RSRC2:TIDIG_COMP_CNT: 2
	.section	.text._ZN7rocprim17ROCPRIM_400000_NS6detail17trampoline_kernelINS0_14default_configENS1_35radix_sort_onesweep_config_selectorImNS0_10empty_typeEEEZZNS1_29radix_sort_onesweep_iterationIS3_Lb1EPKmPmPS5_SB_mNS0_19identity_decomposerENS1_16block_id_wrapperIjLb1EEEEE10hipError_tT1_PNSt15iterator_traitsISG_E10value_typeET2_T3_PNSH_ISM_E10value_typeET4_T5_PSR_SS_PNS1_23onesweep_lookback_stateEbbT6_jjT7_P12ihipStream_tbENKUlT_T0_SG_SL_E_clIS9_SA_SB_SB_EEDaSZ_S10_SG_SL_EUlSZ_E_NS1_11comp_targetILNS1_3genE6ELNS1_11target_archE950ELNS1_3gpuE13ELNS1_3repE0EEENS1_47radix_sort_onesweep_sort_config_static_selectorELNS0_4arch9wavefront6targetE0EEEvSG_,"axG",@progbits,_ZN7rocprim17ROCPRIM_400000_NS6detail17trampoline_kernelINS0_14default_configENS1_35radix_sort_onesweep_config_selectorImNS0_10empty_typeEEEZZNS1_29radix_sort_onesweep_iterationIS3_Lb1EPKmPmPS5_SB_mNS0_19identity_decomposerENS1_16block_id_wrapperIjLb1EEEEE10hipError_tT1_PNSt15iterator_traitsISG_E10value_typeET2_T3_PNSH_ISM_E10value_typeET4_T5_PSR_SS_PNS1_23onesweep_lookback_stateEbbT6_jjT7_P12ihipStream_tbENKUlT_T0_SG_SL_E_clIS9_SA_SB_SB_EEDaSZ_S10_SG_SL_EUlSZ_E_NS1_11comp_targetILNS1_3genE6ELNS1_11target_archE950ELNS1_3gpuE13ELNS1_3repE0EEENS1_47radix_sort_onesweep_sort_config_static_selectorELNS0_4arch9wavefront6targetE0EEEvSG_,comdat
	.protected	_ZN7rocprim17ROCPRIM_400000_NS6detail17trampoline_kernelINS0_14default_configENS1_35radix_sort_onesweep_config_selectorImNS0_10empty_typeEEEZZNS1_29radix_sort_onesweep_iterationIS3_Lb1EPKmPmPS5_SB_mNS0_19identity_decomposerENS1_16block_id_wrapperIjLb1EEEEE10hipError_tT1_PNSt15iterator_traitsISG_E10value_typeET2_T3_PNSH_ISM_E10value_typeET4_T5_PSR_SS_PNS1_23onesweep_lookback_stateEbbT6_jjT7_P12ihipStream_tbENKUlT_T0_SG_SL_E_clIS9_SA_SB_SB_EEDaSZ_S10_SG_SL_EUlSZ_E_NS1_11comp_targetILNS1_3genE6ELNS1_11target_archE950ELNS1_3gpuE13ELNS1_3repE0EEENS1_47radix_sort_onesweep_sort_config_static_selectorELNS0_4arch9wavefront6targetE0EEEvSG_ ; -- Begin function _ZN7rocprim17ROCPRIM_400000_NS6detail17trampoline_kernelINS0_14default_configENS1_35radix_sort_onesweep_config_selectorImNS0_10empty_typeEEEZZNS1_29radix_sort_onesweep_iterationIS3_Lb1EPKmPmPS5_SB_mNS0_19identity_decomposerENS1_16block_id_wrapperIjLb1EEEEE10hipError_tT1_PNSt15iterator_traitsISG_E10value_typeET2_T3_PNSH_ISM_E10value_typeET4_T5_PSR_SS_PNS1_23onesweep_lookback_stateEbbT6_jjT7_P12ihipStream_tbENKUlT_T0_SG_SL_E_clIS9_SA_SB_SB_EEDaSZ_S10_SG_SL_EUlSZ_E_NS1_11comp_targetILNS1_3genE6ELNS1_11target_archE950ELNS1_3gpuE13ELNS1_3repE0EEENS1_47radix_sort_onesweep_sort_config_static_selectorELNS0_4arch9wavefront6targetE0EEEvSG_
	.globl	_ZN7rocprim17ROCPRIM_400000_NS6detail17trampoline_kernelINS0_14default_configENS1_35radix_sort_onesweep_config_selectorImNS0_10empty_typeEEEZZNS1_29radix_sort_onesweep_iterationIS3_Lb1EPKmPmPS5_SB_mNS0_19identity_decomposerENS1_16block_id_wrapperIjLb1EEEEE10hipError_tT1_PNSt15iterator_traitsISG_E10value_typeET2_T3_PNSH_ISM_E10value_typeET4_T5_PSR_SS_PNS1_23onesweep_lookback_stateEbbT6_jjT7_P12ihipStream_tbENKUlT_T0_SG_SL_E_clIS9_SA_SB_SB_EEDaSZ_S10_SG_SL_EUlSZ_E_NS1_11comp_targetILNS1_3genE6ELNS1_11target_archE950ELNS1_3gpuE13ELNS1_3repE0EEENS1_47radix_sort_onesweep_sort_config_static_selectorELNS0_4arch9wavefront6targetE0EEEvSG_
	.p2align	8
	.type	_ZN7rocprim17ROCPRIM_400000_NS6detail17trampoline_kernelINS0_14default_configENS1_35radix_sort_onesweep_config_selectorImNS0_10empty_typeEEEZZNS1_29radix_sort_onesweep_iterationIS3_Lb1EPKmPmPS5_SB_mNS0_19identity_decomposerENS1_16block_id_wrapperIjLb1EEEEE10hipError_tT1_PNSt15iterator_traitsISG_E10value_typeET2_T3_PNSH_ISM_E10value_typeET4_T5_PSR_SS_PNS1_23onesweep_lookback_stateEbbT6_jjT7_P12ihipStream_tbENKUlT_T0_SG_SL_E_clIS9_SA_SB_SB_EEDaSZ_S10_SG_SL_EUlSZ_E_NS1_11comp_targetILNS1_3genE6ELNS1_11target_archE950ELNS1_3gpuE13ELNS1_3repE0EEENS1_47radix_sort_onesweep_sort_config_static_selectorELNS0_4arch9wavefront6targetE0EEEvSG_,@function
_ZN7rocprim17ROCPRIM_400000_NS6detail17trampoline_kernelINS0_14default_configENS1_35radix_sort_onesweep_config_selectorImNS0_10empty_typeEEEZZNS1_29radix_sort_onesweep_iterationIS3_Lb1EPKmPmPS5_SB_mNS0_19identity_decomposerENS1_16block_id_wrapperIjLb1EEEEE10hipError_tT1_PNSt15iterator_traitsISG_E10value_typeET2_T3_PNSH_ISM_E10value_typeET4_T5_PSR_SS_PNS1_23onesweep_lookback_stateEbbT6_jjT7_P12ihipStream_tbENKUlT_T0_SG_SL_E_clIS9_SA_SB_SB_EEDaSZ_S10_SG_SL_EUlSZ_E_NS1_11comp_targetILNS1_3genE6ELNS1_11target_archE950ELNS1_3gpuE13ELNS1_3repE0EEENS1_47radix_sort_onesweep_sort_config_static_selectorELNS0_4arch9wavefront6targetE0EEEvSG_: ; @_ZN7rocprim17ROCPRIM_400000_NS6detail17trampoline_kernelINS0_14default_configENS1_35radix_sort_onesweep_config_selectorImNS0_10empty_typeEEEZZNS1_29radix_sort_onesweep_iterationIS3_Lb1EPKmPmPS5_SB_mNS0_19identity_decomposerENS1_16block_id_wrapperIjLb1EEEEE10hipError_tT1_PNSt15iterator_traitsISG_E10value_typeET2_T3_PNSH_ISM_E10value_typeET4_T5_PSR_SS_PNS1_23onesweep_lookback_stateEbbT6_jjT7_P12ihipStream_tbENKUlT_T0_SG_SL_E_clIS9_SA_SB_SB_EEDaSZ_S10_SG_SL_EUlSZ_E_NS1_11comp_targetILNS1_3genE6ELNS1_11target_archE950ELNS1_3gpuE13ELNS1_3repE0EEENS1_47radix_sort_onesweep_sort_config_static_selectorELNS0_4arch9wavefront6targetE0EEEvSG_
; %bb.0:
	.section	.rodata,"a",@progbits
	.p2align	6, 0x0
	.amdhsa_kernel _ZN7rocprim17ROCPRIM_400000_NS6detail17trampoline_kernelINS0_14default_configENS1_35radix_sort_onesweep_config_selectorImNS0_10empty_typeEEEZZNS1_29radix_sort_onesweep_iterationIS3_Lb1EPKmPmPS5_SB_mNS0_19identity_decomposerENS1_16block_id_wrapperIjLb1EEEEE10hipError_tT1_PNSt15iterator_traitsISG_E10value_typeET2_T3_PNSH_ISM_E10value_typeET4_T5_PSR_SS_PNS1_23onesweep_lookback_stateEbbT6_jjT7_P12ihipStream_tbENKUlT_T0_SG_SL_E_clIS9_SA_SB_SB_EEDaSZ_S10_SG_SL_EUlSZ_E_NS1_11comp_targetILNS1_3genE6ELNS1_11target_archE950ELNS1_3gpuE13ELNS1_3repE0EEENS1_47radix_sort_onesweep_sort_config_static_selectorELNS0_4arch9wavefront6targetE0EEEvSG_
		.amdhsa_group_segment_fixed_size 0
		.amdhsa_private_segment_fixed_size 0
		.amdhsa_kernarg_size 88
		.amdhsa_user_sgpr_count 2
		.amdhsa_user_sgpr_dispatch_ptr 0
		.amdhsa_user_sgpr_queue_ptr 0
		.amdhsa_user_sgpr_kernarg_segment_ptr 1
		.amdhsa_user_sgpr_dispatch_id 0
		.amdhsa_user_sgpr_kernarg_preload_length 0
		.amdhsa_user_sgpr_kernarg_preload_offset 0
		.amdhsa_user_sgpr_private_segment_size 0
		.amdhsa_wavefront_size32 1
		.amdhsa_uses_dynamic_stack 0
		.amdhsa_enable_private_segment 0
		.amdhsa_system_sgpr_workgroup_id_x 1
		.amdhsa_system_sgpr_workgroup_id_y 0
		.amdhsa_system_sgpr_workgroup_id_z 0
		.amdhsa_system_sgpr_workgroup_info 0
		.amdhsa_system_vgpr_workitem_id 0
		.amdhsa_next_free_vgpr 1
		.amdhsa_next_free_sgpr 1
		.amdhsa_named_barrier_count 0
		.amdhsa_reserve_vcc 0
		.amdhsa_float_round_mode_32 0
		.amdhsa_float_round_mode_16_64 0
		.amdhsa_float_denorm_mode_32 3
		.amdhsa_float_denorm_mode_16_64 3
		.amdhsa_fp16_overflow 0
		.amdhsa_memory_ordered 1
		.amdhsa_forward_progress 1
		.amdhsa_inst_pref_size 0
		.amdhsa_round_robin_scheduling 0
		.amdhsa_exception_fp_ieee_invalid_op 0
		.amdhsa_exception_fp_denorm_src 0
		.amdhsa_exception_fp_ieee_div_zero 0
		.amdhsa_exception_fp_ieee_overflow 0
		.amdhsa_exception_fp_ieee_underflow 0
		.amdhsa_exception_fp_ieee_inexact 0
		.amdhsa_exception_int_div_zero 0
	.end_amdhsa_kernel
	.section	.text._ZN7rocprim17ROCPRIM_400000_NS6detail17trampoline_kernelINS0_14default_configENS1_35radix_sort_onesweep_config_selectorImNS0_10empty_typeEEEZZNS1_29radix_sort_onesweep_iterationIS3_Lb1EPKmPmPS5_SB_mNS0_19identity_decomposerENS1_16block_id_wrapperIjLb1EEEEE10hipError_tT1_PNSt15iterator_traitsISG_E10value_typeET2_T3_PNSH_ISM_E10value_typeET4_T5_PSR_SS_PNS1_23onesweep_lookback_stateEbbT6_jjT7_P12ihipStream_tbENKUlT_T0_SG_SL_E_clIS9_SA_SB_SB_EEDaSZ_S10_SG_SL_EUlSZ_E_NS1_11comp_targetILNS1_3genE6ELNS1_11target_archE950ELNS1_3gpuE13ELNS1_3repE0EEENS1_47radix_sort_onesweep_sort_config_static_selectorELNS0_4arch9wavefront6targetE0EEEvSG_,"axG",@progbits,_ZN7rocprim17ROCPRIM_400000_NS6detail17trampoline_kernelINS0_14default_configENS1_35radix_sort_onesweep_config_selectorImNS0_10empty_typeEEEZZNS1_29radix_sort_onesweep_iterationIS3_Lb1EPKmPmPS5_SB_mNS0_19identity_decomposerENS1_16block_id_wrapperIjLb1EEEEE10hipError_tT1_PNSt15iterator_traitsISG_E10value_typeET2_T3_PNSH_ISM_E10value_typeET4_T5_PSR_SS_PNS1_23onesweep_lookback_stateEbbT6_jjT7_P12ihipStream_tbENKUlT_T0_SG_SL_E_clIS9_SA_SB_SB_EEDaSZ_S10_SG_SL_EUlSZ_E_NS1_11comp_targetILNS1_3genE6ELNS1_11target_archE950ELNS1_3gpuE13ELNS1_3repE0EEENS1_47radix_sort_onesweep_sort_config_static_selectorELNS0_4arch9wavefront6targetE0EEEvSG_,comdat
.Lfunc_end2881:
	.size	_ZN7rocprim17ROCPRIM_400000_NS6detail17trampoline_kernelINS0_14default_configENS1_35radix_sort_onesweep_config_selectorImNS0_10empty_typeEEEZZNS1_29radix_sort_onesweep_iterationIS3_Lb1EPKmPmPS5_SB_mNS0_19identity_decomposerENS1_16block_id_wrapperIjLb1EEEEE10hipError_tT1_PNSt15iterator_traitsISG_E10value_typeET2_T3_PNSH_ISM_E10value_typeET4_T5_PSR_SS_PNS1_23onesweep_lookback_stateEbbT6_jjT7_P12ihipStream_tbENKUlT_T0_SG_SL_E_clIS9_SA_SB_SB_EEDaSZ_S10_SG_SL_EUlSZ_E_NS1_11comp_targetILNS1_3genE6ELNS1_11target_archE950ELNS1_3gpuE13ELNS1_3repE0EEENS1_47radix_sort_onesweep_sort_config_static_selectorELNS0_4arch9wavefront6targetE0EEEvSG_, .Lfunc_end2881-_ZN7rocprim17ROCPRIM_400000_NS6detail17trampoline_kernelINS0_14default_configENS1_35radix_sort_onesweep_config_selectorImNS0_10empty_typeEEEZZNS1_29radix_sort_onesweep_iterationIS3_Lb1EPKmPmPS5_SB_mNS0_19identity_decomposerENS1_16block_id_wrapperIjLb1EEEEE10hipError_tT1_PNSt15iterator_traitsISG_E10value_typeET2_T3_PNSH_ISM_E10value_typeET4_T5_PSR_SS_PNS1_23onesweep_lookback_stateEbbT6_jjT7_P12ihipStream_tbENKUlT_T0_SG_SL_E_clIS9_SA_SB_SB_EEDaSZ_S10_SG_SL_EUlSZ_E_NS1_11comp_targetILNS1_3genE6ELNS1_11target_archE950ELNS1_3gpuE13ELNS1_3repE0EEENS1_47radix_sort_onesweep_sort_config_static_selectorELNS0_4arch9wavefront6targetE0EEEvSG_
                                        ; -- End function
	.set _ZN7rocprim17ROCPRIM_400000_NS6detail17trampoline_kernelINS0_14default_configENS1_35radix_sort_onesweep_config_selectorImNS0_10empty_typeEEEZZNS1_29radix_sort_onesweep_iterationIS3_Lb1EPKmPmPS5_SB_mNS0_19identity_decomposerENS1_16block_id_wrapperIjLb1EEEEE10hipError_tT1_PNSt15iterator_traitsISG_E10value_typeET2_T3_PNSH_ISM_E10value_typeET4_T5_PSR_SS_PNS1_23onesweep_lookback_stateEbbT6_jjT7_P12ihipStream_tbENKUlT_T0_SG_SL_E_clIS9_SA_SB_SB_EEDaSZ_S10_SG_SL_EUlSZ_E_NS1_11comp_targetILNS1_3genE6ELNS1_11target_archE950ELNS1_3gpuE13ELNS1_3repE0EEENS1_47radix_sort_onesweep_sort_config_static_selectorELNS0_4arch9wavefront6targetE0EEEvSG_.num_vgpr, 0
	.set _ZN7rocprim17ROCPRIM_400000_NS6detail17trampoline_kernelINS0_14default_configENS1_35radix_sort_onesweep_config_selectorImNS0_10empty_typeEEEZZNS1_29radix_sort_onesweep_iterationIS3_Lb1EPKmPmPS5_SB_mNS0_19identity_decomposerENS1_16block_id_wrapperIjLb1EEEEE10hipError_tT1_PNSt15iterator_traitsISG_E10value_typeET2_T3_PNSH_ISM_E10value_typeET4_T5_PSR_SS_PNS1_23onesweep_lookback_stateEbbT6_jjT7_P12ihipStream_tbENKUlT_T0_SG_SL_E_clIS9_SA_SB_SB_EEDaSZ_S10_SG_SL_EUlSZ_E_NS1_11comp_targetILNS1_3genE6ELNS1_11target_archE950ELNS1_3gpuE13ELNS1_3repE0EEENS1_47radix_sort_onesweep_sort_config_static_selectorELNS0_4arch9wavefront6targetE0EEEvSG_.num_agpr, 0
	.set _ZN7rocprim17ROCPRIM_400000_NS6detail17trampoline_kernelINS0_14default_configENS1_35radix_sort_onesweep_config_selectorImNS0_10empty_typeEEEZZNS1_29radix_sort_onesweep_iterationIS3_Lb1EPKmPmPS5_SB_mNS0_19identity_decomposerENS1_16block_id_wrapperIjLb1EEEEE10hipError_tT1_PNSt15iterator_traitsISG_E10value_typeET2_T3_PNSH_ISM_E10value_typeET4_T5_PSR_SS_PNS1_23onesweep_lookback_stateEbbT6_jjT7_P12ihipStream_tbENKUlT_T0_SG_SL_E_clIS9_SA_SB_SB_EEDaSZ_S10_SG_SL_EUlSZ_E_NS1_11comp_targetILNS1_3genE6ELNS1_11target_archE950ELNS1_3gpuE13ELNS1_3repE0EEENS1_47radix_sort_onesweep_sort_config_static_selectorELNS0_4arch9wavefront6targetE0EEEvSG_.numbered_sgpr, 0
	.set _ZN7rocprim17ROCPRIM_400000_NS6detail17trampoline_kernelINS0_14default_configENS1_35radix_sort_onesweep_config_selectorImNS0_10empty_typeEEEZZNS1_29radix_sort_onesweep_iterationIS3_Lb1EPKmPmPS5_SB_mNS0_19identity_decomposerENS1_16block_id_wrapperIjLb1EEEEE10hipError_tT1_PNSt15iterator_traitsISG_E10value_typeET2_T3_PNSH_ISM_E10value_typeET4_T5_PSR_SS_PNS1_23onesweep_lookback_stateEbbT6_jjT7_P12ihipStream_tbENKUlT_T0_SG_SL_E_clIS9_SA_SB_SB_EEDaSZ_S10_SG_SL_EUlSZ_E_NS1_11comp_targetILNS1_3genE6ELNS1_11target_archE950ELNS1_3gpuE13ELNS1_3repE0EEENS1_47radix_sort_onesweep_sort_config_static_selectorELNS0_4arch9wavefront6targetE0EEEvSG_.num_named_barrier, 0
	.set _ZN7rocprim17ROCPRIM_400000_NS6detail17trampoline_kernelINS0_14default_configENS1_35radix_sort_onesweep_config_selectorImNS0_10empty_typeEEEZZNS1_29radix_sort_onesweep_iterationIS3_Lb1EPKmPmPS5_SB_mNS0_19identity_decomposerENS1_16block_id_wrapperIjLb1EEEEE10hipError_tT1_PNSt15iterator_traitsISG_E10value_typeET2_T3_PNSH_ISM_E10value_typeET4_T5_PSR_SS_PNS1_23onesweep_lookback_stateEbbT6_jjT7_P12ihipStream_tbENKUlT_T0_SG_SL_E_clIS9_SA_SB_SB_EEDaSZ_S10_SG_SL_EUlSZ_E_NS1_11comp_targetILNS1_3genE6ELNS1_11target_archE950ELNS1_3gpuE13ELNS1_3repE0EEENS1_47radix_sort_onesweep_sort_config_static_selectorELNS0_4arch9wavefront6targetE0EEEvSG_.private_seg_size, 0
	.set _ZN7rocprim17ROCPRIM_400000_NS6detail17trampoline_kernelINS0_14default_configENS1_35radix_sort_onesweep_config_selectorImNS0_10empty_typeEEEZZNS1_29radix_sort_onesweep_iterationIS3_Lb1EPKmPmPS5_SB_mNS0_19identity_decomposerENS1_16block_id_wrapperIjLb1EEEEE10hipError_tT1_PNSt15iterator_traitsISG_E10value_typeET2_T3_PNSH_ISM_E10value_typeET4_T5_PSR_SS_PNS1_23onesweep_lookback_stateEbbT6_jjT7_P12ihipStream_tbENKUlT_T0_SG_SL_E_clIS9_SA_SB_SB_EEDaSZ_S10_SG_SL_EUlSZ_E_NS1_11comp_targetILNS1_3genE6ELNS1_11target_archE950ELNS1_3gpuE13ELNS1_3repE0EEENS1_47radix_sort_onesweep_sort_config_static_selectorELNS0_4arch9wavefront6targetE0EEEvSG_.uses_vcc, 0
	.set _ZN7rocprim17ROCPRIM_400000_NS6detail17trampoline_kernelINS0_14default_configENS1_35radix_sort_onesweep_config_selectorImNS0_10empty_typeEEEZZNS1_29radix_sort_onesweep_iterationIS3_Lb1EPKmPmPS5_SB_mNS0_19identity_decomposerENS1_16block_id_wrapperIjLb1EEEEE10hipError_tT1_PNSt15iterator_traitsISG_E10value_typeET2_T3_PNSH_ISM_E10value_typeET4_T5_PSR_SS_PNS1_23onesweep_lookback_stateEbbT6_jjT7_P12ihipStream_tbENKUlT_T0_SG_SL_E_clIS9_SA_SB_SB_EEDaSZ_S10_SG_SL_EUlSZ_E_NS1_11comp_targetILNS1_3genE6ELNS1_11target_archE950ELNS1_3gpuE13ELNS1_3repE0EEENS1_47radix_sort_onesweep_sort_config_static_selectorELNS0_4arch9wavefront6targetE0EEEvSG_.uses_flat_scratch, 0
	.set _ZN7rocprim17ROCPRIM_400000_NS6detail17trampoline_kernelINS0_14default_configENS1_35radix_sort_onesweep_config_selectorImNS0_10empty_typeEEEZZNS1_29radix_sort_onesweep_iterationIS3_Lb1EPKmPmPS5_SB_mNS0_19identity_decomposerENS1_16block_id_wrapperIjLb1EEEEE10hipError_tT1_PNSt15iterator_traitsISG_E10value_typeET2_T3_PNSH_ISM_E10value_typeET4_T5_PSR_SS_PNS1_23onesweep_lookback_stateEbbT6_jjT7_P12ihipStream_tbENKUlT_T0_SG_SL_E_clIS9_SA_SB_SB_EEDaSZ_S10_SG_SL_EUlSZ_E_NS1_11comp_targetILNS1_3genE6ELNS1_11target_archE950ELNS1_3gpuE13ELNS1_3repE0EEENS1_47radix_sort_onesweep_sort_config_static_selectorELNS0_4arch9wavefront6targetE0EEEvSG_.has_dyn_sized_stack, 0
	.set _ZN7rocprim17ROCPRIM_400000_NS6detail17trampoline_kernelINS0_14default_configENS1_35radix_sort_onesweep_config_selectorImNS0_10empty_typeEEEZZNS1_29radix_sort_onesweep_iterationIS3_Lb1EPKmPmPS5_SB_mNS0_19identity_decomposerENS1_16block_id_wrapperIjLb1EEEEE10hipError_tT1_PNSt15iterator_traitsISG_E10value_typeET2_T3_PNSH_ISM_E10value_typeET4_T5_PSR_SS_PNS1_23onesweep_lookback_stateEbbT6_jjT7_P12ihipStream_tbENKUlT_T0_SG_SL_E_clIS9_SA_SB_SB_EEDaSZ_S10_SG_SL_EUlSZ_E_NS1_11comp_targetILNS1_3genE6ELNS1_11target_archE950ELNS1_3gpuE13ELNS1_3repE0EEENS1_47radix_sort_onesweep_sort_config_static_selectorELNS0_4arch9wavefront6targetE0EEEvSG_.has_recursion, 0
	.set _ZN7rocprim17ROCPRIM_400000_NS6detail17trampoline_kernelINS0_14default_configENS1_35radix_sort_onesweep_config_selectorImNS0_10empty_typeEEEZZNS1_29radix_sort_onesweep_iterationIS3_Lb1EPKmPmPS5_SB_mNS0_19identity_decomposerENS1_16block_id_wrapperIjLb1EEEEE10hipError_tT1_PNSt15iterator_traitsISG_E10value_typeET2_T3_PNSH_ISM_E10value_typeET4_T5_PSR_SS_PNS1_23onesweep_lookback_stateEbbT6_jjT7_P12ihipStream_tbENKUlT_T0_SG_SL_E_clIS9_SA_SB_SB_EEDaSZ_S10_SG_SL_EUlSZ_E_NS1_11comp_targetILNS1_3genE6ELNS1_11target_archE950ELNS1_3gpuE13ELNS1_3repE0EEENS1_47radix_sort_onesweep_sort_config_static_selectorELNS0_4arch9wavefront6targetE0EEEvSG_.has_indirect_call, 0
	.section	.AMDGPU.csdata,"",@progbits
; Kernel info:
; codeLenInByte = 0
; TotalNumSgprs: 0
; NumVgprs: 0
; ScratchSize: 0
; MemoryBound: 0
; FloatMode: 240
; IeeeMode: 1
; LDSByteSize: 0 bytes/workgroup (compile time only)
; SGPRBlocks: 0
; VGPRBlocks: 0
; NumSGPRsForWavesPerEU: 1
; NumVGPRsForWavesPerEU: 1
; NamedBarCnt: 0
; Occupancy: 16
; WaveLimiterHint : 0
; COMPUTE_PGM_RSRC2:SCRATCH_EN: 0
; COMPUTE_PGM_RSRC2:USER_SGPR: 2
; COMPUTE_PGM_RSRC2:TRAP_HANDLER: 0
; COMPUTE_PGM_RSRC2:TGID_X_EN: 1
; COMPUTE_PGM_RSRC2:TGID_Y_EN: 0
; COMPUTE_PGM_RSRC2:TGID_Z_EN: 0
; COMPUTE_PGM_RSRC2:TIDIG_COMP_CNT: 0
	.section	.text._ZN7rocprim17ROCPRIM_400000_NS6detail17trampoline_kernelINS0_14default_configENS1_35radix_sort_onesweep_config_selectorImNS0_10empty_typeEEEZZNS1_29radix_sort_onesweep_iterationIS3_Lb1EPKmPmPS5_SB_mNS0_19identity_decomposerENS1_16block_id_wrapperIjLb1EEEEE10hipError_tT1_PNSt15iterator_traitsISG_E10value_typeET2_T3_PNSH_ISM_E10value_typeET4_T5_PSR_SS_PNS1_23onesweep_lookback_stateEbbT6_jjT7_P12ihipStream_tbENKUlT_T0_SG_SL_E_clIS9_SA_SB_SB_EEDaSZ_S10_SG_SL_EUlSZ_E_NS1_11comp_targetILNS1_3genE5ELNS1_11target_archE942ELNS1_3gpuE9ELNS1_3repE0EEENS1_47radix_sort_onesweep_sort_config_static_selectorELNS0_4arch9wavefront6targetE0EEEvSG_,"axG",@progbits,_ZN7rocprim17ROCPRIM_400000_NS6detail17trampoline_kernelINS0_14default_configENS1_35radix_sort_onesweep_config_selectorImNS0_10empty_typeEEEZZNS1_29radix_sort_onesweep_iterationIS3_Lb1EPKmPmPS5_SB_mNS0_19identity_decomposerENS1_16block_id_wrapperIjLb1EEEEE10hipError_tT1_PNSt15iterator_traitsISG_E10value_typeET2_T3_PNSH_ISM_E10value_typeET4_T5_PSR_SS_PNS1_23onesweep_lookback_stateEbbT6_jjT7_P12ihipStream_tbENKUlT_T0_SG_SL_E_clIS9_SA_SB_SB_EEDaSZ_S10_SG_SL_EUlSZ_E_NS1_11comp_targetILNS1_3genE5ELNS1_11target_archE942ELNS1_3gpuE9ELNS1_3repE0EEENS1_47radix_sort_onesweep_sort_config_static_selectorELNS0_4arch9wavefront6targetE0EEEvSG_,comdat
	.protected	_ZN7rocprim17ROCPRIM_400000_NS6detail17trampoline_kernelINS0_14default_configENS1_35radix_sort_onesweep_config_selectorImNS0_10empty_typeEEEZZNS1_29radix_sort_onesweep_iterationIS3_Lb1EPKmPmPS5_SB_mNS0_19identity_decomposerENS1_16block_id_wrapperIjLb1EEEEE10hipError_tT1_PNSt15iterator_traitsISG_E10value_typeET2_T3_PNSH_ISM_E10value_typeET4_T5_PSR_SS_PNS1_23onesweep_lookback_stateEbbT6_jjT7_P12ihipStream_tbENKUlT_T0_SG_SL_E_clIS9_SA_SB_SB_EEDaSZ_S10_SG_SL_EUlSZ_E_NS1_11comp_targetILNS1_3genE5ELNS1_11target_archE942ELNS1_3gpuE9ELNS1_3repE0EEENS1_47radix_sort_onesweep_sort_config_static_selectorELNS0_4arch9wavefront6targetE0EEEvSG_ ; -- Begin function _ZN7rocprim17ROCPRIM_400000_NS6detail17trampoline_kernelINS0_14default_configENS1_35radix_sort_onesweep_config_selectorImNS0_10empty_typeEEEZZNS1_29radix_sort_onesweep_iterationIS3_Lb1EPKmPmPS5_SB_mNS0_19identity_decomposerENS1_16block_id_wrapperIjLb1EEEEE10hipError_tT1_PNSt15iterator_traitsISG_E10value_typeET2_T3_PNSH_ISM_E10value_typeET4_T5_PSR_SS_PNS1_23onesweep_lookback_stateEbbT6_jjT7_P12ihipStream_tbENKUlT_T0_SG_SL_E_clIS9_SA_SB_SB_EEDaSZ_S10_SG_SL_EUlSZ_E_NS1_11comp_targetILNS1_3genE5ELNS1_11target_archE942ELNS1_3gpuE9ELNS1_3repE0EEENS1_47radix_sort_onesweep_sort_config_static_selectorELNS0_4arch9wavefront6targetE0EEEvSG_
	.globl	_ZN7rocprim17ROCPRIM_400000_NS6detail17trampoline_kernelINS0_14default_configENS1_35radix_sort_onesweep_config_selectorImNS0_10empty_typeEEEZZNS1_29radix_sort_onesweep_iterationIS3_Lb1EPKmPmPS5_SB_mNS0_19identity_decomposerENS1_16block_id_wrapperIjLb1EEEEE10hipError_tT1_PNSt15iterator_traitsISG_E10value_typeET2_T3_PNSH_ISM_E10value_typeET4_T5_PSR_SS_PNS1_23onesweep_lookback_stateEbbT6_jjT7_P12ihipStream_tbENKUlT_T0_SG_SL_E_clIS9_SA_SB_SB_EEDaSZ_S10_SG_SL_EUlSZ_E_NS1_11comp_targetILNS1_3genE5ELNS1_11target_archE942ELNS1_3gpuE9ELNS1_3repE0EEENS1_47radix_sort_onesweep_sort_config_static_selectorELNS0_4arch9wavefront6targetE0EEEvSG_
	.p2align	8
	.type	_ZN7rocprim17ROCPRIM_400000_NS6detail17trampoline_kernelINS0_14default_configENS1_35radix_sort_onesweep_config_selectorImNS0_10empty_typeEEEZZNS1_29radix_sort_onesweep_iterationIS3_Lb1EPKmPmPS5_SB_mNS0_19identity_decomposerENS1_16block_id_wrapperIjLb1EEEEE10hipError_tT1_PNSt15iterator_traitsISG_E10value_typeET2_T3_PNSH_ISM_E10value_typeET4_T5_PSR_SS_PNS1_23onesweep_lookback_stateEbbT6_jjT7_P12ihipStream_tbENKUlT_T0_SG_SL_E_clIS9_SA_SB_SB_EEDaSZ_S10_SG_SL_EUlSZ_E_NS1_11comp_targetILNS1_3genE5ELNS1_11target_archE942ELNS1_3gpuE9ELNS1_3repE0EEENS1_47radix_sort_onesweep_sort_config_static_selectorELNS0_4arch9wavefront6targetE0EEEvSG_,@function
_ZN7rocprim17ROCPRIM_400000_NS6detail17trampoline_kernelINS0_14default_configENS1_35radix_sort_onesweep_config_selectorImNS0_10empty_typeEEEZZNS1_29radix_sort_onesweep_iterationIS3_Lb1EPKmPmPS5_SB_mNS0_19identity_decomposerENS1_16block_id_wrapperIjLb1EEEEE10hipError_tT1_PNSt15iterator_traitsISG_E10value_typeET2_T3_PNSH_ISM_E10value_typeET4_T5_PSR_SS_PNS1_23onesweep_lookback_stateEbbT6_jjT7_P12ihipStream_tbENKUlT_T0_SG_SL_E_clIS9_SA_SB_SB_EEDaSZ_S10_SG_SL_EUlSZ_E_NS1_11comp_targetILNS1_3genE5ELNS1_11target_archE942ELNS1_3gpuE9ELNS1_3repE0EEENS1_47radix_sort_onesweep_sort_config_static_selectorELNS0_4arch9wavefront6targetE0EEEvSG_: ; @_ZN7rocprim17ROCPRIM_400000_NS6detail17trampoline_kernelINS0_14default_configENS1_35radix_sort_onesweep_config_selectorImNS0_10empty_typeEEEZZNS1_29radix_sort_onesweep_iterationIS3_Lb1EPKmPmPS5_SB_mNS0_19identity_decomposerENS1_16block_id_wrapperIjLb1EEEEE10hipError_tT1_PNSt15iterator_traitsISG_E10value_typeET2_T3_PNSH_ISM_E10value_typeET4_T5_PSR_SS_PNS1_23onesweep_lookback_stateEbbT6_jjT7_P12ihipStream_tbENKUlT_T0_SG_SL_E_clIS9_SA_SB_SB_EEDaSZ_S10_SG_SL_EUlSZ_E_NS1_11comp_targetILNS1_3genE5ELNS1_11target_archE942ELNS1_3gpuE9ELNS1_3repE0EEENS1_47radix_sort_onesweep_sort_config_static_selectorELNS0_4arch9wavefront6targetE0EEEvSG_
; %bb.0:
	.section	.rodata,"a",@progbits
	.p2align	6, 0x0
	.amdhsa_kernel _ZN7rocprim17ROCPRIM_400000_NS6detail17trampoline_kernelINS0_14default_configENS1_35radix_sort_onesweep_config_selectorImNS0_10empty_typeEEEZZNS1_29radix_sort_onesweep_iterationIS3_Lb1EPKmPmPS5_SB_mNS0_19identity_decomposerENS1_16block_id_wrapperIjLb1EEEEE10hipError_tT1_PNSt15iterator_traitsISG_E10value_typeET2_T3_PNSH_ISM_E10value_typeET4_T5_PSR_SS_PNS1_23onesweep_lookback_stateEbbT6_jjT7_P12ihipStream_tbENKUlT_T0_SG_SL_E_clIS9_SA_SB_SB_EEDaSZ_S10_SG_SL_EUlSZ_E_NS1_11comp_targetILNS1_3genE5ELNS1_11target_archE942ELNS1_3gpuE9ELNS1_3repE0EEENS1_47radix_sort_onesweep_sort_config_static_selectorELNS0_4arch9wavefront6targetE0EEEvSG_
		.amdhsa_group_segment_fixed_size 0
		.amdhsa_private_segment_fixed_size 0
		.amdhsa_kernarg_size 88
		.amdhsa_user_sgpr_count 2
		.amdhsa_user_sgpr_dispatch_ptr 0
		.amdhsa_user_sgpr_queue_ptr 0
		.amdhsa_user_sgpr_kernarg_segment_ptr 1
		.amdhsa_user_sgpr_dispatch_id 0
		.amdhsa_user_sgpr_kernarg_preload_length 0
		.amdhsa_user_sgpr_kernarg_preload_offset 0
		.amdhsa_user_sgpr_private_segment_size 0
		.amdhsa_wavefront_size32 1
		.amdhsa_uses_dynamic_stack 0
		.amdhsa_enable_private_segment 0
		.amdhsa_system_sgpr_workgroup_id_x 1
		.amdhsa_system_sgpr_workgroup_id_y 0
		.amdhsa_system_sgpr_workgroup_id_z 0
		.amdhsa_system_sgpr_workgroup_info 0
		.amdhsa_system_vgpr_workitem_id 0
		.amdhsa_next_free_vgpr 1
		.amdhsa_next_free_sgpr 1
		.amdhsa_named_barrier_count 0
		.amdhsa_reserve_vcc 0
		.amdhsa_float_round_mode_32 0
		.amdhsa_float_round_mode_16_64 0
		.amdhsa_float_denorm_mode_32 3
		.amdhsa_float_denorm_mode_16_64 3
		.amdhsa_fp16_overflow 0
		.amdhsa_memory_ordered 1
		.amdhsa_forward_progress 1
		.amdhsa_inst_pref_size 0
		.amdhsa_round_robin_scheduling 0
		.amdhsa_exception_fp_ieee_invalid_op 0
		.amdhsa_exception_fp_denorm_src 0
		.amdhsa_exception_fp_ieee_div_zero 0
		.amdhsa_exception_fp_ieee_overflow 0
		.amdhsa_exception_fp_ieee_underflow 0
		.amdhsa_exception_fp_ieee_inexact 0
		.amdhsa_exception_int_div_zero 0
	.end_amdhsa_kernel
	.section	.text._ZN7rocprim17ROCPRIM_400000_NS6detail17trampoline_kernelINS0_14default_configENS1_35radix_sort_onesweep_config_selectorImNS0_10empty_typeEEEZZNS1_29radix_sort_onesweep_iterationIS3_Lb1EPKmPmPS5_SB_mNS0_19identity_decomposerENS1_16block_id_wrapperIjLb1EEEEE10hipError_tT1_PNSt15iterator_traitsISG_E10value_typeET2_T3_PNSH_ISM_E10value_typeET4_T5_PSR_SS_PNS1_23onesweep_lookback_stateEbbT6_jjT7_P12ihipStream_tbENKUlT_T0_SG_SL_E_clIS9_SA_SB_SB_EEDaSZ_S10_SG_SL_EUlSZ_E_NS1_11comp_targetILNS1_3genE5ELNS1_11target_archE942ELNS1_3gpuE9ELNS1_3repE0EEENS1_47radix_sort_onesweep_sort_config_static_selectorELNS0_4arch9wavefront6targetE0EEEvSG_,"axG",@progbits,_ZN7rocprim17ROCPRIM_400000_NS6detail17trampoline_kernelINS0_14default_configENS1_35radix_sort_onesweep_config_selectorImNS0_10empty_typeEEEZZNS1_29radix_sort_onesweep_iterationIS3_Lb1EPKmPmPS5_SB_mNS0_19identity_decomposerENS1_16block_id_wrapperIjLb1EEEEE10hipError_tT1_PNSt15iterator_traitsISG_E10value_typeET2_T3_PNSH_ISM_E10value_typeET4_T5_PSR_SS_PNS1_23onesweep_lookback_stateEbbT6_jjT7_P12ihipStream_tbENKUlT_T0_SG_SL_E_clIS9_SA_SB_SB_EEDaSZ_S10_SG_SL_EUlSZ_E_NS1_11comp_targetILNS1_3genE5ELNS1_11target_archE942ELNS1_3gpuE9ELNS1_3repE0EEENS1_47radix_sort_onesweep_sort_config_static_selectorELNS0_4arch9wavefront6targetE0EEEvSG_,comdat
.Lfunc_end2882:
	.size	_ZN7rocprim17ROCPRIM_400000_NS6detail17trampoline_kernelINS0_14default_configENS1_35radix_sort_onesweep_config_selectorImNS0_10empty_typeEEEZZNS1_29radix_sort_onesweep_iterationIS3_Lb1EPKmPmPS5_SB_mNS0_19identity_decomposerENS1_16block_id_wrapperIjLb1EEEEE10hipError_tT1_PNSt15iterator_traitsISG_E10value_typeET2_T3_PNSH_ISM_E10value_typeET4_T5_PSR_SS_PNS1_23onesweep_lookback_stateEbbT6_jjT7_P12ihipStream_tbENKUlT_T0_SG_SL_E_clIS9_SA_SB_SB_EEDaSZ_S10_SG_SL_EUlSZ_E_NS1_11comp_targetILNS1_3genE5ELNS1_11target_archE942ELNS1_3gpuE9ELNS1_3repE0EEENS1_47radix_sort_onesweep_sort_config_static_selectorELNS0_4arch9wavefront6targetE0EEEvSG_, .Lfunc_end2882-_ZN7rocprim17ROCPRIM_400000_NS6detail17trampoline_kernelINS0_14default_configENS1_35radix_sort_onesweep_config_selectorImNS0_10empty_typeEEEZZNS1_29radix_sort_onesweep_iterationIS3_Lb1EPKmPmPS5_SB_mNS0_19identity_decomposerENS1_16block_id_wrapperIjLb1EEEEE10hipError_tT1_PNSt15iterator_traitsISG_E10value_typeET2_T3_PNSH_ISM_E10value_typeET4_T5_PSR_SS_PNS1_23onesweep_lookback_stateEbbT6_jjT7_P12ihipStream_tbENKUlT_T0_SG_SL_E_clIS9_SA_SB_SB_EEDaSZ_S10_SG_SL_EUlSZ_E_NS1_11comp_targetILNS1_3genE5ELNS1_11target_archE942ELNS1_3gpuE9ELNS1_3repE0EEENS1_47radix_sort_onesweep_sort_config_static_selectorELNS0_4arch9wavefront6targetE0EEEvSG_
                                        ; -- End function
	.set _ZN7rocprim17ROCPRIM_400000_NS6detail17trampoline_kernelINS0_14default_configENS1_35radix_sort_onesweep_config_selectorImNS0_10empty_typeEEEZZNS1_29radix_sort_onesweep_iterationIS3_Lb1EPKmPmPS5_SB_mNS0_19identity_decomposerENS1_16block_id_wrapperIjLb1EEEEE10hipError_tT1_PNSt15iterator_traitsISG_E10value_typeET2_T3_PNSH_ISM_E10value_typeET4_T5_PSR_SS_PNS1_23onesweep_lookback_stateEbbT6_jjT7_P12ihipStream_tbENKUlT_T0_SG_SL_E_clIS9_SA_SB_SB_EEDaSZ_S10_SG_SL_EUlSZ_E_NS1_11comp_targetILNS1_3genE5ELNS1_11target_archE942ELNS1_3gpuE9ELNS1_3repE0EEENS1_47radix_sort_onesweep_sort_config_static_selectorELNS0_4arch9wavefront6targetE0EEEvSG_.num_vgpr, 0
	.set _ZN7rocprim17ROCPRIM_400000_NS6detail17trampoline_kernelINS0_14default_configENS1_35radix_sort_onesweep_config_selectorImNS0_10empty_typeEEEZZNS1_29radix_sort_onesweep_iterationIS3_Lb1EPKmPmPS5_SB_mNS0_19identity_decomposerENS1_16block_id_wrapperIjLb1EEEEE10hipError_tT1_PNSt15iterator_traitsISG_E10value_typeET2_T3_PNSH_ISM_E10value_typeET4_T5_PSR_SS_PNS1_23onesweep_lookback_stateEbbT6_jjT7_P12ihipStream_tbENKUlT_T0_SG_SL_E_clIS9_SA_SB_SB_EEDaSZ_S10_SG_SL_EUlSZ_E_NS1_11comp_targetILNS1_3genE5ELNS1_11target_archE942ELNS1_3gpuE9ELNS1_3repE0EEENS1_47radix_sort_onesweep_sort_config_static_selectorELNS0_4arch9wavefront6targetE0EEEvSG_.num_agpr, 0
	.set _ZN7rocprim17ROCPRIM_400000_NS6detail17trampoline_kernelINS0_14default_configENS1_35radix_sort_onesweep_config_selectorImNS0_10empty_typeEEEZZNS1_29radix_sort_onesweep_iterationIS3_Lb1EPKmPmPS5_SB_mNS0_19identity_decomposerENS1_16block_id_wrapperIjLb1EEEEE10hipError_tT1_PNSt15iterator_traitsISG_E10value_typeET2_T3_PNSH_ISM_E10value_typeET4_T5_PSR_SS_PNS1_23onesweep_lookback_stateEbbT6_jjT7_P12ihipStream_tbENKUlT_T0_SG_SL_E_clIS9_SA_SB_SB_EEDaSZ_S10_SG_SL_EUlSZ_E_NS1_11comp_targetILNS1_3genE5ELNS1_11target_archE942ELNS1_3gpuE9ELNS1_3repE0EEENS1_47radix_sort_onesweep_sort_config_static_selectorELNS0_4arch9wavefront6targetE0EEEvSG_.numbered_sgpr, 0
	.set _ZN7rocprim17ROCPRIM_400000_NS6detail17trampoline_kernelINS0_14default_configENS1_35radix_sort_onesweep_config_selectorImNS0_10empty_typeEEEZZNS1_29radix_sort_onesweep_iterationIS3_Lb1EPKmPmPS5_SB_mNS0_19identity_decomposerENS1_16block_id_wrapperIjLb1EEEEE10hipError_tT1_PNSt15iterator_traitsISG_E10value_typeET2_T3_PNSH_ISM_E10value_typeET4_T5_PSR_SS_PNS1_23onesweep_lookback_stateEbbT6_jjT7_P12ihipStream_tbENKUlT_T0_SG_SL_E_clIS9_SA_SB_SB_EEDaSZ_S10_SG_SL_EUlSZ_E_NS1_11comp_targetILNS1_3genE5ELNS1_11target_archE942ELNS1_3gpuE9ELNS1_3repE0EEENS1_47radix_sort_onesweep_sort_config_static_selectorELNS0_4arch9wavefront6targetE0EEEvSG_.num_named_barrier, 0
	.set _ZN7rocprim17ROCPRIM_400000_NS6detail17trampoline_kernelINS0_14default_configENS1_35radix_sort_onesweep_config_selectorImNS0_10empty_typeEEEZZNS1_29radix_sort_onesweep_iterationIS3_Lb1EPKmPmPS5_SB_mNS0_19identity_decomposerENS1_16block_id_wrapperIjLb1EEEEE10hipError_tT1_PNSt15iterator_traitsISG_E10value_typeET2_T3_PNSH_ISM_E10value_typeET4_T5_PSR_SS_PNS1_23onesweep_lookback_stateEbbT6_jjT7_P12ihipStream_tbENKUlT_T0_SG_SL_E_clIS9_SA_SB_SB_EEDaSZ_S10_SG_SL_EUlSZ_E_NS1_11comp_targetILNS1_3genE5ELNS1_11target_archE942ELNS1_3gpuE9ELNS1_3repE0EEENS1_47radix_sort_onesweep_sort_config_static_selectorELNS0_4arch9wavefront6targetE0EEEvSG_.private_seg_size, 0
	.set _ZN7rocprim17ROCPRIM_400000_NS6detail17trampoline_kernelINS0_14default_configENS1_35radix_sort_onesweep_config_selectorImNS0_10empty_typeEEEZZNS1_29radix_sort_onesweep_iterationIS3_Lb1EPKmPmPS5_SB_mNS0_19identity_decomposerENS1_16block_id_wrapperIjLb1EEEEE10hipError_tT1_PNSt15iterator_traitsISG_E10value_typeET2_T3_PNSH_ISM_E10value_typeET4_T5_PSR_SS_PNS1_23onesweep_lookback_stateEbbT6_jjT7_P12ihipStream_tbENKUlT_T0_SG_SL_E_clIS9_SA_SB_SB_EEDaSZ_S10_SG_SL_EUlSZ_E_NS1_11comp_targetILNS1_3genE5ELNS1_11target_archE942ELNS1_3gpuE9ELNS1_3repE0EEENS1_47radix_sort_onesweep_sort_config_static_selectorELNS0_4arch9wavefront6targetE0EEEvSG_.uses_vcc, 0
	.set _ZN7rocprim17ROCPRIM_400000_NS6detail17trampoline_kernelINS0_14default_configENS1_35radix_sort_onesweep_config_selectorImNS0_10empty_typeEEEZZNS1_29radix_sort_onesweep_iterationIS3_Lb1EPKmPmPS5_SB_mNS0_19identity_decomposerENS1_16block_id_wrapperIjLb1EEEEE10hipError_tT1_PNSt15iterator_traitsISG_E10value_typeET2_T3_PNSH_ISM_E10value_typeET4_T5_PSR_SS_PNS1_23onesweep_lookback_stateEbbT6_jjT7_P12ihipStream_tbENKUlT_T0_SG_SL_E_clIS9_SA_SB_SB_EEDaSZ_S10_SG_SL_EUlSZ_E_NS1_11comp_targetILNS1_3genE5ELNS1_11target_archE942ELNS1_3gpuE9ELNS1_3repE0EEENS1_47radix_sort_onesweep_sort_config_static_selectorELNS0_4arch9wavefront6targetE0EEEvSG_.uses_flat_scratch, 0
	.set _ZN7rocprim17ROCPRIM_400000_NS6detail17trampoline_kernelINS0_14default_configENS1_35radix_sort_onesweep_config_selectorImNS0_10empty_typeEEEZZNS1_29radix_sort_onesweep_iterationIS3_Lb1EPKmPmPS5_SB_mNS0_19identity_decomposerENS1_16block_id_wrapperIjLb1EEEEE10hipError_tT1_PNSt15iterator_traitsISG_E10value_typeET2_T3_PNSH_ISM_E10value_typeET4_T5_PSR_SS_PNS1_23onesweep_lookback_stateEbbT6_jjT7_P12ihipStream_tbENKUlT_T0_SG_SL_E_clIS9_SA_SB_SB_EEDaSZ_S10_SG_SL_EUlSZ_E_NS1_11comp_targetILNS1_3genE5ELNS1_11target_archE942ELNS1_3gpuE9ELNS1_3repE0EEENS1_47radix_sort_onesweep_sort_config_static_selectorELNS0_4arch9wavefront6targetE0EEEvSG_.has_dyn_sized_stack, 0
	.set _ZN7rocprim17ROCPRIM_400000_NS6detail17trampoline_kernelINS0_14default_configENS1_35radix_sort_onesweep_config_selectorImNS0_10empty_typeEEEZZNS1_29radix_sort_onesweep_iterationIS3_Lb1EPKmPmPS5_SB_mNS0_19identity_decomposerENS1_16block_id_wrapperIjLb1EEEEE10hipError_tT1_PNSt15iterator_traitsISG_E10value_typeET2_T3_PNSH_ISM_E10value_typeET4_T5_PSR_SS_PNS1_23onesweep_lookback_stateEbbT6_jjT7_P12ihipStream_tbENKUlT_T0_SG_SL_E_clIS9_SA_SB_SB_EEDaSZ_S10_SG_SL_EUlSZ_E_NS1_11comp_targetILNS1_3genE5ELNS1_11target_archE942ELNS1_3gpuE9ELNS1_3repE0EEENS1_47radix_sort_onesweep_sort_config_static_selectorELNS0_4arch9wavefront6targetE0EEEvSG_.has_recursion, 0
	.set _ZN7rocprim17ROCPRIM_400000_NS6detail17trampoline_kernelINS0_14default_configENS1_35radix_sort_onesweep_config_selectorImNS0_10empty_typeEEEZZNS1_29radix_sort_onesweep_iterationIS3_Lb1EPKmPmPS5_SB_mNS0_19identity_decomposerENS1_16block_id_wrapperIjLb1EEEEE10hipError_tT1_PNSt15iterator_traitsISG_E10value_typeET2_T3_PNSH_ISM_E10value_typeET4_T5_PSR_SS_PNS1_23onesweep_lookback_stateEbbT6_jjT7_P12ihipStream_tbENKUlT_T0_SG_SL_E_clIS9_SA_SB_SB_EEDaSZ_S10_SG_SL_EUlSZ_E_NS1_11comp_targetILNS1_3genE5ELNS1_11target_archE942ELNS1_3gpuE9ELNS1_3repE0EEENS1_47radix_sort_onesweep_sort_config_static_selectorELNS0_4arch9wavefront6targetE0EEEvSG_.has_indirect_call, 0
	.section	.AMDGPU.csdata,"",@progbits
; Kernel info:
; codeLenInByte = 0
; TotalNumSgprs: 0
; NumVgprs: 0
; ScratchSize: 0
; MemoryBound: 0
; FloatMode: 240
; IeeeMode: 1
; LDSByteSize: 0 bytes/workgroup (compile time only)
; SGPRBlocks: 0
; VGPRBlocks: 0
; NumSGPRsForWavesPerEU: 1
; NumVGPRsForWavesPerEU: 1
; NamedBarCnt: 0
; Occupancy: 16
; WaveLimiterHint : 0
; COMPUTE_PGM_RSRC2:SCRATCH_EN: 0
; COMPUTE_PGM_RSRC2:USER_SGPR: 2
; COMPUTE_PGM_RSRC2:TRAP_HANDLER: 0
; COMPUTE_PGM_RSRC2:TGID_X_EN: 1
; COMPUTE_PGM_RSRC2:TGID_Y_EN: 0
; COMPUTE_PGM_RSRC2:TGID_Z_EN: 0
; COMPUTE_PGM_RSRC2:TIDIG_COMP_CNT: 0
	.section	.text._ZN7rocprim17ROCPRIM_400000_NS6detail17trampoline_kernelINS0_14default_configENS1_35radix_sort_onesweep_config_selectorImNS0_10empty_typeEEEZZNS1_29radix_sort_onesweep_iterationIS3_Lb1EPKmPmPS5_SB_mNS0_19identity_decomposerENS1_16block_id_wrapperIjLb1EEEEE10hipError_tT1_PNSt15iterator_traitsISG_E10value_typeET2_T3_PNSH_ISM_E10value_typeET4_T5_PSR_SS_PNS1_23onesweep_lookback_stateEbbT6_jjT7_P12ihipStream_tbENKUlT_T0_SG_SL_E_clIS9_SA_SB_SB_EEDaSZ_S10_SG_SL_EUlSZ_E_NS1_11comp_targetILNS1_3genE2ELNS1_11target_archE906ELNS1_3gpuE6ELNS1_3repE0EEENS1_47radix_sort_onesweep_sort_config_static_selectorELNS0_4arch9wavefront6targetE0EEEvSG_,"axG",@progbits,_ZN7rocprim17ROCPRIM_400000_NS6detail17trampoline_kernelINS0_14default_configENS1_35radix_sort_onesweep_config_selectorImNS0_10empty_typeEEEZZNS1_29radix_sort_onesweep_iterationIS3_Lb1EPKmPmPS5_SB_mNS0_19identity_decomposerENS1_16block_id_wrapperIjLb1EEEEE10hipError_tT1_PNSt15iterator_traitsISG_E10value_typeET2_T3_PNSH_ISM_E10value_typeET4_T5_PSR_SS_PNS1_23onesweep_lookback_stateEbbT6_jjT7_P12ihipStream_tbENKUlT_T0_SG_SL_E_clIS9_SA_SB_SB_EEDaSZ_S10_SG_SL_EUlSZ_E_NS1_11comp_targetILNS1_3genE2ELNS1_11target_archE906ELNS1_3gpuE6ELNS1_3repE0EEENS1_47radix_sort_onesweep_sort_config_static_selectorELNS0_4arch9wavefront6targetE0EEEvSG_,comdat
	.protected	_ZN7rocprim17ROCPRIM_400000_NS6detail17trampoline_kernelINS0_14default_configENS1_35radix_sort_onesweep_config_selectorImNS0_10empty_typeEEEZZNS1_29radix_sort_onesweep_iterationIS3_Lb1EPKmPmPS5_SB_mNS0_19identity_decomposerENS1_16block_id_wrapperIjLb1EEEEE10hipError_tT1_PNSt15iterator_traitsISG_E10value_typeET2_T3_PNSH_ISM_E10value_typeET4_T5_PSR_SS_PNS1_23onesweep_lookback_stateEbbT6_jjT7_P12ihipStream_tbENKUlT_T0_SG_SL_E_clIS9_SA_SB_SB_EEDaSZ_S10_SG_SL_EUlSZ_E_NS1_11comp_targetILNS1_3genE2ELNS1_11target_archE906ELNS1_3gpuE6ELNS1_3repE0EEENS1_47radix_sort_onesweep_sort_config_static_selectorELNS0_4arch9wavefront6targetE0EEEvSG_ ; -- Begin function _ZN7rocprim17ROCPRIM_400000_NS6detail17trampoline_kernelINS0_14default_configENS1_35radix_sort_onesweep_config_selectorImNS0_10empty_typeEEEZZNS1_29radix_sort_onesweep_iterationIS3_Lb1EPKmPmPS5_SB_mNS0_19identity_decomposerENS1_16block_id_wrapperIjLb1EEEEE10hipError_tT1_PNSt15iterator_traitsISG_E10value_typeET2_T3_PNSH_ISM_E10value_typeET4_T5_PSR_SS_PNS1_23onesweep_lookback_stateEbbT6_jjT7_P12ihipStream_tbENKUlT_T0_SG_SL_E_clIS9_SA_SB_SB_EEDaSZ_S10_SG_SL_EUlSZ_E_NS1_11comp_targetILNS1_3genE2ELNS1_11target_archE906ELNS1_3gpuE6ELNS1_3repE0EEENS1_47radix_sort_onesweep_sort_config_static_selectorELNS0_4arch9wavefront6targetE0EEEvSG_
	.globl	_ZN7rocprim17ROCPRIM_400000_NS6detail17trampoline_kernelINS0_14default_configENS1_35radix_sort_onesweep_config_selectorImNS0_10empty_typeEEEZZNS1_29radix_sort_onesweep_iterationIS3_Lb1EPKmPmPS5_SB_mNS0_19identity_decomposerENS1_16block_id_wrapperIjLb1EEEEE10hipError_tT1_PNSt15iterator_traitsISG_E10value_typeET2_T3_PNSH_ISM_E10value_typeET4_T5_PSR_SS_PNS1_23onesweep_lookback_stateEbbT6_jjT7_P12ihipStream_tbENKUlT_T0_SG_SL_E_clIS9_SA_SB_SB_EEDaSZ_S10_SG_SL_EUlSZ_E_NS1_11comp_targetILNS1_3genE2ELNS1_11target_archE906ELNS1_3gpuE6ELNS1_3repE0EEENS1_47radix_sort_onesweep_sort_config_static_selectorELNS0_4arch9wavefront6targetE0EEEvSG_
	.p2align	8
	.type	_ZN7rocprim17ROCPRIM_400000_NS6detail17trampoline_kernelINS0_14default_configENS1_35radix_sort_onesweep_config_selectorImNS0_10empty_typeEEEZZNS1_29radix_sort_onesweep_iterationIS3_Lb1EPKmPmPS5_SB_mNS0_19identity_decomposerENS1_16block_id_wrapperIjLb1EEEEE10hipError_tT1_PNSt15iterator_traitsISG_E10value_typeET2_T3_PNSH_ISM_E10value_typeET4_T5_PSR_SS_PNS1_23onesweep_lookback_stateEbbT6_jjT7_P12ihipStream_tbENKUlT_T0_SG_SL_E_clIS9_SA_SB_SB_EEDaSZ_S10_SG_SL_EUlSZ_E_NS1_11comp_targetILNS1_3genE2ELNS1_11target_archE906ELNS1_3gpuE6ELNS1_3repE0EEENS1_47radix_sort_onesweep_sort_config_static_selectorELNS0_4arch9wavefront6targetE0EEEvSG_,@function
_ZN7rocprim17ROCPRIM_400000_NS6detail17trampoline_kernelINS0_14default_configENS1_35radix_sort_onesweep_config_selectorImNS0_10empty_typeEEEZZNS1_29radix_sort_onesweep_iterationIS3_Lb1EPKmPmPS5_SB_mNS0_19identity_decomposerENS1_16block_id_wrapperIjLb1EEEEE10hipError_tT1_PNSt15iterator_traitsISG_E10value_typeET2_T3_PNSH_ISM_E10value_typeET4_T5_PSR_SS_PNS1_23onesweep_lookback_stateEbbT6_jjT7_P12ihipStream_tbENKUlT_T0_SG_SL_E_clIS9_SA_SB_SB_EEDaSZ_S10_SG_SL_EUlSZ_E_NS1_11comp_targetILNS1_3genE2ELNS1_11target_archE906ELNS1_3gpuE6ELNS1_3repE0EEENS1_47radix_sort_onesweep_sort_config_static_selectorELNS0_4arch9wavefront6targetE0EEEvSG_: ; @_ZN7rocprim17ROCPRIM_400000_NS6detail17trampoline_kernelINS0_14default_configENS1_35radix_sort_onesweep_config_selectorImNS0_10empty_typeEEEZZNS1_29radix_sort_onesweep_iterationIS3_Lb1EPKmPmPS5_SB_mNS0_19identity_decomposerENS1_16block_id_wrapperIjLb1EEEEE10hipError_tT1_PNSt15iterator_traitsISG_E10value_typeET2_T3_PNSH_ISM_E10value_typeET4_T5_PSR_SS_PNS1_23onesweep_lookback_stateEbbT6_jjT7_P12ihipStream_tbENKUlT_T0_SG_SL_E_clIS9_SA_SB_SB_EEDaSZ_S10_SG_SL_EUlSZ_E_NS1_11comp_targetILNS1_3genE2ELNS1_11target_archE906ELNS1_3gpuE6ELNS1_3repE0EEENS1_47radix_sort_onesweep_sort_config_static_selectorELNS0_4arch9wavefront6targetE0EEEvSG_
; %bb.0:
	.section	.rodata,"a",@progbits
	.p2align	6, 0x0
	.amdhsa_kernel _ZN7rocprim17ROCPRIM_400000_NS6detail17trampoline_kernelINS0_14default_configENS1_35radix_sort_onesweep_config_selectorImNS0_10empty_typeEEEZZNS1_29radix_sort_onesweep_iterationIS3_Lb1EPKmPmPS5_SB_mNS0_19identity_decomposerENS1_16block_id_wrapperIjLb1EEEEE10hipError_tT1_PNSt15iterator_traitsISG_E10value_typeET2_T3_PNSH_ISM_E10value_typeET4_T5_PSR_SS_PNS1_23onesweep_lookback_stateEbbT6_jjT7_P12ihipStream_tbENKUlT_T0_SG_SL_E_clIS9_SA_SB_SB_EEDaSZ_S10_SG_SL_EUlSZ_E_NS1_11comp_targetILNS1_3genE2ELNS1_11target_archE906ELNS1_3gpuE6ELNS1_3repE0EEENS1_47radix_sort_onesweep_sort_config_static_selectorELNS0_4arch9wavefront6targetE0EEEvSG_
		.amdhsa_group_segment_fixed_size 0
		.amdhsa_private_segment_fixed_size 0
		.amdhsa_kernarg_size 88
		.amdhsa_user_sgpr_count 2
		.amdhsa_user_sgpr_dispatch_ptr 0
		.amdhsa_user_sgpr_queue_ptr 0
		.amdhsa_user_sgpr_kernarg_segment_ptr 1
		.amdhsa_user_sgpr_dispatch_id 0
		.amdhsa_user_sgpr_kernarg_preload_length 0
		.amdhsa_user_sgpr_kernarg_preload_offset 0
		.amdhsa_user_sgpr_private_segment_size 0
		.amdhsa_wavefront_size32 1
		.amdhsa_uses_dynamic_stack 0
		.amdhsa_enable_private_segment 0
		.amdhsa_system_sgpr_workgroup_id_x 1
		.amdhsa_system_sgpr_workgroup_id_y 0
		.amdhsa_system_sgpr_workgroup_id_z 0
		.amdhsa_system_sgpr_workgroup_info 0
		.amdhsa_system_vgpr_workitem_id 0
		.amdhsa_next_free_vgpr 1
		.amdhsa_next_free_sgpr 1
		.amdhsa_named_barrier_count 0
		.amdhsa_reserve_vcc 0
		.amdhsa_float_round_mode_32 0
		.amdhsa_float_round_mode_16_64 0
		.amdhsa_float_denorm_mode_32 3
		.amdhsa_float_denorm_mode_16_64 3
		.amdhsa_fp16_overflow 0
		.amdhsa_memory_ordered 1
		.amdhsa_forward_progress 1
		.amdhsa_inst_pref_size 0
		.amdhsa_round_robin_scheduling 0
		.amdhsa_exception_fp_ieee_invalid_op 0
		.amdhsa_exception_fp_denorm_src 0
		.amdhsa_exception_fp_ieee_div_zero 0
		.amdhsa_exception_fp_ieee_overflow 0
		.amdhsa_exception_fp_ieee_underflow 0
		.amdhsa_exception_fp_ieee_inexact 0
		.amdhsa_exception_int_div_zero 0
	.end_amdhsa_kernel
	.section	.text._ZN7rocprim17ROCPRIM_400000_NS6detail17trampoline_kernelINS0_14default_configENS1_35radix_sort_onesweep_config_selectorImNS0_10empty_typeEEEZZNS1_29radix_sort_onesweep_iterationIS3_Lb1EPKmPmPS5_SB_mNS0_19identity_decomposerENS1_16block_id_wrapperIjLb1EEEEE10hipError_tT1_PNSt15iterator_traitsISG_E10value_typeET2_T3_PNSH_ISM_E10value_typeET4_T5_PSR_SS_PNS1_23onesweep_lookback_stateEbbT6_jjT7_P12ihipStream_tbENKUlT_T0_SG_SL_E_clIS9_SA_SB_SB_EEDaSZ_S10_SG_SL_EUlSZ_E_NS1_11comp_targetILNS1_3genE2ELNS1_11target_archE906ELNS1_3gpuE6ELNS1_3repE0EEENS1_47radix_sort_onesweep_sort_config_static_selectorELNS0_4arch9wavefront6targetE0EEEvSG_,"axG",@progbits,_ZN7rocprim17ROCPRIM_400000_NS6detail17trampoline_kernelINS0_14default_configENS1_35radix_sort_onesweep_config_selectorImNS0_10empty_typeEEEZZNS1_29radix_sort_onesweep_iterationIS3_Lb1EPKmPmPS5_SB_mNS0_19identity_decomposerENS1_16block_id_wrapperIjLb1EEEEE10hipError_tT1_PNSt15iterator_traitsISG_E10value_typeET2_T3_PNSH_ISM_E10value_typeET4_T5_PSR_SS_PNS1_23onesweep_lookback_stateEbbT6_jjT7_P12ihipStream_tbENKUlT_T0_SG_SL_E_clIS9_SA_SB_SB_EEDaSZ_S10_SG_SL_EUlSZ_E_NS1_11comp_targetILNS1_3genE2ELNS1_11target_archE906ELNS1_3gpuE6ELNS1_3repE0EEENS1_47radix_sort_onesweep_sort_config_static_selectorELNS0_4arch9wavefront6targetE0EEEvSG_,comdat
.Lfunc_end2883:
	.size	_ZN7rocprim17ROCPRIM_400000_NS6detail17trampoline_kernelINS0_14default_configENS1_35radix_sort_onesweep_config_selectorImNS0_10empty_typeEEEZZNS1_29radix_sort_onesweep_iterationIS3_Lb1EPKmPmPS5_SB_mNS0_19identity_decomposerENS1_16block_id_wrapperIjLb1EEEEE10hipError_tT1_PNSt15iterator_traitsISG_E10value_typeET2_T3_PNSH_ISM_E10value_typeET4_T5_PSR_SS_PNS1_23onesweep_lookback_stateEbbT6_jjT7_P12ihipStream_tbENKUlT_T0_SG_SL_E_clIS9_SA_SB_SB_EEDaSZ_S10_SG_SL_EUlSZ_E_NS1_11comp_targetILNS1_3genE2ELNS1_11target_archE906ELNS1_3gpuE6ELNS1_3repE0EEENS1_47radix_sort_onesweep_sort_config_static_selectorELNS0_4arch9wavefront6targetE0EEEvSG_, .Lfunc_end2883-_ZN7rocprim17ROCPRIM_400000_NS6detail17trampoline_kernelINS0_14default_configENS1_35radix_sort_onesweep_config_selectorImNS0_10empty_typeEEEZZNS1_29radix_sort_onesweep_iterationIS3_Lb1EPKmPmPS5_SB_mNS0_19identity_decomposerENS1_16block_id_wrapperIjLb1EEEEE10hipError_tT1_PNSt15iterator_traitsISG_E10value_typeET2_T3_PNSH_ISM_E10value_typeET4_T5_PSR_SS_PNS1_23onesweep_lookback_stateEbbT6_jjT7_P12ihipStream_tbENKUlT_T0_SG_SL_E_clIS9_SA_SB_SB_EEDaSZ_S10_SG_SL_EUlSZ_E_NS1_11comp_targetILNS1_3genE2ELNS1_11target_archE906ELNS1_3gpuE6ELNS1_3repE0EEENS1_47radix_sort_onesweep_sort_config_static_selectorELNS0_4arch9wavefront6targetE0EEEvSG_
                                        ; -- End function
	.set _ZN7rocprim17ROCPRIM_400000_NS6detail17trampoline_kernelINS0_14default_configENS1_35radix_sort_onesweep_config_selectorImNS0_10empty_typeEEEZZNS1_29radix_sort_onesweep_iterationIS3_Lb1EPKmPmPS5_SB_mNS0_19identity_decomposerENS1_16block_id_wrapperIjLb1EEEEE10hipError_tT1_PNSt15iterator_traitsISG_E10value_typeET2_T3_PNSH_ISM_E10value_typeET4_T5_PSR_SS_PNS1_23onesweep_lookback_stateEbbT6_jjT7_P12ihipStream_tbENKUlT_T0_SG_SL_E_clIS9_SA_SB_SB_EEDaSZ_S10_SG_SL_EUlSZ_E_NS1_11comp_targetILNS1_3genE2ELNS1_11target_archE906ELNS1_3gpuE6ELNS1_3repE0EEENS1_47radix_sort_onesweep_sort_config_static_selectorELNS0_4arch9wavefront6targetE0EEEvSG_.num_vgpr, 0
	.set _ZN7rocprim17ROCPRIM_400000_NS6detail17trampoline_kernelINS0_14default_configENS1_35radix_sort_onesweep_config_selectorImNS0_10empty_typeEEEZZNS1_29radix_sort_onesweep_iterationIS3_Lb1EPKmPmPS5_SB_mNS0_19identity_decomposerENS1_16block_id_wrapperIjLb1EEEEE10hipError_tT1_PNSt15iterator_traitsISG_E10value_typeET2_T3_PNSH_ISM_E10value_typeET4_T5_PSR_SS_PNS1_23onesweep_lookback_stateEbbT6_jjT7_P12ihipStream_tbENKUlT_T0_SG_SL_E_clIS9_SA_SB_SB_EEDaSZ_S10_SG_SL_EUlSZ_E_NS1_11comp_targetILNS1_3genE2ELNS1_11target_archE906ELNS1_3gpuE6ELNS1_3repE0EEENS1_47radix_sort_onesweep_sort_config_static_selectorELNS0_4arch9wavefront6targetE0EEEvSG_.num_agpr, 0
	.set _ZN7rocprim17ROCPRIM_400000_NS6detail17trampoline_kernelINS0_14default_configENS1_35radix_sort_onesweep_config_selectorImNS0_10empty_typeEEEZZNS1_29radix_sort_onesweep_iterationIS3_Lb1EPKmPmPS5_SB_mNS0_19identity_decomposerENS1_16block_id_wrapperIjLb1EEEEE10hipError_tT1_PNSt15iterator_traitsISG_E10value_typeET2_T3_PNSH_ISM_E10value_typeET4_T5_PSR_SS_PNS1_23onesweep_lookback_stateEbbT6_jjT7_P12ihipStream_tbENKUlT_T0_SG_SL_E_clIS9_SA_SB_SB_EEDaSZ_S10_SG_SL_EUlSZ_E_NS1_11comp_targetILNS1_3genE2ELNS1_11target_archE906ELNS1_3gpuE6ELNS1_3repE0EEENS1_47radix_sort_onesweep_sort_config_static_selectorELNS0_4arch9wavefront6targetE0EEEvSG_.numbered_sgpr, 0
	.set _ZN7rocprim17ROCPRIM_400000_NS6detail17trampoline_kernelINS0_14default_configENS1_35radix_sort_onesweep_config_selectorImNS0_10empty_typeEEEZZNS1_29radix_sort_onesweep_iterationIS3_Lb1EPKmPmPS5_SB_mNS0_19identity_decomposerENS1_16block_id_wrapperIjLb1EEEEE10hipError_tT1_PNSt15iterator_traitsISG_E10value_typeET2_T3_PNSH_ISM_E10value_typeET4_T5_PSR_SS_PNS1_23onesweep_lookback_stateEbbT6_jjT7_P12ihipStream_tbENKUlT_T0_SG_SL_E_clIS9_SA_SB_SB_EEDaSZ_S10_SG_SL_EUlSZ_E_NS1_11comp_targetILNS1_3genE2ELNS1_11target_archE906ELNS1_3gpuE6ELNS1_3repE0EEENS1_47radix_sort_onesweep_sort_config_static_selectorELNS0_4arch9wavefront6targetE0EEEvSG_.num_named_barrier, 0
	.set _ZN7rocprim17ROCPRIM_400000_NS6detail17trampoline_kernelINS0_14default_configENS1_35radix_sort_onesweep_config_selectorImNS0_10empty_typeEEEZZNS1_29radix_sort_onesweep_iterationIS3_Lb1EPKmPmPS5_SB_mNS0_19identity_decomposerENS1_16block_id_wrapperIjLb1EEEEE10hipError_tT1_PNSt15iterator_traitsISG_E10value_typeET2_T3_PNSH_ISM_E10value_typeET4_T5_PSR_SS_PNS1_23onesweep_lookback_stateEbbT6_jjT7_P12ihipStream_tbENKUlT_T0_SG_SL_E_clIS9_SA_SB_SB_EEDaSZ_S10_SG_SL_EUlSZ_E_NS1_11comp_targetILNS1_3genE2ELNS1_11target_archE906ELNS1_3gpuE6ELNS1_3repE0EEENS1_47radix_sort_onesweep_sort_config_static_selectorELNS0_4arch9wavefront6targetE0EEEvSG_.private_seg_size, 0
	.set _ZN7rocprim17ROCPRIM_400000_NS6detail17trampoline_kernelINS0_14default_configENS1_35radix_sort_onesweep_config_selectorImNS0_10empty_typeEEEZZNS1_29radix_sort_onesweep_iterationIS3_Lb1EPKmPmPS5_SB_mNS0_19identity_decomposerENS1_16block_id_wrapperIjLb1EEEEE10hipError_tT1_PNSt15iterator_traitsISG_E10value_typeET2_T3_PNSH_ISM_E10value_typeET4_T5_PSR_SS_PNS1_23onesweep_lookback_stateEbbT6_jjT7_P12ihipStream_tbENKUlT_T0_SG_SL_E_clIS9_SA_SB_SB_EEDaSZ_S10_SG_SL_EUlSZ_E_NS1_11comp_targetILNS1_3genE2ELNS1_11target_archE906ELNS1_3gpuE6ELNS1_3repE0EEENS1_47radix_sort_onesweep_sort_config_static_selectorELNS0_4arch9wavefront6targetE0EEEvSG_.uses_vcc, 0
	.set _ZN7rocprim17ROCPRIM_400000_NS6detail17trampoline_kernelINS0_14default_configENS1_35radix_sort_onesweep_config_selectorImNS0_10empty_typeEEEZZNS1_29radix_sort_onesweep_iterationIS3_Lb1EPKmPmPS5_SB_mNS0_19identity_decomposerENS1_16block_id_wrapperIjLb1EEEEE10hipError_tT1_PNSt15iterator_traitsISG_E10value_typeET2_T3_PNSH_ISM_E10value_typeET4_T5_PSR_SS_PNS1_23onesweep_lookback_stateEbbT6_jjT7_P12ihipStream_tbENKUlT_T0_SG_SL_E_clIS9_SA_SB_SB_EEDaSZ_S10_SG_SL_EUlSZ_E_NS1_11comp_targetILNS1_3genE2ELNS1_11target_archE906ELNS1_3gpuE6ELNS1_3repE0EEENS1_47radix_sort_onesweep_sort_config_static_selectorELNS0_4arch9wavefront6targetE0EEEvSG_.uses_flat_scratch, 0
	.set _ZN7rocprim17ROCPRIM_400000_NS6detail17trampoline_kernelINS0_14default_configENS1_35radix_sort_onesweep_config_selectorImNS0_10empty_typeEEEZZNS1_29radix_sort_onesweep_iterationIS3_Lb1EPKmPmPS5_SB_mNS0_19identity_decomposerENS1_16block_id_wrapperIjLb1EEEEE10hipError_tT1_PNSt15iterator_traitsISG_E10value_typeET2_T3_PNSH_ISM_E10value_typeET4_T5_PSR_SS_PNS1_23onesweep_lookback_stateEbbT6_jjT7_P12ihipStream_tbENKUlT_T0_SG_SL_E_clIS9_SA_SB_SB_EEDaSZ_S10_SG_SL_EUlSZ_E_NS1_11comp_targetILNS1_3genE2ELNS1_11target_archE906ELNS1_3gpuE6ELNS1_3repE0EEENS1_47radix_sort_onesweep_sort_config_static_selectorELNS0_4arch9wavefront6targetE0EEEvSG_.has_dyn_sized_stack, 0
	.set _ZN7rocprim17ROCPRIM_400000_NS6detail17trampoline_kernelINS0_14default_configENS1_35radix_sort_onesweep_config_selectorImNS0_10empty_typeEEEZZNS1_29radix_sort_onesweep_iterationIS3_Lb1EPKmPmPS5_SB_mNS0_19identity_decomposerENS1_16block_id_wrapperIjLb1EEEEE10hipError_tT1_PNSt15iterator_traitsISG_E10value_typeET2_T3_PNSH_ISM_E10value_typeET4_T5_PSR_SS_PNS1_23onesweep_lookback_stateEbbT6_jjT7_P12ihipStream_tbENKUlT_T0_SG_SL_E_clIS9_SA_SB_SB_EEDaSZ_S10_SG_SL_EUlSZ_E_NS1_11comp_targetILNS1_3genE2ELNS1_11target_archE906ELNS1_3gpuE6ELNS1_3repE0EEENS1_47radix_sort_onesweep_sort_config_static_selectorELNS0_4arch9wavefront6targetE0EEEvSG_.has_recursion, 0
	.set _ZN7rocprim17ROCPRIM_400000_NS6detail17trampoline_kernelINS0_14default_configENS1_35radix_sort_onesweep_config_selectorImNS0_10empty_typeEEEZZNS1_29radix_sort_onesweep_iterationIS3_Lb1EPKmPmPS5_SB_mNS0_19identity_decomposerENS1_16block_id_wrapperIjLb1EEEEE10hipError_tT1_PNSt15iterator_traitsISG_E10value_typeET2_T3_PNSH_ISM_E10value_typeET4_T5_PSR_SS_PNS1_23onesweep_lookback_stateEbbT6_jjT7_P12ihipStream_tbENKUlT_T0_SG_SL_E_clIS9_SA_SB_SB_EEDaSZ_S10_SG_SL_EUlSZ_E_NS1_11comp_targetILNS1_3genE2ELNS1_11target_archE906ELNS1_3gpuE6ELNS1_3repE0EEENS1_47radix_sort_onesweep_sort_config_static_selectorELNS0_4arch9wavefront6targetE0EEEvSG_.has_indirect_call, 0
	.section	.AMDGPU.csdata,"",@progbits
; Kernel info:
; codeLenInByte = 0
; TotalNumSgprs: 0
; NumVgprs: 0
; ScratchSize: 0
; MemoryBound: 0
; FloatMode: 240
; IeeeMode: 1
; LDSByteSize: 0 bytes/workgroup (compile time only)
; SGPRBlocks: 0
; VGPRBlocks: 0
; NumSGPRsForWavesPerEU: 1
; NumVGPRsForWavesPerEU: 1
; NamedBarCnt: 0
; Occupancy: 16
; WaveLimiterHint : 0
; COMPUTE_PGM_RSRC2:SCRATCH_EN: 0
; COMPUTE_PGM_RSRC2:USER_SGPR: 2
; COMPUTE_PGM_RSRC2:TRAP_HANDLER: 0
; COMPUTE_PGM_RSRC2:TGID_X_EN: 1
; COMPUTE_PGM_RSRC2:TGID_Y_EN: 0
; COMPUTE_PGM_RSRC2:TGID_Z_EN: 0
; COMPUTE_PGM_RSRC2:TIDIG_COMP_CNT: 0
	.section	.text._ZN7rocprim17ROCPRIM_400000_NS6detail17trampoline_kernelINS0_14default_configENS1_35radix_sort_onesweep_config_selectorImNS0_10empty_typeEEEZZNS1_29radix_sort_onesweep_iterationIS3_Lb1EPKmPmPS5_SB_mNS0_19identity_decomposerENS1_16block_id_wrapperIjLb1EEEEE10hipError_tT1_PNSt15iterator_traitsISG_E10value_typeET2_T3_PNSH_ISM_E10value_typeET4_T5_PSR_SS_PNS1_23onesweep_lookback_stateEbbT6_jjT7_P12ihipStream_tbENKUlT_T0_SG_SL_E_clIS9_SA_SB_SB_EEDaSZ_S10_SG_SL_EUlSZ_E_NS1_11comp_targetILNS1_3genE4ELNS1_11target_archE910ELNS1_3gpuE8ELNS1_3repE0EEENS1_47radix_sort_onesweep_sort_config_static_selectorELNS0_4arch9wavefront6targetE0EEEvSG_,"axG",@progbits,_ZN7rocprim17ROCPRIM_400000_NS6detail17trampoline_kernelINS0_14default_configENS1_35radix_sort_onesweep_config_selectorImNS0_10empty_typeEEEZZNS1_29radix_sort_onesweep_iterationIS3_Lb1EPKmPmPS5_SB_mNS0_19identity_decomposerENS1_16block_id_wrapperIjLb1EEEEE10hipError_tT1_PNSt15iterator_traitsISG_E10value_typeET2_T3_PNSH_ISM_E10value_typeET4_T5_PSR_SS_PNS1_23onesweep_lookback_stateEbbT6_jjT7_P12ihipStream_tbENKUlT_T0_SG_SL_E_clIS9_SA_SB_SB_EEDaSZ_S10_SG_SL_EUlSZ_E_NS1_11comp_targetILNS1_3genE4ELNS1_11target_archE910ELNS1_3gpuE8ELNS1_3repE0EEENS1_47radix_sort_onesweep_sort_config_static_selectorELNS0_4arch9wavefront6targetE0EEEvSG_,comdat
	.protected	_ZN7rocprim17ROCPRIM_400000_NS6detail17trampoline_kernelINS0_14default_configENS1_35radix_sort_onesweep_config_selectorImNS0_10empty_typeEEEZZNS1_29radix_sort_onesweep_iterationIS3_Lb1EPKmPmPS5_SB_mNS0_19identity_decomposerENS1_16block_id_wrapperIjLb1EEEEE10hipError_tT1_PNSt15iterator_traitsISG_E10value_typeET2_T3_PNSH_ISM_E10value_typeET4_T5_PSR_SS_PNS1_23onesweep_lookback_stateEbbT6_jjT7_P12ihipStream_tbENKUlT_T0_SG_SL_E_clIS9_SA_SB_SB_EEDaSZ_S10_SG_SL_EUlSZ_E_NS1_11comp_targetILNS1_3genE4ELNS1_11target_archE910ELNS1_3gpuE8ELNS1_3repE0EEENS1_47radix_sort_onesweep_sort_config_static_selectorELNS0_4arch9wavefront6targetE0EEEvSG_ ; -- Begin function _ZN7rocprim17ROCPRIM_400000_NS6detail17trampoline_kernelINS0_14default_configENS1_35radix_sort_onesweep_config_selectorImNS0_10empty_typeEEEZZNS1_29radix_sort_onesweep_iterationIS3_Lb1EPKmPmPS5_SB_mNS0_19identity_decomposerENS1_16block_id_wrapperIjLb1EEEEE10hipError_tT1_PNSt15iterator_traitsISG_E10value_typeET2_T3_PNSH_ISM_E10value_typeET4_T5_PSR_SS_PNS1_23onesweep_lookback_stateEbbT6_jjT7_P12ihipStream_tbENKUlT_T0_SG_SL_E_clIS9_SA_SB_SB_EEDaSZ_S10_SG_SL_EUlSZ_E_NS1_11comp_targetILNS1_3genE4ELNS1_11target_archE910ELNS1_3gpuE8ELNS1_3repE0EEENS1_47radix_sort_onesweep_sort_config_static_selectorELNS0_4arch9wavefront6targetE0EEEvSG_
	.globl	_ZN7rocprim17ROCPRIM_400000_NS6detail17trampoline_kernelINS0_14default_configENS1_35radix_sort_onesweep_config_selectorImNS0_10empty_typeEEEZZNS1_29radix_sort_onesweep_iterationIS3_Lb1EPKmPmPS5_SB_mNS0_19identity_decomposerENS1_16block_id_wrapperIjLb1EEEEE10hipError_tT1_PNSt15iterator_traitsISG_E10value_typeET2_T3_PNSH_ISM_E10value_typeET4_T5_PSR_SS_PNS1_23onesweep_lookback_stateEbbT6_jjT7_P12ihipStream_tbENKUlT_T0_SG_SL_E_clIS9_SA_SB_SB_EEDaSZ_S10_SG_SL_EUlSZ_E_NS1_11comp_targetILNS1_3genE4ELNS1_11target_archE910ELNS1_3gpuE8ELNS1_3repE0EEENS1_47radix_sort_onesweep_sort_config_static_selectorELNS0_4arch9wavefront6targetE0EEEvSG_
	.p2align	8
	.type	_ZN7rocprim17ROCPRIM_400000_NS6detail17trampoline_kernelINS0_14default_configENS1_35radix_sort_onesweep_config_selectorImNS0_10empty_typeEEEZZNS1_29radix_sort_onesweep_iterationIS3_Lb1EPKmPmPS5_SB_mNS0_19identity_decomposerENS1_16block_id_wrapperIjLb1EEEEE10hipError_tT1_PNSt15iterator_traitsISG_E10value_typeET2_T3_PNSH_ISM_E10value_typeET4_T5_PSR_SS_PNS1_23onesweep_lookback_stateEbbT6_jjT7_P12ihipStream_tbENKUlT_T0_SG_SL_E_clIS9_SA_SB_SB_EEDaSZ_S10_SG_SL_EUlSZ_E_NS1_11comp_targetILNS1_3genE4ELNS1_11target_archE910ELNS1_3gpuE8ELNS1_3repE0EEENS1_47radix_sort_onesweep_sort_config_static_selectorELNS0_4arch9wavefront6targetE0EEEvSG_,@function
_ZN7rocprim17ROCPRIM_400000_NS6detail17trampoline_kernelINS0_14default_configENS1_35radix_sort_onesweep_config_selectorImNS0_10empty_typeEEEZZNS1_29radix_sort_onesweep_iterationIS3_Lb1EPKmPmPS5_SB_mNS0_19identity_decomposerENS1_16block_id_wrapperIjLb1EEEEE10hipError_tT1_PNSt15iterator_traitsISG_E10value_typeET2_T3_PNSH_ISM_E10value_typeET4_T5_PSR_SS_PNS1_23onesweep_lookback_stateEbbT6_jjT7_P12ihipStream_tbENKUlT_T0_SG_SL_E_clIS9_SA_SB_SB_EEDaSZ_S10_SG_SL_EUlSZ_E_NS1_11comp_targetILNS1_3genE4ELNS1_11target_archE910ELNS1_3gpuE8ELNS1_3repE0EEENS1_47radix_sort_onesweep_sort_config_static_selectorELNS0_4arch9wavefront6targetE0EEEvSG_: ; @_ZN7rocprim17ROCPRIM_400000_NS6detail17trampoline_kernelINS0_14default_configENS1_35radix_sort_onesweep_config_selectorImNS0_10empty_typeEEEZZNS1_29radix_sort_onesweep_iterationIS3_Lb1EPKmPmPS5_SB_mNS0_19identity_decomposerENS1_16block_id_wrapperIjLb1EEEEE10hipError_tT1_PNSt15iterator_traitsISG_E10value_typeET2_T3_PNSH_ISM_E10value_typeET4_T5_PSR_SS_PNS1_23onesweep_lookback_stateEbbT6_jjT7_P12ihipStream_tbENKUlT_T0_SG_SL_E_clIS9_SA_SB_SB_EEDaSZ_S10_SG_SL_EUlSZ_E_NS1_11comp_targetILNS1_3genE4ELNS1_11target_archE910ELNS1_3gpuE8ELNS1_3repE0EEENS1_47radix_sort_onesweep_sort_config_static_selectorELNS0_4arch9wavefront6targetE0EEEvSG_
; %bb.0:
	.section	.rodata,"a",@progbits
	.p2align	6, 0x0
	.amdhsa_kernel _ZN7rocprim17ROCPRIM_400000_NS6detail17trampoline_kernelINS0_14default_configENS1_35radix_sort_onesweep_config_selectorImNS0_10empty_typeEEEZZNS1_29radix_sort_onesweep_iterationIS3_Lb1EPKmPmPS5_SB_mNS0_19identity_decomposerENS1_16block_id_wrapperIjLb1EEEEE10hipError_tT1_PNSt15iterator_traitsISG_E10value_typeET2_T3_PNSH_ISM_E10value_typeET4_T5_PSR_SS_PNS1_23onesweep_lookback_stateEbbT6_jjT7_P12ihipStream_tbENKUlT_T0_SG_SL_E_clIS9_SA_SB_SB_EEDaSZ_S10_SG_SL_EUlSZ_E_NS1_11comp_targetILNS1_3genE4ELNS1_11target_archE910ELNS1_3gpuE8ELNS1_3repE0EEENS1_47radix_sort_onesweep_sort_config_static_selectorELNS0_4arch9wavefront6targetE0EEEvSG_
		.amdhsa_group_segment_fixed_size 0
		.amdhsa_private_segment_fixed_size 0
		.amdhsa_kernarg_size 88
		.amdhsa_user_sgpr_count 2
		.amdhsa_user_sgpr_dispatch_ptr 0
		.amdhsa_user_sgpr_queue_ptr 0
		.amdhsa_user_sgpr_kernarg_segment_ptr 1
		.amdhsa_user_sgpr_dispatch_id 0
		.amdhsa_user_sgpr_kernarg_preload_length 0
		.amdhsa_user_sgpr_kernarg_preload_offset 0
		.amdhsa_user_sgpr_private_segment_size 0
		.amdhsa_wavefront_size32 1
		.amdhsa_uses_dynamic_stack 0
		.amdhsa_enable_private_segment 0
		.amdhsa_system_sgpr_workgroup_id_x 1
		.amdhsa_system_sgpr_workgroup_id_y 0
		.amdhsa_system_sgpr_workgroup_id_z 0
		.amdhsa_system_sgpr_workgroup_info 0
		.amdhsa_system_vgpr_workitem_id 0
		.amdhsa_next_free_vgpr 1
		.amdhsa_next_free_sgpr 1
		.amdhsa_named_barrier_count 0
		.amdhsa_reserve_vcc 0
		.amdhsa_float_round_mode_32 0
		.amdhsa_float_round_mode_16_64 0
		.amdhsa_float_denorm_mode_32 3
		.amdhsa_float_denorm_mode_16_64 3
		.amdhsa_fp16_overflow 0
		.amdhsa_memory_ordered 1
		.amdhsa_forward_progress 1
		.amdhsa_inst_pref_size 0
		.amdhsa_round_robin_scheduling 0
		.amdhsa_exception_fp_ieee_invalid_op 0
		.amdhsa_exception_fp_denorm_src 0
		.amdhsa_exception_fp_ieee_div_zero 0
		.amdhsa_exception_fp_ieee_overflow 0
		.amdhsa_exception_fp_ieee_underflow 0
		.amdhsa_exception_fp_ieee_inexact 0
		.amdhsa_exception_int_div_zero 0
	.end_amdhsa_kernel
	.section	.text._ZN7rocprim17ROCPRIM_400000_NS6detail17trampoline_kernelINS0_14default_configENS1_35radix_sort_onesweep_config_selectorImNS0_10empty_typeEEEZZNS1_29radix_sort_onesweep_iterationIS3_Lb1EPKmPmPS5_SB_mNS0_19identity_decomposerENS1_16block_id_wrapperIjLb1EEEEE10hipError_tT1_PNSt15iterator_traitsISG_E10value_typeET2_T3_PNSH_ISM_E10value_typeET4_T5_PSR_SS_PNS1_23onesweep_lookback_stateEbbT6_jjT7_P12ihipStream_tbENKUlT_T0_SG_SL_E_clIS9_SA_SB_SB_EEDaSZ_S10_SG_SL_EUlSZ_E_NS1_11comp_targetILNS1_3genE4ELNS1_11target_archE910ELNS1_3gpuE8ELNS1_3repE0EEENS1_47radix_sort_onesweep_sort_config_static_selectorELNS0_4arch9wavefront6targetE0EEEvSG_,"axG",@progbits,_ZN7rocprim17ROCPRIM_400000_NS6detail17trampoline_kernelINS0_14default_configENS1_35radix_sort_onesweep_config_selectorImNS0_10empty_typeEEEZZNS1_29radix_sort_onesweep_iterationIS3_Lb1EPKmPmPS5_SB_mNS0_19identity_decomposerENS1_16block_id_wrapperIjLb1EEEEE10hipError_tT1_PNSt15iterator_traitsISG_E10value_typeET2_T3_PNSH_ISM_E10value_typeET4_T5_PSR_SS_PNS1_23onesweep_lookback_stateEbbT6_jjT7_P12ihipStream_tbENKUlT_T0_SG_SL_E_clIS9_SA_SB_SB_EEDaSZ_S10_SG_SL_EUlSZ_E_NS1_11comp_targetILNS1_3genE4ELNS1_11target_archE910ELNS1_3gpuE8ELNS1_3repE0EEENS1_47radix_sort_onesweep_sort_config_static_selectorELNS0_4arch9wavefront6targetE0EEEvSG_,comdat
.Lfunc_end2884:
	.size	_ZN7rocprim17ROCPRIM_400000_NS6detail17trampoline_kernelINS0_14default_configENS1_35radix_sort_onesweep_config_selectorImNS0_10empty_typeEEEZZNS1_29radix_sort_onesweep_iterationIS3_Lb1EPKmPmPS5_SB_mNS0_19identity_decomposerENS1_16block_id_wrapperIjLb1EEEEE10hipError_tT1_PNSt15iterator_traitsISG_E10value_typeET2_T3_PNSH_ISM_E10value_typeET4_T5_PSR_SS_PNS1_23onesweep_lookback_stateEbbT6_jjT7_P12ihipStream_tbENKUlT_T0_SG_SL_E_clIS9_SA_SB_SB_EEDaSZ_S10_SG_SL_EUlSZ_E_NS1_11comp_targetILNS1_3genE4ELNS1_11target_archE910ELNS1_3gpuE8ELNS1_3repE0EEENS1_47radix_sort_onesweep_sort_config_static_selectorELNS0_4arch9wavefront6targetE0EEEvSG_, .Lfunc_end2884-_ZN7rocprim17ROCPRIM_400000_NS6detail17trampoline_kernelINS0_14default_configENS1_35radix_sort_onesweep_config_selectorImNS0_10empty_typeEEEZZNS1_29radix_sort_onesweep_iterationIS3_Lb1EPKmPmPS5_SB_mNS0_19identity_decomposerENS1_16block_id_wrapperIjLb1EEEEE10hipError_tT1_PNSt15iterator_traitsISG_E10value_typeET2_T3_PNSH_ISM_E10value_typeET4_T5_PSR_SS_PNS1_23onesweep_lookback_stateEbbT6_jjT7_P12ihipStream_tbENKUlT_T0_SG_SL_E_clIS9_SA_SB_SB_EEDaSZ_S10_SG_SL_EUlSZ_E_NS1_11comp_targetILNS1_3genE4ELNS1_11target_archE910ELNS1_3gpuE8ELNS1_3repE0EEENS1_47radix_sort_onesweep_sort_config_static_selectorELNS0_4arch9wavefront6targetE0EEEvSG_
                                        ; -- End function
	.set _ZN7rocprim17ROCPRIM_400000_NS6detail17trampoline_kernelINS0_14default_configENS1_35radix_sort_onesweep_config_selectorImNS0_10empty_typeEEEZZNS1_29radix_sort_onesweep_iterationIS3_Lb1EPKmPmPS5_SB_mNS0_19identity_decomposerENS1_16block_id_wrapperIjLb1EEEEE10hipError_tT1_PNSt15iterator_traitsISG_E10value_typeET2_T3_PNSH_ISM_E10value_typeET4_T5_PSR_SS_PNS1_23onesweep_lookback_stateEbbT6_jjT7_P12ihipStream_tbENKUlT_T0_SG_SL_E_clIS9_SA_SB_SB_EEDaSZ_S10_SG_SL_EUlSZ_E_NS1_11comp_targetILNS1_3genE4ELNS1_11target_archE910ELNS1_3gpuE8ELNS1_3repE0EEENS1_47radix_sort_onesweep_sort_config_static_selectorELNS0_4arch9wavefront6targetE0EEEvSG_.num_vgpr, 0
	.set _ZN7rocprim17ROCPRIM_400000_NS6detail17trampoline_kernelINS0_14default_configENS1_35radix_sort_onesweep_config_selectorImNS0_10empty_typeEEEZZNS1_29radix_sort_onesweep_iterationIS3_Lb1EPKmPmPS5_SB_mNS0_19identity_decomposerENS1_16block_id_wrapperIjLb1EEEEE10hipError_tT1_PNSt15iterator_traitsISG_E10value_typeET2_T3_PNSH_ISM_E10value_typeET4_T5_PSR_SS_PNS1_23onesweep_lookback_stateEbbT6_jjT7_P12ihipStream_tbENKUlT_T0_SG_SL_E_clIS9_SA_SB_SB_EEDaSZ_S10_SG_SL_EUlSZ_E_NS1_11comp_targetILNS1_3genE4ELNS1_11target_archE910ELNS1_3gpuE8ELNS1_3repE0EEENS1_47radix_sort_onesweep_sort_config_static_selectorELNS0_4arch9wavefront6targetE0EEEvSG_.num_agpr, 0
	.set _ZN7rocprim17ROCPRIM_400000_NS6detail17trampoline_kernelINS0_14default_configENS1_35radix_sort_onesweep_config_selectorImNS0_10empty_typeEEEZZNS1_29radix_sort_onesweep_iterationIS3_Lb1EPKmPmPS5_SB_mNS0_19identity_decomposerENS1_16block_id_wrapperIjLb1EEEEE10hipError_tT1_PNSt15iterator_traitsISG_E10value_typeET2_T3_PNSH_ISM_E10value_typeET4_T5_PSR_SS_PNS1_23onesweep_lookback_stateEbbT6_jjT7_P12ihipStream_tbENKUlT_T0_SG_SL_E_clIS9_SA_SB_SB_EEDaSZ_S10_SG_SL_EUlSZ_E_NS1_11comp_targetILNS1_3genE4ELNS1_11target_archE910ELNS1_3gpuE8ELNS1_3repE0EEENS1_47radix_sort_onesweep_sort_config_static_selectorELNS0_4arch9wavefront6targetE0EEEvSG_.numbered_sgpr, 0
	.set _ZN7rocprim17ROCPRIM_400000_NS6detail17trampoline_kernelINS0_14default_configENS1_35radix_sort_onesweep_config_selectorImNS0_10empty_typeEEEZZNS1_29radix_sort_onesweep_iterationIS3_Lb1EPKmPmPS5_SB_mNS0_19identity_decomposerENS1_16block_id_wrapperIjLb1EEEEE10hipError_tT1_PNSt15iterator_traitsISG_E10value_typeET2_T3_PNSH_ISM_E10value_typeET4_T5_PSR_SS_PNS1_23onesweep_lookback_stateEbbT6_jjT7_P12ihipStream_tbENKUlT_T0_SG_SL_E_clIS9_SA_SB_SB_EEDaSZ_S10_SG_SL_EUlSZ_E_NS1_11comp_targetILNS1_3genE4ELNS1_11target_archE910ELNS1_3gpuE8ELNS1_3repE0EEENS1_47radix_sort_onesweep_sort_config_static_selectorELNS0_4arch9wavefront6targetE0EEEvSG_.num_named_barrier, 0
	.set _ZN7rocprim17ROCPRIM_400000_NS6detail17trampoline_kernelINS0_14default_configENS1_35radix_sort_onesweep_config_selectorImNS0_10empty_typeEEEZZNS1_29radix_sort_onesweep_iterationIS3_Lb1EPKmPmPS5_SB_mNS0_19identity_decomposerENS1_16block_id_wrapperIjLb1EEEEE10hipError_tT1_PNSt15iterator_traitsISG_E10value_typeET2_T3_PNSH_ISM_E10value_typeET4_T5_PSR_SS_PNS1_23onesweep_lookback_stateEbbT6_jjT7_P12ihipStream_tbENKUlT_T0_SG_SL_E_clIS9_SA_SB_SB_EEDaSZ_S10_SG_SL_EUlSZ_E_NS1_11comp_targetILNS1_3genE4ELNS1_11target_archE910ELNS1_3gpuE8ELNS1_3repE0EEENS1_47radix_sort_onesweep_sort_config_static_selectorELNS0_4arch9wavefront6targetE0EEEvSG_.private_seg_size, 0
	.set _ZN7rocprim17ROCPRIM_400000_NS6detail17trampoline_kernelINS0_14default_configENS1_35radix_sort_onesweep_config_selectorImNS0_10empty_typeEEEZZNS1_29radix_sort_onesweep_iterationIS3_Lb1EPKmPmPS5_SB_mNS0_19identity_decomposerENS1_16block_id_wrapperIjLb1EEEEE10hipError_tT1_PNSt15iterator_traitsISG_E10value_typeET2_T3_PNSH_ISM_E10value_typeET4_T5_PSR_SS_PNS1_23onesweep_lookback_stateEbbT6_jjT7_P12ihipStream_tbENKUlT_T0_SG_SL_E_clIS9_SA_SB_SB_EEDaSZ_S10_SG_SL_EUlSZ_E_NS1_11comp_targetILNS1_3genE4ELNS1_11target_archE910ELNS1_3gpuE8ELNS1_3repE0EEENS1_47radix_sort_onesweep_sort_config_static_selectorELNS0_4arch9wavefront6targetE0EEEvSG_.uses_vcc, 0
	.set _ZN7rocprim17ROCPRIM_400000_NS6detail17trampoline_kernelINS0_14default_configENS1_35radix_sort_onesweep_config_selectorImNS0_10empty_typeEEEZZNS1_29radix_sort_onesweep_iterationIS3_Lb1EPKmPmPS5_SB_mNS0_19identity_decomposerENS1_16block_id_wrapperIjLb1EEEEE10hipError_tT1_PNSt15iterator_traitsISG_E10value_typeET2_T3_PNSH_ISM_E10value_typeET4_T5_PSR_SS_PNS1_23onesweep_lookback_stateEbbT6_jjT7_P12ihipStream_tbENKUlT_T0_SG_SL_E_clIS9_SA_SB_SB_EEDaSZ_S10_SG_SL_EUlSZ_E_NS1_11comp_targetILNS1_3genE4ELNS1_11target_archE910ELNS1_3gpuE8ELNS1_3repE0EEENS1_47radix_sort_onesweep_sort_config_static_selectorELNS0_4arch9wavefront6targetE0EEEvSG_.uses_flat_scratch, 0
	.set _ZN7rocprim17ROCPRIM_400000_NS6detail17trampoline_kernelINS0_14default_configENS1_35radix_sort_onesweep_config_selectorImNS0_10empty_typeEEEZZNS1_29radix_sort_onesweep_iterationIS3_Lb1EPKmPmPS5_SB_mNS0_19identity_decomposerENS1_16block_id_wrapperIjLb1EEEEE10hipError_tT1_PNSt15iterator_traitsISG_E10value_typeET2_T3_PNSH_ISM_E10value_typeET4_T5_PSR_SS_PNS1_23onesweep_lookback_stateEbbT6_jjT7_P12ihipStream_tbENKUlT_T0_SG_SL_E_clIS9_SA_SB_SB_EEDaSZ_S10_SG_SL_EUlSZ_E_NS1_11comp_targetILNS1_3genE4ELNS1_11target_archE910ELNS1_3gpuE8ELNS1_3repE0EEENS1_47radix_sort_onesweep_sort_config_static_selectorELNS0_4arch9wavefront6targetE0EEEvSG_.has_dyn_sized_stack, 0
	.set _ZN7rocprim17ROCPRIM_400000_NS6detail17trampoline_kernelINS0_14default_configENS1_35radix_sort_onesweep_config_selectorImNS0_10empty_typeEEEZZNS1_29radix_sort_onesweep_iterationIS3_Lb1EPKmPmPS5_SB_mNS0_19identity_decomposerENS1_16block_id_wrapperIjLb1EEEEE10hipError_tT1_PNSt15iterator_traitsISG_E10value_typeET2_T3_PNSH_ISM_E10value_typeET4_T5_PSR_SS_PNS1_23onesweep_lookback_stateEbbT6_jjT7_P12ihipStream_tbENKUlT_T0_SG_SL_E_clIS9_SA_SB_SB_EEDaSZ_S10_SG_SL_EUlSZ_E_NS1_11comp_targetILNS1_3genE4ELNS1_11target_archE910ELNS1_3gpuE8ELNS1_3repE0EEENS1_47radix_sort_onesweep_sort_config_static_selectorELNS0_4arch9wavefront6targetE0EEEvSG_.has_recursion, 0
	.set _ZN7rocprim17ROCPRIM_400000_NS6detail17trampoline_kernelINS0_14default_configENS1_35radix_sort_onesweep_config_selectorImNS0_10empty_typeEEEZZNS1_29radix_sort_onesweep_iterationIS3_Lb1EPKmPmPS5_SB_mNS0_19identity_decomposerENS1_16block_id_wrapperIjLb1EEEEE10hipError_tT1_PNSt15iterator_traitsISG_E10value_typeET2_T3_PNSH_ISM_E10value_typeET4_T5_PSR_SS_PNS1_23onesweep_lookback_stateEbbT6_jjT7_P12ihipStream_tbENKUlT_T0_SG_SL_E_clIS9_SA_SB_SB_EEDaSZ_S10_SG_SL_EUlSZ_E_NS1_11comp_targetILNS1_3genE4ELNS1_11target_archE910ELNS1_3gpuE8ELNS1_3repE0EEENS1_47radix_sort_onesweep_sort_config_static_selectorELNS0_4arch9wavefront6targetE0EEEvSG_.has_indirect_call, 0
	.section	.AMDGPU.csdata,"",@progbits
; Kernel info:
; codeLenInByte = 0
; TotalNumSgprs: 0
; NumVgprs: 0
; ScratchSize: 0
; MemoryBound: 0
; FloatMode: 240
; IeeeMode: 1
; LDSByteSize: 0 bytes/workgroup (compile time only)
; SGPRBlocks: 0
; VGPRBlocks: 0
; NumSGPRsForWavesPerEU: 1
; NumVGPRsForWavesPerEU: 1
; NamedBarCnt: 0
; Occupancy: 16
; WaveLimiterHint : 0
; COMPUTE_PGM_RSRC2:SCRATCH_EN: 0
; COMPUTE_PGM_RSRC2:USER_SGPR: 2
; COMPUTE_PGM_RSRC2:TRAP_HANDLER: 0
; COMPUTE_PGM_RSRC2:TGID_X_EN: 1
; COMPUTE_PGM_RSRC2:TGID_Y_EN: 0
; COMPUTE_PGM_RSRC2:TGID_Z_EN: 0
; COMPUTE_PGM_RSRC2:TIDIG_COMP_CNT: 0
	.section	.text._ZN7rocprim17ROCPRIM_400000_NS6detail17trampoline_kernelINS0_14default_configENS1_35radix_sort_onesweep_config_selectorImNS0_10empty_typeEEEZZNS1_29radix_sort_onesweep_iterationIS3_Lb1EPKmPmPS5_SB_mNS0_19identity_decomposerENS1_16block_id_wrapperIjLb1EEEEE10hipError_tT1_PNSt15iterator_traitsISG_E10value_typeET2_T3_PNSH_ISM_E10value_typeET4_T5_PSR_SS_PNS1_23onesweep_lookback_stateEbbT6_jjT7_P12ihipStream_tbENKUlT_T0_SG_SL_E_clIS9_SA_SB_SB_EEDaSZ_S10_SG_SL_EUlSZ_E_NS1_11comp_targetILNS1_3genE3ELNS1_11target_archE908ELNS1_3gpuE7ELNS1_3repE0EEENS1_47radix_sort_onesweep_sort_config_static_selectorELNS0_4arch9wavefront6targetE0EEEvSG_,"axG",@progbits,_ZN7rocprim17ROCPRIM_400000_NS6detail17trampoline_kernelINS0_14default_configENS1_35radix_sort_onesweep_config_selectorImNS0_10empty_typeEEEZZNS1_29radix_sort_onesweep_iterationIS3_Lb1EPKmPmPS5_SB_mNS0_19identity_decomposerENS1_16block_id_wrapperIjLb1EEEEE10hipError_tT1_PNSt15iterator_traitsISG_E10value_typeET2_T3_PNSH_ISM_E10value_typeET4_T5_PSR_SS_PNS1_23onesweep_lookback_stateEbbT6_jjT7_P12ihipStream_tbENKUlT_T0_SG_SL_E_clIS9_SA_SB_SB_EEDaSZ_S10_SG_SL_EUlSZ_E_NS1_11comp_targetILNS1_3genE3ELNS1_11target_archE908ELNS1_3gpuE7ELNS1_3repE0EEENS1_47radix_sort_onesweep_sort_config_static_selectorELNS0_4arch9wavefront6targetE0EEEvSG_,comdat
	.protected	_ZN7rocprim17ROCPRIM_400000_NS6detail17trampoline_kernelINS0_14default_configENS1_35radix_sort_onesweep_config_selectorImNS0_10empty_typeEEEZZNS1_29radix_sort_onesweep_iterationIS3_Lb1EPKmPmPS5_SB_mNS0_19identity_decomposerENS1_16block_id_wrapperIjLb1EEEEE10hipError_tT1_PNSt15iterator_traitsISG_E10value_typeET2_T3_PNSH_ISM_E10value_typeET4_T5_PSR_SS_PNS1_23onesweep_lookback_stateEbbT6_jjT7_P12ihipStream_tbENKUlT_T0_SG_SL_E_clIS9_SA_SB_SB_EEDaSZ_S10_SG_SL_EUlSZ_E_NS1_11comp_targetILNS1_3genE3ELNS1_11target_archE908ELNS1_3gpuE7ELNS1_3repE0EEENS1_47radix_sort_onesweep_sort_config_static_selectorELNS0_4arch9wavefront6targetE0EEEvSG_ ; -- Begin function _ZN7rocprim17ROCPRIM_400000_NS6detail17trampoline_kernelINS0_14default_configENS1_35radix_sort_onesweep_config_selectorImNS0_10empty_typeEEEZZNS1_29radix_sort_onesweep_iterationIS3_Lb1EPKmPmPS5_SB_mNS0_19identity_decomposerENS1_16block_id_wrapperIjLb1EEEEE10hipError_tT1_PNSt15iterator_traitsISG_E10value_typeET2_T3_PNSH_ISM_E10value_typeET4_T5_PSR_SS_PNS1_23onesweep_lookback_stateEbbT6_jjT7_P12ihipStream_tbENKUlT_T0_SG_SL_E_clIS9_SA_SB_SB_EEDaSZ_S10_SG_SL_EUlSZ_E_NS1_11comp_targetILNS1_3genE3ELNS1_11target_archE908ELNS1_3gpuE7ELNS1_3repE0EEENS1_47radix_sort_onesweep_sort_config_static_selectorELNS0_4arch9wavefront6targetE0EEEvSG_
	.globl	_ZN7rocprim17ROCPRIM_400000_NS6detail17trampoline_kernelINS0_14default_configENS1_35radix_sort_onesweep_config_selectorImNS0_10empty_typeEEEZZNS1_29radix_sort_onesweep_iterationIS3_Lb1EPKmPmPS5_SB_mNS0_19identity_decomposerENS1_16block_id_wrapperIjLb1EEEEE10hipError_tT1_PNSt15iterator_traitsISG_E10value_typeET2_T3_PNSH_ISM_E10value_typeET4_T5_PSR_SS_PNS1_23onesweep_lookback_stateEbbT6_jjT7_P12ihipStream_tbENKUlT_T0_SG_SL_E_clIS9_SA_SB_SB_EEDaSZ_S10_SG_SL_EUlSZ_E_NS1_11comp_targetILNS1_3genE3ELNS1_11target_archE908ELNS1_3gpuE7ELNS1_3repE0EEENS1_47radix_sort_onesweep_sort_config_static_selectorELNS0_4arch9wavefront6targetE0EEEvSG_
	.p2align	8
	.type	_ZN7rocprim17ROCPRIM_400000_NS6detail17trampoline_kernelINS0_14default_configENS1_35radix_sort_onesweep_config_selectorImNS0_10empty_typeEEEZZNS1_29radix_sort_onesweep_iterationIS3_Lb1EPKmPmPS5_SB_mNS0_19identity_decomposerENS1_16block_id_wrapperIjLb1EEEEE10hipError_tT1_PNSt15iterator_traitsISG_E10value_typeET2_T3_PNSH_ISM_E10value_typeET4_T5_PSR_SS_PNS1_23onesweep_lookback_stateEbbT6_jjT7_P12ihipStream_tbENKUlT_T0_SG_SL_E_clIS9_SA_SB_SB_EEDaSZ_S10_SG_SL_EUlSZ_E_NS1_11comp_targetILNS1_3genE3ELNS1_11target_archE908ELNS1_3gpuE7ELNS1_3repE0EEENS1_47radix_sort_onesweep_sort_config_static_selectorELNS0_4arch9wavefront6targetE0EEEvSG_,@function
_ZN7rocprim17ROCPRIM_400000_NS6detail17trampoline_kernelINS0_14default_configENS1_35radix_sort_onesweep_config_selectorImNS0_10empty_typeEEEZZNS1_29radix_sort_onesweep_iterationIS3_Lb1EPKmPmPS5_SB_mNS0_19identity_decomposerENS1_16block_id_wrapperIjLb1EEEEE10hipError_tT1_PNSt15iterator_traitsISG_E10value_typeET2_T3_PNSH_ISM_E10value_typeET4_T5_PSR_SS_PNS1_23onesweep_lookback_stateEbbT6_jjT7_P12ihipStream_tbENKUlT_T0_SG_SL_E_clIS9_SA_SB_SB_EEDaSZ_S10_SG_SL_EUlSZ_E_NS1_11comp_targetILNS1_3genE3ELNS1_11target_archE908ELNS1_3gpuE7ELNS1_3repE0EEENS1_47radix_sort_onesweep_sort_config_static_selectorELNS0_4arch9wavefront6targetE0EEEvSG_: ; @_ZN7rocprim17ROCPRIM_400000_NS6detail17trampoline_kernelINS0_14default_configENS1_35radix_sort_onesweep_config_selectorImNS0_10empty_typeEEEZZNS1_29radix_sort_onesweep_iterationIS3_Lb1EPKmPmPS5_SB_mNS0_19identity_decomposerENS1_16block_id_wrapperIjLb1EEEEE10hipError_tT1_PNSt15iterator_traitsISG_E10value_typeET2_T3_PNSH_ISM_E10value_typeET4_T5_PSR_SS_PNS1_23onesweep_lookback_stateEbbT6_jjT7_P12ihipStream_tbENKUlT_T0_SG_SL_E_clIS9_SA_SB_SB_EEDaSZ_S10_SG_SL_EUlSZ_E_NS1_11comp_targetILNS1_3genE3ELNS1_11target_archE908ELNS1_3gpuE7ELNS1_3repE0EEENS1_47radix_sort_onesweep_sort_config_static_selectorELNS0_4arch9wavefront6targetE0EEEvSG_
; %bb.0:
	.section	.rodata,"a",@progbits
	.p2align	6, 0x0
	.amdhsa_kernel _ZN7rocprim17ROCPRIM_400000_NS6detail17trampoline_kernelINS0_14default_configENS1_35radix_sort_onesweep_config_selectorImNS0_10empty_typeEEEZZNS1_29radix_sort_onesweep_iterationIS3_Lb1EPKmPmPS5_SB_mNS0_19identity_decomposerENS1_16block_id_wrapperIjLb1EEEEE10hipError_tT1_PNSt15iterator_traitsISG_E10value_typeET2_T3_PNSH_ISM_E10value_typeET4_T5_PSR_SS_PNS1_23onesweep_lookback_stateEbbT6_jjT7_P12ihipStream_tbENKUlT_T0_SG_SL_E_clIS9_SA_SB_SB_EEDaSZ_S10_SG_SL_EUlSZ_E_NS1_11comp_targetILNS1_3genE3ELNS1_11target_archE908ELNS1_3gpuE7ELNS1_3repE0EEENS1_47radix_sort_onesweep_sort_config_static_selectorELNS0_4arch9wavefront6targetE0EEEvSG_
		.amdhsa_group_segment_fixed_size 0
		.amdhsa_private_segment_fixed_size 0
		.amdhsa_kernarg_size 88
		.amdhsa_user_sgpr_count 2
		.amdhsa_user_sgpr_dispatch_ptr 0
		.amdhsa_user_sgpr_queue_ptr 0
		.amdhsa_user_sgpr_kernarg_segment_ptr 1
		.amdhsa_user_sgpr_dispatch_id 0
		.amdhsa_user_sgpr_kernarg_preload_length 0
		.amdhsa_user_sgpr_kernarg_preload_offset 0
		.amdhsa_user_sgpr_private_segment_size 0
		.amdhsa_wavefront_size32 1
		.amdhsa_uses_dynamic_stack 0
		.amdhsa_enable_private_segment 0
		.amdhsa_system_sgpr_workgroup_id_x 1
		.amdhsa_system_sgpr_workgroup_id_y 0
		.amdhsa_system_sgpr_workgroup_id_z 0
		.amdhsa_system_sgpr_workgroup_info 0
		.amdhsa_system_vgpr_workitem_id 0
		.amdhsa_next_free_vgpr 1
		.amdhsa_next_free_sgpr 1
		.amdhsa_named_barrier_count 0
		.amdhsa_reserve_vcc 0
		.amdhsa_float_round_mode_32 0
		.amdhsa_float_round_mode_16_64 0
		.amdhsa_float_denorm_mode_32 3
		.amdhsa_float_denorm_mode_16_64 3
		.amdhsa_fp16_overflow 0
		.amdhsa_memory_ordered 1
		.amdhsa_forward_progress 1
		.amdhsa_inst_pref_size 0
		.amdhsa_round_robin_scheduling 0
		.amdhsa_exception_fp_ieee_invalid_op 0
		.amdhsa_exception_fp_denorm_src 0
		.amdhsa_exception_fp_ieee_div_zero 0
		.amdhsa_exception_fp_ieee_overflow 0
		.amdhsa_exception_fp_ieee_underflow 0
		.amdhsa_exception_fp_ieee_inexact 0
		.amdhsa_exception_int_div_zero 0
	.end_amdhsa_kernel
	.section	.text._ZN7rocprim17ROCPRIM_400000_NS6detail17trampoline_kernelINS0_14default_configENS1_35radix_sort_onesweep_config_selectorImNS0_10empty_typeEEEZZNS1_29radix_sort_onesweep_iterationIS3_Lb1EPKmPmPS5_SB_mNS0_19identity_decomposerENS1_16block_id_wrapperIjLb1EEEEE10hipError_tT1_PNSt15iterator_traitsISG_E10value_typeET2_T3_PNSH_ISM_E10value_typeET4_T5_PSR_SS_PNS1_23onesweep_lookback_stateEbbT6_jjT7_P12ihipStream_tbENKUlT_T0_SG_SL_E_clIS9_SA_SB_SB_EEDaSZ_S10_SG_SL_EUlSZ_E_NS1_11comp_targetILNS1_3genE3ELNS1_11target_archE908ELNS1_3gpuE7ELNS1_3repE0EEENS1_47radix_sort_onesweep_sort_config_static_selectorELNS0_4arch9wavefront6targetE0EEEvSG_,"axG",@progbits,_ZN7rocprim17ROCPRIM_400000_NS6detail17trampoline_kernelINS0_14default_configENS1_35radix_sort_onesweep_config_selectorImNS0_10empty_typeEEEZZNS1_29radix_sort_onesweep_iterationIS3_Lb1EPKmPmPS5_SB_mNS0_19identity_decomposerENS1_16block_id_wrapperIjLb1EEEEE10hipError_tT1_PNSt15iterator_traitsISG_E10value_typeET2_T3_PNSH_ISM_E10value_typeET4_T5_PSR_SS_PNS1_23onesweep_lookback_stateEbbT6_jjT7_P12ihipStream_tbENKUlT_T0_SG_SL_E_clIS9_SA_SB_SB_EEDaSZ_S10_SG_SL_EUlSZ_E_NS1_11comp_targetILNS1_3genE3ELNS1_11target_archE908ELNS1_3gpuE7ELNS1_3repE0EEENS1_47radix_sort_onesweep_sort_config_static_selectorELNS0_4arch9wavefront6targetE0EEEvSG_,comdat
.Lfunc_end2885:
	.size	_ZN7rocprim17ROCPRIM_400000_NS6detail17trampoline_kernelINS0_14default_configENS1_35radix_sort_onesweep_config_selectorImNS0_10empty_typeEEEZZNS1_29radix_sort_onesweep_iterationIS3_Lb1EPKmPmPS5_SB_mNS0_19identity_decomposerENS1_16block_id_wrapperIjLb1EEEEE10hipError_tT1_PNSt15iterator_traitsISG_E10value_typeET2_T3_PNSH_ISM_E10value_typeET4_T5_PSR_SS_PNS1_23onesweep_lookback_stateEbbT6_jjT7_P12ihipStream_tbENKUlT_T0_SG_SL_E_clIS9_SA_SB_SB_EEDaSZ_S10_SG_SL_EUlSZ_E_NS1_11comp_targetILNS1_3genE3ELNS1_11target_archE908ELNS1_3gpuE7ELNS1_3repE0EEENS1_47radix_sort_onesweep_sort_config_static_selectorELNS0_4arch9wavefront6targetE0EEEvSG_, .Lfunc_end2885-_ZN7rocprim17ROCPRIM_400000_NS6detail17trampoline_kernelINS0_14default_configENS1_35radix_sort_onesweep_config_selectorImNS0_10empty_typeEEEZZNS1_29radix_sort_onesweep_iterationIS3_Lb1EPKmPmPS5_SB_mNS0_19identity_decomposerENS1_16block_id_wrapperIjLb1EEEEE10hipError_tT1_PNSt15iterator_traitsISG_E10value_typeET2_T3_PNSH_ISM_E10value_typeET4_T5_PSR_SS_PNS1_23onesweep_lookback_stateEbbT6_jjT7_P12ihipStream_tbENKUlT_T0_SG_SL_E_clIS9_SA_SB_SB_EEDaSZ_S10_SG_SL_EUlSZ_E_NS1_11comp_targetILNS1_3genE3ELNS1_11target_archE908ELNS1_3gpuE7ELNS1_3repE0EEENS1_47radix_sort_onesweep_sort_config_static_selectorELNS0_4arch9wavefront6targetE0EEEvSG_
                                        ; -- End function
	.set _ZN7rocprim17ROCPRIM_400000_NS6detail17trampoline_kernelINS0_14default_configENS1_35radix_sort_onesweep_config_selectorImNS0_10empty_typeEEEZZNS1_29radix_sort_onesweep_iterationIS3_Lb1EPKmPmPS5_SB_mNS0_19identity_decomposerENS1_16block_id_wrapperIjLb1EEEEE10hipError_tT1_PNSt15iterator_traitsISG_E10value_typeET2_T3_PNSH_ISM_E10value_typeET4_T5_PSR_SS_PNS1_23onesweep_lookback_stateEbbT6_jjT7_P12ihipStream_tbENKUlT_T0_SG_SL_E_clIS9_SA_SB_SB_EEDaSZ_S10_SG_SL_EUlSZ_E_NS1_11comp_targetILNS1_3genE3ELNS1_11target_archE908ELNS1_3gpuE7ELNS1_3repE0EEENS1_47radix_sort_onesweep_sort_config_static_selectorELNS0_4arch9wavefront6targetE0EEEvSG_.num_vgpr, 0
	.set _ZN7rocprim17ROCPRIM_400000_NS6detail17trampoline_kernelINS0_14default_configENS1_35radix_sort_onesweep_config_selectorImNS0_10empty_typeEEEZZNS1_29radix_sort_onesweep_iterationIS3_Lb1EPKmPmPS5_SB_mNS0_19identity_decomposerENS1_16block_id_wrapperIjLb1EEEEE10hipError_tT1_PNSt15iterator_traitsISG_E10value_typeET2_T3_PNSH_ISM_E10value_typeET4_T5_PSR_SS_PNS1_23onesweep_lookback_stateEbbT6_jjT7_P12ihipStream_tbENKUlT_T0_SG_SL_E_clIS9_SA_SB_SB_EEDaSZ_S10_SG_SL_EUlSZ_E_NS1_11comp_targetILNS1_3genE3ELNS1_11target_archE908ELNS1_3gpuE7ELNS1_3repE0EEENS1_47radix_sort_onesweep_sort_config_static_selectorELNS0_4arch9wavefront6targetE0EEEvSG_.num_agpr, 0
	.set _ZN7rocprim17ROCPRIM_400000_NS6detail17trampoline_kernelINS0_14default_configENS1_35radix_sort_onesweep_config_selectorImNS0_10empty_typeEEEZZNS1_29radix_sort_onesweep_iterationIS3_Lb1EPKmPmPS5_SB_mNS0_19identity_decomposerENS1_16block_id_wrapperIjLb1EEEEE10hipError_tT1_PNSt15iterator_traitsISG_E10value_typeET2_T3_PNSH_ISM_E10value_typeET4_T5_PSR_SS_PNS1_23onesweep_lookback_stateEbbT6_jjT7_P12ihipStream_tbENKUlT_T0_SG_SL_E_clIS9_SA_SB_SB_EEDaSZ_S10_SG_SL_EUlSZ_E_NS1_11comp_targetILNS1_3genE3ELNS1_11target_archE908ELNS1_3gpuE7ELNS1_3repE0EEENS1_47radix_sort_onesweep_sort_config_static_selectorELNS0_4arch9wavefront6targetE0EEEvSG_.numbered_sgpr, 0
	.set _ZN7rocprim17ROCPRIM_400000_NS6detail17trampoline_kernelINS0_14default_configENS1_35radix_sort_onesweep_config_selectorImNS0_10empty_typeEEEZZNS1_29radix_sort_onesweep_iterationIS3_Lb1EPKmPmPS5_SB_mNS0_19identity_decomposerENS1_16block_id_wrapperIjLb1EEEEE10hipError_tT1_PNSt15iterator_traitsISG_E10value_typeET2_T3_PNSH_ISM_E10value_typeET4_T5_PSR_SS_PNS1_23onesweep_lookback_stateEbbT6_jjT7_P12ihipStream_tbENKUlT_T0_SG_SL_E_clIS9_SA_SB_SB_EEDaSZ_S10_SG_SL_EUlSZ_E_NS1_11comp_targetILNS1_3genE3ELNS1_11target_archE908ELNS1_3gpuE7ELNS1_3repE0EEENS1_47radix_sort_onesweep_sort_config_static_selectorELNS0_4arch9wavefront6targetE0EEEvSG_.num_named_barrier, 0
	.set _ZN7rocprim17ROCPRIM_400000_NS6detail17trampoline_kernelINS0_14default_configENS1_35radix_sort_onesweep_config_selectorImNS0_10empty_typeEEEZZNS1_29radix_sort_onesweep_iterationIS3_Lb1EPKmPmPS5_SB_mNS0_19identity_decomposerENS1_16block_id_wrapperIjLb1EEEEE10hipError_tT1_PNSt15iterator_traitsISG_E10value_typeET2_T3_PNSH_ISM_E10value_typeET4_T5_PSR_SS_PNS1_23onesweep_lookback_stateEbbT6_jjT7_P12ihipStream_tbENKUlT_T0_SG_SL_E_clIS9_SA_SB_SB_EEDaSZ_S10_SG_SL_EUlSZ_E_NS1_11comp_targetILNS1_3genE3ELNS1_11target_archE908ELNS1_3gpuE7ELNS1_3repE0EEENS1_47radix_sort_onesweep_sort_config_static_selectorELNS0_4arch9wavefront6targetE0EEEvSG_.private_seg_size, 0
	.set _ZN7rocprim17ROCPRIM_400000_NS6detail17trampoline_kernelINS0_14default_configENS1_35radix_sort_onesweep_config_selectorImNS0_10empty_typeEEEZZNS1_29radix_sort_onesweep_iterationIS3_Lb1EPKmPmPS5_SB_mNS0_19identity_decomposerENS1_16block_id_wrapperIjLb1EEEEE10hipError_tT1_PNSt15iterator_traitsISG_E10value_typeET2_T3_PNSH_ISM_E10value_typeET4_T5_PSR_SS_PNS1_23onesweep_lookback_stateEbbT6_jjT7_P12ihipStream_tbENKUlT_T0_SG_SL_E_clIS9_SA_SB_SB_EEDaSZ_S10_SG_SL_EUlSZ_E_NS1_11comp_targetILNS1_3genE3ELNS1_11target_archE908ELNS1_3gpuE7ELNS1_3repE0EEENS1_47radix_sort_onesweep_sort_config_static_selectorELNS0_4arch9wavefront6targetE0EEEvSG_.uses_vcc, 0
	.set _ZN7rocprim17ROCPRIM_400000_NS6detail17trampoline_kernelINS0_14default_configENS1_35radix_sort_onesweep_config_selectorImNS0_10empty_typeEEEZZNS1_29radix_sort_onesweep_iterationIS3_Lb1EPKmPmPS5_SB_mNS0_19identity_decomposerENS1_16block_id_wrapperIjLb1EEEEE10hipError_tT1_PNSt15iterator_traitsISG_E10value_typeET2_T3_PNSH_ISM_E10value_typeET4_T5_PSR_SS_PNS1_23onesweep_lookback_stateEbbT6_jjT7_P12ihipStream_tbENKUlT_T0_SG_SL_E_clIS9_SA_SB_SB_EEDaSZ_S10_SG_SL_EUlSZ_E_NS1_11comp_targetILNS1_3genE3ELNS1_11target_archE908ELNS1_3gpuE7ELNS1_3repE0EEENS1_47radix_sort_onesweep_sort_config_static_selectorELNS0_4arch9wavefront6targetE0EEEvSG_.uses_flat_scratch, 0
	.set _ZN7rocprim17ROCPRIM_400000_NS6detail17trampoline_kernelINS0_14default_configENS1_35radix_sort_onesweep_config_selectorImNS0_10empty_typeEEEZZNS1_29radix_sort_onesweep_iterationIS3_Lb1EPKmPmPS5_SB_mNS0_19identity_decomposerENS1_16block_id_wrapperIjLb1EEEEE10hipError_tT1_PNSt15iterator_traitsISG_E10value_typeET2_T3_PNSH_ISM_E10value_typeET4_T5_PSR_SS_PNS1_23onesweep_lookback_stateEbbT6_jjT7_P12ihipStream_tbENKUlT_T0_SG_SL_E_clIS9_SA_SB_SB_EEDaSZ_S10_SG_SL_EUlSZ_E_NS1_11comp_targetILNS1_3genE3ELNS1_11target_archE908ELNS1_3gpuE7ELNS1_3repE0EEENS1_47radix_sort_onesweep_sort_config_static_selectorELNS0_4arch9wavefront6targetE0EEEvSG_.has_dyn_sized_stack, 0
	.set _ZN7rocprim17ROCPRIM_400000_NS6detail17trampoline_kernelINS0_14default_configENS1_35radix_sort_onesweep_config_selectorImNS0_10empty_typeEEEZZNS1_29radix_sort_onesweep_iterationIS3_Lb1EPKmPmPS5_SB_mNS0_19identity_decomposerENS1_16block_id_wrapperIjLb1EEEEE10hipError_tT1_PNSt15iterator_traitsISG_E10value_typeET2_T3_PNSH_ISM_E10value_typeET4_T5_PSR_SS_PNS1_23onesweep_lookback_stateEbbT6_jjT7_P12ihipStream_tbENKUlT_T0_SG_SL_E_clIS9_SA_SB_SB_EEDaSZ_S10_SG_SL_EUlSZ_E_NS1_11comp_targetILNS1_3genE3ELNS1_11target_archE908ELNS1_3gpuE7ELNS1_3repE0EEENS1_47radix_sort_onesweep_sort_config_static_selectorELNS0_4arch9wavefront6targetE0EEEvSG_.has_recursion, 0
	.set _ZN7rocprim17ROCPRIM_400000_NS6detail17trampoline_kernelINS0_14default_configENS1_35radix_sort_onesweep_config_selectorImNS0_10empty_typeEEEZZNS1_29radix_sort_onesweep_iterationIS3_Lb1EPKmPmPS5_SB_mNS0_19identity_decomposerENS1_16block_id_wrapperIjLb1EEEEE10hipError_tT1_PNSt15iterator_traitsISG_E10value_typeET2_T3_PNSH_ISM_E10value_typeET4_T5_PSR_SS_PNS1_23onesweep_lookback_stateEbbT6_jjT7_P12ihipStream_tbENKUlT_T0_SG_SL_E_clIS9_SA_SB_SB_EEDaSZ_S10_SG_SL_EUlSZ_E_NS1_11comp_targetILNS1_3genE3ELNS1_11target_archE908ELNS1_3gpuE7ELNS1_3repE0EEENS1_47radix_sort_onesweep_sort_config_static_selectorELNS0_4arch9wavefront6targetE0EEEvSG_.has_indirect_call, 0
	.section	.AMDGPU.csdata,"",@progbits
; Kernel info:
; codeLenInByte = 0
; TotalNumSgprs: 0
; NumVgprs: 0
; ScratchSize: 0
; MemoryBound: 0
; FloatMode: 240
; IeeeMode: 1
; LDSByteSize: 0 bytes/workgroup (compile time only)
; SGPRBlocks: 0
; VGPRBlocks: 0
; NumSGPRsForWavesPerEU: 1
; NumVGPRsForWavesPerEU: 1
; NamedBarCnt: 0
; Occupancy: 16
; WaveLimiterHint : 0
; COMPUTE_PGM_RSRC2:SCRATCH_EN: 0
; COMPUTE_PGM_RSRC2:USER_SGPR: 2
; COMPUTE_PGM_RSRC2:TRAP_HANDLER: 0
; COMPUTE_PGM_RSRC2:TGID_X_EN: 1
; COMPUTE_PGM_RSRC2:TGID_Y_EN: 0
; COMPUTE_PGM_RSRC2:TGID_Z_EN: 0
; COMPUTE_PGM_RSRC2:TIDIG_COMP_CNT: 0
	.section	.text._ZN7rocprim17ROCPRIM_400000_NS6detail17trampoline_kernelINS0_14default_configENS1_35radix_sort_onesweep_config_selectorImNS0_10empty_typeEEEZZNS1_29radix_sort_onesweep_iterationIS3_Lb1EPKmPmPS5_SB_mNS0_19identity_decomposerENS1_16block_id_wrapperIjLb1EEEEE10hipError_tT1_PNSt15iterator_traitsISG_E10value_typeET2_T3_PNSH_ISM_E10value_typeET4_T5_PSR_SS_PNS1_23onesweep_lookback_stateEbbT6_jjT7_P12ihipStream_tbENKUlT_T0_SG_SL_E_clIS9_SA_SB_SB_EEDaSZ_S10_SG_SL_EUlSZ_E_NS1_11comp_targetILNS1_3genE10ELNS1_11target_archE1201ELNS1_3gpuE5ELNS1_3repE0EEENS1_47radix_sort_onesweep_sort_config_static_selectorELNS0_4arch9wavefront6targetE0EEEvSG_,"axG",@progbits,_ZN7rocprim17ROCPRIM_400000_NS6detail17trampoline_kernelINS0_14default_configENS1_35radix_sort_onesweep_config_selectorImNS0_10empty_typeEEEZZNS1_29radix_sort_onesweep_iterationIS3_Lb1EPKmPmPS5_SB_mNS0_19identity_decomposerENS1_16block_id_wrapperIjLb1EEEEE10hipError_tT1_PNSt15iterator_traitsISG_E10value_typeET2_T3_PNSH_ISM_E10value_typeET4_T5_PSR_SS_PNS1_23onesweep_lookback_stateEbbT6_jjT7_P12ihipStream_tbENKUlT_T0_SG_SL_E_clIS9_SA_SB_SB_EEDaSZ_S10_SG_SL_EUlSZ_E_NS1_11comp_targetILNS1_3genE10ELNS1_11target_archE1201ELNS1_3gpuE5ELNS1_3repE0EEENS1_47radix_sort_onesweep_sort_config_static_selectorELNS0_4arch9wavefront6targetE0EEEvSG_,comdat
	.protected	_ZN7rocprim17ROCPRIM_400000_NS6detail17trampoline_kernelINS0_14default_configENS1_35radix_sort_onesweep_config_selectorImNS0_10empty_typeEEEZZNS1_29radix_sort_onesweep_iterationIS3_Lb1EPKmPmPS5_SB_mNS0_19identity_decomposerENS1_16block_id_wrapperIjLb1EEEEE10hipError_tT1_PNSt15iterator_traitsISG_E10value_typeET2_T3_PNSH_ISM_E10value_typeET4_T5_PSR_SS_PNS1_23onesweep_lookback_stateEbbT6_jjT7_P12ihipStream_tbENKUlT_T0_SG_SL_E_clIS9_SA_SB_SB_EEDaSZ_S10_SG_SL_EUlSZ_E_NS1_11comp_targetILNS1_3genE10ELNS1_11target_archE1201ELNS1_3gpuE5ELNS1_3repE0EEENS1_47radix_sort_onesweep_sort_config_static_selectorELNS0_4arch9wavefront6targetE0EEEvSG_ ; -- Begin function _ZN7rocprim17ROCPRIM_400000_NS6detail17trampoline_kernelINS0_14default_configENS1_35radix_sort_onesweep_config_selectorImNS0_10empty_typeEEEZZNS1_29radix_sort_onesweep_iterationIS3_Lb1EPKmPmPS5_SB_mNS0_19identity_decomposerENS1_16block_id_wrapperIjLb1EEEEE10hipError_tT1_PNSt15iterator_traitsISG_E10value_typeET2_T3_PNSH_ISM_E10value_typeET4_T5_PSR_SS_PNS1_23onesweep_lookback_stateEbbT6_jjT7_P12ihipStream_tbENKUlT_T0_SG_SL_E_clIS9_SA_SB_SB_EEDaSZ_S10_SG_SL_EUlSZ_E_NS1_11comp_targetILNS1_3genE10ELNS1_11target_archE1201ELNS1_3gpuE5ELNS1_3repE0EEENS1_47radix_sort_onesweep_sort_config_static_selectorELNS0_4arch9wavefront6targetE0EEEvSG_
	.globl	_ZN7rocprim17ROCPRIM_400000_NS6detail17trampoline_kernelINS0_14default_configENS1_35radix_sort_onesweep_config_selectorImNS0_10empty_typeEEEZZNS1_29radix_sort_onesweep_iterationIS3_Lb1EPKmPmPS5_SB_mNS0_19identity_decomposerENS1_16block_id_wrapperIjLb1EEEEE10hipError_tT1_PNSt15iterator_traitsISG_E10value_typeET2_T3_PNSH_ISM_E10value_typeET4_T5_PSR_SS_PNS1_23onesweep_lookback_stateEbbT6_jjT7_P12ihipStream_tbENKUlT_T0_SG_SL_E_clIS9_SA_SB_SB_EEDaSZ_S10_SG_SL_EUlSZ_E_NS1_11comp_targetILNS1_3genE10ELNS1_11target_archE1201ELNS1_3gpuE5ELNS1_3repE0EEENS1_47radix_sort_onesweep_sort_config_static_selectorELNS0_4arch9wavefront6targetE0EEEvSG_
	.p2align	8
	.type	_ZN7rocprim17ROCPRIM_400000_NS6detail17trampoline_kernelINS0_14default_configENS1_35radix_sort_onesweep_config_selectorImNS0_10empty_typeEEEZZNS1_29radix_sort_onesweep_iterationIS3_Lb1EPKmPmPS5_SB_mNS0_19identity_decomposerENS1_16block_id_wrapperIjLb1EEEEE10hipError_tT1_PNSt15iterator_traitsISG_E10value_typeET2_T3_PNSH_ISM_E10value_typeET4_T5_PSR_SS_PNS1_23onesweep_lookback_stateEbbT6_jjT7_P12ihipStream_tbENKUlT_T0_SG_SL_E_clIS9_SA_SB_SB_EEDaSZ_S10_SG_SL_EUlSZ_E_NS1_11comp_targetILNS1_3genE10ELNS1_11target_archE1201ELNS1_3gpuE5ELNS1_3repE0EEENS1_47radix_sort_onesweep_sort_config_static_selectorELNS0_4arch9wavefront6targetE0EEEvSG_,@function
_ZN7rocprim17ROCPRIM_400000_NS6detail17trampoline_kernelINS0_14default_configENS1_35radix_sort_onesweep_config_selectorImNS0_10empty_typeEEEZZNS1_29radix_sort_onesweep_iterationIS3_Lb1EPKmPmPS5_SB_mNS0_19identity_decomposerENS1_16block_id_wrapperIjLb1EEEEE10hipError_tT1_PNSt15iterator_traitsISG_E10value_typeET2_T3_PNSH_ISM_E10value_typeET4_T5_PSR_SS_PNS1_23onesweep_lookback_stateEbbT6_jjT7_P12ihipStream_tbENKUlT_T0_SG_SL_E_clIS9_SA_SB_SB_EEDaSZ_S10_SG_SL_EUlSZ_E_NS1_11comp_targetILNS1_3genE10ELNS1_11target_archE1201ELNS1_3gpuE5ELNS1_3repE0EEENS1_47radix_sort_onesweep_sort_config_static_selectorELNS0_4arch9wavefront6targetE0EEEvSG_: ; @_ZN7rocprim17ROCPRIM_400000_NS6detail17trampoline_kernelINS0_14default_configENS1_35radix_sort_onesweep_config_selectorImNS0_10empty_typeEEEZZNS1_29radix_sort_onesweep_iterationIS3_Lb1EPKmPmPS5_SB_mNS0_19identity_decomposerENS1_16block_id_wrapperIjLb1EEEEE10hipError_tT1_PNSt15iterator_traitsISG_E10value_typeET2_T3_PNSH_ISM_E10value_typeET4_T5_PSR_SS_PNS1_23onesweep_lookback_stateEbbT6_jjT7_P12ihipStream_tbENKUlT_T0_SG_SL_E_clIS9_SA_SB_SB_EEDaSZ_S10_SG_SL_EUlSZ_E_NS1_11comp_targetILNS1_3genE10ELNS1_11target_archE1201ELNS1_3gpuE5ELNS1_3repE0EEENS1_47radix_sort_onesweep_sort_config_static_selectorELNS0_4arch9wavefront6targetE0EEEvSG_
; %bb.0:
	.section	.rodata,"a",@progbits
	.p2align	6, 0x0
	.amdhsa_kernel _ZN7rocprim17ROCPRIM_400000_NS6detail17trampoline_kernelINS0_14default_configENS1_35radix_sort_onesweep_config_selectorImNS0_10empty_typeEEEZZNS1_29radix_sort_onesweep_iterationIS3_Lb1EPKmPmPS5_SB_mNS0_19identity_decomposerENS1_16block_id_wrapperIjLb1EEEEE10hipError_tT1_PNSt15iterator_traitsISG_E10value_typeET2_T3_PNSH_ISM_E10value_typeET4_T5_PSR_SS_PNS1_23onesweep_lookback_stateEbbT6_jjT7_P12ihipStream_tbENKUlT_T0_SG_SL_E_clIS9_SA_SB_SB_EEDaSZ_S10_SG_SL_EUlSZ_E_NS1_11comp_targetILNS1_3genE10ELNS1_11target_archE1201ELNS1_3gpuE5ELNS1_3repE0EEENS1_47radix_sort_onesweep_sort_config_static_selectorELNS0_4arch9wavefront6targetE0EEEvSG_
		.amdhsa_group_segment_fixed_size 0
		.amdhsa_private_segment_fixed_size 0
		.amdhsa_kernarg_size 88
		.amdhsa_user_sgpr_count 2
		.amdhsa_user_sgpr_dispatch_ptr 0
		.amdhsa_user_sgpr_queue_ptr 0
		.amdhsa_user_sgpr_kernarg_segment_ptr 1
		.amdhsa_user_sgpr_dispatch_id 0
		.amdhsa_user_sgpr_kernarg_preload_length 0
		.amdhsa_user_sgpr_kernarg_preload_offset 0
		.amdhsa_user_sgpr_private_segment_size 0
		.amdhsa_wavefront_size32 1
		.amdhsa_uses_dynamic_stack 0
		.amdhsa_enable_private_segment 0
		.amdhsa_system_sgpr_workgroup_id_x 1
		.amdhsa_system_sgpr_workgroup_id_y 0
		.amdhsa_system_sgpr_workgroup_id_z 0
		.amdhsa_system_sgpr_workgroup_info 0
		.amdhsa_system_vgpr_workitem_id 0
		.amdhsa_next_free_vgpr 1
		.amdhsa_next_free_sgpr 1
		.amdhsa_named_barrier_count 0
		.amdhsa_reserve_vcc 0
		.amdhsa_float_round_mode_32 0
		.amdhsa_float_round_mode_16_64 0
		.amdhsa_float_denorm_mode_32 3
		.amdhsa_float_denorm_mode_16_64 3
		.amdhsa_fp16_overflow 0
		.amdhsa_memory_ordered 1
		.amdhsa_forward_progress 1
		.amdhsa_inst_pref_size 0
		.amdhsa_round_robin_scheduling 0
		.amdhsa_exception_fp_ieee_invalid_op 0
		.amdhsa_exception_fp_denorm_src 0
		.amdhsa_exception_fp_ieee_div_zero 0
		.amdhsa_exception_fp_ieee_overflow 0
		.amdhsa_exception_fp_ieee_underflow 0
		.amdhsa_exception_fp_ieee_inexact 0
		.amdhsa_exception_int_div_zero 0
	.end_amdhsa_kernel
	.section	.text._ZN7rocprim17ROCPRIM_400000_NS6detail17trampoline_kernelINS0_14default_configENS1_35radix_sort_onesweep_config_selectorImNS0_10empty_typeEEEZZNS1_29radix_sort_onesweep_iterationIS3_Lb1EPKmPmPS5_SB_mNS0_19identity_decomposerENS1_16block_id_wrapperIjLb1EEEEE10hipError_tT1_PNSt15iterator_traitsISG_E10value_typeET2_T3_PNSH_ISM_E10value_typeET4_T5_PSR_SS_PNS1_23onesweep_lookback_stateEbbT6_jjT7_P12ihipStream_tbENKUlT_T0_SG_SL_E_clIS9_SA_SB_SB_EEDaSZ_S10_SG_SL_EUlSZ_E_NS1_11comp_targetILNS1_3genE10ELNS1_11target_archE1201ELNS1_3gpuE5ELNS1_3repE0EEENS1_47radix_sort_onesweep_sort_config_static_selectorELNS0_4arch9wavefront6targetE0EEEvSG_,"axG",@progbits,_ZN7rocprim17ROCPRIM_400000_NS6detail17trampoline_kernelINS0_14default_configENS1_35radix_sort_onesweep_config_selectorImNS0_10empty_typeEEEZZNS1_29radix_sort_onesweep_iterationIS3_Lb1EPKmPmPS5_SB_mNS0_19identity_decomposerENS1_16block_id_wrapperIjLb1EEEEE10hipError_tT1_PNSt15iterator_traitsISG_E10value_typeET2_T3_PNSH_ISM_E10value_typeET4_T5_PSR_SS_PNS1_23onesweep_lookback_stateEbbT6_jjT7_P12ihipStream_tbENKUlT_T0_SG_SL_E_clIS9_SA_SB_SB_EEDaSZ_S10_SG_SL_EUlSZ_E_NS1_11comp_targetILNS1_3genE10ELNS1_11target_archE1201ELNS1_3gpuE5ELNS1_3repE0EEENS1_47radix_sort_onesweep_sort_config_static_selectorELNS0_4arch9wavefront6targetE0EEEvSG_,comdat
.Lfunc_end2886:
	.size	_ZN7rocprim17ROCPRIM_400000_NS6detail17trampoline_kernelINS0_14default_configENS1_35radix_sort_onesweep_config_selectorImNS0_10empty_typeEEEZZNS1_29radix_sort_onesweep_iterationIS3_Lb1EPKmPmPS5_SB_mNS0_19identity_decomposerENS1_16block_id_wrapperIjLb1EEEEE10hipError_tT1_PNSt15iterator_traitsISG_E10value_typeET2_T3_PNSH_ISM_E10value_typeET4_T5_PSR_SS_PNS1_23onesweep_lookback_stateEbbT6_jjT7_P12ihipStream_tbENKUlT_T0_SG_SL_E_clIS9_SA_SB_SB_EEDaSZ_S10_SG_SL_EUlSZ_E_NS1_11comp_targetILNS1_3genE10ELNS1_11target_archE1201ELNS1_3gpuE5ELNS1_3repE0EEENS1_47radix_sort_onesweep_sort_config_static_selectorELNS0_4arch9wavefront6targetE0EEEvSG_, .Lfunc_end2886-_ZN7rocprim17ROCPRIM_400000_NS6detail17trampoline_kernelINS0_14default_configENS1_35radix_sort_onesweep_config_selectorImNS0_10empty_typeEEEZZNS1_29radix_sort_onesweep_iterationIS3_Lb1EPKmPmPS5_SB_mNS0_19identity_decomposerENS1_16block_id_wrapperIjLb1EEEEE10hipError_tT1_PNSt15iterator_traitsISG_E10value_typeET2_T3_PNSH_ISM_E10value_typeET4_T5_PSR_SS_PNS1_23onesweep_lookback_stateEbbT6_jjT7_P12ihipStream_tbENKUlT_T0_SG_SL_E_clIS9_SA_SB_SB_EEDaSZ_S10_SG_SL_EUlSZ_E_NS1_11comp_targetILNS1_3genE10ELNS1_11target_archE1201ELNS1_3gpuE5ELNS1_3repE0EEENS1_47radix_sort_onesweep_sort_config_static_selectorELNS0_4arch9wavefront6targetE0EEEvSG_
                                        ; -- End function
	.set _ZN7rocprim17ROCPRIM_400000_NS6detail17trampoline_kernelINS0_14default_configENS1_35radix_sort_onesweep_config_selectorImNS0_10empty_typeEEEZZNS1_29radix_sort_onesweep_iterationIS3_Lb1EPKmPmPS5_SB_mNS0_19identity_decomposerENS1_16block_id_wrapperIjLb1EEEEE10hipError_tT1_PNSt15iterator_traitsISG_E10value_typeET2_T3_PNSH_ISM_E10value_typeET4_T5_PSR_SS_PNS1_23onesweep_lookback_stateEbbT6_jjT7_P12ihipStream_tbENKUlT_T0_SG_SL_E_clIS9_SA_SB_SB_EEDaSZ_S10_SG_SL_EUlSZ_E_NS1_11comp_targetILNS1_3genE10ELNS1_11target_archE1201ELNS1_3gpuE5ELNS1_3repE0EEENS1_47radix_sort_onesweep_sort_config_static_selectorELNS0_4arch9wavefront6targetE0EEEvSG_.num_vgpr, 0
	.set _ZN7rocprim17ROCPRIM_400000_NS6detail17trampoline_kernelINS0_14default_configENS1_35radix_sort_onesweep_config_selectorImNS0_10empty_typeEEEZZNS1_29radix_sort_onesweep_iterationIS3_Lb1EPKmPmPS5_SB_mNS0_19identity_decomposerENS1_16block_id_wrapperIjLb1EEEEE10hipError_tT1_PNSt15iterator_traitsISG_E10value_typeET2_T3_PNSH_ISM_E10value_typeET4_T5_PSR_SS_PNS1_23onesweep_lookback_stateEbbT6_jjT7_P12ihipStream_tbENKUlT_T0_SG_SL_E_clIS9_SA_SB_SB_EEDaSZ_S10_SG_SL_EUlSZ_E_NS1_11comp_targetILNS1_3genE10ELNS1_11target_archE1201ELNS1_3gpuE5ELNS1_3repE0EEENS1_47radix_sort_onesweep_sort_config_static_selectorELNS0_4arch9wavefront6targetE0EEEvSG_.num_agpr, 0
	.set _ZN7rocprim17ROCPRIM_400000_NS6detail17trampoline_kernelINS0_14default_configENS1_35radix_sort_onesweep_config_selectorImNS0_10empty_typeEEEZZNS1_29radix_sort_onesweep_iterationIS3_Lb1EPKmPmPS5_SB_mNS0_19identity_decomposerENS1_16block_id_wrapperIjLb1EEEEE10hipError_tT1_PNSt15iterator_traitsISG_E10value_typeET2_T3_PNSH_ISM_E10value_typeET4_T5_PSR_SS_PNS1_23onesweep_lookback_stateEbbT6_jjT7_P12ihipStream_tbENKUlT_T0_SG_SL_E_clIS9_SA_SB_SB_EEDaSZ_S10_SG_SL_EUlSZ_E_NS1_11comp_targetILNS1_3genE10ELNS1_11target_archE1201ELNS1_3gpuE5ELNS1_3repE0EEENS1_47radix_sort_onesweep_sort_config_static_selectorELNS0_4arch9wavefront6targetE0EEEvSG_.numbered_sgpr, 0
	.set _ZN7rocprim17ROCPRIM_400000_NS6detail17trampoline_kernelINS0_14default_configENS1_35radix_sort_onesweep_config_selectorImNS0_10empty_typeEEEZZNS1_29radix_sort_onesweep_iterationIS3_Lb1EPKmPmPS5_SB_mNS0_19identity_decomposerENS1_16block_id_wrapperIjLb1EEEEE10hipError_tT1_PNSt15iterator_traitsISG_E10value_typeET2_T3_PNSH_ISM_E10value_typeET4_T5_PSR_SS_PNS1_23onesweep_lookback_stateEbbT6_jjT7_P12ihipStream_tbENKUlT_T0_SG_SL_E_clIS9_SA_SB_SB_EEDaSZ_S10_SG_SL_EUlSZ_E_NS1_11comp_targetILNS1_3genE10ELNS1_11target_archE1201ELNS1_3gpuE5ELNS1_3repE0EEENS1_47radix_sort_onesweep_sort_config_static_selectorELNS0_4arch9wavefront6targetE0EEEvSG_.num_named_barrier, 0
	.set _ZN7rocprim17ROCPRIM_400000_NS6detail17trampoline_kernelINS0_14default_configENS1_35radix_sort_onesweep_config_selectorImNS0_10empty_typeEEEZZNS1_29radix_sort_onesweep_iterationIS3_Lb1EPKmPmPS5_SB_mNS0_19identity_decomposerENS1_16block_id_wrapperIjLb1EEEEE10hipError_tT1_PNSt15iterator_traitsISG_E10value_typeET2_T3_PNSH_ISM_E10value_typeET4_T5_PSR_SS_PNS1_23onesweep_lookback_stateEbbT6_jjT7_P12ihipStream_tbENKUlT_T0_SG_SL_E_clIS9_SA_SB_SB_EEDaSZ_S10_SG_SL_EUlSZ_E_NS1_11comp_targetILNS1_3genE10ELNS1_11target_archE1201ELNS1_3gpuE5ELNS1_3repE0EEENS1_47radix_sort_onesweep_sort_config_static_selectorELNS0_4arch9wavefront6targetE0EEEvSG_.private_seg_size, 0
	.set _ZN7rocprim17ROCPRIM_400000_NS6detail17trampoline_kernelINS0_14default_configENS1_35radix_sort_onesweep_config_selectorImNS0_10empty_typeEEEZZNS1_29radix_sort_onesweep_iterationIS3_Lb1EPKmPmPS5_SB_mNS0_19identity_decomposerENS1_16block_id_wrapperIjLb1EEEEE10hipError_tT1_PNSt15iterator_traitsISG_E10value_typeET2_T3_PNSH_ISM_E10value_typeET4_T5_PSR_SS_PNS1_23onesweep_lookback_stateEbbT6_jjT7_P12ihipStream_tbENKUlT_T0_SG_SL_E_clIS9_SA_SB_SB_EEDaSZ_S10_SG_SL_EUlSZ_E_NS1_11comp_targetILNS1_3genE10ELNS1_11target_archE1201ELNS1_3gpuE5ELNS1_3repE0EEENS1_47radix_sort_onesweep_sort_config_static_selectorELNS0_4arch9wavefront6targetE0EEEvSG_.uses_vcc, 0
	.set _ZN7rocprim17ROCPRIM_400000_NS6detail17trampoline_kernelINS0_14default_configENS1_35radix_sort_onesweep_config_selectorImNS0_10empty_typeEEEZZNS1_29radix_sort_onesweep_iterationIS3_Lb1EPKmPmPS5_SB_mNS0_19identity_decomposerENS1_16block_id_wrapperIjLb1EEEEE10hipError_tT1_PNSt15iterator_traitsISG_E10value_typeET2_T3_PNSH_ISM_E10value_typeET4_T5_PSR_SS_PNS1_23onesweep_lookback_stateEbbT6_jjT7_P12ihipStream_tbENKUlT_T0_SG_SL_E_clIS9_SA_SB_SB_EEDaSZ_S10_SG_SL_EUlSZ_E_NS1_11comp_targetILNS1_3genE10ELNS1_11target_archE1201ELNS1_3gpuE5ELNS1_3repE0EEENS1_47radix_sort_onesweep_sort_config_static_selectorELNS0_4arch9wavefront6targetE0EEEvSG_.uses_flat_scratch, 0
	.set _ZN7rocprim17ROCPRIM_400000_NS6detail17trampoline_kernelINS0_14default_configENS1_35radix_sort_onesweep_config_selectorImNS0_10empty_typeEEEZZNS1_29radix_sort_onesweep_iterationIS3_Lb1EPKmPmPS5_SB_mNS0_19identity_decomposerENS1_16block_id_wrapperIjLb1EEEEE10hipError_tT1_PNSt15iterator_traitsISG_E10value_typeET2_T3_PNSH_ISM_E10value_typeET4_T5_PSR_SS_PNS1_23onesweep_lookback_stateEbbT6_jjT7_P12ihipStream_tbENKUlT_T0_SG_SL_E_clIS9_SA_SB_SB_EEDaSZ_S10_SG_SL_EUlSZ_E_NS1_11comp_targetILNS1_3genE10ELNS1_11target_archE1201ELNS1_3gpuE5ELNS1_3repE0EEENS1_47radix_sort_onesweep_sort_config_static_selectorELNS0_4arch9wavefront6targetE0EEEvSG_.has_dyn_sized_stack, 0
	.set _ZN7rocprim17ROCPRIM_400000_NS6detail17trampoline_kernelINS0_14default_configENS1_35radix_sort_onesweep_config_selectorImNS0_10empty_typeEEEZZNS1_29radix_sort_onesweep_iterationIS3_Lb1EPKmPmPS5_SB_mNS0_19identity_decomposerENS1_16block_id_wrapperIjLb1EEEEE10hipError_tT1_PNSt15iterator_traitsISG_E10value_typeET2_T3_PNSH_ISM_E10value_typeET4_T5_PSR_SS_PNS1_23onesweep_lookback_stateEbbT6_jjT7_P12ihipStream_tbENKUlT_T0_SG_SL_E_clIS9_SA_SB_SB_EEDaSZ_S10_SG_SL_EUlSZ_E_NS1_11comp_targetILNS1_3genE10ELNS1_11target_archE1201ELNS1_3gpuE5ELNS1_3repE0EEENS1_47radix_sort_onesweep_sort_config_static_selectorELNS0_4arch9wavefront6targetE0EEEvSG_.has_recursion, 0
	.set _ZN7rocprim17ROCPRIM_400000_NS6detail17trampoline_kernelINS0_14default_configENS1_35radix_sort_onesweep_config_selectorImNS0_10empty_typeEEEZZNS1_29radix_sort_onesweep_iterationIS3_Lb1EPKmPmPS5_SB_mNS0_19identity_decomposerENS1_16block_id_wrapperIjLb1EEEEE10hipError_tT1_PNSt15iterator_traitsISG_E10value_typeET2_T3_PNSH_ISM_E10value_typeET4_T5_PSR_SS_PNS1_23onesweep_lookback_stateEbbT6_jjT7_P12ihipStream_tbENKUlT_T0_SG_SL_E_clIS9_SA_SB_SB_EEDaSZ_S10_SG_SL_EUlSZ_E_NS1_11comp_targetILNS1_3genE10ELNS1_11target_archE1201ELNS1_3gpuE5ELNS1_3repE0EEENS1_47radix_sort_onesweep_sort_config_static_selectorELNS0_4arch9wavefront6targetE0EEEvSG_.has_indirect_call, 0
	.section	.AMDGPU.csdata,"",@progbits
; Kernel info:
; codeLenInByte = 0
; TotalNumSgprs: 0
; NumVgprs: 0
; ScratchSize: 0
; MemoryBound: 0
; FloatMode: 240
; IeeeMode: 1
; LDSByteSize: 0 bytes/workgroup (compile time only)
; SGPRBlocks: 0
; VGPRBlocks: 0
; NumSGPRsForWavesPerEU: 1
; NumVGPRsForWavesPerEU: 1
; NamedBarCnt: 0
; Occupancy: 16
; WaveLimiterHint : 0
; COMPUTE_PGM_RSRC2:SCRATCH_EN: 0
; COMPUTE_PGM_RSRC2:USER_SGPR: 2
; COMPUTE_PGM_RSRC2:TRAP_HANDLER: 0
; COMPUTE_PGM_RSRC2:TGID_X_EN: 1
; COMPUTE_PGM_RSRC2:TGID_Y_EN: 0
; COMPUTE_PGM_RSRC2:TGID_Z_EN: 0
; COMPUTE_PGM_RSRC2:TIDIG_COMP_CNT: 0
	.section	.text._ZN7rocprim17ROCPRIM_400000_NS6detail17trampoline_kernelINS0_14default_configENS1_35radix_sort_onesweep_config_selectorImNS0_10empty_typeEEEZZNS1_29radix_sort_onesweep_iterationIS3_Lb1EPKmPmPS5_SB_mNS0_19identity_decomposerENS1_16block_id_wrapperIjLb1EEEEE10hipError_tT1_PNSt15iterator_traitsISG_E10value_typeET2_T3_PNSH_ISM_E10value_typeET4_T5_PSR_SS_PNS1_23onesweep_lookback_stateEbbT6_jjT7_P12ihipStream_tbENKUlT_T0_SG_SL_E_clIS9_SA_SB_SB_EEDaSZ_S10_SG_SL_EUlSZ_E_NS1_11comp_targetILNS1_3genE9ELNS1_11target_archE1100ELNS1_3gpuE3ELNS1_3repE0EEENS1_47radix_sort_onesweep_sort_config_static_selectorELNS0_4arch9wavefront6targetE0EEEvSG_,"axG",@progbits,_ZN7rocprim17ROCPRIM_400000_NS6detail17trampoline_kernelINS0_14default_configENS1_35radix_sort_onesweep_config_selectorImNS0_10empty_typeEEEZZNS1_29radix_sort_onesweep_iterationIS3_Lb1EPKmPmPS5_SB_mNS0_19identity_decomposerENS1_16block_id_wrapperIjLb1EEEEE10hipError_tT1_PNSt15iterator_traitsISG_E10value_typeET2_T3_PNSH_ISM_E10value_typeET4_T5_PSR_SS_PNS1_23onesweep_lookback_stateEbbT6_jjT7_P12ihipStream_tbENKUlT_T0_SG_SL_E_clIS9_SA_SB_SB_EEDaSZ_S10_SG_SL_EUlSZ_E_NS1_11comp_targetILNS1_3genE9ELNS1_11target_archE1100ELNS1_3gpuE3ELNS1_3repE0EEENS1_47radix_sort_onesweep_sort_config_static_selectorELNS0_4arch9wavefront6targetE0EEEvSG_,comdat
	.protected	_ZN7rocprim17ROCPRIM_400000_NS6detail17trampoline_kernelINS0_14default_configENS1_35radix_sort_onesweep_config_selectorImNS0_10empty_typeEEEZZNS1_29radix_sort_onesweep_iterationIS3_Lb1EPKmPmPS5_SB_mNS0_19identity_decomposerENS1_16block_id_wrapperIjLb1EEEEE10hipError_tT1_PNSt15iterator_traitsISG_E10value_typeET2_T3_PNSH_ISM_E10value_typeET4_T5_PSR_SS_PNS1_23onesweep_lookback_stateEbbT6_jjT7_P12ihipStream_tbENKUlT_T0_SG_SL_E_clIS9_SA_SB_SB_EEDaSZ_S10_SG_SL_EUlSZ_E_NS1_11comp_targetILNS1_3genE9ELNS1_11target_archE1100ELNS1_3gpuE3ELNS1_3repE0EEENS1_47radix_sort_onesweep_sort_config_static_selectorELNS0_4arch9wavefront6targetE0EEEvSG_ ; -- Begin function _ZN7rocprim17ROCPRIM_400000_NS6detail17trampoline_kernelINS0_14default_configENS1_35radix_sort_onesweep_config_selectorImNS0_10empty_typeEEEZZNS1_29radix_sort_onesweep_iterationIS3_Lb1EPKmPmPS5_SB_mNS0_19identity_decomposerENS1_16block_id_wrapperIjLb1EEEEE10hipError_tT1_PNSt15iterator_traitsISG_E10value_typeET2_T3_PNSH_ISM_E10value_typeET4_T5_PSR_SS_PNS1_23onesweep_lookback_stateEbbT6_jjT7_P12ihipStream_tbENKUlT_T0_SG_SL_E_clIS9_SA_SB_SB_EEDaSZ_S10_SG_SL_EUlSZ_E_NS1_11comp_targetILNS1_3genE9ELNS1_11target_archE1100ELNS1_3gpuE3ELNS1_3repE0EEENS1_47radix_sort_onesweep_sort_config_static_selectorELNS0_4arch9wavefront6targetE0EEEvSG_
	.globl	_ZN7rocprim17ROCPRIM_400000_NS6detail17trampoline_kernelINS0_14default_configENS1_35radix_sort_onesweep_config_selectorImNS0_10empty_typeEEEZZNS1_29radix_sort_onesweep_iterationIS3_Lb1EPKmPmPS5_SB_mNS0_19identity_decomposerENS1_16block_id_wrapperIjLb1EEEEE10hipError_tT1_PNSt15iterator_traitsISG_E10value_typeET2_T3_PNSH_ISM_E10value_typeET4_T5_PSR_SS_PNS1_23onesweep_lookback_stateEbbT6_jjT7_P12ihipStream_tbENKUlT_T0_SG_SL_E_clIS9_SA_SB_SB_EEDaSZ_S10_SG_SL_EUlSZ_E_NS1_11comp_targetILNS1_3genE9ELNS1_11target_archE1100ELNS1_3gpuE3ELNS1_3repE0EEENS1_47radix_sort_onesweep_sort_config_static_selectorELNS0_4arch9wavefront6targetE0EEEvSG_
	.p2align	8
	.type	_ZN7rocprim17ROCPRIM_400000_NS6detail17trampoline_kernelINS0_14default_configENS1_35radix_sort_onesweep_config_selectorImNS0_10empty_typeEEEZZNS1_29radix_sort_onesweep_iterationIS3_Lb1EPKmPmPS5_SB_mNS0_19identity_decomposerENS1_16block_id_wrapperIjLb1EEEEE10hipError_tT1_PNSt15iterator_traitsISG_E10value_typeET2_T3_PNSH_ISM_E10value_typeET4_T5_PSR_SS_PNS1_23onesweep_lookback_stateEbbT6_jjT7_P12ihipStream_tbENKUlT_T0_SG_SL_E_clIS9_SA_SB_SB_EEDaSZ_S10_SG_SL_EUlSZ_E_NS1_11comp_targetILNS1_3genE9ELNS1_11target_archE1100ELNS1_3gpuE3ELNS1_3repE0EEENS1_47radix_sort_onesweep_sort_config_static_selectorELNS0_4arch9wavefront6targetE0EEEvSG_,@function
_ZN7rocprim17ROCPRIM_400000_NS6detail17trampoline_kernelINS0_14default_configENS1_35radix_sort_onesweep_config_selectorImNS0_10empty_typeEEEZZNS1_29radix_sort_onesweep_iterationIS3_Lb1EPKmPmPS5_SB_mNS0_19identity_decomposerENS1_16block_id_wrapperIjLb1EEEEE10hipError_tT1_PNSt15iterator_traitsISG_E10value_typeET2_T3_PNSH_ISM_E10value_typeET4_T5_PSR_SS_PNS1_23onesweep_lookback_stateEbbT6_jjT7_P12ihipStream_tbENKUlT_T0_SG_SL_E_clIS9_SA_SB_SB_EEDaSZ_S10_SG_SL_EUlSZ_E_NS1_11comp_targetILNS1_3genE9ELNS1_11target_archE1100ELNS1_3gpuE3ELNS1_3repE0EEENS1_47radix_sort_onesweep_sort_config_static_selectorELNS0_4arch9wavefront6targetE0EEEvSG_: ; @_ZN7rocprim17ROCPRIM_400000_NS6detail17trampoline_kernelINS0_14default_configENS1_35radix_sort_onesweep_config_selectorImNS0_10empty_typeEEEZZNS1_29radix_sort_onesweep_iterationIS3_Lb1EPKmPmPS5_SB_mNS0_19identity_decomposerENS1_16block_id_wrapperIjLb1EEEEE10hipError_tT1_PNSt15iterator_traitsISG_E10value_typeET2_T3_PNSH_ISM_E10value_typeET4_T5_PSR_SS_PNS1_23onesweep_lookback_stateEbbT6_jjT7_P12ihipStream_tbENKUlT_T0_SG_SL_E_clIS9_SA_SB_SB_EEDaSZ_S10_SG_SL_EUlSZ_E_NS1_11comp_targetILNS1_3genE9ELNS1_11target_archE1100ELNS1_3gpuE3ELNS1_3repE0EEENS1_47radix_sort_onesweep_sort_config_static_selectorELNS0_4arch9wavefront6targetE0EEEvSG_
; %bb.0:
	.section	.rodata,"a",@progbits
	.p2align	6, 0x0
	.amdhsa_kernel _ZN7rocprim17ROCPRIM_400000_NS6detail17trampoline_kernelINS0_14default_configENS1_35radix_sort_onesweep_config_selectorImNS0_10empty_typeEEEZZNS1_29radix_sort_onesweep_iterationIS3_Lb1EPKmPmPS5_SB_mNS0_19identity_decomposerENS1_16block_id_wrapperIjLb1EEEEE10hipError_tT1_PNSt15iterator_traitsISG_E10value_typeET2_T3_PNSH_ISM_E10value_typeET4_T5_PSR_SS_PNS1_23onesweep_lookback_stateEbbT6_jjT7_P12ihipStream_tbENKUlT_T0_SG_SL_E_clIS9_SA_SB_SB_EEDaSZ_S10_SG_SL_EUlSZ_E_NS1_11comp_targetILNS1_3genE9ELNS1_11target_archE1100ELNS1_3gpuE3ELNS1_3repE0EEENS1_47radix_sort_onesweep_sort_config_static_selectorELNS0_4arch9wavefront6targetE0EEEvSG_
		.amdhsa_group_segment_fixed_size 0
		.amdhsa_private_segment_fixed_size 0
		.amdhsa_kernarg_size 88
		.amdhsa_user_sgpr_count 2
		.amdhsa_user_sgpr_dispatch_ptr 0
		.amdhsa_user_sgpr_queue_ptr 0
		.amdhsa_user_sgpr_kernarg_segment_ptr 1
		.amdhsa_user_sgpr_dispatch_id 0
		.amdhsa_user_sgpr_kernarg_preload_length 0
		.amdhsa_user_sgpr_kernarg_preload_offset 0
		.amdhsa_user_sgpr_private_segment_size 0
		.amdhsa_wavefront_size32 1
		.amdhsa_uses_dynamic_stack 0
		.amdhsa_enable_private_segment 0
		.amdhsa_system_sgpr_workgroup_id_x 1
		.amdhsa_system_sgpr_workgroup_id_y 0
		.amdhsa_system_sgpr_workgroup_id_z 0
		.amdhsa_system_sgpr_workgroup_info 0
		.amdhsa_system_vgpr_workitem_id 0
		.amdhsa_next_free_vgpr 1
		.amdhsa_next_free_sgpr 1
		.amdhsa_named_barrier_count 0
		.amdhsa_reserve_vcc 0
		.amdhsa_float_round_mode_32 0
		.amdhsa_float_round_mode_16_64 0
		.amdhsa_float_denorm_mode_32 3
		.amdhsa_float_denorm_mode_16_64 3
		.amdhsa_fp16_overflow 0
		.amdhsa_memory_ordered 1
		.amdhsa_forward_progress 1
		.amdhsa_inst_pref_size 0
		.amdhsa_round_robin_scheduling 0
		.amdhsa_exception_fp_ieee_invalid_op 0
		.amdhsa_exception_fp_denorm_src 0
		.amdhsa_exception_fp_ieee_div_zero 0
		.amdhsa_exception_fp_ieee_overflow 0
		.amdhsa_exception_fp_ieee_underflow 0
		.amdhsa_exception_fp_ieee_inexact 0
		.amdhsa_exception_int_div_zero 0
	.end_amdhsa_kernel
	.section	.text._ZN7rocprim17ROCPRIM_400000_NS6detail17trampoline_kernelINS0_14default_configENS1_35radix_sort_onesweep_config_selectorImNS0_10empty_typeEEEZZNS1_29radix_sort_onesweep_iterationIS3_Lb1EPKmPmPS5_SB_mNS0_19identity_decomposerENS1_16block_id_wrapperIjLb1EEEEE10hipError_tT1_PNSt15iterator_traitsISG_E10value_typeET2_T3_PNSH_ISM_E10value_typeET4_T5_PSR_SS_PNS1_23onesweep_lookback_stateEbbT6_jjT7_P12ihipStream_tbENKUlT_T0_SG_SL_E_clIS9_SA_SB_SB_EEDaSZ_S10_SG_SL_EUlSZ_E_NS1_11comp_targetILNS1_3genE9ELNS1_11target_archE1100ELNS1_3gpuE3ELNS1_3repE0EEENS1_47radix_sort_onesweep_sort_config_static_selectorELNS0_4arch9wavefront6targetE0EEEvSG_,"axG",@progbits,_ZN7rocprim17ROCPRIM_400000_NS6detail17trampoline_kernelINS0_14default_configENS1_35radix_sort_onesweep_config_selectorImNS0_10empty_typeEEEZZNS1_29radix_sort_onesweep_iterationIS3_Lb1EPKmPmPS5_SB_mNS0_19identity_decomposerENS1_16block_id_wrapperIjLb1EEEEE10hipError_tT1_PNSt15iterator_traitsISG_E10value_typeET2_T3_PNSH_ISM_E10value_typeET4_T5_PSR_SS_PNS1_23onesweep_lookback_stateEbbT6_jjT7_P12ihipStream_tbENKUlT_T0_SG_SL_E_clIS9_SA_SB_SB_EEDaSZ_S10_SG_SL_EUlSZ_E_NS1_11comp_targetILNS1_3genE9ELNS1_11target_archE1100ELNS1_3gpuE3ELNS1_3repE0EEENS1_47radix_sort_onesweep_sort_config_static_selectorELNS0_4arch9wavefront6targetE0EEEvSG_,comdat
.Lfunc_end2887:
	.size	_ZN7rocprim17ROCPRIM_400000_NS6detail17trampoline_kernelINS0_14default_configENS1_35radix_sort_onesweep_config_selectorImNS0_10empty_typeEEEZZNS1_29radix_sort_onesweep_iterationIS3_Lb1EPKmPmPS5_SB_mNS0_19identity_decomposerENS1_16block_id_wrapperIjLb1EEEEE10hipError_tT1_PNSt15iterator_traitsISG_E10value_typeET2_T3_PNSH_ISM_E10value_typeET4_T5_PSR_SS_PNS1_23onesweep_lookback_stateEbbT6_jjT7_P12ihipStream_tbENKUlT_T0_SG_SL_E_clIS9_SA_SB_SB_EEDaSZ_S10_SG_SL_EUlSZ_E_NS1_11comp_targetILNS1_3genE9ELNS1_11target_archE1100ELNS1_3gpuE3ELNS1_3repE0EEENS1_47radix_sort_onesweep_sort_config_static_selectorELNS0_4arch9wavefront6targetE0EEEvSG_, .Lfunc_end2887-_ZN7rocprim17ROCPRIM_400000_NS6detail17trampoline_kernelINS0_14default_configENS1_35radix_sort_onesweep_config_selectorImNS0_10empty_typeEEEZZNS1_29radix_sort_onesweep_iterationIS3_Lb1EPKmPmPS5_SB_mNS0_19identity_decomposerENS1_16block_id_wrapperIjLb1EEEEE10hipError_tT1_PNSt15iterator_traitsISG_E10value_typeET2_T3_PNSH_ISM_E10value_typeET4_T5_PSR_SS_PNS1_23onesweep_lookback_stateEbbT6_jjT7_P12ihipStream_tbENKUlT_T0_SG_SL_E_clIS9_SA_SB_SB_EEDaSZ_S10_SG_SL_EUlSZ_E_NS1_11comp_targetILNS1_3genE9ELNS1_11target_archE1100ELNS1_3gpuE3ELNS1_3repE0EEENS1_47radix_sort_onesweep_sort_config_static_selectorELNS0_4arch9wavefront6targetE0EEEvSG_
                                        ; -- End function
	.set _ZN7rocprim17ROCPRIM_400000_NS6detail17trampoline_kernelINS0_14default_configENS1_35radix_sort_onesweep_config_selectorImNS0_10empty_typeEEEZZNS1_29radix_sort_onesweep_iterationIS3_Lb1EPKmPmPS5_SB_mNS0_19identity_decomposerENS1_16block_id_wrapperIjLb1EEEEE10hipError_tT1_PNSt15iterator_traitsISG_E10value_typeET2_T3_PNSH_ISM_E10value_typeET4_T5_PSR_SS_PNS1_23onesweep_lookback_stateEbbT6_jjT7_P12ihipStream_tbENKUlT_T0_SG_SL_E_clIS9_SA_SB_SB_EEDaSZ_S10_SG_SL_EUlSZ_E_NS1_11comp_targetILNS1_3genE9ELNS1_11target_archE1100ELNS1_3gpuE3ELNS1_3repE0EEENS1_47radix_sort_onesweep_sort_config_static_selectorELNS0_4arch9wavefront6targetE0EEEvSG_.num_vgpr, 0
	.set _ZN7rocprim17ROCPRIM_400000_NS6detail17trampoline_kernelINS0_14default_configENS1_35radix_sort_onesweep_config_selectorImNS0_10empty_typeEEEZZNS1_29radix_sort_onesweep_iterationIS3_Lb1EPKmPmPS5_SB_mNS0_19identity_decomposerENS1_16block_id_wrapperIjLb1EEEEE10hipError_tT1_PNSt15iterator_traitsISG_E10value_typeET2_T3_PNSH_ISM_E10value_typeET4_T5_PSR_SS_PNS1_23onesweep_lookback_stateEbbT6_jjT7_P12ihipStream_tbENKUlT_T0_SG_SL_E_clIS9_SA_SB_SB_EEDaSZ_S10_SG_SL_EUlSZ_E_NS1_11comp_targetILNS1_3genE9ELNS1_11target_archE1100ELNS1_3gpuE3ELNS1_3repE0EEENS1_47radix_sort_onesweep_sort_config_static_selectorELNS0_4arch9wavefront6targetE0EEEvSG_.num_agpr, 0
	.set _ZN7rocprim17ROCPRIM_400000_NS6detail17trampoline_kernelINS0_14default_configENS1_35radix_sort_onesweep_config_selectorImNS0_10empty_typeEEEZZNS1_29radix_sort_onesweep_iterationIS3_Lb1EPKmPmPS5_SB_mNS0_19identity_decomposerENS1_16block_id_wrapperIjLb1EEEEE10hipError_tT1_PNSt15iterator_traitsISG_E10value_typeET2_T3_PNSH_ISM_E10value_typeET4_T5_PSR_SS_PNS1_23onesweep_lookback_stateEbbT6_jjT7_P12ihipStream_tbENKUlT_T0_SG_SL_E_clIS9_SA_SB_SB_EEDaSZ_S10_SG_SL_EUlSZ_E_NS1_11comp_targetILNS1_3genE9ELNS1_11target_archE1100ELNS1_3gpuE3ELNS1_3repE0EEENS1_47radix_sort_onesweep_sort_config_static_selectorELNS0_4arch9wavefront6targetE0EEEvSG_.numbered_sgpr, 0
	.set _ZN7rocprim17ROCPRIM_400000_NS6detail17trampoline_kernelINS0_14default_configENS1_35radix_sort_onesweep_config_selectorImNS0_10empty_typeEEEZZNS1_29radix_sort_onesweep_iterationIS3_Lb1EPKmPmPS5_SB_mNS0_19identity_decomposerENS1_16block_id_wrapperIjLb1EEEEE10hipError_tT1_PNSt15iterator_traitsISG_E10value_typeET2_T3_PNSH_ISM_E10value_typeET4_T5_PSR_SS_PNS1_23onesweep_lookback_stateEbbT6_jjT7_P12ihipStream_tbENKUlT_T0_SG_SL_E_clIS9_SA_SB_SB_EEDaSZ_S10_SG_SL_EUlSZ_E_NS1_11comp_targetILNS1_3genE9ELNS1_11target_archE1100ELNS1_3gpuE3ELNS1_3repE0EEENS1_47radix_sort_onesweep_sort_config_static_selectorELNS0_4arch9wavefront6targetE0EEEvSG_.num_named_barrier, 0
	.set _ZN7rocprim17ROCPRIM_400000_NS6detail17trampoline_kernelINS0_14default_configENS1_35radix_sort_onesweep_config_selectorImNS0_10empty_typeEEEZZNS1_29radix_sort_onesweep_iterationIS3_Lb1EPKmPmPS5_SB_mNS0_19identity_decomposerENS1_16block_id_wrapperIjLb1EEEEE10hipError_tT1_PNSt15iterator_traitsISG_E10value_typeET2_T3_PNSH_ISM_E10value_typeET4_T5_PSR_SS_PNS1_23onesweep_lookback_stateEbbT6_jjT7_P12ihipStream_tbENKUlT_T0_SG_SL_E_clIS9_SA_SB_SB_EEDaSZ_S10_SG_SL_EUlSZ_E_NS1_11comp_targetILNS1_3genE9ELNS1_11target_archE1100ELNS1_3gpuE3ELNS1_3repE0EEENS1_47radix_sort_onesweep_sort_config_static_selectorELNS0_4arch9wavefront6targetE0EEEvSG_.private_seg_size, 0
	.set _ZN7rocprim17ROCPRIM_400000_NS6detail17trampoline_kernelINS0_14default_configENS1_35radix_sort_onesweep_config_selectorImNS0_10empty_typeEEEZZNS1_29radix_sort_onesweep_iterationIS3_Lb1EPKmPmPS5_SB_mNS0_19identity_decomposerENS1_16block_id_wrapperIjLb1EEEEE10hipError_tT1_PNSt15iterator_traitsISG_E10value_typeET2_T3_PNSH_ISM_E10value_typeET4_T5_PSR_SS_PNS1_23onesweep_lookback_stateEbbT6_jjT7_P12ihipStream_tbENKUlT_T0_SG_SL_E_clIS9_SA_SB_SB_EEDaSZ_S10_SG_SL_EUlSZ_E_NS1_11comp_targetILNS1_3genE9ELNS1_11target_archE1100ELNS1_3gpuE3ELNS1_3repE0EEENS1_47radix_sort_onesweep_sort_config_static_selectorELNS0_4arch9wavefront6targetE0EEEvSG_.uses_vcc, 0
	.set _ZN7rocprim17ROCPRIM_400000_NS6detail17trampoline_kernelINS0_14default_configENS1_35radix_sort_onesweep_config_selectorImNS0_10empty_typeEEEZZNS1_29radix_sort_onesweep_iterationIS3_Lb1EPKmPmPS5_SB_mNS0_19identity_decomposerENS1_16block_id_wrapperIjLb1EEEEE10hipError_tT1_PNSt15iterator_traitsISG_E10value_typeET2_T3_PNSH_ISM_E10value_typeET4_T5_PSR_SS_PNS1_23onesweep_lookback_stateEbbT6_jjT7_P12ihipStream_tbENKUlT_T0_SG_SL_E_clIS9_SA_SB_SB_EEDaSZ_S10_SG_SL_EUlSZ_E_NS1_11comp_targetILNS1_3genE9ELNS1_11target_archE1100ELNS1_3gpuE3ELNS1_3repE0EEENS1_47radix_sort_onesweep_sort_config_static_selectorELNS0_4arch9wavefront6targetE0EEEvSG_.uses_flat_scratch, 0
	.set _ZN7rocprim17ROCPRIM_400000_NS6detail17trampoline_kernelINS0_14default_configENS1_35radix_sort_onesweep_config_selectorImNS0_10empty_typeEEEZZNS1_29radix_sort_onesweep_iterationIS3_Lb1EPKmPmPS5_SB_mNS0_19identity_decomposerENS1_16block_id_wrapperIjLb1EEEEE10hipError_tT1_PNSt15iterator_traitsISG_E10value_typeET2_T3_PNSH_ISM_E10value_typeET4_T5_PSR_SS_PNS1_23onesweep_lookback_stateEbbT6_jjT7_P12ihipStream_tbENKUlT_T0_SG_SL_E_clIS9_SA_SB_SB_EEDaSZ_S10_SG_SL_EUlSZ_E_NS1_11comp_targetILNS1_3genE9ELNS1_11target_archE1100ELNS1_3gpuE3ELNS1_3repE0EEENS1_47radix_sort_onesweep_sort_config_static_selectorELNS0_4arch9wavefront6targetE0EEEvSG_.has_dyn_sized_stack, 0
	.set _ZN7rocprim17ROCPRIM_400000_NS6detail17trampoline_kernelINS0_14default_configENS1_35radix_sort_onesweep_config_selectorImNS0_10empty_typeEEEZZNS1_29radix_sort_onesweep_iterationIS3_Lb1EPKmPmPS5_SB_mNS0_19identity_decomposerENS1_16block_id_wrapperIjLb1EEEEE10hipError_tT1_PNSt15iterator_traitsISG_E10value_typeET2_T3_PNSH_ISM_E10value_typeET4_T5_PSR_SS_PNS1_23onesweep_lookback_stateEbbT6_jjT7_P12ihipStream_tbENKUlT_T0_SG_SL_E_clIS9_SA_SB_SB_EEDaSZ_S10_SG_SL_EUlSZ_E_NS1_11comp_targetILNS1_3genE9ELNS1_11target_archE1100ELNS1_3gpuE3ELNS1_3repE0EEENS1_47radix_sort_onesweep_sort_config_static_selectorELNS0_4arch9wavefront6targetE0EEEvSG_.has_recursion, 0
	.set _ZN7rocprim17ROCPRIM_400000_NS6detail17trampoline_kernelINS0_14default_configENS1_35radix_sort_onesweep_config_selectorImNS0_10empty_typeEEEZZNS1_29radix_sort_onesweep_iterationIS3_Lb1EPKmPmPS5_SB_mNS0_19identity_decomposerENS1_16block_id_wrapperIjLb1EEEEE10hipError_tT1_PNSt15iterator_traitsISG_E10value_typeET2_T3_PNSH_ISM_E10value_typeET4_T5_PSR_SS_PNS1_23onesweep_lookback_stateEbbT6_jjT7_P12ihipStream_tbENKUlT_T0_SG_SL_E_clIS9_SA_SB_SB_EEDaSZ_S10_SG_SL_EUlSZ_E_NS1_11comp_targetILNS1_3genE9ELNS1_11target_archE1100ELNS1_3gpuE3ELNS1_3repE0EEENS1_47radix_sort_onesweep_sort_config_static_selectorELNS0_4arch9wavefront6targetE0EEEvSG_.has_indirect_call, 0
	.section	.AMDGPU.csdata,"",@progbits
; Kernel info:
; codeLenInByte = 0
; TotalNumSgprs: 0
; NumVgprs: 0
; ScratchSize: 0
; MemoryBound: 0
; FloatMode: 240
; IeeeMode: 1
; LDSByteSize: 0 bytes/workgroup (compile time only)
; SGPRBlocks: 0
; VGPRBlocks: 0
; NumSGPRsForWavesPerEU: 1
; NumVGPRsForWavesPerEU: 1
; NamedBarCnt: 0
; Occupancy: 16
; WaveLimiterHint : 0
; COMPUTE_PGM_RSRC2:SCRATCH_EN: 0
; COMPUTE_PGM_RSRC2:USER_SGPR: 2
; COMPUTE_PGM_RSRC2:TRAP_HANDLER: 0
; COMPUTE_PGM_RSRC2:TGID_X_EN: 1
; COMPUTE_PGM_RSRC2:TGID_Y_EN: 0
; COMPUTE_PGM_RSRC2:TGID_Z_EN: 0
; COMPUTE_PGM_RSRC2:TIDIG_COMP_CNT: 0
	.section	.text._ZN7rocprim17ROCPRIM_400000_NS6detail17trampoline_kernelINS0_14default_configENS1_35radix_sort_onesweep_config_selectorImNS0_10empty_typeEEEZZNS1_29radix_sort_onesweep_iterationIS3_Lb1EPKmPmPS5_SB_mNS0_19identity_decomposerENS1_16block_id_wrapperIjLb1EEEEE10hipError_tT1_PNSt15iterator_traitsISG_E10value_typeET2_T3_PNSH_ISM_E10value_typeET4_T5_PSR_SS_PNS1_23onesweep_lookback_stateEbbT6_jjT7_P12ihipStream_tbENKUlT_T0_SG_SL_E_clIS9_SA_SB_SB_EEDaSZ_S10_SG_SL_EUlSZ_E_NS1_11comp_targetILNS1_3genE8ELNS1_11target_archE1030ELNS1_3gpuE2ELNS1_3repE0EEENS1_47radix_sort_onesweep_sort_config_static_selectorELNS0_4arch9wavefront6targetE0EEEvSG_,"axG",@progbits,_ZN7rocprim17ROCPRIM_400000_NS6detail17trampoline_kernelINS0_14default_configENS1_35radix_sort_onesweep_config_selectorImNS0_10empty_typeEEEZZNS1_29radix_sort_onesweep_iterationIS3_Lb1EPKmPmPS5_SB_mNS0_19identity_decomposerENS1_16block_id_wrapperIjLb1EEEEE10hipError_tT1_PNSt15iterator_traitsISG_E10value_typeET2_T3_PNSH_ISM_E10value_typeET4_T5_PSR_SS_PNS1_23onesweep_lookback_stateEbbT6_jjT7_P12ihipStream_tbENKUlT_T0_SG_SL_E_clIS9_SA_SB_SB_EEDaSZ_S10_SG_SL_EUlSZ_E_NS1_11comp_targetILNS1_3genE8ELNS1_11target_archE1030ELNS1_3gpuE2ELNS1_3repE0EEENS1_47radix_sort_onesweep_sort_config_static_selectorELNS0_4arch9wavefront6targetE0EEEvSG_,comdat
	.protected	_ZN7rocprim17ROCPRIM_400000_NS6detail17trampoline_kernelINS0_14default_configENS1_35radix_sort_onesweep_config_selectorImNS0_10empty_typeEEEZZNS1_29radix_sort_onesweep_iterationIS3_Lb1EPKmPmPS5_SB_mNS0_19identity_decomposerENS1_16block_id_wrapperIjLb1EEEEE10hipError_tT1_PNSt15iterator_traitsISG_E10value_typeET2_T3_PNSH_ISM_E10value_typeET4_T5_PSR_SS_PNS1_23onesweep_lookback_stateEbbT6_jjT7_P12ihipStream_tbENKUlT_T0_SG_SL_E_clIS9_SA_SB_SB_EEDaSZ_S10_SG_SL_EUlSZ_E_NS1_11comp_targetILNS1_3genE8ELNS1_11target_archE1030ELNS1_3gpuE2ELNS1_3repE0EEENS1_47radix_sort_onesweep_sort_config_static_selectorELNS0_4arch9wavefront6targetE0EEEvSG_ ; -- Begin function _ZN7rocprim17ROCPRIM_400000_NS6detail17trampoline_kernelINS0_14default_configENS1_35radix_sort_onesweep_config_selectorImNS0_10empty_typeEEEZZNS1_29radix_sort_onesweep_iterationIS3_Lb1EPKmPmPS5_SB_mNS0_19identity_decomposerENS1_16block_id_wrapperIjLb1EEEEE10hipError_tT1_PNSt15iterator_traitsISG_E10value_typeET2_T3_PNSH_ISM_E10value_typeET4_T5_PSR_SS_PNS1_23onesweep_lookback_stateEbbT6_jjT7_P12ihipStream_tbENKUlT_T0_SG_SL_E_clIS9_SA_SB_SB_EEDaSZ_S10_SG_SL_EUlSZ_E_NS1_11comp_targetILNS1_3genE8ELNS1_11target_archE1030ELNS1_3gpuE2ELNS1_3repE0EEENS1_47radix_sort_onesweep_sort_config_static_selectorELNS0_4arch9wavefront6targetE0EEEvSG_
	.globl	_ZN7rocprim17ROCPRIM_400000_NS6detail17trampoline_kernelINS0_14default_configENS1_35radix_sort_onesweep_config_selectorImNS0_10empty_typeEEEZZNS1_29radix_sort_onesweep_iterationIS3_Lb1EPKmPmPS5_SB_mNS0_19identity_decomposerENS1_16block_id_wrapperIjLb1EEEEE10hipError_tT1_PNSt15iterator_traitsISG_E10value_typeET2_T3_PNSH_ISM_E10value_typeET4_T5_PSR_SS_PNS1_23onesweep_lookback_stateEbbT6_jjT7_P12ihipStream_tbENKUlT_T0_SG_SL_E_clIS9_SA_SB_SB_EEDaSZ_S10_SG_SL_EUlSZ_E_NS1_11comp_targetILNS1_3genE8ELNS1_11target_archE1030ELNS1_3gpuE2ELNS1_3repE0EEENS1_47radix_sort_onesweep_sort_config_static_selectorELNS0_4arch9wavefront6targetE0EEEvSG_
	.p2align	8
	.type	_ZN7rocprim17ROCPRIM_400000_NS6detail17trampoline_kernelINS0_14default_configENS1_35radix_sort_onesweep_config_selectorImNS0_10empty_typeEEEZZNS1_29radix_sort_onesweep_iterationIS3_Lb1EPKmPmPS5_SB_mNS0_19identity_decomposerENS1_16block_id_wrapperIjLb1EEEEE10hipError_tT1_PNSt15iterator_traitsISG_E10value_typeET2_T3_PNSH_ISM_E10value_typeET4_T5_PSR_SS_PNS1_23onesweep_lookback_stateEbbT6_jjT7_P12ihipStream_tbENKUlT_T0_SG_SL_E_clIS9_SA_SB_SB_EEDaSZ_S10_SG_SL_EUlSZ_E_NS1_11comp_targetILNS1_3genE8ELNS1_11target_archE1030ELNS1_3gpuE2ELNS1_3repE0EEENS1_47radix_sort_onesweep_sort_config_static_selectorELNS0_4arch9wavefront6targetE0EEEvSG_,@function
_ZN7rocprim17ROCPRIM_400000_NS6detail17trampoline_kernelINS0_14default_configENS1_35radix_sort_onesweep_config_selectorImNS0_10empty_typeEEEZZNS1_29radix_sort_onesweep_iterationIS3_Lb1EPKmPmPS5_SB_mNS0_19identity_decomposerENS1_16block_id_wrapperIjLb1EEEEE10hipError_tT1_PNSt15iterator_traitsISG_E10value_typeET2_T3_PNSH_ISM_E10value_typeET4_T5_PSR_SS_PNS1_23onesweep_lookback_stateEbbT6_jjT7_P12ihipStream_tbENKUlT_T0_SG_SL_E_clIS9_SA_SB_SB_EEDaSZ_S10_SG_SL_EUlSZ_E_NS1_11comp_targetILNS1_3genE8ELNS1_11target_archE1030ELNS1_3gpuE2ELNS1_3repE0EEENS1_47radix_sort_onesweep_sort_config_static_selectorELNS0_4arch9wavefront6targetE0EEEvSG_: ; @_ZN7rocprim17ROCPRIM_400000_NS6detail17trampoline_kernelINS0_14default_configENS1_35radix_sort_onesweep_config_selectorImNS0_10empty_typeEEEZZNS1_29radix_sort_onesweep_iterationIS3_Lb1EPKmPmPS5_SB_mNS0_19identity_decomposerENS1_16block_id_wrapperIjLb1EEEEE10hipError_tT1_PNSt15iterator_traitsISG_E10value_typeET2_T3_PNSH_ISM_E10value_typeET4_T5_PSR_SS_PNS1_23onesweep_lookback_stateEbbT6_jjT7_P12ihipStream_tbENKUlT_T0_SG_SL_E_clIS9_SA_SB_SB_EEDaSZ_S10_SG_SL_EUlSZ_E_NS1_11comp_targetILNS1_3genE8ELNS1_11target_archE1030ELNS1_3gpuE2ELNS1_3repE0EEENS1_47radix_sort_onesweep_sort_config_static_selectorELNS0_4arch9wavefront6targetE0EEEvSG_
; %bb.0:
	.section	.rodata,"a",@progbits
	.p2align	6, 0x0
	.amdhsa_kernel _ZN7rocprim17ROCPRIM_400000_NS6detail17trampoline_kernelINS0_14default_configENS1_35radix_sort_onesweep_config_selectorImNS0_10empty_typeEEEZZNS1_29radix_sort_onesweep_iterationIS3_Lb1EPKmPmPS5_SB_mNS0_19identity_decomposerENS1_16block_id_wrapperIjLb1EEEEE10hipError_tT1_PNSt15iterator_traitsISG_E10value_typeET2_T3_PNSH_ISM_E10value_typeET4_T5_PSR_SS_PNS1_23onesweep_lookback_stateEbbT6_jjT7_P12ihipStream_tbENKUlT_T0_SG_SL_E_clIS9_SA_SB_SB_EEDaSZ_S10_SG_SL_EUlSZ_E_NS1_11comp_targetILNS1_3genE8ELNS1_11target_archE1030ELNS1_3gpuE2ELNS1_3repE0EEENS1_47radix_sort_onesweep_sort_config_static_selectorELNS0_4arch9wavefront6targetE0EEEvSG_
		.amdhsa_group_segment_fixed_size 0
		.amdhsa_private_segment_fixed_size 0
		.amdhsa_kernarg_size 88
		.amdhsa_user_sgpr_count 2
		.amdhsa_user_sgpr_dispatch_ptr 0
		.amdhsa_user_sgpr_queue_ptr 0
		.amdhsa_user_sgpr_kernarg_segment_ptr 1
		.amdhsa_user_sgpr_dispatch_id 0
		.amdhsa_user_sgpr_kernarg_preload_length 0
		.amdhsa_user_sgpr_kernarg_preload_offset 0
		.amdhsa_user_sgpr_private_segment_size 0
		.amdhsa_wavefront_size32 1
		.amdhsa_uses_dynamic_stack 0
		.amdhsa_enable_private_segment 0
		.amdhsa_system_sgpr_workgroup_id_x 1
		.amdhsa_system_sgpr_workgroup_id_y 0
		.amdhsa_system_sgpr_workgroup_id_z 0
		.amdhsa_system_sgpr_workgroup_info 0
		.amdhsa_system_vgpr_workitem_id 0
		.amdhsa_next_free_vgpr 1
		.amdhsa_next_free_sgpr 1
		.amdhsa_named_barrier_count 0
		.amdhsa_reserve_vcc 0
		.amdhsa_float_round_mode_32 0
		.amdhsa_float_round_mode_16_64 0
		.amdhsa_float_denorm_mode_32 3
		.amdhsa_float_denorm_mode_16_64 3
		.amdhsa_fp16_overflow 0
		.amdhsa_memory_ordered 1
		.amdhsa_forward_progress 1
		.amdhsa_inst_pref_size 0
		.amdhsa_round_robin_scheduling 0
		.amdhsa_exception_fp_ieee_invalid_op 0
		.amdhsa_exception_fp_denorm_src 0
		.amdhsa_exception_fp_ieee_div_zero 0
		.amdhsa_exception_fp_ieee_overflow 0
		.amdhsa_exception_fp_ieee_underflow 0
		.amdhsa_exception_fp_ieee_inexact 0
		.amdhsa_exception_int_div_zero 0
	.end_amdhsa_kernel
	.section	.text._ZN7rocprim17ROCPRIM_400000_NS6detail17trampoline_kernelINS0_14default_configENS1_35radix_sort_onesweep_config_selectorImNS0_10empty_typeEEEZZNS1_29radix_sort_onesweep_iterationIS3_Lb1EPKmPmPS5_SB_mNS0_19identity_decomposerENS1_16block_id_wrapperIjLb1EEEEE10hipError_tT1_PNSt15iterator_traitsISG_E10value_typeET2_T3_PNSH_ISM_E10value_typeET4_T5_PSR_SS_PNS1_23onesweep_lookback_stateEbbT6_jjT7_P12ihipStream_tbENKUlT_T0_SG_SL_E_clIS9_SA_SB_SB_EEDaSZ_S10_SG_SL_EUlSZ_E_NS1_11comp_targetILNS1_3genE8ELNS1_11target_archE1030ELNS1_3gpuE2ELNS1_3repE0EEENS1_47radix_sort_onesweep_sort_config_static_selectorELNS0_4arch9wavefront6targetE0EEEvSG_,"axG",@progbits,_ZN7rocprim17ROCPRIM_400000_NS6detail17trampoline_kernelINS0_14default_configENS1_35radix_sort_onesweep_config_selectorImNS0_10empty_typeEEEZZNS1_29radix_sort_onesweep_iterationIS3_Lb1EPKmPmPS5_SB_mNS0_19identity_decomposerENS1_16block_id_wrapperIjLb1EEEEE10hipError_tT1_PNSt15iterator_traitsISG_E10value_typeET2_T3_PNSH_ISM_E10value_typeET4_T5_PSR_SS_PNS1_23onesweep_lookback_stateEbbT6_jjT7_P12ihipStream_tbENKUlT_T0_SG_SL_E_clIS9_SA_SB_SB_EEDaSZ_S10_SG_SL_EUlSZ_E_NS1_11comp_targetILNS1_3genE8ELNS1_11target_archE1030ELNS1_3gpuE2ELNS1_3repE0EEENS1_47radix_sort_onesweep_sort_config_static_selectorELNS0_4arch9wavefront6targetE0EEEvSG_,comdat
.Lfunc_end2888:
	.size	_ZN7rocprim17ROCPRIM_400000_NS6detail17trampoline_kernelINS0_14default_configENS1_35radix_sort_onesweep_config_selectorImNS0_10empty_typeEEEZZNS1_29radix_sort_onesweep_iterationIS3_Lb1EPKmPmPS5_SB_mNS0_19identity_decomposerENS1_16block_id_wrapperIjLb1EEEEE10hipError_tT1_PNSt15iterator_traitsISG_E10value_typeET2_T3_PNSH_ISM_E10value_typeET4_T5_PSR_SS_PNS1_23onesweep_lookback_stateEbbT6_jjT7_P12ihipStream_tbENKUlT_T0_SG_SL_E_clIS9_SA_SB_SB_EEDaSZ_S10_SG_SL_EUlSZ_E_NS1_11comp_targetILNS1_3genE8ELNS1_11target_archE1030ELNS1_3gpuE2ELNS1_3repE0EEENS1_47radix_sort_onesweep_sort_config_static_selectorELNS0_4arch9wavefront6targetE0EEEvSG_, .Lfunc_end2888-_ZN7rocprim17ROCPRIM_400000_NS6detail17trampoline_kernelINS0_14default_configENS1_35radix_sort_onesweep_config_selectorImNS0_10empty_typeEEEZZNS1_29radix_sort_onesweep_iterationIS3_Lb1EPKmPmPS5_SB_mNS0_19identity_decomposerENS1_16block_id_wrapperIjLb1EEEEE10hipError_tT1_PNSt15iterator_traitsISG_E10value_typeET2_T3_PNSH_ISM_E10value_typeET4_T5_PSR_SS_PNS1_23onesweep_lookback_stateEbbT6_jjT7_P12ihipStream_tbENKUlT_T0_SG_SL_E_clIS9_SA_SB_SB_EEDaSZ_S10_SG_SL_EUlSZ_E_NS1_11comp_targetILNS1_3genE8ELNS1_11target_archE1030ELNS1_3gpuE2ELNS1_3repE0EEENS1_47radix_sort_onesweep_sort_config_static_selectorELNS0_4arch9wavefront6targetE0EEEvSG_
                                        ; -- End function
	.set _ZN7rocprim17ROCPRIM_400000_NS6detail17trampoline_kernelINS0_14default_configENS1_35radix_sort_onesweep_config_selectorImNS0_10empty_typeEEEZZNS1_29radix_sort_onesweep_iterationIS3_Lb1EPKmPmPS5_SB_mNS0_19identity_decomposerENS1_16block_id_wrapperIjLb1EEEEE10hipError_tT1_PNSt15iterator_traitsISG_E10value_typeET2_T3_PNSH_ISM_E10value_typeET4_T5_PSR_SS_PNS1_23onesweep_lookback_stateEbbT6_jjT7_P12ihipStream_tbENKUlT_T0_SG_SL_E_clIS9_SA_SB_SB_EEDaSZ_S10_SG_SL_EUlSZ_E_NS1_11comp_targetILNS1_3genE8ELNS1_11target_archE1030ELNS1_3gpuE2ELNS1_3repE0EEENS1_47radix_sort_onesweep_sort_config_static_selectorELNS0_4arch9wavefront6targetE0EEEvSG_.num_vgpr, 0
	.set _ZN7rocprim17ROCPRIM_400000_NS6detail17trampoline_kernelINS0_14default_configENS1_35radix_sort_onesweep_config_selectorImNS0_10empty_typeEEEZZNS1_29radix_sort_onesweep_iterationIS3_Lb1EPKmPmPS5_SB_mNS0_19identity_decomposerENS1_16block_id_wrapperIjLb1EEEEE10hipError_tT1_PNSt15iterator_traitsISG_E10value_typeET2_T3_PNSH_ISM_E10value_typeET4_T5_PSR_SS_PNS1_23onesweep_lookback_stateEbbT6_jjT7_P12ihipStream_tbENKUlT_T0_SG_SL_E_clIS9_SA_SB_SB_EEDaSZ_S10_SG_SL_EUlSZ_E_NS1_11comp_targetILNS1_3genE8ELNS1_11target_archE1030ELNS1_3gpuE2ELNS1_3repE0EEENS1_47radix_sort_onesweep_sort_config_static_selectorELNS0_4arch9wavefront6targetE0EEEvSG_.num_agpr, 0
	.set _ZN7rocprim17ROCPRIM_400000_NS6detail17trampoline_kernelINS0_14default_configENS1_35radix_sort_onesweep_config_selectorImNS0_10empty_typeEEEZZNS1_29radix_sort_onesweep_iterationIS3_Lb1EPKmPmPS5_SB_mNS0_19identity_decomposerENS1_16block_id_wrapperIjLb1EEEEE10hipError_tT1_PNSt15iterator_traitsISG_E10value_typeET2_T3_PNSH_ISM_E10value_typeET4_T5_PSR_SS_PNS1_23onesweep_lookback_stateEbbT6_jjT7_P12ihipStream_tbENKUlT_T0_SG_SL_E_clIS9_SA_SB_SB_EEDaSZ_S10_SG_SL_EUlSZ_E_NS1_11comp_targetILNS1_3genE8ELNS1_11target_archE1030ELNS1_3gpuE2ELNS1_3repE0EEENS1_47radix_sort_onesweep_sort_config_static_selectorELNS0_4arch9wavefront6targetE0EEEvSG_.numbered_sgpr, 0
	.set _ZN7rocprim17ROCPRIM_400000_NS6detail17trampoline_kernelINS0_14default_configENS1_35radix_sort_onesweep_config_selectorImNS0_10empty_typeEEEZZNS1_29radix_sort_onesweep_iterationIS3_Lb1EPKmPmPS5_SB_mNS0_19identity_decomposerENS1_16block_id_wrapperIjLb1EEEEE10hipError_tT1_PNSt15iterator_traitsISG_E10value_typeET2_T3_PNSH_ISM_E10value_typeET4_T5_PSR_SS_PNS1_23onesweep_lookback_stateEbbT6_jjT7_P12ihipStream_tbENKUlT_T0_SG_SL_E_clIS9_SA_SB_SB_EEDaSZ_S10_SG_SL_EUlSZ_E_NS1_11comp_targetILNS1_3genE8ELNS1_11target_archE1030ELNS1_3gpuE2ELNS1_3repE0EEENS1_47radix_sort_onesweep_sort_config_static_selectorELNS0_4arch9wavefront6targetE0EEEvSG_.num_named_barrier, 0
	.set _ZN7rocprim17ROCPRIM_400000_NS6detail17trampoline_kernelINS0_14default_configENS1_35radix_sort_onesweep_config_selectorImNS0_10empty_typeEEEZZNS1_29radix_sort_onesweep_iterationIS3_Lb1EPKmPmPS5_SB_mNS0_19identity_decomposerENS1_16block_id_wrapperIjLb1EEEEE10hipError_tT1_PNSt15iterator_traitsISG_E10value_typeET2_T3_PNSH_ISM_E10value_typeET4_T5_PSR_SS_PNS1_23onesweep_lookback_stateEbbT6_jjT7_P12ihipStream_tbENKUlT_T0_SG_SL_E_clIS9_SA_SB_SB_EEDaSZ_S10_SG_SL_EUlSZ_E_NS1_11comp_targetILNS1_3genE8ELNS1_11target_archE1030ELNS1_3gpuE2ELNS1_3repE0EEENS1_47radix_sort_onesweep_sort_config_static_selectorELNS0_4arch9wavefront6targetE0EEEvSG_.private_seg_size, 0
	.set _ZN7rocprim17ROCPRIM_400000_NS6detail17trampoline_kernelINS0_14default_configENS1_35radix_sort_onesweep_config_selectorImNS0_10empty_typeEEEZZNS1_29radix_sort_onesweep_iterationIS3_Lb1EPKmPmPS5_SB_mNS0_19identity_decomposerENS1_16block_id_wrapperIjLb1EEEEE10hipError_tT1_PNSt15iterator_traitsISG_E10value_typeET2_T3_PNSH_ISM_E10value_typeET4_T5_PSR_SS_PNS1_23onesweep_lookback_stateEbbT6_jjT7_P12ihipStream_tbENKUlT_T0_SG_SL_E_clIS9_SA_SB_SB_EEDaSZ_S10_SG_SL_EUlSZ_E_NS1_11comp_targetILNS1_3genE8ELNS1_11target_archE1030ELNS1_3gpuE2ELNS1_3repE0EEENS1_47radix_sort_onesweep_sort_config_static_selectorELNS0_4arch9wavefront6targetE0EEEvSG_.uses_vcc, 0
	.set _ZN7rocprim17ROCPRIM_400000_NS6detail17trampoline_kernelINS0_14default_configENS1_35radix_sort_onesweep_config_selectorImNS0_10empty_typeEEEZZNS1_29radix_sort_onesweep_iterationIS3_Lb1EPKmPmPS5_SB_mNS0_19identity_decomposerENS1_16block_id_wrapperIjLb1EEEEE10hipError_tT1_PNSt15iterator_traitsISG_E10value_typeET2_T3_PNSH_ISM_E10value_typeET4_T5_PSR_SS_PNS1_23onesweep_lookback_stateEbbT6_jjT7_P12ihipStream_tbENKUlT_T0_SG_SL_E_clIS9_SA_SB_SB_EEDaSZ_S10_SG_SL_EUlSZ_E_NS1_11comp_targetILNS1_3genE8ELNS1_11target_archE1030ELNS1_3gpuE2ELNS1_3repE0EEENS1_47radix_sort_onesweep_sort_config_static_selectorELNS0_4arch9wavefront6targetE0EEEvSG_.uses_flat_scratch, 0
	.set _ZN7rocprim17ROCPRIM_400000_NS6detail17trampoline_kernelINS0_14default_configENS1_35radix_sort_onesweep_config_selectorImNS0_10empty_typeEEEZZNS1_29radix_sort_onesweep_iterationIS3_Lb1EPKmPmPS5_SB_mNS0_19identity_decomposerENS1_16block_id_wrapperIjLb1EEEEE10hipError_tT1_PNSt15iterator_traitsISG_E10value_typeET2_T3_PNSH_ISM_E10value_typeET4_T5_PSR_SS_PNS1_23onesweep_lookback_stateEbbT6_jjT7_P12ihipStream_tbENKUlT_T0_SG_SL_E_clIS9_SA_SB_SB_EEDaSZ_S10_SG_SL_EUlSZ_E_NS1_11comp_targetILNS1_3genE8ELNS1_11target_archE1030ELNS1_3gpuE2ELNS1_3repE0EEENS1_47radix_sort_onesweep_sort_config_static_selectorELNS0_4arch9wavefront6targetE0EEEvSG_.has_dyn_sized_stack, 0
	.set _ZN7rocprim17ROCPRIM_400000_NS6detail17trampoline_kernelINS0_14default_configENS1_35radix_sort_onesweep_config_selectorImNS0_10empty_typeEEEZZNS1_29radix_sort_onesweep_iterationIS3_Lb1EPKmPmPS5_SB_mNS0_19identity_decomposerENS1_16block_id_wrapperIjLb1EEEEE10hipError_tT1_PNSt15iterator_traitsISG_E10value_typeET2_T3_PNSH_ISM_E10value_typeET4_T5_PSR_SS_PNS1_23onesweep_lookback_stateEbbT6_jjT7_P12ihipStream_tbENKUlT_T0_SG_SL_E_clIS9_SA_SB_SB_EEDaSZ_S10_SG_SL_EUlSZ_E_NS1_11comp_targetILNS1_3genE8ELNS1_11target_archE1030ELNS1_3gpuE2ELNS1_3repE0EEENS1_47radix_sort_onesweep_sort_config_static_selectorELNS0_4arch9wavefront6targetE0EEEvSG_.has_recursion, 0
	.set _ZN7rocprim17ROCPRIM_400000_NS6detail17trampoline_kernelINS0_14default_configENS1_35radix_sort_onesweep_config_selectorImNS0_10empty_typeEEEZZNS1_29radix_sort_onesweep_iterationIS3_Lb1EPKmPmPS5_SB_mNS0_19identity_decomposerENS1_16block_id_wrapperIjLb1EEEEE10hipError_tT1_PNSt15iterator_traitsISG_E10value_typeET2_T3_PNSH_ISM_E10value_typeET4_T5_PSR_SS_PNS1_23onesweep_lookback_stateEbbT6_jjT7_P12ihipStream_tbENKUlT_T0_SG_SL_E_clIS9_SA_SB_SB_EEDaSZ_S10_SG_SL_EUlSZ_E_NS1_11comp_targetILNS1_3genE8ELNS1_11target_archE1030ELNS1_3gpuE2ELNS1_3repE0EEENS1_47radix_sort_onesweep_sort_config_static_selectorELNS0_4arch9wavefront6targetE0EEEvSG_.has_indirect_call, 0
	.section	.AMDGPU.csdata,"",@progbits
; Kernel info:
; codeLenInByte = 0
; TotalNumSgprs: 0
; NumVgprs: 0
; ScratchSize: 0
; MemoryBound: 0
; FloatMode: 240
; IeeeMode: 1
; LDSByteSize: 0 bytes/workgroup (compile time only)
; SGPRBlocks: 0
; VGPRBlocks: 0
; NumSGPRsForWavesPerEU: 1
; NumVGPRsForWavesPerEU: 1
; NamedBarCnt: 0
; Occupancy: 16
; WaveLimiterHint : 0
; COMPUTE_PGM_RSRC2:SCRATCH_EN: 0
; COMPUTE_PGM_RSRC2:USER_SGPR: 2
; COMPUTE_PGM_RSRC2:TRAP_HANDLER: 0
; COMPUTE_PGM_RSRC2:TGID_X_EN: 1
; COMPUTE_PGM_RSRC2:TGID_Y_EN: 0
; COMPUTE_PGM_RSRC2:TGID_Z_EN: 0
; COMPUTE_PGM_RSRC2:TIDIG_COMP_CNT: 0
	.section	.text._ZN7rocprim17ROCPRIM_400000_NS6detail17trampoline_kernelINS0_14default_configENS1_35radix_sort_onesweep_config_selectorImNS0_10empty_typeEEEZZNS1_29radix_sort_onesweep_iterationIS3_Lb1EPKmPmPS5_SB_mNS0_19identity_decomposerENS1_16block_id_wrapperIjLb1EEEEE10hipError_tT1_PNSt15iterator_traitsISG_E10value_typeET2_T3_PNSH_ISM_E10value_typeET4_T5_PSR_SS_PNS1_23onesweep_lookback_stateEbbT6_jjT7_P12ihipStream_tbENKUlT_T0_SG_SL_E_clISA_SA_SB_SB_EEDaSZ_S10_SG_SL_EUlSZ_E_NS1_11comp_targetILNS1_3genE0ELNS1_11target_archE4294967295ELNS1_3gpuE0ELNS1_3repE0EEENS1_47radix_sort_onesweep_sort_config_static_selectorELNS0_4arch9wavefront6targetE0EEEvSG_,"axG",@progbits,_ZN7rocprim17ROCPRIM_400000_NS6detail17trampoline_kernelINS0_14default_configENS1_35radix_sort_onesweep_config_selectorImNS0_10empty_typeEEEZZNS1_29radix_sort_onesweep_iterationIS3_Lb1EPKmPmPS5_SB_mNS0_19identity_decomposerENS1_16block_id_wrapperIjLb1EEEEE10hipError_tT1_PNSt15iterator_traitsISG_E10value_typeET2_T3_PNSH_ISM_E10value_typeET4_T5_PSR_SS_PNS1_23onesweep_lookback_stateEbbT6_jjT7_P12ihipStream_tbENKUlT_T0_SG_SL_E_clISA_SA_SB_SB_EEDaSZ_S10_SG_SL_EUlSZ_E_NS1_11comp_targetILNS1_3genE0ELNS1_11target_archE4294967295ELNS1_3gpuE0ELNS1_3repE0EEENS1_47radix_sort_onesweep_sort_config_static_selectorELNS0_4arch9wavefront6targetE0EEEvSG_,comdat
	.protected	_ZN7rocprim17ROCPRIM_400000_NS6detail17trampoline_kernelINS0_14default_configENS1_35radix_sort_onesweep_config_selectorImNS0_10empty_typeEEEZZNS1_29radix_sort_onesweep_iterationIS3_Lb1EPKmPmPS5_SB_mNS0_19identity_decomposerENS1_16block_id_wrapperIjLb1EEEEE10hipError_tT1_PNSt15iterator_traitsISG_E10value_typeET2_T3_PNSH_ISM_E10value_typeET4_T5_PSR_SS_PNS1_23onesweep_lookback_stateEbbT6_jjT7_P12ihipStream_tbENKUlT_T0_SG_SL_E_clISA_SA_SB_SB_EEDaSZ_S10_SG_SL_EUlSZ_E_NS1_11comp_targetILNS1_3genE0ELNS1_11target_archE4294967295ELNS1_3gpuE0ELNS1_3repE0EEENS1_47radix_sort_onesweep_sort_config_static_selectorELNS0_4arch9wavefront6targetE0EEEvSG_ ; -- Begin function _ZN7rocprim17ROCPRIM_400000_NS6detail17trampoline_kernelINS0_14default_configENS1_35radix_sort_onesweep_config_selectorImNS0_10empty_typeEEEZZNS1_29radix_sort_onesweep_iterationIS3_Lb1EPKmPmPS5_SB_mNS0_19identity_decomposerENS1_16block_id_wrapperIjLb1EEEEE10hipError_tT1_PNSt15iterator_traitsISG_E10value_typeET2_T3_PNSH_ISM_E10value_typeET4_T5_PSR_SS_PNS1_23onesweep_lookback_stateEbbT6_jjT7_P12ihipStream_tbENKUlT_T0_SG_SL_E_clISA_SA_SB_SB_EEDaSZ_S10_SG_SL_EUlSZ_E_NS1_11comp_targetILNS1_3genE0ELNS1_11target_archE4294967295ELNS1_3gpuE0ELNS1_3repE0EEENS1_47radix_sort_onesweep_sort_config_static_selectorELNS0_4arch9wavefront6targetE0EEEvSG_
	.globl	_ZN7rocprim17ROCPRIM_400000_NS6detail17trampoline_kernelINS0_14default_configENS1_35radix_sort_onesweep_config_selectorImNS0_10empty_typeEEEZZNS1_29radix_sort_onesweep_iterationIS3_Lb1EPKmPmPS5_SB_mNS0_19identity_decomposerENS1_16block_id_wrapperIjLb1EEEEE10hipError_tT1_PNSt15iterator_traitsISG_E10value_typeET2_T3_PNSH_ISM_E10value_typeET4_T5_PSR_SS_PNS1_23onesweep_lookback_stateEbbT6_jjT7_P12ihipStream_tbENKUlT_T0_SG_SL_E_clISA_SA_SB_SB_EEDaSZ_S10_SG_SL_EUlSZ_E_NS1_11comp_targetILNS1_3genE0ELNS1_11target_archE4294967295ELNS1_3gpuE0ELNS1_3repE0EEENS1_47radix_sort_onesweep_sort_config_static_selectorELNS0_4arch9wavefront6targetE0EEEvSG_
	.p2align	8
	.type	_ZN7rocprim17ROCPRIM_400000_NS6detail17trampoline_kernelINS0_14default_configENS1_35radix_sort_onesweep_config_selectorImNS0_10empty_typeEEEZZNS1_29radix_sort_onesweep_iterationIS3_Lb1EPKmPmPS5_SB_mNS0_19identity_decomposerENS1_16block_id_wrapperIjLb1EEEEE10hipError_tT1_PNSt15iterator_traitsISG_E10value_typeET2_T3_PNSH_ISM_E10value_typeET4_T5_PSR_SS_PNS1_23onesweep_lookback_stateEbbT6_jjT7_P12ihipStream_tbENKUlT_T0_SG_SL_E_clISA_SA_SB_SB_EEDaSZ_S10_SG_SL_EUlSZ_E_NS1_11comp_targetILNS1_3genE0ELNS1_11target_archE4294967295ELNS1_3gpuE0ELNS1_3repE0EEENS1_47radix_sort_onesweep_sort_config_static_selectorELNS0_4arch9wavefront6targetE0EEEvSG_,@function
_ZN7rocprim17ROCPRIM_400000_NS6detail17trampoline_kernelINS0_14default_configENS1_35radix_sort_onesweep_config_selectorImNS0_10empty_typeEEEZZNS1_29radix_sort_onesweep_iterationIS3_Lb1EPKmPmPS5_SB_mNS0_19identity_decomposerENS1_16block_id_wrapperIjLb1EEEEE10hipError_tT1_PNSt15iterator_traitsISG_E10value_typeET2_T3_PNSH_ISM_E10value_typeET4_T5_PSR_SS_PNS1_23onesweep_lookback_stateEbbT6_jjT7_P12ihipStream_tbENKUlT_T0_SG_SL_E_clISA_SA_SB_SB_EEDaSZ_S10_SG_SL_EUlSZ_E_NS1_11comp_targetILNS1_3genE0ELNS1_11target_archE4294967295ELNS1_3gpuE0ELNS1_3repE0EEENS1_47radix_sort_onesweep_sort_config_static_selectorELNS0_4arch9wavefront6targetE0EEEvSG_: ; @_ZN7rocprim17ROCPRIM_400000_NS6detail17trampoline_kernelINS0_14default_configENS1_35radix_sort_onesweep_config_selectorImNS0_10empty_typeEEEZZNS1_29radix_sort_onesweep_iterationIS3_Lb1EPKmPmPS5_SB_mNS0_19identity_decomposerENS1_16block_id_wrapperIjLb1EEEEE10hipError_tT1_PNSt15iterator_traitsISG_E10value_typeET2_T3_PNSH_ISM_E10value_typeET4_T5_PSR_SS_PNS1_23onesweep_lookback_stateEbbT6_jjT7_P12ihipStream_tbENKUlT_T0_SG_SL_E_clISA_SA_SB_SB_EEDaSZ_S10_SG_SL_EUlSZ_E_NS1_11comp_targetILNS1_3genE0ELNS1_11target_archE4294967295ELNS1_3gpuE0ELNS1_3repE0EEENS1_47radix_sort_onesweep_sort_config_static_selectorELNS0_4arch9wavefront6targetE0EEEvSG_
; %bb.0:
	s_clause 0x1
	s_load_b128 s[8:11], s[0:1], 0x28
	s_load_b64 s[20:21], s[0:1], 0x38
	v_and_b32_e32 v32, 0x3ff, v0
	s_delay_alu instid0(VALU_DEP_1)
	v_cmp_eq_u32_e64 s2, 0, v32
	s_and_saveexec_b32 s3, s2
	s_cbranch_execz .LBB2889_4
; %bb.1:
	s_mov_b32 s5, exec_lo
	s_mov_b32 s4, exec_lo
	v_mbcnt_lo_u32_b32 v1, s5, 0
                                        ; implicit-def: $vgpr2
	s_delay_alu instid0(VALU_DEP_1)
	v_cmpx_eq_u32_e32 0, v1
	s_cbranch_execz .LBB2889_3
; %bb.2:
	s_load_b64 s[6:7], s[0:1], 0x50
	s_bcnt1_i32_b32 s5, s5
	s_delay_alu instid0(SALU_CYCLE_1)
	v_dual_mov_b32 v2, 0 :: v_dual_mov_b32 v3, s5
	s_wait_xcnt 0x0
	s_wait_kmcnt 0x0
	global_atomic_add_u32 v2, v2, v3, s[6:7] th:TH_ATOMIC_RETURN scope:SCOPE_DEV
.LBB2889_3:
	s_wait_xcnt 0x0
	s_or_b32 exec_lo, exec_lo, s4
	s_wait_loadcnt 0x0
	v_readfirstlane_b32 s4, v2
	s_delay_alu instid0(VALU_DEP_1)
	v_dual_mov_b32 v2, 0 :: v_dual_add_nc_u32 v1, s4, v1
	ds_store_b32 v2, v1 offset:18496
.LBB2889_4:
	s_or_b32 exec_lo, exec_lo, s3
	v_dual_mov_b32 v7, 0 :: v_dual_lshlrev_b32 v2, 3, v32
	s_clause 0x2
	s_load_b128 s[12:15], s[0:1], 0x0
	s_load_b32 s3, s[0:1], 0x20
	s_load_b96 s[16:18], s[0:1], 0x44
	s_wait_dscnt 0x0
	s_barrier_signal -1
	s_barrier_wait -1
	ds_load_b32 v1, v7 offset:18496
	v_mbcnt_lo_u32_b32 v33, -1, 0
	s_mov_b32 s4, -1
	s_add_nc_u64 s[22:23], s[0:1], 0x58
	s_getreg_b32 s7, hwreg(HW_REG_IB_STS2, 6, 4)
	s_wait_dscnt 0x0
	s_barrier_signal -1
	s_barrier_wait -1
	s_wait_kmcnt 0x0
	v_cmp_le_u32_e32 vcc_lo, s18, v1
	v_readfirstlane_b32 s19, v1
	s_cbranch_vccz .LBB2889_70
; %bb.5:
	s_lshl_b32 s4, s19, 12
	s_mov_b32 s5, 0
	v_lshlrev_b32_e32 v6, 3, v33
	s_lshl_b64 s[4:5], s[4:5], 3
	v_and_b32_e32 v1, 0x1f00, v2
	s_add_nc_u64 s[4:5], s[12:13], s[4:5]
	v_mov_b64_e32 v[4:5], -1
	v_add_nc_u64_e32 v[8:9], s[4:5], v[6:7]
	s_lshl_b32 s4, s18, 12
	v_dual_lshlrev_b32 v6, 3, v1 :: v_dual_bitop2_b32 v1, v33, v1 bitop3:0x54
	s_sub_co_i32 s18, s3, s4
	s_mov_b32 s3, exec_lo
	s_delay_alu instid0(VALU_DEP_1)
	v_add_nc_u64_e32 v[20:21], v[8:9], v[6:7]
	v_mov_b64_e32 v[6:7], -1
	v_cmpx_gt_u32_e64 s18, v1
	s_cbranch_execz .LBB2889_7
; %bb.6:
	global_load_b64 v[6:7], v[20:21], off
	s_wait_loadcnt 0x0
	v_not_b32_e32 v7, v7
	v_not_b32_e32 v6, v6
.LBB2889_7:
	s_or_b32 exec_lo, exec_lo, s3
	v_or_b32_e32 v3, 32, v1
	s_mov_b32 s3, exec_lo
	s_delay_alu instid0(VALU_DEP_1)
	v_cmpx_gt_u32_e64 s18, v3
	s_cbranch_execz .LBB2889_9
; %bb.8:
	global_load_b64 v[4:5], v[20:21], off offset:256
	s_wait_loadcnt 0x0
	v_not_b32_e32 v5, v5
	v_not_b32_e32 v4, v4
.LBB2889_9:
	s_or_b32 exec_lo, exec_lo, s3
	v_mov_b64_e32 v[8:9], -1
	v_mov_b64_e32 v[10:11], -1
	v_or_b32_e32 v3, 64, v1
	s_mov_b32 s3, exec_lo
	s_delay_alu instid0(VALU_DEP_1)
	v_cmpx_gt_u32_e64 s18, v3
	s_cbranch_execz .LBB2889_11
; %bb.10:
	global_load_b64 v[10:11], v[20:21], off offset:512
	s_wait_loadcnt 0x0
	v_not_b32_e32 v11, v11
	v_not_b32_e32 v10, v10
.LBB2889_11:
	s_or_b32 exec_lo, exec_lo, s3
	v_or_b32_e32 v3, 0x60, v1
	s_mov_b32 s3, exec_lo
	s_delay_alu instid0(VALU_DEP_1)
	v_cmpx_gt_u32_e64 s18, v3
	s_cbranch_execz .LBB2889_13
; %bb.12:
	global_load_b64 v[8:9], v[20:21], off offset:768
	s_wait_loadcnt 0x0
	v_not_b32_e32 v9, v9
	v_not_b32_e32 v8, v8
.LBB2889_13:
	s_or_b32 exec_lo, exec_lo, s3
	v_mov_b64_e32 v[12:13], -1
	v_mov_b64_e32 v[14:15], -1
	v_or_b32_e32 v3, 0x80, v1
	s_mov_b32 s3, exec_lo
	s_delay_alu instid0(VALU_DEP_1)
	v_cmpx_gt_u32_e64 s18, v3
	s_cbranch_execz .LBB2889_15
; %bb.14:
	global_load_b64 v[14:15], v[20:21], off offset:1024
	s_wait_loadcnt 0x0
	v_not_b32_e32 v15, v15
	v_not_b32_e32 v14, v14
.LBB2889_15:
	;; [unrolled: 26-line block ×3, first 2 shown]
	s_or_b32 exec_lo, exec_lo, s3
	v_or_b32_e32 v1, 0xe0, v1
	s_mov_b32 s3, exec_lo
	s_delay_alu instid0(VALU_DEP_1)
	v_cmpx_gt_u32_e64 s18, v1
	s_cbranch_execz .LBB2889_21
; %bb.20:
	global_load_b64 v[16:17], v[20:21], off offset:1792
	s_wait_loadcnt 0x0
	v_not_b32_e32 v17, v17
	v_not_b32_e32 v16, v16
.LBB2889_21:
	s_or_b32 exec_lo, exec_lo, s3
	s_clause 0x1
	s_load_b32 s24, s[0:1], 0x58
	s_load_u16 s3, s[0:1], 0x66
	s_bfe_u32 s4, ttmp6, 0x4000c
	s_and_b32 s5, ttmp6, 15
	s_add_co_i32 s4, s4, 1
	v_lshrrev_b64 v[20:21], s16, v[6:7]
	s_mul_i32 s4, ttmp9, s4
	v_bfe_u32 v1, v0, 10, 10
	s_add_co_i32 s5, s5, s4
	s_cmp_eq_u32 s7, 0
	v_bfe_u32 v3, v0, 20, 10
	s_cselect_b32 s4, ttmp9, s5
	s_mov_b32 s5, 0
	s_wait_kmcnt 0x0
	s_cmp_lt_u32 s4, s24
	v_mad_u32_u24 v1, v3, s3, v1
	s_cselect_b32 s4, 12, 18
	s_lshl_b32 s25, -1, s17
	s_add_nc_u64 s[4:5], s[22:23], s[4:5]
	v_bitop3_b32 v3, v20, 1, s25 bitop3:0x40
	v_bitop3_b32 v22, v20, s25, v20 bitop3:0x30
	s_load_u16 s26, s[4:5], 0x0
	s_not_b32 s25, s25
	s_delay_alu instid0(VALU_DEP_2) | instskip(NEXT) | instid1(VALU_DEP_1)
	v_add_co_u32 v3, s3, v3, -1
	v_cndmask_b32_e64 v20, 0, 1, s3
	v_dual_lshlrev_b32 v21, 30, v22 :: v_dual_lshlrev_b32 v23, 29, v22
	v_dual_lshlrev_b32 v24, 28, v22 :: v_dual_lshlrev_b32 v25, 27, v22
	s_delay_alu instid0(VALU_DEP_3) | instskip(NEXT) | instid1(VALU_DEP_3)
	v_cmp_ne_u32_e32 vcc_lo, 0, v20
	v_not_b32_e32 v20, v21
	v_lshlrev_b32_e32 v28, 24, v22
	v_cmp_gt_i32_e64 s3, 0, v21
	s_wait_xcnt 0x0
	v_cmp_gt_i32_e64 s4, 0, v23
	v_not_b32_e32 v21, v23
	v_not_b32_e32 v23, v24
	v_dual_ashrrev_i32 v20, 31, v20 :: v_dual_lshlrev_b32 v26, 26, v22
	v_lshlrev_b32_e32 v27, 25, v22
	v_cmp_gt_i32_e64 s5, 0, v24
	v_dual_ashrrev_i32 v21, 31, v21 :: v_dual_bitop2_b32 v3, vcc_lo, v3 bitop3:0x14
	s_delay_alu instid0(VALU_DEP_4)
	v_dual_ashrrev_i32 v23, 31, v23 :: v_dual_bitop2_b32 v20, s3, v20 bitop3:0x14
	v_cmp_gt_i32_e64 s6, 0, v25
	v_not_b32_e32 v24, v25
	v_not_b32_e32 v25, v26
	v_xor_b32_e32 v21, s4, v21
	v_xor_b32_e32 v23, s5, v23
	v_bitop3_b32 v3, v3, v20, exec_lo bitop3:0x80
	s_wait_kmcnt 0x0
	v_mad_u32 v1, v1, s26, v32
	v_cmp_gt_i32_e32 vcc_lo, 0, v26
	v_dual_ashrrev_i32 v20, 31, v24 :: v_dual_ashrrev_i32 v24, 31, v25
	v_not_b32_e32 v25, v27
	v_bitop3_b32 v21, v3, v23, v21 bitop3:0x80
	v_not_b32_e32 v3, v28
	s_delay_alu instid0(VALU_DEP_4)
	v_xor_b32_e32 v20, s6, v20
	v_xor_b32_e32 v23, vcc_lo, v24
	v_cmp_gt_i32_e32 vcc_lo, 0, v27
	v_ashrrev_i32_e32 v24, 31, v25
	v_cmp_gt_i32_e64 s3, 0, v28
	v_dual_ashrrev_i32 v25, 31, v3 :: v_dual_lshrrev_b32 v1, 5, v1
	v_bitop3_b32 v21, v21, v23, v20 bitop3:0x80
	s_delay_alu instid0(VALU_DEP_4) | instskip(SKIP_1) | instid1(VALU_DEP_4)
	v_xor_b32_e32 v23, vcc_lo, v24
	v_mul_u32_u24_e32 v3, 36, v32
	v_dual_mov_b32 v25, 0 :: v_dual_bitop2_b32 v24, s3, v25 bitop3:0x14
	v_lshlrev_b32_e32 v20, 2, v1
	ds_store_2addr_b32 v3, v25, v25 offset0:16 offset1:17
	ds_store_2addr_b32 v3, v25, v25 offset0:18 offset1:19
	;; [unrolled: 1-line block ×4, first 2 shown]
	v_bitop3_b32 v21, v21, v24, v23 bitop3:0x80
	v_mad_u32 v28, 0x44, v22, v20
	ds_store_b32 v3, v25 offset:96
	s_wait_dscnt 0x0
	s_barrier_signal -1
	v_mbcnt_lo_u32_b32 v1, v21, 0
	v_cmp_ne_u32_e64 s3, 0, v21
	s_barrier_wait -1
	s_delay_alu instid0(VALU_DEP_2) | instskip(SKIP_1) | instid1(SALU_CYCLE_1)
	v_cmp_eq_u32_e32 vcc_lo, 0, v1
	; wave barrier
	s_and_b32 s4, s3, vcc_lo
	s_and_saveexec_b32 s3, s4
; %bb.22:
	v_bcnt_u32_b32 v21, v21, 0
	ds_store_b32 v28, v21 offset:64
; %bb.23:
	s_or_b32 exec_lo, exec_lo, s3
	v_lshrrev_b64 v[22:23], s16, v[4:5]
	; wave barrier
	s_delay_alu instid0(VALU_DEP_1) | instskip(SKIP_1) | instid1(VALU_DEP_2)
	v_and_b32_e32 v21, s25, v22
	v_bitop3_b32 v22, v22, 1, s25 bitop3:0x80
	v_lshlrev_b32_e32 v24, 30, v21
	s_delay_alu instid0(VALU_DEP_2) | instskip(NEXT) | instid1(VALU_DEP_1)
	v_add_co_u32 v22, s3, v22, -1
	v_cndmask_b32_e64 v23, 0, 1, s3
	s_delay_alu instid0(VALU_DEP_1) | instskip(NEXT) | instid1(VALU_DEP_4)
	v_cmp_ne_u32_e32 vcc_lo, 0, v23
	v_not_b32_e32 v23, v24
	s_delay_alu instid0(VALU_DEP_1) | instskip(SKIP_4) | instid1(VALU_DEP_4)
	v_dual_ashrrev_i32 v23, 31, v23 :: v_dual_bitop2_b32 v22, vcc_lo, v22 bitop3:0x14
	v_dual_lshlrev_b32 v25, 29, v21 :: v_dual_lshlrev_b32 v26, 28, v21
	v_lshlrev_b32_e32 v27, 27, v21
	v_cmp_gt_i32_e64 s3, 0, v24
	v_mad_u32 v29, 0x44, v21, v20
	v_cmp_gt_i32_e64 s4, 0, v25
	v_not_b32_e32 v24, v25
	v_not_b32_e32 v25, v26
	v_dual_lshlrev_b32 v30, 26, v21 :: v_dual_lshlrev_b32 v31, 25, v21
	v_lshlrev_b32_e32 v21, 24, v21
	v_cmp_gt_i32_e64 s5, 0, v26
	v_not_b32_e32 v26, v27
	v_dual_ashrrev_i32 v24, 31, v24 :: v_dual_ashrrev_i32 v25, 31, v25
	v_xor_b32_e32 v23, s3, v23
	v_cmp_gt_i32_e64 s6, 0, v27
	v_not_b32_e32 v27, v30
	s_delay_alu instid0(VALU_DEP_4)
	v_dual_ashrrev_i32 v26, 31, v26 :: v_dual_bitop2_b32 v24, s4, v24 bitop3:0x14
	v_xor_b32_e32 v25, s5, v25
	v_bitop3_b32 v22, v22, v23, exec_lo bitop3:0x80
	v_cmp_gt_i32_e32 vcc_lo, 0, v30
	v_ashrrev_i32_e32 v23, 31, v27
	v_not_b32_e32 v27, v31
	v_xor_b32_e32 v26, s6, v26
	v_bitop3_b32 v22, v22, v25, v24 bitop3:0x80
	v_not_b32_e32 v24, v21
	v_xor_b32_e32 v23, vcc_lo, v23
	v_cmp_gt_i32_e32 vcc_lo, 0, v31
	v_ashrrev_i32_e32 v25, 31, v27
	v_cmp_gt_i32_e64 s3, 0, v21
	v_ashrrev_i32_e32 v21, 31, v24
	v_bitop3_b32 v22, v22, v23, v26 bitop3:0x80
	ds_load_b32 v34, v29 offset:64
	v_xor_b32_e32 v23, vcc_lo, v25
	v_xor_b32_e32 v21, s3, v21
	; wave barrier
	s_delay_alu instid0(VALU_DEP_1) | instskip(NEXT) | instid1(VALU_DEP_1)
	v_bitop3_b32 v21, v22, v21, v23 bitop3:0x80
	v_mbcnt_lo_u32_b32 v35, v21, 0
	v_cmp_ne_u32_e64 s3, 0, v21
	s_delay_alu instid0(VALU_DEP_2) | instskip(SKIP_1) | instid1(SALU_CYCLE_1)
	v_cmp_eq_u32_e32 vcc_lo, 0, v35
	s_and_b32 s4, s3, vcc_lo
	s_and_saveexec_b32 s3, s4
	s_cbranch_execz .LBB2889_25
; %bb.24:
	s_wait_dscnt 0x0
	v_bcnt_u32_b32 v21, v21, v34
	ds_store_b32 v29, v21 offset:64
.LBB2889_25:
	s_or_b32 exec_lo, exec_lo, s3
	v_lshrrev_b64 v[22:23], s16, v[10:11]
	; wave barrier
	s_delay_alu instid0(VALU_DEP_1) | instskip(SKIP_1) | instid1(VALU_DEP_2)
	v_and_b32_e32 v21, s25, v22
	v_bitop3_b32 v22, v22, 1, s25 bitop3:0x80
	v_lshlrev_b32_e32 v24, 30, v21
	s_delay_alu instid0(VALU_DEP_2) | instskip(NEXT) | instid1(VALU_DEP_1)
	v_add_co_u32 v22, s3, v22, -1
	v_cndmask_b32_e64 v23, 0, 1, s3
	s_delay_alu instid0(VALU_DEP_1) | instskip(NEXT) | instid1(VALU_DEP_4)
	v_cmp_ne_u32_e32 vcc_lo, 0, v23
	v_not_b32_e32 v23, v24
	s_delay_alu instid0(VALU_DEP_1) | instskip(SKIP_4) | instid1(VALU_DEP_4)
	v_dual_ashrrev_i32 v23, 31, v23 :: v_dual_bitop2_b32 v22, vcc_lo, v22 bitop3:0x14
	v_dual_lshlrev_b32 v25, 29, v21 :: v_dual_lshlrev_b32 v26, 28, v21
	v_lshlrev_b32_e32 v27, 27, v21
	v_cmp_gt_i32_e64 s3, 0, v24
	v_mad_u32 v30, 0x44, v21, v20
	v_cmp_gt_i32_e64 s4, 0, v25
	v_not_b32_e32 v24, v25
	v_not_b32_e32 v25, v26
	v_dual_lshlrev_b32 v31, 26, v21 :: v_dual_lshlrev_b32 v36, 25, v21
	v_lshlrev_b32_e32 v21, 24, v21
	v_cmp_gt_i32_e64 s5, 0, v26
	v_not_b32_e32 v26, v27
	v_dual_ashrrev_i32 v24, 31, v24 :: v_dual_ashrrev_i32 v25, 31, v25
	v_xor_b32_e32 v23, s3, v23
	v_cmp_gt_i32_e64 s6, 0, v27
	v_not_b32_e32 v27, v31
	s_delay_alu instid0(VALU_DEP_4)
	v_dual_ashrrev_i32 v26, 31, v26 :: v_dual_bitop2_b32 v24, s4, v24 bitop3:0x14
	v_xor_b32_e32 v25, s5, v25
	v_bitop3_b32 v22, v22, v23, exec_lo bitop3:0x80
	v_cmp_gt_i32_e32 vcc_lo, 0, v31
	v_ashrrev_i32_e32 v23, 31, v27
	v_not_b32_e32 v27, v36
	v_xor_b32_e32 v26, s6, v26
	v_bitop3_b32 v22, v22, v25, v24 bitop3:0x80
	v_not_b32_e32 v24, v21
	v_xor_b32_e32 v23, vcc_lo, v23
	v_cmp_gt_i32_e32 vcc_lo, 0, v36
	v_ashrrev_i32_e32 v25, 31, v27
	v_cmp_gt_i32_e64 s3, 0, v21
	v_ashrrev_i32_e32 v21, 31, v24
	v_bitop3_b32 v22, v22, v23, v26 bitop3:0x80
	ds_load_b32 v36, v30 offset:64
	v_xor_b32_e32 v23, vcc_lo, v25
	v_xor_b32_e32 v21, s3, v21
	; wave barrier
	s_delay_alu instid0(VALU_DEP_1) | instskip(NEXT) | instid1(VALU_DEP_1)
	v_bitop3_b32 v21, v22, v21, v23 bitop3:0x80
	v_mbcnt_lo_u32_b32 v37, v21, 0
	v_cmp_ne_u32_e64 s3, 0, v21
	s_delay_alu instid0(VALU_DEP_2) | instskip(SKIP_1) | instid1(SALU_CYCLE_1)
	v_cmp_eq_u32_e32 vcc_lo, 0, v37
	s_and_b32 s4, s3, vcc_lo
	s_and_saveexec_b32 s3, s4
	s_cbranch_execz .LBB2889_27
; %bb.26:
	s_wait_dscnt 0x0
	v_bcnt_u32_b32 v21, v21, v36
	ds_store_b32 v30, v21 offset:64
.LBB2889_27:
	;; [unrolled: 64-line block ×6, first 2 shown]
	s_or_b32 exec_lo, exec_lo, s3
	v_lshrrev_b64 v[22:23], s16, v[16:17]
	; wave barrier
	s_delay_alu instid0(VALU_DEP_1) | instskip(SKIP_1) | instid1(VALU_DEP_2)
	v_and_b32_e32 v21, s25, v22
	v_bitop3_b32 v22, v22, 1, s25 bitop3:0x80
	v_mad_u32 v51, 0x44, v21, v20
	s_delay_alu instid0(VALU_DEP_2) | instskip(NEXT) | instid1(VALU_DEP_1)
	v_add_co_u32 v20, s3, v22, -1
	v_cndmask_b32_e64 v22, 0, 1, s3
	v_lshlrev_b32_e32 v23, 30, v21
	s_delay_alu instid0(VALU_DEP_2) | instskip(NEXT) | instid1(VALU_DEP_2)
	v_cmp_ne_u32_e32 vcc_lo, 0, v22
	v_not_b32_e32 v22, v23
	s_delay_alu instid0(VALU_DEP_1) | instskip(SKIP_4) | instid1(VALU_DEP_4)
	v_dual_ashrrev_i32 v22, 31, v22 :: v_dual_bitop2_b32 v20, vcc_lo, v20 bitop3:0x14
	v_dual_lshlrev_b32 v24, 29, v21 :: v_dual_lshlrev_b32 v25, 28, v21
	v_lshlrev_b32_e32 v26, 27, v21
	v_cmp_gt_i32_e64 s3, 0, v23
	v_dual_lshlrev_b32 v27, 26, v21 :: v_dual_lshlrev_b32 v49, 25, v21
	v_cmp_gt_i32_e64 s4, 0, v24
	v_not_b32_e32 v23, v24
	v_not_b32_e32 v24, v25
	v_lshlrev_b32_e32 v21, 24, v21
	v_cmp_gt_i32_e64 s5, 0, v25
	v_not_b32_e32 v25, v26
	s_delay_alu instid0(VALU_DEP_4) | instskip(SKIP_3) | instid1(VALU_DEP_4)
	v_dual_ashrrev_i32 v23, 31, v23 :: v_dual_ashrrev_i32 v24, 31, v24
	v_xor_b32_e32 v22, s3, v22
	v_cmp_gt_i32_e64 s6, 0, v26
	v_not_b32_e32 v26, v27
	v_dual_ashrrev_i32 v25, 31, v25 :: v_dual_bitop2_b32 v23, s4, v23 bitop3:0x14
	v_xor_b32_e32 v24, s5, v24
	v_bitop3_b32 v20, v20, v22, exec_lo bitop3:0x80
	v_cmp_gt_i32_e32 vcc_lo, 0, v27
	v_ashrrev_i32_e32 v22, 31, v26
	v_not_b32_e32 v26, v49
	v_xor_b32_e32 v25, s6, v25
	v_bitop3_b32 v20, v20, v24, v23 bitop3:0x80
	v_not_b32_e32 v23, v21
	v_xor_b32_e32 v22, vcc_lo, v22
	v_cmp_gt_i32_e32 vcc_lo, 0, v49
	v_ashrrev_i32_e32 v24, 31, v26
	v_cmp_gt_i32_e64 s3, 0, v21
	v_ashrrev_i32_e32 v21, 31, v23
	v_bitop3_b32 v20, v20, v22, v25 bitop3:0x80
	ds_load_b32 v49, v51 offset:64
	v_xor_b32_e32 v22, vcc_lo, v24
	v_xor_b32_e32 v21, s3, v21
	; wave barrier
	s_delay_alu instid0(VALU_DEP_1) | instskip(NEXT) | instid1(VALU_DEP_1)
	v_bitop3_b32 v20, v20, v21, v22 bitop3:0x80
	v_mbcnt_lo_u32_b32 v50, v20, 0
	v_cmp_ne_u32_e64 s3, 0, v20
	s_delay_alu instid0(VALU_DEP_2) | instskip(SKIP_1) | instid1(SALU_CYCLE_1)
	v_cmp_eq_u32_e32 vcc_lo, 0, v50
	s_and_b32 s4, s3, vcc_lo
	s_and_saveexec_b32 s3, s4
	s_cbranch_execz .LBB2889_37
; %bb.36:
	s_wait_dscnt 0x0
	v_bcnt_u32_b32 v20, v20, v49
	ds_store_b32 v51, v20 offset:64
.LBB2889_37:
	s_or_b32 exec_lo, exec_lo, s3
	; wave barrier
	s_wait_dscnt 0x0
	s_barrier_signal -1
	s_barrier_wait -1
	ds_load_2addr_b32 v[26:27], v3 offset0:16 offset1:17
	ds_load_2addr_b32 v[24:25], v3 offset0:18 offset1:19
	;; [unrolled: 1-line block ×4, first 2 shown]
	ds_load_b32 v52, v3 offset:96
	v_bfe_i32 v55, v33, 4, 1
	s_mov_b32 s26, exec_lo
	s_wait_dscnt 0x3
	v_add3_u32 v53, v27, v26, v24
	s_wait_dscnt 0x2
	s_delay_alu instid0(VALU_DEP_1) | instskip(SKIP_1) | instid1(VALU_DEP_1)
	v_add3_u32 v53, v53, v25, v22
	s_wait_dscnt 0x1
	v_add3_u32 v53, v53, v23, v20
	s_wait_dscnt 0x0
	s_delay_alu instid0(VALU_DEP_1) | instskip(SKIP_1) | instid1(VALU_DEP_2)
	v_add3_u32 v52, v53, v21, v52
	v_and_b32_e32 v53, 15, v33
	v_mov_b32_dpp v54, v52 row_shr:1 row_mask:0xf bank_mask:0xf
	s_delay_alu instid0(VALU_DEP_2) | instskip(NEXT) | instid1(VALU_DEP_2)
	v_cmp_eq_u32_e32 vcc_lo, 0, v53
	v_cndmask_b32_e64 v54, v54, 0, vcc_lo
	s_delay_alu instid0(VALU_DEP_1) | instskip(SKIP_3) | instid1(VALU_DEP_4)
	v_add_nc_u32_e32 v52, v54, v52
	v_cmp_lt_u32_e64 s3, 1, v53
	v_cmp_lt_u32_e64 s4, 3, v53
	;; [unrolled: 1-line block ×3, first 2 shown]
	v_mov_b32_dpp v54, v52 row_shr:2 row_mask:0xf bank_mask:0xf
	s_delay_alu instid0(VALU_DEP_1) | instskip(NEXT) | instid1(VALU_DEP_1)
	v_cndmask_b32_e64 v54, 0, v54, s3
	v_add_nc_u32_e32 v52, v52, v54
	s_delay_alu instid0(VALU_DEP_1) | instskip(NEXT) | instid1(VALU_DEP_1)
	v_mov_b32_dpp v54, v52 row_shr:4 row_mask:0xf bank_mask:0xf
	v_cndmask_b32_e64 v54, 0, v54, s4
	s_delay_alu instid0(VALU_DEP_1) | instskip(NEXT) | instid1(VALU_DEP_1)
	v_add_nc_u32_e32 v52, v52, v54
	v_mov_b32_dpp v54, v52 row_shr:8 row_mask:0xf bank_mask:0xf
	s_delay_alu instid0(VALU_DEP_1) | instskip(SKIP_1) | instid1(VALU_DEP_2)
	v_cndmask_b32_e64 v53, 0, v54, s5
	v_and_b32_e32 v54, 0x3e0, v32
	v_add_nc_u32_e32 v52, v52, v53
	s_delay_alu instid0(VALU_DEP_2) | instskip(SKIP_3) | instid1(VALU_DEP_1)
	v_min_u32_e32 v54, 0x1e0, v54
	ds_swizzle_b32 v53, v52 offset:swizzle(BROADCAST,32,15)
	s_wait_dscnt 0x0
	v_dual_lshrrev_b32 v53, 5, v32 :: v_dual_bitop2_b32 v55, v55, v53 bitop3:0x40
	v_dual_add_nc_u32 v52, v52, v55 :: v_dual_bitop2_b32 v54, 31, v54 bitop3:0x54
	s_delay_alu instid0(VALU_DEP_1)
	v_cmpx_eq_u32_e64 v32, v54
; %bb.38:
	s_delay_alu instid0(VALU_DEP_3)
	v_lshlrev_b32_e32 v54, 2, v53
	ds_store_b32 v54, v52
; %bb.39:
	s_or_b32 exec_lo, exec_lo, s26
	s_delay_alu instid0(SALU_CYCLE_1)
	s_mov_b32 s26, exec_lo
	s_wait_dscnt 0x0
	s_barrier_signal -1
	s_barrier_wait -1
	v_cmpx_gt_u32_e32 16, v32
	s_cbranch_execz .LBB2889_41
; %bb.40:
	v_lshlrev_b32_e32 v54, 2, v32
	ds_load_b32 v55, v54
	s_wait_dscnt 0x0
	v_mov_b32_dpp v56, v55 row_shr:1 row_mask:0xf bank_mask:0xf
	s_delay_alu instid0(VALU_DEP_1) | instskip(NEXT) | instid1(VALU_DEP_1)
	v_cndmask_b32_e64 v56, v56, 0, vcc_lo
	v_add_nc_u32_e32 v55, v56, v55
	s_delay_alu instid0(VALU_DEP_1) | instskip(NEXT) | instid1(VALU_DEP_1)
	v_mov_b32_dpp v56, v55 row_shr:2 row_mask:0xf bank_mask:0xf
	v_cndmask_b32_e64 v56, 0, v56, s3
	s_delay_alu instid0(VALU_DEP_1) | instskip(NEXT) | instid1(VALU_DEP_1)
	v_add_nc_u32_e32 v55, v55, v56
	v_mov_b32_dpp v56, v55 row_shr:4 row_mask:0xf bank_mask:0xf
	s_delay_alu instid0(VALU_DEP_1) | instskip(NEXT) | instid1(VALU_DEP_1)
	v_cndmask_b32_e64 v56, 0, v56, s4
	v_add_nc_u32_e32 v55, v55, v56
	s_delay_alu instid0(VALU_DEP_1) | instskip(NEXT) | instid1(VALU_DEP_1)
	v_mov_b32_dpp v56, v55 row_shr:8 row_mask:0xf bank_mask:0xf
	v_cndmask_b32_e64 v56, 0, v56, s5
	s_delay_alu instid0(VALU_DEP_1)
	v_add_nc_u32_e32 v55, v55, v56
	ds_store_b32 v54, v55
.LBB2889_41:
	s_or_b32 exec_lo, exec_lo, s26
	v_mov_b32_e32 v54, 0
	s_mov_b32 s3, exec_lo
	s_wait_dscnt 0x0
	s_barrier_signal -1
	s_barrier_wait -1
	v_cmpx_lt_u32_e32 31, v32
; %bb.42:
	v_lshl_add_u32 v53, v53, 2, -4
	ds_load_b32 v54, v53
; %bb.43:
	s_or_b32 exec_lo, exec_lo, s3
	v_sub_co_u32 v53, vcc_lo, v33, 1
	s_wait_dscnt 0x0
	v_add_nc_u32_e32 v52, v54, v52
	s_delay_alu instid0(VALU_DEP_2) | instskip(NEXT) | instid1(VALU_DEP_1)
	v_cmp_gt_i32_e64 s3, 0, v53
	v_cndmask_b32_e64 v53, v53, v33, s3
	v_cmp_lt_u32_e64 s3, 0xff, v32
	s_delay_alu instid0(VALU_DEP_2) | instskip(SKIP_4) | instid1(VALU_DEP_2)
	v_lshlrev_b32_e32 v53, 2, v53
	ds_bpermute_b32 v52, v53, v52
	s_wait_dscnt 0x0
	v_cndmask_b32_e32 v52, v52, v54, vcc_lo
	v_cmp_gt_u32_e32 vcc_lo, 0x100, v32
	v_cndmask_b32_e64 v52, v52, 0, s2
	s_delay_alu instid0(VALU_DEP_1) | instskip(NEXT) | instid1(VALU_DEP_1)
	v_add_nc_u32_e32 v26, v52, v26
	v_add_nc_u32_e32 v27, v26, v27
	s_delay_alu instid0(VALU_DEP_1) | instskip(NEXT) | instid1(VALU_DEP_1)
	v_add_nc_u32_e32 v24, v27, v24
	v_add_nc_u32_e32 v25, v24, v25
	;; [unrolled: 3-line block ×4, first 2 shown]
	ds_store_2addr_b32 v3, v52, v26 offset0:16 offset1:17
	ds_store_2addr_b32 v3, v27, v24 offset0:18 offset1:19
	;; [unrolled: 1-line block ×4, first 2 shown]
	ds_store_b32 v3, v21 offset:96
	s_wait_dscnt 0x0
	s_barrier_signal -1
	s_barrier_wait -1
	ds_load_b32 v54, v28 offset:64
	ds_load_b32 v23, v29 offset:64
	;; [unrolled: 1-line block ×8, first 2 shown]
	v_mov_b64_e32 v[20:21], 0
                                        ; implicit-def: $vgpr22
	s_and_saveexec_b32 s5, vcc_lo
	s_cbranch_execz .LBB2889_47
; %bb.44:
	v_mul_u32_u24_e32 v3, 0x44, v32
	v_add_nc_u32_e32 v21, 1, v32
	s_mov_b32 s6, exec_lo
	ds_load_b32 v20, v3 offset:64
	v_mov_b32_e32 v3, 0x1000
	v_cmpx_ne_u32_e32 0x100, v21
; %bb.45:
	v_mul_u32_u24_e32 v3, 0x44, v21
	ds_load_b32 v3, v3 offset:64
; %bb.46:
	s_or_b32 exec_lo, exec_lo, s6
	s_wait_dscnt 0x0
	v_dual_mov_b32 v21, 0 :: v_dual_sub_nc_u32 v22, v3, v20
.LBB2889_47:
	s_or_b32 exec_lo, exec_lo, s5
	v_mov_b32_e32 v25, 0
	s_wait_dscnt 0x0
	s_barrier_signal -1
	s_barrier_wait -1
	s_and_saveexec_b32 s4, vcc_lo
	s_cbranch_execz .LBB2889_57
; %bb.48:
	v_lshl_add_u32 v24, s19, 8, v32
	v_dual_mov_b32 v28, 0 :: v_dual_bitop2_b32 v3, 2.0, v22 bitop3:0x54
	s_mov_b32 s5, 0
	s_mov_b32 s6, s19
	s_delay_alu instid0(VALU_DEP_2)
	v_lshl_add_u64 v[26:27], v[24:25], 2, s[20:21]
	global_store_b32 v24, v3, s[20:21] scale_offset scope:SCOPE_DEV
                                        ; implicit-def: $sgpr26
	s_branch .LBB2889_51
.LBB2889_49:                            ;   in Loop: Header=BB2889_51 Depth=1
	s_or_b32 exec_lo, exec_lo, s27
.LBB2889_50:                            ;   in Loop: Header=BB2889_51 Depth=1
	s_delay_alu instid0(SALU_CYCLE_1) | instskip(SKIP_2) | instid1(VALU_DEP_2)
	s_or_b32 exec_lo, exec_lo, s26
	v_and_b32_e32 v24, 0x3fffffff, v3
	v_cmp_gt_i32_e64 s26, -2.0, v3
	v_add_nc_u32_e32 v28, v24, v28
	s_and_b32 s27, exec_lo, s26
	s_delay_alu instid0(SALU_CYCLE_1) | instskip(NEXT) | instid1(SALU_CYCLE_1)
	s_or_b32 s5, s27, s5
	s_and_not1_b32 exec_lo, exec_lo, s5
	s_cbranch_execz .LBB2889_56
.LBB2889_51:                            ; =>This Loop Header: Depth=1
                                        ;     Child Loop BB2889_54 Depth 2
	s_or_b32 s26, s26, exec_lo
	s_cmp_eq_u32 s6, 0
	s_cbranch_scc1 .LBB2889_55
; %bb.52:                               ;   in Loop: Header=BB2889_51 Depth=1
	s_add_co_i32 s6, s6, -1
	s_mov_b32 s26, exec_lo
	s_wait_xcnt 0x0
	v_lshl_or_b32 v24, s6, 8, v32
	global_load_b32 v3, v24, s[20:21] scale_offset scope:SCOPE_DEV
	s_wait_loadcnt 0x0
	v_cmpx_gt_u32_e32 2.0, v3
	s_cbranch_execz .LBB2889_50
; %bb.53:                               ;   in Loop: Header=BB2889_51 Depth=1
	v_lshl_add_u64 v[30:31], v[24:25], 2, s[20:21]
	s_mov_b32 s27, 0
.LBB2889_54:                            ;   Parent Loop BB2889_51 Depth=1
                                        ; =>  This Inner Loop Header: Depth=2
	global_load_b32 v3, v[30:31], off scope:SCOPE_DEV
	s_wait_loadcnt 0x0
	v_cmp_lt_u32_e32 vcc_lo, 0x3fffffff, v3
	s_or_b32 s27, vcc_lo, s27
	s_wait_xcnt 0x0
	s_and_not1_b32 exec_lo, exec_lo, s27
	s_cbranch_execnz .LBB2889_54
	s_branch .LBB2889_49
.LBB2889_55:                            ;   in Loop: Header=BB2889_51 Depth=1
                                        ; implicit-def: $sgpr6
	s_and_b32 s27, exec_lo, s26
	s_delay_alu instid0(SALU_CYCLE_1)
	s_or_b32 s5, s27, s5
	s_wait_xcnt 0x0
	s_and_not1_b32 exec_lo, exec_lo, s5
	s_cbranch_execnz .LBB2889_51
.LBB2889_56:
	s_or_b32 exec_lo, exec_lo, s5
	v_dual_add_nc_u32 v3, v28, v22 :: v_dual_mov_b32 v29, 0
	s_delay_alu instid0(VALU_DEP_1)
	v_or_b32_e32 v3, 0x80000000, v3
	global_store_b32 v[26:27], v3, off scope:SCOPE_DEV
	global_load_b64 v[24:25], v32, s[8:9] scale_offset
	s_wait_xcnt 0x1
	v_sub_nc_u64_e32 v[26:27], v[28:29], v[20:21]
	s_wait_loadcnt 0x0
	s_delay_alu instid0(VALU_DEP_1)
	v_add_nc_u64_e32 v[24:25], v[26:27], v[24:25]
	ds_store_b64 v2, v[24:25]
.LBB2889_57:
	s_wait_xcnt 0x0
	s_or_b32 exec_lo, exec_lo, s4
	v_dual_mov_b32 v3, 0 :: v_dual_add_nc_u32 v1, v54, v1
	v_add3_u32 v26, v47, v48, v46
	v_add3_u32 v27, v44, v45, v42
	;; [unrolled: 1-line block ×3, first 2 shown]
	s_delay_alu instid0(VALU_DEP_4)
	v_add_nc_u64_e32 v[24:25], s[14:15], v[2:3]
	v_add3_u32 v3, v50, v51, v49
	v_add3_u32 v29, v39, v53, v38
	;; [unrolled: 1-line block ×4, first 2 shown]
	v_mov_b32_e32 v31, v32
	s_mov_b32 s5, -1
	v_add_nc_u64_e32 v[24:25], 0x3000, v[24:25]
	s_mov_b32 s4, 0
	s_branch .LBB2889_59
.LBB2889_58:                            ;   in Loop: Header=BB2889_59 Depth=1
	s_wait_xcnt 0x0
	s_or_b32 exec_lo, exec_lo, s6
	v_add_nc_u64_e32 v[24:25], 0x4000, v[24:25]
	v_add_nc_u32_e32 v31, 0x800, v31
	s_xor_b32 s5, s5, -1
	s_addk_co_i32 s4, 0xf800
	s_and_b32 vcc_lo, exec_lo, s5
	s_mov_b32 s5, 0
	s_wait_storecnt 0x0
	s_barrier_signal -1
	s_barrier_wait -1
	s_cbranch_vccnz .LBB2889_67
.LBB2889_59:                            ; =>This Inner Loop Header: Depth=1
	v_add_min_u32_e64 v34, v1, s4, 0x800
	v_add_min_u32_e64 v35, v23, s4, 0x800
	;; [unrolled: 1-line block ×5, first 2 shown]
	s_delay_alu instid0(VALU_DEP_4) | instskip(NEXT) | instid1(VALU_DEP_3)
	v_dual_lshlrev_b32 v34, 3, v34 :: v_dual_lshlrev_b32 v35, 3, v35
	v_dual_lshlrev_b32 v36, 3, v36 :: v_dual_lshlrev_b32 v37, 3, v37
	s_mov_b32 s6, exec_lo
	ds_store_b64 v34, v[6:7] offset:2048
	ds_store_b64 v35, v[4:5] offset:2048
	;; [unrolled: 1-line block ×3, first 2 shown]
	v_add_min_u32_e64 v34, v27, s4, 0x800
	v_add_min_u32_e64 v35, v26, s4, 0x800
	;; [unrolled: 1-line block ×3, first 2 shown]
	v_lshlrev_b32_e32 v38, 3, v38
	s_delay_alu instid0(VALU_DEP_3) | instskip(NEXT) | instid1(VALU_DEP_3)
	v_dual_lshlrev_b32 v34, 3, v34 :: v_dual_lshlrev_b32 v35, 3, v35
	v_lshlrev_b32_e32 v36, 3, v36
	ds_store_b64 v37, v[8:9] offset:2048
	ds_store_b64 v38, v[14:15] offset:2048
	ds_store_b64 v34, v[12:13] offset:2048
	ds_store_b64 v35, v[18:19] offset:2048
	ds_store_b64 v36, v[16:17] offset:2048
	s_wait_storecnt_dscnt 0x0
	s_barrier_signal -1
	s_barrier_wait -1
	v_cmpx_gt_u32_e64 s18, v31
	s_cbranch_execz .LBB2889_61
; %bb.60:                               ;   in Loop: Header=BB2889_59 Depth=1
	ds_load_b64 v[34:35], v2 offset:2048
	s_wait_dscnt 0x0
	v_lshrrev_b64 v[36:37], s16, v[34:35]
	v_not_b32_e32 v35, v35
	v_not_b32_e32 v34, v34
	s_delay_alu instid0(VALU_DEP_3) | instskip(NEXT) | instid1(VALU_DEP_1)
	v_and_b32_e32 v36, s25, v36
	v_lshlrev_b32_e32 v36, 3, v36
	ds_load_b64 v[36:37], v36
	s_wait_dscnt 0x0
	v_lshl_add_u64 v[36:37], v[36:37], 3, v[24:25]
	global_store_b64 v[36:37], v[34:35], off offset:-12288
.LBB2889_61:                            ;   in Loop: Header=BB2889_59 Depth=1
	s_wait_xcnt 0x0
	s_or_b32 exec_lo, exec_lo, s6
	v_add_nc_u32_e32 v34, 0x200, v31
	s_mov_b32 s6, exec_lo
	s_delay_alu instid0(VALU_DEP_1)
	v_cmpx_gt_u32_e64 s18, v34
	s_cbranch_execz .LBB2889_63
; %bb.62:                               ;   in Loop: Header=BB2889_59 Depth=1
	ds_load_b64 v[34:35], v2 offset:6144
	s_wait_dscnt 0x0
	v_lshrrev_b64 v[36:37], s16, v[34:35]
	v_not_b32_e32 v35, v35
	v_not_b32_e32 v34, v34
	s_delay_alu instid0(VALU_DEP_3) | instskip(NEXT) | instid1(VALU_DEP_1)
	v_and_b32_e32 v36, s25, v36
	v_lshlrev_b32_e32 v36, 3, v36
	ds_load_b64 v[36:37], v36
	s_wait_dscnt 0x0
	v_lshl_add_u64 v[36:37], v[36:37], 3, v[24:25]
	global_store_b64 v[36:37], v[34:35], off offset:-8192
.LBB2889_63:                            ;   in Loop: Header=BB2889_59 Depth=1
	s_wait_xcnt 0x0
	s_or_b32 exec_lo, exec_lo, s6
	v_add_nc_u32_e32 v34, 0x400, v31
	s_mov_b32 s6, exec_lo
	s_delay_alu instid0(VALU_DEP_1)
	v_cmpx_gt_u32_e64 s18, v34
	s_cbranch_execz .LBB2889_65
; %bb.64:                               ;   in Loop: Header=BB2889_59 Depth=1
	ds_load_b64 v[34:35], v2 offset:10240
	s_wait_dscnt 0x0
	v_lshrrev_b64 v[36:37], s16, v[34:35]
	v_not_b32_e32 v35, v35
	v_not_b32_e32 v34, v34
	s_delay_alu instid0(VALU_DEP_3) | instskip(NEXT) | instid1(VALU_DEP_1)
	v_and_b32_e32 v36, s25, v36
	v_lshlrev_b32_e32 v36, 3, v36
	ds_load_b64 v[36:37], v36
	s_wait_dscnt 0x0
	v_lshl_add_u64 v[36:37], v[36:37], 3, v[24:25]
	global_store_b64 v[36:37], v[34:35], off offset:-4096
.LBB2889_65:                            ;   in Loop: Header=BB2889_59 Depth=1
	s_wait_xcnt 0x0
	s_or_b32 exec_lo, exec_lo, s6
	v_add_nc_u32_e32 v34, 0x600, v31
	s_mov_b32 s6, exec_lo
	s_delay_alu instid0(VALU_DEP_1)
	v_cmpx_gt_u32_e64 s18, v34
	s_cbranch_execz .LBB2889_58
; %bb.66:                               ;   in Loop: Header=BB2889_59 Depth=1
	ds_load_b64 v[34:35], v2 offset:14336
	s_wait_dscnt 0x0
	v_lshrrev_b64 v[36:37], s16, v[34:35]
	v_not_b32_e32 v35, v35
	v_not_b32_e32 v34, v34
	s_delay_alu instid0(VALU_DEP_3) | instskip(NEXT) | instid1(VALU_DEP_1)
	v_and_b32_e32 v36, s25, v36
	v_lshlrev_b32_e32 v36, 3, v36
	ds_load_b64 v[36:37], v36
	s_wait_dscnt 0x0
	v_lshl_add_u64 v[36:37], v[36:37], 3, v[24:25]
	global_store_b64 v[36:37], v[34:35], off
	s_branch .LBB2889_58
.LBB2889_67:
	s_add_co_i32 s24, s24, -1
	s_delay_alu instid0(SALU_CYCLE_1) | instskip(SKIP_2) | instid1(SALU_CYCLE_1)
	s_cmp_eq_u32 s19, s24
	s_cselect_b32 s4, -1, 0
	s_xor_b32 s3, s3, -1
	s_and_b32 s4, s3, s4
	s_delay_alu instid0(SALU_CYCLE_1)
	s_and_saveexec_b32 s3, s4
	s_cbranch_execz .LBB2889_69
; %bb.68:
	ds_load_b64 v[4:5], v2
	v_mov_b32_e32 v23, 0
	s_delay_alu instid0(VALU_DEP_1) | instskip(SKIP_1) | instid1(VALU_DEP_1)
	v_add_nc_u64_e32 v[6:7], v[20:21], v[22:23]
	s_wait_dscnt 0x0
	v_add_nc_u64_e32 v[4:5], v[6:7], v[4:5]
	global_store_b64 v32, v[4:5], s[10:11] scale_offset
.LBB2889_69:
	s_wait_xcnt 0x0
	s_or_b32 exec_lo, exec_lo, s3
	s_mov_b32 s4, 0
.LBB2889_70:
	s_delay_alu instid0(SALU_CYCLE_1)
	s_and_b32 vcc_lo, exec_lo, s4
	s_cbranch_vccz .LBB2889_111
; %bb.71:
	s_lshl_b32 s4, s19, 12
	s_mov_b32 s5, 0
	v_dual_mov_b32 v21, 0 :: v_dual_lshlrev_b32 v20, 3, v33
	s_lshl_b64 s[24:25], s[4:5], 3
	v_lshlrev_b32_e32 v1, 6, v32
	s_add_nc_u64 s[12:13], s[12:13], s[24:25]
	s_bfe_u32 s3, ttmp6, 0x4000c
	v_add_nc_u64_e32 v[4:5], s[12:13], v[20:21]
	s_add_co_i32 s3, s3, 1
	v_and_b32_e32 v20, 0xf800, v1
	s_and_b32 s4, ttmp6, 15
	s_mul_i32 s3, ttmp9, s3
	v_bfe_u32 v3, v0, 10, 10
	s_add_co_i32 s4, s4, s3
	v_add_nc_u64_e32 v[4:5], v[4:5], v[20:21]
	s_cmp_eq_u32 s7, 0
	v_bfe_u32 v20, v0, 20, 10
	s_cselect_b32 s3, ttmp9, s4
	s_clause 0x7
	global_load_b64 v[22:23], v[4:5], off
	global_load_b64 v[18:19], v[4:5], off offset:256
	global_load_b64 v[6:7], v[4:5], off offset:512
	;; [unrolled: 1-line block ×7, first 2 shown]
	s_clause 0x1
	s_load_b32 s12, s[0:1], 0x58
	s_load_u16 s6, s[0:1], 0x66
	s_wait_kmcnt 0x0
	s_cmp_lt_u32 s3, s12
	s_cselect_b32 s4, 12, 18
	s_lshl_b32 s13, -1, s17
	s_add_nc_u64 s[0:1], s[22:23], s[4:5]
	s_load_u16 s0, s[0:1], 0x0
	s_wait_loadcnt 0x7
	v_not_b32_e32 v5, v23
	v_not_b32_e32 v4, v22
	s_delay_alu instid0(VALU_DEP_1) | instskip(SKIP_1) | instid1(VALU_DEP_2)
	v_lshrrev_b64 v[0:1], s16, v[4:5]
	v_mad_u32_u24 v1, v20, s6, v3
	v_bitop3_b32 v3, v0, 1, s13 bitop3:0x40
	v_bitop3_b32 v22, v0, s13, v0 bitop3:0x30
	s_wait_kmcnt 0x0
	s_delay_alu instid0(VALU_DEP_3) | instskip(NEXT) | instid1(VALU_DEP_3)
	v_mad_u32 v0, v1, s0, v32
	v_add_co_u32 v1, s0, v3, -1
	s_delay_alu instid0(VALU_DEP_1) | instskip(SKIP_3) | instid1(VALU_DEP_4)
	v_cndmask_b32_e64 v3, 0, 1, s0
	v_dual_lshlrev_b32 v20, 30, v22 :: v_dual_lshlrev_b32 v23, 29, v22
	v_dual_lshlrev_b32 v24, 28, v22 :: v_dual_lshlrev_b32 v25, 27, v22
	v_lshlrev_b32_e32 v26, 26, v22
	v_cmp_ne_u32_e32 vcc_lo, 0, v3
	s_delay_alu instid0(VALU_DEP_4)
	v_not_b32_e32 v3, v20
	v_cmp_gt_i32_e64 s0, 0, v20
	v_cmp_gt_i32_e64 s1, 0, v23
	v_not_b32_e32 v20, v23
	v_not_b32_e32 v23, v24
	v_dual_ashrrev_i32 v3, 31, v3 :: v_dual_bitop2_b32 v1, vcc_lo, v1 bitop3:0x14
	v_dual_lshlrev_b32 v27, 25, v22 :: v_dual_lshlrev_b32 v28, 24, v22
	v_cmp_gt_i32_e64 s3, 0, v24
	v_cmp_gt_i32_e64 s4, 0, v25
	v_not_b32_e32 v24, v25
	v_not_b32_e32 v25, v26
	v_dual_ashrrev_i32 v20, 31, v20 :: v_dual_ashrrev_i32 v23, 31, v23
	s_delay_alu instid0(VALU_DEP_3)
	v_dual_ashrrev_i32 v24, 31, v24 :: v_dual_bitop2_b32 v3, s0, v3 bitop3:0x14
	v_cmp_gt_i32_e64 s5, 0, v26
	v_cmp_gt_i32_e64 s6, 0, v27
	v_not_b32_e32 v26, v27
	v_not_b32_e32 v27, v28
	v_dual_ashrrev_i32 v25, 31, v25 :: v_dual_bitop2_b32 v20, s1, v20 bitop3:0x14
	v_xor_b32_e32 v23, s3, v23
	v_bitop3_b32 v1, v1, v3, exec_lo bitop3:0x80
	v_cmp_gt_i32_e64 s7, 0, v28
	v_dual_ashrrev_i32 v3, 31, v26 :: v_dual_ashrrev_i32 v26, 31, v27
	v_xor_b32_e32 v24, s4, v24
	v_dual_lshrrev_b32 v0, 5, v0 :: v_dual_bitop2_b32 v25, s5, v25 bitop3:0x14
	v_bitop3_b32 v1, v1, v23, v20 bitop3:0x80
	s_delay_alu instid0(VALU_DEP_4)
	v_xor_b32_e32 v3, s6, v3
	v_xor_b32_e32 v23, s7, v26
	v_mul_u32_u24_e32 v26, 36, v32
	v_lshlrev_b32_e32 v20, 2, v0
	v_bitop3_b32 v1, v1, v25, v24 bitop3:0x80
	s_not_b32 s7, s13
	ds_store_2addr_b32 v26, v21, v21 offset0:16 offset1:17
	ds_store_2addr_b32 v26, v21, v21 offset0:18 offset1:19
	;; [unrolled: 1-line block ×4, first 2 shown]
	v_mad_u32 v27, 0x44, v22, v20
	v_bitop3_b32 v0, v1, v23, v3 bitop3:0x80
	ds_store_b32 v26, v21 offset:96
	s_wait_storecnt 0x0
	s_wait_loadcnt_dscnt 0x0
	s_barrier_signal -1
	s_barrier_wait -1
	v_mbcnt_lo_u32_b32 v3, v0, 0
	v_cmp_ne_u32_e64 s0, 0, v0
	; wave barrier
	s_delay_alu instid0(VALU_DEP_2) | instskip(SKIP_1) | instid1(SALU_CYCLE_1)
	v_cmp_eq_u32_e32 vcc_lo, 0, v3
	s_and_b32 s1, s0, vcc_lo
	s_and_saveexec_b32 s0, s1
; %bb.72:
	v_bcnt_u32_b32 v0, v0, 0
	ds_store_b32 v27, v0 offset:64
; %bb.73:
	s_or_b32 exec_lo, exec_lo, s0
	v_not_b32_e32 v1, v19
	v_not_b32_e32 v0, v18
	; wave barrier
	s_delay_alu instid0(VALU_DEP_1) | instskip(NEXT) | instid1(VALU_DEP_1)
	v_lshrrev_b64 v[18:19], s16, v[0:1]
	v_and_b32_e32 v19, s7, v18
	v_bitop3_b32 v18, v18, 1, s7 bitop3:0x80
	s_delay_alu instid0(VALU_DEP_2) | instskip(NEXT) | instid1(VALU_DEP_2)
	v_lshlrev_b32_e32 v22, 30, v19
	v_add_co_u32 v18, s0, v18, -1
	s_delay_alu instid0(VALU_DEP_1) | instskip(NEXT) | instid1(VALU_DEP_1)
	v_cndmask_b32_e64 v21, 0, 1, s0
	v_cmp_ne_u32_e32 vcc_lo, 0, v21
	s_delay_alu instid0(VALU_DEP_4) | instskip(NEXT) | instid1(VALU_DEP_1)
	v_not_b32_e32 v21, v22
	v_dual_ashrrev_i32 v21, 31, v21 :: v_dual_bitop2_b32 v18, vcc_lo, v18 bitop3:0x14
	v_dual_lshlrev_b32 v23, 29, v19 :: v_dual_lshlrev_b32 v24, 28, v19
	v_dual_lshlrev_b32 v25, 27, v19 :: v_dual_lshlrev_b32 v29, 26, v19
	v_lshlrev_b32_e32 v30, 25, v19
	v_cmp_gt_i32_e64 s0, 0, v22
	s_delay_alu instid0(VALU_DEP_4)
	v_cmp_gt_i32_e64 s1, 0, v23
	v_not_b32_e32 v22, v23
	v_not_b32_e32 v23, v24
	v_mad_u32 v28, 0x44, v19, v20
	v_lshlrev_b32_e32 v19, 24, v19
	v_cmp_gt_i32_e64 s3, 0, v24
	v_cmp_gt_i32_e64 s4, 0, v25
	v_not_b32_e32 v24, v25
	v_not_b32_e32 v25, v29
	v_dual_ashrrev_i32 v22, 31, v22 :: v_dual_ashrrev_i32 v23, 31, v23
	s_delay_alu instid0(VALU_DEP_3) | instskip(SKIP_1) | instid1(VALU_DEP_3)
	v_dual_ashrrev_i32 v24, 31, v24 :: v_dual_bitop2_b32 v21, s0, v21 bitop3:0x14
	v_cmp_gt_i32_e64 s5, 0, v29
	v_dual_ashrrev_i32 v25, 31, v25 :: v_dual_bitop2_b32 v22, s1, v22 bitop3:0x14
	s_delay_alu instid0(VALU_DEP_3)
	v_bitop3_b32 v18, v18, v21, exec_lo bitop3:0x80
	v_not_b32_e32 v21, v30
	v_xor_b32_e32 v23, s3, v23
	v_not_b32_e32 v29, v19
	v_cmp_gt_i32_e64 s6, 0, v30
	v_xor_b32_e32 v24, s4, v24
	v_xor_b32_e32 v25, s5, v25
	v_ashrrev_i32_e32 v21, 31, v21
	v_bitop3_b32 v18, v18, v23, v22 bitop3:0x80
	v_cmp_gt_i32_e32 vcc_lo, 0, v19
	v_ashrrev_i32_e32 v19, 31, v29
	ds_load_b32 v30, v28 offset:64
	v_xor_b32_e32 v21, s6, v21
	v_bitop3_b32 v18, v18, v25, v24 bitop3:0x80
	v_xor_b32_e32 v19, vcc_lo, v19
	; wave barrier
	s_delay_alu instid0(VALU_DEP_1) | instskip(NEXT) | instid1(VALU_DEP_1)
	v_bitop3_b32 v18, v18, v19, v21 bitop3:0x80
	v_mbcnt_lo_u32_b32 v31, v18, 0
	v_cmp_ne_u32_e64 s0, 0, v18
	s_delay_alu instid0(VALU_DEP_2) | instskip(SKIP_1) | instid1(SALU_CYCLE_1)
	v_cmp_eq_u32_e32 vcc_lo, 0, v31
	s_and_b32 s1, s0, vcc_lo
	s_and_saveexec_b32 s0, s1
	s_cbranch_execz .LBB2889_75
; %bb.74:
	s_wait_dscnt 0x0
	v_bcnt_u32_b32 v18, v18, v30
	ds_store_b32 v28, v18 offset:64
.LBB2889_75:
	s_or_b32 exec_lo, exec_lo, s0
	v_not_b32_e32 v7, v7
	v_not_b32_e32 v6, v6
	; wave barrier
	s_delay_alu instid0(VALU_DEP_1) | instskip(NEXT) | instid1(VALU_DEP_1)
	v_lshrrev_b64 v[18:19], s16, v[6:7]
	v_and_b32_e32 v19, s7, v18
	v_bitop3_b32 v18, v18, 1, s7 bitop3:0x80
	s_delay_alu instid0(VALU_DEP_2) | instskip(NEXT) | instid1(VALU_DEP_2)
	v_lshlrev_b32_e32 v22, 30, v19
	v_add_co_u32 v18, s0, v18, -1
	s_delay_alu instid0(VALU_DEP_1) | instskip(NEXT) | instid1(VALU_DEP_1)
	v_cndmask_b32_e64 v21, 0, 1, s0
	v_cmp_ne_u32_e32 vcc_lo, 0, v21
	s_delay_alu instid0(VALU_DEP_4) | instskip(NEXT) | instid1(VALU_DEP_1)
	v_not_b32_e32 v21, v22
	v_dual_ashrrev_i32 v21, 31, v21 :: v_dual_bitop2_b32 v18, vcc_lo, v18 bitop3:0x14
	v_dual_lshlrev_b32 v23, 29, v19 :: v_dual_lshlrev_b32 v24, 28, v19
	v_dual_lshlrev_b32 v25, 27, v19 :: v_dual_lshlrev_b32 v34, 26, v19
	v_lshlrev_b32_e32 v35, 25, v19
	v_cmp_gt_i32_e64 s0, 0, v22
	s_delay_alu instid0(VALU_DEP_4)
	v_cmp_gt_i32_e64 s1, 0, v23
	v_not_b32_e32 v22, v23
	v_not_b32_e32 v23, v24
	v_mad_u32 v29, 0x44, v19, v20
	v_lshlrev_b32_e32 v19, 24, v19
	v_cmp_gt_i32_e64 s3, 0, v24
	v_cmp_gt_i32_e64 s4, 0, v25
	v_not_b32_e32 v24, v25
	v_not_b32_e32 v25, v34
	v_dual_ashrrev_i32 v22, 31, v22 :: v_dual_ashrrev_i32 v23, 31, v23
	s_delay_alu instid0(VALU_DEP_3) | instskip(SKIP_1) | instid1(VALU_DEP_3)
	v_dual_ashrrev_i32 v24, 31, v24 :: v_dual_bitop2_b32 v21, s0, v21 bitop3:0x14
	v_cmp_gt_i32_e64 s5, 0, v34
	v_dual_ashrrev_i32 v25, 31, v25 :: v_dual_bitop2_b32 v22, s1, v22 bitop3:0x14
	s_delay_alu instid0(VALU_DEP_3)
	v_bitop3_b32 v18, v18, v21, exec_lo bitop3:0x80
	v_not_b32_e32 v21, v35
	v_xor_b32_e32 v23, s3, v23
	v_not_b32_e32 v34, v19
	v_cmp_gt_i32_e64 s6, 0, v35
	v_xor_b32_e32 v24, s4, v24
	v_xor_b32_e32 v25, s5, v25
	v_ashrrev_i32_e32 v21, 31, v21
	v_bitop3_b32 v18, v18, v23, v22 bitop3:0x80
	v_cmp_gt_i32_e32 vcc_lo, 0, v19
	v_ashrrev_i32_e32 v19, 31, v34
	ds_load_b32 v34, v29 offset:64
	v_xor_b32_e32 v21, s6, v21
	v_bitop3_b32 v18, v18, v25, v24 bitop3:0x80
	v_xor_b32_e32 v19, vcc_lo, v19
	; wave barrier
	s_delay_alu instid0(VALU_DEP_1) | instskip(NEXT) | instid1(VALU_DEP_1)
	v_bitop3_b32 v18, v18, v19, v21 bitop3:0x80
	v_mbcnt_lo_u32_b32 v35, v18, 0
	v_cmp_ne_u32_e64 s0, 0, v18
	s_delay_alu instid0(VALU_DEP_2) | instskip(SKIP_1) | instid1(SALU_CYCLE_1)
	v_cmp_eq_u32_e32 vcc_lo, 0, v35
	s_and_b32 s1, s0, vcc_lo
	s_and_saveexec_b32 s0, s1
	s_cbranch_execz .LBB2889_77
; %bb.76:
	s_wait_dscnt 0x0
	v_bcnt_u32_b32 v18, v18, v34
	ds_store_b32 v29, v18 offset:64
.LBB2889_77:
	s_or_b32 exec_lo, exec_lo, s0
	v_not_b32_e32 v9, v9
	v_not_b32_e32 v8, v8
	; wave barrier
	s_delay_alu instid0(VALU_DEP_1) | instskip(NEXT) | instid1(VALU_DEP_1)
	v_lshrrev_b64 v[18:19], s16, v[8:9]
	v_and_b32_e32 v19, s7, v18
	v_bitop3_b32 v18, v18, 1, s7 bitop3:0x80
	s_delay_alu instid0(VALU_DEP_2) | instskip(NEXT) | instid1(VALU_DEP_2)
	v_lshlrev_b32_e32 v22, 30, v19
	v_add_co_u32 v18, s0, v18, -1
	s_delay_alu instid0(VALU_DEP_1) | instskip(NEXT) | instid1(VALU_DEP_1)
	v_cndmask_b32_e64 v21, 0, 1, s0
	v_cmp_ne_u32_e32 vcc_lo, 0, v21
	s_delay_alu instid0(VALU_DEP_4) | instskip(NEXT) | instid1(VALU_DEP_1)
	v_not_b32_e32 v21, v22
	v_dual_ashrrev_i32 v21, 31, v21 :: v_dual_bitop2_b32 v18, vcc_lo, v18 bitop3:0x14
	v_dual_lshlrev_b32 v23, 29, v19 :: v_dual_lshlrev_b32 v24, 28, v19
	v_dual_lshlrev_b32 v25, 27, v19 :: v_dual_lshlrev_b32 v36, 26, v19
	v_lshlrev_b32_e32 v37, 25, v19
	v_cmp_gt_i32_e64 s0, 0, v22
	s_delay_alu instid0(VALU_DEP_4)
	v_cmp_gt_i32_e64 s1, 0, v23
	v_not_b32_e32 v22, v23
	v_not_b32_e32 v23, v24
	v_mad_u32 v38, 0x44, v19, v20
	v_lshlrev_b32_e32 v19, 24, v19
	v_cmp_gt_i32_e64 s3, 0, v24
	v_cmp_gt_i32_e64 s4, 0, v25
	v_not_b32_e32 v24, v25
	v_not_b32_e32 v25, v36
	v_dual_ashrrev_i32 v22, 31, v22 :: v_dual_ashrrev_i32 v23, 31, v23
	s_delay_alu instid0(VALU_DEP_3) | instskip(SKIP_1) | instid1(VALU_DEP_3)
	v_dual_ashrrev_i32 v24, 31, v24 :: v_dual_bitop2_b32 v21, s0, v21 bitop3:0x14
	v_cmp_gt_i32_e64 s5, 0, v36
	v_dual_ashrrev_i32 v25, 31, v25 :: v_dual_bitop2_b32 v22, s1, v22 bitop3:0x14
	s_delay_alu instid0(VALU_DEP_3)
	v_bitop3_b32 v18, v18, v21, exec_lo bitop3:0x80
	v_not_b32_e32 v21, v37
	v_xor_b32_e32 v23, s3, v23
	v_not_b32_e32 v36, v19
	v_cmp_gt_i32_e64 s6, 0, v37
	v_xor_b32_e32 v24, s4, v24
	v_xor_b32_e32 v25, s5, v25
	v_ashrrev_i32_e32 v21, 31, v21
	v_bitop3_b32 v18, v18, v23, v22 bitop3:0x80
	v_cmp_gt_i32_e32 vcc_lo, 0, v19
	v_ashrrev_i32_e32 v19, 31, v36
	ds_load_b32 v36, v38 offset:64
	v_xor_b32_e32 v21, s6, v21
	v_bitop3_b32 v18, v18, v25, v24 bitop3:0x80
	v_xor_b32_e32 v19, vcc_lo, v19
	; wave barrier
	s_delay_alu instid0(VALU_DEP_1) | instskip(NEXT) | instid1(VALU_DEP_1)
	v_bitop3_b32 v18, v18, v19, v21 bitop3:0x80
	v_mbcnt_lo_u32_b32 v37, v18, 0
	v_cmp_ne_u32_e64 s0, 0, v18
	s_delay_alu instid0(VALU_DEP_2) | instskip(SKIP_1) | instid1(SALU_CYCLE_1)
	v_cmp_eq_u32_e32 vcc_lo, 0, v37
	s_and_b32 s1, s0, vcc_lo
	s_and_saveexec_b32 s0, s1
	s_cbranch_execz .LBB2889_79
; %bb.78:
	s_wait_dscnt 0x0
	v_bcnt_u32_b32 v18, v18, v36
	ds_store_b32 v38, v18 offset:64
.LBB2889_79:
	s_or_b32 exec_lo, exec_lo, s0
	v_not_b32_e32 v11, v11
	v_not_b32_e32 v10, v10
	; wave barrier
	s_delay_alu instid0(VALU_DEP_1) | instskip(NEXT) | instid1(VALU_DEP_1)
	v_lshrrev_b64 v[18:19], s16, v[10:11]
	v_and_b32_e32 v19, s7, v18
	v_bitop3_b32 v18, v18, 1, s7 bitop3:0x80
	s_delay_alu instid0(VALU_DEP_2) | instskip(NEXT) | instid1(VALU_DEP_2)
	v_lshlrev_b32_e32 v22, 30, v19
	v_add_co_u32 v18, s0, v18, -1
	s_delay_alu instid0(VALU_DEP_1) | instskip(NEXT) | instid1(VALU_DEP_1)
	v_cndmask_b32_e64 v21, 0, 1, s0
	v_cmp_ne_u32_e32 vcc_lo, 0, v21
	s_delay_alu instid0(VALU_DEP_4) | instskip(NEXT) | instid1(VALU_DEP_1)
	v_not_b32_e32 v21, v22
	v_dual_ashrrev_i32 v21, 31, v21 :: v_dual_bitop2_b32 v18, vcc_lo, v18 bitop3:0x14
	v_dual_lshlrev_b32 v23, 29, v19 :: v_dual_lshlrev_b32 v24, 28, v19
	v_dual_lshlrev_b32 v25, 27, v19 :: v_dual_lshlrev_b32 v39, 26, v19
	v_lshlrev_b32_e32 v40, 25, v19
	v_cmp_gt_i32_e64 s0, 0, v22
	s_delay_alu instid0(VALU_DEP_4)
	v_cmp_gt_i32_e64 s1, 0, v23
	v_not_b32_e32 v22, v23
	v_not_b32_e32 v23, v24
	v_mad_u32 v41, 0x44, v19, v20
	v_lshlrev_b32_e32 v19, 24, v19
	v_cmp_gt_i32_e64 s3, 0, v24
	v_cmp_gt_i32_e64 s4, 0, v25
	v_not_b32_e32 v24, v25
	v_not_b32_e32 v25, v39
	v_dual_ashrrev_i32 v22, 31, v22 :: v_dual_ashrrev_i32 v23, 31, v23
	s_delay_alu instid0(VALU_DEP_3) | instskip(SKIP_1) | instid1(VALU_DEP_3)
	v_dual_ashrrev_i32 v24, 31, v24 :: v_dual_bitop2_b32 v21, s0, v21 bitop3:0x14
	v_cmp_gt_i32_e64 s5, 0, v39
	v_dual_ashrrev_i32 v25, 31, v25 :: v_dual_bitop2_b32 v22, s1, v22 bitop3:0x14
	s_delay_alu instid0(VALU_DEP_3)
	v_bitop3_b32 v18, v18, v21, exec_lo bitop3:0x80
	v_not_b32_e32 v21, v40
	v_xor_b32_e32 v23, s3, v23
	v_not_b32_e32 v39, v19
	v_cmp_gt_i32_e64 s6, 0, v40
	v_xor_b32_e32 v24, s4, v24
	v_xor_b32_e32 v25, s5, v25
	v_ashrrev_i32_e32 v21, 31, v21
	v_bitop3_b32 v18, v18, v23, v22 bitop3:0x80
	v_cmp_gt_i32_e32 vcc_lo, 0, v19
	v_ashrrev_i32_e32 v19, 31, v39
	ds_load_b32 v39, v41 offset:64
	v_xor_b32_e32 v21, s6, v21
	v_bitop3_b32 v18, v18, v25, v24 bitop3:0x80
	v_xor_b32_e32 v19, vcc_lo, v19
	; wave barrier
	s_delay_alu instid0(VALU_DEP_1) | instskip(NEXT) | instid1(VALU_DEP_1)
	v_bitop3_b32 v18, v18, v19, v21 bitop3:0x80
	v_mbcnt_lo_u32_b32 v40, v18, 0
	v_cmp_ne_u32_e64 s0, 0, v18
	s_delay_alu instid0(VALU_DEP_2) | instskip(SKIP_1) | instid1(SALU_CYCLE_1)
	v_cmp_eq_u32_e32 vcc_lo, 0, v40
	s_and_b32 s1, s0, vcc_lo
	s_and_saveexec_b32 s0, s1
	s_cbranch_execz .LBB2889_81
; %bb.80:
	s_wait_dscnt 0x0
	v_bcnt_u32_b32 v18, v18, v39
	ds_store_b32 v41, v18 offset:64
.LBB2889_81:
	s_or_b32 exec_lo, exec_lo, s0
	v_not_b32_e32 v15, v15
	v_not_b32_e32 v14, v14
	; wave barrier
	s_delay_alu instid0(VALU_DEP_1) | instskip(NEXT) | instid1(VALU_DEP_1)
	v_lshrrev_b64 v[18:19], s16, v[14:15]
	v_and_b32_e32 v19, s7, v18
	v_bitop3_b32 v18, v18, 1, s7 bitop3:0x80
	s_delay_alu instid0(VALU_DEP_2) | instskip(NEXT) | instid1(VALU_DEP_2)
	v_lshlrev_b32_e32 v22, 30, v19
	v_add_co_u32 v18, s0, v18, -1
	s_delay_alu instid0(VALU_DEP_1) | instskip(NEXT) | instid1(VALU_DEP_1)
	v_cndmask_b32_e64 v21, 0, 1, s0
	v_cmp_ne_u32_e32 vcc_lo, 0, v21
	s_delay_alu instid0(VALU_DEP_4) | instskip(NEXT) | instid1(VALU_DEP_1)
	v_not_b32_e32 v21, v22
	v_dual_ashrrev_i32 v21, 31, v21 :: v_dual_bitop2_b32 v18, vcc_lo, v18 bitop3:0x14
	v_dual_lshlrev_b32 v23, 29, v19 :: v_dual_lshlrev_b32 v24, 28, v19
	v_dual_lshlrev_b32 v25, 27, v19 :: v_dual_lshlrev_b32 v42, 26, v19
	v_lshlrev_b32_e32 v43, 25, v19
	v_cmp_gt_i32_e64 s0, 0, v22
	s_delay_alu instid0(VALU_DEP_4)
	v_cmp_gt_i32_e64 s1, 0, v23
	v_not_b32_e32 v22, v23
	v_not_b32_e32 v23, v24
	v_mad_u32 v44, 0x44, v19, v20
	v_lshlrev_b32_e32 v19, 24, v19
	v_cmp_gt_i32_e64 s3, 0, v24
	v_cmp_gt_i32_e64 s4, 0, v25
	v_not_b32_e32 v24, v25
	v_not_b32_e32 v25, v42
	v_dual_ashrrev_i32 v22, 31, v22 :: v_dual_ashrrev_i32 v23, 31, v23
	s_delay_alu instid0(VALU_DEP_3) | instskip(SKIP_1) | instid1(VALU_DEP_3)
	v_dual_ashrrev_i32 v24, 31, v24 :: v_dual_bitop2_b32 v21, s0, v21 bitop3:0x14
	v_cmp_gt_i32_e64 s5, 0, v42
	v_dual_ashrrev_i32 v25, 31, v25 :: v_dual_bitop2_b32 v22, s1, v22 bitop3:0x14
	s_delay_alu instid0(VALU_DEP_3)
	v_bitop3_b32 v18, v18, v21, exec_lo bitop3:0x80
	v_not_b32_e32 v21, v43
	v_xor_b32_e32 v23, s3, v23
	v_not_b32_e32 v42, v19
	v_cmp_gt_i32_e64 s6, 0, v43
	v_xor_b32_e32 v24, s4, v24
	v_xor_b32_e32 v25, s5, v25
	v_ashrrev_i32_e32 v21, 31, v21
	v_bitop3_b32 v18, v18, v23, v22 bitop3:0x80
	v_cmp_gt_i32_e32 vcc_lo, 0, v19
	v_ashrrev_i32_e32 v19, 31, v42
	ds_load_b32 v42, v44 offset:64
	v_xor_b32_e32 v21, s6, v21
	v_bitop3_b32 v18, v18, v25, v24 bitop3:0x80
	v_xor_b32_e32 v19, vcc_lo, v19
	; wave barrier
	s_delay_alu instid0(VALU_DEP_1) | instskip(NEXT) | instid1(VALU_DEP_1)
	v_bitop3_b32 v18, v18, v19, v21 bitop3:0x80
	v_mbcnt_lo_u32_b32 v43, v18, 0
	v_cmp_ne_u32_e64 s0, 0, v18
	s_delay_alu instid0(VALU_DEP_2) | instskip(SKIP_1) | instid1(SALU_CYCLE_1)
	v_cmp_eq_u32_e32 vcc_lo, 0, v43
	s_and_b32 s1, s0, vcc_lo
	s_and_saveexec_b32 s0, s1
	s_cbranch_execz .LBB2889_83
; %bb.82:
	s_wait_dscnt 0x0
	v_bcnt_u32_b32 v18, v18, v42
	ds_store_b32 v44, v18 offset:64
.LBB2889_83:
	s_or_b32 exec_lo, exec_lo, s0
	v_not_b32_e32 v17, v17
	v_not_b32_e32 v16, v16
	; wave barrier
	s_delay_alu instid0(VALU_DEP_1) | instskip(NEXT) | instid1(VALU_DEP_1)
	v_lshrrev_b64 v[18:19], s16, v[16:17]
	v_and_b32_e32 v19, s7, v18
	v_bitop3_b32 v18, v18, 1, s7 bitop3:0x80
	s_delay_alu instid0(VALU_DEP_2) | instskip(NEXT) | instid1(VALU_DEP_2)
	v_lshlrev_b32_e32 v22, 30, v19
	v_add_co_u32 v18, s0, v18, -1
	s_delay_alu instid0(VALU_DEP_1) | instskip(NEXT) | instid1(VALU_DEP_1)
	v_cndmask_b32_e64 v21, 0, 1, s0
	v_cmp_ne_u32_e32 vcc_lo, 0, v21
	s_delay_alu instid0(VALU_DEP_4) | instskip(NEXT) | instid1(VALU_DEP_1)
	v_not_b32_e32 v21, v22
	v_dual_ashrrev_i32 v21, 31, v21 :: v_dual_bitop2_b32 v18, vcc_lo, v18 bitop3:0x14
	v_dual_lshlrev_b32 v23, 29, v19 :: v_dual_lshlrev_b32 v24, 28, v19
	v_dual_lshlrev_b32 v25, 27, v19 :: v_dual_lshlrev_b32 v45, 26, v19
	v_lshlrev_b32_e32 v46, 25, v19
	v_cmp_gt_i32_e64 s0, 0, v22
	s_delay_alu instid0(VALU_DEP_4)
	v_cmp_gt_i32_e64 s1, 0, v23
	v_not_b32_e32 v22, v23
	v_not_b32_e32 v23, v24
	v_mad_u32 v47, 0x44, v19, v20
	v_lshlrev_b32_e32 v19, 24, v19
	v_cmp_gt_i32_e64 s3, 0, v24
	v_cmp_gt_i32_e64 s4, 0, v25
	v_not_b32_e32 v24, v25
	v_not_b32_e32 v25, v45
	v_dual_ashrrev_i32 v22, 31, v22 :: v_dual_ashrrev_i32 v23, 31, v23
	s_delay_alu instid0(VALU_DEP_3) | instskip(SKIP_1) | instid1(VALU_DEP_3)
	v_dual_ashrrev_i32 v24, 31, v24 :: v_dual_bitop2_b32 v21, s0, v21 bitop3:0x14
	v_cmp_gt_i32_e64 s5, 0, v45
	v_dual_ashrrev_i32 v25, 31, v25 :: v_dual_bitop2_b32 v22, s1, v22 bitop3:0x14
	s_delay_alu instid0(VALU_DEP_3)
	v_bitop3_b32 v18, v18, v21, exec_lo bitop3:0x80
	v_not_b32_e32 v21, v46
	v_xor_b32_e32 v23, s3, v23
	v_not_b32_e32 v45, v19
	v_cmp_gt_i32_e64 s6, 0, v46
	v_xor_b32_e32 v24, s4, v24
	v_xor_b32_e32 v25, s5, v25
	v_ashrrev_i32_e32 v21, 31, v21
	v_bitop3_b32 v18, v18, v23, v22 bitop3:0x80
	v_cmp_gt_i32_e32 vcc_lo, 0, v19
	v_ashrrev_i32_e32 v19, 31, v45
	ds_load_b32 v45, v47 offset:64
	v_xor_b32_e32 v21, s6, v21
	v_bitop3_b32 v18, v18, v25, v24 bitop3:0x80
	v_xor_b32_e32 v19, vcc_lo, v19
	; wave barrier
	s_delay_alu instid0(VALU_DEP_1) | instskip(NEXT) | instid1(VALU_DEP_1)
	v_bitop3_b32 v18, v18, v19, v21 bitop3:0x80
	v_mbcnt_lo_u32_b32 v46, v18, 0
	v_cmp_ne_u32_e64 s0, 0, v18
	s_delay_alu instid0(VALU_DEP_2) | instskip(SKIP_1) | instid1(SALU_CYCLE_1)
	v_cmp_eq_u32_e32 vcc_lo, 0, v46
	s_and_b32 s1, s0, vcc_lo
	s_and_saveexec_b32 s0, s1
	s_cbranch_execz .LBB2889_85
; %bb.84:
	s_wait_dscnt 0x0
	v_bcnt_u32_b32 v18, v18, v45
	ds_store_b32 v47, v18 offset:64
.LBB2889_85:
	s_or_b32 exec_lo, exec_lo, s0
	v_not_b32_e32 v13, v13
	v_not_b32_e32 v12, v12
	; wave barrier
	s_delay_alu instid0(VALU_DEP_1) | instskip(NEXT) | instid1(VALU_DEP_1)
	v_lshrrev_b64 v[18:19], s16, v[12:13]
	v_and_b32_e32 v19, s7, v18
	v_bitop3_b32 v18, v18, 1, s7 bitop3:0x80
	s_delay_alu instid0(VALU_DEP_2) | instskip(NEXT) | instid1(VALU_DEP_2)
	v_mad_u32 v50, 0x44, v19, v20
	v_add_co_u32 v18, s0, v18, -1
	s_delay_alu instid0(VALU_DEP_1) | instskip(SKIP_1) | instid1(VALU_DEP_2)
	v_cndmask_b32_e64 v20, 0, 1, s0
	v_lshlrev_b32_e32 v21, 30, v19
	v_cmp_ne_u32_e32 vcc_lo, 0, v20
	s_delay_alu instid0(VALU_DEP_2) | instskip(NEXT) | instid1(VALU_DEP_1)
	v_not_b32_e32 v20, v21
	v_dual_ashrrev_i32 v20, 31, v20 :: v_dual_bitop2_b32 v18, vcc_lo, v18 bitop3:0x14
	v_dual_lshlrev_b32 v22, 29, v19 :: v_dual_lshlrev_b32 v23, 28, v19
	v_dual_lshlrev_b32 v24, 27, v19 :: v_dual_lshlrev_b32 v25, 26, v19
	v_lshlrev_b32_e32 v48, 25, v19
	v_cmp_gt_i32_e64 s0, 0, v21
	s_delay_alu instid0(VALU_DEP_4)
	v_cmp_gt_i32_e64 s1, 0, v22
	v_not_b32_e32 v21, v22
	v_not_b32_e32 v22, v23
	v_lshlrev_b32_e32 v19, 24, v19
	v_cmp_gt_i32_e64 s3, 0, v23
	v_cmp_gt_i32_e64 s4, 0, v24
	v_not_b32_e32 v23, v24
	v_not_b32_e32 v24, v25
	v_dual_ashrrev_i32 v21, 31, v21 :: v_dual_ashrrev_i32 v22, 31, v22
	s_delay_alu instid0(VALU_DEP_3) | instskip(SKIP_1) | instid1(VALU_DEP_3)
	v_dual_ashrrev_i32 v23, 31, v23 :: v_dual_bitop2_b32 v20, s0, v20 bitop3:0x14
	v_cmp_gt_i32_e64 s5, 0, v25
	v_dual_ashrrev_i32 v24, 31, v24 :: v_dual_bitop2_b32 v21, s1, v21 bitop3:0x14
	s_delay_alu instid0(VALU_DEP_3)
	v_bitop3_b32 v18, v18, v20, exec_lo bitop3:0x80
	v_not_b32_e32 v20, v48
	v_xor_b32_e32 v22, s3, v22
	v_not_b32_e32 v25, v19
	v_cmp_gt_i32_e64 s6, 0, v48
	v_xor_b32_e32 v23, s4, v23
	v_xor_b32_e32 v24, s5, v24
	v_ashrrev_i32_e32 v20, 31, v20
	v_bitop3_b32 v18, v18, v22, v21 bitop3:0x80
	v_cmp_gt_i32_e32 vcc_lo, 0, v19
	v_ashrrev_i32_e32 v19, 31, v25
	ds_load_b32 v48, v50 offset:64
	v_xor_b32_e32 v20, s6, v20
	v_bitop3_b32 v18, v18, v24, v23 bitop3:0x80
	v_xor_b32_e32 v19, vcc_lo, v19
	; wave barrier
	s_delay_alu instid0(VALU_DEP_1) | instskip(NEXT) | instid1(VALU_DEP_1)
	v_bitop3_b32 v18, v18, v19, v20 bitop3:0x80
	v_mbcnt_lo_u32_b32 v49, v18, 0
	v_cmp_ne_u32_e64 s0, 0, v18
	s_delay_alu instid0(VALU_DEP_2) | instskip(SKIP_1) | instid1(SALU_CYCLE_1)
	v_cmp_eq_u32_e32 vcc_lo, 0, v49
	s_and_b32 s1, s0, vcc_lo
	s_and_saveexec_b32 s0, s1
	s_cbranch_execz .LBB2889_87
; %bb.86:
	s_wait_dscnt 0x0
	v_bcnt_u32_b32 v18, v18, v48
	ds_store_b32 v50, v18 offset:64
.LBB2889_87:
	s_or_b32 exec_lo, exec_lo, s0
	; wave barrier
	s_wait_dscnt 0x0
	s_barrier_signal -1
	s_barrier_wait -1
	ds_load_2addr_b32 v[24:25], v26 offset0:16 offset1:17
	ds_load_2addr_b32 v[22:23], v26 offset0:18 offset1:19
	;; [unrolled: 1-line block ×4, first 2 shown]
	ds_load_b32 v51, v26 offset:96
	v_bfe_i32 v54, v33, 4, 1
	s_mov_b32 s5, exec_lo
	s_wait_dscnt 0x3
	v_add3_u32 v52, v25, v24, v22
	s_wait_dscnt 0x2
	s_delay_alu instid0(VALU_DEP_1) | instskip(SKIP_1) | instid1(VALU_DEP_1)
	v_add3_u32 v52, v52, v23, v20
	s_wait_dscnt 0x1
	v_add3_u32 v52, v52, v21, v18
	s_wait_dscnt 0x0
	s_delay_alu instid0(VALU_DEP_1) | instskip(SKIP_1) | instid1(VALU_DEP_2)
	v_add3_u32 v51, v52, v19, v51
	v_and_b32_e32 v52, 15, v33
	v_mov_b32_dpp v53, v51 row_shr:1 row_mask:0xf bank_mask:0xf
	s_delay_alu instid0(VALU_DEP_2) | instskip(NEXT) | instid1(VALU_DEP_2)
	v_cmp_eq_u32_e32 vcc_lo, 0, v52
	v_cndmask_b32_e64 v53, v53, 0, vcc_lo
	s_delay_alu instid0(VALU_DEP_1) | instskip(SKIP_3) | instid1(VALU_DEP_4)
	v_add_nc_u32_e32 v51, v53, v51
	v_cmp_lt_u32_e64 s0, 1, v52
	v_cmp_lt_u32_e64 s1, 3, v52
	v_cmp_lt_u32_e64 s3, 7, v52
	v_mov_b32_dpp v53, v51 row_shr:2 row_mask:0xf bank_mask:0xf
	s_delay_alu instid0(VALU_DEP_1) | instskip(NEXT) | instid1(VALU_DEP_1)
	v_cndmask_b32_e64 v53, 0, v53, s0
	v_add_nc_u32_e32 v51, v51, v53
	s_delay_alu instid0(VALU_DEP_1) | instskip(NEXT) | instid1(VALU_DEP_1)
	v_mov_b32_dpp v53, v51 row_shr:4 row_mask:0xf bank_mask:0xf
	v_cndmask_b32_e64 v53, 0, v53, s1
	s_delay_alu instid0(VALU_DEP_1) | instskip(NEXT) | instid1(VALU_DEP_1)
	v_add_nc_u32_e32 v51, v51, v53
	v_mov_b32_dpp v53, v51 row_shr:8 row_mask:0xf bank_mask:0xf
	s_delay_alu instid0(VALU_DEP_1) | instskip(SKIP_1) | instid1(VALU_DEP_2)
	v_cndmask_b32_e64 v52, 0, v53, s3
	v_and_b32_e32 v53, 0x3e0, v32
	v_add_nc_u32_e32 v51, v51, v52
	s_delay_alu instid0(VALU_DEP_2) | instskip(SKIP_4) | instid1(VALU_DEP_1)
	v_min_u32_e32 v53, 0x1e0, v53
	ds_swizzle_b32 v52, v51 offset:swizzle(BROADCAST,32,15)
	v_or_b32_e32 v53, 31, v53
	s_wait_dscnt 0x0
	v_and_b32_e32 v54, v54, v52
	v_dual_lshrrev_b32 v52, 5, v32 :: v_dual_add_nc_u32 v51, v51, v54
	s_delay_alu instid0(VALU_DEP_3)
	v_cmpx_eq_u32_e64 v32, v53
; %bb.88:
	s_delay_alu instid0(VALU_DEP_2)
	v_lshlrev_b32_e32 v53, 2, v52
	ds_store_b32 v53, v51
; %bb.89:
	s_or_b32 exec_lo, exec_lo, s5
	s_delay_alu instid0(SALU_CYCLE_1)
	s_mov_b32 s5, exec_lo
	s_wait_dscnt 0x0
	s_barrier_signal -1
	s_barrier_wait -1
	v_cmpx_gt_u32_e32 16, v32
	s_cbranch_execz .LBB2889_91
; %bb.90:
	v_lshlrev_b32_e32 v53, 2, v32
	ds_load_b32 v54, v53
	s_wait_dscnt 0x0
	v_mov_b32_dpp v55, v54 row_shr:1 row_mask:0xf bank_mask:0xf
	s_delay_alu instid0(VALU_DEP_1) | instskip(NEXT) | instid1(VALU_DEP_1)
	v_cndmask_b32_e64 v55, v55, 0, vcc_lo
	v_add_nc_u32_e32 v54, v55, v54
	s_delay_alu instid0(VALU_DEP_1) | instskip(NEXT) | instid1(VALU_DEP_1)
	v_mov_b32_dpp v55, v54 row_shr:2 row_mask:0xf bank_mask:0xf
	v_cndmask_b32_e64 v55, 0, v55, s0
	s_delay_alu instid0(VALU_DEP_1) | instskip(NEXT) | instid1(VALU_DEP_1)
	v_add_nc_u32_e32 v54, v54, v55
	v_mov_b32_dpp v55, v54 row_shr:4 row_mask:0xf bank_mask:0xf
	s_delay_alu instid0(VALU_DEP_1) | instskip(NEXT) | instid1(VALU_DEP_1)
	v_cndmask_b32_e64 v55, 0, v55, s1
	v_add_nc_u32_e32 v54, v54, v55
	s_delay_alu instid0(VALU_DEP_1) | instskip(NEXT) | instid1(VALU_DEP_1)
	v_mov_b32_dpp v55, v54 row_shr:8 row_mask:0xf bank_mask:0xf
	v_cndmask_b32_e64 v55, 0, v55, s3
	s_delay_alu instid0(VALU_DEP_1)
	v_add_nc_u32_e32 v54, v54, v55
	ds_store_b32 v53, v54
.LBB2889_91:
	s_or_b32 exec_lo, exec_lo, s5
	v_mov_b32_e32 v53, 0
	s_mov_b32 s0, exec_lo
	s_wait_dscnt 0x0
	s_barrier_signal -1
	s_barrier_wait -1
	v_cmpx_lt_u32_e32 31, v32
; %bb.92:
	v_lshl_add_u32 v52, v52, 2, -4
	ds_load_b32 v53, v52
; %bb.93:
	s_or_b32 exec_lo, exec_lo, s0
	v_sub_co_u32 v52, vcc_lo, v33, 1
	s_wait_dscnt 0x0
	v_add_nc_u32_e32 v51, v53, v51
	s_delay_alu instid0(VALU_DEP_2) | instskip(NEXT) | instid1(VALU_DEP_1)
	v_cmp_gt_i32_e64 s0, 0, v52
	v_cndmask_b32_e64 v33, v52, v33, s0
	v_cmp_lt_u32_e64 s0, 0xff, v32
	s_delay_alu instid0(VALU_DEP_2) | instskip(SKIP_4) | instid1(VALU_DEP_2)
	v_lshlrev_b32_e32 v33, 2, v33
	ds_bpermute_b32 v33, v33, v51
	s_wait_dscnt 0x0
	v_cndmask_b32_e32 v33, v33, v53, vcc_lo
	v_cmp_gt_u32_e32 vcc_lo, 0x100, v32
	v_cndmask_b32_e64 v33, v33, 0, s2
	s_delay_alu instid0(VALU_DEP_1) | instskip(NEXT) | instid1(VALU_DEP_1)
	v_add_nc_u32_e32 v24, v33, v24
	v_add_nc_u32_e32 v25, v24, v25
	s_delay_alu instid0(VALU_DEP_1) | instskip(NEXT) | instid1(VALU_DEP_1)
	v_add_nc_u32_e32 v22, v25, v22
	v_add_nc_u32_e32 v23, v22, v23
	;; [unrolled: 3-line block ×4, first 2 shown]
	ds_store_2addr_b32 v26, v33, v24 offset0:16 offset1:17
	ds_store_2addr_b32 v26, v25, v22 offset0:18 offset1:19
	;; [unrolled: 1-line block ×4, first 2 shown]
	ds_store_b32 v26, v19 offset:96
	s_wait_dscnt 0x0
	s_barrier_signal -1
	s_barrier_wait -1
	ds_load_b32 v51, v27 offset:64
	ds_load_b32 v21, v28 offset:64
	;; [unrolled: 1-line block ×8, first 2 shown]
	v_mov_b64_e32 v[18:19], 0
                                        ; implicit-def: $vgpr20
	s_and_saveexec_b32 s2, vcc_lo
	s_cbranch_execz .LBB2889_97
; %bb.94:
	v_mul_u32_u24_e32 v18, 0x44, v32
	v_dual_mov_b32 v19, 0x1000 :: v_dual_add_nc_u32 v20, 1, v32
	s_mov_b32 s3, exec_lo
	ds_load_b32 v18, v18 offset:64
	v_cmpx_ne_u32_e32 0x100, v20
; %bb.95:
	v_mul_u32_u24_e32 v19, 0x44, v20
	ds_load_b32 v19, v19 offset:64
; %bb.96:
	s_or_b32 exec_lo, exec_lo, s3
	s_wait_dscnt 0x0
	v_dual_mov_b32 v19, 0 :: v_dual_sub_nc_u32 v20, v19, v18
.LBB2889_97:
	s_or_b32 exec_lo, exec_lo, s2
	v_mov_b32_e32 v23, 0
	s_wait_dscnt 0x0
	s_barrier_signal -1
	s_barrier_wait -1
	s_and_saveexec_b32 s1, vcc_lo
	s_cbranch_execz .LBB2889_107
; %bb.98:
	v_lshl_add_u32 v22, s19, 8, v32
	v_dual_mov_b32 v26, 0 :: v_dual_bitop2_b32 v27, 2.0, v20 bitop3:0x54
	s_mov_b32 s2, 0
	s_mov_b32 s3, s19
	s_delay_alu instid0(VALU_DEP_2)
	v_lshl_add_u64 v[24:25], v[22:23], 2, s[20:21]
	global_store_b32 v22, v27, s[20:21] scale_offset scope:SCOPE_DEV
                                        ; implicit-def: $sgpr4
	s_branch .LBB2889_101
.LBB2889_99:                            ;   in Loop: Header=BB2889_101 Depth=1
	s_or_b32 exec_lo, exec_lo, s5
.LBB2889_100:                           ;   in Loop: Header=BB2889_101 Depth=1
	s_delay_alu instid0(SALU_CYCLE_1) | instskip(SKIP_2) | instid1(VALU_DEP_2)
	s_or_b32 exec_lo, exec_lo, s4
	v_and_b32_e32 v22, 0x3fffffff, v27
	v_cmp_gt_i32_e64 s4, -2.0, v27
	v_add_nc_u32_e32 v26, v22, v26
	s_and_b32 s5, exec_lo, s4
	s_delay_alu instid0(SALU_CYCLE_1) | instskip(NEXT) | instid1(SALU_CYCLE_1)
	s_or_b32 s2, s5, s2
	s_and_not1_b32 exec_lo, exec_lo, s2
	s_cbranch_execz .LBB2889_106
.LBB2889_101:                           ; =>This Loop Header: Depth=1
                                        ;     Child Loop BB2889_104 Depth 2
	s_or_b32 s4, s4, exec_lo
	s_cmp_eq_u32 s3, 0
	s_cbranch_scc1 .LBB2889_105
; %bb.102:                              ;   in Loop: Header=BB2889_101 Depth=1
	s_add_co_i32 s3, s3, -1
	s_mov_b32 s4, exec_lo
	s_wait_xcnt 0x0
	v_lshl_or_b32 v22, s3, 8, v32
	global_load_b32 v27, v22, s[20:21] scale_offset scope:SCOPE_DEV
	s_wait_loadcnt 0x0
	v_cmpx_gt_u32_e32 2.0, v27
	s_cbranch_execz .LBB2889_100
; %bb.103:                              ;   in Loop: Header=BB2889_101 Depth=1
	v_lshl_add_u64 v[28:29], v[22:23], 2, s[20:21]
	s_mov_b32 s5, 0
.LBB2889_104:                           ;   Parent Loop BB2889_101 Depth=1
                                        ; =>  This Inner Loop Header: Depth=2
	global_load_b32 v27, v[28:29], off scope:SCOPE_DEV
	s_wait_loadcnt 0x0
	v_cmp_lt_u32_e32 vcc_lo, 0x3fffffff, v27
	s_or_b32 s5, vcc_lo, s5
	s_wait_xcnt 0x0
	s_and_not1_b32 exec_lo, exec_lo, s5
	s_cbranch_execnz .LBB2889_104
	s_branch .LBB2889_99
.LBB2889_105:                           ;   in Loop: Header=BB2889_101 Depth=1
                                        ; implicit-def: $sgpr3
	s_and_b32 s5, exec_lo, s4
	s_delay_alu instid0(SALU_CYCLE_1)
	s_or_b32 s2, s5, s2
	s_wait_xcnt 0x0
	s_and_not1_b32 exec_lo, exec_lo, s2
	s_cbranch_execnz .LBB2889_101
.LBB2889_106:
	s_or_b32 exec_lo, exec_lo, s2
	v_dual_mov_b32 v27, 0 :: v_dual_add_nc_u32 v22, v26, v20
	s_delay_alu instid0(VALU_DEP_1) | instskip(SKIP_4) | instid1(VALU_DEP_1)
	v_or_b32_e32 v22, 0x80000000, v22
	global_store_b32 v[24:25], v22, off scope:SCOPE_DEV
	global_load_b64 v[22:23], v32, s[8:9] scale_offset
	v_sub_nc_u64_e32 v[24:25], v[26:27], v[18:19]
	s_wait_loadcnt 0x0
	v_add_nc_u64_e32 v[22:23], v[24:25], v[22:23]
	ds_store_b64 v2, v[22:23]
.LBB2889_107:
	s_wait_xcnt 0x0
	s_or_b32 exec_lo, exec_lo, s1
	v_dual_mov_b32 v3, 0 :: v_dual_add_nc_u32 v24, v51, v3
	v_add3_u32 v25, v49, v50, v48
	v_add3_u32 v26, v46, v47, v45
	v_add3_u32 v27, v43, v44, v42
	v_add3_u32 v28, v40, v41, v39
	v_add_nc_u64_e32 v[22:23], s[14:15], v[2:3]
	v_add3_u32 v29, v37, v38, v36
	v_add3_u32 v3, v35, v33, v34
	;; [unrolled: 1-line block ×3, first 2 shown]
	s_mov_b32 s2, -1
	s_mov_b32 s1, 0
.LBB2889_108:                           ; =>This Inner Loop Header: Depth=1
	s_wait_xcnt 0x3
	v_add_min_u32_e64 v30, v24, s1, 0x800
	v_add_min_u32_e64 v31, v21, s1, 0x800
	;; [unrolled: 1-line block ×5, first 2 shown]
	s_wait_xcnt 0x2
	v_add_min_u32_e64 v36, v27, s1, 0x800
	v_add_min_u32_e64 v37, v26, s1, 0x800
	s_wait_xcnt 0x1
	v_add_min_u32_e64 v38, v25, s1, 0x800
	v_dual_lshlrev_b32 v30, 3, v30 :: v_dual_lshlrev_b32 v31, 3, v31
	v_dual_lshlrev_b32 v33, 3, v33 :: v_dual_lshlrev_b32 v34, 3, v34
	;; [unrolled: 1-line block ×3, first 2 shown]
	s_delay_alu instid0(VALU_DEP_4)
	v_dual_lshlrev_b32 v37, 3, v37 :: v_dual_lshlrev_b32 v38, 3, v38
	ds_store_b64 v30, v[4:5] offset:2048
	ds_store_b64 v31, v[0:1] offset:2048
	;; [unrolled: 1-line block ×8, first 2 shown]
	s_wait_storecnt_dscnt 0x0
	s_barrier_signal -1
	s_barrier_wait -1
	ds_load_2addr_stride64_b64 v[34:37], v2 offset0:4 offset1:12
	s_wait_xcnt 0x0
	ds_load_2addr_stride64_b64 v[38:41], v2 offset0:20 offset1:28
	s_addk_co_i32 s1, 0xf800
	s_and_b32 vcc_lo, exec_lo, s2
	s_mov_b32 s2, 0
	s_wait_dscnt 0x1
	v_lshrrev_b64 v[30:31], s16, v[34:35]
	s_wait_dscnt 0x0
	v_lshrrev_b64 v[44:45], s16, v[38:39]
	v_lshrrev_b64 v[42:43], s16, v[36:37]
	;; [unrolled: 1-line block ×3, first 2 shown]
	v_not_b32_e32 v35, v35
	v_not_b32_e32 v34, v34
	;; [unrolled: 1-line block ×4, first 2 shown]
	v_and_b32_e32 v33, s7, v44
	v_and_b32_e32 v31, s7, v42
	;; [unrolled: 1-line block ×3, first 2 shown]
	v_not_b32_e32 v39, v39
	v_not_b32_e32 v38, v38
	v_dual_lshlrev_b32 v33, 3, v33 :: v_dual_bitop2_b32 v30, s7, v30 bitop3:0x40
	s_delay_alu instid0(VALU_DEP_4) | instskip(SKIP_2) | instid1(VALU_DEP_4)
	v_dual_lshlrev_b32 v43, 3, v31 :: v_dual_lshlrev_b32 v46, 3, v42
	v_not_b32_e32 v41, v41
	v_not_b32_e32 v40, v40
	v_lshlrev_b32_e32 v30, 3, v30
	ds_load_b64 v[30:31], v30
	ds_load_b64 v[42:43], v43
	;; [unrolled: 1-line block ×4, first 2 shown]
	s_wait_dscnt 0x3
	v_lshl_add_u64 v[30:31], v[30:31], 3, v[22:23]
	s_wait_dscnt 0x2
	v_lshl_add_u64 v[42:43], v[42:43], 3, v[22:23]
	;; [unrolled: 2-line block ×4, first 2 shown]
	v_add_nc_u64_e32 v[22:23], 0x4000, v[22:23]
	s_clause 0x3
	global_store_b64 v[30:31], v[34:35], off
	global_store_b64 v[42:43], v[36:37], off offset:4096
	global_store_b64 v[44:45], v[38:39], off offset:8192
	;; [unrolled: 1-line block ×3, first 2 shown]
	s_wait_storecnt 0x0
	s_barrier_signal -1
	s_barrier_wait -1
	s_cbranch_vccnz .LBB2889_108
; %bb.109:
	s_add_co_i32 s12, s12, -1
	s_delay_alu instid0(SALU_CYCLE_1) | instskip(SKIP_2) | instid1(SALU_CYCLE_1)
	s_cmp_eq_u32 s19, s12
	s_cselect_b32 s1, -1, 0
	s_xor_b32 s0, s0, -1
	s_and_b32 s0, s0, s1
	s_wait_xcnt 0x0
	s_and_saveexec_b32 s1, s0
	s_cbranch_execz .LBB2889_111
; %bb.110:
	ds_load_b64 v[0:1], v2
	v_mov_b32_e32 v21, 0
	s_delay_alu instid0(VALU_DEP_1) | instskip(SKIP_1) | instid1(VALU_DEP_1)
	v_add_nc_u64_e32 v[2:3], v[18:19], v[20:21]
	s_wait_dscnt 0x0
	v_add_nc_u64_e32 v[0:1], v[2:3], v[0:1]
	global_store_b64 v32, v[0:1], s[10:11] scale_offset
.LBB2889_111:
	s_endpgm
	.section	.rodata,"a",@progbits
	.p2align	6, 0x0
	.amdhsa_kernel _ZN7rocprim17ROCPRIM_400000_NS6detail17trampoline_kernelINS0_14default_configENS1_35radix_sort_onesweep_config_selectorImNS0_10empty_typeEEEZZNS1_29radix_sort_onesweep_iterationIS3_Lb1EPKmPmPS5_SB_mNS0_19identity_decomposerENS1_16block_id_wrapperIjLb1EEEEE10hipError_tT1_PNSt15iterator_traitsISG_E10value_typeET2_T3_PNSH_ISM_E10value_typeET4_T5_PSR_SS_PNS1_23onesweep_lookback_stateEbbT6_jjT7_P12ihipStream_tbENKUlT_T0_SG_SL_E_clISA_SA_SB_SB_EEDaSZ_S10_SG_SL_EUlSZ_E_NS1_11comp_targetILNS1_3genE0ELNS1_11target_archE4294967295ELNS1_3gpuE0ELNS1_3repE0EEENS1_47radix_sort_onesweep_sort_config_static_selectorELNS0_4arch9wavefront6targetE0EEEvSG_
		.amdhsa_group_segment_fixed_size 18504
		.amdhsa_private_segment_fixed_size 0
		.amdhsa_kernarg_size 344
		.amdhsa_user_sgpr_count 2
		.amdhsa_user_sgpr_dispatch_ptr 0
		.amdhsa_user_sgpr_queue_ptr 0
		.amdhsa_user_sgpr_kernarg_segment_ptr 1
		.amdhsa_user_sgpr_dispatch_id 0
		.amdhsa_user_sgpr_kernarg_preload_length 0
		.amdhsa_user_sgpr_kernarg_preload_offset 0
		.amdhsa_user_sgpr_private_segment_size 0
		.amdhsa_wavefront_size32 1
		.amdhsa_uses_dynamic_stack 0
		.amdhsa_enable_private_segment 0
		.amdhsa_system_sgpr_workgroup_id_x 1
		.amdhsa_system_sgpr_workgroup_id_y 0
		.amdhsa_system_sgpr_workgroup_id_z 0
		.amdhsa_system_sgpr_workgroup_info 0
		.amdhsa_system_vgpr_workitem_id 2
		.amdhsa_next_free_vgpr 57
		.amdhsa_next_free_sgpr 28
		.amdhsa_named_barrier_count 0
		.amdhsa_reserve_vcc 1
		.amdhsa_float_round_mode_32 0
		.amdhsa_float_round_mode_16_64 0
		.amdhsa_float_denorm_mode_32 3
		.amdhsa_float_denorm_mode_16_64 3
		.amdhsa_fp16_overflow 0
		.amdhsa_memory_ordered 1
		.amdhsa_forward_progress 1
		.amdhsa_inst_pref_size 89
		.amdhsa_round_robin_scheduling 0
		.amdhsa_exception_fp_ieee_invalid_op 0
		.amdhsa_exception_fp_denorm_src 0
		.amdhsa_exception_fp_ieee_div_zero 0
		.amdhsa_exception_fp_ieee_overflow 0
		.amdhsa_exception_fp_ieee_underflow 0
		.amdhsa_exception_fp_ieee_inexact 0
		.amdhsa_exception_int_div_zero 0
	.end_amdhsa_kernel
	.section	.text._ZN7rocprim17ROCPRIM_400000_NS6detail17trampoline_kernelINS0_14default_configENS1_35radix_sort_onesweep_config_selectorImNS0_10empty_typeEEEZZNS1_29radix_sort_onesweep_iterationIS3_Lb1EPKmPmPS5_SB_mNS0_19identity_decomposerENS1_16block_id_wrapperIjLb1EEEEE10hipError_tT1_PNSt15iterator_traitsISG_E10value_typeET2_T3_PNSH_ISM_E10value_typeET4_T5_PSR_SS_PNS1_23onesweep_lookback_stateEbbT6_jjT7_P12ihipStream_tbENKUlT_T0_SG_SL_E_clISA_SA_SB_SB_EEDaSZ_S10_SG_SL_EUlSZ_E_NS1_11comp_targetILNS1_3genE0ELNS1_11target_archE4294967295ELNS1_3gpuE0ELNS1_3repE0EEENS1_47radix_sort_onesweep_sort_config_static_selectorELNS0_4arch9wavefront6targetE0EEEvSG_,"axG",@progbits,_ZN7rocprim17ROCPRIM_400000_NS6detail17trampoline_kernelINS0_14default_configENS1_35radix_sort_onesweep_config_selectorImNS0_10empty_typeEEEZZNS1_29radix_sort_onesweep_iterationIS3_Lb1EPKmPmPS5_SB_mNS0_19identity_decomposerENS1_16block_id_wrapperIjLb1EEEEE10hipError_tT1_PNSt15iterator_traitsISG_E10value_typeET2_T3_PNSH_ISM_E10value_typeET4_T5_PSR_SS_PNS1_23onesweep_lookback_stateEbbT6_jjT7_P12ihipStream_tbENKUlT_T0_SG_SL_E_clISA_SA_SB_SB_EEDaSZ_S10_SG_SL_EUlSZ_E_NS1_11comp_targetILNS1_3genE0ELNS1_11target_archE4294967295ELNS1_3gpuE0ELNS1_3repE0EEENS1_47radix_sort_onesweep_sort_config_static_selectorELNS0_4arch9wavefront6targetE0EEEvSG_,comdat
.Lfunc_end2889:
	.size	_ZN7rocprim17ROCPRIM_400000_NS6detail17trampoline_kernelINS0_14default_configENS1_35radix_sort_onesweep_config_selectorImNS0_10empty_typeEEEZZNS1_29radix_sort_onesweep_iterationIS3_Lb1EPKmPmPS5_SB_mNS0_19identity_decomposerENS1_16block_id_wrapperIjLb1EEEEE10hipError_tT1_PNSt15iterator_traitsISG_E10value_typeET2_T3_PNSH_ISM_E10value_typeET4_T5_PSR_SS_PNS1_23onesweep_lookback_stateEbbT6_jjT7_P12ihipStream_tbENKUlT_T0_SG_SL_E_clISA_SA_SB_SB_EEDaSZ_S10_SG_SL_EUlSZ_E_NS1_11comp_targetILNS1_3genE0ELNS1_11target_archE4294967295ELNS1_3gpuE0ELNS1_3repE0EEENS1_47radix_sort_onesweep_sort_config_static_selectorELNS0_4arch9wavefront6targetE0EEEvSG_, .Lfunc_end2889-_ZN7rocprim17ROCPRIM_400000_NS6detail17trampoline_kernelINS0_14default_configENS1_35radix_sort_onesweep_config_selectorImNS0_10empty_typeEEEZZNS1_29radix_sort_onesweep_iterationIS3_Lb1EPKmPmPS5_SB_mNS0_19identity_decomposerENS1_16block_id_wrapperIjLb1EEEEE10hipError_tT1_PNSt15iterator_traitsISG_E10value_typeET2_T3_PNSH_ISM_E10value_typeET4_T5_PSR_SS_PNS1_23onesweep_lookback_stateEbbT6_jjT7_P12ihipStream_tbENKUlT_T0_SG_SL_E_clISA_SA_SB_SB_EEDaSZ_S10_SG_SL_EUlSZ_E_NS1_11comp_targetILNS1_3genE0ELNS1_11target_archE4294967295ELNS1_3gpuE0ELNS1_3repE0EEENS1_47radix_sort_onesweep_sort_config_static_selectorELNS0_4arch9wavefront6targetE0EEEvSG_
                                        ; -- End function
	.set _ZN7rocprim17ROCPRIM_400000_NS6detail17trampoline_kernelINS0_14default_configENS1_35radix_sort_onesweep_config_selectorImNS0_10empty_typeEEEZZNS1_29radix_sort_onesweep_iterationIS3_Lb1EPKmPmPS5_SB_mNS0_19identity_decomposerENS1_16block_id_wrapperIjLb1EEEEE10hipError_tT1_PNSt15iterator_traitsISG_E10value_typeET2_T3_PNSH_ISM_E10value_typeET4_T5_PSR_SS_PNS1_23onesweep_lookback_stateEbbT6_jjT7_P12ihipStream_tbENKUlT_T0_SG_SL_E_clISA_SA_SB_SB_EEDaSZ_S10_SG_SL_EUlSZ_E_NS1_11comp_targetILNS1_3genE0ELNS1_11target_archE4294967295ELNS1_3gpuE0ELNS1_3repE0EEENS1_47radix_sort_onesweep_sort_config_static_selectorELNS0_4arch9wavefront6targetE0EEEvSG_.num_vgpr, 57
	.set _ZN7rocprim17ROCPRIM_400000_NS6detail17trampoline_kernelINS0_14default_configENS1_35radix_sort_onesweep_config_selectorImNS0_10empty_typeEEEZZNS1_29radix_sort_onesweep_iterationIS3_Lb1EPKmPmPS5_SB_mNS0_19identity_decomposerENS1_16block_id_wrapperIjLb1EEEEE10hipError_tT1_PNSt15iterator_traitsISG_E10value_typeET2_T3_PNSH_ISM_E10value_typeET4_T5_PSR_SS_PNS1_23onesweep_lookback_stateEbbT6_jjT7_P12ihipStream_tbENKUlT_T0_SG_SL_E_clISA_SA_SB_SB_EEDaSZ_S10_SG_SL_EUlSZ_E_NS1_11comp_targetILNS1_3genE0ELNS1_11target_archE4294967295ELNS1_3gpuE0ELNS1_3repE0EEENS1_47radix_sort_onesweep_sort_config_static_selectorELNS0_4arch9wavefront6targetE0EEEvSG_.num_agpr, 0
	.set _ZN7rocprim17ROCPRIM_400000_NS6detail17trampoline_kernelINS0_14default_configENS1_35radix_sort_onesweep_config_selectorImNS0_10empty_typeEEEZZNS1_29radix_sort_onesweep_iterationIS3_Lb1EPKmPmPS5_SB_mNS0_19identity_decomposerENS1_16block_id_wrapperIjLb1EEEEE10hipError_tT1_PNSt15iterator_traitsISG_E10value_typeET2_T3_PNSH_ISM_E10value_typeET4_T5_PSR_SS_PNS1_23onesweep_lookback_stateEbbT6_jjT7_P12ihipStream_tbENKUlT_T0_SG_SL_E_clISA_SA_SB_SB_EEDaSZ_S10_SG_SL_EUlSZ_E_NS1_11comp_targetILNS1_3genE0ELNS1_11target_archE4294967295ELNS1_3gpuE0ELNS1_3repE0EEENS1_47radix_sort_onesweep_sort_config_static_selectorELNS0_4arch9wavefront6targetE0EEEvSG_.numbered_sgpr, 28
	.set _ZN7rocprim17ROCPRIM_400000_NS6detail17trampoline_kernelINS0_14default_configENS1_35radix_sort_onesweep_config_selectorImNS0_10empty_typeEEEZZNS1_29radix_sort_onesweep_iterationIS3_Lb1EPKmPmPS5_SB_mNS0_19identity_decomposerENS1_16block_id_wrapperIjLb1EEEEE10hipError_tT1_PNSt15iterator_traitsISG_E10value_typeET2_T3_PNSH_ISM_E10value_typeET4_T5_PSR_SS_PNS1_23onesweep_lookback_stateEbbT6_jjT7_P12ihipStream_tbENKUlT_T0_SG_SL_E_clISA_SA_SB_SB_EEDaSZ_S10_SG_SL_EUlSZ_E_NS1_11comp_targetILNS1_3genE0ELNS1_11target_archE4294967295ELNS1_3gpuE0ELNS1_3repE0EEENS1_47radix_sort_onesweep_sort_config_static_selectorELNS0_4arch9wavefront6targetE0EEEvSG_.num_named_barrier, 0
	.set _ZN7rocprim17ROCPRIM_400000_NS6detail17trampoline_kernelINS0_14default_configENS1_35radix_sort_onesweep_config_selectorImNS0_10empty_typeEEEZZNS1_29radix_sort_onesweep_iterationIS3_Lb1EPKmPmPS5_SB_mNS0_19identity_decomposerENS1_16block_id_wrapperIjLb1EEEEE10hipError_tT1_PNSt15iterator_traitsISG_E10value_typeET2_T3_PNSH_ISM_E10value_typeET4_T5_PSR_SS_PNS1_23onesweep_lookback_stateEbbT6_jjT7_P12ihipStream_tbENKUlT_T0_SG_SL_E_clISA_SA_SB_SB_EEDaSZ_S10_SG_SL_EUlSZ_E_NS1_11comp_targetILNS1_3genE0ELNS1_11target_archE4294967295ELNS1_3gpuE0ELNS1_3repE0EEENS1_47radix_sort_onesweep_sort_config_static_selectorELNS0_4arch9wavefront6targetE0EEEvSG_.private_seg_size, 0
	.set _ZN7rocprim17ROCPRIM_400000_NS6detail17trampoline_kernelINS0_14default_configENS1_35radix_sort_onesweep_config_selectorImNS0_10empty_typeEEEZZNS1_29radix_sort_onesweep_iterationIS3_Lb1EPKmPmPS5_SB_mNS0_19identity_decomposerENS1_16block_id_wrapperIjLb1EEEEE10hipError_tT1_PNSt15iterator_traitsISG_E10value_typeET2_T3_PNSH_ISM_E10value_typeET4_T5_PSR_SS_PNS1_23onesweep_lookback_stateEbbT6_jjT7_P12ihipStream_tbENKUlT_T0_SG_SL_E_clISA_SA_SB_SB_EEDaSZ_S10_SG_SL_EUlSZ_E_NS1_11comp_targetILNS1_3genE0ELNS1_11target_archE4294967295ELNS1_3gpuE0ELNS1_3repE0EEENS1_47radix_sort_onesweep_sort_config_static_selectorELNS0_4arch9wavefront6targetE0EEEvSG_.uses_vcc, 1
	.set _ZN7rocprim17ROCPRIM_400000_NS6detail17trampoline_kernelINS0_14default_configENS1_35radix_sort_onesweep_config_selectorImNS0_10empty_typeEEEZZNS1_29radix_sort_onesweep_iterationIS3_Lb1EPKmPmPS5_SB_mNS0_19identity_decomposerENS1_16block_id_wrapperIjLb1EEEEE10hipError_tT1_PNSt15iterator_traitsISG_E10value_typeET2_T3_PNSH_ISM_E10value_typeET4_T5_PSR_SS_PNS1_23onesweep_lookback_stateEbbT6_jjT7_P12ihipStream_tbENKUlT_T0_SG_SL_E_clISA_SA_SB_SB_EEDaSZ_S10_SG_SL_EUlSZ_E_NS1_11comp_targetILNS1_3genE0ELNS1_11target_archE4294967295ELNS1_3gpuE0ELNS1_3repE0EEENS1_47radix_sort_onesweep_sort_config_static_selectorELNS0_4arch9wavefront6targetE0EEEvSG_.uses_flat_scratch, 0
	.set _ZN7rocprim17ROCPRIM_400000_NS6detail17trampoline_kernelINS0_14default_configENS1_35radix_sort_onesweep_config_selectorImNS0_10empty_typeEEEZZNS1_29radix_sort_onesweep_iterationIS3_Lb1EPKmPmPS5_SB_mNS0_19identity_decomposerENS1_16block_id_wrapperIjLb1EEEEE10hipError_tT1_PNSt15iterator_traitsISG_E10value_typeET2_T3_PNSH_ISM_E10value_typeET4_T5_PSR_SS_PNS1_23onesweep_lookback_stateEbbT6_jjT7_P12ihipStream_tbENKUlT_T0_SG_SL_E_clISA_SA_SB_SB_EEDaSZ_S10_SG_SL_EUlSZ_E_NS1_11comp_targetILNS1_3genE0ELNS1_11target_archE4294967295ELNS1_3gpuE0ELNS1_3repE0EEENS1_47radix_sort_onesweep_sort_config_static_selectorELNS0_4arch9wavefront6targetE0EEEvSG_.has_dyn_sized_stack, 0
	.set _ZN7rocprim17ROCPRIM_400000_NS6detail17trampoline_kernelINS0_14default_configENS1_35radix_sort_onesweep_config_selectorImNS0_10empty_typeEEEZZNS1_29radix_sort_onesweep_iterationIS3_Lb1EPKmPmPS5_SB_mNS0_19identity_decomposerENS1_16block_id_wrapperIjLb1EEEEE10hipError_tT1_PNSt15iterator_traitsISG_E10value_typeET2_T3_PNSH_ISM_E10value_typeET4_T5_PSR_SS_PNS1_23onesweep_lookback_stateEbbT6_jjT7_P12ihipStream_tbENKUlT_T0_SG_SL_E_clISA_SA_SB_SB_EEDaSZ_S10_SG_SL_EUlSZ_E_NS1_11comp_targetILNS1_3genE0ELNS1_11target_archE4294967295ELNS1_3gpuE0ELNS1_3repE0EEENS1_47radix_sort_onesweep_sort_config_static_selectorELNS0_4arch9wavefront6targetE0EEEvSG_.has_recursion, 0
	.set _ZN7rocprim17ROCPRIM_400000_NS6detail17trampoline_kernelINS0_14default_configENS1_35radix_sort_onesweep_config_selectorImNS0_10empty_typeEEEZZNS1_29radix_sort_onesweep_iterationIS3_Lb1EPKmPmPS5_SB_mNS0_19identity_decomposerENS1_16block_id_wrapperIjLb1EEEEE10hipError_tT1_PNSt15iterator_traitsISG_E10value_typeET2_T3_PNSH_ISM_E10value_typeET4_T5_PSR_SS_PNS1_23onesweep_lookback_stateEbbT6_jjT7_P12ihipStream_tbENKUlT_T0_SG_SL_E_clISA_SA_SB_SB_EEDaSZ_S10_SG_SL_EUlSZ_E_NS1_11comp_targetILNS1_3genE0ELNS1_11target_archE4294967295ELNS1_3gpuE0ELNS1_3repE0EEENS1_47radix_sort_onesweep_sort_config_static_selectorELNS0_4arch9wavefront6targetE0EEEvSG_.has_indirect_call, 0
	.section	.AMDGPU.csdata,"",@progbits
; Kernel info:
; codeLenInByte = 11328
; TotalNumSgprs: 30
; NumVgprs: 57
; ScratchSize: 0
; MemoryBound: 1
; FloatMode: 240
; IeeeMode: 1
; LDSByteSize: 18504 bytes/workgroup (compile time only)
; SGPRBlocks: 0
; VGPRBlocks: 3
; NumSGPRsForWavesPerEU: 30
; NumVGPRsForWavesPerEU: 57
; NamedBarCnt: 0
; Occupancy: 16
; WaveLimiterHint : 1
; COMPUTE_PGM_RSRC2:SCRATCH_EN: 0
; COMPUTE_PGM_RSRC2:USER_SGPR: 2
; COMPUTE_PGM_RSRC2:TRAP_HANDLER: 0
; COMPUTE_PGM_RSRC2:TGID_X_EN: 1
; COMPUTE_PGM_RSRC2:TGID_Y_EN: 0
; COMPUTE_PGM_RSRC2:TGID_Z_EN: 0
; COMPUTE_PGM_RSRC2:TIDIG_COMP_CNT: 2
	.section	.text._ZN7rocprim17ROCPRIM_400000_NS6detail17trampoline_kernelINS0_14default_configENS1_35radix_sort_onesweep_config_selectorImNS0_10empty_typeEEEZZNS1_29radix_sort_onesweep_iterationIS3_Lb1EPKmPmPS5_SB_mNS0_19identity_decomposerENS1_16block_id_wrapperIjLb1EEEEE10hipError_tT1_PNSt15iterator_traitsISG_E10value_typeET2_T3_PNSH_ISM_E10value_typeET4_T5_PSR_SS_PNS1_23onesweep_lookback_stateEbbT6_jjT7_P12ihipStream_tbENKUlT_T0_SG_SL_E_clISA_SA_SB_SB_EEDaSZ_S10_SG_SL_EUlSZ_E_NS1_11comp_targetILNS1_3genE6ELNS1_11target_archE950ELNS1_3gpuE13ELNS1_3repE0EEENS1_47radix_sort_onesweep_sort_config_static_selectorELNS0_4arch9wavefront6targetE0EEEvSG_,"axG",@progbits,_ZN7rocprim17ROCPRIM_400000_NS6detail17trampoline_kernelINS0_14default_configENS1_35radix_sort_onesweep_config_selectorImNS0_10empty_typeEEEZZNS1_29radix_sort_onesweep_iterationIS3_Lb1EPKmPmPS5_SB_mNS0_19identity_decomposerENS1_16block_id_wrapperIjLb1EEEEE10hipError_tT1_PNSt15iterator_traitsISG_E10value_typeET2_T3_PNSH_ISM_E10value_typeET4_T5_PSR_SS_PNS1_23onesweep_lookback_stateEbbT6_jjT7_P12ihipStream_tbENKUlT_T0_SG_SL_E_clISA_SA_SB_SB_EEDaSZ_S10_SG_SL_EUlSZ_E_NS1_11comp_targetILNS1_3genE6ELNS1_11target_archE950ELNS1_3gpuE13ELNS1_3repE0EEENS1_47radix_sort_onesweep_sort_config_static_selectorELNS0_4arch9wavefront6targetE0EEEvSG_,comdat
	.protected	_ZN7rocprim17ROCPRIM_400000_NS6detail17trampoline_kernelINS0_14default_configENS1_35radix_sort_onesweep_config_selectorImNS0_10empty_typeEEEZZNS1_29radix_sort_onesweep_iterationIS3_Lb1EPKmPmPS5_SB_mNS0_19identity_decomposerENS1_16block_id_wrapperIjLb1EEEEE10hipError_tT1_PNSt15iterator_traitsISG_E10value_typeET2_T3_PNSH_ISM_E10value_typeET4_T5_PSR_SS_PNS1_23onesweep_lookback_stateEbbT6_jjT7_P12ihipStream_tbENKUlT_T0_SG_SL_E_clISA_SA_SB_SB_EEDaSZ_S10_SG_SL_EUlSZ_E_NS1_11comp_targetILNS1_3genE6ELNS1_11target_archE950ELNS1_3gpuE13ELNS1_3repE0EEENS1_47radix_sort_onesweep_sort_config_static_selectorELNS0_4arch9wavefront6targetE0EEEvSG_ ; -- Begin function _ZN7rocprim17ROCPRIM_400000_NS6detail17trampoline_kernelINS0_14default_configENS1_35radix_sort_onesweep_config_selectorImNS0_10empty_typeEEEZZNS1_29radix_sort_onesweep_iterationIS3_Lb1EPKmPmPS5_SB_mNS0_19identity_decomposerENS1_16block_id_wrapperIjLb1EEEEE10hipError_tT1_PNSt15iterator_traitsISG_E10value_typeET2_T3_PNSH_ISM_E10value_typeET4_T5_PSR_SS_PNS1_23onesweep_lookback_stateEbbT6_jjT7_P12ihipStream_tbENKUlT_T0_SG_SL_E_clISA_SA_SB_SB_EEDaSZ_S10_SG_SL_EUlSZ_E_NS1_11comp_targetILNS1_3genE6ELNS1_11target_archE950ELNS1_3gpuE13ELNS1_3repE0EEENS1_47radix_sort_onesweep_sort_config_static_selectorELNS0_4arch9wavefront6targetE0EEEvSG_
	.globl	_ZN7rocprim17ROCPRIM_400000_NS6detail17trampoline_kernelINS0_14default_configENS1_35radix_sort_onesweep_config_selectorImNS0_10empty_typeEEEZZNS1_29radix_sort_onesweep_iterationIS3_Lb1EPKmPmPS5_SB_mNS0_19identity_decomposerENS1_16block_id_wrapperIjLb1EEEEE10hipError_tT1_PNSt15iterator_traitsISG_E10value_typeET2_T3_PNSH_ISM_E10value_typeET4_T5_PSR_SS_PNS1_23onesweep_lookback_stateEbbT6_jjT7_P12ihipStream_tbENKUlT_T0_SG_SL_E_clISA_SA_SB_SB_EEDaSZ_S10_SG_SL_EUlSZ_E_NS1_11comp_targetILNS1_3genE6ELNS1_11target_archE950ELNS1_3gpuE13ELNS1_3repE0EEENS1_47radix_sort_onesweep_sort_config_static_selectorELNS0_4arch9wavefront6targetE0EEEvSG_
	.p2align	8
	.type	_ZN7rocprim17ROCPRIM_400000_NS6detail17trampoline_kernelINS0_14default_configENS1_35radix_sort_onesweep_config_selectorImNS0_10empty_typeEEEZZNS1_29radix_sort_onesweep_iterationIS3_Lb1EPKmPmPS5_SB_mNS0_19identity_decomposerENS1_16block_id_wrapperIjLb1EEEEE10hipError_tT1_PNSt15iterator_traitsISG_E10value_typeET2_T3_PNSH_ISM_E10value_typeET4_T5_PSR_SS_PNS1_23onesweep_lookback_stateEbbT6_jjT7_P12ihipStream_tbENKUlT_T0_SG_SL_E_clISA_SA_SB_SB_EEDaSZ_S10_SG_SL_EUlSZ_E_NS1_11comp_targetILNS1_3genE6ELNS1_11target_archE950ELNS1_3gpuE13ELNS1_3repE0EEENS1_47radix_sort_onesweep_sort_config_static_selectorELNS0_4arch9wavefront6targetE0EEEvSG_,@function
_ZN7rocprim17ROCPRIM_400000_NS6detail17trampoline_kernelINS0_14default_configENS1_35radix_sort_onesweep_config_selectorImNS0_10empty_typeEEEZZNS1_29radix_sort_onesweep_iterationIS3_Lb1EPKmPmPS5_SB_mNS0_19identity_decomposerENS1_16block_id_wrapperIjLb1EEEEE10hipError_tT1_PNSt15iterator_traitsISG_E10value_typeET2_T3_PNSH_ISM_E10value_typeET4_T5_PSR_SS_PNS1_23onesweep_lookback_stateEbbT6_jjT7_P12ihipStream_tbENKUlT_T0_SG_SL_E_clISA_SA_SB_SB_EEDaSZ_S10_SG_SL_EUlSZ_E_NS1_11comp_targetILNS1_3genE6ELNS1_11target_archE950ELNS1_3gpuE13ELNS1_3repE0EEENS1_47radix_sort_onesweep_sort_config_static_selectorELNS0_4arch9wavefront6targetE0EEEvSG_: ; @_ZN7rocprim17ROCPRIM_400000_NS6detail17trampoline_kernelINS0_14default_configENS1_35radix_sort_onesweep_config_selectorImNS0_10empty_typeEEEZZNS1_29radix_sort_onesweep_iterationIS3_Lb1EPKmPmPS5_SB_mNS0_19identity_decomposerENS1_16block_id_wrapperIjLb1EEEEE10hipError_tT1_PNSt15iterator_traitsISG_E10value_typeET2_T3_PNSH_ISM_E10value_typeET4_T5_PSR_SS_PNS1_23onesweep_lookback_stateEbbT6_jjT7_P12ihipStream_tbENKUlT_T0_SG_SL_E_clISA_SA_SB_SB_EEDaSZ_S10_SG_SL_EUlSZ_E_NS1_11comp_targetILNS1_3genE6ELNS1_11target_archE950ELNS1_3gpuE13ELNS1_3repE0EEENS1_47radix_sort_onesweep_sort_config_static_selectorELNS0_4arch9wavefront6targetE0EEEvSG_
; %bb.0:
	.section	.rodata,"a",@progbits
	.p2align	6, 0x0
	.amdhsa_kernel _ZN7rocprim17ROCPRIM_400000_NS6detail17trampoline_kernelINS0_14default_configENS1_35radix_sort_onesweep_config_selectorImNS0_10empty_typeEEEZZNS1_29radix_sort_onesweep_iterationIS3_Lb1EPKmPmPS5_SB_mNS0_19identity_decomposerENS1_16block_id_wrapperIjLb1EEEEE10hipError_tT1_PNSt15iterator_traitsISG_E10value_typeET2_T3_PNSH_ISM_E10value_typeET4_T5_PSR_SS_PNS1_23onesweep_lookback_stateEbbT6_jjT7_P12ihipStream_tbENKUlT_T0_SG_SL_E_clISA_SA_SB_SB_EEDaSZ_S10_SG_SL_EUlSZ_E_NS1_11comp_targetILNS1_3genE6ELNS1_11target_archE950ELNS1_3gpuE13ELNS1_3repE0EEENS1_47radix_sort_onesweep_sort_config_static_selectorELNS0_4arch9wavefront6targetE0EEEvSG_
		.amdhsa_group_segment_fixed_size 0
		.amdhsa_private_segment_fixed_size 0
		.amdhsa_kernarg_size 88
		.amdhsa_user_sgpr_count 2
		.amdhsa_user_sgpr_dispatch_ptr 0
		.amdhsa_user_sgpr_queue_ptr 0
		.amdhsa_user_sgpr_kernarg_segment_ptr 1
		.amdhsa_user_sgpr_dispatch_id 0
		.amdhsa_user_sgpr_kernarg_preload_length 0
		.amdhsa_user_sgpr_kernarg_preload_offset 0
		.amdhsa_user_sgpr_private_segment_size 0
		.amdhsa_wavefront_size32 1
		.amdhsa_uses_dynamic_stack 0
		.amdhsa_enable_private_segment 0
		.amdhsa_system_sgpr_workgroup_id_x 1
		.amdhsa_system_sgpr_workgroup_id_y 0
		.amdhsa_system_sgpr_workgroup_id_z 0
		.amdhsa_system_sgpr_workgroup_info 0
		.amdhsa_system_vgpr_workitem_id 0
		.amdhsa_next_free_vgpr 1
		.amdhsa_next_free_sgpr 1
		.amdhsa_named_barrier_count 0
		.amdhsa_reserve_vcc 0
		.amdhsa_float_round_mode_32 0
		.amdhsa_float_round_mode_16_64 0
		.amdhsa_float_denorm_mode_32 3
		.amdhsa_float_denorm_mode_16_64 3
		.amdhsa_fp16_overflow 0
		.amdhsa_memory_ordered 1
		.amdhsa_forward_progress 1
		.amdhsa_inst_pref_size 0
		.amdhsa_round_robin_scheduling 0
		.amdhsa_exception_fp_ieee_invalid_op 0
		.amdhsa_exception_fp_denorm_src 0
		.amdhsa_exception_fp_ieee_div_zero 0
		.amdhsa_exception_fp_ieee_overflow 0
		.amdhsa_exception_fp_ieee_underflow 0
		.amdhsa_exception_fp_ieee_inexact 0
		.amdhsa_exception_int_div_zero 0
	.end_amdhsa_kernel
	.section	.text._ZN7rocprim17ROCPRIM_400000_NS6detail17trampoline_kernelINS0_14default_configENS1_35radix_sort_onesweep_config_selectorImNS0_10empty_typeEEEZZNS1_29radix_sort_onesweep_iterationIS3_Lb1EPKmPmPS5_SB_mNS0_19identity_decomposerENS1_16block_id_wrapperIjLb1EEEEE10hipError_tT1_PNSt15iterator_traitsISG_E10value_typeET2_T3_PNSH_ISM_E10value_typeET4_T5_PSR_SS_PNS1_23onesweep_lookback_stateEbbT6_jjT7_P12ihipStream_tbENKUlT_T0_SG_SL_E_clISA_SA_SB_SB_EEDaSZ_S10_SG_SL_EUlSZ_E_NS1_11comp_targetILNS1_3genE6ELNS1_11target_archE950ELNS1_3gpuE13ELNS1_3repE0EEENS1_47radix_sort_onesweep_sort_config_static_selectorELNS0_4arch9wavefront6targetE0EEEvSG_,"axG",@progbits,_ZN7rocprim17ROCPRIM_400000_NS6detail17trampoline_kernelINS0_14default_configENS1_35radix_sort_onesweep_config_selectorImNS0_10empty_typeEEEZZNS1_29radix_sort_onesweep_iterationIS3_Lb1EPKmPmPS5_SB_mNS0_19identity_decomposerENS1_16block_id_wrapperIjLb1EEEEE10hipError_tT1_PNSt15iterator_traitsISG_E10value_typeET2_T3_PNSH_ISM_E10value_typeET4_T5_PSR_SS_PNS1_23onesweep_lookback_stateEbbT6_jjT7_P12ihipStream_tbENKUlT_T0_SG_SL_E_clISA_SA_SB_SB_EEDaSZ_S10_SG_SL_EUlSZ_E_NS1_11comp_targetILNS1_3genE6ELNS1_11target_archE950ELNS1_3gpuE13ELNS1_3repE0EEENS1_47radix_sort_onesweep_sort_config_static_selectorELNS0_4arch9wavefront6targetE0EEEvSG_,comdat
.Lfunc_end2890:
	.size	_ZN7rocprim17ROCPRIM_400000_NS6detail17trampoline_kernelINS0_14default_configENS1_35radix_sort_onesweep_config_selectorImNS0_10empty_typeEEEZZNS1_29radix_sort_onesweep_iterationIS3_Lb1EPKmPmPS5_SB_mNS0_19identity_decomposerENS1_16block_id_wrapperIjLb1EEEEE10hipError_tT1_PNSt15iterator_traitsISG_E10value_typeET2_T3_PNSH_ISM_E10value_typeET4_T5_PSR_SS_PNS1_23onesweep_lookback_stateEbbT6_jjT7_P12ihipStream_tbENKUlT_T0_SG_SL_E_clISA_SA_SB_SB_EEDaSZ_S10_SG_SL_EUlSZ_E_NS1_11comp_targetILNS1_3genE6ELNS1_11target_archE950ELNS1_3gpuE13ELNS1_3repE0EEENS1_47radix_sort_onesweep_sort_config_static_selectorELNS0_4arch9wavefront6targetE0EEEvSG_, .Lfunc_end2890-_ZN7rocprim17ROCPRIM_400000_NS6detail17trampoline_kernelINS0_14default_configENS1_35radix_sort_onesweep_config_selectorImNS0_10empty_typeEEEZZNS1_29radix_sort_onesweep_iterationIS3_Lb1EPKmPmPS5_SB_mNS0_19identity_decomposerENS1_16block_id_wrapperIjLb1EEEEE10hipError_tT1_PNSt15iterator_traitsISG_E10value_typeET2_T3_PNSH_ISM_E10value_typeET4_T5_PSR_SS_PNS1_23onesweep_lookback_stateEbbT6_jjT7_P12ihipStream_tbENKUlT_T0_SG_SL_E_clISA_SA_SB_SB_EEDaSZ_S10_SG_SL_EUlSZ_E_NS1_11comp_targetILNS1_3genE6ELNS1_11target_archE950ELNS1_3gpuE13ELNS1_3repE0EEENS1_47radix_sort_onesweep_sort_config_static_selectorELNS0_4arch9wavefront6targetE0EEEvSG_
                                        ; -- End function
	.set _ZN7rocprim17ROCPRIM_400000_NS6detail17trampoline_kernelINS0_14default_configENS1_35radix_sort_onesweep_config_selectorImNS0_10empty_typeEEEZZNS1_29radix_sort_onesweep_iterationIS3_Lb1EPKmPmPS5_SB_mNS0_19identity_decomposerENS1_16block_id_wrapperIjLb1EEEEE10hipError_tT1_PNSt15iterator_traitsISG_E10value_typeET2_T3_PNSH_ISM_E10value_typeET4_T5_PSR_SS_PNS1_23onesweep_lookback_stateEbbT6_jjT7_P12ihipStream_tbENKUlT_T0_SG_SL_E_clISA_SA_SB_SB_EEDaSZ_S10_SG_SL_EUlSZ_E_NS1_11comp_targetILNS1_3genE6ELNS1_11target_archE950ELNS1_3gpuE13ELNS1_3repE0EEENS1_47radix_sort_onesweep_sort_config_static_selectorELNS0_4arch9wavefront6targetE0EEEvSG_.num_vgpr, 0
	.set _ZN7rocprim17ROCPRIM_400000_NS6detail17trampoline_kernelINS0_14default_configENS1_35radix_sort_onesweep_config_selectorImNS0_10empty_typeEEEZZNS1_29radix_sort_onesweep_iterationIS3_Lb1EPKmPmPS5_SB_mNS0_19identity_decomposerENS1_16block_id_wrapperIjLb1EEEEE10hipError_tT1_PNSt15iterator_traitsISG_E10value_typeET2_T3_PNSH_ISM_E10value_typeET4_T5_PSR_SS_PNS1_23onesweep_lookback_stateEbbT6_jjT7_P12ihipStream_tbENKUlT_T0_SG_SL_E_clISA_SA_SB_SB_EEDaSZ_S10_SG_SL_EUlSZ_E_NS1_11comp_targetILNS1_3genE6ELNS1_11target_archE950ELNS1_3gpuE13ELNS1_3repE0EEENS1_47radix_sort_onesweep_sort_config_static_selectorELNS0_4arch9wavefront6targetE0EEEvSG_.num_agpr, 0
	.set _ZN7rocprim17ROCPRIM_400000_NS6detail17trampoline_kernelINS0_14default_configENS1_35radix_sort_onesweep_config_selectorImNS0_10empty_typeEEEZZNS1_29radix_sort_onesweep_iterationIS3_Lb1EPKmPmPS5_SB_mNS0_19identity_decomposerENS1_16block_id_wrapperIjLb1EEEEE10hipError_tT1_PNSt15iterator_traitsISG_E10value_typeET2_T3_PNSH_ISM_E10value_typeET4_T5_PSR_SS_PNS1_23onesweep_lookback_stateEbbT6_jjT7_P12ihipStream_tbENKUlT_T0_SG_SL_E_clISA_SA_SB_SB_EEDaSZ_S10_SG_SL_EUlSZ_E_NS1_11comp_targetILNS1_3genE6ELNS1_11target_archE950ELNS1_3gpuE13ELNS1_3repE0EEENS1_47radix_sort_onesweep_sort_config_static_selectorELNS0_4arch9wavefront6targetE0EEEvSG_.numbered_sgpr, 0
	.set _ZN7rocprim17ROCPRIM_400000_NS6detail17trampoline_kernelINS0_14default_configENS1_35radix_sort_onesweep_config_selectorImNS0_10empty_typeEEEZZNS1_29radix_sort_onesweep_iterationIS3_Lb1EPKmPmPS5_SB_mNS0_19identity_decomposerENS1_16block_id_wrapperIjLb1EEEEE10hipError_tT1_PNSt15iterator_traitsISG_E10value_typeET2_T3_PNSH_ISM_E10value_typeET4_T5_PSR_SS_PNS1_23onesweep_lookback_stateEbbT6_jjT7_P12ihipStream_tbENKUlT_T0_SG_SL_E_clISA_SA_SB_SB_EEDaSZ_S10_SG_SL_EUlSZ_E_NS1_11comp_targetILNS1_3genE6ELNS1_11target_archE950ELNS1_3gpuE13ELNS1_3repE0EEENS1_47radix_sort_onesweep_sort_config_static_selectorELNS0_4arch9wavefront6targetE0EEEvSG_.num_named_barrier, 0
	.set _ZN7rocprim17ROCPRIM_400000_NS6detail17trampoline_kernelINS0_14default_configENS1_35radix_sort_onesweep_config_selectorImNS0_10empty_typeEEEZZNS1_29radix_sort_onesweep_iterationIS3_Lb1EPKmPmPS5_SB_mNS0_19identity_decomposerENS1_16block_id_wrapperIjLb1EEEEE10hipError_tT1_PNSt15iterator_traitsISG_E10value_typeET2_T3_PNSH_ISM_E10value_typeET4_T5_PSR_SS_PNS1_23onesweep_lookback_stateEbbT6_jjT7_P12ihipStream_tbENKUlT_T0_SG_SL_E_clISA_SA_SB_SB_EEDaSZ_S10_SG_SL_EUlSZ_E_NS1_11comp_targetILNS1_3genE6ELNS1_11target_archE950ELNS1_3gpuE13ELNS1_3repE0EEENS1_47radix_sort_onesweep_sort_config_static_selectorELNS0_4arch9wavefront6targetE0EEEvSG_.private_seg_size, 0
	.set _ZN7rocprim17ROCPRIM_400000_NS6detail17trampoline_kernelINS0_14default_configENS1_35radix_sort_onesweep_config_selectorImNS0_10empty_typeEEEZZNS1_29radix_sort_onesweep_iterationIS3_Lb1EPKmPmPS5_SB_mNS0_19identity_decomposerENS1_16block_id_wrapperIjLb1EEEEE10hipError_tT1_PNSt15iterator_traitsISG_E10value_typeET2_T3_PNSH_ISM_E10value_typeET4_T5_PSR_SS_PNS1_23onesweep_lookback_stateEbbT6_jjT7_P12ihipStream_tbENKUlT_T0_SG_SL_E_clISA_SA_SB_SB_EEDaSZ_S10_SG_SL_EUlSZ_E_NS1_11comp_targetILNS1_3genE6ELNS1_11target_archE950ELNS1_3gpuE13ELNS1_3repE0EEENS1_47radix_sort_onesweep_sort_config_static_selectorELNS0_4arch9wavefront6targetE0EEEvSG_.uses_vcc, 0
	.set _ZN7rocprim17ROCPRIM_400000_NS6detail17trampoline_kernelINS0_14default_configENS1_35radix_sort_onesweep_config_selectorImNS0_10empty_typeEEEZZNS1_29radix_sort_onesweep_iterationIS3_Lb1EPKmPmPS5_SB_mNS0_19identity_decomposerENS1_16block_id_wrapperIjLb1EEEEE10hipError_tT1_PNSt15iterator_traitsISG_E10value_typeET2_T3_PNSH_ISM_E10value_typeET4_T5_PSR_SS_PNS1_23onesweep_lookback_stateEbbT6_jjT7_P12ihipStream_tbENKUlT_T0_SG_SL_E_clISA_SA_SB_SB_EEDaSZ_S10_SG_SL_EUlSZ_E_NS1_11comp_targetILNS1_3genE6ELNS1_11target_archE950ELNS1_3gpuE13ELNS1_3repE0EEENS1_47radix_sort_onesweep_sort_config_static_selectorELNS0_4arch9wavefront6targetE0EEEvSG_.uses_flat_scratch, 0
	.set _ZN7rocprim17ROCPRIM_400000_NS6detail17trampoline_kernelINS0_14default_configENS1_35radix_sort_onesweep_config_selectorImNS0_10empty_typeEEEZZNS1_29radix_sort_onesweep_iterationIS3_Lb1EPKmPmPS5_SB_mNS0_19identity_decomposerENS1_16block_id_wrapperIjLb1EEEEE10hipError_tT1_PNSt15iterator_traitsISG_E10value_typeET2_T3_PNSH_ISM_E10value_typeET4_T5_PSR_SS_PNS1_23onesweep_lookback_stateEbbT6_jjT7_P12ihipStream_tbENKUlT_T0_SG_SL_E_clISA_SA_SB_SB_EEDaSZ_S10_SG_SL_EUlSZ_E_NS1_11comp_targetILNS1_3genE6ELNS1_11target_archE950ELNS1_3gpuE13ELNS1_3repE0EEENS1_47radix_sort_onesweep_sort_config_static_selectorELNS0_4arch9wavefront6targetE0EEEvSG_.has_dyn_sized_stack, 0
	.set _ZN7rocprim17ROCPRIM_400000_NS6detail17trampoline_kernelINS0_14default_configENS1_35radix_sort_onesweep_config_selectorImNS0_10empty_typeEEEZZNS1_29radix_sort_onesweep_iterationIS3_Lb1EPKmPmPS5_SB_mNS0_19identity_decomposerENS1_16block_id_wrapperIjLb1EEEEE10hipError_tT1_PNSt15iterator_traitsISG_E10value_typeET2_T3_PNSH_ISM_E10value_typeET4_T5_PSR_SS_PNS1_23onesweep_lookback_stateEbbT6_jjT7_P12ihipStream_tbENKUlT_T0_SG_SL_E_clISA_SA_SB_SB_EEDaSZ_S10_SG_SL_EUlSZ_E_NS1_11comp_targetILNS1_3genE6ELNS1_11target_archE950ELNS1_3gpuE13ELNS1_3repE0EEENS1_47radix_sort_onesweep_sort_config_static_selectorELNS0_4arch9wavefront6targetE0EEEvSG_.has_recursion, 0
	.set _ZN7rocprim17ROCPRIM_400000_NS6detail17trampoline_kernelINS0_14default_configENS1_35radix_sort_onesweep_config_selectorImNS0_10empty_typeEEEZZNS1_29radix_sort_onesweep_iterationIS3_Lb1EPKmPmPS5_SB_mNS0_19identity_decomposerENS1_16block_id_wrapperIjLb1EEEEE10hipError_tT1_PNSt15iterator_traitsISG_E10value_typeET2_T3_PNSH_ISM_E10value_typeET4_T5_PSR_SS_PNS1_23onesweep_lookback_stateEbbT6_jjT7_P12ihipStream_tbENKUlT_T0_SG_SL_E_clISA_SA_SB_SB_EEDaSZ_S10_SG_SL_EUlSZ_E_NS1_11comp_targetILNS1_3genE6ELNS1_11target_archE950ELNS1_3gpuE13ELNS1_3repE0EEENS1_47radix_sort_onesweep_sort_config_static_selectorELNS0_4arch9wavefront6targetE0EEEvSG_.has_indirect_call, 0
	.section	.AMDGPU.csdata,"",@progbits
; Kernel info:
; codeLenInByte = 0
; TotalNumSgprs: 0
; NumVgprs: 0
; ScratchSize: 0
; MemoryBound: 0
; FloatMode: 240
; IeeeMode: 1
; LDSByteSize: 0 bytes/workgroup (compile time only)
; SGPRBlocks: 0
; VGPRBlocks: 0
; NumSGPRsForWavesPerEU: 1
; NumVGPRsForWavesPerEU: 1
; NamedBarCnt: 0
; Occupancy: 16
; WaveLimiterHint : 0
; COMPUTE_PGM_RSRC2:SCRATCH_EN: 0
; COMPUTE_PGM_RSRC2:USER_SGPR: 2
; COMPUTE_PGM_RSRC2:TRAP_HANDLER: 0
; COMPUTE_PGM_RSRC2:TGID_X_EN: 1
; COMPUTE_PGM_RSRC2:TGID_Y_EN: 0
; COMPUTE_PGM_RSRC2:TGID_Z_EN: 0
; COMPUTE_PGM_RSRC2:TIDIG_COMP_CNT: 0
	.section	.text._ZN7rocprim17ROCPRIM_400000_NS6detail17trampoline_kernelINS0_14default_configENS1_35radix_sort_onesweep_config_selectorImNS0_10empty_typeEEEZZNS1_29radix_sort_onesweep_iterationIS3_Lb1EPKmPmPS5_SB_mNS0_19identity_decomposerENS1_16block_id_wrapperIjLb1EEEEE10hipError_tT1_PNSt15iterator_traitsISG_E10value_typeET2_T3_PNSH_ISM_E10value_typeET4_T5_PSR_SS_PNS1_23onesweep_lookback_stateEbbT6_jjT7_P12ihipStream_tbENKUlT_T0_SG_SL_E_clISA_SA_SB_SB_EEDaSZ_S10_SG_SL_EUlSZ_E_NS1_11comp_targetILNS1_3genE5ELNS1_11target_archE942ELNS1_3gpuE9ELNS1_3repE0EEENS1_47radix_sort_onesweep_sort_config_static_selectorELNS0_4arch9wavefront6targetE0EEEvSG_,"axG",@progbits,_ZN7rocprim17ROCPRIM_400000_NS6detail17trampoline_kernelINS0_14default_configENS1_35radix_sort_onesweep_config_selectorImNS0_10empty_typeEEEZZNS1_29radix_sort_onesweep_iterationIS3_Lb1EPKmPmPS5_SB_mNS0_19identity_decomposerENS1_16block_id_wrapperIjLb1EEEEE10hipError_tT1_PNSt15iterator_traitsISG_E10value_typeET2_T3_PNSH_ISM_E10value_typeET4_T5_PSR_SS_PNS1_23onesweep_lookback_stateEbbT6_jjT7_P12ihipStream_tbENKUlT_T0_SG_SL_E_clISA_SA_SB_SB_EEDaSZ_S10_SG_SL_EUlSZ_E_NS1_11comp_targetILNS1_3genE5ELNS1_11target_archE942ELNS1_3gpuE9ELNS1_3repE0EEENS1_47radix_sort_onesweep_sort_config_static_selectorELNS0_4arch9wavefront6targetE0EEEvSG_,comdat
	.protected	_ZN7rocprim17ROCPRIM_400000_NS6detail17trampoline_kernelINS0_14default_configENS1_35radix_sort_onesweep_config_selectorImNS0_10empty_typeEEEZZNS1_29radix_sort_onesweep_iterationIS3_Lb1EPKmPmPS5_SB_mNS0_19identity_decomposerENS1_16block_id_wrapperIjLb1EEEEE10hipError_tT1_PNSt15iterator_traitsISG_E10value_typeET2_T3_PNSH_ISM_E10value_typeET4_T5_PSR_SS_PNS1_23onesweep_lookback_stateEbbT6_jjT7_P12ihipStream_tbENKUlT_T0_SG_SL_E_clISA_SA_SB_SB_EEDaSZ_S10_SG_SL_EUlSZ_E_NS1_11comp_targetILNS1_3genE5ELNS1_11target_archE942ELNS1_3gpuE9ELNS1_3repE0EEENS1_47radix_sort_onesweep_sort_config_static_selectorELNS0_4arch9wavefront6targetE0EEEvSG_ ; -- Begin function _ZN7rocprim17ROCPRIM_400000_NS6detail17trampoline_kernelINS0_14default_configENS1_35radix_sort_onesweep_config_selectorImNS0_10empty_typeEEEZZNS1_29radix_sort_onesweep_iterationIS3_Lb1EPKmPmPS5_SB_mNS0_19identity_decomposerENS1_16block_id_wrapperIjLb1EEEEE10hipError_tT1_PNSt15iterator_traitsISG_E10value_typeET2_T3_PNSH_ISM_E10value_typeET4_T5_PSR_SS_PNS1_23onesweep_lookback_stateEbbT6_jjT7_P12ihipStream_tbENKUlT_T0_SG_SL_E_clISA_SA_SB_SB_EEDaSZ_S10_SG_SL_EUlSZ_E_NS1_11comp_targetILNS1_3genE5ELNS1_11target_archE942ELNS1_3gpuE9ELNS1_3repE0EEENS1_47radix_sort_onesweep_sort_config_static_selectorELNS0_4arch9wavefront6targetE0EEEvSG_
	.globl	_ZN7rocprim17ROCPRIM_400000_NS6detail17trampoline_kernelINS0_14default_configENS1_35radix_sort_onesweep_config_selectorImNS0_10empty_typeEEEZZNS1_29radix_sort_onesweep_iterationIS3_Lb1EPKmPmPS5_SB_mNS0_19identity_decomposerENS1_16block_id_wrapperIjLb1EEEEE10hipError_tT1_PNSt15iterator_traitsISG_E10value_typeET2_T3_PNSH_ISM_E10value_typeET4_T5_PSR_SS_PNS1_23onesweep_lookback_stateEbbT6_jjT7_P12ihipStream_tbENKUlT_T0_SG_SL_E_clISA_SA_SB_SB_EEDaSZ_S10_SG_SL_EUlSZ_E_NS1_11comp_targetILNS1_3genE5ELNS1_11target_archE942ELNS1_3gpuE9ELNS1_3repE0EEENS1_47radix_sort_onesweep_sort_config_static_selectorELNS0_4arch9wavefront6targetE0EEEvSG_
	.p2align	8
	.type	_ZN7rocprim17ROCPRIM_400000_NS6detail17trampoline_kernelINS0_14default_configENS1_35radix_sort_onesweep_config_selectorImNS0_10empty_typeEEEZZNS1_29radix_sort_onesweep_iterationIS3_Lb1EPKmPmPS5_SB_mNS0_19identity_decomposerENS1_16block_id_wrapperIjLb1EEEEE10hipError_tT1_PNSt15iterator_traitsISG_E10value_typeET2_T3_PNSH_ISM_E10value_typeET4_T5_PSR_SS_PNS1_23onesweep_lookback_stateEbbT6_jjT7_P12ihipStream_tbENKUlT_T0_SG_SL_E_clISA_SA_SB_SB_EEDaSZ_S10_SG_SL_EUlSZ_E_NS1_11comp_targetILNS1_3genE5ELNS1_11target_archE942ELNS1_3gpuE9ELNS1_3repE0EEENS1_47radix_sort_onesweep_sort_config_static_selectorELNS0_4arch9wavefront6targetE0EEEvSG_,@function
_ZN7rocprim17ROCPRIM_400000_NS6detail17trampoline_kernelINS0_14default_configENS1_35radix_sort_onesweep_config_selectorImNS0_10empty_typeEEEZZNS1_29radix_sort_onesweep_iterationIS3_Lb1EPKmPmPS5_SB_mNS0_19identity_decomposerENS1_16block_id_wrapperIjLb1EEEEE10hipError_tT1_PNSt15iterator_traitsISG_E10value_typeET2_T3_PNSH_ISM_E10value_typeET4_T5_PSR_SS_PNS1_23onesweep_lookback_stateEbbT6_jjT7_P12ihipStream_tbENKUlT_T0_SG_SL_E_clISA_SA_SB_SB_EEDaSZ_S10_SG_SL_EUlSZ_E_NS1_11comp_targetILNS1_3genE5ELNS1_11target_archE942ELNS1_3gpuE9ELNS1_3repE0EEENS1_47radix_sort_onesweep_sort_config_static_selectorELNS0_4arch9wavefront6targetE0EEEvSG_: ; @_ZN7rocprim17ROCPRIM_400000_NS6detail17trampoline_kernelINS0_14default_configENS1_35radix_sort_onesweep_config_selectorImNS0_10empty_typeEEEZZNS1_29radix_sort_onesweep_iterationIS3_Lb1EPKmPmPS5_SB_mNS0_19identity_decomposerENS1_16block_id_wrapperIjLb1EEEEE10hipError_tT1_PNSt15iterator_traitsISG_E10value_typeET2_T3_PNSH_ISM_E10value_typeET4_T5_PSR_SS_PNS1_23onesweep_lookback_stateEbbT6_jjT7_P12ihipStream_tbENKUlT_T0_SG_SL_E_clISA_SA_SB_SB_EEDaSZ_S10_SG_SL_EUlSZ_E_NS1_11comp_targetILNS1_3genE5ELNS1_11target_archE942ELNS1_3gpuE9ELNS1_3repE0EEENS1_47radix_sort_onesweep_sort_config_static_selectorELNS0_4arch9wavefront6targetE0EEEvSG_
; %bb.0:
	.section	.rodata,"a",@progbits
	.p2align	6, 0x0
	.amdhsa_kernel _ZN7rocprim17ROCPRIM_400000_NS6detail17trampoline_kernelINS0_14default_configENS1_35radix_sort_onesweep_config_selectorImNS0_10empty_typeEEEZZNS1_29radix_sort_onesweep_iterationIS3_Lb1EPKmPmPS5_SB_mNS0_19identity_decomposerENS1_16block_id_wrapperIjLb1EEEEE10hipError_tT1_PNSt15iterator_traitsISG_E10value_typeET2_T3_PNSH_ISM_E10value_typeET4_T5_PSR_SS_PNS1_23onesweep_lookback_stateEbbT6_jjT7_P12ihipStream_tbENKUlT_T0_SG_SL_E_clISA_SA_SB_SB_EEDaSZ_S10_SG_SL_EUlSZ_E_NS1_11comp_targetILNS1_3genE5ELNS1_11target_archE942ELNS1_3gpuE9ELNS1_3repE0EEENS1_47radix_sort_onesweep_sort_config_static_selectorELNS0_4arch9wavefront6targetE0EEEvSG_
		.amdhsa_group_segment_fixed_size 0
		.amdhsa_private_segment_fixed_size 0
		.amdhsa_kernarg_size 88
		.amdhsa_user_sgpr_count 2
		.amdhsa_user_sgpr_dispatch_ptr 0
		.amdhsa_user_sgpr_queue_ptr 0
		.amdhsa_user_sgpr_kernarg_segment_ptr 1
		.amdhsa_user_sgpr_dispatch_id 0
		.amdhsa_user_sgpr_kernarg_preload_length 0
		.amdhsa_user_sgpr_kernarg_preload_offset 0
		.amdhsa_user_sgpr_private_segment_size 0
		.amdhsa_wavefront_size32 1
		.amdhsa_uses_dynamic_stack 0
		.amdhsa_enable_private_segment 0
		.amdhsa_system_sgpr_workgroup_id_x 1
		.amdhsa_system_sgpr_workgroup_id_y 0
		.amdhsa_system_sgpr_workgroup_id_z 0
		.amdhsa_system_sgpr_workgroup_info 0
		.amdhsa_system_vgpr_workitem_id 0
		.amdhsa_next_free_vgpr 1
		.amdhsa_next_free_sgpr 1
		.amdhsa_named_barrier_count 0
		.amdhsa_reserve_vcc 0
		.amdhsa_float_round_mode_32 0
		.amdhsa_float_round_mode_16_64 0
		.amdhsa_float_denorm_mode_32 3
		.amdhsa_float_denorm_mode_16_64 3
		.amdhsa_fp16_overflow 0
		.amdhsa_memory_ordered 1
		.amdhsa_forward_progress 1
		.amdhsa_inst_pref_size 0
		.amdhsa_round_robin_scheduling 0
		.amdhsa_exception_fp_ieee_invalid_op 0
		.amdhsa_exception_fp_denorm_src 0
		.amdhsa_exception_fp_ieee_div_zero 0
		.amdhsa_exception_fp_ieee_overflow 0
		.amdhsa_exception_fp_ieee_underflow 0
		.amdhsa_exception_fp_ieee_inexact 0
		.amdhsa_exception_int_div_zero 0
	.end_amdhsa_kernel
	.section	.text._ZN7rocprim17ROCPRIM_400000_NS6detail17trampoline_kernelINS0_14default_configENS1_35radix_sort_onesweep_config_selectorImNS0_10empty_typeEEEZZNS1_29radix_sort_onesweep_iterationIS3_Lb1EPKmPmPS5_SB_mNS0_19identity_decomposerENS1_16block_id_wrapperIjLb1EEEEE10hipError_tT1_PNSt15iterator_traitsISG_E10value_typeET2_T3_PNSH_ISM_E10value_typeET4_T5_PSR_SS_PNS1_23onesweep_lookback_stateEbbT6_jjT7_P12ihipStream_tbENKUlT_T0_SG_SL_E_clISA_SA_SB_SB_EEDaSZ_S10_SG_SL_EUlSZ_E_NS1_11comp_targetILNS1_3genE5ELNS1_11target_archE942ELNS1_3gpuE9ELNS1_3repE0EEENS1_47radix_sort_onesweep_sort_config_static_selectorELNS0_4arch9wavefront6targetE0EEEvSG_,"axG",@progbits,_ZN7rocprim17ROCPRIM_400000_NS6detail17trampoline_kernelINS0_14default_configENS1_35radix_sort_onesweep_config_selectorImNS0_10empty_typeEEEZZNS1_29radix_sort_onesweep_iterationIS3_Lb1EPKmPmPS5_SB_mNS0_19identity_decomposerENS1_16block_id_wrapperIjLb1EEEEE10hipError_tT1_PNSt15iterator_traitsISG_E10value_typeET2_T3_PNSH_ISM_E10value_typeET4_T5_PSR_SS_PNS1_23onesweep_lookback_stateEbbT6_jjT7_P12ihipStream_tbENKUlT_T0_SG_SL_E_clISA_SA_SB_SB_EEDaSZ_S10_SG_SL_EUlSZ_E_NS1_11comp_targetILNS1_3genE5ELNS1_11target_archE942ELNS1_3gpuE9ELNS1_3repE0EEENS1_47radix_sort_onesweep_sort_config_static_selectorELNS0_4arch9wavefront6targetE0EEEvSG_,comdat
.Lfunc_end2891:
	.size	_ZN7rocprim17ROCPRIM_400000_NS6detail17trampoline_kernelINS0_14default_configENS1_35radix_sort_onesweep_config_selectorImNS0_10empty_typeEEEZZNS1_29radix_sort_onesweep_iterationIS3_Lb1EPKmPmPS5_SB_mNS0_19identity_decomposerENS1_16block_id_wrapperIjLb1EEEEE10hipError_tT1_PNSt15iterator_traitsISG_E10value_typeET2_T3_PNSH_ISM_E10value_typeET4_T5_PSR_SS_PNS1_23onesweep_lookback_stateEbbT6_jjT7_P12ihipStream_tbENKUlT_T0_SG_SL_E_clISA_SA_SB_SB_EEDaSZ_S10_SG_SL_EUlSZ_E_NS1_11comp_targetILNS1_3genE5ELNS1_11target_archE942ELNS1_3gpuE9ELNS1_3repE0EEENS1_47radix_sort_onesweep_sort_config_static_selectorELNS0_4arch9wavefront6targetE0EEEvSG_, .Lfunc_end2891-_ZN7rocprim17ROCPRIM_400000_NS6detail17trampoline_kernelINS0_14default_configENS1_35radix_sort_onesweep_config_selectorImNS0_10empty_typeEEEZZNS1_29radix_sort_onesweep_iterationIS3_Lb1EPKmPmPS5_SB_mNS0_19identity_decomposerENS1_16block_id_wrapperIjLb1EEEEE10hipError_tT1_PNSt15iterator_traitsISG_E10value_typeET2_T3_PNSH_ISM_E10value_typeET4_T5_PSR_SS_PNS1_23onesweep_lookback_stateEbbT6_jjT7_P12ihipStream_tbENKUlT_T0_SG_SL_E_clISA_SA_SB_SB_EEDaSZ_S10_SG_SL_EUlSZ_E_NS1_11comp_targetILNS1_3genE5ELNS1_11target_archE942ELNS1_3gpuE9ELNS1_3repE0EEENS1_47radix_sort_onesweep_sort_config_static_selectorELNS0_4arch9wavefront6targetE0EEEvSG_
                                        ; -- End function
	.set _ZN7rocprim17ROCPRIM_400000_NS6detail17trampoline_kernelINS0_14default_configENS1_35radix_sort_onesweep_config_selectorImNS0_10empty_typeEEEZZNS1_29radix_sort_onesweep_iterationIS3_Lb1EPKmPmPS5_SB_mNS0_19identity_decomposerENS1_16block_id_wrapperIjLb1EEEEE10hipError_tT1_PNSt15iterator_traitsISG_E10value_typeET2_T3_PNSH_ISM_E10value_typeET4_T5_PSR_SS_PNS1_23onesweep_lookback_stateEbbT6_jjT7_P12ihipStream_tbENKUlT_T0_SG_SL_E_clISA_SA_SB_SB_EEDaSZ_S10_SG_SL_EUlSZ_E_NS1_11comp_targetILNS1_3genE5ELNS1_11target_archE942ELNS1_3gpuE9ELNS1_3repE0EEENS1_47radix_sort_onesweep_sort_config_static_selectorELNS0_4arch9wavefront6targetE0EEEvSG_.num_vgpr, 0
	.set _ZN7rocprim17ROCPRIM_400000_NS6detail17trampoline_kernelINS0_14default_configENS1_35radix_sort_onesweep_config_selectorImNS0_10empty_typeEEEZZNS1_29radix_sort_onesweep_iterationIS3_Lb1EPKmPmPS5_SB_mNS0_19identity_decomposerENS1_16block_id_wrapperIjLb1EEEEE10hipError_tT1_PNSt15iterator_traitsISG_E10value_typeET2_T3_PNSH_ISM_E10value_typeET4_T5_PSR_SS_PNS1_23onesweep_lookback_stateEbbT6_jjT7_P12ihipStream_tbENKUlT_T0_SG_SL_E_clISA_SA_SB_SB_EEDaSZ_S10_SG_SL_EUlSZ_E_NS1_11comp_targetILNS1_3genE5ELNS1_11target_archE942ELNS1_3gpuE9ELNS1_3repE0EEENS1_47radix_sort_onesweep_sort_config_static_selectorELNS0_4arch9wavefront6targetE0EEEvSG_.num_agpr, 0
	.set _ZN7rocprim17ROCPRIM_400000_NS6detail17trampoline_kernelINS0_14default_configENS1_35radix_sort_onesweep_config_selectorImNS0_10empty_typeEEEZZNS1_29radix_sort_onesweep_iterationIS3_Lb1EPKmPmPS5_SB_mNS0_19identity_decomposerENS1_16block_id_wrapperIjLb1EEEEE10hipError_tT1_PNSt15iterator_traitsISG_E10value_typeET2_T3_PNSH_ISM_E10value_typeET4_T5_PSR_SS_PNS1_23onesweep_lookback_stateEbbT6_jjT7_P12ihipStream_tbENKUlT_T0_SG_SL_E_clISA_SA_SB_SB_EEDaSZ_S10_SG_SL_EUlSZ_E_NS1_11comp_targetILNS1_3genE5ELNS1_11target_archE942ELNS1_3gpuE9ELNS1_3repE0EEENS1_47radix_sort_onesweep_sort_config_static_selectorELNS0_4arch9wavefront6targetE0EEEvSG_.numbered_sgpr, 0
	.set _ZN7rocprim17ROCPRIM_400000_NS6detail17trampoline_kernelINS0_14default_configENS1_35radix_sort_onesweep_config_selectorImNS0_10empty_typeEEEZZNS1_29radix_sort_onesweep_iterationIS3_Lb1EPKmPmPS5_SB_mNS0_19identity_decomposerENS1_16block_id_wrapperIjLb1EEEEE10hipError_tT1_PNSt15iterator_traitsISG_E10value_typeET2_T3_PNSH_ISM_E10value_typeET4_T5_PSR_SS_PNS1_23onesweep_lookback_stateEbbT6_jjT7_P12ihipStream_tbENKUlT_T0_SG_SL_E_clISA_SA_SB_SB_EEDaSZ_S10_SG_SL_EUlSZ_E_NS1_11comp_targetILNS1_3genE5ELNS1_11target_archE942ELNS1_3gpuE9ELNS1_3repE0EEENS1_47radix_sort_onesweep_sort_config_static_selectorELNS0_4arch9wavefront6targetE0EEEvSG_.num_named_barrier, 0
	.set _ZN7rocprim17ROCPRIM_400000_NS6detail17trampoline_kernelINS0_14default_configENS1_35radix_sort_onesweep_config_selectorImNS0_10empty_typeEEEZZNS1_29radix_sort_onesweep_iterationIS3_Lb1EPKmPmPS5_SB_mNS0_19identity_decomposerENS1_16block_id_wrapperIjLb1EEEEE10hipError_tT1_PNSt15iterator_traitsISG_E10value_typeET2_T3_PNSH_ISM_E10value_typeET4_T5_PSR_SS_PNS1_23onesweep_lookback_stateEbbT6_jjT7_P12ihipStream_tbENKUlT_T0_SG_SL_E_clISA_SA_SB_SB_EEDaSZ_S10_SG_SL_EUlSZ_E_NS1_11comp_targetILNS1_3genE5ELNS1_11target_archE942ELNS1_3gpuE9ELNS1_3repE0EEENS1_47radix_sort_onesweep_sort_config_static_selectorELNS0_4arch9wavefront6targetE0EEEvSG_.private_seg_size, 0
	.set _ZN7rocprim17ROCPRIM_400000_NS6detail17trampoline_kernelINS0_14default_configENS1_35radix_sort_onesweep_config_selectorImNS0_10empty_typeEEEZZNS1_29radix_sort_onesweep_iterationIS3_Lb1EPKmPmPS5_SB_mNS0_19identity_decomposerENS1_16block_id_wrapperIjLb1EEEEE10hipError_tT1_PNSt15iterator_traitsISG_E10value_typeET2_T3_PNSH_ISM_E10value_typeET4_T5_PSR_SS_PNS1_23onesweep_lookback_stateEbbT6_jjT7_P12ihipStream_tbENKUlT_T0_SG_SL_E_clISA_SA_SB_SB_EEDaSZ_S10_SG_SL_EUlSZ_E_NS1_11comp_targetILNS1_3genE5ELNS1_11target_archE942ELNS1_3gpuE9ELNS1_3repE0EEENS1_47radix_sort_onesweep_sort_config_static_selectorELNS0_4arch9wavefront6targetE0EEEvSG_.uses_vcc, 0
	.set _ZN7rocprim17ROCPRIM_400000_NS6detail17trampoline_kernelINS0_14default_configENS1_35radix_sort_onesweep_config_selectorImNS0_10empty_typeEEEZZNS1_29radix_sort_onesweep_iterationIS3_Lb1EPKmPmPS5_SB_mNS0_19identity_decomposerENS1_16block_id_wrapperIjLb1EEEEE10hipError_tT1_PNSt15iterator_traitsISG_E10value_typeET2_T3_PNSH_ISM_E10value_typeET4_T5_PSR_SS_PNS1_23onesweep_lookback_stateEbbT6_jjT7_P12ihipStream_tbENKUlT_T0_SG_SL_E_clISA_SA_SB_SB_EEDaSZ_S10_SG_SL_EUlSZ_E_NS1_11comp_targetILNS1_3genE5ELNS1_11target_archE942ELNS1_3gpuE9ELNS1_3repE0EEENS1_47radix_sort_onesweep_sort_config_static_selectorELNS0_4arch9wavefront6targetE0EEEvSG_.uses_flat_scratch, 0
	.set _ZN7rocprim17ROCPRIM_400000_NS6detail17trampoline_kernelINS0_14default_configENS1_35radix_sort_onesweep_config_selectorImNS0_10empty_typeEEEZZNS1_29radix_sort_onesweep_iterationIS3_Lb1EPKmPmPS5_SB_mNS0_19identity_decomposerENS1_16block_id_wrapperIjLb1EEEEE10hipError_tT1_PNSt15iterator_traitsISG_E10value_typeET2_T3_PNSH_ISM_E10value_typeET4_T5_PSR_SS_PNS1_23onesweep_lookback_stateEbbT6_jjT7_P12ihipStream_tbENKUlT_T0_SG_SL_E_clISA_SA_SB_SB_EEDaSZ_S10_SG_SL_EUlSZ_E_NS1_11comp_targetILNS1_3genE5ELNS1_11target_archE942ELNS1_3gpuE9ELNS1_3repE0EEENS1_47radix_sort_onesweep_sort_config_static_selectorELNS0_4arch9wavefront6targetE0EEEvSG_.has_dyn_sized_stack, 0
	.set _ZN7rocprim17ROCPRIM_400000_NS6detail17trampoline_kernelINS0_14default_configENS1_35radix_sort_onesweep_config_selectorImNS0_10empty_typeEEEZZNS1_29radix_sort_onesweep_iterationIS3_Lb1EPKmPmPS5_SB_mNS0_19identity_decomposerENS1_16block_id_wrapperIjLb1EEEEE10hipError_tT1_PNSt15iterator_traitsISG_E10value_typeET2_T3_PNSH_ISM_E10value_typeET4_T5_PSR_SS_PNS1_23onesweep_lookback_stateEbbT6_jjT7_P12ihipStream_tbENKUlT_T0_SG_SL_E_clISA_SA_SB_SB_EEDaSZ_S10_SG_SL_EUlSZ_E_NS1_11comp_targetILNS1_3genE5ELNS1_11target_archE942ELNS1_3gpuE9ELNS1_3repE0EEENS1_47radix_sort_onesweep_sort_config_static_selectorELNS0_4arch9wavefront6targetE0EEEvSG_.has_recursion, 0
	.set _ZN7rocprim17ROCPRIM_400000_NS6detail17trampoline_kernelINS0_14default_configENS1_35radix_sort_onesweep_config_selectorImNS0_10empty_typeEEEZZNS1_29radix_sort_onesweep_iterationIS3_Lb1EPKmPmPS5_SB_mNS0_19identity_decomposerENS1_16block_id_wrapperIjLb1EEEEE10hipError_tT1_PNSt15iterator_traitsISG_E10value_typeET2_T3_PNSH_ISM_E10value_typeET4_T5_PSR_SS_PNS1_23onesweep_lookback_stateEbbT6_jjT7_P12ihipStream_tbENKUlT_T0_SG_SL_E_clISA_SA_SB_SB_EEDaSZ_S10_SG_SL_EUlSZ_E_NS1_11comp_targetILNS1_3genE5ELNS1_11target_archE942ELNS1_3gpuE9ELNS1_3repE0EEENS1_47radix_sort_onesweep_sort_config_static_selectorELNS0_4arch9wavefront6targetE0EEEvSG_.has_indirect_call, 0
	.section	.AMDGPU.csdata,"",@progbits
; Kernel info:
; codeLenInByte = 0
; TotalNumSgprs: 0
; NumVgprs: 0
; ScratchSize: 0
; MemoryBound: 0
; FloatMode: 240
; IeeeMode: 1
; LDSByteSize: 0 bytes/workgroup (compile time only)
; SGPRBlocks: 0
; VGPRBlocks: 0
; NumSGPRsForWavesPerEU: 1
; NumVGPRsForWavesPerEU: 1
; NamedBarCnt: 0
; Occupancy: 16
; WaveLimiterHint : 0
; COMPUTE_PGM_RSRC2:SCRATCH_EN: 0
; COMPUTE_PGM_RSRC2:USER_SGPR: 2
; COMPUTE_PGM_RSRC2:TRAP_HANDLER: 0
; COMPUTE_PGM_RSRC2:TGID_X_EN: 1
; COMPUTE_PGM_RSRC2:TGID_Y_EN: 0
; COMPUTE_PGM_RSRC2:TGID_Z_EN: 0
; COMPUTE_PGM_RSRC2:TIDIG_COMP_CNT: 0
	.section	.text._ZN7rocprim17ROCPRIM_400000_NS6detail17trampoline_kernelINS0_14default_configENS1_35radix_sort_onesweep_config_selectorImNS0_10empty_typeEEEZZNS1_29radix_sort_onesweep_iterationIS3_Lb1EPKmPmPS5_SB_mNS0_19identity_decomposerENS1_16block_id_wrapperIjLb1EEEEE10hipError_tT1_PNSt15iterator_traitsISG_E10value_typeET2_T3_PNSH_ISM_E10value_typeET4_T5_PSR_SS_PNS1_23onesweep_lookback_stateEbbT6_jjT7_P12ihipStream_tbENKUlT_T0_SG_SL_E_clISA_SA_SB_SB_EEDaSZ_S10_SG_SL_EUlSZ_E_NS1_11comp_targetILNS1_3genE2ELNS1_11target_archE906ELNS1_3gpuE6ELNS1_3repE0EEENS1_47radix_sort_onesweep_sort_config_static_selectorELNS0_4arch9wavefront6targetE0EEEvSG_,"axG",@progbits,_ZN7rocprim17ROCPRIM_400000_NS6detail17trampoline_kernelINS0_14default_configENS1_35radix_sort_onesweep_config_selectorImNS0_10empty_typeEEEZZNS1_29radix_sort_onesweep_iterationIS3_Lb1EPKmPmPS5_SB_mNS0_19identity_decomposerENS1_16block_id_wrapperIjLb1EEEEE10hipError_tT1_PNSt15iterator_traitsISG_E10value_typeET2_T3_PNSH_ISM_E10value_typeET4_T5_PSR_SS_PNS1_23onesweep_lookback_stateEbbT6_jjT7_P12ihipStream_tbENKUlT_T0_SG_SL_E_clISA_SA_SB_SB_EEDaSZ_S10_SG_SL_EUlSZ_E_NS1_11comp_targetILNS1_3genE2ELNS1_11target_archE906ELNS1_3gpuE6ELNS1_3repE0EEENS1_47radix_sort_onesweep_sort_config_static_selectorELNS0_4arch9wavefront6targetE0EEEvSG_,comdat
	.protected	_ZN7rocprim17ROCPRIM_400000_NS6detail17trampoline_kernelINS0_14default_configENS1_35radix_sort_onesweep_config_selectorImNS0_10empty_typeEEEZZNS1_29radix_sort_onesweep_iterationIS3_Lb1EPKmPmPS5_SB_mNS0_19identity_decomposerENS1_16block_id_wrapperIjLb1EEEEE10hipError_tT1_PNSt15iterator_traitsISG_E10value_typeET2_T3_PNSH_ISM_E10value_typeET4_T5_PSR_SS_PNS1_23onesweep_lookback_stateEbbT6_jjT7_P12ihipStream_tbENKUlT_T0_SG_SL_E_clISA_SA_SB_SB_EEDaSZ_S10_SG_SL_EUlSZ_E_NS1_11comp_targetILNS1_3genE2ELNS1_11target_archE906ELNS1_3gpuE6ELNS1_3repE0EEENS1_47radix_sort_onesweep_sort_config_static_selectorELNS0_4arch9wavefront6targetE0EEEvSG_ ; -- Begin function _ZN7rocprim17ROCPRIM_400000_NS6detail17trampoline_kernelINS0_14default_configENS1_35radix_sort_onesweep_config_selectorImNS0_10empty_typeEEEZZNS1_29radix_sort_onesweep_iterationIS3_Lb1EPKmPmPS5_SB_mNS0_19identity_decomposerENS1_16block_id_wrapperIjLb1EEEEE10hipError_tT1_PNSt15iterator_traitsISG_E10value_typeET2_T3_PNSH_ISM_E10value_typeET4_T5_PSR_SS_PNS1_23onesweep_lookback_stateEbbT6_jjT7_P12ihipStream_tbENKUlT_T0_SG_SL_E_clISA_SA_SB_SB_EEDaSZ_S10_SG_SL_EUlSZ_E_NS1_11comp_targetILNS1_3genE2ELNS1_11target_archE906ELNS1_3gpuE6ELNS1_3repE0EEENS1_47radix_sort_onesweep_sort_config_static_selectorELNS0_4arch9wavefront6targetE0EEEvSG_
	.globl	_ZN7rocprim17ROCPRIM_400000_NS6detail17trampoline_kernelINS0_14default_configENS1_35radix_sort_onesweep_config_selectorImNS0_10empty_typeEEEZZNS1_29radix_sort_onesweep_iterationIS3_Lb1EPKmPmPS5_SB_mNS0_19identity_decomposerENS1_16block_id_wrapperIjLb1EEEEE10hipError_tT1_PNSt15iterator_traitsISG_E10value_typeET2_T3_PNSH_ISM_E10value_typeET4_T5_PSR_SS_PNS1_23onesweep_lookback_stateEbbT6_jjT7_P12ihipStream_tbENKUlT_T0_SG_SL_E_clISA_SA_SB_SB_EEDaSZ_S10_SG_SL_EUlSZ_E_NS1_11comp_targetILNS1_3genE2ELNS1_11target_archE906ELNS1_3gpuE6ELNS1_3repE0EEENS1_47radix_sort_onesweep_sort_config_static_selectorELNS0_4arch9wavefront6targetE0EEEvSG_
	.p2align	8
	.type	_ZN7rocprim17ROCPRIM_400000_NS6detail17trampoline_kernelINS0_14default_configENS1_35radix_sort_onesweep_config_selectorImNS0_10empty_typeEEEZZNS1_29radix_sort_onesweep_iterationIS3_Lb1EPKmPmPS5_SB_mNS0_19identity_decomposerENS1_16block_id_wrapperIjLb1EEEEE10hipError_tT1_PNSt15iterator_traitsISG_E10value_typeET2_T3_PNSH_ISM_E10value_typeET4_T5_PSR_SS_PNS1_23onesweep_lookback_stateEbbT6_jjT7_P12ihipStream_tbENKUlT_T0_SG_SL_E_clISA_SA_SB_SB_EEDaSZ_S10_SG_SL_EUlSZ_E_NS1_11comp_targetILNS1_3genE2ELNS1_11target_archE906ELNS1_3gpuE6ELNS1_3repE0EEENS1_47radix_sort_onesweep_sort_config_static_selectorELNS0_4arch9wavefront6targetE0EEEvSG_,@function
_ZN7rocprim17ROCPRIM_400000_NS6detail17trampoline_kernelINS0_14default_configENS1_35radix_sort_onesweep_config_selectorImNS0_10empty_typeEEEZZNS1_29radix_sort_onesweep_iterationIS3_Lb1EPKmPmPS5_SB_mNS0_19identity_decomposerENS1_16block_id_wrapperIjLb1EEEEE10hipError_tT1_PNSt15iterator_traitsISG_E10value_typeET2_T3_PNSH_ISM_E10value_typeET4_T5_PSR_SS_PNS1_23onesweep_lookback_stateEbbT6_jjT7_P12ihipStream_tbENKUlT_T0_SG_SL_E_clISA_SA_SB_SB_EEDaSZ_S10_SG_SL_EUlSZ_E_NS1_11comp_targetILNS1_3genE2ELNS1_11target_archE906ELNS1_3gpuE6ELNS1_3repE0EEENS1_47radix_sort_onesweep_sort_config_static_selectorELNS0_4arch9wavefront6targetE0EEEvSG_: ; @_ZN7rocprim17ROCPRIM_400000_NS6detail17trampoline_kernelINS0_14default_configENS1_35radix_sort_onesweep_config_selectorImNS0_10empty_typeEEEZZNS1_29radix_sort_onesweep_iterationIS3_Lb1EPKmPmPS5_SB_mNS0_19identity_decomposerENS1_16block_id_wrapperIjLb1EEEEE10hipError_tT1_PNSt15iterator_traitsISG_E10value_typeET2_T3_PNSH_ISM_E10value_typeET4_T5_PSR_SS_PNS1_23onesweep_lookback_stateEbbT6_jjT7_P12ihipStream_tbENKUlT_T0_SG_SL_E_clISA_SA_SB_SB_EEDaSZ_S10_SG_SL_EUlSZ_E_NS1_11comp_targetILNS1_3genE2ELNS1_11target_archE906ELNS1_3gpuE6ELNS1_3repE0EEENS1_47radix_sort_onesweep_sort_config_static_selectorELNS0_4arch9wavefront6targetE0EEEvSG_
; %bb.0:
	.section	.rodata,"a",@progbits
	.p2align	6, 0x0
	.amdhsa_kernel _ZN7rocprim17ROCPRIM_400000_NS6detail17trampoline_kernelINS0_14default_configENS1_35radix_sort_onesweep_config_selectorImNS0_10empty_typeEEEZZNS1_29radix_sort_onesweep_iterationIS3_Lb1EPKmPmPS5_SB_mNS0_19identity_decomposerENS1_16block_id_wrapperIjLb1EEEEE10hipError_tT1_PNSt15iterator_traitsISG_E10value_typeET2_T3_PNSH_ISM_E10value_typeET4_T5_PSR_SS_PNS1_23onesweep_lookback_stateEbbT6_jjT7_P12ihipStream_tbENKUlT_T0_SG_SL_E_clISA_SA_SB_SB_EEDaSZ_S10_SG_SL_EUlSZ_E_NS1_11comp_targetILNS1_3genE2ELNS1_11target_archE906ELNS1_3gpuE6ELNS1_3repE0EEENS1_47radix_sort_onesweep_sort_config_static_selectorELNS0_4arch9wavefront6targetE0EEEvSG_
		.amdhsa_group_segment_fixed_size 0
		.amdhsa_private_segment_fixed_size 0
		.amdhsa_kernarg_size 88
		.amdhsa_user_sgpr_count 2
		.amdhsa_user_sgpr_dispatch_ptr 0
		.amdhsa_user_sgpr_queue_ptr 0
		.amdhsa_user_sgpr_kernarg_segment_ptr 1
		.amdhsa_user_sgpr_dispatch_id 0
		.amdhsa_user_sgpr_kernarg_preload_length 0
		.amdhsa_user_sgpr_kernarg_preload_offset 0
		.amdhsa_user_sgpr_private_segment_size 0
		.amdhsa_wavefront_size32 1
		.amdhsa_uses_dynamic_stack 0
		.amdhsa_enable_private_segment 0
		.amdhsa_system_sgpr_workgroup_id_x 1
		.amdhsa_system_sgpr_workgroup_id_y 0
		.amdhsa_system_sgpr_workgroup_id_z 0
		.amdhsa_system_sgpr_workgroup_info 0
		.amdhsa_system_vgpr_workitem_id 0
		.amdhsa_next_free_vgpr 1
		.amdhsa_next_free_sgpr 1
		.amdhsa_named_barrier_count 0
		.amdhsa_reserve_vcc 0
		.amdhsa_float_round_mode_32 0
		.amdhsa_float_round_mode_16_64 0
		.amdhsa_float_denorm_mode_32 3
		.amdhsa_float_denorm_mode_16_64 3
		.amdhsa_fp16_overflow 0
		.amdhsa_memory_ordered 1
		.amdhsa_forward_progress 1
		.amdhsa_inst_pref_size 0
		.amdhsa_round_robin_scheduling 0
		.amdhsa_exception_fp_ieee_invalid_op 0
		.amdhsa_exception_fp_denorm_src 0
		.amdhsa_exception_fp_ieee_div_zero 0
		.amdhsa_exception_fp_ieee_overflow 0
		.amdhsa_exception_fp_ieee_underflow 0
		.amdhsa_exception_fp_ieee_inexact 0
		.amdhsa_exception_int_div_zero 0
	.end_amdhsa_kernel
	.section	.text._ZN7rocprim17ROCPRIM_400000_NS6detail17trampoline_kernelINS0_14default_configENS1_35radix_sort_onesweep_config_selectorImNS0_10empty_typeEEEZZNS1_29radix_sort_onesweep_iterationIS3_Lb1EPKmPmPS5_SB_mNS0_19identity_decomposerENS1_16block_id_wrapperIjLb1EEEEE10hipError_tT1_PNSt15iterator_traitsISG_E10value_typeET2_T3_PNSH_ISM_E10value_typeET4_T5_PSR_SS_PNS1_23onesweep_lookback_stateEbbT6_jjT7_P12ihipStream_tbENKUlT_T0_SG_SL_E_clISA_SA_SB_SB_EEDaSZ_S10_SG_SL_EUlSZ_E_NS1_11comp_targetILNS1_3genE2ELNS1_11target_archE906ELNS1_3gpuE6ELNS1_3repE0EEENS1_47radix_sort_onesweep_sort_config_static_selectorELNS0_4arch9wavefront6targetE0EEEvSG_,"axG",@progbits,_ZN7rocprim17ROCPRIM_400000_NS6detail17trampoline_kernelINS0_14default_configENS1_35radix_sort_onesweep_config_selectorImNS0_10empty_typeEEEZZNS1_29radix_sort_onesweep_iterationIS3_Lb1EPKmPmPS5_SB_mNS0_19identity_decomposerENS1_16block_id_wrapperIjLb1EEEEE10hipError_tT1_PNSt15iterator_traitsISG_E10value_typeET2_T3_PNSH_ISM_E10value_typeET4_T5_PSR_SS_PNS1_23onesweep_lookback_stateEbbT6_jjT7_P12ihipStream_tbENKUlT_T0_SG_SL_E_clISA_SA_SB_SB_EEDaSZ_S10_SG_SL_EUlSZ_E_NS1_11comp_targetILNS1_3genE2ELNS1_11target_archE906ELNS1_3gpuE6ELNS1_3repE0EEENS1_47radix_sort_onesweep_sort_config_static_selectorELNS0_4arch9wavefront6targetE0EEEvSG_,comdat
.Lfunc_end2892:
	.size	_ZN7rocprim17ROCPRIM_400000_NS6detail17trampoline_kernelINS0_14default_configENS1_35radix_sort_onesweep_config_selectorImNS0_10empty_typeEEEZZNS1_29radix_sort_onesweep_iterationIS3_Lb1EPKmPmPS5_SB_mNS0_19identity_decomposerENS1_16block_id_wrapperIjLb1EEEEE10hipError_tT1_PNSt15iterator_traitsISG_E10value_typeET2_T3_PNSH_ISM_E10value_typeET4_T5_PSR_SS_PNS1_23onesweep_lookback_stateEbbT6_jjT7_P12ihipStream_tbENKUlT_T0_SG_SL_E_clISA_SA_SB_SB_EEDaSZ_S10_SG_SL_EUlSZ_E_NS1_11comp_targetILNS1_3genE2ELNS1_11target_archE906ELNS1_3gpuE6ELNS1_3repE0EEENS1_47radix_sort_onesweep_sort_config_static_selectorELNS0_4arch9wavefront6targetE0EEEvSG_, .Lfunc_end2892-_ZN7rocprim17ROCPRIM_400000_NS6detail17trampoline_kernelINS0_14default_configENS1_35radix_sort_onesweep_config_selectorImNS0_10empty_typeEEEZZNS1_29radix_sort_onesweep_iterationIS3_Lb1EPKmPmPS5_SB_mNS0_19identity_decomposerENS1_16block_id_wrapperIjLb1EEEEE10hipError_tT1_PNSt15iterator_traitsISG_E10value_typeET2_T3_PNSH_ISM_E10value_typeET4_T5_PSR_SS_PNS1_23onesweep_lookback_stateEbbT6_jjT7_P12ihipStream_tbENKUlT_T0_SG_SL_E_clISA_SA_SB_SB_EEDaSZ_S10_SG_SL_EUlSZ_E_NS1_11comp_targetILNS1_3genE2ELNS1_11target_archE906ELNS1_3gpuE6ELNS1_3repE0EEENS1_47radix_sort_onesweep_sort_config_static_selectorELNS0_4arch9wavefront6targetE0EEEvSG_
                                        ; -- End function
	.set _ZN7rocprim17ROCPRIM_400000_NS6detail17trampoline_kernelINS0_14default_configENS1_35radix_sort_onesweep_config_selectorImNS0_10empty_typeEEEZZNS1_29radix_sort_onesweep_iterationIS3_Lb1EPKmPmPS5_SB_mNS0_19identity_decomposerENS1_16block_id_wrapperIjLb1EEEEE10hipError_tT1_PNSt15iterator_traitsISG_E10value_typeET2_T3_PNSH_ISM_E10value_typeET4_T5_PSR_SS_PNS1_23onesweep_lookback_stateEbbT6_jjT7_P12ihipStream_tbENKUlT_T0_SG_SL_E_clISA_SA_SB_SB_EEDaSZ_S10_SG_SL_EUlSZ_E_NS1_11comp_targetILNS1_3genE2ELNS1_11target_archE906ELNS1_3gpuE6ELNS1_3repE0EEENS1_47radix_sort_onesweep_sort_config_static_selectorELNS0_4arch9wavefront6targetE0EEEvSG_.num_vgpr, 0
	.set _ZN7rocprim17ROCPRIM_400000_NS6detail17trampoline_kernelINS0_14default_configENS1_35radix_sort_onesweep_config_selectorImNS0_10empty_typeEEEZZNS1_29radix_sort_onesweep_iterationIS3_Lb1EPKmPmPS5_SB_mNS0_19identity_decomposerENS1_16block_id_wrapperIjLb1EEEEE10hipError_tT1_PNSt15iterator_traitsISG_E10value_typeET2_T3_PNSH_ISM_E10value_typeET4_T5_PSR_SS_PNS1_23onesweep_lookback_stateEbbT6_jjT7_P12ihipStream_tbENKUlT_T0_SG_SL_E_clISA_SA_SB_SB_EEDaSZ_S10_SG_SL_EUlSZ_E_NS1_11comp_targetILNS1_3genE2ELNS1_11target_archE906ELNS1_3gpuE6ELNS1_3repE0EEENS1_47radix_sort_onesweep_sort_config_static_selectorELNS0_4arch9wavefront6targetE0EEEvSG_.num_agpr, 0
	.set _ZN7rocprim17ROCPRIM_400000_NS6detail17trampoline_kernelINS0_14default_configENS1_35radix_sort_onesweep_config_selectorImNS0_10empty_typeEEEZZNS1_29radix_sort_onesweep_iterationIS3_Lb1EPKmPmPS5_SB_mNS0_19identity_decomposerENS1_16block_id_wrapperIjLb1EEEEE10hipError_tT1_PNSt15iterator_traitsISG_E10value_typeET2_T3_PNSH_ISM_E10value_typeET4_T5_PSR_SS_PNS1_23onesweep_lookback_stateEbbT6_jjT7_P12ihipStream_tbENKUlT_T0_SG_SL_E_clISA_SA_SB_SB_EEDaSZ_S10_SG_SL_EUlSZ_E_NS1_11comp_targetILNS1_3genE2ELNS1_11target_archE906ELNS1_3gpuE6ELNS1_3repE0EEENS1_47radix_sort_onesweep_sort_config_static_selectorELNS0_4arch9wavefront6targetE0EEEvSG_.numbered_sgpr, 0
	.set _ZN7rocprim17ROCPRIM_400000_NS6detail17trampoline_kernelINS0_14default_configENS1_35radix_sort_onesweep_config_selectorImNS0_10empty_typeEEEZZNS1_29radix_sort_onesweep_iterationIS3_Lb1EPKmPmPS5_SB_mNS0_19identity_decomposerENS1_16block_id_wrapperIjLb1EEEEE10hipError_tT1_PNSt15iterator_traitsISG_E10value_typeET2_T3_PNSH_ISM_E10value_typeET4_T5_PSR_SS_PNS1_23onesweep_lookback_stateEbbT6_jjT7_P12ihipStream_tbENKUlT_T0_SG_SL_E_clISA_SA_SB_SB_EEDaSZ_S10_SG_SL_EUlSZ_E_NS1_11comp_targetILNS1_3genE2ELNS1_11target_archE906ELNS1_3gpuE6ELNS1_3repE0EEENS1_47radix_sort_onesweep_sort_config_static_selectorELNS0_4arch9wavefront6targetE0EEEvSG_.num_named_barrier, 0
	.set _ZN7rocprim17ROCPRIM_400000_NS6detail17trampoline_kernelINS0_14default_configENS1_35radix_sort_onesweep_config_selectorImNS0_10empty_typeEEEZZNS1_29radix_sort_onesweep_iterationIS3_Lb1EPKmPmPS5_SB_mNS0_19identity_decomposerENS1_16block_id_wrapperIjLb1EEEEE10hipError_tT1_PNSt15iterator_traitsISG_E10value_typeET2_T3_PNSH_ISM_E10value_typeET4_T5_PSR_SS_PNS1_23onesweep_lookback_stateEbbT6_jjT7_P12ihipStream_tbENKUlT_T0_SG_SL_E_clISA_SA_SB_SB_EEDaSZ_S10_SG_SL_EUlSZ_E_NS1_11comp_targetILNS1_3genE2ELNS1_11target_archE906ELNS1_3gpuE6ELNS1_3repE0EEENS1_47radix_sort_onesweep_sort_config_static_selectorELNS0_4arch9wavefront6targetE0EEEvSG_.private_seg_size, 0
	.set _ZN7rocprim17ROCPRIM_400000_NS6detail17trampoline_kernelINS0_14default_configENS1_35radix_sort_onesweep_config_selectorImNS0_10empty_typeEEEZZNS1_29radix_sort_onesweep_iterationIS3_Lb1EPKmPmPS5_SB_mNS0_19identity_decomposerENS1_16block_id_wrapperIjLb1EEEEE10hipError_tT1_PNSt15iterator_traitsISG_E10value_typeET2_T3_PNSH_ISM_E10value_typeET4_T5_PSR_SS_PNS1_23onesweep_lookback_stateEbbT6_jjT7_P12ihipStream_tbENKUlT_T0_SG_SL_E_clISA_SA_SB_SB_EEDaSZ_S10_SG_SL_EUlSZ_E_NS1_11comp_targetILNS1_3genE2ELNS1_11target_archE906ELNS1_3gpuE6ELNS1_3repE0EEENS1_47radix_sort_onesweep_sort_config_static_selectorELNS0_4arch9wavefront6targetE0EEEvSG_.uses_vcc, 0
	.set _ZN7rocprim17ROCPRIM_400000_NS6detail17trampoline_kernelINS0_14default_configENS1_35radix_sort_onesweep_config_selectorImNS0_10empty_typeEEEZZNS1_29radix_sort_onesweep_iterationIS3_Lb1EPKmPmPS5_SB_mNS0_19identity_decomposerENS1_16block_id_wrapperIjLb1EEEEE10hipError_tT1_PNSt15iterator_traitsISG_E10value_typeET2_T3_PNSH_ISM_E10value_typeET4_T5_PSR_SS_PNS1_23onesweep_lookback_stateEbbT6_jjT7_P12ihipStream_tbENKUlT_T0_SG_SL_E_clISA_SA_SB_SB_EEDaSZ_S10_SG_SL_EUlSZ_E_NS1_11comp_targetILNS1_3genE2ELNS1_11target_archE906ELNS1_3gpuE6ELNS1_3repE0EEENS1_47radix_sort_onesweep_sort_config_static_selectorELNS0_4arch9wavefront6targetE0EEEvSG_.uses_flat_scratch, 0
	.set _ZN7rocprim17ROCPRIM_400000_NS6detail17trampoline_kernelINS0_14default_configENS1_35radix_sort_onesweep_config_selectorImNS0_10empty_typeEEEZZNS1_29radix_sort_onesweep_iterationIS3_Lb1EPKmPmPS5_SB_mNS0_19identity_decomposerENS1_16block_id_wrapperIjLb1EEEEE10hipError_tT1_PNSt15iterator_traitsISG_E10value_typeET2_T3_PNSH_ISM_E10value_typeET4_T5_PSR_SS_PNS1_23onesweep_lookback_stateEbbT6_jjT7_P12ihipStream_tbENKUlT_T0_SG_SL_E_clISA_SA_SB_SB_EEDaSZ_S10_SG_SL_EUlSZ_E_NS1_11comp_targetILNS1_3genE2ELNS1_11target_archE906ELNS1_3gpuE6ELNS1_3repE0EEENS1_47radix_sort_onesweep_sort_config_static_selectorELNS0_4arch9wavefront6targetE0EEEvSG_.has_dyn_sized_stack, 0
	.set _ZN7rocprim17ROCPRIM_400000_NS6detail17trampoline_kernelINS0_14default_configENS1_35radix_sort_onesweep_config_selectorImNS0_10empty_typeEEEZZNS1_29radix_sort_onesweep_iterationIS3_Lb1EPKmPmPS5_SB_mNS0_19identity_decomposerENS1_16block_id_wrapperIjLb1EEEEE10hipError_tT1_PNSt15iterator_traitsISG_E10value_typeET2_T3_PNSH_ISM_E10value_typeET4_T5_PSR_SS_PNS1_23onesweep_lookback_stateEbbT6_jjT7_P12ihipStream_tbENKUlT_T0_SG_SL_E_clISA_SA_SB_SB_EEDaSZ_S10_SG_SL_EUlSZ_E_NS1_11comp_targetILNS1_3genE2ELNS1_11target_archE906ELNS1_3gpuE6ELNS1_3repE0EEENS1_47radix_sort_onesweep_sort_config_static_selectorELNS0_4arch9wavefront6targetE0EEEvSG_.has_recursion, 0
	.set _ZN7rocprim17ROCPRIM_400000_NS6detail17trampoline_kernelINS0_14default_configENS1_35radix_sort_onesweep_config_selectorImNS0_10empty_typeEEEZZNS1_29radix_sort_onesweep_iterationIS3_Lb1EPKmPmPS5_SB_mNS0_19identity_decomposerENS1_16block_id_wrapperIjLb1EEEEE10hipError_tT1_PNSt15iterator_traitsISG_E10value_typeET2_T3_PNSH_ISM_E10value_typeET4_T5_PSR_SS_PNS1_23onesweep_lookback_stateEbbT6_jjT7_P12ihipStream_tbENKUlT_T0_SG_SL_E_clISA_SA_SB_SB_EEDaSZ_S10_SG_SL_EUlSZ_E_NS1_11comp_targetILNS1_3genE2ELNS1_11target_archE906ELNS1_3gpuE6ELNS1_3repE0EEENS1_47radix_sort_onesweep_sort_config_static_selectorELNS0_4arch9wavefront6targetE0EEEvSG_.has_indirect_call, 0
	.section	.AMDGPU.csdata,"",@progbits
; Kernel info:
; codeLenInByte = 0
; TotalNumSgprs: 0
; NumVgprs: 0
; ScratchSize: 0
; MemoryBound: 0
; FloatMode: 240
; IeeeMode: 1
; LDSByteSize: 0 bytes/workgroup (compile time only)
; SGPRBlocks: 0
; VGPRBlocks: 0
; NumSGPRsForWavesPerEU: 1
; NumVGPRsForWavesPerEU: 1
; NamedBarCnt: 0
; Occupancy: 16
; WaveLimiterHint : 0
; COMPUTE_PGM_RSRC2:SCRATCH_EN: 0
; COMPUTE_PGM_RSRC2:USER_SGPR: 2
; COMPUTE_PGM_RSRC2:TRAP_HANDLER: 0
; COMPUTE_PGM_RSRC2:TGID_X_EN: 1
; COMPUTE_PGM_RSRC2:TGID_Y_EN: 0
; COMPUTE_PGM_RSRC2:TGID_Z_EN: 0
; COMPUTE_PGM_RSRC2:TIDIG_COMP_CNT: 0
	.section	.text._ZN7rocprim17ROCPRIM_400000_NS6detail17trampoline_kernelINS0_14default_configENS1_35radix_sort_onesweep_config_selectorImNS0_10empty_typeEEEZZNS1_29radix_sort_onesweep_iterationIS3_Lb1EPKmPmPS5_SB_mNS0_19identity_decomposerENS1_16block_id_wrapperIjLb1EEEEE10hipError_tT1_PNSt15iterator_traitsISG_E10value_typeET2_T3_PNSH_ISM_E10value_typeET4_T5_PSR_SS_PNS1_23onesweep_lookback_stateEbbT6_jjT7_P12ihipStream_tbENKUlT_T0_SG_SL_E_clISA_SA_SB_SB_EEDaSZ_S10_SG_SL_EUlSZ_E_NS1_11comp_targetILNS1_3genE4ELNS1_11target_archE910ELNS1_3gpuE8ELNS1_3repE0EEENS1_47radix_sort_onesweep_sort_config_static_selectorELNS0_4arch9wavefront6targetE0EEEvSG_,"axG",@progbits,_ZN7rocprim17ROCPRIM_400000_NS6detail17trampoline_kernelINS0_14default_configENS1_35radix_sort_onesweep_config_selectorImNS0_10empty_typeEEEZZNS1_29radix_sort_onesweep_iterationIS3_Lb1EPKmPmPS5_SB_mNS0_19identity_decomposerENS1_16block_id_wrapperIjLb1EEEEE10hipError_tT1_PNSt15iterator_traitsISG_E10value_typeET2_T3_PNSH_ISM_E10value_typeET4_T5_PSR_SS_PNS1_23onesweep_lookback_stateEbbT6_jjT7_P12ihipStream_tbENKUlT_T0_SG_SL_E_clISA_SA_SB_SB_EEDaSZ_S10_SG_SL_EUlSZ_E_NS1_11comp_targetILNS1_3genE4ELNS1_11target_archE910ELNS1_3gpuE8ELNS1_3repE0EEENS1_47radix_sort_onesweep_sort_config_static_selectorELNS0_4arch9wavefront6targetE0EEEvSG_,comdat
	.protected	_ZN7rocprim17ROCPRIM_400000_NS6detail17trampoline_kernelINS0_14default_configENS1_35radix_sort_onesweep_config_selectorImNS0_10empty_typeEEEZZNS1_29radix_sort_onesweep_iterationIS3_Lb1EPKmPmPS5_SB_mNS0_19identity_decomposerENS1_16block_id_wrapperIjLb1EEEEE10hipError_tT1_PNSt15iterator_traitsISG_E10value_typeET2_T3_PNSH_ISM_E10value_typeET4_T5_PSR_SS_PNS1_23onesweep_lookback_stateEbbT6_jjT7_P12ihipStream_tbENKUlT_T0_SG_SL_E_clISA_SA_SB_SB_EEDaSZ_S10_SG_SL_EUlSZ_E_NS1_11comp_targetILNS1_3genE4ELNS1_11target_archE910ELNS1_3gpuE8ELNS1_3repE0EEENS1_47radix_sort_onesweep_sort_config_static_selectorELNS0_4arch9wavefront6targetE0EEEvSG_ ; -- Begin function _ZN7rocprim17ROCPRIM_400000_NS6detail17trampoline_kernelINS0_14default_configENS1_35radix_sort_onesweep_config_selectorImNS0_10empty_typeEEEZZNS1_29radix_sort_onesweep_iterationIS3_Lb1EPKmPmPS5_SB_mNS0_19identity_decomposerENS1_16block_id_wrapperIjLb1EEEEE10hipError_tT1_PNSt15iterator_traitsISG_E10value_typeET2_T3_PNSH_ISM_E10value_typeET4_T5_PSR_SS_PNS1_23onesweep_lookback_stateEbbT6_jjT7_P12ihipStream_tbENKUlT_T0_SG_SL_E_clISA_SA_SB_SB_EEDaSZ_S10_SG_SL_EUlSZ_E_NS1_11comp_targetILNS1_3genE4ELNS1_11target_archE910ELNS1_3gpuE8ELNS1_3repE0EEENS1_47radix_sort_onesweep_sort_config_static_selectorELNS0_4arch9wavefront6targetE0EEEvSG_
	.globl	_ZN7rocprim17ROCPRIM_400000_NS6detail17trampoline_kernelINS0_14default_configENS1_35radix_sort_onesweep_config_selectorImNS0_10empty_typeEEEZZNS1_29radix_sort_onesweep_iterationIS3_Lb1EPKmPmPS5_SB_mNS0_19identity_decomposerENS1_16block_id_wrapperIjLb1EEEEE10hipError_tT1_PNSt15iterator_traitsISG_E10value_typeET2_T3_PNSH_ISM_E10value_typeET4_T5_PSR_SS_PNS1_23onesweep_lookback_stateEbbT6_jjT7_P12ihipStream_tbENKUlT_T0_SG_SL_E_clISA_SA_SB_SB_EEDaSZ_S10_SG_SL_EUlSZ_E_NS1_11comp_targetILNS1_3genE4ELNS1_11target_archE910ELNS1_3gpuE8ELNS1_3repE0EEENS1_47radix_sort_onesweep_sort_config_static_selectorELNS0_4arch9wavefront6targetE0EEEvSG_
	.p2align	8
	.type	_ZN7rocprim17ROCPRIM_400000_NS6detail17trampoline_kernelINS0_14default_configENS1_35radix_sort_onesweep_config_selectorImNS0_10empty_typeEEEZZNS1_29radix_sort_onesweep_iterationIS3_Lb1EPKmPmPS5_SB_mNS0_19identity_decomposerENS1_16block_id_wrapperIjLb1EEEEE10hipError_tT1_PNSt15iterator_traitsISG_E10value_typeET2_T3_PNSH_ISM_E10value_typeET4_T5_PSR_SS_PNS1_23onesweep_lookback_stateEbbT6_jjT7_P12ihipStream_tbENKUlT_T0_SG_SL_E_clISA_SA_SB_SB_EEDaSZ_S10_SG_SL_EUlSZ_E_NS1_11comp_targetILNS1_3genE4ELNS1_11target_archE910ELNS1_3gpuE8ELNS1_3repE0EEENS1_47radix_sort_onesweep_sort_config_static_selectorELNS0_4arch9wavefront6targetE0EEEvSG_,@function
_ZN7rocprim17ROCPRIM_400000_NS6detail17trampoline_kernelINS0_14default_configENS1_35radix_sort_onesweep_config_selectorImNS0_10empty_typeEEEZZNS1_29radix_sort_onesweep_iterationIS3_Lb1EPKmPmPS5_SB_mNS0_19identity_decomposerENS1_16block_id_wrapperIjLb1EEEEE10hipError_tT1_PNSt15iterator_traitsISG_E10value_typeET2_T3_PNSH_ISM_E10value_typeET4_T5_PSR_SS_PNS1_23onesweep_lookback_stateEbbT6_jjT7_P12ihipStream_tbENKUlT_T0_SG_SL_E_clISA_SA_SB_SB_EEDaSZ_S10_SG_SL_EUlSZ_E_NS1_11comp_targetILNS1_3genE4ELNS1_11target_archE910ELNS1_3gpuE8ELNS1_3repE0EEENS1_47radix_sort_onesweep_sort_config_static_selectorELNS0_4arch9wavefront6targetE0EEEvSG_: ; @_ZN7rocprim17ROCPRIM_400000_NS6detail17trampoline_kernelINS0_14default_configENS1_35radix_sort_onesweep_config_selectorImNS0_10empty_typeEEEZZNS1_29radix_sort_onesweep_iterationIS3_Lb1EPKmPmPS5_SB_mNS0_19identity_decomposerENS1_16block_id_wrapperIjLb1EEEEE10hipError_tT1_PNSt15iterator_traitsISG_E10value_typeET2_T3_PNSH_ISM_E10value_typeET4_T5_PSR_SS_PNS1_23onesweep_lookback_stateEbbT6_jjT7_P12ihipStream_tbENKUlT_T0_SG_SL_E_clISA_SA_SB_SB_EEDaSZ_S10_SG_SL_EUlSZ_E_NS1_11comp_targetILNS1_3genE4ELNS1_11target_archE910ELNS1_3gpuE8ELNS1_3repE0EEENS1_47radix_sort_onesweep_sort_config_static_selectorELNS0_4arch9wavefront6targetE0EEEvSG_
; %bb.0:
	.section	.rodata,"a",@progbits
	.p2align	6, 0x0
	.amdhsa_kernel _ZN7rocprim17ROCPRIM_400000_NS6detail17trampoline_kernelINS0_14default_configENS1_35radix_sort_onesweep_config_selectorImNS0_10empty_typeEEEZZNS1_29radix_sort_onesweep_iterationIS3_Lb1EPKmPmPS5_SB_mNS0_19identity_decomposerENS1_16block_id_wrapperIjLb1EEEEE10hipError_tT1_PNSt15iterator_traitsISG_E10value_typeET2_T3_PNSH_ISM_E10value_typeET4_T5_PSR_SS_PNS1_23onesweep_lookback_stateEbbT6_jjT7_P12ihipStream_tbENKUlT_T0_SG_SL_E_clISA_SA_SB_SB_EEDaSZ_S10_SG_SL_EUlSZ_E_NS1_11comp_targetILNS1_3genE4ELNS1_11target_archE910ELNS1_3gpuE8ELNS1_3repE0EEENS1_47radix_sort_onesweep_sort_config_static_selectorELNS0_4arch9wavefront6targetE0EEEvSG_
		.amdhsa_group_segment_fixed_size 0
		.amdhsa_private_segment_fixed_size 0
		.amdhsa_kernarg_size 88
		.amdhsa_user_sgpr_count 2
		.amdhsa_user_sgpr_dispatch_ptr 0
		.amdhsa_user_sgpr_queue_ptr 0
		.amdhsa_user_sgpr_kernarg_segment_ptr 1
		.amdhsa_user_sgpr_dispatch_id 0
		.amdhsa_user_sgpr_kernarg_preload_length 0
		.amdhsa_user_sgpr_kernarg_preload_offset 0
		.amdhsa_user_sgpr_private_segment_size 0
		.amdhsa_wavefront_size32 1
		.amdhsa_uses_dynamic_stack 0
		.amdhsa_enable_private_segment 0
		.amdhsa_system_sgpr_workgroup_id_x 1
		.amdhsa_system_sgpr_workgroup_id_y 0
		.amdhsa_system_sgpr_workgroup_id_z 0
		.amdhsa_system_sgpr_workgroup_info 0
		.amdhsa_system_vgpr_workitem_id 0
		.amdhsa_next_free_vgpr 1
		.amdhsa_next_free_sgpr 1
		.amdhsa_named_barrier_count 0
		.amdhsa_reserve_vcc 0
		.amdhsa_float_round_mode_32 0
		.amdhsa_float_round_mode_16_64 0
		.amdhsa_float_denorm_mode_32 3
		.amdhsa_float_denorm_mode_16_64 3
		.amdhsa_fp16_overflow 0
		.amdhsa_memory_ordered 1
		.amdhsa_forward_progress 1
		.amdhsa_inst_pref_size 0
		.amdhsa_round_robin_scheduling 0
		.amdhsa_exception_fp_ieee_invalid_op 0
		.amdhsa_exception_fp_denorm_src 0
		.amdhsa_exception_fp_ieee_div_zero 0
		.amdhsa_exception_fp_ieee_overflow 0
		.amdhsa_exception_fp_ieee_underflow 0
		.amdhsa_exception_fp_ieee_inexact 0
		.amdhsa_exception_int_div_zero 0
	.end_amdhsa_kernel
	.section	.text._ZN7rocprim17ROCPRIM_400000_NS6detail17trampoline_kernelINS0_14default_configENS1_35radix_sort_onesweep_config_selectorImNS0_10empty_typeEEEZZNS1_29radix_sort_onesweep_iterationIS3_Lb1EPKmPmPS5_SB_mNS0_19identity_decomposerENS1_16block_id_wrapperIjLb1EEEEE10hipError_tT1_PNSt15iterator_traitsISG_E10value_typeET2_T3_PNSH_ISM_E10value_typeET4_T5_PSR_SS_PNS1_23onesweep_lookback_stateEbbT6_jjT7_P12ihipStream_tbENKUlT_T0_SG_SL_E_clISA_SA_SB_SB_EEDaSZ_S10_SG_SL_EUlSZ_E_NS1_11comp_targetILNS1_3genE4ELNS1_11target_archE910ELNS1_3gpuE8ELNS1_3repE0EEENS1_47radix_sort_onesweep_sort_config_static_selectorELNS0_4arch9wavefront6targetE0EEEvSG_,"axG",@progbits,_ZN7rocprim17ROCPRIM_400000_NS6detail17trampoline_kernelINS0_14default_configENS1_35radix_sort_onesweep_config_selectorImNS0_10empty_typeEEEZZNS1_29radix_sort_onesweep_iterationIS3_Lb1EPKmPmPS5_SB_mNS0_19identity_decomposerENS1_16block_id_wrapperIjLb1EEEEE10hipError_tT1_PNSt15iterator_traitsISG_E10value_typeET2_T3_PNSH_ISM_E10value_typeET4_T5_PSR_SS_PNS1_23onesweep_lookback_stateEbbT6_jjT7_P12ihipStream_tbENKUlT_T0_SG_SL_E_clISA_SA_SB_SB_EEDaSZ_S10_SG_SL_EUlSZ_E_NS1_11comp_targetILNS1_3genE4ELNS1_11target_archE910ELNS1_3gpuE8ELNS1_3repE0EEENS1_47radix_sort_onesweep_sort_config_static_selectorELNS0_4arch9wavefront6targetE0EEEvSG_,comdat
.Lfunc_end2893:
	.size	_ZN7rocprim17ROCPRIM_400000_NS6detail17trampoline_kernelINS0_14default_configENS1_35radix_sort_onesweep_config_selectorImNS0_10empty_typeEEEZZNS1_29radix_sort_onesweep_iterationIS3_Lb1EPKmPmPS5_SB_mNS0_19identity_decomposerENS1_16block_id_wrapperIjLb1EEEEE10hipError_tT1_PNSt15iterator_traitsISG_E10value_typeET2_T3_PNSH_ISM_E10value_typeET4_T5_PSR_SS_PNS1_23onesweep_lookback_stateEbbT6_jjT7_P12ihipStream_tbENKUlT_T0_SG_SL_E_clISA_SA_SB_SB_EEDaSZ_S10_SG_SL_EUlSZ_E_NS1_11comp_targetILNS1_3genE4ELNS1_11target_archE910ELNS1_3gpuE8ELNS1_3repE0EEENS1_47radix_sort_onesweep_sort_config_static_selectorELNS0_4arch9wavefront6targetE0EEEvSG_, .Lfunc_end2893-_ZN7rocprim17ROCPRIM_400000_NS6detail17trampoline_kernelINS0_14default_configENS1_35radix_sort_onesweep_config_selectorImNS0_10empty_typeEEEZZNS1_29radix_sort_onesweep_iterationIS3_Lb1EPKmPmPS5_SB_mNS0_19identity_decomposerENS1_16block_id_wrapperIjLb1EEEEE10hipError_tT1_PNSt15iterator_traitsISG_E10value_typeET2_T3_PNSH_ISM_E10value_typeET4_T5_PSR_SS_PNS1_23onesweep_lookback_stateEbbT6_jjT7_P12ihipStream_tbENKUlT_T0_SG_SL_E_clISA_SA_SB_SB_EEDaSZ_S10_SG_SL_EUlSZ_E_NS1_11comp_targetILNS1_3genE4ELNS1_11target_archE910ELNS1_3gpuE8ELNS1_3repE0EEENS1_47radix_sort_onesweep_sort_config_static_selectorELNS0_4arch9wavefront6targetE0EEEvSG_
                                        ; -- End function
	.set _ZN7rocprim17ROCPRIM_400000_NS6detail17trampoline_kernelINS0_14default_configENS1_35radix_sort_onesweep_config_selectorImNS0_10empty_typeEEEZZNS1_29radix_sort_onesweep_iterationIS3_Lb1EPKmPmPS5_SB_mNS0_19identity_decomposerENS1_16block_id_wrapperIjLb1EEEEE10hipError_tT1_PNSt15iterator_traitsISG_E10value_typeET2_T3_PNSH_ISM_E10value_typeET4_T5_PSR_SS_PNS1_23onesweep_lookback_stateEbbT6_jjT7_P12ihipStream_tbENKUlT_T0_SG_SL_E_clISA_SA_SB_SB_EEDaSZ_S10_SG_SL_EUlSZ_E_NS1_11comp_targetILNS1_3genE4ELNS1_11target_archE910ELNS1_3gpuE8ELNS1_3repE0EEENS1_47radix_sort_onesweep_sort_config_static_selectorELNS0_4arch9wavefront6targetE0EEEvSG_.num_vgpr, 0
	.set _ZN7rocprim17ROCPRIM_400000_NS6detail17trampoline_kernelINS0_14default_configENS1_35radix_sort_onesweep_config_selectorImNS0_10empty_typeEEEZZNS1_29radix_sort_onesweep_iterationIS3_Lb1EPKmPmPS5_SB_mNS0_19identity_decomposerENS1_16block_id_wrapperIjLb1EEEEE10hipError_tT1_PNSt15iterator_traitsISG_E10value_typeET2_T3_PNSH_ISM_E10value_typeET4_T5_PSR_SS_PNS1_23onesweep_lookback_stateEbbT6_jjT7_P12ihipStream_tbENKUlT_T0_SG_SL_E_clISA_SA_SB_SB_EEDaSZ_S10_SG_SL_EUlSZ_E_NS1_11comp_targetILNS1_3genE4ELNS1_11target_archE910ELNS1_3gpuE8ELNS1_3repE0EEENS1_47radix_sort_onesweep_sort_config_static_selectorELNS0_4arch9wavefront6targetE0EEEvSG_.num_agpr, 0
	.set _ZN7rocprim17ROCPRIM_400000_NS6detail17trampoline_kernelINS0_14default_configENS1_35radix_sort_onesweep_config_selectorImNS0_10empty_typeEEEZZNS1_29radix_sort_onesweep_iterationIS3_Lb1EPKmPmPS5_SB_mNS0_19identity_decomposerENS1_16block_id_wrapperIjLb1EEEEE10hipError_tT1_PNSt15iterator_traitsISG_E10value_typeET2_T3_PNSH_ISM_E10value_typeET4_T5_PSR_SS_PNS1_23onesweep_lookback_stateEbbT6_jjT7_P12ihipStream_tbENKUlT_T0_SG_SL_E_clISA_SA_SB_SB_EEDaSZ_S10_SG_SL_EUlSZ_E_NS1_11comp_targetILNS1_3genE4ELNS1_11target_archE910ELNS1_3gpuE8ELNS1_3repE0EEENS1_47radix_sort_onesweep_sort_config_static_selectorELNS0_4arch9wavefront6targetE0EEEvSG_.numbered_sgpr, 0
	.set _ZN7rocprim17ROCPRIM_400000_NS6detail17trampoline_kernelINS0_14default_configENS1_35radix_sort_onesweep_config_selectorImNS0_10empty_typeEEEZZNS1_29radix_sort_onesweep_iterationIS3_Lb1EPKmPmPS5_SB_mNS0_19identity_decomposerENS1_16block_id_wrapperIjLb1EEEEE10hipError_tT1_PNSt15iterator_traitsISG_E10value_typeET2_T3_PNSH_ISM_E10value_typeET4_T5_PSR_SS_PNS1_23onesweep_lookback_stateEbbT6_jjT7_P12ihipStream_tbENKUlT_T0_SG_SL_E_clISA_SA_SB_SB_EEDaSZ_S10_SG_SL_EUlSZ_E_NS1_11comp_targetILNS1_3genE4ELNS1_11target_archE910ELNS1_3gpuE8ELNS1_3repE0EEENS1_47radix_sort_onesweep_sort_config_static_selectorELNS0_4arch9wavefront6targetE0EEEvSG_.num_named_barrier, 0
	.set _ZN7rocprim17ROCPRIM_400000_NS6detail17trampoline_kernelINS0_14default_configENS1_35radix_sort_onesweep_config_selectorImNS0_10empty_typeEEEZZNS1_29radix_sort_onesweep_iterationIS3_Lb1EPKmPmPS5_SB_mNS0_19identity_decomposerENS1_16block_id_wrapperIjLb1EEEEE10hipError_tT1_PNSt15iterator_traitsISG_E10value_typeET2_T3_PNSH_ISM_E10value_typeET4_T5_PSR_SS_PNS1_23onesweep_lookback_stateEbbT6_jjT7_P12ihipStream_tbENKUlT_T0_SG_SL_E_clISA_SA_SB_SB_EEDaSZ_S10_SG_SL_EUlSZ_E_NS1_11comp_targetILNS1_3genE4ELNS1_11target_archE910ELNS1_3gpuE8ELNS1_3repE0EEENS1_47radix_sort_onesweep_sort_config_static_selectorELNS0_4arch9wavefront6targetE0EEEvSG_.private_seg_size, 0
	.set _ZN7rocprim17ROCPRIM_400000_NS6detail17trampoline_kernelINS0_14default_configENS1_35radix_sort_onesweep_config_selectorImNS0_10empty_typeEEEZZNS1_29radix_sort_onesweep_iterationIS3_Lb1EPKmPmPS5_SB_mNS0_19identity_decomposerENS1_16block_id_wrapperIjLb1EEEEE10hipError_tT1_PNSt15iterator_traitsISG_E10value_typeET2_T3_PNSH_ISM_E10value_typeET4_T5_PSR_SS_PNS1_23onesweep_lookback_stateEbbT6_jjT7_P12ihipStream_tbENKUlT_T0_SG_SL_E_clISA_SA_SB_SB_EEDaSZ_S10_SG_SL_EUlSZ_E_NS1_11comp_targetILNS1_3genE4ELNS1_11target_archE910ELNS1_3gpuE8ELNS1_3repE0EEENS1_47radix_sort_onesweep_sort_config_static_selectorELNS0_4arch9wavefront6targetE0EEEvSG_.uses_vcc, 0
	.set _ZN7rocprim17ROCPRIM_400000_NS6detail17trampoline_kernelINS0_14default_configENS1_35radix_sort_onesweep_config_selectorImNS0_10empty_typeEEEZZNS1_29radix_sort_onesweep_iterationIS3_Lb1EPKmPmPS5_SB_mNS0_19identity_decomposerENS1_16block_id_wrapperIjLb1EEEEE10hipError_tT1_PNSt15iterator_traitsISG_E10value_typeET2_T3_PNSH_ISM_E10value_typeET4_T5_PSR_SS_PNS1_23onesweep_lookback_stateEbbT6_jjT7_P12ihipStream_tbENKUlT_T0_SG_SL_E_clISA_SA_SB_SB_EEDaSZ_S10_SG_SL_EUlSZ_E_NS1_11comp_targetILNS1_3genE4ELNS1_11target_archE910ELNS1_3gpuE8ELNS1_3repE0EEENS1_47radix_sort_onesweep_sort_config_static_selectorELNS0_4arch9wavefront6targetE0EEEvSG_.uses_flat_scratch, 0
	.set _ZN7rocprim17ROCPRIM_400000_NS6detail17trampoline_kernelINS0_14default_configENS1_35radix_sort_onesweep_config_selectorImNS0_10empty_typeEEEZZNS1_29radix_sort_onesweep_iterationIS3_Lb1EPKmPmPS5_SB_mNS0_19identity_decomposerENS1_16block_id_wrapperIjLb1EEEEE10hipError_tT1_PNSt15iterator_traitsISG_E10value_typeET2_T3_PNSH_ISM_E10value_typeET4_T5_PSR_SS_PNS1_23onesweep_lookback_stateEbbT6_jjT7_P12ihipStream_tbENKUlT_T0_SG_SL_E_clISA_SA_SB_SB_EEDaSZ_S10_SG_SL_EUlSZ_E_NS1_11comp_targetILNS1_3genE4ELNS1_11target_archE910ELNS1_3gpuE8ELNS1_3repE0EEENS1_47radix_sort_onesweep_sort_config_static_selectorELNS0_4arch9wavefront6targetE0EEEvSG_.has_dyn_sized_stack, 0
	.set _ZN7rocprim17ROCPRIM_400000_NS6detail17trampoline_kernelINS0_14default_configENS1_35radix_sort_onesweep_config_selectorImNS0_10empty_typeEEEZZNS1_29radix_sort_onesweep_iterationIS3_Lb1EPKmPmPS5_SB_mNS0_19identity_decomposerENS1_16block_id_wrapperIjLb1EEEEE10hipError_tT1_PNSt15iterator_traitsISG_E10value_typeET2_T3_PNSH_ISM_E10value_typeET4_T5_PSR_SS_PNS1_23onesweep_lookback_stateEbbT6_jjT7_P12ihipStream_tbENKUlT_T0_SG_SL_E_clISA_SA_SB_SB_EEDaSZ_S10_SG_SL_EUlSZ_E_NS1_11comp_targetILNS1_3genE4ELNS1_11target_archE910ELNS1_3gpuE8ELNS1_3repE0EEENS1_47radix_sort_onesweep_sort_config_static_selectorELNS0_4arch9wavefront6targetE0EEEvSG_.has_recursion, 0
	.set _ZN7rocprim17ROCPRIM_400000_NS6detail17trampoline_kernelINS0_14default_configENS1_35radix_sort_onesweep_config_selectorImNS0_10empty_typeEEEZZNS1_29radix_sort_onesweep_iterationIS3_Lb1EPKmPmPS5_SB_mNS0_19identity_decomposerENS1_16block_id_wrapperIjLb1EEEEE10hipError_tT1_PNSt15iterator_traitsISG_E10value_typeET2_T3_PNSH_ISM_E10value_typeET4_T5_PSR_SS_PNS1_23onesweep_lookback_stateEbbT6_jjT7_P12ihipStream_tbENKUlT_T0_SG_SL_E_clISA_SA_SB_SB_EEDaSZ_S10_SG_SL_EUlSZ_E_NS1_11comp_targetILNS1_3genE4ELNS1_11target_archE910ELNS1_3gpuE8ELNS1_3repE0EEENS1_47radix_sort_onesweep_sort_config_static_selectorELNS0_4arch9wavefront6targetE0EEEvSG_.has_indirect_call, 0
	.section	.AMDGPU.csdata,"",@progbits
; Kernel info:
; codeLenInByte = 0
; TotalNumSgprs: 0
; NumVgprs: 0
; ScratchSize: 0
; MemoryBound: 0
; FloatMode: 240
; IeeeMode: 1
; LDSByteSize: 0 bytes/workgroup (compile time only)
; SGPRBlocks: 0
; VGPRBlocks: 0
; NumSGPRsForWavesPerEU: 1
; NumVGPRsForWavesPerEU: 1
; NamedBarCnt: 0
; Occupancy: 16
; WaveLimiterHint : 0
; COMPUTE_PGM_RSRC2:SCRATCH_EN: 0
; COMPUTE_PGM_RSRC2:USER_SGPR: 2
; COMPUTE_PGM_RSRC2:TRAP_HANDLER: 0
; COMPUTE_PGM_RSRC2:TGID_X_EN: 1
; COMPUTE_PGM_RSRC2:TGID_Y_EN: 0
; COMPUTE_PGM_RSRC2:TGID_Z_EN: 0
; COMPUTE_PGM_RSRC2:TIDIG_COMP_CNT: 0
	.section	.text._ZN7rocprim17ROCPRIM_400000_NS6detail17trampoline_kernelINS0_14default_configENS1_35radix_sort_onesweep_config_selectorImNS0_10empty_typeEEEZZNS1_29radix_sort_onesweep_iterationIS3_Lb1EPKmPmPS5_SB_mNS0_19identity_decomposerENS1_16block_id_wrapperIjLb1EEEEE10hipError_tT1_PNSt15iterator_traitsISG_E10value_typeET2_T3_PNSH_ISM_E10value_typeET4_T5_PSR_SS_PNS1_23onesweep_lookback_stateEbbT6_jjT7_P12ihipStream_tbENKUlT_T0_SG_SL_E_clISA_SA_SB_SB_EEDaSZ_S10_SG_SL_EUlSZ_E_NS1_11comp_targetILNS1_3genE3ELNS1_11target_archE908ELNS1_3gpuE7ELNS1_3repE0EEENS1_47radix_sort_onesweep_sort_config_static_selectorELNS0_4arch9wavefront6targetE0EEEvSG_,"axG",@progbits,_ZN7rocprim17ROCPRIM_400000_NS6detail17trampoline_kernelINS0_14default_configENS1_35radix_sort_onesweep_config_selectorImNS0_10empty_typeEEEZZNS1_29radix_sort_onesweep_iterationIS3_Lb1EPKmPmPS5_SB_mNS0_19identity_decomposerENS1_16block_id_wrapperIjLb1EEEEE10hipError_tT1_PNSt15iterator_traitsISG_E10value_typeET2_T3_PNSH_ISM_E10value_typeET4_T5_PSR_SS_PNS1_23onesweep_lookback_stateEbbT6_jjT7_P12ihipStream_tbENKUlT_T0_SG_SL_E_clISA_SA_SB_SB_EEDaSZ_S10_SG_SL_EUlSZ_E_NS1_11comp_targetILNS1_3genE3ELNS1_11target_archE908ELNS1_3gpuE7ELNS1_3repE0EEENS1_47radix_sort_onesweep_sort_config_static_selectorELNS0_4arch9wavefront6targetE0EEEvSG_,comdat
	.protected	_ZN7rocprim17ROCPRIM_400000_NS6detail17trampoline_kernelINS0_14default_configENS1_35radix_sort_onesweep_config_selectorImNS0_10empty_typeEEEZZNS1_29radix_sort_onesweep_iterationIS3_Lb1EPKmPmPS5_SB_mNS0_19identity_decomposerENS1_16block_id_wrapperIjLb1EEEEE10hipError_tT1_PNSt15iterator_traitsISG_E10value_typeET2_T3_PNSH_ISM_E10value_typeET4_T5_PSR_SS_PNS1_23onesweep_lookback_stateEbbT6_jjT7_P12ihipStream_tbENKUlT_T0_SG_SL_E_clISA_SA_SB_SB_EEDaSZ_S10_SG_SL_EUlSZ_E_NS1_11comp_targetILNS1_3genE3ELNS1_11target_archE908ELNS1_3gpuE7ELNS1_3repE0EEENS1_47radix_sort_onesweep_sort_config_static_selectorELNS0_4arch9wavefront6targetE0EEEvSG_ ; -- Begin function _ZN7rocprim17ROCPRIM_400000_NS6detail17trampoline_kernelINS0_14default_configENS1_35radix_sort_onesweep_config_selectorImNS0_10empty_typeEEEZZNS1_29radix_sort_onesweep_iterationIS3_Lb1EPKmPmPS5_SB_mNS0_19identity_decomposerENS1_16block_id_wrapperIjLb1EEEEE10hipError_tT1_PNSt15iterator_traitsISG_E10value_typeET2_T3_PNSH_ISM_E10value_typeET4_T5_PSR_SS_PNS1_23onesweep_lookback_stateEbbT6_jjT7_P12ihipStream_tbENKUlT_T0_SG_SL_E_clISA_SA_SB_SB_EEDaSZ_S10_SG_SL_EUlSZ_E_NS1_11comp_targetILNS1_3genE3ELNS1_11target_archE908ELNS1_3gpuE7ELNS1_3repE0EEENS1_47radix_sort_onesweep_sort_config_static_selectorELNS0_4arch9wavefront6targetE0EEEvSG_
	.globl	_ZN7rocprim17ROCPRIM_400000_NS6detail17trampoline_kernelINS0_14default_configENS1_35radix_sort_onesweep_config_selectorImNS0_10empty_typeEEEZZNS1_29radix_sort_onesweep_iterationIS3_Lb1EPKmPmPS5_SB_mNS0_19identity_decomposerENS1_16block_id_wrapperIjLb1EEEEE10hipError_tT1_PNSt15iterator_traitsISG_E10value_typeET2_T3_PNSH_ISM_E10value_typeET4_T5_PSR_SS_PNS1_23onesweep_lookback_stateEbbT6_jjT7_P12ihipStream_tbENKUlT_T0_SG_SL_E_clISA_SA_SB_SB_EEDaSZ_S10_SG_SL_EUlSZ_E_NS1_11comp_targetILNS1_3genE3ELNS1_11target_archE908ELNS1_3gpuE7ELNS1_3repE0EEENS1_47radix_sort_onesweep_sort_config_static_selectorELNS0_4arch9wavefront6targetE0EEEvSG_
	.p2align	8
	.type	_ZN7rocprim17ROCPRIM_400000_NS6detail17trampoline_kernelINS0_14default_configENS1_35radix_sort_onesweep_config_selectorImNS0_10empty_typeEEEZZNS1_29radix_sort_onesweep_iterationIS3_Lb1EPKmPmPS5_SB_mNS0_19identity_decomposerENS1_16block_id_wrapperIjLb1EEEEE10hipError_tT1_PNSt15iterator_traitsISG_E10value_typeET2_T3_PNSH_ISM_E10value_typeET4_T5_PSR_SS_PNS1_23onesweep_lookback_stateEbbT6_jjT7_P12ihipStream_tbENKUlT_T0_SG_SL_E_clISA_SA_SB_SB_EEDaSZ_S10_SG_SL_EUlSZ_E_NS1_11comp_targetILNS1_3genE3ELNS1_11target_archE908ELNS1_3gpuE7ELNS1_3repE0EEENS1_47radix_sort_onesweep_sort_config_static_selectorELNS0_4arch9wavefront6targetE0EEEvSG_,@function
_ZN7rocprim17ROCPRIM_400000_NS6detail17trampoline_kernelINS0_14default_configENS1_35radix_sort_onesweep_config_selectorImNS0_10empty_typeEEEZZNS1_29radix_sort_onesweep_iterationIS3_Lb1EPKmPmPS5_SB_mNS0_19identity_decomposerENS1_16block_id_wrapperIjLb1EEEEE10hipError_tT1_PNSt15iterator_traitsISG_E10value_typeET2_T3_PNSH_ISM_E10value_typeET4_T5_PSR_SS_PNS1_23onesweep_lookback_stateEbbT6_jjT7_P12ihipStream_tbENKUlT_T0_SG_SL_E_clISA_SA_SB_SB_EEDaSZ_S10_SG_SL_EUlSZ_E_NS1_11comp_targetILNS1_3genE3ELNS1_11target_archE908ELNS1_3gpuE7ELNS1_3repE0EEENS1_47radix_sort_onesweep_sort_config_static_selectorELNS0_4arch9wavefront6targetE0EEEvSG_: ; @_ZN7rocprim17ROCPRIM_400000_NS6detail17trampoline_kernelINS0_14default_configENS1_35radix_sort_onesweep_config_selectorImNS0_10empty_typeEEEZZNS1_29radix_sort_onesweep_iterationIS3_Lb1EPKmPmPS5_SB_mNS0_19identity_decomposerENS1_16block_id_wrapperIjLb1EEEEE10hipError_tT1_PNSt15iterator_traitsISG_E10value_typeET2_T3_PNSH_ISM_E10value_typeET4_T5_PSR_SS_PNS1_23onesweep_lookback_stateEbbT6_jjT7_P12ihipStream_tbENKUlT_T0_SG_SL_E_clISA_SA_SB_SB_EEDaSZ_S10_SG_SL_EUlSZ_E_NS1_11comp_targetILNS1_3genE3ELNS1_11target_archE908ELNS1_3gpuE7ELNS1_3repE0EEENS1_47radix_sort_onesweep_sort_config_static_selectorELNS0_4arch9wavefront6targetE0EEEvSG_
; %bb.0:
	.section	.rodata,"a",@progbits
	.p2align	6, 0x0
	.amdhsa_kernel _ZN7rocprim17ROCPRIM_400000_NS6detail17trampoline_kernelINS0_14default_configENS1_35radix_sort_onesweep_config_selectorImNS0_10empty_typeEEEZZNS1_29radix_sort_onesweep_iterationIS3_Lb1EPKmPmPS5_SB_mNS0_19identity_decomposerENS1_16block_id_wrapperIjLb1EEEEE10hipError_tT1_PNSt15iterator_traitsISG_E10value_typeET2_T3_PNSH_ISM_E10value_typeET4_T5_PSR_SS_PNS1_23onesweep_lookback_stateEbbT6_jjT7_P12ihipStream_tbENKUlT_T0_SG_SL_E_clISA_SA_SB_SB_EEDaSZ_S10_SG_SL_EUlSZ_E_NS1_11comp_targetILNS1_3genE3ELNS1_11target_archE908ELNS1_3gpuE7ELNS1_3repE0EEENS1_47radix_sort_onesweep_sort_config_static_selectorELNS0_4arch9wavefront6targetE0EEEvSG_
		.amdhsa_group_segment_fixed_size 0
		.amdhsa_private_segment_fixed_size 0
		.amdhsa_kernarg_size 88
		.amdhsa_user_sgpr_count 2
		.amdhsa_user_sgpr_dispatch_ptr 0
		.amdhsa_user_sgpr_queue_ptr 0
		.amdhsa_user_sgpr_kernarg_segment_ptr 1
		.amdhsa_user_sgpr_dispatch_id 0
		.amdhsa_user_sgpr_kernarg_preload_length 0
		.amdhsa_user_sgpr_kernarg_preload_offset 0
		.amdhsa_user_sgpr_private_segment_size 0
		.amdhsa_wavefront_size32 1
		.amdhsa_uses_dynamic_stack 0
		.amdhsa_enable_private_segment 0
		.amdhsa_system_sgpr_workgroup_id_x 1
		.amdhsa_system_sgpr_workgroup_id_y 0
		.amdhsa_system_sgpr_workgroup_id_z 0
		.amdhsa_system_sgpr_workgroup_info 0
		.amdhsa_system_vgpr_workitem_id 0
		.amdhsa_next_free_vgpr 1
		.amdhsa_next_free_sgpr 1
		.amdhsa_named_barrier_count 0
		.amdhsa_reserve_vcc 0
		.amdhsa_float_round_mode_32 0
		.amdhsa_float_round_mode_16_64 0
		.amdhsa_float_denorm_mode_32 3
		.amdhsa_float_denorm_mode_16_64 3
		.amdhsa_fp16_overflow 0
		.amdhsa_memory_ordered 1
		.amdhsa_forward_progress 1
		.amdhsa_inst_pref_size 0
		.amdhsa_round_robin_scheduling 0
		.amdhsa_exception_fp_ieee_invalid_op 0
		.amdhsa_exception_fp_denorm_src 0
		.amdhsa_exception_fp_ieee_div_zero 0
		.amdhsa_exception_fp_ieee_overflow 0
		.amdhsa_exception_fp_ieee_underflow 0
		.amdhsa_exception_fp_ieee_inexact 0
		.amdhsa_exception_int_div_zero 0
	.end_amdhsa_kernel
	.section	.text._ZN7rocprim17ROCPRIM_400000_NS6detail17trampoline_kernelINS0_14default_configENS1_35radix_sort_onesweep_config_selectorImNS0_10empty_typeEEEZZNS1_29radix_sort_onesweep_iterationIS3_Lb1EPKmPmPS5_SB_mNS0_19identity_decomposerENS1_16block_id_wrapperIjLb1EEEEE10hipError_tT1_PNSt15iterator_traitsISG_E10value_typeET2_T3_PNSH_ISM_E10value_typeET4_T5_PSR_SS_PNS1_23onesweep_lookback_stateEbbT6_jjT7_P12ihipStream_tbENKUlT_T0_SG_SL_E_clISA_SA_SB_SB_EEDaSZ_S10_SG_SL_EUlSZ_E_NS1_11comp_targetILNS1_3genE3ELNS1_11target_archE908ELNS1_3gpuE7ELNS1_3repE0EEENS1_47radix_sort_onesweep_sort_config_static_selectorELNS0_4arch9wavefront6targetE0EEEvSG_,"axG",@progbits,_ZN7rocprim17ROCPRIM_400000_NS6detail17trampoline_kernelINS0_14default_configENS1_35radix_sort_onesweep_config_selectorImNS0_10empty_typeEEEZZNS1_29radix_sort_onesweep_iterationIS3_Lb1EPKmPmPS5_SB_mNS0_19identity_decomposerENS1_16block_id_wrapperIjLb1EEEEE10hipError_tT1_PNSt15iterator_traitsISG_E10value_typeET2_T3_PNSH_ISM_E10value_typeET4_T5_PSR_SS_PNS1_23onesweep_lookback_stateEbbT6_jjT7_P12ihipStream_tbENKUlT_T0_SG_SL_E_clISA_SA_SB_SB_EEDaSZ_S10_SG_SL_EUlSZ_E_NS1_11comp_targetILNS1_3genE3ELNS1_11target_archE908ELNS1_3gpuE7ELNS1_3repE0EEENS1_47radix_sort_onesweep_sort_config_static_selectorELNS0_4arch9wavefront6targetE0EEEvSG_,comdat
.Lfunc_end2894:
	.size	_ZN7rocprim17ROCPRIM_400000_NS6detail17trampoline_kernelINS0_14default_configENS1_35radix_sort_onesweep_config_selectorImNS0_10empty_typeEEEZZNS1_29radix_sort_onesweep_iterationIS3_Lb1EPKmPmPS5_SB_mNS0_19identity_decomposerENS1_16block_id_wrapperIjLb1EEEEE10hipError_tT1_PNSt15iterator_traitsISG_E10value_typeET2_T3_PNSH_ISM_E10value_typeET4_T5_PSR_SS_PNS1_23onesweep_lookback_stateEbbT6_jjT7_P12ihipStream_tbENKUlT_T0_SG_SL_E_clISA_SA_SB_SB_EEDaSZ_S10_SG_SL_EUlSZ_E_NS1_11comp_targetILNS1_3genE3ELNS1_11target_archE908ELNS1_3gpuE7ELNS1_3repE0EEENS1_47radix_sort_onesweep_sort_config_static_selectorELNS0_4arch9wavefront6targetE0EEEvSG_, .Lfunc_end2894-_ZN7rocprim17ROCPRIM_400000_NS6detail17trampoline_kernelINS0_14default_configENS1_35radix_sort_onesweep_config_selectorImNS0_10empty_typeEEEZZNS1_29radix_sort_onesweep_iterationIS3_Lb1EPKmPmPS5_SB_mNS0_19identity_decomposerENS1_16block_id_wrapperIjLb1EEEEE10hipError_tT1_PNSt15iterator_traitsISG_E10value_typeET2_T3_PNSH_ISM_E10value_typeET4_T5_PSR_SS_PNS1_23onesweep_lookback_stateEbbT6_jjT7_P12ihipStream_tbENKUlT_T0_SG_SL_E_clISA_SA_SB_SB_EEDaSZ_S10_SG_SL_EUlSZ_E_NS1_11comp_targetILNS1_3genE3ELNS1_11target_archE908ELNS1_3gpuE7ELNS1_3repE0EEENS1_47radix_sort_onesweep_sort_config_static_selectorELNS0_4arch9wavefront6targetE0EEEvSG_
                                        ; -- End function
	.set _ZN7rocprim17ROCPRIM_400000_NS6detail17trampoline_kernelINS0_14default_configENS1_35radix_sort_onesweep_config_selectorImNS0_10empty_typeEEEZZNS1_29radix_sort_onesweep_iterationIS3_Lb1EPKmPmPS5_SB_mNS0_19identity_decomposerENS1_16block_id_wrapperIjLb1EEEEE10hipError_tT1_PNSt15iterator_traitsISG_E10value_typeET2_T3_PNSH_ISM_E10value_typeET4_T5_PSR_SS_PNS1_23onesweep_lookback_stateEbbT6_jjT7_P12ihipStream_tbENKUlT_T0_SG_SL_E_clISA_SA_SB_SB_EEDaSZ_S10_SG_SL_EUlSZ_E_NS1_11comp_targetILNS1_3genE3ELNS1_11target_archE908ELNS1_3gpuE7ELNS1_3repE0EEENS1_47radix_sort_onesweep_sort_config_static_selectorELNS0_4arch9wavefront6targetE0EEEvSG_.num_vgpr, 0
	.set _ZN7rocprim17ROCPRIM_400000_NS6detail17trampoline_kernelINS0_14default_configENS1_35radix_sort_onesweep_config_selectorImNS0_10empty_typeEEEZZNS1_29radix_sort_onesweep_iterationIS3_Lb1EPKmPmPS5_SB_mNS0_19identity_decomposerENS1_16block_id_wrapperIjLb1EEEEE10hipError_tT1_PNSt15iterator_traitsISG_E10value_typeET2_T3_PNSH_ISM_E10value_typeET4_T5_PSR_SS_PNS1_23onesweep_lookback_stateEbbT6_jjT7_P12ihipStream_tbENKUlT_T0_SG_SL_E_clISA_SA_SB_SB_EEDaSZ_S10_SG_SL_EUlSZ_E_NS1_11comp_targetILNS1_3genE3ELNS1_11target_archE908ELNS1_3gpuE7ELNS1_3repE0EEENS1_47radix_sort_onesweep_sort_config_static_selectorELNS0_4arch9wavefront6targetE0EEEvSG_.num_agpr, 0
	.set _ZN7rocprim17ROCPRIM_400000_NS6detail17trampoline_kernelINS0_14default_configENS1_35radix_sort_onesweep_config_selectorImNS0_10empty_typeEEEZZNS1_29radix_sort_onesweep_iterationIS3_Lb1EPKmPmPS5_SB_mNS0_19identity_decomposerENS1_16block_id_wrapperIjLb1EEEEE10hipError_tT1_PNSt15iterator_traitsISG_E10value_typeET2_T3_PNSH_ISM_E10value_typeET4_T5_PSR_SS_PNS1_23onesweep_lookback_stateEbbT6_jjT7_P12ihipStream_tbENKUlT_T0_SG_SL_E_clISA_SA_SB_SB_EEDaSZ_S10_SG_SL_EUlSZ_E_NS1_11comp_targetILNS1_3genE3ELNS1_11target_archE908ELNS1_3gpuE7ELNS1_3repE0EEENS1_47radix_sort_onesweep_sort_config_static_selectorELNS0_4arch9wavefront6targetE0EEEvSG_.numbered_sgpr, 0
	.set _ZN7rocprim17ROCPRIM_400000_NS6detail17trampoline_kernelINS0_14default_configENS1_35radix_sort_onesweep_config_selectorImNS0_10empty_typeEEEZZNS1_29radix_sort_onesweep_iterationIS3_Lb1EPKmPmPS5_SB_mNS0_19identity_decomposerENS1_16block_id_wrapperIjLb1EEEEE10hipError_tT1_PNSt15iterator_traitsISG_E10value_typeET2_T3_PNSH_ISM_E10value_typeET4_T5_PSR_SS_PNS1_23onesweep_lookback_stateEbbT6_jjT7_P12ihipStream_tbENKUlT_T0_SG_SL_E_clISA_SA_SB_SB_EEDaSZ_S10_SG_SL_EUlSZ_E_NS1_11comp_targetILNS1_3genE3ELNS1_11target_archE908ELNS1_3gpuE7ELNS1_3repE0EEENS1_47radix_sort_onesweep_sort_config_static_selectorELNS0_4arch9wavefront6targetE0EEEvSG_.num_named_barrier, 0
	.set _ZN7rocprim17ROCPRIM_400000_NS6detail17trampoline_kernelINS0_14default_configENS1_35radix_sort_onesweep_config_selectorImNS0_10empty_typeEEEZZNS1_29radix_sort_onesweep_iterationIS3_Lb1EPKmPmPS5_SB_mNS0_19identity_decomposerENS1_16block_id_wrapperIjLb1EEEEE10hipError_tT1_PNSt15iterator_traitsISG_E10value_typeET2_T3_PNSH_ISM_E10value_typeET4_T5_PSR_SS_PNS1_23onesweep_lookback_stateEbbT6_jjT7_P12ihipStream_tbENKUlT_T0_SG_SL_E_clISA_SA_SB_SB_EEDaSZ_S10_SG_SL_EUlSZ_E_NS1_11comp_targetILNS1_3genE3ELNS1_11target_archE908ELNS1_3gpuE7ELNS1_3repE0EEENS1_47radix_sort_onesweep_sort_config_static_selectorELNS0_4arch9wavefront6targetE0EEEvSG_.private_seg_size, 0
	.set _ZN7rocprim17ROCPRIM_400000_NS6detail17trampoline_kernelINS0_14default_configENS1_35radix_sort_onesweep_config_selectorImNS0_10empty_typeEEEZZNS1_29radix_sort_onesweep_iterationIS3_Lb1EPKmPmPS5_SB_mNS0_19identity_decomposerENS1_16block_id_wrapperIjLb1EEEEE10hipError_tT1_PNSt15iterator_traitsISG_E10value_typeET2_T3_PNSH_ISM_E10value_typeET4_T5_PSR_SS_PNS1_23onesweep_lookback_stateEbbT6_jjT7_P12ihipStream_tbENKUlT_T0_SG_SL_E_clISA_SA_SB_SB_EEDaSZ_S10_SG_SL_EUlSZ_E_NS1_11comp_targetILNS1_3genE3ELNS1_11target_archE908ELNS1_3gpuE7ELNS1_3repE0EEENS1_47radix_sort_onesweep_sort_config_static_selectorELNS0_4arch9wavefront6targetE0EEEvSG_.uses_vcc, 0
	.set _ZN7rocprim17ROCPRIM_400000_NS6detail17trampoline_kernelINS0_14default_configENS1_35radix_sort_onesweep_config_selectorImNS0_10empty_typeEEEZZNS1_29radix_sort_onesweep_iterationIS3_Lb1EPKmPmPS5_SB_mNS0_19identity_decomposerENS1_16block_id_wrapperIjLb1EEEEE10hipError_tT1_PNSt15iterator_traitsISG_E10value_typeET2_T3_PNSH_ISM_E10value_typeET4_T5_PSR_SS_PNS1_23onesweep_lookback_stateEbbT6_jjT7_P12ihipStream_tbENKUlT_T0_SG_SL_E_clISA_SA_SB_SB_EEDaSZ_S10_SG_SL_EUlSZ_E_NS1_11comp_targetILNS1_3genE3ELNS1_11target_archE908ELNS1_3gpuE7ELNS1_3repE0EEENS1_47radix_sort_onesweep_sort_config_static_selectorELNS0_4arch9wavefront6targetE0EEEvSG_.uses_flat_scratch, 0
	.set _ZN7rocprim17ROCPRIM_400000_NS6detail17trampoline_kernelINS0_14default_configENS1_35radix_sort_onesweep_config_selectorImNS0_10empty_typeEEEZZNS1_29radix_sort_onesweep_iterationIS3_Lb1EPKmPmPS5_SB_mNS0_19identity_decomposerENS1_16block_id_wrapperIjLb1EEEEE10hipError_tT1_PNSt15iterator_traitsISG_E10value_typeET2_T3_PNSH_ISM_E10value_typeET4_T5_PSR_SS_PNS1_23onesweep_lookback_stateEbbT6_jjT7_P12ihipStream_tbENKUlT_T0_SG_SL_E_clISA_SA_SB_SB_EEDaSZ_S10_SG_SL_EUlSZ_E_NS1_11comp_targetILNS1_3genE3ELNS1_11target_archE908ELNS1_3gpuE7ELNS1_3repE0EEENS1_47radix_sort_onesweep_sort_config_static_selectorELNS0_4arch9wavefront6targetE0EEEvSG_.has_dyn_sized_stack, 0
	.set _ZN7rocprim17ROCPRIM_400000_NS6detail17trampoline_kernelINS0_14default_configENS1_35radix_sort_onesweep_config_selectorImNS0_10empty_typeEEEZZNS1_29radix_sort_onesweep_iterationIS3_Lb1EPKmPmPS5_SB_mNS0_19identity_decomposerENS1_16block_id_wrapperIjLb1EEEEE10hipError_tT1_PNSt15iterator_traitsISG_E10value_typeET2_T3_PNSH_ISM_E10value_typeET4_T5_PSR_SS_PNS1_23onesweep_lookback_stateEbbT6_jjT7_P12ihipStream_tbENKUlT_T0_SG_SL_E_clISA_SA_SB_SB_EEDaSZ_S10_SG_SL_EUlSZ_E_NS1_11comp_targetILNS1_3genE3ELNS1_11target_archE908ELNS1_3gpuE7ELNS1_3repE0EEENS1_47radix_sort_onesweep_sort_config_static_selectorELNS0_4arch9wavefront6targetE0EEEvSG_.has_recursion, 0
	.set _ZN7rocprim17ROCPRIM_400000_NS6detail17trampoline_kernelINS0_14default_configENS1_35radix_sort_onesweep_config_selectorImNS0_10empty_typeEEEZZNS1_29radix_sort_onesweep_iterationIS3_Lb1EPKmPmPS5_SB_mNS0_19identity_decomposerENS1_16block_id_wrapperIjLb1EEEEE10hipError_tT1_PNSt15iterator_traitsISG_E10value_typeET2_T3_PNSH_ISM_E10value_typeET4_T5_PSR_SS_PNS1_23onesweep_lookback_stateEbbT6_jjT7_P12ihipStream_tbENKUlT_T0_SG_SL_E_clISA_SA_SB_SB_EEDaSZ_S10_SG_SL_EUlSZ_E_NS1_11comp_targetILNS1_3genE3ELNS1_11target_archE908ELNS1_3gpuE7ELNS1_3repE0EEENS1_47radix_sort_onesweep_sort_config_static_selectorELNS0_4arch9wavefront6targetE0EEEvSG_.has_indirect_call, 0
	.section	.AMDGPU.csdata,"",@progbits
; Kernel info:
; codeLenInByte = 0
; TotalNumSgprs: 0
; NumVgprs: 0
; ScratchSize: 0
; MemoryBound: 0
; FloatMode: 240
; IeeeMode: 1
; LDSByteSize: 0 bytes/workgroup (compile time only)
; SGPRBlocks: 0
; VGPRBlocks: 0
; NumSGPRsForWavesPerEU: 1
; NumVGPRsForWavesPerEU: 1
; NamedBarCnt: 0
; Occupancy: 16
; WaveLimiterHint : 0
; COMPUTE_PGM_RSRC2:SCRATCH_EN: 0
; COMPUTE_PGM_RSRC2:USER_SGPR: 2
; COMPUTE_PGM_RSRC2:TRAP_HANDLER: 0
; COMPUTE_PGM_RSRC2:TGID_X_EN: 1
; COMPUTE_PGM_RSRC2:TGID_Y_EN: 0
; COMPUTE_PGM_RSRC2:TGID_Z_EN: 0
; COMPUTE_PGM_RSRC2:TIDIG_COMP_CNT: 0
	.section	.text._ZN7rocprim17ROCPRIM_400000_NS6detail17trampoline_kernelINS0_14default_configENS1_35radix_sort_onesweep_config_selectorImNS0_10empty_typeEEEZZNS1_29radix_sort_onesweep_iterationIS3_Lb1EPKmPmPS5_SB_mNS0_19identity_decomposerENS1_16block_id_wrapperIjLb1EEEEE10hipError_tT1_PNSt15iterator_traitsISG_E10value_typeET2_T3_PNSH_ISM_E10value_typeET4_T5_PSR_SS_PNS1_23onesweep_lookback_stateEbbT6_jjT7_P12ihipStream_tbENKUlT_T0_SG_SL_E_clISA_SA_SB_SB_EEDaSZ_S10_SG_SL_EUlSZ_E_NS1_11comp_targetILNS1_3genE10ELNS1_11target_archE1201ELNS1_3gpuE5ELNS1_3repE0EEENS1_47radix_sort_onesweep_sort_config_static_selectorELNS0_4arch9wavefront6targetE0EEEvSG_,"axG",@progbits,_ZN7rocprim17ROCPRIM_400000_NS6detail17trampoline_kernelINS0_14default_configENS1_35radix_sort_onesweep_config_selectorImNS0_10empty_typeEEEZZNS1_29radix_sort_onesweep_iterationIS3_Lb1EPKmPmPS5_SB_mNS0_19identity_decomposerENS1_16block_id_wrapperIjLb1EEEEE10hipError_tT1_PNSt15iterator_traitsISG_E10value_typeET2_T3_PNSH_ISM_E10value_typeET4_T5_PSR_SS_PNS1_23onesweep_lookback_stateEbbT6_jjT7_P12ihipStream_tbENKUlT_T0_SG_SL_E_clISA_SA_SB_SB_EEDaSZ_S10_SG_SL_EUlSZ_E_NS1_11comp_targetILNS1_3genE10ELNS1_11target_archE1201ELNS1_3gpuE5ELNS1_3repE0EEENS1_47radix_sort_onesweep_sort_config_static_selectorELNS0_4arch9wavefront6targetE0EEEvSG_,comdat
	.protected	_ZN7rocprim17ROCPRIM_400000_NS6detail17trampoline_kernelINS0_14default_configENS1_35radix_sort_onesweep_config_selectorImNS0_10empty_typeEEEZZNS1_29radix_sort_onesweep_iterationIS3_Lb1EPKmPmPS5_SB_mNS0_19identity_decomposerENS1_16block_id_wrapperIjLb1EEEEE10hipError_tT1_PNSt15iterator_traitsISG_E10value_typeET2_T3_PNSH_ISM_E10value_typeET4_T5_PSR_SS_PNS1_23onesweep_lookback_stateEbbT6_jjT7_P12ihipStream_tbENKUlT_T0_SG_SL_E_clISA_SA_SB_SB_EEDaSZ_S10_SG_SL_EUlSZ_E_NS1_11comp_targetILNS1_3genE10ELNS1_11target_archE1201ELNS1_3gpuE5ELNS1_3repE0EEENS1_47radix_sort_onesweep_sort_config_static_selectorELNS0_4arch9wavefront6targetE0EEEvSG_ ; -- Begin function _ZN7rocprim17ROCPRIM_400000_NS6detail17trampoline_kernelINS0_14default_configENS1_35radix_sort_onesweep_config_selectorImNS0_10empty_typeEEEZZNS1_29radix_sort_onesweep_iterationIS3_Lb1EPKmPmPS5_SB_mNS0_19identity_decomposerENS1_16block_id_wrapperIjLb1EEEEE10hipError_tT1_PNSt15iterator_traitsISG_E10value_typeET2_T3_PNSH_ISM_E10value_typeET4_T5_PSR_SS_PNS1_23onesweep_lookback_stateEbbT6_jjT7_P12ihipStream_tbENKUlT_T0_SG_SL_E_clISA_SA_SB_SB_EEDaSZ_S10_SG_SL_EUlSZ_E_NS1_11comp_targetILNS1_3genE10ELNS1_11target_archE1201ELNS1_3gpuE5ELNS1_3repE0EEENS1_47radix_sort_onesweep_sort_config_static_selectorELNS0_4arch9wavefront6targetE0EEEvSG_
	.globl	_ZN7rocprim17ROCPRIM_400000_NS6detail17trampoline_kernelINS0_14default_configENS1_35radix_sort_onesweep_config_selectorImNS0_10empty_typeEEEZZNS1_29radix_sort_onesweep_iterationIS3_Lb1EPKmPmPS5_SB_mNS0_19identity_decomposerENS1_16block_id_wrapperIjLb1EEEEE10hipError_tT1_PNSt15iterator_traitsISG_E10value_typeET2_T3_PNSH_ISM_E10value_typeET4_T5_PSR_SS_PNS1_23onesweep_lookback_stateEbbT6_jjT7_P12ihipStream_tbENKUlT_T0_SG_SL_E_clISA_SA_SB_SB_EEDaSZ_S10_SG_SL_EUlSZ_E_NS1_11comp_targetILNS1_3genE10ELNS1_11target_archE1201ELNS1_3gpuE5ELNS1_3repE0EEENS1_47radix_sort_onesweep_sort_config_static_selectorELNS0_4arch9wavefront6targetE0EEEvSG_
	.p2align	8
	.type	_ZN7rocprim17ROCPRIM_400000_NS6detail17trampoline_kernelINS0_14default_configENS1_35radix_sort_onesweep_config_selectorImNS0_10empty_typeEEEZZNS1_29radix_sort_onesweep_iterationIS3_Lb1EPKmPmPS5_SB_mNS0_19identity_decomposerENS1_16block_id_wrapperIjLb1EEEEE10hipError_tT1_PNSt15iterator_traitsISG_E10value_typeET2_T3_PNSH_ISM_E10value_typeET4_T5_PSR_SS_PNS1_23onesweep_lookback_stateEbbT6_jjT7_P12ihipStream_tbENKUlT_T0_SG_SL_E_clISA_SA_SB_SB_EEDaSZ_S10_SG_SL_EUlSZ_E_NS1_11comp_targetILNS1_3genE10ELNS1_11target_archE1201ELNS1_3gpuE5ELNS1_3repE0EEENS1_47radix_sort_onesweep_sort_config_static_selectorELNS0_4arch9wavefront6targetE0EEEvSG_,@function
_ZN7rocprim17ROCPRIM_400000_NS6detail17trampoline_kernelINS0_14default_configENS1_35radix_sort_onesweep_config_selectorImNS0_10empty_typeEEEZZNS1_29radix_sort_onesweep_iterationIS3_Lb1EPKmPmPS5_SB_mNS0_19identity_decomposerENS1_16block_id_wrapperIjLb1EEEEE10hipError_tT1_PNSt15iterator_traitsISG_E10value_typeET2_T3_PNSH_ISM_E10value_typeET4_T5_PSR_SS_PNS1_23onesweep_lookback_stateEbbT6_jjT7_P12ihipStream_tbENKUlT_T0_SG_SL_E_clISA_SA_SB_SB_EEDaSZ_S10_SG_SL_EUlSZ_E_NS1_11comp_targetILNS1_3genE10ELNS1_11target_archE1201ELNS1_3gpuE5ELNS1_3repE0EEENS1_47radix_sort_onesweep_sort_config_static_selectorELNS0_4arch9wavefront6targetE0EEEvSG_: ; @_ZN7rocprim17ROCPRIM_400000_NS6detail17trampoline_kernelINS0_14default_configENS1_35radix_sort_onesweep_config_selectorImNS0_10empty_typeEEEZZNS1_29radix_sort_onesweep_iterationIS3_Lb1EPKmPmPS5_SB_mNS0_19identity_decomposerENS1_16block_id_wrapperIjLb1EEEEE10hipError_tT1_PNSt15iterator_traitsISG_E10value_typeET2_T3_PNSH_ISM_E10value_typeET4_T5_PSR_SS_PNS1_23onesweep_lookback_stateEbbT6_jjT7_P12ihipStream_tbENKUlT_T0_SG_SL_E_clISA_SA_SB_SB_EEDaSZ_S10_SG_SL_EUlSZ_E_NS1_11comp_targetILNS1_3genE10ELNS1_11target_archE1201ELNS1_3gpuE5ELNS1_3repE0EEENS1_47radix_sort_onesweep_sort_config_static_selectorELNS0_4arch9wavefront6targetE0EEEvSG_
; %bb.0:
	.section	.rodata,"a",@progbits
	.p2align	6, 0x0
	.amdhsa_kernel _ZN7rocprim17ROCPRIM_400000_NS6detail17trampoline_kernelINS0_14default_configENS1_35radix_sort_onesweep_config_selectorImNS0_10empty_typeEEEZZNS1_29radix_sort_onesweep_iterationIS3_Lb1EPKmPmPS5_SB_mNS0_19identity_decomposerENS1_16block_id_wrapperIjLb1EEEEE10hipError_tT1_PNSt15iterator_traitsISG_E10value_typeET2_T3_PNSH_ISM_E10value_typeET4_T5_PSR_SS_PNS1_23onesweep_lookback_stateEbbT6_jjT7_P12ihipStream_tbENKUlT_T0_SG_SL_E_clISA_SA_SB_SB_EEDaSZ_S10_SG_SL_EUlSZ_E_NS1_11comp_targetILNS1_3genE10ELNS1_11target_archE1201ELNS1_3gpuE5ELNS1_3repE0EEENS1_47radix_sort_onesweep_sort_config_static_selectorELNS0_4arch9wavefront6targetE0EEEvSG_
		.amdhsa_group_segment_fixed_size 0
		.amdhsa_private_segment_fixed_size 0
		.amdhsa_kernarg_size 88
		.amdhsa_user_sgpr_count 2
		.amdhsa_user_sgpr_dispatch_ptr 0
		.amdhsa_user_sgpr_queue_ptr 0
		.amdhsa_user_sgpr_kernarg_segment_ptr 1
		.amdhsa_user_sgpr_dispatch_id 0
		.amdhsa_user_sgpr_kernarg_preload_length 0
		.amdhsa_user_sgpr_kernarg_preload_offset 0
		.amdhsa_user_sgpr_private_segment_size 0
		.amdhsa_wavefront_size32 1
		.amdhsa_uses_dynamic_stack 0
		.amdhsa_enable_private_segment 0
		.amdhsa_system_sgpr_workgroup_id_x 1
		.amdhsa_system_sgpr_workgroup_id_y 0
		.amdhsa_system_sgpr_workgroup_id_z 0
		.amdhsa_system_sgpr_workgroup_info 0
		.amdhsa_system_vgpr_workitem_id 0
		.amdhsa_next_free_vgpr 1
		.amdhsa_next_free_sgpr 1
		.amdhsa_named_barrier_count 0
		.amdhsa_reserve_vcc 0
		.amdhsa_float_round_mode_32 0
		.amdhsa_float_round_mode_16_64 0
		.amdhsa_float_denorm_mode_32 3
		.amdhsa_float_denorm_mode_16_64 3
		.amdhsa_fp16_overflow 0
		.amdhsa_memory_ordered 1
		.amdhsa_forward_progress 1
		.amdhsa_inst_pref_size 0
		.amdhsa_round_robin_scheduling 0
		.amdhsa_exception_fp_ieee_invalid_op 0
		.amdhsa_exception_fp_denorm_src 0
		.amdhsa_exception_fp_ieee_div_zero 0
		.amdhsa_exception_fp_ieee_overflow 0
		.amdhsa_exception_fp_ieee_underflow 0
		.amdhsa_exception_fp_ieee_inexact 0
		.amdhsa_exception_int_div_zero 0
	.end_amdhsa_kernel
	.section	.text._ZN7rocprim17ROCPRIM_400000_NS6detail17trampoline_kernelINS0_14default_configENS1_35radix_sort_onesweep_config_selectorImNS0_10empty_typeEEEZZNS1_29radix_sort_onesweep_iterationIS3_Lb1EPKmPmPS5_SB_mNS0_19identity_decomposerENS1_16block_id_wrapperIjLb1EEEEE10hipError_tT1_PNSt15iterator_traitsISG_E10value_typeET2_T3_PNSH_ISM_E10value_typeET4_T5_PSR_SS_PNS1_23onesweep_lookback_stateEbbT6_jjT7_P12ihipStream_tbENKUlT_T0_SG_SL_E_clISA_SA_SB_SB_EEDaSZ_S10_SG_SL_EUlSZ_E_NS1_11comp_targetILNS1_3genE10ELNS1_11target_archE1201ELNS1_3gpuE5ELNS1_3repE0EEENS1_47radix_sort_onesweep_sort_config_static_selectorELNS0_4arch9wavefront6targetE0EEEvSG_,"axG",@progbits,_ZN7rocprim17ROCPRIM_400000_NS6detail17trampoline_kernelINS0_14default_configENS1_35radix_sort_onesweep_config_selectorImNS0_10empty_typeEEEZZNS1_29radix_sort_onesweep_iterationIS3_Lb1EPKmPmPS5_SB_mNS0_19identity_decomposerENS1_16block_id_wrapperIjLb1EEEEE10hipError_tT1_PNSt15iterator_traitsISG_E10value_typeET2_T3_PNSH_ISM_E10value_typeET4_T5_PSR_SS_PNS1_23onesweep_lookback_stateEbbT6_jjT7_P12ihipStream_tbENKUlT_T0_SG_SL_E_clISA_SA_SB_SB_EEDaSZ_S10_SG_SL_EUlSZ_E_NS1_11comp_targetILNS1_3genE10ELNS1_11target_archE1201ELNS1_3gpuE5ELNS1_3repE0EEENS1_47radix_sort_onesweep_sort_config_static_selectorELNS0_4arch9wavefront6targetE0EEEvSG_,comdat
.Lfunc_end2895:
	.size	_ZN7rocprim17ROCPRIM_400000_NS6detail17trampoline_kernelINS0_14default_configENS1_35radix_sort_onesweep_config_selectorImNS0_10empty_typeEEEZZNS1_29radix_sort_onesweep_iterationIS3_Lb1EPKmPmPS5_SB_mNS0_19identity_decomposerENS1_16block_id_wrapperIjLb1EEEEE10hipError_tT1_PNSt15iterator_traitsISG_E10value_typeET2_T3_PNSH_ISM_E10value_typeET4_T5_PSR_SS_PNS1_23onesweep_lookback_stateEbbT6_jjT7_P12ihipStream_tbENKUlT_T0_SG_SL_E_clISA_SA_SB_SB_EEDaSZ_S10_SG_SL_EUlSZ_E_NS1_11comp_targetILNS1_3genE10ELNS1_11target_archE1201ELNS1_3gpuE5ELNS1_3repE0EEENS1_47radix_sort_onesweep_sort_config_static_selectorELNS0_4arch9wavefront6targetE0EEEvSG_, .Lfunc_end2895-_ZN7rocprim17ROCPRIM_400000_NS6detail17trampoline_kernelINS0_14default_configENS1_35radix_sort_onesweep_config_selectorImNS0_10empty_typeEEEZZNS1_29radix_sort_onesweep_iterationIS3_Lb1EPKmPmPS5_SB_mNS0_19identity_decomposerENS1_16block_id_wrapperIjLb1EEEEE10hipError_tT1_PNSt15iterator_traitsISG_E10value_typeET2_T3_PNSH_ISM_E10value_typeET4_T5_PSR_SS_PNS1_23onesweep_lookback_stateEbbT6_jjT7_P12ihipStream_tbENKUlT_T0_SG_SL_E_clISA_SA_SB_SB_EEDaSZ_S10_SG_SL_EUlSZ_E_NS1_11comp_targetILNS1_3genE10ELNS1_11target_archE1201ELNS1_3gpuE5ELNS1_3repE0EEENS1_47radix_sort_onesweep_sort_config_static_selectorELNS0_4arch9wavefront6targetE0EEEvSG_
                                        ; -- End function
	.set _ZN7rocprim17ROCPRIM_400000_NS6detail17trampoline_kernelINS0_14default_configENS1_35radix_sort_onesweep_config_selectorImNS0_10empty_typeEEEZZNS1_29radix_sort_onesweep_iterationIS3_Lb1EPKmPmPS5_SB_mNS0_19identity_decomposerENS1_16block_id_wrapperIjLb1EEEEE10hipError_tT1_PNSt15iterator_traitsISG_E10value_typeET2_T3_PNSH_ISM_E10value_typeET4_T5_PSR_SS_PNS1_23onesweep_lookback_stateEbbT6_jjT7_P12ihipStream_tbENKUlT_T0_SG_SL_E_clISA_SA_SB_SB_EEDaSZ_S10_SG_SL_EUlSZ_E_NS1_11comp_targetILNS1_3genE10ELNS1_11target_archE1201ELNS1_3gpuE5ELNS1_3repE0EEENS1_47radix_sort_onesweep_sort_config_static_selectorELNS0_4arch9wavefront6targetE0EEEvSG_.num_vgpr, 0
	.set _ZN7rocprim17ROCPRIM_400000_NS6detail17trampoline_kernelINS0_14default_configENS1_35radix_sort_onesweep_config_selectorImNS0_10empty_typeEEEZZNS1_29radix_sort_onesweep_iterationIS3_Lb1EPKmPmPS5_SB_mNS0_19identity_decomposerENS1_16block_id_wrapperIjLb1EEEEE10hipError_tT1_PNSt15iterator_traitsISG_E10value_typeET2_T3_PNSH_ISM_E10value_typeET4_T5_PSR_SS_PNS1_23onesweep_lookback_stateEbbT6_jjT7_P12ihipStream_tbENKUlT_T0_SG_SL_E_clISA_SA_SB_SB_EEDaSZ_S10_SG_SL_EUlSZ_E_NS1_11comp_targetILNS1_3genE10ELNS1_11target_archE1201ELNS1_3gpuE5ELNS1_3repE0EEENS1_47radix_sort_onesweep_sort_config_static_selectorELNS0_4arch9wavefront6targetE0EEEvSG_.num_agpr, 0
	.set _ZN7rocprim17ROCPRIM_400000_NS6detail17trampoline_kernelINS0_14default_configENS1_35radix_sort_onesweep_config_selectorImNS0_10empty_typeEEEZZNS1_29radix_sort_onesweep_iterationIS3_Lb1EPKmPmPS5_SB_mNS0_19identity_decomposerENS1_16block_id_wrapperIjLb1EEEEE10hipError_tT1_PNSt15iterator_traitsISG_E10value_typeET2_T3_PNSH_ISM_E10value_typeET4_T5_PSR_SS_PNS1_23onesweep_lookback_stateEbbT6_jjT7_P12ihipStream_tbENKUlT_T0_SG_SL_E_clISA_SA_SB_SB_EEDaSZ_S10_SG_SL_EUlSZ_E_NS1_11comp_targetILNS1_3genE10ELNS1_11target_archE1201ELNS1_3gpuE5ELNS1_3repE0EEENS1_47radix_sort_onesweep_sort_config_static_selectorELNS0_4arch9wavefront6targetE0EEEvSG_.numbered_sgpr, 0
	.set _ZN7rocprim17ROCPRIM_400000_NS6detail17trampoline_kernelINS0_14default_configENS1_35radix_sort_onesweep_config_selectorImNS0_10empty_typeEEEZZNS1_29radix_sort_onesweep_iterationIS3_Lb1EPKmPmPS5_SB_mNS0_19identity_decomposerENS1_16block_id_wrapperIjLb1EEEEE10hipError_tT1_PNSt15iterator_traitsISG_E10value_typeET2_T3_PNSH_ISM_E10value_typeET4_T5_PSR_SS_PNS1_23onesweep_lookback_stateEbbT6_jjT7_P12ihipStream_tbENKUlT_T0_SG_SL_E_clISA_SA_SB_SB_EEDaSZ_S10_SG_SL_EUlSZ_E_NS1_11comp_targetILNS1_3genE10ELNS1_11target_archE1201ELNS1_3gpuE5ELNS1_3repE0EEENS1_47radix_sort_onesweep_sort_config_static_selectorELNS0_4arch9wavefront6targetE0EEEvSG_.num_named_barrier, 0
	.set _ZN7rocprim17ROCPRIM_400000_NS6detail17trampoline_kernelINS0_14default_configENS1_35radix_sort_onesweep_config_selectorImNS0_10empty_typeEEEZZNS1_29radix_sort_onesweep_iterationIS3_Lb1EPKmPmPS5_SB_mNS0_19identity_decomposerENS1_16block_id_wrapperIjLb1EEEEE10hipError_tT1_PNSt15iterator_traitsISG_E10value_typeET2_T3_PNSH_ISM_E10value_typeET4_T5_PSR_SS_PNS1_23onesweep_lookback_stateEbbT6_jjT7_P12ihipStream_tbENKUlT_T0_SG_SL_E_clISA_SA_SB_SB_EEDaSZ_S10_SG_SL_EUlSZ_E_NS1_11comp_targetILNS1_3genE10ELNS1_11target_archE1201ELNS1_3gpuE5ELNS1_3repE0EEENS1_47radix_sort_onesweep_sort_config_static_selectorELNS0_4arch9wavefront6targetE0EEEvSG_.private_seg_size, 0
	.set _ZN7rocprim17ROCPRIM_400000_NS6detail17trampoline_kernelINS0_14default_configENS1_35radix_sort_onesweep_config_selectorImNS0_10empty_typeEEEZZNS1_29radix_sort_onesweep_iterationIS3_Lb1EPKmPmPS5_SB_mNS0_19identity_decomposerENS1_16block_id_wrapperIjLb1EEEEE10hipError_tT1_PNSt15iterator_traitsISG_E10value_typeET2_T3_PNSH_ISM_E10value_typeET4_T5_PSR_SS_PNS1_23onesweep_lookback_stateEbbT6_jjT7_P12ihipStream_tbENKUlT_T0_SG_SL_E_clISA_SA_SB_SB_EEDaSZ_S10_SG_SL_EUlSZ_E_NS1_11comp_targetILNS1_3genE10ELNS1_11target_archE1201ELNS1_3gpuE5ELNS1_3repE0EEENS1_47radix_sort_onesweep_sort_config_static_selectorELNS0_4arch9wavefront6targetE0EEEvSG_.uses_vcc, 0
	.set _ZN7rocprim17ROCPRIM_400000_NS6detail17trampoline_kernelINS0_14default_configENS1_35radix_sort_onesweep_config_selectorImNS0_10empty_typeEEEZZNS1_29radix_sort_onesweep_iterationIS3_Lb1EPKmPmPS5_SB_mNS0_19identity_decomposerENS1_16block_id_wrapperIjLb1EEEEE10hipError_tT1_PNSt15iterator_traitsISG_E10value_typeET2_T3_PNSH_ISM_E10value_typeET4_T5_PSR_SS_PNS1_23onesweep_lookback_stateEbbT6_jjT7_P12ihipStream_tbENKUlT_T0_SG_SL_E_clISA_SA_SB_SB_EEDaSZ_S10_SG_SL_EUlSZ_E_NS1_11comp_targetILNS1_3genE10ELNS1_11target_archE1201ELNS1_3gpuE5ELNS1_3repE0EEENS1_47radix_sort_onesweep_sort_config_static_selectorELNS0_4arch9wavefront6targetE0EEEvSG_.uses_flat_scratch, 0
	.set _ZN7rocprim17ROCPRIM_400000_NS6detail17trampoline_kernelINS0_14default_configENS1_35radix_sort_onesweep_config_selectorImNS0_10empty_typeEEEZZNS1_29radix_sort_onesweep_iterationIS3_Lb1EPKmPmPS5_SB_mNS0_19identity_decomposerENS1_16block_id_wrapperIjLb1EEEEE10hipError_tT1_PNSt15iterator_traitsISG_E10value_typeET2_T3_PNSH_ISM_E10value_typeET4_T5_PSR_SS_PNS1_23onesweep_lookback_stateEbbT6_jjT7_P12ihipStream_tbENKUlT_T0_SG_SL_E_clISA_SA_SB_SB_EEDaSZ_S10_SG_SL_EUlSZ_E_NS1_11comp_targetILNS1_3genE10ELNS1_11target_archE1201ELNS1_3gpuE5ELNS1_3repE0EEENS1_47radix_sort_onesweep_sort_config_static_selectorELNS0_4arch9wavefront6targetE0EEEvSG_.has_dyn_sized_stack, 0
	.set _ZN7rocprim17ROCPRIM_400000_NS6detail17trampoline_kernelINS0_14default_configENS1_35radix_sort_onesweep_config_selectorImNS0_10empty_typeEEEZZNS1_29radix_sort_onesweep_iterationIS3_Lb1EPKmPmPS5_SB_mNS0_19identity_decomposerENS1_16block_id_wrapperIjLb1EEEEE10hipError_tT1_PNSt15iterator_traitsISG_E10value_typeET2_T3_PNSH_ISM_E10value_typeET4_T5_PSR_SS_PNS1_23onesweep_lookback_stateEbbT6_jjT7_P12ihipStream_tbENKUlT_T0_SG_SL_E_clISA_SA_SB_SB_EEDaSZ_S10_SG_SL_EUlSZ_E_NS1_11comp_targetILNS1_3genE10ELNS1_11target_archE1201ELNS1_3gpuE5ELNS1_3repE0EEENS1_47radix_sort_onesweep_sort_config_static_selectorELNS0_4arch9wavefront6targetE0EEEvSG_.has_recursion, 0
	.set _ZN7rocprim17ROCPRIM_400000_NS6detail17trampoline_kernelINS0_14default_configENS1_35radix_sort_onesweep_config_selectorImNS0_10empty_typeEEEZZNS1_29radix_sort_onesweep_iterationIS3_Lb1EPKmPmPS5_SB_mNS0_19identity_decomposerENS1_16block_id_wrapperIjLb1EEEEE10hipError_tT1_PNSt15iterator_traitsISG_E10value_typeET2_T3_PNSH_ISM_E10value_typeET4_T5_PSR_SS_PNS1_23onesweep_lookback_stateEbbT6_jjT7_P12ihipStream_tbENKUlT_T0_SG_SL_E_clISA_SA_SB_SB_EEDaSZ_S10_SG_SL_EUlSZ_E_NS1_11comp_targetILNS1_3genE10ELNS1_11target_archE1201ELNS1_3gpuE5ELNS1_3repE0EEENS1_47radix_sort_onesweep_sort_config_static_selectorELNS0_4arch9wavefront6targetE0EEEvSG_.has_indirect_call, 0
	.section	.AMDGPU.csdata,"",@progbits
; Kernel info:
; codeLenInByte = 0
; TotalNumSgprs: 0
; NumVgprs: 0
; ScratchSize: 0
; MemoryBound: 0
; FloatMode: 240
; IeeeMode: 1
; LDSByteSize: 0 bytes/workgroup (compile time only)
; SGPRBlocks: 0
; VGPRBlocks: 0
; NumSGPRsForWavesPerEU: 1
; NumVGPRsForWavesPerEU: 1
; NamedBarCnt: 0
; Occupancy: 16
; WaveLimiterHint : 0
; COMPUTE_PGM_RSRC2:SCRATCH_EN: 0
; COMPUTE_PGM_RSRC2:USER_SGPR: 2
; COMPUTE_PGM_RSRC2:TRAP_HANDLER: 0
; COMPUTE_PGM_RSRC2:TGID_X_EN: 1
; COMPUTE_PGM_RSRC2:TGID_Y_EN: 0
; COMPUTE_PGM_RSRC2:TGID_Z_EN: 0
; COMPUTE_PGM_RSRC2:TIDIG_COMP_CNT: 0
	.section	.text._ZN7rocprim17ROCPRIM_400000_NS6detail17trampoline_kernelINS0_14default_configENS1_35radix_sort_onesweep_config_selectorImNS0_10empty_typeEEEZZNS1_29radix_sort_onesweep_iterationIS3_Lb1EPKmPmPS5_SB_mNS0_19identity_decomposerENS1_16block_id_wrapperIjLb1EEEEE10hipError_tT1_PNSt15iterator_traitsISG_E10value_typeET2_T3_PNSH_ISM_E10value_typeET4_T5_PSR_SS_PNS1_23onesweep_lookback_stateEbbT6_jjT7_P12ihipStream_tbENKUlT_T0_SG_SL_E_clISA_SA_SB_SB_EEDaSZ_S10_SG_SL_EUlSZ_E_NS1_11comp_targetILNS1_3genE9ELNS1_11target_archE1100ELNS1_3gpuE3ELNS1_3repE0EEENS1_47radix_sort_onesweep_sort_config_static_selectorELNS0_4arch9wavefront6targetE0EEEvSG_,"axG",@progbits,_ZN7rocprim17ROCPRIM_400000_NS6detail17trampoline_kernelINS0_14default_configENS1_35radix_sort_onesweep_config_selectorImNS0_10empty_typeEEEZZNS1_29radix_sort_onesweep_iterationIS3_Lb1EPKmPmPS5_SB_mNS0_19identity_decomposerENS1_16block_id_wrapperIjLb1EEEEE10hipError_tT1_PNSt15iterator_traitsISG_E10value_typeET2_T3_PNSH_ISM_E10value_typeET4_T5_PSR_SS_PNS1_23onesweep_lookback_stateEbbT6_jjT7_P12ihipStream_tbENKUlT_T0_SG_SL_E_clISA_SA_SB_SB_EEDaSZ_S10_SG_SL_EUlSZ_E_NS1_11comp_targetILNS1_3genE9ELNS1_11target_archE1100ELNS1_3gpuE3ELNS1_3repE0EEENS1_47radix_sort_onesweep_sort_config_static_selectorELNS0_4arch9wavefront6targetE0EEEvSG_,comdat
	.protected	_ZN7rocprim17ROCPRIM_400000_NS6detail17trampoline_kernelINS0_14default_configENS1_35radix_sort_onesweep_config_selectorImNS0_10empty_typeEEEZZNS1_29radix_sort_onesweep_iterationIS3_Lb1EPKmPmPS5_SB_mNS0_19identity_decomposerENS1_16block_id_wrapperIjLb1EEEEE10hipError_tT1_PNSt15iterator_traitsISG_E10value_typeET2_T3_PNSH_ISM_E10value_typeET4_T5_PSR_SS_PNS1_23onesweep_lookback_stateEbbT6_jjT7_P12ihipStream_tbENKUlT_T0_SG_SL_E_clISA_SA_SB_SB_EEDaSZ_S10_SG_SL_EUlSZ_E_NS1_11comp_targetILNS1_3genE9ELNS1_11target_archE1100ELNS1_3gpuE3ELNS1_3repE0EEENS1_47radix_sort_onesweep_sort_config_static_selectorELNS0_4arch9wavefront6targetE0EEEvSG_ ; -- Begin function _ZN7rocprim17ROCPRIM_400000_NS6detail17trampoline_kernelINS0_14default_configENS1_35radix_sort_onesweep_config_selectorImNS0_10empty_typeEEEZZNS1_29radix_sort_onesweep_iterationIS3_Lb1EPKmPmPS5_SB_mNS0_19identity_decomposerENS1_16block_id_wrapperIjLb1EEEEE10hipError_tT1_PNSt15iterator_traitsISG_E10value_typeET2_T3_PNSH_ISM_E10value_typeET4_T5_PSR_SS_PNS1_23onesweep_lookback_stateEbbT6_jjT7_P12ihipStream_tbENKUlT_T0_SG_SL_E_clISA_SA_SB_SB_EEDaSZ_S10_SG_SL_EUlSZ_E_NS1_11comp_targetILNS1_3genE9ELNS1_11target_archE1100ELNS1_3gpuE3ELNS1_3repE0EEENS1_47radix_sort_onesweep_sort_config_static_selectorELNS0_4arch9wavefront6targetE0EEEvSG_
	.globl	_ZN7rocprim17ROCPRIM_400000_NS6detail17trampoline_kernelINS0_14default_configENS1_35radix_sort_onesweep_config_selectorImNS0_10empty_typeEEEZZNS1_29radix_sort_onesweep_iterationIS3_Lb1EPKmPmPS5_SB_mNS0_19identity_decomposerENS1_16block_id_wrapperIjLb1EEEEE10hipError_tT1_PNSt15iterator_traitsISG_E10value_typeET2_T3_PNSH_ISM_E10value_typeET4_T5_PSR_SS_PNS1_23onesweep_lookback_stateEbbT6_jjT7_P12ihipStream_tbENKUlT_T0_SG_SL_E_clISA_SA_SB_SB_EEDaSZ_S10_SG_SL_EUlSZ_E_NS1_11comp_targetILNS1_3genE9ELNS1_11target_archE1100ELNS1_3gpuE3ELNS1_3repE0EEENS1_47radix_sort_onesweep_sort_config_static_selectorELNS0_4arch9wavefront6targetE0EEEvSG_
	.p2align	8
	.type	_ZN7rocprim17ROCPRIM_400000_NS6detail17trampoline_kernelINS0_14default_configENS1_35radix_sort_onesweep_config_selectorImNS0_10empty_typeEEEZZNS1_29radix_sort_onesweep_iterationIS3_Lb1EPKmPmPS5_SB_mNS0_19identity_decomposerENS1_16block_id_wrapperIjLb1EEEEE10hipError_tT1_PNSt15iterator_traitsISG_E10value_typeET2_T3_PNSH_ISM_E10value_typeET4_T5_PSR_SS_PNS1_23onesweep_lookback_stateEbbT6_jjT7_P12ihipStream_tbENKUlT_T0_SG_SL_E_clISA_SA_SB_SB_EEDaSZ_S10_SG_SL_EUlSZ_E_NS1_11comp_targetILNS1_3genE9ELNS1_11target_archE1100ELNS1_3gpuE3ELNS1_3repE0EEENS1_47radix_sort_onesweep_sort_config_static_selectorELNS0_4arch9wavefront6targetE0EEEvSG_,@function
_ZN7rocprim17ROCPRIM_400000_NS6detail17trampoline_kernelINS0_14default_configENS1_35radix_sort_onesweep_config_selectorImNS0_10empty_typeEEEZZNS1_29radix_sort_onesweep_iterationIS3_Lb1EPKmPmPS5_SB_mNS0_19identity_decomposerENS1_16block_id_wrapperIjLb1EEEEE10hipError_tT1_PNSt15iterator_traitsISG_E10value_typeET2_T3_PNSH_ISM_E10value_typeET4_T5_PSR_SS_PNS1_23onesweep_lookback_stateEbbT6_jjT7_P12ihipStream_tbENKUlT_T0_SG_SL_E_clISA_SA_SB_SB_EEDaSZ_S10_SG_SL_EUlSZ_E_NS1_11comp_targetILNS1_3genE9ELNS1_11target_archE1100ELNS1_3gpuE3ELNS1_3repE0EEENS1_47radix_sort_onesweep_sort_config_static_selectorELNS0_4arch9wavefront6targetE0EEEvSG_: ; @_ZN7rocprim17ROCPRIM_400000_NS6detail17trampoline_kernelINS0_14default_configENS1_35radix_sort_onesweep_config_selectorImNS0_10empty_typeEEEZZNS1_29radix_sort_onesweep_iterationIS3_Lb1EPKmPmPS5_SB_mNS0_19identity_decomposerENS1_16block_id_wrapperIjLb1EEEEE10hipError_tT1_PNSt15iterator_traitsISG_E10value_typeET2_T3_PNSH_ISM_E10value_typeET4_T5_PSR_SS_PNS1_23onesweep_lookback_stateEbbT6_jjT7_P12ihipStream_tbENKUlT_T0_SG_SL_E_clISA_SA_SB_SB_EEDaSZ_S10_SG_SL_EUlSZ_E_NS1_11comp_targetILNS1_3genE9ELNS1_11target_archE1100ELNS1_3gpuE3ELNS1_3repE0EEENS1_47radix_sort_onesweep_sort_config_static_selectorELNS0_4arch9wavefront6targetE0EEEvSG_
; %bb.0:
	.section	.rodata,"a",@progbits
	.p2align	6, 0x0
	.amdhsa_kernel _ZN7rocprim17ROCPRIM_400000_NS6detail17trampoline_kernelINS0_14default_configENS1_35radix_sort_onesweep_config_selectorImNS0_10empty_typeEEEZZNS1_29radix_sort_onesweep_iterationIS3_Lb1EPKmPmPS5_SB_mNS0_19identity_decomposerENS1_16block_id_wrapperIjLb1EEEEE10hipError_tT1_PNSt15iterator_traitsISG_E10value_typeET2_T3_PNSH_ISM_E10value_typeET4_T5_PSR_SS_PNS1_23onesweep_lookback_stateEbbT6_jjT7_P12ihipStream_tbENKUlT_T0_SG_SL_E_clISA_SA_SB_SB_EEDaSZ_S10_SG_SL_EUlSZ_E_NS1_11comp_targetILNS1_3genE9ELNS1_11target_archE1100ELNS1_3gpuE3ELNS1_3repE0EEENS1_47radix_sort_onesweep_sort_config_static_selectorELNS0_4arch9wavefront6targetE0EEEvSG_
		.amdhsa_group_segment_fixed_size 0
		.amdhsa_private_segment_fixed_size 0
		.amdhsa_kernarg_size 88
		.amdhsa_user_sgpr_count 2
		.amdhsa_user_sgpr_dispatch_ptr 0
		.amdhsa_user_sgpr_queue_ptr 0
		.amdhsa_user_sgpr_kernarg_segment_ptr 1
		.amdhsa_user_sgpr_dispatch_id 0
		.amdhsa_user_sgpr_kernarg_preload_length 0
		.amdhsa_user_sgpr_kernarg_preload_offset 0
		.amdhsa_user_sgpr_private_segment_size 0
		.amdhsa_wavefront_size32 1
		.amdhsa_uses_dynamic_stack 0
		.amdhsa_enable_private_segment 0
		.amdhsa_system_sgpr_workgroup_id_x 1
		.amdhsa_system_sgpr_workgroup_id_y 0
		.amdhsa_system_sgpr_workgroup_id_z 0
		.amdhsa_system_sgpr_workgroup_info 0
		.amdhsa_system_vgpr_workitem_id 0
		.amdhsa_next_free_vgpr 1
		.amdhsa_next_free_sgpr 1
		.amdhsa_named_barrier_count 0
		.amdhsa_reserve_vcc 0
		.amdhsa_float_round_mode_32 0
		.amdhsa_float_round_mode_16_64 0
		.amdhsa_float_denorm_mode_32 3
		.amdhsa_float_denorm_mode_16_64 3
		.amdhsa_fp16_overflow 0
		.amdhsa_memory_ordered 1
		.amdhsa_forward_progress 1
		.amdhsa_inst_pref_size 0
		.amdhsa_round_robin_scheduling 0
		.amdhsa_exception_fp_ieee_invalid_op 0
		.amdhsa_exception_fp_denorm_src 0
		.amdhsa_exception_fp_ieee_div_zero 0
		.amdhsa_exception_fp_ieee_overflow 0
		.amdhsa_exception_fp_ieee_underflow 0
		.amdhsa_exception_fp_ieee_inexact 0
		.amdhsa_exception_int_div_zero 0
	.end_amdhsa_kernel
	.section	.text._ZN7rocprim17ROCPRIM_400000_NS6detail17trampoline_kernelINS0_14default_configENS1_35radix_sort_onesweep_config_selectorImNS0_10empty_typeEEEZZNS1_29radix_sort_onesweep_iterationIS3_Lb1EPKmPmPS5_SB_mNS0_19identity_decomposerENS1_16block_id_wrapperIjLb1EEEEE10hipError_tT1_PNSt15iterator_traitsISG_E10value_typeET2_T3_PNSH_ISM_E10value_typeET4_T5_PSR_SS_PNS1_23onesweep_lookback_stateEbbT6_jjT7_P12ihipStream_tbENKUlT_T0_SG_SL_E_clISA_SA_SB_SB_EEDaSZ_S10_SG_SL_EUlSZ_E_NS1_11comp_targetILNS1_3genE9ELNS1_11target_archE1100ELNS1_3gpuE3ELNS1_3repE0EEENS1_47radix_sort_onesweep_sort_config_static_selectorELNS0_4arch9wavefront6targetE0EEEvSG_,"axG",@progbits,_ZN7rocprim17ROCPRIM_400000_NS6detail17trampoline_kernelINS0_14default_configENS1_35radix_sort_onesweep_config_selectorImNS0_10empty_typeEEEZZNS1_29radix_sort_onesweep_iterationIS3_Lb1EPKmPmPS5_SB_mNS0_19identity_decomposerENS1_16block_id_wrapperIjLb1EEEEE10hipError_tT1_PNSt15iterator_traitsISG_E10value_typeET2_T3_PNSH_ISM_E10value_typeET4_T5_PSR_SS_PNS1_23onesweep_lookback_stateEbbT6_jjT7_P12ihipStream_tbENKUlT_T0_SG_SL_E_clISA_SA_SB_SB_EEDaSZ_S10_SG_SL_EUlSZ_E_NS1_11comp_targetILNS1_3genE9ELNS1_11target_archE1100ELNS1_3gpuE3ELNS1_3repE0EEENS1_47radix_sort_onesweep_sort_config_static_selectorELNS0_4arch9wavefront6targetE0EEEvSG_,comdat
.Lfunc_end2896:
	.size	_ZN7rocprim17ROCPRIM_400000_NS6detail17trampoline_kernelINS0_14default_configENS1_35radix_sort_onesweep_config_selectorImNS0_10empty_typeEEEZZNS1_29radix_sort_onesweep_iterationIS3_Lb1EPKmPmPS5_SB_mNS0_19identity_decomposerENS1_16block_id_wrapperIjLb1EEEEE10hipError_tT1_PNSt15iterator_traitsISG_E10value_typeET2_T3_PNSH_ISM_E10value_typeET4_T5_PSR_SS_PNS1_23onesweep_lookback_stateEbbT6_jjT7_P12ihipStream_tbENKUlT_T0_SG_SL_E_clISA_SA_SB_SB_EEDaSZ_S10_SG_SL_EUlSZ_E_NS1_11comp_targetILNS1_3genE9ELNS1_11target_archE1100ELNS1_3gpuE3ELNS1_3repE0EEENS1_47radix_sort_onesweep_sort_config_static_selectorELNS0_4arch9wavefront6targetE0EEEvSG_, .Lfunc_end2896-_ZN7rocprim17ROCPRIM_400000_NS6detail17trampoline_kernelINS0_14default_configENS1_35radix_sort_onesweep_config_selectorImNS0_10empty_typeEEEZZNS1_29radix_sort_onesweep_iterationIS3_Lb1EPKmPmPS5_SB_mNS0_19identity_decomposerENS1_16block_id_wrapperIjLb1EEEEE10hipError_tT1_PNSt15iterator_traitsISG_E10value_typeET2_T3_PNSH_ISM_E10value_typeET4_T5_PSR_SS_PNS1_23onesweep_lookback_stateEbbT6_jjT7_P12ihipStream_tbENKUlT_T0_SG_SL_E_clISA_SA_SB_SB_EEDaSZ_S10_SG_SL_EUlSZ_E_NS1_11comp_targetILNS1_3genE9ELNS1_11target_archE1100ELNS1_3gpuE3ELNS1_3repE0EEENS1_47radix_sort_onesweep_sort_config_static_selectorELNS0_4arch9wavefront6targetE0EEEvSG_
                                        ; -- End function
	.set _ZN7rocprim17ROCPRIM_400000_NS6detail17trampoline_kernelINS0_14default_configENS1_35radix_sort_onesweep_config_selectorImNS0_10empty_typeEEEZZNS1_29radix_sort_onesweep_iterationIS3_Lb1EPKmPmPS5_SB_mNS0_19identity_decomposerENS1_16block_id_wrapperIjLb1EEEEE10hipError_tT1_PNSt15iterator_traitsISG_E10value_typeET2_T3_PNSH_ISM_E10value_typeET4_T5_PSR_SS_PNS1_23onesweep_lookback_stateEbbT6_jjT7_P12ihipStream_tbENKUlT_T0_SG_SL_E_clISA_SA_SB_SB_EEDaSZ_S10_SG_SL_EUlSZ_E_NS1_11comp_targetILNS1_3genE9ELNS1_11target_archE1100ELNS1_3gpuE3ELNS1_3repE0EEENS1_47radix_sort_onesweep_sort_config_static_selectorELNS0_4arch9wavefront6targetE0EEEvSG_.num_vgpr, 0
	.set _ZN7rocprim17ROCPRIM_400000_NS6detail17trampoline_kernelINS0_14default_configENS1_35radix_sort_onesweep_config_selectorImNS0_10empty_typeEEEZZNS1_29radix_sort_onesweep_iterationIS3_Lb1EPKmPmPS5_SB_mNS0_19identity_decomposerENS1_16block_id_wrapperIjLb1EEEEE10hipError_tT1_PNSt15iterator_traitsISG_E10value_typeET2_T3_PNSH_ISM_E10value_typeET4_T5_PSR_SS_PNS1_23onesweep_lookback_stateEbbT6_jjT7_P12ihipStream_tbENKUlT_T0_SG_SL_E_clISA_SA_SB_SB_EEDaSZ_S10_SG_SL_EUlSZ_E_NS1_11comp_targetILNS1_3genE9ELNS1_11target_archE1100ELNS1_3gpuE3ELNS1_3repE0EEENS1_47radix_sort_onesweep_sort_config_static_selectorELNS0_4arch9wavefront6targetE0EEEvSG_.num_agpr, 0
	.set _ZN7rocprim17ROCPRIM_400000_NS6detail17trampoline_kernelINS0_14default_configENS1_35radix_sort_onesweep_config_selectorImNS0_10empty_typeEEEZZNS1_29radix_sort_onesweep_iterationIS3_Lb1EPKmPmPS5_SB_mNS0_19identity_decomposerENS1_16block_id_wrapperIjLb1EEEEE10hipError_tT1_PNSt15iterator_traitsISG_E10value_typeET2_T3_PNSH_ISM_E10value_typeET4_T5_PSR_SS_PNS1_23onesweep_lookback_stateEbbT6_jjT7_P12ihipStream_tbENKUlT_T0_SG_SL_E_clISA_SA_SB_SB_EEDaSZ_S10_SG_SL_EUlSZ_E_NS1_11comp_targetILNS1_3genE9ELNS1_11target_archE1100ELNS1_3gpuE3ELNS1_3repE0EEENS1_47radix_sort_onesweep_sort_config_static_selectorELNS0_4arch9wavefront6targetE0EEEvSG_.numbered_sgpr, 0
	.set _ZN7rocprim17ROCPRIM_400000_NS6detail17trampoline_kernelINS0_14default_configENS1_35radix_sort_onesweep_config_selectorImNS0_10empty_typeEEEZZNS1_29radix_sort_onesweep_iterationIS3_Lb1EPKmPmPS5_SB_mNS0_19identity_decomposerENS1_16block_id_wrapperIjLb1EEEEE10hipError_tT1_PNSt15iterator_traitsISG_E10value_typeET2_T3_PNSH_ISM_E10value_typeET4_T5_PSR_SS_PNS1_23onesweep_lookback_stateEbbT6_jjT7_P12ihipStream_tbENKUlT_T0_SG_SL_E_clISA_SA_SB_SB_EEDaSZ_S10_SG_SL_EUlSZ_E_NS1_11comp_targetILNS1_3genE9ELNS1_11target_archE1100ELNS1_3gpuE3ELNS1_3repE0EEENS1_47radix_sort_onesweep_sort_config_static_selectorELNS0_4arch9wavefront6targetE0EEEvSG_.num_named_barrier, 0
	.set _ZN7rocprim17ROCPRIM_400000_NS6detail17trampoline_kernelINS0_14default_configENS1_35radix_sort_onesweep_config_selectorImNS0_10empty_typeEEEZZNS1_29radix_sort_onesweep_iterationIS3_Lb1EPKmPmPS5_SB_mNS0_19identity_decomposerENS1_16block_id_wrapperIjLb1EEEEE10hipError_tT1_PNSt15iterator_traitsISG_E10value_typeET2_T3_PNSH_ISM_E10value_typeET4_T5_PSR_SS_PNS1_23onesweep_lookback_stateEbbT6_jjT7_P12ihipStream_tbENKUlT_T0_SG_SL_E_clISA_SA_SB_SB_EEDaSZ_S10_SG_SL_EUlSZ_E_NS1_11comp_targetILNS1_3genE9ELNS1_11target_archE1100ELNS1_3gpuE3ELNS1_3repE0EEENS1_47radix_sort_onesweep_sort_config_static_selectorELNS0_4arch9wavefront6targetE0EEEvSG_.private_seg_size, 0
	.set _ZN7rocprim17ROCPRIM_400000_NS6detail17trampoline_kernelINS0_14default_configENS1_35radix_sort_onesweep_config_selectorImNS0_10empty_typeEEEZZNS1_29radix_sort_onesweep_iterationIS3_Lb1EPKmPmPS5_SB_mNS0_19identity_decomposerENS1_16block_id_wrapperIjLb1EEEEE10hipError_tT1_PNSt15iterator_traitsISG_E10value_typeET2_T3_PNSH_ISM_E10value_typeET4_T5_PSR_SS_PNS1_23onesweep_lookback_stateEbbT6_jjT7_P12ihipStream_tbENKUlT_T0_SG_SL_E_clISA_SA_SB_SB_EEDaSZ_S10_SG_SL_EUlSZ_E_NS1_11comp_targetILNS1_3genE9ELNS1_11target_archE1100ELNS1_3gpuE3ELNS1_3repE0EEENS1_47radix_sort_onesweep_sort_config_static_selectorELNS0_4arch9wavefront6targetE0EEEvSG_.uses_vcc, 0
	.set _ZN7rocprim17ROCPRIM_400000_NS6detail17trampoline_kernelINS0_14default_configENS1_35radix_sort_onesweep_config_selectorImNS0_10empty_typeEEEZZNS1_29radix_sort_onesweep_iterationIS3_Lb1EPKmPmPS5_SB_mNS0_19identity_decomposerENS1_16block_id_wrapperIjLb1EEEEE10hipError_tT1_PNSt15iterator_traitsISG_E10value_typeET2_T3_PNSH_ISM_E10value_typeET4_T5_PSR_SS_PNS1_23onesweep_lookback_stateEbbT6_jjT7_P12ihipStream_tbENKUlT_T0_SG_SL_E_clISA_SA_SB_SB_EEDaSZ_S10_SG_SL_EUlSZ_E_NS1_11comp_targetILNS1_3genE9ELNS1_11target_archE1100ELNS1_3gpuE3ELNS1_3repE0EEENS1_47radix_sort_onesweep_sort_config_static_selectorELNS0_4arch9wavefront6targetE0EEEvSG_.uses_flat_scratch, 0
	.set _ZN7rocprim17ROCPRIM_400000_NS6detail17trampoline_kernelINS0_14default_configENS1_35radix_sort_onesweep_config_selectorImNS0_10empty_typeEEEZZNS1_29radix_sort_onesweep_iterationIS3_Lb1EPKmPmPS5_SB_mNS0_19identity_decomposerENS1_16block_id_wrapperIjLb1EEEEE10hipError_tT1_PNSt15iterator_traitsISG_E10value_typeET2_T3_PNSH_ISM_E10value_typeET4_T5_PSR_SS_PNS1_23onesweep_lookback_stateEbbT6_jjT7_P12ihipStream_tbENKUlT_T0_SG_SL_E_clISA_SA_SB_SB_EEDaSZ_S10_SG_SL_EUlSZ_E_NS1_11comp_targetILNS1_3genE9ELNS1_11target_archE1100ELNS1_3gpuE3ELNS1_3repE0EEENS1_47radix_sort_onesweep_sort_config_static_selectorELNS0_4arch9wavefront6targetE0EEEvSG_.has_dyn_sized_stack, 0
	.set _ZN7rocprim17ROCPRIM_400000_NS6detail17trampoline_kernelINS0_14default_configENS1_35radix_sort_onesweep_config_selectorImNS0_10empty_typeEEEZZNS1_29radix_sort_onesweep_iterationIS3_Lb1EPKmPmPS5_SB_mNS0_19identity_decomposerENS1_16block_id_wrapperIjLb1EEEEE10hipError_tT1_PNSt15iterator_traitsISG_E10value_typeET2_T3_PNSH_ISM_E10value_typeET4_T5_PSR_SS_PNS1_23onesweep_lookback_stateEbbT6_jjT7_P12ihipStream_tbENKUlT_T0_SG_SL_E_clISA_SA_SB_SB_EEDaSZ_S10_SG_SL_EUlSZ_E_NS1_11comp_targetILNS1_3genE9ELNS1_11target_archE1100ELNS1_3gpuE3ELNS1_3repE0EEENS1_47radix_sort_onesweep_sort_config_static_selectorELNS0_4arch9wavefront6targetE0EEEvSG_.has_recursion, 0
	.set _ZN7rocprim17ROCPRIM_400000_NS6detail17trampoline_kernelINS0_14default_configENS1_35radix_sort_onesweep_config_selectorImNS0_10empty_typeEEEZZNS1_29radix_sort_onesweep_iterationIS3_Lb1EPKmPmPS5_SB_mNS0_19identity_decomposerENS1_16block_id_wrapperIjLb1EEEEE10hipError_tT1_PNSt15iterator_traitsISG_E10value_typeET2_T3_PNSH_ISM_E10value_typeET4_T5_PSR_SS_PNS1_23onesweep_lookback_stateEbbT6_jjT7_P12ihipStream_tbENKUlT_T0_SG_SL_E_clISA_SA_SB_SB_EEDaSZ_S10_SG_SL_EUlSZ_E_NS1_11comp_targetILNS1_3genE9ELNS1_11target_archE1100ELNS1_3gpuE3ELNS1_3repE0EEENS1_47radix_sort_onesweep_sort_config_static_selectorELNS0_4arch9wavefront6targetE0EEEvSG_.has_indirect_call, 0
	.section	.AMDGPU.csdata,"",@progbits
; Kernel info:
; codeLenInByte = 0
; TotalNumSgprs: 0
; NumVgprs: 0
; ScratchSize: 0
; MemoryBound: 0
; FloatMode: 240
; IeeeMode: 1
; LDSByteSize: 0 bytes/workgroup (compile time only)
; SGPRBlocks: 0
; VGPRBlocks: 0
; NumSGPRsForWavesPerEU: 1
; NumVGPRsForWavesPerEU: 1
; NamedBarCnt: 0
; Occupancy: 16
; WaveLimiterHint : 0
; COMPUTE_PGM_RSRC2:SCRATCH_EN: 0
; COMPUTE_PGM_RSRC2:USER_SGPR: 2
; COMPUTE_PGM_RSRC2:TRAP_HANDLER: 0
; COMPUTE_PGM_RSRC2:TGID_X_EN: 1
; COMPUTE_PGM_RSRC2:TGID_Y_EN: 0
; COMPUTE_PGM_RSRC2:TGID_Z_EN: 0
; COMPUTE_PGM_RSRC2:TIDIG_COMP_CNT: 0
	.section	.text._ZN7rocprim17ROCPRIM_400000_NS6detail17trampoline_kernelINS0_14default_configENS1_35radix_sort_onesweep_config_selectorImNS0_10empty_typeEEEZZNS1_29radix_sort_onesweep_iterationIS3_Lb1EPKmPmPS5_SB_mNS0_19identity_decomposerENS1_16block_id_wrapperIjLb1EEEEE10hipError_tT1_PNSt15iterator_traitsISG_E10value_typeET2_T3_PNSH_ISM_E10value_typeET4_T5_PSR_SS_PNS1_23onesweep_lookback_stateEbbT6_jjT7_P12ihipStream_tbENKUlT_T0_SG_SL_E_clISA_SA_SB_SB_EEDaSZ_S10_SG_SL_EUlSZ_E_NS1_11comp_targetILNS1_3genE8ELNS1_11target_archE1030ELNS1_3gpuE2ELNS1_3repE0EEENS1_47radix_sort_onesweep_sort_config_static_selectorELNS0_4arch9wavefront6targetE0EEEvSG_,"axG",@progbits,_ZN7rocprim17ROCPRIM_400000_NS6detail17trampoline_kernelINS0_14default_configENS1_35radix_sort_onesweep_config_selectorImNS0_10empty_typeEEEZZNS1_29radix_sort_onesweep_iterationIS3_Lb1EPKmPmPS5_SB_mNS0_19identity_decomposerENS1_16block_id_wrapperIjLb1EEEEE10hipError_tT1_PNSt15iterator_traitsISG_E10value_typeET2_T3_PNSH_ISM_E10value_typeET4_T5_PSR_SS_PNS1_23onesweep_lookback_stateEbbT6_jjT7_P12ihipStream_tbENKUlT_T0_SG_SL_E_clISA_SA_SB_SB_EEDaSZ_S10_SG_SL_EUlSZ_E_NS1_11comp_targetILNS1_3genE8ELNS1_11target_archE1030ELNS1_3gpuE2ELNS1_3repE0EEENS1_47radix_sort_onesweep_sort_config_static_selectorELNS0_4arch9wavefront6targetE0EEEvSG_,comdat
	.protected	_ZN7rocprim17ROCPRIM_400000_NS6detail17trampoline_kernelINS0_14default_configENS1_35radix_sort_onesweep_config_selectorImNS0_10empty_typeEEEZZNS1_29radix_sort_onesweep_iterationIS3_Lb1EPKmPmPS5_SB_mNS0_19identity_decomposerENS1_16block_id_wrapperIjLb1EEEEE10hipError_tT1_PNSt15iterator_traitsISG_E10value_typeET2_T3_PNSH_ISM_E10value_typeET4_T5_PSR_SS_PNS1_23onesweep_lookback_stateEbbT6_jjT7_P12ihipStream_tbENKUlT_T0_SG_SL_E_clISA_SA_SB_SB_EEDaSZ_S10_SG_SL_EUlSZ_E_NS1_11comp_targetILNS1_3genE8ELNS1_11target_archE1030ELNS1_3gpuE2ELNS1_3repE0EEENS1_47radix_sort_onesweep_sort_config_static_selectorELNS0_4arch9wavefront6targetE0EEEvSG_ ; -- Begin function _ZN7rocprim17ROCPRIM_400000_NS6detail17trampoline_kernelINS0_14default_configENS1_35radix_sort_onesweep_config_selectorImNS0_10empty_typeEEEZZNS1_29radix_sort_onesweep_iterationIS3_Lb1EPKmPmPS5_SB_mNS0_19identity_decomposerENS1_16block_id_wrapperIjLb1EEEEE10hipError_tT1_PNSt15iterator_traitsISG_E10value_typeET2_T3_PNSH_ISM_E10value_typeET4_T5_PSR_SS_PNS1_23onesweep_lookback_stateEbbT6_jjT7_P12ihipStream_tbENKUlT_T0_SG_SL_E_clISA_SA_SB_SB_EEDaSZ_S10_SG_SL_EUlSZ_E_NS1_11comp_targetILNS1_3genE8ELNS1_11target_archE1030ELNS1_3gpuE2ELNS1_3repE0EEENS1_47radix_sort_onesweep_sort_config_static_selectorELNS0_4arch9wavefront6targetE0EEEvSG_
	.globl	_ZN7rocprim17ROCPRIM_400000_NS6detail17trampoline_kernelINS0_14default_configENS1_35radix_sort_onesweep_config_selectorImNS0_10empty_typeEEEZZNS1_29radix_sort_onesweep_iterationIS3_Lb1EPKmPmPS5_SB_mNS0_19identity_decomposerENS1_16block_id_wrapperIjLb1EEEEE10hipError_tT1_PNSt15iterator_traitsISG_E10value_typeET2_T3_PNSH_ISM_E10value_typeET4_T5_PSR_SS_PNS1_23onesweep_lookback_stateEbbT6_jjT7_P12ihipStream_tbENKUlT_T0_SG_SL_E_clISA_SA_SB_SB_EEDaSZ_S10_SG_SL_EUlSZ_E_NS1_11comp_targetILNS1_3genE8ELNS1_11target_archE1030ELNS1_3gpuE2ELNS1_3repE0EEENS1_47radix_sort_onesweep_sort_config_static_selectorELNS0_4arch9wavefront6targetE0EEEvSG_
	.p2align	8
	.type	_ZN7rocprim17ROCPRIM_400000_NS6detail17trampoline_kernelINS0_14default_configENS1_35radix_sort_onesweep_config_selectorImNS0_10empty_typeEEEZZNS1_29radix_sort_onesweep_iterationIS3_Lb1EPKmPmPS5_SB_mNS0_19identity_decomposerENS1_16block_id_wrapperIjLb1EEEEE10hipError_tT1_PNSt15iterator_traitsISG_E10value_typeET2_T3_PNSH_ISM_E10value_typeET4_T5_PSR_SS_PNS1_23onesweep_lookback_stateEbbT6_jjT7_P12ihipStream_tbENKUlT_T0_SG_SL_E_clISA_SA_SB_SB_EEDaSZ_S10_SG_SL_EUlSZ_E_NS1_11comp_targetILNS1_3genE8ELNS1_11target_archE1030ELNS1_3gpuE2ELNS1_3repE0EEENS1_47radix_sort_onesweep_sort_config_static_selectorELNS0_4arch9wavefront6targetE0EEEvSG_,@function
_ZN7rocprim17ROCPRIM_400000_NS6detail17trampoline_kernelINS0_14default_configENS1_35radix_sort_onesweep_config_selectorImNS0_10empty_typeEEEZZNS1_29radix_sort_onesweep_iterationIS3_Lb1EPKmPmPS5_SB_mNS0_19identity_decomposerENS1_16block_id_wrapperIjLb1EEEEE10hipError_tT1_PNSt15iterator_traitsISG_E10value_typeET2_T3_PNSH_ISM_E10value_typeET4_T5_PSR_SS_PNS1_23onesweep_lookback_stateEbbT6_jjT7_P12ihipStream_tbENKUlT_T0_SG_SL_E_clISA_SA_SB_SB_EEDaSZ_S10_SG_SL_EUlSZ_E_NS1_11comp_targetILNS1_3genE8ELNS1_11target_archE1030ELNS1_3gpuE2ELNS1_3repE0EEENS1_47radix_sort_onesweep_sort_config_static_selectorELNS0_4arch9wavefront6targetE0EEEvSG_: ; @_ZN7rocprim17ROCPRIM_400000_NS6detail17trampoline_kernelINS0_14default_configENS1_35radix_sort_onesweep_config_selectorImNS0_10empty_typeEEEZZNS1_29radix_sort_onesweep_iterationIS3_Lb1EPKmPmPS5_SB_mNS0_19identity_decomposerENS1_16block_id_wrapperIjLb1EEEEE10hipError_tT1_PNSt15iterator_traitsISG_E10value_typeET2_T3_PNSH_ISM_E10value_typeET4_T5_PSR_SS_PNS1_23onesweep_lookback_stateEbbT6_jjT7_P12ihipStream_tbENKUlT_T0_SG_SL_E_clISA_SA_SB_SB_EEDaSZ_S10_SG_SL_EUlSZ_E_NS1_11comp_targetILNS1_3genE8ELNS1_11target_archE1030ELNS1_3gpuE2ELNS1_3repE0EEENS1_47radix_sort_onesweep_sort_config_static_selectorELNS0_4arch9wavefront6targetE0EEEvSG_
; %bb.0:
	.section	.rodata,"a",@progbits
	.p2align	6, 0x0
	.amdhsa_kernel _ZN7rocprim17ROCPRIM_400000_NS6detail17trampoline_kernelINS0_14default_configENS1_35radix_sort_onesweep_config_selectorImNS0_10empty_typeEEEZZNS1_29radix_sort_onesweep_iterationIS3_Lb1EPKmPmPS5_SB_mNS0_19identity_decomposerENS1_16block_id_wrapperIjLb1EEEEE10hipError_tT1_PNSt15iterator_traitsISG_E10value_typeET2_T3_PNSH_ISM_E10value_typeET4_T5_PSR_SS_PNS1_23onesweep_lookback_stateEbbT6_jjT7_P12ihipStream_tbENKUlT_T0_SG_SL_E_clISA_SA_SB_SB_EEDaSZ_S10_SG_SL_EUlSZ_E_NS1_11comp_targetILNS1_3genE8ELNS1_11target_archE1030ELNS1_3gpuE2ELNS1_3repE0EEENS1_47radix_sort_onesweep_sort_config_static_selectorELNS0_4arch9wavefront6targetE0EEEvSG_
		.amdhsa_group_segment_fixed_size 0
		.amdhsa_private_segment_fixed_size 0
		.amdhsa_kernarg_size 88
		.amdhsa_user_sgpr_count 2
		.amdhsa_user_sgpr_dispatch_ptr 0
		.amdhsa_user_sgpr_queue_ptr 0
		.amdhsa_user_sgpr_kernarg_segment_ptr 1
		.amdhsa_user_sgpr_dispatch_id 0
		.amdhsa_user_sgpr_kernarg_preload_length 0
		.amdhsa_user_sgpr_kernarg_preload_offset 0
		.amdhsa_user_sgpr_private_segment_size 0
		.amdhsa_wavefront_size32 1
		.amdhsa_uses_dynamic_stack 0
		.amdhsa_enable_private_segment 0
		.amdhsa_system_sgpr_workgroup_id_x 1
		.amdhsa_system_sgpr_workgroup_id_y 0
		.amdhsa_system_sgpr_workgroup_id_z 0
		.amdhsa_system_sgpr_workgroup_info 0
		.amdhsa_system_vgpr_workitem_id 0
		.amdhsa_next_free_vgpr 1
		.amdhsa_next_free_sgpr 1
		.amdhsa_named_barrier_count 0
		.amdhsa_reserve_vcc 0
		.amdhsa_float_round_mode_32 0
		.amdhsa_float_round_mode_16_64 0
		.amdhsa_float_denorm_mode_32 3
		.amdhsa_float_denorm_mode_16_64 3
		.amdhsa_fp16_overflow 0
		.amdhsa_memory_ordered 1
		.amdhsa_forward_progress 1
		.amdhsa_inst_pref_size 0
		.amdhsa_round_robin_scheduling 0
		.amdhsa_exception_fp_ieee_invalid_op 0
		.amdhsa_exception_fp_denorm_src 0
		.amdhsa_exception_fp_ieee_div_zero 0
		.amdhsa_exception_fp_ieee_overflow 0
		.amdhsa_exception_fp_ieee_underflow 0
		.amdhsa_exception_fp_ieee_inexact 0
		.amdhsa_exception_int_div_zero 0
	.end_amdhsa_kernel
	.section	.text._ZN7rocprim17ROCPRIM_400000_NS6detail17trampoline_kernelINS0_14default_configENS1_35radix_sort_onesweep_config_selectorImNS0_10empty_typeEEEZZNS1_29radix_sort_onesweep_iterationIS3_Lb1EPKmPmPS5_SB_mNS0_19identity_decomposerENS1_16block_id_wrapperIjLb1EEEEE10hipError_tT1_PNSt15iterator_traitsISG_E10value_typeET2_T3_PNSH_ISM_E10value_typeET4_T5_PSR_SS_PNS1_23onesweep_lookback_stateEbbT6_jjT7_P12ihipStream_tbENKUlT_T0_SG_SL_E_clISA_SA_SB_SB_EEDaSZ_S10_SG_SL_EUlSZ_E_NS1_11comp_targetILNS1_3genE8ELNS1_11target_archE1030ELNS1_3gpuE2ELNS1_3repE0EEENS1_47radix_sort_onesweep_sort_config_static_selectorELNS0_4arch9wavefront6targetE0EEEvSG_,"axG",@progbits,_ZN7rocprim17ROCPRIM_400000_NS6detail17trampoline_kernelINS0_14default_configENS1_35radix_sort_onesweep_config_selectorImNS0_10empty_typeEEEZZNS1_29radix_sort_onesweep_iterationIS3_Lb1EPKmPmPS5_SB_mNS0_19identity_decomposerENS1_16block_id_wrapperIjLb1EEEEE10hipError_tT1_PNSt15iterator_traitsISG_E10value_typeET2_T3_PNSH_ISM_E10value_typeET4_T5_PSR_SS_PNS1_23onesweep_lookback_stateEbbT6_jjT7_P12ihipStream_tbENKUlT_T0_SG_SL_E_clISA_SA_SB_SB_EEDaSZ_S10_SG_SL_EUlSZ_E_NS1_11comp_targetILNS1_3genE8ELNS1_11target_archE1030ELNS1_3gpuE2ELNS1_3repE0EEENS1_47radix_sort_onesweep_sort_config_static_selectorELNS0_4arch9wavefront6targetE0EEEvSG_,comdat
.Lfunc_end2897:
	.size	_ZN7rocprim17ROCPRIM_400000_NS6detail17trampoline_kernelINS0_14default_configENS1_35radix_sort_onesweep_config_selectorImNS0_10empty_typeEEEZZNS1_29radix_sort_onesweep_iterationIS3_Lb1EPKmPmPS5_SB_mNS0_19identity_decomposerENS1_16block_id_wrapperIjLb1EEEEE10hipError_tT1_PNSt15iterator_traitsISG_E10value_typeET2_T3_PNSH_ISM_E10value_typeET4_T5_PSR_SS_PNS1_23onesweep_lookback_stateEbbT6_jjT7_P12ihipStream_tbENKUlT_T0_SG_SL_E_clISA_SA_SB_SB_EEDaSZ_S10_SG_SL_EUlSZ_E_NS1_11comp_targetILNS1_3genE8ELNS1_11target_archE1030ELNS1_3gpuE2ELNS1_3repE0EEENS1_47radix_sort_onesweep_sort_config_static_selectorELNS0_4arch9wavefront6targetE0EEEvSG_, .Lfunc_end2897-_ZN7rocprim17ROCPRIM_400000_NS6detail17trampoline_kernelINS0_14default_configENS1_35radix_sort_onesweep_config_selectorImNS0_10empty_typeEEEZZNS1_29radix_sort_onesweep_iterationIS3_Lb1EPKmPmPS5_SB_mNS0_19identity_decomposerENS1_16block_id_wrapperIjLb1EEEEE10hipError_tT1_PNSt15iterator_traitsISG_E10value_typeET2_T3_PNSH_ISM_E10value_typeET4_T5_PSR_SS_PNS1_23onesweep_lookback_stateEbbT6_jjT7_P12ihipStream_tbENKUlT_T0_SG_SL_E_clISA_SA_SB_SB_EEDaSZ_S10_SG_SL_EUlSZ_E_NS1_11comp_targetILNS1_3genE8ELNS1_11target_archE1030ELNS1_3gpuE2ELNS1_3repE0EEENS1_47radix_sort_onesweep_sort_config_static_selectorELNS0_4arch9wavefront6targetE0EEEvSG_
                                        ; -- End function
	.set _ZN7rocprim17ROCPRIM_400000_NS6detail17trampoline_kernelINS0_14default_configENS1_35radix_sort_onesweep_config_selectorImNS0_10empty_typeEEEZZNS1_29radix_sort_onesweep_iterationIS3_Lb1EPKmPmPS5_SB_mNS0_19identity_decomposerENS1_16block_id_wrapperIjLb1EEEEE10hipError_tT1_PNSt15iterator_traitsISG_E10value_typeET2_T3_PNSH_ISM_E10value_typeET4_T5_PSR_SS_PNS1_23onesweep_lookback_stateEbbT6_jjT7_P12ihipStream_tbENKUlT_T0_SG_SL_E_clISA_SA_SB_SB_EEDaSZ_S10_SG_SL_EUlSZ_E_NS1_11comp_targetILNS1_3genE8ELNS1_11target_archE1030ELNS1_3gpuE2ELNS1_3repE0EEENS1_47radix_sort_onesweep_sort_config_static_selectorELNS0_4arch9wavefront6targetE0EEEvSG_.num_vgpr, 0
	.set _ZN7rocprim17ROCPRIM_400000_NS6detail17trampoline_kernelINS0_14default_configENS1_35radix_sort_onesweep_config_selectorImNS0_10empty_typeEEEZZNS1_29radix_sort_onesweep_iterationIS3_Lb1EPKmPmPS5_SB_mNS0_19identity_decomposerENS1_16block_id_wrapperIjLb1EEEEE10hipError_tT1_PNSt15iterator_traitsISG_E10value_typeET2_T3_PNSH_ISM_E10value_typeET4_T5_PSR_SS_PNS1_23onesweep_lookback_stateEbbT6_jjT7_P12ihipStream_tbENKUlT_T0_SG_SL_E_clISA_SA_SB_SB_EEDaSZ_S10_SG_SL_EUlSZ_E_NS1_11comp_targetILNS1_3genE8ELNS1_11target_archE1030ELNS1_3gpuE2ELNS1_3repE0EEENS1_47radix_sort_onesweep_sort_config_static_selectorELNS0_4arch9wavefront6targetE0EEEvSG_.num_agpr, 0
	.set _ZN7rocprim17ROCPRIM_400000_NS6detail17trampoline_kernelINS0_14default_configENS1_35radix_sort_onesweep_config_selectorImNS0_10empty_typeEEEZZNS1_29radix_sort_onesweep_iterationIS3_Lb1EPKmPmPS5_SB_mNS0_19identity_decomposerENS1_16block_id_wrapperIjLb1EEEEE10hipError_tT1_PNSt15iterator_traitsISG_E10value_typeET2_T3_PNSH_ISM_E10value_typeET4_T5_PSR_SS_PNS1_23onesweep_lookback_stateEbbT6_jjT7_P12ihipStream_tbENKUlT_T0_SG_SL_E_clISA_SA_SB_SB_EEDaSZ_S10_SG_SL_EUlSZ_E_NS1_11comp_targetILNS1_3genE8ELNS1_11target_archE1030ELNS1_3gpuE2ELNS1_3repE0EEENS1_47radix_sort_onesweep_sort_config_static_selectorELNS0_4arch9wavefront6targetE0EEEvSG_.numbered_sgpr, 0
	.set _ZN7rocprim17ROCPRIM_400000_NS6detail17trampoline_kernelINS0_14default_configENS1_35radix_sort_onesweep_config_selectorImNS0_10empty_typeEEEZZNS1_29radix_sort_onesweep_iterationIS3_Lb1EPKmPmPS5_SB_mNS0_19identity_decomposerENS1_16block_id_wrapperIjLb1EEEEE10hipError_tT1_PNSt15iterator_traitsISG_E10value_typeET2_T3_PNSH_ISM_E10value_typeET4_T5_PSR_SS_PNS1_23onesweep_lookback_stateEbbT6_jjT7_P12ihipStream_tbENKUlT_T0_SG_SL_E_clISA_SA_SB_SB_EEDaSZ_S10_SG_SL_EUlSZ_E_NS1_11comp_targetILNS1_3genE8ELNS1_11target_archE1030ELNS1_3gpuE2ELNS1_3repE0EEENS1_47radix_sort_onesweep_sort_config_static_selectorELNS0_4arch9wavefront6targetE0EEEvSG_.num_named_barrier, 0
	.set _ZN7rocprim17ROCPRIM_400000_NS6detail17trampoline_kernelINS0_14default_configENS1_35radix_sort_onesweep_config_selectorImNS0_10empty_typeEEEZZNS1_29radix_sort_onesweep_iterationIS3_Lb1EPKmPmPS5_SB_mNS0_19identity_decomposerENS1_16block_id_wrapperIjLb1EEEEE10hipError_tT1_PNSt15iterator_traitsISG_E10value_typeET2_T3_PNSH_ISM_E10value_typeET4_T5_PSR_SS_PNS1_23onesweep_lookback_stateEbbT6_jjT7_P12ihipStream_tbENKUlT_T0_SG_SL_E_clISA_SA_SB_SB_EEDaSZ_S10_SG_SL_EUlSZ_E_NS1_11comp_targetILNS1_3genE8ELNS1_11target_archE1030ELNS1_3gpuE2ELNS1_3repE0EEENS1_47radix_sort_onesweep_sort_config_static_selectorELNS0_4arch9wavefront6targetE0EEEvSG_.private_seg_size, 0
	.set _ZN7rocprim17ROCPRIM_400000_NS6detail17trampoline_kernelINS0_14default_configENS1_35radix_sort_onesweep_config_selectorImNS0_10empty_typeEEEZZNS1_29radix_sort_onesweep_iterationIS3_Lb1EPKmPmPS5_SB_mNS0_19identity_decomposerENS1_16block_id_wrapperIjLb1EEEEE10hipError_tT1_PNSt15iterator_traitsISG_E10value_typeET2_T3_PNSH_ISM_E10value_typeET4_T5_PSR_SS_PNS1_23onesweep_lookback_stateEbbT6_jjT7_P12ihipStream_tbENKUlT_T0_SG_SL_E_clISA_SA_SB_SB_EEDaSZ_S10_SG_SL_EUlSZ_E_NS1_11comp_targetILNS1_3genE8ELNS1_11target_archE1030ELNS1_3gpuE2ELNS1_3repE0EEENS1_47radix_sort_onesweep_sort_config_static_selectorELNS0_4arch9wavefront6targetE0EEEvSG_.uses_vcc, 0
	.set _ZN7rocprim17ROCPRIM_400000_NS6detail17trampoline_kernelINS0_14default_configENS1_35radix_sort_onesweep_config_selectorImNS0_10empty_typeEEEZZNS1_29radix_sort_onesweep_iterationIS3_Lb1EPKmPmPS5_SB_mNS0_19identity_decomposerENS1_16block_id_wrapperIjLb1EEEEE10hipError_tT1_PNSt15iterator_traitsISG_E10value_typeET2_T3_PNSH_ISM_E10value_typeET4_T5_PSR_SS_PNS1_23onesweep_lookback_stateEbbT6_jjT7_P12ihipStream_tbENKUlT_T0_SG_SL_E_clISA_SA_SB_SB_EEDaSZ_S10_SG_SL_EUlSZ_E_NS1_11comp_targetILNS1_3genE8ELNS1_11target_archE1030ELNS1_3gpuE2ELNS1_3repE0EEENS1_47radix_sort_onesweep_sort_config_static_selectorELNS0_4arch9wavefront6targetE0EEEvSG_.uses_flat_scratch, 0
	.set _ZN7rocprim17ROCPRIM_400000_NS6detail17trampoline_kernelINS0_14default_configENS1_35radix_sort_onesweep_config_selectorImNS0_10empty_typeEEEZZNS1_29radix_sort_onesweep_iterationIS3_Lb1EPKmPmPS5_SB_mNS0_19identity_decomposerENS1_16block_id_wrapperIjLb1EEEEE10hipError_tT1_PNSt15iterator_traitsISG_E10value_typeET2_T3_PNSH_ISM_E10value_typeET4_T5_PSR_SS_PNS1_23onesweep_lookback_stateEbbT6_jjT7_P12ihipStream_tbENKUlT_T0_SG_SL_E_clISA_SA_SB_SB_EEDaSZ_S10_SG_SL_EUlSZ_E_NS1_11comp_targetILNS1_3genE8ELNS1_11target_archE1030ELNS1_3gpuE2ELNS1_3repE0EEENS1_47radix_sort_onesweep_sort_config_static_selectorELNS0_4arch9wavefront6targetE0EEEvSG_.has_dyn_sized_stack, 0
	.set _ZN7rocprim17ROCPRIM_400000_NS6detail17trampoline_kernelINS0_14default_configENS1_35radix_sort_onesweep_config_selectorImNS0_10empty_typeEEEZZNS1_29radix_sort_onesweep_iterationIS3_Lb1EPKmPmPS5_SB_mNS0_19identity_decomposerENS1_16block_id_wrapperIjLb1EEEEE10hipError_tT1_PNSt15iterator_traitsISG_E10value_typeET2_T3_PNSH_ISM_E10value_typeET4_T5_PSR_SS_PNS1_23onesweep_lookback_stateEbbT6_jjT7_P12ihipStream_tbENKUlT_T0_SG_SL_E_clISA_SA_SB_SB_EEDaSZ_S10_SG_SL_EUlSZ_E_NS1_11comp_targetILNS1_3genE8ELNS1_11target_archE1030ELNS1_3gpuE2ELNS1_3repE0EEENS1_47radix_sort_onesweep_sort_config_static_selectorELNS0_4arch9wavefront6targetE0EEEvSG_.has_recursion, 0
	.set _ZN7rocprim17ROCPRIM_400000_NS6detail17trampoline_kernelINS0_14default_configENS1_35radix_sort_onesweep_config_selectorImNS0_10empty_typeEEEZZNS1_29radix_sort_onesweep_iterationIS3_Lb1EPKmPmPS5_SB_mNS0_19identity_decomposerENS1_16block_id_wrapperIjLb1EEEEE10hipError_tT1_PNSt15iterator_traitsISG_E10value_typeET2_T3_PNSH_ISM_E10value_typeET4_T5_PSR_SS_PNS1_23onesweep_lookback_stateEbbT6_jjT7_P12ihipStream_tbENKUlT_T0_SG_SL_E_clISA_SA_SB_SB_EEDaSZ_S10_SG_SL_EUlSZ_E_NS1_11comp_targetILNS1_3genE8ELNS1_11target_archE1030ELNS1_3gpuE2ELNS1_3repE0EEENS1_47radix_sort_onesweep_sort_config_static_selectorELNS0_4arch9wavefront6targetE0EEEvSG_.has_indirect_call, 0
	.section	.AMDGPU.csdata,"",@progbits
; Kernel info:
; codeLenInByte = 0
; TotalNumSgprs: 0
; NumVgprs: 0
; ScratchSize: 0
; MemoryBound: 0
; FloatMode: 240
; IeeeMode: 1
; LDSByteSize: 0 bytes/workgroup (compile time only)
; SGPRBlocks: 0
; VGPRBlocks: 0
; NumSGPRsForWavesPerEU: 1
; NumVGPRsForWavesPerEU: 1
; NamedBarCnt: 0
; Occupancy: 16
; WaveLimiterHint : 0
; COMPUTE_PGM_RSRC2:SCRATCH_EN: 0
; COMPUTE_PGM_RSRC2:USER_SGPR: 2
; COMPUTE_PGM_RSRC2:TRAP_HANDLER: 0
; COMPUTE_PGM_RSRC2:TGID_X_EN: 1
; COMPUTE_PGM_RSRC2:TGID_Y_EN: 0
; COMPUTE_PGM_RSRC2:TGID_Z_EN: 0
; COMPUTE_PGM_RSRC2:TIDIG_COMP_CNT: 0
	.section	.text._ZN7rocprim17ROCPRIM_400000_NS6detail17trampoline_kernelINS0_14default_configENS1_35radix_sort_onesweep_config_selectorImNS0_10empty_typeEEEZZNS1_29radix_sort_onesweep_iterationIS3_Lb1EPKmPmPS5_SB_mNS0_19identity_decomposerENS1_16block_id_wrapperIjLb0EEEEE10hipError_tT1_PNSt15iterator_traitsISG_E10value_typeET2_T3_PNSH_ISM_E10value_typeET4_T5_PSR_SS_PNS1_23onesweep_lookback_stateEbbT6_jjT7_P12ihipStream_tbENKUlT_T0_SG_SL_E_clIS9_SA_SB_SB_EEDaSZ_S10_SG_SL_EUlSZ_E_NS1_11comp_targetILNS1_3genE0ELNS1_11target_archE4294967295ELNS1_3gpuE0ELNS1_3repE0EEENS1_47radix_sort_onesweep_sort_config_static_selectorELNS0_4arch9wavefront6targetE0EEEvSG_,"axG",@progbits,_ZN7rocprim17ROCPRIM_400000_NS6detail17trampoline_kernelINS0_14default_configENS1_35radix_sort_onesweep_config_selectorImNS0_10empty_typeEEEZZNS1_29radix_sort_onesweep_iterationIS3_Lb1EPKmPmPS5_SB_mNS0_19identity_decomposerENS1_16block_id_wrapperIjLb0EEEEE10hipError_tT1_PNSt15iterator_traitsISG_E10value_typeET2_T3_PNSH_ISM_E10value_typeET4_T5_PSR_SS_PNS1_23onesweep_lookback_stateEbbT6_jjT7_P12ihipStream_tbENKUlT_T0_SG_SL_E_clIS9_SA_SB_SB_EEDaSZ_S10_SG_SL_EUlSZ_E_NS1_11comp_targetILNS1_3genE0ELNS1_11target_archE4294967295ELNS1_3gpuE0ELNS1_3repE0EEENS1_47radix_sort_onesweep_sort_config_static_selectorELNS0_4arch9wavefront6targetE0EEEvSG_,comdat
	.protected	_ZN7rocprim17ROCPRIM_400000_NS6detail17trampoline_kernelINS0_14default_configENS1_35radix_sort_onesweep_config_selectorImNS0_10empty_typeEEEZZNS1_29radix_sort_onesweep_iterationIS3_Lb1EPKmPmPS5_SB_mNS0_19identity_decomposerENS1_16block_id_wrapperIjLb0EEEEE10hipError_tT1_PNSt15iterator_traitsISG_E10value_typeET2_T3_PNSH_ISM_E10value_typeET4_T5_PSR_SS_PNS1_23onesweep_lookback_stateEbbT6_jjT7_P12ihipStream_tbENKUlT_T0_SG_SL_E_clIS9_SA_SB_SB_EEDaSZ_S10_SG_SL_EUlSZ_E_NS1_11comp_targetILNS1_3genE0ELNS1_11target_archE4294967295ELNS1_3gpuE0ELNS1_3repE0EEENS1_47radix_sort_onesweep_sort_config_static_selectorELNS0_4arch9wavefront6targetE0EEEvSG_ ; -- Begin function _ZN7rocprim17ROCPRIM_400000_NS6detail17trampoline_kernelINS0_14default_configENS1_35radix_sort_onesweep_config_selectorImNS0_10empty_typeEEEZZNS1_29radix_sort_onesweep_iterationIS3_Lb1EPKmPmPS5_SB_mNS0_19identity_decomposerENS1_16block_id_wrapperIjLb0EEEEE10hipError_tT1_PNSt15iterator_traitsISG_E10value_typeET2_T3_PNSH_ISM_E10value_typeET4_T5_PSR_SS_PNS1_23onesweep_lookback_stateEbbT6_jjT7_P12ihipStream_tbENKUlT_T0_SG_SL_E_clIS9_SA_SB_SB_EEDaSZ_S10_SG_SL_EUlSZ_E_NS1_11comp_targetILNS1_3genE0ELNS1_11target_archE4294967295ELNS1_3gpuE0ELNS1_3repE0EEENS1_47radix_sort_onesweep_sort_config_static_selectorELNS0_4arch9wavefront6targetE0EEEvSG_
	.globl	_ZN7rocprim17ROCPRIM_400000_NS6detail17trampoline_kernelINS0_14default_configENS1_35radix_sort_onesweep_config_selectorImNS0_10empty_typeEEEZZNS1_29radix_sort_onesweep_iterationIS3_Lb1EPKmPmPS5_SB_mNS0_19identity_decomposerENS1_16block_id_wrapperIjLb0EEEEE10hipError_tT1_PNSt15iterator_traitsISG_E10value_typeET2_T3_PNSH_ISM_E10value_typeET4_T5_PSR_SS_PNS1_23onesweep_lookback_stateEbbT6_jjT7_P12ihipStream_tbENKUlT_T0_SG_SL_E_clIS9_SA_SB_SB_EEDaSZ_S10_SG_SL_EUlSZ_E_NS1_11comp_targetILNS1_3genE0ELNS1_11target_archE4294967295ELNS1_3gpuE0ELNS1_3repE0EEENS1_47radix_sort_onesweep_sort_config_static_selectorELNS0_4arch9wavefront6targetE0EEEvSG_
	.p2align	8
	.type	_ZN7rocprim17ROCPRIM_400000_NS6detail17trampoline_kernelINS0_14default_configENS1_35radix_sort_onesweep_config_selectorImNS0_10empty_typeEEEZZNS1_29radix_sort_onesweep_iterationIS3_Lb1EPKmPmPS5_SB_mNS0_19identity_decomposerENS1_16block_id_wrapperIjLb0EEEEE10hipError_tT1_PNSt15iterator_traitsISG_E10value_typeET2_T3_PNSH_ISM_E10value_typeET4_T5_PSR_SS_PNS1_23onesweep_lookback_stateEbbT6_jjT7_P12ihipStream_tbENKUlT_T0_SG_SL_E_clIS9_SA_SB_SB_EEDaSZ_S10_SG_SL_EUlSZ_E_NS1_11comp_targetILNS1_3genE0ELNS1_11target_archE4294967295ELNS1_3gpuE0ELNS1_3repE0EEENS1_47radix_sort_onesweep_sort_config_static_selectorELNS0_4arch9wavefront6targetE0EEEvSG_,@function
_ZN7rocprim17ROCPRIM_400000_NS6detail17trampoline_kernelINS0_14default_configENS1_35radix_sort_onesweep_config_selectorImNS0_10empty_typeEEEZZNS1_29radix_sort_onesweep_iterationIS3_Lb1EPKmPmPS5_SB_mNS0_19identity_decomposerENS1_16block_id_wrapperIjLb0EEEEE10hipError_tT1_PNSt15iterator_traitsISG_E10value_typeET2_T3_PNSH_ISM_E10value_typeET4_T5_PSR_SS_PNS1_23onesweep_lookback_stateEbbT6_jjT7_P12ihipStream_tbENKUlT_T0_SG_SL_E_clIS9_SA_SB_SB_EEDaSZ_S10_SG_SL_EUlSZ_E_NS1_11comp_targetILNS1_3genE0ELNS1_11target_archE4294967295ELNS1_3gpuE0ELNS1_3repE0EEENS1_47radix_sort_onesweep_sort_config_static_selectorELNS0_4arch9wavefront6targetE0EEEvSG_: ; @_ZN7rocprim17ROCPRIM_400000_NS6detail17trampoline_kernelINS0_14default_configENS1_35radix_sort_onesweep_config_selectorImNS0_10empty_typeEEEZZNS1_29radix_sort_onesweep_iterationIS3_Lb1EPKmPmPS5_SB_mNS0_19identity_decomposerENS1_16block_id_wrapperIjLb0EEEEE10hipError_tT1_PNSt15iterator_traitsISG_E10value_typeET2_T3_PNSH_ISM_E10value_typeET4_T5_PSR_SS_PNS1_23onesweep_lookback_stateEbbT6_jjT7_P12ihipStream_tbENKUlT_T0_SG_SL_E_clIS9_SA_SB_SB_EEDaSZ_S10_SG_SL_EUlSZ_E_NS1_11comp_targetILNS1_3genE0ELNS1_11target_archE4294967295ELNS1_3gpuE0ELNS1_3repE0EEENS1_47radix_sort_onesweep_sort_config_static_selectorELNS0_4arch9wavefront6targetE0EEEvSG_
; %bb.0:
	s_clause 0x3
	s_load_b96 s[20:22], s[0:1], 0x44
	s_load_b64 s[10:11], s[0:1], 0x38
	s_load_b128 s[16:19], s[0:1], 0x0
	s_load_b128 s[12:15], s[0:1], 0x28
	s_bfe_u32 s2, ttmp6, 0x4000c
	s_and_b32 s3, ttmp6, 15
	s_add_co_i32 s2, s2, 1
	s_getreg_b32 s4, hwreg(HW_REG_IB_STS2, 6, 4)
	s_mul_i32 s2, ttmp9, s2
	v_and_b32_e32 v32, 0x3ff, v0
	s_add_co_i32 s2, s3, s2
	s_cmp_eq_u32 s4, 0
	v_mbcnt_lo_u32_b32 v33, -1, 0
	s_cselect_b32 s9, ttmp9, s2
	s_mov_b32 s3, 0
	s_mov_b32 s2, -1
	s_add_nc_u64 s[24:25], s[0:1], 0x58
	s_wait_kmcnt 0x0
	s_cmp_ge_u32 s9, s22
	s_cbranch_scc0 .LBB2898_66
; %bb.1:
	v_dual_lshlrev_b32 v2, 3, v32 :: v_dual_lshlrev_b32 v6, 3, v33
	s_load_b32 s4, s[0:1], 0x20
	s_lshl_b32 s2, s9, 12
	v_mov_b64_e32 v[4:5], -1
	s_delay_alu instid0(VALU_DEP_2) | instskip(SKIP_2) | instid1(SALU_CYCLE_1)
	v_and_b32_e32 v1, 0xf00, v2
	v_mov_b32_e32 v7, 0
	s_lshl_b64 s[2:3], s[2:3], 3
	s_add_nc_u64 s[2:3], s[16:17], s[2:3]
	s_delay_alu instid0(VALU_DEP_1) | instid1(SALU_CYCLE_1)
	v_add_nc_u64_e32 v[8:9], s[2:3], v[6:7]
	v_dual_lshlrev_b32 v6, 3, v1 :: v_dual_bitop2_b32 v1, v33, v1 bitop3:0x54
	s_lshl_b32 s2, s22, 12
	s_delay_alu instid0(VALU_DEP_1)
	v_add_nc_u64_e32 v[20:21], v[8:9], v[6:7]
	v_mov_b64_e32 v[6:7], -1
	s_wait_kmcnt 0x0
	s_sub_co_i32 s22, s4, s2
	s_mov_b32 s2, exec_lo
	v_cmpx_gt_u32_e64 s22, v1
	s_cbranch_execz .LBB2898_3
; %bb.2:
	global_load_b64 v[6:7], v[20:21], off
	s_wait_loadcnt 0x0
	v_not_b32_e32 v7, v7
	v_not_b32_e32 v6, v6
.LBB2898_3:
	s_or_b32 exec_lo, exec_lo, s2
	v_or_b32_e32 v3, 32, v1
	s_mov_b32 s2, exec_lo
	s_delay_alu instid0(VALU_DEP_1)
	v_cmpx_gt_u32_e64 s22, v3
	s_cbranch_execz .LBB2898_5
; %bb.4:
	global_load_b64 v[4:5], v[20:21], off offset:256
	s_wait_loadcnt 0x0
	v_not_b32_e32 v5, v5
	v_not_b32_e32 v4, v4
.LBB2898_5:
	s_or_b32 exec_lo, exec_lo, s2
	v_mov_b64_e32 v[8:9], -1
	v_mov_b64_e32 v[10:11], -1
	v_or_b32_e32 v3, 64, v1
	s_mov_b32 s2, exec_lo
	s_delay_alu instid0(VALU_DEP_1)
	v_cmpx_gt_u32_e64 s22, v3
	s_cbranch_execz .LBB2898_7
; %bb.6:
	global_load_b64 v[10:11], v[20:21], off offset:512
	s_wait_loadcnt 0x0
	v_not_b32_e32 v11, v11
	v_not_b32_e32 v10, v10
.LBB2898_7:
	s_or_b32 exec_lo, exec_lo, s2
	v_or_b32_e32 v3, 0x60, v1
	s_mov_b32 s2, exec_lo
	s_delay_alu instid0(VALU_DEP_1)
	v_cmpx_gt_u32_e64 s22, v3
	s_cbranch_execz .LBB2898_9
; %bb.8:
	global_load_b64 v[8:9], v[20:21], off offset:768
	s_wait_loadcnt 0x0
	v_not_b32_e32 v9, v9
	v_not_b32_e32 v8, v8
.LBB2898_9:
	s_or_b32 exec_lo, exec_lo, s2
	v_mov_b64_e32 v[12:13], -1
	v_mov_b64_e32 v[14:15], -1
	v_or_b32_e32 v3, 0x80, v1
	s_mov_b32 s2, exec_lo
	s_delay_alu instid0(VALU_DEP_1)
	v_cmpx_gt_u32_e64 s22, v3
	s_cbranch_execz .LBB2898_11
; %bb.10:
	global_load_b64 v[14:15], v[20:21], off offset:1024
	s_wait_loadcnt 0x0
	v_not_b32_e32 v15, v15
	v_not_b32_e32 v14, v14
.LBB2898_11:
	;; [unrolled: 26-line block ×3, first 2 shown]
	s_or_b32 exec_lo, exec_lo, s2
	v_or_b32_e32 v1, 0xe0, v1
	s_mov_b32 s2, exec_lo
	s_delay_alu instid0(VALU_DEP_1)
	v_cmpx_gt_u32_e64 s22, v1
	s_cbranch_execz .LBB2898_17
; %bb.16:
	global_load_b64 v[16:17], v[20:21], off offset:1792
	s_wait_loadcnt 0x0
	v_not_b32_e32 v17, v17
	v_not_b32_e32 v16, v16
.LBB2898_17:
	s_or_b32 exec_lo, exec_lo, s2
	s_clause 0x1
	s_load_b32 s23, s[0:1], 0x58
	s_load_u16 s4, s[0:1], 0x66
	v_lshrrev_b64 v[20:21], s20, v[6:7]
	v_bfe_u32 v1, v0, 10, 10
	v_bfe_u32 v3, v0, 20, 10
	s_mov_b32 s3, 0
	s_wait_kmcnt 0x0
	s_cmp_lt_u32 s9, s23
	s_delay_alu instid0(VALU_DEP_1)
	v_mad_u32_u24 v1, v3, s4, v1
	s_cselect_b32 s2, 12, 18
	s_lshl_b32 s26, -1, s21
	s_add_nc_u64 s[2:3], s[24:25], s[2:3]
	v_bitop3_b32 v3, v20, 1, s26 bitop3:0x40
	s_load_u16 s27, s[2:3], 0x0
	v_bitop3_b32 v22, v20, s26, v20 bitop3:0x30
	s_wait_xcnt 0x0
	s_delay_alu instid0(VALU_DEP_2) | instskip(NEXT) | instid1(VALU_DEP_1)
	v_add_co_u32 v3, s2, v3, -1
	v_cndmask_b32_e64 v20, 0, 1, s2
	s_delay_alu instid0(VALU_DEP_3) | instskip(SKIP_1) | instid1(VALU_DEP_3)
	v_dual_lshlrev_b32 v21, 30, v22 :: v_dual_lshlrev_b32 v23, 29, v22
	v_dual_lshlrev_b32 v24, 28, v22 :: v_dual_lshlrev_b32 v25, 27, v22
	v_cmp_ne_u32_e32 vcc_lo, 0, v20
	s_delay_alu instid0(VALU_DEP_3)
	v_not_b32_e32 v20, v21
	v_dual_lshlrev_b32 v26, 26, v22 :: v_dual_lshlrev_b32 v27, 25, v22
	v_lshlrev_b32_e32 v28, 24, v22
	v_cmp_gt_i32_e64 s2, 0, v21
	v_cmp_gt_i32_e64 s3, 0, v23
	v_not_b32_e32 v21, v23
	v_not_b32_e32 v23, v24
	v_ashrrev_i32_e32 v20, 31, v20
	s_wait_kmcnt 0x0
	v_mad_u32 v1, v1, s27, v32
	v_cmp_gt_i32_e64 s4, 0, v24
	v_cmp_gt_i32_e64 s5, 0, v25
	v_not_b32_e32 v24, v25
	v_not_b32_e32 v25, v26
	v_dual_ashrrev_i32 v21, 31, v21 :: v_dual_bitop2_b32 v3, vcc_lo, v3 bitop3:0x14
	s_delay_alu instid0(VALU_DEP_3) | instskip(NEXT) | instid1(VALU_DEP_3)
	v_dual_ashrrev_i32 v23, 31, v23 :: v_dual_ashrrev_i32 v24, 31, v24
	v_dual_ashrrev_i32 v25, 31, v25 :: v_dual_bitop2_b32 v20, s2, v20 bitop3:0x14
	v_cmp_gt_i32_e64 s6, 0, v26
	v_cmp_gt_i32_e64 s7, 0, v27
	v_not_b32_e32 v26, v27
	v_not_b32_e32 v27, v28
	v_xor_b32_e32 v21, s3, v21
	v_dual_lshrrev_b32 v1, 5, v1 :: v_dual_bitop2_b32 v23, s4, v23 bitop3:0x14
	v_bitop3_b32 v3, v3, v20, exec_lo bitop3:0x80
	v_cmp_gt_i32_e64 s8, 0, v28
	v_dual_ashrrev_i32 v20, 31, v26 :: v_dual_ashrrev_i32 v26, 31, v27
	v_xor_b32_e32 v24, s5, v24
	v_xor_b32_e32 v25, s6, v25
	v_bitop3_b32 v3, v3, v23, v21 bitop3:0x80
	s_delay_alu instid0(VALU_DEP_4) | instskip(SKIP_1) | instid1(VALU_DEP_3)
	v_dual_mov_b32 v23, 0 :: v_dual_bitop2_b32 v21, s7, v20 bitop3:0x14
	v_dual_lshlrev_b32 v20, 2, v1 :: v_dual_bitop2_b32 v26, s8, v26 bitop3:0x14
	v_bitop3_b32 v24, v3, v25, v24 bitop3:0x80
	v_mul_u32_u24_e32 v3, 36, v32
	s_not_b32 s6, s26
	s_delay_alu instid0(VALU_DEP_3)
	v_mad_u32 v28, 0x44, v22, v20
	ds_store_2addr_b32 v3, v23, v23 offset0:16 offset1:17
	ds_store_2addr_b32 v3, v23, v23 offset0:18 offset1:19
	;; [unrolled: 1-line block ×4, first 2 shown]
	v_bitop3_b32 v21, v24, v26, v21 bitop3:0x80
	ds_store_b32 v3, v23 offset:96
	s_wait_dscnt 0x0
	s_barrier_signal -1
	s_barrier_wait -1
	v_mbcnt_lo_u32_b32 v1, v21, 0
	v_cmp_ne_u32_e64 s2, 0, v21
	; wave barrier
	s_delay_alu instid0(VALU_DEP_2) | instskip(SKIP_1) | instid1(SALU_CYCLE_1)
	v_cmp_eq_u32_e32 vcc_lo, 0, v1
	s_and_b32 s3, s2, vcc_lo
	s_and_saveexec_b32 s2, s3
; %bb.18:
	v_bcnt_u32_b32 v21, v21, 0
	ds_store_b32 v28, v21 offset:64
; %bb.19:
	s_or_b32 exec_lo, exec_lo, s2
	v_lshrrev_b64 v[22:23], s20, v[4:5]
	; wave barrier
	s_delay_alu instid0(VALU_DEP_1) | instskip(SKIP_1) | instid1(VALU_DEP_2)
	v_and_b32_e32 v21, s6, v22
	v_bitop3_b32 v22, v22, 1, s6 bitop3:0x80
	v_lshlrev_b32_e32 v24, 30, v21
	s_delay_alu instid0(VALU_DEP_2) | instskip(NEXT) | instid1(VALU_DEP_1)
	v_add_co_u32 v22, s2, v22, -1
	v_cndmask_b32_e64 v23, 0, 1, s2
	s_delay_alu instid0(VALU_DEP_1) | instskip(NEXT) | instid1(VALU_DEP_4)
	v_cmp_ne_u32_e32 vcc_lo, 0, v23
	v_not_b32_e32 v23, v24
	s_delay_alu instid0(VALU_DEP_1) | instskip(SKIP_4) | instid1(VALU_DEP_4)
	v_dual_ashrrev_i32 v23, 31, v23 :: v_dual_bitop2_b32 v22, vcc_lo, v22 bitop3:0x14
	v_dual_lshlrev_b32 v25, 29, v21 :: v_dual_lshlrev_b32 v26, 28, v21
	v_lshlrev_b32_e32 v27, 27, v21
	v_cmp_gt_i32_e64 s2, 0, v24
	v_mad_u32 v29, 0x44, v21, v20
	v_cmp_gt_i32_e64 s3, 0, v25
	v_not_b32_e32 v24, v25
	v_not_b32_e32 v25, v26
	v_dual_lshlrev_b32 v30, 26, v21 :: v_dual_lshlrev_b32 v31, 25, v21
	v_lshlrev_b32_e32 v21, 24, v21
	v_cmp_gt_i32_e64 s4, 0, v26
	v_not_b32_e32 v26, v27
	v_dual_ashrrev_i32 v24, 31, v24 :: v_dual_ashrrev_i32 v25, 31, v25
	v_xor_b32_e32 v23, s2, v23
	v_cmp_gt_i32_e64 s5, 0, v27
	v_not_b32_e32 v27, v30
	s_delay_alu instid0(VALU_DEP_4)
	v_dual_ashrrev_i32 v26, 31, v26 :: v_dual_bitop2_b32 v24, s3, v24 bitop3:0x14
	v_xor_b32_e32 v25, s4, v25
	v_bitop3_b32 v22, v22, v23, exec_lo bitop3:0x80
	v_cmp_gt_i32_e32 vcc_lo, 0, v30
	v_ashrrev_i32_e32 v23, 31, v27
	v_not_b32_e32 v27, v31
	v_xor_b32_e32 v26, s5, v26
	v_bitop3_b32 v22, v22, v25, v24 bitop3:0x80
	v_not_b32_e32 v24, v21
	v_xor_b32_e32 v23, vcc_lo, v23
	v_cmp_gt_i32_e32 vcc_lo, 0, v31
	v_ashrrev_i32_e32 v25, 31, v27
	v_cmp_gt_i32_e64 s2, 0, v21
	v_ashrrev_i32_e32 v21, 31, v24
	v_bitop3_b32 v22, v22, v23, v26 bitop3:0x80
	ds_load_b32 v34, v29 offset:64
	v_xor_b32_e32 v23, vcc_lo, v25
	v_xor_b32_e32 v21, s2, v21
	; wave barrier
	s_delay_alu instid0(VALU_DEP_1) | instskip(NEXT) | instid1(VALU_DEP_1)
	v_bitop3_b32 v21, v22, v21, v23 bitop3:0x80
	v_mbcnt_lo_u32_b32 v35, v21, 0
	v_cmp_ne_u32_e64 s2, 0, v21
	s_delay_alu instid0(VALU_DEP_2) | instskip(SKIP_1) | instid1(SALU_CYCLE_1)
	v_cmp_eq_u32_e32 vcc_lo, 0, v35
	s_and_b32 s3, s2, vcc_lo
	s_and_saveexec_b32 s2, s3
	s_cbranch_execz .LBB2898_21
; %bb.20:
	s_wait_dscnt 0x0
	v_bcnt_u32_b32 v21, v21, v34
	ds_store_b32 v29, v21 offset:64
.LBB2898_21:
	s_or_b32 exec_lo, exec_lo, s2
	v_lshrrev_b64 v[22:23], s20, v[10:11]
	; wave barrier
	s_delay_alu instid0(VALU_DEP_1) | instskip(SKIP_1) | instid1(VALU_DEP_2)
	v_and_b32_e32 v21, s6, v22
	v_bitop3_b32 v22, v22, 1, s6 bitop3:0x80
	v_lshlrev_b32_e32 v24, 30, v21
	s_delay_alu instid0(VALU_DEP_2) | instskip(NEXT) | instid1(VALU_DEP_1)
	v_add_co_u32 v22, s2, v22, -1
	v_cndmask_b32_e64 v23, 0, 1, s2
	s_delay_alu instid0(VALU_DEP_1) | instskip(NEXT) | instid1(VALU_DEP_4)
	v_cmp_ne_u32_e32 vcc_lo, 0, v23
	v_not_b32_e32 v23, v24
	s_delay_alu instid0(VALU_DEP_1) | instskip(SKIP_4) | instid1(VALU_DEP_4)
	v_dual_ashrrev_i32 v23, 31, v23 :: v_dual_bitop2_b32 v22, vcc_lo, v22 bitop3:0x14
	v_dual_lshlrev_b32 v25, 29, v21 :: v_dual_lshlrev_b32 v26, 28, v21
	v_lshlrev_b32_e32 v27, 27, v21
	v_cmp_gt_i32_e64 s2, 0, v24
	v_mad_u32 v30, 0x44, v21, v20
	v_cmp_gt_i32_e64 s3, 0, v25
	v_not_b32_e32 v24, v25
	v_not_b32_e32 v25, v26
	v_dual_lshlrev_b32 v31, 26, v21 :: v_dual_lshlrev_b32 v36, 25, v21
	v_lshlrev_b32_e32 v21, 24, v21
	v_cmp_gt_i32_e64 s4, 0, v26
	v_not_b32_e32 v26, v27
	v_dual_ashrrev_i32 v24, 31, v24 :: v_dual_ashrrev_i32 v25, 31, v25
	v_xor_b32_e32 v23, s2, v23
	v_cmp_gt_i32_e64 s5, 0, v27
	v_not_b32_e32 v27, v31
	s_delay_alu instid0(VALU_DEP_4)
	v_dual_ashrrev_i32 v26, 31, v26 :: v_dual_bitop2_b32 v24, s3, v24 bitop3:0x14
	v_xor_b32_e32 v25, s4, v25
	v_bitop3_b32 v22, v22, v23, exec_lo bitop3:0x80
	v_cmp_gt_i32_e32 vcc_lo, 0, v31
	v_ashrrev_i32_e32 v23, 31, v27
	v_not_b32_e32 v27, v36
	v_xor_b32_e32 v26, s5, v26
	v_bitop3_b32 v22, v22, v25, v24 bitop3:0x80
	v_not_b32_e32 v24, v21
	v_xor_b32_e32 v23, vcc_lo, v23
	v_cmp_gt_i32_e32 vcc_lo, 0, v36
	v_ashrrev_i32_e32 v25, 31, v27
	v_cmp_gt_i32_e64 s2, 0, v21
	v_ashrrev_i32_e32 v21, 31, v24
	v_bitop3_b32 v22, v22, v23, v26 bitop3:0x80
	ds_load_b32 v36, v30 offset:64
	v_xor_b32_e32 v23, vcc_lo, v25
	v_xor_b32_e32 v21, s2, v21
	; wave barrier
	s_delay_alu instid0(VALU_DEP_1) | instskip(NEXT) | instid1(VALU_DEP_1)
	v_bitop3_b32 v21, v22, v21, v23 bitop3:0x80
	v_mbcnt_lo_u32_b32 v37, v21, 0
	v_cmp_ne_u32_e64 s2, 0, v21
	s_delay_alu instid0(VALU_DEP_2) | instskip(SKIP_1) | instid1(SALU_CYCLE_1)
	v_cmp_eq_u32_e32 vcc_lo, 0, v37
	s_and_b32 s3, s2, vcc_lo
	s_and_saveexec_b32 s2, s3
	s_cbranch_execz .LBB2898_23
; %bb.22:
	s_wait_dscnt 0x0
	v_bcnt_u32_b32 v21, v21, v36
	ds_store_b32 v30, v21 offset:64
.LBB2898_23:
	;; [unrolled: 64-line block ×6, first 2 shown]
	s_or_b32 exec_lo, exec_lo, s2
	v_lshrrev_b64 v[22:23], s20, v[16:17]
	; wave barrier
	s_delay_alu instid0(VALU_DEP_1) | instskip(SKIP_1) | instid1(VALU_DEP_2)
	v_and_b32_e32 v21, s6, v22
	v_bitop3_b32 v22, v22, 1, s6 bitop3:0x80
	v_mad_u32 v51, 0x44, v21, v20
	s_delay_alu instid0(VALU_DEP_2) | instskip(NEXT) | instid1(VALU_DEP_1)
	v_add_co_u32 v20, s2, v22, -1
	v_cndmask_b32_e64 v22, 0, 1, s2
	v_lshlrev_b32_e32 v23, 30, v21
	s_delay_alu instid0(VALU_DEP_2) | instskip(NEXT) | instid1(VALU_DEP_2)
	v_cmp_ne_u32_e32 vcc_lo, 0, v22
	v_not_b32_e32 v22, v23
	s_delay_alu instid0(VALU_DEP_1) | instskip(SKIP_4) | instid1(VALU_DEP_4)
	v_dual_ashrrev_i32 v22, 31, v22 :: v_dual_bitop2_b32 v20, vcc_lo, v20 bitop3:0x14
	v_dual_lshlrev_b32 v24, 29, v21 :: v_dual_lshlrev_b32 v25, 28, v21
	v_lshlrev_b32_e32 v26, 27, v21
	v_cmp_gt_i32_e64 s2, 0, v23
	v_dual_lshlrev_b32 v27, 26, v21 :: v_dual_lshlrev_b32 v49, 25, v21
	v_cmp_gt_i32_e64 s3, 0, v24
	v_not_b32_e32 v23, v24
	v_not_b32_e32 v24, v25
	v_lshlrev_b32_e32 v21, 24, v21
	v_cmp_gt_i32_e64 s4, 0, v25
	v_not_b32_e32 v25, v26
	s_delay_alu instid0(VALU_DEP_4) | instskip(SKIP_3) | instid1(VALU_DEP_4)
	v_dual_ashrrev_i32 v23, 31, v23 :: v_dual_ashrrev_i32 v24, 31, v24
	v_xor_b32_e32 v22, s2, v22
	v_cmp_gt_i32_e64 s5, 0, v26
	v_not_b32_e32 v26, v27
	v_dual_ashrrev_i32 v25, 31, v25 :: v_dual_bitop2_b32 v23, s3, v23 bitop3:0x14
	v_xor_b32_e32 v24, s4, v24
	v_bitop3_b32 v20, v20, v22, exec_lo bitop3:0x80
	v_cmp_gt_i32_e32 vcc_lo, 0, v27
	v_ashrrev_i32_e32 v22, 31, v26
	v_not_b32_e32 v26, v49
	v_xor_b32_e32 v25, s5, v25
	v_bitop3_b32 v20, v20, v24, v23 bitop3:0x80
	v_not_b32_e32 v23, v21
	v_xor_b32_e32 v22, vcc_lo, v22
	v_cmp_gt_i32_e32 vcc_lo, 0, v49
	v_ashrrev_i32_e32 v24, 31, v26
	v_cmp_gt_i32_e64 s2, 0, v21
	v_ashrrev_i32_e32 v21, 31, v23
	v_bitop3_b32 v20, v20, v22, v25 bitop3:0x80
	ds_load_b32 v49, v51 offset:64
	v_xor_b32_e32 v22, vcc_lo, v24
	v_xor_b32_e32 v21, s2, v21
	; wave barrier
	s_delay_alu instid0(VALU_DEP_1) | instskip(NEXT) | instid1(VALU_DEP_1)
	v_bitop3_b32 v20, v20, v21, v22 bitop3:0x80
	v_mbcnt_lo_u32_b32 v50, v20, 0
	v_cmp_ne_u32_e64 s2, 0, v20
	s_delay_alu instid0(VALU_DEP_2) | instskip(SKIP_1) | instid1(SALU_CYCLE_1)
	v_cmp_eq_u32_e32 vcc_lo, 0, v50
	s_and_b32 s3, s2, vcc_lo
	s_and_saveexec_b32 s2, s3
	s_cbranch_execz .LBB2898_33
; %bb.32:
	s_wait_dscnt 0x0
	v_bcnt_u32_b32 v20, v20, v49
	ds_store_b32 v51, v20 offset:64
.LBB2898_33:
	s_or_b32 exec_lo, exec_lo, s2
	; wave barrier
	s_wait_dscnt 0x0
	s_barrier_signal -1
	s_barrier_wait -1
	ds_load_2addr_b32 v[26:27], v3 offset0:16 offset1:17
	ds_load_2addr_b32 v[24:25], v3 offset0:18 offset1:19
	;; [unrolled: 1-line block ×4, first 2 shown]
	ds_load_b32 v52, v3 offset:96
	v_bfe_i32 v55, v33, 4, 1
	s_mov_b32 s7, exec_lo
	s_wait_dscnt 0x3
	v_add3_u32 v53, v27, v26, v24
	s_wait_dscnt 0x2
	s_delay_alu instid0(VALU_DEP_1) | instskip(SKIP_1) | instid1(VALU_DEP_1)
	v_add3_u32 v53, v53, v25, v22
	s_wait_dscnt 0x1
	v_add3_u32 v53, v53, v23, v20
	s_wait_dscnt 0x0
	s_delay_alu instid0(VALU_DEP_1) | instskip(SKIP_1) | instid1(VALU_DEP_2)
	v_add3_u32 v52, v53, v21, v52
	v_and_b32_e32 v53, 15, v33
	v_mov_b32_dpp v54, v52 row_shr:1 row_mask:0xf bank_mask:0xf
	s_delay_alu instid0(VALU_DEP_2) | instskip(NEXT) | instid1(VALU_DEP_2)
	v_cmp_eq_u32_e32 vcc_lo, 0, v53
	v_cndmask_b32_e64 v54, v54, 0, vcc_lo
	s_delay_alu instid0(VALU_DEP_1) | instskip(SKIP_3) | instid1(VALU_DEP_4)
	v_add_nc_u32_e32 v52, v54, v52
	v_cmp_lt_u32_e64 s2, 1, v53
	v_cmp_lt_u32_e64 s3, 3, v53
	;; [unrolled: 1-line block ×3, first 2 shown]
	v_mov_b32_dpp v54, v52 row_shr:2 row_mask:0xf bank_mask:0xf
	s_delay_alu instid0(VALU_DEP_1) | instskip(NEXT) | instid1(VALU_DEP_1)
	v_cndmask_b32_e64 v54, 0, v54, s2
	v_add_nc_u32_e32 v52, v52, v54
	s_delay_alu instid0(VALU_DEP_1) | instskip(NEXT) | instid1(VALU_DEP_1)
	v_mov_b32_dpp v54, v52 row_shr:4 row_mask:0xf bank_mask:0xf
	v_cndmask_b32_e64 v54, 0, v54, s3
	s_delay_alu instid0(VALU_DEP_1) | instskip(NEXT) | instid1(VALU_DEP_1)
	v_add_nc_u32_e32 v52, v52, v54
	v_mov_b32_dpp v54, v52 row_shr:8 row_mask:0xf bank_mask:0xf
	s_delay_alu instid0(VALU_DEP_1) | instskip(SKIP_1) | instid1(VALU_DEP_2)
	v_cndmask_b32_e64 v53, 0, v54, s4
	v_and_b32_e32 v54, 0x3e0, v32
	v_add_nc_u32_e32 v52, v52, v53
	s_delay_alu instid0(VALU_DEP_2) | instskip(SKIP_3) | instid1(VALU_DEP_1)
	v_min_u32_e32 v54, 0x1e0, v54
	ds_swizzle_b32 v53, v52 offset:swizzle(BROADCAST,32,15)
	s_wait_dscnt 0x0
	v_dual_lshrrev_b32 v53, 5, v32 :: v_dual_bitop2_b32 v55, v55, v53 bitop3:0x40
	v_dual_add_nc_u32 v52, v52, v55 :: v_dual_bitop2_b32 v54, 31, v54 bitop3:0x54
	s_delay_alu instid0(VALU_DEP_1)
	v_cmpx_eq_u32_e64 v32, v54
; %bb.34:
	s_delay_alu instid0(VALU_DEP_3)
	v_lshlrev_b32_e32 v54, 2, v53
	ds_store_b32 v54, v52
; %bb.35:
	s_or_b32 exec_lo, exec_lo, s7
	s_delay_alu instid0(SALU_CYCLE_1)
	s_mov_b32 s7, exec_lo
	s_wait_dscnt 0x0
	s_barrier_signal -1
	s_barrier_wait -1
	v_cmpx_gt_u32_e32 16, v32
	s_cbranch_execz .LBB2898_37
; %bb.36:
	v_lshlrev_b32_e32 v54, 2, v32
	ds_load_b32 v55, v54
	s_wait_dscnt 0x0
	v_mov_b32_dpp v56, v55 row_shr:1 row_mask:0xf bank_mask:0xf
	s_delay_alu instid0(VALU_DEP_1) | instskip(NEXT) | instid1(VALU_DEP_1)
	v_cndmask_b32_e64 v56, v56, 0, vcc_lo
	v_add_nc_u32_e32 v55, v56, v55
	s_delay_alu instid0(VALU_DEP_1) | instskip(NEXT) | instid1(VALU_DEP_1)
	v_mov_b32_dpp v56, v55 row_shr:2 row_mask:0xf bank_mask:0xf
	v_cndmask_b32_e64 v56, 0, v56, s2
	s_delay_alu instid0(VALU_DEP_1) | instskip(NEXT) | instid1(VALU_DEP_1)
	v_add_nc_u32_e32 v55, v55, v56
	v_mov_b32_dpp v56, v55 row_shr:4 row_mask:0xf bank_mask:0xf
	s_delay_alu instid0(VALU_DEP_1) | instskip(NEXT) | instid1(VALU_DEP_1)
	v_cndmask_b32_e64 v56, 0, v56, s3
	v_add_nc_u32_e32 v55, v55, v56
	s_delay_alu instid0(VALU_DEP_1) | instskip(NEXT) | instid1(VALU_DEP_1)
	v_mov_b32_dpp v56, v55 row_shr:8 row_mask:0xf bank_mask:0xf
	v_cndmask_b32_e64 v56, 0, v56, s4
	s_delay_alu instid0(VALU_DEP_1)
	v_add_nc_u32_e32 v55, v55, v56
	ds_store_b32 v54, v55
.LBB2898_37:
	s_or_b32 exec_lo, exec_lo, s7
	v_mov_b32_e32 v54, 0
	s_mov_b32 s2, exec_lo
	s_wait_dscnt 0x0
	s_barrier_signal -1
	s_barrier_wait -1
	v_cmpx_lt_u32_e32 31, v32
; %bb.38:
	v_lshl_add_u32 v53, v53, 2, -4
	ds_load_b32 v54, v53
; %bb.39:
	s_or_b32 exec_lo, exec_lo, s2
	v_sub_co_u32 v53, vcc_lo, v33, 1
	s_wait_dscnt 0x0
	v_add_nc_u32_e32 v52, v54, v52
	s_delay_alu instid0(VALU_DEP_2) | instskip(NEXT) | instid1(VALU_DEP_1)
	v_cmp_gt_i32_e64 s2, 0, v53
	v_cndmask_b32_e64 v53, v53, v33, s2
	v_cmp_lt_u32_e64 s2, 0xff, v32
	s_delay_alu instid0(VALU_DEP_2) | instskip(SKIP_4) | instid1(VALU_DEP_2)
	v_lshlrev_b32_e32 v53, 2, v53
	ds_bpermute_b32 v52, v53, v52
	s_wait_dscnt 0x0
	v_cndmask_b32_e32 v52, v52, v54, vcc_lo
	v_cmp_ne_u32_e32 vcc_lo, 0, v32
	v_cndmask_b32_e32 v52, 0, v52, vcc_lo
	v_cmp_gt_u32_e32 vcc_lo, 0x100, v32
	s_delay_alu instid0(VALU_DEP_2) | instskip(NEXT) | instid1(VALU_DEP_1)
	v_add_nc_u32_e32 v26, v52, v26
	v_add_nc_u32_e32 v27, v26, v27
	s_delay_alu instid0(VALU_DEP_1) | instskip(NEXT) | instid1(VALU_DEP_1)
	v_add_nc_u32_e32 v24, v27, v24
	v_add_nc_u32_e32 v25, v24, v25
	s_delay_alu instid0(VALU_DEP_1) | instskip(NEXT) | instid1(VALU_DEP_1)
	;; [unrolled: 3-line block ×3, first 2 shown]
	v_add_nc_u32_e32 v20, v23, v20
	v_add_nc_u32_e32 v21, v20, v21
	ds_store_2addr_b32 v3, v52, v26 offset0:16 offset1:17
	ds_store_2addr_b32 v3, v27, v24 offset0:18 offset1:19
	;; [unrolled: 1-line block ×4, first 2 shown]
	ds_store_b32 v3, v21 offset:96
	s_wait_dscnt 0x0
	s_barrier_signal -1
	s_barrier_wait -1
	ds_load_b32 v54, v28 offset:64
	ds_load_b32 v23, v29 offset:64
	ds_load_b32 v52, v30 offset:64
	ds_load_b32 v53, v31 offset:64
	ds_load_b32 v43, v43 offset:64
	ds_load_b32 v45, v45 offset:64
	ds_load_b32 v48, v48 offset:64
	ds_load_b32 v51, v51 offset:64
	v_mov_b64_e32 v[20:21], 0
                                        ; implicit-def: $vgpr22
	s_and_saveexec_b32 s4, vcc_lo
	s_cbranch_execz .LBB2898_43
; %bb.40:
	v_mul_u32_u24_e32 v3, 0x44, v32
	v_add_nc_u32_e32 v21, 1, v32
	s_mov_b32 s5, exec_lo
	ds_load_b32 v20, v3 offset:64
	v_mov_b32_e32 v3, 0x1000
	v_cmpx_ne_u32_e32 0x100, v21
; %bb.41:
	v_mul_u32_u24_e32 v3, 0x44, v21
	ds_load_b32 v3, v3 offset:64
; %bb.42:
	s_or_b32 exec_lo, exec_lo, s5
	s_wait_dscnt 0x0
	v_dual_mov_b32 v21, 0 :: v_dual_sub_nc_u32 v22, v3, v20
.LBB2898_43:
	s_or_b32 exec_lo, exec_lo, s4
	v_mov_b32_e32 v25, 0
	s_wait_dscnt 0x0
	s_barrier_signal -1
	s_barrier_wait -1
	s_and_saveexec_b32 s3, vcc_lo
	s_cbranch_execz .LBB2898_53
; %bb.44:
	v_lshl_add_u32 v24, s9, 8, v32
	v_dual_mov_b32 v28, 0 :: v_dual_bitop2_b32 v3, 2.0, v22 bitop3:0x54
	s_mov_b32 s4, 0
	s_mov_b32 s5, s9
	s_delay_alu instid0(VALU_DEP_2)
	v_lshl_add_u64 v[26:27], v[24:25], 2, s[10:11]
	global_store_b32 v24, v3, s[10:11] scale_offset scope:SCOPE_DEV
                                        ; implicit-def: $sgpr7
	s_branch .LBB2898_47
.LBB2898_45:                            ;   in Loop: Header=BB2898_47 Depth=1
	s_or_b32 exec_lo, exec_lo, s8
.LBB2898_46:                            ;   in Loop: Header=BB2898_47 Depth=1
	s_delay_alu instid0(SALU_CYCLE_1) | instskip(SKIP_2) | instid1(VALU_DEP_2)
	s_or_b32 exec_lo, exec_lo, s7
	v_and_b32_e32 v24, 0x3fffffff, v3
	v_cmp_gt_i32_e64 s7, -2.0, v3
	v_add_nc_u32_e32 v28, v24, v28
	s_and_b32 s8, exec_lo, s7
	s_delay_alu instid0(SALU_CYCLE_1) | instskip(NEXT) | instid1(SALU_CYCLE_1)
	s_or_b32 s4, s8, s4
	s_and_not1_b32 exec_lo, exec_lo, s4
	s_cbranch_execz .LBB2898_52
.LBB2898_47:                            ; =>This Loop Header: Depth=1
                                        ;     Child Loop BB2898_50 Depth 2
	s_or_b32 s7, s7, exec_lo
	s_cmp_eq_u32 s5, 0
	s_cbranch_scc1 .LBB2898_51
; %bb.48:                               ;   in Loop: Header=BB2898_47 Depth=1
	s_add_co_i32 s5, s5, -1
	s_mov_b32 s7, exec_lo
	s_wait_xcnt 0x0
	v_lshl_or_b32 v24, s5, 8, v32
	global_load_b32 v3, v24, s[10:11] scale_offset scope:SCOPE_DEV
	s_wait_loadcnt 0x0
	v_cmpx_gt_u32_e32 2.0, v3
	s_cbranch_execz .LBB2898_46
; %bb.49:                               ;   in Loop: Header=BB2898_47 Depth=1
	v_lshl_add_u64 v[30:31], v[24:25], 2, s[10:11]
	s_mov_b32 s8, 0
.LBB2898_50:                            ;   Parent Loop BB2898_47 Depth=1
                                        ; =>  This Inner Loop Header: Depth=2
	global_load_b32 v3, v[30:31], off scope:SCOPE_DEV
	s_wait_loadcnt 0x0
	v_cmp_lt_u32_e32 vcc_lo, 0x3fffffff, v3
	s_or_b32 s8, vcc_lo, s8
	s_wait_xcnt 0x0
	s_and_not1_b32 exec_lo, exec_lo, s8
	s_cbranch_execnz .LBB2898_50
	s_branch .LBB2898_45
.LBB2898_51:                            ;   in Loop: Header=BB2898_47 Depth=1
                                        ; implicit-def: $sgpr5
	s_and_b32 s8, exec_lo, s7
	s_delay_alu instid0(SALU_CYCLE_1)
	s_or_b32 s4, s8, s4
	s_wait_xcnt 0x0
	s_and_not1_b32 exec_lo, exec_lo, s4
	s_cbranch_execnz .LBB2898_47
.LBB2898_52:
	s_or_b32 exec_lo, exec_lo, s4
	v_dual_add_nc_u32 v3, v28, v22 :: v_dual_mov_b32 v29, 0
	s_delay_alu instid0(VALU_DEP_1)
	v_or_b32_e32 v3, 0x80000000, v3
	global_store_b32 v[26:27], v3, off scope:SCOPE_DEV
	global_load_b64 v[24:25], v32, s[12:13] scale_offset
	s_wait_xcnt 0x1
	v_sub_nc_u64_e32 v[26:27], v[28:29], v[20:21]
	s_wait_loadcnt 0x0
	s_delay_alu instid0(VALU_DEP_1)
	v_add_nc_u64_e32 v[24:25], v[26:27], v[24:25]
	ds_store_b64 v2, v[24:25]
.LBB2898_53:
	s_wait_xcnt 0x0
	s_or_b32 exec_lo, exec_lo, s3
	v_dual_mov_b32 v3, 0 :: v_dual_add_nc_u32 v1, v54, v1
	v_add3_u32 v26, v47, v48, v46
	v_add3_u32 v27, v44, v45, v42
	;; [unrolled: 1-line block ×3, first 2 shown]
	s_delay_alu instid0(VALU_DEP_4)
	v_add_nc_u64_e32 v[24:25], s[18:19], v[2:3]
	v_add3_u32 v3, v50, v51, v49
	v_add3_u32 v29, v39, v53, v38
	;; [unrolled: 1-line block ×4, first 2 shown]
	v_mov_b32_e32 v31, v32
	s_mov_b32 s4, -1
	v_add_nc_u64_e32 v[24:25], 0x3000, v[24:25]
	s_mov_b32 s3, 0
	s_branch .LBB2898_55
.LBB2898_54:                            ;   in Loop: Header=BB2898_55 Depth=1
	s_wait_xcnt 0x0
	s_or_b32 exec_lo, exec_lo, s5
	v_add_nc_u64_e32 v[24:25], 0x4000, v[24:25]
	v_add_nc_u32_e32 v31, 0x800, v31
	s_xor_b32 s4, s4, -1
	s_addk_co_i32 s3, 0xf800
	s_and_b32 vcc_lo, exec_lo, s4
	s_mov_b32 s4, 0
	s_wait_storecnt 0x0
	s_barrier_signal -1
	s_barrier_wait -1
	s_cbranch_vccnz .LBB2898_63
.LBB2898_55:                            ; =>This Inner Loop Header: Depth=1
	v_add_min_u32_e64 v34, v1, s3, 0x800
	v_add_min_u32_e64 v35, v23, s3, 0x800
	;; [unrolled: 1-line block ×5, first 2 shown]
	s_delay_alu instid0(VALU_DEP_4) | instskip(NEXT) | instid1(VALU_DEP_3)
	v_dual_lshlrev_b32 v34, 3, v34 :: v_dual_lshlrev_b32 v35, 3, v35
	v_dual_lshlrev_b32 v36, 3, v36 :: v_dual_lshlrev_b32 v37, 3, v37
	s_mov_b32 s5, exec_lo
	ds_store_b64 v34, v[6:7] offset:2048
	ds_store_b64 v35, v[4:5] offset:2048
	;; [unrolled: 1-line block ×3, first 2 shown]
	v_add_min_u32_e64 v34, v27, s3, 0x800
	v_add_min_u32_e64 v35, v26, s3, 0x800
	;; [unrolled: 1-line block ×3, first 2 shown]
	v_lshlrev_b32_e32 v38, 3, v38
	s_delay_alu instid0(VALU_DEP_3) | instskip(NEXT) | instid1(VALU_DEP_3)
	v_dual_lshlrev_b32 v34, 3, v34 :: v_dual_lshlrev_b32 v35, 3, v35
	v_lshlrev_b32_e32 v36, 3, v36
	ds_store_b64 v37, v[8:9] offset:2048
	ds_store_b64 v38, v[14:15] offset:2048
	;; [unrolled: 1-line block ×5, first 2 shown]
	s_wait_storecnt_dscnt 0x0
	s_barrier_signal -1
	s_barrier_wait -1
	v_cmpx_gt_u32_e64 s22, v31
	s_cbranch_execz .LBB2898_57
; %bb.56:                               ;   in Loop: Header=BB2898_55 Depth=1
	ds_load_b64 v[34:35], v2 offset:2048
	s_wait_dscnt 0x0
	v_lshrrev_b64 v[36:37], s20, v[34:35]
	v_not_b32_e32 v35, v35
	v_not_b32_e32 v34, v34
	s_delay_alu instid0(VALU_DEP_3) | instskip(NEXT) | instid1(VALU_DEP_1)
	v_and_b32_e32 v36, s6, v36
	v_lshlrev_b32_e32 v36, 3, v36
	ds_load_b64 v[36:37], v36
	s_wait_dscnt 0x0
	v_lshl_add_u64 v[36:37], v[36:37], 3, v[24:25]
	global_store_b64 v[36:37], v[34:35], off offset:-12288
.LBB2898_57:                            ;   in Loop: Header=BB2898_55 Depth=1
	s_wait_xcnt 0x0
	s_or_b32 exec_lo, exec_lo, s5
	v_add_nc_u32_e32 v34, 0x200, v31
	s_mov_b32 s5, exec_lo
	s_delay_alu instid0(VALU_DEP_1)
	v_cmpx_gt_u32_e64 s22, v34
	s_cbranch_execz .LBB2898_59
; %bb.58:                               ;   in Loop: Header=BB2898_55 Depth=1
	ds_load_b64 v[34:35], v2 offset:6144
	s_wait_dscnt 0x0
	v_lshrrev_b64 v[36:37], s20, v[34:35]
	v_not_b32_e32 v35, v35
	v_not_b32_e32 v34, v34
	s_delay_alu instid0(VALU_DEP_3) | instskip(NEXT) | instid1(VALU_DEP_1)
	v_and_b32_e32 v36, s6, v36
	v_lshlrev_b32_e32 v36, 3, v36
	ds_load_b64 v[36:37], v36
	s_wait_dscnt 0x0
	v_lshl_add_u64 v[36:37], v[36:37], 3, v[24:25]
	global_store_b64 v[36:37], v[34:35], off offset:-8192
.LBB2898_59:                            ;   in Loop: Header=BB2898_55 Depth=1
	s_wait_xcnt 0x0
	s_or_b32 exec_lo, exec_lo, s5
	v_add_nc_u32_e32 v34, 0x400, v31
	s_mov_b32 s5, exec_lo
	s_delay_alu instid0(VALU_DEP_1)
	;; [unrolled: 21-line block ×3, first 2 shown]
	v_cmpx_gt_u32_e64 s22, v34
	s_cbranch_execz .LBB2898_54
; %bb.62:                               ;   in Loop: Header=BB2898_55 Depth=1
	ds_load_b64 v[34:35], v2 offset:14336
	s_wait_dscnt 0x0
	v_lshrrev_b64 v[36:37], s20, v[34:35]
	v_not_b32_e32 v35, v35
	v_not_b32_e32 v34, v34
	s_delay_alu instid0(VALU_DEP_3) | instskip(NEXT) | instid1(VALU_DEP_1)
	v_and_b32_e32 v36, s6, v36
	v_lshlrev_b32_e32 v36, 3, v36
	ds_load_b64 v[36:37], v36
	s_wait_dscnt 0x0
	v_lshl_add_u64 v[36:37], v[36:37], 3, v[24:25]
	global_store_b64 v[36:37], v[34:35], off
	s_branch .LBB2898_54
.LBB2898_63:
	s_add_co_i32 s23, s23, -1
	s_delay_alu instid0(SALU_CYCLE_1) | instskip(SKIP_2) | instid1(SALU_CYCLE_1)
	s_cmp_eq_u32 s9, s23
	s_cselect_b32 s3, -1, 0
	s_xor_b32 s2, s2, -1
	s_and_b32 s3, s2, s3
	s_delay_alu instid0(SALU_CYCLE_1)
	s_and_saveexec_b32 s2, s3
	s_cbranch_execz .LBB2898_65
; %bb.64:
	ds_load_b64 v[2:3], v2
	v_mov_b32_e32 v23, 0
	s_delay_alu instid0(VALU_DEP_1) | instskip(SKIP_1) | instid1(VALU_DEP_1)
	v_add_nc_u64_e32 v[4:5], v[20:21], v[22:23]
	s_wait_dscnt 0x0
	v_add_nc_u64_e32 v[2:3], v[4:5], v[2:3]
	global_store_b64 v32, v[2:3], s[14:15] scale_offset
.LBB2898_65:
	s_wait_xcnt 0x0
	s_or_b32 exec_lo, exec_lo, s2
	s_mov_b32 s2, 0
.LBB2898_66:
	s_delay_alu instid0(SALU_CYCLE_1)
	s_and_b32 vcc_lo, exec_lo, s2
	s_cbranch_vccz .LBB2898_107
; %bb.67:
	s_lshl_b32 s2, s9, 12
	s_mov_b32 s3, 0
	v_dual_mov_b32 v19, 0 :: v_dual_lshlrev_b32 v18, 3, v33
	s_lshl_b64 s[4:5], s[2:3], 3
	v_lshlrev_b32_e32 v1, 6, v32
	s_add_nc_u64 s[4:5], s[16:17], s[4:5]
	s_delay_alu instid0(VALU_DEP_2) | instid1(SALU_CYCLE_1)
	v_add_nc_u64_e32 v[2:3], s[4:5], v[18:19]
	s_delay_alu instid0(VALU_DEP_2) | instskip(NEXT) | instid1(VALU_DEP_1)
	v_and_b32_e32 v18, 0x7800, v1
	v_add_nc_u64_e32 v[2:3], v[2:3], v[18:19]
	v_bfe_u32 v18, v0, 10, 10
	s_clause 0x7
	global_load_b64 v[20:21], v[2:3], off
	global_load_b64 v[16:17], v[2:3], off offset:256
	global_load_b64 v[4:5], v[2:3], off offset:512
	;; [unrolled: 1-line block ×7, first 2 shown]
	s_clause 0x1
	s_load_b32 s7, s[0:1], 0x58
	s_load_u16 s4, s[0:1], 0x66
	s_wait_kmcnt 0x0
	s_cmp_lt_u32 s9, s7
	s_cselect_b32 s2, 12, 18
	s_lshl_b32 s8, -1, s21
	s_add_nc_u64 s[0:1], s[24:25], s[2:3]
	s_load_u16 s0, s[0:1], 0x0
	s_wait_loadcnt 0x7
	v_not_b32_e32 v3, v21
	v_not_b32_e32 v2, v20
	v_bfe_u32 v20, v0, 20, 10
	s_delay_alu instid0(VALU_DEP_2) | instskip(NEXT) | instid1(VALU_DEP_2)
	v_lshrrev_b64 v[0:1], s20, v[2:3]
	v_mad_u32_u24 v1, v20, s4, v18
	s_delay_alu instid0(VALU_DEP_2) | instskip(SKIP_2) | instid1(VALU_DEP_3)
	v_bitop3_b32 v18, v0, 1, s8 bitop3:0x40
	v_bitop3_b32 v20, v0, s8, v0 bitop3:0x30
	s_wait_kmcnt 0x0
	v_mad_u32 v0, v1, s0, v32
	s_delay_alu instid0(VALU_DEP_3) | instskip(NEXT) | instid1(VALU_DEP_1)
	v_add_co_u32 v1, s0, v18, -1
	v_cndmask_b32_e64 v18, 0, 1, s0
	v_dual_lshlrev_b32 v21, 30, v20 :: v_dual_lshlrev_b32 v22, 29, v20
	v_dual_lshlrev_b32 v23, 28, v20 :: v_dual_lshlrev_b32 v24, 27, v20
	s_delay_alu instid0(VALU_DEP_3) | instskip(NEXT) | instid1(VALU_DEP_3)
	v_cmp_ne_u32_e32 vcc_lo, 0, v18
	v_not_b32_e32 v18, v21
	v_dual_lshlrev_b32 v25, 26, v20 :: v_dual_lshlrev_b32 v26, 25, v20
	v_cmp_gt_i32_e64 s0, 0, v21
	v_cmp_gt_i32_e64 s1, 0, v22
	v_not_b32_e32 v21, v22
	v_not_b32_e32 v22, v23
	v_dual_ashrrev_i32 v18, 31, v18 :: v_dual_lshlrev_b32 v27, 24, v20
	v_xor_b32_e32 v1, vcc_lo, v1
	v_cmp_gt_i32_e64 s2, 0, v23
	v_cmp_gt_i32_e64 s3, 0, v24
	v_not_b32_e32 v23, v24
	v_not_b32_e32 v24, v25
	v_dual_ashrrev_i32 v21, 31, v21 :: v_dual_ashrrev_i32 v22, 31, v22
	s_delay_alu instid0(VALU_DEP_3)
	v_dual_ashrrev_i32 v23, 31, v23 :: v_dual_bitop2_b32 v18, s0, v18 bitop3:0x14
	v_cmp_gt_i32_e64 s4, 0, v25
	v_cmp_gt_i32_e64 s5, 0, v26
	v_not_b32_e32 v25, v26
	v_not_b32_e32 v26, v27
	v_dual_ashrrev_i32 v24, 31, v24 :: v_dual_bitop2_b32 v21, s1, v21 bitop3:0x14
	v_xor_b32_e32 v22, s2, v22
	v_bitop3_b32 v1, v1, v18, exec_lo bitop3:0x80
	v_cmp_gt_i32_e64 s6, 0, v27
	v_dual_ashrrev_i32 v18, 31, v25 :: v_dual_ashrrev_i32 v25, 31, v26
	v_xor_b32_e32 v23, s3, v23
	v_xor_b32_e32 v24, s4, v24
	v_bitop3_b32 v1, v1, v22, v21 bitop3:0x80
	s_delay_alu instid0(VALU_DEP_4) | instskip(SKIP_2) | instid1(VALU_DEP_3)
	v_dual_lshrrev_b32 v0, 5, v0 :: v_dual_bitop2_b32 v21, s5, v18 bitop3:0x14
	v_xor_b32_e32 v22, s6, v25
	s_not_b32 s6, s8
	v_bitop3_b32 v1, v1, v24, v23 bitop3:0x80
	s_delay_alu instid0(VALU_DEP_3)
	v_lshlrev_b32_e32 v18, 2, v0
	v_mul_u32_u24_e32 v24, 36, v32
	ds_store_2addr_b32 v24, v19, v19 offset0:16 offset1:17
	ds_store_2addr_b32 v24, v19, v19 offset0:18 offset1:19
	;; [unrolled: 1-line block ×4, first 2 shown]
	v_bitop3_b32 v0, v1, v22, v21 bitop3:0x80
	v_mad_u32 v25, 0x44, v20, v18
	ds_store_b32 v24, v19 offset:96
	s_wait_storecnt 0x0
	s_wait_loadcnt_dscnt 0x0
	s_barrier_signal -1
	v_mbcnt_lo_u32_b32 v30, v0, 0
	v_cmp_ne_u32_e64 s0, 0, v0
	s_barrier_wait -1
	s_delay_alu instid0(VALU_DEP_2) | instskip(SKIP_1) | instid1(SALU_CYCLE_1)
	v_cmp_eq_u32_e32 vcc_lo, 0, v30
	; wave barrier
	s_and_b32 s1, s0, vcc_lo
	s_and_saveexec_b32 s0, s1
; %bb.68:
	v_bcnt_u32_b32 v0, v0, 0
	ds_store_b32 v25, v0 offset:64
; %bb.69:
	s_or_b32 exec_lo, exec_lo, s0
	v_not_b32_e32 v1, v17
	v_not_b32_e32 v0, v16
	; wave barrier
	s_delay_alu instid0(VALU_DEP_1) | instskip(NEXT) | instid1(VALU_DEP_1)
	v_lshrrev_b64 v[16:17], s20, v[0:1]
	v_and_b32_e32 v17, s6, v16
	v_bitop3_b32 v16, v16, 1, s6 bitop3:0x80
	s_delay_alu instid0(VALU_DEP_2) | instskip(NEXT) | instid1(VALU_DEP_2)
	v_lshlrev_b32_e32 v20, 30, v17
	v_add_co_u32 v16, s0, v16, -1
	s_delay_alu instid0(VALU_DEP_1) | instskip(NEXT) | instid1(VALU_DEP_1)
	v_cndmask_b32_e64 v19, 0, 1, s0
	v_cmp_ne_u32_e32 vcc_lo, 0, v19
	s_delay_alu instid0(VALU_DEP_4) | instskip(NEXT) | instid1(VALU_DEP_1)
	v_not_b32_e32 v19, v20
	v_dual_ashrrev_i32 v19, 31, v19 :: v_dual_bitop2_b32 v16, vcc_lo, v16 bitop3:0x14
	v_dual_lshlrev_b32 v21, 29, v17 :: v_dual_lshlrev_b32 v22, 28, v17
	v_dual_lshlrev_b32 v23, 27, v17 :: v_dual_lshlrev_b32 v27, 26, v17
	v_lshlrev_b32_e32 v28, 25, v17
	v_cmp_gt_i32_e64 s0, 0, v20
	s_delay_alu instid0(VALU_DEP_4)
	v_cmp_gt_i32_e64 s1, 0, v21
	v_not_b32_e32 v20, v21
	v_not_b32_e32 v21, v22
	v_mad_u32 v26, 0x44, v17, v18
	v_lshlrev_b32_e32 v17, 24, v17
	v_cmp_gt_i32_e64 s2, 0, v22
	v_cmp_gt_i32_e64 s3, 0, v23
	v_not_b32_e32 v22, v23
	v_not_b32_e32 v23, v27
	v_dual_ashrrev_i32 v20, 31, v20 :: v_dual_ashrrev_i32 v21, 31, v21
	s_delay_alu instid0(VALU_DEP_3) | instskip(SKIP_1) | instid1(VALU_DEP_3)
	v_dual_ashrrev_i32 v22, 31, v22 :: v_dual_bitop2_b32 v19, s0, v19 bitop3:0x14
	v_cmp_gt_i32_e64 s4, 0, v27
	v_dual_ashrrev_i32 v23, 31, v23 :: v_dual_bitop2_b32 v20, s1, v20 bitop3:0x14
	s_delay_alu instid0(VALU_DEP_3)
	v_bitop3_b32 v16, v16, v19, exec_lo bitop3:0x80
	v_not_b32_e32 v19, v28
	v_xor_b32_e32 v21, s2, v21
	v_not_b32_e32 v27, v17
	v_cmp_gt_i32_e64 s5, 0, v28
	v_xor_b32_e32 v22, s3, v22
	v_xor_b32_e32 v23, s4, v23
	v_ashrrev_i32_e32 v19, 31, v19
	v_bitop3_b32 v16, v16, v21, v20 bitop3:0x80
	v_cmp_gt_i32_e32 vcc_lo, 0, v17
	v_ashrrev_i32_e32 v17, 31, v27
	ds_load_b32 v31, v26 offset:64
	v_xor_b32_e32 v19, s5, v19
	v_bitop3_b32 v16, v16, v23, v22 bitop3:0x80
	v_xor_b32_e32 v17, vcc_lo, v17
	; wave barrier
	s_delay_alu instid0(VALU_DEP_1) | instskip(NEXT) | instid1(VALU_DEP_1)
	v_bitop3_b32 v16, v16, v17, v19 bitop3:0x80
	v_mbcnt_lo_u32_b32 v34, v16, 0
	v_cmp_ne_u32_e64 s0, 0, v16
	s_delay_alu instid0(VALU_DEP_2) | instskip(SKIP_1) | instid1(SALU_CYCLE_1)
	v_cmp_eq_u32_e32 vcc_lo, 0, v34
	s_and_b32 s1, s0, vcc_lo
	s_and_saveexec_b32 s0, s1
	s_cbranch_execz .LBB2898_71
; %bb.70:
	s_wait_dscnt 0x0
	v_bcnt_u32_b32 v16, v16, v31
	ds_store_b32 v26, v16 offset:64
.LBB2898_71:
	s_or_b32 exec_lo, exec_lo, s0
	v_not_b32_e32 v5, v5
	v_not_b32_e32 v4, v4
	; wave barrier
	s_delay_alu instid0(VALU_DEP_1) | instskip(NEXT) | instid1(VALU_DEP_1)
	v_lshrrev_b64 v[16:17], s20, v[4:5]
	v_and_b32_e32 v17, s6, v16
	v_bitop3_b32 v16, v16, 1, s6 bitop3:0x80
	s_delay_alu instid0(VALU_DEP_2) | instskip(NEXT) | instid1(VALU_DEP_2)
	v_lshlrev_b32_e32 v20, 30, v17
	v_add_co_u32 v16, s0, v16, -1
	s_delay_alu instid0(VALU_DEP_1) | instskip(NEXT) | instid1(VALU_DEP_1)
	v_cndmask_b32_e64 v19, 0, 1, s0
	v_cmp_ne_u32_e32 vcc_lo, 0, v19
	s_delay_alu instid0(VALU_DEP_4) | instskip(NEXT) | instid1(VALU_DEP_1)
	v_not_b32_e32 v19, v20
	v_dual_ashrrev_i32 v19, 31, v19 :: v_dual_bitop2_b32 v16, vcc_lo, v16 bitop3:0x14
	v_dual_lshlrev_b32 v21, 29, v17 :: v_dual_lshlrev_b32 v22, 28, v17
	v_dual_lshlrev_b32 v23, 27, v17 :: v_dual_lshlrev_b32 v28, 26, v17
	v_lshlrev_b32_e32 v29, 25, v17
	v_cmp_gt_i32_e64 s0, 0, v20
	s_delay_alu instid0(VALU_DEP_4)
	v_cmp_gt_i32_e64 s1, 0, v21
	v_not_b32_e32 v20, v21
	v_not_b32_e32 v21, v22
	v_mad_u32 v27, 0x44, v17, v18
	v_lshlrev_b32_e32 v17, 24, v17
	v_cmp_gt_i32_e64 s2, 0, v22
	v_cmp_gt_i32_e64 s3, 0, v23
	v_not_b32_e32 v22, v23
	v_not_b32_e32 v23, v28
	v_dual_ashrrev_i32 v20, 31, v20 :: v_dual_ashrrev_i32 v21, 31, v21
	s_delay_alu instid0(VALU_DEP_3) | instskip(SKIP_1) | instid1(VALU_DEP_3)
	v_dual_ashrrev_i32 v22, 31, v22 :: v_dual_bitop2_b32 v19, s0, v19 bitop3:0x14
	v_cmp_gt_i32_e64 s4, 0, v28
	v_dual_ashrrev_i32 v23, 31, v23 :: v_dual_bitop2_b32 v20, s1, v20 bitop3:0x14
	s_delay_alu instid0(VALU_DEP_3)
	v_bitop3_b32 v16, v16, v19, exec_lo bitop3:0x80
	v_not_b32_e32 v19, v29
	v_xor_b32_e32 v21, s2, v21
	v_not_b32_e32 v28, v17
	v_cmp_gt_i32_e64 s5, 0, v29
	v_xor_b32_e32 v22, s3, v22
	v_xor_b32_e32 v23, s4, v23
	v_ashrrev_i32_e32 v19, 31, v19
	v_bitop3_b32 v16, v16, v21, v20 bitop3:0x80
	v_cmp_gt_i32_e32 vcc_lo, 0, v17
	v_ashrrev_i32_e32 v17, 31, v28
	ds_load_b32 v35, v27 offset:64
	v_xor_b32_e32 v19, s5, v19
	v_bitop3_b32 v16, v16, v23, v22 bitop3:0x80
	v_xor_b32_e32 v17, vcc_lo, v17
	; wave barrier
	s_delay_alu instid0(VALU_DEP_1) | instskip(NEXT) | instid1(VALU_DEP_1)
	v_bitop3_b32 v16, v16, v17, v19 bitop3:0x80
	v_mbcnt_lo_u32_b32 v36, v16, 0
	v_cmp_ne_u32_e64 s0, 0, v16
	s_delay_alu instid0(VALU_DEP_2) | instskip(SKIP_1) | instid1(SALU_CYCLE_1)
	v_cmp_eq_u32_e32 vcc_lo, 0, v36
	s_and_b32 s1, s0, vcc_lo
	s_and_saveexec_b32 s0, s1
	s_cbranch_execz .LBB2898_73
; %bb.72:
	s_wait_dscnt 0x0
	v_bcnt_u32_b32 v16, v16, v35
	ds_store_b32 v27, v16 offset:64
.LBB2898_73:
	s_or_b32 exec_lo, exec_lo, s0
	v_not_b32_e32 v7, v7
	v_not_b32_e32 v6, v6
	; wave barrier
	s_delay_alu instid0(VALU_DEP_1) | instskip(NEXT) | instid1(VALU_DEP_1)
	v_lshrrev_b64 v[16:17], s20, v[6:7]
	v_and_b32_e32 v17, s6, v16
	v_bitop3_b32 v16, v16, 1, s6 bitop3:0x80
	s_delay_alu instid0(VALU_DEP_2) | instskip(NEXT) | instid1(VALU_DEP_2)
	v_lshlrev_b32_e32 v20, 30, v17
	v_add_co_u32 v16, s0, v16, -1
	s_delay_alu instid0(VALU_DEP_1) | instskip(NEXT) | instid1(VALU_DEP_1)
	v_cndmask_b32_e64 v19, 0, 1, s0
	v_cmp_ne_u32_e32 vcc_lo, 0, v19
	s_delay_alu instid0(VALU_DEP_4) | instskip(NEXT) | instid1(VALU_DEP_1)
	v_not_b32_e32 v19, v20
	v_dual_ashrrev_i32 v19, 31, v19 :: v_dual_bitop2_b32 v16, vcc_lo, v16 bitop3:0x14
	v_dual_lshlrev_b32 v21, 29, v17 :: v_dual_lshlrev_b32 v22, 28, v17
	v_dual_lshlrev_b32 v23, 27, v17 :: v_dual_lshlrev_b32 v29, 26, v17
	v_lshlrev_b32_e32 v37, 25, v17
	v_cmp_gt_i32_e64 s0, 0, v20
	s_delay_alu instid0(VALU_DEP_4)
	v_cmp_gt_i32_e64 s1, 0, v21
	v_not_b32_e32 v20, v21
	v_not_b32_e32 v21, v22
	v_mad_u32 v28, 0x44, v17, v18
	v_lshlrev_b32_e32 v17, 24, v17
	v_cmp_gt_i32_e64 s2, 0, v22
	v_cmp_gt_i32_e64 s3, 0, v23
	v_not_b32_e32 v22, v23
	v_not_b32_e32 v23, v29
	v_dual_ashrrev_i32 v20, 31, v20 :: v_dual_ashrrev_i32 v21, 31, v21
	s_delay_alu instid0(VALU_DEP_3) | instskip(SKIP_1) | instid1(VALU_DEP_3)
	v_dual_ashrrev_i32 v22, 31, v22 :: v_dual_bitop2_b32 v19, s0, v19 bitop3:0x14
	v_cmp_gt_i32_e64 s4, 0, v29
	v_dual_ashrrev_i32 v23, 31, v23 :: v_dual_bitop2_b32 v20, s1, v20 bitop3:0x14
	s_delay_alu instid0(VALU_DEP_3)
	v_bitop3_b32 v16, v16, v19, exec_lo bitop3:0x80
	v_not_b32_e32 v19, v37
	v_xor_b32_e32 v21, s2, v21
	v_not_b32_e32 v29, v17
	v_cmp_gt_i32_e64 s5, 0, v37
	v_xor_b32_e32 v22, s3, v22
	v_xor_b32_e32 v23, s4, v23
	v_ashrrev_i32_e32 v19, 31, v19
	v_bitop3_b32 v16, v16, v21, v20 bitop3:0x80
	v_cmp_gt_i32_e32 vcc_lo, 0, v17
	v_ashrrev_i32_e32 v17, 31, v29
	ds_load_b32 v37, v28 offset:64
	v_xor_b32_e32 v19, s5, v19
	v_bitop3_b32 v16, v16, v23, v22 bitop3:0x80
	v_xor_b32_e32 v17, vcc_lo, v17
	; wave barrier
	s_delay_alu instid0(VALU_DEP_1) | instskip(NEXT) | instid1(VALU_DEP_1)
	v_bitop3_b32 v16, v16, v17, v19 bitop3:0x80
	v_mbcnt_lo_u32_b32 v38, v16, 0
	v_cmp_ne_u32_e64 s0, 0, v16
	s_delay_alu instid0(VALU_DEP_2) | instskip(SKIP_1) | instid1(SALU_CYCLE_1)
	v_cmp_eq_u32_e32 vcc_lo, 0, v38
	s_and_b32 s1, s0, vcc_lo
	s_and_saveexec_b32 s0, s1
	s_cbranch_execz .LBB2898_75
; %bb.74:
	s_wait_dscnt 0x0
	v_bcnt_u32_b32 v16, v16, v37
	ds_store_b32 v28, v16 offset:64
.LBB2898_75:
	s_or_b32 exec_lo, exec_lo, s0
	v_not_b32_e32 v9, v9
	v_not_b32_e32 v8, v8
	; wave barrier
	s_delay_alu instid0(VALU_DEP_1) | instskip(NEXT) | instid1(VALU_DEP_1)
	v_lshrrev_b64 v[16:17], s20, v[8:9]
	v_and_b32_e32 v17, s6, v16
	v_bitop3_b32 v16, v16, 1, s6 bitop3:0x80
	s_delay_alu instid0(VALU_DEP_2) | instskip(NEXT) | instid1(VALU_DEP_2)
	v_lshlrev_b32_e32 v20, 30, v17
	v_add_co_u32 v16, s0, v16, -1
	s_delay_alu instid0(VALU_DEP_1) | instskip(NEXT) | instid1(VALU_DEP_1)
	v_cndmask_b32_e64 v19, 0, 1, s0
	v_cmp_ne_u32_e32 vcc_lo, 0, v19
	s_delay_alu instid0(VALU_DEP_4) | instskip(NEXT) | instid1(VALU_DEP_1)
	v_not_b32_e32 v19, v20
	v_dual_ashrrev_i32 v19, 31, v19 :: v_dual_bitop2_b32 v16, vcc_lo, v16 bitop3:0x14
	v_dual_lshlrev_b32 v21, 29, v17 :: v_dual_lshlrev_b32 v22, 28, v17
	v_dual_lshlrev_b32 v23, 27, v17 :: v_dual_lshlrev_b32 v39, 26, v17
	v_lshlrev_b32_e32 v40, 25, v17
	v_cmp_gt_i32_e64 s0, 0, v20
	s_delay_alu instid0(VALU_DEP_4)
	v_cmp_gt_i32_e64 s1, 0, v21
	v_not_b32_e32 v20, v21
	v_not_b32_e32 v21, v22
	v_mad_u32 v29, 0x44, v17, v18
	v_lshlrev_b32_e32 v17, 24, v17
	v_cmp_gt_i32_e64 s2, 0, v22
	v_cmp_gt_i32_e64 s3, 0, v23
	v_not_b32_e32 v22, v23
	v_not_b32_e32 v23, v39
	v_dual_ashrrev_i32 v20, 31, v20 :: v_dual_ashrrev_i32 v21, 31, v21
	s_delay_alu instid0(VALU_DEP_3) | instskip(SKIP_1) | instid1(VALU_DEP_3)
	v_dual_ashrrev_i32 v22, 31, v22 :: v_dual_bitop2_b32 v19, s0, v19 bitop3:0x14
	v_cmp_gt_i32_e64 s4, 0, v39
	v_dual_ashrrev_i32 v23, 31, v23 :: v_dual_bitop2_b32 v20, s1, v20 bitop3:0x14
	s_delay_alu instid0(VALU_DEP_3)
	v_bitop3_b32 v16, v16, v19, exec_lo bitop3:0x80
	v_not_b32_e32 v19, v40
	v_xor_b32_e32 v21, s2, v21
	v_not_b32_e32 v39, v17
	v_cmp_gt_i32_e64 s5, 0, v40
	v_xor_b32_e32 v22, s3, v22
	v_xor_b32_e32 v23, s4, v23
	v_ashrrev_i32_e32 v19, 31, v19
	v_bitop3_b32 v16, v16, v21, v20 bitop3:0x80
	v_cmp_gt_i32_e32 vcc_lo, 0, v17
	v_ashrrev_i32_e32 v17, 31, v39
	ds_load_b32 v39, v29 offset:64
	v_xor_b32_e32 v19, s5, v19
	v_bitop3_b32 v16, v16, v23, v22 bitop3:0x80
	v_xor_b32_e32 v17, vcc_lo, v17
	; wave barrier
	s_delay_alu instid0(VALU_DEP_1) | instskip(NEXT) | instid1(VALU_DEP_1)
	v_bitop3_b32 v16, v16, v17, v19 bitop3:0x80
	v_mbcnt_lo_u32_b32 v40, v16, 0
	v_cmp_ne_u32_e64 s0, 0, v16
	s_delay_alu instid0(VALU_DEP_2) | instskip(SKIP_1) | instid1(SALU_CYCLE_1)
	v_cmp_eq_u32_e32 vcc_lo, 0, v40
	s_and_b32 s1, s0, vcc_lo
	s_and_saveexec_b32 s0, s1
	s_cbranch_execz .LBB2898_77
; %bb.76:
	s_wait_dscnt 0x0
	v_bcnt_u32_b32 v16, v16, v39
	ds_store_b32 v29, v16 offset:64
.LBB2898_77:
	s_or_b32 exec_lo, exec_lo, s0
	v_not_b32_e32 v13, v13
	v_not_b32_e32 v12, v12
	; wave barrier
	s_delay_alu instid0(VALU_DEP_1) | instskip(NEXT) | instid1(VALU_DEP_1)
	v_lshrrev_b64 v[16:17], s20, v[12:13]
	v_and_b32_e32 v17, s6, v16
	v_bitop3_b32 v16, v16, 1, s6 bitop3:0x80
	s_delay_alu instid0(VALU_DEP_2) | instskip(NEXT) | instid1(VALU_DEP_2)
	v_lshlrev_b32_e32 v20, 30, v17
	v_add_co_u32 v16, s0, v16, -1
	s_delay_alu instid0(VALU_DEP_1) | instskip(NEXT) | instid1(VALU_DEP_1)
	v_cndmask_b32_e64 v19, 0, 1, s0
	v_cmp_ne_u32_e32 vcc_lo, 0, v19
	s_delay_alu instid0(VALU_DEP_4) | instskip(NEXT) | instid1(VALU_DEP_1)
	v_not_b32_e32 v19, v20
	v_dual_ashrrev_i32 v19, 31, v19 :: v_dual_bitop2_b32 v16, vcc_lo, v16 bitop3:0x14
	v_dual_lshlrev_b32 v21, 29, v17 :: v_dual_lshlrev_b32 v22, 28, v17
	v_dual_lshlrev_b32 v23, 27, v17 :: v_dual_lshlrev_b32 v41, 26, v17
	v_lshlrev_b32_e32 v42, 25, v17
	v_cmp_gt_i32_e64 s0, 0, v20
	s_delay_alu instid0(VALU_DEP_4)
	v_cmp_gt_i32_e64 s1, 0, v21
	v_not_b32_e32 v20, v21
	v_not_b32_e32 v21, v22
	v_mad_u32 v43, 0x44, v17, v18
	v_lshlrev_b32_e32 v17, 24, v17
	v_cmp_gt_i32_e64 s2, 0, v22
	v_cmp_gt_i32_e64 s3, 0, v23
	v_not_b32_e32 v22, v23
	v_not_b32_e32 v23, v41
	v_dual_ashrrev_i32 v20, 31, v20 :: v_dual_ashrrev_i32 v21, 31, v21
	s_delay_alu instid0(VALU_DEP_3) | instskip(SKIP_1) | instid1(VALU_DEP_3)
	v_dual_ashrrev_i32 v22, 31, v22 :: v_dual_bitop2_b32 v19, s0, v19 bitop3:0x14
	v_cmp_gt_i32_e64 s4, 0, v41
	v_dual_ashrrev_i32 v23, 31, v23 :: v_dual_bitop2_b32 v20, s1, v20 bitop3:0x14
	s_delay_alu instid0(VALU_DEP_3)
	v_bitop3_b32 v16, v16, v19, exec_lo bitop3:0x80
	v_not_b32_e32 v19, v42
	v_xor_b32_e32 v21, s2, v21
	v_not_b32_e32 v41, v17
	v_cmp_gt_i32_e64 s5, 0, v42
	v_xor_b32_e32 v22, s3, v22
	v_xor_b32_e32 v23, s4, v23
	v_ashrrev_i32_e32 v19, 31, v19
	v_bitop3_b32 v16, v16, v21, v20 bitop3:0x80
	v_cmp_gt_i32_e32 vcc_lo, 0, v17
	v_ashrrev_i32_e32 v17, 31, v41
	ds_load_b32 v41, v43 offset:64
	v_xor_b32_e32 v19, s5, v19
	v_bitop3_b32 v16, v16, v23, v22 bitop3:0x80
	v_xor_b32_e32 v17, vcc_lo, v17
	; wave barrier
	s_delay_alu instid0(VALU_DEP_1) | instskip(NEXT) | instid1(VALU_DEP_1)
	v_bitop3_b32 v16, v16, v17, v19 bitop3:0x80
	v_mbcnt_lo_u32_b32 v42, v16, 0
	v_cmp_ne_u32_e64 s0, 0, v16
	s_delay_alu instid0(VALU_DEP_2) | instskip(SKIP_1) | instid1(SALU_CYCLE_1)
	v_cmp_eq_u32_e32 vcc_lo, 0, v42
	s_and_b32 s1, s0, vcc_lo
	s_and_saveexec_b32 s0, s1
	s_cbranch_execz .LBB2898_79
; %bb.78:
	s_wait_dscnt 0x0
	v_bcnt_u32_b32 v16, v16, v41
	ds_store_b32 v43, v16 offset:64
.LBB2898_79:
	s_or_b32 exec_lo, exec_lo, s0
	v_not_b32_e32 v15, v15
	v_not_b32_e32 v14, v14
	; wave barrier
	s_delay_alu instid0(VALU_DEP_1) | instskip(NEXT) | instid1(VALU_DEP_1)
	v_lshrrev_b64 v[16:17], s20, v[14:15]
	v_and_b32_e32 v17, s6, v16
	v_bitop3_b32 v16, v16, 1, s6 bitop3:0x80
	s_delay_alu instid0(VALU_DEP_2) | instskip(NEXT) | instid1(VALU_DEP_2)
	v_lshlrev_b32_e32 v20, 30, v17
	v_add_co_u32 v16, s0, v16, -1
	s_delay_alu instid0(VALU_DEP_1) | instskip(NEXT) | instid1(VALU_DEP_1)
	v_cndmask_b32_e64 v19, 0, 1, s0
	v_cmp_ne_u32_e32 vcc_lo, 0, v19
	s_delay_alu instid0(VALU_DEP_4) | instskip(NEXT) | instid1(VALU_DEP_1)
	v_not_b32_e32 v19, v20
	v_dual_ashrrev_i32 v19, 31, v19 :: v_dual_bitop2_b32 v16, vcc_lo, v16 bitop3:0x14
	v_dual_lshlrev_b32 v21, 29, v17 :: v_dual_lshlrev_b32 v22, 28, v17
	v_dual_lshlrev_b32 v23, 27, v17 :: v_dual_lshlrev_b32 v44, 26, v17
	v_lshlrev_b32_e32 v45, 25, v17
	v_cmp_gt_i32_e64 s0, 0, v20
	s_delay_alu instid0(VALU_DEP_4)
	v_cmp_gt_i32_e64 s1, 0, v21
	v_not_b32_e32 v20, v21
	v_not_b32_e32 v21, v22
	v_mad_u32 v46, 0x44, v17, v18
	v_lshlrev_b32_e32 v17, 24, v17
	v_cmp_gt_i32_e64 s2, 0, v22
	v_cmp_gt_i32_e64 s3, 0, v23
	v_not_b32_e32 v22, v23
	v_not_b32_e32 v23, v44
	v_dual_ashrrev_i32 v20, 31, v20 :: v_dual_ashrrev_i32 v21, 31, v21
	s_delay_alu instid0(VALU_DEP_3) | instskip(SKIP_1) | instid1(VALU_DEP_3)
	v_dual_ashrrev_i32 v22, 31, v22 :: v_dual_bitop2_b32 v19, s0, v19 bitop3:0x14
	v_cmp_gt_i32_e64 s4, 0, v44
	v_dual_ashrrev_i32 v23, 31, v23 :: v_dual_bitop2_b32 v20, s1, v20 bitop3:0x14
	s_delay_alu instid0(VALU_DEP_3)
	v_bitop3_b32 v16, v16, v19, exec_lo bitop3:0x80
	v_not_b32_e32 v19, v45
	v_xor_b32_e32 v21, s2, v21
	v_not_b32_e32 v44, v17
	v_cmp_gt_i32_e64 s5, 0, v45
	v_xor_b32_e32 v22, s3, v22
	v_xor_b32_e32 v23, s4, v23
	v_ashrrev_i32_e32 v19, 31, v19
	v_bitop3_b32 v16, v16, v21, v20 bitop3:0x80
	v_cmp_gt_i32_e32 vcc_lo, 0, v17
	v_ashrrev_i32_e32 v17, 31, v44
	ds_load_b32 v44, v46 offset:64
	v_xor_b32_e32 v19, s5, v19
	v_bitop3_b32 v16, v16, v23, v22 bitop3:0x80
	v_xor_b32_e32 v17, vcc_lo, v17
	; wave barrier
	s_delay_alu instid0(VALU_DEP_1) | instskip(NEXT) | instid1(VALU_DEP_1)
	v_bitop3_b32 v16, v16, v17, v19 bitop3:0x80
	v_mbcnt_lo_u32_b32 v45, v16, 0
	v_cmp_ne_u32_e64 s0, 0, v16
	s_delay_alu instid0(VALU_DEP_2) | instskip(SKIP_1) | instid1(SALU_CYCLE_1)
	v_cmp_eq_u32_e32 vcc_lo, 0, v45
	s_and_b32 s1, s0, vcc_lo
	s_and_saveexec_b32 s0, s1
	s_cbranch_execz .LBB2898_81
; %bb.80:
	s_wait_dscnt 0x0
	v_bcnt_u32_b32 v16, v16, v44
	ds_store_b32 v46, v16 offset:64
.LBB2898_81:
	s_or_b32 exec_lo, exec_lo, s0
	v_not_b32_e32 v11, v11
	v_not_b32_e32 v10, v10
	; wave barrier
	s_delay_alu instid0(VALU_DEP_1) | instskip(NEXT) | instid1(VALU_DEP_1)
	v_lshrrev_b64 v[16:17], s20, v[10:11]
	v_and_b32_e32 v17, s6, v16
	v_bitop3_b32 v16, v16, 1, s6 bitop3:0x80
	s_delay_alu instid0(VALU_DEP_2) | instskip(NEXT) | instid1(VALU_DEP_2)
	v_mad_u32 v49, 0x44, v17, v18
	v_add_co_u32 v16, s0, v16, -1
	s_delay_alu instid0(VALU_DEP_1) | instskip(SKIP_1) | instid1(VALU_DEP_2)
	v_cndmask_b32_e64 v18, 0, 1, s0
	v_lshlrev_b32_e32 v19, 30, v17
	v_cmp_ne_u32_e32 vcc_lo, 0, v18
	s_delay_alu instid0(VALU_DEP_2) | instskip(NEXT) | instid1(VALU_DEP_1)
	v_not_b32_e32 v18, v19
	v_dual_ashrrev_i32 v18, 31, v18 :: v_dual_bitop2_b32 v16, vcc_lo, v16 bitop3:0x14
	v_dual_lshlrev_b32 v20, 29, v17 :: v_dual_lshlrev_b32 v21, 28, v17
	v_dual_lshlrev_b32 v22, 27, v17 :: v_dual_lshlrev_b32 v23, 26, v17
	v_lshlrev_b32_e32 v47, 25, v17
	v_cmp_gt_i32_e64 s0, 0, v19
	s_delay_alu instid0(VALU_DEP_4)
	v_cmp_gt_i32_e64 s1, 0, v20
	v_not_b32_e32 v19, v20
	v_not_b32_e32 v20, v21
	v_lshlrev_b32_e32 v17, 24, v17
	v_cmp_gt_i32_e64 s2, 0, v21
	v_cmp_gt_i32_e64 s3, 0, v22
	v_not_b32_e32 v21, v22
	v_not_b32_e32 v22, v23
	v_dual_ashrrev_i32 v19, 31, v19 :: v_dual_ashrrev_i32 v20, 31, v20
	s_delay_alu instid0(VALU_DEP_3) | instskip(SKIP_1) | instid1(VALU_DEP_3)
	v_dual_ashrrev_i32 v21, 31, v21 :: v_dual_bitop2_b32 v18, s0, v18 bitop3:0x14
	v_cmp_gt_i32_e64 s4, 0, v23
	v_dual_ashrrev_i32 v22, 31, v22 :: v_dual_bitop2_b32 v19, s1, v19 bitop3:0x14
	s_delay_alu instid0(VALU_DEP_3)
	v_bitop3_b32 v16, v16, v18, exec_lo bitop3:0x80
	v_not_b32_e32 v18, v47
	v_xor_b32_e32 v20, s2, v20
	v_not_b32_e32 v23, v17
	v_cmp_gt_i32_e64 s5, 0, v47
	v_xor_b32_e32 v21, s3, v21
	v_xor_b32_e32 v22, s4, v22
	v_ashrrev_i32_e32 v18, 31, v18
	v_bitop3_b32 v16, v16, v20, v19 bitop3:0x80
	v_cmp_gt_i32_e32 vcc_lo, 0, v17
	v_ashrrev_i32_e32 v17, 31, v23
	ds_load_b32 v47, v49 offset:64
	v_xor_b32_e32 v18, s5, v18
	v_bitop3_b32 v16, v16, v22, v21 bitop3:0x80
	v_xor_b32_e32 v17, vcc_lo, v17
	; wave barrier
	s_delay_alu instid0(VALU_DEP_1) | instskip(NEXT) | instid1(VALU_DEP_1)
	v_bitop3_b32 v16, v16, v17, v18 bitop3:0x80
	v_mbcnt_lo_u32_b32 v48, v16, 0
	v_cmp_ne_u32_e64 s0, 0, v16
	s_delay_alu instid0(VALU_DEP_2) | instskip(SKIP_1) | instid1(SALU_CYCLE_1)
	v_cmp_eq_u32_e32 vcc_lo, 0, v48
	s_and_b32 s1, s0, vcc_lo
	s_and_saveexec_b32 s0, s1
	s_cbranch_execz .LBB2898_83
; %bb.82:
	s_wait_dscnt 0x0
	v_bcnt_u32_b32 v16, v16, v47
	ds_store_b32 v49, v16 offset:64
.LBB2898_83:
	s_or_b32 exec_lo, exec_lo, s0
	; wave barrier
	s_wait_dscnt 0x0
	s_barrier_signal -1
	s_barrier_wait -1
	ds_load_2addr_b32 v[22:23], v24 offset0:16 offset1:17
	ds_load_2addr_b32 v[20:21], v24 offset0:18 offset1:19
	;; [unrolled: 1-line block ×4, first 2 shown]
	ds_load_b32 v50, v24 offset:96
	v_bfe_i32 v53, v33, 4, 1
	s_mov_b32 s4, exec_lo
	s_wait_dscnt 0x3
	v_add3_u32 v51, v23, v22, v20
	s_wait_dscnt 0x2
	s_delay_alu instid0(VALU_DEP_1) | instskip(SKIP_1) | instid1(VALU_DEP_1)
	v_add3_u32 v51, v51, v21, v18
	s_wait_dscnt 0x1
	v_add3_u32 v51, v51, v19, v16
	s_wait_dscnt 0x0
	s_delay_alu instid0(VALU_DEP_1) | instskip(SKIP_1) | instid1(VALU_DEP_2)
	v_add3_u32 v50, v51, v17, v50
	v_and_b32_e32 v51, 15, v33
	v_mov_b32_dpp v52, v50 row_shr:1 row_mask:0xf bank_mask:0xf
	s_delay_alu instid0(VALU_DEP_2) | instskip(NEXT) | instid1(VALU_DEP_2)
	v_cmp_eq_u32_e32 vcc_lo, 0, v51
	v_cndmask_b32_e64 v52, v52, 0, vcc_lo
	s_delay_alu instid0(VALU_DEP_1) | instskip(SKIP_3) | instid1(VALU_DEP_4)
	v_add_nc_u32_e32 v50, v52, v50
	v_cmp_lt_u32_e64 s0, 1, v51
	v_cmp_lt_u32_e64 s1, 3, v51
	;; [unrolled: 1-line block ×3, first 2 shown]
	v_mov_b32_dpp v52, v50 row_shr:2 row_mask:0xf bank_mask:0xf
	s_delay_alu instid0(VALU_DEP_1) | instskip(NEXT) | instid1(VALU_DEP_1)
	v_cndmask_b32_e64 v52, 0, v52, s0
	v_add_nc_u32_e32 v50, v50, v52
	s_delay_alu instid0(VALU_DEP_1) | instskip(NEXT) | instid1(VALU_DEP_1)
	v_mov_b32_dpp v52, v50 row_shr:4 row_mask:0xf bank_mask:0xf
	v_cndmask_b32_e64 v52, 0, v52, s1
	s_delay_alu instid0(VALU_DEP_1) | instskip(NEXT) | instid1(VALU_DEP_1)
	v_add_nc_u32_e32 v50, v50, v52
	v_mov_b32_dpp v52, v50 row_shr:8 row_mask:0xf bank_mask:0xf
	s_delay_alu instid0(VALU_DEP_1) | instskip(SKIP_1) | instid1(VALU_DEP_2)
	v_cndmask_b32_e64 v51, 0, v52, s2
	v_and_b32_e32 v52, 0x3e0, v32
	v_add_nc_u32_e32 v50, v50, v51
	s_delay_alu instid0(VALU_DEP_2) | instskip(SKIP_3) | instid1(VALU_DEP_1)
	v_min_u32_e32 v52, 0x1e0, v52
	ds_swizzle_b32 v51, v50 offset:swizzle(BROADCAST,32,15)
	s_wait_dscnt 0x0
	v_dual_lshrrev_b32 v51, 5, v32 :: v_dual_bitop2_b32 v53, v53, v51 bitop3:0x40
	v_dual_add_nc_u32 v50, v50, v53 :: v_dual_bitop2_b32 v52, 31, v52 bitop3:0x54
	s_delay_alu instid0(VALU_DEP_1)
	v_cmpx_eq_u32_e64 v32, v52
; %bb.84:
	s_delay_alu instid0(VALU_DEP_3)
	v_lshlrev_b32_e32 v52, 2, v51
	ds_store_b32 v52, v50
; %bb.85:
	s_or_b32 exec_lo, exec_lo, s4
	s_delay_alu instid0(SALU_CYCLE_1)
	s_mov_b32 s4, exec_lo
	s_wait_dscnt 0x0
	s_barrier_signal -1
	s_barrier_wait -1
	v_cmpx_gt_u32_e32 16, v32
	s_cbranch_execz .LBB2898_87
; %bb.86:
	v_lshlrev_b32_e32 v52, 2, v32
	ds_load_b32 v53, v52
	s_wait_dscnt 0x0
	v_mov_b32_dpp v54, v53 row_shr:1 row_mask:0xf bank_mask:0xf
	s_delay_alu instid0(VALU_DEP_1) | instskip(NEXT) | instid1(VALU_DEP_1)
	v_cndmask_b32_e64 v54, v54, 0, vcc_lo
	v_add_nc_u32_e32 v53, v54, v53
	s_delay_alu instid0(VALU_DEP_1) | instskip(NEXT) | instid1(VALU_DEP_1)
	v_mov_b32_dpp v54, v53 row_shr:2 row_mask:0xf bank_mask:0xf
	v_cndmask_b32_e64 v54, 0, v54, s0
	s_delay_alu instid0(VALU_DEP_1) | instskip(NEXT) | instid1(VALU_DEP_1)
	v_add_nc_u32_e32 v53, v53, v54
	v_mov_b32_dpp v54, v53 row_shr:4 row_mask:0xf bank_mask:0xf
	s_delay_alu instid0(VALU_DEP_1) | instskip(NEXT) | instid1(VALU_DEP_1)
	v_cndmask_b32_e64 v54, 0, v54, s1
	v_add_nc_u32_e32 v53, v53, v54
	s_delay_alu instid0(VALU_DEP_1) | instskip(NEXT) | instid1(VALU_DEP_1)
	v_mov_b32_dpp v54, v53 row_shr:8 row_mask:0xf bank_mask:0xf
	v_cndmask_b32_e64 v54, 0, v54, s2
	s_delay_alu instid0(VALU_DEP_1)
	v_add_nc_u32_e32 v53, v53, v54
	ds_store_b32 v52, v53
.LBB2898_87:
	s_or_b32 exec_lo, exec_lo, s4
	v_mov_b32_e32 v52, 0
	s_mov_b32 s0, exec_lo
	s_wait_dscnt 0x0
	s_barrier_signal -1
	s_barrier_wait -1
	v_cmpx_lt_u32_e32 31, v32
; %bb.88:
	v_lshl_add_u32 v51, v51, 2, -4
	ds_load_b32 v52, v51
; %bb.89:
	s_or_b32 exec_lo, exec_lo, s0
	v_sub_co_u32 v51, vcc_lo, v33, 1
	s_wait_dscnt 0x0
	v_add_nc_u32_e32 v50, v52, v50
	s_delay_alu instid0(VALU_DEP_2) | instskip(NEXT) | instid1(VALU_DEP_1)
	v_cmp_gt_i32_e64 s0, 0, v51
	v_cndmask_b32_e64 v33, v51, v33, s0
	v_cmp_lt_u32_e64 s0, 0xff, v32
	s_delay_alu instid0(VALU_DEP_2) | instskip(SKIP_4) | instid1(VALU_DEP_2)
	v_lshlrev_b32_e32 v33, 2, v33
	ds_bpermute_b32 v33, v33, v50
	s_wait_dscnt 0x0
	v_cndmask_b32_e32 v33, v33, v52, vcc_lo
	v_cmp_ne_u32_e32 vcc_lo, 0, v32
	v_cndmask_b32_e32 v33, 0, v33, vcc_lo
	v_cmp_gt_u32_e32 vcc_lo, 0x100, v32
	s_delay_alu instid0(VALU_DEP_2) | instskip(NEXT) | instid1(VALU_DEP_1)
	v_add_nc_u32_e32 v22, v33, v22
	v_add_nc_u32_e32 v23, v22, v23
	s_delay_alu instid0(VALU_DEP_1) | instskip(NEXT) | instid1(VALU_DEP_1)
	v_add_nc_u32_e32 v20, v23, v20
	v_add_nc_u32_e32 v21, v20, v21
	s_delay_alu instid0(VALU_DEP_1) | instskip(NEXT) | instid1(VALU_DEP_1)
	;; [unrolled: 3-line block ×3, first 2 shown]
	v_add_nc_u32_e32 v16, v19, v16
	v_add_nc_u32_e32 v17, v16, v17
	ds_store_2addr_b32 v24, v33, v22 offset0:16 offset1:17
	ds_store_2addr_b32 v24, v23, v20 offset0:18 offset1:19
	;; [unrolled: 1-line block ×4, first 2 shown]
	ds_store_b32 v24, v17 offset:96
	s_wait_dscnt 0x0
	s_barrier_signal -1
	s_barrier_wait -1
	ds_load_b32 v21, v25 offset:64
	ds_load_b32 v19, v26 offset:64
	;; [unrolled: 1-line block ×8, first 2 shown]
	v_mov_b64_e32 v[16:17], 0
                                        ; implicit-def: $vgpr18
	s_and_saveexec_b32 s2, vcc_lo
	s_cbranch_execz .LBB2898_93
; %bb.90:
	v_mul_u32_u24_e32 v16, 0x44, v32
	v_dual_mov_b32 v17, 0x1000 :: v_dual_add_nc_u32 v18, 1, v32
	s_mov_b32 s3, exec_lo
	ds_load_b32 v16, v16 offset:64
	v_cmpx_ne_u32_e32 0x100, v18
; %bb.91:
	v_mul_u32_u24_e32 v17, 0x44, v18
	ds_load_b32 v17, v17 offset:64
; %bb.92:
	s_or_b32 exec_lo, exec_lo, s3
	s_wait_dscnt 0x0
	v_dual_mov_b32 v17, 0 :: v_dual_sub_nc_u32 v18, v17, v16
.LBB2898_93:
	s_or_b32 exec_lo, exec_lo, s2
	v_dual_mov_b32 v23, 0 :: v_dual_lshlrev_b32 v20, 3, v32
	s_wait_dscnt 0x0
	s_barrier_signal -1
	s_barrier_wait -1
	s_and_saveexec_b32 s1, vcc_lo
	s_cbranch_execz .LBB2898_103
; %bb.94:
	v_lshl_add_u32 v22, s9, 8, v32
	v_dual_mov_b32 v26, 0 :: v_dual_bitop2_b32 v27, 2.0, v18 bitop3:0x54
	s_mov_b32 s2, 0
	s_mov_b32 s3, s9
	s_delay_alu instid0(VALU_DEP_2)
	v_lshl_add_u64 v[24:25], v[22:23], 2, s[10:11]
	global_store_b32 v22, v27, s[10:11] scale_offset scope:SCOPE_DEV
                                        ; implicit-def: $sgpr4
	s_branch .LBB2898_97
.LBB2898_95:                            ;   in Loop: Header=BB2898_97 Depth=1
	s_or_b32 exec_lo, exec_lo, s5
.LBB2898_96:                            ;   in Loop: Header=BB2898_97 Depth=1
	s_delay_alu instid0(SALU_CYCLE_1) | instskip(SKIP_2) | instid1(VALU_DEP_2)
	s_or_b32 exec_lo, exec_lo, s4
	v_and_b32_e32 v22, 0x3fffffff, v27
	v_cmp_gt_i32_e64 s4, -2.0, v27
	v_add_nc_u32_e32 v26, v22, v26
	s_and_b32 s5, exec_lo, s4
	s_delay_alu instid0(SALU_CYCLE_1) | instskip(NEXT) | instid1(SALU_CYCLE_1)
	s_or_b32 s2, s5, s2
	s_and_not1_b32 exec_lo, exec_lo, s2
	s_cbranch_execz .LBB2898_102
.LBB2898_97:                            ; =>This Loop Header: Depth=1
                                        ;     Child Loop BB2898_100 Depth 2
	s_or_b32 s4, s4, exec_lo
	s_cmp_eq_u32 s3, 0
	s_cbranch_scc1 .LBB2898_101
; %bb.98:                               ;   in Loop: Header=BB2898_97 Depth=1
	s_add_co_i32 s3, s3, -1
	s_mov_b32 s4, exec_lo
	s_wait_xcnt 0x0
	v_lshl_or_b32 v22, s3, 8, v32
	global_load_b32 v27, v22, s[10:11] scale_offset scope:SCOPE_DEV
	s_wait_loadcnt 0x0
	v_cmpx_gt_u32_e32 2.0, v27
	s_cbranch_execz .LBB2898_96
; %bb.99:                               ;   in Loop: Header=BB2898_97 Depth=1
	v_lshl_add_u64 v[28:29], v[22:23], 2, s[10:11]
	s_mov_b32 s5, 0
.LBB2898_100:                           ;   Parent Loop BB2898_97 Depth=1
                                        ; =>  This Inner Loop Header: Depth=2
	global_load_b32 v27, v[28:29], off scope:SCOPE_DEV
	s_wait_loadcnt 0x0
	v_cmp_lt_u32_e32 vcc_lo, 0x3fffffff, v27
	s_or_b32 s5, vcc_lo, s5
	s_wait_xcnt 0x0
	s_and_not1_b32 exec_lo, exec_lo, s5
	s_cbranch_execnz .LBB2898_100
	s_branch .LBB2898_95
.LBB2898_101:                           ;   in Loop: Header=BB2898_97 Depth=1
                                        ; implicit-def: $sgpr3
	s_and_b32 s5, exec_lo, s4
	s_delay_alu instid0(SALU_CYCLE_1)
	s_or_b32 s2, s5, s2
	s_wait_xcnt 0x0
	s_and_not1_b32 exec_lo, exec_lo, s2
	s_cbranch_execnz .LBB2898_97
.LBB2898_102:
	s_or_b32 exec_lo, exec_lo, s2
	v_dual_mov_b32 v27, 0 :: v_dual_add_nc_u32 v22, v26, v18
	s_delay_alu instid0(VALU_DEP_1) | instskip(SKIP_4) | instid1(VALU_DEP_1)
	v_or_b32_e32 v22, 0x80000000, v22
	global_store_b32 v[24:25], v22, off scope:SCOPE_DEV
	global_load_b64 v[22:23], v32, s[12:13] scale_offset
	v_sub_nc_u64_e32 v[24:25], v[26:27], v[16:17]
	s_wait_loadcnt 0x0
	v_add_nc_u64_e32 v[22:23], v[24:25], v[22:23]
	ds_store_b64 v20, v[22:23]
.LBB2898_103:
	s_wait_xcnt 0x0
	s_or_b32 exec_lo, exec_lo, s1
	v_dual_mov_b32 v21, 0 :: v_dual_add_nc_u32 v24, v21, v30
	v_add3_u32 v25, v48, v49, v47
	v_add3_u32 v26, v45, v46, v44
	;; [unrolled: 1-line block ×4, first 2 shown]
	v_add_nc_u64_e32 v[22:23], s[18:19], v[20:21]
	v_add3_u32 v29, v38, v50, v37
	v_add3_u32 v21, v36, v33, v35
	;; [unrolled: 1-line block ×3, first 2 shown]
	s_mov_b32 s2, -1
	s_mov_b32 s1, 0
.LBB2898_104:                           ; =>This Inner Loop Header: Depth=1
	s_wait_xcnt 0x3
	v_add_min_u32_e64 v30, v24, s1, 0x800
	v_add_min_u32_e64 v31, v19, s1, 0x800
	;; [unrolled: 1-line block ×5, first 2 shown]
	s_wait_xcnt 0x2
	v_add_min_u32_e64 v36, v27, s1, 0x800
	v_add_min_u32_e64 v37, v26, s1, 0x800
	s_wait_xcnt 0x1
	v_add_min_u32_e64 v38, v25, s1, 0x800
	v_dual_lshlrev_b32 v30, 3, v30 :: v_dual_lshlrev_b32 v31, 3, v31
	v_dual_lshlrev_b32 v33, 3, v33 :: v_dual_lshlrev_b32 v34, 3, v34
	;; [unrolled: 1-line block ×3, first 2 shown]
	s_delay_alu instid0(VALU_DEP_4)
	v_dual_lshlrev_b32 v37, 3, v37 :: v_dual_lshlrev_b32 v38, 3, v38
	ds_store_b64 v30, v[2:3] offset:2048
	ds_store_b64 v31, v[0:1] offset:2048
	;; [unrolled: 1-line block ×8, first 2 shown]
	s_wait_storecnt_dscnt 0x0
	s_barrier_signal -1
	s_barrier_wait -1
	ds_load_2addr_stride64_b64 v[34:37], v20 offset0:4 offset1:12
	s_wait_xcnt 0x0
	ds_load_2addr_stride64_b64 v[38:41], v20 offset0:20 offset1:28
	s_addk_co_i32 s1, 0xf800
	s_and_b32 vcc_lo, exec_lo, s2
	s_mov_b32 s2, 0
	s_wait_dscnt 0x1
	v_lshrrev_b64 v[30:31], s20, v[34:35]
	s_wait_dscnt 0x0
	v_lshrrev_b64 v[44:45], s20, v[38:39]
	v_lshrrev_b64 v[42:43], s20, v[36:37]
	;; [unrolled: 1-line block ×3, first 2 shown]
	v_not_b32_e32 v35, v35
	v_not_b32_e32 v34, v34
	;; [unrolled: 1-line block ×4, first 2 shown]
	v_and_b32_e32 v33, s6, v44
	v_and_b32_e32 v31, s6, v42
	;; [unrolled: 1-line block ×3, first 2 shown]
	v_not_b32_e32 v39, v39
	v_not_b32_e32 v38, v38
	v_dual_lshlrev_b32 v33, 3, v33 :: v_dual_bitop2_b32 v30, s6, v30 bitop3:0x40
	s_delay_alu instid0(VALU_DEP_4) | instskip(SKIP_2) | instid1(VALU_DEP_4)
	v_dual_lshlrev_b32 v43, 3, v31 :: v_dual_lshlrev_b32 v46, 3, v42
	v_not_b32_e32 v41, v41
	v_not_b32_e32 v40, v40
	v_lshlrev_b32_e32 v30, 3, v30
	ds_load_b64 v[30:31], v30
	ds_load_b64 v[42:43], v43
	;; [unrolled: 1-line block ×4, first 2 shown]
	s_wait_dscnt 0x3
	v_lshl_add_u64 v[30:31], v[30:31], 3, v[22:23]
	s_wait_dscnt 0x2
	v_lshl_add_u64 v[42:43], v[42:43], 3, v[22:23]
	;; [unrolled: 2-line block ×4, first 2 shown]
	v_add_nc_u64_e32 v[22:23], 0x4000, v[22:23]
	s_clause 0x3
	global_store_b64 v[30:31], v[34:35], off
	global_store_b64 v[42:43], v[36:37], off offset:4096
	global_store_b64 v[44:45], v[38:39], off offset:8192
	;; [unrolled: 1-line block ×3, first 2 shown]
	s_wait_storecnt 0x0
	s_barrier_signal -1
	s_barrier_wait -1
	s_cbranch_vccnz .LBB2898_104
; %bb.105:
	s_add_co_i32 s7, s7, -1
	s_delay_alu instid0(SALU_CYCLE_1) | instskip(SKIP_2) | instid1(SALU_CYCLE_1)
	s_cmp_eq_u32 s9, s7
	s_cselect_b32 s1, -1, 0
	s_xor_b32 s0, s0, -1
	s_and_b32 s0, s0, s1
	s_wait_xcnt 0x0
	s_and_saveexec_b32 s1, s0
	s_cbranch_execz .LBB2898_107
; %bb.106:
	ds_load_b64 v[0:1], v20
	v_mov_b32_e32 v19, 0
	s_delay_alu instid0(VALU_DEP_1) | instskip(SKIP_1) | instid1(VALU_DEP_1)
	v_add_nc_u64_e32 v[2:3], v[16:17], v[18:19]
	s_wait_dscnt 0x0
	v_add_nc_u64_e32 v[0:1], v[2:3], v[0:1]
	global_store_b64 v32, v[0:1], s[14:15] scale_offset
.LBB2898_107:
	s_endpgm
	.section	.rodata,"a",@progbits
	.p2align	6, 0x0
	.amdhsa_kernel _ZN7rocprim17ROCPRIM_400000_NS6detail17trampoline_kernelINS0_14default_configENS1_35radix_sort_onesweep_config_selectorImNS0_10empty_typeEEEZZNS1_29radix_sort_onesweep_iterationIS3_Lb1EPKmPmPS5_SB_mNS0_19identity_decomposerENS1_16block_id_wrapperIjLb0EEEEE10hipError_tT1_PNSt15iterator_traitsISG_E10value_typeET2_T3_PNSH_ISM_E10value_typeET4_T5_PSR_SS_PNS1_23onesweep_lookback_stateEbbT6_jjT7_P12ihipStream_tbENKUlT_T0_SG_SL_E_clIS9_SA_SB_SB_EEDaSZ_S10_SG_SL_EUlSZ_E_NS1_11comp_targetILNS1_3genE0ELNS1_11target_archE4294967295ELNS1_3gpuE0ELNS1_3repE0EEENS1_47radix_sort_onesweep_sort_config_static_selectorELNS0_4arch9wavefront6targetE0EEEvSG_
		.amdhsa_group_segment_fixed_size 18504
		.amdhsa_private_segment_fixed_size 0
		.amdhsa_kernarg_size 344
		.amdhsa_user_sgpr_count 2
		.amdhsa_user_sgpr_dispatch_ptr 0
		.amdhsa_user_sgpr_queue_ptr 0
		.amdhsa_user_sgpr_kernarg_segment_ptr 1
		.amdhsa_user_sgpr_dispatch_id 0
		.amdhsa_user_sgpr_kernarg_preload_length 0
		.amdhsa_user_sgpr_kernarg_preload_offset 0
		.amdhsa_user_sgpr_private_segment_size 0
		.amdhsa_wavefront_size32 1
		.amdhsa_uses_dynamic_stack 0
		.amdhsa_enable_private_segment 0
		.amdhsa_system_sgpr_workgroup_id_x 1
		.amdhsa_system_sgpr_workgroup_id_y 0
		.amdhsa_system_sgpr_workgroup_id_z 0
		.amdhsa_system_sgpr_workgroup_info 0
		.amdhsa_system_vgpr_workitem_id 2
		.amdhsa_next_free_vgpr 57
		.amdhsa_next_free_sgpr 28
		.amdhsa_named_barrier_count 0
		.amdhsa_reserve_vcc 1
		.amdhsa_float_round_mode_32 0
		.amdhsa_float_round_mode_16_64 0
		.amdhsa_float_denorm_mode_32 3
		.amdhsa_float_denorm_mode_16_64 3
		.amdhsa_fp16_overflow 0
		.amdhsa_memory_ordered 1
		.amdhsa_forward_progress 1
		.amdhsa_inst_pref_size 88
		.amdhsa_round_robin_scheduling 0
		.amdhsa_exception_fp_ieee_invalid_op 0
		.amdhsa_exception_fp_denorm_src 0
		.amdhsa_exception_fp_ieee_div_zero 0
		.amdhsa_exception_fp_ieee_overflow 0
		.amdhsa_exception_fp_ieee_underflow 0
		.amdhsa_exception_fp_ieee_inexact 0
		.amdhsa_exception_int_div_zero 0
	.end_amdhsa_kernel
	.section	.text._ZN7rocprim17ROCPRIM_400000_NS6detail17trampoline_kernelINS0_14default_configENS1_35radix_sort_onesweep_config_selectorImNS0_10empty_typeEEEZZNS1_29radix_sort_onesweep_iterationIS3_Lb1EPKmPmPS5_SB_mNS0_19identity_decomposerENS1_16block_id_wrapperIjLb0EEEEE10hipError_tT1_PNSt15iterator_traitsISG_E10value_typeET2_T3_PNSH_ISM_E10value_typeET4_T5_PSR_SS_PNS1_23onesweep_lookback_stateEbbT6_jjT7_P12ihipStream_tbENKUlT_T0_SG_SL_E_clIS9_SA_SB_SB_EEDaSZ_S10_SG_SL_EUlSZ_E_NS1_11comp_targetILNS1_3genE0ELNS1_11target_archE4294967295ELNS1_3gpuE0ELNS1_3repE0EEENS1_47radix_sort_onesweep_sort_config_static_selectorELNS0_4arch9wavefront6targetE0EEEvSG_,"axG",@progbits,_ZN7rocprim17ROCPRIM_400000_NS6detail17trampoline_kernelINS0_14default_configENS1_35radix_sort_onesweep_config_selectorImNS0_10empty_typeEEEZZNS1_29radix_sort_onesweep_iterationIS3_Lb1EPKmPmPS5_SB_mNS0_19identity_decomposerENS1_16block_id_wrapperIjLb0EEEEE10hipError_tT1_PNSt15iterator_traitsISG_E10value_typeET2_T3_PNSH_ISM_E10value_typeET4_T5_PSR_SS_PNS1_23onesweep_lookback_stateEbbT6_jjT7_P12ihipStream_tbENKUlT_T0_SG_SL_E_clIS9_SA_SB_SB_EEDaSZ_S10_SG_SL_EUlSZ_E_NS1_11comp_targetILNS1_3genE0ELNS1_11target_archE4294967295ELNS1_3gpuE0ELNS1_3repE0EEENS1_47radix_sort_onesweep_sort_config_static_selectorELNS0_4arch9wavefront6targetE0EEEvSG_,comdat
.Lfunc_end2898:
	.size	_ZN7rocprim17ROCPRIM_400000_NS6detail17trampoline_kernelINS0_14default_configENS1_35radix_sort_onesweep_config_selectorImNS0_10empty_typeEEEZZNS1_29radix_sort_onesweep_iterationIS3_Lb1EPKmPmPS5_SB_mNS0_19identity_decomposerENS1_16block_id_wrapperIjLb0EEEEE10hipError_tT1_PNSt15iterator_traitsISG_E10value_typeET2_T3_PNSH_ISM_E10value_typeET4_T5_PSR_SS_PNS1_23onesweep_lookback_stateEbbT6_jjT7_P12ihipStream_tbENKUlT_T0_SG_SL_E_clIS9_SA_SB_SB_EEDaSZ_S10_SG_SL_EUlSZ_E_NS1_11comp_targetILNS1_3genE0ELNS1_11target_archE4294967295ELNS1_3gpuE0ELNS1_3repE0EEENS1_47radix_sort_onesweep_sort_config_static_selectorELNS0_4arch9wavefront6targetE0EEEvSG_, .Lfunc_end2898-_ZN7rocprim17ROCPRIM_400000_NS6detail17trampoline_kernelINS0_14default_configENS1_35radix_sort_onesweep_config_selectorImNS0_10empty_typeEEEZZNS1_29radix_sort_onesweep_iterationIS3_Lb1EPKmPmPS5_SB_mNS0_19identity_decomposerENS1_16block_id_wrapperIjLb0EEEEE10hipError_tT1_PNSt15iterator_traitsISG_E10value_typeET2_T3_PNSH_ISM_E10value_typeET4_T5_PSR_SS_PNS1_23onesweep_lookback_stateEbbT6_jjT7_P12ihipStream_tbENKUlT_T0_SG_SL_E_clIS9_SA_SB_SB_EEDaSZ_S10_SG_SL_EUlSZ_E_NS1_11comp_targetILNS1_3genE0ELNS1_11target_archE4294967295ELNS1_3gpuE0ELNS1_3repE0EEENS1_47radix_sort_onesweep_sort_config_static_selectorELNS0_4arch9wavefront6targetE0EEEvSG_
                                        ; -- End function
	.set _ZN7rocprim17ROCPRIM_400000_NS6detail17trampoline_kernelINS0_14default_configENS1_35radix_sort_onesweep_config_selectorImNS0_10empty_typeEEEZZNS1_29radix_sort_onesweep_iterationIS3_Lb1EPKmPmPS5_SB_mNS0_19identity_decomposerENS1_16block_id_wrapperIjLb0EEEEE10hipError_tT1_PNSt15iterator_traitsISG_E10value_typeET2_T3_PNSH_ISM_E10value_typeET4_T5_PSR_SS_PNS1_23onesweep_lookback_stateEbbT6_jjT7_P12ihipStream_tbENKUlT_T0_SG_SL_E_clIS9_SA_SB_SB_EEDaSZ_S10_SG_SL_EUlSZ_E_NS1_11comp_targetILNS1_3genE0ELNS1_11target_archE4294967295ELNS1_3gpuE0ELNS1_3repE0EEENS1_47radix_sort_onesweep_sort_config_static_selectorELNS0_4arch9wavefront6targetE0EEEvSG_.num_vgpr, 57
	.set _ZN7rocprim17ROCPRIM_400000_NS6detail17trampoline_kernelINS0_14default_configENS1_35radix_sort_onesweep_config_selectorImNS0_10empty_typeEEEZZNS1_29radix_sort_onesweep_iterationIS3_Lb1EPKmPmPS5_SB_mNS0_19identity_decomposerENS1_16block_id_wrapperIjLb0EEEEE10hipError_tT1_PNSt15iterator_traitsISG_E10value_typeET2_T3_PNSH_ISM_E10value_typeET4_T5_PSR_SS_PNS1_23onesweep_lookback_stateEbbT6_jjT7_P12ihipStream_tbENKUlT_T0_SG_SL_E_clIS9_SA_SB_SB_EEDaSZ_S10_SG_SL_EUlSZ_E_NS1_11comp_targetILNS1_3genE0ELNS1_11target_archE4294967295ELNS1_3gpuE0ELNS1_3repE0EEENS1_47radix_sort_onesweep_sort_config_static_selectorELNS0_4arch9wavefront6targetE0EEEvSG_.num_agpr, 0
	.set _ZN7rocprim17ROCPRIM_400000_NS6detail17trampoline_kernelINS0_14default_configENS1_35radix_sort_onesweep_config_selectorImNS0_10empty_typeEEEZZNS1_29radix_sort_onesweep_iterationIS3_Lb1EPKmPmPS5_SB_mNS0_19identity_decomposerENS1_16block_id_wrapperIjLb0EEEEE10hipError_tT1_PNSt15iterator_traitsISG_E10value_typeET2_T3_PNSH_ISM_E10value_typeET4_T5_PSR_SS_PNS1_23onesweep_lookback_stateEbbT6_jjT7_P12ihipStream_tbENKUlT_T0_SG_SL_E_clIS9_SA_SB_SB_EEDaSZ_S10_SG_SL_EUlSZ_E_NS1_11comp_targetILNS1_3genE0ELNS1_11target_archE4294967295ELNS1_3gpuE0ELNS1_3repE0EEENS1_47radix_sort_onesweep_sort_config_static_selectorELNS0_4arch9wavefront6targetE0EEEvSG_.numbered_sgpr, 28
	.set _ZN7rocprim17ROCPRIM_400000_NS6detail17trampoline_kernelINS0_14default_configENS1_35radix_sort_onesweep_config_selectorImNS0_10empty_typeEEEZZNS1_29radix_sort_onesweep_iterationIS3_Lb1EPKmPmPS5_SB_mNS0_19identity_decomposerENS1_16block_id_wrapperIjLb0EEEEE10hipError_tT1_PNSt15iterator_traitsISG_E10value_typeET2_T3_PNSH_ISM_E10value_typeET4_T5_PSR_SS_PNS1_23onesweep_lookback_stateEbbT6_jjT7_P12ihipStream_tbENKUlT_T0_SG_SL_E_clIS9_SA_SB_SB_EEDaSZ_S10_SG_SL_EUlSZ_E_NS1_11comp_targetILNS1_3genE0ELNS1_11target_archE4294967295ELNS1_3gpuE0ELNS1_3repE0EEENS1_47radix_sort_onesweep_sort_config_static_selectorELNS0_4arch9wavefront6targetE0EEEvSG_.num_named_barrier, 0
	.set _ZN7rocprim17ROCPRIM_400000_NS6detail17trampoline_kernelINS0_14default_configENS1_35radix_sort_onesweep_config_selectorImNS0_10empty_typeEEEZZNS1_29radix_sort_onesweep_iterationIS3_Lb1EPKmPmPS5_SB_mNS0_19identity_decomposerENS1_16block_id_wrapperIjLb0EEEEE10hipError_tT1_PNSt15iterator_traitsISG_E10value_typeET2_T3_PNSH_ISM_E10value_typeET4_T5_PSR_SS_PNS1_23onesweep_lookback_stateEbbT6_jjT7_P12ihipStream_tbENKUlT_T0_SG_SL_E_clIS9_SA_SB_SB_EEDaSZ_S10_SG_SL_EUlSZ_E_NS1_11comp_targetILNS1_3genE0ELNS1_11target_archE4294967295ELNS1_3gpuE0ELNS1_3repE0EEENS1_47radix_sort_onesweep_sort_config_static_selectorELNS0_4arch9wavefront6targetE0EEEvSG_.private_seg_size, 0
	.set _ZN7rocprim17ROCPRIM_400000_NS6detail17trampoline_kernelINS0_14default_configENS1_35radix_sort_onesweep_config_selectorImNS0_10empty_typeEEEZZNS1_29radix_sort_onesweep_iterationIS3_Lb1EPKmPmPS5_SB_mNS0_19identity_decomposerENS1_16block_id_wrapperIjLb0EEEEE10hipError_tT1_PNSt15iterator_traitsISG_E10value_typeET2_T3_PNSH_ISM_E10value_typeET4_T5_PSR_SS_PNS1_23onesweep_lookback_stateEbbT6_jjT7_P12ihipStream_tbENKUlT_T0_SG_SL_E_clIS9_SA_SB_SB_EEDaSZ_S10_SG_SL_EUlSZ_E_NS1_11comp_targetILNS1_3genE0ELNS1_11target_archE4294967295ELNS1_3gpuE0ELNS1_3repE0EEENS1_47radix_sort_onesweep_sort_config_static_selectorELNS0_4arch9wavefront6targetE0EEEvSG_.uses_vcc, 1
	.set _ZN7rocprim17ROCPRIM_400000_NS6detail17trampoline_kernelINS0_14default_configENS1_35radix_sort_onesweep_config_selectorImNS0_10empty_typeEEEZZNS1_29radix_sort_onesweep_iterationIS3_Lb1EPKmPmPS5_SB_mNS0_19identity_decomposerENS1_16block_id_wrapperIjLb0EEEEE10hipError_tT1_PNSt15iterator_traitsISG_E10value_typeET2_T3_PNSH_ISM_E10value_typeET4_T5_PSR_SS_PNS1_23onesweep_lookback_stateEbbT6_jjT7_P12ihipStream_tbENKUlT_T0_SG_SL_E_clIS9_SA_SB_SB_EEDaSZ_S10_SG_SL_EUlSZ_E_NS1_11comp_targetILNS1_3genE0ELNS1_11target_archE4294967295ELNS1_3gpuE0ELNS1_3repE0EEENS1_47radix_sort_onesweep_sort_config_static_selectorELNS0_4arch9wavefront6targetE0EEEvSG_.uses_flat_scratch, 0
	.set _ZN7rocprim17ROCPRIM_400000_NS6detail17trampoline_kernelINS0_14default_configENS1_35radix_sort_onesweep_config_selectorImNS0_10empty_typeEEEZZNS1_29radix_sort_onesweep_iterationIS3_Lb1EPKmPmPS5_SB_mNS0_19identity_decomposerENS1_16block_id_wrapperIjLb0EEEEE10hipError_tT1_PNSt15iterator_traitsISG_E10value_typeET2_T3_PNSH_ISM_E10value_typeET4_T5_PSR_SS_PNS1_23onesweep_lookback_stateEbbT6_jjT7_P12ihipStream_tbENKUlT_T0_SG_SL_E_clIS9_SA_SB_SB_EEDaSZ_S10_SG_SL_EUlSZ_E_NS1_11comp_targetILNS1_3genE0ELNS1_11target_archE4294967295ELNS1_3gpuE0ELNS1_3repE0EEENS1_47radix_sort_onesweep_sort_config_static_selectorELNS0_4arch9wavefront6targetE0EEEvSG_.has_dyn_sized_stack, 0
	.set _ZN7rocprim17ROCPRIM_400000_NS6detail17trampoline_kernelINS0_14default_configENS1_35radix_sort_onesweep_config_selectorImNS0_10empty_typeEEEZZNS1_29radix_sort_onesweep_iterationIS3_Lb1EPKmPmPS5_SB_mNS0_19identity_decomposerENS1_16block_id_wrapperIjLb0EEEEE10hipError_tT1_PNSt15iterator_traitsISG_E10value_typeET2_T3_PNSH_ISM_E10value_typeET4_T5_PSR_SS_PNS1_23onesweep_lookback_stateEbbT6_jjT7_P12ihipStream_tbENKUlT_T0_SG_SL_E_clIS9_SA_SB_SB_EEDaSZ_S10_SG_SL_EUlSZ_E_NS1_11comp_targetILNS1_3genE0ELNS1_11target_archE4294967295ELNS1_3gpuE0ELNS1_3repE0EEENS1_47radix_sort_onesweep_sort_config_static_selectorELNS0_4arch9wavefront6targetE0EEEvSG_.has_recursion, 0
	.set _ZN7rocprim17ROCPRIM_400000_NS6detail17trampoline_kernelINS0_14default_configENS1_35radix_sort_onesweep_config_selectorImNS0_10empty_typeEEEZZNS1_29radix_sort_onesweep_iterationIS3_Lb1EPKmPmPS5_SB_mNS0_19identity_decomposerENS1_16block_id_wrapperIjLb0EEEEE10hipError_tT1_PNSt15iterator_traitsISG_E10value_typeET2_T3_PNSH_ISM_E10value_typeET4_T5_PSR_SS_PNS1_23onesweep_lookback_stateEbbT6_jjT7_P12ihipStream_tbENKUlT_T0_SG_SL_E_clIS9_SA_SB_SB_EEDaSZ_S10_SG_SL_EUlSZ_E_NS1_11comp_targetILNS1_3genE0ELNS1_11target_archE4294967295ELNS1_3gpuE0ELNS1_3repE0EEENS1_47radix_sort_onesweep_sort_config_static_selectorELNS0_4arch9wavefront6targetE0EEEvSG_.has_indirect_call, 0
	.section	.AMDGPU.csdata,"",@progbits
; Kernel info:
; codeLenInByte = 11184
; TotalNumSgprs: 30
; NumVgprs: 57
; ScratchSize: 0
; MemoryBound: 1
; FloatMode: 240
; IeeeMode: 1
; LDSByteSize: 18504 bytes/workgroup (compile time only)
; SGPRBlocks: 0
; VGPRBlocks: 3
; NumSGPRsForWavesPerEU: 30
; NumVGPRsForWavesPerEU: 57
; NamedBarCnt: 0
; Occupancy: 16
; WaveLimiterHint : 1
; COMPUTE_PGM_RSRC2:SCRATCH_EN: 0
; COMPUTE_PGM_RSRC2:USER_SGPR: 2
; COMPUTE_PGM_RSRC2:TRAP_HANDLER: 0
; COMPUTE_PGM_RSRC2:TGID_X_EN: 1
; COMPUTE_PGM_RSRC2:TGID_Y_EN: 0
; COMPUTE_PGM_RSRC2:TGID_Z_EN: 0
; COMPUTE_PGM_RSRC2:TIDIG_COMP_CNT: 2
	.section	.text._ZN7rocprim17ROCPRIM_400000_NS6detail17trampoline_kernelINS0_14default_configENS1_35radix_sort_onesweep_config_selectorImNS0_10empty_typeEEEZZNS1_29radix_sort_onesweep_iterationIS3_Lb1EPKmPmPS5_SB_mNS0_19identity_decomposerENS1_16block_id_wrapperIjLb0EEEEE10hipError_tT1_PNSt15iterator_traitsISG_E10value_typeET2_T3_PNSH_ISM_E10value_typeET4_T5_PSR_SS_PNS1_23onesweep_lookback_stateEbbT6_jjT7_P12ihipStream_tbENKUlT_T0_SG_SL_E_clIS9_SA_SB_SB_EEDaSZ_S10_SG_SL_EUlSZ_E_NS1_11comp_targetILNS1_3genE6ELNS1_11target_archE950ELNS1_3gpuE13ELNS1_3repE0EEENS1_47radix_sort_onesweep_sort_config_static_selectorELNS0_4arch9wavefront6targetE0EEEvSG_,"axG",@progbits,_ZN7rocprim17ROCPRIM_400000_NS6detail17trampoline_kernelINS0_14default_configENS1_35radix_sort_onesweep_config_selectorImNS0_10empty_typeEEEZZNS1_29radix_sort_onesweep_iterationIS3_Lb1EPKmPmPS5_SB_mNS0_19identity_decomposerENS1_16block_id_wrapperIjLb0EEEEE10hipError_tT1_PNSt15iterator_traitsISG_E10value_typeET2_T3_PNSH_ISM_E10value_typeET4_T5_PSR_SS_PNS1_23onesweep_lookback_stateEbbT6_jjT7_P12ihipStream_tbENKUlT_T0_SG_SL_E_clIS9_SA_SB_SB_EEDaSZ_S10_SG_SL_EUlSZ_E_NS1_11comp_targetILNS1_3genE6ELNS1_11target_archE950ELNS1_3gpuE13ELNS1_3repE0EEENS1_47radix_sort_onesweep_sort_config_static_selectorELNS0_4arch9wavefront6targetE0EEEvSG_,comdat
	.protected	_ZN7rocprim17ROCPRIM_400000_NS6detail17trampoline_kernelINS0_14default_configENS1_35radix_sort_onesweep_config_selectorImNS0_10empty_typeEEEZZNS1_29radix_sort_onesweep_iterationIS3_Lb1EPKmPmPS5_SB_mNS0_19identity_decomposerENS1_16block_id_wrapperIjLb0EEEEE10hipError_tT1_PNSt15iterator_traitsISG_E10value_typeET2_T3_PNSH_ISM_E10value_typeET4_T5_PSR_SS_PNS1_23onesweep_lookback_stateEbbT6_jjT7_P12ihipStream_tbENKUlT_T0_SG_SL_E_clIS9_SA_SB_SB_EEDaSZ_S10_SG_SL_EUlSZ_E_NS1_11comp_targetILNS1_3genE6ELNS1_11target_archE950ELNS1_3gpuE13ELNS1_3repE0EEENS1_47radix_sort_onesweep_sort_config_static_selectorELNS0_4arch9wavefront6targetE0EEEvSG_ ; -- Begin function _ZN7rocprim17ROCPRIM_400000_NS6detail17trampoline_kernelINS0_14default_configENS1_35radix_sort_onesweep_config_selectorImNS0_10empty_typeEEEZZNS1_29radix_sort_onesweep_iterationIS3_Lb1EPKmPmPS5_SB_mNS0_19identity_decomposerENS1_16block_id_wrapperIjLb0EEEEE10hipError_tT1_PNSt15iterator_traitsISG_E10value_typeET2_T3_PNSH_ISM_E10value_typeET4_T5_PSR_SS_PNS1_23onesweep_lookback_stateEbbT6_jjT7_P12ihipStream_tbENKUlT_T0_SG_SL_E_clIS9_SA_SB_SB_EEDaSZ_S10_SG_SL_EUlSZ_E_NS1_11comp_targetILNS1_3genE6ELNS1_11target_archE950ELNS1_3gpuE13ELNS1_3repE0EEENS1_47radix_sort_onesweep_sort_config_static_selectorELNS0_4arch9wavefront6targetE0EEEvSG_
	.globl	_ZN7rocprim17ROCPRIM_400000_NS6detail17trampoline_kernelINS0_14default_configENS1_35radix_sort_onesweep_config_selectorImNS0_10empty_typeEEEZZNS1_29radix_sort_onesweep_iterationIS3_Lb1EPKmPmPS5_SB_mNS0_19identity_decomposerENS1_16block_id_wrapperIjLb0EEEEE10hipError_tT1_PNSt15iterator_traitsISG_E10value_typeET2_T3_PNSH_ISM_E10value_typeET4_T5_PSR_SS_PNS1_23onesweep_lookback_stateEbbT6_jjT7_P12ihipStream_tbENKUlT_T0_SG_SL_E_clIS9_SA_SB_SB_EEDaSZ_S10_SG_SL_EUlSZ_E_NS1_11comp_targetILNS1_3genE6ELNS1_11target_archE950ELNS1_3gpuE13ELNS1_3repE0EEENS1_47radix_sort_onesweep_sort_config_static_selectorELNS0_4arch9wavefront6targetE0EEEvSG_
	.p2align	8
	.type	_ZN7rocprim17ROCPRIM_400000_NS6detail17trampoline_kernelINS0_14default_configENS1_35radix_sort_onesweep_config_selectorImNS0_10empty_typeEEEZZNS1_29radix_sort_onesweep_iterationIS3_Lb1EPKmPmPS5_SB_mNS0_19identity_decomposerENS1_16block_id_wrapperIjLb0EEEEE10hipError_tT1_PNSt15iterator_traitsISG_E10value_typeET2_T3_PNSH_ISM_E10value_typeET4_T5_PSR_SS_PNS1_23onesweep_lookback_stateEbbT6_jjT7_P12ihipStream_tbENKUlT_T0_SG_SL_E_clIS9_SA_SB_SB_EEDaSZ_S10_SG_SL_EUlSZ_E_NS1_11comp_targetILNS1_3genE6ELNS1_11target_archE950ELNS1_3gpuE13ELNS1_3repE0EEENS1_47radix_sort_onesweep_sort_config_static_selectorELNS0_4arch9wavefront6targetE0EEEvSG_,@function
_ZN7rocprim17ROCPRIM_400000_NS6detail17trampoline_kernelINS0_14default_configENS1_35radix_sort_onesweep_config_selectorImNS0_10empty_typeEEEZZNS1_29radix_sort_onesweep_iterationIS3_Lb1EPKmPmPS5_SB_mNS0_19identity_decomposerENS1_16block_id_wrapperIjLb0EEEEE10hipError_tT1_PNSt15iterator_traitsISG_E10value_typeET2_T3_PNSH_ISM_E10value_typeET4_T5_PSR_SS_PNS1_23onesweep_lookback_stateEbbT6_jjT7_P12ihipStream_tbENKUlT_T0_SG_SL_E_clIS9_SA_SB_SB_EEDaSZ_S10_SG_SL_EUlSZ_E_NS1_11comp_targetILNS1_3genE6ELNS1_11target_archE950ELNS1_3gpuE13ELNS1_3repE0EEENS1_47radix_sort_onesweep_sort_config_static_selectorELNS0_4arch9wavefront6targetE0EEEvSG_: ; @_ZN7rocprim17ROCPRIM_400000_NS6detail17trampoline_kernelINS0_14default_configENS1_35radix_sort_onesweep_config_selectorImNS0_10empty_typeEEEZZNS1_29radix_sort_onesweep_iterationIS3_Lb1EPKmPmPS5_SB_mNS0_19identity_decomposerENS1_16block_id_wrapperIjLb0EEEEE10hipError_tT1_PNSt15iterator_traitsISG_E10value_typeET2_T3_PNSH_ISM_E10value_typeET4_T5_PSR_SS_PNS1_23onesweep_lookback_stateEbbT6_jjT7_P12ihipStream_tbENKUlT_T0_SG_SL_E_clIS9_SA_SB_SB_EEDaSZ_S10_SG_SL_EUlSZ_E_NS1_11comp_targetILNS1_3genE6ELNS1_11target_archE950ELNS1_3gpuE13ELNS1_3repE0EEENS1_47radix_sort_onesweep_sort_config_static_selectorELNS0_4arch9wavefront6targetE0EEEvSG_
; %bb.0:
	.section	.rodata,"a",@progbits
	.p2align	6, 0x0
	.amdhsa_kernel _ZN7rocprim17ROCPRIM_400000_NS6detail17trampoline_kernelINS0_14default_configENS1_35radix_sort_onesweep_config_selectorImNS0_10empty_typeEEEZZNS1_29radix_sort_onesweep_iterationIS3_Lb1EPKmPmPS5_SB_mNS0_19identity_decomposerENS1_16block_id_wrapperIjLb0EEEEE10hipError_tT1_PNSt15iterator_traitsISG_E10value_typeET2_T3_PNSH_ISM_E10value_typeET4_T5_PSR_SS_PNS1_23onesweep_lookback_stateEbbT6_jjT7_P12ihipStream_tbENKUlT_T0_SG_SL_E_clIS9_SA_SB_SB_EEDaSZ_S10_SG_SL_EUlSZ_E_NS1_11comp_targetILNS1_3genE6ELNS1_11target_archE950ELNS1_3gpuE13ELNS1_3repE0EEENS1_47radix_sort_onesweep_sort_config_static_selectorELNS0_4arch9wavefront6targetE0EEEvSG_
		.amdhsa_group_segment_fixed_size 0
		.amdhsa_private_segment_fixed_size 0
		.amdhsa_kernarg_size 88
		.amdhsa_user_sgpr_count 2
		.amdhsa_user_sgpr_dispatch_ptr 0
		.amdhsa_user_sgpr_queue_ptr 0
		.amdhsa_user_sgpr_kernarg_segment_ptr 1
		.amdhsa_user_sgpr_dispatch_id 0
		.amdhsa_user_sgpr_kernarg_preload_length 0
		.amdhsa_user_sgpr_kernarg_preload_offset 0
		.amdhsa_user_sgpr_private_segment_size 0
		.amdhsa_wavefront_size32 1
		.amdhsa_uses_dynamic_stack 0
		.amdhsa_enable_private_segment 0
		.amdhsa_system_sgpr_workgroup_id_x 1
		.amdhsa_system_sgpr_workgroup_id_y 0
		.amdhsa_system_sgpr_workgroup_id_z 0
		.amdhsa_system_sgpr_workgroup_info 0
		.amdhsa_system_vgpr_workitem_id 0
		.amdhsa_next_free_vgpr 1
		.amdhsa_next_free_sgpr 1
		.amdhsa_named_barrier_count 0
		.amdhsa_reserve_vcc 0
		.amdhsa_float_round_mode_32 0
		.amdhsa_float_round_mode_16_64 0
		.amdhsa_float_denorm_mode_32 3
		.amdhsa_float_denorm_mode_16_64 3
		.amdhsa_fp16_overflow 0
		.amdhsa_memory_ordered 1
		.amdhsa_forward_progress 1
		.amdhsa_inst_pref_size 0
		.amdhsa_round_robin_scheduling 0
		.amdhsa_exception_fp_ieee_invalid_op 0
		.amdhsa_exception_fp_denorm_src 0
		.amdhsa_exception_fp_ieee_div_zero 0
		.amdhsa_exception_fp_ieee_overflow 0
		.amdhsa_exception_fp_ieee_underflow 0
		.amdhsa_exception_fp_ieee_inexact 0
		.amdhsa_exception_int_div_zero 0
	.end_amdhsa_kernel
	.section	.text._ZN7rocprim17ROCPRIM_400000_NS6detail17trampoline_kernelINS0_14default_configENS1_35radix_sort_onesweep_config_selectorImNS0_10empty_typeEEEZZNS1_29radix_sort_onesweep_iterationIS3_Lb1EPKmPmPS5_SB_mNS0_19identity_decomposerENS1_16block_id_wrapperIjLb0EEEEE10hipError_tT1_PNSt15iterator_traitsISG_E10value_typeET2_T3_PNSH_ISM_E10value_typeET4_T5_PSR_SS_PNS1_23onesweep_lookback_stateEbbT6_jjT7_P12ihipStream_tbENKUlT_T0_SG_SL_E_clIS9_SA_SB_SB_EEDaSZ_S10_SG_SL_EUlSZ_E_NS1_11comp_targetILNS1_3genE6ELNS1_11target_archE950ELNS1_3gpuE13ELNS1_3repE0EEENS1_47radix_sort_onesweep_sort_config_static_selectorELNS0_4arch9wavefront6targetE0EEEvSG_,"axG",@progbits,_ZN7rocprim17ROCPRIM_400000_NS6detail17trampoline_kernelINS0_14default_configENS1_35radix_sort_onesweep_config_selectorImNS0_10empty_typeEEEZZNS1_29radix_sort_onesweep_iterationIS3_Lb1EPKmPmPS5_SB_mNS0_19identity_decomposerENS1_16block_id_wrapperIjLb0EEEEE10hipError_tT1_PNSt15iterator_traitsISG_E10value_typeET2_T3_PNSH_ISM_E10value_typeET4_T5_PSR_SS_PNS1_23onesweep_lookback_stateEbbT6_jjT7_P12ihipStream_tbENKUlT_T0_SG_SL_E_clIS9_SA_SB_SB_EEDaSZ_S10_SG_SL_EUlSZ_E_NS1_11comp_targetILNS1_3genE6ELNS1_11target_archE950ELNS1_3gpuE13ELNS1_3repE0EEENS1_47radix_sort_onesweep_sort_config_static_selectorELNS0_4arch9wavefront6targetE0EEEvSG_,comdat
.Lfunc_end2899:
	.size	_ZN7rocprim17ROCPRIM_400000_NS6detail17trampoline_kernelINS0_14default_configENS1_35radix_sort_onesweep_config_selectorImNS0_10empty_typeEEEZZNS1_29radix_sort_onesweep_iterationIS3_Lb1EPKmPmPS5_SB_mNS0_19identity_decomposerENS1_16block_id_wrapperIjLb0EEEEE10hipError_tT1_PNSt15iterator_traitsISG_E10value_typeET2_T3_PNSH_ISM_E10value_typeET4_T5_PSR_SS_PNS1_23onesweep_lookback_stateEbbT6_jjT7_P12ihipStream_tbENKUlT_T0_SG_SL_E_clIS9_SA_SB_SB_EEDaSZ_S10_SG_SL_EUlSZ_E_NS1_11comp_targetILNS1_3genE6ELNS1_11target_archE950ELNS1_3gpuE13ELNS1_3repE0EEENS1_47radix_sort_onesweep_sort_config_static_selectorELNS0_4arch9wavefront6targetE0EEEvSG_, .Lfunc_end2899-_ZN7rocprim17ROCPRIM_400000_NS6detail17trampoline_kernelINS0_14default_configENS1_35radix_sort_onesweep_config_selectorImNS0_10empty_typeEEEZZNS1_29radix_sort_onesweep_iterationIS3_Lb1EPKmPmPS5_SB_mNS0_19identity_decomposerENS1_16block_id_wrapperIjLb0EEEEE10hipError_tT1_PNSt15iterator_traitsISG_E10value_typeET2_T3_PNSH_ISM_E10value_typeET4_T5_PSR_SS_PNS1_23onesweep_lookback_stateEbbT6_jjT7_P12ihipStream_tbENKUlT_T0_SG_SL_E_clIS9_SA_SB_SB_EEDaSZ_S10_SG_SL_EUlSZ_E_NS1_11comp_targetILNS1_3genE6ELNS1_11target_archE950ELNS1_3gpuE13ELNS1_3repE0EEENS1_47radix_sort_onesweep_sort_config_static_selectorELNS0_4arch9wavefront6targetE0EEEvSG_
                                        ; -- End function
	.set _ZN7rocprim17ROCPRIM_400000_NS6detail17trampoline_kernelINS0_14default_configENS1_35radix_sort_onesweep_config_selectorImNS0_10empty_typeEEEZZNS1_29radix_sort_onesweep_iterationIS3_Lb1EPKmPmPS5_SB_mNS0_19identity_decomposerENS1_16block_id_wrapperIjLb0EEEEE10hipError_tT1_PNSt15iterator_traitsISG_E10value_typeET2_T3_PNSH_ISM_E10value_typeET4_T5_PSR_SS_PNS1_23onesweep_lookback_stateEbbT6_jjT7_P12ihipStream_tbENKUlT_T0_SG_SL_E_clIS9_SA_SB_SB_EEDaSZ_S10_SG_SL_EUlSZ_E_NS1_11comp_targetILNS1_3genE6ELNS1_11target_archE950ELNS1_3gpuE13ELNS1_3repE0EEENS1_47radix_sort_onesweep_sort_config_static_selectorELNS0_4arch9wavefront6targetE0EEEvSG_.num_vgpr, 0
	.set _ZN7rocprim17ROCPRIM_400000_NS6detail17trampoline_kernelINS0_14default_configENS1_35radix_sort_onesweep_config_selectorImNS0_10empty_typeEEEZZNS1_29radix_sort_onesweep_iterationIS3_Lb1EPKmPmPS5_SB_mNS0_19identity_decomposerENS1_16block_id_wrapperIjLb0EEEEE10hipError_tT1_PNSt15iterator_traitsISG_E10value_typeET2_T3_PNSH_ISM_E10value_typeET4_T5_PSR_SS_PNS1_23onesweep_lookback_stateEbbT6_jjT7_P12ihipStream_tbENKUlT_T0_SG_SL_E_clIS9_SA_SB_SB_EEDaSZ_S10_SG_SL_EUlSZ_E_NS1_11comp_targetILNS1_3genE6ELNS1_11target_archE950ELNS1_3gpuE13ELNS1_3repE0EEENS1_47radix_sort_onesweep_sort_config_static_selectorELNS0_4arch9wavefront6targetE0EEEvSG_.num_agpr, 0
	.set _ZN7rocprim17ROCPRIM_400000_NS6detail17trampoline_kernelINS0_14default_configENS1_35radix_sort_onesweep_config_selectorImNS0_10empty_typeEEEZZNS1_29radix_sort_onesweep_iterationIS3_Lb1EPKmPmPS5_SB_mNS0_19identity_decomposerENS1_16block_id_wrapperIjLb0EEEEE10hipError_tT1_PNSt15iterator_traitsISG_E10value_typeET2_T3_PNSH_ISM_E10value_typeET4_T5_PSR_SS_PNS1_23onesweep_lookback_stateEbbT6_jjT7_P12ihipStream_tbENKUlT_T0_SG_SL_E_clIS9_SA_SB_SB_EEDaSZ_S10_SG_SL_EUlSZ_E_NS1_11comp_targetILNS1_3genE6ELNS1_11target_archE950ELNS1_3gpuE13ELNS1_3repE0EEENS1_47radix_sort_onesweep_sort_config_static_selectorELNS0_4arch9wavefront6targetE0EEEvSG_.numbered_sgpr, 0
	.set _ZN7rocprim17ROCPRIM_400000_NS6detail17trampoline_kernelINS0_14default_configENS1_35radix_sort_onesweep_config_selectorImNS0_10empty_typeEEEZZNS1_29radix_sort_onesweep_iterationIS3_Lb1EPKmPmPS5_SB_mNS0_19identity_decomposerENS1_16block_id_wrapperIjLb0EEEEE10hipError_tT1_PNSt15iterator_traitsISG_E10value_typeET2_T3_PNSH_ISM_E10value_typeET4_T5_PSR_SS_PNS1_23onesweep_lookback_stateEbbT6_jjT7_P12ihipStream_tbENKUlT_T0_SG_SL_E_clIS9_SA_SB_SB_EEDaSZ_S10_SG_SL_EUlSZ_E_NS1_11comp_targetILNS1_3genE6ELNS1_11target_archE950ELNS1_3gpuE13ELNS1_3repE0EEENS1_47radix_sort_onesweep_sort_config_static_selectorELNS0_4arch9wavefront6targetE0EEEvSG_.num_named_barrier, 0
	.set _ZN7rocprim17ROCPRIM_400000_NS6detail17trampoline_kernelINS0_14default_configENS1_35radix_sort_onesweep_config_selectorImNS0_10empty_typeEEEZZNS1_29radix_sort_onesweep_iterationIS3_Lb1EPKmPmPS5_SB_mNS0_19identity_decomposerENS1_16block_id_wrapperIjLb0EEEEE10hipError_tT1_PNSt15iterator_traitsISG_E10value_typeET2_T3_PNSH_ISM_E10value_typeET4_T5_PSR_SS_PNS1_23onesweep_lookback_stateEbbT6_jjT7_P12ihipStream_tbENKUlT_T0_SG_SL_E_clIS9_SA_SB_SB_EEDaSZ_S10_SG_SL_EUlSZ_E_NS1_11comp_targetILNS1_3genE6ELNS1_11target_archE950ELNS1_3gpuE13ELNS1_3repE0EEENS1_47radix_sort_onesweep_sort_config_static_selectorELNS0_4arch9wavefront6targetE0EEEvSG_.private_seg_size, 0
	.set _ZN7rocprim17ROCPRIM_400000_NS6detail17trampoline_kernelINS0_14default_configENS1_35radix_sort_onesweep_config_selectorImNS0_10empty_typeEEEZZNS1_29radix_sort_onesweep_iterationIS3_Lb1EPKmPmPS5_SB_mNS0_19identity_decomposerENS1_16block_id_wrapperIjLb0EEEEE10hipError_tT1_PNSt15iterator_traitsISG_E10value_typeET2_T3_PNSH_ISM_E10value_typeET4_T5_PSR_SS_PNS1_23onesweep_lookback_stateEbbT6_jjT7_P12ihipStream_tbENKUlT_T0_SG_SL_E_clIS9_SA_SB_SB_EEDaSZ_S10_SG_SL_EUlSZ_E_NS1_11comp_targetILNS1_3genE6ELNS1_11target_archE950ELNS1_3gpuE13ELNS1_3repE0EEENS1_47radix_sort_onesweep_sort_config_static_selectorELNS0_4arch9wavefront6targetE0EEEvSG_.uses_vcc, 0
	.set _ZN7rocprim17ROCPRIM_400000_NS6detail17trampoline_kernelINS0_14default_configENS1_35radix_sort_onesweep_config_selectorImNS0_10empty_typeEEEZZNS1_29radix_sort_onesweep_iterationIS3_Lb1EPKmPmPS5_SB_mNS0_19identity_decomposerENS1_16block_id_wrapperIjLb0EEEEE10hipError_tT1_PNSt15iterator_traitsISG_E10value_typeET2_T3_PNSH_ISM_E10value_typeET4_T5_PSR_SS_PNS1_23onesweep_lookback_stateEbbT6_jjT7_P12ihipStream_tbENKUlT_T0_SG_SL_E_clIS9_SA_SB_SB_EEDaSZ_S10_SG_SL_EUlSZ_E_NS1_11comp_targetILNS1_3genE6ELNS1_11target_archE950ELNS1_3gpuE13ELNS1_3repE0EEENS1_47radix_sort_onesweep_sort_config_static_selectorELNS0_4arch9wavefront6targetE0EEEvSG_.uses_flat_scratch, 0
	.set _ZN7rocprim17ROCPRIM_400000_NS6detail17trampoline_kernelINS0_14default_configENS1_35radix_sort_onesweep_config_selectorImNS0_10empty_typeEEEZZNS1_29radix_sort_onesweep_iterationIS3_Lb1EPKmPmPS5_SB_mNS0_19identity_decomposerENS1_16block_id_wrapperIjLb0EEEEE10hipError_tT1_PNSt15iterator_traitsISG_E10value_typeET2_T3_PNSH_ISM_E10value_typeET4_T5_PSR_SS_PNS1_23onesweep_lookback_stateEbbT6_jjT7_P12ihipStream_tbENKUlT_T0_SG_SL_E_clIS9_SA_SB_SB_EEDaSZ_S10_SG_SL_EUlSZ_E_NS1_11comp_targetILNS1_3genE6ELNS1_11target_archE950ELNS1_3gpuE13ELNS1_3repE0EEENS1_47radix_sort_onesweep_sort_config_static_selectorELNS0_4arch9wavefront6targetE0EEEvSG_.has_dyn_sized_stack, 0
	.set _ZN7rocprim17ROCPRIM_400000_NS6detail17trampoline_kernelINS0_14default_configENS1_35radix_sort_onesweep_config_selectorImNS0_10empty_typeEEEZZNS1_29radix_sort_onesweep_iterationIS3_Lb1EPKmPmPS5_SB_mNS0_19identity_decomposerENS1_16block_id_wrapperIjLb0EEEEE10hipError_tT1_PNSt15iterator_traitsISG_E10value_typeET2_T3_PNSH_ISM_E10value_typeET4_T5_PSR_SS_PNS1_23onesweep_lookback_stateEbbT6_jjT7_P12ihipStream_tbENKUlT_T0_SG_SL_E_clIS9_SA_SB_SB_EEDaSZ_S10_SG_SL_EUlSZ_E_NS1_11comp_targetILNS1_3genE6ELNS1_11target_archE950ELNS1_3gpuE13ELNS1_3repE0EEENS1_47radix_sort_onesweep_sort_config_static_selectorELNS0_4arch9wavefront6targetE0EEEvSG_.has_recursion, 0
	.set _ZN7rocprim17ROCPRIM_400000_NS6detail17trampoline_kernelINS0_14default_configENS1_35radix_sort_onesweep_config_selectorImNS0_10empty_typeEEEZZNS1_29radix_sort_onesweep_iterationIS3_Lb1EPKmPmPS5_SB_mNS0_19identity_decomposerENS1_16block_id_wrapperIjLb0EEEEE10hipError_tT1_PNSt15iterator_traitsISG_E10value_typeET2_T3_PNSH_ISM_E10value_typeET4_T5_PSR_SS_PNS1_23onesweep_lookback_stateEbbT6_jjT7_P12ihipStream_tbENKUlT_T0_SG_SL_E_clIS9_SA_SB_SB_EEDaSZ_S10_SG_SL_EUlSZ_E_NS1_11comp_targetILNS1_3genE6ELNS1_11target_archE950ELNS1_3gpuE13ELNS1_3repE0EEENS1_47radix_sort_onesweep_sort_config_static_selectorELNS0_4arch9wavefront6targetE0EEEvSG_.has_indirect_call, 0
	.section	.AMDGPU.csdata,"",@progbits
; Kernel info:
; codeLenInByte = 0
; TotalNumSgprs: 0
; NumVgprs: 0
; ScratchSize: 0
; MemoryBound: 0
; FloatMode: 240
; IeeeMode: 1
; LDSByteSize: 0 bytes/workgroup (compile time only)
; SGPRBlocks: 0
; VGPRBlocks: 0
; NumSGPRsForWavesPerEU: 1
; NumVGPRsForWavesPerEU: 1
; NamedBarCnt: 0
; Occupancy: 16
; WaveLimiterHint : 0
; COMPUTE_PGM_RSRC2:SCRATCH_EN: 0
; COMPUTE_PGM_RSRC2:USER_SGPR: 2
; COMPUTE_PGM_RSRC2:TRAP_HANDLER: 0
; COMPUTE_PGM_RSRC2:TGID_X_EN: 1
; COMPUTE_PGM_RSRC2:TGID_Y_EN: 0
; COMPUTE_PGM_RSRC2:TGID_Z_EN: 0
; COMPUTE_PGM_RSRC2:TIDIG_COMP_CNT: 0
	.section	.text._ZN7rocprim17ROCPRIM_400000_NS6detail17trampoline_kernelINS0_14default_configENS1_35radix_sort_onesweep_config_selectorImNS0_10empty_typeEEEZZNS1_29radix_sort_onesweep_iterationIS3_Lb1EPKmPmPS5_SB_mNS0_19identity_decomposerENS1_16block_id_wrapperIjLb0EEEEE10hipError_tT1_PNSt15iterator_traitsISG_E10value_typeET2_T3_PNSH_ISM_E10value_typeET4_T5_PSR_SS_PNS1_23onesweep_lookback_stateEbbT6_jjT7_P12ihipStream_tbENKUlT_T0_SG_SL_E_clIS9_SA_SB_SB_EEDaSZ_S10_SG_SL_EUlSZ_E_NS1_11comp_targetILNS1_3genE5ELNS1_11target_archE942ELNS1_3gpuE9ELNS1_3repE0EEENS1_47radix_sort_onesweep_sort_config_static_selectorELNS0_4arch9wavefront6targetE0EEEvSG_,"axG",@progbits,_ZN7rocprim17ROCPRIM_400000_NS6detail17trampoline_kernelINS0_14default_configENS1_35radix_sort_onesweep_config_selectorImNS0_10empty_typeEEEZZNS1_29radix_sort_onesweep_iterationIS3_Lb1EPKmPmPS5_SB_mNS0_19identity_decomposerENS1_16block_id_wrapperIjLb0EEEEE10hipError_tT1_PNSt15iterator_traitsISG_E10value_typeET2_T3_PNSH_ISM_E10value_typeET4_T5_PSR_SS_PNS1_23onesweep_lookback_stateEbbT6_jjT7_P12ihipStream_tbENKUlT_T0_SG_SL_E_clIS9_SA_SB_SB_EEDaSZ_S10_SG_SL_EUlSZ_E_NS1_11comp_targetILNS1_3genE5ELNS1_11target_archE942ELNS1_3gpuE9ELNS1_3repE0EEENS1_47radix_sort_onesweep_sort_config_static_selectorELNS0_4arch9wavefront6targetE0EEEvSG_,comdat
	.protected	_ZN7rocprim17ROCPRIM_400000_NS6detail17trampoline_kernelINS0_14default_configENS1_35radix_sort_onesweep_config_selectorImNS0_10empty_typeEEEZZNS1_29radix_sort_onesweep_iterationIS3_Lb1EPKmPmPS5_SB_mNS0_19identity_decomposerENS1_16block_id_wrapperIjLb0EEEEE10hipError_tT1_PNSt15iterator_traitsISG_E10value_typeET2_T3_PNSH_ISM_E10value_typeET4_T5_PSR_SS_PNS1_23onesweep_lookback_stateEbbT6_jjT7_P12ihipStream_tbENKUlT_T0_SG_SL_E_clIS9_SA_SB_SB_EEDaSZ_S10_SG_SL_EUlSZ_E_NS1_11comp_targetILNS1_3genE5ELNS1_11target_archE942ELNS1_3gpuE9ELNS1_3repE0EEENS1_47radix_sort_onesweep_sort_config_static_selectorELNS0_4arch9wavefront6targetE0EEEvSG_ ; -- Begin function _ZN7rocprim17ROCPRIM_400000_NS6detail17trampoline_kernelINS0_14default_configENS1_35radix_sort_onesweep_config_selectorImNS0_10empty_typeEEEZZNS1_29radix_sort_onesweep_iterationIS3_Lb1EPKmPmPS5_SB_mNS0_19identity_decomposerENS1_16block_id_wrapperIjLb0EEEEE10hipError_tT1_PNSt15iterator_traitsISG_E10value_typeET2_T3_PNSH_ISM_E10value_typeET4_T5_PSR_SS_PNS1_23onesweep_lookback_stateEbbT6_jjT7_P12ihipStream_tbENKUlT_T0_SG_SL_E_clIS9_SA_SB_SB_EEDaSZ_S10_SG_SL_EUlSZ_E_NS1_11comp_targetILNS1_3genE5ELNS1_11target_archE942ELNS1_3gpuE9ELNS1_3repE0EEENS1_47radix_sort_onesweep_sort_config_static_selectorELNS0_4arch9wavefront6targetE0EEEvSG_
	.globl	_ZN7rocprim17ROCPRIM_400000_NS6detail17trampoline_kernelINS0_14default_configENS1_35radix_sort_onesweep_config_selectorImNS0_10empty_typeEEEZZNS1_29radix_sort_onesweep_iterationIS3_Lb1EPKmPmPS5_SB_mNS0_19identity_decomposerENS1_16block_id_wrapperIjLb0EEEEE10hipError_tT1_PNSt15iterator_traitsISG_E10value_typeET2_T3_PNSH_ISM_E10value_typeET4_T5_PSR_SS_PNS1_23onesweep_lookback_stateEbbT6_jjT7_P12ihipStream_tbENKUlT_T0_SG_SL_E_clIS9_SA_SB_SB_EEDaSZ_S10_SG_SL_EUlSZ_E_NS1_11comp_targetILNS1_3genE5ELNS1_11target_archE942ELNS1_3gpuE9ELNS1_3repE0EEENS1_47radix_sort_onesweep_sort_config_static_selectorELNS0_4arch9wavefront6targetE0EEEvSG_
	.p2align	8
	.type	_ZN7rocprim17ROCPRIM_400000_NS6detail17trampoline_kernelINS0_14default_configENS1_35radix_sort_onesweep_config_selectorImNS0_10empty_typeEEEZZNS1_29radix_sort_onesweep_iterationIS3_Lb1EPKmPmPS5_SB_mNS0_19identity_decomposerENS1_16block_id_wrapperIjLb0EEEEE10hipError_tT1_PNSt15iterator_traitsISG_E10value_typeET2_T3_PNSH_ISM_E10value_typeET4_T5_PSR_SS_PNS1_23onesweep_lookback_stateEbbT6_jjT7_P12ihipStream_tbENKUlT_T0_SG_SL_E_clIS9_SA_SB_SB_EEDaSZ_S10_SG_SL_EUlSZ_E_NS1_11comp_targetILNS1_3genE5ELNS1_11target_archE942ELNS1_3gpuE9ELNS1_3repE0EEENS1_47radix_sort_onesweep_sort_config_static_selectorELNS0_4arch9wavefront6targetE0EEEvSG_,@function
_ZN7rocprim17ROCPRIM_400000_NS6detail17trampoline_kernelINS0_14default_configENS1_35radix_sort_onesweep_config_selectorImNS0_10empty_typeEEEZZNS1_29radix_sort_onesweep_iterationIS3_Lb1EPKmPmPS5_SB_mNS0_19identity_decomposerENS1_16block_id_wrapperIjLb0EEEEE10hipError_tT1_PNSt15iterator_traitsISG_E10value_typeET2_T3_PNSH_ISM_E10value_typeET4_T5_PSR_SS_PNS1_23onesweep_lookback_stateEbbT6_jjT7_P12ihipStream_tbENKUlT_T0_SG_SL_E_clIS9_SA_SB_SB_EEDaSZ_S10_SG_SL_EUlSZ_E_NS1_11comp_targetILNS1_3genE5ELNS1_11target_archE942ELNS1_3gpuE9ELNS1_3repE0EEENS1_47radix_sort_onesweep_sort_config_static_selectorELNS0_4arch9wavefront6targetE0EEEvSG_: ; @_ZN7rocprim17ROCPRIM_400000_NS6detail17trampoline_kernelINS0_14default_configENS1_35radix_sort_onesweep_config_selectorImNS0_10empty_typeEEEZZNS1_29radix_sort_onesweep_iterationIS3_Lb1EPKmPmPS5_SB_mNS0_19identity_decomposerENS1_16block_id_wrapperIjLb0EEEEE10hipError_tT1_PNSt15iterator_traitsISG_E10value_typeET2_T3_PNSH_ISM_E10value_typeET4_T5_PSR_SS_PNS1_23onesweep_lookback_stateEbbT6_jjT7_P12ihipStream_tbENKUlT_T0_SG_SL_E_clIS9_SA_SB_SB_EEDaSZ_S10_SG_SL_EUlSZ_E_NS1_11comp_targetILNS1_3genE5ELNS1_11target_archE942ELNS1_3gpuE9ELNS1_3repE0EEENS1_47radix_sort_onesweep_sort_config_static_selectorELNS0_4arch9wavefront6targetE0EEEvSG_
; %bb.0:
	.section	.rodata,"a",@progbits
	.p2align	6, 0x0
	.amdhsa_kernel _ZN7rocprim17ROCPRIM_400000_NS6detail17trampoline_kernelINS0_14default_configENS1_35radix_sort_onesweep_config_selectorImNS0_10empty_typeEEEZZNS1_29radix_sort_onesweep_iterationIS3_Lb1EPKmPmPS5_SB_mNS0_19identity_decomposerENS1_16block_id_wrapperIjLb0EEEEE10hipError_tT1_PNSt15iterator_traitsISG_E10value_typeET2_T3_PNSH_ISM_E10value_typeET4_T5_PSR_SS_PNS1_23onesweep_lookback_stateEbbT6_jjT7_P12ihipStream_tbENKUlT_T0_SG_SL_E_clIS9_SA_SB_SB_EEDaSZ_S10_SG_SL_EUlSZ_E_NS1_11comp_targetILNS1_3genE5ELNS1_11target_archE942ELNS1_3gpuE9ELNS1_3repE0EEENS1_47radix_sort_onesweep_sort_config_static_selectorELNS0_4arch9wavefront6targetE0EEEvSG_
		.amdhsa_group_segment_fixed_size 0
		.amdhsa_private_segment_fixed_size 0
		.amdhsa_kernarg_size 88
		.amdhsa_user_sgpr_count 2
		.amdhsa_user_sgpr_dispatch_ptr 0
		.amdhsa_user_sgpr_queue_ptr 0
		.amdhsa_user_sgpr_kernarg_segment_ptr 1
		.amdhsa_user_sgpr_dispatch_id 0
		.amdhsa_user_sgpr_kernarg_preload_length 0
		.amdhsa_user_sgpr_kernarg_preload_offset 0
		.amdhsa_user_sgpr_private_segment_size 0
		.amdhsa_wavefront_size32 1
		.amdhsa_uses_dynamic_stack 0
		.amdhsa_enable_private_segment 0
		.amdhsa_system_sgpr_workgroup_id_x 1
		.amdhsa_system_sgpr_workgroup_id_y 0
		.amdhsa_system_sgpr_workgroup_id_z 0
		.amdhsa_system_sgpr_workgroup_info 0
		.amdhsa_system_vgpr_workitem_id 0
		.amdhsa_next_free_vgpr 1
		.amdhsa_next_free_sgpr 1
		.amdhsa_named_barrier_count 0
		.amdhsa_reserve_vcc 0
		.amdhsa_float_round_mode_32 0
		.amdhsa_float_round_mode_16_64 0
		.amdhsa_float_denorm_mode_32 3
		.amdhsa_float_denorm_mode_16_64 3
		.amdhsa_fp16_overflow 0
		.amdhsa_memory_ordered 1
		.amdhsa_forward_progress 1
		.amdhsa_inst_pref_size 0
		.amdhsa_round_robin_scheduling 0
		.amdhsa_exception_fp_ieee_invalid_op 0
		.amdhsa_exception_fp_denorm_src 0
		.amdhsa_exception_fp_ieee_div_zero 0
		.amdhsa_exception_fp_ieee_overflow 0
		.amdhsa_exception_fp_ieee_underflow 0
		.amdhsa_exception_fp_ieee_inexact 0
		.amdhsa_exception_int_div_zero 0
	.end_amdhsa_kernel
	.section	.text._ZN7rocprim17ROCPRIM_400000_NS6detail17trampoline_kernelINS0_14default_configENS1_35radix_sort_onesweep_config_selectorImNS0_10empty_typeEEEZZNS1_29radix_sort_onesweep_iterationIS3_Lb1EPKmPmPS5_SB_mNS0_19identity_decomposerENS1_16block_id_wrapperIjLb0EEEEE10hipError_tT1_PNSt15iterator_traitsISG_E10value_typeET2_T3_PNSH_ISM_E10value_typeET4_T5_PSR_SS_PNS1_23onesweep_lookback_stateEbbT6_jjT7_P12ihipStream_tbENKUlT_T0_SG_SL_E_clIS9_SA_SB_SB_EEDaSZ_S10_SG_SL_EUlSZ_E_NS1_11comp_targetILNS1_3genE5ELNS1_11target_archE942ELNS1_3gpuE9ELNS1_3repE0EEENS1_47radix_sort_onesweep_sort_config_static_selectorELNS0_4arch9wavefront6targetE0EEEvSG_,"axG",@progbits,_ZN7rocprim17ROCPRIM_400000_NS6detail17trampoline_kernelINS0_14default_configENS1_35radix_sort_onesweep_config_selectorImNS0_10empty_typeEEEZZNS1_29radix_sort_onesweep_iterationIS3_Lb1EPKmPmPS5_SB_mNS0_19identity_decomposerENS1_16block_id_wrapperIjLb0EEEEE10hipError_tT1_PNSt15iterator_traitsISG_E10value_typeET2_T3_PNSH_ISM_E10value_typeET4_T5_PSR_SS_PNS1_23onesweep_lookback_stateEbbT6_jjT7_P12ihipStream_tbENKUlT_T0_SG_SL_E_clIS9_SA_SB_SB_EEDaSZ_S10_SG_SL_EUlSZ_E_NS1_11comp_targetILNS1_3genE5ELNS1_11target_archE942ELNS1_3gpuE9ELNS1_3repE0EEENS1_47radix_sort_onesweep_sort_config_static_selectorELNS0_4arch9wavefront6targetE0EEEvSG_,comdat
.Lfunc_end2900:
	.size	_ZN7rocprim17ROCPRIM_400000_NS6detail17trampoline_kernelINS0_14default_configENS1_35radix_sort_onesweep_config_selectorImNS0_10empty_typeEEEZZNS1_29radix_sort_onesweep_iterationIS3_Lb1EPKmPmPS5_SB_mNS0_19identity_decomposerENS1_16block_id_wrapperIjLb0EEEEE10hipError_tT1_PNSt15iterator_traitsISG_E10value_typeET2_T3_PNSH_ISM_E10value_typeET4_T5_PSR_SS_PNS1_23onesweep_lookback_stateEbbT6_jjT7_P12ihipStream_tbENKUlT_T0_SG_SL_E_clIS9_SA_SB_SB_EEDaSZ_S10_SG_SL_EUlSZ_E_NS1_11comp_targetILNS1_3genE5ELNS1_11target_archE942ELNS1_3gpuE9ELNS1_3repE0EEENS1_47radix_sort_onesweep_sort_config_static_selectorELNS0_4arch9wavefront6targetE0EEEvSG_, .Lfunc_end2900-_ZN7rocprim17ROCPRIM_400000_NS6detail17trampoline_kernelINS0_14default_configENS1_35radix_sort_onesweep_config_selectorImNS0_10empty_typeEEEZZNS1_29radix_sort_onesweep_iterationIS3_Lb1EPKmPmPS5_SB_mNS0_19identity_decomposerENS1_16block_id_wrapperIjLb0EEEEE10hipError_tT1_PNSt15iterator_traitsISG_E10value_typeET2_T3_PNSH_ISM_E10value_typeET4_T5_PSR_SS_PNS1_23onesweep_lookback_stateEbbT6_jjT7_P12ihipStream_tbENKUlT_T0_SG_SL_E_clIS9_SA_SB_SB_EEDaSZ_S10_SG_SL_EUlSZ_E_NS1_11comp_targetILNS1_3genE5ELNS1_11target_archE942ELNS1_3gpuE9ELNS1_3repE0EEENS1_47radix_sort_onesweep_sort_config_static_selectorELNS0_4arch9wavefront6targetE0EEEvSG_
                                        ; -- End function
	.set _ZN7rocprim17ROCPRIM_400000_NS6detail17trampoline_kernelINS0_14default_configENS1_35radix_sort_onesweep_config_selectorImNS0_10empty_typeEEEZZNS1_29radix_sort_onesweep_iterationIS3_Lb1EPKmPmPS5_SB_mNS0_19identity_decomposerENS1_16block_id_wrapperIjLb0EEEEE10hipError_tT1_PNSt15iterator_traitsISG_E10value_typeET2_T3_PNSH_ISM_E10value_typeET4_T5_PSR_SS_PNS1_23onesweep_lookback_stateEbbT6_jjT7_P12ihipStream_tbENKUlT_T0_SG_SL_E_clIS9_SA_SB_SB_EEDaSZ_S10_SG_SL_EUlSZ_E_NS1_11comp_targetILNS1_3genE5ELNS1_11target_archE942ELNS1_3gpuE9ELNS1_3repE0EEENS1_47radix_sort_onesweep_sort_config_static_selectorELNS0_4arch9wavefront6targetE0EEEvSG_.num_vgpr, 0
	.set _ZN7rocprim17ROCPRIM_400000_NS6detail17trampoline_kernelINS0_14default_configENS1_35radix_sort_onesweep_config_selectorImNS0_10empty_typeEEEZZNS1_29radix_sort_onesweep_iterationIS3_Lb1EPKmPmPS5_SB_mNS0_19identity_decomposerENS1_16block_id_wrapperIjLb0EEEEE10hipError_tT1_PNSt15iterator_traitsISG_E10value_typeET2_T3_PNSH_ISM_E10value_typeET4_T5_PSR_SS_PNS1_23onesweep_lookback_stateEbbT6_jjT7_P12ihipStream_tbENKUlT_T0_SG_SL_E_clIS9_SA_SB_SB_EEDaSZ_S10_SG_SL_EUlSZ_E_NS1_11comp_targetILNS1_3genE5ELNS1_11target_archE942ELNS1_3gpuE9ELNS1_3repE0EEENS1_47radix_sort_onesweep_sort_config_static_selectorELNS0_4arch9wavefront6targetE0EEEvSG_.num_agpr, 0
	.set _ZN7rocprim17ROCPRIM_400000_NS6detail17trampoline_kernelINS0_14default_configENS1_35radix_sort_onesweep_config_selectorImNS0_10empty_typeEEEZZNS1_29radix_sort_onesweep_iterationIS3_Lb1EPKmPmPS5_SB_mNS0_19identity_decomposerENS1_16block_id_wrapperIjLb0EEEEE10hipError_tT1_PNSt15iterator_traitsISG_E10value_typeET2_T3_PNSH_ISM_E10value_typeET4_T5_PSR_SS_PNS1_23onesweep_lookback_stateEbbT6_jjT7_P12ihipStream_tbENKUlT_T0_SG_SL_E_clIS9_SA_SB_SB_EEDaSZ_S10_SG_SL_EUlSZ_E_NS1_11comp_targetILNS1_3genE5ELNS1_11target_archE942ELNS1_3gpuE9ELNS1_3repE0EEENS1_47radix_sort_onesweep_sort_config_static_selectorELNS0_4arch9wavefront6targetE0EEEvSG_.numbered_sgpr, 0
	.set _ZN7rocprim17ROCPRIM_400000_NS6detail17trampoline_kernelINS0_14default_configENS1_35radix_sort_onesweep_config_selectorImNS0_10empty_typeEEEZZNS1_29radix_sort_onesweep_iterationIS3_Lb1EPKmPmPS5_SB_mNS0_19identity_decomposerENS1_16block_id_wrapperIjLb0EEEEE10hipError_tT1_PNSt15iterator_traitsISG_E10value_typeET2_T3_PNSH_ISM_E10value_typeET4_T5_PSR_SS_PNS1_23onesweep_lookback_stateEbbT6_jjT7_P12ihipStream_tbENKUlT_T0_SG_SL_E_clIS9_SA_SB_SB_EEDaSZ_S10_SG_SL_EUlSZ_E_NS1_11comp_targetILNS1_3genE5ELNS1_11target_archE942ELNS1_3gpuE9ELNS1_3repE0EEENS1_47radix_sort_onesweep_sort_config_static_selectorELNS0_4arch9wavefront6targetE0EEEvSG_.num_named_barrier, 0
	.set _ZN7rocprim17ROCPRIM_400000_NS6detail17trampoline_kernelINS0_14default_configENS1_35radix_sort_onesweep_config_selectorImNS0_10empty_typeEEEZZNS1_29radix_sort_onesweep_iterationIS3_Lb1EPKmPmPS5_SB_mNS0_19identity_decomposerENS1_16block_id_wrapperIjLb0EEEEE10hipError_tT1_PNSt15iterator_traitsISG_E10value_typeET2_T3_PNSH_ISM_E10value_typeET4_T5_PSR_SS_PNS1_23onesweep_lookback_stateEbbT6_jjT7_P12ihipStream_tbENKUlT_T0_SG_SL_E_clIS9_SA_SB_SB_EEDaSZ_S10_SG_SL_EUlSZ_E_NS1_11comp_targetILNS1_3genE5ELNS1_11target_archE942ELNS1_3gpuE9ELNS1_3repE0EEENS1_47radix_sort_onesweep_sort_config_static_selectorELNS0_4arch9wavefront6targetE0EEEvSG_.private_seg_size, 0
	.set _ZN7rocprim17ROCPRIM_400000_NS6detail17trampoline_kernelINS0_14default_configENS1_35radix_sort_onesweep_config_selectorImNS0_10empty_typeEEEZZNS1_29radix_sort_onesweep_iterationIS3_Lb1EPKmPmPS5_SB_mNS0_19identity_decomposerENS1_16block_id_wrapperIjLb0EEEEE10hipError_tT1_PNSt15iterator_traitsISG_E10value_typeET2_T3_PNSH_ISM_E10value_typeET4_T5_PSR_SS_PNS1_23onesweep_lookback_stateEbbT6_jjT7_P12ihipStream_tbENKUlT_T0_SG_SL_E_clIS9_SA_SB_SB_EEDaSZ_S10_SG_SL_EUlSZ_E_NS1_11comp_targetILNS1_3genE5ELNS1_11target_archE942ELNS1_3gpuE9ELNS1_3repE0EEENS1_47radix_sort_onesweep_sort_config_static_selectorELNS0_4arch9wavefront6targetE0EEEvSG_.uses_vcc, 0
	.set _ZN7rocprim17ROCPRIM_400000_NS6detail17trampoline_kernelINS0_14default_configENS1_35radix_sort_onesweep_config_selectorImNS0_10empty_typeEEEZZNS1_29radix_sort_onesweep_iterationIS3_Lb1EPKmPmPS5_SB_mNS0_19identity_decomposerENS1_16block_id_wrapperIjLb0EEEEE10hipError_tT1_PNSt15iterator_traitsISG_E10value_typeET2_T3_PNSH_ISM_E10value_typeET4_T5_PSR_SS_PNS1_23onesweep_lookback_stateEbbT6_jjT7_P12ihipStream_tbENKUlT_T0_SG_SL_E_clIS9_SA_SB_SB_EEDaSZ_S10_SG_SL_EUlSZ_E_NS1_11comp_targetILNS1_3genE5ELNS1_11target_archE942ELNS1_3gpuE9ELNS1_3repE0EEENS1_47radix_sort_onesweep_sort_config_static_selectorELNS0_4arch9wavefront6targetE0EEEvSG_.uses_flat_scratch, 0
	.set _ZN7rocprim17ROCPRIM_400000_NS6detail17trampoline_kernelINS0_14default_configENS1_35radix_sort_onesweep_config_selectorImNS0_10empty_typeEEEZZNS1_29radix_sort_onesweep_iterationIS3_Lb1EPKmPmPS5_SB_mNS0_19identity_decomposerENS1_16block_id_wrapperIjLb0EEEEE10hipError_tT1_PNSt15iterator_traitsISG_E10value_typeET2_T3_PNSH_ISM_E10value_typeET4_T5_PSR_SS_PNS1_23onesweep_lookback_stateEbbT6_jjT7_P12ihipStream_tbENKUlT_T0_SG_SL_E_clIS9_SA_SB_SB_EEDaSZ_S10_SG_SL_EUlSZ_E_NS1_11comp_targetILNS1_3genE5ELNS1_11target_archE942ELNS1_3gpuE9ELNS1_3repE0EEENS1_47radix_sort_onesweep_sort_config_static_selectorELNS0_4arch9wavefront6targetE0EEEvSG_.has_dyn_sized_stack, 0
	.set _ZN7rocprim17ROCPRIM_400000_NS6detail17trampoline_kernelINS0_14default_configENS1_35radix_sort_onesweep_config_selectorImNS0_10empty_typeEEEZZNS1_29radix_sort_onesweep_iterationIS3_Lb1EPKmPmPS5_SB_mNS0_19identity_decomposerENS1_16block_id_wrapperIjLb0EEEEE10hipError_tT1_PNSt15iterator_traitsISG_E10value_typeET2_T3_PNSH_ISM_E10value_typeET4_T5_PSR_SS_PNS1_23onesweep_lookback_stateEbbT6_jjT7_P12ihipStream_tbENKUlT_T0_SG_SL_E_clIS9_SA_SB_SB_EEDaSZ_S10_SG_SL_EUlSZ_E_NS1_11comp_targetILNS1_3genE5ELNS1_11target_archE942ELNS1_3gpuE9ELNS1_3repE0EEENS1_47radix_sort_onesweep_sort_config_static_selectorELNS0_4arch9wavefront6targetE0EEEvSG_.has_recursion, 0
	.set _ZN7rocprim17ROCPRIM_400000_NS6detail17trampoline_kernelINS0_14default_configENS1_35radix_sort_onesweep_config_selectorImNS0_10empty_typeEEEZZNS1_29radix_sort_onesweep_iterationIS3_Lb1EPKmPmPS5_SB_mNS0_19identity_decomposerENS1_16block_id_wrapperIjLb0EEEEE10hipError_tT1_PNSt15iterator_traitsISG_E10value_typeET2_T3_PNSH_ISM_E10value_typeET4_T5_PSR_SS_PNS1_23onesweep_lookback_stateEbbT6_jjT7_P12ihipStream_tbENKUlT_T0_SG_SL_E_clIS9_SA_SB_SB_EEDaSZ_S10_SG_SL_EUlSZ_E_NS1_11comp_targetILNS1_3genE5ELNS1_11target_archE942ELNS1_3gpuE9ELNS1_3repE0EEENS1_47radix_sort_onesweep_sort_config_static_selectorELNS0_4arch9wavefront6targetE0EEEvSG_.has_indirect_call, 0
	.section	.AMDGPU.csdata,"",@progbits
; Kernel info:
; codeLenInByte = 0
; TotalNumSgprs: 0
; NumVgprs: 0
; ScratchSize: 0
; MemoryBound: 0
; FloatMode: 240
; IeeeMode: 1
; LDSByteSize: 0 bytes/workgroup (compile time only)
; SGPRBlocks: 0
; VGPRBlocks: 0
; NumSGPRsForWavesPerEU: 1
; NumVGPRsForWavesPerEU: 1
; NamedBarCnt: 0
; Occupancy: 16
; WaveLimiterHint : 0
; COMPUTE_PGM_RSRC2:SCRATCH_EN: 0
; COMPUTE_PGM_RSRC2:USER_SGPR: 2
; COMPUTE_PGM_RSRC2:TRAP_HANDLER: 0
; COMPUTE_PGM_RSRC2:TGID_X_EN: 1
; COMPUTE_PGM_RSRC2:TGID_Y_EN: 0
; COMPUTE_PGM_RSRC2:TGID_Z_EN: 0
; COMPUTE_PGM_RSRC2:TIDIG_COMP_CNT: 0
	.section	.text._ZN7rocprim17ROCPRIM_400000_NS6detail17trampoline_kernelINS0_14default_configENS1_35radix_sort_onesweep_config_selectorImNS0_10empty_typeEEEZZNS1_29radix_sort_onesweep_iterationIS3_Lb1EPKmPmPS5_SB_mNS0_19identity_decomposerENS1_16block_id_wrapperIjLb0EEEEE10hipError_tT1_PNSt15iterator_traitsISG_E10value_typeET2_T3_PNSH_ISM_E10value_typeET4_T5_PSR_SS_PNS1_23onesweep_lookback_stateEbbT6_jjT7_P12ihipStream_tbENKUlT_T0_SG_SL_E_clIS9_SA_SB_SB_EEDaSZ_S10_SG_SL_EUlSZ_E_NS1_11comp_targetILNS1_3genE2ELNS1_11target_archE906ELNS1_3gpuE6ELNS1_3repE0EEENS1_47radix_sort_onesweep_sort_config_static_selectorELNS0_4arch9wavefront6targetE0EEEvSG_,"axG",@progbits,_ZN7rocprim17ROCPRIM_400000_NS6detail17trampoline_kernelINS0_14default_configENS1_35radix_sort_onesweep_config_selectorImNS0_10empty_typeEEEZZNS1_29radix_sort_onesweep_iterationIS3_Lb1EPKmPmPS5_SB_mNS0_19identity_decomposerENS1_16block_id_wrapperIjLb0EEEEE10hipError_tT1_PNSt15iterator_traitsISG_E10value_typeET2_T3_PNSH_ISM_E10value_typeET4_T5_PSR_SS_PNS1_23onesweep_lookback_stateEbbT6_jjT7_P12ihipStream_tbENKUlT_T0_SG_SL_E_clIS9_SA_SB_SB_EEDaSZ_S10_SG_SL_EUlSZ_E_NS1_11comp_targetILNS1_3genE2ELNS1_11target_archE906ELNS1_3gpuE6ELNS1_3repE0EEENS1_47radix_sort_onesweep_sort_config_static_selectorELNS0_4arch9wavefront6targetE0EEEvSG_,comdat
	.protected	_ZN7rocprim17ROCPRIM_400000_NS6detail17trampoline_kernelINS0_14default_configENS1_35radix_sort_onesweep_config_selectorImNS0_10empty_typeEEEZZNS1_29radix_sort_onesweep_iterationIS3_Lb1EPKmPmPS5_SB_mNS0_19identity_decomposerENS1_16block_id_wrapperIjLb0EEEEE10hipError_tT1_PNSt15iterator_traitsISG_E10value_typeET2_T3_PNSH_ISM_E10value_typeET4_T5_PSR_SS_PNS1_23onesweep_lookback_stateEbbT6_jjT7_P12ihipStream_tbENKUlT_T0_SG_SL_E_clIS9_SA_SB_SB_EEDaSZ_S10_SG_SL_EUlSZ_E_NS1_11comp_targetILNS1_3genE2ELNS1_11target_archE906ELNS1_3gpuE6ELNS1_3repE0EEENS1_47radix_sort_onesweep_sort_config_static_selectorELNS0_4arch9wavefront6targetE0EEEvSG_ ; -- Begin function _ZN7rocprim17ROCPRIM_400000_NS6detail17trampoline_kernelINS0_14default_configENS1_35radix_sort_onesweep_config_selectorImNS0_10empty_typeEEEZZNS1_29radix_sort_onesweep_iterationIS3_Lb1EPKmPmPS5_SB_mNS0_19identity_decomposerENS1_16block_id_wrapperIjLb0EEEEE10hipError_tT1_PNSt15iterator_traitsISG_E10value_typeET2_T3_PNSH_ISM_E10value_typeET4_T5_PSR_SS_PNS1_23onesweep_lookback_stateEbbT6_jjT7_P12ihipStream_tbENKUlT_T0_SG_SL_E_clIS9_SA_SB_SB_EEDaSZ_S10_SG_SL_EUlSZ_E_NS1_11comp_targetILNS1_3genE2ELNS1_11target_archE906ELNS1_3gpuE6ELNS1_3repE0EEENS1_47radix_sort_onesweep_sort_config_static_selectorELNS0_4arch9wavefront6targetE0EEEvSG_
	.globl	_ZN7rocprim17ROCPRIM_400000_NS6detail17trampoline_kernelINS0_14default_configENS1_35radix_sort_onesweep_config_selectorImNS0_10empty_typeEEEZZNS1_29radix_sort_onesweep_iterationIS3_Lb1EPKmPmPS5_SB_mNS0_19identity_decomposerENS1_16block_id_wrapperIjLb0EEEEE10hipError_tT1_PNSt15iterator_traitsISG_E10value_typeET2_T3_PNSH_ISM_E10value_typeET4_T5_PSR_SS_PNS1_23onesweep_lookback_stateEbbT6_jjT7_P12ihipStream_tbENKUlT_T0_SG_SL_E_clIS9_SA_SB_SB_EEDaSZ_S10_SG_SL_EUlSZ_E_NS1_11comp_targetILNS1_3genE2ELNS1_11target_archE906ELNS1_3gpuE6ELNS1_3repE0EEENS1_47radix_sort_onesweep_sort_config_static_selectorELNS0_4arch9wavefront6targetE0EEEvSG_
	.p2align	8
	.type	_ZN7rocprim17ROCPRIM_400000_NS6detail17trampoline_kernelINS0_14default_configENS1_35radix_sort_onesweep_config_selectorImNS0_10empty_typeEEEZZNS1_29radix_sort_onesweep_iterationIS3_Lb1EPKmPmPS5_SB_mNS0_19identity_decomposerENS1_16block_id_wrapperIjLb0EEEEE10hipError_tT1_PNSt15iterator_traitsISG_E10value_typeET2_T3_PNSH_ISM_E10value_typeET4_T5_PSR_SS_PNS1_23onesweep_lookback_stateEbbT6_jjT7_P12ihipStream_tbENKUlT_T0_SG_SL_E_clIS9_SA_SB_SB_EEDaSZ_S10_SG_SL_EUlSZ_E_NS1_11comp_targetILNS1_3genE2ELNS1_11target_archE906ELNS1_3gpuE6ELNS1_3repE0EEENS1_47radix_sort_onesweep_sort_config_static_selectorELNS0_4arch9wavefront6targetE0EEEvSG_,@function
_ZN7rocprim17ROCPRIM_400000_NS6detail17trampoline_kernelINS0_14default_configENS1_35radix_sort_onesweep_config_selectorImNS0_10empty_typeEEEZZNS1_29radix_sort_onesweep_iterationIS3_Lb1EPKmPmPS5_SB_mNS0_19identity_decomposerENS1_16block_id_wrapperIjLb0EEEEE10hipError_tT1_PNSt15iterator_traitsISG_E10value_typeET2_T3_PNSH_ISM_E10value_typeET4_T5_PSR_SS_PNS1_23onesweep_lookback_stateEbbT6_jjT7_P12ihipStream_tbENKUlT_T0_SG_SL_E_clIS9_SA_SB_SB_EEDaSZ_S10_SG_SL_EUlSZ_E_NS1_11comp_targetILNS1_3genE2ELNS1_11target_archE906ELNS1_3gpuE6ELNS1_3repE0EEENS1_47radix_sort_onesweep_sort_config_static_selectorELNS0_4arch9wavefront6targetE0EEEvSG_: ; @_ZN7rocprim17ROCPRIM_400000_NS6detail17trampoline_kernelINS0_14default_configENS1_35radix_sort_onesweep_config_selectorImNS0_10empty_typeEEEZZNS1_29radix_sort_onesweep_iterationIS3_Lb1EPKmPmPS5_SB_mNS0_19identity_decomposerENS1_16block_id_wrapperIjLb0EEEEE10hipError_tT1_PNSt15iterator_traitsISG_E10value_typeET2_T3_PNSH_ISM_E10value_typeET4_T5_PSR_SS_PNS1_23onesweep_lookback_stateEbbT6_jjT7_P12ihipStream_tbENKUlT_T0_SG_SL_E_clIS9_SA_SB_SB_EEDaSZ_S10_SG_SL_EUlSZ_E_NS1_11comp_targetILNS1_3genE2ELNS1_11target_archE906ELNS1_3gpuE6ELNS1_3repE0EEENS1_47radix_sort_onesweep_sort_config_static_selectorELNS0_4arch9wavefront6targetE0EEEvSG_
; %bb.0:
	.section	.rodata,"a",@progbits
	.p2align	6, 0x0
	.amdhsa_kernel _ZN7rocprim17ROCPRIM_400000_NS6detail17trampoline_kernelINS0_14default_configENS1_35radix_sort_onesweep_config_selectorImNS0_10empty_typeEEEZZNS1_29radix_sort_onesweep_iterationIS3_Lb1EPKmPmPS5_SB_mNS0_19identity_decomposerENS1_16block_id_wrapperIjLb0EEEEE10hipError_tT1_PNSt15iterator_traitsISG_E10value_typeET2_T3_PNSH_ISM_E10value_typeET4_T5_PSR_SS_PNS1_23onesweep_lookback_stateEbbT6_jjT7_P12ihipStream_tbENKUlT_T0_SG_SL_E_clIS9_SA_SB_SB_EEDaSZ_S10_SG_SL_EUlSZ_E_NS1_11comp_targetILNS1_3genE2ELNS1_11target_archE906ELNS1_3gpuE6ELNS1_3repE0EEENS1_47radix_sort_onesweep_sort_config_static_selectorELNS0_4arch9wavefront6targetE0EEEvSG_
		.amdhsa_group_segment_fixed_size 0
		.amdhsa_private_segment_fixed_size 0
		.amdhsa_kernarg_size 88
		.amdhsa_user_sgpr_count 2
		.amdhsa_user_sgpr_dispatch_ptr 0
		.amdhsa_user_sgpr_queue_ptr 0
		.amdhsa_user_sgpr_kernarg_segment_ptr 1
		.amdhsa_user_sgpr_dispatch_id 0
		.amdhsa_user_sgpr_kernarg_preload_length 0
		.amdhsa_user_sgpr_kernarg_preload_offset 0
		.amdhsa_user_sgpr_private_segment_size 0
		.amdhsa_wavefront_size32 1
		.amdhsa_uses_dynamic_stack 0
		.amdhsa_enable_private_segment 0
		.amdhsa_system_sgpr_workgroup_id_x 1
		.amdhsa_system_sgpr_workgroup_id_y 0
		.amdhsa_system_sgpr_workgroup_id_z 0
		.amdhsa_system_sgpr_workgroup_info 0
		.amdhsa_system_vgpr_workitem_id 0
		.amdhsa_next_free_vgpr 1
		.amdhsa_next_free_sgpr 1
		.amdhsa_named_barrier_count 0
		.amdhsa_reserve_vcc 0
		.amdhsa_float_round_mode_32 0
		.amdhsa_float_round_mode_16_64 0
		.amdhsa_float_denorm_mode_32 3
		.amdhsa_float_denorm_mode_16_64 3
		.amdhsa_fp16_overflow 0
		.amdhsa_memory_ordered 1
		.amdhsa_forward_progress 1
		.amdhsa_inst_pref_size 0
		.amdhsa_round_robin_scheduling 0
		.amdhsa_exception_fp_ieee_invalid_op 0
		.amdhsa_exception_fp_denorm_src 0
		.amdhsa_exception_fp_ieee_div_zero 0
		.amdhsa_exception_fp_ieee_overflow 0
		.amdhsa_exception_fp_ieee_underflow 0
		.amdhsa_exception_fp_ieee_inexact 0
		.amdhsa_exception_int_div_zero 0
	.end_amdhsa_kernel
	.section	.text._ZN7rocprim17ROCPRIM_400000_NS6detail17trampoline_kernelINS0_14default_configENS1_35radix_sort_onesweep_config_selectorImNS0_10empty_typeEEEZZNS1_29radix_sort_onesweep_iterationIS3_Lb1EPKmPmPS5_SB_mNS0_19identity_decomposerENS1_16block_id_wrapperIjLb0EEEEE10hipError_tT1_PNSt15iterator_traitsISG_E10value_typeET2_T3_PNSH_ISM_E10value_typeET4_T5_PSR_SS_PNS1_23onesweep_lookback_stateEbbT6_jjT7_P12ihipStream_tbENKUlT_T0_SG_SL_E_clIS9_SA_SB_SB_EEDaSZ_S10_SG_SL_EUlSZ_E_NS1_11comp_targetILNS1_3genE2ELNS1_11target_archE906ELNS1_3gpuE6ELNS1_3repE0EEENS1_47radix_sort_onesweep_sort_config_static_selectorELNS0_4arch9wavefront6targetE0EEEvSG_,"axG",@progbits,_ZN7rocprim17ROCPRIM_400000_NS6detail17trampoline_kernelINS0_14default_configENS1_35radix_sort_onesweep_config_selectorImNS0_10empty_typeEEEZZNS1_29radix_sort_onesweep_iterationIS3_Lb1EPKmPmPS5_SB_mNS0_19identity_decomposerENS1_16block_id_wrapperIjLb0EEEEE10hipError_tT1_PNSt15iterator_traitsISG_E10value_typeET2_T3_PNSH_ISM_E10value_typeET4_T5_PSR_SS_PNS1_23onesweep_lookback_stateEbbT6_jjT7_P12ihipStream_tbENKUlT_T0_SG_SL_E_clIS9_SA_SB_SB_EEDaSZ_S10_SG_SL_EUlSZ_E_NS1_11comp_targetILNS1_3genE2ELNS1_11target_archE906ELNS1_3gpuE6ELNS1_3repE0EEENS1_47radix_sort_onesweep_sort_config_static_selectorELNS0_4arch9wavefront6targetE0EEEvSG_,comdat
.Lfunc_end2901:
	.size	_ZN7rocprim17ROCPRIM_400000_NS6detail17trampoline_kernelINS0_14default_configENS1_35radix_sort_onesweep_config_selectorImNS0_10empty_typeEEEZZNS1_29radix_sort_onesweep_iterationIS3_Lb1EPKmPmPS5_SB_mNS0_19identity_decomposerENS1_16block_id_wrapperIjLb0EEEEE10hipError_tT1_PNSt15iterator_traitsISG_E10value_typeET2_T3_PNSH_ISM_E10value_typeET4_T5_PSR_SS_PNS1_23onesweep_lookback_stateEbbT6_jjT7_P12ihipStream_tbENKUlT_T0_SG_SL_E_clIS9_SA_SB_SB_EEDaSZ_S10_SG_SL_EUlSZ_E_NS1_11comp_targetILNS1_3genE2ELNS1_11target_archE906ELNS1_3gpuE6ELNS1_3repE0EEENS1_47radix_sort_onesweep_sort_config_static_selectorELNS0_4arch9wavefront6targetE0EEEvSG_, .Lfunc_end2901-_ZN7rocprim17ROCPRIM_400000_NS6detail17trampoline_kernelINS0_14default_configENS1_35radix_sort_onesweep_config_selectorImNS0_10empty_typeEEEZZNS1_29radix_sort_onesweep_iterationIS3_Lb1EPKmPmPS5_SB_mNS0_19identity_decomposerENS1_16block_id_wrapperIjLb0EEEEE10hipError_tT1_PNSt15iterator_traitsISG_E10value_typeET2_T3_PNSH_ISM_E10value_typeET4_T5_PSR_SS_PNS1_23onesweep_lookback_stateEbbT6_jjT7_P12ihipStream_tbENKUlT_T0_SG_SL_E_clIS9_SA_SB_SB_EEDaSZ_S10_SG_SL_EUlSZ_E_NS1_11comp_targetILNS1_3genE2ELNS1_11target_archE906ELNS1_3gpuE6ELNS1_3repE0EEENS1_47radix_sort_onesweep_sort_config_static_selectorELNS0_4arch9wavefront6targetE0EEEvSG_
                                        ; -- End function
	.set _ZN7rocprim17ROCPRIM_400000_NS6detail17trampoline_kernelINS0_14default_configENS1_35radix_sort_onesweep_config_selectorImNS0_10empty_typeEEEZZNS1_29radix_sort_onesweep_iterationIS3_Lb1EPKmPmPS5_SB_mNS0_19identity_decomposerENS1_16block_id_wrapperIjLb0EEEEE10hipError_tT1_PNSt15iterator_traitsISG_E10value_typeET2_T3_PNSH_ISM_E10value_typeET4_T5_PSR_SS_PNS1_23onesweep_lookback_stateEbbT6_jjT7_P12ihipStream_tbENKUlT_T0_SG_SL_E_clIS9_SA_SB_SB_EEDaSZ_S10_SG_SL_EUlSZ_E_NS1_11comp_targetILNS1_3genE2ELNS1_11target_archE906ELNS1_3gpuE6ELNS1_3repE0EEENS1_47radix_sort_onesweep_sort_config_static_selectorELNS0_4arch9wavefront6targetE0EEEvSG_.num_vgpr, 0
	.set _ZN7rocprim17ROCPRIM_400000_NS6detail17trampoline_kernelINS0_14default_configENS1_35radix_sort_onesweep_config_selectorImNS0_10empty_typeEEEZZNS1_29radix_sort_onesweep_iterationIS3_Lb1EPKmPmPS5_SB_mNS0_19identity_decomposerENS1_16block_id_wrapperIjLb0EEEEE10hipError_tT1_PNSt15iterator_traitsISG_E10value_typeET2_T3_PNSH_ISM_E10value_typeET4_T5_PSR_SS_PNS1_23onesweep_lookback_stateEbbT6_jjT7_P12ihipStream_tbENKUlT_T0_SG_SL_E_clIS9_SA_SB_SB_EEDaSZ_S10_SG_SL_EUlSZ_E_NS1_11comp_targetILNS1_3genE2ELNS1_11target_archE906ELNS1_3gpuE6ELNS1_3repE0EEENS1_47radix_sort_onesweep_sort_config_static_selectorELNS0_4arch9wavefront6targetE0EEEvSG_.num_agpr, 0
	.set _ZN7rocprim17ROCPRIM_400000_NS6detail17trampoline_kernelINS0_14default_configENS1_35radix_sort_onesweep_config_selectorImNS0_10empty_typeEEEZZNS1_29radix_sort_onesweep_iterationIS3_Lb1EPKmPmPS5_SB_mNS0_19identity_decomposerENS1_16block_id_wrapperIjLb0EEEEE10hipError_tT1_PNSt15iterator_traitsISG_E10value_typeET2_T3_PNSH_ISM_E10value_typeET4_T5_PSR_SS_PNS1_23onesweep_lookback_stateEbbT6_jjT7_P12ihipStream_tbENKUlT_T0_SG_SL_E_clIS9_SA_SB_SB_EEDaSZ_S10_SG_SL_EUlSZ_E_NS1_11comp_targetILNS1_3genE2ELNS1_11target_archE906ELNS1_3gpuE6ELNS1_3repE0EEENS1_47radix_sort_onesweep_sort_config_static_selectorELNS0_4arch9wavefront6targetE0EEEvSG_.numbered_sgpr, 0
	.set _ZN7rocprim17ROCPRIM_400000_NS6detail17trampoline_kernelINS0_14default_configENS1_35radix_sort_onesweep_config_selectorImNS0_10empty_typeEEEZZNS1_29radix_sort_onesweep_iterationIS3_Lb1EPKmPmPS5_SB_mNS0_19identity_decomposerENS1_16block_id_wrapperIjLb0EEEEE10hipError_tT1_PNSt15iterator_traitsISG_E10value_typeET2_T3_PNSH_ISM_E10value_typeET4_T5_PSR_SS_PNS1_23onesweep_lookback_stateEbbT6_jjT7_P12ihipStream_tbENKUlT_T0_SG_SL_E_clIS9_SA_SB_SB_EEDaSZ_S10_SG_SL_EUlSZ_E_NS1_11comp_targetILNS1_3genE2ELNS1_11target_archE906ELNS1_3gpuE6ELNS1_3repE0EEENS1_47radix_sort_onesweep_sort_config_static_selectorELNS0_4arch9wavefront6targetE0EEEvSG_.num_named_barrier, 0
	.set _ZN7rocprim17ROCPRIM_400000_NS6detail17trampoline_kernelINS0_14default_configENS1_35radix_sort_onesweep_config_selectorImNS0_10empty_typeEEEZZNS1_29radix_sort_onesweep_iterationIS3_Lb1EPKmPmPS5_SB_mNS0_19identity_decomposerENS1_16block_id_wrapperIjLb0EEEEE10hipError_tT1_PNSt15iterator_traitsISG_E10value_typeET2_T3_PNSH_ISM_E10value_typeET4_T5_PSR_SS_PNS1_23onesweep_lookback_stateEbbT6_jjT7_P12ihipStream_tbENKUlT_T0_SG_SL_E_clIS9_SA_SB_SB_EEDaSZ_S10_SG_SL_EUlSZ_E_NS1_11comp_targetILNS1_3genE2ELNS1_11target_archE906ELNS1_3gpuE6ELNS1_3repE0EEENS1_47radix_sort_onesweep_sort_config_static_selectorELNS0_4arch9wavefront6targetE0EEEvSG_.private_seg_size, 0
	.set _ZN7rocprim17ROCPRIM_400000_NS6detail17trampoline_kernelINS0_14default_configENS1_35radix_sort_onesweep_config_selectorImNS0_10empty_typeEEEZZNS1_29radix_sort_onesweep_iterationIS3_Lb1EPKmPmPS5_SB_mNS0_19identity_decomposerENS1_16block_id_wrapperIjLb0EEEEE10hipError_tT1_PNSt15iterator_traitsISG_E10value_typeET2_T3_PNSH_ISM_E10value_typeET4_T5_PSR_SS_PNS1_23onesweep_lookback_stateEbbT6_jjT7_P12ihipStream_tbENKUlT_T0_SG_SL_E_clIS9_SA_SB_SB_EEDaSZ_S10_SG_SL_EUlSZ_E_NS1_11comp_targetILNS1_3genE2ELNS1_11target_archE906ELNS1_3gpuE6ELNS1_3repE0EEENS1_47radix_sort_onesweep_sort_config_static_selectorELNS0_4arch9wavefront6targetE0EEEvSG_.uses_vcc, 0
	.set _ZN7rocprim17ROCPRIM_400000_NS6detail17trampoline_kernelINS0_14default_configENS1_35radix_sort_onesweep_config_selectorImNS0_10empty_typeEEEZZNS1_29radix_sort_onesweep_iterationIS3_Lb1EPKmPmPS5_SB_mNS0_19identity_decomposerENS1_16block_id_wrapperIjLb0EEEEE10hipError_tT1_PNSt15iterator_traitsISG_E10value_typeET2_T3_PNSH_ISM_E10value_typeET4_T5_PSR_SS_PNS1_23onesweep_lookback_stateEbbT6_jjT7_P12ihipStream_tbENKUlT_T0_SG_SL_E_clIS9_SA_SB_SB_EEDaSZ_S10_SG_SL_EUlSZ_E_NS1_11comp_targetILNS1_3genE2ELNS1_11target_archE906ELNS1_3gpuE6ELNS1_3repE0EEENS1_47radix_sort_onesweep_sort_config_static_selectorELNS0_4arch9wavefront6targetE0EEEvSG_.uses_flat_scratch, 0
	.set _ZN7rocprim17ROCPRIM_400000_NS6detail17trampoline_kernelINS0_14default_configENS1_35radix_sort_onesweep_config_selectorImNS0_10empty_typeEEEZZNS1_29radix_sort_onesweep_iterationIS3_Lb1EPKmPmPS5_SB_mNS0_19identity_decomposerENS1_16block_id_wrapperIjLb0EEEEE10hipError_tT1_PNSt15iterator_traitsISG_E10value_typeET2_T3_PNSH_ISM_E10value_typeET4_T5_PSR_SS_PNS1_23onesweep_lookback_stateEbbT6_jjT7_P12ihipStream_tbENKUlT_T0_SG_SL_E_clIS9_SA_SB_SB_EEDaSZ_S10_SG_SL_EUlSZ_E_NS1_11comp_targetILNS1_3genE2ELNS1_11target_archE906ELNS1_3gpuE6ELNS1_3repE0EEENS1_47radix_sort_onesweep_sort_config_static_selectorELNS0_4arch9wavefront6targetE0EEEvSG_.has_dyn_sized_stack, 0
	.set _ZN7rocprim17ROCPRIM_400000_NS6detail17trampoline_kernelINS0_14default_configENS1_35radix_sort_onesweep_config_selectorImNS0_10empty_typeEEEZZNS1_29radix_sort_onesweep_iterationIS3_Lb1EPKmPmPS5_SB_mNS0_19identity_decomposerENS1_16block_id_wrapperIjLb0EEEEE10hipError_tT1_PNSt15iterator_traitsISG_E10value_typeET2_T3_PNSH_ISM_E10value_typeET4_T5_PSR_SS_PNS1_23onesweep_lookback_stateEbbT6_jjT7_P12ihipStream_tbENKUlT_T0_SG_SL_E_clIS9_SA_SB_SB_EEDaSZ_S10_SG_SL_EUlSZ_E_NS1_11comp_targetILNS1_3genE2ELNS1_11target_archE906ELNS1_3gpuE6ELNS1_3repE0EEENS1_47radix_sort_onesweep_sort_config_static_selectorELNS0_4arch9wavefront6targetE0EEEvSG_.has_recursion, 0
	.set _ZN7rocprim17ROCPRIM_400000_NS6detail17trampoline_kernelINS0_14default_configENS1_35radix_sort_onesweep_config_selectorImNS0_10empty_typeEEEZZNS1_29radix_sort_onesweep_iterationIS3_Lb1EPKmPmPS5_SB_mNS0_19identity_decomposerENS1_16block_id_wrapperIjLb0EEEEE10hipError_tT1_PNSt15iterator_traitsISG_E10value_typeET2_T3_PNSH_ISM_E10value_typeET4_T5_PSR_SS_PNS1_23onesweep_lookback_stateEbbT6_jjT7_P12ihipStream_tbENKUlT_T0_SG_SL_E_clIS9_SA_SB_SB_EEDaSZ_S10_SG_SL_EUlSZ_E_NS1_11comp_targetILNS1_3genE2ELNS1_11target_archE906ELNS1_3gpuE6ELNS1_3repE0EEENS1_47radix_sort_onesweep_sort_config_static_selectorELNS0_4arch9wavefront6targetE0EEEvSG_.has_indirect_call, 0
	.section	.AMDGPU.csdata,"",@progbits
; Kernel info:
; codeLenInByte = 0
; TotalNumSgprs: 0
; NumVgprs: 0
; ScratchSize: 0
; MemoryBound: 0
; FloatMode: 240
; IeeeMode: 1
; LDSByteSize: 0 bytes/workgroup (compile time only)
; SGPRBlocks: 0
; VGPRBlocks: 0
; NumSGPRsForWavesPerEU: 1
; NumVGPRsForWavesPerEU: 1
; NamedBarCnt: 0
; Occupancy: 16
; WaveLimiterHint : 0
; COMPUTE_PGM_RSRC2:SCRATCH_EN: 0
; COMPUTE_PGM_RSRC2:USER_SGPR: 2
; COMPUTE_PGM_RSRC2:TRAP_HANDLER: 0
; COMPUTE_PGM_RSRC2:TGID_X_EN: 1
; COMPUTE_PGM_RSRC2:TGID_Y_EN: 0
; COMPUTE_PGM_RSRC2:TGID_Z_EN: 0
; COMPUTE_PGM_RSRC2:TIDIG_COMP_CNT: 0
	.section	.text._ZN7rocprim17ROCPRIM_400000_NS6detail17trampoline_kernelINS0_14default_configENS1_35radix_sort_onesweep_config_selectorImNS0_10empty_typeEEEZZNS1_29radix_sort_onesweep_iterationIS3_Lb1EPKmPmPS5_SB_mNS0_19identity_decomposerENS1_16block_id_wrapperIjLb0EEEEE10hipError_tT1_PNSt15iterator_traitsISG_E10value_typeET2_T3_PNSH_ISM_E10value_typeET4_T5_PSR_SS_PNS1_23onesweep_lookback_stateEbbT6_jjT7_P12ihipStream_tbENKUlT_T0_SG_SL_E_clIS9_SA_SB_SB_EEDaSZ_S10_SG_SL_EUlSZ_E_NS1_11comp_targetILNS1_3genE4ELNS1_11target_archE910ELNS1_3gpuE8ELNS1_3repE0EEENS1_47radix_sort_onesweep_sort_config_static_selectorELNS0_4arch9wavefront6targetE0EEEvSG_,"axG",@progbits,_ZN7rocprim17ROCPRIM_400000_NS6detail17trampoline_kernelINS0_14default_configENS1_35radix_sort_onesweep_config_selectorImNS0_10empty_typeEEEZZNS1_29radix_sort_onesweep_iterationIS3_Lb1EPKmPmPS5_SB_mNS0_19identity_decomposerENS1_16block_id_wrapperIjLb0EEEEE10hipError_tT1_PNSt15iterator_traitsISG_E10value_typeET2_T3_PNSH_ISM_E10value_typeET4_T5_PSR_SS_PNS1_23onesweep_lookback_stateEbbT6_jjT7_P12ihipStream_tbENKUlT_T0_SG_SL_E_clIS9_SA_SB_SB_EEDaSZ_S10_SG_SL_EUlSZ_E_NS1_11comp_targetILNS1_3genE4ELNS1_11target_archE910ELNS1_3gpuE8ELNS1_3repE0EEENS1_47radix_sort_onesweep_sort_config_static_selectorELNS0_4arch9wavefront6targetE0EEEvSG_,comdat
	.protected	_ZN7rocprim17ROCPRIM_400000_NS6detail17trampoline_kernelINS0_14default_configENS1_35radix_sort_onesweep_config_selectorImNS0_10empty_typeEEEZZNS1_29radix_sort_onesweep_iterationIS3_Lb1EPKmPmPS5_SB_mNS0_19identity_decomposerENS1_16block_id_wrapperIjLb0EEEEE10hipError_tT1_PNSt15iterator_traitsISG_E10value_typeET2_T3_PNSH_ISM_E10value_typeET4_T5_PSR_SS_PNS1_23onesweep_lookback_stateEbbT6_jjT7_P12ihipStream_tbENKUlT_T0_SG_SL_E_clIS9_SA_SB_SB_EEDaSZ_S10_SG_SL_EUlSZ_E_NS1_11comp_targetILNS1_3genE4ELNS1_11target_archE910ELNS1_3gpuE8ELNS1_3repE0EEENS1_47radix_sort_onesweep_sort_config_static_selectorELNS0_4arch9wavefront6targetE0EEEvSG_ ; -- Begin function _ZN7rocprim17ROCPRIM_400000_NS6detail17trampoline_kernelINS0_14default_configENS1_35radix_sort_onesweep_config_selectorImNS0_10empty_typeEEEZZNS1_29radix_sort_onesweep_iterationIS3_Lb1EPKmPmPS5_SB_mNS0_19identity_decomposerENS1_16block_id_wrapperIjLb0EEEEE10hipError_tT1_PNSt15iterator_traitsISG_E10value_typeET2_T3_PNSH_ISM_E10value_typeET4_T5_PSR_SS_PNS1_23onesweep_lookback_stateEbbT6_jjT7_P12ihipStream_tbENKUlT_T0_SG_SL_E_clIS9_SA_SB_SB_EEDaSZ_S10_SG_SL_EUlSZ_E_NS1_11comp_targetILNS1_3genE4ELNS1_11target_archE910ELNS1_3gpuE8ELNS1_3repE0EEENS1_47radix_sort_onesweep_sort_config_static_selectorELNS0_4arch9wavefront6targetE0EEEvSG_
	.globl	_ZN7rocprim17ROCPRIM_400000_NS6detail17trampoline_kernelINS0_14default_configENS1_35radix_sort_onesweep_config_selectorImNS0_10empty_typeEEEZZNS1_29radix_sort_onesweep_iterationIS3_Lb1EPKmPmPS5_SB_mNS0_19identity_decomposerENS1_16block_id_wrapperIjLb0EEEEE10hipError_tT1_PNSt15iterator_traitsISG_E10value_typeET2_T3_PNSH_ISM_E10value_typeET4_T5_PSR_SS_PNS1_23onesweep_lookback_stateEbbT6_jjT7_P12ihipStream_tbENKUlT_T0_SG_SL_E_clIS9_SA_SB_SB_EEDaSZ_S10_SG_SL_EUlSZ_E_NS1_11comp_targetILNS1_3genE4ELNS1_11target_archE910ELNS1_3gpuE8ELNS1_3repE0EEENS1_47radix_sort_onesweep_sort_config_static_selectorELNS0_4arch9wavefront6targetE0EEEvSG_
	.p2align	8
	.type	_ZN7rocprim17ROCPRIM_400000_NS6detail17trampoline_kernelINS0_14default_configENS1_35radix_sort_onesweep_config_selectorImNS0_10empty_typeEEEZZNS1_29radix_sort_onesweep_iterationIS3_Lb1EPKmPmPS5_SB_mNS0_19identity_decomposerENS1_16block_id_wrapperIjLb0EEEEE10hipError_tT1_PNSt15iterator_traitsISG_E10value_typeET2_T3_PNSH_ISM_E10value_typeET4_T5_PSR_SS_PNS1_23onesweep_lookback_stateEbbT6_jjT7_P12ihipStream_tbENKUlT_T0_SG_SL_E_clIS9_SA_SB_SB_EEDaSZ_S10_SG_SL_EUlSZ_E_NS1_11comp_targetILNS1_3genE4ELNS1_11target_archE910ELNS1_3gpuE8ELNS1_3repE0EEENS1_47radix_sort_onesweep_sort_config_static_selectorELNS0_4arch9wavefront6targetE0EEEvSG_,@function
_ZN7rocprim17ROCPRIM_400000_NS6detail17trampoline_kernelINS0_14default_configENS1_35radix_sort_onesweep_config_selectorImNS0_10empty_typeEEEZZNS1_29radix_sort_onesweep_iterationIS3_Lb1EPKmPmPS5_SB_mNS0_19identity_decomposerENS1_16block_id_wrapperIjLb0EEEEE10hipError_tT1_PNSt15iterator_traitsISG_E10value_typeET2_T3_PNSH_ISM_E10value_typeET4_T5_PSR_SS_PNS1_23onesweep_lookback_stateEbbT6_jjT7_P12ihipStream_tbENKUlT_T0_SG_SL_E_clIS9_SA_SB_SB_EEDaSZ_S10_SG_SL_EUlSZ_E_NS1_11comp_targetILNS1_3genE4ELNS1_11target_archE910ELNS1_3gpuE8ELNS1_3repE0EEENS1_47radix_sort_onesweep_sort_config_static_selectorELNS0_4arch9wavefront6targetE0EEEvSG_: ; @_ZN7rocprim17ROCPRIM_400000_NS6detail17trampoline_kernelINS0_14default_configENS1_35radix_sort_onesweep_config_selectorImNS0_10empty_typeEEEZZNS1_29radix_sort_onesweep_iterationIS3_Lb1EPKmPmPS5_SB_mNS0_19identity_decomposerENS1_16block_id_wrapperIjLb0EEEEE10hipError_tT1_PNSt15iterator_traitsISG_E10value_typeET2_T3_PNSH_ISM_E10value_typeET4_T5_PSR_SS_PNS1_23onesweep_lookback_stateEbbT6_jjT7_P12ihipStream_tbENKUlT_T0_SG_SL_E_clIS9_SA_SB_SB_EEDaSZ_S10_SG_SL_EUlSZ_E_NS1_11comp_targetILNS1_3genE4ELNS1_11target_archE910ELNS1_3gpuE8ELNS1_3repE0EEENS1_47radix_sort_onesweep_sort_config_static_selectorELNS0_4arch9wavefront6targetE0EEEvSG_
; %bb.0:
	.section	.rodata,"a",@progbits
	.p2align	6, 0x0
	.amdhsa_kernel _ZN7rocprim17ROCPRIM_400000_NS6detail17trampoline_kernelINS0_14default_configENS1_35radix_sort_onesweep_config_selectorImNS0_10empty_typeEEEZZNS1_29radix_sort_onesweep_iterationIS3_Lb1EPKmPmPS5_SB_mNS0_19identity_decomposerENS1_16block_id_wrapperIjLb0EEEEE10hipError_tT1_PNSt15iterator_traitsISG_E10value_typeET2_T3_PNSH_ISM_E10value_typeET4_T5_PSR_SS_PNS1_23onesweep_lookback_stateEbbT6_jjT7_P12ihipStream_tbENKUlT_T0_SG_SL_E_clIS9_SA_SB_SB_EEDaSZ_S10_SG_SL_EUlSZ_E_NS1_11comp_targetILNS1_3genE4ELNS1_11target_archE910ELNS1_3gpuE8ELNS1_3repE0EEENS1_47radix_sort_onesweep_sort_config_static_selectorELNS0_4arch9wavefront6targetE0EEEvSG_
		.amdhsa_group_segment_fixed_size 0
		.amdhsa_private_segment_fixed_size 0
		.amdhsa_kernarg_size 88
		.amdhsa_user_sgpr_count 2
		.amdhsa_user_sgpr_dispatch_ptr 0
		.amdhsa_user_sgpr_queue_ptr 0
		.amdhsa_user_sgpr_kernarg_segment_ptr 1
		.amdhsa_user_sgpr_dispatch_id 0
		.amdhsa_user_sgpr_kernarg_preload_length 0
		.amdhsa_user_sgpr_kernarg_preload_offset 0
		.amdhsa_user_sgpr_private_segment_size 0
		.amdhsa_wavefront_size32 1
		.amdhsa_uses_dynamic_stack 0
		.amdhsa_enable_private_segment 0
		.amdhsa_system_sgpr_workgroup_id_x 1
		.amdhsa_system_sgpr_workgroup_id_y 0
		.amdhsa_system_sgpr_workgroup_id_z 0
		.amdhsa_system_sgpr_workgroup_info 0
		.amdhsa_system_vgpr_workitem_id 0
		.amdhsa_next_free_vgpr 1
		.amdhsa_next_free_sgpr 1
		.amdhsa_named_barrier_count 0
		.amdhsa_reserve_vcc 0
		.amdhsa_float_round_mode_32 0
		.amdhsa_float_round_mode_16_64 0
		.amdhsa_float_denorm_mode_32 3
		.amdhsa_float_denorm_mode_16_64 3
		.amdhsa_fp16_overflow 0
		.amdhsa_memory_ordered 1
		.amdhsa_forward_progress 1
		.amdhsa_inst_pref_size 0
		.amdhsa_round_robin_scheduling 0
		.amdhsa_exception_fp_ieee_invalid_op 0
		.amdhsa_exception_fp_denorm_src 0
		.amdhsa_exception_fp_ieee_div_zero 0
		.amdhsa_exception_fp_ieee_overflow 0
		.amdhsa_exception_fp_ieee_underflow 0
		.amdhsa_exception_fp_ieee_inexact 0
		.amdhsa_exception_int_div_zero 0
	.end_amdhsa_kernel
	.section	.text._ZN7rocprim17ROCPRIM_400000_NS6detail17trampoline_kernelINS0_14default_configENS1_35radix_sort_onesweep_config_selectorImNS0_10empty_typeEEEZZNS1_29radix_sort_onesweep_iterationIS3_Lb1EPKmPmPS5_SB_mNS0_19identity_decomposerENS1_16block_id_wrapperIjLb0EEEEE10hipError_tT1_PNSt15iterator_traitsISG_E10value_typeET2_T3_PNSH_ISM_E10value_typeET4_T5_PSR_SS_PNS1_23onesweep_lookback_stateEbbT6_jjT7_P12ihipStream_tbENKUlT_T0_SG_SL_E_clIS9_SA_SB_SB_EEDaSZ_S10_SG_SL_EUlSZ_E_NS1_11comp_targetILNS1_3genE4ELNS1_11target_archE910ELNS1_3gpuE8ELNS1_3repE0EEENS1_47radix_sort_onesweep_sort_config_static_selectorELNS0_4arch9wavefront6targetE0EEEvSG_,"axG",@progbits,_ZN7rocprim17ROCPRIM_400000_NS6detail17trampoline_kernelINS0_14default_configENS1_35radix_sort_onesweep_config_selectorImNS0_10empty_typeEEEZZNS1_29radix_sort_onesweep_iterationIS3_Lb1EPKmPmPS5_SB_mNS0_19identity_decomposerENS1_16block_id_wrapperIjLb0EEEEE10hipError_tT1_PNSt15iterator_traitsISG_E10value_typeET2_T3_PNSH_ISM_E10value_typeET4_T5_PSR_SS_PNS1_23onesweep_lookback_stateEbbT6_jjT7_P12ihipStream_tbENKUlT_T0_SG_SL_E_clIS9_SA_SB_SB_EEDaSZ_S10_SG_SL_EUlSZ_E_NS1_11comp_targetILNS1_3genE4ELNS1_11target_archE910ELNS1_3gpuE8ELNS1_3repE0EEENS1_47radix_sort_onesweep_sort_config_static_selectorELNS0_4arch9wavefront6targetE0EEEvSG_,comdat
.Lfunc_end2902:
	.size	_ZN7rocprim17ROCPRIM_400000_NS6detail17trampoline_kernelINS0_14default_configENS1_35radix_sort_onesweep_config_selectorImNS0_10empty_typeEEEZZNS1_29radix_sort_onesweep_iterationIS3_Lb1EPKmPmPS5_SB_mNS0_19identity_decomposerENS1_16block_id_wrapperIjLb0EEEEE10hipError_tT1_PNSt15iterator_traitsISG_E10value_typeET2_T3_PNSH_ISM_E10value_typeET4_T5_PSR_SS_PNS1_23onesweep_lookback_stateEbbT6_jjT7_P12ihipStream_tbENKUlT_T0_SG_SL_E_clIS9_SA_SB_SB_EEDaSZ_S10_SG_SL_EUlSZ_E_NS1_11comp_targetILNS1_3genE4ELNS1_11target_archE910ELNS1_3gpuE8ELNS1_3repE0EEENS1_47radix_sort_onesweep_sort_config_static_selectorELNS0_4arch9wavefront6targetE0EEEvSG_, .Lfunc_end2902-_ZN7rocprim17ROCPRIM_400000_NS6detail17trampoline_kernelINS0_14default_configENS1_35radix_sort_onesweep_config_selectorImNS0_10empty_typeEEEZZNS1_29radix_sort_onesweep_iterationIS3_Lb1EPKmPmPS5_SB_mNS0_19identity_decomposerENS1_16block_id_wrapperIjLb0EEEEE10hipError_tT1_PNSt15iterator_traitsISG_E10value_typeET2_T3_PNSH_ISM_E10value_typeET4_T5_PSR_SS_PNS1_23onesweep_lookback_stateEbbT6_jjT7_P12ihipStream_tbENKUlT_T0_SG_SL_E_clIS9_SA_SB_SB_EEDaSZ_S10_SG_SL_EUlSZ_E_NS1_11comp_targetILNS1_3genE4ELNS1_11target_archE910ELNS1_3gpuE8ELNS1_3repE0EEENS1_47radix_sort_onesweep_sort_config_static_selectorELNS0_4arch9wavefront6targetE0EEEvSG_
                                        ; -- End function
	.set _ZN7rocprim17ROCPRIM_400000_NS6detail17trampoline_kernelINS0_14default_configENS1_35radix_sort_onesweep_config_selectorImNS0_10empty_typeEEEZZNS1_29radix_sort_onesweep_iterationIS3_Lb1EPKmPmPS5_SB_mNS0_19identity_decomposerENS1_16block_id_wrapperIjLb0EEEEE10hipError_tT1_PNSt15iterator_traitsISG_E10value_typeET2_T3_PNSH_ISM_E10value_typeET4_T5_PSR_SS_PNS1_23onesweep_lookback_stateEbbT6_jjT7_P12ihipStream_tbENKUlT_T0_SG_SL_E_clIS9_SA_SB_SB_EEDaSZ_S10_SG_SL_EUlSZ_E_NS1_11comp_targetILNS1_3genE4ELNS1_11target_archE910ELNS1_3gpuE8ELNS1_3repE0EEENS1_47radix_sort_onesweep_sort_config_static_selectorELNS0_4arch9wavefront6targetE0EEEvSG_.num_vgpr, 0
	.set _ZN7rocprim17ROCPRIM_400000_NS6detail17trampoline_kernelINS0_14default_configENS1_35radix_sort_onesweep_config_selectorImNS0_10empty_typeEEEZZNS1_29radix_sort_onesweep_iterationIS3_Lb1EPKmPmPS5_SB_mNS0_19identity_decomposerENS1_16block_id_wrapperIjLb0EEEEE10hipError_tT1_PNSt15iterator_traitsISG_E10value_typeET2_T3_PNSH_ISM_E10value_typeET4_T5_PSR_SS_PNS1_23onesweep_lookback_stateEbbT6_jjT7_P12ihipStream_tbENKUlT_T0_SG_SL_E_clIS9_SA_SB_SB_EEDaSZ_S10_SG_SL_EUlSZ_E_NS1_11comp_targetILNS1_3genE4ELNS1_11target_archE910ELNS1_3gpuE8ELNS1_3repE0EEENS1_47radix_sort_onesweep_sort_config_static_selectorELNS0_4arch9wavefront6targetE0EEEvSG_.num_agpr, 0
	.set _ZN7rocprim17ROCPRIM_400000_NS6detail17trampoline_kernelINS0_14default_configENS1_35radix_sort_onesweep_config_selectorImNS0_10empty_typeEEEZZNS1_29radix_sort_onesweep_iterationIS3_Lb1EPKmPmPS5_SB_mNS0_19identity_decomposerENS1_16block_id_wrapperIjLb0EEEEE10hipError_tT1_PNSt15iterator_traitsISG_E10value_typeET2_T3_PNSH_ISM_E10value_typeET4_T5_PSR_SS_PNS1_23onesweep_lookback_stateEbbT6_jjT7_P12ihipStream_tbENKUlT_T0_SG_SL_E_clIS9_SA_SB_SB_EEDaSZ_S10_SG_SL_EUlSZ_E_NS1_11comp_targetILNS1_3genE4ELNS1_11target_archE910ELNS1_3gpuE8ELNS1_3repE0EEENS1_47radix_sort_onesweep_sort_config_static_selectorELNS0_4arch9wavefront6targetE0EEEvSG_.numbered_sgpr, 0
	.set _ZN7rocprim17ROCPRIM_400000_NS6detail17trampoline_kernelINS0_14default_configENS1_35radix_sort_onesweep_config_selectorImNS0_10empty_typeEEEZZNS1_29radix_sort_onesweep_iterationIS3_Lb1EPKmPmPS5_SB_mNS0_19identity_decomposerENS1_16block_id_wrapperIjLb0EEEEE10hipError_tT1_PNSt15iterator_traitsISG_E10value_typeET2_T3_PNSH_ISM_E10value_typeET4_T5_PSR_SS_PNS1_23onesweep_lookback_stateEbbT6_jjT7_P12ihipStream_tbENKUlT_T0_SG_SL_E_clIS9_SA_SB_SB_EEDaSZ_S10_SG_SL_EUlSZ_E_NS1_11comp_targetILNS1_3genE4ELNS1_11target_archE910ELNS1_3gpuE8ELNS1_3repE0EEENS1_47radix_sort_onesweep_sort_config_static_selectorELNS0_4arch9wavefront6targetE0EEEvSG_.num_named_barrier, 0
	.set _ZN7rocprim17ROCPRIM_400000_NS6detail17trampoline_kernelINS0_14default_configENS1_35radix_sort_onesweep_config_selectorImNS0_10empty_typeEEEZZNS1_29radix_sort_onesweep_iterationIS3_Lb1EPKmPmPS5_SB_mNS0_19identity_decomposerENS1_16block_id_wrapperIjLb0EEEEE10hipError_tT1_PNSt15iterator_traitsISG_E10value_typeET2_T3_PNSH_ISM_E10value_typeET4_T5_PSR_SS_PNS1_23onesweep_lookback_stateEbbT6_jjT7_P12ihipStream_tbENKUlT_T0_SG_SL_E_clIS9_SA_SB_SB_EEDaSZ_S10_SG_SL_EUlSZ_E_NS1_11comp_targetILNS1_3genE4ELNS1_11target_archE910ELNS1_3gpuE8ELNS1_3repE0EEENS1_47radix_sort_onesweep_sort_config_static_selectorELNS0_4arch9wavefront6targetE0EEEvSG_.private_seg_size, 0
	.set _ZN7rocprim17ROCPRIM_400000_NS6detail17trampoline_kernelINS0_14default_configENS1_35radix_sort_onesweep_config_selectorImNS0_10empty_typeEEEZZNS1_29radix_sort_onesweep_iterationIS3_Lb1EPKmPmPS5_SB_mNS0_19identity_decomposerENS1_16block_id_wrapperIjLb0EEEEE10hipError_tT1_PNSt15iterator_traitsISG_E10value_typeET2_T3_PNSH_ISM_E10value_typeET4_T5_PSR_SS_PNS1_23onesweep_lookback_stateEbbT6_jjT7_P12ihipStream_tbENKUlT_T0_SG_SL_E_clIS9_SA_SB_SB_EEDaSZ_S10_SG_SL_EUlSZ_E_NS1_11comp_targetILNS1_3genE4ELNS1_11target_archE910ELNS1_3gpuE8ELNS1_3repE0EEENS1_47radix_sort_onesweep_sort_config_static_selectorELNS0_4arch9wavefront6targetE0EEEvSG_.uses_vcc, 0
	.set _ZN7rocprim17ROCPRIM_400000_NS6detail17trampoline_kernelINS0_14default_configENS1_35radix_sort_onesweep_config_selectorImNS0_10empty_typeEEEZZNS1_29radix_sort_onesweep_iterationIS3_Lb1EPKmPmPS5_SB_mNS0_19identity_decomposerENS1_16block_id_wrapperIjLb0EEEEE10hipError_tT1_PNSt15iterator_traitsISG_E10value_typeET2_T3_PNSH_ISM_E10value_typeET4_T5_PSR_SS_PNS1_23onesweep_lookback_stateEbbT6_jjT7_P12ihipStream_tbENKUlT_T0_SG_SL_E_clIS9_SA_SB_SB_EEDaSZ_S10_SG_SL_EUlSZ_E_NS1_11comp_targetILNS1_3genE4ELNS1_11target_archE910ELNS1_3gpuE8ELNS1_3repE0EEENS1_47radix_sort_onesweep_sort_config_static_selectorELNS0_4arch9wavefront6targetE0EEEvSG_.uses_flat_scratch, 0
	.set _ZN7rocprim17ROCPRIM_400000_NS6detail17trampoline_kernelINS0_14default_configENS1_35radix_sort_onesweep_config_selectorImNS0_10empty_typeEEEZZNS1_29radix_sort_onesweep_iterationIS3_Lb1EPKmPmPS5_SB_mNS0_19identity_decomposerENS1_16block_id_wrapperIjLb0EEEEE10hipError_tT1_PNSt15iterator_traitsISG_E10value_typeET2_T3_PNSH_ISM_E10value_typeET4_T5_PSR_SS_PNS1_23onesweep_lookback_stateEbbT6_jjT7_P12ihipStream_tbENKUlT_T0_SG_SL_E_clIS9_SA_SB_SB_EEDaSZ_S10_SG_SL_EUlSZ_E_NS1_11comp_targetILNS1_3genE4ELNS1_11target_archE910ELNS1_3gpuE8ELNS1_3repE0EEENS1_47radix_sort_onesweep_sort_config_static_selectorELNS0_4arch9wavefront6targetE0EEEvSG_.has_dyn_sized_stack, 0
	.set _ZN7rocprim17ROCPRIM_400000_NS6detail17trampoline_kernelINS0_14default_configENS1_35radix_sort_onesweep_config_selectorImNS0_10empty_typeEEEZZNS1_29radix_sort_onesweep_iterationIS3_Lb1EPKmPmPS5_SB_mNS0_19identity_decomposerENS1_16block_id_wrapperIjLb0EEEEE10hipError_tT1_PNSt15iterator_traitsISG_E10value_typeET2_T3_PNSH_ISM_E10value_typeET4_T5_PSR_SS_PNS1_23onesweep_lookback_stateEbbT6_jjT7_P12ihipStream_tbENKUlT_T0_SG_SL_E_clIS9_SA_SB_SB_EEDaSZ_S10_SG_SL_EUlSZ_E_NS1_11comp_targetILNS1_3genE4ELNS1_11target_archE910ELNS1_3gpuE8ELNS1_3repE0EEENS1_47radix_sort_onesweep_sort_config_static_selectorELNS0_4arch9wavefront6targetE0EEEvSG_.has_recursion, 0
	.set _ZN7rocprim17ROCPRIM_400000_NS6detail17trampoline_kernelINS0_14default_configENS1_35radix_sort_onesweep_config_selectorImNS0_10empty_typeEEEZZNS1_29radix_sort_onesweep_iterationIS3_Lb1EPKmPmPS5_SB_mNS0_19identity_decomposerENS1_16block_id_wrapperIjLb0EEEEE10hipError_tT1_PNSt15iterator_traitsISG_E10value_typeET2_T3_PNSH_ISM_E10value_typeET4_T5_PSR_SS_PNS1_23onesweep_lookback_stateEbbT6_jjT7_P12ihipStream_tbENKUlT_T0_SG_SL_E_clIS9_SA_SB_SB_EEDaSZ_S10_SG_SL_EUlSZ_E_NS1_11comp_targetILNS1_3genE4ELNS1_11target_archE910ELNS1_3gpuE8ELNS1_3repE0EEENS1_47radix_sort_onesweep_sort_config_static_selectorELNS0_4arch9wavefront6targetE0EEEvSG_.has_indirect_call, 0
	.section	.AMDGPU.csdata,"",@progbits
; Kernel info:
; codeLenInByte = 0
; TotalNumSgprs: 0
; NumVgprs: 0
; ScratchSize: 0
; MemoryBound: 0
; FloatMode: 240
; IeeeMode: 1
; LDSByteSize: 0 bytes/workgroup (compile time only)
; SGPRBlocks: 0
; VGPRBlocks: 0
; NumSGPRsForWavesPerEU: 1
; NumVGPRsForWavesPerEU: 1
; NamedBarCnt: 0
; Occupancy: 16
; WaveLimiterHint : 0
; COMPUTE_PGM_RSRC2:SCRATCH_EN: 0
; COMPUTE_PGM_RSRC2:USER_SGPR: 2
; COMPUTE_PGM_RSRC2:TRAP_HANDLER: 0
; COMPUTE_PGM_RSRC2:TGID_X_EN: 1
; COMPUTE_PGM_RSRC2:TGID_Y_EN: 0
; COMPUTE_PGM_RSRC2:TGID_Z_EN: 0
; COMPUTE_PGM_RSRC2:TIDIG_COMP_CNT: 0
	.section	.text._ZN7rocprim17ROCPRIM_400000_NS6detail17trampoline_kernelINS0_14default_configENS1_35radix_sort_onesweep_config_selectorImNS0_10empty_typeEEEZZNS1_29radix_sort_onesweep_iterationIS3_Lb1EPKmPmPS5_SB_mNS0_19identity_decomposerENS1_16block_id_wrapperIjLb0EEEEE10hipError_tT1_PNSt15iterator_traitsISG_E10value_typeET2_T3_PNSH_ISM_E10value_typeET4_T5_PSR_SS_PNS1_23onesweep_lookback_stateEbbT6_jjT7_P12ihipStream_tbENKUlT_T0_SG_SL_E_clIS9_SA_SB_SB_EEDaSZ_S10_SG_SL_EUlSZ_E_NS1_11comp_targetILNS1_3genE3ELNS1_11target_archE908ELNS1_3gpuE7ELNS1_3repE0EEENS1_47radix_sort_onesweep_sort_config_static_selectorELNS0_4arch9wavefront6targetE0EEEvSG_,"axG",@progbits,_ZN7rocprim17ROCPRIM_400000_NS6detail17trampoline_kernelINS0_14default_configENS1_35radix_sort_onesweep_config_selectorImNS0_10empty_typeEEEZZNS1_29radix_sort_onesweep_iterationIS3_Lb1EPKmPmPS5_SB_mNS0_19identity_decomposerENS1_16block_id_wrapperIjLb0EEEEE10hipError_tT1_PNSt15iterator_traitsISG_E10value_typeET2_T3_PNSH_ISM_E10value_typeET4_T5_PSR_SS_PNS1_23onesweep_lookback_stateEbbT6_jjT7_P12ihipStream_tbENKUlT_T0_SG_SL_E_clIS9_SA_SB_SB_EEDaSZ_S10_SG_SL_EUlSZ_E_NS1_11comp_targetILNS1_3genE3ELNS1_11target_archE908ELNS1_3gpuE7ELNS1_3repE0EEENS1_47radix_sort_onesweep_sort_config_static_selectorELNS0_4arch9wavefront6targetE0EEEvSG_,comdat
	.protected	_ZN7rocprim17ROCPRIM_400000_NS6detail17trampoline_kernelINS0_14default_configENS1_35radix_sort_onesweep_config_selectorImNS0_10empty_typeEEEZZNS1_29radix_sort_onesweep_iterationIS3_Lb1EPKmPmPS5_SB_mNS0_19identity_decomposerENS1_16block_id_wrapperIjLb0EEEEE10hipError_tT1_PNSt15iterator_traitsISG_E10value_typeET2_T3_PNSH_ISM_E10value_typeET4_T5_PSR_SS_PNS1_23onesweep_lookback_stateEbbT6_jjT7_P12ihipStream_tbENKUlT_T0_SG_SL_E_clIS9_SA_SB_SB_EEDaSZ_S10_SG_SL_EUlSZ_E_NS1_11comp_targetILNS1_3genE3ELNS1_11target_archE908ELNS1_3gpuE7ELNS1_3repE0EEENS1_47radix_sort_onesweep_sort_config_static_selectorELNS0_4arch9wavefront6targetE0EEEvSG_ ; -- Begin function _ZN7rocprim17ROCPRIM_400000_NS6detail17trampoline_kernelINS0_14default_configENS1_35radix_sort_onesweep_config_selectorImNS0_10empty_typeEEEZZNS1_29radix_sort_onesweep_iterationIS3_Lb1EPKmPmPS5_SB_mNS0_19identity_decomposerENS1_16block_id_wrapperIjLb0EEEEE10hipError_tT1_PNSt15iterator_traitsISG_E10value_typeET2_T3_PNSH_ISM_E10value_typeET4_T5_PSR_SS_PNS1_23onesweep_lookback_stateEbbT6_jjT7_P12ihipStream_tbENKUlT_T0_SG_SL_E_clIS9_SA_SB_SB_EEDaSZ_S10_SG_SL_EUlSZ_E_NS1_11comp_targetILNS1_3genE3ELNS1_11target_archE908ELNS1_3gpuE7ELNS1_3repE0EEENS1_47radix_sort_onesweep_sort_config_static_selectorELNS0_4arch9wavefront6targetE0EEEvSG_
	.globl	_ZN7rocprim17ROCPRIM_400000_NS6detail17trampoline_kernelINS0_14default_configENS1_35radix_sort_onesweep_config_selectorImNS0_10empty_typeEEEZZNS1_29radix_sort_onesweep_iterationIS3_Lb1EPKmPmPS5_SB_mNS0_19identity_decomposerENS1_16block_id_wrapperIjLb0EEEEE10hipError_tT1_PNSt15iterator_traitsISG_E10value_typeET2_T3_PNSH_ISM_E10value_typeET4_T5_PSR_SS_PNS1_23onesweep_lookback_stateEbbT6_jjT7_P12ihipStream_tbENKUlT_T0_SG_SL_E_clIS9_SA_SB_SB_EEDaSZ_S10_SG_SL_EUlSZ_E_NS1_11comp_targetILNS1_3genE3ELNS1_11target_archE908ELNS1_3gpuE7ELNS1_3repE0EEENS1_47radix_sort_onesweep_sort_config_static_selectorELNS0_4arch9wavefront6targetE0EEEvSG_
	.p2align	8
	.type	_ZN7rocprim17ROCPRIM_400000_NS6detail17trampoline_kernelINS0_14default_configENS1_35radix_sort_onesweep_config_selectorImNS0_10empty_typeEEEZZNS1_29radix_sort_onesweep_iterationIS3_Lb1EPKmPmPS5_SB_mNS0_19identity_decomposerENS1_16block_id_wrapperIjLb0EEEEE10hipError_tT1_PNSt15iterator_traitsISG_E10value_typeET2_T3_PNSH_ISM_E10value_typeET4_T5_PSR_SS_PNS1_23onesweep_lookback_stateEbbT6_jjT7_P12ihipStream_tbENKUlT_T0_SG_SL_E_clIS9_SA_SB_SB_EEDaSZ_S10_SG_SL_EUlSZ_E_NS1_11comp_targetILNS1_3genE3ELNS1_11target_archE908ELNS1_3gpuE7ELNS1_3repE0EEENS1_47radix_sort_onesweep_sort_config_static_selectorELNS0_4arch9wavefront6targetE0EEEvSG_,@function
_ZN7rocprim17ROCPRIM_400000_NS6detail17trampoline_kernelINS0_14default_configENS1_35radix_sort_onesweep_config_selectorImNS0_10empty_typeEEEZZNS1_29radix_sort_onesweep_iterationIS3_Lb1EPKmPmPS5_SB_mNS0_19identity_decomposerENS1_16block_id_wrapperIjLb0EEEEE10hipError_tT1_PNSt15iterator_traitsISG_E10value_typeET2_T3_PNSH_ISM_E10value_typeET4_T5_PSR_SS_PNS1_23onesweep_lookback_stateEbbT6_jjT7_P12ihipStream_tbENKUlT_T0_SG_SL_E_clIS9_SA_SB_SB_EEDaSZ_S10_SG_SL_EUlSZ_E_NS1_11comp_targetILNS1_3genE3ELNS1_11target_archE908ELNS1_3gpuE7ELNS1_3repE0EEENS1_47radix_sort_onesweep_sort_config_static_selectorELNS0_4arch9wavefront6targetE0EEEvSG_: ; @_ZN7rocprim17ROCPRIM_400000_NS6detail17trampoline_kernelINS0_14default_configENS1_35radix_sort_onesweep_config_selectorImNS0_10empty_typeEEEZZNS1_29radix_sort_onesweep_iterationIS3_Lb1EPKmPmPS5_SB_mNS0_19identity_decomposerENS1_16block_id_wrapperIjLb0EEEEE10hipError_tT1_PNSt15iterator_traitsISG_E10value_typeET2_T3_PNSH_ISM_E10value_typeET4_T5_PSR_SS_PNS1_23onesweep_lookback_stateEbbT6_jjT7_P12ihipStream_tbENKUlT_T0_SG_SL_E_clIS9_SA_SB_SB_EEDaSZ_S10_SG_SL_EUlSZ_E_NS1_11comp_targetILNS1_3genE3ELNS1_11target_archE908ELNS1_3gpuE7ELNS1_3repE0EEENS1_47radix_sort_onesweep_sort_config_static_selectorELNS0_4arch9wavefront6targetE0EEEvSG_
; %bb.0:
	.section	.rodata,"a",@progbits
	.p2align	6, 0x0
	.amdhsa_kernel _ZN7rocprim17ROCPRIM_400000_NS6detail17trampoline_kernelINS0_14default_configENS1_35radix_sort_onesweep_config_selectorImNS0_10empty_typeEEEZZNS1_29radix_sort_onesweep_iterationIS3_Lb1EPKmPmPS5_SB_mNS0_19identity_decomposerENS1_16block_id_wrapperIjLb0EEEEE10hipError_tT1_PNSt15iterator_traitsISG_E10value_typeET2_T3_PNSH_ISM_E10value_typeET4_T5_PSR_SS_PNS1_23onesweep_lookback_stateEbbT6_jjT7_P12ihipStream_tbENKUlT_T0_SG_SL_E_clIS9_SA_SB_SB_EEDaSZ_S10_SG_SL_EUlSZ_E_NS1_11comp_targetILNS1_3genE3ELNS1_11target_archE908ELNS1_3gpuE7ELNS1_3repE0EEENS1_47radix_sort_onesweep_sort_config_static_selectorELNS0_4arch9wavefront6targetE0EEEvSG_
		.amdhsa_group_segment_fixed_size 0
		.amdhsa_private_segment_fixed_size 0
		.amdhsa_kernarg_size 88
		.amdhsa_user_sgpr_count 2
		.amdhsa_user_sgpr_dispatch_ptr 0
		.amdhsa_user_sgpr_queue_ptr 0
		.amdhsa_user_sgpr_kernarg_segment_ptr 1
		.amdhsa_user_sgpr_dispatch_id 0
		.amdhsa_user_sgpr_kernarg_preload_length 0
		.amdhsa_user_sgpr_kernarg_preload_offset 0
		.amdhsa_user_sgpr_private_segment_size 0
		.amdhsa_wavefront_size32 1
		.amdhsa_uses_dynamic_stack 0
		.amdhsa_enable_private_segment 0
		.amdhsa_system_sgpr_workgroup_id_x 1
		.amdhsa_system_sgpr_workgroup_id_y 0
		.amdhsa_system_sgpr_workgroup_id_z 0
		.amdhsa_system_sgpr_workgroup_info 0
		.amdhsa_system_vgpr_workitem_id 0
		.amdhsa_next_free_vgpr 1
		.amdhsa_next_free_sgpr 1
		.amdhsa_named_barrier_count 0
		.amdhsa_reserve_vcc 0
		.amdhsa_float_round_mode_32 0
		.amdhsa_float_round_mode_16_64 0
		.amdhsa_float_denorm_mode_32 3
		.amdhsa_float_denorm_mode_16_64 3
		.amdhsa_fp16_overflow 0
		.amdhsa_memory_ordered 1
		.amdhsa_forward_progress 1
		.amdhsa_inst_pref_size 0
		.amdhsa_round_robin_scheduling 0
		.amdhsa_exception_fp_ieee_invalid_op 0
		.amdhsa_exception_fp_denorm_src 0
		.amdhsa_exception_fp_ieee_div_zero 0
		.amdhsa_exception_fp_ieee_overflow 0
		.amdhsa_exception_fp_ieee_underflow 0
		.amdhsa_exception_fp_ieee_inexact 0
		.amdhsa_exception_int_div_zero 0
	.end_amdhsa_kernel
	.section	.text._ZN7rocprim17ROCPRIM_400000_NS6detail17trampoline_kernelINS0_14default_configENS1_35radix_sort_onesweep_config_selectorImNS0_10empty_typeEEEZZNS1_29radix_sort_onesweep_iterationIS3_Lb1EPKmPmPS5_SB_mNS0_19identity_decomposerENS1_16block_id_wrapperIjLb0EEEEE10hipError_tT1_PNSt15iterator_traitsISG_E10value_typeET2_T3_PNSH_ISM_E10value_typeET4_T5_PSR_SS_PNS1_23onesweep_lookback_stateEbbT6_jjT7_P12ihipStream_tbENKUlT_T0_SG_SL_E_clIS9_SA_SB_SB_EEDaSZ_S10_SG_SL_EUlSZ_E_NS1_11comp_targetILNS1_3genE3ELNS1_11target_archE908ELNS1_3gpuE7ELNS1_3repE0EEENS1_47radix_sort_onesweep_sort_config_static_selectorELNS0_4arch9wavefront6targetE0EEEvSG_,"axG",@progbits,_ZN7rocprim17ROCPRIM_400000_NS6detail17trampoline_kernelINS0_14default_configENS1_35radix_sort_onesweep_config_selectorImNS0_10empty_typeEEEZZNS1_29radix_sort_onesweep_iterationIS3_Lb1EPKmPmPS5_SB_mNS0_19identity_decomposerENS1_16block_id_wrapperIjLb0EEEEE10hipError_tT1_PNSt15iterator_traitsISG_E10value_typeET2_T3_PNSH_ISM_E10value_typeET4_T5_PSR_SS_PNS1_23onesweep_lookback_stateEbbT6_jjT7_P12ihipStream_tbENKUlT_T0_SG_SL_E_clIS9_SA_SB_SB_EEDaSZ_S10_SG_SL_EUlSZ_E_NS1_11comp_targetILNS1_3genE3ELNS1_11target_archE908ELNS1_3gpuE7ELNS1_3repE0EEENS1_47radix_sort_onesweep_sort_config_static_selectorELNS0_4arch9wavefront6targetE0EEEvSG_,comdat
.Lfunc_end2903:
	.size	_ZN7rocprim17ROCPRIM_400000_NS6detail17trampoline_kernelINS0_14default_configENS1_35radix_sort_onesweep_config_selectorImNS0_10empty_typeEEEZZNS1_29radix_sort_onesweep_iterationIS3_Lb1EPKmPmPS5_SB_mNS0_19identity_decomposerENS1_16block_id_wrapperIjLb0EEEEE10hipError_tT1_PNSt15iterator_traitsISG_E10value_typeET2_T3_PNSH_ISM_E10value_typeET4_T5_PSR_SS_PNS1_23onesweep_lookback_stateEbbT6_jjT7_P12ihipStream_tbENKUlT_T0_SG_SL_E_clIS9_SA_SB_SB_EEDaSZ_S10_SG_SL_EUlSZ_E_NS1_11comp_targetILNS1_3genE3ELNS1_11target_archE908ELNS1_3gpuE7ELNS1_3repE0EEENS1_47radix_sort_onesweep_sort_config_static_selectorELNS0_4arch9wavefront6targetE0EEEvSG_, .Lfunc_end2903-_ZN7rocprim17ROCPRIM_400000_NS6detail17trampoline_kernelINS0_14default_configENS1_35radix_sort_onesweep_config_selectorImNS0_10empty_typeEEEZZNS1_29radix_sort_onesweep_iterationIS3_Lb1EPKmPmPS5_SB_mNS0_19identity_decomposerENS1_16block_id_wrapperIjLb0EEEEE10hipError_tT1_PNSt15iterator_traitsISG_E10value_typeET2_T3_PNSH_ISM_E10value_typeET4_T5_PSR_SS_PNS1_23onesweep_lookback_stateEbbT6_jjT7_P12ihipStream_tbENKUlT_T0_SG_SL_E_clIS9_SA_SB_SB_EEDaSZ_S10_SG_SL_EUlSZ_E_NS1_11comp_targetILNS1_3genE3ELNS1_11target_archE908ELNS1_3gpuE7ELNS1_3repE0EEENS1_47radix_sort_onesweep_sort_config_static_selectorELNS0_4arch9wavefront6targetE0EEEvSG_
                                        ; -- End function
	.set _ZN7rocprim17ROCPRIM_400000_NS6detail17trampoline_kernelINS0_14default_configENS1_35radix_sort_onesweep_config_selectorImNS0_10empty_typeEEEZZNS1_29radix_sort_onesweep_iterationIS3_Lb1EPKmPmPS5_SB_mNS0_19identity_decomposerENS1_16block_id_wrapperIjLb0EEEEE10hipError_tT1_PNSt15iterator_traitsISG_E10value_typeET2_T3_PNSH_ISM_E10value_typeET4_T5_PSR_SS_PNS1_23onesweep_lookback_stateEbbT6_jjT7_P12ihipStream_tbENKUlT_T0_SG_SL_E_clIS9_SA_SB_SB_EEDaSZ_S10_SG_SL_EUlSZ_E_NS1_11comp_targetILNS1_3genE3ELNS1_11target_archE908ELNS1_3gpuE7ELNS1_3repE0EEENS1_47radix_sort_onesweep_sort_config_static_selectorELNS0_4arch9wavefront6targetE0EEEvSG_.num_vgpr, 0
	.set _ZN7rocprim17ROCPRIM_400000_NS6detail17trampoline_kernelINS0_14default_configENS1_35radix_sort_onesweep_config_selectorImNS0_10empty_typeEEEZZNS1_29radix_sort_onesweep_iterationIS3_Lb1EPKmPmPS5_SB_mNS0_19identity_decomposerENS1_16block_id_wrapperIjLb0EEEEE10hipError_tT1_PNSt15iterator_traitsISG_E10value_typeET2_T3_PNSH_ISM_E10value_typeET4_T5_PSR_SS_PNS1_23onesweep_lookback_stateEbbT6_jjT7_P12ihipStream_tbENKUlT_T0_SG_SL_E_clIS9_SA_SB_SB_EEDaSZ_S10_SG_SL_EUlSZ_E_NS1_11comp_targetILNS1_3genE3ELNS1_11target_archE908ELNS1_3gpuE7ELNS1_3repE0EEENS1_47radix_sort_onesweep_sort_config_static_selectorELNS0_4arch9wavefront6targetE0EEEvSG_.num_agpr, 0
	.set _ZN7rocprim17ROCPRIM_400000_NS6detail17trampoline_kernelINS0_14default_configENS1_35radix_sort_onesweep_config_selectorImNS0_10empty_typeEEEZZNS1_29radix_sort_onesweep_iterationIS3_Lb1EPKmPmPS5_SB_mNS0_19identity_decomposerENS1_16block_id_wrapperIjLb0EEEEE10hipError_tT1_PNSt15iterator_traitsISG_E10value_typeET2_T3_PNSH_ISM_E10value_typeET4_T5_PSR_SS_PNS1_23onesweep_lookback_stateEbbT6_jjT7_P12ihipStream_tbENKUlT_T0_SG_SL_E_clIS9_SA_SB_SB_EEDaSZ_S10_SG_SL_EUlSZ_E_NS1_11comp_targetILNS1_3genE3ELNS1_11target_archE908ELNS1_3gpuE7ELNS1_3repE0EEENS1_47radix_sort_onesweep_sort_config_static_selectorELNS0_4arch9wavefront6targetE0EEEvSG_.numbered_sgpr, 0
	.set _ZN7rocprim17ROCPRIM_400000_NS6detail17trampoline_kernelINS0_14default_configENS1_35radix_sort_onesweep_config_selectorImNS0_10empty_typeEEEZZNS1_29radix_sort_onesweep_iterationIS3_Lb1EPKmPmPS5_SB_mNS0_19identity_decomposerENS1_16block_id_wrapperIjLb0EEEEE10hipError_tT1_PNSt15iterator_traitsISG_E10value_typeET2_T3_PNSH_ISM_E10value_typeET4_T5_PSR_SS_PNS1_23onesweep_lookback_stateEbbT6_jjT7_P12ihipStream_tbENKUlT_T0_SG_SL_E_clIS9_SA_SB_SB_EEDaSZ_S10_SG_SL_EUlSZ_E_NS1_11comp_targetILNS1_3genE3ELNS1_11target_archE908ELNS1_3gpuE7ELNS1_3repE0EEENS1_47radix_sort_onesweep_sort_config_static_selectorELNS0_4arch9wavefront6targetE0EEEvSG_.num_named_barrier, 0
	.set _ZN7rocprim17ROCPRIM_400000_NS6detail17trampoline_kernelINS0_14default_configENS1_35radix_sort_onesweep_config_selectorImNS0_10empty_typeEEEZZNS1_29radix_sort_onesweep_iterationIS3_Lb1EPKmPmPS5_SB_mNS0_19identity_decomposerENS1_16block_id_wrapperIjLb0EEEEE10hipError_tT1_PNSt15iterator_traitsISG_E10value_typeET2_T3_PNSH_ISM_E10value_typeET4_T5_PSR_SS_PNS1_23onesweep_lookback_stateEbbT6_jjT7_P12ihipStream_tbENKUlT_T0_SG_SL_E_clIS9_SA_SB_SB_EEDaSZ_S10_SG_SL_EUlSZ_E_NS1_11comp_targetILNS1_3genE3ELNS1_11target_archE908ELNS1_3gpuE7ELNS1_3repE0EEENS1_47radix_sort_onesweep_sort_config_static_selectorELNS0_4arch9wavefront6targetE0EEEvSG_.private_seg_size, 0
	.set _ZN7rocprim17ROCPRIM_400000_NS6detail17trampoline_kernelINS0_14default_configENS1_35radix_sort_onesweep_config_selectorImNS0_10empty_typeEEEZZNS1_29radix_sort_onesweep_iterationIS3_Lb1EPKmPmPS5_SB_mNS0_19identity_decomposerENS1_16block_id_wrapperIjLb0EEEEE10hipError_tT1_PNSt15iterator_traitsISG_E10value_typeET2_T3_PNSH_ISM_E10value_typeET4_T5_PSR_SS_PNS1_23onesweep_lookback_stateEbbT6_jjT7_P12ihipStream_tbENKUlT_T0_SG_SL_E_clIS9_SA_SB_SB_EEDaSZ_S10_SG_SL_EUlSZ_E_NS1_11comp_targetILNS1_3genE3ELNS1_11target_archE908ELNS1_3gpuE7ELNS1_3repE0EEENS1_47radix_sort_onesweep_sort_config_static_selectorELNS0_4arch9wavefront6targetE0EEEvSG_.uses_vcc, 0
	.set _ZN7rocprim17ROCPRIM_400000_NS6detail17trampoline_kernelINS0_14default_configENS1_35radix_sort_onesweep_config_selectorImNS0_10empty_typeEEEZZNS1_29radix_sort_onesweep_iterationIS3_Lb1EPKmPmPS5_SB_mNS0_19identity_decomposerENS1_16block_id_wrapperIjLb0EEEEE10hipError_tT1_PNSt15iterator_traitsISG_E10value_typeET2_T3_PNSH_ISM_E10value_typeET4_T5_PSR_SS_PNS1_23onesweep_lookback_stateEbbT6_jjT7_P12ihipStream_tbENKUlT_T0_SG_SL_E_clIS9_SA_SB_SB_EEDaSZ_S10_SG_SL_EUlSZ_E_NS1_11comp_targetILNS1_3genE3ELNS1_11target_archE908ELNS1_3gpuE7ELNS1_3repE0EEENS1_47radix_sort_onesweep_sort_config_static_selectorELNS0_4arch9wavefront6targetE0EEEvSG_.uses_flat_scratch, 0
	.set _ZN7rocprim17ROCPRIM_400000_NS6detail17trampoline_kernelINS0_14default_configENS1_35radix_sort_onesweep_config_selectorImNS0_10empty_typeEEEZZNS1_29radix_sort_onesweep_iterationIS3_Lb1EPKmPmPS5_SB_mNS0_19identity_decomposerENS1_16block_id_wrapperIjLb0EEEEE10hipError_tT1_PNSt15iterator_traitsISG_E10value_typeET2_T3_PNSH_ISM_E10value_typeET4_T5_PSR_SS_PNS1_23onesweep_lookback_stateEbbT6_jjT7_P12ihipStream_tbENKUlT_T0_SG_SL_E_clIS9_SA_SB_SB_EEDaSZ_S10_SG_SL_EUlSZ_E_NS1_11comp_targetILNS1_3genE3ELNS1_11target_archE908ELNS1_3gpuE7ELNS1_3repE0EEENS1_47radix_sort_onesweep_sort_config_static_selectorELNS0_4arch9wavefront6targetE0EEEvSG_.has_dyn_sized_stack, 0
	.set _ZN7rocprim17ROCPRIM_400000_NS6detail17trampoline_kernelINS0_14default_configENS1_35radix_sort_onesweep_config_selectorImNS0_10empty_typeEEEZZNS1_29radix_sort_onesweep_iterationIS3_Lb1EPKmPmPS5_SB_mNS0_19identity_decomposerENS1_16block_id_wrapperIjLb0EEEEE10hipError_tT1_PNSt15iterator_traitsISG_E10value_typeET2_T3_PNSH_ISM_E10value_typeET4_T5_PSR_SS_PNS1_23onesweep_lookback_stateEbbT6_jjT7_P12ihipStream_tbENKUlT_T0_SG_SL_E_clIS9_SA_SB_SB_EEDaSZ_S10_SG_SL_EUlSZ_E_NS1_11comp_targetILNS1_3genE3ELNS1_11target_archE908ELNS1_3gpuE7ELNS1_3repE0EEENS1_47radix_sort_onesweep_sort_config_static_selectorELNS0_4arch9wavefront6targetE0EEEvSG_.has_recursion, 0
	.set _ZN7rocprim17ROCPRIM_400000_NS6detail17trampoline_kernelINS0_14default_configENS1_35radix_sort_onesweep_config_selectorImNS0_10empty_typeEEEZZNS1_29radix_sort_onesweep_iterationIS3_Lb1EPKmPmPS5_SB_mNS0_19identity_decomposerENS1_16block_id_wrapperIjLb0EEEEE10hipError_tT1_PNSt15iterator_traitsISG_E10value_typeET2_T3_PNSH_ISM_E10value_typeET4_T5_PSR_SS_PNS1_23onesweep_lookback_stateEbbT6_jjT7_P12ihipStream_tbENKUlT_T0_SG_SL_E_clIS9_SA_SB_SB_EEDaSZ_S10_SG_SL_EUlSZ_E_NS1_11comp_targetILNS1_3genE3ELNS1_11target_archE908ELNS1_3gpuE7ELNS1_3repE0EEENS1_47radix_sort_onesweep_sort_config_static_selectorELNS0_4arch9wavefront6targetE0EEEvSG_.has_indirect_call, 0
	.section	.AMDGPU.csdata,"",@progbits
; Kernel info:
; codeLenInByte = 0
; TotalNumSgprs: 0
; NumVgprs: 0
; ScratchSize: 0
; MemoryBound: 0
; FloatMode: 240
; IeeeMode: 1
; LDSByteSize: 0 bytes/workgroup (compile time only)
; SGPRBlocks: 0
; VGPRBlocks: 0
; NumSGPRsForWavesPerEU: 1
; NumVGPRsForWavesPerEU: 1
; NamedBarCnt: 0
; Occupancy: 16
; WaveLimiterHint : 0
; COMPUTE_PGM_RSRC2:SCRATCH_EN: 0
; COMPUTE_PGM_RSRC2:USER_SGPR: 2
; COMPUTE_PGM_RSRC2:TRAP_HANDLER: 0
; COMPUTE_PGM_RSRC2:TGID_X_EN: 1
; COMPUTE_PGM_RSRC2:TGID_Y_EN: 0
; COMPUTE_PGM_RSRC2:TGID_Z_EN: 0
; COMPUTE_PGM_RSRC2:TIDIG_COMP_CNT: 0
	.section	.text._ZN7rocprim17ROCPRIM_400000_NS6detail17trampoline_kernelINS0_14default_configENS1_35radix_sort_onesweep_config_selectorImNS0_10empty_typeEEEZZNS1_29radix_sort_onesweep_iterationIS3_Lb1EPKmPmPS5_SB_mNS0_19identity_decomposerENS1_16block_id_wrapperIjLb0EEEEE10hipError_tT1_PNSt15iterator_traitsISG_E10value_typeET2_T3_PNSH_ISM_E10value_typeET4_T5_PSR_SS_PNS1_23onesweep_lookback_stateEbbT6_jjT7_P12ihipStream_tbENKUlT_T0_SG_SL_E_clIS9_SA_SB_SB_EEDaSZ_S10_SG_SL_EUlSZ_E_NS1_11comp_targetILNS1_3genE10ELNS1_11target_archE1201ELNS1_3gpuE5ELNS1_3repE0EEENS1_47radix_sort_onesweep_sort_config_static_selectorELNS0_4arch9wavefront6targetE0EEEvSG_,"axG",@progbits,_ZN7rocprim17ROCPRIM_400000_NS6detail17trampoline_kernelINS0_14default_configENS1_35radix_sort_onesweep_config_selectorImNS0_10empty_typeEEEZZNS1_29radix_sort_onesweep_iterationIS3_Lb1EPKmPmPS5_SB_mNS0_19identity_decomposerENS1_16block_id_wrapperIjLb0EEEEE10hipError_tT1_PNSt15iterator_traitsISG_E10value_typeET2_T3_PNSH_ISM_E10value_typeET4_T5_PSR_SS_PNS1_23onesweep_lookback_stateEbbT6_jjT7_P12ihipStream_tbENKUlT_T0_SG_SL_E_clIS9_SA_SB_SB_EEDaSZ_S10_SG_SL_EUlSZ_E_NS1_11comp_targetILNS1_3genE10ELNS1_11target_archE1201ELNS1_3gpuE5ELNS1_3repE0EEENS1_47radix_sort_onesweep_sort_config_static_selectorELNS0_4arch9wavefront6targetE0EEEvSG_,comdat
	.protected	_ZN7rocprim17ROCPRIM_400000_NS6detail17trampoline_kernelINS0_14default_configENS1_35radix_sort_onesweep_config_selectorImNS0_10empty_typeEEEZZNS1_29radix_sort_onesweep_iterationIS3_Lb1EPKmPmPS5_SB_mNS0_19identity_decomposerENS1_16block_id_wrapperIjLb0EEEEE10hipError_tT1_PNSt15iterator_traitsISG_E10value_typeET2_T3_PNSH_ISM_E10value_typeET4_T5_PSR_SS_PNS1_23onesweep_lookback_stateEbbT6_jjT7_P12ihipStream_tbENKUlT_T0_SG_SL_E_clIS9_SA_SB_SB_EEDaSZ_S10_SG_SL_EUlSZ_E_NS1_11comp_targetILNS1_3genE10ELNS1_11target_archE1201ELNS1_3gpuE5ELNS1_3repE0EEENS1_47radix_sort_onesweep_sort_config_static_selectorELNS0_4arch9wavefront6targetE0EEEvSG_ ; -- Begin function _ZN7rocprim17ROCPRIM_400000_NS6detail17trampoline_kernelINS0_14default_configENS1_35radix_sort_onesweep_config_selectorImNS0_10empty_typeEEEZZNS1_29radix_sort_onesweep_iterationIS3_Lb1EPKmPmPS5_SB_mNS0_19identity_decomposerENS1_16block_id_wrapperIjLb0EEEEE10hipError_tT1_PNSt15iterator_traitsISG_E10value_typeET2_T3_PNSH_ISM_E10value_typeET4_T5_PSR_SS_PNS1_23onesweep_lookback_stateEbbT6_jjT7_P12ihipStream_tbENKUlT_T0_SG_SL_E_clIS9_SA_SB_SB_EEDaSZ_S10_SG_SL_EUlSZ_E_NS1_11comp_targetILNS1_3genE10ELNS1_11target_archE1201ELNS1_3gpuE5ELNS1_3repE0EEENS1_47radix_sort_onesweep_sort_config_static_selectorELNS0_4arch9wavefront6targetE0EEEvSG_
	.globl	_ZN7rocprim17ROCPRIM_400000_NS6detail17trampoline_kernelINS0_14default_configENS1_35radix_sort_onesweep_config_selectorImNS0_10empty_typeEEEZZNS1_29radix_sort_onesweep_iterationIS3_Lb1EPKmPmPS5_SB_mNS0_19identity_decomposerENS1_16block_id_wrapperIjLb0EEEEE10hipError_tT1_PNSt15iterator_traitsISG_E10value_typeET2_T3_PNSH_ISM_E10value_typeET4_T5_PSR_SS_PNS1_23onesweep_lookback_stateEbbT6_jjT7_P12ihipStream_tbENKUlT_T0_SG_SL_E_clIS9_SA_SB_SB_EEDaSZ_S10_SG_SL_EUlSZ_E_NS1_11comp_targetILNS1_3genE10ELNS1_11target_archE1201ELNS1_3gpuE5ELNS1_3repE0EEENS1_47radix_sort_onesweep_sort_config_static_selectorELNS0_4arch9wavefront6targetE0EEEvSG_
	.p2align	8
	.type	_ZN7rocprim17ROCPRIM_400000_NS6detail17trampoline_kernelINS0_14default_configENS1_35radix_sort_onesweep_config_selectorImNS0_10empty_typeEEEZZNS1_29radix_sort_onesweep_iterationIS3_Lb1EPKmPmPS5_SB_mNS0_19identity_decomposerENS1_16block_id_wrapperIjLb0EEEEE10hipError_tT1_PNSt15iterator_traitsISG_E10value_typeET2_T3_PNSH_ISM_E10value_typeET4_T5_PSR_SS_PNS1_23onesweep_lookback_stateEbbT6_jjT7_P12ihipStream_tbENKUlT_T0_SG_SL_E_clIS9_SA_SB_SB_EEDaSZ_S10_SG_SL_EUlSZ_E_NS1_11comp_targetILNS1_3genE10ELNS1_11target_archE1201ELNS1_3gpuE5ELNS1_3repE0EEENS1_47radix_sort_onesweep_sort_config_static_selectorELNS0_4arch9wavefront6targetE0EEEvSG_,@function
_ZN7rocprim17ROCPRIM_400000_NS6detail17trampoline_kernelINS0_14default_configENS1_35radix_sort_onesweep_config_selectorImNS0_10empty_typeEEEZZNS1_29radix_sort_onesweep_iterationIS3_Lb1EPKmPmPS5_SB_mNS0_19identity_decomposerENS1_16block_id_wrapperIjLb0EEEEE10hipError_tT1_PNSt15iterator_traitsISG_E10value_typeET2_T3_PNSH_ISM_E10value_typeET4_T5_PSR_SS_PNS1_23onesweep_lookback_stateEbbT6_jjT7_P12ihipStream_tbENKUlT_T0_SG_SL_E_clIS9_SA_SB_SB_EEDaSZ_S10_SG_SL_EUlSZ_E_NS1_11comp_targetILNS1_3genE10ELNS1_11target_archE1201ELNS1_3gpuE5ELNS1_3repE0EEENS1_47radix_sort_onesweep_sort_config_static_selectorELNS0_4arch9wavefront6targetE0EEEvSG_: ; @_ZN7rocprim17ROCPRIM_400000_NS6detail17trampoline_kernelINS0_14default_configENS1_35radix_sort_onesweep_config_selectorImNS0_10empty_typeEEEZZNS1_29radix_sort_onesweep_iterationIS3_Lb1EPKmPmPS5_SB_mNS0_19identity_decomposerENS1_16block_id_wrapperIjLb0EEEEE10hipError_tT1_PNSt15iterator_traitsISG_E10value_typeET2_T3_PNSH_ISM_E10value_typeET4_T5_PSR_SS_PNS1_23onesweep_lookback_stateEbbT6_jjT7_P12ihipStream_tbENKUlT_T0_SG_SL_E_clIS9_SA_SB_SB_EEDaSZ_S10_SG_SL_EUlSZ_E_NS1_11comp_targetILNS1_3genE10ELNS1_11target_archE1201ELNS1_3gpuE5ELNS1_3repE0EEENS1_47radix_sort_onesweep_sort_config_static_selectorELNS0_4arch9wavefront6targetE0EEEvSG_
; %bb.0:
	.section	.rodata,"a",@progbits
	.p2align	6, 0x0
	.amdhsa_kernel _ZN7rocprim17ROCPRIM_400000_NS6detail17trampoline_kernelINS0_14default_configENS1_35radix_sort_onesweep_config_selectorImNS0_10empty_typeEEEZZNS1_29radix_sort_onesweep_iterationIS3_Lb1EPKmPmPS5_SB_mNS0_19identity_decomposerENS1_16block_id_wrapperIjLb0EEEEE10hipError_tT1_PNSt15iterator_traitsISG_E10value_typeET2_T3_PNSH_ISM_E10value_typeET4_T5_PSR_SS_PNS1_23onesweep_lookback_stateEbbT6_jjT7_P12ihipStream_tbENKUlT_T0_SG_SL_E_clIS9_SA_SB_SB_EEDaSZ_S10_SG_SL_EUlSZ_E_NS1_11comp_targetILNS1_3genE10ELNS1_11target_archE1201ELNS1_3gpuE5ELNS1_3repE0EEENS1_47radix_sort_onesweep_sort_config_static_selectorELNS0_4arch9wavefront6targetE0EEEvSG_
		.amdhsa_group_segment_fixed_size 0
		.amdhsa_private_segment_fixed_size 0
		.amdhsa_kernarg_size 88
		.amdhsa_user_sgpr_count 2
		.amdhsa_user_sgpr_dispatch_ptr 0
		.amdhsa_user_sgpr_queue_ptr 0
		.amdhsa_user_sgpr_kernarg_segment_ptr 1
		.amdhsa_user_sgpr_dispatch_id 0
		.amdhsa_user_sgpr_kernarg_preload_length 0
		.amdhsa_user_sgpr_kernarg_preload_offset 0
		.amdhsa_user_sgpr_private_segment_size 0
		.amdhsa_wavefront_size32 1
		.amdhsa_uses_dynamic_stack 0
		.amdhsa_enable_private_segment 0
		.amdhsa_system_sgpr_workgroup_id_x 1
		.amdhsa_system_sgpr_workgroup_id_y 0
		.amdhsa_system_sgpr_workgroup_id_z 0
		.amdhsa_system_sgpr_workgroup_info 0
		.amdhsa_system_vgpr_workitem_id 0
		.amdhsa_next_free_vgpr 1
		.amdhsa_next_free_sgpr 1
		.amdhsa_named_barrier_count 0
		.amdhsa_reserve_vcc 0
		.amdhsa_float_round_mode_32 0
		.amdhsa_float_round_mode_16_64 0
		.amdhsa_float_denorm_mode_32 3
		.amdhsa_float_denorm_mode_16_64 3
		.amdhsa_fp16_overflow 0
		.amdhsa_memory_ordered 1
		.amdhsa_forward_progress 1
		.amdhsa_inst_pref_size 0
		.amdhsa_round_robin_scheduling 0
		.amdhsa_exception_fp_ieee_invalid_op 0
		.amdhsa_exception_fp_denorm_src 0
		.amdhsa_exception_fp_ieee_div_zero 0
		.amdhsa_exception_fp_ieee_overflow 0
		.amdhsa_exception_fp_ieee_underflow 0
		.amdhsa_exception_fp_ieee_inexact 0
		.amdhsa_exception_int_div_zero 0
	.end_amdhsa_kernel
	.section	.text._ZN7rocprim17ROCPRIM_400000_NS6detail17trampoline_kernelINS0_14default_configENS1_35radix_sort_onesweep_config_selectorImNS0_10empty_typeEEEZZNS1_29radix_sort_onesweep_iterationIS3_Lb1EPKmPmPS5_SB_mNS0_19identity_decomposerENS1_16block_id_wrapperIjLb0EEEEE10hipError_tT1_PNSt15iterator_traitsISG_E10value_typeET2_T3_PNSH_ISM_E10value_typeET4_T5_PSR_SS_PNS1_23onesweep_lookback_stateEbbT6_jjT7_P12ihipStream_tbENKUlT_T0_SG_SL_E_clIS9_SA_SB_SB_EEDaSZ_S10_SG_SL_EUlSZ_E_NS1_11comp_targetILNS1_3genE10ELNS1_11target_archE1201ELNS1_3gpuE5ELNS1_3repE0EEENS1_47radix_sort_onesweep_sort_config_static_selectorELNS0_4arch9wavefront6targetE0EEEvSG_,"axG",@progbits,_ZN7rocprim17ROCPRIM_400000_NS6detail17trampoline_kernelINS0_14default_configENS1_35radix_sort_onesweep_config_selectorImNS0_10empty_typeEEEZZNS1_29radix_sort_onesweep_iterationIS3_Lb1EPKmPmPS5_SB_mNS0_19identity_decomposerENS1_16block_id_wrapperIjLb0EEEEE10hipError_tT1_PNSt15iterator_traitsISG_E10value_typeET2_T3_PNSH_ISM_E10value_typeET4_T5_PSR_SS_PNS1_23onesweep_lookback_stateEbbT6_jjT7_P12ihipStream_tbENKUlT_T0_SG_SL_E_clIS9_SA_SB_SB_EEDaSZ_S10_SG_SL_EUlSZ_E_NS1_11comp_targetILNS1_3genE10ELNS1_11target_archE1201ELNS1_3gpuE5ELNS1_3repE0EEENS1_47radix_sort_onesweep_sort_config_static_selectorELNS0_4arch9wavefront6targetE0EEEvSG_,comdat
.Lfunc_end2904:
	.size	_ZN7rocprim17ROCPRIM_400000_NS6detail17trampoline_kernelINS0_14default_configENS1_35radix_sort_onesweep_config_selectorImNS0_10empty_typeEEEZZNS1_29radix_sort_onesweep_iterationIS3_Lb1EPKmPmPS5_SB_mNS0_19identity_decomposerENS1_16block_id_wrapperIjLb0EEEEE10hipError_tT1_PNSt15iterator_traitsISG_E10value_typeET2_T3_PNSH_ISM_E10value_typeET4_T5_PSR_SS_PNS1_23onesweep_lookback_stateEbbT6_jjT7_P12ihipStream_tbENKUlT_T0_SG_SL_E_clIS9_SA_SB_SB_EEDaSZ_S10_SG_SL_EUlSZ_E_NS1_11comp_targetILNS1_3genE10ELNS1_11target_archE1201ELNS1_3gpuE5ELNS1_3repE0EEENS1_47radix_sort_onesweep_sort_config_static_selectorELNS0_4arch9wavefront6targetE0EEEvSG_, .Lfunc_end2904-_ZN7rocprim17ROCPRIM_400000_NS6detail17trampoline_kernelINS0_14default_configENS1_35radix_sort_onesweep_config_selectorImNS0_10empty_typeEEEZZNS1_29radix_sort_onesweep_iterationIS3_Lb1EPKmPmPS5_SB_mNS0_19identity_decomposerENS1_16block_id_wrapperIjLb0EEEEE10hipError_tT1_PNSt15iterator_traitsISG_E10value_typeET2_T3_PNSH_ISM_E10value_typeET4_T5_PSR_SS_PNS1_23onesweep_lookback_stateEbbT6_jjT7_P12ihipStream_tbENKUlT_T0_SG_SL_E_clIS9_SA_SB_SB_EEDaSZ_S10_SG_SL_EUlSZ_E_NS1_11comp_targetILNS1_3genE10ELNS1_11target_archE1201ELNS1_3gpuE5ELNS1_3repE0EEENS1_47radix_sort_onesweep_sort_config_static_selectorELNS0_4arch9wavefront6targetE0EEEvSG_
                                        ; -- End function
	.set _ZN7rocprim17ROCPRIM_400000_NS6detail17trampoline_kernelINS0_14default_configENS1_35radix_sort_onesweep_config_selectorImNS0_10empty_typeEEEZZNS1_29radix_sort_onesweep_iterationIS3_Lb1EPKmPmPS5_SB_mNS0_19identity_decomposerENS1_16block_id_wrapperIjLb0EEEEE10hipError_tT1_PNSt15iterator_traitsISG_E10value_typeET2_T3_PNSH_ISM_E10value_typeET4_T5_PSR_SS_PNS1_23onesweep_lookback_stateEbbT6_jjT7_P12ihipStream_tbENKUlT_T0_SG_SL_E_clIS9_SA_SB_SB_EEDaSZ_S10_SG_SL_EUlSZ_E_NS1_11comp_targetILNS1_3genE10ELNS1_11target_archE1201ELNS1_3gpuE5ELNS1_3repE0EEENS1_47radix_sort_onesweep_sort_config_static_selectorELNS0_4arch9wavefront6targetE0EEEvSG_.num_vgpr, 0
	.set _ZN7rocprim17ROCPRIM_400000_NS6detail17trampoline_kernelINS0_14default_configENS1_35radix_sort_onesweep_config_selectorImNS0_10empty_typeEEEZZNS1_29radix_sort_onesweep_iterationIS3_Lb1EPKmPmPS5_SB_mNS0_19identity_decomposerENS1_16block_id_wrapperIjLb0EEEEE10hipError_tT1_PNSt15iterator_traitsISG_E10value_typeET2_T3_PNSH_ISM_E10value_typeET4_T5_PSR_SS_PNS1_23onesweep_lookback_stateEbbT6_jjT7_P12ihipStream_tbENKUlT_T0_SG_SL_E_clIS9_SA_SB_SB_EEDaSZ_S10_SG_SL_EUlSZ_E_NS1_11comp_targetILNS1_3genE10ELNS1_11target_archE1201ELNS1_3gpuE5ELNS1_3repE0EEENS1_47radix_sort_onesweep_sort_config_static_selectorELNS0_4arch9wavefront6targetE0EEEvSG_.num_agpr, 0
	.set _ZN7rocprim17ROCPRIM_400000_NS6detail17trampoline_kernelINS0_14default_configENS1_35radix_sort_onesweep_config_selectorImNS0_10empty_typeEEEZZNS1_29radix_sort_onesweep_iterationIS3_Lb1EPKmPmPS5_SB_mNS0_19identity_decomposerENS1_16block_id_wrapperIjLb0EEEEE10hipError_tT1_PNSt15iterator_traitsISG_E10value_typeET2_T3_PNSH_ISM_E10value_typeET4_T5_PSR_SS_PNS1_23onesweep_lookback_stateEbbT6_jjT7_P12ihipStream_tbENKUlT_T0_SG_SL_E_clIS9_SA_SB_SB_EEDaSZ_S10_SG_SL_EUlSZ_E_NS1_11comp_targetILNS1_3genE10ELNS1_11target_archE1201ELNS1_3gpuE5ELNS1_3repE0EEENS1_47radix_sort_onesweep_sort_config_static_selectorELNS0_4arch9wavefront6targetE0EEEvSG_.numbered_sgpr, 0
	.set _ZN7rocprim17ROCPRIM_400000_NS6detail17trampoline_kernelINS0_14default_configENS1_35radix_sort_onesweep_config_selectorImNS0_10empty_typeEEEZZNS1_29radix_sort_onesweep_iterationIS3_Lb1EPKmPmPS5_SB_mNS0_19identity_decomposerENS1_16block_id_wrapperIjLb0EEEEE10hipError_tT1_PNSt15iterator_traitsISG_E10value_typeET2_T3_PNSH_ISM_E10value_typeET4_T5_PSR_SS_PNS1_23onesweep_lookback_stateEbbT6_jjT7_P12ihipStream_tbENKUlT_T0_SG_SL_E_clIS9_SA_SB_SB_EEDaSZ_S10_SG_SL_EUlSZ_E_NS1_11comp_targetILNS1_3genE10ELNS1_11target_archE1201ELNS1_3gpuE5ELNS1_3repE0EEENS1_47radix_sort_onesweep_sort_config_static_selectorELNS0_4arch9wavefront6targetE0EEEvSG_.num_named_barrier, 0
	.set _ZN7rocprim17ROCPRIM_400000_NS6detail17trampoline_kernelINS0_14default_configENS1_35radix_sort_onesweep_config_selectorImNS0_10empty_typeEEEZZNS1_29radix_sort_onesweep_iterationIS3_Lb1EPKmPmPS5_SB_mNS0_19identity_decomposerENS1_16block_id_wrapperIjLb0EEEEE10hipError_tT1_PNSt15iterator_traitsISG_E10value_typeET2_T3_PNSH_ISM_E10value_typeET4_T5_PSR_SS_PNS1_23onesweep_lookback_stateEbbT6_jjT7_P12ihipStream_tbENKUlT_T0_SG_SL_E_clIS9_SA_SB_SB_EEDaSZ_S10_SG_SL_EUlSZ_E_NS1_11comp_targetILNS1_3genE10ELNS1_11target_archE1201ELNS1_3gpuE5ELNS1_3repE0EEENS1_47radix_sort_onesweep_sort_config_static_selectorELNS0_4arch9wavefront6targetE0EEEvSG_.private_seg_size, 0
	.set _ZN7rocprim17ROCPRIM_400000_NS6detail17trampoline_kernelINS0_14default_configENS1_35radix_sort_onesweep_config_selectorImNS0_10empty_typeEEEZZNS1_29radix_sort_onesweep_iterationIS3_Lb1EPKmPmPS5_SB_mNS0_19identity_decomposerENS1_16block_id_wrapperIjLb0EEEEE10hipError_tT1_PNSt15iterator_traitsISG_E10value_typeET2_T3_PNSH_ISM_E10value_typeET4_T5_PSR_SS_PNS1_23onesweep_lookback_stateEbbT6_jjT7_P12ihipStream_tbENKUlT_T0_SG_SL_E_clIS9_SA_SB_SB_EEDaSZ_S10_SG_SL_EUlSZ_E_NS1_11comp_targetILNS1_3genE10ELNS1_11target_archE1201ELNS1_3gpuE5ELNS1_3repE0EEENS1_47radix_sort_onesweep_sort_config_static_selectorELNS0_4arch9wavefront6targetE0EEEvSG_.uses_vcc, 0
	.set _ZN7rocprim17ROCPRIM_400000_NS6detail17trampoline_kernelINS0_14default_configENS1_35radix_sort_onesweep_config_selectorImNS0_10empty_typeEEEZZNS1_29radix_sort_onesweep_iterationIS3_Lb1EPKmPmPS5_SB_mNS0_19identity_decomposerENS1_16block_id_wrapperIjLb0EEEEE10hipError_tT1_PNSt15iterator_traitsISG_E10value_typeET2_T3_PNSH_ISM_E10value_typeET4_T5_PSR_SS_PNS1_23onesweep_lookback_stateEbbT6_jjT7_P12ihipStream_tbENKUlT_T0_SG_SL_E_clIS9_SA_SB_SB_EEDaSZ_S10_SG_SL_EUlSZ_E_NS1_11comp_targetILNS1_3genE10ELNS1_11target_archE1201ELNS1_3gpuE5ELNS1_3repE0EEENS1_47radix_sort_onesweep_sort_config_static_selectorELNS0_4arch9wavefront6targetE0EEEvSG_.uses_flat_scratch, 0
	.set _ZN7rocprim17ROCPRIM_400000_NS6detail17trampoline_kernelINS0_14default_configENS1_35radix_sort_onesweep_config_selectorImNS0_10empty_typeEEEZZNS1_29radix_sort_onesweep_iterationIS3_Lb1EPKmPmPS5_SB_mNS0_19identity_decomposerENS1_16block_id_wrapperIjLb0EEEEE10hipError_tT1_PNSt15iterator_traitsISG_E10value_typeET2_T3_PNSH_ISM_E10value_typeET4_T5_PSR_SS_PNS1_23onesweep_lookback_stateEbbT6_jjT7_P12ihipStream_tbENKUlT_T0_SG_SL_E_clIS9_SA_SB_SB_EEDaSZ_S10_SG_SL_EUlSZ_E_NS1_11comp_targetILNS1_3genE10ELNS1_11target_archE1201ELNS1_3gpuE5ELNS1_3repE0EEENS1_47radix_sort_onesweep_sort_config_static_selectorELNS0_4arch9wavefront6targetE0EEEvSG_.has_dyn_sized_stack, 0
	.set _ZN7rocprim17ROCPRIM_400000_NS6detail17trampoline_kernelINS0_14default_configENS1_35radix_sort_onesweep_config_selectorImNS0_10empty_typeEEEZZNS1_29radix_sort_onesweep_iterationIS3_Lb1EPKmPmPS5_SB_mNS0_19identity_decomposerENS1_16block_id_wrapperIjLb0EEEEE10hipError_tT1_PNSt15iterator_traitsISG_E10value_typeET2_T3_PNSH_ISM_E10value_typeET4_T5_PSR_SS_PNS1_23onesweep_lookback_stateEbbT6_jjT7_P12ihipStream_tbENKUlT_T0_SG_SL_E_clIS9_SA_SB_SB_EEDaSZ_S10_SG_SL_EUlSZ_E_NS1_11comp_targetILNS1_3genE10ELNS1_11target_archE1201ELNS1_3gpuE5ELNS1_3repE0EEENS1_47radix_sort_onesweep_sort_config_static_selectorELNS0_4arch9wavefront6targetE0EEEvSG_.has_recursion, 0
	.set _ZN7rocprim17ROCPRIM_400000_NS6detail17trampoline_kernelINS0_14default_configENS1_35radix_sort_onesweep_config_selectorImNS0_10empty_typeEEEZZNS1_29radix_sort_onesweep_iterationIS3_Lb1EPKmPmPS5_SB_mNS0_19identity_decomposerENS1_16block_id_wrapperIjLb0EEEEE10hipError_tT1_PNSt15iterator_traitsISG_E10value_typeET2_T3_PNSH_ISM_E10value_typeET4_T5_PSR_SS_PNS1_23onesweep_lookback_stateEbbT6_jjT7_P12ihipStream_tbENKUlT_T0_SG_SL_E_clIS9_SA_SB_SB_EEDaSZ_S10_SG_SL_EUlSZ_E_NS1_11comp_targetILNS1_3genE10ELNS1_11target_archE1201ELNS1_3gpuE5ELNS1_3repE0EEENS1_47radix_sort_onesweep_sort_config_static_selectorELNS0_4arch9wavefront6targetE0EEEvSG_.has_indirect_call, 0
	.section	.AMDGPU.csdata,"",@progbits
; Kernel info:
; codeLenInByte = 0
; TotalNumSgprs: 0
; NumVgprs: 0
; ScratchSize: 0
; MemoryBound: 0
; FloatMode: 240
; IeeeMode: 1
; LDSByteSize: 0 bytes/workgroup (compile time only)
; SGPRBlocks: 0
; VGPRBlocks: 0
; NumSGPRsForWavesPerEU: 1
; NumVGPRsForWavesPerEU: 1
; NamedBarCnt: 0
; Occupancy: 16
; WaveLimiterHint : 0
; COMPUTE_PGM_RSRC2:SCRATCH_EN: 0
; COMPUTE_PGM_RSRC2:USER_SGPR: 2
; COMPUTE_PGM_RSRC2:TRAP_HANDLER: 0
; COMPUTE_PGM_RSRC2:TGID_X_EN: 1
; COMPUTE_PGM_RSRC2:TGID_Y_EN: 0
; COMPUTE_PGM_RSRC2:TGID_Z_EN: 0
; COMPUTE_PGM_RSRC2:TIDIG_COMP_CNT: 0
	.section	.text._ZN7rocprim17ROCPRIM_400000_NS6detail17trampoline_kernelINS0_14default_configENS1_35radix_sort_onesweep_config_selectorImNS0_10empty_typeEEEZZNS1_29radix_sort_onesweep_iterationIS3_Lb1EPKmPmPS5_SB_mNS0_19identity_decomposerENS1_16block_id_wrapperIjLb0EEEEE10hipError_tT1_PNSt15iterator_traitsISG_E10value_typeET2_T3_PNSH_ISM_E10value_typeET4_T5_PSR_SS_PNS1_23onesweep_lookback_stateEbbT6_jjT7_P12ihipStream_tbENKUlT_T0_SG_SL_E_clIS9_SA_SB_SB_EEDaSZ_S10_SG_SL_EUlSZ_E_NS1_11comp_targetILNS1_3genE9ELNS1_11target_archE1100ELNS1_3gpuE3ELNS1_3repE0EEENS1_47radix_sort_onesweep_sort_config_static_selectorELNS0_4arch9wavefront6targetE0EEEvSG_,"axG",@progbits,_ZN7rocprim17ROCPRIM_400000_NS6detail17trampoline_kernelINS0_14default_configENS1_35radix_sort_onesweep_config_selectorImNS0_10empty_typeEEEZZNS1_29radix_sort_onesweep_iterationIS3_Lb1EPKmPmPS5_SB_mNS0_19identity_decomposerENS1_16block_id_wrapperIjLb0EEEEE10hipError_tT1_PNSt15iterator_traitsISG_E10value_typeET2_T3_PNSH_ISM_E10value_typeET4_T5_PSR_SS_PNS1_23onesweep_lookback_stateEbbT6_jjT7_P12ihipStream_tbENKUlT_T0_SG_SL_E_clIS9_SA_SB_SB_EEDaSZ_S10_SG_SL_EUlSZ_E_NS1_11comp_targetILNS1_3genE9ELNS1_11target_archE1100ELNS1_3gpuE3ELNS1_3repE0EEENS1_47radix_sort_onesweep_sort_config_static_selectorELNS0_4arch9wavefront6targetE0EEEvSG_,comdat
	.protected	_ZN7rocprim17ROCPRIM_400000_NS6detail17trampoline_kernelINS0_14default_configENS1_35radix_sort_onesweep_config_selectorImNS0_10empty_typeEEEZZNS1_29radix_sort_onesweep_iterationIS3_Lb1EPKmPmPS5_SB_mNS0_19identity_decomposerENS1_16block_id_wrapperIjLb0EEEEE10hipError_tT1_PNSt15iterator_traitsISG_E10value_typeET2_T3_PNSH_ISM_E10value_typeET4_T5_PSR_SS_PNS1_23onesweep_lookback_stateEbbT6_jjT7_P12ihipStream_tbENKUlT_T0_SG_SL_E_clIS9_SA_SB_SB_EEDaSZ_S10_SG_SL_EUlSZ_E_NS1_11comp_targetILNS1_3genE9ELNS1_11target_archE1100ELNS1_3gpuE3ELNS1_3repE0EEENS1_47radix_sort_onesweep_sort_config_static_selectorELNS0_4arch9wavefront6targetE0EEEvSG_ ; -- Begin function _ZN7rocprim17ROCPRIM_400000_NS6detail17trampoline_kernelINS0_14default_configENS1_35radix_sort_onesweep_config_selectorImNS0_10empty_typeEEEZZNS1_29radix_sort_onesweep_iterationIS3_Lb1EPKmPmPS5_SB_mNS0_19identity_decomposerENS1_16block_id_wrapperIjLb0EEEEE10hipError_tT1_PNSt15iterator_traitsISG_E10value_typeET2_T3_PNSH_ISM_E10value_typeET4_T5_PSR_SS_PNS1_23onesweep_lookback_stateEbbT6_jjT7_P12ihipStream_tbENKUlT_T0_SG_SL_E_clIS9_SA_SB_SB_EEDaSZ_S10_SG_SL_EUlSZ_E_NS1_11comp_targetILNS1_3genE9ELNS1_11target_archE1100ELNS1_3gpuE3ELNS1_3repE0EEENS1_47radix_sort_onesweep_sort_config_static_selectorELNS0_4arch9wavefront6targetE0EEEvSG_
	.globl	_ZN7rocprim17ROCPRIM_400000_NS6detail17trampoline_kernelINS0_14default_configENS1_35radix_sort_onesweep_config_selectorImNS0_10empty_typeEEEZZNS1_29radix_sort_onesweep_iterationIS3_Lb1EPKmPmPS5_SB_mNS0_19identity_decomposerENS1_16block_id_wrapperIjLb0EEEEE10hipError_tT1_PNSt15iterator_traitsISG_E10value_typeET2_T3_PNSH_ISM_E10value_typeET4_T5_PSR_SS_PNS1_23onesweep_lookback_stateEbbT6_jjT7_P12ihipStream_tbENKUlT_T0_SG_SL_E_clIS9_SA_SB_SB_EEDaSZ_S10_SG_SL_EUlSZ_E_NS1_11comp_targetILNS1_3genE9ELNS1_11target_archE1100ELNS1_3gpuE3ELNS1_3repE0EEENS1_47radix_sort_onesweep_sort_config_static_selectorELNS0_4arch9wavefront6targetE0EEEvSG_
	.p2align	8
	.type	_ZN7rocprim17ROCPRIM_400000_NS6detail17trampoline_kernelINS0_14default_configENS1_35radix_sort_onesweep_config_selectorImNS0_10empty_typeEEEZZNS1_29radix_sort_onesweep_iterationIS3_Lb1EPKmPmPS5_SB_mNS0_19identity_decomposerENS1_16block_id_wrapperIjLb0EEEEE10hipError_tT1_PNSt15iterator_traitsISG_E10value_typeET2_T3_PNSH_ISM_E10value_typeET4_T5_PSR_SS_PNS1_23onesweep_lookback_stateEbbT6_jjT7_P12ihipStream_tbENKUlT_T0_SG_SL_E_clIS9_SA_SB_SB_EEDaSZ_S10_SG_SL_EUlSZ_E_NS1_11comp_targetILNS1_3genE9ELNS1_11target_archE1100ELNS1_3gpuE3ELNS1_3repE0EEENS1_47radix_sort_onesweep_sort_config_static_selectorELNS0_4arch9wavefront6targetE0EEEvSG_,@function
_ZN7rocprim17ROCPRIM_400000_NS6detail17trampoline_kernelINS0_14default_configENS1_35radix_sort_onesweep_config_selectorImNS0_10empty_typeEEEZZNS1_29radix_sort_onesweep_iterationIS3_Lb1EPKmPmPS5_SB_mNS0_19identity_decomposerENS1_16block_id_wrapperIjLb0EEEEE10hipError_tT1_PNSt15iterator_traitsISG_E10value_typeET2_T3_PNSH_ISM_E10value_typeET4_T5_PSR_SS_PNS1_23onesweep_lookback_stateEbbT6_jjT7_P12ihipStream_tbENKUlT_T0_SG_SL_E_clIS9_SA_SB_SB_EEDaSZ_S10_SG_SL_EUlSZ_E_NS1_11comp_targetILNS1_3genE9ELNS1_11target_archE1100ELNS1_3gpuE3ELNS1_3repE0EEENS1_47radix_sort_onesweep_sort_config_static_selectorELNS0_4arch9wavefront6targetE0EEEvSG_: ; @_ZN7rocprim17ROCPRIM_400000_NS6detail17trampoline_kernelINS0_14default_configENS1_35radix_sort_onesweep_config_selectorImNS0_10empty_typeEEEZZNS1_29radix_sort_onesweep_iterationIS3_Lb1EPKmPmPS5_SB_mNS0_19identity_decomposerENS1_16block_id_wrapperIjLb0EEEEE10hipError_tT1_PNSt15iterator_traitsISG_E10value_typeET2_T3_PNSH_ISM_E10value_typeET4_T5_PSR_SS_PNS1_23onesweep_lookback_stateEbbT6_jjT7_P12ihipStream_tbENKUlT_T0_SG_SL_E_clIS9_SA_SB_SB_EEDaSZ_S10_SG_SL_EUlSZ_E_NS1_11comp_targetILNS1_3genE9ELNS1_11target_archE1100ELNS1_3gpuE3ELNS1_3repE0EEENS1_47radix_sort_onesweep_sort_config_static_selectorELNS0_4arch9wavefront6targetE0EEEvSG_
; %bb.0:
	.section	.rodata,"a",@progbits
	.p2align	6, 0x0
	.amdhsa_kernel _ZN7rocprim17ROCPRIM_400000_NS6detail17trampoline_kernelINS0_14default_configENS1_35radix_sort_onesweep_config_selectorImNS0_10empty_typeEEEZZNS1_29radix_sort_onesweep_iterationIS3_Lb1EPKmPmPS5_SB_mNS0_19identity_decomposerENS1_16block_id_wrapperIjLb0EEEEE10hipError_tT1_PNSt15iterator_traitsISG_E10value_typeET2_T3_PNSH_ISM_E10value_typeET4_T5_PSR_SS_PNS1_23onesweep_lookback_stateEbbT6_jjT7_P12ihipStream_tbENKUlT_T0_SG_SL_E_clIS9_SA_SB_SB_EEDaSZ_S10_SG_SL_EUlSZ_E_NS1_11comp_targetILNS1_3genE9ELNS1_11target_archE1100ELNS1_3gpuE3ELNS1_3repE0EEENS1_47radix_sort_onesweep_sort_config_static_selectorELNS0_4arch9wavefront6targetE0EEEvSG_
		.amdhsa_group_segment_fixed_size 0
		.amdhsa_private_segment_fixed_size 0
		.amdhsa_kernarg_size 88
		.amdhsa_user_sgpr_count 2
		.amdhsa_user_sgpr_dispatch_ptr 0
		.amdhsa_user_sgpr_queue_ptr 0
		.amdhsa_user_sgpr_kernarg_segment_ptr 1
		.amdhsa_user_sgpr_dispatch_id 0
		.amdhsa_user_sgpr_kernarg_preload_length 0
		.amdhsa_user_sgpr_kernarg_preload_offset 0
		.amdhsa_user_sgpr_private_segment_size 0
		.amdhsa_wavefront_size32 1
		.amdhsa_uses_dynamic_stack 0
		.amdhsa_enable_private_segment 0
		.amdhsa_system_sgpr_workgroup_id_x 1
		.amdhsa_system_sgpr_workgroup_id_y 0
		.amdhsa_system_sgpr_workgroup_id_z 0
		.amdhsa_system_sgpr_workgroup_info 0
		.amdhsa_system_vgpr_workitem_id 0
		.amdhsa_next_free_vgpr 1
		.amdhsa_next_free_sgpr 1
		.amdhsa_named_barrier_count 0
		.amdhsa_reserve_vcc 0
		.amdhsa_float_round_mode_32 0
		.amdhsa_float_round_mode_16_64 0
		.amdhsa_float_denorm_mode_32 3
		.amdhsa_float_denorm_mode_16_64 3
		.amdhsa_fp16_overflow 0
		.amdhsa_memory_ordered 1
		.amdhsa_forward_progress 1
		.amdhsa_inst_pref_size 0
		.amdhsa_round_robin_scheduling 0
		.amdhsa_exception_fp_ieee_invalid_op 0
		.amdhsa_exception_fp_denorm_src 0
		.amdhsa_exception_fp_ieee_div_zero 0
		.amdhsa_exception_fp_ieee_overflow 0
		.amdhsa_exception_fp_ieee_underflow 0
		.amdhsa_exception_fp_ieee_inexact 0
		.amdhsa_exception_int_div_zero 0
	.end_amdhsa_kernel
	.section	.text._ZN7rocprim17ROCPRIM_400000_NS6detail17trampoline_kernelINS0_14default_configENS1_35radix_sort_onesweep_config_selectorImNS0_10empty_typeEEEZZNS1_29radix_sort_onesweep_iterationIS3_Lb1EPKmPmPS5_SB_mNS0_19identity_decomposerENS1_16block_id_wrapperIjLb0EEEEE10hipError_tT1_PNSt15iterator_traitsISG_E10value_typeET2_T3_PNSH_ISM_E10value_typeET4_T5_PSR_SS_PNS1_23onesweep_lookback_stateEbbT6_jjT7_P12ihipStream_tbENKUlT_T0_SG_SL_E_clIS9_SA_SB_SB_EEDaSZ_S10_SG_SL_EUlSZ_E_NS1_11comp_targetILNS1_3genE9ELNS1_11target_archE1100ELNS1_3gpuE3ELNS1_3repE0EEENS1_47radix_sort_onesweep_sort_config_static_selectorELNS0_4arch9wavefront6targetE0EEEvSG_,"axG",@progbits,_ZN7rocprim17ROCPRIM_400000_NS6detail17trampoline_kernelINS0_14default_configENS1_35radix_sort_onesweep_config_selectorImNS0_10empty_typeEEEZZNS1_29radix_sort_onesweep_iterationIS3_Lb1EPKmPmPS5_SB_mNS0_19identity_decomposerENS1_16block_id_wrapperIjLb0EEEEE10hipError_tT1_PNSt15iterator_traitsISG_E10value_typeET2_T3_PNSH_ISM_E10value_typeET4_T5_PSR_SS_PNS1_23onesweep_lookback_stateEbbT6_jjT7_P12ihipStream_tbENKUlT_T0_SG_SL_E_clIS9_SA_SB_SB_EEDaSZ_S10_SG_SL_EUlSZ_E_NS1_11comp_targetILNS1_3genE9ELNS1_11target_archE1100ELNS1_3gpuE3ELNS1_3repE0EEENS1_47radix_sort_onesweep_sort_config_static_selectorELNS0_4arch9wavefront6targetE0EEEvSG_,comdat
.Lfunc_end2905:
	.size	_ZN7rocprim17ROCPRIM_400000_NS6detail17trampoline_kernelINS0_14default_configENS1_35radix_sort_onesweep_config_selectorImNS0_10empty_typeEEEZZNS1_29radix_sort_onesweep_iterationIS3_Lb1EPKmPmPS5_SB_mNS0_19identity_decomposerENS1_16block_id_wrapperIjLb0EEEEE10hipError_tT1_PNSt15iterator_traitsISG_E10value_typeET2_T3_PNSH_ISM_E10value_typeET4_T5_PSR_SS_PNS1_23onesweep_lookback_stateEbbT6_jjT7_P12ihipStream_tbENKUlT_T0_SG_SL_E_clIS9_SA_SB_SB_EEDaSZ_S10_SG_SL_EUlSZ_E_NS1_11comp_targetILNS1_3genE9ELNS1_11target_archE1100ELNS1_3gpuE3ELNS1_3repE0EEENS1_47radix_sort_onesweep_sort_config_static_selectorELNS0_4arch9wavefront6targetE0EEEvSG_, .Lfunc_end2905-_ZN7rocprim17ROCPRIM_400000_NS6detail17trampoline_kernelINS0_14default_configENS1_35radix_sort_onesweep_config_selectorImNS0_10empty_typeEEEZZNS1_29radix_sort_onesweep_iterationIS3_Lb1EPKmPmPS5_SB_mNS0_19identity_decomposerENS1_16block_id_wrapperIjLb0EEEEE10hipError_tT1_PNSt15iterator_traitsISG_E10value_typeET2_T3_PNSH_ISM_E10value_typeET4_T5_PSR_SS_PNS1_23onesweep_lookback_stateEbbT6_jjT7_P12ihipStream_tbENKUlT_T0_SG_SL_E_clIS9_SA_SB_SB_EEDaSZ_S10_SG_SL_EUlSZ_E_NS1_11comp_targetILNS1_3genE9ELNS1_11target_archE1100ELNS1_3gpuE3ELNS1_3repE0EEENS1_47radix_sort_onesweep_sort_config_static_selectorELNS0_4arch9wavefront6targetE0EEEvSG_
                                        ; -- End function
	.set _ZN7rocprim17ROCPRIM_400000_NS6detail17trampoline_kernelINS0_14default_configENS1_35radix_sort_onesweep_config_selectorImNS0_10empty_typeEEEZZNS1_29radix_sort_onesweep_iterationIS3_Lb1EPKmPmPS5_SB_mNS0_19identity_decomposerENS1_16block_id_wrapperIjLb0EEEEE10hipError_tT1_PNSt15iterator_traitsISG_E10value_typeET2_T3_PNSH_ISM_E10value_typeET4_T5_PSR_SS_PNS1_23onesweep_lookback_stateEbbT6_jjT7_P12ihipStream_tbENKUlT_T0_SG_SL_E_clIS9_SA_SB_SB_EEDaSZ_S10_SG_SL_EUlSZ_E_NS1_11comp_targetILNS1_3genE9ELNS1_11target_archE1100ELNS1_3gpuE3ELNS1_3repE0EEENS1_47radix_sort_onesweep_sort_config_static_selectorELNS0_4arch9wavefront6targetE0EEEvSG_.num_vgpr, 0
	.set _ZN7rocprim17ROCPRIM_400000_NS6detail17trampoline_kernelINS0_14default_configENS1_35radix_sort_onesweep_config_selectorImNS0_10empty_typeEEEZZNS1_29radix_sort_onesweep_iterationIS3_Lb1EPKmPmPS5_SB_mNS0_19identity_decomposerENS1_16block_id_wrapperIjLb0EEEEE10hipError_tT1_PNSt15iterator_traitsISG_E10value_typeET2_T3_PNSH_ISM_E10value_typeET4_T5_PSR_SS_PNS1_23onesweep_lookback_stateEbbT6_jjT7_P12ihipStream_tbENKUlT_T0_SG_SL_E_clIS9_SA_SB_SB_EEDaSZ_S10_SG_SL_EUlSZ_E_NS1_11comp_targetILNS1_3genE9ELNS1_11target_archE1100ELNS1_3gpuE3ELNS1_3repE0EEENS1_47radix_sort_onesweep_sort_config_static_selectorELNS0_4arch9wavefront6targetE0EEEvSG_.num_agpr, 0
	.set _ZN7rocprim17ROCPRIM_400000_NS6detail17trampoline_kernelINS0_14default_configENS1_35radix_sort_onesweep_config_selectorImNS0_10empty_typeEEEZZNS1_29radix_sort_onesweep_iterationIS3_Lb1EPKmPmPS5_SB_mNS0_19identity_decomposerENS1_16block_id_wrapperIjLb0EEEEE10hipError_tT1_PNSt15iterator_traitsISG_E10value_typeET2_T3_PNSH_ISM_E10value_typeET4_T5_PSR_SS_PNS1_23onesweep_lookback_stateEbbT6_jjT7_P12ihipStream_tbENKUlT_T0_SG_SL_E_clIS9_SA_SB_SB_EEDaSZ_S10_SG_SL_EUlSZ_E_NS1_11comp_targetILNS1_3genE9ELNS1_11target_archE1100ELNS1_3gpuE3ELNS1_3repE0EEENS1_47radix_sort_onesweep_sort_config_static_selectorELNS0_4arch9wavefront6targetE0EEEvSG_.numbered_sgpr, 0
	.set _ZN7rocprim17ROCPRIM_400000_NS6detail17trampoline_kernelINS0_14default_configENS1_35radix_sort_onesweep_config_selectorImNS0_10empty_typeEEEZZNS1_29radix_sort_onesweep_iterationIS3_Lb1EPKmPmPS5_SB_mNS0_19identity_decomposerENS1_16block_id_wrapperIjLb0EEEEE10hipError_tT1_PNSt15iterator_traitsISG_E10value_typeET2_T3_PNSH_ISM_E10value_typeET4_T5_PSR_SS_PNS1_23onesweep_lookback_stateEbbT6_jjT7_P12ihipStream_tbENKUlT_T0_SG_SL_E_clIS9_SA_SB_SB_EEDaSZ_S10_SG_SL_EUlSZ_E_NS1_11comp_targetILNS1_3genE9ELNS1_11target_archE1100ELNS1_3gpuE3ELNS1_3repE0EEENS1_47radix_sort_onesweep_sort_config_static_selectorELNS0_4arch9wavefront6targetE0EEEvSG_.num_named_barrier, 0
	.set _ZN7rocprim17ROCPRIM_400000_NS6detail17trampoline_kernelINS0_14default_configENS1_35radix_sort_onesweep_config_selectorImNS0_10empty_typeEEEZZNS1_29radix_sort_onesweep_iterationIS3_Lb1EPKmPmPS5_SB_mNS0_19identity_decomposerENS1_16block_id_wrapperIjLb0EEEEE10hipError_tT1_PNSt15iterator_traitsISG_E10value_typeET2_T3_PNSH_ISM_E10value_typeET4_T5_PSR_SS_PNS1_23onesweep_lookback_stateEbbT6_jjT7_P12ihipStream_tbENKUlT_T0_SG_SL_E_clIS9_SA_SB_SB_EEDaSZ_S10_SG_SL_EUlSZ_E_NS1_11comp_targetILNS1_3genE9ELNS1_11target_archE1100ELNS1_3gpuE3ELNS1_3repE0EEENS1_47radix_sort_onesweep_sort_config_static_selectorELNS0_4arch9wavefront6targetE0EEEvSG_.private_seg_size, 0
	.set _ZN7rocprim17ROCPRIM_400000_NS6detail17trampoline_kernelINS0_14default_configENS1_35radix_sort_onesweep_config_selectorImNS0_10empty_typeEEEZZNS1_29radix_sort_onesweep_iterationIS3_Lb1EPKmPmPS5_SB_mNS0_19identity_decomposerENS1_16block_id_wrapperIjLb0EEEEE10hipError_tT1_PNSt15iterator_traitsISG_E10value_typeET2_T3_PNSH_ISM_E10value_typeET4_T5_PSR_SS_PNS1_23onesweep_lookback_stateEbbT6_jjT7_P12ihipStream_tbENKUlT_T0_SG_SL_E_clIS9_SA_SB_SB_EEDaSZ_S10_SG_SL_EUlSZ_E_NS1_11comp_targetILNS1_3genE9ELNS1_11target_archE1100ELNS1_3gpuE3ELNS1_3repE0EEENS1_47radix_sort_onesweep_sort_config_static_selectorELNS0_4arch9wavefront6targetE0EEEvSG_.uses_vcc, 0
	.set _ZN7rocprim17ROCPRIM_400000_NS6detail17trampoline_kernelINS0_14default_configENS1_35radix_sort_onesweep_config_selectorImNS0_10empty_typeEEEZZNS1_29radix_sort_onesweep_iterationIS3_Lb1EPKmPmPS5_SB_mNS0_19identity_decomposerENS1_16block_id_wrapperIjLb0EEEEE10hipError_tT1_PNSt15iterator_traitsISG_E10value_typeET2_T3_PNSH_ISM_E10value_typeET4_T5_PSR_SS_PNS1_23onesweep_lookback_stateEbbT6_jjT7_P12ihipStream_tbENKUlT_T0_SG_SL_E_clIS9_SA_SB_SB_EEDaSZ_S10_SG_SL_EUlSZ_E_NS1_11comp_targetILNS1_3genE9ELNS1_11target_archE1100ELNS1_3gpuE3ELNS1_3repE0EEENS1_47radix_sort_onesweep_sort_config_static_selectorELNS0_4arch9wavefront6targetE0EEEvSG_.uses_flat_scratch, 0
	.set _ZN7rocprim17ROCPRIM_400000_NS6detail17trampoline_kernelINS0_14default_configENS1_35radix_sort_onesweep_config_selectorImNS0_10empty_typeEEEZZNS1_29radix_sort_onesweep_iterationIS3_Lb1EPKmPmPS5_SB_mNS0_19identity_decomposerENS1_16block_id_wrapperIjLb0EEEEE10hipError_tT1_PNSt15iterator_traitsISG_E10value_typeET2_T3_PNSH_ISM_E10value_typeET4_T5_PSR_SS_PNS1_23onesweep_lookback_stateEbbT6_jjT7_P12ihipStream_tbENKUlT_T0_SG_SL_E_clIS9_SA_SB_SB_EEDaSZ_S10_SG_SL_EUlSZ_E_NS1_11comp_targetILNS1_3genE9ELNS1_11target_archE1100ELNS1_3gpuE3ELNS1_3repE0EEENS1_47radix_sort_onesweep_sort_config_static_selectorELNS0_4arch9wavefront6targetE0EEEvSG_.has_dyn_sized_stack, 0
	.set _ZN7rocprim17ROCPRIM_400000_NS6detail17trampoline_kernelINS0_14default_configENS1_35radix_sort_onesweep_config_selectorImNS0_10empty_typeEEEZZNS1_29radix_sort_onesweep_iterationIS3_Lb1EPKmPmPS5_SB_mNS0_19identity_decomposerENS1_16block_id_wrapperIjLb0EEEEE10hipError_tT1_PNSt15iterator_traitsISG_E10value_typeET2_T3_PNSH_ISM_E10value_typeET4_T5_PSR_SS_PNS1_23onesweep_lookback_stateEbbT6_jjT7_P12ihipStream_tbENKUlT_T0_SG_SL_E_clIS9_SA_SB_SB_EEDaSZ_S10_SG_SL_EUlSZ_E_NS1_11comp_targetILNS1_3genE9ELNS1_11target_archE1100ELNS1_3gpuE3ELNS1_3repE0EEENS1_47radix_sort_onesweep_sort_config_static_selectorELNS0_4arch9wavefront6targetE0EEEvSG_.has_recursion, 0
	.set _ZN7rocprim17ROCPRIM_400000_NS6detail17trampoline_kernelINS0_14default_configENS1_35radix_sort_onesweep_config_selectorImNS0_10empty_typeEEEZZNS1_29radix_sort_onesweep_iterationIS3_Lb1EPKmPmPS5_SB_mNS0_19identity_decomposerENS1_16block_id_wrapperIjLb0EEEEE10hipError_tT1_PNSt15iterator_traitsISG_E10value_typeET2_T3_PNSH_ISM_E10value_typeET4_T5_PSR_SS_PNS1_23onesweep_lookback_stateEbbT6_jjT7_P12ihipStream_tbENKUlT_T0_SG_SL_E_clIS9_SA_SB_SB_EEDaSZ_S10_SG_SL_EUlSZ_E_NS1_11comp_targetILNS1_3genE9ELNS1_11target_archE1100ELNS1_3gpuE3ELNS1_3repE0EEENS1_47radix_sort_onesweep_sort_config_static_selectorELNS0_4arch9wavefront6targetE0EEEvSG_.has_indirect_call, 0
	.section	.AMDGPU.csdata,"",@progbits
; Kernel info:
; codeLenInByte = 0
; TotalNumSgprs: 0
; NumVgprs: 0
; ScratchSize: 0
; MemoryBound: 0
; FloatMode: 240
; IeeeMode: 1
; LDSByteSize: 0 bytes/workgroup (compile time only)
; SGPRBlocks: 0
; VGPRBlocks: 0
; NumSGPRsForWavesPerEU: 1
; NumVGPRsForWavesPerEU: 1
; NamedBarCnt: 0
; Occupancy: 16
; WaveLimiterHint : 0
; COMPUTE_PGM_RSRC2:SCRATCH_EN: 0
; COMPUTE_PGM_RSRC2:USER_SGPR: 2
; COMPUTE_PGM_RSRC2:TRAP_HANDLER: 0
; COMPUTE_PGM_RSRC2:TGID_X_EN: 1
; COMPUTE_PGM_RSRC2:TGID_Y_EN: 0
; COMPUTE_PGM_RSRC2:TGID_Z_EN: 0
; COMPUTE_PGM_RSRC2:TIDIG_COMP_CNT: 0
	.section	.text._ZN7rocprim17ROCPRIM_400000_NS6detail17trampoline_kernelINS0_14default_configENS1_35radix_sort_onesweep_config_selectorImNS0_10empty_typeEEEZZNS1_29radix_sort_onesweep_iterationIS3_Lb1EPKmPmPS5_SB_mNS0_19identity_decomposerENS1_16block_id_wrapperIjLb0EEEEE10hipError_tT1_PNSt15iterator_traitsISG_E10value_typeET2_T3_PNSH_ISM_E10value_typeET4_T5_PSR_SS_PNS1_23onesweep_lookback_stateEbbT6_jjT7_P12ihipStream_tbENKUlT_T0_SG_SL_E_clIS9_SA_SB_SB_EEDaSZ_S10_SG_SL_EUlSZ_E_NS1_11comp_targetILNS1_3genE8ELNS1_11target_archE1030ELNS1_3gpuE2ELNS1_3repE0EEENS1_47radix_sort_onesweep_sort_config_static_selectorELNS0_4arch9wavefront6targetE0EEEvSG_,"axG",@progbits,_ZN7rocprim17ROCPRIM_400000_NS6detail17trampoline_kernelINS0_14default_configENS1_35radix_sort_onesweep_config_selectorImNS0_10empty_typeEEEZZNS1_29radix_sort_onesweep_iterationIS3_Lb1EPKmPmPS5_SB_mNS0_19identity_decomposerENS1_16block_id_wrapperIjLb0EEEEE10hipError_tT1_PNSt15iterator_traitsISG_E10value_typeET2_T3_PNSH_ISM_E10value_typeET4_T5_PSR_SS_PNS1_23onesweep_lookback_stateEbbT6_jjT7_P12ihipStream_tbENKUlT_T0_SG_SL_E_clIS9_SA_SB_SB_EEDaSZ_S10_SG_SL_EUlSZ_E_NS1_11comp_targetILNS1_3genE8ELNS1_11target_archE1030ELNS1_3gpuE2ELNS1_3repE0EEENS1_47radix_sort_onesweep_sort_config_static_selectorELNS0_4arch9wavefront6targetE0EEEvSG_,comdat
	.protected	_ZN7rocprim17ROCPRIM_400000_NS6detail17trampoline_kernelINS0_14default_configENS1_35radix_sort_onesweep_config_selectorImNS0_10empty_typeEEEZZNS1_29radix_sort_onesweep_iterationIS3_Lb1EPKmPmPS5_SB_mNS0_19identity_decomposerENS1_16block_id_wrapperIjLb0EEEEE10hipError_tT1_PNSt15iterator_traitsISG_E10value_typeET2_T3_PNSH_ISM_E10value_typeET4_T5_PSR_SS_PNS1_23onesweep_lookback_stateEbbT6_jjT7_P12ihipStream_tbENKUlT_T0_SG_SL_E_clIS9_SA_SB_SB_EEDaSZ_S10_SG_SL_EUlSZ_E_NS1_11comp_targetILNS1_3genE8ELNS1_11target_archE1030ELNS1_3gpuE2ELNS1_3repE0EEENS1_47radix_sort_onesweep_sort_config_static_selectorELNS0_4arch9wavefront6targetE0EEEvSG_ ; -- Begin function _ZN7rocprim17ROCPRIM_400000_NS6detail17trampoline_kernelINS0_14default_configENS1_35radix_sort_onesweep_config_selectorImNS0_10empty_typeEEEZZNS1_29radix_sort_onesweep_iterationIS3_Lb1EPKmPmPS5_SB_mNS0_19identity_decomposerENS1_16block_id_wrapperIjLb0EEEEE10hipError_tT1_PNSt15iterator_traitsISG_E10value_typeET2_T3_PNSH_ISM_E10value_typeET4_T5_PSR_SS_PNS1_23onesweep_lookback_stateEbbT6_jjT7_P12ihipStream_tbENKUlT_T0_SG_SL_E_clIS9_SA_SB_SB_EEDaSZ_S10_SG_SL_EUlSZ_E_NS1_11comp_targetILNS1_3genE8ELNS1_11target_archE1030ELNS1_3gpuE2ELNS1_3repE0EEENS1_47radix_sort_onesweep_sort_config_static_selectorELNS0_4arch9wavefront6targetE0EEEvSG_
	.globl	_ZN7rocprim17ROCPRIM_400000_NS6detail17trampoline_kernelINS0_14default_configENS1_35radix_sort_onesweep_config_selectorImNS0_10empty_typeEEEZZNS1_29radix_sort_onesweep_iterationIS3_Lb1EPKmPmPS5_SB_mNS0_19identity_decomposerENS1_16block_id_wrapperIjLb0EEEEE10hipError_tT1_PNSt15iterator_traitsISG_E10value_typeET2_T3_PNSH_ISM_E10value_typeET4_T5_PSR_SS_PNS1_23onesweep_lookback_stateEbbT6_jjT7_P12ihipStream_tbENKUlT_T0_SG_SL_E_clIS9_SA_SB_SB_EEDaSZ_S10_SG_SL_EUlSZ_E_NS1_11comp_targetILNS1_3genE8ELNS1_11target_archE1030ELNS1_3gpuE2ELNS1_3repE0EEENS1_47radix_sort_onesweep_sort_config_static_selectorELNS0_4arch9wavefront6targetE0EEEvSG_
	.p2align	8
	.type	_ZN7rocprim17ROCPRIM_400000_NS6detail17trampoline_kernelINS0_14default_configENS1_35radix_sort_onesweep_config_selectorImNS0_10empty_typeEEEZZNS1_29radix_sort_onesweep_iterationIS3_Lb1EPKmPmPS5_SB_mNS0_19identity_decomposerENS1_16block_id_wrapperIjLb0EEEEE10hipError_tT1_PNSt15iterator_traitsISG_E10value_typeET2_T3_PNSH_ISM_E10value_typeET4_T5_PSR_SS_PNS1_23onesweep_lookback_stateEbbT6_jjT7_P12ihipStream_tbENKUlT_T0_SG_SL_E_clIS9_SA_SB_SB_EEDaSZ_S10_SG_SL_EUlSZ_E_NS1_11comp_targetILNS1_3genE8ELNS1_11target_archE1030ELNS1_3gpuE2ELNS1_3repE0EEENS1_47radix_sort_onesweep_sort_config_static_selectorELNS0_4arch9wavefront6targetE0EEEvSG_,@function
_ZN7rocprim17ROCPRIM_400000_NS6detail17trampoline_kernelINS0_14default_configENS1_35radix_sort_onesweep_config_selectorImNS0_10empty_typeEEEZZNS1_29radix_sort_onesweep_iterationIS3_Lb1EPKmPmPS5_SB_mNS0_19identity_decomposerENS1_16block_id_wrapperIjLb0EEEEE10hipError_tT1_PNSt15iterator_traitsISG_E10value_typeET2_T3_PNSH_ISM_E10value_typeET4_T5_PSR_SS_PNS1_23onesweep_lookback_stateEbbT6_jjT7_P12ihipStream_tbENKUlT_T0_SG_SL_E_clIS9_SA_SB_SB_EEDaSZ_S10_SG_SL_EUlSZ_E_NS1_11comp_targetILNS1_3genE8ELNS1_11target_archE1030ELNS1_3gpuE2ELNS1_3repE0EEENS1_47radix_sort_onesweep_sort_config_static_selectorELNS0_4arch9wavefront6targetE0EEEvSG_: ; @_ZN7rocprim17ROCPRIM_400000_NS6detail17trampoline_kernelINS0_14default_configENS1_35radix_sort_onesweep_config_selectorImNS0_10empty_typeEEEZZNS1_29radix_sort_onesweep_iterationIS3_Lb1EPKmPmPS5_SB_mNS0_19identity_decomposerENS1_16block_id_wrapperIjLb0EEEEE10hipError_tT1_PNSt15iterator_traitsISG_E10value_typeET2_T3_PNSH_ISM_E10value_typeET4_T5_PSR_SS_PNS1_23onesweep_lookback_stateEbbT6_jjT7_P12ihipStream_tbENKUlT_T0_SG_SL_E_clIS9_SA_SB_SB_EEDaSZ_S10_SG_SL_EUlSZ_E_NS1_11comp_targetILNS1_3genE8ELNS1_11target_archE1030ELNS1_3gpuE2ELNS1_3repE0EEENS1_47radix_sort_onesweep_sort_config_static_selectorELNS0_4arch9wavefront6targetE0EEEvSG_
; %bb.0:
	.section	.rodata,"a",@progbits
	.p2align	6, 0x0
	.amdhsa_kernel _ZN7rocprim17ROCPRIM_400000_NS6detail17trampoline_kernelINS0_14default_configENS1_35radix_sort_onesweep_config_selectorImNS0_10empty_typeEEEZZNS1_29radix_sort_onesweep_iterationIS3_Lb1EPKmPmPS5_SB_mNS0_19identity_decomposerENS1_16block_id_wrapperIjLb0EEEEE10hipError_tT1_PNSt15iterator_traitsISG_E10value_typeET2_T3_PNSH_ISM_E10value_typeET4_T5_PSR_SS_PNS1_23onesweep_lookback_stateEbbT6_jjT7_P12ihipStream_tbENKUlT_T0_SG_SL_E_clIS9_SA_SB_SB_EEDaSZ_S10_SG_SL_EUlSZ_E_NS1_11comp_targetILNS1_3genE8ELNS1_11target_archE1030ELNS1_3gpuE2ELNS1_3repE0EEENS1_47radix_sort_onesweep_sort_config_static_selectorELNS0_4arch9wavefront6targetE0EEEvSG_
		.amdhsa_group_segment_fixed_size 0
		.amdhsa_private_segment_fixed_size 0
		.amdhsa_kernarg_size 88
		.amdhsa_user_sgpr_count 2
		.amdhsa_user_sgpr_dispatch_ptr 0
		.amdhsa_user_sgpr_queue_ptr 0
		.amdhsa_user_sgpr_kernarg_segment_ptr 1
		.amdhsa_user_sgpr_dispatch_id 0
		.amdhsa_user_sgpr_kernarg_preload_length 0
		.amdhsa_user_sgpr_kernarg_preload_offset 0
		.amdhsa_user_sgpr_private_segment_size 0
		.amdhsa_wavefront_size32 1
		.amdhsa_uses_dynamic_stack 0
		.amdhsa_enable_private_segment 0
		.amdhsa_system_sgpr_workgroup_id_x 1
		.amdhsa_system_sgpr_workgroup_id_y 0
		.amdhsa_system_sgpr_workgroup_id_z 0
		.amdhsa_system_sgpr_workgroup_info 0
		.amdhsa_system_vgpr_workitem_id 0
		.amdhsa_next_free_vgpr 1
		.amdhsa_next_free_sgpr 1
		.amdhsa_named_barrier_count 0
		.amdhsa_reserve_vcc 0
		.amdhsa_float_round_mode_32 0
		.amdhsa_float_round_mode_16_64 0
		.amdhsa_float_denorm_mode_32 3
		.amdhsa_float_denorm_mode_16_64 3
		.amdhsa_fp16_overflow 0
		.amdhsa_memory_ordered 1
		.amdhsa_forward_progress 1
		.amdhsa_inst_pref_size 0
		.amdhsa_round_robin_scheduling 0
		.amdhsa_exception_fp_ieee_invalid_op 0
		.amdhsa_exception_fp_denorm_src 0
		.amdhsa_exception_fp_ieee_div_zero 0
		.amdhsa_exception_fp_ieee_overflow 0
		.amdhsa_exception_fp_ieee_underflow 0
		.amdhsa_exception_fp_ieee_inexact 0
		.amdhsa_exception_int_div_zero 0
	.end_amdhsa_kernel
	.section	.text._ZN7rocprim17ROCPRIM_400000_NS6detail17trampoline_kernelINS0_14default_configENS1_35radix_sort_onesweep_config_selectorImNS0_10empty_typeEEEZZNS1_29radix_sort_onesweep_iterationIS3_Lb1EPKmPmPS5_SB_mNS0_19identity_decomposerENS1_16block_id_wrapperIjLb0EEEEE10hipError_tT1_PNSt15iterator_traitsISG_E10value_typeET2_T3_PNSH_ISM_E10value_typeET4_T5_PSR_SS_PNS1_23onesweep_lookback_stateEbbT6_jjT7_P12ihipStream_tbENKUlT_T0_SG_SL_E_clIS9_SA_SB_SB_EEDaSZ_S10_SG_SL_EUlSZ_E_NS1_11comp_targetILNS1_3genE8ELNS1_11target_archE1030ELNS1_3gpuE2ELNS1_3repE0EEENS1_47radix_sort_onesweep_sort_config_static_selectorELNS0_4arch9wavefront6targetE0EEEvSG_,"axG",@progbits,_ZN7rocprim17ROCPRIM_400000_NS6detail17trampoline_kernelINS0_14default_configENS1_35radix_sort_onesweep_config_selectorImNS0_10empty_typeEEEZZNS1_29radix_sort_onesweep_iterationIS3_Lb1EPKmPmPS5_SB_mNS0_19identity_decomposerENS1_16block_id_wrapperIjLb0EEEEE10hipError_tT1_PNSt15iterator_traitsISG_E10value_typeET2_T3_PNSH_ISM_E10value_typeET4_T5_PSR_SS_PNS1_23onesweep_lookback_stateEbbT6_jjT7_P12ihipStream_tbENKUlT_T0_SG_SL_E_clIS9_SA_SB_SB_EEDaSZ_S10_SG_SL_EUlSZ_E_NS1_11comp_targetILNS1_3genE8ELNS1_11target_archE1030ELNS1_3gpuE2ELNS1_3repE0EEENS1_47radix_sort_onesweep_sort_config_static_selectorELNS0_4arch9wavefront6targetE0EEEvSG_,comdat
.Lfunc_end2906:
	.size	_ZN7rocprim17ROCPRIM_400000_NS6detail17trampoline_kernelINS0_14default_configENS1_35radix_sort_onesweep_config_selectorImNS0_10empty_typeEEEZZNS1_29radix_sort_onesweep_iterationIS3_Lb1EPKmPmPS5_SB_mNS0_19identity_decomposerENS1_16block_id_wrapperIjLb0EEEEE10hipError_tT1_PNSt15iterator_traitsISG_E10value_typeET2_T3_PNSH_ISM_E10value_typeET4_T5_PSR_SS_PNS1_23onesweep_lookback_stateEbbT6_jjT7_P12ihipStream_tbENKUlT_T0_SG_SL_E_clIS9_SA_SB_SB_EEDaSZ_S10_SG_SL_EUlSZ_E_NS1_11comp_targetILNS1_3genE8ELNS1_11target_archE1030ELNS1_3gpuE2ELNS1_3repE0EEENS1_47radix_sort_onesweep_sort_config_static_selectorELNS0_4arch9wavefront6targetE0EEEvSG_, .Lfunc_end2906-_ZN7rocprim17ROCPRIM_400000_NS6detail17trampoline_kernelINS0_14default_configENS1_35radix_sort_onesweep_config_selectorImNS0_10empty_typeEEEZZNS1_29radix_sort_onesweep_iterationIS3_Lb1EPKmPmPS5_SB_mNS0_19identity_decomposerENS1_16block_id_wrapperIjLb0EEEEE10hipError_tT1_PNSt15iterator_traitsISG_E10value_typeET2_T3_PNSH_ISM_E10value_typeET4_T5_PSR_SS_PNS1_23onesweep_lookback_stateEbbT6_jjT7_P12ihipStream_tbENKUlT_T0_SG_SL_E_clIS9_SA_SB_SB_EEDaSZ_S10_SG_SL_EUlSZ_E_NS1_11comp_targetILNS1_3genE8ELNS1_11target_archE1030ELNS1_3gpuE2ELNS1_3repE0EEENS1_47radix_sort_onesweep_sort_config_static_selectorELNS0_4arch9wavefront6targetE0EEEvSG_
                                        ; -- End function
	.set _ZN7rocprim17ROCPRIM_400000_NS6detail17trampoline_kernelINS0_14default_configENS1_35radix_sort_onesweep_config_selectorImNS0_10empty_typeEEEZZNS1_29radix_sort_onesweep_iterationIS3_Lb1EPKmPmPS5_SB_mNS0_19identity_decomposerENS1_16block_id_wrapperIjLb0EEEEE10hipError_tT1_PNSt15iterator_traitsISG_E10value_typeET2_T3_PNSH_ISM_E10value_typeET4_T5_PSR_SS_PNS1_23onesweep_lookback_stateEbbT6_jjT7_P12ihipStream_tbENKUlT_T0_SG_SL_E_clIS9_SA_SB_SB_EEDaSZ_S10_SG_SL_EUlSZ_E_NS1_11comp_targetILNS1_3genE8ELNS1_11target_archE1030ELNS1_3gpuE2ELNS1_3repE0EEENS1_47radix_sort_onesweep_sort_config_static_selectorELNS0_4arch9wavefront6targetE0EEEvSG_.num_vgpr, 0
	.set _ZN7rocprim17ROCPRIM_400000_NS6detail17trampoline_kernelINS0_14default_configENS1_35radix_sort_onesweep_config_selectorImNS0_10empty_typeEEEZZNS1_29radix_sort_onesweep_iterationIS3_Lb1EPKmPmPS5_SB_mNS0_19identity_decomposerENS1_16block_id_wrapperIjLb0EEEEE10hipError_tT1_PNSt15iterator_traitsISG_E10value_typeET2_T3_PNSH_ISM_E10value_typeET4_T5_PSR_SS_PNS1_23onesweep_lookback_stateEbbT6_jjT7_P12ihipStream_tbENKUlT_T0_SG_SL_E_clIS9_SA_SB_SB_EEDaSZ_S10_SG_SL_EUlSZ_E_NS1_11comp_targetILNS1_3genE8ELNS1_11target_archE1030ELNS1_3gpuE2ELNS1_3repE0EEENS1_47radix_sort_onesweep_sort_config_static_selectorELNS0_4arch9wavefront6targetE0EEEvSG_.num_agpr, 0
	.set _ZN7rocprim17ROCPRIM_400000_NS6detail17trampoline_kernelINS0_14default_configENS1_35radix_sort_onesweep_config_selectorImNS0_10empty_typeEEEZZNS1_29radix_sort_onesweep_iterationIS3_Lb1EPKmPmPS5_SB_mNS0_19identity_decomposerENS1_16block_id_wrapperIjLb0EEEEE10hipError_tT1_PNSt15iterator_traitsISG_E10value_typeET2_T3_PNSH_ISM_E10value_typeET4_T5_PSR_SS_PNS1_23onesweep_lookback_stateEbbT6_jjT7_P12ihipStream_tbENKUlT_T0_SG_SL_E_clIS9_SA_SB_SB_EEDaSZ_S10_SG_SL_EUlSZ_E_NS1_11comp_targetILNS1_3genE8ELNS1_11target_archE1030ELNS1_3gpuE2ELNS1_3repE0EEENS1_47radix_sort_onesweep_sort_config_static_selectorELNS0_4arch9wavefront6targetE0EEEvSG_.numbered_sgpr, 0
	.set _ZN7rocprim17ROCPRIM_400000_NS6detail17trampoline_kernelINS0_14default_configENS1_35radix_sort_onesweep_config_selectorImNS0_10empty_typeEEEZZNS1_29radix_sort_onesweep_iterationIS3_Lb1EPKmPmPS5_SB_mNS0_19identity_decomposerENS1_16block_id_wrapperIjLb0EEEEE10hipError_tT1_PNSt15iterator_traitsISG_E10value_typeET2_T3_PNSH_ISM_E10value_typeET4_T5_PSR_SS_PNS1_23onesweep_lookback_stateEbbT6_jjT7_P12ihipStream_tbENKUlT_T0_SG_SL_E_clIS9_SA_SB_SB_EEDaSZ_S10_SG_SL_EUlSZ_E_NS1_11comp_targetILNS1_3genE8ELNS1_11target_archE1030ELNS1_3gpuE2ELNS1_3repE0EEENS1_47radix_sort_onesweep_sort_config_static_selectorELNS0_4arch9wavefront6targetE0EEEvSG_.num_named_barrier, 0
	.set _ZN7rocprim17ROCPRIM_400000_NS6detail17trampoline_kernelINS0_14default_configENS1_35radix_sort_onesweep_config_selectorImNS0_10empty_typeEEEZZNS1_29radix_sort_onesweep_iterationIS3_Lb1EPKmPmPS5_SB_mNS0_19identity_decomposerENS1_16block_id_wrapperIjLb0EEEEE10hipError_tT1_PNSt15iterator_traitsISG_E10value_typeET2_T3_PNSH_ISM_E10value_typeET4_T5_PSR_SS_PNS1_23onesweep_lookback_stateEbbT6_jjT7_P12ihipStream_tbENKUlT_T0_SG_SL_E_clIS9_SA_SB_SB_EEDaSZ_S10_SG_SL_EUlSZ_E_NS1_11comp_targetILNS1_3genE8ELNS1_11target_archE1030ELNS1_3gpuE2ELNS1_3repE0EEENS1_47radix_sort_onesweep_sort_config_static_selectorELNS0_4arch9wavefront6targetE0EEEvSG_.private_seg_size, 0
	.set _ZN7rocprim17ROCPRIM_400000_NS6detail17trampoline_kernelINS0_14default_configENS1_35radix_sort_onesweep_config_selectorImNS0_10empty_typeEEEZZNS1_29radix_sort_onesweep_iterationIS3_Lb1EPKmPmPS5_SB_mNS0_19identity_decomposerENS1_16block_id_wrapperIjLb0EEEEE10hipError_tT1_PNSt15iterator_traitsISG_E10value_typeET2_T3_PNSH_ISM_E10value_typeET4_T5_PSR_SS_PNS1_23onesweep_lookback_stateEbbT6_jjT7_P12ihipStream_tbENKUlT_T0_SG_SL_E_clIS9_SA_SB_SB_EEDaSZ_S10_SG_SL_EUlSZ_E_NS1_11comp_targetILNS1_3genE8ELNS1_11target_archE1030ELNS1_3gpuE2ELNS1_3repE0EEENS1_47radix_sort_onesweep_sort_config_static_selectorELNS0_4arch9wavefront6targetE0EEEvSG_.uses_vcc, 0
	.set _ZN7rocprim17ROCPRIM_400000_NS6detail17trampoline_kernelINS0_14default_configENS1_35radix_sort_onesweep_config_selectorImNS0_10empty_typeEEEZZNS1_29radix_sort_onesweep_iterationIS3_Lb1EPKmPmPS5_SB_mNS0_19identity_decomposerENS1_16block_id_wrapperIjLb0EEEEE10hipError_tT1_PNSt15iterator_traitsISG_E10value_typeET2_T3_PNSH_ISM_E10value_typeET4_T5_PSR_SS_PNS1_23onesweep_lookback_stateEbbT6_jjT7_P12ihipStream_tbENKUlT_T0_SG_SL_E_clIS9_SA_SB_SB_EEDaSZ_S10_SG_SL_EUlSZ_E_NS1_11comp_targetILNS1_3genE8ELNS1_11target_archE1030ELNS1_3gpuE2ELNS1_3repE0EEENS1_47radix_sort_onesweep_sort_config_static_selectorELNS0_4arch9wavefront6targetE0EEEvSG_.uses_flat_scratch, 0
	.set _ZN7rocprim17ROCPRIM_400000_NS6detail17trampoline_kernelINS0_14default_configENS1_35radix_sort_onesweep_config_selectorImNS0_10empty_typeEEEZZNS1_29radix_sort_onesweep_iterationIS3_Lb1EPKmPmPS5_SB_mNS0_19identity_decomposerENS1_16block_id_wrapperIjLb0EEEEE10hipError_tT1_PNSt15iterator_traitsISG_E10value_typeET2_T3_PNSH_ISM_E10value_typeET4_T5_PSR_SS_PNS1_23onesweep_lookback_stateEbbT6_jjT7_P12ihipStream_tbENKUlT_T0_SG_SL_E_clIS9_SA_SB_SB_EEDaSZ_S10_SG_SL_EUlSZ_E_NS1_11comp_targetILNS1_3genE8ELNS1_11target_archE1030ELNS1_3gpuE2ELNS1_3repE0EEENS1_47radix_sort_onesweep_sort_config_static_selectorELNS0_4arch9wavefront6targetE0EEEvSG_.has_dyn_sized_stack, 0
	.set _ZN7rocprim17ROCPRIM_400000_NS6detail17trampoline_kernelINS0_14default_configENS1_35radix_sort_onesweep_config_selectorImNS0_10empty_typeEEEZZNS1_29radix_sort_onesweep_iterationIS3_Lb1EPKmPmPS5_SB_mNS0_19identity_decomposerENS1_16block_id_wrapperIjLb0EEEEE10hipError_tT1_PNSt15iterator_traitsISG_E10value_typeET2_T3_PNSH_ISM_E10value_typeET4_T5_PSR_SS_PNS1_23onesweep_lookback_stateEbbT6_jjT7_P12ihipStream_tbENKUlT_T0_SG_SL_E_clIS9_SA_SB_SB_EEDaSZ_S10_SG_SL_EUlSZ_E_NS1_11comp_targetILNS1_3genE8ELNS1_11target_archE1030ELNS1_3gpuE2ELNS1_3repE0EEENS1_47radix_sort_onesweep_sort_config_static_selectorELNS0_4arch9wavefront6targetE0EEEvSG_.has_recursion, 0
	.set _ZN7rocprim17ROCPRIM_400000_NS6detail17trampoline_kernelINS0_14default_configENS1_35radix_sort_onesweep_config_selectorImNS0_10empty_typeEEEZZNS1_29radix_sort_onesweep_iterationIS3_Lb1EPKmPmPS5_SB_mNS0_19identity_decomposerENS1_16block_id_wrapperIjLb0EEEEE10hipError_tT1_PNSt15iterator_traitsISG_E10value_typeET2_T3_PNSH_ISM_E10value_typeET4_T5_PSR_SS_PNS1_23onesweep_lookback_stateEbbT6_jjT7_P12ihipStream_tbENKUlT_T0_SG_SL_E_clIS9_SA_SB_SB_EEDaSZ_S10_SG_SL_EUlSZ_E_NS1_11comp_targetILNS1_3genE8ELNS1_11target_archE1030ELNS1_3gpuE2ELNS1_3repE0EEENS1_47radix_sort_onesweep_sort_config_static_selectorELNS0_4arch9wavefront6targetE0EEEvSG_.has_indirect_call, 0
	.section	.AMDGPU.csdata,"",@progbits
; Kernel info:
; codeLenInByte = 0
; TotalNumSgprs: 0
; NumVgprs: 0
; ScratchSize: 0
; MemoryBound: 0
; FloatMode: 240
; IeeeMode: 1
; LDSByteSize: 0 bytes/workgroup (compile time only)
; SGPRBlocks: 0
; VGPRBlocks: 0
; NumSGPRsForWavesPerEU: 1
; NumVGPRsForWavesPerEU: 1
; NamedBarCnt: 0
; Occupancy: 16
; WaveLimiterHint : 0
; COMPUTE_PGM_RSRC2:SCRATCH_EN: 0
; COMPUTE_PGM_RSRC2:USER_SGPR: 2
; COMPUTE_PGM_RSRC2:TRAP_HANDLER: 0
; COMPUTE_PGM_RSRC2:TGID_X_EN: 1
; COMPUTE_PGM_RSRC2:TGID_Y_EN: 0
; COMPUTE_PGM_RSRC2:TGID_Z_EN: 0
; COMPUTE_PGM_RSRC2:TIDIG_COMP_CNT: 0
	.section	.text._ZN7rocprim17ROCPRIM_400000_NS6detail17trampoline_kernelINS0_14default_configENS1_35radix_sort_onesweep_config_selectorImNS0_10empty_typeEEEZZNS1_29radix_sort_onesweep_iterationIS3_Lb1EPKmPmPS5_SB_mNS0_19identity_decomposerENS1_16block_id_wrapperIjLb0EEEEE10hipError_tT1_PNSt15iterator_traitsISG_E10value_typeET2_T3_PNSH_ISM_E10value_typeET4_T5_PSR_SS_PNS1_23onesweep_lookback_stateEbbT6_jjT7_P12ihipStream_tbENKUlT_T0_SG_SL_E_clISA_SA_SB_SB_EEDaSZ_S10_SG_SL_EUlSZ_E_NS1_11comp_targetILNS1_3genE0ELNS1_11target_archE4294967295ELNS1_3gpuE0ELNS1_3repE0EEENS1_47radix_sort_onesweep_sort_config_static_selectorELNS0_4arch9wavefront6targetE0EEEvSG_,"axG",@progbits,_ZN7rocprim17ROCPRIM_400000_NS6detail17trampoline_kernelINS0_14default_configENS1_35radix_sort_onesweep_config_selectorImNS0_10empty_typeEEEZZNS1_29radix_sort_onesweep_iterationIS3_Lb1EPKmPmPS5_SB_mNS0_19identity_decomposerENS1_16block_id_wrapperIjLb0EEEEE10hipError_tT1_PNSt15iterator_traitsISG_E10value_typeET2_T3_PNSH_ISM_E10value_typeET4_T5_PSR_SS_PNS1_23onesweep_lookback_stateEbbT6_jjT7_P12ihipStream_tbENKUlT_T0_SG_SL_E_clISA_SA_SB_SB_EEDaSZ_S10_SG_SL_EUlSZ_E_NS1_11comp_targetILNS1_3genE0ELNS1_11target_archE4294967295ELNS1_3gpuE0ELNS1_3repE0EEENS1_47radix_sort_onesweep_sort_config_static_selectorELNS0_4arch9wavefront6targetE0EEEvSG_,comdat
	.protected	_ZN7rocprim17ROCPRIM_400000_NS6detail17trampoline_kernelINS0_14default_configENS1_35radix_sort_onesweep_config_selectorImNS0_10empty_typeEEEZZNS1_29radix_sort_onesweep_iterationIS3_Lb1EPKmPmPS5_SB_mNS0_19identity_decomposerENS1_16block_id_wrapperIjLb0EEEEE10hipError_tT1_PNSt15iterator_traitsISG_E10value_typeET2_T3_PNSH_ISM_E10value_typeET4_T5_PSR_SS_PNS1_23onesweep_lookback_stateEbbT6_jjT7_P12ihipStream_tbENKUlT_T0_SG_SL_E_clISA_SA_SB_SB_EEDaSZ_S10_SG_SL_EUlSZ_E_NS1_11comp_targetILNS1_3genE0ELNS1_11target_archE4294967295ELNS1_3gpuE0ELNS1_3repE0EEENS1_47radix_sort_onesweep_sort_config_static_selectorELNS0_4arch9wavefront6targetE0EEEvSG_ ; -- Begin function _ZN7rocprim17ROCPRIM_400000_NS6detail17trampoline_kernelINS0_14default_configENS1_35radix_sort_onesweep_config_selectorImNS0_10empty_typeEEEZZNS1_29radix_sort_onesweep_iterationIS3_Lb1EPKmPmPS5_SB_mNS0_19identity_decomposerENS1_16block_id_wrapperIjLb0EEEEE10hipError_tT1_PNSt15iterator_traitsISG_E10value_typeET2_T3_PNSH_ISM_E10value_typeET4_T5_PSR_SS_PNS1_23onesweep_lookback_stateEbbT6_jjT7_P12ihipStream_tbENKUlT_T0_SG_SL_E_clISA_SA_SB_SB_EEDaSZ_S10_SG_SL_EUlSZ_E_NS1_11comp_targetILNS1_3genE0ELNS1_11target_archE4294967295ELNS1_3gpuE0ELNS1_3repE0EEENS1_47radix_sort_onesweep_sort_config_static_selectorELNS0_4arch9wavefront6targetE0EEEvSG_
	.globl	_ZN7rocprim17ROCPRIM_400000_NS6detail17trampoline_kernelINS0_14default_configENS1_35radix_sort_onesweep_config_selectorImNS0_10empty_typeEEEZZNS1_29radix_sort_onesweep_iterationIS3_Lb1EPKmPmPS5_SB_mNS0_19identity_decomposerENS1_16block_id_wrapperIjLb0EEEEE10hipError_tT1_PNSt15iterator_traitsISG_E10value_typeET2_T3_PNSH_ISM_E10value_typeET4_T5_PSR_SS_PNS1_23onesweep_lookback_stateEbbT6_jjT7_P12ihipStream_tbENKUlT_T0_SG_SL_E_clISA_SA_SB_SB_EEDaSZ_S10_SG_SL_EUlSZ_E_NS1_11comp_targetILNS1_3genE0ELNS1_11target_archE4294967295ELNS1_3gpuE0ELNS1_3repE0EEENS1_47radix_sort_onesweep_sort_config_static_selectorELNS0_4arch9wavefront6targetE0EEEvSG_
	.p2align	8
	.type	_ZN7rocprim17ROCPRIM_400000_NS6detail17trampoline_kernelINS0_14default_configENS1_35radix_sort_onesweep_config_selectorImNS0_10empty_typeEEEZZNS1_29radix_sort_onesweep_iterationIS3_Lb1EPKmPmPS5_SB_mNS0_19identity_decomposerENS1_16block_id_wrapperIjLb0EEEEE10hipError_tT1_PNSt15iterator_traitsISG_E10value_typeET2_T3_PNSH_ISM_E10value_typeET4_T5_PSR_SS_PNS1_23onesweep_lookback_stateEbbT6_jjT7_P12ihipStream_tbENKUlT_T0_SG_SL_E_clISA_SA_SB_SB_EEDaSZ_S10_SG_SL_EUlSZ_E_NS1_11comp_targetILNS1_3genE0ELNS1_11target_archE4294967295ELNS1_3gpuE0ELNS1_3repE0EEENS1_47radix_sort_onesweep_sort_config_static_selectorELNS0_4arch9wavefront6targetE0EEEvSG_,@function
_ZN7rocprim17ROCPRIM_400000_NS6detail17trampoline_kernelINS0_14default_configENS1_35radix_sort_onesweep_config_selectorImNS0_10empty_typeEEEZZNS1_29radix_sort_onesweep_iterationIS3_Lb1EPKmPmPS5_SB_mNS0_19identity_decomposerENS1_16block_id_wrapperIjLb0EEEEE10hipError_tT1_PNSt15iterator_traitsISG_E10value_typeET2_T3_PNSH_ISM_E10value_typeET4_T5_PSR_SS_PNS1_23onesweep_lookback_stateEbbT6_jjT7_P12ihipStream_tbENKUlT_T0_SG_SL_E_clISA_SA_SB_SB_EEDaSZ_S10_SG_SL_EUlSZ_E_NS1_11comp_targetILNS1_3genE0ELNS1_11target_archE4294967295ELNS1_3gpuE0ELNS1_3repE0EEENS1_47radix_sort_onesweep_sort_config_static_selectorELNS0_4arch9wavefront6targetE0EEEvSG_: ; @_ZN7rocprim17ROCPRIM_400000_NS6detail17trampoline_kernelINS0_14default_configENS1_35radix_sort_onesweep_config_selectorImNS0_10empty_typeEEEZZNS1_29radix_sort_onesweep_iterationIS3_Lb1EPKmPmPS5_SB_mNS0_19identity_decomposerENS1_16block_id_wrapperIjLb0EEEEE10hipError_tT1_PNSt15iterator_traitsISG_E10value_typeET2_T3_PNSH_ISM_E10value_typeET4_T5_PSR_SS_PNS1_23onesweep_lookback_stateEbbT6_jjT7_P12ihipStream_tbENKUlT_T0_SG_SL_E_clISA_SA_SB_SB_EEDaSZ_S10_SG_SL_EUlSZ_E_NS1_11comp_targetILNS1_3genE0ELNS1_11target_archE4294967295ELNS1_3gpuE0ELNS1_3repE0EEENS1_47radix_sort_onesweep_sort_config_static_selectorELNS0_4arch9wavefront6targetE0EEEvSG_
; %bb.0:
	s_clause 0x3
	s_load_b96 s[20:22], s[0:1], 0x44
	s_load_b64 s[10:11], s[0:1], 0x38
	s_load_b128 s[16:19], s[0:1], 0x0
	s_load_b128 s[12:15], s[0:1], 0x28
	s_bfe_u32 s2, ttmp6, 0x4000c
	s_and_b32 s3, ttmp6, 15
	s_add_co_i32 s2, s2, 1
	s_getreg_b32 s4, hwreg(HW_REG_IB_STS2, 6, 4)
	s_mul_i32 s2, ttmp9, s2
	v_and_b32_e32 v32, 0x3ff, v0
	s_add_co_i32 s2, s3, s2
	s_cmp_eq_u32 s4, 0
	v_mbcnt_lo_u32_b32 v33, -1, 0
	s_cselect_b32 s9, ttmp9, s2
	s_mov_b32 s3, 0
	s_mov_b32 s2, -1
	s_add_nc_u64 s[24:25], s[0:1], 0x58
	s_wait_kmcnt 0x0
	s_cmp_ge_u32 s9, s22
	s_cbranch_scc0 .LBB2907_66
; %bb.1:
	v_dual_lshlrev_b32 v2, 3, v32 :: v_dual_lshlrev_b32 v6, 3, v33
	s_load_b32 s4, s[0:1], 0x20
	s_lshl_b32 s2, s9, 12
	v_mov_b64_e32 v[4:5], -1
	s_delay_alu instid0(VALU_DEP_2) | instskip(SKIP_2) | instid1(SALU_CYCLE_1)
	v_and_b32_e32 v1, 0xf00, v2
	v_mov_b32_e32 v7, 0
	s_lshl_b64 s[2:3], s[2:3], 3
	s_add_nc_u64 s[2:3], s[16:17], s[2:3]
	s_delay_alu instid0(VALU_DEP_1) | instid1(SALU_CYCLE_1)
	v_add_nc_u64_e32 v[8:9], s[2:3], v[6:7]
	v_dual_lshlrev_b32 v6, 3, v1 :: v_dual_bitop2_b32 v1, v33, v1 bitop3:0x54
	s_lshl_b32 s2, s22, 12
	s_delay_alu instid0(VALU_DEP_1)
	v_add_nc_u64_e32 v[20:21], v[8:9], v[6:7]
	v_mov_b64_e32 v[6:7], -1
	s_wait_kmcnt 0x0
	s_sub_co_i32 s22, s4, s2
	s_mov_b32 s2, exec_lo
	v_cmpx_gt_u32_e64 s22, v1
	s_cbranch_execz .LBB2907_3
; %bb.2:
	global_load_b64 v[6:7], v[20:21], off
	s_wait_loadcnt 0x0
	v_not_b32_e32 v7, v7
	v_not_b32_e32 v6, v6
.LBB2907_3:
	s_or_b32 exec_lo, exec_lo, s2
	v_or_b32_e32 v3, 32, v1
	s_mov_b32 s2, exec_lo
	s_delay_alu instid0(VALU_DEP_1)
	v_cmpx_gt_u32_e64 s22, v3
	s_cbranch_execz .LBB2907_5
; %bb.4:
	global_load_b64 v[4:5], v[20:21], off offset:256
	s_wait_loadcnt 0x0
	v_not_b32_e32 v5, v5
	v_not_b32_e32 v4, v4
.LBB2907_5:
	s_or_b32 exec_lo, exec_lo, s2
	v_mov_b64_e32 v[8:9], -1
	v_mov_b64_e32 v[10:11], -1
	v_or_b32_e32 v3, 64, v1
	s_mov_b32 s2, exec_lo
	s_delay_alu instid0(VALU_DEP_1)
	v_cmpx_gt_u32_e64 s22, v3
	s_cbranch_execz .LBB2907_7
; %bb.6:
	global_load_b64 v[10:11], v[20:21], off offset:512
	s_wait_loadcnt 0x0
	v_not_b32_e32 v11, v11
	v_not_b32_e32 v10, v10
.LBB2907_7:
	s_or_b32 exec_lo, exec_lo, s2
	v_or_b32_e32 v3, 0x60, v1
	s_mov_b32 s2, exec_lo
	s_delay_alu instid0(VALU_DEP_1)
	v_cmpx_gt_u32_e64 s22, v3
	s_cbranch_execz .LBB2907_9
; %bb.8:
	global_load_b64 v[8:9], v[20:21], off offset:768
	s_wait_loadcnt 0x0
	v_not_b32_e32 v9, v9
	v_not_b32_e32 v8, v8
.LBB2907_9:
	s_or_b32 exec_lo, exec_lo, s2
	v_mov_b64_e32 v[12:13], -1
	v_mov_b64_e32 v[14:15], -1
	v_or_b32_e32 v3, 0x80, v1
	s_mov_b32 s2, exec_lo
	s_delay_alu instid0(VALU_DEP_1)
	v_cmpx_gt_u32_e64 s22, v3
	s_cbranch_execz .LBB2907_11
; %bb.10:
	global_load_b64 v[14:15], v[20:21], off offset:1024
	s_wait_loadcnt 0x0
	v_not_b32_e32 v15, v15
	v_not_b32_e32 v14, v14
.LBB2907_11:
	;; [unrolled: 26-line block ×3, first 2 shown]
	s_or_b32 exec_lo, exec_lo, s2
	v_or_b32_e32 v1, 0xe0, v1
	s_mov_b32 s2, exec_lo
	s_delay_alu instid0(VALU_DEP_1)
	v_cmpx_gt_u32_e64 s22, v1
	s_cbranch_execz .LBB2907_17
; %bb.16:
	global_load_b64 v[16:17], v[20:21], off offset:1792
	s_wait_loadcnt 0x0
	v_not_b32_e32 v17, v17
	v_not_b32_e32 v16, v16
.LBB2907_17:
	s_or_b32 exec_lo, exec_lo, s2
	s_clause 0x1
	s_load_b32 s23, s[0:1], 0x58
	s_load_u16 s4, s[0:1], 0x66
	v_lshrrev_b64 v[20:21], s20, v[6:7]
	v_bfe_u32 v1, v0, 10, 10
	v_bfe_u32 v3, v0, 20, 10
	s_mov_b32 s3, 0
	s_wait_kmcnt 0x0
	s_cmp_lt_u32 s9, s23
	s_delay_alu instid0(VALU_DEP_1)
	v_mad_u32_u24 v1, v3, s4, v1
	s_cselect_b32 s2, 12, 18
	s_lshl_b32 s26, -1, s21
	s_add_nc_u64 s[2:3], s[24:25], s[2:3]
	v_bitop3_b32 v3, v20, 1, s26 bitop3:0x40
	s_load_u16 s27, s[2:3], 0x0
	v_bitop3_b32 v22, v20, s26, v20 bitop3:0x30
	s_wait_xcnt 0x0
	s_delay_alu instid0(VALU_DEP_2) | instskip(NEXT) | instid1(VALU_DEP_1)
	v_add_co_u32 v3, s2, v3, -1
	v_cndmask_b32_e64 v20, 0, 1, s2
	s_delay_alu instid0(VALU_DEP_3) | instskip(SKIP_1) | instid1(VALU_DEP_3)
	v_dual_lshlrev_b32 v21, 30, v22 :: v_dual_lshlrev_b32 v23, 29, v22
	v_dual_lshlrev_b32 v24, 28, v22 :: v_dual_lshlrev_b32 v25, 27, v22
	v_cmp_ne_u32_e32 vcc_lo, 0, v20
	s_delay_alu instid0(VALU_DEP_3)
	v_not_b32_e32 v20, v21
	v_dual_lshlrev_b32 v26, 26, v22 :: v_dual_lshlrev_b32 v27, 25, v22
	v_lshlrev_b32_e32 v28, 24, v22
	v_cmp_gt_i32_e64 s2, 0, v21
	v_cmp_gt_i32_e64 s3, 0, v23
	v_not_b32_e32 v21, v23
	v_not_b32_e32 v23, v24
	v_ashrrev_i32_e32 v20, 31, v20
	s_wait_kmcnt 0x0
	v_mad_u32 v1, v1, s27, v32
	v_cmp_gt_i32_e64 s4, 0, v24
	v_cmp_gt_i32_e64 s5, 0, v25
	v_not_b32_e32 v24, v25
	v_not_b32_e32 v25, v26
	v_dual_ashrrev_i32 v21, 31, v21 :: v_dual_bitop2_b32 v3, vcc_lo, v3 bitop3:0x14
	s_delay_alu instid0(VALU_DEP_3) | instskip(NEXT) | instid1(VALU_DEP_3)
	v_dual_ashrrev_i32 v23, 31, v23 :: v_dual_ashrrev_i32 v24, 31, v24
	v_dual_ashrrev_i32 v25, 31, v25 :: v_dual_bitop2_b32 v20, s2, v20 bitop3:0x14
	v_cmp_gt_i32_e64 s6, 0, v26
	v_cmp_gt_i32_e64 s7, 0, v27
	v_not_b32_e32 v26, v27
	v_not_b32_e32 v27, v28
	v_xor_b32_e32 v21, s3, v21
	v_dual_lshrrev_b32 v1, 5, v1 :: v_dual_bitop2_b32 v23, s4, v23 bitop3:0x14
	v_bitop3_b32 v3, v3, v20, exec_lo bitop3:0x80
	v_cmp_gt_i32_e64 s8, 0, v28
	v_dual_ashrrev_i32 v20, 31, v26 :: v_dual_ashrrev_i32 v26, 31, v27
	v_xor_b32_e32 v24, s5, v24
	v_xor_b32_e32 v25, s6, v25
	v_bitop3_b32 v3, v3, v23, v21 bitop3:0x80
	s_delay_alu instid0(VALU_DEP_4) | instskip(SKIP_1) | instid1(VALU_DEP_3)
	v_dual_mov_b32 v23, 0 :: v_dual_bitop2_b32 v21, s7, v20 bitop3:0x14
	v_dual_lshlrev_b32 v20, 2, v1 :: v_dual_bitop2_b32 v26, s8, v26 bitop3:0x14
	v_bitop3_b32 v24, v3, v25, v24 bitop3:0x80
	v_mul_u32_u24_e32 v3, 36, v32
	s_not_b32 s6, s26
	s_delay_alu instid0(VALU_DEP_3)
	v_mad_u32 v28, 0x44, v22, v20
	ds_store_2addr_b32 v3, v23, v23 offset0:16 offset1:17
	ds_store_2addr_b32 v3, v23, v23 offset0:18 offset1:19
	;; [unrolled: 1-line block ×4, first 2 shown]
	v_bitop3_b32 v21, v24, v26, v21 bitop3:0x80
	ds_store_b32 v3, v23 offset:96
	s_wait_dscnt 0x0
	s_barrier_signal -1
	s_barrier_wait -1
	v_mbcnt_lo_u32_b32 v1, v21, 0
	v_cmp_ne_u32_e64 s2, 0, v21
	; wave barrier
	s_delay_alu instid0(VALU_DEP_2) | instskip(SKIP_1) | instid1(SALU_CYCLE_1)
	v_cmp_eq_u32_e32 vcc_lo, 0, v1
	s_and_b32 s3, s2, vcc_lo
	s_and_saveexec_b32 s2, s3
; %bb.18:
	v_bcnt_u32_b32 v21, v21, 0
	ds_store_b32 v28, v21 offset:64
; %bb.19:
	s_or_b32 exec_lo, exec_lo, s2
	v_lshrrev_b64 v[22:23], s20, v[4:5]
	; wave barrier
	s_delay_alu instid0(VALU_DEP_1) | instskip(SKIP_1) | instid1(VALU_DEP_2)
	v_and_b32_e32 v21, s6, v22
	v_bitop3_b32 v22, v22, 1, s6 bitop3:0x80
	v_lshlrev_b32_e32 v24, 30, v21
	s_delay_alu instid0(VALU_DEP_2) | instskip(NEXT) | instid1(VALU_DEP_1)
	v_add_co_u32 v22, s2, v22, -1
	v_cndmask_b32_e64 v23, 0, 1, s2
	s_delay_alu instid0(VALU_DEP_1) | instskip(NEXT) | instid1(VALU_DEP_4)
	v_cmp_ne_u32_e32 vcc_lo, 0, v23
	v_not_b32_e32 v23, v24
	s_delay_alu instid0(VALU_DEP_1) | instskip(SKIP_4) | instid1(VALU_DEP_4)
	v_dual_ashrrev_i32 v23, 31, v23 :: v_dual_bitop2_b32 v22, vcc_lo, v22 bitop3:0x14
	v_dual_lshlrev_b32 v25, 29, v21 :: v_dual_lshlrev_b32 v26, 28, v21
	v_lshlrev_b32_e32 v27, 27, v21
	v_cmp_gt_i32_e64 s2, 0, v24
	v_mad_u32 v29, 0x44, v21, v20
	v_cmp_gt_i32_e64 s3, 0, v25
	v_not_b32_e32 v24, v25
	v_not_b32_e32 v25, v26
	v_dual_lshlrev_b32 v30, 26, v21 :: v_dual_lshlrev_b32 v31, 25, v21
	v_lshlrev_b32_e32 v21, 24, v21
	v_cmp_gt_i32_e64 s4, 0, v26
	v_not_b32_e32 v26, v27
	v_dual_ashrrev_i32 v24, 31, v24 :: v_dual_ashrrev_i32 v25, 31, v25
	v_xor_b32_e32 v23, s2, v23
	v_cmp_gt_i32_e64 s5, 0, v27
	v_not_b32_e32 v27, v30
	s_delay_alu instid0(VALU_DEP_4)
	v_dual_ashrrev_i32 v26, 31, v26 :: v_dual_bitop2_b32 v24, s3, v24 bitop3:0x14
	v_xor_b32_e32 v25, s4, v25
	v_bitop3_b32 v22, v22, v23, exec_lo bitop3:0x80
	v_cmp_gt_i32_e32 vcc_lo, 0, v30
	v_ashrrev_i32_e32 v23, 31, v27
	v_not_b32_e32 v27, v31
	v_xor_b32_e32 v26, s5, v26
	v_bitop3_b32 v22, v22, v25, v24 bitop3:0x80
	v_not_b32_e32 v24, v21
	v_xor_b32_e32 v23, vcc_lo, v23
	v_cmp_gt_i32_e32 vcc_lo, 0, v31
	v_ashrrev_i32_e32 v25, 31, v27
	v_cmp_gt_i32_e64 s2, 0, v21
	v_ashrrev_i32_e32 v21, 31, v24
	v_bitop3_b32 v22, v22, v23, v26 bitop3:0x80
	ds_load_b32 v34, v29 offset:64
	v_xor_b32_e32 v23, vcc_lo, v25
	v_xor_b32_e32 v21, s2, v21
	; wave barrier
	s_delay_alu instid0(VALU_DEP_1) | instskip(NEXT) | instid1(VALU_DEP_1)
	v_bitop3_b32 v21, v22, v21, v23 bitop3:0x80
	v_mbcnt_lo_u32_b32 v35, v21, 0
	v_cmp_ne_u32_e64 s2, 0, v21
	s_delay_alu instid0(VALU_DEP_2) | instskip(SKIP_1) | instid1(SALU_CYCLE_1)
	v_cmp_eq_u32_e32 vcc_lo, 0, v35
	s_and_b32 s3, s2, vcc_lo
	s_and_saveexec_b32 s2, s3
	s_cbranch_execz .LBB2907_21
; %bb.20:
	s_wait_dscnt 0x0
	v_bcnt_u32_b32 v21, v21, v34
	ds_store_b32 v29, v21 offset:64
.LBB2907_21:
	s_or_b32 exec_lo, exec_lo, s2
	v_lshrrev_b64 v[22:23], s20, v[10:11]
	; wave barrier
	s_delay_alu instid0(VALU_DEP_1) | instskip(SKIP_1) | instid1(VALU_DEP_2)
	v_and_b32_e32 v21, s6, v22
	v_bitop3_b32 v22, v22, 1, s6 bitop3:0x80
	v_lshlrev_b32_e32 v24, 30, v21
	s_delay_alu instid0(VALU_DEP_2) | instskip(NEXT) | instid1(VALU_DEP_1)
	v_add_co_u32 v22, s2, v22, -1
	v_cndmask_b32_e64 v23, 0, 1, s2
	s_delay_alu instid0(VALU_DEP_1) | instskip(NEXT) | instid1(VALU_DEP_4)
	v_cmp_ne_u32_e32 vcc_lo, 0, v23
	v_not_b32_e32 v23, v24
	s_delay_alu instid0(VALU_DEP_1) | instskip(SKIP_4) | instid1(VALU_DEP_4)
	v_dual_ashrrev_i32 v23, 31, v23 :: v_dual_bitop2_b32 v22, vcc_lo, v22 bitop3:0x14
	v_dual_lshlrev_b32 v25, 29, v21 :: v_dual_lshlrev_b32 v26, 28, v21
	v_lshlrev_b32_e32 v27, 27, v21
	v_cmp_gt_i32_e64 s2, 0, v24
	v_mad_u32 v30, 0x44, v21, v20
	v_cmp_gt_i32_e64 s3, 0, v25
	v_not_b32_e32 v24, v25
	v_not_b32_e32 v25, v26
	v_dual_lshlrev_b32 v31, 26, v21 :: v_dual_lshlrev_b32 v36, 25, v21
	v_lshlrev_b32_e32 v21, 24, v21
	v_cmp_gt_i32_e64 s4, 0, v26
	v_not_b32_e32 v26, v27
	v_dual_ashrrev_i32 v24, 31, v24 :: v_dual_ashrrev_i32 v25, 31, v25
	v_xor_b32_e32 v23, s2, v23
	v_cmp_gt_i32_e64 s5, 0, v27
	v_not_b32_e32 v27, v31
	s_delay_alu instid0(VALU_DEP_4)
	v_dual_ashrrev_i32 v26, 31, v26 :: v_dual_bitop2_b32 v24, s3, v24 bitop3:0x14
	v_xor_b32_e32 v25, s4, v25
	v_bitop3_b32 v22, v22, v23, exec_lo bitop3:0x80
	v_cmp_gt_i32_e32 vcc_lo, 0, v31
	v_ashrrev_i32_e32 v23, 31, v27
	v_not_b32_e32 v27, v36
	v_xor_b32_e32 v26, s5, v26
	v_bitop3_b32 v22, v22, v25, v24 bitop3:0x80
	v_not_b32_e32 v24, v21
	v_xor_b32_e32 v23, vcc_lo, v23
	v_cmp_gt_i32_e32 vcc_lo, 0, v36
	v_ashrrev_i32_e32 v25, 31, v27
	v_cmp_gt_i32_e64 s2, 0, v21
	v_ashrrev_i32_e32 v21, 31, v24
	v_bitop3_b32 v22, v22, v23, v26 bitop3:0x80
	ds_load_b32 v36, v30 offset:64
	v_xor_b32_e32 v23, vcc_lo, v25
	v_xor_b32_e32 v21, s2, v21
	; wave barrier
	s_delay_alu instid0(VALU_DEP_1) | instskip(NEXT) | instid1(VALU_DEP_1)
	v_bitop3_b32 v21, v22, v21, v23 bitop3:0x80
	v_mbcnt_lo_u32_b32 v37, v21, 0
	v_cmp_ne_u32_e64 s2, 0, v21
	s_delay_alu instid0(VALU_DEP_2) | instskip(SKIP_1) | instid1(SALU_CYCLE_1)
	v_cmp_eq_u32_e32 vcc_lo, 0, v37
	s_and_b32 s3, s2, vcc_lo
	s_and_saveexec_b32 s2, s3
	s_cbranch_execz .LBB2907_23
; %bb.22:
	s_wait_dscnt 0x0
	v_bcnt_u32_b32 v21, v21, v36
	ds_store_b32 v30, v21 offset:64
.LBB2907_23:
	;; [unrolled: 64-line block ×6, first 2 shown]
	s_or_b32 exec_lo, exec_lo, s2
	v_lshrrev_b64 v[22:23], s20, v[16:17]
	; wave barrier
	s_delay_alu instid0(VALU_DEP_1) | instskip(SKIP_1) | instid1(VALU_DEP_2)
	v_and_b32_e32 v21, s6, v22
	v_bitop3_b32 v22, v22, 1, s6 bitop3:0x80
	v_mad_u32 v51, 0x44, v21, v20
	s_delay_alu instid0(VALU_DEP_2) | instskip(NEXT) | instid1(VALU_DEP_1)
	v_add_co_u32 v20, s2, v22, -1
	v_cndmask_b32_e64 v22, 0, 1, s2
	v_lshlrev_b32_e32 v23, 30, v21
	s_delay_alu instid0(VALU_DEP_2) | instskip(NEXT) | instid1(VALU_DEP_2)
	v_cmp_ne_u32_e32 vcc_lo, 0, v22
	v_not_b32_e32 v22, v23
	s_delay_alu instid0(VALU_DEP_1) | instskip(SKIP_4) | instid1(VALU_DEP_4)
	v_dual_ashrrev_i32 v22, 31, v22 :: v_dual_bitop2_b32 v20, vcc_lo, v20 bitop3:0x14
	v_dual_lshlrev_b32 v24, 29, v21 :: v_dual_lshlrev_b32 v25, 28, v21
	v_lshlrev_b32_e32 v26, 27, v21
	v_cmp_gt_i32_e64 s2, 0, v23
	v_dual_lshlrev_b32 v27, 26, v21 :: v_dual_lshlrev_b32 v49, 25, v21
	v_cmp_gt_i32_e64 s3, 0, v24
	v_not_b32_e32 v23, v24
	v_not_b32_e32 v24, v25
	v_lshlrev_b32_e32 v21, 24, v21
	v_cmp_gt_i32_e64 s4, 0, v25
	v_not_b32_e32 v25, v26
	s_delay_alu instid0(VALU_DEP_4) | instskip(SKIP_3) | instid1(VALU_DEP_4)
	v_dual_ashrrev_i32 v23, 31, v23 :: v_dual_ashrrev_i32 v24, 31, v24
	v_xor_b32_e32 v22, s2, v22
	v_cmp_gt_i32_e64 s5, 0, v26
	v_not_b32_e32 v26, v27
	v_dual_ashrrev_i32 v25, 31, v25 :: v_dual_bitop2_b32 v23, s3, v23 bitop3:0x14
	v_xor_b32_e32 v24, s4, v24
	v_bitop3_b32 v20, v20, v22, exec_lo bitop3:0x80
	v_cmp_gt_i32_e32 vcc_lo, 0, v27
	v_ashrrev_i32_e32 v22, 31, v26
	v_not_b32_e32 v26, v49
	v_xor_b32_e32 v25, s5, v25
	v_bitop3_b32 v20, v20, v24, v23 bitop3:0x80
	v_not_b32_e32 v23, v21
	v_xor_b32_e32 v22, vcc_lo, v22
	v_cmp_gt_i32_e32 vcc_lo, 0, v49
	v_ashrrev_i32_e32 v24, 31, v26
	v_cmp_gt_i32_e64 s2, 0, v21
	v_ashrrev_i32_e32 v21, 31, v23
	v_bitop3_b32 v20, v20, v22, v25 bitop3:0x80
	ds_load_b32 v49, v51 offset:64
	v_xor_b32_e32 v22, vcc_lo, v24
	v_xor_b32_e32 v21, s2, v21
	; wave barrier
	s_delay_alu instid0(VALU_DEP_1) | instskip(NEXT) | instid1(VALU_DEP_1)
	v_bitop3_b32 v20, v20, v21, v22 bitop3:0x80
	v_mbcnt_lo_u32_b32 v50, v20, 0
	v_cmp_ne_u32_e64 s2, 0, v20
	s_delay_alu instid0(VALU_DEP_2) | instskip(SKIP_1) | instid1(SALU_CYCLE_1)
	v_cmp_eq_u32_e32 vcc_lo, 0, v50
	s_and_b32 s3, s2, vcc_lo
	s_and_saveexec_b32 s2, s3
	s_cbranch_execz .LBB2907_33
; %bb.32:
	s_wait_dscnt 0x0
	v_bcnt_u32_b32 v20, v20, v49
	ds_store_b32 v51, v20 offset:64
.LBB2907_33:
	s_or_b32 exec_lo, exec_lo, s2
	; wave barrier
	s_wait_dscnt 0x0
	s_barrier_signal -1
	s_barrier_wait -1
	ds_load_2addr_b32 v[26:27], v3 offset0:16 offset1:17
	ds_load_2addr_b32 v[24:25], v3 offset0:18 offset1:19
	;; [unrolled: 1-line block ×4, first 2 shown]
	ds_load_b32 v52, v3 offset:96
	v_bfe_i32 v55, v33, 4, 1
	s_mov_b32 s7, exec_lo
	s_wait_dscnt 0x3
	v_add3_u32 v53, v27, v26, v24
	s_wait_dscnt 0x2
	s_delay_alu instid0(VALU_DEP_1) | instskip(SKIP_1) | instid1(VALU_DEP_1)
	v_add3_u32 v53, v53, v25, v22
	s_wait_dscnt 0x1
	v_add3_u32 v53, v53, v23, v20
	s_wait_dscnt 0x0
	s_delay_alu instid0(VALU_DEP_1) | instskip(SKIP_1) | instid1(VALU_DEP_2)
	v_add3_u32 v52, v53, v21, v52
	v_and_b32_e32 v53, 15, v33
	v_mov_b32_dpp v54, v52 row_shr:1 row_mask:0xf bank_mask:0xf
	s_delay_alu instid0(VALU_DEP_2) | instskip(NEXT) | instid1(VALU_DEP_2)
	v_cmp_eq_u32_e32 vcc_lo, 0, v53
	v_cndmask_b32_e64 v54, v54, 0, vcc_lo
	s_delay_alu instid0(VALU_DEP_1) | instskip(SKIP_3) | instid1(VALU_DEP_4)
	v_add_nc_u32_e32 v52, v54, v52
	v_cmp_lt_u32_e64 s2, 1, v53
	v_cmp_lt_u32_e64 s3, 3, v53
	;; [unrolled: 1-line block ×3, first 2 shown]
	v_mov_b32_dpp v54, v52 row_shr:2 row_mask:0xf bank_mask:0xf
	s_delay_alu instid0(VALU_DEP_1) | instskip(NEXT) | instid1(VALU_DEP_1)
	v_cndmask_b32_e64 v54, 0, v54, s2
	v_add_nc_u32_e32 v52, v52, v54
	s_delay_alu instid0(VALU_DEP_1) | instskip(NEXT) | instid1(VALU_DEP_1)
	v_mov_b32_dpp v54, v52 row_shr:4 row_mask:0xf bank_mask:0xf
	v_cndmask_b32_e64 v54, 0, v54, s3
	s_delay_alu instid0(VALU_DEP_1) | instskip(NEXT) | instid1(VALU_DEP_1)
	v_add_nc_u32_e32 v52, v52, v54
	v_mov_b32_dpp v54, v52 row_shr:8 row_mask:0xf bank_mask:0xf
	s_delay_alu instid0(VALU_DEP_1) | instskip(SKIP_1) | instid1(VALU_DEP_2)
	v_cndmask_b32_e64 v53, 0, v54, s4
	v_and_b32_e32 v54, 0x3e0, v32
	v_add_nc_u32_e32 v52, v52, v53
	s_delay_alu instid0(VALU_DEP_2) | instskip(SKIP_3) | instid1(VALU_DEP_1)
	v_min_u32_e32 v54, 0x1e0, v54
	ds_swizzle_b32 v53, v52 offset:swizzle(BROADCAST,32,15)
	s_wait_dscnt 0x0
	v_dual_lshrrev_b32 v53, 5, v32 :: v_dual_bitop2_b32 v55, v55, v53 bitop3:0x40
	v_dual_add_nc_u32 v52, v52, v55 :: v_dual_bitop2_b32 v54, 31, v54 bitop3:0x54
	s_delay_alu instid0(VALU_DEP_1)
	v_cmpx_eq_u32_e64 v32, v54
; %bb.34:
	s_delay_alu instid0(VALU_DEP_3)
	v_lshlrev_b32_e32 v54, 2, v53
	ds_store_b32 v54, v52
; %bb.35:
	s_or_b32 exec_lo, exec_lo, s7
	s_delay_alu instid0(SALU_CYCLE_1)
	s_mov_b32 s7, exec_lo
	s_wait_dscnt 0x0
	s_barrier_signal -1
	s_barrier_wait -1
	v_cmpx_gt_u32_e32 16, v32
	s_cbranch_execz .LBB2907_37
; %bb.36:
	v_lshlrev_b32_e32 v54, 2, v32
	ds_load_b32 v55, v54
	s_wait_dscnt 0x0
	v_mov_b32_dpp v56, v55 row_shr:1 row_mask:0xf bank_mask:0xf
	s_delay_alu instid0(VALU_DEP_1) | instskip(NEXT) | instid1(VALU_DEP_1)
	v_cndmask_b32_e64 v56, v56, 0, vcc_lo
	v_add_nc_u32_e32 v55, v56, v55
	s_delay_alu instid0(VALU_DEP_1) | instskip(NEXT) | instid1(VALU_DEP_1)
	v_mov_b32_dpp v56, v55 row_shr:2 row_mask:0xf bank_mask:0xf
	v_cndmask_b32_e64 v56, 0, v56, s2
	s_delay_alu instid0(VALU_DEP_1) | instskip(NEXT) | instid1(VALU_DEP_1)
	v_add_nc_u32_e32 v55, v55, v56
	v_mov_b32_dpp v56, v55 row_shr:4 row_mask:0xf bank_mask:0xf
	s_delay_alu instid0(VALU_DEP_1) | instskip(NEXT) | instid1(VALU_DEP_1)
	v_cndmask_b32_e64 v56, 0, v56, s3
	v_add_nc_u32_e32 v55, v55, v56
	s_delay_alu instid0(VALU_DEP_1) | instskip(NEXT) | instid1(VALU_DEP_1)
	v_mov_b32_dpp v56, v55 row_shr:8 row_mask:0xf bank_mask:0xf
	v_cndmask_b32_e64 v56, 0, v56, s4
	s_delay_alu instid0(VALU_DEP_1)
	v_add_nc_u32_e32 v55, v55, v56
	ds_store_b32 v54, v55
.LBB2907_37:
	s_or_b32 exec_lo, exec_lo, s7
	v_mov_b32_e32 v54, 0
	s_mov_b32 s2, exec_lo
	s_wait_dscnt 0x0
	s_barrier_signal -1
	s_barrier_wait -1
	v_cmpx_lt_u32_e32 31, v32
; %bb.38:
	v_lshl_add_u32 v53, v53, 2, -4
	ds_load_b32 v54, v53
; %bb.39:
	s_or_b32 exec_lo, exec_lo, s2
	v_sub_co_u32 v53, vcc_lo, v33, 1
	s_wait_dscnt 0x0
	v_add_nc_u32_e32 v52, v54, v52
	s_delay_alu instid0(VALU_DEP_2) | instskip(NEXT) | instid1(VALU_DEP_1)
	v_cmp_gt_i32_e64 s2, 0, v53
	v_cndmask_b32_e64 v53, v53, v33, s2
	v_cmp_lt_u32_e64 s2, 0xff, v32
	s_delay_alu instid0(VALU_DEP_2) | instskip(SKIP_4) | instid1(VALU_DEP_2)
	v_lshlrev_b32_e32 v53, 2, v53
	ds_bpermute_b32 v52, v53, v52
	s_wait_dscnt 0x0
	v_cndmask_b32_e32 v52, v52, v54, vcc_lo
	v_cmp_ne_u32_e32 vcc_lo, 0, v32
	v_cndmask_b32_e32 v52, 0, v52, vcc_lo
	v_cmp_gt_u32_e32 vcc_lo, 0x100, v32
	s_delay_alu instid0(VALU_DEP_2) | instskip(NEXT) | instid1(VALU_DEP_1)
	v_add_nc_u32_e32 v26, v52, v26
	v_add_nc_u32_e32 v27, v26, v27
	s_delay_alu instid0(VALU_DEP_1) | instskip(NEXT) | instid1(VALU_DEP_1)
	v_add_nc_u32_e32 v24, v27, v24
	v_add_nc_u32_e32 v25, v24, v25
	s_delay_alu instid0(VALU_DEP_1) | instskip(NEXT) | instid1(VALU_DEP_1)
	;; [unrolled: 3-line block ×3, first 2 shown]
	v_add_nc_u32_e32 v20, v23, v20
	v_add_nc_u32_e32 v21, v20, v21
	ds_store_2addr_b32 v3, v52, v26 offset0:16 offset1:17
	ds_store_2addr_b32 v3, v27, v24 offset0:18 offset1:19
	ds_store_2addr_b32 v3, v25, v22 offset0:20 offset1:21
	ds_store_2addr_b32 v3, v23, v20 offset0:22 offset1:23
	ds_store_b32 v3, v21 offset:96
	s_wait_dscnt 0x0
	s_barrier_signal -1
	s_barrier_wait -1
	ds_load_b32 v54, v28 offset:64
	ds_load_b32 v23, v29 offset:64
	;; [unrolled: 1-line block ×8, first 2 shown]
	v_mov_b64_e32 v[20:21], 0
                                        ; implicit-def: $vgpr22
	s_and_saveexec_b32 s4, vcc_lo
	s_cbranch_execz .LBB2907_43
; %bb.40:
	v_mul_u32_u24_e32 v3, 0x44, v32
	v_add_nc_u32_e32 v21, 1, v32
	s_mov_b32 s5, exec_lo
	ds_load_b32 v20, v3 offset:64
	v_mov_b32_e32 v3, 0x1000
	v_cmpx_ne_u32_e32 0x100, v21
; %bb.41:
	v_mul_u32_u24_e32 v3, 0x44, v21
	ds_load_b32 v3, v3 offset:64
; %bb.42:
	s_or_b32 exec_lo, exec_lo, s5
	s_wait_dscnt 0x0
	v_dual_mov_b32 v21, 0 :: v_dual_sub_nc_u32 v22, v3, v20
.LBB2907_43:
	s_or_b32 exec_lo, exec_lo, s4
	v_mov_b32_e32 v25, 0
	s_wait_dscnt 0x0
	s_barrier_signal -1
	s_barrier_wait -1
	s_and_saveexec_b32 s3, vcc_lo
	s_cbranch_execz .LBB2907_53
; %bb.44:
	v_lshl_add_u32 v24, s9, 8, v32
	v_dual_mov_b32 v28, 0 :: v_dual_bitop2_b32 v3, 2.0, v22 bitop3:0x54
	s_mov_b32 s4, 0
	s_mov_b32 s5, s9
	s_delay_alu instid0(VALU_DEP_2)
	v_lshl_add_u64 v[26:27], v[24:25], 2, s[10:11]
	global_store_b32 v24, v3, s[10:11] scale_offset scope:SCOPE_DEV
                                        ; implicit-def: $sgpr7
	s_branch .LBB2907_47
.LBB2907_45:                            ;   in Loop: Header=BB2907_47 Depth=1
	s_or_b32 exec_lo, exec_lo, s8
.LBB2907_46:                            ;   in Loop: Header=BB2907_47 Depth=1
	s_delay_alu instid0(SALU_CYCLE_1) | instskip(SKIP_2) | instid1(VALU_DEP_2)
	s_or_b32 exec_lo, exec_lo, s7
	v_and_b32_e32 v24, 0x3fffffff, v3
	v_cmp_gt_i32_e64 s7, -2.0, v3
	v_add_nc_u32_e32 v28, v24, v28
	s_and_b32 s8, exec_lo, s7
	s_delay_alu instid0(SALU_CYCLE_1) | instskip(NEXT) | instid1(SALU_CYCLE_1)
	s_or_b32 s4, s8, s4
	s_and_not1_b32 exec_lo, exec_lo, s4
	s_cbranch_execz .LBB2907_52
.LBB2907_47:                            ; =>This Loop Header: Depth=1
                                        ;     Child Loop BB2907_50 Depth 2
	s_or_b32 s7, s7, exec_lo
	s_cmp_eq_u32 s5, 0
	s_cbranch_scc1 .LBB2907_51
; %bb.48:                               ;   in Loop: Header=BB2907_47 Depth=1
	s_add_co_i32 s5, s5, -1
	s_mov_b32 s7, exec_lo
	s_wait_xcnt 0x0
	v_lshl_or_b32 v24, s5, 8, v32
	global_load_b32 v3, v24, s[10:11] scale_offset scope:SCOPE_DEV
	s_wait_loadcnt 0x0
	v_cmpx_gt_u32_e32 2.0, v3
	s_cbranch_execz .LBB2907_46
; %bb.49:                               ;   in Loop: Header=BB2907_47 Depth=1
	v_lshl_add_u64 v[30:31], v[24:25], 2, s[10:11]
	s_mov_b32 s8, 0
.LBB2907_50:                            ;   Parent Loop BB2907_47 Depth=1
                                        ; =>  This Inner Loop Header: Depth=2
	global_load_b32 v3, v[30:31], off scope:SCOPE_DEV
	s_wait_loadcnt 0x0
	v_cmp_lt_u32_e32 vcc_lo, 0x3fffffff, v3
	s_or_b32 s8, vcc_lo, s8
	s_wait_xcnt 0x0
	s_and_not1_b32 exec_lo, exec_lo, s8
	s_cbranch_execnz .LBB2907_50
	s_branch .LBB2907_45
.LBB2907_51:                            ;   in Loop: Header=BB2907_47 Depth=1
                                        ; implicit-def: $sgpr5
	s_and_b32 s8, exec_lo, s7
	s_delay_alu instid0(SALU_CYCLE_1)
	s_or_b32 s4, s8, s4
	s_wait_xcnt 0x0
	s_and_not1_b32 exec_lo, exec_lo, s4
	s_cbranch_execnz .LBB2907_47
.LBB2907_52:
	s_or_b32 exec_lo, exec_lo, s4
	v_dual_add_nc_u32 v3, v28, v22 :: v_dual_mov_b32 v29, 0
	s_delay_alu instid0(VALU_DEP_1)
	v_or_b32_e32 v3, 0x80000000, v3
	global_store_b32 v[26:27], v3, off scope:SCOPE_DEV
	global_load_b64 v[24:25], v32, s[12:13] scale_offset
	s_wait_xcnt 0x1
	v_sub_nc_u64_e32 v[26:27], v[28:29], v[20:21]
	s_wait_loadcnt 0x0
	s_delay_alu instid0(VALU_DEP_1)
	v_add_nc_u64_e32 v[24:25], v[26:27], v[24:25]
	ds_store_b64 v2, v[24:25]
.LBB2907_53:
	s_wait_xcnt 0x0
	s_or_b32 exec_lo, exec_lo, s3
	v_dual_mov_b32 v3, 0 :: v_dual_add_nc_u32 v1, v54, v1
	v_add3_u32 v26, v47, v48, v46
	v_add3_u32 v27, v44, v45, v42
	;; [unrolled: 1-line block ×3, first 2 shown]
	s_delay_alu instid0(VALU_DEP_4)
	v_add_nc_u64_e32 v[24:25], s[18:19], v[2:3]
	v_add3_u32 v3, v50, v51, v49
	v_add3_u32 v29, v39, v53, v38
	;; [unrolled: 1-line block ×4, first 2 shown]
	v_mov_b32_e32 v31, v32
	s_mov_b32 s4, -1
	v_add_nc_u64_e32 v[24:25], 0x3000, v[24:25]
	s_mov_b32 s3, 0
	s_branch .LBB2907_55
.LBB2907_54:                            ;   in Loop: Header=BB2907_55 Depth=1
	s_wait_xcnt 0x0
	s_or_b32 exec_lo, exec_lo, s5
	v_add_nc_u64_e32 v[24:25], 0x4000, v[24:25]
	v_add_nc_u32_e32 v31, 0x800, v31
	s_xor_b32 s4, s4, -1
	s_addk_co_i32 s3, 0xf800
	s_and_b32 vcc_lo, exec_lo, s4
	s_mov_b32 s4, 0
	s_wait_storecnt 0x0
	s_barrier_signal -1
	s_barrier_wait -1
	s_cbranch_vccnz .LBB2907_63
.LBB2907_55:                            ; =>This Inner Loop Header: Depth=1
	v_add_min_u32_e64 v34, v1, s3, 0x800
	v_add_min_u32_e64 v35, v23, s3, 0x800
	;; [unrolled: 1-line block ×5, first 2 shown]
	s_delay_alu instid0(VALU_DEP_4) | instskip(NEXT) | instid1(VALU_DEP_3)
	v_dual_lshlrev_b32 v34, 3, v34 :: v_dual_lshlrev_b32 v35, 3, v35
	v_dual_lshlrev_b32 v36, 3, v36 :: v_dual_lshlrev_b32 v37, 3, v37
	s_mov_b32 s5, exec_lo
	ds_store_b64 v34, v[6:7] offset:2048
	ds_store_b64 v35, v[4:5] offset:2048
	;; [unrolled: 1-line block ×3, first 2 shown]
	v_add_min_u32_e64 v34, v27, s3, 0x800
	v_add_min_u32_e64 v35, v26, s3, 0x800
	;; [unrolled: 1-line block ×3, first 2 shown]
	v_lshlrev_b32_e32 v38, 3, v38
	s_delay_alu instid0(VALU_DEP_3) | instskip(NEXT) | instid1(VALU_DEP_3)
	v_dual_lshlrev_b32 v34, 3, v34 :: v_dual_lshlrev_b32 v35, 3, v35
	v_lshlrev_b32_e32 v36, 3, v36
	ds_store_b64 v37, v[8:9] offset:2048
	ds_store_b64 v38, v[14:15] offset:2048
	;; [unrolled: 1-line block ×5, first 2 shown]
	s_wait_storecnt_dscnt 0x0
	s_barrier_signal -1
	s_barrier_wait -1
	v_cmpx_gt_u32_e64 s22, v31
	s_cbranch_execz .LBB2907_57
; %bb.56:                               ;   in Loop: Header=BB2907_55 Depth=1
	ds_load_b64 v[34:35], v2 offset:2048
	s_wait_dscnt 0x0
	v_lshrrev_b64 v[36:37], s20, v[34:35]
	v_not_b32_e32 v35, v35
	v_not_b32_e32 v34, v34
	s_delay_alu instid0(VALU_DEP_3) | instskip(NEXT) | instid1(VALU_DEP_1)
	v_and_b32_e32 v36, s6, v36
	v_lshlrev_b32_e32 v36, 3, v36
	ds_load_b64 v[36:37], v36
	s_wait_dscnt 0x0
	v_lshl_add_u64 v[36:37], v[36:37], 3, v[24:25]
	global_store_b64 v[36:37], v[34:35], off offset:-12288
.LBB2907_57:                            ;   in Loop: Header=BB2907_55 Depth=1
	s_wait_xcnt 0x0
	s_or_b32 exec_lo, exec_lo, s5
	v_add_nc_u32_e32 v34, 0x200, v31
	s_mov_b32 s5, exec_lo
	s_delay_alu instid0(VALU_DEP_1)
	v_cmpx_gt_u32_e64 s22, v34
	s_cbranch_execz .LBB2907_59
; %bb.58:                               ;   in Loop: Header=BB2907_55 Depth=1
	ds_load_b64 v[34:35], v2 offset:6144
	s_wait_dscnt 0x0
	v_lshrrev_b64 v[36:37], s20, v[34:35]
	v_not_b32_e32 v35, v35
	v_not_b32_e32 v34, v34
	s_delay_alu instid0(VALU_DEP_3) | instskip(NEXT) | instid1(VALU_DEP_1)
	v_and_b32_e32 v36, s6, v36
	v_lshlrev_b32_e32 v36, 3, v36
	ds_load_b64 v[36:37], v36
	s_wait_dscnt 0x0
	v_lshl_add_u64 v[36:37], v[36:37], 3, v[24:25]
	global_store_b64 v[36:37], v[34:35], off offset:-8192
.LBB2907_59:                            ;   in Loop: Header=BB2907_55 Depth=1
	s_wait_xcnt 0x0
	s_or_b32 exec_lo, exec_lo, s5
	v_add_nc_u32_e32 v34, 0x400, v31
	s_mov_b32 s5, exec_lo
	s_delay_alu instid0(VALU_DEP_1)
	;; [unrolled: 21-line block ×3, first 2 shown]
	v_cmpx_gt_u32_e64 s22, v34
	s_cbranch_execz .LBB2907_54
; %bb.62:                               ;   in Loop: Header=BB2907_55 Depth=1
	ds_load_b64 v[34:35], v2 offset:14336
	s_wait_dscnt 0x0
	v_lshrrev_b64 v[36:37], s20, v[34:35]
	v_not_b32_e32 v35, v35
	v_not_b32_e32 v34, v34
	s_delay_alu instid0(VALU_DEP_3) | instskip(NEXT) | instid1(VALU_DEP_1)
	v_and_b32_e32 v36, s6, v36
	v_lshlrev_b32_e32 v36, 3, v36
	ds_load_b64 v[36:37], v36
	s_wait_dscnt 0x0
	v_lshl_add_u64 v[36:37], v[36:37], 3, v[24:25]
	global_store_b64 v[36:37], v[34:35], off
	s_branch .LBB2907_54
.LBB2907_63:
	s_add_co_i32 s23, s23, -1
	s_delay_alu instid0(SALU_CYCLE_1) | instskip(SKIP_2) | instid1(SALU_CYCLE_1)
	s_cmp_eq_u32 s9, s23
	s_cselect_b32 s3, -1, 0
	s_xor_b32 s2, s2, -1
	s_and_b32 s3, s2, s3
	s_delay_alu instid0(SALU_CYCLE_1)
	s_and_saveexec_b32 s2, s3
	s_cbranch_execz .LBB2907_65
; %bb.64:
	ds_load_b64 v[2:3], v2
	v_mov_b32_e32 v23, 0
	s_delay_alu instid0(VALU_DEP_1) | instskip(SKIP_1) | instid1(VALU_DEP_1)
	v_add_nc_u64_e32 v[4:5], v[20:21], v[22:23]
	s_wait_dscnt 0x0
	v_add_nc_u64_e32 v[2:3], v[4:5], v[2:3]
	global_store_b64 v32, v[2:3], s[14:15] scale_offset
.LBB2907_65:
	s_wait_xcnt 0x0
	s_or_b32 exec_lo, exec_lo, s2
	s_mov_b32 s2, 0
.LBB2907_66:
	s_delay_alu instid0(SALU_CYCLE_1)
	s_and_b32 vcc_lo, exec_lo, s2
	s_cbranch_vccz .LBB2907_107
; %bb.67:
	s_lshl_b32 s2, s9, 12
	s_mov_b32 s3, 0
	v_dual_mov_b32 v19, 0 :: v_dual_lshlrev_b32 v18, 3, v33
	s_lshl_b64 s[4:5], s[2:3], 3
	v_lshlrev_b32_e32 v1, 6, v32
	s_add_nc_u64 s[4:5], s[16:17], s[4:5]
	s_delay_alu instid0(VALU_DEP_2) | instid1(SALU_CYCLE_1)
	v_add_nc_u64_e32 v[2:3], s[4:5], v[18:19]
	s_delay_alu instid0(VALU_DEP_2) | instskip(NEXT) | instid1(VALU_DEP_1)
	v_and_b32_e32 v18, 0x7800, v1
	v_add_nc_u64_e32 v[2:3], v[2:3], v[18:19]
	v_bfe_u32 v18, v0, 10, 10
	s_clause 0x7
	global_load_b64 v[20:21], v[2:3], off
	global_load_b64 v[16:17], v[2:3], off offset:256
	global_load_b64 v[4:5], v[2:3], off offset:512
	;; [unrolled: 1-line block ×7, first 2 shown]
	s_clause 0x1
	s_load_b32 s7, s[0:1], 0x58
	s_load_u16 s4, s[0:1], 0x66
	s_wait_kmcnt 0x0
	s_cmp_lt_u32 s9, s7
	s_cselect_b32 s2, 12, 18
	s_lshl_b32 s8, -1, s21
	s_add_nc_u64 s[0:1], s[24:25], s[2:3]
	s_load_u16 s0, s[0:1], 0x0
	s_wait_loadcnt 0x7
	v_not_b32_e32 v3, v21
	v_not_b32_e32 v2, v20
	v_bfe_u32 v20, v0, 20, 10
	s_delay_alu instid0(VALU_DEP_2) | instskip(NEXT) | instid1(VALU_DEP_2)
	v_lshrrev_b64 v[0:1], s20, v[2:3]
	v_mad_u32_u24 v1, v20, s4, v18
	s_delay_alu instid0(VALU_DEP_2) | instskip(SKIP_2) | instid1(VALU_DEP_3)
	v_bitop3_b32 v18, v0, 1, s8 bitop3:0x40
	v_bitop3_b32 v20, v0, s8, v0 bitop3:0x30
	s_wait_kmcnt 0x0
	v_mad_u32 v0, v1, s0, v32
	s_delay_alu instid0(VALU_DEP_3) | instskip(NEXT) | instid1(VALU_DEP_1)
	v_add_co_u32 v1, s0, v18, -1
	v_cndmask_b32_e64 v18, 0, 1, s0
	v_dual_lshlrev_b32 v21, 30, v20 :: v_dual_lshlrev_b32 v22, 29, v20
	v_dual_lshlrev_b32 v23, 28, v20 :: v_dual_lshlrev_b32 v24, 27, v20
	s_delay_alu instid0(VALU_DEP_3) | instskip(NEXT) | instid1(VALU_DEP_3)
	v_cmp_ne_u32_e32 vcc_lo, 0, v18
	v_not_b32_e32 v18, v21
	v_dual_lshlrev_b32 v25, 26, v20 :: v_dual_lshlrev_b32 v26, 25, v20
	v_cmp_gt_i32_e64 s0, 0, v21
	v_cmp_gt_i32_e64 s1, 0, v22
	v_not_b32_e32 v21, v22
	v_not_b32_e32 v22, v23
	v_dual_ashrrev_i32 v18, 31, v18 :: v_dual_lshlrev_b32 v27, 24, v20
	v_xor_b32_e32 v1, vcc_lo, v1
	v_cmp_gt_i32_e64 s2, 0, v23
	v_cmp_gt_i32_e64 s3, 0, v24
	v_not_b32_e32 v23, v24
	v_not_b32_e32 v24, v25
	v_dual_ashrrev_i32 v21, 31, v21 :: v_dual_ashrrev_i32 v22, 31, v22
	s_delay_alu instid0(VALU_DEP_3)
	v_dual_ashrrev_i32 v23, 31, v23 :: v_dual_bitop2_b32 v18, s0, v18 bitop3:0x14
	v_cmp_gt_i32_e64 s4, 0, v25
	v_cmp_gt_i32_e64 s5, 0, v26
	v_not_b32_e32 v25, v26
	v_not_b32_e32 v26, v27
	v_dual_ashrrev_i32 v24, 31, v24 :: v_dual_bitop2_b32 v21, s1, v21 bitop3:0x14
	v_xor_b32_e32 v22, s2, v22
	v_bitop3_b32 v1, v1, v18, exec_lo bitop3:0x80
	v_cmp_gt_i32_e64 s6, 0, v27
	v_dual_ashrrev_i32 v18, 31, v25 :: v_dual_ashrrev_i32 v25, 31, v26
	v_xor_b32_e32 v23, s3, v23
	v_xor_b32_e32 v24, s4, v24
	v_bitop3_b32 v1, v1, v22, v21 bitop3:0x80
	s_delay_alu instid0(VALU_DEP_4) | instskip(SKIP_2) | instid1(VALU_DEP_3)
	v_dual_lshrrev_b32 v0, 5, v0 :: v_dual_bitop2_b32 v21, s5, v18 bitop3:0x14
	v_xor_b32_e32 v22, s6, v25
	s_not_b32 s6, s8
	v_bitop3_b32 v1, v1, v24, v23 bitop3:0x80
	s_delay_alu instid0(VALU_DEP_3)
	v_lshlrev_b32_e32 v18, 2, v0
	v_mul_u32_u24_e32 v24, 36, v32
	ds_store_2addr_b32 v24, v19, v19 offset0:16 offset1:17
	ds_store_2addr_b32 v24, v19, v19 offset0:18 offset1:19
	;; [unrolled: 1-line block ×4, first 2 shown]
	v_bitop3_b32 v0, v1, v22, v21 bitop3:0x80
	v_mad_u32 v25, 0x44, v20, v18
	ds_store_b32 v24, v19 offset:96
	s_wait_storecnt 0x0
	s_wait_loadcnt_dscnt 0x0
	s_barrier_signal -1
	v_mbcnt_lo_u32_b32 v30, v0, 0
	v_cmp_ne_u32_e64 s0, 0, v0
	s_barrier_wait -1
	s_delay_alu instid0(VALU_DEP_2) | instskip(SKIP_1) | instid1(SALU_CYCLE_1)
	v_cmp_eq_u32_e32 vcc_lo, 0, v30
	; wave barrier
	s_and_b32 s1, s0, vcc_lo
	s_and_saveexec_b32 s0, s1
; %bb.68:
	v_bcnt_u32_b32 v0, v0, 0
	ds_store_b32 v25, v0 offset:64
; %bb.69:
	s_or_b32 exec_lo, exec_lo, s0
	v_not_b32_e32 v1, v17
	v_not_b32_e32 v0, v16
	; wave barrier
	s_delay_alu instid0(VALU_DEP_1) | instskip(NEXT) | instid1(VALU_DEP_1)
	v_lshrrev_b64 v[16:17], s20, v[0:1]
	v_and_b32_e32 v17, s6, v16
	v_bitop3_b32 v16, v16, 1, s6 bitop3:0x80
	s_delay_alu instid0(VALU_DEP_2) | instskip(NEXT) | instid1(VALU_DEP_2)
	v_lshlrev_b32_e32 v20, 30, v17
	v_add_co_u32 v16, s0, v16, -1
	s_delay_alu instid0(VALU_DEP_1) | instskip(NEXT) | instid1(VALU_DEP_1)
	v_cndmask_b32_e64 v19, 0, 1, s0
	v_cmp_ne_u32_e32 vcc_lo, 0, v19
	s_delay_alu instid0(VALU_DEP_4) | instskip(NEXT) | instid1(VALU_DEP_1)
	v_not_b32_e32 v19, v20
	v_dual_ashrrev_i32 v19, 31, v19 :: v_dual_bitop2_b32 v16, vcc_lo, v16 bitop3:0x14
	v_dual_lshlrev_b32 v21, 29, v17 :: v_dual_lshlrev_b32 v22, 28, v17
	v_dual_lshlrev_b32 v23, 27, v17 :: v_dual_lshlrev_b32 v27, 26, v17
	v_lshlrev_b32_e32 v28, 25, v17
	v_cmp_gt_i32_e64 s0, 0, v20
	s_delay_alu instid0(VALU_DEP_4)
	v_cmp_gt_i32_e64 s1, 0, v21
	v_not_b32_e32 v20, v21
	v_not_b32_e32 v21, v22
	v_mad_u32 v26, 0x44, v17, v18
	v_lshlrev_b32_e32 v17, 24, v17
	v_cmp_gt_i32_e64 s2, 0, v22
	v_cmp_gt_i32_e64 s3, 0, v23
	v_not_b32_e32 v22, v23
	v_not_b32_e32 v23, v27
	v_dual_ashrrev_i32 v20, 31, v20 :: v_dual_ashrrev_i32 v21, 31, v21
	s_delay_alu instid0(VALU_DEP_3) | instskip(SKIP_1) | instid1(VALU_DEP_3)
	v_dual_ashrrev_i32 v22, 31, v22 :: v_dual_bitop2_b32 v19, s0, v19 bitop3:0x14
	v_cmp_gt_i32_e64 s4, 0, v27
	v_dual_ashrrev_i32 v23, 31, v23 :: v_dual_bitop2_b32 v20, s1, v20 bitop3:0x14
	s_delay_alu instid0(VALU_DEP_3)
	v_bitop3_b32 v16, v16, v19, exec_lo bitop3:0x80
	v_not_b32_e32 v19, v28
	v_xor_b32_e32 v21, s2, v21
	v_not_b32_e32 v27, v17
	v_cmp_gt_i32_e64 s5, 0, v28
	v_xor_b32_e32 v22, s3, v22
	v_xor_b32_e32 v23, s4, v23
	v_ashrrev_i32_e32 v19, 31, v19
	v_bitop3_b32 v16, v16, v21, v20 bitop3:0x80
	v_cmp_gt_i32_e32 vcc_lo, 0, v17
	v_ashrrev_i32_e32 v17, 31, v27
	ds_load_b32 v31, v26 offset:64
	v_xor_b32_e32 v19, s5, v19
	v_bitop3_b32 v16, v16, v23, v22 bitop3:0x80
	v_xor_b32_e32 v17, vcc_lo, v17
	; wave barrier
	s_delay_alu instid0(VALU_DEP_1) | instskip(NEXT) | instid1(VALU_DEP_1)
	v_bitop3_b32 v16, v16, v17, v19 bitop3:0x80
	v_mbcnt_lo_u32_b32 v34, v16, 0
	v_cmp_ne_u32_e64 s0, 0, v16
	s_delay_alu instid0(VALU_DEP_2) | instskip(SKIP_1) | instid1(SALU_CYCLE_1)
	v_cmp_eq_u32_e32 vcc_lo, 0, v34
	s_and_b32 s1, s0, vcc_lo
	s_and_saveexec_b32 s0, s1
	s_cbranch_execz .LBB2907_71
; %bb.70:
	s_wait_dscnt 0x0
	v_bcnt_u32_b32 v16, v16, v31
	ds_store_b32 v26, v16 offset:64
.LBB2907_71:
	s_or_b32 exec_lo, exec_lo, s0
	v_not_b32_e32 v5, v5
	v_not_b32_e32 v4, v4
	; wave barrier
	s_delay_alu instid0(VALU_DEP_1) | instskip(NEXT) | instid1(VALU_DEP_1)
	v_lshrrev_b64 v[16:17], s20, v[4:5]
	v_and_b32_e32 v17, s6, v16
	v_bitop3_b32 v16, v16, 1, s6 bitop3:0x80
	s_delay_alu instid0(VALU_DEP_2) | instskip(NEXT) | instid1(VALU_DEP_2)
	v_lshlrev_b32_e32 v20, 30, v17
	v_add_co_u32 v16, s0, v16, -1
	s_delay_alu instid0(VALU_DEP_1) | instskip(NEXT) | instid1(VALU_DEP_1)
	v_cndmask_b32_e64 v19, 0, 1, s0
	v_cmp_ne_u32_e32 vcc_lo, 0, v19
	s_delay_alu instid0(VALU_DEP_4) | instskip(NEXT) | instid1(VALU_DEP_1)
	v_not_b32_e32 v19, v20
	v_dual_ashrrev_i32 v19, 31, v19 :: v_dual_bitop2_b32 v16, vcc_lo, v16 bitop3:0x14
	v_dual_lshlrev_b32 v21, 29, v17 :: v_dual_lshlrev_b32 v22, 28, v17
	v_dual_lshlrev_b32 v23, 27, v17 :: v_dual_lshlrev_b32 v28, 26, v17
	v_lshlrev_b32_e32 v29, 25, v17
	v_cmp_gt_i32_e64 s0, 0, v20
	s_delay_alu instid0(VALU_DEP_4)
	v_cmp_gt_i32_e64 s1, 0, v21
	v_not_b32_e32 v20, v21
	v_not_b32_e32 v21, v22
	v_mad_u32 v27, 0x44, v17, v18
	v_lshlrev_b32_e32 v17, 24, v17
	v_cmp_gt_i32_e64 s2, 0, v22
	v_cmp_gt_i32_e64 s3, 0, v23
	v_not_b32_e32 v22, v23
	v_not_b32_e32 v23, v28
	v_dual_ashrrev_i32 v20, 31, v20 :: v_dual_ashrrev_i32 v21, 31, v21
	s_delay_alu instid0(VALU_DEP_3) | instskip(SKIP_1) | instid1(VALU_DEP_3)
	v_dual_ashrrev_i32 v22, 31, v22 :: v_dual_bitop2_b32 v19, s0, v19 bitop3:0x14
	v_cmp_gt_i32_e64 s4, 0, v28
	v_dual_ashrrev_i32 v23, 31, v23 :: v_dual_bitop2_b32 v20, s1, v20 bitop3:0x14
	s_delay_alu instid0(VALU_DEP_3)
	v_bitop3_b32 v16, v16, v19, exec_lo bitop3:0x80
	v_not_b32_e32 v19, v29
	v_xor_b32_e32 v21, s2, v21
	v_not_b32_e32 v28, v17
	v_cmp_gt_i32_e64 s5, 0, v29
	v_xor_b32_e32 v22, s3, v22
	v_xor_b32_e32 v23, s4, v23
	v_ashrrev_i32_e32 v19, 31, v19
	v_bitop3_b32 v16, v16, v21, v20 bitop3:0x80
	v_cmp_gt_i32_e32 vcc_lo, 0, v17
	v_ashrrev_i32_e32 v17, 31, v28
	ds_load_b32 v35, v27 offset:64
	v_xor_b32_e32 v19, s5, v19
	v_bitop3_b32 v16, v16, v23, v22 bitop3:0x80
	v_xor_b32_e32 v17, vcc_lo, v17
	; wave barrier
	s_delay_alu instid0(VALU_DEP_1) | instskip(NEXT) | instid1(VALU_DEP_1)
	v_bitop3_b32 v16, v16, v17, v19 bitop3:0x80
	v_mbcnt_lo_u32_b32 v36, v16, 0
	v_cmp_ne_u32_e64 s0, 0, v16
	s_delay_alu instid0(VALU_DEP_2) | instskip(SKIP_1) | instid1(SALU_CYCLE_1)
	v_cmp_eq_u32_e32 vcc_lo, 0, v36
	s_and_b32 s1, s0, vcc_lo
	s_and_saveexec_b32 s0, s1
	s_cbranch_execz .LBB2907_73
; %bb.72:
	s_wait_dscnt 0x0
	v_bcnt_u32_b32 v16, v16, v35
	ds_store_b32 v27, v16 offset:64
.LBB2907_73:
	s_or_b32 exec_lo, exec_lo, s0
	v_not_b32_e32 v7, v7
	v_not_b32_e32 v6, v6
	; wave barrier
	s_delay_alu instid0(VALU_DEP_1) | instskip(NEXT) | instid1(VALU_DEP_1)
	v_lshrrev_b64 v[16:17], s20, v[6:7]
	v_and_b32_e32 v17, s6, v16
	v_bitop3_b32 v16, v16, 1, s6 bitop3:0x80
	s_delay_alu instid0(VALU_DEP_2) | instskip(NEXT) | instid1(VALU_DEP_2)
	v_lshlrev_b32_e32 v20, 30, v17
	v_add_co_u32 v16, s0, v16, -1
	s_delay_alu instid0(VALU_DEP_1) | instskip(NEXT) | instid1(VALU_DEP_1)
	v_cndmask_b32_e64 v19, 0, 1, s0
	v_cmp_ne_u32_e32 vcc_lo, 0, v19
	s_delay_alu instid0(VALU_DEP_4) | instskip(NEXT) | instid1(VALU_DEP_1)
	v_not_b32_e32 v19, v20
	v_dual_ashrrev_i32 v19, 31, v19 :: v_dual_bitop2_b32 v16, vcc_lo, v16 bitop3:0x14
	v_dual_lshlrev_b32 v21, 29, v17 :: v_dual_lshlrev_b32 v22, 28, v17
	v_dual_lshlrev_b32 v23, 27, v17 :: v_dual_lshlrev_b32 v29, 26, v17
	v_lshlrev_b32_e32 v37, 25, v17
	v_cmp_gt_i32_e64 s0, 0, v20
	s_delay_alu instid0(VALU_DEP_4)
	v_cmp_gt_i32_e64 s1, 0, v21
	v_not_b32_e32 v20, v21
	v_not_b32_e32 v21, v22
	v_mad_u32 v28, 0x44, v17, v18
	v_lshlrev_b32_e32 v17, 24, v17
	v_cmp_gt_i32_e64 s2, 0, v22
	v_cmp_gt_i32_e64 s3, 0, v23
	v_not_b32_e32 v22, v23
	v_not_b32_e32 v23, v29
	v_dual_ashrrev_i32 v20, 31, v20 :: v_dual_ashrrev_i32 v21, 31, v21
	s_delay_alu instid0(VALU_DEP_3) | instskip(SKIP_1) | instid1(VALU_DEP_3)
	v_dual_ashrrev_i32 v22, 31, v22 :: v_dual_bitop2_b32 v19, s0, v19 bitop3:0x14
	v_cmp_gt_i32_e64 s4, 0, v29
	v_dual_ashrrev_i32 v23, 31, v23 :: v_dual_bitop2_b32 v20, s1, v20 bitop3:0x14
	s_delay_alu instid0(VALU_DEP_3)
	v_bitop3_b32 v16, v16, v19, exec_lo bitop3:0x80
	v_not_b32_e32 v19, v37
	v_xor_b32_e32 v21, s2, v21
	v_not_b32_e32 v29, v17
	v_cmp_gt_i32_e64 s5, 0, v37
	v_xor_b32_e32 v22, s3, v22
	v_xor_b32_e32 v23, s4, v23
	v_ashrrev_i32_e32 v19, 31, v19
	v_bitop3_b32 v16, v16, v21, v20 bitop3:0x80
	v_cmp_gt_i32_e32 vcc_lo, 0, v17
	v_ashrrev_i32_e32 v17, 31, v29
	ds_load_b32 v37, v28 offset:64
	v_xor_b32_e32 v19, s5, v19
	v_bitop3_b32 v16, v16, v23, v22 bitop3:0x80
	v_xor_b32_e32 v17, vcc_lo, v17
	; wave barrier
	s_delay_alu instid0(VALU_DEP_1) | instskip(NEXT) | instid1(VALU_DEP_1)
	v_bitop3_b32 v16, v16, v17, v19 bitop3:0x80
	v_mbcnt_lo_u32_b32 v38, v16, 0
	v_cmp_ne_u32_e64 s0, 0, v16
	s_delay_alu instid0(VALU_DEP_2) | instskip(SKIP_1) | instid1(SALU_CYCLE_1)
	v_cmp_eq_u32_e32 vcc_lo, 0, v38
	s_and_b32 s1, s0, vcc_lo
	s_and_saveexec_b32 s0, s1
	s_cbranch_execz .LBB2907_75
; %bb.74:
	s_wait_dscnt 0x0
	v_bcnt_u32_b32 v16, v16, v37
	ds_store_b32 v28, v16 offset:64
.LBB2907_75:
	s_or_b32 exec_lo, exec_lo, s0
	v_not_b32_e32 v9, v9
	v_not_b32_e32 v8, v8
	; wave barrier
	s_delay_alu instid0(VALU_DEP_1) | instskip(NEXT) | instid1(VALU_DEP_1)
	v_lshrrev_b64 v[16:17], s20, v[8:9]
	v_and_b32_e32 v17, s6, v16
	v_bitop3_b32 v16, v16, 1, s6 bitop3:0x80
	s_delay_alu instid0(VALU_DEP_2) | instskip(NEXT) | instid1(VALU_DEP_2)
	v_lshlrev_b32_e32 v20, 30, v17
	v_add_co_u32 v16, s0, v16, -1
	s_delay_alu instid0(VALU_DEP_1) | instskip(NEXT) | instid1(VALU_DEP_1)
	v_cndmask_b32_e64 v19, 0, 1, s0
	v_cmp_ne_u32_e32 vcc_lo, 0, v19
	s_delay_alu instid0(VALU_DEP_4) | instskip(NEXT) | instid1(VALU_DEP_1)
	v_not_b32_e32 v19, v20
	v_dual_ashrrev_i32 v19, 31, v19 :: v_dual_bitop2_b32 v16, vcc_lo, v16 bitop3:0x14
	v_dual_lshlrev_b32 v21, 29, v17 :: v_dual_lshlrev_b32 v22, 28, v17
	v_dual_lshlrev_b32 v23, 27, v17 :: v_dual_lshlrev_b32 v39, 26, v17
	v_lshlrev_b32_e32 v40, 25, v17
	v_cmp_gt_i32_e64 s0, 0, v20
	s_delay_alu instid0(VALU_DEP_4)
	v_cmp_gt_i32_e64 s1, 0, v21
	v_not_b32_e32 v20, v21
	v_not_b32_e32 v21, v22
	v_mad_u32 v29, 0x44, v17, v18
	v_lshlrev_b32_e32 v17, 24, v17
	v_cmp_gt_i32_e64 s2, 0, v22
	v_cmp_gt_i32_e64 s3, 0, v23
	v_not_b32_e32 v22, v23
	v_not_b32_e32 v23, v39
	v_dual_ashrrev_i32 v20, 31, v20 :: v_dual_ashrrev_i32 v21, 31, v21
	s_delay_alu instid0(VALU_DEP_3) | instskip(SKIP_1) | instid1(VALU_DEP_3)
	v_dual_ashrrev_i32 v22, 31, v22 :: v_dual_bitop2_b32 v19, s0, v19 bitop3:0x14
	v_cmp_gt_i32_e64 s4, 0, v39
	v_dual_ashrrev_i32 v23, 31, v23 :: v_dual_bitop2_b32 v20, s1, v20 bitop3:0x14
	s_delay_alu instid0(VALU_DEP_3)
	v_bitop3_b32 v16, v16, v19, exec_lo bitop3:0x80
	v_not_b32_e32 v19, v40
	v_xor_b32_e32 v21, s2, v21
	v_not_b32_e32 v39, v17
	v_cmp_gt_i32_e64 s5, 0, v40
	v_xor_b32_e32 v22, s3, v22
	v_xor_b32_e32 v23, s4, v23
	v_ashrrev_i32_e32 v19, 31, v19
	v_bitop3_b32 v16, v16, v21, v20 bitop3:0x80
	v_cmp_gt_i32_e32 vcc_lo, 0, v17
	v_ashrrev_i32_e32 v17, 31, v39
	ds_load_b32 v39, v29 offset:64
	v_xor_b32_e32 v19, s5, v19
	v_bitop3_b32 v16, v16, v23, v22 bitop3:0x80
	v_xor_b32_e32 v17, vcc_lo, v17
	; wave barrier
	s_delay_alu instid0(VALU_DEP_1) | instskip(NEXT) | instid1(VALU_DEP_1)
	v_bitop3_b32 v16, v16, v17, v19 bitop3:0x80
	v_mbcnt_lo_u32_b32 v40, v16, 0
	v_cmp_ne_u32_e64 s0, 0, v16
	s_delay_alu instid0(VALU_DEP_2) | instskip(SKIP_1) | instid1(SALU_CYCLE_1)
	v_cmp_eq_u32_e32 vcc_lo, 0, v40
	s_and_b32 s1, s0, vcc_lo
	s_and_saveexec_b32 s0, s1
	s_cbranch_execz .LBB2907_77
; %bb.76:
	s_wait_dscnt 0x0
	v_bcnt_u32_b32 v16, v16, v39
	ds_store_b32 v29, v16 offset:64
.LBB2907_77:
	s_or_b32 exec_lo, exec_lo, s0
	v_not_b32_e32 v13, v13
	v_not_b32_e32 v12, v12
	; wave barrier
	s_delay_alu instid0(VALU_DEP_1) | instskip(NEXT) | instid1(VALU_DEP_1)
	v_lshrrev_b64 v[16:17], s20, v[12:13]
	v_and_b32_e32 v17, s6, v16
	v_bitop3_b32 v16, v16, 1, s6 bitop3:0x80
	s_delay_alu instid0(VALU_DEP_2) | instskip(NEXT) | instid1(VALU_DEP_2)
	v_lshlrev_b32_e32 v20, 30, v17
	v_add_co_u32 v16, s0, v16, -1
	s_delay_alu instid0(VALU_DEP_1) | instskip(NEXT) | instid1(VALU_DEP_1)
	v_cndmask_b32_e64 v19, 0, 1, s0
	v_cmp_ne_u32_e32 vcc_lo, 0, v19
	s_delay_alu instid0(VALU_DEP_4) | instskip(NEXT) | instid1(VALU_DEP_1)
	v_not_b32_e32 v19, v20
	v_dual_ashrrev_i32 v19, 31, v19 :: v_dual_bitop2_b32 v16, vcc_lo, v16 bitop3:0x14
	v_dual_lshlrev_b32 v21, 29, v17 :: v_dual_lshlrev_b32 v22, 28, v17
	v_dual_lshlrev_b32 v23, 27, v17 :: v_dual_lshlrev_b32 v41, 26, v17
	v_lshlrev_b32_e32 v42, 25, v17
	v_cmp_gt_i32_e64 s0, 0, v20
	s_delay_alu instid0(VALU_DEP_4)
	v_cmp_gt_i32_e64 s1, 0, v21
	v_not_b32_e32 v20, v21
	v_not_b32_e32 v21, v22
	v_mad_u32 v43, 0x44, v17, v18
	v_lshlrev_b32_e32 v17, 24, v17
	v_cmp_gt_i32_e64 s2, 0, v22
	v_cmp_gt_i32_e64 s3, 0, v23
	v_not_b32_e32 v22, v23
	v_not_b32_e32 v23, v41
	v_dual_ashrrev_i32 v20, 31, v20 :: v_dual_ashrrev_i32 v21, 31, v21
	s_delay_alu instid0(VALU_DEP_3) | instskip(SKIP_1) | instid1(VALU_DEP_3)
	v_dual_ashrrev_i32 v22, 31, v22 :: v_dual_bitop2_b32 v19, s0, v19 bitop3:0x14
	v_cmp_gt_i32_e64 s4, 0, v41
	v_dual_ashrrev_i32 v23, 31, v23 :: v_dual_bitop2_b32 v20, s1, v20 bitop3:0x14
	s_delay_alu instid0(VALU_DEP_3)
	v_bitop3_b32 v16, v16, v19, exec_lo bitop3:0x80
	v_not_b32_e32 v19, v42
	v_xor_b32_e32 v21, s2, v21
	v_not_b32_e32 v41, v17
	v_cmp_gt_i32_e64 s5, 0, v42
	v_xor_b32_e32 v22, s3, v22
	v_xor_b32_e32 v23, s4, v23
	v_ashrrev_i32_e32 v19, 31, v19
	v_bitop3_b32 v16, v16, v21, v20 bitop3:0x80
	v_cmp_gt_i32_e32 vcc_lo, 0, v17
	v_ashrrev_i32_e32 v17, 31, v41
	ds_load_b32 v41, v43 offset:64
	v_xor_b32_e32 v19, s5, v19
	v_bitop3_b32 v16, v16, v23, v22 bitop3:0x80
	v_xor_b32_e32 v17, vcc_lo, v17
	; wave barrier
	s_delay_alu instid0(VALU_DEP_1) | instskip(NEXT) | instid1(VALU_DEP_1)
	v_bitop3_b32 v16, v16, v17, v19 bitop3:0x80
	v_mbcnt_lo_u32_b32 v42, v16, 0
	v_cmp_ne_u32_e64 s0, 0, v16
	s_delay_alu instid0(VALU_DEP_2) | instskip(SKIP_1) | instid1(SALU_CYCLE_1)
	v_cmp_eq_u32_e32 vcc_lo, 0, v42
	s_and_b32 s1, s0, vcc_lo
	s_and_saveexec_b32 s0, s1
	s_cbranch_execz .LBB2907_79
; %bb.78:
	s_wait_dscnt 0x0
	v_bcnt_u32_b32 v16, v16, v41
	ds_store_b32 v43, v16 offset:64
.LBB2907_79:
	s_or_b32 exec_lo, exec_lo, s0
	v_not_b32_e32 v15, v15
	v_not_b32_e32 v14, v14
	; wave barrier
	s_delay_alu instid0(VALU_DEP_1) | instskip(NEXT) | instid1(VALU_DEP_1)
	v_lshrrev_b64 v[16:17], s20, v[14:15]
	v_and_b32_e32 v17, s6, v16
	v_bitop3_b32 v16, v16, 1, s6 bitop3:0x80
	s_delay_alu instid0(VALU_DEP_2) | instskip(NEXT) | instid1(VALU_DEP_2)
	v_lshlrev_b32_e32 v20, 30, v17
	v_add_co_u32 v16, s0, v16, -1
	s_delay_alu instid0(VALU_DEP_1) | instskip(NEXT) | instid1(VALU_DEP_1)
	v_cndmask_b32_e64 v19, 0, 1, s0
	v_cmp_ne_u32_e32 vcc_lo, 0, v19
	s_delay_alu instid0(VALU_DEP_4) | instskip(NEXT) | instid1(VALU_DEP_1)
	v_not_b32_e32 v19, v20
	v_dual_ashrrev_i32 v19, 31, v19 :: v_dual_bitop2_b32 v16, vcc_lo, v16 bitop3:0x14
	v_dual_lshlrev_b32 v21, 29, v17 :: v_dual_lshlrev_b32 v22, 28, v17
	v_dual_lshlrev_b32 v23, 27, v17 :: v_dual_lshlrev_b32 v44, 26, v17
	v_lshlrev_b32_e32 v45, 25, v17
	v_cmp_gt_i32_e64 s0, 0, v20
	s_delay_alu instid0(VALU_DEP_4)
	v_cmp_gt_i32_e64 s1, 0, v21
	v_not_b32_e32 v20, v21
	v_not_b32_e32 v21, v22
	v_mad_u32 v46, 0x44, v17, v18
	v_lshlrev_b32_e32 v17, 24, v17
	v_cmp_gt_i32_e64 s2, 0, v22
	v_cmp_gt_i32_e64 s3, 0, v23
	v_not_b32_e32 v22, v23
	v_not_b32_e32 v23, v44
	v_dual_ashrrev_i32 v20, 31, v20 :: v_dual_ashrrev_i32 v21, 31, v21
	s_delay_alu instid0(VALU_DEP_3) | instskip(SKIP_1) | instid1(VALU_DEP_3)
	v_dual_ashrrev_i32 v22, 31, v22 :: v_dual_bitop2_b32 v19, s0, v19 bitop3:0x14
	v_cmp_gt_i32_e64 s4, 0, v44
	v_dual_ashrrev_i32 v23, 31, v23 :: v_dual_bitop2_b32 v20, s1, v20 bitop3:0x14
	s_delay_alu instid0(VALU_DEP_3)
	v_bitop3_b32 v16, v16, v19, exec_lo bitop3:0x80
	v_not_b32_e32 v19, v45
	v_xor_b32_e32 v21, s2, v21
	v_not_b32_e32 v44, v17
	v_cmp_gt_i32_e64 s5, 0, v45
	v_xor_b32_e32 v22, s3, v22
	v_xor_b32_e32 v23, s4, v23
	v_ashrrev_i32_e32 v19, 31, v19
	v_bitop3_b32 v16, v16, v21, v20 bitop3:0x80
	v_cmp_gt_i32_e32 vcc_lo, 0, v17
	v_ashrrev_i32_e32 v17, 31, v44
	ds_load_b32 v44, v46 offset:64
	v_xor_b32_e32 v19, s5, v19
	v_bitop3_b32 v16, v16, v23, v22 bitop3:0x80
	v_xor_b32_e32 v17, vcc_lo, v17
	; wave barrier
	s_delay_alu instid0(VALU_DEP_1) | instskip(NEXT) | instid1(VALU_DEP_1)
	v_bitop3_b32 v16, v16, v17, v19 bitop3:0x80
	v_mbcnt_lo_u32_b32 v45, v16, 0
	v_cmp_ne_u32_e64 s0, 0, v16
	s_delay_alu instid0(VALU_DEP_2) | instskip(SKIP_1) | instid1(SALU_CYCLE_1)
	v_cmp_eq_u32_e32 vcc_lo, 0, v45
	s_and_b32 s1, s0, vcc_lo
	s_and_saveexec_b32 s0, s1
	s_cbranch_execz .LBB2907_81
; %bb.80:
	s_wait_dscnt 0x0
	v_bcnt_u32_b32 v16, v16, v44
	ds_store_b32 v46, v16 offset:64
.LBB2907_81:
	s_or_b32 exec_lo, exec_lo, s0
	v_not_b32_e32 v11, v11
	v_not_b32_e32 v10, v10
	; wave barrier
	s_delay_alu instid0(VALU_DEP_1) | instskip(NEXT) | instid1(VALU_DEP_1)
	v_lshrrev_b64 v[16:17], s20, v[10:11]
	v_and_b32_e32 v17, s6, v16
	v_bitop3_b32 v16, v16, 1, s6 bitop3:0x80
	s_delay_alu instid0(VALU_DEP_2) | instskip(NEXT) | instid1(VALU_DEP_2)
	v_mad_u32 v49, 0x44, v17, v18
	v_add_co_u32 v16, s0, v16, -1
	s_delay_alu instid0(VALU_DEP_1) | instskip(SKIP_1) | instid1(VALU_DEP_2)
	v_cndmask_b32_e64 v18, 0, 1, s0
	v_lshlrev_b32_e32 v19, 30, v17
	v_cmp_ne_u32_e32 vcc_lo, 0, v18
	s_delay_alu instid0(VALU_DEP_2) | instskip(NEXT) | instid1(VALU_DEP_1)
	v_not_b32_e32 v18, v19
	v_dual_ashrrev_i32 v18, 31, v18 :: v_dual_bitop2_b32 v16, vcc_lo, v16 bitop3:0x14
	v_dual_lshlrev_b32 v20, 29, v17 :: v_dual_lshlrev_b32 v21, 28, v17
	v_dual_lshlrev_b32 v22, 27, v17 :: v_dual_lshlrev_b32 v23, 26, v17
	v_lshlrev_b32_e32 v47, 25, v17
	v_cmp_gt_i32_e64 s0, 0, v19
	s_delay_alu instid0(VALU_DEP_4)
	v_cmp_gt_i32_e64 s1, 0, v20
	v_not_b32_e32 v19, v20
	v_not_b32_e32 v20, v21
	v_lshlrev_b32_e32 v17, 24, v17
	v_cmp_gt_i32_e64 s2, 0, v21
	v_cmp_gt_i32_e64 s3, 0, v22
	v_not_b32_e32 v21, v22
	v_not_b32_e32 v22, v23
	v_dual_ashrrev_i32 v19, 31, v19 :: v_dual_ashrrev_i32 v20, 31, v20
	s_delay_alu instid0(VALU_DEP_3) | instskip(SKIP_1) | instid1(VALU_DEP_3)
	v_dual_ashrrev_i32 v21, 31, v21 :: v_dual_bitop2_b32 v18, s0, v18 bitop3:0x14
	v_cmp_gt_i32_e64 s4, 0, v23
	v_dual_ashrrev_i32 v22, 31, v22 :: v_dual_bitop2_b32 v19, s1, v19 bitop3:0x14
	s_delay_alu instid0(VALU_DEP_3)
	v_bitop3_b32 v16, v16, v18, exec_lo bitop3:0x80
	v_not_b32_e32 v18, v47
	v_xor_b32_e32 v20, s2, v20
	v_not_b32_e32 v23, v17
	v_cmp_gt_i32_e64 s5, 0, v47
	v_xor_b32_e32 v21, s3, v21
	v_xor_b32_e32 v22, s4, v22
	v_ashrrev_i32_e32 v18, 31, v18
	v_bitop3_b32 v16, v16, v20, v19 bitop3:0x80
	v_cmp_gt_i32_e32 vcc_lo, 0, v17
	v_ashrrev_i32_e32 v17, 31, v23
	ds_load_b32 v47, v49 offset:64
	v_xor_b32_e32 v18, s5, v18
	v_bitop3_b32 v16, v16, v22, v21 bitop3:0x80
	v_xor_b32_e32 v17, vcc_lo, v17
	; wave barrier
	s_delay_alu instid0(VALU_DEP_1) | instskip(NEXT) | instid1(VALU_DEP_1)
	v_bitop3_b32 v16, v16, v17, v18 bitop3:0x80
	v_mbcnt_lo_u32_b32 v48, v16, 0
	v_cmp_ne_u32_e64 s0, 0, v16
	s_delay_alu instid0(VALU_DEP_2) | instskip(SKIP_1) | instid1(SALU_CYCLE_1)
	v_cmp_eq_u32_e32 vcc_lo, 0, v48
	s_and_b32 s1, s0, vcc_lo
	s_and_saveexec_b32 s0, s1
	s_cbranch_execz .LBB2907_83
; %bb.82:
	s_wait_dscnt 0x0
	v_bcnt_u32_b32 v16, v16, v47
	ds_store_b32 v49, v16 offset:64
.LBB2907_83:
	s_or_b32 exec_lo, exec_lo, s0
	; wave barrier
	s_wait_dscnt 0x0
	s_barrier_signal -1
	s_barrier_wait -1
	ds_load_2addr_b32 v[22:23], v24 offset0:16 offset1:17
	ds_load_2addr_b32 v[20:21], v24 offset0:18 offset1:19
	;; [unrolled: 1-line block ×4, first 2 shown]
	ds_load_b32 v50, v24 offset:96
	v_bfe_i32 v53, v33, 4, 1
	s_mov_b32 s4, exec_lo
	s_wait_dscnt 0x3
	v_add3_u32 v51, v23, v22, v20
	s_wait_dscnt 0x2
	s_delay_alu instid0(VALU_DEP_1) | instskip(SKIP_1) | instid1(VALU_DEP_1)
	v_add3_u32 v51, v51, v21, v18
	s_wait_dscnt 0x1
	v_add3_u32 v51, v51, v19, v16
	s_wait_dscnt 0x0
	s_delay_alu instid0(VALU_DEP_1) | instskip(SKIP_1) | instid1(VALU_DEP_2)
	v_add3_u32 v50, v51, v17, v50
	v_and_b32_e32 v51, 15, v33
	v_mov_b32_dpp v52, v50 row_shr:1 row_mask:0xf bank_mask:0xf
	s_delay_alu instid0(VALU_DEP_2) | instskip(NEXT) | instid1(VALU_DEP_2)
	v_cmp_eq_u32_e32 vcc_lo, 0, v51
	v_cndmask_b32_e64 v52, v52, 0, vcc_lo
	s_delay_alu instid0(VALU_DEP_1) | instskip(SKIP_3) | instid1(VALU_DEP_4)
	v_add_nc_u32_e32 v50, v52, v50
	v_cmp_lt_u32_e64 s0, 1, v51
	v_cmp_lt_u32_e64 s1, 3, v51
	;; [unrolled: 1-line block ×3, first 2 shown]
	v_mov_b32_dpp v52, v50 row_shr:2 row_mask:0xf bank_mask:0xf
	s_delay_alu instid0(VALU_DEP_1) | instskip(NEXT) | instid1(VALU_DEP_1)
	v_cndmask_b32_e64 v52, 0, v52, s0
	v_add_nc_u32_e32 v50, v50, v52
	s_delay_alu instid0(VALU_DEP_1) | instskip(NEXT) | instid1(VALU_DEP_1)
	v_mov_b32_dpp v52, v50 row_shr:4 row_mask:0xf bank_mask:0xf
	v_cndmask_b32_e64 v52, 0, v52, s1
	s_delay_alu instid0(VALU_DEP_1) | instskip(NEXT) | instid1(VALU_DEP_1)
	v_add_nc_u32_e32 v50, v50, v52
	v_mov_b32_dpp v52, v50 row_shr:8 row_mask:0xf bank_mask:0xf
	s_delay_alu instid0(VALU_DEP_1) | instskip(SKIP_1) | instid1(VALU_DEP_2)
	v_cndmask_b32_e64 v51, 0, v52, s2
	v_and_b32_e32 v52, 0x3e0, v32
	v_add_nc_u32_e32 v50, v50, v51
	s_delay_alu instid0(VALU_DEP_2) | instskip(SKIP_3) | instid1(VALU_DEP_1)
	v_min_u32_e32 v52, 0x1e0, v52
	ds_swizzle_b32 v51, v50 offset:swizzle(BROADCAST,32,15)
	s_wait_dscnt 0x0
	v_dual_lshrrev_b32 v51, 5, v32 :: v_dual_bitop2_b32 v53, v53, v51 bitop3:0x40
	v_dual_add_nc_u32 v50, v50, v53 :: v_dual_bitop2_b32 v52, 31, v52 bitop3:0x54
	s_delay_alu instid0(VALU_DEP_1)
	v_cmpx_eq_u32_e64 v32, v52
; %bb.84:
	s_delay_alu instid0(VALU_DEP_3)
	v_lshlrev_b32_e32 v52, 2, v51
	ds_store_b32 v52, v50
; %bb.85:
	s_or_b32 exec_lo, exec_lo, s4
	s_delay_alu instid0(SALU_CYCLE_1)
	s_mov_b32 s4, exec_lo
	s_wait_dscnt 0x0
	s_barrier_signal -1
	s_barrier_wait -1
	v_cmpx_gt_u32_e32 16, v32
	s_cbranch_execz .LBB2907_87
; %bb.86:
	v_lshlrev_b32_e32 v52, 2, v32
	ds_load_b32 v53, v52
	s_wait_dscnt 0x0
	v_mov_b32_dpp v54, v53 row_shr:1 row_mask:0xf bank_mask:0xf
	s_delay_alu instid0(VALU_DEP_1) | instskip(NEXT) | instid1(VALU_DEP_1)
	v_cndmask_b32_e64 v54, v54, 0, vcc_lo
	v_add_nc_u32_e32 v53, v54, v53
	s_delay_alu instid0(VALU_DEP_1) | instskip(NEXT) | instid1(VALU_DEP_1)
	v_mov_b32_dpp v54, v53 row_shr:2 row_mask:0xf bank_mask:0xf
	v_cndmask_b32_e64 v54, 0, v54, s0
	s_delay_alu instid0(VALU_DEP_1) | instskip(NEXT) | instid1(VALU_DEP_1)
	v_add_nc_u32_e32 v53, v53, v54
	v_mov_b32_dpp v54, v53 row_shr:4 row_mask:0xf bank_mask:0xf
	s_delay_alu instid0(VALU_DEP_1) | instskip(NEXT) | instid1(VALU_DEP_1)
	v_cndmask_b32_e64 v54, 0, v54, s1
	v_add_nc_u32_e32 v53, v53, v54
	s_delay_alu instid0(VALU_DEP_1) | instskip(NEXT) | instid1(VALU_DEP_1)
	v_mov_b32_dpp v54, v53 row_shr:8 row_mask:0xf bank_mask:0xf
	v_cndmask_b32_e64 v54, 0, v54, s2
	s_delay_alu instid0(VALU_DEP_1)
	v_add_nc_u32_e32 v53, v53, v54
	ds_store_b32 v52, v53
.LBB2907_87:
	s_or_b32 exec_lo, exec_lo, s4
	v_mov_b32_e32 v52, 0
	s_mov_b32 s0, exec_lo
	s_wait_dscnt 0x0
	s_barrier_signal -1
	s_barrier_wait -1
	v_cmpx_lt_u32_e32 31, v32
; %bb.88:
	v_lshl_add_u32 v51, v51, 2, -4
	ds_load_b32 v52, v51
; %bb.89:
	s_or_b32 exec_lo, exec_lo, s0
	v_sub_co_u32 v51, vcc_lo, v33, 1
	s_wait_dscnt 0x0
	v_add_nc_u32_e32 v50, v52, v50
	s_delay_alu instid0(VALU_DEP_2) | instskip(NEXT) | instid1(VALU_DEP_1)
	v_cmp_gt_i32_e64 s0, 0, v51
	v_cndmask_b32_e64 v33, v51, v33, s0
	v_cmp_lt_u32_e64 s0, 0xff, v32
	s_delay_alu instid0(VALU_DEP_2) | instskip(SKIP_4) | instid1(VALU_DEP_2)
	v_lshlrev_b32_e32 v33, 2, v33
	ds_bpermute_b32 v33, v33, v50
	s_wait_dscnt 0x0
	v_cndmask_b32_e32 v33, v33, v52, vcc_lo
	v_cmp_ne_u32_e32 vcc_lo, 0, v32
	v_cndmask_b32_e32 v33, 0, v33, vcc_lo
	v_cmp_gt_u32_e32 vcc_lo, 0x100, v32
	s_delay_alu instid0(VALU_DEP_2) | instskip(NEXT) | instid1(VALU_DEP_1)
	v_add_nc_u32_e32 v22, v33, v22
	v_add_nc_u32_e32 v23, v22, v23
	s_delay_alu instid0(VALU_DEP_1) | instskip(NEXT) | instid1(VALU_DEP_1)
	v_add_nc_u32_e32 v20, v23, v20
	v_add_nc_u32_e32 v21, v20, v21
	s_delay_alu instid0(VALU_DEP_1) | instskip(NEXT) | instid1(VALU_DEP_1)
	;; [unrolled: 3-line block ×3, first 2 shown]
	v_add_nc_u32_e32 v16, v19, v16
	v_add_nc_u32_e32 v17, v16, v17
	ds_store_2addr_b32 v24, v33, v22 offset0:16 offset1:17
	ds_store_2addr_b32 v24, v23, v20 offset0:18 offset1:19
	;; [unrolled: 1-line block ×4, first 2 shown]
	ds_store_b32 v24, v17 offset:96
	s_wait_dscnt 0x0
	s_barrier_signal -1
	s_barrier_wait -1
	ds_load_b32 v21, v25 offset:64
	ds_load_b32 v19, v26 offset:64
	;; [unrolled: 1-line block ×8, first 2 shown]
	v_mov_b64_e32 v[16:17], 0
                                        ; implicit-def: $vgpr18
	s_and_saveexec_b32 s2, vcc_lo
	s_cbranch_execz .LBB2907_93
; %bb.90:
	v_mul_u32_u24_e32 v16, 0x44, v32
	v_dual_mov_b32 v17, 0x1000 :: v_dual_add_nc_u32 v18, 1, v32
	s_mov_b32 s3, exec_lo
	ds_load_b32 v16, v16 offset:64
	v_cmpx_ne_u32_e32 0x100, v18
; %bb.91:
	v_mul_u32_u24_e32 v17, 0x44, v18
	ds_load_b32 v17, v17 offset:64
; %bb.92:
	s_or_b32 exec_lo, exec_lo, s3
	s_wait_dscnt 0x0
	v_dual_mov_b32 v17, 0 :: v_dual_sub_nc_u32 v18, v17, v16
.LBB2907_93:
	s_or_b32 exec_lo, exec_lo, s2
	v_dual_mov_b32 v23, 0 :: v_dual_lshlrev_b32 v20, 3, v32
	s_wait_dscnt 0x0
	s_barrier_signal -1
	s_barrier_wait -1
	s_and_saveexec_b32 s1, vcc_lo
	s_cbranch_execz .LBB2907_103
; %bb.94:
	v_lshl_add_u32 v22, s9, 8, v32
	v_dual_mov_b32 v26, 0 :: v_dual_bitop2_b32 v27, 2.0, v18 bitop3:0x54
	s_mov_b32 s2, 0
	s_mov_b32 s3, s9
	s_delay_alu instid0(VALU_DEP_2)
	v_lshl_add_u64 v[24:25], v[22:23], 2, s[10:11]
	global_store_b32 v22, v27, s[10:11] scale_offset scope:SCOPE_DEV
                                        ; implicit-def: $sgpr4
	s_branch .LBB2907_97
.LBB2907_95:                            ;   in Loop: Header=BB2907_97 Depth=1
	s_or_b32 exec_lo, exec_lo, s5
.LBB2907_96:                            ;   in Loop: Header=BB2907_97 Depth=1
	s_delay_alu instid0(SALU_CYCLE_1) | instskip(SKIP_2) | instid1(VALU_DEP_2)
	s_or_b32 exec_lo, exec_lo, s4
	v_and_b32_e32 v22, 0x3fffffff, v27
	v_cmp_gt_i32_e64 s4, -2.0, v27
	v_add_nc_u32_e32 v26, v22, v26
	s_and_b32 s5, exec_lo, s4
	s_delay_alu instid0(SALU_CYCLE_1) | instskip(NEXT) | instid1(SALU_CYCLE_1)
	s_or_b32 s2, s5, s2
	s_and_not1_b32 exec_lo, exec_lo, s2
	s_cbranch_execz .LBB2907_102
.LBB2907_97:                            ; =>This Loop Header: Depth=1
                                        ;     Child Loop BB2907_100 Depth 2
	s_or_b32 s4, s4, exec_lo
	s_cmp_eq_u32 s3, 0
	s_cbranch_scc1 .LBB2907_101
; %bb.98:                               ;   in Loop: Header=BB2907_97 Depth=1
	s_add_co_i32 s3, s3, -1
	s_mov_b32 s4, exec_lo
	s_wait_xcnt 0x0
	v_lshl_or_b32 v22, s3, 8, v32
	global_load_b32 v27, v22, s[10:11] scale_offset scope:SCOPE_DEV
	s_wait_loadcnt 0x0
	v_cmpx_gt_u32_e32 2.0, v27
	s_cbranch_execz .LBB2907_96
; %bb.99:                               ;   in Loop: Header=BB2907_97 Depth=1
	v_lshl_add_u64 v[28:29], v[22:23], 2, s[10:11]
	s_mov_b32 s5, 0
.LBB2907_100:                           ;   Parent Loop BB2907_97 Depth=1
                                        ; =>  This Inner Loop Header: Depth=2
	global_load_b32 v27, v[28:29], off scope:SCOPE_DEV
	s_wait_loadcnt 0x0
	v_cmp_lt_u32_e32 vcc_lo, 0x3fffffff, v27
	s_or_b32 s5, vcc_lo, s5
	s_wait_xcnt 0x0
	s_and_not1_b32 exec_lo, exec_lo, s5
	s_cbranch_execnz .LBB2907_100
	s_branch .LBB2907_95
.LBB2907_101:                           ;   in Loop: Header=BB2907_97 Depth=1
                                        ; implicit-def: $sgpr3
	s_and_b32 s5, exec_lo, s4
	s_delay_alu instid0(SALU_CYCLE_1)
	s_or_b32 s2, s5, s2
	s_wait_xcnt 0x0
	s_and_not1_b32 exec_lo, exec_lo, s2
	s_cbranch_execnz .LBB2907_97
.LBB2907_102:
	s_or_b32 exec_lo, exec_lo, s2
	v_dual_mov_b32 v27, 0 :: v_dual_add_nc_u32 v22, v26, v18
	s_delay_alu instid0(VALU_DEP_1) | instskip(SKIP_4) | instid1(VALU_DEP_1)
	v_or_b32_e32 v22, 0x80000000, v22
	global_store_b32 v[24:25], v22, off scope:SCOPE_DEV
	global_load_b64 v[22:23], v32, s[12:13] scale_offset
	v_sub_nc_u64_e32 v[24:25], v[26:27], v[16:17]
	s_wait_loadcnt 0x0
	v_add_nc_u64_e32 v[22:23], v[24:25], v[22:23]
	ds_store_b64 v20, v[22:23]
.LBB2907_103:
	s_wait_xcnt 0x0
	s_or_b32 exec_lo, exec_lo, s1
	v_dual_mov_b32 v21, 0 :: v_dual_add_nc_u32 v24, v21, v30
	v_add3_u32 v25, v48, v49, v47
	v_add3_u32 v26, v45, v46, v44
	;; [unrolled: 1-line block ×4, first 2 shown]
	v_add_nc_u64_e32 v[22:23], s[18:19], v[20:21]
	v_add3_u32 v29, v38, v50, v37
	v_add3_u32 v21, v36, v33, v35
	;; [unrolled: 1-line block ×3, first 2 shown]
	s_mov_b32 s2, -1
	s_mov_b32 s1, 0
.LBB2907_104:                           ; =>This Inner Loop Header: Depth=1
	s_wait_xcnt 0x3
	v_add_min_u32_e64 v30, v24, s1, 0x800
	v_add_min_u32_e64 v31, v19, s1, 0x800
	;; [unrolled: 1-line block ×5, first 2 shown]
	s_wait_xcnt 0x2
	v_add_min_u32_e64 v36, v27, s1, 0x800
	v_add_min_u32_e64 v37, v26, s1, 0x800
	s_wait_xcnt 0x1
	v_add_min_u32_e64 v38, v25, s1, 0x800
	v_dual_lshlrev_b32 v30, 3, v30 :: v_dual_lshlrev_b32 v31, 3, v31
	v_dual_lshlrev_b32 v33, 3, v33 :: v_dual_lshlrev_b32 v34, 3, v34
	;; [unrolled: 1-line block ×3, first 2 shown]
	s_delay_alu instid0(VALU_DEP_4)
	v_dual_lshlrev_b32 v37, 3, v37 :: v_dual_lshlrev_b32 v38, 3, v38
	ds_store_b64 v30, v[2:3] offset:2048
	ds_store_b64 v31, v[0:1] offset:2048
	;; [unrolled: 1-line block ×8, first 2 shown]
	s_wait_storecnt_dscnt 0x0
	s_barrier_signal -1
	s_barrier_wait -1
	ds_load_2addr_stride64_b64 v[34:37], v20 offset0:4 offset1:12
	s_wait_xcnt 0x0
	ds_load_2addr_stride64_b64 v[38:41], v20 offset0:20 offset1:28
	s_addk_co_i32 s1, 0xf800
	s_and_b32 vcc_lo, exec_lo, s2
	s_mov_b32 s2, 0
	s_wait_dscnt 0x1
	v_lshrrev_b64 v[30:31], s20, v[34:35]
	s_wait_dscnt 0x0
	v_lshrrev_b64 v[44:45], s20, v[38:39]
	v_lshrrev_b64 v[42:43], s20, v[36:37]
	;; [unrolled: 1-line block ×3, first 2 shown]
	v_not_b32_e32 v35, v35
	v_not_b32_e32 v34, v34
	;; [unrolled: 1-line block ×4, first 2 shown]
	v_and_b32_e32 v33, s6, v44
	v_and_b32_e32 v31, s6, v42
	;; [unrolled: 1-line block ×3, first 2 shown]
	v_not_b32_e32 v39, v39
	v_not_b32_e32 v38, v38
	v_dual_lshlrev_b32 v33, 3, v33 :: v_dual_bitop2_b32 v30, s6, v30 bitop3:0x40
	s_delay_alu instid0(VALU_DEP_4) | instskip(SKIP_2) | instid1(VALU_DEP_4)
	v_dual_lshlrev_b32 v43, 3, v31 :: v_dual_lshlrev_b32 v46, 3, v42
	v_not_b32_e32 v41, v41
	v_not_b32_e32 v40, v40
	v_lshlrev_b32_e32 v30, 3, v30
	ds_load_b64 v[30:31], v30
	ds_load_b64 v[42:43], v43
	;; [unrolled: 1-line block ×4, first 2 shown]
	s_wait_dscnt 0x3
	v_lshl_add_u64 v[30:31], v[30:31], 3, v[22:23]
	s_wait_dscnt 0x2
	v_lshl_add_u64 v[42:43], v[42:43], 3, v[22:23]
	;; [unrolled: 2-line block ×4, first 2 shown]
	v_add_nc_u64_e32 v[22:23], 0x4000, v[22:23]
	s_clause 0x3
	global_store_b64 v[30:31], v[34:35], off
	global_store_b64 v[42:43], v[36:37], off offset:4096
	global_store_b64 v[44:45], v[38:39], off offset:8192
	;; [unrolled: 1-line block ×3, first 2 shown]
	s_wait_storecnt 0x0
	s_barrier_signal -1
	s_barrier_wait -1
	s_cbranch_vccnz .LBB2907_104
; %bb.105:
	s_add_co_i32 s7, s7, -1
	s_delay_alu instid0(SALU_CYCLE_1) | instskip(SKIP_2) | instid1(SALU_CYCLE_1)
	s_cmp_eq_u32 s9, s7
	s_cselect_b32 s1, -1, 0
	s_xor_b32 s0, s0, -1
	s_and_b32 s0, s0, s1
	s_wait_xcnt 0x0
	s_and_saveexec_b32 s1, s0
	s_cbranch_execz .LBB2907_107
; %bb.106:
	ds_load_b64 v[0:1], v20
	v_mov_b32_e32 v19, 0
	s_delay_alu instid0(VALU_DEP_1) | instskip(SKIP_1) | instid1(VALU_DEP_1)
	v_add_nc_u64_e32 v[2:3], v[16:17], v[18:19]
	s_wait_dscnt 0x0
	v_add_nc_u64_e32 v[0:1], v[2:3], v[0:1]
	global_store_b64 v32, v[0:1], s[14:15] scale_offset
.LBB2907_107:
	s_endpgm
	.section	.rodata,"a",@progbits
	.p2align	6, 0x0
	.amdhsa_kernel _ZN7rocprim17ROCPRIM_400000_NS6detail17trampoline_kernelINS0_14default_configENS1_35radix_sort_onesweep_config_selectorImNS0_10empty_typeEEEZZNS1_29radix_sort_onesweep_iterationIS3_Lb1EPKmPmPS5_SB_mNS0_19identity_decomposerENS1_16block_id_wrapperIjLb0EEEEE10hipError_tT1_PNSt15iterator_traitsISG_E10value_typeET2_T3_PNSH_ISM_E10value_typeET4_T5_PSR_SS_PNS1_23onesweep_lookback_stateEbbT6_jjT7_P12ihipStream_tbENKUlT_T0_SG_SL_E_clISA_SA_SB_SB_EEDaSZ_S10_SG_SL_EUlSZ_E_NS1_11comp_targetILNS1_3genE0ELNS1_11target_archE4294967295ELNS1_3gpuE0ELNS1_3repE0EEENS1_47radix_sort_onesweep_sort_config_static_selectorELNS0_4arch9wavefront6targetE0EEEvSG_
		.amdhsa_group_segment_fixed_size 18504
		.amdhsa_private_segment_fixed_size 0
		.amdhsa_kernarg_size 344
		.amdhsa_user_sgpr_count 2
		.amdhsa_user_sgpr_dispatch_ptr 0
		.amdhsa_user_sgpr_queue_ptr 0
		.amdhsa_user_sgpr_kernarg_segment_ptr 1
		.amdhsa_user_sgpr_dispatch_id 0
		.amdhsa_user_sgpr_kernarg_preload_length 0
		.amdhsa_user_sgpr_kernarg_preload_offset 0
		.amdhsa_user_sgpr_private_segment_size 0
		.amdhsa_wavefront_size32 1
		.amdhsa_uses_dynamic_stack 0
		.amdhsa_enable_private_segment 0
		.amdhsa_system_sgpr_workgroup_id_x 1
		.amdhsa_system_sgpr_workgroup_id_y 0
		.amdhsa_system_sgpr_workgroup_id_z 0
		.amdhsa_system_sgpr_workgroup_info 0
		.amdhsa_system_vgpr_workitem_id 2
		.amdhsa_next_free_vgpr 57
		.amdhsa_next_free_sgpr 28
		.amdhsa_named_barrier_count 0
		.amdhsa_reserve_vcc 1
		.amdhsa_float_round_mode_32 0
		.amdhsa_float_round_mode_16_64 0
		.amdhsa_float_denorm_mode_32 3
		.amdhsa_float_denorm_mode_16_64 3
		.amdhsa_fp16_overflow 0
		.amdhsa_memory_ordered 1
		.amdhsa_forward_progress 1
		.amdhsa_inst_pref_size 88
		.amdhsa_round_robin_scheduling 0
		.amdhsa_exception_fp_ieee_invalid_op 0
		.amdhsa_exception_fp_denorm_src 0
		.amdhsa_exception_fp_ieee_div_zero 0
		.amdhsa_exception_fp_ieee_overflow 0
		.amdhsa_exception_fp_ieee_underflow 0
		.amdhsa_exception_fp_ieee_inexact 0
		.amdhsa_exception_int_div_zero 0
	.end_amdhsa_kernel
	.section	.text._ZN7rocprim17ROCPRIM_400000_NS6detail17trampoline_kernelINS0_14default_configENS1_35radix_sort_onesweep_config_selectorImNS0_10empty_typeEEEZZNS1_29radix_sort_onesweep_iterationIS3_Lb1EPKmPmPS5_SB_mNS0_19identity_decomposerENS1_16block_id_wrapperIjLb0EEEEE10hipError_tT1_PNSt15iterator_traitsISG_E10value_typeET2_T3_PNSH_ISM_E10value_typeET4_T5_PSR_SS_PNS1_23onesweep_lookback_stateEbbT6_jjT7_P12ihipStream_tbENKUlT_T0_SG_SL_E_clISA_SA_SB_SB_EEDaSZ_S10_SG_SL_EUlSZ_E_NS1_11comp_targetILNS1_3genE0ELNS1_11target_archE4294967295ELNS1_3gpuE0ELNS1_3repE0EEENS1_47radix_sort_onesweep_sort_config_static_selectorELNS0_4arch9wavefront6targetE0EEEvSG_,"axG",@progbits,_ZN7rocprim17ROCPRIM_400000_NS6detail17trampoline_kernelINS0_14default_configENS1_35radix_sort_onesweep_config_selectorImNS0_10empty_typeEEEZZNS1_29radix_sort_onesweep_iterationIS3_Lb1EPKmPmPS5_SB_mNS0_19identity_decomposerENS1_16block_id_wrapperIjLb0EEEEE10hipError_tT1_PNSt15iterator_traitsISG_E10value_typeET2_T3_PNSH_ISM_E10value_typeET4_T5_PSR_SS_PNS1_23onesweep_lookback_stateEbbT6_jjT7_P12ihipStream_tbENKUlT_T0_SG_SL_E_clISA_SA_SB_SB_EEDaSZ_S10_SG_SL_EUlSZ_E_NS1_11comp_targetILNS1_3genE0ELNS1_11target_archE4294967295ELNS1_3gpuE0ELNS1_3repE0EEENS1_47radix_sort_onesweep_sort_config_static_selectorELNS0_4arch9wavefront6targetE0EEEvSG_,comdat
.Lfunc_end2907:
	.size	_ZN7rocprim17ROCPRIM_400000_NS6detail17trampoline_kernelINS0_14default_configENS1_35radix_sort_onesweep_config_selectorImNS0_10empty_typeEEEZZNS1_29radix_sort_onesweep_iterationIS3_Lb1EPKmPmPS5_SB_mNS0_19identity_decomposerENS1_16block_id_wrapperIjLb0EEEEE10hipError_tT1_PNSt15iterator_traitsISG_E10value_typeET2_T3_PNSH_ISM_E10value_typeET4_T5_PSR_SS_PNS1_23onesweep_lookback_stateEbbT6_jjT7_P12ihipStream_tbENKUlT_T0_SG_SL_E_clISA_SA_SB_SB_EEDaSZ_S10_SG_SL_EUlSZ_E_NS1_11comp_targetILNS1_3genE0ELNS1_11target_archE4294967295ELNS1_3gpuE0ELNS1_3repE0EEENS1_47radix_sort_onesweep_sort_config_static_selectorELNS0_4arch9wavefront6targetE0EEEvSG_, .Lfunc_end2907-_ZN7rocprim17ROCPRIM_400000_NS6detail17trampoline_kernelINS0_14default_configENS1_35radix_sort_onesweep_config_selectorImNS0_10empty_typeEEEZZNS1_29radix_sort_onesweep_iterationIS3_Lb1EPKmPmPS5_SB_mNS0_19identity_decomposerENS1_16block_id_wrapperIjLb0EEEEE10hipError_tT1_PNSt15iterator_traitsISG_E10value_typeET2_T3_PNSH_ISM_E10value_typeET4_T5_PSR_SS_PNS1_23onesweep_lookback_stateEbbT6_jjT7_P12ihipStream_tbENKUlT_T0_SG_SL_E_clISA_SA_SB_SB_EEDaSZ_S10_SG_SL_EUlSZ_E_NS1_11comp_targetILNS1_3genE0ELNS1_11target_archE4294967295ELNS1_3gpuE0ELNS1_3repE0EEENS1_47radix_sort_onesweep_sort_config_static_selectorELNS0_4arch9wavefront6targetE0EEEvSG_
                                        ; -- End function
	.set _ZN7rocprim17ROCPRIM_400000_NS6detail17trampoline_kernelINS0_14default_configENS1_35radix_sort_onesweep_config_selectorImNS0_10empty_typeEEEZZNS1_29radix_sort_onesweep_iterationIS3_Lb1EPKmPmPS5_SB_mNS0_19identity_decomposerENS1_16block_id_wrapperIjLb0EEEEE10hipError_tT1_PNSt15iterator_traitsISG_E10value_typeET2_T3_PNSH_ISM_E10value_typeET4_T5_PSR_SS_PNS1_23onesweep_lookback_stateEbbT6_jjT7_P12ihipStream_tbENKUlT_T0_SG_SL_E_clISA_SA_SB_SB_EEDaSZ_S10_SG_SL_EUlSZ_E_NS1_11comp_targetILNS1_3genE0ELNS1_11target_archE4294967295ELNS1_3gpuE0ELNS1_3repE0EEENS1_47radix_sort_onesweep_sort_config_static_selectorELNS0_4arch9wavefront6targetE0EEEvSG_.num_vgpr, 57
	.set _ZN7rocprim17ROCPRIM_400000_NS6detail17trampoline_kernelINS0_14default_configENS1_35radix_sort_onesweep_config_selectorImNS0_10empty_typeEEEZZNS1_29radix_sort_onesweep_iterationIS3_Lb1EPKmPmPS5_SB_mNS0_19identity_decomposerENS1_16block_id_wrapperIjLb0EEEEE10hipError_tT1_PNSt15iterator_traitsISG_E10value_typeET2_T3_PNSH_ISM_E10value_typeET4_T5_PSR_SS_PNS1_23onesweep_lookback_stateEbbT6_jjT7_P12ihipStream_tbENKUlT_T0_SG_SL_E_clISA_SA_SB_SB_EEDaSZ_S10_SG_SL_EUlSZ_E_NS1_11comp_targetILNS1_3genE0ELNS1_11target_archE4294967295ELNS1_3gpuE0ELNS1_3repE0EEENS1_47radix_sort_onesweep_sort_config_static_selectorELNS0_4arch9wavefront6targetE0EEEvSG_.num_agpr, 0
	.set _ZN7rocprim17ROCPRIM_400000_NS6detail17trampoline_kernelINS0_14default_configENS1_35radix_sort_onesweep_config_selectorImNS0_10empty_typeEEEZZNS1_29radix_sort_onesweep_iterationIS3_Lb1EPKmPmPS5_SB_mNS0_19identity_decomposerENS1_16block_id_wrapperIjLb0EEEEE10hipError_tT1_PNSt15iterator_traitsISG_E10value_typeET2_T3_PNSH_ISM_E10value_typeET4_T5_PSR_SS_PNS1_23onesweep_lookback_stateEbbT6_jjT7_P12ihipStream_tbENKUlT_T0_SG_SL_E_clISA_SA_SB_SB_EEDaSZ_S10_SG_SL_EUlSZ_E_NS1_11comp_targetILNS1_3genE0ELNS1_11target_archE4294967295ELNS1_3gpuE0ELNS1_3repE0EEENS1_47radix_sort_onesweep_sort_config_static_selectorELNS0_4arch9wavefront6targetE0EEEvSG_.numbered_sgpr, 28
	.set _ZN7rocprim17ROCPRIM_400000_NS6detail17trampoline_kernelINS0_14default_configENS1_35radix_sort_onesweep_config_selectorImNS0_10empty_typeEEEZZNS1_29radix_sort_onesweep_iterationIS3_Lb1EPKmPmPS5_SB_mNS0_19identity_decomposerENS1_16block_id_wrapperIjLb0EEEEE10hipError_tT1_PNSt15iterator_traitsISG_E10value_typeET2_T3_PNSH_ISM_E10value_typeET4_T5_PSR_SS_PNS1_23onesweep_lookback_stateEbbT6_jjT7_P12ihipStream_tbENKUlT_T0_SG_SL_E_clISA_SA_SB_SB_EEDaSZ_S10_SG_SL_EUlSZ_E_NS1_11comp_targetILNS1_3genE0ELNS1_11target_archE4294967295ELNS1_3gpuE0ELNS1_3repE0EEENS1_47radix_sort_onesweep_sort_config_static_selectorELNS0_4arch9wavefront6targetE0EEEvSG_.num_named_barrier, 0
	.set _ZN7rocprim17ROCPRIM_400000_NS6detail17trampoline_kernelINS0_14default_configENS1_35radix_sort_onesweep_config_selectorImNS0_10empty_typeEEEZZNS1_29radix_sort_onesweep_iterationIS3_Lb1EPKmPmPS5_SB_mNS0_19identity_decomposerENS1_16block_id_wrapperIjLb0EEEEE10hipError_tT1_PNSt15iterator_traitsISG_E10value_typeET2_T3_PNSH_ISM_E10value_typeET4_T5_PSR_SS_PNS1_23onesweep_lookback_stateEbbT6_jjT7_P12ihipStream_tbENKUlT_T0_SG_SL_E_clISA_SA_SB_SB_EEDaSZ_S10_SG_SL_EUlSZ_E_NS1_11comp_targetILNS1_3genE0ELNS1_11target_archE4294967295ELNS1_3gpuE0ELNS1_3repE0EEENS1_47radix_sort_onesweep_sort_config_static_selectorELNS0_4arch9wavefront6targetE0EEEvSG_.private_seg_size, 0
	.set _ZN7rocprim17ROCPRIM_400000_NS6detail17trampoline_kernelINS0_14default_configENS1_35radix_sort_onesweep_config_selectorImNS0_10empty_typeEEEZZNS1_29radix_sort_onesweep_iterationIS3_Lb1EPKmPmPS5_SB_mNS0_19identity_decomposerENS1_16block_id_wrapperIjLb0EEEEE10hipError_tT1_PNSt15iterator_traitsISG_E10value_typeET2_T3_PNSH_ISM_E10value_typeET4_T5_PSR_SS_PNS1_23onesweep_lookback_stateEbbT6_jjT7_P12ihipStream_tbENKUlT_T0_SG_SL_E_clISA_SA_SB_SB_EEDaSZ_S10_SG_SL_EUlSZ_E_NS1_11comp_targetILNS1_3genE0ELNS1_11target_archE4294967295ELNS1_3gpuE0ELNS1_3repE0EEENS1_47radix_sort_onesweep_sort_config_static_selectorELNS0_4arch9wavefront6targetE0EEEvSG_.uses_vcc, 1
	.set _ZN7rocprim17ROCPRIM_400000_NS6detail17trampoline_kernelINS0_14default_configENS1_35radix_sort_onesweep_config_selectorImNS0_10empty_typeEEEZZNS1_29radix_sort_onesweep_iterationIS3_Lb1EPKmPmPS5_SB_mNS0_19identity_decomposerENS1_16block_id_wrapperIjLb0EEEEE10hipError_tT1_PNSt15iterator_traitsISG_E10value_typeET2_T3_PNSH_ISM_E10value_typeET4_T5_PSR_SS_PNS1_23onesweep_lookback_stateEbbT6_jjT7_P12ihipStream_tbENKUlT_T0_SG_SL_E_clISA_SA_SB_SB_EEDaSZ_S10_SG_SL_EUlSZ_E_NS1_11comp_targetILNS1_3genE0ELNS1_11target_archE4294967295ELNS1_3gpuE0ELNS1_3repE0EEENS1_47radix_sort_onesweep_sort_config_static_selectorELNS0_4arch9wavefront6targetE0EEEvSG_.uses_flat_scratch, 0
	.set _ZN7rocprim17ROCPRIM_400000_NS6detail17trampoline_kernelINS0_14default_configENS1_35radix_sort_onesweep_config_selectorImNS0_10empty_typeEEEZZNS1_29radix_sort_onesweep_iterationIS3_Lb1EPKmPmPS5_SB_mNS0_19identity_decomposerENS1_16block_id_wrapperIjLb0EEEEE10hipError_tT1_PNSt15iterator_traitsISG_E10value_typeET2_T3_PNSH_ISM_E10value_typeET4_T5_PSR_SS_PNS1_23onesweep_lookback_stateEbbT6_jjT7_P12ihipStream_tbENKUlT_T0_SG_SL_E_clISA_SA_SB_SB_EEDaSZ_S10_SG_SL_EUlSZ_E_NS1_11comp_targetILNS1_3genE0ELNS1_11target_archE4294967295ELNS1_3gpuE0ELNS1_3repE0EEENS1_47radix_sort_onesweep_sort_config_static_selectorELNS0_4arch9wavefront6targetE0EEEvSG_.has_dyn_sized_stack, 0
	.set _ZN7rocprim17ROCPRIM_400000_NS6detail17trampoline_kernelINS0_14default_configENS1_35radix_sort_onesweep_config_selectorImNS0_10empty_typeEEEZZNS1_29radix_sort_onesweep_iterationIS3_Lb1EPKmPmPS5_SB_mNS0_19identity_decomposerENS1_16block_id_wrapperIjLb0EEEEE10hipError_tT1_PNSt15iterator_traitsISG_E10value_typeET2_T3_PNSH_ISM_E10value_typeET4_T5_PSR_SS_PNS1_23onesweep_lookback_stateEbbT6_jjT7_P12ihipStream_tbENKUlT_T0_SG_SL_E_clISA_SA_SB_SB_EEDaSZ_S10_SG_SL_EUlSZ_E_NS1_11comp_targetILNS1_3genE0ELNS1_11target_archE4294967295ELNS1_3gpuE0ELNS1_3repE0EEENS1_47radix_sort_onesweep_sort_config_static_selectorELNS0_4arch9wavefront6targetE0EEEvSG_.has_recursion, 0
	.set _ZN7rocprim17ROCPRIM_400000_NS6detail17trampoline_kernelINS0_14default_configENS1_35radix_sort_onesweep_config_selectorImNS0_10empty_typeEEEZZNS1_29radix_sort_onesweep_iterationIS3_Lb1EPKmPmPS5_SB_mNS0_19identity_decomposerENS1_16block_id_wrapperIjLb0EEEEE10hipError_tT1_PNSt15iterator_traitsISG_E10value_typeET2_T3_PNSH_ISM_E10value_typeET4_T5_PSR_SS_PNS1_23onesweep_lookback_stateEbbT6_jjT7_P12ihipStream_tbENKUlT_T0_SG_SL_E_clISA_SA_SB_SB_EEDaSZ_S10_SG_SL_EUlSZ_E_NS1_11comp_targetILNS1_3genE0ELNS1_11target_archE4294967295ELNS1_3gpuE0ELNS1_3repE0EEENS1_47radix_sort_onesweep_sort_config_static_selectorELNS0_4arch9wavefront6targetE0EEEvSG_.has_indirect_call, 0
	.section	.AMDGPU.csdata,"",@progbits
; Kernel info:
; codeLenInByte = 11184
; TotalNumSgprs: 30
; NumVgprs: 57
; ScratchSize: 0
; MemoryBound: 1
; FloatMode: 240
; IeeeMode: 1
; LDSByteSize: 18504 bytes/workgroup (compile time only)
; SGPRBlocks: 0
; VGPRBlocks: 3
; NumSGPRsForWavesPerEU: 30
; NumVGPRsForWavesPerEU: 57
; NamedBarCnt: 0
; Occupancy: 16
; WaveLimiterHint : 1
; COMPUTE_PGM_RSRC2:SCRATCH_EN: 0
; COMPUTE_PGM_RSRC2:USER_SGPR: 2
; COMPUTE_PGM_RSRC2:TRAP_HANDLER: 0
; COMPUTE_PGM_RSRC2:TGID_X_EN: 1
; COMPUTE_PGM_RSRC2:TGID_Y_EN: 0
; COMPUTE_PGM_RSRC2:TGID_Z_EN: 0
; COMPUTE_PGM_RSRC2:TIDIG_COMP_CNT: 2
	.section	.text._ZN7rocprim17ROCPRIM_400000_NS6detail17trampoline_kernelINS0_14default_configENS1_35radix_sort_onesweep_config_selectorImNS0_10empty_typeEEEZZNS1_29radix_sort_onesweep_iterationIS3_Lb1EPKmPmPS5_SB_mNS0_19identity_decomposerENS1_16block_id_wrapperIjLb0EEEEE10hipError_tT1_PNSt15iterator_traitsISG_E10value_typeET2_T3_PNSH_ISM_E10value_typeET4_T5_PSR_SS_PNS1_23onesweep_lookback_stateEbbT6_jjT7_P12ihipStream_tbENKUlT_T0_SG_SL_E_clISA_SA_SB_SB_EEDaSZ_S10_SG_SL_EUlSZ_E_NS1_11comp_targetILNS1_3genE6ELNS1_11target_archE950ELNS1_3gpuE13ELNS1_3repE0EEENS1_47radix_sort_onesweep_sort_config_static_selectorELNS0_4arch9wavefront6targetE0EEEvSG_,"axG",@progbits,_ZN7rocprim17ROCPRIM_400000_NS6detail17trampoline_kernelINS0_14default_configENS1_35radix_sort_onesweep_config_selectorImNS0_10empty_typeEEEZZNS1_29radix_sort_onesweep_iterationIS3_Lb1EPKmPmPS5_SB_mNS0_19identity_decomposerENS1_16block_id_wrapperIjLb0EEEEE10hipError_tT1_PNSt15iterator_traitsISG_E10value_typeET2_T3_PNSH_ISM_E10value_typeET4_T5_PSR_SS_PNS1_23onesweep_lookback_stateEbbT6_jjT7_P12ihipStream_tbENKUlT_T0_SG_SL_E_clISA_SA_SB_SB_EEDaSZ_S10_SG_SL_EUlSZ_E_NS1_11comp_targetILNS1_3genE6ELNS1_11target_archE950ELNS1_3gpuE13ELNS1_3repE0EEENS1_47radix_sort_onesweep_sort_config_static_selectorELNS0_4arch9wavefront6targetE0EEEvSG_,comdat
	.protected	_ZN7rocprim17ROCPRIM_400000_NS6detail17trampoline_kernelINS0_14default_configENS1_35radix_sort_onesweep_config_selectorImNS0_10empty_typeEEEZZNS1_29radix_sort_onesweep_iterationIS3_Lb1EPKmPmPS5_SB_mNS0_19identity_decomposerENS1_16block_id_wrapperIjLb0EEEEE10hipError_tT1_PNSt15iterator_traitsISG_E10value_typeET2_T3_PNSH_ISM_E10value_typeET4_T5_PSR_SS_PNS1_23onesweep_lookback_stateEbbT6_jjT7_P12ihipStream_tbENKUlT_T0_SG_SL_E_clISA_SA_SB_SB_EEDaSZ_S10_SG_SL_EUlSZ_E_NS1_11comp_targetILNS1_3genE6ELNS1_11target_archE950ELNS1_3gpuE13ELNS1_3repE0EEENS1_47radix_sort_onesweep_sort_config_static_selectorELNS0_4arch9wavefront6targetE0EEEvSG_ ; -- Begin function _ZN7rocprim17ROCPRIM_400000_NS6detail17trampoline_kernelINS0_14default_configENS1_35radix_sort_onesweep_config_selectorImNS0_10empty_typeEEEZZNS1_29radix_sort_onesweep_iterationIS3_Lb1EPKmPmPS5_SB_mNS0_19identity_decomposerENS1_16block_id_wrapperIjLb0EEEEE10hipError_tT1_PNSt15iterator_traitsISG_E10value_typeET2_T3_PNSH_ISM_E10value_typeET4_T5_PSR_SS_PNS1_23onesweep_lookback_stateEbbT6_jjT7_P12ihipStream_tbENKUlT_T0_SG_SL_E_clISA_SA_SB_SB_EEDaSZ_S10_SG_SL_EUlSZ_E_NS1_11comp_targetILNS1_3genE6ELNS1_11target_archE950ELNS1_3gpuE13ELNS1_3repE0EEENS1_47radix_sort_onesweep_sort_config_static_selectorELNS0_4arch9wavefront6targetE0EEEvSG_
	.globl	_ZN7rocprim17ROCPRIM_400000_NS6detail17trampoline_kernelINS0_14default_configENS1_35radix_sort_onesweep_config_selectorImNS0_10empty_typeEEEZZNS1_29radix_sort_onesweep_iterationIS3_Lb1EPKmPmPS5_SB_mNS0_19identity_decomposerENS1_16block_id_wrapperIjLb0EEEEE10hipError_tT1_PNSt15iterator_traitsISG_E10value_typeET2_T3_PNSH_ISM_E10value_typeET4_T5_PSR_SS_PNS1_23onesweep_lookback_stateEbbT6_jjT7_P12ihipStream_tbENKUlT_T0_SG_SL_E_clISA_SA_SB_SB_EEDaSZ_S10_SG_SL_EUlSZ_E_NS1_11comp_targetILNS1_3genE6ELNS1_11target_archE950ELNS1_3gpuE13ELNS1_3repE0EEENS1_47radix_sort_onesweep_sort_config_static_selectorELNS0_4arch9wavefront6targetE0EEEvSG_
	.p2align	8
	.type	_ZN7rocprim17ROCPRIM_400000_NS6detail17trampoline_kernelINS0_14default_configENS1_35radix_sort_onesweep_config_selectorImNS0_10empty_typeEEEZZNS1_29radix_sort_onesweep_iterationIS3_Lb1EPKmPmPS5_SB_mNS0_19identity_decomposerENS1_16block_id_wrapperIjLb0EEEEE10hipError_tT1_PNSt15iterator_traitsISG_E10value_typeET2_T3_PNSH_ISM_E10value_typeET4_T5_PSR_SS_PNS1_23onesweep_lookback_stateEbbT6_jjT7_P12ihipStream_tbENKUlT_T0_SG_SL_E_clISA_SA_SB_SB_EEDaSZ_S10_SG_SL_EUlSZ_E_NS1_11comp_targetILNS1_3genE6ELNS1_11target_archE950ELNS1_3gpuE13ELNS1_3repE0EEENS1_47radix_sort_onesweep_sort_config_static_selectorELNS0_4arch9wavefront6targetE0EEEvSG_,@function
_ZN7rocprim17ROCPRIM_400000_NS6detail17trampoline_kernelINS0_14default_configENS1_35radix_sort_onesweep_config_selectorImNS0_10empty_typeEEEZZNS1_29radix_sort_onesweep_iterationIS3_Lb1EPKmPmPS5_SB_mNS0_19identity_decomposerENS1_16block_id_wrapperIjLb0EEEEE10hipError_tT1_PNSt15iterator_traitsISG_E10value_typeET2_T3_PNSH_ISM_E10value_typeET4_T5_PSR_SS_PNS1_23onesweep_lookback_stateEbbT6_jjT7_P12ihipStream_tbENKUlT_T0_SG_SL_E_clISA_SA_SB_SB_EEDaSZ_S10_SG_SL_EUlSZ_E_NS1_11comp_targetILNS1_3genE6ELNS1_11target_archE950ELNS1_3gpuE13ELNS1_3repE0EEENS1_47radix_sort_onesweep_sort_config_static_selectorELNS0_4arch9wavefront6targetE0EEEvSG_: ; @_ZN7rocprim17ROCPRIM_400000_NS6detail17trampoline_kernelINS0_14default_configENS1_35radix_sort_onesweep_config_selectorImNS0_10empty_typeEEEZZNS1_29radix_sort_onesweep_iterationIS3_Lb1EPKmPmPS5_SB_mNS0_19identity_decomposerENS1_16block_id_wrapperIjLb0EEEEE10hipError_tT1_PNSt15iterator_traitsISG_E10value_typeET2_T3_PNSH_ISM_E10value_typeET4_T5_PSR_SS_PNS1_23onesweep_lookback_stateEbbT6_jjT7_P12ihipStream_tbENKUlT_T0_SG_SL_E_clISA_SA_SB_SB_EEDaSZ_S10_SG_SL_EUlSZ_E_NS1_11comp_targetILNS1_3genE6ELNS1_11target_archE950ELNS1_3gpuE13ELNS1_3repE0EEENS1_47radix_sort_onesweep_sort_config_static_selectorELNS0_4arch9wavefront6targetE0EEEvSG_
; %bb.0:
	.section	.rodata,"a",@progbits
	.p2align	6, 0x0
	.amdhsa_kernel _ZN7rocprim17ROCPRIM_400000_NS6detail17trampoline_kernelINS0_14default_configENS1_35radix_sort_onesweep_config_selectorImNS0_10empty_typeEEEZZNS1_29radix_sort_onesweep_iterationIS3_Lb1EPKmPmPS5_SB_mNS0_19identity_decomposerENS1_16block_id_wrapperIjLb0EEEEE10hipError_tT1_PNSt15iterator_traitsISG_E10value_typeET2_T3_PNSH_ISM_E10value_typeET4_T5_PSR_SS_PNS1_23onesweep_lookback_stateEbbT6_jjT7_P12ihipStream_tbENKUlT_T0_SG_SL_E_clISA_SA_SB_SB_EEDaSZ_S10_SG_SL_EUlSZ_E_NS1_11comp_targetILNS1_3genE6ELNS1_11target_archE950ELNS1_3gpuE13ELNS1_3repE0EEENS1_47radix_sort_onesweep_sort_config_static_selectorELNS0_4arch9wavefront6targetE0EEEvSG_
		.amdhsa_group_segment_fixed_size 0
		.amdhsa_private_segment_fixed_size 0
		.amdhsa_kernarg_size 88
		.amdhsa_user_sgpr_count 2
		.amdhsa_user_sgpr_dispatch_ptr 0
		.amdhsa_user_sgpr_queue_ptr 0
		.amdhsa_user_sgpr_kernarg_segment_ptr 1
		.amdhsa_user_sgpr_dispatch_id 0
		.amdhsa_user_sgpr_kernarg_preload_length 0
		.amdhsa_user_sgpr_kernarg_preload_offset 0
		.amdhsa_user_sgpr_private_segment_size 0
		.amdhsa_wavefront_size32 1
		.amdhsa_uses_dynamic_stack 0
		.amdhsa_enable_private_segment 0
		.amdhsa_system_sgpr_workgroup_id_x 1
		.amdhsa_system_sgpr_workgroup_id_y 0
		.amdhsa_system_sgpr_workgroup_id_z 0
		.amdhsa_system_sgpr_workgroup_info 0
		.amdhsa_system_vgpr_workitem_id 0
		.amdhsa_next_free_vgpr 1
		.amdhsa_next_free_sgpr 1
		.amdhsa_named_barrier_count 0
		.amdhsa_reserve_vcc 0
		.amdhsa_float_round_mode_32 0
		.amdhsa_float_round_mode_16_64 0
		.amdhsa_float_denorm_mode_32 3
		.amdhsa_float_denorm_mode_16_64 3
		.amdhsa_fp16_overflow 0
		.amdhsa_memory_ordered 1
		.amdhsa_forward_progress 1
		.amdhsa_inst_pref_size 0
		.amdhsa_round_robin_scheduling 0
		.amdhsa_exception_fp_ieee_invalid_op 0
		.amdhsa_exception_fp_denorm_src 0
		.amdhsa_exception_fp_ieee_div_zero 0
		.amdhsa_exception_fp_ieee_overflow 0
		.amdhsa_exception_fp_ieee_underflow 0
		.amdhsa_exception_fp_ieee_inexact 0
		.amdhsa_exception_int_div_zero 0
	.end_amdhsa_kernel
	.section	.text._ZN7rocprim17ROCPRIM_400000_NS6detail17trampoline_kernelINS0_14default_configENS1_35radix_sort_onesweep_config_selectorImNS0_10empty_typeEEEZZNS1_29radix_sort_onesweep_iterationIS3_Lb1EPKmPmPS5_SB_mNS0_19identity_decomposerENS1_16block_id_wrapperIjLb0EEEEE10hipError_tT1_PNSt15iterator_traitsISG_E10value_typeET2_T3_PNSH_ISM_E10value_typeET4_T5_PSR_SS_PNS1_23onesweep_lookback_stateEbbT6_jjT7_P12ihipStream_tbENKUlT_T0_SG_SL_E_clISA_SA_SB_SB_EEDaSZ_S10_SG_SL_EUlSZ_E_NS1_11comp_targetILNS1_3genE6ELNS1_11target_archE950ELNS1_3gpuE13ELNS1_3repE0EEENS1_47radix_sort_onesweep_sort_config_static_selectorELNS0_4arch9wavefront6targetE0EEEvSG_,"axG",@progbits,_ZN7rocprim17ROCPRIM_400000_NS6detail17trampoline_kernelINS0_14default_configENS1_35radix_sort_onesweep_config_selectorImNS0_10empty_typeEEEZZNS1_29radix_sort_onesweep_iterationIS3_Lb1EPKmPmPS5_SB_mNS0_19identity_decomposerENS1_16block_id_wrapperIjLb0EEEEE10hipError_tT1_PNSt15iterator_traitsISG_E10value_typeET2_T3_PNSH_ISM_E10value_typeET4_T5_PSR_SS_PNS1_23onesweep_lookback_stateEbbT6_jjT7_P12ihipStream_tbENKUlT_T0_SG_SL_E_clISA_SA_SB_SB_EEDaSZ_S10_SG_SL_EUlSZ_E_NS1_11comp_targetILNS1_3genE6ELNS1_11target_archE950ELNS1_3gpuE13ELNS1_3repE0EEENS1_47radix_sort_onesweep_sort_config_static_selectorELNS0_4arch9wavefront6targetE0EEEvSG_,comdat
.Lfunc_end2908:
	.size	_ZN7rocprim17ROCPRIM_400000_NS6detail17trampoline_kernelINS0_14default_configENS1_35radix_sort_onesweep_config_selectorImNS0_10empty_typeEEEZZNS1_29radix_sort_onesweep_iterationIS3_Lb1EPKmPmPS5_SB_mNS0_19identity_decomposerENS1_16block_id_wrapperIjLb0EEEEE10hipError_tT1_PNSt15iterator_traitsISG_E10value_typeET2_T3_PNSH_ISM_E10value_typeET4_T5_PSR_SS_PNS1_23onesweep_lookback_stateEbbT6_jjT7_P12ihipStream_tbENKUlT_T0_SG_SL_E_clISA_SA_SB_SB_EEDaSZ_S10_SG_SL_EUlSZ_E_NS1_11comp_targetILNS1_3genE6ELNS1_11target_archE950ELNS1_3gpuE13ELNS1_3repE0EEENS1_47radix_sort_onesweep_sort_config_static_selectorELNS0_4arch9wavefront6targetE0EEEvSG_, .Lfunc_end2908-_ZN7rocprim17ROCPRIM_400000_NS6detail17trampoline_kernelINS0_14default_configENS1_35radix_sort_onesweep_config_selectorImNS0_10empty_typeEEEZZNS1_29radix_sort_onesweep_iterationIS3_Lb1EPKmPmPS5_SB_mNS0_19identity_decomposerENS1_16block_id_wrapperIjLb0EEEEE10hipError_tT1_PNSt15iterator_traitsISG_E10value_typeET2_T3_PNSH_ISM_E10value_typeET4_T5_PSR_SS_PNS1_23onesweep_lookback_stateEbbT6_jjT7_P12ihipStream_tbENKUlT_T0_SG_SL_E_clISA_SA_SB_SB_EEDaSZ_S10_SG_SL_EUlSZ_E_NS1_11comp_targetILNS1_3genE6ELNS1_11target_archE950ELNS1_3gpuE13ELNS1_3repE0EEENS1_47radix_sort_onesweep_sort_config_static_selectorELNS0_4arch9wavefront6targetE0EEEvSG_
                                        ; -- End function
	.set _ZN7rocprim17ROCPRIM_400000_NS6detail17trampoline_kernelINS0_14default_configENS1_35radix_sort_onesweep_config_selectorImNS0_10empty_typeEEEZZNS1_29radix_sort_onesweep_iterationIS3_Lb1EPKmPmPS5_SB_mNS0_19identity_decomposerENS1_16block_id_wrapperIjLb0EEEEE10hipError_tT1_PNSt15iterator_traitsISG_E10value_typeET2_T3_PNSH_ISM_E10value_typeET4_T5_PSR_SS_PNS1_23onesweep_lookback_stateEbbT6_jjT7_P12ihipStream_tbENKUlT_T0_SG_SL_E_clISA_SA_SB_SB_EEDaSZ_S10_SG_SL_EUlSZ_E_NS1_11comp_targetILNS1_3genE6ELNS1_11target_archE950ELNS1_3gpuE13ELNS1_3repE0EEENS1_47radix_sort_onesweep_sort_config_static_selectorELNS0_4arch9wavefront6targetE0EEEvSG_.num_vgpr, 0
	.set _ZN7rocprim17ROCPRIM_400000_NS6detail17trampoline_kernelINS0_14default_configENS1_35radix_sort_onesweep_config_selectorImNS0_10empty_typeEEEZZNS1_29radix_sort_onesweep_iterationIS3_Lb1EPKmPmPS5_SB_mNS0_19identity_decomposerENS1_16block_id_wrapperIjLb0EEEEE10hipError_tT1_PNSt15iterator_traitsISG_E10value_typeET2_T3_PNSH_ISM_E10value_typeET4_T5_PSR_SS_PNS1_23onesweep_lookback_stateEbbT6_jjT7_P12ihipStream_tbENKUlT_T0_SG_SL_E_clISA_SA_SB_SB_EEDaSZ_S10_SG_SL_EUlSZ_E_NS1_11comp_targetILNS1_3genE6ELNS1_11target_archE950ELNS1_3gpuE13ELNS1_3repE0EEENS1_47radix_sort_onesweep_sort_config_static_selectorELNS0_4arch9wavefront6targetE0EEEvSG_.num_agpr, 0
	.set _ZN7rocprim17ROCPRIM_400000_NS6detail17trampoline_kernelINS0_14default_configENS1_35radix_sort_onesweep_config_selectorImNS0_10empty_typeEEEZZNS1_29radix_sort_onesweep_iterationIS3_Lb1EPKmPmPS5_SB_mNS0_19identity_decomposerENS1_16block_id_wrapperIjLb0EEEEE10hipError_tT1_PNSt15iterator_traitsISG_E10value_typeET2_T3_PNSH_ISM_E10value_typeET4_T5_PSR_SS_PNS1_23onesweep_lookback_stateEbbT6_jjT7_P12ihipStream_tbENKUlT_T0_SG_SL_E_clISA_SA_SB_SB_EEDaSZ_S10_SG_SL_EUlSZ_E_NS1_11comp_targetILNS1_3genE6ELNS1_11target_archE950ELNS1_3gpuE13ELNS1_3repE0EEENS1_47radix_sort_onesweep_sort_config_static_selectorELNS0_4arch9wavefront6targetE0EEEvSG_.numbered_sgpr, 0
	.set _ZN7rocprim17ROCPRIM_400000_NS6detail17trampoline_kernelINS0_14default_configENS1_35radix_sort_onesweep_config_selectorImNS0_10empty_typeEEEZZNS1_29radix_sort_onesweep_iterationIS3_Lb1EPKmPmPS5_SB_mNS0_19identity_decomposerENS1_16block_id_wrapperIjLb0EEEEE10hipError_tT1_PNSt15iterator_traitsISG_E10value_typeET2_T3_PNSH_ISM_E10value_typeET4_T5_PSR_SS_PNS1_23onesweep_lookback_stateEbbT6_jjT7_P12ihipStream_tbENKUlT_T0_SG_SL_E_clISA_SA_SB_SB_EEDaSZ_S10_SG_SL_EUlSZ_E_NS1_11comp_targetILNS1_3genE6ELNS1_11target_archE950ELNS1_3gpuE13ELNS1_3repE0EEENS1_47radix_sort_onesweep_sort_config_static_selectorELNS0_4arch9wavefront6targetE0EEEvSG_.num_named_barrier, 0
	.set _ZN7rocprim17ROCPRIM_400000_NS6detail17trampoline_kernelINS0_14default_configENS1_35radix_sort_onesweep_config_selectorImNS0_10empty_typeEEEZZNS1_29radix_sort_onesweep_iterationIS3_Lb1EPKmPmPS5_SB_mNS0_19identity_decomposerENS1_16block_id_wrapperIjLb0EEEEE10hipError_tT1_PNSt15iterator_traitsISG_E10value_typeET2_T3_PNSH_ISM_E10value_typeET4_T5_PSR_SS_PNS1_23onesweep_lookback_stateEbbT6_jjT7_P12ihipStream_tbENKUlT_T0_SG_SL_E_clISA_SA_SB_SB_EEDaSZ_S10_SG_SL_EUlSZ_E_NS1_11comp_targetILNS1_3genE6ELNS1_11target_archE950ELNS1_3gpuE13ELNS1_3repE0EEENS1_47radix_sort_onesweep_sort_config_static_selectorELNS0_4arch9wavefront6targetE0EEEvSG_.private_seg_size, 0
	.set _ZN7rocprim17ROCPRIM_400000_NS6detail17trampoline_kernelINS0_14default_configENS1_35radix_sort_onesweep_config_selectorImNS0_10empty_typeEEEZZNS1_29radix_sort_onesweep_iterationIS3_Lb1EPKmPmPS5_SB_mNS0_19identity_decomposerENS1_16block_id_wrapperIjLb0EEEEE10hipError_tT1_PNSt15iterator_traitsISG_E10value_typeET2_T3_PNSH_ISM_E10value_typeET4_T5_PSR_SS_PNS1_23onesweep_lookback_stateEbbT6_jjT7_P12ihipStream_tbENKUlT_T0_SG_SL_E_clISA_SA_SB_SB_EEDaSZ_S10_SG_SL_EUlSZ_E_NS1_11comp_targetILNS1_3genE6ELNS1_11target_archE950ELNS1_3gpuE13ELNS1_3repE0EEENS1_47radix_sort_onesweep_sort_config_static_selectorELNS0_4arch9wavefront6targetE0EEEvSG_.uses_vcc, 0
	.set _ZN7rocprim17ROCPRIM_400000_NS6detail17trampoline_kernelINS0_14default_configENS1_35radix_sort_onesweep_config_selectorImNS0_10empty_typeEEEZZNS1_29radix_sort_onesweep_iterationIS3_Lb1EPKmPmPS5_SB_mNS0_19identity_decomposerENS1_16block_id_wrapperIjLb0EEEEE10hipError_tT1_PNSt15iterator_traitsISG_E10value_typeET2_T3_PNSH_ISM_E10value_typeET4_T5_PSR_SS_PNS1_23onesweep_lookback_stateEbbT6_jjT7_P12ihipStream_tbENKUlT_T0_SG_SL_E_clISA_SA_SB_SB_EEDaSZ_S10_SG_SL_EUlSZ_E_NS1_11comp_targetILNS1_3genE6ELNS1_11target_archE950ELNS1_3gpuE13ELNS1_3repE0EEENS1_47radix_sort_onesweep_sort_config_static_selectorELNS0_4arch9wavefront6targetE0EEEvSG_.uses_flat_scratch, 0
	.set _ZN7rocprim17ROCPRIM_400000_NS6detail17trampoline_kernelINS0_14default_configENS1_35radix_sort_onesweep_config_selectorImNS0_10empty_typeEEEZZNS1_29radix_sort_onesweep_iterationIS3_Lb1EPKmPmPS5_SB_mNS0_19identity_decomposerENS1_16block_id_wrapperIjLb0EEEEE10hipError_tT1_PNSt15iterator_traitsISG_E10value_typeET2_T3_PNSH_ISM_E10value_typeET4_T5_PSR_SS_PNS1_23onesweep_lookback_stateEbbT6_jjT7_P12ihipStream_tbENKUlT_T0_SG_SL_E_clISA_SA_SB_SB_EEDaSZ_S10_SG_SL_EUlSZ_E_NS1_11comp_targetILNS1_3genE6ELNS1_11target_archE950ELNS1_3gpuE13ELNS1_3repE0EEENS1_47radix_sort_onesweep_sort_config_static_selectorELNS0_4arch9wavefront6targetE0EEEvSG_.has_dyn_sized_stack, 0
	.set _ZN7rocprim17ROCPRIM_400000_NS6detail17trampoline_kernelINS0_14default_configENS1_35radix_sort_onesweep_config_selectorImNS0_10empty_typeEEEZZNS1_29radix_sort_onesweep_iterationIS3_Lb1EPKmPmPS5_SB_mNS0_19identity_decomposerENS1_16block_id_wrapperIjLb0EEEEE10hipError_tT1_PNSt15iterator_traitsISG_E10value_typeET2_T3_PNSH_ISM_E10value_typeET4_T5_PSR_SS_PNS1_23onesweep_lookback_stateEbbT6_jjT7_P12ihipStream_tbENKUlT_T0_SG_SL_E_clISA_SA_SB_SB_EEDaSZ_S10_SG_SL_EUlSZ_E_NS1_11comp_targetILNS1_3genE6ELNS1_11target_archE950ELNS1_3gpuE13ELNS1_3repE0EEENS1_47radix_sort_onesweep_sort_config_static_selectorELNS0_4arch9wavefront6targetE0EEEvSG_.has_recursion, 0
	.set _ZN7rocprim17ROCPRIM_400000_NS6detail17trampoline_kernelINS0_14default_configENS1_35radix_sort_onesweep_config_selectorImNS0_10empty_typeEEEZZNS1_29radix_sort_onesweep_iterationIS3_Lb1EPKmPmPS5_SB_mNS0_19identity_decomposerENS1_16block_id_wrapperIjLb0EEEEE10hipError_tT1_PNSt15iterator_traitsISG_E10value_typeET2_T3_PNSH_ISM_E10value_typeET4_T5_PSR_SS_PNS1_23onesweep_lookback_stateEbbT6_jjT7_P12ihipStream_tbENKUlT_T0_SG_SL_E_clISA_SA_SB_SB_EEDaSZ_S10_SG_SL_EUlSZ_E_NS1_11comp_targetILNS1_3genE6ELNS1_11target_archE950ELNS1_3gpuE13ELNS1_3repE0EEENS1_47radix_sort_onesweep_sort_config_static_selectorELNS0_4arch9wavefront6targetE0EEEvSG_.has_indirect_call, 0
	.section	.AMDGPU.csdata,"",@progbits
; Kernel info:
; codeLenInByte = 0
; TotalNumSgprs: 0
; NumVgprs: 0
; ScratchSize: 0
; MemoryBound: 0
; FloatMode: 240
; IeeeMode: 1
; LDSByteSize: 0 bytes/workgroup (compile time only)
; SGPRBlocks: 0
; VGPRBlocks: 0
; NumSGPRsForWavesPerEU: 1
; NumVGPRsForWavesPerEU: 1
; NamedBarCnt: 0
; Occupancy: 16
; WaveLimiterHint : 0
; COMPUTE_PGM_RSRC2:SCRATCH_EN: 0
; COMPUTE_PGM_RSRC2:USER_SGPR: 2
; COMPUTE_PGM_RSRC2:TRAP_HANDLER: 0
; COMPUTE_PGM_RSRC2:TGID_X_EN: 1
; COMPUTE_PGM_RSRC2:TGID_Y_EN: 0
; COMPUTE_PGM_RSRC2:TGID_Z_EN: 0
; COMPUTE_PGM_RSRC2:TIDIG_COMP_CNT: 0
	.section	.text._ZN7rocprim17ROCPRIM_400000_NS6detail17trampoline_kernelINS0_14default_configENS1_35radix_sort_onesweep_config_selectorImNS0_10empty_typeEEEZZNS1_29radix_sort_onesweep_iterationIS3_Lb1EPKmPmPS5_SB_mNS0_19identity_decomposerENS1_16block_id_wrapperIjLb0EEEEE10hipError_tT1_PNSt15iterator_traitsISG_E10value_typeET2_T3_PNSH_ISM_E10value_typeET4_T5_PSR_SS_PNS1_23onesweep_lookback_stateEbbT6_jjT7_P12ihipStream_tbENKUlT_T0_SG_SL_E_clISA_SA_SB_SB_EEDaSZ_S10_SG_SL_EUlSZ_E_NS1_11comp_targetILNS1_3genE5ELNS1_11target_archE942ELNS1_3gpuE9ELNS1_3repE0EEENS1_47radix_sort_onesweep_sort_config_static_selectorELNS0_4arch9wavefront6targetE0EEEvSG_,"axG",@progbits,_ZN7rocprim17ROCPRIM_400000_NS6detail17trampoline_kernelINS0_14default_configENS1_35radix_sort_onesweep_config_selectorImNS0_10empty_typeEEEZZNS1_29radix_sort_onesweep_iterationIS3_Lb1EPKmPmPS5_SB_mNS0_19identity_decomposerENS1_16block_id_wrapperIjLb0EEEEE10hipError_tT1_PNSt15iterator_traitsISG_E10value_typeET2_T3_PNSH_ISM_E10value_typeET4_T5_PSR_SS_PNS1_23onesweep_lookback_stateEbbT6_jjT7_P12ihipStream_tbENKUlT_T0_SG_SL_E_clISA_SA_SB_SB_EEDaSZ_S10_SG_SL_EUlSZ_E_NS1_11comp_targetILNS1_3genE5ELNS1_11target_archE942ELNS1_3gpuE9ELNS1_3repE0EEENS1_47radix_sort_onesweep_sort_config_static_selectorELNS0_4arch9wavefront6targetE0EEEvSG_,comdat
	.protected	_ZN7rocprim17ROCPRIM_400000_NS6detail17trampoline_kernelINS0_14default_configENS1_35radix_sort_onesweep_config_selectorImNS0_10empty_typeEEEZZNS1_29radix_sort_onesweep_iterationIS3_Lb1EPKmPmPS5_SB_mNS0_19identity_decomposerENS1_16block_id_wrapperIjLb0EEEEE10hipError_tT1_PNSt15iterator_traitsISG_E10value_typeET2_T3_PNSH_ISM_E10value_typeET4_T5_PSR_SS_PNS1_23onesweep_lookback_stateEbbT6_jjT7_P12ihipStream_tbENKUlT_T0_SG_SL_E_clISA_SA_SB_SB_EEDaSZ_S10_SG_SL_EUlSZ_E_NS1_11comp_targetILNS1_3genE5ELNS1_11target_archE942ELNS1_3gpuE9ELNS1_3repE0EEENS1_47radix_sort_onesweep_sort_config_static_selectorELNS0_4arch9wavefront6targetE0EEEvSG_ ; -- Begin function _ZN7rocprim17ROCPRIM_400000_NS6detail17trampoline_kernelINS0_14default_configENS1_35radix_sort_onesweep_config_selectorImNS0_10empty_typeEEEZZNS1_29radix_sort_onesweep_iterationIS3_Lb1EPKmPmPS5_SB_mNS0_19identity_decomposerENS1_16block_id_wrapperIjLb0EEEEE10hipError_tT1_PNSt15iterator_traitsISG_E10value_typeET2_T3_PNSH_ISM_E10value_typeET4_T5_PSR_SS_PNS1_23onesweep_lookback_stateEbbT6_jjT7_P12ihipStream_tbENKUlT_T0_SG_SL_E_clISA_SA_SB_SB_EEDaSZ_S10_SG_SL_EUlSZ_E_NS1_11comp_targetILNS1_3genE5ELNS1_11target_archE942ELNS1_3gpuE9ELNS1_3repE0EEENS1_47radix_sort_onesweep_sort_config_static_selectorELNS0_4arch9wavefront6targetE0EEEvSG_
	.globl	_ZN7rocprim17ROCPRIM_400000_NS6detail17trampoline_kernelINS0_14default_configENS1_35radix_sort_onesweep_config_selectorImNS0_10empty_typeEEEZZNS1_29radix_sort_onesweep_iterationIS3_Lb1EPKmPmPS5_SB_mNS0_19identity_decomposerENS1_16block_id_wrapperIjLb0EEEEE10hipError_tT1_PNSt15iterator_traitsISG_E10value_typeET2_T3_PNSH_ISM_E10value_typeET4_T5_PSR_SS_PNS1_23onesweep_lookback_stateEbbT6_jjT7_P12ihipStream_tbENKUlT_T0_SG_SL_E_clISA_SA_SB_SB_EEDaSZ_S10_SG_SL_EUlSZ_E_NS1_11comp_targetILNS1_3genE5ELNS1_11target_archE942ELNS1_3gpuE9ELNS1_3repE0EEENS1_47radix_sort_onesweep_sort_config_static_selectorELNS0_4arch9wavefront6targetE0EEEvSG_
	.p2align	8
	.type	_ZN7rocprim17ROCPRIM_400000_NS6detail17trampoline_kernelINS0_14default_configENS1_35radix_sort_onesweep_config_selectorImNS0_10empty_typeEEEZZNS1_29radix_sort_onesweep_iterationIS3_Lb1EPKmPmPS5_SB_mNS0_19identity_decomposerENS1_16block_id_wrapperIjLb0EEEEE10hipError_tT1_PNSt15iterator_traitsISG_E10value_typeET2_T3_PNSH_ISM_E10value_typeET4_T5_PSR_SS_PNS1_23onesweep_lookback_stateEbbT6_jjT7_P12ihipStream_tbENKUlT_T0_SG_SL_E_clISA_SA_SB_SB_EEDaSZ_S10_SG_SL_EUlSZ_E_NS1_11comp_targetILNS1_3genE5ELNS1_11target_archE942ELNS1_3gpuE9ELNS1_3repE0EEENS1_47radix_sort_onesweep_sort_config_static_selectorELNS0_4arch9wavefront6targetE0EEEvSG_,@function
_ZN7rocprim17ROCPRIM_400000_NS6detail17trampoline_kernelINS0_14default_configENS1_35radix_sort_onesweep_config_selectorImNS0_10empty_typeEEEZZNS1_29radix_sort_onesweep_iterationIS3_Lb1EPKmPmPS5_SB_mNS0_19identity_decomposerENS1_16block_id_wrapperIjLb0EEEEE10hipError_tT1_PNSt15iterator_traitsISG_E10value_typeET2_T3_PNSH_ISM_E10value_typeET4_T5_PSR_SS_PNS1_23onesweep_lookback_stateEbbT6_jjT7_P12ihipStream_tbENKUlT_T0_SG_SL_E_clISA_SA_SB_SB_EEDaSZ_S10_SG_SL_EUlSZ_E_NS1_11comp_targetILNS1_3genE5ELNS1_11target_archE942ELNS1_3gpuE9ELNS1_3repE0EEENS1_47radix_sort_onesweep_sort_config_static_selectorELNS0_4arch9wavefront6targetE0EEEvSG_: ; @_ZN7rocprim17ROCPRIM_400000_NS6detail17trampoline_kernelINS0_14default_configENS1_35radix_sort_onesweep_config_selectorImNS0_10empty_typeEEEZZNS1_29radix_sort_onesweep_iterationIS3_Lb1EPKmPmPS5_SB_mNS0_19identity_decomposerENS1_16block_id_wrapperIjLb0EEEEE10hipError_tT1_PNSt15iterator_traitsISG_E10value_typeET2_T3_PNSH_ISM_E10value_typeET4_T5_PSR_SS_PNS1_23onesweep_lookback_stateEbbT6_jjT7_P12ihipStream_tbENKUlT_T0_SG_SL_E_clISA_SA_SB_SB_EEDaSZ_S10_SG_SL_EUlSZ_E_NS1_11comp_targetILNS1_3genE5ELNS1_11target_archE942ELNS1_3gpuE9ELNS1_3repE0EEENS1_47radix_sort_onesweep_sort_config_static_selectorELNS0_4arch9wavefront6targetE0EEEvSG_
; %bb.0:
	.section	.rodata,"a",@progbits
	.p2align	6, 0x0
	.amdhsa_kernel _ZN7rocprim17ROCPRIM_400000_NS6detail17trampoline_kernelINS0_14default_configENS1_35radix_sort_onesweep_config_selectorImNS0_10empty_typeEEEZZNS1_29radix_sort_onesweep_iterationIS3_Lb1EPKmPmPS5_SB_mNS0_19identity_decomposerENS1_16block_id_wrapperIjLb0EEEEE10hipError_tT1_PNSt15iterator_traitsISG_E10value_typeET2_T3_PNSH_ISM_E10value_typeET4_T5_PSR_SS_PNS1_23onesweep_lookback_stateEbbT6_jjT7_P12ihipStream_tbENKUlT_T0_SG_SL_E_clISA_SA_SB_SB_EEDaSZ_S10_SG_SL_EUlSZ_E_NS1_11comp_targetILNS1_3genE5ELNS1_11target_archE942ELNS1_3gpuE9ELNS1_3repE0EEENS1_47radix_sort_onesweep_sort_config_static_selectorELNS0_4arch9wavefront6targetE0EEEvSG_
		.amdhsa_group_segment_fixed_size 0
		.amdhsa_private_segment_fixed_size 0
		.amdhsa_kernarg_size 88
		.amdhsa_user_sgpr_count 2
		.amdhsa_user_sgpr_dispatch_ptr 0
		.amdhsa_user_sgpr_queue_ptr 0
		.amdhsa_user_sgpr_kernarg_segment_ptr 1
		.amdhsa_user_sgpr_dispatch_id 0
		.amdhsa_user_sgpr_kernarg_preload_length 0
		.amdhsa_user_sgpr_kernarg_preload_offset 0
		.amdhsa_user_sgpr_private_segment_size 0
		.amdhsa_wavefront_size32 1
		.amdhsa_uses_dynamic_stack 0
		.amdhsa_enable_private_segment 0
		.amdhsa_system_sgpr_workgroup_id_x 1
		.amdhsa_system_sgpr_workgroup_id_y 0
		.amdhsa_system_sgpr_workgroup_id_z 0
		.amdhsa_system_sgpr_workgroup_info 0
		.amdhsa_system_vgpr_workitem_id 0
		.amdhsa_next_free_vgpr 1
		.amdhsa_next_free_sgpr 1
		.amdhsa_named_barrier_count 0
		.amdhsa_reserve_vcc 0
		.amdhsa_float_round_mode_32 0
		.amdhsa_float_round_mode_16_64 0
		.amdhsa_float_denorm_mode_32 3
		.amdhsa_float_denorm_mode_16_64 3
		.amdhsa_fp16_overflow 0
		.amdhsa_memory_ordered 1
		.amdhsa_forward_progress 1
		.amdhsa_inst_pref_size 0
		.amdhsa_round_robin_scheduling 0
		.amdhsa_exception_fp_ieee_invalid_op 0
		.amdhsa_exception_fp_denorm_src 0
		.amdhsa_exception_fp_ieee_div_zero 0
		.amdhsa_exception_fp_ieee_overflow 0
		.amdhsa_exception_fp_ieee_underflow 0
		.amdhsa_exception_fp_ieee_inexact 0
		.amdhsa_exception_int_div_zero 0
	.end_amdhsa_kernel
	.section	.text._ZN7rocprim17ROCPRIM_400000_NS6detail17trampoline_kernelINS0_14default_configENS1_35radix_sort_onesweep_config_selectorImNS0_10empty_typeEEEZZNS1_29radix_sort_onesweep_iterationIS3_Lb1EPKmPmPS5_SB_mNS0_19identity_decomposerENS1_16block_id_wrapperIjLb0EEEEE10hipError_tT1_PNSt15iterator_traitsISG_E10value_typeET2_T3_PNSH_ISM_E10value_typeET4_T5_PSR_SS_PNS1_23onesweep_lookback_stateEbbT6_jjT7_P12ihipStream_tbENKUlT_T0_SG_SL_E_clISA_SA_SB_SB_EEDaSZ_S10_SG_SL_EUlSZ_E_NS1_11comp_targetILNS1_3genE5ELNS1_11target_archE942ELNS1_3gpuE9ELNS1_3repE0EEENS1_47radix_sort_onesweep_sort_config_static_selectorELNS0_4arch9wavefront6targetE0EEEvSG_,"axG",@progbits,_ZN7rocprim17ROCPRIM_400000_NS6detail17trampoline_kernelINS0_14default_configENS1_35radix_sort_onesweep_config_selectorImNS0_10empty_typeEEEZZNS1_29radix_sort_onesweep_iterationIS3_Lb1EPKmPmPS5_SB_mNS0_19identity_decomposerENS1_16block_id_wrapperIjLb0EEEEE10hipError_tT1_PNSt15iterator_traitsISG_E10value_typeET2_T3_PNSH_ISM_E10value_typeET4_T5_PSR_SS_PNS1_23onesweep_lookback_stateEbbT6_jjT7_P12ihipStream_tbENKUlT_T0_SG_SL_E_clISA_SA_SB_SB_EEDaSZ_S10_SG_SL_EUlSZ_E_NS1_11comp_targetILNS1_3genE5ELNS1_11target_archE942ELNS1_3gpuE9ELNS1_3repE0EEENS1_47radix_sort_onesweep_sort_config_static_selectorELNS0_4arch9wavefront6targetE0EEEvSG_,comdat
.Lfunc_end2909:
	.size	_ZN7rocprim17ROCPRIM_400000_NS6detail17trampoline_kernelINS0_14default_configENS1_35radix_sort_onesweep_config_selectorImNS0_10empty_typeEEEZZNS1_29radix_sort_onesweep_iterationIS3_Lb1EPKmPmPS5_SB_mNS0_19identity_decomposerENS1_16block_id_wrapperIjLb0EEEEE10hipError_tT1_PNSt15iterator_traitsISG_E10value_typeET2_T3_PNSH_ISM_E10value_typeET4_T5_PSR_SS_PNS1_23onesweep_lookback_stateEbbT6_jjT7_P12ihipStream_tbENKUlT_T0_SG_SL_E_clISA_SA_SB_SB_EEDaSZ_S10_SG_SL_EUlSZ_E_NS1_11comp_targetILNS1_3genE5ELNS1_11target_archE942ELNS1_3gpuE9ELNS1_3repE0EEENS1_47radix_sort_onesweep_sort_config_static_selectorELNS0_4arch9wavefront6targetE0EEEvSG_, .Lfunc_end2909-_ZN7rocprim17ROCPRIM_400000_NS6detail17trampoline_kernelINS0_14default_configENS1_35radix_sort_onesweep_config_selectorImNS0_10empty_typeEEEZZNS1_29radix_sort_onesweep_iterationIS3_Lb1EPKmPmPS5_SB_mNS0_19identity_decomposerENS1_16block_id_wrapperIjLb0EEEEE10hipError_tT1_PNSt15iterator_traitsISG_E10value_typeET2_T3_PNSH_ISM_E10value_typeET4_T5_PSR_SS_PNS1_23onesweep_lookback_stateEbbT6_jjT7_P12ihipStream_tbENKUlT_T0_SG_SL_E_clISA_SA_SB_SB_EEDaSZ_S10_SG_SL_EUlSZ_E_NS1_11comp_targetILNS1_3genE5ELNS1_11target_archE942ELNS1_3gpuE9ELNS1_3repE0EEENS1_47radix_sort_onesweep_sort_config_static_selectorELNS0_4arch9wavefront6targetE0EEEvSG_
                                        ; -- End function
	.set _ZN7rocprim17ROCPRIM_400000_NS6detail17trampoline_kernelINS0_14default_configENS1_35radix_sort_onesweep_config_selectorImNS0_10empty_typeEEEZZNS1_29radix_sort_onesweep_iterationIS3_Lb1EPKmPmPS5_SB_mNS0_19identity_decomposerENS1_16block_id_wrapperIjLb0EEEEE10hipError_tT1_PNSt15iterator_traitsISG_E10value_typeET2_T3_PNSH_ISM_E10value_typeET4_T5_PSR_SS_PNS1_23onesweep_lookback_stateEbbT6_jjT7_P12ihipStream_tbENKUlT_T0_SG_SL_E_clISA_SA_SB_SB_EEDaSZ_S10_SG_SL_EUlSZ_E_NS1_11comp_targetILNS1_3genE5ELNS1_11target_archE942ELNS1_3gpuE9ELNS1_3repE0EEENS1_47radix_sort_onesweep_sort_config_static_selectorELNS0_4arch9wavefront6targetE0EEEvSG_.num_vgpr, 0
	.set _ZN7rocprim17ROCPRIM_400000_NS6detail17trampoline_kernelINS0_14default_configENS1_35radix_sort_onesweep_config_selectorImNS0_10empty_typeEEEZZNS1_29radix_sort_onesweep_iterationIS3_Lb1EPKmPmPS5_SB_mNS0_19identity_decomposerENS1_16block_id_wrapperIjLb0EEEEE10hipError_tT1_PNSt15iterator_traitsISG_E10value_typeET2_T3_PNSH_ISM_E10value_typeET4_T5_PSR_SS_PNS1_23onesweep_lookback_stateEbbT6_jjT7_P12ihipStream_tbENKUlT_T0_SG_SL_E_clISA_SA_SB_SB_EEDaSZ_S10_SG_SL_EUlSZ_E_NS1_11comp_targetILNS1_3genE5ELNS1_11target_archE942ELNS1_3gpuE9ELNS1_3repE0EEENS1_47radix_sort_onesweep_sort_config_static_selectorELNS0_4arch9wavefront6targetE0EEEvSG_.num_agpr, 0
	.set _ZN7rocprim17ROCPRIM_400000_NS6detail17trampoline_kernelINS0_14default_configENS1_35radix_sort_onesweep_config_selectorImNS0_10empty_typeEEEZZNS1_29radix_sort_onesweep_iterationIS3_Lb1EPKmPmPS5_SB_mNS0_19identity_decomposerENS1_16block_id_wrapperIjLb0EEEEE10hipError_tT1_PNSt15iterator_traitsISG_E10value_typeET2_T3_PNSH_ISM_E10value_typeET4_T5_PSR_SS_PNS1_23onesweep_lookback_stateEbbT6_jjT7_P12ihipStream_tbENKUlT_T0_SG_SL_E_clISA_SA_SB_SB_EEDaSZ_S10_SG_SL_EUlSZ_E_NS1_11comp_targetILNS1_3genE5ELNS1_11target_archE942ELNS1_3gpuE9ELNS1_3repE0EEENS1_47radix_sort_onesweep_sort_config_static_selectorELNS0_4arch9wavefront6targetE0EEEvSG_.numbered_sgpr, 0
	.set _ZN7rocprim17ROCPRIM_400000_NS6detail17trampoline_kernelINS0_14default_configENS1_35radix_sort_onesweep_config_selectorImNS0_10empty_typeEEEZZNS1_29radix_sort_onesweep_iterationIS3_Lb1EPKmPmPS5_SB_mNS0_19identity_decomposerENS1_16block_id_wrapperIjLb0EEEEE10hipError_tT1_PNSt15iterator_traitsISG_E10value_typeET2_T3_PNSH_ISM_E10value_typeET4_T5_PSR_SS_PNS1_23onesweep_lookback_stateEbbT6_jjT7_P12ihipStream_tbENKUlT_T0_SG_SL_E_clISA_SA_SB_SB_EEDaSZ_S10_SG_SL_EUlSZ_E_NS1_11comp_targetILNS1_3genE5ELNS1_11target_archE942ELNS1_3gpuE9ELNS1_3repE0EEENS1_47radix_sort_onesweep_sort_config_static_selectorELNS0_4arch9wavefront6targetE0EEEvSG_.num_named_barrier, 0
	.set _ZN7rocprim17ROCPRIM_400000_NS6detail17trampoline_kernelINS0_14default_configENS1_35radix_sort_onesweep_config_selectorImNS0_10empty_typeEEEZZNS1_29radix_sort_onesweep_iterationIS3_Lb1EPKmPmPS5_SB_mNS0_19identity_decomposerENS1_16block_id_wrapperIjLb0EEEEE10hipError_tT1_PNSt15iterator_traitsISG_E10value_typeET2_T3_PNSH_ISM_E10value_typeET4_T5_PSR_SS_PNS1_23onesweep_lookback_stateEbbT6_jjT7_P12ihipStream_tbENKUlT_T0_SG_SL_E_clISA_SA_SB_SB_EEDaSZ_S10_SG_SL_EUlSZ_E_NS1_11comp_targetILNS1_3genE5ELNS1_11target_archE942ELNS1_3gpuE9ELNS1_3repE0EEENS1_47radix_sort_onesweep_sort_config_static_selectorELNS0_4arch9wavefront6targetE0EEEvSG_.private_seg_size, 0
	.set _ZN7rocprim17ROCPRIM_400000_NS6detail17trampoline_kernelINS0_14default_configENS1_35radix_sort_onesweep_config_selectorImNS0_10empty_typeEEEZZNS1_29radix_sort_onesweep_iterationIS3_Lb1EPKmPmPS5_SB_mNS0_19identity_decomposerENS1_16block_id_wrapperIjLb0EEEEE10hipError_tT1_PNSt15iterator_traitsISG_E10value_typeET2_T3_PNSH_ISM_E10value_typeET4_T5_PSR_SS_PNS1_23onesweep_lookback_stateEbbT6_jjT7_P12ihipStream_tbENKUlT_T0_SG_SL_E_clISA_SA_SB_SB_EEDaSZ_S10_SG_SL_EUlSZ_E_NS1_11comp_targetILNS1_3genE5ELNS1_11target_archE942ELNS1_3gpuE9ELNS1_3repE0EEENS1_47radix_sort_onesweep_sort_config_static_selectorELNS0_4arch9wavefront6targetE0EEEvSG_.uses_vcc, 0
	.set _ZN7rocprim17ROCPRIM_400000_NS6detail17trampoline_kernelINS0_14default_configENS1_35radix_sort_onesweep_config_selectorImNS0_10empty_typeEEEZZNS1_29radix_sort_onesweep_iterationIS3_Lb1EPKmPmPS5_SB_mNS0_19identity_decomposerENS1_16block_id_wrapperIjLb0EEEEE10hipError_tT1_PNSt15iterator_traitsISG_E10value_typeET2_T3_PNSH_ISM_E10value_typeET4_T5_PSR_SS_PNS1_23onesweep_lookback_stateEbbT6_jjT7_P12ihipStream_tbENKUlT_T0_SG_SL_E_clISA_SA_SB_SB_EEDaSZ_S10_SG_SL_EUlSZ_E_NS1_11comp_targetILNS1_3genE5ELNS1_11target_archE942ELNS1_3gpuE9ELNS1_3repE0EEENS1_47radix_sort_onesweep_sort_config_static_selectorELNS0_4arch9wavefront6targetE0EEEvSG_.uses_flat_scratch, 0
	.set _ZN7rocprim17ROCPRIM_400000_NS6detail17trampoline_kernelINS0_14default_configENS1_35radix_sort_onesweep_config_selectorImNS0_10empty_typeEEEZZNS1_29radix_sort_onesweep_iterationIS3_Lb1EPKmPmPS5_SB_mNS0_19identity_decomposerENS1_16block_id_wrapperIjLb0EEEEE10hipError_tT1_PNSt15iterator_traitsISG_E10value_typeET2_T3_PNSH_ISM_E10value_typeET4_T5_PSR_SS_PNS1_23onesweep_lookback_stateEbbT6_jjT7_P12ihipStream_tbENKUlT_T0_SG_SL_E_clISA_SA_SB_SB_EEDaSZ_S10_SG_SL_EUlSZ_E_NS1_11comp_targetILNS1_3genE5ELNS1_11target_archE942ELNS1_3gpuE9ELNS1_3repE0EEENS1_47radix_sort_onesweep_sort_config_static_selectorELNS0_4arch9wavefront6targetE0EEEvSG_.has_dyn_sized_stack, 0
	.set _ZN7rocprim17ROCPRIM_400000_NS6detail17trampoline_kernelINS0_14default_configENS1_35radix_sort_onesweep_config_selectorImNS0_10empty_typeEEEZZNS1_29radix_sort_onesweep_iterationIS3_Lb1EPKmPmPS5_SB_mNS0_19identity_decomposerENS1_16block_id_wrapperIjLb0EEEEE10hipError_tT1_PNSt15iterator_traitsISG_E10value_typeET2_T3_PNSH_ISM_E10value_typeET4_T5_PSR_SS_PNS1_23onesweep_lookback_stateEbbT6_jjT7_P12ihipStream_tbENKUlT_T0_SG_SL_E_clISA_SA_SB_SB_EEDaSZ_S10_SG_SL_EUlSZ_E_NS1_11comp_targetILNS1_3genE5ELNS1_11target_archE942ELNS1_3gpuE9ELNS1_3repE0EEENS1_47radix_sort_onesweep_sort_config_static_selectorELNS0_4arch9wavefront6targetE0EEEvSG_.has_recursion, 0
	.set _ZN7rocprim17ROCPRIM_400000_NS6detail17trampoline_kernelINS0_14default_configENS1_35radix_sort_onesweep_config_selectorImNS0_10empty_typeEEEZZNS1_29radix_sort_onesweep_iterationIS3_Lb1EPKmPmPS5_SB_mNS0_19identity_decomposerENS1_16block_id_wrapperIjLb0EEEEE10hipError_tT1_PNSt15iterator_traitsISG_E10value_typeET2_T3_PNSH_ISM_E10value_typeET4_T5_PSR_SS_PNS1_23onesweep_lookback_stateEbbT6_jjT7_P12ihipStream_tbENKUlT_T0_SG_SL_E_clISA_SA_SB_SB_EEDaSZ_S10_SG_SL_EUlSZ_E_NS1_11comp_targetILNS1_3genE5ELNS1_11target_archE942ELNS1_3gpuE9ELNS1_3repE0EEENS1_47radix_sort_onesweep_sort_config_static_selectorELNS0_4arch9wavefront6targetE0EEEvSG_.has_indirect_call, 0
	.section	.AMDGPU.csdata,"",@progbits
; Kernel info:
; codeLenInByte = 0
; TotalNumSgprs: 0
; NumVgprs: 0
; ScratchSize: 0
; MemoryBound: 0
; FloatMode: 240
; IeeeMode: 1
; LDSByteSize: 0 bytes/workgroup (compile time only)
; SGPRBlocks: 0
; VGPRBlocks: 0
; NumSGPRsForWavesPerEU: 1
; NumVGPRsForWavesPerEU: 1
; NamedBarCnt: 0
; Occupancy: 16
; WaveLimiterHint : 0
; COMPUTE_PGM_RSRC2:SCRATCH_EN: 0
; COMPUTE_PGM_RSRC2:USER_SGPR: 2
; COMPUTE_PGM_RSRC2:TRAP_HANDLER: 0
; COMPUTE_PGM_RSRC2:TGID_X_EN: 1
; COMPUTE_PGM_RSRC2:TGID_Y_EN: 0
; COMPUTE_PGM_RSRC2:TGID_Z_EN: 0
; COMPUTE_PGM_RSRC2:TIDIG_COMP_CNT: 0
	.section	.text._ZN7rocprim17ROCPRIM_400000_NS6detail17trampoline_kernelINS0_14default_configENS1_35radix_sort_onesweep_config_selectorImNS0_10empty_typeEEEZZNS1_29radix_sort_onesweep_iterationIS3_Lb1EPKmPmPS5_SB_mNS0_19identity_decomposerENS1_16block_id_wrapperIjLb0EEEEE10hipError_tT1_PNSt15iterator_traitsISG_E10value_typeET2_T3_PNSH_ISM_E10value_typeET4_T5_PSR_SS_PNS1_23onesweep_lookback_stateEbbT6_jjT7_P12ihipStream_tbENKUlT_T0_SG_SL_E_clISA_SA_SB_SB_EEDaSZ_S10_SG_SL_EUlSZ_E_NS1_11comp_targetILNS1_3genE2ELNS1_11target_archE906ELNS1_3gpuE6ELNS1_3repE0EEENS1_47radix_sort_onesweep_sort_config_static_selectorELNS0_4arch9wavefront6targetE0EEEvSG_,"axG",@progbits,_ZN7rocprim17ROCPRIM_400000_NS6detail17trampoline_kernelINS0_14default_configENS1_35radix_sort_onesweep_config_selectorImNS0_10empty_typeEEEZZNS1_29radix_sort_onesweep_iterationIS3_Lb1EPKmPmPS5_SB_mNS0_19identity_decomposerENS1_16block_id_wrapperIjLb0EEEEE10hipError_tT1_PNSt15iterator_traitsISG_E10value_typeET2_T3_PNSH_ISM_E10value_typeET4_T5_PSR_SS_PNS1_23onesweep_lookback_stateEbbT6_jjT7_P12ihipStream_tbENKUlT_T0_SG_SL_E_clISA_SA_SB_SB_EEDaSZ_S10_SG_SL_EUlSZ_E_NS1_11comp_targetILNS1_3genE2ELNS1_11target_archE906ELNS1_3gpuE6ELNS1_3repE0EEENS1_47radix_sort_onesweep_sort_config_static_selectorELNS0_4arch9wavefront6targetE0EEEvSG_,comdat
	.protected	_ZN7rocprim17ROCPRIM_400000_NS6detail17trampoline_kernelINS0_14default_configENS1_35radix_sort_onesweep_config_selectorImNS0_10empty_typeEEEZZNS1_29radix_sort_onesweep_iterationIS3_Lb1EPKmPmPS5_SB_mNS0_19identity_decomposerENS1_16block_id_wrapperIjLb0EEEEE10hipError_tT1_PNSt15iterator_traitsISG_E10value_typeET2_T3_PNSH_ISM_E10value_typeET4_T5_PSR_SS_PNS1_23onesweep_lookback_stateEbbT6_jjT7_P12ihipStream_tbENKUlT_T0_SG_SL_E_clISA_SA_SB_SB_EEDaSZ_S10_SG_SL_EUlSZ_E_NS1_11comp_targetILNS1_3genE2ELNS1_11target_archE906ELNS1_3gpuE6ELNS1_3repE0EEENS1_47radix_sort_onesweep_sort_config_static_selectorELNS0_4arch9wavefront6targetE0EEEvSG_ ; -- Begin function _ZN7rocprim17ROCPRIM_400000_NS6detail17trampoline_kernelINS0_14default_configENS1_35radix_sort_onesweep_config_selectorImNS0_10empty_typeEEEZZNS1_29radix_sort_onesweep_iterationIS3_Lb1EPKmPmPS5_SB_mNS0_19identity_decomposerENS1_16block_id_wrapperIjLb0EEEEE10hipError_tT1_PNSt15iterator_traitsISG_E10value_typeET2_T3_PNSH_ISM_E10value_typeET4_T5_PSR_SS_PNS1_23onesweep_lookback_stateEbbT6_jjT7_P12ihipStream_tbENKUlT_T0_SG_SL_E_clISA_SA_SB_SB_EEDaSZ_S10_SG_SL_EUlSZ_E_NS1_11comp_targetILNS1_3genE2ELNS1_11target_archE906ELNS1_3gpuE6ELNS1_3repE0EEENS1_47radix_sort_onesweep_sort_config_static_selectorELNS0_4arch9wavefront6targetE0EEEvSG_
	.globl	_ZN7rocprim17ROCPRIM_400000_NS6detail17trampoline_kernelINS0_14default_configENS1_35radix_sort_onesweep_config_selectorImNS0_10empty_typeEEEZZNS1_29radix_sort_onesweep_iterationIS3_Lb1EPKmPmPS5_SB_mNS0_19identity_decomposerENS1_16block_id_wrapperIjLb0EEEEE10hipError_tT1_PNSt15iterator_traitsISG_E10value_typeET2_T3_PNSH_ISM_E10value_typeET4_T5_PSR_SS_PNS1_23onesweep_lookback_stateEbbT6_jjT7_P12ihipStream_tbENKUlT_T0_SG_SL_E_clISA_SA_SB_SB_EEDaSZ_S10_SG_SL_EUlSZ_E_NS1_11comp_targetILNS1_3genE2ELNS1_11target_archE906ELNS1_3gpuE6ELNS1_3repE0EEENS1_47radix_sort_onesweep_sort_config_static_selectorELNS0_4arch9wavefront6targetE0EEEvSG_
	.p2align	8
	.type	_ZN7rocprim17ROCPRIM_400000_NS6detail17trampoline_kernelINS0_14default_configENS1_35radix_sort_onesweep_config_selectorImNS0_10empty_typeEEEZZNS1_29radix_sort_onesweep_iterationIS3_Lb1EPKmPmPS5_SB_mNS0_19identity_decomposerENS1_16block_id_wrapperIjLb0EEEEE10hipError_tT1_PNSt15iterator_traitsISG_E10value_typeET2_T3_PNSH_ISM_E10value_typeET4_T5_PSR_SS_PNS1_23onesweep_lookback_stateEbbT6_jjT7_P12ihipStream_tbENKUlT_T0_SG_SL_E_clISA_SA_SB_SB_EEDaSZ_S10_SG_SL_EUlSZ_E_NS1_11comp_targetILNS1_3genE2ELNS1_11target_archE906ELNS1_3gpuE6ELNS1_3repE0EEENS1_47radix_sort_onesweep_sort_config_static_selectorELNS0_4arch9wavefront6targetE0EEEvSG_,@function
_ZN7rocprim17ROCPRIM_400000_NS6detail17trampoline_kernelINS0_14default_configENS1_35radix_sort_onesweep_config_selectorImNS0_10empty_typeEEEZZNS1_29radix_sort_onesweep_iterationIS3_Lb1EPKmPmPS5_SB_mNS0_19identity_decomposerENS1_16block_id_wrapperIjLb0EEEEE10hipError_tT1_PNSt15iterator_traitsISG_E10value_typeET2_T3_PNSH_ISM_E10value_typeET4_T5_PSR_SS_PNS1_23onesweep_lookback_stateEbbT6_jjT7_P12ihipStream_tbENKUlT_T0_SG_SL_E_clISA_SA_SB_SB_EEDaSZ_S10_SG_SL_EUlSZ_E_NS1_11comp_targetILNS1_3genE2ELNS1_11target_archE906ELNS1_3gpuE6ELNS1_3repE0EEENS1_47radix_sort_onesweep_sort_config_static_selectorELNS0_4arch9wavefront6targetE0EEEvSG_: ; @_ZN7rocprim17ROCPRIM_400000_NS6detail17trampoline_kernelINS0_14default_configENS1_35radix_sort_onesweep_config_selectorImNS0_10empty_typeEEEZZNS1_29radix_sort_onesweep_iterationIS3_Lb1EPKmPmPS5_SB_mNS0_19identity_decomposerENS1_16block_id_wrapperIjLb0EEEEE10hipError_tT1_PNSt15iterator_traitsISG_E10value_typeET2_T3_PNSH_ISM_E10value_typeET4_T5_PSR_SS_PNS1_23onesweep_lookback_stateEbbT6_jjT7_P12ihipStream_tbENKUlT_T0_SG_SL_E_clISA_SA_SB_SB_EEDaSZ_S10_SG_SL_EUlSZ_E_NS1_11comp_targetILNS1_3genE2ELNS1_11target_archE906ELNS1_3gpuE6ELNS1_3repE0EEENS1_47radix_sort_onesweep_sort_config_static_selectorELNS0_4arch9wavefront6targetE0EEEvSG_
; %bb.0:
	.section	.rodata,"a",@progbits
	.p2align	6, 0x0
	.amdhsa_kernel _ZN7rocprim17ROCPRIM_400000_NS6detail17trampoline_kernelINS0_14default_configENS1_35radix_sort_onesweep_config_selectorImNS0_10empty_typeEEEZZNS1_29radix_sort_onesweep_iterationIS3_Lb1EPKmPmPS5_SB_mNS0_19identity_decomposerENS1_16block_id_wrapperIjLb0EEEEE10hipError_tT1_PNSt15iterator_traitsISG_E10value_typeET2_T3_PNSH_ISM_E10value_typeET4_T5_PSR_SS_PNS1_23onesweep_lookback_stateEbbT6_jjT7_P12ihipStream_tbENKUlT_T0_SG_SL_E_clISA_SA_SB_SB_EEDaSZ_S10_SG_SL_EUlSZ_E_NS1_11comp_targetILNS1_3genE2ELNS1_11target_archE906ELNS1_3gpuE6ELNS1_3repE0EEENS1_47radix_sort_onesweep_sort_config_static_selectorELNS0_4arch9wavefront6targetE0EEEvSG_
		.amdhsa_group_segment_fixed_size 0
		.amdhsa_private_segment_fixed_size 0
		.amdhsa_kernarg_size 88
		.amdhsa_user_sgpr_count 2
		.amdhsa_user_sgpr_dispatch_ptr 0
		.amdhsa_user_sgpr_queue_ptr 0
		.amdhsa_user_sgpr_kernarg_segment_ptr 1
		.amdhsa_user_sgpr_dispatch_id 0
		.amdhsa_user_sgpr_kernarg_preload_length 0
		.amdhsa_user_sgpr_kernarg_preload_offset 0
		.amdhsa_user_sgpr_private_segment_size 0
		.amdhsa_wavefront_size32 1
		.amdhsa_uses_dynamic_stack 0
		.amdhsa_enable_private_segment 0
		.amdhsa_system_sgpr_workgroup_id_x 1
		.amdhsa_system_sgpr_workgroup_id_y 0
		.amdhsa_system_sgpr_workgroup_id_z 0
		.amdhsa_system_sgpr_workgroup_info 0
		.amdhsa_system_vgpr_workitem_id 0
		.amdhsa_next_free_vgpr 1
		.amdhsa_next_free_sgpr 1
		.amdhsa_named_barrier_count 0
		.amdhsa_reserve_vcc 0
		.amdhsa_float_round_mode_32 0
		.amdhsa_float_round_mode_16_64 0
		.amdhsa_float_denorm_mode_32 3
		.amdhsa_float_denorm_mode_16_64 3
		.amdhsa_fp16_overflow 0
		.amdhsa_memory_ordered 1
		.amdhsa_forward_progress 1
		.amdhsa_inst_pref_size 0
		.amdhsa_round_robin_scheduling 0
		.amdhsa_exception_fp_ieee_invalid_op 0
		.amdhsa_exception_fp_denorm_src 0
		.amdhsa_exception_fp_ieee_div_zero 0
		.amdhsa_exception_fp_ieee_overflow 0
		.amdhsa_exception_fp_ieee_underflow 0
		.amdhsa_exception_fp_ieee_inexact 0
		.amdhsa_exception_int_div_zero 0
	.end_amdhsa_kernel
	.section	.text._ZN7rocprim17ROCPRIM_400000_NS6detail17trampoline_kernelINS0_14default_configENS1_35radix_sort_onesweep_config_selectorImNS0_10empty_typeEEEZZNS1_29radix_sort_onesweep_iterationIS3_Lb1EPKmPmPS5_SB_mNS0_19identity_decomposerENS1_16block_id_wrapperIjLb0EEEEE10hipError_tT1_PNSt15iterator_traitsISG_E10value_typeET2_T3_PNSH_ISM_E10value_typeET4_T5_PSR_SS_PNS1_23onesweep_lookback_stateEbbT6_jjT7_P12ihipStream_tbENKUlT_T0_SG_SL_E_clISA_SA_SB_SB_EEDaSZ_S10_SG_SL_EUlSZ_E_NS1_11comp_targetILNS1_3genE2ELNS1_11target_archE906ELNS1_3gpuE6ELNS1_3repE0EEENS1_47radix_sort_onesweep_sort_config_static_selectorELNS0_4arch9wavefront6targetE0EEEvSG_,"axG",@progbits,_ZN7rocprim17ROCPRIM_400000_NS6detail17trampoline_kernelINS0_14default_configENS1_35radix_sort_onesweep_config_selectorImNS0_10empty_typeEEEZZNS1_29radix_sort_onesweep_iterationIS3_Lb1EPKmPmPS5_SB_mNS0_19identity_decomposerENS1_16block_id_wrapperIjLb0EEEEE10hipError_tT1_PNSt15iterator_traitsISG_E10value_typeET2_T3_PNSH_ISM_E10value_typeET4_T5_PSR_SS_PNS1_23onesweep_lookback_stateEbbT6_jjT7_P12ihipStream_tbENKUlT_T0_SG_SL_E_clISA_SA_SB_SB_EEDaSZ_S10_SG_SL_EUlSZ_E_NS1_11comp_targetILNS1_3genE2ELNS1_11target_archE906ELNS1_3gpuE6ELNS1_3repE0EEENS1_47radix_sort_onesweep_sort_config_static_selectorELNS0_4arch9wavefront6targetE0EEEvSG_,comdat
.Lfunc_end2910:
	.size	_ZN7rocprim17ROCPRIM_400000_NS6detail17trampoline_kernelINS0_14default_configENS1_35radix_sort_onesweep_config_selectorImNS0_10empty_typeEEEZZNS1_29radix_sort_onesweep_iterationIS3_Lb1EPKmPmPS5_SB_mNS0_19identity_decomposerENS1_16block_id_wrapperIjLb0EEEEE10hipError_tT1_PNSt15iterator_traitsISG_E10value_typeET2_T3_PNSH_ISM_E10value_typeET4_T5_PSR_SS_PNS1_23onesweep_lookback_stateEbbT6_jjT7_P12ihipStream_tbENKUlT_T0_SG_SL_E_clISA_SA_SB_SB_EEDaSZ_S10_SG_SL_EUlSZ_E_NS1_11comp_targetILNS1_3genE2ELNS1_11target_archE906ELNS1_3gpuE6ELNS1_3repE0EEENS1_47radix_sort_onesweep_sort_config_static_selectorELNS0_4arch9wavefront6targetE0EEEvSG_, .Lfunc_end2910-_ZN7rocprim17ROCPRIM_400000_NS6detail17trampoline_kernelINS0_14default_configENS1_35radix_sort_onesweep_config_selectorImNS0_10empty_typeEEEZZNS1_29radix_sort_onesweep_iterationIS3_Lb1EPKmPmPS5_SB_mNS0_19identity_decomposerENS1_16block_id_wrapperIjLb0EEEEE10hipError_tT1_PNSt15iterator_traitsISG_E10value_typeET2_T3_PNSH_ISM_E10value_typeET4_T5_PSR_SS_PNS1_23onesweep_lookback_stateEbbT6_jjT7_P12ihipStream_tbENKUlT_T0_SG_SL_E_clISA_SA_SB_SB_EEDaSZ_S10_SG_SL_EUlSZ_E_NS1_11comp_targetILNS1_3genE2ELNS1_11target_archE906ELNS1_3gpuE6ELNS1_3repE0EEENS1_47radix_sort_onesweep_sort_config_static_selectorELNS0_4arch9wavefront6targetE0EEEvSG_
                                        ; -- End function
	.set _ZN7rocprim17ROCPRIM_400000_NS6detail17trampoline_kernelINS0_14default_configENS1_35radix_sort_onesweep_config_selectorImNS0_10empty_typeEEEZZNS1_29radix_sort_onesweep_iterationIS3_Lb1EPKmPmPS5_SB_mNS0_19identity_decomposerENS1_16block_id_wrapperIjLb0EEEEE10hipError_tT1_PNSt15iterator_traitsISG_E10value_typeET2_T3_PNSH_ISM_E10value_typeET4_T5_PSR_SS_PNS1_23onesweep_lookback_stateEbbT6_jjT7_P12ihipStream_tbENKUlT_T0_SG_SL_E_clISA_SA_SB_SB_EEDaSZ_S10_SG_SL_EUlSZ_E_NS1_11comp_targetILNS1_3genE2ELNS1_11target_archE906ELNS1_3gpuE6ELNS1_3repE0EEENS1_47radix_sort_onesweep_sort_config_static_selectorELNS0_4arch9wavefront6targetE0EEEvSG_.num_vgpr, 0
	.set _ZN7rocprim17ROCPRIM_400000_NS6detail17trampoline_kernelINS0_14default_configENS1_35radix_sort_onesweep_config_selectorImNS0_10empty_typeEEEZZNS1_29radix_sort_onesweep_iterationIS3_Lb1EPKmPmPS5_SB_mNS0_19identity_decomposerENS1_16block_id_wrapperIjLb0EEEEE10hipError_tT1_PNSt15iterator_traitsISG_E10value_typeET2_T3_PNSH_ISM_E10value_typeET4_T5_PSR_SS_PNS1_23onesweep_lookback_stateEbbT6_jjT7_P12ihipStream_tbENKUlT_T0_SG_SL_E_clISA_SA_SB_SB_EEDaSZ_S10_SG_SL_EUlSZ_E_NS1_11comp_targetILNS1_3genE2ELNS1_11target_archE906ELNS1_3gpuE6ELNS1_3repE0EEENS1_47radix_sort_onesweep_sort_config_static_selectorELNS0_4arch9wavefront6targetE0EEEvSG_.num_agpr, 0
	.set _ZN7rocprim17ROCPRIM_400000_NS6detail17trampoline_kernelINS0_14default_configENS1_35radix_sort_onesweep_config_selectorImNS0_10empty_typeEEEZZNS1_29radix_sort_onesweep_iterationIS3_Lb1EPKmPmPS5_SB_mNS0_19identity_decomposerENS1_16block_id_wrapperIjLb0EEEEE10hipError_tT1_PNSt15iterator_traitsISG_E10value_typeET2_T3_PNSH_ISM_E10value_typeET4_T5_PSR_SS_PNS1_23onesweep_lookback_stateEbbT6_jjT7_P12ihipStream_tbENKUlT_T0_SG_SL_E_clISA_SA_SB_SB_EEDaSZ_S10_SG_SL_EUlSZ_E_NS1_11comp_targetILNS1_3genE2ELNS1_11target_archE906ELNS1_3gpuE6ELNS1_3repE0EEENS1_47radix_sort_onesweep_sort_config_static_selectorELNS0_4arch9wavefront6targetE0EEEvSG_.numbered_sgpr, 0
	.set _ZN7rocprim17ROCPRIM_400000_NS6detail17trampoline_kernelINS0_14default_configENS1_35radix_sort_onesweep_config_selectorImNS0_10empty_typeEEEZZNS1_29radix_sort_onesweep_iterationIS3_Lb1EPKmPmPS5_SB_mNS0_19identity_decomposerENS1_16block_id_wrapperIjLb0EEEEE10hipError_tT1_PNSt15iterator_traitsISG_E10value_typeET2_T3_PNSH_ISM_E10value_typeET4_T5_PSR_SS_PNS1_23onesweep_lookback_stateEbbT6_jjT7_P12ihipStream_tbENKUlT_T0_SG_SL_E_clISA_SA_SB_SB_EEDaSZ_S10_SG_SL_EUlSZ_E_NS1_11comp_targetILNS1_3genE2ELNS1_11target_archE906ELNS1_3gpuE6ELNS1_3repE0EEENS1_47radix_sort_onesweep_sort_config_static_selectorELNS0_4arch9wavefront6targetE0EEEvSG_.num_named_barrier, 0
	.set _ZN7rocprim17ROCPRIM_400000_NS6detail17trampoline_kernelINS0_14default_configENS1_35radix_sort_onesweep_config_selectorImNS0_10empty_typeEEEZZNS1_29radix_sort_onesweep_iterationIS3_Lb1EPKmPmPS5_SB_mNS0_19identity_decomposerENS1_16block_id_wrapperIjLb0EEEEE10hipError_tT1_PNSt15iterator_traitsISG_E10value_typeET2_T3_PNSH_ISM_E10value_typeET4_T5_PSR_SS_PNS1_23onesweep_lookback_stateEbbT6_jjT7_P12ihipStream_tbENKUlT_T0_SG_SL_E_clISA_SA_SB_SB_EEDaSZ_S10_SG_SL_EUlSZ_E_NS1_11comp_targetILNS1_3genE2ELNS1_11target_archE906ELNS1_3gpuE6ELNS1_3repE0EEENS1_47radix_sort_onesweep_sort_config_static_selectorELNS0_4arch9wavefront6targetE0EEEvSG_.private_seg_size, 0
	.set _ZN7rocprim17ROCPRIM_400000_NS6detail17trampoline_kernelINS0_14default_configENS1_35radix_sort_onesweep_config_selectorImNS0_10empty_typeEEEZZNS1_29radix_sort_onesweep_iterationIS3_Lb1EPKmPmPS5_SB_mNS0_19identity_decomposerENS1_16block_id_wrapperIjLb0EEEEE10hipError_tT1_PNSt15iterator_traitsISG_E10value_typeET2_T3_PNSH_ISM_E10value_typeET4_T5_PSR_SS_PNS1_23onesweep_lookback_stateEbbT6_jjT7_P12ihipStream_tbENKUlT_T0_SG_SL_E_clISA_SA_SB_SB_EEDaSZ_S10_SG_SL_EUlSZ_E_NS1_11comp_targetILNS1_3genE2ELNS1_11target_archE906ELNS1_3gpuE6ELNS1_3repE0EEENS1_47radix_sort_onesweep_sort_config_static_selectorELNS0_4arch9wavefront6targetE0EEEvSG_.uses_vcc, 0
	.set _ZN7rocprim17ROCPRIM_400000_NS6detail17trampoline_kernelINS0_14default_configENS1_35radix_sort_onesweep_config_selectorImNS0_10empty_typeEEEZZNS1_29radix_sort_onesweep_iterationIS3_Lb1EPKmPmPS5_SB_mNS0_19identity_decomposerENS1_16block_id_wrapperIjLb0EEEEE10hipError_tT1_PNSt15iterator_traitsISG_E10value_typeET2_T3_PNSH_ISM_E10value_typeET4_T5_PSR_SS_PNS1_23onesweep_lookback_stateEbbT6_jjT7_P12ihipStream_tbENKUlT_T0_SG_SL_E_clISA_SA_SB_SB_EEDaSZ_S10_SG_SL_EUlSZ_E_NS1_11comp_targetILNS1_3genE2ELNS1_11target_archE906ELNS1_3gpuE6ELNS1_3repE0EEENS1_47radix_sort_onesweep_sort_config_static_selectorELNS0_4arch9wavefront6targetE0EEEvSG_.uses_flat_scratch, 0
	.set _ZN7rocprim17ROCPRIM_400000_NS6detail17trampoline_kernelINS0_14default_configENS1_35radix_sort_onesweep_config_selectorImNS0_10empty_typeEEEZZNS1_29radix_sort_onesweep_iterationIS3_Lb1EPKmPmPS5_SB_mNS0_19identity_decomposerENS1_16block_id_wrapperIjLb0EEEEE10hipError_tT1_PNSt15iterator_traitsISG_E10value_typeET2_T3_PNSH_ISM_E10value_typeET4_T5_PSR_SS_PNS1_23onesweep_lookback_stateEbbT6_jjT7_P12ihipStream_tbENKUlT_T0_SG_SL_E_clISA_SA_SB_SB_EEDaSZ_S10_SG_SL_EUlSZ_E_NS1_11comp_targetILNS1_3genE2ELNS1_11target_archE906ELNS1_3gpuE6ELNS1_3repE0EEENS1_47radix_sort_onesweep_sort_config_static_selectorELNS0_4arch9wavefront6targetE0EEEvSG_.has_dyn_sized_stack, 0
	.set _ZN7rocprim17ROCPRIM_400000_NS6detail17trampoline_kernelINS0_14default_configENS1_35radix_sort_onesweep_config_selectorImNS0_10empty_typeEEEZZNS1_29radix_sort_onesweep_iterationIS3_Lb1EPKmPmPS5_SB_mNS0_19identity_decomposerENS1_16block_id_wrapperIjLb0EEEEE10hipError_tT1_PNSt15iterator_traitsISG_E10value_typeET2_T3_PNSH_ISM_E10value_typeET4_T5_PSR_SS_PNS1_23onesweep_lookback_stateEbbT6_jjT7_P12ihipStream_tbENKUlT_T0_SG_SL_E_clISA_SA_SB_SB_EEDaSZ_S10_SG_SL_EUlSZ_E_NS1_11comp_targetILNS1_3genE2ELNS1_11target_archE906ELNS1_3gpuE6ELNS1_3repE0EEENS1_47radix_sort_onesweep_sort_config_static_selectorELNS0_4arch9wavefront6targetE0EEEvSG_.has_recursion, 0
	.set _ZN7rocprim17ROCPRIM_400000_NS6detail17trampoline_kernelINS0_14default_configENS1_35radix_sort_onesweep_config_selectorImNS0_10empty_typeEEEZZNS1_29radix_sort_onesweep_iterationIS3_Lb1EPKmPmPS5_SB_mNS0_19identity_decomposerENS1_16block_id_wrapperIjLb0EEEEE10hipError_tT1_PNSt15iterator_traitsISG_E10value_typeET2_T3_PNSH_ISM_E10value_typeET4_T5_PSR_SS_PNS1_23onesweep_lookback_stateEbbT6_jjT7_P12ihipStream_tbENKUlT_T0_SG_SL_E_clISA_SA_SB_SB_EEDaSZ_S10_SG_SL_EUlSZ_E_NS1_11comp_targetILNS1_3genE2ELNS1_11target_archE906ELNS1_3gpuE6ELNS1_3repE0EEENS1_47radix_sort_onesweep_sort_config_static_selectorELNS0_4arch9wavefront6targetE0EEEvSG_.has_indirect_call, 0
	.section	.AMDGPU.csdata,"",@progbits
; Kernel info:
; codeLenInByte = 0
; TotalNumSgprs: 0
; NumVgprs: 0
; ScratchSize: 0
; MemoryBound: 0
; FloatMode: 240
; IeeeMode: 1
; LDSByteSize: 0 bytes/workgroup (compile time only)
; SGPRBlocks: 0
; VGPRBlocks: 0
; NumSGPRsForWavesPerEU: 1
; NumVGPRsForWavesPerEU: 1
; NamedBarCnt: 0
; Occupancy: 16
; WaveLimiterHint : 0
; COMPUTE_PGM_RSRC2:SCRATCH_EN: 0
; COMPUTE_PGM_RSRC2:USER_SGPR: 2
; COMPUTE_PGM_RSRC2:TRAP_HANDLER: 0
; COMPUTE_PGM_RSRC2:TGID_X_EN: 1
; COMPUTE_PGM_RSRC2:TGID_Y_EN: 0
; COMPUTE_PGM_RSRC2:TGID_Z_EN: 0
; COMPUTE_PGM_RSRC2:TIDIG_COMP_CNT: 0
	.section	.text._ZN7rocprim17ROCPRIM_400000_NS6detail17trampoline_kernelINS0_14default_configENS1_35radix_sort_onesweep_config_selectorImNS0_10empty_typeEEEZZNS1_29radix_sort_onesweep_iterationIS3_Lb1EPKmPmPS5_SB_mNS0_19identity_decomposerENS1_16block_id_wrapperIjLb0EEEEE10hipError_tT1_PNSt15iterator_traitsISG_E10value_typeET2_T3_PNSH_ISM_E10value_typeET4_T5_PSR_SS_PNS1_23onesweep_lookback_stateEbbT6_jjT7_P12ihipStream_tbENKUlT_T0_SG_SL_E_clISA_SA_SB_SB_EEDaSZ_S10_SG_SL_EUlSZ_E_NS1_11comp_targetILNS1_3genE4ELNS1_11target_archE910ELNS1_3gpuE8ELNS1_3repE0EEENS1_47radix_sort_onesweep_sort_config_static_selectorELNS0_4arch9wavefront6targetE0EEEvSG_,"axG",@progbits,_ZN7rocprim17ROCPRIM_400000_NS6detail17trampoline_kernelINS0_14default_configENS1_35radix_sort_onesweep_config_selectorImNS0_10empty_typeEEEZZNS1_29radix_sort_onesweep_iterationIS3_Lb1EPKmPmPS5_SB_mNS0_19identity_decomposerENS1_16block_id_wrapperIjLb0EEEEE10hipError_tT1_PNSt15iterator_traitsISG_E10value_typeET2_T3_PNSH_ISM_E10value_typeET4_T5_PSR_SS_PNS1_23onesweep_lookback_stateEbbT6_jjT7_P12ihipStream_tbENKUlT_T0_SG_SL_E_clISA_SA_SB_SB_EEDaSZ_S10_SG_SL_EUlSZ_E_NS1_11comp_targetILNS1_3genE4ELNS1_11target_archE910ELNS1_3gpuE8ELNS1_3repE0EEENS1_47radix_sort_onesweep_sort_config_static_selectorELNS0_4arch9wavefront6targetE0EEEvSG_,comdat
	.protected	_ZN7rocprim17ROCPRIM_400000_NS6detail17trampoline_kernelINS0_14default_configENS1_35radix_sort_onesweep_config_selectorImNS0_10empty_typeEEEZZNS1_29radix_sort_onesweep_iterationIS3_Lb1EPKmPmPS5_SB_mNS0_19identity_decomposerENS1_16block_id_wrapperIjLb0EEEEE10hipError_tT1_PNSt15iterator_traitsISG_E10value_typeET2_T3_PNSH_ISM_E10value_typeET4_T5_PSR_SS_PNS1_23onesweep_lookback_stateEbbT6_jjT7_P12ihipStream_tbENKUlT_T0_SG_SL_E_clISA_SA_SB_SB_EEDaSZ_S10_SG_SL_EUlSZ_E_NS1_11comp_targetILNS1_3genE4ELNS1_11target_archE910ELNS1_3gpuE8ELNS1_3repE0EEENS1_47radix_sort_onesweep_sort_config_static_selectorELNS0_4arch9wavefront6targetE0EEEvSG_ ; -- Begin function _ZN7rocprim17ROCPRIM_400000_NS6detail17trampoline_kernelINS0_14default_configENS1_35radix_sort_onesweep_config_selectorImNS0_10empty_typeEEEZZNS1_29radix_sort_onesweep_iterationIS3_Lb1EPKmPmPS5_SB_mNS0_19identity_decomposerENS1_16block_id_wrapperIjLb0EEEEE10hipError_tT1_PNSt15iterator_traitsISG_E10value_typeET2_T3_PNSH_ISM_E10value_typeET4_T5_PSR_SS_PNS1_23onesweep_lookback_stateEbbT6_jjT7_P12ihipStream_tbENKUlT_T0_SG_SL_E_clISA_SA_SB_SB_EEDaSZ_S10_SG_SL_EUlSZ_E_NS1_11comp_targetILNS1_3genE4ELNS1_11target_archE910ELNS1_3gpuE8ELNS1_3repE0EEENS1_47radix_sort_onesweep_sort_config_static_selectorELNS0_4arch9wavefront6targetE0EEEvSG_
	.globl	_ZN7rocprim17ROCPRIM_400000_NS6detail17trampoline_kernelINS0_14default_configENS1_35radix_sort_onesweep_config_selectorImNS0_10empty_typeEEEZZNS1_29radix_sort_onesweep_iterationIS3_Lb1EPKmPmPS5_SB_mNS0_19identity_decomposerENS1_16block_id_wrapperIjLb0EEEEE10hipError_tT1_PNSt15iterator_traitsISG_E10value_typeET2_T3_PNSH_ISM_E10value_typeET4_T5_PSR_SS_PNS1_23onesweep_lookback_stateEbbT6_jjT7_P12ihipStream_tbENKUlT_T0_SG_SL_E_clISA_SA_SB_SB_EEDaSZ_S10_SG_SL_EUlSZ_E_NS1_11comp_targetILNS1_3genE4ELNS1_11target_archE910ELNS1_3gpuE8ELNS1_3repE0EEENS1_47radix_sort_onesweep_sort_config_static_selectorELNS0_4arch9wavefront6targetE0EEEvSG_
	.p2align	8
	.type	_ZN7rocprim17ROCPRIM_400000_NS6detail17trampoline_kernelINS0_14default_configENS1_35radix_sort_onesweep_config_selectorImNS0_10empty_typeEEEZZNS1_29radix_sort_onesweep_iterationIS3_Lb1EPKmPmPS5_SB_mNS0_19identity_decomposerENS1_16block_id_wrapperIjLb0EEEEE10hipError_tT1_PNSt15iterator_traitsISG_E10value_typeET2_T3_PNSH_ISM_E10value_typeET4_T5_PSR_SS_PNS1_23onesweep_lookback_stateEbbT6_jjT7_P12ihipStream_tbENKUlT_T0_SG_SL_E_clISA_SA_SB_SB_EEDaSZ_S10_SG_SL_EUlSZ_E_NS1_11comp_targetILNS1_3genE4ELNS1_11target_archE910ELNS1_3gpuE8ELNS1_3repE0EEENS1_47radix_sort_onesweep_sort_config_static_selectorELNS0_4arch9wavefront6targetE0EEEvSG_,@function
_ZN7rocprim17ROCPRIM_400000_NS6detail17trampoline_kernelINS0_14default_configENS1_35radix_sort_onesweep_config_selectorImNS0_10empty_typeEEEZZNS1_29radix_sort_onesweep_iterationIS3_Lb1EPKmPmPS5_SB_mNS0_19identity_decomposerENS1_16block_id_wrapperIjLb0EEEEE10hipError_tT1_PNSt15iterator_traitsISG_E10value_typeET2_T3_PNSH_ISM_E10value_typeET4_T5_PSR_SS_PNS1_23onesweep_lookback_stateEbbT6_jjT7_P12ihipStream_tbENKUlT_T0_SG_SL_E_clISA_SA_SB_SB_EEDaSZ_S10_SG_SL_EUlSZ_E_NS1_11comp_targetILNS1_3genE4ELNS1_11target_archE910ELNS1_3gpuE8ELNS1_3repE0EEENS1_47radix_sort_onesweep_sort_config_static_selectorELNS0_4arch9wavefront6targetE0EEEvSG_: ; @_ZN7rocprim17ROCPRIM_400000_NS6detail17trampoline_kernelINS0_14default_configENS1_35radix_sort_onesweep_config_selectorImNS0_10empty_typeEEEZZNS1_29radix_sort_onesweep_iterationIS3_Lb1EPKmPmPS5_SB_mNS0_19identity_decomposerENS1_16block_id_wrapperIjLb0EEEEE10hipError_tT1_PNSt15iterator_traitsISG_E10value_typeET2_T3_PNSH_ISM_E10value_typeET4_T5_PSR_SS_PNS1_23onesweep_lookback_stateEbbT6_jjT7_P12ihipStream_tbENKUlT_T0_SG_SL_E_clISA_SA_SB_SB_EEDaSZ_S10_SG_SL_EUlSZ_E_NS1_11comp_targetILNS1_3genE4ELNS1_11target_archE910ELNS1_3gpuE8ELNS1_3repE0EEENS1_47radix_sort_onesweep_sort_config_static_selectorELNS0_4arch9wavefront6targetE0EEEvSG_
; %bb.0:
	.section	.rodata,"a",@progbits
	.p2align	6, 0x0
	.amdhsa_kernel _ZN7rocprim17ROCPRIM_400000_NS6detail17trampoline_kernelINS0_14default_configENS1_35radix_sort_onesweep_config_selectorImNS0_10empty_typeEEEZZNS1_29radix_sort_onesweep_iterationIS3_Lb1EPKmPmPS5_SB_mNS0_19identity_decomposerENS1_16block_id_wrapperIjLb0EEEEE10hipError_tT1_PNSt15iterator_traitsISG_E10value_typeET2_T3_PNSH_ISM_E10value_typeET4_T5_PSR_SS_PNS1_23onesweep_lookback_stateEbbT6_jjT7_P12ihipStream_tbENKUlT_T0_SG_SL_E_clISA_SA_SB_SB_EEDaSZ_S10_SG_SL_EUlSZ_E_NS1_11comp_targetILNS1_3genE4ELNS1_11target_archE910ELNS1_3gpuE8ELNS1_3repE0EEENS1_47radix_sort_onesweep_sort_config_static_selectorELNS0_4arch9wavefront6targetE0EEEvSG_
		.amdhsa_group_segment_fixed_size 0
		.amdhsa_private_segment_fixed_size 0
		.amdhsa_kernarg_size 88
		.amdhsa_user_sgpr_count 2
		.amdhsa_user_sgpr_dispatch_ptr 0
		.amdhsa_user_sgpr_queue_ptr 0
		.amdhsa_user_sgpr_kernarg_segment_ptr 1
		.amdhsa_user_sgpr_dispatch_id 0
		.amdhsa_user_sgpr_kernarg_preload_length 0
		.amdhsa_user_sgpr_kernarg_preload_offset 0
		.amdhsa_user_sgpr_private_segment_size 0
		.amdhsa_wavefront_size32 1
		.amdhsa_uses_dynamic_stack 0
		.amdhsa_enable_private_segment 0
		.amdhsa_system_sgpr_workgroup_id_x 1
		.amdhsa_system_sgpr_workgroup_id_y 0
		.amdhsa_system_sgpr_workgroup_id_z 0
		.amdhsa_system_sgpr_workgroup_info 0
		.amdhsa_system_vgpr_workitem_id 0
		.amdhsa_next_free_vgpr 1
		.amdhsa_next_free_sgpr 1
		.amdhsa_named_barrier_count 0
		.amdhsa_reserve_vcc 0
		.amdhsa_float_round_mode_32 0
		.amdhsa_float_round_mode_16_64 0
		.amdhsa_float_denorm_mode_32 3
		.amdhsa_float_denorm_mode_16_64 3
		.amdhsa_fp16_overflow 0
		.amdhsa_memory_ordered 1
		.amdhsa_forward_progress 1
		.amdhsa_inst_pref_size 0
		.amdhsa_round_robin_scheduling 0
		.amdhsa_exception_fp_ieee_invalid_op 0
		.amdhsa_exception_fp_denorm_src 0
		.amdhsa_exception_fp_ieee_div_zero 0
		.amdhsa_exception_fp_ieee_overflow 0
		.amdhsa_exception_fp_ieee_underflow 0
		.amdhsa_exception_fp_ieee_inexact 0
		.amdhsa_exception_int_div_zero 0
	.end_amdhsa_kernel
	.section	.text._ZN7rocprim17ROCPRIM_400000_NS6detail17trampoline_kernelINS0_14default_configENS1_35radix_sort_onesweep_config_selectorImNS0_10empty_typeEEEZZNS1_29radix_sort_onesweep_iterationIS3_Lb1EPKmPmPS5_SB_mNS0_19identity_decomposerENS1_16block_id_wrapperIjLb0EEEEE10hipError_tT1_PNSt15iterator_traitsISG_E10value_typeET2_T3_PNSH_ISM_E10value_typeET4_T5_PSR_SS_PNS1_23onesweep_lookback_stateEbbT6_jjT7_P12ihipStream_tbENKUlT_T0_SG_SL_E_clISA_SA_SB_SB_EEDaSZ_S10_SG_SL_EUlSZ_E_NS1_11comp_targetILNS1_3genE4ELNS1_11target_archE910ELNS1_3gpuE8ELNS1_3repE0EEENS1_47radix_sort_onesweep_sort_config_static_selectorELNS0_4arch9wavefront6targetE0EEEvSG_,"axG",@progbits,_ZN7rocprim17ROCPRIM_400000_NS6detail17trampoline_kernelINS0_14default_configENS1_35radix_sort_onesweep_config_selectorImNS0_10empty_typeEEEZZNS1_29radix_sort_onesweep_iterationIS3_Lb1EPKmPmPS5_SB_mNS0_19identity_decomposerENS1_16block_id_wrapperIjLb0EEEEE10hipError_tT1_PNSt15iterator_traitsISG_E10value_typeET2_T3_PNSH_ISM_E10value_typeET4_T5_PSR_SS_PNS1_23onesweep_lookback_stateEbbT6_jjT7_P12ihipStream_tbENKUlT_T0_SG_SL_E_clISA_SA_SB_SB_EEDaSZ_S10_SG_SL_EUlSZ_E_NS1_11comp_targetILNS1_3genE4ELNS1_11target_archE910ELNS1_3gpuE8ELNS1_3repE0EEENS1_47radix_sort_onesweep_sort_config_static_selectorELNS0_4arch9wavefront6targetE0EEEvSG_,comdat
.Lfunc_end2911:
	.size	_ZN7rocprim17ROCPRIM_400000_NS6detail17trampoline_kernelINS0_14default_configENS1_35radix_sort_onesweep_config_selectorImNS0_10empty_typeEEEZZNS1_29radix_sort_onesweep_iterationIS3_Lb1EPKmPmPS5_SB_mNS0_19identity_decomposerENS1_16block_id_wrapperIjLb0EEEEE10hipError_tT1_PNSt15iterator_traitsISG_E10value_typeET2_T3_PNSH_ISM_E10value_typeET4_T5_PSR_SS_PNS1_23onesweep_lookback_stateEbbT6_jjT7_P12ihipStream_tbENKUlT_T0_SG_SL_E_clISA_SA_SB_SB_EEDaSZ_S10_SG_SL_EUlSZ_E_NS1_11comp_targetILNS1_3genE4ELNS1_11target_archE910ELNS1_3gpuE8ELNS1_3repE0EEENS1_47radix_sort_onesweep_sort_config_static_selectorELNS0_4arch9wavefront6targetE0EEEvSG_, .Lfunc_end2911-_ZN7rocprim17ROCPRIM_400000_NS6detail17trampoline_kernelINS0_14default_configENS1_35radix_sort_onesweep_config_selectorImNS0_10empty_typeEEEZZNS1_29radix_sort_onesweep_iterationIS3_Lb1EPKmPmPS5_SB_mNS0_19identity_decomposerENS1_16block_id_wrapperIjLb0EEEEE10hipError_tT1_PNSt15iterator_traitsISG_E10value_typeET2_T3_PNSH_ISM_E10value_typeET4_T5_PSR_SS_PNS1_23onesweep_lookback_stateEbbT6_jjT7_P12ihipStream_tbENKUlT_T0_SG_SL_E_clISA_SA_SB_SB_EEDaSZ_S10_SG_SL_EUlSZ_E_NS1_11comp_targetILNS1_3genE4ELNS1_11target_archE910ELNS1_3gpuE8ELNS1_3repE0EEENS1_47radix_sort_onesweep_sort_config_static_selectorELNS0_4arch9wavefront6targetE0EEEvSG_
                                        ; -- End function
	.set _ZN7rocprim17ROCPRIM_400000_NS6detail17trampoline_kernelINS0_14default_configENS1_35radix_sort_onesweep_config_selectorImNS0_10empty_typeEEEZZNS1_29radix_sort_onesweep_iterationIS3_Lb1EPKmPmPS5_SB_mNS0_19identity_decomposerENS1_16block_id_wrapperIjLb0EEEEE10hipError_tT1_PNSt15iterator_traitsISG_E10value_typeET2_T3_PNSH_ISM_E10value_typeET4_T5_PSR_SS_PNS1_23onesweep_lookback_stateEbbT6_jjT7_P12ihipStream_tbENKUlT_T0_SG_SL_E_clISA_SA_SB_SB_EEDaSZ_S10_SG_SL_EUlSZ_E_NS1_11comp_targetILNS1_3genE4ELNS1_11target_archE910ELNS1_3gpuE8ELNS1_3repE0EEENS1_47radix_sort_onesweep_sort_config_static_selectorELNS0_4arch9wavefront6targetE0EEEvSG_.num_vgpr, 0
	.set _ZN7rocprim17ROCPRIM_400000_NS6detail17trampoline_kernelINS0_14default_configENS1_35radix_sort_onesweep_config_selectorImNS0_10empty_typeEEEZZNS1_29radix_sort_onesweep_iterationIS3_Lb1EPKmPmPS5_SB_mNS0_19identity_decomposerENS1_16block_id_wrapperIjLb0EEEEE10hipError_tT1_PNSt15iterator_traitsISG_E10value_typeET2_T3_PNSH_ISM_E10value_typeET4_T5_PSR_SS_PNS1_23onesweep_lookback_stateEbbT6_jjT7_P12ihipStream_tbENKUlT_T0_SG_SL_E_clISA_SA_SB_SB_EEDaSZ_S10_SG_SL_EUlSZ_E_NS1_11comp_targetILNS1_3genE4ELNS1_11target_archE910ELNS1_3gpuE8ELNS1_3repE0EEENS1_47radix_sort_onesweep_sort_config_static_selectorELNS0_4arch9wavefront6targetE0EEEvSG_.num_agpr, 0
	.set _ZN7rocprim17ROCPRIM_400000_NS6detail17trampoline_kernelINS0_14default_configENS1_35radix_sort_onesweep_config_selectorImNS0_10empty_typeEEEZZNS1_29radix_sort_onesweep_iterationIS3_Lb1EPKmPmPS5_SB_mNS0_19identity_decomposerENS1_16block_id_wrapperIjLb0EEEEE10hipError_tT1_PNSt15iterator_traitsISG_E10value_typeET2_T3_PNSH_ISM_E10value_typeET4_T5_PSR_SS_PNS1_23onesweep_lookback_stateEbbT6_jjT7_P12ihipStream_tbENKUlT_T0_SG_SL_E_clISA_SA_SB_SB_EEDaSZ_S10_SG_SL_EUlSZ_E_NS1_11comp_targetILNS1_3genE4ELNS1_11target_archE910ELNS1_3gpuE8ELNS1_3repE0EEENS1_47radix_sort_onesweep_sort_config_static_selectorELNS0_4arch9wavefront6targetE0EEEvSG_.numbered_sgpr, 0
	.set _ZN7rocprim17ROCPRIM_400000_NS6detail17trampoline_kernelINS0_14default_configENS1_35radix_sort_onesweep_config_selectorImNS0_10empty_typeEEEZZNS1_29radix_sort_onesweep_iterationIS3_Lb1EPKmPmPS5_SB_mNS0_19identity_decomposerENS1_16block_id_wrapperIjLb0EEEEE10hipError_tT1_PNSt15iterator_traitsISG_E10value_typeET2_T3_PNSH_ISM_E10value_typeET4_T5_PSR_SS_PNS1_23onesweep_lookback_stateEbbT6_jjT7_P12ihipStream_tbENKUlT_T0_SG_SL_E_clISA_SA_SB_SB_EEDaSZ_S10_SG_SL_EUlSZ_E_NS1_11comp_targetILNS1_3genE4ELNS1_11target_archE910ELNS1_3gpuE8ELNS1_3repE0EEENS1_47radix_sort_onesweep_sort_config_static_selectorELNS0_4arch9wavefront6targetE0EEEvSG_.num_named_barrier, 0
	.set _ZN7rocprim17ROCPRIM_400000_NS6detail17trampoline_kernelINS0_14default_configENS1_35radix_sort_onesweep_config_selectorImNS0_10empty_typeEEEZZNS1_29radix_sort_onesweep_iterationIS3_Lb1EPKmPmPS5_SB_mNS0_19identity_decomposerENS1_16block_id_wrapperIjLb0EEEEE10hipError_tT1_PNSt15iterator_traitsISG_E10value_typeET2_T3_PNSH_ISM_E10value_typeET4_T5_PSR_SS_PNS1_23onesweep_lookback_stateEbbT6_jjT7_P12ihipStream_tbENKUlT_T0_SG_SL_E_clISA_SA_SB_SB_EEDaSZ_S10_SG_SL_EUlSZ_E_NS1_11comp_targetILNS1_3genE4ELNS1_11target_archE910ELNS1_3gpuE8ELNS1_3repE0EEENS1_47radix_sort_onesweep_sort_config_static_selectorELNS0_4arch9wavefront6targetE0EEEvSG_.private_seg_size, 0
	.set _ZN7rocprim17ROCPRIM_400000_NS6detail17trampoline_kernelINS0_14default_configENS1_35radix_sort_onesweep_config_selectorImNS0_10empty_typeEEEZZNS1_29radix_sort_onesweep_iterationIS3_Lb1EPKmPmPS5_SB_mNS0_19identity_decomposerENS1_16block_id_wrapperIjLb0EEEEE10hipError_tT1_PNSt15iterator_traitsISG_E10value_typeET2_T3_PNSH_ISM_E10value_typeET4_T5_PSR_SS_PNS1_23onesweep_lookback_stateEbbT6_jjT7_P12ihipStream_tbENKUlT_T0_SG_SL_E_clISA_SA_SB_SB_EEDaSZ_S10_SG_SL_EUlSZ_E_NS1_11comp_targetILNS1_3genE4ELNS1_11target_archE910ELNS1_3gpuE8ELNS1_3repE0EEENS1_47radix_sort_onesweep_sort_config_static_selectorELNS0_4arch9wavefront6targetE0EEEvSG_.uses_vcc, 0
	.set _ZN7rocprim17ROCPRIM_400000_NS6detail17trampoline_kernelINS0_14default_configENS1_35radix_sort_onesweep_config_selectorImNS0_10empty_typeEEEZZNS1_29radix_sort_onesweep_iterationIS3_Lb1EPKmPmPS5_SB_mNS0_19identity_decomposerENS1_16block_id_wrapperIjLb0EEEEE10hipError_tT1_PNSt15iterator_traitsISG_E10value_typeET2_T3_PNSH_ISM_E10value_typeET4_T5_PSR_SS_PNS1_23onesweep_lookback_stateEbbT6_jjT7_P12ihipStream_tbENKUlT_T0_SG_SL_E_clISA_SA_SB_SB_EEDaSZ_S10_SG_SL_EUlSZ_E_NS1_11comp_targetILNS1_3genE4ELNS1_11target_archE910ELNS1_3gpuE8ELNS1_3repE0EEENS1_47radix_sort_onesweep_sort_config_static_selectorELNS0_4arch9wavefront6targetE0EEEvSG_.uses_flat_scratch, 0
	.set _ZN7rocprim17ROCPRIM_400000_NS6detail17trampoline_kernelINS0_14default_configENS1_35radix_sort_onesweep_config_selectorImNS0_10empty_typeEEEZZNS1_29radix_sort_onesweep_iterationIS3_Lb1EPKmPmPS5_SB_mNS0_19identity_decomposerENS1_16block_id_wrapperIjLb0EEEEE10hipError_tT1_PNSt15iterator_traitsISG_E10value_typeET2_T3_PNSH_ISM_E10value_typeET4_T5_PSR_SS_PNS1_23onesweep_lookback_stateEbbT6_jjT7_P12ihipStream_tbENKUlT_T0_SG_SL_E_clISA_SA_SB_SB_EEDaSZ_S10_SG_SL_EUlSZ_E_NS1_11comp_targetILNS1_3genE4ELNS1_11target_archE910ELNS1_3gpuE8ELNS1_3repE0EEENS1_47radix_sort_onesweep_sort_config_static_selectorELNS0_4arch9wavefront6targetE0EEEvSG_.has_dyn_sized_stack, 0
	.set _ZN7rocprim17ROCPRIM_400000_NS6detail17trampoline_kernelINS0_14default_configENS1_35radix_sort_onesweep_config_selectorImNS0_10empty_typeEEEZZNS1_29radix_sort_onesweep_iterationIS3_Lb1EPKmPmPS5_SB_mNS0_19identity_decomposerENS1_16block_id_wrapperIjLb0EEEEE10hipError_tT1_PNSt15iterator_traitsISG_E10value_typeET2_T3_PNSH_ISM_E10value_typeET4_T5_PSR_SS_PNS1_23onesweep_lookback_stateEbbT6_jjT7_P12ihipStream_tbENKUlT_T0_SG_SL_E_clISA_SA_SB_SB_EEDaSZ_S10_SG_SL_EUlSZ_E_NS1_11comp_targetILNS1_3genE4ELNS1_11target_archE910ELNS1_3gpuE8ELNS1_3repE0EEENS1_47radix_sort_onesweep_sort_config_static_selectorELNS0_4arch9wavefront6targetE0EEEvSG_.has_recursion, 0
	.set _ZN7rocprim17ROCPRIM_400000_NS6detail17trampoline_kernelINS0_14default_configENS1_35radix_sort_onesweep_config_selectorImNS0_10empty_typeEEEZZNS1_29radix_sort_onesweep_iterationIS3_Lb1EPKmPmPS5_SB_mNS0_19identity_decomposerENS1_16block_id_wrapperIjLb0EEEEE10hipError_tT1_PNSt15iterator_traitsISG_E10value_typeET2_T3_PNSH_ISM_E10value_typeET4_T5_PSR_SS_PNS1_23onesweep_lookback_stateEbbT6_jjT7_P12ihipStream_tbENKUlT_T0_SG_SL_E_clISA_SA_SB_SB_EEDaSZ_S10_SG_SL_EUlSZ_E_NS1_11comp_targetILNS1_3genE4ELNS1_11target_archE910ELNS1_3gpuE8ELNS1_3repE0EEENS1_47radix_sort_onesweep_sort_config_static_selectorELNS0_4arch9wavefront6targetE0EEEvSG_.has_indirect_call, 0
	.section	.AMDGPU.csdata,"",@progbits
; Kernel info:
; codeLenInByte = 0
; TotalNumSgprs: 0
; NumVgprs: 0
; ScratchSize: 0
; MemoryBound: 0
; FloatMode: 240
; IeeeMode: 1
; LDSByteSize: 0 bytes/workgroup (compile time only)
; SGPRBlocks: 0
; VGPRBlocks: 0
; NumSGPRsForWavesPerEU: 1
; NumVGPRsForWavesPerEU: 1
; NamedBarCnt: 0
; Occupancy: 16
; WaveLimiterHint : 0
; COMPUTE_PGM_RSRC2:SCRATCH_EN: 0
; COMPUTE_PGM_RSRC2:USER_SGPR: 2
; COMPUTE_PGM_RSRC2:TRAP_HANDLER: 0
; COMPUTE_PGM_RSRC2:TGID_X_EN: 1
; COMPUTE_PGM_RSRC2:TGID_Y_EN: 0
; COMPUTE_PGM_RSRC2:TGID_Z_EN: 0
; COMPUTE_PGM_RSRC2:TIDIG_COMP_CNT: 0
	.section	.text._ZN7rocprim17ROCPRIM_400000_NS6detail17trampoline_kernelINS0_14default_configENS1_35radix_sort_onesweep_config_selectorImNS0_10empty_typeEEEZZNS1_29radix_sort_onesweep_iterationIS3_Lb1EPKmPmPS5_SB_mNS0_19identity_decomposerENS1_16block_id_wrapperIjLb0EEEEE10hipError_tT1_PNSt15iterator_traitsISG_E10value_typeET2_T3_PNSH_ISM_E10value_typeET4_T5_PSR_SS_PNS1_23onesweep_lookback_stateEbbT6_jjT7_P12ihipStream_tbENKUlT_T0_SG_SL_E_clISA_SA_SB_SB_EEDaSZ_S10_SG_SL_EUlSZ_E_NS1_11comp_targetILNS1_3genE3ELNS1_11target_archE908ELNS1_3gpuE7ELNS1_3repE0EEENS1_47radix_sort_onesweep_sort_config_static_selectorELNS0_4arch9wavefront6targetE0EEEvSG_,"axG",@progbits,_ZN7rocprim17ROCPRIM_400000_NS6detail17trampoline_kernelINS0_14default_configENS1_35radix_sort_onesweep_config_selectorImNS0_10empty_typeEEEZZNS1_29radix_sort_onesweep_iterationIS3_Lb1EPKmPmPS5_SB_mNS0_19identity_decomposerENS1_16block_id_wrapperIjLb0EEEEE10hipError_tT1_PNSt15iterator_traitsISG_E10value_typeET2_T3_PNSH_ISM_E10value_typeET4_T5_PSR_SS_PNS1_23onesweep_lookback_stateEbbT6_jjT7_P12ihipStream_tbENKUlT_T0_SG_SL_E_clISA_SA_SB_SB_EEDaSZ_S10_SG_SL_EUlSZ_E_NS1_11comp_targetILNS1_3genE3ELNS1_11target_archE908ELNS1_3gpuE7ELNS1_3repE0EEENS1_47radix_sort_onesweep_sort_config_static_selectorELNS0_4arch9wavefront6targetE0EEEvSG_,comdat
	.protected	_ZN7rocprim17ROCPRIM_400000_NS6detail17trampoline_kernelINS0_14default_configENS1_35radix_sort_onesweep_config_selectorImNS0_10empty_typeEEEZZNS1_29radix_sort_onesweep_iterationIS3_Lb1EPKmPmPS5_SB_mNS0_19identity_decomposerENS1_16block_id_wrapperIjLb0EEEEE10hipError_tT1_PNSt15iterator_traitsISG_E10value_typeET2_T3_PNSH_ISM_E10value_typeET4_T5_PSR_SS_PNS1_23onesweep_lookback_stateEbbT6_jjT7_P12ihipStream_tbENKUlT_T0_SG_SL_E_clISA_SA_SB_SB_EEDaSZ_S10_SG_SL_EUlSZ_E_NS1_11comp_targetILNS1_3genE3ELNS1_11target_archE908ELNS1_3gpuE7ELNS1_3repE0EEENS1_47radix_sort_onesweep_sort_config_static_selectorELNS0_4arch9wavefront6targetE0EEEvSG_ ; -- Begin function _ZN7rocprim17ROCPRIM_400000_NS6detail17trampoline_kernelINS0_14default_configENS1_35radix_sort_onesweep_config_selectorImNS0_10empty_typeEEEZZNS1_29radix_sort_onesweep_iterationIS3_Lb1EPKmPmPS5_SB_mNS0_19identity_decomposerENS1_16block_id_wrapperIjLb0EEEEE10hipError_tT1_PNSt15iterator_traitsISG_E10value_typeET2_T3_PNSH_ISM_E10value_typeET4_T5_PSR_SS_PNS1_23onesweep_lookback_stateEbbT6_jjT7_P12ihipStream_tbENKUlT_T0_SG_SL_E_clISA_SA_SB_SB_EEDaSZ_S10_SG_SL_EUlSZ_E_NS1_11comp_targetILNS1_3genE3ELNS1_11target_archE908ELNS1_3gpuE7ELNS1_3repE0EEENS1_47radix_sort_onesweep_sort_config_static_selectorELNS0_4arch9wavefront6targetE0EEEvSG_
	.globl	_ZN7rocprim17ROCPRIM_400000_NS6detail17trampoline_kernelINS0_14default_configENS1_35radix_sort_onesweep_config_selectorImNS0_10empty_typeEEEZZNS1_29radix_sort_onesweep_iterationIS3_Lb1EPKmPmPS5_SB_mNS0_19identity_decomposerENS1_16block_id_wrapperIjLb0EEEEE10hipError_tT1_PNSt15iterator_traitsISG_E10value_typeET2_T3_PNSH_ISM_E10value_typeET4_T5_PSR_SS_PNS1_23onesweep_lookback_stateEbbT6_jjT7_P12ihipStream_tbENKUlT_T0_SG_SL_E_clISA_SA_SB_SB_EEDaSZ_S10_SG_SL_EUlSZ_E_NS1_11comp_targetILNS1_3genE3ELNS1_11target_archE908ELNS1_3gpuE7ELNS1_3repE0EEENS1_47radix_sort_onesweep_sort_config_static_selectorELNS0_4arch9wavefront6targetE0EEEvSG_
	.p2align	8
	.type	_ZN7rocprim17ROCPRIM_400000_NS6detail17trampoline_kernelINS0_14default_configENS1_35radix_sort_onesweep_config_selectorImNS0_10empty_typeEEEZZNS1_29radix_sort_onesweep_iterationIS3_Lb1EPKmPmPS5_SB_mNS0_19identity_decomposerENS1_16block_id_wrapperIjLb0EEEEE10hipError_tT1_PNSt15iterator_traitsISG_E10value_typeET2_T3_PNSH_ISM_E10value_typeET4_T5_PSR_SS_PNS1_23onesweep_lookback_stateEbbT6_jjT7_P12ihipStream_tbENKUlT_T0_SG_SL_E_clISA_SA_SB_SB_EEDaSZ_S10_SG_SL_EUlSZ_E_NS1_11comp_targetILNS1_3genE3ELNS1_11target_archE908ELNS1_3gpuE7ELNS1_3repE0EEENS1_47radix_sort_onesweep_sort_config_static_selectorELNS0_4arch9wavefront6targetE0EEEvSG_,@function
_ZN7rocprim17ROCPRIM_400000_NS6detail17trampoline_kernelINS0_14default_configENS1_35radix_sort_onesweep_config_selectorImNS0_10empty_typeEEEZZNS1_29radix_sort_onesweep_iterationIS3_Lb1EPKmPmPS5_SB_mNS0_19identity_decomposerENS1_16block_id_wrapperIjLb0EEEEE10hipError_tT1_PNSt15iterator_traitsISG_E10value_typeET2_T3_PNSH_ISM_E10value_typeET4_T5_PSR_SS_PNS1_23onesweep_lookback_stateEbbT6_jjT7_P12ihipStream_tbENKUlT_T0_SG_SL_E_clISA_SA_SB_SB_EEDaSZ_S10_SG_SL_EUlSZ_E_NS1_11comp_targetILNS1_3genE3ELNS1_11target_archE908ELNS1_3gpuE7ELNS1_3repE0EEENS1_47radix_sort_onesweep_sort_config_static_selectorELNS0_4arch9wavefront6targetE0EEEvSG_: ; @_ZN7rocprim17ROCPRIM_400000_NS6detail17trampoline_kernelINS0_14default_configENS1_35radix_sort_onesweep_config_selectorImNS0_10empty_typeEEEZZNS1_29radix_sort_onesweep_iterationIS3_Lb1EPKmPmPS5_SB_mNS0_19identity_decomposerENS1_16block_id_wrapperIjLb0EEEEE10hipError_tT1_PNSt15iterator_traitsISG_E10value_typeET2_T3_PNSH_ISM_E10value_typeET4_T5_PSR_SS_PNS1_23onesweep_lookback_stateEbbT6_jjT7_P12ihipStream_tbENKUlT_T0_SG_SL_E_clISA_SA_SB_SB_EEDaSZ_S10_SG_SL_EUlSZ_E_NS1_11comp_targetILNS1_3genE3ELNS1_11target_archE908ELNS1_3gpuE7ELNS1_3repE0EEENS1_47radix_sort_onesweep_sort_config_static_selectorELNS0_4arch9wavefront6targetE0EEEvSG_
; %bb.0:
	.section	.rodata,"a",@progbits
	.p2align	6, 0x0
	.amdhsa_kernel _ZN7rocprim17ROCPRIM_400000_NS6detail17trampoline_kernelINS0_14default_configENS1_35radix_sort_onesweep_config_selectorImNS0_10empty_typeEEEZZNS1_29radix_sort_onesweep_iterationIS3_Lb1EPKmPmPS5_SB_mNS0_19identity_decomposerENS1_16block_id_wrapperIjLb0EEEEE10hipError_tT1_PNSt15iterator_traitsISG_E10value_typeET2_T3_PNSH_ISM_E10value_typeET4_T5_PSR_SS_PNS1_23onesweep_lookback_stateEbbT6_jjT7_P12ihipStream_tbENKUlT_T0_SG_SL_E_clISA_SA_SB_SB_EEDaSZ_S10_SG_SL_EUlSZ_E_NS1_11comp_targetILNS1_3genE3ELNS1_11target_archE908ELNS1_3gpuE7ELNS1_3repE0EEENS1_47radix_sort_onesweep_sort_config_static_selectorELNS0_4arch9wavefront6targetE0EEEvSG_
		.amdhsa_group_segment_fixed_size 0
		.amdhsa_private_segment_fixed_size 0
		.amdhsa_kernarg_size 88
		.amdhsa_user_sgpr_count 2
		.amdhsa_user_sgpr_dispatch_ptr 0
		.amdhsa_user_sgpr_queue_ptr 0
		.amdhsa_user_sgpr_kernarg_segment_ptr 1
		.amdhsa_user_sgpr_dispatch_id 0
		.amdhsa_user_sgpr_kernarg_preload_length 0
		.amdhsa_user_sgpr_kernarg_preload_offset 0
		.amdhsa_user_sgpr_private_segment_size 0
		.amdhsa_wavefront_size32 1
		.amdhsa_uses_dynamic_stack 0
		.amdhsa_enable_private_segment 0
		.amdhsa_system_sgpr_workgroup_id_x 1
		.amdhsa_system_sgpr_workgroup_id_y 0
		.amdhsa_system_sgpr_workgroup_id_z 0
		.amdhsa_system_sgpr_workgroup_info 0
		.amdhsa_system_vgpr_workitem_id 0
		.amdhsa_next_free_vgpr 1
		.amdhsa_next_free_sgpr 1
		.amdhsa_named_barrier_count 0
		.amdhsa_reserve_vcc 0
		.amdhsa_float_round_mode_32 0
		.amdhsa_float_round_mode_16_64 0
		.amdhsa_float_denorm_mode_32 3
		.amdhsa_float_denorm_mode_16_64 3
		.amdhsa_fp16_overflow 0
		.amdhsa_memory_ordered 1
		.amdhsa_forward_progress 1
		.amdhsa_inst_pref_size 0
		.amdhsa_round_robin_scheduling 0
		.amdhsa_exception_fp_ieee_invalid_op 0
		.amdhsa_exception_fp_denorm_src 0
		.amdhsa_exception_fp_ieee_div_zero 0
		.amdhsa_exception_fp_ieee_overflow 0
		.amdhsa_exception_fp_ieee_underflow 0
		.amdhsa_exception_fp_ieee_inexact 0
		.amdhsa_exception_int_div_zero 0
	.end_amdhsa_kernel
	.section	.text._ZN7rocprim17ROCPRIM_400000_NS6detail17trampoline_kernelINS0_14default_configENS1_35radix_sort_onesweep_config_selectorImNS0_10empty_typeEEEZZNS1_29radix_sort_onesweep_iterationIS3_Lb1EPKmPmPS5_SB_mNS0_19identity_decomposerENS1_16block_id_wrapperIjLb0EEEEE10hipError_tT1_PNSt15iterator_traitsISG_E10value_typeET2_T3_PNSH_ISM_E10value_typeET4_T5_PSR_SS_PNS1_23onesweep_lookback_stateEbbT6_jjT7_P12ihipStream_tbENKUlT_T0_SG_SL_E_clISA_SA_SB_SB_EEDaSZ_S10_SG_SL_EUlSZ_E_NS1_11comp_targetILNS1_3genE3ELNS1_11target_archE908ELNS1_3gpuE7ELNS1_3repE0EEENS1_47radix_sort_onesweep_sort_config_static_selectorELNS0_4arch9wavefront6targetE0EEEvSG_,"axG",@progbits,_ZN7rocprim17ROCPRIM_400000_NS6detail17trampoline_kernelINS0_14default_configENS1_35radix_sort_onesweep_config_selectorImNS0_10empty_typeEEEZZNS1_29radix_sort_onesweep_iterationIS3_Lb1EPKmPmPS5_SB_mNS0_19identity_decomposerENS1_16block_id_wrapperIjLb0EEEEE10hipError_tT1_PNSt15iterator_traitsISG_E10value_typeET2_T3_PNSH_ISM_E10value_typeET4_T5_PSR_SS_PNS1_23onesweep_lookback_stateEbbT6_jjT7_P12ihipStream_tbENKUlT_T0_SG_SL_E_clISA_SA_SB_SB_EEDaSZ_S10_SG_SL_EUlSZ_E_NS1_11comp_targetILNS1_3genE3ELNS1_11target_archE908ELNS1_3gpuE7ELNS1_3repE0EEENS1_47radix_sort_onesweep_sort_config_static_selectorELNS0_4arch9wavefront6targetE0EEEvSG_,comdat
.Lfunc_end2912:
	.size	_ZN7rocprim17ROCPRIM_400000_NS6detail17trampoline_kernelINS0_14default_configENS1_35radix_sort_onesweep_config_selectorImNS0_10empty_typeEEEZZNS1_29radix_sort_onesweep_iterationIS3_Lb1EPKmPmPS5_SB_mNS0_19identity_decomposerENS1_16block_id_wrapperIjLb0EEEEE10hipError_tT1_PNSt15iterator_traitsISG_E10value_typeET2_T3_PNSH_ISM_E10value_typeET4_T5_PSR_SS_PNS1_23onesweep_lookback_stateEbbT6_jjT7_P12ihipStream_tbENKUlT_T0_SG_SL_E_clISA_SA_SB_SB_EEDaSZ_S10_SG_SL_EUlSZ_E_NS1_11comp_targetILNS1_3genE3ELNS1_11target_archE908ELNS1_3gpuE7ELNS1_3repE0EEENS1_47radix_sort_onesweep_sort_config_static_selectorELNS0_4arch9wavefront6targetE0EEEvSG_, .Lfunc_end2912-_ZN7rocprim17ROCPRIM_400000_NS6detail17trampoline_kernelINS0_14default_configENS1_35radix_sort_onesweep_config_selectorImNS0_10empty_typeEEEZZNS1_29radix_sort_onesweep_iterationIS3_Lb1EPKmPmPS5_SB_mNS0_19identity_decomposerENS1_16block_id_wrapperIjLb0EEEEE10hipError_tT1_PNSt15iterator_traitsISG_E10value_typeET2_T3_PNSH_ISM_E10value_typeET4_T5_PSR_SS_PNS1_23onesweep_lookback_stateEbbT6_jjT7_P12ihipStream_tbENKUlT_T0_SG_SL_E_clISA_SA_SB_SB_EEDaSZ_S10_SG_SL_EUlSZ_E_NS1_11comp_targetILNS1_3genE3ELNS1_11target_archE908ELNS1_3gpuE7ELNS1_3repE0EEENS1_47radix_sort_onesweep_sort_config_static_selectorELNS0_4arch9wavefront6targetE0EEEvSG_
                                        ; -- End function
	.set _ZN7rocprim17ROCPRIM_400000_NS6detail17trampoline_kernelINS0_14default_configENS1_35radix_sort_onesweep_config_selectorImNS0_10empty_typeEEEZZNS1_29radix_sort_onesweep_iterationIS3_Lb1EPKmPmPS5_SB_mNS0_19identity_decomposerENS1_16block_id_wrapperIjLb0EEEEE10hipError_tT1_PNSt15iterator_traitsISG_E10value_typeET2_T3_PNSH_ISM_E10value_typeET4_T5_PSR_SS_PNS1_23onesweep_lookback_stateEbbT6_jjT7_P12ihipStream_tbENKUlT_T0_SG_SL_E_clISA_SA_SB_SB_EEDaSZ_S10_SG_SL_EUlSZ_E_NS1_11comp_targetILNS1_3genE3ELNS1_11target_archE908ELNS1_3gpuE7ELNS1_3repE0EEENS1_47radix_sort_onesweep_sort_config_static_selectorELNS0_4arch9wavefront6targetE0EEEvSG_.num_vgpr, 0
	.set _ZN7rocprim17ROCPRIM_400000_NS6detail17trampoline_kernelINS0_14default_configENS1_35radix_sort_onesweep_config_selectorImNS0_10empty_typeEEEZZNS1_29radix_sort_onesweep_iterationIS3_Lb1EPKmPmPS5_SB_mNS0_19identity_decomposerENS1_16block_id_wrapperIjLb0EEEEE10hipError_tT1_PNSt15iterator_traitsISG_E10value_typeET2_T3_PNSH_ISM_E10value_typeET4_T5_PSR_SS_PNS1_23onesweep_lookback_stateEbbT6_jjT7_P12ihipStream_tbENKUlT_T0_SG_SL_E_clISA_SA_SB_SB_EEDaSZ_S10_SG_SL_EUlSZ_E_NS1_11comp_targetILNS1_3genE3ELNS1_11target_archE908ELNS1_3gpuE7ELNS1_3repE0EEENS1_47radix_sort_onesweep_sort_config_static_selectorELNS0_4arch9wavefront6targetE0EEEvSG_.num_agpr, 0
	.set _ZN7rocprim17ROCPRIM_400000_NS6detail17trampoline_kernelINS0_14default_configENS1_35radix_sort_onesweep_config_selectorImNS0_10empty_typeEEEZZNS1_29radix_sort_onesweep_iterationIS3_Lb1EPKmPmPS5_SB_mNS0_19identity_decomposerENS1_16block_id_wrapperIjLb0EEEEE10hipError_tT1_PNSt15iterator_traitsISG_E10value_typeET2_T3_PNSH_ISM_E10value_typeET4_T5_PSR_SS_PNS1_23onesweep_lookback_stateEbbT6_jjT7_P12ihipStream_tbENKUlT_T0_SG_SL_E_clISA_SA_SB_SB_EEDaSZ_S10_SG_SL_EUlSZ_E_NS1_11comp_targetILNS1_3genE3ELNS1_11target_archE908ELNS1_3gpuE7ELNS1_3repE0EEENS1_47radix_sort_onesweep_sort_config_static_selectorELNS0_4arch9wavefront6targetE0EEEvSG_.numbered_sgpr, 0
	.set _ZN7rocprim17ROCPRIM_400000_NS6detail17trampoline_kernelINS0_14default_configENS1_35radix_sort_onesweep_config_selectorImNS0_10empty_typeEEEZZNS1_29radix_sort_onesweep_iterationIS3_Lb1EPKmPmPS5_SB_mNS0_19identity_decomposerENS1_16block_id_wrapperIjLb0EEEEE10hipError_tT1_PNSt15iterator_traitsISG_E10value_typeET2_T3_PNSH_ISM_E10value_typeET4_T5_PSR_SS_PNS1_23onesweep_lookback_stateEbbT6_jjT7_P12ihipStream_tbENKUlT_T0_SG_SL_E_clISA_SA_SB_SB_EEDaSZ_S10_SG_SL_EUlSZ_E_NS1_11comp_targetILNS1_3genE3ELNS1_11target_archE908ELNS1_3gpuE7ELNS1_3repE0EEENS1_47radix_sort_onesweep_sort_config_static_selectorELNS0_4arch9wavefront6targetE0EEEvSG_.num_named_barrier, 0
	.set _ZN7rocprim17ROCPRIM_400000_NS6detail17trampoline_kernelINS0_14default_configENS1_35radix_sort_onesweep_config_selectorImNS0_10empty_typeEEEZZNS1_29radix_sort_onesweep_iterationIS3_Lb1EPKmPmPS5_SB_mNS0_19identity_decomposerENS1_16block_id_wrapperIjLb0EEEEE10hipError_tT1_PNSt15iterator_traitsISG_E10value_typeET2_T3_PNSH_ISM_E10value_typeET4_T5_PSR_SS_PNS1_23onesweep_lookback_stateEbbT6_jjT7_P12ihipStream_tbENKUlT_T0_SG_SL_E_clISA_SA_SB_SB_EEDaSZ_S10_SG_SL_EUlSZ_E_NS1_11comp_targetILNS1_3genE3ELNS1_11target_archE908ELNS1_3gpuE7ELNS1_3repE0EEENS1_47radix_sort_onesweep_sort_config_static_selectorELNS0_4arch9wavefront6targetE0EEEvSG_.private_seg_size, 0
	.set _ZN7rocprim17ROCPRIM_400000_NS6detail17trampoline_kernelINS0_14default_configENS1_35radix_sort_onesweep_config_selectorImNS0_10empty_typeEEEZZNS1_29radix_sort_onesweep_iterationIS3_Lb1EPKmPmPS5_SB_mNS0_19identity_decomposerENS1_16block_id_wrapperIjLb0EEEEE10hipError_tT1_PNSt15iterator_traitsISG_E10value_typeET2_T3_PNSH_ISM_E10value_typeET4_T5_PSR_SS_PNS1_23onesweep_lookback_stateEbbT6_jjT7_P12ihipStream_tbENKUlT_T0_SG_SL_E_clISA_SA_SB_SB_EEDaSZ_S10_SG_SL_EUlSZ_E_NS1_11comp_targetILNS1_3genE3ELNS1_11target_archE908ELNS1_3gpuE7ELNS1_3repE0EEENS1_47radix_sort_onesweep_sort_config_static_selectorELNS0_4arch9wavefront6targetE0EEEvSG_.uses_vcc, 0
	.set _ZN7rocprim17ROCPRIM_400000_NS6detail17trampoline_kernelINS0_14default_configENS1_35radix_sort_onesweep_config_selectorImNS0_10empty_typeEEEZZNS1_29radix_sort_onesweep_iterationIS3_Lb1EPKmPmPS5_SB_mNS0_19identity_decomposerENS1_16block_id_wrapperIjLb0EEEEE10hipError_tT1_PNSt15iterator_traitsISG_E10value_typeET2_T3_PNSH_ISM_E10value_typeET4_T5_PSR_SS_PNS1_23onesweep_lookback_stateEbbT6_jjT7_P12ihipStream_tbENKUlT_T0_SG_SL_E_clISA_SA_SB_SB_EEDaSZ_S10_SG_SL_EUlSZ_E_NS1_11comp_targetILNS1_3genE3ELNS1_11target_archE908ELNS1_3gpuE7ELNS1_3repE0EEENS1_47radix_sort_onesweep_sort_config_static_selectorELNS0_4arch9wavefront6targetE0EEEvSG_.uses_flat_scratch, 0
	.set _ZN7rocprim17ROCPRIM_400000_NS6detail17trampoline_kernelINS0_14default_configENS1_35radix_sort_onesweep_config_selectorImNS0_10empty_typeEEEZZNS1_29radix_sort_onesweep_iterationIS3_Lb1EPKmPmPS5_SB_mNS0_19identity_decomposerENS1_16block_id_wrapperIjLb0EEEEE10hipError_tT1_PNSt15iterator_traitsISG_E10value_typeET2_T3_PNSH_ISM_E10value_typeET4_T5_PSR_SS_PNS1_23onesweep_lookback_stateEbbT6_jjT7_P12ihipStream_tbENKUlT_T0_SG_SL_E_clISA_SA_SB_SB_EEDaSZ_S10_SG_SL_EUlSZ_E_NS1_11comp_targetILNS1_3genE3ELNS1_11target_archE908ELNS1_3gpuE7ELNS1_3repE0EEENS1_47radix_sort_onesweep_sort_config_static_selectorELNS0_4arch9wavefront6targetE0EEEvSG_.has_dyn_sized_stack, 0
	.set _ZN7rocprim17ROCPRIM_400000_NS6detail17trampoline_kernelINS0_14default_configENS1_35radix_sort_onesweep_config_selectorImNS0_10empty_typeEEEZZNS1_29radix_sort_onesweep_iterationIS3_Lb1EPKmPmPS5_SB_mNS0_19identity_decomposerENS1_16block_id_wrapperIjLb0EEEEE10hipError_tT1_PNSt15iterator_traitsISG_E10value_typeET2_T3_PNSH_ISM_E10value_typeET4_T5_PSR_SS_PNS1_23onesweep_lookback_stateEbbT6_jjT7_P12ihipStream_tbENKUlT_T0_SG_SL_E_clISA_SA_SB_SB_EEDaSZ_S10_SG_SL_EUlSZ_E_NS1_11comp_targetILNS1_3genE3ELNS1_11target_archE908ELNS1_3gpuE7ELNS1_3repE0EEENS1_47radix_sort_onesweep_sort_config_static_selectorELNS0_4arch9wavefront6targetE0EEEvSG_.has_recursion, 0
	.set _ZN7rocprim17ROCPRIM_400000_NS6detail17trampoline_kernelINS0_14default_configENS1_35radix_sort_onesweep_config_selectorImNS0_10empty_typeEEEZZNS1_29radix_sort_onesweep_iterationIS3_Lb1EPKmPmPS5_SB_mNS0_19identity_decomposerENS1_16block_id_wrapperIjLb0EEEEE10hipError_tT1_PNSt15iterator_traitsISG_E10value_typeET2_T3_PNSH_ISM_E10value_typeET4_T5_PSR_SS_PNS1_23onesweep_lookback_stateEbbT6_jjT7_P12ihipStream_tbENKUlT_T0_SG_SL_E_clISA_SA_SB_SB_EEDaSZ_S10_SG_SL_EUlSZ_E_NS1_11comp_targetILNS1_3genE3ELNS1_11target_archE908ELNS1_3gpuE7ELNS1_3repE0EEENS1_47radix_sort_onesweep_sort_config_static_selectorELNS0_4arch9wavefront6targetE0EEEvSG_.has_indirect_call, 0
	.section	.AMDGPU.csdata,"",@progbits
; Kernel info:
; codeLenInByte = 0
; TotalNumSgprs: 0
; NumVgprs: 0
; ScratchSize: 0
; MemoryBound: 0
; FloatMode: 240
; IeeeMode: 1
; LDSByteSize: 0 bytes/workgroup (compile time only)
; SGPRBlocks: 0
; VGPRBlocks: 0
; NumSGPRsForWavesPerEU: 1
; NumVGPRsForWavesPerEU: 1
; NamedBarCnt: 0
; Occupancy: 16
; WaveLimiterHint : 0
; COMPUTE_PGM_RSRC2:SCRATCH_EN: 0
; COMPUTE_PGM_RSRC2:USER_SGPR: 2
; COMPUTE_PGM_RSRC2:TRAP_HANDLER: 0
; COMPUTE_PGM_RSRC2:TGID_X_EN: 1
; COMPUTE_PGM_RSRC2:TGID_Y_EN: 0
; COMPUTE_PGM_RSRC2:TGID_Z_EN: 0
; COMPUTE_PGM_RSRC2:TIDIG_COMP_CNT: 0
	.section	.text._ZN7rocprim17ROCPRIM_400000_NS6detail17trampoline_kernelINS0_14default_configENS1_35radix_sort_onesweep_config_selectorImNS0_10empty_typeEEEZZNS1_29radix_sort_onesweep_iterationIS3_Lb1EPKmPmPS5_SB_mNS0_19identity_decomposerENS1_16block_id_wrapperIjLb0EEEEE10hipError_tT1_PNSt15iterator_traitsISG_E10value_typeET2_T3_PNSH_ISM_E10value_typeET4_T5_PSR_SS_PNS1_23onesweep_lookback_stateEbbT6_jjT7_P12ihipStream_tbENKUlT_T0_SG_SL_E_clISA_SA_SB_SB_EEDaSZ_S10_SG_SL_EUlSZ_E_NS1_11comp_targetILNS1_3genE10ELNS1_11target_archE1201ELNS1_3gpuE5ELNS1_3repE0EEENS1_47radix_sort_onesweep_sort_config_static_selectorELNS0_4arch9wavefront6targetE0EEEvSG_,"axG",@progbits,_ZN7rocprim17ROCPRIM_400000_NS6detail17trampoline_kernelINS0_14default_configENS1_35radix_sort_onesweep_config_selectorImNS0_10empty_typeEEEZZNS1_29radix_sort_onesweep_iterationIS3_Lb1EPKmPmPS5_SB_mNS0_19identity_decomposerENS1_16block_id_wrapperIjLb0EEEEE10hipError_tT1_PNSt15iterator_traitsISG_E10value_typeET2_T3_PNSH_ISM_E10value_typeET4_T5_PSR_SS_PNS1_23onesweep_lookback_stateEbbT6_jjT7_P12ihipStream_tbENKUlT_T0_SG_SL_E_clISA_SA_SB_SB_EEDaSZ_S10_SG_SL_EUlSZ_E_NS1_11comp_targetILNS1_3genE10ELNS1_11target_archE1201ELNS1_3gpuE5ELNS1_3repE0EEENS1_47radix_sort_onesweep_sort_config_static_selectorELNS0_4arch9wavefront6targetE0EEEvSG_,comdat
	.protected	_ZN7rocprim17ROCPRIM_400000_NS6detail17trampoline_kernelINS0_14default_configENS1_35radix_sort_onesweep_config_selectorImNS0_10empty_typeEEEZZNS1_29radix_sort_onesweep_iterationIS3_Lb1EPKmPmPS5_SB_mNS0_19identity_decomposerENS1_16block_id_wrapperIjLb0EEEEE10hipError_tT1_PNSt15iterator_traitsISG_E10value_typeET2_T3_PNSH_ISM_E10value_typeET4_T5_PSR_SS_PNS1_23onesweep_lookback_stateEbbT6_jjT7_P12ihipStream_tbENKUlT_T0_SG_SL_E_clISA_SA_SB_SB_EEDaSZ_S10_SG_SL_EUlSZ_E_NS1_11comp_targetILNS1_3genE10ELNS1_11target_archE1201ELNS1_3gpuE5ELNS1_3repE0EEENS1_47radix_sort_onesweep_sort_config_static_selectorELNS0_4arch9wavefront6targetE0EEEvSG_ ; -- Begin function _ZN7rocprim17ROCPRIM_400000_NS6detail17trampoline_kernelINS0_14default_configENS1_35radix_sort_onesweep_config_selectorImNS0_10empty_typeEEEZZNS1_29radix_sort_onesweep_iterationIS3_Lb1EPKmPmPS5_SB_mNS0_19identity_decomposerENS1_16block_id_wrapperIjLb0EEEEE10hipError_tT1_PNSt15iterator_traitsISG_E10value_typeET2_T3_PNSH_ISM_E10value_typeET4_T5_PSR_SS_PNS1_23onesweep_lookback_stateEbbT6_jjT7_P12ihipStream_tbENKUlT_T0_SG_SL_E_clISA_SA_SB_SB_EEDaSZ_S10_SG_SL_EUlSZ_E_NS1_11comp_targetILNS1_3genE10ELNS1_11target_archE1201ELNS1_3gpuE5ELNS1_3repE0EEENS1_47radix_sort_onesweep_sort_config_static_selectorELNS0_4arch9wavefront6targetE0EEEvSG_
	.globl	_ZN7rocprim17ROCPRIM_400000_NS6detail17trampoline_kernelINS0_14default_configENS1_35radix_sort_onesweep_config_selectorImNS0_10empty_typeEEEZZNS1_29radix_sort_onesweep_iterationIS3_Lb1EPKmPmPS5_SB_mNS0_19identity_decomposerENS1_16block_id_wrapperIjLb0EEEEE10hipError_tT1_PNSt15iterator_traitsISG_E10value_typeET2_T3_PNSH_ISM_E10value_typeET4_T5_PSR_SS_PNS1_23onesweep_lookback_stateEbbT6_jjT7_P12ihipStream_tbENKUlT_T0_SG_SL_E_clISA_SA_SB_SB_EEDaSZ_S10_SG_SL_EUlSZ_E_NS1_11comp_targetILNS1_3genE10ELNS1_11target_archE1201ELNS1_3gpuE5ELNS1_3repE0EEENS1_47radix_sort_onesweep_sort_config_static_selectorELNS0_4arch9wavefront6targetE0EEEvSG_
	.p2align	8
	.type	_ZN7rocprim17ROCPRIM_400000_NS6detail17trampoline_kernelINS0_14default_configENS1_35radix_sort_onesweep_config_selectorImNS0_10empty_typeEEEZZNS1_29radix_sort_onesweep_iterationIS3_Lb1EPKmPmPS5_SB_mNS0_19identity_decomposerENS1_16block_id_wrapperIjLb0EEEEE10hipError_tT1_PNSt15iterator_traitsISG_E10value_typeET2_T3_PNSH_ISM_E10value_typeET4_T5_PSR_SS_PNS1_23onesweep_lookback_stateEbbT6_jjT7_P12ihipStream_tbENKUlT_T0_SG_SL_E_clISA_SA_SB_SB_EEDaSZ_S10_SG_SL_EUlSZ_E_NS1_11comp_targetILNS1_3genE10ELNS1_11target_archE1201ELNS1_3gpuE5ELNS1_3repE0EEENS1_47radix_sort_onesweep_sort_config_static_selectorELNS0_4arch9wavefront6targetE0EEEvSG_,@function
_ZN7rocprim17ROCPRIM_400000_NS6detail17trampoline_kernelINS0_14default_configENS1_35radix_sort_onesweep_config_selectorImNS0_10empty_typeEEEZZNS1_29radix_sort_onesweep_iterationIS3_Lb1EPKmPmPS5_SB_mNS0_19identity_decomposerENS1_16block_id_wrapperIjLb0EEEEE10hipError_tT1_PNSt15iterator_traitsISG_E10value_typeET2_T3_PNSH_ISM_E10value_typeET4_T5_PSR_SS_PNS1_23onesweep_lookback_stateEbbT6_jjT7_P12ihipStream_tbENKUlT_T0_SG_SL_E_clISA_SA_SB_SB_EEDaSZ_S10_SG_SL_EUlSZ_E_NS1_11comp_targetILNS1_3genE10ELNS1_11target_archE1201ELNS1_3gpuE5ELNS1_3repE0EEENS1_47radix_sort_onesweep_sort_config_static_selectorELNS0_4arch9wavefront6targetE0EEEvSG_: ; @_ZN7rocprim17ROCPRIM_400000_NS6detail17trampoline_kernelINS0_14default_configENS1_35radix_sort_onesweep_config_selectorImNS0_10empty_typeEEEZZNS1_29radix_sort_onesweep_iterationIS3_Lb1EPKmPmPS5_SB_mNS0_19identity_decomposerENS1_16block_id_wrapperIjLb0EEEEE10hipError_tT1_PNSt15iterator_traitsISG_E10value_typeET2_T3_PNSH_ISM_E10value_typeET4_T5_PSR_SS_PNS1_23onesweep_lookback_stateEbbT6_jjT7_P12ihipStream_tbENKUlT_T0_SG_SL_E_clISA_SA_SB_SB_EEDaSZ_S10_SG_SL_EUlSZ_E_NS1_11comp_targetILNS1_3genE10ELNS1_11target_archE1201ELNS1_3gpuE5ELNS1_3repE0EEENS1_47radix_sort_onesweep_sort_config_static_selectorELNS0_4arch9wavefront6targetE0EEEvSG_
; %bb.0:
	.section	.rodata,"a",@progbits
	.p2align	6, 0x0
	.amdhsa_kernel _ZN7rocprim17ROCPRIM_400000_NS6detail17trampoline_kernelINS0_14default_configENS1_35radix_sort_onesweep_config_selectorImNS0_10empty_typeEEEZZNS1_29radix_sort_onesweep_iterationIS3_Lb1EPKmPmPS5_SB_mNS0_19identity_decomposerENS1_16block_id_wrapperIjLb0EEEEE10hipError_tT1_PNSt15iterator_traitsISG_E10value_typeET2_T3_PNSH_ISM_E10value_typeET4_T5_PSR_SS_PNS1_23onesweep_lookback_stateEbbT6_jjT7_P12ihipStream_tbENKUlT_T0_SG_SL_E_clISA_SA_SB_SB_EEDaSZ_S10_SG_SL_EUlSZ_E_NS1_11comp_targetILNS1_3genE10ELNS1_11target_archE1201ELNS1_3gpuE5ELNS1_3repE0EEENS1_47radix_sort_onesweep_sort_config_static_selectorELNS0_4arch9wavefront6targetE0EEEvSG_
		.amdhsa_group_segment_fixed_size 0
		.amdhsa_private_segment_fixed_size 0
		.amdhsa_kernarg_size 88
		.amdhsa_user_sgpr_count 2
		.amdhsa_user_sgpr_dispatch_ptr 0
		.amdhsa_user_sgpr_queue_ptr 0
		.amdhsa_user_sgpr_kernarg_segment_ptr 1
		.amdhsa_user_sgpr_dispatch_id 0
		.amdhsa_user_sgpr_kernarg_preload_length 0
		.amdhsa_user_sgpr_kernarg_preload_offset 0
		.amdhsa_user_sgpr_private_segment_size 0
		.amdhsa_wavefront_size32 1
		.amdhsa_uses_dynamic_stack 0
		.amdhsa_enable_private_segment 0
		.amdhsa_system_sgpr_workgroup_id_x 1
		.amdhsa_system_sgpr_workgroup_id_y 0
		.amdhsa_system_sgpr_workgroup_id_z 0
		.amdhsa_system_sgpr_workgroup_info 0
		.amdhsa_system_vgpr_workitem_id 0
		.amdhsa_next_free_vgpr 1
		.amdhsa_next_free_sgpr 1
		.amdhsa_named_barrier_count 0
		.amdhsa_reserve_vcc 0
		.amdhsa_float_round_mode_32 0
		.amdhsa_float_round_mode_16_64 0
		.amdhsa_float_denorm_mode_32 3
		.amdhsa_float_denorm_mode_16_64 3
		.amdhsa_fp16_overflow 0
		.amdhsa_memory_ordered 1
		.amdhsa_forward_progress 1
		.amdhsa_inst_pref_size 0
		.amdhsa_round_robin_scheduling 0
		.amdhsa_exception_fp_ieee_invalid_op 0
		.amdhsa_exception_fp_denorm_src 0
		.amdhsa_exception_fp_ieee_div_zero 0
		.amdhsa_exception_fp_ieee_overflow 0
		.amdhsa_exception_fp_ieee_underflow 0
		.amdhsa_exception_fp_ieee_inexact 0
		.amdhsa_exception_int_div_zero 0
	.end_amdhsa_kernel
	.section	.text._ZN7rocprim17ROCPRIM_400000_NS6detail17trampoline_kernelINS0_14default_configENS1_35radix_sort_onesweep_config_selectorImNS0_10empty_typeEEEZZNS1_29radix_sort_onesweep_iterationIS3_Lb1EPKmPmPS5_SB_mNS0_19identity_decomposerENS1_16block_id_wrapperIjLb0EEEEE10hipError_tT1_PNSt15iterator_traitsISG_E10value_typeET2_T3_PNSH_ISM_E10value_typeET4_T5_PSR_SS_PNS1_23onesweep_lookback_stateEbbT6_jjT7_P12ihipStream_tbENKUlT_T0_SG_SL_E_clISA_SA_SB_SB_EEDaSZ_S10_SG_SL_EUlSZ_E_NS1_11comp_targetILNS1_3genE10ELNS1_11target_archE1201ELNS1_3gpuE5ELNS1_3repE0EEENS1_47radix_sort_onesweep_sort_config_static_selectorELNS0_4arch9wavefront6targetE0EEEvSG_,"axG",@progbits,_ZN7rocprim17ROCPRIM_400000_NS6detail17trampoline_kernelINS0_14default_configENS1_35radix_sort_onesweep_config_selectorImNS0_10empty_typeEEEZZNS1_29radix_sort_onesweep_iterationIS3_Lb1EPKmPmPS5_SB_mNS0_19identity_decomposerENS1_16block_id_wrapperIjLb0EEEEE10hipError_tT1_PNSt15iterator_traitsISG_E10value_typeET2_T3_PNSH_ISM_E10value_typeET4_T5_PSR_SS_PNS1_23onesweep_lookback_stateEbbT6_jjT7_P12ihipStream_tbENKUlT_T0_SG_SL_E_clISA_SA_SB_SB_EEDaSZ_S10_SG_SL_EUlSZ_E_NS1_11comp_targetILNS1_3genE10ELNS1_11target_archE1201ELNS1_3gpuE5ELNS1_3repE0EEENS1_47radix_sort_onesweep_sort_config_static_selectorELNS0_4arch9wavefront6targetE0EEEvSG_,comdat
.Lfunc_end2913:
	.size	_ZN7rocprim17ROCPRIM_400000_NS6detail17trampoline_kernelINS0_14default_configENS1_35radix_sort_onesweep_config_selectorImNS0_10empty_typeEEEZZNS1_29radix_sort_onesweep_iterationIS3_Lb1EPKmPmPS5_SB_mNS0_19identity_decomposerENS1_16block_id_wrapperIjLb0EEEEE10hipError_tT1_PNSt15iterator_traitsISG_E10value_typeET2_T3_PNSH_ISM_E10value_typeET4_T5_PSR_SS_PNS1_23onesweep_lookback_stateEbbT6_jjT7_P12ihipStream_tbENKUlT_T0_SG_SL_E_clISA_SA_SB_SB_EEDaSZ_S10_SG_SL_EUlSZ_E_NS1_11comp_targetILNS1_3genE10ELNS1_11target_archE1201ELNS1_3gpuE5ELNS1_3repE0EEENS1_47radix_sort_onesweep_sort_config_static_selectorELNS0_4arch9wavefront6targetE0EEEvSG_, .Lfunc_end2913-_ZN7rocprim17ROCPRIM_400000_NS6detail17trampoline_kernelINS0_14default_configENS1_35radix_sort_onesweep_config_selectorImNS0_10empty_typeEEEZZNS1_29radix_sort_onesweep_iterationIS3_Lb1EPKmPmPS5_SB_mNS0_19identity_decomposerENS1_16block_id_wrapperIjLb0EEEEE10hipError_tT1_PNSt15iterator_traitsISG_E10value_typeET2_T3_PNSH_ISM_E10value_typeET4_T5_PSR_SS_PNS1_23onesweep_lookback_stateEbbT6_jjT7_P12ihipStream_tbENKUlT_T0_SG_SL_E_clISA_SA_SB_SB_EEDaSZ_S10_SG_SL_EUlSZ_E_NS1_11comp_targetILNS1_3genE10ELNS1_11target_archE1201ELNS1_3gpuE5ELNS1_3repE0EEENS1_47radix_sort_onesweep_sort_config_static_selectorELNS0_4arch9wavefront6targetE0EEEvSG_
                                        ; -- End function
	.set _ZN7rocprim17ROCPRIM_400000_NS6detail17trampoline_kernelINS0_14default_configENS1_35radix_sort_onesweep_config_selectorImNS0_10empty_typeEEEZZNS1_29radix_sort_onesweep_iterationIS3_Lb1EPKmPmPS5_SB_mNS0_19identity_decomposerENS1_16block_id_wrapperIjLb0EEEEE10hipError_tT1_PNSt15iterator_traitsISG_E10value_typeET2_T3_PNSH_ISM_E10value_typeET4_T5_PSR_SS_PNS1_23onesweep_lookback_stateEbbT6_jjT7_P12ihipStream_tbENKUlT_T0_SG_SL_E_clISA_SA_SB_SB_EEDaSZ_S10_SG_SL_EUlSZ_E_NS1_11comp_targetILNS1_3genE10ELNS1_11target_archE1201ELNS1_3gpuE5ELNS1_3repE0EEENS1_47radix_sort_onesweep_sort_config_static_selectorELNS0_4arch9wavefront6targetE0EEEvSG_.num_vgpr, 0
	.set _ZN7rocprim17ROCPRIM_400000_NS6detail17trampoline_kernelINS0_14default_configENS1_35radix_sort_onesweep_config_selectorImNS0_10empty_typeEEEZZNS1_29radix_sort_onesweep_iterationIS3_Lb1EPKmPmPS5_SB_mNS0_19identity_decomposerENS1_16block_id_wrapperIjLb0EEEEE10hipError_tT1_PNSt15iterator_traitsISG_E10value_typeET2_T3_PNSH_ISM_E10value_typeET4_T5_PSR_SS_PNS1_23onesweep_lookback_stateEbbT6_jjT7_P12ihipStream_tbENKUlT_T0_SG_SL_E_clISA_SA_SB_SB_EEDaSZ_S10_SG_SL_EUlSZ_E_NS1_11comp_targetILNS1_3genE10ELNS1_11target_archE1201ELNS1_3gpuE5ELNS1_3repE0EEENS1_47radix_sort_onesweep_sort_config_static_selectorELNS0_4arch9wavefront6targetE0EEEvSG_.num_agpr, 0
	.set _ZN7rocprim17ROCPRIM_400000_NS6detail17trampoline_kernelINS0_14default_configENS1_35radix_sort_onesweep_config_selectorImNS0_10empty_typeEEEZZNS1_29radix_sort_onesweep_iterationIS3_Lb1EPKmPmPS5_SB_mNS0_19identity_decomposerENS1_16block_id_wrapperIjLb0EEEEE10hipError_tT1_PNSt15iterator_traitsISG_E10value_typeET2_T3_PNSH_ISM_E10value_typeET4_T5_PSR_SS_PNS1_23onesweep_lookback_stateEbbT6_jjT7_P12ihipStream_tbENKUlT_T0_SG_SL_E_clISA_SA_SB_SB_EEDaSZ_S10_SG_SL_EUlSZ_E_NS1_11comp_targetILNS1_3genE10ELNS1_11target_archE1201ELNS1_3gpuE5ELNS1_3repE0EEENS1_47radix_sort_onesweep_sort_config_static_selectorELNS0_4arch9wavefront6targetE0EEEvSG_.numbered_sgpr, 0
	.set _ZN7rocprim17ROCPRIM_400000_NS6detail17trampoline_kernelINS0_14default_configENS1_35radix_sort_onesweep_config_selectorImNS0_10empty_typeEEEZZNS1_29radix_sort_onesweep_iterationIS3_Lb1EPKmPmPS5_SB_mNS0_19identity_decomposerENS1_16block_id_wrapperIjLb0EEEEE10hipError_tT1_PNSt15iterator_traitsISG_E10value_typeET2_T3_PNSH_ISM_E10value_typeET4_T5_PSR_SS_PNS1_23onesweep_lookback_stateEbbT6_jjT7_P12ihipStream_tbENKUlT_T0_SG_SL_E_clISA_SA_SB_SB_EEDaSZ_S10_SG_SL_EUlSZ_E_NS1_11comp_targetILNS1_3genE10ELNS1_11target_archE1201ELNS1_3gpuE5ELNS1_3repE0EEENS1_47radix_sort_onesweep_sort_config_static_selectorELNS0_4arch9wavefront6targetE0EEEvSG_.num_named_barrier, 0
	.set _ZN7rocprim17ROCPRIM_400000_NS6detail17trampoline_kernelINS0_14default_configENS1_35radix_sort_onesweep_config_selectorImNS0_10empty_typeEEEZZNS1_29radix_sort_onesweep_iterationIS3_Lb1EPKmPmPS5_SB_mNS0_19identity_decomposerENS1_16block_id_wrapperIjLb0EEEEE10hipError_tT1_PNSt15iterator_traitsISG_E10value_typeET2_T3_PNSH_ISM_E10value_typeET4_T5_PSR_SS_PNS1_23onesweep_lookback_stateEbbT6_jjT7_P12ihipStream_tbENKUlT_T0_SG_SL_E_clISA_SA_SB_SB_EEDaSZ_S10_SG_SL_EUlSZ_E_NS1_11comp_targetILNS1_3genE10ELNS1_11target_archE1201ELNS1_3gpuE5ELNS1_3repE0EEENS1_47radix_sort_onesweep_sort_config_static_selectorELNS0_4arch9wavefront6targetE0EEEvSG_.private_seg_size, 0
	.set _ZN7rocprim17ROCPRIM_400000_NS6detail17trampoline_kernelINS0_14default_configENS1_35radix_sort_onesweep_config_selectorImNS0_10empty_typeEEEZZNS1_29radix_sort_onesweep_iterationIS3_Lb1EPKmPmPS5_SB_mNS0_19identity_decomposerENS1_16block_id_wrapperIjLb0EEEEE10hipError_tT1_PNSt15iterator_traitsISG_E10value_typeET2_T3_PNSH_ISM_E10value_typeET4_T5_PSR_SS_PNS1_23onesweep_lookback_stateEbbT6_jjT7_P12ihipStream_tbENKUlT_T0_SG_SL_E_clISA_SA_SB_SB_EEDaSZ_S10_SG_SL_EUlSZ_E_NS1_11comp_targetILNS1_3genE10ELNS1_11target_archE1201ELNS1_3gpuE5ELNS1_3repE0EEENS1_47radix_sort_onesweep_sort_config_static_selectorELNS0_4arch9wavefront6targetE0EEEvSG_.uses_vcc, 0
	.set _ZN7rocprim17ROCPRIM_400000_NS6detail17trampoline_kernelINS0_14default_configENS1_35radix_sort_onesweep_config_selectorImNS0_10empty_typeEEEZZNS1_29radix_sort_onesweep_iterationIS3_Lb1EPKmPmPS5_SB_mNS0_19identity_decomposerENS1_16block_id_wrapperIjLb0EEEEE10hipError_tT1_PNSt15iterator_traitsISG_E10value_typeET2_T3_PNSH_ISM_E10value_typeET4_T5_PSR_SS_PNS1_23onesweep_lookback_stateEbbT6_jjT7_P12ihipStream_tbENKUlT_T0_SG_SL_E_clISA_SA_SB_SB_EEDaSZ_S10_SG_SL_EUlSZ_E_NS1_11comp_targetILNS1_3genE10ELNS1_11target_archE1201ELNS1_3gpuE5ELNS1_3repE0EEENS1_47radix_sort_onesweep_sort_config_static_selectorELNS0_4arch9wavefront6targetE0EEEvSG_.uses_flat_scratch, 0
	.set _ZN7rocprim17ROCPRIM_400000_NS6detail17trampoline_kernelINS0_14default_configENS1_35radix_sort_onesweep_config_selectorImNS0_10empty_typeEEEZZNS1_29radix_sort_onesweep_iterationIS3_Lb1EPKmPmPS5_SB_mNS0_19identity_decomposerENS1_16block_id_wrapperIjLb0EEEEE10hipError_tT1_PNSt15iterator_traitsISG_E10value_typeET2_T3_PNSH_ISM_E10value_typeET4_T5_PSR_SS_PNS1_23onesweep_lookback_stateEbbT6_jjT7_P12ihipStream_tbENKUlT_T0_SG_SL_E_clISA_SA_SB_SB_EEDaSZ_S10_SG_SL_EUlSZ_E_NS1_11comp_targetILNS1_3genE10ELNS1_11target_archE1201ELNS1_3gpuE5ELNS1_3repE0EEENS1_47radix_sort_onesweep_sort_config_static_selectorELNS0_4arch9wavefront6targetE0EEEvSG_.has_dyn_sized_stack, 0
	.set _ZN7rocprim17ROCPRIM_400000_NS6detail17trampoline_kernelINS0_14default_configENS1_35radix_sort_onesweep_config_selectorImNS0_10empty_typeEEEZZNS1_29radix_sort_onesweep_iterationIS3_Lb1EPKmPmPS5_SB_mNS0_19identity_decomposerENS1_16block_id_wrapperIjLb0EEEEE10hipError_tT1_PNSt15iterator_traitsISG_E10value_typeET2_T3_PNSH_ISM_E10value_typeET4_T5_PSR_SS_PNS1_23onesweep_lookback_stateEbbT6_jjT7_P12ihipStream_tbENKUlT_T0_SG_SL_E_clISA_SA_SB_SB_EEDaSZ_S10_SG_SL_EUlSZ_E_NS1_11comp_targetILNS1_3genE10ELNS1_11target_archE1201ELNS1_3gpuE5ELNS1_3repE0EEENS1_47radix_sort_onesweep_sort_config_static_selectorELNS0_4arch9wavefront6targetE0EEEvSG_.has_recursion, 0
	.set _ZN7rocprim17ROCPRIM_400000_NS6detail17trampoline_kernelINS0_14default_configENS1_35radix_sort_onesweep_config_selectorImNS0_10empty_typeEEEZZNS1_29radix_sort_onesweep_iterationIS3_Lb1EPKmPmPS5_SB_mNS0_19identity_decomposerENS1_16block_id_wrapperIjLb0EEEEE10hipError_tT1_PNSt15iterator_traitsISG_E10value_typeET2_T3_PNSH_ISM_E10value_typeET4_T5_PSR_SS_PNS1_23onesweep_lookback_stateEbbT6_jjT7_P12ihipStream_tbENKUlT_T0_SG_SL_E_clISA_SA_SB_SB_EEDaSZ_S10_SG_SL_EUlSZ_E_NS1_11comp_targetILNS1_3genE10ELNS1_11target_archE1201ELNS1_3gpuE5ELNS1_3repE0EEENS1_47radix_sort_onesweep_sort_config_static_selectorELNS0_4arch9wavefront6targetE0EEEvSG_.has_indirect_call, 0
	.section	.AMDGPU.csdata,"",@progbits
; Kernel info:
; codeLenInByte = 0
; TotalNumSgprs: 0
; NumVgprs: 0
; ScratchSize: 0
; MemoryBound: 0
; FloatMode: 240
; IeeeMode: 1
; LDSByteSize: 0 bytes/workgroup (compile time only)
; SGPRBlocks: 0
; VGPRBlocks: 0
; NumSGPRsForWavesPerEU: 1
; NumVGPRsForWavesPerEU: 1
; NamedBarCnt: 0
; Occupancy: 16
; WaveLimiterHint : 0
; COMPUTE_PGM_RSRC2:SCRATCH_EN: 0
; COMPUTE_PGM_RSRC2:USER_SGPR: 2
; COMPUTE_PGM_RSRC2:TRAP_HANDLER: 0
; COMPUTE_PGM_RSRC2:TGID_X_EN: 1
; COMPUTE_PGM_RSRC2:TGID_Y_EN: 0
; COMPUTE_PGM_RSRC2:TGID_Z_EN: 0
; COMPUTE_PGM_RSRC2:TIDIG_COMP_CNT: 0
	.section	.text._ZN7rocprim17ROCPRIM_400000_NS6detail17trampoline_kernelINS0_14default_configENS1_35radix_sort_onesweep_config_selectorImNS0_10empty_typeEEEZZNS1_29radix_sort_onesweep_iterationIS3_Lb1EPKmPmPS5_SB_mNS0_19identity_decomposerENS1_16block_id_wrapperIjLb0EEEEE10hipError_tT1_PNSt15iterator_traitsISG_E10value_typeET2_T3_PNSH_ISM_E10value_typeET4_T5_PSR_SS_PNS1_23onesweep_lookback_stateEbbT6_jjT7_P12ihipStream_tbENKUlT_T0_SG_SL_E_clISA_SA_SB_SB_EEDaSZ_S10_SG_SL_EUlSZ_E_NS1_11comp_targetILNS1_3genE9ELNS1_11target_archE1100ELNS1_3gpuE3ELNS1_3repE0EEENS1_47radix_sort_onesweep_sort_config_static_selectorELNS0_4arch9wavefront6targetE0EEEvSG_,"axG",@progbits,_ZN7rocprim17ROCPRIM_400000_NS6detail17trampoline_kernelINS0_14default_configENS1_35radix_sort_onesweep_config_selectorImNS0_10empty_typeEEEZZNS1_29radix_sort_onesweep_iterationIS3_Lb1EPKmPmPS5_SB_mNS0_19identity_decomposerENS1_16block_id_wrapperIjLb0EEEEE10hipError_tT1_PNSt15iterator_traitsISG_E10value_typeET2_T3_PNSH_ISM_E10value_typeET4_T5_PSR_SS_PNS1_23onesweep_lookback_stateEbbT6_jjT7_P12ihipStream_tbENKUlT_T0_SG_SL_E_clISA_SA_SB_SB_EEDaSZ_S10_SG_SL_EUlSZ_E_NS1_11comp_targetILNS1_3genE9ELNS1_11target_archE1100ELNS1_3gpuE3ELNS1_3repE0EEENS1_47radix_sort_onesweep_sort_config_static_selectorELNS0_4arch9wavefront6targetE0EEEvSG_,comdat
	.protected	_ZN7rocprim17ROCPRIM_400000_NS6detail17trampoline_kernelINS0_14default_configENS1_35radix_sort_onesweep_config_selectorImNS0_10empty_typeEEEZZNS1_29radix_sort_onesweep_iterationIS3_Lb1EPKmPmPS5_SB_mNS0_19identity_decomposerENS1_16block_id_wrapperIjLb0EEEEE10hipError_tT1_PNSt15iterator_traitsISG_E10value_typeET2_T3_PNSH_ISM_E10value_typeET4_T5_PSR_SS_PNS1_23onesweep_lookback_stateEbbT6_jjT7_P12ihipStream_tbENKUlT_T0_SG_SL_E_clISA_SA_SB_SB_EEDaSZ_S10_SG_SL_EUlSZ_E_NS1_11comp_targetILNS1_3genE9ELNS1_11target_archE1100ELNS1_3gpuE3ELNS1_3repE0EEENS1_47radix_sort_onesweep_sort_config_static_selectorELNS0_4arch9wavefront6targetE0EEEvSG_ ; -- Begin function _ZN7rocprim17ROCPRIM_400000_NS6detail17trampoline_kernelINS0_14default_configENS1_35radix_sort_onesweep_config_selectorImNS0_10empty_typeEEEZZNS1_29radix_sort_onesweep_iterationIS3_Lb1EPKmPmPS5_SB_mNS0_19identity_decomposerENS1_16block_id_wrapperIjLb0EEEEE10hipError_tT1_PNSt15iterator_traitsISG_E10value_typeET2_T3_PNSH_ISM_E10value_typeET4_T5_PSR_SS_PNS1_23onesweep_lookback_stateEbbT6_jjT7_P12ihipStream_tbENKUlT_T0_SG_SL_E_clISA_SA_SB_SB_EEDaSZ_S10_SG_SL_EUlSZ_E_NS1_11comp_targetILNS1_3genE9ELNS1_11target_archE1100ELNS1_3gpuE3ELNS1_3repE0EEENS1_47radix_sort_onesweep_sort_config_static_selectorELNS0_4arch9wavefront6targetE0EEEvSG_
	.globl	_ZN7rocprim17ROCPRIM_400000_NS6detail17trampoline_kernelINS0_14default_configENS1_35radix_sort_onesweep_config_selectorImNS0_10empty_typeEEEZZNS1_29radix_sort_onesweep_iterationIS3_Lb1EPKmPmPS5_SB_mNS0_19identity_decomposerENS1_16block_id_wrapperIjLb0EEEEE10hipError_tT1_PNSt15iterator_traitsISG_E10value_typeET2_T3_PNSH_ISM_E10value_typeET4_T5_PSR_SS_PNS1_23onesweep_lookback_stateEbbT6_jjT7_P12ihipStream_tbENKUlT_T0_SG_SL_E_clISA_SA_SB_SB_EEDaSZ_S10_SG_SL_EUlSZ_E_NS1_11comp_targetILNS1_3genE9ELNS1_11target_archE1100ELNS1_3gpuE3ELNS1_3repE0EEENS1_47radix_sort_onesweep_sort_config_static_selectorELNS0_4arch9wavefront6targetE0EEEvSG_
	.p2align	8
	.type	_ZN7rocprim17ROCPRIM_400000_NS6detail17trampoline_kernelINS0_14default_configENS1_35radix_sort_onesweep_config_selectorImNS0_10empty_typeEEEZZNS1_29radix_sort_onesweep_iterationIS3_Lb1EPKmPmPS5_SB_mNS0_19identity_decomposerENS1_16block_id_wrapperIjLb0EEEEE10hipError_tT1_PNSt15iterator_traitsISG_E10value_typeET2_T3_PNSH_ISM_E10value_typeET4_T5_PSR_SS_PNS1_23onesweep_lookback_stateEbbT6_jjT7_P12ihipStream_tbENKUlT_T0_SG_SL_E_clISA_SA_SB_SB_EEDaSZ_S10_SG_SL_EUlSZ_E_NS1_11comp_targetILNS1_3genE9ELNS1_11target_archE1100ELNS1_3gpuE3ELNS1_3repE0EEENS1_47radix_sort_onesweep_sort_config_static_selectorELNS0_4arch9wavefront6targetE0EEEvSG_,@function
_ZN7rocprim17ROCPRIM_400000_NS6detail17trampoline_kernelINS0_14default_configENS1_35radix_sort_onesweep_config_selectorImNS0_10empty_typeEEEZZNS1_29radix_sort_onesweep_iterationIS3_Lb1EPKmPmPS5_SB_mNS0_19identity_decomposerENS1_16block_id_wrapperIjLb0EEEEE10hipError_tT1_PNSt15iterator_traitsISG_E10value_typeET2_T3_PNSH_ISM_E10value_typeET4_T5_PSR_SS_PNS1_23onesweep_lookback_stateEbbT6_jjT7_P12ihipStream_tbENKUlT_T0_SG_SL_E_clISA_SA_SB_SB_EEDaSZ_S10_SG_SL_EUlSZ_E_NS1_11comp_targetILNS1_3genE9ELNS1_11target_archE1100ELNS1_3gpuE3ELNS1_3repE0EEENS1_47radix_sort_onesweep_sort_config_static_selectorELNS0_4arch9wavefront6targetE0EEEvSG_: ; @_ZN7rocprim17ROCPRIM_400000_NS6detail17trampoline_kernelINS0_14default_configENS1_35radix_sort_onesweep_config_selectorImNS0_10empty_typeEEEZZNS1_29radix_sort_onesweep_iterationIS3_Lb1EPKmPmPS5_SB_mNS0_19identity_decomposerENS1_16block_id_wrapperIjLb0EEEEE10hipError_tT1_PNSt15iterator_traitsISG_E10value_typeET2_T3_PNSH_ISM_E10value_typeET4_T5_PSR_SS_PNS1_23onesweep_lookback_stateEbbT6_jjT7_P12ihipStream_tbENKUlT_T0_SG_SL_E_clISA_SA_SB_SB_EEDaSZ_S10_SG_SL_EUlSZ_E_NS1_11comp_targetILNS1_3genE9ELNS1_11target_archE1100ELNS1_3gpuE3ELNS1_3repE0EEENS1_47radix_sort_onesweep_sort_config_static_selectorELNS0_4arch9wavefront6targetE0EEEvSG_
; %bb.0:
	.section	.rodata,"a",@progbits
	.p2align	6, 0x0
	.amdhsa_kernel _ZN7rocprim17ROCPRIM_400000_NS6detail17trampoline_kernelINS0_14default_configENS1_35radix_sort_onesweep_config_selectorImNS0_10empty_typeEEEZZNS1_29radix_sort_onesweep_iterationIS3_Lb1EPKmPmPS5_SB_mNS0_19identity_decomposerENS1_16block_id_wrapperIjLb0EEEEE10hipError_tT1_PNSt15iterator_traitsISG_E10value_typeET2_T3_PNSH_ISM_E10value_typeET4_T5_PSR_SS_PNS1_23onesweep_lookback_stateEbbT6_jjT7_P12ihipStream_tbENKUlT_T0_SG_SL_E_clISA_SA_SB_SB_EEDaSZ_S10_SG_SL_EUlSZ_E_NS1_11comp_targetILNS1_3genE9ELNS1_11target_archE1100ELNS1_3gpuE3ELNS1_3repE0EEENS1_47radix_sort_onesweep_sort_config_static_selectorELNS0_4arch9wavefront6targetE0EEEvSG_
		.amdhsa_group_segment_fixed_size 0
		.amdhsa_private_segment_fixed_size 0
		.amdhsa_kernarg_size 88
		.amdhsa_user_sgpr_count 2
		.amdhsa_user_sgpr_dispatch_ptr 0
		.amdhsa_user_sgpr_queue_ptr 0
		.amdhsa_user_sgpr_kernarg_segment_ptr 1
		.amdhsa_user_sgpr_dispatch_id 0
		.amdhsa_user_sgpr_kernarg_preload_length 0
		.amdhsa_user_sgpr_kernarg_preload_offset 0
		.amdhsa_user_sgpr_private_segment_size 0
		.amdhsa_wavefront_size32 1
		.amdhsa_uses_dynamic_stack 0
		.amdhsa_enable_private_segment 0
		.amdhsa_system_sgpr_workgroup_id_x 1
		.amdhsa_system_sgpr_workgroup_id_y 0
		.amdhsa_system_sgpr_workgroup_id_z 0
		.amdhsa_system_sgpr_workgroup_info 0
		.amdhsa_system_vgpr_workitem_id 0
		.amdhsa_next_free_vgpr 1
		.amdhsa_next_free_sgpr 1
		.amdhsa_named_barrier_count 0
		.amdhsa_reserve_vcc 0
		.amdhsa_float_round_mode_32 0
		.amdhsa_float_round_mode_16_64 0
		.amdhsa_float_denorm_mode_32 3
		.amdhsa_float_denorm_mode_16_64 3
		.amdhsa_fp16_overflow 0
		.amdhsa_memory_ordered 1
		.amdhsa_forward_progress 1
		.amdhsa_inst_pref_size 0
		.amdhsa_round_robin_scheduling 0
		.amdhsa_exception_fp_ieee_invalid_op 0
		.amdhsa_exception_fp_denorm_src 0
		.amdhsa_exception_fp_ieee_div_zero 0
		.amdhsa_exception_fp_ieee_overflow 0
		.amdhsa_exception_fp_ieee_underflow 0
		.amdhsa_exception_fp_ieee_inexact 0
		.amdhsa_exception_int_div_zero 0
	.end_amdhsa_kernel
	.section	.text._ZN7rocprim17ROCPRIM_400000_NS6detail17trampoline_kernelINS0_14default_configENS1_35radix_sort_onesweep_config_selectorImNS0_10empty_typeEEEZZNS1_29radix_sort_onesweep_iterationIS3_Lb1EPKmPmPS5_SB_mNS0_19identity_decomposerENS1_16block_id_wrapperIjLb0EEEEE10hipError_tT1_PNSt15iterator_traitsISG_E10value_typeET2_T3_PNSH_ISM_E10value_typeET4_T5_PSR_SS_PNS1_23onesweep_lookback_stateEbbT6_jjT7_P12ihipStream_tbENKUlT_T0_SG_SL_E_clISA_SA_SB_SB_EEDaSZ_S10_SG_SL_EUlSZ_E_NS1_11comp_targetILNS1_3genE9ELNS1_11target_archE1100ELNS1_3gpuE3ELNS1_3repE0EEENS1_47radix_sort_onesweep_sort_config_static_selectorELNS0_4arch9wavefront6targetE0EEEvSG_,"axG",@progbits,_ZN7rocprim17ROCPRIM_400000_NS6detail17trampoline_kernelINS0_14default_configENS1_35radix_sort_onesweep_config_selectorImNS0_10empty_typeEEEZZNS1_29radix_sort_onesweep_iterationIS3_Lb1EPKmPmPS5_SB_mNS0_19identity_decomposerENS1_16block_id_wrapperIjLb0EEEEE10hipError_tT1_PNSt15iterator_traitsISG_E10value_typeET2_T3_PNSH_ISM_E10value_typeET4_T5_PSR_SS_PNS1_23onesweep_lookback_stateEbbT6_jjT7_P12ihipStream_tbENKUlT_T0_SG_SL_E_clISA_SA_SB_SB_EEDaSZ_S10_SG_SL_EUlSZ_E_NS1_11comp_targetILNS1_3genE9ELNS1_11target_archE1100ELNS1_3gpuE3ELNS1_3repE0EEENS1_47radix_sort_onesweep_sort_config_static_selectorELNS0_4arch9wavefront6targetE0EEEvSG_,comdat
.Lfunc_end2914:
	.size	_ZN7rocprim17ROCPRIM_400000_NS6detail17trampoline_kernelINS0_14default_configENS1_35radix_sort_onesweep_config_selectorImNS0_10empty_typeEEEZZNS1_29radix_sort_onesweep_iterationIS3_Lb1EPKmPmPS5_SB_mNS0_19identity_decomposerENS1_16block_id_wrapperIjLb0EEEEE10hipError_tT1_PNSt15iterator_traitsISG_E10value_typeET2_T3_PNSH_ISM_E10value_typeET4_T5_PSR_SS_PNS1_23onesweep_lookback_stateEbbT6_jjT7_P12ihipStream_tbENKUlT_T0_SG_SL_E_clISA_SA_SB_SB_EEDaSZ_S10_SG_SL_EUlSZ_E_NS1_11comp_targetILNS1_3genE9ELNS1_11target_archE1100ELNS1_3gpuE3ELNS1_3repE0EEENS1_47radix_sort_onesweep_sort_config_static_selectorELNS0_4arch9wavefront6targetE0EEEvSG_, .Lfunc_end2914-_ZN7rocprim17ROCPRIM_400000_NS6detail17trampoline_kernelINS0_14default_configENS1_35radix_sort_onesweep_config_selectorImNS0_10empty_typeEEEZZNS1_29radix_sort_onesweep_iterationIS3_Lb1EPKmPmPS5_SB_mNS0_19identity_decomposerENS1_16block_id_wrapperIjLb0EEEEE10hipError_tT1_PNSt15iterator_traitsISG_E10value_typeET2_T3_PNSH_ISM_E10value_typeET4_T5_PSR_SS_PNS1_23onesweep_lookback_stateEbbT6_jjT7_P12ihipStream_tbENKUlT_T0_SG_SL_E_clISA_SA_SB_SB_EEDaSZ_S10_SG_SL_EUlSZ_E_NS1_11comp_targetILNS1_3genE9ELNS1_11target_archE1100ELNS1_3gpuE3ELNS1_3repE0EEENS1_47radix_sort_onesweep_sort_config_static_selectorELNS0_4arch9wavefront6targetE0EEEvSG_
                                        ; -- End function
	.set _ZN7rocprim17ROCPRIM_400000_NS6detail17trampoline_kernelINS0_14default_configENS1_35radix_sort_onesweep_config_selectorImNS0_10empty_typeEEEZZNS1_29radix_sort_onesweep_iterationIS3_Lb1EPKmPmPS5_SB_mNS0_19identity_decomposerENS1_16block_id_wrapperIjLb0EEEEE10hipError_tT1_PNSt15iterator_traitsISG_E10value_typeET2_T3_PNSH_ISM_E10value_typeET4_T5_PSR_SS_PNS1_23onesweep_lookback_stateEbbT6_jjT7_P12ihipStream_tbENKUlT_T0_SG_SL_E_clISA_SA_SB_SB_EEDaSZ_S10_SG_SL_EUlSZ_E_NS1_11comp_targetILNS1_3genE9ELNS1_11target_archE1100ELNS1_3gpuE3ELNS1_3repE0EEENS1_47radix_sort_onesweep_sort_config_static_selectorELNS0_4arch9wavefront6targetE0EEEvSG_.num_vgpr, 0
	.set _ZN7rocprim17ROCPRIM_400000_NS6detail17trampoline_kernelINS0_14default_configENS1_35radix_sort_onesweep_config_selectorImNS0_10empty_typeEEEZZNS1_29radix_sort_onesweep_iterationIS3_Lb1EPKmPmPS5_SB_mNS0_19identity_decomposerENS1_16block_id_wrapperIjLb0EEEEE10hipError_tT1_PNSt15iterator_traitsISG_E10value_typeET2_T3_PNSH_ISM_E10value_typeET4_T5_PSR_SS_PNS1_23onesweep_lookback_stateEbbT6_jjT7_P12ihipStream_tbENKUlT_T0_SG_SL_E_clISA_SA_SB_SB_EEDaSZ_S10_SG_SL_EUlSZ_E_NS1_11comp_targetILNS1_3genE9ELNS1_11target_archE1100ELNS1_3gpuE3ELNS1_3repE0EEENS1_47radix_sort_onesweep_sort_config_static_selectorELNS0_4arch9wavefront6targetE0EEEvSG_.num_agpr, 0
	.set _ZN7rocprim17ROCPRIM_400000_NS6detail17trampoline_kernelINS0_14default_configENS1_35radix_sort_onesweep_config_selectorImNS0_10empty_typeEEEZZNS1_29radix_sort_onesweep_iterationIS3_Lb1EPKmPmPS5_SB_mNS0_19identity_decomposerENS1_16block_id_wrapperIjLb0EEEEE10hipError_tT1_PNSt15iterator_traitsISG_E10value_typeET2_T3_PNSH_ISM_E10value_typeET4_T5_PSR_SS_PNS1_23onesweep_lookback_stateEbbT6_jjT7_P12ihipStream_tbENKUlT_T0_SG_SL_E_clISA_SA_SB_SB_EEDaSZ_S10_SG_SL_EUlSZ_E_NS1_11comp_targetILNS1_3genE9ELNS1_11target_archE1100ELNS1_3gpuE3ELNS1_3repE0EEENS1_47radix_sort_onesweep_sort_config_static_selectorELNS0_4arch9wavefront6targetE0EEEvSG_.numbered_sgpr, 0
	.set _ZN7rocprim17ROCPRIM_400000_NS6detail17trampoline_kernelINS0_14default_configENS1_35radix_sort_onesweep_config_selectorImNS0_10empty_typeEEEZZNS1_29radix_sort_onesweep_iterationIS3_Lb1EPKmPmPS5_SB_mNS0_19identity_decomposerENS1_16block_id_wrapperIjLb0EEEEE10hipError_tT1_PNSt15iterator_traitsISG_E10value_typeET2_T3_PNSH_ISM_E10value_typeET4_T5_PSR_SS_PNS1_23onesweep_lookback_stateEbbT6_jjT7_P12ihipStream_tbENKUlT_T0_SG_SL_E_clISA_SA_SB_SB_EEDaSZ_S10_SG_SL_EUlSZ_E_NS1_11comp_targetILNS1_3genE9ELNS1_11target_archE1100ELNS1_3gpuE3ELNS1_3repE0EEENS1_47radix_sort_onesweep_sort_config_static_selectorELNS0_4arch9wavefront6targetE0EEEvSG_.num_named_barrier, 0
	.set _ZN7rocprim17ROCPRIM_400000_NS6detail17trampoline_kernelINS0_14default_configENS1_35radix_sort_onesweep_config_selectorImNS0_10empty_typeEEEZZNS1_29radix_sort_onesweep_iterationIS3_Lb1EPKmPmPS5_SB_mNS0_19identity_decomposerENS1_16block_id_wrapperIjLb0EEEEE10hipError_tT1_PNSt15iterator_traitsISG_E10value_typeET2_T3_PNSH_ISM_E10value_typeET4_T5_PSR_SS_PNS1_23onesweep_lookback_stateEbbT6_jjT7_P12ihipStream_tbENKUlT_T0_SG_SL_E_clISA_SA_SB_SB_EEDaSZ_S10_SG_SL_EUlSZ_E_NS1_11comp_targetILNS1_3genE9ELNS1_11target_archE1100ELNS1_3gpuE3ELNS1_3repE0EEENS1_47radix_sort_onesweep_sort_config_static_selectorELNS0_4arch9wavefront6targetE0EEEvSG_.private_seg_size, 0
	.set _ZN7rocprim17ROCPRIM_400000_NS6detail17trampoline_kernelINS0_14default_configENS1_35radix_sort_onesweep_config_selectorImNS0_10empty_typeEEEZZNS1_29radix_sort_onesweep_iterationIS3_Lb1EPKmPmPS5_SB_mNS0_19identity_decomposerENS1_16block_id_wrapperIjLb0EEEEE10hipError_tT1_PNSt15iterator_traitsISG_E10value_typeET2_T3_PNSH_ISM_E10value_typeET4_T5_PSR_SS_PNS1_23onesweep_lookback_stateEbbT6_jjT7_P12ihipStream_tbENKUlT_T0_SG_SL_E_clISA_SA_SB_SB_EEDaSZ_S10_SG_SL_EUlSZ_E_NS1_11comp_targetILNS1_3genE9ELNS1_11target_archE1100ELNS1_3gpuE3ELNS1_3repE0EEENS1_47radix_sort_onesweep_sort_config_static_selectorELNS0_4arch9wavefront6targetE0EEEvSG_.uses_vcc, 0
	.set _ZN7rocprim17ROCPRIM_400000_NS6detail17trampoline_kernelINS0_14default_configENS1_35radix_sort_onesweep_config_selectorImNS0_10empty_typeEEEZZNS1_29radix_sort_onesweep_iterationIS3_Lb1EPKmPmPS5_SB_mNS0_19identity_decomposerENS1_16block_id_wrapperIjLb0EEEEE10hipError_tT1_PNSt15iterator_traitsISG_E10value_typeET2_T3_PNSH_ISM_E10value_typeET4_T5_PSR_SS_PNS1_23onesweep_lookback_stateEbbT6_jjT7_P12ihipStream_tbENKUlT_T0_SG_SL_E_clISA_SA_SB_SB_EEDaSZ_S10_SG_SL_EUlSZ_E_NS1_11comp_targetILNS1_3genE9ELNS1_11target_archE1100ELNS1_3gpuE3ELNS1_3repE0EEENS1_47radix_sort_onesweep_sort_config_static_selectorELNS0_4arch9wavefront6targetE0EEEvSG_.uses_flat_scratch, 0
	.set _ZN7rocprim17ROCPRIM_400000_NS6detail17trampoline_kernelINS0_14default_configENS1_35radix_sort_onesweep_config_selectorImNS0_10empty_typeEEEZZNS1_29radix_sort_onesweep_iterationIS3_Lb1EPKmPmPS5_SB_mNS0_19identity_decomposerENS1_16block_id_wrapperIjLb0EEEEE10hipError_tT1_PNSt15iterator_traitsISG_E10value_typeET2_T3_PNSH_ISM_E10value_typeET4_T5_PSR_SS_PNS1_23onesweep_lookback_stateEbbT6_jjT7_P12ihipStream_tbENKUlT_T0_SG_SL_E_clISA_SA_SB_SB_EEDaSZ_S10_SG_SL_EUlSZ_E_NS1_11comp_targetILNS1_3genE9ELNS1_11target_archE1100ELNS1_3gpuE3ELNS1_3repE0EEENS1_47radix_sort_onesweep_sort_config_static_selectorELNS0_4arch9wavefront6targetE0EEEvSG_.has_dyn_sized_stack, 0
	.set _ZN7rocprim17ROCPRIM_400000_NS6detail17trampoline_kernelINS0_14default_configENS1_35radix_sort_onesweep_config_selectorImNS0_10empty_typeEEEZZNS1_29radix_sort_onesweep_iterationIS3_Lb1EPKmPmPS5_SB_mNS0_19identity_decomposerENS1_16block_id_wrapperIjLb0EEEEE10hipError_tT1_PNSt15iterator_traitsISG_E10value_typeET2_T3_PNSH_ISM_E10value_typeET4_T5_PSR_SS_PNS1_23onesweep_lookback_stateEbbT6_jjT7_P12ihipStream_tbENKUlT_T0_SG_SL_E_clISA_SA_SB_SB_EEDaSZ_S10_SG_SL_EUlSZ_E_NS1_11comp_targetILNS1_3genE9ELNS1_11target_archE1100ELNS1_3gpuE3ELNS1_3repE0EEENS1_47radix_sort_onesweep_sort_config_static_selectorELNS0_4arch9wavefront6targetE0EEEvSG_.has_recursion, 0
	.set _ZN7rocprim17ROCPRIM_400000_NS6detail17trampoline_kernelINS0_14default_configENS1_35radix_sort_onesweep_config_selectorImNS0_10empty_typeEEEZZNS1_29radix_sort_onesweep_iterationIS3_Lb1EPKmPmPS5_SB_mNS0_19identity_decomposerENS1_16block_id_wrapperIjLb0EEEEE10hipError_tT1_PNSt15iterator_traitsISG_E10value_typeET2_T3_PNSH_ISM_E10value_typeET4_T5_PSR_SS_PNS1_23onesweep_lookback_stateEbbT6_jjT7_P12ihipStream_tbENKUlT_T0_SG_SL_E_clISA_SA_SB_SB_EEDaSZ_S10_SG_SL_EUlSZ_E_NS1_11comp_targetILNS1_3genE9ELNS1_11target_archE1100ELNS1_3gpuE3ELNS1_3repE0EEENS1_47radix_sort_onesweep_sort_config_static_selectorELNS0_4arch9wavefront6targetE0EEEvSG_.has_indirect_call, 0
	.section	.AMDGPU.csdata,"",@progbits
; Kernel info:
; codeLenInByte = 0
; TotalNumSgprs: 0
; NumVgprs: 0
; ScratchSize: 0
; MemoryBound: 0
; FloatMode: 240
; IeeeMode: 1
; LDSByteSize: 0 bytes/workgroup (compile time only)
; SGPRBlocks: 0
; VGPRBlocks: 0
; NumSGPRsForWavesPerEU: 1
; NumVGPRsForWavesPerEU: 1
; NamedBarCnt: 0
; Occupancy: 16
; WaveLimiterHint : 0
; COMPUTE_PGM_RSRC2:SCRATCH_EN: 0
; COMPUTE_PGM_RSRC2:USER_SGPR: 2
; COMPUTE_PGM_RSRC2:TRAP_HANDLER: 0
; COMPUTE_PGM_RSRC2:TGID_X_EN: 1
; COMPUTE_PGM_RSRC2:TGID_Y_EN: 0
; COMPUTE_PGM_RSRC2:TGID_Z_EN: 0
; COMPUTE_PGM_RSRC2:TIDIG_COMP_CNT: 0
	.section	.text._ZN7rocprim17ROCPRIM_400000_NS6detail17trampoline_kernelINS0_14default_configENS1_35radix_sort_onesweep_config_selectorImNS0_10empty_typeEEEZZNS1_29radix_sort_onesweep_iterationIS3_Lb1EPKmPmPS5_SB_mNS0_19identity_decomposerENS1_16block_id_wrapperIjLb0EEEEE10hipError_tT1_PNSt15iterator_traitsISG_E10value_typeET2_T3_PNSH_ISM_E10value_typeET4_T5_PSR_SS_PNS1_23onesweep_lookback_stateEbbT6_jjT7_P12ihipStream_tbENKUlT_T0_SG_SL_E_clISA_SA_SB_SB_EEDaSZ_S10_SG_SL_EUlSZ_E_NS1_11comp_targetILNS1_3genE8ELNS1_11target_archE1030ELNS1_3gpuE2ELNS1_3repE0EEENS1_47radix_sort_onesweep_sort_config_static_selectorELNS0_4arch9wavefront6targetE0EEEvSG_,"axG",@progbits,_ZN7rocprim17ROCPRIM_400000_NS6detail17trampoline_kernelINS0_14default_configENS1_35radix_sort_onesweep_config_selectorImNS0_10empty_typeEEEZZNS1_29radix_sort_onesweep_iterationIS3_Lb1EPKmPmPS5_SB_mNS0_19identity_decomposerENS1_16block_id_wrapperIjLb0EEEEE10hipError_tT1_PNSt15iterator_traitsISG_E10value_typeET2_T3_PNSH_ISM_E10value_typeET4_T5_PSR_SS_PNS1_23onesweep_lookback_stateEbbT6_jjT7_P12ihipStream_tbENKUlT_T0_SG_SL_E_clISA_SA_SB_SB_EEDaSZ_S10_SG_SL_EUlSZ_E_NS1_11comp_targetILNS1_3genE8ELNS1_11target_archE1030ELNS1_3gpuE2ELNS1_3repE0EEENS1_47radix_sort_onesweep_sort_config_static_selectorELNS0_4arch9wavefront6targetE0EEEvSG_,comdat
	.protected	_ZN7rocprim17ROCPRIM_400000_NS6detail17trampoline_kernelINS0_14default_configENS1_35radix_sort_onesweep_config_selectorImNS0_10empty_typeEEEZZNS1_29radix_sort_onesweep_iterationIS3_Lb1EPKmPmPS5_SB_mNS0_19identity_decomposerENS1_16block_id_wrapperIjLb0EEEEE10hipError_tT1_PNSt15iterator_traitsISG_E10value_typeET2_T3_PNSH_ISM_E10value_typeET4_T5_PSR_SS_PNS1_23onesweep_lookback_stateEbbT6_jjT7_P12ihipStream_tbENKUlT_T0_SG_SL_E_clISA_SA_SB_SB_EEDaSZ_S10_SG_SL_EUlSZ_E_NS1_11comp_targetILNS1_3genE8ELNS1_11target_archE1030ELNS1_3gpuE2ELNS1_3repE0EEENS1_47radix_sort_onesweep_sort_config_static_selectorELNS0_4arch9wavefront6targetE0EEEvSG_ ; -- Begin function _ZN7rocprim17ROCPRIM_400000_NS6detail17trampoline_kernelINS0_14default_configENS1_35radix_sort_onesweep_config_selectorImNS0_10empty_typeEEEZZNS1_29radix_sort_onesweep_iterationIS3_Lb1EPKmPmPS5_SB_mNS0_19identity_decomposerENS1_16block_id_wrapperIjLb0EEEEE10hipError_tT1_PNSt15iterator_traitsISG_E10value_typeET2_T3_PNSH_ISM_E10value_typeET4_T5_PSR_SS_PNS1_23onesweep_lookback_stateEbbT6_jjT7_P12ihipStream_tbENKUlT_T0_SG_SL_E_clISA_SA_SB_SB_EEDaSZ_S10_SG_SL_EUlSZ_E_NS1_11comp_targetILNS1_3genE8ELNS1_11target_archE1030ELNS1_3gpuE2ELNS1_3repE0EEENS1_47radix_sort_onesweep_sort_config_static_selectorELNS0_4arch9wavefront6targetE0EEEvSG_
	.globl	_ZN7rocprim17ROCPRIM_400000_NS6detail17trampoline_kernelINS0_14default_configENS1_35radix_sort_onesweep_config_selectorImNS0_10empty_typeEEEZZNS1_29radix_sort_onesweep_iterationIS3_Lb1EPKmPmPS5_SB_mNS0_19identity_decomposerENS1_16block_id_wrapperIjLb0EEEEE10hipError_tT1_PNSt15iterator_traitsISG_E10value_typeET2_T3_PNSH_ISM_E10value_typeET4_T5_PSR_SS_PNS1_23onesweep_lookback_stateEbbT6_jjT7_P12ihipStream_tbENKUlT_T0_SG_SL_E_clISA_SA_SB_SB_EEDaSZ_S10_SG_SL_EUlSZ_E_NS1_11comp_targetILNS1_3genE8ELNS1_11target_archE1030ELNS1_3gpuE2ELNS1_3repE0EEENS1_47radix_sort_onesweep_sort_config_static_selectorELNS0_4arch9wavefront6targetE0EEEvSG_
	.p2align	8
	.type	_ZN7rocprim17ROCPRIM_400000_NS6detail17trampoline_kernelINS0_14default_configENS1_35radix_sort_onesweep_config_selectorImNS0_10empty_typeEEEZZNS1_29radix_sort_onesweep_iterationIS3_Lb1EPKmPmPS5_SB_mNS0_19identity_decomposerENS1_16block_id_wrapperIjLb0EEEEE10hipError_tT1_PNSt15iterator_traitsISG_E10value_typeET2_T3_PNSH_ISM_E10value_typeET4_T5_PSR_SS_PNS1_23onesweep_lookback_stateEbbT6_jjT7_P12ihipStream_tbENKUlT_T0_SG_SL_E_clISA_SA_SB_SB_EEDaSZ_S10_SG_SL_EUlSZ_E_NS1_11comp_targetILNS1_3genE8ELNS1_11target_archE1030ELNS1_3gpuE2ELNS1_3repE0EEENS1_47radix_sort_onesweep_sort_config_static_selectorELNS0_4arch9wavefront6targetE0EEEvSG_,@function
_ZN7rocprim17ROCPRIM_400000_NS6detail17trampoline_kernelINS0_14default_configENS1_35radix_sort_onesweep_config_selectorImNS0_10empty_typeEEEZZNS1_29radix_sort_onesweep_iterationIS3_Lb1EPKmPmPS5_SB_mNS0_19identity_decomposerENS1_16block_id_wrapperIjLb0EEEEE10hipError_tT1_PNSt15iterator_traitsISG_E10value_typeET2_T3_PNSH_ISM_E10value_typeET4_T5_PSR_SS_PNS1_23onesweep_lookback_stateEbbT6_jjT7_P12ihipStream_tbENKUlT_T0_SG_SL_E_clISA_SA_SB_SB_EEDaSZ_S10_SG_SL_EUlSZ_E_NS1_11comp_targetILNS1_3genE8ELNS1_11target_archE1030ELNS1_3gpuE2ELNS1_3repE0EEENS1_47radix_sort_onesweep_sort_config_static_selectorELNS0_4arch9wavefront6targetE0EEEvSG_: ; @_ZN7rocprim17ROCPRIM_400000_NS6detail17trampoline_kernelINS0_14default_configENS1_35radix_sort_onesweep_config_selectorImNS0_10empty_typeEEEZZNS1_29radix_sort_onesweep_iterationIS3_Lb1EPKmPmPS5_SB_mNS0_19identity_decomposerENS1_16block_id_wrapperIjLb0EEEEE10hipError_tT1_PNSt15iterator_traitsISG_E10value_typeET2_T3_PNSH_ISM_E10value_typeET4_T5_PSR_SS_PNS1_23onesweep_lookback_stateEbbT6_jjT7_P12ihipStream_tbENKUlT_T0_SG_SL_E_clISA_SA_SB_SB_EEDaSZ_S10_SG_SL_EUlSZ_E_NS1_11comp_targetILNS1_3genE8ELNS1_11target_archE1030ELNS1_3gpuE2ELNS1_3repE0EEENS1_47radix_sort_onesweep_sort_config_static_selectorELNS0_4arch9wavefront6targetE0EEEvSG_
; %bb.0:
	.section	.rodata,"a",@progbits
	.p2align	6, 0x0
	.amdhsa_kernel _ZN7rocprim17ROCPRIM_400000_NS6detail17trampoline_kernelINS0_14default_configENS1_35radix_sort_onesweep_config_selectorImNS0_10empty_typeEEEZZNS1_29radix_sort_onesweep_iterationIS3_Lb1EPKmPmPS5_SB_mNS0_19identity_decomposerENS1_16block_id_wrapperIjLb0EEEEE10hipError_tT1_PNSt15iterator_traitsISG_E10value_typeET2_T3_PNSH_ISM_E10value_typeET4_T5_PSR_SS_PNS1_23onesweep_lookback_stateEbbT6_jjT7_P12ihipStream_tbENKUlT_T0_SG_SL_E_clISA_SA_SB_SB_EEDaSZ_S10_SG_SL_EUlSZ_E_NS1_11comp_targetILNS1_3genE8ELNS1_11target_archE1030ELNS1_3gpuE2ELNS1_3repE0EEENS1_47radix_sort_onesweep_sort_config_static_selectorELNS0_4arch9wavefront6targetE0EEEvSG_
		.amdhsa_group_segment_fixed_size 0
		.amdhsa_private_segment_fixed_size 0
		.amdhsa_kernarg_size 88
		.amdhsa_user_sgpr_count 2
		.amdhsa_user_sgpr_dispatch_ptr 0
		.amdhsa_user_sgpr_queue_ptr 0
		.amdhsa_user_sgpr_kernarg_segment_ptr 1
		.amdhsa_user_sgpr_dispatch_id 0
		.amdhsa_user_sgpr_kernarg_preload_length 0
		.amdhsa_user_sgpr_kernarg_preload_offset 0
		.amdhsa_user_sgpr_private_segment_size 0
		.amdhsa_wavefront_size32 1
		.amdhsa_uses_dynamic_stack 0
		.amdhsa_enable_private_segment 0
		.amdhsa_system_sgpr_workgroup_id_x 1
		.amdhsa_system_sgpr_workgroup_id_y 0
		.amdhsa_system_sgpr_workgroup_id_z 0
		.amdhsa_system_sgpr_workgroup_info 0
		.amdhsa_system_vgpr_workitem_id 0
		.amdhsa_next_free_vgpr 1
		.amdhsa_next_free_sgpr 1
		.amdhsa_named_barrier_count 0
		.amdhsa_reserve_vcc 0
		.amdhsa_float_round_mode_32 0
		.amdhsa_float_round_mode_16_64 0
		.amdhsa_float_denorm_mode_32 3
		.amdhsa_float_denorm_mode_16_64 3
		.amdhsa_fp16_overflow 0
		.amdhsa_memory_ordered 1
		.amdhsa_forward_progress 1
		.amdhsa_inst_pref_size 0
		.amdhsa_round_robin_scheduling 0
		.amdhsa_exception_fp_ieee_invalid_op 0
		.amdhsa_exception_fp_denorm_src 0
		.amdhsa_exception_fp_ieee_div_zero 0
		.amdhsa_exception_fp_ieee_overflow 0
		.amdhsa_exception_fp_ieee_underflow 0
		.amdhsa_exception_fp_ieee_inexact 0
		.amdhsa_exception_int_div_zero 0
	.end_amdhsa_kernel
	.section	.text._ZN7rocprim17ROCPRIM_400000_NS6detail17trampoline_kernelINS0_14default_configENS1_35radix_sort_onesweep_config_selectorImNS0_10empty_typeEEEZZNS1_29radix_sort_onesweep_iterationIS3_Lb1EPKmPmPS5_SB_mNS0_19identity_decomposerENS1_16block_id_wrapperIjLb0EEEEE10hipError_tT1_PNSt15iterator_traitsISG_E10value_typeET2_T3_PNSH_ISM_E10value_typeET4_T5_PSR_SS_PNS1_23onesweep_lookback_stateEbbT6_jjT7_P12ihipStream_tbENKUlT_T0_SG_SL_E_clISA_SA_SB_SB_EEDaSZ_S10_SG_SL_EUlSZ_E_NS1_11comp_targetILNS1_3genE8ELNS1_11target_archE1030ELNS1_3gpuE2ELNS1_3repE0EEENS1_47radix_sort_onesweep_sort_config_static_selectorELNS0_4arch9wavefront6targetE0EEEvSG_,"axG",@progbits,_ZN7rocprim17ROCPRIM_400000_NS6detail17trampoline_kernelINS0_14default_configENS1_35radix_sort_onesweep_config_selectorImNS0_10empty_typeEEEZZNS1_29radix_sort_onesweep_iterationIS3_Lb1EPKmPmPS5_SB_mNS0_19identity_decomposerENS1_16block_id_wrapperIjLb0EEEEE10hipError_tT1_PNSt15iterator_traitsISG_E10value_typeET2_T3_PNSH_ISM_E10value_typeET4_T5_PSR_SS_PNS1_23onesweep_lookback_stateEbbT6_jjT7_P12ihipStream_tbENKUlT_T0_SG_SL_E_clISA_SA_SB_SB_EEDaSZ_S10_SG_SL_EUlSZ_E_NS1_11comp_targetILNS1_3genE8ELNS1_11target_archE1030ELNS1_3gpuE2ELNS1_3repE0EEENS1_47radix_sort_onesweep_sort_config_static_selectorELNS0_4arch9wavefront6targetE0EEEvSG_,comdat
.Lfunc_end2915:
	.size	_ZN7rocprim17ROCPRIM_400000_NS6detail17trampoline_kernelINS0_14default_configENS1_35radix_sort_onesweep_config_selectorImNS0_10empty_typeEEEZZNS1_29radix_sort_onesweep_iterationIS3_Lb1EPKmPmPS5_SB_mNS0_19identity_decomposerENS1_16block_id_wrapperIjLb0EEEEE10hipError_tT1_PNSt15iterator_traitsISG_E10value_typeET2_T3_PNSH_ISM_E10value_typeET4_T5_PSR_SS_PNS1_23onesweep_lookback_stateEbbT6_jjT7_P12ihipStream_tbENKUlT_T0_SG_SL_E_clISA_SA_SB_SB_EEDaSZ_S10_SG_SL_EUlSZ_E_NS1_11comp_targetILNS1_3genE8ELNS1_11target_archE1030ELNS1_3gpuE2ELNS1_3repE0EEENS1_47radix_sort_onesweep_sort_config_static_selectorELNS0_4arch9wavefront6targetE0EEEvSG_, .Lfunc_end2915-_ZN7rocprim17ROCPRIM_400000_NS6detail17trampoline_kernelINS0_14default_configENS1_35radix_sort_onesweep_config_selectorImNS0_10empty_typeEEEZZNS1_29radix_sort_onesweep_iterationIS3_Lb1EPKmPmPS5_SB_mNS0_19identity_decomposerENS1_16block_id_wrapperIjLb0EEEEE10hipError_tT1_PNSt15iterator_traitsISG_E10value_typeET2_T3_PNSH_ISM_E10value_typeET4_T5_PSR_SS_PNS1_23onesweep_lookback_stateEbbT6_jjT7_P12ihipStream_tbENKUlT_T0_SG_SL_E_clISA_SA_SB_SB_EEDaSZ_S10_SG_SL_EUlSZ_E_NS1_11comp_targetILNS1_3genE8ELNS1_11target_archE1030ELNS1_3gpuE2ELNS1_3repE0EEENS1_47radix_sort_onesweep_sort_config_static_selectorELNS0_4arch9wavefront6targetE0EEEvSG_
                                        ; -- End function
	.set _ZN7rocprim17ROCPRIM_400000_NS6detail17trampoline_kernelINS0_14default_configENS1_35radix_sort_onesweep_config_selectorImNS0_10empty_typeEEEZZNS1_29radix_sort_onesweep_iterationIS3_Lb1EPKmPmPS5_SB_mNS0_19identity_decomposerENS1_16block_id_wrapperIjLb0EEEEE10hipError_tT1_PNSt15iterator_traitsISG_E10value_typeET2_T3_PNSH_ISM_E10value_typeET4_T5_PSR_SS_PNS1_23onesweep_lookback_stateEbbT6_jjT7_P12ihipStream_tbENKUlT_T0_SG_SL_E_clISA_SA_SB_SB_EEDaSZ_S10_SG_SL_EUlSZ_E_NS1_11comp_targetILNS1_3genE8ELNS1_11target_archE1030ELNS1_3gpuE2ELNS1_3repE0EEENS1_47radix_sort_onesweep_sort_config_static_selectorELNS0_4arch9wavefront6targetE0EEEvSG_.num_vgpr, 0
	.set _ZN7rocprim17ROCPRIM_400000_NS6detail17trampoline_kernelINS0_14default_configENS1_35radix_sort_onesweep_config_selectorImNS0_10empty_typeEEEZZNS1_29radix_sort_onesweep_iterationIS3_Lb1EPKmPmPS5_SB_mNS0_19identity_decomposerENS1_16block_id_wrapperIjLb0EEEEE10hipError_tT1_PNSt15iterator_traitsISG_E10value_typeET2_T3_PNSH_ISM_E10value_typeET4_T5_PSR_SS_PNS1_23onesweep_lookback_stateEbbT6_jjT7_P12ihipStream_tbENKUlT_T0_SG_SL_E_clISA_SA_SB_SB_EEDaSZ_S10_SG_SL_EUlSZ_E_NS1_11comp_targetILNS1_3genE8ELNS1_11target_archE1030ELNS1_3gpuE2ELNS1_3repE0EEENS1_47radix_sort_onesweep_sort_config_static_selectorELNS0_4arch9wavefront6targetE0EEEvSG_.num_agpr, 0
	.set _ZN7rocprim17ROCPRIM_400000_NS6detail17trampoline_kernelINS0_14default_configENS1_35radix_sort_onesweep_config_selectorImNS0_10empty_typeEEEZZNS1_29radix_sort_onesweep_iterationIS3_Lb1EPKmPmPS5_SB_mNS0_19identity_decomposerENS1_16block_id_wrapperIjLb0EEEEE10hipError_tT1_PNSt15iterator_traitsISG_E10value_typeET2_T3_PNSH_ISM_E10value_typeET4_T5_PSR_SS_PNS1_23onesweep_lookback_stateEbbT6_jjT7_P12ihipStream_tbENKUlT_T0_SG_SL_E_clISA_SA_SB_SB_EEDaSZ_S10_SG_SL_EUlSZ_E_NS1_11comp_targetILNS1_3genE8ELNS1_11target_archE1030ELNS1_3gpuE2ELNS1_3repE0EEENS1_47radix_sort_onesweep_sort_config_static_selectorELNS0_4arch9wavefront6targetE0EEEvSG_.numbered_sgpr, 0
	.set _ZN7rocprim17ROCPRIM_400000_NS6detail17trampoline_kernelINS0_14default_configENS1_35radix_sort_onesweep_config_selectorImNS0_10empty_typeEEEZZNS1_29radix_sort_onesweep_iterationIS3_Lb1EPKmPmPS5_SB_mNS0_19identity_decomposerENS1_16block_id_wrapperIjLb0EEEEE10hipError_tT1_PNSt15iterator_traitsISG_E10value_typeET2_T3_PNSH_ISM_E10value_typeET4_T5_PSR_SS_PNS1_23onesweep_lookback_stateEbbT6_jjT7_P12ihipStream_tbENKUlT_T0_SG_SL_E_clISA_SA_SB_SB_EEDaSZ_S10_SG_SL_EUlSZ_E_NS1_11comp_targetILNS1_3genE8ELNS1_11target_archE1030ELNS1_3gpuE2ELNS1_3repE0EEENS1_47radix_sort_onesweep_sort_config_static_selectorELNS0_4arch9wavefront6targetE0EEEvSG_.num_named_barrier, 0
	.set _ZN7rocprim17ROCPRIM_400000_NS6detail17trampoline_kernelINS0_14default_configENS1_35radix_sort_onesweep_config_selectorImNS0_10empty_typeEEEZZNS1_29radix_sort_onesweep_iterationIS3_Lb1EPKmPmPS5_SB_mNS0_19identity_decomposerENS1_16block_id_wrapperIjLb0EEEEE10hipError_tT1_PNSt15iterator_traitsISG_E10value_typeET2_T3_PNSH_ISM_E10value_typeET4_T5_PSR_SS_PNS1_23onesweep_lookback_stateEbbT6_jjT7_P12ihipStream_tbENKUlT_T0_SG_SL_E_clISA_SA_SB_SB_EEDaSZ_S10_SG_SL_EUlSZ_E_NS1_11comp_targetILNS1_3genE8ELNS1_11target_archE1030ELNS1_3gpuE2ELNS1_3repE0EEENS1_47radix_sort_onesweep_sort_config_static_selectorELNS0_4arch9wavefront6targetE0EEEvSG_.private_seg_size, 0
	.set _ZN7rocprim17ROCPRIM_400000_NS6detail17trampoline_kernelINS0_14default_configENS1_35radix_sort_onesweep_config_selectorImNS0_10empty_typeEEEZZNS1_29radix_sort_onesweep_iterationIS3_Lb1EPKmPmPS5_SB_mNS0_19identity_decomposerENS1_16block_id_wrapperIjLb0EEEEE10hipError_tT1_PNSt15iterator_traitsISG_E10value_typeET2_T3_PNSH_ISM_E10value_typeET4_T5_PSR_SS_PNS1_23onesweep_lookback_stateEbbT6_jjT7_P12ihipStream_tbENKUlT_T0_SG_SL_E_clISA_SA_SB_SB_EEDaSZ_S10_SG_SL_EUlSZ_E_NS1_11comp_targetILNS1_3genE8ELNS1_11target_archE1030ELNS1_3gpuE2ELNS1_3repE0EEENS1_47radix_sort_onesweep_sort_config_static_selectorELNS0_4arch9wavefront6targetE0EEEvSG_.uses_vcc, 0
	.set _ZN7rocprim17ROCPRIM_400000_NS6detail17trampoline_kernelINS0_14default_configENS1_35radix_sort_onesweep_config_selectorImNS0_10empty_typeEEEZZNS1_29radix_sort_onesweep_iterationIS3_Lb1EPKmPmPS5_SB_mNS0_19identity_decomposerENS1_16block_id_wrapperIjLb0EEEEE10hipError_tT1_PNSt15iterator_traitsISG_E10value_typeET2_T3_PNSH_ISM_E10value_typeET4_T5_PSR_SS_PNS1_23onesweep_lookback_stateEbbT6_jjT7_P12ihipStream_tbENKUlT_T0_SG_SL_E_clISA_SA_SB_SB_EEDaSZ_S10_SG_SL_EUlSZ_E_NS1_11comp_targetILNS1_3genE8ELNS1_11target_archE1030ELNS1_3gpuE2ELNS1_3repE0EEENS1_47radix_sort_onesweep_sort_config_static_selectorELNS0_4arch9wavefront6targetE0EEEvSG_.uses_flat_scratch, 0
	.set _ZN7rocprim17ROCPRIM_400000_NS6detail17trampoline_kernelINS0_14default_configENS1_35radix_sort_onesweep_config_selectorImNS0_10empty_typeEEEZZNS1_29radix_sort_onesweep_iterationIS3_Lb1EPKmPmPS5_SB_mNS0_19identity_decomposerENS1_16block_id_wrapperIjLb0EEEEE10hipError_tT1_PNSt15iterator_traitsISG_E10value_typeET2_T3_PNSH_ISM_E10value_typeET4_T5_PSR_SS_PNS1_23onesweep_lookback_stateEbbT6_jjT7_P12ihipStream_tbENKUlT_T0_SG_SL_E_clISA_SA_SB_SB_EEDaSZ_S10_SG_SL_EUlSZ_E_NS1_11comp_targetILNS1_3genE8ELNS1_11target_archE1030ELNS1_3gpuE2ELNS1_3repE0EEENS1_47radix_sort_onesweep_sort_config_static_selectorELNS0_4arch9wavefront6targetE0EEEvSG_.has_dyn_sized_stack, 0
	.set _ZN7rocprim17ROCPRIM_400000_NS6detail17trampoline_kernelINS0_14default_configENS1_35radix_sort_onesweep_config_selectorImNS0_10empty_typeEEEZZNS1_29radix_sort_onesweep_iterationIS3_Lb1EPKmPmPS5_SB_mNS0_19identity_decomposerENS1_16block_id_wrapperIjLb0EEEEE10hipError_tT1_PNSt15iterator_traitsISG_E10value_typeET2_T3_PNSH_ISM_E10value_typeET4_T5_PSR_SS_PNS1_23onesweep_lookback_stateEbbT6_jjT7_P12ihipStream_tbENKUlT_T0_SG_SL_E_clISA_SA_SB_SB_EEDaSZ_S10_SG_SL_EUlSZ_E_NS1_11comp_targetILNS1_3genE8ELNS1_11target_archE1030ELNS1_3gpuE2ELNS1_3repE0EEENS1_47radix_sort_onesweep_sort_config_static_selectorELNS0_4arch9wavefront6targetE0EEEvSG_.has_recursion, 0
	.set _ZN7rocprim17ROCPRIM_400000_NS6detail17trampoline_kernelINS0_14default_configENS1_35radix_sort_onesweep_config_selectorImNS0_10empty_typeEEEZZNS1_29radix_sort_onesweep_iterationIS3_Lb1EPKmPmPS5_SB_mNS0_19identity_decomposerENS1_16block_id_wrapperIjLb0EEEEE10hipError_tT1_PNSt15iterator_traitsISG_E10value_typeET2_T3_PNSH_ISM_E10value_typeET4_T5_PSR_SS_PNS1_23onesweep_lookback_stateEbbT6_jjT7_P12ihipStream_tbENKUlT_T0_SG_SL_E_clISA_SA_SB_SB_EEDaSZ_S10_SG_SL_EUlSZ_E_NS1_11comp_targetILNS1_3genE8ELNS1_11target_archE1030ELNS1_3gpuE2ELNS1_3repE0EEENS1_47radix_sort_onesweep_sort_config_static_selectorELNS0_4arch9wavefront6targetE0EEEvSG_.has_indirect_call, 0
	.section	.AMDGPU.csdata,"",@progbits
; Kernel info:
; codeLenInByte = 0
; TotalNumSgprs: 0
; NumVgprs: 0
; ScratchSize: 0
; MemoryBound: 0
; FloatMode: 240
; IeeeMode: 1
; LDSByteSize: 0 bytes/workgroup (compile time only)
; SGPRBlocks: 0
; VGPRBlocks: 0
; NumSGPRsForWavesPerEU: 1
; NumVGPRsForWavesPerEU: 1
; NamedBarCnt: 0
; Occupancy: 16
; WaveLimiterHint : 0
; COMPUTE_PGM_RSRC2:SCRATCH_EN: 0
; COMPUTE_PGM_RSRC2:USER_SGPR: 2
; COMPUTE_PGM_RSRC2:TRAP_HANDLER: 0
; COMPUTE_PGM_RSRC2:TGID_X_EN: 1
; COMPUTE_PGM_RSRC2:TGID_Y_EN: 0
; COMPUTE_PGM_RSRC2:TGID_Z_EN: 0
; COMPUTE_PGM_RSRC2:TIDIG_COMP_CNT: 0
	.section	.text._ZN7rocprim17ROCPRIM_400000_NS6detail17trampoline_kernelINS0_13kernel_configILj256ELj4ELj4294967295EEENS1_37radix_sort_block_sort_config_selectorImNS0_10empty_typeEEEZNS1_21radix_sort_block_sortIS4_Lb0EPKmPmPS6_SC_NS0_19identity_decomposerEEE10hipError_tT1_T2_T3_T4_jRjT5_jjP12ihipStream_tbEUlT_E_NS1_11comp_targetILNS1_3genE0ELNS1_11target_archE4294967295ELNS1_3gpuE0ELNS1_3repE0EEENS1_44radix_sort_block_sort_config_static_selectorELNS0_4arch9wavefront6targetE0EEEvSF_,"axG",@progbits,_ZN7rocprim17ROCPRIM_400000_NS6detail17trampoline_kernelINS0_13kernel_configILj256ELj4ELj4294967295EEENS1_37radix_sort_block_sort_config_selectorImNS0_10empty_typeEEEZNS1_21radix_sort_block_sortIS4_Lb0EPKmPmPS6_SC_NS0_19identity_decomposerEEE10hipError_tT1_T2_T3_T4_jRjT5_jjP12ihipStream_tbEUlT_E_NS1_11comp_targetILNS1_3genE0ELNS1_11target_archE4294967295ELNS1_3gpuE0ELNS1_3repE0EEENS1_44radix_sort_block_sort_config_static_selectorELNS0_4arch9wavefront6targetE0EEEvSF_,comdat
	.protected	_ZN7rocprim17ROCPRIM_400000_NS6detail17trampoline_kernelINS0_13kernel_configILj256ELj4ELj4294967295EEENS1_37radix_sort_block_sort_config_selectorImNS0_10empty_typeEEEZNS1_21radix_sort_block_sortIS4_Lb0EPKmPmPS6_SC_NS0_19identity_decomposerEEE10hipError_tT1_T2_T3_T4_jRjT5_jjP12ihipStream_tbEUlT_E_NS1_11comp_targetILNS1_3genE0ELNS1_11target_archE4294967295ELNS1_3gpuE0ELNS1_3repE0EEENS1_44radix_sort_block_sort_config_static_selectorELNS0_4arch9wavefront6targetE0EEEvSF_ ; -- Begin function _ZN7rocprim17ROCPRIM_400000_NS6detail17trampoline_kernelINS0_13kernel_configILj256ELj4ELj4294967295EEENS1_37radix_sort_block_sort_config_selectorImNS0_10empty_typeEEEZNS1_21radix_sort_block_sortIS4_Lb0EPKmPmPS6_SC_NS0_19identity_decomposerEEE10hipError_tT1_T2_T3_T4_jRjT5_jjP12ihipStream_tbEUlT_E_NS1_11comp_targetILNS1_3genE0ELNS1_11target_archE4294967295ELNS1_3gpuE0ELNS1_3repE0EEENS1_44radix_sort_block_sort_config_static_selectorELNS0_4arch9wavefront6targetE0EEEvSF_
	.globl	_ZN7rocprim17ROCPRIM_400000_NS6detail17trampoline_kernelINS0_13kernel_configILj256ELj4ELj4294967295EEENS1_37radix_sort_block_sort_config_selectorImNS0_10empty_typeEEEZNS1_21radix_sort_block_sortIS4_Lb0EPKmPmPS6_SC_NS0_19identity_decomposerEEE10hipError_tT1_T2_T3_T4_jRjT5_jjP12ihipStream_tbEUlT_E_NS1_11comp_targetILNS1_3genE0ELNS1_11target_archE4294967295ELNS1_3gpuE0ELNS1_3repE0EEENS1_44radix_sort_block_sort_config_static_selectorELNS0_4arch9wavefront6targetE0EEEvSF_
	.p2align	8
	.type	_ZN7rocprim17ROCPRIM_400000_NS6detail17trampoline_kernelINS0_13kernel_configILj256ELj4ELj4294967295EEENS1_37radix_sort_block_sort_config_selectorImNS0_10empty_typeEEEZNS1_21radix_sort_block_sortIS4_Lb0EPKmPmPS6_SC_NS0_19identity_decomposerEEE10hipError_tT1_T2_T3_T4_jRjT5_jjP12ihipStream_tbEUlT_E_NS1_11comp_targetILNS1_3genE0ELNS1_11target_archE4294967295ELNS1_3gpuE0ELNS1_3repE0EEENS1_44radix_sort_block_sort_config_static_selectorELNS0_4arch9wavefront6targetE0EEEvSF_,@function
_ZN7rocprim17ROCPRIM_400000_NS6detail17trampoline_kernelINS0_13kernel_configILj256ELj4ELj4294967295EEENS1_37radix_sort_block_sort_config_selectorImNS0_10empty_typeEEEZNS1_21radix_sort_block_sortIS4_Lb0EPKmPmPS6_SC_NS0_19identity_decomposerEEE10hipError_tT1_T2_T3_T4_jRjT5_jjP12ihipStream_tbEUlT_E_NS1_11comp_targetILNS1_3genE0ELNS1_11target_archE4294967295ELNS1_3gpuE0ELNS1_3repE0EEENS1_44radix_sort_block_sort_config_static_selectorELNS0_4arch9wavefront6targetE0EEEvSF_: ; @_ZN7rocprim17ROCPRIM_400000_NS6detail17trampoline_kernelINS0_13kernel_configILj256ELj4ELj4294967295EEENS1_37radix_sort_block_sort_config_selectorImNS0_10empty_typeEEEZNS1_21radix_sort_block_sortIS4_Lb0EPKmPmPS6_SC_NS0_19identity_decomposerEEE10hipError_tT1_T2_T3_T4_jRjT5_jjP12ihipStream_tbEUlT_E_NS1_11comp_targetILNS1_3genE0ELNS1_11target_archE4294967295ELNS1_3gpuE0ELNS1_3repE0EEENS1_44radix_sort_block_sort_config_static_selectorELNS0_4arch9wavefront6targetE0EEEvSF_
; %bb.0:
	s_clause 0x1
	s_load_b32 s4, s[0:1], 0x20
	s_load_b128 s[20:23], s[0:1], 0x0
	s_bfe_u32 s5, ttmp6, 0x4000c
	s_and_b32 s2, ttmp6, 15
	s_add_co_i32 s5, s5, 1
	s_getreg_b32 s6, hwreg(HW_REG_IB_STS2, 6, 4)
	s_mul_i32 s5, ttmp9, s5
	v_and_b32_e32 v22, 0x3ff, v0
	s_add_co_i32 s2, s2, s5
	s_cmp_eq_u32 s6, 0
	v_mbcnt_lo_u32_b32 v1, -1, 0
	s_cselect_b32 s5, ttmp9, s2
	v_dual_mov_b32 v11, 0 :: v_dual_lshlrev_b32 v2, 2, v22
	s_lshl_b32 s2, s5, 10
	s_mov_b32 s3, 0
	v_lshlrev_b32_e32 v10, 3, v1
	s_delay_alu instid0(VALU_DEP_2) | instskip(SKIP_2) | instid1(SALU_CYCLE_1)
	v_and_b32_e32 v14, 0x380, v2
	s_wait_kmcnt 0x0
	s_lshr_b32 s8, s4, 10
	s_cmp_lg_u32 s5, s8
	s_cselect_b32 s26, -1, 0
	s_lshl_b64 s[24:25], s[2:3], 3
	s_cmp_eq_u32 s5, s8
	s_add_nc_u64 s[6:7], s[20:21], s[24:25]
	s_mov_b32 s5, -1
	v_add_nc_u64_e32 v[2:3], s[6:7], v[10:11]
	v_lshlrev_b32_e32 v10, 3, v14
	s_delay_alu instid0(VALU_DEP_1)
	v_add_nc_u64_e32 v[12:13], v[2:3], v[10:11]
                                        ; implicit-def: $vgpr2_vgpr3_vgpr4_vgpr5_vgpr6_vgpr7_vgpr8_vgpr9
	s_cbranch_scc0 .LBB2916_24
; %bb.1:
	s_load_b64 s[20:21], s[0:1], 0x28
	s_and_not1_b32 vcc_lo, exec_lo, s5
	s_sub_co_i32 s19, s4, s2
	s_cbranch_vccz .LBB2916_25
.LBB2916_2:
	s_and_saveexec_b32 s2, s3
	s_cbranch_execz .LBB2916_4
.LBB2916_3:
	global_load_b64 v[8:9], v[12:13], off offset:768
.LBB2916_4:
	s_wait_xcnt 0x0
	s_or_b32 exec_lo, exec_lo, s2
	s_load_b32 s6, s[0:1], 0x3c
	v_bfe_u32 v11, v0, 10, 10
	v_bfe_u32 v0, v0, 20, 10
	s_get_pc_i64 s[4:5]
	s_add_nc_u64 s[4:5], s[4:5], _ZN7rocprim17ROCPRIM_400000_NS16block_radix_sortImLj256ELj4ENS0_10empty_typeELj1ELj1ELj0ELNS0_26block_radix_rank_algorithmE1ELNS0_18block_padding_hintE2ELNS0_4arch9wavefront6targetE0EE19radix_bits_per_passE@rel64+4
	v_and_b32_e32 v14, 0x3e0, v22
	v_sub_co_u32 v15, s2, v1, 1
	s_load_b32 s27, s[4:5], 0x0
	v_lshl_add_u32 v24, v1, 3, v10
	v_min_u32_e32 v10, 0xe0, v14
	v_dual_lshrrev_b32 v16, 3, v22 :: v_dual_bitop2_b32 v13, 16, v1 bitop3:0x40
	v_cmp_gt_i32_e32 vcc_lo, 0, v15
	v_dual_lshlrev_b32 v23, 5, v22 :: v_dual_bitop2_b32 v12, 15, v1 bitop3:0x40
	s_mov_b32 s14, 0
	v_mul_i32_i24_e32 v17, 0xffffffe4, v22
	v_dual_cndmask_b32 v1, v15, v1, vcc_lo :: v_dual_bitop2_b32 v18, 7, v1 bitop3:0x40
	v_and_b32_e32 v25, 0x7c, v16
	s_wait_kmcnt 0x0
	s_lshr_b32 s7, s6, 16
	s_and_b32 s6, s6, 0xffff
	v_mad_u32_u24 v0, v0, s7, v11
	s_mov_b32 s15, s14
	s_mov_b32 s16, s14
	;; [unrolled: 1-line block ×3, first 2 shown]
	v_cmp_eq_u32_e64 s4, 0, v12
	v_mad_u32 v0, v0, s6, v22
	v_or_b32_e32 v10, 31, v10
	v_cmp_lt_u32_e64 s5, 1, v12
	v_cmp_lt_u32_e64 s6, 3, v12
	;; [unrolled: 1-line block ×3, first 2 shown]
	v_cmp_eq_u32_e64 s8, 0, v13
	v_mov_b64_e32 v[12:13], s[16:17]
	v_cmp_gt_u32_e64 s0, 8, v22
	v_cmp_lt_u32_e64 s1, 31, v22
	v_cmp_eq_u32_e64 s3, 0, v22
	v_cmp_eq_u32_e64 s9, 0, v18
	v_lshrrev_b32_e32 v0, 3, v0
	v_cmp_eq_u32_e64 s12, v22, v10
	v_mov_b64_e32 v[10:11], s[14:15]
	v_cmp_lt_u32_e64 s10, 1, v18
	v_cmp_lt_u32_e64 s11, 3, v18
	v_lshlrev_b32_e32 v26, 2, v1
	v_add_nc_u32_e32 v27, -4, v25
	v_and_b32_e32 v28, 0x1ffffffc, v0
	v_add_nc_u32_e32 v29, v23, v17
	s_add_co_i32 s28, s21, s20
	s_branch .LBB2916_6
.LBB2916_5:                             ;   in Loop: Header=BB2916_6 Depth=1
	s_and_not1_b32 vcc_lo, exec_lo, s13
	s_cbranch_vccz .LBB2916_22
.LBB2916_6:                             ; =>This Inner Loop Header: Depth=1
	s_wait_loadcnt 0x2
	v_dual_mov_b32 v14, v2 :: v_dual_mov_b32 v15, v3
	s_min_u32 s13, s27, s21
	ds_store_2addr_b64 v23, v[10:11], v[12:13] offset0:4 offset1:5
	ds_store_2addr_b64 v23, v[10:11], v[12:13] offset0:6 offset1:7
	s_lshl_b32 s18, -1, s13
	s_wait_loadcnt_dscnt 0x0
	v_lshrrev_b64 v[0:1], s20, v[14:15]
	s_barrier_signal -1
	s_barrier_wait -1
	; wave barrier
	s_delay_alu instid0(VALU_DEP_1) | instskip(SKIP_1) | instid1(VALU_DEP_2)
	v_bitop3_b32 v1, v0, 1, s18 bitop3:0x40
	v_bitop3_b32 v2, v0, s18, v0 bitop3:0x30
	v_add_co_u32 v0, s13, v1, -1
	s_delay_alu instid0(VALU_DEP_1) | instskip(NEXT) | instid1(VALU_DEP_3)
	v_cndmask_b32_e64 v1, 0, 1, s13
	v_dual_lshlrev_b32 v3, 30, v2 :: v_dual_lshlrev_b32 v16, 29, v2
	v_dual_lshlrev_b32 v17, 28, v2 :: v_dual_lshlrev_b32 v18, 27, v2
	s_delay_alu instid0(VALU_DEP_3) | instskip(NEXT) | instid1(VALU_DEP_3)
	v_cmp_ne_u32_e32 vcc_lo, 0, v1
	v_not_b32_e32 v1, v3
	v_dual_lshlrev_b32 v19, 26, v2 :: v_dual_lshlrev_b32 v20, 25, v2
	v_lshlrev_b32_e32 v21, 24, v2
	v_cmp_gt_i32_e64 s13, 0, v3
	v_cmp_gt_i32_e64 s14, 0, v16
	v_not_b32_e32 v3, v16
	v_not_b32_e32 v16, v17
	v_ashrrev_i32_e32 v1, 31, v1
	v_cmp_gt_i32_e64 s15, 0, v17
	v_cmp_gt_i32_e64 s16, 0, v18
	v_not_b32_e32 v17, v18
	v_not_b32_e32 v18, v19
	v_dual_ashrrev_i32 v3, 31, v3 :: v_dual_bitop2_b32 v0, vcc_lo, v0 bitop3:0x14
	v_dual_ashrrev_i32 v16, 31, v16 :: v_dual_bitop2_b32 v1, s13, v1 bitop3:0x14
	v_cmp_gt_i32_e64 s17, 0, v19
	s_delay_alu instid0(VALU_DEP_3) | instskip(NEXT) | instid1(VALU_DEP_3)
	v_dual_ashrrev_i32 v17, 31, v17 :: v_dual_bitop2_b32 v3, s14, v3 bitop3:0x14
	v_dual_ashrrev_i32 v18, 31, v18 :: v_dual_bitop2_b32 v16, s15, v16 bitop3:0x14
	s_delay_alu instid0(VALU_DEP_4)
	v_bitop3_b32 v0, v0, v1, exec_lo bitop3:0x80
	v_not_b32_e32 v1, v20
	v_not_b32_e32 v19, v21
	v_cmp_gt_i32_e32 vcc_lo, 0, v20
	v_xor_b32_e32 v17, s16, v17
	v_bitop3_b32 v0, v0, v16, v3 bitop3:0x80
	v_dual_ashrrev_i32 v1, 31, v1 :: v_dual_bitop2_b32 v16, s17, v18 bitop3:0x14
	v_cmp_gt_i32_e64 s13, 0, v21
	s_delay_alu instid0(VALU_DEP_2) | instskip(NEXT) | instid1(VALU_DEP_3)
	v_dual_ashrrev_i32 v3, 31, v19 :: v_dual_bitop2_b32 v1, vcc_lo, v1 bitop3:0x14
	v_bitop3_b32 v0, v0, v16, v17 bitop3:0x80
	s_delay_alu instid0(VALU_DEP_2) | instskip(NEXT) | instid1(VALU_DEP_1)
	v_xor_b32_e32 v3, s13, v3
	v_bitop3_b32 v0, v0, v3, v1 bitop3:0x80
	v_lshlrev_b32_e32 v1, 5, v2
	s_delay_alu instid0(VALU_DEP_2) | instskip(SKIP_1) | instid1(VALU_DEP_3)
	v_mbcnt_lo_u32_b32 v30, v0, 0
	v_cmp_ne_u32_e64 s13, 0, v0
	v_add_nc_u32_e32 v31, v28, v1
	s_delay_alu instid0(VALU_DEP_3) | instskip(SKIP_1) | instid1(SALU_CYCLE_1)
	v_cmp_eq_u32_e32 vcc_lo, 0, v30
	s_and_b32 s14, s13, vcc_lo
	s_and_saveexec_b32 s13, s14
; %bb.7:                                ;   in Loop: Header=BB2916_6 Depth=1
	v_bcnt_u32_b32 v0, v0, 0
	ds_store_b32 v31, v0 offset:32
; %bb.8:                                ;   in Loop: Header=BB2916_6 Depth=1
	s_or_b32 exec_lo, exec_lo, s13
	v_dual_mov_b32 v16, v4 :: v_dual_mov_b32 v17, v5
	s_not_b32 s29, s18
	; wave barrier
	s_delay_alu instid0(VALU_DEP_1) | instskip(NEXT) | instid1(VALU_DEP_1)
	v_lshrrev_b64 v[0:1], s20, v[16:17]
	v_and_b32_e32 v1, s29, v0
	v_bitop3_b32 v0, v0, 1, s29 bitop3:0x80
	s_delay_alu instid0(VALU_DEP_2) | instskip(NEXT) | instid1(VALU_DEP_2)
	v_lshlrev_b32_e32 v4, 30, v1
	v_add_co_u32 v0, s13, v0, -1
	s_delay_alu instid0(VALU_DEP_1) | instskip(NEXT) | instid1(VALU_DEP_1)
	v_cndmask_b32_e64 v3, 0, 1, s13
	v_cmp_ne_u32_e32 vcc_lo, 0, v3
	s_delay_alu instid0(VALU_DEP_4) | instskip(NEXT) | instid1(VALU_DEP_1)
	v_not_b32_e32 v3, v4
	v_dual_ashrrev_i32 v3, 31, v3 :: v_dual_lshlrev_b32 v2, 5, v1
	v_dual_lshlrev_b32 v5, 29, v1 :: v_dual_lshlrev_b32 v18, 28, v1
	v_dual_lshlrev_b32 v19, 27, v1 :: v_dual_lshlrev_b32 v20, 26, v1
	v_cmp_gt_i32_e64 s13, 0, v4
	s_delay_alu instid0(VALU_DEP_3)
	v_cmp_gt_i32_e64 s14, 0, v5
	v_not_b32_e32 v4, v5
	v_not_b32_e32 v5, v18
	v_dual_lshlrev_b32 v21, 25, v1 :: v_dual_lshlrev_b32 v1, 24, v1
	v_cmp_gt_i32_e64 s15, 0, v18
	v_cmp_gt_i32_e64 s16, 0, v19
	v_not_b32_e32 v18, v19
	v_not_b32_e32 v19, v20
	v_dual_ashrrev_i32 v5, 31, v5 :: v_dual_bitop2_b32 v0, vcc_lo, v0 bitop3:0x14
	v_dual_ashrrev_i32 v4, 31, v4 :: v_dual_bitop2_b32 v3, s13, v3 bitop3:0x14
	v_cmp_gt_i32_e64 s17, 0, v20
	s_delay_alu instid0(VALU_DEP_4)
	v_dual_ashrrev_i32 v18, 31, v18 :: v_dual_ashrrev_i32 v19, 31, v19
	v_not_b32_e32 v20, v1
	v_xor_b32_e32 v5, s15, v5
	v_bitop3_b32 v0, v0, v3, exec_lo bitop3:0x80
	v_not_b32_e32 v3, v21
	v_xor_b32_e32 v4, s14, v4
	v_xor_b32_e32 v18, s16, v18
	v_dual_add_nc_u32 v33, v28, v2 :: v_dual_bitop2_b32 v19, s17, v19 bitop3:0x14
	v_cmp_gt_i32_e32 vcc_lo, 0, v21
	v_ashrrev_i32_e32 v3, 31, v3
	v_cmp_gt_i32_e64 s13, 0, v1
	v_ashrrev_i32_e32 v1, 31, v20
	v_bitop3_b32 v0, v0, v5, v4 bitop3:0x80
	ds_load_b32 v32, v33 offset:32
	v_xor_b32_e32 v2, vcc_lo, v3
	v_xor_b32_e32 v1, s13, v1
	v_bitop3_b32 v0, v0, v19, v18 bitop3:0x80
	; wave barrier
	s_delay_alu instid0(VALU_DEP_1) | instskip(NEXT) | instid1(VALU_DEP_1)
	v_bitop3_b32 v0, v0, v1, v2 bitop3:0x80
	v_mbcnt_lo_u32_b32 v34, v0, 0
	v_cmp_ne_u32_e64 s13, 0, v0
	s_delay_alu instid0(VALU_DEP_2) | instskip(SKIP_1) | instid1(SALU_CYCLE_1)
	v_cmp_eq_u32_e32 vcc_lo, 0, v34
	s_and_b32 s14, s13, vcc_lo
	s_and_saveexec_b32 s13, s14
	s_cbranch_execz .LBB2916_10
; %bb.9:                                ;   in Loop: Header=BB2916_6 Depth=1
	s_wait_dscnt 0x0
	v_bcnt_u32_b32 v0, v0, v32
	ds_store_b32 v33, v0 offset:32
.LBB2916_10:                            ;   in Loop: Header=BB2916_6 Depth=1
	s_or_b32 exec_lo, exec_lo, s13
	v_dual_mov_b32 v18, v6 :: v_dual_mov_b32 v19, v7
	; wave barrier
	s_delay_alu instid0(VALU_DEP_1) | instskip(NEXT) | instid1(VALU_DEP_1)
	v_lshrrev_b64 v[0:1], s20, v[18:19]
	v_and_b32_e32 v1, s29, v0
	v_bitop3_b32 v0, v0, 1, s29 bitop3:0x80
	s_delay_alu instid0(VALU_DEP_2) | instskip(NEXT) | instid1(VALU_DEP_2)
	v_lshlrev_b32_e32 v4, 30, v1
	v_add_co_u32 v0, s13, v0, -1
	s_delay_alu instid0(VALU_DEP_1) | instskip(NEXT) | instid1(VALU_DEP_1)
	v_cndmask_b32_e64 v3, 0, 1, s13
	v_cmp_ne_u32_e32 vcc_lo, 0, v3
	s_delay_alu instid0(VALU_DEP_4) | instskip(NEXT) | instid1(VALU_DEP_1)
	v_not_b32_e32 v3, v4
	v_dual_ashrrev_i32 v3, 31, v3 :: v_dual_lshlrev_b32 v2, 5, v1
	v_dual_lshlrev_b32 v5, 29, v1 :: v_dual_lshlrev_b32 v6, 28, v1
	v_dual_lshlrev_b32 v7, 27, v1 :: v_dual_lshlrev_b32 v20, 26, v1
	v_cmp_gt_i32_e64 s13, 0, v4
	s_delay_alu instid0(VALU_DEP_3)
	v_cmp_gt_i32_e64 s14, 0, v5
	v_not_b32_e32 v4, v5
	v_not_b32_e32 v5, v6
	v_dual_lshlrev_b32 v21, 25, v1 :: v_dual_lshlrev_b32 v1, 24, v1
	v_cmp_gt_i32_e64 s15, 0, v6
	v_cmp_gt_i32_e64 s16, 0, v7
	v_not_b32_e32 v6, v7
	v_not_b32_e32 v7, v20
	v_dual_ashrrev_i32 v5, 31, v5 :: v_dual_bitop2_b32 v0, vcc_lo, v0 bitop3:0x14
	v_dual_ashrrev_i32 v4, 31, v4 :: v_dual_bitop2_b32 v3, s13, v3 bitop3:0x14
	v_cmp_gt_i32_e64 s17, 0, v20
	s_delay_alu instid0(VALU_DEP_4)
	v_dual_ashrrev_i32 v6, 31, v6 :: v_dual_ashrrev_i32 v7, 31, v7
	v_not_b32_e32 v20, v1
	v_xor_b32_e32 v5, s15, v5
	v_bitop3_b32 v0, v0, v3, exec_lo bitop3:0x80
	v_not_b32_e32 v3, v21
	v_xor_b32_e32 v4, s14, v4
	v_cmp_gt_i32_e64 s18, 0, v21
	v_xor_b32_e32 v6, s16, v6
	v_dual_add_nc_u32 v37, v28, v2 :: v_dual_bitop2_b32 v7, s17, v7 bitop3:0x14
	v_ashrrev_i32_e32 v3, 31, v3
	v_cmp_gt_i32_e32 vcc_lo, 0, v1
	v_ashrrev_i32_e32 v1, 31, v20
	v_bitop3_b32 v0, v0, v5, v4 bitop3:0x80
	ds_load_b32 v35, v37 offset:32
	v_xor_b32_e32 v2, s18, v3
	v_xor_b32_e32 v1, vcc_lo, v1
	v_bitop3_b32 v0, v0, v7, v6 bitop3:0x80
	; wave barrier
	s_delay_alu instid0(VALU_DEP_1) | instskip(NEXT) | instid1(VALU_DEP_1)
	v_bitop3_b32 v0, v0, v1, v2 bitop3:0x80
	v_mbcnt_lo_u32_b32 v36, v0, 0
	v_cmp_ne_u32_e64 s13, 0, v0
	s_delay_alu instid0(VALU_DEP_2) | instskip(SKIP_1) | instid1(SALU_CYCLE_1)
	v_cmp_eq_u32_e32 vcc_lo, 0, v36
	s_and_b32 s14, s13, vcc_lo
	s_and_saveexec_b32 s13, s14
	s_cbranch_execz .LBB2916_12
; %bb.11:                               ;   in Loop: Header=BB2916_6 Depth=1
	s_wait_dscnt 0x0
	v_bcnt_u32_b32 v0, v0, v35
	ds_store_b32 v37, v0 offset:32
.LBB2916_12:                            ;   in Loop: Header=BB2916_6 Depth=1
	s_or_b32 exec_lo, exec_lo, s13
	v_dual_mov_b32 v20, v8 :: v_dual_mov_b32 v21, v9
	; wave barrier
	s_delay_alu instid0(VALU_DEP_1) | instskip(NEXT) | instid1(VALU_DEP_1)
	v_lshrrev_b64 v[0:1], s20, v[20:21]
	v_and_b32_e32 v1, s29, v0
	v_bitop3_b32 v0, v0, 1, s29 bitop3:0x80
	s_delay_alu instid0(VALU_DEP_2) | instskip(NEXT) | instid1(VALU_DEP_2)
	v_lshlrev_b32_e32 v4, 30, v1
	v_add_co_u32 v0, s13, v0, -1
	s_delay_alu instid0(VALU_DEP_1) | instskip(NEXT) | instid1(VALU_DEP_1)
	v_cndmask_b32_e64 v3, 0, 1, s13
	v_cmp_ne_u32_e32 vcc_lo, 0, v3
	s_delay_alu instid0(VALU_DEP_4) | instskip(NEXT) | instid1(VALU_DEP_1)
	v_not_b32_e32 v3, v4
	v_dual_ashrrev_i32 v3, 31, v3 :: v_dual_lshlrev_b32 v2, 5, v1
	v_dual_lshlrev_b32 v5, 29, v1 :: v_dual_lshlrev_b32 v6, 28, v1
	v_dual_lshlrev_b32 v7, 27, v1 :: v_dual_lshlrev_b32 v8, 26, v1
	v_cmp_gt_i32_e64 s13, 0, v4
	s_delay_alu instid0(VALU_DEP_3)
	v_cmp_gt_i32_e64 s14, 0, v5
	v_not_b32_e32 v4, v5
	v_not_b32_e32 v5, v6
	v_dual_lshlrev_b32 v9, 25, v1 :: v_dual_lshlrev_b32 v1, 24, v1
	v_cmp_gt_i32_e64 s15, 0, v6
	v_cmp_gt_i32_e64 s16, 0, v7
	v_not_b32_e32 v6, v7
	v_not_b32_e32 v7, v8
	v_dual_ashrrev_i32 v5, 31, v5 :: v_dual_bitop2_b32 v0, vcc_lo, v0 bitop3:0x14
	v_dual_ashrrev_i32 v4, 31, v4 :: v_dual_bitop2_b32 v3, s13, v3 bitop3:0x14
	v_cmp_gt_i32_e64 s17, 0, v8
	s_delay_alu instid0(VALU_DEP_4)
	v_dual_ashrrev_i32 v6, 31, v6 :: v_dual_ashrrev_i32 v7, 31, v7
	v_not_b32_e32 v8, v1
	v_xor_b32_e32 v5, s15, v5
	v_bitop3_b32 v0, v0, v3, exec_lo bitop3:0x80
	v_not_b32_e32 v3, v9
	v_xor_b32_e32 v4, s14, v4
	v_cmp_gt_i32_e64 s18, 0, v9
	v_xor_b32_e32 v6, s16, v6
	v_dual_add_nc_u32 v38, v28, v2 :: v_dual_bitop2_b32 v7, s17, v7 bitop3:0x14
	v_ashrrev_i32_e32 v3, 31, v3
	v_cmp_gt_i32_e32 vcc_lo, 0, v1
	v_ashrrev_i32_e32 v1, 31, v8
	v_bitop3_b32 v0, v0, v5, v4 bitop3:0x80
	ds_load_b32 v8, v38 offset:32
	v_xor_b32_e32 v2, s18, v3
	v_xor_b32_e32 v1, vcc_lo, v1
	v_bitop3_b32 v0, v0, v7, v6 bitop3:0x80
	; wave barrier
	s_delay_alu instid0(VALU_DEP_1) | instskip(NEXT) | instid1(VALU_DEP_1)
	v_bitop3_b32 v0, v0, v1, v2 bitop3:0x80
	v_mbcnt_lo_u32_b32 v9, v0, 0
	v_cmp_ne_u32_e64 s13, 0, v0
	s_delay_alu instid0(VALU_DEP_2) | instskip(SKIP_1) | instid1(SALU_CYCLE_1)
	v_cmp_eq_u32_e32 vcc_lo, 0, v9
	s_and_b32 s14, s13, vcc_lo
	s_and_saveexec_b32 s13, s14
	s_cbranch_execz .LBB2916_14
; %bb.13:                               ;   in Loop: Header=BB2916_6 Depth=1
	s_wait_dscnt 0x0
	v_bcnt_u32_b32 v0, v0, v8
	ds_store_b32 v38, v0 offset:32
.LBB2916_14:                            ;   in Loop: Header=BB2916_6 Depth=1
	s_or_b32 exec_lo, exec_lo, s13
	; wave barrier
	s_wait_dscnt 0x0
	s_barrier_signal -1
	s_barrier_wait -1
	ds_load_2addr_b64 v[4:7], v23 offset0:4 offset1:5
	ds_load_2addr_b64 v[0:3], v23 offset0:6 offset1:7
	s_wait_dscnt 0x1
	v_add_nc_u32_e32 v39, v5, v4
	s_delay_alu instid0(VALU_DEP_1) | instskip(SKIP_1) | instid1(VALU_DEP_1)
	v_add3_u32 v39, v39, v6, v7
	s_wait_dscnt 0x0
	v_add3_u32 v39, v39, v0, v1
	s_delay_alu instid0(VALU_DEP_1) | instskip(NEXT) | instid1(VALU_DEP_1)
	v_add3_u32 v3, v39, v2, v3
	v_mov_b32_dpp v39, v3 row_shr:1 row_mask:0xf bank_mask:0xf
	s_delay_alu instid0(VALU_DEP_1) | instskip(NEXT) | instid1(VALU_DEP_1)
	v_cndmask_b32_e64 v39, v39, 0, s4
	v_add_nc_u32_e32 v3, v39, v3
	s_delay_alu instid0(VALU_DEP_1) | instskip(NEXT) | instid1(VALU_DEP_1)
	v_mov_b32_dpp v39, v3 row_shr:2 row_mask:0xf bank_mask:0xf
	v_cndmask_b32_e64 v39, 0, v39, s5
	s_delay_alu instid0(VALU_DEP_1) | instskip(NEXT) | instid1(VALU_DEP_1)
	v_add_nc_u32_e32 v3, v3, v39
	v_mov_b32_dpp v39, v3 row_shr:4 row_mask:0xf bank_mask:0xf
	s_delay_alu instid0(VALU_DEP_1) | instskip(NEXT) | instid1(VALU_DEP_1)
	v_cndmask_b32_e64 v39, 0, v39, s6
	v_add_nc_u32_e32 v3, v3, v39
	s_delay_alu instid0(VALU_DEP_1) | instskip(NEXT) | instid1(VALU_DEP_1)
	v_mov_b32_dpp v39, v3 row_shr:8 row_mask:0xf bank_mask:0xf
	v_cndmask_b32_e64 v39, 0, v39, s7
	s_delay_alu instid0(VALU_DEP_1) | instskip(SKIP_3) | instid1(VALU_DEP_1)
	v_add_nc_u32_e32 v3, v3, v39
	ds_swizzle_b32 v39, v3 offset:swizzle(BROADCAST,32,15)
	s_wait_dscnt 0x0
	v_cndmask_b32_e64 v39, v39, 0, s8
	v_add_nc_u32_e32 v3, v3, v39
	s_and_saveexec_b32 s13, s12
; %bb.15:                               ;   in Loop: Header=BB2916_6 Depth=1
	ds_store_b32 v25, v3
; %bb.16:                               ;   in Loop: Header=BB2916_6 Depth=1
	s_or_b32 exec_lo, exec_lo, s13
	s_wait_dscnt 0x0
	s_barrier_signal -1
	s_barrier_wait -1
	s_and_saveexec_b32 s13, s0
	s_cbranch_execz .LBB2916_18
; %bb.17:                               ;   in Loop: Header=BB2916_6 Depth=1
	ds_load_b32 v39, v29
	s_wait_dscnt 0x0
	v_mov_b32_dpp v40, v39 row_shr:1 row_mask:0xf bank_mask:0xf
	s_delay_alu instid0(VALU_DEP_1) | instskip(NEXT) | instid1(VALU_DEP_1)
	v_cndmask_b32_e64 v40, v40, 0, s9
	v_add_nc_u32_e32 v39, v40, v39
	s_delay_alu instid0(VALU_DEP_1) | instskip(NEXT) | instid1(VALU_DEP_1)
	v_mov_b32_dpp v40, v39 row_shr:2 row_mask:0xf bank_mask:0xf
	v_cndmask_b32_e64 v40, 0, v40, s10
	s_delay_alu instid0(VALU_DEP_1) | instskip(NEXT) | instid1(VALU_DEP_1)
	v_add_nc_u32_e32 v39, v39, v40
	v_mov_b32_dpp v40, v39 row_shr:4 row_mask:0xf bank_mask:0xf
	s_delay_alu instid0(VALU_DEP_1) | instskip(NEXT) | instid1(VALU_DEP_1)
	v_cndmask_b32_e64 v40, 0, v40, s11
	v_add_nc_u32_e32 v39, v39, v40
	ds_store_b32 v29, v39
.LBB2916_18:                            ;   in Loop: Header=BB2916_6 Depth=1
	s_or_b32 exec_lo, exec_lo, s13
	v_mov_b32_e32 v39, 0
	s_wait_dscnt 0x0
	s_barrier_signal -1
	s_barrier_wait -1
	s_and_saveexec_b32 s13, s1
; %bb.19:                               ;   in Loop: Header=BB2916_6 Depth=1
	ds_load_b32 v39, v27
; %bb.20:                               ;   in Loop: Header=BB2916_6 Depth=1
	s_or_b32 exec_lo, exec_lo, s13
	s_wait_dscnt 0x0
	v_dual_add_nc_u32 v3, v39, v3 :: v_dual_lshlrev_b32 v9, 3, v9
	v_lshlrev_b32_e32 v8, 3, v8
	s_add_co_i32 s20, s20, 8
	s_mov_b32 s13, -1
	ds_bpermute_b32 v3, v26, v3
	s_cmp_ge_u32 s20, s28
	s_wait_dscnt 0x0
	v_cndmask_b32_e64 v3, v3, v39, s2
	s_delay_alu instid0(VALU_DEP_1) | instskip(NEXT) | instid1(VALU_DEP_1)
	v_cndmask_b32_e64 v40, v3, 0, s3
	v_add_nc_u32_e32 v41, v40, v4
	s_delay_alu instid0(VALU_DEP_1) | instskip(NEXT) | instid1(VALU_DEP_1)
	v_add_nc_u32_e32 v4, v41, v5
	v_add_nc_u32_e32 v5, v4, v6
	s_delay_alu instid0(VALU_DEP_1) | instskip(NEXT) | instid1(VALU_DEP_1)
	v_add_nc_u32_e32 v6, v5, v7
	;; [unrolled: 3-line block ×3, first 2 shown]
	v_add_nc_u32_e32 v1, v0, v2
	ds_store_2addr_b64 v23, v[40:41], v[4:5] offset0:4 offset1:5
	ds_store_2addr_b64 v23, v[6:7], v[0:1] offset0:6 offset1:7
	s_wait_dscnt 0x0
	s_barrier_signal -1
	s_barrier_wait -1
	ds_load_b32 v0, v33 offset:32
	ds_load_b32 v1, v37 offset:32
	;; [unrolled: 1-line block ×4, first 2 shown]
	v_dual_lshlrev_b32 v4, 3, v30 :: v_dual_lshlrev_b32 v7, 3, v36
	v_dual_lshlrev_b32 v5, 3, v34 :: v_dual_lshlrev_b32 v30, 3, v35
	v_lshlrev_b32_e32 v6, 3, v32
	s_wait_dscnt 0x0
	v_dual_lshlrev_b32 v31, 3, v0 :: v_dual_lshlrev_b32 v32, 3, v1
	v_lshlrev_b32_e32 v2, 3, v2
	v_lshl_add_u32 v0, v3, 3, v4
	s_delay_alu instid0(VALU_DEP_3) | instskip(NEXT) | instid1(VALU_DEP_4)
	v_add3_u32 v1, v5, v6, v31
	v_add3_u32 v30, v7, v30, v32
	s_delay_alu instid0(VALU_DEP_4)
	v_add3_u32 v31, v9, v8, v2
                                        ; implicit-def: $vgpr2_vgpr3_vgpr4_vgpr5_vgpr6_vgpr7_vgpr8_vgpr9
	s_cbranch_scc1 .LBB2916_5
; %bb.21:                               ;   in Loop: Header=BB2916_6 Depth=1
	s_barrier_signal -1
	s_barrier_wait -1
	ds_store_b64 v0, v[14:15]
	ds_store_b64 v1, v[16:17]
	;; [unrolled: 1-line block ×4, first 2 shown]
	s_wait_dscnt 0x0
	s_barrier_signal -1
	s_barrier_wait -1
	ds_load_2addr_b64 v[2:5], v24 offset1:32
	ds_load_2addr_b64 v[6:9], v24 offset0:64 offset1:96
	s_add_co_i32 s21, s21, -8
	s_mov_b32 s13, 0
	s_wait_dscnt 0x0
	s_barrier_signal -1
	s_barrier_wait -1
	s_branch .LBB2916_5
.LBB2916_22:
	v_dual_mov_b32 v9, 0 :: v_dual_lshlrev_b32 v8, 3, v22
	s_barrier_signal -1
	s_barrier_wait -1
	ds_store_b64 v0, v[14:15]
	ds_store_b64 v1, v[16:17]
	ds_store_b64 v30, v[18:19]
	ds_store_b64 v31, v[20:21]
	s_wait_dscnt 0x0
	s_barrier_signal -1
	s_barrier_wait -1
	ds_load_2addr_stride64_b64 v[4:7], v8 offset1:4
	ds_load_2addr_stride64_b64 v[0:3], v8 offset0:8 offset1:12
	s_add_nc_u64 s[0:1], s[22:23], s[24:25]
	s_and_not1_b32 vcc_lo, exec_lo, s26
	v_add_nc_u64_e32 v[8:9], s[0:1], v[8:9]
	s_cbranch_vccnz .LBB2916_32
; %bb.23:
	s_mov_b32 s0, -1
	s_wait_dscnt 0x1
	s_clause 0x1
	global_store_b64 v[8:9], v[4:5], off
	global_store_b64 v[8:9], v[6:7], off offset:2048
	s_wait_dscnt 0x0
	global_store_b64 v[8:9], v[0:1], off offset:4096
	s_cbranch_execz .LBB2916_33
	s_branch .LBB2916_40
.LBB2916_24:
	s_clause 0x2
	global_load_b64 v[2:3], v[12:13], off
	global_load_b64 v[4:5], v[12:13], off offset:256
	global_load_b64 v[6:7], v[12:13], off offset:512
	s_mov_b32 s3, -1
	s_load_b64 s[20:21], s[0:1], 0x28
	s_sub_co_i32 s19, s4, s2
	s_cbranch_execnz .LBB2916_2
.LBB2916_25:
	s_wait_loadcnt 0x2
	v_dual_mov_b32 v2, -1 :: v_dual_bitop2_b32 v11, v1, v14 bitop3:0x54
	s_mov_b32 s2, exec_lo
	s_wait_loadcnt 0x1
	s_delay_alu instid0(VALU_DEP_1)
	v_dual_mov_b32 v3, v2 :: v_dual_mov_b32 v4, v2
	s_wait_loadcnt 0x0
	v_dual_mov_b32 v5, v2 :: v_dual_mov_b32 v6, v2
	v_dual_mov_b32 v7, v2 :: v_dual_mov_b32 v8, v2
	v_mov_b32_e32 v9, v2
	v_cmpx_gt_u32_e64 s19, v11
	s_cbranch_execz .LBB2916_27
; %bb.26:
	global_load_b64 v[14:15], v[12:13], off
	v_dual_mov_b32 v16, v2 :: v_dual_mov_b32 v17, v2
	v_dual_mov_b32 v18, v2 :: v_dual_mov_b32 v19, v2
	;; [unrolled: 1-line block ×3, first 2 shown]
	s_wait_loadcnt 0x0
	v_mov_b64_e32 v[2:3], v[14:15]
	v_mov_b64_e32 v[4:5], v[16:17]
	;; [unrolled: 1-line block ×4, first 2 shown]
.LBB2916_27:
	s_or_b32 exec_lo, exec_lo, s2
	v_or_b32_e32 v14, 32, v11
	s_mov_b32 s2, exec_lo
	s_delay_alu instid0(VALU_DEP_1)
	v_cmpx_gt_u32_e64 s19, v14
	s_cbranch_execz .LBB2916_29
; %bb.28:
	global_load_b64 v[4:5], v[12:13], off offset:256
.LBB2916_29:
	s_wait_xcnt 0x0
	s_or_b32 exec_lo, exec_lo, s2
	v_or_b32_e32 v14, 64, v11
	s_mov_b32 s2, exec_lo
	s_delay_alu instid0(VALU_DEP_1)
	v_cmpx_gt_u32_e64 s19, v14
	s_cbranch_execz .LBB2916_31
; %bb.30:
	global_load_b64 v[6:7], v[12:13], off offset:512
.LBB2916_31:
	s_wait_xcnt 0x0
	s_or_b32 exec_lo, exec_lo, s2
	v_or_b32_e32 v11, 0x60, v11
	s_delay_alu instid0(VALU_DEP_1)
	v_cmp_gt_u32_e64 s3, s19, v11
	s_and_saveexec_b32 s2, s3
	s_cbranch_execnz .LBB2916_3
	s_branch .LBB2916_4
.LBB2916_32:
	s_mov_b32 s0, 0
.LBB2916_33:
	s_mov_b32 s0, exec_lo
	s_wait_xcnt 0x0
	v_cmpx_gt_u32_e64 s19, v22
	s_cbranch_execz .LBB2916_35
; %bb.34:
	s_wait_dscnt 0x1
	global_store_b64 v[8:9], v[4:5], off
.LBB2916_35:
	s_wait_xcnt 0x0
	s_or_b32 exec_lo, exec_lo, s0
	s_wait_dscnt 0x1
	v_add_nc_u32_e32 v4, 0x100, v22
	s_mov_b32 s0, exec_lo
	s_delay_alu instid0(VALU_DEP_1)
	v_cmpx_gt_u32_e64 s19, v4
	s_cbranch_execz .LBB2916_37
; %bb.36:
	global_store_b64 v[8:9], v[6:7], off offset:2048
.LBB2916_37:
	s_wait_xcnt 0x0
	s_or_b32 exec_lo, exec_lo, s0
	v_add_nc_u32_e32 v4, 0x200, v22
	s_mov_b32 s0, exec_lo
	s_delay_alu instid0(VALU_DEP_1)
	v_cmpx_gt_u32_e64 s19, v4
	s_cbranch_execz .LBB2916_39
; %bb.38:
	s_wait_dscnt 0x0
	global_store_b64 v[8:9], v[0:1], off offset:4096
.LBB2916_39:
	s_wait_xcnt 0x0
	s_or_b32 exec_lo, exec_lo, s0
	s_wait_dscnt 0x0
	v_add_nc_u32_e32 v0, 0x300, v22
	s_delay_alu instid0(VALU_DEP_1)
	v_cmp_gt_u32_e64 s0, s19, v0
.LBB2916_40:
	s_wait_xcnt 0x0
	s_delay_alu instid0(VALU_DEP_1)
	s_and_saveexec_b32 s1, s0
	s_cbranch_execnz .LBB2916_42
; %bb.41:
	s_endpgm
.LBB2916_42:
	s_wait_dscnt 0x0
	global_store_b64 v[8:9], v[2:3], off offset:6144
	s_endpgm
	.section	.rodata,"a",@progbits
	.p2align	6, 0x0
	.amdhsa_kernel _ZN7rocprim17ROCPRIM_400000_NS6detail17trampoline_kernelINS0_13kernel_configILj256ELj4ELj4294967295EEENS1_37radix_sort_block_sort_config_selectorImNS0_10empty_typeEEEZNS1_21radix_sort_block_sortIS4_Lb0EPKmPmPS6_SC_NS0_19identity_decomposerEEE10hipError_tT1_T2_T3_T4_jRjT5_jjP12ihipStream_tbEUlT_E_NS1_11comp_targetILNS1_3genE0ELNS1_11target_archE4294967295ELNS1_3gpuE0ELNS1_3repE0EEENS1_44radix_sort_block_sort_config_static_selectorELNS0_4arch9wavefront6targetE0EEEvSF_
		.amdhsa_group_segment_fixed_size 8224
		.amdhsa_private_segment_fixed_size 0
		.amdhsa_kernarg_size 304
		.amdhsa_user_sgpr_count 2
		.amdhsa_user_sgpr_dispatch_ptr 0
		.amdhsa_user_sgpr_queue_ptr 0
		.amdhsa_user_sgpr_kernarg_segment_ptr 1
		.amdhsa_user_sgpr_dispatch_id 0
		.amdhsa_user_sgpr_kernarg_preload_length 0
		.amdhsa_user_sgpr_kernarg_preload_offset 0
		.amdhsa_user_sgpr_private_segment_size 0
		.amdhsa_wavefront_size32 1
		.amdhsa_uses_dynamic_stack 0
		.amdhsa_enable_private_segment 0
		.amdhsa_system_sgpr_workgroup_id_x 1
		.amdhsa_system_sgpr_workgroup_id_y 0
		.amdhsa_system_sgpr_workgroup_id_z 0
		.amdhsa_system_sgpr_workgroup_info 0
		.amdhsa_system_vgpr_workitem_id 2
		.amdhsa_next_free_vgpr 42
		.amdhsa_next_free_sgpr 30
		.amdhsa_named_barrier_count 0
		.amdhsa_reserve_vcc 1
		.amdhsa_float_round_mode_32 0
		.amdhsa_float_round_mode_16_64 0
		.amdhsa_float_denorm_mode_32 3
		.amdhsa_float_denorm_mode_16_64 3
		.amdhsa_fp16_overflow 0
		.amdhsa_memory_ordered 1
		.amdhsa_forward_progress 1
		.amdhsa_inst_pref_size 28
		.amdhsa_round_robin_scheduling 0
		.amdhsa_exception_fp_ieee_invalid_op 0
		.amdhsa_exception_fp_denorm_src 0
		.amdhsa_exception_fp_ieee_div_zero 0
		.amdhsa_exception_fp_ieee_overflow 0
		.amdhsa_exception_fp_ieee_underflow 0
		.amdhsa_exception_fp_ieee_inexact 0
		.amdhsa_exception_int_div_zero 0
	.end_amdhsa_kernel
	.section	.text._ZN7rocprim17ROCPRIM_400000_NS6detail17trampoline_kernelINS0_13kernel_configILj256ELj4ELj4294967295EEENS1_37radix_sort_block_sort_config_selectorImNS0_10empty_typeEEEZNS1_21radix_sort_block_sortIS4_Lb0EPKmPmPS6_SC_NS0_19identity_decomposerEEE10hipError_tT1_T2_T3_T4_jRjT5_jjP12ihipStream_tbEUlT_E_NS1_11comp_targetILNS1_3genE0ELNS1_11target_archE4294967295ELNS1_3gpuE0ELNS1_3repE0EEENS1_44radix_sort_block_sort_config_static_selectorELNS0_4arch9wavefront6targetE0EEEvSF_,"axG",@progbits,_ZN7rocprim17ROCPRIM_400000_NS6detail17trampoline_kernelINS0_13kernel_configILj256ELj4ELj4294967295EEENS1_37radix_sort_block_sort_config_selectorImNS0_10empty_typeEEEZNS1_21radix_sort_block_sortIS4_Lb0EPKmPmPS6_SC_NS0_19identity_decomposerEEE10hipError_tT1_T2_T3_T4_jRjT5_jjP12ihipStream_tbEUlT_E_NS1_11comp_targetILNS1_3genE0ELNS1_11target_archE4294967295ELNS1_3gpuE0ELNS1_3repE0EEENS1_44radix_sort_block_sort_config_static_selectorELNS0_4arch9wavefront6targetE0EEEvSF_,comdat
.Lfunc_end2916:
	.size	_ZN7rocprim17ROCPRIM_400000_NS6detail17trampoline_kernelINS0_13kernel_configILj256ELj4ELj4294967295EEENS1_37radix_sort_block_sort_config_selectorImNS0_10empty_typeEEEZNS1_21radix_sort_block_sortIS4_Lb0EPKmPmPS6_SC_NS0_19identity_decomposerEEE10hipError_tT1_T2_T3_T4_jRjT5_jjP12ihipStream_tbEUlT_E_NS1_11comp_targetILNS1_3genE0ELNS1_11target_archE4294967295ELNS1_3gpuE0ELNS1_3repE0EEENS1_44radix_sort_block_sort_config_static_selectorELNS0_4arch9wavefront6targetE0EEEvSF_, .Lfunc_end2916-_ZN7rocprim17ROCPRIM_400000_NS6detail17trampoline_kernelINS0_13kernel_configILj256ELj4ELj4294967295EEENS1_37radix_sort_block_sort_config_selectorImNS0_10empty_typeEEEZNS1_21radix_sort_block_sortIS4_Lb0EPKmPmPS6_SC_NS0_19identity_decomposerEEE10hipError_tT1_T2_T3_T4_jRjT5_jjP12ihipStream_tbEUlT_E_NS1_11comp_targetILNS1_3genE0ELNS1_11target_archE4294967295ELNS1_3gpuE0ELNS1_3repE0EEENS1_44radix_sort_block_sort_config_static_selectorELNS0_4arch9wavefront6targetE0EEEvSF_
                                        ; -- End function
	.set _ZN7rocprim17ROCPRIM_400000_NS6detail17trampoline_kernelINS0_13kernel_configILj256ELj4ELj4294967295EEENS1_37radix_sort_block_sort_config_selectorImNS0_10empty_typeEEEZNS1_21radix_sort_block_sortIS4_Lb0EPKmPmPS6_SC_NS0_19identity_decomposerEEE10hipError_tT1_T2_T3_T4_jRjT5_jjP12ihipStream_tbEUlT_E_NS1_11comp_targetILNS1_3genE0ELNS1_11target_archE4294967295ELNS1_3gpuE0ELNS1_3repE0EEENS1_44radix_sort_block_sort_config_static_selectorELNS0_4arch9wavefront6targetE0EEEvSF_.num_vgpr, 42
	.set _ZN7rocprim17ROCPRIM_400000_NS6detail17trampoline_kernelINS0_13kernel_configILj256ELj4ELj4294967295EEENS1_37radix_sort_block_sort_config_selectorImNS0_10empty_typeEEEZNS1_21radix_sort_block_sortIS4_Lb0EPKmPmPS6_SC_NS0_19identity_decomposerEEE10hipError_tT1_T2_T3_T4_jRjT5_jjP12ihipStream_tbEUlT_E_NS1_11comp_targetILNS1_3genE0ELNS1_11target_archE4294967295ELNS1_3gpuE0ELNS1_3repE0EEENS1_44radix_sort_block_sort_config_static_selectorELNS0_4arch9wavefront6targetE0EEEvSF_.num_agpr, 0
	.set _ZN7rocprim17ROCPRIM_400000_NS6detail17trampoline_kernelINS0_13kernel_configILj256ELj4ELj4294967295EEENS1_37radix_sort_block_sort_config_selectorImNS0_10empty_typeEEEZNS1_21radix_sort_block_sortIS4_Lb0EPKmPmPS6_SC_NS0_19identity_decomposerEEE10hipError_tT1_T2_T3_T4_jRjT5_jjP12ihipStream_tbEUlT_E_NS1_11comp_targetILNS1_3genE0ELNS1_11target_archE4294967295ELNS1_3gpuE0ELNS1_3repE0EEENS1_44radix_sort_block_sort_config_static_selectorELNS0_4arch9wavefront6targetE0EEEvSF_.numbered_sgpr, 30
	.set _ZN7rocprim17ROCPRIM_400000_NS6detail17trampoline_kernelINS0_13kernel_configILj256ELj4ELj4294967295EEENS1_37radix_sort_block_sort_config_selectorImNS0_10empty_typeEEEZNS1_21radix_sort_block_sortIS4_Lb0EPKmPmPS6_SC_NS0_19identity_decomposerEEE10hipError_tT1_T2_T3_T4_jRjT5_jjP12ihipStream_tbEUlT_E_NS1_11comp_targetILNS1_3genE0ELNS1_11target_archE4294967295ELNS1_3gpuE0ELNS1_3repE0EEENS1_44radix_sort_block_sort_config_static_selectorELNS0_4arch9wavefront6targetE0EEEvSF_.num_named_barrier, 0
	.set _ZN7rocprim17ROCPRIM_400000_NS6detail17trampoline_kernelINS0_13kernel_configILj256ELj4ELj4294967295EEENS1_37radix_sort_block_sort_config_selectorImNS0_10empty_typeEEEZNS1_21radix_sort_block_sortIS4_Lb0EPKmPmPS6_SC_NS0_19identity_decomposerEEE10hipError_tT1_T2_T3_T4_jRjT5_jjP12ihipStream_tbEUlT_E_NS1_11comp_targetILNS1_3genE0ELNS1_11target_archE4294967295ELNS1_3gpuE0ELNS1_3repE0EEENS1_44radix_sort_block_sort_config_static_selectorELNS0_4arch9wavefront6targetE0EEEvSF_.private_seg_size, 0
	.set _ZN7rocprim17ROCPRIM_400000_NS6detail17trampoline_kernelINS0_13kernel_configILj256ELj4ELj4294967295EEENS1_37radix_sort_block_sort_config_selectorImNS0_10empty_typeEEEZNS1_21radix_sort_block_sortIS4_Lb0EPKmPmPS6_SC_NS0_19identity_decomposerEEE10hipError_tT1_T2_T3_T4_jRjT5_jjP12ihipStream_tbEUlT_E_NS1_11comp_targetILNS1_3genE0ELNS1_11target_archE4294967295ELNS1_3gpuE0ELNS1_3repE0EEENS1_44radix_sort_block_sort_config_static_selectorELNS0_4arch9wavefront6targetE0EEEvSF_.uses_vcc, 1
	.set _ZN7rocprim17ROCPRIM_400000_NS6detail17trampoline_kernelINS0_13kernel_configILj256ELj4ELj4294967295EEENS1_37radix_sort_block_sort_config_selectorImNS0_10empty_typeEEEZNS1_21radix_sort_block_sortIS4_Lb0EPKmPmPS6_SC_NS0_19identity_decomposerEEE10hipError_tT1_T2_T3_T4_jRjT5_jjP12ihipStream_tbEUlT_E_NS1_11comp_targetILNS1_3genE0ELNS1_11target_archE4294967295ELNS1_3gpuE0ELNS1_3repE0EEENS1_44radix_sort_block_sort_config_static_selectorELNS0_4arch9wavefront6targetE0EEEvSF_.uses_flat_scratch, 0
	.set _ZN7rocprim17ROCPRIM_400000_NS6detail17trampoline_kernelINS0_13kernel_configILj256ELj4ELj4294967295EEENS1_37radix_sort_block_sort_config_selectorImNS0_10empty_typeEEEZNS1_21radix_sort_block_sortIS4_Lb0EPKmPmPS6_SC_NS0_19identity_decomposerEEE10hipError_tT1_T2_T3_T4_jRjT5_jjP12ihipStream_tbEUlT_E_NS1_11comp_targetILNS1_3genE0ELNS1_11target_archE4294967295ELNS1_3gpuE0ELNS1_3repE0EEENS1_44radix_sort_block_sort_config_static_selectorELNS0_4arch9wavefront6targetE0EEEvSF_.has_dyn_sized_stack, 0
	.set _ZN7rocprim17ROCPRIM_400000_NS6detail17trampoline_kernelINS0_13kernel_configILj256ELj4ELj4294967295EEENS1_37radix_sort_block_sort_config_selectorImNS0_10empty_typeEEEZNS1_21radix_sort_block_sortIS4_Lb0EPKmPmPS6_SC_NS0_19identity_decomposerEEE10hipError_tT1_T2_T3_T4_jRjT5_jjP12ihipStream_tbEUlT_E_NS1_11comp_targetILNS1_3genE0ELNS1_11target_archE4294967295ELNS1_3gpuE0ELNS1_3repE0EEENS1_44radix_sort_block_sort_config_static_selectorELNS0_4arch9wavefront6targetE0EEEvSF_.has_recursion, 0
	.set _ZN7rocprim17ROCPRIM_400000_NS6detail17trampoline_kernelINS0_13kernel_configILj256ELj4ELj4294967295EEENS1_37radix_sort_block_sort_config_selectorImNS0_10empty_typeEEEZNS1_21radix_sort_block_sortIS4_Lb0EPKmPmPS6_SC_NS0_19identity_decomposerEEE10hipError_tT1_T2_T3_T4_jRjT5_jjP12ihipStream_tbEUlT_E_NS1_11comp_targetILNS1_3genE0ELNS1_11target_archE4294967295ELNS1_3gpuE0ELNS1_3repE0EEENS1_44radix_sort_block_sort_config_static_selectorELNS0_4arch9wavefront6targetE0EEEvSF_.has_indirect_call, 0
	.section	.AMDGPU.csdata,"",@progbits
; Kernel info:
; codeLenInByte = 3508
; TotalNumSgprs: 32
; NumVgprs: 42
; ScratchSize: 0
; MemoryBound: 1
; FloatMode: 240
; IeeeMode: 1
; LDSByteSize: 8224 bytes/workgroup (compile time only)
; SGPRBlocks: 0
; VGPRBlocks: 2
; NumSGPRsForWavesPerEU: 32
; NumVGPRsForWavesPerEU: 42
; NamedBarCnt: 0
; Occupancy: 16
; WaveLimiterHint : 1
; COMPUTE_PGM_RSRC2:SCRATCH_EN: 0
; COMPUTE_PGM_RSRC2:USER_SGPR: 2
; COMPUTE_PGM_RSRC2:TRAP_HANDLER: 0
; COMPUTE_PGM_RSRC2:TGID_X_EN: 1
; COMPUTE_PGM_RSRC2:TGID_Y_EN: 0
; COMPUTE_PGM_RSRC2:TGID_Z_EN: 0
; COMPUTE_PGM_RSRC2:TIDIG_COMP_CNT: 2
	.section	.text._ZN7rocprim17ROCPRIM_400000_NS6detail17trampoline_kernelINS0_13kernel_configILj256ELj4ELj4294967295EEENS1_37radix_sort_block_sort_config_selectorImNS0_10empty_typeEEEZNS1_21radix_sort_block_sortIS4_Lb0EPKmPmPS6_SC_NS0_19identity_decomposerEEE10hipError_tT1_T2_T3_T4_jRjT5_jjP12ihipStream_tbEUlT_E_NS1_11comp_targetILNS1_3genE5ELNS1_11target_archE942ELNS1_3gpuE9ELNS1_3repE0EEENS1_44radix_sort_block_sort_config_static_selectorELNS0_4arch9wavefront6targetE0EEEvSF_,"axG",@progbits,_ZN7rocprim17ROCPRIM_400000_NS6detail17trampoline_kernelINS0_13kernel_configILj256ELj4ELj4294967295EEENS1_37radix_sort_block_sort_config_selectorImNS0_10empty_typeEEEZNS1_21radix_sort_block_sortIS4_Lb0EPKmPmPS6_SC_NS0_19identity_decomposerEEE10hipError_tT1_T2_T3_T4_jRjT5_jjP12ihipStream_tbEUlT_E_NS1_11comp_targetILNS1_3genE5ELNS1_11target_archE942ELNS1_3gpuE9ELNS1_3repE0EEENS1_44radix_sort_block_sort_config_static_selectorELNS0_4arch9wavefront6targetE0EEEvSF_,comdat
	.protected	_ZN7rocprim17ROCPRIM_400000_NS6detail17trampoline_kernelINS0_13kernel_configILj256ELj4ELj4294967295EEENS1_37radix_sort_block_sort_config_selectorImNS0_10empty_typeEEEZNS1_21radix_sort_block_sortIS4_Lb0EPKmPmPS6_SC_NS0_19identity_decomposerEEE10hipError_tT1_T2_T3_T4_jRjT5_jjP12ihipStream_tbEUlT_E_NS1_11comp_targetILNS1_3genE5ELNS1_11target_archE942ELNS1_3gpuE9ELNS1_3repE0EEENS1_44radix_sort_block_sort_config_static_selectorELNS0_4arch9wavefront6targetE0EEEvSF_ ; -- Begin function _ZN7rocprim17ROCPRIM_400000_NS6detail17trampoline_kernelINS0_13kernel_configILj256ELj4ELj4294967295EEENS1_37radix_sort_block_sort_config_selectorImNS0_10empty_typeEEEZNS1_21radix_sort_block_sortIS4_Lb0EPKmPmPS6_SC_NS0_19identity_decomposerEEE10hipError_tT1_T2_T3_T4_jRjT5_jjP12ihipStream_tbEUlT_E_NS1_11comp_targetILNS1_3genE5ELNS1_11target_archE942ELNS1_3gpuE9ELNS1_3repE0EEENS1_44radix_sort_block_sort_config_static_selectorELNS0_4arch9wavefront6targetE0EEEvSF_
	.globl	_ZN7rocprim17ROCPRIM_400000_NS6detail17trampoline_kernelINS0_13kernel_configILj256ELj4ELj4294967295EEENS1_37radix_sort_block_sort_config_selectorImNS0_10empty_typeEEEZNS1_21radix_sort_block_sortIS4_Lb0EPKmPmPS6_SC_NS0_19identity_decomposerEEE10hipError_tT1_T2_T3_T4_jRjT5_jjP12ihipStream_tbEUlT_E_NS1_11comp_targetILNS1_3genE5ELNS1_11target_archE942ELNS1_3gpuE9ELNS1_3repE0EEENS1_44radix_sort_block_sort_config_static_selectorELNS0_4arch9wavefront6targetE0EEEvSF_
	.p2align	8
	.type	_ZN7rocprim17ROCPRIM_400000_NS6detail17trampoline_kernelINS0_13kernel_configILj256ELj4ELj4294967295EEENS1_37radix_sort_block_sort_config_selectorImNS0_10empty_typeEEEZNS1_21radix_sort_block_sortIS4_Lb0EPKmPmPS6_SC_NS0_19identity_decomposerEEE10hipError_tT1_T2_T3_T4_jRjT5_jjP12ihipStream_tbEUlT_E_NS1_11comp_targetILNS1_3genE5ELNS1_11target_archE942ELNS1_3gpuE9ELNS1_3repE0EEENS1_44radix_sort_block_sort_config_static_selectorELNS0_4arch9wavefront6targetE0EEEvSF_,@function
_ZN7rocprim17ROCPRIM_400000_NS6detail17trampoline_kernelINS0_13kernel_configILj256ELj4ELj4294967295EEENS1_37radix_sort_block_sort_config_selectorImNS0_10empty_typeEEEZNS1_21radix_sort_block_sortIS4_Lb0EPKmPmPS6_SC_NS0_19identity_decomposerEEE10hipError_tT1_T2_T3_T4_jRjT5_jjP12ihipStream_tbEUlT_E_NS1_11comp_targetILNS1_3genE5ELNS1_11target_archE942ELNS1_3gpuE9ELNS1_3repE0EEENS1_44radix_sort_block_sort_config_static_selectorELNS0_4arch9wavefront6targetE0EEEvSF_: ; @_ZN7rocprim17ROCPRIM_400000_NS6detail17trampoline_kernelINS0_13kernel_configILj256ELj4ELj4294967295EEENS1_37radix_sort_block_sort_config_selectorImNS0_10empty_typeEEEZNS1_21radix_sort_block_sortIS4_Lb0EPKmPmPS6_SC_NS0_19identity_decomposerEEE10hipError_tT1_T2_T3_T4_jRjT5_jjP12ihipStream_tbEUlT_E_NS1_11comp_targetILNS1_3genE5ELNS1_11target_archE942ELNS1_3gpuE9ELNS1_3repE0EEENS1_44radix_sort_block_sort_config_static_selectorELNS0_4arch9wavefront6targetE0EEEvSF_
; %bb.0:
	.section	.rodata,"a",@progbits
	.p2align	6, 0x0
	.amdhsa_kernel _ZN7rocprim17ROCPRIM_400000_NS6detail17trampoline_kernelINS0_13kernel_configILj256ELj4ELj4294967295EEENS1_37radix_sort_block_sort_config_selectorImNS0_10empty_typeEEEZNS1_21radix_sort_block_sortIS4_Lb0EPKmPmPS6_SC_NS0_19identity_decomposerEEE10hipError_tT1_T2_T3_T4_jRjT5_jjP12ihipStream_tbEUlT_E_NS1_11comp_targetILNS1_3genE5ELNS1_11target_archE942ELNS1_3gpuE9ELNS1_3repE0EEENS1_44radix_sort_block_sort_config_static_selectorELNS0_4arch9wavefront6targetE0EEEvSF_
		.amdhsa_group_segment_fixed_size 0
		.amdhsa_private_segment_fixed_size 0
		.amdhsa_kernarg_size 48
		.amdhsa_user_sgpr_count 2
		.amdhsa_user_sgpr_dispatch_ptr 0
		.amdhsa_user_sgpr_queue_ptr 0
		.amdhsa_user_sgpr_kernarg_segment_ptr 1
		.amdhsa_user_sgpr_dispatch_id 0
		.amdhsa_user_sgpr_kernarg_preload_length 0
		.amdhsa_user_sgpr_kernarg_preload_offset 0
		.amdhsa_user_sgpr_private_segment_size 0
		.amdhsa_wavefront_size32 1
		.amdhsa_uses_dynamic_stack 0
		.amdhsa_enable_private_segment 0
		.amdhsa_system_sgpr_workgroup_id_x 1
		.amdhsa_system_sgpr_workgroup_id_y 0
		.amdhsa_system_sgpr_workgroup_id_z 0
		.amdhsa_system_sgpr_workgroup_info 0
		.amdhsa_system_vgpr_workitem_id 0
		.amdhsa_next_free_vgpr 1
		.amdhsa_next_free_sgpr 1
		.amdhsa_named_barrier_count 0
		.amdhsa_reserve_vcc 0
		.amdhsa_float_round_mode_32 0
		.amdhsa_float_round_mode_16_64 0
		.amdhsa_float_denorm_mode_32 3
		.amdhsa_float_denorm_mode_16_64 3
		.amdhsa_fp16_overflow 0
		.amdhsa_memory_ordered 1
		.amdhsa_forward_progress 1
		.amdhsa_inst_pref_size 0
		.amdhsa_round_robin_scheduling 0
		.amdhsa_exception_fp_ieee_invalid_op 0
		.amdhsa_exception_fp_denorm_src 0
		.amdhsa_exception_fp_ieee_div_zero 0
		.amdhsa_exception_fp_ieee_overflow 0
		.amdhsa_exception_fp_ieee_underflow 0
		.amdhsa_exception_fp_ieee_inexact 0
		.amdhsa_exception_int_div_zero 0
	.end_amdhsa_kernel
	.section	.text._ZN7rocprim17ROCPRIM_400000_NS6detail17trampoline_kernelINS0_13kernel_configILj256ELj4ELj4294967295EEENS1_37radix_sort_block_sort_config_selectorImNS0_10empty_typeEEEZNS1_21radix_sort_block_sortIS4_Lb0EPKmPmPS6_SC_NS0_19identity_decomposerEEE10hipError_tT1_T2_T3_T4_jRjT5_jjP12ihipStream_tbEUlT_E_NS1_11comp_targetILNS1_3genE5ELNS1_11target_archE942ELNS1_3gpuE9ELNS1_3repE0EEENS1_44radix_sort_block_sort_config_static_selectorELNS0_4arch9wavefront6targetE0EEEvSF_,"axG",@progbits,_ZN7rocprim17ROCPRIM_400000_NS6detail17trampoline_kernelINS0_13kernel_configILj256ELj4ELj4294967295EEENS1_37radix_sort_block_sort_config_selectorImNS0_10empty_typeEEEZNS1_21radix_sort_block_sortIS4_Lb0EPKmPmPS6_SC_NS0_19identity_decomposerEEE10hipError_tT1_T2_T3_T4_jRjT5_jjP12ihipStream_tbEUlT_E_NS1_11comp_targetILNS1_3genE5ELNS1_11target_archE942ELNS1_3gpuE9ELNS1_3repE0EEENS1_44radix_sort_block_sort_config_static_selectorELNS0_4arch9wavefront6targetE0EEEvSF_,comdat
.Lfunc_end2917:
	.size	_ZN7rocprim17ROCPRIM_400000_NS6detail17trampoline_kernelINS0_13kernel_configILj256ELj4ELj4294967295EEENS1_37radix_sort_block_sort_config_selectorImNS0_10empty_typeEEEZNS1_21radix_sort_block_sortIS4_Lb0EPKmPmPS6_SC_NS0_19identity_decomposerEEE10hipError_tT1_T2_T3_T4_jRjT5_jjP12ihipStream_tbEUlT_E_NS1_11comp_targetILNS1_3genE5ELNS1_11target_archE942ELNS1_3gpuE9ELNS1_3repE0EEENS1_44radix_sort_block_sort_config_static_selectorELNS0_4arch9wavefront6targetE0EEEvSF_, .Lfunc_end2917-_ZN7rocprim17ROCPRIM_400000_NS6detail17trampoline_kernelINS0_13kernel_configILj256ELj4ELj4294967295EEENS1_37radix_sort_block_sort_config_selectorImNS0_10empty_typeEEEZNS1_21radix_sort_block_sortIS4_Lb0EPKmPmPS6_SC_NS0_19identity_decomposerEEE10hipError_tT1_T2_T3_T4_jRjT5_jjP12ihipStream_tbEUlT_E_NS1_11comp_targetILNS1_3genE5ELNS1_11target_archE942ELNS1_3gpuE9ELNS1_3repE0EEENS1_44radix_sort_block_sort_config_static_selectorELNS0_4arch9wavefront6targetE0EEEvSF_
                                        ; -- End function
	.set _ZN7rocprim17ROCPRIM_400000_NS6detail17trampoline_kernelINS0_13kernel_configILj256ELj4ELj4294967295EEENS1_37radix_sort_block_sort_config_selectorImNS0_10empty_typeEEEZNS1_21radix_sort_block_sortIS4_Lb0EPKmPmPS6_SC_NS0_19identity_decomposerEEE10hipError_tT1_T2_T3_T4_jRjT5_jjP12ihipStream_tbEUlT_E_NS1_11comp_targetILNS1_3genE5ELNS1_11target_archE942ELNS1_3gpuE9ELNS1_3repE0EEENS1_44radix_sort_block_sort_config_static_selectorELNS0_4arch9wavefront6targetE0EEEvSF_.num_vgpr, 0
	.set _ZN7rocprim17ROCPRIM_400000_NS6detail17trampoline_kernelINS0_13kernel_configILj256ELj4ELj4294967295EEENS1_37radix_sort_block_sort_config_selectorImNS0_10empty_typeEEEZNS1_21radix_sort_block_sortIS4_Lb0EPKmPmPS6_SC_NS0_19identity_decomposerEEE10hipError_tT1_T2_T3_T4_jRjT5_jjP12ihipStream_tbEUlT_E_NS1_11comp_targetILNS1_3genE5ELNS1_11target_archE942ELNS1_3gpuE9ELNS1_3repE0EEENS1_44radix_sort_block_sort_config_static_selectorELNS0_4arch9wavefront6targetE0EEEvSF_.num_agpr, 0
	.set _ZN7rocprim17ROCPRIM_400000_NS6detail17trampoline_kernelINS0_13kernel_configILj256ELj4ELj4294967295EEENS1_37radix_sort_block_sort_config_selectorImNS0_10empty_typeEEEZNS1_21radix_sort_block_sortIS4_Lb0EPKmPmPS6_SC_NS0_19identity_decomposerEEE10hipError_tT1_T2_T3_T4_jRjT5_jjP12ihipStream_tbEUlT_E_NS1_11comp_targetILNS1_3genE5ELNS1_11target_archE942ELNS1_3gpuE9ELNS1_3repE0EEENS1_44radix_sort_block_sort_config_static_selectorELNS0_4arch9wavefront6targetE0EEEvSF_.numbered_sgpr, 0
	.set _ZN7rocprim17ROCPRIM_400000_NS6detail17trampoline_kernelINS0_13kernel_configILj256ELj4ELj4294967295EEENS1_37radix_sort_block_sort_config_selectorImNS0_10empty_typeEEEZNS1_21radix_sort_block_sortIS4_Lb0EPKmPmPS6_SC_NS0_19identity_decomposerEEE10hipError_tT1_T2_T3_T4_jRjT5_jjP12ihipStream_tbEUlT_E_NS1_11comp_targetILNS1_3genE5ELNS1_11target_archE942ELNS1_3gpuE9ELNS1_3repE0EEENS1_44radix_sort_block_sort_config_static_selectorELNS0_4arch9wavefront6targetE0EEEvSF_.num_named_barrier, 0
	.set _ZN7rocprim17ROCPRIM_400000_NS6detail17trampoline_kernelINS0_13kernel_configILj256ELj4ELj4294967295EEENS1_37radix_sort_block_sort_config_selectorImNS0_10empty_typeEEEZNS1_21radix_sort_block_sortIS4_Lb0EPKmPmPS6_SC_NS0_19identity_decomposerEEE10hipError_tT1_T2_T3_T4_jRjT5_jjP12ihipStream_tbEUlT_E_NS1_11comp_targetILNS1_3genE5ELNS1_11target_archE942ELNS1_3gpuE9ELNS1_3repE0EEENS1_44radix_sort_block_sort_config_static_selectorELNS0_4arch9wavefront6targetE0EEEvSF_.private_seg_size, 0
	.set _ZN7rocprim17ROCPRIM_400000_NS6detail17trampoline_kernelINS0_13kernel_configILj256ELj4ELj4294967295EEENS1_37radix_sort_block_sort_config_selectorImNS0_10empty_typeEEEZNS1_21radix_sort_block_sortIS4_Lb0EPKmPmPS6_SC_NS0_19identity_decomposerEEE10hipError_tT1_T2_T3_T4_jRjT5_jjP12ihipStream_tbEUlT_E_NS1_11comp_targetILNS1_3genE5ELNS1_11target_archE942ELNS1_3gpuE9ELNS1_3repE0EEENS1_44radix_sort_block_sort_config_static_selectorELNS0_4arch9wavefront6targetE0EEEvSF_.uses_vcc, 0
	.set _ZN7rocprim17ROCPRIM_400000_NS6detail17trampoline_kernelINS0_13kernel_configILj256ELj4ELj4294967295EEENS1_37radix_sort_block_sort_config_selectorImNS0_10empty_typeEEEZNS1_21radix_sort_block_sortIS4_Lb0EPKmPmPS6_SC_NS0_19identity_decomposerEEE10hipError_tT1_T2_T3_T4_jRjT5_jjP12ihipStream_tbEUlT_E_NS1_11comp_targetILNS1_3genE5ELNS1_11target_archE942ELNS1_3gpuE9ELNS1_3repE0EEENS1_44radix_sort_block_sort_config_static_selectorELNS0_4arch9wavefront6targetE0EEEvSF_.uses_flat_scratch, 0
	.set _ZN7rocprim17ROCPRIM_400000_NS6detail17trampoline_kernelINS0_13kernel_configILj256ELj4ELj4294967295EEENS1_37radix_sort_block_sort_config_selectorImNS0_10empty_typeEEEZNS1_21radix_sort_block_sortIS4_Lb0EPKmPmPS6_SC_NS0_19identity_decomposerEEE10hipError_tT1_T2_T3_T4_jRjT5_jjP12ihipStream_tbEUlT_E_NS1_11comp_targetILNS1_3genE5ELNS1_11target_archE942ELNS1_3gpuE9ELNS1_3repE0EEENS1_44radix_sort_block_sort_config_static_selectorELNS0_4arch9wavefront6targetE0EEEvSF_.has_dyn_sized_stack, 0
	.set _ZN7rocprim17ROCPRIM_400000_NS6detail17trampoline_kernelINS0_13kernel_configILj256ELj4ELj4294967295EEENS1_37radix_sort_block_sort_config_selectorImNS0_10empty_typeEEEZNS1_21radix_sort_block_sortIS4_Lb0EPKmPmPS6_SC_NS0_19identity_decomposerEEE10hipError_tT1_T2_T3_T4_jRjT5_jjP12ihipStream_tbEUlT_E_NS1_11comp_targetILNS1_3genE5ELNS1_11target_archE942ELNS1_3gpuE9ELNS1_3repE0EEENS1_44radix_sort_block_sort_config_static_selectorELNS0_4arch9wavefront6targetE0EEEvSF_.has_recursion, 0
	.set _ZN7rocprim17ROCPRIM_400000_NS6detail17trampoline_kernelINS0_13kernel_configILj256ELj4ELj4294967295EEENS1_37radix_sort_block_sort_config_selectorImNS0_10empty_typeEEEZNS1_21radix_sort_block_sortIS4_Lb0EPKmPmPS6_SC_NS0_19identity_decomposerEEE10hipError_tT1_T2_T3_T4_jRjT5_jjP12ihipStream_tbEUlT_E_NS1_11comp_targetILNS1_3genE5ELNS1_11target_archE942ELNS1_3gpuE9ELNS1_3repE0EEENS1_44radix_sort_block_sort_config_static_selectorELNS0_4arch9wavefront6targetE0EEEvSF_.has_indirect_call, 0
	.section	.AMDGPU.csdata,"",@progbits
; Kernel info:
; codeLenInByte = 0
; TotalNumSgprs: 0
; NumVgprs: 0
; ScratchSize: 0
; MemoryBound: 0
; FloatMode: 240
; IeeeMode: 1
; LDSByteSize: 0 bytes/workgroup (compile time only)
; SGPRBlocks: 0
; VGPRBlocks: 0
; NumSGPRsForWavesPerEU: 1
; NumVGPRsForWavesPerEU: 1
; NamedBarCnt: 0
; Occupancy: 16
; WaveLimiterHint : 0
; COMPUTE_PGM_RSRC2:SCRATCH_EN: 0
; COMPUTE_PGM_RSRC2:USER_SGPR: 2
; COMPUTE_PGM_RSRC2:TRAP_HANDLER: 0
; COMPUTE_PGM_RSRC2:TGID_X_EN: 1
; COMPUTE_PGM_RSRC2:TGID_Y_EN: 0
; COMPUTE_PGM_RSRC2:TGID_Z_EN: 0
; COMPUTE_PGM_RSRC2:TIDIG_COMP_CNT: 0
	.section	.text._ZN7rocprim17ROCPRIM_400000_NS6detail17trampoline_kernelINS0_13kernel_configILj256ELj4ELj4294967295EEENS1_37radix_sort_block_sort_config_selectorImNS0_10empty_typeEEEZNS1_21radix_sort_block_sortIS4_Lb0EPKmPmPS6_SC_NS0_19identity_decomposerEEE10hipError_tT1_T2_T3_T4_jRjT5_jjP12ihipStream_tbEUlT_E_NS1_11comp_targetILNS1_3genE4ELNS1_11target_archE910ELNS1_3gpuE8ELNS1_3repE0EEENS1_44radix_sort_block_sort_config_static_selectorELNS0_4arch9wavefront6targetE0EEEvSF_,"axG",@progbits,_ZN7rocprim17ROCPRIM_400000_NS6detail17trampoline_kernelINS0_13kernel_configILj256ELj4ELj4294967295EEENS1_37radix_sort_block_sort_config_selectorImNS0_10empty_typeEEEZNS1_21radix_sort_block_sortIS4_Lb0EPKmPmPS6_SC_NS0_19identity_decomposerEEE10hipError_tT1_T2_T3_T4_jRjT5_jjP12ihipStream_tbEUlT_E_NS1_11comp_targetILNS1_3genE4ELNS1_11target_archE910ELNS1_3gpuE8ELNS1_3repE0EEENS1_44radix_sort_block_sort_config_static_selectorELNS0_4arch9wavefront6targetE0EEEvSF_,comdat
	.protected	_ZN7rocprim17ROCPRIM_400000_NS6detail17trampoline_kernelINS0_13kernel_configILj256ELj4ELj4294967295EEENS1_37radix_sort_block_sort_config_selectorImNS0_10empty_typeEEEZNS1_21radix_sort_block_sortIS4_Lb0EPKmPmPS6_SC_NS0_19identity_decomposerEEE10hipError_tT1_T2_T3_T4_jRjT5_jjP12ihipStream_tbEUlT_E_NS1_11comp_targetILNS1_3genE4ELNS1_11target_archE910ELNS1_3gpuE8ELNS1_3repE0EEENS1_44radix_sort_block_sort_config_static_selectorELNS0_4arch9wavefront6targetE0EEEvSF_ ; -- Begin function _ZN7rocprim17ROCPRIM_400000_NS6detail17trampoline_kernelINS0_13kernel_configILj256ELj4ELj4294967295EEENS1_37radix_sort_block_sort_config_selectorImNS0_10empty_typeEEEZNS1_21radix_sort_block_sortIS4_Lb0EPKmPmPS6_SC_NS0_19identity_decomposerEEE10hipError_tT1_T2_T3_T4_jRjT5_jjP12ihipStream_tbEUlT_E_NS1_11comp_targetILNS1_3genE4ELNS1_11target_archE910ELNS1_3gpuE8ELNS1_3repE0EEENS1_44radix_sort_block_sort_config_static_selectorELNS0_4arch9wavefront6targetE0EEEvSF_
	.globl	_ZN7rocprim17ROCPRIM_400000_NS6detail17trampoline_kernelINS0_13kernel_configILj256ELj4ELj4294967295EEENS1_37radix_sort_block_sort_config_selectorImNS0_10empty_typeEEEZNS1_21radix_sort_block_sortIS4_Lb0EPKmPmPS6_SC_NS0_19identity_decomposerEEE10hipError_tT1_T2_T3_T4_jRjT5_jjP12ihipStream_tbEUlT_E_NS1_11comp_targetILNS1_3genE4ELNS1_11target_archE910ELNS1_3gpuE8ELNS1_3repE0EEENS1_44radix_sort_block_sort_config_static_selectorELNS0_4arch9wavefront6targetE0EEEvSF_
	.p2align	8
	.type	_ZN7rocprim17ROCPRIM_400000_NS6detail17trampoline_kernelINS0_13kernel_configILj256ELj4ELj4294967295EEENS1_37radix_sort_block_sort_config_selectorImNS0_10empty_typeEEEZNS1_21radix_sort_block_sortIS4_Lb0EPKmPmPS6_SC_NS0_19identity_decomposerEEE10hipError_tT1_T2_T3_T4_jRjT5_jjP12ihipStream_tbEUlT_E_NS1_11comp_targetILNS1_3genE4ELNS1_11target_archE910ELNS1_3gpuE8ELNS1_3repE0EEENS1_44radix_sort_block_sort_config_static_selectorELNS0_4arch9wavefront6targetE0EEEvSF_,@function
_ZN7rocprim17ROCPRIM_400000_NS6detail17trampoline_kernelINS0_13kernel_configILj256ELj4ELj4294967295EEENS1_37radix_sort_block_sort_config_selectorImNS0_10empty_typeEEEZNS1_21radix_sort_block_sortIS4_Lb0EPKmPmPS6_SC_NS0_19identity_decomposerEEE10hipError_tT1_T2_T3_T4_jRjT5_jjP12ihipStream_tbEUlT_E_NS1_11comp_targetILNS1_3genE4ELNS1_11target_archE910ELNS1_3gpuE8ELNS1_3repE0EEENS1_44radix_sort_block_sort_config_static_selectorELNS0_4arch9wavefront6targetE0EEEvSF_: ; @_ZN7rocprim17ROCPRIM_400000_NS6detail17trampoline_kernelINS0_13kernel_configILj256ELj4ELj4294967295EEENS1_37radix_sort_block_sort_config_selectorImNS0_10empty_typeEEEZNS1_21radix_sort_block_sortIS4_Lb0EPKmPmPS6_SC_NS0_19identity_decomposerEEE10hipError_tT1_T2_T3_T4_jRjT5_jjP12ihipStream_tbEUlT_E_NS1_11comp_targetILNS1_3genE4ELNS1_11target_archE910ELNS1_3gpuE8ELNS1_3repE0EEENS1_44radix_sort_block_sort_config_static_selectorELNS0_4arch9wavefront6targetE0EEEvSF_
; %bb.0:
	.section	.rodata,"a",@progbits
	.p2align	6, 0x0
	.amdhsa_kernel _ZN7rocprim17ROCPRIM_400000_NS6detail17trampoline_kernelINS0_13kernel_configILj256ELj4ELj4294967295EEENS1_37radix_sort_block_sort_config_selectorImNS0_10empty_typeEEEZNS1_21radix_sort_block_sortIS4_Lb0EPKmPmPS6_SC_NS0_19identity_decomposerEEE10hipError_tT1_T2_T3_T4_jRjT5_jjP12ihipStream_tbEUlT_E_NS1_11comp_targetILNS1_3genE4ELNS1_11target_archE910ELNS1_3gpuE8ELNS1_3repE0EEENS1_44radix_sort_block_sort_config_static_selectorELNS0_4arch9wavefront6targetE0EEEvSF_
		.amdhsa_group_segment_fixed_size 0
		.amdhsa_private_segment_fixed_size 0
		.amdhsa_kernarg_size 48
		.amdhsa_user_sgpr_count 2
		.amdhsa_user_sgpr_dispatch_ptr 0
		.amdhsa_user_sgpr_queue_ptr 0
		.amdhsa_user_sgpr_kernarg_segment_ptr 1
		.amdhsa_user_sgpr_dispatch_id 0
		.amdhsa_user_sgpr_kernarg_preload_length 0
		.amdhsa_user_sgpr_kernarg_preload_offset 0
		.amdhsa_user_sgpr_private_segment_size 0
		.amdhsa_wavefront_size32 1
		.amdhsa_uses_dynamic_stack 0
		.amdhsa_enable_private_segment 0
		.amdhsa_system_sgpr_workgroup_id_x 1
		.amdhsa_system_sgpr_workgroup_id_y 0
		.amdhsa_system_sgpr_workgroup_id_z 0
		.amdhsa_system_sgpr_workgroup_info 0
		.amdhsa_system_vgpr_workitem_id 0
		.amdhsa_next_free_vgpr 1
		.amdhsa_next_free_sgpr 1
		.amdhsa_named_barrier_count 0
		.amdhsa_reserve_vcc 0
		.amdhsa_float_round_mode_32 0
		.amdhsa_float_round_mode_16_64 0
		.amdhsa_float_denorm_mode_32 3
		.amdhsa_float_denorm_mode_16_64 3
		.amdhsa_fp16_overflow 0
		.amdhsa_memory_ordered 1
		.amdhsa_forward_progress 1
		.amdhsa_inst_pref_size 0
		.amdhsa_round_robin_scheduling 0
		.amdhsa_exception_fp_ieee_invalid_op 0
		.amdhsa_exception_fp_denorm_src 0
		.amdhsa_exception_fp_ieee_div_zero 0
		.amdhsa_exception_fp_ieee_overflow 0
		.amdhsa_exception_fp_ieee_underflow 0
		.amdhsa_exception_fp_ieee_inexact 0
		.amdhsa_exception_int_div_zero 0
	.end_amdhsa_kernel
	.section	.text._ZN7rocprim17ROCPRIM_400000_NS6detail17trampoline_kernelINS0_13kernel_configILj256ELj4ELj4294967295EEENS1_37radix_sort_block_sort_config_selectorImNS0_10empty_typeEEEZNS1_21radix_sort_block_sortIS4_Lb0EPKmPmPS6_SC_NS0_19identity_decomposerEEE10hipError_tT1_T2_T3_T4_jRjT5_jjP12ihipStream_tbEUlT_E_NS1_11comp_targetILNS1_3genE4ELNS1_11target_archE910ELNS1_3gpuE8ELNS1_3repE0EEENS1_44radix_sort_block_sort_config_static_selectorELNS0_4arch9wavefront6targetE0EEEvSF_,"axG",@progbits,_ZN7rocprim17ROCPRIM_400000_NS6detail17trampoline_kernelINS0_13kernel_configILj256ELj4ELj4294967295EEENS1_37radix_sort_block_sort_config_selectorImNS0_10empty_typeEEEZNS1_21radix_sort_block_sortIS4_Lb0EPKmPmPS6_SC_NS0_19identity_decomposerEEE10hipError_tT1_T2_T3_T4_jRjT5_jjP12ihipStream_tbEUlT_E_NS1_11comp_targetILNS1_3genE4ELNS1_11target_archE910ELNS1_3gpuE8ELNS1_3repE0EEENS1_44radix_sort_block_sort_config_static_selectorELNS0_4arch9wavefront6targetE0EEEvSF_,comdat
.Lfunc_end2918:
	.size	_ZN7rocprim17ROCPRIM_400000_NS6detail17trampoline_kernelINS0_13kernel_configILj256ELj4ELj4294967295EEENS1_37radix_sort_block_sort_config_selectorImNS0_10empty_typeEEEZNS1_21radix_sort_block_sortIS4_Lb0EPKmPmPS6_SC_NS0_19identity_decomposerEEE10hipError_tT1_T2_T3_T4_jRjT5_jjP12ihipStream_tbEUlT_E_NS1_11comp_targetILNS1_3genE4ELNS1_11target_archE910ELNS1_3gpuE8ELNS1_3repE0EEENS1_44radix_sort_block_sort_config_static_selectorELNS0_4arch9wavefront6targetE0EEEvSF_, .Lfunc_end2918-_ZN7rocprim17ROCPRIM_400000_NS6detail17trampoline_kernelINS0_13kernel_configILj256ELj4ELj4294967295EEENS1_37radix_sort_block_sort_config_selectorImNS0_10empty_typeEEEZNS1_21radix_sort_block_sortIS4_Lb0EPKmPmPS6_SC_NS0_19identity_decomposerEEE10hipError_tT1_T2_T3_T4_jRjT5_jjP12ihipStream_tbEUlT_E_NS1_11comp_targetILNS1_3genE4ELNS1_11target_archE910ELNS1_3gpuE8ELNS1_3repE0EEENS1_44radix_sort_block_sort_config_static_selectorELNS0_4arch9wavefront6targetE0EEEvSF_
                                        ; -- End function
	.set _ZN7rocprim17ROCPRIM_400000_NS6detail17trampoline_kernelINS0_13kernel_configILj256ELj4ELj4294967295EEENS1_37radix_sort_block_sort_config_selectorImNS0_10empty_typeEEEZNS1_21radix_sort_block_sortIS4_Lb0EPKmPmPS6_SC_NS0_19identity_decomposerEEE10hipError_tT1_T2_T3_T4_jRjT5_jjP12ihipStream_tbEUlT_E_NS1_11comp_targetILNS1_3genE4ELNS1_11target_archE910ELNS1_3gpuE8ELNS1_3repE0EEENS1_44radix_sort_block_sort_config_static_selectorELNS0_4arch9wavefront6targetE0EEEvSF_.num_vgpr, 0
	.set _ZN7rocprim17ROCPRIM_400000_NS6detail17trampoline_kernelINS0_13kernel_configILj256ELj4ELj4294967295EEENS1_37radix_sort_block_sort_config_selectorImNS0_10empty_typeEEEZNS1_21radix_sort_block_sortIS4_Lb0EPKmPmPS6_SC_NS0_19identity_decomposerEEE10hipError_tT1_T2_T3_T4_jRjT5_jjP12ihipStream_tbEUlT_E_NS1_11comp_targetILNS1_3genE4ELNS1_11target_archE910ELNS1_3gpuE8ELNS1_3repE0EEENS1_44radix_sort_block_sort_config_static_selectorELNS0_4arch9wavefront6targetE0EEEvSF_.num_agpr, 0
	.set _ZN7rocprim17ROCPRIM_400000_NS6detail17trampoline_kernelINS0_13kernel_configILj256ELj4ELj4294967295EEENS1_37radix_sort_block_sort_config_selectorImNS0_10empty_typeEEEZNS1_21radix_sort_block_sortIS4_Lb0EPKmPmPS6_SC_NS0_19identity_decomposerEEE10hipError_tT1_T2_T3_T4_jRjT5_jjP12ihipStream_tbEUlT_E_NS1_11comp_targetILNS1_3genE4ELNS1_11target_archE910ELNS1_3gpuE8ELNS1_3repE0EEENS1_44radix_sort_block_sort_config_static_selectorELNS0_4arch9wavefront6targetE0EEEvSF_.numbered_sgpr, 0
	.set _ZN7rocprim17ROCPRIM_400000_NS6detail17trampoline_kernelINS0_13kernel_configILj256ELj4ELj4294967295EEENS1_37radix_sort_block_sort_config_selectorImNS0_10empty_typeEEEZNS1_21radix_sort_block_sortIS4_Lb0EPKmPmPS6_SC_NS0_19identity_decomposerEEE10hipError_tT1_T2_T3_T4_jRjT5_jjP12ihipStream_tbEUlT_E_NS1_11comp_targetILNS1_3genE4ELNS1_11target_archE910ELNS1_3gpuE8ELNS1_3repE0EEENS1_44radix_sort_block_sort_config_static_selectorELNS0_4arch9wavefront6targetE0EEEvSF_.num_named_barrier, 0
	.set _ZN7rocprim17ROCPRIM_400000_NS6detail17trampoline_kernelINS0_13kernel_configILj256ELj4ELj4294967295EEENS1_37radix_sort_block_sort_config_selectorImNS0_10empty_typeEEEZNS1_21radix_sort_block_sortIS4_Lb0EPKmPmPS6_SC_NS0_19identity_decomposerEEE10hipError_tT1_T2_T3_T4_jRjT5_jjP12ihipStream_tbEUlT_E_NS1_11comp_targetILNS1_3genE4ELNS1_11target_archE910ELNS1_3gpuE8ELNS1_3repE0EEENS1_44radix_sort_block_sort_config_static_selectorELNS0_4arch9wavefront6targetE0EEEvSF_.private_seg_size, 0
	.set _ZN7rocprim17ROCPRIM_400000_NS6detail17trampoline_kernelINS0_13kernel_configILj256ELj4ELj4294967295EEENS1_37radix_sort_block_sort_config_selectorImNS0_10empty_typeEEEZNS1_21radix_sort_block_sortIS4_Lb0EPKmPmPS6_SC_NS0_19identity_decomposerEEE10hipError_tT1_T2_T3_T4_jRjT5_jjP12ihipStream_tbEUlT_E_NS1_11comp_targetILNS1_3genE4ELNS1_11target_archE910ELNS1_3gpuE8ELNS1_3repE0EEENS1_44radix_sort_block_sort_config_static_selectorELNS0_4arch9wavefront6targetE0EEEvSF_.uses_vcc, 0
	.set _ZN7rocprim17ROCPRIM_400000_NS6detail17trampoline_kernelINS0_13kernel_configILj256ELj4ELj4294967295EEENS1_37radix_sort_block_sort_config_selectorImNS0_10empty_typeEEEZNS1_21radix_sort_block_sortIS4_Lb0EPKmPmPS6_SC_NS0_19identity_decomposerEEE10hipError_tT1_T2_T3_T4_jRjT5_jjP12ihipStream_tbEUlT_E_NS1_11comp_targetILNS1_3genE4ELNS1_11target_archE910ELNS1_3gpuE8ELNS1_3repE0EEENS1_44radix_sort_block_sort_config_static_selectorELNS0_4arch9wavefront6targetE0EEEvSF_.uses_flat_scratch, 0
	.set _ZN7rocprim17ROCPRIM_400000_NS6detail17trampoline_kernelINS0_13kernel_configILj256ELj4ELj4294967295EEENS1_37radix_sort_block_sort_config_selectorImNS0_10empty_typeEEEZNS1_21radix_sort_block_sortIS4_Lb0EPKmPmPS6_SC_NS0_19identity_decomposerEEE10hipError_tT1_T2_T3_T4_jRjT5_jjP12ihipStream_tbEUlT_E_NS1_11comp_targetILNS1_3genE4ELNS1_11target_archE910ELNS1_3gpuE8ELNS1_3repE0EEENS1_44radix_sort_block_sort_config_static_selectorELNS0_4arch9wavefront6targetE0EEEvSF_.has_dyn_sized_stack, 0
	.set _ZN7rocprim17ROCPRIM_400000_NS6detail17trampoline_kernelINS0_13kernel_configILj256ELj4ELj4294967295EEENS1_37radix_sort_block_sort_config_selectorImNS0_10empty_typeEEEZNS1_21radix_sort_block_sortIS4_Lb0EPKmPmPS6_SC_NS0_19identity_decomposerEEE10hipError_tT1_T2_T3_T4_jRjT5_jjP12ihipStream_tbEUlT_E_NS1_11comp_targetILNS1_3genE4ELNS1_11target_archE910ELNS1_3gpuE8ELNS1_3repE0EEENS1_44radix_sort_block_sort_config_static_selectorELNS0_4arch9wavefront6targetE0EEEvSF_.has_recursion, 0
	.set _ZN7rocprim17ROCPRIM_400000_NS6detail17trampoline_kernelINS0_13kernel_configILj256ELj4ELj4294967295EEENS1_37radix_sort_block_sort_config_selectorImNS0_10empty_typeEEEZNS1_21radix_sort_block_sortIS4_Lb0EPKmPmPS6_SC_NS0_19identity_decomposerEEE10hipError_tT1_T2_T3_T4_jRjT5_jjP12ihipStream_tbEUlT_E_NS1_11comp_targetILNS1_3genE4ELNS1_11target_archE910ELNS1_3gpuE8ELNS1_3repE0EEENS1_44radix_sort_block_sort_config_static_selectorELNS0_4arch9wavefront6targetE0EEEvSF_.has_indirect_call, 0
	.section	.AMDGPU.csdata,"",@progbits
; Kernel info:
; codeLenInByte = 0
; TotalNumSgprs: 0
; NumVgprs: 0
; ScratchSize: 0
; MemoryBound: 0
; FloatMode: 240
; IeeeMode: 1
; LDSByteSize: 0 bytes/workgroup (compile time only)
; SGPRBlocks: 0
; VGPRBlocks: 0
; NumSGPRsForWavesPerEU: 1
; NumVGPRsForWavesPerEU: 1
; NamedBarCnt: 0
; Occupancy: 16
; WaveLimiterHint : 0
; COMPUTE_PGM_RSRC2:SCRATCH_EN: 0
; COMPUTE_PGM_RSRC2:USER_SGPR: 2
; COMPUTE_PGM_RSRC2:TRAP_HANDLER: 0
; COMPUTE_PGM_RSRC2:TGID_X_EN: 1
; COMPUTE_PGM_RSRC2:TGID_Y_EN: 0
; COMPUTE_PGM_RSRC2:TGID_Z_EN: 0
; COMPUTE_PGM_RSRC2:TIDIG_COMP_CNT: 0
	.section	.text._ZN7rocprim17ROCPRIM_400000_NS6detail17trampoline_kernelINS0_13kernel_configILj256ELj4ELj4294967295EEENS1_37radix_sort_block_sort_config_selectorImNS0_10empty_typeEEEZNS1_21radix_sort_block_sortIS4_Lb0EPKmPmPS6_SC_NS0_19identity_decomposerEEE10hipError_tT1_T2_T3_T4_jRjT5_jjP12ihipStream_tbEUlT_E_NS1_11comp_targetILNS1_3genE3ELNS1_11target_archE908ELNS1_3gpuE7ELNS1_3repE0EEENS1_44radix_sort_block_sort_config_static_selectorELNS0_4arch9wavefront6targetE0EEEvSF_,"axG",@progbits,_ZN7rocprim17ROCPRIM_400000_NS6detail17trampoline_kernelINS0_13kernel_configILj256ELj4ELj4294967295EEENS1_37radix_sort_block_sort_config_selectorImNS0_10empty_typeEEEZNS1_21radix_sort_block_sortIS4_Lb0EPKmPmPS6_SC_NS0_19identity_decomposerEEE10hipError_tT1_T2_T3_T4_jRjT5_jjP12ihipStream_tbEUlT_E_NS1_11comp_targetILNS1_3genE3ELNS1_11target_archE908ELNS1_3gpuE7ELNS1_3repE0EEENS1_44radix_sort_block_sort_config_static_selectorELNS0_4arch9wavefront6targetE0EEEvSF_,comdat
	.protected	_ZN7rocprim17ROCPRIM_400000_NS6detail17trampoline_kernelINS0_13kernel_configILj256ELj4ELj4294967295EEENS1_37radix_sort_block_sort_config_selectorImNS0_10empty_typeEEEZNS1_21radix_sort_block_sortIS4_Lb0EPKmPmPS6_SC_NS0_19identity_decomposerEEE10hipError_tT1_T2_T3_T4_jRjT5_jjP12ihipStream_tbEUlT_E_NS1_11comp_targetILNS1_3genE3ELNS1_11target_archE908ELNS1_3gpuE7ELNS1_3repE0EEENS1_44radix_sort_block_sort_config_static_selectorELNS0_4arch9wavefront6targetE0EEEvSF_ ; -- Begin function _ZN7rocprim17ROCPRIM_400000_NS6detail17trampoline_kernelINS0_13kernel_configILj256ELj4ELj4294967295EEENS1_37radix_sort_block_sort_config_selectorImNS0_10empty_typeEEEZNS1_21radix_sort_block_sortIS4_Lb0EPKmPmPS6_SC_NS0_19identity_decomposerEEE10hipError_tT1_T2_T3_T4_jRjT5_jjP12ihipStream_tbEUlT_E_NS1_11comp_targetILNS1_3genE3ELNS1_11target_archE908ELNS1_3gpuE7ELNS1_3repE0EEENS1_44radix_sort_block_sort_config_static_selectorELNS0_4arch9wavefront6targetE0EEEvSF_
	.globl	_ZN7rocprim17ROCPRIM_400000_NS6detail17trampoline_kernelINS0_13kernel_configILj256ELj4ELj4294967295EEENS1_37radix_sort_block_sort_config_selectorImNS0_10empty_typeEEEZNS1_21radix_sort_block_sortIS4_Lb0EPKmPmPS6_SC_NS0_19identity_decomposerEEE10hipError_tT1_T2_T3_T4_jRjT5_jjP12ihipStream_tbEUlT_E_NS1_11comp_targetILNS1_3genE3ELNS1_11target_archE908ELNS1_3gpuE7ELNS1_3repE0EEENS1_44radix_sort_block_sort_config_static_selectorELNS0_4arch9wavefront6targetE0EEEvSF_
	.p2align	8
	.type	_ZN7rocprim17ROCPRIM_400000_NS6detail17trampoline_kernelINS0_13kernel_configILj256ELj4ELj4294967295EEENS1_37radix_sort_block_sort_config_selectorImNS0_10empty_typeEEEZNS1_21radix_sort_block_sortIS4_Lb0EPKmPmPS6_SC_NS0_19identity_decomposerEEE10hipError_tT1_T2_T3_T4_jRjT5_jjP12ihipStream_tbEUlT_E_NS1_11comp_targetILNS1_3genE3ELNS1_11target_archE908ELNS1_3gpuE7ELNS1_3repE0EEENS1_44radix_sort_block_sort_config_static_selectorELNS0_4arch9wavefront6targetE0EEEvSF_,@function
_ZN7rocprim17ROCPRIM_400000_NS6detail17trampoline_kernelINS0_13kernel_configILj256ELj4ELj4294967295EEENS1_37radix_sort_block_sort_config_selectorImNS0_10empty_typeEEEZNS1_21radix_sort_block_sortIS4_Lb0EPKmPmPS6_SC_NS0_19identity_decomposerEEE10hipError_tT1_T2_T3_T4_jRjT5_jjP12ihipStream_tbEUlT_E_NS1_11comp_targetILNS1_3genE3ELNS1_11target_archE908ELNS1_3gpuE7ELNS1_3repE0EEENS1_44radix_sort_block_sort_config_static_selectorELNS0_4arch9wavefront6targetE0EEEvSF_: ; @_ZN7rocprim17ROCPRIM_400000_NS6detail17trampoline_kernelINS0_13kernel_configILj256ELj4ELj4294967295EEENS1_37radix_sort_block_sort_config_selectorImNS0_10empty_typeEEEZNS1_21radix_sort_block_sortIS4_Lb0EPKmPmPS6_SC_NS0_19identity_decomposerEEE10hipError_tT1_T2_T3_T4_jRjT5_jjP12ihipStream_tbEUlT_E_NS1_11comp_targetILNS1_3genE3ELNS1_11target_archE908ELNS1_3gpuE7ELNS1_3repE0EEENS1_44radix_sort_block_sort_config_static_selectorELNS0_4arch9wavefront6targetE0EEEvSF_
; %bb.0:
	.section	.rodata,"a",@progbits
	.p2align	6, 0x0
	.amdhsa_kernel _ZN7rocprim17ROCPRIM_400000_NS6detail17trampoline_kernelINS0_13kernel_configILj256ELj4ELj4294967295EEENS1_37radix_sort_block_sort_config_selectorImNS0_10empty_typeEEEZNS1_21radix_sort_block_sortIS4_Lb0EPKmPmPS6_SC_NS0_19identity_decomposerEEE10hipError_tT1_T2_T3_T4_jRjT5_jjP12ihipStream_tbEUlT_E_NS1_11comp_targetILNS1_3genE3ELNS1_11target_archE908ELNS1_3gpuE7ELNS1_3repE0EEENS1_44radix_sort_block_sort_config_static_selectorELNS0_4arch9wavefront6targetE0EEEvSF_
		.amdhsa_group_segment_fixed_size 0
		.amdhsa_private_segment_fixed_size 0
		.amdhsa_kernarg_size 48
		.amdhsa_user_sgpr_count 2
		.amdhsa_user_sgpr_dispatch_ptr 0
		.amdhsa_user_sgpr_queue_ptr 0
		.amdhsa_user_sgpr_kernarg_segment_ptr 1
		.amdhsa_user_sgpr_dispatch_id 0
		.amdhsa_user_sgpr_kernarg_preload_length 0
		.amdhsa_user_sgpr_kernarg_preload_offset 0
		.amdhsa_user_sgpr_private_segment_size 0
		.amdhsa_wavefront_size32 1
		.amdhsa_uses_dynamic_stack 0
		.amdhsa_enable_private_segment 0
		.amdhsa_system_sgpr_workgroup_id_x 1
		.amdhsa_system_sgpr_workgroup_id_y 0
		.amdhsa_system_sgpr_workgroup_id_z 0
		.amdhsa_system_sgpr_workgroup_info 0
		.amdhsa_system_vgpr_workitem_id 0
		.amdhsa_next_free_vgpr 1
		.amdhsa_next_free_sgpr 1
		.amdhsa_named_barrier_count 0
		.amdhsa_reserve_vcc 0
		.amdhsa_float_round_mode_32 0
		.amdhsa_float_round_mode_16_64 0
		.amdhsa_float_denorm_mode_32 3
		.amdhsa_float_denorm_mode_16_64 3
		.amdhsa_fp16_overflow 0
		.amdhsa_memory_ordered 1
		.amdhsa_forward_progress 1
		.amdhsa_inst_pref_size 0
		.amdhsa_round_robin_scheduling 0
		.amdhsa_exception_fp_ieee_invalid_op 0
		.amdhsa_exception_fp_denorm_src 0
		.amdhsa_exception_fp_ieee_div_zero 0
		.amdhsa_exception_fp_ieee_overflow 0
		.amdhsa_exception_fp_ieee_underflow 0
		.amdhsa_exception_fp_ieee_inexact 0
		.amdhsa_exception_int_div_zero 0
	.end_amdhsa_kernel
	.section	.text._ZN7rocprim17ROCPRIM_400000_NS6detail17trampoline_kernelINS0_13kernel_configILj256ELj4ELj4294967295EEENS1_37radix_sort_block_sort_config_selectorImNS0_10empty_typeEEEZNS1_21radix_sort_block_sortIS4_Lb0EPKmPmPS6_SC_NS0_19identity_decomposerEEE10hipError_tT1_T2_T3_T4_jRjT5_jjP12ihipStream_tbEUlT_E_NS1_11comp_targetILNS1_3genE3ELNS1_11target_archE908ELNS1_3gpuE7ELNS1_3repE0EEENS1_44radix_sort_block_sort_config_static_selectorELNS0_4arch9wavefront6targetE0EEEvSF_,"axG",@progbits,_ZN7rocprim17ROCPRIM_400000_NS6detail17trampoline_kernelINS0_13kernel_configILj256ELj4ELj4294967295EEENS1_37radix_sort_block_sort_config_selectorImNS0_10empty_typeEEEZNS1_21radix_sort_block_sortIS4_Lb0EPKmPmPS6_SC_NS0_19identity_decomposerEEE10hipError_tT1_T2_T3_T4_jRjT5_jjP12ihipStream_tbEUlT_E_NS1_11comp_targetILNS1_3genE3ELNS1_11target_archE908ELNS1_3gpuE7ELNS1_3repE0EEENS1_44radix_sort_block_sort_config_static_selectorELNS0_4arch9wavefront6targetE0EEEvSF_,comdat
.Lfunc_end2919:
	.size	_ZN7rocprim17ROCPRIM_400000_NS6detail17trampoline_kernelINS0_13kernel_configILj256ELj4ELj4294967295EEENS1_37radix_sort_block_sort_config_selectorImNS0_10empty_typeEEEZNS1_21radix_sort_block_sortIS4_Lb0EPKmPmPS6_SC_NS0_19identity_decomposerEEE10hipError_tT1_T2_T3_T4_jRjT5_jjP12ihipStream_tbEUlT_E_NS1_11comp_targetILNS1_3genE3ELNS1_11target_archE908ELNS1_3gpuE7ELNS1_3repE0EEENS1_44radix_sort_block_sort_config_static_selectorELNS0_4arch9wavefront6targetE0EEEvSF_, .Lfunc_end2919-_ZN7rocprim17ROCPRIM_400000_NS6detail17trampoline_kernelINS0_13kernel_configILj256ELj4ELj4294967295EEENS1_37radix_sort_block_sort_config_selectorImNS0_10empty_typeEEEZNS1_21radix_sort_block_sortIS4_Lb0EPKmPmPS6_SC_NS0_19identity_decomposerEEE10hipError_tT1_T2_T3_T4_jRjT5_jjP12ihipStream_tbEUlT_E_NS1_11comp_targetILNS1_3genE3ELNS1_11target_archE908ELNS1_3gpuE7ELNS1_3repE0EEENS1_44radix_sort_block_sort_config_static_selectorELNS0_4arch9wavefront6targetE0EEEvSF_
                                        ; -- End function
	.set _ZN7rocprim17ROCPRIM_400000_NS6detail17trampoline_kernelINS0_13kernel_configILj256ELj4ELj4294967295EEENS1_37radix_sort_block_sort_config_selectorImNS0_10empty_typeEEEZNS1_21radix_sort_block_sortIS4_Lb0EPKmPmPS6_SC_NS0_19identity_decomposerEEE10hipError_tT1_T2_T3_T4_jRjT5_jjP12ihipStream_tbEUlT_E_NS1_11comp_targetILNS1_3genE3ELNS1_11target_archE908ELNS1_3gpuE7ELNS1_3repE0EEENS1_44radix_sort_block_sort_config_static_selectorELNS0_4arch9wavefront6targetE0EEEvSF_.num_vgpr, 0
	.set _ZN7rocprim17ROCPRIM_400000_NS6detail17trampoline_kernelINS0_13kernel_configILj256ELj4ELj4294967295EEENS1_37radix_sort_block_sort_config_selectorImNS0_10empty_typeEEEZNS1_21radix_sort_block_sortIS4_Lb0EPKmPmPS6_SC_NS0_19identity_decomposerEEE10hipError_tT1_T2_T3_T4_jRjT5_jjP12ihipStream_tbEUlT_E_NS1_11comp_targetILNS1_3genE3ELNS1_11target_archE908ELNS1_3gpuE7ELNS1_3repE0EEENS1_44radix_sort_block_sort_config_static_selectorELNS0_4arch9wavefront6targetE0EEEvSF_.num_agpr, 0
	.set _ZN7rocprim17ROCPRIM_400000_NS6detail17trampoline_kernelINS0_13kernel_configILj256ELj4ELj4294967295EEENS1_37radix_sort_block_sort_config_selectorImNS0_10empty_typeEEEZNS1_21radix_sort_block_sortIS4_Lb0EPKmPmPS6_SC_NS0_19identity_decomposerEEE10hipError_tT1_T2_T3_T4_jRjT5_jjP12ihipStream_tbEUlT_E_NS1_11comp_targetILNS1_3genE3ELNS1_11target_archE908ELNS1_3gpuE7ELNS1_3repE0EEENS1_44radix_sort_block_sort_config_static_selectorELNS0_4arch9wavefront6targetE0EEEvSF_.numbered_sgpr, 0
	.set _ZN7rocprim17ROCPRIM_400000_NS6detail17trampoline_kernelINS0_13kernel_configILj256ELj4ELj4294967295EEENS1_37radix_sort_block_sort_config_selectorImNS0_10empty_typeEEEZNS1_21radix_sort_block_sortIS4_Lb0EPKmPmPS6_SC_NS0_19identity_decomposerEEE10hipError_tT1_T2_T3_T4_jRjT5_jjP12ihipStream_tbEUlT_E_NS1_11comp_targetILNS1_3genE3ELNS1_11target_archE908ELNS1_3gpuE7ELNS1_3repE0EEENS1_44radix_sort_block_sort_config_static_selectorELNS0_4arch9wavefront6targetE0EEEvSF_.num_named_barrier, 0
	.set _ZN7rocprim17ROCPRIM_400000_NS6detail17trampoline_kernelINS0_13kernel_configILj256ELj4ELj4294967295EEENS1_37radix_sort_block_sort_config_selectorImNS0_10empty_typeEEEZNS1_21radix_sort_block_sortIS4_Lb0EPKmPmPS6_SC_NS0_19identity_decomposerEEE10hipError_tT1_T2_T3_T4_jRjT5_jjP12ihipStream_tbEUlT_E_NS1_11comp_targetILNS1_3genE3ELNS1_11target_archE908ELNS1_3gpuE7ELNS1_3repE0EEENS1_44radix_sort_block_sort_config_static_selectorELNS0_4arch9wavefront6targetE0EEEvSF_.private_seg_size, 0
	.set _ZN7rocprim17ROCPRIM_400000_NS6detail17trampoline_kernelINS0_13kernel_configILj256ELj4ELj4294967295EEENS1_37radix_sort_block_sort_config_selectorImNS0_10empty_typeEEEZNS1_21radix_sort_block_sortIS4_Lb0EPKmPmPS6_SC_NS0_19identity_decomposerEEE10hipError_tT1_T2_T3_T4_jRjT5_jjP12ihipStream_tbEUlT_E_NS1_11comp_targetILNS1_3genE3ELNS1_11target_archE908ELNS1_3gpuE7ELNS1_3repE0EEENS1_44radix_sort_block_sort_config_static_selectorELNS0_4arch9wavefront6targetE0EEEvSF_.uses_vcc, 0
	.set _ZN7rocprim17ROCPRIM_400000_NS6detail17trampoline_kernelINS0_13kernel_configILj256ELj4ELj4294967295EEENS1_37radix_sort_block_sort_config_selectorImNS0_10empty_typeEEEZNS1_21radix_sort_block_sortIS4_Lb0EPKmPmPS6_SC_NS0_19identity_decomposerEEE10hipError_tT1_T2_T3_T4_jRjT5_jjP12ihipStream_tbEUlT_E_NS1_11comp_targetILNS1_3genE3ELNS1_11target_archE908ELNS1_3gpuE7ELNS1_3repE0EEENS1_44radix_sort_block_sort_config_static_selectorELNS0_4arch9wavefront6targetE0EEEvSF_.uses_flat_scratch, 0
	.set _ZN7rocprim17ROCPRIM_400000_NS6detail17trampoline_kernelINS0_13kernel_configILj256ELj4ELj4294967295EEENS1_37radix_sort_block_sort_config_selectorImNS0_10empty_typeEEEZNS1_21radix_sort_block_sortIS4_Lb0EPKmPmPS6_SC_NS0_19identity_decomposerEEE10hipError_tT1_T2_T3_T4_jRjT5_jjP12ihipStream_tbEUlT_E_NS1_11comp_targetILNS1_3genE3ELNS1_11target_archE908ELNS1_3gpuE7ELNS1_3repE0EEENS1_44radix_sort_block_sort_config_static_selectorELNS0_4arch9wavefront6targetE0EEEvSF_.has_dyn_sized_stack, 0
	.set _ZN7rocprim17ROCPRIM_400000_NS6detail17trampoline_kernelINS0_13kernel_configILj256ELj4ELj4294967295EEENS1_37radix_sort_block_sort_config_selectorImNS0_10empty_typeEEEZNS1_21radix_sort_block_sortIS4_Lb0EPKmPmPS6_SC_NS0_19identity_decomposerEEE10hipError_tT1_T2_T3_T4_jRjT5_jjP12ihipStream_tbEUlT_E_NS1_11comp_targetILNS1_3genE3ELNS1_11target_archE908ELNS1_3gpuE7ELNS1_3repE0EEENS1_44radix_sort_block_sort_config_static_selectorELNS0_4arch9wavefront6targetE0EEEvSF_.has_recursion, 0
	.set _ZN7rocprim17ROCPRIM_400000_NS6detail17trampoline_kernelINS0_13kernel_configILj256ELj4ELj4294967295EEENS1_37radix_sort_block_sort_config_selectorImNS0_10empty_typeEEEZNS1_21radix_sort_block_sortIS4_Lb0EPKmPmPS6_SC_NS0_19identity_decomposerEEE10hipError_tT1_T2_T3_T4_jRjT5_jjP12ihipStream_tbEUlT_E_NS1_11comp_targetILNS1_3genE3ELNS1_11target_archE908ELNS1_3gpuE7ELNS1_3repE0EEENS1_44radix_sort_block_sort_config_static_selectorELNS0_4arch9wavefront6targetE0EEEvSF_.has_indirect_call, 0
	.section	.AMDGPU.csdata,"",@progbits
; Kernel info:
; codeLenInByte = 0
; TotalNumSgprs: 0
; NumVgprs: 0
; ScratchSize: 0
; MemoryBound: 0
; FloatMode: 240
; IeeeMode: 1
; LDSByteSize: 0 bytes/workgroup (compile time only)
; SGPRBlocks: 0
; VGPRBlocks: 0
; NumSGPRsForWavesPerEU: 1
; NumVGPRsForWavesPerEU: 1
; NamedBarCnt: 0
; Occupancy: 16
; WaveLimiterHint : 0
; COMPUTE_PGM_RSRC2:SCRATCH_EN: 0
; COMPUTE_PGM_RSRC2:USER_SGPR: 2
; COMPUTE_PGM_RSRC2:TRAP_HANDLER: 0
; COMPUTE_PGM_RSRC2:TGID_X_EN: 1
; COMPUTE_PGM_RSRC2:TGID_Y_EN: 0
; COMPUTE_PGM_RSRC2:TGID_Z_EN: 0
; COMPUTE_PGM_RSRC2:TIDIG_COMP_CNT: 0
	.section	.text._ZN7rocprim17ROCPRIM_400000_NS6detail17trampoline_kernelINS0_13kernel_configILj256ELj4ELj4294967295EEENS1_37radix_sort_block_sort_config_selectorImNS0_10empty_typeEEEZNS1_21radix_sort_block_sortIS4_Lb0EPKmPmPS6_SC_NS0_19identity_decomposerEEE10hipError_tT1_T2_T3_T4_jRjT5_jjP12ihipStream_tbEUlT_E_NS1_11comp_targetILNS1_3genE2ELNS1_11target_archE906ELNS1_3gpuE6ELNS1_3repE0EEENS1_44radix_sort_block_sort_config_static_selectorELNS0_4arch9wavefront6targetE0EEEvSF_,"axG",@progbits,_ZN7rocprim17ROCPRIM_400000_NS6detail17trampoline_kernelINS0_13kernel_configILj256ELj4ELj4294967295EEENS1_37radix_sort_block_sort_config_selectorImNS0_10empty_typeEEEZNS1_21radix_sort_block_sortIS4_Lb0EPKmPmPS6_SC_NS0_19identity_decomposerEEE10hipError_tT1_T2_T3_T4_jRjT5_jjP12ihipStream_tbEUlT_E_NS1_11comp_targetILNS1_3genE2ELNS1_11target_archE906ELNS1_3gpuE6ELNS1_3repE0EEENS1_44radix_sort_block_sort_config_static_selectorELNS0_4arch9wavefront6targetE0EEEvSF_,comdat
	.protected	_ZN7rocprim17ROCPRIM_400000_NS6detail17trampoline_kernelINS0_13kernel_configILj256ELj4ELj4294967295EEENS1_37radix_sort_block_sort_config_selectorImNS0_10empty_typeEEEZNS1_21radix_sort_block_sortIS4_Lb0EPKmPmPS6_SC_NS0_19identity_decomposerEEE10hipError_tT1_T2_T3_T4_jRjT5_jjP12ihipStream_tbEUlT_E_NS1_11comp_targetILNS1_3genE2ELNS1_11target_archE906ELNS1_3gpuE6ELNS1_3repE0EEENS1_44radix_sort_block_sort_config_static_selectorELNS0_4arch9wavefront6targetE0EEEvSF_ ; -- Begin function _ZN7rocprim17ROCPRIM_400000_NS6detail17trampoline_kernelINS0_13kernel_configILj256ELj4ELj4294967295EEENS1_37radix_sort_block_sort_config_selectorImNS0_10empty_typeEEEZNS1_21radix_sort_block_sortIS4_Lb0EPKmPmPS6_SC_NS0_19identity_decomposerEEE10hipError_tT1_T2_T3_T4_jRjT5_jjP12ihipStream_tbEUlT_E_NS1_11comp_targetILNS1_3genE2ELNS1_11target_archE906ELNS1_3gpuE6ELNS1_3repE0EEENS1_44radix_sort_block_sort_config_static_selectorELNS0_4arch9wavefront6targetE0EEEvSF_
	.globl	_ZN7rocprim17ROCPRIM_400000_NS6detail17trampoline_kernelINS0_13kernel_configILj256ELj4ELj4294967295EEENS1_37radix_sort_block_sort_config_selectorImNS0_10empty_typeEEEZNS1_21radix_sort_block_sortIS4_Lb0EPKmPmPS6_SC_NS0_19identity_decomposerEEE10hipError_tT1_T2_T3_T4_jRjT5_jjP12ihipStream_tbEUlT_E_NS1_11comp_targetILNS1_3genE2ELNS1_11target_archE906ELNS1_3gpuE6ELNS1_3repE0EEENS1_44radix_sort_block_sort_config_static_selectorELNS0_4arch9wavefront6targetE0EEEvSF_
	.p2align	8
	.type	_ZN7rocprim17ROCPRIM_400000_NS6detail17trampoline_kernelINS0_13kernel_configILj256ELj4ELj4294967295EEENS1_37radix_sort_block_sort_config_selectorImNS0_10empty_typeEEEZNS1_21radix_sort_block_sortIS4_Lb0EPKmPmPS6_SC_NS0_19identity_decomposerEEE10hipError_tT1_T2_T3_T4_jRjT5_jjP12ihipStream_tbEUlT_E_NS1_11comp_targetILNS1_3genE2ELNS1_11target_archE906ELNS1_3gpuE6ELNS1_3repE0EEENS1_44radix_sort_block_sort_config_static_selectorELNS0_4arch9wavefront6targetE0EEEvSF_,@function
_ZN7rocprim17ROCPRIM_400000_NS6detail17trampoline_kernelINS0_13kernel_configILj256ELj4ELj4294967295EEENS1_37radix_sort_block_sort_config_selectorImNS0_10empty_typeEEEZNS1_21radix_sort_block_sortIS4_Lb0EPKmPmPS6_SC_NS0_19identity_decomposerEEE10hipError_tT1_T2_T3_T4_jRjT5_jjP12ihipStream_tbEUlT_E_NS1_11comp_targetILNS1_3genE2ELNS1_11target_archE906ELNS1_3gpuE6ELNS1_3repE0EEENS1_44radix_sort_block_sort_config_static_selectorELNS0_4arch9wavefront6targetE0EEEvSF_: ; @_ZN7rocprim17ROCPRIM_400000_NS6detail17trampoline_kernelINS0_13kernel_configILj256ELj4ELj4294967295EEENS1_37radix_sort_block_sort_config_selectorImNS0_10empty_typeEEEZNS1_21radix_sort_block_sortIS4_Lb0EPKmPmPS6_SC_NS0_19identity_decomposerEEE10hipError_tT1_T2_T3_T4_jRjT5_jjP12ihipStream_tbEUlT_E_NS1_11comp_targetILNS1_3genE2ELNS1_11target_archE906ELNS1_3gpuE6ELNS1_3repE0EEENS1_44radix_sort_block_sort_config_static_selectorELNS0_4arch9wavefront6targetE0EEEvSF_
; %bb.0:
	.section	.rodata,"a",@progbits
	.p2align	6, 0x0
	.amdhsa_kernel _ZN7rocprim17ROCPRIM_400000_NS6detail17trampoline_kernelINS0_13kernel_configILj256ELj4ELj4294967295EEENS1_37radix_sort_block_sort_config_selectorImNS0_10empty_typeEEEZNS1_21radix_sort_block_sortIS4_Lb0EPKmPmPS6_SC_NS0_19identity_decomposerEEE10hipError_tT1_T2_T3_T4_jRjT5_jjP12ihipStream_tbEUlT_E_NS1_11comp_targetILNS1_3genE2ELNS1_11target_archE906ELNS1_3gpuE6ELNS1_3repE0EEENS1_44radix_sort_block_sort_config_static_selectorELNS0_4arch9wavefront6targetE0EEEvSF_
		.amdhsa_group_segment_fixed_size 0
		.amdhsa_private_segment_fixed_size 0
		.amdhsa_kernarg_size 48
		.amdhsa_user_sgpr_count 2
		.amdhsa_user_sgpr_dispatch_ptr 0
		.amdhsa_user_sgpr_queue_ptr 0
		.amdhsa_user_sgpr_kernarg_segment_ptr 1
		.amdhsa_user_sgpr_dispatch_id 0
		.amdhsa_user_sgpr_kernarg_preload_length 0
		.amdhsa_user_sgpr_kernarg_preload_offset 0
		.amdhsa_user_sgpr_private_segment_size 0
		.amdhsa_wavefront_size32 1
		.amdhsa_uses_dynamic_stack 0
		.amdhsa_enable_private_segment 0
		.amdhsa_system_sgpr_workgroup_id_x 1
		.amdhsa_system_sgpr_workgroup_id_y 0
		.amdhsa_system_sgpr_workgroup_id_z 0
		.amdhsa_system_sgpr_workgroup_info 0
		.amdhsa_system_vgpr_workitem_id 0
		.amdhsa_next_free_vgpr 1
		.amdhsa_next_free_sgpr 1
		.amdhsa_named_barrier_count 0
		.amdhsa_reserve_vcc 0
		.amdhsa_float_round_mode_32 0
		.amdhsa_float_round_mode_16_64 0
		.amdhsa_float_denorm_mode_32 3
		.amdhsa_float_denorm_mode_16_64 3
		.amdhsa_fp16_overflow 0
		.amdhsa_memory_ordered 1
		.amdhsa_forward_progress 1
		.amdhsa_inst_pref_size 0
		.amdhsa_round_robin_scheduling 0
		.amdhsa_exception_fp_ieee_invalid_op 0
		.amdhsa_exception_fp_denorm_src 0
		.amdhsa_exception_fp_ieee_div_zero 0
		.amdhsa_exception_fp_ieee_overflow 0
		.amdhsa_exception_fp_ieee_underflow 0
		.amdhsa_exception_fp_ieee_inexact 0
		.amdhsa_exception_int_div_zero 0
	.end_amdhsa_kernel
	.section	.text._ZN7rocprim17ROCPRIM_400000_NS6detail17trampoline_kernelINS0_13kernel_configILj256ELj4ELj4294967295EEENS1_37radix_sort_block_sort_config_selectorImNS0_10empty_typeEEEZNS1_21radix_sort_block_sortIS4_Lb0EPKmPmPS6_SC_NS0_19identity_decomposerEEE10hipError_tT1_T2_T3_T4_jRjT5_jjP12ihipStream_tbEUlT_E_NS1_11comp_targetILNS1_3genE2ELNS1_11target_archE906ELNS1_3gpuE6ELNS1_3repE0EEENS1_44radix_sort_block_sort_config_static_selectorELNS0_4arch9wavefront6targetE0EEEvSF_,"axG",@progbits,_ZN7rocprim17ROCPRIM_400000_NS6detail17trampoline_kernelINS0_13kernel_configILj256ELj4ELj4294967295EEENS1_37radix_sort_block_sort_config_selectorImNS0_10empty_typeEEEZNS1_21radix_sort_block_sortIS4_Lb0EPKmPmPS6_SC_NS0_19identity_decomposerEEE10hipError_tT1_T2_T3_T4_jRjT5_jjP12ihipStream_tbEUlT_E_NS1_11comp_targetILNS1_3genE2ELNS1_11target_archE906ELNS1_3gpuE6ELNS1_3repE0EEENS1_44radix_sort_block_sort_config_static_selectorELNS0_4arch9wavefront6targetE0EEEvSF_,comdat
.Lfunc_end2920:
	.size	_ZN7rocprim17ROCPRIM_400000_NS6detail17trampoline_kernelINS0_13kernel_configILj256ELj4ELj4294967295EEENS1_37radix_sort_block_sort_config_selectorImNS0_10empty_typeEEEZNS1_21radix_sort_block_sortIS4_Lb0EPKmPmPS6_SC_NS0_19identity_decomposerEEE10hipError_tT1_T2_T3_T4_jRjT5_jjP12ihipStream_tbEUlT_E_NS1_11comp_targetILNS1_3genE2ELNS1_11target_archE906ELNS1_3gpuE6ELNS1_3repE0EEENS1_44radix_sort_block_sort_config_static_selectorELNS0_4arch9wavefront6targetE0EEEvSF_, .Lfunc_end2920-_ZN7rocprim17ROCPRIM_400000_NS6detail17trampoline_kernelINS0_13kernel_configILj256ELj4ELj4294967295EEENS1_37radix_sort_block_sort_config_selectorImNS0_10empty_typeEEEZNS1_21radix_sort_block_sortIS4_Lb0EPKmPmPS6_SC_NS0_19identity_decomposerEEE10hipError_tT1_T2_T3_T4_jRjT5_jjP12ihipStream_tbEUlT_E_NS1_11comp_targetILNS1_3genE2ELNS1_11target_archE906ELNS1_3gpuE6ELNS1_3repE0EEENS1_44radix_sort_block_sort_config_static_selectorELNS0_4arch9wavefront6targetE0EEEvSF_
                                        ; -- End function
	.set _ZN7rocprim17ROCPRIM_400000_NS6detail17trampoline_kernelINS0_13kernel_configILj256ELj4ELj4294967295EEENS1_37radix_sort_block_sort_config_selectorImNS0_10empty_typeEEEZNS1_21radix_sort_block_sortIS4_Lb0EPKmPmPS6_SC_NS0_19identity_decomposerEEE10hipError_tT1_T2_T3_T4_jRjT5_jjP12ihipStream_tbEUlT_E_NS1_11comp_targetILNS1_3genE2ELNS1_11target_archE906ELNS1_3gpuE6ELNS1_3repE0EEENS1_44radix_sort_block_sort_config_static_selectorELNS0_4arch9wavefront6targetE0EEEvSF_.num_vgpr, 0
	.set _ZN7rocprim17ROCPRIM_400000_NS6detail17trampoline_kernelINS0_13kernel_configILj256ELj4ELj4294967295EEENS1_37radix_sort_block_sort_config_selectorImNS0_10empty_typeEEEZNS1_21radix_sort_block_sortIS4_Lb0EPKmPmPS6_SC_NS0_19identity_decomposerEEE10hipError_tT1_T2_T3_T4_jRjT5_jjP12ihipStream_tbEUlT_E_NS1_11comp_targetILNS1_3genE2ELNS1_11target_archE906ELNS1_3gpuE6ELNS1_3repE0EEENS1_44radix_sort_block_sort_config_static_selectorELNS0_4arch9wavefront6targetE0EEEvSF_.num_agpr, 0
	.set _ZN7rocprim17ROCPRIM_400000_NS6detail17trampoline_kernelINS0_13kernel_configILj256ELj4ELj4294967295EEENS1_37radix_sort_block_sort_config_selectorImNS0_10empty_typeEEEZNS1_21radix_sort_block_sortIS4_Lb0EPKmPmPS6_SC_NS0_19identity_decomposerEEE10hipError_tT1_T2_T3_T4_jRjT5_jjP12ihipStream_tbEUlT_E_NS1_11comp_targetILNS1_3genE2ELNS1_11target_archE906ELNS1_3gpuE6ELNS1_3repE0EEENS1_44radix_sort_block_sort_config_static_selectorELNS0_4arch9wavefront6targetE0EEEvSF_.numbered_sgpr, 0
	.set _ZN7rocprim17ROCPRIM_400000_NS6detail17trampoline_kernelINS0_13kernel_configILj256ELj4ELj4294967295EEENS1_37radix_sort_block_sort_config_selectorImNS0_10empty_typeEEEZNS1_21radix_sort_block_sortIS4_Lb0EPKmPmPS6_SC_NS0_19identity_decomposerEEE10hipError_tT1_T2_T3_T4_jRjT5_jjP12ihipStream_tbEUlT_E_NS1_11comp_targetILNS1_3genE2ELNS1_11target_archE906ELNS1_3gpuE6ELNS1_3repE0EEENS1_44radix_sort_block_sort_config_static_selectorELNS0_4arch9wavefront6targetE0EEEvSF_.num_named_barrier, 0
	.set _ZN7rocprim17ROCPRIM_400000_NS6detail17trampoline_kernelINS0_13kernel_configILj256ELj4ELj4294967295EEENS1_37radix_sort_block_sort_config_selectorImNS0_10empty_typeEEEZNS1_21radix_sort_block_sortIS4_Lb0EPKmPmPS6_SC_NS0_19identity_decomposerEEE10hipError_tT1_T2_T3_T4_jRjT5_jjP12ihipStream_tbEUlT_E_NS1_11comp_targetILNS1_3genE2ELNS1_11target_archE906ELNS1_3gpuE6ELNS1_3repE0EEENS1_44radix_sort_block_sort_config_static_selectorELNS0_4arch9wavefront6targetE0EEEvSF_.private_seg_size, 0
	.set _ZN7rocprim17ROCPRIM_400000_NS6detail17trampoline_kernelINS0_13kernel_configILj256ELj4ELj4294967295EEENS1_37radix_sort_block_sort_config_selectorImNS0_10empty_typeEEEZNS1_21radix_sort_block_sortIS4_Lb0EPKmPmPS6_SC_NS0_19identity_decomposerEEE10hipError_tT1_T2_T3_T4_jRjT5_jjP12ihipStream_tbEUlT_E_NS1_11comp_targetILNS1_3genE2ELNS1_11target_archE906ELNS1_3gpuE6ELNS1_3repE0EEENS1_44radix_sort_block_sort_config_static_selectorELNS0_4arch9wavefront6targetE0EEEvSF_.uses_vcc, 0
	.set _ZN7rocprim17ROCPRIM_400000_NS6detail17trampoline_kernelINS0_13kernel_configILj256ELj4ELj4294967295EEENS1_37radix_sort_block_sort_config_selectorImNS0_10empty_typeEEEZNS1_21radix_sort_block_sortIS4_Lb0EPKmPmPS6_SC_NS0_19identity_decomposerEEE10hipError_tT1_T2_T3_T4_jRjT5_jjP12ihipStream_tbEUlT_E_NS1_11comp_targetILNS1_3genE2ELNS1_11target_archE906ELNS1_3gpuE6ELNS1_3repE0EEENS1_44radix_sort_block_sort_config_static_selectorELNS0_4arch9wavefront6targetE0EEEvSF_.uses_flat_scratch, 0
	.set _ZN7rocprim17ROCPRIM_400000_NS6detail17trampoline_kernelINS0_13kernel_configILj256ELj4ELj4294967295EEENS1_37radix_sort_block_sort_config_selectorImNS0_10empty_typeEEEZNS1_21radix_sort_block_sortIS4_Lb0EPKmPmPS6_SC_NS0_19identity_decomposerEEE10hipError_tT1_T2_T3_T4_jRjT5_jjP12ihipStream_tbEUlT_E_NS1_11comp_targetILNS1_3genE2ELNS1_11target_archE906ELNS1_3gpuE6ELNS1_3repE0EEENS1_44radix_sort_block_sort_config_static_selectorELNS0_4arch9wavefront6targetE0EEEvSF_.has_dyn_sized_stack, 0
	.set _ZN7rocprim17ROCPRIM_400000_NS6detail17trampoline_kernelINS0_13kernel_configILj256ELj4ELj4294967295EEENS1_37radix_sort_block_sort_config_selectorImNS0_10empty_typeEEEZNS1_21radix_sort_block_sortIS4_Lb0EPKmPmPS6_SC_NS0_19identity_decomposerEEE10hipError_tT1_T2_T3_T4_jRjT5_jjP12ihipStream_tbEUlT_E_NS1_11comp_targetILNS1_3genE2ELNS1_11target_archE906ELNS1_3gpuE6ELNS1_3repE0EEENS1_44radix_sort_block_sort_config_static_selectorELNS0_4arch9wavefront6targetE0EEEvSF_.has_recursion, 0
	.set _ZN7rocprim17ROCPRIM_400000_NS6detail17trampoline_kernelINS0_13kernel_configILj256ELj4ELj4294967295EEENS1_37radix_sort_block_sort_config_selectorImNS0_10empty_typeEEEZNS1_21radix_sort_block_sortIS4_Lb0EPKmPmPS6_SC_NS0_19identity_decomposerEEE10hipError_tT1_T2_T3_T4_jRjT5_jjP12ihipStream_tbEUlT_E_NS1_11comp_targetILNS1_3genE2ELNS1_11target_archE906ELNS1_3gpuE6ELNS1_3repE0EEENS1_44radix_sort_block_sort_config_static_selectorELNS0_4arch9wavefront6targetE0EEEvSF_.has_indirect_call, 0
	.section	.AMDGPU.csdata,"",@progbits
; Kernel info:
; codeLenInByte = 0
; TotalNumSgprs: 0
; NumVgprs: 0
; ScratchSize: 0
; MemoryBound: 0
; FloatMode: 240
; IeeeMode: 1
; LDSByteSize: 0 bytes/workgroup (compile time only)
; SGPRBlocks: 0
; VGPRBlocks: 0
; NumSGPRsForWavesPerEU: 1
; NumVGPRsForWavesPerEU: 1
; NamedBarCnt: 0
; Occupancy: 16
; WaveLimiterHint : 0
; COMPUTE_PGM_RSRC2:SCRATCH_EN: 0
; COMPUTE_PGM_RSRC2:USER_SGPR: 2
; COMPUTE_PGM_RSRC2:TRAP_HANDLER: 0
; COMPUTE_PGM_RSRC2:TGID_X_EN: 1
; COMPUTE_PGM_RSRC2:TGID_Y_EN: 0
; COMPUTE_PGM_RSRC2:TGID_Z_EN: 0
; COMPUTE_PGM_RSRC2:TIDIG_COMP_CNT: 0
	.section	.text._ZN7rocprim17ROCPRIM_400000_NS6detail17trampoline_kernelINS0_13kernel_configILj256ELj4ELj4294967295EEENS1_37radix_sort_block_sort_config_selectorImNS0_10empty_typeEEEZNS1_21radix_sort_block_sortIS4_Lb0EPKmPmPS6_SC_NS0_19identity_decomposerEEE10hipError_tT1_T2_T3_T4_jRjT5_jjP12ihipStream_tbEUlT_E_NS1_11comp_targetILNS1_3genE10ELNS1_11target_archE1201ELNS1_3gpuE5ELNS1_3repE0EEENS1_44radix_sort_block_sort_config_static_selectorELNS0_4arch9wavefront6targetE0EEEvSF_,"axG",@progbits,_ZN7rocprim17ROCPRIM_400000_NS6detail17trampoline_kernelINS0_13kernel_configILj256ELj4ELj4294967295EEENS1_37radix_sort_block_sort_config_selectorImNS0_10empty_typeEEEZNS1_21radix_sort_block_sortIS4_Lb0EPKmPmPS6_SC_NS0_19identity_decomposerEEE10hipError_tT1_T2_T3_T4_jRjT5_jjP12ihipStream_tbEUlT_E_NS1_11comp_targetILNS1_3genE10ELNS1_11target_archE1201ELNS1_3gpuE5ELNS1_3repE0EEENS1_44radix_sort_block_sort_config_static_selectorELNS0_4arch9wavefront6targetE0EEEvSF_,comdat
	.protected	_ZN7rocprim17ROCPRIM_400000_NS6detail17trampoline_kernelINS0_13kernel_configILj256ELj4ELj4294967295EEENS1_37radix_sort_block_sort_config_selectorImNS0_10empty_typeEEEZNS1_21radix_sort_block_sortIS4_Lb0EPKmPmPS6_SC_NS0_19identity_decomposerEEE10hipError_tT1_T2_T3_T4_jRjT5_jjP12ihipStream_tbEUlT_E_NS1_11comp_targetILNS1_3genE10ELNS1_11target_archE1201ELNS1_3gpuE5ELNS1_3repE0EEENS1_44radix_sort_block_sort_config_static_selectorELNS0_4arch9wavefront6targetE0EEEvSF_ ; -- Begin function _ZN7rocprim17ROCPRIM_400000_NS6detail17trampoline_kernelINS0_13kernel_configILj256ELj4ELj4294967295EEENS1_37radix_sort_block_sort_config_selectorImNS0_10empty_typeEEEZNS1_21radix_sort_block_sortIS4_Lb0EPKmPmPS6_SC_NS0_19identity_decomposerEEE10hipError_tT1_T2_T3_T4_jRjT5_jjP12ihipStream_tbEUlT_E_NS1_11comp_targetILNS1_3genE10ELNS1_11target_archE1201ELNS1_3gpuE5ELNS1_3repE0EEENS1_44radix_sort_block_sort_config_static_selectorELNS0_4arch9wavefront6targetE0EEEvSF_
	.globl	_ZN7rocprim17ROCPRIM_400000_NS6detail17trampoline_kernelINS0_13kernel_configILj256ELj4ELj4294967295EEENS1_37radix_sort_block_sort_config_selectorImNS0_10empty_typeEEEZNS1_21radix_sort_block_sortIS4_Lb0EPKmPmPS6_SC_NS0_19identity_decomposerEEE10hipError_tT1_T2_T3_T4_jRjT5_jjP12ihipStream_tbEUlT_E_NS1_11comp_targetILNS1_3genE10ELNS1_11target_archE1201ELNS1_3gpuE5ELNS1_3repE0EEENS1_44radix_sort_block_sort_config_static_selectorELNS0_4arch9wavefront6targetE0EEEvSF_
	.p2align	8
	.type	_ZN7rocprim17ROCPRIM_400000_NS6detail17trampoline_kernelINS0_13kernel_configILj256ELj4ELj4294967295EEENS1_37radix_sort_block_sort_config_selectorImNS0_10empty_typeEEEZNS1_21radix_sort_block_sortIS4_Lb0EPKmPmPS6_SC_NS0_19identity_decomposerEEE10hipError_tT1_T2_T3_T4_jRjT5_jjP12ihipStream_tbEUlT_E_NS1_11comp_targetILNS1_3genE10ELNS1_11target_archE1201ELNS1_3gpuE5ELNS1_3repE0EEENS1_44radix_sort_block_sort_config_static_selectorELNS0_4arch9wavefront6targetE0EEEvSF_,@function
_ZN7rocprim17ROCPRIM_400000_NS6detail17trampoline_kernelINS0_13kernel_configILj256ELj4ELj4294967295EEENS1_37radix_sort_block_sort_config_selectorImNS0_10empty_typeEEEZNS1_21radix_sort_block_sortIS4_Lb0EPKmPmPS6_SC_NS0_19identity_decomposerEEE10hipError_tT1_T2_T3_T4_jRjT5_jjP12ihipStream_tbEUlT_E_NS1_11comp_targetILNS1_3genE10ELNS1_11target_archE1201ELNS1_3gpuE5ELNS1_3repE0EEENS1_44radix_sort_block_sort_config_static_selectorELNS0_4arch9wavefront6targetE0EEEvSF_: ; @_ZN7rocprim17ROCPRIM_400000_NS6detail17trampoline_kernelINS0_13kernel_configILj256ELj4ELj4294967295EEENS1_37radix_sort_block_sort_config_selectorImNS0_10empty_typeEEEZNS1_21radix_sort_block_sortIS4_Lb0EPKmPmPS6_SC_NS0_19identity_decomposerEEE10hipError_tT1_T2_T3_T4_jRjT5_jjP12ihipStream_tbEUlT_E_NS1_11comp_targetILNS1_3genE10ELNS1_11target_archE1201ELNS1_3gpuE5ELNS1_3repE0EEENS1_44radix_sort_block_sort_config_static_selectorELNS0_4arch9wavefront6targetE0EEEvSF_
; %bb.0:
	.section	.rodata,"a",@progbits
	.p2align	6, 0x0
	.amdhsa_kernel _ZN7rocprim17ROCPRIM_400000_NS6detail17trampoline_kernelINS0_13kernel_configILj256ELj4ELj4294967295EEENS1_37radix_sort_block_sort_config_selectorImNS0_10empty_typeEEEZNS1_21radix_sort_block_sortIS4_Lb0EPKmPmPS6_SC_NS0_19identity_decomposerEEE10hipError_tT1_T2_T3_T4_jRjT5_jjP12ihipStream_tbEUlT_E_NS1_11comp_targetILNS1_3genE10ELNS1_11target_archE1201ELNS1_3gpuE5ELNS1_3repE0EEENS1_44radix_sort_block_sort_config_static_selectorELNS0_4arch9wavefront6targetE0EEEvSF_
		.amdhsa_group_segment_fixed_size 0
		.amdhsa_private_segment_fixed_size 0
		.amdhsa_kernarg_size 48
		.amdhsa_user_sgpr_count 2
		.amdhsa_user_sgpr_dispatch_ptr 0
		.amdhsa_user_sgpr_queue_ptr 0
		.amdhsa_user_sgpr_kernarg_segment_ptr 1
		.amdhsa_user_sgpr_dispatch_id 0
		.amdhsa_user_sgpr_kernarg_preload_length 0
		.amdhsa_user_sgpr_kernarg_preload_offset 0
		.amdhsa_user_sgpr_private_segment_size 0
		.amdhsa_wavefront_size32 1
		.amdhsa_uses_dynamic_stack 0
		.amdhsa_enable_private_segment 0
		.amdhsa_system_sgpr_workgroup_id_x 1
		.amdhsa_system_sgpr_workgroup_id_y 0
		.amdhsa_system_sgpr_workgroup_id_z 0
		.amdhsa_system_sgpr_workgroup_info 0
		.amdhsa_system_vgpr_workitem_id 0
		.amdhsa_next_free_vgpr 1
		.amdhsa_next_free_sgpr 1
		.amdhsa_named_barrier_count 0
		.amdhsa_reserve_vcc 0
		.amdhsa_float_round_mode_32 0
		.amdhsa_float_round_mode_16_64 0
		.amdhsa_float_denorm_mode_32 3
		.amdhsa_float_denorm_mode_16_64 3
		.amdhsa_fp16_overflow 0
		.amdhsa_memory_ordered 1
		.amdhsa_forward_progress 1
		.amdhsa_inst_pref_size 0
		.amdhsa_round_robin_scheduling 0
		.amdhsa_exception_fp_ieee_invalid_op 0
		.amdhsa_exception_fp_denorm_src 0
		.amdhsa_exception_fp_ieee_div_zero 0
		.amdhsa_exception_fp_ieee_overflow 0
		.amdhsa_exception_fp_ieee_underflow 0
		.amdhsa_exception_fp_ieee_inexact 0
		.amdhsa_exception_int_div_zero 0
	.end_amdhsa_kernel
	.section	.text._ZN7rocprim17ROCPRIM_400000_NS6detail17trampoline_kernelINS0_13kernel_configILj256ELj4ELj4294967295EEENS1_37radix_sort_block_sort_config_selectorImNS0_10empty_typeEEEZNS1_21radix_sort_block_sortIS4_Lb0EPKmPmPS6_SC_NS0_19identity_decomposerEEE10hipError_tT1_T2_T3_T4_jRjT5_jjP12ihipStream_tbEUlT_E_NS1_11comp_targetILNS1_3genE10ELNS1_11target_archE1201ELNS1_3gpuE5ELNS1_3repE0EEENS1_44radix_sort_block_sort_config_static_selectorELNS0_4arch9wavefront6targetE0EEEvSF_,"axG",@progbits,_ZN7rocprim17ROCPRIM_400000_NS6detail17trampoline_kernelINS0_13kernel_configILj256ELj4ELj4294967295EEENS1_37radix_sort_block_sort_config_selectorImNS0_10empty_typeEEEZNS1_21radix_sort_block_sortIS4_Lb0EPKmPmPS6_SC_NS0_19identity_decomposerEEE10hipError_tT1_T2_T3_T4_jRjT5_jjP12ihipStream_tbEUlT_E_NS1_11comp_targetILNS1_3genE10ELNS1_11target_archE1201ELNS1_3gpuE5ELNS1_3repE0EEENS1_44radix_sort_block_sort_config_static_selectorELNS0_4arch9wavefront6targetE0EEEvSF_,comdat
.Lfunc_end2921:
	.size	_ZN7rocprim17ROCPRIM_400000_NS6detail17trampoline_kernelINS0_13kernel_configILj256ELj4ELj4294967295EEENS1_37radix_sort_block_sort_config_selectorImNS0_10empty_typeEEEZNS1_21radix_sort_block_sortIS4_Lb0EPKmPmPS6_SC_NS0_19identity_decomposerEEE10hipError_tT1_T2_T3_T4_jRjT5_jjP12ihipStream_tbEUlT_E_NS1_11comp_targetILNS1_3genE10ELNS1_11target_archE1201ELNS1_3gpuE5ELNS1_3repE0EEENS1_44radix_sort_block_sort_config_static_selectorELNS0_4arch9wavefront6targetE0EEEvSF_, .Lfunc_end2921-_ZN7rocprim17ROCPRIM_400000_NS6detail17trampoline_kernelINS0_13kernel_configILj256ELj4ELj4294967295EEENS1_37radix_sort_block_sort_config_selectorImNS0_10empty_typeEEEZNS1_21radix_sort_block_sortIS4_Lb0EPKmPmPS6_SC_NS0_19identity_decomposerEEE10hipError_tT1_T2_T3_T4_jRjT5_jjP12ihipStream_tbEUlT_E_NS1_11comp_targetILNS1_3genE10ELNS1_11target_archE1201ELNS1_3gpuE5ELNS1_3repE0EEENS1_44radix_sort_block_sort_config_static_selectorELNS0_4arch9wavefront6targetE0EEEvSF_
                                        ; -- End function
	.set _ZN7rocprim17ROCPRIM_400000_NS6detail17trampoline_kernelINS0_13kernel_configILj256ELj4ELj4294967295EEENS1_37radix_sort_block_sort_config_selectorImNS0_10empty_typeEEEZNS1_21radix_sort_block_sortIS4_Lb0EPKmPmPS6_SC_NS0_19identity_decomposerEEE10hipError_tT1_T2_T3_T4_jRjT5_jjP12ihipStream_tbEUlT_E_NS1_11comp_targetILNS1_3genE10ELNS1_11target_archE1201ELNS1_3gpuE5ELNS1_3repE0EEENS1_44radix_sort_block_sort_config_static_selectorELNS0_4arch9wavefront6targetE0EEEvSF_.num_vgpr, 0
	.set _ZN7rocprim17ROCPRIM_400000_NS6detail17trampoline_kernelINS0_13kernel_configILj256ELj4ELj4294967295EEENS1_37radix_sort_block_sort_config_selectorImNS0_10empty_typeEEEZNS1_21radix_sort_block_sortIS4_Lb0EPKmPmPS6_SC_NS0_19identity_decomposerEEE10hipError_tT1_T2_T3_T4_jRjT5_jjP12ihipStream_tbEUlT_E_NS1_11comp_targetILNS1_3genE10ELNS1_11target_archE1201ELNS1_3gpuE5ELNS1_3repE0EEENS1_44radix_sort_block_sort_config_static_selectorELNS0_4arch9wavefront6targetE0EEEvSF_.num_agpr, 0
	.set _ZN7rocprim17ROCPRIM_400000_NS6detail17trampoline_kernelINS0_13kernel_configILj256ELj4ELj4294967295EEENS1_37radix_sort_block_sort_config_selectorImNS0_10empty_typeEEEZNS1_21radix_sort_block_sortIS4_Lb0EPKmPmPS6_SC_NS0_19identity_decomposerEEE10hipError_tT1_T2_T3_T4_jRjT5_jjP12ihipStream_tbEUlT_E_NS1_11comp_targetILNS1_3genE10ELNS1_11target_archE1201ELNS1_3gpuE5ELNS1_3repE0EEENS1_44radix_sort_block_sort_config_static_selectorELNS0_4arch9wavefront6targetE0EEEvSF_.numbered_sgpr, 0
	.set _ZN7rocprim17ROCPRIM_400000_NS6detail17trampoline_kernelINS0_13kernel_configILj256ELj4ELj4294967295EEENS1_37radix_sort_block_sort_config_selectorImNS0_10empty_typeEEEZNS1_21radix_sort_block_sortIS4_Lb0EPKmPmPS6_SC_NS0_19identity_decomposerEEE10hipError_tT1_T2_T3_T4_jRjT5_jjP12ihipStream_tbEUlT_E_NS1_11comp_targetILNS1_3genE10ELNS1_11target_archE1201ELNS1_3gpuE5ELNS1_3repE0EEENS1_44radix_sort_block_sort_config_static_selectorELNS0_4arch9wavefront6targetE0EEEvSF_.num_named_barrier, 0
	.set _ZN7rocprim17ROCPRIM_400000_NS6detail17trampoline_kernelINS0_13kernel_configILj256ELj4ELj4294967295EEENS1_37radix_sort_block_sort_config_selectorImNS0_10empty_typeEEEZNS1_21radix_sort_block_sortIS4_Lb0EPKmPmPS6_SC_NS0_19identity_decomposerEEE10hipError_tT1_T2_T3_T4_jRjT5_jjP12ihipStream_tbEUlT_E_NS1_11comp_targetILNS1_3genE10ELNS1_11target_archE1201ELNS1_3gpuE5ELNS1_3repE0EEENS1_44radix_sort_block_sort_config_static_selectorELNS0_4arch9wavefront6targetE0EEEvSF_.private_seg_size, 0
	.set _ZN7rocprim17ROCPRIM_400000_NS6detail17trampoline_kernelINS0_13kernel_configILj256ELj4ELj4294967295EEENS1_37radix_sort_block_sort_config_selectorImNS0_10empty_typeEEEZNS1_21radix_sort_block_sortIS4_Lb0EPKmPmPS6_SC_NS0_19identity_decomposerEEE10hipError_tT1_T2_T3_T4_jRjT5_jjP12ihipStream_tbEUlT_E_NS1_11comp_targetILNS1_3genE10ELNS1_11target_archE1201ELNS1_3gpuE5ELNS1_3repE0EEENS1_44radix_sort_block_sort_config_static_selectorELNS0_4arch9wavefront6targetE0EEEvSF_.uses_vcc, 0
	.set _ZN7rocprim17ROCPRIM_400000_NS6detail17trampoline_kernelINS0_13kernel_configILj256ELj4ELj4294967295EEENS1_37radix_sort_block_sort_config_selectorImNS0_10empty_typeEEEZNS1_21radix_sort_block_sortIS4_Lb0EPKmPmPS6_SC_NS0_19identity_decomposerEEE10hipError_tT1_T2_T3_T4_jRjT5_jjP12ihipStream_tbEUlT_E_NS1_11comp_targetILNS1_3genE10ELNS1_11target_archE1201ELNS1_3gpuE5ELNS1_3repE0EEENS1_44radix_sort_block_sort_config_static_selectorELNS0_4arch9wavefront6targetE0EEEvSF_.uses_flat_scratch, 0
	.set _ZN7rocprim17ROCPRIM_400000_NS6detail17trampoline_kernelINS0_13kernel_configILj256ELj4ELj4294967295EEENS1_37radix_sort_block_sort_config_selectorImNS0_10empty_typeEEEZNS1_21radix_sort_block_sortIS4_Lb0EPKmPmPS6_SC_NS0_19identity_decomposerEEE10hipError_tT1_T2_T3_T4_jRjT5_jjP12ihipStream_tbEUlT_E_NS1_11comp_targetILNS1_3genE10ELNS1_11target_archE1201ELNS1_3gpuE5ELNS1_3repE0EEENS1_44radix_sort_block_sort_config_static_selectorELNS0_4arch9wavefront6targetE0EEEvSF_.has_dyn_sized_stack, 0
	.set _ZN7rocprim17ROCPRIM_400000_NS6detail17trampoline_kernelINS0_13kernel_configILj256ELj4ELj4294967295EEENS1_37radix_sort_block_sort_config_selectorImNS0_10empty_typeEEEZNS1_21radix_sort_block_sortIS4_Lb0EPKmPmPS6_SC_NS0_19identity_decomposerEEE10hipError_tT1_T2_T3_T4_jRjT5_jjP12ihipStream_tbEUlT_E_NS1_11comp_targetILNS1_3genE10ELNS1_11target_archE1201ELNS1_3gpuE5ELNS1_3repE0EEENS1_44radix_sort_block_sort_config_static_selectorELNS0_4arch9wavefront6targetE0EEEvSF_.has_recursion, 0
	.set _ZN7rocprim17ROCPRIM_400000_NS6detail17trampoline_kernelINS0_13kernel_configILj256ELj4ELj4294967295EEENS1_37radix_sort_block_sort_config_selectorImNS0_10empty_typeEEEZNS1_21radix_sort_block_sortIS4_Lb0EPKmPmPS6_SC_NS0_19identity_decomposerEEE10hipError_tT1_T2_T3_T4_jRjT5_jjP12ihipStream_tbEUlT_E_NS1_11comp_targetILNS1_3genE10ELNS1_11target_archE1201ELNS1_3gpuE5ELNS1_3repE0EEENS1_44radix_sort_block_sort_config_static_selectorELNS0_4arch9wavefront6targetE0EEEvSF_.has_indirect_call, 0
	.section	.AMDGPU.csdata,"",@progbits
; Kernel info:
; codeLenInByte = 0
; TotalNumSgprs: 0
; NumVgprs: 0
; ScratchSize: 0
; MemoryBound: 0
; FloatMode: 240
; IeeeMode: 1
; LDSByteSize: 0 bytes/workgroup (compile time only)
; SGPRBlocks: 0
; VGPRBlocks: 0
; NumSGPRsForWavesPerEU: 1
; NumVGPRsForWavesPerEU: 1
; NamedBarCnt: 0
; Occupancy: 16
; WaveLimiterHint : 0
; COMPUTE_PGM_RSRC2:SCRATCH_EN: 0
; COMPUTE_PGM_RSRC2:USER_SGPR: 2
; COMPUTE_PGM_RSRC2:TRAP_HANDLER: 0
; COMPUTE_PGM_RSRC2:TGID_X_EN: 1
; COMPUTE_PGM_RSRC2:TGID_Y_EN: 0
; COMPUTE_PGM_RSRC2:TGID_Z_EN: 0
; COMPUTE_PGM_RSRC2:TIDIG_COMP_CNT: 0
	.section	.text._ZN7rocprim17ROCPRIM_400000_NS6detail17trampoline_kernelINS0_13kernel_configILj256ELj4ELj4294967295EEENS1_37radix_sort_block_sort_config_selectorImNS0_10empty_typeEEEZNS1_21radix_sort_block_sortIS4_Lb0EPKmPmPS6_SC_NS0_19identity_decomposerEEE10hipError_tT1_T2_T3_T4_jRjT5_jjP12ihipStream_tbEUlT_E_NS1_11comp_targetILNS1_3genE10ELNS1_11target_archE1200ELNS1_3gpuE4ELNS1_3repE0EEENS1_44radix_sort_block_sort_config_static_selectorELNS0_4arch9wavefront6targetE0EEEvSF_,"axG",@progbits,_ZN7rocprim17ROCPRIM_400000_NS6detail17trampoline_kernelINS0_13kernel_configILj256ELj4ELj4294967295EEENS1_37radix_sort_block_sort_config_selectorImNS0_10empty_typeEEEZNS1_21radix_sort_block_sortIS4_Lb0EPKmPmPS6_SC_NS0_19identity_decomposerEEE10hipError_tT1_T2_T3_T4_jRjT5_jjP12ihipStream_tbEUlT_E_NS1_11comp_targetILNS1_3genE10ELNS1_11target_archE1200ELNS1_3gpuE4ELNS1_3repE0EEENS1_44radix_sort_block_sort_config_static_selectorELNS0_4arch9wavefront6targetE0EEEvSF_,comdat
	.protected	_ZN7rocprim17ROCPRIM_400000_NS6detail17trampoline_kernelINS0_13kernel_configILj256ELj4ELj4294967295EEENS1_37radix_sort_block_sort_config_selectorImNS0_10empty_typeEEEZNS1_21radix_sort_block_sortIS4_Lb0EPKmPmPS6_SC_NS0_19identity_decomposerEEE10hipError_tT1_T2_T3_T4_jRjT5_jjP12ihipStream_tbEUlT_E_NS1_11comp_targetILNS1_3genE10ELNS1_11target_archE1200ELNS1_3gpuE4ELNS1_3repE0EEENS1_44radix_sort_block_sort_config_static_selectorELNS0_4arch9wavefront6targetE0EEEvSF_ ; -- Begin function _ZN7rocprim17ROCPRIM_400000_NS6detail17trampoline_kernelINS0_13kernel_configILj256ELj4ELj4294967295EEENS1_37radix_sort_block_sort_config_selectorImNS0_10empty_typeEEEZNS1_21radix_sort_block_sortIS4_Lb0EPKmPmPS6_SC_NS0_19identity_decomposerEEE10hipError_tT1_T2_T3_T4_jRjT5_jjP12ihipStream_tbEUlT_E_NS1_11comp_targetILNS1_3genE10ELNS1_11target_archE1200ELNS1_3gpuE4ELNS1_3repE0EEENS1_44radix_sort_block_sort_config_static_selectorELNS0_4arch9wavefront6targetE0EEEvSF_
	.globl	_ZN7rocprim17ROCPRIM_400000_NS6detail17trampoline_kernelINS0_13kernel_configILj256ELj4ELj4294967295EEENS1_37radix_sort_block_sort_config_selectorImNS0_10empty_typeEEEZNS1_21radix_sort_block_sortIS4_Lb0EPKmPmPS6_SC_NS0_19identity_decomposerEEE10hipError_tT1_T2_T3_T4_jRjT5_jjP12ihipStream_tbEUlT_E_NS1_11comp_targetILNS1_3genE10ELNS1_11target_archE1200ELNS1_3gpuE4ELNS1_3repE0EEENS1_44radix_sort_block_sort_config_static_selectorELNS0_4arch9wavefront6targetE0EEEvSF_
	.p2align	8
	.type	_ZN7rocprim17ROCPRIM_400000_NS6detail17trampoline_kernelINS0_13kernel_configILj256ELj4ELj4294967295EEENS1_37radix_sort_block_sort_config_selectorImNS0_10empty_typeEEEZNS1_21radix_sort_block_sortIS4_Lb0EPKmPmPS6_SC_NS0_19identity_decomposerEEE10hipError_tT1_T2_T3_T4_jRjT5_jjP12ihipStream_tbEUlT_E_NS1_11comp_targetILNS1_3genE10ELNS1_11target_archE1200ELNS1_3gpuE4ELNS1_3repE0EEENS1_44radix_sort_block_sort_config_static_selectorELNS0_4arch9wavefront6targetE0EEEvSF_,@function
_ZN7rocprim17ROCPRIM_400000_NS6detail17trampoline_kernelINS0_13kernel_configILj256ELj4ELj4294967295EEENS1_37radix_sort_block_sort_config_selectorImNS0_10empty_typeEEEZNS1_21radix_sort_block_sortIS4_Lb0EPKmPmPS6_SC_NS0_19identity_decomposerEEE10hipError_tT1_T2_T3_T4_jRjT5_jjP12ihipStream_tbEUlT_E_NS1_11comp_targetILNS1_3genE10ELNS1_11target_archE1200ELNS1_3gpuE4ELNS1_3repE0EEENS1_44radix_sort_block_sort_config_static_selectorELNS0_4arch9wavefront6targetE0EEEvSF_: ; @_ZN7rocprim17ROCPRIM_400000_NS6detail17trampoline_kernelINS0_13kernel_configILj256ELj4ELj4294967295EEENS1_37radix_sort_block_sort_config_selectorImNS0_10empty_typeEEEZNS1_21radix_sort_block_sortIS4_Lb0EPKmPmPS6_SC_NS0_19identity_decomposerEEE10hipError_tT1_T2_T3_T4_jRjT5_jjP12ihipStream_tbEUlT_E_NS1_11comp_targetILNS1_3genE10ELNS1_11target_archE1200ELNS1_3gpuE4ELNS1_3repE0EEENS1_44radix_sort_block_sort_config_static_selectorELNS0_4arch9wavefront6targetE0EEEvSF_
; %bb.0:
	.section	.rodata,"a",@progbits
	.p2align	6, 0x0
	.amdhsa_kernel _ZN7rocprim17ROCPRIM_400000_NS6detail17trampoline_kernelINS0_13kernel_configILj256ELj4ELj4294967295EEENS1_37radix_sort_block_sort_config_selectorImNS0_10empty_typeEEEZNS1_21radix_sort_block_sortIS4_Lb0EPKmPmPS6_SC_NS0_19identity_decomposerEEE10hipError_tT1_T2_T3_T4_jRjT5_jjP12ihipStream_tbEUlT_E_NS1_11comp_targetILNS1_3genE10ELNS1_11target_archE1200ELNS1_3gpuE4ELNS1_3repE0EEENS1_44radix_sort_block_sort_config_static_selectorELNS0_4arch9wavefront6targetE0EEEvSF_
		.amdhsa_group_segment_fixed_size 0
		.amdhsa_private_segment_fixed_size 0
		.amdhsa_kernarg_size 48
		.amdhsa_user_sgpr_count 2
		.amdhsa_user_sgpr_dispatch_ptr 0
		.amdhsa_user_sgpr_queue_ptr 0
		.amdhsa_user_sgpr_kernarg_segment_ptr 1
		.amdhsa_user_sgpr_dispatch_id 0
		.amdhsa_user_sgpr_kernarg_preload_length 0
		.amdhsa_user_sgpr_kernarg_preload_offset 0
		.amdhsa_user_sgpr_private_segment_size 0
		.amdhsa_wavefront_size32 1
		.amdhsa_uses_dynamic_stack 0
		.amdhsa_enable_private_segment 0
		.amdhsa_system_sgpr_workgroup_id_x 1
		.amdhsa_system_sgpr_workgroup_id_y 0
		.amdhsa_system_sgpr_workgroup_id_z 0
		.amdhsa_system_sgpr_workgroup_info 0
		.amdhsa_system_vgpr_workitem_id 0
		.amdhsa_next_free_vgpr 1
		.amdhsa_next_free_sgpr 1
		.amdhsa_named_barrier_count 0
		.amdhsa_reserve_vcc 0
		.amdhsa_float_round_mode_32 0
		.amdhsa_float_round_mode_16_64 0
		.amdhsa_float_denorm_mode_32 3
		.amdhsa_float_denorm_mode_16_64 3
		.amdhsa_fp16_overflow 0
		.amdhsa_memory_ordered 1
		.amdhsa_forward_progress 1
		.amdhsa_inst_pref_size 0
		.amdhsa_round_robin_scheduling 0
		.amdhsa_exception_fp_ieee_invalid_op 0
		.amdhsa_exception_fp_denorm_src 0
		.amdhsa_exception_fp_ieee_div_zero 0
		.amdhsa_exception_fp_ieee_overflow 0
		.amdhsa_exception_fp_ieee_underflow 0
		.amdhsa_exception_fp_ieee_inexact 0
		.amdhsa_exception_int_div_zero 0
	.end_amdhsa_kernel
	.section	.text._ZN7rocprim17ROCPRIM_400000_NS6detail17trampoline_kernelINS0_13kernel_configILj256ELj4ELj4294967295EEENS1_37radix_sort_block_sort_config_selectorImNS0_10empty_typeEEEZNS1_21radix_sort_block_sortIS4_Lb0EPKmPmPS6_SC_NS0_19identity_decomposerEEE10hipError_tT1_T2_T3_T4_jRjT5_jjP12ihipStream_tbEUlT_E_NS1_11comp_targetILNS1_3genE10ELNS1_11target_archE1200ELNS1_3gpuE4ELNS1_3repE0EEENS1_44radix_sort_block_sort_config_static_selectorELNS0_4arch9wavefront6targetE0EEEvSF_,"axG",@progbits,_ZN7rocprim17ROCPRIM_400000_NS6detail17trampoline_kernelINS0_13kernel_configILj256ELj4ELj4294967295EEENS1_37radix_sort_block_sort_config_selectorImNS0_10empty_typeEEEZNS1_21radix_sort_block_sortIS4_Lb0EPKmPmPS6_SC_NS0_19identity_decomposerEEE10hipError_tT1_T2_T3_T4_jRjT5_jjP12ihipStream_tbEUlT_E_NS1_11comp_targetILNS1_3genE10ELNS1_11target_archE1200ELNS1_3gpuE4ELNS1_3repE0EEENS1_44radix_sort_block_sort_config_static_selectorELNS0_4arch9wavefront6targetE0EEEvSF_,comdat
.Lfunc_end2922:
	.size	_ZN7rocprim17ROCPRIM_400000_NS6detail17trampoline_kernelINS0_13kernel_configILj256ELj4ELj4294967295EEENS1_37radix_sort_block_sort_config_selectorImNS0_10empty_typeEEEZNS1_21radix_sort_block_sortIS4_Lb0EPKmPmPS6_SC_NS0_19identity_decomposerEEE10hipError_tT1_T2_T3_T4_jRjT5_jjP12ihipStream_tbEUlT_E_NS1_11comp_targetILNS1_3genE10ELNS1_11target_archE1200ELNS1_3gpuE4ELNS1_3repE0EEENS1_44radix_sort_block_sort_config_static_selectorELNS0_4arch9wavefront6targetE0EEEvSF_, .Lfunc_end2922-_ZN7rocprim17ROCPRIM_400000_NS6detail17trampoline_kernelINS0_13kernel_configILj256ELj4ELj4294967295EEENS1_37radix_sort_block_sort_config_selectorImNS0_10empty_typeEEEZNS1_21radix_sort_block_sortIS4_Lb0EPKmPmPS6_SC_NS0_19identity_decomposerEEE10hipError_tT1_T2_T3_T4_jRjT5_jjP12ihipStream_tbEUlT_E_NS1_11comp_targetILNS1_3genE10ELNS1_11target_archE1200ELNS1_3gpuE4ELNS1_3repE0EEENS1_44radix_sort_block_sort_config_static_selectorELNS0_4arch9wavefront6targetE0EEEvSF_
                                        ; -- End function
	.set _ZN7rocprim17ROCPRIM_400000_NS6detail17trampoline_kernelINS0_13kernel_configILj256ELj4ELj4294967295EEENS1_37radix_sort_block_sort_config_selectorImNS0_10empty_typeEEEZNS1_21radix_sort_block_sortIS4_Lb0EPKmPmPS6_SC_NS0_19identity_decomposerEEE10hipError_tT1_T2_T3_T4_jRjT5_jjP12ihipStream_tbEUlT_E_NS1_11comp_targetILNS1_3genE10ELNS1_11target_archE1200ELNS1_3gpuE4ELNS1_3repE0EEENS1_44radix_sort_block_sort_config_static_selectorELNS0_4arch9wavefront6targetE0EEEvSF_.num_vgpr, 0
	.set _ZN7rocprim17ROCPRIM_400000_NS6detail17trampoline_kernelINS0_13kernel_configILj256ELj4ELj4294967295EEENS1_37radix_sort_block_sort_config_selectorImNS0_10empty_typeEEEZNS1_21radix_sort_block_sortIS4_Lb0EPKmPmPS6_SC_NS0_19identity_decomposerEEE10hipError_tT1_T2_T3_T4_jRjT5_jjP12ihipStream_tbEUlT_E_NS1_11comp_targetILNS1_3genE10ELNS1_11target_archE1200ELNS1_3gpuE4ELNS1_3repE0EEENS1_44radix_sort_block_sort_config_static_selectorELNS0_4arch9wavefront6targetE0EEEvSF_.num_agpr, 0
	.set _ZN7rocprim17ROCPRIM_400000_NS6detail17trampoline_kernelINS0_13kernel_configILj256ELj4ELj4294967295EEENS1_37radix_sort_block_sort_config_selectorImNS0_10empty_typeEEEZNS1_21radix_sort_block_sortIS4_Lb0EPKmPmPS6_SC_NS0_19identity_decomposerEEE10hipError_tT1_T2_T3_T4_jRjT5_jjP12ihipStream_tbEUlT_E_NS1_11comp_targetILNS1_3genE10ELNS1_11target_archE1200ELNS1_3gpuE4ELNS1_3repE0EEENS1_44radix_sort_block_sort_config_static_selectorELNS0_4arch9wavefront6targetE0EEEvSF_.numbered_sgpr, 0
	.set _ZN7rocprim17ROCPRIM_400000_NS6detail17trampoline_kernelINS0_13kernel_configILj256ELj4ELj4294967295EEENS1_37radix_sort_block_sort_config_selectorImNS0_10empty_typeEEEZNS1_21radix_sort_block_sortIS4_Lb0EPKmPmPS6_SC_NS0_19identity_decomposerEEE10hipError_tT1_T2_T3_T4_jRjT5_jjP12ihipStream_tbEUlT_E_NS1_11comp_targetILNS1_3genE10ELNS1_11target_archE1200ELNS1_3gpuE4ELNS1_3repE0EEENS1_44radix_sort_block_sort_config_static_selectorELNS0_4arch9wavefront6targetE0EEEvSF_.num_named_barrier, 0
	.set _ZN7rocprim17ROCPRIM_400000_NS6detail17trampoline_kernelINS0_13kernel_configILj256ELj4ELj4294967295EEENS1_37radix_sort_block_sort_config_selectorImNS0_10empty_typeEEEZNS1_21radix_sort_block_sortIS4_Lb0EPKmPmPS6_SC_NS0_19identity_decomposerEEE10hipError_tT1_T2_T3_T4_jRjT5_jjP12ihipStream_tbEUlT_E_NS1_11comp_targetILNS1_3genE10ELNS1_11target_archE1200ELNS1_3gpuE4ELNS1_3repE0EEENS1_44radix_sort_block_sort_config_static_selectorELNS0_4arch9wavefront6targetE0EEEvSF_.private_seg_size, 0
	.set _ZN7rocprim17ROCPRIM_400000_NS6detail17trampoline_kernelINS0_13kernel_configILj256ELj4ELj4294967295EEENS1_37radix_sort_block_sort_config_selectorImNS0_10empty_typeEEEZNS1_21radix_sort_block_sortIS4_Lb0EPKmPmPS6_SC_NS0_19identity_decomposerEEE10hipError_tT1_T2_T3_T4_jRjT5_jjP12ihipStream_tbEUlT_E_NS1_11comp_targetILNS1_3genE10ELNS1_11target_archE1200ELNS1_3gpuE4ELNS1_3repE0EEENS1_44radix_sort_block_sort_config_static_selectorELNS0_4arch9wavefront6targetE0EEEvSF_.uses_vcc, 0
	.set _ZN7rocprim17ROCPRIM_400000_NS6detail17trampoline_kernelINS0_13kernel_configILj256ELj4ELj4294967295EEENS1_37radix_sort_block_sort_config_selectorImNS0_10empty_typeEEEZNS1_21radix_sort_block_sortIS4_Lb0EPKmPmPS6_SC_NS0_19identity_decomposerEEE10hipError_tT1_T2_T3_T4_jRjT5_jjP12ihipStream_tbEUlT_E_NS1_11comp_targetILNS1_3genE10ELNS1_11target_archE1200ELNS1_3gpuE4ELNS1_3repE0EEENS1_44radix_sort_block_sort_config_static_selectorELNS0_4arch9wavefront6targetE0EEEvSF_.uses_flat_scratch, 0
	.set _ZN7rocprim17ROCPRIM_400000_NS6detail17trampoline_kernelINS0_13kernel_configILj256ELj4ELj4294967295EEENS1_37radix_sort_block_sort_config_selectorImNS0_10empty_typeEEEZNS1_21radix_sort_block_sortIS4_Lb0EPKmPmPS6_SC_NS0_19identity_decomposerEEE10hipError_tT1_T2_T3_T4_jRjT5_jjP12ihipStream_tbEUlT_E_NS1_11comp_targetILNS1_3genE10ELNS1_11target_archE1200ELNS1_3gpuE4ELNS1_3repE0EEENS1_44radix_sort_block_sort_config_static_selectorELNS0_4arch9wavefront6targetE0EEEvSF_.has_dyn_sized_stack, 0
	.set _ZN7rocprim17ROCPRIM_400000_NS6detail17trampoline_kernelINS0_13kernel_configILj256ELj4ELj4294967295EEENS1_37radix_sort_block_sort_config_selectorImNS0_10empty_typeEEEZNS1_21radix_sort_block_sortIS4_Lb0EPKmPmPS6_SC_NS0_19identity_decomposerEEE10hipError_tT1_T2_T3_T4_jRjT5_jjP12ihipStream_tbEUlT_E_NS1_11comp_targetILNS1_3genE10ELNS1_11target_archE1200ELNS1_3gpuE4ELNS1_3repE0EEENS1_44radix_sort_block_sort_config_static_selectorELNS0_4arch9wavefront6targetE0EEEvSF_.has_recursion, 0
	.set _ZN7rocprim17ROCPRIM_400000_NS6detail17trampoline_kernelINS0_13kernel_configILj256ELj4ELj4294967295EEENS1_37radix_sort_block_sort_config_selectorImNS0_10empty_typeEEEZNS1_21radix_sort_block_sortIS4_Lb0EPKmPmPS6_SC_NS0_19identity_decomposerEEE10hipError_tT1_T2_T3_T4_jRjT5_jjP12ihipStream_tbEUlT_E_NS1_11comp_targetILNS1_3genE10ELNS1_11target_archE1200ELNS1_3gpuE4ELNS1_3repE0EEENS1_44radix_sort_block_sort_config_static_selectorELNS0_4arch9wavefront6targetE0EEEvSF_.has_indirect_call, 0
	.section	.AMDGPU.csdata,"",@progbits
; Kernel info:
; codeLenInByte = 0
; TotalNumSgprs: 0
; NumVgprs: 0
; ScratchSize: 0
; MemoryBound: 0
; FloatMode: 240
; IeeeMode: 1
; LDSByteSize: 0 bytes/workgroup (compile time only)
; SGPRBlocks: 0
; VGPRBlocks: 0
; NumSGPRsForWavesPerEU: 1
; NumVGPRsForWavesPerEU: 1
; NamedBarCnt: 0
; Occupancy: 16
; WaveLimiterHint : 0
; COMPUTE_PGM_RSRC2:SCRATCH_EN: 0
; COMPUTE_PGM_RSRC2:USER_SGPR: 2
; COMPUTE_PGM_RSRC2:TRAP_HANDLER: 0
; COMPUTE_PGM_RSRC2:TGID_X_EN: 1
; COMPUTE_PGM_RSRC2:TGID_Y_EN: 0
; COMPUTE_PGM_RSRC2:TGID_Z_EN: 0
; COMPUTE_PGM_RSRC2:TIDIG_COMP_CNT: 0
	.section	.text._ZN7rocprim17ROCPRIM_400000_NS6detail17trampoline_kernelINS0_13kernel_configILj256ELj4ELj4294967295EEENS1_37radix_sort_block_sort_config_selectorImNS0_10empty_typeEEEZNS1_21radix_sort_block_sortIS4_Lb0EPKmPmPS6_SC_NS0_19identity_decomposerEEE10hipError_tT1_T2_T3_T4_jRjT5_jjP12ihipStream_tbEUlT_E_NS1_11comp_targetILNS1_3genE9ELNS1_11target_archE1100ELNS1_3gpuE3ELNS1_3repE0EEENS1_44radix_sort_block_sort_config_static_selectorELNS0_4arch9wavefront6targetE0EEEvSF_,"axG",@progbits,_ZN7rocprim17ROCPRIM_400000_NS6detail17trampoline_kernelINS0_13kernel_configILj256ELj4ELj4294967295EEENS1_37radix_sort_block_sort_config_selectorImNS0_10empty_typeEEEZNS1_21radix_sort_block_sortIS4_Lb0EPKmPmPS6_SC_NS0_19identity_decomposerEEE10hipError_tT1_T2_T3_T4_jRjT5_jjP12ihipStream_tbEUlT_E_NS1_11comp_targetILNS1_3genE9ELNS1_11target_archE1100ELNS1_3gpuE3ELNS1_3repE0EEENS1_44radix_sort_block_sort_config_static_selectorELNS0_4arch9wavefront6targetE0EEEvSF_,comdat
	.protected	_ZN7rocprim17ROCPRIM_400000_NS6detail17trampoline_kernelINS0_13kernel_configILj256ELj4ELj4294967295EEENS1_37radix_sort_block_sort_config_selectorImNS0_10empty_typeEEEZNS1_21radix_sort_block_sortIS4_Lb0EPKmPmPS6_SC_NS0_19identity_decomposerEEE10hipError_tT1_T2_T3_T4_jRjT5_jjP12ihipStream_tbEUlT_E_NS1_11comp_targetILNS1_3genE9ELNS1_11target_archE1100ELNS1_3gpuE3ELNS1_3repE0EEENS1_44radix_sort_block_sort_config_static_selectorELNS0_4arch9wavefront6targetE0EEEvSF_ ; -- Begin function _ZN7rocprim17ROCPRIM_400000_NS6detail17trampoline_kernelINS0_13kernel_configILj256ELj4ELj4294967295EEENS1_37radix_sort_block_sort_config_selectorImNS0_10empty_typeEEEZNS1_21radix_sort_block_sortIS4_Lb0EPKmPmPS6_SC_NS0_19identity_decomposerEEE10hipError_tT1_T2_T3_T4_jRjT5_jjP12ihipStream_tbEUlT_E_NS1_11comp_targetILNS1_3genE9ELNS1_11target_archE1100ELNS1_3gpuE3ELNS1_3repE0EEENS1_44radix_sort_block_sort_config_static_selectorELNS0_4arch9wavefront6targetE0EEEvSF_
	.globl	_ZN7rocprim17ROCPRIM_400000_NS6detail17trampoline_kernelINS0_13kernel_configILj256ELj4ELj4294967295EEENS1_37radix_sort_block_sort_config_selectorImNS0_10empty_typeEEEZNS1_21radix_sort_block_sortIS4_Lb0EPKmPmPS6_SC_NS0_19identity_decomposerEEE10hipError_tT1_T2_T3_T4_jRjT5_jjP12ihipStream_tbEUlT_E_NS1_11comp_targetILNS1_3genE9ELNS1_11target_archE1100ELNS1_3gpuE3ELNS1_3repE0EEENS1_44radix_sort_block_sort_config_static_selectorELNS0_4arch9wavefront6targetE0EEEvSF_
	.p2align	8
	.type	_ZN7rocprim17ROCPRIM_400000_NS6detail17trampoline_kernelINS0_13kernel_configILj256ELj4ELj4294967295EEENS1_37radix_sort_block_sort_config_selectorImNS0_10empty_typeEEEZNS1_21radix_sort_block_sortIS4_Lb0EPKmPmPS6_SC_NS0_19identity_decomposerEEE10hipError_tT1_T2_T3_T4_jRjT5_jjP12ihipStream_tbEUlT_E_NS1_11comp_targetILNS1_3genE9ELNS1_11target_archE1100ELNS1_3gpuE3ELNS1_3repE0EEENS1_44radix_sort_block_sort_config_static_selectorELNS0_4arch9wavefront6targetE0EEEvSF_,@function
_ZN7rocprim17ROCPRIM_400000_NS6detail17trampoline_kernelINS0_13kernel_configILj256ELj4ELj4294967295EEENS1_37radix_sort_block_sort_config_selectorImNS0_10empty_typeEEEZNS1_21radix_sort_block_sortIS4_Lb0EPKmPmPS6_SC_NS0_19identity_decomposerEEE10hipError_tT1_T2_T3_T4_jRjT5_jjP12ihipStream_tbEUlT_E_NS1_11comp_targetILNS1_3genE9ELNS1_11target_archE1100ELNS1_3gpuE3ELNS1_3repE0EEENS1_44radix_sort_block_sort_config_static_selectorELNS0_4arch9wavefront6targetE0EEEvSF_: ; @_ZN7rocprim17ROCPRIM_400000_NS6detail17trampoline_kernelINS0_13kernel_configILj256ELj4ELj4294967295EEENS1_37radix_sort_block_sort_config_selectorImNS0_10empty_typeEEEZNS1_21radix_sort_block_sortIS4_Lb0EPKmPmPS6_SC_NS0_19identity_decomposerEEE10hipError_tT1_T2_T3_T4_jRjT5_jjP12ihipStream_tbEUlT_E_NS1_11comp_targetILNS1_3genE9ELNS1_11target_archE1100ELNS1_3gpuE3ELNS1_3repE0EEENS1_44radix_sort_block_sort_config_static_selectorELNS0_4arch9wavefront6targetE0EEEvSF_
; %bb.0:
	.section	.rodata,"a",@progbits
	.p2align	6, 0x0
	.amdhsa_kernel _ZN7rocprim17ROCPRIM_400000_NS6detail17trampoline_kernelINS0_13kernel_configILj256ELj4ELj4294967295EEENS1_37radix_sort_block_sort_config_selectorImNS0_10empty_typeEEEZNS1_21radix_sort_block_sortIS4_Lb0EPKmPmPS6_SC_NS0_19identity_decomposerEEE10hipError_tT1_T2_T3_T4_jRjT5_jjP12ihipStream_tbEUlT_E_NS1_11comp_targetILNS1_3genE9ELNS1_11target_archE1100ELNS1_3gpuE3ELNS1_3repE0EEENS1_44radix_sort_block_sort_config_static_selectorELNS0_4arch9wavefront6targetE0EEEvSF_
		.amdhsa_group_segment_fixed_size 0
		.amdhsa_private_segment_fixed_size 0
		.amdhsa_kernarg_size 48
		.amdhsa_user_sgpr_count 2
		.amdhsa_user_sgpr_dispatch_ptr 0
		.amdhsa_user_sgpr_queue_ptr 0
		.amdhsa_user_sgpr_kernarg_segment_ptr 1
		.amdhsa_user_sgpr_dispatch_id 0
		.amdhsa_user_sgpr_kernarg_preload_length 0
		.amdhsa_user_sgpr_kernarg_preload_offset 0
		.amdhsa_user_sgpr_private_segment_size 0
		.amdhsa_wavefront_size32 1
		.amdhsa_uses_dynamic_stack 0
		.amdhsa_enable_private_segment 0
		.amdhsa_system_sgpr_workgroup_id_x 1
		.amdhsa_system_sgpr_workgroup_id_y 0
		.amdhsa_system_sgpr_workgroup_id_z 0
		.amdhsa_system_sgpr_workgroup_info 0
		.amdhsa_system_vgpr_workitem_id 0
		.amdhsa_next_free_vgpr 1
		.amdhsa_next_free_sgpr 1
		.amdhsa_named_barrier_count 0
		.amdhsa_reserve_vcc 0
		.amdhsa_float_round_mode_32 0
		.amdhsa_float_round_mode_16_64 0
		.amdhsa_float_denorm_mode_32 3
		.amdhsa_float_denorm_mode_16_64 3
		.amdhsa_fp16_overflow 0
		.amdhsa_memory_ordered 1
		.amdhsa_forward_progress 1
		.amdhsa_inst_pref_size 0
		.amdhsa_round_robin_scheduling 0
		.amdhsa_exception_fp_ieee_invalid_op 0
		.amdhsa_exception_fp_denorm_src 0
		.amdhsa_exception_fp_ieee_div_zero 0
		.amdhsa_exception_fp_ieee_overflow 0
		.amdhsa_exception_fp_ieee_underflow 0
		.amdhsa_exception_fp_ieee_inexact 0
		.amdhsa_exception_int_div_zero 0
	.end_amdhsa_kernel
	.section	.text._ZN7rocprim17ROCPRIM_400000_NS6detail17trampoline_kernelINS0_13kernel_configILj256ELj4ELj4294967295EEENS1_37radix_sort_block_sort_config_selectorImNS0_10empty_typeEEEZNS1_21radix_sort_block_sortIS4_Lb0EPKmPmPS6_SC_NS0_19identity_decomposerEEE10hipError_tT1_T2_T3_T4_jRjT5_jjP12ihipStream_tbEUlT_E_NS1_11comp_targetILNS1_3genE9ELNS1_11target_archE1100ELNS1_3gpuE3ELNS1_3repE0EEENS1_44radix_sort_block_sort_config_static_selectorELNS0_4arch9wavefront6targetE0EEEvSF_,"axG",@progbits,_ZN7rocprim17ROCPRIM_400000_NS6detail17trampoline_kernelINS0_13kernel_configILj256ELj4ELj4294967295EEENS1_37radix_sort_block_sort_config_selectorImNS0_10empty_typeEEEZNS1_21radix_sort_block_sortIS4_Lb0EPKmPmPS6_SC_NS0_19identity_decomposerEEE10hipError_tT1_T2_T3_T4_jRjT5_jjP12ihipStream_tbEUlT_E_NS1_11comp_targetILNS1_3genE9ELNS1_11target_archE1100ELNS1_3gpuE3ELNS1_3repE0EEENS1_44radix_sort_block_sort_config_static_selectorELNS0_4arch9wavefront6targetE0EEEvSF_,comdat
.Lfunc_end2923:
	.size	_ZN7rocprim17ROCPRIM_400000_NS6detail17trampoline_kernelINS0_13kernel_configILj256ELj4ELj4294967295EEENS1_37radix_sort_block_sort_config_selectorImNS0_10empty_typeEEEZNS1_21radix_sort_block_sortIS4_Lb0EPKmPmPS6_SC_NS0_19identity_decomposerEEE10hipError_tT1_T2_T3_T4_jRjT5_jjP12ihipStream_tbEUlT_E_NS1_11comp_targetILNS1_3genE9ELNS1_11target_archE1100ELNS1_3gpuE3ELNS1_3repE0EEENS1_44radix_sort_block_sort_config_static_selectorELNS0_4arch9wavefront6targetE0EEEvSF_, .Lfunc_end2923-_ZN7rocprim17ROCPRIM_400000_NS6detail17trampoline_kernelINS0_13kernel_configILj256ELj4ELj4294967295EEENS1_37radix_sort_block_sort_config_selectorImNS0_10empty_typeEEEZNS1_21radix_sort_block_sortIS4_Lb0EPKmPmPS6_SC_NS0_19identity_decomposerEEE10hipError_tT1_T2_T3_T4_jRjT5_jjP12ihipStream_tbEUlT_E_NS1_11comp_targetILNS1_3genE9ELNS1_11target_archE1100ELNS1_3gpuE3ELNS1_3repE0EEENS1_44radix_sort_block_sort_config_static_selectorELNS0_4arch9wavefront6targetE0EEEvSF_
                                        ; -- End function
	.set _ZN7rocprim17ROCPRIM_400000_NS6detail17trampoline_kernelINS0_13kernel_configILj256ELj4ELj4294967295EEENS1_37radix_sort_block_sort_config_selectorImNS0_10empty_typeEEEZNS1_21radix_sort_block_sortIS4_Lb0EPKmPmPS6_SC_NS0_19identity_decomposerEEE10hipError_tT1_T2_T3_T4_jRjT5_jjP12ihipStream_tbEUlT_E_NS1_11comp_targetILNS1_3genE9ELNS1_11target_archE1100ELNS1_3gpuE3ELNS1_3repE0EEENS1_44radix_sort_block_sort_config_static_selectorELNS0_4arch9wavefront6targetE0EEEvSF_.num_vgpr, 0
	.set _ZN7rocprim17ROCPRIM_400000_NS6detail17trampoline_kernelINS0_13kernel_configILj256ELj4ELj4294967295EEENS1_37radix_sort_block_sort_config_selectorImNS0_10empty_typeEEEZNS1_21radix_sort_block_sortIS4_Lb0EPKmPmPS6_SC_NS0_19identity_decomposerEEE10hipError_tT1_T2_T3_T4_jRjT5_jjP12ihipStream_tbEUlT_E_NS1_11comp_targetILNS1_3genE9ELNS1_11target_archE1100ELNS1_3gpuE3ELNS1_3repE0EEENS1_44radix_sort_block_sort_config_static_selectorELNS0_4arch9wavefront6targetE0EEEvSF_.num_agpr, 0
	.set _ZN7rocprim17ROCPRIM_400000_NS6detail17trampoline_kernelINS0_13kernel_configILj256ELj4ELj4294967295EEENS1_37radix_sort_block_sort_config_selectorImNS0_10empty_typeEEEZNS1_21radix_sort_block_sortIS4_Lb0EPKmPmPS6_SC_NS0_19identity_decomposerEEE10hipError_tT1_T2_T3_T4_jRjT5_jjP12ihipStream_tbEUlT_E_NS1_11comp_targetILNS1_3genE9ELNS1_11target_archE1100ELNS1_3gpuE3ELNS1_3repE0EEENS1_44radix_sort_block_sort_config_static_selectorELNS0_4arch9wavefront6targetE0EEEvSF_.numbered_sgpr, 0
	.set _ZN7rocprim17ROCPRIM_400000_NS6detail17trampoline_kernelINS0_13kernel_configILj256ELj4ELj4294967295EEENS1_37radix_sort_block_sort_config_selectorImNS0_10empty_typeEEEZNS1_21radix_sort_block_sortIS4_Lb0EPKmPmPS6_SC_NS0_19identity_decomposerEEE10hipError_tT1_T2_T3_T4_jRjT5_jjP12ihipStream_tbEUlT_E_NS1_11comp_targetILNS1_3genE9ELNS1_11target_archE1100ELNS1_3gpuE3ELNS1_3repE0EEENS1_44radix_sort_block_sort_config_static_selectorELNS0_4arch9wavefront6targetE0EEEvSF_.num_named_barrier, 0
	.set _ZN7rocprim17ROCPRIM_400000_NS6detail17trampoline_kernelINS0_13kernel_configILj256ELj4ELj4294967295EEENS1_37radix_sort_block_sort_config_selectorImNS0_10empty_typeEEEZNS1_21radix_sort_block_sortIS4_Lb0EPKmPmPS6_SC_NS0_19identity_decomposerEEE10hipError_tT1_T2_T3_T4_jRjT5_jjP12ihipStream_tbEUlT_E_NS1_11comp_targetILNS1_3genE9ELNS1_11target_archE1100ELNS1_3gpuE3ELNS1_3repE0EEENS1_44radix_sort_block_sort_config_static_selectorELNS0_4arch9wavefront6targetE0EEEvSF_.private_seg_size, 0
	.set _ZN7rocprim17ROCPRIM_400000_NS6detail17trampoline_kernelINS0_13kernel_configILj256ELj4ELj4294967295EEENS1_37radix_sort_block_sort_config_selectorImNS0_10empty_typeEEEZNS1_21radix_sort_block_sortIS4_Lb0EPKmPmPS6_SC_NS0_19identity_decomposerEEE10hipError_tT1_T2_T3_T4_jRjT5_jjP12ihipStream_tbEUlT_E_NS1_11comp_targetILNS1_3genE9ELNS1_11target_archE1100ELNS1_3gpuE3ELNS1_3repE0EEENS1_44radix_sort_block_sort_config_static_selectorELNS0_4arch9wavefront6targetE0EEEvSF_.uses_vcc, 0
	.set _ZN7rocprim17ROCPRIM_400000_NS6detail17trampoline_kernelINS0_13kernel_configILj256ELj4ELj4294967295EEENS1_37radix_sort_block_sort_config_selectorImNS0_10empty_typeEEEZNS1_21radix_sort_block_sortIS4_Lb0EPKmPmPS6_SC_NS0_19identity_decomposerEEE10hipError_tT1_T2_T3_T4_jRjT5_jjP12ihipStream_tbEUlT_E_NS1_11comp_targetILNS1_3genE9ELNS1_11target_archE1100ELNS1_3gpuE3ELNS1_3repE0EEENS1_44radix_sort_block_sort_config_static_selectorELNS0_4arch9wavefront6targetE0EEEvSF_.uses_flat_scratch, 0
	.set _ZN7rocprim17ROCPRIM_400000_NS6detail17trampoline_kernelINS0_13kernel_configILj256ELj4ELj4294967295EEENS1_37radix_sort_block_sort_config_selectorImNS0_10empty_typeEEEZNS1_21radix_sort_block_sortIS4_Lb0EPKmPmPS6_SC_NS0_19identity_decomposerEEE10hipError_tT1_T2_T3_T4_jRjT5_jjP12ihipStream_tbEUlT_E_NS1_11comp_targetILNS1_3genE9ELNS1_11target_archE1100ELNS1_3gpuE3ELNS1_3repE0EEENS1_44radix_sort_block_sort_config_static_selectorELNS0_4arch9wavefront6targetE0EEEvSF_.has_dyn_sized_stack, 0
	.set _ZN7rocprim17ROCPRIM_400000_NS6detail17trampoline_kernelINS0_13kernel_configILj256ELj4ELj4294967295EEENS1_37radix_sort_block_sort_config_selectorImNS0_10empty_typeEEEZNS1_21radix_sort_block_sortIS4_Lb0EPKmPmPS6_SC_NS0_19identity_decomposerEEE10hipError_tT1_T2_T3_T4_jRjT5_jjP12ihipStream_tbEUlT_E_NS1_11comp_targetILNS1_3genE9ELNS1_11target_archE1100ELNS1_3gpuE3ELNS1_3repE0EEENS1_44radix_sort_block_sort_config_static_selectorELNS0_4arch9wavefront6targetE0EEEvSF_.has_recursion, 0
	.set _ZN7rocprim17ROCPRIM_400000_NS6detail17trampoline_kernelINS0_13kernel_configILj256ELj4ELj4294967295EEENS1_37radix_sort_block_sort_config_selectorImNS0_10empty_typeEEEZNS1_21radix_sort_block_sortIS4_Lb0EPKmPmPS6_SC_NS0_19identity_decomposerEEE10hipError_tT1_T2_T3_T4_jRjT5_jjP12ihipStream_tbEUlT_E_NS1_11comp_targetILNS1_3genE9ELNS1_11target_archE1100ELNS1_3gpuE3ELNS1_3repE0EEENS1_44radix_sort_block_sort_config_static_selectorELNS0_4arch9wavefront6targetE0EEEvSF_.has_indirect_call, 0
	.section	.AMDGPU.csdata,"",@progbits
; Kernel info:
; codeLenInByte = 0
; TotalNumSgprs: 0
; NumVgprs: 0
; ScratchSize: 0
; MemoryBound: 0
; FloatMode: 240
; IeeeMode: 1
; LDSByteSize: 0 bytes/workgroup (compile time only)
; SGPRBlocks: 0
; VGPRBlocks: 0
; NumSGPRsForWavesPerEU: 1
; NumVGPRsForWavesPerEU: 1
; NamedBarCnt: 0
; Occupancy: 16
; WaveLimiterHint : 0
; COMPUTE_PGM_RSRC2:SCRATCH_EN: 0
; COMPUTE_PGM_RSRC2:USER_SGPR: 2
; COMPUTE_PGM_RSRC2:TRAP_HANDLER: 0
; COMPUTE_PGM_RSRC2:TGID_X_EN: 1
; COMPUTE_PGM_RSRC2:TGID_Y_EN: 0
; COMPUTE_PGM_RSRC2:TGID_Z_EN: 0
; COMPUTE_PGM_RSRC2:TIDIG_COMP_CNT: 0
	.section	.text._ZN7rocprim17ROCPRIM_400000_NS6detail17trampoline_kernelINS0_13kernel_configILj256ELj4ELj4294967295EEENS1_37radix_sort_block_sort_config_selectorImNS0_10empty_typeEEEZNS1_21radix_sort_block_sortIS4_Lb0EPKmPmPS6_SC_NS0_19identity_decomposerEEE10hipError_tT1_T2_T3_T4_jRjT5_jjP12ihipStream_tbEUlT_E_NS1_11comp_targetILNS1_3genE8ELNS1_11target_archE1030ELNS1_3gpuE2ELNS1_3repE0EEENS1_44radix_sort_block_sort_config_static_selectorELNS0_4arch9wavefront6targetE0EEEvSF_,"axG",@progbits,_ZN7rocprim17ROCPRIM_400000_NS6detail17trampoline_kernelINS0_13kernel_configILj256ELj4ELj4294967295EEENS1_37radix_sort_block_sort_config_selectorImNS0_10empty_typeEEEZNS1_21radix_sort_block_sortIS4_Lb0EPKmPmPS6_SC_NS0_19identity_decomposerEEE10hipError_tT1_T2_T3_T4_jRjT5_jjP12ihipStream_tbEUlT_E_NS1_11comp_targetILNS1_3genE8ELNS1_11target_archE1030ELNS1_3gpuE2ELNS1_3repE0EEENS1_44radix_sort_block_sort_config_static_selectorELNS0_4arch9wavefront6targetE0EEEvSF_,comdat
	.protected	_ZN7rocprim17ROCPRIM_400000_NS6detail17trampoline_kernelINS0_13kernel_configILj256ELj4ELj4294967295EEENS1_37radix_sort_block_sort_config_selectorImNS0_10empty_typeEEEZNS1_21radix_sort_block_sortIS4_Lb0EPKmPmPS6_SC_NS0_19identity_decomposerEEE10hipError_tT1_T2_T3_T4_jRjT5_jjP12ihipStream_tbEUlT_E_NS1_11comp_targetILNS1_3genE8ELNS1_11target_archE1030ELNS1_3gpuE2ELNS1_3repE0EEENS1_44radix_sort_block_sort_config_static_selectorELNS0_4arch9wavefront6targetE0EEEvSF_ ; -- Begin function _ZN7rocprim17ROCPRIM_400000_NS6detail17trampoline_kernelINS0_13kernel_configILj256ELj4ELj4294967295EEENS1_37radix_sort_block_sort_config_selectorImNS0_10empty_typeEEEZNS1_21radix_sort_block_sortIS4_Lb0EPKmPmPS6_SC_NS0_19identity_decomposerEEE10hipError_tT1_T2_T3_T4_jRjT5_jjP12ihipStream_tbEUlT_E_NS1_11comp_targetILNS1_3genE8ELNS1_11target_archE1030ELNS1_3gpuE2ELNS1_3repE0EEENS1_44radix_sort_block_sort_config_static_selectorELNS0_4arch9wavefront6targetE0EEEvSF_
	.globl	_ZN7rocprim17ROCPRIM_400000_NS6detail17trampoline_kernelINS0_13kernel_configILj256ELj4ELj4294967295EEENS1_37radix_sort_block_sort_config_selectorImNS0_10empty_typeEEEZNS1_21radix_sort_block_sortIS4_Lb0EPKmPmPS6_SC_NS0_19identity_decomposerEEE10hipError_tT1_T2_T3_T4_jRjT5_jjP12ihipStream_tbEUlT_E_NS1_11comp_targetILNS1_3genE8ELNS1_11target_archE1030ELNS1_3gpuE2ELNS1_3repE0EEENS1_44radix_sort_block_sort_config_static_selectorELNS0_4arch9wavefront6targetE0EEEvSF_
	.p2align	8
	.type	_ZN7rocprim17ROCPRIM_400000_NS6detail17trampoline_kernelINS0_13kernel_configILj256ELj4ELj4294967295EEENS1_37radix_sort_block_sort_config_selectorImNS0_10empty_typeEEEZNS1_21radix_sort_block_sortIS4_Lb0EPKmPmPS6_SC_NS0_19identity_decomposerEEE10hipError_tT1_T2_T3_T4_jRjT5_jjP12ihipStream_tbEUlT_E_NS1_11comp_targetILNS1_3genE8ELNS1_11target_archE1030ELNS1_3gpuE2ELNS1_3repE0EEENS1_44radix_sort_block_sort_config_static_selectorELNS0_4arch9wavefront6targetE0EEEvSF_,@function
_ZN7rocprim17ROCPRIM_400000_NS6detail17trampoline_kernelINS0_13kernel_configILj256ELj4ELj4294967295EEENS1_37radix_sort_block_sort_config_selectorImNS0_10empty_typeEEEZNS1_21radix_sort_block_sortIS4_Lb0EPKmPmPS6_SC_NS0_19identity_decomposerEEE10hipError_tT1_T2_T3_T4_jRjT5_jjP12ihipStream_tbEUlT_E_NS1_11comp_targetILNS1_3genE8ELNS1_11target_archE1030ELNS1_3gpuE2ELNS1_3repE0EEENS1_44radix_sort_block_sort_config_static_selectorELNS0_4arch9wavefront6targetE0EEEvSF_: ; @_ZN7rocprim17ROCPRIM_400000_NS6detail17trampoline_kernelINS0_13kernel_configILj256ELj4ELj4294967295EEENS1_37radix_sort_block_sort_config_selectorImNS0_10empty_typeEEEZNS1_21radix_sort_block_sortIS4_Lb0EPKmPmPS6_SC_NS0_19identity_decomposerEEE10hipError_tT1_T2_T3_T4_jRjT5_jjP12ihipStream_tbEUlT_E_NS1_11comp_targetILNS1_3genE8ELNS1_11target_archE1030ELNS1_3gpuE2ELNS1_3repE0EEENS1_44radix_sort_block_sort_config_static_selectorELNS0_4arch9wavefront6targetE0EEEvSF_
; %bb.0:
	.section	.rodata,"a",@progbits
	.p2align	6, 0x0
	.amdhsa_kernel _ZN7rocprim17ROCPRIM_400000_NS6detail17trampoline_kernelINS0_13kernel_configILj256ELj4ELj4294967295EEENS1_37radix_sort_block_sort_config_selectorImNS0_10empty_typeEEEZNS1_21radix_sort_block_sortIS4_Lb0EPKmPmPS6_SC_NS0_19identity_decomposerEEE10hipError_tT1_T2_T3_T4_jRjT5_jjP12ihipStream_tbEUlT_E_NS1_11comp_targetILNS1_3genE8ELNS1_11target_archE1030ELNS1_3gpuE2ELNS1_3repE0EEENS1_44radix_sort_block_sort_config_static_selectorELNS0_4arch9wavefront6targetE0EEEvSF_
		.amdhsa_group_segment_fixed_size 0
		.amdhsa_private_segment_fixed_size 0
		.amdhsa_kernarg_size 48
		.amdhsa_user_sgpr_count 2
		.amdhsa_user_sgpr_dispatch_ptr 0
		.amdhsa_user_sgpr_queue_ptr 0
		.amdhsa_user_sgpr_kernarg_segment_ptr 1
		.amdhsa_user_sgpr_dispatch_id 0
		.amdhsa_user_sgpr_kernarg_preload_length 0
		.amdhsa_user_sgpr_kernarg_preload_offset 0
		.amdhsa_user_sgpr_private_segment_size 0
		.amdhsa_wavefront_size32 1
		.amdhsa_uses_dynamic_stack 0
		.amdhsa_enable_private_segment 0
		.amdhsa_system_sgpr_workgroup_id_x 1
		.amdhsa_system_sgpr_workgroup_id_y 0
		.amdhsa_system_sgpr_workgroup_id_z 0
		.amdhsa_system_sgpr_workgroup_info 0
		.amdhsa_system_vgpr_workitem_id 0
		.amdhsa_next_free_vgpr 1
		.amdhsa_next_free_sgpr 1
		.amdhsa_named_barrier_count 0
		.amdhsa_reserve_vcc 0
		.amdhsa_float_round_mode_32 0
		.amdhsa_float_round_mode_16_64 0
		.amdhsa_float_denorm_mode_32 3
		.amdhsa_float_denorm_mode_16_64 3
		.amdhsa_fp16_overflow 0
		.amdhsa_memory_ordered 1
		.amdhsa_forward_progress 1
		.amdhsa_inst_pref_size 0
		.amdhsa_round_robin_scheduling 0
		.amdhsa_exception_fp_ieee_invalid_op 0
		.amdhsa_exception_fp_denorm_src 0
		.amdhsa_exception_fp_ieee_div_zero 0
		.amdhsa_exception_fp_ieee_overflow 0
		.amdhsa_exception_fp_ieee_underflow 0
		.amdhsa_exception_fp_ieee_inexact 0
		.amdhsa_exception_int_div_zero 0
	.end_amdhsa_kernel
	.section	.text._ZN7rocprim17ROCPRIM_400000_NS6detail17trampoline_kernelINS0_13kernel_configILj256ELj4ELj4294967295EEENS1_37radix_sort_block_sort_config_selectorImNS0_10empty_typeEEEZNS1_21radix_sort_block_sortIS4_Lb0EPKmPmPS6_SC_NS0_19identity_decomposerEEE10hipError_tT1_T2_T3_T4_jRjT5_jjP12ihipStream_tbEUlT_E_NS1_11comp_targetILNS1_3genE8ELNS1_11target_archE1030ELNS1_3gpuE2ELNS1_3repE0EEENS1_44radix_sort_block_sort_config_static_selectorELNS0_4arch9wavefront6targetE0EEEvSF_,"axG",@progbits,_ZN7rocprim17ROCPRIM_400000_NS6detail17trampoline_kernelINS0_13kernel_configILj256ELj4ELj4294967295EEENS1_37radix_sort_block_sort_config_selectorImNS0_10empty_typeEEEZNS1_21radix_sort_block_sortIS4_Lb0EPKmPmPS6_SC_NS0_19identity_decomposerEEE10hipError_tT1_T2_T3_T4_jRjT5_jjP12ihipStream_tbEUlT_E_NS1_11comp_targetILNS1_3genE8ELNS1_11target_archE1030ELNS1_3gpuE2ELNS1_3repE0EEENS1_44radix_sort_block_sort_config_static_selectorELNS0_4arch9wavefront6targetE0EEEvSF_,comdat
.Lfunc_end2924:
	.size	_ZN7rocprim17ROCPRIM_400000_NS6detail17trampoline_kernelINS0_13kernel_configILj256ELj4ELj4294967295EEENS1_37radix_sort_block_sort_config_selectorImNS0_10empty_typeEEEZNS1_21radix_sort_block_sortIS4_Lb0EPKmPmPS6_SC_NS0_19identity_decomposerEEE10hipError_tT1_T2_T3_T4_jRjT5_jjP12ihipStream_tbEUlT_E_NS1_11comp_targetILNS1_3genE8ELNS1_11target_archE1030ELNS1_3gpuE2ELNS1_3repE0EEENS1_44radix_sort_block_sort_config_static_selectorELNS0_4arch9wavefront6targetE0EEEvSF_, .Lfunc_end2924-_ZN7rocprim17ROCPRIM_400000_NS6detail17trampoline_kernelINS0_13kernel_configILj256ELj4ELj4294967295EEENS1_37radix_sort_block_sort_config_selectorImNS0_10empty_typeEEEZNS1_21radix_sort_block_sortIS4_Lb0EPKmPmPS6_SC_NS0_19identity_decomposerEEE10hipError_tT1_T2_T3_T4_jRjT5_jjP12ihipStream_tbEUlT_E_NS1_11comp_targetILNS1_3genE8ELNS1_11target_archE1030ELNS1_3gpuE2ELNS1_3repE0EEENS1_44radix_sort_block_sort_config_static_selectorELNS0_4arch9wavefront6targetE0EEEvSF_
                                        ; -- End function
	.set _ZN7rocprim17ROCPRIM_400000_NS6detail17trampoline_kernelINS0_13kernel_configILj256ELj4ELj4294967295EEENS1_37radix_sort_block_sort_config_selectorImNS0_10empty_typeEEEZNS1_21radix_sort_block_sortIS4_Lb0EPKmPmPS6_SC_NS0_19identity_decomposerEEE10hipError_tT1_T2_T3_T4_jRjT5_jjP12ihipStream_tbEUlT_E_NS1_11comp_targetILNS1_3genE8ELNS1_11target_archE1030ELNS1_3gpuE2ELNS1_3repE0EEENS1_44radix_sort_block_sort_config_static_selectorELNS0_4arch9wavefront6targetE0EEEvSF_.num_vgpr, 0
	.set _ZN7rocprim17ROCPRIM_400000_NS6detail17trampoline_kernelINS0_13kernel_configILj256ELj4ELj4294967295EEENS1_37radix_sort_block_sort_config_selectorImNS0_10empty_typeEEEZNS1_21radix_sort_block_sortIS4_Lb0EPKmPmPS6_SC_NS0_19identity_decomposerEEE10hipError_tT1_T2_T3_T4_jRjT5_jjP12ihipStream_tbEUlT_E_NS1_11comp_targetILNS1_3genE8ELNS1_11target_archE1030ELNS1_3gpuE2ELNS1_3repE0EEENS1_44radix_sort_block_sort_config_static_selectorELNS0_4arch9wavefront6targetE0EEEvSF_.num_agpr, 0
	.set _ZN7rocprim17ROCPRIM_400000_NS6detail17trampoline_kernelINS0_13kernel_configILj256ELj4ELj4294967295EEENS1_37radix_sort_block_sort_config_selectorImNS0_10empty_typeEEEZNS1_21radix_sort_block_sortIS4_Lb0EPKmPmPS6_SC_NS0_19identity_decomposerEEE10hipError_tT1_T2_T3_T4_jRjT5_jjP12ihipStream_tbEUlT_E_NS1_11comp_targetILNS1_3genE8ELNS1_11target_archE1030ELNS1_3gpuE2ELNS1_3repE0EEENS1_44radix_sort_block_sort_config_static_selectorELNS0_4arch9wavefront6targetE0EEEvSF_.numbered_sgpr, 0
	.set _ZN7rocprim17ROCPRIM_400000_NS6detail17trampoline_kernelINS0_13kernel_configILj256ELj4ELj4294967295EEENS1_37radix_sort_block_sort_config_selectorImNS0_10empty_typeEEEZNS1_21radix_sort_block_sortIS4_Lb0EPKmPmPS6_SC_NS0_19identity_decomposerEEE10hipError_tT1_T2_T3_T4_jRjT5_jjP12ihipStream_tbEUlT_E_NS1_11comp_targetILNS1_3genE8ELNS1_11target_archE1030ELNS1_3gpuE2ELNS1_3repE0EEENS1_44radix_sort_block_sort_config_static_selectorELNS0_4arch9wavefront6targetE0EEEvSF_.num_named_barrier, 0
	.set _ZN7rocprim17ROCPRIM_400000_NS6detail17trampoline_kernelINS0_13kernel_configILj256ELj4ELj4294967295EEENS1_37radix_sort_block_sort_config_selectorImNS0_10empty_typeEEEZNS1_21radix_sort_block_sortIS4_Lb0EPKmPmPS6_SC_NS0_19identity_decomposerEEE10hipError_tT1_T2_T3_T4_jRjT5_jjP12ihipStream_tbEUlT_E_NS1_11comp_targetILNS1_3genE8ELNS1_11target_archE1030ELNS1_3gpuE2ELNS1_3repE0EEENS1_44radix_sort_block_sort_config_static_selectorELNS0_4arch9wavefront6targetE0EEEvSF_.private_seg_size, 0
	.set _ZN7rocprim17ROCPRIM_400000_NS6detail17trampoline_kernelINS0_13kernel_configILj256ELj4ELj4294967295EEENS1_37radix_sort_block_sort_config_selectorImNS0_10empty_typeEEEZNS1_21radix_sort_block_sortIS4_Lb0EPKmPmPS6_SC_NS0_19identity_decomposerEEE10hipError_tT1_T2_T3_T4_jRjT5_jjP12ihipStream_tbEUlT_E_NS1_11comp_targetILNS1_3genE8ELNS1_11target_archE1030ELNS1_3gpuE2ELNS1_3repE0EEENS1_44radix_sort_block_sort_config_static_selectorELNS0_4arch9wavefront6targetE0EEEvSF_.uses_vcc, 0
	.set _ZN7rocprim17ROCPRIM_400000_NS6detail17trampoline_kernelINS0_13kernel_configILj256ELj4ELj4294967295EEENS1_37radix_sort_block_sort_config_selectorImNS0_10empty_typeEEEZNS1_21radix_sort_block_sortIS4_Lb0EPKmPmPS6_SC_NS0_19identity_decomposerEEE10hipError_tT1_T2_T3_T4_jRjT5_jjP12ihipStream_tbEUlT_E_NS1_11comp_targetILNS1_3genE8ELNS1_11target_archE1030ELNS1_3gpuE2ELNS1_3repE0EEENS1_44radix_sort_block_sort_config_static_selectorELNS0_4arch9wavefront6targetE0EEEvSF_.uses_flat_scratch, 0
	.set _ZN7rocprim17ROCPRIM_400000_NS6detail17trampoline_kernelINS0_13kernel_configILj256ELj4ELj4294967295EEENS1_37radix_sort_block_sort_config_selectorImNS0_10empty_typeEEEZNS1_21radix_sort_block_sortIS4_Lb0EPKmPmPS6_SC_NS0_19identity_decomposerEEE10hipError_tT1_T2_T3_T4_jRjT5_jjP12ihipStream_tbEUlT_E_NS1_11comp_targetILNS1_3genE8ELNS1_11target_archE1030ELNS1_3gpuE2ELNS1_3repE0EEENS1_44radix_sort_block_sort_config_static_selectorELNS0_4arch9wavefront6targetE0EEEvSF_.has_dyn_sized_stack, 0
	.set _ZN7rocprim17ROCPRIM_400000_NS6detail17trampoline_kernelINS0_13kernel_configILj256ELj4ELj4294967295EEENS1_37radix_sort_block_sort_config_selectorImNS0_10empty_typeEEEZNS1_21radix_sort_block_sortIS4_Lb0EPKmPmPS6_SC_NS0_19identity_decomposerEEE10hipError_tT1_T2_T3_T4_jRjT5_jjP12ihipStream_tbEUlT_E_NS1_11comp_targetILNS1_3genE8ELNS1_11target_archE1030ELNS1_3gpuE2ELNS1_3repE0EEENS1_44radix_sort_block_sort_config_static_selectorELNS0_4arch9wavefront6targetE0EEEvSF_.has_recursion, 0
	.set _ZN7rocprim17ROCPRIM_400000_NS6detail17trampoline_kernelINS0_13kernel_configILj256ELj4ELj4294967295EEENS1_37radix_sort_block_sort_config_selectorImNS0_10empty_typeEEEZNS1_21radix_sort_block_sortIS4_Lb0EPKmPmPS6_SC_NS0_19identity_decomposerEEE10hipError_tT1_T2_T3_T4_jRjT5_jjP12ihipStream_tbEUlT_E_NS1_11comp_targetILNS1_3genE8ELNS1_11target_archE1030ELNS1_3gpuE2ELNS1_3repE0EEENS1_44radix_sort_block_sort_config_static_selectorELNS0_4arch9wavefront6targetE0EEEvSF_.has_indirect_call, 0
	.section	.AMDGPU.csdata,"",@progbits
; Kernel info:
; codeLenInByte = 0
; TotalNumSgprs: 0
; NumVgprs: 0
; ScratchSize: 0
; MemoryBound: 0
; FloatMode: 240
; IeeeMode: 1
; LDSByteSize: 0 bytes/workgroup (compile time only)
; SGPRBlocks: 0
; VGPRBlocks: 0
; NumSGPRsForWavesPerEU: 1
; NumVGPRsForWavesPerEU: 1
; NamedBarCnt: 0
; Occupancy: 16
; WaveLimiterHint : 0
; COMPUTE_PGM_RSRC2:SCRATCH_EN: 0
; COMPUTE_PGM_RSRC2:USER_SGPR: 2
; COMPUTE_PGM_RSRC2:TRAP_HANDLER: 0
; COMPUTE_PGM_RSRC2:TGID_X_EN: 1
; COMPUTE_PGM_RSRC2:TGID_Y_EN: 0
; COMPUTE_PGM_RSRC2:TGID_Z_EN: 0
; COMPUTE_PGM_RSRC2:TIDIG_COMP_CNT: 0
	.section	.text._ZN7rocprim17ROCPRIM_400000_NS6detail17trampoline_kernelINS0_14default_configENS1_38merge_sort_block_merge_config_selectorImNS0_10empty_typeEEEZZNS1_27merge_sort_block_merge_implIS3_PmPS5_jNS1_19radix_merge_compareILb0ELb0EmNS0_19identity_decomposerEEEEE10hipError_tT0_T1_T2_jT3_P12ihipStream_tbPNSt15iterator_traitsISE_E10value_typeEPNSK_ISF_E10value_typeEPSG_NS1_7vsmem_tEENKUlT_SE_SF_SG_E_clIS8_S8_S9_S9_EESD_ST_SE_SF_SG_EUlST_E_NS1_11comp_targetILNS1_3genE0ELNS1_11target_archE4294967295ELNS1_3gpuE0ELNS1_3repE0EEENS1_48merge_mergepath_partition_config_static_selectorELNS0_4arch9wavefront6targetE0EEEvSF_,"axG",@progbits,_ZN7rocprim17ROCPRIM_400000_NS6detail17trampoline_kernelINS0_14default_configENS1_38merge_sort_block_merge_config_selectorImNS0_10empty_typeEEEZZNS1_27merge_sort_block_merge_implIS3_PmPS5_jNS1_19radix_merge_compareILb0ELb0EmNS0_19identity_decomposerEEEEE10hipError_tT0_T1_T2_jT3_P12ihipStream_tbPNSt15iterator_traitsISE_E10value_typeEPNSK_ISF_E10value_typeEPSG_NS1_7vsmem_tEENKUlT_SE_SF_SG_E_clIS8_S8_S9_S9_EESD_ST_SE_SF_SG_EUlST_E_NS1_11comp_targetILNS1_3genE0ELNS1_11target_archE4294967295ELNS1_3gpuE0ELNS1_3repE0EEENS1_48merge_mergepath_partition_config_static_selectorELNS0_4arch9wavefront6targetE0EEEvSF_,comdat
	.protected	_ZN7rocprim17ROCPRIM_400000_NS6detail17trampoline_kernelINS0_14default_configENS1_38merge_sort_block_merge_config_selectorImNS0_10empty_typeEEEZZNS1_27merge_sort_block_merge_implIS3_PmPS5_jNS1_19radix_merge_compareILb0ELb0EmNS0_19identity_decomposerEEEEE10hipError_tT0_T1_T2_jT3_P12ihipStream_tbPNSt15iterator_traitsISE_E10value_typeEPNSK_ISF_E10value_typeEPSG_NS1_7vsmem_tEENKUlT_SE_SF_SG_E_clIS8_S8_S9_S9_EESD_ST_SE_SF_SG_EUlST_E_NS1_11comp_targetILNS1_3genE0ELNS1_11target_archE4294967295ELNS1_3gpuE0ELNS1_3repE0EEENS1_48merge_mergepath_partition_config_static_selectorELNS0_4arch9wavefront6targetE0EEEvSF_ ; -- Begin function _ZN7rocprim17ROCPRIM_400000_NS6detail17trampoline_kernelINS0_14default_configENS1_38merge_sort_block_merge_config_selectorImNS0_10empty_typeEEEZZNS1_27merge_sort_block_merge_implIS3_PmPS5_jNS1_19radix_merge_compareILb0ELb0EmNS0_19identity_decomposerEEEEE10hipError_tT0_T1_T2_jT3_P12ihipStream_tbPNSt15iterator_traitsISE_E10value_typeEPNSK_ISF_E10value_typeEPSG_NS1_7vsmem_tEENKUlT_SE_SF_SG_E_clIS8_S8_S9_S9_EESD_ST_SE_SF_SG_EUlST_E_NS1_11comp_targetILNS1_3genE0ELNS1_11target_archE4294967295ELNS1_3gpuE0ELNS1_3repE0EEENS1_48merge_mergepath_partition_config_static_selectorELNS0_4arch9wavefront6targetE0EEEvSF_
	.globl	_ZN7rocprim17ROCPRIM_400000_NS6detail17trampoline_kernelINS0_14default_configENS1_38merge_sort_block_merge_config_selectorImNS0_10empty_typeEEEZZNS1_27merge_sort_block_merge_implIS3_PmPS5_jNS1_19radix_merge_compareILb0ELb0EmNS0_19identity_decomposerEEEEE10hipError_tT0_T1_T2_jT3_P12ihipStream_tbPNSt15iterator_traitsISE_E10value_typeEPNSK_ISF_E10value_typeEPSG_NS1_7vsmem_tEENKUlT_SE_SF_SG_E_clIS8_S8_S9_S9_EESD_ST_SE_SF_SG_EUlST_E_NS1_11comp_targetILNS1_3genE0ELNS1_11target_archE4294967295ELNS1_3gpuE0ELNS1_3repE0EEENS1_48merge_mergepath_partition_config_static_selectorELNS0_4arch9wavefront6targetE0EEEvSF_
	.p2align	8
	.type	_ZN7rocprim17ROCPRIM_400000_NS6detail17trampoline_kernelINS0_14default_configENS1_38merge_sort_block_merge_config_selectorImNS0_10empty_typeEEEZZNS1_27merge_sort_block_merge_implIS3_PmPS5_jNS1_19radix_merge_compareILb0ELb0EmNS0_19identity_decomposerEEEEE10hipError_tT0_T1_T2_jT3_P12ihipStream_tbPNSt15iterator_traitsISE_E10value_typeEPNSK_ISF_E10value_typeEPSG_NS1_7vsmem_tEENKUlT_SE_SF_SG_E_clIS8_S8_S9_S9_EESD_ST_SE_SF_SG_EUlST_E_NS1_11comp_targetILNS1_3genE0ELNS1_11target_archE4294967295ELNS1_3gpuE0ELNS1_3repE0EEENS1_48merge_mergepath_partition_config_static_selectorELNS0_4arch9wavefront6targetE0EEEvSF_,@function
_ZN7rocprim17ROCPRIM_400000_NS6detail17trampoline_kernelINS0_14default_configENS1_38merge_sort_block_merge_config_selectorImNS0_10empty_typeEEEZZNS1_27merge_sort_block_merge_implIS3_PmPS5_jNS1_19radix_merge_compareILb0ELb0EmNS0_19identity_decomposerEEEEE10hipError_tT0_T1_T2_jT3_P12ihipStream_tbPNSt15iterator_traitsISE_E10value_typeEPNSK_ISF_E10value_typeEPSG_NS1_7vsmem_tEENKUlT_SE_SF_SG_E_clIS8_S8_S9_S9_EESD_ST_SE_SF_SG_EUlST_E_NS1_11comp_targetILNS1_3genE0ELNS1_11target_archE4294967295ELNS1_3gpuE0ELNS1_3repE0EEENS1_48merge_mergepath_partition_config_static_selectorELNS0_4arch9wavefront6targetE0EEEvSF_: ; @_ZN7rocprim17ROCPRIM_400000_NS6detail17trampoline_kernelINS0_14default_configENS1_38merge_sort_block_merge_config_selectorImNS0_10empty_typeEEEZZNS1_27merge_sort_block_merge_implIS3_PmPS5_jNS1_19radix_merge_compareILb0ELb0EmNS0_19identity_decomposerEEEEE10hipError_tT0_T1_T2_jT3_P12ihipStream_tbPNSt15iterator_traitsISE_E10value_typeEPNSK_ISF_E10value_typeEPSG_NS1_7vsmem_tEENKUlT_SE_SF_SG_E_clIS8_S8_S9_S9_EESD_ST_SE_SF_SG_EUlST_E_NS1_11comp_targetILNS1_3genE0ELNS1_11target_archE4294967295ELNS1_3gpuE0ELNS1_3repE0EEENS1_48merge_mergepath_partition_config_static_selectorELNS0_4arch9wavefront6targetE0EEEvSF_
; %bb.0:
	s_load_b32 s2, s[0:1], 0x0
	s_bfe_u32 s3, ttmp6, 0x4000c
	s_and_b32 s4, ttmp6, 15
	s_add_co_i32 s3, s3, 1
	s_getreg_b32 s5, hwreg(HW_REG_IB_STS2, 6, 4)
	s_mul_i32 s3, ttmp9, s3
	s_delay_alu instid0(SALU_CYCLE_1) | instskip(SKIP_2) | instid1(SALU_CYCLE_1)
	s_add_co_i32 s4, s4, s3
	s_cmp_eq_u32 s5, 0
	s_cselect_b32 s3, ttmp9, s4
	v_lshl_or_b32 v8, s3, 7, v0
	s_wait_kmcnt 0x0
	s_delay_alu instid0(VALU_DEP_1)
	v_cmp_gt_u32_e32 vcc_lo, s2, v8
	s_and_saveexec_b32 s2, vcc_lo
	s_cbranch_execz .LBB2925_6
; %bb.1:
	s_load_b64 s[2:3], s[0:1], 0x4
	s_wait_kmcnt 0x0
	s_lshr_b32 s4, s2, 9
	s_delay_alu instid0(SALU_CYCLE_1) | instskip(NEXT) | instid1(SALU_CYCLE_1)
	s_and_b32 s4, s4, 0x7ffffe
	s_sub_co_i32 s5, 0, s4
	s_add_co_i32 s4, s4, -1
	s_delay_alu instid0(SALU_CYCLE_1) | instskip(SKIP_2) | instid1(VALU_DEP_1)
	v_and_b32_e32 v1, s4, v8
	v_and_b32_e32 v0, s5, v8
	s_mov_b32 s4, exec_lo
	v_dual_lshlrev_b32 v1, 10, v1 :: v_dual_lshlrev_b32 v0, 10, v0
	s_delay_alu instid0(VALU_DEP_1) | instskip(SKIP_1) | instid1(VALU_DEP_2)
	v_add_min_u32_e64 v2, v0, s2, s3
	v_min_u32_e32 v0, s3, v0
	v_add_min_u32_e64 v3, v2, s2, s3
	s_load_b64 s[2:3], s[0:1], 0x20
	s_delay_alu instid0(VALU_DEP_1) | instskip(NEXT) | instid1(VALU_DEP_1)
	v_dual_sub_nc_u32 v4, v3, v0 :: v_dual_sub_nc_u32 v3, v3, v2
	v_min_u32_e32 v10, v4, v1
	v_sub_nc_u32_e32 v1, v2, v0
	s_delay_alu instid0(VALU_DEP_2) | instskip(NEXT) | instid1(VALU_DEP_2)
	v_sub_nc_u32_e64 v9, v10, v3 clamp
	v_min_u32_e32 v11, v10, v1
	s_delay_alu instid0(VALU_DEP_1)
	v_cmpx_lt_u32_e64 v9, v11
	s_cbranch_execz .LBB2925_5
; %bb.2:
	s_wait_xcnt 0x0
	s_load_b64 s[0:1], s[0:1], 0x10
	v_mov_b32_e32 v3, 0
	s_delay_alu instid0(VALU_DEP_1) | instskip(SKIP_1) | instid1(VALU_DEP_1)
	v_mov_b32_e32 v1, v3
	s_wait_kmcnt 0x0
	v_lshl_add_u64 v[4:5], v[0:1], 3, s[0:1]
	v_lshl_add_u64 v[6:7], v[2:3], 3, s[0:1]
	s_mov_b32 s0, 0
.LBB2925_3:                             ; =>This Inner Loop Header: Depth=1
	v_add_nc_u32_e32 v1, v11, v9
	s_delay_alu instid0(VALU_DEP_1) | instskip(NEXT) | instid1(VALU_DEP_1)
	v_dual_mov_b32 v13, v3 :: v_dual_lshrrev_b32 v2, 1, v1
	v_xad_u32 v12, v2, -1, v10
	v_lshl_add_u64 v[14:15], v[2:3], 3, v[4:5]
	v_add_nc_u32_e32 v1, 1, v2
	s_delay_alu instid0(VALU_DEP_3)
	v_lshl_add_u64 v[12:13], v[12:13], 3, v[6:7]
	s_clause 0x1
	global_load_b64 v[16:17], v[14:15], off
	global_load_b64 v[18:19], v[12:13], off
	s_wait_loadcnt 0x0
	v_cmp_gt_u64_e32 vcc_lo, v[16:17], v[18:19]
	v_dual_cndmask_b32 v11, v11, v2, vcc_lo :: v_dual_cndmask_b32 v9, v1, v9, vcc_lo
	s_delay_alu instid0(VALU_DEP_1) | instskip(SKIP_1) | instid1(SALU_CYCLE_1)
	v_cmp_ge_u32_e32 vcc_lo, v9, v11
	s_or_b32 s0, vcc_lo, s0
	s_and_not1_b32 exec_lo, exec_lo, s0
	s_cbranch_execnz .LBB2925_3
; %bb.4:
	s_or_b32 exec_lo, exec_lo, s0
.LBB2925_5:
	s_delay_alu instid0(SALU_CYCLE_1)
	s_or_b32 exec_lo, exec_lo, s4
	v_add_nc_u32_e32 v0, v9, v0
	s_wait_kmcnt 0x0
	global_store_b32 v8, v0, s[2:3] scale_offset
.LBB2925_6:
	s_endpgm
	.section	.rodata,"a",@progbits
	.p2align	6, 0x0
	.amdhsa_kernel _ZN7rocprim17ROCPRIM_400000_NS6detail17trampoline_kernelINS0_14default_configENS1_38merge_sort_block_merge_config_selectorImNS0_10empty_typeEEEZZNS1_27merge_sort_block_merge_implIS3_PmPS5_jNS1_19radix_merge_compareILb0ELb0EmNS0_19identity_decomposerEEEEE10hipError_tT0_T1_T2_jT3_P12ihipStream_tbPNSt15iterator_traitsISE_E10value_typeEPNSK_ISF_E10value_typeEPSG_NS1_7vsmem_tEENKUlT_SE_SF_SG_E_clIS8_S8_S9_S9_EESD_ST_SE_SF_SG_EUlST_E_NS1_11comp_targetILNS1_3genE0ELNS1_11target_archE4294967295ELNS1_3gpuE0ELNS1_3repE0EEENS1_48merge_mergepath_partition_config_static_selectorELNS0_4arch9wavefront6targetE0EEEvSF_
		.amdhsa_group_segment_fixed_size 0
		.amdhsa_private_segment_fixed_size 0
		.amdhsa_kernarg_size 40
		.amdhsa_user_sgpr_count 2
		.amdhsa_user_sgpr_dispatch_ptr 0
		.amdhsa_user_sgpr_queue_ptr 0
		.amdhsa_user_sgpr_kernarg_segment_ptr 1
		.amdhsa_user_sgpr_dispatch_id 0
		.amdhsa_user_sgpr_kernarg_preload_length 0
		.amdhsa_user_sgpr_kernarg_preload_offset 0
		.amdhsa_user_sgpr_private_segment_size 0
		.amdhsa_wavefront_size32 1
		.amdhsa_uses_dynamic_stack 0
		.amdhsa_enable_private_segment 0
		.amdhsa_system_sgpr_workgroup_id_x 1
		.amdhsa_system_sgpr_workgroup_id_y 0
		.amdhsa_system_sgpr_workgroup_id_z 0
		.amdhsa_system_sgpr_workgroup_info 0
		.amdhsa_system_vgpr_workitem_id 0
		.amdhsa_next_free_vgpr 20
		.amdhsa_next_free_sgpr 6
		.amdhsa_named_barrier_count 0
		.amdhsa_reserve_vcc 1
		.amdhsa_float_round_mode_32 0
		.amdhsa_float_round_mode_16_64 0
		.amdhsa_float_denorm_mode_32 3
		.amdhsa_float_denorm_mode_16_64 3
		.amdhsa_fp16_overflow 0
		.amdhsa_memory_ordered 1
		.amdhsa_forward_progress 1
		.amdhsa_inst_pref_size 4
		.amdhsa_round_robin_scheduling 0
		.amdhsa_exception_fp_ieee_invalid_op 0
		.amdhsa_exception_fp_denorm_src 0
		.amdhsa_exception_fp_ieee_div_zero 0
		.amdhsa_exception_fp_ieee_overflow 0
		.amdhsa_exception_fp_ieee_underflow 0
		.amdhsa_exception_fp_ieee_inexact 0
		.amdhsa_exception_int_div_zero 0
	.end_amdhsa_kernel
	.section	.text._ZN7rocprim17ROCPRIM_400000_NS6detail17trampoline_kernelINS0_14default_configENS1_38merge_sort_block_merge_config_selectorImNS0_10empty_typeEEEZZNS1_27merge_sort_block_merge_implIS3_PmPS5_jNS1_19radix_merge_compareILb0ELb0EmNS0_19identity_decomposerEEEEE10hipError_tT0_T1_T2_jT3_P12ihipStream_tbPNSt15iterator_traitsISE_E10value_typeEPNSK_ISF_E10value_typeEPSG_NS1_7vsmem_tEENKUlT_SE_SF_SG_E_clIS8_S8_S9_S9_EESD_ST_SE_SF_SG_EUlST_E_NS1_11comp_targetILNS1_3genE0ELNS1_11target_archE4294967295ELNS1_3gpuE0ELNS1_3repE0EEENS1_48merge_mergepath_partition_config_static_selectorELNS0_4arch9wavefront6targetE0EEEvSF_,"axG",@progbits,_ZN7rocprim17ROCPRIM_400000_NS6detail17trampoline_kernelINS0_14default_configENS1_38merge_sort_block_merge_config_selectorImNS0_10empty_typeEEEZZNS1_27merge_sort_block_merge_implIS3_PmPS5_jNS1_19radix_merge_compareILb0ELb0EmNS0_19identity_decomposerEEEEE10hipError_tT0_T1_T2_jT3_P12ihipStream_tbPNSt15iterator_traitsISE_E10value_typeEPNSK_ISF_E10value_typeEPSG_NS1_7vsmem_tEENKUlT_SE_SF_SG_E_clIS8_S8_S9_S9_EESD_ST_SE_SF_SG_EUlST_E_NS1_11comp_targetILNS1_3genE0ELNS1_11target_archE4294967295ELNS1_3gpuE0ELNS1_3repE0EEENS1_48merge_mergepath_partition_config_static_selectorELNS0_4arch9wavefront6targetE0EEEvSF_,comdat
.Lfunc_end2925:
	.size	_ZN7rocprim17ROCPRIM_400000_NS6detail17trampoline_kernelINS0_14default_configENS1_38merge_sort_block_merge_config_selectorImNS0_10empty_typeEEEZZNS1_27merge_sort_block_merge_implIS3_PmPS5_jNS1_19radix_merge_compareILb0ELb0EmNS0_19identity_decomposerEEEEE10hipError_tT0_T1_T2_jT3_P12ihipStream_tbPNSt15iterator_traitsISE_E10value_typeEPNSK_ISF_E10value_typeEPSG_NS1_7vsmem_tEENKUlT_SE_SF_SG_E_clIS8_S8_S9_S9_EESD_ST_SE_SF_SG_EUlST_E_NS1_11comp_targetILNS1_3genE0ELNS1_11target_archE4294967295ELNS1_3gpuE0ELNS1_3repE0EEENS1_48merge_mergepath_partition_config_static_selectorELNS0_4arch9wavefront6targetE0EEEvSF_, .Lfunc_end2925-_ZN7rocprim17ROCPRIM_400000_NS6detail17trampoline_kernelINS0_14default_configENS1_38merge_sort_block_merge_config_selectorImNS0_10empty_typeEEEZZNS1_27merge_sort_block_merge_implIS3_PmPS5_jNS1_19radix_merge_compareILb0ELb0EmNS0_19identity_decomposerEEEEE10hipError_tT0_T1_T2_jT3_P12ihipStream_tbPNSt15iterator_traitsISE_E10value_typeEPNSK_ISF_E10value_typeEPSG_NS1_7vsmem_tEENKUlT_SE_SF_SG_E_clIS8_S8_S9_S9_EESD_ST_SE_SF_SG_EUlST_E_NS1_11comp_targetILNS1_3genE0ELNS1_11target_archE4294967295ELNS1_3gpuE0ELNS1_3repE0EEENS1_48merge_mergepath_partition_config_static_selectorELNS0_4arch9wavefront6targetE0EEEvSF_
                                        ; -- End function
	.set _ZN7rocprim17ROCPRIM_400000_NS6detail17trampoline_kernelINS0_14default_configENS1_38merge_sort_block_merge_config_selectorImNS0_10empty_typeEEEZZNS1_27merge_sort_block_merge_implIS3_PmPS5_jNS1_19radix_merge_compareILb0ELb0EmNS0_19identity_decomposerEEEEE10hipError_tT0_T1_T2_jT3_P12ihipStream_tbPNSt15iterator_traitsISE_E10value_typeEPNSK_ISF_E10value_typeEPSG_NS1_7vsmem_tEENKUlT_SE_SF_SG_E_clIS8_S8_S9_S9_EESD_ST_SE_SF_SG_EUlST_E_NS1_11comp_targetILNS1_3genE0ELNS1_11target_archE4294967295ELNS1_3gpuE0ELNS1_3repE0EEENS1_48merge_mergepath_partition_config_static_selectorELNS0_4arch9wavefront6targetE0EEEvSF_.num_vgpr, 20
	.set _ZN7rocprim17ROCPRIM_400000_NS6detail17trampoline_kernelINS0_14default_configENS1_38merge_sort_block_merge_config_selectorImNS0_10empty_typeEEEZZNS1_27merge_sort_block_merge_implIS3_PmPS5_jNS1_19radix_merge_compareILb0ELb0EmNS0_19identity_decomposerEEEEE10hipError_tT0_T1_T2_jT3_P12ihipStream_tbPNSt15iterator_traitsISE_E10value_typeEPNSK_ISF_E10value_typeEPSG_NS1_7vsmem_tEENKUlT_SE_SF_SG_E_clIS8_S8_S9_S9_EESD_ST_SE_SF_SG_EUlST_E_NS1_11comp_targetILNS1_3genE0ELNS1_11target_archE4294967295ELNS1_3gpuE0ELNS1_3repE0EEENS1_48merge_mergepath_partition_config_static_selectorELNS0_4arch9wavefront6targetE0EEEvSF_.num_agpr, 0
	.set _ZN7rocprim17ROCPRIM_400000_NS6detail17trampoline_kernelINS0_14default_configENS1_38merge_sort_block_merge_config_selectorImNS0_10empty_typeEEEZZNS1_27merge_sort_block_merge_implIS3_PmPS5_jNS1_19radix_merge_compareILb0ELb0EmNS0_19identity_decomposerEEEEE10hipError_tT0_T1_T2_jT3_P12ihipStream_tbPNSt15iterator_traitsISE_E10value_typeEPNSK_ISF_E10value_typeEPSG_NS1_7vsmem_tEENKUlT_SE_SF_SG_E_clIS8_S8_S9_S9_EESD_ST_SE_SF_SG_EUlST_E_NS1_11comp_targetILNS1_3genE0ELNS1_11target_archE4294967295ELNS1_3gpuE0ELNS1_3repE0EEENS1_48merge_mergepath_partition_config_static_selectorELNS0_4arch9wavefront6targetE0EEEvSF_.numbered_sgpr, 6
	.set _ZN7rocprim17ROCPRIM_400000_NS6detail17trampoline_kernelINS0_14default_configENS1_38merge_sort_block_merge_config_selectorImNS0_10empty_typeEEEZZNS1_27merge_sort_block_merge_implIS3_PmPS5_jNS1_19radix_merge_compareILb0ELb0EmNS0_19identity_decomposerEEEEE10hipError_tT0_T1_T2_jT3_P12ihipStream_tbPNSt15iterator_traitsISE_E10value_typeEPNSK_ISF_E10value_typeEPSG_NS1_7vsmem_tEENKUlT_SE_SF_SG_E_clIS8_S8_S9_S9_EESD_ST_SE_SF_SG_EUlST_E_NS1_11comp_targetILNS1_3genE0ELNS1_11target_archE4294967295ELNS1_3gpuE0ELNS1_3repE0EEENS1_48merge_mergepath_partition_config_static_selectorELNS0_4arch9wavefront6targetE0EEEvSF_.num_named_barrier, 0
	.set _ZN7rocprim17ROCPRIM_400000_NS6detail17trampoline_kernelINS0_14default_configENS1_38merge_sort_block_merge_config_selectorImNS0_10empty_typeEEEZZNS1_27merge_sort_block_merge_implIS3_PmPS5_jNS1_19radix_merge_compareILb0ELb0EmNS0_19identity_decomposerEEEEE10hipError_tT0_T1_T2_jT3_P12ihipStream_tbPNSt15iterator_traitsISE_E10value_typeEPNSK_ISF_E10value_typeEPSG_NS1_7vsmem_tEENKUlT_SE_SF_SG_E_clIS8_S8_S9_S9_EESD_ST_SE_SF_SG_EUlST_E_NS1_11comp_targetILNS1_3genE0ELNS1_11target_archE4294967295ELNS1_3gpuE0ELNS1_3repE0EEENS1_48merge_mergepath_partition_config_static_selectorELNS0_4arch9wavefront6targetE0EEEvSF_.private_seg_size, 0
	.set _ZN7rocprim17ROCPRIM_400000_NS6detail17trampoline_kernelINS0_14default_configENS1_38merge_sort_block_merge_config_selectorImNS0_10empty_typeEEEZZNS1_27merge_sort_block_merge_implIS3_PmPS5_jNS1_19radix_merge_compareILb0ELb0EmNS0_19identity_decomposerEEEEE10hipError_tT0_T1_T2_jT3_P12ihipStream_tbPNSt15iterator_traitsISE_E10value_typeEPNSK_ISF_E10value_typeEPSG_NS1_7vsmem_tEENKUlT_SE_SF_SG_E_clIS8_S8_S9_S9_EESD_ST_SE_SF_SG_EUlST_E_NS1_11comp_targetILNS1_3genE0ELNS1_11target_archE4294967295ELNS1_3gpuE0ELNS1_3repE0EEENS1_48merge_mergepath_partition_config_static_selectorELNS0_4arch9wavefront6targetE0EEEvSF_.uses_vcc, 1
	.set _ZN7rocprim17ROCPRIM_400000_NS6detail17trampoline_kernelINS0_14default_configENS1_38merge_sort_block_merge_config_selectorImNS0_10empty_typeEEEZZNS1_27merge_sort_block_merge_implIS3_PmPS5_jNS1_19radix_merge_compareILb0ELb0EmNS0_19identity_decomposerEEEEE10hipError_tT0_T1_T2_jT3_P12ihipStream_tbPNSt15iterator_traitsISE_E10value_typeEPNSK_ISF_E10value_typeEPSG_NS1_7vsmem_tEENKUlT_SE_SF_SG_E_clIS8_S8_S9_S9_EESD_ST_SE_SF_SG_EUlST_E_NS1_11comp_targetILNS1_3genE0ELNS1_11target_archE4294967295ELNS1_3gpuE0ELNS1_3repE0EEENS1_48merge_mergepath_partition_config_static_selectorELNS0_4arch9wavefront6targetE0EEEvSF_.uses_flat_scratch, 0
	.set _ZN7rocprim17ROCPRIM_400000_NS6detail17trampoline_kernelINS0_14default_configENS1_38merge_sort_block_merge_config_selectorImNS0_10empty_typeEEEZZNS1_27merge_sort_block_merge_implIS3_PmPS5_jNS1_19radix_merge_compareILb0ELb0EmNS0_19identity_decomposerEEEEE10hipError_tT0_T1_T2_jT3_P12ihipStream_tbPNSt15iterator_traitsISE_E10value_typeEPNSK_ISF_E10value_typeEPSG_NS1_7vsmem_tEENKUlT_SE_SF_SG_E_clIS8_S8_S9_S9_EESD_ST_SE_SF_SG_EUlST_E_NS1_11comp_targetILNS1_3genE0ELNS1_11target_archE4294967295ELNS1_3gpuE0ELNS1_3repE0EEENS1_48merge_mergepath_partition_config_static_selectorELNS0_4arch9wavefront6targetE0EEEvSF_.has_dyn_sized_stack, 0
	.set _ZN7rocprim17ROCPRIM_400000_NS6detail17trampoline_kernelINS0_14default_configENS1_38merge_sort_block_merge_config_selectorImNS0_10empty_typeEEEZZNS1_27merge_sort_block_merge_implIS3_PmPS5_jNS1_19radix_merge_compareILb0ELb0EmNS0_19identity_decomposerEEEEE10hipError_tT0_T1_T2_jT3_P12ihipStream_tbPNSt15iterator_traitsISE_E10value_typeEPNSK_ISF_E10value_typeEPSG_NS1_7vsmem_tEENKUlT_SE_SF_SG_E_clIS8_S8_S9_S9_EESD_ST_SE_SF_SG_EUlST_E_NS1_11comp_targetILNS1_3genE0ELNS1_11target_archE4294967295ELNS1_3gpuE0ELNS1_3repE0EEENS1_48merge_mergepath_partition_config_static_selectorELNS0_4arch9wavefront6targetE0EEEvSF_.has_recursion, 0
	.set _ZN7rocprim17ROCPRIM_400000_NS6detail17trampoline_kernelINS0_14default_configENS1_38merge_sort_block_merge_config_selectorImNS0_10empty_typeEEEZZNS1_27merge_sort_block_merge_implIS3_PmPS5_jNS1_19radix_merge_compareILb0ELb0EmNS0_19identity_decomposerEEEEE10hipError_tT0_T1_T2_jT3_P12ihipStream_tbPNSt15iterator_traitsISE_E10value_typeEPNSK_ISF_E10value_typeEPSG_NS1_7vsmem_tEENKUlT_SE_SF_SG_E_clIS8_S8_S9_S9_EESD_ST_SE_SF_SG_EUlST_E_NS1_11comp_targetILNS1_3genE0ELNS1_11target_archE4294967295ELNS1_3gpuE0ELNS1_3repE0EEENS1_48merge_mergepath_partition_config_static_selectorELNS0_4arch9wavefront6targetE0EEEvSF_.has_indirect_call, 0
	.section	.AMDGPU.csdata,"",@progbits
; Kernel info:
; codeLenInByte = 428
; TotalNumSgprs: 8
; NumVgprs: 20
; ScratchSize: 0
; MemoryBound: 0
; FloatMode: 240
; IeeeMode: 1
; LDSByteSize: 0 bytes/workgroup (compile time only)
; SGPRBlocks: 0
; VGPRBlocks: 1
; NumSGPRsForWavesPerEU: 8
; NumVGPRsForWavesPerEU: 20
; NamedBarCnt: 0
; Occupancy: 16
; WaveLimiterHint : 0
; COMPUTE_PGM_RSRC2:SCRATCH_EN: 0
; COMPUTE_PGM_RSRC2:USER_SGPR: 2
; COMPUTE_PGM_RSRC2:TRAP_HANDLER: 0
; COMPUTE_PGM_RSRC2:TGID_X_EN: 1
; COMPUTE_PGM_RSRC2:TGID_Y_EN: 0
; COMPUTE_PGM_RSRC2:TGID_Z_EN: 0
; COMPUTE_PGM_RSRC2:TIDIG_COMP_CNT: 0
	.section	.text._ZN7rocprim17ROCPRIM_400000_NS6detail17trampoline_kernelINS0_14default_configENS1_38merge_sort_block_merge_config_selectorImNS0_10empty_typeEEEZZNS1_27merge_sort_block_merge_implIS3_PmPS5_jNS1_19radix_merge_compareILb0ELb0EmNS0_19identity_decomposerEEEEE10hipError_tT0_T1_T2_jT3_P12ihipStream_tbPNSt15iterator_traitsISE_E10value_typeEPNSK_ISF_E10value_typeEPSG_NS1_7vsmem_tEENKUlT_SE_SF_SG_E_clIS8_S8_S9_S9_EESD_ST_SE_SF_SG_EUlST_E_NS1_11comp_targetILNS1_3genE10ELNS1_11target_archE1201ELNS1_3gpuE5ELNS1_3repE0EEENS1_48merge_mergepath_partition_config_static_selectorELNS0_4arch9wavefront6targetE0EEEvSF_,"axG",@progbits,_ZN7rocprim17ROCPRIM_400000_NS6detail17trampoline_kernelINS0_14default_configENS1_38merge_sort_block_merge_config_selectorImNS0_10empty_typeEEEZZNS1_27merge_sort_block_merge_implIS3_PmPS5_jNS1_19radix_merge_compareILb0ELb0EmNS0_19identity_decomposerEEEEE10hipError_tT0_T1_T2_jT3_P12ihipStream_tbPNSt15iterator_traitsISE_E10value_typeEPNSK_ISF_E10value_typeEPSG_NS1_7vsmem_tEENKUlT_SE_SF_SG_E_clIS8_S8_S9_S9_EESD_ST_SE_SF_SG_EUlST_E_NS1_11comp_targetILNS1_3genE10ELNS1_11target_archE1201ELNS1_3gpuE5ELNS1_3repE0EEENS1_48merge_mergepath_partition_config_static_selectorELNS0_4arch9wavefront6targetE0EEEvSF_,comdat
	.protected	_ZN7rocprim17ROCPRIM_400000_NS6detail17trampoline_kernelINS0_14default_configENS1_38merge_sort_block_merge_config_selectorImNS0_10empty_typeEEEZZNS1_27merge_sort_block_merge_implIS3_PmPS5_jNS1_19radix_merge_compareILb0ELb0EmNS0_19identity_decomposerEEEEE10hipError_tT0_T1_T2_jT3_P12ihipStream_tbPNSt15iterator_traitsISE_E10value_typeEPNSK_ISF_E10value_typeEPSG_NS1_7vsmem_tEENKUlT_SE_SF_SG_E_clIS8_S8_S9_S9_EESD_ST_SE_SF_SG_EUlST_E_NS1_11comp_targetILNS1_3genE10ELNS1_11target_archE1201ELNS1_3gpuE5ELNS1_3repE0EEENS1_48merge_mergepath_partition_config_static_selectorELNS0_4arch9wavefront6targetE0EEEvSF_ ; -- Begin function _ZN7rocprim17ROCPRIM_400000_NS6detail17trampoline_kernelINS0_14default_configENS1_38merge_sort_block_merge_config_selectorImNS0_10empty_typeEEEZZNS1_27merge_sort_block_merge_implIS3_PmPS5_jNS1_19radix_merge_compareILb0ELb0EmNS0_19identity_decomposerEEEEE10hipError_tT0_T1_T2_jT3_P12ihipStream_tbPNSt15iterator_traitsISE_E10value_typeEPNSK_ISF_E10value_typeEPSG_NS1_7vsmem_tEENKUlT_SE_SF_SG_E_clIS8_S8_S9_S9_EESD_ST_SE_SF_SG_EUlST_E_NS1_11comp_targetILNS1_3genE10ELNS1_11target_archE1201ELNS1_3gpuE5ELNS1_3repE0EEENS1_48merge_mergepath_partition_config_static_selectorELNS0_4arch9wavefront6targetE0EEEvSF_
	.globl	_ZN7rocprim17ROCPRIM_400000_NS6detail17trampoline_kernelINS0_14default_configENS1_38merge_sort_block_merge_config_selectorImNS0_10empty_typeEEEZZNS1_27merge_sort_block_merge_implIS3_PmPS5_jNS1_19radix_merge_compareILb0ELb0EmNS0_19identity_decomposerEEEEE10hipError_tT0_T1_T2_jT3_P12ihipStream_tbPNSt15iterator_traitsISE_E10value_typeEPNSK_ISF_E10value_typeEPSG_NS1_7vsmem_tEENKUlT_SE_SF_SG_E_clIS8_S8_S9_S9_EESD_ST_SE_SF_SG_EUlST_E_NS1_11comp_targetILNS1_3genE10ELNS1_11target_archE1201ELNS1_3gpuE5ELNS1_3repE0EEENS1_48merge_mergepath_partition_config_static_selectorELNS0_4arch9wavefront6targetE0EEEvSF_
	.p2align	8
	.type	_ZN7rocprim17ROCPRIM_400000_NS6detail17trampoline_kernelINS0_14default_configENS1_38merge_sort_block_merge_config_selectorImNS0_10empty_typeEEEZZNS1_27merge_sort_block_merge_implIS3_PmPS5_jNS1_19radix_merge_compareILb0ELb0EmNS0_19identity_decomposerEEEEE10hipError_tT0_T1_T2_jT3_P12ihipStream_tbPNSt15iterator_traitsISE_E10value_typeEPNSK_ISF_E10value_typeEPSG_NS1_7vsmem_tEENKUlT_SE_SF_SG_E_clIS8_S8_S9_S9_EESD_ST_SE_SF_SG_EUlST_E_NS1_11comp_targetILNS1_3genE10ELNS1_11target_archE1201ELNS1_3gpuE5ELNS1_3repE0EEENS1_48merge_mergepath_partition_config_static_selectorELNS0_4arch9wavefront6targetE0EEEvSF_,@function
_ZN7rocprim17ROCPRIM_400000_NS6detail17trampoline_kernelINS0_14default_configENS1_38merge_sort_block_merge_config_selectorImNS0_10empty_typeEEEZZNS1_27merge_sort_block_merge_implIS3_PmPS5_jNS1_19radix_merge_compareILb0ELb0EmNS0_19identity_decomposerEEEEE10hipError_tT0_T1_T2_jT3_P12ihipStream_tbPNSt15iterator_traitsISE_E10value_typeEPNSK_ISF_E10value_typeEPSG_NS1_7vsmem_tEENKUlT_SE_SF_SG_E_clIS8_S8_S9_S9_EESD_ST_SE_SF_SG_EUlST_E_NS1_11comp_targetILNS1_3genE10ELNS1_11target_archE1201ELNS1_3gpuE5ELNS1_3repE0EEENS1_48merge_mergepath_partition_config_static_selectorELNS0_4arch9wavefront6targetE0EEEvSF_: ; @_ZN7rocprim17ROCPRIM_400000_NS6detail17trampoline_kernelINS0_14default_configENS1_38merge_sort_block_merge_config_selectorImNS0_10empty_typeEEEZZNS1_27merge_sort_block_merge_implIS3_PmPS5_jNS1_19radix_merge_compareILb0ELb0EmNS0_19identity_decomposerEEEEE10hipError_tT0_T1_T2_jT3_P12ihipStream_tbPNSt15iterator_traitsISE_E10value_typeEPNSK_ISF_E10value_typeEPSG_NS1_7vsmem_tEENKUlT_SE_SF_SG_E_clIS8_S8_S9_S9_EESD_ST_SE_SF_SG_EUlST_E_NS1_11comp_targetILNS1_3genE10ELNS1_11target_archE1201ELNS1_3gpuE5ELNS1_3repE0EEENS1_48merge_mergepath_partition_config_static_selectorELNS0_4arch9wavefront6targetE0EEEvSF_
; %bb.0:
	.section	.rodata,"a",@progbits
	.p2align	6, 0x0
	.amdhsa_kernel _ZN7rocprim17ROCPRIM_400000_NS6detail17trampoline_kernelINS0_14default_configENS1_38merge_sort_block_merge_config_selectorImNS0_10empty_typeEEEZZNS1_27merge_sort_block_merge_implIS3_PmPS5_jNS1_19radix_merge_compareILb0ELb0EmNS0_19identity_decomposerEEEEE10hipError_tT0_T1_T2_jT3_P12ihipStream_tbPNSt15iterator_traitsISE_E10value_typeEPNSK_ISF_E10value_typeEPSG_NS1_7vsmem_tEENKUlT_SE_SF_SG_E_clIS8_S8_S9_S9_EESD_ST_SE_SF_SG_EUlST_E_NS1_11comp_targetILNS1_3genE10ELNS1_11target_archE1201ELNS1_3gpuE5ELNS1_3repE0EEENS1_48merge_mergepath_partition_config_static_selectorELNS0_4arch9wavefront6targetE0EEEvSF_
		.amdhsa_group_segment_fixed_size 0
		.amdhsa_private_segment_fixed_size 0
		.amdhsa_kernarg_size 40
		.amdhsa_user_sgpr_count 2
		.amdhsa_user_sgpr_dispatch_ptr 0
		.amdhsa_user_sgpr_queue_ptr 0
		.amdhsa_user_sgpr_kernarg_segment_ptr 1
		.amdhsa_user_sgpr_dispatch_id 0
		.amdhsa_user_sgpr_kernarg_preload_length 0
		.amdhsa_user_sgpr_kernarg_preload_offset 0
		.amdhsa_user_sgpr_private_segment_size 0
		.amdhsa_wavefront_size32 1
		.amdhsa_uses_dynamic_stack 0
		.amdhsa_enable_private_segment 0
		.amdhsa_system_sgpr_workgroup_id_x 1
		.amdhsa_system_sgpr_workgroup_id_y 0
		.amdhsa_system_sgpr_workgroup_id_z 0
		.amdhsa_system_sgpr_workgroup_info 0
		.amdhsa_system_vgpr_workitem_id 0
		.amdhsa_next_free_vgpr 1
		.amdhsa_next_free_sgpr 1
		.amdhsa_named_barrier_count 0
		.amdhsa_reserve_vcc 0
		.amdhsa_float_round_mode_32 0
		.amdhsa_float_round_mode_16_64 0
		.amdhsa_float_denorm_mode_32 3
		.amdhsa_float_denorm_mode_16_64 3
		.amdhsa_fp16_overflow 0
		.amdhsa_memory_ordered 1
		.amdhsa_forward_progress 1
		.amdhsa_inst_pref_size 0
		.amdhsa_round_robin_scheduling 0
		.amdhsa_exception_fp_ieee_invalid_op 0
		.amdhsa_exception_fp_denorm_src 0
		.amdhsa_exception_fp_ieee_div_zero 0
		.amdhsa_exception_fp_ieee_overflow 0
		.amdhsa_exception_fp_ieee_underflow 0
		.amdhsa_exception_fp_ieee_inexact 0
		.amdhsa_exception_int_div_zero 0
	.end_amdhsa_kernel
	.section	.text._ZN7rocprim17ROCPRIM_400000_NS6detail17trampoline_kernelINS0_14default_configENS1_38merge_sort_block_merge_config_selectorImNS0_10empty_typeEEEZZNS1_27merge_sort_block_merge_implIS3_PmPS5_jNS1_19radix_merge_compareILb0ELb0EmNS0_19identity_decomposerEEEEE10hipError_tT0_T1_T2_jT3_P12ihipStream_tbPNSt15iterator_traitsISE_E10value_typeEPNSK_ISF_E10value_typeEPSG_NS1_7vsmem_tEENKUlT_SE_SF_SG_E_clIS8_S8_S9_S9_EESD_ST_SE_SF_SG_EUlST_E_NS1_11comp_targetILNS1_3genE10ELNS1_11target_archE1201ELNS1_3gpuE5ELNS1_3repE0EEENS1_48merge_mergepath_partition_config_static_selectorELNS0_4arch9wavefront6targetE0EEEvSF_,"axG",@progbits,_ZN7rocprim17ROCPRIM_400000_NS6detail17trampoline_kernelINS0_14default_configENS1_38merge_sort_block_merge_config_selectorImNS0_10empty_typeEEEZZNS1_27merge_sort_block_merge_implIS3_PmPS5_jNS1_19radix_merge_compareILb0ELb0EmNS0_19identity_decomposerEEEEE10hipError_tT0_T1_T2_jT3_P12ihipStream_tbPNSt15iterator_traitsISE_E10value_typeEPNSK_ISF_E10value_typeEPSG_NS1_7vsmem_tEENKUlT_SE_SF_SG_E_clIS8_S8_S9_S9_EESD_ST_SE_SF_SG_EUlST_E_NS1_11comp_targetILNS1_3genE10ELNS1_11target_archE1201ELNS1_3gpuE5ELNS1_3repE0EEENS1_48merge_mergepath_partition_config_static_selectorELNS0_4arch9wavefront6targetE0EEEvSF_,comdat
.Lfunc_end2926:
	.size	_ZN7rocprim17ROCPRIM_400000_NS6detail17trampoline_kernelINS0_14default_configENS1_38merge_sort_block_merge_config_selectorImNS0_10empty_typeEEEZZNS1_27merge_sort_block_merge_implIS3_PmPS5_jNS1_19radix_merge_compareILb0ELb0EmNS0_19identity_decomposerEEEEE10hipError_tT0_T1_T2_jT3_P12ihipStream_tbPNSt15iterator_traitsISE_E10value_typeEPNSK_ISF_E10value_typeEPSG_NS1_7vsmem_tEENKUlT_SE_SF_SG_E_clIS8_S8_S9_S9_EESD_ST_SE_SF_SG_EUlST_E_NS1_11comp_targetILNS1_3genE10ELNS1_11target_archE1201ELNS1_3gpuE5ELNS1_3repE0EEENS1_48merge_mergepath_partition_config_static_selectorELNS0_4arch9wavefront6targetE0EEEvSF_, .Lfunc_end2926-_ZN7rocprim17ROCPRIM_400000_NS6detail17trampoline_kernelINS0_14default_configENS1_38merge_sort_block_merge_config_selectorImNS0_10empty_typeEEEZZNS1_27merge_sort_block_merge_implIS3_PmPS5_jNS1_19radix_merge_compareILb0ELb0EmNS0_19identity_decomposerEEEEE10hipError_tT0_T1_T2_jT3_P12ihipStream_tbPNSt15iterator_traitsISE_E10value_typeEPNSK_ISF_E10value_typeEPSG_NS1_7vsmem_tEENKUlT_SE_SF_SG_E_clIS8_S8_S9_S9_EESD_ST_SE_SF_SG_EUlST_E_NS1_11comp_targetILNS1_3genE10ELNS1_11target_archE1201ELNS1_3gpuE5ELNS1_3repE0EEENS1_48merge_mergepath_partition_config_static_selectorELNS0_4arch9wavefront6targetE0EEEvSF_
                                        ; -- End function
	.set _ZN7rocprim17ROCPRIM_400000_NS6detail17trampoline_kernelINS0_14default_configENS1_38merge_sort_block_merge_config_selectorImNS0_10empty_typeEEEZZNS1_27merge_sort_block_merge_implIS3_PmPS5_jNS1_19radix_merge_compareILb0ELb0EmNS0_19identity_decomposerEEEEE10hipError_tT0_T1_T2_jT3_P12ihipStream_tbPNSt15iterator_traitsISE_E10value_typeEPNSK_ISF_E10value_typeEPSG_NS1_7vsmem_tEENKUlT_SE_SF_SG_E_clIS8_S8_S9_S9_EESD_ST_SE_SF_SG_EUlST_E_NS1_11comp_targetILNS1_3genE10ELNS1_11target_archE1201ELNS1_3gpuE5ELNS1_3repE0EEENS1_48merge_mergepath_partition_config_static_selectorELNS0_4arch9wavefront6targetE0EEEvSF_.num_vgpr, 0
	.set _ZN7rocprim17ROCPRIM_400000_NS6detail17trampoline_kernelINS0_14default_configENS1_38merge_sort_block_merge_config_selectorImNS0_10empty_typeEEEZZNS1_27merge_sort_block_merge_implIS3_PmPS5_jNS1_19radix_merge_compareILb0ELb0EmNS0_19identity_decomposerEEEEE10hipError_tT0_T1_T2_jT3_P12ihipStream_tbPNSt15iterator_traitsISE_E10value_typeEPNSK_ISF_E10value_typeEPSG_NS1_7vsmem_tEENKUlT_SE_SF_SG_E_clIS8_S8_S9_S9_EESD_ST_SE_SF_SG_EUlST_E_NS1_11comp_targetILNS1_3genE10ELNS1_11target_archE1201ELNS1_3gpuE5ELNS1_3repE0EEENS1_48merge_mergepath_partition_config_static_selectorELNS0_4arch9wavefront6targetE0EEEvSF_.num_agpr, 0
	.set _ZN7rocprim17ROCPRIM_400000_NS6detail17trampoline_kernelINS0_14default_configENS1_38merge_sort_block_merge_config_selectorImNS0_10empty_typeEEEZZNS1_27merge_sort_block_merge_implIS3_PmPS5_jNS1_19radix_merge_compareILb0ELb0EmNS0_19identity_decomposerEEEEE10hipError_tT0_T1_T2_jT3_P12ihipStream_tbPNSt15iterator_traitsISE_E10value_typeEPNSK_ISF_E10value_typeEPSG_NS1_7vsmem_tEENKUlT_SE_SF_SG_E_clIS8_S8_S9_S9_EESD_ST_SE_SF_SG_EUlST_E_NS1_11comp_targetILNS1_3genE10ELNS1_11target_archE1201ELNS1_3gpuE5ELNS1_3repE0EEENS1_48merge_mergepath_partition_config_static_selectorELNS0_4arch9wavefront6targetE0EEEvSF_.numbered_sgpr, 0
	.set _ZN7rocprim17ROCPRIM_400000_NS6detail17trampoline_kernelINS0_14default_configENS1_38merge_sort_block_merge_config_selectorImNS0_10empty_typeEEEZZNS1_27merge_sort_block_merge_implIS3_PmPS5_jNS1_19radix_merge_compareILb0ELb0EmNS0_19identity_decomposerEEEEE10hipError_tT0_T1_T2_jT3_P12ihipStream_tbPNSt15iterator_traitsISE_E10value_typeEPNSK_ISF_E10value_typeEPSG_NS1_7vsmem_tEENKUlT_SE_SF_SG_E_clIS8_S8_S9_S9_EESD_ST_SE_SF_SG_EUlST_E_NS1_11comp_targetILNS1_3genE10ELNS1_11target_archE1201ELNS1_3gpuE5ELNS1_3repE0EEENS1_48merge_mergepath_partition_config_static_selectorELNS0_4arch9wavefront6targetE0EEEvSF_.num_named_barrier, 0
	.set _ZN7rocprim17ROCPRIM_400000_NS6detail17trampoline_kernelINS0_14default_configENS1_38merge_sort_block_merge_config_selectorImNS0_10empty_typeEEEZZNS1_27merge_sort_block_merge_implIS3_PmPS5_jNS1_19radix_merge_compareILb0ELb0EmNS0_19identity_decomposerEEEEE10hipError_tT0_T1_T2_jT3_P12ihipStream_tbPNSt15iterator_traitsISE_E10value_typeEPNSK_ISF_E10value_typeEPSG_NS1_7vsmem_tEENKUlT_SE_SF_SG_E_clIS8_S8_S9_S9_EESD_ST_SE_SF_SG_EUlST_E_NS1_11comp_targetILNS1_3genE10ELNS1_11target_archE1201ELNS1_3gpuE5ELNS1_3repE0EEENS1_48merge_mergepath_partition_config_static_selectorELNS0_4arch9wavefront6targetE0EEEvSF_.private_seg_size, 0
	.set _ZN7rocprim17ROCPRIM_400000_NS6detail17trampoline_kernelINS0_14default_configENS1_38merge_sort_block_merge_config_selectorImNS0_10empty_typeEEEZZNS1_27merge_sort_block_merge_implIS3_PmPS5_jNS1_19radix_merge_compareILb0ELb0EmNS0_19identity_decomposerEEEEE10hipError_tT0_T1_T2_jT3_P12ihipStream_tbPNSt15iterator_traitsISE_E10value_typeEPNSK_ISF_E10value_typeEPSG_NS1_7vsmem_tEENKUlT_SE_SF_SG_E_clIS8_S8_S9_S9_EESD_ST_SE_SF_SG_EUlST_E_NS1_11comp_targetILNS1_3genE10ELNS1_11target_archE1201ELNS1_3gpuE5ELNS1_3repE0EEENS1_48merge_mergepath_partition_config_static_selectorELNS0_4arch9wavefront6targetE0EEEvSF_.uses_vcc, 0
	.set _ZN7rocprim17ROCPRIM_400000_NS6detail17trampoline_kernelINS0_14default_configENS1_38merge_sort_block_merge_config_selectorImNS0_10empty_typeEEEZZNS1_27merge_sort_block_merge_implIS3_PmPS5_jNS1_19radix_merge_compareILb0ELb0EmNS0_19identity_decomposerEEEEE10hipError_tT0_T1_T2_jT3_P12ihipStream_tbPNSt15iterator_traitsISE_E10value_typeEPNSK_ISF_E10value_typeEPSG_NS1_7vsmem_tEENKUlT_SE_SF_SG_E_clIS8_S8_S9_S9_EESD_ST_SE_SF_SG_EUlST_E_NS1_11comp_targetILNS1_3genE10ELNS1_11target_archE1201ELNS1_3gpuE5ELNS1_3repE0EEENS1_48merge_mergepath_partition_config_static_selectorELNS0_4arch9wavefront6targetE0EEEvSF_.uses_flat_scratch, 0
	.set _ZN7rocprim17ROCPRIM_400000_NS6detail17trampoline_kernelINS0_14default_configENS1_38merge_sort_block_merge_config_selectorImNS0_10empty_typeEEEZZNS1_27merge_sort_block_merge_implIS3_PmPS5_jNS1_19radix_merge_compareILb0ELb0EmNS0_19identity_decomposerEEEEE10hipError_tT0_T1_T2_jT3_P12ihipStream_tbPNSt15iterator_traitsISE_E10value_typeEPNSK_ISF_E10value_typeEPSG_NS1_7vsmem_tEENKUlT_SE_SF_SG_E_clIS8_S8_S9_S9_EESD_ST_SE_SF_SG_EUlST_E_NS1_11comp_targetILNS1_3genE10ELNS1_11target_archE1201ELNS1_3gpuE5ELNS1_3repE0EEENS1_48merge_mergepath_partition_config_static_selectorELNS0_4arch9wavefront6targetE0EEEvSF_.has_dyn_sized_stack, 0
	.set _ZN7rocprim17ROCPRIM_400000_NS6detail17trampoline_kernelINS0_14default_configENS1_38merge_sort_block_merge_config_selectorImNS0_10empty_typeEEEZZNS1_27merge_sort_block_merge_implIS3_PmPS5_jNS1_19radix_merge_compareILb0ELb0EmNS0_19identity_decomposerEEEEE10hipError_tT0_T1_T2_jT3_P12ihipStream_tbPNSt15iterator_traitsISE_E10value_typeEPNSK_ISF_E10value_typeEPSG_NS1_7vsmem_tEENKUlT_SE_SF_SG_E_clIS8_S8_S9_S9_EESD_ST_SE_SF_SG_EUlST_E_NS1_11comp_targetILNS1_3genE10ELNS1_11target_archE1201ELNS1_3gpuE5ELNS1_3repE0EEENS1_48merge_mergepath_partition_config_static_selectorELNS0_4arch9wavefront6targetE0EEEvSF_.has_recursion, 0
	.set _ZN7rocprim17ROCPRIM_400000_NS6detail17trampoline_kernelINS0_14default_configENS1_38merge_sort_block_merge_config_selectorImNS0_10empty_typeEEEZZNS1_27merge_sort_block_merge_implIS3_PmPS5_jNS1_19radix_merge_compareILb0ELb0EmNS0_19identity_decomposerEEEEE10hipError_tT0_T1_T2_jT3_P12ihipStream_tbPNSt15iterator_traitsISE_E10value_typeEPNSK_ISF_E10value_typeEPSG_NS1_7vsmem_tEENKUlT_SE_SF_SG_E_clIS8_S8_S9_S9_EESD_ST_SE_SF_SG_EUlST_E_NS1_11comp_targetILNS1_3genE10ELNS1_11target_archE1201ELNS1_3gpuE5ELNS1_3repE0EEENS1_48merge_mergepath_partition_config_static_selectorELNS0_4arch9wavefront6targetE0EEEvSF_.has_indirect_call, 0
	.section	.AMDGPU.csdata,"",@progbits
; Kernel info:
; codeLenInByte = 0
; TotalNumSgprs: 0
; NumVgprs: 0
; ScratchSize: 0
; MemoryBound: 0
; FloatMode: 240
; IeeeMode: 1
; LDSByteSize: 0 bytes/workgroup (compile time only)
; SGPRBlocks: 0
; VGPRBlocks: 0
; NumSGPRsForWavesPerEU: 1
; NumVGPRsForWavesPerEU: 1
; NamedBarCnt: 0
; Occupancy: 16
; WaveLimiterHint : 0
; COMPUTE_PGM_RSRC2:SCRATCH_EN: 0
; COMPUTE_PGM_RSRC2:USER_SGPR: 2
; COMPUTE_PGM_RSRC2:TRAP_HANDLER: 0
; COMPUTE_PGM_RSRC2:TGID_X_EN: 1
; COMPUTE_PGM_RSRC2:TGID_Y_EN: 0
; COMPUTE_PGM_RSRC2:TGID_Z_EN: 0
; COMPUTE_PGM_RSRC2:TIDIG_COMP_CNT: 0
	.section	.text._ZN7rocprim17ROCPRIM_400000_NS6detail17trampoline_kernelINS0_14default_configENS1_38merge_sort_block_merge_config_selectorImNS0_10empty_typeEEEZZNS1_27merge_sort_block_merge_implIS3_PmPS5_jNS1_19radix_merge_compareILb0ELb0EmNS0_19identity_decomposerEEEEE10hipError_tT0_T1_T2_jT3_P12ihipStream_tbPNSt15iterator_traitsISE_E10value_typeEPNSK_ISF_E10value_typeEPSG_NS1_7vsmem_tEENKUlT_SE_SF_SG_E_clIS8_S8_S9_S9_EESD_ST_SE_SF_SG_EUlST_E_NS1_11comp_targetILNS1_3genE5ELNS1_11target_archE942ELNS1_3gpuE9ELNS1_3repE0EEENS1_48merge_mergepath_partition_config_static_selectorELNS0_4arch9wavefront6targetE0EEEvSF_,"axG",@progbits,_ZN7rocprim17ROCPRIM_400000_NS6detail17trampoline_kernelINS0_14default_configENS1_38merge_sort_block_merge_config_selectorImNS0_10empty_typeEEEZZNS1_27merge_sort_block_merge_implIS3_PmPS5_jNS1_19radix_merge_compareILb0ELb0EmNS0_19identity_decomposerEEEEE10hipError_tT0_T1_T2_jT3_P12ihipStream_tbPNSt15iterator_traitsISE_E10value_typeEPNSK_ISF_E10value_typeEPSG_NS1_7vsmem_tEENKUlT_SE_SF_SG_E_clIS8_S8_S9_S9_EESD_ST_SE_SF_SG_EUlST_E_NS1_11comp_targetILNS1_3genE5ELNS1_11target_archE942ELNS1_3gpuE9ELNS1_3repE0EEENS1_48merge_mergepath_partition_config_static_selectorELNS0_4arch9wavefront6targetE0EEEvSF_,comdat
	.protected	_ZN7rocprim17ROCPRIM_400000_NS6detail17trampoline_kernelINS0_14default_configENS1_38merge_sort_block_merge_config_selectorImNS0_10empty_typeEEEZZNS1_27merge_sort_block_merge_implIS3_PmPS5_jNS1_19radix_merge_compareILb0ELb0EmNS0_19identity_decomposerEEEEE10hipError_tT0_T1_T2_jT3_P12ihipStream_tbPNSt15iterator_traitsISE_E10value_typeEPNSK_ISF_E10value_typeEPSG_NS1_7vsmem_tEENKUlT_SE_SF_SG_E_clIS8_S8_S9_S9_EESD_ST_SE_SF_SG_EUlST_E_NS1_11comp_targetILNS1_3genE5ELNS1_11target_archE942ELNS1_3gpuE9ELNS1_3repE0EEENS1_48merge_mergepath_partition_config_static_selectorELNS0_4arch9wavefront6targetE0EEEvSF_ ; -- Begin function _ZN7rocprim17ROCPRIM_400000_NS6detail17trampoline_kernelINS0_14default_configENS1_38merge_sort_block_merge_config_selectorImNS0_10empty_typeEEEZZNS1_27merge_sort_block_merge_implIS3_PmPS5_jNS1_19radix_merge_compareILb0ELb0EmNS0_19identity_decomposerEEEEE10hipError_tT0_T1_T2_jT3_P12ihipStream_tbPNSt15iterator_traitsISE_E10value_typeEPNSK_ISF_E10value_typeEPSG_NS1_7vsmem_tEENKUlT_SE_SF_SG_E_clIS8_S8_S9_S9_EESD_ST_SE_SF_SG_EUlST_E_NS1_11comp_targetILNS1_3genE5ELNS1_11target_archE942ELNS1_3gpuE9ELNS1_3repE0EEENS1_48merge_mergepath_partition_config_static_selectorELNS0_4arch9wavefront6targetE0EEEvSF_
	.globl	_ZN7rocprim17ROCPRIM_400000_NS6detail17trampoline_kernelINS0_14default_configENS1_38merge_sort_block_merge_config_selectorImNS0_10empty_typeEEEZZNS1_27merge_sort_block_merge_implIS3_PmPS5_jNS1_19radix_merge_compareILb0ELb0EmNS0_19identity_decomposerEEEEE10hipError_tT0_T1_T2_jT3_P12ihipStream_tbPNSt15iterator_traitsISE_E10value_typeEPNSK_ISF_E10value_typeEPSG_NS1_7vsmem_tEENKUlT_SE_SF_SG_E_clIS8_S8_S9_S9_EESD_ST_SE_SF_SG_EUlST_E_NS1_11comp_targetILNS1_3genE5ELNS1_11target_archE942ELNS1_3gpuE9ELNS1_3repE0EEENS1_48merge_mergepath_partition_config_static_selectorELNS0_4arch9wavefront6targetE0EEEvSF_
	.p2align	8
	.type	_ZN7rocprim17ROCPRIM_400000_NS6detail17trampoline_kernelINS0_14default_configENS1_38merge_sort_block_merge_config_selectorImNS0_10empty_typeEEEZZNS1_27merge_sort_block_merge_implIS3_PmPS5_jNS1_19radix_merge_compareILb0ELb0EmNS0_19identity_decomposerEEEEE10hipError_tT0_T1_T2_jT3_P12ihipStream_tbPNSt15iterator_traitsISE_E10value_typeEPNSK_ISF_E10value_typeEPSG_NS1_7vsmem_tEENKUlT_SE_SF_SG_E_clIS8_S8_S9_S9_EESD_ST_SE_SF_SG_EUlST_E_NS1_11comp_targetILNS1_3genE5ELNS1_11target_archE942ELNS1_3gpuE9ELNS1_3repE0EEENS1_48merge_mergepath_partition_config_static_selectorELNS0_4arch9wavefront6targetE0EEEvSF_,@function
_ZN7rocprim17ROCPRIM_400000_NS6detail17trampoline_kernelINS0_14default_configENS1_38merge_sort_block_merge_config_selectorImNS0_10empty_typeEEEZZNS1_27merge_sort_block_merge_implIS3_PmPS5_jNS1_19radix_merge_compareILb0ELb0EmNS0_19identity_decomposerEEEEE10hipError_tT0_T1_T2_jT3_P12ihipStream_tbPNSt15iterator_traitsISE_E10value_typeEPNSK_ISF_E10value_typeEPSG_NS1_7vsmem_tEENKUlT_SE_SF_SG_E_clIS8_S8_S9_S9_EESD_ST_SE_SF_SG_EUlST_E_NS1_11comp_targetILNS1_3genE5ELNS1_11target_archE942ELNS1_3gpuE9ELNS1_3repE0EEENS1_48merge_mergepath_partition_config_static_selectorELNS0_4arch9wavefront6targetE0EEEvSF_: ; @_ZN7rocprim17ROCPRIM_400000_NS6detail17trampoline_kernelINS0_14default_configENS1_38merge_sort_block_merge_config_selectorImNS0_10empty_typeEEEZZNS1_27merge_sort_block_merge_implIS3_PmPS5_jNS1_19radix_merge_compareILb0ELb0EmNS0_19identity_decomposerEEEEE10hipError_tT0_T1_T2_jT3_P12ihipStream_tbPNSt15iterator_traitsISE_E10value_typeEPNSK_ISF_E10value_typeEPSG_NS1_7vsmem_tEENKUlT_SE_SF_SG_E_clIS8_S8_S9_S9_EESD_ST_SE_SF_SG_EUlST_E_NS1_11comp_targetILNS1_3genE5ELNS1_11target_archE942ELNS1_3gpuE9ELNS1_3repE0EEENS1_48merge_mergepath_partition_config_static_selectorELNS0_4arch9wavefront6targetE0EEEvSF_
; %bb.0:
	.section	.rodata,"a",@progbits
	.p2align	6, 0x0
	.amdhsa_kernel _ZN7rocprim17ROCPRIM_400000_NS6detail17trampoline_kernelINS0_14default_configENS1_38merge_sort_block_merge_config_selectorImNS0_10empty_typeEEEZZNS1_27merge_sort_block_merge_implIS3_PmPS5_jNS1_19radix_merge_compareILb0ELb0EmNS0_19identity_decomposerEEEEE10hipError_tT0_T1_T2_jT3_P12ihipStream_tbPNSt15iterator_traitsISE_E10value_typeEPNSK_ISF_E10value_typeEPSG_NS1_7vsmem_tEENKUlT_SE_SF_SG_E_clIS8_S8_S9_S9_EESD_ST_SE_SF_SG_EUlST_E_NS1_11comp_targetILNS1_3genE5ELNS1_11target_archE942ELNS1_3gpuE9ELNS1_3repE0EEENS1_48merge_mergepath_partition_config_static_selectorELNS0_4arch9wavefront6targetE0EEEvSF_
		.amdhsa_group_segment_fixed_size 0
		.amdhsa_private_segment_fixed_size 0
		.amdhsa_kernarg_size 40
		.amdhsa_user_sgpr_count 2
		.amdhsa_user_sgpr_dispatch_ptr 0
		.amdhsa_user_sgpr_queue_ptr 0
		.amdhsa_user_sgpr_kernarg_segment_ptr 1
		.amdhsa_user_sgpr_dispatch_id 0
		.amdhsa_user_sgpr_kernarg_preload_length 0
		.amdhsa_user_sgpr_kernarg_preload_offset 0
		.amdhsa_user_sgpr_private_segment_size 0
		.amdhsa_wavefront_size32 1
		.amdhsa_uses_dynamic_stack 0
		.amdhsa_enable_private_segment 0
		.amdhsa_system_sgpr_workgroup_id_x 1
		.amdhsa_system_sgpr_workgroup_id_y 0
		.amdhsa_system_sgpr_workgroup_id_z 0
		.amdhsa_system_sgpr_workgroup_info 0
		.amdhsa_system_vgpr_workitem_id 0
		.amdhsa_next_free_vgpr 1
		.amdhsa_next_free_sgpr 1
		.amdhsa_named_barrier_count 0
		.amdhsa_reserve_vcc 0
		.amdhsa_float_round_mode_32 0
		.amdhsa_float_round_mode_16_64 0
		.amdhsa_float_denorm_mode_32 3
		.amdhsa_float_denorm_mode_16_64 3
		.amdhsa_fp16_overflow 0
		.amdhsa_memory_ordered 1
		.amdhsa_forward_progress 1
		.amdhsa_inst_pref_size 0
		.amdhsa_round_robin_scheduling 0
		.amdhsa_exception_fp_ieee_invalid_op 0
		.amdhsa_exception_fp_denorm_src 0
		.amdhsa_exception_fp_ieee_div_zero 0
		.amdhsa_exception_fp_ieee_overflow 0
		.amdhsa_exception_fp_ieee_underflow 0
		.amdhsa_exception_fp_ieee_inexact 0
		.amdhsa_exception_int_div_zero 0
	.end_amdhsa_kernel
	.section	.text._ZN7rocprim17ROCPRIM_400000_NS6detail17trampoline_kernelINS0_14default_configENS1_38merge_sort_block_merge_config_selectorImNS0_10empty_typeEEEZZNS1_27merge_sort_block_merge_implIS3_PmPS5_jNS1_19radix_merge_compareILb0ELb0EmNS0_19identity_decomposerEEEEE10hipError_tT0_T1_T2_jT3_P12ihipStream_tbPNSt15iterator_traitsISE_E10value_typeEPNSK_ISF_E10value_typeEPSG_NS1_7vsmem_tEENKUlT_SE_SF_SG_E_clIS8_S8_S9_S9_EESD_ST_SE_SF_SG_EUlST_E_NS1_11comp_targetILNS1_3genE5ELNS1_11target_archE942ELNS1_3gpuE9ELNS1_3repE0EEENS1_48merge_mergepath_partition_config_static_selectorELNS0_4arch9wavefront6targetE0EEEvSF_,"axG",@progbits,_ZN7rocprim17ROCPRIM_400000_NS6detail17trampoline_kernelINS0_14default_configENS1_38merge_sort_block_merge_config_selectorImNS0_10empty_typeEEEZZNS1_27merge_sort_block_merge_implIS3_PmPS5_jNS1_19radix_merge_compareILb0ELb0EmNS0_19identity_decomposerEEEEE10hipError_tT0_T1_T2_jT3_P12ihipStream_tbPNSt15iterator_traitsISE_E10value_typeEPNSK_ISF_E10value_typeEPSG_NS1_7vsmem_tEENKUlT_SE_SF_SG_E_clIS8_S8_S9_S9_EESD_ST_SE_SF_SG_EUlST_E_NS1_11comp_targetILNS1_3genE5ELNS1_11target_archE942ELNS1_3gpuE9ELNS1_3repE0EEENS1_48merge_mergepath_partition_config_static_selectorELNS0_4arch9wavefront6targetE0EEEvSF_,comdat
.Lfunc_end2927:
	.size	_ZN7rocprim17ROCPRIM_400000_NS6detail17trampoline_kernelINS0_14default_configENS1_38merge_sort_block_merge_config_selectorImNS0_10empty_typeEEEZZNS1_27merge_sort_block_merge_implIS3_PmPS5_jNS1_19radix_merge_compareILb0ELb0EmNS0_19identity_decomposerEEEEE10hipError_tT0_T1_T2_jT3_P12ihipStream_tbPNSt15iterator_traitsISE_E10value_typeEPNSK_ISF_E10value_typeEPSG_NS1_7vsmem_tEENKUlT_SE_SF_SG_E_clIS8_S8_S9_S9_EESD_ST_SE_SF_SG_EUlST_E_NS1_11comp_targetILNS1_3genE5ELNS1_11target_archE942ELNS1_3gpuE9ELNS1_3repE0EEENS1_48merge_mergepath_partition_config_static_selectorELNS0_4arch9wavefront6targetE0EEEvSF_, .Lfunc_end2927-_ZN7rocprim17ROCPRIM_400000_NS6detail17trampoline_kernelINS0_14default_configENS1_38merge_sort_block_merge_config_selectorImNS0_10empty_typeEEEZZNS1_27merge_sort_block_merge_implIS3_PmPS5_jNS1_19radix_merge_compareILb0ELb0EmNS0_19identity_decomposerEEEEE10hipError_tT0_T1_T2_jT3_P12ihipStream_tbPNSt15iterator_traitsISE_E10value_typeEPNSK_ISF_E10value_typeEPSG_NS1_7vsmem_tEENKUlT_SE_SF_SG_E_clIS8_S8_S9_S9_EESD_ST_SE_SF_SG_EUlST_E_NS1_11comp_targetILNS1_3genE5ELNS1_11target_archE942ELNS1_3gpuE9ELNS1_3repE0EEENS1_48merge_mergepath_partition_config_static_selectorELNS0_4arch9wavefront6targetE0EEEvSF_
                                        ; -- End function
	.set _ZN7rocprim17ROCPRIM_400000_NS6detail17trampoline_kernelINS0_14default_configENS1_38merge_sort_block_merge_config_selectorImNS0_10empty_typeEEEZZNS1_27merge_sort_block_merge_implIS3_PmPS5_jNS1_19radix_merge_compareILb0ELb0EmNS0_19identity_decomposerEEEEE10hipError_tT0_T1_T2_jT3_P12ihipStream_tbPNSt15iterator_traitsISE_E10value_typeEPNSK_ISF_E10value_typeEPSG_NS1_7vsmem_tEENKUlT_SE_SF_SG_E_clIS8_S8_S9_S9_EESD_ST_SE_SF_SG_EUlST_E_NS1_11comp_targetILNS1_3genE5ELNS1_11target_archE942ELNS1_3gpuE9ELNS1_3repE0EEENS1_48merge_mergepath_partition_config_static_selectorELNS0_4arch9wavefront6targetE0EEEvSF_.num_vgpr, 0
	.set _ZN7rocprim17ROCPRIM_400000_NS6detail17trampoline_kernelINS0_14default_configENS1_38merge_sort_block_merge_config_selectorImNS0_10empty_typeEEEZZNS1_27merge_sort_block_merge_implIS3_PmPS5_jNS1_19radix_merge_compareILb0ELb0EmNS0_19identity_decomposerEEEEE10hipError_tT0_T1_T2_jT3_P12ihipStream_tbPNSt15iterator_traitsISE_E10value_typeEPNSK_ISF_E10value_typeEPSG_NS1_7vsmem_tEENKUlT_SE_SF_SG_E_clIS8_S8_S9_S9_EESD_ST_SE_SF_SG_EUlST_E_NS1_11comp_targetILNS1_3genE5ELNS1_11target_archE942ELNS1_3gpuE9ELNS1_3repE0EEENS1_48merge_mergepath_partition_config_static_selectorELNS0_4arch9wavefront6targetE0EEEvSF_.num_agpr, 0
	.set _ZN7rocprim17ROCPRIM_400000_NS6detail17trampoline_kernelINS0_14default_configENS1_38merge_sort_block_merge_config_selectorImNS0_10empty_typeEEEZZNS1_27merge_sort_block_merge_implIS3_PmPS5_jNS1_19radix_merge_compareILb0ELb0EmNS0_19identity_decomposerEEEEE10hipError_tT0_T1_T2_jT3_P12ihipStream_tbPNSt15iterator_traitsISE_E10value_typeEPNSK_ISF_E10value_typeEPSG_NS1_7vsmem_tEENKUlT_SE_SF_SG_E_clIS8_S8_S9_S9_EESD_ST_SE_SF_SG_EUlST_E_NS1_11comp_targetILNS1_3genE5ELNS1_11target_archE942ELNS1_3gpuE9ELNS1_3repE0EEENS1_48merge_mergepath_partition_config_static_selectorELNS0_4arch9wavefront6targetE0EEEvSF_.numbered_sgpr, 0
	.set _ZN7rocprim17ROCPRIM_400000_NS6detail17trampoline_kernelINS0_14default_configENS1_38merge_sort_block_merge_config_selectorImNS0_10empty_typeEEEZZNS1_27merge_sort_block_merge_implIS3_PmPS5_jNS1_19radix_merge_compareILb0ELb0EmNS0_19identity_decomposerEEEEE10hipError_tT0_T1_T2_jT3_P12ihipStream_tbPNSt15iterator_traitsISE_E10value_typeEPNSK_ISF_E10value_typeEPSG_NS1_7vsmem_tEENKUlT_SE_SF_SG_E_clIS8_S8_S9_S9_EESD_ST_SE_SF_SG_EUlST_E_NS1_11comp_targetILNS1_3genE5ELNS1_11target_archE942ELNS1_3gpuE9ELNS1_3repE0EEENS1_48merge_mergepath_partition_config_static_selectorELNS0_4arch9wavefront6targetE0EEEvSF_.num_named_barrier, 0
	.set _ZN7rocprim17ROCPRIM_400000_NS6detail17trampoline_kernelINS0_14default_configENS1_38merge_sort_block_merge_config_selectorImNS0_10empty_typeEEEZZNS1_27merge_sort_block_merge_implIS3_PmPS5_jNS1_19radix_merge_compareILb0ELb0EmNS0_19identity_decomposerEEEEE10hipError_tT0_T1_T2_jT3_P12ihipStream_tbPNSt15iterator_traitsISE_E10value_typeEPNSK_ISF_E10value_typeEPSG_NS1_7vsmem_tEENKUlT_SE_SF_SG_E_clIS8_S8_S9_S9_EESD_ST_SE_SF_SG_EUlST_E_NS1_11comp_targetILNS1_3genE5ELNS1_11target_archE942ELNS1_3gpuE9ELNS1_3repE0EEENS1_48merge_mergepath_partition_config_static_selectorELNS0_4arch9wavefront6targetE0EEEvSF_.private_seg_size, 0
	.set _ZN7rocprim17ROCPRIM_400000_NS6detail17trampoline_kernelINS0_14default_configENS1_38merge_sort_block_merge_config_selectorImNS0_10empty_typeEEEZZNS1_27merge_sort_block_merge_implIS3_PmPS5_jNS1_19radix_merge_compareILb0ELb0EmNS0_19identity_decomposerEEEEE10hipError_tT0_T1_T2_jT3_P12ihipStream_tbPNSt15iterator_traitsISE_E10value_typeEPNSK_ISF_E10value_typeEPSG_NS1_7vsmem_tEENKUlT_SE_SF_SG_E_clIS8_S8_S9_S9_EESD_ST_SE_SF_SG_EUlST_E_NS1_11comp_targetILNS1_3genE5ELNS1_11target_archE942ELNS1_3gpuE9ELNS1_3repE0EEENS1_48merge_mergepath_partition_config_static_selectorELNS0_4arch9wavefront6targetE0EEEvSF_.uses_vcc, 0
	.set _ZN7rocprim17ROCPRIM_400000_NS6detail17trampoline_kernelINS0_14default_configENS1_38merge_sort_block_merge_config_selectorImNS0_10empty_typeEEEZZNS1_27merge_sort_block_merge_implIS3_PmPS5_jNS1_19radix_merge_compareILb0ELb0EmNS0_19identity_decomposerEEEEE10hipError_tT0_T1_T2_jT3_P12ihipStream_tbPNSt15iterator_traitsISE_E10value_typeEPNSK_ISF_E10value_typeEPSG_NS1_7vsmem_tEENKUlT_SE_SF_SG_E_clIS8_S8_S9_S9_EESD_ST_SE_SF_SG_EUlST_E_NS1_11comp_targetILNS1_3genE5ELNS1_11target_archE942ELNS1_3gpuE9ELNS1_3repE0EEENS1_48merge_mergepath_partition_config_static_selectorELNS0_4arch9wavefront6targetE0EEEvSF_.uses_flat_scratch, 0
	.set _ZN7rocprim17ROCPRIM_400000_NS6detail17trampoline_kernelINS0_14default_configENS1_38merge_sort_block_merge_config_selectorImNS0_10empty_typeEEEZZNS1_27merge_sort_block_merge_implIS3_PmPS5_jNS1_19radix_merge_compareILb0ELb0EmNS0_19identity_decomposerEEEEE10hipError_tT0_T1_T2_jT3_P12ihipStream_tbPNSt15iterator_traitsISE_E10value_typeEPNSK_ISF_E10value_typeEPSG_NS1_7vsmem_tEENKUlT_SE_SF_SG_E_clIS8_S8_S9_S9_EESD_ST_SE_SF_SG_EUlST_E_NS1_11comp_targetILNS1_3genE5ELNS1_11target_archE942ELNS1_3gpuE9ELNS1_3repE0EEENS1_48merge_mergepath_partition_config_static_selectorELNS0_4arch9wavefront6targetE0EEEvSF_.has_dyn_sized_stack, 0
	.set _ZN7rocprim17ROCPRIM_400000_NS6detail17trampoline_kernelINS0_14default_configENS1_38merge_sort_block_merge_config_selectorImNS0_10empty_typeEEEZZNS1_27merge_sort_block_merge_implIS3_PmPS5_jNS1_19radix_merge_compareILb0ELb0EmNS0_19identity_decomposerEEEEE10hipError_tT0_T1_T2_jT3_P12ihipStream_tbPNSt15iterator_traitsISE_E10value_typeEPNSK_ISF_E10value_typeEPSG_NS1_7vsmem_tEENKUlT_SE_SF_SG_E_clIS8_S8_S9_S9_EESD_ST_SE_SF_SG_EUlST_E_NS1_11comp_targetILNS1_3genE5ELNS1_11target_archE942ELNS1_3gpuE9ELNS1_3repE0EEENS1_48merge_mergepath_partition_config_static_selectorELNS0_4arch9wavefront6targetE0EEEvSF_.has_recursion, 0
	.set _ZN7rocprim17ROCPRIM_400000_NS6detail17trampoline_kernelINS0_14default_configENS1_38merge_sort_block_merge_config_selectorImNS0_10empty_typeEEEZZNS1_27merge_sort_block_merge_implIS3_PmPS5_jNS1_19radix_merge_compareILb0ELb0EmNS0_19identity_decomposerEEEEE10hipError_tT0_T1_T2_jT3_P12ihipStream_tbPNSt15iterator_traitsISE_E10value_typeEPNSK_ISF_E10value_typeEPSG_NS1_7vsmem_tEENKUlT_SE_SF_SG_E_clIS8_S8_S9_S9_EESD_ST_SE_SF_SG_EUlST_E_NS1_11comp_targetILNS1_3genE5ELNS1_11target_archE942ELNS1_3gpuE9ELNS1_3repE0EEENS1_48merge_mergepath_partition_config_static_selectorELNS0_4arch9wavefront6targetE0EEEvSF_.has_indirect_call, 0
	.section	.AMDGPU.csdata,"",@progbits
; Kernel info:
; codeLenInByte = 0
; TotalNumSgprs: 0
; NumVgprs: 0
; ScratchSize: 0
; MemoryBound: 0
; FloatMode: 240
; IeeeMode: 1
; LDSByteSize: 0 bytes/workgroup (compile time only)
; SGPRBlocks: 0
; VGPRBlocks: 0
; NumSGPRsForWavesPerEU: 1
; NumVGPRsForWavesPerEU: 1
; NamedBarCnt: 0
; Occupancy: 16
; WaveLimiterHint : 0
; COMPUTE_PGM_RSRC2:SCRATCH_EN: 0
; COMPUTE_PGM_RSRC2:USER_SGPR: 2
; COMPUTE_PGM_RSRC2:TRAP_HANDLER: 0
; COMPUTE_PGM_RSRC2:TGID_X_EN: 1
; COMPUTE_PGM_RSRC2:TGID_Y_EN: 0
; COMPUTE_PGM_RSRC2:TGID_Z_EN: 0
; COMPUTE_PGM_RSRC2:TIDIG_COMP_CNT: 0
	.section	.text._ZN7rocprim17ROCPRIM_400000_NS6detail17trampoline_kernelINS0_14default_configENS1_38merge_sort_block_merge_config_selectorImNS0_10empty_typeEEEZZNS1_27merge_sort_block_merge_implIS3_PmPS5_jNS1_19radix_merge_compareILb0ELb0EmNS0_19identity_decomposerEEEEE10hipError_tT0_T1_T2_jT3_P12ihipStream_tbPNSt15iterator_traitsISE_E10value_typeEPNSK_ISF_E10value_typeEPSG_NS1_7vsmem_tEENKUlT_SE_SF_SG_E_clIS8_S8_S9_S9_EESD_ST_SE_SF_SG_EUlST_E_NS1_11comp_targetILNS1_3genE4ELNS1_11target_archE910ELNS1_3gpuE8ELNS1_3repE0EEENS1_48merge_mergepath_partition_config_static_selectorELNS0_4arch9wavefront6targetE0EEEvSF_,"axG",@progbits,_ZN7rocprim17ROCPRIM_400000_NS6detail17trampoline_kernelINS0_14default_configENS1_38merge_sort_block_merge_config_selectorImNS0_10empty_typeEEEZZNS1_27merge_sort_block_merge_implIS3_PmPS5_jNS1_19radix_merge_compareILb0ELb0EmNS0_19identity_decomposerEEEEE10hipError_tT0_T1_T2_jT3_P12ihipStream_tbPNSt15iterator_traitsISE_E10value_typeEPNSK_ISF_E10value_typeEPSG_NS1_7vsmem_tEENKUlT_SE_SF_SG_E_clIS8_S8_S9_S9_EESD_ST_SE_SF_SG_EUlST_E_NS1_11comp_targetILNS1_3genE4ELNS1_11target_archE910ELNS1_3gpuE8ELNS1_3repE0EEENS1_48merge_mergepath_partition_config_static_selectorELNS0_4arch9wavefront6targetE0EEEvSF_,comdat
	.protected	_ZN7rocprim17ROCPRIM_400000_NS6detail17trampoline_kernelINS0_14default_configENS1_38merge_sort_block_merge_config_selectorImNS0_10empty_typeEEEZZNS1_27merge_sort_block_merge_implIS3_PmPS5_jNS1_19radix_merge_compareILb0ELb0EmNS0_19identity_decomposerEEEEE10hipError_tT0_T1_T2_jT3_P12ihipStream_tbPNSt15iterator_traitsISE_E10value_typeEPNSK_ISF_E10value_typeEPSG_NS1_7vsmem_tEENKUlT_SE_SF_SG_E_clIS8_S8_S9_S9_EESD_ST_SE_SF_SG_EUlST_E_NS1_11comp_targetILNS1_3genE4ELNS1_11target_archE910ELNS1_3gpuE8ELNS1_3repE0EEENS1_48merge_mergepath_partition_config_static_selectorELNS0_4arch9wavefront6targetE0EEEvSF_ ; -- Begin function _ZN7rocprim17ROCPRIM_400000_NS6detail17trampoline_kernelINS0_14default_configENS1_38merge_sort_block_merge_config_selectorImNS0_10empty_typeEEEZZNS1_27merge_sort_block_merge_implIS3_PmPS5_jNS1_19radix_merge_compareILb0ELb0EmNS0_19identity_decomposerEEEEE10hipError_tT0_T1_T2_jT3_P12ihipStream_tbPNSt15iterator_traitsISE_E10value_typeEPNSK_ISF_E10value_typeEPSG_NS1_7vsmem_tEENKUlT_SE_SF_SG_E_clIS8_S8_S9_S9_EESD_ST_SE_SF_SG_EUlST_E_NS1_11comp_targetILNS1_3genE4ELNS1_11target_archE910ELNS1_3gpuE8ELNS1_3repE0EEENS1_48merge_mergepath_partition_config_static_selectorELNS0_4arch9wavefront6targetE0EEEvSF_
	.globl	_ZN7rocprim17ROCPRIM_400000_NS6detail17trampoline_kernelINS0_14default_configENS1_38merge_sort_block_merge_config_selectorImNS0_10empty_typeEEEZZNS1_27merge_sort_block_merge_implIS3_PmPS5_jNS1_19radix_merge_compareILb0ELb0EmNS0_19identity_decomposerEEEEE10hipError_tT0_T1_T2_jT3_P12ihipStream_tbPNSt15iterator_traitsISE_E10value_typeEPNSK_ISF_E10value_typeEPSG_NS1_7vsmem_tEENKUlT_SE_SF_SG_E_clIS8_S8_S9_S9_EESD_ST_SE_SF_SG_EUlST_E_NS1_11comp_targetILNS1_3genE4ELNS1_11target_archE910ELNS1_3gpuE8ELNS1_3repE0EEENS1_48merge_mergepath_partition_config_static_selectorELNS0_4arch9wavefront6targetE0EEEvSF_
	.p2align	8
	.type	_ZN7rocprim17ROCPRIM_400000_NS6detail17trampoline_kernelINS0_14default_configENS1_38merge_sort_block_merge_config_selectorImNS0_10empty_typeEEEZZNS1_27merge_sort_block_merge_implIS3_PmPS5_jNS1_19radix_merge_compareILb0ELb0EmNS0_19identity_decomposerEEEEE10hipError_tT0_T1_T2_jT3_P12ihipStream_tbPNSt15iterator_traitsISE_E10value_typeEPNSK_ISF_E10value_typeEPSG_NS1_7vsmem_tEENKUlT_SE_SF_SG_E_clIS8_S8_S9_S9_EESD_ST_SE_SF_SG_EUlST_E_NS1_11comp_targetILNS1_3genE4ELNS1_11target_archE910ELNS1_3gpuE8ELNS1_3repE0EEENS1_48merge_mergepath_partition_config_static_selectorELNS0_4arch9wavefront6targetE0EEEvSF_,@function
_ZN7rocprim17ROCPRIM_400000_NS6detail17trampoline_kernelINS0_14default_configENS1_38merge_sort_block_merge_config_selectorImNS0_10empty_typeEEEZZNS1_27merge_sort_block_merge_implIS3_PmPS5_jNS1_19radix_merge_compareILb0ELb0EmNS0_19identity_decomposerEEEEE10hipError_tT0_T1_T2_jT3_P12ihipStream_tbPNSt15iterator_traitsISE_E10value_typeEPNSK_ISF_E10value_typeEPSG_NS1_7vsmem_tEENKUlT_SE_SF_SG_E_clIS8_S8_S9_S9_EESD_ST_SE_SF_SG_EUlST_E_NS1_11comp_targetILNS1_3genE4ELNS1_11target_archE910ELNS1_3gpuE8ELNS1_3repE0EEENS1_48merge_mergepath_partition_config_static_selectorELNS0_4arch9wavefront6targetE0EEEvSF_: ; @_ZN7rocprim17ROCPRIM_400000_NS6detail17trampoline_kernelINS0_14default_configENS1_38merge_sort_block_merge_config_selectorImNS0_10empty_typeEEEZZNS1_27merge_sort_block_merge_implIS3_PmPS5_jNS1_19radix_merge_compareILb0ELb0EmNS0_19identity_decomposerEEEEE10hipError_tT0_T1_T2_jT3_P12ihipStream_tbPNSt15iterator_traitsISE_E10value_typeEPNSK_ISF_E10value_typeEPSG_NS1_7vsmem_tEENKUlT_SE_SF_SG_E_clIS8_S8_S9_S9_EESD_ST_SE_SF_SG_EUlST_E_NS1_11comp_targetILNS1_3genE4ELNS1_11target_archE910ELNS1_3gpuE8ELNS1_3repE0EEENS1_48merge_mergepath_partition_config_static_selectorELNS0_4arch9wavefront6targetE0EEEvSF_
; %bb.0:
	.section	.rodata,"a",@progbits
	.p2align	6, 0x0
	.amdhsa_kernel _ZN7rocprim17ROCPRIM_400000_NS6detail17trampoline_kernelINS0_14default_configENS1_38merge_sort_block_merge_config_selectorImNS0_10empty_typeEEEZZNS1_27merge_sort_block_merge_implIS3_PmPS5_jNS1_19radix_merge_compareILb0ELb0EmNS0_19identity_decomposerEEEEE10hipError_tT0_T1_T2_jT3_P12ihipStream_tbPNSt15iterator_traitsISE_E10value_typeEPNSK_ISF_E10value_typeEPSG_NS1_7vsmem_tEENKUlT_SE_SF_SG_E_clIS8_S8_S9_S9_EESD_ST_SE_SF_SG_EUlST_E_NS1_11comp_targetILNS1_3genE4ELNS1_11target_archE910ELNS1_3gpuE8ELNS1_3repE0EEENS1_48merge_mergepath_partition_config_static_selectorELNS0_4arch9wavefront6targetE0EEEvSF_
		.amdhsa_group_segment_fixed_size 0
		.amdhsa_private_segment_fixed_size 0
		.amdhsa_kernarg_size 40
		.amdhsa_user_sgpr_count 2
		.amdhsa_user_sgpr_dispatch_ptr 0
		.amdhsa_user_sgpr_queue_ptr 0
		.amdhsa_user_sgpr_kernarg_segment_ptr 1
		.amdhsa_user_sgpr_dispatch_id 0
		.amdhsa_user_sgpr_kernarg_preload_length 0
		.amdhsa_user_sgpr_kernarg_preload_offset 0
		.amdhsa_user_sgpr_private_segment_size 0
		.amdhsa_wavefront_size32 1
		.amdhsa_uses_dynamic_stack 0
		.amdhsa_enable_private_segment 0
		.amdhsa_system_sgpr_workgroup_id_x 1
		.amdhsa_system_sgpr_workgroup_id_y 0
		.amdhsa_system_sgpr_workgroup_id_z 0
		.amdhsa_system_sgpr_workgroup_info 0
		.amdhsa_system_vgpr_workitem_id 0
		.amdhsa_next_free_vgpr 1
		.amdhsa_next_free_sgpr 1
		.amdhsa_named_barrier_count 0
		.amdhsa_reserve_vcc 0
		.amdhsa_float_round_mode_32 0
		.amdhsa_float_round_mode_16_64 0
		.amdhsa_float_denorm_mode_32 3
		.amdhsa_float_denorm_mode_16_64 3
		.amdhsa_fp16_overflow 0
		.amdhsa_memory_ordered 1
		.amdhsa_forward_progress 1
		.amdhsa_inst_pref_size 0
		.amdhsa_round_robin_scheduling 0
		.amdhsa_exception_fp_ieee_invalid_op 0
		.amdhsa_exception_fp_denorm_src 0
		.amdhsa_exception_fp_ieee_div_zero 0
		.amdhsa_exception_fp_ieee_overflow 0
		.amdhsa_exception_fp_ieee_underflow 0
		.amdhsa_exception_fp_ieee_inexact 0
		.amdhsa_exception_int_div_zero 0
	.end_amdhsa_kernel
	.section	.text._ZN7rocprim17ROCPRIM_400000_NS6detail17trampoline_kernelINS0_14default_configENS1_38merge_sort_block_merge_config_selectorImNS0_10empty_typeEEEZZNS1_27merge_sort_block_merge_implIS3_PmPS5_jNS1_19radix_merge_compareILb0ELb0EmNS0_19identity_decomposerEEEEE10hipError_tT0_T1_T2_jT3_P12ihipStream_tbPNSt15iterator_traitsISE_E10value_typeEPNSK_ISF_E10value_typeEPSG_NS1_7vsmem_tEENKUlT_SE_SF_SG_E_clIS8_S8_S9_S9_EESD_ST_SE_SF_SG_EUlST_E_NS1_11comp_targetILNS1_3genE4ELNS1_11target_archE910ELNS1_3gpuE8ELNS1_3repE0EEENS1_48merge_mergepath_partition_config_static_selectorELNS0_4arch9wavefront6targetE0EEEvSF_,"axG",@progbits,_ZN7rocprim17ROCPRIM_400000_NS6detail17trampoline_kernelINS0_14default_configENS1_38merge_sort_block_merge_config_selectorImNS0_10empty_typeEEEZZNS1_27merge_sort_block_merge_implIS3_PmPS5_jNS1_19radix_merge_compareILb0ELb0EmNS0_19identity_decomposerEEEEE10hipError_tT0_T1_T2_jT3_P12ihipStream_tbPNSt15iterator_traitsISE_E10value_typeEPNSK_ISF_E10value_typeEPSG_NS1_7vsmem_tEENKUlT_SE_SF_SG_E_clIS8_S8_S9_S9_EESD_ST_SE_SF_SG_EUlST_E_NS1_11comp_targetILNS1_3genE4ELNS1_11target_archE910ELNS1_3gpuE8ELNS1_3repE0EEENS1_48merge_mergepath_partition_config_static_selectorELNS0_4arch9wavefront6targetE0EEEvSF_,comdat
.Lfunc_end2928:
	.size	_ZN7rocprim17ROCPRIM_400000_NS6detail17trampoline_kernelINS0_14default_configENS1_38merge_sort_block_merge_config_selectorImNS0_10empty_typeEEEZZNS1_27merge_sort_block_merge_implIS3_PmPS5_jNS1_19radix_merge_compareILb0ELb0EmNS0_19identity_decomposerEEEEE10hipError_tT0_T1_T2_jT3_P12ihipStream_tbPNSt15iterator_traitsISE_E10value_typeEPNSK_ISF_E10value_typeEPSG_NS1_7vsmem_tEENKUlT_SE_SF_SG_E_clIS8_S8_S9_S9_EESD_ST_SE_SF_SG_EUlST_E_NS1_11comp_targetILNS1_3genE4ELNS1_11target_archE910ELNS1_3gpuE8ELNS1_3repE0EEENS1_48merge_mergepath_partition_config_static_selectorELNS0_4arch9wavefront6targetE0EEEvSF_, .Lfunc_end2928-_ZN7rocprim17ROCPRIM_400000_NS6detail17trampoline_kernelINS0_14default_configENS1_38merge_sort_block_merge_config_selectorImNS0_10empty_typeEEEZZNS1_27merge_sort_block_merge_implIS3_PmPS5_jNS1_19radix_merge_compareILb0ELb0EmNS0_19identity_decomposerEEEEE10hipError_tT0_T1_T2_jT3_P12ihipStream_tbPNSt15iterator_traitsISE_E10value_typeEPNSK_ISF_E10value_typeEPSG_NS1_7vsmem_tEENKUlT_SE_SF_SG_E_clIS8_S8_S9_S9_EESD_ST_SE_SF_SG_EUlST_E_NS1_11comp_targetILNS1_3genE4ELNS1_11target_archE910ELNS1_3gpuE8ELNS1_3repE0EEENS1_48merge_mergepath_partition_config_static_selectorELNS0_4arch9wavefront6targetE0EEEvSF_
                                        ; -- End function
	.set _ZN7rocprim17ROCPRIM_400000_NS6detail17trampoline_kernelINS0_14default_configENS1_38merge_sort_block_merge_config_selectorImNS0_10empty_typeEEEZZNS1_27merge_sort_block_merge_implIS3_PmPS5_jNS1_19radix_merge_compareILb0ELb0EmNS0_19identity_decomposerEEEEE10hipError_tT0_T1_T2_jT3_P12ihipStream_tbPNSt15iterator_traitsISE_E10value_typeEPNSK_ISF_E10value_typeEPSG_NS1_7vsmem_tEENKUlT_SE_SF_SG_E_clIS8_S8_S9_S9_EESD_ST_SE_SF_SG_EUlST_E_NS1_11comp_targetILNS1_3genE4ELNS1_11target_archE910ELNS1_3gpuE8ELNS1_3repE0EEENS1_48merge_mergepath_partition_config_static_selectorELNS0_4arch9wavefront6targetE0EEEvSF_.num_vgpr, 0
	.set _ZN7rocprim17ROCPRIM_400000_NS6detail17trampoline_kernelINS0_14default_configENS1_38merge_sort_block_merge_config_selectorImNS0_10empty_typeEEEZZNS1_27merge_sort_block_merge_implIS3_PmPS5_jNS1_19radix_merge_compareILb0ELb0EmNS0_19identity_decomposerEEEEE10hipError_tT0_T1_T2_jT3_P12ihipStream_tbPNSt15iterator_traitsISE_E10value_typeEPNSK_ISF_E10value_typeEPSG_NS1_7vsmem_tEENKUlT_SE_SF_SG_E_clIS8_S8_S9_S9_EESD_ST_SE_SF_SG_EUlST_E_NS1_11comp_targetILNS1_3genE4ELNS1_11target_archE910ELNS1_3gpuE8ELNS1_3repE0EEENS1_48merge_mergepath_partition_config_static_selectorELNS0_4arch9wavefront6targetE0EEEvSF_.num_agpr, 0
	.set _ZN7rocprim17ROCPRIM_400000_NS6detail17trampoline_kernelINS0_14default_configENS1_38merge_sort_block_merge_config_selectorImNS0_10empty_typeEEEZZNS1_27merge_sort_block_merge_implIS3_PmPS5_jNS1_19radix_merge_compareILb0ELb0EmNS0_19identity_decomposerEEEEE10hipError_tT0_T1_T2_jT3_P12ihipStream_tbPNSt15iterator_traitsISE_E10value_typeEPNSK_ISF_E10value_typeEPSG_NS1_7vsmem_tEENKUlT_SE_SF_SG_E_clIS8_S8_S9_S9_EESD_ST_SE_SF_SG_EUlST_E_NS1_11comp_targetILNS1_3genE4ELNS1_11target_archE910ELNS1_3gpuE8ELNS1_3repE0EEENS1_48merge_mergepath_partition_config_static_selectorELNS0_4arch9wavefront6targetE0EEEvSF_.numbered_sgpr, 0
	.set _ZN7rocprim17ROCPRIM_400000_NS6detail17trampoline_kernelINS0_14default_configENS1_38merge_sort_block_merge_config_selectorImNS0_10empty_typeEEEZZNS1_27merge_sort_block_merge_implIS3_PmPS5_jNS1_19radix_merge_compareILb0ELb0EmNS0_19identity_decomposerEEEEE10hipError_tT0_T1_T2_jT3_P12ihipStream_tbPNSt15iterator_traitsISE_E10value_typeEPNSK_ISF_E10value_typeEPSG_NS1_7vsmem_tEENKUlT_SE_SF_SG_E_clIS8_S8_S9_S9_EESD_ST_SE_SF_SG_EUlST_E_NS1_11comp_targetILNS1_3genE4ELNS1_11target_archE910ELNS1_3gpuE8ELNS1_3repE0EEENS1_48merge_mergepath_partition_config_static_selectorELNS0_4arch9wavefront6targetE0EEEvSF_.num_named_barrier, 0
	.set _ZN7rocprim17ROCPRIM_400000_NS6detail17trampoline_kernelINS0_14default_configENS1_38merge_sort_block_merge_config_selectorImNS0_10empty_typeEEEZZNS1_27merge_sort_block_merge_implIS3_PmPS5_jNS1_19radix_merge_compareILb0ELb0EmNS0_19identity_decomposerEEEEE10hipError_tT0_T1_T2_jT3_P12ihipStream_tbPNSt15iterator_traitsISE_E10value_typeEPNSK_ISF_E10value_typeEPSG_NS1_7vsmem_tEENKUlT_SE_SF_SG_E_clIS8_S8_S9_S9_EESD_ST_SE_SF_SG_EUlST_E_NS1_11comp_targetILNS1_3genE4ELNS1_11target_archE910ELNS1_3gpuE8ELNS1_3repE0EEENS1_48merge_mergepath_partition_config_static_selectorELNS0_4arch9wavefront6targetE0EEEvSF_.private_seg_size, 0
	.set _ZN7rocprim17ROCPRIM_400000_NS6detail17trampoline_kernelINS0_14default_configENS1_38merge_sort_block_merge_config_selectorImNS0_10empty_typeEEEZZNS1_27merge_sort_block_merge_implIS3_PmPS5_jNS1_19radix_merge_compareILb0ELb0EmNS0_19identity_decomposerEEEEE10hipError_tT0_T1_T2_jT3_P12ihipStream_tbPNSt15iterator_traitsISE_E10value_typeEPNSK_ISF_E10value_typeEPSG_NS1_7vsmem_tEENKUlT_SE_SF_SG_E_clIS8_S8_S9_S9_EESD_ST_SE_SF_SG_EUlST_E_NS1_11comp_targetILNS1_3genE4ELNS1_11target_archE910ELNS1_3gpuE8ELNS1_3repE0EEENS1_48merge_mergepath_partition_config_static_selectorELNS0_4arch9wavefront6targetE0EEEvSF_.uses_vcc, 0
	.set _ZN7rocprim17ROCPRIM_400000_NS6detail17trampoline_kernelINS0_14default_configENS1_38merge_sort_block_merge_config_selectorImNS0_10empty_typeEEEZZNS1_27merge_sort_block_merge_implIS3_PmPS5_jNS1_19radix_merge_compareILb0ELb0EmNS0_19identity_decomposerEEEEE10hipError_tT0_T1_T2_jT3_P12ihipStream_tbPNSt15iterator_traitsISE_E10value_typeEPNSK_ISF_E10value_typeEPSG_NS1_7vsmem_tEENKUlT_SE_SF_SG_E_clIS8_S8_S9_S9_EESD_ST_SE_SF_SG_EUlST_E_NS1_11comp_targetILNS1_3genE4ELNS1_11target_archE910ELNS1_3gpuE8ELNS1_3repE0EEENS1_48merge_mergepath_partition_config_static_selectorELNS0_4arch9wavefront6targetE0EEEvSF_.uses_flat_scratch, 0
	.set _ZN7rocprim17ROCPRIM_400000_NS6detail17trampoline_kernelINS0_14default_configENS1_38merge_sort_block_merge_config_selectorImNS0_10empty_typeEEEZZNS1_27merge_sort_block_merge_implIS3_PmPS5_jNS1_19radix_merge_compareILb0ELb0EmNS0_19identity_decomposerEEEEE10hipError_tT0_T1_T2_jT3_P12ihipStream_tbPNSt15iterator_traitsISE_E10value_typeEPNSK_ISF_E10value_typeEPSG_NS1_7vsmem_tEENKUlT_SE_SF_SG_E_clIS8_S8_S9_S9_EESD_ST_SE_SF_SG_EUlST_E_NS1_11comp_targetILNS1_3genE4ELNS1_11target_archE910ELNS1_3gpuE8ELNS1_3repE0EEENS1_48merge_mergepath_partition_config_static_selectorELNS0_4arch9wavefront6targetE0EEEvSF_.has_dyn_sized_stack, 0
	.set _ZN7rocprim17ROCPRIM_400000_NS6detail17trampoline_kernelINS0_14default_configENS1_38merge_sort_block_merge_config_selectorImNS0_10empty_typeEEEZZNS1_27merge_sort_block_merge_implIS3_PmPS5_jNS1_19radix_merge_compareILb0ELb0EmNS0_19identity_decomposerEEEEE10hipError_tT0_T1_T2_jT3_P12ihipStream_tbPNSt15iterator_traitsISE_E10value_typeEPNSK_ISF_E10value_typeEPSG_NS1_7vsmem_tEENKUlT_SE_SF_SG_E_clIS8_S8_S9_S9_EESD_ST_SE_SF_SG_EUlST_E_NS1_11comp_targetILNS1_3genE4ELNS1_11target_archE910ELNS1_3gpuE8ELNS1_3repE0EEENS1_48merge_mergepath_partition_config_static_selectorELNS0_4arch9wavefront6targetE0EEEvSF_.has_recursion, 0
	.set _ZN7rocprim17ROCPRIM_400000_NS6detail17trampoline_kernelINS0_14default_configENS1_38merge_sort_block_merge_config_selectorImNS0_10empty_typeEEEZZNS1_27merge_sort_block_merge_implIS3_PmPS5_jNS1_19radix_merge_compareILb0ELb0EmNS0_19identity_decomposerEEEEE10hipError_tT0_T1_T2_jT3_P12ihipStream_tbPNSt15iterator_traitsISE_E10value_typeEPNSK_ISF_E10value_typeEPSG_NS1_7vsmem_tEENKUlT_SE_SF_SG_E_clIS8_S8_S9_S9_EESD_ST_SE_SF_SG_EUlST_E_NS1_11comp_targetILNS1_3genE4ELNS1_11target_archE910ELNS1_3gpuE8ELNS1_3repE0EEENS1_48merge_mergepath_partition_config_static_selectorELNS0_4arch9wavefront6targetE0EEEvSF_.has_indirect_call, 0
	.section	.AMDGPU.csdata,"",@progbits
; Kernel info:
; codeLenInByte = 0
; TotalNumSgprs: 0
; NumVgprs: 0
; ScratchSize: 0
; MemoryBound: 0
; FloatMode: 240
; IeeeMode: 1
; LDSByteSize: 0 bytes/workgroup (compile time only)
; SGPRBlocks: 0
; VGPRBlocks: 0
; NumSGPRsForWavesPerEU: 1
; NumVGPRsForWavesPerEU: 1
; NamedBarCnt: 0
; Occupancy: 16
; WaveLimiterHint : 0
; COMPUTE_PGM_RSRC2:SCRATCH_EN: 0
; COMPUTE_PGM_RSRC2:USER_SGPR: 2
; COMPUTE_PGM_RSRC2:TRAP_HANDLER: 0
; COMPUTE_PGM_RSRC2:TGID_X_EN: 1
; COMPUTE_PGM_RSRC2:TGID_Y_EN: 0
; COMPUTE_PGM_RSRC2:TGID_Z_EN: 0
; COMPUTE_PGM_RSRC2:TIDIG_COMP_CNT: 0
	.section	.text._ZN7rocprim17ROCPRIM_400000_NS6detail17trampoline_kernelINS0_14default_configENS1_38merge_sort_block_merge_config_selectorImNS0_10empty_typeEEEZZNS1_27merge_sort_block_merge_implIS3_PmPS5_jNS1_19radix_merge_compareILb0ELb0EmNS0_19identity_decomposerEEEEE10hipError_tT0_T1_T2_jT3_P12ihipStream_tbPNSt15iterator_traitsISE_E10value_typeEPNSK_ISF_E10value_typeEPSG_NS1_7vsmem_tEENKUlT_SE_SF_SG_E_clIS8_S8_S9_S9_EESD_ST_SE_SF_SG_EUlST_E_NS1_11comp_targetILNS1_3genE3ELNS1_11target_archE908ELNS1_3gpuE7ELNS1_3repE0EEENS1_48merge_mergepath_partition_config_static_selectorELNS0_4arch9wavefront6targetE0EEEvSF_,"axG",@progbits,_ZN7rocprim17ROCPRIM_400000_NS6detail17trampoline_kernelINS0_14default_configENS1_38merge_sort_block_merge_config_selectorImNS0_10empty_typeEEEZZNS1_27merge_sort_block_merge_implIS3_PmPS5_jNS1_19radix_merge_compareILb0ELb0EmNS0_19identity_decomposerEEEEE10hipError_tT0_T1_T2_jT3_P12ihipStream_tbPNSt15iterator_traitsISE_E10value_typeEPNSK_ISF_E10value_typeEPSG_NS1_7vsmem_tEENKUlT_SE_SF_SG_E_clIS8_S8_S9_S9_EESD_ST_SE_SF_SG_EUlST_E_NS1_11comp_targetILNS1_3genE3ELNS1_11target_archE908ELNS1_3gpuE7ELNS1_3repE0EEENS1_48merge_mergepath_partition_config_static_selectorELNS0_4arch9wavefront6targetE0EEEvSF_,comdat
	.protected	_ZN7rocprim17ROCPRIM_400000_NS6detail17trampoline_kernelINS0_14default_configENS1_38merge_sort_block_merge_config_selectorImNS0_10empty_typeEEEZZNS1_27merge_sort_block_merge_implIS3_PmPS5_jNS1_19radix_merge_compareILb0ELb0EmNS0_19identity_decomposerEEEEE10hipError_tT0_T1_T2_jT3_P12ihipStream_tbPNSt15iterator_traitsISE_E10value_typeEPNSK_ISF_E10value_typeEPSG_NS1_7vsmem_tEENKUlT_SE_SF_SG_E_clIS8_S8_S9_S9_EESD_ST_SE_SF_SG_EUlST_E_NS1_11comp_targetILNS1_3genE3ELNS1_11target_archE908ELNS1_3gpuE7ELNS1_3repE0EEENS1_48merge_mergepath_partition_config_static_selectorELNS0_4arch9wavefront6targetE0EEEvSF_ ; -- Begin function _ZN7rocprim17ROCPRIM_400000_NS6detail17trampoline_kernelINS0_14default_configENS1_38merge_sort_block_merge_config_selectorImNS0_10empty_typeEEEZZNS1_27merge_sort_block_merge_implIS3_PmPS5_jNS1_19radix_merge_compareILb0ELb0EmNS0_19identity_decomposerEEEEE10hipError_tT0_T1_T2_jT3_P12ihipStream_tbPNSt15iterator_traitsISE_E10value_typeEPNSK_ISF_E10value_typeEPSG_NS1_7vsmem_tEENKUlT_SE_SF_SG_E_clIS8_S8_S9_S9_EESD_ST_SE_SF_SG_EUlST_E_NS1_11comp_targetILNS1_3genE3ELNS1_11target_archE908ELNS1_3gpuE7ELNS1_3repE0EEENS1_48merge_mergepath_partition_config_static_selectorELNS0_4arch9wavefront6targetE0EEEvSF_
	.globl	_ZN7rocprim17ROCPRIM_400000_NS6detail17trampoline_kernelINS0_14default_configENS1_38merge_sort_block_merge_config_selectorImNS0_10empty_typeEEEZZNS1_27merge_sort_block_merge_implIS3_PmPS5_jNS1_19radix_merge_compareILb0ELb0EmNS0_19identity_decomposerEEEEE10hipError_tT0_T1_T2_jT3_P12ihipStream_tbPNSt15iterator_traitsISE_E10value_typeEPNSK_ISF_E10value_typeEPSG_NS1_7vsmem_tEENKUlT_SE_SF_SG_E_clIS8_S8_S9_S9_EESD_ST_SE_SF_SG_EUlST_E_NS1_11comp_targetILNS1_3genE3ELNS1_11target_archE908ELNS1_3gpuE7ELNS1_3repE0EEENS1_48merge_mergepath_partition_config_static_selectorELNS0_4arch9wavefront6targetE0EEEvSF_
	.p2align	8
	.type	_ZN7rocprim17ROCPRIM_400000_NS6detail17trampoline_kernelINS0_14default_configENS1_38merge_sort_block_merge_config_selectorImNS0_10empty_typeEEEZZNS1_27merge_sort_block_merge_implIS3_PmPS5_jNS1_19radix_merge_compareILb0ELb0EmNS0_19identity_decomposerEEEEE10hipError_tT0_T1_T2_jT3_P12ihipStream_tbPNSt15iterator_traitsISE_E10value_typeEPNSK_ISF_E10value_typeEPSG_NS1_7vsmem_tEENKUlT_SE_SF_SG_E_clIS8_S8_S9_S9_EESD_ST_SE_SF_SG_EUlST_E_NS1_11comp_targetILNS1_3genE3ELNS1_11target_archE908ELNS1_3gpuE7ELNS1_3repE0EEENS1_48merge_mergepath_partition_config_static_selectorELNS0_4arch9wavefront6targetE0EEEvSF_,@function
_ZN7rocprim17ROCPRIM_400000_NS6detail17trampoline_kernelINS0_14default_configENS1_38merge_sort_block_merge_config_selectorImNS0_10empty_typeEEEZZNS1_27merge_sort_block_merge_implIS3_PmPS5_jNS1_19radix_merge_compareILb0ELb0EmNS0_19identity_decomposerEEEEE10hipError_tT0_T1_T2_jT3_P12ihipStream_tbPNSt15iterator_traitsISE_E10value_typeEPNSK_ISF_E10value_typeEPSG_NS1_7vsmem_tEENKUlT_SE_SF_SG_E_clIS8_S8_S9_S9_EESD_ST_SE_SF_SG_EUlST_E_NS1_11comp_targetILNS1_3genE3ELNS1_11target_archE908ELNS1_3gpuE7ELNS1_3repE0EEENS1_48merge_mergepath_partition_config_static_selectorELNS0_4arch9wavefront6targetE0EEEvSF_: ; @_ZN7rocprim17ROCPRIM_400000_NS6detail17trampoline_kernelINS0_14default_configENS1_38merge_sort_block_merge_config_selectorImNS0_10empty_typeEEEZZNS1_27merge_sort_block_merge_implIS3_PmPS5_jNS1_19radix_merge_compareILb0ELb0EmNS0_19identity_decomposerEEEEE10hipError_tT0_T1_T2_jT3_P12ihipStream_tbPNSt15iterator_traitsISE_E10value_typeEPNSK_ISF_E10value_typeEPSG_NS1_7vsmem_tEENKUlT_SE_SF_SG_E_clIS8_S8_S9_S9_EESD_ST_SE_SF_SG_EUlST_E_NS1_11comp_targetILNS1_3genE3ELNS1_11target_archE908ELNS1_3gpuE7ELNS1_3repE0EEENS1_48merge_mergepath_partition_config_static_selectorELNS0_4arch9wavefront6targetE0EEEvSF_
; %bb.0:
	.section	.rodata,"a",@progbits
	.p2align	6, 0x0
	.amdhsa_kernel _ZN7rocprim17ROCPRIM_400000_NS6detail17trampoline_kernelINS0_14default_configENS1_38merge_sort_block_merge_config_selectorImNS0_10empty_typeEEEZZNS1_27merge_sort_block_merge_implIS3_PmPS5_jNS1_19radix_merge_compareILb0ELb0EmNS0_19identity_decomposerEEEEE10hipError_tT0_T1_T2_jT3_P12ihipStream_tbPNSt15iterator_traitsISE_E10value_typeEPNSK_ISF_E10value_typeEPSG_NS1_7vsmem_tEENKUlT_SE_SF_SG_E_clIS8_S8_S9_S9_EESD_ST_SE_SF_SG_EUlST_E_NS1_11comp_targetILNS1_3genE3ELNS1_11target_archE908ELNS1_3gpuE7ELNS1_3repE0EEENS1_48merge_mergepath_partition_config_static_selectorELNS0_4arch9wavefront6targetE0EEEvSF_
		.amdhsa_group_segment_fixed_size 0
		.amdhsa_private_segment_fixed_size 0
		.amdhsa_kernarg_size 40
		.amdhsa_user_sgpr_count 2
		.amdhsa_user_sgpr_dispatch_ptr 0
		.amdhsa_user_sgpr_queue_ptr 0
		.amdhsa_user_sgpr_kernarg_segment_ptr 1
		.amdhsa_user_sgpr_dispatch_id 0
		.amdhsa_user_sgpr_kernarg_preload_length 0
		.amdhsa_user_sgpr_kernarg_preload_offset 0
		.amdhsa_user_sgpr_private_segment_size 0
		.amdhsa_wavefront_size32 1
		.amdhsa_uses_dynamic_stack 0
		.amdhsa_enable_private_segment 0
		.amdhsa_system_sgpr_workgroup_id_x 1
		.amdhsa_system_sgpr_workgroup_id_y 0
		.amdhsa_system_sgpr_workgroup_id_z 0
		.amdhsa_system_sgpr_workgroup_info 0
		.amdhsa_system_vgpr_workitem_id 0
		.amdhsa_next_free_vgpr 1
		.amdhsa_next_free_sgpr 1
		.amdhsa_named_barrier_count 0
		.amdhsa_reserve_vcc 0
		.amdhsa_float_round_mode_32 0
		.amdhsa_float_round_mode_16_64 0
		.amdhsa_float_denorm_mode_32 3
		.amdhsa_float_denorm_mode_16_64 3
		.amdhsa_fp16_overflow 0
		.amdhsa_memory_ordered 1
		.amdhsa_forward_progress 1
		.amdhsa_inst_pref_size 0
		.amdhsa_round_robin_scheduling 0
		.amdhsa_exception_fp_ieee_invalid_op 0
		.amdhsa_exception_fp_denorm_src 0
		.amdhsa_exception_fp_ieee_div_zero 0
		.amdhsa_exception_fp_ieee_overflow 0
		.amdhsa_exception_fp_ieee_underflow 0
		.amdhsa_exception_fp_ieee_inexact 0
		.amdhsa_exception_int_div_zero 0
	.end_amdhsa_kernel
	.section	.text._ZN7rocprim17ROCPRIM_400000_NS6detail17trampoline_kernelINS0_14default_configENS1_38merge_sort_block_merge_config_selectorImNS0_10empty_typeEEEZZNS1_27merge_sort_block_merge_implIS3_PmPS5_jNS1_19radix_merge_compareILb0ELb0EmNS0_19identity_decomposerEEEEE10hipError_tT0_T1_T2_jT3_P12ihipStream_tbPNSt15iterator_traitsISE_E10value_typeEPNSK_ISF_E10value_typeEPSG_NS1_7vsmem_tEENKUlT_SE_SF_SG_E_clIS8_S8_S9_S9_EESD_ST_SE_SF_SG_EUlST_E_NS1_11comp_targetILNS1_3genE3ELNS1_11target_archE908ELNS1_3gpuE7ELNS1_3repE0EEENS1_48merge_mergepath_partition_config_static_selectorELNS0_4arch9wavefront6targetE0EEEvSF_,"axG",@progbits,_ZN7rocprim17ROCPRIM_400000_NS6detail17trampoline_kernelINS0_14default_configENS1_38merge_sort_block_merge_config_selectorImNS0_10empty_typeEEEZZNS1_27merge_sort_block_merge_implIS3_PmPS5_jNS1_19radix_merge_compareILb0ELb0EmNS0_19identity_decomposerEEEEE10hipError_tT0_T1_T2_jT3_P12ihipStream_tbPNSt15iterator_traitsISE_E10value_typeEPNSK_ISF_E10value_typeEPSG_NS1_7vsmem_tEENKUlT_SE_SF_SG_E_clIS8_S8_S9_S9_EESD_ST_SE_SF_SG_EUlST_E_NS1_11comp_targetILNS1_3genE3ELNS1_11target_archE908ELNS1_3gpuE7ELNS1_3repE0EEENS1_48merge_mergepath_partition_config_static_selectorELNS0_4arch9wavefront6targetE0EEEvSF_,comdat
.Lfunc_end2929:
	.size	_ZN7rocprim17ROCPRIM_400000_NS6detail17trampoline_kernelINS0_14default_configENS1_38merge_sort_block_merge_config_selectorImNS0_10empty_typeEEEZZNS1_27merge_sort_block_merge_implIS3_PmPS5_jNS1_19radix_merge_compareILb0ELb0EmNS0_19identity_decomposerEEEEE10hipError_tT0_T1_T2_jT3_P12ihipStream_tbPNSt15iterator_traitsISE_E10value_typeEPNSK_ISF_E10value_typeEPSG_NS1_7vsmem_tEENKUlT_SE_SF_SG_E_clIS8_S8_S9_S9_EESD_ST_SE_SF_SG_EUlST_E_NS1_11comp_targetILNS1_3genE3ELNS1_11target_archE908ELNS1_3gpuE7ELNS1_3repE0EEENS1_48merge_mergepath_partition_config_static_selectorELNS0_4arch9wavefront6targetE0EEEvSF_, .Lfunc_end2929-_ZN7rocprim17ROCPRIM_400000_NS6detail17trampoline_kernelINS0_14default_configENS1_38merge_sort_block_merge_config_selectorImNS0_10empty_typeEEEZZNS1_27merge_sort_block_merge_implIS3_PmPS5_jNS1_19radix_merge_compareILb0ELb0EmNS0_19identity_decomposerEEEEE10hipError_tT0_T1_T2_jT3_P12ihipStream_tbPNSt15iterator_traitsISE_E10value_typeEPNSK_ISF_E10value_typeEPSG_NS1_7vsmem_tEENKUlT_SE_SF_SG_E_clIS8_S8_S9_S9_EESD_ST_SE_SF_SG_EUlST_E_NS1_11comp_targetILNS1_3genE3ELNS1_11target_archE908ELNS1_3gpuE7ELNS1_3repE0EEENS1_48merge_mergepath_partition_config_static_selectorELNS0_4arch9wavefront6targetE0EEEvSF_
                                        ; -- End function
	.set _ZN7rocprim17ROCPRIM_400000_NS6detail17trampoline_kernelINS0_14default_configENS1_38merge_sort_block_merge_config_selectorImNS0_10empty_typeEEEZZNS1_27merge_sort_block_merge_implIS3_PmPS5_jNS1_19radix_merge_compareILb0ELb0EmNS0_19identity_decomposerEEEEE10hipError_tT0_T1_T2_jT3_P12ihipStream_tbPNSt15iterator_traitsISE_E10value_typeEPNSK_ISF_E10value_typeEPSG_NS1_7vsmem_tEENKUlT_SE_SF_SG_E_clIS8_S8_S9_S9_EESD_ST_SE_SF_SG_EUlST_E_NS1_11comp_targetILNS1_3genE3ELNS1_11target_archE908ELNS1_3gpuE7ELNS1_3repE0EEENS1_48merge_mergepath_partition_config_static_selectorELNS0_4arch9wavefront6targetE0EEEvSF_.num_vgpr, 0
	.set _ZN7rocprim17ROCPRIM_400000_NS6detail17trampoline_kernelINS0_14default_configENS1_38merge_sort_block_merge_config_selectorImNS0_10empty_typeEEEZZNS1_27merge_sort_block_merge_implIS3_PmPS5_jNS1_19radix_merge_compareILb0ELb0EmNS0_19identity_decomposerEEEEE10hipError_tT0_T1_T2_jT3_P12ihipStream_tbPNSt15iterator_traitsISE_E10value_typeEPNSK_ISF_E10value_typeEPSG_NS1_7vsmem_tEENKUlT_SE_SF_SG_E_clIS8_S8_S9_S9_EESD_ST_SE_SF_SG_EUlST_E_NS1_11comp_targetILNS1_3genE3ELNS1_11target_archE908ELNS1_3gpuE7ELNS1_3repE0EEENS1_48merge_mergepath_partition_config_static_selectorELNS0_4arch9wavefront6targetE0EEEvSF_.num_agpr, 0
	.set _ZN7rocprim17ROCPRIM_400000_NS6detail17trampoline_kernelINS0_14default_configENS1_38merge_sort_block_merge_config_selectorImNS0_10empty_typeEEEZZNS1_27merge_sort_block_merge_implIS3_PmPS5_jNS1_19radix_merge_compareILb0ELb0EmNS0_19identity_decomposerEEEEE10hipError_tT0_T1_T2_jT3_P12ihipStream_tbPNSt15iterator_traitsISE_E10value_typeEPNSK_ISF_E10value_typeEPSG_NS1_7vsmem_tEENKUlT_SE_SF_SG_E_clIS8_S8_S9_S9_EESD_ST_SE_SF_SG_EUlST_E_NS1_11comp_targetILNS1_3genE3ELNS1_11target_archE908ELNS1_3gpuE7ELNS1_3repE0EEENS1_48merge_mergepath_partition_config_static_selectorELNS0_4arch9wavefront6targetE0EEEvSF_.numbered_sgpr, 0
	.set _ZN7rocprim17ROCPRIM_400000_NS6detail17trampoline_kernelINS0_14default_configENS1_38merge_sort_block_merge_config_selectorImNS0_10empty_typeEEEZZNS1_27merge_sort_block_merge_implIS3_PmPS5_jNS1_19radix_merge_compareILb0ELb0EmNS0_19identity_decomposerEEEEE10hipError_tT0_T1_T2_jT3_P12ihipStream_tbPNSt15iterator_traitsISE_E10value_typeEPNSK_ISF_E10value_typeEPSG_NS1_7vsmem_tEENKUlT_SE_SF_SG_E_clIS8_S8_S9_S9_EESD_ST_SE_SF_SG_EUlST_E_NS1_11comp_targetILNS1_3genE3ELNS1_11target_archE908ELNS1_3gpuE7ELNS1_3repE0EEENS1_48merge_mergepath_partition_config_static_selectorELNS0_4arch9wavefront6targetE0EEEvSF_.num_named_barrier, 0
	.set _ZN7rocprim17ROCPRIM_400000_NS6detail17trampoline_kernelINS0_14default_configENS1_38merge_sort_block_merge_config_selectorImNS0_10empty_typeEEEZZNS1_27merge_sort_block_merge_implIS3_PmPS5_jNS1_19radix_merge_compareILb0ELb0EmNS0_19identity_decomposerEEEEE10hipError_tT0_T1_T2_jT3_P12ihipStream_tbPNSt15iterator_traitsISE_E10value_typeEPNSK_ISF_E10value_typeEPSG_NS1_7vsmem_tEENKUlT_SE_SF_SG_E_clIS8_S8_S9_S9_EESD_ST_SE_SF_SG_EUlST_E_NS1_11comp_targetILNS1_3genE3ELNS1_11target_archE908ELNS1_3gpuE7ELNS1_3repE0EEENS1_48merge_mergepath_partition_config_static_selectorELNS0_4arch9wavefront6targetE0EEEvSF_.private_seg_size, 0
	.set _ZN7rocprim17ROCPRIM_400000_NS6detail17trampoline_kernelINS0_14default_configENS1_38merge_sort_block_merge_config_selectorImNS0_10empty_typeEEEZZNS1_27merge_sort_block_merge_implIS3_PmPS5_jNS1_19radix_merge_compareILb0ELb0EmNS0_19identity_decomposerEEEEE10hipError_tT0_T1_T2_jT3_P12ihipStream_tbPNSt15iterator_traitsISE_E10value_typeEPNSK_ISF_E10value_typeEPSG_NS1_7vsmem_tEENKUlT_SE_SF_SG_E_clIS8_S8_S9_S9_EESD_ST_SE_SF_SG_EUlST_E_NS1_11comp_targetILNS1_3genE3ELNS1_11target_archE908ELNS1_3gpuE7ELNS1_3repE0EEENS1_48merge_mergepath_partition_config_static_selectorELNS0_4arch9wavefront6targetE0EEEvSF_.uses_vcc, 0
	.set _ZN7rocprim17ROCPRIM_400000_NS6detail17trampoline_kernelINS0_14default_configENS1_38merge_sort_block_merge_config_selectorImNS0_10empty_typeEEEZZNS1_27merge_sort_block_merge_implIS3_PmPS5_jNS1_19radix_merge_compareILb0ELb0EmNS0_19identity_decomposerEEEEE10hipError_tT0_T1_T2_jT3_P12ihipStream_tbPNSt15iterator_traitsISE_E10value_typeEPNSK_ISF_E10value_typeEPSG_NS1_7vsmem_tEENKUlT_SE_SF_SG_E_clIS8_S8_S9_S9_EESD_ST_SE_SF_SG_EUlST_E_NS1_11comp_targetILNS1_3genE3ELNS1_11target_archE908ELNS1_3gpuE7ELNS1_3repE0EEENS1_48merge_mergepath_partition_config_static_selectorELNS0_4arch9wavefront6targetE0EEEvSF_.uses_flat_scratch, 0
	.set _ZN7rocprim17ROCPRIM_400000_NS6detail17trampoline_kernelINS0_14default_configENS1_38merge_sort_block_merge_config_selectorImNS0_10empty_typeEEEZZNS1_27merge_sort_block_merge_implIS3_PmPS5_jNS1_19radix_merge_compareILb0ELb0EmNS0_19identity_decomposerEEEEE10hipError_tT0_T1_T2_jT3_P12ihipStream_tbPNSt15iterator_traitsISE_E10value_typeEPNSK_ISF_E10value_typeEPSG_NS1_7vsmem_tEENKUlT_SE_SF_SG_E_clIS8_S8_S9_S9_EESD_ST_SE_SF_SG_EUlST_E_NS1_11comp_targetILNS1_3genE3ELNS1_11target_archE908ELNS1_3gpuE7ELNS1_3repE0EEENS1_48merge_mergepath_partition_config_static_selectorELNS0_4arch9wavefront6targetE0EEEvSF_.has_dyn_sized_stack, 0
	.set _ZN7rocprim17ROCPRIM_400000_NS6detail17trampoline_kernelINS0_14default_configENS1_38merge_sort_block_merge_config_selectorImNS0_10empty_typeEEEZZNS1_27merge_sort_block_merge_implIS3_PmPS5_jNS1_19radix_merge_compareILb0ELb0EmNS0_19identity_decomposerEEEEE10hipError_tT0_T1_T2_jT3_P12ihipStream_tbPNSt15iterator_traitsISE_E10value_typeEPNSK_ISF_E10value_typeEPSG_NS1_7vsmem_tEENKUlT_SE_SF_SG_E_clIS8_S8_S9_S9_EESD_ST_SE_SF_SG_EUlST_E_NS1_11comp_targetILNS1_3genE3ELNS1_11target_archE908ELNS1_3gpuE7ELNS1_3repE0EEENS1_48merge_mergepath_partition_config_static_selectorELNS0_4arch9wavefront6targetE0EEEvSF_.has_recursion, 0
	.set _ZN7rocprim17ROCPRIM_400000_NS6detail17trampoline_kernelINS0_14default_configENS1_38merge_sort_block_merge_config_selectorImNS0_10empty_typeEEEZZNS1_27merge_sort_block_merge_implIS3_PmPS5_jNS1_19radix_merge_compareILb0ELb0EmNS0_19identity_decomposerEEEEE10hipError_tT0_T1_T2_jT3_P12ihipStream_tbPNSt15iterator_traitsISE_E10value_typeEPNSK_ISF_E10value_typeEPSG_NS1_7vsmem_tEENKUlT_SE_SF_SG_E_clIS8_S8_S9_S9_EESD_ST_SE_SF_SG_EUlST_E_NS1_11comp_targetILNS1_3genE3ELNS1_11target_archE908ELNS1_3gpuE7ELNS1_3repE0EEENS1_48merge_mergepath_partition_config_static_selectorELNS0_4arch9wavefront6targetE0EEEvSF_.has_indirect_call, 0
	.section	.AMDGPU.csdata,"",@progbits
; Kernel info:
; codeLenInByte = 0
; TotalNumSgprs: 0
; NumVgprs: 0
; ScratchSize: 0
; MemoryBound: 0
; FloatMode: 240
; IeeeMode: 1
; LDSByteSize: 0 bytes/workgroup (compile time only)
; SGPRBlocks: 0
; VGPRBlocks: 0
; NumSGPRsForWavesPerEU: 1
; NumVGPRsForWavesPerEU: 1
; NamedBarCnt: 0
; Occupancy: 16
; WaveLimiterHint : 0
; COMPUTE_PGM_RSRC2:SCRATCH_EN: 0
; COMPUTE_PGM_RSRC2:USER_SGPR: 2
; COMPUTE_PGM_RSRC2:TRAP_HANDLER: 0
; COMPUTE_PGM_RSRC2:TGID_X_EN: 1
; COMPUTE_PGM_RSRC2:TGID_Y_EN: 0
; COMPUTE_PGM_RSRC2:TGID_Z_EN: 0
; COMPUTE_PGM_RSRC2:TIDIG_COMP_CNT: 0
	.section	.text._ZN7rocprim17ROCPRIM_400000_NS6detail17trampoline_kernelINS0_14default_configENS1_38merge_sort_block_merge_config_selectorImNS0_10empty_typeEEEZZNS1_27merge_sort_block_merge_implIS3_PmPS5_jNS1_19radix_merge_compareILb0ELb0EmNS0_19identity_decomposerEEEEE10hipError_tT0_T1_T2_jT3_P12ihipStream_tbPNSt15iterator_traitsISE_E10value_typeEPNSK_ISF_E10value_typeEPSG_NS1_7vsmem_tEENKUlT_SE_SF_SG_E_clIS8_S8_S9_S9_EESD_ST_SE_SF_SG_EUlST_E_NS1_11comp_targetILNS1_3genE2ELNS1_11target_archE906ELNS1_3gpuE6ELNS1_3repE0EEENS1_48merge_mergepath_partition_config_static_selectorELNS0_4arch9wavefront6targetE0EEEvSF_,"axG",@progbits,_ZN7rocprim17ROCPRIM_400000_NS6detail17trampoline_kernelINS0_14default_configENS1_38merge_sort_block_merge_config_selectorImNS0_10empty_typeEEEZZNS1_27merge_sort_block_merge_implIS3_PmPS5_jNS1_19radix_merge_compareILb0ELb0EmNS0_19identity_decomposerEEEEE10hipError_tT0_T1_T2_jT3_P12ihipStream_tbPNSt15iterator_traitsISE_E10value_typeEPNSK_ISF_E10value_typeEPSG_NS1_7vsmem_tEENKUlT_SE_SF_SG_E_clIS8_S8_S9_S9_EESD_ST_SE_SF_SG_EUlST_E_NS1_11comp_targetILNS1_3genE2ELNS1_11target_archE906ELNS1_3gpuE6ELNS1_3repE0EEENS1_48merge_mergepath_partition_config_static_selectorELNS0_4arch9wavefront6targetE0EEEvSF_,comdat
	.protected	_ZN7rocprim17ROCPRIM_400000_NS6detail17trampoline_kernelINS0_14default_configENS1_38merge_sort_block_merge_config_selectorImNS0_10empty_typeEEEZZNS1_27merge_sort_block_merge_implIS3_PmPS5_jNS1_19radix_merge_compareILb0ELb0EmNS0_19identity_decomposerEEEEE10hipError_tT0_T1_T2_jT3_P12ihipStream_tbPNSt15iterator_traitsISE_E10value_typeEPNSK_ISF_E10value_typeEPSG_NS1_7vsmem_tEENKUlT_SE_SF_SG_E_clIS8_S8_S9_S9_EESD_ST_SE_SF_SG_EUlST_E_NS1_11comp_targetILNS1_3genE2ELNS1_11target_archE906ELNS1_3gpuE6ELNS1_3repE0EEENS1_48merge_mergepath_partition_config_static_selectorELNS0_4arch9wavefront6targetE0EEEvSF_ ; -- Begin function _ZN7rocprim17ROCPRIM_400000_NS6detail17trampoline_kernelINS0_14default_configENS1_38merge_sort_block_merge_config_selectorImNS0_10empty_typeEEEZZNS1_27merge_sort_block_merge_implIS3_PmPS5_jNS1_19radix_merge_compareILb0ELb0EmNS0_19identity_decomposerEEEEE10hipError_tT0_T1_T2_jT3_P12ihipStream_tbPNSt15iterator_traitsISE_E10value_typeEPNSK_ISF_E10value_typeEPSG_NS1_7vsmem_tEENKUlT_SE_SF_SG_E_clIS8_S8_S9_S9_EESD_ST_SE_SF_SG_EUlST_E_NS1_11comp_targetILNS1_3genE2ELNS1_11target_archE906ELNS1_3gpuE6ELNS1_3repE0EEENS1_48merge_mergepath_partition_config_static_selectorELNS0_4arch9wavefront6targetE0EEEvSF_
	.globl	_ZN7rocprim17ROCPRIM_400000_NS6detail17trampoline_kernelINS0_14default_configENS1_38merge_sort_block_merge_config_selectorImNS0_10empty_typeEEEZZNS1_27merge_sort_block_merge_implIS3_PmPS5_jNS1_19radix_merge_compareILb0ELb0EmNS0_19identity_decomposerEEEEE10hipError_tT0_T1_T2_jT3_P12ihipStream_tbPNSt15iterator_traitsISE_E10value_typeEPNSK_ISF_E10value_typeEPSG_NS1_7vsmem_tEENKUlT_SE_SF_SG_E_clIS8_S8_S9_S9_EESD_ST_SE_SF_SG_EUlST_E_NS1_11comp_targetILNS1_3genE2ELNS1_11target_archE906ELNS1_3gpuE6ELNS1_3repE0EEENS1_48merge_mergepath_partition_config_static_selectorELNS0_4arch9wavefront6targetE0EEEvSF_
	.p2align	8
	.type	_ZN7rocprim17ROCPRIM_400000_NS6detail17trampoline_kernelINS0_14default_configENS1_38merge_sort_block_merge_config_selectorImNS0_10empty_typeEEEZZNS1_27merge_sort_block_merge_implIS3_PmPS5_jNS1_19radix_merge_compareILb0ELb0EmNS0_19identity_decomposerEEEEE10hipError_tT0_T1_T2_jT3_P12ihipStream_tbPNSt15iterator_traitsISE_E10value_typeEPNSK_ISF_E10value_typeEPSG_NS1_7vsmem_tEENKUlT_SE_SF_SG_E_clIS8_S8_S9_S9_EESD_ST_SE_SF_SG_EUlST_E_NS1_11comp_targetILNS1_3genE2ELNS1_11target_archE906ELNS1_3gpuE6ELNS1_3repE0EEENS1_48merge_mergepath_partition_config_static_selectorELNS0_4arch9wavefront6targetE0EEEvSF_,@function
_ZN7rocprim17ROCPRIM_400000_NS6detail17trampoline_kernelINS0_14default_configENS1_38merge_sort_block_merge_config_selectorImNS0_10empty_typeEEEZZNS1_27merge_sort_block_merge_implIS3_PmPS5_jNS1_19radix_merge_compareILb0ELb0EmNS0_19identity_decomposerEEEEE10hipError_tT0_T1_T2_jT3_P12ihipStream_tbPNSt15iterator_traitsISE_E10value_typeEPNSK_ISF_E10value_typeEPSG_NS1_7vsmem_tEENKUlT_SE_SF_SG_E_clIS8_S8_S9_S9_EESD_ST_SE_SF_SG_EUlST_E_NS1_11comp_targetILNS1_3genE2ELNS1_11target_archE906ELNS1_3gpuE6ELNS1_3repE0EEENS1_48merge_mergepath_partition_config_static_selectorELNS0_4arch9wavefront6targetE0EEEvSF_: ; @_ZN7rocprim17ROCPRIM_400000_NS6detail17trampoline_kernelINS0_14default_configENS1_38merge_sort_block_merge_config_selectorImNS0_10empty_typeEEEZZNS1_27merge_sort_block_merge_implIS3_PmPS5_jNS1_19radix_merge_compareILb0ELb0EmNS0_19identity_decomposerEEEEE10hipError_tT0_T1_T2_jT3_P12ihipStream_tbPNSt15iterator_traitsISE_E10value_typeEPNSK_ISF_E10value_typeEPSG_NS1_7vsmem_tEENKUlT_SE_SF_SG_E_clIS8_S8_S9_S9_EESD_ST_SE_SF_SG_EUlST_E_NS1_11comp_targetILNS1_3genE2ELNS1_11target_archE906ELNS1_3gpuE6ELNS1_3repE0EEENS1_48merge_mergepath_partition_config_static_selectorELNS0_4arch9wavefront6targetE0EEEvSF_
; %bb.0:
	.section	.rodata,"a",@progbits
	.p2align	6, 0x0
	.amdhsa_kernel _ZN7rocprim17ROCPRIM_400000_NS6detail17trampoline_kernelINS0_14default_configENS1_38merge_sort_block_merge_config_selectorImNS0_10empty_typeEEEZZNS1_27merge_sort_block_merge_implIS3_PmPS5_jNS1_19radix_merge_compareILb0ELb0EmNS0_19identity_decomposerEEEEE10hipError_tT0_T1_T2_jT3_P12ihipStream_tbPNSt15iterator_traitsISE_E10value_typeEPNSK_ISF_E10value_typeEPSG_NS1_7vsmem_tEENKUlT_SE_SF_SG_E_clIS8_S8_S9_S9_EESD_ST_SE_SF_SG_EUlST_E_NS1_11comp_targetILNS1_3genE2ELNS1_11target_archE906ELNS1_3gpuE6ELNS1_3repE0EEENS1_48merge_mergepath_partition_config_static_selectorELNS0_4arch9wavefront6targetE0EEEvSF_
		.amdhsa_group_segment_fixed_size 0
		.amdhsa_private_segment_fixed_size 0
		.amdhsa_kernarg_size 40
		.amdhsa_user_sgpr_count 2
		.amdhsa_user_sgpr_dispatch_ptr 0
		.amdhsa_user_sgpr_queue_ptr 0
		.amdhsa_user_sgpr_kernarg_segment_ptr 1
		.amdhsa_user_sgpr_dispatch_id 0
		.amdhsa_user_sgpr_kernarg_preload_length 0
		.amdhsa_user_sgpr_kernarg_preload_offset 0
		.amdhsa_user_sgpr_private_segment_size 0
		.amdhsa_wavefront_size32 1
		.amdhsa_uses_dynamic_stack 0
		.amdhsa_enable_private_segment 0
		.amdhsa_system_sgpr_workgroup_id_x 1
		.amdhsa_system_sgpr_workgroup_id_y 0
		.amdhsa_system_sgpr_workgroup_id_z 0
		.amdhsa_system_sgpr_workgroup_info 0
		.amdhsa_system_vgpr_workitem_id 0
		.amdhsa_next_free_vgpr 1
		.amdhsa_next_free_sgpr 1
		.amdhsa_named_barrier_count 0
		.amdhsa_reserve_vcc 0
		.amdhsa_float_round_mode_32 0
		.amdhsa_float_round_mode_16_64 0
		.amdhsa_float_denorm_mode_32 3
		.amdhsa_float_denorm_mode_16_64 3
		.amdhsa_fp16_overflow 0
		.amdhsa_memory_ordered 1
		.amdhsa_forward_progress 1
		.amdhsa_inst_pref_size 0
		.amdhsa_round_robin_scheduling 0
		.amdhsa_exception_fp_ieee_invalid_op 0
		.amdhsa_exception_fp_denorm_src 0
		.amdhsa_exception_fp_ieee_div_zero 0
		.amdhsa_exception_fp_ieee_overflow 0
		.amdhsa_exception_fp_ieee_underflow 0
		.amdhsa_exception_fp_ieee_inexact 0
		.amdhsa_exception_int_div_zero 0
	.end_amdhsa_kernel
	.section	.text._ZN7rocprim17ROCPRIM_400000_NS6detail17trampoline_kernelINS0_14default_configENS1_38merge_sort_block_merge_config_selectorImNS0_10empty_typeEEEZZNS1_27merge_sort_block_merge_implIS3_PmPS5_jNS1_19radix_merge_compareILb0ELb0EmNS0_19identity_decomposerEEEEE10hipError_tT0_T1_T2_jT3_P12ihipStream_tbPNSt15iterator_traitsISE_E10value_typeEPNSK_ISF_E10value_typeEPSG_NS1_7vsmem_tEENKUlT_SE_SF_SG_E_clIS8_S8_S9_S9_EESD_ST_SE_SF_SG_EUlST_E_NS1_11comp_targetILNS1_3genE2ELNS1_11target_archE906ELNS1_3gpuE6ELNS1_3repE0EEENS1_48merge_mergepath_partition_config_static_selectorELNS0_4arch9wavefront6targetE0EEEvSF_,"axG",@progbits,_ZN7rocprim17ROCPRIM_400000_NS6detail17trampoline_kernelINS0_14default_configENS1_38merge_sort_block_merge_config_selectorImNS0_10empty_typeEEEZZNS1_27merge_sort_block_merge_implIS3_PmPS5_jNS1_19radix_merge_compareILb0ELb0EmNS0_19identity_decomposerEEEEE10hipError_tT0_T1_T2_jT3_P12ihipStream_tbPNSt15iterator_traitsISE_E10value_typeEPNSK_ISF_E10value_typeEPSG_NS1_7vsmem_tEENKUlT_SE_SF_SG_E_clIS8_S8_S9_S9_EESD_ST_SE_SF_SG_EUlST_E_NS1_11comp_targetILNS1_3genE2ELNS1_11target_archE906ELNS1_3gpuE6ELNS1_3repE0EEENS1_48merge_mergepath_partition_config_static_selectorELNS0_4arch9wavefront6targetE0EEEvSF_,comdat
.Lfunc_end2930:
	.size	_ZN7rocprim17ROCPRIM_400000_NS6detail17trampoline_kernelINS0_14default_configENS1_38merge_sort_block_merge_config_selectorImNS0_10empty_typeEEEZZNS1_27merge_sort_block_merge_implIS3_PmPS5_jNS1_19radix_merge_compareILb0ELb0EmNS0_19identity_decomposerEEEEE10hipError_tT0_T1_T2_jT3_P12ihipStream_tbPNSt15iterator_traitsISE_E10value_typeEPNSK_ISF_E10value_typeEPSG_NS1_7vsmem_tEENKUlT_SE_SF_SG_E_clIS8_S8_S9_S9_EESD_ST_SE_SF_SG_EUlST_E_NS1_11comp_targetILNS1_3genE2ELNS1_11target_archE906ELNS1_3gpuE6ELNS1_3repE0EEENS1_48merge_mergepath_partition_config_static_selectorELNS0_4arch9wavefront6targetE0EEEvSF_, .Lfunc_end2930-_ZN7rocprim17ROCPRIM_400000_NS6detail17trampoline_kernelINS0_14default_configENS1_38merge_sort_block_merge_config_selectorImNS0_10empty_typeEEEZZNS1_27merge_sort_block_merge_implIS3_PmPS5_jNS1_19radix_merge_compareILb0ELb0EmNS0_19identity_decomposerEEEEE10hipError_tT0_T1_T2_jT3_P12ihipStream_tbPNSt15iterator_traitsISE_E10value_typeEPNSK_ISF_E10value_typeEPSG_NS1_7vsmem_tEENKUlT_SE_SF_SG_E_clIS8_S8_S9_S9_EESD_ST_SE_SF_SG_EUlST_E_NS1_11comp_targetILNS1_3genE2ELNS1_11target_archE906ELNS1_3gpuE6ELNS1_3repE0EEENS1_48merge_mergepath_partition_config_static_selectorELNS0_4arch9wavefront6targetE0EEEvSF_
                                        ; -- End function
	.set _ZN7rocprim17ROCPRIM_400000_NS6detail17trampoline_kernelINS0_14default_configENS1_38merge_sort_block_merge_config_selectorImNS0_10empty_typeEEEZZNS1_27merge_sort_block_merge_implIS3_PmPS5_jNS1_19radix_merge_compareILb0ELb0EmNS0_19identity_decomposerEEEEE10hipError_tT0_T1_T2_jT3_P12ihipStream_tbPNSt15iterator_traitsISE_E10value_typeEPNSK_ISF_E10value_typeEPSG_NS1_7vsmem_tEENKUlT_SE_SF_SG_E_clIS8_S8_S9_S9_EESD_ST_SE_SF_SG_EUlST_E_NS1_11comp_targetILNS1_3genE2ELNS1_11target_archE906ELNS1_3gpuE6ELNS1_3repE0EEENS1_48merge_mergepath_partition_config_static_selectorELNS0_4arch9wavefront6targetE0EEEvSF_.num_vgpr, 0
	.set _ZN7rocprim17ROCPRIM_400000_NS6detail17trampoline_kernelINS0_14default_configENS1_38merge_sort_block_merge_config_selectorImNS0_10empty_typeEEEZZNS1_27merge_sort_block_merge_implIS3_PmPS5_jNS1_19radix_merge_compareILb0ELb0EmNS0_19identity_decomposerEEEEE10hipError_tT0_T1_T2_jT3_P12ihipStream_tbPNSt15iterator_traitsISE_E10value_typeEPNSK_ISF_E10value_typeEPSG_NS1_7vsmem_tEENKUlT_SE_SF_SG_E_clIS8_S8_S9_S9_EESD_ST_SE_SF_SG_EUlST_E_NS1_11comp_targetILNS1_3genE2ELNS1_11target_archE906ELNS1_3gpuE6ELNS1_3repE0EEENS1_48merge_mergepath_partition_config_static_selectorELNS0_4arch9wavefront6targetE0EEEvSF_.num_agpr, 0
	.set _ZN7rocprim17ROCPRIM_400000_NS6detail17trampoline_kernelINS0_14default_configENS1_38merge_sort_block_merge_config_selectorImNS0_10empty_typeEEEZZNS1_27merge_sort_block_merge_implIS3_PmPS5_jNS1_19radix_merge_compareILb0ELb0EmNS0_19identity_decomposerEEEEE10hipError_tT0_T1_T2_jT3_P12ihipStream_tbPNSt15iterator_traitsISE_E10value_typeEPNSK_ISF_E10value_typeEPSG_NS1_7vsmem_tEENKUlT_SE_SF_SG_E_clIS8_S8_S9_S9_EESD_ST_SE_SF_SG_EUlST_E_NS1_11comp_targetILNS1_3genE2ELNS1_11target_archE906ELNS1_3gpuE6ELNS1_3repE0EEENS1_48merge_mergepath_partition_config_static_selectorELNS0_4arch9wavefront6targetE0EEEvSF_.numbered_sgpr, 0
	.set _ZN7rocprim17ROCPRIM_400000_NS6detail17trampoline_kernelINS0_14default_configENS1_38merge_sort_block_merge_config_selectorImNS0_10empty_typeEEEZZNS1_27merge_sort_block_merge_implIS3_PmPS5_jNS1_19radix_merge_compareILb0ELb0EmNS0_19identity_decomposerEEEEE10hipError_tT0_T1_T2_jT3_P12ihipStream_tbPNSt15iterator_traitsISE_E10value_typeEPNSK_ISF_E10value_typeEPSG_NS1_7vsmem_tEENKUlT_SE_SF_SG_E_clIS8_S8_S9_S9_EESD_ST_SE_SF_SG_EUlST_E_NS1_11comp_targetILNS1_3genE2ELNS1_11target_archE906ELNS1_3gpuE6ELNS1_3repE0EEENS1_48merge_mergepath_partition_config_static_selectorELNS0_4arch9wavefront6targetE0EEEvSF_.num_named_barrier, 0
	.set _ZN7rocprim17ROCPRIM_400000_NS6detail17trampoline_kernelINS0_14default_configENS1_38merge_sort_block_merge_config_selectorImNS0_10empty_typeEEEZZNS1_27merge_sort_block_merge_implIS3_PmPS5_jNS1_19radix_merge_compareILb0ELb0EmNS0_19identity_decomposerEEEEE10hipError_tT0_T1_T2_jT3_P12ihipStream_tbPNSt15iterator_traitsISE_E10value_typeEPNSK_ISF_E10value_typeEPSG_NS1_7vsmem_tEENKUlT_SE_SF_SG_E_clIS8_S8_S9_S9_EESD_ST_SE_SF_SG_EUlST_E_NS1_11comp_targetILNS1_3genE2ELNS1_11target_archE906ELNS1_3gpuE6ELNS1_3repE0EEENS1_48merge_mergepath_partition_config_static_selectorELNS0_4arch9wavefront6targetE0EEEvSF_.private_seg_size, 0
	.set _ZN7rocprim17ROCPRIM_400000_NS6detail17trampoline_kernelINS0_14default_configENS1_38merge_sort_block_merge_config_selectorImNS0_10empty_typeEEEZZNS1_27merge_sort_block_merge_implIS3_PmPS5_jNS1_19radix_merge_compareILb0ELb0EmNS0_19identity_decomposerEEEEE10hipError_tT0_T1_T2_jT3_P12ihipStream_tbPNSt15iterator_traitsISE_E10value_typeEPNSK_ISF_E10value_typeEPSG_NS1_7vsmem_tEENKUlT_SE_SF_SG_E_clIS8_S8_S9_S9_EESD_ST_SE_SF_SG_EUlST_E_NS1_11comp_targetILNS1_3genE2ELNS1_11target_archE906ELNS1_3gpuE6ELNS1_3repE0EEENS1_48merge_mergepath_partition_config_static_selectorELNS0_4arch9wavefront6targetE0EEEvSF_.uses_vcc, 0
	.set _ZN7rocprim17ROCPRIM_400000_NS6detail17trampoline_kernelINS0_14default_configENS1_38merge_sort_block_merge_config_selectorImNS0_10empty_typeEEEZZNS1_27merge_sort_block_merge_implIS3_PmPS5_jNS1_19radix_merge_compareILb0ELb0EmNS0_19identity_decomposerEEEEE10hipError_tT0_T1_T2_jT3_P12ihipStream_tbPNSt15iterator_traitsISE_E10value_typeEPNSK_ISF_E10value_typeEPSG_NS1_7vsmem_tEENKUlT_SE_SF_SG_E_clIS8_S8_S9_S9_EESD_ST_SE_SF_SG_EUlST_E_NS1_11comp_targetILNS1_3genE2ELNS1_11target_archE906ELNS1_3gpuE6ELNS1_3repE0EEENS1_48merge_mergepath_partition_config_static_selectorELNS0_4arch9wavefront6targetE0EEEvSF_.uses_flat_scratch, 0
	.set _ZN7rocprim17ROCPRIM_400000_NS6detail17trampoline_kernelINS0_14default_configENS1_38merge_sort_block_merge_config_selectorImNS0_10empty_typeEEEZZNS1_27merge_sort_block_merge_implIS3_PmPS5_jNS1_19radix_merge_compareILb0ELb0EmNS0_19identity_decomposerEEEEE10hipError_tT0_T1_T2_jT3_P12ihipStream_tbPNSt15iterator_traitsISE_E10value_typeEPNSK_ISF_E10value_typeEPSG_NS1_7vsmem_tEENKUlT_SE_SF_SG_E_clIS8_S8_S9_S9_EESD_ST_SE_SF_SG_EUlST_E_NS1_11comp_targetILNS1_3genE2ELNS1_11target_archE906ELNS1_3gpuE6ELNS1_3repE0EEENS1_48merge_mergepath_partition_config_static_selectorELNS0_4arch9wavefront6targetE0EEEvSF_.has_dyn_sized_stack, 0
	.set _ZN7rocprim17ROCPRIM_400000_NS6detail17trampoline_kernelINS0_14default_configENS1_38merge_sort_block_merge_config_selectorImNS0_10empty_typeEEEZZNS1_27merge_sort_block_merge_implIS3_PmPS5_jNS1_19radix_merge_compareILb0ELb0EmNS0_19identity_decomposerEEEEE10hipError_tT0_T1_T2_jT3_P12ihipStream_tbPNSt15iterator_traitsISE_E10value_typeEPNSK_ISF_E10value_typeEPSG_NS1_7vsmem_tEENKUlT_SE_SF_SG_E_clIS8_S8_S9_S9_EESD_ST_SE_SF_SG_EUlST_E_NS1_11comp_targetILNS1_3genE2ELNS1_11target_archE906ELNS1_3gpuE6ELNS1_3repE0EEENS1_48merge_mergepath_partition_config_static_selectorELNS0_4arch9wavefront6targetE0EEEvSF_.has_recursion, 0
	.set _ZN7rocprim17ROCPRIM_400000_NS6detail17trampoline_kernelINS0_14default_configENS1_38merge_sort_block_merge_config_selectorImNS0_10empty_typeEEEZZNS1_27merge_sort_block_merge_implIS3_PmPS5_jNS1_19radix_merge_compareILb0ELb0EmNS0_19identity_decomposerEEEEE10hipError_tT0_T1_T2_jT3_P12ihipStream_tbPNSt15iterator_traitsISE_E10value_typeEPNSK_ISF_E10value_typeEPSG_NS1_7vsmem_tEENKUlT_SE_SF_SG_E_clIS8_S8_S9_S9_EESD_ST_SE_SF_SG_EUlST_E_NS1_11comp_targetILNS1_3genE2ELNS1_11target_archE906ELNS1_3gpuE6ELNS1_3repE0EEENS1_48merge_mergepath_partition_config_static_selectorELNS0_4arch9wavefront6targetE0EEEvSF_.has_indirect_call, 0
	.section	.AMDGPU.csdata,"",@progbits
; Kernel info:
; codeLenInByte = 0
; TotalNumSgprs: 0
; NumVgprs: 0
; ScratchSize: 0
; MemoryBound: 0
; FloatMode: 240
; IeeeMode: 1
; LDSByteSize: 0 bytes/workgroup (compile time only)
; SGPRBlocks: 0
; VGPRBlocks: 0
; NumSGPRsForWavesPerEU: 1
; NumVGPRsForWavesPerEU: 1
; NamedBarCnt: 0
; Occupancy: 16
; WaveLimiterHint : 0
; COMPUTE_PGM_RSRC2:SCRATCH_EN: 0
; COMPUTE_PGM_RSRC2:USER_SGPR: 2
; COMPUTE_PGM_RSRC2:TRAP_HANDLER: 0
; COMPUTE_PGM_RSRC2:TGID_X_EN: 1
; COMPUTE_PGM_RSRC2:TGID_Y_EN: 0
; COMPUTE_PGM_RSRC2:TGID_Z_EN: 0
; COMPUTE_PGM_RSRC2:TIDIG_COMP_CNT: 0
	.section	.text._ZN7rocprim17ROCPRIM_400000_NS6detail17trampoline_kernelINS0_14default_configENS1_38merge_sort_block_merge_config_selectorImNS0_10empty_typeEEEZZNS1_27merge_sort_block_merge_implIS3_PmPS5_jNS1_19radix_merge_compareILb0ELb0EmNS0_19identity_decomposerEEEEE10hipError_tT0_T1_T2_jT3_P12ihipStream_tbPNSt15iterator_traitsISE_E10value_typeEPNSK_ISF_E10value_typeEPSG_NS1_7vsmem_tEENKUlT_SE_SF_SG_E_clIS8_S8_S9_S9_EESD_ST_SE_SF_SG_EUlST_E_NS1_11comp_targetILNS1_3genE9ELNS1_11target_archE1100ELNS1_3gpuE3ELNS1_3repE0EEENS1_48merge_mergepath_partition_config_static_selectorELNS0_4arch9wavefront6targetE0EEEvSF_,"axG",@progbits,_ZN7rocprim17ROCPRIM_400000_NS6detail17trampoline_kernelINS0_14default_configENS1_38merge_sort_block_merge_config_selectorImNS0_10empty_typeEEEZZNS1_27merge_sort_block_merge_implIS3_PmPS5_jNS1_19radix_merge_compareILb0ELb0EmNS0_19identity_decomposerEEEEE10hipError_tT0_T1_T2_jT3_P12ihipStream_tbPNSt15iterator_traitsISE_E10value_typeEPNSK_ISF_E10value_typeEPSG_NS1_7vsmem_tEENKUlT_SE_SF_SG_E_clIS8_S8_S9_S9_EESD_ST_SE_SF_SG_EUlST_E_NS1_11comp_targetILNS1_3genE9ELNS1_11target_archE1100ELNS1_3gpuE3ELNS1_3repE0EEENS1_48merge_mergepath_partition_config_static_selectorELNS0_4arch9wavefront6targetE0EEEvSF_,comdat
	.protected	_ZN7rocprim17ROCPRIM_400000_NS6detail17trampoline_kernelINS0_14default_configENS1_38merge_sort_block_merge_config_selectorImNS0_10empty_typeEEEZZNS1_27merge_sort_block_merge_implIS3_PmPS5_jNS1_19radix_merge_compareILb0ELb0EmNS0_19identity_decomposerEEEEE10hipError_tT0_T1_T2_jT3_P12ihipStream_tbPNSt15iterator_traitsISE_E10value_typeEPNSK_ISF_E10value_typeEPSG_NS1_7vsmem_tEENKUlT_SE_SF_SG_E_clIS8_S8_S9_S9_EESD_ST_SE_SF_SG_EUlST_E_NS1_11comp_targetILNS1_3genE9ELNS1_11target_archE1100ELNS1_3gpuE3ELNS1_3repE0EEENS1_48merge_mergepath_partition_config_static_selectorELNS0_4arch9wavefront6targetE0EEEvSF_ ; -- Begin function _ZN7rocprim17ROCPRIM_400000_NS6detail17trampoline_kernelINS0_14default_configENS1_38merge_sort_block_merge_config_selectorImNS0_10empty_typeEEEZZNS1_27merge_sort_block_merge_implIS3_PmPS5_jNS1_19radix_merge_compareILb0ELb0EmNS0_19identity_decomposerEEEEE10hipError_tT0_T1_T2_jT3_P12ihipStream_tbPNSt15iterator_traitsISE_E10value_typeEPNSK_ISF_E10value_typeEPSG_NS1_7vsmem_tEENKUlT_SE_SF_SG_E_clIS8_S8_S9_S9_EESD_ST_SE_SF_SG_EUlST_E_NS1_11comp_targetILNS1_3genE9ELNS1_11target_archE1100ELNS1_3gpuE3ELNS1_3repE0EEENS1_48merge_mergepath_partition_config_static_selectorELNS0_4arch9wavefront6targetE0EEEvSF_
	.globl	_ZN7rocprim17ROCPRIM_400000_NS6detail17trampoline_kernelINS0_14default_configENS1_38merge_sort_block_merge_config_selectorImNS0_10empty_typeEEEZZNS1_27merge_sort_block_merge_implIS3_PmPS5_jNS1_19radix_merge_compareILb0ELb0EmNS0_19identity_decomposerEEEEE10hipError_tT0_T1_T2_jT3_P12ihipStream_tbPNSt15iterator_traitsISE_E10value_typeEPNSK_ISF_E10value_typeEPSG_NS1_7vsmem_tEENKUlT_SE_SF_SG_E_clIS8_S8_S9_S9_EESD_ST_SE_SF_SG_EUlST_E_NS1_11comp_targetILNS1_3genE9ELNS1_11target_archE1100ELNS1_3gpuE3ELNS1_3repE0EEENS1_48merge_mergepath_partition_config_static_selectorELNS0_4arch9wavefront6targetE0EEEvSF_
	.p2align	8
	.type	_ZN7rocprim17ROCPRIM_400000_NS6detail17trampoline_kernelINS0_14default_configENS1_38merge_sort_block_merge_config_selectorImNS0_10empty_typeEEEZZNS1_27merge_sort_block_merge_implIS3_PmPS5_jNS1_19radix_merge_compareILb0ELb0EmNS0_19identity_decomposerEEEEE10hipError_tT0_T1_T2_jT3_P12ihipStream_tbPNSt15iterator_traitsISE_E10value_typeEPNSK_ISF_E10value_typeEPSG_NS1_7vsmem_tEENKUlT_SE_SF_SG_E_clIS8_S8_S9_S9_EESD_ST_SE_SF_SG_EUlST_E_NS1_11comp_targetILNS1_3genE9ELNS1_11target_archE1100ELNS1_3gpuE3ELNS1_3repE0EEENS1_48merge_mergepath_partition_config_static_selectorELNS0_4arch9wavefront6targetE0EEEvSF_,@function
_ZN7rocprim17ROCPRIM_400000_NS6detail17trampoline_kernelINS0_14default_configENS1_38merge_sort_block_merge_config_selectorImNS0_10empty_typeEEEZZNS1_27merge_sort_block_merge_implIS3_PmPS5_jNS1_19radix_merge_compareILb0ELb0EmNS0_19identity_decomposerEEEEE10hipError_tT0_T1_T2_jT3_P12ihipStream_tbPNSt15iterator_traitsISE_E10value_typeEPNSK_ISF_E10value_typeEPSG_NS1_7vsmem_tEENKUlT_SE_SF_SG_E_clIS8_S8_S9_S9_EESD_ST_SE_SF_SG_EUlST_E_NS1_11comp_targetILNS1_3genE9ELNS1_11target_archE1100ELNS1_3gpuE3ELNS1_3repE0EEENS1_48merge_mergepath_partition_config_static_selectorELNS0_4arch9wavefront6targetE0EEEvSF_: ; @_ZN7rocprim17ROCPRIM_400000_NS6detail17trampoline_kernelINS0_14default_configENS1_38merge_sort_block_merge_config_selectorImNS0_10empty_typeEEEZZNS1_27merge_sort_block_merge_implIS3_PmPS5_jNS1_19radix_merge_compareILb0ELb0EmNS0_19identity_decomposerEEEEE10hipError_tT0_T1_T2_jT3_P12ihipStream_tbPNSt15iterator_traitsISE_E10value_typeEPNSK_ISF_E10value_typeEPSG_NS1_7vsmem_tEENKUlT_SE_SF_SG_E_clIS8_S8_S9_S9_EESD_ST_SE_SF_SG_EUlST_E_NS1_11comp_targetILNS1_3genE9ELNS1_11target_archE1100ELNS1_3gpuE3ELNS1_3repE0EEENS1_48merge_mergepath_partition_config_static_selectorELNS0_4arch9wavefront6targetE0EEEvSF_
; %bb.0:
	.section	.rodata,"a",@progbits
	.p2align	6, 0x0
	.amdhsa_kernel _ZN7rocprim17ROCPRIM_400000_NS6detail17trampoline_kernelINS0_14default_configENS1_38merge_sort_block_merge_config_selectorImNS0_10empty_typeEEEZZNS1_27merge_sort_block_merge_implIS3_PmPS5_jNS1_19radix_merge_compareILb0ELb0EmNS0_19identity_decomposerEEEEE10hipError_tT0_T1_T2_jT3_P12ihipStream_tbPNSt15iterator_traitsISE_E10value_typeEPNSK_ISF_E10value_typeEPSG_NS1_7vsmem_tEENKUlT_SE_SF_SG_E_clIS8_S8_S9_S9_EESD_ST_SE_SF_SG_EUlST_E_NS1_11comp_targetILNS1_3genE9ELNS1_11target_archE1100ELNS1_3gpuE3ELNS1_3repE0EEENS1_48merge_mergepath_partition_config_static_selectorELNS0_4arch9wavefront6targetE0EEEvSF_
		.amdhsa_group_segment_fixed_size 0
		.amdhsa_private_segment_fixed_size 0
		.amdhsa_kernarg_size 40
		.amdhsa_user_sgpr_count 2
		.amdhsa_user_sgpr_dispatch_ptr 0
		.amdhsa_user_sgpr_queue_ptr 0
		.amdhsa_user_sgpr_kernarg_segment_ptr 1
		.amdhsa_user_sgpr_dispatch_id 0
		.amdhsa_user_sgpr_kernarg_preload_length 0
		.amdhsa_user_sgpr_kernarg_preload_offset 0
		.amdhsa_user_sgpr_private_segment_size 0
		.amdhsa_wavefront_size32 1
		.amdhsa_uses_dynamic_stack 0
		.amdhsa_enable_private_segment 0
		.amdhsa_system_sgpr_workgroup_id_x 1
		.amdhsa_system_sgpr_workgroup_id_y 0
		.amdhsa_system_sgpr_workgroup_id_z 0
		.amdhsa_system_sgpr_workgroup_info 0
		.amdhsa_system_vgpr_workitem_id 0
		.amdhsa_next_free_vgpr 1
		.amdhsa_next_free_sgpr 1
		.amdhsa_named_barrier_count 0
		.amdhsa_reserve_vcc 0
		.amdhsa_float_round_mode_32 0
		.amdhsa_float_round_mode_16_64 0
		.amdhsa_float_denorm_mode_32 3
		.amdhsa_float_denorm_mode_16_64 3
		.amdhsa_fp16_overflow 0
		.amdhsa_memory_ordered 1
		.amdhsa_forward_progress 1
		.amdhsa_inst_pref_size 0
		.amdhsa_round_robin_scheduling 0
		.amdhsa_exception_fp_ieee_invalid_op 0
		.amdhsa_exception_fp_denorm_src 0
		.amdhsa_exception_fp_ieee_div_zero 0
		.amdhsa_exception_fp_ieee_overflow 0
		.amdhsa_exception_fp_ieee_underflow 0
		.amdhsa_exception_fp_ieee_inexact 0
		.amdhsa_exception_int_div_zero 0
	.end_amdhsa_kernel
	.section	.text._ZN7rocprim17ROCPRIM_400000_NS6detail17trampoline_kernelINS0_14default_configENS1_38merge_sort_block_merge_config_selectorImNS0_10empty_typeEEEZZNS1_27merge_sort_block_merge_implIS3_PmPS5_jNS1_19radix_merge_compareILb0ELb0EmNS0_19identity_decomposerEEEEE10hipError_tT0_T1_T2_jT3_P12ihipStream_tbPNSt15iterator_traitsISE_E10value_typeEPNSK_ISF_E10value_typeEPSG_NS1_7vsmem_tEENKUlT_SE_SF_SG_E_clIS8_S8_S9_S9_EESD_ST_SE_SF_SG_EUlST_E_NS1_11comp_targetILNS1_3genE9ELNS1_11target_archE1100ELNS1_3gpuE3ELNS1_3repE0EEENS1_48merge_mergepath_partition_config_static_selectorELNS0_4arch9wavefront6targetE0EEEvSF_,"axG",@progbits,_ZN7rocprim17ROCPRIM_400000_NS6detail17trampoline_kernelINS0_14default_configENS1_38merge_sort_block_merge_config_selectorImNS0_10empty_typeEEEZZNS1_27merge_sort_block_merge_implIS3_PmPS5_jNS1_19radix_merge_compareILb0ELb0EmNS0_19identity_decomposerEEEEE10hipError_tT0_T1_T2_jT3_P12ihipStream_tbPNSt15iterator_traitsISE_E10value_typeEPNSK_ISF_E10value_typeEPSG_NS1_7vsmem_tEENKUlT_SE_SF_SG_E_clIS8_S8_S9_S9_EESD_ST_SE_SF_SG_EUlST_E_NS1_11comp_targetILNS1_3genE9ELNS1_11target_archE1100ELNS1_3gpuE3ELNS1_3repE0EEENS1_48merge_mergepath_partition_config_static_selectorELNS0_4arch9wavefront6targetE0EEEvSF_,comdat
.Lfunc_end2931:
	.size	_ZN7rocprim17ROCPRIM_400000_NS6detail17trampoline_kernelINS0_14default_configENS1_38merge_sort_block_merge_config_selectorImNS0_10empty_typeEEEZZNS1_27merge_sort_block_merge_implIS3_PmPS5_jNS1_19radix_merge_compareILb0ELb0EmNS0_19identity_decomposerEEEEE10hipError_tT0_T1_T2_jT3_P12ihipStream_tbPNSt15iterator_traitsISE_E10value_typeEPNSK_ISF_E10value_typeEPSG_NS1_7vsmem_tEENKUlT_SE_SF_SG_E_clIS8_S8_S9_S9_EESD_ST_SE_SF_SG_EUlST_E_NS1_11comp_targetILNS1_3genE9ELNS1_11target_archE1100ELNS1_3gpuE3ELNS1_3repE0EEENS1_48merge_mergepath_partition_config_static_selectorELNS0_4arch9wavefront6targetE0EEEvSF_, .Lfunc_end2931-_ZN7rocprim17ROCPRIM_400000_NS6detail17trampoline_kernelINS0_14default_configENS1_38merge_sort_block_merge_config_selectorImNS0_10empty_typeEEEZZNS1_27merge_sort_block_merge_implIS3_PmPS5_jNS1_19radix_merge_compareILb0ELb0EmNS0_19identity_decomposerEEEEE10hipError_tT0_T1_T2_jT3_P12ihipStream_tbPNSt15iterator_traitsISE_E10value_typeEPNSK_ISF_E10value_typeEPSG_NS1_7vsmem_tEENKUlT_SE_SF_SG_E_clIS8_S8_S9_S9_EESD_ST_SE_SF_SG_EUlST_E_NS1_11comp_targetILNS1_3genE9ELNS1_11target_archE1100ELNS1_3gpuE3ELNS1_3repE0EEENS1_48merge_mergepath_partition_config_static_selectorELNS0_4arch9wavefront6targetE0EEEvSF_
                                        ; -- End function
	.set _ZN7rocprim17ROCPRIM_400000_NS6detail17trampoline_kernelINS0_14default_configENS1_38merge_sort_block_merge_config_selectorImNS0_10empty_typeEEEZZNS1_27merge_sort_block_merge_implIS3_PmPS5_jNS1_19radix_merge_compareILb0ELb0EmNS0_19identity_decomposerEEEEE10hipError_tT0_T1_T2_jT3_P12ihipStream_tbPNSt15iterator_traitsISE_E10value_typeEPNSK_ISF_E10value_typeEPSG_NS1_7vsmem_tEENKUlT_SE_SF_SG_E_clIS8_S8_S9_S9_EESD_ST_SE_SF_SG_EUlST_E_NS1_11comp_targetILNS1_3genE9ELNS1_11target_archE1100ELNS1_3gpuE3ELNS1_3repE0EEENS1_48merge_mergepath_partition_config_static_selectorELNS0_4arch9wavefront6targetE0EEEvSF_.num_vgpr, 0
	.set _ZN7rocprim17ROCPRIM_400000_NS6detail17trampoline_kernelINS0_14default_configENS1_38merge_sort_block_merge_config_selectorImNS0_10empty_typeEEEZZNS1_27merge_sort_block_merge_implIS3_PmPS5_jNS1_19radix_merge_compareILb0ELb0EmNS0_19identity_decomposerEEEEE10hipError_tT0_T1_T2_jT3_P12ihipStream_tbPNSt15iterator_traitsISE_E10value_typeEPNSK_ISF_E10value_typeEPSG_NS1_7vsmem_tEENKUlT_SE_SF_SG_E_clIS8_S8_S9_S9_EESD_ST_SE_SF_SG_EUlST_E_NS1_11comp_targetILNS1_3genE9ELNS1_11target_archE1100ELNS1_3gpuE3ELNS1_3repE0EEENS1_48merge_mergepath_partition_config_static_selectorELNS0_4arch9wavefront6targetE0EEEvSF_.num_agpr, 0
	.set _ZN7rocprim17ROCPRIM_400000_NS6detail17trampoline_kernelINS0_14default_configENS1_38merge_sort_block_merge_config_selectorImNS0_10empty_typeEEEZZNS1_27merge_sort_block_merge_implIS3_PmPS5_jNS1_19radix_merge_compareILb0ELb0EmNS0_19identity_decomposerEEEEE10hipError_tT0_T1_T2_jT3_P12ihipStream_tbPNSt15iterator_traitsISE_E10value_typeEPNSK_ISF_E10value_typeEPSG_NS1_7vsmem_tEENKUlT_SE_SF_SG_E_clIS8_S8_S9_S9_EESD_ST_SE_SF_SG_EUlST_E_NS1_11comp_targetILNS1_3genE9ELNS1_11target_archE1100ELNS1_3gpuE3ELNS1_3repE0EEENS1_48merge_mergepath_partition_config_static_selectorELNS0_4arch9wavefront6targetE0EEEvSF_.numbered_sgpr, 0
	.set _ZN7rocprim17ROCPRIM_400000_NS6detail17trampoline_kernelINS0_14default_configENS1_38merge_sort_block_merge_config_selectorImNS0_10empty_typeEEEZZNS1_27merge_sort_block_merge_implIS3_PmPS5_jNS1_19radix_merge_compareILb0ELb0EmNS0_19identity_decomposerEEEEE10hipError_tT0_T1_T2_jT3_P12ihipStream_tbPNSt15iterator_traitsISE_E10value_typeEPNSK_ISF_E10value_typeEPSG_NS1_7vsmem_tEENKUlT_SE_SF_SG_E_clIS8_S8_S9_S9_EESD_ST_SE_SF_SG_EUlST_E_NS1_11comp_targetILNS1_3genE9ELNS1_11target_archE1100ELNS1_3gpuE3ELNS1_3repE0EEENS1_48merge_mergepath_partition_config_static_selectorELNS0_4arch9wavefront6targetE0EEEvSF_.num_named_barrier, 0
	.set _ZN7rocprim17ROCPRIM_400000_NS6detail17trampoline_kernelINS0_14default_configENS1_38merge_sort_block_merge_config_selectorImNS0_10empty_typeEEEZZNS1_27merge_sort_block_merge_implIS3_PmPS5_jNS1_19radix_merge_compareILb0ELb0EmNS0_19identity_decomposerEEEEE10hipError_tT0_T1_T2_jT3_P12ihipStream_tbPNSt15iterator_traitsISE_E10value_typeEPNSK_ISF_E10value_typeEPSG_NS1_7vsmem_tEENKUlT_SE_SF_SG_E_clIS8_S8_S9_S9_EESD_ST_SE_SF_SG_EUlST_E_NS1_11comp_targetILNS1_3genE9ELNS1_11target_archE1100ELNS1_3gpuE3ELNS1_3repE0EEENS1_48merge_mergepath_partition_config_static_selectorELNS0_4arch9wavefront6targetE0EEEvSF_.private_seg_size, 0
	.set _ZN7rocprim17ROCPRIM_400000_NS6detail17trampoline_kernelINS0_14default_configENS1_38merge_sort_block_merge_config_selectorImNS0_10empty_typeEEEZZNS1_27merge_sort_block_merge_implIS3_PmPS5_jNS1_19radix_merge_compareILb0ELb0EmNS0_19identity_decomposerEEEEE10hipError_tT0_T1_T2_jT3_P12ihipStream_tbPNSt15iterator_traitsISE_E10value_typeEPNSK_ISF_E10value_typeEPSG_NS1_7vsmem_tEENKUlT_SE_SF_SG_E_clIS8_S8_S9_S9_EESD_ST_SE_SF_SG_EUlST_E_NS1_11comp_targetILNS1_3genE9ELNS1_11target_archE1100ELNS1_3gpuE3ELNS1_3repE0EEENS1_48merge_mergepath_partition_config_static_selectorELNS0_4arch9wavefront6targetE0EEEvSF_.uses_vcc, 0
	.set _ZN7rocprim17ROCPRIM_400000_NS6detail17trampoline_kernelINS0_14default_configENS1_38merge_sort_block_merge_config_selectorImNS0_10empty_typeEEEZZNS1_27merge_sort_block_merge_implIS3_PmPS5_jNS1_19radix_merge_compareILb0ELb0EmNS0_19identity_decomposerEEEEE10hipError_tT0_T1_T2_jT3_P12ihipStream_tbPNSt15iterator_traitsISE_E10value_typeEPNSK_ISF_E10value_typeEPSG_NS1_7vsmem_tEENKUlT_SE_SF_SG_E_clIS8_S8_S9_S9_EESD_ST_SE_SF_SG_EUlST_E_NS1_11comp_targetILNS1_3genE9ELNS1_11target_archE1100ELNS1_3gpuE3ELNS1_3repE0EEENS1_48merge_mergepath_partition_config_static_selectorELNS0_4arch9wavefront6targetE0EEEvSF_.uses_flat_scratch, 0
	.set _ZN7rocprim17ROCPRIM_400000_NS6detail17trampoline_kernelINS0_14default_configENS1_38merge_sort_block_merge_config_selectorImNS0_10empty_typeEEEZZNS1_27merge_sort_block_merge_implIS3_PmPS5_jNS1_19radix_merge_compareILb0ELb0EmNS0_19identity_decomposerEEEEE10hipError_tT0_T1_T2_jT3_P12ihipStream_tbPNSt15iterator_traitsISE_E10value_typeEPNSK_ISF_E10value_typeEPSG_NS1_7vsmem_tEENKUlT_SE_SF_SG_E_clIS8_S8_S9_S9_EESD_ST_SE_SF_SG_EUlST_E_NS1_11comp_targetILNS1_3genE9ELNS1_11target_archE1100ELNS1_3gpuE3ELNS1_3repE0EEENS1_48merge_mergepath_partition_config_static_selectorELNS0_4arch9wavefront6targetE0EEEvSF_.has_dyn_sized_stack, 0
	.set _ZN7rocprim17ROCPRIM_400000_NS6detail17trampoline_kernelINS0_14default_configENS1_38merge_sort_block_merge_config_selectorImNS0_10empty_typeEEEZZNS1_27merge_sort_block_merge_implIS3_PmPS5_jNS1_19radix_merge_compareILb0ELb0EmNS0_19identity_decomposerEEEEE10hipError_tT0_T1_T2_jT3_P12ihipStream_tbPNSt15iterator_traitsISE_E10value_typeEPNSK_ISF_E10value_typeEPSG_NS1_7vsmem_tEENKUlT_SE_SF_SG_E_clIS8_S8_S9_S9_EESD_ST_SE_SF_SG_EUlST_E_NS1_11comp_targetILNS1_3genE9ELNS1_11target_archE1100ELNS1_3gpuE3ELNS1_3repE0EEENS1_48merge_mergepath_partition_config_static_selectorELNS0_4arch9wavefront6targetE0EEEvSF_.has_recursion, 0
	.set _ZN7rocprim17ROCPRIM_400000_NS6detail17trampoline_kernelINS0_14default_configENS1_38merge_sort_block_merge_config_selectorImNS0_10empty_typeEEEZZNS1_27merge_sort_block_merge_implIS3_PmPS5_jNS1_19radix_merge_compareILb0ELb0EmNS0_19identity_decomposerEEEEE10hipError_tT0_T1_T2_jT3_P12ihipStream_tbPNSt15iterator_traitsISE_E10value_typeEPNSK_ISF_E10value_typeEPSG_NS1_7vsmem_tEENKUlT_SE_SF_SG_E_clIS8_S8_S9_S9_EESD_ST_SE_SF_SG_EUlST_E_NS1_11comp_targetILNS1_3genE9ELNS1_11target_archE1100ELNS1_3gpuE3ELNS1_3repE0EEENS1_48merge_mergepath_partition_config_static_selectorELNS0_4arch9wavefront6targetE0EEEvSF_.has_indirect_call, 0
	.section	.AMDGPU.csdata,"",@progbits
; Kernel info:
; codeLenInByte = 0
; TotalNumSgprs: 0
; NumVgprs: 0
; ScratchSize: 0
; MemoryBound: 0
; FloatMode: 240
; IeeeMode: 1
; LDSByteSize: 0 bytes/workgroup (compile time only)
; SGPRBlocks: 0
; VGPRBlocks: 0
; NumSGPRsForWavesPerEU: 1
; NumVGPRsForWavesPerEU: 1
; NamedBarCnt: 0
; Occupancy: 16
; WaveLimiterHint : 0
; COMPUTE_PGM_RSRC2:SCRATCH_EN: 0
; COMPUTE_PGM_RSRC2:USER_SGPR: 2
; COMPUTE_PGM_RSRC2:TRAP_HANDLER: 0
; COMPUTE_PGM_RSRC2:TGID_X_EN: 1
; COMPUTE_PGM_RSRC2:TGID_Y_EN: 0
; COMPUTE_PGM_RSRC2:TGID_Z_EN: 0
; COMPUTE_PGM_RSRC2:TIDIG_COMP_CNT: 0
	.section	.text._ZN7rocprim17ROCPRIM_400000_NS6detail17trampoline_kernelINS0_14default_configENS1_38merge_sort_block_merge_config_selectorImNS0_10empty_typeEEEZZNS1_27merge_sort_block_merge_implIS3_PmPS5_jNS1_19radix_merge_compareILb0ELb0EmNS0_19identity_decomposerEEEEE10hipError_tT0_T1_T2_jT3_P12ihipStream_tbPNSt15iterator_traitsISE_E10value_typeEPNSK_ISF_E10value_typeEPSG_NS1_7vsmem_tEENKUlT_SE_SF_SG_E_clIS8_S8_S9_S9_EESD_ST_SE_SF_SG_EUlST_E_NS1_11comp_targetILNS1_3genE8ELNS1_11target_archE1030ELNS1_3gpuE2ELNS1_3repE0EEENS1_48merge_mergepath_partition_config_static_selectorELNS0_4arch9wavefront6targetE0EEEvSF_,"axG",@progbits,_ZN7rocprim17ROCPRIM_400000_NS6detail17trampoline_kernelINS0_14default_configENS1_38merge_sort_block_merge_config_selectorImNS0_10empty_typeEEEZZNS1_27merge_sort_block_merge_implIS3_PmPS5_jNS1_19radix_merge_compareILb0ELb0EmNS0_19identity_decomposerEEEEE10hipError_tT0_T1_T2_jT3_P12ihipStream_tbPNSt15iterator_traitsISE_E10value_typeEPNSK_ISF_E10value_typeEPSG_NS1_7vsmem_tEENKUlT_SE_SF_SG_E_clIS8_S8_S9_S9_EESD_ST_SE_SF_SG_EUlST_E_NS1_11comp_targetILNS1_3genE8ELNS1_11target_archE1030ELNS1_3gpuE2ELNS1_3repE0EEENS1_48merge_mergepath_partition_config_static_selectorELNS0_4arch9wavefront6targetE0EEEvSF_,comdat
	.protected	_ZN7rocprim17ROCPRIM_400000_NS6detail17trampoline_kernelINS0_14default_configENS1_38merge_sort_block_merge_config_selectorImNS0_10empty_typeEEEZZNS1_27merge_sort_block_merge_implIS3_PmPS5_jNS1_19radix_merge_compareILb0ELb0EmNS0_19identity_decomposerEEEEE10hipError_tT0_T1_T2_jT3_P12ihipStream_tbPNSt15iterator_traitsISE_E10value_typeEPNSK_ISF_E10value_typeEPSG_NS1_7vsmem_tEENKUlT_SE_SF_SG_E_clIS8_S8_S9_S9_EESD_ST_SE_SF_SG_EUlST_E_NS1_11comp_targetILNS1_3genE8ELNS1_11target_archE1030ELNS1_3gpuE2ELNS1_3repE0EEENS1_48merge_mergepath_partition_config_static_selectorELNS0_4arch9wavefront6targetE0EEEvSF_ ; -- Begin function _ZN7rocprim17ROCPRIM_400000_NS6detail17trampoline_kernelINS0_14default_configENS1_38merge_sort_block_merge_config_selectorImNS0_10empty_typeEEEZZNS1_27merge_sort_block_merge_implIS3_PmPS5_jNS1_19radix_merge_compareILb0ELb0EmNS0_19identity_decomposerEEEEE10hipError_tT0_T1_T2_jT3_P12ihipStream_tbPNSt15iterator_traitsISE_E10value_typeEPNSK_ISF_E10value_typeEPSG_NS1_7vsmem_tEENKUlT_SE_SF_SG_E_clIS8_S8_S9_S9_EESD_ST_SE_SF_SG_EUlST_E_NS1_11comp_targetILNS1_3genE8ELNS1_11target_archE1030ELNS1_3gpuE2ELNS1_3repE0EEENS1_48merge_mergepath_partition_config_static_selectorELNS0_4arch9wavefront6targetE0EEEvSF_
	.globl	_ZN7rocprim17ROCPRIM_400000_NS6detail17trampoline_kernelINS0_14default_configENS1_38merge_sort_block_merge_config_selectorImNS0_10empty_typeEEEZZNS1_27merge_sort_block_merge_implIS3_PmPS5_jNS1_19radix_merge_compareILb0ELb0EmNS0_19identity_decomposerEEEEE10hipError_tT0_T1_T2_jT3_P12ihipStream_tbPNSt15iterator_traitsISE_E10value_typeEPNSK_ISF_E10value_typeEPSG_NS1_7vsmem_tEENKUlT_SE_SF_SG_E_clIS8_S8_S9_S9_EESD_ST_SE_SF_SG_EUlST_E_NS1_11comp_targetILNS1_3genE8ELNS1_11target_archE1030ELNS1_3gpuE2ELNS1_3repE0EEENS1_48merge_mergepath_partition_config_static_selectorELNS0_4arch9wavefront6targetE0EEEvSF_
	.p2align	8
	.type	_ZN7rocprim17ROCPRIM_400000_NS6detail17trampoline_kernelINS0_14default_configENS1_38merge_sort_block_merge_config_selectorImNS0_10empty_typeEEEZZNS1_27merge_sort_block_merge_implIS3_PmPS5_jNS1_19radix_merge_compareILb0ELb0EmNS0_19identity_decomposerEEEEE10hipError_tT0_T1_T2_jT3_P12ihipStream_tbPNSt15iterator_traitsISE_E10value_typeEPNSK_ISF_E10value_typeEPSG_NS1_7vsmem_tEENKUlT_SE_SF_SG_E_clIS8_S8_S9_S9_EESD_ST_SE_SF_SG_EUlST_E_NS1_11comp_targetILNS1_3genE8ELNS1_11target_archE1030ELNS1_3gpuE2ELNS1_3repE0EEENS1_48merge_mergepath_partition_config_static_selectorELNS0_4arch9wavefront6targetE0EEEvSF_,@function
_ZN7rocprim17ROCPRIM_400000_NS6detail17trampoline_kernelINS0_14default_configENS1_38merge_sort_block_merge_config_selectorImNS0_10empty_typeEEEZZNS1_27merge_sort_block_merge_implIS3_PmPS5_jNS1_19radix_merge_compareILb0ELb0EmNS0_19identity_decomposerEEEEE10hipError_tT0_T1_T2_jT3_P12ihipStream_tbPNSt15iterator_traitsISE_E10value_typeEPNSK_ISF_E10value_typeEPSG_NS1_7vsmem_tEENKUlT_SE_SF_SG_E_clIS8_S8_S9_S9_EESD_ST_SE_SF_SG_EUlST_E_NS1_11comp_targetILNS1_3genE8ELNS1_11target_archE1030ELNS1_3gpuE2ELNS1_3repE0EEENS1_48merge_mergepath_partition_config_static_selectorELNS0_4arch9wavefront6targetE0EEEvSF_: ; @_ZN7rocprim17ROCPRIM_400000_NS6detail17trampoline_kernelINS0_14default_configENS1_38merge_sort_block_merge_config_selectorImNS0_10empty_typeEEEZZNS1_27merge_sort_block_merge_implIS3_PmPS5_jNS1_19radix_merge_compareILb0ELb0EmNS0_19identity_decomposerEEEEE10hipError_tT0_T1_T2_jT3_P12ihipStream_tbPNSt15iterator_traitsISE_E10value_typeEPNSK_ISF_E10value_typeEPSG_NS1_7vsmem_tEENKUlT_SE_SF_SG_E_clIS8_S8_S9_S9_EESD_ST_SE_SF_SG_EUlST_E_NS1_11comp_targetILNS1_3genE8ELNS1_11target_archE1030ELNS1_3gpuE2ELNS1_3repE0EEENS1_48merge_mergepath_partition_config_static_selectorELNS0_4arch9wavefront6targetE0EEEvSF_
; %bb.0:
	.section	.rodata,"a",@progbits
	.p2align	6, 0x0
	.amdhsa_kernel _ZN7rocprim17ROCPRIM_400000_NS6detail17trampoline_kernelINS0_14default_configENS1_38merge_sort_block_merge_config_selectorImNS0_10empty_typeEEEZZNS1_27merge_sort_block_merge_implIS3_PmPS5_jNS1_19radix_merge_compareILb0ELb0EmNS0_19identity_decomposerEEEEE10hipError_tT0_T1_T2_jT3_P12ihipStream_tbPNSt15iterator_traitsISE_E10value_typeEPNSK_ISF_E10value_typeEPSG_NS1_7vsmem_tEENKUlT_SE_SF_SG_E_clIS8_S8_S9_S9_EESD_ST_SE_SF_SG_EUlST_E_NS1_11comp_targetILNS1_3genE8ELNS1_11target_archE1030ELNS1_3gpuE2ELNS1_3repE0EEENS1_48merge_mergepath_partition_config_static_selectorELNS0_4arch9wavefront6targetE0EEEvSF_
		.amdhsa_group_segment_fixed_size 0
		.amdhsa_private_segment_fixed_size 0
		.amdhsa_kernarg_size 40
		.amdhsa_user_sgpr_count 2
		.amdhsa_user_sgpr_dispatch_ptr 0
		.amdhsa_user_sgpr_queue_ptr 0
		.amdhsa_user_sgpr_kernarg_segment_ptr 1
		.amdhsa_user_sgpr_dispatch_id 0
		.amdhsa_user_sgpr_kernarg_preload_length 0
		.amdhsa_user_sgpr_kernarg_preload_offset 0
		.amdhsa_user_sgpr_private_segment_size 0
		.amdhsa_wavefront_size32 1
		.amdhsa_uses_dynamic_stack 0
		.amdhsa_enable_private_segment 0
		.amdhsa_system_sgpr_workgroup_id_x 1
		.amdhsa_system_sgpr_workgroup_id_y 0
		.amdhsa_system_sgpr_workgroup_id_z 0
		.amdhsa_system_sgpr_workgroup_info 0
		.amdhsa_system_vgpr_workitem_id 0
		.amdhsa_next_free_vgpr 1
		.amdhsa_next_free_sgpr 1
		.amdhsa_named_barrier_count 0
		.amdhsa_reserve_vcc 0
		.amdhsa_float_round_mode_32 0
		.amdhsa_float_round_mode_16_64 0
		.amdhsa_float_denorm_mode_32 3
		.amdhsa_float_denorm_mode_16_64 3
		.amdhsa_fp16_overflow 0
		.amdhsa_memory_ordered 1
		.amdhsa_forward_progress 1
		.amdhsa_inst_pref_size 0
		.amdhsa_round_robin_scheduling 0
		.amdhsa_exception_fp_ieee_invalid_op 0
		.amdhsa_exception_fp_denorm_src 0
		.amdhsa_exception_fp_ieee_div_zero 0
		.amdhsa_exception_fp_ieee_overflow 0
		.amdhsa_exception_fp_ieee_underflow 0
		.amdhsa_exception_fp_ieee_inexact 0
		.amdhsa_exception_int_div_zero 0
	.end_amdhsa_kernel
	.section	.text._ZN7rocprim17ROCPRIM_400000_NS6detail17trampoline_kernelINS0_14default_configENS1_38merge_sort_block_merge_config_selectorImNS0_10empty_typeEEEZZNS1_27merge_sort_block_merge_implIS3_PmPS5_jNS1_19radix_merge_compareILb0ELb0EmNS0_19identity_decomposerEEEEE10hipError_tT0_T1_T2_jT3_P12ihipStream_tbPNSt15iterator_traitsISE_E10value_typeEPNSK_ISF_E10value_typeEPSG_NS1_7vsmem_tEENKUlT_SE_SF_SG_E_clIS8_S8_S9_S9_EESD_ST_SE_SF_SG_EUlST_E_NS1_11comp_targetILNS1_3genE8ELNS1_11target_archE1030ELNS1_3gpuE2ELNS1_3repE0EEENS1_48merge_mergepath_partition_config_static_selectorELNS0_4arch9wavefront6targetE0EEEvSF_,"axG",@progbits,_ZN7rocprim17ROCPRIM_400000_NS6detail17trampoline_kernelINS0_14default_configENS1_38merge_sort_block_merge_config_selectorImNS0_10empty_typeEEEZZNS1_27merge_sort_block_merge_implIS3_PmPS5_jNS1_19radix_merge_compareILb0ELb0EmNS0_19identity_decomposerEEEEE10hipError_tT0_T1_T2_jT3_P12ihipStream_tbPNSt15iterator_traitsISE_E10value_typeEPNSK_ISF_E10value_typeEPSG_NS1_7vsmem_tEENKUlT_SE_SF_SG_E_clIS8_S8_S9_S9_EESD_ST_SE_SF_SG_EUlST_E_NS1_11comp_targetILNS1_3genE8ELNS1_11target_archE1030ELNS1_3gpuE2ELNS1_3repE0EEENS1_48merge_mergepath_partition_config_static_selectorELNS0_4arch9wavefront6targetE0EEEvSF_,comdat
.Lfunc_end2932:
	.size	_ZN7rocprim17ROCPRIM_400000_NS6detail17trampoline_kernelINS0_14default_configENS1_38merge_sort_block_merge_config_selectorImNS0_10empty_typeEEEZZNS1_27merge_sort_block_merge_implIS3_PmPS5_jNS1_19radix_merge_compareILb0ELb0EmNS0_19identity_decomposerEEEEE10hipError_tT0_T1_T2_jT3_P12ihipStream_tbPNSt15iterator_traitsISE_E10value_typeEPNSK_ISF_E10value_typeEPSG_NS1_7vsmem_tEENKUlT_SE_SF_SG_E_clIS8_S8_S9_S9_EESD_ST_SE_SF_SG_EUlST_E_NS1_11comp_targetILNS1_3genE8ELNS1_11target_archE1030ELNS1_3gpuE2ELNS1_3repE0EEENS1_48merge_mergepath_partition_config_static_selectorELNS0_4arch9wavefront6targetE0EEEvSF_, .Lfunc_end2932-_ZN7rocprim17ROCPRIM_400000_NS6detail17trampoline_kernelINS0_14default_configENS1_38merge_sort_block_merge_config_selectorImNS0_10empty_typeEEEZZNS1_27merge_sort_block_merge_implIS3_PmPS5_jNS1_19radix_merge_compareILb0ELb0EmNS0_19identity_decomposerEEEEE10hipError_tT0_T1_T2_jT3_P12ihipStream_tbPNSt15iterator_traitsISE_E10value_typeEPNSK_ISF_E10value_typeEPSG_NS1_7vsmem_tEENKUlT_SE_SF_SG_E_clIS8_S8_S9_S9_EESD_ST_SE_SF_SG_EUlST_E_NS1_11comp_targetILNS1_3genE8ELNS1_11target_archE1030ELNS1_3gpuE2ELNS1_3repE0EEENS1_48merge_mergepath_partition_config_static_selectorELNS0_4arch9wavefront6targetE0EEEvSF_
                                        ; -- End function
	.set _ZN7rocprim17ROCPRIM_400000_NS6detail17trampoline_kernelINS0_14default_configENS1_38merge_sort_block_merge_config_selectorImNS0_10empty_typeEEEZZNS1_27merge_sort_block_merge_implIS3_PmPS5_jNS1_19radix_merge_compareILb0ELb0EmNS0_19identity_decomposerEEEEE10hipError_tT0_T1_T2_jT3_P12ihipStream_tbPNSt15iterator_traitsISE_E10value_typeEPNSK_ISF_E10value_typeEPSG_NS1_7vsmem_tEENKUlT_SE_SF_SG_E_clIS8_S8_S9_S9_EESD_ST_SE_SF_SG_EUlST_E_NS1_11comp_targetILNS1_3genE8ELNS1_11target_archE1030ELNS1_3gpuE2ELNS1_3repE0EEENS1_48merge_mergepath_partition_config_static_selectorELNS0_4arch9wavefront6targetE0EEEvSF_.num_vgpr, 0
	.set _ZN7rocprim17ROCPRIM_400000_NS6detail17trampoline_kernelINS0_14default_configENS1_38merge_sort_block_merge_config_selectorImNS0_10empty_typeEEEZZNS1_27merge_sort_block_merge_implIS3_PmPS5_jNS1_19radix_merge_compareILb0ELb0EmNS0_19identity_decomposerEEEEE10hipError_tT0_T1_T2_jT3_P12ihipStream_tbPNSt15iterator_traitsISE_E10value_typeEPNSK_ISF_E10value_typeEPSG_NS1_7vsmem_tEENKUlT_SE_SF_SG_E_clIS8_S8_S9_S9_EESD_ST_SE_SF_SG_EUlST_E_NS1_11comp_targetILNS1_3genE8ELNS1_11target_archE1030ELNS1_3gpuE2ELNS1_3repE0EEENS1_48merge_mergepath_partition_config_static_selectorELNS0_4arch9wavefront6targetE0EEEvSF_.num_agpr, 0
	.set _ZN7rocprim17ROCPRIM_400000_NS6detail17trampoline_kernelINS0_14default_configENS1_38merge_sort_block_merge_config_selectorImNS0_10empty_typeEEEZZNS1_27merge_sort_block_merge_implIS3_PmPS5_jNS1_19radix_merge_compareILb0ELb0EmNS0_19identity_decomposerEEEEE10hipError_tT0_T1_T2_jT3_P12ihipStream_tbPNSt15iterator_traitsISE_E10value_typeEPNSK_ISF_E10value_typeEPSG_NS1_7vsmem_tEENKUlT_SE_SF_SG_E_clIS8_S8_S9_S9_EESD_ST_SE_SF_SG_EUlST_E_NS1_11comp_targetILNS1_3genE8ELNS1_11target_archE1030ELNS1_3gpuE2ELNS1_3repE0EEENS1_48merge_mergepath_partition_config_static_selectorELNS0_4arch9wavefront6targetE0EEEvSF_.numbered_sgpr, 0
	.set _ZN7rocprim17ROCPRIM_400000_NS6detail17trampoline_kernelINS0_14default_configENS1_38merge_sort_block_merge_config_selectorImNS0_10empty_typeEEEZZNS1_27merge_sort_block_merge_implIS3_PmPS5_jNS1_19radix_merge_compareILb0ELb0EmNS0_19identity_decomposerEEEEE10hipError_tT0_T1_T2_jT3_P12ihipStream_tbPNSt15iterator_traitsISE_E10value_typeEPNSK_ISF_E10value_typeEPSG_NS1_7vsmem_tEENKUlT_SE_SF_SG_E_clIS8_S8_S9_S9_EESD_ST_SE_SF_SG_EUlST_E_NS1_11comp_targetILNS1_3genE8ELNS1_11target_archE1030ELNS1_3gpuE2ELNS1_3repE0EEENS1_48merge_mergepath_partition_config_static_selectorELNS0_4arch9wavefront6targetE0EEEvSF_.num_named_barrier, 0
	.set _ZN7rocprim17ROCPRIM_400000_NS6detail17trampoline_kernelINS0_14default_configENS1_38merge_sort_block_merge_config_selectorImNS0_10empty_typeEEEZZNS1_27merge_sort_block_merge_implIS3_PmPS5_jNS1_19radix_merge_compareILb0ELb0EmNS0_19identity_decomposerEEEEE10hipError_tT0_T1_T2_jT3_P12ihipStream_tbPNSt15iterator_traitsISE_E10value_typeEPNSK_ISF_E10value_typeEPSG_NS1_7vsmem_tEENKUlT_SE_SF_SG_E_clIS8_S8_S9_S9_EESD_ST_SE_SF_SG_EUlST_E_NS1_11comp_targetILNS1_3genE8ELNS1_11target_archE1030ELNS1_3gpuE2ELNS1_3repE0EEENS1_48merge_mergepath_partition_config_static_selectorELNS0_4arch9wavefront6targetE0EEEvSF_.private_seg_size, 0
	.set _ZN7rocprim17ROCPRIM_400000_NS6detail17trampoline_kernelINS0_14default_configENS1_38merge_sort_block_merge_config_selectorImNS0_10empty_typeEEEZZNS1_27merge_sort_block_merge_implIS3_PmPS5_jNS1_19radix_merge_compareILb0ELb0EmNS0_19identity_decomposerEEEEE10hipError_tT0_T1_T2_jT3_P12ihipStream_tbPNSt15iterator_traitsISE_E10value_typeEPNSK_ISF_E10value_typeEPSG_NS1_7vsmem_tEENKUlT_SE_SF_SG_E_clIS8_S8_S9_S9_EESD_ST_SE_SF_SG_EUlST_E_NS1_11comp_targetILNS1_3genE8ELNS1_11target_archE1030ELNS1_3gpuE2ELNS1_3repE0EEENS1_48merge_mergepath_partition_config_static_selectorELNS0_4arch9wavefront6targetE0EEEvSF_.uses_vcc, 0
	.set _ZN7rocprim17ROCPRIM_400000_NS6detail17trampoline_kernelINS0_14default_configENS1_38merge_sort_block_merge_config_selectorImNS0_10empty_typeEEEZZNS1_27merge_sort_block_merge_implIS3_PmPS5_jNS1_19radix_merge_compareILb0ELb0EmNS0_19identity_decomposerEEEEE10hipError_tT0_T1_T2_jT3_P12ihipStream_tbPNSt15iterator_traitsISE_E10value_typeEPNSK_ISF_E10value_typeEPSG_NS1_7vsmem_tEENKUlT_SE_SF_SG_E_clIS8_S8_S9_S9_EESD_ST_SE_SF_SG_EUlST_E_NS1_11comp_targetILNS1_3genE8ELNS1_11target_archE1030ELNS1_3gpuE2ELNS1_3repE0EEENS1_48merge_mergepath_partition_config_static_selectorELNS0_4arch9wavefront6targetE0EEEvSF_.uses_flat_scratch, 0
	.set _ZN7rocprim17ROCPRIM_400000_NS6detail17trampoline_kernelINS0_14default_configENS1_38merge_sort_block_merge_config_selectorImNS0_10empty_typeEEEZZNS1_27merge_sort_block_merge_implIS3_PmPS5_jNS1_19radix_merge_compareILb0ELb0EmNS0_19identity_decomposerEEEEE10hipError_tT0_T1_T2_jT3_P12ihipStream_tbPNSt15iterator_traitsISE_E10value_typeEPNSK_ISF_E10value_typeEPSG_NS1_7vsmem_tEENKUlT_SE_SF_SG_E_clIS8_S8_S9_S9_EESD_ST_SE_SF_SG_EUlST_E_NS1_11comp_targetILNS1_3genE8ELNS1_11target_archE1030ELNS1_3gpuE2ELNS1_3repE0EEENS1_48merge_mergepath_partition_config_static_selectorELNS0_4arch9wavefront6targetE0EEEvSF_.has_dyn_sized_stack, 0
	.set _ZN7rocprim17ROCPRIM_400000_NS6detail17trampoline_kernelINS0_14default_configENS1_38merge_sort_block_merge_config_selectorImNS0_10empty_typeEEEZZNS1_27merge_sort_block_merge_implIS3_PmPS5_jNS1_19radix_merge_compareILb0ELb0EmNS0_19identity_decomposerEEEEE10hipError_tT0_T1_T2_jT3_P12ihipStream_tbPNSt15iterator_traitsISE_E10value_typeEPNSK_ISF_E10value_typeEPSG_NS1_7vsmem_tEENKUlT_SE_SF_SG_E_clIS8_S8_S9_S9_EESD_ST_SE_SF_SG_EUlST_E_NS1_11comp_targetILNS1_3genE8ELNS1_11target_archE1030ELNS1_3gpuE2ELNS1_3repE0EEENS1_48merge_mergepath_partition_config_static_selectorELNS0_4arch9wavefront6targetE0EEEvSF_.has_recursion, 0
	.set _ZN7rocprim17ROCPRIM_400000_NS6detail17trampoline_kernelINS0_14default_configENS1_38merge_sort_block_merge_config_selectorImNS0_10empty_typeEEEZZNS1_27merge_sort_block_merge_implIS3_PmPS5_jNS1_19radix_merge_compareILb0ELb0EmNS0_19identity_decomposerEEEEE10hipError_tT0_T1_T2_jT3_P12ihipStream_tbPNSt15iterator_traitsISE_E10value_typeEPNSK_ISF_E10value_typeEPSG_NS1_7vsmem_tEENKUlT_SE_SF_SG_E_clIS8_S8_S9_S9_EESD_ST_SE_SF_SG_EUlST_E_NS1_11comp_targetILNS1_3genE8ELNS1_11target_archE1030ELNS1_3gpuE2ELNS1_3repE0EEENS1_48merge_mergepath_partition_config_static_selectorELNS0_4arch9wavefront6targetE0EEEvSF_.has_indirect_call, 0
	.section	.AMDGPU.csdata,"",@progbits
; Kernel info:
; codeLenInByte = 0
; TotalNumSgprs: 0
; NumVgprs: 0
; ScratchSize: 0
; MemoryBound: 0
; FloatMode: 240
; IeeeMode: 1
; LDSByteSize: 0 bytes/workgroup (compile time only)
; SGPRBlocks: 0
; VGPRBlocks: 0
; NumSGPRsForWavesPerEU: 1
; NumVGPRsForWavesPerEU: 1
; NamedBarCnt: 0
; Occupancy: 16
; WaveLimiterHint : 0
; COMPUTE_PGM_RSRC2:SCRATCH_EN: 0
; COMPUTE_PGM_RSRC2:USER_SGPR: 2
; COMPUTE_PGM_RSRC2:TRAP_HANDLER: 0
; COMPUTE_PGM_RSRC2:TGID_X_EN: 1
; COMPUTE_PGM_RSRC2:TGID_Y_EN: 0
; COMPUTE_PGM_RSRC2:TGID_Z_EN: 0
; COMPUTE_PGM_RSRC2:TIDIG_COMP_CNT: 0
	.section	.text._ZN7rocprim17ROCPRIM_400000_NS6detail17trampoline_kernelINS0_14default_configENS1_38merge_sort_block_merge_config_selectorImNS0_10empty_typeEEEZZNS1_27merge_sort_block_merge_implIS3_PmPS5_jNS1_19radix_merge_compareILb0ELb0EmNS0_19identity_decomposerEEEEE10hipError_tT0_T1_T2_jT3_P12ihipStream_tbPNSt15iterator_traitsISE_E10value_typeEPNSK_ISF_E10value_typeEPSG_NS1_7vsmem_tEENKUlT_SE_SF_SG_E_clIS8_S8_S9_S9_EESD_ST_SE_SF_SG_EUlST_E0_NS1_11comp_targetILNS1_3genE0ELNS1_11target_archE4294967295ELNS1_3gpuE0ELNS1_3repE0EEENS1_38merge_mergepath_config_static_selectorELNS0_4arch9wavefront6targetE0EEEvSF_,"axG",@progbits,_ZN7rocprim17ROCPRIM_400000_NS6detail17trampoline_kernelINS0_14default_configENS1_38merge_sort_block_merge_config_selectorImNS0_10empty_typeEEEZZNS1_27merge_sort_block_merge_implIS3_PmPS5_jNS1_19radix_merge_compareILb0ELb0EmNS0_19identity_decomposerEEEEE10hipError_tT0_T1_T2_jT3_P12ihipStream_tbPNSt15iterator_traitsISE_E10value_typeEPNSK_ISF_E10value_typeEPSG_NS1_7vsmem_tEENKUlT_SE_SF_SG_E_clIS8_S8_S9_S9_EESD_ST_SE_SF_SG_EUlST_E0_NS1_11comp_targetILNS1_3genE0ELNS1_11target_archE4294967295ELNS1_3gpuE0ELNS1_3repE0EEENS1_38merge_mergepath_config_static_selectorELNS0_4arch9wavefront6targetE0EEEvSF_,comdat
	.protected	_ZN7rocprim17ROCPRIM_400000_NS6detail17trampoline_kernelINS0_14default_configENS1_38merge_sort_block_merge_config_selectorImNS0_10empty_typeEEEZZNS1_27merge_sort_block_merge_implIS3_PmPS5_jNS1_19radix_merge_compareILb0ELb0EmNS0_19identity_decomposerEEEEE10hipError_tT0_T1_T2_jT3_P12ihipStream_tbPNSt15iterator_traitsISE_E10value_typeEPNSK_ISF_E10value_typeEPSG_NS1_7vsmem_tEENKUlT_SE_SF_SG_E_clIS8_S8_S9_S9_EESD_ST_SE_SF_SG_EUlST_E0_NS1_11comp_targetILNS1_3genE0ELNS1_11target_archE4294967295ELNS1_3gpuE0ELNS1_3repE0EEENS1_38merge_mergepath_config_static_selectorELNS0_4arch9wavefront6targetE0EEEvSF_ ; -- Begin function _ZN7rocprim17ROCPRIM_400000_NS6detail17trampoline_kernelINS0_14default_configENS1_38merge_sort_block_merge_config_selectorImNS0_10empty_typeEEEZZNS1_27merge_sort_block_merge_implIS3_PmPS5_jNS1_19radix_merge_compareILb0ELb0EmNS0_19identity_decomposerEEEEE10hipError_tT0_T1_T2_jT3_P12ihipStream_tbPNSt15iterator_traitsISE_E10value_typeEPNSK_ISF_E10value_typeEPSG_NS1_7vsmem_tEENKUlT_SE_SF_SG_E_clIS8_S8_S9_S9_EESD_ST_SE_SF_SG_EUlST_E0_NS1_11comp_targetILNS1_3genE0ELNS1_11target_archE4294967295ELNS1_3gpuE0ELNS1_3repE0EEENS1_38merge_mergepath_config_static_selectorELNS0_4arch9wavefront6targetE0EEEvSF_
	.globl	_ZN7rocprim17ROCPRIM_400000_NS6detail17trampoline_kernelINS0_14default_configENS1_38merge_sort_block_merge_config_selectorImNS0_10empty_typeEEEZZNS1_27merge_sort_block_merge_implIS3_PmPS5_jNS1_19radix_merge_compareILb0ELb0EmNS0_19identity_decomposerEEEEE10hipError_tT0_T1_T2_jT3_P12ihipStream_tbPNSt15iterator_traitsISE_E10value_typeEPNSK_ISF_E10value_typeEPSG_NS1_7vsmem_tEENKUlT_SE_SF_SG_E_clIS8_S8_S9_S9_EESD_ST_SE_SF_SG_EUlST_E0_NS1_11comp_targetILNS1_3genE0ELNS1_11target_archE4294967295ELNS1_3gpuE0ELNS1_3repE0EEENS1_38merge_mergepath_config_static_selectorELNS0_4arch9wavefront6targetE0EEEvSF_
	.p2align	8
	.type	_ZN7rocprim17ROCPRIM_400000_NS6detail17trampoline_kernelINS0_14default_configENS1_38merge_sort_block_merge_config_selectorImNS0_10empty_typeEEEZZNS1_27merge_sort_block_merge_implIS3_PmPS5_jNS1_19radix_merge_compareILb0ELb0EmNS0_19identity_decomposerEEEEE10hipError_tT0_T1_T2_jT3_P12ihipStream_tbPNSt15iterator_traitsISE_E10value_typeEPNSK_ISF_E10value_typeEPSG_NS1_7vsmem_tEENKUlT_SE_SF_SG_E_clIS8_S8_S9_S9_EESD_ST_SE_SF_SG_EUlST_E0_NS1_11comp_targetILNS1_3genE0ELNS1_11target_archE4294967295ELNS1_3gpuE0ELNS1_3repE0EEENS1_38merge_mergepath_config_static_selectorELNS0_4arch9wavefront6targetE0EEEvSF_,@function
_ZN7rocprim17ROCPRIM_400000_NS6detail17trampoline_kernelINS0_14default_configENS1_38merge_sort_block_merge_config_selectorImNS0_10empty_typeEEEZZNS1_27merge_sort_block_merge_implIS3_PmPS5_jNS1_19radix_merge_compareILb0ELb0EmNS0_19identity_decomposerEEEEE10hipError_tT0_T1_T2_jT3_P12ihipStream_tbPNSt15iterator_traitsISE_E10value_typeEPNSK_ISF_E10value_typeEPSG_NS1_7vsmem_tEENKUlT_SE_SF_SG_E_clIS8_S8_S9_S9_EESD_ST_SE_SF_SG_EUlST_E0_NS1_11comp_targetILNS1_3genE0ELNS1_11target_archE4294967295ELNS1_3gpuE0ELNS1_3repE0EEENS1_38merge_mergepath_config_static_selectorELNS0_4arch9wavefront6targetE0EEEvSF_: ; @_ZN7rocprim17ROCPRIM_400000_NS6detail17trampoline_kernelINS0_14default_configENS1_38merge_sort_block_merge_config_selectorImNS0_10empty_typeEEEZZNS1_27merge_sort_block_merge_implIS3_PmPS5_jNS1_19radix_merge_compareILb0ELb0EmNS0_19identity_decomposerEEEEE10hipError_tT0_T1_T2_jT3_P12ihipStream_tbPNSt15iterator_traitsISE_E10value_typeEPNSK_ISF_E10value_typeEPSG_NS1_7vsmem_tEENKUlT_SE_SF_SG_E_clIS8_S8_S9_S9_EESD_ST_SE_SF_SG_EUlST_E0_NS1_11comp_targetILNS1_3genE0ELNS1_11target_archE4294967295ELNS1_3gpuE0ELNS1_3repE0EEENS1_38merge_mergepath_config_static_selectorELNS0_4arch9wavefront6targetE0EEEvSF_
; %bb.0:
	s_bfe_u32 s2, ttmp6, 0x40010
	s_and_b32 s4, ttmp7, 0xffff
	s_add_co_i32 s5, s2, 1
	s_clause 0x1
	s_load_b32 s6, s[0:1], 0x30
	s_load_b64 s[2:3], s[0:1], 0x40
	s_bfe_u32 s8, ttmp6, 0x4000c
	s_mul_i32 s5, s4, s5
	s_bfe_u32 s7, ttmp6, 0x40004
	s_add_co_i32 s8, s8, 1
	s_bfe_u32 s9, ttmp6, 0x40014
	s_add_co_i32 s7, s7, s5
	s_and_b32 s5, ttmp6, 15
	s_mul_i32 s8, ttmp9, s8
	s_lshr_b32 s10, ttmp7, 16
	s_add_co_i32 s9, s9, 1
	s_add_co_i32 s5, s5, s8
	s_mul_i32 s8, s10, s9
	s_bfe_u32 s9, ttmp6, 0x40008
	s_getreg_b32 s11, hwreg(HW_REG_IB_STS2, 6, 4)
	s_add_co_i32 s9, s9, s8
	s_cmp_eq_u32 s11, 0
	s_cselect_b32 s8, s10, s9
	s_cselect_b32 s4, s4, s7
	s_wait_kmcnt 0x0
	s_mul_i32 s8, s3, s8
	s_cselect_b32 s3, ttmp9, s5
	s_add_co_i32 s4, s8, s4
	s_mov_b32 s5, 0
	s_mul_i32 s4, s4, s2
	s_delay_alu instid0(SALU_CYCLE_1) | instskip(NEXT) | instid1(SALU_CYCLE_1)
	s_add_co_i32 s4, s4, s3
	s_cmp_ge_u32 s4, s6
	s_cbranch_scc1 .LBB2933_43
; %bb.1:
	v_mov_b32_e32 v21, 0
	s_add_nc_u64 s[6:7], s[0:1], 64
	v_lshlrev_b32_e32 v20, 3, v0
	global_load_b32 v1, v21, s[6:7] offset:14
	s_clause 0x2
	s_load_b64 s[8:9], s[0:1], 0x28
	s_load_b64 s[10:11], s[0:1], 0x38
	;; [unrolled: 1-line block ×3, first 2 shown]
	s_wait_kmcnt 0x0
	s_lshr_b32 s22, s8, 10
	s_delay_alu instid0(SALU_CYCLE_1) | instskip(SKIP_2) | instid1(SALU_CYCLE_1)
	s_cmp_lg_u32 s4, s22
	s_cselect_b32 s14, -1, 0
	s_lshl_b64 s[12:13], s[4:5], 2
	s_add_nc_u64 s[10:11], s[10:11], s[12:13]
	s_load_b64 s[12:13], s[10:11], 0x0
	s_wait_xcnt 0x0
	s_lshr_b32 s10, s9, 9
	s_delay_alu instid0(SALU_CYCLE_1) | instskip(NEXT) | instid1(SALU_CYCLE_1)
	s_and_b32 s10, s10, 0x7ffffe
	s_sub_co_i32 s11, 0, s10
	s_lshl_b32 s10, s4, 10
	s_and_b32 s15, s4, s11
	s_or_b32 s11, s4, s11
	s_lshl_b32 s18, s15, 11
	s_lshl_b32 s15, s15, 10
	s_add_co_i32 s18, s18, s9
	s_sub_co_i32 s19, s10, s15
	s_sub_co_i32 s15, s18, s15
	s_add_co_i32 s18, s18, s19
	s_min_u32 s20, s8, s15
	s_add_co_i32 s15, s15, s9
	s_wait_kmcnt 0x0
	s_sub_co_i32 s9, s18, s12
	s_sub_co_i32 s19, s18, s13
	s_min_u32 s18, s8, s9
	s_add_co_i32 s9, s19, 0x400
	s_cmp_eq_u32 s11, -1
	s_mov_b32 s19, s5
	s_cselect_b32 s9, s15, s9
	s_cselect_b32 s11, s20, s13
	s_mov_b32 s13, s5
	s_min_u32 s15, s9, s8
	s_lshl_b64 s[20:21], s[18:19], 3
	s_sub_co_i32 s9, s11, s12
	s_lshl_b64 s[12:13], s[12:13], 3
	s_sub_co_i32 s15, s15, s18
	s_cmp_lt_u32 s3, s2
	s_mov_b32 s3, s5
	s_cselect_b32 s2, 12, 18
	s_add_nc_u64 s[12:13], s[16:17], s[12:13]
	s_add_nc_u64 s[2:3], s[6:7], s[2:3]
	s_cmp_eq_u32 s4, s22
	s_load_u16 s2, s[2:3], 0x0
	s_add_nc_u64 s[6:7], s[16:17], s[20:21]
	s_wait_loadcnt 0x0
	v_lshrrev_b32_e32 v2, 16, v1
	v_and_b32_e32 v1, 0xffff, v1
	s_delay_alu instid0(VALU_DEP_1) | instskip(SKIP_1) | instid1(VALU_DEP_1)
	v_mul_lo_u32 v1, v1, v2
	s_wait_kmcnt 0x0
	v_mul_lo_u32 v1, v1, s2
	s_mov_b32 s2, -1
	s_delay_alu instid0(VALU_DEP_1) | instskip(NEXT) | instid1(VALU_DEP_1)
	v_add_nc_u32_e32 v24, v1, v0
	v_add_nc_u32_e32 v22, v24, v1
	s_cbranch_scc1 .LBB2933_3
; %bb.2:
	v_sub_co_u32 v4, vcc_lo, v0, s9
	v_dual_mov_b32 v5, v21 :: v_dual_mov_b32 v25, v21
	v_add_nc_u64_e32 v[2:3], s[12:13], v[20:21]
	v_sub_co_u32 v8, s2, v24, s9
	s_delay_alu instid0(VALU_DEP_3) | instskip(SKIP_3) | instid1(VALU_DEP_4)
	v_lshl_add_u64 v[4:5], v[4:5], 3, s[6:7]
	v_dual_mov_b32 v9, v21 :: v_dual_mov_b32 v23, v21
	v_lshl_add_u64 v[6:7], v[24:25], 3, s[12:13]
	v_dual_mov_b32 v11, v21 :: v_dual_add_nc_u32 v12, v22, v1
	v_dual_cndmask_b32 v3, v5, v3 :: v_dual_cndmask_b32 v2, v4, v2
	s_delay_alu instid0(VALU_DEP_4) | instskip(SKIP_3) | instid1(VALU_DEP_4)
	v_lshl_add_u64 v[4:5], v[8:9], 3, s[6:7]
	v_sub_co_u32 v10, vcc_lo, v22, s9
	v_mov_b32_e32 v13, v21
	v_lshl_add_u64 v[8:9], v[22:23], 3, s[12:13]
	v_dual_cndmask_b32 v5, v5, v7, s2 :: v_dual_cndmask_b32 v4, v4, v6, s2
	s_delay_alu instid0(VALU_DEP_4) | instskip(NEXT) | instid1(VALU_DEP_4)
	v_lshl_add_u64 v[6:7], v[10:11], 3, s[6:7]
	v_lshl_add_u64 v[10:11], v[12:13], 3, s[12:13]
	v_sub_co_u32 v14, s2, v12, s9
	s_delay_alu instid0(VALU_DEP_3) | instskip(NEXT) | instid1(VALU_DEP_4)
	v_dual_mov_b32 v15, v21 :: v_dual_cndmask_b32 v7, v7, v9, vcc_lo
	v_dual_add_nc_u32 v12, v12, v1 :: v_dual_cndmask_b32 v6, v6, v8, vcc_lo
	v_mov_b32_e32 v17, v21
	s_delay_alu instid0(VALU_DEP_3) | instskip(SKIP_1) | instid1(VALU_DEP_4)
	v_lshl_add_u64 v[8:9], v[14:15], 3, s[6:7]
	v_mov_b32_e32 v27, v21
	v_lshl_add_u64 v[14:15], v[12:13], 3, s[12:13]
	v_sub_co_u32 v16, vcc_lo, v12, s9
	s_delay_alu instid0(VALU_DEP_4) | instskip(SKIP_1) | instid1(VALU_DEP_3)
	v_dual_add_nc_u32 v12, v12, v1 :: v_dual_cndmask_b32 v19, v9, v11, s2
	v_cndmask_b32_e64 v18, v8, v10, s2
	v_lshl_add_u64 v[8:9], v[16:17], 3, s[6:7]
	global_load_b64 v[2:3], v[2:3], off
	v_lshl_add_u64 v[10:11], v[12:13], 3, s[12:13]
	v_add_nc_u32_e32 v16, v12, v1
	v_sub_co_u32 v12, s2, v12, s9
	v_cndmask_b32_e32 v33, v9, v15, vcc_lo
	global_load_b64 v[4:5], v[4:5], off
	v_lshl_add_u64 v[28:29], v[16:17], 3, s[12:13]
	v_lshl_add_u64 v[12:13], v[12:13], 3, s[6:7]
	v_add_nc_u32_e32 v26, v16, v1
	v_sub_co_u32 v16, s3, v16, s9
	global_load_b64 v[6:7], v[6:7], off
	s_add_co_i32 s11, s15, s9
	v_lshl_add_u64 v[30:31], v[26:27], 3, s[12:13]
	v_sub_co_u32 v26, s4, v26, s9
	v_lshl_add_u64 v[16:17], v[16:17], 3, s[6:7]
	v_cndmask_b32_e32 v32, v8, v14, vcc_lo
	s_delay_alu instid0(VALU_DEP_3) | instskip(SKIP_1) | instid1(VALU_DEP_4)
	v_lshl_add_u64 v[8:9], v[26:27], 3, s[6:7]
	v_dual_cndmask_b32 v27, v13, v11, s2 :: v_dual_cndmask_b32 v26, v12, v10, s2
	v_dual_cndmask_b32 v29, v17, v29, s3 :: v_dual_cndmask_b32 v28, v16, v28, s3
	s_delay_alu instid0(VALU_DEP_3)
	v_dual_cndmask_b32 v31, v9, v31, s4 :: v_dual_cndmask_b32 v30, v8, v30, s4
	global_load_b64 v[8:9], v[18:19], off
	global_load_b64 v[10:11], v[32:33], off
	;; [unrolled: 1-line block ×5, first 2 shown]
	s_cbranch_execz .LBB2933_4
	s_branch .LBB2933_19
.LBB2933_3:
                                        ; implicit-def: $vgpr2_vgpr3_vgpr4_vgpr5_vgpr6_vgpr7_vgpr8_vgpr9_vgpr10_vgpr11_vgpr12_vgpr13_vgpr14_vgpr15_vgpr16_vgpr17
                                        ; implicit-def: $sgpr11
	s_and_not1_b32 vcc_lo, exec_lo, s2
	s_cbranch_vccnz .LBB2933_19
.LBB2933_4:
	s_wait_loadcnt 0x7
	s_wait_xcnt 0x7
	v_mov_b32_e32 v2, 0
	s_add_co_i32 s11, s15, s9
	s_mov_b32 s2, exec_lo
	s_wait_loadcnt 0x6
	s_wait_xcnt 0x6
	v_dual_mov_b32 v3, v2 :: v_dual_mov_b32 v4, v2
	s_wait_loadcnt 0x5
	s_wait_xcnt 0x5
	v_dual_mov_b32 v5, v2 :: v_dual_mov_b32 v6, v2
	s_wait_loadcnt 0x4
	v_dual_mov_b32 v7, v2 :: v_dual_mov_b32 v8, v2
	s_wait_loadcnt 0x3
	;; [unrolled: 2-line block ×5, first 2 shown]
	v_dual_mov_b32 v15, v2 :: v_dual_mov_b32 v16, v2
	v_mov_b32_e32 v17, v2
	v_cmpx_gt_u32_e64 s11, v0
	s_cbranch_execnz .LBB2933_44
; %bb.5:
	s_or_b32 exec_lo, exec_lo, s2
	s_delay_alu instid0(SALU_CYCLE_1)
	s_mov_b32 s2, exec_lo
	v_cmpx_gt_u32_e64 s11, v24
	s_cbranch_execnz .LBB2933_45
.LBB2933_6:
	s_or_b32 exec_lo, exec_lo, s2
	s_delay_alu instid0(SALU_CYCLE_1)
	s_mov_b32 s2, exec_lo
	v_cmpx_gt_u32_e64 s11, v22
	s_cbranch_execz .LBB2933_8
.LBB2933_7:
	v_sub_co_u32 v18, vcc_lo, v22, s9
	v_mov_b32_e32 v23, 0
	s_delay_alu instid0(VALU_DEP_1) | instskip(SKIP_1) | instid1(VALU_DEP_1)
	v_lshl_add_u64 v[6:7], v[22:23], 3, s[12:13]
	v_mov_b32_e32 v19, v23
	v_lshl_add_u64 v[18:19], v[18:19], 3, s[6:7]
	s_delay_alu instid0(VALU_DEP_1)
	v_dual_cndmask_b32 v7, v19, v7 :: v_dual_cndmask_b32 v6, v18, v6
	global_load_b64 v[6:7], v[6:7], off
.LBB2933_8:
	s_wait_xcnt 0x0
	s_or_b32 exec_lo, exec_lo, s2
	v_add_nc_u32_e32 v18, v22, v1
	s_mov_b32 s2, exec_lo
	s_delay_alu instid0(VALU_DEP_1)
	v_cmpx_gt_u32_e64 s11, v18
	s_cbranch_execz .LBB2933_10
; %bb.9:
	v_sub_co_u32 v22, vcc_lo, v18, s9
	v_mov_b32_e32 v19, 0
	s_delay_alu instid0(VALU_DEP_1) | instskip(SKIP_1) | instid1(VALU_DEP_1)
	v_lshl_add_u64 v[8:9], v[18:19], 3, s[12:13]
	v_mov_b32_e32 v23, v19
	v_lshl_add_u64 v[22:23], v[22:23], 3, s[6:7]
	s_delay_alu instid0(VALU_DEP_1)
	v_dual_cndmask_b32 v9, v23, v9 :: v_dual_cndmask_b32 v8, v22, v8
	global_load_b64 v[8:9], v[8:9], off
.LBB2933_10:
	s_wait_xcnt 0x0
	s_or_b32 exec_lo, exec_lo, s2
	v_add_nc_u32_e32 v18, v18, v1
	s_mov_b32 s2, exec_lo
	s_delay_alu instid0(VALU_DEP_1)
	v_cmpx_gt_u32_e64 s11, v18
	s_cbranch_execz .LBB2933_12
; %bb.11:
	v_sub_co_u32 v22, vcc_lo, v18, s9
	v_mov_b32_e32 v19, 0
	s_delay_alu instid0(VALU_DEP_1) | instskip(SKIP_1) | instid1(VALU_DEP_1)
	v_lshl_add_u64 v[10:11], v[18:19], 3, s[12:13]
	v_mov_b32_e32 v23, v19
	v_lshl_add_u64 v[22:23], v[22:23], 3, s[6:7]
	s_delay_alu instid0(VALU_DEP_1)
	v_dual_cndmask_b32 v11, v23, v11 :: v_dual_cndmask_b32 v10, v22, v10
	global_load_b64 v[10:11], v[10:11], off
.LBB2933_12:
	;; [unrolled: 18-line block ×4, first 2 shown]
	s_wait_xcnt 0x0
	s_or_b32 exec_lo, exec_lo, s2
	v_add_nc_u32_e32 v18, v18, v1
	s_mov_b32 s2, exec_lo
	s_delay_alu instid0(VALU_DEP_1)
	v_cmpx_gt_u32_e64 s11, v18
	s_cbranch_execz .LBB2933_18
; %bb.17:
	v_mov_b32_e32 v19, 0
	s_delay_alu instid0(VALU_DEP_1) | instskip(SKIP_1) | instid1(VALU_DEP_1)
	v_lshl_add_u64 v[16:17], v[18:19], 3, s[12:13]
	v_sub_co_u32 v18, vcc_lo, v18, s9
	v_lshl_add_u64 v[18:19], v[18:19], 3, s[6:7]
	s_delay_alu instid0(VALU_DEP_1)
	v_dual_cndmask_b32 v17, v19, v17 :: v_dual_cndmask_b32 v16, v18, v16
	global_load_b64 v[16:17], v[16:17], off
.LBB2933_18:
	s_wait_xcnt 0x0
	s_or_b32 exec_lo, exec_lo, s2
.LBB2933_19:
	s_load_b64 s[12:13], s[0:1], 0x10
	v_min_u32_e32 v18, s11, v20
	s_wait_xcnt 0x0
	s_mov_b32 s0, exec_lo
	s_wait_loadcnt 0x0
	ds_store_2addr_stride64_b64 v20, v[2:3], v[4:5] offset1:2
	ds_store_2addr_stride64_b64 v20, v[6:7], v[8:9] offset0:4 offset1:6
	ds_store_2addr_stride64_b64 v20, v[10:11], v[12:13] offset0:8 offset1:10
	;; [unrolled: 1-line block ×3, first 2 shown]
	s_wait_dscnt 0x0
	s_barrier_signal -1
	v_sub_nc_u32_e64 v1, v18, s15 clamp
	v_min_u32_e32 v19, s9, v18
	s_barrier_wait -1
	s_delay_alu instid0(VALU_DEP_1)
	v_cmpx_lt_u32_e64 v1, v19
	s_cbranch_execz .LBB2933_23
; %bb.20:
	v_lshlrev_b32_e32 v21, 3, v18
	s_mov_b32 s1, 0
	s_delay_alu instid0(VALU_DEP_1)
	v_lshl_add_u32 v21, s9, 3, v21
.LBB2933_21:                            ; =>This Inner Loop Header: Depth=1
	v_add_nc_u32_e32 v22, v19, v1
	s_delay_alu instid0(VALU_DEP_1) | instskip(NEXT) | instid1(VALU_DEP_1)
	v_lshrrev_b32_e32 v26, 1, v22
	v_not_b32_e32 v22, v26
	v_lshlrev_b32_e32 v23, 3, v26
	s_delay_alu instid0(VALU_DEP_2)
	v_lshl_add_u32 v24, v22, 3, v21
	ds_load_b64 v[22:23], v23
	ds_load_b64 v[24:25], v24
	s_wait_dscnt 0x0
	v_cmp_gt_u64_e32 vcc_lo, v[22:23], v[24:25]
	v_add_nc_u32_e32 v22, 1, v26
	s_delay_alu instid0(VALU_DEP_1) | instskip(NEXT) | instid1(VALU_DEP_1)
	v_dual_cndmask_b32 v1, v22, v1, vcc_lo :: v_dual_cndmask_b32 v19, v19, v26, vcc_lo
	v_cmp_ge_u32_e32 vcc_lo, v1, v19
	s_or_b32 s1, vcc_lo, s1
	s_delay_alu instid0(SALU_CYCLE_1)
	s_and_not1_b32 exec_lo, exec_lo, s1
	s_cbranch_execnz .LBB2933_21
; %bb.22:
	s_or_b32 exec_lo, exec_lo, s1
.LBB2933_23:
	s_delay_alu instid0(SALU_CYCLE_1) | instskip(SKIP_2) | instid1(VALU_DEP_2)
	s_or_b32 exec_lo, exec_lo, s0
	v_sub_nc_u32_e32 v18, v18, v1
	v_cmp_ge_u32_e32 vcc_lo, s9, v1
	v_add_nc_u32_e32 v18, s9, v18
	s_delay_alu instid0(VALU_DEP_1) | instskip(SKIP_1) | instid1(SALU_CYCLE_1)
	v_cmp_ge_u32_e64 s0, s11, v18
	s_or_b32 s0, vcc_lo, s0
	s_and_saveexec_b32 s15, s0
	s_cbranch_execz .LBB2933_29
; %bb.24:
	v_cmp_gt_u32_e32 vcc_lo, s9, v1
                                        ; implicit-def: $vgpr2_vgpr3
	s_and_saveexec_b32 s0, vcc_lo
; %bb.25:
	v_lshlrev_b32_e32 v2, 3, v1
	ds_load_b64 v[2:3], v2
; %bb.26:
	s_or_b32 exec_lo, exec_lo, s0
	v_cmp_le_u32_e64 s0, s11, v18
	s_mov_b32 s2, exec_lo
                                        ; implicit-def: $vgpr4_vgpr5
	v_cmpx_gt_u32_e64 s11, v18
; %bb.27:
	v_lshlrev_b32_e32 v4, 3, v18
	ds_load_b64 v[4:5], v4
; %bb.28:
	s_or_b32 exec_lo, exec_lo, s2
	s_wait_dscnt 0x0
	v_cmp_le_u64_e64 s1, v[2:3], v[4:5]
	s_and_b32 s1, vcc_lo, s1
	s_delay_alu instid0(SALU_CYCLE_1) | instskip(SKIP_1) | instid1(VALU_DEP_1)
	s_or_b32 vcc_lo, s0, s1
	v_dual_mov_b32 v21, s9 :: v_dual_cndmask_b32 v6, v18, v1
	v_dual_cndmask_b32 v7, s11, v21 :: v_dual_add_nc_u32 v10, 1, v6
	s_delay_alu instid0(VALU_DEP_1) | instskip(SKIP_1) | instid1(VALU_DEP_2)
	v_add_min_u32_e64 v6, v7, -1, v10
	v_cndmask_b32_e32 v1, v1, v10, vcc_lo
	v_lshlrev_b32_e32 v6, 3, v6
	s_delay_alu instid0(VALU_DEP_2)
	v_cmp_gt_u32_e64 s1, s9, v1
	ds_load_b64 v[6:7], v6
	s_wait_dscnt 0x0
	v_dual_cndmask_b32 v9, v7, v5 :: v_dual_cndmask_b32 v8, v6, v4
	v_dual_cndmask_b32 v7, v3, v7 :: v_dual_cndmask_b32 v6, v2, v6
	;; [unrolled: 1-line block ×3, first 2 shown]
	v_cndmask_b32_e32 v2, v4, v2, vcc_lo
	s_delay_alu instid0(VALU_DEP_3) | instskip(NEXT) | instid1(VALU_DEP_3)
	v_cmp_le_u64_e64 s0, v[6:7], v[8:9]
	v_cmp_le_u32_e64 s2, s11, v14
	s_and_b32 s0, s1, s0
	s_delay_alu instid0(SALU_CYCLE_1) | instskip(NEXT) | instid1(SALU_CYCLE_1)
	s_or_b32 s0, s2, s0
	v_cndmask_b32_e64 v10, v14, v1, s0
	s_delay_alu instid0(VALU_DEP_1) | instskip(NEXT) | instid1(VALU_DEP_1)
	v_dual_cndmask_b32 v11, s11, v21, s0 :: v_dual_add_nc_u32 v15, 1, v10
	v_add_min_u32_e64 v10, v11, -1, v15
	s_delay_alu instid0(VALU_DEP_1) | instskip(NEXT) | instid1(VALU_DEP_1)
	v_dual_cndmask_b32 v1, v1, v15, s0 :: v_dual_lshlrev_b32 v10, 3, v10
	v_cmp_gt_u32_e64 s2, s9, v1
	ds_load_b64 v[10:11], v10
	s_wait_dscnt 0x0
	v_dual_cndmask_b32 v13, v11, v9, s0 :: v_dual_cndmask_b32 v12, v10, v8, s0
	v_dual_cndmask_b32 v11, v7, v11, s0 :: v_dual_cndmask_b32 v10, v6, v10, s0
	;; [unrolled: 1-line block ×3, first 2 shown]
	v_cndmask_b32_e64 v4, v8, v6, s0
	s_delay_alu instid0(VALU_DEP_3) | instskip(NEXT) | instid1(VALU_DEP_3)
	v_cmp_le_u64_e64 s1, v[10:11], v[12:13]
	v_cmp_le_u32_e64 s3, s11, v18
	s_and_b32 s1, s2, s1
	s_delay_alu instid0(SALU_CYCLE_1) | instskip(NEXT) | instid1(SALU_CYCLE_1)
	s_or_b32 s1, s3, s1
	v_cndmask_b32_e64 v14, v18, v1, s1
	v_cndmask_b32_e64 v15, s11, v21, s1
	v_dual_cndmask_b32 v7, v13, v11, s1 :: v_dual_cndmask_b32 v6, v12, v10, s1
	s_delay_alu instid0(VALU_DEP_3) | instskip(NEXT) | instid1(VALU_DEP_1)
	v_add_nc_u32_e32 v19, 1, v14
	v_add_min_u32_e64 v14, v15, -1, v19
	v_dual_cndmask_b32 v1, v1, v19, s1 :: v_dual_cndmask_b32 v24, v19, v18, s1
	s_delay_alu instid0(VALU_DEP_2) | instskip(NEXT) | instid1(VALU_DEP_2)
	v_lshlrev_b32_e32 v14, 3, v14
	v_cmp_gt_u32_e64 s3, s9, v1
	s_delay_alu instid0(VALU_DEP_3) | instskip(SKIP_4) | instid1(VALU_DEP_1)
	v_cmp_le_u32_e64 s4, s11, v24
	ds_load_b64 v[14:15], v14
	s_wait_dscnt 0x0
	v_dual_cndmask_b32 v17, v15, v13, s1 :: v_dual_cndmask_b32 v16, v14, v12, s1
	v_dual_cndmask_b32 v15, v11, v15, s1 :: v_dual_cndmask_b32 v14, v10, v14, s1
	v_cmp_le_u64_e64 s2, v[14:15], v[16:17]
	s_and_b32 s2, s3, s2
	s_delay_alu instid0(SALU_CYCLE_1) | instskip(NEXT) | instid1(SALU_CYCLE_1)
	s_or_b32 s2, s4, s2
	v_cndmask_b32_e64 v18, v24, v1, s2
	v_cndmask_b32_e64 v19, s11, v21, s2
	;; [unrolled: 1-line block ×3, first 2 shown]
	s_delay_alu instid0(VALU_DEP_3) | instskip(NEXT) | instid1(VALU_DEP_1)
	v_add_nc_u32_e32 v25, 1, v18
	v_add_min_u32_e64 v18, v19, -1, v25
	v_cndmask_b32_e64 v1, v1, v25, s2
	s_delay_alu instid0(VALU_DEP_2) | instskip(NEXT) | instid1(VALU_DEP_2)
	v_dual_cndmask_b32 v28, v25, v24, s2 :: v_dual_lshlrev_b32 v18, 3, v18
	v_cmp_gt_u32_e64 s4, s9, v1
	s_delay_alu instid0(VALU_DEP_2) | instskip(SKIP_4) | instid1(VALU_DEP_1)
	v_cmp_le_u32_e64 s5, s11, v28
	ds_load_b64 v[18:19], v18
	s_wait_dscnt 0x0
	v_dual_cndmask_b32 v23, v19, v17, s2 :: v_dual_cndmask_b32 v22, v18, v16, s2
	v_dual_cndmask_b32 v19, v15, v19, s2 :: v_dual_cndmask_b32 v18, v14, v18, s2
	v_cmp_le_u64_e64 s3, v[18:19], v[22:23]
	s_and_b32 s3, s4, s3
	s_delay_alu instid0(SALU_CYCLE_1) | instskip(NEXT) | instid1(SALU_CYCLE_1)
	s_or_b32 s3, s5, s3
	v_cndmask_b32_e64 v24, v28, v1, s3
	v_cndmask_b32_e64 v25, s11, v21, s3
	v_dual_cndmask_b32 v11, v23, v19, s3 :: v_dual_cndmask_b32 v10, v22, v18, s3
	s_delay_alu instid0(VALU_DEP_3) | instskip(NEXT) | instid1(VALU_DEP_1)
	v_add_nc_u32_e32 v29, 1, v24
	v_add_min_u32_e64 v24, v25, -1, v29
	v_cndmask_b32_e64 v1, v1, v29, s3
	v_cndmask_b32_e64 v32, v29, v28, s3
	s_delay_alu instid0(VALU_DEP_3) | instskip(NEXT) | instid1(VALU_DEP_3)
	v_lshlrev_b32_e32 v24, 3, v24
	v_cmp_gt_u32_e64 s5, s9, v1
	s_delay_alu instid0(VALU_DEP_3) | instskip(SKIP_4) | instid1(VALU_DEP_1)
	v_cmp_le_u32_e64 s6, s11, v32
	ds_load_b64 v[24:25], v24
	s_wait_dscnt 0x0
	v_dual_cndmask_b32 v27, v25, v23, s3 :: v_dual_cndmask_b32 v26, v24, v22, s3
	v_dual_cndmask_b32 v25, v19, v25, s3 :: v_dual_cndmask_b32 v24, v18, v24, s3
	v_cmp_le_u64_e64 s4, v[24:25], v[26:27]
	s_and_b32 s4, s5, s4
	s_delay_alu instid0(SALU_CYCLE_1) | instskip(NEXT) | instid1(SALU_CYCLE_1)
	s_or_b32 s4, s6, s4
	v_cndmask_b32_e64 v28, v32, v1, s4
	v_cndmask_b32_e64 v29, s11, v21, s4
	s_delay_alu instid0(VALU_DEP_2) | instskip(NEXT) | instid1(VALU_DEP_1)
	v_dual_cndmask_b32 v13, v27, v25, s4 :: v_dual_add_nc_u32 v33, 1, v28
	v_add_min_u32_e64 v28, v29, -1, v33
	v_cndmask_b32_e64 v1, v1, v33, s4
	v_cndmask_b32_e64 v36, v33, v32, s4
	s_delay_alu instid0(VALU_DEP_3) | instskip(NEXT) | instid1(VALU_DEP_3)
	v_lshlrev_b32_e32 v28, 3, v28
	v_cmp_gt_u32_e64 s6, s9, v1
	s_delay_alu instid0(VALU_DEP_3) | instskip(SKIP_4) | instid1(VALU_DEP_1)
	v_cmp_le_u32_e64 s7, s11, v36
	ds_load_b64 v[28:29], v28
	s_wait_dscnt 0x0
	v_dual_cndmask_b32 v31, v29, v27, s4 :: v_dual_cndmask_b32 v30, v28, v26, s4
	v_dual_cndmask_b32 v29, v25, v29, s4 :: v_dual_cndmask_b32 v28, v24, v28, s4
	v_cmp_le_u64_e64 s5, v[28:29], v[30:31]
	s_and_b32 s5, s6, s5
	s_delay_alu instid0(SALU_CYCLE_1) | instskip(NEXT) | instid1(SALU_CYCLE_1)
	s_or_b32 s5, s7, s5
	v_cndmask_b32_e64 v32, v36, v1, s5
	v_cndmask_b32_e64 v21, s11, v21, s5
	;; [unrolled: 1-line block ×3, first 2 shown]
	s_delay_alu instid0(VALU_DEP_3) | instskip(NEXT) | instid1(VALU_DEP_1)
	v_add_nc_u32_e32 v37, 1, v32
	v_add_min_u32_e64 v21, v21, -1, v37
	v_cndmask_b32_e64 v1, v1, v37, s5
	s_delay_alu instid0(VALU_DEP_2) | instskip(NEXT) | instid1(VALU_DEP_2)
	v_dual_cndmask_b32 v12, v37, v36, s5 :: v_dual_lshlrev_b32 v21, 3, v21
	v_cmp_gt_u32_e64 s0, s9, v1
	s_delay_alu instid0(VALU_DEP_2)
	v_cmp_le_u32_e64 s1, s11, v12
	v_cndmask_b32_e64 v12, v26, v24, s4
	ds_load_b64 v[32:33], v21
	v_dual_cndmask_b32 v9, v17, v15, s2 :: v_dual_cndmask_b32 v15, v31, v29, s5
	s_wait_dscnt 0x0
	v_dual_cndmask_b32 v35, v33, v31, s5 :: v_dual_cndmask_b32 v34, v32, v30, s5
	v_dual_cndmask_b32 v33, v29, v33, s5 :: v_dual_cndmask_b32 v32, v28, v32, s5
	s_delay_alu instid0(VALU_DEP_1) | instskip(SKIP_1) | instid1(SALU_CYCLE_1)
	v_cmp_le_u64_e32 vcc_lo, v[32:33], v[34:35]
	s_and_b32 s0, s0, vcc_lo
	s_or_b32 vcc_lo, s1, s0
	v_dual_cndmask_b32 v17, v35, v33 :: v_dual_cndmask_b32 v16, v34, v32
.LBB2933_29:
	s_or_b32 exec_lo, exec_lo, s15
	v_or_b32_e32 v25, 0x80, v0
	v_lshrrev_b32_e32 v1, 2, v0
	v_or_b32_e32 v22, 0x100, v0
	v_lshlrev_b32_e32 v18, 3, v20
	s_delay_alu instid0(VALU_DEP_4) | instskip(SKIP_1) | instid1(VALU_DEP_3)
	v_lshrrev_b32_e32 v19, 2, v25
	s_barrier_signal -1
	v_lshrrev_b32_e32 v21, 2, v22
	s_delay_alu instid0(VALU_DEP_3)
	v_lshl_add_u32 v18, v1, 3, v18
	s_barrier_wait -1
	s_barrier_signal -1
	s_barrier_wait -1
	ds_store_2addr_b64 v18, v[2:3], v[4:5] offset1:1
	ds_store_2addr_b64 v18, v[6:7], v[8:9] offset0:2 offset1:3
	v_and_b32_e32 v2, 56, v19
	v_and_b32_e32 v1, 24, v1
	v_or_b32_e32 v24, 0x180, v0
	v_and_b32_e32 v3, 0x58, v21
	v_or_b32_e32 v23, 0x200, v0
	s_delay_alu instid0(VALU_DEP_4) | instskip(NEXT) | instid1(VALU_DEP_4)
	v_dual_add_nc_u32 v6, v2, v20 :: v_dual_add_nc_u32 v26, v1, v20
	v_lshrrev_b32_e32 v1, 2, v24
	ds_store_2addr_b64 v18, v[10:11], v[12:13] offset0:4 offset1:5
	ds_store_2addr_b64 v18, v[14:15], v[16:17] offset0:6 offset1:7
	v_or_b32_e32 v19, 0x280, v0
	v_add_nc_u32_e32 v7, v3, v20
	v_or_b32_e32 v18, 0x300, v0
	v_lshrrev_b32_e32 v3, 2, v23
	v_and_b32_e32 v2, 0x78, v1
	v_or_b32_e32 v1, 0x380, v0
	s_delay_alu instid0(VALU_DEP_4) | instskip(SKIP_1) | instid1(VALU_DEP_2)
	v_dual_lshrrev_b32 v4, 2, v19 :: v_dual_lshrrev_b32 v5, 2, v18
	s_mov_b32 s11, 0
	v_dual_add_nc_u32 v8, v2, v20 :: v_dual_lshrrev_b32 v2, 2, v1
	v_mov_b32_e32 v21, 0
	v_and_b32_e32 v3, 0x98, v3
	s_lshl_b64 s[0:1], s[10:11], 3
	v_and_b32_e32 v4, 0xb8, v4
	v_and_b32_e32 v5, 0xd8, v5
	;; [unrolled: 1-line block ×3, first 2 shown]
	s_wait_kmcnt 0x0
	s_add_nc_u64 s[0:1], s[12:13], s[0:1]
	v_dual_add_nc_u32 v9, v3, v20 :: v_dual_add_nc_u32 v27, v4, v20
	v_add_nc_u64_e32 v[2:3], s[0:1], v[20:21]
	v_dual_add_nc_u32 v28, v5, v20 :: v_dual_add_nc_u32 v20, v10, v20
	s_and_b32 vcc_lo, exec_lo, s14
	s_wait_dscnt 0x0
	s_cbranch_vccz .LBB2933_31
; %bb.30:
	s_barrier_signal -1
	s_barrier_wait -1
	ds_load_b64 v[10:11], v26
	ds_load_b64 v[12:13], v6 offset:1024
	ds_load_b64 v[14:15], v7 offset:2048
	;; [unrolled: 1-line block ×7, first 2 shown]
	s_mov_b32 s11, -1
	s_wait_dscnt 0x7
	global_store_b64 v[2:3], v[10:11], off
	s_wait_dscnt 0x6
	global_store_b64 v[2:3], v[12:13], off offset:1024
	s_wait_dscnt 0x5
	global_store_b64 v[2:3], v[14:15], off offset:2048
	;; [unrolled: 2-line block ×6, first 2 shown]
	s_cbranch_execz .LBB2933_32
	s_branch .LBB2933_41
.LBB2933_31:
                                        ; implicit-def: $vgpr4_vgpr5
.LBB2933_32:
	s_barrier_signal -1
	s_barrier_wait -1
	s_wait_storecnt_dscnt 0x0
	s_wait_xcnt 0x3
	ds_load_b64 v[16:17], v6 offset:1024
	ds_load_b64 v[14:15], v7 offset:2048
	;; [unrolled: 1-line block ×7, first 2 shown]
	s_sub_co_i32 s0, s8, s10
	s_mov_b32 s1, exec_lo
	s_wait_xcnt 0x0
	v_cmpx_gt_u32_e64 s0, v0
	s_cbranch_execnz .LBB2933_46
; %bb.33:
	s_or_b32 exec_lo, exec_lo, s1
	s_delay_alu instid0(SALU_CYCLE_1)
	s_mov_b32 s1, exec_lo
	v_cmpx_gt_u32_e64 s0, v25
	s_cbranch_execnz .LBB2933_47
.LBB2933_34:
	s_or_b32 exec_lo, exec_lo, s1
	s_delay_alu instid0(SALU_CYCLE_1)
	s_mov_b32 s1, exec_lo
	v_cmpx_gt_u32_e64 s0, v22
	s_cbranch_execnz .LBB2933_48
.LBB2933_35:
	s_or_b32 exec_lo, exec_lo, s1
	s_delay_alu instid0(SALU_CYCLE_1)
	s_mov_b32 s1, exec_lo
	v_cmpx_gt_u32_e64 s0, v24
	s_cbranch_execnz .LBB2933_49
.LBB2933_36:
	s_or_b32 exec_lo, exec_lo, s1
	s_delay_alu instid0(SALU_CYCLE_1)
	s_mov_b32 s1, exec_lo
	v_cmpx_gt_u32_e64 s0, v23
	s_cbranch_execnz .LBB2933_50
.LBB2933_37:
	s_or_b32 exec_lo, exec_lo, s1
	s_delay_alu instid0(SALU_CYCLE_1)
	s_mov_b32 s1, exec_lo
	v_cmpx_gt_u32_e64 s0, v19
	s_cbranch_execnz .LBB2933_51
.LBB2933_38:
	s_or_b32 exec_lo, exec_lo, s1
	s_delay_alu instid0(SALU_CYCLE_1)
	s_mov_b32 s1, exec_lo
	v_cmpx_gt_u32_e64 s0, v18
	s_cbranch_execz .LBB2933_40
.LBB2933_39:
	s_wait_dscnt 0x1
	global_store_b64 v[2:3], v[6:7], off offset:6144
.LBB2933_40:
	s_wait_xcnt 0x0
	s_or_b32 exec_lo, exec_lo, s1
	v_cmp_gt_u32_e64 s11, s0, v1
.LBB2933_41:
	s_wait_xcnt 0x0
	s_delay_alu instid0(VALU_DEP_1)
	s_and_saveexec_b32 s0, s11
	s_cbranch_execz .LBB2933_43
; %bb.42:
	s_wait_dscnt 0x0
	global_store_b64 v[2:3], v[4:5], off offset:7168
.LBB2933_43:
	s_endpgm
.LBB2933_44:
	v_dual_mov_b32 v21, v2 :: v_dual_mov_b32 v5, v2
	v_sub_co_u32 v4, vcc_lo, v0, s9
	v_dual_mov_b32 v18, v2 :: v_dual_mov_b32 v19, v2
	s_delay_alu instid0(VALU_DEP_3) | instskip(NEXT) | instid1(VALU_DEP_3)
	v_add_nc_u64_e32 v[6:7], s[12:13], v[20:21]
	v_lshl_add_u64 v[4:5], v[4:5], 3, s[6:7]
	v_dual_mov_b32 v8, v2 :: v_dual_mov_b32 v9, v2
	v_dual_mov_b32 v10, v2 :: v_dual_mov_b32 v11, v2
	;; [unrolled: 1-line block ×3, first 2 shown]
	s_delay_alu instid0(VALU_DEP_4)
	v_dual_cndmask_b32 v5, v5, v7 :: v_dual_cndmask_b32 v4, v4, v6
	v_dual_mov_b32 v6, v2 :: v_dual_mov_b32 v7, v2
	v_dual_mov_b32 v14, v2 :: v_dual_mov_b32 v15, v2
	global_load_b64 v[4:5], v[4:5], off
	v_dual_mov_b32 v16, v2 :: v_dual_mov_b32 v17, v2
	s_wait_loadcnt 0x0
	v_mov_b64_e32 v[2:3], v[4:5]
	v_mov_b64_e32 v[4:5], v[6:7]
	;; [unrolled: 1-line block ×8, first 2 shown]
	s_or_b32 exec_lo, exec_lo, s2
	s_delay_alu instid0(SALU_CYCLE_1)
	s_mov_b32 s2, exec_lo
	v_cmpx_gt_u32_e64 s11, v24
	s_cbranch_execz .LBB2933_6
.LBB2933_45:
	v_mov_b32_e32 v25, 0
	s_delay_alu instid0(VALU_DEP_1) | instskip(SKIP_1) | instid1(VALU_DEP_1)
	v_lshl_add_u64 v[4:5], v[24:25], 3, s[12:13]
	v_sub_co_u32 v24, vcc_lo, v24, s9
	v_lshl_add_u64 v[18:19], v[24:25], 3, s[6:7]
	s_delay_alu instid0(VALU_DEP_1) | instskip(SKIP_3) | instid1(SALU_CYCLE_1)
	v_dual_cndmask_b32 v5, v19, v5 :: v_dual_cndmask_b32 v4, v18, v4
	global_load_b64 v[4:5], v[4:5], off
	s_wait_xcnt 0x0
	s_or_b32 exec_lo, exec_lo, s2
	s_mov_b32 s2, exec_lo
	v_cmpx_gt_u32_e64 s11, v22
	s_cbranch_execnz .LBB2933_7
	s_branch .LBB2933_8
.LBB2933_46:
	ds_load_b64 v[20:21], v26
	s_wait_dscnt 0x0
	global_store_b64 v[2:3], v[20:21], off
	s_wait_xcnt 0x0
	s_or_b32 exec_lo, exec_lo, s1
	s_delay_alu instid0(SALU_CYCLE_1)
	s_mov_b32 s1, exec_lo
	v_cmpx_gt_u32_e64 s0, v25
	s_cbranch_execz .LBB2933_34
.LBB2933_47:
	s_wait_dscnt 0x6
	global_store_b64 v[2:3], v[16:17], off offset:1024
	s_wait_xcnt 0x0
	s_or_b32 exec_lo, exec_lo, s1
	s_delay_alu instid0(SALU_CYCLE_1)
	s_mov_b32 s1, exec_lo
	v_cmpx_gt_u32_e64 s0, v22
	s_cbranch_execz .LBB2933_35
.LBB2933_48:
	s_wait_dscnt 0x5
	global_store_b64 v[2:3], v[14:15], off offset:2048
	s_wait_xcnt 0x0
	s_or_b32 exec_lo, exec_lo, s1
	s_delay_alu instid0(SALU_CYCLE_1)
	s_mov_b32 s1, exec_lo
	v_cmpx_gt_u32_e64 s0, v24
	s_cbranch_execz .LBB2933_36
.LBB2933_49:
	s_wait_dscnt 0x4
	global_store_b64 v[2:3], v[12:13], off offset:3072
	s_wait_xcnt 0x0
	s_or_b32 exec_lo, exec_lo, s1
	s_delay_alu instid0(SALU_CYCLE_1)
	s_mov_b32 s1, exec_lo
	v_cmpx_gt_u32_e64 s0, v23
	s_cbranch_execz .LBB2933_37
.LBB2933_50:
	s_wait_dscnt 0x3
	global_store_b64 v[2:3], v[10:11], off offset:4096
	s_wait_xcnt 0x0
	s_or_b32 exec_lo, exec_lo, s1
	s_delay_alu instid0(SALU_CYCLE_1)
	s_mov_b32 s1, exec_lo
	v_cmpx_gt_u32_e64 s0, v19
	s_cbranch_execz .LBB2933_38
.LBB2933_51:
	s_wait_dscnt 0x2
	global_store_b64 v[2:3], v[8:9], off offset:5120
	s_wait_xcnt 0x0
	s_or_b32 exec_lo, exec_lo, s1
	s_delay_alu instid0(SALU_CYCLE_1)
	s_mov_b32 s1, exec_lo
	v_cmpx_gt_u32_e64 s0, v18
	s_cbranch_execnz .LBB2933_39
	s_branch .LBB2933_40
	.section	.rodata,"a",@progbits
	.p2align	6, 0x0
	.amdhsa_kernel _ZN7rocprim17ROCPRIM_400000_NS6detail17trampoline_kernelINS0_14default_configENS1_38merge_sort_block_merge_config_selectorImNS0_10empty_typeEEEZZNS1_27merge_sort_block_merge_implIS3_PmPS5_jNS1_19radix_merge_compareILb0ELb0EmNS0_19identity_decomposerEEEEE10hipError_tT0_T1_T2_jT3_P12ihipStream_tbPNSt15iterator_traitsISE_E10value_typeEPNSK_ISF_E10value_typeEPSG_NS1_7vsmem_tEENKUlT_SE_SF_SG_E_clIS8_S8_S9_S9_EESD_ST_SE_SF_SG_EUlST_E0_NS1_11comp_targetILNS1_3genE0ELNS1_11target_archE4294967295ELNS1_3gpuE0ELNS1_3repE0EEENS1_38merge_mergepath_config_static_selectorELNS0_4arch9wavefront6targetE0EEEvSF_
		.amdhsa_group_segment_fixed_size 8448
		.amdhsa_private_segment_fixed_size 0
		.amdhsa_kernarg_size 320
		.amdhsa_user_sgpr_count 2
		.amdhsa_user_sgpr_dispatch_ptr 0
		.amdhsa_user_sgpr_queue_ptr 0
		.amdhsa_user_sgpr_kernarg_segment_ptr 1
		.amdhsa_user_sgpr_dispatch_id 0
		.amdhsa_user_sgpr_kernarg_preload_length 0
		.amdhsa_user_sgpr_kernarg_preload_offset 0
		.amdhsa_user_sgpr_private_segment_size 0
		.amdhsa_wavefront_size32 1
		.amdhsa_uses_dynamic_stack 0
		.amdhsa_enable_private_segment 0
		.amdhsa_system_sgpr_workgroup_id_x 1
		.amdhsa_system_sgpr_workgroup_id_y 1
		.amdhsa_system_sgpr_workgroup_id_z 1
		.amdhsa_system_sgpr_workgroup_info 0
		.amdhsa_system_vgpr_workitem_id 0
		.amdhsa_next_free_vgpr 38
		.amdhsa_next_free_sgpr 23
		.amdhsa_named_barrier_count 0
		.amdhsa_reserve_vcc 1
		.amdhsa_float_round_mode_32 0
		.amdhsa_float_round_mode_16_64 0
		.amdhsa_float_denorm_mode_32 3
		.amdhsa_float_denorm_mode_16_64 3
		.amdhsa_fp16_overflow 0
		.amdhsa_memory_ordered 1
		.amdhsa_forward_progress 1
		.amdhsa_inst_pref_size 35
		.amdhsa_round_robin_scheduling 0
		.amdhsa_exception_fp_ieee_invalid_op 0
		.amdhsa_exception_fp_denorm_src 0
		.amdhsa_exception_fp_ieee_div_zero 0
		.amdhsa_exception_fp_ieee_overflow 0
		.amdhsa_exception_fp_ieee_underflow 0
		.amdhsa_exception_fp_ieee_inexact 0
		.amdhsa_exception_int_div_zero 0
	.end_amdhsa_kernel
	.section	.text._ZN7rocprim17ROCPRIM_400000_NS6detail17trampoline_kernelINS0_14default_configENS1_38merge_sort_block_merge_config_selectorImNS0_10empty_typeEEEZZNS1_27merge_sort_block_merge_implIS3_PmPS5_jNS1_19radix_merge_compareILb0ELb0EmNS0_19identity_decomposerEEEEE10hipError_tT0_T1_T2_jT3_P12ihipStream_tbPNSt15iterator_traitsISE_E10value_typeEPNSK_ISF_E10value_typeEPSG_NS1_7vsmem_tEENKUlT_SE_SF_SG_E_clIS8_S8_S9_S9_EESD_ST_SE_SF_SG_EUlST_E0_NS1_11comp_targetILNS1_3genE0ELNS1_11target_archE4294967295ELNS1_3gpuE0ELNS1_3repE0EEENS1_38merge_mergepath_config_static_selectorELNS0_4arch9wavefront6targetE0EEEvSF_,"axG",@progbits,_ZN7rocprim17ROCPRIM_400000_NS6detail17trampoline_kernelINS0_14default_configENS1_38merge_sort_block_merge_config_selectorImNS0_10empty_typeEEEZZNS1_27merge_sort_block_merge_implIS3_PmPS5_jNS1_19radix_merge_compareILb0ELb0EmNS0_19identity_decomposerEEEEE10hipError_tT0_T1_T2_jT3_P12ihipStream_tbPNSt15iterator_traitsISE_E10value_typeEPNSK_ISF_E10value_typeEPSG_NS1_7vsmem_tEENKUlT_SE_SF_SG_E_clIS8_S8_S9_S9_EESD_ST_SE_SF_SG_EUlST_E0_NS1_11comp_targetILNS1_3genE0ELNS1_11target_archE4294967295ELNS1_3gpuE0ELNS1_3repE0EEENS1_38merge_mergepath_config_static_selectorELNS0_4arch9wavefront6targetE0EEEvSF_,comdat
.Lfunc_end2933:
	.size	_ZN7rocprim17ROCPRIM_400000_NS6detail17trampoline_kernelINS0_14default_configENS1_38merge_sort_block_merge_config_selectorImNS0_10empty_typeEEEZZNS1_27merge_sort_block_merge_implIS3_PmPS5_jNS1_19radix_merge_compareILb0ELb0EmNS0_19identity_decomposerEEEEE10hipError_tT0_T1_T2_jT3_P12ihipStream_tbPNSt15iterator_traitsISE_E10value_typeEPNSK_ISF_E10value_typeEPSG_NS1_7vsmem_tEENKUlT_SE_SF_SG_E_clIS8_S8_S9_S9_EESD_ST_SE_SF_SG_EUlST_E0_NS1_11comp_targetILNS1_3genE0ELNS1_11target_archE4294967295ELNS1_3gpuE0ELNS1_3repE0EEENS1_38merge_mergepath_config_static_selectorELNS0_4arch9wavefront6targetE0EEEvSF_, .Lfunc_end2933-_ZN7rocprim17ROCPRIM_400000_NS6detail17trampoline_kernelINS0_14default_configENS1_38merge_sort_block_merge_config_selectorImNS0_10empty_typeEEEZZNS1_27merge_sort_block_merge_implIS3_PmPS5_jNS1_19radix_merge_compareILb0ELb0EmNS0_19identity_decomposerEEEEE10hipError_tT0_T1_T2_jT3_P12ihipStream_tbPNSt15iterator_traitsISE_E10value_typeEPNSK_ISF_E10value_typeEPSG_NS1_7vsmem_tEENKUlT_SE_SF_SG_E_clIS8_S8_S9_S9_EESD_ST_SE_SF_SG_EUlST_E0_NS1_11comp_targetILNS1_3genE0ELNS1_11target_archE4294967295ELNS1_3gpuE0ELNS1_3repE0EEENS1_38merge_mergepath_config_static_selectorELNS0_4arch9wavefront6targetE0EEEvSF_
                                        ; -- End function
	.set _ZN7rocprim17ROCPRIM_400000_NS6detail17trampoline_kernelINS0_14default_configENS1_38merge_sort_block_merge_config_selectorImNS0_10empty_typeEEEZZNS1_27merge_sort_block_merge_implIS3_PmPS5_jNS1_19radix_merge_compareILb0ELb0EmNS0_19identity_decomposerEEEEE10hipError_tT0_T1_T2_jT3_P12ihipStream_tbPNSt15iterator_traitsISE_E10value_typeEPNSK_ISF_E10value_typeEPSG_NS1_7vsmem_tEENKUlT_SE_SF_SG_E_clIS8_S8_S9_S9_EESD_ST_SE_SF_SG_EUlST_E0_NS1_11comp_targetILNS1_3genE0ELNS1_11target_archE4294967295ELNS1_3gpuE0ELNS1_3repE0EEENS1_38merge_mergepath_config_static_selectorELNS0_4arch9wavefront6targetE0EEEvSF_.num_vgpr, 38
	.set _ZN7rocprim17ROCPRIM_400000_NS6detail17trampoline_kernelINS0_14default_configENS1_38merge_sort_block_merge_config_selectorImNS0_10empty_typeEEEZZNS1_27merge_sort_block_merge_implIS3_PmPS5_jNS1_19radix_merge_compareILb0ELb0EmNS0_19identity_decomposerEEEEE10hipError_tT0_T1_T2_jT3_P12ihipStream_tbPNSt15iterator_traitsISE_E10value_typeEPNSK_ISF_E10value_typeEPSG_NS1_7vsmem_tEENKUlT_SE_SF_SG_E_clIS8_S8_S9_S9_EESD_ST_SE_SF_SG_EUlST_E0_NS1_11comp_targetILNS1_3genE0ELNS1_11target_archE4294967295ELNS1_3gpuE0ELNS1_3repE0EEENS1_38merge_mergepath_config_static_selectorELNS0_4arch9wavefront6targetE0EEEvSF_.num_agpr, 0
	.set _ZN7rocprim17ROCPRIM_400000_NS6detail17trampoline_kernelINS0_14default_configENS1_38merge_sort_block_merge_config_selectorImNS0_10empty_typeEEEZZNS1_27merge_sort_block_merge_implIS3_PmPS5_jNS1_19radix_merge_compareILb0ELb0EmNS0_19identity_decomposerEEEEE10hipError_tT0_T1_T2_jT3_P12ihipStream_tbPNSt15iterator_traitsISE_E10value_typeEPNSK_ISF_E10value_typeEPSG_NS1_7vsmem_tEENKUlT_SE_SF_SG_E_clIS8_S8_S9_S9_EESD_ST_SE_SF_SG_EUlST_E0_NS1_11comp_targetILNS1_3genE0ELNS1_11target_archE4294967295ELNS1_3gpuE0ELNS1_3repE0EEENS1_38merge_mergepath_config_static_selectorELNS0_4arch9wavefront6targetE0EEEvSF_.numbered_sgpr, 23
	.set _ZN7rocprim17ROCPRIM_400000_NS6detail17trampoline_kernelINS0_14default_configENS1_38merge_sort_block_merge_config_selectorImNS0_10empty_typeEEEZZNS1_27merge_sort_block_merge_implIS3_PmPS5_jNS1_19radix_merge_compareILb0ELb0EmNS0_19identity_decomposerEEEEE10hipError_tT0_T1_T2_jT3_P12ihipStream_tbPNSt15iterator_traitsISE_E10value_typeEPNSK_ISF_E10value_typeEPSG_NS1_7vsmem_tEENKUlT_SE_SF_SG_E_clIS8_S8_S9_S9_EESD_ST_SE_SF_SG_EUlST_E0_NS1_11comp_targetILNS1_3genE0ELNS1_11target_archE4294967295ELNS1_3gpuE0ELNS1_3repE0EEENS1_38merge_mergepath_config_static_selectorELNS0_4arch9wavefront6targetE0EEEvSF_.num_named_barrier, 0
	.set _ZN7rocprim17ROCPRIM_400000_NS6detail17trampoline_kernelINS0_14default_configENS1_38merge_sort_block_merge_config_selectorImNS0_10empty_typeEEEZZNS1_27merge_sort_block_merge_implIS3_PmPS5_jNS1_19radix_merge_compareILb0ELb0EmNS0_19identity_decomposerEEEEE10hipError_tT0_T1_T2_jT3_P12ihipStream_tbPNSt15iterator_traitsISE_E10value_typeEPNSK_ISF_E10value_typeEPSG_NS1_7vsmem_tEENKUlT_SE_SF_SG_E_clIS8_S8_S9_S9_EESD_ST_SE_SF_SG_EUlST_E0_NS1_11comp_targetILNS1_3genE0ELNS1_11target_archE4294967295ELNS1_3gpuE0ELNS1_3repE0EEENS1_38merge_mergepath_config_static_selectorELNS0_4arch9wavefront6targetE0EEEvSF_.private_seg_size, 0
	.set _ZN7rocprim17ROCPRIM_400000_NS6detail17trampoline_kernelINS0_14default_configENS1_38merge_sort_block_merge_config_selectorImNS0_10empty_typeEEEZZNS1_27merge_sort_block_merge_implIS3_PmPS5_jNS1_19radix_merge_compareILb0ELb0EmNS0_19identity_decomposerEEEEE10hipError_tT0_T1_T2_jT3_P12ihipStream_tbPNSt15iterator_traitsISE_E10value_typeEPNSK_ISF_E10value_typeEPSG_NS1_7vsmem_tEENKUlT_SE_SF_SG_E_clIS8_S8_S9_S9_EESD_ST_SE_SF_SG_EUlST_E0_NS1_11comp_targetILNS1_3genE0ELNS1_11target_archE4294967295ELNS1_3gpuE0ELNS1_3repE0EEENS1_38merge_mergepath_config_static_selectorELNS0_4arch9wavefront6targetE0EEEvSF_.uses_vcc, 1
	.set _ZN7rocprim17ROCPRIM_400000_NS6detail17trampoline_kernelINS0_14default_configENS1_38merge_sort_block_merge_config_selectorImNS0_10empty_typeEEEZZNS1_27merge_sort_block_merge_implIS3_PmPS5_jNS1_19radix_merge_compareILb0ELb0EmNS0_19identity_decomposerEEEEE10hipError_tT0_T1_T2_jT3_P12ihipStream_tbPNSt15iterator_traitsISE_E10value_typeEPNSK_ISF_E10value_typeEPSG_NS1_7vsmem_tEENKUlT_SE_SF_SG_E_clIS8_S8_S9_S9_EESD_ST_SE_SF_SG_EUlST_E0_NS1_11comp_targetILNS1_3genE0ELNS1_11target_archE4294967295ELNS1_3gpuE0ELNS1_3repE0EEENS1_38merge_mergepath_config_static_selectorELNS0_4arch9wavefront6targetE0EEEvSF_.uses_flat_scratch, 0
	.set _ZN7rocprim17ROCPRIM_400000_NS6detail17trampoline_kernelINS0_14default_configENS1_38merge_sort_block_merge_config_selectorImNS0_10empty_typeEEEZZNS1_27merge_sort_block_merge_implIS3_PmPS5_jNS1_19radix_merge_compareILb0ELb0EmNS0_19identity_decomposerEEEEE10hipError_tT0_T1_T2_jT3_P12ihipStream_tbPNSt15iterator_traitsISE_E10value_typeEPNSK_ISF_E10value_typeEPSG_NS1_7vsmem_tEENKUlT_SE_SF_SG_E_clIS8_S8_S9_S9_EESD_ST_SE_SF_SG_EUlST_E0_NS1_11comp_targetILNS1_3genE0ELNS1_11target_archE4294967295ELNS1_3gpuE0ELNS1_3repE0EEENS1_38merge_mergepath_config_static_selectorELNS0_4arch9wavefront6targetE0EEEvSF_.has_dyn_sized_stack, 0
	.set _ZN7rocprim17ROCPRIM_400000_NS6detail17trampoline_kernelINS0_14default_configENS1_38merge_sort_block_merge_config_selectorImNS0_10empty_typeEEEZZNS1_27merge_sort_block_merge_implIS3_PmPS5_jNS1_19radix_merge_compareILb0ELb0EmNS0_19identity_decomposerEEEEE10hipError_tT0_T1_T2_jT3_P12ihipStream_tbPNSt15iterator_traitsISE_E10value_typeEPNSK_ISF_E10value_typeEPSG_NS1_7vsmem_tEENKUlT_SE_SF_SG_E_clIS8_S8_S9_S9_EESD_ST_SE_SF_SG_EUlST_E0_NS1_11comp_targetILNS1_3genE0ELNS1_11target_archE4294967295ELNS1_3gpuE0ELNS1_3repE0EEENS1_38merge_mergepath_config_static_selectorELNS0_4arch9wavefront6targetE0EEEvSF_.has_recursion, 0
	.set _ZN7rocprim17ROCPRIM_400000_NS6detail17trampoline_kernelINS0_14default_configENS1_38merge_sort_block_merge_config_selectorImNS0_10empty_typeEEEZZNS1_27merge_sort_block_merge_implIS3_PmPS5_jNS1_19radix_merge_compareILb0ELb0EmNS0_19identity_decomposerEEEEE10hipError_tT0_T1_T2_jT3_P12ihipStream_tbPNSt15iterator_traitsISE_E10value_typeEPNSK_ISF_E10value_typeEPSG_NS1_7vsmem_tEENKUlT_SE_SF_SG_E_clIS8_S8_S9_S9_EESD_ST_SE_SF_SG_EUlST_E0_NS1_11comp_targetILNS1_3genE0ELNS1_11target_archE4294967295ELNS1_3gpuE0ELNS1_3repE0EEENS1_38merge_mergepath_config_static_selectorELNS0_4arch9wavefront6targetE0EEEvSF_.has_indirect_call, 0
	.section	.AMDGPU.csdata,"",@progbits
; Kernel info:
; codeLenInByte = 4368
; TotalNumSgprs: 25
; NumVgprs: 38
; ScratchSize: 0
; MemoryBound: 0
; FloatMode: 240
; IeeeMode: 1
; LDSByteSize: 8448 bytes/workgroup (compile time only)
; SGPRBlocks: 0
; VGPRBlocks: 2
; NumSGPRsForWavesPerEU: 25
; NumVGPRsForWavesPerEU: 38
; NamedBarCnt: 0
; Occupancy: 16
; WaveLimiterHint : 1
; COMPUTE_PGM_RSRC2:SCRATCH_EN: 0
; COMPUTE_PGM_RSRC2:USER_SGPR: 2
; COMPUTE_PGM_RSRC2:TRAP_HANDLER: 0
; COMPUTE_PGM_RSRC2:TGID_X_EN: 1
; COMPUTE_PGM_RSRC2:TGID_Y_EN: 1
; COMPUTE_PGM_RSRC2:TGID_Z_EN: 1
; COMPUTE_PGM_RSRC2:TIDIG_COMP_CNT: 0
	.section	.text._ZN7rocprim17ROCPRIM_400000_NS6detail17trampoline_kernelINS0_14default_configENS1_38merge_sort_block_merge_config_selectorImNS0_10empty_typeEEEZZNS1_27merge_sort_block_merge_implIS3_PmPS5_jNS1_19radix_merge_compareILb0ELb0EmNS0_19identity_decomposerEEEEE10hipError_tT0_T1_T2_jT3_P12ihipStream_tbPNSt15iterator_traitsISE_E10value_typeEPNSK_ISF_E10value_typeEPSG_NS1_7vsmem_tEENKUlT_SE_SF_SG_E_clIS8_S8_S9_S9_EESD_ST_SE_SF_SG_EUlST_E0_NS1_11comp_targetILNS1_3genE10ELNS1_11target_archE1201ELNS1_3gpuE5ELNS1_3repE0EEENS1_38merge_mergepath_config_static_selectorELNS0_4arch9wavefront6targetE0EEEvSF_,"axG",@progbits,_ZN7rocprim17ROCPRIM_400000_NS6detail17trampoline_kernelINS0_14default_configENS1_38merge_sort_block_merge_config_selectorImNS0_10empty_typeEEEZZNS1_27merge_sort_block_merge_implIS3_PmPS5_jNS1_19radix_merge_compareILb0ELb0EmNS0_19identity_decomposerEEEEE10hipError_tT0_T1_T2_jT3_P12ihipStream_tbPNSt15iterator_traitsISE_E10value_typeEPNSK_ISF_E10value_typeEPSG_NS1_7vsmem_tEENKUlT_SE_SF_SG_E_clIS8_S8_S9_S9_EESD_ST_SE_SF_SG_EUlST_E0_NS1_11comp_targetILNS1_3genE10ELNS1_11target_archE1201ELNS1_3gpuE5ELNS1_3repE0EEENS1_38merge_mergepath_config_static_selectorELNS0_4arch9wavefront6targetE0EEEvSF_,comdat
	.protected	_ZN7rocprim17ROCPRIM_400000_NS6detail17trampoline_kernelINS0_14default_configENS1_38merge_sort_block_merge_config_selectorImNS0_10empty_typeEEEZZNS1_27merge_sort_block_merge_implIS3_PmPS5_jNS1_19radix_merge_compareILb0ELb0EmNS0_19identity_decomposerEEEEE10hipError_tT0_T1_T2_jT3_P12ihipStream_tbPNSt15iterator_traitsISE_E10value_typeEPNSK_ISF_E10value_typeEPSG_NS1_7vsmem_tEENKUlT_SE_SF_SG_E_clIS8_S8_S9_S9_EESD_ST_SE_SF_SG_EUlST_E0_NS1_11comp_targetILNS1_3genE10ELNS1_11target_archE1201ELNS1_3gpuE5ELNS1_3repE0EEENS1_38merge_mergepath_config_static_selectorELNS0_4arch9wavefront6targetE0EEEvSF_ ; -- Begin function _ZN7rocprim17ROCPRIM_400000_NS6detail17trampoline_kernelINS0_14default_configENS1_38merge_sort_block_merge_config_selectorImNS0_10empty_typeEEEZZNS1_27merge_sort_block_merge_implIS3_PmPS5_jNS1_19radix_merge_compareILb0ELb0EmNS0_19identity_decomposerEEEEE10hipError_tT0_T1_T2_jT3_P12ihipStream_tbPNSt15iterator_traitsISE_E10value_typeEPNSK_ISF_E10value_typeEPSG_NS1_7vsmem_tEENKUlT_SE_SF_SG_E_clIS8_S8_S9_S9_EESD_ST_SE_SF_SG_EUlST_E0_NS1_11comp_targetILNS1_3genE10ELNS1_11target_archE1201ELNS1_3gpuE5ELNS1_3repE0EEENS1_38merge_mergepath_config_static_selectorELNS0_4arch9wavefront6targetE0EEEvSF_
	.globl	_ZN7rocprim17ROCPRIM_400000_NS6detail17trampoline_kernelINS0_14default_configENS1_38merge_sort_block_merge_config_selectorImNS0_10empty_typeEEEZZNS1_27merge_sort_block_merge_implIS3_PmPS5_jNS1_19radix_merge_compareILb0ELb0EmNS0_19identity_decomposerEEEEE10hipError_tT0_T1_T2_jT3_P12ihipStream_tbPNSt15iterator_traitsISE_E10value_typeEPNSK_ISF_E10value_typeEPSG_NS1_7vsmem_tEENKUlT_SE_SF_SG_E_clIS8_S8_S9_S9_EESD_ST_SE_SF_SG_EUlST_E0_NS1_11comp_targetILNS1_3genE10ELNS1_11target_archE1201ELNS1_3gpuE5ELNS1_3repE0EEENS1_38merge_mergepath_config_static_selectorELNS0_4arch9wavefront6targetE0EEEvSF_
	.p2align	8
	.type	_ZN7rocprim17ROCPRIM_400000_NS6detail17trampoline_kernelINS0_14default_configENS1_38merge_sort_block_merge_config_selectorImNS0_10empty_typeEEEZZNS1_27merge_sort_block_merge_implIS3_PmPS5_jNS1_19radix_merge_compareILb0ELb0EmNS0_19identity_decomposerEEEEE10hipError_tT0_T1_T2_jT3_P12ihipStream_tbPNSt15iterator_traitsISE_E10value_typeEPNSK_ISF_E10value_typeEPSG_NS1_7vsmem_tEENKUlT_SE_SF_SG_E_clIS8_S8_S9_S9_EESD_ST_SE_SF_SG_EUlST_E0_NS1_11comp_targetILNS1_3genE10ELNS1_11target_archE1201ELNS1_3gpuE5ELNS1_3repE0EEENS1_38merge_mergepath_config_static_selectorELNS0_4arch9wavefront6targetE0EEEvSF_,@function
_ZN7rocprim17ROCPRIM_400000_NS6detail17trampoline_kernelINS0_14default_configENS1_38merge_sort_block_merge_config_selectorImNS0_10empty_typeEEEZZNS1_27merge_sort_block_merge_implIS3_PmPS5_jNS1_19radix_merge_compareILb0ELb0EmNS0_19identity_decomposerEEEEE10hipError_tT0_T1_T2_jT3_P12ihipStream_tbPNSt15iterator_traitsISE_E10value_typeEPNSK_ISF_E10value_typeEPSG_NS1_7vsmem_tEENKUlT_SE_SF_SG_E_clIS8_S8_S9_S9_EESD_ST_SE_SF_SG_EUlST_E0_NS1_11comp_targetILNS1_3genE10ELNS1_11target_archE1201ELNS1_3gpuE5ELNS1_3repE0EEENS1_38merge_mergepath_config_static_selectorELNS0_4arch9wavefront6targetE0EEEvSF_: ; @_ZN7rocprim17ROCPRIM_400000_NS6detail17trampoline_kernelINS0_14default_configENS1_38merge_sort_block_merge_config_selectorImNS0_10empty_typeEEEZZNS1_27merge_sort_block_merge_implIS3_PmPS5_jNS1_19radix_merge_compareILb0ELb0EmNS0_19identity_decomposerEEEEE10hipError_tT0_T1_T2_jT3_P12ihipStream_tbPNSt15iterator_traitsISE_E10value_typeEPNSK_ISF_E10value_typeEPSG_NS1_7vsmem_tEENKUlT_SE_SF_SG_E_clIS8_S8_S9_S9_EESD_ST_SE_SF_SG_EUlST_E0_NS1_11comp_targetILNS1_3genE10ELNS1_11target_archE1201ELNS1_3gpuE5ELNS1_3repE0EEENS1_38merge_mergepath_config_static_selectorELNS0_4arch9wavefront6targetE0EEEvSF_
; %bb.0:
	.section	.rodata,"a",@progbits
	.p2align	6, 0x0
	.amdhsa_kernel _ZN7rocprim17ROCPRIM_400000_NS6detail17trampoline_kernelINS0_14default_configENS1_38merge_sort_block_merge_config_selectorImNS0_10empty_typeEEEZZNS1_27merge_sort_block_merge_implIS3_PmPS5_jNS1_19radix_merge_compareILb0ELb0EmNS0_19identity_decomposerEEEEE10hipError_tT0_T1_T2_jT3_P12ihipStream_tbPNSt15iterator_traitsISE_E10value_typeEPNSK_ISF_E10value_typeEPSG_NS1_7vsmem_tEENKUlT_SE_SF_SG_E_clIS8_S8_S9_S9_EESD_ST_SE_SF_SG_EUlST_E0_NS1_11comp_targetILNS1_3genE10ELNS1_11target_archE1201ELNS1_3gpuE5ELNS1_3repE0EEENS1_38merge_mergepath_config_static_selectorELNS0_4arch9wavefront6targetE0EEEvSF_
		.amdhsa_group_segment_fixed_size 0
		.amdhsa_private_segment_fixed_size 0
		.amdhsa_kernarg_size 64
		.amdhsa_user_sgpr_count 2
		.amdhsa_user_sgpr_dispatch_ptr 0
		.amdhsa_user_sgpr_queue_ptr 0
		.amdhsa_user_sgpr_kernarg_segment_ptr 1
		.amdhsa_user_sgpr_dispatch_id 0
		.amdhsa_user_sgpr_kernarg_preload_length 0
		.amdhsa_user_sgpr_kernarg_preload_offset 0
		.amdhsa_user_sgpr_private_segment_size 0
		.amdhsa_wavefront_size32 1
		.amdhsa_uses_dynamic_stack 0
		.amdhsa_enable_private_segment 0
		.amdhsa_system_sgpr_workgroup_id_x 1
		.amdhsa_system_sgpr_workgroup_id_y 0
		.amdhsa_system_sgpr_workgroup_id_z 0
		.amdhsa_system_sgpr_workgroup_info 0
		.amdhsa_system_vgpr_workitem_id 0
		.amdhsa_next_free_vgpr 1
		.amdhsa_next_free_sgpr 1
		.amdhsa_named_barrier_count 0
		.amdhsa_reserve_vcc 0
		.amdhsa_float_round_mode_32 0
		.amdhsa_float_round_mode_16_64 0
		.amdhsa_float_denorm_mode_32 3
		.amdhsa_float_denorm_mode_16_64 3
		.amdhsa_fp16_overflow 0
		.amdhsa_memory_ordered 1
		.amdhsa_forward_progress 1
		.amdhsa_inst_pref_size 0
		.amdhsa_round_robin_scheduling 0
		.amdhsa_exception_fp_ieee_invalid_op 0
		.amdhsa_exception_fp_denorm_src 0
		.amdhsa_exception_fp_ieee_div_zero 0
		.amdhsa_exception_fp_ieee_overflow 0
		.amdhsa_exception_fp_ieee_underflow 0
		.amdhsa_exception_fp_ieee_inexact 0
		.amdhsa_exception_int_div_zero 0
	.end_amdhsa_kernel
	.section	.text._ZN7rocprim17ROCPRIM_400000_NS6detail17trampoline_kernelINS0_14default_configENS1_38merge_sort_block_merge_config_selectorImNS0_10empty_typeEEEZZNS1_27merge_sort_block_merge_implIS3_PmPS5_jNS1_19radix_merge_compareILb0ELb0EmNS0_19identity_decomposerEEEEE10hipError_tT0_T1_T2_jT3_P12ihipStream_tbPNSt15iterator_traitsISE_E10value_typeEPNSK_ISF_E10value_typeEPSG_NS1_7vsmem_tEENKUlT_SE_SF_SG_E_clIS8_S8_S9_S9_EESD_ST_SE_SF_SG_EUlST_E0_NS1_11comp_targetILNS1_3genE10ELNS1_11target_archE1201ELNS1_3gpuE5ELNS1_3repE0EEENS1_38merge_mergepath_config_static_selectorELNS0_4arch9wavefront6targetE0EEEvSF_,"axG",@progbits,_ZN7rocprim17ROCPRIM_400000_NS6detail17trampoline_kernelINS0_14default_configENS1_38merge_sort_block_merge_config_selectorImNS0_10empty_typeEEEZZNS1_27merge_sort_block_merge_implIS3_PmPS5_jNS1_19radix_merge_compareILb0ELb0EmNS0_19identity_decomposerEEEEE10hipError_tT0_T1_T2_jT3_P12ihipStream_tbPNSt15iterator_traitsISE_E10value_typeEPNSK_ISF_E10value_typeEPSG_NS1_7vsmem_tEENKUlT_SE_SF_SG_E_clIS8_S8_S9_S9_EESD_ST_SE_SF_SG_EUlST_E0_NS1_11comp_targetILNS1_3genE10ELNS1_11target_archE1201ELNS1_3gpuE5ELNS1_3repE0EEENS1_38merge_mergepath_config_static_selectorELNS0_4arch9wavefront6targetE0EEEvSF_,comdat
.Lfunc_end2934:
	.size	_ZN7rocprim17ROCPRIM_400000_NS6detail17trampoline_kernelINS0_14default_configENS1_38merge_sort_block_merge_config_selectorImNS0_10empty_typeEEEZZNS1_27merge_sort_block_merge_implIS3_PmPS5_jNS1_19radix_merge_compareILb0ELb0EmNS0_19identity_decomposerEEEEE10hipError_tT0_T1_T2_jT3_P12ihipStream_tbPNSt15iterator_traitsISE_E10value_typeEPNSK_ISF_E10value_typeEPSG_NS1_7vsmem_tEENKUlT_SE_SF_SG_E_clIS8_S8_S9_S9_EESD_ST_SE_SF_SG_EUlST_E0_NS1_11comp_targetILNS1_3genE10ELNS1_11target_archE1201ELNS1_3gpuE5ELNS1_3repE0EEENS1_38merge_mergepath_config_static_selectorELNS0_4arch9wavefront6targetE0EEEvSF_, .Lfunc_end2934-_ZN7rocprim17ROCPRIM_400000_NS6detail17trampoline_kernelINS0_14default_configENS1_38merge_sort_block_merge_config_selectorImNS0_10empty_typeEEEZZNS1_27merge_sort_block_merge_implIS3_PmPS5_jNS1_19radix_merge_compareILb0ELb0EmNS0_19identity_decomposerEEEEE10hipError_tT0_T1_T2_jT3_P12ihipStream_tbPNSt15iterator_traitsISE_E10value_typeEPNSK_ISF_E10value_typeEPSG_NS1_7vsmem_tEENKUlT_SE_SF_SG_E_clIS8_S8_S9_S9_EESD_ST_SE_SF_SG_EUlST_E0_NS1_11comp_targetILNS1_3genE10ELNS1_11target_archE1201ELNS1_3gpuE5ELNS1_3repE0EEENS1_38merge_mergepath_config_static_selectorELNS0_4arch9wavefront6targetE0EEEvSF_
                                        ; -- End function
	.set _ZN7rocprim17ROCPRIM_400000_NS6detail17trampoline_kernelINS0_14default_configENS1_38merge_sort_block_merge_config_selectorImNS0_10empty_typeEEEZZNS1_27merge_sort_block_merge_implIS3_PmPS5_jNS1_19radix_merge_compareILb0ELb0EmNS0_19identity_decomposerEEEEE10hipError_tT0_T1_T2_jT3_P12ihipStream_tbPNSt15iterator_traitsISE_E10value_typeEPNSK_ISF_E10value_typeEPSG_NS1_7vsmem_tEENKUlT_SE_SF_SG_E_clIS8_S8_S9_S9_EESD_ST_SE_SF_SG_EUlST_E0_NS1_11comp_targetILNS1_3genE10ELNS1_11target_archE1201ELNS1_3gpuE5ELNS1_3repE0EEENS1_38merge_mergepath_config_static_selectorELNS0_4arch9wavefront6targetE0EEEvSF_.num_vgpr, 0
	.set _ZN7rocprim17ROCPRIM_400000_NS6detail17trampoline_kernelINS0_14default_configENS1_38merge_sort_block_merge_config_selectorImNS0_10empty_typeEEEZZNS1_27merge_sort_block_merge_implIS3_PmPS5_jNS1_19radix_merge_compareILb0ELb0EmNS0_19identity_decomposerEEEEE10hipError_tT0_T1_T2_jT3_P12ihipStream_tbPNSt15iterator_traitsISE_E10value_typeEPNSK_ISF_E10value_typeEPSG_NS1_7vsmem_tEENKUlT_SE_SF_SG_E_clIS8_S8_S9_S9_EESD_ST_SE_SF_SG_EUlST_E0_NS1_11comp_targetILNS1_3genE10ELNS1_11target_archE1201ELNS1_3gpuE5ELNS1_3repE0EEENS1_38merge_mergepath_config_static_selectorELNS0_4arch9wavefront6targetE0EEEvSF_.num_agpr, 0
	.set _ZN7rocprim17ROCPRIM_400000_NS6detail17trampoline_kernelINS0_14default_configENS1_38merge_sort_block_merge_config_selectorImNS0_10empty_typeEEEZZNS1_27merge_sort_block_merge_implIS3_PmPS5_jNS1_19radix_merge_compareILb0ELb0EmNS0_19identity_decomposerEEEEE10hipError_tT0_T1_T2_jT3_P12ihipStream_tbPNSt15iterator_traitsISE_E10value_typeEPNSK_ISF_E10value_typeEPSG_NS1_7vsmem_tEENKUlT_SE_SF_SG_E_clIS8_S8_S9_S9_EESD_ST_SE_SF_SG_EUlST_E0_NS1_11comp_targetILNS1_3genE10ELNS1_11target_archE1201ELNS1_3gpuE5ELNS1_3repE0EEENS1_38merge_mergepath_config_static_selectorELNS0_4arch9wavefront6targetE0EEEvSF_.numbered_sgpr, 0
	.set _ZN7rocprim17ROCPRIM_400000_NS6detail17trampoline_kernelINS0_14default_configENS1_38merge_sort_block_merge_config_selectorImNS0_10empty_typeEEEZZNS1_27merge_sort_block_merge_implIS3_PmPS5_jNS1_19radix_merge_compareILb0ELb0EmNS0_19identity_decomposerEEEEE10hipError_tT0_T1_T2_jT3_P12ihipStream_tbPNSt15iterator_traitsISE_E10value_typeEPNSK_ISF_E10value_typeEPSG_NS1_7vsmem_tEENKUlT_SE_SF_SG_E_clIS8_S8_S9_S9_EESD_ST_SE_SF_SG_EUlST_E0_NS1_11comp_targetILNS1_3genE10ELNS1_11target_archE1201ELNS1_3gpuE5ELNS1_3repE0EEENS1_38merge_mergepath_config_static_selectorELNS0_4arch9wavefront6targetE0EEEvSF_.num_named_barrier, 0
	.set _ZN7rocprim17ROCPRIM_400000_NS6detail17trampoline_kernelINS0_14default_configENS1_38merge_sort_block_merge_config_selectorImNS0_10empty_typeEEEZZNS1_27merge_sort_block_merge_implIS3_PmPS5_jNS1_19radix_merge_compareILb0ELb0EmNS0_19identity_decomposerEEEEE10hipError_tT0_T1_T2_jT3_P12ihipStream_tbPNSt15iterator_traitsISE_E10value_typeEPNSK_ISF_E10value_typeEPSG_NS1_7vsmem_tEENKUlT_SE_SF_SG_E_clIS8_S8_S9_S9_EESD_ST_SE_SF_SG_EUlST_E0_NS1_11comp_targetILNS1_3genE10ELNS1_11target_archE1201ELNS1_3gpuE5ELNS1_3repE0EEENS1_38merge_mergepath_config_static_selectorELNS0_4arch9wavefront6targetE0EEEvSF_.private_seg_size, 0
	.set _ZN7rocprim17ROCPRIM_400000_NS6detail17trampoline_kernelINS0_14default_configENS1_38merge_sort_block_merge_config_selectorImNS0_10empty_typeEEEZZNS1_27merge_sort_block_merge_implIS3_PmPS5_jNS1_19radix_merge_compareILb0ELb0EmNS0_19identity_decomposerEEEEE10hipError_tT0_T1_T2_jT3_P12ihipStream_tbPNSt15iterator_traitsISE_E10value_typeEPNSK_ISF_E10value_typeEPSG_NS1_7vsmem_tEENKUlT_SE_SF_SG_E_clIS8_S8_S9_S9_EESD_ST_SE_SF_SG_EUlST_E0_NS1_11comp_targetILNS1_3genE10ELNS1_11target_archE1201ELNS1_3gpuE5ELNS1_3repE0EEENS1_38merge_mergepath_config_static_selectorELNS0_4arch9wavefront6targetE0EEEvSF_.uses_vcc, 0
	.set _ZN7rocprim17ROCPRIM_400000_NS6detail17trampoline_kernelINS0_14default_configENS1_38merge_sort_block_merge_config_selectorImNS0_10empty_typeEEEZZNS1_27merge_sort_block_merge_implIS3_PmPS5_jNS1_19radix_merge_compareILb0ELb0EmNS0_19identity_decomposerEEEEE10hipError_tT0_T1_T2_jT3_P12ihipStream_tbPNSt15iterator_traitsISE_E10value_typeEPNSK_ISF_E10value_typeEPSG_NS1_7vsmem_tEENKUlT_SE_SF_SG_E_clIS8_S8_S9_S9_EESD_ST_SE_SF_SG_EUlST_E0_NS1_11comp_targetILNS1_3genE10ELNS1_11target_archE1201ELNS1_3gpuE5ELNS1_3repE0EEENS1_38merge_mergepath_config_static_selectorELNS0_4arch9wavefront6targetE0EEEvSF_.uses_flat_scratch, 0
	.set _ZN7rocprim17ROCPRIM_400000_NS6detail17trampoline_kernelINS0_14default_configENS1_38merge_sort_block_merge_config_selectorImNS0_10empty_typeEEEZZNS1_27merge_sort_block_merge_implIS3_PmPS5_jNS1_19radix_merge_compareILb0ELb0EmNS0_19identity_decomposerEEEEE10hipError_tT0_T1_T2_jT3_P12ihipStream_tbPNSt15iterator_traitsISE_E10value_typeEPNSK_ISF_E10value_typeEPSG_NS1_7vsmem_tEENKUlT_SE_SF_SG_E_clIS8_S8_S9_S9_EESD_ST_SE_SF_SG_EUlST_E0_NS1_11comp_targetILNS1_3genE10ELNS1_11target_archE1201ELNS1_3gpuE5ELNS1_3repE0EEENS1_38merge_mergepath_config_static_selectorELNS0_4arch9wavefront6targetE0EEEvSF_.has_dyn_sized_stack, 0
	.set _ZN7rocprim17ROCPRIM_400000_NS6detail17trampoline_kernelINS0_14default_configENS1_38merge_sort_block_merge_config_selectorImNS0_10empty_typeEEEZZNS1_27merge_sort_block_merge_implIS3_PmPS5_jNS1_19radix_merge_compareILb0ELb0EmNS0_19identity_decomposerEEEEE10hipError_tT0_T1_T2_jT3_P12ihipStream_tbPNSt15iterator_traitsISE_E10value_typeEPNSK_ISF_E10value_typeEPSG_NS1_7vsmem_tEENKUlT_SE_SF_SG_E_clIS8_S8_S9_S9_EESD_ST_SE_SF_SG_EUlST_E0_NS1_11comp_targetILNS1_3genE10ELNS1_11target_archE1201ELNS1_3gpuE5ELNS1_3repE0EEENS1_38merge_mergepath_config_static_selectorELNS0_4arch9wavefront6targetE0EEEvSF_.has_recursion, 0
	.set _ZN7rocprim17ROCPRIM_400000_NS6detail17trampoline_kernelINS0_14default_configENS1_38merge_sort_block_merge_config_selectorImNS0_10empty_typeEEEZZNS1_27merge_sort_block_merge_implIS3_PmPS5_jNS1_19radix_merge_compareILb0ELb0EmNS0_19identity_decomposerEEEEE10hipError_tT0_T1_T2_jT3_P12ihipStream_tbPNSt15iterator_traitsISE_E10value_typeEPNSK_ISF_E10value_typeEPSG_NS1_7vsmem_tEENKUlT_SE_SF_SG_E_clIS8_S8_S9_S9_EESD_ST_SE_SF_SG_EUlST_E0_NS1_11comp_targetILNS1_3genE10ELNS1_11target_archE1201ELNS1_3gpuE5ELNS1_3repE0EEENS1_38merge_mergepath_config_static_selectorELNS0_4arch9wavefront6targetE0EEEvSF_.has_indirect_call, 0
	.section	.AMDGPU.csdata,"",@progbits
; Kernel info:
; codeLenInByte = 0
; TotalNumSgprs: 0
; NumVgprs: 0
; ScratchSize: 0
; MemoryBound: 0
; FloatMode: 240
; IeeeMode: 1
; LDSByteSize: 0 bytes/workgroup (compile time only)
; SGPRBlocks: 0
; VGPRBlocks: 0
; NumSGPRsForWavesPerEU: 1
; NumVGPRsForWavesPerEU: 1
; NamedBarCnt: 0
; Occupancy: 16
; WaveLimiterHint : 0
; COMPUTE_PGM_RSRC2:SCRATCH_EN: 0
; COMPUTE_PGM_RSRC2:USER_SGPR: 2
; COMPUTE_PGM_RSRC2:TRAP_HANDLER: 0
; COMPUTE_PGM_RSRC2:TGID_X_EN: 1
; COMPUTE_PGM_RSRC2:TGID_Y_EN: 0
; COMPUTE_PGM_RSRC2:TGID_Z_EN: 0
; COMPUTE_PGM_RSRC2:TIDIG_COMP_CNT: 0
	.section	.text._ZN7rocprim17ROCPRIM_400000_NS6detail17trampoline_kernelINS0_14default_configENS1_38merge_sort_block_merge_config_selectorImNS0_10empty_typeEEEZZNS1_27merge_sort_block_merge_implIS3_PmPS5_jNS1_19radix_merge_compareILb0ELb0EmNS0_19identity_decomposerEEEEE10hipError_tT0_T1_T2_jT3_P12ihipStream_tbPNSt15iterator_traitsISE_E10value_typeEPNSK_ISF_E10value_typeEPSG_NS1_7vsmem_tEENKUlT_SE_SF_SG_E_clIS8_S8_S9_S9_EESD_ST_SE_SF_SG_EUlST_E0_NS1_11comp_targetILNS1_3genE5ELNS1_11target_archE942ELNS1_3gpuE9ELNS1_3repE0EEENS1_38merge_mergepath_config_static_selectorELNS0_4arch9wavefront6targetE0EEEvSF_,"axG",@progbits,_ZN7rocprim17ROCPRIM_400000_NS6detail17trampoline_kernelINS0_14default_configENS1_38merge_sort_block_merge_config_selectorImNS0_10empty_typeEEEZZNS1_27merge_sort_block_merge_implIS3_PmPS5_jNS1_19radix_merge_compareILb0ELb0EmNS0_19identity_decomposerEEEEE10hipError_tT0_T1_T2_jT3_P12ihipStream_tbPNSt15iterator_traitsISE_E10value_typeEPNSK_ISF_E10value_typeEPSG_NS1_7vsmem_tEENKUlT_SE_SF_SG_E_clIS8_S8_S9_S9_EESD_ST_SE_SF_SG_EUlST_E0_NS1_11comp_targetILNS1_3genE5ELNS1_11target_archE942ELNS1_3gpuE9ELNS1_3repE0EEENS1_38merge_mergepath_config_static_selectorELNS0_4arch9wavefront6targetE0EEEvSF_,comdat
	.protected	_ZN7rocprim17ROCPRIM_400000_NS6detail17trampoline_kernelINS0_14default_configENS1_38merge_sort_block_merge_config_selectorImNS0_10empty_typeEEEZZNS1_27merge_sort_block_merge_implIS3_PmPS5_jNS1_19radix_merge_compareILb0ELb0EmNS0_19identity_decomposerEEEEE10hipError_tT0_T1_T2_jT3_P12ihipStream_tbPNSt15iterator_traitsISE_E10value_typeEPNSK_ISF_E10value_typeEPSG_NS1_7vsmem_tEENKUlT_SE_SF_SG_E_clIS8_S8_S9_S9_EESD_ST_SE_SF_SG_EUlST_E0_NS1_11comp_targetILNS1_3genE5ELNS1_11target_archE942ELNS1_3gpuE9ELNS1_3repE0EEENS1_38merge_mergepath_config_static_selectorELNS0_4arch9wavefront6targetE0EEEvSF_ ; -- Begin function _ZN7rocprim17ROCPRIM_400000_NS6detail17trampoline_kernelINS0_14default_configENS1_38merge_sort_block_merge_config_selectorImNS0_10empty_typeEEEZZNS1_27merge_sort_block_merge_implIS3_PmPS5_jNS1_19radix_merge_compareILb0ELb0EmNS0_19identity_decomposerEEEEE10hipError_tT0_T1_T2_jT3_P12ihipStream_tbPNSt15iterator_traitsISE_E10value_typeEPNSK_ISF_E10value_typeEPSG_NS1_7vsmem_tEENKUlT_SE_SF_SG_E_clIS8_S8_S9_S9_EESD_ST_SE_SF_SG_EUlST_E0_NS1_11comp_targetILNS1_3genE5ELNS1_11target_archE942ELNS1_3gpuE9ELNS1_3repE0EEENS1_38merge_mergepath_config_static_selectorELNS0_4arch9wavefront6targetE0EEEvSF_
	.globl	_ZN7rocprim17ROCPRIM_400000_NS6detail17trampoline_kernelINS0_14default_configENS1_38merge_sort_block_merge_config_selectorImNS0_10empty_typeEEEZZNS1_27merge_sort_block_merge_implIS3_PmPS5_jNS1_19radix_merge_compareILb0ELb0EmNS0_19identity_decomposerEEEEE10hipError_tT0_T1_T2_jT3_P12ihipStream_tbPNSt15iterator_traitsISE_E10value_typeEPNSK_ISF_E10value_typeEPSG_NS1_7vsmem_tEENKUlT_SE_SF_SG_E_clIS8_S8_S9_S9_EESD_ST_SE_SF_SG_EUlST_E0_NS1_11comp_targetILNS1_3genE5ELNS1_11target_archE942ELNS1_3gpuE9ELNS1_3repE0EEENS1_38merge_mergepath_config_static_selectorELNS0_4arch9wavefront6targetE0EEEvSF_
	.p2align	8
	.type	_ZN7rocprim17ROCPRIM_400000_NS6detail17trampoline_kernelINS0_14default_configENS1_38merge_sort_block_merge_config_selectorImNS0_10empty_typeEEEZZNS1_27merge_sort_block_merge_implIS3_PmPS5_jNS1_19radix_merge_compareILb0ELb0EmNS0_19identity_decomposerEEEEE10hipError_tT0_T1_T2_jT3_P12ihipStream_tbPNSt15iterator_traitsISE_E10value_typeEPNSK_ISF_E10value_typeEPSG_NS1_7vsmem_tEENKUlT_SE_SF_SG_E_clIS8_S8_S9_S9_EESD_ST_SE_SF_SG_EUlST_E0_NS1_11comp_targetILNS1_3genE5ELNS1_11target_archE942ELNS1_3gpuE9ELNS1_3repE0EEENS1_38merge_mergepath_config_static_selectorELNS0_4arch9wavefront6targetE0EEEvSF_,@function
_ZN7rocprim17ROCPRIM_400000_NS6detail17trampoline_kernelINS0_14default_configENS1_38merge_sort_block_merge_config_selectorImNS0_10empty_typeEEEZZNS1_27merge_sort_block_merge_implIS3_PmPS5_jNS1_19radix_merge_compareILb0ELb0EmNS0_19identity_decomposerEEEEE10hipError_tT0_T1_T2_jT3_P12ihipStream_tbPNSt15iterator_traitsISE_E10value_typeEPNSK_ISF_E10value_typeEPSG_NS1_7vsmem_tEENKUlT_SE_SF_SG_E_clIS8_S8_S9_S9_EESD_ST_SE_SF_SG_EUlST_E0_NS1_11comp_targetILNS1_3genE5ELNS1_11target_archE942ELNS1_3gpuE9ELNS1_3repE0EEENS1_38merge_mergepath_config_static_selectorELNS0_4arch9wavefront6targetE0EEEvSF_: ; @_ZN7rocprim17ROCPRIM_400000_NS6detail17trampoline_kernelINS0_14default_configENS1_38merge_sort_block_merge_config_selectorImNS0_10empty_typeEEEZZNS1_27merge_sort_block_merge_implIS3_PmPS5_jNS1_19radix_merge_compareILb0ELb0EmNS0_19identity_decomposerEEEEE10hipError_tT0_T1_T2_jT3_P12ihipStream_tbPNSt15iterator_traitsISE_E10value_typeEPNSK_ISF_E10value_typeEPSG_NS1_7vsmem_tEENKUlT_SE_SF_SG_E_clIS8_S8_S9_S9_EESD_ST_SE_SF_SG_EUlST_E0_NS1_11comp_targetILNS1_3genE5ELNS1_11target_archE942ELNS1_3gpuE9ELNS1_3repE0EEENS1_38merge_mergepath_config_static_selectorELNS0_4arch9wavefront6targetE0EEEvSF_
; %bb.0:
	.section	.rodata,"a",@progbits
	.p2align	6, 0x0
	.amdhsa_kernel _ZN7rocprim17ROCPRIM_400000_NS6detail17trampoline_kernelINS0_14default_configENS1_38merge_sort_block_merge_config_selectorImNS0_10empty_typeEEEZZNS1_27merge_sort_block_merge_implIS3_PmPS5_jNS1_19radix_merge_compareILb0ELb0EmNS0_19identity_decomposerEEEEE10hipError_tT0_T1_T2_jT3_P12ihipStream_tbPNSt15iterator_traitsISE_E10value_typeEPNSK_ISF_E10value_typeEPSG_NS1_7vsmem_tEENKUlT_SE_SF_SG_E_clIS8_S8_S9_S9_EESD_ST_SE_SF_SG_EUlST_E0_NS1_11comp_targetILNS1_3genE5ELNS1_11target_archE942ELNS1_3gpuE9ELNS1_3repE0EEENS1_38merge_mergepath_config_static_selectorELNS0_4arch9wavefront6targetE0EEEvSF_
		.amdhsa_group_segment_fixed_size 0
		.amdhsa_private_segment_fixed_size 0
		.amdhsa_kernarg_size 64
		.amdhsa_user_sgpr_count 2
		.amdhsa_user_sgpr_dispatch_ptr 0
		.amdhsa_user_sgpr_queue_ptr 0
		.amdhsa_user_sgpr_kernarg_segment_ptr 1
		.amdhsa_user_sgpr_dispatch_id 0
		.amdhsa_user_sgpr_kernarg_preload_length 0
		.amdhsa_user_sgpr_kernarg_preload_offset 0
		.amdhsa_user_sgpr_private_segment_size 0
		.amdhsa_wavefront_size32 1
		.amdhsa_uses_dynamic_stack 0
		.amdhsa_enable_private_segment 0
		.amdhsa_system_sgpr_workgroup_id_x 1
		.amdhsa_system_sgpr_workgroup_id_y 0
		.amdhsa_system_sgpr_workgroup_id_z 0
		.amdhsa_system_sgpr_workgroup_info 0
		.amdhsa_system_vgpr_workitem_id 0
		.amdhsa_next_free_vgpr 1
		.amdhsa_next_free_sgpr 1
		.amdhsa_named_barrier_count 0
		.amdhsa_reserve_vcc 0
		.amdhsa_float_round_mode_32 0
		.amdhsa_float_round_mode_16_64 0
		.amdhsa_float_denorm_mode_32 3
		.amdhsa_float_denorm_mode_16_64 3
		.amdhsa_fp16_overflow 0
		.amdhsa_memory_ordered 1
		.amdhsa_forward_progress 1
		.amdhsa_inst_pref_size 0
		.amdhsa_round_robin_scheduling 0
		.amdhsa_exception_fp_ieee_invalid_op 0
		.amdhsa_exception_fp_denorm_src 0
		.amdhsa_exception_fp_ieee_div_zero 0
		.amdhsa_exception_fp_ieee_overflow 0
		.amdhsa_exception_fp_ieee_underflow 0
		.amdhsa_exception_fp_ieee_inexact 0
		.amdhsa_exception_int_div_zero 0
	.end_amdhsa_kernel
	.section	.text._ZN7rocprim17ROCPRIM_400000_NS6detail17trampoline_kernelINS0_14default_configENS1_38merge_sort_block_merge_config_selectorImNS0_10empty_typeEEEZZNS1_27merge_sort_block_merge_implIS3_PmPS5_jNS1_19radix_merge_compareILb0ELb0EmNS0_19identity_decomposerEEEEE10hipError_tT0_T1_T2_jT3_P12ihipStream_tbPNSt15iterator_traitsISE_E10value_typeEPNSK_ISF_E10value_typeEPSG_NS1_7vsmem_tEENKUlT_SE_SF_SG_E_clIS8_S8_S9_S9_EESD_ST_SE_SF_SG_EUlST_E0_NS1_11comp_targetILNS1_3genE5ELNS1_11target_archE942ELNS1_3gpuE9ELNS1_3repE0EEENS1_38merge_mergepath_config_static_selectorELNS0_4arch9wavefront6targetE0EEEvSF_,"axG",@progbits,_ZN7rocprim17ROCPRIM_400000_NS6detail17trampoline_kernelINS0_14default_configENS1_38merge_sort_block_merge_config_selectorImNS0_10empty_typeEEEZZNS1_27merge_sort_block_merge_implIS3_PmPS5_jNS1_19radix_merge_compareILb0ELb0EmNS0_19identity_decomposerEEEEE10hipError_tT0_T1_T2_jT3_P12ihipStream_tbPNSt15iterator_traitsISE_E10value_typeEPNSK_ISF_E10value_typeEPSG_NS1_7vsmem_tEENKUlT_SE_SF_SG_E_clIS8_S8_S9_S9_EESD_ST_SE_SF_SG_EUlST_E0_NS1_11comp_targetILNS1_3genE5ELNS1_11target_archE942ELNS1_3gpuE9ELNS1_3repE0EEENS1_38merge_mergepath_config_static_selectorELNS0_4arch9wavefront6targetE0EEEvSF_,comdat
.Lfunc_end2935:
	.size	_ZN7rocprim17ROCPRIM_400000_NS6detail17trampoline_kernelINS0_14default_configENS1_38merge_sort_block_merge_config_selectorImNS0_10empty_typeEEEZZNS1_27merge_sort_block_merge_implIS3_PmPS5_jNS1_19radix_merge_compareILb0ELb0EmNS0_19identity_decomposerEEEEE10hipError_tT0_T1_T2_jT3_P12ihipStream_tbPNSt15iterator_traitsISE_E10value_typeEPNSK_ISF_E10value_typeEPSG_NS1_7vsmem_tEENKUlT_SE_SF_SG_E_clIS8_S8_S9_S9_EESD_ST_SE_SF_SG_EUlST_E0_NS1_11comp_targetILNS1_3genE5ELNS1_11target_archE942ELNS1_3gpuE9ELNS1_3repE0EEENS1_38merge_mergepath_config_static_selectorELNS0_4arch9wavefront6targetE0EEEvSF_, .Lfunc_end2935-_ZN7rocprim17ROCPRIM_400000_NS6detail17trampoline_kernelINS0_14default_configENS1_38merge_sort_block_merge_config_selectorImNS0_10empty_typeEEEZZNS1_27merge_sort_block_merge_implIS3_PmPS5_jNS1_19radix_merge_compareILb0ELb0EmNS0_19identity_decomposerEEEEE10hipError_tT0_T1_T2_jT3_P12ihipStream_tbPNSt15iterator_traitsISE_E10value_typeEPNSK_ISF_E10value_typeEPSG_NS1_7vsmem_tEENKUlT_SE_SF_SG_E_clIS8_S8_S9_S9_EESD_ST_SE_SF_SG_EUlST_E0_NS1_11comp_targetILNS1_3genE5ELNS1_11target_archE942ELNS1_3gpuE9ELNS1_3repE0EEENS1_38merge_mergepath_config_static_selectorELNS0_4arch9wavefront6targetE0EEEvSF_
                                        ; -- End function
	.set _ZN7rocprim17ROCPRIM_400000_NS6detail17trampoline_kernelINS0_14default_configENS1_38merge_sort_block_merge_config_selectorImNS0_10empty_typeEEEZZNS1_27merge_sort_block_merge_implIS3_PmPS5_jNS1_19radix_merge_compareILb0ELb0EmNS0_19identity_decomposerEEEEE10hipError_tT0_T1_T2_jT3_P12ihipStream_tbPNSt15iterator_traitsISE_E10value_typeEPNSK_ISF_E10value_typeEPSG_NS1_7vsmem_tEENKUlT_SE_SF_SG_E_clIS8_S8_S9_S9_EESD_ST_SE_SF_SG_EUlST_E0_NS1_11comp_targetILNS1_3genE5ELNS1_11target_archE942ELNS1_3gpuE9ELNS1_3repE0EEENS1_38merge_mergepath_config_static_selectorELNS0_4arch9wavefront6targetE0EEEvSF_.num_vgpr, 0
	.set _ZN7rocprim17ROCPRIM_400000_NS6detail17trampoline_kernelINS0_14default_configENS1_38merge_sort_block_merge_config_selectorImNS0_10empty_typeEEEZZNS1_27merge_sort_block_merge_implIS3_PmPS5_jNS1_19radix_merge_compareILb0ELb0EmNS0_19identity_decomposerEEEEE10hipError_tT0_T1_T2_jT3_P12ihipStream_tbPNSt15iterator_traitsISE_E10value_typeEPNSK_ISF_E10value_typeEPSG_NS1_7vsmem_tEENKUlT_SE_SF_SG_E_clIS8_S8_S9_S9_EESD_ST_SE_SF_SG_EUlST_E0_NS1_11comp_targetILNS1_3genE5ELNS1_11target_archE942ELNS1_3gpuE9ELNS1_3repE0EEENS1_38merge_mergepath_config_static_selectorELNS0_4arch9wavefront6targetE0EEEvSF_.num_agpr, 0
	.set _ZN7rocprim17ROCPRIM_400000_NS6detail17trampoline_kernelINS0_14default_configENS1_38merge_sort_block_merge_config_selectorImNS0_10empty_typeEEEZZNS1_27merge_sort_block_merge_implIS3_PmPS5_jNS1_19radix_merge_compareILb0ELb0EmNS0_19identity_decomposerEEEEE10hipError_tT0_T1_T2_jT3_P12ihipStream_tbPNSt15iterator_traitsISE_E10value_typeEPNSK_ISF_E10value_typeEPSG_NS1_7vsmem_tEENKUlT_SE_SF_SG_E_clIS8_S8_S9_S9_EESD_ST_SE_SF_SG_EUlST_E0_NS1_11comp_targetILNS1_3genE5ELNS1_11target_archE942ELNS1_3gpuE9ELNS1_3repE0EEENS1_38merge_mergepath_config_static_selectorELNS0_4arch9wavefront6targetE0EEEvSF_.numbered_sgpr, 0
	.set _ZN7rocprim17ROCPRIM_400000_NS6detail17trampoline_kernelINS0_14default_configENS1_38merge_sort_block_merge_config_selectorImNS0_10empty_typeEEEZZNS1_27merge_sort_block_merge_implIS3_PmPS5_jNS1_19radix_merge_compareILb0ELb0EmNS0_19identity_decomposerEEEEE10hipError_tT0_T1_T2_jT3_P12ihipStream_tbPNSt15iterator_traitsISE_E10value_typeEPNSK_ISF_E10value_typeEPSG_NS1_7vsmem_tEENKUlT_SE_SF_SG_E_clIS8_S8_S9_S9_EESD_ST_SE_SF_SG_EUlST_E0_NS1_11comp_targetILNS1_3genE5ELNS1_11target_archE942ELNS1_3gpuE9ELNS1_3repE0EEENS1_38merge_mergepath_config_static_selectorELNS0_4arch9wavefront6targetE0EEEvSF_.num_named_barrier, 0
	.set _ZN7rocprim17ROCPRIM_400000_NS6detail17trampoline_kernelINS0_14default_configENS1_38merge_sort_block_merge_config_selectorImNS0_10empty_typeEEEZZNS1_27merge_sort_block_merge_implIS3_PmPS5_jNS1_19radix_merge_compareILb0ELb0EmNS0_19identity_decomposerEEEEE10hipError_tT0_T1_T2_jT3_P12ihipStream_tbPNSt15iterator_traitsISE_E10value_typeEPNSK_ISF_E10value_typeEPSG_NS1_7vsmem_tEENKUlT_SE_SF_SG_E_clIS8_S8_S9_S9_EESD_ST_SE_SF_SG_EUlST_E0_NS1_11comp_targetILNS1_3genE5ELNS1_11target_archE942ELNS1_3gpuE9ELNS1_3repE0EEENS1_38merge_mergepath_config_static_selectorELNS0_4arch9wavefront6targetE0EEEvSF_.private_seg_size, 0
	.set _ZN7rocprim17ROCPRIM_400000_NS6detail17trampoline_kernelINS0_14default_configENS1_38merge_sort_block_merge_config_selectorImNS0_10empty_typeEEEZZNS1_27merge_sort_block_merge_implIS3_PmPS5_jNS1_19radix_merge_compareILb0ELb0EmNS0_19identity_decomposerEEEEE10hipError_tT0_T1_T2_jT3_P12ihipStream_tbPNSt15iterator_traitsISE_E10value_typeEPNSK_ISF_E10value_typeEPSG_NS1_7vsmem_tEENKUlT_SE_SF_SG_E_clIS8_S8_S9_S9_EESD_ST_SE_SF_SG_EUlST_E0_NS1_11comp_targetILNS1_3genE5ELNS1_11target_archE942ELNS1_3gpuE9ELNS1_3repE0EEENS1_38merge_mergepath_config_static_selectorELNS0_4arch9wavefront6targetE0EEEvSF_.uses_vcc, 0
	.set _ZN7rocprim17ROCPRIM_400000_NS6detail17trampoline_kernelINS0_14default_configENS1_38merge_sort_block_merge_config_selectorImNS0_10empty_typeEEEZZNS1_27merge_sort_block_merge_implIS3_PmPS5_jNS1_19radix_merge_compareILb0ELb0EmNS0_19identity_decomposerEEEEE10hipError_tT0_T1_T2_jT3_P12ihipStream_tbPNSt15iterator_traitsISE_E10value_typeEPNSK_ISF_E10value_typeEPSG_NS1_7vsmem_tEENKUlT_SE_SF_SG_E_clIS8_S8_S9_S9_EESD_ST_SE_SF_SG_EUlST_E0_NS1_11comp_targetILNS1_3genE5ELNS1_11target_archE942ELNS1_3gpuE9ELNS1_3repE0EEENS1_38merge_mergepath_config_static_selectorELNS0_4arch9wavefront6targetE0EEEvSF_.uses_flat_scratch, 0
	.set _ZN7rocprim17ROCPRIM_400000_NS6detail17trampoline_kernelINS0_14default_configENS1_38merge_sort_block_merge_config_selectorImNS0_10empty_typeEEEZZNS1_27merge_sort_block_merge_implIS3_PmPS5_jNS1_19radix_merge_compareILb0ELb0EmNS0_19identity_decomposerEEEEE10hipError_tT0_T1_T2_jT3_P12ihipStream_tbPNSt15iterator_traitsISE_E10value_typeEPNSK_ISF_E10value_typeEPSG_NS1_7vsmem_tEENKUlT_SE_SF_SG_E_clIS8_S8_S9_S9_EESD_ST_SE_SF_SG_EUlST_E0_NS1_11comp_targetILNS1_3genE5ELNS1_11target_archE942ELNS1_3gpuE9ELNS1_3repE0EEENS1_38merge_mergepath_config_static_selectorELNS0_4arch9wavefront6targetE0EEEvSF_.has_dyn_sized_stack, 0
	.set _ZN7rocprim17ROCPRIM_400000_NS6detail17trampoline_kernelINS0_14default_configENS1_38merge_sort_block_merge_config_selectorImNS0_10empty_typeEEEZZNS1_27merge_sort_block_merge_implIS3_PmPS5_jNS1_19radix_merge_compareILb0ELb0EmNS0_19identity_decomposerEEEEE10hipError_tT0_T1_T2_jT3_P12ihipStream_tbPNSt15iterator_traitsISE_E10value_typeEPNSK_ISF_E10value_typeEPSG_NS1_7vsmem_tEENKUlT_SE_SF_SG_E_clIS8_S8_S9_S9_EESD_ST_SE_SF_SG_EUlST_E0_NS1_11comp_targetILNS1_3genE5ELNS1_11target_archE942ELNS1_3gpuE9ELNS1_3repE0EEENS1_38merge_mergepath_config_static_selectorELNS0_4arch9wavefront6targetE0EEEvSF_.has_recursion, 0
	.set _ZN7rocprim17ROCPRIM_400000_NS6detail17trampoline_kernelINS0_14default_configENS1_38merge_sort_block_merge_config_selectorImNS0_10empty_typeEEEZZNS1_27merge_sort_block_merge_implIS3_PmPS5_jNS1_19radix_merge_compareILb0ELb0EmNS0_19identity_decomposerEEEEE10hipError_tT0_T1_T2_jT3_P12ihipStream_tbPNSt15iterator_traitsISE_E10value_typeEPNSK_ISF_E10value_typeEPSG_NS1_7vsmem_tEENKUlT_SE_SF_SG_E_clIS8_S8_S9_S9_EESD_ST_SE_SF_SG_EUlST_E0_NS1_11comp_targetILNS1_3genE5ELNS1_11target_archE942ELNS1_3gpuE9ELNS1_3repE0EEENS1_38merge_mergepath_config_static_selectorELNS0_4arch9wavefront6targetE0EEEvSF_.has_indirect_call, 0
	.section	.AMDGPU.csdata,"",@progbits
; Kernel info:
; codeLenInByte = 0
; TotalNumSgprs: 0
; NumVgprs: 0
; ScratchSize: 0
; MemoryBound: 0
; FloatMode: 240
; IeeeMode: 1
; LDSByteSize: 0 bytes/workgroup (compile time only)
; SGPRBlocks: 0
; VGPRBlocks: 0
; NumSGPRsForWavesPerEU: 1
; NumVGPRsForWavesPerEU: 1
; NamedBarCnt: 0
; Occupancy: 16
; WaveLimiterHint : 0
; COMPUTE_PGM_RSRC2:SCRATCH_EN: 0
; COMPUTE_PGM_RSRC2:USER_SGPR: 2
; COMPUTE_PGM_RSRC2:TRAP_HANDLER: 0
; COMPUTE_PGM_RSRC2:TGID_X_EN: 1
; COMPUTE_PGM_RSRC2:TGID_Y_EN: 0
; COMPUTE_PGM_RSRC2:TGID_Z_EN: 0
; COMPUTE_PGM_RSRC2:TIDIG_COMP_CNT: 0
	.section	.text._ZN7rocprim17ROCPRIM_400000_NS6detail17trampoline_kernelINS0_14default_configENS1_38merge_sort_block_merge_config_selectorImNS0_10empty_typeEEEZZNS1_27merge_sort_block_merge_implIS3_PmPS5_jNS1_19radix_merge_compareILb0ELb0EmNS0_19identity_decomposerEEEEE10hipError_tT0_T1_T2_jT3_P12ihipStream_tbPNSt15iterator_traitsISE_E10value_typeEPNSK_ISF_E10value_typeEPSG_NS1_7vsmem_tEENKUlT_SE_SF_SG_E_clIS8_S8_S9_S9_EESD_ST_SE_SF_SG_EUlST_E0_NS1_11comp_targetILNS1_3genE4ELNS1_11target_archE910ELNS1_3gpuE8ELNS1_3repE0EEENS1_38merge_mergepath_config_static_selectorELNS0_4arch9wavefront6targetE0EEEvSF_,"axG",@progbits,_ZN7rocprim17ROCPRIM_400000_NS6detail17trampoline_kernelINS0_14default_configENS1_38merge_sort_block_merge_config_selectorImNS0_10empty_typeEEEZZNS1_27merge_sort_block_merge_implIS3_PmPS5_jNS1_19radix_merge_compareILb0ELb0EmNS0_19identity_decomposerEEEEE10hipError_tT0_T1_T2_jT3_P12ihipStream_tbPNSt15iterator_traitsISE_E10value_typeEPNSK_ISF_E10value_typeEPSG_NS1_7vsmem_tEENKUlT_SE_SF_SG_E_clIS8_S8_S9_S9_EESD_ST_SE_SF_SG_EUlST_E0_NS1_11comp_targetILNS1_3genE4ELNS1_11target_archE910ELNS1_3gpuE8ELNS1_3repE0EEENS1_38merge_mergepath_config_static_selectorELNS0_4arch9wavefront6targetE0EEEvSF_,comdat
	.protected	_ZN7rocprim17ROCPRIM_400000_NS6detail17trampoline_kernelINS0_14default_configENS1_38merge_sort_block_merge_config_selectorImNS0_10empty_typeEEEZZNS1_27merge_sort_block_merge_implIS3_PmPS5_jNS1_19radix_merge_compareILb0ELb0EmNS0_19identity_decomposerEEEEE10hipError_tT0_T1_T2_jT3_P12ihipStream_tbPNSt15iterator_traitsISE_E10value_typeEPNSK_ISF_E10value_typeEPSG_NS1_7vsmem_tEENKUlT_SE_SF_SG_E_clIS8_S8_S9_S9_EESD_ST_SE_SF_SG_EUlST_E0_NS1_11comp_targetILNS1_3genE4ELNS1_11target_archE910ELNS1_3gpuE8ELNS1_3repE0EEENS1_38merge_mergepath_config_static_selectorELNS0_4arch9wavefront6targetE0EEEvSF_ ; -- Begin function _ZN7rocprim17ROCPRIM_400000_NS6detail17trampoline_kernelINS0_14default_configENS1_38merge_sort_block_merge_config_selectorImNS0_10empty_typeEEEZZNS1_27merge_sort_block_merge_implIS3_PmPS5_jNS1_19radix_merge_compareILb0ELb0EmNS0_19identity_decomposerEEEEE10hipError_tT0_T1_T2_jT3_P12ihipStream_tbPNSt15iterator_traitsISE_E10value_typeEPNSK_ISF_E10value_typeEPSG_NS1_7vsmem_tEENKUlT_SE_SF_SG_E_clIS8_S8_S9_S9_EESD_ST_SE_SF_SG_EUlST_E0_NS1_11comp_targetILNS1_3genE4ELNS1_11target_archE910ELNS1_3gpuE8ELNS1_3repE0EEENS1_38merge_mergepath_config_static_selectorELNS0_4arch9wavefront6targetE0EEEvSF_
	.globl	_ZN7rocprim17ROCPRIM_400000_NS6detail17trampoline_kernelINS0_14default_configENS1_38merge_sort_block_merge_config_selectorImNS0_10empty_typeEEEZZNS1_27merge_sort_block_merge_implIS3_PmPS5_jNS1_19radix_merge_compareILb0ELb0EmNS0_19identity_decomposerEEEEE10hipError_tT0_T1_T2_jT3_P12ihipStream_tbPNSt15iterator_traitsISE_E10value_typeEPNSK_ISF_E10value_typeEPSG_NS1_7vsmem_tEENKUlT_SE_SF_SG_E_clIS8_S8_S9_S9_EESD_ST_SE_SF_SG_EUlST_E0_NS1_11comp_targetILNS1_3genE4ELNS1_11target_archE910ELNS1_3gpuE8ELNS1_3repE0EEENS1_38merge_mergepath_config_static_selectorELNS0_4arch9wavefront6targetE0EEEvSF_
	.p2align	8
	.type	_ZN7rocprim17ROCPRIM_400000_NS6detail17trampoline_kernelINS0_14default_configENS1_38merge_sort_block_merge_config_selectorImNS0_10empty_typeEEEZZNS1_27merge_sort_block_merge_implIS3_PmPS5_jNS1_19radix_merge_compareILb0ELb0EmNS0_19identity_decomposerEEEEE10hipError_tT0_T1_T2_jT3_P12ihipStream_tbPNSt15iterator_traitsISE_E10value_typeEPNSK_ISF_E10value_typeEPSG_NS1_7vsmem_tEENKUlT_SE_SF_SG_E_clIS8_S8_S9_S9_EESD_ST_SE_SF_SG_EUlST_E0_NS1_11comp_targetILNS1_3genE4ELNS1_11target_archE910ELNS1_3gpuE8ELNS1_3repE0EEENS1_38merge_mergepath_config_static_selectorELNS0_4arch9wavefront6targetE0EEEvSF_,@function
_ZN7rocprim17ROCPRIM_400000_NS6detail17trampoline_kernelINS0_14default_configENS1_38merge_sort_block_merge_config_selectorImNS0_10empty_typeEEEZZNS1_27merge_sort_block_merge_implIS3_PmPS5_jNS1_19radix_merge_compareILb0ELb0EmNS0_19identity_decomposerEEEEE10hipError_tT0_T1_T2_jT3_P12ihipStream_tbPNSt15iterator_traitsISE_E10value_typeEPNSK_ISF_E10value_typeEPSG_NS1_7vsmem_tEENKUlT_SE_SF_SG_E_clIS8_S8_S9_S9_EESD_ST_SE_SF_SG_EUlST_E0_NS1_11comp_targetILNS1_3genE4ELNS1_11target_archE910ELNS1_3gpuE8ELNS1_3repE0EEENS1_38merge_mergepath_config_static_selectorELNS0_4arch9wavefront6targetE0EEEvSF_: ; @_ZN7rocprim17ROCPRIM_400000_NS6detail17trampoline_kernelINS0_14default_configENS1_38merge_sort_block_merge_config_selectorImNS0_10empty_typeEEEZZNS1_27merge_sort_block_merge_implIS3_PmPS5_jNS1_19radix_merge_compareILb0ELb0EmNS0_19identity_decomposerEEEEE10hipError_tT0_T1_T2_jT3_P12ihipStream_tbPNSt15iterator_traitsISE_E10value_typeEPNSK_ISF_E10value_typeEPSG_NS1_7vsmem_tEENKUlT_SE_SF_SG_E_clIS8_S8_S9_S9_EESD_ST_SE_SF_SG_EUlST_E0_NS1_11comp_targetILNS1_3genE4ELNS1_11target_archE910ELNS1_3gpuE8ELNS1_3repE0EEENS1_38merge_mergepath_config_static_selectorELNS0_4arch9wavefront6targetE0EEEvSF_
; %bb.0:
	.section	.rodata,"a",@progbits
	.p2align	6, 0x0
	.amdhsa_kernel _ZN7rocprim17ROCPRIM_400000_NS6detail17trampoline_kernelINS0_14default_configENS1_38merge_sort_block_merge_config_selectorImNS0_10empty_typeEEEZZNS1_27merge_sort_block_merge_implIS3_PmPS5_jNS1_19radix_merge_compareILb0ELb0EmNS0_19identity_decomposerEEEEE10hipError_tT0_T1_T2_jT3_P12ihipStream_tbPNSt15iterator_traitsISE_E10value_typeEPNSK_ISF_E10value_typeEPSG_NS1_7vsmem_tEENKUlT_SE_SF_SG_E_clIS8_S8_S9_S9_EESD_ST_SE_SF_SG_EUlST_E0_NS1_11comp_targetILNS1_3genE4ELNS1_11target_archE910ELNS1_3gpuE8ELNS1_3repE0EEENS1_38merge_mergepath_config_static_selectorELNS0_4arch9wavefront6targetE0EEEvSF_
		.amdhsa_group_segment_fixed_size 0
		.amdhsa_private_segment_fixed_size 0
		.amdhsa_kernarg_size 64
		.amdhsa_user_sgpr_count 2
		.amdhsa_user_sgpr_dispatch_ptr 0
		.amdhsa_user_sgpr_queue_ptr 0
		.amdhsa_user_sgpr_kernarg_segment_ptr 1
		.amdhsa_user_sgpr_dispatch_id 0
		.amdhsa_user_sgpr_kernarg_preload_length 0
		.amdhsa_user_sgpr_kernarg_preload_offset 0
		.amdhsa_user_sgpr_private_segment_size 0
		.amdhsa_wavefront_size32 1
		.amdhsa_uses_dynamic_stack 0
		.amdhsa_enable_private_segment 0
		.amdhsa_system_sgpr_workgroup_id_x 1
		.amdhsa_system_sgpr_workgroup_id_y 0
		.amdhsa_system_sgpr_workgroup_id_z 0
		.amdhsa_system_sgpr_workgroup_info 0
		.amdhsa_system_vgpr_workitem_id 0
		.amdhsa_next_free_vgpr 1
		.amdhsa_next_free_sgpr 1
		.amdhsa_named_barrier_count 0
		.amdhsa_reserve_vcc 0
		.amdhsa_float_round_mode_32 0
		.amdhsa_float_round_mode_16_64 0
		.amdhsa_float_denorm_mode_32 3
		.amdhsa_float_denorm_mode_16_64 3
		.amdhsa_fp16_overflow 0
		.amdhsa_memory_ordered 1
		.amdhsa_forward_progress 1
		.amdhsa_inst_pref_size 0
		.amdhsa_round_robin_scheduling 0
		.amdhsa_exception_fp_ieee_invalid_op 0
		.amdhsa_exception_fp_denorm_src 0
		.amdhsa_exception_fp_ieee_div_zero 0
		.amdhsa_exception_fp_ieee_overflow 0
		.amdhsa_exception_fp_ieee_underflow 0
		.amdhsa_exception_fp_ieee_inexact 0
		.amdhsa_exception_int_div_zero 0
	.end_amdhsa_kernel
	.section	.text._ZN7rocprim17ROCPRIM_400000_NS6detail17trampoline_kernelINS0_14default_configENS1_38merge_sort_block_merge_config_selectorImNS0_10empty_typeEEEZZNS1_27merge_sort_block_merge_implIS3_PmPS5_jNS1_19radix_merge_compareILb0ELb0EmNS0_19identity_decomposerEEEEE10hipError_tT0_T1_T2_jT3_P12ihipStream_tbPNSt15iterator_traitsISE_E10value_typeEPNSK_ISF_E10value_typeEPSG_NS1_7vsmem_tEENKUlT_SE_SF_SG_E_clIS8_S8_S9_S9_EESD_ST_SE_SF_SG_EUlST_E0_NS1_11comp_targetILNS1_3genE4ELNS1_11target_archE910ELNS1_3gpuE8ELNS1_3repE0EEENS1_38merge_mergepath_config_static_selectorELNS0_4arch9wavefront6targetE0EEEvSF_,"axG",@progbits,_ZN7rocprim17ROCPRIM_400000_NS6detail17trampoline_kernelINS0_14default_configENS1_38merge_sort_block_merge_config_selectorImNS0_10empty_typeEEEZZNS1_27merge_sort_block_merge_implIS3_PmPS5_jNS1_19radix_merge_compareILb0ELb0EmNS0_19identity_decomposerEEEEE10hipError_tT0_T1_T2_jT3_P12ihipStream_tbPNSt15iterator_traitsISE_E10value_typeEPNSK_ISF_E10value_typeEPSG_NS1_7vsmem_tEENKUlT_SE_SF_SG_E_clIS8_S8_S9_S9_EESD_ST_SE_SF_SG_EUlST_E0_NS1_11comp_targetILNS1_3genE4ELNS1_11target_archE910ELNS1_3gpuE8ELNS1_3repE0EEENS1_38merge_mergepath_config_static_selectorELNS0_4arch9wavefront6targetE0EEEvSF_,comdat
.Lfunc_end2936:
	.size	_ZN7rocprim17ROCPRIM_400000_NS6detail17trampoline_kernelINS0_14default_configENS1_38merge_sort_block_merge_config_selectorImNS0_10empty_typeEEEZZNS1_27merge_sort_block_merge_implIS3_PmPS5_jNS1_19radix_merge_compareILb0ELb0EmNS0_19identity_decomposerEEEEE10hipError_tT0_T1_T2_jT3_P12ihipStream_tbPNSt15iterator_traitsISE_E10value_typeEPNSK_ISF_E10value_typeEPSG_NS1_7vsmem_tEENKUlT_SE_SF_SG_E_clIS8_S8_S9_S9_EESD_ST_SE_SF_SG_EUlST_E0_NS1_11comp_targetILNS1_3genE4ELNS1_11target_archE910ELNS1_3gpuE8ELNS1_3repE0EEENS1_38merge_mergepath_config_static_selectorELNS0_4arch9wavefront6targetE0EEEvSF_, .Lfunc_end2936-_ZN7rocprim17ROCPRIM_400000_NS6detail17trampoline_kernelINS0_14default_configENS1_38merge_sort_block_merge_config_selectorImNS0_10empty_typeEEEZZNS1_27merge_sort_block_merge_implIS3_PmPS5_jNS1_19radix_merge_compareILb0ELb0EmNS0_19identity_decomposerEEEEE10hipError_tT0_T1_T2_jT3_P12ihipStream_tbPNSt15iterator_traitsISE_E10value_typeEPNSK_ISF_E10value_typeEPSG_NS1_7vsmem_tEENKUlT_SE_SF_SG_E_clIS8_S8_S9_S9_EESD_ST_SE_SF_SG_EUlST_E0_NS1_11comp_targetILNS1_3genE4ELNS1_11target_archE910ELNS1_3gpuE8ELNS1_3repE0EEENS1_38merge_mergepath_config_static_selectorELNS0_4arch9wavefront6targetE0EEEvSF_
                                        ; -- End function
	.set _ZN7rocprim17ROCPRIM_400000_NS6detail17trampoline_kernelINS0_14default_configENS1_38merge_sort_block_merge_config_selectorImNS0_10empty_typeEEEZZNS1_27merge_sort_block_merge_implIS3_PmPS5_jNS1_19radix_merge_compareILb0ELb0EmNS0_19identity_decomposerEEEEE10hipError_tT0_T1_T2_jT3_P12ihipStream_tbPNSt15iterator_traitsISE_E10value_typeEPNSK_ISF_E10value_typeEPSG_NS1_7vsmem_tEENKUlT_SE_SF_SG_E_clIS8_S8_S9_S9_EESD_ST_SE_SF_SG_EUlST_E0_NS1_11comp_targetILNS1_3genE4ELNS1_11target_archE910ELNS1_3gpuE8ELNS1_3repE0EEENS1_38merge_mergepath_config_static_selectorELNS0_4arch9wavefront6targetE0EEEvSF_.num_vgpr, 0
	.set _ZN7rocprim17ROCPRIM_400000_NS6detail17trampoline_kernelINS0_14default_configENS1_38merge_sort_block_merge_config_selectorImNS0_10empty_typeEEEZZNS1_27merge_sort_block_merge_implIS3_PmPS5_jNS1_19radix_merge_compareILb0ELb0EmNS0_19identity_decomposerEEEEE10hipError_tT0_T1_T2_jT3_P12ihipStream_tbPNSt15iterator_traitsISE_E10value_typeEPNSK_ISF_E10value_typeEPSG_NS1_7vsmem_tEENKUlT_SE_SF_SG_E_clIS8_S8_S9_S9_EESD_ST_SE_SF_SG_EUlST_E0_NS1_11comp_targetILNS1_3genE4ELNS1_11target_archE910ELNS1_3gpuE8ELNS1_3repE0EEENS1_38merge_mergepath_config_static_selectorELNS0_4arch9wavefront6targetE0EEEvSF_.num_agpr, 0
	.set _ZN7rocprim17ROCPRIM_400000_NS6detail17trampoline_kernelINS0_14default_configENS1_38merge_sort_block_merge_config_selectorImNS0_10empty_typeEEEZZNS1_27merge_sort_block_merge_implIS3_PmPS5_jNS1_19radix_merge_compareILb0ELb0EmNS0_19identity_decomposerEEEEE10hipError_tT0_T1_T2_jT3_P12ihipStream_tbPNSt15iterator_traitsISE_E10value_typeEPNSK_ISF_E10value_typeEPSG_NS1_7vsmem_tEENKUlT_SE_SF_SG_E_clIS8_S8_S9_S9_EESD_ST_SE_SF_SG_EUlST_E0_NS1_11comp_targetILNS1_3genE4ELNS1_11target_archE910ELNS1_3gpuE8ELNS1_3repE0EEENS1_38merge_mergepath_config_static_selectorELNS0_4arch9wavefront6targetE0EEEvSF_.numbered_sgpr, 0
	.set _ZN7rocprim17ROCPRIM_400000_NS6detail17trampoline_kernelINS0_14default_configENS1_38merge_sort_block_merge_config_selectorImNS0_10empty_typeEEEZZNS1_27merge_sort_block_merge_implIS3_PmPS5_jNS1_19radix_merge_compareILb0ELb0EmNS0_19identity_decomposerEEEEE10hipError_tT0_T1_T2_jT3_P12ihipStream_tbPNSt15iterator_traitsISE_E10value_typeEPNSK_ISF_E10value_typeEPSG_NS1_7vsmem_tEENKUlT_SE_SF_SG_E_clIS8_S8_S9_S9_EESD_ST_SE_SF_SG_EUlST_E0_NS1_11comp_targetILNS1_3genE4ELNS1_11target_archE910ELNS1_3gpuE8ELNS1_3repE0EEENS1_38merge_mergepath_config_static_selectorELNS0_4arch9wavefront6targetE0EEEvSF_.num_named_barrier, 0
	.set _ZN7rocprim17ROCPRIM_400000_NS6detail17trampoline_kernelINS0_14default_configENS1_38merge_sort_block_merge_config_selectorImNS0_10empty_typeEEEZZNS1_27merge_sort_block_merge_implIS3_PmPS5_jNS1_19radix_merge_compareILb0ELb0EmNS0_19identity_decomposerEEEEE10hipError_tT0_T1_T2_jT3_P12ihipStream_tbPNSt15iterator_traitsISE_E10value_typeEPNSK_ISF_E10value_typeEPSG_NS1_7vsmem_tEENKUlT_SE_SF_SG_E_clIS8_S8_S9_S9_EESD_ST_SE_SF_SG_EUlST_E0_NS1_11comp_targetILNS1_3genE4ELNS1_11target_archE910ELNS1_3gpuE8ELNS1_3repE0EEENS1_38merge_mergepath_config_static_selectorELNS0_4arch9wavefront6targetE0EEEvSF_.private_seg_size, 0
	.set _ZN7rocprim17ROCPRIM_400000_NS6detail17trampoline_kernelINS0_14default_configENS1_38merge_sort_block_merge_config_selectorImNS0_10empty_typeEEEZZNS1_27merge_sort_block_merge_implIS3_PmPS5_jNS1_19radix_merge_compareILb0ELb0EmNS0_19identity_decomposerEEEEE10hipError_tT0_T1_T2_jT3_P12ihipStream_tbPNSt15iterator_traitsISE_E10value_typeEPNSK_ISF_E10value_typeEPSG_NS1_7vsmem_tEENKUlT_SE_SF_SG_E_clIS8_S8_S9_S9_EESD_ST_SE_SF_SG_EUlST_E0_NS1_11comp_targetILNS1_3genE4ELNS1_11target_archE910ELNS1_3gpuE8ELNS1_3repE0EEENS1_38merge_mergepath_config_static_selectorELNS0_4arch9wavefront6targetE0EEEvSF_.uses_vcc, 0
	.set _ZN7rocprim17ROCPRIM_400000_NS6detail17trampoline_kernelINS0_14default_configENS1_38merge_sort_block_merge_config_selectorImNS0_10empty_typeEEEZZNS1_27merge_sort_block_merge_implIS3_PmPS5_jNS1_19radix_merge_compareILb0ELb0EmNS0_19identity_decomposerEEEEE10hipError_tT0_T1_T2_jT3_P12ihipStream_tbPNSt15iterator_traitsISE_E10value_typeEPNSK_ISF_E10value_typeEPSG_NS1_7vsmem_tEENKUlT_SE_SF_SG_E_clIS8_S8_S9_S9_EESD_ST_SE_SF_SG_EUlST_E0_NS1_11comp_targetILNS1_3genE4ELNS1_11target_archE910ELNS1_3gpuE8ELNS1_3repE0EEENS1_38merge_mergepath_config_static_selectorELNS0_4arch9wavefront6targetE0EEEvSF_.uses_flat_scratch, 0
	.set _ZN7rocprim17ROCPRIM_400000_NS6detail17trampoline_kernelINS0_14default_configENS1_38merge_sort_block_merge_config_selectorImNS0_10empty_typeEEEZZNS1_27merge_sort_block_merge_implIS3_PmPS5_jNS1_19radix_merge_compareILb0ELb0EmNS0_19identity_decomposerEEEEE10hipError_tT0_T1_T2_jT3_P12ihipStream_tbPNSt15iterator_traitsISE_E10value_typeEPNSK_ISF_E10value_typeEPSG_NS1_7vsmem_tEENKUlT_SE_SF_SG_E_clIS8_S8_S9_S9_EESD_ST_SE_SF_SG_EUlST_E0_NS1_11comp_targetILNS1_3genE4ELNS1_11target_archE910ELNS1_3gpuE8ELNS1_3repE0EEENS1_38merge_mergepath_config_static_selectorELNS0_4arch9wavefront6targetE0EEEvSF_.has_dyn_sized_stack, 0
	.set _ZN7rocprim17ROCPRIM_400000_NS6detail17trampoline_kernelINS0_14default_configENS1_38merge_sort_block_merge_config_selectorImNS0_10empty_typeEEEZZNS1_27merge_sort_block_merge_implIS3_PmPS5_jNS1_19radix_merge_compareILb0ELb0EmNS0_19identity_decomposerEEEEE10hipError_tT0_T1_T2_jT3_P12ihipStream_tbPNSt15iterator_traitsISE_E10value_typeEPNSK_ISF_E10value_typeEPSG_NS1_7vsmem_tEENKUlT_SE_SF_SG_E_clIS8_S8_S9_S9_EESD_ST_SE_SF_SG_EUlST_E0_NS1_11comp_targetILNS1_3genE4ELNS1_11target_archE910ELNS1_3gpuE8ELNS1_3repE0EEENS1_38merge_mergepath_config_static_selectorELNS0_4arch9wavefront6targetE0EEEvSF_.has_recursion, 0
	.set _ZN7rocprim17ROCPRIM_400000_NS6detail17trampoline_kernelINS0_14default_configENS1_38merge_sort_block_merge_config_selectorImNS0_10empty_typeEEEZZNS1_27merge_sort_block_merge_implIS3_PmPS5_jNS1_19radix_merge_compareILb0ELb0EmNS0_19identity_decomposerEEEEE10hipError_tT0_T1_T2_jT3_P12ihipStream_tbPNSt15iterator_traitsISE_E10value_typeEPNSK_ISF_E10value_typeEPSG_NS1_7vsmem_tEENKUlT_SE_SF_SG_E_clIS8_S8_S9_S9_EESD_ST_SE_SF_SG_EUlST_E0_NS1_11comp_targetILNS1_3genE4ELNS1_11target_archE910ELNS1_3gpuE8ELNS1_3repE0EEENS1_38merge_mergepath_config_static_selectorELNS0_4arch9wavefront6targetE0EEEvSF_.has_indirect_call, 0
	.section	.AMDGPU.csdata,"",@progbits
; Kernel info:
; codeLenInByte = 0
; TotalNumSgprs: 0
; NumVgprs: 0
; ScratchSize: 0
; MemoryBound: 0
; FloatMode: 240
; IeeeMode: 1
; LDSByteSize: 0 bytes/workgroup (compile time only)
; SGPRBlocks: 0
; VGPRBlocks: 0
; NumSGPRsForWavesPerEU: 1
; NumVGPRsForWavesPerEU: 1
; NamedBarCnt: 0
; Occupancy: 16
; WaveLimiterHint : 0
; COMPUTE_PGM_RSRC2:SCRATCH_EN: 0
; COMPUTE_PGM_RSRC2:USER_SGPR: 2
; COMPUTE_PGM_RSRC2:TRAP_HANDLER: 0
; COMPUTE_PGM_RSRC2:TGID_X_EN: 1
; COMPUTE_PGM_RSRC2:TGID_Y_EN: 0
; COMPUTE_PGM_RSRC2:TGID_Z_EN: 0
; COMPUTE_PGM_RSRC2:TIDIG_COMP_CNT: 0
	.section	.text._ZN7rocprim17ROCPRIM_400000_NS6detail17trampoline_kernelINS0_14default_configENS1_38merge_sort_block_merge_config_selectorImNS0_10empty_typeEEEZZNS1_27merge_sort_block_merge_implIS3_PmPS5_jNS1_19radix_merge_compareILb0ELb0EmNS0_19identity_decomposerEEEEE10hipError_tT0_T1_T2_jT3_P12ihipStream_tbPNSt15iterator_traitsISE_E10value_typeEPNSK_ISF_E10value_typeEPSG_NS1_7vsmem_tEENKUlT_SE_SF_SG_E_clIS8_S8_S9_S9_EESD_ST_SE_SF_SG_EUlST_E0_NS1_11comp_targetILNS1_3genE3ELNS1_11target_archE908ELNS1_3gpuE7ELNS1_3repE0EEENS1_38merge_mergepath_config_static_selectorELNS0_4arch9wavefront6targetE0EEEvSF_,"axG",@progbits,_ZN7rocprim17ROCPRIM_400000_NS6detail17trampoline_kernelINS0_14default_configENS1_38merge_sort_block_merge_config_selectorImNS0_10empty_typeEEEZZNS1_27merge_sort_block_merge_implIS3_PmPS5_jNS1_19radix_merge_compareILb0ELb0EmNS0_19identity_decomposerEEEEE10hipError_tT0_T1_T2_jT3_P12ihipStream_tbPNSt15iterator_traitsISE_E10value_typeEPNSK_ISF_E10value_typeEPSG_NS1_7vsmem_tEENKUlT_SE_SF_SG_E_clIS8_S8_S9_S9_EESD_ST_SE_SF_SG_EUlST_E0_NS1_11comp_targetILNS1_3genE3ELNS1_11target_archE908ELNS1_3gpuE7ELNS1_3repE0EEENS1_38merge_mergepath_config_static_selectorELNS0_4arch9wavefront6targetE0EEEvSF_,comdat
	.protected	_ZN7rocprim17ROCPRIM_400000_NS6detail17trampoline_kernelINS0_14default_configENS1_38merge_sort_block_merge_config_selectorImNS0_10empty_typeEEEZZNS1_27merge_sort_block_merge_implIS3_PmPS5_jNS1_19radix_merge_compareILb0ELb0EmNS0_19identity_decomposerEEEEE10hipError_tT0_T1_T2_jT3_P12ihipStream_tbPNSt15iterator_traitsISE_E10value_typeEPNSK_ISF_E10value_typeEPSG_NS1_7vsmem_tEENKUlT_SE_SF_SG_E_clIS8_S8_S9_S9_EESD_ST_SE_SF_SG_EUlST_E0_NS1_11comp_targetILNS1_3genE3ELNS1_11target_archE908ELNS1_3gpuE7ELNS1_3repE0EEENS1_38merge_mergepath_config_static_selectorELNS0_4arch9wavefront6targetE0EEEvSF_ ; -- Begin function _ZN7rocprim17ROCPRIM_400000_NS6detail17trampoline_kernelINS0_14default_configENS1_38merge_sort_block_merge_config_selectorImNS0_10empty_typeEEEZZNS1_27merge_sort_block_merge_implIS3_PmPS5_jNS1_19radix_merge_compareILb0ELb0EmNS0_19identity_decomposerEEEEE10hipError_tT0_T1_T2_jT3_P12ihipStream_tbPNSt15iterator_traitsISE_E10value_typeEPNSK_ISF_E10value_typeEPSG_NS1_7vsmem_tEENKUlT_SE_SF_SG_E_clIS8_S8_S9_S9_EESD_ST_SE_SF_SG_EUlST_E0_NS1_11comp_targetILNS1_3genE3ELNS1_11target_archE908ELNS1_3gpuE7ELNS1_3repE0EEENS1_38merge_mergepath_config_static_selectorELNS0_4arch9wavefront6targetE0EEEvSF_
	.globl	_ZN7rocprim17ROCPRIM_400000_NS6detail17trampoline_kernelINS0_14default_configENS1_38merge_sort_block_merge_config_selectorImNS0_10empty_typeEEEZZNS1_27merge_sort_block_merge_implIS3_PmPS5_jNS1_19radix_merge_compareILb0ELb0EmNS0_19identity_decomposerEEEEE10hipError_tT0_T1_T2_jT3_P12ihipStream_tbPNSt15iterator_traitsISE_E10value_typeEPNSK_ISF_E10value_typeEPSG_NS1_7vsmem_tEENKUlT_SE_SF_SG_E_clIS8_S8_S9_S9_EESD_ST_SE_SF_SG_EUlST_E0_NS1_11comp_targetILNS1_3genE3ELNS1_11target_archE908ELNS1_3gpuE7ELNS1_3repE0EEENS1_38merge_mergepath_config_static_selectorELNS0_4arch9wavefront6targetE0EEEvSF_
	.p2align	8
	.type	_ZN7rocprim17ROCPRIM_400000_NS6detail17trampoline_kernelINS0_14default_configENS1_38merge_sort_block_merge_config_selectorImNS0_10empty_typeEEEZZNS1_27merge_sort_block_merge_implIS3_PmPS5_jNS1_19radix_merge_compareILb0ELb0EmNS0_19identity_decomposerEEEEE10hipError_tT0_T1_T2_jT3_P12ihipStream_tbPNSt15iterator_traitsISE_E10value_typeEPNSK_ISF_E10value_typeEPSG_NS1_7vsmem_tEENKUlT_SE_SF_SG_E_clIS8_S8_S9_S9_EESD_ST_SE_SF_SG_EUlST_E0_NS1_11comp_targetILNS1_3genE3ELNS1_11target_archE908ELNS1_3gpuE7ELNS1_3repE0EEENS1_38merge_mergepath_config_static_selectorELNS0_4arch9wavefront6targetE0EEEvSF_,@function
_ZN7rocprim17ROCPRIM_400000_NS6detail17trampoline_kernelINS0_14default_configENS1_38merge_sort_block_merge_config_selectorImNS0_10empty_typeEEEZZNS1_27merge_sort_block_merge_implIS3_PmPS5_jNS1_19radix_merge_compareILb0ELb0EmNS0_19identity_decomposerEEEEE10hipError_tT0_T1_T2_jT3_P12ihipStream_tbPNSt15iterator_traitsISE_E10value_typeEPNSK_ISF_E10value_typeEPSG_NS1_7vsmem_tEENKUlT_SE_SF_SG_E_clIS8_S8_S9_S9_EESD_ST_SE_SF_SG_EUlST_E0_NS1_11comp_targetILNS1_3genE3ELNS1_11target_archE908ELNS1_3gpuE7ELNS1_3repE0EEENS1_38merge_mergepath_config_static_selectorELNS0_4arch9wavefront6targetE0EEEvSF_: ; @_ZN7rocprim17ROCPRIM_400000_NS6detail17trampoline_kernelINS0_14default_configENS1_38merge_sort_block_merge_config_selectorImNS0_10empty_typeEEEZZNS1_27merge_sort_block_merge_implIS3_PmPS5_jNS1_19radix_merge_compareILb0ELb0EmNS0_19identity_decomposerEEEEE10hipError_tT0_T1_T2_jT3_P12ihipStream_tbPNSt15iterator_traitsISE_E10value_typeEPNSK_ISF_E10value_typeEPSG_NS1_7vsmem_tEENKUlT_SE_SF_SG_E_clIS8_S8_S9_S9_EESD_ST_SE_SF_SG_EUlST_E0_NS1_11comp_targetILNS1_3genE3ELNS1_11target_archE908ELNS1_3gpuE7ELNS1_3repE0EEENS1_38merge_mergepath_config_static_selectorELNS0_4arch9wavefront6targetE0EEEvSF_
; %bb.0:
	.section	.rodata,"a",@progbits
	.p2align	6, 0x0
	.amdhsa_kernel _ZN7rocprim17ROCPRIM_400000_NS6detail17trampoline_kernelINS0_14default_configENS1_38merge_sort_block_merge_config_selectorImNS0_10empty_typeEEEZZNS1_27merge_sort_block_merge_implIS3_PmPS5_jNS1_19radix_merge_compareILb0ELb0EmNS0_19identity_decomposerEEEEE10hipError_tT0_T1_T2_jT3_P12ihipStream_tbPNSt15iterator_traitsISE_E10value_typeEPNSK_ISF_E10value_typeEPSG_NS1_7vsmem_tEENKUlT_SE_SF_SG_E_clIS8_S8_S9_S9_EESD_ST_SE_SF_SG_EUlST_E0_NS1_11comp_targetILNS1_3genE3ELNS1_11target_archE908ELNS1_3gpuE7ELNS1_3repE0EEENS1_38merge_mergepath_config_static_selectorELNS0_4arch9wavefront6targetE0EEEvSF_
		.amdhsa_group_segment_fixed_size 0
		.amdhsa_private_segment_fixed_size 0
		.amdhsa_kernarg_size 64
		.amdhsa_user_sgpr_count 2
		.amdhsa_user_sgpr_dispatch_ptr 0
		.amdhsa_user_sgpr_queue_ptr 0
		.amdhsa_user_sgpr_kernarg_segment_ptr 1
		.amdhsa_user_sgpr_dispatch_id 0
		.amdhsa_user_sgpr_kernarg_preload_length 0
		.amdhsa_user_sgpr_kernarg_preload_offset 0
		.amdhsa_user_sgpr_private_segment_size 0
		.amdhsa_wavefront_size32 1
		.amdhsa_uses_dynamic_stack 0
		.amdhsa_enable_private_segment 0
		.amdhsa_system_sgpr_workgroup_id_x 1
		.amdhsa_system_sgpr_workgroup_id_y 0
		.amdhsa_system_sgpr_workgroup_id_z 0
		.amdhsa_system_sgpr_workgroup_info 0
		.amdhsa_system_vgpr_workitem_id 0
		.amdhsa_next_free_vgpr 1
		.amdhsa_next_free_sgpr 1
		.amdhsa_named_barrier_count 0
		.amdhsa_reserve_vcc 0
		.amdhsa_float_round_mode_32 0
		.amdhsa_float_round_mode_16_64 0
		.amdhsa_float_denorm_mode_32 3
		.amdhsa_float_denorm_mode_16_64 3
		.amdhsa_fp16_overflow 0
		.amdhsa_memory_ordered 1
		.amdhsa_forward_progress 1
		.amdhsa_inst_pref_size 0
		.amdhsa_round_robin_scheduling 0
		.amdhsa_exception_fp_ieee_invalid_op 0
		.amdhsa_exception_fp_denorm_src 0
		.amdhsa_exception_fp_ieee_div_zero 0
		.amdhsa_exception_fp_ieee_overflow 0
		.amdhsa_exception_fp_ieee_underflow 0
		.amdhsa_exception_fp_ieee_inexact 0
		.amdhsa_exception_int_div_zero 0
	.end_amdhsa_kernel
	.section	.text._ZN7rocprim17ROCPRIM_400000_NS6detail17trampoline_kernelINS0_14default_configENS1_38merge_sort_block_merge_config_selectorImNS0_10empty_typeEEEZZNS1_27merge_sort_block_merge_implIS3_PmPS5_jNS1_19radix_merge_compareILb0ELb0EmNS0_19identity_decomposerEEEEE10hipError_tT0_T1_T2_jT3_P12ihipStream_tbPNSt15iterator_traitsISE_E10value_typeEPNSK_ISF_E10value_typeEPSG_NS1_7vsmem_tEENKUlT_SE_SF_SG_E_clIS8_S8_S9_S9_EESD_ST_SE_SF_SG_EUlST_E0_NS1_11comp_targetILNS1_3genE3ELNS1_11target_archE908ELNS1_3gpuE7ELNS1_3repE0EEENS1_38merge_mergepath_config_static_selectorELNS0_4arch9wavefront6targetE0EEEvSF_,"axG",@progbits,_ZN7rocprim17ROCPRIM_400000_NS6detail17trampoline_kernelINS0_14default_configENS1_38merge_sort_block_merge_config_selectorImNS0_10empty_typeEEEZZNS1_27merge_sort_block_merge_implIS3_PmPS5_jNS1_19radix_merge_compareILb0ELb0EmNS0_19identity_decomposerEEEEE10hipError_tT0_T1_T2_jT3_P12ihipStream_tbPNSt15iterator_traitsISE_E10value_typeEPNSK_ISF_E10value_typeEPSG_NS1_7vsmem_tEENKUlT_SE_SF_SG_E_clIS8_S8_S9_S9_EESD_ST_SE_SF_SG_EUlST_E0_NS1_11comp_targetILNS1_3genE3ELNS1_11target_archE908ELNS1_3gpuE7ELNS1_3repE0EEENS1_38merge_mergepath_config_static_selectorELNS0_4arch9wavefront6targetE0EEEvSF_,comdat
.Lfunc_end2937:
	.size	_ZN7rocprim17ROCPRIM_400000_NS6detail17trampoline_kernelINS0_14default_configENS1_38merge_sort_block_merge_config_selectorImNS0_10empty_typeEEEZZNS1_27merge_sort_block_merge_implIS3_PmPS5_jNS1_19radix_merge_compareILb0ELb0EmNS0_19identity_decomposerEEEEE10hipError_tT0_T1_T2_jT3_P12ihipStream_tbPNSt15iterator_traitsISE_E10value_typeEPNSK_ISF_E10value_typeEPSG_NS1_7vsmem_tEENKUlT_SE_SF_SG_E_clIS8_S8_S9_S9_EESD_ST_SE_SF_SG_EUlST_E0_NS1_11comp_targetILNS1_3genE3ELNS1_11target_archE908ELNS1_3gpuE7ELNS1_3repE0EEENS1_38merge_mergepath_config_static_selectorELNS0_4arch9wavefront6targetE0EEEvSF_, .Lfunc_end2937-_ZN7rocprim17ROCPRIM_400000_NS6detail17trampoline_kernelINS0_14default_configENS1_38merge_sort_block_merge_config_selectorImNS0_10empty_typeEEEZZNS1_27merge_sort_block_merge_implIS3_PmPS5_jNS1_19radix_merge_compareILb0ELb0EmNS0_19identity_decomposerEEEEE10hipError_tT0_T1_T2_jT3_P12ihipStream_tbPNSt15iterator_traitsISE_E10value_typeEPNSK_ISF_E10value_typeEPSG_NS1_7vsmem_tEENKUlT_SE_SF_SG_E_clIS8_S8_S9_S9_EESD_ST_SE_SF_SG_EUlST_E0_NS1_11comp_targetILNS1_3genE3ELNS1_11target_archE908ELNS1_3gpuE7ELNS1_3repE0EEENS1_38merge_mergepath_config_static_selectorELNS0_4arch9wavefront6targetE0EEEvSF_
                                        ; -- End function
	.set _ZN7rocprim17ROCPRIM_400000_NS6detail17trampoline_kernelINS0_14default_configENS1_38merge_sort_block_merge_config_selectorImNS0_10empty_typeEEEZZNS1_27merge_sort_block_merge_implIS3_PmPS5_jNS1_19radix_merge_compareILb0ELb0EmNS0_19identity_decomposerEEEEE10hipError_tT0_T1_T2_jT3_P12ihipStream_tbPNSt15iterator_traitsISE_E10value_typeEPNSK_ISF_E10value_typeEPSG_NS1_7vsmem_tEENKUlT_SE_SF_SG_E_clIS8_S8_S9_S9_EESD_ST_SE_SF_SG_EUlST_E0_NS1_11comp_targetILNS1_3genE3ELNS1_11target_archE908ELNS1_3gpuE7ELNS1_3repE0EEENS1_38merge_mergepath_config_static_selectorELNS0_4arch9wavefront6targetE0EEEvSF_.num_vgpr, 0
	.set _ZN7rocprim17ROCPRIM_400000_NS6detail17trampoline_kernelINS0_14default_configENS1_38merge_sort_block_merge_config_selectorImNS0_10empty_typeEEEZZNS1_27merge_sort_block_merge_implIS3_PmPS5_jNS1_19radix_merge_compareILb0ELb0EmNS0_19identity_decomposerEEEEE10hipError_tT0_T1_T2_jT3_P12ihipStream_tbPNSt15iterator_traitsISE_E10value_typeEPNSK_ISF_E10value_typeEPSG_NS1_7vsmem_tEENKUlT_SE_SF_SG_E_clIS8_S8_S9_S9_EESD_ST_SE_SF_SG_EUlST_E0_NS1_11comp_targetILNS1_3genE3ELNS1_11target_archE908ELNS1_3gpuE7ELNS1_3repE0EEENS1_38merge_mergepath_config_static_selectorELNS0_4arch9wavefront6targetE0EEEvSF_.num_agpr, 0
	.set _ZN7rocprim17ROCPRIM_400000_NS6detail17trampoline_kernelINS0_14default_configENS1_38merge_sort_block_merge_config_selectorImNS0_10empty_typeEEEZZNS1_27merge_sort_block_merge_implIS3_PmPS5_jNS1_19radix_merge_compareILb0ELb0EmNS0_19identity_decomposerEEEEE10hipError_tT0_T1_T2_jT3_P12ihipStream_tbPNSt15iterator_traitsISE_E10value_typeEPNSK_ISF_E10value_typeEPSG_NS1_7vsmem_tEENKUlT_SE_SF_SG_E_clIS8_S8_S9_S9_EESD_ST_SE_SF_SG_EUlST_E0_NS1_11comp_targetILNS1_3genE3ELNS1_11target_archE908ELNS1_3gpuE7ELNS1_3repE0EEENS1_38merge_mergepath_config_static_selectorELNS0_4arch9wavefront6targetE0EEEvSF_.numbered_sgpr, 0
	.set _ZN7rocprim17ROCPRIM_400000_NS6detail17trampoline_kernelINS0_14default_configENS1_38merge_sort_block_merge_config_selectorImNS0_10empty_typeEEEZZNS1_27merge_sort_block_merge_implIS3_PmPS5_jNS1_19radix_merge_compareILb0ELb0EmNS0_19identity_decomposerEEEEE10hipError_tT0_T1_T2_jT3_P12ihipStream_tbPNSt15iterator_traitsISE_E10value_typeEPNSK_ISF_E10value_typeEPSG_NS1_7vsmem_tEENKUlT_SE_SF_SG_E_clIS8_S8_S9_S9_EESD_ST_SE_SF_SG_EUlST_E0_NS1_11comp_targetILNS1_3genE3ELNS1_11target_archE908ELNS1_3gpuE7ELNS1_3repE0EEENS1_38merge_mergepath_config_static_selectorELNS0_4arch9wavefront6targetE0EEEvSF_.num_named_barrier, 0
	.set _ZN7rocprim17ROCPRIM_400000_NS6detail17trampoline_kernelINS0_14default_configENS1_38merge_sort_block_merge_config_selectorImNS0_10empty_typeEEEZZNS1_27merge_sort_block_merge_implIS3_PmPS5_jNS1_19radix_merge_compareILb0ELb0EmNS0_19identity_decomposerEEEEE10hipError_tT0_T1_T2_jT3_P12ihipStream_tbPNSt15iterator_traitsISE_E10value_typeEPNSK_ISF_E10value_typeEPSG_NS1_7vsmem_tEENKUlT_SE_SF_SG_E_clIS8_S8_S9_S9_EESD_ST_SE_SF_SG_EUlST_E0_NS1_11comp_targetILNS1_3genE3ELNS1_11target_archE908ELNS1_3gpuE7ELNS1_3repE0EEENS1_38merge_mergepath_config_static_selectorELNS0_4arch9wavefront6targetE0EEEvSF_.private_seg_size, 0
	.set _ZN7rocprim17ROCPRIM_400000_NS6detail17trampoline_kernelINS0_14default_configENS1_38merge_sort_block_merge_config_selectorImNS0_10empty_typeEEEZZNS1_27merge_sort_block_merge_implIS3_PmPS5_jNS1_19radix_merge_compareILb0ELb0EmNS0_19identity_decomposerEEEEE10hipError_tT0_T1_T2_jT3_P12ihipStream_tbPNSt15iterator_traitsISE_E10value_typeEPNSK_ISF_E10value_typeEPSG_NS1_7vsmem_tEENKUlT_SE_SF_SG_E_clIS8_S8_S9_S9_EESD_ST_SE_SF_SG_EUlST_E0_NS1_11comp_targetILNS1_3genE3ELNS1_11target_archE908ELNS1_3gpuE7ELNS1_3repE0EEENS1_38merge_mergepath_config_static_selectorELNS0_4arch9wavefront6targetE0EEEvSF_.uses_vcc, 0
	.set _ZN7rocprim17ROCPRIM_400000_NS6detail17trampoline_kernelINS0_14default_configENS1_38merge_sort_block_merge_config_selectorImNS0_10empty_typeEEEZZNS1_27merge_sort_block_merge_implIS3_PmPS5_jNS1_19radix_merge_compareILb0ELb0EmNS0_19identity_decomposerEEEEE10hipError_tT0_T1_T2_jT3_P12ihipStream_tbPNSt15iterator_traitsISE_E10value_typeEPNSK_ISF_E10value_typeEPSG_NS1_7vsmem_tEENKUlT_SE_SF_SG_E_clIS8_S8_S9_S9_EESD_ST_SE_SF_SG_EUlST_E0_NS1_11comp_targetILNS1_3genE3ELNS1_11target_archE908ELNS1_3gpuE7ELNS1_3repE0EEENS1_38merge_mergepath_config_static_selectorELNS0_4arch9wavefront6targetE0EEEvSF_.uses_flat_scratch, 0
	.set _ZN7rocprim17ROCPRIM_400000_NS6detail17trampoline_kernelINS0_14default_configENS1_38merge_sort_block_merge_config_selectorImNS0_10empty_typeEEEZZNS1_27merge_sort_block_merge_implIS3_PmPS5_jNS1_19radix_merge_compareILb0ELb0EmNS0_19identity_decomposerEEEEE10hipError_tT0_T1_T2_jT3_P12ihipStream_tbPNSt15iterator_traitsISE_E10value_typeEPNSK_ISF_E10value_typeEPSG_NS1_7vsmem_tEENKUlT_SE_SF_SG_E_clIS8_S8_S9_S9_EESD_ST_SE_SF_SG_EUlST_E0_NS1_11comp_targetILNS1_3genE3ELNS1_11target_archE908ELNS1_3gpuE7ELNS1_3repE0EEENS1_38merge_mergepath_config_static_selectorELNS0_4arch9wavefront6targetE0EEEvSF_.has_dyn_sized_stack, 0
	.set _ZN7rocprim17ROCPRIM_400000_NS6detail17trampoline_kernelINS0_14default_configENS1_38merge_sort_block_merge_config_selectorImNS0_10empty_typeEEEZZNS1_27merge_sort_block_merge_implIS3_PmPS5_jNS1_19radix_merge_compareILb0ELb0EmNS0_19identity_decomposerEEEEE10hipError_tT0_T1_T2_jT3_P12ihipStream_tbPNSt15iterator_traitsISE_E10value_typeEPNSK_ISF_E10value_typeEPSG_NS1_7vsmem_tEENKUlT_SE_SF_SG_E_clIS8_S8_S9_S9_EESD_ST_SE_SF_SG_EUlST_E0_NS1_11comp_targetILNS1_3genE3ELNS1_11target_archE908ELNS1_3gpuE7ELNS1_3repE0EEENS1_38merge_mergepath_config_static_selectorELNS0_4arch9wavefront6targetE0EEEvSF_.has_recursion, 0
	.set _ZN7rocprim17ROCPRIM_400000_NS6detail17trampoline_kernelINS0_14default_configENS1_38merge_sort_block_merge_config_selectorImNS0_10empty_typeEEEZZNS1_27merge_sort_block_merge_implIS3_PmPS5_jNS1_19radix_merge_compareILb0ELb0EmNS0_19identity_decomposerEEEEE10hipError_tT0_T1_T2_jT3_P12ihipStream_tbPNSt15iterator_traitsISE_E10value_typeEPNSK_ISF_E10value_typeEPSG_NS1_7vsmem_tEENKUlT_SE_SF_SG_E_clIS8_S8_S9_S9_EESD_ST_SE_SF_SG_EUlST_E0_NS1_11comp_targetILNS1_3genE3ELNS1_11target_archE908ELNS1_3gpuE7ELNS1_3repE0EEENS1_38merge_mergepath_config_static_selectorELNS0_4arch9wavefront6targetE0EEEvSF_.has_indirect_call, 0
	.section	.AMDGPU.csdata,"",@progbits
; Kernel info:
; codeLenInByte = 0
; TotalNumSgprs: 0
; NumVgprs: 0
; ScratchSize: 0
; MemoryBound: 0
; FloatMode: 240
; IeeeMode: 1
; LDSByteSize: 0 bytes/workgroup (compile time only)
; SGPRBlocks: 0
; VGPRBlocks: 0
; NumSGPRsForWavesPerEU: 1
; NumVGPRsForWavesPerEU: 1
; NamedBarCnt: 0
; Occupancy: 16
; WaveLimiterHint : 0
; COMPUTE_PGM_RSRC2:SCRATCH_EN: 0
; COMPUTE_PGM_RSRC2:USER_SGPR: 2
; COMPUTE_PGM_RSRC2:TRAP_HANDLER: 0
; COMPUTE_PGM_RSRC2:TGID_X_EN: 1
; COMPUTE_PGM_RSRC2:TGID_Y_EN: 0
; COMPUTE_PGM_RSRC2:TGID_Z_EN: 0
; COMPUTE_PGM_RSRC2:TIDIG_COMP_CNT: 0
	.section	.text._ZN7rocprim17ROCPRIM_400000_NS6detail17trampoline_kernelINS0_14default_configENS1_38merge_sort_block_merge_config_selectorImNS0_10empty_typeEEEZZNS1_27merge_sort_block_merge_implIS3_PmPS5_jNS1_19radix_merge_compareILb0ELb0EmNS0_19identity_decomposerEEEEE10hipError_tT0_T1_T2_jT3_P12ihipStream_tbPNSt15iterator_traitsISE_E10value_typeEPNSK_ISF_E10value_typeEPSG_NS1_7vsmem_tEENKUlT_SE_SF_SG_E_clIS8_S8_S9_S9_EESD_ST_SE_SF_SG_EUlST_E0_NS1_11comp_targetILNS1_3genE2ELNS1_11target_archE906ELNS1_3gpuE6ELNS1_3repE0EEENS1_38merge_mergepath_config_static_selectorELNS0_4arch9wavefront6targetE0EEEvSF_,"axG",@progbits,_ZN7rocprim17ROCPRIM_400000_NS6detail17trampoline_kernelINS0_14default_configENS1_38merge_sort_block_merge_config_selectorImNS0_10empty_typeEEEZZNS1_27merge_sort_block_merge_implIS3_PmPS5_jNS1_19radix_merge_compareILb0ELb0EmNS0_19identity_decomposerEEEEE10hipError_tT0_T1_T2_jT3_P12ihipStream_tbPNSt15iterator_traitsISE_E10value_typeEPNSK_ISF_E10value_typeEPSG_NS1_7vsmem_tEENKUlT_SE_SF_SG_E_clIS8_S8_S9_S9_EESD_ST_SE_SF_SG_EUlST_E0_NS1_11comp_targetILNS1_3genE2ELNS1_11target_archE906ELNS1_3gpuE6ELNS1_3repE0EEENS1_38merge_mergepath_config_static_selectorELNS0_4arch9wavefront6targetE0EEEvSF_,comdat
	.protected	_ZN7rocprim17ROCPRIM_400000_NS6detail17trampoline_kernelINS0_14default_configENS1_38merge_sort_block_merge_config_selectorImNS0_10empty_typeEEEZZNS1_27merge_sort_block_merge_implIS3_PmPS5_jNS1_19radix_merge_compareILb0ELb0EmNS0_19identity_decomposerEEEEE10hipError_tT0_T1_T2_jT3_P12ihipStream_tbPNSt15iterator_traitsISE_E10value_typeEPNSK_ISF_E10value_typeEPSG_NS1_7vsmem_tEENKUlT_SE_SF_SG_E_clIS8_S8_S9_S9_EESD_ST_SE_SF_SG_EUlST_E0_NS1_11comp_targetILNS1_3genE2ELNS1_11target_archE906ELNS1_3gpuE6ELNS1_3repE0EEENS1_38merge_mergepath_config_static_selectorELNS0_4arch9wavefront6targetE0EEEvSF_ ; -- Begin function _ZN7rocprim17ROCPRIM_400000_NS6detail17trampoline_kernelINS0_14default_configENS1_38merge_sort_block_merge_config_selectorImNS0_10empty_typeEEEZZNS1_27merge_sort_block_merge_implIS3_PmPS5_jNS1_19radix_merge_compareILb0ELb0EmNS0_19identity_decomposerEEEEE10hipError_tT0_T1_T2_jT3_P12ihipStream_tbPNSt15iterator_traitsISE_E10value_typeEPNSK_ISF_E10value_typeEPSG_NS1_7vsmem_tEENKUlT_SE_SF_SG_E_clIS8_S8_S9_S9_EESD_ST_SE_SF_SG_EUlST_E0_NS1_11comp_targetILNS1_3genE2ELNS1_11target_archE906ELNS1_3gpuE6ELNS1_3repE0EEENS1_38merge_mergepath_config_static_selectorELNS0_4arch9wavefront6targetE0EEEvSF_
	.globl	_ZN7rocprim17ROCPRIM_400000_NS6detail17trampoline_kernelINS0_14default_configENS1_38merge_sort_block_merge_config_selectorImNS0_10empty_typeEEEZZNS1_27merge_sort_block_merge_implIS3_PmPS5_jNS1_19radix_merge_compareILb0ELb0EmNS0_19identity_decomposerEEEEE10hipError_tT0_T1_T2_jT3_P12ihipStream_tbPNSt15iterator_traitsISE_E10value_typeEPNSK_ISF_E10value_typeEPSG_NS1_7vsmem_tEENKUlT_SE_SF_SG_E_clIS8_S8_S9_S9_EESD_ST_SE_SF_SG_EUlST_E0_NS1_11comp_targetILNS1_3genE2ELNS1_11target_archE906ELNS1_3gpuE6ELNS1_3repE0EEENS1_38merge_mergepath_config_static_selectorELNS0_4arch9wavefront6targetE0EEEvSF_
	.p2align	8
	.type	_ZN7rocprim17ROCPRIM_400000_NS6detail17trampoline_kernelINS0_14default_configENS1_38merge_sort_block_merge_config_selectorImNS0_10empty_typeEEEZZNS1_27merge_sort_block_merge_implIS3_PmPS5_jNS1_19radix_merge_compareILb0ELb0EmNS0_19identity_decomposerEEEEE10hipError_tT0_T1_T2_jT3_P12ihipStream_tbPNSt15iterator_traitsISE_E10value_typeEPNSK_ISF_E10value_typeEPSG_NS1_7vsmem_tEENKUlT_SE_SF_SG_E_clIS8_S8_S9_S9_EESD_ST_SE_SF_SG_EUlST_E0_NS1_11comp_targetILNS1_3genE2ELNS1_11target_archE906ELNS1_3gpuE6ELNS1_3repE0EEENS1_38merge_mergepath_config_static_selectorELNS0_4arch9wavefront6targetE0EEEvSF_,@function
_ZN7rocprim17ROCPRIM_400000_NS6detail17trampoline_kernelINS0_14default_configENS1_38merge_sort_block_merge_config_selectorImNS0_10empty_typeEEEZZNS1_27merge_sort_block_merge_implIS3_PmPS5_jNS1_19radix_merge_compareILb0ELb0EmNS0_19identity_decomposerEEEEE10hipError_tT0_T1_T2_jT3_P12ihipStream_tbPNSt15iterator_traitsISE_E10value_typeEPNSK_ISF_E10value_typeEPSG_NS1_7vsmem_tEENKUlT_SE_SF_SG_E_clIS8_S8_S9_S9_EESD_ST_SE_SF_SG_EUlST_E0_NS1_11comp_targetILNS1_3genE2ELNS1_11target_archE906ELNS1_3gpuE6ELNS1_3repE0EEENS1_38merge_mergepath_config_static_selectorELNS0_4arch9wavefront6targetE0EEEvSF_: ; @_ZN7rocprim17ROCPRIM_400000_NS6detail17trampoline_kernelINS0_14default_configENS1_38merge_sort_block_merge_config_selectorImNS0_10empty_typeEEEZZNS1_27merge_sort_block_merge_implIS3_PmPS5_jNS1_19radix_merge_compareILb0ELb0EmNS0_19identity_decomposerEEEEE10hipError_tT0_T1_T2_jT3_P12ihipStream_tbPNSt15iterator_traitsISE_E10value_typeEPNSK_ISF_E10value_typeEPSG_NS1_7vsmem_tEENKUlT_SE_SF_SG_E_clIS8_S8_S9_S9_EESD_ST_SE_SF_SG_EUlST_E0_NS1_11comp_targetILNS1_3genE2ELNS1_11target_archE906ELNS1_3gpuE6ELNS1_3repE0EEENS1_38merge_mergepath_config_static_selectorELNS0_4arch9wavefront6targetE0EEEvSF_
; %bb.0:
	.section	.rodata,"a",@progbits
	.p2align	6, 0x0
	.amdhsa_kernel _ZN7rocprim17ROCPRIM_400000_NS6detail17trampoline_kernelINS0_14default_configENS1_38merge_sort_block_merge_config_selectorImNS0_10empty_typeEEEZZNS1_27merge_sort_block_merge_implIS3_PmPS5_jNS1_19radix_merge_compareILb0ELb0EmNS0_19identity_decomposerEEEEE10hipError_tT0_T1_T2_jT3_P12ihipStream_tbPNSt15iterator_traitsISE_E10value_typeEPNSK_ISF_E10value_typeEPSG_NS1_7vsmem_tEENKUlT_SE_SF_SG_E_clIS8_S8_S9_S9_EESD_ST_SE_SF_SG_EUlST_E0_NS1_11comp_targetILNS1_3genE2ELNS1_11target_archE906ELNS1_3gpuE6ELNS1_3repE0EEENS1_38merge_mergepath_config_static_selectorELNS0_4arch9wavefront6targetE0EEEvSF_
		.amdhsa_group_segment_fixed_size 0
		.amdhsa_private_segment_fixed_size 0
		.amdhsa_kernarg_size 64
		.amdhsa_user_sgpr_count 2
		.amdhsa_user_sgpr_dispatch_ptr 0
		.amdhsa_user_sgpr_queue_ptr 0
		.amdhsa_user_sgpr_kernarg_segment_ptr 1
		.amdhsa_user_sgpr_dispatch_id 0
		.amdhsa_user_sgpr_kernarg_preload_length 0
		.amdhsa_user_sgpr_kernarg_preload_offset 0
		.amdhsa_user_sgpr_private_segment_size 0
		.amdhsa_wavefront_size32 1
		.amdhsa_uses_dynamic_stack 0
		.amdhsa_enable_private_segment 0
		.amdhsa_system_sgpr_workgroup_id_x 1
		.amdhsa_system_sgpr_workgroup_id_y 0
		.amdhsa_system_sgpr_workgroup_id_z 0
		.amdhsa_system_sgpr_workgroup_info 0
		.amdhsa_system_vgpr_workitem_id 0
		.amdhsa_next_free_vgpr 1
		.amdhsa_next_free_sgpr 1
		.amdhsa_named_barrier_count 0
		.amdhsa_reserve_vcc 0
		.amdhsa_float_round_mode_32 0
		.amdhsa_float_round_mode_16_64 0
		.amdhsa_float_denorm_mode_32 3
		.amdhsa_float_denorm_mode_16_64 3
		.amdhsa_fp16_overflow 0
		.amdhsa_memory_ordered 1
		.amdhsa_forward_progress 1
		.amdhsa_inst_pref_size 0
		.amdhsa_round_robin_scheduling 0
		.amdhsa_exception_fp_ieee_invalid_op 0
		.amdhsa_exception_fp_denorm_src 0
		.amdhsa_exception_fp_ieee_div_zero 0
		.amdhsa_exception_fp_ieee_overflow 0
		.amdhsa_exception_fp_ieee_underflow 0
		.amdhsa_exception_fp_ieee_inexact 0
		.amdhsa_exception_int_div_zero 0
	.end_amdhsa_kernel
	.section	.text._ZN7rocprim17ROCPRIM_400000_NS6detail17trampoline_kernelINS0_14default_configENS1_38merge_sort_block_merge_config_selectorImNS0_10empty_typeEEEZZNS1_27merge_sort_block_merge_implIS3_PmPS5_jNS1_19radix_merge_compareILb0ELb0EmNS0_19identity_decomposerEEEEE10hipError_tT0_T1_T2_jT3_P12ihipStream_tbPNSt15iterator_traitsISE_E10value_typeEPNSK_ISF_E10value_typeEPSG_NS1_7vsmem_tEENKUlT_SE_SF_SG_E_clIS8_S8_S9_S9_EESD_ST_SE_SF_SG_EUlST_E0_NS1_11comp_targetILNS1_3genE2ELNS1_11target_archE906ELNS1_3gpuE6ELNS1_3repE0EEENS1_38merge_mergepath_config_static_selectorELNS0_4arch9wavefront6targetE0EEEvSF_,"axG",@progbits,_ZN7rocprim17ROCPRIM_400000_NS6detail17trampoline_kernelINS0_14default_configENS1_38merge_sort_block_merge_config_selectorImNS0_10empty_typeEEEZZNS1_27merge_sort_block_merge_implIS3_PmPS5_jNS1_19radix_merge_compareILb0ELb0EmNS0_19identity_decomposerEEEEE10hipError_tT0_T1_T2_jT3_P12ihipStream_tbPNSt15iterator_traitsISE_E10value_typeEPNSK_ISF_E10value_typeEPSG_NS1_7vsmem_tEENKUlT_SE_SF_SG_E_clIS8_S8_S9_S9_EESD_ST_SE_SF_SG_EUlST_E0_NS1_11comp_targetILNS1_3genE2ELNS1_11target_archE906ELNS1_3gpuE6ELNS1_3repE0EEENS1_38merge_mergepath_config_static_selectorELNS0_4arch9wavefront6targetE0EEEvSF_,comdat
.Lfunc_end2938:
	.size	_ZN7rocprim17ROCPRIM_400000_NS6detail17trampoline_kernelINS0_14default_configENS1_38merge_sort_block_merge_config_selectorImNS0_10empty_typeEEEZZNS1_27merge_sort_block_merge_implIS3_PmPS5_jNS1_19radix_merge_compareILb0ELb0EmNS0_19identity_decomposerEEEEE10hipError_tT0_T1_T2_jT3_P12ihipStream_tbPNSt15iterator_traitsISE_E10value_typeEPNSK_ISF_E10value_typeEPSG_NS1_7vsmem_tEENKUlT_SE_SF_SG_E_clIS8_S8_S9_S9_EESD_ST_SE_SF_SG_EUlST_E0_NS1_11comp_targetILNS1_3genE2ELNS1_11target_archE906ELNS1_3gpuE6ELNS1_3repE0EEENS1_38merge_mergepath_config_static_selectorELNS0_4arch9wavefront6targetE0EEEvSF_, .Lfunc_end2938-_ZN7rocprim17ROCPRIM_400000_NS6detail17trampoline_kernelINS0_14default_configENS1_38merge_sort_block_merge_config_selectorImNS0_10empty_typeEEEZZNS1_27merge_sort_block_merge_implIS3_PmPS5_jNS1_19radix_merge_compareILb0ELb0EmNS0_19identity_decomposerEEEEE10hipError_tT0_T1_T2_jT3_P12ihipStream_tbPNSt15iterator_traitsISE_E10value_typeEPNSK_ISF_E10value_typeEPSG_NS1_7vsmem_tEENKUlT_SE_SF_SG_E_clIS8_S8_S9_S9_EESD_ST_SE_SF_SG_EUlST_E0_NS1_11comp_targetILNS1_3genE2ELNS1_11target_archE906ELNS1_3gpuE6ELNS1_3repE0EEENS1_38merge_mergepath_config_static_selectorELNS0_4arch9wavefront6targetE0EEEvSF_
                                        ; -- End function
	.set _ZN7rocprim17ROCPRIM_400000_NS6detail17trampoline_kernelINS0_14default_configENS1_38merge_sort_block_merge_config_selectorImNS0_10empty_typeEEEZZNS1_27merge_sort_block_merge_implIS3_PmPS5_jNS1_19radix_merge_compareILb0ELb0EmNS0_19identity_decomposerEEEEE10hipError_tT0_T1_T2_jT3_P12ihipStream_tbPNSt15iterator_traitsISE_E10value_typeEPNSK_ISF_E10value_typeEPSG_NS1_7vsmem_tEENKUlT_SE_SF_SG_E_clIS8_S8_S9_S9_EESD_ST_SE_SF_SG_EUlST_E0_NS1_11comp_targetILNS1_3genE2ELNS1_11target_archE906ELNS1_3gpuE6ELNS1_3repE0EEENS1_38merge_mergepath_config_static_selectorELNS0_4arch9wavefront6targetE0EEEvSF_.num_vgpr, 0
	.set _ZN7rocprim17ROCPRIM_400000_NS6detail17trampoline_kernelINS0_14default_configENS1_38merge_sort_block_merge_config_selectorImNS0_10empty_typeEEEZZNS1_27merge_sort_block_merge_implIS3_PmPS5_jNS1_19radix_merge_compareILb0ELb0EmNS0_19identity_decomposerEEEEE10hipError_tT0_T1_T2_jT3_P12ihipStream_tbPNSt15iterator_traitsISE_E10value_typeEPNSK_ISF_E10value_typeEPSG_NS1_7vsmem_tEENKUlT_SE_SF_SG_E_clIS8_S8_S9_S9_EESD_ST_SE_SF_SG_EUlST_E0_NS1_11comp_targetILNS1_3genE2ELNS1_11target_archE906ELNS1_3gpuE6ELNS1_3repE0EEENS1_38merge_mergepath_config_static_selectorELNS0_4arch9wavefront6targetE0EEEvSF_.num_agpr, 0
	.set _ZN7rocprim17ROCPRIM_400000_NS6detail17trampoline_kernelINS0_14default_configENS1_38merge_sort_block_merge_config_selectorImNS0_10empty_typeEEEZZNS1_27merge_sort_block_merge_implIS3_PmPS5_jNS1_19radix_merge_compareILb0ELb0EmNS0_19identity_decomposerEEEEE10hipError_tT0_T1_T2_jT3_P12ihipStream_tbPNSt15iterator_traitsISE_E10value_typeEPNSK_ISF_E10value_typeEPSG_NS1_7vsmem_tEENKUlT_SE_SF_SG_E_clIS8_S8_S9_S9_EESD_ST_SE_SF_SG_EUlST_E0_NS1_11comp_targetILNS1_3genE2ELNS1_11target_archE906ELNS1_3gpuE6ELNS1_3repE0EEENS1_38merge_mergepath_config_static_selectorELNS0_4arch9wavefront6targetE0EEEvSF_.numbered_sgpr, 0
	.set _ZN7rocprim17ROCPRIM_400000_NS6detail17trampoline_kernelINS0_14default_configENS1_38merge_sort_block_merge_config_selectorImNS0_10empty_typeEEEZZNS1_27merge_sort_block_merge_implIS3_PmPS5_jNS1_19radix_merge_compareILb0ELb0EmNS0_19identity_decomposerEEEEE10hipError_tT0_T1_T2_jT3_P12ihipStream_tbPNSt15iterator_traitsISE_E10value_typeEPNSK_ISF_E10value_typeEPSG_NS1_7vsmem_tEENKUlT_SE_SF_SG_E_clIS8_S8_S9_S9_EESD_ST_SE_SF_SG_EUlST_E0_NS1_11comp_targetILNS1_3genE2ELNS1_11target_archE906ELNS1_3gpuE6ELNS1_3repE0EEENS1_38merge_mergepath_config_static_selectorELNS0_4arch9wavefront6targetE0EEEvSF_.num_named_barrier, 0
	.set _ZN7rocprim17ROCPRIM_400000_NS6detail17trampoline_kernelINS0_14default_configENS1_38merge_sort_block_merge_config_selectorImNS0_10empty_typeEEEZZNS1_27merge_sort_block_merge_implIS3_PmPS5_jNS1_19radix_merge_compareILb0ELb0EmNS0_19identity_decomposerEEEEE10hipError_tT0_T1_T2_jT3_P12ihipStream_tbPNSt15iterator_traitsISE_E10value_typeEPNSK_ISF_E10value_typeEPSG_NS1_7vsmem_tEENKUlT_SE_SF_SG_E_clIS8_S8_S9_S9_EESD_ST_SE_SF_SG_EUlST_E0_NS1_11comp_targetILNS1_3genE2ELNS1_11target_archE906ELNS1_3gpuE6ELNS1_3repE0EEENS1_38merge_mergepath_config_static_selectorELNS0_4arch9wavefront6targetE0EEEvSF_.private_seg_size, 0
	.set _ZN7rocprim17ROCPRIM_400000_NS6detail17trampoline_kernelINS0_14default_configENS1_38merge_sort_block_merge_config_selectorImNS0_10empty_typeEEEZZNS1_27merge_sort_block_merge_implIS3_PmPS5_jNS1_19radix_merge_compareILb0ELb0EmNS0_19identity_decomposerEEEEE10hipError_tT0_T1_T2_jT3_P12ihipStream_tbPNSt15iterator_traitsISE_E10value_typeEPNSK_ISF_E10value_typeEPSG_NS1_7vsmem_tEENKUlT_SE_SF_SG_E_clIS8_S8_S9_S9_EESD_ST_SE_SF_SG_EUlST_E0_NS1_11comp_targetILNS1_3genE2ELNS1_11target_archE906ELNS1_3gpuE6ELNS1_3repE0EEENS1_38merge_mergepath_config_static_selectorELNS0_4arch9wavefront6targetE0EEEvSF_.uses_vcc, 0
	.set _ZN7rocprim17ROCPRIM_400000_NS6detail17trampoline_kernelINS0_14default_configENS1_38merge_sort_block_merge_config_selectorImNS0_10empty_typeEEEZZNS1_27merge_sort_block_merge_implIS3_PmPS5_jNS1_19radix_merge_compareILb0ELb0EmNS0_19identity_decomposerEEEEE10hipError_tT0_T1_T2_jT3_P12ihipStream_tbPNSt15iterator_traitsISE_E10value_typeEPNSK_ISF_E10value_typeEPSG_NS1_7vsmem_tEENKUlT_SE_SF_SG_E_clIS8_S8_S9_S9_EESD_ST_SE_SF_SG_EUlST_E0_NS1_11comp_targetILNS1_3genE2ELNS1_11target_archE906ELNS1_3gpuE6ELNS1_3repE0EEENS1_38merge_mergepath_config_static_selectorELNS0_4arch9wavefront6targetE0EEEvSF_.uses_flat_scratch, 0
	.set _ZN7rocprim17ROCPRIM_400000_NS6detail17trampoline_kernelINS0_14default_configENS1_38merge_sort_block_merge_config_selectorImNS0_10empty_typeEEEZZNS1_27merge_sort_block_merge_implIS3_PmPS5_jNS1_19radix_merge_compareILb0ELb0EmNS0_19identity_decomposerEEEEE10hipError_tT0_T1_T2_jT3_P12ihipStream_tbPNSt15iterator_traitsISE_E10value_typeEPNSK_ISF_E10value_typeEPSG_NS1_7vsmem_tEENKUlT_SE_SF_SG_E_clIS8_S8_S9_S9_EESD_ST_SE_SF_SG_EUlST_E0_NS1_11comp_targetILNS1_3genE2ELNS1_11target_archE906ELNS1_3gpuE6ELNS1_3repE0EEENS1_38merge_mergepath_config_static_selectorELNS0_4arch9wavefront6targetE0EEEvSF_.has_dyn_sized_stack, 0
	.set _ZN7rocprim17ROCPRIM_400000_NS6detail17trampoline_kernelINS0_14default_configENS1_38merge_sort_block_merge_config_selectorImNS0_10empty_typeEEEZZNS1_27merge_sort_block_merge_implIS3_PmPS5_jNS1_19radix_merge_compareILb0ELb0EmNS0_19identity_decomposerEEEEE10hipError_tT0_T1_T2_jT3_P12ihipStream_tbPNSt15iterator_traitsISE_E10value_typeEPNSK_ISF_E10value_typeEPSG_NS1_7vsmem_tEENKUlT_SE_SF_SG_E_clIS8_S8_S9_S9_EESD_ST_SE_SF_SG_EUlST_E0_NS1_11comp_targetILNS1_3genE2ELNS1_11target_archE906ELNS1_3gpuE6ELNS1_3repE0EEENS1_38merge_mergepath_config_static_selectorELNS0_4arch9wavefront6targetE0EEEvSF_.has_recursion, 0
	.set _ZN7rocprim17ROCPRIM_400000_NS6detail17trampoline_kernelINS0_14default_configENS1_38merge_sort_block_merge_config_selectorImNS0_10empty_typeEEEZZNS1_27merge_sort_block_merge_implIS3_PmPS5_jNS1_19radix_merge_compareILb0ELb0EmNS0_19identity_decomposerEEEEE10hipError_tT0_T1_T2_jT3_P12ihipStream_tbPNSt15iterator_traitsISE_E10value_typeEPNSK_ISF_E10value_typeEPSG_NS1_7vsmem_tEENKUlT_SE_SF_SG_E_clIS8_S8_S9_S9_EESD_ST_SE_SF_SG_EUlST_E0_NS1_11comp_targetILNS1_3genE2ELNS1_11target_archE906ELNS1_3gpuE6ELNS1_3repE0EEENS1_38merge_mergepath_config_static_selectorELNS0_4arch9wavefront6targetE0EEEvSF_.has_indirect_call, 0
	.section	.AMDGPU.csdata,"",@progbits
; Kernel info:
; codeLenInByte = 0
; TotalNumSgprs: 0
; NumVgprs: 0
; ScratchSize: 0
; MemoryBound: 0
; FloatMode: 240
; IeeeMode: 1
; LDSByteSize: 0 bytes/workgroup (compile time only)
; SGPRBlocks: 0
; VGPRBlocks: 0
; NumSGPRsForWavesPerEU: 1
; NumVGPRsForWavesPerEU: 1
; NamedBarCnt: 0
; Occupancy: 16
; WaveLimiterHint : 0
; COMPUTE_PGM_RSRC2:SCRATCH_EN: 0
; COMPUTE_PGM_RSRC2:USER_SGPR: 2
; COMPUTE_PGM_RSRC2:TRAP_HANDLER: 0
; COMPUTE_PGM_RSRC2:TGID_X_EN: 1
; COMPUTE_PGM_RSRC2:TGID_Y_EN: 0
; COMPUTE_PGM_RSRC2:TGID_Z_EN: 0
; COMPUTE_PGM_RSRC2:TIDIG_COMP_CNT: 0
	.section	.text._ZN7rocprim17ROCPRIM_400000_NS6detail17trampoline_kernelINS0_14default_configENS1_38merge_sort_block_merge_config_selectorImNS0_10empty_typeEEEZZNS1_27merge_sort_block_merge_implIS3_PmPS5_jNS1_19radix_merge_compareILb0ELb0EmNS0_19identity_decomposerEEEEE10hipError_tT0_T1_T2_jT3_P12ihipStream_tbPNSt15iterator_traitsISE_E10value_typeEPNSK_ISF_E10value_typeEPSG_NS1_7vsmem_tEENKUlT_SE_SF_SG_E_clIS8_S8_S9_S9_EESD_ST_SE_SF_SG_EUlST_E0_NS1_11comp_targetILNS1_3genE9ELNS1_11target_archE1100ELNS1_3gpuE3ELNS1_3repE0EEENS1_38merge_mergepath_config_static_selectorELNS0_4arch9wavefront6targetE0EEEvSF_,"axG",@progbits,_ZN7rocprim17ROCPRIM_400000_NS6detail17trampoline_kernelINS0_14default_configENS1_38merge_sort_block_merge_config_selectorImNS0_10empty_typeEEEZZNS1_27merge_sort_block_merge_implIS3_PmPS5_jNS1_19radix_merge_compareILb0ELb0EmNS0_19identity_decomposerEEEEE10hipError_tT0_T1_T2_jT3_P12ihipStream_tbPNSt15iterator_traitsISE_E10value_typeEPNSK_ISF_E10value_typeEPSG_NS1_7vsmem_tEENKUlT_SE_SF_SG_E_clIS8_S8_S9_S9_EESD_ST_SE_SF_SG_EUlST_E0_NS1_11comp_targetILNS1_3genE9ELNS1_11target_archE1100ELNS1_3gpuE3ELNS1_3repE0EEENS1_38merge_mergepath_config_static_selectorELNS0_4arch9wavefront6targetE0EEEvSF_,comdat
	.protected	_ZN7rocprim17ROCPRIM_400000_NS6detail17trampoline_kernelINS0_14default_configENS1_38merge_sort_block_merge_config_selectorImNS0_10empty_typeEEEZZNS1_27merge_sort_block_merge_implIS3_PmPS5_jNS1_19radix_merge_compareILb0ELb0EmNS0_19identity_decomposerEEEEE10hipError_tT0_T1_T2_jT3_P12ihipStream_tbPNSt15iterator_traitsISE_E10value_typeEPNSK_ISF_E10value_typeEPSG_NS1_7vsmem_tEENKUlT_SE_SF_SG_E_clIS8_S8_S9_S9_EESD_ST_SE_SF_SG_EUlST_E0_NS1_11comp_targetILNS1_3genE9ELNS1_11target_archE1100ELNS1_3gpuE3ELNS1_3repE0EEENS1_38merge_mergepath_config_static_selectorELNS0_4arch9wavefront6targetE0EEEvSF_ ; -- Begin function _ZN7rocprim17ROCPRIM_400000_NS6detail17trampoline_kernelINS0_14default_configENS1_38merge_sort_block_merge_config_selectorImNS0_10empty_typeEEEZZNS1_27merge_sort_block_merge_implIS3_PmPS5_jNS1_19radix_merge_compareILb0ELb0EmNS0_19identity_decomposerEEEEE10hipError_tT0_T1_T2_jT3_P12ihipStream_tbPNSt15iterator_traitsISE_E10value_typeEPNSK_ISF_E10value_typeEPSG_NS1_7vsmem_tEENKUlT_SE_SF_SG_E_clIS8_S8_S9_S9_EESD_ST_SE_SF_SG_EUlST_E0_NS1_11comp_targetILNS1_3genE9ELNS1_11target_archE1100ELNS1_3gpuE3ELNS1_3repE0EEENS1_38merge_mergepath_config_static_selectorELNS0_4arch9wavefront6targetE0EEEvSF_
	.globl	_ZN7rocprim17ROCPRIM_400000_NS6detail17trampoline_kernelINS0_14default_configENS1_38merge_sort_block_merge_config_selectorImNS0_10empty_typeEEEZZNS1_27merge_sort_block_merge_implIS3_PmPS5_jNS1_19radix_merge_compareILb0ELb0EmNS0_19identity_decomposerEEEEE10hipError_tT0_T1_T2_jT3_P12ihipStream_tbPNSt15iterator_traitsISE_E10value_typeEPNSK_ISF_E10value_typeEPSG_NS1_7vsmem_tEENKUlT_SE_SF_SG_E_clIS8_S8_S9_S9_EESD_ST_SE_SF_SG_EUlST_E0_NS1_11comp_targetILNS1_3genE9ELNS1_11target_archE1100ELNS1_3gpuE3ELNS1_3repE0EEENS1_38merge_mergepath_config_static_selectorELNS0_4arch9wavefront6targetE0EEEvSF_
	.p2align	8
	.type	_ZN7rocprim17ROCPRIM_400000_NS6detail17trampoline_kernelINS0_14default_configENS1_38merge_sort_block_merge_config_selectorImNS0_10empty_typeEEEZZNS1_27merge_sort_block_merge_implIS3_PmPS5_jNS1_19radix_merge_compareILb0ELb0EmNS0_19identity_decomposerEEEEE10hipError_tT0_T1_T2_jT3_P12ihipStream_tbPNSt15iterator_traitsISE_E10value_typeEPNSK_ISF_E10value_typeEPSG_NS1_7vsmem_tEENKUlT_SE_SF_SG_E_clIS8_S8_S9_S9_EESD_ST_SE_SF_SG_EUlST_E0_NS1_11comp_targetILNS1_3genE9ELNS1_11target_archE1100ELNS1_3gpuE3ELNS1_3repE0EEENS1_38merge_mergepath_config_static_selectorELNS0_4arch9wavefront6targetE0EEEvSF_,@function
_ZN7rocprim17ROCPRIM_400000_NS6detail17trampoline_kernelINS0_14default_configENS1_38merge_sort_block_merge_config_selectorImNS0_10empty_typeEEEZZNS1_27merge_sort_block_merge_implIS3_PmPS5_jNS1_19radix_merge_compareILb0ELb0EmNS0_19identity_decomposerEEEEE10hipError_tT0_T1_T2_jT3_P12ihipStream_tbPNSt15iterator_traitsISE_E10value_typeEPNSK_ISF_E10value_typeEPSG_NS1_7vsmem_tEENKUlT_SE_SF_SG_E_clIS8_S8_S9_S9_EESD_ST_SE_SF_SG_EUlST_E0_NS1_11comp_targetILNS1_3genE9ELNS1_11target_archE1100ELNS1_3gpuE3ELNS1_3repE0EEENS1_38merge_mergepath_config_static_selectorELNS0_4arch9wavefront6targetE0EEEvSF_: ; @_ZN7rocprim17ROCPRIM_400000_NS6detail17trampoline_kernelINS0_14default_configENS1_38merge_sort_block_merge_config_selectorImNS0_10empty_typeEEEZZNS1_27merge_sort_block_merge_implIS3_PmPS5_jNS1_19radix_merge_compareILb0ELb0EmNS0_19identity_decomposerEEEEE10hipError_tT0_T1_T2_jT3_P12ihipStream_tbPNSt15iterator_traitsISE_E10value_typeEPNSK_ISF_E10value_typeEPSG_NS1_7vsmem_tEENKUlT_SE_SF_SG_E_clIS8_S8_S9_S9_EESD_ST_SE_SF_SG_EUlST_E0_NS1_11comp_targetILNS1_3genE9ELNS1_11target_archE1100ELNS1_3gpuE3ELNS1_3repE0EEENS1_38merge_mergepath_config_static_selectorELNS0_4arch9wavefront6targetE0EEEvSF_
; %bb.0:
	.section	.rodata,"a",@progbits
	.p2align	6, 0x0
	.amdhsa_kernel _ZN7rocprim17ROCPRIM_400000_NS6detail17trampoline_kernelINS0_14default_configENS1_38merge_sort_block_merge_config_selectorImNS0_10empty_typeEEEZZNS1_27merge_sort_block_merge_implIS3_PmPS5_jNS1_19radix_merge_compareILb0ELb0EmNS0_19identity_decomposerEEEEE10hipError_tT0_T1_T2_jT3_P12ihipStream_tbPNSt15iterator_traitsISE_E10value_typeEPNSK_ISF_E10value_typeEPSG_NS1_7vsmem_tEENKUlT_SE_SF_SG_E_clIS8_S8_S9_S9_EESD_ST_SE_SF_SG_EUlST_E0_NS1_11comp_targetILNS1_3genE9ELNS1_11target_archE1100ELNS1_3gpuE3ELNS1_3repE0EEENS1_38merge_mergepath_config_static_selectorELNS0_4arch9wavefront6targetE0EEEvSF_
		.amdhsa_group_segment_fixed_size 0
		.amdhsa_private_segment_fixed_size 0
		.amdhsa_kernarg_size 64
		.amdhsa_user_sgpr_count 2
		.amdhsa_user_sgpr_dispatch_ptr 0
		.amdhsa_user_sgpr_queue_ptr 0
		.amdhsa_user_sgpr_kernarg_segment_ptr 1
		.amdhsa_user_sgpr_dispatch_id 0
		.amdhsa_user_sgpr_kernarg_preload_length 0
		.amdhsa_user_sgpr_kernarg_preload_offset 0
		.amdhsa_user_sgpr_private_segment_size 0
		.amdhsa_wavefront_size32 1
		.amdhsa_uses_dynamic_stack 0
		.amdhsa_enable_private_segment 0
		.amdhsa_system_sgpr_workgroup_id_x 1
		.amdhsa_system_sgpr_workgroup_id_y 0
		.amdhsa_system_sgpr_workgroup_id_z 0
		.amdhsa_system_sgpr_workgroup_info 0
		.amdhsa_system_vgpr_workitem_id 0
		.amdhsa_next_free_vgpr 1
		.amdhsa_next_free_sgpr 1
		.amdhsa_named_barrier_count 0
		.amdhsa_reserve_vcc 0
		.amdhsa_float_round_mode_32 0
		.amdhsa_float_round_mode_16_64 0
		.amdhsa_float_denorm_mode_32 3
		.amdhsa_float_denorm_mode_16_64 3
		.amdhsa_fp16_overflow 0
		.amdhsa_memory_ordered 1
		.amdhsa_forward_progress 1
		.amdhsa_inst_pref_size 0
		.amdhsa_round_robin_scheduling 0
		.amdhsa_exception_fp_ieee_invalid_op 0
		.amdhsa_exception_fp_denorm_src 0
		.amdhsa_exception_fp_ieee_div_zero 0
		.amdhsa_exception_fp_ieee_overflow 0
		.amdhsa_exception_fp_ieee_underflow 0
		.amdhsa_exception_fp_ieee_inexact 0
		.amdhsa_exception_int_div_zero 0
	.end_amdhsa_kernel
	.section	.text._ZN7rocprim17ROCPRIM_400000_NS6detail17trampoline_kernelINS0_14default_configENS1_38merge_sort_block_merge_config_selectorImNS0_10empty_typeEEEZZNS1_27merge_sort_block_merge_implIS3_PmPS5_jNS1_19radix_merge_compareILb0ELb0EmNS0_19identity_decomposerEEEEE10hipError_tT0_T1_T2_jT3_P12ihipStream_tbPNSt15iterator_traitsISE_E10value_typeEPNSK_ISF_E10value_typeEPSG_NS1_7vsmem_tEENKUlT_SE_SF_SG_E_clIS8_S8_S9_S9_EESD_ST_SE_SF_SG_EUlST_E0_NS1_11comp_targetILNS1_3genE9ELNS1_11target_archE1100ELNS1_3gpuE3ELNS1_3repE0EEENS1_38merge_mergepath_config_static_selectorELNS0_4arch9wavefront6targetE0EEEvSF_,"axG",@progbits,_ZN7rocprim17ROCPRIM_400000_NS6detail17trampoline_kernelINS0_14default_configENS1_38merge_sort_block_merge_config_selectorImNS0_10empty_typeEEEZZNS1_27merge_sort_block_merge_implIS3_PmPS5_jNS1_19radix_merge_compareILb0ELb0EmNS0_19identity_decomposerEEEEE10hipError_tT0_T1_T2_jT3_P12ihipStream_tbPNSt15iterator_traitsISE_E10value_typeEPNSK_ISF_E10value_typeEPSG_NS1_7vsmem_tEENKUlT_SE_SF_SG_E_clIS8_S8_S9_S9_EESD_ST_SE_SF_SG_EUlST_E0_NS1_11comp_targetILNS1_3genE9ELNS1_11target_archE1100ELNS1_3gpuE3ELNS1_3repE0EEENS1_38merge_mergepath_config_static_selectorELNS0_4arch9wavefront6targetE0EEEvSF_,comdat
.Lfunc_end2939:
	.size	_ZN7rocprim17ROCPRIM_400000_NS6detail17trampoline_kernelINS0_14default_configENS1_38merge_sort_block_merge_config_selectorImNS0_10empty_typeEEEZZNS1_27merge_sort_block_merge_implIS3_PmPS5_jNS1_19radix_merge_compareILb0ELb0EmNS0_19identity_decomposerEEEEE10hipError_tT0_T1_T2_jT3_P12ihipStream_tbPNSt15iterator_traitsISE_E10value_typeEPNSK_ISF_E10value_typeEPSG_NS1_7vsmem_tEENKUlT_SE_SF_SG_E_clIS8_S8_S9_S9_EESD_ST_SE_SF_SG_EUlST_E0_NS1_11comp_targetILNS1_3genE9ELNS1_11target_archE1100ELNS1_3gpuE3ELNS1_3repE0EEENS1_38merge_mergepath_config_static_selectorELNS0_4arch9wavefront6targetE0EEEvSF_, .Lfunc_end2939-_ZN7rocprim17ROCPRIM_400000_NS6detail17trampoline_kernelINS0_14default_configENS1_38merge_sort_block_merge_config_selectorImNS0_10empty_typeEEEZZNS1_27merge_sort_block_merge_implIS3_PmPS5_jNS1_19radix_merge_compareILb0ELb0EmNS0_19identity_decomposerEEEEE10hipError_tT0_T1_T2_jT3_P12ihipStream_tbPNSt15iterator_traitsISE_E10value_typeEPNSK_ISF_E10value_typeEPSG_NS1_7vsmem_tEENKUlT_SE_SF_SG_E_clIS8_S8_S9_S9_EESD_ST_SE_SF_SG_EUlST_E0_NS1_11comp_targetILNS1_3genE9ELNS1_11target_archE1100ELNS1_3gpuE3ELNS1_3repE0EEENS1_38merge_mergepath_config_static_selectorELNS0_4arch9wavefront6targetE0EEEvSF_
                                        ; -- End function
	.set _ZN7rocprim17ROCPRIM_400000_NS6detail17trampoline_kernelINS0_14default_configENS1_38merge_sort_block_merge_config_selectorImNS0_10empty_typeEEEZZNS1_27merge_sort_block_merge_implIS3_PmPS5_jNS1_19radix_merge_compareILb0ELb0EmNS0_19identity_decomposerEEEEE10hipError_tT0_T1_T2_jT3_P12ihipStream_tbPNSt15iterator_traitsISE_E10value_typeEPNSK_ISF_E10value_typeEPSG_NS1_7vsmem_tEENKUlT_SE_SF_SG_E_clIS8_S8_S9_S9_EESD_ST_SE_SF_SG_EUlST_E0_NS1_11comp_targetILNS1_3genE9ELNS1_11target_archE1100ELNS1_3gpuE3ELNS1_3repE0EEENS1_38merge_mergepath_config_static_selectorELNS0_4arch9wavefront6targetE0EEEvSF_.num_vgpr, 0
	.set _ZN7rocprim17ROCPRIM_400000_NS6detail17trampoline_kernelINS0_14default_configENS1_38merge_sort_block_merge_config_selectorImNS0_10empty_typeEEEZZNS1_27merge_sort_block_merge_implIS3_PmPS5_jNS1_19radix_merge_compareILb0ELb0EmNS0_19identity_decomposerEEEEE10hipError_tT0_T1_T2_jT3_P12ihipStream_tbPNSt15iterator_traitsISE_E10value_typeEPNSK_ISF_E10value_typeEPSG_NS1_7vsmem_tEENKUlT_SE_SF_SG_E_clIS8_S8_S9_S9_EESD_ST_SE_SF_SG_EUlST_E0_NS1_11comp_targetILNS1_3genE9ELNS1_11target_archE1100ELNS1_3gpuE3ELNS1_3repE0EEENS1_38merge_mergepath_config_static_selectorELNS0_4arch9wavefront6targetE0EEEvSF_.num_agpr, 0
	.set _ZN7rocprim17ROCPRIM_400000_NS6detail17trampoline_kernelINS0_14default_configENS1_38merge_sort_block_merge_config_selectorImNS0_10empty_typeEEEZZNS1_27merge_sort_block_merge_implIS3_PmPS5_jNS1_19radix_merge_compareILb0ELb0EmNS0_19identity_decomposerEEEEE10hipError_tT0_T1_T2_jT3_P12ihipStream_tbPNSt15iterator_traitsISE_E10value_typeEPNSK_ISF_E10value_typeEPSG_NS1_7vsmem_tEENKUlT_SE_SF_SG_E_clIS8_S8_S9_S9_EESD_ST_SE_SF_SG_EUlST_E0_NS1_11comp_targetILNS1_3genE9ELNS1_11target_archE1100ELNS1_3gpuE3ELNS1_3repE0EEENS1_38merge_mergepath_config_static_selectorELNS0_4arch9wavefront6targetE0EEEvSF_.numbered_sgpr, 0
	.set _ZN7rocprim17ROCPRIM_400000_NS6detail17trampoline_kernelINS0_14default_configENS1_38merge_sort_block_merge_config_selectorImNS0_10empty_typeEEEZZNS1_27merge_sort_block_merge_implIS3_PmPS5_jNS1_19radix_merge_compareILb0ELb0EmNS0_19identity_decomposerEEEEE10hipError_tT0_T1_T2_jT3_P12ihipStream_tbPNSt15iterator_traitsISE_E10value_typeEPNSK_ISF_E10value_typeEPSG_NS1_7vsmem_tEENKUlT_SE_SF_SG_E_clIS8_S8_S9_S9_EESD_ST_SE_SF_SG_EUlST_E0_NS1_11comp_targetILNS1_3genE9ELNS1_11target_archE1100ELNS1_3gpuE3ELNS1_3repE0EEENS1_38merge_mergepath_config_static_selectorELNS0_4arch9wavefront6targetE0EEEvSF_.num_named_barrier, 0
	.set _ZN7rocprim17ROCPRIM_400000_NS6detail17trampoline_kernelINS0_14default_configENS1_38merge_sort_block_merge_config_selectorImNS0_10empty_typeEEEZZNS1_27merge_sort_block_merge_implIS3_PmPS5_jNS1_19radix_merge_compareILb0ELb0EmNS0_19identity_decomposerEEEEE10hipError_tT0_T1_T2_jT3_P12ihipStream_tbPNSt15iterator_traitsISE_E10value_typeEPNSK_ISF_E10value_typeEPSG_NS1_7vsmem_tEENKUlT_SE_SF_SG_E_clIS8_S8_S9_S9_EESD_ST_SE_SF_SG_EUlST_E0_NS1_11comp_targetILNS1_3genE9ELNS1_11target_archE1100ELNS1_3gpuE3ELNS1_3repE0EEENS1_38merge_mergepath_config_static_selectorELNS0_4arch9wavefront6targetE0EEEvSF_.private_seg_size, 0
	.set _ZN7rocprim17ROCPRIM_400000_NS6detail17trampoline_kernelINS0_14default_configENS1_38merge_sort_block_merge_config_selectorImNS0_10empty_typeEEEZZNS1_27merge_sort_block_merge_implIS3_PmPS5_jNS1_19radix_merge_compareILb0ELb0EmNS0_19identity_decomposerEEEEE10hipError_tT0_T1_T2_jT3_P12ihipStream_tbPNSt15iterator_traitsISE_E10value_typeEPNSK_ISF_E10value_typeEPSG_NS1_7vsmem_tEENKUlT_SE_SF_SG_E_clIS8_S8_S9_S9_EESD_ST_SE_SF_SG_EUlST_E0_NS1_11comp_targetILNS1_3genE9ELNS1_11target_archE1100ELNS1_3gpuE3ELNS1_3repE0EEENS1_38merge_mergepath_config_static_selectorELNS0_4arch9wavefront6targetE0EEEvSF_.uses_vcc, 0
	.set _ZN7rocprim17ROCPRIM_400000_NS6detail17trampoline_kernelINS0_14default_configENS1_38merge_sort_block_merge_config_selectorImNS0_10empty_typeEEEZZNS1_27merge_sort_block_merge_implIS3_PmPS5_jNS1_19radix_merge_compareILb0ELb0EmNS0_19identity_decomposerEEEEE10hipError_tT0_T1_T2_jT3_P12ihipStream_tbPNSt15iterator_traitsISE_E10value_typeEPNSK_ISF_E10value_typeEPSG_NS1_7vsmem_tEENKUlT_SE_SF_SG_E_clIS8_S8_S9_S9_EESD_ST_SE_SF_SG_EUlST_E0_NS1_11comp_targetILNS1_3genE9ELNS1_11target_archE1100ELNS1_3gpuE3ELNS1_3repE0EEENS1_38merge_mergepath_config_static_selectorELNS0_4arch9wavefront6targetE0EEEvSF_.uses_flat_scratch, 0
	.set _ZN7rocprim17ROCPRIM_400000_NS6detail17trampoline_kernelINS0_14default_configENS1_38merge_sort_block_merge_config_selectorImNS0_10empty_typeEEEZZNS1_27merge_sort_block_merge_implIS3_PmPS5_jNS1_19radix_merge_compareILb0ELb0EmNS0_19identity_decomposerEEEEE10hipError_tT0_T1_T2_jT3_P12ihipStream_tbPNSt15iterator_traitsISE_E10value_typeEPNSK_ISF_E10value_typeEPSG_NS1_7vsmem_tEENKUlT_SE_SF_SG_E_clIS8_S8_S9_S9_EESD_ST_SE_SF_SG_EUlST_E0_NS1_11comp_targetILNS1_3genE9ELNS1_11target_archE1100ELNS1_3gpuE3ELNS1_3repE0EEENS1_38merge_mergepath_config_static_selectorELNS0_4arch9wavefront6targetE0EEEvSF_.has_dyn_sized_stack, 0
	.set _ZN7rocprim17ROCPRIM_400000_NS6detail17trampoline_kernelINS0_14default_configENS1_38merge_sort_block_merge_config_selectorImNS0_10empty_typeEEEZZNS1_27merge_sort_block_merge_implIS3_PmPS5_jNS1_19radix_merge_compareILb0ELb0EmNS0_19identity_decomposerEEEEE10hipError_tT0_T1_T2_jT3_P12ihipStream_tbPNSt15iterator_traitsISE_E10value_typeEPNSK_ISF_E10value_typeEPSG_NS1_7vsmem_tEENKUlT_SE_SF_SG_E_clIS8_S8_S9_S9_EESD_ST_SE_SF_SG_EUlST_E0_NS1_11comp_targetILNS1_3genE9ELNS1_11target_archE1100ELNS1_3gpuE3ELNS1_3repE0EEENS1_38merge_mergepath_config_static_selectorELNS0_4arch9wavefront6targetE0EEEvSF_.has_recursion, 0
	.set _ZN7rocprim17ROCPRIM_400000_NS6detail17trampoline_kernelINS0_14default_configENS1_38merge_sort_block_merge_config_selectorImNS0_10empty_typeEEEZZNS1_27merge_sort_block_merge_implIS3_PmPS5_jNS1_19radix_merge_compareILb0ELb0EmNS0_19identity_decomposerEEEEE10hipError_tT0_T1_T2_jT3_P12ihipStream_tbPNSt15iterator_traitsISE_E10value_typeEPNSK_ISF_E10value_typeEPSG_NS1_7vsmem_tEENKUlT_SE_SF_SG_E_clIS8_S8_S9_S9_EESD_ST_SE_SF_SG_EUlST_E0_NS1_11comp_targetILNS1_3genE9ELNS1_11target_archE1100ELNS1_3gpuE3ELNS1_3repE0EEENS1_38merge_mergepath_config_static_selectorELNS0_4arch9wavefront6targetE0EEEvSF_.has_indirect_call, 0
	.section	.AMDGPU.csdata,"",@progbits
; Kernel info:
; codeLenInByte = 0
; TotalNumSgprs: 0
; NumVgprs: 0
; ScratchSize: 0
; MemoryBound: 0
; FloatMode: 240
; IeeeMode: 1
; LDSByteSize: 0 bytes/workgroup (compile time only)
; SGPRBlocks: 0
; VGPRBlocks: 0
; NumSGPRsForWavesPerEU: 1
; NumVGPRsForWavesPerEU: 1
; NamedBarCnt: 0
; Occupancy: 16
; WaveLimiterHint : 0
; COMPUTE_PGM_RSRC2:SCRATCH_EN: 0
; COMPUTE_PGM_RSRC2:USER_SGPR: 2
; COMPUTE_PGM_RSRC2:TRAP_HANDLER: 0
; COMPUTE_PGM_RSRC2:TGID_X_EN: 1
; COMPUTE_PGM_RSRC2:TGID_Y_EN: 0
; COMPUTE_PGM_RSRC2:TGID_Z_EN: 0
; COMPUTE_PGM_RSRC2:TIDIG_COMP_CNT: 0
	.section	.text._ZN7rocprim17ROCPRIM_400000_NS6detail17trampoline_kernelINS0_14default_configENS1_38merge_sort_block_merge_config_selectorImNS0_10empty_typeEEEZZNS1_27merge_sort_block_merge_implIS3_PmPS5_jNS1_19radix_merge_compareILb0ELb0EmNS0_19identity_decomposerEEEEE10hipError_tT0_T1_T2_jT3_P12ihipStream_tbPNSt15iterator_traitsISE_E10value_typeEPNSK_ISF_E10value_typeEPSG_NS1_7vsmem_tEENKUlT_SE_SF_SG_E_clIS8_S8_S9_S9_EESD_ST_SE_SF_SG_EUlST_E0_NS1_11comp_targetILNS1_3genE8ELNS1_11target_archE1030ELNS1_3gpuE2ELNS1_3repE0EEENS1_38merge_mergepath_config_static_selectorELNS0_4arch9wavefront6targetE0EEEvSF_,"axG",@progbits,_ZN7rocprim17ROCPRIM_400000_NS6detail17trampoline_kernelINS0_14default_configENS1_38merge_sort_block_merge_config_selectorImNS0_10empty_typeEEEZZNS1_27merge_sort_block_merge_implIS3_PmPS5_jNS1_19radix_merge_compareILb0ELb0EmNS0_19identity_decomposerEEEEE10hipError_tT0_T1_T2_jT3_P12ihipStream_tbPNSt15iterator_traitsISE_E10value_typeEPNSK_ISF_E10value_typeEPSG_NS1_7vsmem_tEENKUlT_SE_SF_SG_E_clIS8_S8_S9_S9_EESD_ST_SE_SF_SG_EUlST_E0_NS1_11comp_targetILNS1_3genE8ELNS1_11target_archE1030ELNS1_3gpuE2ELNS1_3repE0EEENS1_38merge_mergepath_config_static_selectorELNS0_4arch9wavefront6targetE0EEEvSF_,comdat
	.protected	_ZN7rocprim17ROCPRIM_400000_NS6detail17trampoline_kernelINS0_14default_configENS1_38merge_sort_block_merge_config_selectorImNS0_10empty_typeEEEZZNS1_27merge_sort_block_merge_implIS3_PmPS5_jNS1_19radix_merge_compareILb0ELb0EmNS0_19identity_decomposerEEEEE10hipError_tT0_T1_T2_jT3_P12ihipStream_tbPNSt15iterator_traitsISE_E10value_typeEPNSK_ISF_E10value_typeEPSG_NS1_7vsmem_tEENKUlT_SE_SF_SG_E_clIS8_S8_S9_S9_EESD_ST_SE_SF_SG_EUlST_E0_NS1_11comp_targetILNS1_3genE8ELNS1_11target_archE1030ELNS1_3gpuE2ELNS1_3repE0EEENS1_38merge_mergepath_config_static_selectorELNS0_4arch9wavefront6targetE0EEEvSF_ ; -- Begin function _ZN7rocprim17ROCPRIM_400000_NS6detail17trampoline_kernelINS0_14default_configENS1_38merge_sort_block_merge_config_selectorImNS0_10empty_typeEEEZZNS1_27merge_sort_block_merge_implIS3_PmPS5_jNS1_19radix_merge_compareILb0ELb0EmNS0_19identity_decomposerEEEEE10hipError_tT0_T1_T2_jT3_P12ihipStream_tbPNSt15iterator_traitsISE_E10value_typeEPNSK_ISF_E10value_typeEPSG_NS1_7vsmem_tEENKUlT_SE_SF_SG_E_clIS8_S8_S9_S9_EESD_ST_SE_SF_SG_EUlST_E0_NS1_11comp_targetILNS1_3genE8ELNS1_11target_archE1030ELNS1_3gpuE2ELNS1_3repE0EEENS1_38merge_mergepath_config_static_selectorELNS0_4arch9wavefront6targetE0EEEvSF_
	.globl	_ZN7rocprim17ROCPRIM_400000_NS6detail17trampoline_kernelINS0_14default_configENS1_38merge_sort_block_merge_config_selectorImNS0_10empty_typeEEEZZNS1_27merge_sort_block_merge_implIS3_PmPS5_jNS1_19radix_merge_compareILb0ELb0EmNS0_19identity_decomposerEEEEE10hipError_tT0_T1_T2_jT3_P12ihipStream_tbPNSt15iterator_traitsISE_E10value_typeEPNSK_ISF_E10value_typeEPSG_NS1_7vsmem_tEENKUlT_SE_SF_SG_E_clIS8_S8_S9_S9_EESD_ST_SE_SF_SG_EUlST_E0_NS1_11comp_targetILNS1_3genE8ELNS1_11target_archE1030ELNS1_3gpuE2ELNS1_3repE0EEENS1_38merge_mergepath_config_static_selectorELNS0_4arch9wavefront6targetE0EEEvSF_
	.p2align	8
	.type	_ZN7rocprim17ROCPRIM_400000_NS6detail17trampoline_kernelINS0_14default_configENS1_38merge_sort_block_merge_config_selectorImNS0_10empty_typeEEEZZNS1_27merge_sort_block_merge_implIS3_PmPS5_jNS1_19radix_merge_compareILb0ELb0EmNS0_19identity_decomposerEEEEE10hipError_tT0_T1_T2_jT3_P12ihipStream_tbPNSt15iterator_traitsISE_E10value_typeEPNSK_ISF_E10value_typeEPSG_NS1_7vsmem_tEENKUlT_SE_SF_SG_E_clIS8_S8_S9_S9_EESD_ST_SE_SF_SG_EUlST_E0_NS1_11comp_targetILNS1_3genE8ELNS1_11target_archE1030ELNS1_3gpuE2ELNS1_3repE0EEENS1_38merge_mergepath_config_static_selectorELNS0_4arch9wavefront6targetE0EEEvSF_,@function
_ZN7rocprim17ROCPRIM_400000_NS6detail17trampoline_kernelINS0_14default_configENS1_38merge_sort_block_merge_config_selectorImNS0_10empty_typeEEEZZNS1_27merge_sort_block_merge_implIS3_PmPS5_jNS1_19radix_merge_compareILb0ELb0EmNS0_19identity_decomposerEEEEE10hipError_tT0_T1_T2_jT3_P12ihipStream_tbPNSt15iterator_traitsISE_E10value_typeEPNSK_ISF_E10value_typeEPSG_NS1_7vsmem_tEENKUlT_SE_SF_SG_E_clIS8_S8_S9_S9_EESD_ST_SE_SF_SG_EUlST_E0_NS1_11comp_targetILNS1_3genE8ELNS1_11target_archE1030ELNS1_3gpuE2ELNS1_3repE0EEENS1_38merge_mergepath_config_static_selectorELNS0_4arch9wavefront6targetE0EEEvSF_: ; @_ZN7rocprim17ROCPRIM_400000_NS6detail17trampoline_kernelINS0_14default_configENS1_38merge_sort_block_merge_config_selectorImNS0_10empty_typeEEEZZNS1_27merge_sort_block_merge_implIS3_PmPS5_jNS1_19radix_merge_compareILb0ELb0EmNS0_19identity_decomposerEEEEE10hipError_tT0_T1_T2_jT3_P12ihipStream_tbPNSt15iterator_traitsISE_E10value_typeEPNSK_ISF_E10value_typeEPSG_NS1_7vsmem_tEENKUlT_SE_SF_SG_E_clIS8_S8_S9_S9_EESD_ST_SE_SF_SG_EUlST_E0_NS1_11comp_targetILNS1_3genE8ELNS1_11target_archE1030ELNS1_3gpuE2ELNS1_3repE0EEENS1_38merge_mergepath_config_static_selectorELNS0_4arch9wavefront6targetE0EEEvSF_
; %bb.0:
	.section	.rodata,"a",@progbits
	.p2align	6, 0x0
	.amdhsa_kernel _ZN7rocprim17ROCPRIM_400000_NS6detail17trampoline_kernelINS0_14default_configENS1_38merge_sort_block_merge_config_selectorImNS0_10empty_typeEEEZZNS1_27merge_sort_block_merge_implIS3_PmPS5_jNS1_19radix_merge_compareILb0ELb0EmNS0_19identity_decomposerEEEEE10hipError_tT0_T1_T2_jT3_P12ihipStream_tbPNSt15iterator_traitsISE_E10value_typeEPNSK_ISF_E10value_typeEPSG_NS1_7vsmem_tEENKUlT_SE_SF_SG_E_clIS8_S8_S9_S9_EESD_ST_SE_SF_SG_EUlST_E0_NS1_11comp_targetILNS1_3genE8ELNS1_11target_archE1030ELNS1_3gpuE2ELNS1_3repE0EEENS1_38merge_mergepath_config_static_selectorELNS0_4arch9wavefront6targetE0EEEvSF_
		.amdhsa_group_segment_fixed_size 0
		.amdhsa_private_segment_fixed_size 0
		.amdhsa_kernarg_size 64
		.amdhsa_user_sgpr_count 2
		.amdhsa_user_sgpr_dispatch_ptr 0
		.amdhsa_user_sgpr_queue_ptr 0
		.amdhsa_user_sgpr_kernarg_segment_ptr 1
		.amdhsa_user_sgpr_dispatch_id 0
		.amdhsa_user_sgpr_kernarg_preload_length 0
		.amdhsa_user_sgpr_kernarg_preload_offset 0
		.amdhsa_user_sgpr_private_segment_size 0
		.amdhsa_wavefront_size32 1
		.amdhsa_uses_dynamic_stack 0
		.amdhsa_enable_private_segment 0
		.amdhsa_system_sgpr_workgroup_id_x 1
		.amdhsa_system_sgpr_workgroup_id_y 0
		.amdhsa_system_sgpr_workgroup_id_z 0
		.amdhsa_system_sgpr_workgroup_info 0
		.amdhsa_system_vgpr_workitem_id 0
		.amdhsa_next_free_vgpr 1
		.amdhsa_next_free_sgpr 1
		.amdhsa_named_barrier_count 0
		.amdhsa_reserve_vcc 0
		.amdhsa_float_round_mode_32 0
		.amdhsa_float_round_mode_16_64 0
		.amdhsa_float_denorm_mode_32 3
		.amdhsa_float_denorm_mode_16_64 3
		.amdhsa_fp16_overflow 0
		.amdhsa_memory_ordered 1
		.amdhsa_forward_progress 1
		.amdhsa_inst_pref_size 0
		.amdhsa_round_robin_scheduling 0
		.amdhsa_exception_fp_ieee_invalid_op 0
		.amdhsa_exception_fp_denorm_src 0
		.amdhsa_exception_fp_ieee_div_zero 0
		.amdhsa_exception_fp_ieee_overflow 0
		.amdhsa_exception_fp_ieee_underflow 0
		.amdhsa_exception_fp_ieee_inexact 0
		.amdhsa_exception_int_div_zero 0
	.end_amdhsa_kernel
	.section	.text._ZN7rocprim17ROCPRIM_400000_NS6detail17trampoline_kernelINS0_14default_configENS1_38merge_sort_block_merge_config_selectorImNS0_10empty_typeEEEZZNS1_27merge_sort_block_merge_implIS3_PmPS5_jNS1_19radix_merge_compareILb0ELb0EmNS0_19identity_decomposerEEEEE10hipError_tT0_T1_T2_jT3_P12ihipStream_tbPNSt15iterator_traitsISE_E10value_typeEPNSK_ISF_E10value_typeEPSG_NS1_7vsmem_tEENKUlT_SE_SF_SG_E_clIS8_S8_S9_S9_EESD_ST_SE_SF_SG_EUlST_E0_NS1_11comp_targetILNS1_3genE8ELNS1_11target_archE1030ELNS1_3gpuE2ELNS1_3repE0EEENS1_38merge_mergepath_config_static_selectorELNS0_4arch9wavefront6targetE0EEEvSF_,"axG",@progbits,_ZN7rocprim17ROCPRIM_400000_NS6detail17trampoline_kernelINS0_14default_configENS1_38merge_sort_block_merge_config_selectorImNS0_10empty_typeEEEZZNS1_27merge_sort_block_merge_implIS3_PmPS5_jNS1_19radix_merge_compareILb0ELb0EmNS0_19identity_decomposerEEEEE10hipError_tT0_T1_T2_jT3_P12ihipStream_tbPNSt15iterator_traitsISE_E10value_typeEPNSK_ISF_E10value_typeEPSG_NS1_7vsmem_tEENKUlT_SE_SF_SG_E_clIS8_S8_S9_S9_EESD_ST_SE_SF_SG_EUlST_E0_NS1_11comp_targetILNS1_3genE8ELNS1_11target_archE1030ELNS1_3gpuE2ELNS1_3repE0EEENS1_38merge_mergepath_config_static_selectorELNS0_4arch9wavefront6targetE0EEEvSF_,comdat
.Lfunc_end2940:
	.size	_ZN7rocprim17ROCPRIM_400000_NS6detail17trampoline_kernelINS0_14default_configENS1_38merge_sort_block_merge_config_selectorImNS0_10empty_typeEEEZZNS1_27merge_sort_block_merge_implIS3_PmPS5_jNS1_19radix_merge_compareILb0ELb0EmNS0_19identity_decomposerEEEEE10hipError_tT0_T1_T2_jT3_P12ihipStream_tbPNSt15iterator_traitsISE_E10value_typeEPNSK_ISF_E10value_typeEPSG_NS1_7vsmem_tEENKUlT_SE_SF_SG_E_clIS8_S8_S9_S9_EESD_ST_SE_SF_SG_EUlST_E0_NS1_11comp_targetILNS1_3genE8ELNS1_11target_archE1030ELNS1_3gpuE2ELNS1_3repE0EEENS1_38merge_mergepath_config_static_selectorELNS0_4arch9wavefront6targetE0EEEvSF_, .Lfunc_end2940-_ZN7rocprim17ROCPRIM_400000_NS6detail17trampoline_kernelINS0_14default_configENS1_38merge_sort_block_merge_config_selectorImNS0_10empty_typeEEEZZNS1_27merge_sort_block_merge_implIS3_PmPS5_jNS1_19radix_merge_compareILb0ELb0EmNS0_19identity_decomposerEEEEE10hipError_tT0_T1_T2_jT3_P12ihipStream_tbPNSt15iterator_traitsISE_E10value_typeEPNSK_ISF_E10value_typeEPSG_NS1_7vsmem_tEENKUlT_SE_SF_SG_E_clIS8_S8_S9_S9_EESD_ST_SE_SF_SG_EUlST_E0_NS1_11comp_targetILNS1_3genE8ELNS1_11target_archE1030ELNS1_3gpuE2ELNS1_3repE0EEENS1_38merge_mergepath_config_static_selectorELNS0_4arch9wavefront6targetE0EEEvSF_
                                        ; -- End function
	.set _ZN7rocprim17ROCPRIM_400000_NS6detail17trampoline_kernelINS0_14default_configENS1_38merge_sort_block_merge_config_selectorImNS0_10empty_typeEEEZZNS1_27merge_sort_block_merge_implIS3_PmPS5_jNS1_19radix_merge_compareILb0ELb0EmNS0_19identity_decomposerEEEEE10hipError_tT0_T1_T2_jT3_P12ihipStream_tbPNSt15iterator_traitsISE_E10value_typeEPNSK_ISF_E10value_typeEPSG_NS1_7vsmem_tEENKUlT_SE_SF_SG_E_clIS8_S8_S9_S9_EESD_ST_SE_SF_SG_EUlST_E0_NS1_11comp_targetILNS1_3genE8ELNS1_11target_archE1030ELNS1_3gpuE2ELNS1_3repE0EEENS1_38merge_mergepath_config_static_selectorELNS0_4arch9wavefront6targetE0EEEvSF_.num_vgpr, 0
	.set _ZN7rocprim17ROCPRIM_400000_NS6detail17trampoline_kernelINS0_14default_configENS1_38merge_sort_block_merge_config_selectorImNS0_10empty_typeEEEZZNS1_27merge_sort_block_merge_implIS3_PmPS5_jNS1_19radix_merge_compareILb0ELb0EmNS0_19identity_decomposerEEEEE10hipError_tT0_T1_T2_jT3_P12ihipStream_tbPNSt15iterator_traitsISE_E10value_typeEPNSK_ISF_E10value_typeEPSG_NS1_7vsmem_tEENKUlT_SE_SF_SG_E_clIS8_S8_S9_S9_EESD_ST_SE_SF_SG_EUlST_E0_NS1_11comp_targetILNS1_3genE8ELNS1_11target_archE1030ELNS1_3gpuE2ELNS1_3repE0EEENS1_38merge_mergepath_config_static_selectorELNS0_4arch9wavefront6targetE0EEEvSF_.num_agpr, 0
	.set _ZN7rocprim17ROCPRIM_400000_NS6detail17trampoline_kernelINS0_14default_configENS1_38merge_sort_block_merge_config_selectorImNS0_10empty_typeEEEZZNS1_27merge_sort_block_merge_implIS3_PmPS5_jNS1_19radix_merge_compareILb0ELb0EmNS0_19identity_decomposerEEEEE10hipError_tT0_T1_T2_jT3_P12ihipStream_tbPNSt15iterator_traitsISE_E10value_typeEPNSK_ISF_E10value_typeEPSG_NS1_7vsmem_tEENKUlT_SE_SF_SG_E_clIS8_S8_S9_S9_EESD_ST_SE_SF_SG_EUlST_E0_NS1_11comp_targetILNS1_3genE8ELNS1_11target_archE1030ELNS1_3gpuE2ELNS1_3repE0EEENS1_38merge_mergepath_config_static_selectorELNS0_4arch9wavefront6targetE0EEEvSF_.numbered_sgpr, 0
	.set _ZN7rocprim17ROCPRIM_400000_NS6detail17trampoline_kernelINS0_14default_configENS1_38merge_sort_block_merge_config_selectorImNS0_10empty_typeEEEZZNS1_27merge_sort_block_merge_implIS3_PmPS5_jNS1_19radix_merge_compareILb0ELb0EmNS0_19identity_decomposerEEEEE10hipError_tT0_T1_T2_jT3_P12ihipStream_tbPNSt15iterator_traitsISE_E10value_typeEPNSK_ISF_E10value_typeEPSG_NS1_7vsmem_tEENKUlT_SE_SF_SG_E_clIS8_S8_S9_S9_EESD_ST_SE_SF_SG_EUlST_E0_NS1_11comp_targetILNS1_3genE8ELNS1_11target_archE1030ELNS1_3gpuE2ELNS1_3repE0EEENS1_38merge_mergepath_config_static_selectorELNS0_4arch9wavefront6targetE0EEEvSF_.num_named_barrier, 0
	.set _ZN7rocprim17ROCPRIM_400000_NS6detail17trampoline_kernelINS0_14default_configENS1_38merge_sort_block_merge_config_selectorImNS0_10empty_typeEEEZZNS1_27merge_sort_block_merge_implIS3_PmPS5_jNS1_19radix_merge_compareILb0ELb0EmNS0_19identity_decomposerEEEEE10hipError_tT0_T1_T2_jT3_P12ihipStream_tbPNSt15iterator_traitsISE_E10value_typeEPNSK_ISF_E10value_typeEPSG_NS1_7vsmem_tEENKUlT_SE_SF_SG_E_clIS8_S8_S9_S9_EESD_ST_SE_SF_SG_EUlST_E0_NS1_11comp_targetILNS1_3genE8ELNS1_11target_archE1030ELNS1_3gpuE2ELNS1_3repE0EEENS1_38merge_mergepath_config_static_selectorELNS0_4arch9wavefront6targetE0EEEvSF_.private_seg_size, 0
	.set _ZN7rocprim17ROCPRIM_400000_NS6detail17trampoline_kernelINS0_14default_configENS1_38merge_sort_block_merge_config_selectorImNS0_10empty_typeEEEZZNS1_27merge_sort_block_merge_implIS3_PmPS5_jNS1_19radix_merge_compareILb0ELb0EmNS0_19identity_decomposerEEEEE10hipError_tT0_T1_T2_jT3_P12ihipStream_tbPNSt15iterator_traitsISE_E10value_typeEPNSK_ISF_E10value_typeEPSG_NS1_7vsmem_tEENKUlT_SE_SF_SG_E_clIS8_S8_S9_S9_EESD_ST_SE_SF_SG_EUlST_E0_NS1_11comp_targetILNS1_3genE8ELNS1_11target_archE1030ELNS1_3gpuE2ELNS1_3repE0EEENS1_38merge_mergepath_config_static_selectorELNS0_4arch9wavefront6targetE0EEEvSF_.uses_vcc, 0
	.set _ZN7rocprim17ROCPRIM_400000_NS6detail17trampoline_kernelINS0_14default_configENS1_38merge_sort_block_merge_config_selectorImNS0_10empty_typeEEEZZNS1_27merge_sort_block_merge_implIS3_PmPS5_jNS1_19radix_merge_compareILb0ELb0EmNS0_19identity_decomposerEEEEE10hipError_tT0_T1_T2_jT3_P12ihipStream_tbPNSt15iterator_traitsISE_E10value_typeEPNSK_ISF_E10value_typeEPSG_NS1_7vsmem_tEENKUlT_SE_SF_SG_E_clIS8_S8_S9_S9_EESD_ST_SE_SF_SG_EUlST_E0_NS1_11comp_targetILNS1_3genE8ELNS1_11target_archE1030ELNS1_3gpuE2ELNS1_3repE0EEENS1_38merge_mergepath_config_static_selectorELNS0_4arch9wavefront6targetE0EEEvSF_.uses_flat_scratch, 0
	.set _ZN7rocprim17ROCPRIM_400000_NS6detail17trampoline_kernelINS0_14default_configENS1_38merge_sort_block_merge_config_selectorImNS0_10empty_typeEEEZZNS1_27merge_sort_block_merge_implIS3_PmPS5_jNS1_19radix_merge_compareILb0ELb0EmNS0_19identity_decomposerEEEEE10hipError_tT0_T1_T2_jT3_P12ihipStream_tbPNSt15iterator_traitsISE_E10value_typeEPNSK_ISF_E10value_typeEPSG_NS1_7vsmem_tEENKUlT_SE_SF_SG_E_clIS8_S8_S9_S9_EESD_ST_SE_SF_SG_EUlST_E0_NS1_11comp_targetILNS1_3genE8ELNS1_11target_archE1030ELNS1_3gpuE2ELNS1_3repE0EEENS1_38merge_mergepath_config_static_selectorELNS0_4arch9wavefront6targetE0EEEvSF_.has_dyn_sized_stack, 0
	.set _ZN7rocprim17ROCPRIM_400000_NS6detail17trampoline_kernelINS0_14default_configENS1_38merge_sort_block_merge_config_selectorImNS0_10empty_typeEEEZZNS1_27merge_sort_block_merge_implIS3_PmPS5_jNS1_19radix_merge_compareILb0ELb0EmNS0_19identity_decomposerEEEEE10hipError_tT0_T1_T2_jT3_P12ihipStream_tbPNSt15iterator_traitsISE_E10value_typeEPNSK_ISF_E10value_typeEPSG_NS1_7vsmem_tEENKUlT_SE_SF_SG_E_clIS8_S8_S9_S9_EESD_ST_SE_SF_SG_EUlST_E0_NS1_11comp_targetILNS1_3genE8ELNS1_11target_archE1030ELNS1_3gpuE2ELNS1_3repE0EEENS1_38merge_mergepath_config_static_selectorELNS0_4arch9wavefront6targetE0EEEvSF_.has_recursion, 0
	.set _ZN7rocprim17ROCPRIM_400000_NS6detail17trampoline_kernelINS0_14default_configENS1_38merge_sort_block_merge_config_selectorImNS0_10empty_typeEEEZZNS1_27merge_sort_block_merge_implIS3_PmPS5_jNS1_19radix_merge_compareILb0ELb0EmNS0_19identity_decomposerEEEEE10hipError_tT0_T1_T2_jT3_P12ihipStream_tbPNSt15iterator_traitsISE_E10value_typeEPNSK_ISF_E10value_typeEPSG_NS1_7vsmem_tEENKUlT_SE_SF_SG_E_clIS8_S8_S9_S9_EESD_ST_SE_SF_SG_EUlST_E0_NS1_11comp_targetILNS1_3genE8ELNS1_11target_archE1030ELNS1_3gpuE2ELNS1_3repE0EEENS1_38merge_mergepath_config_static_selectorELNS0_4arch9wavefront6targetE0EEEvSF_.has_indirect_call, 0
	.section	.AMDGPU.csdata,"",@progbits
; Kernel info:
; codeLenInByte = 0
; TotalNumSgprs: 0
; NumVgprs: 0
; ScratchSize: 0
; MemoryBound: 0
; FloatMode: 240
; IeeeMode: 1
; LDSByteSize: 0 bytes/workgroup (compile time only)
; SGPRBlocks: 0
; VGPRBlocks: 0
; NumSGPRsForWavesPerEU: 1
; NumVGPRsForWavesPerEU: 1
; NamedBarCnt: 0
; Occupancy: 16
; WaveLimiterHint : 0
; COMPUTE_PGM_RSRC2:SCRATCH_EN: 0
; COMPUTE_PGM_RSRC2:USER_SGPR: 2
; COMPUTE_PGM_RSRC2:TRAP_HANDLER: 0
; COMPUTE_PGM_RSRC2:TGID_X_EN: 1
; COMPUTE_PGM_RSRC2:TGID_Y_EN: 0
; COMPUTE_PGM_RSRC2:TGID_Z_EN: 0
; COMPUTE_PGM_RSRC2:TIDIG_COMP_CNT: 0
	.section	.text._ZN7rocprim17ROCPRIM_400000_NS6detail17trampoline_kernelINS0_14default_configENS1_38merge_sort_block_merge_config_selectorImNS0_10empty_typeEEEZZNS1_27merge_sort_block_merge_implIS3_PmPS5_jNS1_19radix_merge_compareILb0ELb0EmNS0_19identity_decomposerEEEEE10hipError_tT0_T1_T2_jT3_P12ihipStream_tbPNSt15iterator_traitsISE_E10value_typeEPNSK_ISF_E10value_typeEPSG_NS1_7vsmem_tEENKUlT_SE_SF_SG_E_clIS8_S8_S9_S9_EESD_ST_SE_SF_SG_EUlST_E1_NS1_11comp_targetILNS1_3genE0ELNS1_11target_archE4294967295ELNS1_3gpuE0ELNS1_3repE0EEENS1_36merge_oddeven_config_static_selectorELNS0_4arch9wavefront6targetE0EEEvSF_,"axG",@progbits,_ZN7rocprim17ROCPRIM_400000_NS6detail17trampoline_kernelINS0_14default_configENS1_38merge_sort_block_merge_config_selectorImNS0_10empty_typeEEEZZNS1_27merge_sort_block_merge_implIS3_PmPS5_jNS1_19radix_merge_compareILb0ELb0EmNS0_19identity_decomposerEEEEE10hipError_tT0_T1_T2_jT3_P12ihipStream_tbPNSt15iterator_traitsISE_E10value_typeEPNSK_ISF_E10value_typeEPSG_NS1_7vsmem_tEENKUlT_SE_SF_SG_E_clIS8_S8_S9_S9_EESD_ST_SE_SF_SG_EUlST_E1_NS1_11comp_targetILNS1_3genE0ELNS1_11target_archE4294967295ELNS1_3gpuE0ELNS1_3repE0EEENS1_36merge_oddeven_config_static_selectorELNS0_4arch9wavefront6targetE0EEEvSF_,comdat
	.protected	_ZN7rocprim17ROCPRIM_400000_NS6detail17trampoline_kernelINS0_14default_configENS1_38merge_sort_block_merge_config_selectorImNS0_10empty_typeEEEZZNS1_27merge_sort_block_merge_implIS3_PmPS5_jNS1_19radix_merge_compareILb0ELb0EmNS0_19identity_decomposerEEEEE10hipError_tT0_T1_T2_jT3_P12ihipStream_tbPNSt15iterator_traitsISE_E10value_typeEPNSK_ISF_E10value_typeEPSG_NS1_7vsmem_tEENKUlT_SE_SF_SG_E_clIS8_S8_S9_S9_EESD_ST_SE_SF_SG_EUlST_E1_NS1_11comp_targetILNS1_3genE0ELNS1_11target_archE4294967295ELNS1_3gpuE0ELNS1_3repE0EEENS1_36merge_oddeven_config_static_selectorELNS0_4arch9wavefront6targetE0EEEvSF_ ; -- Begin function _ZN7rocprim17ROCPRIM_400000_NS6detail17trampoline_kernelINS0_14default_configENS1_38merge_sort_block_merge_config_selectorImNS0_10empty_typeEEEZZNS1_27merge_sort_block_merge_implIS3_PmPS5_jNS1_19radix_merge_compareILb0ELb0EmNS0_19identity_decomposerEEEEE10hipError_tT0_T1_T2_jT3_P12ihipStream_tbPNSt15iterator_traitsISE_E10value_typeEPNSK_ISF_E10value_typeEPSG_NS1_7vsmem_tEENKUlT_SE_SF_SG_E_clIS8_S8_S9_S9_EESD_ST_SE_SF_SG_EUlST_E1_NS1_11comp_targetILNS1_3genE0ELNS1_11target_archE4294967295ELNS1_3gpuE0ELNS1_3repE0EEENS1_36merge_oddeven_config_static_selectorELNS0_4arch9wavefront6targetE0EEEvSF_
	.globl	_ZN7rocprim17ROCPRIM_400000_NS6detail17trampoline_kernelINS0_14default_configENS1_38merge_sort_block_merge_config_selectorImNS0_10empty_typeEEEZZNS1_27merge_sort_block_merge_implIS3_PmPS5_jNS1_19radix_merge_compareILb0ELb0EmNS0_19identity_decomposerEEEEE10hipError_tT0_T1_T2_jT3_P12ihipStream_tbPNSt15iterator_traitsISE_E10value_typeEPNSK_ISF_E10value_typeEPSG_NS1_7vsmem_tEENKUlT_SE_SF_SG_E_clIS8_S8_S9_S9_EESD_ST_SE_SF_SG_EUlST_E1_NS1_11comp_targetILNS1_3genE0ELNS1_11target_archE4294967295ELNS1_3gpuE0ELNS1_3repE0EEENS1_36merge_oddeven_config_static_selectorELNS0_4arch9wavefront6targetE0EEEvSF_
	.p2align	8
	.type	_ZN7rocprim17ROCPRIM_400000_NS6detail17trampoline_kernelINS0_14default_configENS1_38merge_sort_block_merge_config_selectorImNS0_10empty_typeEEEZZNS1_27merge_sort_block_merge_implIS3_PmPS5_jNS1_19radix_merge_compareILb0ELb0EmNS0_19identity_decomposerEEEEE10hipError_tT0_T1_T2_jT3_P12ihipStream_tbPNSt15iterator_traitsISE_E10value_typeEPNSK_ISF_E10value_typeEPSG_NS1_7vsmem_tEENKUlT_SE_SF_SG_E_clIS8_S8_S9_S9_EESD_ST_SE_SF_SG_EUlST_E1_NS1_11comp_targetILNS1_3genE0ELNS1_11target_archE4294967295ELNS1_3gpuE0ELNS1_3repE0EEENS1_36merge_oddeven_config_static_selectorELNS0_4arch9wavefront6targetE0EEEvSF_,@function
_ZN7rocprim17ROCPRIM_400000_NS6detail17trampoline_kernelINS0_14default_configENS1_38merge_sort_block_merge_config_selectorImNS0_10empty_typeEEEZZNS1_27merge_sort_block_merge_implIS3_PmPS5_jNS1_19radix_merge_compareILb0ELb0EmNS0_19identity_decomposerEEEEE10hipError_tT0_T1_T2_jT3_P12ihipStream_tbPNSt15iterator_traitsISE_E10value_typeEPNSK_ISF_E10value_typeEPSG_NS1_7vsmem_tEENKUlT_SE_SF_SG_E_clIS8_S8_S9_S9_EESD_ST_SE_SF_SG_EUlST_E1_NS1_11comp_targetILNS1_3genE0ELNS1_11target_archE4294967295ELNS1_3gpuE0ELNS1_3repE0EEENS1_36merge_oddeven_config_static_selectorELNS0_4arch9wavefront6targetE0EEEvSF_: ; @_ZN7rocprim17ROCPRIM_400000_NS6detail17trampoline_kernelINS0_14default_configENS1_38merge_sort_block_merge_config_selectorImNS0_10empty_typeEEEZZNS1_27merge_sort_block_merge_implIS3_PmPS5_jNS1_19radix_merge_compareILb0ELb0EmNS0_19identity_decomposerEEEEE10hipError_tT0_T1_T2_jT3_P12ihipStream_tbPNSt15iterator_traitsISE_E10value_typeEPNSK_ISF_E10value_typeEPSG_NS1_7vsmem_tEENKUlT_SE_SF_SG_E_clIS8_S8_S9_S9_EESD_ST_SE_SF_SG_EUlST_E1_NS1_11comp_targetILNS1_3genE0ELNS1_11target_archE4294967295ELNS1_3gpuE0ELNS1_3repE0EEENS1_36merge_oddeven_config_static_selectorELNS0_4arch9wavefront6targetE0EEEvSF_
; %bb.0:
	s_load_b32 s10, s[0:1], 0x20
	s_bfe_u32 s2, ttmp6, 0x4000c
	s_and_b32 s3, ttmp6, 15
	s_add_co_i32 s2, s2, 1
	s_getreg_b32 s4, hwreg(HW_REG_IB_STS2, 6, 4)
	s_mul_i32 s2, ttmp9, s2
	s_mov_b32 s9, 0
	s_add_co_i32 s3, s3, s2
	s_cmp_eq_u32 s4, 0
	s_cselect_b32 s13, ttmp9, s3
	s_wait_kmcnt 0x0
	s_lshr_b32 s2, s10, 8
	s_delay_alu instid0(SALU_CYCLE_1) | instskip(SKIP_4) | instid1(SALU_CYCLE_1)
	s_cmp_lg_u32 s13, s2
	s_cselect_b32 s3, -1, 0
	s_cmp_eq_u32 s13, s2
	s_cselect_b32 s11, -1, 0
	s_lshl_b32 s8, s13, 8
	s_sub_co_i32 s2, s10, s8
	s_delay_alu instid0(SALU_CYCLE_1) | instskip(SKIP_1) | instid1(SALU_CYCLE_1)
	v_cmp_gt_u32_e64 s2, s2, v0
	s_or_b32 s4, s3, s2
	s_and_saveexec_b32 s5, s4
	s_cbranch_execz .LBB2941_20
; %bb.1:
	s_clause 0x1
	s_load_b128 s[4:7], s[0:1], 0x0
	s_load_b32 s12, s[0:1], 0x24
	s_lshl_b64 s[14:15], s[8:9], 3
	v_add_nc_u32_e32 v1, s8, v0
	s_wait_kmcnt 0x0
	s_add_nc_u64 s[0:1], s[4:5], s[14:15]
	global_load_b64 v[2:3], v0, s[0:1] scale_offset
	s_wait_xcnt 0x0
	s_lshr_b32 s0, s12, 8
	s_delay_alu instid0(SALU_CYCLE_1) | instskip(NEXT) | instid1(SALU_CYCLE_1)
	s_sub_co_i32 s1, 0, s0
	s_and_b32 s1, s13, s1
	s_delay_alu instid0(SALU_CYCLE_1) | instskip(SKIP_4) | instid1(SALU_CYCLE_1)
	s_and_b32 s0, s1, s0
	s_lshl_b32 s13, s1, 8
	s_sub_co_i32 s1, 0, s12
	s_cmp_eq_u32 s0, 0
	s_cselect_b32 s0, -1, 0
	s_and_b32 s14, s0, exec_lo
	s_cselect_b32 s1, s12, s1
	s_delay_alu instid0(SALU_CYCLE_1) | instskip(NEXT) | instid1(SALU_CYCLE_1)
	s_add_co_i32 s1, s1, s13
	s_cmp_gt_u32 s10, s1
	s_cbranch_scc1 .LBB2941_3
; %bb.2:
	v_cmp_gt_u32_e32 vcc_lo, s10, v1
	s_or_b32 s8, vcc_lo, s3
	s_delay_alu instid0(SALU_CYCLE_1)
	s_and_b32 s9, s8, exec_lo
	s_cbranch_execz .LBB2941_4
	s_branch .LBB2941_18
.LBB2941_3:
.LBB2941_4:
	s_min_u32 s3, s1, s10
	s_and_b32 vcc_lo, exec_lo, s11
	s_add_co_i32 s8, s13, s3
	s_add_co_i32 s12, s3, s12
	v_subrev_nc_u32_e32 v0, s8, v1
	s_min_u32 s8, s13, s3
	s_delay_alu instid0(VALU_DEP_1) | instid1(SALU_CYCLE_1)
	v_add_nc_u32_e32 v0, s8, v0
	s_min_u32 s8, s12, s10
	s_cbranch_vccz .LBB2941_12
; %bb.5:
                                        ; implicit-def: $vgpr1
	s_and_saveexec_b32 s10, s2
	s_cbranch_execz .LBB2941_11
; %bb.6:
	v_mov_b32_e32 v1, s3
	s_cmp_ge_u32 s1, s8
	s_cbranch_scc1 .LBB2941_10
; %bb.7:
	v_dual_mov_b32 v4, s8 :: v_dual_mov_b32 v1, s3
	s_mov_b32 s2, 0
.LBB2941_8:                             ; =>This Inner Loop Header: Depth=1
	s_delay_alu instid0(VALU_DEP_1) | instskip(NEXT) | instid1(VALU_DEP_1)
	v_add_nc_u32_e32 v5, v1, v4
	v_lshrrev_b32_e32 v5, 1, v5
	global_load_b64 v[6:7], v5, s[4:5] scale_offset
	s_wait_loadcnt 0x0
	v_cmp_gt_u64_e32 vcc_lo, v[2:3], v[6:7]
	v_cndmask_b32_e64 v8, 0, 1, vcc_lo
	v_cmp_le_u64_e32 vcc_lo, v[6:7], v[2:3]
	v_cndmask_b32_e64 v6, 0, 1, vcc_lo
	s_delay_alu instid0(VALU_DEP_1) | instskip(NEXT) | instid1(VALU_DEP_1)
	v_cndmask_b32_e64 v6, v6, v8, s0
	v_and_b32_e32 v6, 1, v6
	s_delay_alu instid0(VALU_DEP_1) | instskip(SKIP_1) | instid1(VALU_DEP_1)
	v_cmp_eq_u32_e32 vcc_lo, 1, v6
	v_dual_cndmask_b32 v4, v5, v4 :: v_dual_add_nc_u32 v7, 1, v5
	v_cndmask_b32_e32 v1, v1, v7, vcc_lo
	s_delay_alu instid0(VALU_DEP_1) | instskip(SKIP_1) | instid1(SALU_CYCLE_1)
	v_cmp_ge_u32_e32 vcc_lo, v1, v4
	s_or_b32 s2, vcc_lo, s2
	s_and_not1_b32 exec_lo, exec_lo, s2
	s_cbranch_execnz .LBB2941_8
; %bb.9:
	s_or_b32 exec_lo, exec_lo, s2
.LBB2941_10:
	s_delay_alu instid0(VALU_DEP_1)
	v_add_nc_u32_e32 v1, v1, v0
	s_or_b32 s9, s9, exec_lo
.LBB2941_11:
	s_or_b32 exec_lo, exec_lo, s10
	s_branch .LBB2941_18
.LBB2941_12:
                                        ; implicit-def: $vgpr1
	s_cbranch_execz .LBB2941_18
; %bb.13:
	v_mov_b32_e32 v1, s3
	s_cmp_ge_u32 s1, s8
	s_cbranch_scc1 .LBB2941_17
; %bb.14:
	v_dual_mov_b32 v4, s8 :: v_dual_mov_b32 v1, s3
	s_mov_b32 s1, 0
.LBB2941_15:                            ; =>This Inner Loop Header: Depth=1
	s_delay_alu instid0(VALU_DEP_1) | instskip(NEXT) | instid1(VALU_DEP_1)
	v_add_nc_u32_e32 v5, v1, v4
	v_lshrrev_b32_e32 v5, 1, v5
	global_load_b64 v[6:7], v5, s[4:5] scale_offset
	s_wait_loadcnt 0x0
	v_cmp_gt_u64_e32 vcc_lo, v[2:3], v[6:7]
	v_cndmask_b32_e64 v8, 0, 1, vcc_lo
	v_cmp_le_u64_e32 vcc_lo, v[6:7], v[2:3]
	v_cndmask_b32_e64 v6, 0, 1, vcc_lo
	s_delay_alu instid0(VALU_DEP_1) | instskip(NEXT) | instid1(VALU_DEP_1)
	v_cndmask_b32_e64 v6, v6, v8, s0
	v_and_b32_e32 v6, 1, v6
	s_delay_alu instid0(VALU_DEP_1) | instskip(SKIP_1) | instid1(VALU_DEP_1)
	v_cmp_eq_u32_e32 vcc_lo, 1, v6
	v_dual_cndmask_b32 v4, v5, v4 :: v_dual_add_nc_u32 v7, 1, v5
	v_cndmask_b32_e32 v1, v1, v7, vcc_lo
	s_delay_alu instid0(VALU_DEP_1) | instskip(SKIP_1) | instid1(SALU_CYCLE_1)
	v_cmp_ge_u32_e32 vcc_lo, v1, v4
	s_or_b32 s1, vcc_lo, s1
	s_and_not1_b32 exec_lo, exec_lo, s1
	s_cbranch_execnz .LBB2941_15
; %bb.16:
	s_or_b32 exec_lo, exec_lo, s1
.LBB2941_17:
	s_delay_alu instid0(VALU_DEP_1)
	v_add_nc_u32_e32 v1, v1, v0
	s_mov_b32 s9, -1
.LBB2941_18:
	s_delay_alu instid0(SALU_CYCLE_1)
	s_and_b32 exec_lo, exec_lo, s9
	s_cbranch_execz .LBB2941_20
; %bb.19:
	s_wait_loadcnt 0x0
	global_store_b64 v1, v[2:3], s[6:7] scale_offset
.LBB2941_20:
	s_endpgm
	.section	.rodata,"a",@progbits
	.p2align	6, 0x0
	.amdhsa_kernel _ZN7rocprim17ROCPRIM_400000_NS6detail17trampoline_kernelINS0_14default_configENS1_38merge_sort_block_merge_config_selectorImNS0_10empty_typeEEEZZNS1_27merge_sort_block_merge_implIS3_PmPS5_jNS1_19radix_merge_compareILb0ELb0EmNS0_19identity_decomposerEEEEE10hipError_tT0_T1_T2_jT3_P12ihipStream_tbPNSt15iterator_traitsISE_E10value_typeEPNSK_ISF_E10value_typeEPSG_NS1_7vsmem_tEENKUlT_SE_SF_SG_E_clIS8_S8_S9_S9_EESD_ST_SE_SF_SG_EUlST_E1_NS1_11comp_targetILNS1_3genE0ELNS1_11target_archE4294967295ELNS1_3gpuE0ELNS1_3repE0EEENS1_36merge_oddeven_config_static_selectorELNS0_4arch9wavefront6targetE0EEEvSF_
		.amdhsa_group_segment_fixed_size 0
		.amdhsa_private_segment_fixed_size 0
		.amdhsa_kernarg_size 48
		.amdhsa_user_sgpr_count 2
		.amdhsa_user_sgpr_dispatch_ptr 0
		.amdhsa_user_sgpr_queue_ptr 0
		.amdhsa_user_sgpr_kernarg_segment_ptr 1
		.amdhsa_user_sgpr_dispatch_id 0
		.amdhsa_user_sgpr_kernarg_preload_length 0
		.amdhsa_user_sgpr_kernarg_preload_offset 0
		.amdhsa_user_sgpr_private_segment_size 0
		.amdhsa_wavefront_size32 1
		.amdhsa_uses_dynamic_stack 0
		.amdhsa_enable_private_segment 0
		.amdhsa_system_sgpr_workgroup_id_x 1
		.amdhsa_system_sgpr_workgroup_id_y 0
		.amdhsa_system_sgpr_workgroup_id_z 0
		.amdhsa_system_sgpr_workgroup_info 0
		.amdhsa_system_vgpr_workitem_id 0
		.amdhsa_next_free_vgpr 9
		.amdhsa_next_free_sgpr 16
		.amdhsa_named_barrier_count 0
		.amdhsa_reserve_vcc 1
		.amdhsa_float_round_mode_32 0
		.amdhsa_float_round_mode_16_64 0
		.amdhsa_float_denorm_mode_32 3
		.amdhsa_float_denorm_mode_16_64 3
		.amdhsa_fp16_overflow 0
		.amdhsa_memory_ordered 1
		.amdhsa_forward_progress 1
		.amdhsa_inst_pref_size 5
		.amdhsa_round_robin_scheduling 0
		.amdhsa_exception_fp_ieee_invalid_op 0
		.amdhsa_exception_fp_denorm_src 0
		.amdhsa_exception_fp_ieee_div_zero 0
		.amdhsa_exception_fp_ieee_overflow 0
		.amdhsa_exception_fp_ieee_underflow 0
		.amdhsa_exception_fp_ieee_inexact 0
		.amdhsa_exception_int_div_zero 0
	.end_amdhsa_kernel
	.section	.text._ZN7rocprim17ROCPRIM_400000_NS6detail17trampoline_kernelINS0_14default_configENS1_38merge_sort_block_merge_config_selectorImNS0_10empty_typeEEEZZNS1_27merge_sort_block_merge_implIS3_PmPS5_jNS1_19radix_merge_compareILb0ELb0EmNS0_19identity_decomposerEEEEE10hipError_tT0_T1_T2_jT3_P12ihipStream_tbPNSt15iterator_traitsISE_E10value_typeEPNSK_ISF_E10value_typeEPSG_NS1_7vsmem_tEENKUlT_SE_SF_SG_E_clIS8_S8_S9_S9_EESD_ST_SE_SF_SG_EUlST_E1_NS1_11comp_targetILNS1_3genE0ELNS1_11target_archE4294967295ELNS1_3gpuE0ELNS1_3repE0EEENS1_36merge_oddeven_config_static_selectorELNS0_4arch9wavefront6targetE0EEEvSF_,"axG",@progbits,_ZN7rocprim17ROCPRIM_400000_NS6detail17trampoline_kernelINS0_14default_configENS1_38merge_sort_block_merge_config_selectorImNS0_10empty_typeEEEZZNS1_27merge_sort_block_merge_implIS3_PmPS5_jNS1_19radix_merge_compareILb0ELb0EmNS0_19identity_decomposerEEEEE10hipError_tT0_T1_T2_jT3_P12ihipStream_tbPNSt15iterator_traitsISE_E10value_typeEPNSK_ISF_E10value_typeEPSG_NS1_7vsmem_tEENKUlT_SE_SF_SG_E_clIS8_S8_S9_S9_EESD_ST_SE_SF_SG_EUlST_E1_NS1_11comp_targetILNS1_3genE0ELNS1_11target_archE4294967295ELNS1_3gpuE0ELNS1_3repE0EEENS1_36merge_oddeven_config_static_selectorELNS0_4arch9wavefront6targetE0EEEvSF_,comdat
.Lfunc_end2941:
	.size	_ZN7rocprim17ROCPRIM_400000_NS6detail17trampoline_kernelINS0_14default_configENS1_38merge_sort_block_merge_config_selectorImNS0_10empty_typeEEEZZNS1_27merge_sort_block_merge_implIS3_PmPS5_jNS1_19radix_merge_compareILb0ELb0EmNS0_19identity_decomposerEEEEE10hipError_tT0_T1_T2_jT3_P12ihipStream_tbPNSt15iterator_traitsISE_E10value_typeEPNSK_ISF_E10value_typeEPSG_NS1_7vsmem_tEENKUlT_SE_SF_SG_E_clIS8_S8_S9_S9_EESD_ST_SE_SF_SG_EUlST_E1_NS1_11comp_targetILNS1_3genE0ELNS1_11target_archE4294967295ELNS1_3gpuE0ELNS1_3repE0EEENS1_36merge_oddeven_config_static_selectorELNS0_4arch9wavefront6targetE0EEEvSF_, .Lfunc_end2941-_ZN7rocprim17ROCPRIM_400000_NS6detail17trampoline_kernelINS0_14default_configENS1_38merge_sort_block_merge_config_selectorImNS0_10empty_typeEEEZZNS1_27merge_sort_block_merge_implIS3_PmPS5_jNS1_19radix_merge_compareILb0ELb0EmNS0_19identity_decomposerEEEEE10hipError_tT0_T1_T2_jT3_P12ihipStream_tbPNSt15iterator_traitsISE_E10value_typeEPNSK_ISF_E10value_typeEPSG_NS1_7vsmem_tEENKUlT_SE_SF_SG_E_clIS8_S8_S9_S9_EESD_ST_SE_SF_SG_EUlST_E1_NS1_11comp_targetILNS1_3genE0ELNS1_11target_archE4294967295ELNS1_3gpuE0ELNS1_3repE0EEENS1_36merge_oddeven_config_static_selectorELNS0_4arch9wavefront6targetE0EEEvSF_
                                        ; -- End function
	.set _ZN7rocprim17ROCPRIM_400000_NS6detail17trampoline_kernelINS0_14default_configENS1_38merge_sort_block_merge_config_selectorImNS0_10empty_typeEEEZZNS1_27merge_sort_block_merge_implIS3_PmPS5_jNS1_19radix_merge_compareILb0ELb0EmNS0_19identity_decomposerEEEEE10hipError_tT0_T1_T2_jT3_P12ihipStream_tbPNSt15iterator_traitsISE_E10value_typeEPNSK_ISF_E10value_typeEPSG_NS1_7vsmem_tEENKUlT_SE_SF_SG_E_clIS8_S8_S9_S9_EESD_ST_SE_SF_SG_EUlST_E1_NS1_11comp_targetILNS1_3genE0ELNS1_11target_archE4294967295ELNS1_3gpuE0ELNS1_3repE0EEENS1_36merge_oddeven_config_static_selectorELNS0_4arch9wavefront6targetE0EEEvSF_.num_vgpr, 9
	.set _ZN7rocprim17ROCPRIM_400000_NS6detail17trampoline_kernelINS0_14default_configENS1_38merge_sort_block_merge_config_selectorImNS0_10empty_typeEEEZZNS1_27merge_sort_block_merge_implIS3_PmPS5_jNS1_19radix_merge_compareILb0ELb0EmNS0_19identity_decomposerEEEEE10hipError_tT0_T1_T2_jT3_P12ihipStream_tbPNSt15iterator_traitsISE_E10value_typeEPNSK_ISF_E10value_typeEPSG_NS1_7vsmem_tEENKUlT_SE_SF_SG_E_clIS8_S8_S9_S9_EESD_ST_SE_SF_SG_EUlST_E1_NS1_11comp_targetILNS1_3genE0ELNS1_11target_archE4294967295ELNS1_3gpuE0ELNS1_3repE0EEENS1_36merge_oddeven_config_static_selectorELNS0_4arch9wavefront6targetE0EEEvSF_.num_agpr, 0
	.set _ZN7rocprim17ROCPRIM_400000_NS6detail17trampoline_kernelINS0_14default_configENS1_38merge_sort_block_merge_config_selectorImNS0_10empty_typeEEEZZNS1_27merge_sort_block_merge_implIS3_PmPS5_jNS1_19radix_merge_compareILb0ELb0EmNS0_19identity_decomposerEEEEE10hipError_tT0_T1_T2_jT3_P12ihipStream_tbPNSt15iterator_traitsISE_E10value_typeEPNSK_ISF_E10value_typeEPSG_NS1_7vsmem_tEENKUlT_SE_SF_SG_E_clIS8_S8_S9_S9_EESD_ST_SE_SF_SG_EUlST_E1_NS1_11comp_targetILNS1_3genE0ELNS1_11target_archE4294967295ELNS1_3gpuE0ELNS1_3repE0EEENS1_36merge_oddeven_config_static_selectorELNS0_4arch9wavefront6targetE0EEEvSF_.numbered_sgpr, 16
	.set _ZN7rocprim17ROCPRIM_400000_NS6detail17trampoline_kernelINS0_14default_configENS1_38merge_sort_block_merge_config_selectorImNS0_10empty_typeEEEZZNS1_27merge_sort_block_merge_implIS3_PmPS5_jNS1_19radix_merge_compareILb0ELb0EmNS0_19identity_decomposerEEEEE10hipError_tT0_T1_T2_jT3_P12ihipStream_tbPNSt15iterator_traitsISE_E10value_typeEPNSK_ISF_E10value_typeEPSG_NS1_7vsmem_tEENKUlT_SE_SF_SG_E_clIS8_S8_S9_S9_EESD_ST_SE_SF_SG_EUlST_E1_NS1_11comp_targetILNS1_3genE0ELNS1_11target_archE4294967295ELNS1_3gpuE0ELNS1_3repE0EEENS1_36merge_oddeven_config_static_selectorELNS0_4arch9wavefront6targetE0EEEvSF_.num_named_barrier, 0
	.set _ZN7rocprim17ROCPRIM_400000_NS6detail17trampoline_kernelINS0_14default_configENS1_38merge_sort_block_merge_config_selectorImNS0_10empty_typeEEEZZNS1_27merge_sort_block_merge_implIS3_PmPS5_jNS1_19radix_merge_compareILb0ELb0EmNS0_19identity_decomposerEEEEE10hipError_tT0_T1_T2_jT3_P12ihipStream_tbPNSt15iterator_traitsISE_E10value_typeEPNSK_ISF_E10value_typeEPSG_NS1_7vsmem_tEENKUlT_SE_SF_SG_E_clIS8_S8_S9_S9_EESD_ST_SE_SF_SG_EUlST_E1_NS1_11comp_targetILNS1_3genE0ELNS1_11target_archE4294967295ELNS1_3gpuE0ELNS1_3repE0EEENS1_36merge_oddeven_config_static_selectorELNS0_4arch9wavefront6targetE0EEEvSF_.private_seg_size, 0
	.set _ZN7rocprim17ROCPRIM_400000_NS6detail17trampoline_kernelINS0_14default_configENS1_38merge_sort_block_merge_config_selectorImNS0_10empty_typeEEEZZNS1_27merge_sort_block_merge_implIS3_PmPS5_jNS1_19radix_merge_compareILb0ELb0EmNS0_19identity_decomposerEEEEE10hipError_tT0_T1_T2_jT3_P12ihipStream_tbPNSt15iterator_traitsISE_E10value_typeEPNSK_ISF_E10value_typeEPSG_NS1_7vsmem_tEENKUlT_SE_SF_SG_E_clIS8_S8_S9_S9_EESD_ST_SE_SF_SG_EUlST_E1_NS1_11comp_targetILNS1_3genE0ELNS1_11target_archE4294967295ELNS1_3gpuE0ELNS1_3repE0EEENS1_36merge_oddeven_config_static_selectorELNS0_4arch9wavefront6targetE0EEEvSF_.uses_vcc, 1
	.set _ZN7rocprim17ROCPRIM_400000_NS6detail17trampoline_kernelINS0_14default_configENS1_38merge_sort_block_merge_config_selectorImNS0_10empty_typeEEEZZNS1_27merge_sort_block_merge_implIS3_PmPS5_jNS1_19radix_merge_compareILb0ELb0EmNS0_19identity_decomposerEEEEE10hipError_tT0_T1_T2_jT3_P12ihipStream_tbPNSt15iterator_traitsISE_E10value_typeEPNSK_ISF_E10value_typeEPSG_NS1_7vsmem_tEENKUlT_SE_SF_SG_E_clIS8_S8_S9_S9_EESD_ST_SE_SF_SG_EUlST_E1_NS1_11comp_targetILNS1_3genE0ELNS1_11target_archE4294967295ELNS1_3gpuE0ELNS1_3repE0EEENS1_36merge_oddeven_config_static_selectorELNS0_4arch9wavefront6targetE0EEEvSF_.uses_flat_scratch, 0
	.set _ZN7rocprim17ROCPRIM_400000_NS6detail17trampoline_kernelINS0_14default_configENS1_38merge_sort_block_merge_config_selectorImNS0_10empty_typeEEEZZNS1_27merge_sort_block_merge_implIS3_PmPS5_jNS1_19radix_merge_compareILb0ELb0EmNS0_19identity_decomposerEEEEE10hipError_tT0_T1_T2_jT3_P12ihipStream_tbPNSt15iterator_traitsISE_E10value_typeEPNSK_ISF_E10value_typeEPSG_NS1_7vsmem_tEENKUlT_SE_SF_SG_E_clIS8_S8_S9_S9_EESD_ST_SE_SF_SG_EUlST_E1_NS1_11comp_targetILNS1_3genE0ELNS1_11target_archE4294967295ELNS1_3gpuE0ELNS1_3repE0EEENS1_36merge_oddeven_config_static_selectorELNS0_4arch9wavefront6targetE0EEEvSF_.has_dyn_sized_stack, 0
	.set _ZN7rocprim17ROCPRIM_400000_NS6detail17trampoline_kernelINS0_14default_configENS1_38merge_sort_block_merge_config_selectorImNS0_10empty_typeEEEZZNS1_27merge_sort_block_merge_implIS3_PmPS5_jNS1_19radix_merge_compareILb0ELb0EmNS0_19identity_decomposerEEEEE10hipError_tT0_T1_T2_jT3_P12ihipStream_tbPNSt15iterator_traitsISE_E10value_typeEPNSK_ISF_E10value_typeEPSG_NS1_7vsmem_tEENKUlT_SE_SF_SG_E_clIS8_S8_S9_S9_EESD_ST_SE_SF_SG_EUlST_E1_NS1_11comp_targetILNS1_3genE0ELNS1_11target_archE4294967295ELNS1_3gpuE0ELNS1_3repE0EEENS1_36merge_oddeven_config_static_selectorELNS0_4arch9wavefront6targetE0EEEvSF_.has_recursion, 0
	.set _ZN7rocprim17ROCPRIM_400000_NS6detail17trampoline_kernelINS0_14default_configENS1_38merge_sort_block_merge_config_selectorImNS0_10empty_typeEEEZZNS1_27merge_sort_block_merge_implIS3_PmPS5_jNS1_19radix_merge_compareILb0ELb0EmNS0_19identity_decomposerEEEEE10hipError_tT0_T1_T2_jT3_P12ihipStream_tbPNSt15iterator_traitsISE_E10value_typeEPNSK_ISF_E10value_typeEPSG_NS1_7vsmem_tEENKUlT_SE_SF_SG_E_clIS8_S8_S9_S9_EESD_ST_SE_SF_SG_EUlST_E1_NS1_11comp_targetILNS1_3genE0ELNS1_11target_archE4294967295ELNS1_3gpuE0ELNS1_3repE0EEENS1_36merge_oddeven_config_static_selectorELNS0_4arch9wavefront6targetE0EEEvSF_.has_indirect_call, 0
	.section	.AMDGPU.csdata,"",@progbits
; Kernel info:
; codeLenInByte = 636
; TotalNumSgprs: 18
; NumVgprs: 9
; ScratchSize: 0
; MemoryBound: 0
; FloatMode: 240
; IeeeMode: 1
; LDSByteSize: 0 bytes/workgroup (compile time only)
; SGPRBlocks: 0
; VGPRBlocks: 0
; NumSGPRsForWavesPerEU: 18
; NumVGPRsForWavesPerEU: 9
; NamedBarCnt: 0
; Occupancy: 16
; WaveLimiterHint : 0
; COMPUTE_PGM_RSRC2:SCRATCH_EN: 0
; COMPUTE_PGM_RSRC2:USER_SGPR: 2
; COMPUTE_PGM_RSRC2:TRAP_HANDLER: 0
; COMPUTE_PGM_RSRC2:TGID_X_EN: 1
; COMPUTE_PGM_RSRC2:TGID_Y_EN: 0
; COMPUTE_PGM_RSRC2:TGID_Z_EN: 0
; COMPUTE_PGM_RSRC2:TIDIG_COMP_CNT: 0
	.section	.text._ZN7rocprim17ROCPRIM_400000_NS6detail17trampoline_kernelINS0_14default_configENS1_38merge_sort_block_merge_config_selectorImNS0_10empty_typeEEEZZNS1_27merge_sort_block_merge_implIS3_PmPS5_jNS1_19radix_merge_compareILb0ELb0EmNS0_19identity_decomposerEEEEE10hipError_tT0_T1_T2_jT3_P12ihipStream_tbPNSt15iterator_traitsISE_E10value_typeEPNSK_ISF_E10value_typeEPSG_NS1_7vsmem_tEENKUlT_SE_SF_SG_E_clIS8_S8_S9_S9_EESD_ST_SE_SF_SG_EUlST_E1_NS1_11comp_targetILNS1_3genE10ELNS1_11target_archE1201ELNS1_3gpuE5ELNS1_3repE0EEENS1_36merge_oddeven_config_static_selectorELNS0_4arch9wavefront6targetE0EEEvSF_,"axG",@progbits,_ZN7rocprim17ROCPRIM_400000_NS6detail17trampoline_kernelINS0_14default_configENS1_38merge_sort_block_merge_config_selectorImNS0_10empty_typeEEEZZNS1_27merge_sort_block_merge_implIS3_PmPS5_jNS1_19radix_merge_compareILb0ELb0EmNS0_19identity_decomposerEEEEE10hipError_tT0_T1_T2_jT3_P12ihipStream_tbPNSt15iterator_traitsISE_E10value_typeEPNSK_ISF_E10value_typeEPSG_NS1_7vsmem_tEENKUlT_SE_SF_SG_E_clIS8_S8_S9_S9_EESD_ST_SE_SF_SG_EUlST_E1_NS1_11comp_targetILNS1_3genE10ELNS1_11target_archE1201ELNS1_3gpuE5ELNS1_3repE0EEENS1_36merge_oddeven_config_static_selectorELNS0_4arch9wavefront6targetE0EEEvSF_,comdat
	.protected	_ZN7rocprim17ROCPRIM_400000_NS6detail17trampoline_kernelINS0_14default_configENS1_38merge_sort_block_merge_config_selectorImNS0_10empty_typeEEEZZNS1_27merge_sort_block_merge_implIS3_PmPS5_jNS1_19radix_merge_compareILb0ELb0EmNS0_19identity_decomposerEEEEE10hipError_tT0_T1_T2_jT3_P12ihipStream_tbPNSt15iterator_traitsISE_E10value_typeEPNSK_ISF_E10value_typeEPSG_NS1_7vsmem_tEENKUlT_SE_SF_SG_E_clIS8_S8_S9_S9_EESD_ST_SE_SF_SG_EUlST_E1_NS1_11comp_targetILNS1_3genE10ELNS1_11target_archE1201ELNS1_3gpuE5ELNS1_3repE0EEENS1_36merge_oddeven_config_static_selectorELNS0_4arch9wavefront6targetE0EEEvSF_ ; -- Begin function _ZN7rocprim17ROCPRIM_400000_NS6detail17trampoline_kernelINS0_14default_configENS1_38merge_sort_block_merge_config_selectorImNS0_10empty_typeEEEZZNS1_27merge_sort_block_merge_implIS3_PmPS5_jNS1_19radix_merge_compareILb0ELb0EmNS0_19identity_decomposerEEEEE10hipError_tT0_T1_T2_jT3_P12ihipStream_tbPNSt15iterator_traitsISE_E10value_typeEPNSK_ISF_E10value_typeEPSG_NS1_7vsmem_tEENKUlT_SE_SF_SG_E_clIS8_S8_S9_S9_EESD_ST_SE_SF_SG_EUlST_E1_NS1_11comp_targetILNS1_3genE10ELNS1_11target_archE1201ELNS1_3gpuE5ELNS1_3repE0EEENS1_36merge_oddeven_config_static_selectorELNS0_4arch9wavefront6targetE0EEEvSF_
	.globl	_ZN7rocprim17ROCPRIM_400000_NS6detail17trampoline_kernelINS0_14default_configENS1_38merge_sort_block_merge_config_selectorImNS0_10empty_typeEEEZZNS1_27merge_sort_block_merge_implIS3_PmPS5_jNS1_19radix_merge_compareILb0ELb0EmNS0_19identity_decomposerEEEEE10hipError_tT0_T1_T2_jT3_P12ihipStream_tbPNSt15iterator_traitsISE_E10value_typeEPNSK_ISF_E10value_typeEPSG_NS1_7vsmem_tEENKUlT_SE_SF_SG_E_clIS8_S8_S9_S9_EESD_ST_SE_SF_SG_EUlST_E1_NS1_11comp_targetILNS1_3genE10ELNS1_11target_archE1201ELNS1_3gpuE5ELNS1_3repE0EEENS1_36merge_oddeven_config_static_selectorELNS0_4arch9wavefront6targetE0EEEvSF_
	.p2align	8
	.type	_ZN7rocprim17ROCPRIM_400000_NS6detail17trampoline_kernelINS0_14default_configENS1_38merge_sort_block_merge_config_selectorImNS0_10empty_typeEEEZZNS1_27merge_sort_block_merge_implIS3_PmPS5_jNS1_19radix_merge_compareILb0ELb0EmNS0_19identity_decomposerEEEEE10hipError_tT0_T1_T2_jT3_P12ihipStream_tbPNSt15iterator_traitsISE_E10value_typeEPNSK_ISF_E10value_typeEPSG_NS1_7vsmem_tEENKUlT_SE_SF_SG_E_clIS8_S8_S9_S9_EESD_ST_SE_SF_SG_EUlST_E1_NS1_11comp_targetILNS1_3genE10ELNS1_11target_archE1201ELNS1_3gpuE5ELNS1_3repE0EEENS1_36merge_oddeven_config_static_selectorELNS0_4arch9wavefront6targetE0EEEvSF_,@function
_ZN7rocprim17ROCPRIM_400000_NS6detail17trampoline_kernelINS0_14default_configENS1_38merge_sort_block_merge_config_selectorImNS0_10empty_typeEEEZZNS1_27merge_sort_block_merge_implIS3_PmPS5_jNS1_19radix_merge_compareILb0ELb0EmNS0_19identity_decomposerEEEEE10hipError_tT0_T1_T2_jT3_P12ihipStream_tbPNSt15iterator_traitsISE_E10value_typeEPNSK_ISF_E10value_typeEPSG_NS1_7vsmem_tEENKUlT_SE_SF_SG_E_clIS8_S8_S9_S9_EESD_ST_SE_SF_SG_EUlST_E1_NS1_11comp_targetILNS1_3genE10ELNS1_11target_archE1201ELNS1_3gpuE5ELNS1_3repE0EEENS1_36merge_oddeven_config_static_selectorELNS0_4arch9wavefront6targetE0EEEvSF_: ; @_ZN7rocprim17ROCPRIM_400000_NS6detail17trampoline_kernelINS0_14default_configENS1_38merge_sort_block_merge_config_selectorImNS0_10empty_typeEEEZZNS1_27merge_sort_block_merge_implIS3_PmPS5_jNS1_19radix_merge_compareILb0ELb0EmNS0_19identity_decomposerEEEEE10hipError_tT0_T1_T2_jT3_P12ihipStream_tbPNSt15iterator_traitsISE_E10value_typeEPNSK_ISF_E10value_typeEPSG_NS1_7vsmem_tEENKUlT_SE_SF_SG_E_clIS8_S8_S9_S9_EESD_ST_SE_SF_SG_EUlST_E1_NS1_11comp_targetILNS1_3genE10ELNS1_11target_archE1201ELNS1_3gpuE5ELNS1_3repE0EEENS1_36merge_oddeven_config_static_selectorELNS0_4arch9wavefront6targetE0EEEvSF_
; %bb.0:
	.section	.rodata,"a",@progbits
	.p2align	6, 0x0
	.amdhsa_kernel _ZN7rocprim17ROCPRIM_400000_NS6detail17trampoline_kernelINS0_14default_configENS1_38merge_sort_block_merge_config_selectorImNS0_10empty_typeEEEZZNS1_27merge_sort_block_merge_implIS3_PmPS5_jNS1_19radix_merge_compareILb0ELb0EmNS0_19identity_decomposerEEEEE10hipError_tT0_T1_T2_jT3_P12ihipStream_tbPNSt15iterator_traitsISE_E10value_typeEPNSK_ISF_E10value_typeEPSG_NS1_7vsmem_tEENKUlT_SE_SF_SG_E_clIS8_S8_S9_S9_EESD_ST_SE_SF_SG_EUlST_E1_NS1_11comp_targetILNS1_3genE10ELNS1_11target_archE1201ELNS1_3gpuE5ELNS1_3repE0EEENS1_36merge_oddeven_config_static_selectorELNS0_4arch9wavefront6targetE0EEEvSF_
		.amdhsa_group_segment_fixed_size 0
		.amdhsa_private_segment_fixed_size 0
		.amdhsa_kernarg_size 48
		.amdhsa_user_sgpr_count 2
		.amdhsa_user_sgpr_dispatch_ptr 0
		.amdhsa_user_sgpr_queue_ptr 0
		.amdhsa_user_sgpr_kernarg_segment_ptr 1
		.amdhsa_user_sgpr_dispatch_id 0
		.amdhsa_user_sgpr_kernarg_preload_length 0
		.amdhsa_user_sgpr_kernarg_preload_offset 0
		.amdhsa_user_sgpr_private_segment_size 0
		.amdhsa_wavefront_size32 1
		.amdhsa_uses_dynamic_stack 0
		.amdhsa_enable_private_segment 0
		.amdhsa_system_sgpr_workgroup_id_x 1
		.amdhsa_system_sgpr_workgroup_id_y 0
		.amdhsa_system_sgpr_workgroup_id_z 0
		.amdhsa_system_sgpr_workgroup_info 0
		.amdhsa_system_vgpr_workitem_id 0
		.amdhsa_next_free_vgpr 1
		.amdhsa_next_free_sgpr 1
		.amdhsa_named_barrier_count 0
		.amdhsa_reserve_vcc 0
		.amdhsa_float_round_mode_32 0
		.amdhsa_float_round_mode_16_64 0
		.amdhsa_float_denorm_mode_32 3
		.amdhsa_float_denorm_mode_16_64 3
		.amdhsa_fp16_overflow 0
		.amdhsa_memory_ordered 1
		.amdhsa_forward_progress 1
		.amdhsa_inst_pref_size 0
		.amdhsa_round_robin_scheduling 0
		.amdhsa_exception_fp_ieee_invalid_op 0
		.amdhsa_exception_fp_denorm_src 0
		.amdhsa_exception_fp_ieee_div_zero 0
		.amdhsa_exception_fp_ieee_overflow 0
		.amdhsa_exception_fp_ieee_underflow 0
		.amdhsa_exception_fp_ieee_inexact 0
		.amdhsa_exception_int_div_zero 0
	.end_amdhsa_kernel
	.section	.text._ZN7rocprim17ROCPRIM_400000_NS6detail17trampoline_kernelINS0_14default_configENS1_38merge_sort_block_merge_config_selectorImNS0_10empty_typeEEEZZNS1_27merge_sort_block_merge_implIS3_PmPS5_jNS1_19radix_merge_compareILb0ELb0EmNS0_19identity_decomposerEEEEE10hipError_tT0_T1_T2_jT3_P12ihipStream_tbPNSt15iterator_traitsISE_E10value_typeEPNSK_ISF_E10value_typeEPSG_NS1_7vsmem_tEENKUlT_SE_SF_SG_E_clIS8_S8_S9_S9_EESD_ST_SE_SF_SG_EUlST_E1_NS1_11comp_targetILNS1_3genE10ELNS1_11target_archE1201ELNS1_3gpuE5ELNS1_3repE0EEENS1_36merge_oddeven_config_static_selectorELNS0_4arch9wavefront6targetE0EEEvSF_,"axG",@progbits,_ZN7rocprim17ROCPRIM_400000_NS6detail17trampoline_kernelINS0_14default_configENS1_38merge_sort_block_merge_config_selectorImNS0_10empty_typeEEEZZNS1_27merge_sort_block_merge_implIS3_PmPS5_jNS1_19radix_merge_compareILb0ELb0EmNS0_19identity_decomposerEEEEE10hipError_tT0_T1_T2_jT3_P12ihipStream_tbPNSt15iterator_traitsISE_E10value_typeEPNSK_ISF_E10value_typeEPSG_NS1_7vsmem_tEENKUlT_SE_SF_SG_E_clIS8_S8_S9_S9_EESD_ST_SE_SF_SG_EUlST_E1_NS1_11comp_targetILNS1_3genE10ELNS1_11target_archE1201ELNS1_3gpuE5ELNS1_3repE0EEENS1_36merge_oddeven_config_static_selectorELNS0_4arch9wavefront6targetE0EEEvSF_,comdat
.Lfunc_end2942:
	.size	_ZN7rocprim17ROCPRIM_400000_NS6detail17trampoline_kernelINS0_14default_configENS1_38merge_sort_block_merge_config_selectorImNS0_10empty_typeEEEZZNS1_27merge_sort_block_merge_implIS3_PmPS5_jNS1_19radix_merge_compareILb0ELb0EmNS0_19identity_decomposerEEEEE10hipError_tT0_T1_T2_jT3_P12ihipStream_tbPNSt15iterator_traitsISE_E10value_typeEPNSK_ISF_E10value_typeEPSG_NS1_7vsmem_tEENKUlT_SE_SF_SG_E_clIS8_S8_S9_S9_EESD_ST_SE_SF_SG_EUlST_E1_NS1_11comp_targetILNS1_3genE10ELNS1_11target_archE1201ELNS1_3gpuE5ELNS1_3repE0EEENS1_36merge_oddeven_config_static_selectorELNS0_4arch9wavefront6targetE0EEEvSF_, .Lfunc_end2942-_ZN7rocprim17ROCPRIM_400000_NS6detail17trampoline_kernelINS0_14default_configENS1_38merge_sort_block_merge_config_selectorImNS0_10empty_typeEEEZZNS1_27merge_sort_block_merge_implIS3_PmPS5_jNS1_19radix_merge_compareILb0ELb0EmNS0_19identity_decomposerEEEEE10hipError_tT0_T1_T2_jT3_P12ihipStream_tbPNSt15iterator_traitsISE_E10value_typeEPNSK_ISF_E10value_typeEPSG_NS1_7vsmem_tEENKUlT_SE_SF_SG_E_clIS8_S8_S9_S9_EESD_ST_SE_SF_SG_EUlST_E1_NS1_11comp_targetILNS1_3genE10ELNS1_11target_archE1201ELNS1_3gpuE5ELNS1_3repE0EEENS1_36merge_oddeven_config_static_selectorELNS0_4arch9wavefront6targetE0EEEvSF_
                                        ; -- End function
	.set _ZN7rocprim17ROCPRIM_400000_NS6detail17trampoline_kernelINS0_14default_configENS1_38merge_sort_block_merge_config_selectorImNS0_10empty_typeEEEZZNS1_27merge_sort_block_merge_implIS3_PmPS5_jNS1_19radix_merge_compareILb0ELb0EmNS0_19identity_decomposerEEEEE10hipError_tT0_T1_T2_jT3_P12ihipStream_tbPNSt15iterator_traitsISE_E10value_typeEPNSK_ISF_E10value_typeEPSG_NS1_7vsmem_tEENKUlT_SE_SF_SG_E_clIS8_S8_S9_S9_EESD_ST_SE_SF_SG_EUlST_E1_NS1_11comp_targetILNS1_3genE10ELNS1_11target_archE1201ELNS1_3gpuE5ELNS1_3repE0EEENS1_36merge_oddeven_config_static_selectorELNS0_4arch9wavefront6targetE0EEEvSF_.num_vgpr, 0
	.set _ZN7rocprim17ROCPRIM_400000_NS6detail17trampoline_kernelINS0_14default_configENS1_38merge_sort_block_merge_config_selectorImNS0_10empty_typeEEEZZNS1_27merge_sort_block_merge_implIS3_PmPS5_jNS1_19radix_merge_compareILb0ELb0EmNS0_19identity_decomposerEEEEE10hipError_tT0_T1_T2_jT3_P12ihipStream_tbPNSt15iterator_traitsISE_E10value_typeEPNSK_ISF_E10value_typeEPSG_NS1_7vsmem_tEENKUlT_SE_SF_SG_E_clIS8_S8_S9_S9_EESD_ST_SE_SF_SG_EUlST_E1_NS1_11comp_targetILNS1_3genE10ELNS1_11target_archE1201ELNS1_3gpuE5ELNS1_3repE0EEENS1_36merge_oddeven_config_static_selectorELNS0_4arch9wavefront6targetE0EEEvSF_.num_agpr, 0
	.set _ZN7rocprim17ROCPRIM_400000_NS6detail17trampoline_kernelINS0_14default_configENS1_38merge_sort_block_merge_config_selectorImNS0_10empty_typeEEEZZNS1_27merge_sort_block_merge_implIS3_PmPS5_jNS1_19radix_merge_compareILb0ELb0EmNS0_19identity_decomposerEEEEE10hipError_tT0_T1_T2_jT3_P12ihipStream_tbPNSt15iterator_traitsISE_E10value_typeEPNSK_ISF_E10value_typeEPSG_NS1_7vsmem_tEENKUlT_SE_SF_SG_E_clIS8_S8_S9_S9_EESD_ST_SE_SF_SG_EUlST_E1_NS1_11comp_targetILNS1_3genE10ELNS1_11target_archE1201ELNS1_3gpuE5ELNS1_3repE0EEENS1_36merge_oddeven_config_static_selectorELNS0_4arch9wavefront6targetE0EEEvSF_.numbered_sgpr, 0
	.set _ZN7rocprim17ROCPRIM_400000_NS6detail17trampoline_kernelINS0_14default_configENS1_38merge_sort_block_merge_config_selectorImNS0_10empty_typeEEEZZNS1_27merge_sort_block_merge_implIS3_PmPS5_jNS1_19radix_merge_compareILb0ELb0EmNS0_19identity_decomposerEEEEE10hipError_tT0_T1_T2_jT3_P12ihipStream_tbPNSt15iterator_traitsISE_E10value_typeEPNSK_ISF_E10value_typeEPSG_NS1_7vsmem_tEENKUlT_SE_SF_SG_E_clIS8_S8_S9_S9_EESD_ST_SE_SF_SG_EUlST_E1_NS1_11comp_targetILNS1_3genE10ELNS1_11target_archE1201ELNS1_3gpuE5ELNS1_3repE0EEENS1_36merge_oddeven_config_static_selectorELNS0_4arch9wavefront6targetE0EEEvSF_.num_named_barrier, 0
	.set _ZN7rocprim17ROCPRIM_400000_NS6detail17trampoline_kernelINS0_14default_configENS1_38merge_sort_block_merge_config_selectorImNS0_10empty_typeEEEZZNS1_27merge_sort_block_merge_implIS3_PmPS5_jNS1_19radix_merge_compareILb0ELb0EmNS0_19identity_decomposerEEEEE10hipError_tT0_T1_T2_jT3_P12ihipStream_tbPNSt15iterator_traitsISE_E10value_typeEPNSK_ISF_E10value_typeEPSG_NS1_7vsmem_tEENKUlT_SE_SF_SG_E_clIS8_S8_S9_S9_EESD_ST_SE_SF_SG_EUlST_E1_NS1_11comp_targetILNS1_3genE10ELNS1_11target_archE1201ELNS1_3gpuE5ELNS1_3repE0EEENS1_36merge_oddeven_config_static_selectorELNS0_4arch9wavefront6targetE0EEEvSF_.private_seg_size, 0
	.set _ZN7rocprim17ROCPRIM_400000_NS6detail17trampoline_kernelINS0_14default_configENS1_38merge_sort_block_merge_config_selectorImNS0_10empty_typeEEEZZNS1_27merge_sort_block_merge_implIS3_PmPS5_jNS1_19radix_merge_compareILb0ELb0EmNS0_19identity_decomposerEEEEE10hipError_tT0_T1_T2_jT3_P12ihipStream_tbPNSt15iterator_traitsISE_E10value_typeEPNSK_ISF_E10value_typeEPSG_NS1_7vsmem_tEENKUlT_SE_SF_SG_E_clIS8_S8_S9_S9_EESD_ST_SE_SF_SG_EUlST_E1_NS1_11comp_targetILNS1_3genE10ELNS1_11target_archE1201ELNS1_3gpuE5ELNS1_3repE0EEENS1_36merge_oddeven_config_static_selectorELNS0_4arch9wavefront6targetE0EEEvSF_.uses_vcc, 0
	.set _ZN7rocprim17ROCPRIM_400000_NS6detail17trampoline_kernelINS0_14default_configENS1_38merge_sort_block_merge_config_selectorImNS0_10empty_typeEEEZZNS1_27merge_sort_block_merge_implIS3_PmPS5_jNS1_19radix_merge_compareILb0ELb0EmNS0_19identity_decomposerEEEEE10hipError_tT0_T1_T2_jT3_P12ihipStream_tbPNSt15iterator_traitsISE_E10value_typeEPNSK_ISF_E10value_typeEPSG_NS1_7vsmem_tEENKUlT_SE_SF_SG_E_clIS8_S8_S9_S9_EESD_ST_SE_SF_SG_EUlST_E1_NS1_11comp_targetILNS1_3genE10ELNS1_11target_archE1201ELNS1_3gpuE5ELNS1_3repE0EEENS1_36merge_oddeven_config_static_selectorELNS0_4arch9wavefront6targetE0EEEvSF_.uses_flat_scratch, 0
	.set _ZN7rocprim17ROCPRIM_400000_NS6detail17trampoline_kernelINS0_14default_configENS1_38merge_sort_block_merge_config_selectorImNS0_10empty_typeEEEZZNS1_27merge_sort_block_merge_implIS3_PmPS5_jNS1_19radix_merge_compareILb0ELb0EmNS0_19identity_decomposerEEEEE10hipError_tT0_T1_T2_jT3_P12ihipStream_tbPNSt15iterator_traitsISE_E10value_typeEPNSK_ISF_E10value_typeEPSG_NS1_7vsmem_tEENKUlT_SE_SF_SG_E_clIS8_S8_S9_S9_EESD_ST_SE_SF_SG_EUlST_E1_NS1_11comp_targetILNS1_3genE10ELNS1_11target_archE1201ELNS1_3gpuE5ELNS1_3repE0EEENS1_36merge_oddeven_config_static_selectorELNS0_4arch9wavefront6targetE0EEEvSF_.has_dyn_sized_stack, 0
	.set _ZN7rocprim17ROCPRIM_400000_NS6detail17trampoline_kernelINS0_14default_configENS1_38merge_sort_block_merge_config_selectorImNS0_10empty_typeEEEZZNS1_27merge_sort_block_merge_implIS3_PmPS5_jNS1_19radix_merge_compareILb0ELb0EmNS0_19identity_decomposerEEEEE10hipError_tT0_T1_T2_jT3_P12ihipStream_tbPNSt15iterator_traitsISE_E10value_typeEPNSK_ISF_E10value_typeEPSG_NS1_7vsmem_tEENKUlT_SE_SF_SG_E_clIS8_S8_S9_S9_EESD_ST_SE_SF_SG_EUlST_E1_NS1_11comp_targetILNS1_3genE10ELNS1_11target_archE1201ELNS1_3gpuE5ELNS1_3repE0EEENS1_36merge_oddeven_config_static_selectorELNS0_4arch9wavefront6targetE0EEEvSF_.has_recursion, 0
	.set _ZN7rocprim17ROCPRIM_400000_NS6detail17trampoline_kernelINS0_14default_configENS1_38merge_sort_block_merge_config_selectorImNS0_10empty_typeEEEZZNS1_27merge_sort_block_merge_implIS3_PmPS5_jNS1_19radix_merge_compareILb0ELb0EmNS0_19identity_decomposerEEEEE10hipError_tT0_T1_T2_jT3_P12ihipStream_tbPNSt15iterator_traitsISE_E10value_typeEPNSK_ISF_E10value_typeEPSG_NS1_7vsmem_tEENKUlT_SE_SF_SG_E_clIS8_S8_S9_S9_EESD_ST_SE_SF_SG_EUlST_E1_NS1_11comp_targetILNS1_3genE10ELNS1_11target_archE1201ELNS1_3gpuE5ELNS1_3repE0EEENS1_36merge_oddeven_config_static_selectorELNS0_4arch9wavefront6targetE0EEEvSF_.has_indirect_call, 0
	.section	.AMDGPU.csdata,"",@progbits
; Kernel info:
; codeLenInByte = 0
; TotalNumSgprs: 0
; NumVgprs: 0
; ScratchSize: 0
; MemoryBound: 0
; FloatMode: 240
; IeeeMode: 1
; LDSByteSize: 0 bytes/workgroup (compile time only)
; SGPRBlocks: 0
; VGPRBlocks: 0
; NumSGPRsForWavesPerEU: 1
; NumVGPRsForWavesPerEU: 1
; NamedBarCnt: 0
; Occupancy: 16
; WaveLimiterHint : 0
; COMPUTE_PGM_RSRC2:SCRATCH_EN: 0
; COMPUTE_PGM_RSRC2:USER_SGPR: 2
; COMPUTE_PGM_RSRC2:TRAP_HANDLER: 0
; COMPUTE_PGM_RSRC2:TGID_X_EN: 1
; COMPUTE_PGM_RSRC2:TGID_Y_EN: 0
; COMPUTE_PGM_RSRC2:TGID_Z_EN: 0
; COMPUTE_PGM_RSRC2:TIDIG_COMP_CNT: 0
	.section	.text._ZN7rocprim17ROCPRIM_400000_NS6detail17trampoline_kernelINS0_14default_configENS1_38merge_sort_block_merge_config_selectorImNS0_10empty_typeEEEZZNS1_27merge_sort_block_merge_implIS3_PmPS5_jNS1_19radix_merge_compareILb0ELb0EmNS0_19identity_decomposerEEEEE10hipError_tT0_T1_T2_jT3_P12ihipStream_tbPNSt15iterator_traitsISE_E10value_typeEPNSK_ISF_E10value_typeEPSG_NS1_7vsmem_tEENKUlT_SE_SF_SG_E_clIS8_S8_S9_S9_EESD_ST_SE_SF_SG_EUlST_E1_NS1_11comp_targetILNS1_3genE5ELNS1_11target_archE942ELNS1_3gpuE9ELNS1_3repE0EEENS1_36merge_oddeven_config_static_selectorELNS0_4arch9wavefront6targetE0EEEvSF_,"axG",@progbits,_ZN7rocprim17ROCPRIM_400000_NS6detail17trampoline_kernelINS0_14default_configENS1_38merge_sort_block_merge_config_selectorImNS0_10empty_typeEEEZZNS1_27merge_sort_block_merge_implIS3_PmPS5_jNS1_19radix_merge_compareILb0ELb0EmNS0_19identity_decomposerEEEEE10hipError_tT0_T1_T2_jT3_P12ihipStream_tbPNSt15iterator_traitsISE_E10value_typeEPNSK_ISF_E10value_typeEPSG_NS1_7vsmem_tEENKUlT_SE_SF_SG_E_clIS8_S8_S9_S9_EESD_ST_SE_SF_SG_EUlST_E1_NS1_11comp_targetILNS1_3genE5ELNS1_11target_archE942ELNS1_3gpuE9ELNS1_3repE0EEENS1_36merge_oddeven_config_static_selectorELNS0_4arch9wavefront6targetE0EEEvSF_,comdat
	.protected	_ZN7rocprim17ROCPRIM_400000_NS6detail17trampoline_kernelINS0_14default_configENS1_38merge_sort_block_merge_config_selectorImNS0_10empty_typeEEEZZNS1_27merge_sort_block_merge_implIS3_PmPS5_jNS1_19radix_merge_compareILb0ELb0EmNS0_19identity_decomposerEEEEE10hipError_tT0_T1_T2_jT3_P12ihipStream_tbPNSt15iterator_traitsISE_E10value_typeEPNSK_ISF_E10value_typeEPSG_NS1_7vsmem_tEENKUlT_SE_SF_SG_E_clIS8_S8_S9_S9_EESD_ST_SE_SF_SG_EUlST_E1_NS1_11comp_targetILNS1_3genE5ELNS1_11target_archE942ELNS1_3gpuE9ELNS1_3repE0EEENS1_36merge_oddeven_config_static_selectorELNS0_4arch9wavefront6targetE0EEEvSF_ ; -- Begin function _ZN7rocprim17ROCPRIM_400000_NS6detail17trampoline_kernelINS0_14default_configENS1_38merge_sort_block_merge_config_selectorImNS0_10empty_typeEEEZZNS1_27merge_sort_block_merge_implIS3_PmPS5_jNS1_19radix_merge_compareILb0ELb0EmNS0_19identity_decomposerEEEEE10hipError_tT0_T1_T2_jT3_P12ihipStream_tbPNSt15iterator_traitsISE_E10value_typeEPNSK_ISF_E10value_typeEPSG_NS1_7vsmem_tEENKUlT_SE_SF_SG_E_clIS8_S8_S9_S9_EESD_ST_SE_SF_SG_EUlST_E1_NS1_11comp_targetILNS1_3genE5ELNS1_11target_archE942ELNS1_3gpuE9ELNS1_3repE0EEENS1_36merge_oddeven_config_static_selectorELNS0_4arch9wavefront6targetE0EEEvSF_
	.globl	_ZN7rocprim17ROCPRIM_400000_NS6detail17trampoline_kernelINS0_14default_configENS1_38merge_sort_block_merge_config_selectorImNS0_10empty_typeEEEZZNS1_27merge_sort_block_merge_implIS3_PmPS5_jNS1_19radix_merge_compareILb0ELb0EmNS0_19identity_decomposerEEEEE10hipError_tT0_T1_T2_jT3_P12ihipStream_tbPNSt15iterator_traitsISE_E10value_typeEPNSK_ISF_E10value_typeEPSG_NS1_7vsmem_tEENKUlT_SE_SF_SG_E_clIS8_S8_S9_S9_EESD_ST_SE_SF_SG_EUlST_E1_NS1_11comp_targetILNS1_3genE5ELNS1_11target_archE942ELNS1_3gpuE9ELNS1_3repE0EEENS1_36merge_oddeven_config_static_selectorELNS0_4arch9wavefront6targetE0EEEvSF_
	.p2align	8
	.type	_ZN7rocprim17ROCPRIM_400000_NS6detail17trampoline_kernelINS0_14default_configENS1_38merge_sort_block_merge_config_selectorImNS0_10empty_typeEEEZZNS1_27merge_sort_block_merge_implIS3_PmPS5_jNS1_19radix_merge_compareILb0ELb0EmNS0_19identity_decomposerEEEEE10hipError_tT0_T1_T2_jT3_P12ihipStream_tbPNSt15iterator_traitsISE_E10value_typeEPNSK_ISF_E10value_typeEPSG_NS1_7vsmem_tEENKUlT_SE_SF_SG_E_clIS8_S8_S9_S9_EESD_ST_SE_SF_SG_EUlST_E1_NS1_11comp_targetILNS1_3genE5ELNS1_11target_archE942ELNS1_3gpuE9ELNS1_3repE0EEENS1_36merge_oddeven_config_static_selectorELNS0_4arch9wavefront6targetE0EEEvSF_,@function
_ZN7rocprim17ROCPRIM_400000_NS6detail17trampoline_kernelINS0_14default_configENS1_38merge_sort_block_merge_config_selectorImNS0_10empty_typeEEEZZNS1_27merge_sort_block_merge_implIS3_PmPS5_jNS1_19radix_merge_compareILb0ELb0EmNS0_19identity_decomposerEEEEE10hipError_tT0_T1_T2_jT3_P12ihipStream_tbPNSt15iterator_traitsISE_E10value_typeEPNSK_ISF_E10value_typeEPSG_NS1_7vsmem_tEENKUlT_SE_SF_SG_E_clIS8_S8_S9_S9_EESD_ST_SE_SF_SG_EUlST_E1_NS1_11comp_targetILNS1_3genE5ELNS1_11target_archE942ELNS1_3gpuE9ELNS1_3repE0EEENS1_36merge_oddeven_config_static_selectorELNS0_4arch9wavefront6targetE0EEEvSF_: ; @_ZN7rocprim17ROCPRIM_400000_NS6detail17trampoline_kernelINS0_14default_configENS1_38merge_sort_block_merge_config_selectorImNS0_10empty_typeEEEZZNS1_27merge_sort_block_merge_implIS3_PmPS5_jNS1_19radix_merge_compareILb0ELb0EmNS0_19identity_decomposerEEEEE10hipError_tT0_T1_T2_jT3_P12ihipStream_tbPNSt15iterator_traitsISE_E10value_typeEPNSK_ISF_E10value_typeEPSG_NS1_7vsmem_tEENKUlT_SE_SF_SG_E_clIS8_S8_S9_S9_EESD_ST_SE_SF_SG_EUlST_E1_NS1_11comp_targetILNS1_3genE5ELNS1_11target_archE942ELNS1_3gpuE9ELNS1_3repE0EEENS1_36merge_oddeven_config_static_selectorELNS0_4arch9wavefront6targetE0EEEvSF_
; %bb.0:
	.section	.rodata,"a",@progbits
	.p2align	6, 0x0
	.amdhsa_kernel _ZN7rocprim17ROCPRIM_400000_NS6detail17trampoline_kernelINS0_14default_configENS1_38merge_sort_block_merge_config_selectorImNS0_10empty_typeEEEZZNS1_27merge_sort_block_merge_implIS3_PmPS5_jNS1_19radix_merge_compareILb0ELb0EmNS0_19identity_decomposerEEEEE10hipError_tT0_T1_T2_jT3_P12ihipStream_tbPNSt15iterator_traitsISE_E10value_typeEPNSK_ISF_E10value_typeEPSG_NS1_7vsmem_tEENKUlT_SE_SF_SG_E_clIS8_S8_S9_S9_EESD_ST_SE_SF_SG_EUlST_E1_NS1_11comp_targetILNS1_3genE5ELNS1_11target_archE942ELNS1_3gpuE9ELNS1_3repE0EEENS1_36merge_oddeven_config_static_selectorELNS0_4arch9wavefront6targetE0EEEvSF_
		.amdhsa_group_segment_fixed_size 0
		.amdhsa_private_segment_fixed_size 0
		.amdhsa_kernarg_size 48
		.amdhsa_user_sgpr_count 2
		.amdhsa_user_sgpr_dispatch_ptr 0
		.amdhsa_user_sgpr_queue_ptr 0
		.amdhsa_user_sgpr_kernarg_segment_ptr 1
		.amdhsa_user_sgpr_dispatch_id 0
		.amdhsa_user_sgpr_kernarg_preload_length 0
		.amdhsa_user_sgpr_kernarg_preload_offset 0
		.amdhsa_user_sgpr_private_segment_size 0
		.amdhsa_wavefront_size32 1
		.amdhsa_uses_dynamic_stack 0
		.amdhsa_enable_private_segment 0
		.amdhsa_system_sgpr_workgroup_id_x 1
		.amdhsa_system_sgpr_workgroup_id_y 0
		.amdhsa_system_sgpr_workgroup_id_z 0
		.amdhsa_system_sgpr_workgroup_info 0
		.amdhsa_system_vgpr_workitem_id 0
		.amdhsa_next_free_vgpr 1
		.amdhsa_next_free_sgpr 1
		.amdhsa_named_barrier_count 0
		.amdhsa_reserve_vcc 0
		.amdhsa_float_round_mode_32 0
		.amdhsa_float_round_mode_16_64 0
		.amdhsa_float_denorm_mode_32 3
		.amdhsa_float_denorm_mode_16_64 3
		.amdhsa_fp16_overflow 0
		.amdhsa_memory_ordered 1
		.amdhsa_forward_progress 1
		.amdhsa_inst_pref_size 0
		.amdhsa_round_robin_scheduling 0
		.amdhsa_exception_fp_ieee_invalid_op 0
		.amdhsa_exception_fp_denorm_src 0
		.amdhsa_exception_fp_ieee_div_zero 0
		.amdhsa_exception_fp_ieee_overflow 0
		.amdhsa_exception_fp_ieee_underflow 0
		.amdhsa_exception_fp_ieee_inexact 0
		.amdhsa_exception_int_div_zero 0
	.end_amdhsa_kernel
	.section	.text._ZN7rocprim17ROCPRIM_400000_NS6detail17trampoline_kernelINS0_14default_configENS1_38merge_sort_block_merge_config_selectorImNS0_10empty_typeEEEZZNS1_27merge_sort_block_merge_implIS3_PmPS5_jNS1_19radix_merge_compareILb0ELb0EmNS0_19identity_decomposerEEEEE10hipError_tT0_T1_T2_jT3_P12ihipStream_tbPNSt15iterator_traitsISE_E10value_typeEPNSK_ISF_E10value_typeEPSG_NS1_7vsmem_tEENKUlT_SE_SF_SG_E_clIS8_S8_S9_S9_EESD_ST_SE_SF_SG_EUlST_E1_NS1_11comp_targetILNS1_3genE5ELNS1_11target_archE942ELNS1_3gpuE9ELNS1_3repE0EEENS1_36merge_oddeven_config_static_selectorELNS0_4arch9wavefront6targetE0EEEvSF_,"axG",@progbits,_ZN7rocprim17ROCPRIM_400000_NS6detail17trampoline_kernelINS0_14default_configENS1_38merge_sort_block_merge_config_selectorImNS0_10empty_typeEEEZZNS1_27merge_sort_block_merge_implIS3_PmPS5_jNS1_19radix_merge_compareILb0ELb0EmNS0_19identity_decomposerEEEEE10hipError_tT0_T1_T2_jT3_P12ihipStream_tbPNSt15iterator_traitsISE_E10value_typeEPNSK_ISF_E10value_typeEPSG_NS1_7vsmem_tEENKUlT_SE_SF_SG_E_clIS8_S8_S9_S9_EESD_ST_SE_SF_SG_EUlST_E1_NS1_11comp_targetILNS1_3genE5ELNS1_11target_archE942ELNS1_3gpuE9ELNS1_3repE0EEENS1_36merge_oddeven_config_static_selectorELNS0_4arch9wavefront6targetE0EEEvSF_,comdat
.Lfunc_end2943:
	.size	_ZN7rocprim17ROCPRIM_400000_NS6detail17trampoline_kernelINS0_14default_configENS1_38merge_sort_block_merge_config_selectorImNS0_10empty_typeEEEZZNS1_27merge_sort_block_merge_implIS3_PmPS5_jNS1_19radix_merge_compareILb0ELb0EmNS0_19identity_decomposerEEEEE10hipError_tT0_T1_T2_jT3_P12ihipStream_tbPNSt15iterator_traitsISE_E10value_typeEPNSK_ISF_E10value_typeEPSG_NS1_7vsmem_tEENKUlT_SE_SF_SG_E_clIS8_S8_S9_S9_EESD_ST_SE_SF_SG_EUlST_E1_NS1_11comp_targetILNS1_3genE5ELNS1_11target_archE942ELNS1_3gpuE9ELNS1_3repE0EEENS1_36merge_oddeven_config_static_selectorELNS0_4arch9wavefront6targetE0EEEvSF_, .Lfunc_end2943-_ZN7rocprim17ROCPRIM_400000_NS6detail17trampoline_kernelINS0_14default_configENS1_38merge_sort_block_merge_config_selectorImNS0_10empty_typeEEEZZNS1_27merge_sort_block_merge_implIS3_PmPS5_jNS1_19radix_merge_compareILb0ELb0EmNS0_19identity_decomposerEEEEE10hipError_tT0_T1_T2_jT3_P12ihipStream_tbPNSt15iterator_traitsISE_E10value_typeEPNSK_ISF_E10value_typeEPSG_NS1_7vsmem_tEENKUlT_SE_SF_SG_E_clIS8_S8_S9_S9_EESD_ST_SE_SF_SG_EUlST_E1_NS1_11comp_targetILNS1_3genE5ELNS1_11target_archE942ELNS1_3gpuE9ELNS1_3repE0EEENS1_36merge_oddeven_config_static_selectorELNS0_4arch9wavefront6targetE0EEEvSF_
                                        ; -- End function
	.set _ZN7rocprim17ROCPRIM_400000_NS6detail17trampoline_kernelINS0_14default_configENS1_38merge_sort_block_merge_config_selectorImNS0_10empty_typeEEEZZNS1_27merge_sort_block_merge_implIS3_PmPS5_jNS1_19radix_merge_compareILb0ELb0EmNS0_19identity_decomposerEEEEE10hipError_tT0_T1_T2_jT3_P12ihipStream_tbPNSt15iterator_traitsISE_E10value_typeEPNSK_ISF_E10value_typeEPSG_NS1_7vsmem_tEENKUlT_SE_SF_SG_E_clIS8_S8_S9_S9_EESD_ST_SE_SF_SG_EUlST_E1_NS1_11comp_targetILNS1_3genE5ELNS1_11target_archE942ELNS1_3gpuE9ELNS1_3repE0EEENS1_36merge_oddeven_config_static_selectorELNS0_4arch9wavefront6targetE0EEEvSF_.num_vgpr, 0
	.set _ZN7rocprim17ROCPRIM_400000_NS6detail17trampoline_kernelINS0_14default_configENS1_38merge_sort_block_merge_config_selectorImNS0_10empty_typeEEEZZNS1_27merge_sort_block_merge_implIS3_PmPS5_jNS1_19radix_merge_compareILb0ELb0EmNS0_19identity_decomposerEEEEE10hipError_tT0_T1_T2_jT3_P12ihipStream_tbPNSt15iterator_traitsISE_E10value_typeEPNSK_ISF_E10value_typeEPSG_NS1_7vsmem_tEENKUlT_SE_SF_SG_E_clIS8_S8_S9_S9_EESD_ST_SE_SF_SG_EUlST_E1_NS1_11comp_targetILNS1_3genE5ELNS1_11target_archE942ELNS1_3gpuE9ELNS1_3repE0EEENS1_36merge_oddeven_config_static_selectorELNS0_4arch9wavefront6targetE0EEEvSF_.num_agpr, 0
	.set _ZN7rocprim17ROCPRIM_400000_NS6detail17trampoline_kernelINS0_14default_configENS1_38merge_sort_block_merge_config_selectorImNS0_10empty_typeEEEZZNS1_27merge_sort_block_merge_implIS3_PmPS5_jNS1_19radix_merge_compareILb0ELb0EmNS0_19identity_decomposerEEEEE10hipError_tT0_T1_T2_jT3_P12ihipStream_tbPNSt15iterator_traitsISE_E10value_typeEPNSK_ISF_E10value_typeEPSG_NS1_7vsmem_tEENKUlT_SE_SF_SG_E_clIS8_S8_S9_S9_EESD_ST_SE_SF_SG_EUlST_E1_NS1_11comp_targetILNS1_3genE5ELNS1_11target_archE942ELNS1_3gpuE9ELNS1_3repE0EEENS1_36merge_oddeven_config_static_selectorELNS0_4arch9wavefront6targetE0EEEvSF_.numbered_sgpr, 0
	.set _ZN7rocprim17ROCPRIM_400000_NS6detail17trampoline_kernelINS0_14default_configENS1_38merge_sort_block_merge_config_selectorImNS0_10empty_typeEEEZZNS1_27merge_sort_block_merge_implIS3_PmPS5_jNS1_19radix_merge_compareILb0ELb0EmNS0_19identity_decomposerEEEEE10hipError_tT0_T1_T2_jT3_P12ihipStream_tbPNSt15iterator_traitsISE_E10value_typeEPNSK_ISF_E10value_typeEPSG_NS1_7vsmem_tEENKUlT_SE_SF_SG_E_clIS8_S8_S9_S9_EESD_ST_SE_SF_SG_EUlST_E1_NS1_11comp_targetILNS1_3genE5ELNS1_11target_archE942ELNS1_3gpuE9ELNS1_3repE0EEENS1_36merge_oddeven_config_static_selectorELNS0_4arch9wavefront6targetE0EEEvSF_.num_named_barrier, 0
	.set _ZN7rocprim17ROCPRIM_400000_NS6detail17trampoline_kernelINS0_14default_configENS1_38merge_sort_block_merge_config_selectorImNS0_10empty_typeEEEZZNS1_27merge_sort_block_merge_implIS3_PmPS5_jNS1_19radix_merge_compareILb0ELb0EmNS0_19identity_decomposerEEEEE10hipError_tT0_T1_T2_jT3_P12ihipStream_tbPNSt15iterator_traitsISE_E10value_typeEPNSK_ISF_E10value_typeEPSG_NS1_7vsmem_tEENKUlT_SE_SF_SG_E_clIS8_S8_S9_S9_EESD_ST_SE_SF_SG_EUlST_E1_NS1_11comp_targetILNS1_3genE5ELNS1_11target_archE942ELNS1_3gpuE9ELNS1_3repE0EEENS1_36merge_oddeven_config_static_selectorELNS0_4arch9wavefront6targetE0EEEvSF_.private_seg_size, 0
	.set _ZN7rocprim17ROCPRIM_400000_NS6detail17trampoline_kernelINS0_14default_configENS1_38merge_sort_block_merge_config_selectorImNS0_10empty_typeEEEZZNS1_27merge_sort_block_merge_implIS3_PmPS5_jNS1_19radix_merge_compareILb0ELb0EmNS0_19identity_decomposerEEEEE10hipError_tT0_T1_T2_jT3_P12ihipStream_tbPNSt15iterator_traitsISE_E10value_typeEPNSK_ISF_E10value_typeEPSG_NS1_7vsmem_tEENKUlT_SE_SF_SG_E_clIS8_S8_S9_S9_EESD_ST_SE_SF_SG_EUlST_E1_NS1_11comp_targetILNS1_3genE5ELNS1_11target_archE942ELNS1_3gpuE9ELNS1_3repE0EEENS1_36merge_oddeven_config_static_selectorELNS0_4arch9wavefront6targetE0EEEvSF_.uses_vcc, 0
	.set _ZN7rocprim17ROCPRIM_400000_NS6detail17trampoline_kernelINS0_14default_configENS1_38merge_sort_block_merge_config_selectorImNS0_10empty_typeEEEZZNS1_27merge_sort_block_merge_implIS3_PmPS5_jNS1_19radix_merge_compareILb0ELb0EmNS0_19identity_decomposerEEEEE10hipError_tT0_T1_T2_jT3_P12ihipStream_tbPNSt15iterator_traitsISE_E10value_typeEPNSK_ISF_E10value_typeEPSG_NS1_7vsmem_tEENKUlT_SE_SF_SG_E_clIS8_S8_S9_S9_EESD_ST_SE_SF_SG_EUlST_E1_NS1_11comp_targetILNS1_3genE5ELNS1_11target_archE942ELNS1_3gpuE9ELNS1_3repE0EEENS1_36merge_oddeven_config_static_selectorELNS0_4arch9wavefront6targetE0EEEvSF_.uses_flat_scratch, 0
	.set _ZN7rocprim17ROCPRIM_400000_NS6detail17trampoline_kernelINS0_14default_configENS1_38merge_sort_block_merge_config_selectorImNS0_10empty_typeEEEZZNS1_27merge_sort_block_merge_implIS3_PmPS5_jNS1_19radix_merge_compareILb0ELb0EmNS0_19identity_decomposerEEEEE10hipError_tT0_T1_T2_jT3_P12ihipStream_tbPNSt15iterator_traitsISE_E10value_typeEPNSK_ISF_E10value_typeEPSG_NS1_7vsmem_tEENKUlT_SE_SF_SG_E_clIS8_S8_S9_S9_EESD_ST_SE_SF_SG_EUlST_E1_NS1_11comp_targetILNS1_3genE5ELNS1_11target_archE942ELNS1_3gpuE9ELNS1_3repE0EEENS1_36merge_oddeven_config_static_selectorELNS0_4arch9wavefront6targetE0EEEvSF_.has_dyn_sized_stack, 0
	.set _ZN7rocprim17ROCPRIM_400000_NS6detail17trampoline_kernelINS0_14default_configENS1_38merge_sort_block_merge_config_selectorImNS0_10empty_typeEEEZZNS1_27merge_sort_block_merge_implIS3_PmPS5_jNS1_19radix_merge_compareILb0ELb0EmNS0_19identity_decomposerEEEEE10hipError_tT0_T1_T2_jT3_P12ihipStream_tbPNSt15iterator_traitsISE_E10value_typeEPNSK_ISF_E10value_typeEPSG_NS1_7vsmem_tEENKUlT_SE_SF_SG_E_clIS8_S8_S9_S9_EESD_ST_SE_SF_SG_EUlST_E1_NS1_11comp_targetILNS1_3genE5ELNS1_11target_archE942ELNS1_3gpuE9ELNS1_3repE0EEENS1_36merge_oddeven_config_static_selectorELNS0_4arch9wavefront6targetE0EEEvSF_.has_recursion, 0
	.set _ZN7rocprim17ROCPRIM_400000_NS6detail17trampoline_kernelINS0_14default_configENS1_38merge_sort_block_merge_config_selectorImNS0_10empty_typeEEEZZNS1_27merge_sort_block_merge_implIS3_PmPS5_jNS1_19radix_merge_compareILb0ELb0EmNS0_19identity_decomposerEEEEE10hipError_tT0_T1_T2_jT3_P12ihipStream_tbPNSt15iterator_traitsISE_E10value_typeEPNSK_ISF_E10value_typeEPSG_NS1_7vsmem_tEENKUlT_SE_SF_SG_E_clIS8_S8_S9_S9_EESD_ST_SE_SF_SG_EUlST_E1_NS1_11comp_targetILNS1_3genE5ELNS1_11target_archE942ELNS1_3gpuE9ELNS1_3repE0EEENS1_36merge_oddeven_config_static_selectorELNS0_4arch9wavefront6targetE0EEEvSF_.has_indirect_call, 0
	.section	.AMDGPU.csdata,"",@progbits
; Kernel info:
; codeLenInByte = 0
; TotalNumSgprs: 0
; NumVgprs: 0
; ScratchSize: 0
; MemoryBound: 0
; FloatMode: 240
; IeeeMode: 1
; LDSByteSize: 0 bytes/workgroup (compile time only)
; SGPRBlocks: 0
; VGPRBlocks: 0
; NumSGPRsForWavesPerEU: 1
; NumVGPRsForWavesPerEU: 1
; NamedBarCnt: 0
; Occupancy: 16
; WaveLimiterHint : 0
; COMPUTE_PGM_RSRC2:SCRATCH_EN: 0
; COMPUTE_PGM_RSRC2:USER_SGPR: 2
; COMPUTE_PGM_RSRC2:TRAP_HANDLER: 0
; COMPUTE_PGM_RSRC2:TGID_X_EN: 1
; COMPUTE_PGM_RSRC2:TGID_Y_EN: 0
; COMPUTE_PGM_RSRC2:TGID_Z_EN: 0
; COMPUTE_PGM_RSRC2:TIDIG_COMP_CNT: 0
	.section	.text._ZN7rocprim17ROCPRIM_400000_NS6detail17trampoline_kernelINS0_14default_configENS1_38merge_sort_block_merge_config_selectorImNS0_10empty_typeEEEZZNS1_27merge_sort_block_merge_implIS3_PmPS5_jNS1_19radix_merge_compareILb0ELb0EmNS0_19identity_decomposerEEEEE10hipError_tT0_T1_T2_jT3_P12ihipStream_tbPNSt15iterator_traitsISE_E10value_typeEPNSK_ISF_E10value_typeEPSG_NS1_7vsmem_tEENKUlT_SE_SF_SG_E_clIS8_S8_S9_S9_EESD_ST_SE_SF_SG_EUlST_E1_NS1_11comp_targetILNS1_3genE4ELNS1_11target_archE910ELNS1_3gpuE8ELNS1_3repE0EEENS1_36merge_oddeven_config_static_selectorELNS0_4arch9wavefront6targetE0EEEvSF_,"axG",@progbits,_ZN7rocprim17ROCPRIM_400000_NS6detail17trampoline_kernelINS0_14default_configENS1_38merge_sort_block_merge_config_selectorImNS0_10empty_typeEEEZZNS1_27merge_sort_block_merge_implIS3_PmPS5_jNS1_19radix_merge_compareILb0ELb0EmNS0_19identity_decomposerEEEEE10hipError_tT0_T1_T2_jT3_P12ihipStream_tbPNSt15iterator_traitsISE_E10value_typeEPNSK_ISF_E10value_typeEPSG_NS1_7vsmem_tEENKUlT_SE_SF_SG_E_clIS8_S8_S9_S9_EESD_ST_SE_SF_SG_EUlST_E1_NS1_11comp_targetILNS1_3genE4ELNS1_11target_archE910ELNS1_3gpuE8ELNS1_3repE0EEENS1_36merge_oddeven_config_static_selectorELNS0_4arch9wavefront6targetE0EEEvSF_,comdat
	.protected	_ZN7rocprim17ROCPRIM_400000_NS6detail17trampoline_kernelINS0_14default_configENS1_38merge_sort_block_merge_config_selectorImNS0_10empty_typeEEEZZNS1_27merge_sort_block_merge_implIS3_PmPS5_jNS1_19radix_merge_compareILb0ELb0EmNS0_19identity_decomposerEEEEE10hipError_tT0_T1_T2_jT3_P12ihipStream_tbPNSt15iterator_traitsISE_E10value_typeEPNSK_ISF_E10value_typeEPSG_NS1_7vsmem_tEENKUlT_SE_SF_SG_E_clIS8_S8_S9_S9_EESD_ST_SE_SF_SG_EUlST_E1_NS1_11comp_targetILNS1_3genE4ELNS1_11target_archE910ELNS1_3gpuE8ELNS1_3repE0EEENS1_36merge_oddeven_config_static_selectorELNS0_4arch9wavefront6targetE0EEEvSF_ ; -- Begin function _ZN7rocprim17ROCPRIM_400000_NS6detail17trampoline_kernelINS0_14default_configENS1_38merge_sort_block_merge_config_selectorImNS0_10empty_typeEEEZZNS1_27merge_sort_block_merge_implIS3_PmPS5_jNS1_19radix_merge_compareILb0ELb0EmNS0_19identity_decomposerEEEEE10hipError_tT0_T1_T2_jT3_P12ihipStream_tbPNSt15iterator_traitsISE_E10value_typeEPNSK_ISF_E10value_typeEPSG_NS1_7vsmem_tEENKUlT_SE_SF_SG_E_clIS8_S8_S9_S9_EESD_ST_SE_SF_SG_EUlST_E1_NS1_11comp_targetILNS1_3genE4ELNS1_11target_archE910ELNS1_3gpuE8ELNS1_3repE0EEENS1_36merge_oddeven_config_static_selectorELNS0_4arch9wavefront6targetE0EEEvSF_
	.globl	_ZN7rocprim17ROCPRIM_400000_NS6detail17trampoline_kernelINS0_14default_configENS1_38merge_sort_block_merge_config_selectorImNS0_10empty_typeEEEZZNS1_27merge_sort_block_merge_implIS3_PmPS5_jNS1_19radix_merge_compareILb0ELb0EmNS0_19identity_decomposerEEEEE10hipError_tT0_T1_T2_jT3_P12ihipStream_tbPNSt15iterator_traitsISE_E10value_typeEPNSK_ISF_E10value_typeEPSG_NS1_7vsmem_tEENKUlT_SE_SF_SG_E_clIS8_S8_S9_S9_EESD_ST_SE_SF_SG_EUlST_E1_NS1_11comp_targetILNS1_3genE4ELNS1_11target_archE910ELNS1_3gpuE8ELNS1_3repE0EEENS1_36merge_oddeven_config_static_selectorELNS0_4arch9wavefront6targetE0EEEvSF_
	.p2align	8
	.type	_ZN7rocprim17ROCPRIM_400000_NS6detail17trampoline_kernelINS0_14default_configENS1_38merge_sort_block_merge_config_selectorImNS0_10empty_typeEEEZZNS1_27merge_sort_block_merge_implIS3_PmPS5_jNS1_19radix_merge_compareILb0ELb0EmNS0_19identity_decomposerEEEEE10hipError_tT0_T1_T2_jT3_P12ihipStream_tbPNSt15iterator_traitsISE_E10value_typeEPNSK_ISF_E10value_typeEPSG_NS1_7vsmem_tEENKUlT_SE_SF_SG_E_clIS8_S8_S9_S9_EESD_ST_SE_SF_SG_EUlST_E1_NS1_11comp_targetILNS1_3genE4ELNS1_11target_archE910ELNS1_3gpuE8ELNS1_3repE0EEENS1_36merge_oddeven_config_static_selectorELNS0_4arch9wavefront6targetE0EEEvSF_,@function
_ZN7rocprim17ROCPRIM_400000_NS6detail17trampoline_kernelINS0_14default_configENS1_38merge_sort_block_merge_config_selectorImNS0_10empty_typeEEEZZNS1_27merge_sort_block_merge_implIS3_PmPS5_jNS1_19radix_merge_compareILb0ELb0EmNS0_19identity_decomposerEEEEE10hipError_tT0_T1_T2_jT3_P12ihipStream_tbPNSt15iterator_traitsISE_E10value_typeEPNSK_ISF_E10value_typeEPSG_NS1_7vsmem_tEENKUlT_SE_SF_SG_E_clIS8_S8_S9_S9_EESD_ST_SE_SF_SG_EUlST_E1_NS1_11comp_targetILNS1_3genE4ELNS1_11target_archE910ELNS1_3gpuE8ELNS1_3repE0EEENS1_36merge_oddeven_config_static_selectorELNS0_4arch9wavefront6targetE0EEEvSF_: ; @_ZN7rocprim17ROCPRIM_400000_NS6detail17trampoline_kernelINS0_14default_configENS1_38merge_sort_block_merge_config_selectorImNS0_10empty_typeEEEZZNS1_27merge_sort_block_merge_implIS3_PmPS5_jNS1_19radix_merge_compareILb0ELb0EmNS0_19identity_decomposerEEEEE10hipError_tT0_T1_T2_jT3_P12ihipStream_tbPNSt15iterator_traitsISE_E10value_typeEPNSK_ISF_E10value_typeEPSG_NS1_7vsmem_tEENKUlT_SE_SF_SG_E_clIS8_S8_S9_S9_EESD_ST_SE_SF_SG_EUlST_E1_NS1_11comp_targetILNS1_3genE4ELNS1_11target_archE910ELNS1_3gpuE8ELNS1_3repE0EEENS1_36merge_oddeven_config_static_selectorELNS0_4arch9wavefront6targetE0EEEvSF_
; %bb.0:
	.section	.rodata,"a",@progbits
	.p2align	6, 0x0
	.amdhsa_kernel _ZN7rocprim17ROCPRIM_400000_NS6detail17trampoline_kernelINS0_14default_configENS1_38merge_sort_block_merge_config_selectorImNS0_10empty_typeEEEZZNS1_27merge_sort_block_merge_implIS3_PmPS5_jNS1_19radix_merge_compareILb0ELb0EmNS0_19identity_decomposerEEEEE10hipError_tT0_T1_T2_jT3_P12ihipStream_tbPNSt15iterator_traitsISE_E10value_typeEPNSK_ISF_E10value_typeEPSG_NS1_7vsmem_tEENKUlT_SE_SF_SG_E_clIS8_S8_S9_S9_EESD_ST_SE_SF_SG_EUlST_E1_NS1_11comp_targetILNS1_3genE4ELNS1_11target_archE910ELNS1_3gpuE8ELNS1_3repE0EEENS1_36merge_oddeven_config_static_selectorELNS0_4arch9wavefront6targetE0EEEvSF_
		.amdhsa_group_segment_fixed_size 0
		.amdhsa_private_segment_fixed_size 0
		.amdhsa_kernarg_size 48
		.amdhsa_user_sgpr_count 2
		.amdhsa_user_sgpr_dispatch_ptr 0
		.amdhsa_user_sgpr_queue_ptr 0
		.amdhsa_user_sgpr_kernarg_segment_ptr 1
		.amdhsa_user_sgpr_dispatch_id 0
		.amdhsa_user_sgpr_kernarg_preload_length 0
		.amdhsa_user_sgpr_kernarg_preload_offset 0
		.amdhsa_user_sgpr_private_segment_size 0
		.amdhsa_wavefront_size32 1
		.amdhsa_uses_dynamic_stack 0
		.amdhsa_enable_private_segment 0
		.amdhsa_system_sgpr_workgroup_id_x 1
		.amdhsa_system_sgpr_workgroup_id_y 0
		.amdhsa_system_sgpr_workgroup_id_z 0
		.amdhsa_system_sgpr_workgroup_info 0
		.amdhsa_system_vgpr_workitem_id 0
		.amdhsa_next_free_vgpr 1
		.amdhsa_next_free_sgpr 1
		.amdhsa_named_barrier_count 0
		.amdhsa_reserve_vcc 0
		.amdhsa_float_round_mode_32 0
		.amdhsa_float_round_mode_16_64 0
		.amdhsa_float_denorm_mode_32 3
		.amdhsa_float_denorm_mode_16_64 3
		.amdhsa_fp16_overflow 0
		.amdhsa_memory_ordered 1
		.amdhsa_forward_progress 1
		.amdhsa_inst_pref_size 0
		.amdhsa_round_robin_scheduling 0
		.amdhsa_exception_fp_ieee_invalid_op 0
		.amdhsa_exception_fp_denorm_src 0
		.amdhsa_exception_fp_ieee_div_zero 0
		.amdhsa_exception_fp_ieee_overflow 0
		.amdhsa_exception_fp_ieee_underflow 0
		.amdhsa_exception_fp_ieee_inexact 0
		.amdhsa_exception_int_div_zero 0
	.end_amdhsa_kernel
	.section	.text._ZN7rocprim17ROCPRIM_400000_NS6detail17trampoline_kernelINS0_14default_configENS1_38merge_sort_block_merge_config_selectorImNS0_10empty_typeEEEZZNS1_27merge_sort_block_merge_implIS3_PmPS5_jNS1_19radix_merge_compareILb0ELb0EmNS0_19identity_decomposerEEEEE10hipError_tT0_T1_T2_jT3_P12ihipStream_tbPNSt15iterator_traitsISE_E10value_typeEPNSK_ISF_E10value_typeEPSG_NS1_7vsmem_tEENKUlT_SE_SF_SG_E_clIS8_S8_S9_S9_EESD_ST_SE_SF_SG_EUlST_E1_NS1_11comp_targetILNS1_3genE4ELNS1_11target_archE910ELNS1_3gpuE8ELNS1_3repE0EEENS1_36merge_oddeven_config_static_selectorELNS0_4arch9wavefront6targetE0EEEvSF_,"axG",@progbits,_ZN7rocprim17ROCPRIM_400000_NS6detail17trampoline_kernelINS0_14default_configENS1_38merge_sort_block_merge_config_selectorImNS0_10empty_typeEEEZZNS1_27merge_sort_block_merge_implIS3_PmPS5_jNS1_19radix_merge_compareILb0ELb0EmNS0_19identity_decomposerEEEEE10hipError_tT0_T1_T2_jT3_P12ihipStream_tbPNSt15iterator_traitsISE_E10value_typeEPNSK_ISF_E10value_typeEPSG_NS1_7vsmem_tEENKUlT_SE_SF_SG_E_clIS8_S8_S9_S9_EESD_ST_SE_SF_SG_EUlST_E1_NS1_11comp_targetILNS1_3genE4ELNS1_11target_archE910ELNS1_3gpuE8ELNS1_3repE0EEENS1_36merge_oddeven_config_static_selectorELNS0_4arch9wavefront6targetE0EEEvSF_,comdat
.Lfunc_end2944:
	.size	_ZN7rocprim17ROCPRIM_400000_NS6detail17trampoline_kernelINS0_14default_configENS1_38merge_sort_block_merge_config_selectorImNS0_10empty_typeEEEZZNS1_27merge_sort_block_merge_implIS3_PmPS5_jNS1_19radix_merge_compareILb0ELb0EmNS0_19identity_decomposerEEEEE10hipError_tT0_T1_T2_jT3_P12ihipStream_tbPNSt15iterator_traitsISE_E10value_typeEPNSK_ISF_E10value_typeEPSG_NS1_7vsmem_tEENKUlT_SE_SF_SG_E_clIS8_S8_S9_S9_EESD_ST_SE_SF_SG_EUlST_E1_NS1_11comp_targetILNS1_3genE4ELNS1_11target_archE910ELNS1_3gpuE8ELNS1_3repE0EEENS1_36merge_oddeven_config_static_selectorELNS0_4arch9wavefront6targetE0EEEvSF_, .Lfunc_end2944-_ZN7rocprim17ROCPRIM_400000_NS6detail17trampoline_kernelINS0_14default_configENS1_38merge_sort_block_merge_config_selectorImNS0_10empty_typeEEEZZNS1_27merge_sort_block_merge_implIS3_PmPS5_jNS1_19radix_merge_compareILb0ELb0EmNS0_19identity_decomposerEEEEE10hipError_tT0_T1_T2_jT3_P12ihipStream_tbPNSt15iterator_traitsISE_E10value_typeEPNSK_ISF_E10value_typeEPSG_NS1_7vsmem_tEENKUlT_SE_SF_SG_E_clIS8_S8_S9_S9_EESD_ST_SE_SF_SG_EUlST_E1_NS1_11comp_targetILNS1_3genE4ELNS1_11target_archE910ELNS1_3gpuE8ELNS1_3repE0EEENS1_36merge_oddeven_config_static_selectorELNS0_4arch9wavefront6targetE0EEEvSF_
                                        ; -- End function
	.set _ZN7rocprim17ROCPRIM_400000_NS6detail17trampoline_kernelINS0_14default_configENS1_38merge_sort_block_merge_config_selectorImNS0_10empty_typeEEEZZNS1_27merge_sort_block_merge_implIS3_PmPS5_jNS1_19radix_merge_compareILb0ELb0EmNS0_19identity_decomposerEEEEE10hipError_tT0_T1_T2_jT3_P12ihipStream_tbPNSt15iterator_traitsISE_E10value_typeEPNSK_ISF_E10value_typeEPSG_NS1_7vsmem_tEENKUlT_SE_SF_SG_E_clIS8_S8_S9_S9_EESD_ST_SE_SF_SG_EUlST_E1_NS1_11comp_targetILNS1_3genE4ELNS1_11target_archE910ELNS1_3gpuE8ELNS1_3repE0EEENS1_36merge_oddeven_config_static_selectorELNS0_4arch9wavefront6targetE0EEEvSF_.num_vgpr, 0
	.set _ZN7rocprim17ROCPRIM_400000_NS6detail17trampoline_kernelINS0_14default_configENS1_38merge_sort_block_merge_config_selectorImNS0_10empty_typeEEEZZNS1_27merge_sort_block_merge_implIS3_PmPS5_jNS1_19radix_merge_compareILb0ELb0EmNS0_19identity_decomposerEEEEE10hipError_tT0_T1_T2_jT3_P12ihipStream_tbPNSt15iterator_traitsISE_E10value_typeEPNSK_ISF_E10value_typeEPSG_NS1_7vsmem_tEENKUlT_SE_SF_SG_E_clIS8_S8_S9_S9_EESD_ST_SE_SF_SG_EUlST_E1_NS1_11comp_targetILNS1_3genE4ELNS1_11target_archE910ELNS1_3gpuE8ELNS1_3repE0EEENS1_36merge_oddeven_config_static_selectorELNS0_4arch9wavefront6targetE0EEEvSF_.num_agpr, 0
	.set _ZN7rocprim17ROCPRIM_400000_NS6detail17trampoline_kernelINS0_14default_configENS1_38merge_sort_block_merge_config_selectorImNS0_10empty_typeEEEZZNS1_27merge_sort_block_merge_implIS3_PmPS5_jNS1_19radix_merge_compareILb0ELb0EmNS0_19identity_decomposerEEEEE10hipError_tT0_T1_T2_jT3_P12ihipStream_tbPNSt15iterator_traitsISE_E10value_typeEPNSK_ISF_E10value_typeEPSG_NS1_7vsmem_tEENKUlT_SE_SF_SG_E_clIS8_S8_S9_S9_EESD_ST_SE_SF_SG_EUlST_E1_NS1_11comp_targetILNS1_3genE4ELNS1_11target_archE910ELNS1_3gpuE8ELNS1_3repE0EEENS1_36merge_oddeven_config_static_selectorELNS0_4arch9wavefront6targetE0EEEvSF_.numbered_sgpr, 0
	.set _ZN7rocprim17ROCPRIM_400000_NS6detail17trampoline_kernelINS0_14default_configENS1_38merge_sort_block_merge_config_selectorImNS0_10empty_typeEEEZZNS1_27merge_sort_block_merge_implIS3_PmPS5_jNS1_19radix_merge_compareILb0ELb0EmNS0_19identity_decomposerEEEEE10hipError_tT0_T1_T2_jT3_P12ihipStream_tbPNSt15iterator_traitsISE_E10value_typeEPNSK_ISF_E10value_typeEPSG_NS1_7vsmem_tEENKUlT_SE_SF_SG_E_clIS8_S8_S9_S9_EESD_ST_SE_SF_SG_EUlST_E1_NS1_11comp_targetILNS1_3genE4ELNS1_11target_archE910ELNS1_3gpuE8ELNS1_3repE0EEENS1_36merge_oddeven_config_static_selectorELNS0_4arch9wavefront6targetE0EEEvSF_.num_named_barrier, 0
	.set _ZN7rocprim17ROCPRIM_400000_NS6detail17trampoline_kernelINS0_14default_configENS1_38merge_sort_block_merge_config_selectorImNS0_10empty_typeEEEZZNS1_27merge_sort_block_merge_implIS3_PmPS5_jNS1_19radix_merge_compareILb0ELb0EmNS0_19identity_decomposerEEEEE10hipError_tT0_T1_T2_jT3_P12ihipStream_tbPNSt15iterator_traitsISE_E10value_typeEPNSK_ISF_E10value_typeEPSG_NS1_7vsmem_tEENKUlT_SE_SF_SG_E_clIS8_S8_S9_S9_EESD_ST_SE_SF_SG_EUlST_E1_NS1_11comp_targetILNS1_3genE4ELNS1_11target_archE910ELNS1_3gpuE8ELNS1_3repE0EEENS1_36merge_oddeven_config_static_selectorELNS0_4arch9wavefront6targetE0EEEvSF_.private_seg_size, 0
	.set _ZN7rocprim17ROCPRIM_400000_NS6detail17trampoline_kernelINS0_14default_configENS1_38merge_sort_block_merge_config_selectorImNS0_10empty_typeEEEZZNS1_27merge_sort_block_merge_implIS3_PmPS5_jNS1_19radix_merge_compareILb0ELb0EmNS0_19identity_decomposerEEEEE10hipError_tT0_T1_T2_jT3_P12ihipStream_tbPNSt15iterator_traitsISE_E10value_typeEPNSK_ISF_E10value_typeEPSG_NS1_7vsmem_tEENKUlT_SE_SF_SG_E_clIS8_S8_S9_S9_EESD_ST_SE_SF_SG_EUlST_E1_NS1_11comp_targetILNS1_3genE4ELNS1_11target_archE910ELNS1_3gpuE8ELNS1_3repE0EEENS1_36merge_oddeven_config_static_selectorELNS0_4arch9wavefront6targetE0EEEvSF_.uses_vcc, 0
	.set _ZN7rocprim17ROCPRIM_400000_NS6detail17trampoline_kernelINS0_14default_configENS1_38merge_sort_block_merge_config_selectorImNS0_10empty_typeEEEZZNS1_27merge_sort_block_merge_implIS3_PmPS5_jNS1_19radix_merge_compareILb0ELb0EmNS0_19identity_decomposerEEEEE10hipError_tT0_T1_T2_jT3_P12ihipStream_tbPNSt15iterator_traitsISE_E10value_typeEPNSK_ISF_E10value_typeEPSG_NS1_7vsmem_tEENKUlT_SE_SF_SG_E_clIS8_S8_S9_S9_EESD_ST_SE_SF_SG_EUlST_E1_NS1_11comp_targetILNS1_3genE4ELNS1_11target_archE910ELNS1_3gpuE8ELNS1_3repE0EEENS1_36merge_oddeven_config_static_selectorELNS0_4arch9wavefront6targetE0EEEvSF_.uses_flat_scratch, 0
	.set _ZN7rocprim17ROCPRIM_400000_NS6detail17trampoline_kernelINS0_14default_configENS1_38merge_sort_block_merge_config_selectorImNS0_10empty_typeEEEZZNS1_27merge_sort_block_merge_implIS3_PmPS5_jNS1_19radix_merge_compareILb0ELb0EmNS0_19identity_decomposerEEEEE10hipError_tT0_T1_T2_jT3_P12ihipStream_tbPNSt15iterator_traitsISE_E10value_typeEPNSK_ISF_E10value_typeEPSG_NS1_7vsmem_tEENKUlT_SE_SF_SG_E_clIS8_S8_S9_S9_EESD_ST_SE_SF_SG_EUlST_E1_NS1_11comp_targetILNS1_3genE4ELNS1_11target_archE910ELNS1_3gpuE8ELNS1_3repE0EEENS1_36merge_oddeven_config_static_selectorELNS0_4arch9wavefront6targetE0EEEvSF_.has_dyn_sized_stack, 0
	.set _ZN7rocprim17ROCPRIM_400000_NS6detail17trampoline_kernelINS0_14default_configENS1_38merge_sort_block_merge_config_selectorImNS0_10empty_typeEEEZZNS1_27merge_sort_block_merge_implIS3_PmPS5_jNS1_19radix_merge_compareILb0ELb0EmNS0_19identity_decomposerEEEEE10hipError_tT0_T1_T2_jT3_P12ihipStream_tbPNSt15iterator_traitsISE_E10value_typeEPNSK_ISF_E10value_typeEPSG_NS1_7vsmem_tEENKUlT_SE_SF_SG_E_clIS8_S8_S9_S9_EESD_ST_SE_SF_SG_EUlST_E1_NS1_11comp_targetILNS1_3genE4ELNS1_11target_archE910ELNS1_3gpuE8ELNS1_3repE0EEENS1_36merge_oddeven_config_static_selectorELNS0_4arch9wavefront6targetE0EEEvSF_.has_recursion, 0
	.set _ZN7rocprim17ROCPRIM_400000_NS6detail17trampoline_kernelINS0_14default_configENS1_38merge_sort_block_merge_config_selectorImNS0_10empty_typeEEEZZNS1_27merge_sort_block_merge_implIS3_PmPS5_jNS1_19radix_merge_compareILb0ELb0EmNS0_19identity_decomposerEEEEE10hipError_tT0_T1_T2_jT3_P12ihipStream_tbPNSt15iterator_traitsISE_E10value_typeEPNSK_ISF_E10value_typeEPSG_NS1_7vsmem_tEENKUlT_SE_SF_SG_E_clIS8_S8_S9_S9_EESD_ST_SE_SF_SG_EUlST_E1_NS1_11comp_targetILNS1_3genE4ELNS1_11target_archE910ELNS1_3gpuE8ELNS1_3repE0EEENS1_36merge_oddeven_config_static_selectorELNS0_4arch9wavefront6targetE0EEEvSF_.has_indirect_call, 0
	.section	.AMDGPU.csdata,"",@progbits
; Kernel info:
; codeLenInByte = 0
; TotalNumSgprs: 0
; NumVgprs: 0
; ScratchSize: 0
; MemoryBound: 0
; FloatMode: 240
; IeeeMode: 1
; LDSByteSize: 0 bytes/workgroup (compile time only)
; SGPRBlocks: 0
; VGPRBlocks: 0
; NumSGPRsForWavesPerEU: 1
; NumVGPRsForWavesPerEU: 1
; NamedBarCnt: 0
; Occupancy: 16
; WaveLimiterHint : 0
; COMPUTE_PGM_RSRC2:SCRATCH_EN: 0
; COMPUTE_PGM_RSRC2:USER_SGPR: 2
; COMPUTE_PGM_RSRC2:TRAP_HANDLER: 0
; COMPUTE_PGM_RSRC2:TGID_X_EN: 1
; COMPUTE_PGM_RSRC2:TGID_Y_EN: 0
; COMPUTE_PGM_RSRC2:TGID_Z_EN: 0
; COMPUTE_PGM_RSRC2:TIDIG_COMP_CNT: 0
	.section	.text._ZN7rocprim17ROCPRIM_400000_NS6detail17trampoline_kernelINS0_14default_configENS1_38merge_sort_block_merge_config_selectorImNS0_10empty_typeEEEZZNS1_27merge_sort_block_merge_implIS3_PmPS5_jNS1_19radix_merge_compareILb0ELb0EmNS0_19identity_decomposerEEEEE10hipError_tT0_T1_T2_jT3_P12ihipStream_tbPNSt15iterator_traitsISE_E10value_typeEPNSK_ISF_E10value_typeEPSG_NS1_7vsmem_tEENKUlT_SE_SF_SG_E_clIS8_S8_S9_S9_EESD_ST_SE_SF_SG_EUlST_E1_NS1_11comp_targetILNS1_3genE3ELNS1_11target_archE908ELNS1_3gpuE7ELNS1_3repE0EEENS1_36merge_oddeven_config_static_selectorELNS0_4arch9wavefront6targetE0EEEvSF_,"axG",@progbits,_ZN7rocprim17ROCPRIM_400000_NS6detail17trampoline_kernelINS0_14default_configENS1_38merge_sort_block_merge_config_selectorImNS0_10empty_typeEEEZZNS1_27merge_sort_block_merge_implIS3_PmPS5_jNS1_19radix_merge_compareILb0ELb0EmNS0_19identity_decomposerEEEEE10hipError_tT0_T1_T2_jT3_P12ihipStream_tbPNSt15iterator_traitsISE_E10value_typeEPNSK_ISF_E10value_typeEPSG_NS1_7vsmem_tEENKUlT_SE_SF_SG_E_clIS8_S8_S9_S9_EESD_ST_SE_SF_SG_EUlST_E1_NS1_11comp_targetILNS1_3genE3ELNS1_11target_archE908ELNS1_3gpuE7ELNS1_3repE0EEENS1_36merge_oddeven_config_static_selectorELNS0_4arch9wavefront6targetE0EEEvSF_,comdat
	.protected	_ZN7rocprim17ROCPRIM_400000_NS6detail17trampoline_kernelINS0_14default_configENS1_38merge_sort_block_merge_config_selectorImNS0_10empty_typeEEEZZNS1_27merge_sort_block_merge_implIS3_PmPS5_jNS1_19radix_merge_compareILb0ELb0EmNS0_19identity_decomposerEEEEE10hipError_tT0_T1_T2_jT3_P12ihipStream_tbPNSt15iterator_traitsISE_E10value_typeEPNSK_ISF_E10value_typeEPSG_NS1_7vsmem_tEENKUlT_SE_SF_SG_E_clIS8_S8_S9_S9_EESD_ST_SE_SF_SG_EUlST_E1_NS1_11comp_targetILNS1_3genE3ELNS1_11target_archE908ELNS1_3gpuE7ELNS1_3repE0EEENS1_36merge_oddeven_config_static_selectorELNS0_4arch9wavefront6targetE0EEEvSF_ ; -- Begin function _ZN7rocprim17ROCPRIM_400000_NS6detail17trampoline_kernelINS0_14default_configENS1_38merge_sort_block_merge_config_selectorImNS0_10empty_typeEEEZZNS1_27merge_sort_block_merge_implIS3_PmPS5_jNS1_19radix_merge_compareILb0ELb0EmNS0_19identity_decomposerEEEEE10hipError_tT0_T1_T2_jT3_P12ihipStream_tbPNSt15iterator_traitsISE_E10value_typeEPNSK_ISF_E10value_typeEPSG_NS1_7vsmem_tEENKUlT_SE_SF_SG_E_clIS8_S8_S9_S9_EESD_ST_SE_SF_SG_EUlST_E1_NS1_11comp_targetILNS1_3genE3ELNS1_11target_archE908ELNS1_3gpuE7ELNS1_3repE0EEENS1_36merge_oddeven_config_static_selectorELNS0_4arch9wavefront6targetE0EEEvSF_
	.globl	_ZN7rocprim17ROCPRIM_400000_NS6detail17trampoline_kernelINS0_14default_configENS1_38merge_sort_block_merge_config_selectorImNS0_10empty_typeEEEZZNS1_27merge_sort_block_merge_implIS3_PmPS5_jNS1_19radix_merge_compareILb0ELb0EmNS0_19identity_decomposerEEEEE10hipError_tT0_T1_T2_jT3_P12ihipStream_tbPNSt15iterator_traitsISE_E10value_typeEPNSK_ISF_E10value_typeEPSG_NS1_7vsmem_tEENKUlT_SE_SF_SG_E_clIS8_S8_S9_S9_EESD_ST_SE_SF_SG_EUlST_E1_NS1_11comp_targetILNS1_3genE3ELNS1_11target_archE908ELNS1_3gpuE7ELNS1_3repE0EEENS1_36merge_oddeven_config_static_selectorELNS0_4arch9wavefront6targetE0EEEvSF_
	.p2align	8
	.type	_ZN7rocprim17ROCPRIM_400000_NS6detail17trampoline_kernelINS0_14default_configENS1_38merge_sort_block_merge_config_selectorImNS0_10empty_typeEEEZZNS1_27merge_sort_block_merge_implIS3_PmPS5_jNS1_19radix_merge_compareILb0ELb0EmNS0_19identity_decomposerEEEEE10hipError_tT0_T1_T2_jT3_P12ihipStream_tbPNSt15iterator_traitsISE_E10value_typeEPNSK_ISF_E10value_typeEPSG_NS1_7vsmem_tEENKUlT_SE_SF_SG_E_clIS8_S8_S9_S9_EESD_ST_SE_SF_SG_EUlST_E1_NS1_11comp_targetILNS1_3genE3ELNS1_11target_archE908ELNS1_3gpuE7ELNS1_3repE0EEENS1_36merge_oddeven_config_static_selectorELNS0_4arch9wavefront6targetE0EEEvSF_,@function
_ZN7rocprim17ROCPRIM_400000_NS6detail17trampoline_kernelINS0_14default_configENS1_38merge_sort_block_merge_config_selectorImNS0_10empty_typeEEEZZNS1_27merge_sort_block_merge_implIS3_PmPS5_jNS1_19radix_merge_compareILb0ELb0EmNS0_19identity_decomposerEEEEE10hipError_tT0_T1_T2_jT3_P12ihipStream_tbPNSt15iterator_traitsISE_E10value_typeEPNSK_ISF_E10value_typeEPSG_NS1_7vsmem_tEENKUlT_SE_SF_SG_E_clIS8_S8_S9_S9_EESD_ST_SE_SF_SG_EUlST_E1_NS1_11comp_targetILNS1_3genE3ELNS1_11target_archE908ELNS1_3gpuE7ELNS1_3repE0EEENS1_36merge_oddeven_config_static_selectorELNS0_4arch9wavefront6targetE0EEEvSF_: ; @_ZN7rocprim17ROCPRIM_400000_NS6detail17trampoline_kernelINS0_14default_configENS1_38merge_sort_block_merge_config_selectorImNS0_10empty_typeEEEZZNS1_27merge_sort_block_merge_implIS3_PmPS5_jNS1_19radix_merge_compareILb0ELb0EmNS0_19identity_decomposerEEEEE10hipError_tT0_T1_T2_jT3_P12ihipStream_tbPNSt15iterator_traitsISE_E10value_typeEPNSK_ISF_E10value_typeEPSG_NS1_7vsmem_tEENKUlT_SE_SF_SG_E_clIS8_S8_S9_S9_EESD_ST_SE_SF_SG_EUlST_E1_NS1_11comp_targetILNS1_3genE3ELNS1_11target_archE908ELNS1_3gpuE7ELNS1_3repE0EEENS1_36merge_oddeven_config_static_selectorELNS0_4arch9wavefront6targetE0EEEvSF_
; %bb.0:
	.section	.rodata,"a",@progbits
	.p2align	6, 0x0
	.amdhsa_kernel _ZN7rocprim17ROCPRIM_400000_NS6detail17trampoline_kernelINS0_14default_configENS1_38merge_sort_block_merge_config_selectorImNS0_10empty_typeEEEZZNS1_27merge_sort_block_merge_implIS3_PmPS5_jNS1_19radix_merge_compareILb0ELb0EmNS0_19identity_decomposerEEEEE10hipError_tT0_T1_T2_jT3_P12ihipStream_tbPNSt15iterator_traitsISE_E10value_typeEPNSK_ISF_E10value_typeEPSG_NS1_7vsmem_tEENKUlT_SE_SF_SG_E_clIS8_S8_S9_S9_EESD_ST_SE_SF_SG_EUlST_E1_NS1_11comp_targetILNS1_3genE3ELNS1_11target_archE908ELNS1_3gpuE7ELNS1_3repE0EEENS1_36merge_oddeven_config_static_selectorELNS0_4arch9wavefront6targetE0EEEvSF_
		.amdhsa_group_segment_fixed_size 0
		.amdhsa_private_segment_fixed_size 0
		.amdhsa_kernarg_size 48
		.amdhsa_user_sgpr_count 2
		.amdhsa_user_sgpr_dispatch_ptr 0
		.amdhsa_user_sgpr_queue_ptr 0
		.amdhsa_user_sgpr_kernarg_segment_ptr 1
		.amdhsa_user_sgpr_dispatch_id 0
		.amdhsa_user_sgpr_kernarg_preload_length 0
		.amdhsa_user_sgpr_kernarg_preload_offset 0
		.amdhsa_user_sgpr_private_segment_size 0
		.amdhsa_wavefront_size32 1
		.amdhsa_uses_dynamic_stack 0
		.amdhsa_enable_private_segment 0
		.amdhsa_system_sgpr_workgroup_id_x 1
		.amdhsa_system_sgpr_workgroup_id_y 0
		.amdhsa_system_sgpr_workgroup_id_z 0
		.amdhsa_system_sgpr_workgroup_info 0
		.amdhsa_system_vgpr_workitem_id 0
		.amdhsa_next_free_vgpr 1
		.amdhsa_next_free_sgpr 1
		.amdhsa_named_barrier_count 0
		.amdhsa_reserve_vcc 0
		.amdhsa_float_round_mode_32 0
		.amdhsa_float_round_mode_16_64 0
		.amdhsa_float_denorm_mode_32 3
		.amdhsa_float_denorm_mode_16_64 3
		.amdhsa_fp16_overflow 0
		.amdhsa_memory_ordered 1
		.amdhsa_forward_progress 1
		.amdhsa_inst_pref_size 0
		.amdhsa_round_robin_scheduling 0
		.amdhsa_exception_fp_ieee_invalid_op 0
		.amdhsa_exception_fp_denorm_src 0
		.amdhsa_exception_fp_ieee_div_zero 0
		.amdhsa_exception_fp_ieee_overflow 0
		.amdhsa_exception_fp_ieee_underflow 0
		.amdhsa_exception_fp_ieee_inexact 0
		.amdhsa_exception_int_div_zero 0
	.end_amdhsa_kernel
	.section	.text._ZN7rocprim17ROCPRIM_400000_NS6detail17trampoline_kernelINS0_14default_configENS1_38merge_sort_block_merge_config_selectorImNS0_10empty_typeEEEZZNS1_27merge_sort_block_merge_implIS3_PmPS5_jNS1_19radix_merge_compareILb0ELb0EmNS0_19identity_decomposerEEEEE10hipError_tT0_T1_T2_jT3_P12ihipStream_tbPNSt15iterator_traitsISE_E10value_typeEPNSK_ISF_E10value_typeEPSG_NS1_7vsmem_tEENKUlT_SE_SF_SG_E_clIS8_S8_S9_S9_EESD_ST_SE_SF_SG_EUlST_E1_NS1_11comp_targetILNS1_3genE3ELNS1_11target_archE908ELNS1_3gpuE7ELNS1_3repE0EEENS1_36merge_oddeven_config_static_selectorELNS0_4arch9wavefront6targetE0EEEvSF_,"axG",@progbits,_ZN7rocprim17ROCPRIM_400000_NS6detail17trampoline_kernelINS0_14default_configENS1_38merge_sort_block_merge_config_selectorImNS0_10empty_typeEEEZZNS1_27merge_sort_block_merge_implIS3_PmPS5_jNS1_19radix_merge_compareILb0ELb0EmNS0_19identity_decomposerEEEEE10hipError_tT0_T1_T2_jT3_P12ihipStream_tbPNSt15iterator_traitsISE_E10value_typeEPNSK_ISF_E10value_typeEPSG_NS1_7vsmem_tEENKUlT_SE_SF_SG_E_clIS8_S8_S9_S9_EESD_ST_SE_SF_SG_EUlST_E1_NS1_11comp_targetILNS1_3genE3ELNS1_11target_archE908ELNS1_3gpuE7ELNS1_3repE0EEENS1_36merge_oddeven_config_static_selectorELNS0_4arch9wavefront6targetE0EEEvSF_,comdat
.Lfunc_end2945:
	.size	_ZN7rocprim17ROCPRIM_400000_NS6detail17trampoline_kernelINS0_14default_configENS1_38merge_sort_block_merge_config_selectorImNS0_10empty_typeEEEZZNS1_27merge_sort_block_merge_implIS3_PmPS5_jNS1_19radix_merge_compareILb0ELb0EmNS0_19identity_decomposerEEEEE10hipError_tT0_T1_T2_jT3_P12ihipStream_tbPNSt15iterator_traitsISE_E10value_typeEPNSK_ISF_E10value_typeEPSG_NS1_7vsmem_tEENKUlT_SE_SF_SG_E_clIS8_S8_S9_S9_EESD_ST_SE_SF_SG_EUlST_E1_NS1_11comp_targetILNS1_3genE3ELNS1_11target_archE908ELNS1_3gpuE7ELNS1_3repE0EEENS1_36merge_oddeven_config_static_selectorELNS0_4arch9wavefront6targetE0EEEvSF_, .Lfunc_end2945-_ZN7rocprim17ROCPRIM_400000_NS6detail17trampoline_kernelINS0_14default_configENS1_38merge_sort_block_merge_config_selectorImNS0_10empty_typeEEEZZNS1_27merge_sort_block_merge_implIS3_PmPS5_jNS1_19radix_merge_compareILb0ELb0EmNS0_19identity_decomposerEEEEE10hipError_tT0_T1_T2_jT3_P12ihipStream_tbPNSt15iterator_traitsISE_E10value_typeEPNSK_ISF_E10value_typeEPSG_NS1_7vsmem_tEENKUlT_SE_SF_SG_E_clIS8_S8_S9_S9_EESD_ST_SE_SF_SG_EUlST_E1_NS1_11comp_targetILNS1_3genE3ELNS1_11target_archE908ELNS1_3gpuE7ELNS1_3repE0EEENS1_36merge_oddeven_config_static_selectorELNS0_4arch9wavefront6targetE0EEEvSF_
                                        ; -- End function
	.set _ZN7rocprim17ROCPRIM_400000_NS6detail17trampoline_kernelINS0_14default_configENS1_38merge_sort_block_merge_config_selectorImNS0_10empty_typeEEEZZNS1_27merge_sort_block_merge_implIS3_PmPS5_jNS1_19radix_merge_compareILb0ELb0EmNS0_19identity_decomposerEEEEE10hipError_tT0_T1_T2_jT3_P12ihipStream_tbPNSt15iterator_traitsISE_E10value_typeEPNSK_ISF_E10value_typeEPSG_NS1_7vsmem_tEENKUlT_SE_SF_SG_E_clIS8_S8_S9_S9_EESD_ST_SE_SF_SG_EUlST_E1_NS1_11comp_targetILNS1_3genE3ELNS1_11target_archE908ELNS1_3gpuE7ELNS1_3repE0EEENS1_36merge_oddeven_config_static_selectorELNS0_4arch9wavefront6targetE0EEEvSF_.num_vgpr, 0
	.set _ZN7rocprim17ROCPRIM_400000_NS6detail17trampoline_kernelINS0_14default_configENS1_38merge_sort_block_merge_config_selectorImNS0_10empty_typeEEEZZNS1_27merge_sort_block_merge_implIS3_PmPS5_jNS1_19radix_merge_compareILb0ELb0EmNS0_19identity_decomposerEEEEE10hipError_tT0_T1_T2_jT3_P12ihipStream_tbPNSt15iterator_traitsISE_E10value_typeEPNSK_ISF_E10value_typeEPSG_NS1_7vsmem_tEENKUlT_SE_SF_SG_E_clIS8_S8_S9_S9_EESD_ST_SE_SF_SG_EUlST_E1_NS1_11comp_targetILNS1_3genE3ELNS1_11target_archE908ELNS1_3gpuE7ELNS1_3repE0EEENS1_36merge_oddeven_config_static_selectorELNS0_4arch9wavefront6targetE0EEEvSF_.num_agpr, 0
	.set _ZN7rocprim17ROCPRIM_400000_NS6detail17trampoline_kernelINS0_14default_configENS1_38merge_sort_block_merge_config_selectorImNS0_10empty_typeEEEZZNS1_27merge_sort_block_merge_implIS3_PmPS5_jNS1_19radix_merge_compareILb0ELb0EmNS0_19identity_decomposerEEEEE10hipError_tT0_T1_T2_jT3_P12ihipStream_tbPNSt15iterator_traitsISE_E10value_typeEPNSK_ISF_E10value_typeEPSG_NS1_7vsmem_tEENKUlT_SE_SF_SG_E_clIS8_S8_S9_S9_EESD_ST_SE_SF_SG_EUlST_E1_NS1_11comp_targetILNS1_3genE3ELNS1_11target_archE908ELNS1_3gpuE7ELNS1_3repE0EEENS1_36merge_oddeven_config_static_selectorELNS0_4arch9wavefront6targetE0EEEvSF_.numbered_sgpr, 0
	.set _ZN7rocprim17ROCPRIM_400000_NS6detail17trampoline_kernelINS0_14default_configENS1_38merge_sort_block_merge_config_selectorImNS0_10empty_typeEEEZZNS1_27merge_sort_block_merge_implIS3_PmPS5_jNS1_19radix_merge_compareILb0ELb0EmNS0_19identity_decomposerEEEEE10hipError_tT0_T1_T2_jT3_P12ihipStream_tbPNSt15iterator_traitsISE_E10value_typeEPNSK_ISF_E10value_typeEPSG_NS1_7vsmem_tEENKUlT_SE_SF_SG_E_clIS8_S8_S9_S9_EESD_ST_SE_SF_SG_EUlST_E1_NS1_11comp_targetILNS1_3genE3ELNS1_11target_archE908ELNS1_3gpuE7ELNS1_3repE0EEENS1_36merge_oddeven_config_static_selectorELNS0_4arch9wavefront6targetE0EEEvSF_.num_named_barrier, 0
	.set _ZN7rocprim17ROCPRIM_400000_NS6detail17trampoline_kernelINS0_14default_configENS1_38merge_sort_block_merge_config_selectorImNS0_10empty_typeEEEZZNS1_27merge_sort_block_merge_implIS3_PmPS5_jNS1_19radix_merge_compareILb0ELb0EmNS0_19identity_decomposerEEEEE10hipError_tT0_T1_T2_jT3_P12ihipStream_tbPNSt15iterator_traitsISE_E10value_typeEPNSK_ISF_E10value_typeEPSG_NS1_7vsmem_tEENKUlT_SE_SF_SG_E_clIS8_S8_S9_S9_EESD_ST_SE_SF_SG_EUlST_E1_NS1_11comp_targetILNS1_3genE3ELNS1_11target_archE908ELNS1_3gpuE7ELNS1_3repE0EEENS1_36merge_oddeven_config_static_selectorELNS0_4arch9wavefront6targetE0EEEvSF_.private_seg_size, 0
	.set _ZN7rocprim17ROCPRIM_400000_NS6detail17trampoline_kernelINS0_14default_configENS1_38merge_sort_block_merge_config_selectorImNS0_10empty_typeEEEZZNS1_27merge_sort_block_merge_implIS3_PmPS5_jNS1_19radix_merge_compareILb0ELb0EmNS0_19identity_decomposerEEEEE10hipError_tT0_T1_T2_jT3_P12ihipStream_tbPNSt15iterator_traitsISE_E10value_typeEPNSK_ISF_E10value_typeEPSG_NS1_7vsmem_tEENKUlT_SE_SF_SG_E_clIS8_S8_S9_S9_EESD_ST_SE_SF_SG_EUlST_E1_NS1_11comp_targetILNS1_3genE3ELNS1_11target_archE908ELNS1_3gpuE7ELNS1_3repE0EEENS1_36merge_oddeven_config_static_selectorELNS0_4arch9wavefront6targetE0EEEvSF_.uses_vcc, 0
	.set _ZN7rocprim17ROCPRIM_400000_NS6detail17trampoline_kernelINS0_14default_configENS1_38merge_sort_block_merge_config_selectorImNS0_10empty_typeEEEZZNS1_27merge_sort_block_merge_implIS3_PmPS5_jNS1_19radix_merge_compareILb0ELb0EmNS0_19identity_decomposerEEEEE10hipError_tT0_T1_T2_jT3_P12ihipStream_tbPNSt15iterator_traitsISE_E10value_typeEPNSK_ISF_E10value_typeEPSG_NS1_7vsmem_tEENKUlT_SE_SF_SG_E_clIS8_S8_S9_S9_EESD_ST_SE_SF_SG_EUlST_E1_NS1_11comp_targetILNS1_3genE3ELNS1_11target_archE908ELNS1_3gpuE7ELNS1_3repE0EEENS1_36merge_oddeven_config_static_selectorELNS0_4arch9wavefront6targetE0EEEvSF_.uses_flat_scratch, 0
	.set _ZN7rocprim17ROCPRIM_400000_NS6detail17trampoline_kernelINS0_14default_configENS1_38merge_sort_block_merge_config_selectorImNS0_10empty_typeEEEZZNS1_27merge_sort_block_merge_implIS3_PmPS5_jNS1_19radix_merge_compareILb0ELb0EmNS0_19identity_decomposerEEEEE10hipError_tT0_T1_T2_jT3_P12ihipStream_tbPNSt15iterator_traitsISE_E10value_typeEPNSK_ISF_E10value_typeEPSG_NS1_7vsmem_tEENKUlT_SE_SF_SG_E_clIS8_S8_S9_S9_EESD_ST_SE_SF_SG_EUlST_E1_NS1_11comp_targetILNS1_3genE3ELNS1_11target_archE908ELNS1_3gpuE7ELNS1_3repE0EEENS1_36merge_oddeven_config_static_selectorELNS0_4arch9wavefront6targetE0EEEvSF_.has_dyn_sized_stack, 0
	.set _ZN7rocprim17ROCPRIM_400000_NS6detail17trampoline_kernelINS0_14default_configENS1_38merge_sort_block_merge_config_selectorImNS0_10empty_typeEEEZZNS1_27merge_sort_block_merge_implIS3_PmPS5_jNS1_19radix_merge_compareILb0ELb0EmNS0_19identity_decomposerEEEEE10hipError_tT0_T1_T2_jT3_P12ihipStream_tbPNSt15iterator_traitsISE_E10value_typeEPNSK_ISF_E10value_typeEPSG_NS1_7vsmem_tEENKUlT_SE_SF_SG_E_clIS8_S8_S9_S9_EESD_ST_SE_SF_SG_EUlST_E1_NS1_11comp_targetILNS1_3genE3ELNS1_11target_archE908ELNS1_3gpuE7ELNS1_3repE0EEENS1_36merge_oddeven_config_static_selectorELNS0_4arch9wavefront6targetE0EEEvSF_.has_recursion, 0
	.set _ZN7rocprim17ROCPRIM_400000_NS6detail17trampoline_kernelINS0_14default_configENS1_38merge_sort_block_merge_config_selectorImNS0_10empty_typeEEEZZNS1_27merge_sort_block_merge_implIS3_PmPS5_jNS1_19radix_merge_compareILb0ELb0EmNS0_19identity_decomposerEEEEE10hipError_tT0_T1_T2_jT3_P12ihipStream_tbPNSt15iterator_traitsISE_E10value_typeEPNSK_ISF_E10value_typeEPSG_NS1_7vsmem_tEENKUlT_SE_SF_SG_E_clIS8_S8_S9_S9_EESD_ST_SE_SF_SG_EUlST_E1_NS1_11comp_targetILNS1_3genE3ELNS1_11target_archE908ELNS1_3gpuE7ELNS1_3repE0EEENS1_36merge_oddeven_config_static_selectorELNS0_4arch9wavefront6targetE0EEEvSF_.has_indirect_call, 0
	.section	.AMDGPU.csdata,"",@progbits
; Kernel info:
; codeLenInByte = 0
; TotalNumSgprs: 0
; NumVgprs: 0
; ScratchSize: 0
; MemoryBound: 0
; FloatMode: 240
; IeeeMode: 1
; LDSByteSize: 0 bytes/workgroup (compile time only)
; SGPRBlocks: 0
; VGPRBlocks: 0
; NumSGPRsForWavesPerEU: 1
; NumVGPRsForWavesPerEU: 1
; NamedBarCnt: 0
; Occupancy: 16
; WaveLimiterHint : 0
; COMPUTE_PGM_RSRC2:SCRATCH_EN: 0
; COMPUTE_PGM_RSRC2:USER_SGPR: 2
; COMPUTE_PGM_RSRC2:TRAP_HANDLER: 0
; COMPUTE_PGM_RSRC2:TGID_X_EN: 1
; COMPUTE_PGM_RSRC2:TGID_Y_EN: 0
; COMPUTE_PGM_RSRC2:TGID_Z_EN: 0
; COMPUTE_PGM_RSRC2:TIDIG_COMP_CNT: 0
	.section	.text._ZN7rocprim17ROCPRIM_400000_NS6detail17trampoline_kernelINS0_14default_configENS1_38merge_sort_block_merge_config_selectorImNS0_10empty_typeEEEZZNS1_27merge_sort_block_merge_implIS3_PmPS5_jNS1_19radix_merge_compareILb0ELb0EmNS0_19identity_decomposerEEEEE10hipError_tT0_T1_T2_jT3_P12ihipStream_tbPNSt15iterator_traitsISE_E10value_typeEPNSK_ISF_E10value_typeEPSG_NS1_7vsmem_tEENKUlT_SE_SF_SG_E_clIS8_S8_S9_S9_EESD_ST_SE_SF_SG_EUlST_E1_NS1_11comp_targetILNS1_3genE2ELNS1_11target_archE906ELNS1_3gpuE6ELNS1_3repE0EEENS1_36merge_oddeven_config_static_selectorELNS0_4arch9wavefront6targetE0EEEvSF_,"axG",@progbits,_ZN7rocprim17ROCPRIM_400000_NS6detail17trampoline_kernelINS0_14default_configENS1_38merge_sort_block_merge_config_selectorImNS0_10empty_typeEEEZZNS1_27merge_sort_block_merge_implIS3_PmPS5_jNS1_19radix_merge_compareILb0ELb0EmNS0_19identity_decomposerEEEEE10hipError_tT0_T1_T2_jT3_P12ihipStream_tbPNSt15iterator_traitsISE_E10value_typeEPNSK_ISF_E10value_typeEPSG_NS1_7vsmem_tEENKUlT_SE_SF_SG_E_clIS8_S8_S9_S9_EESD_ST_SE_SF_SG_EUlST_E1_NS1_11comp_targetILNS1_3genE2ELNS1_11target_archE906ELNS1_3gpuE6ELNS1_3repE0EEENS1_36merge_oddeven_config_static_selectorELNS0_4arch9wavefront6targetE0EEEvSF_,comdat
	.protected	_ZN7rocprim17ROCPRIM_400000_NS6detail17trampoline_kernelINS0_14default_configENS1_38merge_sort_block_merge_config_selectorImNS0_10empty_typeEEEZZNS1_27merge_sort_block_merge_implIS3_PmPS5_jNS1_19radix_merge_compareILb0ELb0EmNS0_19identity_decomposerEEEEE10hipError_tT0_T1_T2_jT3_P12ihipStream_tbPNSt15iterator_traitsISE_E10value_typeEPNSK_ISF_E10value_typeEPSG_NS1_7vsmem_tEENKUlT_SE_SF_SG_E_clIS8_S8_S9_S9_EESD_ST_SE_SF_SG_EUlST_E1_NS1_11comp_targetILNS1_3genE2ELNS1_11target_archE906ELNS1_3gpuE6ELNS1_3repE0EEENS1_36merge_oddeven_config_static_selectorELNS0_4arch9wavefront6targetE0EEEvSF_ ; -- Begin function _ZN7rocprim17ROCPRIM_400000_NS6detail17trampoline_kernelINS0_14default_configENS1_38merge_sort_block_merge_config_selectorImNS0_10empty_typeEEEZZNS1_27merge_sort_block_merge_implIS3_PmPS5_jNS1_19radix_merge_compareILb0ELb0EmNS0_19identity_decomposerEEEEE10hipError_tT0_T1_T2_jT3_P12ihipStream_tbPNSt15iterator_traitsISE_E10value_typeEPNSK_ISF_E10value_typeEPSG_NS1_7vsmem_tEENKUlT_SE_SF_SG_E_clIS8_S8_S9_S9_EESD_ST_SE_SF_SG_EUlST_E1_NS1_11comp_targetILNS1_3genE2ELNS1_11target_archE906ELNS1_3gpuE6ELNS1_3repE0EEENS1_36merge_oddeven_config_static_selectorELNS0_4arch9wavefront6targetE0EEEvSF_
	.globl	_ZN7rocprim17ROCPRIM_400000_NS6detail17trampoline_kernelINS0_14default_configENS1_38merge_sort_block_merge_config_selectorImNS0_10empty_typeEEEZZNS1_27merge_sort_block_merge_implIS3_PmPS5_jNS1_19radix_merge_compareILb0ELb0EmNS0_19identity_decomposerEEEEE10hipError_tT0_T1_T2_jT3_P12ihipStream_tbPNSt15iterator_traitsISE_E10value_typeEPNSK_ISF_E10value_typeEPSG_NS1_7vsmem_tEENKUlT_SE_SF_SG_E_clIS8_S8_S9_S9_EESD_ST_SE_SF_SG_EUlST_E1_NS1_11comp_targetILNS1_3genE2ELNS1_11target_archE906ELNS1_3gpuE6ELNS1_3repE0EEENS1_36merge_oddeven_config_static_selectorELNS0_4arch9wavefront6targetE0EEEvSF_
	.p2align	8
	.type	_ZN7rocprim17ROCPRIM_400000_NS6detail17trampoline_kernelINS0_14default_configENS1_38merge_sort_block_merge_config_selectorImNS0_10empty_typeEEEZZNS1_27merge_sort_block_merge_implIS3_PmPS5_jNS1_19radix_merge_compareILb0ELb0EmNS0_19identity_decomposerEEEEE10hipError_tT0_T1_T2_jT3_P12ihipStream_tbPNSt15iterator_traitsISE_E10value_typeEPNSK_ISF_E10value_typeEPSG_NS1_7vsmem_tEENKUlT_SE_SF_SG_E_clIS8_S8_S9_S9_EESD_ST_SE_SF_SG_EUlST_E1_NS1_11comp_targetILNS1_3genE2ELNS1_11target_archE906ELNS1_3gpuE6ELNS1_3repE0EEENS1_36merge_oddeven_config_static_selectorELNS0_4arch9wavefront6targetE0EEEvSF_,@function
_ZN7rocprim17ROCPRIM_400000_NS6detail17trampoline_kernelINS0_14default_configENS1_38merge_sort_block_merge_config_selectorImNS0_10empty_typeEEEZZNS1_27merge_sort_block_merge_implIS3_PmPS5_jNS1_19radix_merge_compareILb0ELb0EmNS0_19identity_decomposerEEEEE10hipError_tT0_T1_T2_jT3_P12ihipStream_tbPNSt15iterator_traitsISE_E10value_typeEPNSK_ISF_E10value_typeEPSG_NS1_7vsmem_tEENKUlT_SE_SF_SG_E_clIS8_S8_S9_S9_EESD_ST_SE_SF_SG_EUlST_E1_NS1_11comp_targetILNS1_3genE2ELNS1_11target_archE906ELNS1_3gpuE6ELNS1_3repE0EEENS1_36merge_oddeven_config_static_selectorELNS0_4arch9wavefront6targetE0EEEvSF_: ; @_ZN7rocprim17ROCPRIM_400000_NS6detail17trampoline_kernelINS0_14default_configENS1_38merge_sort_block_merge_config_selectorImNS0_10empty_typeEEEZZNS1_27merge_sort_block_merge_implIS3_PmPS5_jNS1_19radix_merge_compareILb0ELb0EmNS0_19identity_decomposerEEEEE10hipError_tT0_T1_T2_jT3_P12ihipStream_tbPNSt15iterator_traitsISE_E10value_typeEPNSK_ISF_E10value_typeEPSG_NS1_7vsmem_tEENKUlT_SE_SF_SG_E_clIS8_S8_S9_S9_EESD_ST_SE_SF_SG_EUlST_E1_NS1_11comp_targetILNS1_3genE2ELNS1_11target_archE906ELNS1_3gpuE6ELNS1_3repE0EEENS1_36merge_oddeven_config_static_selectorELNS0_4arch9wavefront6targetE0EEEvSF_
; %bb.0:
	.section	.rodata,"a",@progbits
	.p2align	6, 0x0
	.amdhsa_kernel _ZN7rocprim17ROCPRIM_400000_NS6detail17trampoline_kernelINS0_14default_configENS1_38merge_sort_block_merge_config_selectorImNS0_10empty_typeEEEZZNS1_27merge_sort_block_merge_implIS3_PmPS5_jNS1_19radix_merge_compareILb0ELb0EmNS0_19identity_decomposerEEEEE10hipError_tT0_T1_T2_jT3_P12ihipStream_tbPNSt15iterator_traitsISE_E10value_typeEPNSK_ISF_E10value_typeEPSG_NS1_7vsmem_tEENKUlT_SE_SF_SG_E_clIS8_S8_S9_S9_EESD_ST_SE_SF_SG_EUlST_E1_NS1_11comp_targetILNS1_3genE2ELNS1_11target_archE906ELNS1_3gpuE6ELNS1_3repE0EEENS1_36merge_oddeven_config_static_selectorELNS0_4arch9wavefront6targetE0EEEvSF_
		.amdhsa_group_segment_fixed_size 0
		.amdhsa_private_segment_fixed_size 0
		.amdhsa_kernarg_size 48
		.amdhsa_user_sgpr_count 2
		.amdhsa_user_sgpr_dispatch_ptr 0
		.amdhsa_user_sgpr_queue_ptr 0
		.amdhsa_user_sgpr_kernarg_segment_ptr 1
		.amdhsa_user_sgpr_dispatch_id 0
		.amdhsa_user_sgpr_kernarg_preload_length 0
		.amdhsa_user_sgpr_kernarg_preload_offset 0
		.amdhsa_user_sgpr_private_segment_size 0
		.amdhsa_wavefront_size32 1
		.amdhsa_uses_dynamic_stack 0
		.amdhsa_enable_private_segment 0
		.amdhsa_system_sgpr_workgroup_id_x 1
		.amdhsa_system_sgpr_workgroup_id_y 0
		.amdhsa_system_sgpr_workgroup_id_z 0
		.amdhsa_system_sgpr_workgroup_info 0
		.amdhsa_system_vgpr_workitem_id 0
		.amdhsa_next_free_vgpr 1
		.amdhsa_next_free_sgpr 1
		.amdhsa_named_barrier_count 0
		.amdhsa_reserve_vcc 0
		.amdhsa_float_round_mode_32 0
		.amdhsa_float_round_mode_16_64 0
		.amdhsa_float_denorm_mode_32 3
		.amdhsa_float_denorm_mode_16_64 3
		.amdhsa_fp16_overflow 0
		.amdhsa_memory_ordered 1
		.amdhsa_forward_progress 1
		.amdhsa_inst_pref_size 0
		.amdhsa_round_robin_scheduling 0
		.amdhsa_exception_fp_ieee_invalid_op 0
		.amdhsa_exception_fp_denorm_src 0
		.amdhsa_exception_fp_ieee_div_zero 0
		.amdhsa_exception_fp_ieee_overflow 0
		.amdhsa_exception_fp_ieee_underflow 0
		.amdhsa_exception_fp_ieee_inexact 0
		.amdhsa_exception_int_div_zero 0
	.end_amdhsa_kernel
	.section	.text._ZN7rocprim17ROCPRIM_400000_NS6detail17trampoline_kernelINS0_14default_configENS1_38merge_sort_block_merge_config_selectorImNS0_10empty_typeEEEZZNS1_27merge_sort_block_merge_implIS3_PmPS5_jNS1_19radix_merge_compareILb0ELb0EmNS0_19identity_decomposerEEEEE10hipError_tT0_T1_T2_jT3_P12ihipStream_tbPNSt15iterator_traitsISE_E10value_typeEPNSK_ISF_E10value_typeEPSG_NS1_7vsmem_tEENKUlT_SE_SF_SG_E_clIS8_S8_S9_S9_EESD_ST_SE_SF_SG_EUlST_E1_NS1_11comp_targetILNS1_3genE2ELNS1_11target_archE906ELNS1_3gpuE6ELNS1_3repE0EEENS1_36merge_oddeven_config_static_selectorELNS0_4arch9wavefront6targetE0EEEvSF_,"axG",@progbits,_ZN7rocprim17ROCPRIM_400000_NS6detail17trampoline_kernelINS0_14default_configENS1_38merge_sort_block_merge_config_selectorImNS0_10empty_typeEEEZZNS1_27merge_sort_block_merge_implIS3_PmPS5_jNS1_19radix_merge_compareILb0ELb0EmNS0_19identity_decomposerEEEEE10hipError_tT0_T1_T2_jT3_P12ihipStream_tbPNSt15iterator_traitsISE_E10value_typeEPNSK_ISF_E10value_typeEPSG_NS1_7vsmem_tEENKUlT_SE_SF_SG_E_clIS8_S8_S9_S9_EESD_ST_SE_SF_SG_EUlST_E1_NS1_11comp_targetILNS1_3genE2ELNS1_11target_archE906ELNS1_3gpuE6ELNS1_3repE0EEENS1_36merge_oddeven_config_static_selectorELNS0_4arch9wavefront6targetE0EEEvSF_,comdat
.Lfunc_end2946:
	.size	_ZN7rocprim17ROCPRIM_400000_NS6detail17trampoline_kernelINS0_14default_configENS1_38merge_sort_block_merge_config_selectorImNS0_10empty_typeEEEZZNS1_27merge_sort_block_merge_implIS3_PmPS5_jNS1_19radix_merge_compareILb0ELb0EmNS0_19identity_decomposerEEEEE10hipError_tT0_T1_T2_jT3_P12ihipStream_tbPNSt15iterator_traitsISE_E10value_typeEPNSK_ISF_E10value_typeEPSG_NS1_7vsmem_tEENKUlT_SE_SF_SG_E_clIS8_S8_S9_S9_EESD_ST_SE_SF_SG_EUlST_E1_NS1_11comp_targetILNS1_3genE2ELNS1_11target_archE906ELNS1_3gpuE6ELNS1_3repE0EEENS1_36merge_oddeven_config_static_selectorELNS0_4arch9wavefront6targetE0EEEvSF_, .Lfunc_end2946-_ZN7rocprim17ROCPRIM_400000_NS6detail17trampoline_kernelINS0_14default_configENS1_38merge_sort_block_merge_config_selectorImNS0_10empty_typeEEEZZNS1_27merge_sort_block_merge_implIS3_PmPS5_jNS1_19radix_merge_compareILb0ELb0EmNS0_19identity_decomposerEEEEE10hipError_tT0_T1_T2_jT3_P12ihipStream_tbPNSt15iterator_traitsISE_E10value_typeEPNSK_ISF_E10value_typeEPSG_NS1_7vsmem_tEENKUlT_SE_SF_SG_E_clIS8_S8_S9_S9_EESD_ST_SE_SF_SG_EUlST_E1_NS1_11comp_targetILNS1_3genE2ELNS1_11target_archE906ELNS1_3gpuE6ELNS1_3repE0EEENS1_36merge_oddeven_config_static_selectorELNS0_4arch9wavefront6targetE0EEEvSF_
                                        ; -- End function
	.set _ZN7rocprim17ROCPRIM_400000_NS6detail17trampoline_kernelINS0_14default_configENS1_38merge_sort_block_merge_config_selectorImNS0_10empty_typeEEEZZNS1_27merge_sort_block_merge_implIS3_PmPS5_jNS1_19radix_merge_compareILb0ELb0EmNS0_19identity_decomposerEEEEE10hipError_tT0_T1_T2_jT3_P12ihipStream_tbPNSt15iterator_traitsISE_E10value_typeEPNSK_ISF_E10value_typeEPSG_NS1_7vsmem_tEENKUlT_SE_SF_SG_E_clIS8_S8_S9_S9_EESD_ST_SE_SF_SG_EUlST_E1_NS1_11comp_targetILNS1_3genE2ELNS1_11target_archE906ELNS1_3gpuE6ELNS1_3repE0EEENS1_36merge_oddeven_config_static_selectorELNS0_4arch9wavefront6targetE0EEEvSF_.num_vgpr, 0
	.set _ZN7rocprim17ROCPRIM_400000_NS6detail17trampoline_kernelINS0_14default_configENS1_38merge_sort_block_merge_config_selectorImNS0_10empty_typeEEEZZNS1_27merge_sort_block_merge_implIS3_PmPS5_jNS1_19radix_merge_compareILb0ELb0EmNS0_19identity_decomposerEEEEE10hipError_tT0_T1_T2_jT3_P12ihipStream_tbPNSt15iterator_traitsISE_E10value_typeEPNSK_ISF_E10value_typeEPSG_NS1_7vsmem_tEENKUlT_SE_SF_SG_E_clIS8_S8_S9_S9_EESD_ST_SE_SF_SG_EUlST_E1_NS1_11comp_targetILNS1_3genE2ELNS1_11target_archE906ELNS1_3gpuE6ELNS1_3repE0EEENS1_36merge_oddeven_config_static_selectorELNS0_4arch9wavefront6targetE0EEEvSF_.num_agpr, 0
	.set _ZN7rocprim17ROCPRIM_400000_NS6detail17trampoline_kernelINS0_14default_configENS1_38merge_sort_block_merge_config_selectorImNS0_10empty_typeEEEZZNS1_27merge_sort_block_merge_implIS3_PmPS5_jNS1_19radix_merge_compareILb0ELb0EmNS0_19identity_decomposerEEEEE10hipError_tT0_T1_T2_jT3_P12ihipStream_tbPNSt15iterator_traitsISE_E10value_typeEPNSK_ISF_E10value_typeEPSG_NS1_7vsmem_tEENKUlT_SE_SF_SG_E_clIS8_S8_S9_S9_EESD_ST_SE_SF_SG_EUlST_E1_NS1_11comp_targetILNS1_3genE2ELNS1_11target_archE906ELNS1_3gpuE6ELNS1_3repE0EEENS1_36merge_oddeven_config_static_selectorELNS0_4arch9wavefront6targetE0EEEvSF_.numbered_sgpr, 0
	.set _ZN7rocprim17ROCPRIM_400000_NS6detail17trampoline_kernelINS0_14default_configENS1_38merge_sort_block_merge_config_selectorImNS0_10empty_typeEEEZZNS1_27merge_sort_block_merge_implIS3_PmPS5_jNS1_19radix_merge_compareILb0ELb0EmNS0_19identity_decomposerEEEEE10hipError_tT0_T1_T2_jT3_P12ihipStream_tbPNSt15iterator_traitsISE_E10value_typeEPNSK_ISF_E10value_typeEPSG_NS1_7vsmem_tEENKUlT_SE_SF_SG_E_clIS8_S8_S9_S9_EESD_ST_SE_SF_SG_EUlST_E1_NS1_11comp_targetILNS1_3genE2ELNS1_11target_archE906ELNS1_3gpuE6ELNS1_3repE0EEENS1_36merge_oddeven_config_static_selectorELNS0_4arch9wavefront6targetE0EEEvSF_.num_named_barrier, 0
	.set _ZN7rocprim17ROCPRIM_400000_NS6detail17trampoline_kernelINS0_14default_configENS1_38merge_sort_block_merge_config_selectorImNS0_10empty_typeEEEZZNS1_27merge_sort_block_merge_implIS3_PmPS5_jNS1_19radix_merge_compareILb0ELb0EmNS0_19identity_decomposerEEEEE10hipError_tT0_T1_T2_jT3_P12ihipStream_tbPNSt15iterator_traitsISE_E10value_typeEPNSK_ISF_E10value_typeEPSG_NS1_7vsmem_tEENKUlT_SE_SF_SG_E_clIS8_S8_S9_S9_EESD_ST_SE_SF_SG_EUlST_E1_NS1_11comp_targetILNS1_3genE2ELNS1_11target_archE906ELNS1_3gpuE6ELNS1_3repE0EEENS1_36merge_oddeven_config_static_selectorELNS0_4arch9wavefront6targetE0EEEvSF_.private_seg_size, 0
	.set _ZN7rocprim17ROCPRIM_400000_NS6detail17trampoline_kernelINS0_14default_configENS1_38merge_sort_block_merge_config_selectorImNS0_10empty_typeEEEZZNS1_27merge_sort_block_merge_implIS3_PmPS5_jNS1_19radix_merge_compareILb0ELb0EmNS0_19identity_decomposerEEEEE10hipError_tT0_T1_T2_jT3_P12ihipStream_tbPNSt15iterator_traitsISE_E10value_typeEPNSK_ISF_E10value_typeEPSG_NS1_7vsmem_tEENKUlT_SE_SF_SG_E_clIS8_S8_S9_S9_EESD_ST_SE_SF_SG_EUlST_E1_NS1_11comp_targetILNS1_3genE2ELNS1_11target_archE906ELNS1_3gpuE6ELNS1_3repE0EEENS1_36merge_oddeven_config_static_selectorELNS0_4arch9wavefront6targetE0EEEvSF_.uses_vcc, 0
	.set _ZN7rocprim17ROCPRIM_400000_NS6detail17trampoline_kernelINS0_14default_configENS1_38merge_sort_block_merge_config_selectorImNS0_10empty_typeEEEZZNS1_27merge_sort_block_merge_implIS3_PmPS5_jNS1_19radix_merge_compareILb0ELb0EmNS0_19identity_decomposerEEEEE10hipError_tT0_T1_T2_jT3_P12ihipStream_tbPNSt15iterator_traitsISE_E10value_typeEPNSK_ISF_E10value_typeEPSG_NS1_7vsmem_tEENKUlT_SE_SF_SG_E_clIS8_S8_S9_S9_EESD_ST_SE_SF_SG_EUlST_E1_NS1_11comp_targetILNS1_3genE2ELNS1_11target_archE906ELNS1_3gpuE6ELNS1_3repE0EEENS1_36merge_oddeven_config_static_selectorELNS0_4arch9wavefront6targetE0EEEvSF_.uses_flat_scratch, 0
	.set _ZN7rocprim17ROCPRIM_400000_NS6detail17trampoline_kernelINS0_14default_configENS1_38merge_sort_block_merge_config_selectorImNS0_10empty_typeEEEZZNS1_27merge_sort_block_merge_implIS3_PmPS5_jNS1_19radix_merge_compareILb0ELb0EmNS0_19identity_decomposerEEEEE10hipError_tT0_T1_T2_jT3_P12ihipStream_tbPNSt15iterator_traitsISE_E10value_typeEPNSK_ISF_E10value_typeEPSG_NS1_7vsmem_tEENKUlT_SE_SF_SG_E_clIS8_S8_S9_S9_EESD_ST_SE_SF_SG_EUlST_E1_NS1_11comp_targetILNS1_3genE2ELNS1_11target_archE906ELNS1_3gpuE6ELNS1_3repE0EEENS1_36merge_oddeven_config_static_selectorELNS0_4arch9wavefront6targetE0EEEvSF_.has_dyn_sized_stack, 0
	.set _ZN7rocprim17ROCPRIM_400000_NS6detail17trampoline_kernelINS0_14default_configENS1_38merge_sort_block_merge_config_selectorImNS0_10empty_typeEEEZZNS1_27merge_sort_block_merge_implIS3_PmPS5_jNS1_19radix_merge_compareILb0ELb0EmNS0_19identity_decomposerEEEEE10hipError_tT0_T1_T2_jT3_P12ihipStream_tbPNSt15iterator_traitsISE_E10value_typeEPNSK_ISF_E10value_typeEPSG_NS1_7vsmem_tEENKUlT_SE_SF_SG_E_clIS8_S8_S9_S9_EESD_ST_SE_SF_SG_EUlST_E1_NS1_11comp_targetILNS1_3genE2ELNS1_11target_archE906ELNS1_3gpuE6ELNS1_3repE0EEENS1_36merge_oddeven_config_static_selectorELNS0_4arch9wavefront6targetE0EEEvSF_.has_recursion, 0
	.set _ZN7rocprim17ROCPRIM_400000_NS6detail17trampoline_kernelINS0_14default_configENS1_38merge_sort_block_merge_config_selectorImNS0_10empty_typeEEEZZNS1_27merge_sort_block_merge_implIS3_PmPS5_jNS1_19radix_merge_compareILb0ELb0EmNS0_19identity_decomposerEEEEE10hipError_tT0_T1_T2_jT3_P12ihipStream_tbPNSt15iterator_traitsISE_E10value_typeEPNSK_ISF_E10value_typeEPSG_NS1_7vsmem_tEENKUlT_SE_SF_SG_E_clIS8_S8_S9_S9_EESD_ST_SE_SF_SG_EUlST_E1_NS1_11comp_targetILNS1_3genE2ELNS1_11target_archE906ELNS1_3gpuE6ELNS1_3repE0EEENS1_36merge_oddeven_config_static_selectorELNS0_4arch9wavefront6targetE0EEEvSF_.has_indirect_call, 0
	.section	.AMDGPU.csdata,"",@progbits
; Kernel info:
; codeLenInByte = 0
; TotalNumSgprs: 0
; NumVgprs: 0
; ScratchSize: 0
; MemoryBound: 0
; FloatMode: 240
; IeeeMode: 1
; LDSByteSize: 0 bytes/workgroup (compile time only)
; SGPRBlocks: 0
; VGPRBlocks: 0
; NumSGPRsForWavesPerEU: 1
; NumVGPRsForWavesPerEU: 1
; NamedBarCnt: 0
; Occupancy: 16
; WaveLimiterHint : 0
; COMPUTE_PGM_RSRC2:SCRATCH_EN: 0
; COMPUTE_PGM_RSRC2:USER_SGPR: 2
; COMPUTE_PGM_RSRC2:TRAP_HANDLER: 0
; COMPUTE_PGM_RSRC2:TGID_X_EN: 1
; COMPUTE_PGM_RSRC2:TGID_Y_EN: 0
; COMPUTE_PGM_RSRC2:TGID_Z_EN: 0
; COMPUTE_PGM_RSRC2:TIDIG_COMP_CNT: 0
	.section	.text._ZN7rocprim17ROCPRIM_400000_NS6detail17trampoline_kernelINS0_14default_configENS1_38merge_sort_block_merge_config_selectorImNS0_10empty_typeEEEZZNS1_27merge_sort_block_merge_implIS3_PmPS5_jNS1_19radix_merge_compareILb0ELb0EmNS0_19identity_decomposerEEEEE10hipError_tT0_T1_T2_jT3_P12ihipStream_tbPNSt15iterator_traitsISE_E10value_typeEPNSK_ISF_E10value_typeEPSG_NS1_7vsmem_tEENKUlT_SE_SF_SG_E_clIS8_S8_S9_S9_EESD_ST_SE_SF_SG_EUlST_E1_NS1_11comp_targetILNS1_3genE9ELNS1_11target_archE1100ELNS1_3gpuE3ELNS1_3repE0EEENS1_36merge_oddeven_config_static_selectorELNS0_4arch9wavefront6targetE0EEEvSF_,"axG",@progbits,_ZN7rocprim17ROCPRIM_400000_NS6detail17trampoline_kernelINS0_14default_configENS1_38merge_sort_block_merge_config_selectorImNS0_10empty_typeEEEZZNS1_27merge_sort_block_merge_implIS3_PmPS5_jNS1_19radix_merge_compareILb0ELb0EmNS0_19identity_decomposerEEEEE10hipError_tT0_T1_T2_jT3_P12ihipStream_tbPNSt15iterator_traitsISE_E10value_typeEPNSK_ISF_E10value_typeEPSG_NS1_7vsmem_tEENKUlT_SE_SF_SG_E_clIS8_S8_S9_S9_EESD_ST_SE_SF_SG_EUlST_E1_NS1_11comp_targetILNS1_3genE9ELNS1_11target_archE1100ELNS1_3gpuE3ELNS1_3repE0EEENS1_36merge_oddeven_config_static_selectorELNS0_4arch9wavefront6targetE0EEEvSF_,comdat
	.protected	_ZN7rocprim17ROCPRIM_400000_NS6detail17trampoline_kernelINS0_14default_configENS1_38merge_sort_block_merge_config_selectorImNS0_10empty_typeEEEZZNS1_27merge_sort_block_merge_implIS3_PmPS5_jNS1_19radix_merge_compareILb0ELb0EmNS0_19identity_decomposerEEEEE10hipError_tT0_T1_T2_jT3_P12ihipStream_tbPNSt15iterator_traitsISE_E10value_typeEPNSK_ISF_E10value_typeEPSG_NS1_7vsmem_tEENKUlT_SE_SF_SG_E_clIS8_S8_S9_S9_EESD_ST_SE_SF_SG_EUlST_E1_NS1_11comp_targetILNS1_3genE9ELNS1_11target_archE1100ELNS1_3gpuE3ELNS1_3repE0EEENS1_36merge_oddeven_config_static_selectorELNS0_4arch9wavefront6targetE0EEEvSF_ ; -- Begin function _ZN7rocprim17ROCPRIM_400000_NS6detail17trampoline_kernelINS0_14default_configENS1_38merge_sort_block_merge_config_selectorImNS0_10empty_typeEEEZZNS1_27merge_sort_block_merge_implIS3_PmPS5_jNS1_19radix_merge_compareILb0ELb0EmNS0_19identity_decomposerEEEEE10hipError_tT0_T1_T2_jT3_P12ihipStream_tbPNSt15iterator_traitsISE_E10value_typeEPNSK_ISF_E10value_typeEPSG_NS1_7vsmem_tEENKUlT_SE_SF_SG_E_clIS8_S8_S9_S9_EESD_ST_SE_SF_SG_EUlST_E1_NS1_11comp_targetILNS1_3genE9ELNS1_11target_archE1100ELNS1_3gpuE3ELNS1_3repE0EEENS1_36merge_oddeven_config_static_selectorELNS0_4arch9wavefront6targetE0EEEvSF_
	.globl	_ZN7rocprim17ROCPRIM_400000_NS6detail17trampoline_kernelINS0_14default_configENS1_38merge_sort_block_merge_config_selectorImNS0_10empty_typeEEEZZNS1_27merge_sort_block_merge_implIS3_PmPS5_jNS1_19radix_merge_compareILb0ELb0EmNS0_19identity_decomposerEEEEE10hipError_tT0_T1_T2_jT3_P12ihipStream_tbPNSt15iterator_traitsISE_E10value_typeEPNSK_ISF_E10value_typeEPSG_NS1_7vsmem_tEENKUlT_SE_SF_SG_E_clIS8_S8_S9_S9_EESD_ST_SE_SF_SG_EUlST_E1_NS1_11comp_targetILNS1_3genE9ELNS1_11target_archE1100ELNS1_3gpuE3ELNS1_3repE0EEENS1_36merge_oddeven_config_static_selectorELNS0_4arch9wavefront6targetE0EEEvSF_
	.p2align	8
	.type	_ZN7rocprim17ROCPRIM_400000_NS6detail17trampoline_kernelINS0_14default_configENS1_38merge_sort_block_merge_config_selectorImNS0_10empty_typeEEEZZNS1_27merge_sort_block_merge_implIS3_PmPS5_jNS1_19radix_merge_compareILb0ELb0EmNS0_19identity_decomposerEEEEE10hipError_tT0_T1_T2_jT3_P12ihipStream_tbPNSt15iterator_traitsISE_E10value_typeEPNSK_ISF_E10value_typeEPSG_NS1_7vsmem_tEENKUlT_SE_SF_SG_E_clIS8_S8_S9_S9_EESD_ST_SE_SF_SG_EUlST_E1_NS1_11comp_targetILNS1_3genE9ELNS1_11target_archE1100ELNS1_3gpuE3ELNS1_3repE0EEENS1_36merge_oddeven_config_static_selectorELNS0_4arch9wavefront6targetE0EEEvSF_,@function
_ZN7rocprim17ROCPRIM_400000_NS6detail17trampoline_kernelINS0_14default_configENS1_38merge_sort_block_merge_config_selectorImNS0_10empty_typeEEEZZNS1_27merge_sort_block_merge_implIS3_PmPS5_jNS1_19radix_merge_compareILb0ELb0EmNS0_19identity_decomposerEEEEE10hipError_tT0_T1_T2_jT3_P12ihipStream_tbPNSt15iterator_traitsISE_E10value_typeEPNSK_ISF_E10value_typeEPSG_NS1_7vsmem_tEENKUlT_SE_SF_SG_E_clIS8_S8_S9_S9_EESD_ST_SE_SF_SG_EUlST_E1_NS1_11comp_targetILNS1_3genE9ELNS1_11target_archE1100ELNS1_3gpuE3ELNS1_3repE0EEENS1_36merge_oddeven_config_static_selectorELNS0_4arch9wavefront6targetE0EEEvSF_: ; @_ZN7rocprim17ROCPRIM_400000_NS6detail17trampoline_kernelINS0_14default_configENS1_38merge_sort_block_merge_config_selectorImNS0_10empty_typeEEEZZNS1_27merge_sort_block_merge_implIS3_PmPS5_jNS1_19radix_merge_compareILb0ELb0EmNS0_19identity_decomposerEEEEE10hipError_tT0_T1_T2_jT3_P12ihipStream_tbPNSt15iterator_traitsISE_E10value_typeEPNSK_ISF_E10value_typeEPSG_NS1_7vsmem_tEENKUlT_SE_SF_SG_E_clIS8_S8_S9_S9_EESD_ST_SE_SF_SG_EUlST_E1_NS1_11comp_targetILNS1_3genE9ELNS1_11target_archE1100ELNS1_3gpuE3ELNS1_3repE0EEENS1_36merge_oddeven_config_static_selectorELNS0_4arch9wavefront6targetE0EEEvSF_
; %bb.0:
	.section	.rodata,"a",@progbits
	.p2align	6, 0x0
	.amdhsa_kernel _ZN7rocprim17ROCPRIM_400000_NS6detail17trampoline_kernelINS0_14default_configENS1_38merge_sort_block_merge_config_selectorImNS0_10empty_typeEEEZZNS1_27merge_sort_block_merge_implIS3_PmPS5_jNS1_19radix_merge_compareILb0ELb0EmNS0_19identity_decomposerEEEEE10hipError_tT0_T1_T2_jT3_P12ihipStream_tbPNSt15iterator_traitsISE_E10value_typeEPNSK_ISF_E10value_typeEPSG_NS1_7vsmem_tEENKUlT_SE_SF_SG_E_clIS8_S8_S9_S9_EESD_ST_SE_SF_SG_EUlST_E1_NS1_11comp_targetILNS1_3genE9ELNS1_11target_archE1100ELNS1_3gpuE3ELNS1_3repE0EEENS1_36merge_oddeven_config_static_selectorELNS0_4arch9wavefront6targetE0EEEvSF_
		.amdhsa_group_segment_fixed_size 0
		.amdhsa_private_segment_fixed_size 0
		.amdhsa_kernarg_size 48
		.amdhsa_user_sgpr_count 2
		.amdhsa_user_sgpr_dispatch_ptr 0
		.amdhsa_user_sgpr_queue_ptr 0
		.amdhsa_user_sgpr_kernarg_segment_ptr 1
		.amdhsa_user_sgpr_dispatch_id 0
		.amdhsa_user_sgpr_kernarg_preload_length 0
		.amdhsa_user_sgpr_kernarg_preload_offset 0
		.amdhsa_user_sgpr_private_segment_size 0
		.amdhsa_wavefront_size32 1
		.amdhsa_uses_dynamic_stack 0
		.amdhsa_enable_private_segment 0
		.amdhsa_system_sgpr_workgroup_id_x 1
		.amdhsa_system_sgpr_workgroup_id_y 0
		.amdhsa_system_sgpr_workgroup_id_z 0
		.amdhsa_system_sgpr_workgroup_info 0
		.amdhsa_system_vgpr_workitem_id 0
		.amdhsa_next_free_vgpr 1
		.amdhsa_next_free_sgpr 1
		.amdhsa_named_barrier_count 0
		.amdhsa_reserve_vcc 0
		.amdhsa_float_round_mode_32 0
		.amdhsa_float_round_mode_16_64 0
		.amdhsa_float_denorm_mode_32 3
		.amdhsa_float_denorm_mode_16_64 3
		.amdhsa_fp16_overflow 0
		.amdhsa_memory_ordered 1
		.amdhsa_forward_progress 1
		.amdhsa_inst_pref_size 0
		.amdhsa_round_robin_scheduling 0
		.amdhsa_exception_fp_ieee_invalid_op 0
		.amdhsa_exception_fp_denorm_src 0
		.amdhsa_exception_fp_ieee_div_zero 0
		.amdhsa_exception_fp_ieee_overflow 0
		.amdhsa_exception_fp_ieee_underflow 0
		.amdhsa_exception_fp_ieee_inexact 0
		.amdhsa_exception_int_div_zero 0
	.end_amdhsa_kernel
	.section	.text._ZN7rocprim17ROCPRIM_400000_NS6detail17trampoline_kernelINS0_14default_configENS1_38merge_sort_block_merge_config_selectorImNS0_10empty_typeEEEZZNS1_27merge_sort_block_merge_implIS3_PmPS5_jNS1_19radix_merge_compareILb0ELb0EmNS0_19identity_decomposerEEEEE10hipError_tT0_T1_T2_jT3_P12ihipStream_tbPNSt15iterator_traitsISE_E10value_typeEPNSK_ISF_E10value_typeEPSG_NS1_7vsmem_tEENKUlT_SE_SF_SG_E_clIS8_S8_S9_S9_EESD_ST_SE_SF_SG_EUlST_E1_NS1_11comp_targetILNS1_3genE9ELNS1_11target_archE1100ELNS1_3gpuE3ELNS1_3repE0EEENS1_36merge_oddeven_config_static_selectorELNS0_4arch9wavefront6targetE0EEEvSF_,"axG",@progbits,_ZN7rocprim17ROCPRIM_400000_NS6detail17trampoline_kernelINS0_14default_configENS1_38merge_sort_block_merge_config_selectorImNS0_10empty_typeEEEZZNS1_27merge_sort_block_merge_implIS3_PmPS5_jNS1_19radix_merge_compareILb0ELb0EmNS0_19identity_decomposerEEEEE10hipError_tT0_T1_T2_jT3_P12ihipStream_tbPNSt15iterator_traitsISE_E10value_typeEPNSK_ISF_E10value_typeEPSG_NS1_7vsmem_tEENKUlT_SE_SF_SG_E_clIS8_S8_S9_S9_EESD_ST_SE_SF_SG_EUlST_E1_NS1_11comp_targetILNS1_3genE9ELNS1_11target_archE1100ELNS1_3gpuE3ELNS1_3repE0EEENS1_36merge_oddeven_config_static_selectorELNS0_4arch9wavefront6targetE0EEEvSF_,comdat
.Lfunc_end2947:
	.size	_ZN7rocprim17ROCPRIM_400000_NS6detail17trampoline_kernelINS0_14default_configENS1_38merge_sort_block_merge_config_selectorImNS0_10empty_typeEEEZZNS1_27merge_sort_block_merge_implIS3_PmPS5_jNS1_19radix_merge_compareILb0ELb0EmNS0_19identity_decomposerEEEEE10hipError_tT0_T1_T2_jT3_P12ihipStream_tbPNSt15iterator_traitsISE_E10value_typeEPNSK_ISF_E10value_typeEPSG_NS1_7vsmem_tEENKUlT_SE_SF_SG_E_clIS8_S8_S9_S9_EESD_ST_SE_SF_SG_EUlST_E1_NS1_11comp_targetILNS1_3genE9ELNS1_11target_archE1100ELNS1_3gpuE3ELNS1_3repE0EEENS1_36merge_oddeven_config_static_selectorELNS0_4arch9wavefront6targetE0EEEvSF_, .Lfunc_end2947-_ZN7rocprim17ROCPRIM_400000_NS6detail17trampoline_kernelINS0_14default_configENS1_38merge_sort_block_merge_config_selectorImNS0_10empty_typeEEEZZNS1_27merge_sort_block_merge_implIS3_PmPS5_jNS1_19radix_merge_compareILb0ELb0EmNS0_19identity_decomposerEEEEE10hipError_tT0_T1_T2_jT3_P12ihipStream_tbPNSt15iterator_traitsISE_E10value_typeEPNSK_ISF_E10value_typeEPSG_NS1_7vsmem_tEENKUlT_SE_SF_SG_E_clIS8_S8_S9_S9_EESD_ST_SE_SF_SG_EUlST_E1_NS1_11comp_targetILNS1_3genE9ELNS1_11target_archE1100ELNS1_3gpuE3ELNS1_3repE0EEENS1_36merge_oddeven_config_static_selectorELNS0_4arch9wavefront6targetE0EEEvSF_
                                        ; -- End function
	.set _ZN7rocprim17ROCPRIM_400000_NS6detail17trampoline_kernelINS0_14default_configENS1_38merge_sort_block_merge_config_selectorImNS0_10empty_typeEEEZZNS1_27merge_sort_block_merge_implIS3_PmPS5_jNS1_19radix_merge_compareILb0ELb0EmNS0_19identity_decomposerEEEEE10hipError_tT0_T1_T2_jT3_P12ihipStream_tbPNSt15iterator_traitsISE_E10value_typeEPNSK_ISF_E10value_typeEPSG_NS1_7vsmem_tEENKUlT_SE_SF_SG_E_clIS8_S8_S9_S9_EESD_ST_SE_SF_SG_EUlST_E1_NS1_11comp_targetILNS1_3genE9ELNS1_11target_archE1100ELNS1_3gpuE3ELNS1_3repE0EEENS1_36merge_oddeven_config_static_selectorELNS0_4arch9wavefront6targetE0EEEvSF_.num_vgpr, 0
	.set _ZN7rocprim17ROCPRIM_400000_NS6detail17trampoline_kernelINS0_14default_configENS1_38merge_sort_block_merge_config_selectorImNS0_10empty_typeEEEZZNS1_27merge_sort_block_merge_implIS3_PmPS5_jNS1_19radix_merge_compareILb0ELb0EmNS0_19identity_decomposerEEEEE10hipError_tT0_T1_T2_jT3_P12ihipStream_tbPNSt15iterator_traitsISE_E10value_typeEPNSK_ISF_E10value_typeEPSG_NS1_7vsmem_tEENKUlT_SE_SF_SG_E_clIS8_S8_S9_S9_EESD_ST_SE_SF_SG_EUlST_E1_NS1_11comp_targetILNS1_3genE9ELNS1_11target_archE1100ELNS1_3gpuE3ELNS1_3repE0EEENS1_36merge_oddeven_config_static_selectorELNS0_4arch9wavefront6targetE0EEEvSF_.num_agpr, 0
	.set _ZN7rocprim17ROCPRIM_400000_NS6detail17trampoline_kernelINS0_14default_configENS1_38merge_sort_block_merge_config_selectorImNS0_10empty_typeEEEZZNS1_27merge_sort_block_merge_implIS3_PmPS5_jNS1_19radix_merge_compareILb0ELb0EmNS0_19identity_decomposerEEEEE10hipError_tT0_T1_T2_jT3_P12ihipStream_tbPNSt15iterator_traitsISE_E10value_typeEPNSK_ISF_E10value_typeEPSG_NS1_7vsmem_tEENKUlT_SE_SF_SG_E_clIS8_S8_S9_S9_EESD_ST_SE_SF_SG_EUlST_E1_NS1_11comp_targetILNS1_3genE9ELNS1_11target_archE1100ELNS1_3gpuE3ELNS1_3repE0EEENS1_36merge_oddeven_config_static_selectorELNS0_4arch9wavefront6targetE0EEEvSF_.numbered_sgpr, 0
	.set _ZN7rocprim17ROCPRIM_400000_NS6detail17trampoline_kernelINS0_14default_configENS1_38merge_sort_block_merge_config_selectorImNS0_10empty_typeEEEZZNS1_27merge_sort_block_merge_implIS3_PmPS5_jNS1_19radix_merge_compareILb0ELb0EmNS0_19identity_decomposerEEEEE10hipError_tT0_T1_T2_jT3_P12ihipStream_tbPNSt15iterator_traitsISE_E10value_typeEPNSK_ISF_E10value_typeEPSG_NS1_7vsmem_tEENKUlT_SE_SF_SG_E_clIS8_S8_S9_S9_EESD_ST_SE_SF_SG_EUlST_E1_NS1_11comp_targetILNS1_3genE9ELNS1_11target_archE1100ELNS1_3gpuE3ELNS1_3repE0EEENS1_36merge_oddeven_config_static_selectorELNS0_4arch9wavefront6targetE0EEEvSF_.num_named_barrier, 0
	.set _ZN7rocprim17ROCPRIM_400000_NS6detail17trampoline_kernelINS0_14default_configENS1_38merge_sort_block_merge_config_selectorImNS0_10empty_typeEEEZZNS1_27merge_sort_block_merge_implIS3_PmPS5_jNS1_19radix_merge_compareILb0ELb0EmNS0_19identity_decomposerEEEEE10hipError_tT0_T1_T2_jT3_P12ihipStream_tbPNSt15iterator_traitsISE_E10value_typeEPNSK_ISF_E10value_typeEPSG_NS1_7vsmem_tEENKUlT_SE_SF_SG_E_clIS8_S8_S9_S9_EESD_ST_SE_SF_SG_EUlST_E1_NS1_11comp_targetILNS1_3genE9ELNS1_11target_archE1100ELNS1_3gpuE3ELNS1_3repE0EEENS1_36merge_oddeven_config_static_selectorELNS0_4arch9wavefront6targetE0EEEvSF_.private_seg_size, 0
	.set _ZN7rocprim17ROCPRIM_400000_NS6detail17trampoline_kernelINS0_14default_configENS1_38merge_sort_block_merge_config_selectorImNS0_10empty_typeEEEZZNS1_27merge_sort_block_merge_implIS3_PmPS5_jNS1_19radix_merge_compareILb0ELb0EmNS0_19identity_decomposerEEEEE10hipError_tT0_T1_T2_jT3_P12ihipStream_tbPNSt15iterator_traitsISE_E10value_typeEPNSK_ISF_E10value_typeEPSG_NS1_7vsmem_tEENKUlT_SE_SF_SG_E_clIS8_S8_S9_S9_EESD_ST_SE_SF_SG_EUlST_E1_NS1_11comp_targetILNS1_3genE9ELNS1_11target_archE1100ELNS1_3gpuE3ELNS1_3repE0EEENS1_36merge_oddeven_config_static_selectorELNS0_4arch9wavefront6targetE0EEEvSF_.uses_vcc, 0
	.set _ZN7rocprim17ROCPRIM_400000_NS6detail17trampoline_kernelINS0_14default_configENS1_38merge_sort_block_merge_config_selectorImNS0_10empty_typeEEEZZNS1_27merge_sort_block_merge_implIS3_PmPS5_jNS1_19radix_merge_compareILb0ELb0EmNS0_19identity_decomposerEEEEE10hipError_tT0_T1_T2_jT3_P12ihipStream_tbPNSt15iterator_traitsISE_E10value_typeEPNSK_ISF_E10value_typeEPSG_NS1_7vsmem_tEENKUlT_SE_SF_SG_E_clIS8_S8_S9_S9_EESD_ST_SE_SF_SG_EUlST_E1_NS1_11comp_targetILNS1_3genE9ELNS1_11target_archE1100ELNS1_3gpuE3ELNS1_3repE0EEENS1_36merge_oddeven_config_static_selectorELNS0_4arch9wavefront6targetE0EEEvSF_.uses_flat_scratch, 0
	.set _ZN7rocprim17ROCPRIM_400000_NS6detail17trampoline_kernelINS0_14default_configENS1_38merge_sort_block_merge_config_selectorImNS0_10empty_typeEEEZZNS1_27merge_sort_block_merge_implIS3_PmPS5_jNS1_19radix_merge_compareILb0ELb0EmNS0_19identity_decomposerEEEEE10hipError_tT0_T1_T2_jT3_P12ihipStream_tbPNSt15iterator_traitsISE_E10value_typeEPNSK_ISF_E10value_typeEPSG_NS1_7vsmem_tEENKUlT_SE_SF_SG_E_clIS8_S8_S9_S9_EESD_ST_SE_SF_SG_EUlST_E1_NS1_11comp_targetILNS1_3genE9ELNS1_11target_archE1100ELNS1_3gpuE3ELNS1_3repE0EEENS1_36merge_oddeven_config_static_selectorELNS0_4arch9wavefront6targetE0EEEvSF_.has_dyn_sized_stack, 0
	.set _ZN7rocprim17ROCPRIM_400000_NS6detail17trampoline_kernelINS0_14default_configENS1_38merge_sort_block_merge_config_selectorImNS0_10empty_typeEEEZZNS1_27merge_sort_block_merge_implIS3_PmPS5_jNS1_19radix_merge_compareILb0ELb0EmNS0_19identity_decomposerEEEEE10hipError_tT0_T1_T2_jT3_P12ihipStream_tbPNSt15iterator_traitsISE_E10value_typeEPNSK_ISF_E10value_typeEPSG_NS1_7vsmem_tEENKUlT_SE_SF_SG_E_clIS8_S8_S9_S9_EESD_ST_SE_SF_SG_EUlST_E1_NS1_11comp_targetILNS1_3genE9ELNS1_11target_archE1100ELNS1_3gpuE3ELNS1_3repE0EEENS1_36merge_oddeven_config_static_selectorELNS0_4arch9wavefront6targetE0EEEvSF_.has_recursion, 0
	.set _ZN7rocprim17ROCPRIM_400000_NS6detail17trampoline_kernelINS0_14default_configENS1_38merge_sort_block_merge_config_selectorImNS0_10empty_typeEEEZZNS1_27merge_sort_block_merge_implIS3_PmPS5_jNS1_19radix_merge_compareILb0ELb0EmNS0_19identity_decomposerEEEEE10hipError_tT0_T1_T2_jT3_P12ihipStream_tbPNSt15iterator_traitsISE_E10value_typeEPNSK_ISF_E10value_typeEPSG_NS1_7vsmem_tEENKUlT_SE_SF_SG_E_clIS8_S8_S9_S9_EESD_ST_SE_SF_SG_EUlST_E1_NS1_11comp_targetILNS1_3genE9ELNS1_11target_archE1100ELNS1_3gpuE3ELNS1_3repE0EEENS1_36merge_oddeven_config_static_selectorELNS0_4arch9wavefront6targetE0EEEvSF_.has_indirect_call, 0
	.section	.AMDGPU.csdata,"",@progbits
; Kernel info:
; codeLenInByte = 0
; TotalNumSgprs: 0
; NumVgprs: 0
; ScratchSize: 0
; MemoryBound: 0
; FloatMode: 240
; IeeeMode: 1
; LDSByteSize: 0 bytes/workgroup (compile time only)
; SGPRBlocks: 0
; VGPRBlocks: 0
; NumSGPRsForWavesPerEU: 1
; NumVGPRsForWavesPerEU: 1
; NamedBarCnt: 0
; Occupancy: 16
; WaveLimiterHint : 0
; COMPUTE_PGM_RSRC2:SCRATCH_EN: 0
; COMPUTE_PGM_RSRC2:USER_SGPR: 2
; COMPUTE_PGM_RSRC2:TRAP_HANDLER: 0
; COMPUTE_PGM_RSRC2:TGID_X_EN: 1
; COMPUTE_PGM_RSRC2:TGID_Y_EN: 0
; COMPUTE_PGM_RSRC2:TGID_Z_EN: 0
; COMPUTE_PGM_RSRC2:TIDIG_COMP_CNT: 0
	.section	.text._ZN7rocprim17ROCPRIM_400000_NS6detail17trampoline_kernelINS0_14default_configENS1_38merge_sort_block_merge_config_selectorImNS0_10empty_typeEEEZZNS1_27merge_sort_block_merge_implIS3_PmPS5_jNS1_19radix_merge_compareILb0ELb0EmNS0_19identity_decomposerEEEEE10hipError_tT0_T1_T2_jT3_P12ihipStream_tbPNSt15iterator_traitsISE_E10value_typeEPNSK_ISF_E10value_typeEPSG_NS1_7vsmem_tEENKUlT_SE_SF_SG_E_clIS8_S8_S9_S9_EESD_ST_SE_SF_SG_EUlST_E1_NS1_11comp_targetILNS1_3genE8ELNS1_11target_archE1030ELNS1_3gpuE2ELNS1_3repE0EEENS1_36merge_oddeven_config_static_selectorELNS0_4arch9wavefront6targetE0EEEvSF_,"axG",@progbits,_ZN7rocprim17ROCPRIM_400000_NS6detail17trampoline_kernelINS0_14default_configENS1_38merge_sort_block_merge_config_selectorImNS0_10empty_typeEEEZZNS1_27merge_sort_block_merge_implIS3_PmPS5_jNS1_19radix_merge_compareILb0ELb0EmNS0_19identity_decomposerEEEEE10hipError_tT0_T1_T2_jT3_P12ihipStream_tbPNSt15iterator_traitsISE_E10value_typeEPNSK_ISF_E10value_typeEPSG_NS1_7vsmem_tEENKUlT_SE_SF_SG_E_clIS8_S8_S9_S9_EESD_ST_SE_SF_SG_EUlST_E1_NS1_11comp_targetILNS1_3genE8ELNS1_11target_archE1030ELNS1_3gpuE2ELNS1_3repE0EEENS1_36merge_oddeven_config_static_selectorELNS0_4arch9wavefront6targetE0EEEvSF_,comdat
	.protected	_ZN7rocprim17ROCPRIM_400000_NS6detail17trampoline_kernelINS0_14default_configENS1_38merge_sort_block_merge_config_selectorImNS0_10empty_typeEEEZZNS1_27merge_sort_block_merge_implIS3_PmPS5_jNS1_19radix_merge_compareILb0ELb0EmNS0_19identity_decomposerEEEEE10hipError_tT0_T1_T2_jT3_P12ihipStream_tbPNSt15iterator_traitsISE_E10value_typeEPNSK_ISF_E10value_typeEPSG_NS1_7vsmem_tEENKUlT_SE_SF_SG_E_clIS8_S8_S9_S9_EESD_ST_SE_SF_SG_EUlST_E1_NS1_11comp_targetILNS1_3genE8ELNS1_11target_archE1030ELNS1_3gpuE2ELNS1_3repE0EEENS1_36merge_oddeven_config_static_selectorELNS0_4arch9wavefront6targetE0EEEvSF_ ; -- Begin function _ZN7rocprim17ROCPRIM_400000_NS6detail17trampoline_kernelINS0_14default_configENS1_38merge_sort_block_merge_config_selectorImNS0_10empty_typeEEEZZNS1_27merge_sort_block_merge_implIS3_PmPS5_jNS1_19radix_merge_compareILb0ELb0EmNS0_19identity_decomposerEEEEE10hipError_tT0_T1_T2_jT3_P12ihipStream_tbPNSt15iterator_traitsISE_E10value_typeEPNSK_ISF_E10value_typeEPSG_NS1_7vsmem_tEENKUlT_SE_SF_SG_E_clIS8_S8_S9_S9_EESD_ST_SE_SF_SG_EUlST_E1_NS1_11comp_targetILNS1_3genE8ELNS1_11target_archE1030ELNS1_3gpuE2ELNS1_3repE0EEENS1_36merge_oddeven_config_static_selectorELNS0_4arch9wavefront6targetE0EEEvSF_
	.globl	_ZN7rocprim17ROCPRIM_400000_NS6detail17trampoline_kernelINS0_14default_configENS1_38merge_sort_block_merge_config_selectorImNS0_10empty_typeEEEZZNS1_27merge_sort_block_merge_implIS3_PmPS5_jNS1_19radix_merge_compareILb0ELb0EmNS0_19identity_decomposerEEEEE10hipError_tT0_T1_T2_jT3_P12ihipStream_tbPNSt15iterator_traitsISE_E10value_typeEPNSK_ISF_E10value_typeEPSG_NS1_7vsmem_tEENKUlT_SE_SF_SG_E_clIS8_S8_S9_S9_EESD_ST_SE_SF_SG_EUlST_E1_NS1_11comp_targetILNS1_3genE8ELNS1_11target_archE1030ELNS1_3gpuE2ELNS1_3repE0EEENS1_36merge_oddeven_config_static_selectorELNS0_4arch9wavefront6targetE0EEEvSF_
	.p2align	8
	.type	_ZN7rocprim17ROCPRIM_400000_NS6detail17trampoline_kernelINS0_14default_configENS1_38merge_sort_block_merge_config_selectorImNS0_10empty_typeEEEZZNS1_27merge_sort_block_merge_implIS3_PmPS5_jNS1_19radix_merge_compareILb0ELb0EmNS0_19identity_decomposerEEEEE10hipError_tT0_T1_T2_jT3_P12ihipStream_tbPNSt15iterator_traitsISE_E10value_typeEPNSK_ISF_E10value_typeEPSG_NS1_7vsmem_tEENKUlT_SE_SF_SG_E_clIS8_S8_S9_S9_EESD_ST_SE_SF_SG_EUlST_E1_NS1_11comp_targetILNS1_3genE8ELNS1_11target_archE1030ELNS1_3gpuE2ELNS1_3repE0EEENS1_36merge_oddeven_config_static_selectorELNS0_4arch9wavefront6targetE0EEEvSF_,@function
_ZN7rocprim17ROCPRIM_400000_NS6detail17trampoline_kernelINS0_14default_configENS1_38merge_sort_block_merge_config_selectorImNS0_10empty_typeEEEZZNS1_27merge_sort_block_merge_implIS3_PmPS5_jNS1_19radix_merge_compareILb0ELb0EmNS0_19identity_decomposerEEEEE10hipError_tT0_T1_T2_jT3_P12ihipStream_tbPNSt15iterator_traitsISE_E10value_typeEPNSK_ISF_E10value_typeEPSG_NS1_7vsmem_tEENKUlT_SE_SF_SG_E_clIS8_S8_S9_S9_EESD_ST_SE_SF_SG_EUlST_E1_NS1_11comp_targetILNS1_3genE8ELNS1_11target_archE1030ELNS1_3gpuE2ELNS1_3repE0EEENS1_36merge_oddeven_config_static_selectorELNS0_4arch9wavefront6targetE0EEEvSF_: ; @_ZN7rocprim17ROCPRIM_400000_NS6detail17trampoline_kernelINS0_14default_configENS1_38merge_sort_block_merge_config_selectorImNS0_10empty_typeEEEZZNS1_27merge_sort_block_merge_implIS3_PmPS5_jNS1_19radix_merge_compareILb0ELb0EmNS0_19identity_decomposerEEEEE10hipError_tT0_T1_T2_jT3_P12ihipStream_tbPNSt15iterator_traitsISE_E10value_typeEPNSK_ISF_E10value_typeEPSG_NS1_7vsmem_tEENKUlT_SE_SF_SG_E_clIS8_S8_S9_S9_EESD_ST_SE_SF_SG_EUlST_E1_NS1_11comp_targetILNS1_3genE8ELNS1_11target_archE1030ELNS1_3gpuE2ELNS1_3repE0EEENS1_36merge_oddeven_config_static_selectorELNS0_4arch9wavefront6targetE0EEEvSF_
; %bb.0:
	.section	.rodata,"a",@progbits
	.p2align	6, 0x0
	.amdhsa_kernel _ZN7rocprim17ROCPRIM_400000_NS6detail17trampoline_kernelINS0_14default_configENS1_38merge_sort_block_merge_config_selectorImNS0_10empty_typeEEEZZNS1_27merge_sort_block_merge_implIS3_PmPS5_jNS1_19radix_merge_compareILb0ELb0EmNS0_19identity_decomposerEEEEE10hipError_tT0_T1_T2_jT3_P12ihipStream_tbPNSt15iterator_traitsISE_E10value_typeEPNSK_ISF_E10value_typeEPSG_NS1_7vsmem_tEENKUlT_SE_SF_SG_E_clIS8_S8_S9_S9_EESD_ST_SE_SF_SG_EUlST_E1_NS1_11comp_targetILNS1_3genE8ELNS1_11target_archE1030ELNS1_3gpuE2ELNS1_3repE0EEENS1_36merge_oddeven_config_static_selectorELNS0_4arch9wavefront6targetE0EEEvSF_
		.amdhsa_group_segment_fixed_size 0
		.amdhsa_private_segment_fixed_size 0
		.amdhsa_kernarg_size 48
		.amdhsa_user_sgpr_count 2
		.amdhsa_user_sgpr_dispatch_ptr 0
		.amdhsa_user_sgpr_queue_ptr 0
		.amdhsa_user_sgpr_kernarg_segment_ptr 1
		.amdhsa_user_sgpr_dispatch_id 0
		.amdhsa_user_sgpr_kernarg_preload_length 0
		.amdhsa_user_sgpr_kernarg_preload_offset 0
		.amdhsa_user_sgpr_private_segment_size 0
		.amdhsa_wavefront_size32 1
		.amdhsa_uses_dynamic_stack 0
		.amdhsa_enable_private_segment 0
		.amdhsa_system_sgpr_workgroup_id_x 1
		.amdhsa_system_sgpr_workgroup_id_y 0
		.amdhsa_system_sgpr_workgroup_id_z 0
		.amdhsa_system_sgpr_workgroup_info 0
		.amdhsa_system_vgpr_workitem_id 0
		.amdhsa_next_free_vgpr 1
		.amdhsa_next_free_sgpr 1
		.amdhsa_named_barrier_count 0
		.amdhsa_reserve_vcc 0
		.amdhsa_float_round_mode_32 0
		.amdhsa_float_round_mode_16_64 0
		.amdhsa_float_denorm_mode_32 3
		.amdhsa_float_denorm_mode_16_64 3
		.amdhsa_fp16_overflow 0
		.amdhsa_memory_ordered 1
		.amdhsa_forward_progress 1
		.amdhsa_inst_pref_size 0
		.amdhsa_round_robin_scheduling 0
		.amdhsa_exception_fp_ieee_invalid_op 0
		.amdhsa_exception_fp_denorm_src 0
		.amdhsa_exception_fp_ieee_div_zero 0
		.amdhsa_exception_fp_ieee_overflow 0
		.amdhsa_exception_fp_ieee_underflow 0
		.amdhsa_exception_fp_ieee_inexact 0
		.amdhsa_exception_int_div_zero 0
	.end_amdhsa_kernel
	.section	.text._ZN7rocprim17ROCPRIM_400000_NS6detail17trampoline_kernelINS0_14default_configENS1_38merge_sort_block_merge_config_selectorImNS0_10empty_typeEEEZZNS1_27merge_sort_block_merge_implIS3_PmPS5_jNS1_19radix_merge_compareILb0ELb0EmNS0_19identity_decomposerEEEEE10hipError_tT0_T1_T2_jT3_P12ihipStream_tbPNSt15iterator_traitsISE_E10value_typeEPNSK_ISF_E10value_typeEPSG_NS1_7vsmem_tEENKUlT_SE_SF_SG_E_clIS8_S8_S9_S9_EESD_ST_SE_SF_SG_EUlST_E1_NS1_11comp_targetILNS1_3genE8ELNS1_11target_archE1030ELNS1_3gpuE2ELNS1_3repE0EEENS1_36merge_oddeven_config_static_selectorELNS0_4arch9wavefront6targetE0EEEvSF_,"axG",@progbits,_ZN7rocprim17ROCPRIM_400000_NS6detail17trampoline_kernelINS0_14default_configENS1_38merge_sort_block_merge_config_selectorImNS0_10empty_typeEEEZZNS1_27merge_sort_block_merge_implIS3_PmPS5_jNS1_19radix_merge_compareILb0ELb0EmNS0_19identity_decomposerEEEEE10hipError_tT0_T1_T2_jT3_P12ihipStream_tbPNSt15iterator_traitsISE_E10value_typeEPNSK_ISF_E10value_typeEPSG_NS1_7vsmem_tEENKUlT_SE_SF_SG_E_clIS8_S8_S9_S9_EESD_ST_SE_SF_SG_EUlST_E1_NS1_11comp_targetILNS1_3genE8ELNS1_11target_archE1030ELNS1_3gpuE2ELNS1_3repE0EEENS1_36merge_oddeven_config_static_selectorELNS0_4arch9wavefront6targetE0EEEvSF_,comdat
.Lfunc_end2948:
	.size	_ZN7rocprim17ROCPRIM_400000_NS6detail17trampoline_kernelINS0_14default_configENS1_38merge_sort_block_merge_config_selectorImNS0_10empty_typeEEEZZNS1_27merge_sort_block_merge_implIS3_PmPS5_jNS1_19radix_merge_compareILb0ELb0EmNS0_19identity_decomposerEEEEE10hipError_tT0_T1_T2_jT3_P12ihipStream_tbPNSt15iterator_traitsISE_E10value_typeEPNSK_ISF_E10value_typeEPSG_NS1_7vsmem_tEENKUlT_SE_SF_SG_E_clIS8_S8_S9_S9_EESD_ST_SE_SF_SG_EUlST_E1_NS1_11comp_targetILNS1_3genE8ELNS1_11target_archE1030ELNS1_3gpuE2ELNS1_3repE0EEENS1_36merge_oddeven_config_static_selectorELNS0_4arch9wavefront6targetE0EEEvSF_, .Lfunc_end2948-_ZN7rocprim17ROCPRIM_400000_NS6detail17trampoline_kernelINS0_14default_configENS1_38merge_sort_block_merge_config_selectorImNS0_10empty_typeEEEZZNS1_27merge_sort_block_merge_implIS3_PmPS5_jNS1_19radix_merge_compareILb0ELb0EmNS0_19identity_decomposerEEEEE10hipError_tT0_T1_T2_jT3_P12ihipStream_tbPNSt15iterator_traitsISE_E10value_typeEPNSK_ISF_E10value_typeEPSG_NS1_7vsmem_tEENKUlT_SE_SF_SG_E_clIS8_S8_S9_S9_EESD_ST_SE_SF_SG_EUlST_E1_NS1_11comp_targetILNS1_3genE8ELNS1_11target_archE1030ELNS1_3gpuE2ELNS1_3repE0EEENS1_36merge_oddeven_config_static_selectorELNS0_4arch9wavefront6targetE0EEEvSF_
                                        ; -- End function
	.set _ZN7rocprim17ROCPRIM_400000_NS6detail17trampoline_kernelINS0_14default_configENS1_38merge_sort_block_merge_config_selectorImNS0_10empty_typeEEEZZNS1_27merge_sort_block_merge_implIS3_PmPS5_jNS1_19radix_merge_compareILb0ELb0EmNS0_19identity_decomposerEEEEE10hipError_tT0_T1_T2_jT3_P12ihipStream_tbPNSt15iterator_traitsISE_E10value_typeEPNSK_ISF_E10value_typeEPSG_NS1_7vsmem_tEENKUlT_SE_SF_SG_E_clIS8_S8_S9_S9_EESD_ST_SE_SF_SG_EUlST_E1_NS1_11comp_targetILNS1_3genE8ELNS1_11target_archE1030ELNS1_3gpuE2ELNS1_3repE0EEENS1_36merge_oddeven_config_static_selectorELNS0_4arch9wavefront6targetE0EEEvSF_.num_vgpr, 0
	.set _ZN7rocprim17ROCPRIM_400000_NS6detail17trampoline_kernelINS0_14default_configENS1_38merge_sort_block_merge_config_selectorImNS0_10empty_typeEEEZZNS1_27merge_sort_block_merge_implIS3_PmPS5_jNS1_19radix_merge_compareILb0ELb0EmNS0_19identity_decomposerEEEEE10hipError_tT0_T1_T2_jT3_P12ihipStream_tbPNSt15iterator_traitsISE_E10value_typeEPNSK_ISF_E10value_typeEPSG_NS1_7vsmem_tEENKUlT_SE_SF_SG_E_clIS8_S8_S9_S9_EESD_ST_SE_SF_SG_EUlST_E1_NS1_11comp_targetILNS1_3genE8ELNS1_11target_archE1030ELNS1_3gpuE2ELNS1_3repE0EEENS1_36merge_oddeven_config_static_selectorELNS0_4arch9wavefront6targetE0EEEvSF_.num_agpr, 0
	.set _ZN7rocprim17ROCPRIM_400000_NS6detail17trampoline_kernelINS0_14default_configENS1_38merge_sort_block_merge_config_selectorImNS0_10empty_typeEEEZZNS1_27merge_sort_block_merge_implIS3_PmPS5_jNS1_19radix_merge_compareILb0ELb0EmNS0_19identity_decomposerEEEEE10hipError_tT0_T1_T2_jT3_P12ihipStream_tbPNSt15iterator_traitsISE_E10value_typeEPNSK_ISF_E10value_typeEPSG_NS1_7vsmem_tEENKUlT_SE_SF_SG_E_clIS8_S8_S9_S9_EESD_ST_SE_SF_SG_EUlST_E1_NS1_11comp_targetILNS1_3genE8ELNS1_11target_archE1030ELNS1_3gpuE2ELNS1_3repE0EEENS1_36merge_oddeven_config_static_selectorELNS0_4arch9wavefront6targetE0EEEvSF_.numbered_sgpr, 0
	.set _ZN7rocprim17ROCPRIM_400000_NS6detail17trampoline_kernelINS0_14default_configENS1_38merge_sort_block_merge_config_selectorImNS0_10empty_typeEEEZZNS1_27merge_sort_block_merge_implIS3_PmPS5_jNS1_19radix_merge_compareILb0ELb0EmNS0_19identity_decomposerEEEEE10hipError_tT0_T1_T2_jT3_P12ihipStream_tbPNSt15iterator_traitsISE_E10value_typeEPNSK_ISF_E10value_typeEPSG_NS1_7vsmem_tEENKUlT_SE_SF_SG_E_clIS8_S8_S9_S9_EESD_ST_SE_SF_SG_EUlST_E1_NS1_11comp_targetILNS1_3genE8ELNS1_11target_archE1030ELNS1_3gpuE2ELNS1_3repE0EEENS1_36merge_oddeven_config_static_selectorELNS0_4arch9wavefront6targetE0EEEvSF_.num_named_barrier, 0
	.set _ZN7rocprim17ROCPRIM_400000_NS6detail17trampoline_kernelINS0_14default_configENS1_38merge_sort_block_merge_config_selectorImNS0_10empty_typeEEEZZNS1_27merge_sort_block_merge_implIS3_PmPS5_jNS1_19radix_merge_compareILb0ELb0EmNS0_19identity_decomposerEEEEE10hipError_tT0_T1_T2_jT3_P12ihipStream_tbPNSt15iterator_traitsISE_E10value_typeEPNSK_ISF_E10value_typeEPSG_NS1_7vsmem_tEENKUlT_SE_SF_SG_E_clIS8_S8_S9_S9_EESD_ST_SE_SF_SG_EUlST_E1_NS1_11comp_targetILNS1_3genE8ELNS1_11target_archE1030ELNS1_3gpuE2ELNS1_3repE0EEENS1_36merge_oddeven_config_static_selectorELNS0_4arch9wavefront6targetE0EEEvSF_.private_seg_size, 0
	.set _ZN7rocprim17ROCPRIM_400000_NS6detail17trampoline_kernelINS0_14default_configENS1_38merge_sort_block_merge_config_selectorImNS0_10empty_typeEEEZZNS1_27merge_sort_block_merge_implIS3_PmPS5_jNS1_19radix_merge_compareILb0ELb0EmNS0_19identity_decomposerEEEEE10hipError_tT0_T1_T2_jT3_P12ihipStream_tbPNSt15iterator_traitsISE_E10value_typeEPNSK_ISF_E10value_typeEPSG_NS1_7vsmem_tEENKUlT_SE_SF_SG_E_clIS8_S8_S9_S9_EESD_ST_SE_SF_SG_EUlST_E1_NS1_11comp_targetILNS1_3genE8ELNS1_11target_archE1030ELNS1_3gpuE2ELNS1_3repE0EEENS1_36merge_oddeven_config_static_selectorELNS0_4arch9wavefront6targetE0EEEvSF_.uses_vcc, 0
	.set _ZN7rocprim17ROCPRIM_400000_NS6detail17trampoline_kernelINS0_14default_configENS1_38merge_sort_block_merge_config_selectorImNS0_10empty_typeEEEZZNS1_27merge_sort_block_merge_implIS3_PmPS5_jNS1_19radix_merge_compareILb0ELb0EmNS0_19identity_decomposerEEEEE10hipError_tT0_T1_T2_jT3_P12ihipStream_tbPNSt15iterator_traitsISE_E10value_typeEPNSK_ISF_E10value_typeEPSG_NS1_7vsmem_tEENKUlT_SE_SF_SG_E_clIS8_S8_S9_S9_EESD_ST_SE_SF_SG_EUlST_E1_NS1_11comp_targetILNS1_3genE8ELNS1_11target_archE1030ELNS1_3gpuE2ELNS1_3repE0EEENS1_36merge_oddeven_config_static_selectorELNS0_4arch9wavefront6targetE0EEEvSF_.uses_flat_scratch, 0
	.set _ZN7rocprim17ROCPRIM_400000_NS6detail17trampoline_kernelINS0_14default_configENS1_38merge_sort_block_merge_config_selectorImNS0_10empty_typeEEEZZNS1_27merge_sort_block_merge_implIS3_PmPS5_jNS1_19radix_merge_compareILb0ELb0EmNS0_19identity_decomposerEEEEE10hipError_tT0_T1_T2_jT3_P12ihipStream_tbPNSt15iterator_traitsISE_E10value_typeEPNSK_ISF_E10value_typeEPSG_NS1_7vsmem_tEENKUlT_SE_SF_SG_E_clIS8_S8_S9_S9_EESD_ST_SE_SF_SG_EUlST_E1_NS1_11comp_targetILNS1_3genE8ELNS1_11target_archE1030ELNS1_3gpuE2ELNS1_3repE0EEENS1_36merge_oddeven_config_static_selectorELNS0_4arch9wavefront6targetE0EEEvSF_.has_dyn_sized_stack, 0
	.set _ZN7rocprim17ROCPRIM_400000_NS6detail17trampoline_kernelINS0_14default_configENS1_38merge_sort_block_merge_config_selectorImNS0_10empty_typeEEEZZNS1_27merge_sort_block_merge_implIS3_PmPS5_jNS1_19radix_merge_compareILb0ELb0EmNS0_19identity_decomposerEEEEE10hipError_tT0_T1_T2_jT3_P12ihipStream_tbPNSt15iterator_traitsISE_E10value_typeEPNSK_ISF_E10value_typeEPSG_NS1_7vsmem_tEENKUlT_SE_SF_SG_E_clIS8_S8_S9_S9_EESD_ST_SE_SF_SG_EUlST_E1_NS1_11comp_targetILNS1_3genE8ELNS1_11target_archE1030ELNS1_3gpuE2ELNS1_3repE0EEENS1_36merge_oddeven_config_static_selectorELNS0_4arch9wavefront6targetE0EEEvSF_.has_recursion, 0
	.set _ZN7rocprim17ROCPRIM_400000_NS6detail17trampoline_kernelINS0_14default_configENS1_38merge_sort_block_merge_config_selectorImNS0_10empty_typeEEEZZNS1_27merge_sort_block_merge_implIS3_PmPS5_jNS1_19radix_merge_compareILb0ELb0EmNS0_19identity_decomposerEEEEE10hipError_tT0_T1_T2_jT3_P12ihipStream_tbPNSt15iterator_traitsISE_E10value_typeEPNSK_ISF_E10value_typeEPSG_NS1_7vsmem_tEENKUlT_SE_SF_SG_E_clIS8_S8_S9_S9_EESD_ST_SE_SF_SG_EUlST_E1_NS1_11comp_targetILNS1_3genE8ELNS1_11target_archE1030ELNS1_3gpuE2ELNS1_3repE0EEENS1_36merge_oddeven_config_static_selectorELNS0_4arch9wavefront6targetE0EEEvSF_.has_indirect_call, 0
	.section	.AMDGPU.csdata,"",@progbits
; Kernel info:
; codeLenInByte = 0
; TotalNumSgprs: 0
; NumVgprs: 0
; ScratchSize: 0
; MemoryBound: 0
; FloatMode: 240
; IeeeMode: 1
; LDSByteSize: 0 bytes/workgroup (compile time only)
; SGPRBlocks: 0
; VGPRBlocks: 0
; NumSGPRsForWavesPerEU: 1
; NumVGPRsForWavesPerEU: 1
; NamedBarCnt: 0
; Occupancy: 16
; WaveLimiterHint : 0
; COMPUTE_PGM_RSRC2:SCRATCH_EN: 0
; COMPUTE_PGM_RSRC2:USER_SGPR: 2
; COMPUTE_PGM_RSRC2:TRAP_HANDLER: 0
; COMPUTE_PGM_RSRC2:TGID_X_EN: 1
; COMPUTE_PGM_RSRC2:TGID_Y_EN: 0
; COMPUTE_PGM_RSRC2:TGID_Z_EN: 0
; COMPUTE_PGM_RSRC2:TIDIG_COMP_CNT: 0
	.section	.text._ZN7rocprim17ROCPRIM_400000_NS6detail17trampoline_kernelINS0_14default_configENS1_38merge_sort_block_merge_config_selectorImNS0_10empty_typeEEEZZNS1_27merge_sort_block_merge_implIS3_PmPS5_jNS1_19radix_merge_compareILb0ELb1EmNS0_19identity_decomposerEEEEE10hipError_tT0_T1_T2_jT3_P12ihipStream_tbPNSt15iterator_traitsISE_E10value_typeEPNSK_ISF_E10value_typeEPSG_NS1_7vsmem_tEENKUlT_SE_SF_SG_E_clIS8_S8_S9_S9_EESD_ST_SE_SF_SG_EUlST_E_NS1_11comp_targetILNS1_3genE0ELNS1_11target_archE4294967295ELNS1_3gpuE0ELNS1_3repE0EEENS1_48merge_mergepath_partition_config_static_selectorELNS0_4arch9wavefront6targetE0EEEvSF_,"axG",@progbits,_ZN7rocprim17ROCPRIM_400000_NS6detail17trampoline_kernelINS0_14default_configENS1_38merge_sort_block_merge_config_selectorImNS0_10empty_typeEEEZZNS1_27merge_sort_block_merge_implIS3_PmPS5_jNS1_19radix_merge_compareILb0ELb1EmNS0_19identity_decomposerEEEEE10hipError_tT0_T1_T2_jT3_P12ihipStream_tbPNSt15iterator_traitsISE_E10value_typeEPNSK_ISF_E10value_typeEPSG_NS1_7vsmem_tEENKUlT_SE_SF_SG_E_clIS8_S8_S9_S9_EESD_ST_SE_SF_SG_EUlST_E_NS1_11comp_targetILNS1_3genE0ELNS1_11target_archE4294967295ELNS1_3gpuE0ELNS1_3repE0EEENS1_48merge_mergepath_partition_config_static_selectorELNS0_4arch9wavefront6targetE0EEEvSF_,comdat
	.protected	_ZN7rocprim17ROCPRIM_400000_NS6detail17trampoline_kernelINS0_14default_configENS1_38merge_sort_block_merge_config_selectorImNS0_10empty_typeEEEZZNS1_27merge_sort_block_merge_implIS3_PmPS5_jNS1_19radix_merge_compareILb0ELb1EmNS0_19identity_decomposerEEEEE10hipError_tT0_T1_T2_jT3_P12ihipStream_tbPNSt15iterator_traitsISE_E10value_typeEPNSK_ISF_E10value_typeEPSG_NS1_7vsmem_tEENKUlT_SE_SF_SG_E_clIS8_S8_S9_S9_EESD_ST_SE_SF_SG_EUlST_E_NS1_11comp_targetILNS1_3genE0ELNS1_11target_archE4294967295ELNS1_3gpuE0ELNS1_3repE0EEENS1_48merge_mergepath_partition_config_static_selectorELNS0_4arch9wavefront6targetE0EEEvSF_ ; -- Begin function _ZN7rocprim17ROCPRIM_400000_NS6detail17trampoline_kernelINS0_14default_configENS1_38merge_sort_block_merge_config_selectorImNS0_10empty_typeEEEZZNS1_27merge_sort_block_merge_implIS3_PmPS5_jNS1_19radix_merge_compareILb0ELb1EmNS0_19identity_decomposerEEEEE10hipError_tT0_T1_T2_jT3_P12ihipStream_tbPNSt15iterator_traitsISE_E10value_typeEPNSK_ISF_E10value_typeEPSG_NS1_7vsmem_tEENKUlT_SE_SF_SG_E_clIS8_S8_S9_S9_EESD_ST_SE_SF_SG_EUlST_E_NS1_11comp_targetILNS1_3genE0ELNS1_11target_archE4294967295ELNS1_3gpuE0ELNS1_3repE0EEENS1_48merge_mergepath_partition_config_static_selectorELNS0_4arch9wavefront6targetE0EEEvSF_
	.globl	_ZN7rocprim17ROCPRIM_400000_NS6detail17trampoline_kernelINS0_14default_configENS1_38merge_sort_block_merge_config_selectorImNS0_10empty_typeEEEZZNS1_27merge_sort_block_merge_implIS3_PmPS5_jNS1_19radix_merge_compareILb0ELb1EmNS0_19identity_decomposerEEEEE10hipError_tT0_T1_T2_jT3_P12ihipStream_tbPNSt15iterator_traitsISE_E10value_typeEPNSK_ISF_E10value_typeEPSG_NS1_7vsmem_tEENKUlT_SE_SF_SG_E_clIS8_S8_S9_S9_EESD_ST_SE_SF_SG_EUlST_E_NS1_11comp_targetILNS1_3genE0ELNS1_11target_archE4294967295ELNS1_3gpuE0ELNS1_3repE0EEENS1_48merge_mergepath_partition_config_static_selectorELNS0_4arch9wavefront6targetE0EEEvSF_
	.p2align	8
	.type	_ZN7rocprim17ROCPRIM_400000_NS6detail17trampoline_kernelINS0_14default_configENS1_38merge_sort_block_merge_config_selectorImNS0_10empty_typeEEEZZNS1_27merge_sort_block_merge_implIS3_PmPS5_jNS1_19radix_merge_compareILb0ELb1EmNS0_19identity_decomposerEEEEE10hipError_tT0_T1_T2_jT3_P12ihipStream_tbPNSt15iterator_traitsISE_E10value_typeEPNSK_ISF_E10value_typeEPSG_NS1_7vsmem_tEENKUlT_SE_SF_SG_E_clIS8_S8_S9_S9_EESD_ST_SE_SF_SG_EUlST_E_NS1_11comp_targetILNS1_3genE0ELNS1_11target_archE4294967295ELNS1_3gpuE0ELNS1_3repE0EEENS1_48merge_mergepath_partition_config_static_selectorELNS0_4arch9wavefront6targetE0EEEvSF_,@function
_ZN7rocprim17ROCPRIM_400000_NS6detail17trampoline_kernelINS0_14default_configENS1_38merge_sort_block_merge_config_selectorImNS0_10empty_typeEEEZZNS1_27merge_sort_block_merge_implIS3_PmPS5_jNS1_19radix_merge_compareILb0ELb1EmNS0_19identity_decomposerEEEEE10hipError_tT0_T1_T2_jT3_P12ihipStream_tbPNSt15iterator_traitsISE_E10value_typeEPNSK_ISF_E10value_typeEPSG_NS1_7vsmem_tEENKUlT_SE_SF_SG_E_clIS8_S8_S9_S9_EESD_ST_SE_SF_SG_EUlST_E_NS1_11comp_targetILNS1_3genE0ELNS1_11target_archE4294967295ELNS1_3gpuE0ELNS1_3repE0EEENS1_48merge_mergepath_partition_config_static_selectorELNS0_4arch9wavefront6targetE0EEEvSF_: ; @_ZN7rocprim17ROCPRIM_400000_NS6detail17trampoline_kernelINS0_14default_configENS1_38merge_sort_block_merge_config_selectorImNS0_10empty_typeEEEZZNS1_27merge_sort_block_merge_implIS3_PmPS5_jNS1_19radix_merge_compareILb0ELb1EmNS0_19identity_decomposerEEEEE10hipError_tT0_T1_T2_jT3_P12ihipStream_tbPNSt15iterator_traitsISE_E10value_typeEPNSK_ISF_E10value_typeEPSG_NS1_7vsmem_tEENKUlT_SE_SF_SG_E_clIS8_S8_S9_S9_EESD_ST_SE_SF_SG_EUlST_E_NS1_11comp_targetILNS1_3genE0ELNS1_11target_archE4294967295ELNS1_3gpuE0ELNS1_3repE0EEENS1_48merge_mergepath_partition_config_static_selectorELNS0_4arch9wavefront6targetE0EEEvSF_
; %bb.0:
	s_load_b32 s2, s[0:1], 0x0
	s_bfe_u32 s3, ttmp6, 0x4000c
	s_and_b32 s4, ttmp6, 15
	s_add_co_i32 s3, s3, 1
	s_getreg_b32 s5, hwreg(HW_REG_IB_STS2, 6, 4)
	s_mul_i32 s3, ttmp9, s3
	s_delay_alu instid0(SALU_CYCLE_1) | instskip(SKIP_2) | instid1(SALU_CYCLE_1)
	s_add_co_i32 s4, s4, s3
	s_cmp_eq_u32 s5, 0
	s_cselect_b32 s3, ttmp9, s4
	v_lshl_or_b32 v8, s3, 7, v0
	s_wait_kmcnt 0x0
	s_delay_alu instid0(VALU_DEP_1)
	v_cmp_gt_u32_e32 vcc_lo, s2, v8
	s_and_saveexec_b32 s2, vcc_lo
	s_cbranch_execz .LBB2949_6
; %bb.1:
	s_load_b64 s[2:3], s[0:1], 0x4
	s_wait_kmcnt 0x0
	s_lshr_b32 s4, s2, 9
	s_delay_alu instid0(SALU_CYCLE_1) | instskip(NEXT) | instid1(SALU_CYCLE_1)
	s_and_b32 s4, s4, 0x7ffffe
	s_sub_co_i32 s5, 0, s4
	s_add_co_i32 s4, s4, -1
	s_delay_alu instid0(SALU_CYCLE_1) | instskip(SKIP_2) | instid1(VALU_DEP_1)
	v_and_b32_e32 v1, s4, v8
	v_and_b32_e32 v0, s5, v8
	s_load_b128 s[4:7], s[0:1], 0x18
	v_dual_lshlrev_b32 v1, 10, v1 :: v_dual_lshlrev_b32 v0, 10, v0
	s_delay_alu instid0(VALU_DEP_1) | instskip(SKIP_1) | instid1(VALU_DEP_2)
	v_add_min_u32_e64 v2, v0, s2, s3
	v_min_u32_e32 v0, s3, v0
	v_add_min_u32_e64 v3, v2, s2, s3
	s_mov_b32 s2, exec_lo
	s_delay_alu instid0(VALU_DEP_1) | instskip(NEXT) | instid1(VALU_DEP_1)
	v_dual_sub_nc_u32 v4, v3, v0 :: v_dual_sub_nc_u32 v3, v3, v2
	v_min_u32_e32 v10, v4, v1
	v_sub_nc_u32_e32 v1, v2, v0
	s_delay_alu instid0(VALU_DEP_2) | instskip(NEXT) | instid1(VALU_DEP_2)
	v_sub_nc_u32_e64 v9, v10, v3 clamp
	v_min_u32_e32 v11, v10, v1
	s_delay_alu instid0(VALU_DEP_1)
	v_cmpx_lt_u32_e64 v9, v11
	s_cbranch_execz .LBB2949_5
; %bb.2:
	s_wait_xcnt 0x0
	s_load_b64 s[0:1], s[0:1], 0x10
	v_mov_b32_e32 v3, 0
	s_delay_alu instid0(VALU_DEP_1) | instskip(SKIP_1) | instid1(VALU_DEP_1)
	v_mov_b32_e32 v1, v3
	s_wait_kmcnt 0x0
	v_lshl_add_u64 v[4:5], v[0:1], 3, s[0:1]
	v_lshl_add_u64 v[6:7], v[2:3], 3, s[0:1]
	s_mov_b32 s0, 0
.LBB2949_3:                             ; =>This Inner Loop Header: Depth=1
	v_add_nc_u32_e32 v1, v11, v9
	s_delay_alu instid0(VALU_DEP_1) | instskip(NEXT) | instid1(VALU_DEP_1)
	v_dual_mov_b32 v13, v3 :: v_dual_lshrrev_b32 v2, 1, v1
	v_xad_u32 v12, v2, -1, v10
	v_lshl_add_u64 v[14:15], v[2:3], 3, v[4:5]
	v_add_nc_u32_e32 v1, 1, v2
	s_delay_alu instid0(VALU_DEP_3)
	v_lshl_add_u64 v[12:13], v[12:13], 3, v[6:7]
	s_clause 0x1
	global_load_b64 v[16:17], v[14:15], off
	global_load_b64 v[18:19], v[12:13], off
	s_wait_loadcnt 0x1
	s_wait_xcnt 0x0
	v_and_b32_e32 v13, s5, v17
	v_and_b32_e32 v12, s4, v16
	s_wait_loadcnt 0x0
	v_and_b32_e32 v15, s5, v19
	v_and_b32_e32 v14, s4, v18
	s_delay_alu instid0(VALU_DEP_1) | instskip(SKIP_1) | instid1(VALU_DEP_1)
	v_cmp_gt_u64_e32 vcc_lo, v[12:13], v[14:15]
	v_dual_cndmask_b32 v11, v11, v2, vcc_lo :: v_dual_cndmask_b32 v9, v1, v9, vcc_lo
	v_cmp_ge_u32_e32 vcc_lo, v9, v11
	s_or_b32 s0, vcc_lo, s0
	s_delay_alu instid0(SALU_CYCLE_1)
	s_and_not1_b32 exec_lo, exec_lo, s0
	s_cbranch_execnz .LBB2949_3
; %bb.4:
	s_or_b32 exec_lo, exec_lo, s0
.LBB2949_5:
	s_delay_alu instid0(SALU_CYCLE_1)
	s_or_b32 exec_lo, exec_lo, s2
	v_add_nc_u32_e32 v0, v9, v0
	s_wait_kmcnt 0x0
	global_store_b32 v8, v0, s[6:7] scale_offset
.LBB2949_6:
	s_endpgm
	.section	.rodata,"a",@progbits
	.p2align	6, 0x0
	.amdhsa_kernel _ZN7rocprim17ROCPRIM_400000_NS6detail17trampoline_kernelINS0_14default_configENS1_38merge_sort_block_merge_config_selectorImNS0_10empty_typeEEEZZNS1_27merge_sort_block_merge_implIS3_PmPS5_jNS1_19radix_merge_compareILb0ELb1EmNS0_19identity_decomposerEEEEE10hipError_tT0_T1_T2_jT3_P12ihipStream_tbPNSt15iterator_traitsISE_E10value_typeEPNSK_ISF_E10value_typeEPSG_NS1_7vsmem_tEENKUlT_SE_SF_SG_E_clIS8_S8_S9_S9_EESD_ST_SE_SF_SG_EUlST_E_NS1_11comp_targetILNS1_3genE0ELNS1_11target_archE4294967295ELNS1_3gpuE0ELNS1_3repE0EEENS1_48merge_mergepath_partition_config_static_selectorELNS0_4arch9wavefront6targetE0EEEvSF_
		.amdhsa_group_segment_fixed_size 0
		.amdhsa_private_segment_fixed_size 0
		.amdhsa_kernarg_size 40
		.amdhsa_user_sgpr_count 2
		.amdhsa_user_sgpr_dispatch_ptr 0
		.amdhsa_user_sgpr_queue_ptr 0
		.amdhsa_user_sgpr_kernarg_segment_ptr 1
		.amdhsa_user_sgpr_dispatch_id 0
		.amdhsa_user_sgpr_kernarg_preload_length 0
		.amdhsa_user_sgpr_kernarg_preload_offset 0
		.amdhsa_user_sgpr_private_segment_size 0
		.amdhsa_wavefront_size32 1
		.amdhsa_uses_dynamic_stack 0
		.amdhsa_enable_private_segment 0
		.amdhsa_system_sgpr_workgroup_id_x 1
		.amdhsa_system_sgpr_workgroup_id_y 0
		.amdhsa_system_sgpr_workgroup_id_z 0
		.amdhsa_system_sgpr_workgroup_info 0
		.amdhsa_system_vgpr_workitem_id 0
		.amdhsa_next_free_vgpr 20
		.amdhsa_next_free_sgpr 8
		.amdhsa_named_barrier_count 0
		.amdhsa_reserve_vcc 1
		.amdhsa_float_round_mode_32 0
		.amdhsa_float_round_mode_16_64 0
		.amdhsa_float_denorm_mode_32 3
		.amdhsa_float_denorm_mode_16_64 3
		.amdhsa_fp16_overflow 0
		.amdhsa_memory_ordered 1
		.amdhsa_forward_progress 1
		.amdhsa_inst_pref_size 4
		.amdhsa_round_robin_scheduling 0
		.amdhsa_exception_fp_ieee_invalid_op 0
		.amdhsa_exception_fp_denorm_src 0
		.amdhsa_exception_fp_ieee_div_zero 0
		.amdhsa_exception_fp_ieee_overflow 0
		.amdhsa_exception_fp_ieee_underflow 0
		.amdhsa_exception_fp_ieee_inexact 0
		.amdhsa_exception_int_div_zero 0
	.end_amdhsa_kernel
	.section	.text._ZN7rocprim17ROCPRIM_400000_NS6detail17trampoline_kernelINS0_14default_configENS1_38merge_sort_block_merge_config_selectorImNS0_10empty_typeEEEZZNS1_27merge_sort_block_merge_implIS3_PmPS5_jNS1_19radix_merge_compareILb0ELb1EmNS0_19identity_decomposerEEEEE10hipError_tT0_T1_T2_jT3_P12ihipStream_tbPNSt15iterator_traitsISE_E10value_typeEPNSK_ISF_E10value_typeEPSG_NS1_7vsmem_tEENKUlT_SE_SF_SG_E_clIS8_S8_S9_S9_EESD_ST_SE_SF_SG_EUlST_E_NS1_11comp_targetILNS1_3genE0ELNS1_11target_archE4294967295ELNS1_3gpuE0ELNS1_3repE0EEENS1_48merge_mergepath_partition_config_static_selectorELNS0_4arch9wavefront6targetE0EEEvSF_,"axG",@progbits,_ZN7rocprim17ROCPRIM_400000_NS6detail17trampoline_kernelINS0_14default_configENS1_38merge_sort_block_merge_config_selectorImNS0_10empty_typeEEEZZNS1_27merge_sort_block_merge_implIS3_PmPS5_jNS1_19radix_merge_compareILb0ELb1EmNS0_19identity_decomposerEEEEE10hipError_tT0_T1_T2_jT3_P12ihipStream_tbPNSt15iterator_traitsISE_E10value_typeEPNSK_ISF_E10value_typeEPSG_NS1_7vsmem_tEENKUlT_SE_SF_SG_E_clIS8_S8_S9_S9_EESD_ST_SE_SF_SG_EUlST_E_NS1_11comp_targetILNS1_3genE0ELNS1_11target_archE4294967295ELNS1_3gpuE0ELNS1_3repE0EEENS1_48merge_mergepath_partition_config_static_selectorELNS0_4arch9wavefront6targetE0EEEvSF_,comdat
.Lfunc_end2949:
	.size	_ZN7rocprim17ROCPRIM_400000_NS6detail17trampoline_kernelINS0_14default_configENS1_38merge_sort_block_merge_config_selectorImNS0_10empty_typeEEEZZNS1_27merge_sort_block_merge_implIS3_PmPS5_jNS1_19radix_merge_compareILb0ELb1EmNS0_19identity_decomposerEEEEE10hipError_tT0_T1_T2_jT3_P12ihipStream_tbPNSt15iterator_traitsISE_E10value_typeEPNSK_ISF_E10value_typeEPSG_NS1_7vsmem_tEENKUlT_SE_SF_SG_E_clIS8_S8_S9_S9_EESD_ST_SE_SF_SG_EUlST_E_NS1_11comp_targetILNS1_3genE0ELNS1_11target_archE4294967295ELNS1_3gpuE0ELNS1_3repE0EEENS1_48merge_mergepath_partition_config_static_selectorELNS0_4arch9wavefront6targetE0EEEvSF_, .Lfunc_end2949-_ZN7rocprim17ROCPRIM_400000_NS6detail17trampoline_kernelINS0_14default_configENS1_38merge_sort_block_merge_config_selectorImNS0_10empty_typeEEEZZNS1_27merge_sort_block_merge_implIS3_PmPS5_jNS1_19radix_merge_compareILb0ELb1EmNS0_19identity_decomposerEEEEE10hipError_tT0_T1_T2_jT3_P12ihipStream_tbPNSt15iterator_traitsISE_E10value_typeEPNSK_ISF_E10value_typeEPSG_NS1_7vsmem_tEENKUlT_SE_SF_SG_E_clIS8_S8_S9_S9_EESD_ST_SE_SF_SG_EUlST_E_NS1_11comp_targetILNS1_3genE0ELNS1_11target_archE4294967295ELNS1_3gpuE0ELNS1_3repE0EEENS1_48merge_mergepath_partition_config_static_selectorELNS0_4arch9wavefront6targetE0EEEvSF_
                                        ; -- End function
	.set _ZN7rocprim17ROCPRIM_400000_NS6detail17trampoline_kernelINS0_14default_configENS1_38merge_sort_block_merge_config_selectorImNS0_10empty_typeEEEZZNS1_27merge_sort_block_merge_implIS3_PmPS5_jNS1_19radix_merge_compareILb0ELb1EmNS0_19identity_decomposerEEEEE10hipError_tT0_T1_T2_jT3_P12ihipStream_tbPNSt15iterator_traitsISE_E10value_typeEPNSK_ISF_E10value_typeEPSG_NS1_7vsmem_tEENKUlT_SE_SF_SG_E_clIS8_S8_S9_S9_EESD_ST_SE_SF_SG_EUlST_E_NS1_11comp_targetILNS1_3genE0ELNS1_11target_archE4294967295ELNS1_3gpuE0ELNS1_3repE0EEENS1_48merge_mergepath_partition_config_static_selectorELNS0_4arch9wavefront6targetE0EEEvSF_.num_vgpr, 20
	.set _ZN7rocprim17ROCPRIM_400000_NS6detail17trampoline_kernelINS0_14default_configENS1_38merge_sort_block_merge_config_selectorImNS0_10empty_typeEEEZZNS1_27merge_sort_block_merge_implIS3_PmPS5_jNS1_19radix_merge_compareILb0ELb1EmNS0_19identity_decomposerEEEEE10hipError_tT0_T1_T2_jT3_P12ihipStream_tbPNSt15iterator_traitsISE_E10value_typeEPNSK_ISF_E10value_typeEPSG_NS1_7vsmem_tEENKUlT_SE_SF_SG_E_clIS8_S8_S9_S9_EESD_ST_SE_SF_SG_EUlST_E_NS1_11comp_targetILNS1_3genE0ELNS1_11target_archE4294967295ELNS1_3gpuE0ELNS1_3repE0EEENS1_48merge_mergepath_partition_config_static_selectorELNS0_4arch9wavefront6targetE0EEEvSF_.num_agpr, 0
	.set _ZN7rocprim17ROCPRIM_400000_NS6detail17trampoline_kernelINS0_14default_configENS1_38merge_sort_block_merge_config_selectorImNS0_10empty_typeEEEZZNS1_27merge_sort_block_merge_implIS3_PmPS5_jNS1_19radix_merge_compareILb0ELb1EmNS0_19identity_decomposerEEEEE10hipError_tT0_T1_T2_jT3_P12ihipStream_tbPNSt15iterator_traitsISE_E10value_typeEPNSK_ISF_E10value_typeEPSG_NS1_7vsmem_tEENKUlT_SE_SF_SG_E_clIS8_S8_S9_S9_EESD_ST_SE_SF_SG_EUlST_E_NS1_11comp_targetILNS1_3genE0ELNS1_11target_archE4294967295ELNS1_3gpuE0ELNS1_3repE0EEENS1_48merge_mergepath_partition_config_static_selectorELNS0_4arch9wavefront6targetE0EEEvSF_.numbered_sgpr, 8
	.set _ZN7rocprim17ROCPRIM_400000_NS6detail17trampoline_kernelINS0_14default_configENS1_38merge_sort_block_merge_config_selectorImNS0_10empty_typeEEEZZNS1_27merge_sort_block_merge_implIS3_PmPS5_jNS1_19radix_merge_compareILb0ELb1EmNS0_19identity_decomposerEEEEE10hipError_tT0_T1_T2_jT3_P12ihipStream_tbPNSt15iterator_traitsISE_E10value_typeEPNSK_ISF_E10value_typeEPSG_NS1_7vsmem_tEENKUlT_SE_SF_SG_E_clIS8_S8_S9_S9_EESD_ST_SE_SF_SG_EUlST_E_NS1_11comp_targetILNS1_3genE0ELNS1_11target_archE4294967295ELNS1_3gpuE0ELNS1_3repE0EEENS1_48merge_mergepath_partition_config_static_selectorELNS0_4arch9wavefront6targetE0EEEvSF_.num_named_barrier, 0
	.set _ZN7rocprim17ROCPRIM_400000_NS6detail17trampoline_kernelINS0_14default_configENS1_38merge_sort_block_merge_config_selectorImNS0_10empty_typeEEEZZNS1_27merge_sort_block_merge_implIS3_PmPS5_jNS1_19radix_merge_compareILb0ELb1EmNS0_19identity_decomposerEEEEE10hipError_tT0_T1_T2_jT3_P12ihipStream_tbPNSt15iterator_traitsISE_E10value_typeEPNSK_ISF_E10value_typeEPSG_NS1_7vsmem_tEENKUlT_SE_SF_SG_E_clIS8_S8_S9_S9_EESD_ST_SE_SF_SG_EUlST_E_NS1_11comp_targetILNS1_3genE0ELNS1_11target_archE4294967295ELNS1_3gpuE0ELNS1_3repE0EEENS1_48merge_mergepath_partition_config_static_selectorELNS0_4arch9wavefront6targetE0EEEvSF_.private_seg_size, 0
	.set _ZN7rocprim17ROCPRIM_400000_NS6detail17trampoline_kernelINS0_14default_configENS1_38merge_sort_block_merge_config_selectorImNS0_10empty_typeEEEZZNS1_27merge_sort_block_merge_implIS3_PmPS5_jNS1_19radix_merge_compareILb0ELb1EmNS0_19identity_decomposerEEEEE10hipError_tT0_T1_T2_jT3_P12ihipStream_tbPNSt15iterator_traitsISE_E10value_typeEPNSK_ISF_E10value_typeEPSG_NS1_7vsmem_tEENKUlT_SE_SF_SG_E_clIS8_S8_S9_S9_EESD_ST_SE_SF_SG_EUlST_E_NS1_11comp_targetILNS1_3genE0ELNS1_11target_archE4294967295ELNS1_3gpuE0ELNS1_3repE0EEENS1_48merge_mergepath_partition_config_static_selectorELNS0_4arch9wavefront6targetE0EEEvSF_.uses_vcc, 1
	.set _ZN7rocprim17ROCPRIM_400000_NS6detail17trampoline_kernelINS0_14default_configENS1_38merge_sort_block_merge_config_selectorImNS0_10empty_typeEEEZZNS1_27merge_sort_block_merge_implIS3_PmPS5_jNS1_19radix_merge_compareILb0ELb1EmNS0_19identity_decomposerEEEEE10hipError_tT0_T1_T2_jT3_P12ihipStream_tbPNSt15iterator_traitsISE_E10value_typeEPNSK_ISF_E10value_typeEPSG_NS1_7vsmem_tEENKUlT_SE_SF_SG_E_clIS8_S8_S9_S9_EESD_ST_SE_SF_SG_EUlST_E_NS1_11comp_targetILNS1_3genE0ELNS1_11target_archE4294967295ELNS1_3gpuE0ELNS1_3repE0EEENS1_48merge_mergepath_partition_config_static_selectorELNS0_4arch9wavefront6targetE0EEEvSF_.uses_flat_scratch, 0
	.set _ZN7rocprim17ROCPRIM_400000_NS6detail17trampoline_kernelINS0_14default_configENS1_38merge_sort_block_merge_config_selectorImNS0_10empty_typeEEEZZNS1_27merge_sort_block_merge_implIS3_PmPS5_jNS1_19radix_merge_compareILb0ELb1EmNS0_19identity_decomposerEEEEE10hipError_tT0_T1_T2_jT3_P12ihipStream_tbPNSt15iterator_traitsISE_E10value_typeEPNSK_ISF_E10value_typeEPSG_NS1_7vsmem_tEENKUlT_SE_SF_SG_E_clIS8_S8_S9_S9_EESD_ST_SE_SF_SG_EUlST_E_NS1_11comp_targetILNS1_3genE0ELNS1_11target_archE4294967295ELNS1_3gpuE0ELNS1_3repE0EEENS1_48merge_mergepath_partition_config_static_selectorELNS0_4arch9wavefront6targetE0EEEvSF_.has_dyn_sized_stack, 0
	.set _ZN7rocprim17ROCPRIM_400000_NS6detail17trampoline_kernelINS0_14default_configENS1_38merge_sort_block_merge_config_selectorImNS0_10empty_typeEEEZZNS1_27merge_sort_block_merge_implIS3_PmPS5_jNS1_19radix_merge_compareILb0ELb1EmNS0_19identity_decomposerEEEEE10hipError_tT0_T1_T2_jT3_P12ihipStream_tbPNSt15iterator_traitsISE_E10value_typeEPNSK_ISF_E10value_typeEPSG_NS1_7vsmem_tEENKUlT_SE_SF_SG_E_clIS8_S8_S9_S9_EESD_ST_SE_SF_SG_EUlST_E_NS1_11comp_targetILNS1_3genE0ELNS1_11target_archE4294967295ELNS1_3gpuE0ELNS1_3repE0EEENS1_48merge_mergepath_partition_config_static_selectorELNS0_4arch9wavefront6targetE0EEEvSF_.has_recursion, 0
	.set _ZN7rocprim17ROCPRIM_400000_NS6detail17trampoline_kernelINS0_14default_configENS1_38merge_sort_block_merge_config_selectorImNS0_10empty_typeEEEZZNS1_27merge_sort_block_merge_implIS3_PmPS5_jNS1_19radix_merge_compareILb0ELb1EmNS0_19identity_decomposerEEEEE10hipError_tT0_T1_T2_jT3_P12ihipStream_tbPNSt15iterator_traitsISE_E10value_typeEPNSK_ISF_E10value_typeEPSG_NS1_7vsmem_tEENKUlT_SE_SF_SG_E_clIS8_S8_S9_S9_EESD_ST_SE_SF_SG_EUlST_E_NS1_11comp_targetILNS1_3genE0ELNS1_11target_archE4294967295ELNS1_3gpuE0ELNS1_3repE0EEENS1_48merge_mergepath_partition_config_static_selectorELNS0_4arch9wavefront6targetE0EEEvSF_.has_indirect_call, 0
	.section	.AMDGPU.csdata,"",@progbits
; Kernel info:
; codeLenInByte = 456
; TotalNumSgprs: 10
; NumVgprs: 20
; ScratchSize: 0
; MemoryBound: 0
; FloatMode: 240
; IeeeMode: 1
; LDSByteSize: 0 bytes/workgroup (compile time only)
; SGPRBlocks: 0
; VGPRBlocks: 1
; NumSGPRsForWavesPerEU: 10
; NumVGPRsForWavesPerEU: 20
; NamedBarCnt: 0
; Occupancy: 16
; WaveLimiterHint : 0
; COMPUTE_PGM_RSRC2:SCRATCH_EN: 0
; COMPUTE_PGM_RSRC2:USER_SGPR: 2
; COMPUTE_PGM_RSRC2:TRAP_HANDLER: 0
; COMPUTE_PGM_RSRC2:TGID_X_EN: 1
; COMPUTE_PGM_RSRC2:TGID_Y_EN: 0
; COMPUTE_PGM_RSRC2:TGID_Z_EN: 0
; COMPUTE_PGM_RSRC2:TIDIG_COMP_CNT: 0
	.section	.text._ZN7rocprim17ROCPRIM_400000_NS6detail17trampoline_kernelINS0_14default_configENS1_38merge_sort_block_merge_config_selectorImNS0_10empty_typeEEEZZNS1_27merge_sort_block_merge_implIS3_PmPS5_jNS1_19radix_merge_compareILb0ELb1EmNS0_19identity_decomposerEEEEE10hipError_tT0_T1_T2_jT3_P12ihipStream_tbPNSt15iterator_traitsISE_E10value_typeEPNSK_ISF_E10value_typeEPSG_NS1_7vsmem_tEENKUlT_SE_SF_SG_E_clIS8_S8_S9_S9_EESD_ST_SE_SF_SG_EUlST_E_NS1_11comp_targetILNS1_3genE10ELNS1_11target_archE1201ELNS1_3gpuE5ELNS1_3repE0EEENS1_48merge_mergepath_partition_config_static_selectorELNS0_4arch9wavefront6targetE0EEEvSF_,"axG",@progbits,_ZN7rocprim17ROCPRIM_400000_NS6detail17trampoline_kernelINS0_14default_configENS1_38merge_sort_block_merge_config_selectorImNS0_10empty_typeEEEZZNS1_27merge_sort_block_merge_implIS3_PmPS5_jNS1_19radix_merge_compareILb0ELb1EmNS0_19identity_decomposerEEEEE10hipError_tT0_T1_T2_jT3_P12ihipStream_tbPNSt15iterator_traitsISE_E10value_typeEPNSK_ISF_E10value_typeEPSG_NS1_7vsmem_tEENKUlT_SE_SF_SG_E_clIS8_S8_S9_S9_EESD_ST_SE_SF_SG_EUlST_E_NS1_11comp_targetILNS1_3genE10ELNS1_11target_archE1201ELNS1_3gpuE5ELNS1_3repE0EEENS1_48merge_mergepath_partition_config_static_selectorELNS0_4arch9wavefront6targetE0EEEvSF_,comdat
	.protected	_ZN7rocprim17ROCPRIM_400000_NS6detail17trampoline_kernelINS0_14default_configENS1_38merge_sort_block_merge_config_selectorImNS0_10empty_typeEEEZZNS1_27merge_sort_block_merge_implIS3_PmPS5_jNS1_19radix_merge_compareILb0ELb1EmNS0_19identity_decomposerEEEEE10hipError_tT0_T1_T2_jT3_P12ihipStream_tbPNSt15iterator_traitsISE_E10value_typeEPNSK_ISF_E10value_typeEPSG_NS1_7vsmem_tEENKUlT_SE_SF_SG_E_clIS8_S8_S9_S9_EESD_ST_SE_SF_SG_EUlST_E_NS1_11comp_targetILNS1_3genE10ELNS1_11target_archE1201ELNS1_3gpuE5ELNS1_3repE0EEENS1_48merge_mergepath_partition_config_static_selectorELNS0_4arch9wavefront6targetE0EEEvSF_ ; -- Begin function _ZN7rocprim17ROCPRIM_400000_NS6detail17trampoline_kernelINS0_14default_configENS1_38merge_sort_block_merge_config_selectorImNS0_10empty_typeEEEZZNS1_27merge_sort_block_merge_implIS3_PmPS5_jNS1_19radix_merge_compareILb0ELb1EmNS0_19identity_decomposerEEEEE10hipError_tT0_T1_T2_jT3_P12ihipStream_tbPNSt15iterator_traitsISE_E10value_typeEPNSK_ISF_E10value_typeEPSG_NS1_7vsmem_tEENKUlT_SE_SF_SG_E_clIS8_S8_S9_S9_EESD_ST_SE_SF_SG_EUlST_E_NS1_11comp_targetILNS1_3genE10ELNS1_11target_archE1201ELNS1_3gpuE5ELNS1_3repE0EEENS1_48merge_mergepath_partition_config_static_selectorELNS0_4arch9wavefront6targetE0EEEvSF_
	.globl	_ZN7rocprim17ROCPRIM_400000_NS6detail17trampoline_kernelINS0_14default_configENS1_38merge_sort_block_merge_config_selectorImNS0_10empty_typeEEEZZNS1_27merge_sort_block_merge_implIS3_PmPS5_jNS1_19radix_merge_compareILb0ELb1EmNS0_19identity_decomposerEEEEE10hipError_tT0_T1_T2_jT3_P12ihipStream_tbPNSt15iterator_traitsISE_E10value_typeEPNSK_ISF_E10value_typeEPSG_NS1_7vsmem_tEENKUlT_SE_SF_SG_E_clIS8_S8_S9_S9_EESD_ST_SE_SF_SG_EUlST_E_NS1_11comp_targetILNS1_3genE10ELNS1_11target_archE1201ELNS1_3gpuE5ELNS1_3repE0EEENS1_48merge_mergepath_partition_config_static_selectorELNS0_4arch9wavefront6targetE0EEEvSF_
	.p2align	8
	.type	_ZN7rocprim17ROCPRIM_400000_NS6detail17trampoline_kernelINS0_14default_configENS1_38merge_sort_block_merge_config_selectorImNS0_10empty_typeEEEZZNS1_27merge_sort_block_merge_implIS3_PmPS5_jNS1_19radix_merge_compareILb0ELb1EmNS0_19identity_decomposerEEEEE10hipError_tT0_T1_T2_jT3_P12ihipStream_tbPNSt15iterator_traitsISE_E10value_typeEPNSK_ISF_E10value_typeEPSG_NS1_7vsmem_tEENKUlT_SE_SF_SG_E_clIS8_S8_S9_S9_EESD_ST_SE_SF_SG_EUlST_E_NS1_11comp_targetILNS1_3genE10ELNS1_11target_archE1201ELNS1_3gpuE5ELNS1_3repE0EEENS1_48merge_mergepath_partition_config_static_selectorELNS0_4arch9wavefront6targetE0EEEvSF_,@function
_ZN7rocprim17ROCPRIM_400000_NS6detail17trampoline_kernelINS0_14default_configENS1_38merge_sort_block_merge_config_selectorImNS0_10empty_typeEEEZZNS1_27merge_sort_block_merge_implIS3_PmPS5_jNS1_19radix_merge_compareILb0ELb1EmNS0_19identity_decomposerEEEEE10hipError_tT0_T1_T2_jT3_P12ihipStream_tbPNSt15iterator_traitsISE_E10value_typeEPNSK_ISF_E10value_typeEPSG_NS1_7vsmem_tEENKUlT_SE_SF_SG_E_clIS8_S8_S9_S9_EESD_ST_SE_SF_SG_EUlST_E_NS1_11comp_targetILNS1_3genE10ELNS1_11target_archE1201ELNS1_3gpuE5ELNS1_3repE0EEENS1_48merge_mergepath_partition_config_static_selectorELNS0_4arch9wavefront6targetE0EEEvSF_: ; @_ZN7rocprim17ROCPRIM_400000_NS6detail17trampoline_kernelINS0_14default_configENS1_38merge_sort_block_merge_config_selectorImNS0_10empty_typeEEEZZNS1_27merge_sort_block_merge_implIS3_PmPS5_jNS1_19radix_merge_compareILb0ELb1EmNS0_19identity_decomposerEEEEE10hipError_tT0_T1_T2_jT3_P12ihipStream_tbPNSt15iterator_traitsISE_E10value_typeEPNSK_ISF_E10value_typeEPSG_NS1_7vsmem_tEENKUlT_SE_SF_SG_E_clIS8_S8_S9_S9_EESD_ST_SE_SF_SG_EUlST_E_NS1_11comp_targetILNS1_3genE10ELNS1_11target_archE1201ELNS1_3gpuE5ELNS1_3repE0EEENS1_48merge_mergepath_partition_config_static_selectorELNS0_4arch9wavefront6targetE0EEEvSF_
; %bb.0:
	.section	.rodata,"a",@progbits
	.p2align	6, 0x0
	.amdhsa_kernel _ZN7rocprim17ROCPRIM_400000_NS6detail17trampoline_kernelINS0_14default_configENS1_38merge_sort_block_merge_config_selectorImNS0_10empty_typeEEEZZNS1_27merge_sort_block_merge_implIS3_PmPS5_jNS1_19radix_merge_compareILb0ELb1EmNS0_19identity_decomposerEEEEE10hipError_tT0_T1_T2_jT3_P12ihipStream_tbPNSt15iterator_traitsISE_E10value_typeEPNSK_ISF_E10value_typeEPSG_NS1_7vsmem_tEENKUlT_SE_SF_SG_E_clIS8_S8_S9_S9_EESD_ST_SE_SF_SG_EUlST_E_NS1_11comp_targetILNS1_3genE10ELNS1_11target_archE1201ELNS1_3gpuE5ELNS1_3repE0EEENS1_48merge_mergepath_partition_config_static_selectorELNS0_4arch9wavefront6targetE0EEEvSF_
		.amdhsa_group_segment_fixed_size 0
		.amdhsa_private_segment_fixed_size 0
		.amdhsa_kernarg_size 40
		.amdhsa_user_sgpr_count 2
		.amdhsa_user_sgpr_dispatch_ptr 0
		.amdhsa_user_sgpr_queue_ptr 0
		.amdhsa_user_sgpr_kernarg_segment_ptr 1
		.amdhsa_user_sgpr_dispatch_id 0
		.amdhsa_user_sgpr_kernarg_preload_length 0
		.amdhsa_user_sgpr_kernarg_preload_offset 0
		.amdhsa_user_sgpr_private_segment_size 0
		.amdhsa_wavefront_size32 1
		.amdhsa_uses_dynamic_stack 0
		.amdhsa_enable_private_segment 0
		.amdhsa_system_sgpr_workgroup_id_x 1
		.amdhsa_system_sgpr_workgroup_id_y 0
		.amdhsa_system_sgpr_workgroup_id_z 0
		.amdhsa_system_sgpr_workgroup_info 0
		.amdhsa_system_vgpr_workitem_id 0
		.amdhsa_next_free_vgpr 1
		.amdhsa_next_free_sgpr 1
		.amdhsa_named_barrier_count 0
		.amdhsa_reserve_vcc 0
		.amdhsa_float_round_mode_32 0
		.amdhsa_float_round_mode_16_64 0
		.amdhsa_float_denorm_mode_32 3
		.amdhsa_float_denorm_mode_16_64 3
		.amdhsa_fp16_overflow 0
		.amdhsa_memory_ordered 1
		.amdhsa_forward_progress 1
		.amdhsa_inst_pref_size 0
		.amdhsa_round_robin_scheduling 0
		.amdhsa_exception_fp_ieee_invalid_op 0
		.amdhsa_exception_fp_denorm_src 0
		.amdhsa_exception_fp_ieee_div_zero 0
		.amdhsa_exception_fp_ieee_overflow 0
		.amdhsa_exception_fp_ieee_underflow 0
		.amdhsa_exception_fp_ieee_inexact 0
		.amdhsa_exception_int_div_zero 0
	.end_amdhsa_kernel
	.section	.text._ZN7rocprim17ROCPRIM_400000_NS6detail17trampoline_kernelINS0_14default_configENS1_38merge_sort_block_merge_config_selectorImNS0_10empty_typeEEEZZNS1_27merge_sort_block_merge_implIS3_PmPS5_jNS1_19radix_merge_compareILb0ELb1EmNS0_19identity_decomposerEEEEE10hipError_tT0_T1_T2_jT3_P12ihipStream_tbPNSt15iterator_traitsISE_E10value_typeEPNSK_ISF_E10value_typeEPSG_NS1_7vsmem_tEENKUlT_SE_SF_SG_E_clIS8_S8_S9_S9_EESD_ST_SE_SF_SG_EUlST_E_NS1_11comp_targetILNS1_3genE10ELNS1_11target_archE1201ELNS1_3gpuE5ELNS1_3repE0EEENS1_48merge_mergepath_partition_config_static_selectorELNS0_4arch9wavefront6targetE0EEEvSF_,"axG",@progbits,_ZN7rocprim17ROCPRIM_400000_NS6detail17trampoline_kernelINS0_14default_configENS1_38merge_sort_block_merge_config_selectorImNS0_10empty_typeEEEZZNS1_27merge_sort_block_merge_implIS3_PmPS5_jNS1_19radix_merge_compareILb0ELb1EmNS0_19identity_decomposerEEEEE10hipError_tT0_T1_T2_jT3_P12ihipStream_tbPNSt15iterator_traitsISE_E10value_typeEPNSK_ISF_E10value_typeEPSG_NS1_7vsmem_tEENKUlT_SE_SF_SG_E_clIS8_S8_S9_S9_EESD_ST_SE_SF_SG_EUlST_E_NS1_11comp_targetILNS1_3genE10ELNS1_11target_archE1201ELNS1_3gpuE5ELNS1_3repE0EEENS1_48merge_mergepath_partition_config_static_selectorELNS0_4arch9wavefront6targetE0EEEvSF_,comdat
.Lfunc_end2950:
	.size	_ZN7rocprim17ROCPRIM_400000_NS6detail17trampoline_kernelINS0_14default_configENS1_38merge_sort_block_merge_config_selectorImNS0_10empty_typeEEEZZNS1_27merge_sort_block_merge_implIS3_PmPS5_jNS1_19radix_merge_compareILb0ELb1EmNS0_19identity_decomposerEEEEE10hipError_tT0_T1_T2_jT3_P12ihipStream_tbPNSt15iterator_traitsISE_E10value_typeEPNSK_ISF_E10value_typeEPSG_NS1_7vsmem_tEENKUlT_SE_SF_SG_E_clIS8_S8_S9_S9_EESD_ST_SE_SF_SG_EUlST_E_NS1_11comp_targetILNS1_3genE10ELNS1_11target_archE1201ELNS1_3gpuE5ELNS1_3repE0EEENS1_48merge_mergepath_partition_config_static_selectorELNS0_4arch9wavefront6targetE0EEEvSF_, .Lfunc_end2950-_ZN7rocprim17ROCPRIM_400000_NS6detail17trampoline_kernelINS0_14default_configENS1_38merge_sort_block_merge_config_selectorImNS0_10empty_typeEEEZZNS1_27merge_sort_block_merge_implIS3_PmPS5_jNS1_19radix_merge_compareILb0ELb1EmNS0_19identity_decomposerEEEEE10hipError_tT0_T1_T2_jT3_P12ihipStream_tbPNSt15iterator_traitsISE_E10value_typeEPNSK_ISF_E10value_typeEPSG_NS1_7vsmem_tEENKUlT_SE_SF_SG_E_clIS8_S8_S9_S9_EESD_ST_SE_SF_SG_EUlST_E_NS1_11comp_targetILNS1_3genE10ELNS1_11target_archE1201ELNS1_3gpuE5ELNS1_3repE0EEENS1_48merge_mergepath_partition_config_static_selectorELNS0_4arch9wavefront6targetE0EEEvSF_
                                        ; -- End function
	.set _ZN7rocprim17ROCPRIM_400000_NS6detail17trampoline_kernelINS0_14default_configENS1_38merge_sort_block_merge_config_selectorImNS0_10empty_typeEEEZZNS1_27merge_sort_block_merge_implIS3_PmPS5_jNS1_19radix_merge_compareILb0ELb1EmNS0_19identity_decomposerEEEEE10hipError_tT0_T1_T2_jT3_P12ihipStream_tbPNSt15iterator_traitsISE_E10value_typeEPNSK_ISF_E10value_typeEPSG_NS1_7vsmem_tEENKUlT_SE_SF_SG_E_clIS8_S8_S9_S9_EESD_ST_SE_SF_SG_EUlST_E_NS1_11comp_targetILNS1_3genE10ELNS1_11target_archE1201ELNS1_3gpuE5ELNS1_3repE0EEENS1_48merge_mergepath_partition_config_static_selectorELNS0_4arch9wavefront6targetE0EEEvSF_.num_vgpr, 0
	.set _ZN7rocprim17ROCPRIM_400000_NS6detail17trampoline_kernelINS0_14default_configENS1_38merge_sort_block_merge_config_selectorImNS0_10empty_typeEEEZZNS1_27merge_sort_block_merge_implIS3_PmPS5_jNS1_19radix_merge_compareILb0ELb1EmNS0_19identity_decomposerEEEEE10hipError_tT0_T1_T2_jT3_P12ihipStream_tbPNSt15iterator_traitsISE_E10value_typeEPNSK_ISF_E10value_typeEPSG_NS1_7vsmem_tEENKUlT_SE_SF_SG_E_clIS8_S8_S9_S9_EESD_ST_SE_SF_SG_EUlST_E_NS1_11comp_targetILNS1_3genE10ELNS1_11target_archE1201ELNS1_3gpuE5ELNS1_3repE0EEENS1_48merge_mergepath_partition_config_static_selectorELNS0_4arch9wavefront6targetE0EEEvSF_.num_agpr, 0
	.set _ZN7rocprim17ROCPRIM_400000_NS6detail17trampoline_kernelINS0_14default_configENS1_38merge_sort_block_merge_config_selectorImNS0_10empty_typeEEEZZNS1_27merge_sort_block_merge_implIS3_PmPS5_jNS1_19radix_merge_compareILb0ELb1EmNS0_19identity_decomposerEEEEE10hipError_tT0_T1_T2_jT3_P12ihipStream_tbPNSt15iterator_traitsISE_E10value_typeEPNSK_ISF_E10value_typeEPSG_NS1_7vsmem_tEENKUlT_SE_SF_SG_E_clIS8_S8_S9_S9_EESD_ST_SE_SF_SG_EUlST_E_NS1_11comp_targetILNS1_3genE10ELNS1_11target_archE1201ELNS1_3gpuE5ELNS1_3repE0EEENS1_48merge_mergepath_partition_config_static_selectorELNS0_4arch9wavefront6targetE0EEEvSF_.numbered_sgpr, 0
	.set _ZN7rocprim17ROCPRIM_400000_NS6detail17trampoline_kernelINS0_14default_configENS1_38merge_sort_block_merge_config_selectorImNS0_10empty_typeEEEZZNS1_27merge_sort_block_merge_implIS3_PmPS5_jNS1_19radix_merge_compareILb0ELb1EmNS0_19identity_decomposerEEEEE10hipError_tT0_T1_T2_jT3_P12ihipStream_tbPNSt15iterator_traitsISE_E10value_typeEPNSK_ISF_E10value_typeEPSG_NS1_7vsmem_tEENKUlT_SE_SF_SG_E_clIS8_S8_S9_S9_EESD_ST_SE_SF_SG_EUlST_E_NS1_11comp_targetILNS1_3genE10ELNS1_11target_archE1201ELNS1_3gpuE5ELNS1_3repE0EEENS1_48merge_mergepath_partition_config_static_selectorELNS0_4arch9wavefront6targetE0EEEvSF_.num_named_barrier, 0
	.set _ZN7rocprim17ROCPRIM_400000_NS6detail17trampoline_kernelINS0_14default_configENS1_38merge_sort_block_merge_config_selectorImNS0_10empty_typeEEEZZNS1_27merge_sort_block_merge_implIS3_PmPS5_jNS1_19radix_merge_compareILb0ELb1EmNS0_19identity_decomposerEEEEE10hipError_tT0_T1_T2_jT3_P12ihipStream_tbPNSt15iterator_traitsISE_E10value_typeEPNSK_ISF_E10value_typeEPSG_NS1_7vsmem_tEENKUlT_SE_SF_SG_E_clIS8_S8_S9_S9_EESD_ST_SE_SF_SG_EUlST_E_NS1_11comp_targetILNS1_3genE10ELNS1_11target_archE1201ELNS1_3gpuE5ELNS1_3repE0EEENS1_48merge_mergepath_partition_config_static_selectorELNS0_4arch9wavefront6targetE0EEEvSF_.private_seg_size, 0
	.set _ZN7rocprim17ROCPRIM_400000_NS6detail17trampoline_kernelINS0_14default_configENS1_38merge_sort_block_merge_config_selectorImNS0_10empty_typeEEEZZNS1_27merge_sort_block_merge_implIS3_PmPS5_jNS1_19radix_merge_compareILb0ELb1EmNS0_19identity_decomposerEEEEE10hipError_tT0_T1_T2_jT3_P12ihipStream_tbPNSt15iterator_traitsISE_E10value_typeEPNSK_ISF_E10value_typeEPSG_NS1_7vsmem_tEENKUlT_SE_SF_SG_E_clIS8_S8_S9_S9_EESD_ST_SE_SF_SG_EUlST_E_NS1_11comp_targetILNS1_3genE10ELNS1_11target_archE1201ELNS1_3gpuE5ELNS1_3repE0EEENS1_48merge_mergepath_partition_config_static_selectorELNS0_4arch9wavefront6targetE0EEEvSF_.uses_vcc, 0
	.set _ZN7rocprim17ROCPRIM_400000_NS6detail17trampoline_kernelINS0_14default_configENS1_38merge_sort_block_merge_config_selectorImNS0_10empty_typeEEEZZNS1_27merge_sort_block_merge_implIS3_PmPS5_jNS1_19radix_merge_compareILb0ELb1EmNS0_19identity_decomposerEEEEE10hipError_tT0_T1_T2_jT3_P12ihipStream_tbPNSt15iterator_traitsISE_E10value_typeEPNSK_ISF_E10value_typeEPSG_NS1_7vsmem_tEENKUlT_SE_SF_SG_E_clIS8_S8_S9_S9_EESD_ST_SE_SF_SG_EUlST_E_NS1_11comp_targetILNS1_3genE10ELNS1_11target_archE1201ELNS1_3gpuE5ELNS1_3repE0EEENS1_48merge_mergepath_partition_config_static_selectorELNS0_4arch9wavefront6targetE0EEEvSF_.uses_flat_scratch, 0
	.set _ZN7rocprim17ROCPRIM_400000_NS6detail17trampoline_kernelINS0_14default_configENS1_38merge_sort_block_merge_config_selectorImNS0_10empty_typeEEEZZNS1_27merge_sort_block_merge_implIS3_PmPS5_jNS1_19radix_merge_compareILb0ELb1EmNS0_19identity_decomposerEEEEE10hipError_tT0_T1_T2_jT3_P12ihipStream_tbPNSt15iterator_traitsISE_E10value_typeEPNSK_ISF_E10value_typeEPSG_NS1_7vsmem_tEENKUlT_SE_SF_SG_E_clIS8_S8_S9_S9_EESD_ST_SE_SF_SG_EUlST_E_NS1_11comp_targetILNS1_3genE10ELNS1_11target_archE1201ELNS1_3gpuE5ELNS1_3repE0EEENS1_48merge_mergepath_partition_config_static_selectorELNS0_4arch9wavefront6targetE0EEEvSF_.has_dyn_sized_stack, 0
	.set _ZN7rocprim17ROCPRIM_400000_NS6detail17trampoline_kernelINS0_14default_configENS1_38merge_sort_block_merge_config_selectorImNS0_10empty_typeEEEZZNS1_27merge_sort_block_merge_implIS3_PmPS5_jNS1_19radix_merge_compareILb0ELb1EmNS0_19identity_decomposerEEEEE10hipError_tT0_T1_T2_jT3_P12ihipStream_tbPNSt15iterator_traitsISE_E10value_typeEPNSK_ISF_E10value_typeEPSG_NS1_7vsmem_tEENKUlT_SE_SF_SG_E_clIS8_S8_S9_S9_EESD_ST_SE_SF_SG_EUlST_E_NS1_11comp_targetILNS1_3genE10ELNS1_11target_archE1201ELNS1_3gpuE5ELNS1_3repE0EEENS1_48merge_mergepath_partition_config_static_selectorELNS0_4arch9wavefront6targetE0EEEvSF_.has_recursion, 0
	.set _ZN7rocprim17ROCPRIM_400000_NS6detail17trampoline_kernelINS0_14default_configENS1_38merge_sort_block_merge_config_selectorImNS0_10empty_typeEEEZZNS1_27merge_sort_block_merge_implIS3_PmPS5_jNS1_19radix_merge_compareILb0ELb1EmNS0_19identity_decomposerEEEEE10hipError_tT0_T1_T2_jT3_P12ihipStream_tbPNSt15iterator_traitsISE_E10value_typeEPNSK_ISF_E10value_typeEPSG_NS1_7vsmem_tEENKUlT_SE_SF_SG_E_clIS8_S8_S9_S9_EESD_ST_SE_SF_SG_EUlST_E_NS1_11comp_targetILNS1_3genE10ELNS1_11target_archE1201ELNS1_3gpuE5ELNS1_3repE0EEENS1_48merge_mergepath_partition_config_static_selectorELNS0_4arch9wavefront6targetE0EEEvSF_.has_indirect_call, 0
	.section	.AMDGPU.csdata,"",@progbits
; Kernel info:
; codeLenInByte = 0
; TotalNumSgprs: 0
; NumVgprs: 0
; ScratchSize: 0
; MemoryBound: 0
; FloatMode: 240
; IeeeMode: 1
; LDSByteSize: 0 bytes/workgroup (compile time only)
; SGPRBlocks: 0
; VGPRBlocks: 0
; NumSGPRsForWavesPerEU: 1
; NumVGPRsForWavesPerEU: 1
; NamedBarCnt: 0
; Occupancy: 16
; WaveLimiterHint : 0
; COMPUTE_PGM_RSRC2:SCRATCH_EN: 0
; COMPUTE_PGM_RSRC2:USER_SGPR: 2
; COMPUTE_PGM_RSRC2:TRAP_HANDLER: 0
; COMPUTE_PGM_RSRC2:TGID_X_EN: 1
; COMPUTE_PGM_RSRC2:TGID_Y_EN: 0
; COMPUTE_PGM_RSRC2:TGID_Z_EN: 0
; COMPUTE_PGM_RSRC2:TIDIG_COMP_CNT: 0
	.section	.text._ZN7rocprim17ROCPRIM_400000_NS6detail17trampoline_kernelINS0_14default_configENS1_38merge_sort_block_merge_config_selectorImNS0_10empty_typeEEEZZNS1_27merge_sort_block_merge_implIS3_PmPS5_jNS1_19radix_merge_compareILb0ELb1EmNS0_19identity_decomposerEEEEE10hipError_tT0_T1_T2_jT3_P12ihipStream_tbPNSt15iterator_traitsISE_E10value_typeEPNSK_ISF_E10value_typeEPSG_NS1_7vsmem_tEENKUlT_SE_SF_SG_E_clIS8_S8_S9_S9_EESD_ST_SE_SF_SG_EUlST_E_NS1_11comp_targetILNS1_3genE5ELNS1_11target_archE942ELNS1_3gpuE9ELNS1_3repE0EEENS1_48merge_mergepath_partition_config_static_selectorELNS0_4arch9wavefront6targetE0EEEvSF_,"axG",@progbits,_ZN7rocprim17ROCPRIM_400000_NS6detail17trampoline_kernelINS0_14default_configENS1_38merge_sort_block_merge_config_selectorImNS0_10empty_typeEEEZZNS1_27merge_sort_block_merge_implIS3_PmPS5_jNS1_19radix_merge_compareILb0ELb1EmNS0_19identity_decomposerEEEEE10hipError_tT0_T1_T2_jT3_P12ihipStream_tbPNSt15iterator_traitsISE_E10value_typeEPNSK_ISF_E10value_typeEPSG_NS1_7vsmem_tEENKUlT_SE_SF_SG_E_clIS8_S8_S9_S9_EESD_ST_SE_SF_SG_EUlST_E_NS1_11comp_targetILNS1_3genE5ELNS1_11target_archE942ELNS1_3gpuE9ELNS1_3repE0EEENS1_48merge_mergepath_partition_config_static_selectorELNS0_4arch9wavefront6targetE0EEEvSF_,comdat
	.protected	_ZN7rocprim17ROCPRIM_400000_NS6detail17trampoline_kernelINS0_14default_configENS1_38merge_sort_block_merge_config_selectorImNS0_10empty_typeEEEZZNS1_27merge_sort_block_merge_implIS3_PmPS5_jNS1_19radix_merge_compareILb0ELb1EmNS0_19identity_decomposerEEEEE10hipError_tT0_T1_T2_jT3_P12ihipStream_tbPNSt15iterator_traitsISE_E10value_typeEPNSK_ISF_E10value_typeEPSG_NS1_7vsmem_tEENKUlT_SE_SF_SG_E_clIS8_S8_S9_S9_EESD_ST_SE_SF_SG_EUlST_E_NS1_11comp_targetILNS1_3genE5ELNS1_11target_archE942ELNS1_3gpuE9ELNS1_3repE0EEENS1_48merge_mergepath_partition_config_static_selectorELNS0_4arch9wavefront6targetE0EEEvSF_ ; -- Begin function _ZN7rocprim17ROCPRIM_400000_NS6detail17trampoline_kernelINS0_14default_configENS1_38merge_sort_block_merge_config_selectorImNS0_10empty_typeEEEZZNS1_27merge_sort_block_merge_implIS3_PmPS5_jNS1_19radix_merge_compareILb0ELb1EmNS0_19identity_decomposerEEEEE10hipError_tT0_T1_T2_jT3_P12ihipStream_tbPNSt15iterator_traitsISE_E10value_typeEPNSK_ISF_E10value_typeEPSG_NS1_7vsmem_tEENKUlT_SE_SF_SG_E_clIS8_S8_S9_S9_EESD_ST_SE_SF_SG_EUlST_E_NS1_11comp_targetILNS1_3genE5ELNS1_11target_archE942ELNS1_3gpuE9ELNS1_3repE0EEENS1_48merge_mergepath_partition_config_static_selectorELNS0_4arch9wavefront6targetE0EEEvSF_
	.globl	_ZN7rocprim17ROCPRIM_400000_NS6detail17trampoline_kernelINS0_14default_configENS1_38merge_sort_block_merge_config_selectorImNS0_10empty_typeEEEZZNS1_27merge_sort_block_merge_implIS3_PmPS5_jNS1_19radix_merge_compareILb0ELb1EmNS0_19identity_decomposerEEEEE10hipError_tT0_T1_T2_jT3_P12ihipStream_tbPNSt15iterator_traitsISE_E10value_typeEPNSK_ISF_E10value_typeEPSG_NS1_7vsmem_tEENKUlT_SE_SF_SG_E_clIS8_S8_S9_S9_EESD_ST_SE_SF_SG_EUlST_E_NS1_11comp_targetILNS1_3genE5ELNS1_11target_archE942ELNS1_3gpuE9ELNS1_3repE0EEENS1_48merge_mergepath_partition_config_static_selectorELNS0_4arch9wavefront6targetE0EEEvSF_
	.p2align	8
	.type	_ZN7rocprim17ROCPRIM_400000_NS6detail17trampoline_kernelINS0_14default_configENS1_38merge_sort_block_merge_config_selectorImNS0_10empty_typeEEEZZNS1_27merge_sort_block_merge_implIS3_PmPS5_jNS1_19radix_merge_compareILb0ELb1EmNS0_19identity_decomposerEEEEE10hipError_tT0_T1_T2_jT3_P12ihipStream_tbPNSt15iterator_traitsISE_E10value_typeEPNSK_ISF_E10value_typeEPSG_NS1_7vsmem_tEENKUlT_SE_SF_SG_E_clIS8_S8_S9_S9_EESD_ST_SE_SF_SG_EUlST_E_NS1_11comp_targetILNS1_3genE5ELNS1_11target_archE942ELNS1_3gpuE9ELNS1_3repE0EEENS1_48merge_mergepath_partition_config_static_selectorELNS0_4arch9wavefront6targetE0EEEvSF_,@function
_ZN7rocprim17ROCPRIM_400000_NS6detail17trampoline_kernelINS0_14default_configENS1_38merge_sort_block_merge_config_selectorImNS0_10empty_typeEEEZZNS1_27merge_sort_block_merge_implIS3_PmPS5_jNS1_19radix_merge_compareILb0ELb1EmNS0_19identity_decomposerEEEEE10hipError_tT0_T1_T2_jT3_P12ihipStream_tbPNSt15iterator_traitsISE_E10value_typeEPNSK_ISF_E10value_typeEPSG_NS1_7vsmem_tEENKUlT_SE_SF_SG_E_clIS8_S8_S9_S9_EESD_ST_SE_SF_SG_EUlST_E_NS1_11comp_targetILNS1_3genE5ELNS1_11target_archE942ELNS1_3gpuE9ELNS1_3repE0EEENS1_48merge_mergepath_partition_config_static_selectorELNS0_4arch9wavefront6targetE0EEEvSF_: ; @_ZN7rocprim17ROCPRIM_400000_NS6detail17trampoline_kernelINS0_14default_configENS1_38merge_sort_block_merge_config_selectorImNS0_10empty_typeEEEZZNS1_27merge_sort_block_merge_implIS3_PmPS5_jNS1_19radix_merge_compareILb0ELb1EmNS0_19identity_decomposerEEEEE10hipError_tT0_T1_T2_jT3_P12ihipStream_tbPNSt15iterator_traitsISE_E10value_typeEPNSK_ISF_E10value_typeEPSG_NS1_7vsmem_tEENKUlT_SE_SF_SG_E_clIS8_S8_S9_S9_EESD_ST_SE_SF_SG_EUlST_E_NS1_11comp_targetILNS1_3genE5ELNS1_11target_archE942ELNS1_3gpuE9ELNS1_3repE0EEENS1_48merge_mergepath_partition_config_static_selectorELNS0_4arch9wavefront6targetE0EEEvSF_
; %bb.0:
	.section	.rodata,"a",@progbits
	.p2align	6, 0x0
	.amdhsa_kernel _ZN7rocprim17ROCPRIM_400000_NS6detail17trampoline_kernelINS0_14default_configENS1_38merge_sort_block_merge_config_selectorImNS0_10empty_typeEEEZZNS1_27merge_sort_block_merge_implIS3_PmPS5_jNS1_19radix_merge_compareILb0ELb1EmNS0_19identity_decomposerEEEEE10hipError_tT0_T1_T2_jT3_P12ihipStream_tbPNSt15iterator_traitsISE_E10value_typeEPNSK_ISF_E10value_typeEPSG_NS1_7vsmem_tEENKUlT_SE_SF_SG_E_clIS8_S8_S9_S9_EESD_ST_SE_SF_SG_EUlST_E_NS1_11comp_targetILNS1_3genE5ELNS1_11target_archE942ELNS1_3gpuE9ELNS1_3repE0EEENS1_48merge_mergepath_partition_config_static_selectorELNS0_4arch9wavefront6targetE0EEEvSF_
		.amdhsa_group_segment_fixed_size 0
		.amdhsa_private_segment_fixed_size 0
		.amdhsa_kernarg_size 40
		.amdhsa_user_sgpr_count 2
		.amdhsa_user_sgpr_dispatch_ptr 0
		.amdhsa_user_sgpr_queue_ptr 0
		.amdhsa_user_sgpr_kernarg_segment_ptr 1
		.amdhsa_user_sgpr_dispatch_id 0
		.amdhsa_user_sgpr_kernarg_preload_length 0
		.amdhsa_user_sgpr_kernarg_preload_offset 0
		.amdhsa_user_sgpr_private_segment_size 0
		.amdhsa_wavefront_size32 1
		.amdhsa_uses_dynamic_stack 0
		.amdhsa_enable_private_segment 0
		.amdhsa_system_sgpr_workgroup_id_x 1
		.amdhsa_system_sgpr_workgroup_id_y 0
		.amdhsa_system_sgpr_workgroup_id_z 0
		.amdhsa_system_sgpr_workgroup_info 0
		.amdhsa_system_vgpr_workitem_id 0
		.amdhsa_next_free_vgpr 1
		.amdhsa_next_free_sgpr 1
		.amdhsa_named_barrier_count 0
		.amdhsa_reserve_vcc 0
		.amdhsa_float_round_mode_32 0
		.amdhsa_float_round_mode_16_64 0
		.amdhsa_float_denorm_mode_32 3
		.amdhsa_float_denorm_mode_16_64 3
		.amdhsa_fp16_overflow 0
		.amdhsa_memory_ordered 1
		.amdhsa_forward_progress 1
		.amdhsa_inst_pref_size 0
		.amdhsa_round_robin_scheduling 0
		.amdhsa_exception_fp_ieee_invalid_op 0
		.amdhsa_exception_fp_denorm_src 0
		.amdhsa_exception_fp_ieee_div_zero 0
		.amdhsa_exception_fp_ieee_overflow 0
		.amdhsa_exception_fp_ieee_underflow 0
		.amdhsa_exception_fp_ieee_inexact 0
		.amdhsa_exception_int_div_zero 0
	.end_amdhsa_kernel
	.section	.text._ZN7rocprim17ROCPRIM_400000_NS6detail17trampoline_kernelINS0_14default_configENS1_38merge_sort_block_merge_config_selectorImNS0_10empty_typeEEEZZNS1_27merge_sort_block_merge_implIS3_PmPS5_jNS1_19radix_merge_compareILb0ELb1EmNS0_19identity_decomposerEEEEE10hipError_tT0_T1_T2_jT3_P12ihipStream_tbPNSt15iterator_traitsISE_E10value_typeEPNSK_ISF_E10value_typeEPSG_NS1_7vsmem_tEENKUlT_SE_SF_SG_E_clIS8_S8_S9_S9_EESD_ST_SE_SF_SG_EUlST_E_NS1_11comp_targetILNS1_3genE5ELNS1_11target_archE942ELNS1_3gpuE9ELNS1_3repE0EEENS1_48merge_mergepath_partition_config_static_selectorELNS0_4arch9wavefront6targetE0EEEvSF_,"axG",@progbits,_ZN7rocprim17ROCPRIM_400000_NS6detail17trampoline_kernelINS0_14default_configENS1_38merge_sort_block_merge_config_selectorImNS0_10empty_typeEEEZZNS1_27merge_sort_block_merge_implIS3_PmPS5_jNS1_19radix_merge_compareILb0ELb1EmNS0_19identity_decomposerEEEEE10hipError_tT0_T1_T2_jT3_P12ihipStream_tbPNSt15iterator_traitsISE_E10value_typeEPNSK_ISF_E10value_typeEPSG_NS1_7vsmem_tEENKUlT_SE_SF_SG_E_clIS8_S8_S9_S9_EESD_ST_SE_SF_SG_EUlST_E_NS1_11comp_targetILNS1_3genE5ELNS1_11target_archE942ELNS1_3gpuE9ELNS1_3repE0EEENS1_48merge_mergepath_partition_config_static_selectorELNS0_4arch9wavefront6targetE0EEEvSF_,comdat
.Lfunc_end2951:
	.size	_ZN7rocprim17ROCPRIM_400000_NS6detail17trampoline_kernelINS0_14default_configENS1_38merge_sort_block_merge_config_selectorImNS0_10empty_typeEEEZZNS1_27merge_sort_block_merge_implIS3_PmPS5_jNS1_19radix_merge_compareILb0ELb1EmNS0_19identity_decomposerEEEEE10hipError_tT0_T1_T2_jT3_P12ihipStream_tbPNSt15iterator_traitsISE_E10value_typeEPNSK_ISF_E10value_typeEPSG_NS1_7vsmem_tEENKUlT_SE_SF_SG_E_clIS8_S8_S9_S9_EESD_ST_SE_SF_SG_EUlST_E_NS1_11comp_targetILNS1_3genE5ELNS1_11target_archE942ELNS1_3gpuE9ELNS1_3repE0EEENS1_48merge_mergepath_partition_config_static_selectorELNS0_4arch9wavefront6targetE0EEEvSF_, .Lfunc_end2951-_ZN7rocprim17ROCPRIM_400000_NS6detail17trampoline_kernelINS0_14default_configENS1_38merge_sort_block_merge_config_selectorImNS0_10empty_typeEEEZZNS1_27merge_sort_block_merge_implIS3_PmPS5_jNS1_19radix_merge_compareILb0ELb1EmNS0_19identity_decomposerEEEEE10hipError_tT0_T1_T2_jT3_P12ihipStream_tbPNSt15iterator_traitsISE_E10value_typeEPNSK_ISF_E10value_typeEPSG_NS1_7vsmem_tEENKUlT_SE_SF_SG_E_clIS8_S8_S9_S9_EESD_ST_SE_SF_SG_EUlST_E_NS1_11comp_targetILNS1_3genE5ELNS1_11target_archE942ELNS1_3gpuE9ELNS1_3repE0EEENS1_48merge_mergepath_partition_config_static_selectorELNS0_4arch9wavefront6targetE0EEEvSF_
                                        ; -- End function
	.set _ZN7rocprim17ROCPRIM_400000_NS6detail17trampoline_kernelINS0_14default_configENS1_38merge_sort_block_merge_config_selectorImNS0_10empty_typeEEEZZNS1_27merge_sort_block_merge_implIS3_PmPS5_jNS1_19radix_merge_compareILb0ELb1EmNS0_19identity_decomposerEEEEE10hipError_tT0_T1_T2_jT3_P12ihipStream_tbPNSt15iterator_traitsISE_E10value_typeEPNSK_ISF_E10value_typeEPSG_NS1_7vsmem_tEENKUlT_SE_SF_SG_E_clIS8_S8_S9_S9_EESD_ST_SE_SF_SG_EUlST_E_NS1_11comp_targetILNS1_3genE5ELNS1_11target_archE942ELNS1_3gpuE9ELNS1_3repE0EEENS1_48merge_mergepath_partition_config_static_selectorELNS0_4arch9wavefront6targetE0EEEvSF_.num_vgpr, 0
	.set _ZN7rocprim17ROCPRIM_400000_NS6detail17trampoline_kernelINS0_14default_configENS1_38merge_sort_block_merge_config_selectorImNS0_10empty_typeEEEZZNS1_27merge_sort_block_merge_implIS3_PmPS5_jNS1_19radix_merge_compareILb0ELb1EmNS0_19identity_decomposerEEEEE10hipError_tT0_T1_T2_jT3_P12ihipStream_tbPNSt15iterator_traitsISE_E10value_typeEPNSK_ISF_E10value_typeEPSG_NS1_7vsmem_tEENKUlT_SE_SF_SG_E_clIS8_S8_S9_S9_EESD_ST_SE_SF_SG_EUlST_E_NS1_11comp_targetILNS1_3genE5ELNS1_11target_archE942ELNS1_3gpuE9ELNS1_3repE0EEENS1_48merge_mergepath_partition_config_static_selectorELNS0_4arch9wavefront6targetE0EEEvSF_.num_agpr, 0
	.set _ZN7rocprim17ROCPRIM_400000_NS6detail17trampoline_kernelINS0_14default_configENS1_38merge_sort_block_merge_config_selectorImNS0_10empty_typeEEEZZNS1_27merge_sort_block_merge_implIS3_PmPS5_jNS1_19radix_merge_compareILb0ELb1EmNS0_19identity_decomposerEEEEE10hipError_tT0_T1_T2_jT3_P12ihipStream_tbPNSt15iterator_traitsISE_E10value_typeEPNSK_ISF_E10value_typeEPSG_NS1_7vsmem_tEENKUlT_SE_SF_SG_E_clIS8_S8_S9_S9_EESD_ST_SE_SF_SG_EUlST_E_NS1_11comp_targetILNS1_3genE5ELNS1_11target_archE942ELNS1_3gpuE9ELNS1_3repE0EEENS1_48merge_mergepath_partition_config_static_selectorELNS0_4arch9wavefront6targetE0EEEvSF_.numbered_sgpr, 0
	.set _ZN7rocprim17ROCPRIM_400000_NS6detail17trampoline_kernelINS0_14default_configENS1_38merge_sort_block_merge_config_selectorImNS0_10empty_typeEEEZZNS1_27merge_sort_block_merge_implIS3_PmPS5_jNS1_19radix_merge_compareILb0ELb1EmNS0_19identity_decomposerEEEEE10hipError_tT0_T1_T2_jT3_P12ihipStream_tbPNSt15iterator_traitsISE_E10value_typeEPNSK_ISF_E10value_typeEPSG_NS1_7vsmem_tEENKUlT_SE_SF_SG_E_clIS8_S8_S9_S9_EESD_ST_SE_SF_SG_EUlST_E_NS1_11comp_targetILNS1_3genE5ELNS1_11target_archE942ELNS1_3gpuE9ELNS1_3repE0EEENS1_48merge_mergepath_partition_config_static_selectorELNS0_4arch9wavefront6targetE0EEEvSF_.num_named_barrier, 0
	.set _ZN7rocprim17ROCPRIM_400000_NS6detail17trampoline_kernelINS0_14default_configENS1_38merge_sort_block_merge_config_selectorImNS0_10empty_typeEEEZZNS1_27merge_sort_block_merge_implIS3_PmPS5_jNS1_19radix_merge_compareILb0ELb1EmNS0_19identity_decomposerEEEEE10hipError_tT0_T1_T2_jT3_P12ihipStream_tbPNSt15iterator_traitsISE_E10value_typeEPNSK_ISF_E10value_typeEPSG_NS1_7vsmem_tEENKUlT_SE_SF_SG_E_clIS8_S8_S9_S9_EESD_ST_SE_SF_SG_EUlST_E_NS1_11comp_targetILNS1_3genE5ELNS1_11target_archE942ELNS1_3gpuE9ELNS1_3repE0EEENS1_48merge_mergepath_partition_config_static_selectorELNS0_4arch9wavefront6targetE0EEEvSF_.private_seg_size, 0
	.set _ZN7rocprim17ROCPRIM_400000_NS6detail17trampoline_kernelINS0_14default_configENS1_38merge_sort_block_merge_config_selectorImNS0_10empty_typeEEEZZNS1_27merge_sort_block_merge_implIS3_PmPS5_jNS1_19radix_merge_compareILb0ELb1EmNS0_19identity_decomposerEEEEE10hipError_tT0_T1_T2_jT3_P12ihipStream_tbPNSt15iterator_traitsISE_E10value_typeEPNSK_ISF_E10value_typeEPSG_NS1_7vsmem_tEENKUlT_SE_SF_SG_E_clIS8_S8_S9_S9_EESD_ST_SE_SF_SG_EUlST_E_NS1_11comp_targetILNS1_3genE5ELNS1_11target_archE942ELNS1_3gpuE9ELNS1_3repE0EEENS1_48merge_mergepath_partition_config_static_selectorELNS0_4arch9wavefront6targetE0EEEvSF_.uses_vcc, 0
	.set _ZN7rocprim17ROCPRIM_400000_NS6detail17trampoline_kernelINS0_14default_configENS1_38merge_sort_block_merge_config_selectorImNS0_10empty_typeEEEZZNS1_27merge_sort_block_merge_implIS3_PmPS5_jNS1_19radix_merge_compareILb0ELb1EmNS0_19identity_decomposerEEEEE10hipError_tT0_T1_T2_jT3_P12ihipStream_tbPNSt15iterator_traitsISE_E10value_typeEPNSK_ISF_E10value_typeEPSG_NS1_7vsmem_tEENKUlT_SE_SF_SG_E_clIS8_S8_S9_S9_EESD_ST_SE_SF_SG_EUlST_E_NS1_11comp_targetILNS1_3genE5ELNS1_11target_archE942ELNS1_3gpuE9ELNS1_3repE0EEENS1_48merge_mergepath_partition_config_static_selectorELNS0_4arch9wavefront6targetE0EEEvSF_.uses_flat_scratch, 0
	.set _ZN7rocprim17ROCPRIM_400000_NS6detail17trampoline_kernelINS0_14default_configENS1_38merge_sort_block_merge_config_selectorImNS0_10empty_typeEEEZZNS1_27merge_sort_block_merge_implIS3_PmPS5_jNS1_19radix_merge_compareILb0ELb1EmNS0_19identity_decomposerEEEEE10hipError_tT0_T1_T2_jT3_P12ihipStream_tbPNSt15iterator_traitsISE_E10value_typeEPNSK_ISF_E10value_typeEPSG_NS1_7vsmem_tEENKUlT_SE_SF_SG_E_clIS8_S8_S9_S9_EESD_ST_SE_SF_SG_EUlST_E_NS1_11comp_targetILNS1_3genE5ELNS1_11target_archE942ELNS1_3gpuE9ELNS1_3repE0EEENS1_48merge_mergepath_partition_config_static_selectorELNS0_4arch9wavefront6targetE0EEEvSF_.has_dyn_sized_stack, 0
	.set _ZN7rocprim17ROCPRIM_400000_NS6detail17trampoline_kernelINS0_14default_configENS1_38merge_sort_block_merge_config_selectorImNS0_10empty_typeEEEZZNS1_27merge_sort_block_merge_implIS3_PmPS5_jNS1_19radix_merge_compareILb0ELb1EmNS0_19identity_decomposerEEEEE10hipError_tT0_T1_T2_jT3_P12ihipStream_tbPNSt15iterator_traitsISE_E10value_typeEPNSK_ISF_E10value_typeEPSG_NS1_7vsmem_tEENKUlT_SE_SF_SG_E_clIS8_S8_S9_S9_EESD_ST_SE_SF_SG_EUlST_E_NS1_11comp_targetILNS1_3genE5ELNS1_11target_archE942ELNS1_3gpuE9ELNS1_3repE0EEENS1_48merge_mergepath_partition_config_static_selectorELNS0_4arch9wavefront6targetE0EEEvSF_.has_recursion, 0
	.set _ZN7rocprim17ROCPRIM_400000_NS6detail17trampoline_kernelINS0_14default_configENS1_38merge_sort_block_merge_config_selectorImNS0_10empty_typeEEEZZNS1_27merge_sort_block_merge_implIS3_PmPS5_jNS1_19radix_merge_compareILb0ELb1EmNS0_19identity_decomposerEEEEE10hipError_tT0_T1_T2_jT3_P12ihipStream_tbPNSt15iterator_traitsISE_E10value_typeEPNSK_ISF_E10value_typeEPSG_NS1_7vsmem_tEENKUlT_SE_SF_SG_E_clIS8_S8_S9_S9_EESD_ST_SE_SF_SG_EUlST_E_NS1_11comp_targetILNS1_3genE5ELNS1_11target_archE942ELNS1_3gpuE9ELNS1_3repE0EEENS1_48merge_mergepath_partition_config_static_selectorELNS0_4arch9wavefront6targetE0EEEvSF_.has_indirect_call, 0
	.section	.AMDGPU.csdata,"",@progbits
; Kernel info:
; codeLenInByte = 0
; TotalNumSgprs: 0
; NumVgprs: 0
; ScratchSize: 0
; MemoryBound: 0
; FloatMode: 240
; IeeeMode: 1
; LDSByteSize: 0 bytes/workgroup (compile time only)
; SGPRBlocks: 0
; VGPRBlocks: 0
; NumSGPRsForWavesPerEU: 1
; NumVGPRsForWavesPerEU: 1
; NamedBarCnt: 0
; Occupancy: 16
; WaveLimiterHint : 0
; COMPUTE_PGM_RSRC2:SCRATCH_EN: 0
; COMPUTE_PGM_RSRC2:USER_SGPR: 2
; COMPUTE_PGM_RSRC2:TRAP_HANDLER: 0
; COMPUTE_PGM_RSRC2:TGID_X_EN: 1
; COMPUTE_PGM_RSRC2:TGID_Y_EN: 0
; COMPUTE_PGM_RSRC2:TGID_Z_EN: 0
; COMPUTE_PGM_RSRC2:TIDIG_COMP_CNT: 0
	.section	.text._ZN7rocprim17ROCPRIM_400000_NS6detail17trampoline_kernelINS0_14default_configENS1_38merge_sort_block_merge_config_selectorImNS0_10empty_typeEEEZZNS1_27merge_sort_block_merge_implIS3_PmPS5_jNS1_19radix_merge_compareILb0ELb1EmNS0_19identity_decomposerEEEEE10hipError_tT0_T1_T2_jT3_P12ihipStream_tbPNSt15iterator_traitsISE_E10value_typeEPNSK_ISF_E10value_typeEPSG_NS1_7vsmem_tEENKUlT_SE_SF_SG_E_clIS8_S8_S9_S9_EESD_ST_SE_SF_SG_EUlST_E_NS1_11comp_targetILNS1_3genE4ELNS1_11target_archE910ELNS1_3gpuE8ELNS1_3repE0EEENS1_48merge_mergepath_partition_config_static_selectorELNS0_4arch9wavefront6targetE0EEEvSF_,"axG",@progbits,_ZN7rocprim17ROCPRIM_400000_NS6detail17trampoline_kernelINS0_14default_configENS1_38merge_sort_block_merge_config_selectorImNS0_10empty_typeEEEZZNS1_27merge_sort_block_merge_implIS3_PmPS5_jNS1_19radix_merge_compareILb0ELb1EmNS0_19identity_decomposerEEEEE10hipError_tT0_T1_T2_jT3_P12ihipStream_tbPNSt15iterator_traitsISE_E10value_typeEPNSK_ISF_E10value_typeEPSG_NS1_7vsmem_tEENKUlT_SE_SF_SG_E_clIS8_S8_S9_S9_EESD_ST_SE_SF_SG_EUlST_E_NS1_11comp_targetILNS1_3genE4ELNS1_11target_archE910ELNS1_3gpuE8ELNS1_3repE0EEENS1_48merge_mergepath_partition_config_static_selectorELNS0_4arch9wavefront6targetE0EEEvSF_,comdat
	.protected	_ZN7rocprim17ROCPRIM_400000_NS6detail17trampoline_kernelINS0_14default_configENS1_38merge_sort_block_merge_config_selectorImNS0_10empty_typeEEEZZNS1_27merge_sort_block_merge_implIS3_PmPS5_jNS1_19radix_merge_compareILb0ELb1EmNS0_19identity_decomposerEEEEE10hipError_tT0_T1_T2_jT3_P12ihipStream_tbPNSt15iterator_traitsISE_E10value_typeEPNSK_ISF_E10value_typeEPSG_NS1_7vsmem_tEENKUlT_SE_SF_SG_E_clIS8_S8_S9_S9_EESD_ST_SE_SF_SG_EUlST_E_NS1_11comp_targetILNS1_3genE4ELNS1_11target_archE910ELNS1_3gpuE8ELNS1_3repE0EEENS1_48merge_mergepath_partition_config_static_selectorELNS0_4arch9wavefront6targetE0EEEvSF_ ; -- Begin function _ZN7rocprim17ROCPRIM_400000_NS6detail17trampoline_kernelINS0_14default_configENS1_38merge_sort_block_merge_config_selectorImNS0_10empty_typeEEEZZNS1_27merge_sort_block_merge_implIS3_PmPS5_jNS1_19radix_merge_compareILb0ELb1EmNS0_19identity_decomposerEEEEE10hipError_tT0_T1_T2_jT3_P12ihipStream_tbPNSt15iterator_traitsISE_E10value_typeEPNSK_ISF_E10value_typeEPSG_NS1_7vsmem_tEENKUlT_SE_SF_SG_E_clIS8_S8_S9_S9_EESD_ST_SE_SF_SG_EUlST_E_NS1_11comp_targetILNS1_3genE4ELNS1_11target_archE910ELNS1_3gpuE8ELNS1_3repE0EEENS1_48merge_mergepath_partition_config_static_selectorELNS0_4arch9wavefront6targetE0EEEvSF_
	.globl	_ZN7rocprim17ROCPRIM_400000_NS6detail17trampoline_kernelINS0_14default_configENS1_38merge_sort_block_merge_config_selectorImNS0_10empty_typeEEEZZNS1_27merge_sort_block_merge_implIS3_PmPS5_jNS1_19radix_merge_compareILb0ELb1EmNS0_19identity_decomposerEEEEE10hipError_tT0_T1_T2_jT3_P12ihipStream_tbPNSt15iterator_traitsISE_E10value_typeEPNSK_ISF_E10value_typeEPSG_NS1_7vsmem_tEENKUlT_SE_SF_SG_E_clIS8_S8_S9_S9_EESD_ST_SE_SF_SG_EUlST_E_NS1_11comp_targetILNS1_3genE4ELNS1_11target_archE910ELNS1_3gpuE8ELNS1_3repE0EEENS1_48merge_mergepath_partition_config_static_selectorELNS0_4arch9wavefront6targetE0EEEvSF_
	.p2align	8
	.type	_ZN7rocprim17ROCPRIM_400000_NS6detail17trampoline_kernelINS0_14default_configENS1_38merge_sort_block_merge_config_selectorImNS0_10empty_typeEEEZZNS1_27merge_sort_block_merge_implIS3_PmPS5_jNS1_19radix_merge_compareILb0ELb1EmNS0_19identity_decomposerEEEEE10hipError_tT0_T1_T2_jT3_P12ihipStream_tbPNSt15iterator_traitsISE_E10value_typeEPNSK_ISF_E10value_typeEPSG_NS1_7vsmem_tEENKUlT_SE_SF_SG_E_clIS8_S8_S9_S9_EESD_ST_SE_SF_SG_EUlST_E_NS1_11comp_targetILNS1_3genE4ELNS1_11target_archE910ELNS1_3gpuE8ELNS1_3repE0EEENS1_48merge_mergepath_partition_config_static_selectorELNS0_4arch9wavefront6targetE0EEEvSF_,@function
_ZN7rocprim17ROCPRIM_400000_NS6detail17trampoline_kernelINS0_14default_configENS1_38merge_sort_block_merge_config_selectorImNS0_10empty_typeEEEZZNS1_27merge_sort_block_merge_implIS3_PmPS5_jNS1_19radix_merge_compareILb0ELb1EmNS0_19identity_decomposerEEEEE10hipError_tT0_T1_T2_jT3_P12ihipStream_tbPNSt15iterator_traitsISE_E10value_typeEPNSK_ISF_E10value_typeEPSG_NS1_7vsmem_tEENKUlT_SE_SF_SG_E_clIS8_S8_S9_S9_EESD_ST_SE_SF_SG_EUlST_E_NS1_11comp_targetILNS1_3genE4ELNS1_11target_archE910ELNS1_3gpuE8ELNS1_3repE0EEENS1_48merge_mergepath_partition_config_static_selectorELNS0_4arch9wavefront6targetE0EEEvSF_: ; @_ZN7rocprim17ROCPRIM_400000_NS6detail17trampoline_kernelINS0_14default_configENS1_38merge_sort_block_merge_config_selectorImNS0_10empty_typeEEEZZNS1_27merge_sort_block_merge_implIS3_PmPS5_jNS1_19radix_merge_compareILb0ELb1EmNS0_19identity_decomposerEEEEE10hipError_tT0_T1_T2_jT3_P12ihipStream_tbPNSt15iterator_traitsISE_E10value_typeEPNSK_ISF_E10value_typeEPSG_NS1_7vsmem_tEENKUlT_SE_SF_SG_E_clIS8_S8_S9_S9_EESD_ST_SE_SF_SG_EUlST_E_NS1_11comp_targetILNS1_3genE4ELNS1_11target_archE910ELNS1_3gpuE8ELNS1_3repE0EEENS1_48merge_mergepath_partition_config_static_selectorELNS0_4arch9wavefront6targetE0EEEvSF_
; %bb.0:
	.section	.rodata,"a",@progbits
	.p2align	6, 0x0
	.amdhsa_kernel _ZN7rocprim17ROCPRIM_400000_NS6detail17trampoline_kernelINS0_14default_configENS1_38merge_sort_block_merge_config_selectorImNS0_10empty_typeEEEZZNS1_27merge_sort_block_merge_implIS3_PmPS5_jNS1_19radix_merge_compareILb0ELb1EmNS0_19identity_decomposerEEEEE10hipError_tT0_T1_T2_jT3_P12ihipStream_tbPNSt15iterator_traitsISE_E10value_typeEPNSK_ISF_E10value_typeEPSG_NS1_7vsmem_tEENKUlT_SE_SF_SG_E_clIS8_S8_S9_S9_EESD_ST_SE_SF_SG_EUlST_E_NS1_11comp_targetILNS1_3genE4ELNS1_11target_archE910ELNS1_3gpuE8ELNS1_3repE0EEENS1_48merge_mergepath_partition_config_static_selectorELNS0_4arch9wavefront6targetE0EEEvSF_
		.amdhsa_group_segment_fixed_size 0
		.amdhsa_private_segment_fixed_size 0
		.amdhsa_kernarg_size 40
		.amdhsa_user_sgpr_count 2
		.amdhsa_user_sgpr_dispatch_ptr 0
		.amdhsa_user_sgpr_queue_ptr 0
		.amdhsa_user_sgpr_kernarg_segment_ptr 1
		.amdhsa_user_sgpr_dispatch_id 0
		.amdhsa_user_sgpr_kernarg_preload_length 0
		.amdhsa_user_sgpr_kernarg_preload_offset 0
		.amdhsa_user_sgpr_private_segment_size 0
		.amdhsa_wavefront_size32 1
		.amdhsa_uses_dynamic_stack 0
		.amdhsa_enable_private_segment 0
		.amdhsa_system_sgpr_workgroup_id_x 1
		.amdhsa_system_sgpr_workgroup_id_y 0
		.amdhsa_system_sgpr_workgroup_id_z 0
		.amdhsa_system_sgpr_workgroup_info 0
		.amdhsa_system_vgpr_workitem_id 0
		.amdhsa_next_free_vgpr 1
		.amdhsa_next_free_sgpr 1
		.amdhsa_named_barrier_count 0
		.amdhsa_reserve_vcc 0
		.amdhsa_float_round_mode_32 0
		.amdhsa_float_round_mode_16_64 0
		.amdhsa_float_denorm_mode_32 3
		.amdhsa_float_denorm_mode_16_64 3
		.amdhsa_fp16_overflow 0
		.amdhsa_memory_ordered 1
		.amdhsa_forward_progress 1
		.amdhsa_inst_pref_size 0
		.amdhsa_round_robin_scheduling 0
		.amdhsa_exception_fp_ieee_invalid_op 0
		.amdhsa_exception_fp_denorm_src 0
		.amdhsa_exception_fp_ieee_div_zero 0
		.amdhsa_exception_fp_ieee_overflow 0
		.amdhsa_exception_fp_ieee_underflow 0
		.amdhsa_exception_fp_ieee_inexact 0
		.amdhsa_exception_int_div_zero 0
	.end_amdhsa_kernel
	.section	.text._ZN7rocprim17ROCPRIM_400000_NS6detail17trampoline_kernelINS0_14default_configENS1_38merge_sort_block_merge_config_selectorImNS0_10empty_typeEEEZZNS1_27merge_sort_block_merge_implIS3_PmPS5_jNS1_19radix_merge_compareILb0ELb1EmNS0_19identity_decomposerEEEEE10hipError_tT0_T1_T2_jT3_P12ihipStream_tbPNSt15iterator_traitsISE_E10value_typeEPNSK_ISF_E10value_typeEPSG_NS1_7vsmem_tEENKUlT_SE_SF_SG_E_clIS8_S8_S9_S9_EESD_ST_SE_SF_SG_EUlST_E_NS1_11comp_targetILNS1_3genE4ELNS1_11target_archE910ELNS1_3gpuE8ELNS1_3repE0EEENS1_48merge_mergepath_partition_config_static_selectorELNS0_4arch9wavefront6targetE0EEEvSF_,"axG",@progbits,_ZN7rocprim17ROCPRIM_400000_NS6detail17trampoline_kernelINS0_14default_configENS1_38merge_sort_block_merge_config_selectorImNS0_10empty_typeEEEZZNS1_27merge_sort_block_merge_implIS3_PmPS5_jNS1_19radix_merge_compareILb0ELb1EmNS0_19identity_decomposerEEEEE10hipError_tT0_T1_T2_jT3_P12ihipStream_tbPNSt15iterator_traitsISE_E10value_typeEPNSK_ISF_E10value_typeEPSG_NS1_7vsmem_tEENKUlT_SE_SF_SG_E_clIS8_S8_S9_S9_EESD_ST_SE_SF_SG_EUlST_E_NS1_11comp_targetILNS1_3genE4ELNS1_11target_archE910ELNS1_3gpuE8ELNS1_3repE0EEENS1_48merge_mergepath_partition_config_static_selectorELNS0_4arch9wavefront6targetE0EEEvSF_,comdat
.Lfunc_end2952:
	.size	_ZN7rocprim17ROCPRIM_400000_NS6detail17trampoline_kernelINS0_14default_configENS1_38merge_sort_block_merge_config_selectorImNS0_10empty_typeEEEZZNS1_27merge_sort_block_merge_implIS3_PmPS5_jNS1_19radix_merge_compareILb0ELb1EmNS0_19identity_decomposerEEEEE10hipError_tT0_T1_T2_jT3_P12ihipStream_tbPNSt15iterator_traitsISE_E10value_typeEPNSK_ISF_E10value_typeEPSG_NS1_7vsmem_tEENKUlT_SE_SF_SG_E_clIS8_S8_S9_S9_EESD_ST_SE_SF_SG_EUlST_E_NS1_11comp_targetILNS1_3genE4ELNS1_11target_archE910ELNS1_3gpuE8ELNS1_3repE0EEENS1_48merge_mergepath_partition_config_static_selectorELNS0_4arch9wavefront6targetE0EEEvSF_, .Lfunc_end2952-_ZN7rocprim17ROCPRIM_400000_NS6detail17trampoline_kernelINS0_14default_configENS1_38merge_sort_block_merge_config_selectorImNS0_10empty_typeEEEZZNS1_27merge_sort_block_merge_implIS3_PmPS5_jNS1_19radix_merge_compareILb0ELb1EmNS0_19identity_decomposerEEEEE10hipError_tT0_T1_T2_jT3_P12ihipStream_tbPNSt15iterator_traitsISE_E10value_typeEPNSK_ISF_E10value_typeEPSG_NS1_7vsmem_tEENKUlT_SE_SF_SG_E_clIS8_S8_S9_S9_EESD_ST_SE_SF_SG_EUlST_E_NS1_11comp_targetILNS1_3genE4ELNS1_11target_archE910ELNS1_3gpuE8ELNS1_3repE0EEENS1_48merge_mergepath_partition_config_static_selectorELNS0_4arch9wavefront6targetE0EEEvSF_
                                        ; -- End function
	.set _ZN7rocprim17ROCPRIM_400000_NS6detail17trampoline_kernelINS0_14default_configENS1_38merge_sort_block_merge_config_selectorImNS0_10empty_typeEEEZZNS1_27merge_sort_block_merge_implIS3_PmPS5_jNS1_19radix_merge_compareILb0ELb1EmNS0_19identity_decomposerEEEEE10hipError_tT0_T1_T2_jT3_P12ihipStream_tbPNSt15iterator_traitsISE_E10value_typeEPNSK_ISF_E10value_typeEPSG_NS1_7vsmem_tEENKUlT_SE_SF_SG_E_clIS8_S8_S9_S9_EESD_ST_SE_SF_SG_EUlST_E_NS1_11comp_targetILNS1_3genE4ELNS1_11target_archE910ELNS1_3gpuE8ELNS1_3repE0EEENS1_48merge_mergepath_partition_config_static_selectorELNS0_4arch9wavefront6targetE0EEEvSF_.num_vgpr, 0
	.set _ZN7rocprim17ROCPRIM_400000_NS6detail17trampoline_kernelINS0_14default_configENS1_38merge_sort_block_merge_config_selectorImNS0_10empty_typeEEEZZNS1_27merge_sort_block_merge_implIS3_PmPS5_jNS1_19radix_merge_compareILb0ELb1EmNS0_19identity_decomposerEEEEE10hipError_tT0_T1_T2_jT3_P12ihipStream_tbPNSt15iterator_traitsISE_E10value_typeEPNSK_ISF_E10value_typeEPSG_NS1_7vsmem_tEENKUlT_SE_SF_SG_E_clIS8_S8_S9_S9_EESD_ST_SE_SF_SG_EUlST_E_NS1_11comp_targetILNS1_3genE4ELNS1_11target_archE910ELNS1_3gpuE8ELNS1_3repE0EEENS1_48merge_mergepath_partition_config_static_selectorELNS0_4arch9wavefront6targetE0EEEvSF_.num_agpr, 0
	.set _ZN7rocprim17ROCPRIM_400000_NS6detail17trampoline_kernelINS0_14default_configENS1_38merge_sort_block_merge_config_selectorImNS0_10empty_typeEEEZZNS1_27merge_sort_block_merge_implIS3_PmPS5_jNS1_19radix_merge_compareILb0ELb1EmNS0_19identity_decomposerEEEEE10hipError_tT0_T1_T2_jT3_P12ihipStream_tbPNSt15iterator_traitsISE_E10value_typeEPNSK_ISF_E10value_typeEPSG_NS1_7vsmem_tEENKUlT_SE_SF_SG_E_clIS8_S8_S9_S9_EESD_ST_SE_SF_SG_EUlST_E_NS1_11comp_targetILNS1_3genE4ELNS1_11target_archE910ELNS1_3gpuE8ELNS1_3repE0EEENS1_48merge_mergepath_partition_config_static_selectorELNS0_4arch9wavefront6targetE0EEEvSF_.numbered_sgpr, 0
	.set _ZN7rocprim17ROCPRIM_400000_NS6detail17trampoline_kernelINS0_14default_configENS1_38merge_sort_block_merge_config_selectorImNS0_10empty_typeEEEZZNS1_27merge_sort_block_merge_implIS3_PmPS5_jNS1_19radix_merge_compareILb0ELb1EmNS0_19identity_decomposerEEEEE10hipError_tT0_T1_T2_jT3_P12ihipStream_tbPNSt15iterator_traitsISE_E10value_typeEPNSK_ISF_E10value_typeEPSG_NS1_7vsmem_tEENKUlT_SE_SF_SG_E_clIS8_S8_S9_S9_EESD_ST_SE_SF_SG_EUlST_E_NS1_11comp_targetILNS1_3genE4ELNS1_11target_archE910ELNS1_3gpuE8ELNS1_3repE0EEENS1_48merge_mergepath_partition_config_static_selectorELNS0_4arch9wavefront6targetE0EEEvSF_.num_named_barrier, 0
	.set _ZN7rocprim17ROCPRIM_400000_NS6detail17trampoline_kernelINS0_14default_configENS1_38merge_sort_block_merge_config_selectorImNS0_10empty_typeEEEZZNS1_27merge_sort_block_merge_implIS3_PmPS5_jNS1_19radix_merge_compareILb0ELb1EmNS0_19identity_decomposerEEEEE10hipError_tT0_T1_T2_jT3_P12ihipStream_tbPNSt15iterator_traitsISE_E10value_typeEPNSK_ISF_E10value_typeEPSG_NS1_7vsmem_tEENKUlT_SE_SF_SG_E_clIS8_S8_S9_S9_EESD_ST_SE_SF_SG_EUlST_E_NS1_11comp_targetILNS1_3genE4ELNS1_11target_archE910ELNS1_3gpuE8ELNS1_3repE0EEENS1_48merge_mergepath_partition_config_static_selectorELNS0_4arch9wavefront6targetE0EEEvSF_.private_seg_size, 0
	.set _ZN7rocprim17ROCPRIM_400000_NS6detail17trampoline_kernelINS0_14default_configENS1_38merge_sort_block_merge_config_selectorImNS0_10empty_typeEEEZZNS1_27merge_sort_block_merge_implIS3_PmPS5_jNS1_19radix_merge_compareILb0ELb1EmNS0_19identity_decomposerEEEEE10hipError_tT0_T1_T2_jT3_P12ihipStream_tbPNSt15iterator_traitsISE_E10value_typeEPNSK_ISF_E10value_typeEPSG_NS1_7vsmem_tEENKUlT_SE_SF_SG_E_clIS8_S8_S9_S9_EESD_ST_SE_SF_SG_EUlST_E_NS1_11comp_targetILNS1_3genE4ELNS1_11target_archE910ELNS1_3gpuE8ELNS1_3repE0EEENS1_48merge_mergepath_partition_config_static_selectorELNS0_4arch9wavefront6targetE0EEEvSF_.uses_vcc, 0
	.set _ZN7rocprim17ROCPRIM_400000_NS6detail17trampoline_kernelINS0_14default_configENS1_38merge_sort_block_merge_config_selectorImNS0_10empty_typeEEEZZNS1_27merge_sort_block_merge_implIS3_PmPS5_jNS1_19radix_merge_compareILb0ELb1EmNS0_19identity_decomposerEEEEE10hipError_tT0_T1_T2_jT3_P12ihipStream_tbPNSt15iterator_traitsISE_E10value_typeEPNSK_ISF_E10value_typeEPSG_NS1_7vsmem_tEENKUlT_SE_SF_SG_E_clIS8_S8_S9_S9_EESD_ST_SE_SF_SG_EUlST_E_NS1_11comp_targetILNS1_3genE4ELNS1_11target_archE910ELNS1_3gpuE8ELNS1_3repE0EEENS1_48merge_mergepath_partition_config_static_selectorELNS0_4arch9wavefront6targetE0EEEvSF_.uses_flat_scratch, 0
	.set _ZN7rocprim17ROCPRIM_400000_NS6detail17trampoline_kernelINS0_14default_configENS1_38merge_sort_block_merge_config_selectorImNS0_10empty_typeEEEZZNS1_27merge_sort_block_merge_implIS3_PmPS5_jNS1_19radix_merge_compareILb0ELb1EmNS0_19identity_decomposerEEEEE10hipError_tT0_T1_T2_jT3_P12ihipStream_tbPNSt15iterator_traitsISE_E10value_typeEPNSK_ISF_E10value_typeEPSG_NS1_7vsmem_tEENKUlT_SE_SF_SG_E_clIS8_S8_S9_S9_EESD_ST_SE_SF_SG_EUlST_E_NS1_11comp_targetILNS1_3genE4ELNS1_11target_archE910ELNS1_3gpuE8ELNS1_3repE0EEENS1_48merge_mergepath_partition_config_static_selectorELNS0_4arch9wavefront6targetE0EEEvSF_.has_dyn_sized_stack, 0
	.set _ZN7rocprim17ROCPRIM_400000_NS6detail17trampoline_kernelINS0_14default_configENS1_38merge_sort_block_merge_config_selectorImNS0_10empty_typeEEEZZNS1_27merge_sort_block_merge_implIS3_PmPS5_jNS1_19radix_merge_compareILb0ELb1EmNS0_19identity_decomposerEEEEE10hipError_tT0_T1_T2_jT3_P12ihipStream_tbPNSt15iterator_traitsISE_E10value_typeEPNSK_ISF_E10value_typeEPSG_NS1_7vsmem_tEENKUlT_SE_SF_SG_E_clIS8_S8_S9_S9_EESD_ST_SE_SF_SG_EUlST_E_NS1_11comp_targetILNS1_3genE4ELNS1_11target_archE910ELNS1_3gpuE8ELNS1_3repE0EEENS1_48merge_mergepath_partition_config_static_selectorELNS0_4arch9wavefront6targetE0EEEvSF_.has_recursion, 0
	.set _ZN7rocprim17ROCPRIM_400000_NS6detail17trampoline_kernelINS0_14default_configENS1_38merge_sort_block_merge_config_selectorImNS0_10empty_typeEEEZZNS1_27merge_sort_block_merge_implIS3_PmPS5_jNS1_19radix_merge_compareILb0ELb1EmNS0_19identity_decomposerEEEEE10hipError_tT0_T1_T2_jT3_P12ihipStream_tbPNSt15iterator_traitsISE_E10value_typeEPNSK_ISF_E10value_typeEPSG_NS1_7vsmem_tEENKUlT_SE_SF_SG_E_clIS8_S8_S9_S9_EESD_ST_SE_SF_SG_EUlST_E_NS1_11comp_targetILNS1_3genE4ELNS1_11target_archE910ELNS1_3gpuE8ELNS1_3repE0EEENS1_48merge_mergepath_partition_config_static_selectorELNS0_4arch9wavefront6targetE0EEEvSF_.has_indirect_call, 0
	.section	.AMDGPU.csdata,"",@progbits
; Kernel info:
; codeLenInByte = 0
; TotalNumSgprs: 0
; NumVgprs: 0
; ScratchSize: 0
; MemoryBound: 0
; FloatMode: 240
; IeeeMode: 1
; LDSByteSize: 0 bytes/workgroup (compile time only)
; SGPRBlocks: 0
; VGPRBlocks: 0
; NumSGPRsForWavesPerEU: 1
; NumVGPRsForWavesPerEU: 1
; NamedBarCnt: 0
; Occupancy: 16
; WaveLimiterHint : 0
; COMPUTE_PGM_RSRC2:SCRATCH_EN: 0
; COMPUTE_PGM_RSRC2:USER_SGPR: 2
; COMPUTE_PGM_RSRC2:TRAP_HANDLER: 0
; COMPUTE_PGM_RSRC2:TGID_X_EN: 1
; COMPUTE_PGM_RSRC2:TGID_Y_EN: 0
; COMPUTE_PGM_RSRC2:TGID_Z_EN: 0
; COMPUTE_PGM_RSRC2:TIDIG_COMP_CNT: 0
	.section	.text._ZN7rocprim17ROCPRIM_400000_NS6detail17trampoline_kernelINS0_14default_configENS1_38merge_sort_block_merge_config_selectorImNS0_10empty_typeEEEZZNS1_27merge_sort_block_merge_implIS3_PmPS5_jNS1_19radix_merge_compareILb0ELb1EmNS0_19identity_decomposerEEEEE10hipError_tT0_T1_T2_jT3_P12ihipStream_tbPNSt15iterator_traitsISE_E10value_typeEPNSK_ISF_E10value_typeEPSG_NS1_7vsmem_tEENKUlT_SE_SF_SG_E_clIS8_S8_S9_S9_EESD_ST_SE_SF_SG_EUlST_E_NS1_11comp_targetILNS1_3genE3ELNS1_11target_archE908ELNS1_3gpuE7ELNS1_3repE0EEENS1_48merge_mergepath_partition_config_static_selectorELNS0_4arch9wavefront6targetE0EEEvSF_,"axG",@progbits,_ZN7rocprim17ROCPRIM_400000_NS6detail17trampoline_kernelINS0_14default_configENS1_38merge_sort_block_merge_config_selectorImNS0_10empty_typeEEEZZNS1_27merge_sort_block_merge_implIS3_PmPS5_jNS1_19radix_merge_compareILb0ELb1EmNS0_19identity_decomposerEEEEE10hipError_tT0_T1_T2_jT3_P12ihipStream_tbPNSt15iterator_traitsISE_E10value_typeEPNSK_ISF_E10value_typeEPSG_NS1_7vsmem_tEENKUlT_SE_SF_SG_E_clIS8_S8_S9_S9_EESD_ST_SE_SF_SG_EUlST_E_NS1_11comp_targetILNS1_3genE3ELNS1_11target_archE908ELNS1_3gpuE7ELNS1_3repE0EEENS1_48merge_mergepath_partition_config_static_selectorELNS0_4arch9wavefront6targetE0EEEvSF_,comdat
	.protected	_ZN7rocprim17ROCPRIM_400000_NS6detail17trampoline_kernelINS0_14default_configENS1_38merge_sort_block_merge_config_selectorImNS0_10empty_typeEEEZZNS1_27merge_sort_block_merge_implIS3_PmPS5_jNS1_19radix_merge_compareILb0ELb1EmNS0_19identity_decomposerEEEEE10hipError_tT0_T1_T2_jT3_P12ihipStream_tbPNSt15iterator_traitsISE_E10value_typeEPNSK_ISF_E10value_typeEPSG_NS1_7vsmem_tEENKUlT_SE_SF_SG_E_clIS8_S8_S9_S9_EESD_ST_SE_SF_SG_EUlST_E_NS1_11comp_targetILNS1_3genE3ELNS1_11target_archE908ELNS1_3gpuE7ELNS1_3repE0EEENS1_48merge_mergepath_partition_config_static_selectorELNS0_4arch9wavefront6targetE0EEEvSF_ ; -- Begin function _ZN7rocprim17ROCPRIM_400000_NS6detail17trampoline_kernelINS0_14default_configENS1_38merge_sort_block_merge_config_selectorImNS0_10empty_typeEEEZZNS1_27merge_sort_block_merge_implIS3_PmPS5_jNS1_19radix_merge_compareILb0ELb1EmNS0_19identity_decomposerEEEEE10hipError_tT0_T1_T2_jT3_P12ihipStream_tbPNSt15iterator_traitsISE_E10value_typeEPNSK_ISF_E10value_typeEPSG_NS1_7vsmem_tEENKUlT_SE_SF_SG_E_clIS8_S8_S9_S9_EESD_ST_SE_SF_SG_EUlST_E_NS1_11comp_targetILNS1_3genE3ELNS1_11target_archE908ELNS1_3gpuE7ELNS1_3repE0EEENS1_48merge_mergepath_partition_config_static_selectorELNS0_4arch9wavefront6targetE0EEEvSF_
	.globl	_ZN7rocprim17ROCPRIM_400000_NS6detail17trampoline_kernelINS0_14default_configENS1_38merge_sort_block_merge_config_selectorImNS0_10empty_typeEEEZZNS1_27merge_sort_block_merge_implIS3_PmPS5_jNS1_19radix_merge_compareILb0ELb1EmNS0_19identity_decomposerEEEEE10hipError_tT0_T1_T2_jT3_P12ihipStream_tbPNSt15iterator_traitsISE_E10value_typeEPNSK_ISF_E10value_typeEPSG_NS1_7vsmem_tEENKUlT_SE_SF_SG_E_clIS8_S8_S9_S9_EESD_ST_SE_SF_SG_EUlST_E_NS1_11comp_targetILNS1_3genE3ELNS1_11target_archE908ELNS1_3gpuE7ELNS1_3repE0EEENS1_48merge_mergepath_partition_config_static_selectorELNS0_4arch9wavefront6targetE0EEEvSF_
	.p2align	8
	.type	_ZN7rocprim17ROCPRIM_400000_NS6detail17trampoline_kernelINS0_14default_configENS1_38merge_sort_block_merge_config_selectorImNS0_10empty_typeEEEZZNS1_27merge_sort_block_merge_implIS3_PmPS5_jNS1_19radix_merge_compareILb0ELb1EmNS0_19identity_decomposerEEEEE10hipError_tT0_T1_T2_jT3_P12ihipStream_tbPNSt15iterator_traitsISE_E10value_typeEPNSK_ISF_E10value_typeEPSG_NS1_7vsmem_tEENKUlT_SE_SF_SG_E_clIS8_S8_S9_S9_EESD_ST_SE_SF_SG_EUlST_E_NS1_11comp_targetILNS1_3genE3ELNS1_11target_archE908ELNS1_3gpuE7ELNS1_3repE0EEENS1_48merge_mergepath_partition_config_static_selectorELNS0_4arch9wavefront6targetE0EEEvSF_,@function
_ZN7rocprim17ROCPRIM_400000_NS6detail17trampoline_kernelINS0_14default_configENS1_38merge_sort_block_merge_config_selectorImNS0_10empty_typeEEEZZNS1_27merge_sort_block_merge_implIS3_PmPS5_jNS1_19radix_merge_compareILb0ELb1EmNS0_19identity_decomposerEEEEE10hipError_tT0_T1_T2_jT3_P12ihipStream_tbPNSt15iterator_traitsISE_E10value_typeEPNSK_ISF_E10value_typeEPSG_NS1_7vsmem_tEENKUlT_SE_SF_SG_E_clIS8_S8_S9_S9_EESD_ST_SE_SF_SG_EUlST_E_NS1_11comp_targetILNS1_3genE3ELNS1_11target_archE908ELNS1_3gpuE7ELNS1_3repE0EEENS1_48merge_mergepath_partition_config_static_selectorELNS0_4arch9wavefront6targetE0EEEvSF_: ; @_ZN7rocprim17ROCPRIM_400000_NS6detail17trampoline_kernelINS0_14default_configENS1_38merge_sort_block_merge_config_selectorImNS0_10empty_typeEEEZZNS1_27merge_sort_block_merge_implIS3_PmPS5_jNS1_19radix_merge_compareILb0ELb1EmNS0_19identity_decomposerEEEEE10hipError_tT0_T1_T2_jT3_P12ihipStream_tbPNSt15iterator_traitsISE_E10value_typeEPNSK_ISF_E10value_typeEPSG_NS1_7vsmem_tEENKUlT_SE_SF_SG_E_clIS8_S8_S9_S9_EESD_ST_SE_SF_SG_EUlST_E_NS1_11comp_targetILNS1_3genE3ELNS1_11target_archE908ELNS1_3gpuE7ELNS1_3repE0EEENS1_48merge_mergepath_partition_config_static_selectorELNS0_4arch9wavefront6targetE0EEEvSF_
; %bb.0:
	.section	.rodata,"a",@progbits
	.p2align	6, 0x0
	.amdhsa_kernel _ZN7rocprim17ROCPRIM_400000_NS6detail17trampoline_kernelINS0_14default_configENS1_38merge_sort_block_merge_config_selectorImNS0_10empty_typeEEEZZNS1_27merge_sort_block_merge_implIS3_PmPS5_jNS1_19radix_merge_compareILb0ELb1EmNS0_19identity_decomposerEEEEE10hipError_tT0_T1_T2_jT3_P12ihipStream_tbPNSt15iterator_traitsISE_E10value_typeEPNSK_ISF_E10value_typeEPSG_NS1_7vsmem_tEENKUlT_SE_SF_SG_E_clIS8_S8_S9_S9_EESD_ST_SE_SF_SG_EUlST_E_NS1_11comp_targetILNS1_3genE3ELNS1_11target_archE908ELNS1_3gpuE7ELNS1_3repE0EEENS1_48merge_mergepath_partition_config_static_selectorELNS0_4arch9wavefront6targetE0EEEvSF_
		.amdhsa_group_segment_fixed_size 0
		.amdhsa_private_segment_fixed_size 0
		.amdhsa_kernarg_size 40
		.amdhsa_user_sgpr_count 2
		.amdhsa_user_sgpr_dispatch_ptr 0
		.amdhsa_user_sgpr_queue_ptr 0
		.amdhsa_user_sgpr_kernarg_segment_ptr 1
		.amdhsa_user_sgpr_dispatch_id 0
		.amdhsa_user_sgpr_kernarg_preload_length 0
		.amdhsa_user_sgpr_kernarg_preload_offset 0
		.amdhsa_user_sgpr_private_segment_size 0
		.amdhsa_wavefront_size32 1
		.amdhsa_uses_dynamic_stack 0
		.amdhsa_enable_private_segment 0
		.amdhsa_system_sgpr_workgroup_id_x 1
		.amdhsa_system_sgpr_workgroup_id_y 0
		.amdhsa_system_sgpr_workgroup_id_z 0
		.amdhsa_system_sgpr_workgroup_info 0
		.amdhsa_system_vgpr_workitem_id 0
		.amdhsa_next_free_vgpr 1
		.amdhsa_next_free_sgpr 1
		.amdhsa_named_barrier_count 0
		.amdhsa_reserve_vcc 0
		.amdhsa_float_round_mode_32 0
		.amdhsa_float_round_mode_16_64 0
		.amdhsa_float_denorm_mode_32 3
		.amdhsa_float_denorm_mode_16_64 3
		.amdhsa_fp16_overflow 0
		.amdhsa_memory_ordered 1
		.amdhsa_forward_progress 1
		.amdhsa_inst_pref_size 0
		.amdhsa_round_robin_scheduling 0
		.amdhsa_exception_fp_ieee_invalid_op 0
		.amdhsa_exception_fp_denorm_src 0
		.amdhsa_exception_fp_ieee_div_zero 0
		.amdhsa_exception_fp_ieee_overflow 0
		.amdhsa_exception_fp_ieee_underflow 0
		.amdhsa_exception_fp_ieee_inexact 0
		.amdhsa_exception_int_div_zero 0
	.end_amdhsa_kernel
	.section	.text._ZN7rocprim17ROCPRIM_400000_NS6detail17trampoline_kernelINS0_14default_configENS1_38merge_sort_block_merge_config_selectorImNS0_10empty_typeEEEZZNS1_27merge_sort_block_merge_implIS3_PmPS5_jNS1_19radix_merge_compareILb0ELb1EmNS0_19identity_decomposerEEEEE10hipError_tT0_T1_T2_jT3_P12ihipStream_tbPNSt15iterator_traitsISE_E10value_typeEPNSK_ISF_E10value_typeEPSG_NS1_7vsmem_tEENKUlT_SE_SF_SG_E_clIS8_S8_S9_S9_EESD_ST_SE_SF_SG_EUlST_E_NS1_11comp_targetILNS1_3genE3ELNS1_11target_archE908ELNS1_3gpuE7ELNS1_3repE0EEENS1_48merge_mergepath_partition_config_static_selectorELNS0_4arch9wavefront6targetE0EEEvSF_,"axG",@progbits,_ZN7rocprim17ROCPRIM_400000_NS6detail17trampoline_kernelINS0_14default_configENS1_38merge_sort_block_merge_config_selectorImNS0_10empty_typeEEEZZNS1_27merge_sort_block_merge_implIS3_PmPS5_jNS1_19radix_merge_compareILb0ELb1EmNS0_19identity_decomposerEEEEE10hipError_tT0_T1_T2_jT3_P12ihipStream_tbPNSt15iterator_traitsISE_E10value_typeEPNSK_ISF_E10value_typeEPSG_NS1_7vsmem_tEENKUlT_SE_SF_SG_E_clIS8_S8_S9_S9_EESD_ST_SE_SF_SG_EUlST_E_NS1_11comp_targetILNS1_3genE3ELNS1_11target_archE908ELNS1_3gpuE7ELNS1_3repE0EEENS1_48merge_mergepath_partition_config_static_selectorELNS0_4arch9wavefront6targetE0EEEvSF_,comdat
.Lfunc_end2953:
	.size	_ZN7rocprim17ROCPRIM_400000_NS6detail17trampoline_kernelINS0_14default_configENS1_38merge_sort_block_merge_config_selectorImNS0_10empty_typeEEEZZNS1_27merge_sort_block_merge_implIS3_PmPS5_jNS1_19radix_merge_compareILb0ELb1EmNS0_19identity_decomposerEEEEE10hipError_tT0_T1_T2_jT3_P12ihipStream_tbPNSt15iterator_traitsISE_E10value_typeEPNSK_ISF_E10value_typeEPSG_NS1_7vsmem_tEENKUlT_SE_SF_SG_E_clIS8_S8_S9_S9_EESD_ST_SE_SF_SG_EUlST_E_NS1_11comp_targetILNS1_3genE3ELNS1_11target_archE908ELNS1_3gpuE7ELNS1_3repE0EEENS1_48merge_mergepath_partition_config_static_selectorELNS0_4arch9wavefront6targetE0EEEvSF_, .Lfunc_end2953-_ZN7rocprim17ROCPRIM_400000_NS6detail17trampoline_kernelINS0_14default_configENS1_38merge_sort_block_merge_config_selectorImNS0_10empty_typeEEEZZNS1_27merge_sort_block_merge_implIS3_PmPS5_jNS1_19radix_merge_compareILb0ELb1EmNS0_19identity_decomposerEEEEE10hipError_tT0_T1_T2_jT3_P12ihipStream_tbPNSt15iterator_traitsISE_E10value_typeEPNSK_ISF_E10value_typeEPSG_NS1_7vsmem_tEENKUlT_SE_SF_SG_E_clIS8_S8_S9_S9_EESD_ST_SE_SF_SG_EUlST_E_NS1_11comp_targetILNS1_3genE3ELNS1_11target_archE908ELNS1_3gpuE7ELNS1_3repE0EEENS1_48merge_mergepath_partition_config_static_selectorELNS0_4arch9wavefront6targetE0EEEvSF_
                                        ; -- End function
	.set _ZN7rocprim17ROCPRIM_400000_NS6detail17trampoline_kernelINS0_14default_configENS1_38merge_sort_block_merge_config_selectorImNS0_10empty_typeEEEZZNS1_27merge_sort_block_merge_implIS3_PmPS5_jNS1_19radix_merge_compareILb0ELb1EmNS0_19identity_decomposerEEEEE10hipError_tT0_T1_T2_jT3_P12ihipStream_tbPNSt15iterator_traitsISE_E10value_typeEPNSK_ISF_E10value_typeEPSG_NS1_7vsmem_tEENKUlT_SE_SF_SG_E_clIS8_S8_S9_S9_EESD_ST_SE_SF_SG_EUlST_E_NS1_11comp_targetILNS1_3genE3ELNS1_11target_archE908ELNS1_3gpuE7ELNS1_3repE0EEENS1_48merge_mergepath_partition_config_static_selectorELNS0_4arch9wavefront6targetE0EEEvSF_.num_vgpr, 0
	.set _ZN7rocprim17ROCPRIM_400000_NS6detail17trampoline_kernelINS0_14default_configENS1_38merge_sort_block_merge_config_selectorImNS0_10empty_typeEEEZZNS1_27merge_sort_block_merge_implIS3_PmPS5_jNS1_19radix_merge_compareILb0ELb1EmNS0_19identity_decomposerEEEEE10hipError_tT0_T1_T2_jT3_P12ihipStream_tbPNSt15iterator_traitsISE_E10value_typeEPNSK_ISF_E10value_typeEPSG_NS1_7vsmem_tEENKUlT_SE_SF_SG_E_clIS8_S8_S9_S9_EESD_ST_SE_SF_SG_EUlST_E_NS1_11comp_targetILNS1_3genE3ELNS1_11target_archE908ELNS1_3gpuE7ELNS1_3repE0EEENS1_48merge_mergepath_partition_config_static_selectorELNS0_4arch9wavefront6targetE0EEEvSF_.num_agpr, 0
	.set _ZN7rocprim17ROCPRIM_400000_NS6detail17trampoline_kernelINS0_14default_configENS1_38merge_sort_block_merge_config_selectorImNS0_10empty_typeEEEZZNS1_27merge_sort_block_merge_implIS3_PmPS5_jNS1_19radix_merge_compareILb0ELb1EmNS0_19identity_decomposerEEEEE10hipError_tT0_T1_T2_jT3_P12ihipStream_tbPNSt15iterator_traitsISE_E10value_typeEPNSK_ISF_E10value_typeEPSG_NS1_7vsmem_tEENKUlT_SE_SF_SG_E_clIS8_S8_S9_S9_EESD_ST_SE_SF_SG_EUlST_E_NS1_11comp_targetILNS1_3genE3ELNS1_11target_archE908ELNS1_3gpuE7ELNS1_3repE0EEENS1_48merge_mergepath_partition_config_static_selectorELNS0_4arch9wavefront6targetE0EEEvSF_.numbered_sgpr, 0
	.set _ZN7rocprim17ROCPRIM_400000_NS6detail17trampoline_kernelINS0_14default_configENS1_38merge_sort_block_merge_config_selectorImNS0_10empty_typeEEEZZNS1_27merge_sort_block_merge_implIS3_PmPS5_jNS1_19radix_merge_compareILb0ELb1EmNS0_19identity_decomposerEEEEE10hipError_tT0_T1_T2_jT3_P12ihipStream_tbPNSt15iterator_traitsISE_E10value_typeEPNSK_ISF_E10value_typeEPSG_NS1_7vsmem_tEENKUlT_SE_SF_SG_E_clIS8_S8_S9_S9_EESD_ST_SE_SF_SG_EUlST_E_NS1_11comp_targetILNS1_3genE3ELNS1_11target_archE908ELNS1_3gpuE7ELNS1_3repE0EEENS1_48merge_mergepath_partition_config_static_selectorELNS0_4arch9wavefront6targetE0EEEvSF_.num_named_barrier, 0
	.set _ZN7rocprim17ROCPRIM_400000_NS6detail17trampoline_kernelINS0_14default_configENS1_38merge_sort_block_merge_config_selectorImNS0_10empty_typeEEEZZNS1_27merge_sort_block_merge_implIS3_PmPS5_jNS1_19radix_merge_compareILb0ELb1EmNS0_19identity_decomposerEEEEE10hipError_tT0_T1_T2_jT3_P12ihipStream_tbPNSt15iterator_traitsISE_E10value_typeEPNSK_ISF_E10value_typeEPSG_NS1_7vsmem_tEENKUlT_SE_SF_SG_E_clIS8_S8_S9_S9_EESD_ST_SE_SF_SG_EUlST_E_NS1_11comp_targetILNS1_3genE3ELNS1_11target_archE908ELNS1_3gpuE7ELNS1_3repE0EEENS1_48merge_mergepath_partition_config_static_selectorELNS0_4arch9wavefront6targetE0EEEvSF_.private_seg_size, 0
	.set _ZN7rocprim17ROCPRIM_400000_NS6detail17trampoline_kernelINS0_14default_configENS1_38merge_sort_block_merge_config_selectorImNS0_10empty_typeEEEZZNS1_27merge_sort_block_merge_implIS3_PmPS5_jNS1_19radix_merge_compareILb0ELb1EmNS0_19identity_decomposerEEEEE10hipError_tT0_T1_T2_jT3_P12ihipStream_tbPNSt15iterator_traitsISE_E10value_typeEPNSK_ISF_E10value_typeEPSG_NS1_7vsmem_tEENKUlT_SE_SF_SG_E_clIS8_S8_S9_S9_EESD_ST_SE_SF_SG_EUlST_E_NS1_11comp_targetILNS1_3genE3ELNS1_11target_archE908ELNS1_3gpuE7ELNS1_3repE0EEENS1_48merge_mergepath_partition_config_static_selectorELNS0_4arch9wavefront6targetE0EEEvSF_.uses_vcc, 0
	.set _ZN7rocprim17ROCPRIM_400000_NS6detail17trampoline_kernelINS0_14default_configENS1_38merge_sort_block_merge_config_selectorImNS0_10empty_typeEEEZZNS1_27merge_sort_block_merge_implIS3_PmPS5_jNS1_19radix_merge_compareILb0ELb1EmNS0_19identity_decomposerEEEEE10hipError_tT0_T1_T2_jT3_P12ihipStream_tbPNSt15iterator_traitsISE_E10value_typeEPNSK_ISF_E10value_typeEPSG_NS1_7vsmem_tEENKUlT_SE_SF_SG_E_clIS8_S8_S9_S9_EESD_ST_SE_SF_SG_EUlST_E_NS1_11comp_targetILNS1_3genE3ELNS1_11target_archE908ELNS1_3gpuE7ELNS1_3repE0EEENS1_48merge_mergepath_partition_config_static_selectorELNS0_4arch9wavefront6targetE0EEEvSF_.uses_flat_scratch, 0
	.set _ZN7rocprim17ROCPRIM_400000_NS6detail17trampoline_kernelINS0_14default_configENS1_38merge_sort_block_merge_config_selectorImNS0_10empty_typeEEEZZNS1_27merge_sort_block_merge_implIS3_PmPS5_jNS1_19radix_merge_compareILb0ELb1EmNS0_19identity_decomposerEEEEE10hipError_tT0_T1_T2_jT3_P12ihipStream_tbPNSt15iterator_traitsISE_E10value_typeEPNSK_ISF_E10value_typeEPSG_NS1_7vsmem_tEENKUlT_SE_SF_SG_E_clIS8_S8_S9_S9_EESD_ST_SE_SF_SG_EUlST_E_NS1_11comp_targetILNS1_3genE3ELNS1_11target_archE908ELNS1_3gpuE7ELNS1_3repE0EEENS1_48merge_mergepath_partition_config_static_selectorELNS0_4arch9wavefront6targetE0EEEvSF_.has_dyn_sized_stack, 0
	.set _ZN7rocprim17ROCPRIM_400000_NS6detail17trampoline_kernelINS0_14default_configENS1_38merge_sort_block_merge_config_selectorImNS0_10empty_typeEEEZZNS1_27merge_sort_block_merge_implIS3_PmPS5_jNS1_19radix_merge_compareILb0ELb1EmNS0_19identity_decomposerEEEEE10hipError_tT0_T1_T2_jT3_P12ihipStream_tbPNSt15iterator_traitsISE_E10value_typeEPNSK_ISF_E10value_typeEPSG_NS1_7vsmem_tEENKUlT_SE_SF_SG_E_clIS8_S8_S9_S9_EESD_ST_SE_SF_SG_EUlST_E_NS1_11comp_targetILNS1_3genE3ELNS1_11target_archE908ELNS1_3gpuE7ELNS1_3repE0EEENS1_48merge_mergepath_partition_config_static_selectorELNS0_4arch9wavefront6targetE0EEEvSF_.has_recursion, 0
	.set _ZN7rocprim17ROCPRIM_400000_NS6detail17trampoline_kernelINS0_14default_configENS1_38merge_sort_block_merge_config_selectorImNS0_10empty_typeEEEZZNS1_27merge_sort_block_merge_implIS3_PmPS5_jNS1_19radix_merge_compareILb0ELb1EmNS0_19identity_decomposerEEEEE10hipError_tT0_T1_T2_jT3_P12ihipStream_tbPNSt15iterator_traitsISE_E10value_typeEPNSK_ISF_E10value_typeEPSG_NS1_7vsmem_tEENKUlT_SE_SF_SG_E_clIS8_S8_S9_S9_EESD_ST_SE_SF_SG_EUlST_E_NS1_11comp_targetILNS1_3genE3ELNS1_11target_archE908ELNS1_3gpuE7ELNS1_3repE0EEENS1_48merge_mergepath_partition_config_static_selectorELNS0_4arch9wavefront6targetE0EEEvSF_.has_indirect_call, 0
	.section	.AMDGPU.csdata,"",@progbits
; Kernel info:
; codeLenInByte = 0
; TotalNumSgprs: 0
; NumVgprs: 0
; ScratchSize: 0
; MemoryBound: 0
; FloatMode: 240
; IeeeMode: 1
; LDSByteSize: 0 bytes/workgroup (compile time only)
; SGPRBlocks: 0
; VGPRBlocks: 0
; NumSGPRsForWavesPerEU: 1
; NumVGPRsForWavesPerEU: 1
; NamedBarCnt: 0
; Occupancy: 16
; WaveLimiterHint : 0
; COMPUTE_PGM_RSRC2:SCRATCH_EN: 0
; COMPUTE_PGM_RSRC2:USER_SGPR: 2
; COMPUTE_PGM_RSRC2:TRAP_HANDLER: 0
; COMPUTE_PGM_RSRC2:TGID_X_EN: 1
; COMPUTE_PGM_RSRC2:TGID_Y_EN: 0
; COMPUTE_PGM_RSRC2:TGID_Z_EN: 0
; COMPUTE_PGM_RSRC2:TIDIG_COMP_CNT: 0
	.section	.text._ZN7rocprim17ROCPRIM_400000_NS6detail17trampoline_kernelINS0_14default_configENS1_38merge_sort_block_merge_config_selectorImNS0_10empty_typeEEEZZNS1_27merge_sort_block_merge_implIS3_PmPS5_jNS1_19radix_merge_compareILb0ELb1EmNS0_19identity_decomposerEEEEE10hipError_tT0_T1_T2_jT3_P12ihipStream_tbPNSt15iterator_traitsISE_E10value_typeEPNSK_ISF_E10value_typeEPSG_NS1_7vsmem_tEENKUlT_SE_SF_SG_E_clIS8_S8_S9_S9_EESD_ST_SE_SF_SG_EUlST_E_NS1_11comp_targetILNS1_3genE2ELNS1_11target_archE906ELNS1_3gpuE6ELNS1_3repE0EEENS1_48merge_mergepath_partition_config_static_selectorELNS0_4arch9wavefront6targetE0EEEvSF_,"axG",@progbits,_ZN7rocprim17ROCPRIM_400000_NS6detail17trampoline_kernelINS0_14default_configENS1_38merge_sort_block_merge_config_selectorImNS0_10empty_typeEEEZZNS1_27merge_sort_block_merge_implIS3_PmPS5_jNS1_19radix_merge_compareILb0ELb1EmNS0_19identity_decomposerEEEEE10hipError_tT0_T1_T2_jT3_P12ihipStream_tbPNSt15iterator_traitsISE_E10value_typeEPNSK_ISF_E10value_typeEPSG_NS1_7vsmem_tEENKUlT_SE_SF_SG_E_clIS8_S8_S9_S9_EESD_ST_SE_SF_SG_EUlST_E_NS1_11comp_targetILNS1_3genE2ELNS1_11target_archE906ELNS1_3gpuE6ELNS1_3repE0EEENS1_48merge_mergepath_partition_config_static_selectorELNS0_4arch9wavefront6targetE0EEEvSF_,comdat
	.protected	_ZN7rocprim17ROCPRIM_400000_NS6detail17trampoline_kernelINS0_14default_configENS1_38merge_sort_block_merge_config_selectorImNS0_10empty_typeEEEZZNS1_27merge_sort_block_merge_implIS3_PmPS5_jNS1_19radix_merge_compareILb0ELb1EmNS0_19identity_decomposerEEEEE10hipError_tT0_T1_T2_jT3_P12ihipStream_tbPNSt15iterator_traitsISE_E10value_typeEPNSK_ISF_E10value_typeEPSG_NS1_7vsmem_tEENKUlT_SE_SF_SG_E_clIS8_S8_S9_S9_EESD_ST_SE_SF_SG_EUlST_E_NS1_11comp_targetILNS1_3genE2ELNS1_11target_archE906ELNS1_3gpuE6ELNS1_3repE0EEENS1_48merge_mergepath_partition_config_static_selectorELNS0_4arch9wavefront6targetE0EEEvSF_ ; -- Begin function _ZN7rocprim17ROCPRIM_400000_NS6detail17trampoline_kernelINS0_14default_configENS1_38merge_sort_block_merge_config_selectorImNS0_10empty_typeEEEZZNS1_27merge_sort_block_merge_implIS3_PmPS5_jNS1_19radix_merge_compareILb0ELb1EmNS0_19identity_decomposerEEEEE10hipError_tT0_T1_T2_jT3_P12ihipStream_tbPNSt15iterator_traitsISE_E10value_typeEPNSK_ISF_E10value_typeEPSG_NS1_7vsmem_tEENKUlT_SE_SF_SG_E_clIS8_S8_S9_S9_EESD_ST_SE_SF_SG_EUlST_E_NS1_11comp_targetILNS1_3genE2ELNS1_11target_archE906ELNS1_3gpuE6ELNS1_3repE0EEENS1_48merge_mergepath_partition_config_static_selectorELNS0_4arch9wavefront6targetE0EEEvSF_
	.globl	_ZN7rocprim17ROCPRIM_400000_NS6detail17trampoline_kernelINS0_14default_configENS1_38merge_sort_block_merge_config_selectorImNS0_10empty_typeEEEZZNS1_27merge_sort_block_merge_implIS3_PmPS5_jNS1_19radix_merge_compareILb0ELb1EmNS0_19identity_decomposerEEEEE10hipError_tT0_T1_T2_jT3_P12ihipStream_tbPNSt15iterator_traitsISE_E10value_typeEPNSK_ISF_E10value_typeEPSG_NS1_7vsmem_tEENKUlT_SE_SF_SG_E_clIS8_S8_S9_S9_EESD_ST_SE_SF_SG_EUlST_E_NS1_11comp_targetILNS1_3genE2ELNS1_11target_archE906ELNS1_3gpuE6ELNS1_3repE0EEENS1_48merge_mergepath_partition_config_static_selectorELNS0_4arch9wavefront6targetE0EEEvSF_
	.p2align	8
	.type	_ZN7rocprim17ROCPRIM_400000_NS6detail17trampoline_kernelINS0_14default_configENS1_38merge_sort_block_merge_config_selectorImNS0_10empty_typeEEEZZNS1_27merge_sort_block_merge_implIS3_PmPS5_jNS1_19radix_merge_compareILb0ELb1EmNS0_19identity_decomposerEEEEE10hipError_tT0_T1_T2_jT3_P12ihipStream_tbPNSt15iterator_traitsISE_E10value_typeEPNSK_ISF_E10value_typeEPSG_NS1_7vsmem_tEENKUlT_SE_SF_SG_E_clIS8_S8_S9_S9_EESD_ST_SE_SF_SG_EUlST_E_NS1_11comp_targetILNS1_3genE2ELNS1_11target_archE906ELNS1_3gpuE6ELNS1_3repE0EEENS1_48merge_mergepath_partition_config_static_selectorELNS0_4arch9wavefront6targetE0EEEvSF_,@function
_ZN7rocprim17ROCPRIM_400000_NS6detail17trampoline_kernelINS0_14default_configENS1_38merge_sort_block_merge_config_selectorImNS0_10empty_typeEEEZZNS1_27merge_sort_block_merge_implIS3_PmPS5_jNS1_19radix_merge_compareILb0ELb1EmNS0_19identity_decomposerEEEEE10hipError_tT0_T1_T2_jT3_P12ihipStream_tbPNSt15iterator_traitsISE_E10value_typeEPNSK_ISF_E10value_typeEPSG_NS1_7vsmem_tEENKUlT_SE_SF_SG_E_clIS8_S8_S9_S9_EESD_ST_SE_SF_SG_EUlST_E_NS1_11comp_targetILNS1_3genE2ELNS1_11target_archE906ELNS1_3gpuE6ELNS1_3repE0EEENS1_48merge_mergepath_partition_config_static_selectorELNS0_4arch9wavefront6targetE0EEEvSF_: ; @_ZN7rocprim17ROCPRIM_400000_NS6detail17trampoline_kernelINS0_14default_configENS1_38merge_sort_block_merge_config_selectorImNS0_10empty_typeEEEZZNS1_27merge_sort_block_merge_implIS3_PmPS5_jNS1_19radix_merge_compareILb0ELb1EmNS0_19identity_decomposerEEEEE10hipError_tT0_T1_T2_jT3_P12ihipStream_tbPNSt15iterator_traitsISE_E10value_typeEPNSK_ISF_E10value_typeEPSG_NS1_7vsmem_tEENKUlT_SE_SF_SG_E_clIS8_S8_S9_S9_EESD_ST_SE_SF_SG_EUlST_E_NS1_11comp_targetILNS1_3genE2ELNS1_11target_archE906ELNS1_3gpuE6ELNS1_3repE0EEENS1_48merge_mergepath_partition_config_static_selectorELNS0_4arch9wavefront6targetE0EEEvSF_
; %bb.0:
	.section	.rodata,"a",@progbits
	.p2align	6, 0x0
	.amdhsa_kernel _ZN7rocprim17ROCPRIM_400000_NS6detail17trampoline_kernelINS0_14default_configENS1_38merge_sort_block_merge_config_selectorImNS0_10empty_typeEEEZZNS1_27merge_sort_block_merge_implIS3_PmPS5_jNS1_19radix_merge_compareILb0ELb1EmNS0_19identity_decomposerEEEEE10hipError_tT0_T1_T2_jT3_P12ihipStream_tbPNSt15iterator_traitsISE_E10value_typeEPNSK_ISF_E10value_typeEPSG_NS1_7vsmem_tEENKUlT_SE_SF_SG_E_clIS8_S8_S9_S9_EESD_ST_SE_SF_SG_EUlST_E_NS1_11comp_targetILNS1_3genE2ELNS1_11target_archE906ELNS1_3gpuE6ELNS1_3repE0EEENS1_48merge_mergepath_partition_config_static_selectorELNS0_4arch9wavefront6targetE0EEEvSF_
		.amdhsa_group_segment_fixed_size 0
		.amdhsa_private_segment_fixed_size 0
		.amdhsa_kernarg_size 40
		.amdhsa_user_sgpr_count 2
		.amdhsa_user_sgpr_dispatch_ptr 0
		.amdhsa_user_sgpr_queue_ptr 0
		.amdhsa_user_sgpr_kernarg_segment_ptr 1
		.amdhsa_user_sgpr_dispatch_id 0
		.amdhsa_user_sgpr_kernarg_preload_length 0
		.amdhsa_user_sgpr_kernarg_preload_offset 0
		.amdhsa_user_sgpr_private_segment_size 0
		.amdhsa_wavefront_size32 1
		.amdhsa_uses_dynamic_stack 0
		.amdhsa_enable_private_segment 0
		.amdhsa_system_sgpr_workgroup_id_x 1
		.amdhsa_system_sgpr_workgroup_id_y 0
		.amdhsa_system_sgpr_workgroup_id_z 0
		.amdhsa_system_sgpr_workgroup_info 0
		.amdhsa_system_vgpr_workitem_id 0
		.amdhsa_next_free_vgpr 1
		.amdhsa_next_free_sgpr 1
		.amdhsa_named_barrier_count 0
		.amdhsa_reserve_vcc 0
		.amdhsa_float_round_mode_32 0
		.amdhsa_float_round_mode_16_64 0
		.amdhsa_float_denorm_mode_32 3
		.amdhsa_float_denorm_mode_16_64 3
		.amdhsa_fp16_overflow 0
		.amdhsa_memory_ordered 1
		.amdhsa_forward_progress 1
		.amdhsa_inst_pref_size 0
		.amdhsa_round_robin_scheduling 0
		.amdhsa_exception_fp_ieee_invalid_op 0
		.amdhsa_exception_fp_denorm_src 0
		.amdhsa_exception_fp_ieee_div_zero 0
		.amdhsa_exception_fp_ieee_overflow 0
		.amdhsa_exception_fp_ieee_underflow 0
		.amdhsa_exception_fp_ieee_inexact 0
		.amdhsa_exception_int_div_zero 0
	.end_amdhsa_kernel
	.section	.text._ZN7rocprim17ROCPRIM_400000_NS6detail17trampoline_kernelINS0_14default_configENS1_38merge_sort_block_merge_config_selectorImNS0_10empty_typeEEEZZNS1_27merge_sort_block_merge_implIS3_PmPS5_jNS1_19radix_merge_compareILb0ELb1EmNS0_19identity_decomposerEEEEE10hipError_tT0_T1_T2_jT3_P12ihipStream_tbPNSt15iterator_traitsISE_E10value_typeEPNSK_ISF_E10value_typeEPSG_NS1_7vsmem_tEENKUlT_SE_SF_SG_E_clIS8_S8_S9_S9_EESD_ST_SE_SF_SG_EUlST_E_NS1_11comp_targetILNS1_3genE2ELNS1_11target_archE906ELNS1_3gpuE6ELNS1_3repE0EEENS1_48merge_mergepath_partition_config_static_selectorELNS0_4arch9wavefront6targetE0EEEvSF_,"axG",@progbits,_ZN7rocprim17ROCPRIM_400000_NS6detail17trampoline_kernelINS0_14default_configENS1_38merge_sort_block_merge_config_selectorImNS0_10empty_typeEEEZZNS1_27merge_sort_block_merge_implIS3_PmPS5_jNS1_19radix_merge_compareILb0ELb1EmNS0_19identity_decomposerEEEEE10hipError_tT0_T1_T2_jT3_P12ihipStream_tbPNSt15iterator_traitsISE_E10value_typeEPNSK_ISF_E10value_typeEPSG_NS1_7vsmem_tEENKUlT_SE_SF_SG_E_clIS8_S8_S9_S9_EESD_ST_SE_SF_SG_EUlST_E_NS1_11comp_targetILNS1_3genE2ELNS1_11target_archE906ELNS1_3gpuE6ELNS1_3repE0EEENS1_48merge_mergepath_partition_config_static_selectorELNS0_4arch9wavefront6targetE0EEEvSF_,comdat
.Lfunc_end2954:
	.size	_ZN7rocprim17ROCPRIM_400000_NS6detail17trampoline_kernelINS0_14default_configENS1_38merge_sort_block_merge_config_selectorImNS0_10empty_typeEEEZZNS1_27merge_sort_block_merge_implIS3_PmPS5_jNS1_19radix_merge_compareILb0ELb1EmNS0_19identity_decomposerEEEEE10hipError_tT0_T1_T2_jT3_P12ihipStream_tbPNSt15iterator_traitsISE_E10value_typeEPNSK_ISF_E10value_typeEPSG_NS1_7vsmem_tEENKUlT_SE_SF_SG_E_clIS8_S8_S9_S9_EESD_ST_SE_SF_SG_EUlST_E_NS1_11comp_targetILNS1_3genE2ELNS1_11target_archE906ELNS1_3gpuE6ELNS1_3repE0EEENS1_48merge_mergepath_partition_config_static_selectorELNS0_4arch9wavefront6targetE0EEEvSF_, .Lfunc_end2954-_ZN7rocprim17ROCPRIM_400000_NS6detail17trampoline_kernelINS0_14default_configENS1_38merge_sort_block_merge_config_selectorImNS0_10empty_typeEEEZZNS1_27merge_sort_block_merge_implIS3_PmPS5_jNS1_19radix_merge_compareILb0ELb1EmNS0_19identity_decomposerEEEEE10hipError_tT0_T1_T2_jT3_P12ihipStream_tbPNSt15iterator_traitsISE_E10value_typeEPNSK_ISF_E10value_typeEPSG_NS1_7vsmem_tEENKUlT_SE_SF_SG_E_clIS8_S8_S9_S9_EESD_ST_SE_SF_SG_EUlST_E_NS1_11comp_targetILNS1_3genE2ELNS1_11target_archE906ELNS1_3gpuE6ELNS1_3repE0EEENS1_48merge_mergepath_partition_config_static_selectorELNS0_4arch9wavefront6targetE0EEEvSF_
                                        ; -- End function
	.set _ZN7rocprim17ROCPRIM_400000_NS6detail17trampoline_kernelINS0_14default_configENS1_38merge_sort_block_merge_config_selectorImNS0_10empty_typeEEEZZNS1_27merge_sort_block_merge_implIS3_PmPS5_jNS1_19radix_merge_compareILb0ELb1EmNS0_19identity_decomposerEEEEE10hipError_tT0_T1_T2_jT3_P12ihipStream_tbPNSt15iterator_traitsISE_E10value_typeEPNSK_ISF_E10value_typeEPSG_NS1_7vsmem_tEENKUlT_SE_SF_SG_E_clIS8_S8_S9_S9_EESD_ST_SE_SF_SG_EUlST_E_NS1_11comp_targetILNS1_3genE2ELNS1_11target_archE906ELNS1_3gpuE6ELNS1_3repE0EEENS1_48merge_mergepath_partition_config_static_selectorELNS0_4arch9wavefront6targetE0EEEvSF_.num_vgpr, 0
	.set _ZN7rocprim17ROCPRIM_400000_NS6detail17trampoline_kernelINS0_14default_configENS1_38merge_sort_block_merge_config_selectorImNS0_10empty_typeEEEZZNS1_27merge_sort_block_merge_implIS3_PmPS5_jNS1_19radix_merge_compareILb0ELb1EmNS0_19identity_decomposerEEEEE10hipError_tT0_T1_T2_jT3_P12ihipStream_tbPNSt15iterator_traitsISE_E10value_typeEPNSK_ISF_E10value_typeEPSG_NS1_7vsmem_tEENKUlT_SE_SF_SG_E_clIS8_S8_S9_S9_EESD_ST_SE_SF_SG_EUlST_E_NS1_11comp_targetILNS1_3genE2ELNS1_11target_archE906ELNS1_3gpuE6ELNS1_3repE0EEENS1_48merge_mergepath_partition_config_static_selectorELNS0_4arch9wavefront6targetE0EEEvSF_.num_agpr, 0
	.set _ZN7rocprim17ROCPRIM_400000_NS6detail17trampoline_kernelINS0_14default_configENS1_38merge_sort_block_merge_config_selectorImNS0_10empty_typeEEEZZNS1_27merge_sort_block_merge_implIS3_PmPS5_jNS1_19radix_merge_compareILb0ELb1EmNS0_19identity_decomposerEEEEE10hipError_tT0_T1_T2_jT3_P12ihipStream_tbPNSt15iterator_traitsISE_E10value_typeEPNSK_ISF_E10value_typeEPSG_NS1_7vsmem_tEENKUlT_SE_SF_SG_E_clIS8_S8_S9_S9_EESD_ST_SE_SF_SG_EUlST_E_NS1_11comp_targetILNS1_3genE2ELNS1_11target_archE906ELNS1_3gpuE6ELNS1_3repE0EEENS1_48merge_mergepath_partition_config_static_selectorELNS0_4arch9wavefront6targetE0EEEvSF_.numbered_sgpr, 0
	.set _ZN7rocprim17ROCPRIM_400000_NS6detail17trampoline_kernelINS0_14default_configENS1_38merge_sort_block_merge_config_selectorImNS0_10empty_typeEEEZZNS1_27merge_sort_block_merge_implIS3_PmPS5_jNS1_19radix_merge_compareILb0ELb1EmNS0_19identity_decomposerEEEEE10hipError_tT0_T1_T2_jT3_P12ihipStream_tbPNSt15iterator_traitsISE_E10value_typeEPNSK_ISF_E10value_typeEPSG_NS1_7vsmem_tEENKUlT_SE_SF_SG_E_clIS8_S8_S9_S9_EESD_ST_SE_SF_SG_EUlST_E_NS1_11comp_targetILNS1_3genE2ELNS1_11target_archE906ELNS1_3gpuE6ELNS1_3repE0EEENS1_48merge_mergepath_partition_config_static_selectorELNS0_4arch9wavefront6targetE0EEEvSF_.num_named_barrier, 0
	.set _ZN7rocprim17ROCPRIM_400000_NS6detail17trampoline_kernelINS0_14default_configENS1_38merge_sort_block_merge_config_selectorImNS0_10empty_typeEEEZZNS1_27merge_sort_block_merge_implIS3_PmPS5_jNS1_19radix_merge_compareILb0ELb1EmNS0_19identity_decomposerEEEEE10hipError_tT0_T1_T2_jT3_P12ihipStream_tbPNSt15iterator_traitsISE_E10value_typeEPNSK_ISF_E10value_typeEPSG_NS1_7vsmem_tEENKUlT_SE_SF_SG_E_clIS8_S8_S9_S9_EESD_ST_SE_SF_SG_EUlST_E_NS1_11comp_targetILNS1_3genE2ELNS1_11target_archE906ELNS1_3gpuE6ELNS1_3repE0EEENS1_48merge_mergepath_partition_config_static_selectorELNS0_4arch9wavefront6targetE0EEEvSF_.private_seg_size, 0
	.set _ZN7rocprim17ROCPRIM_400000_NS6detail17trampoline_kernelINS0_14default_configENS1_38merge_sort_block_merge_config_selectorImNS0_10empty_typeEEEZZNS1_27merge_sort_block_merge_implIS3_PmPS5_jNS1_19radix_merge_compareILb0ELb1EmNS0_19identity_decomposerEEEEE10hipError_tT0_T1_T2_jT3_P12ihipStream_tbPNSt15iterator_traitsISE_E10value_typeEPNSK_ISF_E10value_typeEPSG_NS1_7vsmem_tEENKUlT_SE_SF_SG_E_clIS8_S8_S9_S9_EESD_ST_SE_SF_SG_EUlST_E_NS1_11comp_targetILNS1_3genE2ELNS1_11target_archE906ELNS1_3gpuE6ELNS1_3repE0EEENS1_48merge_mergepath_partition_config_static_selectorELNS0_4arch9wavefront6targetE0EEEvSF_.uses_vcc, 0
	.set _ZN7rocprim17ROCPRIM_400000_NS6detail17trampoline_kernelINS0_14default_configENS1_38merge_sort_block_merge_config_selectorImNS0_10empty_typeEEEZZNS1_27merge_sort_block_merge_implIS3_PmPS5_jNS1_19radix_merge_compareILb0ELb1EmNS0_19identity_decomposerEEEEE10hipError_tT0_T1_T2_jT3_P12ihipStream_tbPNSt15iterator_traitsISE_E10value_typeEPNSK_ISF_E10value_typeEPSG_NS1_7vsmem_tEENKUlT_SE_SF_SG_E_clIS8_S8_S9_S9_EESD_ST_SE_SF_SG_EUlST_E_NS1_11comp_targetILNS1_3genE2ELNS1_11target_archE906ELNS1_3gpuE6ELNS1_3repE0EEENS1_48merge_mergepath_partition_config_static_selectorELNS0_4arch9wavefront6targetE0EEEvSF_.uses_flat_scratch, 0
	.set _ZN7rocprim17ROCPRIM_400000_NS6detail17trampoline_kernelINS0_14default_configENS1_38merge_sort_block_merge_config_selectorImNS0_10empty_typeEEEZZNS1_27merge_sort_block_merge_implIS3_PmPS5_jNS1_19radix_merge_compareILb0ELb1EmNS0_19identity_decomposerEEEEE10hipError_tT0_T1_T2_jT3_P12ihipStream_tbPNSt15iterator_traitsISE_E10value_typeEPNSK_ISF_E10value_typeEPSG_NS1_7vsmem_tEENKUlT_SE_SF_SG_E_clIS8_S8_S9_S9_EESD_ST_SE_SF_SG_EUlST_E_NS1_11comp_targetILNS1_3genE2ELNS1_11target_archE906ELNS1_3gpuE6ELNS1_3repE0EEENS1_48merge_mergepath_partition_config_static_selectorELNS0_4arch9wavefront6targetE0EEEvSF_.has_dyn_sized_stack, 0
	.set _ZN7rocprim17ROCPRIM_400000_NS6detail17trampoline_kernelINS0_14default_configENS1_38merge_sort_block_merge_config_selectorImNS0_10empty_typeEEEZZNS1_27merge_sort_block_merge_implIS3_PmPS5_jNS1_19radix_merge_compareILb0ELb1EmNS0_19identity_decomposerEEEEE10hipError_tT0_T1_T2_jT3_P12ihipStream_tbPNSt15iterator_traitsISE_E10value_typeEPNSK_ISF_E10value_typeEPSG_NS1_7vsmem_tEENKUlT_SE_SF_SG_E_clIS8_S8_S9_S9_EESD_ST_SE_SF_SG_EUlST_E_NS1_11comp_targetILNS1_3genE2ELNS1_11target_archE906ELNS1_3gpuE6ELNS1_3repE0EEENS1_48merge_mergepath_partition_config_static_selectorELNS0_4arch9wavefront6targetE0EEEvSF_.has_recursion, 0
	.set _ZN7rocprim17ROCPRIM_400000_NS6detail17trampoline_kernelINS0_14default_configENS1_38merge_sort_block_merge_config_selectorImNS0_10empty_typeEEEZZNS1_27merge_sort_block_merge_implIS3_PmPS5_jNS1_19radix_merge_compareILb0ELb1EmNS0_19identity_decomposerEEEEE10hipError_tT0_T1_T2_jT3_P12ihipStream_tbPNSt15iterator_traitsISE_E10value_typeEPNSK_ISF_E10value_typeEPSG_NS1_7vsmem_tEENKUlT_SE_SF_SG_E_clIS8_S8_S9_S9_EESD_ST_SE_SF_SG_EUlST_E_NS1_11comp_targetILNS1_3genE2ELNS1_11target_archE906ELNS1_3gpuE6ELNS1_3repE0EEENS1_48merge_mergepath_partition_config_static_selectorELNS0_4arch9wavefront6targetE0EEEvSF_.has_indirect_call, 0
	.section	.AMDGPU.csdata,"",@progbits
; Kernel info:
; codeLenInByte = 0
; TotalNumSgprs: 0
; NumVgprs: 0
; ScratchSize: 0
; MemoryBound: 0
; FloatMode: 240
; IeeeMode: 1
; LDSByteSize: 0 bytes/workgroup (compile time only)
; SGPRBlocks: 0
; VGPRBlocks: 0
; NumSGPRsForWavesPerEU: 1
; NumVGPRsForWavesPerEU: 1
; NamedBarCnt: 0
; Occupancy: 16
; WaveLimiterHint : 0
; COMPUTE_PGM_RSRC2:SCRATCH_EN: 0
; COMPUTE_PGM_RSRC2:USER_SGPR: 2
; COMPUTE_PGM_RSRC2:TRAP_HANDLER: 0
; COMPUTE_PGM_RSRC2:TGID_X_EN: 1
; COMPUTE_PGM_RSRC2:TGID_Y_EN: 0
; COMPUTE_PGM_RSRC2:TGID_Z_EN: 0
; COMPUTE_PGM_RSRC2:TIDIG_COMP_CNT: 0
	.section	.text._ZN7rocprim17ROCPRIM_400000_NS6detail17trampoline_kernelINS0_14default_configENS1_38merge_sort_block_merge_config_selectorImNS0_10empty_typeEEEZZNS1_27merge_sort_block_merge_implIS3_PmPS5_jNS1_19radix_merge_compareILb0ELb1EmNS0_19identity_decomposerEEEEE10hipError_tT0_T1_T2_jT3_P12ihipStream_tbPNSt15iterator_traitsISE_E10value_typeEPNSK_ISF_E10value_typeEPSG_NS1_7vsmem_tEENKUlT_SE_SF_SG_E_clIS8_S8_S9_S9_EESD_ST_SE_SF_SG_EUlST_E_NS1_11comp_targetILNS1_3genE9ELNS1_11target_archE1100ELNS1_3gpuE3ELNS1_3repE0EEENS1_48merge_mergepath_partition_config_static_selectorELNS0_4arch9wavefront6targetE0EEEvSF_,"axG",@progbits,_ZN7rocprim17ROCPRIM_400000_NS6detail17trampoline_kernelINS0_14default_configENS1_38merge_sort_block_merge_config_selectorImNS0_10empty_typeEEEZZNS1_27merge_sort_block_merge_implIS3_PmPS5_jNS1_19radix_merge_compareILb0ELb1EmNS0_19identity_decomposerEEEEE10hipError_tT0_T1_T2_jT3_P12ihipStream_tbPNSt15iterator_traitsISE_E10value_typeEPNSK_ISF_E10value_typeEPSG_NS1_7vsmem_tEENKUlT_SE_SF_SG_E_clIS8_S8_S9_S9_EESD_ST_SE_SF_SG_EUlST_E_NS1_11comp_targetILNS1_3genE9ELNS1_11target_archE1100ELNS1_3gpuE3ELNS1_3repE0EEENS1_48merge_mergepath_partition_config_static_selectorELNS0_4arch9wavefront6targetE0EEEvSF_,comdat
	.protected	_ZN7rocprim17ROCPRIM_400000_NS6detail17trampoline_kernelINS0_14default_configENS1_38merge_sort_block_merge_config_selectorImNS0_10empty_typeEEEZZNS1_27merge_sort_block_merge_implIS3_PmPS5_jNS1_19radix_merge_compareILb0ELb1EmNS0_19identity_decomposerEEEEE10hipError_tT0_T1_T2_jT3_P12ihipStream_tbPNSt15iterator_traitsISE_E10value_typeEPNSK_ISF_E10value_typeEPSG_NS1_7vsmem_tEENKUlT_SE_SF_SG_E_clIS8_S8_S9_S9_EESD_ST_SE_SF_SG_EUlST_E_NS1_11comp_targetILNS1_3genE9ELNS1_11target_archE1100ELNS1_3gpuE3ELNS1_3repE0EEENS1_48merge_mergepath_partition_config_static_selectorELNS0_4arch9wavefront6targetE0EEEvSF_ ; -- Begin function _ZN7rocprim17ROCPRIM_400000_NS6detail17trampoline_kernelINS0_14default_configENS1_38merge_sort_block_merge_config_selectorImNS0_10empty_typeEEEZZNS1_27merge_sort_block_merge_implIS3_PmPS5_jNS1_19radix_merge_compareILb0ELb1EmNS0_19identity_decomposerEEEEE10hipError_tT0_T1_T2_jT3_P12ihipStream_tbPNSt15iterator_traitsISE_E10value_typeEPNSK_ISF_E10value_typeEPSG_NS1_7vsmem_tEENKUlT_SE_SF_SG_E_clIS8_S8_S9_S9_EESD_ST_SE_SF_SG_EUlST_E_NS1_11comp_targetILNS1_3genE9ELNS1_11target_archE1100ELNS1_3gpuE3ELNS1_3repE0EEENS1_48merge_mergepath_partition_config_static_selectorELNS0_4arch9wavefront6targetE0EEEvSF_
	.globl	_ZN7rocprim17ROCPRIM_400000_NS6detail17trampoline_kernelINS0_14default_configENS1_38merge_sort_block_merge_config_selectorImNS0_10empty_typeEEEZZNS1_27merge_sort_block_merge_implIS3_PmPS5_jNS1_19radix_merge_compareILb0ELb1EmNS0_19identity_decomposerEEEEE10hipError_tT0_T1_T2_jT3_P12ihipStream_tbPNSt15iterator_traitsISE_E10value_typeEPNSK_ISF_E10value_typeEPSG_NS1_7vsmem_tEENKUlT_SE_SF_SG_E_clIS8_S8_S9_S9_EESD_ST_SE_SF_SG_EUlST_E_NS1_11comp_targetILNS1_3genE9ELNS1_11target_archE1100ELNS1_3gpuE3ELNS1_3repE0EEENS1_48merge_mergepath_partition_config_static_selectorELNS0_4arch9wavefront6targetE0EEEvSF_
	.p2align	8
	.type	_ZN7rocprim17ROCPRIM_400000_NS6detail17trampoline_kernelINS0_14default_configENS1_38merge_sort_block_merge_config_selectorImNS0_10empty_typeEEEZZNS1_27merge_sort_block_merge_implIS3_PmPS5_jNS1_19radix_merge_compareILb0ELb1EmNS0_19identity_decomposerEEEEE10hipError_tT0_T1_T2_jT3_P12ihipStream_tbPNSt15iterator_traitsISE_E10value_typeEPNSK_ISF_E10value_typeEPSG_NS1_7vsmem_tEENKUlT_SE_SF_SG_E_clIS8_S8_S9_S9_EESD_ST_SE_SF_SG_EUlST_E_NS1_11comp_targetILNS1_3genE9ELNS1_11target_archE1100ELNS1_3gpuE3ELNS1_3repE0EEENS1_48merge_mergepath_partition_config_static_selectorELNS0_4arch9wavefront6targetE0EEEvSF_,@function
_ZN7rocprim17ROCPRIM_400000_NS6detail17trampoline_kernelINS0_14default_configENS1_38merge_sort_block_merge_config_selectorImNS0_10empty_typeEEEZZNS1_27merge_sort_block_merge_implIS3_PmPS5_jNS1_19radix_merge_compareILb0ELb1EmNS0_19identity_decomposerEEEEE10hipError_tT0_T1_T2_jT3_P12ihipStream_tbPNSt15iterator_traitsISE_E10value_typeEPNSK_ISF_E10value_typeEPSG_NS1_7vsmem_tEENKUlT_SE_SF_SG_E_clIS8_S8_S9_S9_EESD_ST_SE_SF_SG_EUlST_E_NS1_11comp_targetILNS1_3genE9ELNS1_11target_archE1100ELNS1_3gpuE3ELNS1_3repE0EEENS1_48merge_mergepath_partition_config_static_selectorELNS0_4arch9wavefront6targetE0EEEvSF_: ; @_ZN7rocprim17ROCPRIM_400000_NS6detail17trampoline_kernelINS0_14default_configENS1_38merge_sort_block_merge_config_selectorImNS0_10empty_typeEEEZZNS1_27merge_sort_block_merge_implIS3_PmPS5_jNS1_19radix_merge_compareILb0ELb1EmNS0_19identity_decomposerEEEEE10hipError_tT0_T1_T2_jT3_P12ihipStream_tbPNSt15iterator_traitsISE_E10value_typeEPNSK_ISF_E10value_typeEPSG_NS1_7vsmem_tEENKUlT_SE_SF_SG_E_clIS8_S8_S9_S9_EESD_ST_SE_SF_SG_EUlST_E_NS1_11comp_targetILNS1_3genE9ELNS1_11target_archE1100ELNS1_3gpuE3ELNS1_3repE0EEENS1_48merge_mergepath_partition_config_static_selectorELNS0_4arch9wavefront6targetE0EEEvSF_
; %bb.0:
	.section	.rodata,"a",@progbits
	.p2align	6, 0x0
	.amdhsa_kernel _ZN7rocprim17ROCPRIM_400000_NS6detail17trampoline_kernelINS0_14default_configENS1_38merge_sort_block_merge_config_selectorImNS0_10empty_typeEEEZZNS1_27merge_sort_block_merge_implIS3_PmPS5_jNS1_19radix_merge_compareILb0ELb1EmNS0_19identity_decomposerEEEEE10hipError_tT0_T1_T2_jT3_P12ihipStream_tbPNSt15iterator_traitsISE_E10value_typeEPNSK_ISF_E10value_typeEPSG_NS1_7vsmem_tEENKUlT_SE_SF_SG_E_clIS8_S8_S9_S9_EESD_ST_SE_SF_SG_EUlST_E_NS1_11comp_targetILNS1_3genE9ELNS1_11target_archE1100ELNS1_3gpuE3ELNS1_3repE0EEENS1_48merge_mergepath_partition_config_static_selectorELNS0_4arch9wavefront6targetE0EEEvSF_
		.amdhsa_group_segment_fixed_size 0
		.amdhsa_private_segment_fixed_size 0
		.amdhsa_kernarg_size 40
		.amdhsa_user_sgpr_count 2
		.amdhsa_user_sgpr_dispatch_ptr 0
		.amdhsa_user_sgpr_queue_ptr 0
		.amdhsa_user_sgpr_kernarg_segment_ptr 1
		.amdhsa_user_sgpr_dispatch_id 0
		.amdhsa_user_sgpr_kernarg_preload_length 0
		.amdhsa_user_sgpr_kernarg_preload_offset 0
		.amdhsa_user_sgpr_private_segment_size 0
		.amdhsa_wavefront_size32 1
		.amdhsa_uses_dynamic_stack 0
		.amdhsa_enable_private_segment 0
		.amdhsa_system_sgpr_workgroup_id_x 1
		.amdhsa_system_sgpr_workgroup_id_y 0
		.amdhsa_system_sgpr_workgroup_id_z 0
		.amdhsa_system_sgpr_workgroup_info 0
		.amdhsa_system_vgpr_workitem_id 0
		.amdhsa_next_free_vgpr 1
		.amdhsa_next_free_sgpr 1
		.amdhsa_named_barrier_count 0
		.amdhsa_reserve_vcc 0
		.amdhsa_float_round_mode_32 0
		.amdhsa_float_round_mode_16_64 0
		.amdhsa_float_denorm_mode_32 3
		.amdhsa_float_denorm_mode_16_64 3
		.amdhsa_fp16_overflow 0
		.amdhsa_memory_ordered 1
		.amdhsa_forward_progress 1
		.amdhsa_inst_pref_size 0
		.amdhsa_round_robin_scheduling 0
		.amdhsa_exception_fp_ieee_invalid_op 0
		.amdhsa_exception_fp_denorm_src 0
		.amdhsa_exception_fp_ieee_div_zero 0
		.amdhsa_exception_fp_ieee_overflow 0
		.amdhsa_exception_fp_ieee_underflow 0
		.amdhsa_exception_fp_ieee_inexact 0
		.amdhsa_exception_int_div_zero 0
	.end_amdhsa_kernel
	.section	.text._ZN7rocprim17ROCPRIM_400000_NS6detail17trampoline_kernelINS0_14default_configENS1_38merge_sort_block_merge_config_selectorImNS0_10empty_typeEEEZZNS1_27merge_sort_block_merge_implIS3_PmPS5_jNS1_19radix_merge_compareILb0ELb1EmNS0_19identity_decomposerEEEEE10hipError_tT0_T1_T2_jT3_P12ihipStream_tbPNSt15iterator_traitsISE_E10value_typeEPNSK_ISF_E10value_typeEPSG_NS1_7vsmem_tEENKUlT_SE_SF_SG_E_clIS8_S8_S9_S9_EESD_ST_SE_SF_SG_EUlST_E_NS1_11comp_targetILNS1_3genE9ELNS1_11target_archE1100ELNS1_3gpuE3ELNS1_3repE0EEENS1_48merge_mergepath_partition_config_static_selectorELNS0_4arch9wavefront6targetE0EEEvSF_,"axG",@progbits,_ZN7rocprim17ROCPRIM_400000_NS6detail17trampoline_kernelINS0_14default_configENS1_38merge_sort_block_merge_config_selectorImNS0_10empty_typeEEEZZNS1_27merge_sort_block_merge_implIS3_PmPS5_jNS1_19radix_merge_compareILb0ELb1EmNS0_19identity_decomposerEEEEE10hipError_tT0_T1_T2_jT3_P12ihipStream_tbPNSt15iterator_traitsISE_E10value_typeEPNSK_ISF_E10value_typeEPSG_NS1_7vsmem_tEENKUlT_SE_SF_SG_E_clIS8_S8_S9_S9_EESD_ST_SE_SF_SG_EUlST_E_NS1_11comp_targetILNS1_3genE9ELNS1_11target_archE1100ELNS1_3gpuE3ELNS1_3repE0EEENS1_48merge_mergepath_partition_config_static_selectorELNS0_4arch9wavefront6targetE0EEEvSF_,comdat
.Lfunc_end2955:
	.size	_ZN7rocprim17ROCPRIM_400000_NS6detail17trampoline_kernelINS0_14default_configENS1_38merge_sort_block_merge_config_selectorImNS0_10empty_typeEEEZZNS1_27merge_sort_block_merge_implIS3_PmPS5_jNS1_19radix_merge_compareILb0ELb1EmNS0_19identity_decomposerEEEEE10hipError_tT0_T1_T2_jT3_P12ihipStream_tbPNSt15iterator_traitsISE_E10value_typeEPNSK_ISF_E10value_typeEPSG_NS1_7vsmem_tEENKUlT_SE_SF_SG_E_clIS8_S8_S9_S9_EESD_ST_SE_SF_SG_EUlST_E_NS1_11comp_targetILNS1_3genE9ELNS1_11target_archE1100ELNS1_3gpuE3ELNS1_3repE0EEENS1_48merge_mergepath_partition_config_static_selectorELNS0_4arch9wavefront6targetE0EEEvSF_, .Lfunc_end2955-_ZN7rocprim17ROCPRIM_400000_NS6detail17trampoline_kernelINS0_14default_configENS1_38merge_sort_block_merge_config_selectorImNS0_10empty_typeEEEZZNS1_27merge_sort_block_merge_implIS3_PmPS5_jNS1_19radix_merge_compareILb0ELb1EmNS0_19identity_decomposerEEEEE10hipError_tT0_T1_T2_jT3_P12ihipStream_tbPNSt15iterator_traitsISE_E10value_typeEPNSK_ISF_E10value_typeEPSG_NS1_7vsmem_tEENKUlT_SE_SF_SG_E_clIS8_S8_S9_S9_EESD_ST_SE_SF_SG_EUlST_E_NS1_11comp_targetILNS1_3genE9ELNS1_11target_archE1100ELNS1_3gpuE3ELNS1_3repE0EEENS1_48merge_mergepath_partition_config_static_selectorELNS0_4arch9wavefront6targetE0EEEvSF_
                                        ; -- End function
	.set _ZN7rocprim17ROCPRIM_400000_NS6detail17trampoline_kernelINS0_14default_configENS1_38merge_sort_block_merge_config_selectorImNS0_10empty_typeEEEZZNS1_27merge_sort_block_merge_implIS3_PmPS5_jNS1_19radix_merge_compareILb0ELb1EmNS0_19identity_decomposerEEEEE10hipError_tT0_T1_T2_jT3_P12ihipStream_tbPNSt15iterator_traitsISE_E10value_typeEPNSK_ISF_E10value_typeEPSG_NS1_7vsmem_tEENKUlT_SE_SF_SG_E_clIS8_S8_S9_S9_EESD_ST_SE_SF_SG_EUlST_E_NS1_11comp_targetILNS1_3genE9ELNS1_11target_archE1100ELNS1_3gpuE3ELNS1_3repE0EEENS1_48merge_mergepath_partition_config_static_selectorELNS0_4arch9wavefront6targetE0EEEvSF_.num_vgpr, 0
	.set _ZN7rocprim17ROCPRIM_400000_NS6detail17trampoline_kernelINS0_14default_configENS1_38merge_sort_block_merge_config_selectorImNS0_10empty_typeEEEZZNS1_27merge_sort_block_merge_implIS3_PmPS5_jNS1_19radix_merge_compareILb0ELb1EmNS0_19identity_decomposerEEEEE10hipError_tT0_T1_T2_jT3_P12ihipStream_tbPNSt15iterator_traitsISE_E10value_typeEPNSK_ISF_E10value_typeEPSG_NS1_7vsmem_tEENKUlT_SE_SF_SG_E_clIS8_S8_S9_S9_EESD_ST_SE_SF_SG_EUlST_E_NS1_11comp_targetILNS1_3genE9ELNS1_11target_archE1100ELNS1_3gpuE3ELNS1_3repE0EEENS1_48merge_mergepath_partition_config_static_selectorELNS0_4arch9wavefront6targetE0EEEvSF_.num_agpr, 0
	.set _ZN7rocprim17ROCPRIM_400000_NS6detail17trampoline_kernelINS0_14default_configENS1_38merge_sort_block_merge_config_selectorImNS0_10empty_typeEEEZZNS1_27merge_sort_block_merge_implIS3_PmPS5_jNS1_19radix_merge_compareILb0ELb1EmNS0_19identity_decomposerEEEEE10hipError_tT0_T1_T2_jT3_P12ihipStream_tbPNSt15iterator_traitsISE_E10value_typeEPNSK_ISF_E10value_typeEPSG_NS1_7vsmem_tEENKUlT_SE_SF_SG_E_clIS8_S8_S9_S9_EESD_ST_SE_SF_SG_EUlST_E_NS1_11comp_targetILNS1_3genE9ELNS1_11target_archE1100ELNS1_3gpuE3ELNS1_3repE0EEENS1_48merge_mergepath_partition_config_static_selectorELNS0_4arch9wavefront6targetE0EEEvSF_.numbered_sgpr, 0
	.set _ZN7rocprim17ROCPRIM_400000_NS6detail17trampoline_kernelINS0_14default_configENS1_38merge_sort_block_merge_config_selectorImNS0_10empty_typeEEEZZNS1_27merge_sort_block_merge_implIS3_PmPS5_jNS1_19radix_merge_compareILb0ELb1EmNS0_19identity_decomposerEEEEE10hipError_tT0_T1_T2_jT3_P12ihipStream_tbPNSt15iterator_traitsISE_E10value_typeEPNSK_ISF_E10value_typeEPSG_NS1_7vsmem_tEENKUlT_SE_SF_SG_E_clIS8_S8_S9_S9_EESD_ST_SE_SF_SG_EUlST_E_NS1_11comp_targetILNS1_3genE9ELNS1_11target_archE1100ELNS1_3gpuE3ELNS1_3repE0EEENS1_48merge_mergepath_partition_config_static_selectorELNS0_4arch9wavefront6targetE0EEEvSF_.num_named_barrier, 0
	.set _ZN7rocprim17ROCPRIM_400000_NS6detail17trampoline_kernelINS0_14default_configENS1_38merge_sort_block_merge_config_selectorImNS0_10empty_typeEEEZZNS1_27merge_sort_block_merge_implIS3_PmPS5_jNS1_19radix_merge_compareILb0ELb1EmNS0_19identity_decomposerEEEEE10hipError_tT0_T1_T2_jT3_P12ihipStream_tbPNSt15iterator_traitsISE_E10value_typeEPNSK_ISF_E10value_typeEPSG_NS1_7vsmem_tEENKUlT_SE_SF_SG_E_clIS8_S8_S9_S9_EESD_ST_SE_SF_SG_EUlST_E_NS1_11comp_targetILNS1_3genE9ELNS1_11target_archE1100ELNS1_3gpuE3ELNS1_3repE0EEENS1_48merge_mergepath_partition_config_static_selectorELNS0_4arch9wavefront6targetE0EEEvSF_.private_seg_size, 0
	.set _ZN7rocprim17ROCPRIM_400000_NS6detail17trampoline_kernelINS0_14default_configENS1_38merge_sort_block_merge_config_selectorImNS0_10empty_typeEEEZZNS1_27merge_sort_block_merge_implIS3_PmPS5_jNS1_19radix_merge_compareILb0ELb1EmNS0_19identity_decomposerEEEEE10hipError_tT0_T1_T2_jT3_P12ihipStream_tbPNSt15iterator_traitsISE_E10value_typeEPNSK_ISF_E10value_typeEPSG_NS1_7vsmem_tEENKUlT_SE_SF_SG_E_clIS8_S8_S9_S9_EESD_ST_SE_SF_SG_EUlST_E_NS1_11comp_targetILNS1_3genE9ELNS1_11target_archE1100ELNS1_3gpuE3ELNS1_3repE0EEENS1_48merge_mergepath_partition_config_static_selectorELNS0_4arch9wavefront6targetE0EEEvSF_.uses_vcc, 0
	.set _ZN7rocprim17ROCPRIM_400000_NS6detail17trampoline_kernelINS0_14default_configENS1_38merge_sort_block_merge_config_selectorImNS0_10empty_typeEEEZZNS1_27merge_sort_block_merge_implIS3_PmPS5_jNS1_19radix_merge_compareILb0ELb1EmNS0_19identity_decomposerEEEEE10hipError_tT0_T1_T2_jT3_P12ihipStream_tbPNSt15iterator_traitsISE_E10value_typeEPNSK_ISF_E10value_typeEPSG_NS1_7vsmem_tEENKUlT_SE_SF_SG_E_clIS8_S8_S9_S9_EESD_ST_SE_SF_SG_EUlST_E_NS1_11comp_targetILNS1_3genE9ELNS1_11target_archE1100ELNS1_3gpuE3ELNS1_3repE0EEENS1_48merge_mergepath_partition_config_static_selectorELNS0_4arch9wavefront6targetE0EEEvSF_.uses_flat_scratch, 0
	.set _ZN7rocprim17ROCPRIM_400000_NS6detail17trampoline_kernelINS0_14default_configENS1_38merge_sort_block_merge_config_selectorImNS0_10empty_typeEEEZZNS1_27merge_sort_block_merge_implIS3_PmPS5_jNS1_19radix_merge_compareILb0ELb1EmNS0_19identity_decomposerEEEEE10hipError_tT0_T1_T2_jT3_P12ihipStream_tbPNSt15iterator_traitsISE_E10value_typeEPNSK_ISF_E10value_typeEPSG_NS1_7vsmem_tEENKUlT_SE_SF_SG_E_clIS8_S8_S9_S9_EESD_ST_SE_SF_SG_EUlST_E_NS1_11comp_targetILNS1_3genE9ELNS1_11target_archE1100ELNS1_3gpuE3ELNS1_3repE0EEENS1_48merge_mergepath_partition_config_static_selectorELNS0_4arch9wavefront6targetE0EEEvSF_.has_dyn_sized_stack, 0
	.set _ZN7rocprim17ROCPRIM_400000_NS6detail17trampoline_kernelINS0_14default_configENS1_38merge_sort_block_merge_config_selectorImNS0_10empty_typeEEEZZNS1_27merge_sort_block_merge_implIS3_PmPS5_jNS1_19radix_merge_compareILb0ELb1EmNS0_19identity_decomposerEEEEE10hipError_tT0_T1_T2_jT3_P12ihipStream_tbPNSt15iterator_traitsISE_E10value_typeEPNSK_ISF_E10value_typeEPSG_NS1_7vsmem_tEENKUlT_SE_SF_SG_E_clIS8_S8_S9_S9_EESD_ST_SE_SF_SG_EUlST_E_NS1_11comp_targetILNS1_3genE9ELNS1_11target_archE1100ELNS1_3gpuE3ELNS1_3repE0EEENS1_48merge_mergepath_partition_config_static_selectorELNS0_4arch9wavefront6targetE0EEEvSF_.has_recursion, 0
	.set _ZN7rocprim17ROCPRIM_400000_NS6detail17trampoline_kernelINS0_14default_configENS1_38merge_sort_block_merge_config_selectorImNS0_10empty_typeEEEZZNS1_27merge_sort_block_merge_implIS3_PmPS5_jNS1_19radix_merge_compareILb0ELb1EmNS0_19identity_decomposerEEEEE10hipError_tT0_T1_T2_jT3_P12ihipStream_tbPNSt15iterator_traitsISE_E10value_typeEPNSK_ISF_E10value_typeEPSG_NS1_7vsmem_tEENKUlT_SE_SF_SG_E_clIS8_S8_S9_S9_EESD_ST_SE_SF_SG_EUlST_E_NS1_11comp_targetILNS1_3genE9ELNS1_11target_archE1100ELNS1_3gpuE3ELNS1_3repE0EEENS1_48merge_mergepath_partition_config_static_selectorELNS0_4arch9wavefront6targetE0EEEvSF_.has_indirect_call, 0
	.section	.AMDGPU.csdata,"",@progbits
; Kernel info:
; codeLenInByte = 0
; TotalNumSgprs: 0
; NumVgprs: 0
; ScratchSize: 0
; MemoryBound: 0
; FloatMode: 240
; IeeeMode: 1
; LDSByteSize: 0 bytes/workgroup (compile time only)
; SGPRBlocks: 0
; VGPRBlocks: 0
; NumSGPRsForWavesPerEU: 1
; NumVGPRsForWavesPerEU: 1
; NamedBarCnt: 0
; Occupancy: 16
; WaveLimiterHint : 0
; COMPUTE_PGM_RSRC2:SCRATCH_EN: 0
; COMPUTE_PGM_RSRC2:USER_SGPR: 2
; COMPUTE_PGM_RSRC2:TRAP_HANDLER: 0
; COMPUTE_PGM_RSRC2:TGID_X_EN: 1
; COMPUTE_PGM_RSRC2:TGID_Y_EN: 0
; COMPUTE_PGM_RSRC2:TGID_Z_EN: 0
; COMPUTE_PGM_RSRC2:TIDIG_COMP_CNT: 0
	.section	.text._ZN7rocprim17ROCPRIM_400000_NS6detail17trampoline_kernelINS0_14default_configENS1_38merge_sort_block_merge_config_selectorImNS0_10empty_typeEEEZZNS1_27merge_sort_block_merge_implIS3_PmPS5_jNS1_19radix_merge_compareILb0ELb1EmNS0_19identity_decomposerEEEEE10hipError_tT0_T1_T2_jT3_P12ihipStream_tbPNSt15iterator_traitsISE_E10value_typeEPNSK_ISF_E10value_typeEPSG_NS1_7vsmem_tEENKUlT_SE_SF_SG_E_clIS8_S8_S9_S9_EESD_ST_SE_SF_SG_EUlST_E_NS1_11comp_targetILNS1_3genE8ELNS1_11target_archE1030ELNS1_3gpuE2ELNS1_3repE0EEENS1_48merge_mergepath_partition_config_static_selectorELNS0_4arch9wavefront6targetE0EEEvSF_,"axG",@progbits,_ZN7rocprim17ROCPRIM_400000_NS6detail17trampoline_kernelINS0_14default_configENS1_38merge_sort_block_merge_config_selectorImNS0_10empty_typeEEEZZNS1_27merge_sort_block_merge_implIS3_PmPS5_jNS1_19radix_merge_compareILb0ELb1EmNS0_19identity_decomposerEEEEE10hipError_tT0_T1_T2_jT3_P12ihipStream_tbPNSt15iterator_traitsISE_E10value_typeEPNSK_ISF_E10value_typeEPSG_NS1_7vsmem_tEENKUlT_SE_SF_SG_E_clIS8_S8_S9_S9_EESD_ST_SE_SF_SG_EUlST_E_NS1_11comp_targetILNS1_3genE8ELNS1_11target_archE1030ELNS1_3gpuE2ELNS1_3repE0EEENS1_48merge_mergepath_partition_config_static_selectorELNS0_4arch9wavefront6targetE0EEEvSF_,comdat
	.protected	_ZN7rocprim17ROCPRIM_400000_NS6detail17trampoline_kernelINS0_14default_configENS1_38merge_sort_block_merge_config_selectorImNS0_10empty_typeEEEZZNS1_27merge_sort_block_merge_implIS3_PmPS5_jNS1_19radix_merge_compareILb0ELb1EmNS0_19identity_decomposerEEEEE10hipError_tT0_T1_T2_jT3_P12ihipStream_tbPNSt15iterator_traitsISE_E10value_typeEPNSK_ISF_E10value_typeEPSG_NS1_7vsmem_tEENKUlT_SE_SF_SG_E_clIS8_S8_S9_S9_EESD_ST_SE_SF_SG_EUlST_E_NS1_11comp_targetILNS1_3genE8ELNS1_11target_archE1030ELNS1_3gpuE2ELNS1_3repE0EEENS1_48merge_mergepath_partition_config_static_selectorELNS0_4arch9wavefront6targetE0EEEvSF_ ; -- Begin function _ZN7rocprim17ROCPRIM_400000_NS6detail17trampoline_kernelINS0_14default_configENS1_38merge_sort_block_merge_config_selectorImNS0_10empty_typeEEEZZNS1_27merge_sort_block_merge_implIS3_PmPS5_jNS1_19radix_merge_compareILb0ELb1EmNS0_19identity_decomposerEEEEE10hipError_tT0_T1_T2_jT3_P12ihipStream_tbPNSt15iterator_traitsISE_E10value_typeEPNSK_ISF_E10value_typeEPSG_NS1_7vsmem_tEENKUlT_SE_SF_SG_E_clIS8_S8_S9_S9_EESD_ST_SE_SF_SG_EUlST_E_NS1_11comp_targetILNS1_3genE8ELNS1_11target_archE1030ELNS1_3gpuE2ELNS1_3repE0EEENS1_48merge_mergepath_partition_config_static_selectorELNS0_4arch9wavefront6targetE0EEEvSF_
	.globl	_ZN7rocprim17ROCPRIM_400000_NS6detail17trampoline_kernelINS0_14default_configENS1_38merge_sort_block_merge_config_selectorImNS0_10empty_typeEEEZZNS1_27merge_sort_block_merge_implIS3_PmPS5_jNS1_19radix_merge_compareILb0ELb1EmNS0_19identity_decomposerEEEEE10hipError_tT0_T1_T2_jT3_P12ihipStream_tbPNSt15iterator_traitsISE_E10value_typeEPNSK_ISF_E10value_typeEPSG_NS1_7vsmem_tEENKUlT_SE_SF_SG_E_clIS8_S8_S9_S9_EESD_ST_SE_SF_SG_EUlST_E_NS1_11comp_targetILNS1_3genE8ELNS1_11target_archE1030ELNS1_3gpuE2ELNS1_3repE0EEENS1_48merge_mergepath_partition_config_static_selectorELNS0_4arch9wavefront6targetE0EEEvSF_
	.p2align	8
	.type	_ZN7rocprim17ROCPRIM_400000_NS6detail17trampoline_kernelINS0_14default_configENS1_38merge_sort_block_merge_config_selectorImNS0_10empty_typeEEEZZNS1_27merge_sort_block_merge_implIS3_PmPS5_jNS1_19radix_merge_compareILb0ELb1EmNS0_19identity_decomposerEEEEE10hipError_tT0_T1_T2_jT3_P12ihipStream_tbPNSt15iterator_traitsISE_E10value_typeEPNSK_ISF_E10value_typeEPSG_NS1_7vsmem_tEENKUlT_SE_SF_SG_E_clIS8_S8_S9_S9_EESD_ST_SE_SF_SG_EUlST_E_NS1_11comp_targetILNS1_3genE8ELNS1_11target_archE1030ELNS1_3gpuE2ELNS1_3repE0EEENS1_48merge_mergepath_partition_config_static_selectorELNS0_4arch9wavefront6targetE0EEEvSF_,@function
_ZN7rocprim17ROCPRIM_400000_NS6detail17trampoline_kernelINS0_14default_configENS1_38merge_sort_block_merge_config_selectorImNS0_10empty_typeEEEZZNS1_27merge_sort_block_merge_implIS3_PmPS5_jNS1_19radix_merge_compareILb0ELb1EmNS0_19identity_decomposerEEEEE10hipError_tT0_T1_T2_jT3_P12ihipStream_tbPNSt15iterator_traitsISE_E10value_typeEPNSK_ISF_E10value_typeEPSG_NS1_7vsmem_tEENKUlT_SE_SF_SG_E_clIS8_S8_S9_S9_EESD_ST_SE_SF_SG_EUlST_E_NS1_11comp_targetILNS1_3genE8ELNS1_11target_archE1030ELNS1_3gpuE2ELNS1_3repE0EEENS1_48merge_mergepath_partition_config_static_selectorELNS0_4arch9wavefront6targetE0EEEvSF_: ; @_ZN7rocprim17ROCPRIM_400000_NS6detail17trampoline_kernelINS0_14default_configENS1_38merge_sort_block_merge_config_selectorImNS0_10empty_typeEEEZZNS1_27merge_sort_block_merge_implIS3_PmPS5_jNS1_19radix_merge_compareILb0ELb1EmNS0_19identity_decomposerEEEEE10hipError_tT0_T1_T2_jT3_P12ihipStream_tbPNSt15iterator_traitsISE_E10value_typeEPNSK_ISF_E10value_typeEPSG_NS1_7vsmem_tEENKUlT_SE_SF_SG_E_clIS8_S8_S9_S9_EESD_ST_SE_SF_SG_EUlST_E_NS1_11comp_targetILNS1_3genE8ELNS1_11target_archE1030ELNS1_3gpuE2ELNS1_3repE0EEENS1_48merge_mergepath_partition_config_static_selectorELNS0_4arch9wavefront6targetE0EEEvSF_
; %bb.0:
	.section	.rodata,"a",@progbits
	.p2align	6, 0x0
	.amdhsa_kernel _ZN7rocprim17ROCPRIM_400000_NS6detail17trampoline_kernelINS0_14default_configENS1_38merge_sort_block_merge_config_selectorImNS0_10empty_typeEEEZZNS1_27merge_sort_block_merge_implIS3_PmPS5_jNS1_19radix_merge_compareILb0ELb1EmNS0_19identity_decomposerEEEEE10hipError_tT0_T1_T2_jT3_P12ihipStream_tbPNSt15iterator_traitsISE_E10value_typeEPNSK_ISF_E10value_typeEPSG_NS1_7vsmem_tEENKUlT_SE_SF_SG_E_clIS8_S8_S9_S9_EESD_ST_SE_SF_SG_EUlST_E_NS1_11comp_targetILNS1_3genE8ELNS1_11target_archE1030ELNS1_3gpuE2ELNS1_3repE0EEENS1_48merge_mergepath_partition_config_static_selectorELNS0_4arch9wavefront6targetE0EEEvSF_
		.amdhsa_group_segment_fixed_size 0
		.amdhsa_private_segment_fixed_size 0
		.amdhsa_kernarg_size 40
		.amdhsa_user_sgpr_count 2
		.amdhsa_user_sgpr_dispatch_ptr 0
		.amdhsa_user_sgpr_queue_ptr 0
		.amdhsa_user_sgpr_kernarg_segment_ptr 1
		.amdhsa_user_sgpr_dispatch_id 0
		.amdhsa_user_sgpr_kernarg_preload_length 0
		.amdhsa_user_sgpr_kernarg_preload_offset 0
		.amdhsa_user_sgpr_private_segment_size 0
		.amdhsa_wavefront_size32 1
		.amdhsa_uses_dynamic_stack 0
		.amdhsa_enable_private_segment 0
		.amdhsa_system_sgpr_workgroup_id_x 1
		.amdhsa_system_sgpr_workgroup_id_y 0
		.amdhsa_system_sgpr_workgroup_id_z 0
		.amdhsa_system_sgpr_workgroup_info 0
		.amdhsa_system_vgpr_workitem_id 0
		.amdhsa_next_free_vgpr 1
		.amdhsa_next_free_sgpr 1
		.amdhsa_named_barrier_count 0
		.amdhsa_reserve_vcc 0
		.amdhsa_float_round_mode_32 0
		.amdhsa_float_round_mode_16_64 0
		.amdhsa_float_denorm_mode_32 3
		.amdhsa_float_denorm_mode_16_64 3
		.amdhsa_fp16_overflow 0
		.amdhsa_memory_ordered 1
		.amdhsa_forward_progress 1
		.amdhsa_inst_pref_size 0
		.amdhsa_round_robin_scheduling 0
		.amdhsa_exception_fp_ieee_invalid_op 0
		.amdhsa_exception_fp_denorm_src 0
		.amdhsa_exception_fp_ieee_div_zero 0
		.amdhsa_exception_fp_ieee_overflow 0
		.amdhsa_exception_fp_ieee_underflow 0
		.amdhsa_exception_fp_ieee_inexact 0
		.amdhsa_exception_int_div_zero 0
	.end_amdhsa_kernel
	.section	.text._ZN7rocprim17ROCPRIM_400000_NS6detail17trampoline_kernelINS0_14default_configENS1_38merge_sort_block_merge_config_selectorImNS0_10empty_typeEEEZZNS1_27merge_sort_block_merge_implIS3_PmPS5_jNS1_19radix_merge_compareILb0ELb1EmNS0_19identity_decomposerEEEEE10hipError_tT0_T1_T2_jT3_P12ihipStream_tbPNSt15iterator_traitsISE_E10value_typeEPNSK_ISF_E10value_typeEPSG_NS1_7vsmem_tEENKUlT_SE_SF_SG_E_clIS8_S8_S9_S9_EESD_ST_SE_SF_SG_EUlST_E_NS1_11comp_targetILNS1_3genE8ELNS1_11target_archE1030ELNS1_3gpuE2ELNS1_3repE0EEENS1_48merge_mergepath_partition_config_static_selectorELNS0_4arch9wavefront6targetE0EEEvSF_,"axG",@progbits,_ZN7rocprim17ROCPRIM_400000_NS6detail17trampoline_kernelINS0_14default_configENS1_38merge_sort_block_merge_config_selectorImNS0_10empty_typeEEEZZNS1_27merge_sort_block_merge_implIS3_PmPS5_jNS1_19radix_merge_compareILb0ELb1EmNS0_19identity_decomposerEEEEE10hipError_tT0_T1_T2_jT3_P12ihipStream_tbPNSt15iterator_traitsISE_E10value_typeEPNSK_ISF_E10value_typeEPSG_NS1_7vsmem_tEENKUlT_SE_SF_SG_E_clIS8_S8_S9_S9_EESD_ST_SE_SF_SG_EUlST_E_NS1_11comp_targetILNS1_3genE8ELNS1_11target_archE1030ELNS1_3gpuE2ELNS1_3repE0EEENS1_48merge_mergepath_partition_config_static_selectorELNS0_4arch9wavefront6targetE0EEEvSF_,comdat
.Lfunc_end2956:
	.size	_ZN7rocprim17ROCPRIM_400000_NS6detail17trampoline_kernelINS0_14default_configENS1_38merge_sort_block_merge_config_selectorImNS0_10empty_typeEEEZZNS1_27merge_sort_block_merge_implIS3_PmPS5_jNS1_19radix_merge_compareILb0ELb1EmNS0_19identity_decomposerEEEEE10hipError_tT0_T1_T2_jT3_P12ihipStream_tbPNSt15iterator_traitsISE_E10value_typeEPNSK_ISF_E10value_typeEPSG_NS1_7vsmem_tEENKUlT_SE_SF_SG_E_clIS8_S8_S9_S9_EESD_ST_SE_SF_SG_EUlST_E_NS1_11comp_targetILNS1_3genE8ELNS1_11target_archE1030ELNS1_3gpuE2ELNS1_3repE0EEENS1_48merge_mergepath_partition_config_static_selectorELNS0_4arch9wavefront6targetE0EEEvSF_, .Lfunc_end2956-_ZN7rocprim17ROCPRIM_400000_NS6detail17trampoline_kernelINS0_14default_configENS1_38merge_sort_block_merge_config_selectorImNS0_10empty_typeEEEZZNS1_27merge_sort_block_merge_implIS3_PmPS5_jNS1_19radix_merge_compareILb0ELb1EmNS0_19identity_decomposerEEEEE10hipError_tT0_T1_T2_jT3_P12ihipStream_tbPNSt15iterator_traitsISE_E10value_typeEPNSK_ISF_E10value_typeEPSG_NS1_7vsmem_tEENKUlT_SE_SF_SG_E_clIS8_S8_S9_S9_EESD_ST_SE_SF_SG_EUlST_E_NS1_11comp_targetILNS1_3genE8ELNS1_11target_archE1030ELNS1_3gpuE2ELNS1_3repE0EEENS1_48merge_mergepath_partition_config_static_selectorELNS0_4arch9wavefront6targetE0EEEvSF_
                                        ; -- End function
	.set _ZN7rocprim17ROCPRIM_400000_NS6detail17trampoline_kernelINS0_14default_configENS1_38merge_sort_block_merge_config_selectorImNS0_10empty_typeEEEZZNS1_27merge_sort_block_merge_implIS3_PmPS5_jNS1_19radix_merge_compareILb0ELb1EmNS0_19identity_decomposerEEEEE10hipError_tT0_T1_T2_jT3_P12ihipStream_tbPNSt15iterator_traitsISE_E10value_typeEPNSK_ISF_E10value_typeEPSG_NS1_7vsmem_tEENKUlT_SE_SF_SG_E_clIS8_S8_S9_S9_EESD_ST_SE_SF_SG_EUlST_E_NS1_11comp_targetILNS1_3genE8ELNS1_11target_archE1030ELNS1_3gpuE2ELNS1_3repE0EEENS1_48merge_mergepath_partition_config_static_selectorELNS0_4arch9wavefront6targetE0EEEvSF_.num_vgpr, 0
	.set _ZN7rocprim17ROCPRIM_400000_NS6detail17trampoline_kernelINS0_14default_configENS1_38merge_sort_block_merge_config_selectorImNS0_10empty_typeEEEZZNS1_27merge_sort_block_merge_implIS3_PmPS5_jNS1_19radix_merge_compareILb0ELb1EmNS0_19identity_decomposerEEEEE10hipError_tT0_T1_T2_jT3_P12ihipStream_tbPNSt15iterator_traitsISE_E10value_typeEPNSK_ISF_E10value_typeEPSG_NS1_7vsmem_tEENKUlT_SE_SF_SG_E_clIS8_S8_S9_S9_EESD_ST_SE_SF_SG_EUlST_E_NS1_11comp_targetILNS1_3genE8ELNS1_11target_archE1030ELNS1_3gpuE2ELNS1_3repE0EEENS1_48merge_mergepath_partition_config_static_selectorELNS0_4arch9wavefront6targetE0EEEvSF_.num_agpr, 0
	.set _ZN7rocprim17ROCPRIM_400000_NS6detail17trampoline_kernelINS0_14default_configENS1_38merge_sort_block_merge_config_selectorImNS0_10empty_typeEEEZZNS1_27merge_sort_block_merge_implIS3_PmPS5_jNS1_19radix_merge_compareILb0ELb1EmNS0_19identity_decomposerEEEEE10hipError_tT0_T1_T2_jT3_P12ihipStream_tbPNSt15iterator_traitsISE_E10value_typeEPNSK_ISF_E10value_typeEPSG_NS1_7vsmem_tEENKUlT_SE_SF_SG_E_clIS8_S8_S9_S9_EESD_ST_SE_SF_SG_EUlST_E_NS1_11comp_targetILNS1_3genE8ELNS1_11target_archE1030ELNS1_3gpuE2ELNS1_3repE0EEENS1_48merge_mergepath_partition_config_static_selectorELNS0_4arch9wavefront6targetE0EEEvSF_.numbered_sgpr, 0
	.set _ZN7rocprim17ROCPRIM_400000_NS6detail17trampoline_kernelINS0_14default_configENS1_38merge_sort_block_merge_config_selectorImNS0_10empty_typeEEEZZNS1_27merge_sort_block_merge_implIS3_PmPS5_jNS1_19radix_merge_compareILb0ELb1EmNS0_19identity_decomposerEEEEE10hipError_tT0_T1_T2_jT3_P12ihipStream_tbPNSt15iterator_traitsISE_E10value_typeEPNSK_ISF_E10value_typeEPSG_NS1_7vsmem_tEENKUlT_SE_SF_SG_E_clIS8_S8_S9_S9_EESD_ST_SE_SF_SG_EUlST_E_NS1_11comp_targetILNS1_3genE8ELNS1_11target_archE1030ELNS1_3gpuE2ELNS1_3repE0EEENS1_48merge_mergepath_partition_config_static_selectorELNS0_4arch9wavefront6targetE0EEEvSF_.num_named_barrier, 0
	.set _ZN7rocprim17ROCPRIM_400000_NS6detail17trampoline_kernelINS0_14default_configENS1_38merge_sort_block_merge_config_selectorImNS0_10empty_typeEEEZZNS1_27merge_sort_block_merge_implIS3_PmPS5_jNS1_19radix_merge_compareILb0ELb1EmNS0_19identity_decomposerEEEEE10hipError_tT0_T1_T2_jT3_P12ihipStream_tbPNSt15iterator_traitsISE_E10value_typeEPNSK_ISF_E10value_typeEPSG_NS1_7vsmem_tEENKUlT_SE_SF_SG_E_clIS8_S8_S9_S9_EESD_ST_SE_SF_SG_EUlST_E_NS1_11comp_targetILNS1_3genE8ELNS1_11target_archE1030ELNS1_3gpuE2ELNS1_3repE0EEENS1_48merge_mergepath_partition_config_static_selectorELNS0_4arch9wavefront6targetE0EEEvSF_.private_seg_size, 0
	.set _ZN7rocprim17ROCPRIM_400000_NS6detail17trampoline_kernelINS0_14default_configENS1_38merge_sort_block_merge_config_selectorImNS0_10empty_typeEEEZZNS1_27merge_sort_block_merge_implIS3_PmPS5_jNS1_19radix_merge_compareILb0ELb1EmNS0_19identity_decomposerEEEEE10hipError_tT0_T1_T2_jT3_P12ihipStream_tbPNSt15iterator_traitsISE_E10value_typeEPNSK_ISF_E10value_typeEPSG_NS1_7vsmem_tEENKUlT_SE_SF_SG_E_clIS8_S8_S9_S9_EESD_ST_SE_SF_SG_EUlST_E_NS1_11comp_targetILNS1_3genE8ELNS1_11target_archE1030ELNS1_3gpuE2ELNS1_3repE0EEENS1_48merge_mergepath_partition_config_static_selectorELNS0_4arch9wavefront6targetE0EEEvSF_.uses_vcc, 0
	.set _ZN7rocprim17ROCPRIM_400000_NS6detail17trampoline_kernelINS0_14default_configENS1_38merge_sort_block_merge_config_selectorImNS0_10empty_typeEEEZZNS1_27merge_sort_block_merge_implIS3_PmPS5_jNS1_19radix_merge_compareILb0ELb1EmNS0_19identity_decomposerEEEEE10hipError_tT0_T1_T2_jT3_P12ihipStream_tbPNSt15iterator_traitsISE_E10value_typeEPNSK_ISF_E10value_typeEPSG_NS1_7vsmem_tEENKUlT_SE_SF_SG_E_clIS8_S8_S9_S9_EESD_ST_SE_SF_SG_EUlST_E_NS1_11comp_targetILNS1_3genE8ELNS1_11target_archE1030ELNS1_3gpuE2ELNS1_3repE0EEENS1_48merge_mergepath_partition_config_static_selectorELNS0_4arch9wavefront6targetE0EEEvSF_.uses_flat_scratch, 0
	.set _ZN7rocprim17ROCPRIM_400000_NS6detail17trampoline_kernelINS0_14default_configENS1_38merge_sort_block_merge_config_selectorImNS0_10empty_typeEEEZZNS1_27merge_sort_block_merge_implIS3_PmPS5_jNS1_19radix_merge_compareILb0ELb1EmNS0_19identity_decomposerEEEEE10hipError_tT0_T1_T2_jT3_P12ihipStream_tbPNSt15iterator_traitsISE_E10value_typeEPNSK_ISF_E10value_typeEPSG_NS1_7vsmem_tEENKUlT_SE_SF_SG_E_clIS8_S8_S9_S9_EESD_ST_SE_SF_SG_EUlST_E_NS1_11comp_targetILNS1_3genE8ELNS1_11target_archE1030ELNS1_3gpuE2ELNS1_3repE0EEENS1_48merge_mergepath_partition_config_static_selectorELNS0_4arch9wavefront6targetE0EEEvSF_.has_dyn_sized_stack, 0
	.set _ZN7rocprim17ROCPRIM_400000_NS6detail17trampoline_kernelINS0_14default_configENS1_38merge_sort_block_merge_config_selectorImNS0_10empty_typeEEEZZNS1_27merge_sort_block_merge_implIS3_PmPS5_jNS1_19radix_merge_compareILb0ELb1EmNS0_19identity_decomposerEEEEE10hipError_tT0_T1_T2_jT3_P12ihipStream_tbPNSt15iterator_traitsISE_E10value_typeEPNSK_ISF_E10value_typeEPSG_NS1_7vsmem_tEENKUlT_SE_SF_SG_E_clIS8_S8_S9_S9_EESD_ST_SE_SF_SG_EUlST_E_NS1_11comp_targetILNS1_3genE8ELNS1_11target_archE1030ELNS1_3gpuE2ELNS1_3repE0EEENS1_48merge_mergepath_partition_config_static_selectorELNS0_4arch9wavefront6targetE0EEEvSF_.has_recursion, 0
	.set _ZN7rocprim17ROCPRIM_400000_NS6detail17trampoline_kernelINS0_14default_configENS1_38merge_sort_block_merge_config_selectorImNS0_10empty_typeEEEZZNS1_27merge_sort_block_merge_implIS3_PmPS5_jNS1_19radix_merge_compareILb0ELb1EmNS0_19identity_decomposerEEEEE10hipError_tT0_T1_T2_jT3_P12ihipStream_tbPNSt15iterator_traitsISE_E10value_typeEPNSK_ISF_E10value_typeEPSG_NS1_7vsmem_tEENKUlT_SE_SF_SG_E_clIS8_S8_S9_S9_EESD_ST_SE_SF_SG_EUlST_E_NS1_11comp_targetILNS1_3genE8ELNS1_11target_archE1030ELNS1_3gpuE2ELNS1_3repE0EEENS1_48merge_mergepath_partition_config_static_selectorELNS0_4arch9wavefront6targetE0EEEvSF_.has_indirect_call, 0
	.section	.AMDGPU.csdata,"",@progbits
; Kernel info:
; codeLenInByte = 0
; TotalNumSgprs: 0
; NumVgprs: 0
; ScratchSize: 0
; MemoryBound: 0
; FloatMode: 240
; IeeeMode: 1
; LDSByteSize: 0 bytes/workgroup (compile time only)
; SGPRBlocks: 0
; VGPRBlocks: 0
; NumSGPRsForWavesPerEU: 1
; NumVGPRsForWavesPerEU: 1
; NamedBarCnt: 0
; Occupancy: 16
; WaveLimiterHint : 0
; COMPUTE_PGM_RSRC2:SCRATCH_EN: 0
; COMPUTE_PGM_RSRC2:USER_SGPR: 2
; COMPUTE_PGM_RSRC2:TRAP_HANDLER: 0
; COMPUTE_PGM_RSRC2:TGID_X_EN: 1
; COMPUTE_PGM_RSRC2:TGID_Y_EN: 0
; COMPUTE_PGM_RSRC2:TGID_Z_EN: 0
; COMPUTE_PGM_RSRC2:TIDIG_COMP_CNT: 0
	.section	.text._ZN7rocprim17ROCPRIM_400000_NS6detail17trampoline_kernelINS0_14default_configENS1_38merge_sort_block_merge_config_selectorImNS0_10empty_typeEEEZZNS1_27merge_sort_block_merge_implIS3_PmPS5_jNS1_19radix_merge_compareILb0ELb1EmNS0_19identity_decomposerEEEEE10hipError_tT0_T1_T2_jT3_P12ihipStream_tbPNSt15iterator_traitsISE_E10value_typeEPNSK_ISF_E10value_typeEPSG_NS1_7vsmem_tEENKUlT_SE_SF_SG_E_clIS8_S8_S9_S9_EESD_ST_SE_SF_SG_EUlST_E0_NS1_11comp_targetILNS1_3genE0ELNS1_11target_archE4294967295ELNS1_3gpuE0ELNS1_3repE0EEENS1_38merge_mergepath_config_static_selectorELNS0_4arch9wavefront6targetE0EEEvSF_,"axG",@progbits,_ZN7rocprim17ROCPRIM_400000_NS6detail17trampoline_kernelINS0_14default_configENS1_38merge_sort_block_merge_config_selectorImNS0_10empty_typeEEEZZNS1_27merge_sort_block_merge_implIS3_PmPS5_jNS1_19radix_merge_compareILb0ELb1EmNS0_19identity_decomposerEEEEE10hipError_tT0_T1_T2_jT3_P12ihipStream_tbPNSt15iterator_traitsISE_E10value_typeEPNSK_ISF_E10value_typeEPSG_NS1_7vsmem_tEENKUlT_SE_SF_SG_E_clIS8_S8_S9_S9_EESD_ST_SE_SF_SG_EUlST_E0_NS1_11comp_targetILNS1_3genE0ELNS1_11target_archE4294967295ELNS1_3gpuE0ELNS1_3repE0EEENS1_38merge_mergepath_config_static_selectorELNS0_4arch9wavefront6targetE0EEEvSF_,comdat
	.protected	_ZN7rocprim17ROCPRIM_400000_NS6detail17trampoline_kernelINS0_14default_configENS1_38merge_sort_block_merge_config_selectorImNS0_10empty_typeEEEZZNS1_27merge_sort_block_merge_implIS3_PmPS5_jNS1_19radix_merge_compareILb0ELb1EmNS0_19identity_decomposerEEEEE10hipError_tT0_T1_T2_jT3_P12ihipStream_tbPNSt15iterator_traitsISE_E10value_typeEPNSK_ISF_E10value_typeEPSG_NS1_7vsmem_tEENKUlT_SE_SF_SG_E_clIS8_S8_S9_S9_EESD_ST_SE_SF_SG_EUlST_E0_NS1_11comp_targetILNS1_3genE0ELNS1_11target_archE4294967295ELNS1_3gpuE0ELNS1_3repE0EEENS1_38merge_mergepath_config_static_selectorELNS0_4arch9wavefront6targetE0EEEvSF_ ; -- Begin function _ZN7rocprim17ROCPRIM_400000_NS6detail17trampoline_kernelINS0_14default_configENS1_38merge_sort_block_merge_config_selectorImNS0_10empty_typeEEEZZNS1_27merge_sort_block_merge_implIS3_PmPS5_jNS1_19radix_merge_compareILb0ELb1EmNS0_19identity_decomposerEEEEE10hipError_tT0_T1_T2_jT3_P12ihipStream_tbPNSt15iterator_traitsISE_E10value_typeEPNSK_ISF_E10value_typeEPSG_NS1_7vsmem_tEENKUlT_SE_SF_SG_E_clIS8_S8_S9_S9_EESD_ST_SE_SF_SG_EUlST_E0_NS1_11comp_targetILNS1_3genE0ELNS1_11target_archE4294967295ELNS1_3gpuE0ELNS1_3repE0EEENS1_38merge_mergepath_config_static_selectorELNS0_4arch9wavefront6targetE0EEEvSF_
	.globl	_ZN7rocprim17ROCPRIM_400000_NS6detail17trampoline_kernelINS0_14default_configENS1_38merge_sort_block_merge_config_selectorImNS0_10empty_typeEEEZZNS1_27merge_sort_block_merge_implIS3_PmPS5_jNS1_19radix_merge_compareILb0ELb1EmNS0_19identity_decomposerEEEEE10hipError_tT0_T1_T2_jT3_P12ihipStream_tbPNSt15iterator_traitsISE_E10value_typeEPNSK_ISF_E10value_typeEPSG_NS1_7vsmem_tEENKUlT_SE_SF_SG_E_clIS8_S8_S9_S9_EESD_ST_SE_SF_SG_EUlST_E0_NS1_11comp_targetILNS1_3genE0ELNS1_11target_archE4294967295ELNS1_3gpuE0ELNS1_3repE0EEENS1_38merge_mergepath_config_static_selectorELNS0_4arch9wavefront6targetE0EEEvSF_
	.p2align	8
	.type	_ZN7rocprim17ROCPRIM_400000_NS6detail17trampoline_kernelINS0_14default_configENS1_38merge_sort_block_merge_config_selectorImNS0_10empty_typeEEEZZNS1_27merge_sort_block_merge_implIS3_PmPS5_jNS1_19radix_merge_compareILb0ELb1EmNS0_19identity_decomposerEEEEE10hipError_tT0_T1_T2_jT3_P12ihipStream_tbPNSt15iterator_traitsISE_E10value_typeEPNSK_ISF_E10value_typeEPSG_NS1_7vsmem_tEENKUlT_SE_SF_SG_E_clIS8_S8_S9_S9_EESD_ST_SE_SF_SG_EUlST_E0_NS1_11comp_targetILNS1_3genE0ELNS1_11target_archE4294967295ELNS1_3gpuE0ELNS1_3repE0EEENS1_38merge_mergepath_config_static_selectorELNS0_4arch9wavefront6targetE0EEEvSF_,@function
_ZN7rocprim17ROCPRIM_400000_NS6detail17trampoline_kernelINS0_14default_configENS1_38merge_sort_block_merge_config_selectorImNS0_10empty_typeEEEZZNS1_27merge_sort_block_merge_implIS3_PmPS5_jNS1_19radix_merge_compareILb0ELb1EmNS0_19identity_decomposerEEEEE10hipError_tT0_T1_T2_jT3_P12ihipStream_tbPNSt15iterator_traitsISE_E10value_typeEPNSK_ISF_E10value_typeEPSG_NS1_7vsmem_tEENKUlT_SE_SF_SG_E_clIS8_S8_S9_S9_EESD_ST_SE_SF_SG_EUlST_E0_NS1_11comp_targetILNS1_3genE0ELNS1_11target_archE4294967295ELNS1_3gpuE0ELNS1_3repE0EEENS1_38merge_mergepath_config_static_selectorELNS0_4arch9wavefront6targetE0EEEvSF_: ; @_ZN7rocprim17ROCPRIM_400000_NS6detail17trampoline_kernelINS0_14default_configENS1_38merge_sort_block_merge_config_selectorImNS0_10empty_typeEEEZZNS1_27merge_sort_block_merge_implIS3_PmPS5_jNS1_19radix_merge_compareILb0ELb1EmNS0_19identity_decomposerEEEEE10hipError_tT0_T1_T2_jT3_P12ihipStream_tbPNSt15iterator_traitsISE_E10value_typeEPNSK_ISF_E10value_typeEPSG_NS1_7vsmem_tEENKUlT_SE_SF_SG_E_clIS8_S8_S9_S9_EESD_ST_SE_SF_SG_EUlST_E0_NS1_11comp_targetILNS1_3genE0ELNS1_11target_archE4294967295ELNS1_3gpuE0ELNS1_3repE0EEENS1_38merge_mergepath_config_static_selectorELNS0_4arch9wavefront6targetE0EEEvSF_
; %bb.0:
	s_bfe_u32 s2, ttmp6, 0x40010
	s_and_b32 s4, ttmp7, 0xffff
	s_add_co_i32 s5, s2, 1
	s_clause 0x1
	s_load_b32 s6, s[0:1], 0x30
	s_load_b64 s[2:3], s[0:1], 0x48
	s_bfe_u32 s8, ttmp6, 0x4000c
	s_mul_i32 s5, s4, s5
	s_bfe_u32 s7, ttmp6, 0x40004
	s_add_co_i32 s8, s8, 1
	s_bfe_u32 s9, ttmp6, 0x40014
	s_add_co_i32 s7, s7, s5
	s_and_b32 s5, ttmp6, 15
	s_mul_i32 s8, ttmp9, s8
	s_lshr_b32 s10, ttmp7, 16
	s_add_co_i32 s9, s9, 1
	s_add_co_i32 s5, s5, s8
	s_mul_i32 s8, s10, s9
	s_bfe_u32 s9, ttmp6, 0x40008
	s_getreg_b32 s11, hwreg(HW_REG_IB_STS2, 6, 4)
	s_add_co_i32 s9, s9, s8
	s_cmp_eq_u32 s11, 0
	s_cselect_b32 s8, s10, s9
	s_cselect_b32 s4, s4, s7
	s_wait_kmcnt 0x0
	s_mul_i32 s8, s3, s8
	s_cselect_b32 s3, ttmp9, s5
	s_add_co_i32 s4, s8, s4
	s_mov_b32 s5, 0
	s_mul_i32 s4, s4, s2
	s_delay_alu instid0(SALU_CYCLE_1) | instskip(NEXT) | instid1(SALU_CYCLE_1)
	s_add_co_i32 s4, s4, s3
	s_cmp_ge_u32 s4, s6
	s_cbranch_scc1 .LBB2957_43
; %bb.1:
	v_mov_b32_e32 v21, 0
	s_add_nc_u64 s[6:7], s[0:1], 0x48
	v_lshlrev_b32_e32 v20, 3, v0
	global_load_b32 v1, v21, s[6:7] offset:14
	s_clause 0x2
	s_load_b64 s[8:9], s[0:1], 0x28
	s_load_b64 s[10:11], s[0:1], 0x40
	;; [unrolled: 1-line block ×3, first 2 shown]
	s_wait_kmcnt 0x0
	s_lshr_b32 s22, s8, 10
	s_delay_alu instid0(SALU_CYCLE_1) | instskip(SKIP_2) | instid1(SALU_CYCLE_1)
	s_cmp_lg_u32 s4, s22
	s_cselect_b32 s16, -1, 0
	s_lshl_b64 s[14:15], s[4:5], 2
	s_add_nc_u64 s[10:11], s[10:11], s[14:15]
	s_load_b64 s[14:15], s[10:11], 0x0
	s_wait_xcnt 0x0
	s_lshr_b32 s10, s9, 9
	s_delay_alu instid0(SALU_CYCLE_1) | instskip(NEXT) | instid1(SALU_CYCLE_1)
	s_and_b32 s10, s10, 0x7ffffe
	s_sub_co_i32 s11, 0, s10
	s_lshl_b32 s10, s4, 10
	s_and_b32 s17, s4, s11
	s_or_b32 s11, s4, s11
	s_lshl_b32 s18, s17, 11
	s_lshl_b32 s17, s17, 10
	s_add_co_i32 s18, s18, s9
	s_sub_co_i32 s19, s10, s17
	s_sub_co_i32 s17, s18, s17
	s_add_co_i32 s18, s18, s19
	s_min_u32 s20, s8, s17
	s_add_co_i32 s17, s17, s9
	s_wait_kmcnt 0x0
	s_sub_co_i32 s9, s18, s14
	s_sub_co_i32 s19, s18, s15
	s_min_u32 s18, s8, s9
	s_add_co_i32 s9, s19, 0x400
	s_cmp_eq_u32 s11, -1
	s_mov_b32 s19, s5
	s_cselect_b32 s9, s17, s9
	s_cselect_b32 s11, s20, s15
	s_mov_b32 s15, s5
	s_min_u32 s17, s9, s8
	s_lshl_b64 s[20:21], s[18:19], 3
	s_sub_co_i32 s9, s11, s14
	s_lshl_b64 s[14:15], s[14:15], 3
	s_sub_co_i32 s17, s17, s18
	s_cmp_lt_u32 s3, s2
	s_mov_b32 s3, s5
	s_cselect_b32 s2, 12, 18
	s_add_nc_u64 s[14:15], s[12:13], s[14:15]
	s_add_nc_u64 s[2:3], s[6:7], s[2:3]
	s_cmp_eq_u32 s4, s22
	s_load_u16 s2, s[2:3], 0x0
	s_add_nc_u64 s[6:7], s[12:13], s[20:21]
	s_wait_loadcnt 0x0
	v_lshrrev_b32_e32 v2, 16, v1
	v_and_b32_e32 v1, 0xffff, v1
	s_delay_alu instid0(VALU_DEP_1) | instskip(SKIP_1) | instid1(VALU_DEP_1)
	v_mul_lo_u32 v1, v1, v2
	s_wait_kmcnt 0x0
	v_mul_lo_u32 v1, v1, s2
	s_mov_b32 s2, -1
	s_delay_alu instid0(VALU_DEP_1) | instskip(NEXT) | instid1(VALU_DEP_1)
	v_add_nc_u32_e32 v24, v1, v0
	v_add_nc_u32_e32 v22, v24, v1
	s_cbranch_scc1 .LBB2957_3
; %bb.2:
	v_sub_co_u32 v4, vcc_lo, v0, s9
	v_dual_mov_b32 v5, v21 :: v_dual_mov_b32 v25, v21
	v_add_nc_u64_e32 v[2:3], s[14:15], v[20:21]
	v_sub_co_u32 v8, s2, v24, s9
	s_delay_alu instid0(VALU_DEP_3) | instskip(SKIP_3) | instid1(VALU_DEP_4)
	v_lshl_add_u64 v[4:5], v[4:5], 3, s[6:7]
	v_dual_mov_b32 v9, v21 :: v_dual_mov_b32 v23, v21
	v_lshl_add_u64 v[6:7], v[24:25], 3, s[14:15]
	v_dual_mov_b32 v11, v21 :: v_dual_add_nc_u32 v12, v22, v1
	v_dual_cndmask_b32 v3, v5, v3 :: v_dual_cndmask_b32 v2, v4, v2
	s_delay_alu instid0(VALU_DEP_4) | instskip(SKIP_3) | instid1(VALU_DEP_4)
	v_lshl_add_u64 v[4:5], v[8:9], 3, s[6:7]
	v_sub_co_u32 v10, vcc_lo, v22, s9
	v_mov_b32_e32 v13, v21
	v_lshl_add_u64 v[8:9], v[22:23], 3, s[14:15]
	v_dual_cndmask_b32 v5, v5, v7, s2 :: v_dual_cndmask_b32 v4, v4, v6, s2
	s_delay_alu instid0(VALU_DEP_4) | instskip(NEXT) | instid1(VALU_DEP_4)
	v_lshl_add_u64 v[6:7], v[10:11], 3, s[6:7]
	v_lshl_add_u64 v[10:11], v[12:13], 3, s[14:15]
	v_sub_co_u32 v14, s2, v12, s9
	s_delay_alu instid0(VALU_DEP_3) | instskip(NEXT) | instid1(VALU_DEP_4)
	v_dual_mov_b32 v15, v21 :: v_dual_cndmask_b32 v7, v7, v9, vcc_lo
	v_dual_add_nc_u32 v12, v12, v1 :: v_dual_cndmask_b32 v6, v6, v8, vcc_lo
	v_mov_b32_e32 v17, v21
	s_delay_alu instid0(VALU_DEP_3) | instskip(SKIP_1) | instid1(VALU_DEP_4)
	v_lshl_add_u64 v[8:9], v[14:15], 3, s[6:7]
	v_mov_b32_e32 v27, v21
	v_lshl_add_u64 v[14:15], v[12:13], 3, s[14:15]
	v_sub_co_u32 v16, vcc_lo, v12, s9
	s_delay_alu instid0(VALU_DEP_4) | instskip(SKIP_1) | instid1(VALU_DEP_3)
	v_dual_add_nc_u32 v12, v12, v1 :: v_dual_cndmask_b32 v19, v9, v11, s2
	v_cndmask_b32_e64 v18, v8, v10, s2
	v_lshl_add_u64 v[8:9], v[16:17], 3, s[6:7]
	global_load_b64 v[2:3], v[2:3], off
	v_lshl_add_u64 v[10:11], v[12:13], 3, s[14:15]
	v_add_nc_u32_e32 v16, v12, v1
	v_sub_co_u32 v12, s2, v12, s9
	v_cndmask_b32_e32 v33, v9, v15, vcc_lo
	global_load_b64 v[4:5], v[4:5], off
	v_lshl_add_u64 v[28:29], v[16:17], 3, s[14:15]
	v_lshl_add_u64 v[12:13], v[12:13], 3, s[6:7]
	v_add_nc_u32_e32 v26, v16, v1
	v_sub_co_u32 v16, s3, v16, s9
	global_load_b64 v[6:7], v[6:7], off
	s_add_co_i32 s11, s17, s9
	v_lshl_add_u64 v[30:31], v[26:27], 3, s[14:15]
	v_sub_co_u32 v26, s4, v26, s9
	v_lshl_add_u64 v[16:17], v[16:17], 3, s[6:7]
	v_cndmask_b32_e32 v32, v8, v14, vcc_lo
	s_delay_alu instid0(VALU_DEP_3) | instskip(SKIP_1) | instid1(VALU_DEP_4)
	v_lshl_add_u64 v[8:9], v[26:27], 3, s[6:7]
	v_dual_cndmask_b32 v27, v13, v11, s2 :: v_dual_cndmask_b32 v26, v12, v10, s2
	v_dual_cndmask_b32 v29, v17, v29, s3 :: v_dual_cndmask_b32 v28, v16, v28, s3
	s_delay_alu instid0(VALU_DEP_3)
	v_dual_cndmask_b32 v31, v9, v31, s4 :: v_dual_cndmask_b32 v30, v8, v30, s4
	global_load_b64 v[8:9], v[18:19], off
	global_load_b64 v[10:11], v[32:33], off
	;; [unrolled: 1-line block ×5, first 2 shown]
	s_load_b64 s[12:13], s[0:1], 0x38
	s_cbranch_execz .LBB2957_4
	s_branch .LBB2957_19
.LBB2957_3:
                                        ; implicit-def: $vgpr2_vgpr3_vgpr4_vgpr5_vgpr6_vgpr7_vgpr8_vgpr9_vgpr10_vgpr11_vgpr12_vgpr13_vgpr14_vgpr15_vgpr16_vgpr17
                                        ; implicit-def: $sgpr11
	s_load_b64 s[12:13], s[0:1], 0x38
	s_and_not1_b32 vcc_lo, exec_lo, s2
	s_cbranch_vccnz .LBB2957_19
.LBB2957_4:
	s_wait_loadcnt 0x7
	v_mov_b32_e32 v2, 0
	s_add_co_i32 s11, s17, s9
	s_mov_b32 s2, exec_lo
	s_wait_loadcnt 0x6
	s_delay_alu instid0(VALU_DEP_1)
	v_dual_mov_b32 v3, v2 :: v_dual_mov_b32 v4, v2
	s_wait_loadcnt 0x5
	v_dual_mov_b32 v5, v2 :: v_dual_mov_b32 v6, v2
	s_wait_loadcnt 0x4
	;; [unrolled: 2-line block ×6, first 2 shown]
	v_dual_mov_b32 v15, v2 :: v_dual_mov_b32 v16, v2
	v_mov_b32_e32 v17, v2
	v_cmpx_gt_u32_e64 s11, v0
	s_cbranch_execnz .LBB2957_44
; %bb.5:
	s_or_b32 exec_lo, exec_lo, s2
	s_delay_alu instid0(SALU_CYCLE_1)
	s_mov_b32 s2, exec_lo
	v_cmpx_gt_u32_e64 s11, v24
	s_cbranch_execnz .LBB2957_45
.LBB2957_6:
	s_or_b32 exec_lo, exec_lo, s2
	s_delay_alu instid0(SALU_CYCLE_1)
	s_mov_b32 s2, exec_lo
	v_cmpx_gt_u32_e64 s11, v22
	s_cbranch_execz .LBB2957_8
.LBB2957_7:
	v_sub_co_u32 v18, vcc_lo, v22, s9
	v_mov_b32_e32 v23, 0
	s_delay_alu instid0(VALU_DEP_1) | instskip(SKIP_1) | instid1(VALU_DEP_1)
	v_lshl_add_u64 v[6:7], v[22:23], 3, s[14:15]
	v_mov_b32_e32 v19, v23
	v_lshl_add_u64 v[18:19], v[18:19], 3, s[6:7]
	s_delay_alu instid0(VALU_DEP_1)
	v_dual_cndmask_b32 v7, v19, v7 :: v_dual_cndmask_b32 v6, v18, v6
	global_load_b64 v[6:7], v[6:7], off
.LBB2957_8:
	s_wait_xcnt 0x0
	s_or_b32 exec_lo, exec_lo, s2
	v_add_nc_u32_e32 v18, v22, v1
	s_mov_b32 s2, exec_lo
	s_delay_alu instid0(VALU_DEP_1)
	v_cmpx_gt_u32_e64 s11, v18
	s_cbranch_execz .LBB2957_10
; %bb.9:
	v_sub_co_u32 v22, vcc_lo, v18, s9
	v_mov_b32_e32 v19, 0
	s_delay_alu instid0(VALU_DEP_1) | instskip(SKIP_1) | instid1(VALU_DEP_1)
	v_lshl_add_u64 v[8:9], v[18:19], 3, s[14:15]
	v_mov_b32_e32 v23, v19
	v_lshl_add_u64 v[22:23], v[22:23], 3, s[6:7]
	s_delay_alu instid0(VALU_DEP_1)
	v_dual_cndmask_b32 v9, v23, v9 :: v_dual_cndmask_b32 v8, v22, v8
	global_load_b64 v[8:9], v[8:9], off
.LBB2957_10:
	s_wait_xcnt 0x0
	s_or_b32 exec_lo, exec_lo, s2
	v_add_nc_u32_e32 v18, v18, v1
	s_mov_b32 s2, exec_lo
	s_delay_alu instid0(VALU_DEP_1)
	v_cmpx_gt_u32_e64 s11, v18
	s_cbranch_execz .LBB2957_12
; %bb.11:
	v_sub_co_u32 v22, vcc_lo, v18, s9
	v_mov_b32_e32 v19, 0
	s_delay_alu instid0(VALU_DEP_1) | instskip(SKIP_1) | instid1(VALU_DEP_1)
	v_lshl_add_u64 v[10:11], v[18:19], 3, s[14:15]
	v_mov_b32_e32 v23, v19
	v_lshl_add_u64 v[22:23], v[22:23], 3, s[6:7]
	s_delay_alu instid0(VALU_DEP_1)
	v_dual_cndmask_b32 v11, v23, v11 :: v_dual_cndmask_b32 v10, v22, v10
	global_load_b64 v[10:11], v[10:11], off
.LBB2957_12:
	;; [unrolled: 18-line block ×4, first 2 shown]
	s_wait_xcnt 0x0
	s_or_b32 exec_lo, exec_lo, s2
	v_add_nc_u32_e32 v18, v18, v1
	s_mov_b32 s2, exec_lo
	s_delay_alu instid0(VALU_DEP_1)
	v_cmpx_gt_u32_e64 s11, v18
	s_cbranch_execz .LBB2957_18
; %bb.17:
	v_mov_b32_e32 v19, 0
	s_delay_alu instid0(VALU_DEP_1) | instskip(SKIP_1) | instid1(VALU_DEP_1)
	v_lshl_add_u64 v[16:17], v[18:19], 3, s[14:15]
	v_sub_co_u32 v18, vcc_lo, v18, s9
	v_lshl_add_u64 v[18:19], v[18:19], 3, s[6:7]
	s_delay_alu instid0(VALU_DEP_1)
	v_dual_cndmask_b32 v17, v19, v17 :: v_dual_cndmask_b32 v16, v18, v16
	global_load_b64 v[16:17], v[16:17], off
.LBB2957_18:
	s_wait_xcnt 0x0
	s_or_b32 exec_lo, exec_lo, s2
.LBB2957_19:
	s_load_b64 s[14:15], s[0:1], 0x10
	v_min_u32_e32 v18, s11, v20
	s_wait_xcnt 0x0
	s_mov_b32 s0, exec_lo
	s_wait_loadcnt 0x0
	ds_store_2addr_stride64_b64 v20, v[2:3], v[4:5] offset1:2
	ds_store_2addr_stride64_b64 v20, v[6:7], v[8:9] offset0:4 offset1:6
	ds_store_2addr_stride64_b64 v20, v[10:11], v[12:13] offset0:8 offset1:10
	ds_store_2addr_stride64_b64 v20, v[14:15], v[16:17] offset0:12 offset1:14
	s_wait_dscnt 0x0
	s_barrier_signal -1
	v_sub_nc_u32_e64 v1, v18, s17 clamp
	v_min_u32_e32 v19, s9, v18
	s_barrier_wait -1
	s_delay_alu instid0(VALU_DEP_1)
	v_cmpx_lt_u32_e64 v1, v19
	s_cbranch_execz .LBB2957_23
; %bb.20:
	v_lshlrev_b32_e32 v21, 3, v18
	s_mov_b32 s1, 0
	s_delay_alu instid0(VALU_DEP_1)
	v_lshl_add_u32 v21, s9, 3, v21
.LBB2957_21:                            ; =>This Inner Loop Header: Depth=1
	v_add_nc_u32_e32 v22, v19, v1
	s_delay_alu instid0(VALU_DEP_1) | instskip(NEXT) | instid1(VALU_DEP_1)
	v_lshrrev_b32_e32 v26, 1, v22
	v_not_b32_e32 v22, v26
	v_lshlrev_b32_e32 v23, 3, v26
	s_delay_alu instid0(VALU_DEP_2)
	v_lshl_add_u32 v24, v22, 3, v21
	ds_load_b64 v[22:23], v23
	ds_load_b64 v[24:25], v24
	s_wait_dscnt 0x1
	s_wait_kmcnt 0x0
	v_and_b32_e32 v23, s13, v23
	v_and_b32_e32 v22, s12, v22
	s_wait_dscnt 0x0
	v_and_b32_e32 v25, s13, v25
	v_and_b32_e32 v24, s12, v24
	s_delay_alu instid0(VALU_DEP_1) | instskip(SKIP_1) | instid1(VALU_DEP_1)
	v_cmp_gt_u64_e32 vcc_lo, v[22:23], v[24:25]
	v_dual_cndmask_b32 v19, v19, v26 :: v_dual_add_nc_u32 v22, 1, v26
	v_cndmask_b32_e32 v1, v22, v1, vcc_lo
	s_delay_alu instid0(VALU_DEP_1) | instskip(SKIP_1) | instid1(SALU_CYCLE_1)
	v_cmp_ge_u32_e32 vcc_lo, v1, v19
	s_or_b32 s1, vcc_lo, s1
	s_and_not1_b32 exec_lo, exec_lo, s1
	s_cbranch_execnz .LBB2957_21
; %bb.22:
	s_or_b32 exec_lo, exec_lo, s1
.LBB2957_23:
	s_delay_alu instid0(SALU_CYCLE_1) | instskip(SKIP_2) | instid1(VALU_DEP_2)
	s_or_b32 exec_lo, exec_lo, s0
	v_sub_nc_u32_e32 v18, v18, v1
	v_cmp_ge_u32_e32 vcc_lo, s9, v1
	v_add_nc_u32_e32 v18, s9, v18
	s_delay_alu instid0(VALU_DEP_1) | instskip(SKIP_1) | instid1(SALU_CYCLE_1)
	v_cmp_ge_u32_e64 s0, s11, v18
	s_or_b32 s0, vcc_lo, s0
	s_and_saveexec_b32 s17, s0
	s_cbranch_execz .LBB2957_29
; %bb.24:
	v_cmp_gt_u32_e32 vcc_lo, s9, v1
                                        ; implicit-def: $vgpr2_vgpr3
	s_and_saveexec_b32 s0, vcc_lo
; %bb.25:
	v_lshlrev_b32_e32 v2, 3, v1
	ds_load_b64 v[2:3], v2
; %bb.26:
	s_or_b32 exec_lo, exec_lo, s0
	v_cmp_le_u32_e64 s0, s11, v18
	s_mov_b32 s2, exec_lo
                                        ; implicit-def: $vgpr4_vgpr5
	v_cmpx_gt_u32_e64 s11, v18
; %bb.27:
	v_lshlrev_b32_e32 v4, 3, v18
	ds_load_b64 v[4:5], v4
; %bb.28:
	s_or_b32 exec_lo, exec_lo, s2
	s_wait_dscnt 0x0
	s_wait_kmcnt 0x0
	v_dual_mov_b32 v10, s9 :: v_dual_bitop2_b32 v7, s13, v5 bitop3:0x40
	v_and_b32_e32 v6, s12, v4
	v_and_b32_e32 v9, s13, v3
	;; [unrolled: 1-line block ×3, first 2 shown]
	s_delay_alu instid0(VALU_DEP_1) | instskip(SKIP_1) | instid1(SALU_CYCLE_1)
	v_cmp_le_u64_e64 s1, v[8:9], v[6:7]
	s_and_b32 s1, vcc_lo, s1
	s_or_b32 vcc_lo, s0, s1
	v_cndmask_b32_e32 v6, v18, v1, vcc_lo
	v_cndmask_b32_e32 v7, s11, v10, vcc_lo
	s_delay_alu instid0(VALU_DEP_2) | instskip(NEXT) | instid1(VALU_DEP_1)
	v_add_nc_u32_e32 v11, 1, v6
	v_add_min_u32_e64 v6, v7, -1, v11
	s_delay_alu instid0(VALU_DEP_1)
	v_dual_cndmask_b32 v1, v1, v11 :: v_dual_lshlrev_b32 v6, 3, v6
	v_cndmask_b32_e32 v11, v11, v18, vcc_lo
	ds_load_b64 v[6:7], v6
	v_cmp_gt_u32_e64 s1, s9, v1
	v_cmp_le_u32_e64 s2, s11, v11
	s_wait_dscnt 0x0
	v_dual_cndmask_b32 v12, v7, v5 :: v_dual_cndmask_b32 v13, v6, v4
	v_dual_cndmask_b32 v14, v3, v7 :: v_dual_cndmask_b32 v15, v2, v6
	s_delay_alu instid0(VALU_DEP_2) | instskip(NEXT) | instid1(VALU_DEP_3)
	v_dual_cndmask_b32 v2, v4, v2, vcc_lo :: v_dual_bitop2_b32 v7, s13, v12 bitop3:0x40
	v_and_b32_e32 v6, s12, v13
	s_delay_alu instid0(VALU_DEP_3) | instskip(NEXT) | instid1(VALU_DEP_4)
	v_and_b32_e32 v9, s13, v14
	v_and_b32_e32 v8, s12, v15
	v_cndmask_b32_e32 v3, v5, v3, vcc_lo
	s_delay_alu instid0(VALU_DEP_2) | instskip(SKIP_1) | instid1(SALU_CYCLE_1)
	v_cmp_le_u64_e64 s0, v[8:9], v[6:7]
	s_and_b32 s0, s1, s0
	s_or_b32 s0, s2, s0
	s_delay_alu instid0(SALU_CYCLE_1) | instskip(SKIP_2) | instid1(VALU_DEP_3)
	v_cndmask_b32_e64 v6, v11, v1, s0
	v_cndmask_b32_e64 v7, s11, v10, s0
	v_dual_cndmask_b32 v5, v12, v14, s0 :: v_dual_cndmask_b32 v4, v13, v15, s0
	v_add_nc_u32_e32 v16, 1, v6
	s_delay_alu instid0(VALU_DEP_1) | instskip(SKIP_1) | instid1(VALU_DEP_2)
	v_add_min_u32_e64 v6, v7, -1, v16
	v_dual_cndmask_b32 v1, v1, v16, s0 :: v_dual_cndmask_b32 v11, v16, v11, s0
	v_lshlrev_b32_e32 v6, 3, v6
	s_delay_alu instid0(VALU_DEP_2) | instskip(NEXT) | instid1(VALU_DEP_3)
	v_cmp_gt_u32_e64 s2, s9, v1
	v_cmp_le_u32_e64 s3, s11, v11
	ds_load_b64 v[6:7], v6
	s_wait_dscnt 0x0
	v_dual_cndmask_b32 v17, v7, v12, s0 :: v_dual_cndmask_b32 v18, v6, v13, s0
	v_dual_cndmask_b32 v21, v15, v6, s0 :: v_dual_cndmask_b32 v19, v14, v7, s0
	s_delay_alu instid0(VALU_DEP_2) | instskip(NEXT) | instid1(VALU_DEP_3)
	v_and_b32_e32 v7, s13, v17
	v_and_b32_e32 v6, s12, v18
	s_delay_alu instid0(VALU_DEP_3) | instskip(NEXT) | instid1(VALU_DEP_4)
	v_and_b32_e32 v8, s12, v21
	v_and_b32_e32 v9, s13, v19
	s_delay_alu instid0(VALU_DEP_1) | instskip(SKIP_1) | instid1(SALU_CYCLE_1)
	v_cmp_le_u64_e64 s1, v[8:9], v[6:7]
	s_and_b32 s1, s2, s1
	s_or_b32 s1, s3, s1
	s_delay_alu instid0(SALU_CYCLE_1) | instskip(SKIP_1) | instid1(VALU_DEP_2)
	v_cndmask_b32_e64 v6, v11, v1, s1
	v_cndmask_b32_e64 v7, s11, v10, s1
	v_add_nc_u32_e32 v16, 1, v6
	s_delay_alu instid0(VALU_DEP_1) | instskip(NEXT) | instid1(VALU_DEP_1)
	v_add_min_u32_e64 v6, v7, -1, v16
	v_dual_lshlrev_b32 v6, 3, v6 :: v_dual_cndmask_b32 v1, v1, v16, s1
	v_cndmask_b32_e64 v11, v16, v11, s1
	ds_load_b64 v[6:7], v6
	v_cmp_gt_u32_e64 s3, s9, v1
	v_cmp_le_u32_e64 s4, s11, v11
	s_wait_dscnt 0x0
	v_dual_cndmask_b32 v22, v7, v17, s1 :: v_dual_cndmask_b32 v23, v6, v18, s1
	v_dual_cndmask_b32 v24, v19, v7, s1 :: v_dual_cndmask_b32 v25, v21, v6, s1
	s_delay_alu instid0(VALU_DEP_2) | instskip(NEXT) | instid1(VALU_DEP_3)
	v_and_b32_e32 v7, s13, v22
	v_and_b32_e32 v6, s12, v23
	s_delay_alu instid0(VALU_DEP_3) | instskip(NEXT) | instid1(VALU_DEP_4)
	v_and_b32_e32 v9, s13, v24
	v_and_b32_e32 v8, s12, v25
	s_delay_alu instid0(VALU_DEP_1) | instskip(SKIP_1) | instid1(SALU_CYCLE_1)
	v_cmp_le_u64_e64 s2, v[8:9], v[6:7]
	s_and_b32 s2, s3, s2
	s_or_b32 s2, s4, s2
	s_delay_alu instid0(SALU_CYCLE_1) | instskip(SKIP_1) | instid1(VALU_DEP_2)
	v_cndmask_b32_e64 v6, v11, v1, s2
	v_cndmask_b32_e64 v7, s11, v10, s2
	v_add_nc_u32_e32 v16, 1, v6
	s_delay_alu instid0(VALU_DEP_1) | instskip(SKIP_1) | instid1(VALU_DEP_2)
	v_add_min_u32_e64 v6, v7, -1, v16
	v_dual_cndmask_b32 v1, v1, v16, s2 :: v_dual_cndmask_b32 v11, v16, v11, s2
	v_lshlrev_b32_e32 v6, 3, v6
	s_delay_alu instid0(VALU_DEP_2) | instskip(NEXT) | instid1(VALU_DEP_3)
	v_cmp_gt_u32_e64 s4, s9, v1
	v_cmp_le_u32_e64 s5, s11, v11
	ds_load_b64 v[6:7], v6
	s_wait_dscnt 0x0
	v_dual_cndmask_b32 v26, v7, v22, s2 :: v_dual_cndmask_b32 v27, v6, v23, s2
	v_dual_cndmask_b32 v29, v25, v6, s2 :: v_dual_cndmask_b32 v28, v24, v7, s2
	s_delay_alu instid0(VALU_DEP_2) | instskip(NEXT) | instid1(VALU_DEP_3)
	v_and_b32_e32 v7, s13, v26
	v_and_b32_e32 v6, s12, v27
	s_delay_alu instid0(VALU_DEP_3) | instskip(NEXT) | instid1(VALU_DEP_4)
	v_and_b32_e32 v8, s12, v29
	v_and_b32_e32 v9, s13, v28
	s_delay_alu instid0(VALU_DEP_1) | instskip(SKIP_1) | instid1(SALU_CYCLE_1)
	v_cmp_le_u64_e64 s3, v[8:9], v[6:7]
	s_and_b32 s3, s4, s3
	s_or_b32 s3, s5, s3
	s_delay_alu instid0(SALU_CYCLE_1) | instskip(SKIP_1) | instid1(VALU_DEP_2)
	v_cndmask_b32_e64 v6, v11, v1, s3
	v_cndmask_b32_e64 v7, s11, v10, s3
	v_add_nc_u32_e32 v16, 1, v6
	s_delay_alu instid0(VALU_DEP_1) | instskip(NEXT) | instid1(VALU_DEP_1)
	v_add_min_u32_e64 v6, v7, -1, v16
	v_dual_lshlrev_b32 v6, 3, v6 :: v_dual_cndmask_b32 v1, v1, v16, s3
	v_cndmask_b32_e64 v11, v16, v11, s3
	ds_load_b64 v[6:7], v6
	v_cmp_gt_u32_e64 s5, s9, v1
	v_cmp_le_u32_e64 s6, s11, v11
	s_wait_dscnt 0x0
	v_dual_cndmask_b32 v30, v7, v26, s3 :: v_dual_cndmask_b32 v31, v6, v27, s3
	v_dual_cndmask_b32 v33, v29, v6, s3 :: v_dual_cndmask_b32 v32, v28, v7, s3
	s_delay_alu instid0(VALU_DEP_2) | instskip(NEXT) | instid1(VALU_DEP_3)
	v_and_b32_e32 v7, s13, v30
	v_and_b32_e32 v6, s12, v31
	s_delay_alu instid0(VALU_DEP_3) | instskip(NEXT) | instid1(VALU_DEP_4)
	v_and_b32_e32 v8, s12, v33
	v_and_b32_e32 v9, s13, v32
	s_delay_alu instid0(VALU_DEP_1) | instskip(SKIP_1) | instid1(SALU_CYCLE_1)
	v_cmp_le_u64_e64 s4, v[8:9], v[6:7]
	s_and_b32 s4, s5, s4
	s_or_b32 s4, s6, s4
	s_delay_alu instid0(SALU_CYCLE_1) | instskip(SKIP_1) | instid1(VALU_DEP_2)
	v_cndmask_b32_e64 v6, v11, v1, s4
	v_cndmask_b32_e64 v7, s11, v10, s4
	v_add_nc_u32_e32 v16, 1, v6
	s_delay_alu instid0(VALU_DEP_1) | instskip(SKIP_1) | instid1(VALU_DEP_2)
	v_add_min_u32_e64 v6, v7, -1, v16
	v_dual_cndmask_b32 v1, v1, v16, s4 :: v_dual_cndmask_b32 v16, v16, v11, s4
	v_dual_cndmask_b32 v11, v26, v28, s3 :: v_dual_lshlrev_b32 v6, 3, v6
	s_delay_alu instid0(VALU_DEP_2) | instskip(NEXT) | instid1(VALU_DEP_3)
	v_cmp_gt_u32_e64 s6, s9, v1
	v_cmp_le_u32_e64 s7, s11, v16
	ds_load_b64 v[6:7], v6
	s_wait_dscnt 0x0
	v_dual_cndmask_b32 v34, v7, v30, s4 :: v_dual_cndmask_b32 v35, v6, v31, s4
	v_dual_cndmask_b32 v37, v33, v6, s4 :: v_dual_cndmask_b32 v36, v32, v7, s4
	s_delay_alu instid0(VALU_DEP_2) | instskip(NEXT) | instid1(VALU_DEP_3)
	v_and_b32_e32 v7, s13, v34
	v_and_b32_e32 v6, s12, v35
	s_delay_alu instid0(VALU_DEP_3) | instskip(NEXT) | instid1(VALU_DEP_4)
	v_and_b32_e32 v8, s12, v37
	v_and_b32_e32 v9, s13, v36
	s_delay_alu instid0(VALU_DEP_1) | instskip(SKIP_1) | instid1(SALU_CYCLE_1)
	v_cmp_le_u64_e64 s5, v[8:9], v[6:7]
	s_and_b32 s5, s6, s5
	s_or_b32 s5, s7, s5
	s_delay_alu instid0(SALU_CYCLE_1) | instskip(SKIP_1) | instid1(VALU_DEP_2)
	v_cndmask_b32_e64 v6, v16, v1, s5
	v_cndmask_b32_e64 v7, s11, v10, s5
	v_add_nc_u32_e32 v10, 1, v6
	s_delay_alu instid0(VALU_DEP_1) | instskip(NEXT) | instid1(VALU_DEP_1)
	v_add_min_u32_e64 v6, v7, -1, v10
	v_dual_cndmask_b32 v7, v17, v19, s1 :: v_dual_lshlrev_b32 v6, 3, v6
	v_dual_cndmask_b32 v1, v1, v10, s5 :: v_dual_cndmask_b32 v16, v10, v16, s5
	v_cndmask_b32_e64 v10, v27, v29, s3
	ds_load_b64 v[8:9], v6
	v_cndmask_b32_e64 v6, v18, v21, s1
	v_cmp_le_u32_e64 s1, s11, v16
	v_cmp_gt_u32_e64 s0, s9, v1
	s_wait_dscnt 0x0
	v_dual_cndmask_b32 v17, v9, v34, s5 :: v_dual_cndmask_b32 v18, v8, v35, s5
	v_dual_cndmask_b32 v19, v36, v9, s5 :: v_dual_cndmask_b32 v21, v37, v8, s5
	s_delay_alu instid0(VALU_DEP_2) | instskip(NEXT) | instid1(VALU_DEP_3)
	v_dual_cndmask_b32 v9, v22, v24, s2 :: v_dual_bitop2_b32 v13, s13, v17 bitop3:0x40
	v_dual_cndmask_b32 v8, v23, v25, s2 :: v_dual_bitop2_b32 v12, s12, v18 bitop3:0x40
	s_delay_alu instid0(VALU_DEP_3) | instskip(NEXT) | instid1(VALU_DEP_4)
	v_and_b32_e32 v15, s13, v19
	v_and_b32_e32 v14, s12, v21
	s_delay_alu instid0(VALU_DEP_1) | instskip(SKIP_3) | instid1(SALU_CYCLE_1)
	v_cmp_le_u64_e32 vcc_lo, v[14:15], v[12:13]
	v_dual_cndmask_b32 v13, v30, v32, s4 :: v_dual_cndmask_b32 v12, v31, v33, s4
	v_dual_cndmask_b32 v15, v34, v36, s5 :: v_dual_cndmask_b32 v14, v35, v37, s5
	s_and_b32 s0, s0, vcc_lo
	s_or_b32 vcc_lo, s1, s0
	v_dual_cndmask_b32 v17, v17, v19 :: v_dual_cndmask_b32 v16, v18, v21
.LBB2957_29:
	s_or_b32 exec_lo, exec_lo, s17
	v_or_b32_e32 v25, 0x80, v0
	v_lshrrev_b32_e32 v1, 2, v0
	v_or_b32_e32 v22, 0x100, v0
	v_lshlrev_b32_e32 v18, 3, v20
	s_delay_alu instid0(VALU_DEP_4) | instskip(SKIP_1) | instid1(VALU_DEP_3)
	v_lshrrev_b32_e32 v19, 2, v25
	s_barrier_signal -1
	v_lshrrev_b32_e32 v21, 2, v22
	s_delay_alu instid0(VALU_DEP_3)
	v_lshl_add_u32 v18, v1, 3, v18
	s_barrier_wait -1
	s_barrier_signal -1
	s_barrier_wait -1
	ds_store_2addr_b64 v18, v[2:3], v[4:5] offset1:1
	ds_store_2addr_b64 v18, v[6:7], v[8:9] offset0:2 offset1:3
	v_and_b32_e32 v2, 56, v19
	v_and_b32_e32 v1, 24, v1
	v_or_b32_e32 v24, 0x180, v0
	v_and_b32_e32 v3, 0x58, v21
	v_or_b32_e32 v23, 0x200, v0
	s_delay_alu instid0(VALU_DEP_4) | instskip(NEXT) | instid1(VALU_DEP_4)
	v_dual_add_nc_u32 v6, v2, v20 :: v_dual_add_nc_u32 v26, v1, v20
	v_lshrrev_b32_e32 v1, 2, v24
	ds_store_2addr_b64 v18, v[10:11], v[12:13] offset0:4 offset1:5
	ds_store_2addr_b64 v18, v[14:15], v[16:17] offset0:6 offset1:7
	v_or_b32_e32 v19, 0x280, v0
	v_add_nc_u32_e32 v7, v3, v20
	v_or_b32_e32 v18, 0x300, v0
	v_lshrrev_b32_e32 v3, 2, v23
	v_and_b32_e32 v2, 0x78, v1
	v_or_b32_e32 v1, 0x380, v0
	s_delay_alu instid0(VALU_DEP_4) | instskip(SKIP_1) | instid1(VALU_DEP_2)
	v_dual_lshrrev_b32 v4, 2, v19 :: v_dual_lshrrev_b32 v5, 2, v18
	s_mov_b32 s11, 0
	v_dual_add_nc_u32 v8, v2, v20 :: v_dual_lshrrev_b32 v2, 2, v1
	v_mov_b32_e32 v21, 0
	v_and_b32_e32 v3, 0x98, v3
	s_lshl_b64 s[0:1], s[10:11], 3
	v_and_b32_e32 v4, 0xb8, v4
	v_and_b32_e32 v5, 0xd8, v5
	;; [unrolled: 1-line block ×3, first 2 shown]
	s_wait_kmcnt 0x0
	s_add_nc_u64 s[0:1], s[14:15], s[0:1]
	v_dual_add_nc_u32 v9, v3, v20 :: v_dual_add_nc_u32 v27, v4, v20
	v_add_nc_u64_e32 v[2:3], s[0:1], v[20:21]
	v_dual_add_nc_u32 v28, v5, v20 :: v_dual_add_nc_u32 v20, v10, v20
	s_and_b32 vcc_lo, exec_lo, s16
	s_wait_dscnt 0x0
	s_cbranch_vccz .LBB2957_31
; %bb.30:
	s_barrier_signal -1
	s_barrier_wait -1
	ds_load_b64 v[10:11], v26
	ds_load_b64 v[12:13], v6 offset:1024
	ds_load_b64 v[14:15], v7 offset:2048
	ds_load_b64 v[16:17], v8 offset:3072
	ds_load_b64 v[30:31], v9 offset:4096
	ds_load_b64 v[32:33], v27 offset:5120
	ds_load_b64 v[34:35], v28 offset:6144
	ds_load_b64 v[4:5], v20 offset:7168
	s_mov_b32 s11, -1
	s_wait_dscnt 0x7
	global_store_b64 v[2:3], v[10:11], off
	s_wait_dscnt 0x6
	global_store_b64 v[2:3], v[12:13], off offset:1024
	s_wait_dscnt 0x5
	global_store_b64 v[2:3], v[14:15], off offset:2048
	;; [unrolled: 2-line block ×6, first 2 shown]
	s_cbranch_execz .LBB2957_32
	s_branch .LBB2957_41
.LBB2957_31:
                                        ; implicit-def: $vgpr4_vgpr5
.LBB2957_32:
	s_barrier_signal -1
	s_barrier_wait -1
	s_wait_storecnt_dscnt 0x0
	s_wait_xcnt 0x3
	ds_load_b64 v[16:17], v6 offset:1024
	ds_load_b64 v[14:15], v7 offset:2048
	;; [unrolled: 1-line block ×7, first 2 shown]
	s_sub_co_i32 s0, s8, s10
	s_mov_b32 s1, exec_lo
	s_wait_xcnt 0x0
	v_cmpx_gt_u32_e64 s0, v0
	s_cbranch_execnz .LBB2957_46
; %bb.33:
	s_or_b32 exec_lo, exec_lo, s1
	s_delay_alu instid0(SALU_CYCLE_1)
	s_mov_b32 s1, exec_lo
	v_cmpx_gt_u32_e64 s0, v25
	s_cbranch_execnz .LBB2957_47
.LBB2957_34:
	s_or_b32 exec_lo, exec_lo, s1
	s_delay_alu instid0(SALU_CYCLE_1)
	s_mov_b32 s1, exec_lo
	v_cmpx_gt_u32_e64 s0, v22
	s_cbranch_execnz .LBB2957_48
.LBB2957_35:
	s_or_b32 exec_lo, exec_lo, s1
	s_delay_alu instid0(SALU_CYCLE_1)
	s_mov_b32 s1, exec_lo
	v_cmpx_gt_u32_e64 s0, v24
	s_cbranch_execnz .LBB2957_49
.LBB2957_36:
	s_or_b32 exec_lo, exec_lo, s1
	s_delay_alu instid0(SALU_CYCLE_1)
	s_mov_b32 s1, exec_lo
	v_cmpx_gt_u32_e64 s0, v23
	s_cbranch_execnz .LBB2957_50
.LBB2957_37:
	s_or_b32 exec_lo, exec_lo, s1
	s_delay_alu instid0(SALU_CYCLE_1)
	s_mov_b32 s1, exec_lo
	v_cmpx_gt_u32_e64 s0, v19
	s_cbranch_execnz .LBB2957_51
.LBB2957_38:
	s_or_b32 exec_lo, exec_lo, s1
	s_delay_alu instid0(SALU_CYCLE_1)
	s_mov_b32 s1, exec_lo
	v_cmpx_gt_u32_e64 s0, v18
	s_cbranch_execz .LBB2957_40
.LBB2957_39:
	s_wait_dscnt 0x1
	global_store_b64 v[2:3], v[6:7], off offset:6144
.LBB2957_40:
	s_wait_xcnt 0x0
	s_or_b32 exec_lo, exec_lo, s1
	v_cmp_gt_u32_e64 s11, s0, v1
.LBB2957_41:
	s_wait_xcnt 0x0
	s_delay_alu instid0(VALU_DEP_1)
	s_and_saveexec_b32 s0, s11
	s_cbranch_execz .LBB2957_43
; %bb.42:
	s_wait_dscnt 0x0
	global_store_b64 v[2:3], v[4:5], off offset:7168
.LBB2957_43:
	s_endpgm
.LBB2957_44:
	v_dual_mov_b32 v21, v2 :: v_dual_mov_b32 v5, v2
	v_sub_co_u32 v4, vcc_lo, v0, s9
	v_dual_mov_b32 v18, v2 :: v_dual_mov_b32 v19, v2
	s_delay_alu instid0(VALU_DEP_3) | instskip(NEXT) | instid1(VALU_DEP_3)
	v_add_nc_u64_e32 v[6:7], s[14:15], v[20:21]
	v_lshl_add_u64 v[4:5], v[4:5], 3, s[6:7]
	v_dual_mov_b32 v8, v2 :: v_dual_mov_b32 v9, v2
	v_dual_mov_b32 v10, v2 :: v_dual_mov_b32 v11, v2
	;; [unrolled: 1-line block ×3, first 2 shown]
	s_delay_alu instid0(VALU_DEP_4)
	v_dual_cndmask_b32 v5, v5, v7 :: v_dual_cndmask_b32 v4, v4, v6
	v_dual_mov_b32 v6, v2 :: v_dual_mov_b32 v7, v2
	v_dual_mov_b32 v14, v2 :: v_dual_mov_b32 v15, v2
	global_load_b64 v[4:5], v[4:5], off
	v_dual_mov_b32 v16, v2 :: v_dual_mov_b32 v17, v2
	s_wait_loadcnt 0x0
	v_mov_b64_e32 v[2:3], v[4:5]
	v_mov_b64_e32 v[4:5], v[6:7]
	;; [unrolled: 1-line block ×8, first 2 shown]
	s_or_b32 exec_lo, exec_lo, s2
	s_delay_alu instid0(SALU_CYCLE_1)
	s_mov_b32 s2, exec_lo
	v_cmpx_gt_u32_e64 s11, v24
	s_cbranch_execz .LBB2957_6
.LBB2957_45:
	v_mov_b32_e32 v25, 0
	s_delay_alu instid0(VALU_DEP_1) | instskip(SKIP_1) | instid1(VALU_DEP_1)
	v_lshl_add_u64 v[4:5], v[24:25], 3, s[14:15]
	v_sub_co_u32 v24, vcc_lo, v24, s9
	v_lshl_add_u64 v[18:19], v[24:25], 3, s[6:7]
	s_delay_alu instid0(VALU_DEP_1) | instskip(SKIP_3) | instid1(SALU_CYCLE_1)
	v_dual_cndmask_b32 v5, v19, v5 :: v_dual_cndmask_b32 v4, v18, v4
	global_load_b64 v[4:5], v[4:5], off
	s_wait_xcnt 0x0
	s_or_b32 exec_lo, exec_lo, s2
	s_mov_b32 s2, exec_lo
	v_cmpx_gt_u32_e64 s11, v22
	s_cbranch_execnz .LBB2957_7
	s_branch .LBB2957_8
.LBB2957_46:
	ds_load_b64 v[20:21], v26
	s_wait_dscnt 0x0
	global_store_b64 v[2:3], v[20:21], off
	s_wait_xcnt 0x0
	s_or_b32 exec_lo, exec_lo, s1
	s_delay_alu instid0(SALU_CYCLE_1)
	s_mov_b32 s1, exec_lo
	v_cmpx_gt_u32_e64 s0, v25
	s_cbranch_execz .LBB2957_34
.LBB2957_47:
	s_wait_dscnt 0x6
	global_store_b64 v[2:3], v[16:17], off offset:1024
	s_wait_xcnt 0x0
	s_or_b32 exec_lo, exec_lo, s1
	s_delay_alu instid0(SALU_CYCLE_1)
	s_mov_b32 s1, exec_lo
	v_cmpx_gt_u32_e64 s0, v22
	s_cbranch_execz .LBB2957_35
.LBB2957_48:
	s_wait_dscnt 0x5
	global_store_b64 v[2:3], v[14:15], off offset:2048
	s_wait_xcnt 0x0
	s_or_b32 exec_lo, exec_lo, s1
	s_delay_alu instid0(SALU_CYCLE_1)
	s_mov_b32 s1, exec_lo
	v_cmpx_gt_u32_e64 s0, v24
	s_cbranch_execz .LBB2957_36
.LBB2957_49:
	s_wait_dscnt 0x4
	global_store_b64 v[2:3], v[12:13], off offset:3072
	s_wait_xcnt 0x0
	s_or_b32 exec_lo, exec_lo, s1
	s_delay_alu instid0(SALU_CYCLE_1)
	s_mov_b32 s1, exec_lo
	v_cmpx_gt_u32_e64 s0, v23
	s_cbranch_execz .LBB2957_37
.LBB2957_50:
	s_wait_dscnt 0x3
	global_store_b64 v[2:3], v[10:11], off offset:4096
	s_wait_xcnt 0x0
	s_or_b32 exec_lo, exec_lo, s1
	s_delay_alu instid0(SALU_CYCLE_1)
	s_mov_b32 s1, exec_lo
	v_cmpx_gt_u32_e64 s0, v19
	s_cbranch_execz .LBB2957_38
.LBB2957_51:
	s_wait_dscnt 0x2
	global_store_b64 v[2:3], v[8:9], off offset:5120
	s_wait_xcnt 0x0
	s_or_b32 exec_lo, exec_lo, s1
	s_delay_alu instid0(SALU_CYCLE_1)
	s_mov_b32 s1, exec_lo
	v_cmpx_gt_u32_e64 s0, v18
	s_cbranch_execnz .LBB2957_39
	s_branch .LBB2957_40
	.section	.rodata,"a",@progbits
	.p2align	6, 0x0
	.amdhsa_kernel _ZN7rocprim17ROCPRIM_400000_NS6detail17trampoline_kernelINS0_14default_configENS1_38merge_sort_block_merge_config_selectorImNS0_10empty_typeEEEZZNS1_27merge_sort_block_merge_implIS3_PmPS5_jNS1_19radix_merge_compareILb0ELb1EmNS0_19identity_decomposerEEEEE10hipError_tT0_T1_T2_jT3_P12ihipStream_tbPNSt15iterator_traitsISE_E10value_typeEPNSK_ISF_E10value_typeEPSG_NS1_7vsmem_tEENKUlT_SE_SF_SG_E_clIS8_S8_S9_S9_EESD_ST_SE_SF_SG_EUlST_E0_NS1_11comp_targetILNS1_3genE0ELNS1_11target_archE4294967295ELNS1_3gpuE0ELNS1_3repE0EEENS1_38merge_mergepath_config_static_selectorELNS0_4arch9wavefront6targetE0EEEvSF_
		.amdhsa_group_segment_fixed_size 8448
		.amdhsa_private_segment_fixed_size 0
		.amdhsa_kernarg_size 328
		.amdhsa_user_sgpr_count 2
		.amdhsa_user_sgpr_dispatch_ptr 0
		.amdhsa_user_sgpr_queue_ptr 0
		.amdhsa_user_sgpr_kernarg_segment_ptr 1
		.amdhsa_user_sgpr_dispatch_id 0
		.amdhsa_user_sgpr_kernarg_preload_length 0
		.amdhsa_user_sgpr_kernarg_preload_offset 0
		.amdhsa_user_sgpr_private_segment_size 0
		.amdhsa_wavefront_size32 1
		.amdhsa_uses_dynamic_stack 0
		.amdhsa_enable_private_segment 0
		.amdhsa_system_sgpr_workgroup_id_x 1
		.amdhsa_system_sgpr_workgroup_id_y 1
		.amdhsa_system_sgpr_workgroup_id_z 1
		.amdhsa_system_sgpr_workgroup_info 0
		.amdhsa_system_vgpr_workitem_id 0
		.amdhsa_next_free_vgpr 38
		.amdhsa_next_free_sgpr 23
		.amdhsa_named_barrier_count 0
		.amdhsa_reserve_vcc 1
		.amdhsa_float_round_mode_32 0
		.amdhsa_float_round_mode_16_64 0
		.amdhsa_float_denorm_mode_32 3
		.amdhsa_float_denorm_mode_16_64 3
		.amdhsa_fp16_overflow 0
		.amdhsa_memory_ordered 1
		.amdhsa_forward_progress 1
		.amdhsa_inst_pref_size 36
		.amdhsa_round_robin_scheduling 0
		.amdhsa_exception_fp_ieee_invalid_op 0
		.amdhsa_exception_fp_denorm_src 0
		.amdhsa_exception_fp_ieee_div_zero 0
		.amdhsa_exception_fp_ieee_overflow 0
		.amdhsa_exception_fp_ieee_underflow 0
		.amdhsa_exception_fp_ieee_inexact 0
		.amdhsa_exception_int_div_zero 0
	.end_amdhsa_kernel
	.section	.text._ZN7rocprim17ROCPRIM_400000_NS6detail17trampoline_kernelINS0_14default_configENS1_38merge_sort_block_merge_config_selectorImNS0_10empty_typeEEEZZNS1_27merge_sort_block_merge_implIS3_PmPS5_jNS1_19radix_merge_compareILb0ELb1EmNS0_19identity_decomposerEEEEE10hipError_tT0_T1_T2_jT3_P12ihipStream_tbPNSt15iterator_traitsISE_E10value_typeEPNSK_ISF_E10value_typeEPSG_NS1_7vsmem_tEENKUlT_SE_SF_SG_E_clIS8_S8_S9_S9_EESD_ST_SE_SF_SG_EUlST_E0_NS1_11comp_targetILNS1_3genE0ELNS1_11target_archE4294967295ELNS1_3gpuE0ELNS1_3repE0EEENS1_38merge_mergepath_config_static_selectorELNS0_4arch9wavefront6targetE0EEEvSF_,"axG",@progbits,_ZN7rocprim17ROCPRIM_400000_NS6detail17trampoline_kernelINS0_14default_configENS1_38merge_sort_block_merge_config_selectorImNS0_10empty_typeEEEZZNS1_27merge_sort_block_merge_implIS3_PmPS5_jNS1_19radix_merge_compareILb0ELb1EmNS0_19identity_decomposerEEEEE10hipError_tT0_T1_T2_jT3_P12ihipStream_tbPNSt15iterator_traitsISE_E10value_typeEPNSK_ISF_E10value_typeEPSG_NS1_7vsmem_tEENKUlT_SE_SF_SG_E_clIS8_S8_S9_S9_EESD_ST_SE_SF_SG_EUlST_E0_NS1_11comp_targetILNS1_3genE0ELNS1_11target_archE4294967295ELNS1_3gpuE0ELNS1_3repE0EEENS1_38merge_mergepath_config_static_selectorELNS0_4arch9wavefront6targetE0EEEvSF_,comdat
.Lfunc_end2957:
	.size	_ZN7rocprim17ROCPRIM_400000_NS6detail17trampoline_kernelINS0_14default_configENS1_38merge_sort_block_merge_config_selectorImNS0_10empty_typeEEEZZNS1_27merge_sort_block_merge_implIS3_PmPS5_jNS1_19radix_merge_compareILb0ELb1EmNS0_19identity_decomposerEEEEE10hipError_tT0_T1_T2_jT3_P12ihipStream_tbPNSt15iterator_traitsISE_E10value_typeEPNSK_ISF_E10value_typeEPSG_NS1_7vsmem_tEENKUlT_SE_SF_SG_E_clIS8_S8_S9_S9_EESD_ST_SE_SF_SG_EUlST_E0_NS1_11comp_targetILNS1_3genE0ELNS1_11target_archE4294967295ELNS1_3gpuE0ELNS1_3repE0EEENS1_38merge_mergepath_config_static_selectorELNS0_4arch9wavefront6targetE0EEEvSF_, .Lfunc_end2957-_ZN7rocprim17ROCPRIM_400000_NS6detail17trampoline_kernelINS0_14default_configENS1_38merge_sort_block_merge_config_selectorImNS0_10empty_typeEEEZZNS1_27merge_sort_block_merge_implIS3_PmPS5_jNS1_19radix_merge_compareILb0ELb1EmNS0_19identity_decomposerEEEEE10hipError_tT0_T1_T2_jT3_P12ihipStream_tbPNSt15iterator_traitsISE_E10value_typeEPNSK_ISF_E10value_typeEPSG_NS1_7vsmem_tEENKUlT_SE_SF_SG_E_clIS8_S8_S9_S9_EESD_ST_SE_SF_SG_EUlST_E0_NS1_11comp_targetILNS1_3genE0ELNS1_11target_archE4294967295ELNS1_3gpuE0ELNS1_3repE0EEENS1_38merge_mergepath_config_static_selectorELNS0_4arch9wavefront6targetE0EEEvSF_
                                        ; -- End function
	.set _ZN7rocprim17ROCPRIM_400000_NS6detail17trampoline_kernelINS0_14default_configENS1_38merge_sort_block_merge_config_selectorImNS0_10empty_typeEEEZZNS1_27merge_sort_block_merge_implIS3_PmPS5_jNS1_19radix_merge_compareILb0ELb1EmNS0_19identity_decomposerEEEEE10hipError_tT0_T1_T2_jT3_P12ihipStream_tbPNSt15iterator_traitsISE_E10value_typeEPNSK_ISF_E10value_typeEPSG_NS1_7vsmem_tEENKUlT_SE_SF_SG_E_clIS8_S8_S9_S9_EESD_ST_SE_SF_SG_EUlST_E0_NS1_11comp_targetILNS1_3genE0ELNS1_11target_archE4294967295ELNS1_3gpuE0ELNS1_3repE0EEENS1_38merge_mergepath_config_static_selectorELNS0_4arch9wavefront6targetE0EEEvSF_.num_vgpr, 38
	.set _ZN7rocprim17ROCPRIM_400000_NS6detail17trampoline_kernelINS0_14default_configENS1_38merge_sort_block_merge_config_selectorImNS0_10empty_typeEEEZZNS1_27merge_sort_block_merge_implIS3_PmPS5_jNS1_19radix_merge_compareILb0ELb1EmNS0_19identity_decomposerEEEEE10hipError_tT0_T1_T2_jT3_P12ihipStream_tbPNSt15iterator_traitsISE_E10value_typeEPNSK_ISF_E10value_typeEPSG_NS1_7vsmem_tEENKUlT_SE_SF_SG_E_clIS8_S8_S9_S9_EESD_ST_SE_SF_SG_EUlST_E0_NS1_11comp_targetILNS1_3genE0ELNS1_11target_archE4294967295ELNS1_3gpuE0ELNS1_3repE0EEENS1_38merge_mergepath_config_static_selectorELNS0_4arch9wavefront6targetE0EEEvSF_.num_agpr, 0
	.set _ZN7rocprim17ROCPRIM_400000_NS6detail17trampoline_kernelINS0_14default_configENS1_38merge_sort_block_merge_config_selectorImNS0_10empty_typeEEEZZNS1_27merge_sort_block_merge_implIS3_PmPS5_jNS1_19radix_merge_compareILb0ELb1EmNS0_19identity_decomposerEEEEE10hipError_tT0_T1_T2_jT3_P12ihipStream_tbPNSt15iterator_traitsISE_E10value_typeEPNSK_ISF_E10value_typeEPSG_NS1_7vsmem_tEENKUlT_SE_SF_SG_E_clIS8_S8_S9_S9_EESD_ST_SE_SF_SG_EUlST_E0_NS1_11comp_targetILNS1_3genE0ELNS1_11target_archE4294967295ELNS1_3gpuE0ELNS1_3repE0EEENS1_38merge_mergepath_config_static_selectorELNS0_4arch9wavefront6targetE0EEEvSF_.numbered_sgpr, 23
	.set _ZN7rocprim17ROCPRIM_400000_NS6detail17trampoline_kernelINS0_14default_configENS1_38merge_sort_block_merge_config_selectorImNS0_10empty_typeEEEZZNS1_27merge_sort_block_merge_implIS3_PmPS5_jNS1_19radix_merge_compareILb0ELb1EmNS0_19identity_decomposerEEEEE10hipError_tT0_T1_T2_jT3_P12ihipStream_tbPNSt15iterator_traitsISE_E10value_typeEPNSK_ISF_E10value_typeEPSG_NS1_7vsmem_tEENKUlT_SE_SF_SG_E_clIS8_S8_S9_S9_EESD_ST_SE_SF_SG_EUlST_E0_NS1_11comp_targetILNS1_3genE0ELNS1_11target_archE4294967295ELNS1_3gpuE0ELNS1_3repE0EEENS1_38merge_mergepath_config_static_selectorELNS0_4arch9wavefront6targetE0EEEvSF_.num_named_barrier, 0
	.set _ZN7rocprim17ROCPRIM_400000_NS6detail17trampoline_kernelINS0_14default_configENS1_38merge_sort_block_merge_config_selectorImNS0_10empty_typeEEEZZNS1_27merge_sort_block_merge_implIS3_PmPS5_jNS1_19radix_merge_compareILb0ELb1EmNS0_19identity_decomposerEEEEE10hipError_tT0_T1_T2_jT3_P12ihipStream_tbPNSt15iterator_traitsISE_E10value_typeEPNSK_ISF_E10value_typeEPSG_NS1_7vsmem_tEENKUlT_SE_SF_SG_E_clIS8_S8_S9_S9_EESD_ST_SE_SF_SG_EUlST_E0_NS1_11comp_targetILNS1_3genE0ELNS1_11target_archE4294967295ELNS1_3gpuE0ELNS1_3repE0EEENS1_38merge_mergepath_config_static_selectorELNS0_4arch9wavefront6targetE0EEEvSF_.private_seg_size, 0
	.set _ZN7rocprim17ROCPRIM_400000_NS6detail17trampoline_kernelINS0_14default_configENS1_38merge_sort_block_merge_config_selectorImNS0_10empty_typeEEEZZNS1_27merge_sort_block_merge_implIS3_PmPS5_jNS1_19radix_merge_compareILb0ELb1EmNS0_19identity_decomposerEEEEE10hipError_tT0_T1_T2_jT3_P12ihipStream_tbPNSt15iterator_traitsISE_E10value_typeEPNSK_ISF_E10value_typeEPSG_NS1_7vsmem_tEENKUlT_SE_SF_SG_E_clIS8_S8_S9_S9_EESD_ST_SE_SF_SG_EUlST_E0_NS1_11comp_targetILNS1_3genE0ELNS1_11target_archE4294967295ELNS1_3gpuE0ELNS1_3repE0EEENS1_38merge_mergepath_config_static_selectorELNS0_4arch9wavefront6targetE0EEEvSF_.uses_vcc, 1
	.set _ZN7rocprim17ROCPRIM_400000_NS6detail17trampoline_kernelINS0_14default_configENS1_38merge_sort_block_merge_config_selectorImNS0_10empty_typeEEEZZNS1_27merge_sort_block_merge_implIS3_PmPS5_jNS1_19radix_merge_compareILb0ELb1EmNS0_19identity_decomposerEEEEE10hipError_tT0_T1_T2_jT3_P12ihipStream_tbPNSt15iterator_traitsISE_E10value_typeEPNSK_ISF_E10value_typeEPSG_NS1_7vsmem_tEENKUlT_SE_SF_SG_E_clIS8_S8_S9_S9_EESD_ST_SE_SF_SG_EUlST_E0_NS1_11comp_targetILNS1_3genE0ELNS1_11target_archE4294967295ELNS1_3gpuE0ELNS1_3repE0EEENS1_38merge_mergepath_config_static_selectorELNS0_4arch9wavefront6targetE0EEEvSF_.uses_flat_scratch, 0
	.set _ZN7rocprim17ROCPRIM_400000_NS6detail17trampoline_kernelINS0_14default_configENS1_38merge_sort_block_merge_config_selectorImNS0_10empty_typeEEEZZNS1_27merge_sort_block_merge_implIS3_PmPS5_jNS1_19radix_merge_compareILb0ELb1EmNS0_19identity_decomposerEEEEE10hipError_tT0_T1_T2_jT3_P12ihipStream_tbPNSt15iterator_traitsISE_E10value_typeEPNSK_ISF_E10value_typeEPSG_NS1_7vsmem_tEENKUlT_SE_SF_SG_E_clIS8_S8_S9_S9_EESD_ST_SE_SF_SG_EUlST_E0_NS1_11comp_targetILNS1_3genE0ELNS1_11target_archE4294967295ELNS1_3gpuE0ELNS1_3repE0EEENS1_38merge_mergepath_config_static_selectorELNS0_4arch9wavefront6targetE0EEEvSF_.has_dyn_sized_stack, 0
	.set _ZN7rocprim17ROCPRIM_400000_NS6detail17trampoline_kernelINS0_14default_configENS1_38merge_sort_block_merge_config_selectorImNS0_10empty_typeEEEZZNS1_27merge_sort_block_merge_implIS3_PmPS5_jNS1_19radix_merge_compareILb0ELb1EmNS0_19identity_decomposerEEEEE10hipError_tT0_T1_T2_jT3_P12ihipStream_tbPNSt15iterator_traitsISE_E10value_typeEPNSK_ISF_E10value_typeEPSG_NS1_7vsmem_tEENKUlT_SE_SF_SG_E_clIS8_S8_S9_S9_EESD_ST_SE_SF_SG_EUlST_E0_NS1_11comp_targetILNS1_3genE0ELNS1_11target_archE4294967295ELNS1_3gpuE0ELNS1_3repE0EEENS1_38merge_mergepath_config_static_selectorELNS0_4arch9wavefront6targetE0EEEvSF_.has_recursion, 0
	.set _ZN7rocprim17ROCPRIM_400000_NS6detail17trampoline_kernelINS0_14default_configENS1_38merge_sort_block_merge_config_selectorImNS0_10empty_typeEEEZZNS1_27merge_sort_block_merge_implIS3_PmPS5_jNS1_19radix_merge_compareILb0ELb1EmNS0_19identity_decomposerEEEEE10hipError_tT0_T1_T2_jT3_P12ihipStream_tbPNSt15iterator_traitsISE_E10value_typeEPNSK_ISF_E10value_typeEPSG_NS1_7vsmem_tEENKUlT_SE_SF_SG_E_clIS8_S8_S9_S9_EESD_ST_SE_SF_SG_EUlST_E0_NS1_11comp_targetILNS1_3genE0ELNS1_11target_archE4294967295ELNS1_3gpuE0ELNS1_3repE0EEENS1_38merge_mergepath_config_static_selectorELNS0_4arch9wavefront6targetE0EEEvSF_.has_indirect_call, 0
	.section	.AMDGPU.csdata,"",@progbits
; Kernel info:
; codeLenInByte = 4572
; TotalNumSgprs: 25
; NumVgprs: 38
; ScratchSize: 0
; MemoryBound: 0
; FloatMode: 240
; IeeeMode: 1
; LDSByteSize: 8448 bytes/workgroup (compile time only)
; SGPRBlocks: 0
; VGPRBlocks: 2
; NumSGPRsForWavesPerEU: 25
; NumVGPRsForWavesPerEU: 38
; NamedBarCnt: 0
; Occupancy: 16
; WaveLimiterHint : 1
; COMPUTE_PGM_RSRC2:SCRATCH_EN: 0
; COMPUTE_PGM_RSRC2:USER_SGPR: 2
; COMPUTE_PGM_RSRC2:TRAP_HANDLER: 0
; COMPUTE_PGM_RSRC2:TGID_X_EN: 1
; COMPUTE_PGM_RSRC2:TGID_Y_EN: 1
; COMPUTE_PGM_RSRC2:TGID_Z_EN: 1
; COMPUTE_PGM_RSRC2:TIDIG_COMP_CNT: 0
	.section	.text._ZN7rocprim17ROCPRIM_400000_NS6detail17trampoline_kernelINS0_14default_configENS1_38merge_sort_block_merge_config_selectorImNS0_10empty_typeEEEZZNS1_27merge_sort_block_merge_implIS3_PmPS5_jNS1_19radix_merge_compareILb0ELb1EmNS0_19identity_decomposerEEEEE10hipError_tT0_T1_T2_jT3_P12ihipStream_tbPNSt15iterator_traitsISE_E10value_typeEPNSK_ISF_E10value_typeEPSG_NS1_7vsmem_tEENKUlT_SE_SF_SG_E_clIS8_S8_S9_S9_EESD_ST_SE_SF_SG_EUlST_E0_NS1_11comp_targetILNS1_3genE10ELNS1_11target_archE1201ELNS1_3gpuE5ELNS1_3repE0EEENS1_38merge_mergepath_config_static_selectorELNS0_4arch9wavefront6targetE0EEEvSF_,"axG",@progbits,_ZN7rocprim17ROCPRIM_400000_NS6detail17trampoline_kernelINS0_14default_configENS1_38merge_sort_block_merge_config_selectorImNS0_10empty_typeEEEZZNS1_27merge_sort_block_merge_implIS3_PmPS5_jNS1_19radix_merge_compareILb0ELb1EmNS0_19identity_decomposerEEEEE10hipError_tT0_T1_T2_jT3_P12ihipStream_tbPNSt15iterator_traitsISE_E10value_typeEPNSK_ISF_E10value_typeEPSG_NS1_7vsmem_tEENKUlT_SE_SF_SG_E_clIS8_S8_S9_S9_EESD_ST_SE_SF_SG_EUlST_E0_NS1_11comp_targetILNS1_3genE10ELNS1_11target_archE1201ELNS1_3gpuE5ELNS1_3repE0EEENS1_38merge_mergepath_config_static_selectorELNS0_4arch9wavefront6targetE0EEEvSF_,comdat
	.protected	_ZN7rocprim17ROCPRIM_400000_NS6detail17trampoline_kernelINS0_14default_configENS1_38merge_sort_block_merge_config_selectorImNS0_10empty_typeEEEZZNS1_27merge_sort_block_merge_implIS3_PmPS5_jNS1_19radix_merge_compareILb0ELb1EmNS0_19identity_decomposerEEEEE10hipError_tT0_T1_T2_jT3_P12ihipStream_tbPNSt15iterator_traitsISE_E10value_typeEPNSK_ISF_E10value_typeEPSG_NS1_7vsmem_tEENKUlT_SE_SF_SG_E_clIS8_S8_S9_S9_EESD_ST_SE_SF_SG_EUlST_E0_NS1_11comp_targetILNS1_3genE10ELNS1_11target_archE1201ELNS1_3gpuE5ELNS1_3repE0EEENS1_38merge_mergepath_config_static_selectorELNS0_4arch9wavefront6targetE0EEEvSF_ ; -- Begin function _ZN7rocprim17ROCPRIM_400000_NS6detail17trampoline_kernelINS0_14default_configENS1_38merge_sort_block_merge_config_selectorImNS0_10empty_typeEEEZZNS1_27merge_sort_block_merge_implIS3_PmPS5_jNS1_19radix_merge_compareILb0ELb1EmNS0_19identity_decomposerEEEEE10hipError_tT0_T1_T2_jT3_P12ihipStream_tbPNSt15iterator_traitsISE_E10value_typeEPNSK_ISF_E10value_typeEPSG_NS1_7vsmem_tEENKUlT_SE_SF_SG_E_clIS8_S8_S9_S9_EESD_ST_SE_SF_SG_EUlST_E0_NS1_11comp_targetILNS1_3genE10ELNS1_11target_archE1201ELNS1_3gpuE5ELNS1_3repE0EEENS1_38merge_mergepath_config_static_selectorELNS0_4arch9wavefront6targetE0EEEvSF_
	.globl	_ZN7rocprim17ROCPRIM_400000_NS6detail17trampoline_kernelINS0_14default_configENS1_38merge_sort_block_merge_config_selectorImNS0_10empty_typeEEEZZNS1_27merge_sort_block_merge_implIS3_PmPS5_jNS1_19radix_merge_compareILb0ELb1EmNS0_19identity_decomposerEEEEE10hipError_tT0_T1_T2_jT3_P12ihipStream_tbPNSt15iterator_traitsISE_E10value_typeEPNSK_ISF_E10value_typeEPSG_NS1_7vsmem_tEENKUlT_SE_SF_SG_E_clIS8_S8_S9_S9_EESD_ST_SE_SF_SG_EUlST_E0_NS1_11comp_targetILNS1_3genE10ELNS1_11target_archE1201ELNS1_3gpuE5ELNS1_3repE0EEENS1_38merge_mergepath_config_static_selectorELNS0_4arch9wavefront6targetE0EEEvSF_
	.p2align	8
	.type	_ZN7rocprim17ROCPRIM_400000_NS6detail17trampoline_kernelINS0_14default_configENS1_38merge_sort_block_merge_config_selectorImNS0_10empty_typeEEEZZNS1_27merge_sort_block_merge_implIS3_PmPS5_jNS1_19radix_merge_compareILb0ELb1EmNS0_19identity_decomposerEEEEE10hipError_tT0_T1_T2_jT3_P12ihipStream_tbPNSt15iterator_traitsISE_E10value_typeEPNSK_ISF_E10value_typeEPSG_NS1_7vsmem_tEENKUlT_SE_SF_SG_E_clIS8_S8_S9_S9_EESD_ST_SE_SF_SG_EUlST_E0_NS1_11comp_targetILNS1_3genE10ELNS1_11target_archE1201ELNS1_3gpuE5ELNS1_3repE0EEENS1_38merge_mergepath_config_static_selectorELNS0_4arch9wavefront6targetE0EEEvSF_,@function
_ZN7rocprim17ROCPRIM_400000_NS6detail17trampoline_kernelINS0_14default_configENS1_38merge_sort_block_merge_config_selectorImNS0_10empty_typeEEEZZNS1_27merge_sort_block_merge_implIS3_PmPS5_jNS1_19radix_merge_compareILb0ELb1EmNS0_19identity_decomposerEEEEE10hipError_tT0_T1_T2_jT3_P12ihipStream_tbPNSt15iterator_traitsISE_E10value_typeEPNSK_ISF_E10value_typeEPSG_NS1_7vsmem_tEENKUlT_SE_SF_SG_E_clIS8_S8_S9_S9_EESD_ST_SE_SF_SG_EUlST_E0_NS1_11comp_targetILNS1_3genE10ELNS1_11target_archE1201ELNS1_3gpuE5ELNS1_3repE0EEENS1_38merge_mergepath_config_static_selectorELNS0_4arch9wavefront6targetE0EEEvSF_: ; @_ZN7rocprim17ROCPRIM_400000_NS6detail17trampoline_kernelINS0_14default_configENS1_38merge_sort_block_merge_config_selectorImNS0_10empty_typeEEEZZNS1_27merge_sort_block_merge_implIS3_PmPS5_jNS1_19radix_merge_compareILb0ELb1EmNS0_19identity_decomposerEEEEE10hipError_tT0_T1_T2_jT3_P12ihipStream_tbPNSt15iterator_traitsISE_E10value_typeEPNSK_ISF_E10value_typeEPSG_NS1_7vsmem_tEENKUlT_SE_SF_SG_E_clIS8_S8_S9_S9_EESD_ST_SE_SF_SG_EUlST_E0_NS1_11comp_targetILNS1_3genE10ELNS1_11target_archE1201ELNS1_3gpuE5ELNS1_3repE0EEENS1_38merge_mergepath_config_static_selectorELNS0_4arch9wavefront6targetE0EEEvSF_
; %bb.0:
	.section	.rodata,"a",@progbits
	.p2align	6, 0x0
	.amdhsa_kernel _ZN7rocprim17ROCPRIM_400000_NS6detail17trampoline_kernelINS0_14default_configENS1_38merge_sort_block_merge_config_selectorImNS0_10empty_typeEEEZZNS1_27merge_sort_block_merge_implIS3_PmPS5_jNS1_19radix_merge_compareILb0ELb1EmNS0_19identity_decomposerEEEEE10hipError_tT0_T1_T2_jT3_P12ihipStream_tbPNSt15iterator_traitsISE_E10value_typeEPNSK_ISF_E10value_typeEPSG_NS1_7vsmem_tEENKUlT_SE_SF_SG_E_clIS8_S8_S9_S9_EESD_ST_SE_SF_SG_EUlST_E0_NS1_11comp_targetILNS1_3genE10ELNS1_11target_archE1201ELNS1_3gpuE5ELNS1_3repE0EEENS1_38merge_mergepath_config_static_selectorELNS0_4arch9wavefront6targetE0EEEvSF_
		.amdhsa_group_segment_fixed_size 0
		.amdhsa_private_segment_fixed_size 0
		.amdhsa_kernarg_size 72
		.amdhsa_user_sgpr_count 2
		.amdhsa_user_sgpr_dispatch_ptr 0
		.amdhsa_user_sgpr_queue_ptr 0
		.amdhsa_user_sgpr_kernarg_segment_ptr 1
		.amdhsa_user_sgpr_dispatch_id 0
		.amdhsa_user_sgpr_kernarg_preload_length 0
		.amdhsa_user_sgpr_kernarg_preload_offset 0
		.amdhsa_user_sgpr_private_segment_size 0
		.amdhsa_wavefront_size32 1
		.amdhsa_uses_dynamic_stack 0
		.amdhsa_enable_private_segment 0
		.amdhsa_system_sgpr_workgroup_id_x 1
		.amdhsa_system_sgpr_workgroup_id_y 0
		.amdhsa_system_sgpr_workgroup_id_z 0
		.amdhsa_system_sgpr_workgroup_info 0
		.amdhsa_system_vgpr_workitem_id 0
		.amdhsa_next_free_vgpr 1
		.amdhsa_next_free_sgpr 1
		.amdhsa_named_barrier_count 0
		.amdhsa_reserve_vcc 0
		.amdhsa_float_round_mode_32 0
		.amdhsa_float_round_mode_16_64 0
		.amdhsa_float_denorm_mode_32 3
		.amdhsa_float_denorm_mode_16_64 3
		.amdhsa_fp16_overflow 0
		.amdhsa_memory_ordered 1
		.amdhsa_forward_progress 1
		.amdhsa_inst_pref_size 0
		.amdhsa_round_robin_scheduling 0
		.amdhsa_exception_fp_ieee_invalid_op 0
		.amdhsa_exception_fp_denorm_src 0
		.amdhsa_exception_fp_ieee_div_zero 0
		.amdhsa_exception_fp_ieee_overflow 0
		.amdhsa_exception_fp_ieee_underflow 0
		.amdhsa_exception_fp_ieee_inexact 0
		.amdhsa_exception_int_div_zero 0
	.end_amdhsa_kernel
	.section	.text._ZN7rocprim17ROCPRIM_400000_NS6detail17trampoline_kernelINS0_14default_configENS1_38merge_sort_block_merge_config_selectorImNS0_10empty_typeEEEZZNS1_27merge_sort_block_merge_implIS3_PmPS5_jNS1_19radix_merge_compareILb0ELb1EmNS0_19identity_decomposerEEEEE10hipError_tT0_T1_T2_jT3_P12ihipStream_tbPNSt15iterator_traitsISE_E10value_typeEPNSK_ISF_E10value_typeEPSG_NS1_7vsmem_tEENKUlT_SE_SF_SG_E_clIS8_S8_S9_S9_EESD_ST_SE_SF_SG_EUlST_E0_NS1_11comp_targetILNS1_3genE10ELNS1_11target_archE1201ELNS1_3gpuE5ELNS1_3repE0EEENS1_38merge_mergepath_config_static_selectorELNS0_4arch9wavefront6targetE0EEEvSF_,"axG",@progbits,_ZN7rocprim17ROCPRIM_400000_NS6detail17trampoline_kernelINS0_14default_configENS1_38merge_sort_block_merge_config_selectorImNS0_10empty_typeEEEZZNS1_27merge_sort_block_merge_implIS3_PmPS5_jNS1_19radix_merge_compareILb0ELb1EmNS0_19identity_decomposerEEEEE10hipError_tT0_T1_T2_jT3_P12ihipStream_tbPNSt15iterator_traitsISE_E10value_typeEPNSK_ISF_E10value_typeEPSG_NS1_7vsmem_tEENKUlT_SE_SF_SG_E_clIS8_S8_S9_S9_EESD_ST_SE_SF_SG_EUlST_E0_NS1_11comp_targetILNS1_3genE10ELNS1_11target_archE1201ELNS1_3gpuE5ELNS1_3repE0EEENS1_38merge_mergepath_config_static_selectorELNS0_4arch9wavefront6targetE0EEEvSF_,comdat
.Lfunc_end2958:
	.size	_ZN7rocprim17ROCPRIM_400000_NS6detail17trampoline_kernelINS0_14default_configENS1_38merge_sort_block_merge_config_selectorImNS0_10empty_typeEEEZZNS1_27merge_sort_block_merge_implIS3_PmPS5_jNS1_19radix_merge_compareILb0ELb1EmNS0_19identity_decomposerEEEEE10hipError_tT0_T1_T2_jT3_P12ihipStream_tbPNSt15iterator_traitsISE_E10value_typeEPNSK_ISF_E10value_typeEPSG_NS1_7vsmem_tEENKUlT_SE_SF_SG_E_clIS8_S8_S9_S9_EESD_ST_SE_SF_SG_EUlST_E0_NS1_11comp_targetILNS1_3genE10ELNS1_11target_archE1201ELNS1_3gpuE5ELNS1_3repE0EEENS1_38merge_mergepath_config_static_selectorELNS0_4arch9wavefront6targetE0EEEvSF_, .Lfunc_end2958-_ZN7rocprim17ROCPRIM_400000_NS6detail17trampoline_kernelINS0_14default_configENS1_38merge_sort_block_merge_config_selectorImNS0_10empty_typeEEEZZNS1_27merge_sort_block_merge_implIS3_PmPS5_jNS1_19radix_merge_compareILb0ELb1EmNS0_19identity_decomposerEEEEE10hipError_tT0_T1_T2_jT3_P12ihipStream_tbPNSt15iterator_traitsISE_E10value_typeEPNSK_ISF_E10value_typeEPSG_NS1_7vsmem_tEENKUlT_SE_SF_SG_E_clIS8_S8_S9_S9_EESD_ST_SE_SF_SG_EUlST_E0_NS1_11comp_targetILNS1_3genE10ELNS1_11target_archE1201ELNS1_3gpuE5ELNS1_3repE0EEENS1_38merge_mergepath_config_static_selectorELNS0_4arch9wavefront6targetE0EEEvSF_
                                        ; -- End function
	.set _ZN7rocprim17ROCPRIM_400000_NS6detail17trampoline_kernelINS0_14default_configENS1_38merge_sort_block_merge_config_selectorImNS0_10empty_typeEEEZZNS1_27merge_sort_block_merge_implIS3_PmPS5_jNS1_19radix_merge_compareILb0ELb1EmNS0_19identity_decomposerEEEEE10hipError_tT0_T1_T2_jT3_P12ihipStream_tbPNSt15iterator_traitsISE_E10value_typeEPNSK_ISF_E10value_typeEPSG_NS1_7vsmem_tEENKUlT_SE_SF_SG_E_clIS8_S8_S9_S9_EESD_ST_SE_SF_SG_EUlST_E0_NS1_11comp_targetILNS1_3genE10ELNS1_11target_archE1201ELNS1_3gpuE5ELNS1_3repE0EEENS1_38merge_mergepath_config_static_selectorELNS0_4arch9wavefront6targetE0EEEvSF_.num_vgpr, 0
	.set _ZN7rocprim17ROCPRIM_400000_NS6detail17trampoline_kernelINS0_14default_configENS1_38merge_sort_block_merge_config_selectorImNS0_10empty_typeEEEZZNS1_27merge_sort_block_merge_implIS3_PmPS5_jNS1_19radix_merge_compareILb0ELb1EmNS0_19identity_decomposerEEEEE10hipError_tT0_T1_T2_jT3_P12ihipStream_tbPNSt15iterator_traitsISE_E10value_typeEPNSK_ISF_E10value_typeEPSG_NS1_7vsmem_tEENKUlT_SE_SF_SG_E_clIS8_S8_S9_S9_EESD_ST_SE_SF_SG_EUlST_E0_NS1_11comp_targetILNS1_3genE10ELNS1_11target_archE1201ELNS1_3gpuE5ELNS1_3repE0EEENS1_38merge_mergepath_config_static_selectorELNS0_4arch9wavefront6targetE0EEEvSF_.num_agpr, 0
	.set _ZN7rocprim17ROCPRIM_400000_NS6detail17trampoline_kernelINS0_14default_configENS1_38merge_sort_block_merge_config_selectorImNS0_10empty_typeEEEZZNS1_27merge_sort_block_merge_implIS3_PmPS5_jNS1_19radix_merge_compareILb0ELb1EmNS0_19identity_decomposerEEEEE10hipError_tT0_T1_T2_jT3_P12ihipStream_tbPNSt15iterator_traitsISE_E10value_typeEPNSK_ISF_E10value_typeEPSG_NS1_7vsmem_tEENKUlT_SE_SF_SG_E_clIS8_S8_S9_S9_EESD_ST_SE_SF_SG_EUlST_E0_NS1_11comp_targetILNS1_3genE10ELNS1_11target_archE1201ELNS1_3gpuE5ELNS1_3repE0EEENS1_38merge_mergepath_config_static_selectorELNS0_4arch9wavefront6targetE0EEEvSF_.numbered_sgpr, 0
	.set _ZN7rocprim17ROCPRIM_400000_NS6detail17trampoline_kernelINS0_14default_configENS1_38merge_sort_block_merge_config_selectorImNS0_10empty_typeEEEZZNS1_27merge_sort_block_merge_implIS3_PmPS5_jNS1_19radix_merge_compareILb0ELb1EmNS0_19identity_decomposerEEEEE10hipError_tT0_T1_T2_jT3_P12ihipStream_tbPNSt15iterator_traitsISE_E10value_typeEPNSK_ISF_E10value_typeEPSG_NS1_7vsmem_tEENKUlT_SE_SF_SG_E_clIS8_S8_S9_S9_EESD_ST_SE_SF_SG_EUlST_E0_NS1_11comp_targetILNS1_3genE10ELNS1_11target_archE1201ELNS1_3gpuE5ELNS1_3repE0EEENS1_38merge_mergepath_config_static_selectorELNS0_4arch9wavefront6targetE0EEEvSF_.num_named_barrier, 0
	.set _ZN7rocprim17ROCPRIM_400000_NS6detail17trampoline_kernelINS0_14default_configENS1_38merge_sort_block_merge_config_selectorImNS0_10empty_typeEEEZZNS1_27merge_sort_block_merge_implIS3_PmPS5_jNS1_19radix_merge_compareILb0ELb1EmNS0_19identity_decomposerEEEEE10hipError_tT0_T1_T2_jT3_P12ihipStream_tbPNSt15iterator_traitsISE_E10value_typeEPNSK_ISF_E10value_typeEPSG_NS1_7vsmem_tEENKUlT_SE_SF_SG_E_clIS8_S8_S9_S9_EESD_ST_SE_SF_SG_EUlST_E0_NS1_11comp_targetILNS1_3genE10ELNS1_11target_archE1201ELNS1_3gpuE5ELNS1_3repE0EEENS1_38merge_mergepath_config_static_selectorELNS0_4arch9wavefront6targetE0EEEvSF_.private_seg_size, 0
	.set _ZN7rocprim17ROCPRIM_400000_NS6detail17trampoline_kernelINS0_14default_configENS1_38merge_sort_block_merge_config_selectorImNS0_10empty_typeEEEZZNS1_27merge_sort_block_merge_implIS3_PmPS5_jNS1_19radix_merge_compareILb0ELb1EmNS0_19identity_decomposerEEEEE10hipError_tT0_T1_T2_jT3_P12ihipStream_tbPNSt15iterator_traitsISE_E10value_typeEPNSK_ISF_E10value_typeEPSG_NS1_7vsmem_tEENKUlT_SE_SF_SG_E_clIS8_S8_S9_S9_EESD_ST_SE_SF_SG_EUlST_E0_NS1_11comp_targetILNS1_3genE10ELNS1_11target_archE1201ELNS1_3gpuE5ELNS1_3repE0EEENS1_38merge_mergepath_config_static_selectorELNS0_4arch9wavefront6targetE0EEEvSF_.uses_vcc, 0
	.set _ZN7rocprim17ROCPRIM_400000_NS6detail17trampoline_kernelINS0_14default_configENS1_38merge_sort_block_merge_config_selectorImNS0_10empty_typeEEEZZNS1_27merge_sort_block_merge_implIS3_PmPS5_jNS1_19radix_merge_compareILb0ELb1EmNS0_19identity_decomposerEEEEE10hipError_tT0_T1_T2_jT3_P12ihipStream_tbPNSt15iterator_traitsISE_E10value_typeEPNSK_ISF_E10value_typeEPSG_NS1_7vsmem_tEENKUlT_SE_SF_SG_E_clIS8_S8_S9_S9_EESD_ST_SE_SF_SG_EUlST_E0_NS1_11comp_targetILNS1_3genE10ELNS1_11target_archE1201ELNS1_3gpuE5ELNS1_3repE0EEENS1_38merge_mergepath_config_static_selectorELNS0_4arch9wavefront6targetE0EEEvSF_.uses_flat_scratch, 0
	.set _ZN7rocprim17ROCPRIM_400000_NS6detail17trampoline_kernelINS0_14default_configENS1_38merge_sort_block_merge_config_selectorImNS0_10empty_typeEEEZZNS1_27merge_sort_block_merge_implIS3_PmPS5_jNS1_19radix_merge_compareILb0ELb1EmNS0_19identity_decomposerEEEEE10hipError_tT0_T1_T2_jT3_P12ihipStream_tbPNSt15iterator_traitsISE_E10value_typeEPNSK_ISF_E10value_typeEPSG_NS1_7vsmem_tEENKUlT_SE_SF_SG_E_clIS8_S8_S9_S9_EESD_ST_SE_SF_SG_EUlST_E0_NS1_11comp_targetILNS1_3genE10ELNS1_11target_archE1201ELNS1_3gpuE5ELNS1_3repE0EEENS1_38merge_mergepath_config_static_selectorELNS0_4arch9wavefront6targetE0EEEvSF_.has_dyn_sized_stack, 0
	.set _ZN7rocprim17ROCPRIM_400000_NS6detail17trampoline_kernelINS0_14default_configENS1_38merge_sort_block_merge_config_selectorImNS0_10empty_typeEEEZZNS1_27merge_sort_block_merge_implIS3_PmPS5_jNS1_19radix_merge_compareILb0ELb1EmNS0_19identity_decomposerEEEEE10hipError_tT0_T1_T2_jT3_P12ihipStream_tbPNSt15iterator_traitsISE_E10value_typeEPNSK_ISF_E10value_typeEPSG_NS1_7vsmem_tEENKUlT_SE_SF_SG_E_clIS8_S8_S9_S9_EESD_ST_SE_SF_SG_EUlST_E0_NS1_11comp_targetILNS1_3genE10ELNS1_11target_archE1201ELNS1_3gpuE5ELNS1_3repE0EEENS1_38merge_mergepath_config_static_selectorELNS0_4arch9wavefront6targetE0EEEvSF_.has_recursion, 0
	.set _ZN7rocprim17ROCPRIM_400000_NS6detail17trampoline_kernelINS0_14default_configENS1_38merge_sort_block_merge_config_selectorImNS0_10empty_typeEEEZZNS1_27merge_sort_block_merge_implIS3_PmPS5_jNS1_19radix_merge_compareILb0ELb1EmNS0_19identity_decomposerEEEEE10hipError_tT0_T1_T2_jT3_P12ihipStream_tbPNSt15iterator_traitsISE_E10value_typeEPNSK_ISF_E10value_typeEPSG_NS1_7vsmem_tEENKUlT_SE_SF_SG_E_clIS8_S8_S9_S9_EESD_ST_SE_SF_SG_EUlST_E0_NS1_11comp_targetILNS1_3genE10ELNS1_11target_archE1201ELNS1_3gpuE5ELNS1_3repE0EEENS1_38merge_mergepath_config_static_selectorELNS0_4arch9wavefront6targetE0EEEvSF_.has_indirect_call, 0
	.section	.AMDGPU.csdata,"",@progbits
; Kernel info:
; codeLenInByte = 0
; TotalNumSgprs: 0
; NumVgprs: 0
; ScratchSize: 0
; MemoryBound: 0
; FloatMode: 240
; IeeeMode: 1
; LDSByteSize: 0 bytes/workgroup (compile time only)
; SGPRBlocks: 0
; VGPRBlocks: 0
; NumSGPRsForWavesPerEU: 1
; NumVGPRsForWavesPerEU: 1
; NamedBarCnt: 0
; Occupancy: 16
; WaveLimiterHint : 0
; COMPUTE_PGM_RSRC2:SCRATCH_EN: 0
; COMPUTE_PGM_RSRC2:USER_SGPR: 2
; COMPUTE_PGM_RSRC2:TRAP_HANDLER: 0
; COMPUTE_PGM_RSRC2:TGID_X_EN: 1
; COMPUTE_PGM_RSRC2:TGID_Y_EN: 0
; COMPUTE_PGM_RSRC2:TGID_Z_EN: 0
; COMPUTE_PGM_RSRC2:TIDIG_COMP_CNT: 0
	.section	.text._ZN7rocprim17ROCPRIM_400000_NS6detail17trampoline_kernelINS0_14default_configENS1_38merge_sort_block_merge_config_selectorImNS0_10empty_typeEEEZZNS1_27merge_sort_block_merge_implIS3_PmPS5_jNS1_19radix_merge_compareILb0ELb1EmNS0_19identity_decomposerEEEEE10hipError_tT0_T1_T2_jT3_P12ihipStream_tbPNSt15iterator_traitsISE_E10value_typeEPNSK_ISF_E10value_typeEPSG_NS1_7vsmem_tEENKUlT_SE_SF_SG_E_clIS8_S8_S9_S9_EESD_ST_SE_SF_SG_EUlST_E0_NS1_11comp_targetILNS1_3genE5ELNS1_11target_archE942ELNS1_3gpuE9ELNS1_3repE0EEENS1_38merge_mergepath_config_static_selectorELNS0_4arch9wavefront6targetE0EEEvSF_,"axG",@progbits,_ZN7rocprim17ROCPRIM_400000_NS6detail17trampoline_kernelINS0_14default_configENS1_38merge_sort_block_merge_config_selectorImNS0_10empty_typeEEEZZNS1_27merge_sort_block_merge_implIS3_PmPS5_jNS1_19radix_merge_compareILb0ELb1EmNS0_19identity_decomposerEEEEE10hipError_tT0_T1_T2_jT3_P12ihipStream_tbPNSt15iterator_traitsISE_E10value_typeEPNSK_ISF_E10value_typeEPSG_NS1_7vsmem_tEENKUlT_SE_SF_SG_E_clIS8_S8_S9_S9_EESD_ST_SE_SF_SG_EUlST_E0_NS1_11comp_targetILNS1_3genE5ELNS1_11target_archE942ELNS1_3gpuE9ELNS1_3repE0EEENS1_38merge_mergepath_config_static_selectorELNS0_4arch9wavefront6targetE0EEEvSF_,comdat
	.protected	_ZN7rocprim17ROCPRIM_400000_NS6detail17trampoline_kernelINS0_14default_configENS1_38merge_sort_block_merge_config_selectorImNS0_10empty_typeEEEZZNS1_27merge_sort_block_merge_implIS3_PmPS5_jNS1_19radix_merge_compareILb0ELb1EmNS0_19identity_decomposerEEEEE10hipError_tT0_T1_T2_jT3_P12ihipStream_tbPNSt15iterator_traitsISE_E10value_typeEPNSK_ISF_E10value_typeEPSG_NS1_7vsmem_tEENKUlT_SE_SF_SG_E_clIS8_S8_S9_S9_EESD_ST_SE_SF_SG_EUlST_E0_NS1_11comp_targetILNS1_3genE5ELNS1_11target_archE942ELNS1_3gpuE9ELNS1_3repE0EEENS1_38merge_mergepath_config_static_selectorELNS0_4arch9wavefront6targetE0EEEvSF_ ; -- Begin function _ZN7rocprim17ROCPRIM_400000_NS6detail17trampoline_kernelINS0_14default_configENS1_38merge_sort_block_merge_config_selectorImNS0_10empty_typeEEEZZNS1_27merge_sort_block_merge_implIS3_PmPS5_jNS1_19radix_merge_compareILb0ELb1EmNS0_19identity_decomposerEEEEE10hipError_tT0_T1_T2_jT3_P12ihipStream_tbPNSt15iterator_traitsISE_E10value_typeEPNSK_ISF_E10value_typeEPSG_NS1_7vsmem_tEENKUlT_SE_SF_SG_E_clIS8_S8_S9_S9_EESD_ST_SE_SF_SG_EUlST_E0_NS1_11comp_targetILNS1_3genE5ELNS1_11target_archE942ELNS1_3gpuE9ELNS1_3repE0EEENS1_38merge_mergepath_config_static_selectorELNS0_4arch9wavefront6targetE0EEEvSF_
	.globl	_ZN7rocprim17ROCPRIM_400000_NS6detail17trampoline_kernelINS0_14default_configENS1_38merge_sort_block_merge_config_selectorImNS0_10empty_typeEEEZZNS1_27merge_sort_block_merge_implIS3_PmPS5_jNS1_19radix_merge_compareILb0ELb1EmNS0_19identity_decomposerEEEEE10hipError_tT0_T1_T2_jT3_P12ihipStream_tbPNSt15iterator_traitsISE_E10value_typeEPNSK_ISF_E10value_typeEPSG_NS1_7vsmem_tEENKUlT_SE_SF_SG_E_clIS8_S8_S9_S9_EESD_ST_SE_SF_SG_EUlST_E0_NS1_11comp_targetILNS1_3genE5ELNS1_11target_archE942ELNS1_3gpuE9ELNS1_3repE0EEENS1_38merge_mergepath_config_static_selectorELNS0_4arch9wavefront6targetE0EEEvSF_
	.p2align	8
	.type	_ZN7rocprim17ROCPRIM_400000_NS6detail17trampoline_kernelINS0_14default_configENS1_38merge_sort_block_merge_config_selectorImNS0_10empty_typeEEEZZNS1_27merge_sort_block_merge_implIS3_PmPS5_jNS1_19radix_merge_compareILb0ELb1EmNS0_19identity_decomposerEEEEE10hipError_tT0_T1_T2_jT3_P12ihipStream_tbPNSt15iterator_traitsISE_E10value_typeEPNSK_ISF_E10value_typeEPSG_NS1_7vsmem_tEENKUlT_SE_SF_SG_E_clIS8_S8_S9_S9_EESD_ST_SE_SF_SG_EUlST_E0_NS1_11comp_targetILNS1_3genE5ELNS1_11target_archE942ELNS1_3gpuE9ELNS1_3repE0EEENS1_38merge_mergepath_config_static_selectorELNS0_4arch9wavefront6targetE0EEEvSF_,@function
_ZN7rocprim17ROCPRIM_400000_NS6detail17trampoline_kernelINS0_14default_configENS1_38merge_sort_block_merge_config_selectorImNS0_10empty_typeEEEZZNS1_27merge_sort_block_merge_implIS3_PmPS5_jNS1_19radix_merge_compareILb0ELb1EmNS0_19identity_decomposerEEEEE10hipError_tT0_T1_T2_jT3_P12ihipStream_tbPNSt15iterator_traitsISE_E10value_typeEPNSK_ISF_E10value_typeEPSG_NS1_7vsmem_tEENKUlT_SE_SF_SG_E_clIS8_S8_S9_S9_EESD_ST_SE_SF_SG_EUlST_E0_NS1_11comp_targetILNS1_3genE5ELNS1_11target_archE942ELNS1_3gpuE9ELNS1_3repE0EEENS1_38merge_mergepath_config_static_selectorELNS0_4arch9wavefront6targetE0EEEvSF_: ; @_ZN7rocprim17ROCPRIM_400000_NS6detail17trampoline_kernelINS0_14default_configENS1_38merge_sort_block_merge_config_selectorImNS0_10empty_typeEEEZZNS1_27merge_sort_block_merge_implIS3_PmPS5_jNS1_19radix_merge_compareILb0ELb1EmNS0_19identity_decomposerEEEEE10hipError_tT0_T1_T2_jT3_P12ihipStream_tbPNSt15iterator_traitsISE_E10value_typeEPNSK_ISF_E10value_typeEPSG_NS1_7vsmem_tEENKUlT_SE_SF_SG_E_clIS8_S8_S9_S9_EESD_ST_SE_SF_SG_EUlST_E0_NS1_11comp_targetILNS1_3genE5ELNS1_11target_archE942ELNS1_3gpuE9ELNS1_3repE0EEENS1_38merge_mergepath_config_static_selectorELNS0_4arch9wavefront6targetE0EEEvSF_
; %bb.0:
	.section	.rodata,"a",@progbits
	.p2align	6, 0x0
	.amdhsa_kernel _ZN7rocprim17ROCPRIM_400000_NS6detail17trampoline_kernelINS0_14default_configENS1_38merge_sort_block_merge_config_selectorImNS0_10empty_typeEEEZZNS1_27merge_sort_block_merge_implIS3_PmPS5_jNS1_19radix_merge_compareILb0ELb1EmNS0_19identity_decomposerEEEEE10hipError_tT0_T1_T2_jT3_P12ihipStream_tbPNSt15iterator_traitsISE_E10value_typeEPNSK_ISF_E10value_typeEPSG_NS1_7vsmem_tEENKUlT_SE_SF_SG_E_clIS8_S8_S9_S9_EESD_ST_SE_SF_SG_EUlST_E0_NS1_11comp_targetILNS1_3genE5ELNS1_11target_archE942ELNS1_3gpuE9ELNS1_3repE0EEENS1_38merge_mergepath_config_static_selectorELNS0_4arch9wavefront6targetE0EEEvSF_
		.amdhsa_group_segment_fixed_size 0
		.amdhsa_private_segment_fixed_size 0
		.amdhsa_kernarg_size 72
		.amdhsa_user_sgpr_count 2
		.amdhsa_user_sgpr_dispatch_ptr 0
		.amdhsa_user_sgpr_queue_ptr 0
		.amdhsa_user_sgpr_kernarg_segment_ptr 1
		.amdhsa_user_sgpr_dispatch_id 0
		.amdhsa_user_sgpr_kernarg_preload_length 0
		.amdhsa_user_sgpr_kernarg_preload_offset 0
		.amdhsa_user_sgpr_private_segment_size 0
		.amdhsa_wavefront_size32 1
		.amdhsa_uses_dynamic_stack 0
		.amdhsa_enable_private_segment 0
		.amdhsa_system_sgpr_workgroup_id_x 1
		.amdhsa_system_sgpr_workgroup_id_y 0
		.amdhsa_system_sgpr_workgroup_id_z 0
		.amdhsa_system_sgpr_workgroup_info 0
		.amdhsa_system_vgpr_workitem_id 0
		.amdhsa_next_free_vgpr 1
		.amdhsa_next_free_sgpr 1
		.amdhsa_named_barrier_count 0
		.amdhsa_reserve_vcc 0
		.amdhsa_float_round_mode_32 0
		.amdhsa_float_round_mode_16_64 0
		.amdhsa_float_denorm_mode_32 3
		.amdhsa_float_denorm_mode_16_64 3
		.amdhsa_fp16_overflow 0
		.amdhsa_memory_ordered 1
		.amdhsa_forward_progress 1
		.amdhsa_inst_pref_size 0
		.amdhsa_round_robin_scheduling 0
		.amdhsa_exception_fp_ieee_invalid_op 0
		.amdhsa_exception_fp_denorm_src 0
		.amdhsa_exception_fp_ieee_div_zero 0
		.amdhsa_exception_fp_ieee_overflow 0
		.amdhsa_exception_fp_ieee_underflow 0
		.amdhsa_exception_fp_ieee_inexact 0
		.amdhsa_exception_int_div_zero 0
	.end_amdhsa_kernel
	.section	.text._ZN7rocprim17ROCPRIM_400000_NS6detail17trampoline_kernelINS0_14default_configENS1_38merge_sort_block_merge_config_selectorImNS0_10empty_typeEEEZZNS1_27merge_sort_block_merge_implIS3_PmPS5_jNS1_19radix_merge_compareILb0ELb1EmNS0_19identity_decomposerEEEEE10hipError_tT0_T1_T2_jT3_P12ihipStream_tbPNSt15iterator_traitsISE_E10value_typeEPNSK_ISF_E10value_typeEPSG_NS1_7vsmem_tEENKUlT_SE_SF_SG_E_clIS8_S8_S9_S9_EESD_ST_SE_SF_SG_EUlST_E0_NS1_11comp_targetILNS1_3genE5ELNS1_11target_archE942ELNS1_3gpuE9ELNS1_3repE0EEENS1_38merge_mergepath_config_static_selectorELNS0_4arch9wavefront6targetE0EEEvSF_,"axG",@progbits,_ZN7rocprim17ROCPRIM_400000_NS6detail17trampoline_kernelINS0_14default_configENS1_38merge_sort_block_merge_config_selectorImNS0_10empty_typeEEEZZNS1_27merge_sort_block_merge_implIS3_PmPS5_jNS1_19radix_merge_compareILb0ELb1EmNS0_19identity_decomposerEEEEE10hipError_tT0_T1_T2_jT3_P12ihipStream_tbPNSt15iterator_traitsISE_E10value_typeEPNSK_ISF_E10value_typeEPSG_NS1_7vsmem_tEENKUlT_SE_SF_SG_E_clIS8_S8_S9_S9_EESD_ST_SE_SF_SG_EUlST_E0_NS1_11comp_targetILNS1_3genE5ELNS1_11target_archE942ELNS1_3gpuE9ELNS1_3repE0EEENS1_38merge_mergepath_config_static_selectorELNS0_4arch9wavefront6targetE0EEEvSF_,comdat
.Lfunc_end2959:
	.size	_ZN7rocprim17ROCPRIM_400000_NS6detail17trampoline_kernelINS0_14default_configENS1_38merge_sort_block_merge_config_selectorImNS0_10empty_typeEEEZZNS1_27merge_sort_block_merge_implIS3_PmPS5_jNS1_19radix_merge_compareILb0ELb1EmNS0_19identity_decomposerEEEEE10hipError_tT0_T1_T2_jT3_P12ihipStream_tbPNSt15iterator_traitsISE_E10value_typeEPNSK_ISF_E10value_typeEPSG_NS1_7vsmem_tEENKUlT_SE_SF_SG_E_clIS8_S8_S9_S9_EESD_ST_SE_SF_SG_EUlST_E0_NS1_11comp_targetILNS1_3genE5ELNS1_11target_archE942ELNS1_3gpuE9ELNS1_3repE0EEENS1_38merge_mergepath_config_static_selectorELNS0_4arch9wavefront6targetE0EEEvSF_, .Lfunc_end2959-_ZN7rocprim17ROCPRIM_400000_NS6detail17trampoline_kernelINS0_14default_configENS1_38merge_sort_block_merge_config_selectorImNS0_10empty_typeEEEZZNS1_27merge_sort_block_merge_implIS3_PmPS5_jNS1_19radix_merge_compareILb0ELb1EmNS0_19identity_decomposerEEEEE10hipError_tT0_T1_T2_jT3_P12ihipStream_tbPNSt15iterator_traitsISE_E10value_typeEPNSK_ISF_E10value_typeEPSG_NS1_7vsmem_tEENKUlT_SE_SF_SG_E_clIS8_S8_S9_S9_EESD_ST_SE_SF_SG_EUlST_E0_NS1_11comp_targetILNS1_3genE5ELNS1_11target_archE942ELNS1_3gpuE9ELNS1_3repE0EEENS1_38merge_mergepath_config_static_selectorELNS0_4arch9wavefront6targetE0EEEvSF_
                                        ; -- End function
	.set _ZN7rocprim17ROCPRIM_400000_NS6detail17trampoline_kernelINS0_14default_configENS1_38merge_sort_block_merge_config_selectorImNS0_10empty_typeEEEZZNS1_27merge_sort_block_merge_implIS3_PmPS5_jNS1_19radix_merge_compareILb0ELb1EmNS0_19identity_decomposerEEEEE10hipError_tT0_T1_T2_jT3_P12ihipStream_tbPNSt15iterator_traitsISE_E10value_typeEPNSK_ISF_E10value_typeEPSG_NS1_7vsmem_tEENKUlT_SE_SF_SG_E_clIS8_S8_S9_S9_EESD_ST_SE_SF_SG_EUlST_E0_NS1_11comp_targetILNS1_3genE5ELNS1_11target_archE942ELNS1_3gpuE9ELNS1_3repE0EEENS1_38merge_mergepath_config_static_selectorELNS0_4arch9wavefront6targetE0EEEvSF_.num_vgpr, 0
	.set _ZN7rocprim17ROCPRIM_400000_NS6detail17trampoline_kernelINS0_14default_configENS1_38merge_sort_block_merge_config_selectorImNS0_10empty_typeEEEZZNS1_27merge_sort_block_merge_implIS3_PmPS5_jNS1_19radix_merge_compareILb0ELb1EmNS0_19identity_decomposerEEEEE10hipError_tT0_T1_T2_jT3_P12ihipStream_tbPNSt15iterator_traitsISE_E10value_typeEPNSK_ISF_E10value_typeEPSG_NS1_7vsmem_tEENKUlT_SE_SF_SG_E_clIS8_S8_S9_S9_EESD_ST_SE_SF_SG_EUlST_E0_NS1_11comp_targetILNS1_3genE5ELNS1_11target_archE942ELNS1_3gpuE9ELNS1_3repE0EEENS1_38merge_mergepath_config_static_selectorELNS0_4arch9wavefront6targetE0EEEvSF_.num_agpr, 0
	.set _ZN7rocprim17ROCPRIM_400000_NS6detail17trampoline_kernelINS0_14default_configENS1_38merge_sort_block_merge_config_selectorImNS0_10empty_typeEEEZZNS1_27merge_sort_block_merge_implIS3_PmPS5_jNS1_19radix_merge_compareILb0ELb1EmNS0_19identity_decomposerEEEEE10hipError_tT0_T1_T2_jT3_P12ihipStream_tbPNSt15iterator_traitsISE_E10value_typeEPNSK_ISF_E10value_typeEPSG_NS1_7vsmem_tEENKUlT_SE_SF_SG_E_clIS8_S8_S9_S9_EESD_ST_SE_SF_SG_EUlST_E0_NS1_11comp_targetILNS1_3genE5ELNS1_11target_archE942ELNS1_3gpuE9ELNS1_3repE0EEENS1_38merge_mergepath_config_static_selectorELNS0_4arch9wavefront6targetE0EEEvSF_.numbered_sgpr, 0
	.set _ZN7rocprim17ROCPRIM_400000_NS6detail17trampoline_kernelINS0_14default_configENS1_38merge_sort_block_merge_config_selectorImNS0_10empty_typeEEEZZNS1_27merge_sort_block_merge_implIS3_PmPS5_jNS1_19radix_merge_compareILb0ELb1EmNS0_19identity_decomposerEEEEE10hipError_tT0_T1_T2_jT3_P12ihipStream_tbPNSt15iterator_traitsISE_E10value_typeEPNSK_ISF_E10value_typeEPSG_NS1_7vsmem_tEENKUlT_SE_SF_SG_E_clIS8_S8_S9_S9_EESD_ST_SE_SF_SG_EUlST_E0_NS1_11comp_targetILNS1_3genE5ELNS1_11target_archE942ELNS1_3gpuE9ELNS1_3repE0EEENS1_38merge_mergepath_config_static_selectorELNS0_4arch9wavefront6targetE0EEEvSF_.num_named_barrier, 0
	.set _ZN7rocprim17ROCPRIM_400000_NS6detail17trampoline_kernelINS0_14default_configENS1_38merge_sort_block_merge_config_selectorImNS0_10empty_typeEEEZZNS1_27merge_sort_block_merge_implIS3_PmPS5_jNS1_19radix_merge_compareILb0ELb1EmNS0_19identity_decomposerEEEEE10hipError_tT0_T1_T2_jT3_P12ihipStream_tbPNSt15iterator_traitsISE_E10value_typeEPNSK_ISF_E10value_typeEPSG_NS1_7vsmem_tEENKUlT_SE_SF_SG_E_clIS8_S8_S9_S9_EESD_ST_SE_SF_SG_EUlST_E0_NS1_11comp_targetILNS1_3genE5ELNS1_11target_archE942ELNS1_3gpuE9ELNS1_3repE0EEENS1_38merge_mergepath_config_static_selectorELNS0_4arch9wavefront6targetE0EEEvSF_.private_seg_size, 0
	.set _ZN7rocprim17ROCPRIM_400000_NS6detail17trampoline_kernelINS0_14default_configENS1_38merge_sort_block_merge_config_selectorImNS0_10empty_typeEEEZZNS1_27merge_sort_block_merge_implIS3_PmPS5_jNS1_19radix_merge_compareILb0ELb1EmNS0_19identity_decomposerEEEEE10hipError_tT0_T1_T2_jT3_P12ihipStream_tbPNSt15iterator_traitsISE_E10value_typeEPNSK_ISF_E10value_typeEPSG_NS1_7vsmem_tEENKUlT_SE_SF_SG_E_clIS8_S8_S9_S9_EESD_ST_SE_SF_SG_EUlST_E0_NS1_11comp_targetILNS1_3genE5ELNS1_11target_archE942ELNS1_3gpuE9ELNS1_3repE0EEENS1_38merge_mergepath_config_static_selectorELNS0_4arch9wavefront6targetE0EEEvSF_.uses_vcc, 0
	.set _ZN7rocprim17ROCPRIM_400000_NS6detail17trampoline_kernelINS0_14default_configENS1_38merge_sort_block_merge_config_selectorImNS0_10empty_typeEEEZZNS1_27merge_sort_block_merge_implIS3_PmPS5_jNS1_19radix_merge_compareILb0ELb1EmNS0_19identity_decomposerEEEEE10hipError_tT0_T1_T2_jT3_P12ihipStream_tbPNSt15iterator_traitsISE_E10value_typeEPNSK_ISF_E10value_typeEPSG_NS1_7vsmem_tEENKUlT_SE_SF_SG_E_clIS8_S8_S9_S9_EESD_ST_SE_SF_SG_EUlST_E0_NS1_11comp_targetILNS1_3genE5ELNS1_11target_archE942ELNS1_3gpuE9ELNS1_3repE0EEENS1_38merge_mergepath_config_static_selectorELNS0_4arch9wavefront6targetE0EEEvSF_.uses_flat_scratch, 0
	.set _ZN7rocprim17ROCPRIM_400000_NS6detail17trampoline_kernelINS0_14default_configENS1_38merge_sort_block_merge_config_selectorImNS0_10empty_typeEEEZZNS1_27merge_sort_block_merge_implIS3_PmPS5_jNS1_19radix_merge_compareILb0ELb1EmNS0_19identity_decomposerEEEEE10hipError_tT0_T1_T2_jT3_P12ihipStream_tbPNSt15iterator_traitsISE_E10value_typeEPNSK_ISF_E10value_typeEPSG_NS1_7vsmem_tEENKUlT_SE_SF_SG_E_clIS8_S8_S9_S9_EESD_ST_SE_SF_SG_EUlST_E0_NS1_11comp_targetILNS1_3genE5ELNS1_11target_archE942ELNS1_3gpuE9ELNS1_3repE0EEENS1_38merge_mergepath_config_static_selectorELNS0_4arch9wavefront6targetE0EEEvSF_.has_dyn_sized_stack, 0
	.set _ZN7rocprim17ROCPRIM_400000_NS6detail17trampoline_kernelINS0_14default_configENS1_38merge_sort_block_merge_config_selectorImNS0_10empty_typeEEEZZNS1_27merge_sort_block_merge_implIS3_PmPS5_jNS1_19radix_merge_compareILb0ELb1EmNS0_19identity_decomposerEEEEE10hipError_tT0_T1_T2_jT3_P12ihipStream_tbPNSt15iterator_traitsISE_E10value_typeEPNSK_ISF_E10value_typeEPSG_NS1_7vsmem_tEENKUlT_SE_SF_SG_E_clIS8_S8_S9_S9_EESD_ST_SE_SF_SG_EUlST_E0_NS1_11comp_targetILNS1_3genE5ELNS1_11target_archE942ELNS1_3gpuE9ELNS1_3repE0EEENS1_38merge_mergepath_config_static_selectorELNS0_4arch9wavefront6targetE0EEEvSF_.has_recursion, 0
	.set _ZN7rocprim17ROCPRIM_400000_NS6detail17trampoline_kernelINS0_14default_configENS1_38merge_sort_block_merge_config_selectorImNS0_10empty_typeEEEZZNS1_27merge_sort_block_merge_implIS3_PmPS5_jNS1_19radix_merge_compareILb0ELb1EmNS0_19identity_decomposerEEEEE10hipError_tT0_T1_T2_jT3_P12ihipStream_tbPNSt15iterator_traitsISE_E10value_typeEPNSK_ISF_E10value_typeEPSG_NS1_7vsmem_tEENKUlT_SE_SF_SG_E_clIS8_S8_S9_S9_EESD_ST_SE_SF_SG_EUlST_E0_NS1_11comp_targetILNS1_3genE5ELNS1_11target_archE942ELNS1_3gpuE9ELNS1_3repE0EEENS1_38merge_mergepath_config_static_selectorELNS0_4arch9wavefront6targetE0EEEvSF_.has_indirect_call, 0
	.section	.AMDGPU.csdata,"",@progbits
; Kernel info:
; codeLenInByte = 0
; TotalNumSgprs: 0
; NumVgprs: 0
; ScratchSize: 0
; MemoryBound: 0
; FloatMode: 240
; IeeeMode: 1
; LDSByteSize: 0 bytes/workgroup (compile time only)
; SGPRBlocks: 0
; VGPRBlocks: 0
; NumSGPRsForWavesPerEU: 1
; NumVGPRsForWavesPerEU: 1
; NamedBarCnt: 0
; Occupancy: 16
; WaveLimiterHint : 0
; COMPUTE_PGM_RSRC2:SCRATCH_EN: 0
; COMPUTE_PGM_RSRC2:USER_SGPR: 2
; COMPUTE_PGM_RSRC2:TRAP_HANDLER: 0
; COMPUTE_PGM_RSRC2:TGID_X_EN: 1
; COMPUTE_PGM_RSRC2:TGID_Y_EN: 0
; COMPUTE_PGM_RSRC2:TGID_Z_EN: 0
; COMPUTE_PGM_RSRC2:TIDIG_COMP_CNT: 0
	.section	.text._ZN7rocprim17ROCPRIM_400000_NS6detail17trampoline_kernelINS0_14default_configENS1_38merge_sort_block_merge_config_selectorImNS0_10empty_typeEEEZZNS1_27merge_sort_block_merge_implIS3_PmPS5_jNS1_19radix_merge_compareILb0ELb1EmNS0_19identity_decomposerEEEEE10hipError_tT0_T1_T2_jT3_P12ihipStream_tbPNSt15iterator_traitsISE_E10value_typeEPNSK_ISF_E10value_typeEPSG_NS1_7vsmem_tEENKUlT_SE_SF_SG_E_clIS8_S8_S9_S9_EESD_ST_SE_SF_SG_EUlST_E0_NS1_11comp_targetILNS1_3genE4ELNS1_11target_archE910ELNS1_3gpuE8ELNS1_3repE0EEENS1_38merge_mergepath_config_static_selectorELNS0_4arch9wavefront6targetE0EEEvSF_,"axG",@progbits,_ZN7rocprim17ROCPRIM_400000_NS6detail17trampoline_kernelINS0_14default_configENS1_38merge_sort_block_merge_config_selectorImNS0_10empty_typeEEEZZNS1_27merge_sort_block_merge_implIS3_PmPS5_jNS1_19radix_merge_compareILb0ELb1EmNS0_19identity_decomposerEEEEE10hipError_tT0_T1_T2_jT3_P12ihipStream_tbPNSt15iterator_traitsISE_E10value_typeEPNSK_ISF_E10value_typeEPSG_NS1_7vsmem_tEENKUlT_SE_SF_SG_E_clIS8_S8_S9_S9_EESD_ST_SE_SF_SG_EUlST_E0_NS1_11comp_targetILNS1_3genE4ELNS1_11target_archE910ELNS1_3gpuE8ELNS1_3repE0EEENS1_38merge_mergepath_config_static_selectorELNS0_4arch9wavefront6targetE0EEEvSF_,comdat
	.protected	_ZN7rocprim17ROCPRIM_400000_NS6detail17trampoline_kernelINS0_14default_configENS1_38merge_sort_block_merge_config_selectorImNS0_10empty_typeEEEZZNS1_27merge_sort_block_merge_implIS3_PmPS5_jNS1_19radix_merge_compareILb0ELb1EmNS0_19identity_decomposerEEEEE10hipError_tT0_T1_T2_jT3_P12ihipStream_tbPNSt15iterator_traitsISE_E10value_typeEPNSK_ISF_E10value_typeEPSG_NS1_7vsmem_tEENKUlT_SE_SF_SG_E_clIS8_S8_S9_S9_EESD_ST_SE_SF_SG_EUlST_E0_NS1_11comp_targetILNS1_3genE4ELNS1_11target_archE910ELNS1_3gpuE8ELNS1_3repE0EEENS1_38merge_mergepath_config_static_selectorELNS0_4arch9wavefront6targetE0EEEvSF_ ; -- Begin function _ZN7rocprim17ROCPRIM_400000_NS6detail17trampoline_kernelINS0_14default_configENS1_38merge_sort_block_merge_config_selectorImNS0_10empty_typeEEEZZNS1_27merge_sort_block_merge_implIS3_PmPS5_jNS1_19radix_merge_compareILb0ELb1EmNS0_19identity_decomposerEEEEE10hipError_tT0_T1_T2_jT3_P12ihipStream_tbPNSt15iterator_traitsISE_E10value_typeEPNSK_ISF_E10value_typeEPSG_NS1_7vsmem_tEENKUlT_SE_SF_SG_E_clIS8_S8_S9_S9_EESD_ST_SE_SF_SG_EUlST_E0_NS1_11comp_targetILNS1_3genE4ELNS1_11target_archE910ELNS1_3gpuE8ELNS1_3repE0EEENS1_38merge_mergepath_config_static_selectorELNS0_4arch9wavefront6targetE0EEEvSF_
	.globl	_ZN7rocprim17ROCPRIM_400000_NS6detail17trampoline_kernelINS0_14default_configENS1_38merge_sort_block_merge_config_selectorImNS0_10empty_typeEEEZZNS1_27merge_sort_block_merge_implIS3_PmPS5_jNS1_19radix_merge_compareILb0ELb1EmNS0_19identity_decomposerEEEEE10hipError_tT0_T1_T2_jT3_P12ihipStream_tbPNSt15iterator_traitsISE_E10value_typeEPNSK_ISF_E10value_typeEPSG_NS1_7vsmem_tEENKUlT_SE_SF_SG_E_clIS8_S8_S9_S9_EESD_ST_SE_SF_SG_EUlST_E0_NS1_11comp_targetILNS1_3genE4ELNS1_11target_archE910ELNS1_3gpuE8ELNS1_3repE0EEENS1_38merge_mergepath_config_static_selectorELNS0_4arch9wavefront6targetE0EEEvSF_
	.p2align	8
	.type	_ZN7rocprim17ROCPRIM_400000_NS6detail17trampoline_kernelINS0_14default_configENS1_38merge_sort_block_merge_config_selectorImNS0_10empty_typeEEEZZNS1_27merge_sort_block_merge_implIS3_PmPS5_jNS1_19radix_merge_compareILb0ELb1EmNS0_19identity_decomposerEEEEE10hipError_tT0_T1_T2_jT3_P12ihipStream_tbPNSt15iterator_traitsISE_E10value_typeEPNSK_ISF_E10value_typeEPSG_NS1_7vsmem_tEENKUlT_SE_SF_SG_E_clIS8_S8_S9_S9_EESD_ST_SE_SF_SG_EUlST_E0_NS1_11comp_targetILNS1_3genE4ELNS1_11target_archE910ELNS1_3gpuE8ELNS1_3repE0EEENS1_38merge_mergepath_config_static_selectorELNS0_4arch9wavefront6targetE0EEEvSF_,@function
_ZN7rocprim17ROCPRIM_400000_NS6detail17trampoline_kernelINS0_14default_configENS1_38merge_sort_block_merge_config_selectorImNS0_10empty_typeEEEZZNS1_27merge_sort_block_merge_implIS3_PmPS5_jNS1_19radix_merge_compareILb0ELb1EmNS0_19identity_decomposerEEEEE10hipError_tT0_T1_T2_jT3_P12ihipStream_tbPNSt15iterator_traitsISE_E10value_typeEPNSK_ISF_E10value_typeEPSG_NS1_7vsmem_tEENKUlT_SE_SF_SG_E_clIS8_S8_S9_S9_EESD_ST_SE_SF_SG_EUlST_E0_NS1_11comp_targetILNS1_3genE4ELNS1_11target_archE910ELNS1_3gpuE8ELNS1_3repE0EEENS1_38merge_mergepath_config_static_selectorELNS0_4arch9wavefront6targetE0EEEvSF_: ; @_ZN7rocprim17ROCPRIM_400000_NS6detail17trampoline_kernelINS0_14default_configENS1_38merge_sort_block_merge_config_selectorImNS0_10empty_typeEEEZZNS1_27merge_sort_block_merge_implIS3_PmPS5_jNS1_19radix_merge_compareILb0ELb1EmNS0_19identity_decomposerEEEEE10hipError_tT0_T1_T2_jT3_P12ihipStream_tbPNSt15iterator_traitsISE_E10value_typeEPNSK_ISF_E10value_typeEPSG_NS1_7vsmem_tEENKUlT_SE_SF_SG_E_clIS8_S8_S9_S9_EESD_ST_SE_SF_SG_EUlST_E0_NS1_11comp_targetILNS1_3genE4ELNS1_11target_archE910ELNS1_3gpuE8ELNS1_3repE0EEENS1_38merge_mergepath_config_static_selectorELNS0_4arch9wavefront6targetE0EEEvSF_
; %bb.0:
	.section	.rodata,"a",@progbits
	.p2align	6, 0x0
	.amdhsa_kernel _ZN7rocprim17ROCPRIM_400000_NS6detail17trampoline_kernelINS0_14default_configENS1_38merge_sort_block_merge_config_selectorImNS0_10empty_typeEEEZZNS1_27merge_sort_block_merge_implIS3_PmPS5_jNS1_19radix_merge_compareILb0ELb1EmNS0_19identity_decomposerEEEEE10hipError_tT0_T1_T2_jT3_P12ihipStream_tbPNSt15iterator_traitsISE_E10value_typeEPNSK_ISF_E10value_typeEPSG_NS1_7vsmem_tEENKUlT_SE_SF_SG_E_clIS8_S8_S9_S9_EESD_ST_SE_SF_SG_EUlST_E0_NS1_11comp_targetILNS1_3genE4ELNS1_11target_archE910ELNS1_3gpuE8ELNS1_3repE0EEENS1_38merge_mergepath_config_static_selectorELNS0_4arch9wavefront6targetE0EEEvSF_
		.amdhsa_group_segment_fixed_size 0
		.amdhsa_private_segment_fixed_size 0
		.amdhsa_kernarg_size 72
		.amdhsa_user_sgpr_count 2
		.amdhsa_user_sgpr_dispatch_ptr 0
		.amdhsa_user_sgpr_queue_ptr 0
		.amdhsa_user_sgpr_kernarg_segment_ptr 1
		.amdhsa_user_sgpr_dispatch_id 0
		.amdhsa_user_sgpr_kernarg_preload_length 0
		.amdhsa_user_sgpr_kernarg_preload_offset 0
		.amdhsa_user_sgpr_private_segment_size 0
		.amdhsa_wavefront_size32 1
		.amdhsa_uses_dynamic_stack 0
		.amdhsa_enable_private_segment 0
		.amdhsa_system_sgpr_workgroup_id_x 1
		.amdhsa_system_sgpr_workgroup_id_y 0
		.amdhsa_system_sgpr_workgroup_id_z 0
		.amdhsa_system_sgpr_workgroup_info 0
		.amdhsa_system_vgpr_workitem_id 0
		.amdhsa_next_free_vgpr 1
		.amdhsa_next_free_sgpr 1
		.amdhsa_named_barrier_count 0
		.amdhsa_reserve_vcc 0
		.amdhsa_float_round_mode_32 0
		.amdhsa_float_round_mode_16_64 0
		.amdhsa_float_denorm_mode_32 3
		.amdhsa_float_denorm_mode_16_64 3
		.amdhsa_fp16_overflow 0
		.amdhsa_memory_ordered 1
		.amdhsa_forward_progress 1
		.amdhsa_inst_pref_size 0
		.amdhsa_round_robin_scheduling 0
		.amdhsa_exception_fp_ieee_invalid_op 0
		.amdhsa_exception_fp_denorm_src 0
		.amdhsa_exception_fp_ieee_div_zero 0
		.amdhsa_exception_fp_ieee_overflow 0
		.amdhsa_exception_fp_ieee_underflow 0
		.amdhsa_exception_fp_ieee_inexact 0
		.amdhsa_exception_int_div_zero 0
	.end_amdhsa_kernel
	.section	.text._ZN7rocprim17ROCPRIM_400000_NS6detail17trampoline_kernelINS0_14default_configENS1_38merge_sort_block_merge_config_selectorImNS0_10empty_typeEEEZZNS1_27merge_sort_block_merge_implIS3_PmPS5_jNS1_19radix_merge_compareILb0ELb1EmNS0_19identity_decomposerEEEEE10hipError_tT0_T1_T2_jT3_P12ihipStream_tbPNSt15iterator_traitsISE_E10value_typeEPNSK_ISF_E10value_typeEPSG_NS1_7vsmem_tEENKUlT_SE_SF_SG_E_clIS8_S8_S9_S9_EESD_ST_SE_SF_SG_EUlST_E0_NS1_11comp_targetILNS1_3genE4ELNS1_11target_archE910ELNS1_3gpuE8ELNS1_3repE0EEENS1_38merge_mergepath_config_static_selectorELNS0_4arch9wavefront6targetE0EEEvSF_,"axG",@progbits,_ZN7rocprim17ROCPRIM_400000_NS6detail17trampoline_kernelINS0_14default_configENS1_38merge_sort_block_merge_config_selectorImNS0_10empty_typeEEEZZNS1_27merge_sort_block_merge_implIS3_PmPS5_jNS1_19radix_merge_compareILb0ELb1EmNS0_19identity_decomposerEEEEE10hipError_tT0_T1_T2_jT3_P12ihipStream_tbPNSt15iterator_traitsISE_E10value_typeEPNSK_ISF_E10value_typeEPSG_NS1_7vsmem_tEENKUlT_SE_SF_SG_E_clIS8_S8_S9_S9_EESD_ST_SE_SF_SG_EUlST_E0_NS1_11comp_targetILNS1_3genE4ELNS1_11target_archE910ELNS1_3gpuE8ELNS1_3repE0EEENS1_38merge_mergepath_config_static_selectorELNS0_4arch9wavefront6targetE0EEEvSF_,comdat
.Lfunc_end2960:
	.size	_ZN7rocprim17ROCPRIM_400000_NS6detail17trampoline_kernelINS0_14default_configENS1_38merge_sort_block_merge_config_selectorImNS0_10empty_typeEEEZZNS1_27merge_sort_block_merge_implIS3_PmPS5_jNS1_19radix_merge_compareILb0ELb1EmNS0_19identity_decomposerEEEEE10hipError_tT0_T1_T2_jT3_P12ihipStream_tbPNSt15iterator_traitsISE_E10value_typeEPNSK_ISF_E10value_typeEPSG_NS1_7vsmem_tEENKUlT_SE_SF_SG_E_clIS8_S8_S9_S9_EESD_ST_SE_SF_SG_EUlST_E0_NS1_11comp_targetILNS1_3genE4ELNS1_11target_archE910ELNS1_3gpuE8ELNS1_3repE0EEENS1_38merge_mergepath_config_static_selectorELNS0_4arch9wavefront6targetE0EEEvSF_, .Lfunc_end2960-_ZN7rocprim17ROCPRIM_400000_NS6detail17trampoline_kernelINS0_14default_configENS1_38merge_sort_block_merge_config_selectorImNS0_10empty_typeEEEZZNS1_27merge_sort_block_merge_implIS3_PmPS5_jNS1_19radix_merge_compareILb0ELb1EmNS0_19identity_decomposerEEEEE10hipError_tT0_T1_T2_jT3_P12ihipStream_tbPNSt15iterator_traitsISE_E10value_typeEPNSK_ISF_E10value_typeEPSG_NS1_7vsmem_tEENKUlT_SE_SF_SG_E_clIS8_S8_S9_S9_EESD_ST_SE_SF_SG_EUlST_E0_NS1_11comp_targetILNS1_3genE4ELNS1_11target_archE910ELNS1_3gpuE8ELNS1_3repE0EEENS1_38merge_mergepath_config_static_selectorELNS0_4arch9wavefront6targetE0EEEvSF_
                                        ; -- End function
	.set _ZN7rocprim17ROCPRIM_400000_NS6detail17trampoline_kernelINS0_14default_configENS1_38merge_sort_block_merge_config_selectorImNS0_10empty_typeEEEZZNS1_27merge_sort_block_merge_implIS3_PmPS5_jNS1_19radix_merge_compareILb0ELb1EmNS0_19identity_decomposerEEEEE10hipError_tT0_T1_T2_jT3_P12ihipStream_tbPNSt15iterator_traitsISE_E10value_typeEPNSK_ISF_E10value_typeEPSG_NS1_7vsmem_tEENKUlT_SE_SF_SG_E_clIS8_S8_S9_S9_EESD_ST_SE_SF_SG_EUlST_E0_NS1_11comp_targetILNS1_3genE4ELNS1_11target_archE910ELNS1_3gpuE8ELNS1_3repE0EEENS1_38merge_mergepath_config_static_selectorELNS0_4arch9wavefront6targetE0EEEvSF_.num_vgpr, 0
	.set _ZN7rocprim17ROCPRIM_400000_NS6detail17trampoline_kernelINS0_14default_configENS1_38merge_sort_block_merge_config_selectorImNS0_10empty_typeEEEZZNS1_27merge_sort_block_merge_implIS3_PmPS5_jNS1_19radix_merge_compareILb0ELb1EmNS0_19identity_decomposerEEEEE10hipError_tT0_T1_T2_jT3_P12ihipStream_tbPNSt15iterator_traitsISE_E10value_typeEPNSK_ISF_E10value_typeEPSG_NS1_7vsmem_tEENKUlT_SE_SF_SG_E_clIS8_S8_S9_S9_EESD_ST_SE_SF_SG_EUlST_E0_NS1_11comp_targetILNS1_3genE4ELNS1_11target_archE910ELNS1_3gpuE8ELNS1_3repE0EEENS1_38merge_mergepath_config_static_selectorELNS0_4arch9wavefront6targetE0EEEvSF_.num_agpr, 0
	.set _ZN7rocprim17ROCPRIM_400000_NS6detail17trampoline_kernelINS0_14default_configENS1_38merge_sort_block_merge_config_selectorImNS0_10empty_typeEEEZZNS1_27merge_sort_block_merge_implIS3_PmPS5_jNS1_19radix_merge_compareILb0ELb1EmNS0_19identity_decomposerEEEEE10hipError_tT0_T1_T2_jT3_P12ihipStream_tbPNSt15iterator_traitsISE_E10value_typeEPNSK_ISF_E10value_typeEPSG_NS1_7vsmem_tEENKUlT_SE_SF_SG_E_clIS8_S8_S9_S9_EESD_ST_SE_SF_SG_EUlST_E0_NS1_11comp_targetILNS1_3genE4ELNS1_11target_archE910ELNS1_3gpuE8ELNS1_3repE0EEENS1_38merge_mergepath_config_static_selectorELNS0_4arch9wavefront6targetE0EEEvSF_.numbered_sgpr, 0
	.set _ZN7rocprim17ROCPRIM_400000_NS6detail17trampoline_kernelINS0_14default_configENS1_38merge_sort_block_merge_config_selectorImNS0_10empty_typeEEEZZNS1_27merge_sort_block_merge_implIS3_PmPS5_jNS1_19radix_merge_compareILb0ELb1EmNS0_19identity_decomposerEEEEE10hipError_tT0_T1_T2_jT3_P12ihipStream_tbPNSt15iterator_traitsISE_E10value_typeEPNSK_ISF_E10value_typeEPSG_NS1_7vsmem_tEENKUlT_SE_SF_SG_E_clIS8_S8_S9_S9_EESD_ST_SE_SF_SG_EUlST_E0_NS1_11comp_targetILNS1_3genE4ELNS1_11target_archE910ELNS1_3gpuE8ELNS1_3repE0EEENS1_38merge_mergepath_config_static_selectorELNS0_4arch9wavefront6targetE0EEEvSF_.num_named_barrier, 0
	.set _ZN7rocprim17ROCPRIM_400000_NS6detail17trampoline_kernelINS0_14default_configENS1_38merge_sort_block_merge_config_selectorImNS0_10empty_typeEEEZZNS1_27merge_sort_block_merge_implIS3_PmPS5_jNS1_19radix_merge_compareILb0ELb1EmNS0_19identity_decomposerEEEEE10hipError_tT0_T1_T2_jT3_P12ihipStream_tbPNSt15iterator_traitsISE_E10value_typeEPNSK_ISF_E10value_typeEPSG_NS1_7vsmem_tEENKUlT_SE_SF_SG_E_clIS8_S8_S9_S9_EESD_ST_SE_SF_SG_EUlST_E0_NS1_11comp_targetILNS1_3genE4ELNS1_11target_archE910ELNS1_3gpuE8ELNS1_3repE0EEENS1_38merge_mergepath_config_static_selectorELNS0_4arch9wavefront6targetE0EEEvSF_.private_seg_size, 0
	.set _ZN7rocprim17ROCPRIM_400000_NS6detail17trampoline_kernelINS0_14default_configENS1_38merge_sort_block_merge_config_selectorImNS0_10empty_typeEEEZZNS1_27merge_sort_block_merge_implIS3_PmPS5_jNS1_19radix_merge_compareILb0ELb1EmNS0_19identity_decomposerEEEEE10hipError_tT0_T1_T2_jT3_P12ihipStream_tbPNSt15iterator_traitsISE_E10value_typeEPNSK_ISF_E10value_typeEPSG_NS1_7vsmem_tEENKUlT_SE_SF_SG_E_clIS8_S8_S9_S9_EESD_ST_SE_SF_SG_EUlST_E0_NS1_11comp_targetILNS1_3genE4ELNS1_11target_archE910ELNS1_3gpuE8ELNS1_3repE0EEENS1_38merge_mergepath_config_static_selectorELNS0_4arch9wavefront6targetE0EEEvSF_.uses_vcc, 0
	.set _ZN7rocprim17ROCPRIM_400000_NS6detail17trampoline_kernelINS0_14default_configENS1_38merge_sort_block_merge_config_selectorImNS0_10empty_typeEEEZZNS1_27merge_sort_block_merge_implIS3_PmPS5_jNS1_19radix_merge_compareILb0ELb1EmNS0_19identity_decomposerEEEEE10hipError_tT0_T1_T2_jT3_P12ihipStream_tbPNSt15iterator_traitsISE_E10value_typeEPNSK_ISF_E10value_typeEPSG_NS1_7vsmem_tEENKUlT_SE_SF_SG_E_clIS8_S8_S9_S9_EESD_ST_SE_SF_SG_EUlST_E0_NS1_11comp_targetILNS1_3genE4ELNS1_11target_archE910ELNS1_3gpuE8ELNS1_3repE0EEENS1_38merge_mergepath_config_static_selectorELNS0_4arch9wavefront6targetE0EEEvSF_.uses_flat_scratch, 0
	.set _ZN7rocprim17ROCPRIM_400000_NS6detail17trampoline_kernelINS0_14default_configENS1_38merge_sort_block_merge_config_selectorImNS0_10empty_typeEEEZZNS1_27merge_sort_block_merge_implIS3_PmPS5_jNS1_19radix_merge_compareILb0ELb1EmNS0_19identity_decomposerEEEEE10hipError_tT0_T1_T2_jT3_P12ihipStream_tbPNSt15iterator_traitsISE_E10value_typeEPNSK_ISF_E10value_typeEPSG_NS1_7vsmem_tEENKUlT_SE_SF_SG_E_clIS8_S8_S9_S9_EESD_ST_SE_SF_SG_EUlST_E0_NS1_11comp_targetILNS1_3genE4ELNS1_11target_archE910ELNS1_3gpuE8ELNS1_3repE0EEENS1_38merge_mergepath_config_static_selectorELNS0_4arch9wavefront6targetE0EEEvSF_.has_dyn_sized_stack, 0
	.set _ZN7rocprim17ROCPRIM_400000_NS6detail17trampoline_kernelINS0_14default_configENS1_38merge_sort_block_merge_config_selectorImNS0_10empty_typeEEEZZNS1_27merge_sort_block_merge_implIS3_PmPS5_jNS1_19radix_merge_compareILb0ELb1EmNS0_19identity_decomposerEEEEE10hipError_tT0_T1_T2_jT3_P12ihipStream_tbPNSt15iterator_traitsISE_E10value_typeEPNSK_ISF_E10value_typeEPSG_NS1_7vsmem_tEENKUlT_SE_SF_SG_E_clIS8_S8_S9_S9_EESD_ST_SE_SF_SG_EUlST_E0_NS1_11comp_targetILNS1_3genE4ELNS1_11target_archE910ELNS1_3gpuE8ELNS1_3repE0EEENS1_38merge_mergepath_config_static_selectorELNS0_4arch9wavefront6targetE0EEEvSF_.has_recursion, 0
	.set _ZN7rocprim17ROCPRIM_400000_NS6detail17trampoline_kernelINS0_14default_configENS1_38merge_sort_block_merge_config_selectorImNS0_10empty_typeEEEZZNS1_27merge_sort_block_merge_implIS3_PmPS5_jNS1_19radix_merge_compareILb0ELb1EmNS0_19identity_decomposerEEEEE10hipError_tT0_T1_T2_jT3_P12ihipStream_tbPNSt15iterator_traitsISE_E10value_typeEPNSK_ISF_E10value_typeEPSG_NS1_7vsmem_tEENKUlT_SE_SF_SG_E_clIS8_S8_S9_S9_EESD_ST_SE_SF_SG_EUlST_E0_NS1_11comp_targetILNS1_3genE4ELNS1_11target_archE910ELNS1_3gpuE8ELNS1_3repE0EEENS1_38merge_mergepath_config_static_selectorELNS0_4arch9wavefront6targetE0EEEvSF_.has_indirect_call, 0
	.section	.AMDGPU.csdata,"",@progbits
; Kernel info:
; codeLenInByte = 0
; TotalNumSgprs: 0
; NumVgprs: 0
; ScratchSize: 0
; MemoryBound: 0
; FloatMode: 240
; IeeeMode: 1
; LDSByteSize: 0 bytes/workgroup (compile time only)
; SGPRBlocks: 0
; VGPRBlocks: 0
; NumSGPRsForWavesPerEU: 1
; NumVGPRsForWavesPerEU: 1
; NamedBarCnt: 0
; Occupancy: 16
; WaveLimiterHint : 0
; COMPUTE_PGM_RSRC2:SCRATCH_EN: 0
; COMPUTE_PGM_RSRC2:USER_SGPR: 2
; COMPUTE_PGM_RSRC2:TRAP_HANDLER: 0
; COMPUTE_PGM_RSRC2:TGID_X_EN: 1
; COMPUTE_PGM_RSRC2:TGID_Y_EN: 0
; COMPUTE_PGM_RSRC2:TGID_Z_EN: 0
; COMPUTE_PGM_RSRC2:TIDIG_COMP_CNT: 0
	.section	.text._ZN7rocprim17ROCPRIM_400000_NS6detail17trampoline_kernelINS0_14default_configENS1_38merge_sort_block_merge_config_selectorImNS0_10empty_typeEEEZZNS1_27merge_sort_block_merge_implIS3_PmPS5_jNS1_19radix_merge_compareILb0ELb1EmNS0_19identity_decomposerEEEEE10hipError_tT0_T1_T2_jT3_P12ihipStream_tbPNSt15iterator_traitsISE_E10value_typeEPNSK_ISF_E10value_typeEPSG_NS1_7vsmem_tEENKUlT_SE_SF_SG_E_clIS8_S8_S9_S9_EESD_ST_SE_SF_SG_EUlST_E0_NS1_11comp_targetILNS1_3genE3ELNS1_11target_archE908ELNS1_3gpuE7ELNS1_3repE0EEENS1_38merge_mergepath_config_static_selectorELNS0_4arch9wavefront6targetE0EEEvSF_,"axG",@progbits,_ZN7rocprim17ROCPRIM_400000_NS6detail17trampoline_kernelINS0_14default_configENS1_38merge_sort_block_merge_config_selectorImNS0_10empty_typeEEEZZNS1_27merge_sort_block_merge_implIS3_PmPS5_jNS1_19radix_merge_compareILb0ELb1EmNS0_19identity_decomposerEEEEE10hipError_tT0_T1_T2_jT3_P12ihipStream_tbPNSt15iterator_traitsISE_E10value_typeEPNSK_ISF_E10value_typeEPSG_NS1_7vsmem_tEENKUlT_SE_SF_SG_E_clIS8_S8_S9_S9_EESD_ST_SE_SF_SG_EUlST_E0_NS1_11comp_targetILNS1_3genE3ELNS1_11target_archE908ELNS1_3gpuE7ELNS1_3repE0EEENS1_38merge_mergepath_config_static_selectorELNS0_4arch9wavefront6targetE0EEEvSF_,comdat
	.protected	_ZN7rocprim17ROCPRIM_400000_NS6detail17trampoline_kernelINS0_14default_configENS1_38merge_sort_block_merge_config_selectorImNS0_10empty_typeEEEZZNS1_27merge_sort_block_merge_implIS3_PmPS5_jNS1_19radix_merge_compareILb0ELb1EmNS0_19identity_decomposerEEEEE10hipError_tT0_T1_T2_jT3_P12ihipStream_tbPNSt15iterator_traitsISE_E10value_typeEPNSK_ISF_E10value_typeEPSG_NS1_7vsmem_tEENKUlT_SE_SF_SG_E_clIS8_S8_S9_S9_EESD_ST_SE_SF_SG_EUlST_E0_NS1_11comp_targetILNS1_3genE3ELNS1_11target_archE908ELNS1_3gpuE7ELNS1_3repE0EEENS1_38merge_mergepath_config_static_selectorELNS0_4arch9wavefront6targetE0EEEvSF_ ; -- Begin function _ZN7rocprim17ROCPRIM_400000_NS6detail17trampoline_kernelINS0_14default_configENS1_38merge_sort_block_merge_config_selectorImNS0_10empty_typeEEEZZNS1_27merge_sort_block_merge_implIS3_PmPS5_jNS1_19radix_merge_compareILb0ELb1EmNS0_19identity_decomposerEEEEE10hipError_tT0_T1_T2_jT3_P12ihipStream_tbPNSt15iterator_traitsISE_E10value_typeEPNSK_ISF_E10value_typeEPSG_NS1_7vsmem_tEENKUlT_SE_SF_SG_E_clIS8_S8_S9_S9_EESD_ST_SE_SF_SG_EUlST_E0_NS1_11comp_targetILNS1_3genE3ELNS1_11target_archE908ELNS1_3gpuE7ELNS1_3repE0EEENS1_38merge_mergepath_config_static_selectorELNS0_4arch9wavefront6targetE0EEEvSF_
	.globl	_ZN7rocprim17ROCPRIM_400000_NS6detail17trampoline_kernelINS0_14default_configENS1_38merge_sort_block_merge_config_selectorImNS0_10empty_typeEEEZZNS1_27merge_sort_block_merge_implIS3_PmPS5_jNS1_19radix_merge_compareILb0ELb1EmNS0_19identity_decomposerEEEEE10hipError_tT0_T1_T2_jT3_P12ihipStream_tbPNSt15iterator_traitsISE_E10value_typeEPNSK_ISF_E10value_typeEPSG_NS1_7vsmem_tEENKUlT_SE_SF_SG_E_clIS8_S8_S9_S9_EESD_ST_SE_SF_SG_EUlST_E0_NS1_11comp_targetILNS1_3genE3ELNS1_11target_archE908ELNS1_3gpuE7ELNS1_3repE0EEENS1_38merge_mergepath_config_static_selectorELNS0_4arch9wavefront6targetE0EEEvSF_
	.p2align	8
	.type	_ZN7rocprim17ROCPRIM_400000_NS6detail17trampoline_kernelINS0_14default_configENS1_38merge_sort_block_merge_config_selectorImNS0_10empty_typeEEEZZNS1_27merge_sort_block_merge_implIS3_PmPS5_jNS1_19radix_merge_compareILb0ELb1EmNS0_19identity_decomposerEEEEE10hipError_tT0_T1_T2_jT3_P12ihipStream_tbPNSt15iterator_traitsISE_E10value_typeEPNSK_ISF_E10value_typeEPSG_NS1_7vsmem_tEENKUlT_SE_SF_SG_E_clIS8_S8_S9_S9_EESD_ST_SE_SF_SG_EUlST_E0_NS1_11comp_targetILNS1_3genE3ELNS1_11target_archE908ELNS1_3gpuE7ELNS1_3repE0EEENS1_38merge_mergepath_config_static_selectorELNS0_4arch9wavefront6targetE0EEEvSF_,@function
_ZN7rocprim17ROCPRIM_400000_NS6detail17trampoline_kernelINS0_14default_configENS1_38merge_sort_block_merge_config_selectorImNS0_10empty_typeEEEZZNS1_27merge_sort_block_merge_implIS3_PmPS5_jNS1_19radix_merge_compareILb0ELb1EmNS0_19identity_decomposerEEEEE10hipError_tT0_T1_T2_jT3_P12ihipStream_tbPNSt15iterator_traitsISE_E10value_typeEPNSK_ISF_E10value_typeEPSG_NS1_7vsmem_tEENKUlT_SE_SF_SG_E_clIS8_S8_S9_S9_EESD_ST_SE_SF_SG_EUlST_E0_NS1_11comp_targetILNS1_3genE3ELNS1_11target_archE908ELNS1_3gpuE7ELNS1_3repE0EEENS1_38merge_mergepath_config_static_selectorELNS0_4arch9wavefront6targetE0EEEvSF_: ; @_ZN7rocprim17ROCPRIM_400000_NS6detail17trampoline_kernelINS0_14default_configENS1_38merge_sort_block_merge_config_selectorImNS0_10empty_typeEEEZZNS1_27merge_sort_block_merge_implIS3_PmPS5_jNS1_19radix_merge_compareILb0ELb1EmNS0_19identity_decomposerEEEEE10hipError_tT0_T1_T2_jT3_P12ihipStream_tbPNSt15iterator_traitsISE_E10value_typeEPNSK_ISF_E10value_typeEPSG_NS1_7vsmem_tEENKUlT_SE_SF_SG_E_clIS8_S8_S9_S9_EESD_ST_SE_SF_SG_EUlST_E0_NS1_11comp_targetILNS1_3genE3ELNS1_11target_archE908ELNS1_3gpuE7ELNS1_3repE0EEENS1_38merge_mergepath_config_static_selectorELNS0_4arch9wavefront6targetE0EEEvSF_
; %bb.0:
	.section	.rodata,"a",@progbits
	.p2align	6, 0x0
	.amdhsa_kernel _ZN7rocprim17ROCPRIM_400000_NS6detail17trampoline_kernelINS0_14default_configENS1_38merge_sort_block_merge_config_selectorImNS0_10empty_typeEEEZZNS1_27merge_sort_block_merge_implIS3_PmPS5_jNS1_19radix_merge_compareILb0ELb1EmNS0_19identity_decomposerEEEEE10hipError_tT0_T1_T2_jT3_P12ihipStream_tbPNSt15iterator_traitsISE_E10value_typeEPNSK_ISF_E10value_typeEPSG_NS1_7vsmem_tEENKUlT_SE_SF_SG_E_clIS8_S8_S9_S9_EESD_ST_SE_SF_SG_EUlST_E0_NS1_11comp_targetILNS1_3genE3ELNS1_11target_archE908ELNS1_3gpuE7ELNS1_3repE0EEENS1_38merge_mergepath_config_static_selectorELNS0_4arch9wavefront6targetE0EEEvSF_
		.amdhsa_group_segment_fixed_size 0
		.amdhsa_private_segment_fixed_size 0
		.amdhsa_kernarg_size 72
		.amdhsa_user_sgpr_count 2
		.amdhsa_user_sgpr_dispatch_ptr 0
		.amdhsa_user_sgpr_queue_ptr 0
		.amdhsa_user_sgpr_kernarg_segment_ptr 1
		.amdhsa_user_sgpr_dispatch_id 0
		.amdhsa_user_sgpr_kernarg_preload_length 0
		.amdhsa_user_sgpr_kernarg_preload_offset 0
		.amdhsa_user_sgpr_private_segment_size 0
		.amdhsa_wavefront_size32 1
		.amdhsa_uses_dynamic_stack 0
		.amdhsa_enable_private_segment 0
		.amdhsa_system_sgpr_workgroup_id_x 1
		.amdhsa_system_sgpr_workgroup_id_y 0
		.amdhsa_system_sgpr_workgroup_id_z 0
		.amdhsa_system_sgpr_workgroup_info 0
		.amdhsa_system_vgpr_workitem_id 0
		.amdhsa_next_free_vgpr 1
		.amdhsa_next_free_sgpr 1
		.amdhsa_named_barrier_count 0
		.amdhsa_reserve_vcc 0
		.amdhsa_float_round_mode_32 0
		.amdhsa_float_round_mode_16_64 0
		.amdhsa_float_denorm_mode_32 3
		.amdhsa_float_denorm_mode_16_64 3
		.amdhsa_fp16_overflow 0
		.amdhsa_memory_ordered 1
		.amdhsa_forward_progress 1
		.amdhsa_inst_pref_size 0
		.amdhsa_round_robin_scheduling 0
		.amdhsa_exception_fp_ieee_invalid_op 0
		.amdhsa_exception_fp_denorm_src 0
		.amdhsa_exception_fp_ieee_div_zero 0
		.amdhsa_exception_fp_ieee_overflow 0
		.amdhsa_exception_fp_ieee_underflow 0
		.amdhsa_exception_fp_ieee_inexact 0
		.amdhsa_exception_int_div_zero 0
	.end_amdhsa_kernel
	.section	.text._ZN7rocprim17ROCPRIM_400000_NS6detail17trampoline_kernelINS0_14default_configENS1_38merge_sort_block_merge_config_selectorImNS0_10empty_typeEEEZZNS1_27merge_sort_block_merge_implIS3_PmPS5_jNS1_19radix_merge_compareILb0ELb1EmNS0_19identity_decomposerEEEEE10hipError_tT0_T1_T2_jT3_P12ihipStream_tbPNSt15iterator_traitsISE_E10value_typeEPNSK_ISF_E10value_typeEPSG_NS1_7vsmem_tEENKUlT_SE_SF_SG_E_clIS8_S8_S9_S9_EESD_ST_SE_SF_SG_EUlST_E0_NS1_11comp_targetILNS1_3genE3ELNS1_11target_archE908ELNS1_3gpuE7ELNS1_3repE0EEENS1_38merge_mergepath_config_static_selectorELNS0_4arch9wavefront6targetE0EEEvSF_,"axG",@progbits,_ZN7rocprim17ROCPRIM_400000_NS6detail17trampoline_kernelINS0_14default_configENS1_38merge_sort_block_merge_config_selectorImNS0_10empty_typeEEEZZNS1_27merge_sort_block_merge_implIS3_PmPS5_jNS1_19radix_merge_compareILb0ELb1EmNS0_19identity_decomposerEEEEE10hipError_tT0_T1_T2_jT3_P12ihipStream_tbPNSt15iterator_traitsISE_E10value_typeEPNSK_ISF_E10value_typeEPSG_NS1_7vsmem_tEENKUlT_SE_SF_SG_E_clIS8_S8_S9_S9_EESD_ST_SE_SF_SG_EUlST_E0_NS1_11comp_targetILNS1_3genE3ELNS1_11target_archE908ELNS1_3gpuE7ELNS1_3repE0EEENS1_38merge_mergepath_config_static_selectorELNS0_4arch9wavefront6targetE0EEEvSF_,comdat
.Lfunc_end2961:
	.size	_ZN7rocprim17ROCPRIM_400000_NS6detail17trampoline_kernelINS0_14default_configENS1_38merge_sort_block_merge_config_selectorImNS0_10empty_typeEEEZZNS1_27merge_sort_block_merge_implIS3_PmPS5_jNS1_19radix_merge_compareILb0ELb1EmNS0_19identity_decomposerEEEEE10hipError_tT0_T1_T2_jT3_P12ihipStream_tbPNSt15iterator_traitsISE_E10value_typeEPNSK_ISF_E10value_typeEPSG_NS1_7vsmem_tEENKUlT_SE_SF_SG_E_clIS8_S8_S9_S9_EESD_ST_SE_SF_SG_EUlST_E0_NS1_11comp_targetILNS1_3genE3ELNS1_11target_archE908ELNS1_3gpuE7ELNS1_3repE0EEENS1_38merge_mergepath_config_static_selectorELNS0_4arch9wavefront6targetE0EEEvSF_, .Lfunc_end2961-_ZN7rocprim17ROCPRIM_400000_NS6detail17trampoline_kernelINS0_14default_configENS1_38merge_sort_block_merge_config_selectorImNS0_10empty_typeEEEZZNS1_27merge_sort_block_merge_implIS3_PmPS5_jNS1_19radix_merge_compareILb0ELb1EmNS0_19identity_decomposerEEEEE10hipError_tT0_T1_T2_jT3_P12ihipStream_tbPNSt15iterator_traitsISE_E10value_typeEPNSK_ISF_E10value_typeEPSG_NS1_7vsmem_tEENKUlT_SE_SF_SG_E_clIS8_S8_S9_S9_EESD_ST_SE_SF_SG_EUlST_E0_NS1_11comp_targetILNS1_3genE3ELNS1_11target_archE908ELNS1_3gpuE7ELNS1_3repE0EEENS1_38merge_mergepath_config_static_selectorELNS0_4arch9wavefront6targetE0EEEvSF_
                                        ; -- End function
	.set _ZN7rocprim17ROCPRIM_400000_NS6detail17trampoline_kernelINS0_14default_configENS1_38merge_sort_block_merge_config_selectorImNS0_10empty_typeEEEZZNS1_27merge_sort_block_merge_implIS3_PmPS5_jNS1_19radix_merge_compareILb0ELb1EmNS0_19identity_decomposerEEEEE10hipError_tT0_T1_T2_jT3_P12ihipStream_tbPNSt15iterator_traitsISE_E10value_typeEPNSK_ISF_E10value_typeEPSG_NS1_7vsmem_tEENKUlT_SE_SF_SG_E_clIS8_S8_S9_S9_EESD_ST_SE_SF_SG_EUlST_E0_NS1_11comp_targetILNS1_3genE3ELNS1_11target_archE908ELNS1_3gpuE7ELNS1_3repE0EEENS1_38merge_mergepath_config_static_selectorELNS0_4arch9wavefront6targetE0EEEvSF_.num_vgpr, 0
	.set _ZN7rocprim17ROCPRIM_400000_NS6detail17trampoline_kernelINS0_14default_configENS1_38merge_sort_block_merge_config_selectorImNS0_10empty_typeEEEZZNS1_27merge_sort_block_merge_implIS3_PmPS5_jNS1_19radix_merge_compareILb0ELb1EmNS0_19identity_decomposerEEEEE10hipError_tT0_T1_T2_jT3_P12ihipStream_tbPNSt15iterator_traitsISE_E10value_typeEPNSK_ISF_E10value_typeEPSG_NS1_7vsmem_tEENKUlT_SE_SF_SG_E_clIS8_S8_S9_S9_EESD_ST_SE_SF_SG_EUlST_E0_NS1_11comp_targetILNS1_3genE3ELNS1_11target_archE908ELNS1_3gpuE7ELNS1_3repE0EEENS1_38merge_mergepath_config_static_selectorELNS0_4arch9wavefront6targetE0EEEvSF_.num_agpr, 0
	.set _ZN7rocprim17ROCPRIM_400000_NS6detail17trampoline_kernelINS0_14default_configENS1_38merge_sort_block_merge_config_selectorImNS0_10empty_typeEEEZZNS1_27merge_sort_block_merge_implIS3_PmPS5_jNS1_19radix_merge_compareILb0ELb1EmNS0_19identity_decomposerEEEEE10hipError_tT0_T1_T2_jT3_P12ihipStream_tbPNSt15iterator_traitsISE_E10value_typeEPNSK_ISF_E10value_typeEPSG_NS1_7vsmem_tEENKUlT_SE_SF_SG_E_clIS8_S8_S9_S9_EESD_ST_SE_SF_SG_EUlST_E0_NS1_11comp_targetILNS1_3genE3ELNS1_11target_archE908ELNS1_3gpuE7ELNS1_3repE0EEENS1_38merge_mergepath_config_static_selectorELNS0_4arch9wavefront6targetE0EEEvSF_.numbered_sgpr, 0
	.set _ZN7rocprim17ROCPRIM_400000_NS6detail17trampoline_kernelINS0_14default_configENS1_38merge_sort_block_merge_config_selectorImNS0_10empty_typeEEEZZNS1_27merge_sort_block_merge_implIS3_PmPS5_jNS1_19radix_merge_compareILb0ELb1EmNS0_19identity_decomposerEEEEE10hipError_tT0_T1_T2_jT3_P12ihipStream_tbPNSt15iterator_traitsISE_E10value_typeEPNSK_ISF_E10value_typeEPSG_NS1_7vsmem_tEENKUlT_SE_SF_SG_E_clIS8_S8_S9_S9_EESD_ST_SE_SF_SG_EUlST_E0_NS1_11comp_targetILNS1_3genE3ELNS1_11target_archE908ELNS1_3gpuE7ELNS1_3repE0EEENS1_38merge_mergepath_config_static_selectorELNS0_4arch9wavefront6targetE0EEEvSF_.num_named_barrier, 0
	.set _ZN7rocprim17ROCPRIM_400000_NS6detail17trampoline_kernelINS0_14default_configENS1_38merge_sort_block_merge_config_selectorImNS0_10empty_typeEEEZZNS1_27merge_sort_block_merge_implIS3_PmPS5_jNS1_19radix_merge_compareILb0ELb1EmNS0_19identity_decomposerEEEEE10hipError_tT0_T1_T2_jT3_P12ihipStream_tbPNSt15iterator_traitsISE_E10value_typeEPNSK_ISF_E10value_typeEPSG_NS1_7vsmem_tEENKUlT_SE_SF_SG_E_clIS8_S8_S9_S9_EESD_ST_SE_SF_SG_EUlST_E0_NS1_11comp_targetILNS1_3genE3ELNS1_11target_archE908ELNS1_3gpuE7ELNS1_3repE0EEENS1_38merge_mergepath_config_static_selectorELNS0_4arch9wavefront6targetE0EEEvSF_.private_seg_size, 0
	.set _ZN7rocprim17ROCPRIM_400000_NS6detail17trampoline_kernelINS0_14default_configENS1_38merge_sort_block_merge_config_selectorImNS0_10empty_typeEEEZZNS1_27merge_sort_block_merge_implIS3_PmPS5_jNS1_19radix_merge_compareILb0ELb1EmNS0_19identity_decomposerEEEEE10hipError_tT0_T1_T2_jT3_P12ihipStream_tbPNSt15iterator_traitsISE_E10value_typeEPNSK_ISF_E10value_typeEPSG_NS1_7vsmem_tEENKUlT_SE_SF_SG_E_clIS8_S8_S9_S9_EESD_ST_SE_SF_SG_EUlST_E0_NS1_11comp_targetILNS1_3genE3ELNS1_11target_archE908ELNS1_3gpuE7ELNS1_3repE0EEENS1_38merge_mergepath_config_static_selectorELNS0_4arch9wavefront6targetE0EEEvSF_.uses_vcc, 0
	.set _ZN7rocprim17ROCPRIM_400000_NS6detail17trampoline_kernelINS0_14default_configENS1_38merge_sort_block_merge_config_selectorImNS0_10empty_typeEEEZZNS1_27merge_sort_block_merge_implIS3_PmPS5_jNS1_19radix_merge_compareILb0ELb1EmNS0_19identity_decomposerEEEEE10hipError_tT0_T1_T2_jT3_P12ihipStream_tbPNSt15iterator_traitsISE_E10value_typeEPNSK_ISF_E10value_typeEPSG_NS1_7vsmem_tEENKUlT_SE_SF_SG_E_clIS8_S8_S9_S9_EESD_ST_SE_SF_SG_EUlST_E0_NS1_11comp_targetILNS1_3genE3ELNS1_11target_archE908ELNS1_3gpuE7ELNS1_3repE0EEENS1_38merge_mergepath_config_static_selectorELNS0_4arch9wavefront6targetE0EEEvSF_.uses_flat_scratch, 0
	.set _ZN7rocprim17ROCPRIM_400000_NS6detail17trampoline_kernelINS0_14default_configENS1_38merge_sort_block_merge_config_selectorImNS0_10empty_typeEEEZZNS1_27merge_sort_block_merge_implIS3_PmPS5_jNS1_19radix_merge_compareILb0ELb1EmNS0_19identity_decomposerEEEEE10hipError_tT0_T1_T2_jT3_P12ihipStream_tbPNSt15iterator_traitsISE_E10value_typeEPNSK_ISF_E10value_typeEPSG_NS1_7vsmem_tEENKUlT_SE_SF_SG_E_clIS8_S8_S9_S9_EESD_ST_SE_SF_SG_EUlST_E0_NS1_11comp_targetILNS1_3genE3ELNS1_11target_archE908ELNS1_3gpuE7ELNS1_3repE0EEENS1_38merge_mergepath_config_static_selectorELNS0_4arch9wavefront6targetE0EEEvSF_.has_dyn_sized_stack, 0
	.set _ZN7rocprim17ROCPRIM_400000_NS6detail17trampoline_kernelINS0_14default_configENS1_38merge_sort_block_merge_config_selectorImNS0_10empty_typeEEEZZNS1_27merge_sort_block_merge_implIS3_PmPS5_jNS1_19radix_merge_compareILb0ELb1EmNS0_19identity_decomposerEEEEE10hipError_tT0_T1_T2_jT3_P12ihipStream_tbPNSt15iterator_traitsISE_E10value_typeEPNSK_ISF_E10value_typeEPSG_NS1_7vsmem_tEENKUlT_SE_SF_SG_E_clIS8_S8_S9_S9_EESD_ST_SE_SF_SG_EUlST_E0_NS1_11comp_targetILNS1_3genE3ELNS1_11target_archE908ELNS1_3gpuE7ELNS1_3repE0EEENS1_38merge_mergepath_config_static_selectorELNS0_4arch9wavefront6targetE0EEEvSF_.has_recursion, 0
	.set _ZN7rocprim17ROCPRIM_400000_NS6detail17trampoline_kernelINS0_14default_configENS1_38merge_sort_block_merge_config_selectorImNS0_10empty_typeEEEZZNS1_27merge_sort_block_merge_implIS3_PmPS5_jNS1_19radix_merge_compareILb0ELb1EmNS0_19identity_decomposerEEEEE10hipError_tT0_T1_T2_jT3_P12ihipStream_tbPNSt15iterator_traitsISE_E10value_typeEPNSK_ISF_E10value_typeEPSG_NS1_7vsmem_tEENKUlT_SE_SF_SG_E_clIS8_S8_S9_S9_EESD_ST_SE_SF_SG_EUlST_E0_NS1_11comp_targetILNS1_3genE3ELNS1_11target_archE908ELNS1_3gpuE7ELNS1_3repE0EEENS1_38merge_mergepath_config_static_selectorELNS0_4arch9wavefront6targetE0EEEvSF_.has_indirect_call, 0
	.section	.AMDGPU.csdata,"",@progbits
; Kernel info:
; codeLenInByte = 0
; TotalNumSgprs: 0
; NumVgprs: 0
; ScratchSize: 0
; MemoryBound: 0
; FloatMode: 240
; IeeeMode: 1
; LDSByteSize: 0 bytes/workgroup (compile time only)
; SGPRBlocks: 0
; VGPRBlocks: 0
; NumSGPRsForWavesPerEU: 1
; NumVGPRsForWavesPerEU: 1
; NamedBarCnt: 0
; Occupancy: 16
; WaveLimiterHint : 0
; COMPUTE_PGM_RSRC2:SCRATCH_EN: 0
; COMPUTE_PGM_RSRC2:USER_SGPR: 2
; COMPUTE_PGM_RSRC2:TRAP_HANDLER: 0
; COMPUTE_PGM_RSRC2:TGID_X_EN: 1
; COMPUTE_PGM_RSRC2:TGID_Y_EN: 0
; COMPUTE_PGM_RSRC2:TGID_Z_EN: 0
; COMPUTE_PGM_RSRC2:TIDIG_COMP_CNT: 0
	.section	.text._ZN7rocprim17ROCPRIM_400000_NS6detail17trampoline_kernelINS0_14default_configENS1_38merge_sort_block_merge_config_selectorImNS0_10empty_typeEEEZZNS1_27merge_sort_block_merge_implIS3_PmPS5_jNS1_19radix_merge_compareILb0ELb1EmNS0_19identity_decomposerEEEEE10hipError_tT0_T1_T2_jT3_P12ihipStream_tbPNSt15iterator_traitsISE_E10value_typeEPNSK_ISF_E10value_typeEPSG_NS1_7vsmem_tEENKUlT_SE_SF_SG_E_clIS8_S8_S9_S9_EESD_ST_SE_SF_SG_EUlST_E0_NS1_11comp_targetILNS1_3genE2ELNS1_11target_archE906ELNS1_3gpuE6ELNS1_3repE0EEENS1_38merge_mergepath_config_static_selectorELNS0_4arch9wavefront6targetE0EEEvSF_,"axG",@progbits,_ZN7rocprim17ROCPRIM_400000_NS6detail17trampoline_kernelINS0_14default_configENS1_38merge_sort_block_merge_config_selectorImNS0_10empty_typeEEEZZNS1_27merge_sort_block_merge_implIS3_PmPS5_jNS1_19radix_merge_compareILb0ELb1EmNS0_19identity_decomposerEEEEE10hipError_tT0_T1_T2_jT3_P12ihipStream_tbPNSt15iterator_traitsISE_E10value_typeEPNSK_ISF_E10value_typeEPSG_NS1_7vsmem_tEENKUlT_SE_SF_SG_E_clIS8_S8_S9_S9_EESD_ST_SE_SF_SG_EUlST_E0_NS1_11comp_targetILNS1_3genE2ELNS1_11target_archE906ELNS1_3gpuE6ELNS1_3repE0EEENS1_38merge_mergepath_config_static_selectorELNS0_4arch9wavefront6targetE0EEEvSF_,comdat
	.protected	_ZN7rocprim17ROCPRIM_400000_NS6detail17trampoline_kernelINS0_14default_configENS1_38merge_sort_block_merge_config_selectorImNS0_10empty_typeEEEZZNS1_27merge_sort_block_merge_implIS3_PmPS5_jNS1_19radix_merge_compareILb0ELb1EmNS0_19identity_decomposerEEEEE10hipError_tT0_T1_T2_jT3_P12ihipStream_tbPNSt15iterator_traitsISE_E10value_typeEPNSK_ISF_E10value_typeEPSG_NS1_7vsmem_tEENKUlT_SE_SF_SG_E_clIS8_S8_S9_S9_EESD_ST_SE_SF_SG_EUlST_E0_NS1_11comp_targetILNS1_3genE2ELNS1_11target_archE906ELNS1_3gpuE6ELNS1_3repE0EEENS1_38merge_mergepath_config_static_selectorELNS0_4arch9wavefront6targetE0EEEvSF_ ; -- Begin function _ZN7rocprim17ROCPRIM_400000_NS6detail17trampoline_kernelINS0_14default_configENS1_38merge_sort_block_merge_config_selectorImNS0_10empty_typeEEEZZNS1_27merge_sort_block_merge_implIS3_PmPS5_jNS1_19radix_merge_compareILb0ELb1EmNS0_19identity_decomposerEEEEE10hipError_tT0_T1_T2_jT3_P12ihipStream_tbPNSt15iterator_traitsISE_E10value_typeEPNSK_ISF_E10value_typeEPSG_NS1_7vsmem_tEENKUlT_SE_SF_SG_E_clIS8_S8_S9_S9_EESD_ST_SE_SF_SG_EUlST_E0_NS1_11comp_targetILNS1_3genE2ELNS1_11target_archE906ELNS1_3gpuE6ELNS1_3repE0EEENS1_38merge_mergepath_config_static_selectorELNS0_4arch9wavefront6targetE0EEEvSF_
	.globl	_ZN7rocprim17ROCPRIM_400000_NS6detail17trampoline_kernelINS0_14default_configENS1_38merge_sort_block_merge_config_selectorImNS0_10empty_typeEEEZZNS1_27merge_sort_block_merge_implIS3_PmPS5_jNS1_19radix_merge_compareILb0ELb1EmNS0_19identity_decomposerEEEEE10hipError_tT0_T1_T2_jT3_P12ihipStream_tbPNSt15iterator_traitsISE_E10value_typeEPNSK_ISF_E10value_typeEPSG_NS1_7vsmem_tEENKUlT_SE_SF_SG_E_clIS8_S8_S9_S9_EESD_ST_SE_SF_SG_EUlST_E0_NS1_11comp_targetILNS1_3genE2ELNS1_11target_archE906ELNS1_3gpuE6ELNS1_3repE0EEENS1_38merge_mergepath_config_static_selectorELNS0_4arch9wavefront6targetE0EEEvSF_
	.p2align	8
	.type	_ZN7rocprim17ROCPRIM_400000_NS6detail17trampoline_kernelINS0_14default_configENS1_38merge_sort_block_merge_config_selectorImNS0_10empty_typeEEEZZNS1_27merge_sort_block_merge_implIS3_PmPS5_jNS1_19radix_merge_compareILb0ELb1EmNS0_19identity_decomposerEEEEE10hipError_tT0_T1_T2_jT3_P12ihipStream_tbPNSt15iterator_traitsISE_E10value_typeEPNSK_ISF_E10value_typeEPSG_NS1_7vsmem_tEENKUlT_SE_SF_SG_E_clIS8_S8_S9_S9_EESD_ST_SE_SF_SG_EUlST_E0_NS1_11comp_targetILNS1_3genE2ELNS1_11target_archE906ELNS1_3gpuE6ELNS1_3repE0EEENS1_38merge_mergepath_config_static_selectorELNS0_4arch9wavefront6targetE0EEEvSF_,@function
_ZN7rocprim17ROCPRIM_400000_NS6detail17trampoline_kernelINS0_14default_configENS1_38merge_sort_block_merge_config_selectorImNS0_10empty_typeEEEZZNS1_27merge_sort_block_merge_implIS3_PmPS5_jNS1_19radix_merge_compareILb0ELb1EmNS0_19identity_decomposerEEEEE10hipError_tT0_T1_T2_jT3_P12ihipStream_tbPNSt15iterator_traitsISE_E10value_typeEPNSK_ISF_E10value_typeEPSG_NS1_7vsmem_tEENKUlT_SE_SF_SG_E_clIS8_S8_S9_S9_EESD_ST_SE_SF_SG_EUlST_E0_NS1_11comp_targetILNS1_3genE2ELNS1_11target_archE906ELNS1_3gpuE6ELNS1_3repE0EEENS1_38merge_mergepath_config_static_selectorELNS0_4arch9wavefront6targetE0EEEvSF_: ; @_ZN7rocprim17ROCPRIM_400000_NS6detail17trampoline_kernelINS0_14default_configENS1_38merge_sort_block_merge_config_selectorImNS0_10empty_typeEEEZZNS1_27merge_sort_block_merge_implIS3_PmPS5_jNS1_19radix_merge_compareILb0ELb1EmNS0_19identity_decomposerEEEEE10hipError_tT0_T1_T2_jT3_P12ihipStream_tbPNSt15iterator_traitsISE_E10value_typeEPNSK_ISF_E10value_typeEPSG_NS1_7vsmem_tEENKUlT_SE_SF_SG_E_clIS8_S8_S9_S9_EESD_ST_SE_SF_SG_EUlST_E0_NS1_11comp_targetILNS1_3genE2ELNS1_11target_archE906ELNS1_3gpuE6ELNS1_3repE0EEENS1_38merge_mergepath_config_static_selectorELNS0_4arch9wavefront6targetE0EEEvSF_
; %bb.0:
	.section	.rodata,"a",@progbits
	.p2align	6, 0x0
	.amdhsa_kernel _ZN7rocprim17ROCPRIM_400000_NS6detail17trampoline_kernelINS0_14default_configENS1_38merge_sort_block_merge_config_selectorImNS0_10empty_typeEEEZZNS1_27merge_sort_block_merge_implIS3_PmPS5_jNS1_19radix_merge_compareILb0ELb1EmNS0_19identity_decomposerEEEEE10hipError_tT0_T1_T2_jT3_P12ihipStream_tbPNSt15iterator_traitsISE_E10value_typeEPNSK_ISF_E10value_typeEPSG_NS1_7vsmem_tEENKUlT_SE_SF_SG_E_clIS8_S8_S9_S9_EESD_ST_SE_SF_SG_EUlST_E0_NS1_11comp_targetILNS1_3genE2ELNS1_11target_archE906ELNS1_3gpuE6ELNS1_3repE0EEENS1_38merge_mergepath_config_static_selectorELNS0_4arch9wavefront6targetE0EEEvSF_
		.amdhsa_group_segment_fixed_size 0
		.amdhsa_private_segment_fixed_size 0
		.amdhsa_kernarg_size 72
		.amdhsa_user_sgpr_count 2
		.amdhsa_user_sgpr_dispatch_ptr 0
		.amdhsa_user_sgpr_queue_ptr 0
		.amdhsa_user_sgpr_kernarg_segment_ptr 1
		.amdhsa_user_sgpr_dispatch_id 0
		.amdhsa_user_sgpr_kernarg_preload_length 0
		.amdhsa_user_sgpr_kernarg_preload_offset 0
		.amdhsa_user_sgpr_private_segment_size 0
		.amdhsa_wavefront_size32 1
		.amdhsa_uses_dynamic_stack 0
		.amdhsa_enable_private_segment 0
		.amdhsa_system_sgpr_workgroup_id_x 1
		.amdhsa_system_sgpr_workgroup_id_y 0
		.amdhsa_system_sgpr_workgroup_id_z 0
		.amdhsa_system_sgpr_workgroup_info 0
		.amdhsa_system_vgpr_workitem_id 0
		.amdhsa_next_free_vgpr 1
		.amdhsa_next_free_sgpr 1
		.amdhsa_named_barrier_count 0
		.amdhsa_reserve_vcc 0
		.amdhsa_float_round_mode_32 0
		.amdhsa_float_round_mode_16_64 0
		.amdhsa_float_denorm_mode_32 3
		.amdhsa_float_denorm_mode_16_64 3
		.amdhsa_fp16_overflow 0
		.amdhsa_memory_ordered 1
		.amdhsa_forward_progress 1
		.amdhsa_inst_pref_size 0
		.amdhsa_round_robin_scheduling 0
		.amdhsa_exception_fp_ieee_invalid_op 0
		.amdhsa_exception_fp_denorm_src 0
		.amdhsa_exception_fp_ieee_div_zero 0
		.amdhsa_exception_fp_ieee_overflow 0
		.amdhsa_exception_fp_ieee_underflow 0
		.amdhsa_exception_fp_ieee_inexact 0
		.amdhsa_exception_int_div_zero 0
	.end_amdhsa_kernel
	.section	.text._ZN7rocprim17ROCPRIM_400000_NS6detail17trampoline_kernelINS0_14default_configENS1_38merge_sort_block_merge_config_selectorImNS0_10empty_typeEEEZZNS1_27merge_sort_block_merge_implIS3_PmPS5_jNS1_19radix_merge_compareILb0ELb1EmNS0_19identity_decomposerEEEEE10hipError_tT0_T1_T2_jT3_P12ihipStream_tbPNSt15iterator_traitsISE_E10value_typeEPNSK_ISF_E10value_typeEPSG_NS1_7vsmem_tEENKUlT_SE_SF_SG_E_clIS8_S8_S9_S9_EESD_ST_SE_SF_SG_EUlST_E0_NS1_11comp_targetILNS1_3genE2ELNS1_11target_archE906ELNS1_3gpuE6ELNS1_3repE0EEENS1_38merge_mergepath_config_static_selectorELNS0_4arch9wavefront6targetE0EEEvSF_,"axG",@progbits,_ZN7rocprim17ROCPRIM_400000_NS6detail17trampoline_kernelINS0_14default_configENS1_38merge_sort_block_merge_config_selectorImNS0_10empty_typeEEEZZNS1_27merge_sort_block_merge_implIS3_PmPS5_jNS1_19radix_merge_compareILb0ELb1EmNS0_19identity_decomposerEEEEE10hipError_tT0_T1_T2_jT3_P12ihipStream_tbPNSt15iterator_traitsISE_E10value_typeEPNSK_ISF_E10value_typeEPSG_NS1_7vsmem_tEENKUlT_SE_SF_SG_E_clIS8_S8_S9_S9_EESD_ST_SE_SF_SG_EUlST_E0_NS1_11comp_targetILNS1_3genE2ELNS1_11target_archE906ELNS1_3gpuE6ELNS1_3repE0EEENS1_38merge_mergepath_config_static_selectorELNS0_4arch9wavefront6targetE0EEEvSF_,comdat
.Lfunc_end2962:
	.size	_ZN7rocprim17ROCPRIM_400000_NS6detail17trampoline_kernelINS0_14default_configENS1_38merge_sort_block_merge_config_selectorImNS0_10empty_typeEEEZZNS1_27merge_sort_block_merge_implIS3_PmPS5_jNS1_19radix_merge_compareILb0ELb1EmNS0_19identity_decomposerEEEEE10hipError_tT0_T1_T2_jT3_P12ihipStream_tbPNSt15iterator_traitsISE_E10value_typeEPNSK_ISF_E10value_typeEPSG_NS1_7vsmem_tEENKUlT_SE_SF_SG_E_clIS8_S8_S9_S9_EESD_ST_SE_SF_SG_EUlST_E0_NS1_11comp_targetILNS1_3genE2ELNS1_11target_archE906ELNS1_3gpuE6ELNS1_3repE0EEENS1_38merge_mergepath_config_static_selectorELNS0_4arch9wavefront6targetE0EEEvSF_, .Lfunc_end2962-_ZN7rocprim17ROCPRIM_400000_NS6detail17trampoline_kernelINS0_14default_configENS1_38merge_sort_block_merge_config_selectorImNS0_10empty_typeEEEZZNS1_27merge_sort_block_merge_implIS3_PmPS5_jNS1_19radix_merge_compareILb0ELb1EmNS0_19identity_decomposerEEEEE10hipError_tT0_T1_T2_jT3_P12ihipStream_tbPNSt15iterator_traitsISE_E10value_typeEPNSK_ISF_E10value_typeEPSG_NS1_7vsmem_tEENKUlT_SE_SF_SG_E_clIS8_S8_S9_S9_EESD_ST_SE_SF_SG_EUlST_E0_NS1_11comp_targetILNS1_3genE2ELNS1_11target_archE906ELNS1_3gpuE6ELNS1_3repE0EEENS1_38merge_mergepath_config_static_selectorELNS0_4arch9wavefront6targetE0EEEvSF_
                                        ; -- End function
	.set _ZN7rocprim17ROCPRIM_400000_NS6detail17trampoline_kernelINS0_14default_configENS1_38merge_sort_block_merge_config_selectorImNS0_10empty_typeEEEZZNS1_27merge_sort_block_merge_implIS3_PmPS5_jNS1_19radix_merge_compareILb0ELb1EmNS0_19identity_decomposerEEEEE10hipError_tT0_T1_T2_jT3_P12ihipStream_tbPNSt15iterator_traitsISE_E10value_typeEPNSK_ISF_E10value_typeEPSG_NS1_7vsmem_tEENKUlT_SE_SF_SG_E_clIS8_S8_S9_S9_EESD_ST_SE_SF_SG_EUlST_E0_NS1_11comp_targetILNS1_3genE2ELNS1_11target_archE906ELNS1_3gpuE6ELNS1_3repE0EEENS1_38merge_mergepath_config_static_selectorELNS0_4arch9wavefront6targetE0EEEvSF_.num_vgpr, 0
	.set _ZN7rocprim17ROCPRIM_400000_NS6detail17trampoline_kernelINS0_14default_configENS1_38merge_sort_block_merge_config_selectorImNS0_10empty_typeEEEZZNS1_27merge_sort_block_merge_implIS3_PmPS5_jNS1_19radix_merge_compareILb0ELb1EmNS0_19identity_decomposerEEEEE10hipError_tT0_T1_T2_jT3_P12ihipStream_tbPNSt15iterator_traitsISE_E10value_typeEPNSK_ISF_E10value_typeEPSG_NS1_7vsmem_tEENKUlT_SE_SF_SG_E_clIS8_S8_S9_S9_EESD_ST_SE_SF_SG_EUlST_E0_NS1_11comp_targetILNS1_3genE2ELNS1_11target_archE906ELNS1_3gpuE6ELNS1_3repE0EEENS1_38merge_mergepath_config_static_selectorELNS0_4arch9wavefront6targetE0EEEvSF_.num_agpr, 0
	.set _ZN7rocprim17ROCPRIM_400000_NS6detail17trampoline_kernelINS0_14default_configENS1_38merge_sort_block_merge_config_selectorImNS0_10empty_typeEEEZZNS1_27merge_sort_block_merge_implIS3_PmPS5_jNS1_19radix_merge_compareILb0ELb1EmNS0_19identity_decomposerEEEEE10hipError_tT0_T1_T2_jT3_P12ihipStream_tbPNSt15iterator_traitsISE_E10value_typeEPNSK_ISF_E10value_typeEPSG_NS1_7vsmem_tEENKUlT_SE_SF_SG_E_clIS8_S8_S9_S9_EESD_ST_SE_SF_SG_EUlST_E0_NS1_11comp_targetILNS1_3genE2ELNS1_11target_archE906ELNS1_3gpuE6ELNS1_3repE0EEENS1_38merge_mergepath_config_static_selectorELNS0_4arch9wavefront6targetE0EEEvSF_.numbered_sgpr, 0
	.set _ZN7rocprim17ROCPRIM_400000_NS6detail17trampoline_kernelINS0_14default_configENS1_38merge_sort_block_merge_config_selectorImNS0_10empty_typeEEEZZNS1_27merge_sort_block_merge_implIS3_PmPS5_jNS1_19radix_merge_compareILb0ELb1EmNS0_19identity_decomposerEEEEE10hipError_tT0_T1_T2_jT3_P12ihipStream_tbPNSt15iterator_traitsISE_E10value_typeEPNSK_ISF_E10value_typeEPSG_NS1_7vsmem_tEENKUlT_SE_SF_SG_E_clIS8_S8_S9_S9_EESD_ST_SE_SF_SG_EUlST_E0_NS1_11comp_targetILNS1_3genE2ELNS1_11target_archE906ELNS1_3gpuE6ELNS1_3repE0EEENS1_38merge_mergepath_config_static_selectorELNS0_4arch9wavefront6targetE0EEEvSF_.num_named_barrier, 0
	.set _ZN7rocprim17ROCPRIM_400000_NS6detail17trampoline_kernelINS0_14default_configENS1_38merge_sort_block_merge_config_selectorImNS0_10empty_typeEEEZZNS1_27merge_sort_block_merge_implIS3_PmPS5_jNS1_19radix_merge_compareILb0ELb1EmNS0_19identity_decomposerEEEEE10hipError_tT0_T1_T2_jT3_P12ihipStream_tbPNSt15iterator_traitsISE_E10value_typeEPNSK_ISF_E10value_typeEPSG_NS1_7vsmem_tEENKUlT_SE_SF_SG_E_clIS8_S8_S9_S9_EESD_ST_SE_SF_SG_EUlST_E0_NS1_11comp_targetILNS1_3genE2ELNS1_11target_archE906ELNS1_3gpuE6ELNS1_3repE0EEENS1_38merge_mergepath_config_static_selectorELNS0_4arch9wavefront6targetE0EEEvSF_.private_seg_size, 0
	.set _ZN7rocprim17ROCPRIM_400000_NS6detail17trampoline_kernelINS0_14default_configENS1_38merge_sort_block_merge_config_selectorImNS0_10empty_typeEEEZZNS1_27merge_sort_block_merge_implIS3_PmPS5_jNS1_19radix_merge_compareILb0ELb1EmNS0_19identity_decomposerEEEEE10hipError_tT0_T1_T2_jT3_P12ihipStream_tbPNSt15iterator_traitsISE_E10value_typeEPNSK_ISF_E10value_typeEPSG_NS1_7vsmem_tEENKUlT_SE_SF_SG_E_clIS8_S8_S9_S9_EESD_ST_SE_SF_SG_EUlST_E0_NS1_11comp_targetILNS1_3genE2ELNS1_11target_archE906ELNS1_3gpuE6ELNS1_3repE0EEENS1_38merge_mergepath_config_static_selectorELNS0_4arch9wavefront6targetE0EEEvSF_.uses_vcc, 0
	.set _ZN7rocprim17ROCPRIM_400000_NS6detail17trampoline_kernelINS0_14default_configENS1_38merge_sort_block_merge_config_selectorImNS0_10empty_typeEEEZZNS1_27merge_sort_block_merge_implIS3_PmPS5_jNS1_19radix_merge_compareILb0ELb1EmNS0_19identity_decomposerEEEEE10hipError_tT0_T1_T2_jT3_P12ihipStream_tbPNSt15iterator_traitsISE_E10value_typeEPNSK_ISF_E10value_typeEPSG_NS1_7vsmem_tEENKUlT_SE_SF_SG_E_clIS8_S8_S9_S9_EESD_ST_SE_SF_SG_EUlST_E0_NS1_11comp_targetILNS1_3genE2ELNS1_11target_archE906ELNS1_3gpuE6ELNS1_3repE0EEENS1_38merge_mergepath_config_static_selectorELNS0_4arch9wavefront6targetE0EEEvSF_.uses_flat_scratch, 0
	.set _ZN7rocprim17ROCPRIM_400000_NS6detail17trampoline_kernelINS0_14default_configENS1_38merge_sort_block_merge_config_selectorImNS0_10empty_typeEEEZZNS1_27merge_sort_block_merge_implIS3_PmPS5_jNS1_19radix_merge_compareILb0ELb1EmNS0_19identity_decomposerEEEEE10hipError_tT0_T1_T2_jT3_P12ihipStream_tbPNSt15iterator_traitsISE_E10value_typeEPNSK_ISF_E10value_typeEPSG_NS1_7vsmem_tEENKUlT_SE_SF_SG_E_clIS8_S8_S9_S9_EESD_ST_SE_SF_SG_EUlST_E0_NS1_11comp_targetILNS1_3genE2ELNS1_11target_archE906ELNS1_3gpuE6ELNS1_3repE0EEENS1_38merge_mergepath_config_static_selectorELNS0_4arch9wavefront6targetE0EEEvSF_.has_dyn_sized_stack, 0
	.set _ZN7rocprim17ROCPRIM_400000_NS6detail17trampoline_kernelINS0_14default_configENS1_38merge_sort_block_merge_config_selectorImNS0_10empty_typeEEEZZNS1_27merge_sort_block_merge_implIS3_PmPS5_jNS1_19radix_merge_compareILb0ELb1EmNS0_19identity_decomposerEEEEE10hipError_tT0_T1_T2_jT3_P12ihipStream_tbPNSt15iterator_traitsISE_E10value_typeEPNSK_ISF_E10value_typeEPSG_NS1_7vsmem_tEENKUlT_SE_SF_SG_E_clIS8_S8_S9_S9_EESD_ST_SE_SF_SG_EUlST_E0_NS1_11comp_targetILNS1_3genE2ELNS1_11target_archE906ELNS1_3gpuE6ELNS1_3repE0EEENS1_38merge_mergepath_config_static_selectorELNS0_4arch9wavefront6targetE0EEEvSF_.has_recursion, 0
	.set _ZN7rocprim17ROCPRIM_400000_NS6detail17trampoline_kernelINS0_14default_configENS1_38merge_sort_block_merge_config_selectorImNS0_10empty_typeEEEZZNS1_27merge_sort_block_merge_implIS3_PmPS5_jNS1_19radix_merge_compareILb0ELb1EmNS0_19identity_decomposerEEEEE10hipError_tT0_T1_T2_jT3_P12ihipStream_tbPNSt15iterator_traitsISE_E10value_typeEPNSK_ISF_E10value_typeEPSG_NS1_7vsmem_tEENKUlT_SE_SF_SG_E_clIS8_S8_S9_S9_EESD_ST_SE_SF_SG_EUlST_E0_NS1_11comp_targetILNS1_3genE2ELNS1_11target_archE906ELNS1_3gpuE6ELNS1_3repE0EEENS1_38merge_mergepath_config_static_selectorELNS0_4arch9wavefront6targetE0EEEvSF_.has_indirect_call, 0
	.section	.AMDGPU.csdata,"",@progbits
; Kernel info:
; codeLenInByte = 0
; TotalNumSgprs: 0
; NumVgprs: 0
; ScratchSize: 0
; MemoryBound: 0
; FloatMode: 240
; IeeeMode: 1
; LDSByteSize: 0 bytes/workgroup (compile time only)
; SGPRBlocks: 0
; VGPRBlocks: 0
; NumSGPRsForWavesPerEU: 1
; NumVGPRsForWavesPerEU: 1
; NamedBarCnt: 0
; Occupancy: 16
; WaveLimiterHint : 0
; COMPUTE_PGM_RSRC2:SCRATCH_EN: 0
; COMPUTE_PGM_RSRC2:USER_SGPR: 2
; COMPUTE_PGM_RSRC2:TRAP_HANDLER: 0
; COMPUTE_PGM_RSRC2:TGID_X_EN: 1
; COMPUTE_PGM_RSRC2:TGID_Y_EN: 0
; COMPUTE_PGM_RSRC2:TGID_Z_EN: 0
; COMPUTE_PGM_RSRC2:TIDIG_COMP_CNT: 0
	.section	.text._ZN7rocprim17ROCPRIM_400000_NS6detail17trampoline_kernelINS0_14default_configENS1_38merge_sort_block_merge_config_selectorImNS0_10empty_typeEEEZZNS1_27merge_sort_block_merge_implIS3_PmPS5_jNS1_19radix_merge_compareILb0ELb1EmNS0_19identity_decomposerEEEEE10hipError_tT0_T1_T2_jT3_P12ihipStream_tbPNSt15iterator_traitsISE_E10value_typeEPNSK_ISF_E10value_typeEPSG_NS1_7vsmem_tEENKUlT_SE_SF_SG_E_clIS8_S8_S9_S9_EESD_ST_SE_SF_SG_EUlST_E0_NS1_11comp_targetILNS1_3genE9ELNS1_11target_archE1100ELNS1_3gpuE3ELNS1_3repE0EEENS1_38merge_mergepath_config_static_selectorELNS0_4arch9wavefront6targetE0EEEvSF_,"axG",@progbits,_ZN7rocprim17ROCPRIM_400000_NS6detail17trampoline_kernelINS0_14default_configENS1_38merge_sort_block_merge_config_selectorImNS0_10empty_typeEEEZZNS1_27merge_sort_block_merge_implIS3_PmPS5_jNS1_19radix_merge_compareILb0ELb1EmNS0_19identity_decomposerEEEEE10hipError_tT0_T1_T2_jT3_P12ihipStream_tbPNSt15iterator_traitsISE_E10value_typeEPNSK_ISF_E10value_typeEPSG_NS1_7vsmem_tEENKUlT_SE_SF_SG_E_clIS8_S8_S9_S9_EESD_ST_SE_SF_SG_EUlST_E0_NS1_11comp_targetILNS1_3genE9ELNS1_11target_archE1100ELNS1_3gpuE3ELNS1_3repE0EEENS1_38merge_mergepath_config_static_selectorELNS0_4arch9wavefront6targetE0EEEvSF_,comdat
	.protected	_ZN7rocprim17ROCPRIM_400000_NS6detail17trampoline_kernelINS0_14default_configENS1_38merge_sort_block_merge_config_selectorImNS0_10empty_typeEEEZZNS1_27merge_sort_block_merge_implIS3_PmPS5_jNS1_19radix_merge_compareILb0ELb1EmNS0_19identity_decomposerEEEEE10hipError_tT0_T1_T2_jT3_P12ihipStream_tbPNSt15iterator_traitsISE_E10value_typeEPNSK_ISF_E10value_typeEPSG_NS1_7vsmem_tEENKUlT_SE_SF_SG_E_clIS8_S8_S9_S9_EESD_ST_SE_SF_SG_EUlST_E0_NS1_11comp_targetILNS1_3genE9ELNS1_11target_archE1100ELNS1_3gpuE3ELNS1_3repE0EEENS1_38merge_mergepath_config_static_selectorELNS0_4arch9wavefront6targetE0EEEvSF_ ; -- Begin function _ZN7rocprim17ROCPRIM_400000_NS6detail17trampoline_kernelINS0_14default_configENS1_38merge_sort_block_merge_config_selectorImNS0_10empty_typeEEEZZNS1_27merge_sort_block_merge_implIS3_PmPS5_jNS1_19radix_merge_compareILb0ELb1EmNS0_19identity_decomposerEEEEE10hipError_tT0_T1_T2_jT3_P12ihipStream_tbPNSt15iterator_traitsISE_E10value_typeEPNSK_ISF_E10value_typeEPSG_NS1_7vsmem_tEENKUlT_SE_SF_SG_E_clIS8_S8_S9_S9_EESD_ST_SE_SF_SG_EUlST_E0_NS1_11comp_targetILNS1_3genE9ELNS1_11target_archE1100ELNS1_3gpuE3ELNS1_3repE0EEENS1_38merge_mergepath_config_static_selectorELNS0_4arch9wavefront6targetE0EEEvSF_
	.globl	_ZN7rocprim17ROCPRIM_400000_NS6detail17trampoline_kernelINS0_14default_configENS1_38merge_sort_block_merge_config_selectorImNS0_10empty_typeEEEZZNS1_27merge_sort_block_merge_implIS3_PmPS5_jNS1_19radix_merge_compareILb0ELb1EmNS0_19identity_decomposerEEEEE10hipError_tT0_T1_T2_jT3_P12ihipStream_tbPNSt15iterator_traitsISE_E10value_typeEPNSK_ISF_E10value_typeEPSG_NS1_7vsmem_tEENKUlT_SE_SF_SG_E_clIS8_S8_S9_S9_EESD_ST_SE_SF_SG_EUlST_E0_NS1_11comp_targetILNS1_3genE9ELNS1_11target_archE1100ELNS1_3gpuE3ELNS1_3repE0EEENS1_38merge_mergepath_config_static_selectorELNS0_4arch9wavefront6targetE0EEEvSF_
	.p2align	8
	.type	_ZN7rocprim17ROCPRIM_400000_NS6detail17trampoline_kernelINS0_14default_configENS1_38merge_sort_block_merge_config_selectorImNS0_10empty_typeEEEZZNS1_27merge_sort_block_merge_implIS3_PmPS5_jNS1_19radix_merge_compareILb0ELb1EmNS0_19identity_decomposerEEEEE10hipError_tT0_T1_T2_jT3_P12ihipStream_tbPNSt15iterator_traitsISE_E10value_typeEPNSK_ISF_E10value_typeEPSG_NS1_7vsmem_tEENKUlT_SE_SF_SG_E_clIS8_S8_S9_S9_EESD_ST_SE_SF_SG_EUlST_E0_NS1_11comp_targetILNS1_3genE9ELNS1_11target_archE1100ELNS1_3gpuE3ELNS1_3repE0EEENS1_38merge_mergepath_config_static_selectorELNS0_4arch9wavefront6targetE0EEEvSF_,@function
_ZN7rocprim17ROCPRIM_400000_NS6detail17trampoline_kernelINS0_14default_configENS1_38merge_sort_block_merge_config_selectorImNS0_10empty_typeEEEZZNS1_27merge_sort_block_merge_implIS3_PmPS5_jNS1_19radix_merge_compareILb0ELb1EmNS0_19identity_decomposerEEEEE10hipError_tT0_T1_T2_jT3_P12ihipStream_tbPNSt15iterator_traitsISE_E10value_typeEPNSK_ISF_E10value_typeEPSG_NS1_7vsmem_tEENKUlT_SE_SF_SG_E_clIS8_S8_S9_S9_EESD_ST_SE_SF_SG_EUlST_E0_NS1_11comp_targetILNS1_3genE9ELNS1_11target_archE1100ELNS1_3gpuE3ELNS1_3repE0EEENS1_38merge_mergepath_config_static_selectorELNS0_4arch9wavefront6targetE0EEEvSF_: ; @_ZN7rocprim17ROCPRIM_400000_NS6detail17trampoline_kernelINS0_14default_configENS1_38merge_sort_block_merge_config_selectorImNS0_10empty_typeEEEZZNS1_27merge_sort_block_merge_implIS3_PmPS5_jNS1_19radix_merge_compareILb0ELb1EmNS0_19identity_decomposerEEEEE10hipError_tT0_T1_T2_jT3_P12ihipStream_tbPNSt15iterator_traitsISE_E10value_typeEPNSK_ISF_E10value_typeEPSG_NS1_7vsmem_tEENKUlT_SE_SF_SG_E_clIS8_S8_S9_S9_EESD_ST_SE_SF_SG_EUlST_E0_NS1_11comp_targetILNS1_3genE9ELNS1_11target_archE1100ELNS1_3gpuE3ELNS1_3repE0EEENS1_38merge_mergepath_config_static_selectorELNS0_4arch9wavefront6targetE0EEEvSF_
; %bb.0:
	.section	.rodata,"a",@progbits
	.p2align	6, 0x0
	.amdhsa_kernel _ZN7rocprim17ROCPRIM_400000_NS6detail17trampoline_kernelINS0_14default_configENS1_38merge_sort_block_merge_config_selectorImNS0_10empty_typeEEEZZNS1_27merge_sort_block_merge_implIS3_PmPS5_jNS1_19radix_merge_compareILb0ELb1EmNS0_19identity_decomposerEEEEE10hipError_tT0_T1_T2_jT3_P12ihipStream_tbPNSt15iterator_traitsISE_E10value_typeEPNSK_ISF_E10value_typeEPSG_NS1_7vsmem_tEENKUlT_SE_SF_SG_E_clIS8_S8_S9_S9_EESD_ST_SE_SF_SG_EUlST_E0_NS1_11comp_targetILNS1_3genE9ELNS1_11target_archE1100ELNS1_3gpuE3ELNS1_3repE0EEENS1_38merge_mergepath_config_static_selectorELNS0_4arch9wavefront6targetE0EEEvSF_
		.amdhsa_group_segment_fixed_size 0
		.amdhsa_private_segment_fixed_size 0
		.amdhsa_kernarg_size 72
		.amdhsa_user_sgpr_count 2
		.amdhsa_user_sgpr_dispatch_ptr 0
		.amdhsa_user_sgpr_queue_ptr 0
		.amdhsa_user_sgpr_kernarg_segment_ptr 1
		.amdhsa_user_sgpr_dispatch_id 0
		.amdhsa_user_sgpr_kernarg_preload_length 0
		.amdhsa_user_sgpr_kernarg_preload_offset 0
		.amdhsa_user_sgpr_private_segment_size 0
		.amdhsa_wavefront_size32 1
		.amdhsa_uses_dynamic_stack 0
		.amdhsa_enable_private_segment 0
		.amdhsa_system_sgpr_workgroup_id_x 1
		.amdhsa_system_sgpr_workgroup_id_y 0
		.amdhsa_system_sgpr_workgroup_id_z 0
		.amdhsa_system_sgpr_workgroup_info 0
		.amdhsa_system_vgpr_workitem_id 0
		.amdhsa_next_free_vgpr 1
		.amdhsa_next_free_sgpr 1
		.amdhsa_named_barrier_count 0
		.amdhsa_reserve_vcc 0
		.amdhsa_float_round_mode_32 0
		.amdhsa_float_round_mode_16_64 0
		.amdhsa_float_denorm_mode_32 3
		.amdhsa_float_denorm_mode_16_64 3
		.amdhsa_fp16_overflow 0
		.amdhsa_memory_ordered 1
		.amdhsa_forward_progress 1
		.amdhsa_inst_pref_size 0
		.amdhsa_round_robin_scheduling 0
		.amdhsa_exception_fp_ieee_invalid_op 0
		.amdhsa_exception_fp_denorm_src 0
		.amdhsa_exception_fp_ieee_div_zero 0
		.amdhsa_exception_fp_ieee_overflow 0
		.amdhsa_exception_fp_ieee_underflow 0
		.amdhsa_exception_fp_ieee_inexact 0
		.amdhsa_exception_int_div_zero 0
	.end_amdhsa_kernel
	.section	.text._ZN7rocprim17ROCPRIM_400000_NS6detail17trampoline_kernelINS0_14default_configENS1_38merge_sort_block_merge_config_selectorImNS0_10empty_typeEEEZZNS1_27merge_sort_block_merge_implIS3_PmPS5_jNS1_19radix_merge_compareILb0ELb1EmNS0_19identity_decomposerEEEEE10hipError_tT0_T1_T2_jT3_P12ihipStream_tbPNSt15iterator_traitsISE_E10value_typeEPNSK_ISF_E10value_typeEPSG_NS1_7vsmem_tEENKUlT_SE_SF_SG_E_clIS8_S8_S9_S9_EESD_ST_SE_SF_SG_EUlST_E0_NS1_11comp_targetILNS1_3genE9ELNS1_11target_archE1100ELNS1_3gpuE3ELNS1_3repE0EEENS1_38merge_mergepath_config_static_selectorELNS0_4arch9wavefront6targetE0EEEvSF_,"axG",@progbits,_ZN7rocprim17ROCPRIM_400000_NS6detail17trampoline_kernelINS0_14default_configENS1_38merge_sort_block_merge_config_selectorImNS0_10empty_typeEEEZZNS1_27merge_sort_block_merge_implIS3_PmPS5_jNS1_19radix_merge_compareILb0ELb1EmNS0_19identity_decomposerEEEEE10hipError_tT0_T1_T2_jT3_P12ihipStream_tbPNSt15iterator_traitsISE_E10value_typeEPNSK_ISF_E10value_typeEPSG_NS1_7vsmem_tEENKUlT_SE_SF_SG_E_clIS8_S8_S9_S9_EESD_ST_SE_SF_SG_EUlST_E0_NS1_11comp_targetILNS1_3genE9ELNS1_11target_archE1100ELNS1_3gpuE3ELNS1_3repE0EEENS1_38merge_mergepath_config_static_selectorELNS0_4arch9wavefront6targetE0EEEvSF_,comdat
.Lfunc_end2963:
	.size	_ZN7rocprim17ROCPRIM_400000_NS6detail17trampoline_kernelINS0_14default_configENS1_38merge_sort_block_merge_config_selectorImNS0_10empty_typeEEEZZNS1_27merge_sort_block_merge_implIS3_PmPS5_jNS1_19radix_merge_compareILb0ELb1EmNS0_19identity_decomposerEEEEE10hipError_tT0_T1_T2_jT3_P12ihipStream_tbPNSt15iterator_traitsISE_E10value_typeEPNSK_ISF_E10value_typeEPSG_NS1_7vsmem_tEENKUlT_SE_SF_SG_E_clIS8_S8_S9_S9_EESD_ST_SE_SF_SG_EUlST_E0_NS1_11comp_targetILNS1_3genE9ELNS1_11target_archE1100ELNS1_3gpuE3ELNS1_3repE0EEENS1_38merge_mergepath_config_static_selectorELNS0_4arch9wavefront6targetE0EEEvSF_, .Lfunc_end2963-_ZN7rocprim17ROCPRIM_400000_NS6detail17trampoline_kernelINS0_14default_configENS1_38merge_sort_block_merge_config_selectorImNS0_10empty_typeEEEZZNS1_27merge_sort_block_merge_implIS3_PmPS5_jNS1_19radix_merge_compareILb0ELb1EmNS0_19identity_decomposerEEEEE10hipError_tT0_T1_T2_jT3_P12ihipStream_tbPNSt15iterator_traitsISE_E10value_typeEPNSK_ISF_E10value_typeEPSG_NS1_7vsmem_tEENKUlT_SE_SF_SG_E_clIS8_S8_S9_S9_EESD_ST_SE_SF_SG_EUlST_E0_NS1_11comp_targetILNS1_3genE9ELNS1_11target_archE1100ELNS1_3gpuE3ELNS1_3repE0EEENS1_38merge_mergepath_config_static_selectorELNS0_4arch9wavefront6targetE0EEEvSF_
                                        ; -- End function
	.set _ZN7rocprim17ROCPRIM_400000_NS6detail17trampoline_kernelINS0_14default_configENS1_38merge_sort_block_merge_config_selectorImNS0_10empty_typeEEEZZNS1_27merge_sort_block_merge_implIS3_PmPS5_jNS1_19radix_merge_compareILb0ELb1EmNS0_19identity_decomposerEEEEE10hipError_tT0_T1_T2_jT3_P12ihipStream_tbPNSt15iterator_traitsISE_E10value_typeEPNSK_ISF_E10value_typeEPSG_NS1_7vsmem_tEENKUlT_SE_SF_SG_E_clIS8_S8_S9_S9_EESD_ST_SE_SF_SG_EUlST_E0_NS1_11comp_targetILNS1_3genE9ELNS1_11target_archE1100ELNS1_3gpuE3ELNS1_3repE0EEENS1_38merge_mergepath_config_static_selectorELNS0_4arch9wavefront6targetE0EEEvSF_.num_vgpr, 0
	.set _ZN7rocprim17ROCPRIM_400000_NS6detail17trampoline_kernelINS0_14default_configENS1_38merge_sort_block_merge_config_selectorImNS0_10empty_typeEEEZZNS1_27merge_sort_block_merge_implIS3_PmPS5_jNS1_19radix_merge_compareILb0ELb1EmNS0_19identity_decomposerEEEEE10hipError_tT0_T1_T2_jT3_P12ihipStream_tbPNSt15iterator_traitsISE_E10value_typeEPNSK_ISF_E10value_typeEPSG_NS1_7vsmem_tEENKUlT_SE_SF_SG_E_clIS8_S8_S9_S9_EESD_ST_SE_SF_SG_EUlST_E0_NS1_11comp_targetILNS1_3genE9ELNS1_11target_archE1100ELNS1_3gpuE3ELNS1_3repE0EEENS1_38merge_mergepath_config_static_selectorELNS0_4arch9wavefront6targetE0EEEvSF_.num_agpr, 0
	.set _ZN7rocprim17ROCPRIM_400000_NS6detail17trampoline_kernelINS0_14default_configENS1_38merge_sort_block_merge_config_selectorImNS0_10empty_typeEEEZZNS1_27merge_sort_block_merge_implIS3_PmPS5_jNS1_19radix_merge_compareILb0ELb1EmNS0_19identity_decomposerEEEEE10hipError_tT0_T1_T2_jT3_P12ihipStream_tbPNSt15iterator_traitsISE_E10value_typeEPNSK_ISF_E10value_typeEPSG_NS1_7vsmem_tEENKUlT_SE_SF_SG_E_clIS8_S8_S9_S9_EESD_ST_SE_SF_SG_EUlST_E0_NS1_11comp_targetILNS1_3genE9ELNS1_11target_archE1100ELNS1_3gpuE3ELNS1_3repE0EEENS1_38merge_mergepath_config_static_selectorELNS0_4arch9wavefront6targetE0EEEvSF_.numbered_sgpr, 0
	.set _ZN7rocprim17ROCPRIM_400000_NS6detail17trampoline_kernelINS0_14default_configENS1_38merge_sort_block_merge_config_selectorImNS0_10empty_typeEEEZZNS1_27merge_sort_block_merge_implIS3_PmPS5_jNS1_19radix_merge_compareILb0ELb1EmNS0_19identity_decomposerEEEEE10hipError_tT0_T1_T2_jT3_P12ihipStream_tbPNSt15iterator_traitsISE_E10value_typeEPNSK_ISF_E10value_typeEPSG_NS1_7vsmem_tEENKUlT_SE_SF_SG_E_clIS8_S8_S9_S9_EESD_ST_SE_SF_SG_EUlST_E0_NS1_11comp_targetILNS1_3genE9ELNS1_11target_archE1100ELNS1_3gpuE3ELNS1_3repE0EEENS1_38merge_mergepath_config_static_selectorELNS0_4arch9wavefront6targetE0EEEvSF_.num_named_barrier, 0
	.set _ZN7rocprim17ROCPRIM_400000_NS6detail17trampoline_kernelINS0_14default_configENS1_38merge_sort_block_merge_config_selectorImNS0_10empty_typeEEEZZNS1_27merge_sort_block_merge_implIS3_PmPS5_jNS1_19radix_merge_compareILb0ELb1EmNS0_19identity_decomposerEEEEE10hipError_tT0_T1_T2_jT3_P12ihipStream_tbPNSt15iterator_traitsISE_E10value_typeEPNSK_ISF_E10value_typeEPSG_NS1_7vsmem_tEENKUlT_SE_SF_SG_E_clIS8_S8_S9_S9_EESD_ST_SE_SF_SG_EUlST_E0_NS1_11comp_targetILNS1_3genE9ELNS1_11target_archE1100ELNS1_3gpuE3ELNS1_3repE0EEENS1_38merge_mergepath_config_static_selectorELNS0_4arch9wavefront6targetE0EEEvSF_.private_seg_size, 0
	.set _ZN7rocprim17ROCPRIM_400000_NS6detail17trampoline_kernelINS0_14default_configENS1_38merge_sort_block_merge_config_selectorImNS0_10empty_typeEEEZZNS1_27merge_sort_block_merge_implIS3_PmPS5_jNS1_19radix_merge_compareILb0ELb1EmNS0_19identity_decomposerEEEEE10hipError_tT0_T1_T2_jT3_P12ihipStream_tbPNSt15iterator_traitsISE_E10value_typeEPNSK_ISF_E10value_typeEPSG_NS1_7vsmem_tEENKUlT_SE_SF_SG_E_clIS8_S8_S9_S9_EESD_ST_SE_SF_SG_EUlST_E0_NS1_11comp_targetILNS1_3genE9ELNS1_11target_archE1100ELNS1_3gpuE3ELNS1_3repE0EEENS1_38merge_mergepath_config_static_selectorELNS0_4arch9wavefront6targetE0EEEvSF_.uses_vcc, 0
	.set _ZN7rocprim17ROCPRIM_400000_NS6detail17trampoline_kernelINS0_14default_configENS1_38merge_sort_block_merge_config_selectorImNS0_10empty_typeEEEZZNS1_27merge_sort_block_merge_implIS3_PmPS5_jNS1_19radix_merge_compareILb0ELb1EmNS0_19identity_decomposerEEEEE10hipError_tT0_T1_T2_jT3_P12ihipStream_tbPNSt15iterator_traitsISE_E10value_typeEPNSK_ISF_E10value_typeEPSG_NS1_7vsmem_tEENKUlT_SE_SF_SG_E_clIS8_S8_S9_S9_EESD_ST_SE_SF_SG_EUlST_E0_NS1_11comp_targetILNS1_3genE9ELNS1_11target_archE1100ELNS1_3gpuE3ELNS1_3repE0EEENS1_38merge_mergepath_config_static_selectorELNS0_4arch9wavefront6targetE0EEEvSF_.uses_flat_scratch, 0
	.set _ZN7rocprim17ROCPRIM_400000_NS6detail17trampoline_kernelINS0_14default_configENS1_38merge_sort_block_merge_config_selectorImNS0_10empty_typeEEEZZNS1_27merge_sort_block_merge_implIS3_PmPS5_jNS1_19radix_merge_compareILb0ELb1EmNS0_19identity_decomposerEEEEE10hipError_tT0_T1_T2_jT3_P12ihipStream_tbPNSt15iterator_traitsISE_E10value_typeEPNSK_ISF_E10value_typeEPSG_NS1_7vsmem_tEENKUlT_SE_SF_SG_E_clIS8_S8_S9_S9_EESD_ST_SE_SF_SG_EUlST_E0_NS1_11comp_targetILNS1_3genE9ELNS1_11target_archE1100ELNS1_3gpuE3ELNS1_3repE0EEENS1_38merge_mergepath_config_static_selectorELNS0_4arch9wavefront6targetE0EEEvSF_.has_dyn_sized_stack, 0
	.set _ZN7rocprim17ROCPRIM_400000_NS6detail17trampoline_kernelINS0_14default_configENS1_38merge_sort_block_merge_config_selectorImNS0_10empty_typeEEEZZNS1_27merge_sort_block_merge_implIS3_PmPS5_jNS1_19radix_merge_compareILb0ELb1EmNS0_19identity_decomposerEEEEE10hipError_tT0_T1_T2_jT3_P12ihipStream_tbPNSt15iterator_traitsISE_E10value_typeEPNSK_ISF_E10value_typeEPSG_NS1_7vsmem_tEENKUlT_SE_SF_SG_E_clIS8_S8_S9_S9_EESD_ST_SE_SF_SG_EUlST_E0_NS1_11comp_targetILNS1_3genE9ELNS1_11target_archE1100ELNS1_3gpuE3ELNS1_3repE0EEENS1_38merge_mergepath_config_static_selectorELNS0_4arch9wavefront6targetE0EEEvSF_.has_recursion, 0
	.set _ZN7rocprim17ROCPRIM_400000_NS6detail17trampoline_kernelINS0_14default_configENS1_38merge_sort_block_merge_config_selectorImNS0_10empty_typeEEEZZNS1_27merge_sort_block_merge_implIS3_PmPS5_jNS1_19radix_merge_compareILb0ELb1EmNS0_19identity_decomposerEEEEE10hipError_tT0_T1_T2_jT3_P12ihipStream_tbPNSt15iterator_traitsISE_E10value_typeEPNSK_ISF_E10value_typeEPSG_NS1_7vsmem_tEENKUlT_SE_SF_SG_E_clIS8_S8_S9_S9_EESD_ST_SE_SF_SG_EUlST_E0_NS1_11comp_targetILNS1_3genE9ELNS1_11target_archE1100ELNS1_3gpuE3ELNS1_3repE0EEENS1_38merge_mergepath_config_static_selectorELNS0_4arch9wavefront6targetE0EEEvSF_.has_indirect_call, 0
	.section	.AMDGPU.csdata,"",@progbits
; Kernel info:
; codeLenInByte = 0
; TotalNumSgprs: 0
; NumVgprs: 0
; ScratchSize: 0
; MemoryBound: 0
; FloatMode: 240
; IeeeMode: 1
; LDSByteSize: 0 bytes/workgroup (compile time only)
; SGPRBlocks: 0
; VGPRBlocks: 0
; NumSGPRsForWavesPerEU: 1
; NumVGPRsForWavesPerEU: 1
; NamedBarCnt: 0
; Occupancy: 16
; WaveLimiterHint : 0
; COMPUTE_PGM_RSRC2:SCRATCH_EN: 0
; COMPUTE_PGM_RSRC2:USER_SGPR: 2
; COMPUTE_PGM_RSRC2:TRAP_HANDLER: 0
; COMPUTE_PGM_RSRC2:TGID_X_EN: 1
; COMPUTE_PGM_RSRC2:TGID_Y_EN: 0
; COMPUTE_PGM_RSRC2:TGID_Z_EN: 0
; COMPUTE_PGM_RSRC2:TIDIG_COMP_CNT: 0
	.section	.text._ZN7rocprim17ROCPRIM_400000_NS6detail17trampoline_kernelINS0_14default_configENS1_38merge_sort_block_merge_config_selectorImNS0_10empty_typeEEEZZNS1_27merge_sort_block_merge_implIS3_PmPS5_jNS1_19radix_merge_compareILb0ELb1EmNS0_19identity_decomposerEEEEE10hipError_tT0_T1_T2_jT3_P12ihipStream_tbPNSt15iterator_traitsISE_E10value_typeEPNSK_ISF_E10value_typeEPSG_NS1_7vsmem_tEENKUlT_SE_SF_SG_E_clIS8_S8_S9_S9_EESD_ST_SE_SF_SG_EUlST_E0_NS1_11comp_targetILNS1_3genE8ELNS1_11target_archE1030ELNS1_3gpuE2ELNS1_3repE0EEENS1_38merge_mergepath_config_static_selectorELNS0_4arch9wavefront6targetE0EEEvSF_,"axG",@progbits,_ZN7rocprim17ROCPRIM_400000_NS6detail17trampoline_kernelINS0_14default_configENS1_38merge_sort_block_merge_config_selectorImNS0_10empty_typeEEEZZNS1_27merge_sort_block_merge_implIS3_PmPS5_jNS1_19radix_merge_compareILb0ELb1EmNS0_19identity_decomposerEEEEE10hipError_tT0_T1_T2_jT3_P12ihipStream_tbPNSt15iterator_traitsISE_E10value_typeEPNSK_ISF_E10value_typeEPSG_NS1_7vsmem_tEENKUlT_SE_SF_SG_E_clIS8_S8_S9_S9_EESD_ST_SE_SF_SG_EUlST_E0_NS1_11comp_targetILNS1_3genE8ELNS1_11target_archE1030ELNS1_3gpuE2ELNS1_3repE0EEENS1_38merge_mergepath_config_static_selectorELNS0_4arch9wavefront6targetE0EEEvSF_,comdat
	.protected	_ZN7rocprim17ROCPRIM_400000_NS6detail17trampoline_kernelINS0_14default_configENS1_38merge_sort_block_merge_config_selectorImNS0_10empty_typeEEEZZNS1_27merge_sort_block_merge_implIS3_PmPS5_jNS1_19radix_merge_compareILb0ELb1EmNS0_19identity_decomposerEEEEE10hipError_tT0_T1_T2_jT3_P12ihipStream_tbPNSt15iterator_traitsISE_E10value_typeEPNSK_ISF_E10value_typeEPSG_NS1_7vsmem_tEENKUlT_SE_SF_SG_E_clIS8_S8_S9_S9_EESD_ST_SE_SF_SG_EUlST_E0_NS1_11comp_targetILNS1_3genE8ELNS1_11target_archE1030ELNS1_3gpuE2ELNS1_3repE0EEENS1_38merge_mergepath_config_static_selectorELNS0_4arch9wavefront6targetE0EEEvSF_ ; -- Begin function _ZN7rocprim17ROCPRIM_400000_NS6detail17trampoline_kernelINS0_14default_configENS1_38merge_sort_block_merge_config_selectorImNS0_10empty_typeEEEZZNS1_27merge_sort_block_merge_implIS3_PmPS5_jNS1_19radix_merge_compareILb0ELb1EmNS0_19identity_decomposerEEEEE10hipError_tT0_T1_T2_jT3_P12ihipStream_tbPNSt15iterator_traitsISE_E10value_typeEPNSK_ISF_E10value_typeEPSG_NS1_7vsmem_tEENKUlT_SE_SF_SG_E_clIS8_S8_S9_S9_EESD_ST_SE_SF_SG_EUlST_E0_NS1_11comp_targetILNS1_3genE8ELNS1_11target_archE1030ELNS1_3gpuE2ELNS1_3repE0EEENS1_38merge_mergepath_config_static_selectorELNS0_4arch9wavefront6targetE0EEEvSF_
	.globl	_ZN7rocprim17ROCPRIM_400000_NS6detail17trampoline_kernelINS0_14default_configENS1_38merge_sort_block_merge_config_selectorImNS0_10empty_typeEEEZZNS1_27merge_sort_block_merge_implIS3_PmPS5_jNS1_19radix_merge_compareILb0ELb1EmNS0_19identity_decomposerEEEEE10hipError_tT0_T1_T2_jT3_P12ihipStream_tbPNSt15iterator_traitsISE_E10value_typeEPNSK_ISF_E10value_typeEPSG_NS1_7vsmem_tEENKUlT_SE_SF_SG_E_clIS8_S8_S9_S9_EESD_ST_SE_SF_SG_EUlST_E0_NS1_11comp_targetILNS1_3genE8ELNS1_11target_archE1030ELNS1_3gpuE2ELNS1_3repE0EEENS1_38merge_mergepath_config_static_selectorELNS0_4arch9wavefront6targetE0EEEvSF_
	.p2align	8
	.type	_ZN7rocprim17ROCPRIM_400000_NS6detail17trampoline_kernelINS0_14default_configENS1_38merge_sort_block_merge_config_selectorImNS0_10empty_typeEEEZZNS1_27merge_sort_block_merge_implIS3_PmPS5_jNS1_19radix_merge_compareILb0ELb1EmNS0_19identity_decomposerEEEEE10hipError_tT0_T1_T2_jT3_P12ihipStream_tbPNSt15iterator_traitsISE_E10value_typeEPNSK_ISF_E10value_typeEPSG_NS1_7vsmem_tEENKUlT_SE_SF_SG_E_clIS8_S8_S9_S9_EESD_ST_SE_SF_SG_EUlST_E0_NS1_11comp_targetILNS1_3genE8ELNS1_11target_archE1030ELNS1_3gpuE2ELNS1_3repE0EEENS1_38merge_mergepath_config_static_selectorELNS0_4arch9wavefront6targetE0EEEvSF_,@function
_ZN7rocprim17ROCPRIM_400000_NS6detail17trampoline_kernelINS0_14default_configENS1_38merge_sort_block_merge_config_selectorImNS0_10empty_typeEEEZZNS1_27merge_sort_block_merge_implIS3_PmPS5_jNS1_19radix_merge_compareILb0ELb1EmNS0_19identity_decomposerEEEEE10hipError_tT0_T1_T2_jT3_P12ihipStream_tbPNSt15iterator_traitsISE_E10value_typeEPNSK_ISF_E10value_typeEPSG_NS1_7vsmem_tEENKUlT_SE_SF_SG_E_clIS8_S8_S9_S9_EESD_ST_SE_SF_SG_EUlST_E0_NS1_11comp_targetILNS1_3genE8ELNS1_11target_archE1030ELNS1_3gpuE2ELNS1_3repE0EEENS1_38merge_mergepath_config_static_selectorELNS0_4arch9wavefront6targetE0EEEvSF_: ; @_ZN7rocprim17ROCPRIM_400000_NS6detail17trampoline_kernelINS0_14default_configENS1_38merge_sort_block_merge_config_selectorImNS0_10empty_typeEEEZZNS1_27merge_sort_block_merge_implIS3_PmPS5_jNS1_19radix_merge_compareILb0ELb1EmNS0_19identity_decomposerEEEEE10hipError_tT0_T1_T2_jT3_P12ihipStream_tbPNSt15iterator_traitsISE_E10value_typeEPNSK_ISF_E10value_typeEPSG_NS1_7vsmem_tEENKUlT_SE_SF_SG_E_clIS8_S8_S9_S9_EESD_ST_SE_SF_SG_EUlST_E0_NS1_11comp_targetILNS1_3genE8ELNS1_11target_archE1030ELNS1_3gpuE2ELNS1_3repE0EEENS1_38merge_mergepath_config_static_selectorELNS0_4arch9wavefront6targetE0EEEvSF_
; %bb.0:
	.section	.rodata,"a",@progbits
	.p2align	6, 0x0
	.amdhsa_kernel _ZN7rocprim17ROCPRIM_400000_NS6detail17trampoline_kernelINS0_14default_configENS1_38merge_sort_block_merge_config_selectorImNS0_10empty_typeEEEZZNS1_27merge_sort_block_merge_implIS3_PmPS5_jNS1_19radix_merge_compareILb0ELb1EmNS0_19identity_decomposerEEEEE10hipError_tT0_T1_T2_jT3_P12ihipStream_tbPNSt15iterator_traitsISE_E10value_typeEPNSK_ISF_E10value_typeEPSG_NS1_7vsmem_tEENKUlT_SE_SF_SG_E_clIS8_S8_S9_S9_EESD_ST_SE_SF_SG_EUlST_E0_NS1_11comp_targetILNS1_3genE8ELNS1_11target_archE1030ELNS1_3gpuE2ELNS1_3repE0EEENS1_38merge_mergepath_config_static_selectorELNS0_4arch9wavefront6targetE0EEEvSF_
		.amdhsa_group_segment_fixed_size 0
		.amdhsa_private_segment_fixed_size 0
		.amdhsa_kernarg_size 72
		.amdhsa_user_sgpr_count 2
		.amdhsa_user_sgpr_dispatch_ptr 0
		.amdhsa_user_sgpr_queue_ptr 0
		.amdhsa_user_sgpr_kernarg_segment_ptr 1
		.amdhsa_user_sgpr_dispatch_id 0
		.amdhsa_user_sgpr_kernarg_preload_length 0
		.amdhsa_user_sgpr_kernarg_preload_offset 0
		.amdhsa_user_sgpr_private_segment_size 0
		.amdhsa_wavefront_size32 1
		.amdhsa_uses_dynamic_stack 0
		.amdhsa_enable_private_segment 0
		.amdhsa_system_sgpr_workgroup_id_x 1
		.amdhsa_system_sgpr_workgroup_id_y 0
		.amdhsa_system_sgpr_workgroup_id_z 0
		.amdhsa_system_sgpr_workgroup_info 0
		.amdhsa_system_vgpr_workitem_id 0
		.amdhsa_next_free_vgpr 1
		.amdhsa_next_free_sgpr 1
		.amdhsa_named_barrier_count 0
		.amdhsa_reserve_vcc 0
		.amdhsa_float_round_mode_32 0
		.amdhsa_float_round_mode_16_64 0
		.amdhsa_float_denorm_mode_32 3
		.amdhsa_float_denorm_mode_16_64 3
		.amdhsa_fp16_overflow 0
		.amdhsa_memory_ordered 1
		.amdhsa_forward_progress 1
		.amdhsa_inst_pref_size 0
		.amdhsa_round_robin_scheduling 0
		.amdhsa_exception_fp_ieee_invalid_op 0
		.amdhsa_exception_fp_denorm_src 0
		.amdhsa_exception_fp_ieee_div_zero 0
		.amdhsa_exception_fp_ieee_overflow 0
		.amdhsa_exception_fp_ieee_underflow 0
		.amdhsa_exception_fp_ieee_inexact 0
		.amdhsa_exception_int_div_zero 0
	.end_amdhsa_kernel
	.section	.text._ZN7rocprim17ROCPRIM_400000_NS6detail17trampoline_kernelINS0_14default_configENS1_38merge_sort_block_merge_config_selectorImNS0_10empty_typeEEEZZNS1_27merge_sort_block_merge_implIS3_PmPS5_jNS1_19radix_merge_compareILb0ELb1EmNS0_19identity_decomposerEEEEE10hipError_tT0_T1_T2_jT3_P12ihipStream_tbPNSt15iterator_traitsISE_E10value_typeEPNSK_ISF_E10value_typeEPSG_NS1_7vsmem_tEENKUlT_SE_SF_SG_E_clIS8_S8_S9_S9_EESD_ST_SE_SF_SG_EUlST_E0_NS1_11comp_targetILNS1_3genE8ELNS1_11target_archE1030ELNS1_3gpuE2ELNS1_3repE0EEENS1_38merge_mergepath_config_static_selectorELNS0_4arch9wavefront6targetE0EEEvSF_,"axG",@progbits,_ZN7rocprim17ROCPRIM_400000_NS6detail17trampoline_kernelINS0_14default_configENS1_38merge_sort_block_merge_config_selectorImNS0_10empty_typeEEEZZNS1_27merge_sort_block_merge_implIS3_PmPS5_jNS1_19radix_merge_compareILb0ELb1EmNS0_19identity_decomposerEEEEE10hipError_tT0_T1_T2_jT3_P12ihipStream_tbPNSt15iterator_traitsISE_E10value_typeEPNSK_ISF_E10value_typeEPSG_NS1_7vsmem_tEENKUlT_SE_SF_SG_E_clIS8_S8_S9_S9_EESD_ST_SE_SF_SG_EUlST_E0_NS1_11comp_targetILNS1_3genE8ELNS1_11target_archE1030ELNS1_3gpuE2ELNS1_3repE0EEENS1_38merge_mergepath_config_static_selectorELNS0_4arch9wavefront6targetE0EEEvSF_,comdat
.Lfunc_end2964:
	.size	_ZN7rocprim17ROCPRIM_400000_NS6detail17trampoline_kernelINS0_14default_configENS1_38merge_sort_block_merge_config_selectorImNS0_10empty_typeEEEZZNS1_27merge_sort_block_merge_implIS3_PmPS5_jNS1_19radix_merge_compareILb0ELb1EmNS0_19identity_decomposerEEEEE10hipError_tT0_T1_T2_jT3_P12ihipStream_tbPNSt15iterator_traitsISE_E10value_typeEPNSK_ISF_E10value_typeEPSG_NS1_7vsmem_tEENKUlT_SE_SF_SG_E_clIS8_S8_S9_S9_EESD_ST_SE_SF_SG_EUlST_E0_NS1_11comp_targetILNS1_3genE8ELNS1_11target_archE1030ELNS1_3gpuE2ELNS1_3repE0EEENS1_38merge_mergepath_config_static_selectorELNS0_4arch9wavefront6targetE0EEEvSF_, .Lfunc_end2964-_ZN7rocprim17ROCPRIM_400000_NS6detail17trampoline_kernelINS0_14default_configENS1_38merge_sort_block_merge_config_selectorImNS0_10empty_typeEEEZZNS1_27merge_sort_block_merge_implIS3_PmPS5_jNS1_19radix_merge_compareILb0ELb1EmNS0_19identity_decomposerEEEEE10hipError_tT0_T1_T2_jT3_P12ihipStream_tbPNSt15iterator_traitsISE_E10value_typeEPNSK_ISF_E10value_typeEPSG_NS1_7vsmem_tEENKUlT_SE_SF_SG_E_clIS8_S8_S9_S9_EESD_ST_SE_SF_SG_EUlST_E0_NS1_11comp_targetILNS1_3genE8ELNS1_11target_archE1030ELNS1_3gpuE2ELNS1_3repE0EEENS1_38merge_mergepath_config_static_selectorELNS0_4arch9wavefront6targetE0EEEvSF_
                                        ; -- End function
	.set _ZN7rocprim17ROCPRIM_400000_NS6detail17trampoline_kernelINS0_14default_configENS1_38merge_sort_block_merge_config_selectorImNS0_10empty_typeEEEZZNS1_27merge_sort_block_merge_implIS3_PmPS5_jNS1_19radix_merge_compareILb0ELb1EmNS0_19identity_decomposerEEEEE10hipError_tT0_T1_T2_jT3_P12ihipStream_tbPNSt15iterator_traitsISE_E10value_typeEPNSK_ISF_E10value_typeEPSG_NS1_7vsmem_tEENKUlT_SE_SF_SG_E_clIS8_S8_S9_S9_EESD_ST_SE_SF_SG_EUlST_E0_NS1_11comp_targetILNS1_3genE8ELNS1_11target_archE1030ELNS1_3gpuE2ELNS1_3repE0EEENS1_38merge_mergepath_config_static_selectorELNS0_4arch9wavefront6targetE0EEEvSF_.num_vgpr, 0
	.set _ZN7rocprim17ROCPRIM_400000_NS6detail17trampoline_kernelINS0_14default_configENS1_38merge_sort_block_merge_config_selectorImNS0_10empty_typeEEEZZNS1_27merge_sort_block_merge_implIS3_PmPS5_jNS1_19radix_merge_compareILb0ELb1EmNS0_19identity_decomposerEEEEE10hipError_tT0_T1_T2_jT3_P12ihipStream_tbPNSt15iterator_traitsISE_E10value_typeEPNSK_ISF_E10value_typeEPSG_NS1_7vsmem_tEENKUlT_SE_SF_SG_E_clIS8_S8_S9_S9_EESD_ST_SE_SF_SG_EUlST_E0_NS1_11comp_targetILNS1_3genE8ELNS1_11target_archE1030ELNS1_3gpuE2ELNS1_3repE0EEENS1_38merge_mergepath_config_static_selectorELNS0_4arch9wavefront6targetE0EEEvSF_.num_agpr, 0
	.set _ZN7rocprim17ROCPRIM_400000_NS6detail17trampoline_kernelINS0_14default_configENS1_38merge_sort_block_merge_config_selectorImNS0_10empty_typeEEEZZNS1_27merge_sort_block_merge_implIS3_PmPS5_jNS1_19radix_merge_compareILb0ELb1EmNS0_19identity_decomposerEEEEE10hipError_tT0_T1_T2_jT3_P12ihipStream_tbPNSt15iterator_traitsISE_E10value_typeEPNSK_ISF_E10value_typeEPSG_NS1_7vsmem_tEENKUlT_SE_SF_SG_E_clIS8_S8_S9_S9_EESD_ST_SE_SF_SG_EUlST_E0_NS1_11comp_targetILNS1_3genE8ELNS1_11target_archE1030ELNS1_3gpuE2ELNS1_3repE0EEENS1_38merge_mergepath_config_static_selectorELNS0_4arch9wavefront6targetE0EEEvSF_.numbered_sgpr, 0
	.set _ZN7rocprim17ROCPRIM_400000_NS6detail17trampoline_kernelINS0_14default_configENS1_38merge_sort_block_merge_config_selectorImNS0_10empty_typeEEEZZNS1_27merge_sort_block_merge_implIS3_PmPS5_jNS1_19radix_merge_compareILb0ELb1EmNS0_19identity_decomposerEEEEE10hipError_tT0_T1_T2_jT3_P12ihipStream_tbPNSt15iterator_traitsISE_E10value_typeEPNSK_ISF_E10value_typeEPSG_NS1_7vsmem_tEENKUlT_SE_SF_SG_E_clIS8_S8_S9_S9_EESD_ST_SE_SF_SG_EUlST_E0_NS1_11comp_targetILNS1_3genE8ELNS1_11target_archE1030ELNS1_3gpuE2ELNS1_3repE0EEENS1_38merge_mergepath_config_static_selectorELNS0_4arch9wavefront6targetE0EEEvSF_.num_named_barrier, 0
	.set _ZN7rocprim17ROCPRIM_400000_NS6detail17trampoline_kernelINS0_14default_configENS1_38merge_sort_block_merge_config_selectorImNS0_10empty_typeEEEZZNS1_27merge_sort_block_merge_implIS3_PmPS5_jNS1_19radix_merge_compareILb0ELb1EmNS0_19identity_decomposerEEEEE10hipError_tT0_T1_T2_jT3_P12ihipStream_tbPNSt15iterator_traitsISE_E10value_typeEPNSK_ISF_E10value_typeEPSG_NS1_7vsmem_tEENKUlT_SE_SF_SG_E_clIS8_S8_S9_S9_EESD_ST_SE_SF_SG_EUlST_E0_NS1_11comp_targetILNS1_3genE8ELNS1_11target_archE1030ELNS1_3gpuE2ELNS1_3repE0EEENS1_38merge_mergepath_config_static_selectorELNS0_4arch9wavefront6targetE0EEEvSF_.private_seg_size, 0
	.set _ZN7rocprim17ROCPRIM_400000_NS6detail17trampoline_kernelINS0_14default_configENS1_38merge_sort_block_merge_config_selectorImNS0_10empty_typeEEEZZNS1_27merge_sort_block_merge_implIS3_PmPS5_jNS1_19radix_merge_compareILb0ELb1EmNS0_19identity_decomposerEEEEE10hipError_tT0_T1_T2_jT3_P12ihipStream_tbPNSt15iterator_traitsISE_E10value_typeEPNSK_ISF_E10value_typeEPSG_NS1_7vsmem_tEENKUlT_SE_SF_SG_E_clIS8_S8_S9_S9_EESD_ST_SE_SF_SG_EUlST_E0_NS1_11comp_targetILNS1_3genE8ELNS1_11target_archE1030ELNS1_3gpuE2ELNS1_3repE0EEENS1_38merge_mergepath_config_static_selectorELNS0_4arch9wavefront6targetE0EEEvSF_.uses_vcc, 0
	.set _ZN7rocprim17ROCPRIM_400000_NS6detail17trampoline_kernelINS0_14default_configENS1_38merge_sort_block_merge_config_selectorImNS0_10empty_typeEEEZZNS1_27merge_sort_block_merge_implIS3_PmPS5_jNS1_19radix_merge_compareILb0ELb1EmNS0_19identity_decomposerEEEEE10hipError_tT0_T1_T2_jT3_P12ihipStream_tbPNSt15iterator_traitsISE_E10value_typeEPNSK_ISF_E10value_typeEPSG_NS1_7vsmem_tEENKUlT_SE_SF_SG_E_clIS8_S8_S9_S9_EESD_ST_SE_SF_SG_EUlST_E0_NS1_11comp_targetILNS1_3genE8ELNS1_11target_archE1030ELNS1_3gpuE2ELNS1_3repE0EEENS1_38merge_mergepath_config_static_selectorELNS0_4arch9wavefront6targetE0EEEvSF_.uses_flat_scratch, 0
	.set _ZN7rocprim17ROCPRIM_400000_NS6detail17trampoline_kernelINS0_14default_configENS1_38merge_sort_block_merge_config_selectorImNS0_10empty_typeEEEZZNS1_27merge_sort_block_merge_implIS3_PmPS5_jNS1_19radix_merge_compareILb0ELb1EmNS0_19identity_decomposerEEEEE10hipError_tT0_T1_T2_jT3_P12ihipStream_tbPNSt15iterator_traitsISE_E10value_typeEPNSK_ISF_E10value_typeEPSG_NS1_7vsmem_tEENKUlT_SE_SF_SG_E_clIS8_S8_S9_S9_EESD_ST_SE_SF_SG_EUlST_E0_NS1_11comp_targetILNS1_3genE8ELNS1_11target_archE1030ELNS1_3gpuE2ELNS1_3repE0EEENS1_38merge_mergepath_config_static_selectorELNS0_4arch9wavefront6targetE0EEEvSF_.has_dyn_sized_stack, 0
	.set _ZN7rocprim17ROCPRIM_400000_NS6detail17trampoline_kernelINS0_14default_configENS1_38merge_sort_block_merge_config_selectorImNS0_10empty_typeEEEZZNS1_27merge_sort_block_merge_implIS3_PmPS5_jNS1_19radix_merge_compareILb0ELb1EmNS0_19identity_decomposerEEEEE10hipError_tT0_T1_T2_jT3_P12ihipStream_tbPNSt15iterator_traitsISE_E10value_typeEPNSK_ISF_E10value_typeEPSG_NS1_7vsmem_tEENKUlT_SE_SF_SG_E_clIS8_S8_S9_S9_EESD_ST_SE_SF_SG_EUlST_E0_NS1_11comp_targetILNS1_3genE8ELNS1_11target_archE1030ELNS1_3gpuE2ELNS1_3repE0EEENS1_38merge_mergepath_config_static_selectorELNS0_4arch9wavefront6targetE0EEEvSF_.has_recursion, 0
	.set _ZN7rocprim17ROCPRIM_400000_NS6detail17trampoline_kernelINS0_14default_configENS1_38merge_sort_block_merge_config_selectorImNS0_10empty_typeEEEZZNS1_27merge_sort_block_merge_implIS3_PmPS5_jNS1_19radix_merge_compareILb0ELb1EmNS0_19identity_decomposerEEEEE10hipError_tT0_T1_T2_jT3_P12ihipStream_tbPNSt15iterator_traitsISE_E10value_typeEPNSK_ISF_E10value_typeEPSG_NS1_7vsmem_tEENKUlT_SE_SF_SG_E_clIS8_S8_S9_S9_EESD_ST_SE_SF_SG_EUlST_E0_NS1_11comp_targetILNS1_3genE8ELNS1_11target_archE1030ELNS1_3gpuE2ELNS1_3repE0EEENS1_38merge_mergepath_config_static_selectorELNS0_4arch9wavefront6targetE0EEEvSF_.has_indirect_call, 0
	.section	.AMDGPU.csdata,"",@progbits
; Kernel info:
; codeLenInByte = 0
; TotalNumSgprs: 0
; NumVgprs: 0
; ScratchSize: 0
; MemoryBound: 0
; FloatMode: 240
; IeeeMode: 1
; LDSByteSize: 0 bytes/workgroup (compile time only)
; SGPRBlocks: 0
; VGPRBlocks: 0
; NumSGPRsForWavesPerEU: 1
; NumVGPRsForWavesPerEU: 1
; NamedBarCnt: 0
; Occupancy: 16
; WaveLimiterHint : 0
; COMPUTE_PGM_RSRC2:SCRATCH_EN: 0
; COMPUTE_PGM_RSRC2:USER_SGPR: 2
; COMPUTE_PGM_RSRC2:TRAP_HANDLER: 0
; COMPUTE_PGM_RSRC2:TGID_X_EN: 1
; COMPUTE_PGM_RSRC2:TGID_Y_EN: 0
; COMPUTE_PGM_RSRC2:TGID_Z_EN: 0
; COMPUTE_PGM_RSRC2:TIDIG_COMP_CNT: 0
	.section	.text._ZN7rocprim17ROCPRIM_400000_NS6detail17trampoline_kernelINS0_14default_configENS1_38merge_sort_block_merge_config_selectorImNS0_10empty_typeEEEZZNS1_27merge_sort_block_merge_implIS3_PmPS5_jNS1_19radix_merge_compareILb0ELb1EmNS0_19identity_decomposerEEEEE10hipError_tT0_T1_T2_jT3_P12ihipStream_tbPNSt15iterator_traitsISE_E10value_typeEPNSK_ISF_E10value_typeEPSG_NS1_7vsmem_tEENKUlT_SE_SF_SG_E_clIS8_S8_S9_S9_EESD_ST_SE_SF_SG_EUlST_E1_NS1_11comp_targetILNS1_3genE0ELNS1_11target_archE4294967295ELNS1_3gpuE0ELNS1_3repE0EEENS1_36merge_oddeven_config_static_selectorELNS0_4arch9wavefront6targetE0EEEvSF_,"axG",@progbits,_ZN7rocprim17ROCPRIM_400000_NS6detail17trampoline_kernelINS0_14default_configENS1_38merge_sort_block_merge_config_selectorImNS0_10empty_typeEEEZZNS1_27merge_sort_block_merge_implIS3_PmPS5_jNS1_19radix_merge_compareILb0ELb1EmNS0_19identity_decomposerEEEEE10hipError_tT0_T1_T2_jT3_P12ihipStream_tbPNSt15iterator_traitsISE_E10value_typeEPNSK_ISF_E10value_typeEPSG_NS1_7vsmem_tEENKUlT_SE_SF_SG_E_clIS8_S8_S9_S9_EESD_ST_SE_SF_SG_EUlST_E1_NS1_11comp_targetILNS1_3genE0ELNS1_11target_archE4294967295ELNS1_3gpuE0ELNS1_3repE0EEENS1_36merge_oddeven_config_static_selectorELNS0_4arch9wavefront6targetE0EEEvSF_,comdat
	.protected	_ZN7rocprim17ROCPRIM_400000_NS6detail17trampoline_kernelINS0_14default_configENS1_38merge_sort_block_merge_config_selectorImNS0_10empty_typeEEEZZNS1_27merge_sort_block_merge_implIS3_PmPS5_jNS1_19radix_merge_compareILb0ELb1EmNS0_19identity_decomposerEEEEE10hipError_tT0_T1_T2_jT3_P12ihipStream_tbPNSt15iterator_traitsISE_E10value_typeEPNSK_ISF_E10value_typeEPSG_NS1_7vsmem_tEENKUlT_SE_SF_SG_E_clIS8_S8_S9_S9_EESD_ST_SE_SF_SG_EUlST_E1_NS1_11comp_targetILNS1_3genE0ELNS1_11target_archE4294967295ELNS1_3gpuE0ELNS1_3repE0EEENS1_36merge_oddeven_config_static_selectorELNS0_4arch9wavefront6targetE0EEEvSF_ ; -- Begin function _ZN7rocprim17ROCPRIM_400000_NS6detail17trampoline_kernelINS0_14default_configENS1_38merge_sort_block_merge_config_selectorImNS0_10empty_typeEEEZZNS1_27merge_sort_block_merge_implIS3_PmPS5_jNS1_19radix_merge_compareILb0ELb1EmNS0_19identity_decomposerEEEEE10hipError_tT0_T1_T2_jT3_P12ihipStream_tbPNSt15iterator_traitsISE_E10value_typeEPNSK_ISF_E10value_typeEPSG_NS1_7vsmem_tEENKUlT_SE_SF_SG_E_clIS8_S8_S9_S9_EESD_ST_SE_SF_SG_EUlST_E1_NS1_11comp_targetILNS1_3genE0ELNS1_11target_archE4294967295ELNS1_3gpuE0ELNS1_3repE0EEENS1_36merge_oddeven_config_static_selectorELNS0_4arch9wavefront6targetE0EEEvSF_
	.globl	_ZN7rocprim17ROCPRIM_400000_NS6detail17trampoline_kernelINS0_14default_configENS1_38merge_sort_block_merge_config_selectorImNS0_10empty_typeEEEZZNS1_27merge_sort_block_merge_implIS3_PmPS5_jNS1_19radix_merge_compareILb0ELb1EmNS0_19identity_decomposerEEEEE10hipError_tT0_T1_T2_jT3_P12ihipStream_tbPNSt15iterator_traitsISE_E10value_typeEPNSK_ISF_E10value_typeEPSG_NS1_7vsmem_tEENKUlT_SE_SF_SG_E_clIS8_S8_S9_S9_EESD_ST_SE_SF_SG_EUlST_E1_NS1_11comp_targetILNS1_3genE0ELNS1_11target_archE4294967295ELNS1_3gpuE0ELNS1_3repE0EEENS1_36merge_oddeven_config_static_selectorELNS0_4arch9wavefront6targetE0EEEvSF_
	.p2align	8
	.type	_ZN7rocprim17ROCPRIM_400000_NS6detail17trampoline_kernelINS0_14default_configENS1_38merge_sort_block_merge_config_selectorImNS0_10empty_typeEEEZZNS1_27merge_sort_block_merge_implIS3_PmPS5_jNS1_19radix_merge_compareILb0ELb1EmNS0_19identity_decomposerEEEEE10hipError_tT0_T1_T2_jT3_P12ihipStream_tbPNSt15iterator_traitsISE_E10value_typeEPNSK_ISF_E10value_typeEPSG_NS1_7vsmem_tEENKUlT_SE_SF_SG_E_clIS8_S8_S9_S9_EESD_ST_SE_SF_SG_EUlST_E1_NS1_11comp_targetILNS1_3genE0ELNS1_11target_archE4294967295ELNS1_3gpuE0ELNS1_3repE0EEENS1_36merge_oddeven_config_static_selectorELNS0_4arch9wavefront6targetE0EEEvSF_,@function
_ZN7rocprim17ROCPRIM_400000_NS6detail17trampoline_kernelINS0_14default_configENS1_38merge_sort_block_merge_config_selectorImNS0_10empty_typeEEEZZNS1_27merge_sort_block_merge_implIS3_PmPS5_jNS1_19radix_merge_compareILb0ELb1EmNS0_19identity_decomposerEEEEE10hipError_tT0_T1_T2_jT3_P12ihipStream_tbPNSt15iterator_traitsISE_E10value_typeEPNSK_ISF_E10value_typeEPSG_NS1_7vsmem_tEENKUlT_SE_SF_SG_E_clIS8_S8_S9_S9_EESD_ST_SE_SF_SG_EUlST_E1_NS1_11comp_targetILNS1_3genE0ELNS1_11target_archE4294967295ELNS1_3gpuE0ELNS1_3repE0EEENS1_36merge_oddeven_config_static_selectorELNS0_4arch9wavefront6targetE0EEEvSF_: ; @_ZN7rocprim17ROCPRIM_400000_NS6detail17trampoline_kernelINS0_14default_configENS1_38merge_sort_block_merge_config_selectorImNS0_10empty_typeEEEZZNS1_27merge_sort_block_merge_implIS3_PmPS5_jNS1_19radix_merge_compareILb0ELb1EmNS0_19identity_decomposerEEEEE10hipError_tT0_T1_T2_jT3_P12ihipStream_tbPNSt15iterator_traitsISE_E10value_typeEPNSK_ISF_E10value_typeEPSG_NS1_7vsmem_tEENKUlT_SE_SF_SG_E_clIS8_S8_S9_S9_EESD_ST_SE_SF_SG_EUlST_E1_NS1_11comp_targetILNS1_3genE0ELNS1_11target_archE4294967295ELNS1_3gpuE0ELNS1_3repE0EEENS1_36merge_oddeven_config_static_selectorELNS0_4arch9wavefront6targetE0EEEvSF_
; %bb.0:
	s_load_b32 s11, s[0:1], 0x20
	s_bfe_u32 s2, ttmp6, 0x4000c
	s_and_b32 s3, ttmp6, 15
	s_add_co_i32 s2, s2, 1
	s_getreg_b32 s4, hwreg(HW_REG_IB_STS2, 6, 4)
	s_mul_i32 s2, ttmp9, s2
	s_mov_b32 s9, 0
	s_add_co_i32 s3, s3, s2
	s_cmp_eq_u32 s4, 0
	s_cselect_b32 s2, ttmp9, s3
	s_wait_kmcnt 0x0
	s_lshr_b32 s3, s11, 8
	s_delay_alu instid0(SALU_CYCLE_1) | instskip(SKIP_4) | instid1(SALU_CYCLE_1)
	s_cmp_lg_u32 s2, s3
	s_cselect_b32 s15, -1, 0
	s_cmp_eq_u32 s2, s3
	s_cselect_b32 s12, -1, 0
	s_lshl_b32 s8, s2, 8
	s_sub_co_i32 s3, s11, s8
	s_delay_alu instid0(SALU_CYCLE_1) | instskip(SKIP_1) | instid1(SALU_CYCLE_1)
	v_cmp_gt_u32_e64 s3, s3, v0
	s_or_b32 s4, s15, s3
	s_and_saveexec_b32 s5, s4
	s_cbranch_execz .LBB2965_20
; %bb.1:
	s_clause 0x1
	s_load_b128 s[4:7], s[0:1], 0x0
	s_load_b32 s13, s[0:1], 0x24
	s_lshl_b64 s[16:17], s[8:9], 3
	v_add_nc_u32_e32 v5, s8, v0
	s_wait_kmcnt 0x0
	s_add_nc_u64 s[16:17], s[4:5], s[16:17]
	s_lshr_b32 s10, s13, 8
	global_load_b64 v[2:3], v0, s[16:17] scale_offset
	s_sub_co_i32 s14, 0, s10
	s_wait_xcnt 0x0
	s_sub_co_i32 s16, 0, s13
	s_and_b32 s2, s2, s14
	s_delay_alu instid0(SALU_CYCLE_1) | instskip(SKIP_3) | instid1(SALU_CYCLE_1)
	s_and_b32 s10, s2, s10
	s_lshl_b32 s14, s2, 8
	s_cmp_eq_u32 s10, 0
	s_cselect_b32 s2, -1, 0
	s_and_b32 s10, s2, exec_lo
	s_cselect_b32 s10, s13, s16
	s_delay_alu instid0(SALU_CYCLE_1) | instskip(NEXT) | instid1(SALU_CYCLE_1)
	s_add_co_i32 s10, s10, s14
	s_cmp_gt_u32 s11, s10
	s_cbranch_scc1 .LBB2965_3
; %bb.2:
	v_cmp_gt_u32_e32 vcc_lo, s11, v5
	s_or_b32 s9, vcc_lo, s15
	s_delay_alu instid0(SALU_CYCLE_1)
	s_and_b32 s9, s9, exec_lo
	s_cbranch_execz .LBB2965_4
	s_branch .LBB2965_18
.LBB2965_3:
.LBB2965_4:
	s_load_b64 s[0:1], s[0:1], 0x28
	s_min_u32 s8, s10, s11
	s_and_b32 vcc_lo, exec_lo, s12
	s_add_co_i32 s15, s14, s8
	s_min_u32 s14, s14, s8
	v_subrev_nc_u32_e32 v0, s15, v5
	s_add_co_i32 s13, s8, s13
	s_delay_alu instid0(SALU_CYCLE_1)
	s_min_u32 s11, s13, s11
	s_wait_loadcnt 0x0
	s_wait_kmcnt 0x0
	v_dual_add_nc_u32 v4, s14, v0 :: v_dual_bitop2_b32 v1, s1, v3 bitop3:0x40
	v_and_b32_e32 v0, s0, v2
	s_cbranch_vccz .LBB2965_12
; %bb.5:
                                        ; implicit-def: $vgpr5
	s_and_saveexec_b32 s12, s3
	s_cbranch_execz .LBB2965_11
; %bb.6:
	v_mov_b32_e32 v5, s8
	s_cmp_ge_u32 s10, s11
	s_cbranch_scc1 .LBB2965_10
; %bb.7:
	v_dual_mov_b32 v6, s11 :: v_dual_mov_b32 v5, s8
	s_mov_b32 s3, 0
.LBB2965_8:                             ; =>This Inner Loop Header: Depth=1
	s_delay_alu instid0(VALU_DEP_1) | instskip(NEXT) | instid1(VALU_DEP_1)
	v_add_nc_u32_e32 v7, v5, v6
	v_lshrrev_b32_e32 v7, 1, v7
	global_load_b64 v[8:9], v7, s[4:5] scale_offset
	s_wait_loadcnt 0x0
	v_and_b32_e32 v9, s1, v9
	v_and_b32_e32 v8, s0, v8
	s_delay_alu instid0(VALU_DEP_1) | instskip(SKIP_4) | instid1(VALU_DEP_1)
	v_cmp_gt_u64_e32 vcc_lo, v[0:1], v[8:9]
	v_cndmask_b32_e64 v10, 0, 1, vcc_lo
	v_cmp_le_u64_e32 vcc_lo, v[8:9], v[0:1]
	v_add_nc_u32_e32 v9, 1, v7
	v_cndmask_b32_e64 v8, 0, 1, vcc_lo
	v_cndmask_b32_e64 v8, v8, v10, s2
	s_delay_alu instid0(VALU_DEP_1) | instskip(NEXT) | instid1(VALU_DEP_1)
	v_and_b32_e32 v8, 1, v8
	v_cmp_eq_u32_e32 vcc_lo, 1, v8
	v_dual_cndmask_b32 v6, v7, v6 :: v_dual_cndmask_b32 v5, v5, v9
	s_delay_alu instid0(VALU_DEP_1) | instskip(SKIP_1) | instid1(SALU_CYCLE_1)
	v_cmp_ge_u32_e32 vcc_lo, v5, v6
	s_or_b32 s3, vcc_lo, s3
	s_and_not1_b32 exec_lo, exec_lo, s3
	s_cbranch_execnz .LBB2965_8
; %bb.9:
	s_or_b32 exec_lo, exec_lo, s3
.LBB2965_10:
	s_delay_alu instid0(VALU_DEP_1)
	v_add_nc_u32_e32 v5, v5, v4
	s_or_b32 s9, s9, exec_lo
.LBB2965_11:
	s_or_b32 exec_lo, exec_lo, s12
	s_branch .LBB2965_18
.LBB2965_12:
                                        ; implicit-def: $vgpr5
	s_cbranch_execz .LBB2965_18
; %bb.13:
	v_mov_b32_e32 v5, s8
	s_cmp_ge_u32 s10, s11
	s_cbranch_scc1 .LBB2965_17
; %bb.14:
	v_dual_mov_b32 v6, s11 :: v_dual_mov_b32 v5, s8
	s_mov_b32 s3, 0
.LBB2965_15:                            ; =>This Inner Loop Header: Depth=1
	s_delay_alu instid0(VALU_DEP_1) | instskip(NEXT) | instid1(VALU_DEP_1)
	v_add_nc_u32_e32 v7, v5, v6
	v_lshrrev_b32_e32 v7, 1, v7
	global_load_b64 v[8:9], v7, s[4:5] scale_offset
	s_wait_loadcnt 0x0
	v_and_b32_e32 v9, s1, v9
	v_and_b32_e32 v8, s0, v8
	s_delay_alu instid0(VALU_DEP_1) | instskip(SKIP_4) | instid1(VALU_DEP_1)
	v_cmp_gt_u64_e32 vcc_lo, v[0:1], v[8:9]
	v_cndmask_b32_e64 v10, 0, 1, vcc_lo
	v_cmp_le_u64_e32 vcc_lo, v[8:9], v[0:1]
	v_add_nc_u32_e32 v9, 1, v7
	v_cndmask_b32_e64 v8, 0, 1, vcc_lo
	v_cndmask_b32_e64 v8, v8, v10, s2
	s_delay_alu instid0(VALU_DEP_1) | instskip(NEXT) | instid1(VALU_DEP_1)
	v_and_b32_e32 v8, 1, v8
	v_cmp_eq_u32_e32 vcc_lo, 1, v8
	v_dual_cndmask_b32 v6, v7, v6 :: v_dual_cndmask_b32 v5, v5, v9
	s_delay_alu instid0(VALU_DEP_1) | instskip(SKIP_1) | instid1(SALU_CYCLE_1)
	v_cmp_ge_u32_e32 vcc_lo, v5, v6
	s_or_b32 s3, vcc_lo, s3
	s_and_not1_b32 exec_lo, exec_lo, s3
	s_cbranch_execnz .LBB2965_15
; %bb.16:
	s_or_b32 exec_lo, exec_lo, s3
.LBB2965_17:
	s_delay_alu instid0(VALU_DEP_1)
	v_add_nc_u32_e32 v5, v5, v4
	s_mov_b32 s9, -1
.LBB2965_18:
	s_delay_alu instid0(SALU_CYCLE_1)
	s_and_b32 exec_lo, exec_lo, s9
	s_cbranch_execz .LBB2965_20
; %bb.19:
	s_wait_loadcnt 0x0
	global_store_b64 v5, v[2:3], s[6:7] scale_offset
.LBB2965_20:
	s_endpgm
	.section	.rodata,"a",@progbits
	.p2align	6, 0x0
	.amdhsa_kernel _ZN7rocprim17ROCPRIM_400000_NS6detail17trampoline_kernelINS0_14default_configENS1_38merge_sort_block_merge_config_selectorImNS0_10empty_typeEEEZZNS1_27merge_sort_block_merge_implIS3_PmPS5_jNS1_19radix_merge_compareILb0ELb1EmNS0_19identity_decomposerEEEEE10hipError_tT0_T1_T2_jT3_P12ihipStream_tbPNSt15iterator_traitsISE_E10value_typeEPNSK_ISF_E10value_typeEPSG_NS1_7vsmem_tEENKUlT_SE_SF_SG_E_clIS8_S8_S9_S9_EESD_ST_SE_SF_SG_EUlST_E1_NS1_11comp_targetILNS1_3genE0ELNS1_11target_archE4294967295ELNS1_3gpuE0ELNS1_3repE0EEENS1_36merge_oddeven_config_static_selectorELNS0_4arch9wavefront6targetE0EEEvSF_
		.amdhsa_group_segment_fixed_size 0
		.amdhsa_private_segment_fixed_size 0
		.amdhsa_kernarg_size 48
		.amdhsa_user_sgpr_count 2
		.amdhsa_user_sgpr_dispatch_ptr 0
		.amdhsa_user_sgpr_queue_ptr 0
		.amdhsa_user_sgpr_kernarg_segment_ptr 1
		.amdhsa_user_sgpr_dispatch_id 0
		.amdhsa_user_sgpr_kernarg_preload_length 0
		.amdhsa_user_sgpr_kernarg_preload_offset 0
		.amdhsa_user_sgpr_private_segment_size 0
		.amdhsa_wavefront_size32 1
		.amdhsa_uses_dynamic_stack 0
		.amdhsa_enable_private_segment 0
		.amdhsa_system_sgpr_workgroup_id_x 1
		.amdhsa_system_sgpr_workgroup_id_y 0
		.amdhsa_system_sgpr_workgroup_id_z 0
		.amdhsa_system_sgpr_workgroup_info 0
		.amdhsa_system_vgpr_workitem_id 0
		.amdhsa_next_free_vgpr 11
		.amdhsa_next_free_sgpr 18
		.amdhsa_named_barrier_count 0
		.amdhsa_reserve_vcc 1
		.amdhsa_float_round_mode_32 0
		.amdhsa_float_round_mode_16_64 0
		.amdhsa_float_denorm_mode_32 3
		.amdhsa_float_denorm_mode_16_64 3
		.amdhsa_fp16_overflow 0
		.amdhsa_memory_ordered 1
		.amdhsa_forward_progress 1
		.amdhsa_inst_pref_size 6
		.amdhsa_round_robin_scheduling 0
		.amdhsa_exception_fp_ieee_invalid_op 0
		.amdhsa_exception_fp_denorm_src 0
		.amdhsa_exception_fp_ieee_div_zero 0
		.amdhsa_exception_fp_ieee_overflow 0
		.amdhsa_exception_fp_ieee_underflow 0
		.amdhsa_exception_fp_ieee_inexact 0
		.amdhsa_exception_int_div_zero 0
	.end_amdhsa_kernel
	.section	.text._ZN7rocprim17ROCPRIM_400000_NS6detail17trampoline_kernelINS0_14default_configENS1_38merge_sort_block_merge_config_selectorImNS0_10empty_typeEEEZZNS1_27merge_sort_block_merge_implIS3_PmPS5_jNS1_19radix_merge_compareILb0ELb1EmNS0_19identity_decomposerEEEEE10hipError_tT0_T1_T2_jT3_P12ihipStream_tbPNSt15iterator_traitsISE_E10value_typeEPNSK_ISF_E10value_typeEPSG_NS1_7vsmem_tEENKUlT_SE_SF_SG_E_clIS8_S8_S9_S9_EESD_ST_SE_SF_SG_EUlST_E1_NS1_11comp_targetILNS1_3genE0ELNS1_11target_archE4294967295ELNS1_3gpuE0ELNS1_3repE0EEENS1_36merge_oddeven_config_static_selectorELNS0_4arch9wavefront6targetE0EEEvSF_,"axG",@progbits,_ZN7rocprim17ROCPRIM_400000_NS6detail17trampoline_kernelINS0_14default_configENS1_38merge_sort_block_merge_config_selectorImNS0_10empty_typeEEEZZNS1_27merge_sort_block_merge_implIS3_PmPS5_jNS1_19radix_merge_compareILb0ELb1EmNS0_19identity_decomposerEEEEE10hipError_tT0_T1_T2_jT3_P12ihipStream_tbPNSt15iterator_traitsISE_E10value_typeEPNSK_ISF_E10value_typeEPSG_NS1_7vsmem_tEENKUlT_SE_SF_SG_E_clIS8_S8_S9_S9_EESD_ST_SE_SF_SG_EUlST_E1_NS1_11comp_targetILNS1_3genE0ELNS1_11target_archE4294967295ELNS1_3gpuE0ELNS1_3repE0EEENS1_36merge_oddeven_config_static_selectorELNS0_4arch9wavefront6targetE0EEEvSF_,comdat
.Lfunc_end2965:
	.size	_ZN7rocprim17ROCPRIM_400000_NS6detail17trampoline_kernelINS0_14default_configENS1_38merge_sort_block_merge_config_selectorImNS0_10empty_typeEEEZZNS1_27merge_sort_block_merge_implIS3_PmPS5_jNS1_19radix_merge_compareILb0ELb1EmNS0_19identity_decomposerEEEEE10hipError_tT0_T1_T2_jT3_P12ihipStream_tbPNSt15iterator_traitsISE_E10value_typeEPNSK_ISF_E10value_typeEPSG_NS1_7vsmem_tEENKUlT_SE_SF_SG_E_clIS8_S8_S9_S9_EESD_ST_SE_SF_SG_EUlST_E1_NS1_11comp_targetILNS1_3genE0ELNS1_11target_archE4294967295ELNS1_3gpuE0ELNS1_3repE0EEENS1_36merge_oddeven_config_static_selectorELNS0_4arch9wavefront6targetE0EEEvSF_, .Lfunc_end2965-_ZN7rocprim17ROCPRIM_400000_NS6detail17trampoline_kernelINS0_14default_configENS1_38merge_sort_block_merge_config_selectorImNS0_10empty_typeEEEZZNS1_27merge_sort_block_merge_implIS3_PmPS5_jNS1_19radix_merge_compareILb0ELb1EmNS0_19identity_decomposerEEEEE10hipError_tT0_T1_T2_jT3_P12ihipStream_tbPNSt15iterator_traitsISE_E10value_typeEPNSK_ISF_E10value_typeEPSG_NS1_7vsmem_tEENKUlT_SE_SF_SG_E_clIS8_S8_S9_S9_EESD_ST_SE_SF_SG_EUlST_E1_NS1_11comp_targetILNS1_3genE0ELNS1_11target_archE4294967295ELNS1_3gpuE0ELNS1_3repE0EEENS1_36merge_oddeven_config_static_selectorELNS0_4arch9wavefront6targetE0EEEvSF_
                                        ; -- End function
	.set _ZN7rocprim17ROCPRIM_400000_NS6detail17trampoline_kernelINS0_14default_configENS1_38merge_sort_block_merge_config_selectorImNS0_10empty_typeEEEZZNS1_27merge_sort_block_merge_implIS3_PmPS5_jNS1_19radix_merge_compareILb0ELb1EmNS0_19identity_decomposerEEEEE10hipError_tT0_T1_T2_jT3_P12ihipStream_tbPNSt15iterator_traitsISE_E10value_typeEPNSK_ISF_E10value_typeEPSG_NS1_7vsmem_tEENKUlT_SE_SF_SG_E_clIS8_S8_S9_S9_EESD_ST_SE_SF_SG_EUlST_E1_NS1_11comp_targetILNS1_3genE0ELNS1_11target_archE4294967295ELNS1_3gpuE0ELNS1_3repE0EEENS1_36merge_oddeven_config_static_selectorELNS0_4arch9wavefront6targetE0EEEvSF_.num_vgpr, 11
	.set _ZN7rocprim17ROCPRIM_400000_NS6detail17trampoline_kernelINS0_14default_configENS1_38merge_sort_block_merge_config_selectorImNS0_10empty_typeEEEZZNS1_27merge_sort_block_merge_implIS3_PmPS5_jNS1_19radix_merge_compareILb0ELb1EmNS0_19identity_decomposerEEEEE10hipError_tT0_T1_T2_jT3_P12ihipStream_tbPNSt15iterator_traitsISE_E10value_typeEPNSK_ISF_E10value_typeEPSG_NS1_7vsmem_tEENKUlT_SE_SF_SG_E_clIS8_S8_S9_S9_EESD_ST_SE_SF_SG_EUlST_E1_NS1_11comp_targetILNS1_3genE0ELNS1_11target_archE4294967295ELNS1_3gpuE0ELNS1_3repE0EEENS1_36merge_oddeven_config_static_selectorELNS0_4arch9wavefront6targetE0EEEvSF_.num_agpr, 0
	.set _ZN7rocprim17ROCPRIM_400000_NS6detail17trampoline_kernelINS0_14default_configENS1_38merge_sort_block_merge_config_selectorImNS0_10empty_typeEEEZZNS1_27merge_sort_block_merge_implIS3_PmPS5_jNS1_19radix_merge_compareILb0ELb1EmNS0_19identity_decomposerEEEEE10hipError_tT0_T1_T2_jT3_P12ihipStream_tbPNSt15iterator_traitsISE_E10value_typeEPNSK_ISF_E10value_typeEPSG_NS1_7vsmem_tEENKUlT_SE_SF_SG_E_clIS8_S8_S9_S9_EESD_ST_SE_SF_SG_EUlST_E1_NS1_11comp_targetILNS1_3genE0ELNS1_11target_archE4294967295ELNS1_3gpuE0ELNS1_3repE0EEENS1_36merge_oddeven_config_static_selectorELNS0_4arch9wavefront6targetE0EEEvSF_.numbered_sgpr, 18
	.set _ZN7rocprim17ROCPRIM_400000_NS6detail17trampoline_kernelINS0_14default_configENS1_38merge_sort_block_merge_config_selectorImNS0_10empty_typeEEEZZNS1_27merge_sort_block_merge_implIS3_PmPS5_jNS1_19radix_merge_compareILb0ELb1EmNS0_19identity_decomposerEEEEE10hipError_tT0_T1_T2_jT3_P12ihipStream_tbPNSt15iterator_traitsISE_E10value_typeEPNSK_ISF_E10value_typeEPSG_NS1_7vsmem_tEENKUlT_SE_SF_SG_E_clIS8_S8_S9_S9_EESD_ST_SE_SF_SG_EUlST_E1_NS1_11comp_targetILNS1_3genE0ELNS1_11target_archE4294967295ELNS1_3gpuE0ELNS1_3repE0EEENS1_36merge_oddeven_config_static_selectorELNS0_4arch9wavefront6targetE0EEEvSF_.num_named_barrier, 0
	.set _ZN7rocprim17ROCPRIM_400000_NS6detail17trampoline_kernelINS0_14default_configENS1_38merge_sort_block_merge_config_selectorImNS0_10empty_typeEEEZZNS1_27merge_sort_block_merge_implIS3_PmPS5_jNS1_19radix_merge_compareILb0ELb1EmNS0_19identity_decomposerEEEEE10hipError_tT0_T1_T2_jT3_P12ihipStream_tbPNSt15iterator_traitsISE_E10value_typeEPNSK_ISF_E10value_typeEPSG_NS1_7vsmem_tEENKUlT_SE_SF_SG_E_clIS8_S8_S9_S9_EESD_ST_SE_SF_SG_EUlST_E1_NS1_11comp_targetILNS1_3genE0ELNS1_11target_archE4294967295ELNS1_3gpuE0ELNS1_3repE0EEENS1_36merge_oddeven_config_static_selectorELNS0_4arch9wavefront6targetE0EEEvSF_.private_seg_size, 0
	.set _ZN7rocprim17ROCPRIM_400000_NS6detail17trampoline_kernelINS0_14default_configENS1_38merge_sort_block_merge_config_selectorImNS0_10empty_typeEEEZZNS1_27merge_sort_block_merge_implIS3_PmPS5_jNS1_19radix_merge_compareILb0ELb1EmNS0_19identity_decomposerEEEEE10hipError_tT0_T1_T2_jT3_P12ihipStream_tbPNSt15iterator_traitsISE_E10value_typeEPNSK_ISF_E10value_typeEPSG_NS1_7vsmem_tEENKUlT_SE_SF_SG_E_clIS8_S8_S9_S9_EESD_ST_SE_SF_SG_EUlST_E1_NS1_11comp_targetILNS1_3genE0ELNS1_11target_archE4294967295ELNS1_3gpuE0ELNS1_3repE0EEENS1_36merge_oddeven_config_static_selectorELNS0_4arch9wavefront6targetE0EEEvSF_.uses_vcc, 1
	.set _ZN7rocprim17ROCPRIM_400000_NS6detail17trampoline_kernelINS0_14default_configENS1_38merge_sort_block_merge_config_selectorImNS0_10empty_typeEEEZZNS1_27merge_sort_block_merge_implIS3_PmPS5_jNS1_19radix_merge_compareILb0ELb1EmNS0_19identity_decomposerEEEEE10hipError_tT0_T1_T2_jT3_P12ihipStream_tbPNSt15iterator_traitsISE_E10value_typeEPNSK_ISF_E10value_typeEPSG_NS1_7vsmem_tEENKUlT_SE_SF_SG_E_clIS8_S8_S9_S9_EESD_ST_SE_SF_SG_EUlST_E1_NS1_11comp_targetILNS1_3genE0ELNS1_11target_archE4294967295ELNS1_3gpuE0ELNS1_3repE0EEENS1_36merge_oddeven_config_static_selectorELNS0_4arch9wavefront6targetE0EEEvSF_.uses_flat_scratch, 0
	.set _ZN7rocprim17ROCPRIM_400000_NS6detail17trampoline_kernelINS0_14default_configENS1_38merge_sort_block_merge_config_selectorImNS0_10empty_typeEEEZZNS1_27merge_sort_block_merge_implIS3_PmPS5_jNS1_19radix_merge_compareILb0ELb1EmNS0_19identity_decomposerEEEEE10hipError_tT0_T1_T2_jT3_P12ihipStream_tbPNSt15iterator_traitsISE_E10value_typeEPNSK_ISF_E10value_typeEPSG_NS1_7vsmem_tEENKUlT_SE_SF_SG_E_clIS8_S8_S9_S9_EESD_ST_SE_SF_SG_EUlST_E1_NS1_11comp_targetILNS1_3genE0ELNS1_11target_archE4294967295ELNS1_3gpuE0ELNS1_3repE0EEENS1_36merge_oddeven_config_static_selectorELNS0_4arch9wavefront6targetE0EEEvSF_.has_dyn_sized_stack, 0
	.set _ZN7rocprim17ROCPRIM_400000_NS6detail17trampoline_kernelINS0_14default_configENS1_38merge_sort_block_merge_config_selectorImNS0_10empty_typeEEEZZNS1_27merge_sort_block_merge_implIS3_PmPS5_jNS1_19radix_merge_compareILb0ELb1EmNS0_19identity_decomposerEEEEE10hipError_tT0_T1_T2_jT3_P12ihipStream_tbPNSt15iterator_traitsISE_E10value_typeEPNSK_ISF_E10value_typeEPSG_NS1_7vsmem_tEENKUlT_SE_SF_SG_E_clIS8_S8_S9_S9_EESD_ST_SE_SF_SG_EUlST_E1_NS1_11comp_targetILNS1_3genE0ELNS1_11target_archE4294967295ELNS1_3gpuE0ELNS1_3repE0EEENS1_36merge_oddeven_config_static_selectorELNS0_4arch9wavefront6targetE0EEEvSF_.has_recursion, 0
	.set _ZN7rocprim17ROCPRIM_400000_NS6detail17trampoline_kernelINS0_14default_configENS1_38merge_sort_block_merge_config_selectorImNS0_10empty_typeEEEZZNS1_27merge_sort_block_merge_implIS3_PmPS5_jNS1_19radix_merge_compareILb0ELb1EmNS0_19identity_decomposerEEEEE10hipError_tT0_T1_T2_jT3_P12ihipStream_tbPNSt15iterator_traitsISE_E10value_typeEPNSK_ISF_E10value_typeEPSG_NS1_7vsmem_tEENKUlT_SE_SF_SG_E_clIS8_S8_S9_S9_EESD_ST_SE_SF_SG_EUlST_E1_NS1_11comp_targetILNS1_3genE0ELNS1_11target_archE4294967295ELNS1_3gpuE0ELNS1_3repE0EEENS1_36merge_oddeven_config_static_selectorELNS0_4arch9wavefront6targetE0EEEvSF_.has_indirect_call, 0
	.section	.AMDGPU.csdata,"",@progbits
; Kernel info:
; codeLenInByte = 676
; TotalNumSgprs: 20
; NumVgprs: 11
; ScratchSize: 0
; MemoryBound: 0
; FloatMode: 240
; IeeeMode: 1
; LDSByteSize: 0 bytes/workgroup (compile time only)
; SGPRBlocks: 0
; VGPRBlocks: 0
; NumSGPRsForWavesPerEU: 20
; NumVGPRsForWavesPerEU: 11
; NamedBarCnt: 0
; Occupancy: 16
; WaveLimiterHint : 0
; COMPUTE_PGM_RSRC2:SCRATCH_EN: 0
; COMPUTE_PGM_RSRC2:USER_SGPR: 2
; COMPUTE_PGM_RSRC2:TRAP_HANDLER: 0
; COMPUTE_PGM_RSRC2:TGID_X_EN: 1
; COMPUTE_PGM_RSRC2:TGID_Y_EN: 0
; COMPUTE_PGM_RSRC2:TGID_Z_EN: 0
; COMPUTE_PGM_RSRC2:TIDIG_COMP_CNT: 0
	.section	.text._ZN7rocprim17ROCPRIM_400000_NS6detail17trampoline_kernelINS0_14default_configENS1_38merge_sort_block_merge_config_selectorImNS0_10empty_typeEEEZZNS1_27merge_sort_block_merge_implIS3_PmPS5_jNS1_19radix_merge_compareILb0ELb1EmNS0_19identity_decomposerEEEEE10hipError_tT0_T1_T2_jT3_P12ihipStream_tbPNSt15iterator_traitsISE_E10value_typeEPNSK_ISF_E10value_typeEPSG_NS1_7vsmem_tEENKUlT_SE_SF_SG_E_clIS8_S8_S9_S9_EESD_ST_SE_SF_SG_EUlST_E1_NS1_11comp_targetILNS1_3genE10ELNS1_11target_archE1201ELNS1_3gpuE5ELNS1_3repE0EEENS1_36merge_oddeven_config_static_selectorELNS0_4arch9wavefront6targetE0EEEvSF_,"axG",@progbits,_ZN7rocprim17ROCPRIM_400000_NS6detail17trampoline_kernelINS0_14default_configENS1_38merge_sort_block_merge_config_selectorImNS0_10empty_typeEEEZZNS1_27merge_sort_block_merge_implIS3_PmPS5_jNS1_19radix_merge_compareILb0ELb1EmNS0_19identity_decomposerEEEEE10hipError_tT0_T1_T2_jT3_P12ihipStream_tbPNSt15iterator_traitsISE_E10value_typeEPNSK_ISF_E10value_typeEPSG_NS1_7vsmem_tEENKUlT_SE_SF_SG_E_clIS8_S8_S9_S9_EESD_ST_SE_SF_SG_EUlST_E1_NS1_11comp_targetILNS1_3genE10ELNS1_11target_archE1201ELNS1_3gpuE5ELNS1_3repE0EEENS1_36merge_oddeven_config_static_selectorELNS0_4arch9wavefront6targetE0EEEvSF_,comdat
	.protected	_ZN7rocprim17ROCPRIM_400000_NS6detail17trampoline_kernelINS0_14default_configENS1_38merge_sort_block_merge_config_selectorImNS0_10empty_typeEEEZZNS1_27merge_sort_block_merge_implIS3_PmPS5_jNS1_19radix_merge_compareILb0ELb1EmNS0_19identity_decomposerEEEEE10hipError_tT0_T1_T2_jT3_P12ihipStream_tbPNSt15iterator_traitsISE_E10value_typeEPNSK_ISF_E10value_typeEPSG_NS1_7vsmem_tEENKUlT_SE_SF_SG_E_clIS8_S8_S9_S9_EESD_ST_SE_SF_SG_EUlST_E1_NS1_11comp_targetILNS1_3genE10ELNS1_11target_archE1201ELNS1_3gpuE5ELNS1_3repE0EEENS1_36merge_oddeven_config_static_selectorELNS0_4arch9wavefront6targetE0EEEvSF_ ; -- Begin function _ZN7rocprim17ROCPRIM_400000_NS6detail17trampoline_kernelINS0_14default_configENS1_38merge_sort_block_merge_config_selectorImNS0_10empty_typeEEEZZNS1_27merge_sort_block_merge_implIS3_PmPS5_jNS1_19radix_merge_compareILb0ELb1EmNS0_19identity_decomposerEEEEE10hipError_tT0_T1_T2_jT3_P12ihipStream_tbPNSt15iterator_traitsISE_E10value_typeEPNSK_ISF_E10value_typeEPSG_NS1_7vsmem_tEENKUlT_SE_SF_SG_E_clIS8_S8_S9_S9_EESD_ST_SE_SF_SG_EUlST_E1_NS1_11comp_targetILNS1_3genE10ELNS1_11target_archE1201ELNS1_3gpuE5ELNS1_3repE0EEENS1_36merge_oddeven_config_static_selectorELNS0_4arch9wavefront6targetE0EEEvSF_
	.globl	_ZN7rocprim17ROCPRIM_400000_NS6detail17trampoline_kernelINS0_14default_configENS1_38merge_sort_block_merge_config_selectorImNS0_10empty_typeEEEZZNS1_27merge_sort_block_merge_implIS3_PmPS5_jNS1_19radix_merge_compareILb0ELb1EmNS0_19identity_decomposerEEEEE10hipError_tT0_T1_T2_jT3_P12ihipStream_tbPNSt15iterator_traitsISE_E10value_typeEPNSK_ISF_E10value_typeEPSG_NS1_7vsmem_tEENKUlT_SE_SF_SG_E_clIS8_S8_S9_S9_EESD_ST_SE_SF_SG_EUlST_E1_NS1_11comp_targetILNS1_3genE10ELNS1_11target_archE1201ELNS1_3gpuE5ELNS1_3repE0EEENS1_36merge_oddeven_config_static_selectorELNS0_4arch9wavefront6targetE0EEEvSF_
	.p2align	8
	.type	_ZN7rocprim17ROCPRIM_400000_NS6detail17trampoline_kernelINS0_14default_configENS1_38merge_sort_block_merge_config_selectorImNS0_10empty_typeEEEZZNS1_27merge_sort_block_merge_implIS3_PmPS5_jNS1_19radix_merge_compareILb0ELb1EmNS0_19identity_decomposerEEEEE10hipError_tT0_T1_T2_jT3_P12ihipStream_tbPNSt15iterator_traitsISE_E10value_typeEPNSK_ISF_E10value_typeEPSG_NS1_7vsmem_tEENKUlT_SE_SF_SG_E_clIS8_S8_S9_S9_EESD_ST_SE_SF_SG_EUlST_E1_NS1_11comp_targetILNS1_3genE10ELNS1_11target_archE1201ELNS1_3gpuE5ELNS1_3repE0EEENS1_36merge_oddeven_config_static_selectorELNS0_4arch9wavefront6targetE0EEEvSF_,@function
_ZN7rocprim17ROCPRIM_400000_NS6detail17trampoline_kernelINS0_14default_configENS1_38merge_sort_block_merge_config_selectorImNS0_10empty_typeEEEZZNS1_27merge_sort_block_merge_implIS3_PmPS5_jNS1_19radix_merge_compareILb0ELb1EmNS0_19identity_decomposerEEEEE10hipError_tT0_T1_T2_jT3_P12ihipStream_tbPNSt15iterator_traitsISE_E10value_typeEPNSK_ISF_E10value_typeEPSG_NS1_7vsmem_tEENKUlT_SE_SF_SG_E_clIS8_S8_S9_S9_EESD_ST_SE_SF_SG_EUlST_E1_NS1_11comp_targetILNS1_3genE10ELNS1_11target_archE1201ELNS1_3gpuE5ELNS1_3repE0EEENS1_36merge_oddeven_config_static_selectorELNS0_4arch9wavefront6targetE0EEEvSF_: ; @_ZN7rocprim17ROCPRIM_400000_NS6detail17trampoline_kernelINS0_14default_configENS1_38merge_sort_block_merge_config_selectorImNS0_10empty_typeEEEZZNS1_27merge_sort_block_merge_implIS3_PmPS5_jNS1_19radix_merge_compareILb0ELb1EmNS0_19identity_decomposerEEEEE10hipError_tT0_T1_T2_jT3_P12ihipStream_tbPNSt15iterator_traitsISE_E10value_typeEPNSK_ISF_E10value_typeEPSG_NS1_7vsmem_tEENKUlT_SE_SF_SG_E_clIS8_S8_S9_S9_EESD_ST_SE_SF_SG_EUlST_E1_NS1_11comp_targetILNS1_3genE10ELNS1_11target_archE1201ELNS1_3gpuE5ELNS1_3repE0EEENS1_36merge_oddeven_config_static_selectorELNS0_4arch9wavefront6targetE0EEEvSF_
; %bb.0:
	.section	.rodata,"a",@progbits
	.p2align	6, 0x0
	.amdhsa_kernel _ZN7rocprim17ROCPRIM_400000_NS6detail17trampoline_kernelINS0_14default_configENS1_38merge_sort_block_merge_config_selectorImNS0_10empty_typeEEEZZNS1_27merge_sort_block_merge_implIS3_PmPS5_jNS1_19radix_merge_compareILb0ELb1EmNS0_19identity_decomposerEEEEE10hipError_tT0_T1_T2_jT3_P12ihipStream_tbPNSt15iterator_traitsISE_E10value_typeEPNSK_ISF_E10value_typeEPSG_NS1_7vsmem_tEENKUlT_SE_SF_SG_E_clIS8_S8_S9_S9_EESD_ST_SE_SF_SG_EUlST_E1_NS1_11comp_targetILNS1_3genE10ELNS1_11target_archE1201ELNS1_3gpuE5ELNS1_3repE0EEENS1_36merge_oddeven_config_static_selectorELNS0_4arch9wavefront6targetE0EEEvSF_
		.amdhsa_group_segment_fixed_size 0
		.amdhsa_private_segment_fixed_size 0
		.amdhsa_kernarg_size 48
		.amdhsa_user_sgpr_count 2
		.amdhsa_user_sgpr_dispatch_ptr 0
		.amdhsa_user_sgpr_queue_ptr 0
		.amdhsa_user_sgpr_kernarg_segment_ptr 1
		.amdhsa_user_sgpr_dispatch_id 0
		.amdhsa_user_sgpr_kernarg_preload_length 0
		.amdhsa_user_sgpr_kernarg_preload_offset 0
		.amdhsa_user_sgpr_private_segment_size 0
		.amdhsa_wavefront_size32 1
		.amdhsa_uses_dynamic_stack 0
		.amdhsa_enable_private_segment 0
		.amdhsa_system_sgpr_workgroup_id_x 1
		.amdhsa_system_sgpr_workgroup_id_y 0
		.amdhsa_system_sgpr_workgroup_id_z 0
		.amdhsa_system_sgpr_workgroup_info 0
		.amdhsa_system_vgpr_workitem_id 0
		.amdhsa_next_free_vgpr 1
		.amdhsa_next_free_sgpr 1
		.amdhsa_named_barrier_count 0
		.amdhsa_reserve_vcc 0
		.amdhsa_float_round_mode_32 0
		.amdhsa_float_round_mode_16_64 0
		.amdhsa_float_denorm_mode_32 3
		.amdhsa_float_denorm_mode_16_64 3
		.amdhsa_fp16_overflow 0
		.amdhsa_memory_ordered 1
		.amdhsa_forward_progress 1
		.amdhsa_inst_pref_size 0
		.amdhsa_round_robin_scheduling 0
		.amdhsa_exception_fp_ieee_invalid_op 0
		.amdhsa_exception_fp_denorm_src 0
		.amdhsa_exception_fp_ieee_div_zero 0
		.amdhsa_exception_fp_ieee_overflow 0
		.amdhsa_exception_fp_ieee_underflow 0
		.amdhsa_exception_fp_ieee_inexact 0
		.amdhsa_exception_int_div_zero 0
	.end_amdhsa_kernel
	.section	.text._ZN7rocprim17ROCPRIM_400000_NS6detail17trampoline_kernelINS0_14default_configENS1_38merge_sort_block_merge_config_selectorImNS0_10empty_typeEEEZZNS1_27merge_sort_block_merge_implIS3_PmPS5_jNS1_19radix_merge_compareILb0ELb1EmNS0_19identity_decomposerEEEEE10hipError_tT0_T1_T2_jT3_P12ihipStream_tbPNSt15iterator_traitsISE_E10value_typeEPNSK_ISF_E10value_typeEPSG_NS1_7vsmem_tEENKUlT_SE_SF_SG_E_clIS8_S8_S9_S9_EESD_ST_SE_SF_SG_EUlST_E1_NS1_11comp_targetILNS1_3genE10ELNS1_11target_archE1201ELNS1_3gpuE5ELNS1_3repE0EEENS1_36merge_oddeven_config_static_selectorELNS0_4arch9wavefront6targetE0EEEvSF_,"axG",@progbits,_ZN7rocprim17ROCPRIM_400000_NS6detail17trampoline_kernelINS0_14default_configENS1_38merge_sort_block_merge_config_selectorImNS0_10empty_typeEEEZZNS1_27merge_sort_block_merge_implIS3_PmPS5_jNS1_19radix_merge_compareILb0ELb1EmNS0_19identity_decomposerEEEEE10hipError_tT0_T1_T2_jT3_P12ihipStream_tbPNSt15iterator_traitsISE_E10value_typeEPNSK_ISF_E10value_typeEPSG_NS1_7vsmem_tEENKUlT_SE_SF_SG_E_clIS8_S8_S9_S9_EESD_ST_SE_SF_SG_EUlST_E1_NS1_11comp_targetILNS1_3genE10ELNS1_11target_archE1201ELNS1_3gpuE5ELNS1_3repE0EEENS1_36merge_oddeven_config_static_selectorELNS0_4arch9wavefront6targetE0EEEvSF_,comdat
.Lfunc_end2966:
	.size	_ZN7rocprim17ROCPRIM_400000_NS6detail17trampoline_kernelINS0_14default_configENS1_38merge_sort_block_merge_config_selectorImNS0_10empty_typeEEEZZNS1_27merge_sort_block_merge_implIS3_PmPS5_jNS1_19radix_merge_compareILb0ELb1EmNS0_19identity_decomposerEEEEE10hipError_tT0_T1_T2_jT3_P12ihipStream_tbPNSt15iterator_traitsISE_E10value_typeEPNSK_ISF_E10value_typeEPSG_NS1_7vsmem_tEENKUlT_SE_SF_SG_E_clIS8_S8_S9_S9_EESD_ST_SE_SF_SG_EUlST_E1_NS1_11comp_targetILNS1_3genE10ELNS1_11target_archE1201ELNS1_3gpuE5ELNS1_3repE0EEENS1_36merge_oddeven_config_static_selectorELNS0_4arch9wavefront6targetE0EEEvSF_, .Lfunc_end2966-_ZN7rocprim17ROCPRIM_400000_NS6detail17trampoline_kernelINS0_14default_configENS1_38merge_sort_block_merge_config_selectorImNS0_10empty_typeEEEZZNS1_27merge_sort_block_merge_implIS3_PmPS5_jNS1_19radix_merge_compareILb0ELb1EmNS0_19identity_decomposerEEEEE10hipError_tT0_T1_T2_jT3_P12ihipStream_tbPNSt15iterator_traitsISE_E10value_typeEPNSK_ISF_E10value_typeEPSG_NS1_7vsmem_tEENKUlT_SE_SF_SG_E_clIS8_S8_S9_S9_EESD_ST_SE_SF_SG_EUlST_E1_NS1_11comp_targetILNS1_3genE10ELNS1_11target_archE1201ELNS1_3gpuE5ELNS1_3repE0EEENS1_36merge_oddeven_config_static_selectorELNS0_4arch9wavefront6targetE0EEEvSF_
                                        ; -- End function
	.set _ZN7rocprim17ROCPRIM_400000_NS6detail17trampoline_kernelINS0_14default_configENS1_38merge_sort_block_merge_config_selectorImNS0_10empty_typeEEEZZNS1_27merge_sort_block_merge_implIS3_PmPS5_jNS1_19radix_merge_compareILb0ELb1EmNS0_19identity_decomposerEEEEE10hipError_tT0_T1_T2_jT3_P12ihipStream_tbPNSt15iterator_traitsISE_E10value_typeEPNSK_ISF_E10value_typeEPSG_NS1_7vsmem_tEENKUlT_SE_SF_SG_E_clIS8_S8_S9_S9_EESD_ST_SE_SF_SG_EUlST_E1_NS1_11comp_targetILNS1_3genE10ELNS1_11target_archE1201ELNS1_3gpuE5ELNS1_3repE0EEENS1_36merge_oddeven_config_static_selectorELNS0_4arch9wavefront6targetE0EEEvSF_.num_vgpr, 0
	.set _ZN7rocprim17ROCPRIM_400000_NS6detail17trampoline_kernelINS0_14default_configENS1_38merge_sort_block_merge_config_selectorImNS0_10empty_typeEEEZZNS1_27merge_sort_block_merge_implIS3_PmPS5_jNS1_19radix_merge_compareILb0ELb1EmNS0_19identity_decomposerEEEEE10hipError_tT0_T1_T2_jT3_P12ihipStream_tbPNSt15iterator_traitsISE_E10value_typeEPNSK_ISF_E10value_typeEPSG_NS1_7vsmem_tEENKUlT_SE_SF_SG_E_clIS8_S8_S9_S9_EESD_ST_SE_SF_SG_EUlST_E1_NS1_11comp_targetILNS1_3genE10ELNS1_11target_archE1201ELNS1_3gpuE5ELNS1_3repE0EEENS1_36merge_oddeven_config_static_selectorELNS0_4arch9wavefront6targetE0EEEvSF_.num_agpr, 0
	.set _ZN7rocprim17ROCPRIM_400000_NS6detail17trampoline_kernelINS0_14default_configENS1_38merge_sort_block_merge_config_selectorImNS0_10empty_typeEEEZZNS1_27merge_sort_block_merge_implIS3_PmPS5_jNS1_19radix_merge_compareILb0ELb1EmNS0_19identity_decomposerEEEEE10hipError_tT0_T1_T2_jT3_P12ihipStream_tbPNSt15iterator_traitsISE_E10value_typeEPNSK_ISF_E10value_typeEPSG_NS1_7vsmem_tEENKUlT_SE_SF_SG_E_clIS8_S8_S9_S9_EESD_ST_SE_SF_SG_EUlST_E1_NS1_11comp_targetILNS1_3genE10ELNS1_11target_archE1201ELNS1_3gpuE5ELNS1_3repE0EEENS1_36merge_oddeven_config_static_selectorELNS0_4arch9wavefront6targetE0EEEvSF_.numbered_sgpr, 0
	.set _ZN7rocprim17ROCPRIM_400000_NS6detail17trampoline_kernelINS0_14default_configENS1_38merge_sort_block_merge_config_selectorImNS0_10empty_typeEEEZZNS1_27merge_sort_block_merge_implIS3_PmPS5_jNS1_19radix_merge_compareILb0ELb1EmNS0_19identity_decomposerEEEEE10hipError_tT0_T1_T2_jT3_P12ihipStream_tbPNSt15iterator_traitsISE_E10value_typeEPNSK_ISF_E10value_typeEPSG_NS1_7vsmem_tEENKUlT_SE_SF_SG_E_clIS8_S8_S9_S9_EESD_ST_SE_SF_SG_EUlST_E1_NS1_11comp_targetILNS1_3genE10ELNS1_11target_archE1201ELNS1_3gpuE5ELNS1_3repE0EEENS1_36merge_oddeven_config_static_selectorELNS0_4arch9wavefront6targetE0EEEvSF_.num_named_barrier, 0
	.set _ZN7rocprim17ROCPRIM_400000_NS6detail17trampoline_kernelINS0_14default_configENS1_38merge_sort_block_merge_config_selectorImNS0_10empty_typeEEEZZNS1_27merge_sort_block_merge_implIS3_PmPS5_jNS1_19radix_merge_compareILb0ELb1EmNS0_19identity_decomposerEEEEE10hipError_tT0_T1_T2_jT3_P12ihipStream_tbPNSt15iterator_traitsISE_E10value_typeEPNSK_ISF_E10value_typeEPSG_NS1_7vsmem_tEENKUlT_SE_SF_SG_E_clIS8_S8_S9_S9_EESD_ST_SE_SF_SG_EUlST_E1_NS1_11comp_targetILNS1_3genE10ELNS1_11target_archE1201ELNS1_3gpuE5ELNS1_3repE0EEENS1_36merge_oddeven_config_static_selectorELNS0_4arch9wavefront6targetE0EEEvSF_.private_seg_size, 0
	.set _ZN7rocprim17ROCPRIM_400000_NS6detail17trampoline_kernelINS0_14default_configENS1_38merge_sort_block_merge_config_selectorImNS0_10empty_typeEEEZZNS1_27merge_sort_block_merge_implIS3_PmPS5_jNS1_19radix_merge_compareILb0ELb1EmNS0_19identity_decomposerEEEEE10hipError_tT0_T1_T2_jT3_P12ihipStream_tbPNSt15iterator_traitsISE_E10value_typeEPNSK_ISF_E10value_typeEPSG_NS1_7vsmem_tEENKUlT_SE_SF_SG_E_clIS8_S8_S9_S9_EESD_ST_SE_SF_SG_EUlST_E1_NS1_11comp_targetILNS1_3genE10ELNS1_11target_archE1201ELNS1_3gpuE5ELNS1_3repE0EEENS1_36merge_oddeven_config_static_selectorELNS0_4arch9wavefront6targetE0EEEvSF_.uses_vcc, 0
	.set _ZN7rocprim17ROCPRIM_400000_NS6detail17trampoline_kernelINS0_14default_configENS1_38merge_sort_block_merge_config_selectorImNS0_10empty_typeEEEZZNS1_27merge_sort_block_merge_implIS3_PmPS5_jNS1_19radix_merge_compareILb0ELb1EmNS0_19identity_decomposerEEEEE10hipError_tT0_T1_T2_jT3_P12ihipStream_tbPNSt15iterator_traitsISE_E10value_typeEPNSK_ISF_E10value_typeEPSG_NS1_7vsmem_tEENKUlT_SE_SF_SG_E_clIS8_S8_S9_S9_EESD_ST_SE_SF_SG_EUlST_E1_NS1_11comp_targetILNS1_3genE10ELNS1_11target_archE1201ELNS1_3gpuE5ELNS1_3repE0EEENS1_36merge_oddeven_config_static_selectorELNS0_4arch9wavefront6targetE0EEEvSF_.uses_flat_scratch, 0
	.set _ZN7rocprim17ROCPRIM_400000_NS6detail17trampoline_kernelINS0_14default_configENS1_38merge_sort_block_merge_config_selectorImNS0_10empty_typeEEEZZNS1_27merge_sort_block_merge_implIS3_PmPS5_jNS1_19radix_merge_compareILb0ELb1EmNS0_19identity_decomposerEEEEE10hipError_tT0_T1_T2_jT3_P12ihipStream_tbPNSt15iterator_traitsISE_E10value_typeEPNSK_ISF_E10value_typeEPSG_NS1_7vsmem_tEENKUlT_SE_SF_SG_E_clIS8_S8_S9_S9_EESD_ST_SE_SF_SG_EUlST_E1_NS1_11comp_targetILNS1_3genE10ELNS1_11target_archE1201ELNS1_3gpuE5ELNS1_3repE0EEENS1_36merge_oddeven_config_static_selectorELNS0_4arch9wavefront6targetE0EEEvSF_.has_dyn_sized_stack, 0
	.set _ZN7rocprim17ROCPRIM_400000_NS6detail17trampoline_kernelINS0_14default_configENS1_38merge_sort_block_merge_config_selectorImNS0_10empty_typeEEEZZNS1_27merge_sort_block_merge_implIS3_PmPS5_jNS1_19radix_merge_compareILb0ELb1EmNS0_19identity_decomposerEEEEE10hipError_tT0_T1_T2_jT3_P12ihipStream_tbPNSt15iterator_traitsISE_E10value_typeEPNSK_ISF_E10value_typeEPSG_NS1_7vsmem_tEENKUlT_SE_SF_SG_E_clIS8_S8_S9_S9_EESD_ST_SE_SF_SG_EUlST_E1_NS1_11comp_targetILNS1_3genE10ELNS1_11target_archE1201ELNS1_3gpuE5ELNS1_3repE0EEENS1_36merge_oddeven_config_static_selectorELNS0_4arch9wavefront6targetE0EEEvSF_.has_recursion, 0
	.set _ZN7rocprim17ROCPRIM_400000_NS6detail17trampoline_kernelINS0_14default_configENS1_38merge_sort_block_merge_config_selectorImNS0_10empty_typeEEEZZNS1_27merge_sort_block_merge_implIS3_PmPS5_jNS1_19radix_merge_compareILb0ELb1EmNS0_19identity_decomposerEEEEE10hipError_tT0_T1_T2_jT3_P12ihipStream_tbPNSt15iterator_traitsISE_E10value_typeEPNSK_ISF_E10value_typeEPSG_NS1_7vsmem_tEENKUlT_SE_SF_SG_E_clIS8_S8_S9_S9_EESD_ST_SE_SF_SG_EUlST_E1_NS1_11comp_targetILNS1_3genE10ELNS1_11target_archE1201ELNS1_3gpuE5ELNS1_3repE0EEENS1_36merge_oddeven_config_static_selectorELNS0_4arch9wavefront6targetE0EEEvSF_.has_indirect_call, 0
	.section	.AMDGPU.csdata,"",@progbits
; Kernel info:
; codeLenInByte = 0
; TotalNumSgprs: 0
; NumVgprs: 0
; ScratchSize: 0
; MemoryBound: 0
; FloatMode: 240
; IeeeMode: 1
; LDSByteSize: 0 bytes/workgroup (compile time only)
; SGPRBlocks: 0
; VGPRBlocks: 0
; NumSGPRsForWavesPerEU: 1
; NumVGPRsForWavesPerEU: 1
; NamedBarCnt: 0
; Occupancy: 16
; WaveLimiterHint : 0
; COMPUTE_PGM_RSRC2:SCRATCH_EN: 0
; COMPUTE_PGM_RSRC2:USER_SGPR: 2
; COMPUTE_PGM_RSRC2:TRAP_HANDLER: 0
; COMPUTE_PGM_RSRC2:TGID_X_EN: 1
; COMPUTE_PGM_RSRC2:TGID_Y_EN: 0
; COMPUTE_PGM_RSRC2:TGID_Z_EN: 0
; COMPUTE_PGM_RSRC2:TIDIG_COMP_CNT: 0
	.section	.text._ZN7rocprim17ROCPRIM_400000_NS6detail17trampoline_kernelINS0_14default_configENS1_38merge_sort_block_merge_config_selectorImNS0_10empty_typeEEEZZNS1_27merge_sort_block_merge_implIS3_PmPS5_jNS1_19radix_merge_compareILb0ELb1EmNS0_19identity_decomposerEEEEE10hipError_tT0_T1_T2_jT3_P12ihipStream_tbPNSt15iterator_traitsISE_E10value_typeEPNSK_ISF_E10value_typeEPSG_NS1_7vsmem_tEENKUlT_SE_SF_SG_E_clIS8_S8_S9_S9_EESD_ST_SE_SF_SG_EUlST_E1_NS1_11comp_targetILNS1_3genE5ELNS1_11target_archE942ELNS1_3gpuE9ELNS1_3repE0EEENS1_36merge_oddeven_config_static_selectorELNS0_4arch9wavefront6targetE0EEEvSF_,"axG",@progbits,_ZN7rocprim17ROCPRIM_400000_NS6detail17trampoline_kernelINS0_14default_configENS1_38merge_sort_block_merge_config_selectorImNS0_10empty_typeEEEZZNS1_27merge_sort_block_merge_implIS3_PmPS5_jNS1_19radix_merge_compareILb0ELb1EmNS0_19identity_decomposerEEEEE10hipError_tT0_T1_T2_jT3_P12ihipStream_tbPNSt15iterator_traitsISE_E10value_typeEPNSK_ISF_E10value_typeEPSG_NS1_7vsmem_tEENKUlT_SE_SF_SG_E_clIS8_S8_S9_S9_EESD_ST_SE_SF_SG_EUlST_E1_NS1_11comp_targetILNS1_3genE5ELNS1_11target_archE942ELNS1_3gpuE9ELNS1_3repE0EEENS1_36merge_oddeven_config_static_selectorELNS0_4arch9wavefront6targetE0EEEvSF_,comdat
	.protected	_ZN7rocprim17ROCPRIM_400000_NS6detail17trampoline_kernelINS0_14default_configENS1_38merge_sort_block_merge_config_selectorImNS0_10empty_typeEEEZZNS1_27merge_sort_block_merge_implIS3_PmPS5_jNS1_19radix_merge_compareILb0ELb1EmNS0_19identity_decomposerEEEEE10hipError_tT0_T1_T2_jT3_P12ihipStream_tbPNSt15iterator_traitsISE_E10value_typeEPNSK_ISF_E10value_typeEPSG_NS1_7vsmem_tEENKUlT_SE_SF_SG_E_clIS8_S8_S9_S9_EESD_ST_SE_SF_SG_EUlST_E1_NS1_11comp_targetILNS1_3genE5ELNS1_11target_archE942ELNS1_3gpuE9ELNS1_3repE0EEENS1_36merge_oddeven_config_static_selectorELNS0_4arch9wavefront6targetE0EEEvSF_ ; -- Begin function _ZN7rocprim17ROCPRIM_400000_NS6detail17trampoline_kernelINS0_14default_configENS1_38merge_sort_block_merge_config_selectorImNS0_10empty_typeEEEZZNS1_27merge_sort_block_merge_implIS3_PmPS5_jNS1_19radix_merge_compareILb0ELb1EmNS0_19identity_decomposerEEEEE10hipError_tT0_T1_T2_jT3_P12ihipStream_tbPNSt15iterator_traitsISE_E10value_typeEPNSK_ISF_E10value_typeEPSG_NS1_7vsmem_tEENKUlT_SE_SF_SG_E_clIS8_S8_S9_S9_EESD_ST_SE_SF_SG_EUlST_E1_NS1_11comp_targetILNS1_3genE5ELNS1_11target_archE942ELNS1_3gpuE9ELNS1_3repE0EEENS1_36merge_oddeven_config_static_selectorELNS0_4arch9wavefront6targetE0EEEvSF_
	.globl	_ZN7rocprim17ROCPRIM_400000_NS6detail17trampoline_kernelINS0_14default_configENS1_38merge_sort_block_merge_config_selectorImNS0_10empty_typeEEEZZNS1_27merge_sort_block_merge_implIS3_PmPS5_jNS1_19radix_merge_compareILb0ELb1EmNS0_19identity_decomposerEEEEE10hipError_tT0_T1_T2_jT3_P12ihipStream_tbPNSt15iterator_traitsISE_E10value_typeEPNSK_ISF_E10value_typeEPSG_NS1_7vsmem_tEENKUlT_SE_SF_SG_E_clIS8_S8_S9_S9_EESD_ST_SE_SF_SG_EUlST_E1_NS1_11comp_targetILNS1_3genE5ELNS1_11target_archE942ELNS1_3gpuE9ELNS1_3repE0EEENS1_36merge_oddeven_config_static_selectorELNS0_4arch9wavefront6targetE0EEEvSF_
	.p2align	8
	.type	_ZN7rocprim17ROCPRIM_400000_NS6detail17trampoline_kernelINS0_14default_configENS1_38merge_sort_block_merge_config_selectorImNS0_10empty_typeEEEZZNS1_27merge_sort_block_merge_implIS3_PmPS5_jNS1_19radix_merge_compareILb0ELb1EmNS0_19identity_decomposerEEEEE10hipError_tT0_T1_T2_jT3_P12ihipStream_tbPNSt15iterator_traitsISE_E10value_typeEPNSK_ISF_E10value_typeEPSG_NS1_7vsmem_tEENKUlT_SE_SF_SG_E_clIS8_S8_S9_S9_EESD_ST_SE_SF_SG_EUlST_E1_NS1_11comp_targetILNS1_3genE5ELNS1_11target_archE942ELNS1_3gpuE9ELNS1_3repE0EEENS1_36merge_oddeven_config_static_selectorELNS0_4arch9wavefront6targetE0EEEvSF_,@function
_ZN7rocprim17ROCPRIM_400000_NS6detail17trampoline_kernelINS0_14default_configENS1_38merge_sort_block_merge_config_selectorImNS0_10empty_typeEEEZZNS1_27merge_sort_block_merge_implIS3_PmPS5_jNS1_19radix_merge_compareILb0ELb1EmNS0_19identity_decomposerEEEEE10hipError_tT0_T1_T2_jT3_P12ihipStream_tbPNSt15iterator_traitsISE_E10value_typeEPNSK_ISF_E10value_typeEPSG_NS1_7vsmem_tEENKUlT_SE_SF_SG_E_clIS8_S8_S9_S9_EESD_ST_SE_SF_SG_EUlST_E1_NS1_11comp_targetILNS1_3genE5ELNS1_11target_archE942ELNS1_3gpuE9ELNS1_3repE0EEENS1_36merge_oddeven_config_static_selectorELNS0_4arch9wavefront6targetE0EEEvSF_: ; @_ZN7rocprim17ROCPRIM_400000_NS6detail17trampoline_kernelINS0_14default_configENS1_38merge_sort_block_merge_config_selectorImNS0_10empty_typeEEEZZNS1_27merge_sort_block_merge_implIS3_PmPS5_jNS1_19radix_merge_compareILb0ELb1EmNS0_19identity_decomposerEEEEE10hipError_tT0_T1_T2_jT3_P12ihipStream_tbPNSt15iterator_traitsISE_E10value_typeEPNSK_ISF_E10value_typeEPSG_NS1_7vsmem_tEENKUlT_SE_SF_SG_E_clIS8_S8_S9_S9_EESD_ST_SE_SF_SG_EUlST_E1_NS1_11comp_targetILNS1_3genE5ELNS1_11target_archE942ELNS1_3gpuE9ELNS1_3repE0EEENS1_36merge_oddeven_config_static_selectorELNS0_4arch9wavefront6targetE0EEEvSF_
; %bb.0:
	.section	.rodata,"a",@progbits
	.p2align	6, 0x0
	.amdhsa_kernel _ZN7rocprim17ROCPRIM_400000_NS6detail17trampoline_kernelINS0_14default_configENS1_38merge_sort_block_merge_config_selectorImNS0_10empty_typeEEEZZNS1_27merge_sort_block_merge_implIS3_PmPS5_jNS1_19radix_merge_compareILb0ELb1EmNS0_19identity_decomposerEEEEE10hipError_tT0_T1_T2_jT3_P12ihipStream_tbPNSt15iterator_traitsISE_E10value_typeEPNSK_ISF_E10value_typeEPSG_NS1_7vsmem_tEENKUlT_SE_SF_SG_E_clIS8_S8_S9_S9_EESD_ST_SE_SF_SG_EUlST_E1_NS1_11comp_targetILNS1_3genE5ELNS1_11target_archE942ELNS1_3gpuE9ELNS1_3repE0EEENS1_36merge_oddeven_config_static_selectorELNS0_4arch9wavefront6targetE0EEEvSF_
		.amdhsa_group_segment_fixed_size 0
		.amdhsa_private_segment_fixed_size 0
		.amdhsa_kernarg_size 48
		.amdhsa_user_sgpr_count 2
		.amdhsa_user_sgpr_dispatch_ptr 0
		.amdhsa_user_sgpr_queue_ptr 0
		.amdhsa_user_sgpr_kernarg_segment_ptr 1
		.amdhsa_user_sgpr_dispatch_id 0
		.amdhsa_user_sgpr_kernarg_preload_length 0
		.amdhsa_user_sgpr_kernarg_preload_offset 0
		.amdhsa_user_sgpr_private_segment_size 0
		.amdhsa_wavefront_size32 1
		.amdhsa_uses_dynamic_stack 0
		.amdhsa_enable_private_segment 0
		.amdhsa_system_sgpr_workgroup_id_x 1
		.amdhsa_system_sgpr_workgroup_id_y 0
		.amdhsa_system_sgpr_workgroup_id_z 0
		.amdhsa_system_sgpr_workgroup_info 0
		.amdhsa_system_vgpr_workitem_id 0
		.amdhsa_next_free_vgpr 1
		.amdhsa_next_free_sgpr 1
		.amdhsa_named_barrier_count 0
		.amdhsa_reserve_vcc 0
		.amdhsa_float_round_mode_32 0
		.amdhsa_float_round_mode_16_64 0
		.amdhsa_float_denorm_mode_32 3
		.amdhsa_float_denorm_mode_16_64 3
		.amdhsa_fp16_overflow 0
		.amdhsa_memory_ordered 1
		.amdhsa_forward_progress 1
		.amdhsa_inst_pref_size 0
		.amdhsa_round_robin_scheduling 0
		.amdhsa_exception_fp_ieee_invalid_op 0
		.amdhsa_exception_fp_denorm_src 0
		.amdhsa_exception_fp_ieee_div_zero 0
		.amdhsa_exception_fp_ieee_overflow 0
		.amdhsa_exception_fp_ieee_underflow 0
		.amdhsa_exception_fp_ieee_inexact 0
		.amdhsa_exception_int_div_zero 0
	.end_amdhsa_kernel
	.section	.text._ZN7rocprim17ROCPRIM_400000_NS6detail17trampoline_kernelINS0_14default_configENS1_38merge_sort_block_merge_config_selectorImNS0_10empty_typeEEEZZNS1_27merge_sort_block_merge_implIS3_PmPS5_jNS1_19radix_merge_compareILb0ELb1EmNS0_19identity_decomposerEEEEE10hipError_tT0_T1_T2_jT3_P12ihipStream_tbPNSt15iterator_traitsISE_E10value_typeEPNSK_ISF_E10value_typeEPSG_NS1_7vsmem_tEENKUlT_SE_SF_SG_E_clIS8_S8_S9_S9_EESD_ST_SE_SF_SG_EUlST_E1_NS1_11comp_targetILNS1_3genE5ELNS1_11target_archE942ELNS1_3gpuE9ELNS1_3repE0EEENS1_36merge_oddeven_config_static_selectorELNS0_4arch9wavefront6targetE0EEEvSF_,"axG",@progbits,_ZN7rocprim17ROCPRIM_400000_NS6detail17trampoline_kernelINS0_14default_configENS1_38merge_sort_block_merge_config_selectorImNS0_10empty_typeEEEZZNS1_27merge_sort_block_merge_implIS3_PmPS5_jNS1_19radix_merge_compareILb0ELb1EmNS0_19identity_decomposerEEEEE10hipError_tT0_T1_T2_jT3_P12ihipStream_tbPNSt15iterator_traitsISE_E10value_typeEPNSK_ISF_E10value_typeEPSG_NS1_7vsmem_tEENKUlT_SE_SF_SG_E_clIS8_S8_S9_S9_EESD_ST_SE_SF_SG_EUlST_E1_NS1_11comp_targetILNS1_3genE5ELNS1_11target_archE942ELNS1_3gpuE9ELNS1_3repE0EEENS1_36merge_oddeven_config_static_selectorELNS0_4arch9wavefront6targetE0EEEvSF_,comdat
.Lfunc_end2967:
	.size	_ZN7rocprim17ROCPRIM_400000_NS6detail17trampoline_kernelINS0_14default_configENS1_38merge_sort_block_merge_config_selectorImNS0_10empty_typeEEEZZNS1_27merge_sort_block_merge_implIS3_PmPS5_jNS1_19radix_merge_compareILb0ELb1EmNS0_19identity_decomposerEEEEE10hipError_tT0_T1_T2_jT3_P12ihipStream_tbPNSt15iterator_traitsISE_E10value_typeEPNSK_ISF_E10value_typeEPSG_NS1_7vsmem_tEENKUlT_SE_SF_SG_E_clIS8_S8_S9_S9_EESD_ST_SE_SF_SG_EUlST_E1_NS1_11comp_targetILNS1_3genE5ELNS1_11target_archE942ELNS1_3gpuE9ELNS1_3repE0EEENS1_36merge_oddeven_config_static_selectorELNS0_4arch9wavefront6targetE0EEEvSF_, .Lfunc_end2967-_ZN7rocprim17ROCPRIM_400000_NS6detail17trampoline_kernelINS0_14default_configENS1_38merge_sort_block_merge_config_selectorImNS0_10empty_typeEEEZZNS1_27merge_sort_block_merge_implIS3_PmPS5_jNS1_19radix_merge_compareILb0ELb1EmNS0_19identity_decomposerEEEEE10hipError_tT0_T1_T2_jT3_P12ihipStream_tbPNSt15iterator_traitsISE_E10value_typeEPNSK_ISF_E10value_typeEPSG_NS1_7vsmem_tEENKUlT_SE_SF_SG_E_clIS8_S8_S9_S9_EESD_ST_SE_SF_SG_EUlST_E1_NS1_11comp_targetILNS1_3genE5ELNS1_11target_archE942ELNS1_3gpuE9ELNS1_3repE0EEENS1_36merge_oddeven_config_static_selectorELNS0_4arch9wavefront6targetE0EEEvSF_
                                        ; -- End function
	.set _ZN7rocprim17ROCPRIM_400000_NS6detail17trampoline_kernelINS0_14default_configENS1_38merge_sort_block_merge_config_selectorImNS0_10empty_typeEEEZZNS1_27merge_sort_block_merge_implIS3_PmPS5_jNS1_19radix_merge_compareILb0ELb1EmNS0_19identity_decomposerEEEEE10hipError_tT0_T1_T2_jT3_P12ihipStream_tbPNSt15iterator_traitsISE_E10value_typeEPNSK_ISF_E10value_typeEPSG_NS1_7vsmem_tEENKUlT_SE_SF_SG_E_clIS8_S8_S9_S9_EESD_ST_SE_SF_SG_EUlST_E1_NS1_11comp_targetILNS1_3genE5ELNS1_11target_archE942ELNS1_3gpuE9ELNS1_3repE0EEENS1_36merge_oddeven_config_static_selectorELNS0_4arch9wavefront6targetE0EEEvSF_.num_vgpr, 0
	.set _ZN7rocprim17ROCPRIM_400000_NS6detail17trampoline_kernelINS0_14default_configENS1_38merge_sort_block_merge_config_selectorImNS0_10empty_typeEEEZZNS1_27merge_sort_block_merge_implIS3_PmPS5_jNS1_19radix_merge_compareILb0ELb1EmNS0_19identity_decomposerEEEEE10hipError_tT0_T1_T2_jT3_P12ihipStream_tbPNSt15iterator_traitsISE_E10value_typeEPNSK_ISF_E10value_typeEPSG_NS1_7vsmem_tEENKUlT_SE_SF_SG_E_clIS8_S8_S9_S9_EESD_ST_SE_SF_SG_EUlST_E1_NS1_11comp_targetILNS1_3genE5ELNS1_11target_archE942ELNS1_3gpuE9ELNS1_3repE0EEENS1_36merge_oddeven_config_static_selectorELNS0_4arch9wavefront6targetE0EEEvSF_.num_agpr, 0
	.set _ZN7rocprim17ROCPRIM_400000_NS6detail17trampoline_kernelINS0_14default_configENS1_38merge_sort_block_merge_config_selectorImNS0_10empty_typeEEEZZNS1_27merge_sort_block_merge_implIS3_PmPS5_jNS1_19radix_merge_compareILb0ELb1EmNS0_19identity_decomposerEEEEE10hipError_tT0_T1_T2_jT3_P12ihipStream_tbPNSt15iterator_traitsISE_E10value_typeEPNSK_ISF_E10value_typeEPSG_NS1_7vsmem_tEENKUlT_SE_SF_SG_E_clIS8_S8_S9_S9_EESD_ST_SE_SF_SG_EUlST_E1_NS1_11comp_targetILNS1_3genE5ELNS1_11target_archE942ELNS1_3gpuE9ELNS1_3repE0EEENS1_36merge_oddeven_config_static_selectorELNS0_4arch9wavefront6targetE0EEEvSF_.numbered_sgpr, 0
	.set _ZN7rocprim17ROCPRIM_400000_NS6detail17trampoline_kernelINS0_14default_configENS1_38merge_sort_block_merge_config_selectorImNS0_10empty_typeEEEZZNS1_27merge_sort_block_merge_implIS3_PmPS5_jNS1_19radix_merge_compareILb0ELb1EmNS0_19identity_decomposerEEEEE10hipError_tT0_T1_T2_jT3_P12ihipStream_tbPNSt15iterator_traitsISE_E10value_typeEPNSK_ISF_E10value_typeEPSG_NS1_7vsmem_tEENKUlT_SE_SF_SG_E_clIS8_S8_S9_S9_EESD_ST_SE_SF_SG_EUlST_E1_NS1_11comp_targetILNS1_3genE5ELNS1_11target_archE942ELNS1_3gpuE9ELNS1_3repE0EEENS1_36merge_oddeven_config_static_selectorELNS0_4arch9wavefront6targetE0EEEvSF_.num_named_barrier, 0
	.set _ZN7rocprim17ROCPRIM_400000_NS6detail17trampoline_kernelINS0_14default_configENS1_38merge_sort_block_merge_config_selectorImNS0_10empty_typeEEEZZNS1_27merge_sort_block_merge_implIS3_PmPS5_jNS1_19radix_merge_compareILb0ELb1EmNS0_19identity_decomposerEEEEE10hipError_tT0_T1_T2_jT3_P12ihipStream_tbPNSt15iterator_traitsISE_E10value_typeEPNSK_ISF_E10value_typeEPSG_NS1_7vsmem_tEENKUlT_SE_SF_SG_E_clIS8_S8_S9_S9_EESD_ST_SE_SF_SG_EUlST_E1_NS1_11comp_targetILNS1_3genE5ELNS1_11target_archE942ELNS1_3gpuE9ELNS1_3repE0EEENS1_36merge_oddeven_config_static_selectorELNS0_4arch9wavefront6targetE0EEEvSF_.private_seg_size, 0
	.set _ZN7rocprim17ROCPRIM_400000_NS6detail17trampoline_kernelINS0_14default_configENS1_38merge_sort_block_merge_config_selectorImNS0_10empty_typeEEEZZNS1_27merge_sort_block_merge_implIS3_PmPS5_jNS1_19radix_merge_compareILb0ELb1EmNS0_19identity_decomposerEEEEE10hipError_tT0_T1_T2_jT3_P12ihipStream_tbPNSt15iterator_traitsISE_E10value_typeEPNSK_ISF_E10value_typeEPSG_NS1_7vsmem_tEENKUlT_SE_SF_SG_E_clIS8_S8_S9_S9_EESD_ST_SE_SF_SG_EUlST_E1_NS1_11comp_targetILNS1_3genE5ELNS1_11target_archE942ELNS1_3gpuE9ELNS1_3repE0EEENS1_36merge_oddeven_config_static_selectorELNS0_4arch9wavefront6targetE0EEEvSF_.uses_vcc, 0
	.set _ZN7rocprim17ROCPRIM_400000_NS6detail17trampoline_kernelINS0_14default_configENS1_38merge_sort_block_merge_config_selectorImNS0_10empty_typeEEEZZNS1_27merge_sort_block_merge_implIS3_PmPS5_jNS1_19radix_merge_compareILb0ELb1EmNS0_19identity_decomposerEEEEE10hipError_tT0_T1_T2_jT3_P12ihipStream_tbPNSt15iterator_traitsISE_E10value_typeEPNSK_ISF_E10value_typeEPSG_NS1_7vsmem_tEENKUlT_SE_SF_SG_E_clIS8_S8_S9_S9_EESD_ST_SE_SF_SG_EUlST_E1_NS1_11comp_targetILNS1_3genE5ELNS1_11target_archE942ELNS1_3gpuE9ELNS1_3repE0EEENS1_36merge_oddeven_config_static_selectorELNS0_4arch9wavefront6targetE0EEEvSF_.uses_flat_scratch, 0
	.set _ZN7rocprim17ROCPRIM_400000_NS6detail17trampoline_kernelINS0_14default_configENS1_38merge_sort_block_merge_config_selectorImNS0_10empty_typeEEEZZNS1_27merge_sort_block_merge_implIS3_PmPS5_jNS1_19radix_merge_compareILb0ELb1EmNS0_19identity_decomposerEEEEE10hipError_tT0_T1_T2_jT3_P12ihipStream_tbPNSt15iterator_traitsISE_E10value_typeEPNSK_ISF_E10value_typeEPSG_NS1_7vsmem_tEENKUlT_SE_SF_SG_E_clIS8_S8_S9_S9_EESD_ST_SE_SF_SG_EUlST_E1_NS1_11comp_targetILNS1_3genE5ELNS1_11target_archE942ELNS1_3gpuE9ELNS1_3repE0EEENS1_36merge_oddeven_config_static_selectorELNS0_4arch9wavefront6targetE0EEEvSF_.has_dyn_sized_stack, 0
	.set _ZN7rocprim17ROCPRIM_400000_NS6detail17trampoline_kernelINS0_14default_configENS1_38merge_sort_block_merge_config_selectorImNS0_10empty_typeEEEZZNS1_27merge_sort_block_merge_implIS3_PmPS5_jNS1_19radix_merge_compareILb0ELb1EmNS0_19identity_decomposerEEEEE10hipError_tT0_T1_T2_jT3_P12ihipStream_tbPNSt15iterator_traitsISE_E10value_typeEPNSK_ISF_E10value_typeEPSG_NS1_7vsmem_tEENKUlT_SE_SF_SG_E_clIS8_S8_S9_S9_EESD_ST_SE_SF_SG_EUlST_E1_NS1_11comp_targetILNS1_3genE5ELNS1_11target_archE942ELNS1_3gpuE9ELNS1_3repE0EEENS1_36merge_oddeven_config_static_selectorELNS0_4arch9wavefront6targetE0EEEvSF_.has_recursion, 0
	.set _ZN7rocprim17ROCPRIM_400000_NS6detail17trampoline_kernelINS0_14default_configENS1_38merge_sort_block_merge_config_selectorImNS0_10empty_typeEEEZZNS1_27merge_sort_block_merge_implIS3_PmPS5_jNS1_19radix_merge_compareILb0ELb1EmNS0_19identity_decomposerEEEEE10hipError_tT0_T1_T2_jT3_P12ihipStream_tbPNSt15iterator_traitsISE_E10value_typeEPNSK_ISF_E10value_typeEPSG_NS1_7vsmem_tEENKUlT_SE_SF_SG_E_clIS8_S8_S9_S9_EESD_ST_SE_SF_SG_EUlST_E1_NS1_11comp_targetILNS1_3genE5ELNS1_11target_archE942ELNS1_3gpuE9ELNS1_3repE0EEENS1_36merge_oddeven_config_static_selectorELNS0_4arch9wavefront6targetE0EEEvSF_.has_indirect_call, 0
	.section	.AMDGPU.csdata,"",@progbits
; Kernel info:
; codeLenInByte = 0
; TotalNumSgprs: 0
; NumVgprs: 0
; ScratchSize: 0
; MemoryBound: 0
; FloatMode: 240
; IeeeMode: 1
; LDSByteSize: 0 bytes/workgroup (compile time only)
; SGPRBlocks: 0
; VGPRBlocks: 0
; NumSGPRsForWavesPerEU: 1
; NumVGPRsForWavesPerEU: 1
; NamedBarCnt: 0
; Occupancy: 16
; WaveLimiterHint : 0
; COMPUTE_PGM_RSRC2:SCRATCH_EN: 0
; COMPUTE_PGM_RSRC2:USER_SGPR: 2
; COMPUTE_PGM_RSRC2:TRAP_HANDLER: 0
; COMPUTE_PGM_RSRC2:TGID_X_EN: 1
; COMPUTE_PGM_RSRC2:TGID_Y_EN: 0
; COMPUTE_PGM_RSRC2:TGID_Z_EN: 0
; COMPUTE_PGM_RSRC2:TIDIG_COMP_CNT: 0
	.section	.text._ZN7rocprim17ROCPRIM_400000_NS6detail17trampoline_kernelINS0_14default_configENS1_38merge_sort_block_merge_config_selectorImNS0_10empty_typeEEEZZNS1_27merge_sort_block_merge_implIS3_PmPS5_jNS1_19radix_merge_compareILb0ELb1EmNS0_19identity_decomposerEEEEE10hipError_tT0_T1_T2_jT3_P12ihipStream_tbPNSt15iterator_traitsISE_E10value_typeEPNSK_ISF_E10value_typeEPSG_NS1_7vsmem_tEENKUlT_SE_SF_SG_E_clIS8_S8_S9_S9_EESD_ST_SE_SF_SG_EUlST_E1_NS1_11comp_targetILNS1_3genE4ELNS1_11target_archE910ELNS1_3gpuE8ELNS1_3repE0EEENS1_36merge_oddeven_config_static_selectorELNS0_4arch9wavefront6targetE0EEEvSF_,"axG",@progbits,_ZN7rocprim17ROCPRIM_400000_NS6detail17trampoline_kernelINS0_14default_configENS1_38merge_sort_block_merge_config_selectorImNS0_10empty_typeEEEZZNS1_27merge_sort_block_merge_implIS3_PmPS5_jNS1_19radix_merge_compareILb0ELb1EmNS0_19identity_decomposerEEEEE10hipError_tT0_T1_T2_jT3_P12ihipStream_tbPNSt15iterator_traitsISE_E10value_typeEPNSK_ISF_E10value_typeEPSG_NS1_7vsmem_tEENKUlT_SE_SF_SG_E_clIS8_S8_S9_S9_EESD_ST_SE_SF_SG_EUlST_E1_NS1_11comp_targetILNS1_3genE4ELNS1_11target_archE910ELNS1_3gpuE8ELNS1_3repE0EEENS1_36merge_oddeven_config_static_selectorELNS0_4arch9wavefront6targetE0EEEvSF_,comdat
	.protected	_ZN7rocprim17ROCPRIM_400000_NS6detail17trampoline_kernelINS0_14default_configENS1_38merge_sort_block_merge_config_selectorImNS0_10empty_typeEEEZZNS1_27merge_sort_block_merge_implIS3_PmPS5_jNS1_19radix_merge_compareILb0ELb1EmNS0_19identity_decomposerEEEEE10hipError_tT0_T1_T2_jT3_P12ihipStream_tbPNSt15iterator_traitsISE_E10value_typeEPNSK_ISF_E10value_typeEPSG_NS1_7vsmem_tEENKUlT_SE_SF_SG_E_clIS8_S8_S9_S9_EESD_ST_SE_SF_SG_EUlST_E1_NS1_11comp_targetILNS1_3genE4ELNS1_11target_archE910ELNS1_3gpuE8ELNS1_3repE0EEENS1_36merge_oddeven_config_static_selectorELNS0_4arch9wavefront6targetE0EEEvSF_ ; -- Begin function _ZN7rocprim17ROCPRIM_400000_NS6detail17trampoline_kernelINS0_14default_configENS1_38merge_sort_block_merge_config_selectorImNS0_10empty_typeEEEZZNS1_27merge_sort_block_merge_implIS3_PmPS5_jNS1_19radix_merge_compareILb0ELb1EmNS0_19identity_decomposerEEEEE10hipError_tT0_T1_T2_jT3_P12ihipStream_tbPNSt15iterator_traitsISE_E10value_typeEPNSK_ISF_E10value_typeEPSG_NS1_7vsmem_tEENKUlT_SE_SF_SG_E_clIS8_S8_S9_S9_EESD_ST_SE_SF_SG_EUlST_E1_NS1_11comp_targetILNS1_3genE4ELNS1_11target_archE910ELNS1_3gpuE8ELNS1_3repE0EEENS1_36merge_oddeven_config_static_selectorELNS0_4arch9wavefront6targetE0EEEvSF_
	.globl	_ZN7rocprim17ROCPRIM_400000_NS6detail17trampoline_kernelINS0_14default_configENS1_38merge_sort_block_merge_config_selectorImNS0_10empty_typeEEEZZNS1_27merge_sort_block_merge_implIS3_PmPS5_jNS1_19radix_merge_compareILb0ELb1EmNS0_19identity_decomposerEEEEE10hipError_tT0_T1_T2_jT3_P12ihipStream_tbPNSt15iterator_traitsISE_E10value_typeEPNSK_ISF_E10value_typeEPSG_NS1_7vsmem_tEENKUlT_SE_SF_SG_E_clIS8_S8_S9_S9_EESD_ST_SE_SF_SG_EUlST_E1_NS1_11comp_targetILNS1_3genE4ELNS1_11target_archE910ELNS1_3gpuE8ELNS1_3repE0EEENS1_36merge_oddeven_config_static_selectorELNS0_4arch9wavefront6targetE0EEEvSF_
	.p2align	8
	.type	_ZN7rocprim17ROCPRIM_400000_NS6detail17trampoline_kernelINS0_14default_configENS1_38merge_sort_block_merge_config_selectorImNS0_10empty_typeEEEZZNS1_27merge_sort_block_merge_implIS3_PmPS5_jNS1_19radix_merge_compareILb0ELb1EmNS0_19identity_decomposerEEEEE10hipError_tT0_T1_T2_jT3_P12ihipStream_tbPNSt15iterator_traitsISE_E10value_typeEPNSK_ISF_E10value_typeEPSG_NS1_7vsmem_tEENKUlT_SE_SF_SG_E_clIS8_S8_S9_S9_EESD_ST_SE_SF_SG_EUlST_E1_NS1_11comp_targetILNS1_3genE4ELNS1_11target_archE910ELNS1_3gpuE8ELNS1_3repE0EEENS1_36merge_oddeven_config_static_selectorELNS0_4arch9wavefront6targetE0EEEvSF_,@function
_ZN7rocprim17ROCPRIM_400000_NS6detail17trampoline_kernelINS0_14default_configENS1_38merge_sort_block_merge_config_selectorImNS0_10empty_typeEEEZZNS1_27merge_sort_block_merge_implIS3_PmPS5_jNS1_19radix_merge_compareILb0ELb1EmNS0_19identity_decomposerEEEEE10hipError_tT0_T1_T2_jT3_P12ihipStream_tbPNSt15iterator_traitsISE_E10value_typeEPNSK_ISF_E10value_typeEPSG_NS1_7vsmem_tEENKUlT_SE_SF_SG_E_clIS8_S8_S9_S9_EESD_ST_SE_SF_SG_EUlST_E1_NS1_11comp_targetILNS1_3genE4ELNS1_11target_archE910ELNS1_3gpuE8ELNS1_3repE0EEENS1_36merge_oddeven_config_static_selectorELNS0_4arch9wavefront6targetE0EEEvSF_: ; @_ZN7rocprim17ROCPRIM_400000_NS6detail17trampoline_kernelINS0_14default_configENS1_38merge_sort_block_merge_config_selectorImNS0_10empty_typeEEEZZNS1_27merge_sort_block_merge_implIS3_PmPS5_jNS1_19radix_merge_compareILb0ELb1EmNS0_19identity_decomposerEEEEE10hipError_tT0_T1_T2_jT3_P12ihipStream_tbPNSt15iterator_traitsISE_E10value_typeEPNSK_ISF_E10value_typeEPSG_NS1_7vsmem_tEENKUlT_SE_SF_SG_E_clIS8_S8_S9_S9_EESD_ST_SE_SF_SG_EUlST_E1_NS1_11comp_targetILNS1_3genE4ELNS1_11target_archE910ELNS1_3gpuE8ELNS1_3repE0EEENS1_36merge_oddeven_config_static_selectorELNS0_4arch9wavefront6targetE0EEEvSF_
; %bb.0:
	.section	.rodata,"a",@progbits
	.p2align	6, 0x0
	.amdhsa_kernel _ZN7rocprim17ROCPRIM_400000_NS6detail17trampoline_kernelINS0_14default_configENS1_38merge_sort_block_merge_config_selectorImNS0_10empty_typeEEEZZNS1_27merge_sort_block_merge_implIS3_PmPS5_jNS1_19radix_merge_compareILb0ELb1EmNS0_19identity_decomposerEEEEE10hipError_tT0_T1_T2_jT3_P12ihipStream_tbPNSt15iterator_traitsISE_E10value_typeEPNSK_ISF_E10value_typeEPSG_NS1_7vsmem_tEENKUlT_SE_SF_SG_E_clIS8_S8_S9_S9_EESD_ST_SE_SF_SG_EUlST_E1_NS1_11comp_targetILNS1_3genE4ELNS1_11target_archE910ELNS1_3gpuE8ELNS1_3repE0EEENS1_36merge_oddeven_config_static_selectorELNS0_4arch9wavefront6targetE0EEEvSF_
		.amdhsa_group_segment_fixed_size 0
		.amdhsa_private_segment_fixed_size 0
		.amdhsa_kernarg_size 48
		.amdhsa_user_sgpr_count 2
		.amdhsa_user_sgpr_dispatch_ptr 0
		.amdhsa_user_sgpr_queue_ptr 0
		.amdhsa_user_sgpr_kernarg_segment_ptr 1
		.amdhsa_user_sgpr_dispatch_id 0
		.amdhsa_user_sgpr_kernarg_preload_length 0
		.amdhsa_user_sgpr_kernarg_preload_offset 0
		.amdhsa_user_sgpr_private_segment_size 0
		.amdhsa_wavefront_size32 1
		.amdhsa_uses_dynamic_stack 0
		.amdhsa_enable_private_segment 0
		.amdhsa_system_sgpr_workgroup_id_x 1
		.amdhsa_system_sgpr_workgroup_id_y 0
		.amdhsa_system_sgpr_workgroup_id_z 0
		.amdhsa_system_sgpr_workgroup_info 0
		.amdhsa_system_vgpr_workitem_id 0
		.amdhsa_next_free_vgpr 1
		.amdhsa_next_free_sgpr 1
		.amdhsa_named_barrier_count 0
		.amdhsa_reserve_vcc 0
		.amdhsa_float_round_mode_32 0
		.amdhsa_float_round_mode_16_64 0
		.amdhsa_float_denorm_mode_32 3
		.amdhsa_float_denorm_mode_16_64 3
		.amdhsa_fp16_overflow 0
		.amdhsa_memory_ordered 1
		.amdhsa_forward_progress 1
		.amdhsa_inst_pref_size 0
		.amdhsa_round_robin_scheduling 0
		.amdhsa_exception_fp_ieee_invalid_op 0
		.amdhsa_exception_fp_denorm_src 0
		.amdhsa_exception_fp_ieee_div_zero 0
		.amdhsa_exception_fp_ieee_overflow 0
		.amdhsa_exception_fp_ieee_underflow 0
		.amdhsa_exception_fp_ieee_inexact 0
		.amdhsa_exception_int_div_zero 0
	.end_amdhsa_kernel
	.section	.text._ZN7rocprim17ROCPRIM_400000_NS6detail17trampoline_kernelINS0_14default_configENS1_38merge_sort_block_merge_config_selectorImNS0_10empty_typeEEEZZNS1_27merge_sort_block_merge_implIS3_PmPS5_jNS1_19radix_merge_compareILb0ELb1EmNS0_19identity_decomposerEEEEE10hipError_tT0_T1_T2_jT3_P12ihipStream_tbPNSt15iterator_traitsISE_E10value_typeEPNSK_ISF_E10value_typeEPSG_NS1_7vsmem_tEENKUlT_SE_SF_SG_E_clIS8_S8_S9_S9_EESD_ST_SE_SF_SG_EUlST_E1_NS1_11comp_targetILNS1_3genE4ELNS1_11target_archE910ELNS1_3gpuE8ELNS1_3repE0EEENS1_36merge_oddeven_config_static_selectorELNS0_4arch9wavefront6targetE0EEEvSF_,"axG",@progbits,_ZN7rocprim17ROCPRIM_400000_NS6detail17trampoline_kernelINS0_14default_configENS1_38merge_sort_block_merge_config_selectorImNS0_10empty_typeEEEZZNS1_27merge_sort_block_merge_implIS3_PmPS5_jNS1_19radix_merge_compareILb0ELb1EmNS0_19identity_decomposerEEEEE10hipError_tT0_T1_T2_jT3_P12ihipStream_tbPNSt15iterator_traitsISE_E10value_typeEPNSK_ISF_E10value_typeEPSG_NS1_7vsmem_tEENKUlT_SE_SF_SG_E_clIS8_S8_S9_S9_EESD_ST_SE_SF_SG_EUlST_E1_NS1_11comp_targetILNS1_3genE4ELNS1_11target_archE910ELNS1_3gpuE8ELNS1_3repE0EEENS1_36merge_oddeven_config_static_selectorELNS0_4arch9wavefront6targetE0EEEvSF_,comdat
.Lfunc_end2968:
	.size	_ZN7rocprim17ROCPRIM_400000_NS6detail17trampoline_kernelINS0_14default_configENS1_38merge_sort_block_merge_config_selectorImNS0_10empty_typeEEEZZNS1_27merge_sort_block_merge_implIS3_PmPS5_jNS1_19radix_merge_compareILb0ELb1EmNS0_19identity_decomposerEEEEE10hipError_tT0_T1_T2_jT3_P12ihipStream_tbPNSt15iterator_traitsISE_E10value_typeEPNSK_ISF_E10value_typeEPSG_NS1_7vsmem_tEENKUlT_SE_SF_SG_E_clIS8_S8_S9_S9_EESD_ST_SE_SF_SG_EUlST_E1_NS1_11comp_targetILNS1_3genE4ELNS1_11target_archE910ELNS1_3gpuE8ELNS1_3repE0EEENS1_36merge_oddeven_config_static_selectorELNS0_4arch9wavefront6targetE0EEEvSF_, .Lfunc_end2968-_ZN7rocprim17ROCPRIM_400000_NS6detail17trampoline_kernelINS0_14default_configENS1_38merge_sort_block_merge_config_selectorImNS0_10empty_typeEEEZZNS1_27merge_sort_block_merge_implIS3_PmPS5_jNS1_19radix_merge_compareILb0ELb1EmNS0_19identity_decomposerEEEEE10hipError_tT0_T1_T2_jT3_P12ihipStream_tbPNSt15iterator_traitsISE_E10value_typeEPNSK_ISF_E10value_typeEPSG_NS1_7vsmem_tEENKUlT_SE_SF_SG_E_clIS8_S8_S9_S9_EESD_ST_SE_SF_SG_EUlST_E1_NS1_11comp_targetILNS1_3genE4ELNS1_11target_archE910ELNS1_3gpuE8ELNS1_3repE0EEENS1_36merge_oddeven_config_static_selectorELNS0_4arch9wavefront6targetE0EEEvSF_
                                        ; -- End function
	.set _ZN7rocprim17ROCPRIM_400000_NS6detail17trampoline_kernelINS0_14default_configENS1_38merge_sort_block_merge_config_selectorImNS0_10empty_typeEEEZZNS1_27merge_sort_block_merge_implIS3_PmPS5_jNS1_19radix_merge_compareILb0ELb1EmNS0_19identity_decomposerEEEEE10hipError_tT0_T1_T2_jT3_P12ihipStream_tbPNSt15iterator_traitsISE_E10value_typeEPNSK_ISF_E10value_typeEPSG_NS1_7vsmem_tEENKUlT_SE_SF_SG_E_clIS8_S8_S9_S9_EESD_ST_SE_SF_SG_EUlST_E1_NS1_11comp_targetILNS1_3genE4ELNS1_11target_archE910ELNS1_3gpuE8ELNS1_3repE0EEENS1_36merge_oddeven_config_static_selectorELNS0_4arch9wavefront6targetE0EEEvSF_.num_vgpr, 0
	.set _ZN7rocprim17ROCPRIM_400000_NS6detail17trampoline_kernelINS0_14default_configENS1_38merge_sort_block_merge_config_selectorImNS0_10empty_typeEEEZZNS1_27merge_sort_block_merge_implIS3_PmPS5_jNS1_19radix_merge_compareILb0ELb1EmNS0_19identity_decomposerEEEEE10hipError_tT0_T1_T2_jT3_P12ihipStream_tbPNSt15iterator_traitsISE_E10value_typeEPNSK_ISF_E10value_typeEPSG_NS1_7vsmem_tEENKUlT_SE_SF_SG_E_clIS8_S8_S9_S9_EESD_ST_SE_SF_SG_EUlST_E1_NS1_11comp_targetILNS1_3genE4ELNS1_11target_archE910ELNS1_3gpuE8ELNS1_3repE0EEENS1_36merge_oddeven_config_static_selectorELNS0_4arch9wavefront6targetE0EEEvSF_.num_agpr, 0
	.set _ZN7rocprim17ROCPRIM_400000_NS6detail17trampoline_kernelINS0_14default_configENS1_38merge_sort_block_merge_config_selectorImNS0_10empty_typeEEEZZNS1_27merge_sort_block_merge_implIS3_PmPS5_jNS1_19radix_merge_compareILb0ELb1EmNS0_19identity_decomposerEEEEE10hipError_tT0_T1_T2_jT3_P12ihipStream_tbPNSt15iterator_traitsISE_E10value_typeEPNSK_ISF_E10value_typeEPSG_NS1_7vsmem_tEENKUlT_SE_SF_SG_E_clIS8_S8_S9_S9_EESD_ST_SE_SF_SG_EUlST_E1_NS1_11comp_targetILNS1_3genE4ELNS1_11target_archE910ELNS1_3gpuE8ELNS1_3repE0EEENS1_36merge_oddeven_config_static_selectorELNS0_4arch9wavefront6targetE0EEEvSF_.numbered_sgpr, 0
	.set _ZN7rocprim17ROCPRIM_400000_NS6detail17trampoline_kernelINS0_14default_configENS1_38merge_sort_block_merge_config_selectorImNS0_10empty_typeEEEZZNS1_27merge_sort_block_merge_implIS3_PmPS5_jNS1_19radix_merge_compareILb0ELb1EmNS0_19identity_decomposerEEEEE10hipError_tT0_T1_T2_jT3_P12ihipStream_tbPNSt15iterator_traitsISE_E10value_typeEPNSK_ISF_E10value_typeEPSG_NS1_7vsmem_tEENKUlT_SE_SF_SG_E_clIS8_S8_S9_S9_EESD_ST_SE_SF_SG_EUlST_E1_NS1_11comp_targetILNS1_3genE4ELNS1_11target_archE910ELNS1_3gpuE8ELNS1_3repE0EEENS1_36merge_oddeven_config_static_selectorELNS0_4arch9wavefront6targetE0EEEvSF_.num_named_barrier, 0
	.set _ZN7rocprim17ROCPRIM_400000_NS6detail17trampoline_kernelINS0_14default_configENS1_38merge_sort_block_merge_config_selectorImNS0_10empty_typeEEEZZNS1_27merge_sort_block_merge_implIS3_PmPS5_jNS1_19radix_merge_compareILb0ELb1EmNS0_19identity_decomposerEEEEE10hipError_tT0_T1_T2_jT3_P12ihipStream_tbPNSt15iterator_traitsISE_E10value_typeEPNSK_ISF_E10value_typeEPSG_NS1_7vsmem_tEENKUlT_SE_SF_SG_E_clIS8_S8_S9_S9_EESD_ST_SE_SF_SG_EUlST_E1_NS1_11comp_targetILNS1_3genE4ELNS1_11target_archE910ELNS1_3gpuE8ELNS1_3repE0EEENS1_36merge_oddeven_config_static_selectorELNS0_4arch9wavefront6targetE0EEEvSF_.private_seg_size, 0
	.set _ZN7rocprim17ROCPRIM_400000_NS6detail17trampoline_kernelINS0_14default_configENS1_38merge_sort_block_merge_config_selectorImNS0_10empty_typeEEEZZNS1_27merge_sort_block_merge_implIS3_PmPS5_jNS1_19radix_merge_compareILb0ELb1EmNS0_19identity_decomposerEEEEE10hipError_tT0_T1_T2_jT3_P12ihipStream_tbPNSt15iterator_traitsISE_E10value_typeEPNSK_ISF_E10value_typeEPSG_NS1_7vsmem_tEENKUlT_SE_SF_SG_E_clIS8_S8_S9_S9_EESD_ST_SE_SF_SG_EUlST_E1_NS1_11comp_targetILNS1_3genE4ELNS1_11target_archE910ELNS1_3gpuE8ELNS1_3repE0EEENS1_36merge_oddeven_config_static_selectorELNS0_4arch9wavefront6targetE0EEEvSF_.uses_vcc, 0
	.set _ZN7rocprim17ROCPRIM_400000_NS6detail17trampoline_kernelINS0_14default_configENS1_38merge_sort_block_merge_config_selectorImNS0_10empty_typeEEEZZNS1_27merge_sort_block_merge_implIS3_PmPS5_jNS1_19radix_merge_compareILb0ELb1EmNS0_19identity_decomposerEEEEE10hipError_tT0_T1_T2_jT3_P12ihipStream_tbPNSt15iterator_traitsISE_E10value_typeEPNSK_ISF_E10value_typeEPSG_NS1_7vsmem_tEENKUlT_SE_SF_SG_E_clIS8_S8_S9_S9_EESD_ST_SE_SF_SG_EUlST_E1_NS1_11comp_targetILNS1_3genE4ELNS1_11target_archE910ELNS1_3gpuE8ELNS1_3repE0EEENS1_36merge_oddeven_config_static_selectorELNS0_4arch9wavefront6targetE0EEEvSF_.uses_flat_scratch, 0
	.set _ZN7rocprim17ROCPRIM_400000_NS6detail17trampoline_kernelINS0_14default_configENS1_38merge_sort_block_merge_config_selectorImNS0_10empty_typeEEEZZNS1_27merge_sort_block_merge_implIS3_PmPS5_jNS1_19radix_merge_compareILb0ELb1EmNS0_19identity_decomposerEEEEE10hipError_tT0_T1_T2_jT3_P12ihipStream_tbPNSt15iterator_traitsISE_E10value_typeEPNSK_ISF_E10value_typeEPSG_NS1_7vsmem_tEENKUlT_SE_SF_SG_E_clIS8_S8_S9_S9_EESD_ST_SE_SF_SG_EUlST_E1_NS1_11comp_targetILNS1_3genE4ELNS1_11target_archE910ELNS1_3gpuE8ELNS1_3repE0EEENS1_36merge_oddeven_config_static_selectorELNS0_4arch9wavefront6targetE0EEEvSF_.has_dyn_sized_stack, 0
	.set _ZN7rocprim17ROCPRIM_400000_NS6detail17trampoline_kernelINS0_14default_configENS1_38merge_sort_block_merge_config_selectorImNS0_10empty_typeEEEZZNS1_27merge_sort_block_merge_implIS3_PmPS5_jNS1_19radix_merge_compareILb0ELb1EmNS0_19identity_decomposerEEEEE10hipError_tT0_T1_T2_jT3_P12ihipStream_tbPNSt15iterator_traitsISE_E10value_typeEPNSK_ISF_E10value_typeEPSG_NS1_7vsmem_tEENKUlT_SE_SF_SG_E_clIS8_S8_S9_S9_EESD_ST_SE_SF_SG_EUlST_E1_NS1_11comp_targetILNS1_3genE4ELNS1_11target_archE910ELNS1_3gpuE8ELNS1_3repE0EEENS1_36merge_oddeven_config_static_selectorELNS0_4arch9wavefront6targetE0EEEvSF_.has_recursion, 0
	.set _ZN7rocprim17ROCPRIM_400000_NS6detail17trampoline_kernelINS0_14default_configENS1_38merge_sort_block_merge_config_selectorImNS0_10empty_typeEEEZZNS1_27merge_sort_block_merge_implIS3_PmPS5_jNS1_19radix_merge_compareILb0ELb1EmNS0_19identity_decomposerEEEEE10hipError_tT0_T1_T2_jT3_P12ihipStream_tbPNSt15iterator_traitsISE_E10value_typeEPNSK_ISF_E10value_typeEPSG_NS1_7vsmem_tEENKUlT_SE_SF_SG_E_clIS8_S8_S9_S9_EESD_ST_SE_SF_SG_EUlST_E1_NS1_11comp_targetILNS1_3genE4ELNS1_11target_archE910ELNS1_3gpuE8ELNS1_3repE0EEENS1_36merge_oddeven_config_static_selectorELNS0_4arch9wavefront6targetE0EEEvSF_.has_indirect_call, 0
	.section	.AMDGPU.csdata,"",@progbits
; Kernel info:
; codeLenInByte = 0
; TotalNumSgprs: 0
; NumVgprs: 0
; ScratchSize: 0
; MemoryBound: 0
; FloatMode: 240
; IeeeMode: 1
; LDSByteSize: 0 bytes/workgroup (compile time only)
; SGPRBlocks: 0
; VGPRBlocks: 0
; NumSGPRsForWavesPerEU: 1
; NumVGPRsForWavesPerEU: 1
; NamedBarCnt: 0
; Occupancy: 16
; WaveLimiterHint : 0
; COMPUTE_PGM_RSRC2:SCRATCH_EN: 0
; COMPUTE_PGM_RSRC2:USER_SGPR: 2
; COMPUTE_PGM_RSRC2:TRAP_HANDLER: 0
; COMPUTE_PGM_RSRC2:TGID_X_EN: 1
; COMPUTE_PGM_RSRC2:TGID_Y_EN: 0
; COMPUTE_PGM_RSRC2:TGID_Z_EN: 0
; COMPUTE_PGM_RSRC2:TIDIG_COMP_CNT: 0
	.section	.text._ZN7rocprim17ROCPRIM_400000_NS6detail17trampoline_kernelINS0_14default_configENS1_38merge_sort_block_merge_config_selectorImNS0_10empty_typeEEEZZNS1_27merge_sort_block_merge_implIS3_PmPS5_jNS1_19radix_merge_compareILb0ELb1EmNS0_19identity_decomposerEEEEE10hipError_tT0_T1_T2_jT3_P12ihipStream_tbPNSt15iterator_traitsISE_E10value_typeEPNSK_ISF_E10value_typeEPSG_NS1_7vsmem_tEENKUlT_SE_SF_SG_E_clIS8_S8_S9_S9_EESD_ST_SE_SF_SG_EUlST_E1_NS1_11comp_targetILNS1_3genE3ELNS1_11target_archE908ELNS1_3gpuE7ELNS1_3repE0EEENS1_36merge_oddeven_config_static_selectorELNS0_4arch9wavefront6targetE0EEEvSF_,"axG",@progbits,_ZN7rocprim17ROCPRIM_400000_NS6detail17trampoline_kernelINS0_14default_configENS1_38merge_sort_block_merge_config_selectorImNS0_10empty_typeEEEZZNS1_27merge_sort_block_merge_implIS3_PmPS5_jNS1_19radix_merge_compareILb0ELb1EmNS0_19identity_decomposerEEEEE10hipError_tT0_T1_T2_jT3_P12ihipStream_tbPNSt15iterator_traitsISE_E10value_typeEPNSK_ISF_E10value_typeEPSG_NS1_7vsmem_tEENKUlT_SE_SF_SG_E_clIS8_S8_S9_S9_EESD_ST_SE_SF_SG_EUlST_E1_NS1_11comp_targetILNS1_3genE3ELNS1_11target_archE908ELNS1_3gpuE7ELNS1_3repE0EEENS1_36merge_oddeven_config_static_selectorELNS0_4arch9wavefront6targetE0EEEvSF_,comdat
	.protected	_ZN7rocprim17ROCPRIM_400000_NS6detail17trampoline_kernelINS0_14default_configENS1_38merge_sort_block_merge_config_selectorImNS0_10empty_typeEEEZZNS1_27merge_sort_block_merge_implIS3_PmPS5_jNS1_19radix_merge_compareILb0ELb1EmNS0_19identity_decomposerEEEEE10hipError_tT0_T1_T2_jT3_P12ihipStream_tbPNSt15iterator_traitsISE_E10value_typeEPNSK_ISF_E10value_typeEPSG_NS1_7vsmem_tEENKUlT_SE_SF_SG_E_clIS8_S8_S9_S9_EESD_ST_SE_SF_SG_EUlST_E1_NS1_11comp_targetILNS1_3genE3ELNS1_11target_archE908ELNS1_3gpuE7ELNS1_3repE0EEENS1_36merge_oddeven_config_static_selectorELNS0_4arch9wavefront6targetE0EEEvSF_ ; -- Begin function _ZN7rocprim17ROCPRIM_400000_NS6detail17trampoline_kernelINS0_14default_configENS1_38merge_sort_block_merge_config_selectorImNS0_10empty_typeEEEZZNS1_27merge_sort_block_merge_implIS3_PmPS5_jNS1_19radix_merge_compareILb0ELb1EmNS0_19identity_decomposerEEEEE10hipError_tT0_T1_T2_jT3_P12ihipStream_tbPNSt15iterator_traitsISE_E10value_typeEPNSK_ISF_E10value_typeEPSG_NS1_7vsmem_tEENKUlT_SE_SF_SG_E_clIS8_S8_S9_S9_EESD_ST_SE_SF_SG_EUlST_E1_NS1_11comp_targetILNS1_3genE3ELNS1_11target_archE908ELNS1_3gpuE7ELNS1_3repE0EEENS1_36merge_oddeven_config_static_selectorELNS0_4arch9wavefront6targetE0EEEvSF_
	.globl	_ZN7rocprim17ROCPRIM_400000_NS6detail17trampoline_kernelINS0_14default_configENS1_38merge_sort_block_merge_config_selectorImNS0_10empty_typeEEEZZNS1_27merge_sort_block_merge_implIS3_PmPS5_jNS1_19radix_merge_compareILb0ELb1EmNS0_19identity_decomposerEEEEE10hipError_tT0_T1_T2_jT3_P12ihipStream_tbPNSt15iterator_traitsISE_E10value_typeEPNSK_ISF_E10value_typeEPSG_NS1_7vsmem_tEENKUlT_SE_SF_SG_E_clIS8_S8_S9_S9_EESD_ST_SE_SF_SG_EUlST_E1_NS1_11comp_targetILNS1_3genE3ELNS1_11target_archE908ELNS1_3gpuE7ELNS1_3repE0EEENS1_36merge_oddeven_config_static_selectorELNS0_4arch9wavefront6targetE0EEEvSF_
	.p2align	8
	.type	_ZN7rocprim17ROCPRIM_400000_NS6detail17trampoline_kernelINS0_14default_configENS1_38merge_sort_block_merge_config_selectorImNS0_10empty_typeEEEZZNS1_27merge_sort_block_merge_implIS3_PmPS5_jNS1_19radix_merge_compareILb0ELb1EmNS0_19identity_decomposerEEEEE10hipError_tT0_T1_T2_jT3_P12ihipStream_tbPNSt15iterator_traitsISE_E10value_typeEPNSK_ISF_E10value_typeEPSG_NS1_7vsmem_tEENKUlT_SE_SF_SG_E_clIS8_S8_S9_S9_EESD_ST_SE_SF_SG_EUlST_E1_NS1_11comp_targetILNS1_3genE3ELNS1_11target_archE908ELNS1_3gpuE7ELNS1_3repE0EEENS1_36merge_oddeven_config_static_selectorELNS0_4arch9wavefront6targetE0EEEvSF_,@function
_ZN7rocprim17ROCPRIM_400000_NS6detail17trampoline_kernelINS0_14default_configENS1_38merge_sort_block_merge_config_selectorImNS0_10empty_typeEEEZZNS1_27merge_sort_block_merge_implIS3_PmPS5_jNS1_19radix_merge_compareILb0ELb1EmNS0_19identity_decomposerEEEEE10hipError_tT0_T1_T2_jT3_P12ihipStream_tbPNSt15iterator_traitsISE_E10value_typeEPNSK_ISF_E10value_typeEPSG_NS1_7vsmem_tEENKUlT_SE_SF_SG_E_clIS8_S8_S9_S9_EESD_ST_SE_SF_SG_EUlST_E1_NS1_11comp_targetILNS1_3genE3ELNS1_11target_archE908ELNS1_3gpuE7ELNS1_3repE0EEENS1_36merge_oddeven_config_static_selectorELNS0_4arch9wavefront6targetE0EEEvSF_: ; @_ZN7rocprim17ROCPRIM_400000_NS6detail17trampoline_kernelINS0_14default_configENS1_38merge_sort_block_merge_config_selectorImNS0_10empty_typeEEEZZNS1_27merge_sort_block_merge_implIS3_PmPS5_jNS1_19radix_merge_compareILb0ELb1EmNS0_19identity_decomposerEEEEE10hipError_tT0_T1_T2_jT3_P12ihipStream_tbPNSt15iterator_traitsISE_E10value_typeEPNSK_ISF_E10value_typeEPSG_NS1_7vsmem_tEENKUlT_SE_SF_SG_E_clIS8_S8_S9_S9_EESD_ST_SE_SF_SG_EUlST_E1_NS1_11comp_targetILNS1_3genE3ELNS1_11target_archE908ELNS1_3gpuE7ELNS1_3repE0EEENS1_36merge_oddeven_config_static_selectorELNS0_4arch9wavefront6targetE0EEEvSF_
; %bb.0:
	.section	.rodata,"a",@progbits
	.p2align	6, 0x0
	.amdhsa_kernel _ZN7rocprim17ROCPRIM_400000_NS6detail17trampoline_kernelINS0_14default_configENS1_38merge_sort_block_merge_config_selectorImNS0_10empty_typeEEEZZNS1_27merge_sort_block_merge_implIS3_PmPS5_jNS1_19radix_merge_compareILb0ELb1EmNS0_19identity_decomposerEEEEE10hipError_tT0_T1_T2_jT3_P12ihipStream_tbPNSt15iterator_traitsISE_E10value_typeEPNSK_ISF_E10value_typeEPSG_NS1_7vsmem_tEENKUlT_SE_SF_SG_E_clIS8_S8_S9_S9_EESD_ST_SE_SF_SG_EUlST_E1_NS1_11comp_targetILNS1_3genE3ELNS1_11target_archE908ELNS1_3gpuE7ELNS1_3repE0EEENS1_36merge_oddeven_config_static_selectorELNS0_4arch9wavefront6targetE0EEEvSF_
		.amdhsa_group_segment_fixed_size 0
		.amdhsa_private_segment_fixed_size 0
		.amdhsa_kernarg_size 48
		.amdhsa_user_sgpr_count 2
		.amdhsa_user_sgpr_dispatch_ptr 0
		.amdhsa_user_sgpr_queue_ptr 0
		.amdhsa_user_sgpr_kernarg_segment_ptr 1
		.amdhsa_user_sgpr_dispatch_id 0
		.amdhsa_user_sgpr_kernarg_preload_length 0
		.amdhsa_user_sgpr_kernarg_preload_offset 0
		.amdhsa_user_sgpr_private_segment_size 0
		.amdhsa_wavefront_size32 1
		.amdhsa_uses_dynamic_stack 0
		.amdhsa_enable_private_segment 0
		.amdhsa_system_sgpr_workgroup_id_x 1
		.amdhsa_system_sgpr_workgroup_id_y 0
		.amdhsa_system_sgpr_workgroup_id_z 0
		.amdhsa_system_sgpr_workgroup_info 0
		.amdhsa_system_vgpr_workitem_id 0
		.amdhsa_next_free_vgpr 1
		.amdhsa_next_free_sgpr 1
		.amdhsa_named_barrier_count 0
		.amdhsa_reserve_vcc 0
		.amdhsa_float_round_mode_32 0
		.amdhsa_float_round_mode_16_64 0
		.amdhsa_float_denorm_mode_32 3
		.amdhsa_float_denorm_mode_16_64 3
		.amdhsa_fp16_overflow 0
		.amdhsa_memory_ordered 1
		.amdhsa_forward_progress 1
		.amdhsa_inst_pref_size 0
		.amdhsa_round_robin_scheduling 0
		.amdhsa_exception_fp_ieee_invalid_op 0
		.amdhsa_exception_fp_denorm_src 0
		.amdhsa_exception_fp_ieee_div_zero 0
		.amdhsa_exception_fp_ieee_overflow 0
		.amdhsa_exception_fp_ieee_underflow 0
		.amdhsa_exception_fp_ieee_inexact 0
		.amdhsa_exception_int_div_zero 0
	.end_amdhsa_kernel
	.section	.text._ZN7rocprim17ROCPRIM_400000_NS6detail17trampoline_kernelINS0_14default_configENS1_38merge_sort_block_merge_config_selectorImNS0_10empty_typeEEEZZNS1_27merge_sort_block_merge_implIS3_PmPS5_jNS1_19radix_merge_compareILb0ELb1EmNS0_19identity_decomposerEEEEE10hipError_tT0_T1_T2_jT3_P12ihipStream_tbPNSt15iterator_traitsISE_E10value_typeEPNSK_ISF_E10value_typeEPSG_NS1_7vsmem_tEENKUlT_SE_SF_SG_E_clIS8_S8_S9_S9_EESD_ST_SE_SF_SG_EUlST_E1_NS1_11comp_targetILNS1_3genE3ELNS1_11target_archE908ELNS1_3gpuE7ELNS1_3repE0EEENS1_36merge_oddeven_config_static_selectorELNS0_4arch9wavefront6targetE0EEEvSF_,"axG",@progbits,_ZN7rocprim17ROCPRIM_400000_NS6detail17trampoline_kernelINS0_14default_configENS1_38merge_sort_block_merge_config_selectorImNS0_10empty_typeEEEZZNS1_27merge_sort_block_merge_implIS3_PmPS5_jNS1_19radix_merge_compareILb0ELb1EmNS0_19identity_decomposerEEEEE10hipError_tT0_T1_T2_jT3_P12ihipStream_tbPNSt15iterator_traitsISE_E10value_typeEPNSK_ISF_E10value_typeEPSG_NS1_7vsmem_tEENKUlT_SE_SF_SG_E_clIS8_S8_S9_S9_EESD_ST_SE_SF_SG_EUlST_E1_NS1_11comp_targetILNS1_3genE3ELNS1_11target_archE908ELNS1_3gpuE7ELNS1_3repE0EEENS1_36merge_oddeven_config_static_selectorELNS0_4arch9wavefront6targetE0EEEvSF_,comdat
.Lfunc_end2969:
	.size	_ZN7rocprim17ROCPRIM_400000_NS6detail17trampoline_kernelINS0_14default_configENS1_38merge_sort_block_merge_config_selectorImNS0_10empty_typeEEEZZNS1_27merge_sort_block_merge_implIS3_PmPS5_jNS1_19radix_merge_compareILb0ELb1EmNS0_19identity_decomposerEEEEE10hipError_tT0_T1_T2_jT3_P12ihipStream_tbPNSt15iterator_traitsISE_E10value_typeEPNSK_ISF_E10value_typeEPSG_NS1_7vsmem_tEENKUlT_SE_SF_SG_E_clIS8_S8_S9_S9_EESD_ST_SE_SF_SG_EUlST_E1_NS1_11comp_targetILNS1_3genE3ELNS1_11target_archE908ELNS1_3gpuE7ELNS1_3repE0EEENS1_36merge_oddeven_config_static_selectorELNS0_4arch9wavefront6targetE0EEEvSF_, .Lfunc_end2969-_ZN7rocprim17ROCPRIM_400000_NS6detail17trampoline_kernelINS0_14default_configENS1_38merge_sort_block_merge_config_selectorImNS0_10empty_typeEEEZZNS1_27merge_sort_block_merge_implIS3_PmPS5_jNS1_19radix_merge_compareILb0ELb1EmNS0_19identity_decomposerEEEEE10hipError_tT0_T1_T2_jT3_P12ihipStream_tbPNSt15iterator_traitsISE_E10value_typeEPNSK_ISF_E10value_typeEPSG_NS1_7vsmem_tEENKUlT_SE_SF_SG_E_clIS8_S8_S9_S9_EESD_ST_SE_SF_SG_EUlST_E1_NS1_11comp_targetILNS1_3genE3ELNS1_11target_archE908ELNS1_3gpuE7ELNS1_3repE0EEENS1_36merge_oddeven_config_static_selectorELNS0_4arch9wavefront6targetE0EEEvSF_
                                        ; -- End function
	.set _ZN7rocprim17ROCPRIM_400000_NS6detail17trampoline_kernelINS0_14default_configENS1_38merge_sort_block_merge_config_selectorImNS0_10empty_typeEEEZZNS1_27merge_sort_block_merge_implIS3_PmPS5_jNS1_19radix_merge_compareILb0ELb1EmNS0_19identity_decomposerEEEEE10hipError_tT0_T1_T2_jT3_P12ihipStream_tbPNSt15iterator_traitsISE_E10value_typeEPNSK_ISF_E10value_typeEPSG_NS1_7vsmem_tEENKUlT_SE_SF_SG_E_clIS8_S8_S9_S9_EESD_ST_SE_SF_SG_EUlST_E1_NS1_11comp_targetILNS1_3genE3ELNS1_11target_archE908ELNS1_3gpuE7ELNS1_3repE0EEENS1_36merge_oddeven_config_static_selectorELNS0_4arch9wavefront6targetE0EEEvSF_.num_vgpr, 0
	.set _ZN7rocprim17ROCPRIM_400000_NS6detail17trampoline_kernelINS0_14default_configENS1_38merge_sort_block_merge_config_selectorImNS0_10empty_typeEEEZZNS1_27merge_sort_block_merge_implIS3_PmPS5_jNS1_19radix_merge_compareILb0ELb1EmNS0_19identity_decomposerEEEEE10hipError_tT0_T1_T2_jT3_P12ihipStream_tbPNSt15iterator_traitsISE_E10value_typeEPNSK_ISF_E10value_typeEPSG_NS1_7vsmem_tEENKUlT_SE_SF_SG_E_clIS8_S8_S9_S9_EESD_ST_SE_SF_SG_EUlST_E1_NS1_11comp_targetILNS1_3genE3ELNS1_11target_archE908ELNS1_3gpuE7ELNS1_3repE0EEENS1_36merge_oddeven_config_static_selectorELNS0_4arch9wavefront6targetE0EEEvSF_.num_agpr, 0
	.set _ZN7rocprim17ROCPRIM_400000_NS6detail17trampoline_kernelINS0_14default_configENS1_38merge_sort_block_merge_config_selectorImNS0_10empty_typeEEEZZNS1_27merge_sort_block_merge_implIS3_PmPS5_jNS1_19radix_merge_compareILb0ELb1EmNS0_19identity_decomposerEEEEE10hipError_tT0_T1_T2_jT3_P12ihipStream_tbPNSt15iterator_traitsISE_E10value_typeEPNSK_ISF_E10value_typeEPSG_NS1_7vsmem_tEENKUlT_SE_SF_SG_E_clIS8_S8_S9_S9_EESD_ST_SE_SF_SG_EUlST_E1_NS1_11comp_targetILNS1_3genE3ELNS1_11target_archE908ELNS1_3gpuE7ELNS1_3repE0EEENS1_36merge_oddeven_config_static_selectorELNS0_4arch9wavefront6targetE0EEEvSF_.numbered_sgpr, 0
	.set _ZN7rocprim17ROCPRIM_400000_NS6detail17trampoline_kernelINS0_14default_configENS1_38merge_sort_block_merge_config_selectorImNS0_10empty_typeEEEZZNS1_27merge_sort_block_merge_implIS3_PmPS5_jNS1_19radix_merge_compareILb0ELb1EmNS0_19identity_decomposerEEEEE10hipError_tT0_T1_T2_jT3_P12ihipStream_tbPNSt15iterator_traitsISE_E10value_typeEPNSK_ISF_E10value_typeEPSG_NS1_7vsmem_tEENKUlT_SE_SF_SG_E_clIS8_S8_S9_S9_EESD_ST_SE_SF_SG_EUlST_E1_NS1_11comp_targetILNS1_3genE3ELNS1_11target_archE908ELNS1_3gpuE7ELNS1_3repE0EEENS1_36merge_oddeven_config_static_selectorELNS0_4arch9wavefront6targetE0EEEvSF_.num_named_barrier, 0
	.set _ZN7rocprim17ROCPRIM_400000_NS6detail17trampoline_kernelINS0_14default_configENS1_38merge_sort_block_merge_config_selectorImNS0_10empty_typeEEEZZNS1_27merge_sort_block_merge_implIS3_PmPS5_jNS1_19radix_merge_compareILb0ELb1EmNS0_19identity_decomposerEEEEE10hipError_tT0_T1_T2_jT3_P12ihipStream_tbPNSt15iterator_traitsISE_E10value_typeEPNSK_ISF_E10value_typeEPSG_NS1_7vsmem_tEENKUlT_SE_SF_SG_E_clIS8_S8_S9_S9_EESD_ST_SE_SF_SG_EUlST_E1_NS1_11comp_targetILNS1_3genE3ELNS1_11target_archE908ELNS1_3gpuE7ELNS1_3repE0EEENS1_36merge_oddeven_config_static_selectorELNS0_4arch9wavefront6targetE0EEEvSF_.private_seg_size, 0
	.set _ZN7rocprim17ROCPRIM_400000_NS6detail17trampoline_kernelINS0_14default_configENS1_38merge_sort_block_merge_config_selectorImNS0_10empty_typeEEEZZNS1_27merge_sort_block_merge_implIS3_PmPS5_jNS1_19radix_merge_compareILb0ELb1EmNS0_19identity_decomposerEEEEE10hipError_tT0_T1_T2_jT3_P12ihipStream_tbPNSt15iterator_traitsISE_E10value_typeEPNSK_ISF_E10value_typeEPSG_NS1_7vsmem_tEENKUlT_SE_SF_SG_E_clIS8_S8_S9_S9_EESD_ST_SE_SF_SG_EUlST_E1_NS1_11comp_targetILNS1_3genE3ELNS1_11target_archE908ELNS1_3gpuE7ELNS1_3repE0EEENS1_36merge_oddeven_config_static_selectorELNS0_4arch9wavefront6targetE0EEEvSF_.uses_vcc, 0
	.set _ZN7rocprim17ROCPRIM_400000_NS6detail17trampoline_kernelINS0_14default_configENS1_38merge_sort_block_merge_config_selectorImNS0_10empty_typeEEEZZNS1_27merge_sort_block_merge_implIS3_PmPS5_jNS1_19radix_merge_compareILb0ELb1EmNS0_19identity_decomposerEEEEE10hipError_tT0_T1_T2_jT3_P12ihipStream_tbPNSt15iterator_traitsISE_E10value_typeEPNSK_ISF_E10value_typeEPSG_NS1_7vsmem_tEENKUlT_SE_SF_SG_E_clIS8_S8_S9_S9_EESD_ST_SE_SF_SG_EUlST_E1_NS1_11comp_targetILNS1_3genE3ELNS1_11target_archE908ELNS1_3gpuE7ELNS1_3repE0EEENS1_36merge_oddeven_config_static_selectorELNS0_4arch9wavefront6targetE0EEEvSF_.uses_flat_scratch, 0
	.set _ZN7rocprim17ROCPRIM_400000_NS6detail17trampoline_kernelINS0_14default_configENS1_38merge_sort_block_merge_config_selectorImNS0_10empty_typeEEEZZNS1_27merge_sort_block_merge_implIS3_PmPS5_jNS1_19radix_merge_compareILb0ELb1EmNS0_19identity_decomposerEEEEE10hipError_tT0_T1_T2_jT3_P12ihipStream_tbPNSt15iterator_traitsISE_E10value_typeEPNSK_ISF_E10value_typeEPSG_NS1_7vsmem_tEENKUlT_SE_SF_SG_E_clIS8_S8_S9_S9_EESD_ST_SE_SF_SG_EUlST_E1_NS1_11comp_targetILNS1_3genE3ELNS1_11target_archE908ELNS1_3gpuE7ELNS1_3repE0EEENS1_36merge_oddeven_config_static_selectorELNS0_4arch9wavefront6targetE0EEEvSF_.has_dyn_sized_stack, 0
	.set _ZN7rocprim17ROCPRIM_400000_NS6detail17trampoline_kernelINS0_14default_configENS1_38merge_sort_block_merge_config_selectorImNS0_10empty_typeEEEZZNS1_27merge_sort_block_merge_implIS3_PmPS5_jNS1_19radix_merge_compareILb0ELb1EmNS0_19identity_decomposerEEEEE10hipError_tT0_T1_T2_jT3_P12ihipStream_tbPNSt15iterator_traitsISE_E10value_typeEPNSK_ISF_E10value_typeEPSG_NS1_7vsmem_tEENKUlT_SE_SF_SG_E_clIS8_S8_S9_S9_EESD_ST_SE_SF_SG_EUlST_E1_NS1_11comp_targetILNS1_3genE3ELNS1_11target_archE908ELNS1_3gpuE7ELNS1_3repE0EEENS1_36merge_oddeven_config_static_selectorELNS0_4arch9wavefront6targetE0EEEvSF_.has_recursion, 0
	.set _ZN7rocprim17ROCPRIM_400000_NS6detail17trampoline_kernelINS0_14default_configENS1_38merge_sort_block_merge_config_selectorImNS0_10empty_typeEEEZZNS1_27merge_sort_block_merge_implIS3_PmPS5_jNS1_19radix_merge_compareILb0ELb1EmNS0_19identity_decomposerEEEEE10hipError_tT0_T1_T2_jT3_P12ihipStream_tbPNSt15iterator_traitsISE_E10value_typeEPNSK_ISF_E10value_typeEPSG_NS1_7vsmem_tEENKUlT_SE_SF_SG_E_clIS8_S8_S9_S9_EESD_ST_SE_SF_SG_EUlST_E1_NS1_11comp_targetILNS1_3genE3ELNS1_11target_archE908ELNS1_3gpuE7ELNS1_3repE0EEENS1_36merge_oddeven_config_static_selectorELNS0_4arch9wavefront6targetE0EEEvSF_.has_indirect_call, 0
	.section	.AMDGPU.csdata,"",@progbits
; Kernel info:
; codeLenInByte = 0
; TotalNumSgprs: 0
; NumVgprs: 0
; ScratchSize: 0
; MemoryBound: 0
; FloatMode: 240
; IeeeMode: 1
; LDSByteSize: 0 bytes/workgroup (compile time only)
; SGPRBlocks: 0
; VGPRBlocks: 0
; NumSGPRsForWavesPerEU: 1
; NumVGPRsForWavesPerEU: 1
; NamedBarCnt: 0
; Occupancy: 16
; WaveLimiterHint : 0
; COMPUTE_PGM_RSRC2:SCRATCH_EN: 0
; COMPUTE_PGM_RSRC2:USER_SGPR: 2
; COMPUTE_PGM_RSRC2:TRAP_HANDLER: 0
; COMPUTE_PGM_RSRC2:TGID_X_EN: 1
; COMPUTE_PGM_RSRC2:TGID_Y_EN: 0
; COMPUTE_PGM_RSRC2:TGID_Z_EN: 0
; COMPUTE_PGM_RSRC2:TIDIG_COMP_CNT: 0
	.section	.text._ZN7rocprim17ROCPRIM_400000_NS6detail17trampoline_kernelINS0_14default_configENS1_38merge_sort_block_merge_config_selectorImNS0_10empty_typeEEEZZNS1_27merge_sort_block_merge_implIS3_PmPS5_jNS1_19radix_merge_compareILb0ELb1EmNS0_19identity_decomposerEEEEE10hipError_tT0_T1_T2_jT3_P12ihipStream_tbPNSt15iterator_traitsISE_E10value_typeEPNSK_ISF_E10value_typeEPSG_NS1_7vsmem_tEENKUlT_SE_SF_SG_E_clIS8_S8_S9_S9_EESD_ST_SE_SF_SG_EUlST_E1_NS1_11comp_targetILNS1_3genE2ELNS1_11target_archE906ELNS1_3gpuE6ELNS1_3repE0EEENS1_36merge_oddeven_config_static_selectorELNS0_4arch9wavefront6targetE0EEEvSF_,"axG",@progbits,_ZN7rocprim17ROCPRIM_400000_NS6detail17trampoline_kernelINS0_14default_configENS1_38merge_sort_block_merge_config_selectorImNS0_10empty_typeEEEZZNS1_27merge_sort_block_merge_implIS3_PmPS5_jNS1_19radix_merge_compareILb0ELb1EmNS0_19identity_decomposerEEEEE10hipError_tT0_T1_T2_jT3_P12ihipStream_tbPNSt15iterator_traitsISE_E10value_typeEPNSK_ISF_E10value_typeEPSG_NS1_7vsmem_tEENKUlT_SE_SF_SG_E_clIS8_S8_S9_S9_EESD_ST_SE_SF_SG_EUlST_E1_NS1_11comp_targetILNS1_3genE2ELNS1_11target_archE906ELNS1_3gpuE6ELNS1_3repE0EEENS1_36merge_oddeven_config_static_selectorELNS0_4arch9wavefront6targetE0EEEvSF_,comdat
	.protected	_ZN7rocprim17ROCPRIM_400000_NS6detail17trampoline_kernelINS0_14default_configENS1_38merge_sort_block_merge_config_selectorImNS0_10empty_typeEEEZZNS1_27merge_sort_block_merge_implIS3_PmPS5_jNS1_19radix_merge_compareILb0ELb1EmNS0_19identity_decomposerEEEEE10hipError_tT0_T1_T2_jT3_P12ihipStream_tbPNSt15iterator_traitsISE_E10value_typeEPNSK_ISF_E10value_typeEPSG_NS1_7vsmem_tEENKUlT_SE_SF_SG_E_clIS8_S8_S9_S9_EESD_ST_SE_SF_SG_EUlST_E1_NS1_11comp_targetILNS1_3genE2ELNS1_11target_archE906ELNS1_3gpuE6ELNS1_3repE0EEENS1_36merge_oddeven_config_static_selectorELNS0_4arch9wavefront6targetE0EEEvSF_ ; -- Begin function _ZN7rocprim17ROCPRIM_400000_NS6detail17trampoline_kernelINS0_14default_configENS1_38merge_sort_block_merge_config_selectorImNS0_10empty_typeEEEZZNS1_27merge_sort_block_merge_implIS3_PmPS5_jNS1_19radix_merge_compareILb0ELb1EmNS0_19identity_decomposerEEEEE10hipError_tT0_T1_T2_jT3_P12ihipStream_tbPNSt15iterator_traitsISE_E10value_typeEPNSK_ISF_E10value_typeEPSG_NS1_7vsmem_tEENKUlT_SE_SF_SG_E_clIS8_S8_S9_S9_EESD_ST_SE_SF_SG_EUlST_E1_NS1_11comp_targetILNS1_3genE2ELNS1_11target_archE906ELNS1_3gpuE6ELNS1_3repE0EEENS1_36merge_oddeven_config_static_selectorELNS0_4arch9wavefront6targetE0EEEvSF_
	.globl	_ZN7rocprim17ROCPRIM_400000_NS6detail17trampoline_kernelINS0_14default_configENS1_38merge_sort_block_merge_config_selectorImNS0_10empty_typeEEEZZNS1_27merge_sort_block_merge_implIS3_PmPS5_jNS1_19radix_merge_compareILb0ELb1EmNS0_19identity_decomposerEEEEE10hipError_tT0_T1_T2_jT3_P12ihipStream_tbPNSt15iterator_traitsISE_E10value_typeEPNSK_ISF_E10value_typeEPSG_NS1_7vsmem_tEENKUlT_SE_SF_SG_E_clIS8_S8_S9_S9_EESD_ST_SE_SF_SG_EUlST_E1_NS1_11comp_targetILNS1_3genE2ELNS1_11target_archE906ELNS1_3gpuE6ELNS1_3repE0EEENS1_36merge_oddeven_config_static_selectorELNS0_4arch9wavefront6targetE0EEEvSF_
	.p2align	8
	.type	_ZN7rocprim17ROCPRIM_400000_NS6detail17trampoline_kernelINS0_14default_configENS1_38merge_sort_block_merge_config_selectorImNS0_10empty_typeEEEZZNS1_27merge_sort_block_merge_implIS3_PmPS5_jNS1_19radix_merge_compareILb0ELb1EmNS0_19identity_decomposerEEEEE10hipError_tT0_T1_T2_jT3_P12ihipStream_tbPNSt15iterator_traitsISE_E10value_typeEPNSK_ISF_E10value_typeEPSG_NS1_7vsmem_tEENKUlT_SE_SF_SG_E_clIS8_S8_S9_S9_EESD_ST_SE_SF_SG_EUlST_E1_NS1_11comp_targetILNS1_3genE2ELNS1_11target_archE906ELNS1_3gpuE6ELNS1_3repE0EEENS1_36merge_oddeven_config_static_selectorELNS0_4arch9wavefront6targetE0EEEvSF_,@function
_ZN7rocprim17ROCPRIM_400000_NS6detail17trampoline_kernelINS0_14default_configENS1_38merge_sort_block_merge_config_selectorImNS0_10empty_typeEEEZZNS1_27merge_sort_block_merge_implIS3_PmPS5_jNS1_19radix_merge_compareILb0ELb1EmNS0_19identity_decomposerEEEEE10hipError_tT0_T1_T2_jT3_P12ihipStream_tbPNSt15iterator_traitsISE_E10value_typeEPNSK_ISF_E10value_typeEPSG_NS1_7vsmem_tEENKUlT_SE_SF_SG_E_clIS8_S8_S9_S9_EESD_ST_SE_SF_SG_EUlST_E1_NS1_11comp_targetILNS1_3genE2ELNS1_11target_archE906ELNS1_3gpuE6ELNS1_3repE0EEENS1_36merge_oddeven_config_static_selectorELNS0_4arch9wavefront6targetE0EEEvSF_: ; @_ZN7rocprim17ROCPRIM_400000_NS6detail17trampoline_kernelINS0_14default_configENS1_38merge_sort_block_merge_config_selectorImNS0_10empty_typeEEEZZNS1_27merge_sort_block_merge_implIS3_PmPS5_jNS1_19radix_merge_compareILb0ELb1EmNS0_19identity_decomposerEEEEE10hipError_tT0_T1_T2_jT3_P12ihipStream_tbPNSt15iterator_traitsISE_E10value_typeEPNSK_ISF_E10value_typeEPSG_NS1_7vsmem_tEENKUlT_SE_SF_SG_E_clIS8_S8_S9_S9_EESD_ST_SE_SF_SG_EUlST_E1_NS1_11comp_targetILNS1_3genE2ELNS1_11target_archE906ELNS1_3gpuE6ELNS1_3repE0EEENS1_36merge_oddeven_config_static_selectorELNS0_4arch9wavefront6targetE0EEEvSF_
; %bb.0:
	.section	.rodata,"a",@progbits
	.p2align	6, 0x0
	.amdhsa_kernel _ZN7rocprim17ROCPRIM_400000_NS6detail17trampoline_kernelINS0_14default_configENS1_38merge_sort_block_merge_config_selectorImNS0_10empty_typeEEEZZNS1_27merge_sort_block_merge_implIS3_PmPS5_jNS1_19radix_merge_compareILb0ELb1EmNS0_19identity_decomposerEEEEE10hipError_tT0_T1_T2_jT3_P12ihipStream_tbPNSt15iterator_traitsISE_E10value_typeEPNSK_ISF_E10value_typeEPSG_NS1_7vsmem_tEENKUlT_SE_SF_SG_E_clIS8_S8_S9_S9_EESD_ST_SE_SF_SG_EUlST_E1_NS1_11comp_targetILNS1_3genE2ELNS1_11target_archE906ELNS1_3gpuE6ELNS1_3repE0EEENS1_36merge_oddeven_config_static_selectorELNS0_4arch9wavefront6targetE0EEEvSF_
		.amdhsa_group_segment_fixed_size 0
		.amdhsa_private_segment_fixed_size 0
		.amdhsa_kernarg_size 48
		.amdhsa_user_sgpr_count 2
		.amdhsa_user_sgpr_dispatch_ptr 0
		.amdhsa_user_sgpr_queue_ptr 0
		.amdhsa_user_sgpr_kernarg_segment_ptr 1
		.amdhsa_user_sgpr_dispatch_id 0
		.amdhsa_user_sgpr_kernarg_preload_length 0
		.amdhsa_user_sgpr_kernarg_preload_offset 0
		.amdhsa_user_sgpr_private_segment_size 0
		.amdhsa_wavefront_size32 1
		.amdhsa_uses_dynamic_stack 0
		.amdhsa_enable_private_segment 0
		.amdhsa_system_sgpr_workgroup_id_x 1
		.amdhsa_system_sgpr_workgroup_id_y 0
		.amdhsa_system_sgpr_workgroup_id_z 0
		.amdhsa_system_sgpr_workgroup_info 0
		.amdhsa_system_vgpr_workitem_id 0
		.amdhsa_next_free_vgpr 1
		.amdhsa_next_free_sgpr 1
		.amdhsa_named_barrier_count 0
		.amdhsa_reserve_vcc 0
		.amdhsa_float_round_mode_32 0
		.amdhsa_float_round_mode_16_64 0
		.amdhsa_float_denorm_mode_32 3
		.amdhsa_float_denorm_mode_16_64 3
		.amdhsa_fp16_overflow 0
		.amdhsa_memory_ordered 1
		.amdhsa_forward_progress 1
		.amdhsa_inst_pref_size 0
		.amdhsa_round_robin_scheduling 0
		.amdhsa_exception_fp_ieee_invalid_op 0
		.amdhsa_exception_fp_denorm_src 0
		.amdhsa_exception_fp_ieee_div_zero 0
		.amdhsa_exception_fp_ieee_overflow 0
		.amdhsa_exception_fp_ieee_underflow 0
		.amdhsa_exception_fp_ieee_inexact 0
		.amdhsa_exception_int_div_zero 0
	.end_amdhsa_kernel
	.section	.text._ZN7rocprim17ROCPRIM_400000_NS6detail17trampoline_kernelINS0_14default_configENS1_38merge_sort_block_merge_config_selectorImNS0_10empty_typeEEEZZNS1_27merge_sort_block_merge_implIS3_PmPS5_jNS1_19radix_merge_compareILb0ELb1EmNS0_19identity_decomposerEEEEE10hipError_tT0_T1_T2_jT3_P12ihipStream_tbPNSt15iterator_traitsISE_E10value_typeEPNSK_ISF_E10value_typeEPSG_NS1_7vsmem_tEENKUlT_SE_SF_SG_E_clIS8_S8_S9_S9_EESD_ST_SE_SF_SG_EUlST_E1_NS1_11comp_targetILNS1_3genE2ELNS1_11target_archE906ELNS1_3gpuE6ELNS1_3repE0EEENS1_36merge_oddeven_config_static_selectorELNS0_4arch9wavefront6targetE0EEEvSF_,"axG",@progbits,_ZN7rocprim17ROCPRIM_400000_NS6detail17trampoline_kernelINS0_14default_configENS1_38merge_sort_block_merge_config_selectorImNS0_10empty_typeEEEZZNS1_27merge_sort_block_merge_implIS3_PmPS5_jNS1_19radix_merge_compareILb0ELb1EmNS0_19identity_decomposerEEEEE10hipError_tT0_T1_T2_jT3_P12ihipStream_tbPNSt15iterator_traitsISE_E10value_typeEPNSK_ISF_E10value_typeEPSG_NS1_7vsmem_tEENKUlT_SE_SF_SG_E_clIS8_S8_S9_S9_EESD_ST_SE_SF_SG_EUlST_E1_NS1_11comp_targetILNS1_3genE2ELNS1_11target_archE906ELNS1_3gpuE6ELNS1_3repE0EEENS1_36merge_oddeven_config_static_selectorELNS0_4arch9wavefront6targetE0EEEvSF_,comdat
.Lfunc_end2970:
	.size	_ZN7rocprim17ROCPRIM_400000_NS6detail17trampoline_kernelINS0_14default_configENS1_38merge_sort_block_merge_config_selectorImNS0_10empty_typeEEEZZNS1_27merge_sort_block_merge_implIS3_PmPS5_jNS1_19radix_merge_compareILb0ELb1EmNS0_19identity_decomposerEEEEE10hipError_tT0_T1_T2_jT3_P12ihipStream_tbPNSt15iterator_traitsISE_E10value_typeEPNSK_ISF_E10value_typeEPSG_NS1_7vsmem_tEENKUlT_SE_SF_SG_E_clIS8_S8_S9_S9_EESD_ST_SE_SF_SG_EUlST_E1_NS1_11comp_targetILNS1_3genE2ELNS1_11target_archE906ELNS1_3gpuE6ELNS1_3repE0EEENS1_36merge_oddeven_config_static_selectorELNS0_4arch9wavefront6targetE0EEEvSF_, .Lfunc_end2970-_ZN7rocprim17ROCPRIM_400000_NS6detail17trampoline_kernelINS0_14default_configENS1_38merge_sort_block_merge_config_selectorImNS0_10empty_typeEEEZZNS1_27merge_sort_block_merge_implIS3_PmPS5_jNS1_19radix_merge_compareILb0ELb1EmNS0_19identity_decomposerEEEEE10hipError_tT0_T1_T2_jT3_P12ihipStream_tbPNSt15iterator_traitsISE_E10value_typeEPNSK_ISF_E10value_typeEPSG_NS1_7vsmem_tEENKUlT_SE_SF_SG_E_clIS8_S8_S9_S9_EESD_ST_SE_SF_SG_EUlST_E1_NS1_11comp_targetILNS1_3genE2ELNS1_11target_archE906ELNS1_3gpuE6ELNS1_3repE0EEENS1_36merge_oddeven_config_static_selectorELNS0_4arch9wavefront6targetE0EEEvSF_
                                        ; -- End function
	.set _ZN7rocprim17ROCPRIM_400000_NS6detail17trampoline_kernelINS0_14default_configENS1_38merge_sort_block_merge_config_selectorImNS0_10empty_typeEEEZZNS1_27merge_sort_block_merge_implIS3_PmPS5_jNS1_19radix_merge_compareILb0ELb1EmNS0_19identity_decomposerEEEEE10hipError_tT0_T1_T2_jT3_P12ihipStream_tbPNSt15iterator_traitsISE_E10value_typeEPNSK_ISF_E10value_typeEPSG_NS1_7vsmem_tEENKUlT_SE_SF_SG_E_clIS8_S8_S9_S9_EESD_ST_SE_SF_SG_EUlST_E1_NS1_11comp_targetILNS1_3genE2ELNS1_11target_archE906ELNS1_3gpuE6ELNS1_3repE0EEENS1_36merge_oddeven_config_static_selectorELNS0_4arch9wavefront6targetE0EEEvSF_.num_vgpr, 0
	.set _ZN7rocprim17ROCPRIM_400000_NS6detail17trampoline_kernelINS0_14default_configENS1_38merge_sort_block_merge_config_selectorImNS0_10empty_typeEEEZZNS1_27merge_sort_block_merge_implIS3_PmPS5_jNS1_19radix_merge_compareILb0ELb1EmNS0_19identity_decomposerEEEEE10hipError_tT0_T1_T2_jT3_P12ihipStream_tbPNSt15iterator_traitsISE_E10value_typeEPNSK_ISF_E10value_typeEPSG_NS1_7vsmem_tEENKUlT_SE_SF_SG_E_clIS8_S8_S9_S9_EESD_ST_SE_SF_SG_EUlST_E1_NS1_11comp_targetILNS1_3genE2ELNS1_11target_archE906ELNS1_3gpuE6ELNS1_3repE0EEENS1_36merge_oddeven_config_static_selectorELNS0_4arch9wavefront6targetE0EEEvSF_.num_agpr, 0
	.set _ZN7rocprim17ROCPRIM_400000_NS6detail17trampoline_kernelINS0_14default_configENS1_38merge_sort_block_merge_config_selectorImNS0_10empty_typeEEEZZNS1_27merge_sort_block_merge_implIS3_PmPS5_jNS1_19radix_merge_compareILb0ELb1EmNS0_19identity_decomposerEEEEE10hipError_tT0_T1_T2_jT3_P12ihipStream_tbPNSt15iterator_traitsISE_E10value_typeEPNSK_ISF_E10value_typeEPSG_NS1_7vsmem_tEENKUlT_SE_SF_SG_E_clIS8_S8_S9_S9_EESD_ST_SE_SF_SG_EUlST_E1_NS1_11comp_targetILNS1_3genE2ELNS1_11target_archE906ELNS1_3gpuE6ELNS1_3repE0EEENS1_36merge_oddeven_config_static_selectorELNS0_4arch9wavefront6targetE0EEEvSF_.numbered_sgpr, 0
	.set _ZN7rocprim17ROCPRIM_400000_NS6detail17trampoline_kernelINS0_14default_configENS1_38merge_sort_block_merge_config_selectorImNS0_10empty_typeEEEZZNS1_27merge_sort_block_merge_implIS3_PmPS5_jNS1_19radix_merge_compareILb0ELb1EmNS0_19identity_decomposerEEEEE10hipError_tT0_T1_T2_jT3_P12ihipStream_tbPNSt15iterator_traitsISE_E10value_typeEPNSK_ISF_E10value_typeEPSG_NS1_7vsmem_tEENKUlT_SE_SF_SG_E_clIS8_S8_S9_S9_EESD_ST_SE_SF_SG_EUlST_E1_NS1_11comp_targetILNS1_3genE2ELNS1_11target_archE906ELNS1_3gpuE6ELNS1_3repE0EEENS1_36merge_oddeven_config_static_selectorELNS0_4arch9wavefront6targetE0EEEvSF_.num_named_barrier, 0
	.set _ZN7rocprim17ROCPRIM_400000_NS6detail17trampoline_kernelINS0_14default_configENS1_38merge_sort_block_merge_config_selectorImNS0_10empty_typeEEEZZNS1_27merge_sort_block_merge_implIS3_PmPS5_jNS1_19radix_merge_compareILb0ELb1EmNS0_19identity_decomposerEEEEE10hipError_tT0_T1_T2_jT3_P12ihipStream_tbPNSt15iterator_traitsISE_E10value_typeEPNSK_ISF_E10value_typeEPSG_NS1_7vsmem_tEENKUlT_SE_SF_SG_E_clIS8_S8_S9_S9_EESD_ST_SE_SF_SG_EUlST_E1_NS1_11comp_targetILNS1_3genE2ELNS1_11target_archE906ELNS1_3gpuE6ELNS1_3repE0EEENS1_36merge_oddeven_config_static_selectorELNS0_4arch9wavefront6targetE0EEEvSF_.private_seg_size, 0
	.set _ZN7rocprim17ROCPRIM_400000_NS6detail17trampoline_kernelINS0_14default_configENS1_38merge_sort_block_merge_config_selectorImNS0_10empty_typeEEEZZNS1_27merge_sort_block_merge_implIS3_PmPS5_jNS1_19radix_merge_compareILb0ELb1EmNS0_19identity_decomposerEEEEE10hipError_tT0_T1_T2_jT3_P12ihipStream_tbPNSt15iterator_traitsISE_E10value_typeEPNSK_ISF_E10value_typeEPSG_NS1_7vsmem_tEENKUlT_SE_SF_SG_E_clIS8_S8_S9_S9_EESD_ST_SE_SF_SG_EUlST_E1_NS1_11comp_targetILNS1_3genE2ELNS1_11target_archE906ELNS1_3gpuE6ELNS1_3repE0EEENS1_36merge_oddeven_config_static_selectorELNS0_4arch9wavefront6targetE0EEEvSF_.uses_vcc, 0
	.set _ZN7rocprim17ROCPRIM_400000_NS6detail17trampoline_kernelINS0_14default_configENS1_38merge_sort_block_merge_config_selectorImNS0_10empty_typeEEEZZNS1_27merge_sort_block_merge_implIS3_PmPS5_jNS1_19radix_merge_compareILb0ELb1EmNS0_19identity_decomposerEEEEE10hipError_tT0_T1_T2_jT3_P12ihipStream_tbPNSt15iterator_traitsISE_E10value_typeEPNSK_ISF_E10value_typeEPSG_NS1_7vsmem_tEENKUlT_SE_SF_SG_E_clIS8_S8_S9_S9_EESD_ST_SE_SF_SG_EUlST_E1_NS1_11comp_targetILNS1_3genE2ELNS1_11target_archE906ELNS1_3gpuE6ELNS1_3repE0EEENS1_36merge_oddeven_config_static_selectorELNS0_4arch9wavefront6targetE0EEEvSF_.uses_flat_scratch, 0
	.set _ZN7rocprim17ROCPRIM_400000_NS6detail17trampoline_kernelINS0_14default_configENS1_38merge_sort_block_merge_config_selectorImNS0_10empty_typeEEEZZNS1_27merge_sort_block_merge_implIS3_PmPS5_jNS1_19radix_merge_compareILb0ELb1EmNS0_19identity_decomposerEEEEE10hipError_tT0_T1_T2_jT3_P12ihipStream_tbPNSt15iterator_traitsISE_E10value_typeEPNSK_ISF_E10value_typeEPSG_NS1_7vsmem_tEENKUlT_SE_SF_SG_E_clIS8_S8_S9_S9_EESD_ST_SE_SF_SG_EUlST_E1_NS1_11comp_targetILNS1_3genE2ELNS1_11target_archE906ELNS1_3gpuE6ELNS1_3repE0EEENS1_36merge_oddeven_config_static_selectorELNS0_4arch9wavefront6targetE0EEEvSF_.has_dyn_sized_stack, 0
	.set _ZN7rocprim17ROCPRIM_400000_NS6detail17trampoline_kernelINS0_14default_configENS1_38merge_sort_block_merge_config_selectorImNS0_10empty_typeEEEZZNS1_27merge_sort_block_merge_implIS3_PmPS5_jNS1_19radix_merge_compareILb0ELb1EmNS0_19identity_decomposerEEEEE10hipError_tT0_T1_T2_jT3_P12ihipStream_tbPNSt15iterator_traitsISE_E10value_typeEPNSK_ISF_E10value_typeEPSG_NS1_7vsmem_tEENKUlT_SE_SF_SG_E_clIS8_S8_S9_S9_EESD_ST_SE_SF_SG_EUlST_E1_NS1_11comp_targetILNS1_3genE2ELNS1_11target_archE906ELNS1_3gpuE6ELNS1_3repE0EEENS1_36merge_oddeven_config_static_selectorELNS0_4arch9wavefront6targetE0EEEvSF_.has_recursion, 0
	.set _ZN7rocprim17ROCPRIM_400000_NS6detail17trampoline_kernelINS0_14default_configENS1_38merge_sort_block_merge_config_selectorImNS0_10empty_typeEEEZZNS1_27merge_sort_block_merge_implIS3_PmPS5_jNS1_19radix_merge_compareILb0ELb1EmNS0_19identity_decomposerEEEEE10hipError_tT0_T1_T2_jT3_P12ihipStream_tbPNSt15iterator_traitsISE_E10value_typeEPNSK_ISF_E10value_typeEPSG_NS1_7vsmem_tEENKUlT_SE_SF_SG_E_clIS8_S8_S9_S9_EESD_ST_SE_SF_SG_EUlST_E1_NS1_11comp_targetILNS1_3genE2ELNS1_11target_archE906ELNS1_3gpuE6ELNS1_3repE0EEENS1_36merge_oddeven_config_static_selectorELNS0_4arch9wavefront6targetE0EEEvSF_.has_indirect_call, 0
	.section	.AMDGPU.csdata,"",@progbits
; Kernel info:
; codeLenInByte = 0
; TotalNumSgprs: 0
; NumVgprs: 0
; ScratchSize: 0
; MemoryBound: 0
; FloatMode: 240
; IeeeMode: 1
; LDSByteSize: 0 bytes/workgroup (compile time only)
; SGPRBlocks: 0
; VGPRBlocks: 0
; NumSGPRsForWavesPerEU: 1
; NumVGPRsForWavesPerEU: 1
; NamedBarCnt: 0
; Occupancy: 16
; WaveLimiterHint : 0
; COMPUTE_PGM_RSRC2:SCRATCH_EN: 0
; COMPUTE_PGM_RSRC2:USER_SGPR: 2
; COMPUTE_PGM_RSRC2:TRAP_HANDLER: 0
; COMPUTE_PGM_RSRC2:TGID_X_EN: 1
; COMPUTE_PGM_RSRC2:TGID_Y_EN: 0
; COMPUTE_PGM_RSRC2:TGID_Z_EN: 0
; COMPUTE_PGM_RSRC2:TIDIG_COMP_CNT: 0
	.section	.text._ZN7rocprim17ROCPRIM_400000_NS6detail17trampoline_kernelINS0_14default_configENS1_38merge_sort_block_merge_config_selectorImNS0_10empty_typeEEEZZNS1_27merge_sort_block_merge_implIS3_PmPS5_jNS1_19radix_merge_compareILb0ELb1EmNS0_19identity_decomposerEEEEE10hipError_tT0_T1_T2_jT3_P12ihipStream_tbPNSt15iterator_traitsISE_E10value_typeEPNSK_ISF_E10value_typeEPSG_NS1_7vsmem_tEENKUlT_SE_SF_SG_E_clIS8_S8_S9_S9_EESD_ST_SE_SF_SG_EUlST_E1_NS1_11comp_targetILNS1_3genE9ELNS1_11target_archE1100ELNS1_3gpuE3ELNS1_3repE0EEENS1_36merge_oddeven_config_static_selectorELNS0_4arch9wavefront6targetE0EEEvSF_,"axG",@progbits,_ZN7rocprim17ROCPRIM_400000_NS6detail17trampoline_kernelINS0_14default_configENS1_38merge_sort_block_merge_config_selectorImNS0_10empty_typeEEEZZNS1_27merge_sort_block_merge_implIS3_PmPS5_jNS1_19radix_merge_compareILb0ELb1EmNS0_19identity_decomposerEEEEE10hipError_tT0_T1_T2_jT3_P12ihipStream_tbPNSt15iterator_traitsISE_E10value_typeEPNSK_ISF_E10value_typeEPSG_NS1_7vsmem_tEENKUlT_SE_SF_SG_E_clIS8_S8_S9_S9_EESD_ST_SE_SF_SG_EUlST_E1_NS1_11comp_targetILNS1_3genE9ELNS1_11target_archE1100ELNS1_3gpuE3ELNS1_3repE0EEENS1_36merge_oddeven_config_static_selectorELNS0_4arch9wavefront6targetE0EEEvSF_,comdat
	.protected	_ZN7rocprim17ROCPRIM_400000_NS6detail17trampoline_kernelINS0_14default_configENS1_38merge_sort_block_merge_config_selectorImNS0_10empty_typeEEEZZNS1_27merge_sort_block_merge_implIS3_PmPS5_jNS1_19radix_merge_compareILb0ELb1EmNS0_19identity_decomposerEEEEE10hipError_tT0_T1_T2_jT3_P12ihipStream_tbPNSt15iterator_traitsISE_E10value_typeEPNSK_ISF_E10value_typeEPSG_NS1_7vsmem_tEENKUlT_SE_SF_SG_E_clIS8_S8_S9_S9_EESD_ST_SE_SF_SG_EUlST_E1_NS1_11comp_targetILNS1_3genE9ELNS1_11target_archE1100ELNS1_3gpuE3ELNS1_3repE0EEENS1_36merge_oddeven_config_static_selectorELNS0_4arch9wavefront6targetE0EEEvSF_ ; -- Begin function _ZN7rocprim17ROCPRIM_400000_NS6detail17trampoline_kernelINS0_14default_configENS1_38merge_sort_block_merge_config_selectorImNS0_10empty_typeEEEZZNS1_27merge_sort_block_merge_implIS3_PmPS5_jNS1_19radix_merge_compareILb0ELb1EmNS0_19identity_decomposerEEEEE10hipError_tT0_T1_T2_jT3_P12ihipStream_tbPNSt15iterator_traitsISE_E10value_typeEPNSK_ISF_E10value_typeEPSG_NS1_7vsmem_tEENKUlT_SE_SF_SG_E_clIS8_S8_S9_S9_EESD_ST_SE_SF_SG_EUlST_E1_NS1_11comp_targetILNS1_3genE9ELNS1_11target_archE1100ELNS1_3gpuE3ELNS1_3repE0EEENS1_36merge_oddeven_config_static_selectorELNS0_4arch9wavefront6targetE0EEEvSF_
	.globl	_ZN7rocprim17ROCPRIM_400000_NS6detail17trampoline_kernelINS0_14default_configENS1_38merge_sort_block_merge_config_selectorImNS0_10empty_typeEEEZZNS1_27merge_sort_block_merge_implIS3_PmPS5_jNS1_19radix_merge_compareILb0ELb1EmNS0_19identity_decomposerEEEEE10hipError_tT0_T1_T2_jT3_P12ihipStream_tbPNSt15iterator_traitsISE_E10value_typeEPNSK_ISF_E10value_typeEPSG_NS1_7vsmem_tEENKUlT_SE_SF_SG_E_clIS8_S8_S9_S9_EESD_ST_SE_SF_SG_EUlST_E1_NS1_11comp_targetILNS1_3genE9ELNS1_11target_archE1100ELNS1_3gpuE3ELNS1_3repE0EEENS1_36merge_oddeven_config_static_selectorELNS0_4arch9wavefront6targetE0EEEvSF_
	.p2align	8
	.type	_ZN7rocprim17ROCPRIM_400000_NS6detail17trampoline_kernelINS0_14default_configENS1_38merge_sort_block_merge_config_selectorImNS0_10empty_typeEEEZZNS1_27merge_sort_block_merge_implIS3_PmPS5_jNS1_19radix_merge_compareILb0ELb1EmNS0_19identity_decomposerEEEEE10hipError_tT0_T1_T2_jT3_P12ihipStream_tbPNSt15iterator_traitsISE_E10value_typeEPNSK_ISF_E10value_typeEPSG_NS1_7vsmem_tEENKUlT_SE_SF_SG_E_clIS8_S8_S9_S9_EESD_ST_SE_SF_SG_EUlST_E1_NS1_11comp_targetILNS1_3genE9ELNS1_11target_archE1100ELNS1_3gpuE3ELNS1_3repE0EEENS1_36merge_oddeven_config_static_selectorELNS0_4arch9wavefront6targetE0EEEvSF_,@function
_ZN7rocprim17ROCPRIM_400000_NS6detail17trampoline_kernelINS0_14default_configENS1_38merge_sort_block_merge_config_selectorImNS0_10empty_typeEEEZZNS1_27merge_sort_block_merge_implIS3_PmPS5_jNS1_19radix_merge_compareILb0ELb1EmNS0_19identity_decomposerEEEEE10hipError_tT0_T1_T2_jT3_P12ihipStream_tbPNSt15iterator_traitsISE_E10value_typeEPNSK_ISF_E10value_typeEPSG_NS1_7vsmem_tEENKUlT_SE_SF_SG_E_clIS8_S8_S9_S9_EESD_ST_SE_SF_SG_EUlST_E1_NS1_11comp_targetILNS1_3genE9ELNS1_11target_archE1100ELNS1_3gpuE3ELNS1_3repE0EEENS1_36merge_oddeven_config_static_selectorELNS0_4arch9wavefront6targetE0EEEvSF_: ; @_ZN7rocprim17ROCPRIM_400000_NS6detail17trampoline_kernelINS0_14default_configENS1_38merge_sort_block_merge_config_selectorImNS0_10empty_typeEEEZZNS1_27merge_sort_block_merge_implIS3_PmPS5_jNS1_19radix_merge_compareILb0ELb1EmNS0_19identity_decomposerEEEEE10hipError_tT0_T1_T2_jT3_P12ihipStream_tbPNSt15iterator_traitsISE_E10value_typeEPNSK_ISF_E10value_typeEPSG_NS1_7vsmem_tEENKUlT_SE_SF_SG_E_clIS8_S8_S9_S9_EESD_ST_SE_SF_SG_EUlST_E1_NS1_11comp_targetILNS1_3genE9ELNS1_11target_archE1100ELNS1_3gpuE3ELNS1_3repE0EEENS1_36merge_oddeven_config_static_selectorELNS0_4arch9wavefront6targetE0EEEvSF_
; %bb.0:
	.section	.rodata,"a",@progbits
	.p2align	6, 0x0
	.amdhsa_kernel _ZN7rocprim17ROCPRIM_400000_NS6detail17trampoline_kernelINS0_14default_configENS1_38merge_sort_block_merge_config_selectorImNS0_10empty_typeEEEZZNS1_27merge_sort_block_merge_implIS3_PmPS5_jNS1_19radix_merge_compareILb0ELb1EmNS0_19identity_decomposerEEEEE10hipError_tT0_T1_T2_jT3_P12ihipStream_tbPNSt15iterator_traitsISE_E10value_typeEPNSK_ISF_E10value_typeEPSG_NS1_7vsmem_tEENKUlT_SE_SF_SG_E_clIS8_S8_S9_S9_EESD_ST_SE_SF_SG_EUlST_E1_NS1_11comp_targetILNS1_3genE9ELNS1_11target_archE1100ELNS1_3gpuE3ELNS1_3repE0EEENS1_36merge_oddeven_config_static_selectorELNS0_4arch9wavefront6targetE0EEEvSF_
		.amdhsa_group_segment_fixed_size 0
		.amdhsa_private_segment_fixed_size 0
		.amdhsa_kernarg_size 48
		.amdhsa_user_sgpr_count 2
		.amdhsa_user_sgpr_dispatch_ptr 0
		.amdhsa_user_sgpr_queue_ptr 0
		.amdhsa_user_sgpr_kernarg_segment_ptr 1
		.amdhsa_user_sgpr_dispatch_id 0
		.amdhsa_user_sgpr_kernarg_preload_length 0
		.amdhsa_user_sgpr_kernarg_preload_offset 0
		.amdhsa_user_sgpr_private_segment_size 0
		.amdhsa_wavefront_size32 1
		.amdhsa_uses_dynamic_stack 0
		.amdhsa_enable_private_segment 0
		.amdhsa_system_sgpr_workgroup_id_x 1
		.amdhsa_system_sgpr_workgroup_id_y 0
		.amdhsa_system_sgpr_workgroup_id_z 0
		.amdhsa_system_sgpr_workgroup_info 0
		.amdhsa_system_vgpr_workitem_id 0
		.amdhsa_next_free_vgpr 1
		.amdhsa_next_free_sgpr 1
		.amdhsa_named_barrier_count 0
		.amdhsa_reserve_vcc 0
		.amdhsa_float_round_mode_32 0
		.amdhsa_float_round_mode_16_64 0
		.amdhsa_float_denorm_mode_32 3
		.amdhsa_float_denorm_mode_16_64 3
		.amdhsa_fp16_overflow 0
		.amdhsa_memory_ordered 1
		.amdhsa_forward_progress 1
		.amdhsa_inst_pref_size 0
		.amdhsa_round_robin_scheduling 0
		.amdhsa_exception_fp_ieee_invalid_op 0
		.amdhsa_exception_fp_denorm_src 0
		.amdhsa_exception_fp_ieee_div_zero 0
		.amdhsa_exception_fp_ieee_overflow 0
		.amdhsa_exception_fp_ieee_underflow 0
		.amdhsa_exception_fp_ieee_inexact 0
		.amdhsa_exception_int_div_zero 0
	.end_amdhsa_kernel
	.section	.text._ZN7rocprim17ROCPRIM_400000_NS6detail17trampoline_kernelINS0_14default_configENS1_38merge_sort_block_merge_config_selectorImNS0_10empty_typeEEEZZNS1_27merge_sort_block_merge_implIS3_PmPS5_jNS1_19radix_merge_compareILb0ELb1EmNS0_19identity_decomposerEEEEE10hipError_tT0_T1_T2_jT3_P12ihipStream_tbPNSt15iterator_traitsISE_E10value_typeEPNSK_ISF_E10value_typeEPSG_NS1_7vsmem_tEENKUlT_SE_SF_SG_E_clIS8_S8_S9_S9_EESD_ST_SE_SF_SG_EUlST_E1_NS1_11comp_targetILNS1_3genE9ELNS1_11target_archE1100ELNS1_3gpuE3ELNS1_3repE0EEENS1_36merge_oddeven_config_static_selectorELNS0_4arch9wavefront6targetE0EEEvSF_,"axG",@progbits,_ZN7rocprim17ROCPRIM_400000_NS6detail17trampoline_kernelINS0_14default_configENS1_38merge_sort_block_merge_config_selectorImNS0_10empty_typeEEEZZNS1_27merge_sort_block_merge_implIS3_PmPS5_jNS1_19radix_merge_compareILb0ELb1EmNS0_19identity_decomposerEEEEE10hipError_tT0_T1_T2_jT3_P12ihipStream_tbPNSt15iterator_traitsISE_E10value_typeEPNSK_ISF_E10value_typeEPSG_NS1_7vsmem_tEENKUlT_SE_SF_SG_E_clIS8_S8_S9_S9_EESD_ST_SE_SF_SG_EUlST_E1_NS1_11comp_targetILNS1_3genE9ELNS1_11target_archE1100ELNS1_3gpuE3ELNS1_3repE0EEENS1_36merge_oddeven_config_static_selectorELNS0_4arch9wavefront6targetE0EEEvSF_,comdat
.Lfunc_end2971:
	.size	_ZN7rocprim17ROCPRIM_400000_NS6detail17trampoline_kernelINS0_14default_configENS1_38merge_sort_block_merge_config_selectorImNS0_10empty_typeEEEZZNS1_27merge_sort_block_merge_implIS3_PmPS5_jNS1_19radix_merge_compareILb0ELb1EmNS0_19identity_decomposerEEEEE10hipError_tT0_T1_T2_jT3_P12ihipStream_tbPNSt15iterator_traitsISE_E10value_typeEPNSK_ISF_E10value_typeEPSG_NS1_7vsmem_tEENKUlT_SE_SF_SG_E_clIS8_S8_S9_S9_EESD_ST_SE_SF_SG_EUlST_E1_NS1_11comp_targetILNS1_3genE9ELNS1_11target_archE1100ELNS1_3gpuE3ELNS1_3repE0EEENS1_36merge_oddeven_config_static_selectorELNS0_4arch9wavefront6targetE0EEEvSF_, .Lfunc_end2971-_ZN7rocprim17ROCPRIM_400000_NS6detail17trampoline_kernelINS0_14default_configENS1_38merge_sort_block_merge_config_selectorImNS0_10empty_typeEEEZZNS1_27merge_sort_block_merge_implIS3_PmPS5_jNS1_19radix_merge_compareILb0ELb1EmNS0_19identity_decomposerEEEEE10hipError_tT0_T1_T2_jT3_P12ihipStream_tbPNSt15iterator_traitsISE_E10value_typeEPNSK_ISF_E10value_typeEPSG_NS1_7vsmem_tEENKUlT_SE_SF_SG_E_clIS8_S8_S9_S9_EESD_ST_SE_SF_SG_EUlST_E1_NS1_11comp_targetILNS1_3genE9ELNS1_11target_archE1100ELNS1_3gpuE3ELNS1_3repE0EEENS1_36merge_oddeven_config_static_selectorELNS0_4arch9wavefront6targetE0EEEvSF_
                                        ; -- End function
	.set _ZN7rocprim17ROCPRIM_400000_NS6detail17trampoline_kernelINS0_14default_configENS1_38merge_sort_block_merge_config_selectorImNS0_10empty_typeEEEZZNS1_27merge_sort_block_merge_implIS3_PmPS5_jNS1_19radix_merge_compareILb0ELb1EmNS0_19identity_decomposerEEEEE10hipError_tT0_T1_T2_jT3_P12ihipStream_tbPNSt15iterator_traitsISE_E10value_typeEPNSK_ISF_E10value_typeEPSG_NS1_7vsmem_tEENKUlT_SE_SF_SG_E_clIS8_S8_S9_S9_EESD_ST_SE_SF_SG_EUlST_E1_NS1_11comp_targetILNS1_3genE9ELNS1_11target_archE1100ELNS1_3gpuE3ELNS1_3repE0EEENS1_36merge_oddeven_config_static_selectorELNS0_4arch9wavefront6targetE0EEEvSF_.num_vgpr, 0
	.set _ZN7rocprim17ROCPRIM_400000_NS6detail17trampoline_kernelINS0_14default_configENS1_38merge_sort_block_merge_config_selectorImNS0_10empty_typeEEEZZNS1_27merge_sort_block_merge_implIS3_PmPS5_jNS1_19radix_merge_compareILb0ELb1EmNS0_19identity_decomposerEEEEE10hipError_tT0_T1_T2_jT3_P12ihipStream_tbPNSt15iterator_traitsISE_E10value_typeEPNSK_ISF_E10value_typeEPSG_NS1_7vsmem_tEENKUlT_SE_SF_SG_E_clIS8_S8_S9_S9_EESD_ST_SE_SF_SG_EUlST_E1_NS1_11comp_targetILNS1_3genE9ELNS1_11target_archE1100ELNS1_3gpuE3ELNS1_3repE0EEENS1_36merge_oddeven_config_static_selectorELNS0_4arch9wavefront6targetE0EEEvSF_.num_agpr, 0
	.set _ZN7rocprim17ROCPRIM_400000_NS6detail17trampoline_kernelINS0_14default_configENS1_38merge_sort_block_merge_config_selectorImNS0_10empty_typeEEEZZNS1_27merge_sort_block_merge_implIS3_PmPS5_jNS1_19radix_merge_compareILb0ELb1EmNS0_19identity_decomposerEEEEE10hipError_tT0_T1_T2_jT3_P12ihipStream_tbPNSt15iterator_traitsISE_E10value_typeEPNSK_ISF_E10value_typeEPSG_NS1_7vsmem_tEENKUlT_SE_SF_SG_E_clIS8_S8_S9_S9_EESD_ST_SE_SF_SG_EUlST_E1_NS1_11comp_targetILNS1_3genE9ELNS1_11target_archE1100ELNS1_3gpuE3ELNS1_3repE0EEENS1_36merge_oddeven_config_static_selectorELNS0_4arch9wavefront6targetE0EEEvSF_.numbered_sgpr, 0
	.set _ZN7rocprim17ROCPRIM_400000_NS6detail17trampoline_kernelINS0_14default_configENS1_38merge_sort_block_merge_config_selectorImNS0_10empty_typeEEEZZNS1_27merge_sort_block_merge_implIS3_PmPS5_jNS1_19radix_merge_compareILb0ELb1EmNS0_19identity_decomposerEEEEE10hipError_tT0_T1_T2_jT3_P12ihipStream_tbPNSt15iterator_traitsISE_E10value_typeEPNSK_ISF_E10value_typeEPSG_NS1_7vsmem_tEENKUlT_SE_SF_SG_E_clIS8_S8_S9_S9_EESD_ST_SE_SF_SG_EUlST_E1_NS1_11comp_targetILNS1_3genE9ELNS1_11target_archE1100ELNS1_3gpuE3ELNS1_3repE0EEENS1_36merge_oddeven_config_static_selectorELNS0_4arch9wavefront6targetE0EEEvSF_.num_named_barrier, 0
	.set _ZN7rocprim17ROCPRIM_400000_NS6detail17trampoline_kernelINS0_14default_configENS1_38merge_sort_block_merge_config_selectorImNS0_10empty_typeEEEZZNS1_27merge_sort_block_merge_implIS3_PmPS5_jNS1_19radix_merge_compareILb0ELb1EmNS0_19identity_decomposerEEEEE10hipError_tT0_T1_T2_jT3_P12ihipStream_tbPNSt15iterator_traitsISE_E10value_typeEPNSK_ISF_E10value_typeEPSG_NS1_7vsmem_tEENKUlT_SE_SF_SG_E_clIS8_S8_S9_S9_EESD_ST_SE_SF_SG_EUlST_E1_NS1_11comp_targetILNS1_3genE9ELNS1_11target_archE1100ELNS1_3gpuE3ELNS1_3repE0EEENS1_36merge_oddeven_config_static_selectorELNS0_4arch9wavefront6targetE0EEEvSF_.private_seg_size, 0
	.set _ZN7rocprim17ROCPRIM_400000_NS6detail17trampoline_kernelINS0_14default_configENS1_38merge_sort_block_merge_config_selectorImNS0_10empty_typeEEEZZNS1_27merge_sort_block_merge_implIS3_PmPS5_jNS1_19radix_merge_compareILb0ELb1EmNS0_19identity_decomposerEEEEE10hipError_tT0_T1_T2_jT3_P12ihipStream_tbPNSt15iterator_traitsISE_E10value_typeEPNSK_ISF_E10value_typeEPSG_NS1_7vsmem_tEENKUlT_SE_SF_SG_E_clIS8_S8_S9_S9_EESD_ST_SE_SF_SG_EUlST_E1_NS1_11comp_targetILNS1_3genE9ELNS1_11target_archE1100ELNS1_3gpuE3ELNS1_3repE0EEENS1_36merge_oddeven_config_static_selectorELNS0_4arch9wavefront6targetE0EEEvSF_.uses_vcc, 0
	.set _ZN7rocprim17ROCPRIM_400000_NS6detail17trampoline_kernelINS0_14default_configENS1_38merge_sort_block_merge_config_selectorImNS0_10empty_typeEEEZZNS1_27merge_sort_block_merge_implIS3_PmPS5_jNS1_19radix_merge_compareILb0ELb1EmNS0_19identity_decomposerEEEEE10hipError_tT0_T1_T2_jT3_P12ihipStream_tbPNSt15iterator_traitsISE_E10value_typeEPNSK_ISF_E10value_typeEPSG_NS1_7vsmem_tEENKUlT_SE_SF_SG_E_clIS8_S8_S9_S9_EESD_ST_SE_SF_SG_EUlST_E1_NS1_11comp_targetILNS1_3genE9ELNS1_11target_archE1100ELNS1_3gpuE3ELNS1_3repE0EEENS1_36merge_oddeven_config_static_selectorELNS0_4arch9wavefront6targetE0EEEvSF_.uses_flat_scratch, 0
	.set _ZN7rocprim17ROCPRIM_400000_NS6detail17trampoline_kernelINS0_14default_configENS1_38merge_sort_block_merge_config_selectorImNS0_10empty_typeEEEZZNS1_27merge_sort_block_merge_implIS3_PmPS5_jNS1_19radix_merge_compareILb0ELb1EmNS0_19identity_decomposerEEEEE10hipError_tT0_T1_T2_jT3_P12ihipStream_tbPNSt15iterator_traitsISE_E10value_typeEPNSK_ISF_E10value_typeEPSG_NS1_7vsmem_tEENKUlT_SE_SF_SG_E_clIS8_S8_S9_S9_EESD_ST_SE_SF_SG_EUlST_E1_NS1_11comp_targetILNS1_3genE9ELNS1_11target_archE1100ELNS1_3gpuE3ELNS1_3repE0EEENS1_36merge_oddeven_config_static_selectorELNS0_4arch9wavefront6targetE0EEEvSF_.has_dyn_sized_stack, 0
	.set _ZN7rocprim17ROCPRIM_400000_NS6detail17trampoline_kernelINS0_14default_configENS1_38merge_sort_block_merge_config_selectorImNS0_10empty_typeEEEZZNS1_27merge_sort_block_merge_implIS3_PmPS5_jNS1_19radix_merge_compareILb0ELb1EmNS0_19identity_decomposerEEEEE10hipError_tT0_T1_T2_jT3_P12ihipStream_tbPNSt15iterator_traitsISE_E10value_typeEPNSK_ISF_E10value_typeEPSG_NS1_7vsmem_tEENKUlT_SE_SF_SG_E_clIS8_S8_S9_S9_EESD_ST_SE_SF_SG_EUlST_E1_NS1_11comp_targetILNS1_3genE9ELNS1_11target_archE1100ELNS1_3gpuE3ELNS1_3repE0EEENS1_36merge_oddeven_config_static_selectorELNS0_4arch9wavefront6targetE0EEEvSF_.has_recursion, 0
	.set _ZN7rocprim17ROCPRIM_400000_NS6detail17trampoline_kernelINS0_14default_configENS1_38merge_sort_block_merge_config_selectorImNS0_10empty_typeEEEZZNS1_27merge_sort_block_merge_implIS3_PmPS5_jNS1_19radix_merge_compareILb0ELb1EmNS0_19identity_decomposerEEEEE10hipError_tT0_T1_T2_jT3_P12ihipStream_tbPNSt15iterator_traitsISE_E10value_typeEPNSK_ISF_E10value_typeEPSG_NS1_7vsmem_tEENKUlT_SE_SF_SG_E_clIS8_S8_S9_S9_EESD_ST_SE_SF_SG_EUlST_E1_NS1_11comp_targetILNS1_3genE9ELNS1_11target_archE1100ELNS1_3gpuE3ELNS1_3repE0EEENS1_36merge_oddeven_config_static_selectorELNS0_4arch9wavefront6targetE0EEEvSF_.has_indirect_call, 0
	.section	.AMDGPU.csdata,"",@progbits
; Kernel info:
; codeLenInByte = 0
; TotalNumSgprs: 0
; NumVgprs: 0
; ScratchSize: 0
; MemoryBound: 0
; FloatMode: 240
; IeeeMode: 1
; LDSByteSize: 0 bytes/workgroup (compile time only)
; SGPRBlocks: 0
; VGPRBlocks: 0
; NumSGPRsForWavesPerEU: 1
; NumVGPRsForWavesPerEU: 1
; NamedBarCnt: 0
; Occupancy: 16
; WaveLimiterHint : 0
; COMPUTE_PGM_RSRC2:SCRATCH_EN: 0
; COMPUTE_PGM_RSRC2:USER_SGPR: 2
; COMPUTE_PGM_RSRC2:TRAP_HANDLER: 0
; COMPUTE_PGM_RSRC2:TGID_X_EN: 1
; COMPUTE_PGM_RSRC2:TGID_Y_EN: 0
; COMPUTE_PGM_RSRC2:TGID_Z_EN: 0
; COMPUTE_PGM_RSRC2:TIDIG_COMP_CNT: 0
	.section	.text._ZN7rocprim17ROCPRIM_400000_NS6detail17trampoline_kernelINS0_14default_configENS1_38merge_sort_block_merge_config_selectorImNS0_10empty_typeEEEZZNS1_27merge_sort_block_merge_implIS3_PmPS5_jNS1_19radix_merge_compareILb0ELb1EmNS0_19identity_decomposerEEEEE10hipError_tT0_T1_T2_jT3_P12ihipStream_tbPNSt15iterator_traitsISE_E10value_typeEPNSK_ISF_E10value_typeEPSG_NS1_7vsmem_tEENKUlT_SE_SF_SG_E_clIS8_S8_S9_S9_EESD_ST_SE_SF_SG_EUlST_E1_NS1_11comp_targetILNS1_3genE8ELNS1_11target_archE1030ELNS1_3gpuE2ELNS1_3repE0EEENS1_36merge_oddeven_config_static_selectorELNS0_4arch9wavefront6targetE0EEEvSF_,"axG",@progbits,_ZN7rocprim17ROCPRIM_400000_NS6detail17trampoline_kernelINS0_14default_configENS1_38merge_sort_block_merge_config_selectorImNS0_10empty_typeEEEZZNS1_27merge_sort_block_merge_implIS3_PmPS5_jNS1_19radix_merge_compareILb0ELb1EmNS0_19identity_decomposerEEEEE10hipError_tT0_T1_T2_jT3_P12ihipStream_tbPNSt15iterator_traitsISE_E10value_typeEPNSK_ISF_E10value_typeEPSG_NS1_7vsmem_tEENKUlT_SE_SF_SG_E_clIS8_S8_S9_S9_EESD_ST_SE_SF_SG_EUlST_E1_NS1_11comp_targetILNS1_3genE8ELNS1_11target_archE1030ELNS1_3gpuE2ELNS1_3repE0EEENS1_36merge_oddeven_config_static_selectorELNS0_4arch9wavefront6targetE0EEEvSF_,comdat
	.protected	_ZN7rocprim17ROCPRIM_400000_NS6detail17trampoline_kernelINS0_14default_configENS1_38merge_sort_block_merge_config_selectorImNS0_10empty_typeEEEZZNS1_27merge_sort_block_merge_implIS3_PmPS5_jNS1_19radix_merge_compareILb0ELb1EmNS0_19identity_decomposerEEEEE10hipError_tT0_T1_T2_jT3_P12ihipStream_tbPNSt15iterator_traitsISE_E10value_typeEPNSK_ISF_E10value_typeEPSG_NS1_7vsmem_tEENKUlT_SE_SF_SG_E_clIS8_S8_S9_S9_EESD_ST_SE_SF_SG_EUlST_E1_NS1_11comp_targetILNS1_3genE8ELNS1_11target_archE1030ELNS1_3gpuE2ELNS1_3repE0EEENS1_36merge_oddeven_config_static_selectorELNS0_4arch9wavefront6targetE0EEEvSF_ ; -- Begin function _ZN7rocprim17ROCPRIM_400000_NS6detail17trampoline_kernelINS0_14default_configENS1_38merge_sort_block_merge_config_selectorImNS0_10empty_typeEEEZZNS1_27merge_sort_block_merge_implIS3_PmPS5_jNS1_19radix_merge_compareILb0ELb1EmNS0_19identity_decomposerEEEEE10hipError_tT0_T1_T2_jT3_P12ihipStream_tbPNSt15iterator_traitsISE_E10value_typeEPNSK_ISF_E10value_typeEPSG_NS1_7vsmem_tEENKUlT_SE_SF_SG_E_clIS8_S8_S9_S9_EESD_ST_SE_SF_SG_EUlST_E1_NS1_11comp_targetILNS1_3genE8ELNS1_11target_archE1030ELNS1_3gpuE2ELNS1_3repE0EEENS1_36merge_oddeven_config_static_selectorELNS0_4arch9wavefront6targetE0EEEvSF_
	.globl	_ZN7rocprim17ROCPRIM_400000_NS6detail17trampoline_kernelINS0_14default_configENS1_38merge_sort_block_merge_config_selectorImNS0_10empty_typeEEEZZNS1_27merge_sort_block_merge_implIS3_PmPS5_jNS1_19radix_merge_compareILb0ELb1EmNS0_19identity_decomposerEEEEE10hipError_tT0_T1_T2_jT3_P12ihipStream_tbPNSt15iterator_traitsISE_E10value_typeEPNSK_ISF_E10value_typeEPSG_NS1_7vsmem_tEENKUlT_SE_SF_SG_E_clIS8_S8_S9_S9_EESD_ST_SE_SF_SG_EUlST_E1_NS1_11comp_targetILNS1_3genE8ELNS1_11target_archE1030ELNS1_3gpuE2ELNS1_3repE0EEENS1_36merge_oddeven_config_static_selectorELNS0_4arch9wavefront6targetE0EEEvSF_
	.p2align	8
	.type	_ZN7rocprim17ROCPRIM_400000_NS6detail17trampoline_kernelINS0_14default_configENS1_38merge_sort_block_merge_config_selectorImNS0_10empty_typeEEEZZNS1_27merge_sort_block_merge_implIS3_PmPS5_jNS1_19radix_merge_compareILb0ELb1EmNS0_19identity_decomposerEEEEE10hipError_tT0_T1_T2_jT3_P12ihipStream_tbPNSt15iterator_traitsISE_E10value_typeEPNSK_ISF_E10value_typeEPSG_NS1_7vsmem_tEENKUlT_SE_SF_SG_E_clIS8_S8_S9_S9_EESD_ST_SE_SF_SG_EUlST_E1_NS1_11comp_targetILNS1_3genE8ELNS1_11target_archE1030ELNS1_3gpuE2ELNS1_3repE0EEENS1_36merge_oddeven_config_static_selectorELNS0_4arch9wavefront6targetE0EEEvSF_,@function
_ZN7rocprim17ROCPRIM_400000_NS6detail17trampoline_kernelINS0_14default_configENS1_38merge_sort_block_merge_config_selectorImNS0_10empty_typeEEEZZNS1_27merge_sort_block_merge_implIS3_PmPS5_jNS1_19radix_merge_compareILb0ELb1EmNS0_19identity_decomposerEEEEE10hipError_tT0_T1_T2_jT3_P12ihipStream_tbPNSt15iterator_traitsISE_E10value_typeEPNSK_ISF_E10value_typeEPSG_NS1_7vsmem_tEENKUlT_SE_SF_SG_E_clIS8_S8_S9_S9_EESD_ST_SE_SF_SG_EUlST_E1_NS1_11comp_targetILNS1_3genE8ELNS1_11target_archE1030ELNS1_3gpuE2ELNS1_3repE0EEENS1_36merge_oddeven_config_static_selectorELNS0_4arch9wavefront6targetE0EEEvSF_: ; @_ZN7rocprim17ROCPRIM_400000_NS6detail17trampoline_kernelINS0_14default_configENS1_38merge_sort_block_merge_config_selectorImNS0_10empty_typeEEEZZNS1_27merge_sort_block_merge_implIS3_PmPS5_jNS1_19radix_merge_compareILb0ELb1EmNS0_19identity_decomposerEEEEE10hipError_tT0_T1_T2_jT3_P12ihipStream_tbPNSt15iterator_traitsISE_E10value_typeEPNSK_ISF_E10value_typeEPSG_NS1_7vsmem_tEENKUlT_SE_SF_SG_E_clIS8_S8_S9_S9_EESD_ST_SE_SF_SG_EUlST_E1_NS1_11comp_targetILNS1_3genE8ELNS1_11target_archE1030ELNS1_3gpuE2ELNS1_3repE0EEENS1_36merge_oddeven_config_static_selectorELNS0_4arch9wavefront6targetE0EEEvSF_
; %bb.0:
	.section	.rodata,"a",@progbits
	.p2align	6, 0x0
	.amdhsa_kernel _ZN7rocprim17ROCPRIM_400000_NS6detail17trampoline_kernelINS0_14default_configENS1_38merge_sort_block_merge_config_selectorImNS0_10empty_typeEEEZZNS1_27merge_sort_block_merge_implIS3_PmPS5_jNS1_19radix_merge_compareILb0ELb1EmNS0_19identity_decomposerEEEEE10hipError_tT0_T1_T2_jT3_P12ihipStream_tbPNSt15iterator_traitsISE_E10value_typeEPNSK_ISF_E10value_typeEPSG_NS1_7vsmem_tEENKUlT_SE_SF_SG_E_clIS8_S8_S9_S9_EESD_ST_SE_SF_SG_EUlST_E1_NS1_11comp_targetILNS1_3genE8ELNS1_11target_archE1030ELNS1_3gpuE2ELNS1_3repE0EEENS1_36merge_oddeven_config_static_selectorELNS0_4arch9wavefront6targetE0EEEvSF_
		.amdhsa_group_segment_fixed_size 0
		.amdhsa_private_segment_fixed_size 0
		.amdhsa_kernarg_size 48
		.amdhsa_user_sgpr_count 2
		.amdhsa_user_sgpr_dispatch_ptr 0
		.amdhsa_user_sgpr_queue_ptr 0
		.amdhsa_user_sgpr_kernarg_segment_ptr 1
		.amdhsa_user_sgpr_dispatch_id 0
		.amdhsa_user_sgpr_kernarg_preload_length 0
		.amdhsa_user_sgpr_kernarg_preload_offset 0
		.amdhsa_user_sgpr_private_segment_size 0
		.amdhsa_wavefront_size32 1
		.amdhsa_uses_dynamic_stack 0
		.amdhsa_enable_private_segment 0
		.amdhsa_system_sgpr_workgroup_id_x 1
		.amdhsa_system_sgpr_workgroup_id_y 0
		.amdhsa_system_sgpr_workgroup_id_z 0
		.amdhsa_system_sgpr_workgroup_info 0
		.amdhsa_system_vgpr_workitem_id 0
		.amdhsa_next_free_vgpr 1
		.amdhsa_next_free_sgpr 1
		.amdhsa_named_barrier_count 0
		.amdhsa_reserve_vcc 0
		.amdhsa_float_round_mode_32 0
		.amdhsa_float_round_mode_16_64 0
		.amdhsa_float_denorm_mode_32 3
		.amdhsa_float_denorm_mode_16_64 3
		.amdhsa_fp16_overflow 0
		.amdhsa_memory_ordered 1
		.amdhsa_forward_progress 1
		.amdhsa_inst_pref_size 0
		.amdhsa_round_robin_scheduling 0
		.amdhsa_exception_fp_ieee_invalid_op 0
		.amdhsa_exception_fp_denorm_src 0
		.amdhsa_exception_fp_ieee_div_zero 0
		.amdhsa_exception_fp_ieee_overflow 0
		.amdhsa_exception_fp_ieee_underflow 0
		.amdhsa_exception_fp_ieee_inexact 0
		.amdhsa_exception_int_div_zero 0
	.end_amdhsa_kernel
	.section	.text._ZN7rocprim17ROCPRIM_400000_NS6detail17trampoline_kernelINS0_14default_configENS1_38merge_sort_block_merge_config_selectorImNS0_10empty_typeEEEZZNS1_27merge_sort_block_merge_implIS3_PmPS5_jNS1_19radix_merge_compareILb0ELb1EmNS0_19identity_decomposerEEEEE10hipError_tT0_T1_T2_jT3_P12ihipStream_tbPNSt15iterator_traitsISE_E10value_typeEPNSK_ISF_E10value_typeEPSG_NS1_7vsmem_tEENKUlT_SE_SF_SG_E_clIS8_S8_S9_S9_EESD_ST_SE_SF_SG_EUlST_E1_NS1_11comp_targetILNS1_3genE8ELNS1_11target_archE1030ELNS1_3gpuE2ELNS1_3repE0EEENS1_36merge_oddeven_config_static_selectorELNS0_4arch9wavefront6targetE0EEEvSF_,"axG",@progbits,_ZN7rocprim17ROCPRIM_400000_NS6detail17trampoline_kernelINS0_14default_configENS1_38merge_sort_block_merge_config_selectorImNS0_10empty_typeEEEZZNS1_27merge_sort_block_merge_implIS3_PmPS5_jNS1_19radix_merge_compareILb0ELb1EmNS0_19identity_decomposerEEEEE10hipError_tT0_T1_T2_jT3_P12ihipStream_tbPNSt15iterator_traitsISE_E10value_typeEPNSK_ISF_E10value_typeEPSG_NS1_7vsmem_tEENKUlT_SE_SF_SG_E_clIS8_S8_S9_S9_EESD_ST_SE_SF_SG_EUlST_E1_NS1_11comp_targetILNS1_3genE8ELNS1_11target_archE1030ELNS1_3gpuE2ELNS1_3repE0EEENS1_36merge_oddeven_config_static_selectorELNS0_4arch9wavefront6targetE0EEEvSF_,comdat
.Lfunc_end2972:
	.size	_ZN7rocprim17ROCPRIM_400000_NS6detail17trampoline_kernelINS0_14default_configENS1_38merge_sort_block_merge_config_selectorImNS0_10empty_typeEEEZZNS1_27merge_sort_block_merge_implIS3_PmPS5_jNS1_19radix_merge_compareILb0ELb1EmNS0_19identity_decomposerEEEEE10hipError_tT0_T1_T2_jT3_P12ihipStream_tbPNSt15iterator_traitsISE_E10value_typeEPNSK_ISF_E10value_typeEPSG_NS1_7vsmem_tEENKUlT_SE_SF_SG_E_clIS8_S8_S9_S9_EESD_ST_SE_SF_SG_EUlST_E1_NS1_11comp_targetILNS1_3genE8ELNS1_11target_archE1030ELNS1_3gpuE2ELNS1_3repE0EEENS1_36merge_oddeven_config_static_selectorELNS0_4arch9wavefront6targetE0EEEvSF_, .Lfunc_end2972-_ZN7rocprim17ROCPRIM_400000_NS6detail17trampoline_kernelINS0_14default_configENS1_38merge_sort_block_merge_config_selectorImNS0_10empty_typeEEEZZNS1_27merge_sort_block_merge_implIS3_PmPS5_jNS1_19radix_merge_compareILb0ELb1EmNS0_19identity_decomposerEEEEE10hipError_tT0_T1_T2_jT3_P12ihipStream_tbPNSt15iterator_traitsISE_E10value_typeEPNSK_ISF_E10value_typeEPSG_NS1_7vsmem_tEENKUlT_SE_SF_SG_E_clIS8_S8_S9_S9_EESD_ST_SE_SF_SG_EUlST_E1_NS1_11comp_targetILNS1_3genE8ELNS1_11target_archE1030ELNS1_3gpuE2ELNS1_3repE0EEENS1_36merge_oddeven_config_static_selectorELNS0_4arch9wavefront6targetE0EEEvSF_
                                        ; -- End function
	.set _ZN7rocprim17ROCPRIM_400000_NS6detail17trampoline_kernelINS0_14default_configENS1_38merge_sort_block_merge_config_selectorImNS0_10empty_typeEEEZZNS1_27merge_sort_block_merge_implIS3_PmPS5_jNS1_19radix_merge_compareILb0ELb1EmNS0_19identity_decomposerEEEEE10hipError_tT0_T1_T2_jT3_P12ihipStream_tbPNSt15iterator_traitsISE_E10value_typeEPNSK_ISF_E10value_typeEPSG_NS1_7vsmem_tEENKUlT_SE_SF_SG_E_clIS8_S8_S9_S9_EESD_ST_SE_SF_SG_EUlST_E1_NS1_11comp_targetILNS1_3genE8ELNS1_11target_archE1030ELNS1_3gpuE2ELNS1_3repE0EEENS1_36merge_oddeven_config_static_selectorELNS0_4arch9wavefront6targetE0EEEvSF_.num_vgpr, 0
	.set _ZN7rocprim17ROCPRIM_400000_NS6detail17trampoline_kernelINS0_14default_configENS1_38merge_sort_block_merge_config_selectorImNS0_10empty_typeEEEZZNS1_27merge_sort_block_merge_implIS3_PmPS5_jNS1_19radix_merge_compareILb0ELb1EmNS0_19identity_decomposerEEEEE10hipError_tT0_T1_T2_jT3_P12ihipStream_tbPNSt15iterator_traitsISE_E10value_typeEPNSK_ISF_E10value_typeEPSG_NS1_7vsmem_tEENKUlT_SE_SF_SG_E_clIS8_S8_S9_S9_EESD_ST_SE_SF_SG_EUlST_E1_NS1_11comp_targetILNS1_3genE8ELNS1_11target_archE1030ELNS1_3gpuE2ELNS1_3repE0EEENS1_36merge_oddeven_config_static_selectorELNS0_4arch9wavefront6targetE0EEEvSF_.num_agpr, 0
	.set _ZN7rocprim17ROCPRIM_400000_NS6detail17trampoline_kernelINS0_14default_configENS1_38merge_sort_block_merge_config_selectorImNS0_10empty_typeEEEZZNS1_27merge_sort_block_merge_implIS3_PmPS5_jNS1_19radix_merge_compareILb0ELb1EmNS0_19identity_decomposerEEEEE10hipError_tT0_T1_T2_jT3_P12ihipStream_tbPNSt15iterator_traitsISE_E10value_typeEPNSK_ISF_E10value_typeEPSG_NS1_7vsmem_tEENKUlT_SE_SF_SG_E_clIS8_S8_S9_S9_EESD_ST_SE_SF_SG_EUlST_E1_NS1_11comp_targetILNS1_3genE8ELNS1_11target_archE1030ELNS1_3gpuE2ELNS1_3repE0EEENS1_36merge_oddeven_config_static_selectorELNS0_4arch9wavefront6targetE0EEEvSF_.numbered_sgpr, 0
	.set _ZN7rocprim17ROCPRIM_400000_NS6detail17trampoline_kernelINS0_14default_configENS1_38merge_sort_block_merge_config_selectorImNS0_10empty_typeEEEZZNS1_27merge_sort_block_merge_implIS3_PmPS5_jNS1_19radix_merge_compareILb0ELb1EmNS0_19identity_decomposerEEEEE10hipError_tT0_T1_T2_jT3_P12ihipStream_tbPNSt15iterator_traitsISE_E10value_typeEPNSK_ISF_E10value_typeEPSG_NS1_7vsmem_tEENKUlT_SE_SF_SG_E_clIS8_S8_S9_S9_EESD_ST_SE_SF_SG_EUlST_E1_NS1_11comp_targetILNS1_3genE8ELNS1_11target_archE1030ELNS1_3gpuE2ELNS1_3repE0EEENS1_36merge_oddeven_config_static_selectorELNS0_4arch9wavefront6targetE0EEEvSF_.num_named_barrier, 0
	.set _ZN7rocprim17ROCPRIM_400000_NS6detail17trampoline_kernelINS0_14default_configENS1_38merge_sort_block_merge_config_selectorImNS0_10empty_typeEEEZZNS1_27merge_sort_block_merge_implIS3_PmPS5_jNS1_19radix_merge_compareILb0ELb1EmNS0_19identity_decomposerEEEEE10hipError_tT0_T1_T2_jT3_P12ihipStream_tbPNSt15iterator_traitsISE_E10value_typeEPNSK_ISF_E10value_typeEPSG_NS1_7vsmem_tEENKUlT_SE_SF_SG_E_clIS8_S8_S9_S9_EESD_ST_SE_SF_SG_EUlST_E1_NS1_11comp_targetILNS1_3genE8ELNS1_11target_archE1030ELNS1_3gpuE2ELNS1_3repE0EEENS1_36merge_oddeven_config_static_selectorELNS0_4arch9wavefront6targetE0EEEvSF_.private_seg_size, 0
	.set _ZN7rocprim17ROCPRIM_400000_NS6detail17trampoline_kernelINS0_14default_configENS1_38merge_sort_block_merge_config_selectorImNS0_10empty_typeEEEZZNS1_27merge_sort_block_merge_implIS3_PmPS5_jNS1_19radix_merge_compareILb0ELb1EmNS0_19identity_decomposerEEEEE10hipError_tT0_T1_T2_jT3_P12ihipStream_tbPNSt15iterator_traitsISE_E10value_typeEPNSK_ISF_E10value_typeEPSG_NS1_7vsmem_tEENKUlT_SE_SF_SG_E_clIS8_S8_S9_S9_EESD_ST_SE_SF_SG_EUlST_E1_NS1_11comp_targetILNS1_3genE8ELNS1_11target_archE1030ELNS1_3gpuE2ELNS1_3repE0EEENS1_36merge_oddeven_config_static_selectorELNS0_4arch9wavefront6targetE0EEEvSF_.uses_vcc, 0
	.set _ZN7rocprim17ROCPRIM_400000_NS6detail17trampoline_kernelINS0_14default_configENS1_38merge_sort_block_merge_config_selectorImNS0_10empty_typeEEEZZNS1_27merge_sort_block_merge_implIS3_PmPS5_jNS1_19radix_merge_compareILb0ELb1EmNS0_19identity_decomposerEEEEE10hipError_tT0_T1_T2_jT3_P12ihipStream_tbPNSt15iterator_traitsISE_E10value_typeEPNSK_ISF_E10value_typeEPSG_NS1_7vsmem_tEENKUlT_SE_SF_SG_E_clIS8_S8_S9_S9_EESD_ST_SE_SF_SG_EUlST_E1_NS1_11comp_targetILNS1_3genE8ELNS1_11target_archE1030ELNS1_3gpuE2ELNS1_3repE0EEENS1_36merge_oddeven_config_static_selectorELNS0_4arch9wavefront6targetE0EEEvSF_.uses_flat_scratch, 0
	.set _ZN7rocprim17ROCPRIM_400000_NS6detail17trampoline_kernelINS0_14default_configENS1_38merge_sort_block_merge_config_selectorImNS0_10empty_typeEEEZZNS1_27merge_sort_block_merge_implIS3_PmPS5_jNS1_19radix_merge_compareILb0ELb1EmNS0_19identity_decomposerEEEEE10hipError_tT0_T1_T2_jT3_P12ihipStream_tbPNSt15iterator_traitsISE_E10value_typeEPNSK_ISF_E10value_typeEPSG_NS1_7vsmem_tEENKUlT_SE_SF_SG_E_clIS8_S8_S9_S9_EESD_ST_SE_SF_SG_EUlST_E1_NS1_11comp_targetILNS1_3genE8ELNS1_11target_archE1030ELNS1_3gpuE2ELNS1_3repE0EEENS1_36merge_oddeven_config_static_selectorELNS0_4arch9wavefront6targetE0EEEvSF_.has_dyn_sized_stack, 0
	.set _ZN7rocprim17ROCPRIM_400000_NS6detail17trampoline_kernelINS0_14default_configENS1_38merge_sort_block_merge_config_selectorImNS0_10empty_typeEEEZZNS1_27merge_sort_block_merge_implIS3_PmPS5_jNS1_19radix_merge_compareILb0ELb1EmNS0_19identity_decomposerEEEEE10hipError_tT0_T1_T2_jT3_P12ihipStream_tbPNSt15iterator_traitsISE_E10value_typeEPNSK_ISF_E10value_typeEPSG_NS1_7vsmem_tEENKUlT_SE_SF_SG_E_clIS8_S8_S9_S9_EESD_ST_SE_SF_SG_EUlST_E1_NS1_11comp_targetILNS1_3genE8ELNS1_11target_archE1030ELNS1_3gpuE2ELNS1_3repE0EEENS1_36merge_oddeven_config_static_selectorELNS0_4arch9wavefront6targetE0EEEvSF_.has_recursion, 0
	.set _ZN7rocprim17ROCPRIM_400000_NS6detail17trampoline_kernelINS0_14default_configENS1_38merge_sort_block_merge_config_selectorImNS0_10empty_typeEEEZZNS1_27merge_sort_block_merge_implIS3_PmPS5_jNS1_19radix_merge_compareILb0ELb1EmNS0_19identity_decomposerEEEEE10hipError_tT0_T1_T2_jT3_P12ihipStream_tbPNSt15iterator_traitsISE_E10value_typeEPNSK_ISF_E10value_typeEPSG_NS1_7vsmem_tEENKUlT_SE_SF_SG_E_clIS8_S8_S9_S9_EESD_ST_SE_SF_SG_EUlST_E1_NS1_11comp_targetILNS1_3genE8ELNS1_11target_archE1030ELNS1_3gpuE2ELNS1_3repE0EEENS1_36merge_oddeven_config_static_selectorELNS0_4arch9wavefront6targetE0EEEvSF_.has_indirect_call, 0
	.section	.AMDGPU.csdata,"",@progbits
; Kernel info:
; codeLenInByte = 0
; TotalNumSgprs: 0
; NumVgprs: 0
; ScratchSize: 0
; MemoryBound: 0
; FloatMode: 240
; IeeeMode: 1
; LDSByteSize: 0 bytes/workgroup (compile time only)
; SGPRBlocks: 0
; VGPRBlocks: 0
; NumSGPRsForWavesPerEU: 1
; NumVGPRsForWavesPerEU: 1
; NamedBarCnt: 0
; Occupancy: 16
; WaveLimiterHint : 0
; COMPUTE_PGM_RSRC2:SCRATCH_EN: 0
; COMPUTE_PGM_RSRC2:USER_SGPR: 2
; COMPUTE_PGM_RSRC2:TRAP_HANDLER: 0
; COMPUTE_PGM_RSRC2:TGID_X_EN: 1
; COMPUTE_PGM_RSRC2:TGID_Y_EN: 0
; COMPUTE_PGM_RSRC2:TGID_Z_EN: 0
; COMPUTE_PGM_RSRC2:TIDIG_COMP_CNT: 0
	.section	.text._ZN7rocprim17ROCPRIM_400000_NS6detail17trampoline_kernelINS0_14default_configENS1_35radix_sort_onesweep_config_selectorImNS0_10empty_typeEEEZNS1_34radix_sort_onesweep_global_offsetsIS3_Lb0EPKmPS5_mNS0_19identity_decomposerEEE10hipError_tT1_T2_PT3_SF_jT4_jjP12ihipStream_tbEUlT_E_NS1_11comp_targetILNS1_3genE0ELNS1_11target_archE4294967295ELNS1_3gpuE0ELNS1_3repE0EEENS1_52radix_sort_onesweep_histogram_config_static_selectorELNS0_4arch9wavefront6targetE0EEEvSD_,"axG",@progbits,_ZN7rocprim17ROCPRIM_400000_NS6detail17trampoline_kernelINS0_14default_configENS1_35radix_sort_onesweep_config_selectorImNS0_10empty_typeEEEZNS1_34radix_sort_onesweep_global_offsetsIS3_Lb0EPKmPS5_mNS0_19identity_decomposerEEE10hipError_tT1_T2_PT3_SF_jT4_jjP12ihipStream_tbEUlT_E_NS1_11comp_targetILNS1_3genE0ELNS1_11target_archE4294967295ELNS1_3gpuE0ELNS1_3repE0EEENS1_52radix_sort_onesweep_histogram_config_static_selectorELNS0_4arch9wavefront6targetE0EEEvSD_,comdat
	.protected	_ZN7rocprim17ROCPRIM_400000_NS6detail17trampoline_kernelINS0_14default_configENS1_35radix_sort_onesweep_config_selectorImNS0_10empty_typeEEEZNS1_34radix_sort_onesweep_global_offsetsIS3_Lb0EPKmPS5_mNS0_19identity_decomposerEEE10hipError_tT1_T2_PT3_SF_jT4_jjP12ihipStream_tbEUlT_E_NS1_11comp_targetILNS1_3genE0ELNS1_11target_archE4294967295ELNS1_3gpuE0ELNS1_3repE0EEENS1_52radix_sort_onesweep_histogram_config_static_selectorELNS0_4arch9wavefront6targetE0EEEvSD_ ; -- Begin function _ZN7rocprim17ROCPRIM_400000_NS6detail17trampoline_kernelINS0_14default_configENS1_35radix_sort_onesweep_config_selectorImNS0_10empty_typeEEEZNS1_34radix_sort_onesweep_global_offsetsIS3_Lb0EPKmPS5_mNS0_19identity_decomposerEEE10hipError_tT1_T2_PT3_SF_jT4_jjP12ihipStream_tbEUlT_E_NS1_11comp_targetILNS1_3genE0ELNS1_11target_archE4294967295ELNS1_3gpuE0ELNS1_3repE0EEENS1_52radix_sort_onesweep_histogram_config_static_selectorELNS0_4arch9wavefront6targetE0EEEvSD_
	.globl	_ZN7rocprim17ROCPRIM_400000_NS6detail17trampoline_kernelINS0_14default_configENS1_35radix_sort_onesweep_config_selectorImNS0_10empty_typeEEEZNS1_34radix_sort_onesweep_global_offsetsIS3_Lb0EPKmPS5_mNS0_19identity_decomposerEEE10hipError_tT1_T2_PT3_SF_jT4_jjP12ihipStream_tbEUlT_E_NS1_11comp_targetILNS1_3genE0ELNS1_11target_archE4294967295ELNS1_3gpuE0ELNS1_3repE0EEENS1_52radix_sort_onesweep_histogram_config_static_selectorELNS0_4arch9wavefront6targetE0EEEvSD_
	.p2align	8
	.type	_ZN7rocprim17ROCPRIM_400000_NS6detail17trampoline_kernelINS0_14default_configENS1_35radix_sort_onesweep_config_selectorImNS0_10empty_typeEEEZNS1_34radix_sort_onesweep_global_offsetsIS3_Lb0EPKmPS5_mNS0_19identity_decomposerEEE10hipError_tT1_T2_PT3_SF_jT4_jjP12ihipStream_tbEUlT_E_NS1_11comp_targetILNS1_3genE0ELNS1_11target_archE4294967295ELNS1_3gpuE0ELNS1_3repE0EEENS1_52radix_sort_onesweep_histogram_config_static_selectorELNS0_4arch9wavefront6targetE0EEEvSD_,@function
_ZN7rocprim17ROCPRIM_400000_NS6detail17trampoline_kernelINS0_14default_configENS1_35radix_sort_onesweep_config_selectorImNS0_10empty_typeEEEZNS1_34radix_sort_onesweep_global_offsetsIS3_Lb0EPKmPS5_mNS0_19identity_decomposerEEE10hipError_tT1_T2_PT3_SF_jT4_jjP12ihipStream_tbEUlT_E_NS1_11comp_targetILNS1_3genE0ELNS1_11target_archE4294967295ELNS1_3gpuE0ELNS1_3repE0EEENS1_52radix_sort_onesweep_histogram_config_static_selectorELNS0_4arch9wavefront6targetE0EEEvSD_: ; @_ZN7rocprim17ROCPRIM_400000_NS6detail17trampoline_kernelINS0_14default_configENS1_35radix_sort_onesweep_config_selectorImNS0_10empty_typeEEEZNS1_34radix_sort_onesweep_global_offsetsIS3_Lb0EPKmPS5_mNS0_19identity_decomposerEEE10hipError_tT1_T2_PT3_SF_jT4_jjP12ihipStream_tbEUlT_E_NS1_11comp_targetILNS1_3genE0ELNS1_11target_archE4294967295ELNS1_3gpuE0ELNS1_3repE0EEENS1_52radix_sort_onesweep_histogram_config_static_selectorELNS0_4arch9wavefront6targetE0EEEvSD_
; %bb.0:
	s_clause 0x1
	s_load_b64 s[8:9], s[0:1], 0x18
	s_load_b128 s[4:7], s[0:1], 0x0
	s_bfe_u32 s10, ttmp6, 0x4000c
	s_load_b64 s[2:3], s[0:1], 0x24
	s_add_co_i32 s10, s10, 1
	s_and_b32 s11, ttmp6, 15
	s_mul_i32 s10, ttmp9, s10
	s_getreg_b32 s12, hwreg(HW_REG_IB_STS2, 6, 4)
	s_add_co_i32 s10, s11, s10
	s_cmp_eq_u32 s12, 0
	s_mov_b32 s11, 0
	s_cselect_b32 s10, ttmp9, s10
	s_wait_kmcnt 0x0
	v_cmp_le_u64_e64 s9, s[8:9], s[10:11]
	s_lshl_b64 s[10:11], s[10:11], 15
	s_delay_alu instid0(SALU_CYCLE_1)
	s_add_nc_u64 s[4:5], s[4:5], s[10:11]
	s_and_b32 vcc_lo, exec_lo, s9
	s_mov_b32 s9, -1
	s_cbranch_vccz .LBB2973_321
; %bb.1:
	s_load_b32 s0, s[0:1], 0x10
	s_wait_xcnt 0x0
	s_lshl_b32 s1, s8, 12
                                        ; implicit-def: $vgpr16_vgpr17
	s_wait_kmcnt 0x0
	s_sub_co_i32 s1, s0, s1
	s_mov_b32 s0, exec_lo
	v_cmpx_gt_u32_e64 s1, v0
	s_cbranch_execz .LBB2973_3
; %bb.2:
	global_load_b64 v[16:17], v0, s[4:5] scale_offset
.LBB2973_3:
	s_wait_xcnt 0x0
	s_or_b32 exec_lo, exec_lo, s0
	v_or_b32_e32 v24, 0x200, v0
	s_mov_b32 s0, exec_lo
                                        ; implicit-def: $vgpr14_vgpr15
	s_delay_alu instid0(VALU_DEP_1)
	v_cmpx_gt_u32_e64 s1, v24
	s_cbranch_execz .LBB2973_5
; %bb.4:
	global_load_b64 v[14:15], v0, s[4:5] offset:4096 scale_offset
.LBB2973_5:
	s_wait_xcnt 0x0
	s_or_b32 exec_lo, exec_lo, s0
	v_or_b32_e32 v23, 0x400, v0
	s_mov_b32 s0, exec_lo
                                        ; implicit-def: $vgpr12_vgpr13
	s_delay_alu instid0(VALU_DEP_1)
	v_cmpx_gt_u32_e64 s1, v23
	s_cbranch_execz .LBB2973_7
; %bb.6:
	global_load_b64 v[12:13], v0, s[4:5] offset:8192 scale_offset
.LBB2973_7:
	s_wait_xcnt 0x0
	s_or_b32 exec_lo, exec_lo, s0
	v_or_b32_e32 v22, 0x600, v0
	s_mov_b32 s0, exec_lo
                                        ; implicit-def: $vgpr10_vgpr11
	s_delay_alu instid0(VALU_DEP_1)
	v_cmpx_gt_u32_e64 s1, v22
	s_cbranch_execz .LBB2973_9
; %bb.8:
	global_load_b64 v[10:11], v0, s[4:5] offset:12288 scale_offset
.LBB2973_9:
	s_wait_xcnt 0x0
	s_or_b32 exec_lo, exec_lo, s0
	v_or_b32_e32 v21, 0x800, v0
	s_mov_b32 s0, exec_lo
                                        ; implicit-def: $vgpr8_vgpr9
	s_delay_alu instid0(VALU_DEP_1)
	v_cmpx_gt_u32_e64 s1, v21
	s_cbranch_execz .LBB2973_11
; %bb.10:
	global_load_b64 v[8:9], v0, s[4:5] offset:16384 scale_offset
.LBB2973_11:
	s_wait_xcnt 0x0
	s_or_b32 exec_lo, exec_lo, s0
	v_or_b32_e32 v20, 0xa00, v0
	s_mov_b32 s0, exec_lo
                                        ; implicit-def: $vgpr6_vgpr7
	s_delay_alu instid0(VALU_DEP_1)
	v_cmpx_gt_u32_e64 s1, v20
	s_cbranch_execz .LBB2973_13
; %bb.12:
	global_load_b64 v[6:7], v0, s[4:5] offset:20480 scale_offset
.LBB2973_13:
	s_wait_xcnt 0x0
	s_or_b32 exec_lo, exec_lo, s0
	v_or_b32_e32 v19, 0xc00, v0
	s_mov_b32 s0, exec_lo
                                        ; implicit-def: $vgpr4_vgpr5
	s_delay_alu instid0(VALU_DEP_1)
	v_cmpx_gt_u32_e64 s1, v19
	s_cbranch_execz .LBB2973_15
; %bb.14:
	global_load_b64 v[4:5], v0, s[4:5] offset:24576 scale_offset
.LBB2973_15:
	s_wait_xcnt 0x0
	s_or_b32 exec_lo, exec_lo, s0
	v_or_b32_e32 v18, 0xe00, v0
	s_mov_b32 s0, exec_lo
                                        ; implicit-def: $vgpr2_vgpr3
	s_delay_alu instid0(VALU_DEP_1)
	v_cmpx_gt_u32_e64 s1, v18
	s_cbranch_execz .LBB2973_17
; %bb.16:
	global_load_b64 v[2:3], v0, s[4:5] offset:28672 scale_offset
.LBB2973_17:
	s_wait_xcnt 0x0
	s_or_b32 exec_lo, exec_lo, s0
	v_or_b32_e32 v1, 0xfffffe00, v0
	v_dual_mov_b32 v26, 0 :: v_dual_lshlrev_b32 v25, 2, v0
	s_mov_b32 s0, 0
.LBB2973_18:                            ; =>This Inner Loop Header: Depth=1
	s_delay_alu instid0(VALU_DEP_2) | instskip(SKIP_4) | instid1(SALU_CYCLE_1)
	v_add_nc_u32_e32 v1, 0x200, v1
	ds_store_b32 v25, v26
	v_add_nc_u32_e32 v25, 0x800, v25
	v_cmp_lt_u32_e32 vcc_lo, 0x1dff, v1
	s_or_b32 s0, vcc_lo, s0
	s_and_not1_b32 exec_lo, exec_lo, s0
	s_cbranch_execnz .LBB2973_18
; %bb.19:
	s_or_b32 exec_lo, exec_lo, s0
	s_cmp_le_u32 s3, s2
	v_cmp_le_u32_e32 vcc_lo, s1, v0
	s_cselect_b32 s8, -1, 0
	s_wait_loadcnt_dscnt 0x0
	s_and_b32 s0, s8, exec_lo
	s_cselect_b32 s9, 8, 10
	s_delay_alu instid0(SALU_CYCLE_1)
	v_dual_mov_b32 v25, s9 :: v_dual_bitop2_b32 v1, 3, v0 bitop3:0x40
	s_nor_b32 s10, s8, vcc_lo
	s_barrier_signal -1
	s_barrier_wait -1
	s_and_saveexec_b32 s0, s10
	s_cbranch_execz .LBB2973_21
; %bb.20:
	v_lshrrev_b64 v[26:27], s2, v[16:17]
	s_sub_co_i32 s10, s3, s2
	v_lshlrev_b32_e32 v25, 2, v1
	s_min_u32 s10, s10, 8
	s_delay_alu instid0(VALU_DEP_2) | instid1(SALU_CYCLE_1)
	v_bfe_u32 v26, v26, 0, s10
	s_delay_alu instid0(VALU_DEP_1)
	v_lshl_or_b32 v25, v26, 4, v25
	v_mov_b32_e32 v26, 1
	ds_add_u32 v25, v26
	v_mov_b32_e32 v25, 0
.LBB2973_21:
	s_or_b32 exec_lo, exec_lo, s0
	s_mov_b32 s11, -1
	s_mov_b32 s10, exec_lo
	s_delay_alu instid0(VALU_DEP_1)
	v_cmpx_gt_i32_e32 10, v25
; %bb.22:
	v_cmp_eq_u32_e64 s0, 0, v25
	s_or_not1_b32 s11, s0, exec_lo
; %bb.23:
	s_or_b32 exec_lo, exec_lo, s10
	s_and_saveexec_b32 s10, s11
	s_cbranch_execz .LBB2973_56
; %bb.24:
	s_add_co_i32 s11, s2, 8
	s_delay_alu instid0(SALU_CYCLE_1) | instskip(SKIP_1) | instid1(SALU_CYCLE_1)
	s_cmp_le_u32 s3, s11
	s_cselect_b32 s0, -1, 0
	s_and_b32 s12, s0, exec_lo
	s_cselect_b32 s12, 8, 10
	s_delay_alu instid0(SALU_CYCLE_1) | instskip(SKIP_1) | instid1(SALU_CYCLE_1)
	v_mov_b32_e32 v25, s12
	s_nor_b32 s12, s0, vcc_lo
	s_and_saveexec_b32 s0, s12
	s_cbranch_execz .LBB2973_26
; %bb.25:
	v_lshrrev_b64 v[26:27], s11, v[16:17]
	s_sub_co_i32 s11, s3, s11
	v_lshlrev_b32_e32 v25, 2, v1
	s_min_u32 s11, s11, 8
	s_delay_alu instid0(VALU_DEP_2) | instid1(SALU_CYCLE_1)
	v_bfe_u32 v26, v26, 0, s11
	s_delay_alu instid0(VALU_DEP_1)
	v_lshl_or_b32 v25, v26, 4, v25
	v_mov_b32_e32 v26, 1
	ds_add_u32 v25, v26 offset:4096
	v_mov_b32_e32 v25, 0
.LBB2973_26:
	s_or_b32 exec_lo, exec_lo, s0
	s_mov_b32 s11, -1
	s_mov_b32 s12, exec_lo
	s_delay_alu instid0(VALU_DEP_1)
	v_cmpx_gt_i32_e32 10, v25
; %bb.27:
	v_cmp_eq_u32_e64 s0, 0, v25
	s_or_not1_b32 s11, s0, exec_lo
; %bb.28:
	s_or_b32 exec_lo, exec_lo, s12
	s_delay_alu instid0(SALU_CYCLE_1)
	s_and_b32 exec_lo, exec_lo, s11
	s_cbranch_execz .LBB2973_56
; %bb.29:
	s_add_co_i32 s11, s2, 16
	s_delay_alu instid0(SALU_CYCLE_1) | instskip(SKIP_1) | instid1(SALU_CYCLE_1)
	s_cmp_le_u32 s3, s11
	s_cselect_b32 s0, -1, 0
	s_and_b32 s12, s0, exec_lo
	s_cselect_b32 s12, 8, 10
	s_delay_alu instid0(SALU_CYCLE_1) | instskip(SKIP_1) | instid1(SALU_CYCLE_1)
	v_mov_b32_e32 v25, s12
	s_nor_b32 s12, s0, vcc_lo
	s_and_saveexec_b32 s0, s12
	s_cbranch_execz .LBB2973_31
; %bb.30:
	v_lshrrev_b64 v[26:27], s11, v[16:17]
	s_sub_co_i32 s11, s3, s11
	v_lshlrev_b32_e32 v25, 2, v1
	s_min_u32 s11, s11, 8
	s_delay_alu instid0(VALU_DEP_2) | instid1(SALU_CYCLE_1)
	v_bfe_u32 v26, v26, 0, s11
	s_delay_alu instid0(VALU_DEP_1)
	v_lshl_or_b32 v25, v26, 4, v25
	v_mov_b32_e32 v26, 1
	ds_add_u32 v25, v26 offset:8192
	v_mov_b32_e32 v25, 0
.LBB2973_31:
	s_or_b32 exec_lo, exec_lo, s0
	s_mov_b32 s11, -1
	s_mov_b32 s12, exec_lo
	s_delay_alu instid0(VALU_DEP_1)
	v_cmpx_gt_i32_e32 10, v25
; %bb.32:
	v_cmp_eq_u32_e64 s0, 0, v25
	s_or_not1_b32 s11, s0, exec_lo
; %bb.33:
	s_or_b32 exec_lo, exec_lo, s12
	s_delay_alu instid0(SALU_CYCLE_1)
	s_and_b32 exec_lo, exec_lo, s11
	;; [unrolled: 38-line block ×6, first 2 shown]
	s_cbranch_execz .LBB2973_56
; %bb.54:
	s_add_co_i32 s0, s2, 56
	s_delay_alu instid0(SALU_CYCLE_1) | instskip(SKIP_2) | instid1(SALU_CYCLE_1)
	s_cmp_gt_u32 s3, s0
	s_cselect_b32 s11, -1, 0
	s_xor_b32 s12, vcc_lo, -1
	s_and_b32 s11, s11, s12
	s_delay_alu instid0(SALU_CYCLE_1)
	s_and_b32 exec_lo, exec_lo, s11
	s_cbranch_execz .LBB2973_56
; %bb.55:
	v_lshrrev_b64 v[16:17], s0, v[16:17]
	s_sub_co_i32 s0, s3, s0
	v_lshlrev_b32_e32 v17, 2, v1
	s_min_u32 s0, s0, 8
	s_delay_alu instid0(VALU_DEP_2) | instid1(SALU_CYCLE_1)
	v_bfe_u32 v16, v16, 0, s0
	s_delay_alu instid0(VALU_DEP_1)
	v_lshl_or_b32 v16, v16, 4, v17
	v_mov_b32_e32 v17, 1
	ds_add_u32 v16, v17 offset:28672
.LBB2973_56:
	s_or_b32 exec_lo, exec_lo, s10
	v_cmp_le_u32_e32 vcc_lo, s1, v24
	v_mov_b32_e32 v16, s9
	s_nor_b32 s10, s8, vcc_lo
	s_delay_alu instid0(SALU_CYCLE_1)
	s_and_saveexec_b32 s0, s10
	s_cbranch_execz .LBB2973_58
; %bb.57:
	v_lshrrev_b64 v[16:17], s2, v[14:15]
	s_sub_co_i32 s10, s3, s2
	v_lshlrev_b32_e32 v17, 2, v1
	s_min_u32 s10, s10, 8
	s_delay_alu instid0(VALU_DEP_2) | instid1(SALU_CYCLE_1)
	v_bfe_u32 v16, v16, 0, s10
	s_delay_alu instid0(VALU_DEP_1)
	v_lshl_or_b32 v16, v16, 4, v17
	v_mov_b32_e32 v17, 1
	ds_add_u32 v16, v17
	v_mov_b32_e32 v16, 0
.LBB2973_58:
	s_or_b32 exec_lo, exec_lo, s0
	s_mov_b32 s11, -1
	s_mov_b32 s10, exec_lo
	s_delay_alu instid0(VALU_DEP_1)
	v_cmpx_gt_i32_e32 10, v16
; %bb.59:
	v_cmp_eq_u32_e64 s0, 0, v16
	s_or_not1_b32 s11, s0, exec_lo
; %bb.60:
	s_or_b32 exec_lo, exec_lo, s10
	s_and_saveexec_b32 s10, s11
	s_cbranch_execz .LBB2973_93
; %bb.61:
	s_add_co_i32 s11, s2, 8
	s_delay_alu instid0(SALU_CYCLE_1) | instskip(SKIP_1) | instid1(SALU_CYCLE_1)
	s_cmp_le_u32 s3, s11
	s_cselect_b32 s0, -1, 0
	s_and_b32 s12, s0, exec_lo
	s_cselect_b32 s12, 8, 10
	s_delay_alu instid0(SALU_CYCLE_1) | instskip(SKIP_1) | instid1(SALU_CYCLE_1)
	v_mov_b32_e32 v16, s12
	s_nor_b32 s12, s0, vcc_lo
	s_and_saveexec_b32 s0, s12
	s_cbranch_execz .LBB2973_63
; %bb.62:
	v_lshrrev_b64 v[16:17], s11, v[14:15]
	s_sub_co_i32 s11, s3, s11
	v_lshlrev_b32_e32 v17, 2, v1
	s_min_u32 s11, s11, 8
	s_delay_alu instid0(VALU_DEP_2) | instid1(SALU_CYCLE_1)
	v_bfe_u32 v16, v16, 0, s11
	s_delay_alu instid0(VALU_DEP_1)
	v_lshl_or_b32 v16, v16, 4, v17
	v_mov_b32_e32 v17, 1
	ds_add_u32 v16, v17 offset:4096
	v_mov_b32_e32 v16, 0
.LBB2973_63:
	s_or_b32 exec_lo, exec_lo, s0
	s_mov_b32 s11, -1
	s_mov_b32 s12, exec_lo
	s_delay_alu instid0(VALU_DEP_1)
	v_cmpx_gt_i32_e32 10, v16
; %bb.64:
	v_cmp_eq_u32_e64 s0, 0, v16
	s_or_not1_b32 s11, s0, exec_lo
; %bb.65:
	s_or_b32 exec_lo, exec_lo, s12
	s_delay_alu instid0(SALU_CYCLE_1)
	s_and_b32 exec_lo, exec_lo, s11
	s_cbranch_execz .LBB2973_93
; %bb.66:
	s_add_co_i32 s11, s2, 16
	s_delay_alu instid0(SALU_CYCLE_1) | instskip(SKIP_1) | instid1(SALU_CYCLE_1)
	s_cmp_le_u32 s3, s11
	s_cselect_b32 s0, -1, 0
	s_and_b32 s12, s0, exec_lo
	s_cselect_b32 s12, 8, 10
	s_delay_alu instid0(SALU_CYCLE_1) | instskip(SKIP_1) | instid1(SALU_CYCLE_1)
	v_mov_b32_e32 v16, s12
	s_nor_b32 s12, s0, vcc_lo
	s_and_saveexec_b32 s0, s12
	s_cbranch_execz .LBB2973_68
; %bb.67:
	v_lshrrev_b64 v[16:17], s11, v[14:15]
	s_sub_co_i32 s11, s3, s11
	v_lshlrev_b32_e32 v17, 2, v1
	s_min_u32 s11, s11, 8
	s_delay_alu instid0(VALU_DEP_2) | instid1(SALU_CYCLE_1)
	v_bfe_u32 v16, v16, 0, s11
	s_delay_alu instid0(VALU_DEP_1)
	v_lshl_or_b32 v16, v16, 4, v17
	v_mov_b32_e32 v17, 1
	ds_add_u32 v16, v17 offset:8192
	v_mov_b32_e32 v16, 0
.LBB2973_68:
	s_or_b32 exec_lo, exec_lo, s0
	s_mov_b32 s11, -1
	s_mov_b32 s12, exec_lo
	s_delay_alu instid0(VALU_DEP_1)
	v_cmpx_gt_i32_e32 10, v16
; %bb.69:
	v_cmp_eq_u32_e64 s0, 0, v16
	s_or_not1_b32 s11, s0, exec_lo
; %bb.70:
	s_or_b32 exec_lo, exec_lo, s12
	s_delay_alu instid0(SALU_CYCLE_1)
	s_and_b32 exec_lo, exec_lo, s11
	s_cbranch_execz .LBB2973_93
; %bb.71:
	s_add_co_i32 s11, s2, 24
	s_delay_alu instid0(SALU_CYCLE_1) | instskip(SKIP_1) | instid1(SALU_CYCLE_1)
	s_cmp_le_u32 s3, s11
	s_cselect_b32 s0, -1, 0
	s_and_b32 s12, s0, exec_lo
	s_cselect_b32 s12, 8, 10
	s_delay_alu instid0(SALU_CYCLE_1) | instskip(SKIP_1) | instid1(SALU_CYCLE_1)
	v_mov_b32_e32 v16, s12
	s_nor_b32 s12, s0, vcc_lo
	s_and_saveexec_b32 s0, s12
	s_cbranch_execz .LBB2973_73
; %bb.72:
	v_lshrrev_b64 v[16:17], s11, v[14:15]
	s_sub_co_i32 s11, s3, s11
	v_lshlrev_b32_e32 v17, 2, v1
	s_min_u32 s11, s11, 8
	s_delay_alu instid0(VALU_DEP_2) | instid1(SALU_CYCLE_1)
	v_bfe_u32 v16, v16, 0, s11
	s_delay_alu instid0(VALU_DEP_1)
	v_lshl_or_b32 v16, v16, 4, v17
	v_mov_b32_e32 v17, 1
	ds_add_u32 v16, v17 offset:12288
	v_mov_b32_e32 v16, 0
.LBB2973_73:
	s_or_b32 exec_lo, exec_lo, s0
	s_mov_b32 s11, -1
	s_mov_b32 s12, exec_lo
	s_delay_alu instid0(VALU_DEP_1)
	v_cmpx_gt_i32_e32 10, v16
; %bb.74:
	v_cmp_eq_u32_e64 s0, 0, v16
	s_or_not1_b32 s11, s0, exec_lo
; %bb.75:
	s_or_b32 exec_lo, exec_lo, s12
	s_delay_alu instid0(SALU_CYCLE_1)
	s_and_b32 exec_lo, exec_lo, s11
	s_cbranch_execz .LBB2973_93
; %bb.76:
	s_add_co_i32 s11, s2, 32
	s_delay_alu instid0(SALU_CYCLE_1) | instskip(SKIP_1) | instid1(SALU_CYCLE_1)
	s_cmp_le_u32 s3, s11
	s_cselect_b32 s0, -1, 0
	s_and_b32 s12, s0, exec_lo
	s_cselect_b32 s12, 8, 10
	s_delay_alu instid0(SALU_CYCLE_1) | instskip(SKIP_1) | instid1(SALU_CYCLE_1)
	v_mov_b32_e32 v16, s12
	s_nor_b32 s12, s0, vcc_lo
	s_and_saveexec_b32 s0, s12
	s_cbranch_execz .LBB2973_78
; %bb.77:
	v_lshrrev_b64 v[16:17], s11, v[14:15]
	s_sub_co_i32 s11, s3, s11
	v_lshlrev_b32_e32 v17, 2, v1
	s_min_u32 s11, s11, 8
	s_delay_alu instid0(VALU_DEP_2) | instid1(SALU_CYCLE_1)
	v_bfe_u32 v16, v16, 0, s11
	s_delay_alu instid0(VALU_DEP_1)
	v_lshl_or_b32 v16, v16, 4, v17
	v_mov_b32_e32 v17, 1
	ds_add_u32 v16, v17 offset:16384
	v_mov_b32_e32 v16, 0
.LBB2973_78:
	s_or_b32 exec_lo, exec_lo, s0
	s_mov_b32 s11, -1
	s_mov_b32 s12, exec_lo
	s_delay_alu instid0(VALU_DEP_1)
	v_cmpx_gt_i32_e32 10, v16
; %bb.79:
	v_cmp_eq_u32_e64 s0, 0, v16
	s_or_not1_b32 s11, s0, exec_lo
; %bb.80:
	s_or_b32 exec_lo, exec_lo, s12
	s_delay_alu instid0(SALU_CYCLE_1)
	s_and_b32 exec_lo, exec_lo, s11
	s_cbranch_execz .LBB2973_93
; %bb.81:
	s_add_co_i32 s11, s2, 40
	s_delay_alu instid0(SALU_CYCLE_1) | instskip(SKIP_1) | instid1(SALU_CYCLE_1)
	s_cmp_le_u32 s3, s11
	s_cselect_b32 s0, -1, 0
	s_and_b32 s12, s0, exec_lo
	s_cselect_b32 s12, 8, 10
	s_delay_alu instid0(SALU_CYCLE_1) | instskip(SKIP_1) | instid1(SALU_CYCLE_1)
	v_mov_b32_e32 v16, s12
	s_nor_b32 s12, s0, vcc_lo
	s_and_saveexec_b32 s0, s12
	s_cbranch_execz .LBB2973_83
; %bb.82:
	v_lshrrev_b64 v[16:17], s11, v[14:15]
	s_sub_co_i32 s11, s3, s11
	v_lshlrev_b32_e32 v17, 2, v1
	s_min_u32 s11, s11, 8
	s_delay_alu instid0(VALU_DEP_2) | instid1(SALU_CYCLE_1)
	v_bfe_u32 v16, v16, 0, s11
	s_delay_alu instid0(VALU_DEP_1)
	v_lshl_or_b32 v16, v16, 4, v17
	v_mov_b32_e32 v17, 1
	ds_add_u32 v16, v17 offset:20480
	v_mov_b32_e32 v16, 0
.LBB2973_83:
	s_or_b32 exec_lo, exec_lo, s0
	s_mov_b32 s11, -1
	s_mov_b32 s12, exec_lo
	s_delay_alu instid0(VALU_DEP_1)
	v_cmpx_gt_i32_e32 10, v16
; %bb.84:
	v_cmp_eq_u32_e64 s0, 0, v16
	s_or_not1_b32 s11, s0, exec_lo
; %bb.85:
	s_or_b32 exec_lo, exec_lo, s12
	s_delay_alu instid0(SALU_CYCLE_1)
	s_and_b32 exec_lo, exec_lo, s11
	s_cbranch_execz .LBB2973_93
; %bb.86:
	s_add_co_i32 s11, s2, 48
	s_delay_alu instid0(SALU_CYCLE_1) | instskip(SKIP_1) | instid1(SALU_CYCLE_1)
	s_cmp_le_u32 s3, s11
	s_cselect_b32 s0, -1, 0
	s_and_b32 s12, s0, exec_lo
	s_cselect_b32 s12, 8, 10
	s_delay_alu instid0(SALU_CYCLE_1) | instskip(SKIP_1) | instid1(SALU_CYCLE_1)
	v_mov_b32_e32 v16, s12
	s_nor_b32 s12, s0, vcc_lo
	s_and_saveexec_b32 s0, s12
	s_cbranch_execz .LBB2973_88
; %bb.87:
	v_lshrrev_b64 v[16:17], s11, v[14:15]
	s_sub_co_i32 s11, s3, s11
	v_lshlrev_b32_e32 v17, 2, v1
	s_min_u32 s11, s11, 8
	s_delay_alu instid0(VALU_DEP_2) | instid1(SALU_CYCLE_1)
	v_bfe_u32 v16, v16, 0, s11
	s_delay_alu instid0(VALU_DEP_1)
	v_lshl_or_b32 v16, v16, 4, v17
	v_mov_b32_e32 v17, 1
	ds_add_u32 v16, v17 offset:24576
	v_mov_b32_e32 v16, 0
.LBB2973_88:
	s_or_b32 exec_lo, exec_lo, s0
	s_mov_b32 s11, -1
	s_mov_b32 s12, exec_lo
	s_delay_alu instid0(VALU_DEP_1)
	v_cmpx_gt_i32_e32 10, v16
; %bb.89:
	v_cmp_eq_u32_e64 s0, 0, v16
	s_or_not1_b32 s11, s0, exec_lo
; %bb.90:
	s_or_b32 exec_lo, exec_lo, s12
	s_delay_alu instid0(SALU_CYCLE_1)
	s_and_b32 exec_lo, exec_lo, s11
	s_cbranch_execz .LBB2973_93
; %bb.91:
	s_add_co_i32 s0, s2, 56
	s_delay_alu instid0(SALU_CYCLE_1) | instskip(SKIP_2) | instid1(SALU_CYCLE_1)
	s_cmp_gt_u32 s3, s0
	s_cselect_b32 s11, -1, 0
	s_xor_b32 s12, vcc_lo, -1
	s_and_b32 s11, s11, s12
	s_delay_alu instid0(SALU_CYCLE_1)
	s_and_b32 exec_lo, exec_lo, s11
	s_cbranch_execz .LBB2973_93
; %bb.92:
	v_lshrrev_b64 v[14:15], s0, v[14:15]
	s_sub_co_i32 s0, s3, s0
	v_lshlrev_b32_e32 v15, 2, v1
	s_min_u32 s0, s0, 8
	s_delay_alu instid0(VALU_DEP_2) | instid1(SALU_CYCLE_1)
	v_bfe_u32 v14, v14, 0, s0
	s_delay_alu instid0(VALU_DEP_1)
	v_lshl_or_b32 v14, v14, 4, v15
	v_mov_b32_e32 v15, 1
	ds_add_u32 v14, v15 offset:28672
.LBB2973_93:
	s_or_b32 exec_lo, exec_lo, s10
	v_cmp_le_u32_e32 vcc_lo, s1, v23
	v_mov_b32_e32 v14, s9
	s_nor_b32 s10, s8, vcc_lo
	s_delay_alu instid0(SALU_CYCLE_1)
	s_and_saveexec_b32 s0, s10
	s_cbranch_execz .LBB2973_95
; %bb.94:
	v_lshrrev_b64 v[14:15], s2, v[12:13]
	s_sub_co_i32 s10, s3, s2
	v_lshlrev_b32_e32 v15, 2, v1
	s_min_u32 s10, s10, 8
	s_delay_alu instid0(VALU_DEP_2) | instid1(SALU_CYCLE_1)
	v_bfe_u32 v14, v14, 0, s10
	s_delay_alu instid0(VALU_DEP_1)
	v_lshl_or_b32 v14, v14, 4, v15
	v_mov_b32_e32 v15, 1
	ds_add_u32 v14, v15
	v_mov_b32_e32 v14, 0
.LBB2973_95:
	s_or_b32 exec_lo, exec_lo, s0
	s_mov_b32 s11, -1
	s_mov_b32 s10, exec_lo
	s_delay_alu instid0(VALU_DEP_1)
	v_cmpx_gt_i32_e32 10, v14
; %bb.96:
	v_cmp_eq_u32_e64 s0, 0, v14
	s_or_not1_b32 s11, s0, exec_lo
; %bb.97:
	s_or_b32 exec_lo, exec_lo, s10
	s_and_saveexec_b32 s10, s11
	s_cbranch_execz .LBB2973_130
; %bb.98:
	s_add_co_i32 s11, s2, 8
	s_delay_alu instid0(SALU_CYCLE_1) | instskip(SKIP_1) | instid1(SALU_CYCLE_1)
	s_cmp_le_u32 s3, s11
	s_cselect_b32 s0, -1, 0
	s_and_b32 s12, s0, exec_lo
	s_cselect_b32 s12, 8, 10
	s_delay_alu instid0(SALU_CYCLE_1) | instskip(SKIP_1) | instid1(SALU_CYCLE_1)
	v_mov_b32_e32 v14, s12
	s_nor_b32 s12, s0, vcc_lo
	s_and_saveexec_b32 s0, s12
	s_cbranch_execz .LBB2973_100
; %bb.99:
	v_lshrrev_b64 v[14:15], s11, v[12:13]
	s_sub_co_i32 s11, s3, s11
	v_lshlrev_b32_e32 v15, 2, v1
	s_min_u32 s11, s11, 8
	s_delay_alu instid0(VALU_DEP_2) | instid1(SALU_CYCLE_1)
	v_bfe_u32 v14, v14, 0, s11
	s_delay_alu instid0(VALU_DEP_1)
	v_lshl_or_b32 v14, v14, 4, v15
	v_mov_b32_e32 v15, 1
	ds_add_u32 v14, v15 offset:4096
	v_mov_b32_e32 v14, 0
.LBB2973_100:
	s_or_b32 exec_lo, exec_lo, s0
	s_mov_b32 s11, -1
	s_mov_b32 s12, exec_lo
	s_delay_alu instid0(VALU_DEP_1)
	v_cmpx_gt_i32_e32 10, v14
; %bb.101:
	v_cmp_eq_u32_e64 s0, 0, v14
	s_or_not1_b32 s11, s0, exec_lo
; %bb.102:
	s_or_b32 exec_lo, exec_lo, s12
	s_delay_alu instid0(SALU_CYCLE_1)
	s_and_b32 exec_lo, exec_lo, s11
	s_cbranch_execz .LBB2973_130
; %bb.103:
	s_add_co_i32 s11, s2, 16
	s_delay_alu instid0(SALU_CYCLE_1) | instskip(SKIP_1) | instid1(SALU_CYCLE_1)
	s_cmp_le_u32 s3, s11
	s_cselect_b32 s0, -1, 0
	s_and_b32 s12, s0, exec_lo
	s_cselect_b32 s12, 8, 10
	s_delay_alu instid0(SALU_CYCLE_1) | instskip(SKIP_1) | instid1(SALU_CYCLE_1)
	v_mov_b32_e32 v14, s12
	s_nor_b32 s12, s0, vcc_lo
	s_and_saveexec_b32 s0, s12
	s_cbranch_execz .LBB2973_105
; %bb.104:
	v_lshrrev_b64 v[14:15], s11, v[12:13]
	s_sub_co_i32 s11, s3, s11
	v_lshlrev_b32_e32 v15, 2, v1
	s_min_u32 s11, s11, 8
	s_delay_alu instid0(VALU_DEP_2) | instid1(SALU_CYCLE_1)
	v_bfe_u32 v14, v14, 0, s11
	s_delay_alu instid0(VALU_DEP_1)
	v_lshl_or_b32 v14, v14, 4, v15
	v_mov_b32_e32 v15, 1
	ds_add_u32 v14, v15 offset:8192
	v_mov_b32_e32 v14, 0
.LBB2973_105:
	s_or_b32 exec_lo, exec_lo, s0
	s_mov_b32 s11, -1
	s_mov_b32 s12, exec_lo
	s_delay_alu instid0(VALU_DEP_1)
	v_cmpx_gt_i32_e32 10, v14
; %bb.106:
	v_cmp_eq_u32_e64 s0, 0, v14
	s_or_not1_b32 s11, s0, exec_lo
; %bb.107:
	s_or_b32 exec_lo, exec_lo, s12
	s_delay_alu instid0(SALU_CYCLE_1)
	s_and_b32 exec_lo, exec_lo, s11
	;; [unrolled: 38-line block ×6, first 2 shown]
	s_cbranch_execz .LBB2973_130
; %bb.128:
	s_add_co_i32 s0, s2, 56
	s_delay_alu instid0(SALU_CYCLE_1) | instskip(SKIP_2) | instid1(SALU_CYCLE_1)
	s_cmp_gt_u32 s3, s0
	s_cselect_b32 s11, -1, 0
	s_xor_b32 s12, vcc_lo, -1
	s_and_b32 s11, s11, s12
	s_delay_alu instid0(SALU_CYCLE_1)
	s_and_b32 exec_lo, exec_lo, s11
	s_cbranch_execz .LBB2973_130
; %bb.129:
	v_lshrrev_b64 v[12:13], s0, v[12:13]
	s_sub_co_i32 s0, s3, s0
	v_lshlrev_b32_e32 v13, 2, v1
	s_min_u32 s0, s0, 8
	s_delay_alu instid0(VALU_DEP_2) | instid1(SALU_CYCLE_1)
	v_bfe_u32 v12, v12, 0, s0
	s_delay_alu instid0(VALU_DEP_1)
	v_lshl_or_b32 v12, v12, 4, v13
	v_mov_b32_e32 v13, 1
	ds_add_u32 v12, v13 offset:28672
.LBB2973_130:
	s_or_b32 exec_lo, exec_lo, s10
	v_cmp_le_u32_e32 vcc_lo, s1, v22
	v_mov_b32_e32 v12, s9
	s_nor_b32 s10, s8, vcc_lo
	s_delay_alu instid0(SALU_CYCLE_1)
	s_and_saveexec_b32 s0, s10
	s_cbranch_execz .LBB2973_132
; %bb.131:
	v_lshrrev_b64 v[12:13], s2, v[10:11]
	s_sub_co_i32 s10, s3, s2
	v_lshlrev_b32_e32 v13, 2, v1
	s_min_u32 s10, s10, 8
	s_delay_alu instid0(VALU_DEP_2) | instid1(SALU_CYCLE_1)
	v_bfe_u32 v12, v12, 0, s10
	s_delay_alu instid0(VALU_DEP_1)
	v_lshl_or_b32 v12, v12, 4, v13
	v_mov_b32_e32 v13, 1
	ds_add_u32 v12, v13
	v_mov_b32_e32 v12, 0
.LBB2973_132:
	s_or_b32 exec_lo, exec_lo, s0
	s_mov_b32 s11, -1
	s_mov_b32 s10, exec_lo
	s_delay_alu instid0(VALU_DEP_1)
	v_cmpx_gt_i32_e32 10, v12
; %bb.133:
	v_cmp_eq_u32_e64 s0, 0, v12
	s_or_not1_b32 s11, s0, exec_lo
; %bb.134:
	s_or_b32 exec_lo, exec_lo, s10
	s_and_saveexec_b32 s10, s11
	s_cbranch_execz .LBB2973_167
; %bb.135:
	s_add_co_i32 s11, s2, 8
	s_delay_alu instid0(SALU_CYCLE_1) | instskip(SKIP_1) | instid1(SALU_CYCLE_1)
	s_cmp_le_u32 s3, s11
	s_cselect_b32 s0, -1, 0
	s_and_b32 s12, s0, exec_lo
	s_cselect_b32 s12, 8, 10
	s_delay_alu instid0(SALU_CYCLE_1) | instskip(SKIP_1) | instid1(SALU_CYCLE_1)
	v_mov_b32_e32 v12, s12
	s_nor_b32 s12, s0, vcc_lo
	s_and_saveexec_b32 s0, s12
	s_cbranch_execz .LBB2973_137
; %bb.136:
	v_lshrrev_b64 v[12:13], s11, v[10:11]
	s_sub_co_i32 s11, s3, s11
	v_lshlrev_b32_e32 v13, 2, v1
	s_min_u32 s11, s11, 8
	s_delay_alu instid0(VALU_DEP_2) | instid1(SALU_CYCLE_1)
	v_bfe_u32 v12, v12, 0, s11
	s_delay_alu instid0(VALU_DEP_1)
	v_lshl_or_b32 v12, v12, 4, v13
	v_mov_b32_e32 v13, 1
	ds_add_u32 v12, v13 offset:4096
	v_mov_b32_e32 v12, 0
.LBB2973_137:
	s_or_b32 exec_lo, exec_lo, s0
	s_mov_b32 s11, -1
	s_mov_b32 s12, exec_lo
	s_delay_alu instid0(VALU_DEP_1)
	v_cmpx_gt_i32_e32 10, v12
; %bb.138:
	v_cmp_eq_u32_e64 s0, 0, v12
	s_or_not1_b32 s11, s0, exec_lo
; %bb.139:
	s_or_b32 exec_lo, exec_lo, s12
	s_delay_alu instid0(SALU_CYCLE_1)
	s_and_b32 exec_lo, exec_lo, s11
	s_cbranch_execz .LBB2973_167
; %bb.140:
	s_add_co_i32 s11, s2, 16
	s_delay_alu instid0(SALU_CYCLE_1) | instskip(SKIP_1) | instid1(SALU_CYCLE_1)
	s_cmp_le_u32 s3, s11
	s_cselect_b32 s0, -1, 0
	s_and_b32 s12, s0, exec_lo
	s_cselect_b32 s12, 8, 10
	s_delay_alu instid0(SALU_CYCLE_1) | instskip(SKIP_1) | instid1(SALU_CYCLE_1)
	v_mov_b32_e32 v12, s12
	s_nor_b32 s12, s0, vcc_lo
	s_and_saveexec_b32 s0, s12
	s_cbranch_execz .LBB2973_142
; %bb.141:
	v_lshrrev_b64 v[12:13], s11, v[10:11]
	s_sub_co_i32 s11, s3, s11
	v_lshlrev_b32_e32 v13, 2, v1
	s_min_u32 s11, s11, 8
	s_delay_alu instid0(VALU_DEP_2) | instid1(SALU_CYCLE_1)
	v_bfe_u32 v12, v12, 0, s11
	s_delay_alu instid0(VALU_DEP_1)
	v_lshl_or_b32 v12, v12, 4, v13
	v_mov_b32_e32 v13, 1
	ds_add_u32 v12, v13 offset:8192
	v_mov_b32_e32 v12, 0
.LBB2973_142:
	s_or_b32 exec_lo, exec_lo, s0
	s_mov_b32 s11, -1
	s_mov_b32 s12, exec_lo
	s_delay_alu instid0(VALU_DEP_1)
	v_cmpx_gt_i32_e32 10, v12
; %bb.143:
	v_cmp_eq_u32_e64 s0, 0, v12
	s_or_not1_b32 s11, s0, exec_lo
; %bb.144:
	s_or_b32 exec_lo, exec_lo, s12
	s_delay_alu instid0(SALU_CYCLE_1)
	s_and_b32 exec_lo, exec_lo, s11
	;; [unrolled: 38-line block ×6, first 2 shown]
	s_cbranch_execz .LBB2973_167
; %bb.165:
	s_add_co_i32 s0, s2, 56
	s_delay_alu instid0(SALU_CYCLE_1) | instskip(SKIP_2) | instid1(SALU_CYCLE_1)
	s_cmp_gt_u32 s3, s0
	s_cselect_b32 s11, -1, 0
	s_xor_b32 s12, vcc_lo, -1
	s_and_b32 s11, s11, s12
	s_delay_alu instid0(SALU_CYCLE_1)
	s_and_b32 exec_lo, exec_lo, s11
	s_cbranch_execz .LBB2973_167
; %bb.166:
	v_lshrrev_b64 v[10:11], s0, v[10:11]
	s_sub_co_i32 s0, s3, s0
	v_lshlrev_b32_e32 v11, 2, v1
	s_min_u32 s0, s0, 8
	s_delay_alu instid0(VALU_DEP_2) | instid1(SALU_CYCLE_1)
	v_bfe_u32 v10, v10, 0, s0
	s_delay_alu instid0(VALU_DEP_1)
	v_lshl_or_b32 v10, v10, 4, v11
	v_mov_b32_e32 v11, 1
	ds_add_u32 v10, v11 offset:28672
.LBB2973_167:
	s_or_b32 exec_lo, exec_lo, s10
	v_cmp_le_u32_e32 vcc_lo, s1, v21
	v_mov_b32_e32 v10, s9
	s_nor_b32 s10, s8, vcc_lo
	s_delay_alu instid0(SALU_CYCLE_1)
	s_and_saveexec_b32 s0, s10
	s_cbranch_execz .LBB2973_169
; %bb.168:
	v_lshrrev_b64 v[10:11], s2, v[8:9]
	s_sub_co_i32 s10, s3, s2
	v_lshlrev_b32_e32 v11, 2, v1
	s_min_u32 s10, s10, 8
	s_delay_alu instid0(VALU_DEP_2) | instid1(SALU_CYCLE_1)
	v_bfe_u32 v10, v10, 0, s10
	s_delay_alu instid0(VALU_DEP_1)
	v_lshl_or_b32 v10, v10, 4, v11
	v_mov_b32_e32 v11, 1
	ds_add_u32 v10, v11
	v_mov_b32_e32 v10, 0
.LBB2973_169:
	s_or_b32 exec_lo, exec_lo, s0
	s_mov_b32 s11, -1
	s_mov_b32 s10, exec_lo
	s_delay_alu instid0(VALU_DEP_1)
	v_cmpx_gt_i32_e32 10, v10
; %bb.170:
	v_cmp_eq_u32_e64 s0, 0, v10
	s_or_not1_b32 s11, s0, exec_lo
; %bb.171:
	s_or_b32 exec_lo, exec_lo, s10
	s_and_saveexec_b32 s10, s11
	s_cbranch_execz .LBB2973_204
; %bb.172:
	s_add_co_i32 s11, s2, 8
	s_delay_alu instid0(SALU_CYCLE_1) | instskip(SKIP_1) | instid1(SALU_CYCLE_1)
	s_cmp_le_u32 s3, s11
	s_cselect_b32 s0, -1, 0
	s_and_b32 s12, s0, exec_lo
	s_cselect_b32 s12, 8, 10
	s_delay_alu instid0(SALU_CYCLE_1) | instskip(SKIP_1) | instid1(SALU_CYCLE_1)
	v_mov_b32_e32 v10, s12
	s_nor_b32 s12, s0, vcc_lo
	s_and_saveexec_b32 s0, s12
	s_cbranch_execz .LBB2973_174
; %bb.173:
	v_lshrrev_b64 v[10:11], s11, v[8:9]
	s_sub_co_i32 s11, s3, s11
	v_lshlrev_b32_e32 v11, 2, v1
	s_min_u32 s11, s11, 8
	s_delay_alu instid0(VALU_DEP_2) | instid1(SALU_CYCLE_1)
	v_bfe_u32 v10, v10, 0, s11
	s_delay_alu instid0(VALU_DEP_1)
	v_lshl_or_b32 v10, v10, 4, v11
	v_mov_b32_e32 v11, 1
	ds_add_u32 v10, v11 offset:4096
	v_mov_b32_e32 v10, 0
.LBB2973_174:
	s_or_b32 exec_lo, exec_lo, s0
	s_mov_b32 s11, -1
	s_mov_b32 s12, exec_lo
	s_delay_alu instid0(VALU_DEP_1)
	v_cmpx_gt_i32_e32 10, v10
; %bb.175:
	v_cmp_eq_u32_e64 s0, 0, v10
	s_or_not1_b32 s11, s0, exec_lo
; %bb.176:
	s_or_b32 exec_lo, exec_lo, s12
	s_delay_alu instid0(SALU_CYCLE_1)
	s_and_b32 exec_lo, exec_lo, s11
	s_cbranch_execz .LBB2973_204
; %bb.177:
	s_add_co_i32 s11, s2, 16
	s_delay_alu instid0(SALU_CYCLE_1) | instskip(SKIP_1) | instid1(SALU_CYCLE_1)
	s_cmp_le_u32 s3, s11
	s_cselect_b32 s0, -1, 0
	s_and_b32 s12, s0, exec_lo
	s_cselect_b32 s12, 8, 10
	s_delay_alu instid0(SALU_CYCLE_1) | instskip(SKIP_1) | instid1(SALU_CYCLE_1)
	v_mov_b32_e32 v10, s12
	s_nor_b32 s12, s0, vcc_lo
	s_and_saveexec_b32 s0, s12
	s_cbranch_execz .LBB2973_179
; %bb.178:
	v_lshrrev_b64 v[10:11], s11, v[8:9]
	s_sub_co_i32 s11, s3, s11
	v_lshlrev_b32_e32 v11, 2, v1
	s_min_u32 s11, s11, 8
	s_delay_alu instid0(VALU_DEP_2) | instid1(SALU_CYCLE_1)
	v_bfe_u32 v10, v10, 0, s11
	s_delay_alu instid0(VALU_DEP_1)
	v_lshl_or_b32 v10, v10, 4, v11
	v_mov_b32_e32 v11, 1
	ds_add_u32 v10, v11 offset:8192
	v_mov_b32_e32 v10, 0
.LBB2973_179:
	s_or_b32 exec_lo, exec_lo, s0
	s_mov_b32 s11, -1
	s_mov_b32 s12, exec_lo
	s_delay_alu instid0(VALU_DEP_1)
	v_cmpx_gt_i32_e32 10, v10
; %bb.180:
	v_cmp_eq_u32_e64 s0, 0, v10
	s_or_not1_b32 s11, s0, exec_lo
; %bb.181:
	s_or_b32 exec_lo, exec_lo, s12
	s_delay_alu instid0(SALU_CYCLE_1)
	s_and_b32 exec_lo, exec_lo, s11
	;; [unrolled: 38-line block ×6, first 2 shown]
	s_cbranch_execz .LBB2973_204
; %bb.202:
	s_add_co_i32 s0, s2, 56
	s_delay_alu instid0(SALU_CYCLE_1) | instskip(SKIP_2) | instid1(SALU_CYCLE_1)
	s_cmp_gt_u32 s3, s0
	s_cselect_b32 s11, -1, 0
	s_xor_b32 s12, vcc_lo, -1
	s_and_b32 s11, s11, s12
	s_delay_alu instid0(SALU_CYCLE_1)
	s_and_b32 exec_lo, exec_lo, s11
	s_cbranch_execz .LBB2973_204
; %bb.203:
	v_lshrrev_b64 v[8:9], s0, v[8:9]
	s_sub_co_i32 s0, s3, s0
	v_lshlrev_b32_e32 v9, 2, v1
	s_min_u32 s0, s0, 8
	s_delay_alu instid0(VALU_DEP_2) | instid1(SALU_CYCLE_1)
	v_bfe_u32 v8, v8, 0, s0
	s_delay_alu instid0(VALU_DEP_1)
	v_lshl_or_b32 v8, v8, 4, v9
	v_mov_b32_e32 v9, 1
	ds_add_u32 v8, v9 offset:28672
.LBB2973_204:
	s_or_b32 exec_lo, exec_lo, s10
	v_cmp_le_u32_e32 vcc_lo, s1, v20
	v_mov_b32_e32 v8, s9
	s_nor_b32 s10, s8, vcc_lo
	s_delay_alu instid0(SALU_CYCLE_1)
	s_and_saveexec_b32 s0, s10
	s_cbranch_execz .LBB2973_206
; %bb.205:
	v_lshrrev_b64 v[8:9], s2, v[6:7]
	s_sub_co_i32 s10, s3, s2
	v_lshlrev_b32_e32 v9, 2, v1
	s_min_u32 s10, s10, 8
	s_delay_alu instid0(VALU_DEP_2) | instid1(SALU_CYCLE_1)
	v_bfe_u32 v8, v8, 0, s10
	s_delay_alu instid0(VALU_DEP_1)
	v_lshl_or_b32 v8, v8, 4, v9
	v_mov_b32_e32 v9, 1
	ds_add_u32 v8, v9
	v_mov_b32_e32 v8, 0
.LBB2973_206:
	s_or_b32 exec_lo, exec_lo, s0
	s_mov_b32 s11, -1
	s_mov_b32 s10, exec_lo
	s_delay_alu instid0(VALU_DEP_1)
	v_cmpx_gt_i32_e32 10, v8
; %bb.207:
	v_cmp_eq_u32_e64 s0, 0, v8
	s_or_not1_b32 s11, s0, exec_lo
; %bb.208:
	s_or_b32 exec_lo, exec_lo, s10
	s_and_saveexec_b32 s10, s11
	s_cbranch_execz .LBB2973_241
; %bb.209:
	s_add_co_i32 s11, s2, 8
	s_delay_alu instid0(SALU_CYCLE_1) | instskip(SKIP_1) | instid1(SALU_CYCLE_1)
	s_cmp_le_u32 s3, s11
	s_cselect_b32 s0, -1, 0
	s_and_b32 s12, s0, exec_lo
	s_cselect_b32 s12, 8, 10
	s_delay_alu instid0(SALU_CYCLE_1) | instskip(SKIP_1) | instid1(SALU_CYCLE_1)
	v_mov_b32_e32 v8, s12
	s_nor_b32 s12, s0, vcc_lo
	s_and_saveexec_b32 s0, s12
	s_cbranch_execz .LBB2973_211
; %bb.210:
	v_lshrrev_b64 v[8:9], s11, v[6:7]
	s_sub_co_i32 s11, s3, s11
	v_lshlrev_b32_e32 v9, 2, v1
	s_min_u32 s11, s11, 8
	s_delay_alu instid0(VALU_DEP_2) | instid1(SALU_CYCLE_1)
	v_bfe_u32 v8, v8, 0, s11
	s_delay_alu instid0(VALU_DEP_1)
	v_lshl_or_b32 v8, v8, 4, v9
	v_mov_b32_e32 v9, 1
	ds_add_u32 v8, v9 offset:4096
	v_mov_b32_e32 v8, 0
.LBB2973_211:
	s_or_b32 exec_lo, exec_lo, s0
	s_mov_b32 s11, -1
	s_mov_b32 s12, exec_lo
	s_delay_alu instid0(VALU_DEP_1)
	v_cmpx_gt_i32_e32 10, v8
; %bb.212:
	v_cmp_eq_u32_e64 s0, 0, v8
	s_or_not1_b32 s11, s0, exec_lo
; %bb.213:
	s_or_b32 exec_lo, exec_lo, s12
	s_delay_alu instid0(SALU_CYCLE_1)
	s_and_b32 exec_lo, exec_lo, s11
	s_cbranch_execz .LBB2973_241
; %bb.214:
	s_add_co_i32 s11, s2, 16
	s_delay_alu instid0(SALU_CYCLE_1) | instskip(SKIP_1) | instid1(SALU_CYCLE_1)
	s_cmp_le_u32 s3, s11
	s_cselect_b32 s0, -1, 0
	s_and_b32 s12, s0, exec_lo
	s_cselect_b32 s12, 8, 10
	s_delay_alu instid0(SALU_CYCLE_1) | instskip(SKIP_1) | instid1(SALU_CYCLE_1)
	v_mov_b32_e32 v8, s12
	s_nor_b32 s12, s0, vcc_lo
	s_and_saveexec_b32 s0, s12
	s_cbranch_execz .LBB2973_216
; %bb.215:
	v_lshrrev_b64 v[8:9], s11, v[6:7]
	s_sub_co_i32 s11, s3, s11
	v_lshlrev_b32_e32 v9, 2, v1
	s_min_u32 s11, s11, 8
	s_delay_alu instid0(VALU_DEP_2) | instid1(SALU_CYCLE_1)
	v_bfe_u32 v8, v8, 0, s11
	s_delay_alu instid0(VALU_DEP_1)
	v_lshl_or_b32 v8, v8, 4, v9
	v_mov_b32_e32 v9, 1
	ds_add_u32 v8, v9 offset:8192
	v_mov_b32_e32 v8, 0
.LBB2973_216:
	s_or_b32 exec_lo, exec_lo, s0
	s_mov_b32 s11, -1
	s_mov_b32 s12, exec_lo
	s_delay_alu instid0(VALU_DEP_1)
	v_cmpx_gt_i32_e32 10, v8
; %bb.217:
	v_cmp_eq_u32_e64 s0, 0, v8
	s_or_not1_b32 s11, s0, exec_lo
; %bb.218:
	s_or_b32 exec_lo, exec_lo, s12
	s_delay_alu instid0(SALU_CYCLE_1)
	s_and_b32 exec_lo, exec_lo, s11
	;; [unrolled: 38-line block ×6, first 2 shown]
	s_cbranch_execz .LBB2973_241
; %bb.239:
	s_add_co_i32 s0, s2, 56
	s_delay_alu instid0(SALU_CYCLE_1) | instskip(SKIP_2) | instid1(SALU_CYCLE_1)
	s_cmp_gt_u32 s3, s0
	s_cselect_b32 s11, -1, 0
	s_xor_b32 s12, vcc_lo, -1
	s_and_b32 s11, s11, s12
	s_delay_alu instid0(SALU_CYCLE_1)
	s_and_b32 exec_lo, exec_lo, s11
	s_cbranch_execz .LBB2973_241
; %bb.240:
	v_lshrrev_b64 v[6:7], s0, v[6:7]
	s_sub_co_i32 s0, s3, s0
	v_lshlrev_b32_e32 v7, 2, v1
	s_min_u32 s0, s0, 8
	s_delay_alu instid0(VALU_DEP_2) | instid1(SALU_CYCLE_1)
	v_bfe_u32 v6, v6, 0, s0
	s_delay_alu instid0(VALU_DEP_1)
	v_lshl_or_b32 v6, v6, 4, v7
	v_mov_b32_e32 v7, 1
	ds_add_u32 v6, v7 offset:28672
.LBB2973_241:
	s_or_b32 exec_lo, exec_lo, s10
	v_cmp_le_u32_e32 vcc_lo, s1, v19
	v_mov_b32_e32 v6, s9
	s_nor_b32 s10, s8, vcc_lo
	s_delay_alu instid0(SALU_CYCLE_1)
	s_and_saveexec_b32 s0, s10
	s_cbranch_execz .LBB2973_243
; %bb.242:
	v_lshrrev_b64 v[6:7], s2, v[4:5]
	s_sub_co_i32 s10, s3, s2
	v_lshlrev_b32_e32 v7, 2, v1
	s_min_u32 s10, s10, 8
	s_delay_alu instid0(VALU_DEP_2) | instid1(SALU_CYCLE_1)
	v_bfe_u32 v6, v6, 0, s10
	s_delay_alu instid0(VALU_DEP_1)
	v_lshl_or_b32 v6, v6, 4, v7
	v_mov_b32_e32 v7, 1
	ds_add_u32 v6, v7
	v_mov_b32_e32 v6, 0
.LBB2973_243:
	s_or_b32 exec_lo, exec_lo, s0
	s_mov_b32 s11, -1
	s_mov_b32 s10, exec_lo
	s_delay_alu instid0(VALU_DEP_1)
	v_cmpx_gt_i32_e32 10, v6
; %bb.244:
	v_cmp_eq_u32_e64 s0, 0, v6
	s_or_not1_b32 s11, s0, exec_lo
; %bb.245:
	s_or_b32 exec_lo, exec_lo, s10
	s_and_saveexec_b32 s10, s11
	s_cbranch_execz .LBB2973_278
; %bb.246:
	s_add_co_i32 s11, s2, 8
	s_delay_alu instid0(SALU_CYCLE_1) | instskip(SKIP_1) | instid1(SALU_CYCLE_1)
	s_cmp_le_u32 s3, s11
	s_cselect_b32 s0, -1, 0
	s_and_b32 s12, s0, exec_lo
	s_cselect_b32 s12, 8, 10
	s_delay_alu instid0(SALU_CYCLE_1) | instskip(SKIP_1) | instid1(SALU_CYCLE_1)
	v_mov_b32_e32 v6, s12
	s_nor_b32 s12, s0, vcc_lo
	s_and_saveexec_b32 s0, s12
	s_cbranch_execz .LBB2973_248
; %bb.247:
	v_lshrrev_b64 v[6:7], s11, v[4:5]
	s_sub_co_i32 s11, s3, s11
	v_lshlrev_b32_e32 v7, 2, v1
	s_min_u32 s11, s11, 8
	s_delay_alu instid0(VALU_DEP_2) | instid1(SALU_CYCLE_1)
	v_bfe_u32 v6, v6, 0, s11
	s_delay_alu instid0(VALU_DEP_1)
	v_lshl_or_b32 v6, v6, 4, v7
	v_mov_b32_e32 v7, 1
	ds_add_u32 v6, v7 offset:4096
	v_mov_b32_e32 v6, 0
.LBB2973_248:
	s_or_b32 exec_lo, exec_lo, s0
	s_mov_b32 s11, -1
	s_mov_b32 s12, exec_lo
	s_delay_alu instid0(VALU_DEP_1)
	v_cmpx_gt_i32_e32 10, v6
; %bb.249:
	v_cmp_eq_u32_e64 s0, 0, v6
	s_or_not1_b32 s11, s0, exec_lo
; %bb.250:
	s_or_b32 exec_lo, exec_lo, s12
	s_delay_alu instid0(SALU_CYCLE_1)
	s_and_b32 exec_lo, exec_lo, s11
	s_cbranch_execz .LBB2973_278
; %bb.251:
	s_add_co_i32 s11, s2, 16
	s_delay_alu instid0(SALU_CYCLE_1) | instskip(SKIP_1) | instid1(SALU_CYCLE_1)
	s_cmp_le_u32 s3, s11
	s_cselect_b32 s0, -1, 0
	s_and_b32 s12, s0, exec_lo
	s_cselect_b32 s12, 8, 10
	s_delay_alu instid0(SALU_CYCLE_1) | instskip(SKIP_1) | instid1(SALU_CYCLE_1)
	v_mov_b32_e32 v6, s12
	s_nor_b32 s12, s0, vcc_lo
	s_and_saveexec_b32 s0, s12
	s_cbranch_execz .LBB2973_253
; %bb.252:
	v_lshrrev_b64 v[6:7], s11, v[4:5]
	s_sub_co_i32 s11, s3, s11
	v_lshlrev_b32_e32 v7, 2, v1
	s_min_u32 s11, s11, 8
	s_delay_alu instid0(VALU_DEP_2) | instid1(SALU_CYCLE_1)
	v_bfe_u32 v6, v6, 0, s11
	s_delay_alu instid0(VALU_DEP_1)
	v_lshl_or_b32 v6, v6, 4, v7
	v_mov_b32_e32 v7, 1
	ds_add_u32 v6, v7 offset:8192
	v_mov_b32_e32 v6, 0
.LBB2973_253:
	s_or_b32 exec_lo, exec_lo, s0
	s_mov_b32 s11, -1
	s_mov_b32 s12, exec_lo
	s_delay_alu instid0(VALU_DEP_1)
	v_cmpx_gt_i32_e32 10, v6
; %bb.254:
	v_cmp_eq_u32_e64 s0, 0, v6
	s_or_not1_b32 s11, s0, exec_lo
; %bb.255:
	s_or_b32 exec_lo, exec_lo, s12
	s_delay_alu instid0(SALU_CYCLE_1)
	s_and_b32 exec_lo, exec_lo, s11
	;; [unrolled: 38-line block ×6, first 2 shown]
	s_cbranch_execz .LBB2973_278
; %bb.276:
	s_add_co_i32 s0, s2, 56
	s_delay_alu instid0(SALU_CYCLE_1) | instskip(SKIP_2) | instid1(SALU_CYCLE_1)
	s_cmp_gt_u32 s3, s0
	s_cselect_b32 s11, -1, 0
	s_xor_b32 s12, vcc_lo, -1
	s_and_b32 s11, s11, s12
	s_delay_alu instid0(SALU_CYCLE_1)
	s_and_b32 exec_lo, exec_lo, s11
	s_cbranch_execz .LBB2973_278
; %bb.277:
	v_lshrrev_b64 v[4:5], s0, v[4:5]
	s_sub_co_i32 s0, s3, s0
	v_lshlrev_b32_e32 v5, 2, v1
	s_min_u32 s0, s0, 8
	s_delay_alu instid0(VALU_DEP_2) | instid1(SALU_CYCLE_1)
	v_bfe_u32 v4, v4, 0, s0
	s_delay_alu instid0(VALU_DEP_1)
	v_lshl_or_b32 v4, v4, 4, v5
	v_mov_b32_e32 v5, 1
	ds_add_u32 v4, v5 offset:28672
.LBB2973_278:
	s_or_b32 exec_lo, exec_lo, s10
	v_cmp_le_u32_e32 vcc_lo, s1, v18
	v_mov_b32_e32 v4, s9
	s_nor_b32 s1, s8, vcc_lo
	s_delay_alu instid0(SALU_CYCLE_1)
	s_and_saveexec_b32 s0, s1
	s_cbranch_execz .LBB2973_280
; %bb.279:
	v_lshrrev_b64 v[4:5], s2, v[2:3]
	s_sub_co_i32 s1, s3, s2
	v_lshlrev_b32_e32 v5, 2, v1
	s_min_u32 s1, s1, 8
	s_delay_alu instid0(VALU_DEP_2) | instid1(SALU_CYCLE_1)
	v_bfe_u32 v4, v4, 0, s1
	s_delay_alu instid0(VALU_DEP_1)
	v_lshl_or_b32 v4, v4, 4, v5
	v_mov_b32_e32 v5, 1
	ds_add_u32 v4, v5
	v_mov_b32_e32 v4, 0
.LBB2973_280:
	s_or_b32 exec_lo, exec_lo, s0
	s_mov_b32 s8, -1
	s_mov_b32 s1, exec_lo
	s_delay_alu instid0(VALU_DEP_1)
	v_cmpx_gt_i32_e32 10, v4
; %bb.281:
	v_cmp_eq_u32_e64 s0, 0, v4
	s_or_not1_b32 s8, s0, exec_lo
; %bb.282:
	s_or_b32 exec_lo, exec_lo, s1
	s_and_saveexec_b32 s1, s8
	s_cbranch_execz .LBB2973_315
; %bb.283:
	s_add_co_i32 s8, s2, 8
	s_delay_alu instid0(SALU_CYCLE_1) | instskip(SKIP_1) | instid1(SALU_CYCLE_1)
	s_cmp_le_u32 s3, s8
	s_cselect_b32 s0, -1, 0
	s_and_b32 s9, s0, exec_lo
	s_cselect_b32 s9, 8, 10
	s_delay_alu instid0(SALU_CYCLE_1) | instskip(SKIP_1) | instid1(SALU_CYCLE_1)
	v_mov_b32_e32 v4, s9
	s_nor_b32 s9, s0, vcc_lo
	s_and_saveexec_b32 s0, s9
	s_cbranch_execz .LBB2973_285
; %bb.284:
	v_lshrrev_b64 v[4:5], s8, v[2:3]
	s_sub_co_i32 s8, s3, s8
	v_lshlrev_b32_e32 v5, 2, v1
	s_min_u32 s8, s8, 8
	s_delay_alu instid0(VALU_DEP_2) | instid1(SALU_CYCLE_1)
	v_bfe_u32 v4, v4, 0, s8
	s_delay_alu instid0(VALU_DEP_1)
	v_lshl_or_b32 v4, v4, 4, v5
	v_mov_b32_e32 v5, 1
	ds_add_u32 v4, v5 offset:4096
	v_mov_b32_e32 v4, 0
.LBB2973_285:
	s_or_b32 exec_lo, exec_lo, s0
	s_mov_b32 s8, -1
	s_mov_b32 s9, exec_lo
	s_delay_alu instid0(VALU_DEP_1)
	v_cmpx_gt_i32_e32 10, v4
; %bb.286:
	v_cmp_eq_u32_e64 s0, 0, v4
	s_or_not1_b32 s8, s0, exec_lo
; %bb.287:
	s_or_b32 exec_lo, exec_lo, s9
	s_delay_alu instid0(SALU_CYCLE_1)
	s_and_b32 exec_lo, exec_lo, s8
	s_cbranch_execz .LBB2973_315
; %bb.288:
	s_add_co_i32 s8, s2, 16
	s_delay_alu instid0(SALU_CYCLE_1) | instskip(SKIP_1) | instid1(SALU_CYCLE_1)
	s_cmp_le_u32 s3, s8
	s_cselect_b32 s0, -1, 0
	s_and_b32 s9, s0, exec_lo
	s_cselect_b32 s9, 8, 10
	s_delay_alu instid0(SALU_CYCLE_1) | instskip(SKIP_1) | instid1(SALU_CYCLE_1)
	v_mov_b32_e32 v4, s9
	s_nor_b32 s9, s0, vcc_lo
	s_and_saveexec_b32 s0, s9
	s_cbranch_execz .LBB2973_290
; %bb.289:
	v_lshrrev_b64 v[4:5], s8, v[2:3]
	s_sub_co_i32 s8, s3, s8
	v_lshlrev_b32_e32 v5, 2, v1
	s_min_u32 s8, s8, 8
	s_delay_alu instid0(VALU_DEP_2) | instid1(SALU_CYCLE_1)
	v_bfe_u32 v4, v4, 0, s8
	s_delay_alu instid0(VALU_DEP_1)
	v_lshl_or_b32 v4, v4, 4, v5
	v_mov_b32_e32 v5, 1
	ds_add_u32 v4, v5 offset:8192
	v_mov_b32_e32 v4, 0
.LBB2973_290:
	s_or_b32 exec_lo, exec_lo, s0
	s_mov_b32 s8, -1
	s_mov_b32 s9, exec_lo
	s_delay_alu instid0(VALU_DEP_1)
	v_cmpx_gt_i32_e32 10, v4
; %bb.291:
	v_cmp_eq_u32_e64 s0, 0, v4
	s_or_not1_b32 s8, s0, exec_lo
; %bb.292:
	s_or_b32 exec_lo, exec_lo, s9
	s_delay_alu instid0(SALU_CYCLE_1)
	s_and_b32 exec_lo, exec_lo, s8
	;; [unrolled: 38-line block ×6, first 2 shown]
	s_cbranch_execz .LBB2973_315
; %bb.313:
	s_add_co_i32 s0, s2, 56
	s_delay_alu instid0(SALU_CYCLE_1) | instskip(SKIP_2) | instid1(SALU_CYCLE_1)
	s_cmp_gt_u32 s3, s0
	s_cselect_b32 s8, -1, 0
	s_xor_b32 s9, vcc_lo, -1
	s_and_b32 s8, s8, s9
	s_delay_alu instid0(SALU_CYCLE_1)
	s_and_b32 exec_lo, exec_lo, s8
	s_cbranch_execz .LBB2973_315
; %bb.314:
	v_lshrrev_b64 v[2:3], s0, v[2:3]
	s_sub_co_i32 s0, s3, s0
	v_lshlrev_b32_e32 v1, 2, v1
	s_min_u32 s0, s0, 8
	s_delay_alu instid0(VALU_DEP_2) | instid1(SALU_CYCLE_1)
	v_bfe_u32 v2, v2, 0, s0
	s_delay_alu instid0(VALU_DEP_1)
	v_lshl_or_b32 v1, v2, 4, v1
	v_mov_b32_e32 v2, 1
	ds_add_u32 v1, v2 offset:28672
.LBB2973_315:
	s_or_b32 exec_lo, exec_lo, s1
	s_cmp_gt_u32 s3, s2
	s_wait_dscnt 0x0
	s_barrier_signal -1
	s_barrier_wait -1
	s_cbranch_scc0 .LBB2973_320
; %bb.316:
	v_dual_lshlrev_b32 v1, 4, v0 :: v_dual_mov_b32 v3, 0
	v_mov_b32_e32 v4, v0
	s_mov_b32 s0, s2
	v_cmp_gt_u32_e32 vcc_lo, 0x100, v0
	s_branch .LBB2973_318
.LBB2973_317:                           ;   in Loop: Header=BB2973_318 Depth=1
	s_wait_xcnt 0x0
	s_or_b32 exec_lo, exec_lo, s1
	v_add_nc_u32_e32 v4, 0x100, v4
	v_add_nc_u32_e32 v1, 0x1000, v1
	s_add_co_i32 s0, s0, 8
	s_delay_alu instid0(SALU_CYCLE_1)
	s_cmp_lt_u32 s0, s3
	s_cbranch_scc0 .LBB2973_320
.LBB2973_318:                           ; =>This Inner Loop Header: Depth=1
	s_and_saveexec_b32 s1, vcc_lo
	s_cbranch_execz .LBB2973_317
; %bb.319:                              ;   in Loop: Header=BB2973_318 Depth=1
	ds_load_2addr_b32 v[6:7], v1 offset1:1
	ds_load_2addr_b32 v[8:9], v1 offset0:2 offset1:3
	s_wait_dscnt 0x1
	v_add_nc_u32_e32 v2, v7, v6
	s_wait_dscnt 0x0
	s_delay_alu instid0(VALU_DEP_1)
	v_add3_u32 v2, v2, v8, v9
	global_atomic_add_u64 v4, v[2:3], s[6:7] scale_offset scope:SCOPE_DEV
	s_branch .LBB2973_317
.LBB2973_320:
	s_mov_b32 s9, 0
.LBB2973_321:
	s_delay_alu instid0(SALU_CYCLE_1)
	s_and_b32 vcc_lo, exec_lo, s9
	s_cbranch_vccz .LBB2973_417
; %bb.322:
	s_clause 0x7
	global_load_b64 v[16:17], v0, s[4:5] scale_offset
	global_load_b64 v[14:15], v0, s[4:5] offset:4096 scale_offset
	global_load_b64 v[12:13], v0, s[4:5] offset:8192 scale_offset
	;; [unrolled: 1-line block ×7, first 2 shown]
	s_cmp_eq_u32 s2, 0
	v_dual_mov_b32 v18, 0 :: v_dual_lshlrev_b32 v20, 2, v0
	s_cselect_b32 s1, -1, 0
	s_cmp_eq_u32 s3, 64
	v_or_b32_e32 v1, 0xfffffe00, v0
	s_wait_xcnt 0x0
	s_cselect_b32 s4, -1, 0
	s_mov_b32 s0, 0
	s_and_b32 s1, s1, s4
	s_delay_alu instid0(SALU_CYCLE_1)
	s_and_b32 vcc_lo, exec_lo, s1
	s_mov_b32 s1, -1
	s_cbranch_vccnz .LBB2973_412
; %bb.323:
	v_or_b32_e32 v19, 0xfffffe00, v0
	v_lshlrev_b32_e32 v21, 2, v0
.LBB2973_324:                           ; =>This Inner Loop Header: Depth=1
	s_delay_alu instid0(VALU_DEP_2) | instskip(SKIP_4) | instid1(SALU_CYCLE_1)
	v_add_nc_u32_e32 v19, 0x200, v19
	ds_store_b32 v21, v18
	v_add_nc_u32_e32 v21, 0x800, v21
	v_cmp_lt_u32_e32 vcc_lo, 0x1dff, v19
	s_or_b32 s0, vcc_lo, s0
	s_and_not1_b32 exec_lo, exec_lo, s0
	s_cbranch_execnz .LBB2973_324
; %bb.325:
	s_or_b32 exec_lo, exec_lo, s0
	s_cmp_gt_u32 s3, s2
	s_wait_storecnt 0x0
	s_wait_loadcnt_dscnt 0x0
	s_cselect_b32 s0, -1, 0
	s_barrier_signal -1
	s_and_b32 vcc_lo, exec_lo, s0
	s_barrier_wait -1
	s_cbranch_vccz .LBB2973_406
; %bb.326:
	v_lshrrev_b64 v[18:19], s2, v[16:17]
	s_sub_co_i32 s1, s3, s2
	v_dual_mov_b32 v19, 1 :: v_dual_bitop2_b32 v21, 3, v0 bitop3:0x40
	s_min_u32 s1, s1, 8
	s_add_co_i32 s4, s2, 8
	s_lshl_b32 s1, -1, s1
	s_delay_alu instid0(VALU_DEP_1)
	v_lshlrev_b32_e32 v22, 2, v21
	v_bitop3_b32 v18, v18, s1, v18 bitop3:0x30
	s_not_b32 s1, s1
	s_cmp_le_u32 s3, s4
	s_mov_b32 s9, -1
	s_cselect_b32 s5, -1, 0
	v_lshl_or_b32 v18, v18, 4, v22
	s_and_b32 vcc_lo, exec_lo, s5
	s_mov_b32 s8, 0
	ds_add_u32 v18, v19
	v_lshrrev_b64 v[18:19], s2, v[14:15]
                                        ; implicit-def: $vgpr19
	s_cbranch_vccz .LBB2973_328
; %bb.327:
	s_delay_alu instid0(VALU_DEP_1) | instskip(SKIP_2) | instid1(VALU_DEP_1)
	v_and_b32_e32 v19, s1, v18
	s_mov_b32 s9, 0
	s_mov_b32 s8, -1
	v_lshlrev_b32_e32 v19, 4, v19
.LBB2973_328:
	s_and_not1_b32 vcc_lo, exec_lo, s9
	s_cbranch_vccnz .LBB2973_344
; %bb.329:
	v_lshrrev_b64 v[24:25], s4, v[16:17]
	s_sub_co_i32 s9, s3, s4
	s_delay_alu instid0(SALU_CYCLE_1) | instskip(NEXT) | instid1(SALU_CYCLE_1)
	s_min_u32 s9, s9, 8
	s_lshl_b32 s10, -1, s9
	s_add_co_i32 s9, s2, 16
	s_delay_alu instid0(VALU_DEP_1) | instskip(SKIP_3) | instid1(VALU_DEP_1)
	v_bitop3_b32 v19, v24, s10, v24 bitop3:0x30
	s_not_b32 s11, s10
	s_cmp_gt_u32 s3, s9
	s_cselect_b32 s10, -1, 0
	v_lshl_or_b32 v23, v19, 4, v22
	v_mov_b32_e32 v19, 1
	s_cmp_le_u32 s3, s9
	ds_add_u32 v23, v19 offset:4096
	s_cbranch_scc1 .LBB2973_336
; %bb.330:
	v_lshrrev_b64 v[24:25], s9, v[16:17]
	s_sub_co_i32 s12, s3, s9
	s_delay_alu instid0(SALU_CYCLE_1)
	s_min_u32 s12, s12, 8
	s_delay_alu instid0(VALU_DEP_1) | instid1(SALU_CYCLE_1)
	v_bfe_u32 v23, v24, 0, s12
	s_add_co_i32 s12, s2, 24
	s_delay_alu instid0(SALU_CYCLE_1) | instskip(NEXT) | instid1(VALU_DEP_1)
	s_cmp_le_u32 s3, s12
	v_lshl_or_b32 v23, v23, 4, v22
	ds_add_u32 v23, v19 offset:8192
	s_cbranch_scc1 .LBB2973_336
; %bb.331:
	v_lshrrev_b64 v[24:25], s12, v[16:17]
	s_sub_co_i32 s12, s3, s12
	s_delay_alu instid0(SALU_CYCLE_1)
	s_min_u32 s12, s12, 8
	s_delay_alu instid0(VALU_DEP_1) | instid1(SALU_CYCLE_1)
	v_bfe_u32 v23, v24, 0, s12
	s_add_co_i32 s12, s2, 32
	s_delay_alu instid0(SALU_CYCLE_1) | instskip(NEXT) | instid1(VALU_DEP_1)
	s_cmp_le_u32 s3, s12
	v_lshl_or_b32 v24, v23, 4, v22
	v_mov_b32_e32 v23, 1
	ds_add_u32 v24, v23 offset:12288
	s_cbranch_scc1 .LBB2973_336
; %bb.332:
	v_lshrrev_b64 v[24:25], s12, v[16:17]
	s_sub_co_i32 s12, s3, s12
	s_delay_alu instid0(SALU_CYCLE_1)
	s_min_u32 s12, s12, 8
	s_delay_alu instid0(VALU_DEP_1) | instid1(SALU_CYCLE_1)
	v_bfe_u32 v24, v24, 0, s12
	s_add_co_i32 s12, s2, 40
	s_delay_alu instid0(SALU_CYCLE_1) | instskip(NEXT) | instid1(VALU_DEP_1)
	s_cmp_le_u32 s3, s12
	v_lshl_or_b32 v24, v24, 4, v22
	ds_add_u32 v24, v23 offset:16384
	s_cbranch_scc1 .LBB2973_336
; %bb.333:
	v_lshrrev_b64 v[24:25], s12, v[16:17]
	s_sub_co_i32 s12, s3, s12
	s_delay_alu instid0(SALU_CYCLE_1)
	s_min_u32 s12, s12, 8
	s_delay_alu instid0(VALU_DEP_1) | instid1(SALU_CYCLE_1)
	v_bfe_u32 v23, v24, 0, s12
	s_add_co_i32 s12, s2, 48
	s_delay_alu instid0(SALU_CYCLE_1) | instskip(NEXT) | instid1(VALU_DEP_1)
	s_cmp_le_u32 s3, s12
	v_lshl_or_b32 v24, v23, 4, v22
	v_mov_b32_e32 v23, 1
	ds_add_u32 v24, v23 offset:20480
	s_cbranch_scc1 .LBB2973_336
; %bb.334:
	v_lshrrev_b64 v[24:25], s12, v[16:17]
	s_sub_co_i32 s12, s3, s12
	s_delay_alu instid0(SALU_CYCLE_1)
	s_min_u32 s12, s12, 8
	s_delay_alu instid0(VALU_DEP_1) | instid1(SALU_CYCLE_1)
	v_bfe_u32 v24, v24, 0, s12
	s_add_co_i32 s12, s2, 56
	s_delay_alu instid0(SALU_CYCLE_1) | instskip(NEXT) | instid1(VALU_DEP_1)
	s_cmp_le_u32 s3, s12
	v_lshl_or_b32 v24, v24, 4, v22
	ds_add_u32 v24, v23 offset:24576
	s_cbranch_scc1 .LBB2973_336
; %bb.335:
	v_lshrrev_b64 v[24:25], s12, v[16:17]
	s_sub_co_i32 s12, s3, s12
	s_delay_alu instid0(SALU_CYCLE_1)
	s_min_u32 s12, s12, 8
	s_delay_alu instid0(VALU_DEP_1) | instid1(SALU_CYCLE_1)
	v_bfe_u32 v23, v24, 0, s12
	v_mov_b32_e32 v24, 1
	s_delay_alu instid0(VALU_DEP_2)
	v_lshl_or_b32 v23, v23, 4, v22
	ds_add_u32 v23, v24 offset:28672
.LBB2973_336:
	v_lshrrev_b64 v[24:25], s4, v[14:15]
	v_and_b32_e32 v18, s1, v18
	s_and_not1_b32 vcc_lo, exec_lo, s10
	s_delay_alu instid0(VALU_DEP_1) | instskip(NEXT) | instid1(VALU_DEP_3)
	v_lshl_or_b32 v18, v18, 4, v22
	v_and_b32_e32 v23, s11, v24
	s_delay_alu instid0(VALU_DEP_1)
	v_lshl_or_b32 v23, v23, 4, v22
	ds_add_u32 v18, v19
	ds_add_u32 v23, v19 offset:4096
	s_cbranch_vccnz .LBB2973_343
; %bb.337:
	v_lshrrev_b64 v[18:19], s9, v[14:15]
	s_sub_co_i32 s9, s3, s9
	s_delay_alu instid0(SALU_CYCLE_1)
	s_min_u32 s9, s9, 8
	s_delay_alu instid0(VALU_DEP_1) | instid1(SALU_CYCLE_1)
	v_bfe_u32 v18, v18, 0, s9
	s_add_co_i32 s9, s2, 24
	s_delay_alu instid0(SALU_CYCLE_1) | instskip(NEXT) | instid1(VALU_DEP_1)
	s_cmp_gt_u32 s3, s9
	v_lshl_or_b32 v19, v18, 4, v22
	v_mov_b32_e32 v18, 1
	ds_add_u32 v19, v18 offset:8192
	s_cbranch_scc0 .LBB2973_343
; %bb.338:
	v_lshrrev_b64 v[24:25], s9, v[14:15]
	s_sub_co_i32 s9, s3, s9
	s_delay_alu instid0(SALU_CYCLE_1)
	s_min_u32 s9, s9, 8
	s_delay_alu instid0(VALU_DEP_1) | instid1(SALU_CYCLE_1)
	v_bfe_u32 v19, v24, 0, s9
	s_add_co_i32 s9, s2, 32
	s_delay_alu instid0(SALU_CYCLE_1) | instskip(NEXT) | instid1(VALU_DEP_1)
	s_cmp_gt_u32 s3, s9
	v_lshl_or_b32 v19, v19, 4, v22
	ds_add_u32 v19, v18 offset:12288
	s_cbranch_scc0 .LBB2973_343
; %bb.339:
	v_lshrrev_b64 v[18:19], s9, v[14:15]
	s_sub_co_i32 s9, s3, s9
	s_delay_alu instid0(SALU_CYCLE_1)
	s_min_u32 s9, s9, 8
	s_delay_alu instid0(VALU_DEP_1) | instid1(SALU_CYCLE_1)
	v_bfe_u32 v18, v18, 0, s9
	s_add_co_i32 s9, s2, 40
	s_delay_alu instid0(SALU_CYCLE_1) | instskip(NEXT) | instid1(VALU_DEP_1)
	s_cmp_gt_u32 s3, s9
	v_lshl_or_b32 v19, v18, 4, v22
	v_mov_b32_e32 v18, 1
	ds_add_u32 v19, v18 offset:16384
	s_cbranch_scc0 .LBB2973_343
; %bb.340:
	v_lshrrev_b64 v[24:25], s9, v[14:15]
	s_sub_co_i32 s9, s3, s9
	s_delay_alu instid0(SALU_CYCLE_1)
	s_min_u32 s9, s9, 8
	s_delay_alu instid0(VALU_DEP_1) | instid1(SALU_CYCLE_1)
	v_bfe_u32 v19, v24, 0, s9
	s_add_co_i32 s9, s2, 48
	s_delay_alu instid0(SALU_CYCLE_1) | instskip(NEXT) | instid1(VALU_DEP_1)
	s_cmp_gt_u32 s3, s9
	v_lshl_or_b32 v19, v19, 4, v22
	ds_add_u32 v19, v18 offset:20480
	s_cbranch_scc0 .LBB2973_343
; %bb.341:
	v_lshrrev_b64 v[18:19], s9, v[14:15]
	s_sub_co_i32 s9, s3, s9
	v_mov_b32_e32 v19, 1
	s_min_u32 s9, s9, 8
	s_delay_alu instid0(VALU_DEP_2) | instid1(SALU_CYCLE_1)
	v_bfe_u32 v18, v18, 0, s9
	s_add_co_i32 s9, s2, 56
	s_delay_alu instid0(SALU_CYCLE_1) | instskip(NEXT) | instid1(VALU_DEP_1)
	s_cmp_gt_u32 s3, s9
	v_lshl_or_b32 v18, v18, 4, v22
	ds_add_u32 v18, v19 offset:24576
                                        ; implicit-def: $vgpr19
	s_cbranch_scc0 .LBB2973_344
; %bb.342:
	v_lshrrev_b64 v[18:19], s9, v[14:15]
	s_sub_co_i32 s8, s3, s9
	s_delay_alu instid0(SALU_CYCLE_1)
	s_min_u32 s8, s8, 8
	s_delay_alu instid0(VALU_DEP_1) | instid1(SALU_CYCLE_1)
	v_bfe_u32 v18, v18, 0, s8
	s_mov_b32 s8, -1
	s_delay_alu instid0(VALU_DEP_1)
	v_lshl_add_u32 v19, v18, 4, 0x7000
	s_branch .LBB2973_344
.LBB2973_343:
                                        ; implicit-def: $vgpr19
.LBB2973_344:
	s_and_b32 vcc_lo, exec_lo, s8
	s_cbranch_vccz .LBB2973_346
; %bb.345:
	s_delay_alu instid0(VALU_DEP_1)
	v_lshl_add_u32 v18, v21, 2, v19
	v_mov_b32_e32 v19, 1
	ds_add_u32 v18, v19
.LBB2973_346:
	v_lshrrev_b64 v[18:19], s2, v[12:13]
	s_and_b32 vcc_lo, exec_lo, s5
	s_delay_alu instid0(VALU_DEP_1) | instskip(NEXT) | instid1(VALU_DEP_1)
	v_dual_mov_b32 v19, 1 :: v_dual_bitop2_b32 v18, s1, v18 bitop3:0x40
	v_lshl_or_b32 v18, v18, 4, v22
	ds_add_u32 v18, v19
	v_lshrrev_b64 v[18:19], s2, v[10:11]
	s_cbranch_vccz .LBB2973_348
; %bb.347:
	s_delay_alu instid0(VALU_DEP_1) | instskip(SKIP_1) | instid1(VALU_DEP_1)
	v_and_b32_e32 v19, s1, v18
	s_mov_b32 s8, -1
	v_lshlrev_b32_e32 v19, 4, v19
	s_cbranch_execz .LBB2973_349
	s_branch .LBB2973_364
.LBB2973_348:
	s_mov_b32 s8, 0
                                        ; implicit-def: $vgpr19
.LBB2973_349:
	v_lshrrev_b64 v[24:25], s4, v[12:13]
	s_sub_co_i32 s9, s3, s4
	s_delay_alu instid0(SALU_CYCLE_1) | instskip(NEXT) | instid1(SALU_CYCLE_1)
	s_min_u32 s9, s9, 8
	s_lshl_b32 s10, -1, s9
	s_add_co_i32 s9, s2, 16
	s_delay_alu instid0(VALU_DEP_1) | instskip(SKIP_3) | instid1(VALU_DEP_1)
	v_bitop3_b32 v19, v24, s10, v24 bitop3:0x30
	s_not_b32 s11, s10
	s_cmp_gt_u32 s3, s9
	s_cselect_b32 s10, -1, 0
	v_lshl_or_b32 v23, v19, 4, v22
	v_mov_b32_e32 v19, 1
	s_cmp_le_u32 s3, s9
	ds_add_u32 v23, v19 offset:4096
	s_cbranch_scc1 .LBB2973_356
; %bb.350:
	v_lshrrev_b64 v[24:25], s9, v[12:13]
	s_sub_co_i32 s12, s3, s9
	s_delay_alu instid0(SALU_CYCLE_1)
	s_min_u32 s12, s12, 8
	s_delay_alu instid0(VALU_DEP_1) | instid1(SALU_CYCLE_1)
	v_bfe_u32 v23, v24, 0, s12
	s_add_co_i32 s12, s2, 24
	s_delay_alu instid0(SALU_CYCLE_1) | instskip(NEXT) | instid1(VALU_DEP_1)
	s_cmp_le_u32 s3, s12
	v_lshl_or_b32 v23, v23, 4, v22
	ds_add_u32 v23, v19 offset:8192
	s_cbranch_scc1 .LBB2973_356
; %bb.351:
	v_lshrrev_b64 v[24:25], s12, v[12:13]
	s_sub_co_i32 s12, s3, s12
	s_delay_alu instid0(SALU_CYCLE_1)
	s_min_u32 s12, s12, 8
	s_delay_alu instid0(VALU_DEP_1) | instid1(SALU_CYCLE_1)
	v_bfe_u32 v23, v24, 0, s12
	s_add_co_i32 s12, s2, 32
	s_delay_alu instid0(SALU_CYCLE_1) | instskip(NEXT) | instid1(VALU_DEP_1)
	s_cmp_le_u32 s3, s12
	v_lshl_or_b32 v24, v23, 4, v22
	v_mov_b32_e32 v23, 1
	ds_add_u32 v24, v23 offset:12288
	s_cbranch_scc1 .LBB2973_356
; %bb.352:
	v_lshrrev_b64 v[24:25], s12, v[12:13]
	s_sub_co_i32 s12, s3, s12
	s_delay_alu instid0(SALU_CYCLE_1)
	s_min_u32 s12, s12, 8
	s_delay_alu instid0(VALU_DEP_1) | instid1(SALU_CYCLE_1)
	v_bfe_u32 v24, v24, 0, s12
	s_add_co_i32 s12, s2, 40
	s_delay_alu instid0(SALU_CYCLE_1) | instskip(NEXT) | instid1(VALU_DEP_1)
	s_cmp_le_u32 s3, s12
	v_lshl_or_b32 v24, v24, 4, v22
	ds_add_u32 v24, v23 offset:16384
	s_cbranch_scc1 .LBB2973_356
; %bb.353:
	v_lshrrev_b64 v[24:25], s12, v[12:13]
	s_sub_co_i32 s12, s3, s12
	s_delay_alu instid0(SALU_CYCLE_1)
	s_min_u32 s12, s12, 8
	s_delay_alu instid0(VALU_DEP_1) | instid1(SALU_CYCLE_1)
	v_bfe_u32 v23, v24, 0, s12
	s_add_co_i32 s12, s2, 48
	s_delay_alu instid0(SALU_CYCLE_1) | instskip(NEXT) | instid1(VALU_DEP_1)
	s_cmp_le_u32 s3, s12
	v_lshl_or_b32 v24, v23, 4, v22
	v_mov_b32_e32 v23, 1
	ds_add_u32 v24, v23 offset:20480
	s_cbranch_scc1 .LBB2973_356
; %bb.354:
	v_lshrrev_b64 v[24:25], s12, v[12:13]
	s_sub_co_i32 s12, s3, s12
	s_delay_alu instid0(SALU_CYCLE_1)
	s_min_u32 s12, s12, 8
	s_delay_alu instid0(VALU_DEP_1) | instid1(SALU_CYCLE_1)
	v_bfe_u32 v24, v24, 0, s12
	s_add_co_i32 s12, s2, 56
	s_delay_alu instid0(SALU_CYCLE_1) | instskip(NEXT) | instid1(VALU_DEP_1)
	s_cmp_le_u32 s3, s12
	v_lshl_or_b32 v24, v24, 4, v22
	ds_add_u32 v24, v23 offset:24576
	s_cbranch_scc1 .LBB2973_356
; %bb.355:
	v_lshrrev_b64 v[24:25], s12, v[12:13]
	s_sub_co_i32 s12, s3, s12
	s_delay_alu instid0(SALU_CYCLE_1)
	s_min_u32 s12, s12, 8
	s_delay_alu instid0(VALU_DEP_1) | instid1(SALU_CYCLE_1)
	v_bfe_u32 v23, v24, 0, s12
	v_mov_b32_e32 v24, 1
	s_delay_alu instid0(VALU_DEP_2)
	v_lshl_or_b32 v23, v23, 4, v22
	ds_add_u32 v23, v24 offset:28672
.LBB2973_356:
	v_lshrrev_b64 v[24:25], s4, v[10:11]
	v_and_b32_e32 v18, s1, v18
	s_and_not1_b32 vcc_lo, exec_lo, s10
	s_delay_alu instid0(VALU_DEP_1) | instskip(NEXT) | instid1(VALU_DEP_3)
	v_lshl_or_b32 v18, v18, 4, v22
	v_and_b32_e32 v23, s11, v24
	s_delay_alu instid0(VALU_DEP_1)
	v_lshl_or_b32 v23, v23, 4, v22
	ds_add_u32 v18, v19
	ds_add_u32 v23, v19 offset:4096
	s_cbranch_vccnz .LBB2973_363
; %bb.357:
	v_lshrrev_b64 v[18:19], s9, v[10:11]
	s_sub_co_i32 s9, s3, s9
	s_delay_alu instid0(SALU_CYCLE_1)
	s_min_u32 s9, s9, 8
	s_delay_alu instid0(VALU_DEP_1) | instid1(SALU_CYCLE_1)
	v_bfe_u32 v18, v18, 0, s9
	s_add_co_i32 s9, s2, 24
	s_delay_alu instid0(SALU_CYCLE_1) | instskip(NEXT) | instid1(VALU_DEP_1)
	s_cmp_gt_u32 s3, s9
	v_lshl_or_b32 v19, v18, 4, v22
	v_mov_b32_e32 v18, 1
	ds_add_u32 v19, v18 offset:8192
	s_cbranch_scc0 .LBB2973_363
; %bb.358:
	v_lshrrev_b64 v[24:25], s9, v[10:11]
	s_sub_co_i32 s9, s3, s9
	s_delay_alu instid0(SALU_CYCLE_1)
	s_min_u32 s9, s9, 8
	s_delay_alu instid0(VALU_DEP_1) | instid1(SALU_CYCLE_1)
	v_bfe_u32 v19, v24, 0, s9
	s_add_co_i32 s9, s2, 32
	s_delay_alu instid0(SALU_CYCLE_1) | instskip(NEXT) | instid1(VALU_DEP_1)
	s_cmp_gt_u32 s3, s9
	v_lshl_or_b32 v19, v19, 4, v22
	ds_add_u32 v19, v18 offset:12288
	s_cbranch_scc0 .LBB2973_363
; %bb.359:
	v_lshrrev_b64 v[18:19], s9, v[10:11]
	s_sub_co_i32 s9, s3, s9
	s_delay_alu instid0(SALU_CYCLE_1)
	s_min_u32 s9, s9, 8
	s_delay_alu instid0(VALU_DEP_1) | instid1(SALU_CYCLE_1)
	v_bfe_u32 v18, v18, 0, s9
	s_add_co_i32 s9, s2, 40
	s_delay_alu instid0(SALU_CYCLE_1) | instskip(NEXT) | instid1(VALU_DEP_1)
	s_cmp_gt_u32 s3, s9
	v_lshl_or_b32 v19, v18, 4, v22
	v_mov_b32_e32 v18, 1
	ds_add_u32 v19, v18 offset:16384
	s_cbranch_scc0 .LBB2973_363
; %bb.360:
	v_lshrrev_b64 v[24:25], s9, v[10:11]
	s_sub_co_i32 s9, s3, s9
	s_delay_alu instid0(SALU_CYCLE_1)
	s_min_u32 s9, s9, 8
	s_delay_alu instid0(VALU_DEP_1) | instid1(SALU_CYCLE_1)
	v_bfe_u32 v19, v24, 0, s9
	s_add_co_i32 s9, s2, 48
	s_delay_alu instid0(SALU_CYCLE_1) | instskip(NEXT) | instid1(VALU_DEP_1)
	s_cmp_gt_u32 s3, s9
	v_lshl_or_b32 v19, v19, 4, v22
	ds_add_u32 v19, v18 offset:20480
	s_cbranch_scc0 .LBB2973_363
; %bb.361:
	v_lshrrev_b64 v[18:19], s9, v[10:11]
	s_sub_co_i32 s9, s3, s9
	v_mov_b32_e32 v19, 1
	s_min_u32 s9, s9, 8
	s_delay_alu instid0(VALU_DEP_2) | instid1(SALU_CYCLE_1)
	v_bfe_u32 v18, v18, 0, s9
	s_add_co_i32 s9, s2, 56
	s_delay_alu instid0(SALU_CYCLE_1) | instskip(NEXT) | instid1(VALU_DEP_1)
	s_cmp_gt_u32 s3, s9
	v_lshl_or_b32 v18, v18, 4, v22
	ds_add_u32 v18, v19 offset:24576
                                        ; implicit-def: $vgpr19
	s_cbranch_scc0 .LBB2973_364
; %bb.362:
	v_lshrrev_b64 v[18:19], s9, v[10:11]
	s_sub_co_i32 s8, s3, s9
	s_delay_alu instid0(SALU_CYCLE_1)
	s_min_u32 s8, s8, 8
	s_delay_alu instid0(VALU_DEP_1) | instid1(SALU_CYCLE_1)
	v_bfe_u32 v18, v18, 0, s8
	s_mov_b32 s8, -1
	s_delay_alu instid0(VALU_DEP_1)
	v_lshl_add_u32 v19, v18, 4, 0x7000
	s_branch .LBB2973_364
.LBB2973_363:
                                        ; implicit-def: $vgpr19
.LBB2973_364:
	s_and_b32 vcc_lo, exec_lo, s8
	s_cbranch_vccz .LBB2973_366
; %bb.365:
	s_delay_alu instid0(VALU_DEP_1)
	v_lshl_add_u32 v18, v21, 2, v19
	v_mov_b32_e32 v19, 1
	ds_add_u32 v18, v19
.LBB2973_366:
	v_lshrrev_b64 v[18:19], s2, v[8:9]
	s_and_b32 vcc_lo, exec_lo, s5
	s_delay_alu instid0(VALU_DEP_1) | instskip(NEXT) | instid1(VALU_DEP_1)
	v_dual_mov_b32 v19, 1 :: v_dual_bitop2_b32 v18, s1, v18 bitop3:0x40
	v_lshl_or_b32 v18, v18, 4, v22
	ds_add_u32 v18, v19
	v_lshrrev_b64 v[18:19], s2, v[6:7]
	s_cbranch_vccz .LBB2973_368
; %bb.367:
	s_delay_alu instid0(VALU_DEP_1) | instskip(SKIP_1) | instid1(VALU_DEP_1)
	v_and_b32_e32 v19, s1, v18
	s_mov_b32 s8, -1
	v_lshlrev_b32_e32 v19, 4, v19
	s_cbranch_execz .LBB2973_369
	s_branch .LBB2973_384
.LBB2973_368:
	s_mov_b32 s8, 0
                                        ; implicit-def: $vgpr19
.LBB2973_369:
	v_lshrrev_b64 v[24:25], s4, v[8:9]
	s_sub_co_i32 s9, s3, s4
	s_delay_alu instid0(SALU_CYCLE_1) | instskip(NEXT) | instid1(SALU_CYCLE_1)
	s_min_u32 s9, s9, 8
	s_lshl_b32 s10, -1, s9
	s_add_co_i32 s9, s2, 16
	s_delay_alu instid0(VALU_DEP_1) | instskip(SKIP_3) | instid1(VALU_DEP_1)
	v_bitop3_b32 v19, v24, s10, v24 bitop3:0x30
	s_not_b32 s11, s10
	s_cmp_gt_u32 s3, s9
	s_cselect_b32 s10, -1, 0
	v_lshl_or_b32 v23, v19, 4, v22
	v_mov_b32_e32 v19, 1
	s_cmp_le_u32 s3, s9
	ds_add_u32 v23, v19 offset:4096
	s_cbranch_scc1 .LBB2973_376
; %bb.370:
	v_lshrrev_b64 v[24:25], s9, v[8:9]
	s_sub_co_i32 s12, s3, s9
	s_delay_alu instid0(SALU_CYCLE_1)
	s_min_u32 s12, s12, 8
	s_delay_alu instid0(VALU_DEP_1) | instid1(SALU_CYCLE_1)
	v_bfe_u32 v23, v24, 0, s12
	s_add_co_i32 s12, s2, 24
	s_delay_alu instid0(SALU_CYCLE_1) | instskip(NEXT) | instid1(VALU_DEP_1)
	s_cmp_le_u32 s3, s12
	v_lshl_or_b32 v23, v23, 4, v22
	ds_add_u32 v23, v19 offset:8192
	s_cbranch_scc1 .LBB2973_376
; %bb.371:
	v_lshrrev_b64 v[24:25], s12, v[8:9]
	s_sub_co_i32 s12, s3, s12
	s_delay_alu instid0(SALU_CYCLE_1)
	s_min_u32 s12, s12, 8
	s_delay_alu instid0(VALU_DEP_1) | instid1(SALU_CYCLE_1)
	v_bfe_u32 v23, v24, 0, s12
	s_add_co_i32 s12, s2, 32
	s_delay_alu instid0(SALU_CYCLE_1) | instskip(NEXT) | instid1(VALU_DEP_1)
	s_cmp_le_u32 s3, s12
	v_lshl_or_b32 v24, v23, 4, v22
	v_mov_b32_e32 v23, 1
	ds_add_u32 v24, v23 offset:12288
	s_cbranch_scc1 .LBB2973_376
; %bb.372:
	v_lshrrev_b64 v[24:25], s12, v[8:9]
	s_sub_co_i32 s12, s3, s12
	s_delay_alu instid0(SALU_CYCLE_1)
	s_min_u32 s12, s12, 8
	s_delay_alu instid0(VALU_DEP_1) | instid1(SALU_CYCLE_1)
	v_bfe_u32 v24, v24, 0, s12
	s_add_co_i32 s12, s2, 40
	s_delay_alu instid0(SALU_CYCLE_1) | instskip(NEXT) | instid1(VALU_DEP_1)
	s_cmp_le_u32 s3, s12
	v_lshl_or_b32 v24, v24, 4, v22
	ds_add_u32 v24, v23 offset:16384
	s_cbranch_scc1 .LBB2973_376
; %bb.373:
	v_lshrrev_b64 v[24:25], s12, v[8:9]
	s_sub_co_i32 s12, s3, s12
	s_delay_alu instid0(SALU_CYCLE_1)
	s_min_u32 s12, s12, 8
	s_delay_alu instid0(VALU_DEP_1) | instid1(SALU_CYCLE_1)
	v_bfe_u32 v23, v24, 0, s12
	s_add_co_i32 s12, s2, 48
	s_delay_alu instid0(SALU_CYCLE_1) | instskip(NEXT) | instid1(VALU_DEP_1)
	s_cmp_le_u32 s3, s12
	v_lshl_or_b32 v24, v23, 4, v22
	v_mov_b32_e32 v23, 1
	ds_add_u32 v24, v23 offset:20480
	s_cbranch_scc1 .LBB2973_376
; %bb.374:
	v_lshrrev_b64 v[24:25], s12, v[8:9]
	s_sub_co_i32 s12, s3, s12
	s_delay_alu instid0(SALU_CYCLE_1)
	s_min_u32 s12, s12, 8
	s_delay_alu instid0(VALU_DEP_1) | instid1(SALU_CYCLE_1)
	v_bfe_u32 v24, v24, 0, s12
	s_add_co_i32 s12, s2, 56
	s_delay_alu instid0(SALU_CYCLE_1) | instskip(NEXT) | instid1(VALU_DEP_1)
	s_cmp_le_u32 s3, s12
	v_lshl_or_b32 v24, v24, 4, v22
	ds_add_u32 v24, v23 offset:24576
	s_cbranch_scc1 .LBB2973_376
; %bb.375:
	v_lshrrev_b64 v[24:25], s12, v[8:9]
	s_sub_co_i32 s12, s3, s12
	s_delay_alu instid0(SALU_CYCLE_1)
	s_min_u32 s12, s12, 8
	s_delay_alu instid0(VALU_DEP_1) | instid1(SALU_CYCLE_1)
	v_bfe_u32 v23, v24, 0, s12
	v_mov_b32_e32 v24, 1
	s_delay_alu instid0(VALU_DEP_2)
	v_lshl_or_b32 v23, v23, 4, v22
	ds_add_u32 v23, v24 offset:28672
.LBB2973_376:
	v_lshrrev_b64 v[24:25], s4, v[6:7]
	v_and_b32_e32 v18, s1, v18
	s_and_not1_b32 vcc_lo, exec_lo, s10
	s_delay_alu instid0(VALU_DEP_1) | instskip(NEXT) | instid1(VALU_DEP_3)
	v_lshl_or_b32 v18, v18, 4, v22
	v_and_b32_e32 v23, s11, v24
	s_delay_alu instid0(VALU_DEP_1)
	v_lshl_or_b32 v23, v23, 4, v22
	ds_add_u32 v18, v19
	ds_add_u32 v23, v19 offset:4096
	s_cbranch_vccnz .LBB2973_383
; %bb.377:
	v_lshrrev_b64 v[18:19], s9, v[6:7]
	s_sub_co_i32 s9, s3, s9
	s_delay_alu instid0(SALU_CYCLE_1)
	s_min_u32 s9, s9, 8
	s_delay_alu instid0(VALU_DEP_1) | instid1(SALU_CYCLE_1)
	v_bfe_u32 v18, v18, 0, s9
	s_add_co_i32 s9, s2, 24
	s_delay_alu instid0(SALU_CYCLE_1) | instskip(NEXT) | instid1(VALU_DEP_1)
	s_cmp_gt_u32 s3, s9
	v_lshl_or_b32 v19, v18, 4, v22
	v_mov_b32_e32 v18, 1
	ds_add_u32 v19, v18 offset:8192
	s_cbranch_scc0 .LBB2973_383
; %bb.378:
	v_lshrrev_b64 v[24:25], s9, v[6:7]
	s_sub_co_i32 s9, s3, s9
	s_delay_alu instid0(SALU_CYCLE_1)
	s_min_u32 s9, s9, 8
	s_delay_alu instid0(VALU_DEP_1) | instid1(SALU_CYCLE_1)
	v_bfe_u32 v19, v24, 0, s9
	s_add_co_i32 s9, s2, 32
	s_delay_alu instid0(SALU_CYCLE_1) | instskip(NEXT) | instid1(VALU_DEP_1)
	s_cmp_gt_u32 s3, s9
	v_lshl_or_b32 v19, v19, 4, v22
	ds_add_u32 v19, v18 offset:12288
	s_cbranch_scc0 .LBB2973_383
; %bb.379:
	v_lshrrev_b64 v[18:19], s9, v[6:7]
	s_sub_co_i32 s9, s3, s9
	s_delay_alu instid0(SALU_CYCLE_1)
	s_min_u32 s9, s9, 8
	s_delay_alu instid0(VALU_DEP_1) | instid1(SALU_CYCLE_1)
	v_bfe_u32 v18, v18, 0, s9
	s_add_co_i32 s9, s2, 40
	s_delay_alu instid0(SALU_CYCLE_1) | instskip(NEXT) | instid1(VALU_DEP_1)
	s_cmp_gt_u32 s3, s9
	v_lshl_or_b32 v19, v18, 4, v22
	v_mov_b32_e32 v18, 1
	ds_add_u32 v19, v18 offset:16384
	s_cbranch_scc0 .LBB2973_383
; %bb.380:
	v_lshrrev_b64 v[24:25], s9, v[6:7]
	s_sub_co_i32 s9, s3, s9
	s_delay_alu instid0(SALU_CYCLE_1)
	s_min_u32 s9, s9, 8
	s_delay_alu instid0(VALU_DEP_1) | instid1(SALU_CYCLE_1)
	v_bfe_u32 v19, v24, 0, s9
	s_add_co_i32 s9, s2, 48
	s_delay_alu instid0(SALU_CYCLE_1) | instskip(NEXT) | instid1(VALU_DEP_1)
	s_cmp_gt_u32 s3, s9
	v_lshl_or_b32 v19, v19, 4, v22
	ds_add_u32 v19, v18 offset:20480
	s_cbranch_scc0 .LBB2973_383
; %bb.381:
	v_lshrrev_b64 v[18:19], s9, v[6:7]
	s_sub_co_i32 s9, s3, s9
	v_mov_b32_e32 v19, 1
	s_min_u32 s9, s9, 8
	s_delay_alu instid0(VALU_DEP_2) | instid1(SALU_CYCLE_1)
	v_bfe_u32 v18, v18, 0, s9
	s_add_co_i32 s9, s2, 56
	s_delay_alu instid0(SALU_CYCLE_1) | instskip(NEXT) | instid1(VALU_DEP_1)
	s_cmp_gt_u32 s3, s9
	v_lshl_or_b32 v18, v18, 4, v22
	ds_add_u32 v18, v19 offset:24576
                                        ; implicit-def: $vgpr19
	s_cbranch_scc0 .LBB2973_384
; %bb.382:
	v_lshrrev_b64 v[18:19], s9, v[6:7]
	s_sub_co_i32 s8, s3, s9
	s_delay_alu instid0(SALU_CYCLE_1)
	s_min_u32 s8, s8, 8
	s_delay_alu instid0(VALU_DEP_1) | instid1(SALU_CYCLE_1)
	v_bfe_u32 v18, v18, 0, s8
	s_mov_b32 s8, -1
	s_delay_alu instid0(VALU_DEP_1)
	v_lshl_add_u32 v19, v18, 4, 0x7000
	s_branch .LBB2973_384
.LBB2973_383:
                                        ; implicit-def: $vgpr19
.LBB2973_384:
	s_and_b32 vcc_lo, exec_lo, s8
	s_cbranch_vccz .LBB2973_386
; %bb.385:
	s_delay_alu instid0(VALU_DEP_1)
	v_lshl_add_u32 v18, v21, 2, v19
	v_mov_b32_e32 v19, 1
	ds_add_u32 v18, v19
.LBB2973_386:
	v_lshrrev_b64 v[18:19], s2, v[4:5]
	s_and_b32 vcc_lo, exec_lo, s5
	s_delay_alu instid0(VALU_DEP_1) | instskip(NEXT) | instid1(VALU_DEP_1)
	v_dual_mov_b32 v19, 1 :: v_dual_bitop2_b32 v18, s1, v18 bitop3:0x40
	v_lshl_or_b32 v18, v18, 4, v22
	ds_add_u32 v18, v19
	v_lshrrev_b64 v[18:19], s2, v[2:3]
	s_cbranch_vccz .LBB2973_388
; %bb.387:
	s_delay_alu instid0(VALU_DEP_1) | instskip(SKIP_1) | instid1(VALU_DEP_1)
	v_and_b32_e32 v19, s1, v18
	s_mov_b32 s5, -1
	v_lshlrev_b32_e32 v19, 4, v19
	s_cbranch_execz .LBB2973_389
	s_branch .LBB2973_404
.LBB2973_388:
	s_mov_b32 s5, 0
                                        ; implicit-def: $vgpr19
.LBB2973_389:
	v_lshrrev_b64 v[24:25], s4, v[4:5]
	s_sub_co_i32 s8, s3, s4
	s_delay_alu instid0(SALU_CYCLE_1) | instskip(NEXT) | instid1(SALU_CYCLE_1)
	s_min_u32 s8, s8, 8
	s_lshl_b32 s9, -1, s8
	s_add_co_i32 s8, s2, 16
	s_delay_alu instid0(VALU_DEP_1) | instskip(SKIP_3) | instid1(VALU_DEP_1)
	v_bitop3_b32 v19, v24, s9, v24 bitop3:0x30
	s_not_b32 s10, s9
	s_cmp_gt_u32 s3, s8
	s_cselect_b32 s9, -1, 0
	v_lshl_or_b32 v23, v19, 4, v22
	v_mov_b32_e32 v19, 1
	s_cmp_le_u32 s3, s8
	ds_add_u32 v23, v19 offset:4096
	s_cbranch_scc1 .LBB2973_396
; %bb.390:
	v_lshrrev_b64 v[24:25], s8, v[4:5]
	s_sub_co_i32 s11, s3, s8
	s_delay_alu instid0(SALU_CYCLE_1)
	s_min_u32 s11, s11, 8
	s_delay_alu instid0(VALU_DEP_1) | instid1(SALU_CYCLE_1)
	v_bfe_u32 v23, v24, 0, s11
	s_add_co_i32 s11, s2, 24
	s_delay_alu instid0(SALU_CYCLE_1) | instskip(NEXT) | instid1(VALU_DEP_1)
	s_cmp_le_u32 s3, s11
	v_lshl_or_b32 v23, v23, 4, v22
	ds_add_u32 v23, v19 offset:8192
	s_cbranch_scc1 .LBB2973_396
; %bb.391:
	v_lshrrev_b64 v[24:25], s11, v[4:5]
	s_sub_co_i32 s11, s3, s11
	s_delay_alu instid0(SALU_CYCLE_1)
	s_min_u32 s11, s11, 8
	s_delay_alu instid0(VALU_DEP_1) | instid1(SALU_CYCLE_1)
	v_bfe_u32 v23, v24, 0, s11
	s_add_co_i32 s11, s2, 32
	s_delay_alu instid0(SALU_CYCLE_1) | instskip(NEXT) | instid1(VALU_DEP_1)
	s_cmp_le_u32 s3, s11
	v_lshl_or_b32 v24, v23, 4, v22
	v_mov_b32_e32 v23, 1
	ds_add_u32 v24, v23 offset:12288
	s_cbranch_scc1 .LBB2973_396
; %bb.392:
	v_lshrrev_b64 v[24:25], s11, v[4:5]
	s_sub_co_i32 s11, s3, s11
	s_delay_alu instid0(SALU_CYCLE_1)
	s_min_u32 s11, s11, 8
	s_delay_alu instid0(VALU_DEP_1) | instid1(SALU_CYCLE_1)
	v_bfe_u32 v24, v24, 0, s11
	s_add_co_i32 s11, s2, 40
	s_delay_alu instid0(SALU_CYCLE_1) | instskip(NEXT) | instid1(VALU_DEP_1)
	s_cmp_le_u32 s3, s11
	v_lshl_or_b32 v24, v24, 4, v22
	ds_add_u32 v24, v23 offset:16384
	s_cbranch_scc1 .LBB2973_396
; %bb.393:
	v_lshrrev_b64 v[24:25], s11, v[4:5]
	s_sub_co_i32 s11, s3, s11
	s_delay_alu instid0(SALU_CYCLE_1)
	s_min_u32 s11, s11, 8
	s_delay_alu instid0(VALU_DEP_1) | instid1(SALU_CYCLE_1)
	v_bfe_u32 v23, v24, 0, s11
	s_add_co_i32 s11, s2, 48
	s_delay_alu instid0(SALU_CYCLE_1) | instskip(NEXT) | instid1(VALU_DEP_1)
	s_cmp_le_u32 s3, s11
	v_lshl_or_b32 v24, v23, 4, v22
	v_mov_b32_e32 v23, 1
	ds_add_u32 v24, v23 offset:20480
	s_cbranch_scc1 .LBB2973_396
; %bb.394:
	v_lshrrev_b64 v[24:25], s11, v[4:5]
	s_sub_co_i32 s11, s3, s11
	s_delay_alu instid0(SALU_CYCLE_1)
	s_min_u32 s11, s11, 8
	s_delay_alu instid0(VALU_DEP_1) | instid1(SALU_CYCLE_1)
	v_bfe_u32 v24, v24, 0, s11
	s_add_co_i32 s11, s2, 56
	s_delay_alu instid0(SALU_CYCLE_1) | instskip(NEXT) | instid1(VALU_DEP_1)
	s_cmp_le_u32 s3, s11
	v_lshl_or_b32 v24, v24, 4, v22
	ds_add_u32 v24, v23 offset:24576
	s_cbranch_scc1 .LBB2973_396
; %bb.395:
	v_lshrrev_b64 v[24:25], s11, v[4:5]
	s_sub_co_i32 s11, s3, s11
	s_delay_alu instid0(SALU_CYCLE_1)
	s_min_u32 s11, s11, 8
	s_delay_alu instid0(VALU_DEP_1) | instid1(SALU_CYCLE_1)
	v_bfe_u32 v23, v24, 0, s11
	v_mov_b32_e32 v24, 1
	s_delay_alu instid0(VALU_DEP_2)
	v_lshl_or_b32 v23, v23, 4, v22
	ds_add_u32 v23, v24 offset:28672
.LBB2973_396:
	v_lshrrev_b64 v[24:25], s4, v[2:3]
	v_and_b32_e32 v18, s1, v18
	s_and_not1_b32 vcc_lo, exec_lo, s9
	s_delay_alu instid0(VALU_DEP_1) | instskip(NEXT) | instid1(VALU_DEP_3)
	v_lshl_or_b32 v18, v18, 4, v22
	v_and_b32_e32 v23, s10, v24
	s_delay_alu instid0(VALU_DEP_1)
	v_lshl_or_b32 v23, v23, 4, v22
	ds_add_u32 v18, v19
	ds_add_u32 v23, v19 offset:4096
	s_cbranch_vccnz .LBB2973_403
; %bb.397:
	v_lshrrev_b64 v[18:19], s8, v[2:3]
	s_sub_co_i32 s1, s3, s8
	s_delay_alu instid0(SALU_CYCLE_1)
	s_min_u32 s1, s1, 8
	s_delay_alu instid0(VALU_DEP_1) | instid1(SALU_CYCLE_1)
	v_bfe_u32 v18, v18, 0, s1
	s_add_co_i32 s1, s2, 24
	s_delay_alu instid0(SALU_CYCLE_1) | instskip(NEXT) | instid1(VALU_DEP_1)
	s_cmp_gt_u32 s3, s1
	v_lshl_or_b32 v19, v18, 4, v22
	v_mov_b32_e32 v18, 1
	ds_add_u32 v19, v18 offset:8192
	s_cbranch_scc0 .LBB2973_403
; %bb.398:
	v_lshrrev_b64 v[24:25], s1, v[2:3]
	s_sub_co_i32 s1, s3, s1
	s_delay_alu instid0(SALU_CYCLE_1)
	s_min_u32 s1, s1, 8
	s_delay_alu instid0(VALU_DEP_1) | instid1(SALU_CYCLE_1)
	v_bfe_u32 v19, v24, 0, s1
	s_add_co_i32 s1, s2, 32
	s_delay_alu instid0(SALU_CYCLE_1) | instskip(NEXT) | instid1(VALU_DEP_1)
	s_cmp_gt_u32 s3, s1
	v_lshl_or_b32 v19, v19, 4, v22
	ds_add_u32 v19, v18 offset:12288
	s_cbranch_scc0 .LBB2973_403
; %bb.399:
	v_lshrrev_b64 v[18:19], s1, v[2:3]
	s_sub_co_i32 s1, s3, s1
	s_delay_alu instid0(SALU_CYCLE_1)
	s_min_u32 s1, s1, 8
	s_delay_alu instid0(VALU_DEP_1) | instid1(SALU_CYCLE_1)
	v_bfe_u32 v18, v18, 0, s1
	s_add_co_i32 s1, s2, 40
	s_delay_alu instid0(SALU_CYCLE_1) | instskip(NEXT) | instid1(VALU_DEP_1)
	s_cmp_gt_u32 s3, s1
	v_lshl_or_b32 v19, v18, 4, v22
	v_mov_b32_e32 v18, 1
	ds_add_u32 v19, v18 offset:16384
	s_cbranch_scc0 .LBB2973_403
; %bb.400:
	v_lshrrev_b64 v[24:25], s1, v[2:3]
	s_sub_co_i32 s1, s3, s1
	s_delay_alu instid0(SALU_CYCLE_1)
	s_min_u32 s1, s1, 8
	s_delay_alu instid0(VALU_DEP_1) | instid1(SALU_CYCLE_1)
	v_bfe_u32 v19, v24, 0, s1
	s_add_co_i32 s1, s2, 48
	s_delay_alu instid0(SALU_CYCLE_1) | instskip(NEXT) | instid1(VALU_DEP_1)
	s_cmp_gt_u32 s3, s1
	v_lshl_or_b32 v19, v19, 4, v22
	ds_add_u32 v19, v18 offset:20480
	s_cbranch_scc0 .LBB2973_403
; %bb.401:
	v_lshrrev_b64 v[18:19], s1, v[2:3]
	s_sub_co_i32 s1, s3, s1
	v_mov_b32_e32 v19, 1
	s_min_u32 s1, s1, 8
	s_delay_alu instid0(VALU_DEP_2) | instid1(SALU_CYCLE_1)
	v_bfe_u32 v18, v18, 0, s1
	s_add_co_i32 s1, s2, 56
	s_delay_alu instid0(SALU_CYCLE_1) | instskip(NEXT) | instid1(VALU_DEP_1)
	s_cmp_gt_u32 s3, s1
	v_lshl_or_b32 v18, v18, 4, v22
	ds_add_u32 v18, v19 offset:24576
                                        ; implicit-def: $vgpr19
	s_cbranch_scc0 .LBB2973_404
; %bb.402:
	v_lshrrev_b64 v[18:19], s1, v[2:3]
	s_sub_co_i32 s1, s3, s1
	s_mov_b32 s5, -1
	s_min_u32 s1, s1, 8
	s_delay_alu instid0(VALU_DEP_1) | instid1(SALU_CYCLE_1)
	v_bfe_u32 v18, v18, 0, s1
	s_delay_alu instid0(VALU_DEP_1)
	v_lshl_add_u32 v19, v18, 4, 0x7000
	s_branch .LBB2973_404
.LBB2973_403:
                                        ; implicit-def: $vgpr19
.LBB2973_404:
	s_and_b32 vcc_lo, exec_lo, s5
	s_cbranch_vccz .LBB2973_406
; %bb.405:
	s_delay_alu instid0(VALU_DEP_1)
	v_lshl_add_u32 v18, v21, 2, v19
	v_mov_b32_e32 v19, 1
	ds_add_u32 v18, v19
.LBB2973_406:
	s_and_b32 vcc_lo, exec_lo, s0
	s_wait_dscnt 0x0
	s_barrier_signal -1
	s_barrier_wait -1
	s_cbranch_vccz .LBB2973_411
; %bb.407:
	v_dual_lshlrev_b32 v21, 4, v0 :: v_dual_mov_b32 v19, 0
	v_mov_b32_e32 v22, v0
	v_cmp_gt_u32_e32 vcc_lo, 0x100, v0
	s_branch .LBB2973_409
.LBB2973_408:                           ;   in Loop: Header=BB2973_409 Depth=1
	s_wait_xcnt 0x0
	s_or_b32 exec_lo, exec_lo, s0
	v_add_nc_u32_e32 v22, 0x100, v22
	v_add_nc_u32_e32 v21, 0x1000, v21
	s_add_co_i32 s2, s2, 8
	s_delay_alu instid0(SALU_CYCLE_1)
	s_cmp_ge_u32 s2, s3
	s_cbranch_scc1 .LBB2973_411
.LBB2973_409:                           ; =>This Inner Loop Header: Depth=1
	s_and_saveexec_b32 s0, vcc_lo
	s_cbranch_execz .LBB2973_408
; %bb.410:                              ;   in Loop: Header=BB2973_409 Depth=1
	ds_load_2addr_b32 v[24:25], v21 offset1:1
	ds_load_2addr_b32 v[26:27], v21 offset0:2 offset1:3
	s_wait_dscnt 0x1
	v_add_nc_u32_e32 v18, v25, v24
	s_wait_dscnt 0x0
	s_delay_alu instid0(VALU_DEP_1)
	v_add3_u32 v18, v18, v26, v27
	global_atomic_add_u64 v22, v[18:19], s[6:7] scale_offset scope:SCOPE_DEV
	s_branch .LBB2973_408
.LBB2973_411:
	s_mov_b32 s1, 0
.LBB2973_412:
	s_delay_alu instid0(SALU_CYCLE_1)
	s_and_b32 vcc_lo, exec_lo, s1
	s_cbranch_vccz .LBB2973_417
; %bb.413:
	v_mov_b32_e32 v18, 0
	s_mov_b32 s0, 0
.LBB2973_414:                           ; =>This Inner Loop Header: Depth=1
	v_add_nc_u32_e32 v1, 0x200, v1
	ds_store_b32 v20, v18
	v_add_nc_u32_e32 v20, 0x800, v20
	v_cmp_lt_u32_e32 vcc_lo, 0x1dff, v1
	s_or_b32 s0, vcc_lo, s0
	s_delay_alu instid0(SALU_CYCLE_1)
	s_and_not1_b32 exec_lo, exec_lo, s0
	s_cbranch_execnz .LBB2973_414
; %bb.415:
	s_or_b32 exec_lo, exec_lo, s0
	v_dual_mov_b32 v21, 1 :: v_dual_bitop2_b32 v1, 3, v0 bitop3:0x40
	s_wait_loadcnt 0x7
	v_dual_lshlrev_b32 v18, 4, v16 :: v_dual_lshrrev_b32 v19, 4, v16
	s_delay_alu instid0(VALU_DEP_2)
	v_dual_lshrrev_b32 v20, 12, v16 :: v_dual_lshlrev_b32 v1, 2, v1
	v_lshrrev_b32_e32 v22, 20, v16
	v_alignbit_b32 v16, v17, v16, 30
	s_wait_storecnt 0x0
	s_wait_loadcnt_dscnt 0x0
	s_barrier_signal -1
	v_and_or_b32 v18, 0xff0, v18, v1
	v_and_or_b32 v19, 0xff0, v19, v1
	s_barrier_wait -1
	v_and_or_b32 v20, 0xff0, v20, v1
	ds_add_u32 v18, v21
	v_lshrrev_b32_e32 v18, 6, v17
	ds_add_u32 v19, v21 offset:4096
	ds_add_u32 v20, v21 offset:8192
	v_and_or_b32 v19, 0xff0, v22, v1
	v_and_b32_e32 v16, 0x3fc, v16
	v_dual_lshrrev_b32 v20, 14, v17 :: v_dual_lshrrev_b32 v17, 22, v17
	v_and_b32_e32 v18, 0x3fc, v18
	ds_add_u32 v19, v21 offset:12288
	v_lshl_or_b32 v16, v16, 2, v1
	v_and_b32_e32 v19, 0x3fc, v20
	v_and_b32_e32 v17, 0x3fc, v17
	v_lshl_or_b32 v18, v18, 2, v1
	v_lshlrev_b32_e32 v20, 4, v14
	ds_add_u32 v16, v21 offset:16384
	ds_add_u32 v18, v21 offset:20480
	v_lshl_or_b32 v16, v19, 2, v1
	v_lshrrev_b32_e32 v19, 4, v14
	v_lshl_or_b32 v17, v17, 2, v1
	v_and_or_b32 v18, 0xff0, v20, v1
	v_lshrrev_b32_e32 v20, 12, v14
	ds_add_u32 v16, v21 offset:24576
	ds_add_u32 v17, v21 offset:28672
	ds_add_u32 v18, v21
	v_and_or_b32 v16, 0xff0, v19, v1
	v_lshrrev_b32_e32 v18, 20, v14
	v_alignbit_b32 v14, v15, v14, 30
	v_lshrrev_b32_e32 v19, 6, v15
	v_and_or_b32 v17, 0xff0, v20, v1
	ds_add_u32 v16, v21 offset:4096
	ds_add_u32 v17, v21 offset:8192
	v_and_or_b32 v16, 0xff0, v18, v1
	v_and_b32_e32 v14, 0x3fc, v14
	v_lshrrev_b32_e32 v18, 14, v15
	v_and_b32_e32 v17, 0x3fc, v19
	v_lshrrev_b32_e32 v15, 22, v15
	ds_add_u32 v16, v21 offset:12288
	v_lshl_or_b32 v14, v14, 2, v1
	s_mov_b32 s0, exec_lo
	v_lshl_or_b32 v16, v17, 2, v1
	v_and_b32_e32 v17, 0x3fc, v18
	v_lshlrev_b32_e32 v18, 4, v12
	v_and_b32_e32 v15, 0x3fc, v15
	ds_add_u32 v14, v21 offset:16384
	ds_add_u32 v16, v21 offset:20480
	v_lshl_or_b32 v14, v17, 2, v1
	v_lshrrev_b32_e32 v17, 4, v12
	v_lshl_or_b32 v15, v15, 2, v1
	v_and_or_b32 v16, 0xff0, v18, v1
	v_lshrrev_b32_e32 v18, 12, v12
	ds_add_u32 v14, v21 offset:24576
	ds_add_u32 v15, v21 offset:28672
	ds_add_u32 v16, v21
	v_and_or_b32 v14, 0xff0, v17, v1
	v_alignbit_b32 v16, v13, v12, 30
	v_and_or_b32 v15, 0xff0, v18, v1
	v_dual_lshrrev_b32 v17, 6, v13 :: v_dual_lshrrev_b32 v12, 20, v12
	ds_add_u32 v14, v21 offset:4096
	ds_add_u32 v15, v21 offset:8192
	v_and_b32_e32 v14, 0x3fc, v16
	v_and_b32_e32 v15, 0x3fc, v17
	v_and_or_b32 v12, 0xff0, v12, v1
	v_dual_lshrrev_b32 v16, 14, v13 :: v_dual_lshrrev_b32 v13, 22, v13
	s_delay_alu instid0(VALU_DEP_4) | instskip(NEXT) | instid1(VALU_DEP_4)
	v_lshl_or_b32 v14, v14, 2, v1
	v_lshl_or_b32 v15, v15, 2, v1
	ds_add_u32 v12, v21 offset:12288
	v_and_b32_e32 v12, 0x3fc, v16
	v_and_b32_e32 v13, 0x3fc, v13
	ds_add_u32 v14, v21 offset:16384
	ds_add_u32 v15, v21 offset:20480
	v_dual_lshlrev_b32 v14, 4, v10 :: v_dual_lshrrev_b32 v15, 4, v10
	v_lshl_or_b32 v12, v12, 2, v1
	v_lshl_or_b32 v13, v13, 2, v1
	v_lshrrev_b32_e32 v16, 12, v10
	s_delay_alu instid0(VALU_DEP_4)
	v_and_or_b32 v14, 0xff0, v14, v1
	ds_add_u32 v12, v21 offset:24576
	ds_add_u32 v13, v21 offset:28672
	v_and_or_b32 v12, 0xff0, v15, v1
	ds_add_u32 v14, v21
	v_lshrrev_b32_e32 v14, 20, v10
	v_and_or_b32 v13, 0xff0, v16, v1
	v_alignbit_b32 v10, v11, v10, 30
	ds_add_u32 v12, v21 offset:4096
	ds_add_u32 v13, v21 offset:8192
	v_lshrrev_b32_e32 v12, 6, v11
	v_and_or_b32 v13, 0xff0, v14, v1
	v_and_b32_e32 v10, 0x3fc, v10
	v_dual_lshrrev_b32 v14, 14, v11 :: v_dual_lshrrev_b32 v11, 22, v11
	s_delay_alu instid0(VALU_DEP_4)
	v_and_b32_e32 v12, 0x3fc, v12
	ds_add_u32 v13, v21 offset:12288
	v_lshl_or_b32 v10, v10, 2, v1
	v_and_b32_e32 v13, 0x3fc, v14
	v_lshlrev_b32_e32 v14, 4, v8
	v_and_b32_e32 v11, 0x3fc, v11
	v_lshl_or_b32 v12, v12, 2, v1
	ds_add_u32 v10, v21 offset:16384
	v_lshl_or_b32 v10, v13, 2, v1
	v_lshrrev_b32_e32 v13, 4, v8
	v_lshl_or_b32 v11, v11, 2, v1
	ds_add_u32 v12, v21 offset:20480
	v_and_or_b32 v12, 0xff0, v14, v1
	ds_add_u32 v10, v21 offset:24576
	ds_add_u32 v11, v21 offset:28672
	v_lshrrev_b32_e32 v10, 12, v8
	v_and_or_b32 v11, 0xff0, v13, v1
	ds_add_u32 v12, v21
	v_alignbit_b32 v12, v9, v8, 30
	v_dual_lshrrev_b32 v13, 6, v9 :: v_dual_lshrrev_b32 v8, 20, v8
	v_and_or_b32 v10, 0xff0, v10, v1
	ds_add_u32 v11, v21 offset:4096
	v_and_b32_e32 v11, 0x3fc, v12
	v_and_b32_e32 v12, 0x3fc, v13
	v_and_or_b32 v8, 0xff0, v8, v1
	ds_add_u32 v10, v21 offset:8192
	v_dual_lshrrev_b32 v10, 14, v9 :: v_dual_lshrrev_b32 v9, 22, v9
	v_lshl_or_b32 v11, v11, 2, v1
	ds_add_u32 v8, v21 offset:12288
	v_lshl_or_b32 v12, v12, 2, v1
	v_and_b32_e32 v8, 0x3fc, v10
	v_and_b32_e32 v9, 0x3fc, v9
	v_lshlrev_b32_e32 v10, 4, v6
	ds_add_u32 v11, v21 offset:16384
	ds_add_u32 v12, v21 offset:20480
	v_lshrrev_b32_e32 v11, 4, v6
	v_lshl_or_b32 v8, v8, 2, v1
	v_lshrrev_b32_e32 v12, 12, v6
	v_lshl_or_b32 v9, v9, 2, v1
	v_and_or_b32 v10, 0xff0, v10, v1
	ds_add_u32 v8, v21 offset:24576
	v_and_or_b32 v8, 0xff0, v11, v1
	ds_add_u32 v9, v21 offset:28672
	ds_add_u32 v10, v21
	v_lshrrev_b32_e32 v9, 20, v6
	v_and_or_b32 v11, 0xff0, v12, v1
	v_alignbit_b32 v6, v7, v6, 30
	ds_add_u32 v8, v21 offset:4096
	ds_add_u32 v11, v21 offset:8192
	v_dual_lshrrev_b32 v8, 6, v7 :: v_dual_lshrrev_b32 v10, 14, v7
	v_and_or_b32 v9, 0xff0, v9, v1
	v_lshrrev_b32_e32 v7, 22, v7
	v_and_b32_e32 v6, 0x3fc, v6
	s_delay_alu instid0(VALU_DEP_4)
	v_and_b32_e32 v8, 0x3fc, v8
	ds_add_u32 v9, v21 offset:12288
	v_and_b32_e32 v9, 0x3fc, v10
	v_lshl_or_b32 v6, v6, 2, v1
	v_lshlrev_b32_e32 v10, 4, v4
	v_and_b32_e32 v7, 0x3fc, v7
	v_lshl_or_b32 v8, v8, 2, v1
	v_lshl_or_b32 v9, v9, 2, v1
	ds_add_u32 v6, v21 offset:16384
	ds_add_u32 v8, v21 offset:20480
	v_lshl_or_b32 v7, v7, 2, v1
	v_and_or_b32 v6, 0xff0, v10, v1
	ds_add_u32 v9, v21 offset:24576
	ds_add_u32 v7, v21 offset:28672
	v_dual_lshrrev_b32 v7, 4, v4 :: v_dual_lshrrev_b32 v8, 12, v4
	ds_add_u32 v6, v21
	v_alignbit_b32 v6, v5, v4, 30
	v_dual_lshrrev_b32 v9, 6, v5 :: v_dual_lshrrev_b32 v4, 20, v4
	v_and_or_b32 v7, 0xff0, v7, v1
	v_and_or_b32 v8, 0xff0, v8, v1
	s_delay_alu instid0(VALU_DEP_4) | instskip(NEXT) | instid1(VALU_DEP_4)
	v_and_b32_e32 v6, 0x3fc, v6
	v_and_b32_e32 v9, 0x3fc, v9
	ds_add_u32 v7, v21 offset:4096
	ds_add_u32 v8, v21 offset:8192
	v_and_or_b32 v4, 0xff0, v4, v1
	v_dual_lshrrev_b32 v8, 14, v5 :: v_dual_lshrrev_b32 v5, 22, v5
	v_lshl_or_b32 v6, v6, 2, v1
	v_lshl_or_b32 v7, v9, 2, v1
	ds_add_u32 v4, v21 offset:12288
	ds_add_u32 v6, v21 offset:16384
	;; [unrolled: 1-line block ×3, first 2 shown]
	v_and_b32_e32 v4, 0x3fc, v8
	v_and_b32_e32 v5, 0x3fc, v5
	v_dual_lshlrev_b32 v6, 4, v2 :: v_dual_lshrrev_b32 v7, 4, v2
	v_lshrrev_b32_e32 v8, 12, v2
	s_delay_alu instid0(VALU_DEP_4) | instskip(NEXT) | instid1(VALU_DEP_4)
	v_lshl_or_b32 v4, v4, 2, v1
	v_lshl_or_b32 v5, v5, 2, v1
	s_delay_alu instid0(VALU_DEP_4)
	v_and_or_b32 v6, 0xff0, v6, v1
	v_and_or_b32 v7, 0xff0, v7, v1
	;; [unrolled: 1-line block ×3, first 2 shown]
	ds_add_u32 v4, v21 offset:24576
	ds_add_u32 v5, v21 offset:28672
	ds_add_u32 v6, v21
	ds_add_u32 v7, v21 offset:4096
	ds_add_u32 v8, v21 offset:8192
	v_alignbit_b32 v4, v3, v2, 30
	v_dual_lshrrev_b32 v5, 6, v3 :: v_dual_lshrrev_b32 v6, 14, v3
	v_dual_lshrrev_b32 v3, 22, v3 :: v_dual_lshrrev_b32 v2, 20, v2
	s_delay_alu instid0(VALU_DEP_3) | instskip(NEXT) | instid1(VALU_DEP_3)
	v_and_b32_e32 v4, 0x3fc, v4
	v_and_b32_e32 v5, 0x3fc, v5
	s_delay_alu instid0(VALU_DEP_4) | instskip(NEXT) | instid1(VALU_DEP_4)
	v_and_b32_e32 v6, 0x3fc, v6
	v_and_b32_e32 v3, 0x3fc, v3
	v_and_or_b32 v2, 0xff0, v2, v1
	v_lshl_or_b32 v4, v4, 2, v1
	v_lshl_or_b32 v5, v5, 2, v1
	;; [unrolled: 1-line block ×4, first 2 shown]
	ds_add_u32 v2, v21 offset:12288
	ds_add_u32 v4, v21 offset:16384
	;; [unrolled: 1-line block ×5, first 2 shown]
	s_wait_dscnt 0x0
	s_barrier_signal -1
	s_barrier_wait -1
	v_cmpx_gt_u32_e32 0x100, v0
	s_cbranch_execz .LBB2973_417
; %bb.416:
	v_lshlrev_b32_e32 v1, 4, v0
	ds_load_2addr_b32 v[2:3], v1 offset1:1
	ds_load_2addr_b32 v[4:5], v1 offset0:2 offset1:3
	s_wait_dscnt 0x1
	v_dual_mov_b32 v3, 0 :: v_dual_add_nc_u32 v2, v3, v2
	v_add_nc_u32_e32 v6, 0x1008, v1
	s_wait_dscnt 0x0
	s_delay_alu instid0(VALU_DEP_2)
	v_add3_u32 v2, v2, v4, v5
	v_add_nc_u32_e32 v4, 0x1000, v1
	global_atomic_add_u64 v0, v[2:3], s[6:7] scale_offset scope:SCOPE_DEV
	ds_load_2addr_b32 v[4:5], v4 offset1:1
	ds_load_2addr_b32 v[6:7], v6 offset1:1
	s_wait_dscnt 0x1
	s_wait_xcnt 0x0
	v_add_nc_u32_e32 v2, v5, v4
	v_or_b32_e32 v4, 0x2000, v1
	s_wait_dscnt 0x0
	s_delay_alu instid0(VALU_DEP_2)
	v_add3_u32 v2, v2, v6, v7
	v_or_b32_e32 v6, 0x2008, v1
	global_atomic_add_u64 v0, v[2:3], s[6:7] offset:2048 scale_offset scope:SCOPE_DEV
	ds_load_2addr_b32 v[4:5], v4 offset1:1
	ds_load_2addr_b32 v[6:7], v6 offset1:1
	s_wait_dscnt 0x1
	s_wait_xcnt 0x0
	v_add_nc_u32_e32 v2, v5, v4
	v_add_nc_u32_e32 v4, 0x3000, v1
	s_wait_dscnt 0x0
	s_delay_alu instid0(VALU_DEP_2)
	v_add3_u32 v2, v2, v6, v7
	v_add_nc_u32_e32 v6, 0x3008, v1
	global_atomic_add_u64 v0, v[2:3], s[6:7] offset:4096 scale_offset scope:SCOPE_DEV
	ds_load_2addr_b32 v[4:5], v4 offset1:1
	ds_load_2addr_b32 v[6:7], v6 offset1:1
	s_wait_dscnt 0x1
	s_wait_xcnt 0x0
	v_add_nc_u32_e32 v2, v5, v4
	v_or_b32_e32 v4, 0x4000, v1
	s_wait_dscnt 0x0
	s_delay_alu instid0(VALU_DEP_2)
	v_add3_u32 v2, v2, v6, v7
	v_or_b32_e32 v6, 0x4008, v1
	global_atomic_add_u64 v0, v[2:3], s[6:7] offset:6144 scale_offset scope:SCOPE_DEV
	ds_load_2addr_b32 v[4:5], v4 offset1:1
	ds_load_2addr_b32 v[6:7], v6 offset1:1
	s_wait_dscnt 0x1
	s_wait_xcnt 0x0
	v_add_nc_u32_e32 v2, v5, v4
	v_add_nc_u32_e32 v4, 0x5000, v1
	s_wait_dscnt 0x0
	s_delay_alu instid0(VALU_DEP_2)
	v_add3_u32 v2, v2, v6, v7
	v_add_nc_u32_e32 v6, 0x5008, v1
	global_atomic_add_u64 v0, v[2:3], s[6:7] offset:8192 scale_offset scope:SCOPE_DEV
	ds_load_2addr_b32 v[4:5], v4 offset1:1
	ds_load_2addr_b32 v[6:7], v6 offset1:1
	s_wait_dscnt 0x1
	s_wait_xcnt 0x0
	v_add_nc_u32_e32 v2, v5, v4
	v_or_b32_e32 v4, 0x6000, v1
	s_wait_dscnt 0x0
	s_delay_alu instid0(VALU_DEP_2)
	v_add3_u32 v2, v2, v6, v7
	v_or_b32_e32 v6, 0x6008, v1
	global_atomic_add_u64 v0, v[2:3], s[6:7] offset:10240 scale_offset scope:SCOPE_DEV
	ds_load_2addr_b32 v[4:5], v4 offset1:1
	ds_load_2addr_b32 v[6:7], v6 offset1:1
	s_wait_dscnt 0x1
	s_wait_xcnt 0x0
	v_add_nc_u32_e32 v2, v5, v4
	v_add_nc_u32_e32 v4, 0x7000, v1
	;; [unrolled: 1-line block ×3, first 2 shown]
	s_wait_dscnt 0x0
	s_delay_alu instid0(VALU_DEP_3)
	v_add3_u32 v2, v2, v6, v7
	global_atomic_add_u64 v0, v[2:3], s[6:7] offset:12288 scale_offset scope:SCOPE_DEV
	ds_load_2addr_b32 v[4:5], v4 offset1:1
	ds_load_2addr_b32 v[6:7], v1 offset1:1
	s_wait_dscnt 0x1
	v_add_nc_u32_e32 v1, v5, v4
	s_wait_dscnt 0x0
	s_wait_xcnt 0x0
	s_delay_alu instid0(VALU_DEP_1)
	v_add3_u32 v2, v1, v6, v7
	global_atomic_add_u64 v0, v[2:3], s[6:7] offset:14336 scale_offset scope:SCOPE_DEV
.LBB2973_417:
	s_endpgm
	.section	.rodata,"a",@progbits
	.p2align	6, 0x0
	.amdhsa_kernel _ZN7rocprim17ROCPRIM_400000_NS6detail17trampoline_kernelINS0_14default_configENS1_35radix_sort_onesweep_config_selectorImNS0_10empty_typeEEEZNS1_34radix_sort_onesweep_global_offsetsIS3_Lb0EPKmPS5_mNS0_19identity_decomposerEEE10hipError_tT1_T2_PT3_SF_jT4_jjP12ihipStream_tbEUlT_E_NS1_11comp_targetILNS1_3genE0ELNS1_11target_archE4294967295ELNS1_3gpuE0ELNS1_3repE0EEENS1_52radix_sort_onesweep_histogram_config_static_selectorELNS0_4arch9wavefront6targetE0EEEvSD_
		.amdhsa_group_segment_fixed_size 32768
		.amdhsa_private_segment_fixed_size 0
		.amdhsa_kernarg_size 48
		.amdhsa_user_sgpr_count 2
		.amdhsa_user_sgpr_dispatch_ptr 0
		.amdhsa_user_sgpr_queue_ptr 0
		.amdhsa_user_sgpr_kernarg_segment_ptr 1
		.amdhsa_user_sgpr_dispatch_id 0
		.amdhsa_user_sgpr_kernarg_preload_length 0
		.amdhsa_user_sgpr_kernarg_preload_offset 0
		.amdhsa_user_sgpr_private_segment_size 0
		.amdhsa_wavefront_size32 1
		.amdhsa_uses_dynamic_stack 0
		.amdhsa_enable_private_segment 0
		.amdhsa_system_sgpr_workgroup_id_x 1
		.amdhsa_system_sgpr_workgroup_id_y 0
		.amdhsa_system_sgpr_workgroup_id_z 0
		.amdhsa_system_sgpr_workgroup_info 0
		.amdhsa_system_vgpr_workitem_id 0
		.amdhsa_next_free_vgpr 28
		.amdhsa_next_free_sgpr 13
		.amdhsa_named_barrier_count 0
		.amdhsa_reserve_vcc 1
		.amdhsa_float_round_mode_32 0
		.amdhsa_float_round_mode_16_64 0
		.amdhsa_float_denorm_mode_32 3
		.amdhsa_float_denorm_mode_16_64 3
		.amdhsa_fp16_overflow 0
		.amdhsa_memory_ordered 1
		.amdhsa_forward_progress 1
		.amdhsa_inst_pref_size 133
		.amdhsa_round_robin_scheduling 0
		.amdhsa_exception_fp_ieee_invalid_op 0
		.amdhsa_exception_fp_denorm_src 0
		.amdhsa_exception_fp_ieee_div_zero 0
		.amdhsa_exception_fp_ieee_overflow 0
		.amdhsa_exception_fp_ieee_underflow 0
		.amdhsa_exception_fp_ieee_inexact 0
		.amdhsa_exception_int_div_zero 0
	.end_amdhsa_kernel
	.section	.text._ZN7rocprim17ROCPRIM_400000_NS6detail17trampoline_kernelINS0_14default_configENS1_35radix_sort_onesweep_config_selectorImNS0_10empty_typeEEEZNS1_34radix_sort_onesweep_global_offsetsIS3_Lb0EPKmPS5_mNS0_19identity_decomposerEEE10hipError_tT1_T2_PT3_SF_jT4_jjP12ihipStream_tbEUlT_E_NS1_11comp_targetILNS1_3genE0ELNS1_11target_archE4294967295ELNS1_3gpuE0ELNS1_3repE0EEENS1_52radix_sort_onesweep_histogram_config_static_selectorELNS0_4arch9wavefront6targetE0EEEvSD_,"axG",@progbits,_ZN7rocprim17ROCPRIM_400000_NS6detail17trampoline_kernelINS0_14default_configENS1_35radix_sort_onesweep_config_selectorImNS0_10empty_typeEEEZNS1_34radix_sort_onesweep_global_offsetsIS3_Lb0EPKmPS5_mNS0_19identity_decomposerEEE10hipError_tT1_T2_PT3_SF_jT4_jjP12ihipStream_tbEUlT_E_NS1_11comp_targetILNS1_3genE0ELNS1_11target_archE4294967295ELNS1_3gpuE0ELNS1_3repE0EEENS1_52radix_sort_onesweep_histogram_config_static_selectorELNS0_4arch9wavefront6targetE0EEEvSD_,comdat
.Lfunc_end2973:
	.size	_ZN7rocprim17ROCPRIM_400000_NS6detail17trampoline_kernelINS0_14default_configENS1_35radix_sort_onesweep_config_selectorImNS0_10empty_typeEEEZNS1_34radix_sort_onesweep_global_offsetsIS3_Lb0EPKmPS5_mNS0_19identity_decomposerEEE10hipError_tT1_T2_PT3_SF_jT4_jjP12ihipStream_tbEUlT_E_NS1_11comp_targetILNS1_3genE0ELNS1_11target_archE4294967295ELNS1_3gpuE0ELNS1_3repE0EEENS1_52radix_sort_onesweep_histogram_config_static_selectorELNS0_4arch9wavefront6targetE0EEEvSD_, .Lfunc_end2973-_ZN7rocprim17ROCPRIM_400000_NS6detail17trampoline_kernelINS0_14default_configENS1_35radix_sort_onesweep_config_selectorImNS0_10empty_typeEEEZNS1_34radix_sort_onesweep_global_offsetsIS3_Lb0EPKmPS5_mNS0_19identity_decomposerEEE10hipError_tT1_T2_PT3_SF_jT4_jjP12ihipStream_tbEUlT_E_NS1_11comp_targetILNS1_3genE0ELNS1_11target_archE4294967295ELNS1_3gpuE0ELNS1_3repE0EEENS1_52radix_sort_onesweep_histogram_config_static_selectorELNS0_4arch9wavefront6targetE0EEEvSD_
                                        ; -- End function
	.set _ZN7rocprim17ROCPRIM_400000_NS6detail17trampoline_kernelINS0_14default_configENS1_35radix_sort_onesweep_config_selectorImNS0_10empty_typeEEEZNS1_34radix_sort_onesweep_global_offsetsIS3_Lb0EPKmPS5_mNS0_19identity_decomposerEEE10hipError_tT1_T2_PT3_SF_jT4_jjP12ihipStream_tbEUlT_E_NS1_11comp_targetILNS1_3genE0ELNS1_11target_archE4294967295ELNS1_3gpuE0ELNS1_3repE0EEENS1_52radix_sort_onesweep_histogram_config_static_selectorELNS0_4arch9wavefront6targetE0EEEvSD_.num_vgpr, 28
	.set _ZN7rocprim17ROCPRIM_400000_NS6detail17trampoline_kernelINS0_14default_configENS1_35radix_sort_onesweep_config_selectorImNS0_10empty_typeEEEZNS1_34radix_sort_onesweep_global_offsetsIS3_Lb0EPKmPS5_mNS0_19identity_decomposerEEE10hipError_tT1_T2_PT3_SF_jT4_jjP12ihipStream_tbEUlT_E_NS1_11comp_targetILNS1_3genE0ELNS1_11target_archE4294967295ELNS1_3gpuE0ELNS1_3repE0EEENS1_52radix_sort_onesweep_histogram_config_static_selectorELNS0_4arch9wavefront6targetE0EEEvSD_.num_agpr, 0
	.set _ZN7rocprim17ROCPRIM_400000_NS6detail17trampoline_kernelINS0_14default_configENS1_35radix_sort_onesweep_config_selectorImNS0_10empty_typeEEEZNS1_34radix_sort_onesweep_global_offsetsIS3_Lb0EPKmPS5_mNS0_19identity_decomposerEEE10hipError_tT1_T2_PT3_SF_jT4_jjP12ihipStream_tbEUlT_E_NS1_11comp_targetILNS1_3genE0ELNS1_11target_archE4294967295ELNS1_3gpuE0ELNS1_3repE0EEENS1_52radix_sort_onesweep_histogram_config_static_selectorELNS0_4arch9wavefront6targetE0EEEvSD_.numbered_sgpr, 13
	.set _ZN7rocprim17ROCPRIM_400000_NS6detail17trampoline_kernelINS0_14default_configENS1_35radix_sort_onesweep_config_selectorImNS0_10empty_typeEEEZNS1_34radix_sort_onesweep_global_offsetsIS3_Lb0EPKmPS5_mNS0_19identity_decomposerEEE10hipError_tT1_T2_PT3_SF_jT4_jjP12ihipStream_tbEUlT_E_NS1_11comp_targetILNS1_3genE0ELNS1_11target_archE4294967295ELNS1_3gpuE0ELNS1_3repE0EEENS1_52radix_sort_onesweep_histogram_config_static_selectorELNS0_4arch9wavefront6targetE0EEEvSD_.num_named_barrier, 0
	.set _ZN7rocprim17ROCPRIM_400000_NS6detail17trampoline_kernelINS0_14default_configENS1_35radix_sort_onesweep_config_selectorImNS0_10empty_typeEEEZNS1_34radix_sort_onesweep_global_offsetsIS3_Lb0EPKmPS5_mNS0_19identity_decomposerEEE10hipError_tT1_T2_PT3_SF_jT4_jjP12ihipStream_tbEUlT_E_NS1_11comp_targetILNS1_3genE0ELNS1_11target_archE4294967295ELNS1_3gpuE0ELNS1_3repE0EEENS1_52radix_sort_onesweep_histogram_config_static_selectorELNS0_4arch9wavefront6targetE0EEEvSD_.private_seg_size, 0
	.set _ZN7rocprim17ROCPRIM_400000_NS6detail17trampoline_kernelINS0_14default_configENS1_35radix_sort_onesweep_config_selectorImNS0_10empty_typeEEEZNS1_34radix_sort_onesweep_global_offsetsIS3_Lb0EPKmPS5_mNS0_19identity_decomposerEEE10hipError_tT1_T2_PT3_SF_jT4_jjP12ihipStream_tbEUlT_E_NS1_11comp_targetILNS1_3genE0ELNS1_11target_archE4294967295ELNS1_3gpuE0ELNS1_3repE0EEENS1_52radix_sort_onesweep_histogram_config_static_selectorELNS0_4arch9wavefront6targetE0EEEvSD_.uses_vcc, 1
	.set _ZN7rocprim17ROCPRIM_400000_NS6detail17trampoline_kernelINS0_14default_configENS1_35radix_sort_onesweep_config_selectorImNS0_10empty_typeEEEZNS1_34radix_sort_onesweep_global_offsetsIS3_Lb0EPKmPS5_mNS0_19identity_decomposerEEE10hipError_tT1_T2_PT3_SF_jT4_jjP12ihipStream_tbEUlT_E_NS1_11comp_targetILNS1_3genE0ELNS1_11target_archE4294967295ELNS1_3gpuE0ELNS1_3repE0EEENS1_52radix_sort_onesweep_histogram_config_static_selectorELNS0_4arch9wavefront6targetE0EEEvSD_.uses_flat_scratch, 0
	.set _ZN7rocprim17ROCPRIM_400000_NS6detail17trampoline_kernelINS0_14default_configENS1_35radix_sort_onesweep_config_selectorImNS0_10empty_typeEEEZNS1_34radix_sort_onesweep_global_offsetsIS3_Lb0EPKmPS5_mNS0_19identity_decomposerEEE10hipError_tT1_T2_PT3_SF_jT4_jjP12ihipStream_tbEUlT_E_NS1_11comp_targetILNS1_3genE0ELNS1_11target_archE4294967295ELNS1_3gpuE0ELNS1_3repE0EEENS1_52radix_sort_onesweep_histogram_config_static_selectorELNS0_4arch9wavefront6targetE0EEEvSD_.has_dyn_sized_stack, 0
	.set _ZN7rocprim17ROCPRIM_400000_NS6detail17trampoline_kernelINS0_14default_configENS1_35radix_sort_onesweep_config_selectorImNS0_10empty_typeEEEZNS1_34radix_sort_onesweep_global_offsetsIS3_Lb0EPKmPS5_mNS0_19identity_decomposerEEE10hipError_tT1_T2_PT3_SF_jT4_jjP12ihipStream_tbEUlT_E_NS1_11comp_targetILNS1_3genE0ELNS1_11target_archE4294967295ELNS1_3gpuE0ELNS1_3repE0EEENS1_52radix_sort_onesweep_histogram_config_static_selectorELNS0_4arch9wavefront6targetE0EEEvSD_.has_recursion, 0
	.set _ZN7rocprim17ROCPRIM_400000_NS6detail17trampoline_kernelINS0_14default_configENS1_35radix_sort_onesweep_config_selectorImNS0_10empty_typeEEEZNS1_34radix_sort_onesweep_global_offsetsIS3_Lb0EPKmPS5_mNS0_19identity_decomposerEEE10hipError_tT1_T2_PT3_SF_jT4_jjP12ihipStream_tbEUlT_E_NS1_11comp_targetILNS1_3genE0ELNS1_11target_archE4294967295ELNS1_3gpuE0ELNS1_3repE0EEENS1_52radix_sort_onesweep_histogram_config_static_selectorELNS0_4arch9wavefront6targetE0EEEvSD_.has_indirect_call, 0
	.section	.AMDGPU.csdata,"",@progbits
; Kernel info:
; codeLenInByte = 16944
; TotalNumSgprs: 15
; NumVgprs: 28
; ScratchSize: 0
; MemoryBound: 0
; FloatMode: 240
; IeeeMode: 1
; LDSByteSize: 32768 bytes/workgroup (compile time only)
; SGPRBlocks: 0
; VGPRBlocks: 1
; NumSGPRsForWavesPerEU: 15
; NumVGPRsForWavesPerEU: 28
; NamedBarCnt: 0
; Occupancy: 16
; WaveLimiterHint : 1
; COMPUTE_PGM_RSRC2:SCRATCH_EN: 0
; COMPUTE_PGM_RSRC2:USER_SGPR: 2
; COMPUTE_PGM_RSRC2:TRAP_HANDLER: 0
; COMPUTE_PGM_RSRC2:TGID_X_EN: 1
; COMPUTE_PGM_RSRC2:TGID_Y_EN: 0
; COMPUTE_PGM_RSRC2:TGID_Z_EN: 0
; COMPUTE_PGM_RSRC2:TIDIG_COMP_CNT: 0
	.section	.text._ZN7rocprim17ROCPRIM_400000_NS6detail17trampoline_kernelINS0_14default_configENS1_35radix_sort_onesweep_config_selectorImNS0_10empty_typeEEEZNS1_34radix_sort_onesweep_global_offsetsIS3_Lb0EPKmPS5_mNS0_19identity_decomposerEEE10hipError_tT1_T2_PT3_SF_jT4_jjP12ihipStream_tbEUlT_E_NS1_11comp_targetILNS1_3genE6ELNS1_11target_archE950ELNS1_3gpuE13ELNS1_3repE0EEENS1_52radix_sort_onesweep_histogram_config_static_selectorELNS0_4arch9wavefront6targetE0EEEvSD_,"axG",@progbits,_ZN7rocprim17ROCPRIM_400000_NS6detail17trampoline_kernelINS0_14default_configENS1_35radix_sort_onesweep_config_selectorImNS0_10empty_typeEEEZNS1_34radix_sort_onesweep_global_offsetsIS3_Lb0EPKmPS5_mNS0_19identity_decomposerEEE10hipError_tT1_T2_PT3_SF_jT4_jjP12ihipStream_tbEUlT_E_NS1_11comp_targetILNS1_3genE6ELNS1_11target_archE950ELNS1_3gpuE13ELNS1_3repE0EEENS1_52radix_sort_onesweep_histogram_config_static_selectorELNS0_4arch9wavefront6targetE0EEEvSD_,comdat
	.protected	_ZN7rocprim17ROCPRIM_400000_NS6detail17trampoline_kernelINS0_14default_configENS1_35radix_sort_onesweep_config_selectorImNS0_10empty_typeEEEZNS1_34radix_sort_onesweep_global_offsetsIS3_Lb0EPKmPS5_mNS0_19identity_decomposerEEE10hipError_tT1_T2_PT3_SF_jT4_jjP12ihipStream_tbEUlT_E_NS1_11comp_targetILNS1_3genE6ELNS1_11target_archE950ELNS1_3gpuE13ELNS1_3repE0EEENS1_52radix_sort_onesweep_histogram_config_static_selectorELNS0_4arch9wavefront6targetE0EEEvSD_ ; -- Begin function _ZN7rocprim17ROCPRIM_400000_NS6detail17trampoline_kernelINS0_14default_configENS1_35radix_sort_onesweep_config_selectorImNS0_10empty_typeEEEZNS1_34radix_sort_onesweep_global_offsetsIS3_Lb0EPKmPS5_mNS0_19identity_decomposerEEE10hipError_tT1_T2_PT3_SF_jT4_jjP12ihipStream_tbEUlT_E_NS1_11comp_targetILNS1_3genE6ELNS1_11target_archE950ELNS1_3gpuE13ELNS1_3repE0EEENS1_52radix_sort_onesweep_histogram_config_static_selectorELNS0_4arch9wavefront6targetE0EEEvSD_
	.globl	_ZN7rocprim17ROCPRIM_400000_NS6detail17trampoline_kernelINS0_14default_configENS1_35radix_sort_onesweep_config_selectorImNS0_10empty_typeEEEZNS1_34radix_sort_onesweep_global_offsetsIS3_Lb0EPKmPS5_mNS0_19identity_decomposerEEE10hipError_tT1_T2_PT3_SF_jT4_jjP12ihipStream_tbEUlT_E_NS1_11comp_targetILNS1_3genE6ELNS1_11target_archE950ELNS1_3gpuE13ELNS1_3repE0EEENS1_52radix_sort_onesweep_histogram_config_static_selectorELNS0_4arch9wavefront6targetE0EEEvSD_
	.p2align	8
	.type	_ZN7rocprim17ROCPRIM_400000_NS6detail17trampoline_kernelINS0_14default_configENS1_35radix_sort_onesweep_config_selectorImNS0_10empty_typeEEEZNS1_34radix_sort_onesweep_global_offsetsIS3_Lb0EPKmPS5_mNS0_19identity_decomposerEEE10hipError_tT1_T2_PT3_SF_jT4_jjP12ihipStream_tbEUlT_E_NS1_11comp_targetILNS1_3genE6ELNS1_11target_archE950ELNS1_3gpuE13ELNS1_3repE0EEENS1_52radix_sort_onesweep_histogram_config_static_selectorELNS0_4arch9wavefront6targetE0EEEvSD_,@function
_ZN7rocprim17ROCPRIM_400000_NS6detail17trampoline_kernelINS0_14default_configENS1_35radix_sort_onesweep_config_selectorImNS0_10empty_typeEEEZNS1_34radix_sort_onesweep_global_offsetsIS3_Lb0EPKmPS5_mNS0_19identity_decomposerEEE10hipError_tT1_T2_PT3_SF_jT4_jjP12ihipStream_tbEUlT_E_NS1_11comp_targetILNS1_3genE6ELNS1_11target_archE950ELNS1_3gpuE13ELNS1_3repE0EEENS1_52radix_sort_onesweep_histogram_config_static_selectorELNS0_4arch9wavefront6targetE0EEEvSD_: ; @_ZN7rocprim17ROCPRIM_400000_NS6detail17trampoline_kernelINS0_14default_configENS1_35radix_sort_onesweep_config_selectorImNS0_10empty_typeEEEZNS1_34radix_sort_onesweep_global_offsetsIS3_Lb0EPKmPS5_mNS0_19identity_decomposerEEE10hipError_tT1_T2_PT3_SF_jT4_jjP12ihipStream_tbEUlT_E_NS1_11comp_targetILNS1_3genE6ELNS1_11target_archE950ELNS1_3gpuE13ELNS1_3repE0EEENS1_52radix_sort_onesweep_histogram_config_static_selectorELNS0_4arch9wavefront6targetE0EEEvSD_
; %bb.0:
	.section	.rodata,"a",@progbits
	.p2align	6, 0x0
	.amdhsa_kernel _ZN7rocprim17ROCPRIM_400000_NS6detail17trampoline_kernelINS0_14default_configENS1_35radix_sort_onesweep_config_selectorImNS0_10empty_typeEEEZNS1_34radix_sort_onesweep_global_offsetsIS3_Lb0EPKmPS5_mNS0_19identity_decomposerEEE10hipError_tT1_T2_PT3_SF_jT4_jjP12ihipStream_tbEUlT_E_NS1_11comp_targetILNS1_3genE6ELNS1_11target_archE950ELNS1_3gpuE13ELNS1_3repE0EEENS1_52radix_sort_onesweep_histogram_config_static_selectorELNS0_4arch9wavefront6targetE0EEEvSD_
		.amdhsa_group_segment_fixed_size 0
		.amdhsa_private_segment_fixed_size 0
		.amdhsa_kernarg_size 48
		.amdhsa_user_sgpr_count 2
		.amdhsa_user_sgpr_dispatch_ptr 0
		.amdhsa_user_sgpr_queue_ptr 0
		.amdhsa_user_sgpr_kernarg_segment_ptr 1
		.amdhsa_user_sgpr_dispatch_id 0
		.amdhsa_user_sgpr_kernarg_preload_length 0
		.amdhsa_user_sgpr_kernarg_preload_offset 0
		.amdhsa_user_sgpr_private_segment_size 0
		.amdhsa_wavefront_size32 1
		.amdhsa_uses_dynamic_stack 0
		.amdhsa_enable_private_segment 0
		.amdhsa_system_sgpr_workgroup_id_x 1
		.amdhsa_system_sgpr_workgroup_id_y 0
		.amdhsa_system_sgpr_workgroup_id_z 0
		.amdhsa_system_sgpr_workgroup_info 0
		.amdhsa_system_vgpr_workitem_id 0
		.amdhsa_next_free_vgpr 1
		.amdhsa_next_free_sgpr 1
		.amdhsa_named_barrier_count 0
		.amdhsa_reserve_vcc 0
		.amdhsa_float_round_mode_32 0
		.amdhsa_float_round_mode_16_64 0
		.amdhsa_float_denorm_mode_32 3
		.amdhsa_float_denorm_mode_16_64 3
		.amdhsa_fp16_overflow 0
		.amdhsa_memory_ordered 1
		.amdhsa_forward_progress 1
		.amdhsa_inst_pref_size 0
		.amdhsa_round_robin_scheduling 0
		.amdhsa_exception_fp_ieee_invalid_op 0
		.amdhsa_exception_fp_denorm_src 0
		.amdhsa_exception_fp_ieee_div_zero 0
		.amdhsa_exception_fp_ieee_overflow 0
		.amdhsa_exception_fp_ieee_underflow 0
		.amdhsa_exception_fp_ieee_inexact 0
		.amdhsa_exception_int_div_zero 0
	.end_amdhsa_kernel
	.section	.text._ZN7rocprim17ROCPRIM_400000_NS6detail17trampoline_kernelINS0_14default_configENS1_35radix_sort_onesweep_config_selectorImNS0_10empty_typeEEEZNS1_34radix_sort_onesweep_global_offsetsIS3_Lb0EPKmPS5_mNS0_19identity_decomposerEEE10hipError_tT1_T2_PT3_SF_jT4_jjP12ihipStream_tbEUlT_E_NS1_11comp_targetILNS1_3genE6ELNS1_11target_archE950ELNS1_3gpuE13ELNS1_3repE0EEENS1_52radix_sort_onesweep_histogram_config_static_selectorELNS0_4arch9wavefront6targetE0EEEvSD_,"axG",@progbits,_ZN7rocprim17ROCPRIM_400000_NS6detail17trampoline_kernelINS0_14default_configENS1_35radix_sort_onesweep_config_selectorImNS0_10empty_typeEEEZNS1_34radix_sort_onesweep_global_offsetsIS3_Lb0EPKmPS5_mNS0_19identity_decomposerEEE10hipError_tT1_T2_PT3_SF_jT4_jjP12ihipStream_tbEUlT_E_NS1_11comp_targetILNS1_3genE6ELNS1_11target_archE950ELNS1_3gpuE13ELNS1_3repE0EEENS1_52radix_sort_onesweep_histogram_config_static_selectorELNS0_4arch9wavefront6targetE0EEEvSD_,comdat
.Lfunc_end2974:
	.size	_ZN7rocprim17ROCPRIM_400000_NS6detail17trampoline_kernelINS0_14default_configENS1_35radix_sort_onesweep_config_selectorImNS0_10empty_typeEEEZNS1_34radix_sort_onesweep_global_offsetsIS3_Lb0EPKmPS5_mNS0_19identity_decomposerEEE10hipError_tT1_T2_PT3_SF_jT4_jjP12ihipStream_tbEUlT_E_NS1_11comp_targetILNS1_3genE6ELNS1_11target_archE950ELNS1_3gpuE13ELNS1_3repE0EEENS1_52radix_sort_onesweep_histogram_config_static_selectorELNS0_4arch9wavefront6targetE0EEEvSD_, .Lfunc_end2974-_ZN7rocprim17ROCPRIM_400000_NS6detail17trampoline_kernelINS0_14default_configENS1_35radix_sort_onesweep_config_selectorImNS0_10empty_typeEEEZNS1_34radix_sort_onesweep_global_offsetsIS3_Lb0EPKmPS5_mNS0_19identity_decomposerEEE10hipError_tT1_T2_PT3_SF_jT4_jjP12ihipStream_tbEUlT_E_NS1_11comp_targetILNS1_3genE6ELNS1_11target_archE950ELNS1_3gpuE13ELNS1_3repE0EEENS1_52radix_sort_onesweep_histogram_config_static_selectorELNS0_4arch9wavefront6targetE0EEEvSD_
                                        ; -- End function
	.set _ZN7rocprim17ROCPRIM_400000_NS6detail17trampoline_kernelINS0_14default_configENS1_35radix_sort_onesweep_config_selectorImNS0_10empty_typeEEEZNS1_34radix_sort_onesweep_global_offsetsIS3_Lb0EPKmPS5_mNS0_19identity_decomposerEEE10hipError_tT1_T2_PT3_SF_jT4_jjP12ihipStream_tbEUlT_E_NS1_11comp_targetILNS1_3genE6ELNS1_11target_archE950ELNS1_3gpuE13ELNS1_3repE0EEENS1_52radix_sort_onesweep_histogram_config_static_selectorELNS0_4arch9wavefront6targetE0EEEvSD_.num_vgpr, 0
	.set _ZN7rocprim17ROCPRIM_400000_NS6detail17trampoline_kernelINS0_14default_configENS1_35radix_sort_onesweep_config_selectorImNS0_10empty_typeEEEZNS1_34radix_sort_onesweep_global_offsetsIS3_Lb0EPKmPS5_mNS0_19identity_decomposerEEE10hipError_tT1_T2_PT3_SF_jT4_jjP12ihipStream_tbEUlT_E_NS1_11comp_targetILNS1_3genE6ELNS1_11target_archE950ELNS1_3gpuE13ELNS1_3repE0EEENS1_52radix_sort_onesweep_histogram_config_static_selectorELNS0_4arch9wavefront6targetE0EEEvSD_.num_agpr, 0
	.set _ZN7rocprim17ROCPRIM_400000_NS6detail17trampoline_kernelINS0_14default_configENS1_35radix_sort_onesweep_config_selectorImNS0_10empty_typeEEEZNS1_34radix_sort_onesweep_global_offsetsIS3_Lb0EPKmPS5_mNS0_19identity_decomposerEEE10hipError_tT1_T2_PT3_SF_jT4_jjP12ihipStream_tbEUlT_E_NS1_11comp_targetILNS1_3genE6ELNS1_11target_archE950ELNS1_3gpuE13ELNS1_3repE0EEENS1_52radix_sort_onesweep_histogram_config_static_selectorELNS0_4arch9wavefront6targetE0EEEvSD_.numbered_sgpr, 0
	.set _ZN7rocprim17ROCPRIM_400000_NS6detail17trampoline_kernelINS0_14default_configENS1_35radix_sort_onesweep_config_selectorImNS0_10empty_typeEEEZNS1_34radix_sort_onesweep_global_offsetsIS3_Lb0EPKmPS5_mNS0_19identity_decomposerEEE10hipError_tT1_T2_PT3_SF_jT4_jjP12ihipStream_tbEUlT_E_NS1_11comp_targetILNS1_3genE6ELNS1_11target_archE950ELNS1_3gpuE13ELNS1_3repE0EEENS1_52radix_sort_onesweep_histogram_config_static_selectorELNS0_4arch9wavefront6targetE0EEEvSD_.num_named_barrier, 0
	.set _ZN7rocprim17ROCPRIM_400000_NS6detail17trampoline_kernelINS0_14default_configENS1_35radix_sort_onesweep_config_selectorImNS0_10empty_typeEEEZNS1_34radix_sort_onesweep_global_offsetsIS3_Lb0EPKmPS5_mNS0_19identity_decomposerEEE10hipError_tT1_T2_PT3_SF_jT4_jjP12ihipStream_tbEUlT_E_NS1_11comp_targetILNS1_3genE6ELNS1_11target_archE950ELNS1_3gpuE13ELNS1_3repE0EEENS1_52radix_sort_onesweep_histogram_config_static_selectorELNS0_4arch9wavefront6targetE0EEEvSD_.private_seg_size, 0
	.set _ZN7rocprim17ROCPRIM_400000_NS6detail17trampoline_kernelINS0_14default_configENS1_35radix_sort_onesweep_config_selectorImNS0_10empty_typeEEEZNS1_34radix_sort_onesweep_global_offsetsIS3_Lb0EPKmPS5_mNS0_19identity_decomposerEEE10hipError_tT1_T2_PT3_SF_jT4_jjP12ihipStream_tbEUlT_E_NS1_11comp_targetILNS1_3genE6ELNS1_11target_archE950ELNS1_3gpuE13ELNS1_3repE0EEENS1_52radix_sort_onesweep_histogram_config_static_selectorELNS0_4arch9wavefront6targetE0EEEvSD_.uses_vcc, 0
	.set _ZN7rocprim17ROCPRIM_400000_NS6detail17trampoline_kernelINS0_14default_configENS1_35radix_sort_onesweep_config_selectorImNS0_10empty_typeEEEZNS1_34radix_sort_onesweep_global_offsetsIS3_Lb0EPKmPS5_mNS0_19identity_decomposerEEE10hipError_tT1_T2_PT3_SF_jT4_jjP12ihipStream_tbEUlT_E_NS1_11comp_targetILNS1_3genE6ELNS1_11target_archE950ELNS1_3gpuE13ELNS1_3repE0EEENS1_52radix_sort_onesweep_histogram_config_static_selectorELNS0_4arch9wavefront6targetE0EEEvSD_.uses_flat_scratch, 0
	.set _ZN7rocprim17ROCPRIM_400000_NS6detail17trampoline_kernelINS0_14default_configENS1_35radix_sort_onesweep_config_selectorImNS0_10empty_typeEEEZNS1_34radix_sort_onesweep_global_offsetsIS3_Lb0EPKmPS5_mNS0_19identity_decomposerEEE10hipError_tT1_T2_PT3_SF_jT4_jjP12ihipStream_tbEUlT_E_NS1_11comp_targetILNS1_3genE6ELNS1_11target_archE950ELNS1_3gpuE13ELNS1_3repE0EEENS1_52radix_sort_onesweep_histogram_config_static_selectorELNS0_4arch9wavefront6targetE0EEEvSD_.has_dyn_sized_stack, 0
	.set _ZN7rocprim17ROCPRIM_400000_NS6detail17trampoline_kernelINS0_14default_configENS1_35radix_sort_onesweep_config_selectorImNS0_10empty_typeEEEZNS1_34radix_sort_onesweep_global_offsetsIS3_Lb0EPKmPS5_mNS0_19identity_decomposerEEE10hipError_tT1_T2_PT3_SF_jT4_jjP12ihipStream_tbEUlT_E_NS1_11comp_targetILNS1_3genE6ELNS1_11target_archE950ELNS1_3gpuE13ELNS1_3repE0EEENS1_52radix_sort_onesweep_histogram_config_static_selectorELNS0_4arch9wavefront6targetE0EEEvSD_.has_recursion, 0
	.set _ZN7rocprim17ROCPRIM_400000_NS6detail17trampoline_kernelINS0_14default_configENS1_35radix_sort_onesweep_config_selectorImNS0_10empty_typeEEEZNS1_34radix_sort_onesweep_global_offsetsIS3_Lb0EPKmPS5_mNS0_19identity_decomposerEEE10hipError_tT1_T2_PT3_SF_jT4_jjP12ihipStream_tbEUlT_E_NS1_11comp_targetILNS1_3genE6ELNS1_11target_archE950ELNS1_3gpuE13ELNS1_3repE0EEENS1_52radix_sort_onesweep_histogram_config_static_selectorELNS0_4arch9wavefront6targetE0EEEvSD_.has_indirect_call, 0
	.section	.AMDGPU.csdata,"",@progbits
; Kernel info:
; codeLenInByte = 0
; TotalNumSgprs: 0
; NumVgprs: 0
; ScratchSize: 0
; MemoryBound: 0
; FloatMode: 240
; IeeeMode: 1
; LDSByteSize: 0 bytes/workgroup (compile time only)
; SGPRBlocks: 0
; VGPRBlocks: 0
; NumSGPRsForWavesPerEU: 1
; NumVGPRsForWavesPerEU: 1
; NamedBarCnt: 0
; Occupancy: 16
; WaveLimiterHint : 0
; COMPUTE_PGM_RSRC2:SCRATCH_EN: 0
; COMPUTE_PGM_RSRC2:USER_SGPR: 2
; COMPUTE_PGM_RSRC2:TRAP_HANDLER: 0
; COMPUTE_PGM_RSRC2:TGID_X_EN: 1
; COMPUTE_PGM_RSRC2:TGID_Y_EN: 0
; COMPUTE_PGM_RSRC2:TGID_Z_EN: 0
; COMPUTE_PGM_RSRC2:TIDIG_COMP_CNT: 0
	.section	.text._ZN7rocprim17ROCPRIM_400000_NS6detail17trampoline_kernelINS0_14default_configENS1_35radix_sort_onesweep_config_selectorImNS0_10empty_typeEEEZNS1_34radix_sort_onesweep_global_offsetsIS3_Lb0EPKmPS5_mNS0_19identity_decomposerEEE10hipError_tT1_T2_PT3_SF_jT4_jjP12ihipStream_tbEUlT_E_NS1_11comp_targetILNS1_3genE5ELNS1_11target_archE942ELNS1_3gpuE9ELNS1_3repE0EEENS1_52radix_sort_onesweep_histogram_config_static_selectorELNS0_4arch9wavefront6targetE0EEEvSD_,"axG",@progbits,_ZN7rocprim17ROCPRIM_400000_NS6detail17trampoline_kernelINS0_14default_configENS1_35radix_sort_onesweep_config_selectorImNS0_10empty_typeEEEZNS1_34radix_sort_onesweep_global_offsetsIS3_Lb0EPKmPS5_mNS0_19identity_decomposerEEE10hipError_tT1_T2_PT3_SF_jT4_jjP12ihipStream_tbEUlT_E_NS1_11comp_targetILNS1_3genE5ELNS1_11target_archE942ELNS1_3gpuE9ELNS1_3repE0EEENS1_52radix_sort_onesweep_histogram_config_static_selectorELNS0_4arch9wavefront6targetE0EEEvSD_,comdat
	.protected	_ZN7rocprim17ROCPRIM_400000_NS6detail17trampoline_kernelINS0_14default_configENS1_35radix_sort_onesweep_config_selectorImNS0_10empty_typeEEEZNS1_34radix_sort_onesweep_global_offsetsIS3_Lb0EPKmPS5_mNS0_19identity_decomposerEEE10hipError_tT1_T2_PT3_SF_jT4_jjP12ihipStream_tbEUlT_E_NS1_11comp_targetILNS1_3genE5ELNS1_11target_archE942ELNS1_3gpuE9ELNS1_3repE0EEENS1_52radix_sort_onesweep_histogram_config_static_selectorELNS0_4arch9wavefront6targetE0EEEvSD_ ; -- Begin function _ZN7rocprim17ROCPRIM_400000_NS6detail17trampoline_kernelINS0_14default_configENS1_35radix_sort_onesweep_config_selectorImNS0_10empty_typeEEEZNS1_34radix_sort_onesweep_global_offsetsIS3_Lb0EPKmPS5_mNS0_19identity_decomposerEEE10hipError_tT1_T2_PT3_SF_jT4_jjP12ihipStream_tbEUlT_E_NS1_11comp_targetILNS1_3genE5ELNS1_11target_archE942ELNS1_3gpuE9ELNS1_3repE0EEENS1_52radix_sort_onesweep_histogram_config_static_selectorELNS0_4arch9wavefront6targetE0EEEvSD_
	.globl	_ZN7rocprim17ROCPRIM_400000_NS6detail17trampoline_kernelINS0_14default_configENS1_35radix_sort_onesweep_config_selectorImNS0_10empty_typeEEEZNS1_34radix_sort_onesweep_global_offsetsIS3_Lb0EPKmPS5_mNS0_19identity_decomposerEEE10hipError_tT1_T2_PT3_SF_jT4_jjP12ihipStream_tbEUlT_E_NS1_11comp_targetILNS1_3genE5ELNS1_11target_archE942ELNS1_3gpuE9ELNS1_3repE0EEENS1_52radix_sort_onesweep_histogram_config_static_selectorELNS0_4arch9wavefront6targetE0EEEvSD_
	.p2align	8
	.type	_ZN7rocprim17ROCPRIM_400000_NS6detail17trampoline_kernelINS0_14default_configENS1_35radix_sort_onesweep_config_selectorImNS0_10empty_typeEEEZNS1_34radix_sort_onesweep_global_offsetsIS3_Lb0EPKmPS5_mNS0_19identity_decomposerEEE10hipError_tT1_T2_PT3_SF_jT4_jjP12ihipStream_tbEUlT_E_NS1_11comp_targetILNS1_3genE5ELNS1_11target_archE942ELNS1_3gpuE9ELNS1_3repE0EEENS1_52radix_sort_onesweep_histogram_config_static_selectorELNS0_4arch9wavefront6targetE0EEEvSD_,@function
_ZN7rocprim17ROCPRIM_400000_NS6detail17trampoline_kernelINS0_14default_configENS1_35radix_sort_onesweep_config_selectorImNS0_10empty_typeEEEZNS1_34radix_sort_onesweep_global_offsetsIS3_Lb0EPKmPS5_mNS0_19identity_decomposerEEE10hipError_tT1_T2_PT3_SF_jT4_jjP12ihipStream_tbEUlT_E_NS1_11comp_targetILNS1_3genE5ELNS1_11target_archE942ELNS1_3gpuE9ELNS1_3repE0EEENS1_52radix_sort_onesweep_histogram_config_static_selectorELNS0_4arch9wavefront6targetE0EEEvSD_: ; @_ZN7rocprim17ROCPRIM_400000_NS6detail17trampoline_kernelINS0_14default_configENS1_35radix_sort_onesweep_config_selectorImNS0_10empty_typeEEEZNS1_34radix_sort_onesweep_global_offsetsIS3_Lb0EPKmPS5_mNS0_19identity_decomposerEEE10hipError_tT1_T2_PT3_SF_jT4_jjP12ihipStream_tbEUlT_E_NS1_11comp_targetILNS1_3genE5ELNS1_11target_archE942ELNS1_3gpuE9ELNS1_3repE0EEENS1_52radix_sort_onesweep_histogram_config_static_selectorELNS0_4arch9wavefront6targetE0EEEvSD_
; %bb.0:
	.section	.rodata,"a",@progbits
	.p2align	6, 0x0
	.amdhsa_kernel _ZN7rocprim17ROCPRIM_400000_NS6detail17trampoline_kernelINS0_14default_configENS1_35radix_sort_onesweep_config_selectorImNS0_10empty_typeEEEZNS1_34radix_sort_onesweep_global_offsetsIS3_Lb0EPKmPS5_mNS0_19identity_decomposerEEE10hipError_tT1_T2_PT3_SF_jT4_jjP12ihipStream_tbEUlT_E_NS1_11comp_targetILNS1_3genE5ELNS1_11target_archE942ELNS1_3gpuE9ELNS1_3repE0EEENS1_52radix_sort_onesweep_histogram_config_static_selectorELNS0_4arch9wavefront6targetE0EEEvSD_
		.amdhsa_group_segment_fixed_size 0
		.amdhsa_private_segment_fixed_size 0
		.amdhsa_kernarg_size 48
		.amdhsa_user_sgpr_count 2
		.amdhsa_user_sgpr_dispatch_ptr 0
		.amdhsa_user_sgpr_queue_ptr 0
		.amdhsa_user_sgpr_kernarg_segment_ptr 1
		.amdhsa_user_sgpr_dispatch_id 0
		.amdhsa_user_sgpr_kernarg_preload_length 0
		.amdhsa_user_sgpr_kernarg_preload_offset 0
		.amdhsa_user_sgpr_private_segment_size 0
		.amdhsa_wavefront_size32 1
		.amdhsa_uses_dynamic_stack 0
		.amdhsa_enable_private_segment 0
		.amdhsa_system_sgpr_workgroup_id_x 1
		.amdhsa_system_sgpr_workgroup_id_y 0
		.amdhsa_system_sgpr_workgroup_id_z 0
		.amdhsa_system_sgpr_workgroup_info 0
		.amdhsa_system_vgpr_workitem_id 0
		.amdhsa_next_free_vgpr 1
		.amdhsa_next_free_sgpr 1
		.amdhsa_named_barrier_count 0
		.amdhsa_reserve_vcc 0
		.amdhsa_float_round_mode_32 0
		.amdhsa_float_round_mode_16_64 0
		.amdhsa_float_denorm_mode_32 3
		.amdhsa_float_denorm_mode_16_64 3
		.amdhsa_fp16_overflow 0
		.amdhsa_memory_ordered 1
		.amdhsa_forward_progress 1
		.amdhsa_inst_pref_size 0
		.amdhsa_round_robin_scheduling 0
		.amdhsa_exception_fp_ieee_invalid_op 0
		.amdhsa_exception_fp_denorm_src 0
		.amdhsa_exception_fp_ieee_div_zero 0
		.amdhsa_exception_fp_ieee_overflow 0
		.amdhsa_exception_fp_ieee_underflow 0
		.amdhsa_exception_fp_ieee_inexact 0
		.amdhsa_exception_int_div_zero 0
	.end_amdhsa_kernel
	.section	.text._ZN7rocprim17ROCPRIM_400000_NS6detail17trampoline_kernelINS0_14default_configENS1_35radix_sort_onesweep_config_selectorImNS0_10empty_typeEEEZNS1_34radix_sort_onesweep_global_offsetsIS3_Lb0EPKmPS5_mNS0_19identity_decomposerEEE10hipError_tT1_T2_PT3_SF_jT4_jjP12ihipStream_tbEUlT_E_NS1_11comp_targetILNS1_3genE5ELNS1_11target_archE942ELNS1_3gpuE9ELNS1_3repE0EEENS1_52radix_sort_onesweep_histogram_config_static_selectorELNS0_4arch9wavefront6targetE0EEEvSD_,"axG",@progbits,_ZN7rocprim17ROCPRIM_400000_NS6detail17trampoline_kernelINS0_14default_configENS1_35radix_sort_onesweep_config_selectorImNS0_10empty_typeEEEZNS1_34radix_sort_onesweep_global_offsetsIS3_Lb0EPKmPS5_mNS0_19identity_decomposerEEE10hipError_tT1_T2_PT3_SF_jT4_jjP12ihipStream_tbEUlT_E_NS1_11comp_targetILNS1_3genE5ELNS1_11target_archE942ELNS1_3gpuE9ELNS1_3repE0EEENS1_52radix_sort_onesweep_histogram_config_static_selectorELNS0_4arch9wavefront6targetE0EEEvSD_,comdat
.Lfunc_end2975:
	.size	_ZN7rocprim17ROCPRIM_400000_NS6detail17trampoline_kernelINS0_14default_configENS1_35radix_sort_onesweep_config_selectorImNS0_10empty_typeEEEZNS1_34radix_sort_onesweep_global_offsetsIS3_Lb0EPKmPS5_mNS0_19identity_decomposerEEE10hipError_tT1_T2_PT3_SF_jT4_jjP12ihipStream_tbEUlT_E_NS1_11comp_targetILNS1_3genE5ELNS1_11target_archE942ELNS1_3gpuE9ELNS1_3repE0EEENS1_52radix_sort_onesweep_histogram_config_static_selectorELNS0_4arch9wavefront6targetE0EEEvSD_, .Lfunc_end2975-_ZN7rocprim17ROCPRIM_400000_NS6detail17trampoline_kernelINS0_14default_configENS1_35radix_sort_onesweep_config_selectorImNS0_10empty_typeEEEZNS1_34radix_sort_onesweep_global_offsetsIS3_Lb0EPKmPS5_mNS0_19identity_decomposerEEE10hipError_tT1_T2_PT3_SF_jT4_jjP12ihipStream_tbEUlT_E_NS1_11comp_targetILNS1_3genE5ELNS1_11target_archE942ELNS1_3gpuE9ELNS1_3repE0EEENS1_52radix_sort_onesweep_histogram_config_static_selectorELNS0_4arch9wavefront6targetE0EEEvSD_
                                        ; -- End function
	.set _ZN7rocprim17ROCPRIM_400000_NS6detail17trampoline_kernelINS0_14default_configENS1_35radix_sort_onesweep_config_selectorImNS0_10empty_typeEEEZNS1_34radix_sort_onesweep_global_offsetsIS3_Lb0EPKmPS5_mNS0_19identity_decomposerEEE10hipError_tT1_T2_PT3_SF_jT4_jjP12ihipStream_tbEUlT_E_NS1_11comp_targetILNS1_3genE5ELNS1_11target_archE942ELNS1_3gpuE9ELNS1_3repE0EEENS1_52radix_sort_onesweep_histogram_config_static_selectorELNS0_4arch9wavefront6targetE0EEEvSD_.num_vgpr, 0
	.set _ZN7rocprim17ROCPRIM_400000_NS6detail17trampoline_kernelINS0_14default_configENS1_35radix_sort_onesweep_config_selectorImNS0_10empty_typeEEEZNS1_34radix_sort_onesweep_global_offsetsIS3_Lb0EPKmPS5_mNS0_19identity_decomposerEEE10hipError_tT1_T2_PT3_SF_jT4_jjP12ihipStream_tbEUlT_E_NS1_11comp_targetILNS1_3genE5ELNS1_11target_archE942ELNS1_3gpuE9ELNS1_3repE0EEENS1_52radix_sort_onesweep_histogram_config_static_selectorELNS0_4arch9wavefront6targetE0EEEvSD_.num_agpr, 0
	.set _ZN7rocprim17ROCPRIM_400000_NS6detail17trampoline_kernelINS0_14default_configENS1_35radix_sort_onesweep_config_selectorImNS0_10empty_typeEEEZNS1_34radix_sort_onesweep_global_offsetsIS3_Lb0EPKmPS5_mNS0_19identity_decomposerEEE10hipError_tT1_T2_PT3_SF_jT4_jjP12ihipStream_tbEUlT_E_NS1_11comp_targetILNS1_3genE5ELNS1_11target_archE942ELNS1_3gpuE9ELNS1_3repE0EEENS1_52radix_sort_onesweep_histogram_config_static_selectorELNS0_4arch9wavefront6targetE0EEEvSD_.numbered_sgpr, 0
	.set _ZN7rocprim17ROCPRIM_400000_NS6detail17trampoline_kernelINS0_14default_configENS1_35radix_sort_onesweep_config_selectorImNS0_10empty_typeEEEZNS1_34radix_sort_onesweep_global_offsetsIS3_Lb0EPKmPS5_mNS0_19identity_decomposerEEE10hipError_tT1_T2_PT3_SF_jT4_jjP12ihipStream_tbEUlT_E_NS1_11comp_targetILNS1_3genE5ELNS1_11target_archE942ELNS1_3gpuE9ELNS1_3repE0EEENS1_52radix_sort_onesweep_histogram_config_static_selectorELNS0_4arch9wavefront6targetE0EEEvSD_.num_named_barrier, 0
	.set _ZN7rocprim17ROCPRIM_400000_NS6detail17trampoline_kernelINS0_14default_configENS1_35radix_sort_onesweep_config_selectorImNS0_10empty_typeEEEZNS1_34radix_sort_onesweep_global_offsetsIS3_Lb0EPKmPS5_mNS0_19identity_decomposerEEE10hipError_tT1_T2_PT3_SF_jT4_jjP12ihipStream_tbEUlT_E_NS1_11comp_targetILNS1_3genE5ELNS1_11target_archE942ELNS1_3gpuE9ELNS1_3repE0EEENS1_52radix_sort_onesweep_histogram_config_static_selectorELNS0_4arch9wavefront6targetE0EEEvSD_.private_seg_size, 0
	.set _ZN7rocprim17ROCPRIM_400000_NS6detail17trampoline_kernelINS0_14default_configENS1_35radix_sort_onesweep_config_selectorImNS0_10empty_typeEEEZNS1_34radix_sort_onesweep_global_offsetsIS3_Lb0EPKmPS5_mNS0_19identity_decomposerEEE10hipError_tT1_T2_PT3_SF_jT4_jjP12ihipStream_tbEUlT_E_NS1_11comp_targetILNS1_3genE5ELNS1_11target_archE942ELNS1_3gpuE9ELNS1_3repE0EEENS1_52radix_sort_onesweep_histogram_config_static_selectorELNS0_4arch9wavefront6targetE0EEEvSD_.uses_vcc, 0
	.set _ZN7rocprim17ROCPRIM_400000_NS6detail17trampoline_kernelINS0_14default_configENS1_35radix_sort_onesweep_config_selectorImNS0_10empty_typeEEEZNS1_34radix_sort_onesweep_global_offsetsIS3_Lb0EPKmPS5_mNS0_19identity_decomposerEEE10hipError_tT1_T2_PT3_SF_jT4_jjP12ihipStream_tbEUlT_E_NS1_11comp_targetILNS1_3genE5ELNS1_11target_archE942ELNS1_3gpuE9ELNS1_3repE0EEENS1_52radix_sort_onesweep_histogram_config_static_selectorELNS0_4arch9wavefront6targetE0EEEvSD_.uses_flat_scratch, 0
	.set _ZN7rocprim17ROCPRIM_400000_NS6detail17trampoline_kernelINS0_14default_configENS1_35radix_sort_onesweep_config_selectorImNS0_10empty_typeEEEZNS1_34radix_sort_onesweep_global_offsetsIS3_Lb0EPKmPS5_mNS0_19identity_decomposerEEE10hipError_tT1_T2_PT3_SF_jT4_jjP12ihipStream_tbEUlT_E_NS1_11comp_targetILNS1_3genE5ELNS1_11target_archE942ELNS1_3gpuE9ELNS1_3repE0EEENS1_52radix_sort_onesweep_histogram_config_static_selectorELNS0_4arch9wavefront6targetE0EEEvSD_.has_dyn_sized_stack, 0
	.set _ZN7rocprim17ROCPRIM_400000_NS6detail17trampoline_kernelINS0_14default_configENS1_35radix_sort_onesweep_config_selectorImNS0_10empty_typeEEEZNS1_34radix_sort_onesweep_global_offsetsIS3_Lb0EPKmPS5_mNS0_19identity_decomposerEEE10hipError_tT1_T2_PT3_SF_jT4_jjP12ihipStream_tbEUlT_E_NS1_11comp_targetILNS1_3genE5ELNS1_11target_archE942ELNS1_3gpuE9ELNS1_3repE0EEENS1_52radix_sort_onesweep_histogram_config_static_selectorELNS0_4arch9wavefront6targetE0EEEvSD_.has_recursion, 0
	.set _ZN7rocprim17ROCPRIM_400000_NS6detail17trampoline_kernelINS0_14default_configENS1_35radix_sort_onesweep_config_selectorImNS0_10empty_typeEEEZNS1_34radix_sort_onesweep_global_offsetsIS3_Lb0EPKmPS5_mNS0_19identity_decomposerEEE10hipError_tT1_T2_PT3_SF_jT4_jjP12ihipStream_tbEUlT_E_NS1_11comp_targetILNS1_3genE5ELNS1_11target_archE942ELNS1_3gpuE9ELNS1_3repE0EEENS1_52radix_sort_onesweep_histogram_config_static_selectorELNS0_4arch9wavefront6targetE0EEEvSD_.has_indirect_call, 0
	.section	.AMDGPU.csdata,"",@progbits
; Kernel info:
; codeLenInByte = 0
; TotalNumSgprs: 0
; NumVgprs: 0
; ScratchSize: 0
; MemoryBound: 0
; FloatMode: 240
; IeeeMode: 1
; LDSByteSize: 0 bytes/workgroup (compile time only)
; SGPRBlocks: 0
; VGPRBlocks: 0
; NumSGPRsForWavesPerEU: 1
; NumVGPRsForWavesPerEU: 1
; NamedBarCnt: 0
; Occupancy: 16
; WaveLimiterHint : 0
; COMPUTE_PGM_RSRC2:SCRATCH_EN: 0
; COMPUTE_PGM_RSRC2:USER_SGPR: 2
; COMPUTE_PGM_RSRC2:TRAP_HANDLER: 0
; COMPUTE_PGM_RSRC2:TGID_X_EN: 1
; COMPUTE_PGM_RSRC2:TGID_Y_EN: 0
; COMPUTE_PGM_RSRC2:TGID_Z_EN: 0
; COMPUTE_PGM_RSRC2:TIDIG_COMP_CNT: 0
	.section	.text._ZN7rocprim17ROCPRIM_400000_NS6detail17trampoline_kernelINS0_14default_configENS1_35radix_sort_onesweep_config_selectorImNS0_10empty_typeEEEZNS1_34radix_sort_onesweep_global_offsetsIS3_Lb0EPKmPS5_mNS0_19identity_decomposerEEE10hipError_tT1_T2_PT3_SF_jT4_jjP12ihipStream_tbEUlT_E_NS1_11comp_targetILNS1_3genE2ELNS1_11target_archE906ELNS1_3gpuE6ELNS1_3repE0EEENS1_52radix_sort_onesweep_histogram_config_static_selectorELNS0_4arch9wavefront6targetE0EEEvSD_,"axG",@progbits,_ZN7rocprim17ROCPRIM_400000_NS6detail17trampoline_kernelINS0_14default_configENS1_35radix_sort_onesweep_config_selectorImNS0_10empty_typeEEEZNS1_34radix_sort_onesweep_global_offsetsIS3_Lb0EPKmPS5_mNS0_19identity_decomposerEEE10hipError_tT1_T2_PT3_SF_jT4_jjP12ihipStream_tbEUlT_E_NS1_11comp_targetILNS1_3genE2ELNS1_11target_archE906ELNS1_3gpuE6ELNS1_3repE0EEENS1_52radix_sort_onesweep_histogram_config_static_selectorELNS0_4arch9wavefront6targetE0EEEvSD_,comdat
	.protected	_ZN7rocprim17ROCPRIM_400000_NS6detail17trampoline_kernelINS0_14default_configENS1_35radix_sort_onesweep_config_selectorImNS0_10empty_typeEEEZNS1_34radix_sort_onesweep_global_offsetsIS3_Lb0EPKmPS5_mNS0_19identity_decomposerEEE10hipError_tT1_T2_PT3_SF_jT4_jjP12ihipStream_tbEUlT_E_NS1_11comp_targetILNS1_3genE2ELNS1_11target_archE906ELNS1_3gpuE6ELNS1_3repE0EEENS1_52radix_sort_onesweep_histogram_config_static_selectorELNS0_4arch9wavefront6targetE0EEEvSD_ ; -- Begin function _ZN7rocprim17ROCPRIM_400000_NS6detail17trampoline_kernelINS0_14default_configENS1_35radix_sort_onesweep_config_selectorImNS0_10empty_typeEEEZNS1_34radix_sort_onesweep_global_offsetsIS3_Lb0EPKmPS5_mNS0_19identity_decomposerEEE10hipError_tT1_T2_PT3_SF_jT4_jjP12ihipStream_tbEUlT_E_NS1_11comp_targetILNS1_3genE2ELNS1_11target_archE906ELNS1_3gpuE6ELNS1_3repE0EEENS1_52radix_sort_onesweep_histogram_config_static_selectorELNS0_4arch9wavefront6targetE0EEEvSD_
	.globl	_ZN7rocprim17ROCPRIM_400000_NS6detail17trampoline_kernelINS0_14default_configENS1_35radix_sort_onesweep_config_selectorImNS0_10empty_typeEEEZNS1_34radix_sort_onesweep_global_offsetsIS3_Lb0EPKmPS5_mNS0_19identity_decomposerEEE10hipError_tT1_T2_PT3_SF_jT4_jjP12ihipStream_tbEUlT_E_NS1_11comp_targetILNS1_3genE2ELNS1_11target_archE906ELNS1_3gpuE6ELNS1_3repE0EEENS1_52radix_sort_onesweep_histogram_config_static_selectorELNS0_4arch9wavefront6targetE0EEEvSD_
	.p2align	8
	.type	_ZN7rocprim17ROCPRIM_400000_NS6detail17trampoline_kernelINS0_14default_configENS1_35radix_sort_onesweep_config_selectorImNS0_10empty_typeEEEZNS1_34radix_sort_onesweep_global_offsetsIS3_Lb0EPKmPS5_mNS0_19identity_decomposerEEE10hipError_tT1_T2_PT3_SF_jT4_jjP12ihipStream_tbEUlT_E_NS1_11comp_targetILNS1_3genE2ELNS1_11target_archE906ELNS1_3gpuE6ELNS1_3repE0EEENS1_52radix_sort_onesweep_histogram_config_static_selectorELNS0_4arch9wavefront6targetE0EEEvSD_,@function
_ZN7rocprim17ROCPRIM_400000_NS6detail17trampoline_kernelINS0_14default_configENS1_35radix_sort_onesweep_config_selectorImNS0_10empty_typeEEEZNS1_34radix_sort_onesweep_global_offsetsIS3_Lb0EPKmPS5_mNS0_19identity_decomposerEEE10hipError_tT1_T2_PT3_SF_jT4_jjP12ihipStream_tbEUlT_E_NS1_11comp_targetILNS1_3genE2ELNS1_11target_archE906ELNS1_3gpuE6ELNS1_3repE0EEENS1_52radix_sort_onesweep_histogram_config_static_selectorELNS0_4arch9wavefront6targetE0EEEvSD_: ; @_ZN7rocprim17ROCPRIM_400000_NS6detail17trampoline_kernelINS0_14default_configENS1_35radix_sort_onesweep_config_selectorImNS0_10empty_typeEEEZNS1_34radix_sort_onesweep_global_offsetsIS3_Lb0EPKmPS5_mNS0_19identity_decomposerEEE10hipError_tT1_T2_PT3_SF_jT4_jjP12ihipStream_tbEUlT_E_NS1_11comp_targetILNS1_3genE2ELNS1_11target_archE906ELNS1_3gpuE6ELNS1_3repE0EEENS1_52radix_sort_onesweep_histogram_config_static_selectorELNS0_4arch9wavefront6targetE0EEEvSD_
; %bb.0:
	.section	.rodata,"a",@progbits
	.p2align	6, 0x0
	.amdhsa_kernel _ZN7rocprim17ROCPRIM_400000_NS6detail17trampoline_kernelINS0_14default_configENS1_35radix_sort_onesweep_config_selectorImNS0_10empty_typeEEEZNS1_34radix_sort_onesweep_global_offsetsIS3_Lb0EPKmPS5_mNS0_19identity_decomposerEEE10hipError_tT1_T2_PT3_SF_jT4_jjP12ihipStream_tbEUlT_E_NS1_11comp_targetILNS1_3genE2ELNS1_11target_archE906ELNS1_3gpuE6ELNS1_3repE0EEENS1_52radix_sort_onesweep_histogram_config_static_selectorELNS0_4arch9wavefront6targetE0EEEvSD_
		.amdhsa_group_segment_fixed_size 0
		.amdhsa_private_segment_fixed_size 0
		.amdhsa_kernarg_size 48
		.amdhsa_user_sgpr_count 2
		.amdhsa_user_sgpr_dispatch_ptr 0
		.amdhsa_user_sgpr_queue_ptr 0
		.amdhsa_user_sgpr_kernarg_segment_ptr 1
		.amdhsa_user_sgpr_dispatch_id 0
		.amdhsa_user_sgpr_kernarg_preload_length 0
		.amdhsa_user_sgpr_kernarg_preload_offset 0
		.amdhsa_user_sgpr_private_segment_size 0
		.amdhsa_wavefront_size32 1
		.amdhsa_uses_dynamic_stack 0
		.amdhsa_enable_private_segment 0
		.amdhsa_system_sgpr_workgroup_id_x 1
		.amdhsa_system_sgpr_workgroup_id_y 0
		.amdhsa_system_sgpr_workgroup_id_z 0
		.amdhsa_system_sgpr_workgroup_info 0
		.amdhsa_system_vgpr_workitem_id 0
		.amdhsa_next_free_vgpr 1
		.amdhsa_next_free_sgpr 1
		.amdhsa_named_barrier_count 0
		.amdhsa_reserve_vcc 0
		.amdhsa_float_round_mode_32 0
		.amdhsa_float_round_mode_16_64 0
		.amdhsa_float_denorm_mode_32 3
		.amdhsa_float_denorm_mode_16_64 3
		.amdhsa_fp16_overflow 0
		.amdhsa_memory_ordered 1
		.amdhsa_forward_progress 1
		.amdhsa_inst_pref_size 0
		.amdhsa_round_robin_scheduling 0
		.amdhsa_exception_fp_ieee_invalid_op 0
		.amdhsa_exception_fp_denorm_src 0
		.amdhsa_exception_fp_ieee_div_zero 0
		.amdhsa_exception_fp_ieee_overflow 0
		.amdhsa_exception_fp_ieee_underflow 0
		.amdhsa_exception_fp_ieee_inexact 0
		.amdhsa_exception_int_div_zero 0
	.end_amdhsa_kernel
	.section	.text._ZN7rocprim17ROCPRIM_400000_NS6detail17trampoline_kernelINS0_14default_configENS1_35radix_sort_onesweep_config_selectorImNS0_10empty_typeEEEZNS1_34radix_sort_onesweep_global_offsetsIS3_Lb0EPKmPS5_mNS0_19identity_decomposerEEE10hipError_tT1_T2_PT3_SF_jT4_jjP12ihipStream_tbEUlT_E_NS1_11comp_targetILNS1_3genE2ELNS1_11target_archE906ELNS1_3gpuE6ELNS1_3repE0EEENS1_52radix_sort_onesweep_histogram_config_static_selectorELNS0_4arch9wavefront6targetE0EEEvSD_,"axG",@progbits,_ZN7rocprim17ROCPRIM_400000_NS6detail17trampoline_kernelINS0_14default_configENS1_35radix_sort_onesweep_config_selectorImNS0_10empty_typeEEEZNS1_34radix_sort_onesweep_global_offsetsIS3_Lb0EPKmPS5_mNS0_19identity_decomposerEEE10hipError_tT1_T2_PT3_SF_jT4_jjP12ihipStream_tbEUlT_E_NS1_11comp_targetILNS1_3genE2ELNS1_11target_archE906ELNS1_3gpuE6ELNS1_3repE0EEENS1_52radix_sort_onesweep_histogram_config_static_selectorELNS0_4arch9wavefront6targetE0EEEvSD_,comdat
.Lfunc_end2976:
	.size	_ZN7rocprim17ROCPRIM_400000_NS6detail17trampoline_kernelINS0_14default_configENS1_35radix_sort_onesweep_config_selectorImNS0_10empty_typeEEEZNS1_34radix_sort_onesweep_global_offsetsIS3_Lb0EPKmPS5_mNS0_19identity_decomposerEEE10hipError_tT1_T2_PT3_SF_jT4_jjP12ihipStream_tbEUlT_E_NS1_11comp_targetILNS1_3genE2ELNS1_11target_archE906ELNS1_3gpuE6ELNS1_3repE0EEENS1_52radix_sort_onesweep_histogram_config_static_selectorELNS0_4arch9wavefront6targetE0EEEvSD_, .Lfunc_end2976-_ZN7rocprim17ROCPRIM_400000_NS6detail17trampoline_kernelINS0_14default_configENS1_35radix_sort_onesweep_config_selectorImNS0_10empty_typeEEEZNS1_34radix_sort_onesweep_global_offsetsIS3_Lb0EPKmPS5_mNS0_19identity_decomposerEEE10hipError_tT1_T2_PT3_SF_jT4_jjP12ihipStream_tbEUlT_E_NS1_11comp_targetILNS1_3genE2ELNS1_11target_archE906ELNS1_3gpuE6ELNS1_3repE0EEENS1_52radix_sort_onesweep_histogram_config_static_selectorELNS0_4arch9wavefront6targetE0EEEvSD_
                                        ; -- End function
	.set _ZN7rocprim17ROCPRIM_400000_NS6detail17trampoline_kernelINS0_14default_configENS1_35radix_sort_onesweep_config_selectorImNS0_10empty_typeEEEZNS1_34radix_sort_onesweep_global_offsetsIS3_Lb0EPKmPS5_mNS0_19identity_decomposerEEE10hipError_tT1_T2_PT3_SF_jT4_jjP12ihipStream_tbEUlT_E_NS1_11comp_targetILNS1_3genE2ELNS1_11target_archE906ELNS1_3gpuE6ELNS1_3repE0EEENS1_52radix_sort_onesweep_histogram_config_static_selectorELNS0_4arch9wavefront6targetE0EEEvSD_.num_vgpr, 0
	.set _ZN7rocprim17ROCPRIM_400000_NS6detail17trampoline_kernelINS0_14default_configENS1_35radix_sort_onesweep_config_selectorImNS0_10empty_typeEEEZNS1_34radix_sort_onesweep_global_offsetsIS3_Lb0EPKmPS5_mNS0_19identity_decomposerEEE10hipError_tT1_T2_PT3_SF_jT4_jjP12ihipStream_tbEUlT_E_NS1_11comp_targetILNS1_3genE2ELNS1_11target_archE906ELNS1_3gpuE6ELNS1_3repE0EEENS1_52radix_sort_onesweep_histogram_config_static_selectorELNS0_4arch9wavefront6targetE0EEEvSD_.num_agpr, 0
	.set _ZN7rocprim17ROCPRIM_400000_NS6detail17trampoline_kernelINS0_14default_configENS1_35radix_sort_onesweep_config_selectorImNS0_10empty_typeEEEZNS1_34radix_sort_onesweep_global_offsetsIS3_Lb0EPKmPS5_mNS0_19identity_decomposerEEE10hipError_tT1_T2_PT3_SF_jT4_jjP12ihipStream_tbEUlT_E_NS1_11comp_targetILNS1_3genE2ELNS1_11target_archE906ELNS1_3gpuE6ELNS1_3repE0EEENS1_52radix_sort_onesweep_histogram_config_static_selectorELNS0_4arch9wavefront6targetE0EEEvSD_.numbered_sgpr, 0
	.set _ZN7rocprim17ROCPRIM_400000_NS6detail17trampoline_kernelINS0_14default_configENS1_35radix_sort_onesweep_config_selectorImNS0_10empty_typeEEEZNS1_34radix_sort_onesweep_global_offsetsIS3_Lb0EPKmPS5_mNS0_19identity_decomposerEEE10hipError_tT1_T2_PT3_SF_jT4_jjP12ihipStream_tbEUlT_E_NS1_11comp_targetILNS1_3genE2ELNS1_11target_archE906ELNS1_3gpuE6ELNS1_3repE0EEENS1_52radix_sort_onesweep_histogram_config_static_selectorELNS0_4arch9wavefront6targetE0EEEvSD_.num_named_barrier, 0
	.set _ZN7rocprim17ROCPRIM_400000_NS6detail17trampoline_kernelINS0_14default_configENS1_35radix_sort_onesweep_config_selectorImNS0_10empty_typeEEEZNS1_34radix_sort_onesweep_global_offsetsIS3_Lb0EPKmPS5_mNS0_19identity_decomposerEEE10hipError_tT1_T2_PT3_SF_jT4_jjP12ihipStream_tbEUlT_E_NS1_11comp_targetILNS1_3genE2ELNS1_11target_archE906ELNS1_3gpuE6ELNS1_3repE0EEENS1_52radix_sort_onesweep_histogram_config_static_selectorELNS0_4arch9wavefront6targetE0EEEvSD_.private_seg_size, 0
	.set _ZN7rocprim17ROCPRIM_400000_NS6detail17trampoline_kernelINS0_14default_configENS1_35radix_sort_onesweep_config_selectorImNS0_10empty_typeEEEZNS1_34radix_sort_onesweep_global_offsetsIS3_Lb0EPKmPS5_mNS0_19identity_decomposerEEE10hipError_tT1_T2_PT3_SF_jT4_jjP12ihipStream_tbEUlT_E_NS1_11comp_targetILNS1_3genE2ELNS1_11target_archE906ELNS1_3gpuE6ELNS1_3repE0EEENS1_52radix_sort_onesweep_histogram_config_static_selectorELNS0_4arch9wavefront6targetE0EEEvSD_.uses_vcc, 0
	.set _ZN7rocprim17ROCPRIM_400000_NS6detail17trampoline_kernelINS0_14default_configENS1_35radix_sort_onesweep_config_selectorImNS0_10empty_typeEEEZNS1_34radix_sort_onesweep_global_offsetsIS3_Lb0EPKmPS5_mNS0_19identity_decomposerEEE10hipError_tT1_T2_PT3_SF_jT4_jjP12ihipStream_tbEUlT_E_NS1_11comp_targetILNS1_3genE2ELNS1_11target_archE906ELNS1_3gpuE6ELNS1_3repE0EEENS1_52radix_sort_onesweep_histogram_config_static_selectorELNS0_4arch9wavefront6targetE0EEEvSD_.uses_flat_scratch, 0
	.set _ZN7rocprim17ROCPRIM_400000_NS6detail17trampoline_kernelINS0_14default_configENS1_35radix_sort_onesweep_config_selectorImNS0_10empty_typeEEEZNS1_34radix_sort_onesweep_global_offsetsIS3_Lb0EPKmPS5_mNS0_19identity_decomposerEEE10hipError_tT1_T2_PT3_SF_jT4_jjP12ihipStream_tbEUlT_E_NS1_11comp_targetILNS1_3genE2ELNS1_11target_archE906ELNS1_3gpuE6ELNS1_3repE0EEENS1_52radix_sort_onesweep_histogram_config_static_selectorELNS0_4arch9wavefront6targetE0EEEvSD_.has_dyn_sized_stack, 0
	.set _ZN7rocprim17ROCPRIM_400000_NS6detail17trampoline_kernelINS0_14default_configENS1_35radix_sort_onesweep_config_selectorImNS0_10empty_typeEEEZNS1_34radix_sort_onesweep_global_offsetsIS3_Lb0EPKmPS5_mNS0_19identity_decomposerEEE10hipError_tT1_T2_PT3_SF_jT4_jjP12ihipStream_tbEUlT_E_NS1_11comp_targetILNS1_3genE2ELNS1_11target_archE906ELNS1_3gpuE6ELNS1_3repE0EEENS1_52radix_sort_onesweep_histogram_config_static_selectorELNS0_4arch9wavefront6targetE0EEEvSD_.has_recursion, 0
	.set _ZN7rocprim17ROCPRIM_400000_NS6detail17trampoline_kernelINS0_14default_configENS1_35radix_sort_onesweep_config_selectorImNS0_10empty_typeEEEZNS1_34radix_sort_onesweep_global_offsetsIS3_Lb0EPKmPS5_mNS0_19identity_decomposerEEE10hipError_tT1_T2_PT3_SF_jT4_jjP12ihipStream_tbEUlT_E_NS1_11comp_targetILNS1_3genE2ELNS1_11target_archE906ELNS1_3gpuE6ELNS1_3repE0EEENS1_52radix_sort_onesweep_histogram_config_static_selectorELNS0_4arch9wavefront6targetE0EEEvSD_.has_indirect_call, 0
	.section	.AMDGPU.csdata,"",@progbits
; Kernel info:
; codeLenInByte = 0
; TotalNumSgprs: 0
; NumVgprs: 0
; ScratchSize: 0
; MemoryBound: 0
; FloatMode: 240
; IeeeMode: 1
; LDSByteSize: 0 bytes/workgroup (compile time only)
; SGPRBlocks: 0
; VGPRBlocks: 0
; NumSGPRsForWavesPerEU: 1
; NumVGPRsForWavesPerEU: 1
; NamedBarCnt: 0
; Occupancy: 16
; WaveLimiterHint : 0
; COMPUTE_PGM_RSRC2:SCRATCH_EN: 0
; COMPUTE_PGM_RSRC2:USER_SGPR: 2
; COMPUTE_PGM_RSRC2:TRAP_HANDLER: 0
; COMPUTE_PGM_RSRC2:TGID_X_EN: 1
; COMPUTE_PGM_RSRC2:TGID_Y_EN: 0
; COMPUTE_PGM_RSRC2:TGID_Z_EN: 0
; COMPUTE_PGM_RSRC2:TIDIG_COMP_CNT: 0
	.section	.text._ZN7rocprim17ROCPRIM_400000_NS6detail17trampoline_kernelINS0_14default_configENS1_35radix_sort_onesweep_config_selectorImNS0_10empty_typeEEEZNS1_34radix_sort_onesweep_global_offsetsIS3_Lb0EPKmPS5_mNS0_19identity_decomposerEEE10hipError_tT1_T2_PT3_SF_jT4_jjP12ihipStream_tbEUlT_E_NS1_11comp_targetILNS1_3genE4ELNS1_11target_archE910ELNS1_3gpuE8ELNS1_3repE0EEENS1_52radix_sort_onesweep_histogram_config_static_selectorELNS0_4arch9wavefront6targetE0EEEvSD_,"axG",@progbits,_ZN7rocprim17ROCPRIM_400000_NS6detail17trampoline_kernelINS0_14default_configENS1_35radix_sort_onesweep_config_selectorImNS0_10empty_typeEEEZNS1_34radix_sort_onesweep_global_offsetsIS3_Lb0EPKmPS5_mNS0_19identity_decomposerEEE10hipError_tT1_T2_PT3_SF_jT4_jjP12ihipStream_tbEUlT_E_NS1_11comp_targetILNS1_3genE4ELNS1_11target_archE910ELNS1_3gpuE8ELNS1_3repE0EEENS1_52radix_sort_onesweep_histogram_config_static_selectorELNS0_4arch9wavefront6targetE0EEEvSD_,comdat
	.protected	_ZN7rocprim17ROCPRIM_400000_NS6detail17trampoline_kernelINS0_14default_configENS1_35radix_sort_onesweep_config_selectorImNS0_10empty_typeEEEZNS1_34radix_sort_onesweep_global_offsetsIS3_Lb0EPKmPS5_mNS0_19identity_decomposerEEE10hipError_tT1_T2_PT3_SF_jT4_jjP12ihipStream_tbEUlT_E_NS1_11comp_targetILNS1_3genE4ELNS1_11target_archE910ELNS1_3gpuE8ELNS1_3repE0EEENS1_52radix_sort_onesweep_histogram_config_static_selectorELNS0_4arch9wavefront6targetE0EEEvSD_ ; -- Begin function _ZN7rocprim17ROCPRIM_400000_NS6detail17trampoline_kernelINS0_14default_configENS1_35radix_sort_onesweep_config_selectorImNS0_10empty_typeEEEZNS1_34radix_sort_onesweep_global_offsetsIS3_Lb0EPKmPS5_mNS0_19identity_decomposerEEE10hipError_tT1_T2_PT3_SF_jT4_jjP12ihipStream_tbEUlT_E_NS1_11comp_targetILNS1_3genE4ELNS1_11target_archE910ELNS1_3gpuE8ELNS1_3repE0EEENS1_52radix_sort_onesweep_histogram_config_static_selectorELNS0_4arch9wavefront6targetE0EEEvSD_
	.globl	_ZN7rocprim17ROCPRIM_400000_NS6detail17trampoline_kernelINS0_14default_configENS1_35radix_sort_onesweep_config_selectorImNS0_10empty_typeEEEZNS1_34radix_sort_onesweep_global_offsetsIS3_Lb0EPKmPS5_mNS0_19identity_decomposerEEE10hipError_tT1_T2_PT3_SF_jT4_jjP12ihipStream_tbEUlT_E_NS1_11comp_targetILNS1_3genE4ELNS1_11target_archE910ELNS1_3gpuE8ELNS1_3repE0EEENS1_52radix_sort_onesweep_histogram_config_static_selectorELNS0_4arch9wavefront6targetE0EEEvSD_
	.p2align	8
	.type	_ZN7rocprim17ROCPRIM_400000_NS6detail17trampoline_kernelINS0_14default_configENS1_35radix_sort_onesweep_config_selectorImNS0_10empty_typeEEEZNS1_34radix_sort_onesweep_global_offsetsIS3_Lb0EPKmPS5_mNS0_19identity_decomposerEEE10hipError_tT1_T2_PT3_SF_jT4_jjP12ihipStream_tbEUlT_E_NS1_11comp_targetILNS1_3genE4ELNS1_11target_archE910ELNS1_3gpuE8ELNS1_3repE0EEENS1_52radix_sort_onesweep_histogram_config_static_selectorELNS0_4arch9wavefront6targetE0EEEvSD_,@function
_ZN7rocprim17ROCPRIM_400000_NS6detail17trampoline_kernelINS0_14default_configENS1_35radix_sort_onesweep_config_selectorImNS0_10empty_typeEEEZNS1_34radix_sort_onesweep_global_offsetsIS3_Lb0EPKmPS5_mNS0_19identity_decomposerEEE10hipError_tT1_T2_PT3_SF_jT4_jjP12ihipStream_tbEUlT_E_NS1_11comp_targetILNS1_3genE4ELNS1_11target_archE910ELNS1_3gpuE8ELNS1_3repE0EEENS1_52radix_sort_onesweep_histogram_config_static_selectorELNS0_4arch9wavefront6targetE0EEEvSD_: ; @_ZN7rocprim17ROCPRIM_400000_NS6detail17trampoline_kernelINS0_14default_configENS1_35radix_sort_onesweep_config_selectorImNS0_10empty_typeEEEZNS1_34radix_sort_onesweep_global_offsetsIS3_Lb0EPKmPS5_mNS0_19identity_decomposerEEE10hipError_tT1_T2_PT3_SF_jT4_jjP12ihipStream_tbEUlT_E_NS1_11comp_targetILNS1_3genE4ELNS1_11target_archE910ELNS1_3gpuE8ELNS1_3repE0EEENS1_52radix_sort_onesweep_histogram_config_static_selectorELNS0_4arch9wavefront6targetE0EEEvSD_
; %bb.0:
	.section	.rodata,"a",@progbits
	.p2align	6, 0x0
	.amdhsa_kernel _ZN7rocprim17ROCPRIM_400000_NS6detail17trampoline_kernelINS0_14default_configENS1_35radix_sort_onesweep_config_selectorImNS0_10empty_typeEEEZNS1_34radix_sort_onesweep_global_offsetsIS3_Lb0EPKmPS5_mNS0_19identity_decomposerEEE10hipError_tT1_T2_PT3_SF_jT4_jjP12ihipStream_tbEUlT_E_NS1_11comp_targetILNS1_3genE4ELNS1_11target_archE910ELNS1_3gpuE8ELNS1_3repE0EEENS1_52radix_sort_onesweep_histogram_config_static_selectorELNS0_4arch9wavefront6targetE0EEEvSD_
		.amdhsa_group_segment_fixed_size 0
		.amdhsa_private_segment_fixed_size 0
		.amdhsa_kernarg_size 48
		.amdhsa_user_sgpr_count 2
		.amdhsa_user_sgpr_dispatch_ptr 0
		.amdhsa_user_sgpr_queue_ptr 0
		.amdhsa_user_sgpr_kernarg_segment_ptr 1
		.amdhsa_user_sgpr_dispatch_id 0
		.amdhsa_user_sgpr_kernarg_preload_length 0
		.amdhsa_user_sgpr_kernarg_preload_offset 0
		.amdhsa_user_sgpr_private_segment_size 0
		.amdhsa_wavefront_size32 1
		.amdhsa_uses_dynamic_stack 0
		.amdhsa_enable_private_segment 0
		.amdhsa_system_sgpr_workgroup_id_x 1
		.amdhsa_system_sgpr_workgroup_id_y 0
		.amdhsa_system_sgpr_workgroup_id_z 0
		.amdhsa_system_sgpr_workgroup_info 0
		.amdhsa_system_vgpr_workitem_id 0
		.amdhsa_next_free_vgpr 1
		.amdhsa_next_free_sgpr 1
		.amdhsa_named_barrier_count 0
		.amdhsa_reserve_vcc 0
		.amdhsa_float_round_mode_32 0
		.amdhsa_float_round_mode_16_64 0
		.amdhsa_float_denorm_mode_32 3
		.amdhsa_float_denorm_mode_16_64 3
		.amdhsa_fp16_overflow 0
		.amdhsa_memory_ordered 1
		.amdhsa_forward_progress 1
		.amdhsa_inst_pref_size 0
		.amdhsa_round_robin_scheduling 0
		.amdhsa_exception_fp_ieee_invalid_op 0
		.amdhsa_exception_fp_denorm_src 0
		.amdhsa_exception_fp_ieee_div_zero 0
		.amdhsa_exception_fp_ieee_overflow 0
		.amdhsa_exception_fp_ieee_underflow 0
		.amdhsa_exception_fp_ieee_inexact 0
		.amdhsa_exception_int_div_zero 0
	.end_amdhsa_kernel
	.section	.text._ZN7rocprim17ROCPRIM_400000_NS6detail17trampoline_kernelINS0_14default_configENS1_35radix_sort_onesweep_config_selectorImNS0_10empty_typeEEEZNS1_34radix_sort_onesweep_global_offsetsIS3_Lb0EPKmPS5_mNS0_19identity_decomposerEEE10hipError_tT1_T2_PT3_SF_jT4_jjP12ihipStream_tbEUlT_E_NS1_11comp_targetILNS1_3genE4ELNS1_11target_archE910ELNS1_3gpuE8ELNS1_3repE0EEENS1_52radix_sort_onesweep_histogram_config_static_selectorELNS0_4arch9wavefront6targetE0EEEvSD_,"axG",@progbits,_ZN7rocprim17ROCPRIM_400000_NS6detail17trampoline_kernelINS0_14default_configENS1_35radix_sort_onesweep_config_selectorImNS0_10empty_typeEEEZNS1_34radix_sort_onesweep_global_offsetsIS3_Lb0EPKmPS5_mNS0_19identity_decomposerEEE10hipError_tT1_T2_PT3_SF_jT4_jjP12ihipStream_tbEUlT_E_NS1_11comp_targetILNS1_3genE4ELNS1_11target_archE910ELNS1_3gpuE8ELNS1_3repE0EEENS1_52radix_sort_onesweep_histogram_config_static_selectorELNS0_4arch9wavefront6targetE0EEEvSD_,comdat
.Lfunc_end2977:
	.size	_ZN7rocprim17ROCPRIM_400000_NS6detail17trampoline_kernelINS0_14default_configENS1_35radix_sort_onesweep_config_selectorImNS0_10empty_typeEEEZNS1_34radix_sort_onesweep_global_offsetsIS3_Lb0EPKmPS5_mNS0_19identity_decomposerEEE10hipError_tT1_T2_PT3_SF_jT4_jjP12ihipStream_tbEUlT_E_NS1_11comp_targetILNS1_3genE4ELNS1_11target_archE910ELNS1_3gpuE8ELNS1_3repE0EEENS1_52radix_sort_onesweep_histogram_config_static_selectorELNS0_4arch9wavefront6targetE0EEEvSD_, .Lfunc_end2977-_ZN7rocprim17ROCPRIM_400000_NS6detail17trampoline_kernelINS0_14default_configENS1_35radix_sort_onesweep_config_selectorImNS0_10empty_typeEEEZNS1_34radix_sort_onesweep_global_offsetsIS3_Lb0EPKmPS5_mNS0_19identity_decomposerEEE10hipError_tT1_T2_PT3_SF_jT4_jjP12ihipStream_tbEUlT_E_NS1_11comp_targetILNS1_3genE4ELNS1_11target_archE910ELNS1_3gpuE8ELNS1_3repE0EEENS1_52radix_sort_onesweep_histogram_config_static_selectorELNS0_4arch9wavefront6targetE0EEEvSD_
                                        ; -- End function
	.set _ZN7rocprim17ROCPRIM_400000_NS6detail17trampoline_kernelINS0_14default_configENS1_35radix_sort_onesweep_config_selectorImNS0_10empty_typeEEEZNS1_34radix_sort_onesweep_global_offsetsIS3_Lb0EPKmPS5_mNS0_19identity_decomposerEEE10hipError_tT1_T2_PT3_SF_jT4_jjP12ihipStream_tbEUlT_E_NS1_11comp_targetILNS1_3genE4ELNS1_11target_archE910ELNS1_3gpuE8ELNS1_3repE0EEENS1_52radix_sort_onesweep_histogram_config_static_selectorELNS0_4arch9wavefront6targetE0EEEvSD_.num_vgpr, 0
	.set _ZN7rocprim17ROCPRIM_400000_NS6detail17trampoline_kernelINS0_14default_configENS1_35radix_sort_onesweep_config_selectorImNS0_10empty_typeEEEZNS1_34radix_sort_onesweep_global_offsetsIS3_Lb0EPKmPS5_mNS0_19identity_decomposerEEE10hipError_tT1_T2_PT3_SF_jT4_jjP12ihipStream_tbEUlT_E_NS1_11comp_targetILNS1_3genE4ELNS1_11target_archE910ELNS1_3gpuE8ELNS1_3repE0EEENS1_52radix_sort_onesweep_histogram_config_static_selectorELNS0_4arch9wavefront6targetE0EEEvSD_.num_agpr, 0
	.set _ZN7rocprim17ROCPRIM_400000_NS6detail17trampoline_kernelINS0_14default_configENS1_35radix_sort_onesweep_config_selectorImNS0_10empty_typeEEEZNS1_34radix_sort_onesweep_global_offsetsIS3_Lb0EPKmPS5_mNS0_19identity_decomposerEEE10hipError_tT1_T2_PT3_SF_jT4_jjP12ihipStream_tbEUlT_E_NS1_11comp_targetILNS1_3genE4ELNS1_11target_archE910ELNS1_3gpuE8ELNS1_3repE0EEENS1_52radix_sort_onesweep_histogram_config_static_selectorELNS0_4arch9wavefront6targetE0EEEvSD_.numbered_sgpr, 0
	.set _ZN7rocprim17ROCPRIM_400000_NS6detail17trampoline_kernelINS0_14default_configENS1_35radix_sort_onesweep_config_selectorImNS0_10empty_typeEEEZNS1_34radix_sort_onesweep_global_offsetsIS3_Lb0EPKmPS5_mNS0_19identity_decomposerEEE10hipError_tT1_T2_PT3_SF_jT4_jjP12ihipStream_tbEUlT_E_NS1_11comp_targetILNS1_3genE4ELNS1_11target_archE910ELNS1_3gpuE8ELNS1_3repE0EEENS1_52radix_sort_onesweep_histogram_config_static_selectorELNS0_4arch9wavefront6targetE0EEEvSD_.num_named_barrier, 0
	.set _ZN7rocprim17ROCPRIM_400000_NS6detail17trampoline_kernelINS0_14default_configENS1_35radix_sort_onesweep_config_selectorImNS0_10empty_typeEEEZNS1_34radix_sort_onesweep_global_offsetsIS3_Lb0EPKmPS5_mNS0_19identity_decomposerEEE10hipError_tT1_T2_PT3_SF_jT4_jjP12ihipStream_tbEUlT_E_NS1_11comp_targetILNS1_3genE4ELNS1_11target_archE910ELNS1_3gpuE8ELNS1_3repE0EEENS1_52radix_sort_onesweep_histogram_config_static_selectorELNS0_4arch9wavefront6targetE0EEEvSD_.private_seg_size, 0
	.set _ZN7rocprim17ROCPRIM_400000_NS6detail17trampoline_kernelINS0_14default_configENS1_35radix_sort_onesweep_config_selectorImNS0_10empty_typeEEEZNS1_34radix_sort_onesweep_global_offsetsIS3_Lb0EPKmPS5_mNS0_19identity_decomposerEEE10hipError_tT1_T2_PT3_SF_jT4_jjP12ihipStream_tbEUlT_E_NS1_11comp_targetILNS1_3genE4ELNS1_11target_archE910ELNS1_3gpuE8ELNS1_3repE0EEENS1_52radix_sort_onesweep_histogram_config_static_selectorELNS0_4arch9wavefront6targetE0EEEvSD_.uses_vcc, 0
	.set _ZN7rocprim17ROCPRIM_400000_NS6detail17trampoline_kernelINS0_14default_configENS1_35radix_sort_onesweep_config_selectorImNS0_10empty_typeEEEZNS1_34radix_sort_onesweep_global_offsetsIS3_Lb0EPKmPS5_mNS0_19identity_decomposerEEE10hipError_tT1_T2_PT3_SF_jT4_jjP12ihipStream_tbEUlT_E_NS1_11comp_targetILNS1_3genE4ELNS1_11target_archE910ELNS1_3gpuE8ELNS1_3repE0EEENS1_52radix_sort_onesweep_histogram_config_static_selectorELNS0_4arch9wavefront6targetE0EEEvSD_.uses_flat_scratch, 0
	.set _ZN7rocprim17ROCPRIM_400000_NS6detail17trampoline_kernelINS0_14default_configENS1_35radix_sort_onesweep_config_selectorImNS0_10empty_typeEEEZNS1_34radix_sort_onesweep_global_offsetsIS3_Lb0EPKmPS5_mNS0_19identity_decomposerEEE10hipError_tT1_T2_PT3_SF_jT4_jjP12ihipStream_tbEUlT_E_NS1_11comp_targetILNS1_3genE4ELNS1_11target_archE910ELNS1_3gpuE8ELNS1_3repE0EEENS1_52radix_sort_onesweep_histogram_config_static_selectorELNS0_4arch9wavefront6targetE0EEEvSD_.has_dyn_sized_stack, 0
	.set _ZN7rocprim17ROCPRIM_400000_NS6detail17trampoline_kernelINS0_14default_configENS1_35radix_sort_onesweep_config_selectorImNS0_10empty_typeEEEZNS1_34radix_sort_onesweep_global_offsetsIS3_Lb0EPKmPS5_mNS0_19identity_decomposerEEE10hipError_tT1_T2_PT3_SF_jT4_jjP12ihipStream_tbEUlT_E_NS1_11comp_targetILNS1_3genE4ELNS1_11target_archE910ELNS1_3gpuE8ELNS1_3repE0EEENS1_52radix_sort_onesweep_histogram_config_static_selectorELNS0_4arch9wavefront6targetE0EEEvSD_.has_recursion, 0
	.set _ZN7rocprim17ROCPRIM_400000_NS6detail17trampoline_kernelINS0_14default_configENS1_35radix_sort_onesweep_config_selectorImNS0_10empty_typeEEEZNS1_34radix_sort_onesweep_global_offsetsIS3_Lb0EPKmPS5_mNS0_19identity_decomposerEEE10hipError_tT1_T2_PT3_SF_jT4_jjP12ihipStream_tbEUlT_E_NS1_11comp_targetILNS1_3genE4ELNS1_11target_archE910ELNS1_3gpuE8ELNS1_3repE0EEENS1_52radix_sort_onesweep_histogram_config_static_selectorELNS0_4arch9wavefront6targetE0EEEvSD_.has_indirect_call, 0
	.section	.AMDGPU.csdata,"",@progbits
; Kernel info:
; codeLenInByte = 0
; TotalNumSgprs: 0
; NumVgprs: 0
; ScratchSize: 0
; MemoryBound: 0
; FloatMode: 240
; IeeeMode: 1
; LDSByteSize: 0 bytes/workgroup (compile time only)
; SGPRBlocks: 0
; VGPRBlocks: 0
; NumSGPRsForWavesPerEU: 1
; NumVGPRsForWavesPerEU: 1
; NamedBarCnt: 0
; Occupancy: 16
; WaveLimiterHint : 0
; COMPUTE_PGM_RSRC2:SCRATCH_EN: 0
; COMPUTE_PGM_RSRC2:USER_SGPR: 2
; COMPUTE_PGM_RSRC2:TRAP_HANDLER: 0
; COMPUTE_PGM_RSRC2:TGID_X_EN: 1
; COMPUTE_PGM_RSRC2:TGID_Y_EN: 0
; COMPUTE_PGM_RSRC2:TGID_Z_EN: 0
; COMPUTE_PGM_RSRC2:TIDIG_COMP_CNT: 0
	.section	.text._ZN7rocprim17ROCPRIM_400000_NS6detail17trampoline_kernelINS0_14default_configENS1_35radix_sort_onesweep_config_selectorImNS0_10empty_typeEEEZNS1_34radix_sort_onesweep_global_offsetsIS3_Lb0EPKmPS5_mNS0_19identity_decomposerEEE10hipError_tT1_T2_PT3_SF_jT4_jjP12ihipStream_tbEUlT_E_NS1_11comp_targetILNS1_3genE3ELNS1_11target_archE908ELNS1_3gpuE7ELNS1_3repE0EEENS1_52radix_sort_onesweep_histogram_config_static_selectorELNS0_4arch9wavefront6targetE0EEEvSD_,"axG",@progbits,_ZN7rocprim17ROCPRIM_400000_NS6detail17trampoline_kernelINS0_14default_configENS1_35radix_sort_onesweep_config_selectorImNS0_10empty_typeEEEZNS1_34radix_sort_onesweep_global_offsetsIS3_Lb0EPKmPS5_mNS0_19identity_decomposerEEE10hipError_tT1_T2_PT3_SF_jT4_jjP12ihipStream_tbEUlT_E_NS1_11comp_targetILNS1_3genE3ELNS1_11target_archE908ELNS1_3gpuE7ELNS1_3repE0EEENS1_52radix_sort_onesweep_histogram_config_static_selectorELNS0_4arch9wavefront6targetE0EEEvSD_,comdat
	.protected	_ZN7rocprim17ROCPRIM_400000_NS6detail17trampoline_kernelINS0_14default_configENS1_35radix_sort_onesweep_config_selectorImNS0_10empty_typeEEEZNS1_34radix_sort_onesweep_global_offsetsIS3_Lb0EPKmPS5_mNS0_19identity_decomposerEEE10hipError_tT1_T2_PT3_SF_jT4_jjP12ihipStream_tbEUlT_E_NS1_11comp_targetILNS1_3genE3ELNS1_11target_archE908ELNS1_3gpuE7ELNS1_3repE0EEENS1_52radix_sort_onesweep_histogram_config_static_selectorELNS0_4arch9wavefront6targetE0EEEvSD_ ; -- Begin function _ZN7rocprim17ROCPRIM_400000_NS6detail17trampoline_kernelINS0_14default_configENS1_35radix_sort_onesweep_config_selectorImNS0_10empty_typeEEEZNS1_34radix_sort_onesweep_global_offsetsIS3_Lb0EPKmPS5_mNS0_19identity_decomposerEEE10hipError_tT1_T2_PT3_SF_jT4_jjP12ihipStream_tbEUlT_E_NS1_11comp_targetILNS1_3genE3ELNS1_11target_archE908ELNS1_3gpuE7ELNS1_3repE0EEENS1_52radix_sort_onesweep_histogram_config_static_selectorELNS0_4arch9wavefront6targetE0EEEvSD_
	.globl	_ZN7rocprim17ROCPRIM_400000_NS6detail17trampoline_kernelINS0_14default_configENS1_35radix_sort_onesweep_config_selectorImNS0_10empty_typeEEEZNS1_34radix_sort_onesweep_global_offsetsIS3_Lb0EPKmPS5_mNS0_19identity_decomposerEEE10hipError_tT1_T2_PT3_SF_jT4_jjP12ihipStream_tbEUlT_E_NS1_11comp_targetILNS1_3genE3ELNS1_11target_archE908ELNS1_3gpuE7ELNS1_3repE0EEENS1_52radix_sort_onesweep_histogram_config_static_selectorELNS0_4arch9wavefront6targetE0EEEvSD_
	.p2align	8
	.type	_ZN7rocprim17ROCPRIM_400000_NS6detail17trampoline_kernelINS0_14default_configENS1_35radix_sort_onesweep_config_selectorImNS0_10empty_typeEEEZNS1_34radix_sort_onesweep_global_offsetsIS3_Lb0EPKmPS5_mNS0_19identity_decomposerEEE10hipError_tT1_T2_PT3_SF_jT4_jjP12ihipStream_tbEUlT_E_NS1_11comp_targetILNS1_3genE3ELNS1_11target_archE908ELNS1_3gpuE7ELNS1_3repE0EEENS1_52radix_sort_onesweep_histogram_config_static_selectorELNS0_4arch9wavefront6targetE0EEEvSD_,@function
_ZN7rocprim17ROCPRIM_400000_NS6detail17trampoline_kernelINS0_14default_configENS1_35radix_sort_onesweep_config_selectorImNS0_10empty_typeEEEZNS1_34radix_sort_onesweep_global_offsetsIS3_Lb0EPKmPS5_mNS0_19identity_decomposerEEE10hipError_tT1_T2_PT3_SF_jT4_jjP12ihipStream_tbEUlT_E_NS1_11comp_targetILNS1_3genE3ELNS1_11target_archE908ELNS1_3gpuE7ELNS1_3repE0EEENS1_52radix_sort_onesweep_histogram_config_static_selectorELNS0_4arch9wavefront6targetE0EEEvSD_: ; @_ZN7rocprim17ROCPRIM_400000_NS6detail17trampoline_kernelINS0_14default_configENS1_35radix_sort_onesweep_config_selectorImNS0_10empty_typeEEEZNS1_34radix_sort_onesweep_global_offsetsIS3_Lb0EPKmPS5_mNS0_19identity_decomposerEEE10hipError_tT1_T2_PT3_SF_jT4_jjP12ihipStream_tbEUlT_E_NS1_11comp_targetILNS1_3genE3ELNS1_11target_archE908ELNS1_3gpuE7ELNS1_3repE0EEENS1_52radix_sort_onesweep_histogram_config_static_selectorELNS0_4arch9wavefront6targetE0EEEvSD_
; %bb.0:
	.section	.rodata,"a",@progbits
	.p2align	6, 0x0
	.amdhsa_kernel _ZN7rocprim17ROCPRIM_400000_NS6detail17trampoline_kernelINS0_14default_configENS1_35radix_sort_onesweep_config_selectorImNS0_10empty_typeEEEZNS1_34radix_sort_onesweep_global_offsetsIS3_Lb0EPKmPS5_mNS0_19identity_decomposerEEE10hipError_tT1_T2_PT3_SF_jT4_jjP12ihipStream_tbEUlT_E_NS1_11comp_targetILNS1_3genE3ELNS1_11target_archE908ELNS1_3gpuE7ELNS1_3repE0EEENS1_52radix_sort_onesweep_histogram_config_static_selectorELNS0_4arch9wavefront6targetE0EEEvSD_
		.amdhsa_group_segment_fixed_size 0
		.amdhsa_private_segment_fixed_size 0
		.amdhsa_kernarg_size 48
		.amdhsa_user_sgpr_count 2
		.amdhsa_user_sgpr_dispatch_ptr 0
		.amdhsa_user_sgpr_queue_ptr 0
		.amdhsa_user_sgpr_kernarg_segment_ptr 1
		.amdhsa_user_sgpr_dispatch_id 0
		.amdhsa_user_sgpr_kernarg_preload_length 0
		.amdhsa_user_sgpr_kernarg_preload_offset 0
		.amdhsa_user_sgpr_private_segment_size 0
		.amdhsa_wavefront_size32 1
		.amdhsa_uses_dynamic_stack 0
		.amdhsa_enable_private_segment 0
		.amdhsa_system_sgpr_workgroup_id_x 1
		.amdhsa_system_sgpr_workgroup_id_y 0
		.amdhsa_system_sgpr_workgroup_id_z 0
		.amdhsa_system_sgpr_workgroup_info 0
		.amdhsa_system_vgpr_workitem_id 0
		.amdhsa_next_free_vgpr 1
		.amdhsa_next_free_sgpr 1
		.amdhsa_named_barrier_count 0
		.amdhsa_reserve_vcc 0
		.amdhsa_float_round_mode_32 0
		.amdhsa_float_round_mode_16_64 0
		.amdhsa_float_denorm_mode_32 3
		.amdhsa_float_denorm_mode_16_64 3
		.amdhsa_fp16_overflow 0
		.amdhsa_memory_ordered 1
		.amdhsa_forward_progress 1
		.amdhsa_inst_pref_size 0
		.amdhsa_round_robin_scheduling 0
		.amdhsa_exception_fp_ieee_invalid_op 0
		.amdhsa_exception_fp_denorm_src 0
		.amdhsa_exception_fp_ieee_div_zero 0
		.amdhsa_exception_fp_ieee_overflow 0
		.amdhsa_exception_fp_ieee_underflow 0
		.amdhsa_exception_fp_ieee_inexact 0
		.amdhsa_exception_int_div_zero 0
	.end_amdhsa_kernel
	.section	.text._ZN7rocprim17ROCPRIM_400000_NS6detail17trampoline_kernelINS0_14default_configENS1_35radix_sort_onesweep_config_selectorImNS0_10empty_typeEEEZNS1_34radix_sort_onesweep_global_offsetsIS3_Lb0EPKmPS5_mNS0_19identity_decomposerEEE10hipError_tT1_T2_PT3_SF_jT4_jjP12ihipStream_tbEUlT_E_NS1_11comp_targetILNS1_3genE3ELNS1_11target_archE908ELNS1_3gpuE7ELNS1_3repE0EEENS1_52radix_sort_onesweep_histogram_config_static_selectorELNS0_4arch9wavefront6targetE0EEEvSD_,"axG",@progbits,_ZN7rocprim17ROCPRIM_400000_NS6detail17trampoline_kernelINS0_14default_configENS1_35radix_sort_onesweep_config_selectorImNS0_10empty_typeEEEZNS1_34radix_sort_onesweep_global_offsetsIS3_Lb0EPKmPS5_mNS0_19identity_decomposerEEE10hipError_tT1_T2_PT3_SF_jT4_jjP12ihipStream_tbEUlT_E_NS1_11comp_targetILNS1_3genE3ELNS1_11target_archE908ELNS1_3gpuE7ELNS1_3repE0EEENS1_52radix_sort_onesweep_histogram_config_static_selectorELNS0_4arch9wavefront6targetE0EEEvSD_,comdat
.Lfunc_end2978:
	.size	_ZN7rocprim17ROCPRIM_400000_NS6detail17trampoline_kernelINS0_14default_configENS1_35radix_sort_onesweep_config_selectorImNS0_10empty_typeEEEZNS1_34radix_sort_onesweep_global_offsetsIS3_Lb0EPKmPS5_mNS0_19identity_decomposerEEE10hipError_tT1_T2_PT3_SF_jT4_jjP12ihipStream_tbEUlT_E_NS1_11comp_targetILNS1_3genE3ELNS1_11target_archE908ELNS1_3gpuE7ELNS1_3repE0EEENS1_52radix_sort_onesweep_histogram_config_static_selectorELNS0_4arch9wavefront6targetE0EEEvSD_, .Lfunc_end2978-_ZN7rocprim17ROCPRIM_400000_NS6detail17trampoline_kernelINS0_14default_configENS1_35radix_sort_onesweep_config_selectorImNS0_10empty_typeEEEZNS1_34radix_sort_onesweep_global_offsetsIS3_Lb0EPKmPS5_mNS0_19identity_decomposerEEE10hipError_tT1_T2_PT3_SF_jT4_jjP12ihipStream_tbEUlT_E_NS1_11comp_targetILNS1_3genE3ELNS1_11target_archE908ELNS1_3gpuE7ELNS1_3repE0EEENS1_52radix_sort_onesweep_histogram_config_static_selectorELNS0_4arch9wavefront6targetE0EEEvSD_
                                        ; -- End function
	.set _ZN7rocprim17ROCPRIM_400000_NS6detail17trampoline_kernelINS0_14default_configENS1_35radix_sort_onesweep_config_selectorImNS0_10empty_typeEEEZNS1_34radix_sort_onesweep_global_offsetsIS3_Lb0EPKmPS5_mNS0_19identity_decomposerEEE10hipError_tT1_T2_PT3_SF_jT4_jjP12ihipStream_tbEUlT_E_NS1_11comp_targetILNS1_3genE3ELNS1_11target_archE908ELNS1_3gpuE7ELNS1_3repE0EEENS1_52radix_sort_onesweep_histogram_config_static_selectorELNS0_4arch9wavefront6targetE0EEEvSD_.num_vgpr, 0
	.set _ZN7rocprim17ROCPRIM_400000_NS6detail17trampoline_kernelINS0_14default_configENS1_35radix_sort_onesweep_config_selectorImNS0_10empty_typeEEEZNS1_34radix_sort_onesweep_global_offsetsIS3_Lb0EPKmPS5_mNS0_19identity_decomposerEEE10hipError_tT1_T2_PT3_SF_jT4_jjP12ihipStream_tbEUlT_E_NS1_11comp_targetILNS1_3genE3ELNS1_11target_archE908ELNS1_3gpuE7ELNS1_3repE0EEENS1_52radix_sort_onesweep_histogram_config_static_selectorELNS0_4arch9wavefront6targetE0EEEvSD_.num_agpr, 0
	.set _ZN7rocprim17ROCPRIM_400000_NS6detail17trampoline_kernelINS0_14default_configENS1_35radix_sort_onesweep_config_selectorImNS0_10empty_typeEEEZNS1_34radix_sort_onesweep_global_offsetsIS3_Lb0EPKmPS5_mNS0_19identity_decomposerEEE10hipError_tT1_T2_PT3_SF_jT4_jjP12ihipStream_tbEUlT_E_NS1_11comp_targetILNS1_3genE3ELNS1_11target_archE908ELNS1_3gpuE7ELNS1_3repE0EEENS1_52radix_sort_onesweep_histogram_config_static_selectorELNS0_4arch9wavefront6targetE0EEEvSD_.numbered_sgpr, 0
	.set _ZN7rocprim17ROCPRIM_400000_NS6detail17trampoline_kernelINS0_14default_configENS1_35radix_sort_onesweep_config_selectorImNS0_10empty_typeEEEZNS1_34radix_sort_onesweep_global_offsetsIS3_Lb0EPKmPS5_mNS0_19identity_decomposerEEE10hipError_tT1_T2_PT3_SF_jT4_jjP12ihipStream_tbEUlT_E_NS1_11comp_targetILNS1_3genE3ELNS1_11target_archE908ELNS1_3gpuE7ELNS1_3repE0EEENS1_52radix_sort_onesweep_histogram_config_static_selectorELNS0_4arch9wavefront6targetE0EEEvSD_.num_named_barrier, 0
	.set _ZN7rocprim17ROCPRIM_400000_NS6detail17trampoline_kernelINS0_14default_configENS1_35radix_sort_onesweep_config_selectorImNS0_10empty_typeEEEZNS1_34radix_sort_onesweep_global_offsetsIS3_Lb0EPKmPS5_mNS0_19identity_decomposerEEE10hipError_tT1_T2_PT3_SF_jT4_jjP12ihipStream_tbEUlT_E_NS1_11comp_targetILNS1_3genE3ELNS1_11target_archE908ELNS1_3gpuE7ELNS1_3repE0EEENS1_52radix_sort_onesweep_histogram_config_static_selectorELNS0_4arch9wavefront6targetE0EEEvSD_.private_seg_size, 0
	.set _ZN7rocprim17ROCPRIM_400000_NS6detail17trampoline_kernelINS0_14default_configENS1_35radix_sort_onesweep_config_selectorImNS0_10empty_typeEEEZNS1_34radix_sort_onesweep_global_offsetsIS3_Lb0EPKmPS5_mNS0_19identity_decomposerEEE10hipError_tT1_T2_PT3_SF_jT4_jjP12ihipStream_tbEUlT_E_NS1_11comp_targetILNS1_3genE3ELNS1_11target_archE908ELNS1_3gpuE7ELNS1_3repE0EEENS1_52radix_sort_onesweep_histogram_config_static_selectorELNS0_4arch9wavefront6targetE0EEEvSD_.uses_vcc, 0
	.set _ZN7rocprim17ROCPRIM_400000_NS6detail17trampoline_kernelINS0_14default_configENS1_35radix_sort_onesweep_config_selectorImNS0_10empty_typeEEEZNS1_34radix_sort_onesweep_global_offsetsIS3_Lb0EPKmPS5_mNS0_19identity_decomposerEEE10hipError_tT1_T2_PT3_SF_jT4_jjP12ihipStream_tbEUlT_E_NS1_11comp_targetILNS1_3genE3ELNS1_11target_archE908ELNS1_3gpuE7ELNS1_3repE0EEENS1_52radix_sort_onesweep_histogram_config_static_selectorELNS0_4arch9wavefront6targetE0EEEvSD_.uses_flat_scratch, 0
	.set _ZN7rocprim17ROCPRIM_400000_NS6detail17trampoline_kernelINS0_14default_configENS1_35radix_sort_onesweep_config_selectorImNS0_10empty_typeEEEZNS1_34radix_sort_onesweep_global_offsetsIS3_Lb0EPKmPS5_mNS0_19identity_decomposerEEE10hipError_tT1_T2_PT3_SF_jT4_jjP12ihipStream_tbEUlT_E_NS1_11comp_targetILNS1_3genE3ELNS1_11target_archE908ELNS1_3gpuE7ELNS1_3repE0EEENS1_52radix_sort_onesweep_histogram_config_static_selectorELNS0_4arch9wavefront6targetE0EEEvSD_.has_dyn_sized_stack, 0
	.set _ZN7rocprim17ROCPRIM_400000_NS6detail17trampoline_kernelINS0_14default_configENS1_35radix_sort_onesweep_config_selectorImNS0_10empty_typeEEEZNS1_34radix_sort_onesweep_global_offsetsIS3_Lb0EPKmPS5_mNS0_19identity_decomposerEEE10hipError_tT1_T2_PT3_SF_jT4_jjP12ihipStream_tbEUlT_E_NS1_11comp_targetILNS1_3genE3ELNS1_11target_archE908ELNS1_3gpuE7ELNS1_3repE0EEENS1_52radix_sort_onesweep_histogram_config_static_selectorELNS0_4arch9wavefront6targetE0EEEvSD_.has_recursion, 0
	.set _ZN7rocprim17ROCPRIM_400000_NS6detail17trampoline_kernelINS0_14default_configENS1_35radix_sort_onesweep_config_selectorImNS0_10empty_typeEEEZNS1_34radix_sort_onesweep_global_offsetsIS3_Lb0EPKmPS5_mNS0_19identity_decomposerEEE10hipError_tT1_T2_PT3_SF_jT4_jjP12ihipStream_tbEUlT_E_NS1_11comp_targetILNS1_3genE3ELNS1_11target_archE908ELNS1_3gpuE7ELNS1_3repE0EEENS1_52radix_sort_onesweep_histogram_config_static_selectorELNS0_4arch9wavefront6targetE0EEEvSD_.has_indirect_call, 0
	.section	.AMDGPU.csdata,"",@progbits
; Kernel info:
; codeLenInByte = 0
; TotalNumSgprs: 0
; NumVgprs: 0
; ScratchSize: 0
; MemoryBound: 0
; FloatMode: 240
; IeeeMode: 1
; LDSByteSize: 0 bytes/workgroup (compile time only)
; SGPRBlocks: 0
; VGPRBlocks: 0
; NumSGPRsForWavesPerEU: 1
; NumVGPRsForWavesPerEU: 1
; NamedBarCnt: 0
; Occupancy: 16
; WaveLimiterHint : 0
; COMPUTE_PGM_RSRC2:SCRATCH_EN: 0
; COMPUTE_PGM_RSRC2:USER_SGPR: 2
; COMPUTE_PGM_RSRC2:TRAP_HANDLER: 0
; COMPUTE_PGM_RSRC2:TGID_X_EN: 1
; COMPUTE_PGM_RSRC2:TGID_Y_EN: 0
; COMPUTE_PGM_RSRC2:TGID_Z_EN: 0
; COMPUTE_PGM_RSRC2:TIDIG_COMP_CNT: 0
	.section	.text._ZN7rocprim17ROCPRIM_400000_NS6detail17trampoline_kernelINS0_14default_configENS1_35radix_sort_onesweep_config_selectorImNS0_10empty_typeEEEZNS1_34radix_sort_onesweep_global_offsetsIS3_Lb0EPKmPS5_mNS0_19identity_decomposerEEE10hipError_tT1_T2_PT3_SF_jT4_jjP12ihipStream_tbEUlT_E_NS1_11comp_targetILNS1_3genE10ELNS1_11target_archE1201ELNS1_3gpuE5ELNS1_3repE0EEENS1_52radix_sort_onesweep_histogram_config_static_selectorELNS0_4arch9wavefront6targetE0EEEvSD_,"axG",@progbits,_ZN7rocprim17ROCPRIM_400000_NS6detail17trampoline_kernelINS0_14default_configENS1_35radix_sort_onesweep_config_selectorImNS0_10empty_typeEEEZNS1_34radix_sort_onesweep_global_offsetsIS3_Lb0EPKmPS5_mNS0_19identity_decomposerEEE10hipError_tT1_T2_PT3_SF_jT4_jjP12ihipStream_tbEUlT_E_NS1_11comp_targetILNS1_3genE10ELNS1_11target_archE1201ELNS1_3gpuE5ELNS1_3repE0EEENS1_52radix_sort_onesweep_histogram_config_static_selectorELNS0_4arch9wavefront6targetE0EEEvSD_,comdat
	.protected	_ZN7rocprim17ROCPRIM_400000_NS6detail17trampoline_kernelINS0_14default_configENS1_35radix_sort_onesweep_config_selectorImNS0_10empty_typeEEEZNS1_34radix_sort_onesweep_global_offsetsIS3_Lb0EPKmPS5_mNS0_19identity_decomposerEEE10hipError_tT1_T2_PT3_SF_jT4_jjP12ihipStream_tbEUlT_E_NS1_11comp_targetILNS1_3genE10ELNS1_11target_archE1201ELNS1_3gpuE5ELNS1_3repE0EEENS1_52radix_sort_onesweep_histogram_config_static_selectorELNS0_4arch9wavefront6targetE0EEEvSD_ ; -- Begin function _ZN7rocprim17ROCPRIM_400000_NS6detail17trampoline_kernelINS0_14default_configENS1_35radix_sort_onesweep_config_selectorImNS0_10empty_typeEEEZNS1_34radix_sort_onesweep_global_offsetsIS3_Lb0EPKmPS5_mNS0_19identity_decomposerEEE10hipError_tT1_T2_PT3_SF_jT4_jjP12ihipStream_tbEUlT_E_NS1_11comp_targetILNS1_3genE10ELNS1_11target_archE1201ELNS1_3gpuE5ELNS1_3repE0EEENS1_52radix_sort_onesweep_histogram_config_static_selectorELNS0_4arch9wavefront6targetE0EEEvSD_
	.globl	_ZN7rocprim17ROCPRIM_400000_NS6detail17trampoline_kernelINS0_14default_configENS1_35radix_sort_onesweep_config_selectorImNS0_10empty_typeEEEZNS1_34radix_sort_onesweep_global_offsetsIS3_Lb0EPKmPS5_mNS0_19identity_decomposerEEE10hipError_tT1_T2_PT3_SF_jT4_jjP12ihipStream_tbEUlT_E_NS1_11comp_targetILNS1_3genE10ELNS1_11target_archE1201ELNS1_3gpuE5ELNS1_3repE0EEENS1_52radix_sort_onesweep_histogram_config_static_selectorELNS0_4arch9wavefront6targetE0EEEvSD_
	.p2align	8
	.type	_ZN7rocprim17ROCPRIM_400000_NS6detail17trampoline_kernelINS0_14default_configENS1_35radix_sort_onesweep_config_selectorImNS0_10empty_typeEEEZNS1_34radix_sort_onesweep_global_offsetsIS3_Lb0EPKmPS5_mNS0_19identity_decomposerEEE10hipError_tT1_T2_PT3_SF_jT4_jjP12ihipStream_tbEUlT_E_NS1_11comp_targetILNS1_3genE10ELNS1_11target_archE1201ELNS1_3gpuE5ELNS1_3repE0EEENS1_52radix_sort_onesweep_histogram_config_static_selectorELNS0_4arch9wavefront6targetE0EEEvSD_,@function
_ZN7rocprim17ROCPRIM_400000_NS6detail17trampoline_kernelINS0_14default_configENS1_35radix_sort_onesweep_config_selectorImNS0_10empty_typeEEEZNS1_34radix_sort_onesweep_global_offsetsIS3_Lb0EPKmPS5_mNS0_19identity_decomposerEEE10hipError_tT1_T2_PT3_SF_jT4_jjP12ihipStream_tbEUlT_E_NS1_11comp_targetILNS1_3genE10ELNS1_11target_archE1201ELNS1_3gpuE5ELNS1_3repE0EEENS1_52radix_sort_onesweep_histogram_config_static_selectorELNS0_4arch9wavefront6targetE0EEEvSD_: ; @_ZN7rocprim17ROCPRIM_400000_NS6detail17trampoline_kernelINS0_14default_configENS1_35radix_sort_onesweep_config_selectorImNS0_10empty_typeEEEZNS1_34radix_sort_onesweep_global_offsetsIS3_Lb0EPKmPS5_mNS0_19identity_decomposerEEE10hipError_tT1_T2_PT3_SF_jT4_jjP12ihipStream_tbEUlT_E_NS1_11comp_targetILNS1_3genE10ELNS1_11target_archE1201ELNS1_3gpuE5ELNS1_3repE0EEENS1_52radix_sort_onesweep_histogram_config_static_selectorELNS0_4arch9wavefront6targetE0EEEvSD_
; %bb.0:
	.section	.rodata,"a",@progbits
	.p2align	6, 0x0
	.amdhsa_kernel _ZN7rocprim17ROCPRIM_400000_NS6detail17trampoline_kernelINS0_14default_configENS1_35radix_sort_onesweep_config_selectorImNS0_10empty_typeEEEZNS1_34radix_sort_onesweep_global_offsetsIS3_Lb0EPKmPS5_mNS0_19identity_decomposerEEE10hipError_tT1_T2_PT3_SF_jT4_jjP12ihipStream_tbEUlT_E_NS1_11comp_targetILNS1_3genE10ELNS1_11target_archE1201ELNS1_3gpuE5ELNS1_3repE0EEENS1_52radix_sort_onesweep_histogram_config_static_selectorELNS0_4arch9wavefront6targetE0EEEvSD_
		.amdhsa_group_segment_fixed_size 0
		.amdhsa_private_segment_fixed_size 0
		.amdhsa_kernarg_size 48
		.amdhsa_user_sgpr_count 2
		.amdhsa_user_sgpr_dispatch_ptr 0
		.amdhsa_user_sgpr_queue_ptr 0
		.amdhsa_user_sgpr_kernarg_segment_ptr 1
		.amdhsa_user_sgpr_dispatch_id 0
		.amdhsa_user_sgpr_kernarg_preload_length 0
		.amdhsa_user_sgpr_kernarg_preload_offset 0
		.amdhsa_user_sgpr_private_segment_size 0
		.amdhsa_wavefront_size32 1
		.amdhsa_uses_dynamic_stack 0
		.amdhsa_enable_private_segment 0
		.amdhsa_system_sgpr_workgroup_id_x 1
		.amdhsa_system_sgpr_workgroup_id_y 0
		.amdhsa_system_sgpr_workgroup_id_z 0
		.amdhsa_system_sgpr_workgroup_info 0
		.amdhsa_system_vgpr_workitem_id 0
		.amdhsa_next_free_vgpr 1
		.amdhsa_next_free_sgpr 1
		.amdhsa_named_barrier_count 0
		.amdhsa_reserve_vcc 0
		.amdhsa_float_round_mode_32 0
		.amdhsa_float_round_mode_16_64 0
		.amdhsa_float_denorm_mode_32 3
		.amdhsa_float_denorm_mode_16_64 3
		.amdhsa_fp16_overflow 0
		.amdhsa_memory_ordered 1
		.amdhsa_forward_progress 1
		.amdhsa_inst_pref_size 0
		.amdhsa_round_robin_scheduling 0
		.amdhsa_exception_fp_ieee_invalid_op 0
		.amdhsa_exception_fp_denorm_src 0
		.amdhsa_exception_fp_ieee_div_zero 0
		.amdhsa_exception_fp_ieee_overflow 0
		.amdhsa_exception_fp_ieee_underflow 0
		.amdhsa_exception_fp_ieee_inexact 0
		.amdhsa_exception_int_div_zero 0
	.end_amdhsa_kernel
	.section	.text._ZN7rocprim17ROCPRIM_400000_NS6detail17trampoline_kernelINS0_14default_configENS1_35radix_sort_onesweep_config_selectorImNS0_10empty_typeEEEZNS1_34radix_sort_onesweep_global_offsetsIS3_Lb0EPKmPS5_mNS0_19identity_decomposerEEE10hipError_tT1_T2_PT3_SF_jT4_jjP12ihipStream_tbEUlT_E_NS1_11comp_targetILNS1_3genE10ELNS1_11target_archE1201ELNS1_3gpuE5ELNS1_3repE0EEENS1_52radix_sort_onesweep_histogram_config_static_selectorELNS0_4arch9wavefront6targetE0EEEvSD_,"axG",@progbits,_ZN7rocprim17ROCPRIM_400000_NS6detail17trampoline_kernelINS0_14default_configENS1_35radix_sort_onesweep_config_selectorImNS0_10empty_typeEEEZNS1_34radix_sort_onesweep_global_offsetsIS3_Lb0EPKmPS5_mNS0_19identity_decomposerEEE10hipError_tT1_T2_PT3_SF_jT4_jjP12ihipStream_tbEUlT_E_NS1_11comp_targetILNS1_3genE10ELNS1_11target_archE1201ELNS1_3gpuE5ELNS1_3repE0EEENS1_52radix_sort_onesweep_histogram_config_static_selectorELNS0_4arch9wavefront6targetE0EEEvSD_,comdat
.Lfunc_end2979:
	.size	_ZN7rocprim17ROCPRIM_400000_NS6detail17trampoline_kernelINS0_14default_configENS1_35radix_sort_onesweep_config_selectorImNS0_10empty_typeEEEZNS1_34radix_sort_onesweep_global_offsetsIS3_Lb0EPKmPS5_mNS0_19identity_decomposerEEE10hipError_tT1_T2_PT3_SF_jT4_jjP12ihipStream_tbEUlT_E_NS1_11comp_targetILNS1_3genE10ELNS1_11target_archE1201ELNS1_3gpuE5ELNS1_3repE0EEENS1_52radix_sort_onesweep_histogram_config_static_selectorELNS0_4arch9wavefront6targetE0EEEvSD_, .Lfunc_end2979-_ZN7rocprim17ROCPRIM_400000_NS6detail17trampoline_kernelINS0_14default_configENS1_35radix_sort_onesweep_config_selectorImNS0_10empty_typeEEEZNS1_34radix_sort_onesweep_global_offsetsIS3_Lb0EPKmPS5_mNS0_19identity_decomposerEEE10hipError_tT1_T2_PT3_SF_jT4_jjP12ihipStream_tbEUlT_E_NS1_11comp_targetILNS1_3genE10ELNS1_11target_archE1201ELNS1_3gpuE5ELNS1_3repE0EEENS1_52radix_sort_onesweep_histogram_config_static_selectorELNS0_4arch9wavefront6targetE0EEEvSD_
                                        ; -- End function
	.set _ZN7rocprim17ROCPRIM_400000_NS6detail17trampoline_kernelINS0_14default_configENS1_35radix_sort_onesweep_config_selectorImNS0_10empty_typeEEEZNS1_34radix_sort_onesweep_global_offsetsIS3_Lb0EPKmPS5_mNS0_19identity_decomposerEEE10hipError_tT1_T2_PT3_SF_jT4_jjP12ihipStream_tbEUlT_E_NS1_11comp_targetILNS1_3genE10ELNS1_11target_archE1201ELNS1_3gpuE5ELNS1_3repE0EEENS1_52radix_sort_onesweep_histogram_config_static_selectorELNS0_4arch9wavefront6targetE0EEEvSD_.num_vgpr, 0
	.set _ZN7rocprim17ROCPRIM_400000_NS6detail17trampoline_kernelINS0_14default_configENS1_35radix_sort_onesweep_config_selectorImNS0_10empty_typeEEEZNS1_34radix_sort_onesweep_global_offsetsIS3_Lb0EPKmPS5_mNS0_19identity_decomposerEEE10hipError_tT1_T2_PT3_SF_jT4_jjP12ihipStream_tbEUlT_E_NS1_11comp_targetILNS1_3genE10ELNS1_11target_archE1201ELNS1_3gpuE5ELNS1_3repE0EEENS1_52radix_sort_onesweep_histogram_config_static_selectorELNS0_4arch9wavefront6targetE0EEEvSD_.num_agpr, 0
	.set _ZN7rocprim17ROCPRIM_400000_NS6detail17trampoline_kernelINS0_14default_configENS1_35radix_sort_onesweep_config_selectorImNS0_10empty_typeEEEZNS1_34radix_sort_onesweep_global_offsetsIS3_Lb0EPKmPS5_mNS0_19identity_decomposerEEE10hipError_tT1_T2_PT3_SF_jT4_jjP12ihipStream_tbEUlT_E_NS1_11comp_targetILNS1_3genE10ELNS1_11target_archE1201ELNS1_3gpuE5ELNS1_3repE0EEENS1_52radix_sort_onesweep_histogram_config_static_selectorELNS0_4arch9wavefront6targetE0EEEvSD_.numbered_sgpr, 0
	.set _ZN7rocprim17ROCPRIM_400000_NS6detail17trampoline_kernelINS0_14default_configENS1_35radix_sort_onesweep_config_selectorImNS0_10empty_typeEEEZNS1_34radix_sort_onesweep_global_offsetsIS3_Lb0EPKmPS5_mNS0_19identity_decomposerEEE10hipError_tT1_T2_PT3_SF_jT4_jjP12ihipStream_tbEUlT_E_NS1_11comp_targetILNS1_3genE10ELNS1_11target_archE1201ELNS1_3gpuE5ELNS1_3repE0EEENS1_52radix_sort_onesweep_histogram_config_static_selectorELNS0_4arch9wavefront6targetE0EEEvSD_.num_named_barrier, 0
	.set _ZN7rocprim17ROCPRIM_400000_NS6detail17trampoline_kernelINS0_14default_configENS1_35radix_sort_onesweep_config_selectorImNS0_10empty_typeEEEZNS1_34radix_sort_onesweep_global_offsetsIS3_Lb0EPKmPS5_mNS0_19identity_decomposerEEE10hipError_tT1_T2_PT3_SF_jT4_jjP12ihipStream_tbEUlT_E_NS1_11comp_targetILNS1_3genE10ELNS1_11target_archE1201ELNS1_3gpuE5ELNS1_3repE0EEENS1_52radix_sort_onesweep_histogram_config_static_selectorELNS0_4arch9wavefront6targetE0EEEvSD_.private_seg_size, 0
	.set _ZN7rocprim17ROCPRIM_400000_NS6detail17trampoline_kernelINS0_14default_configENS1_35radix_sort_onesweep_config_selectorImNS0_10empty_typeEEEZNS1_34radix_sort_onesweep_global_offsetsIS3_Lb0EPKmPS5_mNS0_19identity_decomposerEEE10hipError_tT1_T2_PT3_SF_jT4_jjP12ihipStream_tbEUlT_E_NS1_11comp_targetILNS1_3genE10ELNS1_11target_archE1201ELNS1_3gpuE5ELNS1_3repE0EEENS1_52radix_sort_onesweep_histogram_config_static_selectorELNS0_4arch9wavefront6targetE0EEEvSD_.uses_vcc, 0
	.set _ZN7rocprim17ROCPRIM_400000_NS6detail17trampoline_kernelINS0_14default_configENS1_35radix_sort_onesweep_config_selectorImNS0_10empty_typeEEEZNS1_34radix_sort_onesweep_global_offsetsIS3_Lb0EPKmPS5_mNS0_19identity_decomposerEEE10hipError_tT1_T2_PT3_SF_jT4_jjP12ihipStream_tbEUlT_E_NS1_11comp_targetILNS1_3genE10ELNS1_11target_archE1201ELNS1_3gpuE5ELNS1_3repE0EEENS1_52radix_sort_onesweep_histogram_config_static_selectorELNS0_4arch9wavefront6targetE0EEEvSD_.uses_flat_scratch, 0
	.set _ZN7rocprim17ROCPRIM_400000_NS6detail17trampoline_kernelINS0_14default_configENS1_35radix_sort_onesweep_config_selectorImNS0_10empty_typeEEEZNS1_34radix_sort_onesweep_global_offsetsIS3_Lb0EPKmPS5_mNS0_19identity_decomposerEEE10hipError_tT1_T2_PT3_SF_jT4_jjP12ihipStream_tbEUlT_E_NS1_11comp_targetILNS1_3genE10ELNS1_11target_archE1201ELNS1_3gpuE5ELNS1_3repE0EEENS1_52radix_sort_onesweep_histogram_config_static_selectorELNS0_4arch9wavefront6targetE0EEEvSD_.has_dyn_sized_stack, 0
	.set _ZN7rocprim17ROCPRIM_400000_NS6detail17trampoline_kernelINS0_14default_configENS1_35radix_sort_onesweep_config_selectorImNS0_10empty_typeEEEZNS1_34radix_sort_onesweep_global_offsetsIS3_Lb0EPKmPS5_mNS0_19identity_decomposerEEE10hipError_tT1_T2_PT3_SF_jT4_jjP12ihipStream_tbEUlT_E_NS1_11comp_targetILNS1_3genE10ELNS1_11target_archE1201ELNS1_3gpuE5ELNS1_3repE0EEENS1_52radix_sort_onesweep_histogram_config_static_selectorELNS0_4arch9wavefront6targetE0EEEvSD_.has_recursion, 0
	.set _ZN7rocprim17ROCPRIM_400000_NS6detail17trampoline_kernelINS0_14default_configENS1_35radix_sort_onesweep_config_selectorImNS0_10empty_typeEEEZNS1_34radix_sort_onesweep_global_offsetsIS3_Lb0EPKmPS5_mNS0_19identity_decomposerEEE10hipError_tT1_T2_PT3_SF_jT4_jjP12ihipStream_tbEUlT_E_NS1_11comp_targetILNS1_3genE10ELNS1_11target_archE1201ELNS1_3gpuE5ELNS1_3repE0EEENS1_52radix_sort_onesweep_histogram_config_static_selectorELNS0_4arch9wavefront6targetE0EEEvSD_.has_indirect_call, 0
	.section	.AMDGPU.csdata,"",@progbits
; Kernel info:
; codeLenInByte = 0
; TotalNumSgprs: 0
; NumVgprs: 0
; ScratchSize: 0
; MemoryBound: 0
; FloatMode: 240
; IeeeMode: 1
; LDSByteSize: 0 bytes/workgroup (compile time only)
; SGPRBlocks: 0
; VGPRBlocks: 0
; NumSGPRsForWavesPerEU: 1
; NumVGPRsForWavesPerEU: 1
; NamedBarCnt: 0
; Occupancy: 16
; WaveLimiterHint : 0
; COMPUTE_PGM_RSRC2:SCRATCH_EN: 0
; COMPUTE_PGM_RSRC2:USER_SGPR: 2
; COMPUTE_PGM_RSRC2:TRAP_HANDLER: 0
; COMPUTE_PGM_RSRC2:TGID_X_EN: 1
; COMPUTE_PGM_RSRC2:TGID_Y_EN: 0
; COMPUTE_PGM_RSRC2:TGID_Z_EN: 0
; COMPUTE_PGM_RSRC2:TIDIG_COMP_CNT: 0
	.section	.text._ZN7rocprim17ROCPRIM_400000_NS6detail17trampoline_kernelINS0_14default_configENS1_35radix_sort_onesweep_config_selectorImNS0_10empty_typeEEEZNS1_34radix_sort_onesweep_global_offsetsIS3_Lb0EPKmPS5_mNS0_19identity_decomposerEEE10hipError_tT1_T2_PT3_SF_jT4_jjP12ihipStream_tbEUlT_E_NS1_11comp_targetILNS1_3genE9ELNS1_11target_archE1100ELNS1_3gpuE3ELNS1_3repE0EEENS1_52radix_sort_onesweep_histogram_config_static_selectorELNS0_4arch9wavefront6targetE0EEEvSD_,"axG",@progbits,_ZN7rocprim17ROCPRIM_400000_NS6detail17trampoline_kernelINS0_14default_configENS1_35radix_sort_onesweep_config_selectorImNS0_10empty_typeEEEZNS1_34radix_sort_onesweep_global_offsetsIS3_Lb0EPKmPS5_mNS0_19identity_decomposerEEE10hipError_tT1_T2_PT3_SF_jT4_jjP12ihipStream_tbEUlT_E_NS1_11comp_targetILNS1_3genE9ELNS1_11target_archE1100ELNS1_3gpuE3ELNS1_3repE0EEENS1_52radix_sort_onesweep_histogram_config_static_selectorELNS0_4arch9wavefront6targetE0EEEvSD_,comdat
	.protected	_ZN7rocprim17ROCPRIM_400000_NS6detail17trampoline_kernelINS0_14default_configENS1_35radix_sort_onesweep_config_selectorImNS0_10empty_typeEEEZNS1_34radix_sort_onesweep_global_offsetsIS3_Lb0EPKmPS5_mNS0_19identity_decomposerEEE10hipError_tT1_T2_PT3_SF_jT4_jjP12ihipStream_tbEUlT_E_NS1_11comp_targetILNS1_3genE9ELNS1_11target_archE1100ELNS1_3gpuE3ELNS1_3repE0EEENS1_52radix_sort_onesweep_histogram_config_static_selectorELNS0_4arch9wavefront6targetE0EEEvSD_ ; -- Begin function _ZN7rocprim17ROCPRIM_400000_NS6detail17trampoline_kernelINS0_14default_configENS1_35radix_sort_onesweep_config_selectorImNS0_10empty_typeEEEZNS1_34radix_sort_onesweep_global_offsetsIS3_Lb0EPKmPS5_mNS0_19identity_decomposerEEE10hipError_tT1_T2_PT3_SF_jT4_jjP12ihipStream_tbEUlT_E_NS1_11comp_targetILNS1_3genE9ELNS1_11target_archE1100ELNS1_3gpuE3ELNS1_3repE0EEENS1_52radix_sort_onesweep_histogram_config_static_selectorELNS0_4arch9wavefront6targetE0EEEvSD_
	.globl	_ZN7rocprim17ROCPRIM_400000_NS6detail17trampoline_kernelINS0_14default_configENS1_35radix_sort_onesweep_config_selectorImNS0_10empty_typeEEEZNS1_34radix_sort_onesweep_global_offsetsIS3_Lb0EPKmPS5_mNS0_19identity_decomposerEEE10hipError_tT1_T2_PT3_SF_jT4_jjP12ihipStream_tbEUlT_E_NS1_11comp_targetILNS1_3genE9ELNS1_11target_archE1100ELNS1_3gpuE3ELNS1_3repE0EEENS1_52radix_sort_onesweep_histogram_config_static_selectorELNS0_4arch9wavefront6targetE0EEEvSD_
	.p2align	8
	.type	_ZN7rocprim17ROCPRIM_400000_NS6detail17trampoline_kernelINS0_14default_configENS1_35radix_sort_onesweep_config_selectorImNS0_10empty_typeEEEZNS1_34radix_sort_onesweep_global_offsetsIS3_Lb0EPKmPS5_mNS0_19identity_decomposerEEE10hipError_tT1_T2_PT3_SF_jT4_jjP12ihipStream_tbEUlT_E_NS1_11comp_targetILNS1_3genE9ELNS1_11target_archE1100ELNS1_3gpuE3ELNS1_3repE0EEENS1_52radix_sort_onesweep_histogram_config_static_selectorELNS0_4arch9wavefront6targetE0EEEvSD_,@function
_ZN7rocprim17ROCPRIM_400000_NS6detail17trampoline_kernelINS0_14default_configENS1_35radix_sort_onesweep_config_selectorImNS0_10empty_typeEEEZNS1_34radix_sort_onesweep_global_offsetsIS3_Lb0EPKmPS5_mNS0_19identity_decomposerEEE10hipError_tT1_T2_PT3_SF_jT4_jjP12ihipStream_tbEUlT_E_NS1_11comp_targetILNS1_3genE9ELNS1_11target_archE1100ELNS1_3gpuE3ELNS1_3repE0EEENS1_52radix_sort_onesweep_histogram_config_static_selectorELNS0_4arch9wavefront6targetE0EEEvSD_: ; @_ZN7rocprim17ROCPRIM_400000_NS6detail17trampoline_kernelINS0_14default_configENS1_35radix_sort_onesweep_config_selectorImNS0_10empty_typeEEEZNS1_34radix_sort_onesweep_global_offsetsIS3_Lb0EPKmPS5_mNS0_19identity_decomposerEEE10hipError_tT1_T2_PT3_SF_jT4_jjP12ihipStream_tbEUlT_E_NS1_11comp_targetILNS1_3genE9ELNS1_11target_archE1100ELNS1_3gpuE3ELNS1_3repE0EEENS1_52radix_sort_onesweep_histogram_config_static_selectorELNS0_4arch9wavefront6targetE0EEEvSD_
; %bb.0:
	.section	.rodata,"a",@progbits
	.p2align	6, 0x0
	.amdhsa_kernel _ZN7rocprim17ROCPRIM_400000_NS6detail17trampoline_kernelINS0_14default_configENS1_35radix_sort_onesweep_config_selectorImNS0_10empty_typeEEEZNS1_34radix_sort_onesweep_global_offsetsIS3_Lb0EPKmPS5_mNS0_19identity_decomposerEEE10hipError_tT1_T2_PT3_SF_jT4_jjP12ihipStream_tbEUlT_E_NS1_11comp_targetILNS1_3genE9ELNS1_11target_archE1100ELNS1_3gpuE3ELNS1_3repE0EEENS1_52radix_sort_onesweep_histogram_config_static_selectorELNS0_4arch9wavefront6targetE0EEEvSD_
		.amdhsa_group_segment_fixed_size 0
		.amdhsa_private_segment_fixed_size 0
		.amdhsa_kernarg_size 48
		.amdhsa_user_sgpr_count 2
		.amdhsa_user_sgpr_dispatch_ptr 0
		.amdhsa_user_sgpr_queue_ptr 0
		.amdhsa_user_sgpr_kernarg_segment_ptr 1
		.amdhsa_user_sgpr_dispatch_id 0
		.amdhsa_user_sgpr_kernarg_preload_length 0
		.amdhsa_user_sgpr_kernarg_preload_offset 0
		.amdhsa_user_sgpr_private_segment_size 0
		.amdhsa_wavefront_size32 1
		.amdhsa_uses_dynamic_stack 0
		.amdhsa_enable_private_segment 0
		.amdhsa_system_sgpr_workgroup_id_x 1
		.amdhsa_system_sgpr_workgroup_id_y 0
		.amdhsa_system_sgpr_workgroup_id_z 0
		.amdhsa_system_sgpr_workgroup_info 0
		.amdhsa_system_vgpr_workitem_id 0
		.amdhsa_next_free_vgpr 1
		.amdhsa_next_free_sgpr 1
		.amdhsa_named_barrier_count 0
		.amdhsa_reserve_vcc 0
		.amdhsa_float_round_mode_32 0
		.amdhsa_float_round_mode_16_64 0
		.amdhsa_float_denorm_mode_32 3
		.amdhsa_float_denorm_mode_16_64 3
		.amdhsa_fp16_overflow 0
		.amdhsa_memory_ordered 1
		.amdhsa_forward_progress 1
		.amdhsa_inst_pref_size 0
		.amdhsa_round_robin_scheduling 0
		.amdhsa_exception_fp_ieee_invalid_op 0
		.amdhsa_exception_fp_denorm_src 0
		.amdhsa_exception_fp_ieee_div_zero 0
		.amdhsa_exception_fp_ieee_overflow 0
		.amdhsa_exception_fp_ieee_underflow 0
		.amdhsa_exception_fp_ieee_inexact 0
		.amdhsa_exception_int_div_zero 0
	.end_amdhsa_kernel
	.section	.text._ZN7rocprim17ROCPRIM_400000_NS6detail17trampoline_kernelINS0_14default_configENS1_35radix_sort_onesweep_config_selectorImNS0_10empty_typeEEEZNS1_34radix_sort_onesweep_global_offsetsIS3_Lb0EPKmPS5_mNS0_19identity_decomposerEEE10hipError_tT1_T2_PT3_SF_jT4_jjP12ihipStream_tbEUlT_E_NS1_11comp_targetILNS1_3genE9ELNS1_11target_archE1100ELNS1_3gpuE3ELNS1_3repE0EEENS1_52radix_sort_onesweep_histogram_config_static_selectorELNS0_4arch9wavefront6targetE0EEEvSD_,"axG",@progbits,_ZN7rocprim17ROCPRIM_400000_NS6detail17trampoline_kernelINS0_14default_configENS1_35radix_sort_onesweep_config_selectorImNS0_10empty_typeEEEZNS1_34radix_sort_onesweep_global_offsetsIS3_Lb0EPKmPS5_mNS0_19identity_decomposerEEE10hipError_tT1_T2_PT3_SF_jT4_jjP12ihipStream_tbEUlT_E_NS1_11comp_targetILNS1_3genE9ELNS1_11target_archE1100ELNS1_3gpuE3ELNS1_3repE0EEENS1_52radix_sort_onesweep_histogram_config_static_selectorELNS0_4arch9wavefront6targetE0EEEvSD_,comdat
.Lfunc_end2980:
	.size	_ZN7rocprim17ROCPRIM_400000_NS6detail17trampoline_kernelINS0_14default_configENS1_35radix_sort_onesweep_config_selectorImNS0_10empty_typeEEEZNS1_34radix_sort_onesweep_global_offsetsIS3_Lb0EPKmPS5_mNS0_19identity_decomposerEEE10hipError_tT1_T2_PT3_SF_jT4_jjP12ihipStream_tbEUlT_E_NS1_11comp_targetILNS1_3genE9ELNS1_11target_archE1100ELNS1_3gpuE3ELNS1_3repE0EEENS1_52radix_sort_onesweep_histogram_config_static_selectorELNS0_4arch9wavefront6targetE0EEEvSD_, .Lfunc_end2980-_ZN7rocprim17ROCPRIM_400000_NS6detail17trampoline_kernelINS0_14default_configENS1_35radix_sort_onesweep_config_selectorImNS0_10empty_typeEEEZNS1_34radix_sort_onesweep_global_offsetsIS3_Lb0EPKmPS5_mNS0_19identity_decomposerEEE10hipError_tT1_T2_PT3_SF_jT4_jjP12ihipStream_tbEUlT_E_NS1_11comp_targetILNS1_3genE9ELNS1_11target_archE1100ELNS1_3gpuE3ELNS1_3repE0EEENS1_52radix_sort_onesweep_histogram_config_static_selectorELNS0_4arch9wavefront6targetE0EEEvSD_
                                        ; -- End function
	.set _ZN7rocprim17ROCPRIM_400000_NS6detail17trampoline_kernelINS0_14default_configENS1_35radix_sort_onesweep_config_selectorImNS0_10empty_typeEEEZNS1_34radix_sort_onesweep_global_offsetsIS3_Lb0EPKmPS5_mNS0_19identity_decomposerEEE10hipError_tT1_T2_PT3_SF_jT4_jjP12ihipStream_tbEUlT_E_NS1_11comp_targetILNS1_3genE9ELNS1_11target_archE1100ELNS1_3gpuE3ELNS1_3repE0EEENS1_52radix_sort_onesweep_histogram_config_static_selectorELNS0_4arch9wavefront6targetE0EEEvSD_.num_vgpr, 0
	.set _ZN7rocprim17ROCPRIM_400000_NS6detail17trampoline_kernelINS0_14default_configENS1_35radix_sort_onesweep_config_selectorImNS0_10empty_typeEEEZNS1_34radix_sort_onesweep_global_offsetsIS3_Lb0EPKmPS5_mNS0_19identity_decomposerEEE10hipError_tT1_T2_PT3_SF_jT4_jjP12ihipStream_tbEUlT_E_NS1_11comp_targetILNS1_3genE9ELNS1_11target_archE1100ELNS1_3gpuE3ELNS1_3repE0EEENS1_52radix_sort_onesweep_histogram_config_static_selectorELNS0_4arch9wavefront6targetE0EEEvSD_.num_agpr, 0
	.set _ZN7rocprim17ROCPRIM_400000_NS6detail17trampoline_kernelINS0_14default_configENS1_35radix_sort_onesweep_config_selectorImNS0_10empty_typeEEEZNS1_34radix_sort_onesweep_global_offsetsIS3_Lb0EPKmPS5_mNS0_19identity_decomposerEEE10hipError_tT1_T2_PT3_SF_jT4_jjP12ihipStream_tbEUlT_E_NS1_11comp_targetILNS1_3genE9ELNS1_11target_archE1100ELNS1_3gpuE3ELNS1_3repE0EEENS1_52radix_sort_onesweep_histogram_config_static_selectorELNS0_4arch9wavefront6targetE0EEEvSD_.numbered_sgpr, 0
	.set _ZN7rocprim17ROCPRIM_400000_NS6detail17trampoline_kernelINS0_14default_configENS1_35radix_sort_onesweep_config_selectorImNS0_10empty_typeEEEZNS1_34radix_sort_onesweep_global_offsetsIS3_Lb0EPKmPS5_mNS0_19identity_decomposerEEE10hipError_tT1_T2_PT3_SF_jT4_jjP12ihipStream_tbEUlT_E_NS1_11comp_targetILNS1_3genE9ELNS1_11target_archE1100ELNS1_3gpuE3ELNS1_3repE0EEENS1_52radix_sort_onesweep_histogram_config_static_selectorELNS0_4arch9wavefront6targetE0EEEvSD_.num_named_barrier, 0
	.set _ZN7rocprim17ROCPRIM_400000_NS6detail17trampoline_kernelINS0_14default_configENS1_35radix_sort_onesweep_config_selectorImNS0_10empty_typeEEEZNS1_34radix_sort_onesweep_global_offsetsIS3_Lb0EPKmPS5_mNS0_19identity_decomposerEEE10hipError_tT1_T2_PT3_SF_jT4_jjP12ihipStream_tbEUlT_E_NS1_11comp_targetILNS1_3genE9ELNS1_11target_archE1100ELNS1_3gpuE3ELNS1_3repE0EEENS1_52radix_sort_onesweep_histogram_config_static_selectorELNS0_4arch9wavefront6targetE0EEEvSD_.private_seg_size, 0
	.set _ZN7rocprim17ROCPRIM_400000_NS6detail17trampoline_kernelINS0_14default_configENS1_35radix_sort_onesweep_config_selectorImNS0_10empty_typeEEEZNS1_34radix_sort_onesweep_global_offsetsIS3_Lb0EPKmPS5_mNS0_19identity_decomposerEEE10hipError_tT1_T2_PT3_SF_jT4_jjP12ihipStream_tbEUlT_E_NS1_11comp_targetILNS1_3genE9ELNS1_11target_archE1100ELNS1_3gpuE3ELNS1_3repE0EEENS1_52radix_sort_onesweep_histogram_config_static_selectorELNS0_4arch9wavefront6targetE0EEEvSD_.uses_vcc, 0
	.set _ZN7rocprim17ROCPRIM_400000_NS6detail17trampoline_kernelINS0_14default_configENS1_35radix_sort_onesweep_config_selectorImNS0_10empty_typeEEEZNS1_34radix_sort_onesweep_global_offsetsIS3_Lb0EPKmPS5_mNS0_19identity_decomposerEEE10hipError_tT1_T2_PT3_SF_jT4_jjP12ihipStream_tbEUlT_E_NS1_11comp_targetILNS1_3genE9ELNS1_11target_archE1100ELNS1_3gpuE3ELNS1_3repE0EEENS1_52radix_sort_onesweep_histogram_config_static_selectorELNS0_4arch9wavefront6targetE0EEEvSD_.uses_flat_scratch, 0
	.set _ZN7rocprim17ROCPRIM_400000_NS6detail17trampoline_kernelINS0_14default_configENS1_35radix_sort_onesweep_config_selectorImNS0_10empty_typeEEEZNS1_34radix_sort_onesweep_global_offsetsIS3_Lb0EPKmPS5_mNS0_19identity_decomposerEEE10hipError_tT1_T2_PT3_SF_jT4_jjP12ihipStream_tbEUlT_E_NS1_11comp_targetILNS1_3genE9ELNS1_11target_archE1100ELNS1_3gpuE3ELNS1_3repE0EEENS1_52radix_sort_onesweep_histogram_config_static_selectorELNS0_4arch9wavefront6targetE0EEEvSD_.has_dyn_sized_stack, 0
	.set _ZN7rocprim17ROCPRIM_400000_NS6detail17trampoline_kernelINS0_14default_configENS1_35radix_sort_onesweep_config_selectorImNS0_10empty_typeEEEZNS1_34radix_sort_onesweep_global_offsetsIS3_Lb0EPKmPS5_mNS0_19identity_decomposerEEE10hipError_tT1_T2_PT3_SF_jT4_jjP12ihipStream_tbEUlT_E_NS1_11comp_targetILNS1_3genE9ELNS1_11target_archE1100ELNS1_3gpuE3ELNS1_3repE0EEENS1_52radix_sort_onesweep_histogram_config_static_selectorELNS0_4arch9wavefront6targetE0EEEvSD_.has_recursion, 0
	.set _ZN7rocprim17ROCPRIM_400000_NS6detail17trampoline_kernelINS0_14default_configENS1_35radix_sort_onesweep_config_selectorImNS0_10empty_typeEEEZNS1_34radix_sort_onesweep_global_offsetsIS3_Lb0EPKmPS5_mNS0_19identity_decomposerEEE10hipError_tT1_T2_PT3_SF_jT4_jjP12ihipStream_tbEUlT_E_NS1_11comp_targetILNS1_3genE9ELNS1_11target_archE1100ELNS1_3gpuE3ELNS1_3repE0EEENS1_52radix_sort_onesweep_histogram_config_static_selectorELNS0_4arch9wavefront6targetE0EEEvSD_.has_indirect_call, 0
	.section	.AMDGPU.csdata,"",@progbits
; Kernel info:
; codeLenInByte = 0
; TotalNumSgprs: 0
; NumVgprs: 0
; ScratchSize: 0
; MemoryBound: 0
; FloatMode: 240
; IeeeMode: 1
; LDSByteSize: 0 bytes/workgroup (compile time only)
; SGPRBlocks: 0
; VGPRBlocks: 0
; NumSGPRsForWavesPerEU: 1
; NumVGPRsForWavesPerEU: 1
; NamedBarCnt: 0
; Occupancy: 16
; WaveLimiterHint : 0
; COMPUTE_PGM_RSRC2:SCRATCH_EN: 0
; COMPUTE_PGM_RSRC2:USER_SGPR: 2
; COMPUTE_PGM_RSRC2:TRAP_HANDLER: 0
; COMPUTE_PGM_RSRC2:TGID_X_EN: 1
; COMPUTE_PGM_RSRC2:TGID_Y_EN: 0
; COMPUTE_PGM_RSRC2:TGID_Z_EN: 0
; COMPUTE_PGM_RSRC2:TIDIG_COMP_CNT: 0
	.section	.text._ZN7rocprim17ROCPRIM_400000_NS6detail17trampoline_kernelINS0_14default_configENS1_35radix_sort_onesweep_config_selectorImNS0_10empty_typeEEEZNS1_34radix_sort_onesweep_global_offsetsIS3_Lb0EPKmPS5_mNS0_19identity_decomposerEEE10hipError_tT1_T2_PT3_SF_jT4_jjP12ihipStream_tbEUlT_E_NS1_11comp_targetILNS1_3genE8ELNS1_11target_archE1030ELNS1_3gpuE2ELNS1_3repE0EEENS1_52radix_sort_onesweep_histogram_config_static_selectorELNS0_4arch9wavefront6targetE0EEEvSD_,"axG",@progbits,_ZN7rocprim17ROCPRIM_400000_NS6detail17trampoline_kernelINS0_14default_configENS1_35radix_sort_onesweep_config_selectorImNS0_10empty_typeEEEZNS1_34radix_sort_onesweep_global_offsetsIS3_Lb0EPKmPS5_mNS0_19identity_decomposerEEE10hipError_tT1_T2_PT3_SF_jT4_jjP12ihipStream_tbEUlT_E_NS1_11comp_targetILNS1_3genE8ELNS1_11target_archE1030ELNS1_3gpuE2ELNS1_3repE0EEENS1_52radix_sort_onesweep_histogram_config_static_selectorELNS0_4arch9wavefront6targetE0EEEvSD_,comdat
	.protected	_ZN7rocprim17ROCPRIM_400000_NS6detail17trampoline_kernelINS0_14default_configENS1_35radix_sort_onesweep_config_selectorImNS0_10empty_typeEEEZNS1_34radix_sort_onesweep_global_offsetsIS3_Lb0EPKmPS5_mNS0_19identity_decomposerEEE10hipError_tT1_T2_PT3_SF_jT4_jjP12ihipStream_tbEUlT_E_NS1_11comp_targetILNS1_3genE8ELNS1_11target_archE1030ELNS1_3gpuE2ELNS1_3repE0EEENS1_52radix_sort_onesweep_histogram_config_static_selectorELNS0_4arch9wavefront6targetE0EEEvSD_ ; -- Begin function _ZN7rocprim17ROCPRIM_400000_NS6detail17trampoline_kernelINS0_14default_configENS1_35radix_sort_onesweep_config_selectorImNS0_10empty_typeEEEZNS1_34radix_sort_onesweep_global_offsetsIS3_Lb0EPKmPS5_mNS0_19identity_decomposerEEE10hipError_tT1_T2_PT3_SF_jT4_jjP12ihipStream_tbEUlT_E_NS1_11comp_targetILNS1_3genE8ELNS1_11target_archE1030ELNS1_3gpuE2ELNS1_3repE0EEENS1_52radix_sort_onesweep_histogram_config_static_selectorELNS0_4arch9wavefront6targetE0EEEvSD_
	.globl	_ZN7rocprim17ROCPRIM_400000_NS6detail17trampoline_kernelINS0_14default_configENS1_35radix_sort_onesweep_config_selectorImNS0_10empty_typeEEEZNS1_34radix_sort_onesweep_global_offsetsIS3_Lb0EPKmPS5_mNS0_19identity_decomposerEEE10hipError_tT1_T2_PT3_SF_jT4_jjP12ihipStream_tbEUlT_E_NS1_11comp_targetILNS1_3genE8ELNS1_11target_archE1030ELNS1_3gpuE2ELNS1_3repE0EEENS1_52radix_sort_onesweep_histogram_config_static_selectorELNS0_4arch9wavefront6targetE0EEEvSD_
	.p2align	8
	.type	_ZN7rocprim17ROCPRIM_400000_NS6detail17trampoline_kernelINS0_14default_configENS1_35radix_sort_onesweep_config_selectorImNS0_10empty_typeEEEZNS1_34radix_sort_onesweep_global_offsetsIS3_Lb0EPKmPS5_mNS0_19identity_decomposerEEE10hipError_tT1_T2_PT3_SF_jT4_jjP12ihipStream_tbEUlT_E_NS1_11comp_targetILNS1_3genE8ELNS1_11target_archE1030ELNS1_3gpuE2ELNS1_3repE0EEENS1_52radix_sort_onesweep_histogram_config_static_selectorELNS0_4arch9wavefront6targetE0EEEvSD_,@function
_ZN7rocprim17ROCPRIM_400000_NS6detail17trampoline_kernelINS0_14default_configENS1_35radix_sort_onesweep_config_selectorImNS0_10empty_typeEEEZNS1_34radix_sort_onesweep_global_offsetsIS3_Lb0EPKmPS5_mNS0_19identity_decomposerEEE10hipError_tT1_T2_PT3_SF_jT4_jjP12ihipStream_tbEUlT_E_NS1_11comp_targetILNS1_3genE8ELNS1_11target_archE1030ELNS1_3gpuE2ELNS1_3repE0EEENS1_52radix_sort_onesweep_histogram_config_static_selectorELNS0_4arch9wavefront6targetE0EEEvSD_: ; @_ZN7rocprim17ROCPRIM_400000_NS6detail17trampoline_kernelINS0_14default_configENS1_35radix_sort_onesweep_config_selectorImNS0_10empty_typeEEEZNS1_34radix_sort_onesweep_global_offsetsIS3_Lb0EPKmPS5_mNS0_19identity_decomposerEEE10hipError_tT1_T2_PT3_SF_jT4_jjP12ihipStream_tbEUlT_E_NS1_11comp_targetILNS1_3genE8ELNS1_11target_archE1030ELNS1_3gpuE2ELNS1_3repE0EEENS1_52radix_sort_onesweep_histogram_config_static_selectorELNS0_4arch9wavefront6targetE0EEEvSD_
; %bb.0:
	.section	.rodata,"a",@progbits
	.p2align	6, 0x0
	.amdhsa_kernel _ZN7rocprim17ROCPRIM_400000_NS6detail17trampoline_kernelINS0_14default_configENS1_35radix_sort_onesweep_config_selectorImNS0_10empty_typeEEEZNS1_34radix_sort_onesweep_global_offsetsIS3_Lb0EPKmPS5_mNS0_19identity_decomposerEEE10hipError_tT1_T2_PT3_SF_jT4_jjP12ihipStream_tbEUlT_E_NS1_11comp_targetILNS1_3genE8ELNS1_11target_archE1030ELNS1_3gpuE2ELNS1_3repE0EEENS1_52radix_sort_onesweep_histogram_config_static_selectorELNS0_4arch9wavefront6targetE0EEEvSD_
		.amdhsa_group_segment_fixed_size 0
		.amdhsa_private_segment_fixed_size 0
		.amdhsa_kernarg_size 48
		.amdhsa_user_sgpr_count 2
		.amdhsa_user_sgpr_dispatch_ptr 0
		.amdhsa_user_sgpr_queue_ptr 0
		.amdhsa_user_sgpr_kernarg_segment_ptr 1
		.amdhsa_user_sgpr_dispatch_id 0
		.amdhsa_user_sgpr_kernarg_preload_length 0
		.amdhsa_user_sgpr_kernarg_preload_offset 0
		.amdhsa_user_sgpr_private_segment_size 0
		.amdhsa_wavefront_size32 1
		.amdhsa_uses_dynamic_stack 0
		.amdhsa_enable_private_segment 0
		.amdhsa_system_sgpr_workgroup_id_x 1
		.amdhsa_system_sgpr_workgroup_id_y 0
		.amdhsa_system_sgpr_workgroup_id_z 0
		.amdhsa_system_sgpr_workgroup_info 0
		.amdhsa_system_vgpr_workitem_id 0
		.amdhsa_next_free_vgpr 1
		.amdhsa_next_free_sgpr 1
		.amdhsa_named_barrier_count 0
		.amdhsa_reserve_vcc 0
		.amdhsa_float_round_mode_32 0
		.amdhsa_float_round_mode_16_64 0
		.amdhsa_float_denorm_mode_32 3
		.amdhsa_float_denorm_mode_16_64 3
		.amdhsa_fp16_overflow 0
		.amdhsa_memory_ordered 1
		.amdhsa_forward_progress 1
		.amdhsa_inst_pref_size 0
		.amdhsa_round_robin_scheduling 0
		.amdhsa_exception_fp_ieee_invalid_op 0
		.amdhsa_exception_fp_denorm_src 0
		.amdhsa_exception_fp_ieee_div_zero 0
		.amdhsa_exception_fp_ieee_overflow 0
		.amdhsa_exception_fp_ieee_underflow 0
		.amdhsa_exception_fp_ieee_inexact 0
		.amdhsa_exception_int_div_zero 0
	.end_amdhsa_kernel
	.section	.text._ZN7rocprim17ROCPRIM_400000_NS6detail17trampoline_kernelINS0_14default_configENS1_35radix_sort_onesweep_config_selectorImNS0_10empty_typeEEEZNS1_34radix_sort_onesweep_global_offsetsIS3_Lb0EPKmPS5_mNS0_19identity_decomposerEEE10hipError_tT1_T2_PT3_SF_jT4_jjP12ihipStream_tbEUlT_E_NS1_11comp_targetILNS1_3genE8ELNS1_11target_archE1030ELNS1_3gpuE2ELNS1_3repE0EEENS1_52radix_sort_onesweep_histogram_config_static_selectorELNS0_4arch9wavefront6targetE0EEEvSD_,"axG",@progbits,_ZN7rocprim17ROCPRIM_400000_NS6detail17trampoline_kernelINS0_14default_configENS1_35radix_sort_onesweep_config_selectorImNS0_10empty_typeEEEZNS1_34radix_sort_onesweep_global_offsetsIS3_Lb0EPKmPS5_mNS0_19identity_decomposerEEE10hipError_tT1_T2_PT3_SF_jT4_jjP12ihipStream_tbEUlT_E_NS1_11comp_targetILNS1_3genE8ELNS1_11target_archE1030ELNS1_3gpuE2ELNS1_3repE0EEENS1_52radix_sort_onesweep_histogram_config_static_selectorELNS0_4arch9wavefront6targetE0EEEvSD_,comdat
.Lfunc_end2981:
	.size	_ZN7rocprim17ROCPRIM_400000_NS6detail17trampoline_kernelINS0_14default_configENS1_35radix_sort_onesweep_config_selectorImNS0_10empty_typeEEEZNS1_34radix_sort_onesweep_global_offsetsIS3_Lb0EPKmPS5_mNS0_19identity_decomposerEEE10hipError_tT1_T2_PT3_SF_jT4_jjP12ihipStream_tbEUlT_E_NS1_11comp_targetILNS1_3genE8ELNS1_11target_archE1030ELNS1_3gpuE2ELNS1_3repE0EEENS1_52radix_sort_onesweep_histogram_config_static_selectorELNS0_4arch9wavefront6targetE0EEEvSD_, .Lfunc_end2981-_ZN7rocprim17ROCPRIM_400000_NS6detail17trampoline_kernelINS0_14default_configENS1_35radix_sort_onesweep_config_selectorImNS0_10empty_typeEEEZNS1_34radix_sort_onesweep_global_offsetsIS3_Lb0EPKmPS5_mNS0_19identity_decomposerEEE10hipError_tT1_T2_PT3_SF_jT4_jjP12ihipStream_tbEUlT_E_NS1_11comp_targetILNS1_3genE8ELNS1_11target_archE1030ELNS1_3gpuE2ELNS1_3repE0EEENS1_52radix_sort_onesweep_histogram_config_static_selectorELNS0_4arch9wavefront6targetE0EEEvSD_
                                        ; -- End function
	.set _ZN7rocprim17ROCPRIM_400000_NS6detail17trampoline_kernelINS0_14default_configENS1_35radix_sort_onesweep_config_selectorImNS0_10empty_typeEEEZNS1_34radix_sort_onesweep_global_offsetsIS3_Lb0EPKmPS5_mNS0_19identity_decomposerEEE10hipError_tT1_T2_PT3_SF_jT4_jjP12ihipStream_tbEUlT_E_NS1_11comp_targetILNS1_3genE8ELNS1_11target_archE1030ELNS1_3gpuE2ELNS1_3repE0EEENS1_52radix_sort_onesweep_histogram_config_static_selectorELNS0_4arch9wavefront6targetE0EEEvSD_.num_vgpr, 0
	.set _ZN7rocprim17ROCPRIM_400000_NS6detail17trampoline_kernelINS0_14default_configENS1_35radix_sort_onesweep_config_selectorImNS0_10empty_typeEEEZNS1_34radix_sort_onesweep_global_offsetsIS3_Lb0EPKmPS5_mNS0_19identity_decomposerEEE10hipError_tT1_T2_PT3_SF_jT4_jjP12ihipStream_tbEUlT_E_NS1_11comp_targetILNS1_3genE8ELNS1_11target_archE1030ELNS1_3gpuE2ELNS1_3repE0EEENS1_52radix_sort_onesweep_histogram_config_static_selectorELNS0_4arch9wavefront6targetE0EEEvSD_.num_agpr, 0
	.set _ZN7rocprim17ROCPRIM_400000_NS6detail17trampoline_kernelINS0_14default_configENS1_35radix_sort_onesweep_config_selectorImNS0_10empty_typeEEEZNS1_34radix_sort_onesweep_global_offsetsIS3_Lb0EPKmPS5_mNS0_19identity_decomposerEEE10hipError_tT1_T2_PT3_SF_jT4_jjP12ihipStream_tbEUlT_E_NS1_11comp_targetILNS1_3genE8ELNS1_11target_archE1030ELNS1_3gpuE2ELNS1_3repE0EEENS1_52radix_sort_onesweep_histogram_config_static_selectorELNS0_4arch9wavefront6targetE0EEEvSD_.numbered_sgpr, 0
	.set _ZN7rocprim17ROCPRIM_400000_NS6detail17trampoline_kernelINS0_14default_configENS1_35radix_sort_onesweep_config_selectorImNS0_10empty_typeEEEZNS1_34radix_sort_onesweep_global_offsetsIS3_Lb0EPKmPS5_mNS0_19identity_decomposerEEE10hipError_tT1_T2_PT3_SF_jT4_jjP12ihipStream_tbEUlT_E_NS1_11comp_targetILNS1_3genE8ELNS1_11target_archE1030ELNS1_3gpuE2ELNS1_3repE0EEENS1_52radix_sort_onesweep_histogram_config_static_selectorELNS0_4arch9wavefront6targetE0EEEvSD_.num_named_barrier, 0
	.set _ZN7rocprim17ROCPRIM_400000_NS6detail17trampoline_kernelINS0_14default_configENS1_35radix_sort_onesweep_config_selectorImNS0_10empty_typeEEEZNS1_34radix_sort_onesweep_global_offsetsIS3_Lb0EPKmPS5_mNS0_19identity_decomposerEEE10hipError_tT1_T2_PT3_SF_jT4_jjP12ihipStream_tbEUlT_E_NS1_11comp_targetILNS1_3genE8ELNS1_11target_archE1030ELNS1_3gpuE2ELNS1_3repE0EEENS1_52radix_sort_onesweep_histogram_config_static_selectorELNS0_4arch9wavefront6targetE0EEEvSD_.private_seg_size, 0
	.set _ZN7rocprim17ROCPRIM_400000_NS6detail17trampoline_kernelINS0_14default_configENS1_35radix_sort_onesweep_config_selectorImNS0_10empty_typeEEEZNS1_34radix_sort_onesweep_global_offsetsIS3_Lb0EPKmPS5_mNS0_19identity_decomposerEEE10hipError_tT1_T2_PT3_SF_jT4_jjP12ihipStream_tbEUlT_E_NS1_11comp_targetILNS1_3genE8ELNS1_11target_archE1030ELNS1_3gpuE2ELNS1_3repE0EEENS1_52radix_sort_onesweep_histogram_config_static_selectorELNS0_4arch9wavefront6targetE0EEEvSD_.uses_vcc, 0
	.set _ZN7rocprim17ROCPRIM_400000_NS6detail17trampoline_kernelINS0_14default_configENS1_35radix_sort_onesweep_config_selectorImNS0_10empty_typeEEEZNS1_34radix_sort_onesweep_global_offsetsIS3_Lb0EPKmPS5_mNS0_19identity_decomposerEEE10hipError_tT1_T2_PT3_SF_jT4_jjP12ihipStream_tbEUlT_E_NS1_11comp_targetILNS1_3genE8ELNS1_11target_archE1030ELNS1_3gpuE2ELNS1_3repE0EEENS1_52radix_sort_onesweep_histogram_config_static_selectorELNS0_4arch9wavefront6targetE0EEEvSD_.uses_flat_scratch, 0
	.set _ZN7rocprim17ROCPRIM_400000_NS6detail17trampoline_kernelINS0_14default_configENS1_35radix_sort_onesweep_config_selectorImNS0_10empty_typeEEEZNS1_34radix_sort_onesweep_global_offsetsIS3_Lb0EPKmPS5_mNS0_19identity_decomposerEEE10hipError_tT1_T2_PT3_SF_jT4_jjP12ihipStream_tbEUlT_E_NS1_11comp_targetILNS1_3genE8ELNS1_11target_archE1030ELNS1_3gpuE2ELNS1_3repE0EEENS1_52radix_sort_onesweep_histogram_config_static_selectorELNS0_4arch9wavefront6targetE0EEEvSD_.has_dyn_sized_stack, 0
	.set _ZN7rocprim17ROCPRIM_400000_NS6detail17trampoline_kernelINS0_14default_configENS1_35radix_sort_onesweep_config_selectorImNS0_10empty_typeEEEZNS1_34radix_sort_onesweep_global_offsetsIS3_Lb0EPKmPS5_mNS0_19identity_decomposerEEE10hipError_tT1_T2_PT3_SF_jT4_jjP12ihipStream_tbEUlT_E_NS1_11comp_targetILNS1_3genE8ELNS1_11target_archE1030ELNS1_3gpuE2ELNS1_3repE0EEENS1_52radix_sort_onesweep_histogram_config_static_selectorELNS0_4arch9wavefront6targetE0EEEvSD_.has_recursion, 0
	.set _ZN7rocprim17ROCPRIM_400000_NS6detail17trampoline_kernelINS0_14default_configENS1_35radix_sort_onesweep_config_selectorImNS0_10empty_typeEEEZNS1_34radix_sort_onesweep_global_offsetsIS3_Lb0EPKmPS5_mNS0_19identity_decomposerEEE10hipError_tT1_T2_PT3_SF_jT4_jjP12ihipStream_tbEUlT_E_NS1_11comp_targetILNS1_3genE8ELNS1_11target_archE1030ELNS1_3gpuE2ELNS1_3repE0EEENS1_52radix_sort_onesweep_histogram_config_static_selectorELNS0_4arch9wavefront6targetE0EEEvSD_.has_indirect_call, 0
	.section	.AMDGPU.csdata,"",@progbits
; Kernel info:
; codeLenInByte = 0
; TotalNumSgprs: 0
; NumVgprs: 0
; ScratchSize: 0
; MemoryBound: 0
; FloatMode: 240
; IeeeMode: 1
; LDSByteSize: 0 bytes/workgroup (compile time only)
; SGPRBlocks: 0
; VGPRBlocks: 0
; NumSGPRsForWavesPerEU: 1
; NumVGPRsForWavesPerEU: 1
; NamedBarCnt: 0
; Occupancy: 16
; WaveLimiterHint : 0
; COMPUTE_PGM_RSRC2:SCRATCH_EN: 0
; COMPUTE_PGM_RSRC2:USER_SGPR: 2
; COMPUTE_PGM_RSRC2:TRAP_HANDLER: 0
; COMPUTE_PGM_RSRC2:TGID_X_EN: 1
; COMPUTE_PGM_RSRC2:TGID_Y_EN: 0
; COMPUTE_PGM_RSRC2:TGID_Z_EN: 0
; COMPUTE_PGM_RSRC2:TIDIG_COMP_CNT: 0
	.section	.text._ZN7rocprim17ROCPRIM_400000_NS6detail17trampoline_kernelINS0_14default_configENS1_35radix_sort_onesweep_config_selectorImNS0_10empty_typeEEEZNS1_34radix_sort_onesweep_global_offsetsIS3_Lb0EPKmPS5_mNS0_19identity_decomposerEEE10hipError_tT1_T2_PT3_SF_jT4_jjP12ihipStream_tbEUlT_E0_NS1_11comp_targetILNS1_3genE0ELNS1_11target_archE4294967295ELNS1_3gpuE0ELNS1_3repE0EEENS1_52radix_sort_onesweep_histogram_config_static_selectorELNS0_4arch9wavefront6targetE0EEEvSD_,"axG",@progbits,_ZN7rocprim17ROCPRIM_400000_NS6detail17trampoline_kernelINS0_14default_configENS1_35radix_sort_onesweep_config_selectorImNS0_10empty_typeEEEZNS1_34radix_sort_onesweep_global_offsetsIS3_Lb0EPKmPS5_mNS0_19identity_decomposerEEE10hipError_tT1_T2_PT3_SF_jT4_jjP12ihipStream_tbEUlT_E0_NS1_11comp_targetILNS1_3genE0ELNS1_11target_archE4294967295ELNS1_3gpuE0ELNS1_3repE0EEENS1_52radix_sort_onesweep_histogram_config_static_selectorELNS0_4arch9wavefront6targetE0EEEvSD_,comdat
	.protected	_ZN7rocprim17ROCPRIM_400000_NS6detail17trampoline_kernelINS0_14default_configENS1_35radix_sort_onesweep_config_selectorImNS0_10empty_typeEEEZNS1_34radix_sort_onesweep_global_offsetsIS3_Lb0EPKmPS5_mNS0_19identity_decomposerEEE10hipError_tT1_T2_PT3_SF_jT4_jjP12ihipStream_tbEUlT_E0_NS1_11comp_targetILNS1_3genE0ELNS1_11target_archE4294967295ELNS1_3gpuE0ELNS1_3repE0EEENS1_52radix_sort_onesweep_histogram_config_static_selectorELNS0_4arch9wavefront6targetE0EEEvSD_ ; -- Begin function _ZN7rocprim17ROCPRIM_400000_NS6detail17trampoline_kernelINS0_14default_configENS1_35radix_sort_onesweep_config_selectorImNS0_10empty_typeEEEZNS1_34radix_sort_onesweep_global_offsetsIS3_Lb0EPKmPS5_mNS0_19identity_decomposerEEE10hipError_tT1_T2_PT3_SF_jT4_jjP12ihipStream_tbEUlT_E0_NS1_11comp_targetILNS1_3genE0ELNS1_11target_archE4294967295ELNS1_3gpuE0ELNS1_3repE0EEENS1_52radix_sort_onesweep_histogram_config_static_selectorELNS0_4arch9wavefront6targetE0EEEvSD_
	.globl	_ZN7rocprim17ROCPRIM_400000_NS6detail17trampoline_kernelINS0_14default_configENS1_35radix_sort_onesweep_config_selectorImNS0_10empty_typeEEEZNS1_34radix_sort_onesweep_global_offsetsIS3_Lb0EPKmPS5_mNS0_19identity_decomposerEEE10hipError_tT1_T2_PT3_SF_jT4_jjP12ihipStream_tbEUlT_E0_NS1_11comp_targetILNS1_3genE0ELNS1_11target_archE4294967295ELNS1_3gpuE0ELNS1_3repE0EEENS1_52radix_sort_onesweep_histogram_config_static_selectorELNS0_4arch9wavefront6targetE0EEEvSD_
	.p2align	8
	.type	_ZN7rocprim17ROCPRIM_400000_NS6detail17trampoline_kernelINS0_14default_configENS1_35radix_sort_onesweep_config_selectorImNS0_10empty_typeEEEZNS1_34radix_sort_onesweep_global_offsetsIS3_Lb0EPKmPS5_mNS0_19identity_decomposerEEE10hipError_tT1_T2_PT3_SF_jT4_jjP12ihipStream_tbEUlT_E0_NS1_11comp_targetILNS1_3genE0ELNS1_11target_archE4294967295ELNS1_3gpuE0ELNS1_3repE0EEENS1_52radix_sort_onesweep_histogram_config_static_selectorELNS0_4arch9wavefront6targetE0EEEvSD_,@function
_ZN7rocprim17ROCPRIM_400000_NS6detail17trampoline_kernelINS0_14default_configENS1_35radix_sort_onesweep_config_selectorImNS0_10empty_typeEEEZNS1_34radix_sort_onesweep_global_offsetsIS3_Lb0EPKmPS5_mNS0_19identity_decomposerEEE10hipError_tT1_T2_PT3_SF_jT4_jjP12ihipStream_tbEUlT_E0_NS1_11comp_targetILNS1_3genE0ELNS1_11target_archE4294967295ELNS1_3gpuE0ELNS1_3repE0EEENS1_52radix_sort_onesweep_histogram_config_static_selectorELNS0_4arch9wavefront6targetE0EEEvSD_: ; @_ZN7rocprim17ROCPRIM_400000_NS6detail17trampoline_kernelINS0_14default_configENS1_35radix_sort_onesweep_config_selectorImNS0_10empty_typeEEEZNS1_34radix_sort_onesweep_global_offsetsIS3_Lb0EPKmPS5_mNS0_19identity_decomposerEEE10hipError_tT1_T2_PT3_SF_jT4_jjP12ihipStream_tbEUlT_E0_NS1_11comp_targetILNS1_3genE0ELNS1_11target_archE4294967295ELNS1_3gpuE0ELNS1_3repE0EEENS1_52radix_sort_onesweep_histogram_config_static_selectorELNS0_4arch9wavefront6targetE0EEEvSD_
; %bb.0:
	s_load_b64 s[0:1], s[0:1], 0x0
	s_bfe_u32 s2, ttmp6, 0x4000c
	s_and_b32 s3, ttmp6, 15
	s_add_co_i32 s2, s2, 1
	s_getreg_b32 s4, hwreg(HW_REG_IB_STS2, 6, 4)
	s_mul_i32 s2, ttmp9, s2
	v_cmp_gt_u32_e32 vcc_lo, 0x100, v0
	s_add_co_i32 s3, s3, s2
	s_cmp_eq_u32 s4, 0
                                        ; implicit-def: $vgpr2_vgpr3
	s_cselect_b32 s2, ttmp9, s3
	s_mov_b32 s3, 0
	s_lshl_b32 s2, s2, 8
	s_delay_alu instid0(SALU_CYCLE_1)
	s_lshl_b64 s[2:3], s[2:3], 3
	s_wait_kmcnt 0x0
	s_add_nc_u64 s[6:7], s[0:1], s[2:3]
	s_and_saveexec_b32 s0, vcc_lo
	s_cbranch_execz .LBB2982_2
; %bb.1:
	global_load_b64 v[2:3], v0, s[6:7] scale_offset
.LBB2982_2:
	s_wait_xcnt 0x0
	s_or_b32 exec_lo, exec_lo, s0
	v_mbcnt_lo_u32_b32 v1, -1, 0
	s_wait_loadcnt 0x0
	v_mov_b32_dpp v6, v2 row_shr:1 row_mask:0xf bank_mask:0xf
	v_mov_b32_dpp v9, v3 row_shr:1 row_mask:0xf bank_mask:0xf
	s_delay_alu instid0(VALU_DEP_3) | instskip(NEXT) | instid1(VALU_DEP_1)
	v_dual_mov_b32 v4, v2 :: v_dual_bitop2_b32 v10, 15, v1 bitop3:0x40
	v_cmp_ne_u32_e64 s0, 0, v10
	s_and_saveexec_b32 s1, s0
; %bb.3:
	v_mov_b32_e32 v8, 0
	s_delay_alu instid0(VALU_DEP_1) | instskip(NEXT) | instid1(VALU_DEP_1)
	v_mov_b32_e32 v7, v8
	v_add_nc_u64_e32 v[4:5], v[2:3], v[6:7]
	s_delay_alu instid0(VALU_DEP_1)
	v_add_nc_u64_e32 v[2:3], v[8:9], v[4:5]
; %bb.4:
	s_or_b32 exec_lo, exec_lo, s1
	v_mov_b32_dpp v6, v4 row_shr:2 row_mask:0xf bank_mask:0xf
	s_delay_alu instid0(VALU_DEP_2)
	v_mov_b32_dpp v9, v3 row_shr:2 row_mask:0xf bank_mask:0xf
	v_cmp_lt_u32_e64 s1, 1, v10
	s_and_saveexec_b32 s2, s1
; %bb.5:
	v_mov_b32_e32 v8, 0
	s_delay_alu instid0(VALU_DEP_1) | instskip(NEXT) | instid1(VALU_DEP_1)
	v_mov_b32_e32 v7, v8
	v_add_nc_u64_e32 v[4:5], v[2:3], v[6:7]
	s_delay_alu instid0(VALU_DEP_1)
	v_add_nc_u64_e32 v[2:3], v[8:9], v[4:5]
; %bb.6:
	s_or_b32 exec_lo, exec_lo, s2
	v_mov_b32_dpp v6, v4 row_shr:4 row_mask:0xf bank_mask:0xf
	s_delay_alu instid0(VALU_DEP_2)
	v_mov_b32_dpp v9, v3 row_shr:4 row_mask:0xf bank_mask:0xf
	v_cmp_lt_u32_e64 s2, 3, v10
	;; [unrolled: 14-line block ×3, first 2 shown]
	s_and_saveexec_b32 s4, s3
; %bb.9:
	v_mov_b32_e32 v8, 0
	s_delay_alu instid0(VALU_DEP_1) | instskip(NEXT) | instid1(VALU_DEP_1)
	v_mov_b32_e32 v7, v8
	v_add_nc_u64_e32 v[4:5], v[2:3], v[6:7]
	s_delay_alu instid0(VALU_DEP_1)
	v_add_nc_u64_e32 v[2:3], v[8:9], v[4:5]
; %bb.10:
	s_or_b32 exec_lo, exec_lo, s4
	ds_swizzle_b32 v4, v4 offset:swizzle(BROADCAST,32,15)
	ds_swizzle_b32 v7, v3 offset:swizzle(BROADCAST,32,15)
	v_and_b32_e32 v5, 16, v1
	s_mov_b32 s5, exec_lo
	s_delay_alu instid0(VALU_DEP_1)
	v_cmpx_ne_u32_e32 0, v5
	s_cbranch_execz .LBB2982_12
; %bb.11:
	v_mov_b32_e32 v6, 0
	s_delay_alu instid0(VALU_DEP_1) | instskip(SKIP_1) | instid1(VALU_DEP_1)
	v_mov_b32_e32 v5, v6
	s_wait_dscnt 0x1
	v_add_nc_u64_e32 v[2:3], v[2:3], v[4:5]
	s_wait_dscnt 0x0
	s_delay_alu instid0(VALU_DEP_1)
	v_add_nc_u64_e32 v[2:3], v[2:3], v[6:7]
.LBB2982_12:
	s_or_b32 exec_lo, exec_lo, s5
	s_wait_dscnt 0x1
	v_dual_lshrrev_b32 v12, 5, v0 :: v_dual_bitop2_b32 v4, 31, v0 bitop3:0x54
	s_mov_b32 s5, exec_lo
	s_delay_alu instid0(VALU_DEP_1)
	v_cmpx_eq_u32_e64 v0, v4
; %bb.13:
	s_delay_alu instid0(VALU_DEP_2)
	v_lshlrev_b32_e32 v4, 3, v12
	ds_store_b64 v4, v[2:3]
; %bb.14:
	s_or_b32 exec_lo, exec_lo, s5
	s_delay_alu instid0(SALU_CYCLE_1)
	s_mov_b32 s5, exec_lo
	s_wait_dscnt 0x0
	s_barrier_signal -1
	s_barrier_wait -1
	v_cmpx_gt_u32_e32 16, v0
	s_cbranch_execz .LBB2982_24
; %bb.15:
	v_lshlrev_b32_e32 v13, 3, v0
	ds_load_b64 v[4:5], v13
	s_wait_dscnt 0x0
	v_mov_b32_dpp v8, v4 row_shr:1 row_mask:0xf bank_mask:0xf
	v_mov_b32_dpp v11, v5 row_shr:1 row_mask:0xf bank_mask:0xf
	v_mov_b32_e32 v6, v4
	s_and_saveexec_b32 s4, s0
; %bb.16:
	v_mov_b32_e32 v10, 0
	s_delay_alu instid0(VALU_DEP_1) | instskip(NEXT) | instid1(VALU_DEP_1)
	v_mov_b32_e32 v9, v10
	v_add_nc_u64_e32 v[6:7], v[4:5], v[8:9]
	s_delay_alu instid0(VALU_DEP_1)
	v_add_nc_u64_e32 v[4:5], v[10:11], v[6:7]
; %bb.17:
	s_or_b32 exec_lo, exec_lo, s4
	v_mov_b32_dpp v8, v6 row_shr:2 row_mask:0xf bank_mask:0xf
	s_delay_alu instid0(VALU_DEP_2)
	v_mov_b32_dpp v11, v5 row_shr:2 row_mask:0xf bank_mask:0xf
	s_and_saveexec_b32 s0, s1
; %bb.18:
	v_mov_b32_e32 v10, 0
	s_delay_alu instid0(VALU_DEP_1) | instskip(NEXT) | instid1(VALU_DEP_1)
	v_mov_b32_e32 v9, v10
	v_add_nc_u64_e32 v[6:7], v[4:5], v[8:9]
	s_delay_alu instid0(VALU_DEP_1)
	v_add_nc_u64_e32 v[4:5], v[10:11], v[6:7]
; %bb.19:
	s_or_b32 exec_lo, exec_lo, s0
	v_mov_b32_dpp v8, v6 row_shr:4 row_mask:0xf bank_mask:0xf
	s_delay_alu instid0(VALU_DEP_2)
	v_mov_b32_dpp v11, v5 row_shr:4 row_mask:0xf bank_mask:0xf
	;; [unrolled: 13-line block ×3, first 2 shown]
	s_and_saveexec_b32 s0, s3
; %bb.22:
	v_mov_b32_e32 v8, 0
	s_delay_alu instid0(VALU_DEP_1) | instskip(NEXT) | instid1(VALU_DEP_1)
	v_mov_b32_e32 v7, v8
	v_add_nc_u64_e32 v[4:5], v[4:5], v[6:7]
	s_delay_alu instid0(VALU_DEP_1)
	v_add_nc_u64_e32 v[4:5], v[4:5], v[8:9]
; %bb.23:
	s_or_b32 exec_lo, exec_lo, s0
	ds_store_b64 v13, v[4:5]
.LBB2982_24:
	s_or_b32 exec_lo, exec_lo, s5
	v_mov_b64_e32 v[4:5], 0
	s_mov_b32 s1, exec_lo
	s_wait_dscnt 0x0
	s_barrier_signal -1
	s_barrier_wait -1
	v_cmpx_lt_u32_e32 31, v0
; %bb.25:
	v_lshl_add_u32 v4, v12, 3, -8
	ds_load_b64 v[4:5], v4
; %bb.26:
	s_or_b32 exec_lo, exec_lo, s1
	v_add_nc_u32_e32 v6, -1, v1
	s_wait_dscnt 0x0
	v_add_nc_u64_e32 v[2:3], v[4:5], v[2:3]
	s_delay_alu instid0(VALU_DEP_2) | instskip(NEXT) | instid1(VALU_DEP_1)
	v_cmp_gt_i32_e64 s0, 0, v6
	v_cndmask_b32_e64 v6, v6, v1, s0
	s_delay_alu instid0(VALU_DEP_1)
	v_lshlrev_b32_e32 v6, 2, v6
	ds_bpermute_b32 v2, v6, v2
	ds_bpermute_b32 v3, v6, v3
	s_and_saveexec_b32 s0, vcc_lo
	s_cbranch_execz .LBB2982_28
; %bb.27:
	v_cmp_eq_u32_e32 vcc_lo, 0, v1
	s_wait_dscnt 0x0
	v_dual_cndmask_b32 v3, v3, v5 :: v_dual_cndmask_b32 v2, v2, v4
	global_store_b64 v0, v[2:3], s[6:7] scale_offset
.LBB2982_28:
	s_endpgm
	.section	.rodata,"a",@progbits
	.p2align	6, 0x0
	.amdhsa_kernel _ZN7rocprim17ROCPRIM_400000_NS6detail17trampoline_kernelINS0_14default_configENS1_35radix_sort_onesweep_config_selectorImNS0_10empty_typeEEEZNS1_34radix_sort_onesweep_global_offsetsIS3_Lb0EPKmPS5_mNS0_19identity_decomposerEEE10hipError_tT1_T2_PT3_SF_jT4_jjP12ihipStream_tbEUlT_E0_NS1_11comp_targetILNS1_3genE0ELNS1_11target_archE4294967295ELNS1_3gpuE0ELNS1_3repE0EEENS1_52radix_sort_onesweep_histogram_config_static_selectorELNS0_4arch9wavefront6targetE0EEEvSD_
		.amdhsa_group_segment_fixed_size 128
		.amdhsa_private_segment_fixed_size 0
		.amdhsa_kernarg_size 8
		.amdhsa_user_sgpr_count 2
		.amdhsa_user_sgpr_dispatch_ptr 0
		.amdhsa_user_sgpr_queue_ptr 0
		.amdhsa_user_sgpr_kernarg_segment_ptr 1
		.amdhsa_user_sgpr_dispatch_id 0
		.amdhsa_user_sgpr_kernarg_preload_length 0
		.amdhsa_user_sgpr_kernarg_preload_offset 0
		.amdhsa_user_sgpr_private_segment_size 0
		.amdhsa_wavefront_size32 1
		.amdhsa_uses_dynamic_stack 0
		.amdhsa_enable_private_segment 0
		.amdhsa_system_sgpr_workgroup_id_x 1
		.amdhsa_system_sgpr_workgroup_id_y 0
		.amdhsa_system_sgpr_workgroup_id_z 0
		.amdhsa_system_sgpr_workgroup_info 0
		.amdhsa_system_vgpr_workitem_id 0
		.amdhsa_next_free_vgpr 14
		.amdhsa_next_free_sgpr 8
		.amdhsa_named_barrier_count 0
		.amdhsa_reserve_vcc 1
		.amdhsa_float_round_mode_32 0
		.amdhsa_float_round_mode_16_64 0
		.amdhsa_float_denorm_mode_32 3
		.amdhsa_float_denorm_mode_16_64 3
		.amdhsa_fp16_overflow 0
		.amdhsa_memory_ordered 1
		.amdhsa_forward_progress 1
		.amdhsa_inst_pref_size 7
		.amdhsa_round_robin_scheduling 0
		.amdhsa_exception_fp_ieee_invalid_op 0
		.amdhsa_exception_fp_denorm_src 0
		.amdhsa_exception_fp_ieee_div_zero 0
		.amdhsa_exception_fp_ieee_overflow 0
		.amdhsa_exception_fp_ieee_underflow 0
		.amdhsa_exception_fp_ieee_inexact 0
		.amdhsa_exception_int_div_zero 0
	.end_amdhsa_kernel
	.section	.text._ZN7rocprim17ROCPRIM_400000_NS6detail17trampoline_kernelINS0_14default_configENS1_35radix_sort_onesweep_config_selectorImNS0_10empty_typeEEEZNS1_34radix_sort_onesweep_global_offsetsIS3_Lb0EPKmPS5_mNS0_19identity_decomposerEEE10hipError_tT1_T2_PT3_SF_jT4_jjP12ihipStream_tbEUlT_E0_NS1_11comp_targetILNS1_3genE0ELNS1_11target_archE4294967295ELNS1_3gpuE0ELNS1_3repE0EEENS1_52radix_sort_onesweep_histogram_config_static_selectorELNS0_4arch9wavefront6targetE0EEEvSD_,"axG",@progbits,_ZN7rocprim17ROCPRIM_400000_NS6detail17trampoline_kernelINS0_14default_configENS1_35radix_sort_onesweep_config_selectorImNS0_10empty_typeEEEZNS1_34radix_sort_onesweep_global_offsetsIS3_Lb0EPKmPS5_mNS0_19identity_decomposerEEE10hipError_tT1_T2_PT3_SF_jT4_jjP12ihipStream_tbEUlT_E0_NS1_11comp_targetILNS1_3genE0ELNS1_11target_archE4294967295ELNS1_3gpuE0ELNS1_3repE0EEENS1_52radix_sort_onesweep_histogram_config_static_selectorELNS0_4arch9wavefront6targetE0EEEvSD_,comdat
.Lfunc_end2982:
	.size	_ZN7rocprim17ROCPRIM_400000_NS6detail17trampoline_kernelINS0_14default_configENS1_35radix_sort_onesweep_config_selectorImNS0_10empty_typeEEEZNS1_34radix_sort_onesweep_global_offsetsIS3_Lb0EPKmPS5_mNS0_19identity_decomposerEEE10hipError_tT1_T2_PT3_SF_jT4_jjP12ihipStream_tbEUlT_E0_NS1_11comp_targetILNS1_3genE0ELNS1_11target_archE4294967295ELNS1_3gpuE0ELNS1_3repE0EEENS1_52radix_sort_onesweep_histogram_config_static_selectorELNS0_4arch9wavefront6targetE0EEEvSD_, .Lfunc_end2982-_ZN7rocprim17ROCPRIM_400000_NS6detail17trampoline_kernelINS0_14default_configENS1_35radix_sort_onesweep_config_selectorImNS0_10empty_typeEEEZNS1_34radix_sort_onesweep_global_offsetsIS3_Lb0EPKmPS5_mNS0_19identity_decomposerEEE10hipError_tT1_T2_PT3_SF_jT4_jjP12ihipStream_tbEUlT_E0_NS1_11comp_targetILNS1_3genE0ELNS1_11target_archE4294967295ELNS1_3gpuE0ELNS1_3repE0EEENS1_52radix_sort_onesweep_histogram_config_static_selectorELNS0_4arch9wavefront6targetE0EEEvSD_
                                        ; -- End function
	.set _ZN7rocprim17ROCPRIM_400000_NS6detail17trampoline_kernelINS0_14default_configENS1_35radix_sort_onesweep_config_selectorImNS0_10empty_typeEEEZNS1_34radix_sort_onesweep_global_offsetsIS3_Lb0EPKmPS5_mNS0_19identity_decomposerEEE10hipError_tT1_T2_PT3_SF_jT4_jjP12ihipStream_tbEUlT_E0_NS1_11comp_targetILNS1_3genE0ELNS1_11target_archE4294967295ELNS1_3gpuE0ELNS1_3repE0EEENS1_52radix_sort_onesweep_histogram_config_static_selectorELNS0_4arch9wavefront6targetE0EEEvSD_.num_vgpr, 14
	.set _ZN7rocprim17ROCPRIM_400000_NS6detail17trampoline_kernelINS0_14default_configENS1_35radix_sort_onesweep_config_selectorImNS0_10empty_typeEEEZNS1_34radix_sort_onesweep_global_offsetsIS3_Lb0EPKmPS5_mNS0_19identity_decomposerEEE10hipError_tT1_T2_PT3_SF_jT4_jjP12ihipStream_tbEUlT_E0_NS1_11comp_targetILNS1_3genE0ELNS1_11target_archE4294967295ELNS1_3gpuE0ELNS1_3repE0EEENS1_52radix_sort_onesweep_histogram_config_static_selectorELNS0_4arch9wavefront6targetE0EEEvSD_.num_agpr, 0
	.set _ZN7rocprim17ROCPRIM_400000_NS6detail17trampoline_kernelINS0_14default_configENS1_35radix_sort_onesweep_config_selectorImNS0_10empty_typeEEEZNS1_34radix_sort_onesweep_global_offsetsIS3_Lb0EPKmPS5_mNS0_19identity_decomposerEEE10hipError_tT1_T2_PT3_SF_jT4_jjP12ihipStream_tbEUlT_E0_NS1_11comp_targetILNS1_3genE0ELNS1_11target_archE4294967295ELNS1_3gpuE0ELNS1_3repE0EEENS1_52radix_sort_onesweep_histogram_config_static_selectorELNS0_4arch9wavefront6targetE0EEEvSD_.numbered_sgpr, 8
	.set _ZN7rocprim17ROCPRIM_400000_NS6detail17trampoline_kernelINS0_14default_configENS1_35radix_sort_onesweep_config_selectorImNS0_10empty_typeEEEZNS1_34radix_sort_onesweep_global_offsetsIS3_Lb0EPKmPS5_mNS0_19identity_decomposerEEE10hipError_tT1_T2_PT3_SF_jT4_jjP12ihipStream_tbEUlT_E0_NS1_11comp_targetILNS1_3genE0ELNS1_11target_archE4294967295ELNS1_3gpuE0ELNS1_3repE0EEENS1_52radix_sort_onesweep_histogram_config_static_selectorELNS0_4arch9wavefront6targetE0EEEvSD_.num_named_barrier, 0
	.set _ZN7rocprim17ROCPRIM_400000_NS6detail17trampoline_kernelINS0_14default_configENS1_35radix_sort_onesweep_config_selectorImNS0_10empty_typeEEEZNS1_34radix_sort_onesweep_global_offsetsIS3_Lb0EPKmPS5_mNS0_19identity_decomposerEEE10hipError_tT1_T2_PT3_SF_jT4_jjP12ihipStream_tbEUlT_E0_NS1_11comp_targetILNS1_3genE0ELNS1_11target_archE4294967295ELNS1_3gpuE0ELNS1_3repE0EEENS1_52radix_sort_onesweep_histogram_config_static_selectorELNS0_4arch9wavefront6targetE0EEEvSD_.private_seg_size, 0
	.set _ZN7rocprim17ROCPRIM_400000_NS6detail17trampoline_kernelINS0_14default_configENS1_35radix_sort_onesweep_config_selectorImNS0_10empty_typeEEEZNS1_34radix_sort_onesweep_global_offsetsIS3_Lb0EPKmPS5_mNS0_19identity_decomposerEEE10hipError_tT1_T2_PT3_SF_jT4_jjP12ihipStream_tbEUlT_E0_NS1_11comp_targetILNS1_3genE0ELNS1_11target_archE4294967295ELNS1_3gpuE0ELNS1_3repE0EEENS1_52radix_sort_onesweep_histogram_config_static_selectorELNS0_4arch9wavefront6targetE0EEEvSD_.uses_vcc, 1
	.set _ZN7rocprim17ROCPRIM_400000_NS6detail17trampoline_kernelINS0_14default_configENS1_35radix_sort_onesweep_config_selectorImNS0_10empty_typeEEEZNS1_34radix_sort_onesweep_global_offsetsIS3_Lb0EPKmPS5_mNS0_19identity_decomposerEEE10hipError_tT1_T2_PT3_SF_jT4_jjP12ihipStream_tbEUlT_E0_NS1_11comp_targetILNS1_3genE0ELNS1_11target_archE4294967295ELNS1_3gpuE0ELNS1_3repE0EEENS1_52radix_sort_onesweep_histogram_config_static_selectorELNS0_4arch9wavefront6targetE0EEEvSD_.uses_flat_scratch, 0
	.set _ZN7rocprim17ROCPRIM_400000_NS6detail17trampoline_kernelINS0_14default_configENS1_35radix_sort_onesweep_config_selectorImNS0_10empty_typeEEEZNS1_34radix_sort_onesweep_global_offsetsIS3_Lb0EPKmPS5_mNS0_19identity_decomposerEEE10hipError_tT1_T2_PT3_SF_jT4_jjP12ihipStream_tbEUlT_E0_NS1_11comp_targetILNS1_3genE0ELNS1_11target_archE4294967295ELNS1_3gpuE0ELNS1_3repE0EEENS1_52radix_sort_onesweep_histogram_config_static_selectorELNS0_4arch9wavefront6targetE0EEEvSD_.has_dyn_sized_stack, 0
	.set _ZN7rocprim17ROCPRIM_400000_NS6detail17trampoline_kernelINS0_14default_configENS1_35radix_sort_onesweep_config_selectorImNS0_10empty_typeEEEZNS1_34radix_sort_onesweep_global_offsetsIS3_Lb0EPKmPS5_mNS0_19identity_decomposerEEE10hipError_tT1_T2_PT3_SF_jT4_jjP12ihipStream_tbEUlT_E0_NS1_11comp_targetILNS1_3genE0ELNS1_11target_archE4294967295ELNS1_3gpuE0ELNS1_3repE0EEENS1_52radix_sort_onesweep_histogram_config_static_selectorELNS0_4arch9wavefront6targetE0EEEvSD_.has_recursion, 0
	.set _ZN7rocprim17ROCPRIM_400000_NS6detail17trampoline_kernelINS0_14default_configENS1_35radix_sort_onesweep_config_selectorImNS0_10empty_typeEEEZNS1_34radix_sort_onesweep_global_offsetsIS3_Lb0EPKmPS5_mNS0_19identity_decomposerEEE10hipError_tT1_T2_PT3_SF_jT4_jjP12ihipStream_tbEUlT_E0_NS1_11comp_targetILNS1_3genE0ELNS1_11target_archE4294967295ELNS1_3gpuE0ELNS1_3repE0EEENS1_52radix_sort_onesweep_histogram_config_static_selectorELNS0_4arch9wavefront6targetE0EEEvSD_.has_indirect_call, 0
	.section	.AMDGPU.csdata,"",@progbits
; Kernel info:
; codeLenInByte = 896
; TotalNumSgprs: 10
; NumVgprs: 14
; ScratchSize: 0
; MemoryBound: 0
; FloatMode: 240
; IeeeMode: 1
; LDSByteSize: 128 bytes/workgroup (compile time only)
; SGPRBlocks: 0
; VGPRBlocks: 0
; NumSGPRsForWavesPerEU: 10
; NumVGPRsForWavesPerEU: 14
; NamedBarCnt: 0
; Occupancy: 16
; WaveLimiterHint : 0
; COMPUTE_PGM_RSRC2:SCRATCH_EN: 0
; COMPUTE_PGM_RSRC2:USER_SGPR: 2
; COMPUTE_PGM_RSRC2:TRAP_HANDLER: 0
; COMPUTE_PGM_RSRC2:TGID_X_EN: 1
; COMPUTE_PGM_RSRC2:TGID_Y_EN: 0
; COMPUTE_PGM_RSRC2:TGID_Z_EN: 0
; COMPUTE_PGM_RSRC2:TIDIG_COMP_CNT: 0
	.section	.text._ZN7rocprim17ROCPRIM_400000_NS6detail17trampoline_kernelINS0_14default_configENS1_35radix_sort_onesweep_config_selectorImNS0_10empty_typeEEEZNS1_34radix_sort_onesweep_global_offsetsIS3_Lb0EPKmPS5_mNS0_19identity_decomposerEEE10hipError_tT1_T2_PT3_SF_jT4_jjP12ihipStream_tbEUlT_E0_NS1_11comp_targetILNS1_3genE6ELNS1_11target_archE950ELNS1_3gpuE13ELNS1_3repE0EEENS1_52radix_sort_onesweep_histogram_config_static_selectorELNS0_4arch9wavefront6targetE0EEEvSD_,"axG",@progbits,_ZN7rocprim17ROCPRIM_400000_NS6detail17trampoline_kernelINS0_14default_configENS1_35radix_sort_onesweep_config_selectorImNS0_10empty_typeEEEZNS1_34radix_sort_onesweep_global_offsetsIS3_Lb0EPKmPS5_mNS0_19identity_decomposerEEE10hipError_tT1_T2_PT3_SF_jT4_jjP12ihipStream_tbEUlT_E0_NS1_11comp_targetILNS1_3genE6ELNS1_11target_archE950ELNS1_3gpuE13ELNS1_3repE0EEENS1_52radix_sort_onesweep_histogram_config_static_selectorELNS0_4arch9wavefront6targetE0EEEvSD_,comdat
	.protected	_ZN7rocprim17ROCPRIM_400000_NS6detail17trampoline_kernelINS0_14default_configENS1_35radix_sort_onesweep_config_selectorImNS0_10empty_typeEEEZNS1_34radix_sort_onesweep_global_offsetsIS3_Lb0EPKmPS5_mNS0_19identity_decomposerEEE10hipError_tT1_T2_PT3_SF_jT4_jjP12ihipStream_tbEUlT_E0_NS1_11comp_targetILNS1_3genE6ELNS1_11target_archE950ELNS1_3gpuE13ELNS1_3repE0EEENS1_52radix_sort_onesweep_histogram_config_static_selectorELNS0_4arch9wavefront6targetE0EEEvSD_ ; -- Begin function _ZN7rocprim17ROCPRIM_400000_NS6detail17trampoline_kernelINS0_14default_configENS1_35radix_sort_onesweep_config_selectorImNS0_10empty_typeEEEZNS1_34radix_sort_onesweep_global_offsetsIS3_Lb0EPKmPS5_mNS0_19identity_decomposerEEE10hipError_tT1_T2_PT3_SF_jT4_jjP12ihipStream_tbEUlT_E0_NS1_11comp_targetILNS1_3genE6ELNS1_11target_archE950ELNS1_3gpuE13ELNS1_3repE0EEENS1_52radix_sort_onesweep_histogram_config_static_selectorELNS0_4arch9wavefront6targetE0EEEvSD_
	.globl	_ZN7rocprim17ROCPRIM_400000_NS6detail17trampoline_kernelINS0_14default_configENS1_35radix_sort_onesweep_config_selectorImNS0_10empty_typeEEEZNS1_34radix_sort_onesweep_global_offsetsIS3_Lb0EPKmPS5_mNS0_19identity_decomposerEEE10hipError_tT1_T2_PT3_SF_jT4_jjP12ihipStream_tbEUlT_E0_NS1_11comp_targetILNS1_3genE6ELNS1_11target_archE950ELNS1_3gpuE13ELNS1_3repE0EEENS1_52radix_sort_onesweep_histogram_config_static_selectorELNS0_4arch9wavefront6targetE0EEEvSD_
	.p2align	8
	.type	_ZN7rocprim17ROCPRIM_400000_NS6detail17trampoline_kernelINS0_14default_configENS1_35radix_sort_onesweep_config_selectorImNS0_10empty_typeEEEZNS1_34radix_sort_onesweep_global_offsetsIS3_Lb0EPKmPS5_mNS0_19identity_decomposerEEE10hipError_tT1_T2_PT3_SF_jT4_jjP12ihipStream_tbEUlT_E0_NS1_11comp_targetILNS1_3genE6ELNS1_11target_archE950ELNS1_3gpuE13ELNS1_3repE0EEENS1_52radix_sort_onesweep_histogram_config_static_selectorELNS0_4arch9wavefront6targetE0EEEvSD_,@function
_ZN7rocprim17ROCPRIM_400000_NS6detail17trampoline_kernelINS0_14default_configENS1_35radix_sort_onesweep_config_selectorImNS0_10empty_typeEEEZNS1_34radix_sort_onesweep_global_offsetsIS3_Lb0EPKmPS5_mNS0_19identity_decomposerEEE10hipError_tT1_T2_PT3_SF_jT4_jjP12ihipStream_tbEUlT_E0_NS1_11comp_targetILNS1_3genE6ELNS1_11target_archE950ELNS1_3gpuE13ELNS1_3repE0EEENS1_52radix_sort_onesweep_histogram_config_static_selectorELNS0_4arch9wavefront6targetE0EEEvSD_: ; @_ZN7rocprim17ROCPRIM_400000_NS6detail17trampoline_kernelINS0_14default_configENS1_35radix_sort_onesweep_config_selectorImNS0_10empty_typeEEEZNS1_34radix_sort_onesweep_global_offsetsIS3_Lb0EPKmPS5_mNS0_19identity_decomposerEEE10hipError_tT1_T2_PT3_SF_jT4_jjP12ihipStream_tbEUlT_E0_NS1_11comp_targetILNS1_3genE6ELNS1_11target_archE950ELNS1_3gpuE13ELNS1_3repE0EEENS1_52radix_sort_onesweep_histogram_config_static_selectorELNS0_4arch9wavefront6targetE0EEEvSD_
; %bb.0:
	.section	.rodata,"a",@progbits
	.p2align	6, 0x0
	.amdhsa_kernel _ZN7rocprim17ROCPRIM_400000_NS6detail17trampoline_kernelINS0_14default_configENS1_35radix_sort_onesweep_config_selectorImNS0_10empty_typeEEEZNS1_34radix_sort_onesweep_global_offsetsIS3_Lb0EPKmPS5_mNS0_19identity_decomposerEEE10hipError_tT1_T2_PT3_SF_jT4_jjP12ihipStream_tbEUlT_E0_NS1_11comp_targetILNS1_3genE6ELNS1_11target_archE950ELNS1_3gpuE13ELNS1_3repE0EEENS1_52radix_sort_onesweep_histogram_config_static_selectorELNS0_4arch9wavefront6targetE0EEEvSD_
		.amdhsa_group_segment_fixed_size 0
		.amdhsa_private_segment_fixed_size 0
		.amdhsa_kernarg_size 8
		.amdhsa_user_sgpr_count 2
		.amdhsa_user_sgpr_dispatch_ptr 0
		.amdhsa_user_sgpr_queue_ptr 0
		.amdhsa_user_sgpr_kernarg_segment_ptr 1
		.amdhsa_user_sgpr_dispatch_id 0
		.amdhsa_user_sgpr_kernarg_preload_length 0
		.amdhsa_user_sgpr_kernarg_preload_offset 0
		.amdhsa_user_sgpr_private_segment_size 0
		.amdhsa_wavefront_size32 1
		.amdhsa_uses_dynamic_stack 0
		.amdhsa_enable_private_segment 0
		.amdhsa_system_sgpr_workgroup_id_x 1
		.amdhsa_system_sgpr_workgroup_id_y 0
		.amdhsa_system_sgpr_workgroup_id_z 0
		.amdhsa_system_sgpr_workgroup_info 0
		.amdhsa_system_vgpr_workitem_id 0
		.amdhsa_next_free_vgpr 1
		.amdhsa_next_free_sgpr 1
		.amdhsa_named_barrier_count 0
		.amdhsa_reserve_vcc 0
		.amdhsa_float_round_mode_32 0
		.amdhsa_float_round_mode_16_64 0
		.amdhsa_float_denorm_mode_32 3
		.amdhsa_float_denorm_mode_16_64 3
		.amdhsa_fp16_overflow 0
		.amdhsa_memory_ordered 1
		.amdhsa_forward_progress 1
		.amdhsa_inst_pref_size 0
		.amdhsa_round_robin_scheduling 0
		.amdhsa_exception_fp_ieee_invalid_op 0
		.amdhsa_exception_fp_denorm_src 0
		.amdhsa_exception_fp_ieee_div_zero 0
		.amdhsa_exception_fp_ieee_overflow 0
		.amdhsa_exception_fp_ieee_underflow 0
		.amdhsa_exception_fp_ieee_inexact 0
		.amdhsa_exception_int_div_zero 0
	.end_amdhsa_kernel
	.section	.text._ZN7rocprim17ROCPRIM_400000_NS6detail17trampoline_kernelINS0_14default_configENS1_35radix_sort_onesweep_config_selectorImNS0_10empty_typeEEEZNS1_34radix_sort_onesweep_global_offsetsIS3_Lb0EPKmPS5_mNS0_19identity_decomposerEEE10hipError_tT1_T2_PT3_SF_jT4_jjP12ihipStream_tbEUlT_E0_NS1_11comp_targetILNS1_3genE6ELNS1_11target_archE950ELNS1_3gpuE13ELNS1_3repE0EEENS1_52radix_sort_onesweep_histogram_config_static_selectorELNS0_4arch9wavefront6targetE0EEEvSD_,"axG",@progbits,_ZN7rocprim17ROCPRIM_400000_NS6detail17trampoline_kernelINS0_14default_configENS1_35radix_sort_onesweep_config_selectorImNS0_10empty_typeEEEZNS1_34radix_sort_onesweep_global_offsetsIS3_Lb0EPKmPS5_mNS0_19identity_decomposerEEE10hipError_tT1_T2_PT3_SF_jT4_jjP12ihipStream_tbEUlT_E0_NS1_11comp_targetILNS1_3genE6ELNS1_11target_archE950ELNS1_3gpuE13ELNS1_3repE0EEENS1_52radix_sort_onesweep_histogram_config_static_selectorELNS0_4arch9wavefront6targetE0EEEvSD_,comdat
.Lfunc_end2983:
	.size	_ZN7rocprim17ROCPRIM_400000_NS6detail17trampoline_kernelINS0_14default_configENS1_35radix_sort_onesweep_config_selectorImNS0_10empty_typeEEEZNS1_34radix_sort_onesweep_global_offsetsIS3_Lb0EPKmPS5_mNS0_19identity_decomposerEEE10hipError_tT1_T2_PT3_SF_jT4_jjP12ihipStream_tbEUlT_E0_NS1_11comp_targetILNS1_3genE6ELNS1_11target_archE950ELNS1_3gpuE13ELNS1_3repE0EEENS1_52radix_sort_onesweep_histogram_config_static_selectorELNS0_4arch9wavefront6targetE0EEEvSD_, .Lfunc_end2983-_ZN7rocprim17ROCPRIM_400000_NS6detail17trampoline_kernelINS0_14default_configENS1_35radix_sort_onesweep_config_selectorImNS0_10empty_typeEEEZNS1_34radix_sort_onesweep_global_offsetsIS3_Lb0EPKmPS5_mNS0_19identity_decomposerEEE10hipError_tT1_T2_PT3_SF_jT4_jjP12ihipStream_tbEUlT_E0_NS1_11comp_targetILNS1_3genE6ELNS1_11target_archE950ELNS1_3gpuE13ELNS1_3repE0EEENS1_52radix_sort_onesweep_histogram_config_static_selectorELNS0_4arch9wavefront6targetE0EEEvSD_
                                        ; -- End function
	.set _ZN7rocprim17ROCPRIM_400000_NS6detail17trampoline_kernelINS0_14default_configENS1_35radix_sort_onesweep_config_selectorImNS0_10empty_typeEEEZNS1_34radix_sort_onesweep_global_offsetsIS3_Lb0EPKmPS5_mNS0_19identity_decomposerEEE10hipError_tT1_T2_PT3_SF_jT4_jjP12ihipStream_tbEUlT_E0_NS1_11comp_targetILNS1_3genE6ELNS1_11target_archE950ELNS1_3gpuE13ELNS1_3repE0EEENS1_52radix_sort_onesweep_histogram_config_static_selectorELNS0_4arch9wavefront6targetE0EEEvSD_.num_vgpr, 0
	.set _ZN7rocprim17ROCPRIM_400000_NS6detail17trampoline_kernelINS0_14default_configENS1_35radix_sort_onesweep_config_selectorImNS0_10empty_typeEEEZNS1_34radix_sort_onesweep_global_offsetsIS3_Lb0EPKmPS5_mNS0_19identity_decomposerEEE10hipError_tT1_T2_PT3_SF_jT4_jjP12ihipStream_tbEUlT_E0_NS1_11comp_targetILNS1_3genE6ELNS1_11target_archE950ELNS1_3gpuE13ELNS1_3repE0EEENS1_52radix_sort_onesweep_histogram_config_static_selectorELNS0_4arch9wavefront6targetE0EEEvSD_.num_agpr, 0
	.set _ZN7rocprim17ROCPRIM_400000_NS6detail17trampoline_kernelINS0_14default_configENS1_35radix_sort_onesweep_config_selectorImNS0_10empty_typeEEEZNS1_34radix_sort_onesweep_global_offsetsIS3_Lb0EPKmPS5_mNS0_19identity_decomposerEEE10hipError_tT1_T2_PT3_SF_jT4_jjP12ihipStream_tbEUlT_E0_NS1_11comp_targetILNS1_3genE6ELNS1_11target_archE950ELNS1_3gpuE13ELNS1_3repE0EEENS1_52radix_sort_onesweep_histogram_config_static_selectorELNS0_4arch9wavefront6targetE0EEEvSD_.numbered_sgpr, 0
	.set _ZN7rocprim17ROCPRIM_400000_NS6detail17trampoline_kernelINS0_14default_configENS1_35radix_sort_onesweep_config_selectorImNS0_10empty_typeEEEZNS1_34radix_sort_onesweep_global_offsetsIS3_Lb0EPKmPS5_mNS0_19identity_decomposerEEE10hipError_tT1_T2_PT3_SF_jT4_jjP12ihipStream_tbEUlT_E0_NS1_11comp_targetILNS1_3genE6ELNS1_11target_archE950ELNS1_3gpuE13ELNS1_3repE0EEENS1_52radix_sort_onesweep_histogram_config_static_selectorELNS0_4arch9wavefront6targetE0EEEvSD_.num_named_barrier, 0
	.set _ZN7rocprim17ROCPRIM_400000_NS6detail17trampoline_kernelINS0_14default_configENS1_35radix_sort_onesweep_config_selectorImNS0_10empty_typeEEEZNS1_34radix_sort_onesweep_global_offsetsIS3_Lb0EPKmPS5_mNS0_19identity_decomposerEEE10hipError_tT1_T2_PT3_SF_jT4_jjP12ihipStream_tbEUlT_E0_NS1_11comp_targetILNS1_3genE6ELNS1_11target_archE950ELNS1_3gpuE13ELNS1_3repE0EEENS1_52radix_sort_onesweep_histogram_config_static_selectorELNS0_4arch9wavefront6targetE0EEEvSD_.private_seg_size, 0
	.set _ZN7rocprim17ROCPRIM_400000_NS6detail17trampoline_kernelINS0_14default_configENS1_35radix_sort_onesweep_config_selectorImNS0_10empty_typeEEEZNS1_34radix_sort_onesweep_global_offsetsIS3_Lb0EPKmPS5_mNS0_19identity_decomposerEEE10hipError_tT1_T2_PT3_SF_jT4_jjP12ihipStream_tbEUlT_E0_NS1_11comp_targetILNS1_3genE6ELNS1_11target_archE950ELNS1_3gpuE13ELNS1_3repE0EEENS1_52radix_sort_onesweep_histogram_config_static_selectorELNS0_4arch9wavefront6targetE0EEEvSD_.uses_vcc, 0
	.set _ZN7rocprim17ROCPRIM_400000_NS6detail17trampoline_kernelINS0_14default_configENS1_35radix_sort_onesweep_config_selectorImNS0_10empty_typeEEEZNS1_34radix_sort_onesweep_global_offsetsIS3_Lb0EPKmPS5_mNS0_19identity_decomposerEEE10hipError_tT1_T2_PT3_SF_jT4_jjP12ihipStream_tbEUlT_E0_NS1_11comp_targetILNS1_3genE6ELNS1_11target_archE950ELNS1_3gpuE13ELNS1_3repE0EEENS1_52radix_sort_onesweep_histogram_config_static_selectorELNS0_4arch9wavefront6targetE0EEEvSD_.uses_flat_scratch, 0
	.set _ZN7rocprim17ROCPRIM_400000_NS6detail17trampoline_kernelINS0_14default_configENS1_35radix_sort_onesweep_config_selectorImNS0_10empty_typeEEEZNS1_34radix_sort_onesweep_global_offsetsIS3_Lb0EPKmPS5_mNS0_19identity_decomposerEEE10hipError_tT1_T2_PT3_SF_jT4_jjP12ihipStream_tbEUlT_E0_NS1_11comp_targetILNS1_3genE6ELNS1_11target_archE950ELNS1_3gpuE13ELNS1_3repE0EEENS1_52radix_sort_onesweep_histogram_config_static_selectorELNS0_4arch9wavefront6targetE0EEEvSD_.has_dyn_sized_stack, 0
	.set _ZN7rocprim17ROCPRIM_400000_NS6detail17trampoline_kernelINS0_14default_configENS1_35radix_sort_onesweep_config_selectorImNS0_10empty_typeEEEZNS1_34radix_sort_onesweep_global_offsetsIS3_Lb0EPKmPS5_mNS0_19identity_decomposerEEE10hipError_tT1_T2_PT3_SF_jT4_jjP12ihipStream_tbEUlT_E0_NS1_11comp_targetILNS1_3genE6ELNS1_11target_archE950ELNS1_3gpuE13ELNS1_3repE0EEENS1_52radix_sort_onesweep_histogram_config_static_selectorELNS0_4arch9wavefront6targetE0EEEvSD_.has_recursion, 0
	.set _ZN7rocprim17ROCPRIM_400000_NS6detail17trampoline_kernelINS0_14default_configENS1_35radix_sort_onesweep_config_selectorImNS0_10empty_typeEEEZNS1_34radix_sort_onesweep_global_offsetsIS3_Lb0EPKmPS5_mNS0_19identity_decomposerEEE10hipError_tT1_T2_PT3_SF_jT4_jjP12ihipStream_tbEUlT_E0_NS1_11comp_targetILNS1_3genE6ELNS1_11target_archE950ELNS1_3gpuE13ELNS1_3repE0EEENS1_52radix_sort_onesweep_histogram_config_static_selectorELNS0_4arch9wavefront6targetE0EEEvSD_.has_indirect_call, 0
	.section	.AMDGPU.csdata,"",@progbits
; Kernel info:
; codeLenInByte = 0
; TotalNumSgprs: 0
; NumVgprs: 0
; ScratchSize: 0
; MemoryBound: 0
; FloatMode: 240
; IeeeMode: 1
; LDSByteSize: 0 bytes/workgroup (compile time only)
; SGPRBlocks: 0
; VGPRBlocks: 0
; NumSGPRsForWavesPerEU: 1
; NumVGPRsForWavesPerEU: 1
; NamedBarCnt: 0
; Occupancy: 16
; WaveLimiterHint : 0
; COMPUTE_PGM_RSRC2:SCRATCH_EN: 0
; COMPUTE_PGM_RSRC2:USER_SGPR: 2
; COMPUTE_PGM_RSRC2:TRAP_HANDLER: 0
; COMPUTE_PGM_RSRC2:TGID_X_EN: 1
; COMPUTE_PGM_RSRC2:TGID_Y_EN: 0
; COMPUTE_PGM_RSRC2:TGID_Z_EN: 0
; COMPUTE_PGM_RSRC2:TIDIG_COMP_CNT: 0
	.section	.text._ZN7rocprim17ROCPRIM_400000_NS6detail17trampoline_kernelINS0_14default_configENS1_35radix_sort_onesweep_config_selectorImNS0_10empty_typeEEEZNS1_34radix_sort_onesweep_global_offsetsIS3_Lb0EPKmPS5_mNS0_19identity_decomposerEEE10hipError_tT1_T2_PT3_SF_jT4_jjP12ihipStream_tbEUlT_E0_NS1_11comp_targetILNS1_3genE5ELNS1_11target_archE942ELNS1_3gpuE9ELNS1_3repE0EEENS1_52radix_sort_onesweep_histogram_config_static_selectorELNS0_4arch9wavefront6targetE0EEEvSD_,"axG",@progbits,_ZN7rocprim17ROCPRIM_400000_NS6detail17trampoline_kernelINS0_14default_configENS1_35radix_sort_onesweep_config_selectorImNS0_10empty_typeEEEZNS1_34radix_sort_onesweep_global_offsetsIS3_Lb0EPKmPS5_mNS0_19identity_decomposerEEE10hipError_tT1_T2_PT3_SF_jT4_jjP12ihipStream_tbEUlT_E0_NS1_11comp_targetILNS1_3genE5ELNS1_11target_archE942ELNS1_3gpuE9ELNS1_3repE0EEENS1_52radix_sort_onesweep_histogram_config_static_selectorELNS0_4arch9wavefront6targetE0EEEvSD_,comdat
	.protected	_ZN7rocprim17ROCPRIM_400000_NS6detail17trampoline_kernelINS0_14default_configENS1_35radix_sort_onesweep_config_selectorImNS0_10empty_typeEEEZNS1_34radix_sort_onesweep_global_offsetsIS3_Lb0EPKmPS5_mNS0_19identity_decomposerEEE10hipError_tT1_T2_PT3_SF_jT4_jjP12ihipStream_tbEUlT_E0_NS1_11comp_targetILNS1_3genE5ELNS1_11target_archE942ELNS1_3gpuE9ELNS1_3repE0EEENS1_52radix_sort_onesweep_histogram_config_static_selectorELNS0_4arch9wavefront6targetE0EEEvSD_ ; -- Begin function _ZN7rocprim17ROCPRIM_400000_NS6detail17trampoline_kernelINS0_14default_configENS1_35radix_sort_onesweep_config_selectorImNS0_10empty_typeEEEZNS1_34radix_sort_onesweep_global_offsetsIS3_Lb0EPKmPS5_mNS0_19identity_decomposerEEE10hipError_tT1_T2_PT3_SF_jT4_jjP12ihipStream_tbEUlT_E0_NS1_11comp_targetILNS1_3genE5ELNS1_11target_archE942ELNS1_3gpuE9ELNS1_3repE0EEENS1_52radix_sort_onesweep_histogram_config_static_selectorELNS0_4arch9wavefront6targetE0EEEvSD_
	.globl	_ZN7rocprim17ROCPRIM_400000_NS6detail17trampoline_kernelINS0_14default_configENS1_35radix_sort_onesweep_config_selectorImNS0_10empty_typeEEEZNS1_34radix_sort_onesweep_global_offsetsIS3_Lb0EPKmPS5_mNS0_19identity_decomposerEEE10hipError_tT1_T2_PT3_SF_jT4_jjP12ihipStream_tbEUlT_E0_NS1_11comp_targetILNS1_3genE5ELNS1_11target_archE942ELNS1_3gpuE9ELNS1_3repE0EEENS1_52radix_sort_onesweep_histogram_config_static_selectorELNS0_4arch9wavefront6targetE0EEEvSD_
	.p2align	8
	.type	_ZN7rocprim17ROCPRIM_400000_NS6detail17trampoline_kernelINS0_14default_configENS1_35radix_sort_onesweep_config_selectorImNS0_10empty_typeEEEZNS1_34radix_sort_onesweep_global_offsetsIS3_Lb0EPKmPS5_mNS0_19identity_decomposerEEE10hipError_tT1_T2_PT3_SF_jT4_jjP12ihipStream_tbEUlT_E0_NS1_11comp_targetILNS1_3genE5ELNS1_11target_archE942ELNS1_3gpuE9ELNS1_3repE0EEENS1_52radix_sort_onesweep_histogram_config_static_selectorELNS0_4arch9wavefront6targetE0EEEvSD_,@function
_ZN7rocprim17ROCPRIM_400000_NS6detail17trampoline_kernelINS0_14default_configENS1_35radix_sort_onesweep_config_selectorImNS0_10empty_typeEEEZNS1_34radix_sort_onesweep_global_offsetsIS3_Lb0EPKmPS5_mNS0_19identity_decomposerEEE10hipError_tT1_T2_PT3_SF_jT4_jjP12ihipStream_tbEUlT_E0_NS1_11comp_targetILNS1_3genE5ELNS1_11target_archE942ELNS1_3gpuE9ELNS1_3repE0EEENS1_52radix_sort_onesweep_histogram_config_static_selectorELNS0_4arch9wavefront6targetE0EEEvSD_: ; @_ZN7rocprim17ROCPRIM_400000_NS6detail17trampoline_kernelINS0_14default_configENS1_35radix_sort_onesweep_config_selectorImNS0_10empty_typeEEEZNS1_34radix_sort_onesweep_global_offsetsIS3_Lb0EPKmPS5_mNS0_19identity_decomposerEEE10hipError_tT1_T2_PT3_SF_jT4_jjP12ihipStream_tbEUlT_E0_NS1_11comp_targetILNS1_3genE5ELNS1_11target_archE942ELNS1_3gpuE9ELNS1_3repE0EEENS1_52radix_sort_onesweep_histogram_config_static_selectorELNS0_4arch9wavefront6targetE0EEEvSD_
; %bb.0:
	.section	.rodata,"a",@progbits
	.p2align	6, 0x0
	.amdhsa_kernel _ZN7rocprim17ROCPRIM_400000_NS6detail17trampoline_kernelINS0_14default_configENS1_35radix_sort_onesweep_config_selectorImNS0_10empty_typeEEEZNS1_34radix_sort_onesweep_global_offsetsIS3_Lb0EPKmPS5_mNS0_19identity_decomposerEEE10hipError_tT1_T2_PT3_SF_jT4_jjP12ihipStream_tbEUlT_E0_NS1_11comp_targetILNS1_3genE5ELNS1_11target_archE942ELNS1_3gpuE9ELNS1_3repE0EEENS1_52radix_sort_onesweep_histogram_config_static_selectorELNS0_4arch9wavefront6targetE0EEEvSD_
		.amdhsa_group_segment_fixed_size 0
		.amdhsa_private_segment_fixed_size 0
		.amdhsa_kernarg_size 8
		.amdhsa_user_sgpr_count 2
		.amdhsa_user_sgpr_dispatch_ptr 0
		.amdhsa_user_sgpr_queue_ptr 0
		.amdhsa_user_sgpr_kernarg_segment_ptr 1
		.amdhsa_user_sgpr_dispatch_id 0
		.amdhsa_user_sgpr_kernarg_preload_length 0
		.amdhsa_user_sgpr_kernarg_preload_offset 0
		.amdhsa_user_sgpr_private_segment_size 0
		.amdhsa_wavefront_size32 1
		.amdhsa_uses_dynamic_stack 0
		.amdhsa_enable_private_segment 0
		.amdhsa_system_sgpr_workgroup_id_x 1
		.amdhsa_system_sgpr_workgroup_id_y 0
		.amdhsa_system_sgpr_workgroup_id_z 0
		.amdhsa_system_sgpr_workgroup_info 0
		.amdhsa_system_vgpr_workitem_id 0
		.amdhsa_next_free_vgpr 1
		.amdhsa_next_free_sgpr 1
		.amdhsa_named_barrier_count 0
		.amdhsa_reserve_vcc 0
		.amdhsa_float_round_mode_32 0
		.amdhsa_float_round_mode_16_64 0
		.amdhsa_float_denorm_mode_32 3
		.amdhsa_float_denorm_mode_16_64 3
		.amdhsa_fp16_overflow 0
		.amdhsa_memory_ordered 1
		.amdhsa_forward_progress 1
		.amdhsa_inst_pref_size 0
		.amdhsa_round_robin_scheduling 0
		.amdhsa_exception_fp_ieee_invalid_op 0
		.amdhsa_exception_fp_denorm_src 0
		.amdhsa_exception_fp_ieee_div_zero 0
		.amdhsa_exception_fp_ieee_overflow 0
		.amdhsa_exception_fp_ieee_underflow 0
		.amdhsa_exception_fp_ieee_inexact 0
		.amdhsa_exception_int_div_zero 0
	.end_amdhsa_kernel
	.section	.text._ZN7rocprim17ROCPRIM_400000_NS6detail17trampoline_kernelINS0_14default_configENS1_35radix_sort_onesweep_config_selectorImNS0_10empty_typeEEEZNS1_34radix_sort_onesweep_global_offsetsIS3_Lb0EPKmPS5_mNS0_19identity_decomposerEEE10hipError_tT1_T2_PT3_SF_jT4_jjP12ihipStream_tbEUlT_E0_NS1_11comp_targetILNS1_3genE5ELNS1_11target_archE942ELNS1_3gpuE9ELNS1_3repE0EEENS1_52radix_sort_onesweep_histogram_config_static_selectorELNS0_4arch9wavefront6targetE0EEEvSD_,"axG",@progbits,_ZN7rocprim17ROCPRIM_400000_NS6detail17trampoline_kernelINS0_14default_configENS1_35radix_sort_onesweep_config_selectorImNS0_10empty_typeEEEZNS1_34radix_sort_onesweep_global_offsetsIS3_Lb0EPKmPS5_mNS0_19identity_decomposerEEE10hipError_tT1_T2_PT3_SF_jT4_jjP12ihipStream_tbEUlT_E0_NS1_11comp_targetILNS1_3genE5ELNS1_11target_archE942ELNS1_3gpuE9ELNS1_3repE0EEENS1_52radix_sort_onesweep_histogram_config_static_selectorELNS0_4arch9wavefront6targetE0EEEvSD_,comdat
.Lfunc_end2984:
	.size	_ZN7rocprim17ROCPRIM_400000_NS6detail17trampoline_kernelINS0_14default_configENS1_35radix_sort_onesweep_config_selectorImNS0_10empty_typeEEEZNS1_34radix_sort_onesweep_global_offsetsIS3_Lb0EPKmPS5_mNS0_19identity_decomposerEEE10hipError_tT1_T2_PT3_SF_jT4_jjP12ihipStream_tbEUlT_E0_NS1_11comp_targetILNS1_3genE5ELNS1_11target_archE942ELNS1_3gpuE9ELNS1_3repE0EEENS1_52radix_sort_onesweep_histogram_config_static_selectorELNS0_4arch9wavefront6targetE0EEEvSD_, .Lfunc_end2984-_ZN7rocprim17ROCPRIM_400000_NS6detail17trampoline_kernelINS0_14default_configENS1_35radix_sort_onesweep_config_selectorImNS0_10empty_typeEEEZNS1_34radix_sort_onesweep_global_offsetsIS3_Lb0EPKmPS5_mNS0_19identity_decomposerEEE10hipError_tT1_T2_PT3_SF_jT4_jjP12ihipStream_tbEUlT_E0_NS1_11comp_targetILNS1_3genE5ELNS1_11target_archE942ELNS1_3gpuE9ELNS1_3repE0EEENS1_52radix_sort_onesweep_histogram_config_static_selectorELNS0_4arch9wavefront6targetE0EEEvSD_
                                        ; -- End function
	.set _ZN7rocprim17ROCPRIM_400000_NS6detail17trampoline_kernelINS0_14default_configENS1_35radix_sort_onesweep_config_selectorImNS0_10empty_typeEEEZNS1_34radix_sort_onesweep_global_offsetsIS3_Lb0EPKmPS5_mNS0_19identity_decomposerEEE10hipError_tT1_T2_PT3_SF_jT4_jjP12ihipStream_tbEUlT_E0_NS1_11comp_targetILNS1_3genE5ELNS1_11target_archE942ELNS1_3gpuE9ELNS1_3repE0EEENS1_52radix_sort_onesweep_histogram_config_static_selectorELNS0_4arch9wavefront6targetE0EEEvSD_.num_vgpr, 0
	.set _ZN7rocprim17ROCPRIM_400000_NS6detail17trampoline_kernelINS0_14default_configENS1_35radix_sort_onesweep_config_selectorImNS0_10empty_typeEEEZNS1_34radix_sort_onesweep_global_offsetsIS3_Lb0EPKmPS5_mNS0_19identity_decomposerEEE10hipError_tT1_T2_PT3_SF_jT4_jjP12ihipStream_tbEUlT_E0_NS1_11comp_targetILNS1_3genE5ELNS1_11target_archE942ELNS1_3gpuE9ELNS1_3repE0EEENS1_52radix_sort_onesweep_histogram_config_static_selectorELNS0_4arch9wavefront6targetE0EEEvSD_.num_agpr, 0
	.set _ZN7rocprim17ROCPRIM_400000_NS6detail17trampoline_kernelINS0_14default_configENS1_35radix_sort_onesweep_config_selectorImNS0_10empty_typeEEEZNS1_34radix_sort_onesweep_global_offsetsIS3_Lb0EPKmPS5_mNS0_19identity_decomposerEEE10hipError_tT1_T2_PT3_SF_jT4_jjP12ihipStream_tbEUlT_E0_NS1_11comp_targetILNS1_3genE5ELNS1_11target_archE942ELNS1_3gpuE9ELNS1_3repE0EEENS1_52radix_sort_onesweep_histogram_config_static_selectorELNS0_4arch9wavefront6targetE0EEEvSD_.numbered_sgpr, 0
	.set _ZN7rocprim17ROCPRIM_400000_NS6detail17trampoline_kernelINS0_14default_configENS1_35radix_sort_onesweep_config_selectorImNS0_10empty_typeEEEZNS1_34radix_sort_onesweep_global_offsetsIS3_Lb0EPKmPS5_mNS0_19identity_decomposerEEE10hipError_tT1_T2_PT3_SF_jT4_jjP12ihipStream_tbEUlT_E0_NS1_11comp_targetILNS1_3genE5ELNS1_11target_archE942ELNS1_3gpuE9ELNS1_3repE0EEENS1_52radix_sort_onesweep_histogram_config_static_selectorELNS0_4arch9wavefront6targetE0EEEvSD_.num_named_barrier, 0
	.set _ZN7rocprim17ROCPRIM_400000_NS6detail17trampoline_kernelINS0_14default_configENS1_35radix_sort_onesweep_config_selectorImNS0_10empty_typeEEEZNS1_34radix_sort_onesweep_global_offsetsIS3_Lb0EPKmPS5_mNS0_19identity_decomposerEEE10hipError_tT1_T2_PT3_SF_jT4_jjP12ihipStream_tbEUlT_E0_NS1_11comp_targetILNS1_3genE5ELNS1_11target_archE942ELNS1_3gpuE9ELNS1_3repE0EEENS1_52radix_sort_onesweep_histogram_config_static_selectorELNS0_4arch9wavefront6targetE0EEEvSD_.private_seg_size, 0
	.set _ZN7rocprim17ROCPRIM_400000_NS6detail17trampoline_kernelINS0_14default_configENS1_35radix_sort_onesweep_config_selectorImNS0_10empty_typeEEEZNS1_34radix_sort_onesweep_global_offsetsIS3_Lb0EPKmPS5_mNS0_19identity_decomposerEEE10hipError_tT1_T2_PT3_SF_jT4_jjP12ihipStream_tbEUlT_E0_NS1_11comp_targetILNS1_3genE5ELNS1_11target_archE942ELNS1_3gpuE9ELNS1_3repE0EEENS1_52radix_sort_onesweep_histogram_config_static_selectorELNS0_4arch9wavefront6targetE0EEEvSD_.uses_vcc, 0
	.set _ZN7rocprim17ROCPRIM_400000_NS6detail17trampoline_kernelINS0_14default_configENS1_35radix_sort_onesweep_config_selectorImNS0_10empty_typeEEEZNS1_34radix_sort_onesweep_global_offsetsIS3_Lb0EPKmPS5_mNS0_19identity_decomposerEEE10hipError_tT1_T2_PT3_SF_jT4_jjP12ihipStream_tbEUlT_E0_NS1_11comp_targetILNS1_3genE5ELNS1_11target_archE942ELNS1_3gpuE9ELNS1_3repE0EEENS1_52radix_sort_onesweep_histogram_config_static_selectorELNS0_4arch9wavefront6targetE0EEEvSD_.uses_flat_scratch, 0
	.set _ZN7rocprim17ROCPRIM_400000_NS6detail17trampoline_kernelINS0_14default_configENS1_35radix_sort_onesweep_config_selectorImNS0_10empty_typeEEEZNS1_34radix_sort_onesweep_global_offsetsIS3_Lb0EPKmPS5_mNS0_19identity_decomposerEEE10hipError_tT1_T2_PT3_SF_jT4_jjP12ihipStream_tbEUlT_E0_NS1_11comp_targetILNS1_3genE5ELNS1_11target_archE942ELNS1_3gpuE9ELNS1_3repE0EEENS1_52radix_sort_onesweep_histogram_config_static_selectorELNS0_4arch9wavefront6targetE0EEEvSD_.has_dyn_sized_stack, 0
	.set _ZN7rocprim17ROCPRIM_400000_NS6detail17trampoline_kernelINS0_14default_configENS1_35radix_sort_onesweep_config_selectorImNS0_10empty_typeEEEZNS1_34radix_sort_onesweep_global_offsetsIS3_Lb0EPKmPS5_mNS0_19identity_decomposerEEE10hipError_tT1_T2_PT3_SF_jT4_jjP12ihipStream_tbEUlT_E0_NS1_11comp_targetILNS1_3genE5ELNS1_11target_archE942ELNS1_3gpuE9ELNS1_3repE0EEENS1_52radix_sort_onesweep_histogram_config_static_selectorELNS0_4arch9wavefront6targetE0EEEvSD_.has_recursion, 0
	.set _ZN7rocprim17ROCPRIM_400000_NS6detail17trampoline_kernelINS0_14default_configENS1_35radix_sort_onesweep_config_selectorImNS0_10empty_typeEEEZNS1_34radix_sort_onesweep_global_offsetsIS3_Lb0EPKmPS5_mNS0_19identity_decomposerEEE10hipError_tT1_T2_PT3_SF_jT4_jjP12ihipStream_tbEUlT_E0_NS1_11comp_targetILNS1_3genE5ELNS1_11target_archE942ELNS1_3gpuE9ELNS1_3repE0EEENS1_52radix_sort_onesweep_histogram_config_static_selectorELNS0_4arch9wavefront6targetE0EEEvSD_.has_indirect_call, 0
	.section	.AMDGPU.csdata,"",@progbits
; Kernel info:
; codeLenInByte = 0
; TotalNumSgprs: 0
; NumVgprs: 0
; ScratchSize: 0
; MemoryBound: 0
; FloatMode: 240
; IeeeMode: 1
; LDSByteSize: 0 bytes/workgroup (compile time only)
; SGPRBlocks: 0
; VGPRBlocks: 0
; NumSGPRsForWavesPerEU: 1
; NumVGPRsForWavesPerEU: 1
; NamedBarCnt: 0
; Occupancy: 16
; WaveLimiterHint : 0
; COMPUTE_PGM_RSRC2:SCRATCH_EN: 0
; COMPUTE_PGM_RSRC2:USER_SGPR: 2
; COMPUTE_PGM_RSRC2:TRAP_HANDLER: 0
; COMPUTE_PGM_RSRC2:TGID_X_EN: 1
; COMPUTE_PGM_RSRC2:TGID_Y_EN: 0
; COMPUTE_PGM_RSRC2:TGID_Z_EN: 0
; COMPUTE_PGM_RSRC2:TIDIG_COMP_CNT: 0
	.section	.text._ZN7rocprim17ROCPRIM_400000_NS6detail17trampoline_kernelINS0_14default_configENS1_35radix_sort_onesweep_config_selectorImNS0_10empty_typeEEEZNS1_34radix_sort_onesweep_global_offsetsIS3_Lb0EPKmPS5_mNS0_19identity_decomposerEEE10hipError_tT1_T2_PT3_SF_jT4_jjP12ihipStream_tbEUlT_E0_NS1_11comp_targetILNS1_3genE2ELNS1_11target_archE906ELNS1_3gpuE6ELNS1_3repE0EEENS1_52radix_sort_onesweep_histogram_config_static_selectorELNS0_4arch9wavefront6targetE0EEEvSD_,"axG",@progbits,_ZN7rocprim17ROCPRIM_400000_NS6detail17trampoline_kernelINS0_14default_configENS1_35radix_sort_onesweep_config_selectorImNS0_10empty_typeEEEZNS1_34radix_sort_onesweep_global_offsetsIS3_Lb0EPKmPS5_mNS0_19identity_decomposerEEE10hipError_tT1_T2_PT3_SF_jT4_jjP12ihipStream_tbEUlT_E0_NS1_11comp_targetILNS1_3genE2ELNS1_11target_archE906ELNS1_3gpuE6ELNS1_3repE0EEENS1_52radix_sort_onesweep_histogram_config_static_selectorELNS0_4arch9wavefront6targetE0EEEvSD_,comdat
	.protected	_ZN7rocprim17ROCPRIM_400000_NS6detail17trampoline_kernelINS0_14default_configENS1_35radix_sort_onesweep_config_selectorImNS0_10empty_typeEEEZNS1_34radix_sort_onesweep_global_offsetsIS3_Lb0EPKmPS5_mNS0_19identity_decomposerEEE10hipError_tT1_T2_PT3_SF_jT4_jjP12ihipStream_tbEUlT_E0_NS1_11comp_targetILNS1_3genE2ELNS1_11target_archE906ELNS1_3gpuE6ELNS1_3repE0EEENS1_52radix_sort_onesweep_histogram_config_static_selectorELNS0_4arch9wavefront6targetE0EEEvSD_ ; -- Begin function _ZN7rocprim17ROCPRIM_400000_NS6detail17trampoline_kernelINS0_14default_configENS1_35radix_sort_onesweep_config_selectorImNS0_10empty_typeEEEZNS1_34radix_sort_onesweep_global_offsetsIS3_Lb0EPKmPS5_mNS0_19identity_decomposerEEE10hipError_tT1_T2_PT3_SF_jT4_jjP12ihipStream_tbEUlT_E0_NS1_11comp_targetILNS1_3genE2ELNS1_11target_archE906ELNS1_3gpuE6ELNS1_3repE0EEENS1_52radix_sort_onesweep_histogram_config_static_selectorELNS0_4arch9wavefront6targetE0EEEvSD_
	.globl	_ZN7rocprim17ROCPRIM_400000_NS6detail17trampoline_kernelINS0_14default_configENS1_35radix_sort_onesweep_config_selectorImNS0_10empty_typeEEEZNS1_34radix_sort_onesweep_global_offsetsIS3_Lb0EPKmPS5_mNS0_19identity_decomposerEEE10hipError_tT1_T2_PT3_SF_jT4_jjP12ihipStream_tbEUlT_E0_NS1_11comp_targetILNS1_3genE2ELNS1_11target_archE906ELNS1_3gpuE6ELNS1_3repE0EEENS1_52radix_sort_onesweep_histogram_config_static_selectorELNS0_4arch9wavefront6targetE0EEEvSD_
	.p2align	8
	.type	_ZN7rocprim17ROCPRIM_400000_NS6detail17trampoline_kernelINS0_14default_configENS1_35radix_sort_onesweep_config_selectorImNS0_10empty_typeEEEZNS1_34radix_sort_onesweep_global_offsetsIS3_Lb0EPKmPS5_mNS0_19identity_decomposerEEE10hipError_tT1_T2_PT3_SF_jT4_jjP12ihipStream_tbEUlT_E0_NS1_11comp_targetILNS1_3genE2ELNS1_11target_archE906ELNS1_3gpuE6ELNS1_3repE0EEENS1_52radix_sort_onesweep_histogram_config_static_selectorELNS0_4arch9wavefront6targetE0EEEvSD_,@function
_ZN7rocprim17ROCPRIM_400000_NS6detail17trampoline_kernelINS0_14default_configENS1_35radix_sort_onesweep_config_selectorImNS0_10empty_typeEEEZNS1_34radix_sort_onesweep_global_offsetsIS3_Lb0EPKmPS5_mNS0_19identity_decomposerEEE10hipError_tT1_T2_PT3_SF_jT4_jjP12ihipStream_tbEUlT_E0_NS1_11comp_targetILNS1_3genE2ELNS1_11target_archE906ELNS1_3gpuE6ELNS1_3repE0EEENS1_52radix_sort_onesweep_histogram_config_static_selectorELNS0_4arch9wavefront6targetE0EEEvSD_: ; @_ZN7rocprim17ROCPRIM_400000_NS6detail17trampoline_kernelINS0_14default_configENS1_35radix_sort_onesweep_config_selectorImNS0_10empty_typeEEEZNS1_34radix_sort_onesweep_global_offsetsIS3_Lb0EPKmPS5_mNS0_19identity_decomposerEEE10hipError_tT1_T2_PT3_SF_jT4_jjP12ihipStream_tbEUlT_E0_NS1_11comp_targetILNS1_3genE2ELNS1_11target_archE906ELNS1_3gpuE6ELNS1_3repE0EEENS1_52radix_sort_onesweep_histogram_config_static_selectorELNS0_4arch9wavefront6targetE0EEEvSD_
; %bb.0:
	.section	.rodata,"a",@progbits
	.p2align	6, 0x0
	.amdhsa_kernel _ZN7rocprim17ROCPRIM_400000_NS6detail17trampoline_kernelINS0_14default_configENS1_35radix_sort_onesweep_config_selectorImNS0_10empty_typeEEEZNS1_34radix_sort_onesweep_global_offsetsIS3_Lb0EPKmPS5_mNS0_19identity_decomposerEEE10hipError_tT1_T2_PT3_SF_jT4_jjP12ihipStream_tbEUlT_E0_NS1_11comp_targetILNS1_3genE2ELNS1_11target_archE906ELNS1_3gpuE6ELNS1_3repE0EEENS1_52radix_sort_onesweep_histogram_config_static_selectorELNS0_4arch9wavefront6targetE0EEEvSD_
		.amdhsa_group_segment_fixed_size 0
		.amdhsa_private_segment_fixed_size 0
		.amdhsa_kernarg_size 8
		.amdhsa_user_sgpr_count 2
		.amdhsa_user_sgpr_dispatch_ptr 0
		.amdhsa_user_sgpr_queue_ptr 0
		.amdhsa_user_sgpr_kernarg_segment_ptr 1
		.amdhsa_user_sgpr_dispatch_id 0
		.amdhsa_user_sgpr_kernarg_preload_length 0
		.amdhsa_user_sgpr_kernarg_preload_offset 0
		.amdhsa_user_sgpr_private_segment_size 0
		.amdhsa_wavefront_size32 1
		.amdhsa_uses_dynamic_stack 0
		.amdhsa_enable_private_segment 0
		.amdhsa_system_sgpr_workgroup_id_x 1
		.amdhsa_system_sgpr_workgroup_id_y 0
		.amdhsa_system_sgpr_workgroup_id_z 0
		.amdhsa_system_sgpr_workgroup_info 0
		.amdhsa_system_vgpr_workitem_id 0
		.amdhsa_next_free_vgpr 1
		.amdhsa_next_free_sgpr 1
		.amdhsa_named_barrier_count 0
		.amdhsa_reserve_vcc 0
		.amdhsa_float_round_mode_32 0
		.amdhsa_float_round_mode_16_64 0
		.amdhsa_float_denorm_mode_32 3
		.amdhsa_float_denorm_mode_16_64 3
		.amdhsa_fp16_overflow 0
		.amdhsa_memory_ordered 1
		.amdhsa_forward_progress 1
		.amdhsa_inst_pref_size 0
		.amdhsa_round_robin_scheduling 0
		.amdhsa_exception_fp_ieee_invalid_op 0
		.amdhsa_exception_fp_denorm_src 0
		.amdhsa_exception_fp_ieee_div_zero 0
		.amdhsa_exception_fp_ieee_overflow 0
		.amdhsa_exception_fp_ieee_underflow 0
		.amdhsa_exception_fp_ieee_inexact 0
		.amdhsa_exception_int_div_zero 0
	.end_amdhsa_kernel
	.section	.text._ZN7rocprim17ROCPRIM_400000_NS6detail17trampoline_kernelINS0_14default_configENS1_35radix_sort_onesweep_config_selectorImNS0_10empty_typeEEEZNS1_34radix_sort_onesweep_global_offsetsIS3_Lb0EPKmPS5_mNS0_19identity_decomposerEEE10hipError_tT1_T2_PT3_SF_jT4_jjP12ihipStream_tbEUlT_E0_NS1_11comp_targetILNS1_3genE2ELNS1_11target_archE906ELNS1_3gpuE6ELNS1_3repE0EEENS1_52radix_sort_onesweep_histogram_config_static_selectorELNS0_4arch9wavefront6targetE0EEEvSD_,"axG",@progbits,_ZN7rocprim17ROCPRIM_400000_NS6detail17trampoline_kernelINS0_14default_configENS1_35radix_sort_onesweep_config_selectorImNS0_10empty_typeEEEZNS1_34radix_sort_onesweep_global_offsetsIS3_Lb0EPKmPS5_mNS0_19identity_decomposerEEE10hipError_tT1_T2_PT3_SF_jT4_jjP12ihipStream_tbEUlT_E0_NS1_11comp_targetILNS1_3genE2ELNS1_11target_archE906ELNS1_3gpuE6ELNS1_3repE0EEENS1_52radix_sort_onesweep_histogram_config_static_selectorELNS0_4arch9wavefront6targetE0EEEvSD_,comdat
.Lfunc_end2985:
	.size	_ZN7rocprim17ROCPRIM_400000_NS6detail17trampoline_kernelINS0_14default_configENS1_35radix_sort_onesweep_config_selectorImNS0_10empty_typeEEEZNS1_34radix_sort_onesweep_global_offsetsIS3_Lb0EPKmPS5_mNS0_19identity_decomposerEEE10hipError_tT1_T2_PT3_SF_jT4_jjP12ihipStream_tbEUlT_E0_NS1_11comp_targetILNS1_3genE2ELNS1_11target_archE906ELNS1_3gpuE6ELNS1_3repE0EEENS1_52radix_sort_onesweep_histogram_config_static_selectorELNS0_4arch9wavefront6targetE0EEEvSD_, .Lfunc_end2985-_ZN7rocprim17ROCPRIM_400000_NS6detail17trampoline_kernelINS0_14default_configENS1_35radix_sort_onesweep_config_selectorImNS0_10empty_typeEEEZNS1_34radix_sort_onesweep_global_offsetsIS3_Lb0EPKmPS5_mNS0_19identity_decomposerEEE10hipError_tT1_T2_PT3_SF_jT4_jjP12ihipStream_tbEUlT_E0_NS1_11comp_targetILNS1_3genE2ELNS1_11target_archE906ELNS1_3gpuE6ELNS1_3repE0EEENS1_52radix_sort_onesweep_histogram_config_static_selectorELNS0_4arch9wavefront6targetE0EEEvSD_
                                        ; -- End function
	.set _ZN7rocprim17ROCPRIM_400000_NS6detail17trampoline_kernelINS0_14default_configENS1_35radix_sort_onesweep_config_selectorImNS0_10empty_typeEEEZNS1_34radix_sort_onesweep_global_offsetsIS3_Lb0EPKmPS5_mNS0_19identity_decomposerEEE10hipError_tT1_T2_PT3_SF_jT4_jjP12ihipStream_tbEUlT_E0_NS1_11comp_targetILNS1_3genE2ELNS1_11target_archE906ELNS1_3gpuE6ELNS1_3repE0EEENS1_52radix_sort_onesweep_histogram_config_static_selectorELNS0_4arch9wavefront6targetE0EEEvSD_.num_vgpr, 0
	.set _ZN7rocprim17ROCPRIM_400000_NS6detail17trampoline_kernelINS0_14default_configENS1_35radix_sort_onesweep_config_selectorImNS0_10empty_typeEEEZNS1_34radix_sort_onesweep_global_offsetsIS3_Lb0EPKmPS5_mNS0_19identity_decomposerEEE10hipError_tT1_T2_PT3_SF_jT4_jjP12ihipStream_tbEUlT_E0_NS1_11comp_targetILNS1_3genE2ELNS1_11target_archE906ELNS1_3gpuE6ELNS1_3repE0EEENS1_52radix_sort_onesweep_histogram_config_static_selectorELNS0_4arch9wavefront6targetE0EEEvSD_.num_agpr, 0
	.set _ZN7rocprim17ROCPRIM_400000_NS6detail17trampoline_kernelINS0_14default_configENS1_35radix_sort_onesweep_config_selectorImNS0_10empty_typeEEEZNS1_34radix_sort_onesweep_global_offsetsIS3_Lb0EPKmPS5_mNS0_19identity_decomposerEEE10hipError_tT1_T2_PT3_SF_jT4_jjP12ihipStream_tbEUlT_E0_NS1_11comp_targetILNS1_3genE2ELNS1_11target_archE906ELNS1_3gpuE6ELNS1_3repE0EEENS1_52radix_sort_onesweep_histogram_config_static_selectorELNS0_4arch9wavefront6targetE0EEEvSD_.numbered_sgpr, 0
	.set _ZN7rocprim17ROCPRIM_400000_NS6detail17trampoline_kernelINS0_14default_configENS1_35radix_sort_onesweep_config_selectorImNS0_10empty_typeEEEZNS1_34radix_sort_onesweep_global_offsetsIS3_Lb0EPKmPS5_mNS0_19identity_decomposerEEE10hipError_tT1_T2_PT3_SF_jT4_jjP12ihipStream_tbEUlT_E0_NS1_11comp_targetILNS1_3genE2ELNS1_11target_archE906ELNS1_3gpuE6ELNS1_3repE0EEENS1_52radix_sort_onesweep_histogram_config_static_selectorELNS0_4arch9wavefront6targetE0EEEvSD_.num_named_barrier, 0
	.set _ZN7rocprim17ROCPRIM_400000_NS6detail17trampoline_kernelINS0_14default_configENS1_35radix_sort_onesweep_config_selectorImNS0_10empty_typeEEEZNS1_34radix_sort_onesweep_global_offsetsIS3_Lb0EPKmPS5_mNS0_19identity_decomposerEEE10hipError_tT1_T2_PT3_SF_jT4_jjP12ihipStream_tbEUlT_E0_NS1_11comp_targetILNS1_3genE2ELNS1_11target_archE906ELNS1_3gpuE6ELNS1_3repE0EEENS1_52radix_sort_onesweep_histogram_config_static_selectorELNS0_4arch9wavefront6targetE0EEEvSD_.private_seg_size, 0
	.set _ZN7rocprim17ROCPRIM_400000_NS6detail17trampoline_kernelINS0_14default_configENS1_35radix_sort_onesweep_config_selectorImNS0_10empty_typeEEEZNS1_34radix_sort_onesweep_global_offsetsIS3_Lb0EPKmPS5_mNS0_19identity_decomposerEEE10hipError_tT1_T2_PT3_SF_jT4_jjP12ihipStream_tbEUlT_E0_NS1_11comp_targetILNS1_3genE2ELNS1_11target_archE906ELNS1_3gpuE6ELNS1_3repE0EEENS1_52radix_sort_onesweep_histogram_config_static_selectorELNS0_4arch9wavefront6targetE0EEEvSD_.uses_vcc, 0
	.set _ZN7rocprim17ROCPRIM_400000_NS6detail17trampoline_kernelINS0_14default_configENS1_35radix_sort_onesweep_config_selectorImNS0_10empty_typeEEEZNS1_34radix_sort_onesweep_global_offsetsIS3_Lb0EPKmPS5_mNS0_19identity_decomposerEEE10hipError_tT1_T2_PT3_SF_jT4_jjP12ihipStream_tbEUlT_E0_NS1_11comp_targetILNS1_3genE2ELNS1_11target_archE906ELNS1_3gpuE6ELNS1_3repE0EEENS1_52radix_sort_onesweep_histogram_config_static_selectorELNS0_4arch9wavefront6targetE0EEEvSD_.uses_flat_scratch, 0
	.set _ZN7rocprim17ROCPRIM_400000_NS6detail17trampoline_kernelINS0_14default_configENS1_35radix_sort_onesweep_config_selectorImNS0_10empty_typeEEEZNS1_34radix_sort_onesweep_global_offsetsIS3_Lb0EPKmPS5_mNS0_19identity_decomposerEEE10hipError_tT1_T2_PT3_SF_jT4_jjP12ihipStream_tbEUlT_E0_NS1_11comp_targetILNS1_3genE2ELNS1_11target_archE906ELNS1_3gpuE6ELNS1_3repE0EEENS1_52radix_sort_onesweep_histogram_config_static_selectorELNS0_4arch9wavefront6targetE0EEEvSD_.has_dyn_sized_stack, 0
	.set _ZN7rocprim17ROCPRIM_400000_NS6detail17trampoline_kernelINS0_14default_configENS1_35radix_sort_onesweep_config_selectorImNS0_10empty_typeEEEZNS1_34radix_sort_onesweep_global_offsetsIS3_Lb0EPKmPS5_mNS0_19identity_decomposerEEE10hipError_tT1_T2_PT3_SF_jT4_jjP12ihipStream_tbEUlT_E0_NS1_11comp_targetILNS1_3genE2ELNS1_11target_archE906ELNS1_3gpuE6ELNS1_3repE0EEENS1_52radix_sort_onesweep_histogram_config_static_selectorELNS0_4arch9wavefront6targetE0EEEvSD_.has_recursion, 0
	.set _ZN7rocprim17ROCPRIM_400000_NS6detail17trampoline_kernelINS0_14default_configENS1_35radix_sort_onesweep_config_selectorImNS0_10empty_typeEEEZNS1_34radix_sort_onesweep_global_offsetsIS3_Lb0EPKmPS5_mNS0_19identity_decomposerEEE10hipError_tT1_T2_PT3_SF_jT4_jjP12ihipStream_tbEUlT_E0_NS1_11comp_targetILNS1_3genE2ELNS1_11target_archE906ELNS1_3gpuE6ELNS1_3repE0EEENS1_52radix_sort_onesweep_histogram_config_static_selectorELNS0_4arch9wavefront6targetE0EEEvSD_.has_indirect_call, 0
	.section	.AMDGPU.csdata,"",@progbits
; Kernel info:
; codeLenInByte = 0
; TotalNumSgprs: 0
; NumVgprs: 0
; ScratchSize: 0
; MemoryBound: 0
; FloatMode: 240
; IeeeMode: 1
; LDSByteSize: 0 bytes/workgroup (compile time only)
; SGPRBlocks: 0
; VGPRBlocks: 0
; NumSGPRsForWavesPerEU: 1
; NumVGPRsForWavesPerEU: 1
; NamedBarCnt: 0
; Occupancy: 16
; WaveLimiterHint : 0
; COMPUTE_PGM_RSRC2:SCRATCH_EN: 0
; COMPUTE_PGM_RSRC2:USER_SGPR: 2
; COMPUTE_PGM_RSRC2:TRAP_HANDLER: 0
; COMPUTE_PGM_RSRC2:TGID_X_EN: 1
; COMPUTE_PGM_RSRC2:TGID_Y_EN: 0
; COMPUTE_PGM_RSRC2:TGID_Z_EN: 0
; COMPUTE_PGM_RSRC2:TIDIG_COMP_CNT: 0
	.section	.text._ZN7rocprim17ROCPRIM_400000_NS6detail17trampoline_kernelINS0_14default_configENS1_35radix_sort_onesweep_config_selectorImNS0_10empty_typeEEEZNS1_34radix_sort_onesweep_global_offsetsIS3_Lb0EPKmPS5_mNS0_19identity_decomposerEEE10hipError_tT1_T2_PT3_SF_jT4_jjP12ihipStream_tbEUlT_E0_NS1_11comp_targetILNS1_3genE4ELNS1_11target_archE910ELNS1_3gpuE8ELNS1_3repE0EEENS1_52radix_sort_onesweep_histogram_config_static_selectorELNS0_4arch9wavefront6targetE0EEEvSD_,"axG",@progbits,_ZN7rocprim17ROCPRIM_400000_NS6detail17trampoline_kernelINS0_14default_configENS1_35radix_sort_onesweep_config_selectorImNS0_10empty_typeEEEZNS1_34radix_sort_onesweep_global_offsetsIS3_Lb0EPKmPS5_mNS0_19identity_decomposerEEE10hipError_tT1_T2_PT3_SF_jT4_jjP12ihipStream_tbEUlT_E0_NS1_11comp_targetILNS1_3genE4ELNS1_11target_archE910ELNS1_3gpuE8ELNS1_3repE0EEENS1_52radix_sort_onesweep_histogram_config_static_selectorELNS0_4arch9wavefront6targetE0EEEvSD_,comdat
	.protected	_ZN7rocprim17ROCPRIM_400000_NS6detail17trampoline_kernelINS0_14default_configENS1_35radix_sort_onesweep_config_selectorImNS0_10empty_typeEEEZNS1_34radix_sort_onesweep_global_offsetsIS3_Lb0EPKmPS5_mNS0_19identity_decomposerEEE10hipError_tT1_T2_PT3_SF_jT4_jjP12ihipStream_tbEUlT_E0_NS1_11comp_targetILNS1_3genE4ELNS1_11target_archE910ELNS1_3gpuE8ELNS1_3repE0EEENS1_52radix_sort_onesweep_histogram_config_static_selectorELNS0_4arch9wavefront6targetE0EEEvSD_ ; -- Begin function _ZN7rocprim17ROCPRIM_400000_NS6detail17trampoline_kernelINS0_14default_configENS1_35radix_sort_onesweep_config_selectorImNS0_10empty_typeEEEZNS1_34radix_sort_onesweep_global_offsetsIS3_Lb0EPKmPS5_mNS0_19identity_decomposerEEE10hipError_tT1_T2_PT3_SF_jT4_jjP12ihipStream_tbEUlT_E0_NS1_11comp_targetILNS1_3genE4ELNS1_11target_archE910ELNS1_3gpuE8ELNS1_3repE0EEENS1_52radix_sort_onesweep_histogram_config_static_selectorELNS0_4arch9wavefront6targetE0EEEvSD_
	.globl	_ZN7rocprim17ROCPRIM_400000_NS6detail17trampoline_kernelINS0_14default_configENS1_35radix_sort_onesweep_config_selectorImNS0_10empty_typeEEEZNS1_34radix_sort_onesweep_global_offsetsIS3_Lb0EPKmPS5_mNS0_19identity_decomposerEEE10hipError_tT1_T2_PT3_SF_jT4_jjP12ihipStream_tbEUlT_E0_NS1_11comp_targetILNS1_3genE4ELNS1_11target_archE910ELNS1_3gpuE8ELNS1_3repE0EEENS1_52radix_sort_onesweep_histogram_config_static_selectorELNS0_4arch9wavefront6targetE0EEEvSD_
	.p2align	8
	.type	_ZN7rocprim17ROCPRIM_400000_NS6detail17trampoline_kernelINS0_14default_configENS1_35radix_sort_onesweep_config_selectorImNS0_10empty_typeEEEZNS1_34radix_sort_onesweep_global_offsetsIS3_Lb0EPKmPS5_mNS0_19identity_decomposerEEE10hipError_tT1_T2_PT3_SF_jT4_jjP12ihipStream_tbEUlT_E0_NS1_11comp_targetILNS1_3genE4ELNS1_11target_archE910ELNS1_3gpuE8ELNS1_3repE0EEENS1_52radix_sort_onesweep_histogram_config_static_selectorELNS0_4arch9wavefront6targetE0EEEvSD_,@function
_ZN7rocprim17ROCPRIM_400000_NS6detail17trampoline_kernelINS0_14default_configENS1_35radix_sort_onesweep_config_selectorImNS0_10empty_typeEEEZNS1_34radix_sort_onesweep_global_offsetsIS3_Lb0EPKmPS5_mNS0_19identity_decomposerEEE10hipError_tT1_T2_PT3_SF_jT4_jjP12ihipStream_tbEUlT_E0_NS1_11comp_targetILNS1_3genE4ELNS1_11target_archE910ELNS1_3gpuE8ELNS1_3repE0EEENS1_52radix_sort_onesweep_histogram_config_static_selectorELNS0_4arch9wavefront6targetE0EEEvSD_: ; @_ZN7rocprim17ROCPRIM_400000_NS6detail17trampoline_kernelINS0_14default_configENS1_35radix_sort_onesweep_config_selectorImNS0_10empty_typeEEEZNS1_34radix_sort_onesweep_global_offsetsIS3_Lb0EPKmPS5_mNS0_19identity_decomposerEEE10hipError_tT1_T2_PT3_SF_jT4_jjP12ihipStream_tbEUlT_E0_NS1_11comp_targetILNS1_3genE4ELNS1_11target_archE910ELNS1_3gpuE8ELNS1_3repE0EEENS1_52radix_sort_onesweep_histogram_config_static_selectorELNS0_4arch9wavefront6targetE0EEEvSD_
; %bb.0:
	.section	.rodata,"a",@progbits
	.p2align	6, 0x0
	.amdhsa_kernel _ZN7rocprim17ROCPRIM_400000_NS6detail17trampoline_kernelINS0_14default_configENS1_35radix_sort_onesweep_config_selectorImNS0_10empty_typeEEEZNS1_34radix_sort_onesweep_global_offsetsIS3_Lb0EPKmPS5_mNS0_19identity_decomposerEEE10hipError_tT1_T2_PT3_SF_jT4_jjP12ihipStream_tbEUlT_E0_NS1_11comp_targetILNS1_3genE4ELNS1_11target_archE910ELNS1_3gpuE8ELNS1_3repE0EEENS1_52radix_sort_onesweep_histogram_config_static_selectorELNS0_4arch9wavefront6targetE0EEEvSD_
		.amdhsa_group_segment_fixed_size 0
		.amdhsa_private_segment_fixed_size 0
		.amdhsa_kernarg_size 8
		.amdhsa_user_sgpr_count 2
		.amdhsa_user_sgpr_dispatch_ptr 0
		.amdhsa_user_sgpr_queue_ptr 0
		.amdhsa_user_sgpr_kernarg_segment_ptr 1
		.amdhsa_user_sgpr_dispatch_id 0
		.amdhsa_user_sgpr_kernarg_preload_length 0
		.amdhsa_user_sgpr_kernarg_preload_offset 0
		.amdhsa_user_sgpr_private_segment_size 0
		.amdhsa_wavefront_size32 1
		.amdhsa_uses_dynamic_stack 0
		.amdhsa_enable_private_segment 0
		.amdhsa_system_sgpr_workgroup_id_x 1
		.amdhsa_system_sgpr_workgroup_id_y 0
		.amdhsa_system_sgpr_workgroup_id_z 0
		.amdhsa_system_sgpr_workgroup_info 0
		.amdhsa_system_vgpr_workitem_id 0
		.amdhsa_next_free_vgpr 1
		.amdhsa_next_free_sgpr 1
		.amdhsa_named_barrier_count 0
		.amdhsa_reserve_vcc 0
		.amdhsa_float_round_mode_32 0
		.amdhsa_float_round_mode_16_64 0
		.amdhsa_float_denorm_mode_32 3
		.amdhsa_float_denorm_mode_16_64 3
		.amdhsa_fp16_overflow 0
		.amdhsa_memory_ordered 1
		.amdhsa_forward_progress 1
		.amdhsa_inst_pref_size 0
		.amdhsa_round_robin_scheduling 0
		.amdhsa_exception_fp_ieee_invalid_op 0
		.amdhsa_exception_fp_denorm_src 0
		.amdhsa_exception_fp_ieee_div_zero 0
		.amdhsa_exception_fp_ieee_overflow 0
		.amdhsa_exception_fp_ieee_underflow 0
		.amdhsa_exception_fp_ieee_inexact 0
		.amdhsa_exception_int_div_zero 0
	.end_amdhsa_kernel
	.section	.text._ZN7rocprim17ROCPRIM_400000_NS6detail17trampoline_kernelINS0_14default_configENS1_35radix_sort_onesweep_config_selectorImNS0_10empty_typeEEEZNS1_34radix_sort_onesweep_global_offsetsIS3_Lb0EPKmPS5_mNS0_19identity_decomposerEEE10hipError_tT1_T2_PT3_SF_jT4_jjP12ihipStream_tbEUlT_E0_NS1_11comp_targetILNS1_3genE4ELNS1_11target_archE910ELNS1_3gpuE8ELNS1_3repE0EEENS1_52radix_sort_onesweep_histogram_config_static_selectorELNS0_4arch9wavefront6targetE0EEEvSD_,"axG",@progbits,_ZN7rocprim17ROCPRIM_400000_NS6detail17trampoline_kernelINS0_14default_configENS1_35radix_sort_onesweep_config_selectorImNS0_10empty_typeEEEZNS1_34radix_sort_onesweep_global_offsetsIS3_Lb0EPKmPS5_mNS0_19identity_decomposerEEE10hipError_tT1_T2_PT3_SF_jT4_jjP12ihipStream_tbEUlT_E0_NS1_11comp_targetILNS1_3genE4ELNS1_11target_archE910ELNS1_3gpuE8ELNS1_3repE0EEENS1_52radix_sort_onesweep_histogram_config_static_selectorELNS0_4arch9wavefront6targetE0EEEvSD_,comdat
.Lfunc_end2986:
	.size	_ZN7rocprim17ROCPRIM_400000_NS6detail17trampoline_kernelINS0_14default_configENS1_35radix_sort_onesweep_config_selectorImNS0_10empty_typeEEEZNS1_34radix_sort_onesweep_global_offsetsIS3_Lb0EPKmPS5_mNS0_19identity_decomposerEEE10hipError_tT1_T2_PT3_SF_jT4_jjP12ihipStream_tbEUlT_E0_NS1_11comp_targetILNS1_3genE4ELNS1_11target_archE910ELNS1_3gpuE8ELNS1_3repE0EEENS1_52radix_sort_onesweep_histogram_config_static_selectorELNS0_4arch9wavefront6targetE0EEEvSD_, .Lfunc_end2986-_ZN7rocprim17ROCPRIM_400000_NS6detail17trampoline_kernelINS0_14default_configENS1_35radix_sort_onesweep_config_selectorImNS0_10empty_typeEEEZNS1_34radix_sort_onesweep_global_offsetsIS3_Lb0EPKmPS5_mNS0_19identity_decomposerEEE10hipError_tT1_T2_PT3_SF_jT4_jjP12ihipStream_tbEUlT_E0_NS1_11comp_targetILNS1_3genE4ELNS1_11target_archE910ELNS1_3gpuE8ELNS1_3repE0EEENS1_52radix_sort_onesweep_histogram_config_static_selectorELNS0_4arch9wavefront6targetE0EEEvSD_
                                        ; -- End function
	.set _ZN7rocprim17ROCPRIM_400000_NS6detail17trampoline_kernelINS0_14default_configENS1_35radix_sort_onesweep_config_selectorImNS0_10empty_typeEEEZNS1_34radix_sort_onesweep_global_offsetsIS3_Lb0EPKmPS5_mNS0_19identity_decomposerEEE10hipError_tT1_T2_PT3_SF_jT4_jjP12ihipStream_tbEUlT_E0_NS1_11comp_targetILNS1_3genE4ELNS1_11target_archE910ELNS1_3gpuE8ELNS1_3repE0EEENS1_52radix_sort_onesweep_histogram_config_static_selectorELNS0_4arch9wavefront6targetE0EEEvSD_.num_vgpr, 0
	.set _ZN7rocprim17ROCPRIM_400000_NS6detail17trampoline_kernelINS0_14default_configENS1_35radix_sort_onesweep_config_selectorImNS0_10empty_typeEEEZNS1_34radix_sort_onesweep_global_offsetsIS3_Lb0EPKmPS5_mNS0_19identity_decomposerEEE10hipError_tT1_T2_PT3_SF_jT4_jjP12ihipStream_tbEUlT_E0_NS1_11comp_targetILNS1_3genE4ELNS1_11target_archE910ELNS1_3gpuE8ELNS1_3repE0EEENS1_52radix_sort_onesweep_histogram_config_static_selectorELNS0_4arch9wavefront6targetE0EEEvSD_.num_agpr, 0
	.set _ZN7rocprim17ROCPRIM_400000_NS6detail17trampoline_kernelINS0_14default_configENS1_35radix_sort_onesweep_config_selectorImNS0_10empty_typeEEEZNS1_34radix_sort_onesweep_global_offsetsIS3_Lb0EPKmPS5_mNS0_19identity_decomposerEEE10hipError_tT1_T2_PT3_SF_jT4_jjP12ihipStream_tbEUlT_E0_NS1_11comp_targetILNS1_3genE4ELNS1_11target_archE910ELNS1_3gpuE8ELNS1_3repE0EEENS1_52radix_sort_onesweep_histogram_config_static_selectorELNS0_4arch9wavefront6targetE0EEEvSD_.numbered_sgpr, 0
	.set _ZN7rocprim17ROCPRIM_400000_NS6detail17trampoline_kernelINS0_14default_configENS1_35radix_sort_onesweep_config_selectorImNS0_10empty_typeEEEZNS1_34radix_sort_onesweep_global_offsetsIS3_Lb0EPKmPS5_mNS0_19identity_decomposerEEE10hipError_tT1_T2_PT3_SF_jT4_jjP12ihipStream_tbEUlT_E0_NS1_11comp_targetILNS1_3genE4ELNS1_11target_archE910ELNS1_3gpuE8ELNS1_3repE0EEENS1_52radix_sort_onesweep_histogram_config_static_selectorELNS0_4arch9wavefront6targetE0EEEvSD_.num_named_barrier, 0
	.set _ZN7rocprim17ROCPRIM_400000_NS6detail17trampoline_kernelINS0_14default_configENS1_35radix_sort_onesweep_config_selectorImNS0_10empty_typeEEEZNS1_34radix_sort_onesweep_global_offsetsIS3_Lb0EPKmPS5_mNS0_19identity_decomposerEEE10hipError_tT1_T2_PT3_SF_jT4_jjP12ihipStream_tbEUlT_E0_NS1_11comp_targetILNS1_3genE4ELNS1_11target_archE910ELNS1_3gpuE8ELNS1_3repE0EEENS1_52radix_sort_onesweep_histogram_config_static_selectorELNS0_4arch9wavefront6targetE0EEEvSD_.private_seg_size, 0
	.set _ZN7rocprim17ROCPRIM_400000_NS6detail17trampoline_kernelINS0_14default_configENS1_35radix_sort_onesweep_config_selectorImNS0_10empty_typeEEEZNS1_34radix_sort_onesweep_global_offsetsIS3_Lb0EPKmPS5_mNS0_19identity_decomposerEEE10hipError_tT1_T2_PT3_SF_jT4_jjP12ihipStream_tbEUlT_E0_NS1_11comp_targetILNS1_3genE4ELNS1_11target_archE910ELNS1_3gpuE8ELNS1_3repE0EEENS1_52radix_sort_onesweep_histogram_config_static_selectorELNS0_4arch9wavefront6targetE0EEEvSD_.uses_vcc, 0
	.set _ZN7rocprim17ROCPRIM_400000_NS6detail17trampoline_kernelINS0_14default_configENS1_35radix_sort_onesweep_config_selectorImNS0_10empty_typeEEEZNS1_34radix_sort_onesweep_global_offsetsIS3_Lb0EPKmPS5_mNS0_19identity_decomposerEEE10hipError_tT1_T2_PT3_SF_jT4_jjP12ihipStream_tbEUlT_E0_NS1_11comp_targetILNS1_3genE4ELNS1_11target_archE910ELNS1_3gpuE8ELNS1_3repE0EEENS1_52radix_sort_onesweep_histogram_config_static_selectorELNS0_4arch9wavefront6targetE0EEEvSD_.uses_flat_scratch, 0
	.set _ZN7rocprim17ROCPRIM_400000_NS6detail17trampoline_kernelINS0_14default_configENS1_35radix_sort_onesweep_config_selectorImNS0_10empty_typeEEEZNS1_34radix_sort_onesweep_global_offsetsIS3_Lb0EPKmPS5_mNS0_19identity_decomposerEEE10hipError_tT1_T2_PT3_SF_jT4_jjP12ihipStream_tbEUlT_E0_NS1_11comp_targetILNS1_3genE4ELNS1_11target_archE910ELNS1_3gpuE8ELNS1_3repE0EEENS1_52radix_sort_onesweep_histogram_config_static_selectorELNS0_4arch9wavefront6targetE0EEEvSD_.has_dyn_sized_stack, 0
	.set _ZN7rocprim17ROCPRIM_400000_NS6detail17trampoline_kernelINS0_14default_configENS1_35radix_sort_onesweep_config_selectorImNS0_10empty_typeEEEZNS1_34radix_sort_onesweep_global_offsetsIS3_Lb0EPKmPS5_mNS0_19identity_decomposerEEE10hipError_tT1_T2_PT3_SF_jT4_jjP12ihipStream_tbEUlT_E0_NS1_11comp_targetILNS1_3genE4ELNS1_11target_archE910ELNS1_3gpuE8ELNS1_3repE0EEENS1_52radix_sort_onesweep_histogram_config_static_selectorELNS0_4arch9wavefront6targetE0EEEvSD_.has_recursion, 0
	.set _ZN7rocprim17ROCPRIM_400000_NS6detail17trampoline_kernelINS0_14default_configENS1_35radix_sort_onesweep_config_selectorImNS0_10empty_typeEEEZNS1_34radix_sort_onesweep_global_offsetsIS3_Lb0EPKmPS5_mNS0_19identity_decomposerEEE10hipError_tT1_T2_PT3_SF_jT4_jjP12ihipStream_tbEUlT_E0_NS1_11comp_targetILNS1_3genE4ELNS1_11target_archE910ELNS1_3gpuE8ELNS1_3repE0EEENS1_52radix_sort_onesweep_histogram_config_static_selectorELNS0_4arch9wavefront6targetE0EEEvSD_.has_indirect_call, 0
	.section	.AMDGPU.csdata,"",@progbits
; Kernel info:
; codeLenInByte = 0
; TotalNumSgprs: 0
; NumVgprs: 0
; ScratchSize: 0
; MemoryBound: 0
; FloatMode: 240
; IeeeMode: 1
; LDSByteSize: 0 bytes/workgroup (compile time only)
; SGPRBlocks: 0
; VGPRBlocks: 0
; NumSGPRsForWavesPerEU: 1
; NumVGPRsForWavesPerEU: 1
; NamedBarCnt: 0
; Occupancy: 16
; WaveLimiterHint : 0
; COMPUTE_PGM_RSRC2:SCRATCH_EN: 0
; COMPUTE_PGM_RSRC2:USER_SGPR: 2
; COMPUTE_PGM_RSRC2:TRAP_HANDLER: 0
; COMPUTE_PGM_RSRC2:TGID_X_EN: 1
; COMPUTE_PGM_RSRC2:TGID_Y_EN: 0
; COMPUTE_PGM_RSRC2:TGID_Z_EN: 0
; COMPUTE_PGM_RSRC2:TIDIG_COMP_CNT: 0
	.section	.text._ZN7rocprim17ROCPRIM_400000_NS6detail17trampoline_kernelINS0_14default_configENS1_35radix_sort_onesweep_config_selectorImNS0_10empty_typeEEEZNS1_34radix_sort_onesweep_global_offsetsIS3_Lb0EPKmPS5_mNS0_19identity_decomposerEEE10hipError_tT1_T2_PT3_SF_jT4_jjP12ihipStream_tbEUlT_E0_NS1_11comp_targetILNS1_3genE3ELNS1_11target_archE908ELNS1_3gpuE7ELNS1_3repE0EEENS1_52radix_sort_onesweep_histogram_config_static_selectorELNS0_4arch9wavefront6targetE0EEEvSD_,"axG",@progbits,_ZN7rocprim17ROCPRIM_400000_NS6detail17trampoline_kernelINS0_14default_configENS1_35radix_sort_onesweep_config_selectorImNS0_10empty_typeEEEZNS1_34radix_sort_onesweep_global_offsetsIS3_Lb0EPKmPS5_mNS0_19identity_decomposerEEE10hipError_tT1_T2_PT3_SF_jT4_jjP12ihipStream_tbEUlT_E0_NS1_11comp_targetILNS1_3genE3ELNS1_11target_archE908ELNS1_3gpuE7ELNS1_3repE0EEENS1_52radix_sort_onesweep_histogram_config_static_selectorELNS0_4arch9wavefront6targetE0EEEvSD_,comdat
	.protected	_ZN7rocprim17ROCPRIM_400000_NS6detail17trampoline_kernelINS0_14default_configENS1_35radix_sort_onesweep_config_selectorImNS0_10empty_typeEEEZNS1_34radix_sort_onesweep_global_offsetsIS3_Lb0EPKmPS5_mNS0_19identity_decomposerEEE10hipError_tT1_T2_PT3_SF_jT4_jjP12ihipStream_tbEUlT_E0_NS1_11comp_targetILNS1_3genE3ELNS1_11target_archE908ELNS1_3gpuE7ELNS1_3repE0EEENS1_52radix_sort_onesweep_histogram_config_static_selectorELNS0_4arch9wavefront6targetE0EEEvSD_ ; -- Begin function _ZN7rocprim17ROCPRIM_400000_NS6detail17trampoline_kernelINS0_14default_configENS1_35radix_sort_onesweep_config_selectorImNS0_10empty_typeEEEZNS1_34radix_sort_onesweep_global_offsetsIS3_Lb0EPKmPS5_mNS0_19identity_decomposerEEE10hipError_tT1_T2_PT3_SF_jT4_jjP12ihipStream_tbEUlT_E0_NS1_11comp_targetILNS1_3genE3ELNS1_11target_archE908ELNS1_3gpuE7ELNS1_3repE0EEENS1_52radix_sort_onesweep_histogram_config_static_selectorELNS0_4arch9wavefront6targetE0EEEvSD_
	.globl	_ZN7rocprim17ROCPRIM_400000_NS6detail17trampoline_kernelINS0_14default_configENS1_35radix_sort_onesweep_config_selectorImNS0_10empty_typeEEEZNS1_34radix_sort_onesweep_global_offsetsIS3_Lb0EPKmPS5_mNS0_19identity_decomposerEEE10hipError_tT1_T2_PT3_SF_jT4_jjP12ihipStream_tbEUlT_E0_NS1_11comp_targetILNS1_3genE3ELNS1_11target_archE908ELNS1_3gpuE7ELNS1_3repE0EEENS1_52radix_sort_onesweep_histogram_config_static_selectorELNS0_4arch9wavefront6targetE0EEEvSD_
	.p2align	8
	.type	_ZN7rocprim17ROCPRIM_400000_NS6detail17trampoline_kernelINS0_14default_configENS1_35radix_sort_onesweep_config_selectorImNS0_10empty_typeEEEZNS1_34radix_sort_onesweep_global_offsetsIS3_Lb0EPKmPS5_mNS0_19identity_decomposerEEE10hipError_tT1_T2_PT3_SF_jT4_jjP12ihipStream_tbEUlT_E0_NS1_11comp_targetILNS1_3genE3ELNS1_11target_archE908ELNS1_3gpuE7ELNS1_3repE0EEENS1_52radix_sort_onesweep_histogram_config_static_selectorELNS0_4arch9wavefront6targetE0EEEvSD_,@function
_ZN7rocprim17ROCPRIM_400000_NS6detail17trampoline_kernelINS0_14default_configENS1_35radix_sort_onesweep_config_selectorImNS0_10empty_typeEEEZNS1_34radix_sort_onesweep_global_offsetsIS3_Lb0EPKmPS5_mNS0_19identity_decomposerEEE10hipError_tT1_T2_PT3_SF_jT4_jjP12ihipStream_tbEUlT_E0_NS1_11comp_targetILNS1_3genE3ELNS1_11target_archE908ELNS1_3gpuE7ELNS1_3repE0EEENS1_52radix_sort_onesweep_histogram_config_static_selectorELNS0_4arch9wavefront6targetE0EEEvSD_: ; @_ZN7rocprim17ROCPRIM_400000_NS6detail17trampoline_kernelINS0_14default_configENS1_35radix_sort_onesweep_config_selectorImNS0_10empty_typeEEEZNS1_34radix_sort_onesweep_global_offsetsIS3_Lb0EPKmPS5_mNS0_19identity_decomposerEEE10hipError_tT1_T2_PT3_SF_jT4_jjP12ihipStream_tbEUlT_E0_NS1_11comp_targetILNS1_3genE3ELNS1_11target_archE908ELNS1_3gpuE7ELNS1_3repE0EEENS1_52radix_sort_onesweep_histogram_config_static_selectorELNS0_4arch9wavefront6targetE0EEEvSD_
; %bb.0:
	.section	.rodata,"a",@progbits
	.p2align	6, 0x0
	.amdhsa_kernel _ZN7rocprim17ROCPRIM_400000_NS6detail17trampoline_kernelINS0_14default_configENS1_35radix_sort_onesweep_config_selectorImNS0_10empty_typeEEEZNS1_34radix_sort_onesweep_global_offsetsIS3_Lb0EPKmPS5_mNS0_19identity_decomposerEEE10hipError_tT1_T2_PT3_SF_jT4_jjP12ihipStream_tbEUlT_E0_NS1_11comp_targetILNS1_3genE3ELNS1_11target_archE908ELNS1_3gpuE7ELNS1_3repE0EEENS1_52radix_sort_onesweep_histogram_config_static_selectorELNS0_4arch9wavefront6targetE0EEEvSD_
		.amdhsa_group_segment_fixed_size 0
		.amdhsa_private_segment_fixed_size 0
		.amdhsa_kernarg_size 8
		.amdhsa_user_sgpr_count 2
		.amdhsa_user_sgpr_dispatch_ptr 0
		.amdhsa_user_sgpr_queue_ptr 0
		.amdhsa_user_sgpr_kernarg_segment_ptr 1
		.amdhsa_user_sgpr_dispatch_id 0
		.amdhsa_user_sgpr_kernarg_preload_length 0
		.amdhsa_user_sgpr_kernarg_preload_offset 0
		.amdhsa_user_sgpr_private_segment_size 0
		.amdhsa_wavefront_size32 1
		.amdhsa_uses_dynamic_stack 0
		.amdhsa_enable_private_segment 0
		.amdhsa_system_sgpr_workgroup_id_x 1
		.amdhsa_system_sgpr_workgroup_id_y 0
		.amdhsa_system_sgpr_workgroup_id_z 0
		.amdhsa_system_sgpr_workgroup_info 0
		.amdhsa_system_vgpr_workitem_id 0
		.amdhsa_next_free_vgpr 1
		.amdhsa_next_free_sgpr 1
		.amdhsa_named_barrier_count 0
		.amdhsa_reserve_vcc 0
		.amdhsa_float_round_mode_32 0
		.amdhsa_float_round_mode_16_64 0
		.amdhsa_float_denorm_mode_32 3
		.amdhsa_float_denorm_mode_16_64 3
		.amdhsa_fp16_overflow 0
		.amdhsa_memory_ordered 1
		.amdhsa_forward_progress 1
		.amdhsa_inst_pref_size 0
		.amdhsa_round_robin_scheduling 0
		.amdhsa_exception_fp_ieee_invalid_op 0
		.amdhsa_exception_fp_denorm_src 0
		.amdhsa_exception_fp_ieee_div_zero 0
		.amdhsa_exception_fp_ieee_overflow 0
		.amdhsa_exception_fp_ieee_underflow 0
		.amdhsa_exception_fp_ieee_inexact 0
		.amdhsa_exception_int_div_zero 0
	.end_amdhsa_kernel
	.section	.text._ZN7rocprim17ROCPRIM_400000_NS6detail17trampoline_kernelINS0_14default_configENS1_35radix_sort_onesweep_config_selectorImNS0_10empty_typeEEEZNS1_34radix_sort_onesweep_global_offsetsIS3_Lb0EPKmPS5_mNS0_19identity_decomposerEEE10hipError_tT1_T2_PT3_SF_jT4_jjP12ihipStream_tbEUlT_E0_NS1_11comp_targetILNS1_3genE3ELNS1_11target_archE908ELNS1_3gpuE7ELNS1_3repE0EEENS1_52radix_sort_onesweep_histogram_config_static_selectorELNS0_4arch9wavefront6targetE0EEEvSD_,"axG",@progbits,_ZN7rocprim17ROCPRIM_400000_NS6detail17trampoline_kernelINS0_14default_configENS1_35radix_sort_onesweep_config_selectorImNS0_10empty_typeEEEZNS1_34radix_sort_onesweep_global_offsetsIS3_Lb0EPKmPS5_mNS0_19identity_decomposerEEE10hipError_tT1_T2_PT3_SF_jT4_jjP12ihipStream_tbEUlT_E0_NS1_11comp_targetILNS1_3genE3ELNS1_11target_archE908ELNS1_3gpuE7ELNS1_3repE0EEENS1_52radix_sort_onesweep_histogram_config_static_selectorELNS0_4arch9wavefront6targetE0EEEvSD_,comdat
.Lfunc_end2987:
	.size	_ZN7rocprim17ROCPRIM_400000_NS6detail17trampoline_kernelINS0_14default_configENS1_35radix_sort_onesweep_config_selectorImNS0_10empty_typeEEEZNS1_34radix_sort_onesweep_global_offsetsIS3_Lb0EPKmPS5_mNS0_19identity_decomposerEEE10hipError_tT1_T2_PT3_SF_jT4_jjP12ihipStream_tbEUlT_E0_NS1_11comp_targetILNS1_3genE3ELNS1_11target_archE908ELNS1_3gpuE7ELNS1_3repE0EEENS1_52radix_sort_onesweep_histogram_config_static_selectorELNS0_4arch9wavefront6targetE0EEEvSD_, .Lfunc_end2987-_ZN7rocprim17ROCPRIM_400000_NS6detail17trampoline_kernelINS0_14default_configENS1_35radix_sort_onesweep_config_selectorImNS0_10empty_typeEEEZNS1_34radix_sort_onesweep_global_offsetsIS3_Lb0EPKmPS5_mNS0_19identity_decomposerEEE10hipError_tT1_T2_PT3_SF_jT4_jjP12ihipStream_tbEUlT_E0_NS1_11comp_targetILNS1_3genE3ELNS1_11target_archE908ELNS1_3gpuE7ELNS1_3repE0EEENS1_52radix_sort_onesweep_histogram_config_static_selectorELNS0_4arch9wavefront6targetE0EEEvSD_
                                        ; -- End function
	.set _ZN7rocprim17ROCPRIM_400000_NS6detail17trampoline_kernelINS0_14default_configENS1_35radix_sort_onesweep_config_selectorImNS0_10empty_typeEEEZNS1_34radix_sort_onesweep_global_offsetsIS3_Lb0EPKmPS5_mNS0_19identity_decomposerEEE10hipError_tT1_T2_PT3_SF_jT4_jjP12ihipStream_tbEUlT_E0_NS1_11comp_targetILNS1_3genE3ELNS1_11target_archE908ELNS1_3gpuE7ELNS1_3repE0EEENS1_52radix_sort_onesweep_histogram_config_static_selectorELNS0_4arch9wavefront6targetE0EEEvSD_.num_vgpr, 0
	.set _ZN7rocprim17ROCPRIM_400000_NS6detail17trampoline_kernelINS0_14default_configENS1_35radix_sort_onesweep_config_selectorImNS0_10empty_typeEEEZNS1_34radix_sort_onesweep_global_offsetsIS3_Lb0EPKmPS5_mNS0_19identity_decomposerEEE10hipError_tT1_T2_PT3_SF_jT4_jjP12ihipStream_tbEUlT_E0_NS1_11comp_targetILNS1_3genE3ELNS1_11target_archE908ELNS1_3gpuE7ELNS1_3repE0EEENS1_52radix_sort_onesweep_histogram_config_static_selectorELNS0_4arch9wavefront6targetE0EEEvSD_.num_agpr, 0
	.set _ZN7rocprim17ROCPRIM_400000_NS6detail17trampoline_kernelINS0_14default_configENS1_35radix_sort_onesweep_config_selectorImNS0_10empty_typeEEEZNS1_34radix_sort_onesweep_global_offsetsIS3_Lb0EPKmPS5_mNS0_19identity_decomposerEEE10hipError_tT1_T2_PT3_SF_jT4_jjP12ihipStream_tbEUlT_E0_NS1_11comp_targetILNS1_3genE3ELNS1_11target_archE908ELNS1_3gpuE7ELNS1_3repE0EEENS1_52radix_sort_onesweep_histogram_config_static_selectorELNS0_4arch9wavefront6targetE0EEEvSD_.numbered_sgpr, 0
	.set _ZN7rocprim17ROCPRIM_400000_NS6detail17trampoline_kernelINS0_14default_configENS1_35radix_sort_onesweep_config_selectorImNS0_10empty_typeEEEZNS1_34radix_sort_onesweep_global_offsetsIS3_Lb0EPKmPS5_mNS0_19identity_decomposerEEE10hipError_tT1_T2_PT3_SF_jT4_jjP12ihipStream_tbEUlT_E0_NS1_11comp_targetILNS1_3genE3ELNS1_11target_archE908ELNS1_3gpuE7ELNS1_3repE0EEENS1_52radix_sort_onesweep_histogram_config_static_selectorELNS0_4arch9wavefront6targetE0EEEvSD_.num_named_barrier, 0
	.set _ZN7rocprim17ROCPRIM_400000_NS6detail17trampoline_kernelINS0_14default_configENS1_35radix_sort_onesweep_config_selectorImNS0_10empty_typeEEEZNS1_34radix_sort_onesweep_global_offsetsIS3_Lb0EPKmPS5_mNS0_19identity_decomposerEEE10hipError_tT1_T2_PT3_SF_jT4_jjP12ihipStream_tbEUlT_E0_NS1_11comp_targetILNS1_3genE3ELNS1_11target_archE908ELNS1_3gpuE7ELNS1_3repE0EEENS1_52radix_sort_onesweep_histogram_config_static_selectorELNS0_4arch9wavefront6targetE0EEEvSD_.private_seg_size, 0
	.set _ZN7rocprim17ROCPRIM_400000_NS6detail17trampoline_kernelINS0_14default_configENS1_35radix_sort_onesweep_config_selectorImNS0_10empty_typeEEEZNS1_34radix_sort_onesweep_global_offsetsIS3_Lb0EPKmPS5_mNS0_19identity_decomposerEEE10hipError_tT1_T2_PT3_SF_jT4_jjP12ihipStream_tbEUlT_E0_NS1_11comp_targetILNS1_3genE3ELNS1_11target_archE908ELNS1_3gpuE7ELNS1_3repE0EEENS1_52radix_sort_onesweep_histogram_config_static_selectorELNS0_4arch9wavefront6targetE0EEEvSD_.uses_vcc, 0
	.set _ZN7rocprim17ROCPRIM_400000_NS6detail17trampoline_kernelINS0_14default_configENS1_35radix_sort_onesweep_config_selectorImNS0_10empty_typeEEEZNS1_34radix_sort_onesweep_global_offsetsIS3_Lb0EPKmPS5_mNS0_19identity_decomposerEEE10hipError_tT1_T2_PT3_SF_jT4_jjP12ihipStream_tbEUlT_E0_NS1_11comp_targetILNS1_3genE3ELNS1_11target_archE908ELNS1_3gpuE7ELNS1_3repE0EEENS1_52radix_sort_onesweep_histogram_config_static_selectorELNS0_4arch9wavefront6targetE0EEEvSD_.uses_flat_scratch, 0
	.set _ZN7rocprim17ROCPRIM_400000_NS6detail17trampoline_kernelINS0_14default_configENS1_35radix_sort_onesweep_config_selectorImNS0_10empty_typeEEEZNS1_34radix_sort_onesweep_global_offsetsIS3_Lb0EPKmPS5_mNS0_19identity_decomposerEEE10hipError_tT1_T2_PT3_SF_jT4_jjP12ihipStream_tbEUlT_E0_NS1_11comp_targetILNS1_3genE3ELNS1_11target_archE908ELNS1_3gpuE7ELNS1_3repE0EEENS1_52radix_sort_onesweep_histogram_config_static_selectorELNS0_4arch9wavefront6targetE0EEEvSD_.has_dyn_sized_stack, 0
	.set _ZN7rocprim17ROCPRIM_400000_NS6detail17trampoline_kernelINS0_14default_configENS1_35radix_sort_onesweep_config_selectorImNS0_10empty_typeEEEZNS1_34radix_sort_onesweep_global_offsetsIS3_Lb0EPKmPS5_mNS0_19identity_decomposerEEE10hipError_tT1_T2_PT3_SF_jT4_jjP12ihipStream_tbEUlT_E0_NS1_11comp_targetILNS1_3genE3ELNS1_11target_archE908ELNS1_3gpuE7ELNS1_3repE0EEENS1_52radix_sort_onesweep_histogram_config_static_selectorELNS0_4arch9wavefront6targetE0EEEvSD_.has_recursion, 0
	.set _ZN7rocprim17ROCPRIM_400000_NS6detail17trampoline_kernelINS0_14default_configENS1_35radix_sort_onesweep_config_selectorImNS0_10empty_typeEEEZNS1_34radix_sort_onesweep_global_offsetsIS3_Lb0EPKmPS5_mNS0_19identity_decomposerEEE10hipError_tT1_T2_PT3_SF_jT4_jjP12ihipStream_tbEUlT_E0_NS1_11comp_targetILNS1_3genE3ELNS1_11target_archE908ELNS1_3gpuE7ELNS1_3repE0EEENS1_52radix_sort_onesweep_histogram_config_static_selectorELNS0_4arch9wavefront6targetE0EEEvSD_.has_indirect_call, 0
	.section	.AMDGPU.csdata,"",@progbits
; Kernel info:
; codeLenInByte = 0
; TotalNumSgprs: 0
; NumVgprs: 0
; ScratchSize: 0
; MemoryBound: 0
; FloatMode: 240
; IeeeMode: 1
; LDSByteSize: 0 bytes/workgroup (compile time only)
; SGPRBlocks: 0
; VGPRBlocks: 0
; NumSGPRsForWavesPerEU: 1
; NumVGPRsForWavesPerEU: 1
; NamedBarCnt: 0
; Occupancy: 16
; WaveLimiterHint : 0
; COMPUTE_PGM_RSRC2:SCRATCH_EN: 0
; COMPUTE_PGM_RSRC2:USER_SGPR: 2
; COMPUTE_PGM_RSRC2:TRAP_HANDLER: 0
; COMPUTE_PGM_RSRC2:TGID_X_EN: 1
; COMPUTE_PGM_RSRC2:TGID_Y_EN: 0
; COMPUTE_PGM_RSRC2:TGID_Z_EN: 0
; COMPUTE_PGM_RSRC2:TIDIG_COMP_CNT: 0
	.section	.text._ZN7rocprim17ROCPRIM_400000_NS6detail17trampoline_kernelINS0_14default_configENS1_35radix_sort_onesweep_config_selectorImNS0_10empty_typeEEEZNS1_34radix_sort_onesweep_global_offsetsIS3_Lb0EPKmPS5_mNS0_19identity_decomposerEEE10hipError_tT1_T2_PT3_SF_jT4_jjP12ihipStream_tbEUlT_E0_NS1_11comp_targetILNS1_3genE10ELNS1_11target_archE1201ELNS1_3gpuE5ELNS1_3repE0EEENS1_52radix_sort_onesweep_histogram_config_static_selectorELNS0_4arch9wavefront6targetE0EEEvSD_,"axG",@progbits,_ZN7rocprim17ROCPRIM_400000_NS6detail17trampoline_kernelINS0_14default_configENS1_35radix_sort_onesweep_config_selectorImNS0_10empty_typeEEEZNS1_34radix_sort_onesweep_global_offsetsIS3_Lb0EPKmPS5_mNS0_19identity_decomposerEEE10hipError_tT1_T2_PT3_SF_jT4_jjP12ihipStream_tbEUlT_E0_NS1_11comp_targetILNS1_3genE10ELNS1_11target_archE1201ELNS1_3gpuE5ELNS1_3repE0EEENS1_52radix_sort_onesweep_histogram_config_static_selectorELNS0_4arch9wavefront6targetE0EEEvSD_,comdat
	.protected	_ZN7rocprim17ROCPRIM_400000_NS6detail17trampoline_kernelINS0_14default_configENS1_35radix_sort_onesweep_config_selectorImNS0_10empty_typeEEEZNS1_34radix_sort_onesweep_global_offsetsIS3_Lb0EPKmPS5_mNS0_19identity_decomposerEEE10hipError_tT1_T2_PT3_SF_jT4_jjP12ihipStream_tbEUlT_E0_NS1_11comp_targetILNS1_3genE10ELNS1_11target_archE1201ELNS1_3gpuE5ELNS1_3repE0EEENS1_52radix_sort_onesweep_histogram_config_static_selectorELNS0_4arch9wavefront6targetE0EEEvSD_ ; -- Begin function _ZN7rocprim17ROCPRIM_400000_NS6detail17trampoline_kernelINS0_14default_configENS1_35radix_sort_onesweep_config_selectorImNS0_10empty_typeEEEZNS1_34radix_sort_onesweep_global_offsetsIS3_Lb0EPKmPS5_mNS0_19identity_decomposerEEE10hipError_tT1_T2_PT3_SF_jT4_jjP12ihipStream_tbEUlT_E0_NS1_11comp_targetILNS1_3genE10ELNS1_11target_archE1201ELNS1_3gpuE5ELNS1_3repE0EEENS1_52radix_sort_onesweep_histogram_config_static_selectorELNS0_4arch9wavefront6targetE0EEEvSD_
	.globl	_ZN7rocprim17ROCPRIM_400000_NS6detail17trampoline_kernelINS0_14default_configENS1_35radix_sort_onesweep_config_selectorImNS0_10empty_typeEEEZNS1_34radix_sort_onesweep_global_offsetsIS3_Lb0EPKmPS5_mNS0_19identity_decomposerEEE10hipError_tT1_T2_PT3_SF_jT4_jjP12ihipStream_tbEUlT_E0_NS1_11comp_targetILNS1_3genE10ELNS1_11target_archE1201ELNS1_3gpuE5ELNS1_3repE0EEENS1_52radix_sort_onesweep_histogram_config_static_selectorELNS0_4arch9wavefront6targetE0EEEvSD_
	.p2align	8
	.type	_ZN7rocprim17ROCPRIM_400000_NS6detail17trampoline_kernelINS0_14default_configENS1_35radix_sort_onesweep_config_selectorImNS0_10empty_typeEEEZNS1_34radix_sort_onesweep_global_offsetsIS3_Lb0EPKmPS5_mNS0_19identity_decomposerEEE10hipError_tT1_T2_PT3_SF_jT4_jjP12ihipStream_tbEUlT_E0_NS1_11comp_targetILNS1_3genE10ELNS1_11target_archE1201ELNS1_3gpuE5ELNS1_3repE0EEENS1_52radix_sort_onesweep_histogram_config_static_selectorELNS0_4arch9wavefront6targetE0EEEvSD_,@function
_ZN7rocprim17ROCPRIM_400000_NS6detail17trampoline_kernelINS0_14default_configENS1_35radix_sort_onesweep_config_selectorImNS0_10empty_typeEEEZNS1_34radix_sort_onesweep_global_offsetsIS3_Lb0EPKmPS5_mNS0_19identity_decomposerEEE10hipError_tT1_T2_PT3_SF_jT4_jjP12ihipStream_tbEUlT_E0_NS1_11comp_targetILNS1_3genE10ELNS1_11target_archE1201ELNS1_3gpuE5ELNS1_3repE0EEENS1_52radix_sort_onesweep_histogram_config_static_selectorELNS0_4arch9wavefront6targetE0EEEvSD_: ; @_ZN7rocprim17ROCPRIM_400000_NS6detail17trampoline_kernelINS0_14default_configENS1_35radix_sort_onesweep_config_selectorImNS0_10empty_typeEEEZNS1_34radix_sort_onesweep_global_offsetsIS3_Lb0EPKmPS5_mNS0_19identity_decomposerEEE10hipError_tT1_T2_PT3_SF_jT4_jjP12ihipStream_tbEUlT_E0_NS1_11comp_targetILNS1_3genE10ELNS1_11target_archE1201ELNS1_3gpuE5ELNS1_3repE0EEENS1_52radix_sort_onesweep_histogram_config_static_selectorELNS0_4arch9wavefront6targetE0EEEvSD_
; %bb.0:
	.section	.rodata,"a",@progbits
	.p2align	6, 0x0
	.amdhsa_kernel _ZN7rocprim17ROCPRIM_400000_NS6detail17trampoline_kernelINS0_14default_configENS1_35radix_sort_onesweep_config_selectorImNS0_10empty_typeEEEZNS1_34radix_sort_onesweep_global_offsetsIS3_Lb0EPKmPS5_mNS0_19identity_decomposerEEE10hipError_tT1_T2_PT3_SF_jT4_jjP12ihipStream_tbEUlT_E0_NS1_11comp_targetILNS1_3genE10ELNS1_11target_archE1201ELNS1_3gpuE5ELNS1_3repE0EEENS1_52radix_sort_onesweep_histogram_config_static_selectorELNS0_4arch9wavefront6targetE0EEEvSD_
		.amdhsa_group_segment_fixed_size 0
		.amdhsa_private_segment_fixed_size 0
		.amdhsa_kernarg_size 8
		.amdhsa_user_sgpr_count 2
		.amdhsa_user_sgpr_dispatch_ptr 0
		.amdhsa_user_sgpr_queue_ptr 0
		.amdhsa_user_sgpr_kernarg_segment_ptr 1
		.amdhsa_user_sgpr_dispatch_id 0
		.amdhsa_user_sgpr_kernarg_preload_length 0
		.amdhsa_user_sgpr_kernarg_preload_offset 0
		.amdhsa_user_sgpr_private_segment_size 0
		.amdhsa_wavefront_size32 1
		.amdhsa_uses_dynamic_stack 0
		.amdhsa_enable_private_segment 0
		.amdhsa_system_sgpr_workgroup_id_x 1
		.amdhsa_system_sgpr_workgroup_id_y 0
		.amdhsa_system_sgpr_workgroup_id_z 0
		.amdhsa_system_sgpr_workgroup_info 0
		.amdhsa_system_vgpr_workitem_id 0
		.amdhsa_next_free_vgpr 1
		.amdhsa_next_free_sgpr 1
		.amdhsa_named_barrier_count 0
		.amdhsa_reserve_vcc 0
		.amdhsa_float_round_mode_32 0
		.amdhsa_float_round_mode_16_64 0
		.amdhsa_float_denorm_mode_32 3
		.amdhsa_float_denorm_mode_16_64 3
		.amdhsa_fp16_overflow 0
		.amdhsa_memory_ordered 1
		.amdhsa_forward_progress 1
		.amdhsa_inst_pref_size 0
		.amdhsa_round_robin_scheduling 0
		.amdhsa_exception_fp_ieee_invalid_op 0
		.amdhsa_exception_fp_denorm_src 0
		.amdhsa_exception_fp_ieee_div_zero 0
		.amdhsa_exception_fp_ieee_overflow 0
		.amdhsa_exception_fp_ieee_underflow 0
		.amdhsa_exception_fp_ieee_inexact 0
		.amdhsa_exception_int_div_zero 0
	.end_amdhsa_kernel
	.section	.text._ZN7rocprim17ROCPRIM_400000_NS6detail17trampoline_kernelINS0_14default_configENS1_35radix_sort_onesweep_config_selectorImNS0_10empty_typeEEEZNS1_34radix_sort_onesweep_global_offsetsIS3_Lb0EPKmPS5_mNS0_19identity_decomposerEEE10hipError_tT1_T2_PT3_SF_jT4_jjP12ihipStream_tbEUlT_E0_NS1_11comp_targetILNS1_3genE10ELNS1_11target_archE1201ELNS1_3gpuE5ELNS1_3repE0EEENS1_52radix_sort_onesweep_histogram_config_static_selectorELNS0_4arch9wavefront6targetE0EEEvSD_,"axG",@progbits,_ZN7rocprim17ROCPRIM_400000_NS6detail17trampoline_kernelINS0_14default_configENS1_35radix_sort_onesweep_config_selectorImNS0_10empty_typeEEEZNS1_34radix_sort_onesweep_global_offsetsIS3_Lb0EPKmPS5_mNS0_19identity_decomposerEEE10hipError_tT1_T2_PT3_SF_jT4_jjP12ihipStream_tbEUlT_E0_NS1_11comp_targetILNS1_3genE10ELNS1_11target_archE1201ELNS1_3gpuE5ELNS1_3repE0EEENS1_52radix_sort_onesweep_histogram_config_static_selectorELNS0_4arch9wavefront6targetE0EEEvSD_,comdat
.Lfunc_end2988:
	.size	_ZN7rocprim17ROCPRIM_400000_NS6detail17trampoline_kernelINS0_14default_configENS1_35radix_sort_onesweep_config_selectorImNS0_10empty_typeEEEZNS1_34radix_sort_onesweep_global_offsetsIS3_Lb0EPKmPS5_mNS0_19identity_decomposerEEE10hipError_tT1_T2_PT3_SF_jT4_jjP12ihipStream_tbEUlT_E0_NS1_11comp_targetILNS1_3genE10ELNS1_11target_archE1201ELNS1_3gpuE5ELNS1_3repE0EEENS1_52radix_sort_onesweep_histogram_config_static_selectorELNS0_4arch9wavefront6targetE0EEEvSD_, .Lfunc_end2988-_ZN7rocprim17ROCPRIM_400000_NS6detail17trampoline_kernelINS0_14default_configENS1_35radix_sort_onesweep_config_selectorImNS0_10empty_typeEEEZNS1_34radix_sort_onesweep_global_offsetsIS3_Lb0EPKmPS5_mNS0_19identity_decomposerEEE10hipError_tT1_T2_PT3_SF_jT4_jjP12ihipStream_tbEUlT_E0_NS1_11comp_targetILNS1_3genE10ELNS1_11target_archE1201ELNS1_3gpuE5ELNS1_3repE0EEENS1_52radix_sort_onesweep_histogram_config_static_selectorELNS0_4arch9wavefront6targetE0EEEvSD_
                                        ; -- End function
	.set _ZN7rocprim17ROCPRIM_400000_NS6detail17trampoline_kernelINS0_14default_configENS1_35radix_sort_onesweep_config_selectorImNS0_10empty_typeEEEZNS1_34radix_sort_onesweep_global_offsetsIS3_Lb0EPKmPS5_mNS0_19identity_decomposerEEE10hipError_tT1_T2_PT3_SF_jT4_jjP12ihipStream_tbEUlT_E0_NS1_11comp_targetILNS1_3genE10ELNS1_11target_archE1201ELNS1_3gpuE5ELNS1_3repE0EEENS1_52radix_sort_onesweep_histogram_config_static_selectorELNS0_4arch9wavefront6targetE0EEEvSD_.num_vgpr, 0
	.set _ZN7rocprim17ROCPRIM_400000_NS6detail17trampoline_kernelINS0_14default_configENS1_35radix_sort_onesweep_config_selectorImNS0_10empty_typeEEEZNS1_34radix_sort_onesweep_global_offsetsIS3_Lb0EPKmPS5_mNS0_19identity_decomposerEEE10hipError_tT1_T2_PT3_SF_jT4_jjP12ihipStream_tbEUlT_E0_NS1_11comp_targetILNS1_3genE10ELNS1_11target_archE1201ELNS1_3gpuE5ELNS1_3repE0EEENS1_52radix_sort_onesweep_histogram_config_static_selectorELNS0_4arch9wavefront6targetE0EEEvSD_.num_agpr, 0
	.set _ZN7rocprim17ROCPRIM_400000_NS6detail17trampoline_kernelINS0_14default_configENS1_35radix_sort_onesweep_config_selectorImNS0_10empty_typeEEEZNS1_34radix_sort_onesweep_global_offsetsIS3_Lb0EPKmPS5_mNS0_19identity_decomposerEEE10hipError_tT1_T2_PT3_SF_jT4_jjP12ihipStream_tbEUlT_E0_NS1_11comp_targetILNS1_3genE10ELNS1_11target_archE1201ELNS1_3gpuE5ELNS1_3repE0EEENS1_52radix_sort_onesweep_histogram_config_static_selectorELNS0_4arch9wavefront6targetE0EEEvSD_.numbered_sgpr, 0
	.set _ZN7rocprim17ROCPRIM_400000_NS6detail17trampoline_kernelINS0_14default_configENS1_35radix_sort_onesweep_config_selectorImNS0_10empty_typeEEEZNS1_34radix_sort_onesweep_global_offsetsIS3_Lb0EPKmPS5_mNS0_19identity_decomposerEEE10hipError_tT1_T2_PT3_SF_jT4_jjP12ihipStream_tbEUlT_E0_NS1_11comp_targetILNS1_3genE10ELNS1_11target_archE1201ELNS1_3gpuE5ELNS1_3repE0EEENS1_52radix_sort_onesweep_histogram_config_static_selectorELNS0_4arch9wavefront6targetE0EEEvSD_.num_named_barrier, 0
	.set _ZN7rocprim17ROCPRIM_400000_NS6detail17trampoline_kernelINS0_14default_configENS1_35radix_sort_onesweep_config_selectorImNS0_10empty_typeEEEZNS1_34radix_sort_onesweep_global_offsetsIS3_Lb0EPKmPS5_mNS0_19identity_decomposerEEE10hipError_tT1_T2_PT3_SF_jT4_jjP12ihipStream_tbEUlT_E0_NS1_11comp_targetILNS1_3genE10ELNS1_11target_archE1201ELNS1_3gpuE5ELNS1_3repE0EEENS1_52radix_sort_onesweep_histogram_config_static_selectorELNS0_4arch9wavefront6targetE0EEEvSD_.private_seg_size, 0
	.set _ZN7rocprim17ROCPRIM_400000_NS6detail17trampoline_kernelINS0_14default_configENS1_35radix_sort_onesweep_config_selectorImNS0_10empty_typeEEEZNS1_34radix_sort_onesweep_global_offsetsIS3_Lb0EPKmPS5_mNS0_19identity_decomposerEEE10hipError_tT1_T2_PT3_SF_jT4_jjP12ihipStream_tbEUlT_E0_NS1_11comp_targetILNS1_3genE10ELNS1_11target_archE1201ELNS1_3gpuE5ELNS1_3repE0EEENS1_52radix_sort_onesweep_histogram_config_static_selectorELNS0_4arch9wavefront6targetE0EEEvSD_.uses_vcc, 0
	.set _ZN7rocprim17ROCPRIM_400000_NS6detail17trampoline_kernelINS0_14default_configENS1_35radix_sort_onesweep_config_selectorImNS0_10empty_typeEEEZNS1_34radix_sort_onesweep_global_offsetsIS3_Lb0EPKmPS5_mNS0_19identity_decomposerEEE10hipError_tT1_T2_PT3_SF_jT4_jjP12ihipStream_tbEUlT_E0_NS1_11comp_targetILNS1_3genE10ELNS1_11target_archE1201ELNS1_3gpuE5ELNS1_3repE0EEENS1_52radix_sort_onesweep_histogram_config_static_selectorELNS0_4arch9wavefront6targetE0EEEvSD_.uses_flat_scratch, 0
	.set _ZN7rocprim17ROCPRIM_400000_NS6detail17trampoline_kernelINS0_14default_configENS1_35radix_sort_onesweep_config_selectorImNS0_10empty_typeEEEZNS1_34radix_sort_onesweep_global_offsetsIS3_Lb0EPKmPS5_mNS0_19identity_decomposerEEE10hipError_tT1_T2_PT3_SF_jT4_jjP12ihipStream_tbEUlT_E0_NS1_11comp_targetILNS1_3genE10ELNS1_11target_archE1201ELNS1_3gpuE5ELNS1_3repE0EEENS1_52radix_sort_onesweep_histogram_config_static_selectorELNS0_4arch9wavefront6targetE0EEEvSD_.has_dyn_sized_stack, 0
	.set _ZN7rocprim17ROCPRIM_400000_NS6detail17trampoline_kernelINS0_14default_configENS1_35radix_sort_onesweep_config_selectorImNS0_10empty_typeEEEZNS1_34radix_sort_onesweep_global_offsetsIS3_Lb0EPKmPS5_mNS0_19identity_decomposerEEE10hipError_tT1_T2_PT3_SF_jT4_jjP12ihipStream_tbEUlT_E0_NS1_11comp_targetILNS1_3genE10ELNS1_11target_archE1201ELNS1_3gpuE5ELNS1_3repE0EEENS1_52radix_sort_onesweep_histogram_config_static_selectorELNS0_4arch9wavefront6targetE0EEEvSD_.has_recursion, 0
	.set _ZN7rocprim17ROCPRIM_400000_NS6detail17trampoline_kernelINS0_14default_configENS1_35radix_sort_onesweep_config_selectorImNS0_10empty_typeEEEZNS1_34radix_sort_onesweep_global_offsetsIS3_Lb0EPKmPS5_mNS0_19identity_decomposerEEE10hipError_tT1_T2_PT3_SF_jT4_jjP12ihipStream_tbEUlT_E0_NS1_11comp_targetILNS1_3genE10ELNS1_11target_archE1201ELNS1_3gpuE5ELNS1_3repE0EEENS1_52radix_sort_onesweep_histogram_config_static_selectorELNS0_4arch9wavefront6targetE0EEEvSD_.has_indirect_call, 0
	.section	.AMDGPU.csdata,"",@progbits
; Kernel info:
; codeLenInByte = 0
; TotalNumSgprs: 0
; NumVgprs: 0
; ScratchSize: 0
; MemoryBound: 0
; FloatMode: 240
; IeeeMode: 1
; LDSByteSize: 0 bytes/workgroup (compile time only)
; SGPRBlocks: 0
; VGPRBlocks: 0
; NumSGPRsForWavesPerEU: 1
; NumVGPRsForWavesPerEU: 1
; NamedBarCnt: 0
; Occupancy: 16
; WaveLimiterHint : 0
; COMPUTE_PGM_RSRC2:SCRATCH_EN: 0
; COMPUTE_PGM_RSRC2:USER_SGPR: 2
; COMPUTE_PGM_RSRC2:TRAP_HANDLER: 0
; COMPUTE_PGM_RSRC2:TGID_X_EN: 1
; COMPUTE_PGM_RSRC2:TGID_Y_EN: 0
; COMPUTE_PGM_RSRC2:TGID_Z_EN: 0
; COMPUTE_PGM_RSRC2:TIDIG_COMP_CNT: 0
	.section	.text._ZN7rocprim17ROCPRIM_400000_NS6detail17trampoline_kernelINS0_14default_configENS1_35radix_sort_onesweep_config_selectorImNS0_10empty_typeEEEZNS1_34radix_sort_onesweep_global_offsetsIS3_Lb0EPKmPS5_mNS0_19identity_decomposerEEE10hipError_tT1_T2_PT3_SF_jT4_jjP12ihipStream_tbEUlT_E0_NS1_11comp_targetILNS1_3genE9ELNS1_11target_archE1100ELNS1_3gpuE3ELNS1_3repE0EEENS1_52radix_sort_onesweep_histogram_config_static_selectorELNS0_4arch9wavefront6targetE0EEEvSD_,"axG",@progbits,_ZN7rocprim17ROCPRIM_400000_NS6detail17trampoline_kernelINS0_14default_configENS1_35radix_sort_onesweep_config_selectorImNS0_10empty_typeEEEZNS1_34radix_sort_onesweep_global_offsetsIS3_Lb0EPKmPS5_mNS0_19identity_decomposerEEE10hipError_tT1_T2_PT3_SF_jT4_jjP12ihipStream_tbEUlT_E0_NS1_11comp_targetILNS1_3genE9ELNS1_11target_archE1100ELNS1_3gpuE3ELNS1_3repE0EEENS1_52radix_sort_onesweep_histogram_config_static_selectorELNS0_4arch9wavefront6targetE0EEEvSD_,comdat
	.protected	_ZN7rocprim17ROCPRIM_400000_NS6detail17trampoline_kernelINS0_14default_configENS1_35radix_sort_onesweep_config_selectorImNS0_10empty_typeEEEZNS1_34radix_sort_onesweep_global_offsetsIS3_Lb0EPKmPS5_mNS0_19identity_decomposerEEE10hipError_tT1_T2_PT3_SF_jT4_jjP12ihipStream_tbEUlT_E0_NS1_11comp_targetILNS1_3genE9ELNS1_11target_archE1100ELNS1_3gpuE3ELNS1_3repE0EEENS1_52radix_sort_onesweep_histogram_config_static_selectorELNS0_4arch9wavefront6targetE0EEEvSD_ ; -- Begin function _ZN7rocprim17ROCPRIM_400000_NS6detail17trampoline_kernelINS0_14default_configENS1_35radix_sort_onesweep_config_selectorImNS0_10empty_typeEEEZNS1_34radix_sort_onesweep_global_offsetsIS3_Lb0EPKmPS5_mNS0_19identity_decomposerEEE10hipError_tT1_T2_PT3_SF_jT4_jjP12ihipStream_tbEUlT_E0_NS1_11comp_targetILNS1_3genE9ELNS1_11target_archE1100ELNS1_3gpuE3ELNS1_3repE0EEENS1_52radix_sort_onesweep_histogram_config_static_selectorELNS0_4arch9wavefront6targetE0EEEvSD_
	.globl	_ZN7rocprim17ROCPRIM_400000_NS6detail17trampoline_kernelINS0_14default_configENS1_35radix_sort_onesweep_config_selectorImNS0_10empty_typeEEEZNS1_34radix_sort_onesweep_global_offsetsIS3_Lb0EPKmPS5_mNS0_19identity_decomposerEEE10hipError_tT1_T2_PT3_SF_jT4_jjP12ihipStream_tbEUlT_E0_NS1_11comp_targetILNS1_3genE9ELNS1_11target_archE1100ELNS1_3gpuE3ELNS1_3repE0EEENS1_52radix_sort_onesweep_histogram_config_static_selectorELNS0_4arch9wavefront6targetE0EEEvSD_
	.p2align	8
	.type	_ZN7rocprim17ROCPRIM_400000_NS6detail17trampoline_kernelINS0_14default_configENS1_35radix_sort_onesweep_config_selectorImNS0_10empty_typeEEEZNS1_34radix_sort_onesweep_global_offsetsIS3_Lb0EPKmPS5_mNS0_19identity_decomposerEEE10hipError_tT1_T2_PT3_SF_jT4_jjP12ihipStream_tbEUlT_E0_NS1_11comp_targetILNS1_3genE9ELNS1_11target_archE1100ELNS1_3gpuE3ELNS1_3repE0EEENS1_52radix_sort_onesweep_histogram_config_static_selectorELNS0_4arch9wavefront6targetE0EEEvSD_,@function
_ZN7rocprim17ROCPRIM_400000_NS6detail17trampoline_kernelINS0_14default_configENS1_35radix_sort_onesweep_config_selectorImNS0_10empty_typeEEEZNS1_34radix_sort_onesweep_global_offsetsIS3_Lb0EPKmPS5_mNS0_19identity_decomposerEEE10hipError_tT1_T2_PT3_SF_jT4_jjP12ihipStream_tbEUlT_E0_NS1_11comp_targetILNS1_3genE9ELNS1_11target_archE1100ELNS1_3gpuE3ELNS1_3repE0EEENS1_52radix_sort_onesweep_histogram_config_static_selectorELNS0_4arch9wavefront6targetE0EEEvSD_: ; @_ZN7rocprim17ROCPRIM_400000_NS6detail17trampoline_kernelINS0_14default_configENS1_35radix_sort_onesweep_config_selectorImNS0_10empty_typeEEEZNS1_34radix_sort_onesweep_global_offsetsIS3_Lb0EPKmPS5_mNS0_19identity_decomposerEEE10hipError_tT1_T2_PT3_SF_jT4_jjP12ihipStream_tbEUlT_E0_NS1_11comp_targetILNS1_3genE9ELNS1_11target_archE1100ELNS1_3gpuE3ELNS1_3repE0EEENS1_52radix_sort_onesweep_histogram_config_static_selectorELNS0_4arch9wavefront6targetE0EEEvSD_
; %bb.0:
	.section	.rodata,"a",@progbits
	.p2align	6, 0x0
	.amdhsa_kernel _ZN7rocprim17ROCPRIM_400000_NS6detail17trampoline_kernelINS0_14default_configENS1_35radix_sort_onesweep_config_selectorImNS0_10empty_typeEEEZNS1_34radix_sort_onesweep_global_offsetsIS3_Lb0EPKmPS5_mNS0_19identity_decomposerEEE10hipError_tT1_T2_PT3_SF_jT4_jjP12ihipStream_tbEUlT_E0_NS1_11comp_targetILNS1_3genE9ELNS1_11target_archE1100ELNS1_3gpuE3ELNS1_3repE0EEENS1_52radix_sort_onesweep_histogram_config_static_selectorELNS0_4arch9wavefront6targetE0EEEvSD_
		.amdhsa_group_segment_fixed_size 0
		.amdhsa_private_segment_fixed_size 0
		.amdhsa_kernarg_size 8
		.amdhsa_user_sgpr_count 2
		.amdhsa_user_sgpr_dispatch_ptr 0
		.amdhsa_user_sgpr_queue_ptr 0
		.amdhsa_user_sgpr_kernarg_segment_ptr 1
		.amdhsa_user_sgpr_dispatch_id 0
		.amdhsa_user_sgpr_kernarg_preload_length 0
		.amdhsa_user_sgpr_kernarg_preload_offset 0
		.amdhsa_user_sgpr_private_segment_size 0
		.amdhsa_wavefront_size32 1
		.amdhsa_uses_dynamic_stack 0
		.amdhsa_enable_private_segment 0
		.amdhsa_system_sgpr_workgroup_id_x 1
		.amdhsa_system_sgpr_workgroup_id_y 0
		.amdhsa_system_sgpr_workgroup_id_z 0
		.amdhsa_system_sgpr_workgroup_info 0
		.amdhsa_system_vgpr_workitem_id 0
		.amdhsa_next_free_vgpr 1
		.amdhsa_next_free_sgpr 1
		.amdhsa_named_barrier_count 0
		.amdhsa_reserve_vcc 0
		.amdhsa_float_round_mode_32 0
		.amdhsa_float_round_mode_16_64 0
		.amdhsa_float_denorm_mode_32 3
		.amdhsa_float_denorm_mode_16_64 3
		.amdhsa_fp16_overflow 0
		.amdhsa_memory_ordered 1
		.amdhsa_forward_progress 1
		.amdhsa_inst_pref_size 0
		.amdhsa_round_robin_scheduling 0
		.amdhsa_exception_fp_ieee_invalid_op 0
		.amdhsa_exception_fp_denorm_src 0
		.amdhsa_exception_fp_ieee_div_zero 0
		.amdhsa_exception_fp_ieee_overflow 0
		.amdhsa_exception_fp_ieee_underflow 0
		.amdhsa_exception_fp_ieee_inexact 0
		.amdhsa_exception_int_div_zero 0
	.end_amdhsa_kernel
	.section	.text._ZN7rocprim17ROCPRIM_400000_NS6detail17trampoline_kernelINS0_14default_configENS1_35radix_sort_onesweep_config_selectorImNS0_10empty_typeEEEZNS1_34radix_sort_onesweep_global_offsetsIS3_Lb0EPKmPS5_mNS0_19identity_decomposerEEE10hipError_tT1_T2_PT3_SF_jT4_jjP12ihipStream_tbEUlT_E0_NS1_11comp_targetILNS1_3genE9ELNS1_11target_archE1100ELNS1_3gpuE3ELNS1_3repE0EEENS1_52radix_sort_onesweep_histogram_config_static_selectorELNS0_4arch9wavefront6targetE0EEEvSD_,"axG",@progbits,_ZN7rocprim17ROCPRIM_400000_NS6detail17trampoline_kernelINS0_14default_configENS1_35radix_sort_onesweep_config_selectorImNS0_10empty_typeEEEZNS1_34radix_sort_onesweep_global_offsetsIS3_Lb0EPKmPS5_mNS0_19identity_decomposerEEE10hipError_tT1_T2_PT3_SF_jT4_jjP12ihipStream_tbEUlT_E0_NS1_11comp_targetILNS1_3genE9ELNS1_11target_archE1100ELNS1_3gpuE3ELNS1_3repE0EEENS1_52radix_sort_onesweep_histogram_config_static_selectorELNS0_4arch9wavefront6targetE0EEEvSD_,comdat
.Lfunc_end2989:
	.size	_ZN7rocprim17ROCPRIM_400000_NS6detail17trampoline_kernelINS0_14default_configENS1_35radix_sort_onesweep_config_selectorImNS0_10empty_typeEEEZNS1_34radix_sort_onesweep_global_offsetsIS3_Lb0EPKmPS5_mNS0_19identity_decomposerEEE10hipError_tT1_T2_PT3_SF_jT4_jjP12ihipStream_tbEUlT_E0_NS1_11comp_targetILNS1_3genE9ELNS1_11target_archE1100ELNS1_3gpuE3ELNS1_3repE0EEENS1_52radix_sort_onesweep_histogram_config_static_selectorELNS0_4arch9wavefront6targetE0EEEvSD_, .Lfunc_end2989-_ZN7rocprim17ROCPRIM_400000_NS6detail17trampoline_kernelINS0_14default_configENS1_35radix_sort_onesweep_config_selectorImNS0_10empty_typeEEEZNS1_34radix_sort_onesweep_global_offsetsIS3_Lb0EPKmPS5_mNS0_19identity_decomposerEEE10hipError_tT1_T2_PT3_SF_jT4_jjP12ihipStream_tbEUlT_E0_NS1_11comp_targetILNS1_3genE9ELNS1_11target_archE1100ELNS1_3gpuE3ELNS1_3repE0EEENS1_52radix_sort_onesweep_histogram_config_static_selectorELNS0_4arch9wavefront6targetE0EEEvSD_
                                        ; -- End function
	.set _ZN7rocprim17ROCPRIM_400000_NS6detail17trampoline_kernelINS0_14default_configENS1_35radix_sort_onesweep_config_selectorImNS0_10empty_typeEEEZNS1_34radix_sort_onesweep_global_offsetsIS3_Lb0EPKmPS5_mNS0_19identity_decomposerEEE10hipError_tT1_T2_PT3_SF_jT4_jjP12ihipStream_tbEUlT_E0_NS1_11comp_targetILNS1_3genE9ELNS1_11target_archE1100ELNS1_3gpuE3ELNS1_3repE0EEENS1_52radix_sort_onesweep_histogram_config_static_selectorELNS0_4arch9wavefront6targetE0EEEvSD_.num_vgpr, 0
	.set _ZN7rocprim17ROCPRIM_400000_NS6detail17trampoline_kernelINS0_14default_configENS1_35radix_sort_onesweep_config_selectorImNS0_10empty_typeEEEZNS1_34radix_sort_onesweep_global_offsetsIS3_Lb0EPKmPS5_mNS0_19identity_decomposerEEE10hipError_tT1_T2_PT3_SF_jT4_jjP12ihipStream_tbEUlT_E0_NS1_11comp_targetILNS1_3genE9ELNS1_11target_archE1100ELNS1_3gpuE3ELNS1_3repE0EEENS1_52radix_sort_onesweep_histogram_config_static_selectorELNS0_4arch9wavefront6targetE0EEEvSD_.num_agpr, 0
	.set _ZN7rocprim17ROCPRIM_400000_NS6detail17trampoline_kernelINS0_14default_configENS1_35radix_sort_onesweep_config_selectorImNS0_10empty_typeEEEZNS1_34radix_sort_onesweep_global_offsetsIS3_Lb0EPKmPS5_mNS0_19identity_decomposerEEE10hipError_tT1_T2_PT3_SF_jT4_jjP12ihipStream_tbEUlT_E0_NS1_11comp_targetILNS1_3genE9ELNS1_11target_archE1100ELNS1_3gpuE3ELNS1_3repE0EEENS1_52radix_sort_onesweep_histogram_config_static_selectorELNS0_4arch9wavefront6targetE0EEEvSD_.numbered_sgpr, 0
	.set _ZN7rocprim17ROCPRIM_400000_NS6detail17trampoline_kernelINS0_14default_configENS1_35radix_sort_onesweep_config_selectorImNS0_10empty_typeEEEZNS1_34radix_sort_onesweep_global_offsetsIS3_Lb0EPKmPS5_mNS0_19identity_decomposerEEE10hipError_tT1_T2_PT3_SF_jT4_jjP12ihipStream_tbEUlT_E0_NS1_11comp_targetILNS1_3genE9ELNS1_11target_archE1100ELNS1_3gpuE3ELNS1_3repE0EEENS1_52radix_sort_onesweep_histogram_config_static_selectorELNS0_4arch9wavefront6targetE0EEEvSD_.num_named_barrier, 0
	.set _ZN7rocprim17ROCPRIM_400000_NS6detail17trampoline_kernelINS0_14default_configENS1_35radix_sort_onesweep_config_selectorImNS0_10empty_typeEEEZNS1_34radix_sort_onesweep_global_offsetsIS3_Lb0EPKmPS5_mNS0_19identity_decomposerEEE10hipError_tT1_T2_PT3_SF_jT4_jjP12ihipStream_tbEUlT_E0_NS1_11comp_targetILNS1_3genE9ELNS1_11target_archE1100ELNS1_3gpuE3ELNS1_3repE0EEENS1_52radix_sort_onesweep_histogram_config_static_selectorELNS0_4arch9wavefront6targetE0EEEvSD_.private_seg_size, 0
	.set _ZN7rocprim17ROCPRIM_400000_NS6detail17trampoline_kernelINS0_14default_configENS1_35radix_sort_onesweep_config_selectorImNS0_10empty_typeEEEZNS1_34radix_sort_onesweep_global_offsetsIS3_Lb0EPKmPS5_mNS0_19identity_decomposerEEE10hipError_tT1_T2_PT3_SF_jT4_jjP12ihipStream_tbEUlT_E0_NS1_11comp_targetILNS1_3genE9ELNS1_11target_archE1100ELNS1_3gpuE3ELNS1_3repE0EEENS1_52radix_sort_onesweep_histogram_config_static_selectorELNS0_4arch9wavefront6targetE0EEEvSD_.uses_vcc, 0
	.set _ZN7rocprim17ROCPRIM_400000_NS6detail17trampoline_kernelINS0_14default_configENS1_35radix_sort_onesweep_config_selectorImNS0_10empty_typeEEEZNS1_34radix_sort_onesweep_global_offsetsIS3_Lb0EPKmPS5_mNS0_19identity_decomposerEEE10hipError_tT1_T2_PT3_SF_jT4_jjP12ihipStream_tbEUlT_E0_NS1_11comp_targetILNS1_3genE9ELNS1_11target_archE1100ELNS1_3gpuE3ELNS1_3repE0EEENS1_52radix_sort_onesweep_histogram_config_static_selectorELNS0_4arch9wavefront6targetE0EEEvSD_.uses_flat_scratch, 0
	.set _ZN7rocprim17ROCPRIM_400000_NS6detail17trampoline_kernelINS0_14default_configENS1_35radix_sort_onesweep_config_selectorImNS0_10empty_typeEEEZNS1_34radix_sort_onesweep_global_offsetsIS3_Lb0EPKmPS5_mNS0_19identity_decomposerEEE10hipError_tT1_T2_PT3_SF_jT4_jjP12ihipStream_tbEUlT_E0_NS1_11comp_targetILNS1_3genE9ELNS1_11target_archE1100ELNS1_3gpuE3ELNS1_3repE0EEENS1_52radix_sort_onesweep_histogram_config_static_selectorELNS0_4arch9wavefront6targetE0EEEvSD_.has_dyn_sized_stack, 0
	.set _ZN7rocprim17ROCPRIM_400000_NS6detail17trampoline_kernelINS0_14default_configENS1_35radix_sort_onesweep_config_selectorImNS0_10empty_typeEEEZNS1_34radix_sort_onesweep_global_offsetsIS3_Lb0EPKmPS5_mNS0_19identity_decomposerEEE10hipError_tT1_T2_PT3_SF_jT4_jjP12ihipStream_tbEUlT_E0_NS1_11comp_targetILNS1_3genE9ELNS1_11target_archE1100ELNS1_3gpuE3ELNS1_3repE0EEENS1_52radix_sort_onesweep_histogram_config_static_selectorELNS0_4arch9wavefront6targetE0EEEvSD_.has_recursion, 0
	.set _ZN7rocprim17ROCPRIM_400000_NS6detail17trampoline_kernelINS0_14default_configENS1_35radix_sort_onesweep_config_selectorImNS0_10empty_typeEEEZNS1_34radix_sort_onesweep_global_offsetsIS3_Lb0EPKmPS5_mNS0_19identity_decomposerEEE10hipError_tT1_T2_PT3_SF_jT4_jjP12ihipStream_tbEUlT_E0_NS1_11comp_targetILNS1_3genE9ELNS1_11target_archE1100ELNS1_3gpuE3ELNS1_3repE0EEENS1_52radix_sort_onesweep_histogram_config_static_selectorELNS0_4arch9wavefront6targetE0EEEvSD_.has_indirect_call, 0
	.section	.AMDGPU.csdata,"",@progbits
; Kernel info:
; codeLenInByte = 0
; TotalNumSgprs: 0
; NumVgprs: 0
; ScratchSize: 0
; MemoryBound: 0
; FloatMode: 240
; IeeeMode: 1
; LDSByteSize: 0 bytes/workgroup (compile time only)
; SGPRBlocks: 0
; VGPRBlocks: 0
; NumSGPRsForWavesPerEU: 1
; NumVGPRsForWavesPerEU: 1
; NamedBarCnt: 0
; Occupancy: 16
; WaveLimiterHint : 0
; COMPUTE_PGM_RSRC2:SCRATCH_EN: 0
; COMPUTE_PGM_RSRC2:USER_SGPR: 2
; COMPUTE_PGM_RSRC2:TRAP_HANDLER: 0
; COMPUTE_PGM_RSRC2:TGID_X_EN: 1
; COMPUTE_PGM_RSRC2:TGID_Y_EN: 0
; COMPUTE_PGM_RSRC2:TGID_Z_EN: 0
; COMPUTE_PGM_RSRC2:TIDIG_COMP_CNT: 0
	.section	.text._ZN7rocprim17ROCPRIM_400000_NS6detail17trampoline_kernelINS0_14default_configENS1_35radix_sort_onesweep_config_selectorImNS0_10empty_typeEEEZNS1_34radix_sort_onesweep_global_offsetsIS3_Lb0EPKmPS5_mNS0_19identity_decomposerEEE10hipError_tT1_T2_PT3_SF_jT4_jjP12ihipStream_tbEUlT_E0_NS1_11comp_targetILNS1_3genE8ELNS1_11target_archE1030ELNS1_3gpuE2ELNS1_3repE0EEENS1_52radix_sort_onesweep_histogram_config_static_selectorELNS0_4arch9wavefront6targetE0EEEvSD_,"axG",@progbits,_ZN7rocprim17ROCPRIM_400000_NS6detail17trampoline_kernelINS0_14default_configENS1_35radix_sort_onesweep_config_selectorImNS0_10empty_typeEEEZNS1_34radix_sort_onesweep_global_offsetsIS3_Lb0EPKmPS5_mNS0_19identity_decomposerEEE10hipError_tT1_T2_PT3_SF_jT4_jjP12ihipStream_tbEUlT_E0_NS1_11comp_targetILNS1_3genE8ELNS1_11target_archE1030ELNS1_3gpuE2ELNS1_3repE0EEENS1_52radix_sort_onesweep_histogram_config_static_selectorELNS0_4arch9wavefront6targetE0EEEvSD_,comdat
	.protected	_ZN7rocprim17ROCPRIM_400000_NS6detail17trampoline_kernelINS0_14default_configENS1_35radix_sort_onesweep_config_selectorImNS0_10empty_typeEEEZNS1_34radix_sort_onesweep_global_offsetsIS3_Lb0EPKmPS5_mNS0_19identity_decomposerEEE10hipError_tT1_T2_PT3_SF_jT4_jjP12ihipStream_tbEUlT_E0_NS1_11comp_targetILNS1_3genE8ELNS1_11target_archE1030ELNS1_3gpuE2ELNS1_3repE0EEENS1_52radix_sort_onesweep_histogram_config_static_selectorELNS0_4arch9wavefront6targetE0EEEvSD_ ; -- Begin function _ZN7rocprim17ROCPRIM_400000_NS6detail17trampoline_kernelINS0_14default_configENS1_35radix_sort_onesweep_config_selectorImNS0_10empty_typeEEEZNS1_34radix_sort_onesweep_global_offsetsIS3_Lb0EPKmPS5_mNS0_19identity_decomposerEEE10hipError_tT1_T2_PT3_SF_jT4_jjP12ihipStream_tbEUlT_E0_NS1_11comp_targetILNS1_3genE8ELNS1_11target_archE1030ELNS1_3gpuE2ELNS1_3repE0EEENS1_52radix_sort_onesweep_histogram_config_static_selectorELNS0_4arch9wavefront6targetE0EEEvSD_
	.globl	_ZN7rocprim17ROCPRIM_400000_NS6detail17trampoline_kernelINS0_14default_configENS1_35radix_sort_onesweep_config_selectorImNS0_10empty_typeEEEZNS1_34radix_sort_onesweep_global_offsetsIS3_Lb0EPKmPS5_mNS0_19identity_decomposerEEE10hipError_tT1_T2_PT3_SF_jT4_jjP12ihipStream_tbEUlT_E0_NS1_11comp_targetILNS1_3genE8ELNS1_11target_archE1030ELNS1_3gpuE2ELNS1_3repE0EEENS1_52radix_sort_onesweep_histogram_config_static_selectorELNS0_4arch9wavefront6targetE0EEEvSD_
	.p2align	8
	.type	_ZN7rocprim17ROCPRIM_400000_NS6detail17trampoline_kernelINS0_14default_configENS1_35radix_sort_onesweep_config_selectorImNS0_10empty_typeEEEZNS1_34radix_sort_onesweep_global_offsetsIS3_Lb0EPKmPS5_mNS0_19identity_decomposerEEE10hipError_tT1_T2_PT3_SF_jT4_jjP12ihipStream_tbEUlT_E0_NS1_11comp_targetILNS1_3genE8ELNS1_11target_archE1030ELNS1_3gpuE2ELNS1_3repE0EEENS1_52radix_sort_onesweep_histogram_config_static_selectorELNS0_4arch9wavefront6targetE0EEEvSD_,@function
_ZN7rocprim17ROCPRIM_400000_NS6detail17trampoline_kernelINS0_14default_configENS1_35radix_sort_onesweep_config_selectorImNS0_10empty_typeEEEZNS1_34radix_sort_onesweep_global_offsetsIS3_Lb0EPKmPS5_mNS0_19identity_decomposerEEE10hipError_tT1_T2_PT3_SF_jT4_jjP12ihipStream_tbEUlT_E0_NS1_11comp_targetILNS1_3genE8ELNS1_11target_archE1030ELNS1_3gpuE2ELNS1_3repE0EEENS1_52radix_sort_onesweep_histogram_config_static_selectorELNS0_4arch9wavefront6targetE0EEEvSD_: ; @_ZN7rocprim17ROCPRIM_400000_NS6detail17trampoline_kernelINS0_14default_configENS1_35radix_sort_onesweep_config_selectorImNS0_10empty_typeEEEZNS1_34radix_sort_onesweep_global_offsetsIS3_Lb0EPKmPS5_mNS0_19identity_decomposerEEE10hipError_tT1_T2_PT3_SF_jT4_jjP12ihipStream_tbEUlT_E0_NS1_11comp_targetILNS1_3genE8ELNS1_11target_archE1030ELNS1_3gpuE2ELNS1_3repE0EEENS1_52radix_sort_onesweep_histogram_config_static_selectorELNS0_4arch9wavefront6targetE0EEEvSD_
; %bb.0:
	.section	.rodata,"a",@progbits
	.p2align	6, 0x0
	.amdhsa_kernel _ZN7rocprim17ROCPRIM_400000_NS6detail17trampoline_kernelINS0_14default_configENS1_35radix_sort_onesweep_config_selectorImNS0_10empty_typeEEEZNS1_34radix_sort_onesweep_global_offsetsIS3_Lb0EPKmPS5_mNS0_19identity_decomposerEEE10hipError_tT1_T2_PT3_SF_jT4_jjP12ihipStream_tbEUlT_E0_NS1_11comp_targetILNS1_3genE8ELNS1_11target_archE1030ELNS1_3gpuE2ELNS1_3repE0EEENS1_52radix_sort_onesweep_histogram_config_static_selectorELNS0_4arch9wavefront6targetE0EEEvSD_
		.amdhsa_group_segment_fixed_size 0
		.amdhsa_private_segment_fixed_size 0
		.amdhsa_kernarg_size 8
		.amdhsa_user_sgpr_count 2
		.amdhsa_user_sgpr_dispatch_ptr 0
		.amdhsa_user_sgpr_queue_ptr 0
		.amdhsa_user_sgpr_kernarg_segment_ptr 1
		.amdhsa_user_sgpr_dispatch_id 0
		.amdhsa_user_sgpr_kernarg_preload_length 0
		.amdhsa_user_sgpr_kernarg_preload_offset 0
		.amdhsa_user_sgpr_private_segment_size 0
		.amdhsa_wavefront_size32 1
		.amdhsa_uses_dynamic_stack 0
		.amdhsa_enable_private_segment 0
		.amdhsa_system_sgpr_workgroup_id_x 1
		.amdhsa_system_sgpr_workgroup_id_y 0
		.amdhsa_system_sgpr_workgroup_id_z 0
		.amdhsa_system_sgpr_workgroup_info 0
		.amdhsa_system_vgpr_workitem_id 0
		.amdhsa_next_free_vgpr 1
		.amdhsa_next_free_sgpr 1
		.amdhsa_named_barrier_count 0
		.amdhsa_reserve_vcc 0
		.amdhsa_float_round_mode_32 0
		.amdhsa_float_round_mode_16_64 0
		.amdhsa_float_denorm_mode_32 3
		.amdhsa_float_denorm_mode_16_64 3
		.amdhsa_fp16_overflow 0
		.amdhsa_memory_ordered 1
		.amdhsa_forward_progress 1
		.amdhsa_inst_pref_size 0
		.amdhsa_round_robin_scheduling 0
		.amdhsa_exception_fp_ieee_invalid_op 0
		.amdhsa_exception_fp_denorm_src 0
		.amdhsa_exception_fp_ieee_div_zero 0
		.amdhsa_exception_fp_ieee_overflow 0
		.amdhsa_exception_fp_ieee_underflow 0
		.amdhsa_exception_fp_ieee_inexact 0
		.amdhsa_exception_int_div_zero 0
	.end_amdhsa_kernel
	.section	.text._ZN7rocprim17ROCPRIM_400000_NS6detail17trampoline_kernelINS0_14default_configENS1_35radix_sort_onesweep_config_selectorImNS0_10empty_typeEEEZNS1_34radix_sort_onesweep_global_offsetsIS3_Lb0EPKmPS5_mNS0_19identity_decomposerEEE10hipError_tT1_T2_PT3_SF_jT4_jjP12ihipStream_tbEUlT_E0_NS1_11comp_targetILNS1_3genE8ELNS1_11target_archE1030ELNS1_3gpuE2ELNS1_3repE0EEENS1_52radix_sort_onesweep_histogram_config_static_selectorELNS0_4arch9wavefront6targetE0EEEvSD_,"axG",@progbits,_ZN7rocprim17ROCPRIM_400000_NS6detail17trampoline_kernelINS0_14default_configENS1_35radix_sort_onesweep_config_selectorImNS0_10empty_typeEEEZNS1_34radix_sort_onesweep_global_offsetsIS3_Lb0EPKmPS5_mNS0_19identity_decomposerEEE10hipError_tT1_T2_PT3_SF_jT4_jjP12ihipStream_tbEUlT_E0_NS1_11comp_targetILNS1_3genE8ELNS1_11target_archE1030ELNS1_3gpuE2ELNS1_3repE0EEENS1_52radix_sort_onesweep_histogram_config_static_selectorELNS0_4arch9wavefront6targetE0EEEvSD_,comdat
.Lfunc_end2990:
	.size	_ZN7rocprim17ROCPRIM_400000_NS6detail17trampoline_kernelINS0_14default_configENS1_35radix_sort_onesweep_config_selectorImNS0_10empty_typeEEEZNS1_34radix_sort_onesweep_global_offsetsIS3_Lb0EPKmPS5_mNS0_19identity_decomposerEEE10hipError_tT1_T2_PT3_SF_jT4_jjP12ihipStream_tbEUlT_E0_NS1_11comp_targetILNS1_3genE8ELNS1_11target_archE1030ELNS1_3gpuE2ELNS1_3repE0EEENS1_52radix_sort_onesweep_histogram_config_static_selectorELNS0_4arch9wavefront6targetE0EEEvSD_, .Lfunc_end2990-_ZN7rocprim17ROCPRIM_400000_NS6detail17trampoline_kernelINS0_14default_configENS1_35radix_sort_onesweep_config_selectorImNS0_10empty_typeEEEZNS1_34radix_sort_onesweep_global_offsetsIS3_Lb0EPKmPS5_mNS0_19identity_decomposerEEE10hipError_tT1_T2_PT3_SF_jT4_jjP12ihipStream_tbEUlT_E0_NS1_11comp_targetILNS1_3genE8ELNS1_11target_archE1030ELNS1_3gpuE2ELNS1_3repE0EEENS1_52radix_sort_onesweep_histogram_config_static_selectorELNS0_4arch9wavefront6targetE0EEEvSD_
                                        ; -- End function
	.set _ZN7rocprim17ROCPRIM_400000_NS6detail17trampoline_kernelINS0_14default_configENS1_35radix_sort_onesweep_config_selectorImNS0_10empty_typeEEEZNS1_34radix_sort_onesweep_global_offsetsIS3_Lb0EPKmPS5_mNS0_19identity_decomposerEEE10hipError_tT1_T2_PT3_SF_jT4_jjP12ihipStream_tbEUlT_E0_NS1_11comp_targetILNS1_3genE8ELNS1_11target_archE1030ELNS1_3gpuE2ELNS1_3repE0EEENS1_52radix_sort_onesweep_histogram_config_static_selectorELNS0_4arch9wavefront6targetE0EEEvSD_.num_vgpr, 0
	.set _ZN7rocprim17ROCPRIM_400000_NS6detail17trampoline_kernelINS0_14default_configENS1_35radix_sort_onesweep_config_selectorImNS0_10empty_typeEEEZNS1_34radix_sort_onesweep_global_offsetsIS3_Lb0EPKmPS5_mNS0_19identity_decomposerEEE10hipError_tT1_T2_PT3_SF_jT4_jjP12ihipStream_tbEUlT_E0_NS1_11comp_targetILNS1_3genE8ELNS1_11target_archE1030ELNS1_3gpuE2ELNS1_3repE0EEENS1_52radix_sort_onesweep_histogram_config_static_selectorELNS0_4arch9wavefront6targetE0EEEvSD_.num_agpr, 0
	.set _ZN7rocprim17ROCPRIM_400000_NS6detail17trampoline_kernelINS0_14default_configENS1_35radix_sort_onesweep_config_selectorImNS0_10empty_typeEEEZNS1_34radix_sort_onesweep_global_offsetsIS3_Lb0EPKmPS5_mNS0_19identity_decomposerEEE10hipError_tT1_T2_PT3_SF_jT4_jjP12ihipStream_tbEUlT_E0_NS1_11comp_targetILNS1_3genE8ELNS1_11target_archE1030ELNS1_3gpuE2ELNS1_3repE0EEENS1_52radix_sort_onesweep_histogram_config_static_selectorELNS0_4arch9wavefront6targetE0EEEvSD_.numbered_sgpr, 0
	.set _ZN7rocprim17ROCPRIM_400000_NS6detail17trampoline_kernelINS0_14default_configENS1_35radix_sort_onesweep_config_selectorImNS0_10empty_typeEEEZNS1_34radix_sort_onesweep_global_offsetsIS3_Lb0EPKmPS5_mNS0_19identity_decomposerEEE10hipError_tT1_T2_PT3_SF_jT4_jjP12ihipStream_tbEUlT_E0_NS1_11comp_targetILNS1_3genE8ELNS1_11target_archE1030ELNS1_3gpuE2ELNS1_3repE0EEENS1_52radix_sort_onesweep_histogram_config_static_selectorELNS0_4arch9wavefront6targetE0EEEvSD_.num_named_barrier, 0
	.set _ZN7rocprim17ROCPRIM_400000_NS6detail17trampoline_kernelINS0_14default_configENS1_35radix_sort_onesweep_config_selectorImNS0_10empty_typeEEEZNS1_34radix_sort_onesweep_global_offsetsIS3_Lb0EPKmPS5_mNS0_19identity_decomposerEEE10hipError_tT1_T2_PT3_SF_jT4_jjP12ihipStream_tbEUlT_E0_NS1_11comp_targetILNS1_3genE8ELNS1_11target_archE1030ELNS1_3gpuE2ELNS1_3repE0EEENS1_52radix_sort_onesweep_histogram_config_static_selectorELNS0_4arch9wavefront6targetE0EEEvSD_.private_seg_size, 0
	.set _ZN7rocprim17ROCPRIM_400000_NS6detail17trampoline_kernelINS0_14default_configENS1_35radix_sort_onesweep_config_selectorImNS0_10empty_typeEEEZNS1_34radix_sort_onesweep_global_offsetsIS3_Lb0EPKmPS5_mNS0_19identity_decomposerEEE10hipError_tT1_T2_PT3_SF_jT4_jjP12ihipStream_tbEUlT_E0_NS1_11comp_targetILNS1_3genE8ELNS1_11target_archE1030ELNS1_3gpuE2ELNS1_3repE0EEENS1_52radix_sort_onesweep_histogram_config_static_selectorELNS0_4arch9wavefront6targetE0EEEvSD_.uses_vcc, 0
	.set _ZN7rocprim17ROCPRIM_400000_NS6detail17trampoline_kernelINS0_14default_configENS1_35radix_sort_onesweep_config_selectorImNS0_10empty_typeEEEZNS1_34radix_sort_onesweep_global_offsetsIS3_Lb0EPKmPS5_mNS0_19identity_decomposerEEE10hipError_tT1_T2_PT3_SF_jT4_jjP12ihipStream_tbEUlT_E0_NS1_11comp_targetILNS1_3genE8ELNS1_11target_archE1030ELNS1_3gpuE2ELNS1_3repE0EEENS1_52radix_sort_onesweep_histogram_config_static_selectorELNS0_4arch9wavefront6targetE0EEEvSD_.uses_flat_scratch, 0
	.set _ZN7rocprim17ROCPRIM_400000_NS6detail17trampoline_kernelINS0_14default_configENS1_35radix_sort_onesweep_config_selectorImNS0_10empty_typeEEEZNS1_34radix_sort_onesweep_global_offsetsIS3_Lb0EPKmPS5_mNS0_19identity_decomposerEEE10hipError_tT1_T2_PT3_SF_jT4_jjP12ihipStream_tbEUlT_E0_NS1_11comp_targetILNS1_3genE8ELNS1_11target_archE1030ELNS1_3gpuE2ELNS1_3repE0EEENS1_52radix_sort_onesweep_histogram_config_static_selectorELNS0_4arch9wavefront6targetE0EEEvSD_.has_dyn_sized_stack, 0
	.set _ZN7rocprim17ROCPRIM_400000_NS6detail17trampoline_kernelINS0_14default_configENS1_35radix_sort_onesweep_config_selectorImNS0_10empty_typeEEEZNS1_34radix_sort_onesweep_global_offsetsIS3_Lb0EPKmPS5_mNS0_19identity_decomposerEEE10hipError_tT1_T2_PT3_SF_jT4_jjP12ihipStream_tbEUlT_E0_NS1_11comp_targetILNS1_3genE8ELNS1_11target_archE1030ELNS1_3gpuE2ELNS1_3repE0EEENS1_52radix_sort_onesweep_histogram_config_static_selectorELNS0_4arch9wavefront6targetE0EEEvSD_.has_recursion, 0
	.set _ZN7rocprim17ROCPRIM_400000_NS6detail17trampoline_kernelINS0_14default_configENS1_35radix_sort_onesweep_config_selectorImNS0_10empty_typeEEEZNS1_34radix_sort_onesweep_global_offsetsIS3_Lb0EPKmPS5_mNS0_19identity_decomposerEEE10hipError_tT1_T2_PT3_SF_jT4_jjP12ihipStream_tbEUlT_E0_NS1_11comp_targetILNS1_3genE8ELNS1_11target_archE1030ELNS1_3gpuE2ELNS1_3repE0EEENS1_52radix_sort_onesweep_histogram_config_static_selectorELNS0_4arch9wavefront6targetE0EEEvSD_.has_indirect_call, 0
	.section	.AMDGPU.csdata,"",@progbits
; Kernel info:
; codeLenInByte = 0
; TotalNumSgprs: 0
; NumVgprs: 0
; ScratchSize: 0
; MemoryBound: 0
; FloatMode: 240
; IeeeMode: 1
; LDSByteSize: 0 bytes/workgroup (compile time only)
; SGPRBlocks: 0
; VGPRBlocks: 0
; NumSGPRsForWavesPerEU: 1
; NumVGPRsForWavesPerEU: 1
; NamedBarCnt: 0
; Occupancy: 16
; WaveLimiterHint : 0
; COMPUTE_PGM_RSRC2:SCRATCH_EN: 0
; COMPUTE_PGM_RSRC2:USER_SGPR: 2
; COMPUTE_PGM_RSRC2:TRAP_HANDLER: 0
; COMPUTE_PGM_RSRC2:TGID_X_EN: 1
; COMPUTE_PGM_RSRC2:TGID_Y_EN: 0
; COMPUTE_PGM_RSRC2:TGID_Z_EN: 0
; COMPUTE_PGM_RSRC2:TIDIG_COMP_CNT: 0
	.section	.text._ZN7rocprim17ROCPRIM_400000_NS6detail17trampoline_kernelINS0_14default_configENS1_35radix_sort_onesweep_config_selectorImNS0_10empty_typeEEEZZNS1_29radix_sort_onesweep_iterationIS3_Lb0EPKmPmPS5_SB_mNS0_19identity_decomposerENS1_16block_id_wrapperIjLb1EEEEE10hipError_tT1_PNSt15iterator_traitsISG_E10value_typeET2_T3_PNSH_ISM_E10value_typeET4_T5_PSR_SS_PNS1_23onesweep_lookback_stateEbbT6_jjT7_P12ihipStream_tbENKUlT_T0_SG_SL_E_clIS9_SA_SB_SB_EEDaSZ_S10_SG_SL_EUlSZ_E_NS1_11comp_targetILNS1_3genE0ELNS1_11target_archE4294967295ELNS1_3gpuE0ELNS1_3repE0EEENS1_47radix_sort_onesweep_sort_config_static_selectorELNS0_4arch9wavefront6targetE0EEEvSG_,"axG",@progbits,_ZN7rocprim17ROCPRIM_400000_NS6detail17trampoline_kernelINS0_14default_configENS1_35radix_sort_onesweep_config_selectorImNS0_10empty_typeEEEZZNS1_29radix_sort_onesweep_iterationIS3_Lb0EPKmPmPS5_SB_mNS0_19identity_decomposerENS1_16block_id_wrapperIjLb1EEEEE10hipError_tT1_PNSt15iterator_traitsISG_E10value_typeET2_T3_PNSH_ISM_E10value_typeET4_T5_PSR_SS_PNS1_23onesweep_lookback_stateEbbT6_jjT7_P12ihipStream_tbENKUlT_T0_SG_SL_E_clIS9_SA_SB_SB_EEDaSZ_S10_SG_SL_EUlSZ_E_NS1_11comp_targetILNS1_3genE0ELNS1_11target_archE4294967295ELNS1_3gpuE0ELNS1_3repE0EEENS1_47radix_sort_onesweep_sort_config_static_selectorELNS0_4arch9wavefront6targetE0EEEvSG_,comdat
	.protected	_ZN7rocprim17ROCPRIM_400000_NS6detail17trampoline_kernelINS0_14default_configENS1_35radix_sort_onesweep_config_selectorImNS0_10empty_typeEEEZZNS1_29radix_sort_onesweep_iterationIS3_Lb0EPKmPmPS5_SB_mNS0_19identity_decomposerENS1_16block_id_wrapperIjLb1EEEEE10hipError_tT1_PNSt15iterator_traitsISG_E10value_typeET2_T3_PNSH_ISM_E10value_typeET4_T5_PSR_SS_PNS1_23onesweep_lookback_stateEbbT6_jjT7_P12ihipStream_tbENKUlT_T0_SG_SL_E_clIS9_SA_SB_SB_EEDaSZ_S10_SG_SL_EUlSZ_E_NS1_11comp_targetILNS1_3genE0ELNS1_11target_archE4294967295ELNS1_3gpuE0ELNS1_3repE0EEENS1_47radix_sort_onesweep_sort_config_static_selectorELNS0_4arch9wavefront6targetE0EEEvSG_ ; -- Begin function _ZN7rocprim17ROCPRIM_400000_NS6detail17trampoline_kernelINS0_14default_configENS1_35radix_sort_onesweep_config_selectorImNS0_10empty_typeEEEZZNS1_29radix_sort_onesweep_iterationIS3_Lb0EPKmPmPS5_SB_mNS0_19identity_decomposerENS1_16block_id_wrapperIjLb1EEEEE10hipError_tT1_PNSt15iterator_traitsISG_E10value_typeET2_T3_PNSH_ISM_E10value_typeET4_T5_PSR_SS_PNS1_23onesweep_lookback_stateEbbT6_jjT7_P12ihipStream_tbENKUlT_T0_SG_SL_E_clIS9_SA_SB_SB_EEDaSZ_S10_SG_SL_EUlSZ_E_NS1_11comp_targetILNS1_3genE0ELNS1_11target_archE4294967295ELNS1_3gpuE0ELNS1_3repE0EEENS1_47radix_sort_onesweep_sort_config_static_selectorELNS0_4arch9wavefront6targetE0EEEvSG_
	.globl	_ZN7rocprim17ROCPRIM_400000_NS6detail17trampoline_kernelINS0_14default_configENS1_35radix_sort_onesweep_config_selectorImNS0_10empty_typeEEEZZNS1_29radix_sort_onesweep_iterationIS3_Lb0EPKmPmPS5_SB_mNS0_19identity_decomposerENS1_16block_id_wrapperIjLb1EEEEE10hipError_tT1_PNSt15iterator_traitsISG_E10value_typeET2_T3_PNSH_ISM_E10value_typeET4_T5_PSR_SS_PNS1_23onesweep_lookback_stateEbbT6_jjT7_P12ihipStream_tbENKUlT_T0_SG_SL_E_clIS9_SA_SB_SB_EEDaSZ_S10_SG_SL_EUlSZ_E_NS1_11comp_targetILNS1_3genE0ELNS1_11target_archE4294967295ELNS1_3gpuE0ELNS1_3repE0EEENS1_47radix_sort_onesweep_sort_config_static_selectorELNS0_4arch9wavefront6targetE0EEEvSG_
	.p2align	8
	.type	_ZN7rocprim17ROCPRIM_400000_NS6detail17trampoline_kernelINS0_14default_configENS1_35radix_sort_onesweep_config_selectorImNS0_10empty_typeEEEZZNS1_29radix_sort_onesweep_iterationIS3_Lb0EPKmPmPS5_SB_mNS0_19identity_decomposerENS1_16block_id_wrapperIjLb1EEEEE10hipError_tT1_PNSt15iterator_traitsISG_E10value_typeET2_T3_PNSH_ISM_E10value_typeET4_T5_PSR_SS_PNS1_23onesweep_lookback_stateEbbT6_jjT7_P12ihipStream_tbENKUlT_T0_SG_SL_E_clIS9_SA_SB_SB_EEDaSZ_S10_SG_SL_EUlSZ_E_NS1_11comp_targetILNS1_3genE0ELNS1_11target_archE4294967295ELNS1_3gpuE0ELNS1_3repE0EEENS1_47radix_sort_onesweep_sort_config_static_selectorELNS0_4arch9wavefront6targetE0EEEvSG_,@function
_ZN7rocprim17ROCPRIM_400000_NS6detail17trampoline_kernelINS0_14default_configENS1_35radix_sort_onesweep_config_selectorImNS0_10empty_typeEEEZZNS1_29radix_sort_onesweep_iterationIS3_Lb0EPKmPmPS5_SB_mNS0_19identity_decomposerENS1_16block_id_wrapperIjLb1EEEEE10hipError_tT1_PNSt15iterator_traitsISG_E10value_typeET2_T3_PNSH_ISM_E10value_typeET4_T5_PSR_SS_PNS1_23onesweep_lookback_stateEbbT6_jjT7_P12ihipStream_tbENKUlT_T0_SG_SL_E_clIS9_SA_SB_SB_EEDaSZ_S10_SG_SL_EUlSZ_E_NS1_11comp_targetILNS1_3genE0ELNS1_11target_archE4294967295ELNS1_3gpuE0ELNS1_3repE0EEENS1_47radix_sort_onesweep_sort_config_static_selectorELNS0_4arch9wavefront6targetE0EEEvSG_: ; @_ZN7rocprim17ROCPRIM_400000_NS6detail17trampoline_kernelINS0_14default_configENS1_35radix_sort_onesweep_config_selectorImNS0_10empty_typeEEEZZNS1_29radix_sort_onesweep_iterationIS3_Lb0EPKmPmPS5_SB_mNS0_19identity_decomposerENS1_16block_id_wrapperIjLb1EEEEE10hipError_tT1_PNSt15iterator_traitsISG_E10value_typeET2_T3_PNSH_ISM_E10value_typeET4_T5_PSR_SS_PNS1_23onesweep_lookback_stateEbbT6_jjT7_P12ihipStream_tbENKUlT_T0_SG_SL_E_clIS9_SA_SB_SB_EEDaSZ_S10_SG_SL_EUlSZ_E_NS1_11comp_targetILNS1_3genE0ELNS1_11target_archE4294967295ELNS1_3gpuE0ELNS1_3repE0EEENS1_47radix_sort_onesweep_sort_config_static_selectorELNS0_4arch9wavefront6targetE0EEEvSG_
; %bb.0:
	s_clause 0x1
	s_load_b128 s[8:11], s[0:1], 0x28
	s_load_b64 s[20:21], s[0:1], 0x38
	v_and_b32_e32 v32, 0x3ff, v0
	s_delay_alu instid0(VALU_DEP_1)
	v_cmp_eq_u32_e64 s2, 0, v32
	s_and_saveexec_b32 s3, s2
	s_cbranch_execz .LBB2991_4
; %bb.1:
	s_mov_b32 s5, exec_lo
	s_mov_b32 s4, exec_lo
	v_mbcnt_lo_u32_b32 v1, s5, 0
                                        ; implicit-def: $vgpr2
	s_delay_alu instid0(VALU_DEP_1)
	v_cmpx_eq_u32_e32 0, v1
	s_cbranch_execz .LBB2991_3
; %bb.2:
	s_load_b64 s[6:7], s[0:1], 0x50
	s_bcnt1_i32_b32 s5, s5
	s_delay_alu instid0(SALU_CYCLE_1)
	v_dual_mov_b32 v2, 0 :: v_dual_mov_b32 v3, s5
	s_wait_xcnt 0x0
	s_wait_kmcnt 0x0
	global_atomic_add_u32 v2, v2, v3, s[6:7] th:TH_ATOMIC_RETURN scope:SCOPE_DEV
.LBB2991_3:
	s_wait_xcnt 0x0
	s_or_b32 exec_lo, exec_lo, s4
	s_wait_loadcnt 0x0
	v_readfirstlane_b32 s4, v2
	s_delay_alu instid0(VALU_DEP_1)
	v_dual_mov_b32 v2, 0 :: v_dual_add_nc_u32 v1, s4, v1
	ds_store_b32 v2, v1 offset:18496
.LBB2991_4:
	s_or_b32 exec_lo, exec_lo, s3
	v_dual_mov_b32 v7, 0 :: v_dual_lshlrev_b32 v2, 3, v32
	s_clause 0x2
	s_load_b128 s[12:15], s[0:1], 0x0
	s_load_b32 s3, s[0:1], 0x20
	s_load_b96 s[16:18], s[0:1], 0x44
	s_wait_dscnt 0x0
	s_barrier_signal -1
	s_barrier_wait -1
	ds_load_b32 v1, v7 offset:18496
	v_mbcnt_lo_u32_b32 v33, -1, 0
	s_mov_b32 s4, -1
	s_add_nc_u64 s[22:23], s[0:1], 0x58
	s_getreg_b32 s7, hwreg(HW_REG_IB_STS2, 6, 4)
	s_wait_dscnt 0x0
	s_barrier_signal -1
	s_barrier_wait -1
	s_wait_kmcnt 0x0
	v_cmp_le_u32_e32 vcc_lo, s18, v1
	v_readfirstlane_b32 s19, v1
	s_cbranch_vccz .LBB2991_70
; %bb.5:
	s_lshl_b32 s4, s19, 12
	s_mov_b32 s5, 0
	v_lshlrev_b32_e32 v6, 3, v33
	s_lshl_b64 s[4:5], s[4:5], 3
	v_and_b32_e32 v1, 0x1f00, v2
	s_add_nc_u64 s[4:5], s[12:13], s[4:5]
	v_mov_b64_e32 v[4:5], -1
	v_add_nc_u64_e32 v[8:9], s[4:5], v[6:7]
	s_lshl_b32 s4, s18, 12
	v_dual_lshlrev_b32 v6, 3, v1 :: v_dual_bitop2_b32 v1, v33, v1 bitop3:0x54
	s_sub_co_i32 s18, s3, s4
	s_mov_b32 s3, exec_lo
	s_delay_alu instid0(VALU_DEP_1)
	v_add_nc_u64_e32 v[20:21], v[8:9], v[6:7]
	v_mov_b64_e32 v[6:7], -1
	v_cmpx_gt_u32_e64 s18, v1
	s_cbranch_execz .LBB2991_7
; %bb.6:
	global_load_b64 v[6:7], v[20:21], off
.LBB2991_7:
	s_wait_xcnt 0x0
	s_or_b32 exec_lo, exec_lo, s3
	v_or_b32_e32 v3, 32, v1
	s_mov_b32 s3, exec_lo
	s_delay_alu instid0(VALU_DEP_1)
	v_cmpx_gt_u32_e64 s18, v3
	s_cbranch_execz .LBB2991_9
; %bb.8:
	global_load_b64 v[4:5], v[20:21], off offset:256
.LBB2991_9:
	s_wait_xcnt 0x0
	s_or_b32 exec_lo, exec_lo, s3
	v_mov_b64_e32 v[8:9], -1
	v_mov_b64_e32 v[10:11], -1
	v_or_b32_e32 v3, 64, v1
	s_mov_b32 s3, exec_lo
	s_delay_alu instid0(VALU_DEP_1)
	v_cmpx_gt_u32_e64 s18, v3
	s_cbranch_execz .LBB2991_11
; %bb.10:
	global_load_b64 v[10:11], v[20:21], off offset:512
.LBB2991_11:
	s_wait_xcnt 0x0
	s_or_b32 exec_lo, exec_lo, s3
	v_or_b32_e32 v3, 0x60, v1
	s_mov_b32 s3, exec_lo
	s_delay_alu instid0(VALU_DEP_1)
	v_cmpx_gt_u32_e64 s18, v3
	s_cbranch_execz .LBB2991_13
; %bb.12:
	global_load_b64 v[8:9], v[20:21], off offset:768
.LBB2991_13:
	s_wait_xcnt 0x0
	s_or_b32 exec_lo, exec_lo, s3
	v_mov_b64_e32 v[12:13], -1
	v_mov_b64_e32 v[14:15], -1
	v_or_b32_e32 v3, 0x80, v1
	s_mov_b32 s3, exec_lo
	s_delay_alu instid0(VALU_DEP_1)
	v_cmpx_gt_u32_e64 s18, v3
	s_cbranch_execz .LBB2991_15
; %bb.14:
	global_load_b64 v[14:15], v[20:21], off offset:1024
.LBB2991_15:
	;; [unrolled: 22-line block ×3, first 2 shown]
	s_wait_xcnt 0x0
	s_or_b32 exec_lo, exec_lo, s3
	v_or_b32_e32 v1, 0xe0, v1
	s_mov_b32 s3, exec_lo
	s_delay_alu instid0(VALU_DEP_1)
	v_cmpx_gt_u32_e64 s18, v1
	s_cbranch_execz .LBB2991_21
; %bb.20:
	global_load_b64 v[16:17], v[20:21], off offset:1792
.LBB2991_21:
	s_wait_xcnt 0x0
	s_or_b32 exec_lo, exec_lo, s3
	s_clause 0x1
	s_load_b32 s24, s[0:1], 0x58
	s_load_u16 s3, s[0:1], 0x66
	s_bfe_u32 s4, ttmp6, 0x4000c
	s_and_b32 s5, ttmp6, 15
	s_add_co_i32 s4, s4, 1
	s_wait_loadcnt 0x0
	v_lshrrev_b64 v[20:21], s16, v[6:7]
	s_mul_i32 s4, ttmp9, s4
	v_bfe_u32 v1, v0, 10, 10
	s_add_co_i32 s5, s5, s4
	s_cmp_eq_u32 s7, 0
	v_bfe_u32 v3, v0, 20, 10
	s_cselect_b32 s4, ttmp9, s5
	s_mov_b32 s5, 0
	s_wait_kmcnt 0x0
	s_cmp_lt_u32 s4, s24
	v_mad_u32_u24 v1, v3, s3, v1
	s_cselect_b32 s4, 12, 18
	s_lshl_b32 s25, -1, s17
	s_add_nc_u64 s[4:5], s[22:23], s[4:5]
	v_bitop3_b32 v3, v20, 1, s25 bitop3:0x40
	v_bitop3_b32 v20, v20, s25, v20 bitop3:0x30
	s_load_u16 s26, s[4:5], 0x0
	s_not_b32 s25, s25
	s_delay_alu instid0(VALU_DEP_2) | instskip(NEXT) | instid1(VALU_DEP_1)
	v_add_co_u32 v3, s3, v3, -1
	v_cndmask_b32_e64 v21, 0, 1, s3
	v_dual_lshlrev_b32 v22, 30, v20 :: v_dual_lshlrev_b32 v23, 29, v20
	v_dual_lshlrev_b32 v24, 28, v20 :: v_dual_lshlrev_b32 v25, 27, v20
	s_delay_alu instid0(VALU_DEP_3) | instskip(NEXT) | instid1(VALU_DEP_3)
	v_cmp_ne_u32_e32 vcc_lo, 0, v21
	v_not_b32_e32 v21, v22
	v_lshlrev_b32_e32 v28, 24, v20
	v_cmp_gt_i32_e64 s3, 0, v22
	s_wait_xcnt 0x0
	v_cmp_gt_i32_e64 s4, 0, v23
	v_not_b32_e32 v22, v23
	v_not_b32_e32 v23, v24
	v_dual_ashrrev_i32 v21, 31, v21 :: v_dual_lshlrev_b32 v26, 26, v20
	v_lshlrev_b32_e32 v27, 25, v20
	v_cmp_gt_i32_e64 s5, 0, v24
	v_not_b32_e32 v24, v25
	v_dual_ashrrev_i32 v22, 31, v22 :: v_dual_bitop2_b32 v3, vcc_lo, v3 bitop3:0x14
	v_dual_ashrrev_i32 v23, 31, v23 :: v_dual_bitop2_b32 v21, s3, v21 bitop3:0x14
	v_cmp_gt_i32_e64 s6, 0, v25
	v_not_b32_e32 v25, v26
	s_delay_alu instid0(VALU_DEP_4) | instskip(NEXT) | instid1(VALU_DEP_4)
	v_dual_ashrrev_i32 v24, 31, v24 :: v_dual_bitop2_b32 v22, s4, v22 bitop3:0x14
	v_xor_b32_e32 v23, s5, v23
	v_bitop3_b32 v3, v3, v21, exec_lo bitop3:0x80
	v_cmp_gt_i32_e32 vcc_lo, 0, v26
	v_ashrrev_i32_e32 v21, 31, v25
	v_not_b32_e32 v25, v27
	v_xor_b32_e32 v24, s6, v24
	v_bitop3_b32 v22, v3, v23, v22 bitop3:0x80
	v_not_b32_e32 v3, v28
	v_xor_b32_e32 v21, vcc_lo, v21
	v_cmp_gt_i32_e32 vcc_lo, 0, v27
	v_ashrrev_i32_e32 v23, 31, v25
	v_cmp_gt_i32_e64 s3, 0, v28
	v_ashrrev_i32_e32 v25, 31, v3
	s_wait_kmcnt 0x0
	v_mad_u32 v1, v1, s26, v32
	v_bitop3_b32 v21, v22, v21, v24 bitop3:0x80
	v_dual_mov_b32 v24, 0 :: v_dual_bitop2_b32 v22, vcc_lo, v23 bitop3:0x14
	v_xor_b32_e32 v23, s3, v25
	v_mul_u32_u24_e32 v3, 36, v32
	ds_store_2addr_b32 v3, v24, v24 offset0:16 offset1:17
	ds_store_2addr_b32 v3, v24, v24 offset0:18 offset1:19
	;; [unrolled: 1-line block ×4, first 2 shown]
	v_bitop3_b32 v21, v21, v23, v22 bitop3:0x80
	v_mul_lo_u32 v22, 0x44, v20
	v_lshrrev_b32_e32 v20, 3, v1
	ds_store_b32 v3, v24 offset:96
	s_wait_dscnt 0x0
	v_mbcnt_lo_u32_b32 v1, v21, 0
	v_cmp_ne_u32_e64 s3, 0, v21
	v_and_b32_e32 v20, 0x1ffffffc, v20
	s_barrier_signal -1
	s_barrier_wait -1
	v_cmp_eq_u32_e32 vcc_lo, 0, v1
	s_delay_alu instid0(VALU_DEP_2) | instskip(SKIP_1) | instid1(SALU_CYCLE_1)
	v_add_nc_u32_e32 v28, v20, v22
	; wave barrier
	s_and_b32 s4, s3, vcc_lo
	s_and_saveexec_b32 s3, s4
; %bb.22:
	v_bcnt_u32_b32 v21, v21, 0
	ds_store_b32 v28, v21 offset:64
; %bb.23:
	s_or_b32 exec_lo, exec_lo, s3
	v_lshrrev_b64 v[22:23], s16, v[4:5]
	; wave barrier
	s_delay_alu instid0(VALU_DEP_1) | instskip(SKIP_1) | instid1(VALU_DEP_2)
	v_and_b32_e32 v21, s25, v22
	v_bitop3_b32 v22, v22, 1, s25 bitop3:0x80
	v_lshlrev_b32_e32 v25, 30, v21
	s_delay_alu instid0(VALU_DEP_2) | instskip(NEXT) | instid1(VALU_DEP_1)
	v_add_co_u32 v22, s3, v22, -1
	v_cndmask_b32_e64 v24, 0, 1, s3
	s_delay_alu instid0(VALU_DEP_1) | instskip(NEXT) | instid1(VALU_DEP_4)
	v_cmp_ne_u32_e32 vcc_lo, 0, v24
	v_not_b32_e32 v24, v25
	s_delay_alu instid0(VALU_DEP_1) | instskip(SKIP_4) | instid1(VALU_DEP_4)
	v_dual_ashrrev_i32 v24, 31, v24 :: v_dual_bitop2_b32 v22, vcc_lo, v22 bitop3:0x14
	v_dual_lshlrev_b32 v26, 29, v21 :: v_dual_lshlrev_b32 v27, 28, v21
	v_lshlrev_b32_e32 v29, 27, v21
	v_cmp_gt_i32_e64 s3, 0, v25
	v_mul_lo_u32 v23, 0x44, v21
	v_cmp_gt_i32_e64 s4, 0, v26
	v_not_b32_e32 v25, v26
	v_not_b32_e32 v26, v27
	v_dual_lshlrev_b32 v30, 26, v21 :: v_dual_lshlrev_b32 v31, 25, v21
	v_lshlrev_b32_e32 v21, 24, v21
	v_cmp_gt_i32_e64 s5, 0, v27
	v_not_b32_e32 v27, v29
	v_dual_ashrrev_i32 v25, 31, v25 :: v_dual_ashrrev_i32 v26, 31, v26
	v_xor_b32_e32 v24, s3, v24
	v_cmp_gt_i32_e64 s6, 0, v29
	v_not_b32_e32 v29, v30
	s_delay_alu instid0(VALU_DEP_4)
	v_dual_ashrrev_i32 v27, 31, v27 :: v_dual_bitop2_b32 v25, s4, v25 bitop3:0x14
	v_xor_b32_e32 v26, s5, v26
	v_bitop3_b32 v22, v22, v24, exec_lo bitop3:0x80
	v_cmp_gt_i32_e32 vcc_lo, 0, v30
	v_ashrrev_i32_e32 v24, 31, v29
	v_not_b32_e32 v29, v31
	v_xor_b32_e32 v27, s6, v27
	v_bitop3_b32 v22, v22, v26, v25 bitop3:0x80
	v_not_b32_e32 v25, v21
	v_xor_b32_e32 v24, vcc_lo, v24
	v_cmp_gt_i32_e32 vcc_lo, 0, v31
	v_ashrrev_i32_e32 v26, 31, v29
	v_cmp_gt_i32_e64 s3, 0, v21
	v_dual_ashrrev_i32 v21, 31, v25 :: v_dual_add_nc_u32 v29, v20, v23
	v_bitop3_b32 v22, v22, v24, v27 bitop3:0x80
	s_delay_alu instid0(VALU_DEP_4) | instskip(NEXT) | instid1(VALU_DEP_3)
	v_xor_b32_e32 v23, vcc_lo, v26
	v_xor_b32_e32 v21, s3, v21
	ds_load_b32 v34, v29 offset:64
	; wave barrier
	v_bitop3_b32 v21, v22, v21, v23 bitop3:0x80
	s_delay_alu instid0(VALU_DEP_1) | instskip(SKIP_1) | instid1(VALU_DEP_2)
	v_mbcnt_lo_u32_b32 v35, v21, 0
	v_cmp_ne_u32_e64 s3, 0, v21
	v_cmp_eq_u32_e32 vcc_lo, 0, v35
	s_and_b32 s4, s3, vcc_lo
	s_delay_alu instid0(SALU_CYCLE_1)
	s_and_saveexec_b32 s3, s4
	s_cbranch_execz .LBB2991_25
; %bb.24:
	s_wait_dscnt 0x0
	v_bcnt_u32_b32 v21, v21, v34
	ds_store_b32 v29, v21 offset:64
.LBB2991_25:
	s_or_b32 exec_lo, exec_lo, s3
	v_lshrrev_b64 v[22:23], s16, v[10:11]
	; wave barrier
	s_delay_alu instid0(VALU_DEP_1) | instskip(SKIP_1) | instid1(VALU_DEP_2)
	v_and_b32_e32 v21, s25, v22
	v_bitop3_b32 v22, v22, 1, s25 bitop3:0x80
	v_lshlrev_b32_e32 v25, 30, v21
	s_delay_alu instid0(VALU_DEP_2) | instskip(NEXT) | instid1(VALU_DEP_1)
	v_add_co_u32 v22, s3, v22, -1
	v_cndmask_b32_e64 v24, 0, 1, s3
	s_delay_alu instid0(VALU_DEP_1) | instskip(NEXT) | instid1(VALU_DEP_4)
	v_cmp_ne_u32_e32 vcc_lo, 0, v24
	v_not_b32_e32 v24, v25
	s_delay_alu instid0(VALU_DEP_1) | instskip(SKIP_4) | instid1(VALU_DEP_4)
	v_dual_ashrrev_i32 v24, 31, v24 :: v_dual_bitop2_b32 v22, vcc_lo, v22 bitop3:0x14
	v_dual_lshlrev_b32 v26, 29, v21 :: v_dual_lshlrev_b32 v27, 28, v21
	v_lshlrev_b32_e32 v30, 27, v21
	v_cmp_gt_i32_e64 s3, 0, v25
	v_mul_lo_u32 v23, 0x44, v21
	v_cmp_gt_i32_e64 s4, 0, v26
	v_not_b32_e32 v25, v26
	v_not_b32_e32 v26, v27
	v_dual_lshlrev_b32 v31, 26, v21 :: v_dual_lshlrev_b32 v36, 25, v21
	v_lshlrev_b32_e32 v21, 24, v21
	v_cmp_gt_i32_e64 s5, 0, v27
	v_not_b32_e32 v27, v30
	v_dual_ashrrev_i32 v25, 31, v25 :: v_dual_ashrrev_i32 v26, 31, v26
	v_xor_b32_e32 v24, s3, v24
	v_cmp_gt_i32_e64 s6, 0, v30
	v_not_b32_e32 v30, v31
	s_delay_alu instid0(VALU_DEP_4)
	v_dual_ashrrev_i32 v27, 31, v27 :: v_dual_bitop2_b32 v25, s4, v25 bitop3:0x14
	v_xor_b32_e32 v26, s5, v26
	v_bitop3_b32 v22, v22, v24, exec_lo bitop3:0x80
	v_cmp_gt_i32_e32 vcc_lo, 0, v31
	v_ashrrev_i32_e32 v24, 31, v30
	v_not_b32_e32 v30, v36
	v_xor_b32_e32 v27, s6, v27
	v_bitop3_b32 v22, v22, v26, v25 bitop3:0x80
	v_not_b32_e32 v25, v21
	v_xor_b32_e32 v24, vcc_lo, v24
	v_cmp_gt_i32_e32 vcc_lo, 0, v36
	v_ashrrev_i32_e32 v26, 31, v30
	v_cmp_gt_i32_e64 s3, 0, v21
	v_dual_ashrrev_i32 v21, 31, v25 :: v_dual_add_nc_u32 v30, v20, v23
	v_bitop3_b32 v22, v22, v24, v27 bitop3:0x80
	s_delay_alu instid0(VALU_DEP_4) | instskip(NEXT) | instid1(VALU_DEP_3)
	v_xor_b32_e32 v23, vcc_lo, v26
	v_xor_b32_e32 v21, s3, v21
	ds_load_b32 v36, v30 offset:64
	; wave barrier
	v_bitop3_b32 v21, v22, v21, v23 bitop3:0x80
	s_delay_alu instid0(VALU_DEP_1) | instskip(SKIP_1) | instid1(VALU_DEP_2)
	v_mbcnt_lo_u32_b32 v37, v21, 0
	v_cmp_ne_u32_e64 s3, 0, v21
	v_cmp_eq_u32_e32 vcc_lo, 0, v37
	s_and_b32 s4, s3, vcc_lo
	s_delay_alu instid0(SALU_CYCLE_1)
	s_and_saveexec_b32 s3, s4
	s_cbranch_execz .LBB2991_27
; %bb.26:
	s_wait_dscnt 0x0
	v_bcnt_u32_b32 v21, v21, v36
	ds_store_b32 v30, v21 offset:64
.LBB2991_27:
	s_or_b32 exec_lo, exec_lo, s3
	v_lshrrev_b64 v[22:23], s16, v[8:9]
	; wave barrier
	s_delay_alu instid0(VALU_DEP_1) | instskip(SKIP_1) | instid1(VALU_DEP_2)
	v_and_b32_e32 v21, s25, v22
	v_bitop3_b32 v22, v22, 1, s25 bitop3:0x80
	v_lshlrev_b32_e32 v25, 30, v21
	s_delay_alu instid0(VALU_DEP_2) | instskip(NEXT) | instid1(VALU_DEP_1)
	v_add_co_u32 v22, s3, v22, -1
	v_cndmask_b32_e64 v24, 0, 1, s3
	s_delay_alu instid0(VALU_DEP_1) | instskip(NEXT) | instid1(VALU_DEP_4)
	v_cmp_ne_u32_e32 vcc_lo, 0, v24
	v_not_b32_e32 v24, v25
	s_delay_alu instid0(VALU_DEP_1) | instskip(SKIP_4) | instid1(VALU_DEP_4)
	v_dual_ashrrev_i32 v24, 31, v24 :: v_dual_bitop2_b32 v22, vcc_lo, v22 bitop3:0x14
	v_dual_lshlrev_b32 v26, 29, v21 :: v_dual_lshlrev_b32 v27, 28, v21
	v_lshlrev_b32_e32 v31, 27, v21
	v_cmp_gt_i32_e64 s3, 0, v25
	v_mul_lo_u32 v23, 0x44, v21
	v_cmp_gt_i32_e64 s4, 0, v26
	v_not_b32_e32 v25, v26
	v_not_b32_e32 v26, v27
	v_dual_lshlrev_b32 v38, 26, v21 :: v_dual_lshlrev_b32 v39, 25, v21
	v_lshlrev_b32_e32 v21, 24, v21
	v_cmp_gt_i32_e64 s5, 0, v27
	v_not_b32_e32 v27, v31
	v_dual_ashrrev_i32 v25, 31, v25 :: v_dual_ashrrev_i32 v26, 31, v26
	v_xor_b32_e32 v24, s3, v24
	v_cmp_gt_i32_e64 s6, 0, v31
	v_not_b32_e32 v31, v38
	s_delay_alu instid0(VALU_DEP_4)
	v_dual_ashrrev_i32 v27, 31, v27 :: v_dual_bitop2_b32 v25, s4, v25 bitop3:0x14
	v_xor_b32_e32 v26, s5, v26
	v_bitop3_b32 v22, v22, v24, exec_lo bitop3:0x80
	v_cmp_gt_i32_e32 vcc_lo, 0, v38
	v_ashrrev_i32_e32 v24, 31, v31
	v_not_b32_e32 v31, v39
	v_xor_b32_e32 v27, s6, v27
	v_bitop3_b32 v22, v22, v26, v25 bitop3:0x80
	v_not_b32_e32 v25, v21
	s_delay_alu instid0(VALU_DEP_4) | instskip(SKIP_2) | instid1(VALU_DEP_4)
	v_dual_ashrrev_i32 v26, 31, v31 :: v_dual_bitop2_b32 v24, vcc_lo, v24 bitop3:0x14
	v_cmp_gt_i32_e32 vcc_lo, 0, v39
	v_cmp_gt_i32_e64 s3, 0, v21
	v_dual_ashrrev_i32 v21, 31, v25 :: v_dual_add_nc_u32 v31, v20, v23
	s_delay_alu instid0(VALU_DEP_4) | instskip(SKIP_1) | instid1(VALU_DEP_3)
	v_bitop3_b32 v22, v22, v24, v27 bitop3:0x80
	v_xor_b32_e32 v23, vcc_lo, v26
	v_xor_b32_e32 v21, s3, v21
	ds_load_b32 v38, v31 offset:64
	; wave barrier
	v_bitop3_b32 v21, v22, v21, v23 bitop3:0x80
	s_delay_alu instid0(VALU_DEP_1) | instskip(SKIP_1) | instid1(VALU_DEP_2)
	v_mbcnt_lo_u32_b32 v39, v21, 0
	v_cmp_ne_u32_e64 s3, 0, v21
	v_cmp_eq_u32_e32 vcc_lo, 0, v39
	s_and_b32 s4, s3, vcc_lo
	s_delay_alu instid0(SALU_CYCLE_1)
	s_and_saveexec_b32 s3, s4
	s_cbranch_execz .LBB2991_29
; %bb.28:
	s_wait_dscnt 0x0
	v_bcnt_u32_b32 v21, v21, v38
	ds_store_b32 v31, v21 offset:64
.LBB2991_29:
	s_or_b32 exec_lo, exec_lo, s3
	v_lshrrev_b64 v[22:23], s16, v[14:15]
	; wave barrier
	s_delay_alu instid0(VALU_DEP_1) | instskip(SKIP_1) | instid1(VALU_DEP_2)
	v_and_b32_e32 v21, s25, v22
	v_bitop3_b32 v22, v22, 1, s25 bitop3:0x80
	v_lshlrev_b32_e32 v25, 30, v21
	s_delay_alu instid0(VALU_DEP_2) | instskip(NEXT) | instid1(VALU_DEP_1)
	v_add_co_u32 v22, s3, v22, -1
	v_cndmask_b32_e64 v24, 0, 1, s3
	s_delay_alu instid0(VALU_DEP_1) | instskip(NEXT) | instid1(VALU_DEP_4)
	v_cmp_ne_u32_e32 vcc_lo, 0, v24
	v_not_b32_e32 v24, v25
	s_delay_alu instid0(VALU_DEP_1) | instskip(SKIP_4) | instid1(VALU_DEP_4)
	v_dual_ashrrev_i32 v24, 31, v24 :: v_dual_bitop2_b32 v22, vcc_lo, v22 bitop3:0x14
	v_dual_lshlrev_b32 v26, 29, v21 :: v_dual_lshlrev_b32 v27, 28, v21
	v_lshlrev_b32_e32 v40, 27, v21
	v_cmp_gt_i32_e64 s3, 0, v25
	v_mul_lo_u32 v23, 0x44, v21
	v_cmp_gt_i32_e64 s4, 0, v26
	v_not_b32_e32 v25, v26
	v_not_b32_e32 v26, v27
	v_dual_lshlrev_b32 v41, 26, v21 :: v_dual_lshlrev_b32 v42, 25, v21
	v_lshlrev_b32_e32 v21, 24, v21
	v_cmp_gt_i32_e64 s5, 0, v27
	v_not_b32_e32 v27, v40
	v_dual_ashrrev_i32 v25, 31, v25 :: v_dual_ashrrev_i32 v26, 31, v26
	v_xor_b32_e32 v24, s3, v24
	v_cmp_gt_i32_e64 s6, 0, v40
	v_not_b32_e32 v40, v41
	s_delay_alu instid0(VALU_DEP_4)
	v_dual_ashrrev_i32 v27, 31, v27 :: v_dual_bitop2_b32 v25, s4, v25 bitop3:0x14
	v_xor_b32_e32 v26, s5, v26
	v_bitop3_b32 v22, v22, v24, exec_lo bitop3:0x80
	v_cmp_gt_i32_e32 vcc_lo, 0, v41
	v_ashrrev_i32_e32 v24, 31, v40
	v_not_b32_e32 v40, v42
	v_xor_b32_e32 v27, s6, v27
	v_bitop3_b32 v22, v22, v26, v25 bitop3:0x80
	v_not_b32_e32 v25, v21
	v_dual_add_nc_u32 v44, v20, v23 :: v_dual_bitop2_b32 v24, vcc_lo, v24 bitop3:0x14
	v_cmp_gt_i32_e32 vcc_lo, 0, v42
	v_ashrrev_i32_e32 v26, 31, v40
	v_cmp_gt_i32_e64 s3, 0, v21
	v_ashrrev_i32_e32 v21, 31, v25
	v_bitop3_b32 v22, v22, v24, v27 bitop3:0x80
	ds_load_b32 v40, v44 offset:64
	v_xor_b32_e32 v23, vcc_lo, v26
	v_xor_b32_e32 v21, s3, v21
	; wave barrier
	s_delay_alu instid0(VALU_DEP_1) | instskip(NEXT) | instid1(VALU_DEP_1)
	v_bitop3_b32 v21, v22, v21, v23 bitop3:0x80
	v_mbcnt_lo_u32_b32 v41, v21, 0
	v_cmp_ne_u32_e64 s3, 0, v21
	s_delay_alu instid0(VALU_DEP_2) | instskip(SKIP_1) | instid1(SALU_CYCLE_1)
	v_cmp_eq_u32_e32 vcc_lo, 0, v41
	s_and_b32 s4, s3, vcc_lo
	s_and_saveexec_b32 s3, s4
	s_cbranch_execz .LBB2991_31
; %bb.30:
	s_wait_dscnt 0x0
	v_bcnt_u32_b32 v21, v21, v40
	ds_store_b32 v44, v21 offset:64
.LBB2991_31:
	s_or_b32 exec_lo, exec_lo, s3
	v_lshrrev_b64 v[22:23], s16, v[12:13]
	; wave barrier
	s_delay_alu instid0(VALU_DEP_1) | instskip(SKIP_1) | instid1(VALU_DEP_2)
	v_and_b32_e32 v21, s25, v22
	v_bitop3_b32 v22, v22, 1, s25 bitop3:0x80
	v_lshlrev_b32_e32 v25, 30, v21
	s_delay_alu instid0(VALU_DEP_2) | instskip(NEXT) | instid1(VALU_DEP_1)
	v_add_co_u32 v22, s3, v22, -1
	v_cndmask_b32_e64 v24, 0, 1, s3
	s_delay_alu instid0(VALU_DEP_1) | instskip(NEXT) | instid1(VALU_DEP_4)
	v_cmp_ne_u32_e32 vcc_lo, 0, v24
	v_not_b32_e32 v24, v25
	s_delay_alu instid0(VALU_DEP_1) | instskip(SKIP_4) | instid1(VALU_DEP_4)
	v_dual_ashrrev_i32 v24, 31, v24 :: v_dual_bitop2_b32 v22, vcc_lo, v22 bitop3:0x14
	v_dual_lshlrev_b32 v26, 29, v21 :: v_dual_lshlrev_b32 v27, 28, v21
	v_lshlrev_b32_e32 v42, 27, v21
	v_cmp_gt_i32_e64 s3, 0, v25
	v_mul_lo_u32 v23, 0x44, v21
	v_cmp_gt_i32_e64 s4, 0, v26
	v_not_b32_e32 v25, v26
	v_not_b32_e32 v26, v27
	v_dual_lshlrev_b32 v43, 26, v21 :: v_dual_lshlrev_b32 v45, 25, v21
	v_lshlrev_b32_e32 v21, 24, v21
	v_cmp_gt_i32_e64 s5, 0, v27
	v_not_b32_e32 v27, v42
	v_dual_ashrrev_i32 v25, 31, v25 :: v_dual_ashrrev_i32 v26, 31, v26
	v_xor_b32_e32 v24, s3, v24
	v_cmp_gt_i32_e64 s6, 0, v42
	v_not_b32_e32 v42, v43
	s_delay_alu instid0(VALU_DEP_4)
	v_dual_ashrrev_i32 v27, 31, v27 :: v_dual_bitop2_b32 v25, s4, v25 bitop3:0x14
	v_xor_b32_e32 v26, s5, v26
	v_bitop3_b32 v22, v22, v24, exec_lo bitop3:0x80
	v_cmp_gt_i32_e32 vcc_lo, 0, v43
	v_ashrrev_i32_e32 v24, 31, v42
	v_not_b32_e32 v42, v45
	v_xor_b32_e32 v27, s6, v27
	v_bitop3_b32 v22, v22, v26, v25 bitop3:0x80
	v_not_b32_e32 v25, v21
	v_dual_add_nc_u32 v47, v20, v23 :: v_dual_bitop2_b32 v24, vcc_lo, v24 bitop3:0x14
	v_cmp_gt_i32_e32 vcc_lo, 0, v45
	v_ashrrev_i32_e32 v26, 31, v42
	v_cmp_gt_i32_e64 s3, 0, v21
	v_ashrrev_i32_e32 v21, 31, v25
	v_bitop3_b32 v22, v22, v24, v27 bitop3:0x80
	ds_load_b32 v42, v47 offset:64
	v_xor_b32_e32 v23, vcc_lo, v26
	v_xor_b32_e32 v21, s3, v21
	; wave barrier
	s_delay_alu instid0(VALU_DEP_1) | instskip(NEXT) | instid1(VALU_DEP_1)
	v_bitop3_b32 v21, v22, v21, v23 bitop3:0x80
	v_mbcnt_lo_u32_b32 v43, v21, 0
	v_cmp_ne_u32_e64 s3, 0, v21
	s_delay_alu instid0(VALU_DEP_2) | instskip(SKIP_1) | instid1(SALU_CYCLE_1)
	v_cmp_eq_u32_e32 vcc_lo, 0, v43
	s_and_b32 s4, s3, vcc_lo
	s_and_saveexec_b32 s3, s4
	s_cbranch_execz .LBB2991_33
; %bb.32:
	s_wait_dscnt 0x0
	v_bcnt_u32_b32 v21, v21, v42
	ds_store_b32 v47, v21 offset:64
.LBB2991_33:
	s_or_b32 exec_lo, exec_lo, s3
	v_lshrrev_b64 v[22:23], s16, v[18:19]
	; wave barrier
	s_delay_alu instid0(VALU_DEP_1) | instskip(SKIP_1) | instid1(VALU_DEP_2)
	v_and_b32_e32 v21, s25, v22
	v_bitop3_b32 v22, v22, 1, s25 bitop3:0x80
	v_lshlrev_b32_e32 v25, 30, v21
	s_delay_alu instid0(VALU_DEP_2) | instskip(NEXT) | instid1(VALU_DEP_1)
	v_add_co_u32 v22, s3, v22, -1
	v_cndmask_b32_e64 v24, 0, 1, s3
	s_delay_alu instid0(VALU_DEP_1) | instskip(NEXT) | instid1(VALU_DEP_4)
	v_cmp_ne_u32_e32 vcc_lo, 0, v24
	v_not_b32_e32 v24, v25
	s_delay_alu instid0(VALU_DEP_1) | instskip(SKIP_4) | instid1(VALU_DEP_4)
	v_dual_ashrrev_i32 v24, 31, v24 :: v_dual_bitop2_b32 v22, vcc_lo, v22 bitop3:0x14
	v_dual_lshlrev_b32 v26, 29, v21 :: v_dual_lshlrev_b32 v27, 28, v21
	v_lshlrev_b32_e32 v45, 27, v21
	v_cmp_gt_i32_e64 s3, 0, v25
	v_mul_lo_u32 v23, 0x44, v21
	v_cmp_gt_i32_e64 s4, 0, v26
	v_not_b32_e32 v25, v26
	v_not_b32_e32 v26, v27
	v_dual_lshlrev_b32 v46, 26, v21 :: v_dual_lshlrev_b32 v48, 25, v21
	v_lshlrev_b32_e32 v21, 24, v21
	v_cmp_gt_i32_e64 s5, 0, v27
	v_not_b32_e32 v27, v45
	v_dual_ashrrev_i32 v25, 31, v25 :: v_dual_ashrrev_i32 v26, 31, v26
	v_xor_b32_e32 v24, s3, v24
	v_cmp_gt_i32_e64 s6, 0, v45
	v_not_b32_e32 v45, v46
	s_delay_alu instid0(VALU_DEP_4)
	v_dual_ashrrev_i32 v27, 31, v27 :: v_dual_bitop2_b32 v25, s4, v25 bitop3:0x14
	v_dual_add_nc_u32 v50, v20, v23 :: v_dual_bitop2_b32 v26, s5, v26 bitop3:0x14
	v_bitop3_b32 v22, v22, v24, exec_lo bitop3:0x80
	v_cmp_gt_i32_e32 vcc_lo, 0, v46
	v_ashrrev_i32_e32 v24, 31, v45
	v_not_b32_e32 v45, v48
	v_xor_b32_e32 v27, s6, v27
	v_bitop3_b32 v22, v22, v26, v25 bitop3:0x80
	v_not_b32_e32 v25, v21
	v_xor_b32_e32 v24, vcc_lo, v24
	v_cmp_gt_i32_e32 vcc_lo, 0, v48
	v_ashrrev_i32_e32 v26, 31, v45
	v_cmp_gt_i32_e64 s3, 0, v21
	v_ashrrev_i32_e32 v21, 31, v25
	v_bitop3_b32 v22, v22, v24, v27 bitop3:0x80
	ds_load_b32 v45, v50 offset:64
	v_xor_b32_e32 v23, vcc_lo, v26
	v_xor_b32_e32 v21, s3, v21
	; wave barrier
	s_delay_alu instid0(VALU_DEP_1) | instskip(NEXT) | instid1(VALU_DEP_1)
	v_bitop3_b32 v21, v22, v21, v23 bitop3:0x80
	v_mbcnt_lo_u32_b32 v46, v21, 0
	v_cmp_ne_u32_e64 s3, 0, v21
	s_delay_alu instid0(VALU_DEP_2) | instskip(SKIP_1) | instid1(SALU_CYCLE_1)
	v_cmp_eq_u32_e32 vcc_lo, 0, v46
	s_and_b32 s4, s3, vcc_lo
	s_and_saveexec_b32 s3, s4
	s_cbranch_execz .LBB2991_35
; %bb.34:
	s_wait_dscnt 0x0
	v_bcnt_u32_b32 v21, v21, v45
	ds_store_b32 v50, v21 offset:64
.LBB2991_35:
	s_or_b32 exec_lo, exec_lo, s3
	v_lshrrev_b64 v[22:23], s16, v[16:17]
	; wave barrier
	s_delay_alu instid0(VALU_DEP_1) | instskip(SKIP_1) | instid1(VALU_DEP_2)
	v_and_b32_e32 v21, s25, v22
	v_bitop3_b32 v22, v22, 1, s25 bitop3:0x80
	v_lshlrev_b32_e32 v25, 30, v21
	s_delay_alu instid0(VALU_DEP_2) | instskip(NEXT) | instid1(VALU_DEP_1)
	v_add_co_u32 v22, s3, v22, -1
	v_cndmask_b32_e64 v24, 0, 1, s3
	s_delay_alu instid0(VALU_DEP_1) | instskip(NEXT) | instid1(VALU_DEP_4)
	v_cmp_ne_u32_e32 vcc_lo, 0, v24
	v_not_b32_e32 v24, v25
	s_delay_alu instid0(VALU_DEP_1) | instskip(SKIP_4) | instid1(VALU_DEP_4)
	v_dual_ashrrev_i32 v24, 31, v24 :: v_dual_bitop2_b32 v22, vcc_lo, v22 bitop3:0x14
	v_dual_lshlrev_b32 v26, 29, v21 :: v_dual_lshlrev_b32 v27, 28, v21
	v_lshlrev_b32_e32 v48, 27, v21
	v_cmp_gt_i32_e64 s3, 0, v25
	v_mul_lo_u32 v23, 0x44, v21
	v_cmp_gt_i32_e64 s4, 0, v26
	v_not_b32_e32 v25, v26
	v_not_b32_e32 v26, v27
	v_dual_lshlrev_b32 v49, 26, v21 :: v_dual_lshlrev_b32 v51, 25, v21
	v_lshlrev_b32_e32 v21, 24, v21
	v_cmp_gt_i32_e64 s5, 0, v27
	v_not_b32_e32 v27, v48
	v_dual_ashrrev_i32 v25, 31, v25 :: v_dual_ashrrev_i32 v26, 31, v26
	v_xor_b32_e32 v24, s3, v24
	v_cmp_gt_i32_e64 s6, 0, v48
	v_not_b32_e32 v48, v49
	s_delay_alu instid0(VALU_DEP_4)
	v_dual_ashrrev_i32 v27, 31, v27 :: v_dual_bitop2_b32 v25, s4, v25 bitop3:0x14
	v_xor_b32_e32 v26, s5, v26
	v_bitop3_b32 v22, v22, v24, exec_lo bitop3:0x80
	v_cmp_gt_i32_e32 vcc_lo, 0, v49
	v_ashrrev_i32_e32 v24, 31, v48
	v_not_b32_e32 v48, v51
	v_xor_b32_e32 v27, s6, v27
	v_bitop3_b32 v22, v22, v26, v25 bitop3:0x80
	v_not_b32_e32 v25, v21
	v_dual_add_nc_u32 v54, v20, v23 :: v_dual_bitop2_b32 v24, vcc_lo, v24 bitop3:0x14
	v_cmp_gt_i32_e32 vcc_lo, 0, v51
	v_ashrrev_i32_e32 v26, 31, v48
	v_cmp_gt_i32_e64 s3, 0, v21
	v_ashrrev_i32_e32 v21, 31, v25
	v_bitop3_b32 v20, v22, v24, v27 bitop3:0x80
	ds_load_b32 v48, v54 offset:64
	v_xor_b32_e32 v22, vcc_lo, v26
	v_xor_b32_e32 v21, s3, v21
	; wave barrier
	s_delay_alu instid0(VALU_DEP_1) | instskip(NEXT) | instid1(VALU_DEP_1)
	v_bitop3_b32 v20, v20, v21, v22 bitop3:0x80
	v_mbcnt_lo_u32_b32 v49, v20, 0
	v_cmp_ne_u32_e64 s3, 0, v20
	s_delay_alu instid0(VALU_DEP_2) | instskip(SKIP_1) | instid1(SALU_CYCLE_1)
	v_cmp_eq_u32_e32 vcc_lo, 0, v49
	s_and_b32 s4, s3, vcc_lo
	s_and_saveexec_b32 s3, s4
	s_cbranch_execz .LBB2991_37
; %bb.36:
	s_wait_dscnt 0x0
	v_bcnt_u32_b32 v20, v20, v48
	ds_store_b32 v54, v20 offset:64
.LBB2991_37:
	s_or_b32 exec_lo, exec_lo, s3
	; wave barrier
	s_wait_dscnt 0x0
	s_barrier_signal -1
	s_barrier_wait -1
	ds_load_2addr_b32 v[26:27], v3 offset0:16 offset1:17
	ds_load_2addr_b32 v[24:25], v3 offset0:18 offset1:19
	;; [unrolled: 1-line block ×4, first 2 shown]
	ds_load_b32 v51, v3 offset:96
	v_bfe_i32 v55, v33, 4, 1
	s_mov_b32 s26, exec_lo
	s_wait_dscnt 0x3
	v_add3_u32 v52, v27, v26, v24
	s_wait_dscnt 0x2
	s_delay_alu instid0(VALU_DEP_1) | instskip(SKIP_1) | instid1(VALU_DEP_1)
	v_add3_u32 v52, v52, v25, v22
	s_wait_dscnt 0x1
	v_add3_u32 v52, v52, v23, v20
	s_wait_dscnt 0x0
	s_delay_alu instid0(VALU_DEP_1) | instskip(SKIP_1) | instid1(VALU_DEP_2)
	v_add3_u32 v51, v52, v21, v51
	v_and_b32_e32 v52, 15, v33
	v_mov_b32_dpp v53, v51 row_shr:1 row_mask:0xf bank_mask:0xf
	s_delay_alu instid0(VALU_DEP_2) | instskip(NEXT) | instid1(VALU_DEP_2)
	v_cmp_eq_u32_e32 vcc_lo, 0, v52
	v_cndmask_b32_e64 v53, v53, 0, vcc_lo
	s_delay_alu instid0(VALU_DEP_1) | instskip(SKIP_3) | instid1(VALU_DEP_4)
	v_add_nc_u32_e32 v51, v53, v51
	v_cmp_lt_u32_e64 s3, 1, v52
	v_cmp_lt_u32_e64 s4, 3, v52
	;; [unrolled: 1-line block ×3, first 2 shown]
	v_mov_b32_dpp v53, v51 row_shr:2 row_mask:0xf bank_mask:0xf
	s_delay_alu instid0(VALU_DEP_1) | instskip(NEXT) | instid1(VALU_DEP_1)
	v_cndmask_b32_e64 v53, 0, v53, s3
	v_add_nc_u32_e32 v51, v51, v53
	s_delay_alu instid0(VALU_DEP_1) | instskip(NEXT) | instid1(VALU_DEP_1)
	v_mov_b32_dpp v53, v51 row_shr:4 row_mask:0xf bank_mask:0xf
	v_cndmask_b32_e64 v53, 0, v53, s4
	s_delay_alu instid0(VALU_DEP_1) | instskip(NEXT) | instid1(VALU_DEP_1)
	v_add_nc_u32_e32 v51, v51, v53
	v_mov_b32_dpp v53, v51 row_shr:8 row_mask:0xf bank_mask:0xf
	s_delay_alu instid0(VALU_DEP_1) | instskip(SKIP_1) | instid1(VALU_DEP_2)
	v_cndmask_b32_e64 v52, 0, v53, s5
	v_and_b32_e32 v53, 0x3e0, v32
	v_add_nc_u32_e32 v51, v51, v52
	s_delay_alu instid0(VALU_DEP_2) | instskip(SKIP_4) | instid1(VALU_DEP_1)
	v_min_u32_e32 v53, 0x1e0, v53
	ds_swizzle_b32 v52, v51 offset:swizzle(BROADCAST,32,15)
	v_or_b32_e32 v53, 31, v53
	s_wait_dscnt 0x0
	v_and_b32_e32 v55, v55, v52
	v_dual_lshrrev_b32 v52, 5, v32 :: v_dual_add_nc_u32 v51, v51, v55
	s_delay_alu instid0(VALU_DEP_3)
	v_cmpx_eq_u32_e64 v32, v53
; %bb.38:
	s_delay_alu instid0(VALU_DEP_2)
	v_lshlrev_b32_e32 v53, 2, v52
	ds_store_b32 v53, v51
; %bb.39:
	s_or_b32 exec_lo, exec_lo, s26
	s_delay_alu instid0(SALU_CYCLE_1)
	s_mov_b32 s26, exec_lo
	s_wait_dscnt 0x0
	s_barrier_signal -1
	s_barrier_wait -1
	v_cmpx_gt_u32_e32 16, v32
	s_cbranch_execz .LBB2991_41
; %bb.40:
	v_lshlrev_b32_e32 v53, 2, v32
	ds_load_b32 v55, v53
	s_wait_dscnt 0x0
	v_mov_b32_dpp v56, v55 row_shr:1 row_mask:0xf bank_mask:0xf
	s_delay_alu instid0(VALU_DEP_1) | instskip(NEXT) | instid1(VALU_DEP_1)
	v_cndmask_b32_e64 v56, v56, 0, vcc_lo
	v_add_nc_u32_e32 v55, v56, v55
	s_delay_alu instid0(VALU_DEP_1) | instskip(NEXT) | instid1(VALU_DEP_1)
	v_mov_b32_dpp v56, v55 row_shr:2 row_mask:0xf bank_mask:0xf
	v_cndmask_b32_e64 v56, 0, v56, s3
	s_delay_alu instid0(VALU_DEP_1) | instskip(NEXT) | instid1(VALU_DEP_1)
	v_add_nc_u32_e32 v55, v55, v56
	v_mov_b32_dpp v56, v55 row_shr:4 row_mask:0xf bank_mask:0xf
	s_delay_alu instid0(VALU_DEP_1) | instskip(NEXT) | instid1(VALU_DEP_1)
	v_cndmask_b32_e64 v56, 0, v56, s4
	v_add_nc_u32_e32 v55, v55, v56
	s_delay_alu instid0(VALU_DEP_1) | instskip(NEXT) | instid1(VALU_DEP_1)
	v_mov_b32_dpp v56, v55 row_shr:8 row_mask:0xf bank_mask:0xf
	v_cndmask_b32_e64 v56, 0, v56, s5
	s_delay_alu instid0(VALU_DEP_1)
	v_add_nc_u32_e32 v55, v55, v56
	ds_store_b32 v53, v55
.LBB2991_41:
	s_or_b32 exec_lo, exec_lo, s26
	v_mov_b32_e32 v53, 0
	s_mov_b32 s3, exec_lo
	s_wait_dscnt 0x0
	s_barrier_signal -1
	s_barrier_wait -1
	v_cmpx_lt_u32_e32 31, v32
; %bb.42:
	v_lshl_add_u32 v52, v52, 2, -4
	ds_load_b32 v53, v52
; %bb.43:
	s_or_b32 exec_lo, exec_lo, s3
	v_sub_co_u32 v52, vcc_lo, v33, 1
	s_wait_dscnt 0x0
	v_add_nc_u32_e32 v51, v53, v51
	s_delay_alu instid0(VALU_DEP_2) | instskip(NEXT) | instid1(VALU_DEP_1)
	v_cmp_gt_i32_e64 s3, 0, v52
	v_cndmask_b32_e64 v52, v52, v33, s3
	v_cmp_lt_u32_e64 s3, 0xff, v32
	s_delay_alu instid0(VALU_DEP_2) | instskip(SKIP_4) | instid1(VALU_DEP_2)
	v_lshlrev_b32_e32 v52, 2, v52
	ds_bpermute_b32 v51, v52, v51
	s_wait_dscnt 0x0
	v_cndmask_b32_e32 v51, v51, v53, vcc_lo
	v_cmp_gt_u32_e32 vcc_lo, 0x100, v32
	v_cndmask_b32_e64 v51, v51, 0, s2
	s_delay_alu instid0(VALU_DEP_1) | instskip(NEXT) | instid1(VALU_DEP_1)
	v_add_nc_u32_e32 v26, v51, v26
	v_add_nc_u32_e32 v27, v26, v27
	s_delay_alu instid0(VALU_DEP_1) | instskip(NEXT) | instid1(VALU_DEP_1)
	v_add_nc_u32_e32 v24, v27, v24
	v_add_nc_u32_e32 v25, v24, v25
	;; [unrolled: 3-line block ×4, first 2 shown]
	ds_store_2addr_b32 v3, v51, v26 offset0:16 offset1:17
	ds_store_2addr_b32 v3, v27, v24 offset0:18 offset1:19
	;; [unrolled: 1-line block ×4, first 2 shown]
	ds_store_b32 v3, v21 offset:96
	s_wait_dscnt 0x0
	s_barrier_signal -1
	s_barrier_wait -1
	ds_load_b32 v53, v28 offset:64
	ds_load_b32 v23, v29 offset:64
	;; [unrolled: 1-line block ×8, first 2 shown]
	v_mov_b64_e32 v[20:21], 0
                                        ; implicit-def: $vgpr22
	s_and_saveexec_b32 s5, vcc_lo
	s_cbranch_execz .LBB2991_47
; %bb.44:
	v_mul_u32_u24_e32 v3, 0x44, v32
	v_add_nc_u32_e32 v21, 1, v32
	s_mov_b32 s6, exec_lo
	ds_load_b32 v20, v3 offset:64
	v_mov_b32_e32 v3, 0x1000
	v_cmpx_ne_u32_e32 0x100, v21
; %bb.45:
	v_mul_u32_u24_e32 v3, 0x44, v21
	ds_load_b32 v3, v3 offset:64
; %bb.46:
	s_or_b32 exec_lo, exec_lo, s6
	s_wait_dscnt 0x0
	v_dual_mov_b32 v21, 0 :: v_dual_sub_nc_u32 v22, v3, v20
.LBB2991_47:
	s_or_b32 exec_lo, exec_lo, s5
	v_mov_b32_e32 v25, 0
	s_wait_dscnt 0x0
	s_barrier_signal -1
	s_barrier_wait -1
	s_and_saveexec_b32 s4, vcc_lo
	s_cbranch_execz .LBB2991_57
; %bb.48:
	v_lshl_add_u32 v24, s19, 8, v32
	v_dual_mov_b32 v28, 0 :: v_dual_bitop2_b32 v3, 2.0, v22 bitop3:0x54
	s_mov_b32 s5, 0
	s_mov_b32 s6, s19
	s_delay_alu instid0(VALU_DEP_2)
	v_lshl_add_u64 v[26:27], v[24:25], 2, s[20:21]
	global_store_b32 v24, v3, s[20:21] scale_offset scope:SCOPE_DEV
                                        ; implicit-def: $sgpr26
	s_branch .LBB2991_51
.LBB2991_49:                            ;   in Loop: Header=BB2991_51 Depth=1
	s_or_b32 exec_lo, exec_lo, s27
.LBB2991_50:                            ;   in Loop: Header=BB2991_51 Depth=1
	s_delay_alu instid0(SALU_CYCLE_1) | instskip(SKIP_2) | instid1(VALU_DEP_2)
	s_or_b32 exec_lo, exec_lo, s26
	v_and_b32_e32 v24, 0x3fffffff, v3
	v_cmp_gt_i32_e64 s26, -2.0, v3
	v_add_nc_u32_e32 v28, v24, v28
	s_and_b32 s27, exec_lo, s26
	s_delay_alu instid0(SALU_CYCLE_1) | instskip(NEXT) | instid1(SALU_CYCLE_1)
	s_or_b32 s5, s27, s5
	s_and_not1_b32 exec_lo, exec_lo, s5
	s_cbranch_execz .LBB2991_56
.LBB2991_51:                            ; =>This Loop Header: Depth=1
                                        ;     Child Loop BB2991_54 Depth 2
	s_or_b32 s26, s26, exec_lo
	s_cmp_eq_u32 s6, 0
	s_cbranch_scc1 .LBB2991_55
; %bb.52:                               ;   in Loop: Header=BB2991_51 Depth=1
	s_add_co_i32 s6, s6, -1
	s_mov_b32 s26, exec_lo
	s_wait_xcnt 0x0
	v_lshl_or_b32 v24, s6, 8, v32
	global_load_b32 v3, v24, s[20:21] scale_offset scope:SCOPE_DEV
	s_wait_loadcnt 0x0
	v_cmpx_gt_u32_e32 2.0, v3
	s_cbranch_execz .LBB2991_50
; %bb.53:                               ;   in Loop: Header=BB2991_51 Depth=1
	v_lshl_add_u64 v[30:31], v[24:25], 2, s[20:21]
	s_mov_b32 s27, 0
.LBB2991_54:                            ;   Parent Loop BB2991_51 Depth=1
                                        ; =>  This Inner Loop Header: Depth=2
	global_load_b32 v3, v[30:31], off scope:SCOPE_DEV
	s_wait_loadcnt 0x0
	v_cmp_lt_u32_e32 vcc_lo, 0x3fffffff, v3
	s_or_b32 s27, vcc_lo, s27
	s_wait_xcnt 0x0
	s_and_not1_b32 exec_lo, exec_lo, s27
	s_cbranch_execnz .LBB2991_54
	s_branch .LBB2991_49
.LBB2991_55:                            ;   in Loop: Header=BB2991_51 Depth=1
                                        ; implicit-def: $sgpr6
	s_and_b32 s27, exec_lo, s26
	s_delay_alu instid0(SALU_CYCLE_1)
	s_or_b32 s5, s27, s5
	s_wait_xcnt 0x0
	s_and_not1_b32 exec_lo, exec_lo, s5
	s_cbranch_execnz .LBB2991_51
.LBB2991_56:
	s_or_b32 exec_lo, exec_lo, s5
	v_dual_add_nc_u32 v3, v28, v22 :: v_dual_mov_b32 v29, 0
	s_delay_alu instid0(VALU_DEP_1)
	v_or_b32_e32 v3, 0x80000000, v3
	global_store_b32 v[26:27], v3, off scope:SCOPE_DEV
	global_load_b64 v[24:25], v32, s[8:9] scale_offset
	s_wait_xcnt 0x1
	v_sub_nc_u64_e32 v[26:27], v[28:29], v[20:21]
	s_wait_loadcnt 0x0
	s_delay_alu instid0(VALU_DEP_1)
	v_add_nc_u64_e32 v[24:25], v[26:27], v[24:25]
	ds_store_b64 v2, v[24:25]
.LBB2991_57:
	s_wait_xcnt 0x0
	s_or_b32 exec_lo, exec_lo, s4
	v_dual_mov_b32 v3, 0 :: v_dual_add_nc_u32 v1, v53, v1
	v_add3_u32 v26, v46, v50, v45
	v_add3_u32 v27, v43, v47, v42
	;; [unrolled: 1-line block ×3, first 2 shown]
	s_delay_alu instid0(VALU_DEP_4)
	v_add_nc_u64_e32 v[24:25], s[14:15], v[2:3]
	v_add3_u32 v3, v49, v54, v48
	v_add3_u32 v29, v39, v52, v38
	v_add3_u32 v30, v37, v51, v36
	v_add3_u32 v23, v35, v23, v34
	v_mov_b32_e32 v31, v32
	s_mov_b32 s5, -1
	v_add_nc_u64_e32 v[24:25], 0x3000, v[24:25]
	s_mov_b32 s4, 0
	s_branch .LBB2991_59
.LBB2991_58:                            ;   in Loop: Header=BB2991_59 Depth=1
	s_wait_xcnt 0x0
	s_or_b32 exec_lo, exec_lo, s6
	v_add_nc_u64_e32 v[24:25], 0x4000, v[24:25]
	v_add_nc_u32_e32 v31, 0x800, v31
	s_xor_b32 s5, s5, -1
	s_addk_co_i32 s4, 0xf800
	s_and_b32 vcc_lo, exec_lo, s5
	s_mov_b32 s5, 0
	s_wait_storecnt 0x0
	s_barrier_signal -1
	s_barrier_wait -1
	s_cbranch_vccnz .LBB2991_67
.LBB2991_59:                            ; =>This Inner Loop Header: Depth=1
	v_add_min_u32_e64 v34, v1, s4, 0x800
	v_add_min_u32_e64 v35, v23, s4, 0x800
	;; [unrolled: 1-line block ×5, first 2 shown]
	s_delay_alu instid0(VALU_DEP_4) | instskip(NEXT) | instid1(VALU_DEP_3)
	v_dual_lshlrev_b32 v34, 3, v34 :: v_dual_lshlrev_b32 v35, 3, v35
	v_dual_lshlrev_b32 v36, 3, v36 :: v_dual_lshlrev_b32 v37, 3, v37
	s_mov_b32 s6, exec_lo
	ds_store_b64 v34, v[6:7] offset:2048
	ds_store_b64 v35, v[4:5] offset:2048
	;; [unrolled: 1-line block ×3, first 2 shown]
	v_add_min_u32_e64 v34, v27, s4, 0x800
	v_add_min_u32_e64 v35, v26, s4, 0x800
	;; [unrolled: 1-line block ×3, first 2 shown]
	v_lshlrev_b32_e32 v38, 3, v38
	s_delay_alu instid0(VALU_DEP_3) | instskip(NEXT) | instid1(VALU_DEP_3)
	v_dual_lshlrev_b32 v34, 3, v34 :: v_dual_lshlrev_b32 v35, 3, v35
	v_lshlrev_b32_e32 v36, 3, v36
	ds_store_b64 v37, v[8:9] offset:2048
	ds_store_b64 v38, v[14:15] offset:2048
	;; [unrolled: 1-line block ×5, first 2 shown]
	s_wait_storecnt_dscnt 0x0
	s_barrier_signal -1
	s_barrier_wait -1
	v_cmpx_gt_u32_e64 s18, v31
	s_cbranch_execz .LBB2991_61
; %bb.60:                               ;   in Loop: Header=BB2991_59 Depth=1
	ds_load_b64 v[34:35], v2 offset:2048
	s_wait_dscnt 0x0
	v_lshrrev_b64 v[36:37], s16, v[34:35]
	s_delay_alu instid0(VALU_DEP_1) | instskip(NEXT) | instid1(VALU_DEP_1)
	v_and_b32_e32 v36, s25, v36
	v_lshlrev_b32_e32 v36, 3, v36
	ds_load_b64 v[36:37], v36
	s_wait_dscnt 0x0
	v_lshl_add_u64 v[36:37], v[36:37], 3, v[24:25]
	global_store_b64 v[36:37], v[34:35], off offset:-12288
.LBB2991_61:                            ;   in Loop: Header=BB2991_59 Depth=1
	s_wait_xcnt 0x0
	s_or_b32 exec_lo, exec_lo, s6
	v_add_nc_u32_e32 v34, 0x200, v31
	s_mov_b32 s6, exec_lo
	s_delay_alu instid0(VALU_DEP_1)
	v_cmpx_gt_u32_e64 s18, v34
	s_cbranch_execz .LBB2991_63
; %bb.62:                               ;   in Loop: Header=BB2991_59 Depth=1
	ds_load_b64 v[34:35], v2 offset:6144
	s_wait_dscnt 0x0
	v_lshrrev_b64 v[36:37], s16, v[34:35]
	s_delay_alu instid0(VALU_DEP_1) | instskip(NEXT) | instid1(VALU_DEP_1)
	v_and_b32_e32 v36, s25, v36
	v_lshlrev_b32_e32 v36, 3, v36
	ds_load_b64 v[36:37], v36
	s_wait_dscnt 0x0
	v_lshl_add_u64 v[36:37], v[36:37], 3, v[24:25]
	global_store_b64 v[36:37], v[34:35], off offset:-8192
.LBB2991_63:                            ;   in Loop: Header=BB2991_59 Depth=1
	s_wait_xcnt 0x0
	s_or_b32 exec_lo, exec_lo, s6
	v_add_nc_u32_e32 v34, 0x400, v31
	s_mov_b32 s6, exec_lo
	s_delay_alu instid0(VALU_DEP_1)
	;; [unrolled: 19-line block ×3, first 2 shown]
	v_cmpx_gt_u32_e64 s18, v34
	s_cbranch_execz .LBB2991_58
; %bb.66:                               ;   in Loop: Header=BB2991_59 Depth=1
	ds_load_b64 v[34:35], v2 offset:14336
	s_wait_dscnt 0x0
	v_lshrrev_b64 v[36:37], s16, v[34:35]
	s_delay_alu instid0(VALU_DEP_1) | instskip(NEXT) | instid1(VALU_DEP_1)
	v_and_b32_e32 v36, s25, v36
	v_lshlrev_b32_e32 v36, 3, v36
	ds_load_b64 v[36:37], v36
	s_wait_dscnt 0x0
	v_lshl_add_u64 v[36:37], v[36:37], 3, v[24:25]
	global_store_b64 v[36:37], v[34:35], off
	s_branch .LBB2991_58
.LBB2991_67:
	s_add_co_i32 s24, s24, -1
	s_delay_alu instid0(SALU_CYCLE_1) | instskip(SKIP_2) | instid1(SALU_CYCLE_1)
	s_cmp_eq_u32 s19, s24
	s_cselect_b32 s4, -1, 0
	s_xor_b32 s3, s3, -1
	s_and_b32 s4, s3, s4
	s_delay_alu instid0(SALU_CYCLE_1)
	s_and_saveexec_b32 s3, s4
	s_cbranch_execz .LBB2991_69
; %bb.68:
	ds_load_b64 v[4:5], v2
	v_mov_b32_e32 v23, 0
	s_delay_alu instid0(VALU_DEP_1) | instskip(SKIP_1) | instid1(VALU_DEP_1)
	v_add_nc_u64_e32 v[6:7], v[20:21], v[22:23]
	s_wait_dscnt 0x0
	v_add_nc_u64_e32 v[4:5], v[6:7], v[4:5]
	global_store_b64 v32, v[4:5], s[10:11] scale_offset
.LBB2991_69:
	s_wait_xcnt 0x0
	s_or_b32 exec_lo, exec_lo, s3
	s_mov_b32 s4, 0
.LBB2991_70:
	s_delay_alu instid0(SALU_CYCLE_1)
	s_and_b32 vcc_lo, exec_lo, s4
	s_cbranch_vccz .LBB2991_111
; %bb.71:
	s_lshl_b32 s4, s19, 12
	s_mov_b32 s5, 0
	v_dual_mov_b32 v21, 0 :: v_dual_lshlrev_b32 v20, 3, v33
	s_lshl_b64 s[24:25], s[4:5], 3
	v_lshlrev_b32_e32 v1, 6, v32
	s_add_nc_u64 s[12:13], s[12:13], s[24:25]
	s_delay_alu instid0(VALU_DEP_2) | instid1(SALU_CYCLE_1)
	v_add_nc_u64_e32 v[4:5], s[12:13], v[20:21]
	s_delay_alu instid0(VALU_DEP_2) | instskip(SKIP_2) | instid1(VALU_DEP_3)
	v_and_b32_e32 v20, 0xf800, v1
	v_bfe_u32 v1, v0, 10, 10
	v_bfe_u32 v0, v0, 20, 10
	v_add_nc_u64_e32 v[22:23], v[4:5], v[20:21]
	s_clause 0x7
	global_load_b64 v[4:5], v[22:23], off
	global_load_b64 v[6:7], v[22:23], off offset:256
	global_load_b64 v[8:9], v[22:23], off offset:512
	global_load_b64 v[10:11], v[22:23], off offset:768
	global_load_b64 v[12:13], v[22:23], off offset:1024
	global_load_b64 v[14:15], v[22:23], off offset:1280
	global_load_b64 v[16:17], v[22:23], off offset:1536
	global_load_b64 v[18:19], v[22:23], off offset:1792
	s_clause 0x1
	s_load_b32 s12, s[0:1], 0x58
	s_load_u16 s3, s[0:1], 0x66
	s_wait_xcnt 0x0
	s_bfe_u32 s0, ttmp6, 0x4000c
	s_and_b32 s1, ttmp6, 15
	s_add_co_i32 s0, s0, 1
	s_delay_alu instid0(SALU_CYCLE_1) | instskip(NEXT) | instid1(SALU_CYCLE_1)
	s_mul_i32 s0, ttmp9, s0
	s_add_co_i32 s1, s1, s0
	s_cmp_eq_u32 s7, 0
	s_cselect_b32 s0, ttmp9, s1
	s_wait_kmcnt 0x0
	s_cmp_lt_u32 s0, s12
	v_mad_u32_u24 v0, v0, s3, v1
	s_cselect_b32 s4, 12, 18
	s_lshl_b32 s13, -1, s17
	s_add_nc_u64 s[0:1], s[22:23], s[4:5]
	s_load_u16 s17, s[0:1], 0x0
	s_wait_kmcnt 0x0
	v_mad_u32 v0, v0, s17, v32
	s_delay_alu instid0(VALU_DEP_1) | instskip(NEXT) | instid1(VALU_DEP_1)
	v_lshrrev_b32_e32 v0, 3, v0
	v_and_b32_e32 v0, 0x1ffffffc, v0
	s_wait_loadcnt 0x7
	v_lshrrev_b64 v[22:23], s16, v[4:5]
	s_delay_alu instid0(VALU_DEP_1) | instskip(SKIP_1) | instid1(VALU_DEP_2)
	v_bitop3_b32 v1, v22, 1, s13 bitop3:0x40
	v_bitop3_b32 v3, v22, s13, v22 bitop3:0x30
	v_add_co_u32 v1, s0, v1, -1
	s_delay_alu instid0(VALU_DEP_1) | instskip(NEXT) | instid1(VALU_DEP_3)
	v_cndmask_b32_e64 v20, 0, 1, s0
	v_dual_lshlrev_b32 v22, 30, v3 :: v_dual_lshlrev_b32 v23, 29, v3
	v_dual_lshlrev_b32 v24, 28, v3 :: v_dual_lshlrev_b32 v25, 27, v3
	v_lshlrev_b32_e32 v26, 26, v3
	s_delay_alu instid0(VALU_DEP_4) | instskip(NEXT) | instid1(VALU_DEP_4)
	v_cmp_ne_u32_e32 vcc_lo, 0, v20
	v_not_b32_e32 v20, v22
	v_cmp_gt_i32_e64 s0, 0, v22
	v_cmp_gt_i32_e64 s1, 0, v23
	v_not_b32_e32 v22, v23
	v_not_b32_e32 v23, v24
	v_dual_ashrrev_i32 v20, 31, v20 :: v_dual_bitop2_b32 v1, vcc_lo, v1 bitop3:0x14
	v_dual_lshlrev_b32 v27, 25, v3 :: v_dual_lshlrev_b32 v28, 24, v3
	v_cmp_gt_i32_e64 s3, 0, v24
	v_cmp_gt_i32_e64 s4, 0, v25
	v_not_b32_e32 v24, v25
	v_not_b32_e32 v25, v26
	v_dual_ashrrev_i32 v22, 31, v22 :: v_dual_ashrrev_i32 v23, 31, v23
	v_xor_b32_e32 v20, s0, v20
	v_cmp_gt_i32_e64 s5, 0, v26
	v_cmp_gt_i32_e64 s6, 0, v27
	v_not_b32_e32 v26, v27
	v_not_b32_e32 v27, v28
	v_dual_ashrrev_i32 v24, 31, v24 :: v_dual_bitop2_b32 v22, s1, v22 bitop3:0x14
	v_dual_ashrrev_i32 v25, 31, v25 :: v_dual_bitop2_b32 v23, s3, v23 bitop3:0x14
	v_bitop3_b32 v1, v1, v20, exec_lo bitop3:0x80
	v_cmp_gt_i32_e64 s7, 0, v28
	v_dual_ashrrev_i32 v20, 31, v26 :: v_dual_ashrrev_i32 v26, 31, v27
	v_xor_b32_e32 v24, s4, v24
	v_xor_b32_e32 v25, s5, v25
	v_bitop3_b32 v1, v1, v23, v22 bitop3:0x80
	s_delay_alu instid0(VALU_DEP_4)
	v_xor_b32_e32 v20, s6, v20
	v_xor_b32_e32 v22, s7, v26
	v_mul_u32_u24_e32 v26, 36, v32
	s_not_b32 s5, s13
	v_bitop3_b32 v1, v1, v25, v24 bitop3:0x80
	ds_store_2addr_b32 v26, v21, v21 offset0:16 offset1:17
	ds_store_2addr_b32 v26, v21, v21 offset0:18 offset1:19
	;; [unrolled: 1-line block ×4, first 2 shown]
	ds_store_b32 v26, v21 offset:96
	v_bitop3_b32 v1, v1, v22, v20 bitop3:0x80
	v_mul_lo_u32 v20, 0x44, v3
	s_wait_storecnt 0x0
	s_wait_loadcnt_dscnt 0x0
	s_barrier_signal -1
	s_barrier_wait -1
	v_mbcnt_lo_u32_b32 v3, v1, 0
	v_cmp_ne_u32_e64 s0, 0, v1
	; wave barrier
	s_delay_alu instid0(VALU_DEP_2) | instskip(NEXT) | instid1(VALU_DEP_4)
	v_cmp_eq_u32_e32 vcc_lo, 0, v3
	v_add_nc_u32_e32 v27, v0, v20
	s_and_b32 s1, s0, vcc_lo
	s_delay_alu instid0(SALU_CYCLE_1)
	s_and_saveexec_b32 s0, s1
; %bb.72:
	v_bcnt_u32_b32 v1, v1, 0
	ds_store_b32 v27, v1 offset:64
; %bb.73:
	s_or_b32 exec_lo, exec_lo, s0
	v_lshrrev_b64 v[20:21], s16, v[6:7]
	; wave barrier
	s_delay_alu instid0(VALU_DEP_1) | instskip(SKIP_1) | instid1(VALU_DEP_2)
	v_and_b32_e32 v1, s5, v20
	v_bitop3_b32 v20, v20, 1, s5 bitop3:0x80
	v_lshlrev_b32_e32 v23, 30, v1
	s_delay_alu instid0(VALU_DEP_2) | instskip(NEXT) | instid1(VALU_DEP_1)
	v_add_co_u32 v20, s0, v20, -1
	v_cndmask_b32_e64 v22, 0, 1, s0
	s_delay_alu instid0(VALU_DEP_1) | instskip(NEXT) | instid1(VALU_DEP_4)
	v_cmp_ne_u32_e32 vcc_lo, 0, v22
	v_not_b32_e32 v22, v23
	s_delay_alu instid0(VALU_DEP_1) | instskip(SKIP_4) | instid1(VALU_DEP_4)
	v_dual_ashrrev_i32 v22, 31, v22 :: v_dual_bitop2_b32 v20, vcc_lo, v20 bitop3:0x14
	v_dual_lshlrev_b32 v24, 29, v1 :: v_dual_lshlrev_b32 v25, 28, v1
	v_lshlrev_b32_e32 v28, 27, v1
	v_cmp_gt_i32_e64 s0, 0, v23
	v_mul_lo_u32 v21, 0x44, v1
	v_cmp_gt_i32_e64 s1, 0, v24
	v_not_b32_e32 v23, v24
	v_not_b32_e32 v24, v25
	v_dual_lshlrev_b32 v29, 26, v1 :: v_dual_lshlrev_b32 v30, 25, v1
	v_lshlrev_b32_e32 v1, 24, v1
	v_cmp_gt_i32_e64 s3, 0, v25
	v_not_b32_e32 v25, v28
	v_dual_ashrrev_i32 v23, 31, v23 :: v_dual_ashrrev_i32 v24, 31, v24
	v_xor_b32_e32 v22, s0, v22
	v_cmp_gt_i32_e64 s4, 0, v28
	v_not_b32_e32 v28, v29
	s_delay_alu instid0(VALU_DEP_4)
	v_dual_ashrrev_i32 v25, 31, v25 :: v_dual_bitop2_b32 v23, s1, v23 bitop3:0x14
	v_xor_b32_e32 v24, s3, v24
	v_bitop3_b32 v20, v20, v22, exec_lo bitop3:0x80
	v_cmp_gt_i32_e32 vcc_lo, 0, v29
	v_ashrrev_i32_e32 v22, 31, v28
	v_not_b32_e32 v28, v30
	v_xor_b32_e32 v25, s4, v25
	v_bitop3_b32 v20, v20, v24, v23 bitop3:0x80
	v_not_b32_e32 v23, v1
	v_xor_b32_e32 v22, vcc_lo, v22
	v_cmp_gt_i32_e32 vcc_lo, 0, v30
	v_ashrrev_i32_e32 v24, 31, v28
	v_cmp_gt_i32_e64 s0, 0, v1
	v_dual_ashrrev_i32 v1, 31, v23 :: v_dual_add_nc_u32 v28, v0, v21
	v_bitop3_b32 v20, v20, v22, v25 bitop3:0x80
	s_delay_alu instid0(VALU_DEP_4) | instskip(NEXT) | instid1(VALU_DEP_3)
	v_xor_b32_e32 v21, vcc_lo, v24
	v_xor_b32_e32 v1, s0, v1
	ds_load_b32 v30, v28 offset:64
	; wave barrier
	v_bitop3_b32 v1, v20, v1, v21 bitop3:0x80
	s_delay_alu instid0(VALU_DEP_1) | instskip(SKIP_1) | instid1(VALU_DEP_2)
	v_mbcnt_lo_u32_b32 v31, v1, 0
	v_cmp_ne_u32_e64 s0, 0, v1
	v_cmp_eq_u32_e32 vcc_lo, 0, v31
	s_and_b32 s1, s0, vcc_lo
	s_delay_alu instid0(SALU_CYCLE_1)
	s_and_saveexec_b32 s0, s1
	s_cbranch_execz .LBB2991_75
; %bb.74:
	s_wait_dscnt 0x0
	v_bcnt_u32_b32 v1, v1, v30
	ds_store_b32 v28, v1 offset:64
.LBB2991_75:
	s_or_b32 exec_lo, exec_lo, s0
	v_lshrrev_b64 v[20:21], s16, v[8:9]
	; wave barrier
	s_delay_alu instid0(VALU_DEP_1) | instskip(SKIP_1) | instid1(VALU_DEP_2)
	v_and_b32_e32 v1, s5, v20
	v_bitop3_b32 v20, v20, 1, s5 bitop3:0x80
	v_lshlrev_b32_e32 v23, 30, v1
	s_delay_alu instid0(VALU_DEP_2) | instskip(NEXT) | instid1(VALU_DEP_1)
	v_add_co_u32 v20, s0, v20, -1
	v_cndmask_b32_e64 v22, 0, 1, s0
	s_delay_alu instid0(VALU_DEP_1) | instskip(NEXT) | instid1(VALU_DEP_4)
	v_cmp_ne_u32_e32 vcc_lo, 0, v22
	v_not_b32_e32 v22, v23
	s_delay_alu instid0(VALU_DEP_1) | instskip(SKIP_4) | instid1(VALU_DEP_4)
	v_dual_ashrrev_i32 v22, 31, v22 :: v_dual_bitop2_b32 v20, vcc_lo, v20 bitop3:0x14
	v_dual_lshlrev_b32 v24, 29, v1 :: v_dual_lshlrev_b32 v25, 28, v1
	v_lshlrev_b32_e32 v29, 27, v1
	v_cmp_gt_i32_e64 s0, 0, v23
	v_mul_lo_u32 v21, 0x44, v1
	v_cmp_gt_i32_e64 s1, 0, v24
	v_not_b32_e32 v23, v24
	v_not_b32_e32 v24, v25
	v_dual_lshlrev_b32 v34, 26, v1 :: v_dual_lshlrev_b32 v35, 25, v1
	v_lshlrev_b32_e32 v1, 24, v1
	v_cmp_gt_i32_e64 s3, 0, v25
	v_not_b32_e32 v25, v29
	v_dual_ashrrev_i32 v23, 31, v23 :: v_dual_ashrrev_i32 v24, 31, v24
	v_xor_b32_e32 v22, s0, v22
	v_cmp_gt_i32_e64 s4, 0, v29
	v_not_b32_e32 v29, v34
	s_delay_alu instid0(VALU_DEP_4)
	v_dual_ashrrev_i32 v25, 31, v25 :: v_dual_bitop2_b32 v23, s1, v23 bitop3:0x14
	v_xor_b32_e32 v24, s3, v24
	v_bitop3_b32 v20, v20, v22, exec_lo bitop3:0x80
	v_cmp_gt_i32_e32 vcc_lo, 0, v34
	v_ashrrev_i32_e32 v22, 31, v29
	v_not_b32_e32 v29, v35
	v_xor_b32_e32 v25, s4, v25
	v_bitop3_b32 v20, v20, v24, v23 bitop3:0x80
	v_not_b32_e32 v23, v1
	s_delay_alu instid0(VALU_DEP_4) | instskip(SKIP_2) | instid1(VALU_DEP_4)
	v_dual_ashrrev_i32 v24, 31, v29 :: v_dual_bitop2_b32 v22, vcc_lo, v22 bitop3:0x14
	v_cmp_gt_i32_e32 vcc_lo, 0, v35
	v_cmp_gt_i32_e64 s0, 0, v1
	v_dual_ashrrev_i32 v1, 31, v23 :: v_dual_add_nc_u32 v29, v0, v21
	s_delay_alu instid0(VALU_DEP_4) | instskip(SKIP_1) | instid1(VALU_DEP_3)
	v_bitop3_b32 v20, v20, v22, v25 bitop3:0x80
	v_xor_b32_e32 v21, vcc_lo, v24
	v_xor_b32_e32 v1, s0, v1
	ds_load_b32 v34, v29 offset:64
	; wave barrier
	v_bitop3_b32 v1, v20, v1, v21 bitop3:0x80
	s_delay_alu instid0(VALU_DEP_1) | instskip(SKIP_1) | instid1(VALU_DEP_2)
	v_mbcnt_lo_u32_b32 v35, v1, 0
	v_cmp_ne_u32_e64 s0, 0, v1
	v_cmp_eq_u32_e32 vcc_lo, 0, v35
	s_and_b32 s1, s0, vcc_lo
	s_delay_alu instid0(SALU_CYCLE_1)
	s_and_saveexec_b32 s0, s1
	s_cbranch_execz .LBB2991_77
; %bb.76:
	s_wait_dscnt 0x0
	v_bcnt_u32_b32 v1, v1, v34
	ds_store_b32 v29, v1 offset:64
.LBB2991_77:
	s_or_b32 exec_lo, exec_lo, s0
	v_lshrrev_b64 v[20:21], s16, v[10:11]
	; wave barrier
	s_delay_alu instid0(VALU_DEP_1) | instskip(SKIP_1) | instid1(VALU_DEP_2)
	v_and_b32_e32 v1, s5, v20
	v_bitop3_b32 v20, v20, 1, s5 bitop3:0x80
	v_lshlrev_b32_e32 v23, 30, v1
	s_delay_alu instid0(VALU_DEP_2) | instskip(NEXT) | instid1(VALU_DEP_1)
	v_add_co_u32 v20, s0, v20, -1
	v_cndmask_b32_e64 v22, 0, 1, s0
	s_delay_alu instid0(VALU_DEP_1) | instskip(NEXT) | instid1(VALU_DEP_4)
	v_cmp_ne_u32_e32 vcc_lo, 0, v22
	v_not_b32_e32 v22, v23
	s_delay_alu instid0(VALU_DEP_1) | instskip(SKIP_4) | instid1(VALU_DEP_4)
	v_dual_ashrrev_i32 v22, 31, v22 :: v_dual_bitop2_b32 v20, vcc_lo, v20 bitop3:0x14
	v_dual_lshlrev_b32 v24, 29, v1 :: v_dual_lshlrev_b32 v25, 28, v1
	v_lshlrev_b32_e32 v36, 27, v1
	v_cmp_gt_i32_e64 s0, 0, v23
	v_mul_lo_u32 v21, 0x44, v1
	v_cmp_gt_i32_e64 s1, 0, v24
	v_not_b32_e32 v23, v24
	v_not_b32_e32 v24, v25
	v_dual_lshlrev_b32 v37, 26, v1 :: v_dual_lshlrev_b32 v38, 25, v1
	v_lshlrev_b32_e32 v1, 24, v1
	v_cmp_gt_i32_e64 s3, 0, v25
	v_not_b32_e32 v25, v36
	v_dual_ashrrev_i32 v23, 31, v23 :: v_dual_ashrrev_i32 v24, 31, v24
	v_xor_b32_e32 v22, s0, v22
	v_cmp_gt_i32_e64 s4, 0, v36
	v_not_b32_e32 v36, v37
	s_delay_alu instid0(VALU_DEP_4)
	v_dual_ashrrev_i32 v25, 31, v25 :: v_dual_bitop2_b32 v23, s1, v23 bitop3:0x14
	v_xor_b32_e32 v24, s3, v24
	v_bitop3_b32 v20, v20, v22, exec_lo bitop3:0x80
	v_cmp_gt_i32_e32 vcc_lo, 0, v37
	v_ashrrev_i32_e32 v22, 31, v36
	v_not_b32_e32 v36, v38
	v_xor_b32_e32 v25, s4, v25
	v_bitop3_b32 v20, v20, v24, v23 bitop3:0x80
	v_not_b32_e32 v23, v1
	v_dual_add_nc_u32 v40, v0, v21 :: v_dual_bitop2_b32 v22, vcc_lo, v22 bitop3:0x14
	v_cmp_gt_i32_e32 vcc_lo, 0, v38
	v_ashrrev_i32_e32 v24, 31, v36
	v_cmp_gt_i32_e64 s0, 0, v1
	v_ashrrev_i32_e32 v1, 31, v23
	v_bitop3_b32 v20, v20, v22, v25 bitop3:0x80
	ds_load_b32 v36, v40 offset:64
	v_xor_b32_e32 v21, vcc_lo, v24
	v_xor_b32_e32 v1, s0, v1
	; wave barrier
	s_delay_alu instid0(VALU_DEP_1) | instskip(NEXT) | instid1(VALU_DEP_1)
	v_bitop3_b32 v1, v20, v1, v21 bitop3:0x80
	v_mbcnt_lo_u32_b32 v37, v1, 0
	v_cmp_ne_u32_e64 s0, 0, v1
	s_delay_alu instid0(VALU_DEP_2) | instskip(SKIP_1) | instid1(SALU_CYCLE_1)
	v_cmp_eq_u32_e32 vcc_lo, 0, v37
	s_and_b32 s1, s0, vcc_lo
	s_and_saveexec_b32 s0, s1
	s_cbranch_execz .LBB2991_79
; %bb.78:
	s_wait_dscnt 0x0
	v_bcnt_u32_b32 v1, v1, v36
	ds_store_b32 v40, v1 offset:64
.LBB2991_79:
	s_or_b32 exec_lo, exec_lo, s0
	v_lshrrev_b64 v[20:21], s16, v[12:13]
	; wave barrier
	s_delay_alu instid0(VALU_DEP_1) | instskip(SKIP_1) | instid1(VALU_DEP_2)
	v_and_b32_e32 v1, s5, v20
	v_bitop3_b32 v20, v20, 1, s5 bitop3:0x80
	v_lshlrev_b32_e32 v23, 30, v1
	s_delay_alu instid0(VALU_DEP_2) | instskip(NEXT) | instid1(VALU_DEP_1)
	v_add_co_u32 v20, s0, v20, -1
	v_cndmask_b32_e64 v22, 0, 1, s0
	s_delay_alu instid0(VALU_DEP_1) | instskip(NEXT) | instid1(VALU_DEP_4)
	v_cmp_ne_u32_e32 vcc_lo, 0, v22
	v_not_b32_e32 v22, v23
	s_delay_alu instid0(VALU_DEP_1) | instskip(SKIP_4) | instid1(VALU_DEP_4)
	v_dual_ashrrev_i32 v22, 31, v22 :: v_dual_bitop2_b32 v20, vcc_lo, v20 bitop3:0x14
	v_dual_lshlrev_b32 v24, 29, v1 :: v_dual_lshlrev_b32 v25, 28, v1
	v_lshlrev_b32_e32 v38, 27, v1
	v_cmp_gt_i32_e64 s0, 0, v23
	v_mul_lo_u32 v21, 0x44, v1
	v_cmp_gt_i32_e64 s1, 0, v24
	v_not_b32_e32 v23, v24
	v_not_b32_e32 v24, v25
	v_dual_lshlrev_b32 v39, 26, v1 :: v_dual_lshlrev_b32 v41, 25, v1
	v_lshlrev_b32_e32 v1, 24, v1
	v_cmp_gt_i32_e64 s3, 0, v25
	v_not_b32_e32 v25, v38
	v_dual_ashrrev_i32 v23, 31, v23 :: v_dual_ashrrev_i32 v24, 31, v24
	v_xor_b32_e32 v22, s0, v22
	v_cmp_gt_i32_e64 s4, 0, v38
	v_not_b32_e32 v38, v39
	s_delay_alu instid0(VALU_DEP_4)
	v_dual_ashrrev_i32 v25, 31, v25 :: v_dual_bitop2_b32 v23, s1, v23 bitop3:0x14
	v_xor_b32_e32 v24, s3, v24
	v_bitop3_b32 v20, v20, v22, exec_lo bitop3:0x80
	v_cmp_gt_i32_e32 vcc_lo, 0, v39
	v_ashrrev_i32_e32 v22, 31, v38
	v_not_b32_e32 v38, v41
	v_xor_b32_e32 v25, s4, v25
	v_bitop3_b32 v20, v20, v24, v23 bitop3:0x80
	v_not_b32_e32 v23, v1
	v_dual_add_nc_u32 v43, v0, v21 :: v_dual_bitop2_b32 v22, vcc_lo, v22 bitop3:0x14
	v_cmp_gt_i32_e32 vcc_lo, 0, v41
	v_ashrrev_i32_e32 v24, 31, v38
	v_cmp_gt_i32_e64 s0, 0, v1
	v_ashrrev_i32_e32 v1, 31, v23
	v_bitop3_b32 v20, v20, v22, v25 bitop3:0x80
	ds_load_b32 v38, v43 offset:64
	v_xor_b32_e32 v21, vcc_lo, v24
	v_xor_b32_e32 v1, s0, v1
	; wave barrier
	s_delay_alu instid0(VALU_DEP_1) | instskip(NEXT) | instid1(VALU_DEP_1)
	v_bitop3_b32 v1, v20, v1, v21 bitop3:0x80
	v_mbcnt_lo_u32_b32 v39, v1, 0
	v_cmp_ne_u32_e64 s0, 0, v1
	s_delay_alu instid0(VALU_DEP_2) | instskip(SKIP_1) | instid1(SALU_CYCLE_1)
	v_cmp_eq_u32_e32 vcc_lo, 0, v39
	s_and_b32 s1, s0, vcc_lo
	s_and_saveexec_b32 s0, s1
	s_cbranch_execz .LBB2991_81
; %bb.80:
	s_wait_dscnt 0x0
	v_bcnt_u32_b32 v1, v1, v38
	ds_store_b32 v43, v1 offset:64
.LBB2991_81:
	s_or_b32 exec_lo, exec_lo, s0
	v_lshrrev_b64 v[20:21], s16, v[14:15]
	; wave barrier
	s_delay_alu instid0(VALU_DEP_1) | instskip(SKIP_1) | instid1(VALU_DEP_2)
	v_and_b32_e32 v1, s5, v20
	v_bitop3_b32 v20, v20, 1, s5 bitop3:0x80
	v_lshlrev_b32_e32 v23, 30, v1
	s_delay_alu instid0(VALU_DEP_2) | instskip(NEXT) | instid1(VALU_DEP_1)
	v_add_co_u32 v20, s0, v20, -1
	v_cndmask_b32_e64 v22, 0, 1, s0
	s_delay_alu instid0(VALU_DEP_1) | instskip(NEXT) | instid1(VALU_DEP_4)
	v_cmp_ne_u32_e32 vcc_lo, 0, v22
	v_not_b32_e32 v22, v23
	s_delay_alu instid0(VALU_DEP_1) | instskip(SKIP_4) | instid1(VALU_DEP_4)
	v_dual_ashrrev_i32 v22, 31, v22 :: v_dual_bitop2_b32 v20, vcc_lo, v20 bitop3:0x14
	v_dual_lshlrev_b32 v24, 29, v1 :: v_dual_lshlrev_b32 v25, 28, v1
	v_lshlrev_b32_e32 v41, 27, v1
	v_cmp_gt_i32_e64 s0, 0, v23
	v_mul_lo_u32 v21, 0x44, v1
	v_cmp_gt_i32_e64 s1, 0, v24
	v_not_b32_e32 v23, v24
	v_not_b32_e32 v24, v25
	v_dual_lshlrev_b32 v42, 26, v1 :: v_dual_lshlrev_b32 v44, 25, v1
	v_lshlrev_b32_e32 v1, 24, v1
	v_cmp_gt_i32_e64 s3, 0, v25
	v_not_b32_e32 v25, v41
	v_dual_ashrrev_i32 v23, 31, v23 :: v_dual_ashrrev_i32 v24, 31, v24
	v_xor_b32_e32 v22, s0, v22
	v_cmp_gt_i32_e64 s4, 0, v41
	v_not_b32_e32 v41, v42
	s_delay_alu instid0(VALU_DEP_4)
	v_dual_ashrrev_i32 v25, 31, v25 :: v_dual_bitop2_b32 v23, s1, v23 bitop3:0x14
	v_xor_b32_e32 v24, s3, v24
	v_bitop3_b32 v20, v20, v22, exec_lo bitop3:0x80
	v_cmp_gt_i32_e32 vcc_lo, 0, v42
	v_ashrrev_i32_e32 v22, 31, v41
	v_not_b32_e32 v41, v44
	v_xor_b32_e32 v25, s4, v25
	v_bitop3_b32 v20, v20, v24, v23 bitop3:0x80
	v_not_b32_e32 v23, v1
	s_delay_alu instid0(VALU_DEP_4) | instskip(SKIP_2) | instid1(VALU_DEP_4)
	v_dual_ashrrev_i32 v24, 31, v41 :: v_dual_bitop2_b32 v22, vcc_lo, v22 bitop3:0x14
	v_cmp_gt_i32_e32 vcc_lo, 0, v44
	v_cmp_gt_i32_e64 s0, 0, v1
	v_dual_ashrrev_i32 v1, 31, v23 :: v_dual_add_nc_u32 v46, v0, v21
	s_delay_alu instid0(VALU_DEP_4) | instskip(SKIP_1) | instid1(VALU_DEP_3)
	v_bitop3_b32 v20, v20, v22, v25 bitop3:0x80
	v_xor_b32_e32 v21, vcc_lo, v24
	v_xor_b32_e32 v1, s0, v1
	ds_load_b32 v41, v46 offset:64
	; wave barrier
	v_bitop3_b32 v1, v20, v1, v21 bitop3:0x80
	s_delay_alu instid0(VALU_DEP_1) | instskip(SKIP_1) | instid1(VALU_DEP_2)
	v_mbcnt_lo_u32_b32 v42, v1, 0
	v_cmp_ne_u32_e64 s0, 0, v1
	v_cmp_eq_u32_e32 vcc_lo, 0, v42
	s_and_b32 s1, s0, vcc_lo
	s_delay_alu instid0(SALU_CYCLE_1)
	s_and_saveexec_b32 s0, s1
	s_cbranch_execz .LBB2991_83
; %bb.82:
	s_wait_dscnt 0x0
	v_bcnt_u32_b32 v1, v1, v41
	ds_store_b32 v46, v1 offset:64
.LBB2991_83:
	s_or_b32 exec_lo, exec_lo, s0
	v_lshrrev_b64 v[20:21], s16, v[16:17]
	; wave barrier
	s_delay_alu instid0(VALU_DEP_1) | instskip(SKIP_1) | instid1(VALU_DEP_2)
	v_and_b32_e32 v1, s5, v20
	v_bitop3_b32 v20, v20, 1, s5 bitop3:0x80
	v_lshlrev_b32_e32 v23, 30, v1
	s_delay_alu instid0(VALU_DEP_2) | instskip(NEXT) | instid1(VALU_DEP_1)
	v_add_co_u32 v20, s0, v20, -1
	v_cndmask_b32_e64 v22, 0, 1, s0
	s_delay_alu instid0(VALU_DEP_1) | instskip(NEXT) | instid1(VALU_DEP_4)
	v_cmp_ne_u32_e32 vcc_lo, 0, v22
	v_not_b32_e32 v22, v23
	s_delay_alu instid0(VALU_DEP_1) | instskip(SKIP_4) | instid1(VALU_DEP_4)
	v_dual_ashrrev_i32 v22, 31, v22 :: v_dual_bitop2_b32 v20, vcc_lo, v20 bitop3:0x14
	v_dual_lshlrev_b32 v24, 29, v1 :: v_dual_lshlrev_b32 v25, 28, v1
	v_lshlrev_b32_e32 v44, 27, v1
	v_cmp_gt_i32_e64 s0, 0, v23
	v_mul_lo_u32 v21, 0x44, v1
	v_cmp_gt_i32_e64 s1, 0, v24
	v_not_b32_e32 v23, v24
	v_not_b32_e32 v24, v25
	v_dual_lshlrev_b32 v45, 26, v1 :: v_dual_lshlrev_b32 v47, 25, v1
	v_lshlrev_b32_e32 v1, 24, v1
	v_cmp_gt_i32_e64 s3, 0, v25
	v_not_b32_e32 v25, v44
	v_dual_ashrrev_i32 v23, 31, v23 :: v_dual_ashrrev_i32 v24, 31, v24
	v_xor_b32_e32 v22, s0, v22
	v_cmp_gt_i32_e64 s4, 0, v44
	v_not_b32_e32 v44, v45
	s_delay_alu instid0(VALU_DEP_4)
	v_dual_ashrrev_i32 v25, 31, v25 :: v_dual_bitop2_b32 v23, s1, v23 bitop3:0x14
	v_xor_b32_e32 v24, s3, v24
	v_bitop3_b32 v20, v20, v22, exec_lo bitop3:0x80
	v_cmp_gt_i32_e32 vcc_lo, 0, v45
	v_ashrrev_i32_e32 v22, 31, v44
	v_not_b32_e32 v44, v47
	v_xor_b32_e32 v25, s4, v25
	v_bitop3_b32 v20, v20, v24, v23 bitop3:0x80
	v_not_b32_e32 v23, v1
	v_dual_add_nc_u32 v49, v0, v21 :: v_dual_bitop2_b32 v22, vcc_lo, v22 bitop3:0x14
	v_cmp_gt_i32_e32 vcc_lo, 0, v47
	v_ashrrev_i32_e32 v24, 31, v44
	v_cmp_gt_i32_e64 s0, 0, v1
	v_ashrrev_i32_e32 v1, 31, v23
	v_bitop3_b32 v20, v20, v22, v25 bitop3:0x80
	ds_load_b32 v44, v49 offset:64
	v_xor_b32_e32 v21, vcc_lo, v24
	v_xor_b32_e32 v1, s0, v1
	; wave barrier
	s_delay_alu instid0(VALU_DEP_1) | instskip(NEXT) | instid1(VALU_DEP_1)
	v_bitop3_b32 v1, v20, v1, v21 bitop3:0x80
	v_mbcnt_lo_u32_b32 v45, v1, 0
	v_cmp_ne_u32_e64 s0, 0, v1
	s_delay_alu instid0(VALU_DEP_2) | instskip(SKIP_1) | instid1(SALU_CYCLE_1)
	v_cmp_eq_u32_e32 vcc_lo, 0, v45
	s_and_b32 s1, s0, vcc_lo
	s_and_saveexec_b32 s0, s1
	s_cbranch_execz .LBB2991_85
; %bb.84:
	s_wait_dscnt 0x0
	v_bcnt_u32_b32 v1, v1, v44
	ds_store_b32 v49, v1 offset:64
.LBB2991_85:
	s_or_b32 exec_lo, exec_lo, s0
	v_lshrrev_b64 v[20:21], s16, v[18:19]
	; wave barrier
	s_delay_alu instid0(VALU_DEP_1) | instskip(SKIP_1) | instid1(VALU_DEP_2)
	v_and_b32_e32 v1, s5, v20
	v_bitop3_b32 v20, v20, 1, s5 bitop3:0x80
	v_lshlrev_b32_e32 v23, 30, v1
	s_delay_alu instid0(VALU_DEP_2) | instskip(NEXT) | instid1(VALU_DEP_1)
	v_add_co_u32 v20, s0, v20, -1
	v_cndmask_b32_e64 v22, 0, 1, s0
	s_delay_alu instid0(VALU_DEP_1) | instskip(NEXT) | instid1(VALU_DEP_4)
	v_cmp_ne_u32_e32 vcc_lo, 0, v22
	v_not_b32_e32 v22, v23
	s_delay_alu instid0(VALU_DEP_1) | instskip(SKIP_4) | instid1(VALU_DEP_4)
	v_dual_ashrrev_i32 v22, 31, v22 :: v_dual_bitop2_b32 v20, vcc_lo, v20 bitop3:0x14
	v_dual_lshlrev_b32 v24, 29, v1 :: v_dual_lshlrev_b32 v25, 28, v1
	v_lshlrev_b32_e32 v47, 27, v1
	v_cmp_gt_i32_e64 s0, 0, v23
	v_mul_lo_u32 v21, 0x44, v1
	v_cmp_gt_i32_e64 s1, 0, v24
	v_not_b32_e32 v23, v24
	v_not_b32_e32 v24, v25
	v_dual_lshlrev_b32 v48, 26, v1 :: v_dual_lshlrev_b32 v50, 25, v1
	v_lshlrev_b32_e32 v1, 24, v1
	v_cmp_gt_i32_e64 s3, 0, v25
	v_not_b32_e32 v25, v47
	v_dual_ashrrev_i32 v23, 31, v23 :: v_dual_ashrrev_i32 v24, 31, v24
	v_xor_b32_e32 v22, s0, v22
	v_cmp_gt_i32_e64 s4, 0, v47
	v_not_b32_e32 v47, v48
	s_delay_alu instid0(VALU_DEP_4)
	v_dual_ashrrev_i32 v25, 31, v25 :: v_dual_bitop2_b32 v23, s1, v23 bitop3:0x14
	v_dual_add_nc_u32 v51, v0, v21 :: v_dual_bitop2_b32 v24, s3, v24 bitop3:0x14
	v_bitop3_b32 v20, v20, v22, exec_lo bitop3:0x80
	v_cmp_gt_i32_e32 vcc_lo, 0, v48
	v_ashrrev_i32_e32 v22, 31, v47
	v_not_b32_e32 v47, v50
	v_xor_b32_e32 v25, s4, v25
	v_bitop3_b32 v20, v20, v24, v23 bitop3:0x80
	v_not_b32_e32 v23, v1
	v_xor_b32_e32 v22, vcc_lo, v22
	v_cmp_gt_i32_e32 vcc_lo, 0, v50
	v_ashrrev_i32_e32 v24, 31, v47
	v_cmp_gt_i32_e64 s0, 0, v1
	v_ashrrev_i32_e32 v1, 31, v23
	v_bitop3_b32 v0, v20, v22, v25 bitop3:0x80
	ds_load_b32 v47, v51 offset:64
	v_xor_b32_e32 v20, vcc_lo, v24
	v_xor_b32_e32 v1, s0, v1
	; wave barrier
	s_delay_alu instid0(VALU_DEP_1) | instskip(NEXT) | instid1(VALU_DEP_1)
	v_bitop3_b32 v0, v0, v1, v20 bitop3:0x80
	v_mbcnt_lo_u32_b32 v48, v0, 0
	v_cmp_ne_u32_e64 s0, 0, v0
	s_delay_alu instid0(VALU_DEP_2) | instskip(SKIP_1) | instid1(SALU_CYCLE_1)
	v_cmp_eq_u32_e32 vcc_lo, 0, v48
	s_and_b32 s1, s0, vcc_lo
	s_and_saveexec_b32 s0, s1
	s_cbranch_execz .LBB2991_87
; %bb.86:
	s_wait_dscnt 0x0
	v_bcnt_u32_b32 v0, v0, v47
	ds_store_b32 v51, v0 offset:64
.LBB2991_87:
	s_or_b32 exec_lo, exec_lo, s0
	; wave barrier
	s_wait_dscnt 0x0
	s_barrier_signal -1
	s_barrier_wait -1
	ds_load_2addr_b32 v[24:25], v26 offset0:16 offset1:17
	ds_load_2addr_b32 v[22:23], v26 offset0:18 offset1:19
	;; [unrolled: 1-line block ×4, first 2 shown]
	ds_load_b32 v50, v26 offset:96
	v_bfe_i32 v54, v33, 4, 1
	s_mov_b32 s6, exec_lo
	s_wait_dscnt 0x3
	v_add3_u32 v52, v25, v24, v22
	s_wait_dscnt 0x2
	s_delay_alu instid0(VALU_DEP_1) | instskip(SKIP_1) | instid1(VALU_DEP_1)
	v_add3_u32 v52, v52, v23, v20
	s_wait_dscnt 0x1
	v_add3_u32 v52, v52, v21, v0
	s_wait_dscnt 0x0
	s_delay_alu instid0(VALU_DEP_1) | instskip(SKIP_1) | instid1(VALU_DEP_2)
	v_add3_u32 v50, v52, v1, v50
	v_and_b32_e32 v52, 15, v33
	v_mov_b32_dpp v53, v50 row_shr:1 row_mask:0xf bank_mask:0xf
	s_delay_alu instid0(VALU_DEP_2) | instskip(NEXT) | instid1(VALU_DEP_2)
	v_cmp_eq_u32_e32 vcc_lo, 0, v52
	v_cndmask_b32_e64 v53, v53, 0, vcc_lo
	s_delay_alu instid0(VALU_DEP_1) | instskip(SKIP_3) | instid1(VALU_DEP_4)
	v_add_nc_u32_e32 v50, v53, v50
	v_cmp_lt_u32_e64 s0, 1, v52
	v_cmp_lt_u32_e64 s1, 3, v52
	;; [unrolled: 1-line block ×3, first 2 shown]
	v_mov_b32_dpp v53, v50 row_shr:2 row_mask:0xf bank_mask:0xf
	s_delay_alu instid0(VALU_DEP_1) | instskip(NEXT) | instid1(VALU_DEP_1)
	v_cndmask_b32_e64 v53, 0, v53, s0
	v_add_nc_u32_e32 v50, v50, v53
	s_delay_alu instid0(VALU_DEP_1) | instskip(NEXT) | instid1(VALU_DEP_1)
	v_mov_b32_dpp v53, v50 row_shr:4 row_mask:0xf bank_mask:0xf
	v_cndmask_b32_e64 v53, 0, v53, s1
	s_delay_alu instid0(VALU_DEP_1) | instskip(NEXT) | instid1(VALU_DEP_1)
	v_add_nc_u32_e32 v50, v50, v53
	v_mov_b32_dpp v53, v50 row_shr:8 row_mask:0xf bank_mask:0xf
	s_delay_alu instid0(VALU_DEP_1) | instskip(SKIP_1) | instid1(VALU_DEP_2)
	v_cndmask_b32_e64 v52, 0, v53, s3
	v_and_b32_e32 v53, 0x3e0, v32
	v_add_nc_u32_e32 v50, v50, v52
	s_delay_alu instid0(VALU_DEP_2) | instskip(SKIP_4) | instid1(VALU_DEP_1)
	v_min_u32_e32 v53, 0x1e0, v53
	ds_swizzle_b32 v52, v50 offset:swizzle(BROADCAST,32,15)
	v_or_b32_e32 v53, 31, v53
	s_wait_dscnt 0x0
	v_and_b32_e32 v54, v54, v52
	v_dual_lshrrev_b32 v52, 5, v32 :: v_dual_add_nc_u32 v50, v50, v54
	s_delay_alu instid0(VALU_DEP_3)
	v_cmpx_eq_u32_e64 v32, v53
; %bb.88:
	s_delay_alu instid0(VALU_DEP_2)
	v_lshlrev_b32_e32 v53, 2, v52
	ds_store_b32 v53, v50
; %bb.89:
	s_or_b32 exec_lo, exec_lo, s6
	s_delay_alu instid0(SALU_CYCLE_1)
	s_mov_b32 s6, exec_lo
	s_wait_dscnt 0x0
	s_barrier_signal -1
	s_barrier_wait -1
	v_cmpx_gt_u32_e32 16, v32
	s_cbranch_execz .LBB2991_91
; %bb.90:
	v_lshlrev_b32_e32 v53, 2, v32
	ds_load_b32 v54, v53
	s_wait_dscnt 0x0
	v_mov_b32_dpp v55, v54 row_shr:1 row_mask:0xf bank_mask:0xf
	s_delay_alu instid0(VALU_DEP_1) | instskip(NEXT) | instid1(VALU_DEP_1)
	v_cndmask_b32_e64 v55, v55, 0, vcc_lo
	v_add_nc_u32_e32 v54, v55, v54
	s_delay_alu instid0(VALU_DEP_1) | instskip(NEXT) | instid1(VALU_DEP_1)
	v_mov_b32_dpp v55, v54 row_shr:2 row_mask:0xf bank_mask:0xf
	v_cndmask_b32_e64 v55, 0, v55, s0
	s_delay_alu instid0(VALU_DEP_1) | instskip(NEXT) | instid1(VALU_DEP_1)
	v_add_nc_u32_e32 v54, v54, v55
	v_mov_b32_dpp v55, v54 row_shr:4 row_mask:0xf bank_mask:0xf
	s_delay_alu instid0(VALU_DEP_1) | instskip(NEXT) | instid1(VALU_DEP_1)
	v_cndmask_b32_e64 v55, 0, v55, s1
	v_add_nc_u32_e32 v54, v54, v55
	s_delay_alu instid0(VALU_DEP_1) | instskip(NEXT) | instid1(VALU_DEP_1)
	v_mov_b32_dpp v55, v54 row_shr:8 row_mask:0xf bank_mask:0xf
	v_cndmask_b32_e64 v55, 0, v55, s3
	s_delay_alu instid0(VALU_DEP_1)
	v_add_nc_u32_e32 v54, v54, v55
	ds_store_b32 v53, v54
.LBB2991_91:
	s_or_b32 exec_lo, exec_lo, s6
	v_mov_b32_e32 v53, 0
	s_mov_b32 s0, exec_lo
	s_wait_dscnt 0x0
	s_barrier_signal -1
	s_barrier_wait -1
	v_cmpx_lt_u32_e32 31, v32
; %bb.92:
	v_lshl_add_u32 v52, v52, 2, -4
	ds_load_b32 v53, v52
; %bb.93:
	s_or_b32 exec_lo, exec_lo, s0
	v_sub_co_u32 v52, vcc_lo, v33, 1
	s_wait_dscnt 0x0
	v_add_nc_u32_e32 v50, v53, v50
	s_delay_alu instid0(VALU_DEP_2) | instskip(NEXT) | instid1(VALU_DEP_1)
	v_cmp_gt_i32_e64 s0, 0, v52
	v_cndmask_b32_e64 v33, v52, v33, s0
	v_cmp_lt_u32_e64 s0, 0xff, v32
	s_delay_alu instid0(VALU_DEP_2) | instskip(SKIP_4) | instid1(VALU_DEP_2)
	v_lshlrev_b32_e32 v33, 2, v33
	ds_bpermute_b32 v33, v33, v50
	s_wait_dscnt 0x0
	v_cndmask_b32_e32 v33, v33, v53, vcc_lo
	v_cmp_gt_u32_e32 vcc_lo, 0x100, v32
	v_cndmask_b32_e64 v33, v33, 0, s2
	s_delay_alu instid0(VALU_DEP_1) | instskip(NEXT) | instid1(VALU_DEP_1)
	v_add_nc_u32_e32 v24, v33, v24
	v_add_nc_u32_e32 v25, v24, v25
	s_delay_alu instid0(VALU_DEP_1) | instskip(NEXT) | instid1(VALU_DEP_1)
	v_add_nc_u32_e32 v22, v25, v22
	v_add_nc_u32_e32 v23, v22, v23
	;; [unrolled: 3-line block ×4, first 2 shown]
	ds_store_2addr_b32 v26, v33, v24 offset0:16 offset1:17
	ds_store_2addr_b32 v26, v25, v22 offset0:18 offset1:19
	;; [unrolled: 1-line block ×4, first 2 shown]
	ds_store_b32 v26, v1 offset:96
	s_wait_dscnt 0x0
	s_barrier_signal -1
	s_barrier_wait -1
	ds_load_b32 v50, v27 offset:64
	ds_load_b32 v21, v28 offset:64
	;; [unrolled: 1-line block ×8, first 2 shown]
	v_mov_b64_e32 v[0:1], 0
                                        ; implicit-def: $vgpr20
	s_and_saveexec_b32 s2, vcc_lo
	s_cbranch_execz .LBB2991_97
; %bb.94:
	v_mul_u32_u24_e32 v0, 0x44, v32
	v_dual_mov_b32 v1, 0x1000 :: v_dual_add_nc_u32 v20, 1, v32
	s_mov_b32 s3, exec_lo
	ds_load_b32 v0, v0 offset:64
	v_cmpx_ne_u32_e32 0x100, v20
; %bb.95:
	v_mul_u32_u24_e32 v1, 0x44, v20
	ds_load_b32 v1, v1 offset:64
; %bb.96:
	s_or_b32 exec_lo, exec_lo, s3
	s_wait_dscnt 0x0
	v_dual_mov_b32 v1, 0 :: v_dual_sub_nc_u32 v20, v1, v0
.LBB2991_97:
	s_or_b32 exec_lo, exec_lo, s2
	v_mov_b32_e32 v23, 0
	s_wait_dscnt 0x0
	s_barrier_signal -1
	s_barrier_wait -1
	s_and_saveexec_b32 s1, vcc_lo
	s_cbranch_execz .LBB2991_107
; %bb.98:
	v_lshl_add_u32 v22, s19, 8, v32
	v_dual_mov_b32 v26, 0 :: v_dual_bitop2_b32 v27, 2.0, v20 bitop3:0x54
	s_mov_b32 s2, 0
	s_mov_b32 s3, s19
	s_delay_alu instid0(VALU_DEP_2)
	v_lshl_add_u64 v[24:25], v[22:23], 2, s[20:21]
	global_store_b32 v22, v27, s[20:21] scale_offset scope:SCOPE_DEV
                                        ; implicit-def: $sgpr4
	s_branch .LBB2991_101
.LBB2991_99:                            ;   in Loop: Header=BB2991_101 Depth=1
	s_or_b32 exec_lo, exec_lo, s6
.LBB2991_100:                           ;   in Loop: Header=BB2991_101 Depth=1
	s_delay_alu instid0(SALU_CYCLE_1) | instskip(SKIP_2) | instid1(VALU_DEP_2)
	s_or_b32 exec_lo, exec_lo, s4
	v_and_b32_e32 v22, 0x3fffffff, v27
	v_cmp_gt_i32_e64 s4, -2.0, v27
	v_add_nc_u32_e32 v26, v22, v26
	s_and_b32 s6, exec_lo, s4
	s_delay_alu instid0(SALU_CYCLE_1) | instskip(NEXT) | instid1(SALU_CYCLE_1)
	s_or_b32 s2, s6, s2
	s_and_not1_b32 exec_lo, exec_lo, s2
	s_cbranch_execz .LBB2991_106
.LBB2991_101:                           ; =>This Loop Header: Depth=1
                                        ;     Child Loop BB2991_104 Depth 2
	s_or_b32 s4, s4, exec_lo
	s_cmp_eq_u32 s3, 0
	s_cbranch_scc1 .LBB2991_105
; %bb.102:                              ;   in Loop: Header=BB2991_101 Depth=1
	s_add_co_i32 s3, s3, -1
	s_mov_b32 s4, exec_lo
	s_wait_xcnt 0x0
	v_lshl_or_b32 v22, s3, 8, v32
	global_load_b32 v27, v22, s[20:21] scale_offset scope:SCOPE_DEV
	s_wait_loadcnt 0x0
	v_cmpx_gt_u32_e32 2.0, v27
	s_cbranch_execz .LBB2991_100
; %bb.103:                              ;   in Loop: Header=BB2991_101 Depth=1
	v_lshl_add_u64 v[28:29], v[22:23], 2, s[20:21]
	s_mov_b32 s6, 0
.LBB2991_104:                           ;   Parent Loop BB2991_101 Depth=1
                                        ; =>  This Inner Loop Header: Depth=2
	global_load_b32 v27, v[28:29], off scope:SCOPE_DEV
	s_wait_loadcnt 0x0
	v_cmp_lt_u32_e32 vcc_lo, 0x3fffffff, v27
	s_or_b32 s6, vcc_lo, s6
	s_wait_xcnt 0x0
	s_and_not1_b32 exec_lo, exec_lo, s6
	s_cbranch_execnz .LBB2991_104
	s_branch .LBB2991_99
.LBB2991_105:                           ;   in Loop: Header=BB2991_101 Depth=1
                                        ; implicit-def: $sgpr3
	s_and_b32 s6, exec_lo, s4
	s_delay_alu instid0(SALU_CYCLE_1)
	s_or_b32 s2, s6, s2
	s_wait_xcnt 0x0
	s_and_not1_b32 exec_lo, exec_lo, s2
	s_cbranch_execnz .LBB2991_101
.LBB2991_106:
	s_or_b32 exec_lo, exec_lo, s2
	v_dual_mov_b32 v27, 0 :: v_dual_add_nc_u32 v22, v26, v20
	s_delay_alu instid0(VALU_DEP_1) | instskip(SKIP_4) | instid1(VALU_DEP_1)
	v_or_b32_e32 v22, 0x80000000, v22
	global_store_b32 v[24:25], v22, off scope:SCOPE_DEV
	global_load_b64 v[22:23], v32, s[8:9] scale_offset
	v_sub_nc_u64_e32 v[24:25], v[26:27], v[0:1]
	s_wait_loadcnt 0x0
	v_add_nc_u64_e32 v[22:23], v[24:25], v[22:23]
	ds_store_b64 v2, v[22:23]
.LBB2991_107:
	s_wait_xcnt 0x0
	s_or_b32 exec_lo, exec_lo, s1
	v_dual_mov_b32 v3, 0 :: v_dual_add_nc_u32 v24, v50, v3
	v_add3_u32 v25, v48, v51, v47
	v_add3_u32 v26, v45, v49, v44
	;; [unrolled: 1-line block ×4, first 2 shown]
	v_add_nc_u64_e32 v[22:23], s[14:15], v[2:3]
	v_add3_u32 v29, v37, v40, v36
	v_add3_u32 v3, v35, v33, v34
	;; [unrolled: 1-line block ×3, first 2 shown]
	s_mov_b32 s2, -1
	s_mov_b32 s1, 0
.LBB2991_108:                           ; =>This Inner Loop Header: Depth=1
	s_wait_xcnt 0x3
	v_add_min_u32_e64 v30, v24, s1, 0x800
	v_add_min_u32_e64 v31, v21, s1, 0x800
	;; [unrolled: 1-line block ×5, first 2 shown]
	s_wait_xcnt 0x2
	v_add_min_u32_e64 v36, v27, s1, 0x800
	v_add_min_u32_e64 v37, v26, s1, 0x800
	s_wait_xcnt 0x1
	v_add_min_u32_e64 v38, v25, s1, 0x800
	v_dual_lshlrev_b32 v30, 3, v30 :: v_dual_lshlrev_b32 v31, 3, v31
	v_dual_lshlrev_b32 v33, 3, v33 :: v_dual_lshlrev_b32 v34, 3, v34
	;; [unrolled: 1-line block ×3, first 2 shown]
	s_delay_alu instid0(VALU_DEP_4)
	v_dual_lshlrev_b32 v37, 3, v37 :: v_dual_lshlrev_b32 v38, 3, v38
	ds_store_b64 v30, v[4:5] offset:2048
	ds_store_b64 v31, v[6:7] offset:2048
	;; [unrolled: 1-line block ×8, first 2 shown]
	s_wait_storecnt_dscnt 0x0
	s_barrier_signal -1
	s_barrier_wait -1
	ds_load_2addr_stride64_b64 v[34:37], v2 offset0:4 offset1:12
	s_wait_xcnt 0x0
	ds_load_2addr_stride64_b64 v[38:41], v2 offset0:20 offset1:28
	s_addk_co_i32 s1, 0xf800
	s_and_b32 vcc_lo, exec_lo, s2
	s_mov_b32 s2, 0
	s_wait_dscnt 0x1
	v_lshrrev_b64 v[30:31], s16, v[34:35]
	s_wait_dscnt 0x0
	v_lshrrev_b64 v[44:45], s16, v[38:39]
	v_lshrrev_b64 v[42:43], s16, v[36:37]
	;; [unrolled: 1-line block ×3, first 2 shown]
	s_delay_alu instid0(VALU_DEP_3) | instskip(NEXT) | instid1(VALU_DEP_3)
	v_and_b32_e32 v33, s5, v44
	v_and_b32_e32 v31, s5, v42
	s_delay_alu instid0(VALU_DEP_2) | instskip(NEXT) | instid1(VALU_DEP_2)
	v_dual_lshlrev_b32 v33, 3, v33 :: v_dual_bitop2_b32 v42, s5, v46 bitop3:0x40
	v_dual_lshlrev_b32 v43, 3, v31 :: v_dual_bitop2_b32 v30, s5, v30 bitop3:0x40
	s_delay_alu instid0(VALU_DEP_2) | instskip(NEXT) | instid1(VALU_DEP_2)
	v_lshlrev_b32_e32 v46, 3, v42
	v_lshlrev_b32_e32 v30, 3, v30
	ds_load_b64 v[30:31], v30
	ds_load_b64 v[42:43], v43
	;; [unrolled: 1-line block ×4, first 2 shown]
	s_wait_dscnt 0x3
	v_lshl_add_u64 v[30:31], v[30:31], 3, v[22:23]
	s_wait_dscnt 0x2
	v_lshl_add_u64 v[42:43], v[42:43], 3, v[22:23]
	;; [unrolled: 2-line block ×4, first 2 shown]
	v_add_nc_u64_e32 v[22:23], 0x4000, v[22:23]
	s_clause 0x3
	global_store_b64 v[30:31], v[34:35], off
	global_store_b64 v[42:43], v[36:37], off offset:4096
	global_store_b64 v[44:45], v[38:39], off offset:8192
	;; [unrolled: 1-line block ×3, first 2 shown]
	s_wait_storecnt 0x0
	s_barrier_signal -1
	s_barrier_wait -1
	s_cbranch_vccnz .LBB2991_108
; %bb.109:
	s_add_co_i32 s12, s12, -1
	s_delay_alu instid0(SALU_CYCLE_1) | instskip(SKIP_2) | instid1(SALU_CYCLE_1)
	s_cmp_eq_u32 s19, s12
	s_cselect_b32 s1, -1, 0
	s_xor_b32 s0, s0, -1
	s_and_b32 s0, s0, s1
	s_wait_xcnt 0x0
	s_and_saveexec_b32 s1, s0
	s_cbranch_execz .LBB2991_111
; %bb.110:
	ds_load_b64 v[2:3], v2
	v_mov_b32_e32 v21, 0
	s_delay_alu instid0(VALU_DEP_1) | instskip(SKIP_1) | instid1(VALU_DEP_1)
	v_add_nc_u64_e32 v[0:1], v[0:1], v[20:21]
	s_wait_dscnt 0x0
	v_add_nc_u64_e32 v[0:1], v[0:1], v[2:3]
	global_store_b64 v32, v[0:1], s[10:11] scale_offset
.LBB2991_111:
	s_endpgm
	.section	.rodata,"a",@progbits
	.p2align	6, 0x0
	.amdhsa_kernel _ZN7rocprim17ROCPRIM_400000_NS6detail17trampoline_kernelINS0_14default_configENS1_35radix_sort_onesweep_config_selectorImNS0_10empty_typeEEEZZNS1_29radix_sort_onesweep_iterationIS3_Lb0EPKmPmPS5_SB_mNS0_19identity_decomposerENS1_16block_id_wrapperIjLb1EEEEE10hipError_tT1_PNSt15iterator_traitsISG_E10value_typeET2_T3_PNSH_ISM_E10value_typeET4_T5_PSR_SS_PNS1_23onesweep_lookback_stateEbbT6_jjT7_P12ihipStream_tbENKUlT_T0_SG_SL_E_clIS9_SA_SB_SB_EEDaSZ_S10_SG_SL_EUlSZ_E_NS1_11comp_targetILNS1_3genE0ELNS1_11target_archE4294967295ELNS1_3gpuE0ELNS1_3repE0EEENS1_47radix_sort_onesweep_sort_config_static_selectorELNS0_4arch9wavefront6targetE0EEEvSG_
		.amdhsa_group_segment_fixed_size 18504
		.amdhsa_private_segment_fixed_size 0
		.amdhsa_kernarg_size 344
		.amdhsa_user_sgpr_count 2
		.amdhsa_user_sgpr_dispatch_ptr 0
		.amdhsa_user_sgpr_queue_ptr 0
		.amdhsa_user_sgpr_kernarg_segment_ptr 1
		.amdhsa_user_sgpr_dispatch_id 0
		.amdhsa_user_sgpr_kernarg_preload_length 0
		.amdhsa_user_sgpr_kernarg_preload_offset 0
		.amdhsa_user_sgpr_private_segment_size 0
		.amdhsa_wavefront_size32 1
		.amdhsa_uses_dynamic_stack 0
		.amdhsa_enable_private_segment 0
		.amdhsa_system_sgpr_workgroup_id_x 1
		.amdhsa_system_sgpr_workgroup_id_y 0
		.amdhsa_system_sgpr_workgroup_id_z 0
		.amdhsa_system_sgpr_workgroup_info 0
		.amdhsa_system_vgpr_workitem_id 2
		.amdhsa_next_free_vgpr 57
		.amdhsa_next_free_sgpr 28
		.amdhsa_named_barrier_count 0
		.amdhsa_reserve_vcc 1
		.amdhsa_float_round_mode_32 0
		.amdhsa_float_round_mode_16_64 0
		.amdhsa_float_denorm_mode_32 3
		.amdhsa_float_denorm_mode_16_64 3
		.amdhsa_fp16_overflow 0
		.amdhsa_memory_ordered 1
		.amdhsa_forward_progress 1
		.amdhsa_inst_pref_size 88
		.amdhsa_round_robin_scheduling 0
		.amdhsa_exception_fp_ieee_invalid_op 0
		.amdhsa_exception_fp_denorm_src 0
		.amdhsa_exception_fp_ieee_div_zero 0
		.amdhsa_exception_fp_ieee_overflow 0
		.amdhsa_exception_fp_ieee_underflow 0
		.amdhsa_exception_fp_ieee_inexact 0
		.amdhsa_exception_int_div_zero 0
	.end_amdhsa_kernel
	.section	.text._ZN7rocprim17ROCPRIM_400000_NS6detail17trampoline_kernelINS0_14default_configENS1_35radix_sort_onesweep_config_selectorImNS0_10empty_typeEEEZZNS1_29radix_sort_onesweep_iterationIS3_Lb0EPKmPmPS5_SB_mNS0_19identity_decomposerENS1_16block_id_wrapperIjLb1EEEEE10hipError_tT1_PNSt15iterator_traitsISG_E10value_typeET2_T3_PNSH_ISM_E10value_typeET4_T5_PSR_SS_PNS1_23onesweep_lookback_stateEbbT6_jjT7_P12ihipStream_tbENKUlT_T0_SG_SL_E_clIS9_SA_SB_SB_EEDaSZ_S10_SG_SL_EUlSZ_E_NS1_11comp_targetILNS1_3genE0ELNS1_11target_archE4294967295ELNS1_3gpuE0ELNS1_3repE0EEENS1_47radix_sort_onesweep_sort_config_static_selectorELNS0_4arch9wavefront6targetE0EEEvSG_,"axG",@progbits,_ZN7rocprim17ROCPRIM_400000_NS6detail17trampoline_kernelINS0_14default_configENS1_35radix_sort_onesweep_config_selectorImNS0_10empty_typeEEEZZNS1_29radix_sort_onesweep_iterationIS3_Lb0EPKmPmPS5_SB_mNS0_19identity_decomposerENS1_16block_id_wrapperIjLb1EEEEE10hipError_tT1_PNSt15iterator_traitsISG_E10value_typeET2_T3_PNSH_ISM_E10value_typeET4_T5_PSR_SS_PNS1_23onesweep_lookback_stateEbbT6_jjT7_P12ihipStream_tbENKUlT_T0_SG_SL_E_clIS9_SA_SB_SB_EEDaSZ_S10_SG_SL_EUlSZ_E_NS1_11comp_targetILNS1_3genE0ELNS1_11target_archE4294967295ELNS1_3gpuE0ELNS1_3repE0EEENS1_47radix_sort_onesweep_sort_config_static_selectorELNS0_4arch9wavefront6targetE0EEEvSG_,comdat
.Lfunc_end2991:
	.size	_ZN7rocprim17ROCPRIM_400000_NS6detail17trampoline_kernelINS0_14default_configENS1_35radix_sort_onesweep_config_selectorImNS0_10empty_typeEEEZZNS1_29radix_sort_onesweep_iterationIS3_Lb0EPKmPmPS5_SB_mNS0_19identity_decomposerENS1_16block_id_wrapperIjLb1EEEEE10hipError_tT1_PNSt15iterator_traitsISG_E10value_typeET2_T3_PNSH_ISM_E10value_typeET4_T5_PSR_SS_PNS1_23onesweep_lookback_stateEbbT6_jjT7_P12ihipStream_tbENKUlT_T0_SG_SL_E_clIS9_SA_SB_SB_EEDaSZ_S10_SG_SL_EUlSZ_E_NS1_11comp_targetILNS1_3genE0ELNS1_11target_archE4294967295ELNS1_3gpuE0ELNS1_3repE0EEENS1_47radix_sort_onesweep_sort_config_static_selectorELNS0_4arch9wavefront6targetE0EEEvSG_, .Lfunc_end2991-_ZN7rocprim17ROCPRIM_400000_NS6detail17trampoline_kernelINS0_14default_configENS1_35radix_sort_onesweep_config_selectorImNS0_10empty_typeEEEZZNS1_29radix_sort_onesweep_iterationIS3_Lb0EPKmPmPS5_SB_mNS0_19identity_decomposerENS1_16block_id_wrapperIjLb1EEEEE10hipError_tT1_PNSt15iterator_traitsISG_E10value_typeET2_T3_PNSH_ISM_E10value_typeET4_T5_PSR_SS_PNS1_23onesweep_lookback_stateEbbT6_jjT7_P12ihipStream_tbENKUlT_T0_SG_SL_E_clIS9_SA_SB_SB_EEDaSZ_S10_SG_SL_EUlSZ_E_NS1_11comp_targetILNS1_3genE0ELNS1_11target_archE4294967295ELNS1_3gpuE0ELNS1_3repE0EEENS1_47radix_sort_onesweep_sort_config_static_selectorELNS0_4arch9wavefront6targetE0EEEvSG_
                                        ; -- End function
	.set _ZN7rocprim17ROCPRIM_400000_NS6detail17trampoline_kernelINS0_14default_configENS1_35radix_sort_onesweep_config_selectorImNS0_10empty_typeEEEZZNS1_29radix_sort_onesweep_iterationIS3_Lb0EPKmPmPS5_SB_mNS0_19identity_decomposerENS1_16block_id_wrapperIjLb1EEEEE10hipError_tT1_PNSt15iterator_traitsISG_E10value_typeET2_T3_PNSH_ISM_E10value_typeET4_T5_PSR_SS_PNS1_23onesweep_lookback_stateEbbT6_jjT7_P12ihipStream_tbENKUlT_T0_SG_SL_E_clIS9_SA_SB_SB_EEDaSZ_S10_SG_SL_EUlSZ_E_NS1_11comp_targetILNS1_3genE0ELNS1_11target_archE4294967295ELNS1_3gpuE0ELNS1_3repE0EEENS1_47radix_sort_onesweep_sort_config_static_selectorELNS0_4arch9wavefront6targetE0EEEvSG_.num_vgpr, 57
	.set _ZN7rocprim17ROCPRIM_400000_NS6detail17trampoline_kernelINS0_14default_configENS1_35radix_sort_onesweep_config_selectorImNS0_10empty_typeEEEZZNS1_29radix_sort_onesweep_iterationIS3_Lb0EPKmPmPS5_SB_mNS0_19identity_decomposerENS1_16block_id_wrapperIjLb1EEEEE10hipError_tT1_PNSt15iterator_traitsISG_E10value_typeET2_T3_PNSH_ISM_E10value_typeET4_T5_PSR_SS_PNS1_23onesweep_lookback_stateEbbT6_jjT7_P12ihipStream_tbENKUlT_T0_SG_SL_E_clIS9_SA_SB_SB_EEDaSZ_S10_SG_SL_EUlSZ_E_NS1_11comp_targetILNS1_3genE0ELNS1_11target_archE4294967295ELNS1_3gpuE0ELNS1_3repE0EEENS1_47radix_sort_onesweep_sort_config_static_selectorELNS0_4arch9wavefront6targetE0EEEvSG_.num_agpr, 0
	.set _ZN7rocprim17ROCPRIM_400000_NS6detail17trampoline_kernelINS0_14default_configENS1_35radix_sort_onesweep_config_selectorImNS0_10empty_typeEEEZZNS1_29radix_sort_onesweep_iterationIS3_Lb0EPKmPmPS5_SB_mNS0_19identity_decomposerENS1_16block_id_wrapperIjLb1EEEEE10hipError_tT1_PNSt15iterator_traitsISG_E10value_typeET2_T3_PNSH_ISM_E10value_typeET4_T5_PSR_SS_PNS1_23onesweep_lookback_stateEbbT6_jjT7_P12ihipStream_tbENKUlT_T0_SG_SL_E_clIS9_SA_SB_SB_EEDaSZ_S10_SG_SL_EUlSZ_E_NS1_11comp_targetILNS1_3genE0ELNS1_11target_archE4294967295ELNS1_3gpuE0ELNS1_3repE0EEENS1_47radix_sort_onesweep_sort_config_static_selectorELNS0_4arch9wavefront6targetE0EEEvSG_.numbered_sgpr, 28
	.set _ZN7rocprim17ROCPRIM_400000_NS6detail17trampoline_kernelINS0_14default_configENS1_35radix_sort_onesweep_config_selectorImNS0_10empty_typeEEEZZNS1_29radix_sort_onesweep_iterationIS3_Lb0EPKmPmPS5_SB_mNS0_19identity_decomposerENS1_16block_id_wrapperIjLb1EEEEE10hipError_tT1_PNSt15iterator_traitsISG_E10value_typeET2_T3_PNSH_ISM_E10value_typeET4_T5_PSR_SS_PNS1_23onesweep_lookback_stateEbbT6_jjT7_P12ihipStream_tbENKUlT_T0_SG_SL_E_clIS9_SA_SB_SB_EEDaSZ_S10_SG_SL_EUlSZ_E_NS1_11comp_targetILNS1_3genE0ELNS1_11target_archE4294967295ELNS1_3gpuE0ELNS1_3repE0EEENS1_47radix_sort_onesweep_sort_config_static_selectorELNS0_4arch9wavefront6targetE0EEEvSG_.num_named_barrier, 0
	.set _ZN7rocprim17ROCPRIM_400000_NS6detail17trampoline_kernelINS0_14default_configENS1_35radix_sort_onesweep_config_selectorImNS0_10empty_typeEEEZZNS1_29radix_sort_onesweep_iterationIS3_Lb0EPKmPmPS5_SB_mNS0_19identity_decomposerENS1_16block_id_wrapperIjLb1EEEEE10hipError_tT1_PNSt15iterator_traitsISG_E10value_typeET2_T3_PNSH_ISM_E10value_typeET4_T5_PSR_SS_PNS1_23onesweep_lookback_stateEbbT6_jjT7_P12ihipStream_tbENKUlT_T0_SG_SL_E_clIS9_SA_SB_SB_EEDaSZ_S10_SG_SL_EUlSZ_E_NS1_11comp_targetILNS1_3genE0ELNS1_11target_archE4294967295ELNS1_3gpuE0ELNS1_3repE0EEENS1_47radix_sort_onesweep_sort_config_static_selectorELNS0_4arch9wavefront6targetE0EEEvSG_.private_seg_size, 0
	.set _ZN7rocprim17ROCPRIM_400000_NS6detail17trampoline_kernelINS0_14default_configENS1_35radix_sort_onesweep_config_selectorImNS0_10empty_typeEEEZZNS1_29radix_sort_onesweep_iterationIS3_Lb0EPKmPmPS5_SB_mNS0_19identity_decomposerENS1_16block_id_wrapperIjLb1EEEEE10hipError_tT1_PNSt15iterator_traitsISG_E10value_typeET2_T3_PNSH_ISM_E10value_typeET4_T5_PSR_SS_PNS1_23onesweep_lookback_stateEbbT6_jjT7_P12ihipStream_tbENKUlT_T0_SG_SL_E_clIS9_SA_SB_SB_EEDaSZ_S10_SG_SL_EUlSZ_E_NS1_11comp_targetILNS1_3genE0ELNS1_11target_archE4294967295ELNS1_3gpuE0ELNS1_3repE0EEENS1_47radix_sort_onesweep_sort_config_static_selectorELNS0_4arch9wavefront6targetE0EEEvSG_.uses_vcc, 1
	.set _ZN7rocprim17ROCPRIM_400000_NS6detail17trampoline_kernelINS0_14default_configENS1_35radix_sort_onesweep_config_selectorImNS0_10empty_typeEEEZZNS1_29radix_sort_onesweep_iterationIS3_Lb0EPKmPmPS5_SB_mNS0_19identity_decomposerENS1_16block_id_wrapperIjLb1EEEEE10hipError_tT1_PNSt15iterator_traitsISG_E10value_typeET2_T3_PNSH_ISM_E10value_typeET4_T5_PSR_SS_PNS1_23onesweep_lookback_stateEbbT6_jjT7_P12ihipStream_tbENKUlT_T0_SG_SL_E_clIS9_SA_SB_SB_EEDaSZ_S10_SG_SL_EUlSZ_E_NS1_11comp_targetILNS1_3genE0ELNS1_11target_archE4294967295ELNS1_3gpuE0ELNS1_3repE0EEENS1_47radix_sort_onesweep_sort_config_static_selectorELNS0_4arch9wavefront6targetE0EEEvSG_.uses_flat_scratch, 0
	.set _ZN7rocprim17ROCPRIM_400000_NS6detail17trampoline_kernelINS0_14default_configENS1_35radix_sort_onesweep_config_selectorImNS0_10empty_typeEEEZZNS1_29radix_sort_onesweep_iterationIS3_Lb0EPKmPmPS5_SB_mNS0_19identity_decomposerENS1_16block_id_wrapperIjLb1EEEEE10hipError_tT1_PNSt15iterator_traitsISG_E10value_typeET2_T3_PNSH_ISM_E10value_typeET4_T5_PSR_SS_PNS1_23onesweep_lookback_stateEbbT6_jjT7_P12ihipStream_tbENKUlT_T0_SG_SL_E_clIS9_SA_SB_SB_EEDaSZ_S10_SG_SL_EUlSZ_E_NS1_11comp_targetILNS1_3genE0ELNS1_11target_archE4294967295ELNS1_3gpuE0ELNS1_3repE0EEENS1_47radix_sort_onesweep_sort_config_static_selectorELNS0_4arch9wavefront6targetE0EEEvSG_.has_dyn_sized_stack, 0
	.set _ZN7rocprim17ROCPRIM_400000_NS6detail17trampoline_kernelINS0_14default_configENS1_35radix_sort_onesweep_config_selectorImNS0_10empty_typeEEEZZNS1_29radix_sort_onesweep_iterationIS3_Lb0EPKmPmPS5_SB_mNS0_19identity_decomposerENS1_16block_id_wrapperIjLb1EEEEE10hipError_tT1_PNSt15iterator_traitsISG_E10value_typeET2_T3_PNSH_ISM_E10value_typeET4_T5_PSR_SS_PNS1_23onesweep_lookback_stateEbbT6_jjT7_P12ihipStream_tbENKUlT_T0_SG_SL_E_clIS9_SA_SB_SB_EEDaSZ_S10_SG_SL_EUlSZ_E_NS1_11comp_targetILNS1_3genE0ELNS1_11target_archE4294967295ELNS1_3gpuE0ELNS1_3repE0EEENS1_47radix_sort_onesweep_sort_config_static_selectorELNS0_4arch9wavefront6targetE0EEEvSG_.has_recursion, 0
	.set _ZN7rocprim17ROCPRIM_400000_NS6detail17trampoline_kernelINS0_14default_configENS1_35radix_sort_onesweep_config_selectorImNS0_10empty_typeEEEZZNS1_29radix_sort_onesweep_iterationIS3_Lb0EPKmPmPS5_SB_mNS0_19identity_decomposerENS1_16block_id_wrapperIjLb1EEEEE10hipError_tT1_PNSt15iterator_traitsISG_E10value_typeET2_T3_PNSH_ISM_E10value_typeET4_T5_PSR_SS_PNS1_23onesweep_lookback_stateEbbT6_jjT7_P12ihipStream_tbENKUlT_T0_SG_SL_E_clIS9_SA_SB_SB_EEDaSZ_S10_SG_SL_EUlSZ_E_NS1_11comp_targetILNS1_3genE0ELNS1_11target_archE4294967295ELNS1_3gpuE0ELNS1_3repE0EEENS1_47radix_sort_onesweep_sort_config_static_selectorELNS0_4arch9wavefront6targetE0EEEvSG_.has_indirect_call, 0
	.section	.AMDGPU.csdata,"",@progbits
; Kernel info:
; codeLenInByte = 11208
; TotalNumSgprs: 30
; NumVgprs: 57
; ScratchSize: 0
; MemoryBound: 0
; FloatMode: 240
; IeeeMode: 1
; LDSByteSize: 18504 bytes/workgroup (compile time only)
; SGPRBlocks: 0
; VGPRBlocks: 3
; NumSGPRsForWavesPerEU: 30
; NumVGPRsForWavesPerEU: 57
; NamedBarCnt: 0
; Occupancy: 16
; WaveLimiterHint : 1
; COMPUTE_PGM_RSRC2:SCRATCH_EN: 0
; COMPUTE_PGM_RSRC2:USER_SGPR: 2
; COMPUTE_PGM_RSRC2:TRAP_HANDLER: 0
; COMPUTE_PGM_RSRC2:TGID_X_EN: 1
; COMPUTE_PGM_RSRC2:TGID_Y_EN: 0
; COMPUTE_PGM_RSRC2:TGID_Z_EN: 0
; COMPUTE_PGM_RSRC2:TIDIG_COMP_CNT: 2
	.section	.text._ZN7rocprim17ROCPRIM_400000_NS6detail17trampoline_kernelINS0_14default_configENS1_35radix_sort_onesweep_config_selectorImNS0_10empty_typeEEEZZNS1_29radix_sort_onesweep_iterationIS3_Lb0EPKmPmPS5_SB_mNS0_19identity_decomposerENS1_16block_id_wrapperIjLb1EEEEE10hipError_tT1_PNSt15iterator_traitsISG_E10value_typeET2_T3_PNSH_ISM_E10value_typeET4_T5_PSR_SS_PNS1_23onesweep_lookback_stateEbbT6_jjT7_P12ihipStream_tbENKUlT_T0_SG_SL_E_clIS9_SA_SB_SB_EEDaSZ_S10_SG_SL_EUlSZ_E_NS1_11comp_targetILNS1_3genE6ELNS1_11target_archE950ELNS1_3gpuE13ELNS1_3repE0EEENS1_47radix_sort_onesweep_sort_config_static_selectorELNS0_4arch9wavefront6targetE0EEEvSG_,"axG",@progbits,_ZN7rocprim17ROCPRIM_400000_NS6detail17trampoline_kernelINS0_14default_configENS1_35radix_sort_onesweep_config_selectorImNS0_10empty_typeEEEZZNS1_29radix_sort_onesweep_iterationIS3_Lb0EPKmPmPS5_SB_mNS0_19identity_decomposerENS1_16block_id_wrapperIjLb1EEEEE10hipError_tT1_PNSt15iterator_traitsISG_E10value_typeET2_T3_PNSH_ISM_E10value_typeET4_T5_PSR_SS_PNS1_23onesweep_lookback_stateEbbT6_jjT7_P12ihipStream_tbENKUlT_T0_SG_SL_E_clIS9_SA_SB_SB_EEDaSZ_S10_SG_SL_EUlSZ_E_NS1_11comp_targetILNS1_3genE6ELNS1_11target_archE950ELNS1_3gpuE13ELNS1_3repE0EEENS1_47radix_sort_onesweep_sort_config_static_selectorELNS0_4arch9wavefront6targetE0EEEvSG_,comdat
	.protected	_ZN7rocprim17ROCPRIM_400000_NS6detail17trampoline_kernelINS0_14default_configENS1_35radix_sort_onesweep_config_selectorImNS0_10empty_typeEEEZZNS1_29radix_sort_onesweep_iterationIS3_Lb0EPKmPmPS5_SB_mNS0_19identity_decomposerENS1_16block_id_wrapperIjLb1EEEEE10hipError_tT1_PNSt15iterator_traitsISG_E10value_typeET2_T3_PNSH_ISM_E10value_typeET4_T5_PSR_SS_PNS1_23onesweep_lookback_stateEbbT6_jjT7_P12ihipStream_tbENKUlT_T0_SG_SL_E_clIS9_SA_SB_SB_EEDaSZ_S10_SG_SL_EUlSZ_E_NS1_11comp_targetILNS1_3genE6ELNS1_11target_archE950ELNS1_3gpuE13ELNS1_3repE0EEENS1_47radix_sort_onesweep_sort_config_static_selectorELNS0_4arch9wavefront6targetE0EEEvSG_ ; -- Begin function _ZN7rocprim17ROCPRIM_400000_NS6detail17trampoline_kernelINS0_14default_configENS1_35radix_sort_onesweep_config_selectorImNS0_10empty_typeEEEZZNS1_29radix_sort_onesweep_iterationIS3_Lb0EPKmPmPS5_SB_mNS0_19identity_decomposerENS1_16block_id_wrapperIjLb1EEEEE10hipError_tT1_PNSt15iterator_traitsISG_E10value_typeET2_T3_PNSH_ISM_E10value_typeET4_T5_PSR_SS_PNS1_23onesweep_lookback_stateEbbT6_jjT7_P12ihipStream_tbENKUlT_T0_SG_SL_E_clIS9_SA_SB_SB_EEDaSZ_S10_SG_SL_EUlSZ_E_NS1_11comp_targetILNS1_3genE6ELNS1_11target_archE950ELNS1_3gpuE13ELNS1_3repE0EEENS1_47radix_sort_onesweep_sort_config_static_selectorELNS0_4arch9wavefront6targetE0EEEvSG_
	.globl	_ZN7rocprim17ROCPRIM_400000_NS6detail17trampoline_kernelINS0_14default_configENS1_35radix_sort_onesweep_config_selectorImNS0_10empty_typeEEEZZNS1_29radix_sort_onesweep_iterationIS3_Lb0EPKmPmPS5_SB_mNS0_19identity_decomposerENS1_16block_id_wrapperIjLb1EEEEE10hipError_tT1_PNSt15iterator_traitsISG_E10value_typeET2_T3_PNSH_ISM_E10value_typeET4_T5_PSR_SS_PNS1_23onesweep_lookback_stateEbbT6_jjT7_P12ihipStream_tbENKUlT_T0_SG_SL_E_clIS9_SA_SB_SB_EEDaSZ_S10_SG_SL_EUlSZ_E_NS1_11comp_targetILNS1_3genE6ELNS1_11target_archE950ELNS1_3gpuE13ELNS1_3repE0EEENS1_47radix_sort_onesweep_sort_config_static_selectorELNS0_4arch9wavefront6targetE0EEEvSG_
	.p2align	8
	.type	_ZN7rocprim17ROCPRIM_400000_NS6detail17trampoline_kernelINS0_14default_configENS1_35radix_sort_onesweep_config_selectorImNS0_10empty_typeEEEZZNS1_29radix_sort_onesweep_iterationIS3_Lb0EPKmPmPS5_SB_mNS0_19identity_decomposerENS1_16block_id_wrapperIjLb1EEEEE10hipError_tT1_PNSt15iterator_traitsISG_E10value_typeET2_T3_PNSH_ISM_E10value_typeET4_T5_PSR_SS_PNS1_23onesweep_lookback_stateEbbT6_jjT7_P12ihipStream_tbENKUlT_T0_SG_SL_E_clIS9_SA_SB_SB_EEDaSZ_S10_SG_SL_EUlSZ_E_NS1_11comp_targetILNS1_3genE6ELNS1_11target_archE950ELNS1_3gpuE13ELNS1_3repE0EEENS1_47radix_sort_onesweep_sort_config_static_selectorELNS0_4arch9wavefront6targetE0EEEvSG_,@function
_ZN7rocprim17ROCPRIM_400000_NS6detail17trampoline_kernelINS0_14default_configENS1_35radix_sort_onesweep_config_selectorImNS0_10empty_typeEEEZZNS1_29radix_sort_onesweep_iterationIS3_Lb0EPKmPmPS5_SB_mNS0_19identity_decomposerENS1_16block_id_wrapperIjLb1EEEEE10hipError_tT1_PNSt15iterator_traitsISG_E10value_typeET2_T3_PNSH_ISM_E10value_typeET4_T5_PSR_SS_PNS1_23onesweep_lookback_stateEbbT6_jjT7_P12ihipStream_tbENKUlT_T0_SG_SL_E_clIS9_SA_SB_SB_EEDaSZ_S10_SG_SL_EUlSZ_E_NS1_11comp_targetILNS1_3genE6ELNS1_11target_archE950ELNS1_3gpuE13ELNS1_3repE0EEENS1_47radix_sort_onesweep_sort_config_static_selectorELNS0_4arch9wavefront6targetE0EEEvSG_: ; @_ZN7rocprim17ROCPRIM_400000_NS6detail17trampoline_kernelINS0_14default_configENS1_35radix_sort_onesweep_config_selectorImNS0_10empty_typeEEEZZNS1_29radix_sort_onesweep_iterationIS3_Lb0EPKmPmPS5_SB_mNS0_19identity_decomposerENS1_16block_id_wrapperIjLb1EEEEE10hipError_tT1_PNSt15iterator_traitsISG_E10value_typeET2_T3_PNSH_ISM_E10value_typeET4_T5_PSR_SS_PNS1_23onesweep_lookback_stateEbbT6_jjT7_P12ihipStream_tbENKUlT_T0_SG_SL_E_clIS9_SA_SB_SB_EEDaSZ_S10_SG_SL_EUlSZ_E_NS1_11comp_targetILNS1_3genE6ELNS1_11target_archE950ELNS1_3gpuE13ELNS1_3repE0EEENS1_47radix_sort_onesweep_sort_config_static_selectorELNS0_4arch9wavefront6targetE0EEEvSG_
; %bb.0:
	.section	.rodata,"a",@progbits
	.p2align	6, 0x0
	.amdhsa_kernel _ZN7rocprim17ROCPRIM_400000_NS6detail17trampoline_kernelINS0_14default_configENS1_35radix_sort_onesweep_config_selectorImNS0_10empty_typeEEEZZNS1_29radix_sort_onesweep_iterationIS3_Lb0EPKmPmPS5_SB_mNS0_19identity_decomposerENS1_16block_id_wrapperIjLb1EEEEE10hipError_tT1_PNSt15iterator_traitsISG_E10value_typeET2_T3_PNSH_ISM_E10value_typeET4_T5_PSR_SS_PNS1_23onesweep_lookback_stateEbbT6_jjT7_P12ihipStream_tbENKUlT_T0_SG_SL_E_clIS9_SA_SB_SB_EEDaSZ_S10_SG_SL_EUlSZ_E_NS1_11comp_targetILNS1_3genE6ELNS1_11target_archE950ELNS1_3gpuE13ELNS1_3repE0EEENS1_47radix_sort_onesweep_sort_config_static_selectorELNS0_4arch9wavefront6targetE0EEEvSG_
		.amdhsa_group_segment_fixed_size 0
		.amdhsa_private_segment_fixed_size 0
		.amdhsa_kernarg_size 88
		.amdhsa_user_sgpr_count 2
		.amdhsa_user_sgpr_dispatch_ptr 0
		.amdhsa_user_sgpr_queue_ptr 0
		.amdhsa_user_sgpr_kernarg_segment_ptr 1
		.amdhsa_user_sgpr_dispatch_id 0
		.amdhsa_user_sgpr_kernarg_preload_length 0
		.amdhsa_user_sgpr_kernarg_preload_offset 0
		.amdhsa_user_sgpr_private_segment_size 0
		.amdhsa_wavefront_size32 1
		.amdhsa_uses_dynamic_stack 0
		.amdhsa_enable_private_segment 0
		.amdhsa_system_sgpr_workgroup_id_x 1
		.amdhsa_system_sgpr_workgroup_id_y 0
		.amdhsa_system_sgpr_workgroup_id_z 0
		.amdhsa_system_sgpr_workgroup_info 0
		.amdhsa_system_vgpr_workitem_id 0
		.amdhsa_next_free_vgpr 1
		.amdhsa_next_free_sgpr 1
		.amdhsa_named_barrier_count 0
		.amdhsa_reserve_vcc 0
		.amdhsa_float_round_mode_32 0
		.amdhsa_float_round_mode_16_64 0
		.amdhsa_float_denorm_mode_32 3
		.amdhsa_float_denorm_mode_16_64 3
		.amdhsa_fp16_overflow 0
		.amdhsa_memory_ordered 1
		.amdhsa_forward_progress 1
		.amdhsa_inst_pref_size 0
		.amdhsa_round_robin_scheduling 0
		.amdhsa_exception_fp_ieee_invalid_op 0
		.amdhsa_exception_fp_denorm_src 0
		.amdhsa_exception_fp_ieee_div_zero 0
		.amdhsa_exception_fp_ieee_overflow 0
		.amdhsa_exception_fp_ieee_underflow 0
		.amdhsa_exception_fp_ieee_inexact 0
		.amdhsa_exception_int_div_zero 0
	.end_amdhsa_kernel
	.section	.text._ZN7rocprim17ROCPRIM_400000_NS6detail17trampoline_kernelINS0_14default_configENS1_35radix_sort_onesweep_config_selectorImNS0_10empty_typeEEEZZNS1_29radix_sort_onesweep_iterationIS3_Lb0EPKmPmPS5_SB_mNS0_19identity_decomposerENS1_16block_id_wrapperIjLb1EEEEE10hipError_tT1_PNSt15iterator_traitsISG_E10value_typeET2_T3_PNSH_ISM_E10value_typeET4_T5_PSR_SS_PNS1_23onesweep_lookback_stateEbbT6_jjT7_P12ihipStream_tbENKUlT_T0_SG_SL_E_clIS9_SA_SB_SB_EEDaSZ_S10_SG_SL_EUlSZ_E_NS1_11comp_targetILNS1_3genE6ELNS1_11target_archE950ELNS1_3gpuE13ELNS1_3repE0EEENS1_47radix_sort_onesweep_sort_config_static_selectorELNS0_4arch9wavefront6targetE0EEEvSG_,"axG",@progbits,_ZN7rocprim17ROCPRIM_400000_NS6detail17trampoline_kernelINS0_14default_configENS1_35radix_sort_onesweep_config_selectorImNS0_10empty_typeEEEZZNS1_29radix_sort_onesweep_iterationIS3_Lb0EPKmPmPS5_SB_mNS0_19identity_decomposerENS1_16block_id_wrapperIjLb1EEEEE10hipError_tT1_PNSt15iterator_traitsISG_E10value_typeET2_T3_PNSH_ISM_E10value_typeET4_T5_PSR_SS_PNS1_23onesweep_lookback_stateEbbT6_jjT7_P12ihipStream_tbENKUlT_T0_SG_SL_E_clIS9_SA_SB_SB_EEDaSZ_S10_SG_SL_EUlSZ_E_NS1_11comp_targetILNS1_3genE6ELNS1_11target_archE950ELNS1_3gpuE13ELNS1_3repE0EEENS1_47radix_sort_onesweep_sort_config_static_selectorELNS0_4arch9wavefront6targetE0EEEvSG_,comdat
.Lfunc_end2992:
	.size	_ZN7rocprim17ROCPRIM_400000_NS6detail17trampoline_kernelINS0_14default_configENS1_35radix_sort_onesweep_config_selectorImNS0_10empty_typeEEEZZNS1_29radix_sort_onesweep_iterationIS3_Lb0EPKmPmPS5_SB_mNS0_19identity_decomposerENS1_16block_id_wrapperIjLb1EEEEE10hipError_tT1_PNSt15iterator_traitsISG_E10value_typeET2_T3_PNSH_ISM_E10value_typeET4_T5_PSR_SS_PNS1_23onesweep_lookback_stateEbbT6_jjT7_P12ihipStream_tbENKUlT_T0_SG_SL_E_clIS9_SA_SB_SB_EEDaSZ_S10_SG_SL_EUlSZ_E_NS1_11comp_targetILNS1_3genE6ELNS1_11target_archE950ELNS1_3gpuE13ELNS1_3repE0EEENS1_47radix_sort_onesweep_sort_config_static_selectorELNS0_4arch9wavefront6targetE0EEEvSG_, .Lfunc_end2992-_ZN7rocprim17ROCPRIM_400000_NS6detail17trampoline_kernelINS0_14default_configENS1_35radix_sort_onesweep_config_selectorImNS0_10empty_typeEEEZZNS1_29radix_sort_onesweep_iterationIS3_Lb0EPKmPmPS5_SB_mNS0_19identity_decomposerENS1_16block_id_wrapperIjLb1EEEEE10hipError_tT1_PNSt15iterator_traitsISG_E10value_typeET2_T3_PNSH_ISM_E10value_typeET4_T5_PSR_SS_PNS1_23onesweep_lookback_stateEbbT6_jjT7_P12ihipStream_tbENKUlT_T0_SG_SL_E_clIS9_SA_SB_SB_EEDaSZ_S10_SG_SL_EUlSZ_E_NS1_11comp_targetILNS1_3genE6ELNS1_11target_archE950ELNS1_3gpuE13ELNS1_3repE0EEENS1_47radix_sort_onesweep_sort_config_static_selectorELNS0_4arch9wavefront6targetE0EEEvSG_
                                        ; -- End function
	.set _ZN7rocprim17ROCPRIM_400000_NS6detail17trampoline_kernelINS0_14default_configENS1_35radix_sort_onesweep_config_selectorImNS0_10empty_typeEEEZZNS1_29radix_sort_onesweep_iterationIS3_Lb0EPKmPmPS5_SB_mNS0_19identity_decomposerENS1_16block_id_wrapperIjLb1EEEEE10hipError_tT1_PNSt15iterator_traitsISG_E10value_typeET2_T3_PNSH_ISM_E10value_typeET4_T5_PSR_SS_PNS1_23onesweep_lookback_stateEbbT6_jjT7_P12ihipStream_tbENKUlT_T0_SG_SL_E_clIS9_SA_SB_SB_EEDaSZ_S10_SG_SL_EUlSZ_E_NS1_11comp_targetILNS1_3genE6ELNS1_11target_archE950ELNS1_3gpuE13ELNS1_3repE0EEENS1_47radix_sort_onesweep_sort_config_static_selectorELNS0_4arch9wavefront6targetE0EEEvSG_.num_vgpr, 0
	.set _ZN7rocprim17ROCPRIM_400000_NS6detail17trampoline_kernelINS0_14default_configENS1_35radix_sort_onesweep_config_selectorImNS0_10empty_typeEEEZZNS1_29radix_sort_onesweep_iterationIS3_Lb0EPKmPmPS5_SB_mNS0_19identity_decomposerENS1_16block_id_wrapperIjLb1EEEEE10hipError_tT1_PNSt15iterator_traitsISG_E10value_typeET2_T3_PNSH_ISM_E10value_typeET4_T5_PSR_SS_PNS1_23onesweep_lookback_stateEbbT6_jjT7_P12ihipStream_tbENKUlT_T0_SG_SL_E_clIS9_SA_SB_SB_EEDaSZ_S10_SG_SL_EUlSZ_E_NS1_11comp_targetILNS1_3genE6ELNS1_11target_archE950ELNS1_3gpuE13ELNS1_3repE0EEENS1_47radix_sort_onesweep_sort_config_static_selectorELNS0_4arch9wavefront6targetE0EEEvSG_.num_agpr, 0
	.set _ZN7rocprim17ROCPRIM_400000_NS6detail17trampoline_kernelINS0_14default_configENS1_35radix_sort_onesweep_config_selectorImNS0_10empty_typeEEEZZNS1_29radix_sort_onesweep_iterationIS3_Lb0EPKmPmPS5_SB_mNS0_19identity_decomposerENS1_16block_id_wrapperIjLb1EEEEE10hipError_tT1_PNSt15iterator_traitsISG_E10value_typeET2_T3_PNSH_ISM_E10value_typeET4_T5_PSR_SS_PNS1_23onesweep_lookback_stateEbbT6_jjT7_P12ihipStream_tbENKUlT_T0_SG_SL_E_clIS9_SA_SB_SB_EEDaSZ_S10_SG_SL_EUlSZ_E_NS1_11comp_targetILNS1_3genE6ELNS1_11target_archE950ELNS1_3gpuE13ELNS1_3repE0EEENS1_47radix_sort_onesweep_sort_config_static_selectorELNS0_4arch9wavefront6targetE0EEEvSG_.numbered_sgpr, 0
	.set _ZN7rocprim17ROCPRIM_400000_NS6detail17trampoline_kernelINS0_14default_configENS1_35radix_sort_onesweep_config_selectorImNS0_10empty_typeEEEZZNS1_29radix_sort_onesweep_iterationIS3_Lb0EPKmPmPS5_SB_mNS0_19identity_decomposerENS1_16block_id_wrapperIjLb1EEEEE10hipError_tT1_PNSt15iterator_traitsISG_E10value_typeET2_T3_PNSH_ISM_E10value_typeET4_T5_PSR_SS_PNS1_23onesweep_lookback_stateEbbT6_jjT7_P12ihipStream_tbENKUlT_T0_SG_SL_E_clIS9_SA_SB_SB_EEDaSZ_S10_SG_SL_EUlSZ_E_NS1_11comp_targetILNS1_3genE6ELNS1_11target_archE950ELNS1_3gpuE13ELNS1_3repE0EEENS1_47radix_sort_onesweep_sort_config_static_selectorELNS0_4arch9wavefront6targetE0EEEvSG_.num_named_barrier, 0
	.set _ZN7rocprim17ROCPRIM_400000_NS6detail17trampoline_kernelINS0_14default_configENS1_35radix_sort_onesweep_config_selectorImNS0_10empty_typeEEEZZNS1_29radix_sort_onesweep_iterationIS3_Lb0EPKmPmPS5_SB_mNS0_19identity_decomposerENS1_16block_id_wrapperIjLb1EEEEE10hipError_tT1_PNSt15iterator_traitsISG_E10value_typeET2_T3_PNSH_ISM_E10value_typeET4_T5_PSR_SS_PNS1_23onesweep_lookback_stateEbbT6_jjT7_P12ihipStream_tbENKUlT_T0_SG_SL_E_clIS9_SA_SB_SB_EEDaSZ_S10_SG_SL_EUlSZ_E_NS1_11comp_targetILNS1_3genE6ELNS1_11target_archE950ELNS1_3gpuE13ELNS1_3repE0EEENS1_47radix_sort_onesweep_sort_config_static_selectorELNS0_4arch9wavefront6targetE0EEEvSG_.private_seg_size, 0
	.set _ZN7rocprim17ROCPRIM_400000_NS6detail17trampoline_kernelINS0_14default_configENS1_35radix_sort_onesweep_config_selectorImNS0_10empty_typeEEEZZNS1_29radix_sort_onesweep_iterationIS3_Lb0EPKmPmPS5_SB_mNS0_19identity_decomposerENS1_16block_id_wrapperIjLb1EEEEE10hipError_tT1_PNSt15iterator_traitsISG_E10value_typeET2_T3_PNSH_ISM_E10value_typeET4_T5_PSR_SS_PNS1_23onesweep_lookback_stateEbbT6_jjT7_P12ihipStream_tbENKUlT_T0_SG_SL_E_clIS9_SA_SB_SB_EEDaSZ_S10_SG_SL_EUlSZ_E_NS1_11comp_targetILNS1_3genE6ELNS1_11target_archE950ELNS1_3gpuE13ELNS1_3repE0EEENS1_47radix_sort_onesweep_sort_config_static_selectorELNS0_4arch9wavefront6targetE0EEEvSG_.uses_vcc, 0
	.set _ZN7rocprim17ROCPRIM_400000_NS6detail17trampoline_kernelINS0_14default_configENS1_35radix_sort_onesweep_config_selectorImNS0_10empty_typeEEEZZNS1_29radix_sort_onesweep_iterationIS3_Lb0EPKmPmPS5_SB_mNS0_19identity_decomposerENS1_16block_id_wrapperIjLb1EEEEE10hipError_tT1_PNSt15iterator_traitsISG_E10value_typeET2_T3_PNSH_ISM_E10value_typeET4_T5_PSR_SS_PNS1_23onesweep_lookback_stateEbbT6_jjT7_P12ihipStream_tbENKUlT_T0_SG_SL_E_clIS9_SA_SB_SB_EEDaSZ_S10_SG_SL_EUlSZ_E_NS1_11comp_targetILNS1_3genE6ELNS1_11target_archE950ELNS1_3gpuE13ELNS1_3repE0EEENS1_47radix_sort_onesweep_sort_config_static_selectorELNS0_4arch9wavefront6targetE0EEEvSG_.uses_flat_scratch, 0
	.set _ZN7rocprim17ROCPRIM_400000_NS6detail17trampoline_kernelINS0_14default_configENS1_35radix_sort_onesweep_config_selectorImNS0_10empty_typeEEEZZNS1_29radix_sort_onesweep_iterationIS3_Lb0EPKmPmPS5_SB_mNS0_19identity_decomposerENS1_16block_id_wrapperIjLb1EEEEE10hipError_tT1_PNSt15iterator_traitsISG_E10value_typeET2_T3_PNSH_ISM_E10value_typeET4_T5_PSR_SS_PNS1_23onesweep_lookback_stateEbbT6_jjT7_P12ihipStream_tbENKUlT_T0_SG_SL_E_clIS9_SA_SB_SB_EEDaSZ_S10_SG_SL_EUlSZ_E_NS1_11comp_targetILNS1_3genE6ELNS1_11target_archE950ELNS1_3gpuE13ELNS1_3repE0EEENS1_47radix_sort_onesweep_sort_config_static_selectorELNS0_4arch9wavefront6targetE0EEEvSG_.has_dyn_sized_stack, 0
	.set _ZN7rocprim17ROCPRIM_400000_NS6detail17trampoline_kernelINS0_14default_configENS1_35radix_sort_onesweep_config_selectorImNS0_10empty_typeEEEZZNS1_29radix_sort_onesweep_iterationIS3_Lb0EPKmPmPS5_SB_mNS0_19identity_decomposerENS1_16block_id_wrapperIjLb1EEEEE10hipError_tT1_PNSt15iterator_traitsISG_E10value_typeET2_T3_PNSH_ISM_E10value_typeET4_T5_PSR_SS_PNS1_23onesweep_lookback_stateEbbT6_jjT7_P12ihipStream_tbENKUlT_T0_SG_SL_E_clIS9_SA_SB_SB_EEDaSZ_S10_SG_SL_EUlSZ_E_NS1_11comp_targetILNS1_3genE6ELNS1_11target_archE950ELNS1_3gpuE13ELNS1_3repE0EEENS1_47radix_sort_onesweep_sort_config_static_selectorELNS0_4arch9wavefront6targetE0EEEvSG_.has_recursion, 0
	.set _ZN7rocprim17ROCPRIM_400000_NS6detail17trampoline_kernelINS0_14default_configENS1_35radix_sort_onesweep_config_selectorImNS0_10empty_typeEEEZZNS1_29radix_sort_onesweep_iterationIS3_Lb0EPKmPmPS5_SB_mNS0_19identity_decomposerENS1_16block_id_wrapperIjLb1EEEEE10hipError_tT1_PNSt15iterator_traitsISG_E10value_typeET2_T3_PNSH_ISM_E10value_typeET4_T5_PSR_SS_PNS1_23onesweep_lookback_stateEbbT6_jjT7_P12ihipStream_tbENKUlT_T0_SG_SL_E_clIS9_SA_SB_SB_EEDaSZ_S10_SG_SL_EUlSZ_E_NS1_11comp_targetILNS1_3genE6ELNS1_11target_archE950ELNS1_3gpuE13ELNS1_3repE0EEENS1_47radix_sort_onesweep_sort_config_static_selectorELNS0_4arch9wavefront6targetE0EEEvSG_.has_indirect_call, 0
	.section	.AMDGPU.csdata,"",@progbits
; Kernel info:
; codeLenInByte = 0
; TotalNumSgprs: 0
; NumVgprs: 0
; ScratchSize: 0
; MemoryBound: 0
; FloatMode: 240
; IeeeMode: 1
; LDSByteSize: 0 bytes/workgroup (compile time only)
; SGPRBlocks: 0
; VGPRBlocks: 0
; NumSGPRsForWavesPerEU: 1
; NumVGPRsForWavesPerEU: 1
; NamedBarCnt: 0
; Occupancy: 16
; WaveLimiterHint : 0
; COMPUTE_PGM_RSRC2:SCRATCH_EN: 0
; COMPUTE_PGM_RSRC2:USER_SGPR: 2
; COMPUTE_PGM_RSRC2:TRAP_HANDLER: 0
; COMPUTE_PGM_RSRC2:TGID_X_EN: 1
; COMPUTE_PGM_RSRC2:TGID_Y_EN: 0
; COMPUTE_PGM_RSRC2:TGID_Z_EN: 0
; COMPUTE_PGM_RSRC2:TIDIG_COMP_CNT: 0
	.section	.text._ZN7rocprim17ROCPRIM_400000_NS6detail17trampoline_kernelINS0_14default_configENS1_35radix_sort_onesweep_config_selectorImNS0_10empty_typeEEEZZNS1_29radix_sort_onesweep_iterationIS3_Lb0EPKmPmPS5_SB_mNS0_19identity_decomposerENS1_16block_id_wrapperIjLb1EEEEE10hipError_tT1_PNSt15iterator_traitsISG_E10value_typeET2_T3_PNSH_ISM_E10value_typeET4_T5_PSR_SS_PNS1_23onesweep_lookback_stateEbbT6_jjT7_P12ihipStream_tbENKUlT_T0_SG_SL_E_clIS9_SA_SB_SB_EEDaSZ_S10_SG_SL_EUlSZ_E_NS1_11comp_targetILNS1_3genE5ELNS1_11target_archE942ELNS1_3gpuE9ELNS1_3repE0EEENS1_47radix_sort_onesweep_sort_config_static_selectorELNS0_4arch9wavefront6targetE0EEEvSG_,"axG",@progbits,_ZN7rocprim17ROCPRIM_400000_NS6detail17trampoline_kernelINS0_14default_configENS1_35radix_sort_onesweep_config_selectorImNS0_10empty_typeEEEZZNS1_29radix_sort_onesweep_iterationIS3_Lb0EPKmPmPS5_SB_mNS0_19identity_decomposerENS1_16block_id_wrapperIjLb1EEEEE10hipError_tT1_PNSt15iterator_traitsISG_E10value_typeET2_T3_PNSH_ISM_E10value_typeET4_T5_PSR_SS_PNS1_23onesweep_lookback_stateEbbT6_jjT7_P12ihipStream_tbENKUlT_T0_SG_SL_E_clIS9_SA_SB_SB_EEDaSZ_S10_SG_SL_EUlSZ_E_NS1_11comp_targetILNS1_3genE5ELNS1_11target_archE942ELNS1_3gpuE9ELNS1_3repE0EEENS1_47radix_sort_onesweep_sort_config_static_selectorELNS0_4arch9wavefront6targetE0EEEvSG_,comdat
	.protected	_ZN7rocprim17ROCPRIM_400000_NS6detail17trampoline_kernelINS0_14default_configENS1_35radix_sort_onesweep_config_selectorImNS0_10empty_typeEEEZZNS1_29radix_sort_onesweep_iterationIS3_Lb0EPKmPmPS5_SB_mNS0_19identity_decomposerENS1_16block_id_wrapperIjLb1EEEEE10hipError_tT1_PNSt15iterator_traitsISG_E10value_typeET2_T3_PNSH_ISM_E10value_typeET4_T5_PSR_SS_PNS1_23onesweep_lookback_stateEbbT6_jjT7_P12ihipStream_tbENKUlT_T0_SG_SL_E_clIS9_SA_SB_SB_EEDaSZ_S10_SG_SL_EUlSZ_E_NS1_11comp_targetILNS1_3genE5ELNS1_11target_archE942ELNS1_3gpuE9ELNS1_3repE0EEENS1_47radix_sort_onesweep_sort_config_static_selectorELNS0_4arch9wavefront6targetE0EEEvSG_ ; -- Begin function _ZN7rocprim17ROCPRIM_400000_NS6detail17trampoline_kernelINS0_14default_configENS1_35radix_sort_onesweep_config_selectorImNS0_10empty_typeEEEZZNS1_29radix_sort_onesweep_iterationIS3_Lb0EPKmPmPS5_SB_mNS0_19identity_decomposerENS1_16block_id_wrapperIjLb1EEEEE10hipError_tT1_PNSt15iterator_traitsISG_E10value_typeET2_T3_PNSH_ISM_E10value_typeET4_T5_PSR_SS_PNS1_23onesweep_lookback_stateEbbT6_jjT7_P12ihipStream_tbENKUlT_T0_SG_SL_E_clIS9_SA_SB_SB_EEDaSZ_S10_SG_SL_EUlSZ_E_NS1_11comp_targetILNS1_3genE5ELNS1_11target_archE942ELNS1_3gpuE9ELNS1_3repE0EEENS1_47radix_sort_onesweep_sort_config_static_selectorELNS0_4arch9wavefront6targetE0EEEvSG_
	.globl	_ZN7rocprim17ROCPRIM_400000_NS6detail17trampoline_kernelINS0_14default_configENS1_35radix_sort_onesweep_config_selectorImNS0_10empty_typeEEEZZNS1_29radix_sort_onesweep_iterationIS3_Lb0EPKmPmPS5_SB_mNS0_19identity_decomposerENS1_16block_id_wrapperIjLb1EEEEE10hipError_tT1_PNSt15iterator_traitsISG_E10value_typeET2_T3_PNSH_ISM_E10value_typeET4_T5_PSR_SS_PNS1_23onesweep_lookback_stateEbbT6_jjT7_P12ihipStream_tbENKUlT_T0_SG_SL_E_clIS9_SA_SB_SB_EEDaSZ_S10_SG_SL_EUlSZ_E_NS1_11comp_targetILNS1_3genE5ELNS1_11target_archE942ELNS1_3gpuE9ELNS1_3repE0EEENS1_47radix_sort_onesweep_sort_config_static_selectorELNS0_4arch9wavefront6targetE0EEEvSG_
	.p2align	8
	.type	_ZN7rocprim17ROCPRIM_400000_NS6detail17trampoline_kernelINS0_14default_configENS1_35radix_sort_onesweep_config_selectorImNS0_10empty_typeEEEZZNS1_29radix_sort_onesweep_iterationIS3_Lb0EPKmPmPS5_SB_mNS0_19identity_decomposerENS1_16block_id_wrapperIjLb1EEEEE10hipError_tT1_PNSt15iterator_traitsISG_E10value_typeET2_T3_PNSH_ISM_E10value_typeET4_T5_PSR_SS_PNS1_23onesweep_lookback_stateEbbT6_jjT7_P12ihipStream_tbENKUlT_T0_SG_SL_E_clIS9_SA_SB_SB_EEDaSZ_S10_SG_SL_EUlSZ_E_NS1_11comp_targetILNS1_3genE5ELNS1_11target_archE942ELNS1_3gpuE9ELNS1_3repE0EEENS1_47radix_sort_onesweep_sort_config_static_selectorELNS0_4arch9wavefront6targetE0EEEvSG_,@function
_ZN7rocprim17ROCPRIM_400000_NS6detail17trampoline_kernelINS0_14default_configENS1_35radix_sort_onesweep_config_selectorImNS0_10empty_typeEEEZZNS1_29radix_sort_onesweep_iterationIS3_Lb0EPKmPmPS5_SB_mNS0_19identity_decomposerENS1_16block_id_wrapperIjLb1EEEEE10hipError_tT1_PNSt15iterator_traitsISG_E10value_typeET2_T3_PNSH_ISM_E10value_typeET4_T5_PSR_SS_PNS1_23onesweep_lookback_stateEbbT6_jjT7_P12ihipStream_tbENKUlT_T0_SG_SL_E_clIS9_SA_SB_SB_EEDaSZ_S10_SG_SL_EUlSZ_E_NS1_11comp_targetILNS1_3genE5ELNS1_11target_archE942ELNS1_3gpuE9ELNS1_3repE0EEENS1_47radix_sort_onesweep_sort_config_static_selectorELNS0_4arch9wavefront6targetE0EEEvSG_: ; @_ZN7rocprim17ROCPRIM_400000_NS6detail17trampoline_kernelINS0_14default_configENS1_35radix_sort_onesweep_config_selectorImNS0_10empty_typeEEEZZNS1_29radix_sort_onesweep_iterationIS3_Lb0EPKmPmPS5_SB_mNS0_19identity_decomposerENS1_16block_id_wrapperIjLb1EEEEE10hipError_tT1_PNSt15iterator_traitsISG_E10value_typeET2_T3_PNSH_ISM_E10value_typeET4_T5_PSR_SS_PNS1_23onesweep_lookback_stateEbbT6_jjT7_P12ihipStream_tbENKUlT_T0_SG_SL_E_clIS9_SA_SB_SB_EEDaSZ_S10_SG_SL_EUlSZ_E_NS1_11comp_targetILNS1_3genE5ELNS1_11target_archE942ELNS1_3gpuE9ELNS1_3repE0EEENS1_47radix_sort_onesweep_sort_config_static_selectorELNS0_4arch9wavefront6targetE0EEEvSG_
; %bb.0:
	.section	.rodata,"a",@progbits
	.p2align	6, 0x0
	.amdhsa_kernel _ZN7rocprim17ROCPRIM_400000_NS6detail17trampoline_kernelINS0_14default_configENS1_35radix_sort_onesweep_config_selectorImNS0_10empty_typeEEEZZNS1_29radix_sort_onesweep_iterationIS3_Lb0EPKmPmPS5_SB_mNS0_19identity_decomposerENS1_16block_id_wrapperIjLb1EEEEE10hipError_tT1_PNSt15iterator_traitsISG_E10value_typeET2_T3_PNSH_ISM_E10value_typeET4_T5_PSR_SS_PNS1_23onesweep_lookback_stateEbbT6_jjT7_P12ihipStream_tbENKUlT_T0_SG_SL_E_clIS9_SA_SB_SB_EEDaSZ_S10_SG_SL_EUlSZ_E_NS1_11comp_targetILNS1_3genE5ELNS1_11target_archE942ELNS1_3gpuE9ELNS1_3repE0EEENS1_47radix_sort_onesweep_sort_config_static_selectorELNS0_4arch9wavefront6targetE0EEEvSG_
		.amdhsa_group_segment_fixed_size 0
		.amdhsa_private_segment_fixed_size 0
		.amdhsa_kernarg_size 88
		.amdhsa_user_sgpr_count 2
		.amdhsa_user_sgpr_dispatch_ptr 0
		.amdhsa_user_sgpr_queue_ptr 0
		.amdhsa_user_sgpr_kernarg_segment_ptr 1
		.amdhsa_user_sgpr_dispatch_id 0
		.amdhsa_user_sgpr_kernarg_preload_length 0
		.amdhsa_user_sgpr_kernarg_preload_offset 0
		.amdhsa_user_sgpr_private_segment_size 0
		.amdhsa_wavefront_size32 1
		.amdhsa_uses_dynamic_stack 0
		.amdhsa_enable_private_segment 0
		.amdhsa_system_sgpr_workgroup_id_x 1
		.amdhsa_system_sgpr_workgroup_id_y 0
		.amdhsa_system_sgpr_workgroup_id_z 0
		.amdhsa_system_sgpr_workgroup_info 0
		.amdhsa_system_vgpr_workitem_id 0
		.amdhsa_next_free_vgpr 1
		.amdhsa_next_free_sgpr 1
		.amdhsa_named_barrier_count 0
		.amdhsa_reserve_vcc 0
		.amdhsa_float_round_mode_32 0
		.amdhsa_float_round_mode_16_64 0
		.amdhsa_float_denorm_mode_32 3
		.amdhsa_float_denorm_mode_16_64 3
		.amdhsa_fp16_overflow 0
		.amdhsa_memory_ordered 1
		.amdhsa_forward_progress 1
		.amdhsa_inst_pref_size 0
		.amdhsa_round_robin_scheduling 0
		.amdhsa_exception_fp_ieee_invalid_op 0
		.amdhsa_exception_fp_denorm_src 0
		.amdhsa_exception_fp_ieee_div_zero 0
		.amdhsa_exception_fp_ieee_overflow 0
		.amdhsa_exception_fp_ieee_underflow 0
		.amdhsa_exception_fp_ieee_inexact 0
		.amdhsa_exception_int_div_zero 0
	.end_amdhsa_kernel
	.section	.text._ZN7rocprim17ROCPRIM_400000_NS6detail17trampoline_kernelINS0_14default_configENS1_35radix_sort_onesweep_config_selectorImNS0_10empty_typeEEEZZNS1_29radix_sort_onesweep_iterationIS3_Lb0EPKmPmPS5_SB_mNS0_19identity_decomposerENS1_16block_id_wrapperIjLb1EEEEE10hipError_tT1_PNSt15iterator_traitsISG_E10value_typeET2_T3_PNSH_ISM_E10value_typeET4_T5_PSR_SS_PNS1_23onesweep_lookback_stateEbbT6_jjT7_P12ihipStream_tbENKUlT_T0_SG_SL_E_clIS9_SA_SB_SB_EEDaSZ_S10_SG_SL_EUlSZ_E_NS1_11comp_targetILNS1_3genE5ELNS1_11target_archE942ELNS1_3gpuE9ELNS1_3repE0EEENS1_47radix_sort_onesweep_sort_config_static_selectorELNS0_4arch9wavefront6targetE0EEEvSG_,"axG",@progbits,_ZN7rocprim17ROCPRIM_400000_NS6detail17trampoline_kernelINS0_14default_configENS1_35radix_sort_onesweep_config_selectorImNS0_10empty_typeEEEZZNS1_29radix_sort_onesweep_iterationIS3_Lb0EPKmPmPS5_SB_mNS0_19identity_decomposerENS1_16block_id_wrapperIjLb1EEEEE10hipError_tT1_PNSt15iterator_traitsISG_E10value_typeET2_T3_PNSH_ISM_E10value_typeET4_T5_PSR_SS_PNS1_23onesweep_lookback_stateEbbT6_jjT7_P12ihipStream_tbENKUlT_T0_SG_SL_E_clIS9_SA_SB_SB_EEDaSZ_S10_SG_SL_EUlSZ_E_NS1_11comp_targetILNS1_3genE5ELNS1_11target_archE942ELNS1_3gpuE9ELNS1_3repE0EEENS1_47radix_sort_onesweep_sort_config_static_selectorELNS0_4arch9wavefront6targetE0EEEvSG_,comdat
.Lfunc_end2993:
	.size	_ZN7rocprim17ROCPRIM_400000_NS6detail17trampoline_kernelINS0_14default_configENS1_35radix_sort_onesweep_config_selectorImNS0_10empty_typeEEEZZNS1_29radix_sort_onesweep_iterationIS3_Lb0EPKmPmPS5_SB_mNS0_19identity_decomposerENS1_16block_id_wrapperIjLb1EEEEE10hipError_tT1_PNSt15iterator_traitsISG_E10value_typeET2_T3_PNSH_ISM_E10value_typeET4_T5_PSR_SS_PNS1_23onesweep_lookback_stateEbbT6_jjT7_P12ihipStream_tbENKUlT_T0_SG_SL_E_clIS9_SA_SB_SB_EEDaSZ_S10_SG_SL_EUlSZ_E_NS1_11comp_targetILNS1_3genE5ELNS1_11target_archE942ELNS1_3gpuE9ELNS1_3repE0EEENS1_47radix_sort_onesweep_sort_config_static_selectorELNS0_4arch9wavefront6targetE0EEEvSG_, .Lfunc_end2993-_ZN7rocprim17ROCPRIM_400000_NS6detail17trampoline_kernelINS0_14default_configENS1_35radix_sort_onesweep_config_selectorImNS0_10empty_typeEEEZZNS1_29radix_sort_onesweep_iterationIS3_Lb0EPKmPmPS5_SB_mNS0_19identity_decomposerENS1_16block_id_wrapperIjLb1EEEEE10hipError_tT1_PNSt15iterator_traitsISG_E10value_typeET2_T3_PNSH_ISM_E10value_typeET4_T5_PSR_SS_PNS1_23onesweep_lookback_stateEbbT6_jjT7_P12ihipStream_tbENKUlT_T0_SG_SL_E_clIS9_SA_SB_SB_EEDaSZ_S10_SG_SL_EUlSZ_E_NS1_11comp_targetILNS1_3genE5ELNS1_11target_archE942ELNS1_3gpuE9ELNS1_3repE0EEENS1_47radix_sort_onesweep_sort_config_static_selectorELNS0_4arch9wavefront6targetE0EEEvSG_
                                        ; -- End function
	.set _ZN7rocprim17ROCPRIM_400000_NS6detail17trampoline_kernelINS0_14default_configENS1_35radix_sort_onesweep_config_selectorImNS0_10empty_typeEEEZZNS1_29radix_sort_onesweep_iterationIS3_Lb0EPKmPmPS5_SB_mNS0_19identity_decomposerENS1_16block_id_wrapperIjLb1EEEEE10hipError_tT1_PNSt15iterator_traitsISG_E10value_typeET2_T3_PNSH_ISM_E10value_typeET4_T5_PSR_SS_PNS1_23onesweep_lookback_stateEbbT6_jjT7_P12ihipStream_tbENKUlT_T0_SG_SL_E_clIS9_SA_SB_SB_EEDaSZ_S10_SG_SL_EUlSZ_E_NS1_11comp_targetILNS1_3genE5ELNS1_11target_archE942ELNS1_3gpuE9ELNS1_3repE0EEENS1_47radix_sort_onesweep_sort_config_static_selectorELNS0_4arch9wavefront6targetE0EEEvSG_.num_vgpr, 0
	.set _ZN7rocprim17ROCPRIM_400000_NS6detail17trampoline_kernelINS0_14default_configENS1_35radix_sort_onesweep_config_selectorImNS0_10empty_typeEEEZZNS1_29radix_sort_onesweep_iterationIS3_Lb0EPKmPmPS5_SB_mNS0_19identity_decomposerENS1_16block_id_wrapperIjLb1EEEEE10hipError_tT1_PNSt15iterator_traitsISG_E10value_typeET2_T3_PNSH_ISM_E10value_typeET4_T5_PSR_SS_PNS1_23onesweep_lookback_stateEbbT6_jjT7_P12ihipStream_tbENKUlT_T0_SG_SL_E_clIS9_SA_SB_SB_EEDaSZ_S10_SG_SL_EUlSZ_E_NS1_11comp_targetILNS1_3genE5ELNS1_11target_archE942ELNS1_3gpuE9ELNS1_3repE0EEENS1_47radix_sort_onesweep_sort_config_static_selectorELNS0_4arch9wavefront6targetE0EEEvSG_.num_agpr, 0
	.set _ZN7rocprim17ROCPRIM_400000_NS6detail17trampoline_kernelINS0_14default_configENS1_35radix_sort_onesweep_config_selectorImNS0_10empty_typeEEEZZNS1_29radix_sort_onesweep_iterationIS3_Lb0EPKmPmPS5_SB_mNS0_19identity_decomposerENS1_16block_id_wrapperIjLb1EEEEE10hipError_tT1_PNSt15iterator_traitsISG_E10value_typeET2_T3_PNSH_ISM_E10value_typeET4_T5_PSR_SS_PNS1_23onesweep_lookback_stateEbbT6_jjT7_P12ihipStream_tbENKUlT_T0_SG_SL_E_clIS9_SA_SB_SB_EEDaSZ_S10_SG_SL_EUlSZ_E_NS1_11comp_targetILNS1_3genE5ELNS1_11target_archE942ELNS1_3gpuE9ELNS1_3repE0EEENS1_47radix_sort_onesweep_sort_config_static_selectorELNS0_4arch9wavefront6targetE0EEEvSG_.numbered_sgpr, 0
	.set _ZN7rocprim17ROCPRIM_400000_NS6detail17trampoline_kernelINS0_14default_configENS1_35radix_sort_onesweep_config_selectorImNS0_10empty_typeEEEZZNS1_29radix_sort_onesweep_iterationIS3_Lb0EPKmPmPS5_SB_mNS0_19identity_decomposerENS1_16block_id_wrapperIjLb1EEEEE10hipError_tT1_PNSt15iterator_traitsISG_E10value_typeET2_T3_PNSH_ISM_E10value_typeET4_T5_PSR_SS_PNS1_23onesweep_lookback_stateEbbT6_jjT7_P12ihipStream_tbENKUlT_T0_SG_SL_E_clIS9_SA_SB_SB_EEDaSZ_S10_SG_SL_EUlSZ_E_NS1_11comp_targetILNS1_3genE5ELNS1_11target_archE942ELNS1_3gpuE9ELNS1_3repE0EEENS1_47radix_sort_onesweep_sort_config_static_selectorELNS0_4arch9wavefront6targetE0EEEvSG_.num_named_barrier, 0
	.set _ZN7rocprim17ROCPRIM_400000_NS6detail17trampoline_kernelINS0_14default_configENS1_35radix_sort_onesweep_config_selectorImNS0_10empty_typeEEEZZNS1_29radix_sort_onesweep_iterationIS3_Lb0EPKmPmPS5_SB_mNS0_19identity_decomposerENS1_16block_id_wrapperIjLb1EEEEE10hipError_tT1_PNSt15iterator_traitsISG_E10value_typeET2_T3_PNSH_ISM_E10value_typeET4_T5_PSR_SS_PNS1_23onesweep_lookback_stateEbbT6_jjT7_P12ihipStream_tbENKUlT_T0_SG_SL_E_clIS9_SA_SB_SB_EEDaSZ_S10_SG_SL_EUlSZ_E_NS1_11comp_targetILNS1_3genE5ELNS1_11target_archE942ELNS1_3gpuE9ELNS1_3repE0EEENS1_47radix_sort_onesweep_sort_config_static_selectorELNS0_4arch9wavefront6targetE0EEEvSG_.private_seg_size, 0
	.set _ZN7rocprim17ROCPRIM_400000_NS6detail17trampoline_kernelINS0_14default_configENS1_35radix_sort_onesweep_config_selectorImNS0_10empty_typeEEEZZNS1_29radix_sort_onesweep_iterationIS3_Lb0EPKmPmPS5_SB_mNS0_19identity_decomposerENS1_16block_id_wrapperIjLb1EEEEE10hipError_tT1_PNSt15iterator_traitsISG_E10value_typeET2_T3_PNSH_ISM_E10value_typeET4_T5_PSR_SS_PNS1_23onesweep_lookback_stateEbbT6_jjT7_P12ihipStream_tbENKUlT_T0_SG_SL_E_clIS9_SA_SB_SB_EEDaSZ_S10_SG_SL_EUlSZ_E_NS1_11comp_targetILNS1_3genE5ELNS1_11target_archE942ELNS1_3gpuE9ELNS1_3repE0EEENS1_47radix_sort_onesweep_sort_config_static_selectorELNS0_4arch9wavefront6targetE0EEEvSG_.uses_vcc, 0
	.set _ZN7rocprim17ROCPRIM_400000_NS6detail17trampoline_kernelINS0_14default_configENS1_35radix_sort_onesweep_config_selectorImNS0_10empty_typeEEEZZNS1_29radix_sort_onesweep_iterationIS3_Lb0EPKmPmPS5_SB_mNS0_19identity_decomposerENS1_16block_id_wrapperIjLb1EEEEE10hipError_tT1_PNSt15iterator_traitsISG_E10value_typeET2_T3_PNSH_ISM_E10value_typeET4_T5_PSR_SS_PNS1_23onesweep_lookback_stateEbbT6_jjT7_P12ihipStream_tbENKUlT_T0_SG_SL_E_clIS9_SA_SB_SB_EEDaSZ_S10_SG_SL_EUlSZ_E_NS1_11comp_targetILNS1_3genE5ELNS1_11target_archE942ELNS1_3gpuE9ELNS1_3repE0EEENS1_47radix_sort_onesweep_sort_config_static_selectorELNS0_4arch9wavefront6targetE0EEEvSG_.uses_flat_scratch, 0
	.set _ZN7rocprim17ROCPRIM_400000_NS6detail17trampoline_kernelINS0_14default_configENS1_35radix_sort_onesweep_config_selectorImNS0_10empty_typeEEEZZNS1_29radix_sort_onesweep_iterationIS3_Lb0EPKmPmPS5_SB_mNS0_19identity_decomposerENS1_16block_id_wrapperIjLb1EEEEE10hipError_tT1_PNSt15iterator_traitsISG_E10value_typeET2_T3_PNSH_ISM_E10value_typeET4_T5_PSR_SS_PNS1_23onesweep_lookback_stateEbbT6_jjT7_P12ihipStream_tbENKUlT_T0_SG_SL_E_clIS9_SA_SB_SB_EEDaSZ_S10_SG_SL_EUlSZ_E_NS1_11comp_targetILNS1_3genE5ELNS1_11target_archE942ELNS1_3gpuE9ELNS1_3repE0EEENS1_47radix_sort_onesweep_sort_config_static_selectorELNS0_4arch9wavefront6targetE0EEEvSG_.has_dyn_sized_stack, 0
	.set _ZN7rocprim17ROCPRIM_400000_NS6detail17trampoline_kernelINS0_14default_configENS1_35radix_sort_onesweep_config_selectorImNS0_10empty_typeEEEZZNS1_29radix_sort_onesweep_iterationIS3_Lb0EPKmPmPS5_SB_mNS0_19identity_decomposerENS1_16block_id_wrapperIjLb1EEEEE10hipError_tT1_PNSt15iterator_traitsISG_E10value_typeET2_T3_PNSH_ISM_E10value_typeET4_T5_PSR_SS_PNS1_23onesweep_lookback_stateEbbT6_jjT7_P12ihipStream_tbENKUlT_T0_SG_SL_E_clIS9_SA_SB_SB_EEDaSZ_S10_SG_SL_EUlSZ_E_NS1_11comp_targetILNS1_3genE5ELNS1_11target_archE942ELNS1_3gpuE9ELNS1_3repE0EEENS1_47radix_sort_onesweep_sort_config_static_selectorELNS0_4arch9wavefront6targetE0EEEvSG_.has_recursion, 0
	.set _ZN7rocprim17ROCPRIM_400000_NS6detail17trampoline_kernelINS0_14default_configENS1_35radix_sort_onesweep_config_selectorImNS0_10empty_typeEEEZZNS1_29radix_sort_onesweep_iterationIS3_Lb0EPKmPmPS5_SB_mNS0_19identity_decomposerENS1_16block_id_wrapperIjLb1EEEEE10hipError_tT1_PNSt15iterator_traitsISG_E10value_typeET2_T3_PNSH_ISM_E10value_typeET4_T5_PSR_SS_PNS1_23onesweep_lookback_stateEbbT6_jjT7_P12ihipStream_tbENKUlT_T0_SG_SL_E_clIS9_SA_SB_SB_EEDaSZ_S10_SG_SL_EUlSZ_E_NS1_11comp_targetILNS1_3genE5ELNS1_11target_archE942ELNS1_3gpuE9ELNS1_3repE0EEENS1_47radix_sort_onesweep_sort_config_static_selectorELNS0_4arch9wavefront6targetE0EEEvSG_.has_indirect_call, 0
	.section	.AMDGPU.csdata,"",@progbits
; Kernel info:
; codeLenInByte = 0
; TotalNumSgprs: 0
; NumVgprs: 0
; ScratchSize: 0
; MemoryBound: 0
; FloatMode: 240
; IeeeMode: 1
; LDSByteSize: 0 bytes/workgroup (compile time only)
; SGPRBlocks: 0
; VGPRBlocks: 0
; NumSGPRsForWavesPerEU: 1
; NumVGPRsForWavesPerEU: 1
; NamedBarCnt: 0
; Occupancy: 16
; WaveLimiterHint : 0
; COMPUTE_PGM_RSRC2:SCRATCH_EN: 0
; COMPUTE_PGM_RSRC2:USER_SGPR: 2
; COMPUTE_PGM_RSRC2:TRAP_HANDLER: 0
; COMPUTE_PGM_RSRC2:TGID_X_EN: 1
; COMPUTE_PGM_RSRC2:TGID_Y_EN: 0
; COMPUTE_PGM_RSRC2:TGID_Z_EN: 0
; COMPUTE_PGM_RSRC2:TIDIG_COMP_CNT: 0
	.section	.text._ZN7rocprim17ROCPRIM_400000_NS6detail17trampoline_kernelINS0_14default_configENS1_35radix_sort_onesweep_config_selectorImNS0_10empty_typeEEEZZNS1_29radix_sort_onesweep_iterationIS3_Lb0EPKmPmPS5_SB_mNS0_19identity_decomposerENS1_16block_id_wrapperIjLb1EEEEE10hipError_tT1_PNSt15iterator_traitsISG_E10value_typeET2_T3_PNSH_ISM_E10value_typeET4_T5_PSR_SS_PNS1_23onesweep_lookback_stateEbbT6_jjT7_P12ihipStream_tbENKUlT_T0_SG_SL_E_clIS9_SA_SB_SB_EEDaSZ_S10_SG_SL_EUlSZ_E_NS1_11comp_targetILNS1_3genE2ELNS1_11target_archE906ELNS1_3gpuE6ELNS1_3repE0EEENS1_47radix_sort_onesweep_sort_config_static_selectorELNS0_4arch9wavefront6targetE0EEEvSG_,"axG",@progbits,_ZN7rocprim17ROCPRIM_400000_NS6detail17trampoline_kernelINS0_14default_configENS1_35radix_sort_onesweep_config_selectorImNS0_10empty_typeEEEZZNS1_29radix_sort_onesweep_iterationIS3_Lb0EPKmPmPS5_SB_mNS0_19identity_decomposerENS1_16block_id_wrapperIjLb1EEEEE10hipError_tT1_PNSt15iterator_traitsISG_E10value_typeET2_T3_PNSH_ISM_E10value_typeET4_T5_PSR_SS_PNS1_23onesweep_lookback_stateEbbT6_jjT7_P12ihipStream_tbENKUlT_T0_SG_SL_E_clIS9_SA_SB_SB_EEDaSZ_S10_SG_SL_EUlSZ_E_NS1_11comp_targetILNS1_3genE2ELNS1_11target_archE906ELNS1_3gpuE6ELNS1_3repE0EEENS1_47radix_sort_onesweep_sort_config_static_selectorELNS0_4arch9wavefront6targetE0EEEvSG_,comdat
	.protected	_ZN7rocprim17ROCPRIM_400000_NS6detail17trampoline_kernelINS0_14default_configENS1_35radix_sort_onesweep_config_selectorImNS0_10empty_typeEEEZZNS1_29radix_sort_onesweep_iterationIS3_Lb0EPKmPmPS5_SB_mNS0_19identity_decomposerENS1_16block_id_wrapperIjLb1EEEEE10hipError_tT1_PNSt15iterator_traitsISG_E10value_typeET2_T3_PNSH_ISM_E10value_typeET4_T5_PSR_SS_PNS1_23onesweep_lookback_stateEbbT6_jjT7_P12ihipStream_tbENKUlT_T0_SG_SL_E_clIS9_SA_SB_SB_EEDaSZ_S10_SG_SL_EUlSZ_E_NS1_11comp_targetILNS1_3genE2ELNS1_11target_archE906ELNS1_3gpuE6ELNS1_3repE0EEENS1_47radix_sort_onesweep_sort_config_static_selectorELNS0_4arch9wavefront6targetE0EEEvSG_ ; -- Begin function _ZN7rocprim17ROCPRIM_400000_NS6detail17trampoline_kernelINS0_14default_configENS1_35radix_sort_onesweep_config_selectorImNS0_10empty_typeEEEZZNS1_29radix_sort_onesweep_iterationIS3_Lb0EPKmPmPS5_SB_mNS0_19identity_decomposerENS1_16block_id_wrapperIjLb1EEEEE10hipError_tT1_PNSt15iterator_traitsISG_E10value_typeET2_T3_PNSH_ISM_E10value_typeET4_T5_PSR_SS_PNS1_23onesweep_lookback_stateEbbT6_jjT7_P12ihipStream_tbENKUlT_T0_SG_SL_E_clIS9_SA_SB_SB_EEDaSZ_S10_SG_SL_EUlSZ_E_NS1_11comp_targetILNS1_3genE2ELNS1_11target_archE906ELNS1_3gpuE6ELNS1_3repE0EEENS1_47radix_sort_onesweep_sort_config_static_selectorELNS0_4arch9wavefront6targetE0EEEvSG_
	.globl	_ZN7rocprim17ROCPRIM_400000_NS6detail17trampoline_kernelINS0_14default_configENS1_35radix_sort_onesweep_config_selectorImNS0_10empty_typeEEEZZNS1_29radix_sort_onesweep_iterationIS3_Lb0EPKmPmPS5_SB_mNS0_19identity_decomposerENS1_16block_id_wrapperIjLb1EEEEE10hipError_tT1_PNSt15iterator_traitsISG_E10value_typeET2_T3_PNSH_ISM_E10value_typeET4_T5_PSR_SS_PNS1_23onesweep_lookback_stateEbbT6_jjT7_P12ihipStream_tbENKUlT_T0_SG_SL_E_clIS9_SA_SB_SB_EEDaSZ_S10_SG_SL_EUlSZ_E_NS1_11comp_targetILNS1_3genE2ELNS1_11target_archE906ELNS1_3gpuE6ELNS1_3repE0EEENS1_47radix_sort_onesweep_sort_config_static_selectorELNS0_4arch9wavefront6targetE0EEEvSG_
	.p2align	8
	.type	_ZN7rocprim17ROCPRIM_400000_NS6detail17trampoline_kernelINS0_14default_configENS1_35radix_sort_onesweep_config_selectorImNS0_10empty_typeEEEZZNS1_29radix_sort_onesweep_iterationIS3_Lb0EPKmPmPS5_SB_mNS0_19identity_decomposerENS1_16block_id_wrapperIjLb1EEEEE10hipError_tT1_PNSt15iterator_traitsISG_E10value_typeET2_T3_PNSH_ISM_E10value_typeET4_T5_PSR_SS_PNS1_23onesweep_lookback_stateEbbT6_jjT7_P12ihipStream_tbENKUlT_T0_SG_SL_E_clIS9_SA_SB_SB_EEDaSZ_S10_SG_SL_EUlSZ_E_NS1_11comp_targetILNS1_3genE2ELNS1_11target_archE906ELNS1_3gpuE6ELNS1_3repE0EEENS1_47radix_sort_onesweep_sort_config_static_selectorELNS0_4arch9wavefront6targetE0EEEvSG_,@function
_ZN7rocprim17ROCPRIM_400000_NS6detail17trampoline_kernelINS0_14default_configENS1_35radix_sort_onesweep_config_selectorImNS0_10empty_typeEEEZZNS1_29radix_sort_onesweep_iterationIS3_Lb0EPKmPmPS5_SB_mNS0_19identity_decomposerENS1_16block_id_wrapperIjLb1EEEEE10hipError_tT1_PNSt15iterator_traitsISG_E10value_typeET2_T3_PNSH_ISM_E10value_typeET4_T5_PSR_SS_PNS1_23onesweep_lookback_stateEbbT6_jjT7_P12ihipStream_tbENKUlT_T0_SG_SL_E_clIS9_SA_SB_SB_EEDaSZ_S10_SG_SL_EUlSZ_E_NS1_11comp_targetILNS1_3genE2ELNS1_11target_archE906ELNS1_3gpuE6ELNS1_3repE0EEENS1_47radix_sort_onesweep_sort_config_static_selectorELNS0_4arch9wavefront6targetE0EEEvSG_: ; @_ZN7rocprim17ROCPRIM_400000_NS6detail17trampoline_kernelINS0_14default_configENS1_35radix_sort_onesweep_config_selectorImNS0_10empty_typeEEEZZNS1_29radix_sort_onesweep_iterationIS3_Lb0EPKmPmPS5_SB_mNS0_19identity_decomposerENS1_16block_id_wrapperIjLb1EEEEE10hipError_tT1_PNSt15iterator_traitsISG_E10value_typeET2_T3_PNSH_ISM_E10value_typeET4_T5_PSR_SS_PNS1_23onesweep_lookback_stateEbbT6_jjT7_P12ihipStream_tbENKUlT_T0_SG_SL_E_clIS9_SA_SB_SB_EEDaSZ_S10_SG_SL_EUlSZ_E_NS1_11comp_targetILNS1_3genE2ELNS1_11target_archE906ELNS1_3gpuE6ELNS1_3repE0EEENS1_47radix_sort_onesweep_sort_config_static_selectorELNS0_4arch9wavefront6targetE0EEEvSG_
; %bb.0:
	.section	.rodata,"a",@progbits
	.p2align	6, 0x0
	.amdhsa_kernel _ZN7rocprim17ROCPRIM_400000_NS6detail17trampoline_kernelINS0_14default_configENS1_35radix_sort_onesweep_config_selectorImNS0_10empty_typeEEEZZNS1_29radix_sort_onesweep_iterationIS3_Lb0EPKmPmPS5_SB_mNS0_19identity_decomposerENS1_16block_id_wrapperIjLb1EEEEE10hipError_tT1_PNSt15iterator_traitsISG_E10value_typeET2_T3_PNSH_ISM_E10value_typeET4_T5_PSR_SS_PNS1_23onesweep_lookback_stateEbbT6_jjT7_P12ihipStream_tbENKUlT_T0_SG_SL_E_clIS9_SA_SB_SB_EEDaSZ_S10_SG_SL_EUlSZ_E_NS1_11comp_targetILNS1_3genE2ELNS1_11target_archE906ELNS1_3gpuE6ELNS1_3repE0EEENS1_47radix_sort_onesweep_sort_config_static_selectorELNS0_4arch9wavefront6targetE0EEEvSG_
		.amdhsa_group_segment_fixed_size 0
		.amdhsa_private_segment_fixed_size 0
		.amdhsa_kernarg_size 88
		.amdhsa_user_sgpr_count 2
		.amdhsa_user_sgpr_dispatch_ptr 0
		.amdhsa_user_sgpr_queue_ptr 0
		.amdhsa_user_sgpr_kernarg_segment_ptr 1
		.amdhsa_user_sgpr_dispatch_id 0
		.amdhsa_user_sgpr_kernarg_preload_length 0
		.amdhsa_user_sgpr_kernarg_preload_offset 0
		.amdhsa_user_sgpr_private_segment_size 0
		.amdhsa_wavefront_size32 1
		.amdhsa_uses_dynamic_stack 0
		.amdhsa_enable_private_segment 0
		.amdhsa_system_sgpr_workgroup_id_x 1
		.amdhsa_system_sgpr_workgroup_id_y 0
		.amdhsa_system_sgpr_workgroup_id_z 0
		.amdhsa_system_sgpr_workgroup_info 0
		.amdhsa_system_vgpr_workitem_id 0
		.amdhsa_next_free_vgpr 1
		.amdhsa_next_free_sgpr 1
		.amdhsa_named_barrier_count 0
		.amdhsa_reserve_vcc 0
		.amdhsa_float_round_mode_32 0
		.amdhsa_float_round_mode_16_64 0
		.amdhsa_float_denorm_mode_32 3
		.amdhsa_float_denorm_mode_16_64 3
		.amdhsa_fp16_overflow 0
		.amdhsa_memory_ordered 1
		.amdhsa_forward_progress 1
		.amdhsa_inst_pref_size 0
		.amdhsa_round_robin_scheduling 0
		.amdhsa_exception_fp_ieee_invalid_op 0
		.amdhsa_exception_fp_denorm_src 0
		.amdhsa_exception_fp_ieee_div_zero 0
		.amdhsa_exception_fp_ieee_overflow 0
		.amdhsa_exception_fp_ieee_underflow 0
		.amdhsa_exception_fp_ieee_inexact 0
		.amdhsa_exception_int_div_zero 0
	.end_amdhsa_kernel
	.section	.text._ZN7rocprim17ROCPRIM_400000_NS6detail17trampoline_kernelINS0_14default_configENS1_35radix_sort_onesweep_config_selectorImNS0_10empty_typeEEEZZNS1_29radix_sort_onesweep_iterationIS3_Lb0EPKmPmPS5_SB_mNS0_19identity_decomposerENS1_16block_id_wrapperIjLb1EEEEE10hipError_tT1_PNSt15iterator_traitsISG_E10value_typeET2_T3_PNSH_ISM_E10value_typeET4_T5_PSR_SS_PNS1_23onesweep_lookback_stateEbbT6_jjT7_P12ihipStream_tbENKUlT_T0_SG_SL_E_clIS9_SA_SB_SB_EEDaSZ_S10_SG_SL_EUlSZ_E_NS1_11comp_targetILNS1_3genE2ELNS1_11target_archE906ELNS1_3gpuE6ELNS1_3repE0EEENS1_47radix_sort_onesweep_sort_config_static_selectorELNS0_4arch9wavefront6targetE0EEEvSG_,"axG",@progbits,_ZN7rocprim17ROCPRIM_400000_NS6detail17trampoline_kernelINS0_14default_configENS1_35radix_sort_onesweep_config_selectorImNS0_10empty_typeEEEZZNS1_29radix_sort_onesweep_iterationIS3_Lb0EPKmPmPS5_SB_mNS0_19identity_decomposerENS1_16block_id_wrapperIjLb1EEEEE10hipError_tT1_PNSt15iterator_traitsISG_E10value_typeET2_T3_PNSH_ISM_E10value_typeET4_T5_PSR_SS_PNS1_23onesweep_lookback_stateEbbT6_jjT7_P12ihipStream_tbENKUlT_T0_SG_SL_E_clIS9_SA_SB_SB_EEDaSZ_S10_SG_SL_EUlSZ_E_NS1_11comp_targetILNS1_3genE2ELNS1_11target_archE906ELNS1_3gpuE6ELNS1_3repE0EEENS1_47radix_sort_onesweep_sort_config_static_selectorELNS0_4arch9wavefront6targetE0EEEvSG_,comdat
.Lfunc_end2994:
	.size	_ZN7rocprim17ROCPRIM_400000_NS6detail17trampoline_kernelINS0_14default_configENS1_35radix_sort_onesweep_config_selectorImNS0_10empty_typeEEEZZNS1_29radix_sort_onesweep_iterationIS3_Lb0EPKmPmPS5_SB_mNS0_19identity_decomposerENS1_16block_id_wrapperIjLb1EEEEE10hipError_tT1_PNSt15iterator_traitsISG_E10value_typeET2_T3_PNSH_ISM_E10value_typeET4_T5_PSR_SS_PNS1_23onesweep_lookback_stateEbbT6_jjT7_P12ihipStream_tbENKUlT_T0_SG_SL_E_clIS9_SA_SB_SB_EEDaSZ_S10_SG_SL_EUlSZ_E_NS1_11comp_targetILNS1_3genE2ELNS1_11target_archE906ELNS1_3gpuE6ELNS1_3repE0EEENS1_47radix_sort_onesweep_sort_config_static_selectorELNS0_4arch9wavefront6targetE0EEEvSG_, .Lfunc_end2994-_ZN7rocprim17ROCPRIM_400000_NS6detail17trampoline_kernelINS0_14default_configENS1_35radix_sort_onesweep_config_selectorImNS0_10empty_typeEEEZZNS1_29radix_sort_onesweep_iterationIS3_Lb0EPKmPmPS5_SB_mNS0_19identity_decomposerENS1_16block_id_wrapperIjLb1EEEEE10hipError_tT1_PNSt15iterator_traitsISG_E10value_typeET2_T3_PNSH_ISM_E10value_typeET4_T5_PSR_SS_PNS1_23onesweep_lookback_stateEbbT6_jjT7_P12ihipStream_tbENKUlT_T0_SG_SL_E_clIS9_SA_SB_SB_EEDaSZ_S10_SG_SL_EUlSZ_E_NS1_11comp_targetILNS1_3genE2ELNS1_11target_archE906ELNS1_3gpuE6ELNS1_3repE0EEENS1_47radix_sort_onesweep_sort_config_static_selectorELNS0_4arch9wavefront6targetE0EEEvSG_
                                        ; -- End function
	.set _ZN7rocprim17ROCPRIM_400000_NS6detail17trampoline_kernelINS0_14default_configENS1_35radix_sort_onesweep_config_selectorImNS0_10empty_typeEEEZZNS1_29radix_sort_onesweep_iterationIS3_Lb0EPKmPmPS5_SB_mNS0_19identity_decomposerENS1_16block_id_wrapperIjLb1EEEEE10hipError_tT1_PNSt15iterator_traitsISG_E10value_typeET2_T3_PNSH_ISM_E10value_typeET4_T5_PSR_SS_PNS1_23onesweep_lookback_stateEbbT6_jjT7_P12ihipStream_tbENKUlT_T0_SG_SL_E_clIS9_SA_SB_SB_EEDaSZ_S10_SG_SL_EUlSZ_E_NS1_11comp_targetILNS1_3genE2ELNS1_11target_archE906ELNS1_3gpuE6ELNS1_3repE0EEENS1_47radix_sort_onesweep_sort_config_static_selectorELNS0_4arch9wavefront6targetE0EEEvSG_.num_vgpr, 0
	.set _ZN7rocprim17ROCPRIM_400000_NS6detail17trampoline_kernelINS0_14default_configENS1_35radix_sort_onesweep_config_selectorImNS0_10empty_typeEEEZZNS1_29radix_sort_onesweep_iterationIS3_Lb0EPKmPmPS5_SB_mNS0_19identity_decomposerENS1_16block_id_wrapperIjLb1EEEEE10hipError_tT1_PNSt15iterator_traitsISG_E10value_typeET2_T3_PNSH_ISM_E10value_typeET4_T5_PSR_SS_PNS1_23onesweep_lookback_stateEbbT6_jjT7_P12ihipStream_tbENKUlT_T0_SG_SL_E_clIS9_SA_SB_SB_EEDaSZ_S10_SG_SL_EUlSZ_E_NS1_11comp_targetILNS1_3genE2ELNS1_11target_archE906ELNS1_3gpuE6ELNS1_3repE0EEENS1_47radix_sort_onesweep_sort_config_static_selectorELNS0_4arch9wavefront6targetE0EEEvSG_.num_agpr, 0
	.set _ZN7rocprim17ROCPRIM_400000_NS6detail17trampoline_kernelINS0_14default_configENS1_35radix_sort_onesweep_config_selectorImNS0_10empty_typeEEEZZNS1_29radix_sort_onesweep_iterationIS3_Lb0EPKmPmPS5_SB_mNS0_19identity_decomposerENS1_16block_id_wrapperIjLb1EEEEE10hipError_tT1_PNSt15iterator_traitsISG_E10value_typeET2_T3_PNSH_ISM_E10value_typeET4_T5_PSR_SS_PNS1_23onesweep_lookback_stateEbbT6_jjT7_P12ihipStream_tbENKUlT_T0_SG_SL_E_clIS9_SA_SB_SB_EEDaSZ_S10_SG_SL_EUlSZ_E_NS1_11comp_targetILNS1_3genE2ELNS1_11target_archE906ELNS1_3gpuE6ELNS1_3repE0EEENS1_47radix_sort_onesweep_sort_config_static_selectorELNS0_4arch9wavefront6targetE0EEEvSG_.numbered_sgpr, 0
	.set _ZN7rocprim17ROCPRIM_400000_NS6detail17trampoline_kernelINS0_14default_configENS1_35radix_sort_onesweep_config_selectorImNS0_10empty_typeEEEZZNS1_29radix_sort_onesweep_iterationIS3_Lb0EPKmPmPS5_SB_mNS0_19identity_decomposerENS1_16block_id_wrapperIjLb1EEEEE10hipError_tT1_PNSt15iterator_traitsISG_E10value_typeET2_T3_PNSH_ISM_E10value_typeET4_T5_PSR_SS_PNS1_23onesweep_lookback_stateEbbT6_jjT7_P12ihipStream_tbENKUlT_T0_SG_SL_E_clIS9_SA_SB_SB_EEDaSZ_S10_SG_SL_EUlSZ_E_NS1_11comp_targetILNS1_3genE2ELNS1_11target_archE906ELNS1_3gpuE6ELNS1_3repE0EEENS1_47radix_sort_onesweep_sort_config_static_selectorELNS0_4arch9wavefront6targetE0EEEvSG_.num_named_barrier, 0
	.set _ZN7rocprim17ROCPRIM_400000_NS6detail17trampoline_kernelINS0_14default_configENS1_35radix_sort_onesweep_config_selectorImNS0_10empty_typeEEEZZNS1_29radix_sort_onesweep_iterationIS3_Lb0EPKmPmPS5_SB_mNS0_19identity_decomposerENS1_16block_id_wrapperIjLb1EEEEE10hipError_tT1_PNSt15iterator_traitsISG_E10value_typeET2_T3_PNSH_ISM_E10value_typeET4_T5_PSR_SS_PNS1_23onesweep_lookback_stateEbbT6_jjT7_P12ihipStream_tbENKUlT_T0_SG_SL_E_clIS9_SA_SB_SB_EEDaSZ_S10_SG_SL_EUlSZ_E_NS1_11comp_targetILNS1_3genE2ELNS1_11target_archE906ELNS1_3gpuE6ELNS1_3repE0EEENS1_47radix_sort_onesweep_sort_config_static_selectorELNS0_4arch9wavefront6targetE0EEEvSG_.private_seg_size, 0
	.set _ZN7rocprim17ROCPRIM_400000_NS6detail17trampoline_kernelINS0_14default_configENS1_35radix_sort_onesweep_config_selectorImNS0_10empty_typeEEEZZNS1_29radix_sort_onesweep_iterationIS3_Lb0EPKmPmPS5_SB_mNS0_19identity_decomposerENS1_16block_id_wrapperIjLb1EEEEE10hipError_tT1_PNSt15iterator_traitsISG_E10value_typeET2_T3_PNSH_ISM_E10value_typeET4_T5_PSR_SS_PNS1_23onesweep_lookback_stateEbbT6_jjT7_P12ihipStream_tbENKUlT_T0_SG_SL_E_clIS9_SA_SB_SB_EEDaSZ_S10_SG_SL_EUlSZ_E_NS1_11comp_targetILNS1_3genE2ELNS1_11target_archE906ELNS1_3gpuE6ELNS1_3repE0EEENS1_47radix_sort_onesweep_sort_config_static_selectorELNS0_4arch9wavefront6targetE0EEEvSG_.uses_vcc, 0
	.set _ZN7rocprim17ROCPRIM_400000_NS6detail17trampoline_kernelINS0_14default_configENS1_35radix_sort_onesweep_config_selectorImNS0_10empty_typeEEEZZNS1_29radix_sort_onesweep_iterationIS3_Lb0EPKmPmPS5_SB_mNS0_19identity_decomposerENS1_16block_id_wrapperIjLb1EEEEE10hipError_tT1_PNSt15iterator_traitsISG_E10value_typeET2_T3_PNSH_ISM_E10value_typeET4_T5_PSR_SS_PNS1_23onesweep_lookback_stateEbbT6_jjT7_P12ihipStream_tbENKUlT_T0_SG_SL_E_clIS9_SA_SB_SB_EEDaSZ_S10_SG_SL_EUlSZ_E_NS1_11comp_targetILNS1_3genE2ELNS1_11target_archE906ELNS1_3gpuE6ELNS1_3repE0EEENS1_47radix_sort_onesweep_sort_config_static_selectorELNS0_4arch9wavefront6targetE0EEEvSG_.uses_flat_scratch, 0
	.set _ZN7rocprim17ROCPRIM_400000_NS6detail17trampoline_kernelINS0_14default_configENS1_35radix_sort_onesweep_config_selectorImNS0_10empty_typeEEEZZNS1_29radix_sort_onesweep_iterationIS3_Lb0EPKmPmPS5_SB_mNS0_19identity_decomposerENS1_16block_id_wrapperIjLb1EEEEE10hipError_tT1_PNSt15iterator_traitsISG_E10value_typeET2_T3_PNSH_ISM_E10value_typeET4_T5_PSR_SS_PNS1_23onesweep_lookback_stateEbbT6_jjT7_P12ihipStream_tbENKUlT_T0_SG_SL_E_clIS9_SA_SB_SB_EEDaSZ_S10_SG_SL_EUlSZ_E_NS1_11comp_targetILNS1_3genE2ELNS1_11target_archE906ELNS1_3gpuE6ELNS1_3repE0EEENS1_47radix_sort_onesweep_sort_config_static_selectorELNS0_4arch9wavefront6targetE0EEEvSG_.has_dyn_sized_stack, 0
	.set _ZN7rocprim17ROCPRIM_400000_NS6detail17trampoline_kernelINS0_14default_configENS1_35radix_sort_onesweep_config_selectorImNS0_10empty_typeEEEZZNS1_29radix_sort_onesweep_iterationIS3_Lb0EPKmPmPS5_SB_mNS0_19identity_decomposerENS1_16block_id_wrapperIjLb1EEEEE10hipError_tT1_PNSt15iterator_traitsISG_E10value_typeET2_T3_PNSH_ISM_E10value_typeET4_T5_PSR_SS_PNS1_23onesweep_lookback_stateEbbT6_jjT7_P12ihipStream_tbENKUlT_T0_SG_SL_E_clIS9_SA_SB_SB_EEDaSZ_S10_SG_SL_EUlSZ_E_NS1_11comp_targetILNS1_3genE2ELNS1_11target_archE906ELNS1_3gpuE6ELNS1_3repE0EEENS1_47radix_sort_onesweep_sort_config_static_selectorELNS0_4arch9wavefront6targetE0EEEvSG_.has_recursion, 0
	.set _ZN7rocprim17ROCPRIM_400000_NS6detail17trampoline_kernelINS0_14default_configENS1_35radix_sort_onesweep_config_selectorImNS0_10empty_typeEEEZZNS1_29radix_sort_onesweep_iterationIS3_Lb0EPKmPmPS5_SB_mNS0_19identity_decomposerENS1_16block_id_wrapperIjLb1EEEEE10hipError_tT1_PNSt15iterator_traitsISG_E10value_typeET2_T3_PNSH_ISM_E10value_typeET4_T5_PSR_SS_PNS1_23onesweep_lookback_stateEbbT6_jjT7_P12ihipStream_tbENKUlT_T0_SG_SL_E_clIS9_SA_SB_SB_EEDaSZ_S10_SG_SL_EUlSZ_E_NS1_11comp_targetILNS1_3genE2ELNS1_11target_archE906ELNS1_3gpuE6ELNS1_3repE0EEENS1_47radix_sort_onesweep_sort_config_static_selectorELNS0_4arch9wavefront6targetE0EEEvSG_.has_indirect_call, 0
	.section	.AMDGPU.csdata,"",@progbits
; Kernel info:
; codeLenInByte = 0
; TotalNumSgprs: 0
; NumVgprs: 0
; ScratchSize: 0
; MemoryBound: 0
; FloatMode: 240
; IeeeMode: 1
; LDSByteSize: 0 bytes/workgroup (compile time only)
; SGPRBlocks: 0
; VGPRBlocks: 0
; NumSGPRsForWavesPerEU: 1
; NumVGPRsForWavesPerEU: 1
; NamedBarCnt: 0
; Occupancy: 16
; WaveLimiterHint : 0
; COMPUTE_PGM_RSRC2:SCRATCH_EN: 0
; COMPUTE_PGM_RSRC2:USER_SGPR: 2
; COMPUTE_PGM_RSRC2:TRAP_HANDLER: 0
; COMPUTE_PGM_RSRC2:TGID_X_EN: 1
; COMPUTE_PGM_RSRC2:TGID_Y_EN: 0
; COMPUTE_PGM_RSRC2:TGID_Z_EN: 0
; COMPUTE_PGM_RSRC2:TIDIG_COMP_CNT: 0
	.section	.text._ZN7rocprim17ROCPRIM_400000_NS6detail17trampoline_kernelINS0_14default_configENS1_35radix_sort_onesweep_config_selectorImNS0_10empty_typeEEEZZNS1_29radix_sort_onesweep_iterationIS3_Lb0EPKmPmPS5_SB_mNS0_19identity_decomposerENS1_16block_id_wrapperIjLb1EEEEE10hipError_tT1_PNSt15iterator_traitsISG_E10value_typeET2_T3_PNSH_ISM_E10value_typeET4_T5_PSR_SS_PNS1_23onesweep_lookback_stateEbbT6_jjT7_P12ihipStream_tbENKUlT_T0_SG_SL_E_clIS9_SA_SB_SB_EEDaSZ_S10_SG_SL_EUlSZ_E_NS1_11comp_targetILNS1_3genE4ELNS1_11target_archE910ELNS1_3gpuE8ELNS1_3repE0EEENS1_47radix_sort_onesweep_sort_config_static_selectorELNS0_4arch9wavefront6targetE0EEEvSG_,"axG",@progbits,_ZN7rocprim17ROCPRIM_400000_NS6detail17trampoline_kernelINS0_14default_configENS1_35radix_sort_onesweep_config_selectorImNS0_10empty_typeEEEZZNS1_29radix_sort_onesweep_iterationIS3_Lb0EPKmPmPS5_SB_mNS0_19identity_decomposerENS1_16block_id_wrapperIjLb1EEEEE10hipError_tT1_PNSt15iterator_traitsISG_E10value_typeET2_T3_PNSH_ISM_E10value_typeET4_T5_PSR_SS_PNS1_23onesweep_lookback_stateEbbT6_jjT7_P12ihipStream_tbENKUlT_T0_SG_SL_E_clIS9_SA_SB_SB_EEDaSZ_S10_SG_SL_EUlSZ_E_NS1_11comp_targetILNS1_3genE4ELNS1_11target_archE910ELNS1_3gpuE8ELNS1_3repE0EEENS1_47radix_sort_onesweep_sort_config_static_selectorELNS0_4arch9wavefront6targetE0EEEvSG_,comdat
	.protected	_ZN7rocprim17ROCPRIM_400000_NS6detail17trampoline_kernelINS0_14default_configENS1_35radix_sort_onesweep_config_selectorImNS0_10empty_typeEEEZZNS1_29radix_sort_onesweep_iterationIS3_Lb0EPKmPmPS5_SB_mNS0_19identity_decomposerENS1_16block_id_wrapperIjLb1EEEEE10hipError_tT1_PNSt15iterator_traitsISG_E10value_typeET2_T3_PNSH_ISM_E10value_typeET4_T5_PSR_SS_PNS1_23onesweep_lookback_stateEbbT6_jjT7_P12ihipStream_tbENKUlT_T0_SG_SL_E_clIS9_SA_SB_SB_EEDaSZ_S10_SG_SL_EUlSZ_E_NS1_11comp_targetILNS1_3genE4ELNS1_11target_archE910ELNS1_3gpuE8ELNS1_3repE0EEENS1_47radix_sort_onesweep_sort_config_static_selectorELNS0_4arch9wavefront6targetE0EEEvSG_ ; -- Begin function _ZN7rocprim17ROCPRIM_400000_NS6detail17trampoline_kernelINS0_14default_configENS1_35radix_sort_onesweep_config_selectorImNS0_10empty_typeEEEZZNS1_29radix_sort_onesweep_iterationIS3_Lb0EPKmPmPS5_SB_mNS0_19identity_decomposerENS1_16block_id_wrapperIjLb1EEEEE10hipError_tT1_PNSt15iterator_traitsISG_E10value_typeET2_T3_PNSH_ISM_E10value_typeET4_T5_PSR_SS_PNS1_23onesweep_lookback_stateEbbT6_jjT7_P12ihipStream_tbENKUlT_T0_SG_SL_E_clIS9_SA_SB_SB_EEDaSZ_S10_SG_SL_EUlSZ_E_NS1_11comp_targetILNS1_3genE4ELNS1_11target_archE910ELNS1_3gpuE8ELNS1_3repE0EEENS1_47radix_sort_onesweep_sort_config_static_selectorELNS0_4arch9wavefront6targetE0EEEvSG_
	.globl	_ZN7rocprim17ROCPRIM_400000_NS6detail17trampoline_kernelINS0_14default_configENS1_35radix_sort_onesweep_config_selectorImNS0_10empty_typeEEEZZNS1_29radix_sort_onesweep_iterationIS3_Lb0EPKmPmPS5_SB_mNS0_19identity_decomposerENS1_16block_id_wrapperIjLb1EEEEE10hipError_tT1_PNSt15iterator_traitsISG_E10value_typeET2_T3_PNSH_ISM_E10value_typeET4_T5_PSR_SS_PNS1_23onesweep_lookback_stateEbbT6_jjT7_P12ihipStream_tbENKUlT_T0_SG_SL_E_clIS9_SA_SB_SB_EEDaSZ_S10_SG_SL_EUlSZ_E_NS1_11comp_targetILNS1_3genE4ELNS1_11target_archE910ELNS1_3gpuE8ELNS1_3repE0EEENS1_47radix_sort_onesweep_sort_config_static_selectorELNS0_4arch9wavefront6targetE0EEEvSG_
	.p2align	8
	.type	_ZN7rocprim17ROCPRIM_400000_NS6detail17trampoline_kernelINS0_14default_configENS1_35radix_sort_onesweep_config_selectorImNS0_10empty_typeEEEZZNS1_29radix_sort_onesweep_iterationIS3_Lb0EPKmPmPS5_SB_mNS0_19identity_decomposerENS1_16block_id_wrapperIjLb1EEEEE10hipError_tT1_PNSt15iterator_traitsISG_E10value_typeET2_T3_PNSH_ISM_E10value_typeET4_T5_PSR_SS_PNS1_23onesweep_lookback_stateEbbT6_jjT7_P12ihipStream_tbENKUlT_T0_SG_SL_E_clIS9_SA_SB_SB_EEDaSZ_S10_SG_SL_EUlSZ_E_NS1_11comp_targetILNS1_3genE4ELNS1_11target_archE910ELNS1_3gpuE8ELNS1_3repE0EEENS1_47radix_sort_onesweep_sort_config_static_selectorELNS0_4arch9wavefront6targetE0EEEvSG_,@function
_ZN7rocprim17ROCPRIM_400000_NS6detail17trampoline_kernelINS0_14default_configENS1_35radix_sort_onesweep_config_selectorImNS0_10empty_typeEEEZZNS1_29radix_sort_onesweep_iterationIS3_Lb0EPKmPmPS5_SB_mNS0_19identity_decomposerENS1_16block_id_wrapperIjLb1EEEEE10hipError_tT1_PNSt15iterator_traitsISG_E10value_typeET2_T3_PNSH_ISM_E10value_typeET4_T5_PSR_SS_PNS1_23onesweep_lookback_stateEbbT6_jjT7_P12ihipStream_tbENKUlT_T0_SG_SL_E_clIS9_SA_SB_SB_EEDaSZ_S10_SG_SL_EUlSZ_E_NS1_11comp_targetILNS1_3genE4ELNS1_11target_archE910ELNS1_3gpuE8ELNS1_3repE0EEENS1_47radix_sort_onesweep_sort_config_static_selectorELNS0_4arch9wavefront6targetE0EEEvSG_: ; @_ZN7rocprim17ROCPRIM_400000_NS6detail17trampoline_kernelINS0_14default_configENS1_35radix_sort_onesweep_config_selectorImNS0_10empty_typeEEEZZNS1_29radix_sort_onesweep_iterationIS3_Lb0EPKmPmPS5_SB_mNS0_19identity_decomposerENS1_16block_id_wrapperIjLb1EEEEE10hipError_tT1_PNSt15iterator_traitsISG_E10value_typeET2_T3_PNSH_ISM_E10value_typeET4_T5_PSR_SS_PNS1_23onesweep_lookback_stateEbbT6_jjT7_P12ihipStream_tbENKUlT_T0_SG_SL_E_clIS9_SA_SB_SB_EEDaSZ_S10_SG_SL_EUlSZ_E_NS1_11comp_targetILNS1_3genE4ELNS1_11target_archE910ELNS1_3gpuE8ELNS1_3repE0EEENS1_47radix_sort_onesweep_sort_config_static_selectorELNS0_4arch9wavefront6targetE0EEEvSG_
; %bb.0:
	.section	.rodata,"a",@progbits
	.p2align	6, 0x0
	.amdhsa_kernel _ZN7rocprim17ROCPRIM_400000_NS6detail17trampoline_kernelINS0_14default_configENS1_35radix_sort_onesweep_config_selectorImNS0_10empty_typeEEEZZNS1_29radix_sort_onesweep_iterationIS3_Lb0EPKmPmPS5_SB_mNS0_19identity_decomposerENS1_16block_id_wrapperIjLb1EEEEE10hipError_tT1_PNSt15iterator_traitsISG_E10value_typeET2_T3_PNSH_ISM_E10value_typeET4_T5_PSR_SS_PNS1_23onesweep_lookback_stateEbbT6_jjT7_P12ihipStream_tbENKUlT_T0_SG_SL_E_clIS9_SA_SB_SB_EEDaSZ_S10_SG_SL_EUlSZ_E_NS1_11comp_targetILNS1_3genE4ELNS1_11target_archE910ELNS1_3gpuE8ELNS1_3repE0EEENS1_47radix_sort_onesweep_sort_config_static_selectorELNS0_4arch9wavefront6targetE0EEEvSG_
		.amdhsa_group_segment_fixed_size 0
		.amdhsa_private_segment_fixed_size 0
		.amdhsa_kernarg_size 88
		.amdhsa_user_sgpr_count 2
		.amdhsa_user_sgpr_dispatch_ptr 0
		.amdhsa_user_sgpr_queue_ptr 0
		.amdhsa_user_sgpr_kernarg_segment_ptr 1
		.amdhsa_user_sgpr_dispatch_id 0
		.amdhsa_user_sgpr_kernarg_preload_length 0
		.amdhsa_user_sgpr_kernarg_preload_offset 0
		.amdhsa_user_sgpr_private_segment_size 0
		.amdhsa_wavefront_size32 1
		.amdhsa_uses_dynamic_stack 0
		.amdhsa_enable_private_segment 0
		.amdhsa_system_sgpr_workgroup_id_x 1
		.amdhsa_system_sgpr_workgroup_id_y 0
		.amdhsa_system_sgpr_workgroup_id_z 0
		.amdhsa_system_sgpr_workgroup_info 0
		.amdhsa_system_vgpr_workitem_id 0
		.amdhsa_next_free_vgpr 1
		.amdhsa_next_free_sgpr 1
		.amdhsa_named_barrier_count 0
		.amdhsa_reserve_vcc 0
		.amdhsa_float_round_mode_32 0
		.amdhsa_float_round_mode_16_64 0
		.amdhsa_float_denorm_mode_32 3
		.amdhsa_float_denorm_mode_16_64 3
		.amdhsa_fp16_overflow 0
		.amdhsa_memory_ordered 1
		.amdhsa_forward_progress 1
		.amdhsa_inst_pref_size 0
		.amdhsa_round_robin_scheduling 0
		.amdhsa_exception_fp_ieee_invalid_op 0
		.amdhsa_exception_fp_denorm_src 0
		.amdhsa_exception_fp_ieee_div_zero 0
		.amdhsa_exception_fp_ieee_overflow 0
		.amdhsa_exception_fp_ieee_underflow 0
		.amdhsa_exception_fp_ieee_inexact 0
		.amdhsa_exception_int_div_zero 0
	.end_amdhsa_kernel
	.section	.text._ZN7rocprim17ROCPRIM_400000_NS6detail17trampoline_kernelINS0_14default_configENS1_35radix_sort_onesweep_config_selectorImNS0_10empty_typeEEEZZNS1_29radix_sort_onesweep_iterationIS3_Lb0EPKmPmPS5_SB_mNS0_19identity_decomposerENS1_16block_id_wrapperIjLb1EEEEE10hipError_tT1_PNSt15iterator_traitsISG_E10value_typeET2_T3_PNSH_ISM_E10value_typeET4_T5_PSR_SS_PNS1_23onesweep_lookback_stateEbbT6_jjT7_P12ihipStream_tbENKUlT_T0_SG_SL_E_clIS9_SA_SB_SB_EEDaSZ_S10_SG_SL_EUlSZ_E_NS1_11comp_targetILNS1_3genE4ELNS1_11target_archE910ELNS1_3gpuE8ELNS1_3repE0EEENS1_47radix_sort_onesweep_sort_config_static_selectorELNS0_4arch9wavefront6targetE0EEEvSG_,"axG",@progbits,_ZN7rocprim17ROCPRIM_400000_NS6detail17trampoline_kernelINS0_14default_configENS1_35radix_sort_onesweep_config_selectorImNS0_10empty_typeEEEZZNS1_29radix_sort_onesweep_iterationIS3_Lb0EPKmPmPS5_SB_mNS0_19identity_decomposerENS1_16block_id_wrapperIjLb1EEEEE10hipError_tT1_PNSt15iterator_traitsISG_E10value_typeET2_T3_PNSH_ISM_E10value_typeET4_T5_PSR_SS_PNS1_23onesweep_lookback_stateEbbT6_jjT7_P12ihipStream_tbENKUlT_T0_SG_SL_E_clIS9_SA_SB_SB_EEDaSZ_S10_SG_SL_EUlSZ_E_NS1_11comp_targetILNS1_3genE4ELNS1_11target_archE910ELNS1_3gpuE8ELNS1_3repE0EEENS1_47radix_sort_onesweep_sort_config_static_selectorELNS0_4arch9wavefront6targetE0EEEvSG_,comdat
.Lfunc_end2995:
	.size	_ZN7rocprim17ROCPRIM_400000_NS6detail17trampoline_kernelINS0_14default_configENS1_35radix_sort_onesweep_config_selectorImNS0_10empty_typeEEEZZNS1_29radix_sort_onesweep_iterationIS3_Lb0EPKmPmPS5_SB_mNS0_19identity_decomposerENS1_16block_id_wrapperIjLb1EEEEE10hipError_tT1_PNSt15iterator_traitsISG_E10value_typeET2_T3_PNSH_ISM_E10value_typeET4_T5_PSR_SS_PNS1_23onesweep_lookback_stateEbbT6_jjT7_P12ihipStream_tbENKUlT_T0_SG_SL_E_clIS9_SA_SB_SB_EEDaSZ_S10_SG_SL_EUlSZ_E_NS1_11comp_targetILNS1_3genE4ELNS1_11target_archE910ELNS1_3gpuE8ELNS1_3repE0EEENS1_47radix_sort_onesweep_sort_config_static_selectorELNS0_4arch9wavefront6targetE0EEEvSG_, .Lfunc_end2995-_ZN7rocprim17ROCPRIM_400000_NS6detail17trampoline_kernelINS0_14default_configENS1_35radix_sort_onesweep_config_selectorImNS0_10empty_typeEEEZZNS1_29radix_sort_onesweep_iterationIS3_Lb0EPKmPmPS5_SB_mNS0_19identity_decomposerENS1_16block_id_wrapperIjLb1EEEEE10hipError_tT1_PNSt15iterator_traitsISG_E10value_typeET2_T3_PNSH_ISM_E10value_typeET4_T5_PSR_SS_PNS1_23onesweep_lookback_stateEbbT6_jjT7_P12ihipStream_tbENKUlT_T0_SG_SL_E_clIS9_SA_SB_SB_EEDaSZ_S10_SG_SL_EUlSZ_E_NS1_11comp_targetILNS1_3genE4ELNS1_11target_archE910ELNS1_3gpuE8ELNS1_3repE0EEENS1_47radix_sort_onesweep_sort_config_static_selectorELNS0_4arch9wavefront6targetE0EEEvSG_
                                        ; -- End function
	.set _ZN7rocprim17ROCPRIM_400000_NS6detail17trampoline_kernelINS0_14default_configENS1_35radix_sort_onesweep_config_selectorImNS0_10empty_typeEEEZZNS1_29radix_sort_onesweep_iterationIS3_Lb0EPKmPmPS5_SB_mNS0_19identity_decomposerENS1_16block_id_wrapperIjLb1EEEEE10hipError_tT1_PNSt15iterator_traitsISG_E10value_typeET2_T3_PNSH_ISM_E10value_typeET4_T5_PSR_SS_PNS1_23onesweep_lookback_stateEbbT6_jjT7_P12ihipStream_tbENKUlT_T0_SG_SL_E_clIS9_SA_SB_SB_EEDaSZ_S10_SG_SL_EUlSZ_E_NS1_11comp_targetILNS1_3genE4ELNS1_11target_archE910ELNS1_3gpuE8ELNS1_3repE0EEENS1_47radix_sort_onesweep_sort_config_static_selectorELNS0_4arch9wavefront6targetE0EEEvSG_.num_vgpr, 0
	.set _ZN7rocprim17ROCPRIM_400000_NS6detail17trampoline_kernelINS0_14default_configENS1_35radix_sort_onesweep_config_selectorImNS0_10empty_typeEEEZZNS1_29radix_sort_onesweep_iterationIS3_Lb0EPKmPmPS5_SB_mNS0_19identity_decomposerENS1_16block_id_wrapperIjLb1EEEEE10hipError_tT1_PNSt15iterator_traitsISG_E10value_typeET2_T3_PNSH_ISM_E10value_typeET4_T5_PSR_SS_PNS1_23onesweep_lookback_stateEbbT6_jjT7_P12ihipStream_tbENKUlT_T0_SG_SL_E_clIS9_SA_SB_SB_EEDaSZ_S10_SG_SL_EUlSZ_E_NS1_11comp_targetILNS1_3genE4ELNS1_11target_archE910ELNS1_3gpuE8ELNS1_3repE0EEENS1_47radix_sort_onesweep_sort_config_static_selectorELNS0_4arch9wavefront6targetE0EEEvSG_.num_agpr, 0
	.set _ZN7rocprim17ROCPRIM_400000_NS6detail17trampoline_kernelINS0_14default_configENS1_35radix_sort_onesweep_config_selectorImNS0_10empty_typeEEEZZNS1_29radix_sort_onesweep_iterationIS3_Lb0EPKmPmPS5_SB_mNS0_19identity_decomposerENS1_16block_id_wrapperIjLb1EEEEE10hipError_tT1_PNSt15iterator_traitsISG_E10value_typeET2_T3_PNSH_ISM_E10value_typeET4_T5_PSR_SS_PNS1_23onesweep_lookback_stateEbbT6_jjT7_P12ihipStream_tbENKUlT_T0_SG_SL_E_clIS9_SA_SB_SB_EEDaSZ_S10_SG_SL_EUlSZ_E_NS1_11comp_targetILNS1_3genE4ELNS1_11target_archE910ELNS1_3gpuE8ELNS1_3repE0EEENS1_47radix_sort_onesweep_sort_config_static_selectorELNS0_4arch9wavefront6targetE0EEEvSG_.numbered_sgpr, 0
	.set _ZN7rocprim17ROCPRIM_400000_NS6detail17trampoline_kernelINS0_14default_configENS1_35radix_sort_onesweep_config_selectorImNS0_10empty_typeEEEZZNS1_29radix_sort_onesweep_iterationIS3_Lb0EPKmPmPS5_SB_mNS0_19identity_decomposerENS1_16block_id_wrapperIjLb1EEEEE10hipError_tT1_PNSt15iterator_traitsISG_E10value_typeET2_T3_PNSH_ISM_E10value_typeET4_T5_PSR_SS_PNS1_23onesweep_lookback_stateEbbT6_jjT7_P12ihipStream_tbENKUlT_T0_SG_SL_E_clIS9_SA_SB_SB_EEDaSZ_S10_SG_SL_EUlSZ_E_NS1_11comp_targetILNS1_3genE4ELNS1_11target_archE910ELNS1_3gpuE8ELNS1_3repE0EEENS1_47radix_sort_onesweep_sort_config_static_selectorELNS0_4arch9wavefront6targetE0EEEvSG_.num_named_barrier, 0
	.set _ZN7rocprim17ROCPRIM_400000_NS6detail17trampoline_kernelINS0_14default_configENS1_35radix_sort_onesweep_config_selectorImNS0_10empty_typeEEEZZNS1_29radix_sort_onesweep_iterationIS3_Lb0EPKmPmPS5_SB_mNS0_19identity_decomposerENS1_16block_id_wrapperIjLb1EEEEE10hipError_tT1_PNSt15iterator_traitsISG_E10value_typeET2_T3_PNSH_ISM_E10value_typeET4_T5_PSR_SS_PNS1_23onesweep_lookback_stateEbbT6_jjT7_P12ihipStream_tbENKUlT_T0_SG_SL_E_clIS9_SA_SB_SB_EEDaSZ_S10_SG_SL_EUlSZ_E_NS1_11comp_targetILNS1_3genE4ELNS1_11target_archE910ELNS1_3gpuE8ELNS1_3repE0EEENS1_47radix_sort_onesweep_sort_config_static_selectorELNS0_4arch9wavefront6targetE0EEEvSG_.private_seg_size, 0
	.set _ZN7rocprim17ROCPRIM_400000_NS6detail17trampoline_kernelINS0_14default_configENS1_35radix_sort_onesweep_config_selectorImNS0_10empty_typeEEEZZNS1_29radix_sort_onesweep_iterationIS3_Lb0EPKmPmPS5_SB_mNS0_19identity_decomposerENS1_16block_id_wrapperIjLb1EEEEE10hipError_tT1_PNSt15iterator_traitsISG_E10value_typeET2_T3_PNSH_ISM_E10value_typeET4_T5_PSR_SS_PNS1_23onesweep_lookback_stateEbbT6_jjT7_P12ihipStream_tbENKUlT_T0_SG_SL_E_clIS9_SA_SB_SB_EEDaSZ_S10_SG_SL_EUlSZ_E_NS1_11comp_targetILNS1_3genE4ELNS1_11target_archE910ELNS1_3gpuE8ELNS1_3repE0EEENS1_47radix_sort_onesweep_sort_config_static_selectorELNS0_4arch9wavefront6targetE0EEEvSG_.uses_vcc, 0
	.set _ZN7rocprim17ROCPRIM_400000_NS6detail17trampoline_kernelINS0_14default_configENS1_35radix_sort_onesweep_config_selectorImNS0_10empty_typeEEEZZNS1_29radix_sort_onesweep_iterationIS3_Lb0EPKmPmPS5_SB_mNS0_19identity_decomposerENS1_16block_id_wrapperIjLb1EEEEE10hipError_tT1_PNSt15iterator_traitsISG_E10value_typeET2_T3_PNSH_ISM_E10value_typeET4_T5_PSR_SS_PNS1_23onesweep_lookback_stateEbbT6_jjT7_P12ihipStream_tbENKUlT_T0_SG_SL_E_clIS9_SA_SB_SB_EEDaSZ_S10_SG_SL_EUlSZ_E_NS1_11comp_targetILNS1_3genE4ELNS1_11target_archE910ELNS1_3gpuE8ELNS1_3repE0EEENS1_47radix_sort_onesweep_sort_config_static_selectorELNS0_4arch9wavefront6targetE0EEEvSG_.uses_flat_scratch, 0
	.set _ZN7rocprim17ROCPRIM_400000_NS6detail17trampoline_kernelINS0_14default_configENS1_35radix_sort_onesweep_config_selectorImNS0_10empty_typeEEEZZNS1_29radix_sort_onesweep_iterationIS3_Lb0EPKmPmPS5_SB_mNS0_19identity_decomposerENS1_16block_id_wrapperIjLb1EEEEE10hipError_tT1_PNSt15iterator_traitsISG_E10value_typeET2_T3_PNSH_ISM_E10value_typeET4_T5_PSR_SS_PNS1_23onesweep_lookback_stateEbbT6_jjT7_P12ihipStream_tbENKUlT_T0_SG_SL_E_clIS9_SA_SB_SB_EEDaSZ_S10_SG_SL_EUlSZ_E_NS1_11comp_targetILNS1_3genE4ELNS1_11target_archE910ELNS1_3gpuE8ELNS1_3repE0EEENS1_47radix_sort_onesweep_sort_config_static_selectorELNS0_4arch9wavefront6targetE0EEEvSG_.has_dyn_sized_stack, 0
	.set _ZN7rocprim17ROCPRIM_400000_NS6detail17trampoline_kernelINS0_14default_configENS1_35radix_sort_onesweep_config_selectorImNS0_10empty_typeEEEZZNS1_29radix_sort_onesweep_iterationIS3_Lb0EPKmPmPS5_SB_mNS0_19identity_decomposerENS1_16block_id_wrapperIjLb1EEEEE10hipError_tT1_PNSt15iterator_traitsISG_E10value_typeET2_T3_PNSH_ISM_E10value_typeET4_T5_PSR_SS_PNS1_23onesweep_lookback_stateEbbT6_jjT7_P12ihipStream_tbENKUlT_T0_SG_SL_E_clIS9_SA_SB_SB_EEDaSZ_S10_SG_SL_EUlSZ_E_NS1_11comp_targetILNS1_3genE4ELNS1_11target_archE910ELNS1_3gpuE8ELNS1_3repE0EEENS1_47radix_sort_onesweep_sort_config_static_selectorELNS0_4arch9wavefront6targetE0EEEvSG_.has_recursion, 0
	.set _ZN7rocprim17ROCPRIM_400000_NS6detail17trampoline_kernelINS0_14default_configENS1_35radix_sort_onesweep_config_selectorImNS0_10empty_typeEEEZZNS1_29radix_sort_onesweep_iterationIS3_Lb0EPKmPmPS5_SB_mNS0_19identity_decomposerENS1_16block_id_wrapperIjLb1EEEEE10hipError_tT1_PNSt15iterator_traitsISG_E10value_typeET2_T3_PNSH_ISM_E10value_typeET4_T5_PSR_SS_PNS1_23onesweep_lookback_stateEbbT6_jjT7_P12ihipStream_tbENKUlT_T0_SG_SL_E_clIS9_SA_SB_SB_EEDaSZ_S10_SG_SL_EUlSZ_E_NS1_11comp_targetILNS1_3genE4ELNS1_11target_archE910ELNS1_3gpuE8ELNS1_3repE0EEENS1_47radix_sort_onesweep_sort_config_static_selectorELNS0_4arch9wavefront6targetE0EEEvSG_.has_indirect_call, 0
	.section	.AMDGPU.csdata,"",@progbits
; Kernel info:
; codeLenInByte = 0
; TotalNumSgprs: 0
; NumVgprs: 0
; ScratchSize: 0
; MemoryBound: 0
; FloatMode: 240
; IeeeMode: 1
; LDSByteSize: 0 bytes/workgroup (compile time only)
; SGPRBlocks: 0
; VGPRBlocks: 0
; NumSGPRsForWavesPerEU: 1
; NumVGPRsForWavesPerEU: 1
; NamedBarCnt: 0
; Occupancy: 16
; WaveLimiterHint : 0
; COMPUTE_PGM_RSRC2:SCRATCH_EN: 0
; COMPUTE_PGM_RSRC2:USER_SGPR: 2
; COMPUTE_PGM_RSRC2:TRAP_HANDLER: 0
; COMPUTE_PGM_RSRC2:TGID_X_EN: 1
; COMPUTE_PGM_RSRC2:TGID_Y_EN: 0
; COMPUTE_PGM_RSRC2:TGID_Z_EN: 0
; COMPUTE_PGM_RSRC2:TIDIG_COMP_CNT: 0
	.section	.text._ZN7rocprim17ROCPRIM_400000_NS6detail17trampoline_kernelINS0_14default_configENS1_35radix_sort_onesweep_config_selectorImNS0_10empty_typeEEEZZNS1_29radix_sort_onesweep_iterationIS3_Lb0EPKmPmPS5_SB_mNS0_19identity_decomposerENS1_16block_id_wrapperIjLb1EEEEE10hipError_tT1_PNSt15iterator_traitsISG_E10value_typeET2_T3_PNSH_ISM_E10value_typeET4_T5_PSR_SS_PNS1_23onesweep_lookback_stateEbbT6_jjT7_P12ihipStream_tbENKUlT_T0_SG_SL_E_clIS9_SA_SB_SB_EEDaSZ_S10_SG_SL_EUlSZ_E_NS1_11comp_targetILNS1_3genE3ELNS1_11target_archE908ELNS1_3gpuE7ELNS1_3repE0EEENS1_47radix_sort_onesweep_sort_config_static_selectorELNS0_4arch9wavefront6targetE0EEEvSG_,"axG",@progbits,_ZN7rocprim17ROCPRIM_400000_NS6detail17trampoline_kernelINS0_14default_configENS1_35radix_sort_onesweep_config_selectorImNS0_10empty_typeEEEZZNS1_29radix_sort_onesweep_iterationIS3_Lb0EPKmPmPS5_SB_mNS0_19identity_decomposerENS1_16block_id_wrapperIjLb1EEEEE10hipError_tT1_PNSt15iterator_traitsISG_E10value_typeET2_T3_PNSH_ISM_E10value_typeET4_T5_PSR_SS_PNS1_23onesweep_lookback_stateEbbT6_jjT7_P12ihipStream_tbENKUlT_T0_SG_SL_E_clIS9_SA_SB_SB_EEDaSZ_S10_SG_SL_EUlSZ_E_NS1_11comp_targetILNS1_3genE3ELNS1_11target_archE908ELNS1_3gpuE7ELNS1_3repE0EEENS1_47radix_sort_onesweep_sort_config_static_selectorELNS0_4arch9wavefront6targetE0EEEvSG_,comdat
	.protected	_ZN7rocprim17ROCPRIM_400000_NS6detail17trampoline_kernelINS0_14default_configENS1_35radix_sort_onesweep_config_selectorImNS0_10empty_typeEEEZZNS1_29radix_sort_onesweep_iterationIS3_Lb0EPKmPmPS5_SB_mNS0_19identity_decomposerENS1_16block_id_wrapperIjLb1EEEEE10hipError_tT1_PNSt15iterator_traitsISG_E10value_typeET2_T3_PNSH_ISM_E10value_typeET4_T5_PSR_SS_PNS1_23onesweep_lookback_stateEbbT6_jjT7_P12ihipStream_tbENKUlT_T0_SG_SL_E_clIS9_SA_SB_SB_EEDaSZ_S10_SG_SL_EUlSZ_E_NS1_11comp_targetILNS1_3genE3ELNS1_11target_archE908ELNS1_3gpuE7ELNS1_3repE0EEENS1_47radix_sort_onesweep_sort_config_static_selectorELNS0_4arch9wavefront6targetE0EEEvSG_ ; -- Begin function _ZN7rocprim17ROCPRIM_400000_NS6detail17trampoline_kernelINS0_14default_configENS1_35radix_sort_onesweep_config_selectorImNS0_10empty_typeEEEZZNS1_29radix_sort_onesweep_iterationIS3_Lb0EPKmPmPS5_SB_mNS0_19identity_decomposerENS1_16block_id_wrapperIjLb1EEEEE10hipError_tT1_PNSt15iterator_traitsISG_E10value_typeET2_T3_PNSH_ISM_E10value_typeET4_T5_PSR_SS_PNS1_23onesweep_lookback_stateEbbT6_jjT7_P12ihipStream_tbENKUlT_T0_SG_SL_E_clIS9_SA_SB_SB_EEDaSZ_S10_SG_SL_EUlSZ_E_NS1_11comp_targetILNS1_3genE3ELNS1_11target_archE908ELNS1_3gpuE7ELNS1_3repE0EEENS1_47radix_sort_onesweep_sort_config_static_selectorELNS0_4arch9wavefront6targetE0EEEvSG_
	.globl	_ZN7rocprim17ROCPRIM_400000_NS6detail17trampoline_kernelINS0_14default_configENS1_35radix_sort_onesweep_config_selectorImNS0_10empty_typeEEEZZNS1_29radix_sort_onesweep_iterationIS3_Lb0EPKmPmPS5_SB_mNS0_19identity_decomposerENS1_16block_id_wrapperIjLb1EEEEE10hipError_tT1_PNSt15iterator_traitsISG_E10value_typeET2_T3_PNSH_ISM_E10value_typeET4_T5_PSR_SS_PNS1_23onesweep_lookback_stateEbbT6_jjT7_P12ihipStream_tbENKUlT_T0_SG_SL_E_clIS9_SA_SB_SB_EEDaSZ_S10_SG_SL_EUlSZ_E_NS1_11comp_targetILNS1_3genE3ELNS1_11target_archE908ELNS1_3gpuE7ELNS1_3repE0EEENS1_47radix_sort_onesweep_sort_config_static_selectorELNS0_4arch9wavefront6targetE0EEEvSG_
	.p2align	8
	.type	_ZN7rocprim17ROCPRIM_400000_NS6detail17trampoline_kernelINS0_14default_configENS1_35radix_sort_onesweep_config_selectorImNS0_10empty_typeEEEZZNS1_29radix_sort_onesweep_iterationIS3_Lb0EPKmPmPS5_SB_mNS0_19identity_decomposerENS1_16block_id_wrapperIjLb1EEEEE10hipError_tT1_PNSt15iterator_traitsISG_E10value_typeET2_T3_PNSH_ISM_E10value_typeET4_T5_PSR_SS_PNS1_23onesweep_lookback_stateEbbT6_jjT7_P12ihipStream_tbENKUlT_T0_SG_SL_E_clIS9_SA_SB_SB_EEDaSZ_S10_SG_SL_EUlSZ_E_NS1_11comp_targetILNS1_3genE3ELNS1_11target_archE908ELNS1_3gpuE7ELNS1_3repE0EEENS1_47radix_sort_onesweep_sort_config_static_selectorELNS0_4arch9wavefront6targetE0EEEvSG_,@function
_ZN7rocprim17ROCPRIM_400000_NS6detail17trampoline_kernelINS0_14default_configENS1_35radix_sort_onesweep_config_selectorImNS0_10empty_typeEEEZZNS1_29radix_sort_onesweep_iterationIS3_Lb0EPKmPmPS5_SB_mNS0_19identity_decomposerENS1_16block_id_wrapperIjLb1EEEEE10hipError_tT1_PNSt15iterator_traitsISG_E10value_typeET2_T3_PNSH_ISM_E10value_typeET4_T5_PSR_SS_PNS1_23onesweep_lookback_stateEbbT6_jjT7_P12ihipStream_tbENKUlT_T0_SG_SL_E_clIS9_SA_SB_SB_EEDaSZ_S10_SG_SL_EUlSZ_E_NS1_11comp_targetILNS1_3genE3ELNS1_11target_archE908ELNS1_3gpuE7ELNS1_3repE0EEENS1_47radix_sort_onesweep_sort_config_static_selectorELNS0_4arch9wavefront6targetE0EEEvSG_: ; @_ZN7rocprim17ROCPRIM_400000_NS6detail17trampoline_kernelINS0_14default_configENS1_35radix_sort_onesweep_config_selectorImNS0_10empty_typeEEEZZNS1_29radix_sort_onesweep_iterationIS3_Lb0EPKmPmPS5_SB_mNS0_19identity_decomposerENS1_16block_id_wrapperIjLb1EEEEE10hipError_tT1_PNSt15iterator_traitsISG_E10value_typeET2_T3_PNSH_ISM_E10value_typeET4_T5_PSR_SS_PNS1_23onesweep_lookback_stateEbbT6_jjT7_P12ihipStream_tbENKUlT_T0_SG_SL_E_clIS9_SA_SB_SB_EEDaSZ_S10_SG_SL_EUlSZ_E_NS1_11comp_targetILNS1_3genE3ELNS1_11target_archE908ELNS1_3gpuE7ELNS1_3repE0EEENS1_47radix_sort_onesweep_sort_config_static_selectorELNS0_4arch9wavefront6targetE0EEEvSG_
; %bb.0:
	.section	.rodata,"a",@progbits
	.p2align	6, 0x0
	.amdhsa_kernel _ZN7rocprim17ROCPRIM_400000_NS6detail17trampoline_kernelINS0_14default_configENS1_35radix_sort_onesweep_config_selectorImNS0_10empty_typeEEEZZNS1_29radix_sort_onesweep_iterationIS3_Lb0EPKmPmPS5_SB_mNS0_19identity_decomposerENS1_16block_id_wrapperIjLb1EEEEE10hipError_tT1_PNSt15iterator_traitsISG_E10value_typeET2_T3_PNSH_ISM_E10value_typeET4_T5_PSR_SS_PNS1_23onesweep_lookback_stateEbbT6_jjT7_P12ihipStream_tbENKUlT_T0_SG_SL_E_clIS9_SA_SB_SB_EEDaSZ_S10_SG_SL_EUlSZ_E_NS1_11comp_targetILNS1_3genE3ELNS1_11target_archE908ELNS1_3gpuE7ELNS1_3repE0EEENS1_47radix_sort_onesweep_sort_config_static_selectorELNS0_4arch9wavefront6targetE0EEEvSG_
		.amdhsa_group_segment_fixed_size 0
		.amdhsa_private_segment_fixed_size 0
		.amdhsa_kernarg_size 88
		.amdhsa_user_sgpr_count 2
		.amdhsa_user_sgpr_dispatch_ptr 0
		.amdhsa_user_sgpr_queue_ptr 0
		.amdhsa_user_sgpr_kernarg_segment_ptr 1
		.amdhsa_user_sgpr_dispatch_id 0
		.amdhsa_user_sgpr_kernarg_preload_length 0
		.amdhsa_user_sgpr_kernarg_preload_offset 0
		.amdhsa_user_sgpr_private_segment_size 0
		.amdhsa_wavefront_size32 1
		.amdhsa_uses_dynamic_stack 0
		.amdhsa_enable_private_segment 0
		.amdhsa_system_sgpr_workgroup_id_x 1
		.amdhsa_system_sgpr_workgroup_id_y 0
		.amdhsa_system_sgpr_workgroup_id_z 0
		.amdhsa_system_sgpr_workgroup_info 0
		.amdhsa_system_vgpr_workitem_id 0
		.amdhsa_next_free_vgpr 1
		.amdhsa_next_free_sgpr 1
		.amdhsa_named_barrier_count 0
		.amdhsa_reserve_vcc 0
		.amdhsa_float_round_mode_32 0
		.amdhsa_float_round_mode_16_64 0
		.amdhsa_float_denorm_mode_32 3
		.amdhsa_float_denorm_mode_16_64 3
		.amdhsa_fp16_overflow 0
		.amdhsa_memory_ordered 1
		.amdhsa_forward_progress 1
		.amdhsa_inst_pref_size 0
		.amdhsa_round_robin_scheduling 0
		.amdhsa_exception_fp_ieee_invalid_op 0
		.amdhsa_exception_fp_denorm_src 0
		.amdhsa_exception_fp_ieee_div_zero 0
		.amdhsa_exception_fp_ieee_overflow 0
		.amdhsa_exception_fp_ieee_underflow 0
		.amdhsa_exception_fp_ieee_inexact 0
		.amdhsa_exception_int_div_zero 0
	.end_amdhsa_kernel
	.section	.text._ZN7rocprim17ROCPRIM_400000_NS6detail17trampoline_kernelINS0_14default_configENS1_35radix_sort_onesweep_config_selectorImNS0_10empty_typeEEEZZNS1_29radix_sort_onesweep_iterationIS3_Lb0EPKmPmPS5_SB_mNS0_19identity_decomposerENS1_16block_id_wrapperIjLb1EEEEE10hipError_tT1_PNSt15iterator_traitsISG_E10value_typeET2_T3_PNSH_ISM_E10value_typeET4_T5_PSR_SS_PNS1_23onesweep_lookback_stateEbbT6_jjT7_P12ihipStream_tbENKUlT_T0_SG_SL_E_clIS9_SA_SB_SB_EEDaSZ_S10_SG_SL_EUlSZ_E_NS1_11comp_targetILNS1_3genE3ELNS1_11target_archE908ELNS1_3gpuE7ELNS1_3repE0EEENS1_47radix_sort_onesweep_sort_config_static_selectorELNS0_4arch9wavefront6targetE0EEEvSG_,"axG",@progbits,_ZN7rocprim17ROCPRIM_400000_NS6detail17trampoline_kernelINS0_14default_configENS1_35radix_sort_onesweep_config_selectorImNS0_10empty_typeEEEZZNS1_29radix_sort_onesweep_iterationIS3_Lb0EPKmPmPS5_SB_mNS0_19identity_decomposerENS1_16block_id_wrapperIjLb1EEEEE10hipError_tT1_PNSt15iterator_traitsISG_E10value_typeET2_T3_PNSH_ISM_E10value_typeET4_T5_PSR_SS_PNS1_23onesweep_lookback_stateEbbT6_jjT7_P12ihipStream_tbENKUlT_T0_SG_SL_E_clIS9_SA_SB_SB_EEDaSZ_S10_SG_SL_EUlSZ_E_NS1_11comp_targetILNS1_3genE3ELNS1_11target_archE908ELNS1_3gpuE7ELNS1_3repE0EEENS1_47radix_sort_onesweep_sort_config_static_selectorELNS0_4arch9wavefront6targetE0EEEvSG_,comdat
.Lfunc_end2996:
	.size	_ZN7rocprim17ROCPRIM_400000_NS6detail17trampoline_kernelINS0_14default_configENS1_35radix_sort_onesweep_config_selectorImNS0_10empty_typeEEEZZNS1_29radix_sort_onesweep_iterationIS3_Lb0EPKmPmPS5_SB_mNS0_19identity_decomposerENS1_16block_id_wrapperIjLb1EEEEE10hipError_tT1_PNSt15iterator_traitsISG_E10value_typeET2_T3_PNSH_ISM_E10value_typeET4_T5_PSR_SS_PNS1_23onesweep_lookback_stateEbbT6_jjT7_P12ihipStream_tbENKUlT_T0_SG_SL_E_clIS9_SA_SB_SB_EEDaSZ_S10_SG_SL_EUlSZ_E_NS1_11comp_targetILNS1_3genE3ELNS1_11target_archE908ELNS1_3gpuE7ELNS1_3repE0EEENS1_47radix_sort_onesweep_sort_config_static_selectorELNS0_4arch9wavefront6targetE0EEEvSG_, .Lfunc_end2996-_ZN7rocprim17ROCPRIM_400000_NS6detail17trampoline_kernelINS0_14default_configENS1_35radix_sort_onesweep_config_selectorImNS0_10empty_typeEEEZZNS1_29radix_sort_onesweep_iterationIS3_Lb0EPKmPmPS5_SB_mNS0_19identity_decomposerENS1_16block_id_wrapperIjLb1EEEEE10hipError_tT1_PNSt15iterator_traitsISG_E10value_typeET2_T3_PNSH_ISM_E10value_typeET4_T5_PSR_SS_PNS1_23onesweep_lookback_stateEbbT6_jjT7_P12ihipStream_tbENKUlT_T0_SG_SL_E_clIS9_SA_SB_SB_EEDaSZ_S10_SG_SL_EUlSZ_E_NS1_11comp_targetILNS1_3genE3ELNS1_11target_archE908ELNS1_3gpuE7ELNS1_3repE0EEENS1_47radix_sort_onesweep_sort_config_static_selectorELNS0_4arch9wavefront6targetE0EEEvSG_
                                        ; -- End function
	.set _ZN7rocprim17ROCPRIM_400000_NS6detail17trampoline_kernelINS0_14default_configENS1_35radix_sort_onesweep_config_selectorImNS0_10empty_typeEEEZZNS1_29radix_sort_onesweep_iterationIS3_Lb0EPKmPmPS5_SB_mNS0_19identity_decomposerENS1_16block_id_wrapperIjLb1EEEEE10hipError_tT1_PNSt15iterator_traitsISG_E10value_typeET2_T3_PNSH_ISM_E10value_typeET4_T5_PSR_SS_PNS1_23onesweep_lookback_stateEbbT6_jjT7_P12ihipStream_tbENKUlT_T0_SG_SL_E_clIS9_SA_SB_SB_EEDaSZ_S10_SG_SL_EUlSZ_E_NS1_11comp_targetILNS1_3genE3ELNS1_11target_archE908ELNS1_3gpuE7ELNS1_3repE0EEENS1_47radix_sort_onesweep_sort_config_static_selectorELNS0_4arch9wavefront6targetE0EEEvSG_.num_vgpr, 0
	.set _ZN7rocprim17ROCPRIM_400000_NS6detail17trampoline_kernelINS0_14default_configENS1_35radix_sort_onesweep_config_selectorImNS0_10empty_typeEEEZZNS1_29radix_sort_onesweep_iterationIS3_Lb0EPKmPmPS5_SB_mNS0_19identity_decomposerENS1_16block_id_wrapperIjLb1EEEEE10hipError_tT1_PNSt15iterator_traitsISG_E10value_typeET2_T3_PNSH_ISM_E10value_typeET4_T5_PSR_SS_PNS1_23onesweep_lookback_stateEbbT6_jjT7_P12ihipStream_tbENKUlT_T0_SG_SL_E_clIS9_SA_SB_SB_EEDaSZ_S10_SG_SL_EUlSZ_E_NS1_11comp_targetILNS1_3genE3ELNS1_11target_archE908ELNS1_3gpuE7ELNS1_3repE0EEENS1_47radix_sort_onesweep_sort_config_static_selectorELNS0_4arch9wavefront6targetE0EEEvSG_.num_agpr, 0
	.set _ZN7rocprim17ROCPRIM_400000_NS6detail17trampoline_kernelINS0_14default_configENS1_35radix_sort_onesweep_config_selectorImNS0_10empty_typeEEEZZNS1_29radix_sort_onesweep_iterationIS3_Lb0EPKmPmPS5_SB_mNS0_19identity_decomposerENS1_16block_id_wrapperIjLb1EEEEE10hipError_tT1_PNSt15iterator_traitsISG_E10value_typeET2_T3_PNSH_ISM_E10value_typeET4_T5_PSR_SS_PNS1_23onesweep_lookback_stateEbbT6_jjT7_P12ihipStream_tbENKUlT_T0_SG_SL_E_clIS9_SA_SB_SB_EEDaSZ_S10_SG_SL_EUlSZ_E_NS1_11comp_targetILNS1_3genE3ELNS1_11target_archE908ELNS1_3gpuE7ELNS1_3repE0EEENS1_47radix_sort_onesweep_sort_config_static_selectorELNS0_4arch9wavefront6targetE0EEEvSG_.numbered_sgpr, 0
	.set _ZN7rocprim17ROCPRIM_400000_NS6detail17trampoline_kernelINS0_14default_configENS1_35radix_sort_onesweep_config_selectorImNS0_10empty_typeEEEZZNS1_29radix_sort_onesweep_iterationIS3_Lb0EPKmPmPS5_SB_mNS0_19identity_decomposerENS1_16block_id_wrapperIjLb1EEEEE10hipError_tT1_PNSt15iterator_traitsISG_E10value_typeET2_T3_PNSH_ISM_E10value_typeET4_T5_PSR_SS_PNS1_23onesweep_lookback_stateEbbT6_jjT7_P12ihipStream_tbENKUlT_T0_SG_SL_E_clIS9_SA_SB_SB_EEDaSZ_S10_SG_SL_EUlSZ_E_NS1_11comp_targetILNS1_3genE3ELNS1_11target_archE908ELNS1_3gpuE7ELNS1_3repE0EEENS1_47radix_sort_onesweep_sort_config_static_selectorELNS0_4arch9wavefront6targetE0EEEvSG_.num_named_barrier, 0
	.set _ZN7rocprim17ROCPRIM_400000_NS6detail17trampoline_kernelINS0_14default_configENS1_35radix_sort_onesweep_config_selectorImNS0_10empty_typeEEEZZNS1_29radix_sort_onesweep_iterationIS3_Lb0EPKmPmPS5_SB_mNS0_19identity_decomposerENS1_16block_id_wrapperIjLb1EEEEE10hipError_tT1_PNSt15iterator_traitsISG_E10value_typeET2_T3_PNSH_ISM_E10value_typeET4_T5_PSR_SS_PNS1_23onesweep_lookback_stateEbbT6_jjT7_P12ihipStream_tbENKUlT_T0_SG_SL_E_clIS9_SA_SB_SB_EEDaSZ_S10_SG_SL_EUlSZ_E_NS1_11comp_targetILNS1_3genE3ELNS1_11target_archE908ELNS1_3gpuE7ELNS1_3repE0EEENS1_47radix_sort_onesweep_sort_config_static_selectorELNS0_4arch9wavefront6targetE0EEEvSG_.private_seg_size, 0
	.set _ZN7rocprim17ROCPRIM_400000_NS6detail17trampoline_kernelINS0_14default_configENS1_35radix_sort_onesweep_config_selectorImNS0_10empty_typeEEEZZNS1_29radix_sort_onesweep_iterationIS3_Lb0EPKmPmPS5_SB_mNS0_19identity_decomposerENS1_16block_id_wrapperIjLb1EEEEE10hipError_tT1_PNSt15iterator_traitsISG_E10value_typeET2_T3_PNSH_ISM_E10value_typeET4_T5_PSR_SS_PNS1_23onesweep_lookback_stateEbbT6_jjT7_P12ihipStream_tbENKUlT_T0_SG_SL_E_clIS9_SA_SB_SB_EEDaSZ_S10_SG_SL_EUlSZ_E_NS1_11comp_targetILNS1_3genE3ELNS1_11target_archE908ELNS1_3gpuE7ELNS1_3repE0EEENS1_47radix_sort_onesweep_sort_config_static_selectorELNS0_4arch9wavefront6targetE0EEEvSG_.uses_vcc, 0
	.set _ZN7rocprim17ROCPRIM_400000_NS6detail17trampoline_kernelINS0_14default_configENS1_35radix_sort_onesweep_config_selectorImNS0_10empty_typeEEEZZNS1_29radix_sort_onesweep_iterationIS3_Lb0EPKmPmPS5_SB_mNS0_19identity_decomposerENS1_16block_id_wrapperIjLb1EEEEE10hipError_tT1_PNSt15iterator_traitsISG_E10value_typeET2_T3_PNSH_ISM_E10value_typeET4_T5_PSR_SS_PNS1_23onesweep_lookback_stateEbbT6_jjT7_P12ihipStream_tbENKUlT_T0_SG_SL_E_clIS9_SA_SB_SB_EEDaSZ_S10_SG_SL_EUlSZ_E_NS1_11comp_targetILNS1_3genE3ELNS1_11target_archE908ELNS1_3gpuE7ELNS1_3repE0EEENS1_47radix_sort_onesweep_sort_config_static_selectorELNS0_4arch9wavefront6targetE0EEEvSG_.uses_flat_scratch, 0
	.set _ZN7rocprim17ROCPRIM_400000_NS6detail17trampoline_kernelINS0_14default_configENS1_35radix_sort_onesweep_config_selectorImNS0_10empty_typeEEEZZNS1_29radix_sort_onesweep_iterationIS3_Lb0EPKmPmPS5_SB_mNS0_19identity_decomposerENS1_16block_id_wrapperIjLb1EEEEE10hipError_tT1_PNSt15iterator_traitsISG_E10value_typeET2_T3_PNSH_ISM_E10value_typeET4_T5_PSR_SS_PNS1_23onesweep_lookback_stateEbbT6_jjT7_P12ihipStream_tbENKUlT_T0_SG_SL_E_clIS9_SA_SB_SB_EEDaSZ_S10_SG_SL_EUlSZ_E_NS1_11comp_targetILNS1_3genE3ELNS1_11target_archE908ELNS1_3gpuE7ELNS1_3repE0EEENS1_47radix_sort_onesweep_sort_config_static_selectorELNS0_4arch9wavefront6targetE0EEEvSG_.has_dyn_sized_stack, 0
	.set _ZN7rocprim17ROCPRIM_400000_NS6detail17trampoline_kernelINS0_14default_configENS1_35radix_sort_onesweep_config_selectorImNS0_10empty_typeEEEZZNS1_29radix_sort_onesweep_iterationIS3_Lb0EPKmPmPS5_SB_mNS0_19identity_decomposerENS1_16block_id_wrapperIjLb1EEEEE10hipError_tT1_PNSt15iterator_traitsISG_E10value_typeET2_T3_PNSH_ISM_E10value_typeET4_T5_PSR_SS_PNS1_23onesweep_lookback_stateEbbT6_jjT7_P12ihipStream_tbENKUlT_T0_SG_SL_E_clIS9_SA_SB_SB_EEDaSZ_S10_SG_SL_EUlSZ_E_NS1_11comp_targetILNS1_3genE3ELNS1_11target_archE908ELNS1_3gpuE7ELNS1_3repE0EEENS1_47radix_sort_onesweep_sort_config_static_selectorELNS0_4arch9wavefront6targetE0EEEvSG_.has_recursion, 0
	.set _ZN7rocprim17ROCPRIM_400000_NS6detail17trampoline_kernelINS0_14default_configENS1_35radix_sort_onesweep_config_selectorImNS0_10empty_typeEEEZZNS1_29radix_sort_onesweep_iterationIS3_Lb0EPKmPmPS5_SB_mNS0_19identity_decomposerENS1_16block_id_wrapperIjLb1EEEEE10hipError_tT1_PNSt15iterator_traitsISG_E10value_typeET2_T3_PNSH_ISM_E10value_typeET4_T5_PSR_SS_PNS1_23onesweep_lookback_stateEbbT6_jjT7_P12ihipStream_tbENKUlT_T0_SG_SL_E_clIS9_SA_SB_SB_EEDaSZ_S10_SG_SL_EUlSZ_E_NS1_11comp_targetILNS1_3genE3ELNS1_11target_archE908ELNS1_3gpuE7ELNS1_3repE0EEENS1_47radix_sort_onesweep_sort_config_static_selectorELNS0_4arch9wavefront6targetE0EEEvSG_.has_indirect_call, 0
	.section	.AMDGPU.csdata,"",@progbits
; Kernel info:
; codeLenInByte = 0
; TotalNumSgprs: 0
; NumVgprs: 0
; ScratchSize: 0
; MemoryBound: 0
; FloatMode: 240
; IeeeMode: 1
; LDSByteSize: 0 bytes/workgroup (compile time only)
; SGPRBlocks: 0
; VGPRBlocks: 0
; NumSGPRsForWavesPerEU: 1
; NumVGPRsForWavesPerEU: 1
; NamedBarCnt: 0
; Occupancy: 16
; WaveLimiterHint : 0
; COMPUTE_PGM_RSRC2:SCRATCH_EN: 0
; COMPUTE_PGM_RSRC2:USER_SGPR: 2
; COMPUTE_PGM_RSRC2:TRAP_HANDLER: 0
; COMPUTE_PGM_RSRC2:TGID_X_EN: 1
; COMPUTE_PGM_RSRC2:TGID_Y_EN: 0
; COMPUTE_PGM_RSRC2:TGID_Z_EN: 0
; COMPUTE_PGM_RSRC2:TIDIG_COMP_CNT: 0
	.section	.text._ZN7rocprim17ROCPRIM_400000_NS6detail17trampoline_kernelINS0_14default_configENS1_35radix_sort_onesweep_config_selectorImNS0_10empty_typeEEEZZNS1_29radix_sort_onesweep_iterationIS3_Lb0EPKmPmPS5_SB_mNS0_19identity_decomposerENS1_16block_id_wrapperIjLb1EEEEE10hipError_tT1_PNSt15iterator_traitsISG_E10value_typeET2_T3_PNSH_ISM_E10value_typeET4_T5_PSR_SS_PNS1_23onesweep_lookback_stateEbbT6_jjT7_P12ihipStream_tbENKUlT_T0_SG_SL_E_clIS9_SA_SB_SB_EEDaSZ_S10_SG_SL_EUlSZ_E_NS1_11comp_targetILNS1_3genE10ELNS1_11target_archE1201ELNS1_3gpuE5ELNS1_3repE0EEENS1_47radix_sort_onesweep_sort_config_static_selectorELNS0_4arch9wavefront6targetE0EEEvSG_,"axG",@progbits,_ZN7rocprim17ROCPRIM_400000_NS6detail17trampoline_kernelINS0_14default_configENS1_35radix_sort_onesweep_config_selectorImNS0_10empty_typeEEEZZNS1_29radix_sort_onesweep_iterationIS3_Lb0EPKmPmPS5_SB_mNS0_19identity_decomposerENS1_16block_id_wrapperIjLb1EEEEE10hipError_tT1_PNSt15iterator_traitsISG_E10value_typeET2_T3_PNSH_ISM_E10value_typeET4_T5_PSR_SS_PNS1_23onesweep_lookback_stateEbbT6_jjT7_P12ihipStream_tbENKUlT_T0_SG_SL_E_clIS9_SA_SB_SB_EEDaSZ_S10_SG_SL_EUlSZ_E_NS1_11comp_targetILNS1_3genE10ELNS1_11target_archE1201ELNS1_3gpuE5ELNS1_3repE0EEENS1_47radix_sort_onesweep_sort_config_static_selectorELNS0_4arch9wavefront6targetE0EEEvSG_,comdat
	.protected	_ZN7rocprim17ROCPRIM_400000_NS6detail17trampoline_kernelINS0_14default_configENS1_35radix_sort_onesweep_config_selectorImNS0_10empty_typeEEEZZNS1_29radix_sort_onesweep_iterationIS3_Lb0EPKmPmPS5_SB_mNS0_19identity_decomposerENS1_16block_id_wrapperIjLb1EEEEE10hipError_tT1_PNSt15iterator_traitsISG_E10value_typeET2_T3_PNSH_ISM_E10value_typeET4_T5_PSR_SS_PNS1_23onesweep_lookback_stateEbbT6_jjT7_P12ihipStream_tbENKUlT_T0_SG_SL_E_clIS9_SA_SB_SB_EEDaSZ_S10_SG_SL_EUlSZ_E_NS1_11comp_targetILNS1_3genE10ELNS1_11target_archE1201ELNS1_3gpuE5ELNS1_3repE0EEENS1_47radix_sort_onesweep_sort_config_static_selectorELNS0_4arch9wavefront6targetE0EEEvSG_ ; -- Begin function _ZN7rocprim17ROCPRIM_400000_NS6detail17trampoline_kernelINS0_14default_configENS1_35radix_sort_onesweep_config_selectorImNS0_10empty_typeEEEZZNS1_29radix_sort_onesweep_iterationIS3_Lb0EPKmPmPS5_SB_mNS0_19identity_decomposerENS1_16block_id_wrapperIjLb1EEEEE10hipError_tT1_PNSt15iterator_traitsISG_E10value_typeET2_T3_PNSH_ISM_E10value_typeET4_T5_PSR_SS_PNS1_23onesweep_lookback_stateEbbT6_jjT7_P12ihipStream_tbENKUlT_T0_SG_SL_E_clIS9_SA_SB_SB_EEDaSZ_S10_SG_SL_EUlSZ_E_NS1_11comp_targetILNS1_3genE10ELNS1_11target_archE1201ELNS1_3gpuE5ELNS1_3repE0EEENS1_47radix_sort_onesweep_sort_config_static_selectorELNS0_4arch9wavefront6targetE0EEEvSG_
	.globl	_ZN7rocprim17ROCPRIM_400000_NS6detail17trampoline_kernelINS0_14default_configENS1_35radix_sort_onesweep_config_selectorImNS0_10empty_typeEEEZZNS1_29radix_sort_onesweep_iterationIS3_Lb0EPKmPmPS5_SB_mNS0_19identity_decomposerENS1_16block_id_wrapperIjLb1EEEEE10hipError_tT1_PNSt15iterator_traitsISG_E10value_typeET2_T3_PNSH_ISM_E10value_typeET4_T5_PSR_SS_PNS1_23onesweep_lookback_stateEbbT6_jjT7_P12ihipStream_tbENKUlT_T0_SG_SL_E_clIS9_SA_SB_SB_EEDaSZ_S10_SG_SL_EUlSZ_E_NS1_11comp_targetILNS1_3genE10ELNS1_11target_archE1201ELNS1_3gpuE5ELNS1_3repE0EEENS1_47radix_sort_onesweep_sort_config_static_selectorELNS0_4arch9wavefront6targetE0EEEvSG_
	.p2align	8
	.type	_ZN7rocprim17ROCPRIM_400000_NS6detail17trampoline_kernelINS0_14default_configENS1_35radix_sort_onesweep_config_selectorImNS0_10empty_typeEEEZZNS1_29radix_sort_onesweep_iterationIS3_Lb0EPKmPmPS5_SB_mNS0_19identity_decomposerENS1_16block_id_wrapperIjLb1EEEEE10hipError_tT1_PNSt15iterator_traitsISG_E10value_typeET2_T3_PNSH_ISM_E10value_typeET4_T5_PSR_SS_PNS1_23onesweep_lookback_stateEbbT6_jjT7_P12ihipStream_tbENKUlT_T0_SG_SL_E_clIS9_SA_SB_SB_EEDaSZ_S10_SG_SL_EUlSZ_E_NS1_11comp_targetILNS1_3genE10ELNS1_11target_archE1201ELNS1_3gpuE5ELNS1_3repE0EEENS1_47radix_sort_onesweep_sort_config_static_selectorELNS0_4arch9wavefront6targetE0EEEvSG_,@function
_ZN7rocprim17ROCPRIM_400000_NS6detail17trampoline_kernelINS0_14default_configENS1_35radix_sort_onesweep_config_selectorImNS0_10empty_typeEEEZZNS1_29radix_sort_onesweep_iterationIS3_Lb0EPKmPmPS5_SB_mNS0_19identity_decomposerENS1_16block_id_wrapperIjLb1EEEEE10hipError_tT1_PNSt15iterator_traitsISG_E10value_typeET2_T3_PNSH_ISM_E10value_typeET4_T5_PSR_SS_PNS1_23onesweep_lookback_stateEbbT6_jjT7_P12ihipStream_tbENKUlT_T0_SG_SL_E_clIS9_SA_SB_SB_EEDaSZ_S10_SG_SL_EUlSZ_E_NS1_11comp_targetILNS1_3genE10ELNS1_11target_archE1201ELNS1_3gpuE5ELNS1_3repE0EEENS1_47radix_sort_onesweep_sort_config_static_selectorELNS0_4arch9wavefront6targetE0EEEvSG_: ; @_ZN7rocprim17ROCPRIM_400000_NS6detail17trampoline_kernelINS0_14default_configENS1_35radix_sort_onesweep_config_selectorImNS0_10empty_typeEEEZZNS1_29radix_sort_onesweep_iterationIS3_Lb0EPKmPmPS5_SB_mNS0_19identity_decomposerENS1_16block_id_wrapperIjLb1EEEEE10hipError_tT1_PNSt15iterator_traitsISG_E10value_typeET2_T3_PNSH_ISM_E10value_typeET4_T5_PSR_SS_PNS1_23onesweep_lookback_stateEbbT6_jjT7_P12ihipStream_tbENKUlT_T0_SG_SL_E_clIS9_SA_SB_SB_EEDaSZ_S10_SG_SL_EUlSZ_E_NS1_11comp_targetILNS1_3genE10ELNS1_11target_archE1201ELNS1_3gpuE5ELNS1_3repE0EEENS1_47radix_sort_onesweep_sort_config_static_selectorELNS0_4arch9wavefront6targetE0EEEvSG_
; %bb.0:
	.section	.rodata,"a",@progbits
	.p2align	6, 0x0
	.amdhsa_kernel _ZN7rocprim17ROCPRIM_400000_NS6detail17trampoline_kernelINS0_14default_configENS1_35radix_sort_onesweep_config_selectorImNS0_10empty_typeEEEZZNS1_29radix_sort_onesweep_iterationIS3_Lb0EPKmPmPS5_SB_mNS0_19identity_decomposerENS1_16block_id_wrapperIjLb1EEEEE10hipError_tT1_PNSt15iterator_traitsISG_E10value_typeET2_T3_PNSH_ISM_E10value_typeET4_T5_PSR_SS_PNS1_23onesweep_lookback_stateEbbT6_jjT7_P12ihipStream_tbENKUlT_T0_SG_SL_E_clIS9_SA_SB_SB_EEDaSZ_S10_SG_SL_EUlSZ_E_NS1_11comp_targetILNS1_3genE10ELNS1_11target_archE1201ELNS1_3gpuE5ELNS1_3repE0EEENS1_47radix_sort_onesweep_sort_config_static_selectorELNS0_4arch9wavefront6targetE0EEEvSG_
		.amdhsa_group_segment_fixed_size 0
		.amdhsa_private_segment_fixed_size 0
		.amdhsa_kernarg_size 88
		.amdhsa_user_sgpr_count 2
		.amdhsa_user_sgpr_dispatch_ptr 0
		.amdhsa_user_sgpr_queue_ptr 0
		.amdhsa_user_sgpr_kernarg_segment_ptr 1
		.amdhsa_user_sgpr_dispatch_id 0
		.amdhsa_user_sgpr_kernarg_preload_length 0
		.amdhsa_user_sgpr_kernarg_preload_offset 0
		.amdhsa_user_sgpr_private_segment_size 0
		.amdhsa_wavefront_size32 1
		.amdhsa_uses_dynamic_stack 0
		.amdhsa_enable_private_segment 0
		.amdhsa_system_sgpr_workgroup_id_x 1
		.amdhsa_system_sgpr_workgroup_id_y 0
		.amdhsa_system_sgpr_workgroup_id_z 0
		.amdhsa_system_sgpr_workgroup_info 0
		.amdhsa_system_vgpr_workitem_id 0
		.amdhsa_next_free_vgpr 1
		.amdhsa_next_free_sgpr 1
		.amdhsa_named_barrier_count 0
		.amdhsa_reserve_vcc 0
		.amdhsa_float_round_mode_32 0
		.amdhsa_float_round_mode_16_64 0
		.amdhsa_float_denorm_mode_32 3
		.amdhsa_float_denorm_mode_16_64 3
		.amdhsa_fp16_overflow 0
		.amdhsa_memory_ordered 1
		.amdhsa_forward_progress 1
		.amdhsa_inst_pref_size 0
		.amdhsa_round_robin_scheduling 0
		.amdhsa_exception_fp_ieee_invalid_op 0
		.amdhsa_exception_fp_denorm_src 0
		.amdhsa_exception_fp_ieee_div_zero 0
		.amdhsa_exception_fp_ieee_overflow 0
		.amdhsa_exception_fp_ieee_underflow 0
		.amdhsa_exception_fp_ieee_inexact 0
		.amdhsa_exception_int_div_zero 0
	.end_amdhsa_kernel
	.section	.text._ZN7rocprim17ROCPRIM_400000_NS6detail17trampoline_kernelINS0_14default_configENS1_35radix_sort_onesweep_config_selectorImNS0_10empty_typeEEEZZNS1_29radix_sort_onesweep_iterationIS3_Lb0EPKmPmPS5_SB_mNS0_19identity_decomposerENS1_16block_id_wrapperIjLb1EEEEE10hipError_tT1_PNSt15iterator_traitsISG_E10value_typeET2_T3_PNSH_ISM_E10value_typeET4_T5_PSR_SS_PNS1_23onesweep_lookback_stateEbbT6_jjT7_P12ihipStream_tbENKUlT_T0_SG_SL_E_clIS9_SA_SB_SB_EEDaSZ_S10_SG_SL_EUlSZ_E_NS1_11comp_targetILNS1_3genE10ELNS1_11target_archE1201ELNS1_3gpuE5ELNS1_3repE0EEENS1_47radix_sort_onesweep_sort_config_static_selectorELNS0_4arch9wavefront6targetE0EEEvSG_,"axG",@progbits,_ZN7rocprim17ROCPRIM_400000_NS6detail17trampoline_kernelINS0_14default_configENS1_35radix_sort_onesweep_config_selectorImNS0_10empty_typeEEEZZNS1_29radix_sort_onesweep_iterationIS3_Lb0EPKmPmPS5_SB_mNS0_19identity_decomposerENS1_16block_id_wrapperIjLb1EEEEE10hipError_tT1_PNSt15iterator_traitsISG_E10value_typeET2_T3_PNSH_ISM_E10value_typeET4_T5_PSR_SS_PNS1_23onesweep_lookback_stateEbbT6_jjT7_P12ihipStream_tbENKUlT_T0_SG_SL_E_clIS9_SA_SB_SB_EEDaSZ_S10_SG_SL_EUlSZ_E_NS1_11comp_targetILNS1_3genE10ELNS1_11target_archE1201ELNS1_3gpuE5ELNS1_3repE0EEENS1_47radix_sort_onesweep_sort_config_static_selectorELNS0_4arch9wavefront6targetE0EEEvSG_,comdat
.Lfunc_end2997:
	.size	_ZN7rocprim17ROCPRIM_400000_NS6detail17trampoline_kernelINS0_14default_configENS1_35radix_sort_onesweep_config_selectorImNS0_10empty_typeEEEZZNS1_29radix_sort_onesweep_iterationIS3_Lb0EPKmPmPS5_SB_mNS0_19identity_decomposerENS1_16block_id_wrapperIjLb1EEEEE10hipError_tT1_PNSt15iterator_traitsISG_E10value_typeET2_T3_PNSH_ISM_E10value_typeET4_T5_PSR_SS_PNS1_23onesweep_lookback_stateEbbT6_jjT7_P12ihipStream_tbENKUlT_T0_SG_SL_E_clIS9_SA_SB_SB_EEDaSZ_S10_SG_SL_EUlSZ_E_NS1_11comp_targetILNS1_3genE10ELNS1_11target_archE1201ELNS1_3gpuE5ELNS1_3repE0EEENS1_47radix_sort_onesweep_sort_config_static_selectorELNS0_4arch9wavefront6targetE0EEEvSG_, .Lfunc_end2997-_ZN7rocprim17ROCPRIM_400000_NS6detail17trampoline_kernelINS0_14default_configENS1_35radix_sort_onesweep_config_selectorImNS0_10empty_typeEEEZZNS1_29radix_sort_onesweep_iterationIS3_Lb0EPKmPmPS5_SB_mNS0_19identity_decomposerENS1_16block_id_wrapperIjLb1EEEEE10hipError_tT1_PNSt15iterator_traitsISG_E10value_typeET2_T3_PNSH_ISM_E10value_typeET4_T5_PSR_SS_PNS1_23onesweep_lookback_stateEbbT6_jjT7_P12ihipStream_tbENKUlT_T0_SG_SL_E_clIS9_SA_SB_SB_EEDaSZ_S10_SG_SL_EUlSZ_E_NS1_11comp_targetILNS1_3genE10ELNS1_11target_archE1201ELNS1_3gpuE5ELNS1_3repE0EEENS1_47radix_sort_onesweep_sort_config_static_selectorELNS0_4arch9wavefront6targetE0EEEvSG_
                                        ; -- End function
	.set _ZN7rocprim17ROCPRIM_400000_NS6detail17trampoline_kernelINS0_14default_configENS1_35radix_sort_onesweep_config_selectorImNS0_10empty_typeEEEZZNS1_29radix_sort_onesweep_iterationIS3_Lb0EPKmPmPS5_SB_mNS0_19identity_decomposerENS1_16block_id_wrapperIjLb1EEEEE10hipError_tT1_PNSt15iterator_traitsISG_E10value_typeET2_T3_PNSH_ISM_E10value_typeET4_T5_PSR_SS_PNS1_23onesweep_lookback_stateEbbT6_jjT7_P12ihipStream_tbENKUlT_T0_SG_SL_E_clIS9_SA_SB_SB_EEDaSZ_S10_SG_SL_EUlSZ_E_NS1_11comp_targetILNS1_3genE10ELNS1_11target_archE1201ELNS1_3gpuE5ELNS1_3repE0EEENS1_47radix_sort_onesweep_sort_config_static_selectorELNS0_4arch9wavefront6targetE0EEEvSG_.num_vgpr, 0
	.set _ZN7rocprim17ROCPRIM_400000_NS6detail17trampoline_kernelINS0_14default_configENS1_35radix_sort_onesweep_config_selectorImNS0_10empty_typeEEEZZNS1_29radix_sort_onesweep_iterationIS3_Lb0EPKmPmPS5_SB_mNS0_19identity_decomposerENS1_16block_id_wrapperIjLb1EEEEE10hipError_tT1_PNSt15iterator_traitsISG_E10value_typeET2_T3_PNSH_ISM_E10value_typeET4_T5_PSR_SS_PNS1_23onesweep_lookback_stateEbbT6_jjT7_P12ihipStream_tbENKUlT_T0_SG_SL_E_clIS9_SA_SB_SB_EEDaSZ_S10_SG_SL_EUlSZ_E_NS1_11comp_targetILNS1_3genE10ELNS1_11target_archE1201ELNS1_3gpuE5ELNS1_3repE0EEENS1_47radix_sort_onesweep_sort_config_static_selectorELNS0_4arch9wavefront6targetE0EEEvSG_.num_agpr, 0
	.set _ZN7rocprim17ROCPRIM_400000_NS6detail17trampoline_kernelINS0_14default_configENS1_35radix_sort_onesweep_config_selectorImNS0_10empty_typeEEEZZNS1_29radix_sort_onesweep_iterationIS3_Lb0EPKmPmPS5_SB_mNS0_19identity_decomposerENS1_16block_id_wrapperIjLb1EEEEE10hipError_tT1_PNSt15iterator_traitsISG_E10value_typeET2_T3_PNSH_ISM_E10value_typeET4_T5_PSR_SS_PNS1_23onesweep_lookback_stateEbbT6_jjT7_P12ihipStream_tbENKUlT_T0_SG_SL_E_clIS9_SA_SB_SB_EEDaSZ_S10_SG_SL_EUlSZ_E_NS1_11comp_targetILNS1_3genE10ELNS1_11target_archE1201ELNS1_3gpuE5ELNS1_3repE0EEENS1_47radix_sort_onesweep_sort_config_static_selectorELNS0_4arch9wavefront6targetE0EEEvSG_.numbered_sgpr, 0
	.set _ZN7rocprim17ROCPRIM_400000_NS6detail17trampoline_kernelINS0_14default_configENS1_35radix_sort_onesweep_config_selectorImNS0_10empty_typeEEEZZNS1_29radix_sort_onesweep_iterationIS3_Lb0EPKmPmPS5_SB_mNS0_19identity_decomposerENS1_16block_id_wrapperIjLb1EEEEE10hipError_tT1_PNSt15iterator_traitsISG_E10value_typeET2_T3_PNSH_ISM_E10value_typeET4_T5_PSR_SS_PNS1_23onesweep_lookback_stateEbbT6_jjT7_P12ihipStream_tbENKUlT_T0_SG_SL_E_clIS9_SA_SB_SB_EEDaSZ_S10_SG_SL_EUlSZ_E_NS1_11comp_targetILNS1_3genE10ELNS1_11target_archE1201ELNS1_3gpuE5ELNS1_3repE0EEENS1_47radix_sort_onesweep_sort_config_static_selectorELNS0_4arch9wavefront6targetE0EEEvSG_.num_named_barrier, 0
	.set _ZN7rocprim17ROCPRIM_400000_NS6detail17trampoline_kernelINS0_14default_configENS1_35radix_sort_onesweep_config_selectorImNS0_10empty_typeEEEZZNS1_29radix_sort_onesweep_iterationIS3_Lb0EPKmPmPS5_SB_mNS0_19identity_decomposerENS1_16block_id_wrapperIjLb1EEEEE10hipError_tT1_PNSt15iterator_traitsISG_E10value_typeET2_T3_PNSH_ISM_E10value_typeET4_T5_PSR_SS_PNS1_23onesweep_lookback_stateEbbT6_jjT7_P12ihipStream_tbENKUlT_T0_SG_SL_E_clIS9_SA_SB_SB_EEDaSZ_S10_SG_SL_EUlSZ_E_NS1_11comp_targetILNS1_3genE10ELNS1_11target_archE1201ELNS1_3gpuE5ELNS1_3repE0EEENS1_47radix_sort_onesweep_sort_config_static_selectorELNS0_4arch9wavefront6targetE0EEEvSG_.private_seg_size, 0
	.set _ZN7rocprim17ROCPRIM_400000_NS6detail17trampoline_kernelINS0_14default_configENS1_35radix_sort_onesweep_config_selectorImNS0_10empty_typeEEEZZNS1_29radix_sort_onesweep_iterationIS3_Lb0EPKmPmPS5_SB_mNS0_19identity_decomposerENS1_16block_id_wrapperIjLb1EEEEE10hipError_tT1_PNSt15iterator_traitsISG_E10value_typeET2_T3_PNSH_ISM_E10value_typeET4_T5_PSR_SS_PNS1_23onesweep_lookback_stateEbbT6_jjT7_P12ihipStream_tbENKUlT_T0_SG_SL_E_clIS9_SA_SB_SB_EEDaSZ_S10_SG_SL_EUlSZ_E_NS1_11comp_targetILNS1_3genE10ELNS1_11target_archE1201ELNS1_3gpuE5ELNS1_3repE0EEENS1_47radix_sort_onesweep_sort_config_static_selectorELNS0_4arch9wavefront6targetE0EEEvSG_.uses_vcc, 0
	.set _ZN7rocprim17ROCPRIM_400000_NS6detail17trampoline_kernelINS0_14default_configENS1_35radix_sort_onesweep_config_selectorImNS0_10empty_typeEEEZZNS1_29radix_sort_onesweep_iterationIS3_Lb0EPKmPmPS5_SB_mNS0_19identity_decomposerENS1_16block_id_wrapperIjLb1EEEEE10hipError_tT1_PNSt15iterator_traitsISG_E10value_typeET2_T3_PNSH_ISM_E10value_typeET4_T5_PSR_SS_PNS1_23onesweep_lookback_stateEbbT6_jjT7_P12ihipStream_tbENKUlT_T0_SG_SL_E_clIS9_SA_SB_SB_EEDaSZ_S10_SG_SL_EUlSZ_E_NS1_11comp_targetILNS1_3genE10ELNS1_11target_archE1201ELNS1_3gpuE5ELNS1_3repE0EEENS1_47radix_sort_onesweep_sort_config_static_selectorELNS0_4arch9wavefront6targetE0EEEvSG_.uses_flat_scratch, 0
	.set _ZN7rocprim17ROCPRIM_400000_NS6detail17trampoline_kernelINS0_14default_configENS1_35radix_sort_onesweep_config_selectorImNS0_10empty_typeEEEZZNS1_29radix_sort_onesweep_iterationIS3_Lb0EPKmPmPS5_SB_mNS0_19identity_decomposerENS1_16block_id_wrapperIjLb1EEEEE10hipError_tT1_PNSt15iterator_traitsISG_E10value_typeET2_T3_PNSH_ISM_E10value_typeET4_T5_PSR_SS_PNS1_23onesweep_lookback_stateEbbT6_jjT7_P12ihipStream_tbENKUlT_T0_SG_SL_E_clIS9_SA_SB_SB_EEDaSZ_S10_SG_SL_EUlSZ_E_NS1_11comp_targetILNS1_3genE10ELNS1_11target_archE1201ELNS1_3gpuE5ELNS1_3repE0EEENS1_47radix_sort_onesweep_sort_config_static_selectorELNS0_4arch9wavefront6targetE0EEEvSG_.has_dyn_sized_stack, 0
	.set _ZN7rocprim17ROCPRIM_400000_NS6detail17trampoline_kernelINS0_14default_configENS1_35radix_sort_onesweep_config_selectorImNS0_10empty_typeEEEZZNS1_29radix_sort_onesweep_iterationIS3_Lb0EPKmPmPS5_SB_mNS0_19identity_decomposerENS1_16block_id_wrapperIjLb1EEEEE10hipError_tT1_PNSt15iterator_traitsISG_E10value_typeET2_T3_PNSH_ISM_E10value_typeET4_T5_PSR_SS_PNS1_23onesweep_lookback_stateEbbT6_jjT7_P12ihipStream_tbENKUlT_T0_SG_SL_E_clIS9_SA_SB_SB_EEDaSZ_S10_SG_SL_EUlSZ_E_NS1_11comp_targetILNS1_3genE10ELNS1_11target_archE1201ELNS1_3gpuE5ELNS1_3repE0EEENS1_47radix_sort_onesweep_sort_config_static_selectorELNS0_4arch9wavefront6targetE0EEEvSG_.has_recursion, 0
	.set _ZN7rocprim17ROCPRIM_400000_NS6detail17trampoline_kernelINS0_14default_configENS1_35radix_sort_onesweep_config_selectorImNS0_10empty_typeEEEZZNS1_29radix_sort_onesweep_iterationIS3_Lb0EPKmPmPS5_SB_mNS0_19identity_decomposerENS1_16block_id_wrapperIjLb1EEEEE10hipError_tT1_PNSt15iterator_traitsISG_E10value_typeET2_T3_PNSH_ISM_E10value_typeET4_T5_PSR_SS_PNS1_23onesweep_lookback_stateEbbT6_jjT7_P12ihipStream_tbENKUlT_T0_SG_SL_E_clIS9_SA_SB_SB_EEDaSZ_S10_SG_SL_EUlSZ_E_NS1_11comp_targetILNS1_3genE10ELNS1_11target_archE1201ELNS1_3gpuE5ELNS1_3repE0EEENS1_47radix_sort_onesweep_sort_config_static_selectorELNS0_4arch9wavefront6targetE0EEEvSG_.has_indirect_call, 0
	.section	.AMDGPU.csdata,"",@progbits
; Kernel info:
; codeLenInByte = 0
; TotalNumSgprs: 0
; NumVgprs: 0
; ScratchSize: 0
; MemoryBound: 0
; FloatMode: 240
; IeeeMode: 1
; LDSByteSize: 0 bytes/workgroup (compile time only)
; SGPRBlocks: 0
; VGPRBlocks: 0
; NumSGPRsForWavesPerEU: 1
; NumVGPRsForWavesPerEU: 1
; NamedBarCnt: 0
; Occupancy: 16
; WaveLimiterHint : 0
; COMPUTE_PGM_RSRC2:SCRATCH_EN: 0
; COMPUTE_PGM_RSRC2:USER_SGPR: 2
; COMPUTE_PGM_RSRC2:TRAP_HANDLER: 0
; COMPUTE_PGM_RSRC2:TGID_X_EN: 1
; COMPUTE_PGM_RSRC2:TGID_Y_EN: 0
; COMPUTE_PGM_RSRC2:TGID_Z_EN: 0
; COMPUTE_PGM_RSRC2:TIDIG_COMP_CNT: 0
	.section	.text._ZN7rocprim17ROCPRIM_400000_NS6detail17trampoline_kernelINS0_14default_configENS1_35radix_sort_onesweep_config_selectorImNS0_10empty_typeEEEZZNS1_29radix_sort_onesweep_iterationIS3_Lb0EPKmPmPS5_SB_mNS0_19identity_decomposerENS1_16block_id_wrapperIjLb1EEEEE10hipError_tT1_PNSt15iterator_traitsISG_E10value_typeET2_T3_PNSH_ISM_E10value_typeET4_T5_PSR_SS_PNS1_23onesweep_lookback_stateEbbT6_jjT7_P12ihipStream_tbENKUlT_T0_SG_SL_E_clIS9_SA_SB_SB_EEDaSZ_S10_SG_SL_EUlSZ_E_NS1_11comp_targetILNS1_3genE9ELNS1_11target_archE1100ELNS1_3gpuE3ELNS1_3repE0EEENS1_47radix_sort_onesweep_sort_config_static_selectorELNS0_4arch9wavefront6targetE0EEEvSG_,"axG",@progbits,_ZN7rocprim17ROCPRIM_400000_NS6detail17trampoline_kernelINS0_14default_configENS1_35radix_sort_onesweep_config_selectorImNS0_10empty_typeEEEZZNS1_29radix_sort_onesweep_iterationIS3_Lb0EPKmPmPS5_SB_mNS0_19identity_decomposerENS1_16block_id_wrapperIjLb1EEEEE10hipError_tT1_PNSt15iterator_traitsISG_E10value_typeET2_T3_PNSH_ISM_E10value_typeET4_T5_PSR_SS_PNS1_23onesweep_lookback_stateEbbT6_jjT7_P12ihipStream_tbENKUlT_T0_SG_SL_E_clIS9_SA_SB_SB_EEDaSZ_S10_SG_SL_EUlSZ_E_NS1_11comp_targetILNS1_3genE9ELNS1_11target_archE1100ELNS1_3gpuE3ELNS1_3repE0EEENS1_47radix_sort_onesweep_sort_config_static_selectorELNS0_4arch9wavefront6targetE0EEEvSG_,comdat
	.protected	_ZN7rocprim17ROCPRIM_400000_NS6detail17trampoline_kernelINS0_14default_configENS1_35radix_sort_onesweep_config_selectorImNS0_10empty_typeEEEZZNS1_29radix_sort_onesweep_iterationIS3_Lb0EPKmPmPS5_SB_mNS0_19identity_decomposerENS1_16block_id_wrapperIjLb1EEEEE10hipError_tT1_PNSt15iterator_traitsISG_E10value_typeET2_T3_PNSH_ISM_E10value_typeET4_T5_PSR_SS_PNS1_23onesweep_lookback_stateEbbT6_jjT7_P12ihipStream_tbENKUlT_T0_SG_SL_E_clIS9_SA_SB_SB_EEDaSZ_S10_SG_SL_EUlSZ_E_NS1_11comp_targetILNS1_3genE9ELNS1_11target_archE1100ELNS1_3gpuE3ELNS1_3repE0EEENS1_47radix_sort_onesweep_sort_config_static_selectorELNS0_4arch9wavefront6targetE0EEEvSG_ ; -- Begin function _ZN7rocprim17ROCPRIM_400000_NS6detail17trampoline_kernelINS0_14default_configENS1_35radix_sort_onesweep_config_selectorImNS0_10empty_typeEEEZZNS1_29radix_sort_onesweep_iterationIS3_Lb0EPKmPmPS5_SB_mNS0_19identity_decomposerENS1_16block_id_wrapperIjLb1EEEEE10hipError_tT1_PNSt15iterator_traitsISG_E10value_typeET2_T3_PNSH_ISM_E10value_typeET4_T5_PSR_SS_PNS1_23onesweep_lookback_stateEbbT6_jjT7_P12ihipStream_tbENKUlT_T0_SG_SL_E_clIS9_SA_SB_SB_EEDaSZ_S10_SG_SL_EUlSZ_E_NS1_11comp_targetILNS1_3genE9ELNS1_11target_archE1100ELNS1_3gpuE3ELNS1_3repE0EEENS1_47radix_sort_onesweep_sort_config_static_selectorELNS0_4arch9wavefront6targetE0EEEvSG_
	.globl	_ZN7rocprim17ROCPRIM_400000_NS6detail17trampoline_kernelINS0_14default_configENS1_35radix_sort_onesweep_config_selectorImNS0_10empty_typeEEEZZNS1_29radix_sort_onesweep_iterationIS3_Lb0EPKmPmPS5_SB_mNS0_19identity_decomposerENS1_16block_id_wrapperIjLb1EEEEE10hipError_tT1_PNSt15iterator_traitsISG_E10value_typeET2_T3_PNSH_ISM_E10value_typeET4_T5_PSR_SS_PNS1_23onesweep_lookback_stateEbbT6_jjT7_P12ihipStream_tbENKUlT_T0_SG_SL_E_clIS9_SA_SB_SB_EEDaSZ_S10_SG_SL_EUlSZ_E_NS1_11comp_targetILNS1_3genE9ELNS1_11target_archE1100ELNS1_3gpuE3ELNS1_3repE0EEENS1_47radix_sort_onesweep_sort_config_static_selectorELNS0_4arch9wavefront6targetE0EEEvSG_
	.p2align	8
	.type	_ZN7rocprim17ROCPRIM_400000_NS6detail17trampoline_kernelINS0_14default_configENS1_35radix_sort_onesweep_config_selectorImNS0_10empty_typeEEEZZNS1_29radix_sort_onesweep_iterationIS3_Lb0EPKmPmPS5_SB_mNS0_19identity_decomposerENS1_16block_id_wrapperIjLb1EEEEE10hipError_tT1_PNSt15iterator_traitsISG_E10value_typeET2_T3_PNSH_ISM_E10value_typeET4_T5_PSR_SS_PNS1_23onesweep_lookback_stateEbbT6_jjT7_P12ihipStream_tbENKUlT_T0_SG_SL_E_clIS9_SA_SB_SB_EEDaSZ_S10_SG_SL_EUlSZ_E_NS1_11comp_targetILNS1_3genE9ELNS1_11target_archE1100ELNS1_3gpuE3ELNS1_3repE0EEENS1_47radix_sort_onesweep_sort_config_static_selectorELNS0_4arch9wavefront6targetE0EEEvSG_,@function
_ZN7rocprim17ROCPRIM_400000_NS6detail17trampoline_kernelINS0_14default_configENS1_35radix_sort_onesweep_config_selectorImNS0_10empty_typeEEEZZNS1_29radix_sort_onesweep_iterationIS3_Lb0EPKmPmPS5_SB_mNS0_19identity_decomposerENS1_16block_id_wrapperIjLb1EEEEE10hipError_tT1_PNSt15iterator_traitsISG_E10value_typeET2_T3_PNSH_ISM_E10value_typeET4_T5_PSR_SS_PNS1_23onesweep_lookback_stateEbbT6_jjT7_P12ihipStream_tbENKUlT_T0_SG_SL_E_clIS9_SA_SB_SB_EEDaSZ_S10_SG_SL_EUlSZ_E_NS1_11comp_targetILNS1_3genE9ELNS1_11target_archE1100ELNS1_3gpuE3ELNS1_3repE0EEENS1_47radix_sort_onesweep_sort_config_static_selectorELNS0_4arch9wavefront6targetE0EEEvSG_: ; @_ZN7rocprim17ROCPRIM_400000_NS6detail17trampoline_kernelINS0_14default_configENS1_35radix_sort_onesweep_config_selectorImNS0_10empty_typeEEEZZNS1_29radix_sort_onesweep_iterationIS3_Lb0EPKmPmPS5_SB_mNS0_19identity_decomposerENS1_16block_id_wrapperIjLb1EEEEE10hipError_tT1_PNSt15iterator_traitsISG_E10value_typeET2_T3_PNSH_ISM_E10value_typeET4_T5_PSR_SS_PNS1_23onesweep_lookback_stateEbbT6_jjT7_P12ihipStream_tbENKUlT_T0_SG_SL_E_clIS9_SA_SB_SB_EEDaSZ_S10_SG_SL_EUlSZ_E_NS1_11comp_targetILNS1_3genE9ELNS1_11target_archE1100ELNS1_3gpuE3ELNS1_3repE0EEENS1_47radix_sort_onesweep_sort_config_static_selectorELNS0_4arch9wavefront6targetE0EEEvSG_
; %bb.0:
	.section	.rodata,"a",@progbits
	.p2align	6, 0x0
	.amdhsa_kernel _ZN7rocprim17ROCPRIM_400000_NS6detail17trampoline_kernelINS0_14default_configENS1_35radix_sort_onesweep_config_selectorImNS0_10empty_typeEEEZZNS1_29radix_sort_onesweep_iterationIS3_Lb0EPKmPmPS5_SB_mNS0_19identity_decomposerENS1_16block_id_wrapperIjLb1EEEEE10hipError_tT1_PNSt15iterator_traitsISG_E10value_typeET2_T3_PNSH_ISM_E10value_typeET4_T5_PSR_SS_PNS1_23onesweep_lookback_stateEbbT6_jjT7_P12ihipStream_tbENKUlT_T0_SG_SL_E_clIS9_SA_SB_SB_EEDaSZ_S10_SG_SL_EUlSZ_E_NS1_11comp_targetILNS1_3genE9ELNS1_11target_archE1100ELNS1_3gpuE3ELNS1_3repE0EEENS1_47radix_sort_onesweep_sort_config_static_selectorELNS0_4arch9wavefront6targetE0EEEvSG_
		.amdhsa_group_segment_fixed_size 0
		.amdhsa_private_segment_fixed_size 0
		.amdhsa_kernarg_size 88
		.amdhsa_user_sgpr_count 2
		.amdhsa_user_sgpr_dispatch_ptr 0
		.amdhsa_user_sgpr_queue_ptr 0
		.amdhsa_user_sgpr_kernarg_segment_ptr 1
		.amdhsa_user_sgpr_dispatch_id 0
		.amdhsa_user_sgpr_kernarg_preload_length 0
		.amdhsa_user_sgpr_kernarg_preload_offset 0
		.amdhsa_user_sgpr_private_segment_size 0
		.amdhsa_wavefront_size32 1
		.amdhsa_uses_dynamic_stack 0
		.amdhsa_enable_private_segment 0
		.amdhsa_system_sgpr_workgroup_id_x 1
		.amdhsa_system_sgpr_workgroup_id_y 0
		.amdhsa_system_sgpr_workgroup_id_z 0
		.amdhsa_system_sgpr_workgroup_info 0
		.amdhsa_system_vgpr_workitem_id 0
		.amdhsa_next_free_vgpr 1
		.amdhsa_next_free_sgpr 1
		.amdhsa_named_barrier_count 0
		.amdhsa_reserve_vcc 0
		.amdhsa_float_round_mode_32 0
		.amdhsa_float_round_mode_16_64 0
		.amdhsa_float_denorm_mode_32 3
		.amdhsa_float_denorm_mode_16_64 3
		.amdhsa_fp16_overflow 0
		.amdhsa_memory_ordered 1
		.amdhsa_forward_progress 1
		.amdhsa_inst_pref_size 0
		.amdhsa_round_robin_scheduling 0
		.amdhsa_exception_fp_ieee_invalid_op 0
		.amdhsa_exception_fp_denorm_src 0
		.amdhsa_exception_fp_ieee_div_zero 0
		.amdhsa_exception_fp_ieee_overflow 0
		.amdhsa_exception_fp_ieee_underflow 0
		.amdhsa_exception_fp_ieee_inexact 0
		.amdhsa_exception_int_div_zero 0
	.end_amdhsa_kernel
	.section	.text._ZN7rocprim17ROCPRIM_400000_NS6detail17trampoline_kernelINS0_14default_configENS1_35radix_sort_onesweep_config_selectorImNS0_10empty_typeEEEZZNS1_29radix_sort_onesweep_iterationIS3_Lb0EPKmPmPS5_SB_mNS0_19identity_decomposerENS1_16block_id_wrapperIjLb1EEEEE10hipError_tT1_PNSt15iterator_traitsISG_E10value_typeET2_T3_PNSH_ISM_E10value_typeET4_T5_PSR_SS_PNS1_23onesweep_lookback_stateEbbT6_jjT7_P12ihipStream_tbENKUlT_T0_SG_SL_E_clIS9_SA_SB_SB_EEDaSZ_S10_SG_SL_EUlSZ_E_NS1_11comp_targetILNS1_3genE9ELNS1_11target_archE1100ELNS1_3gpuE3ELNS1_3repE0EEENS1_47radix_sort_onesweep_sort_config_static_selectorELNS0_4arch9wavefront6targetE0EEEvSG_,"axG",@progbits,_ZN7rocprim17ROCPRIM_400000_NS6detail17trampoline_kernelINS0_14default_configENS1_35radix_sort_onesweep_config_selectorImNS0_10empty_typeEEEZZNS1_29radix_sort_onesweep_iterationIS3_Lb0EPKmPmPS5_SB_mNS0_19identity_decomposerENS1_16block_id_wrapperIjLb1EEEEE10hipError_tT1_PNSt15iterator_traitsISG_E10value_typeET2_T3_PNSH_ISM_E10value_typeET4_T5_PSR_SS_PNS1_23onesweep_lookback_stateEbbT6_jjT7_P12ihipStream_tbENKUlT_T0_SG_SL_E_clIS9_SA_SB_SB_EEDaSZ_S10_SG_SL_EUlSZ_E_NS1_11comp_targetILNS1_3genE9ELNS1_11target_archE1100ELNS1_3gpuE3ELNS1_3repE0EEENS1_47radix_sort_onesweep_sort_config_static_selectorELNS0_4arch9wavefront6targetE0EEEvSG_,comdat
.Lfunc_end2998:
	.size	_ZN7rocprim17ROCPRIM_400000_NS6detail17trampoline_kernelINS0_14default_configENS1_35radix_sort_onesweep_config_selectorImNS0_10empty_typeEEEZZNS1_29radix_sort_onesweep_iterationIS3_Lb0EPKmPmPS5_SB_mNS0_19identity_decomposerENS1_16block_id_wrapperIjLb1EEEEE10hipError_tT1_PNSt15iterator_traitsISG_E10value_typeET2_T3_PNSH_ISM_E10value_typeET4_T5_PSR_SS_PNS1_23onesweep_lookback_stateEbbT6_jjT7_P12ihipStream_tbENKUlT_T0_SG_SL_E_clIS9_SA_SB_SB_EEDaSZ_S10_SG_SL_EUlSZ_E_NS1_11comp_targetILNS1_3genE9ELNS1_11target_archE1100ELNS1_3gpuE3ELNS1_3repE0EEENS1_47radix_sort_onesweep_sort_config_static_selectorELNS0_4arch9wavefront6targetE0EEEvSG_, .Lfunc_end2998-_ZN7rocprim17ROCPRIM_400000_NS6detail17trampoline_kernelINS0_14default_configENS1_35radix_sort_onesweep_config_selectorImNS0_10empty_typeEEEZZNS1_29radix_sort_onesweep_iterationIS3_Lb0EPKmPmPS5_SB_mNS0_19identity_decomposerENS1_16block_id_wrapperIjLb1EEEEE10hipError_tT1_PNSt15iterator_traitsISG_E10value_typeET2_T3_PNSH_ISM_E10value_typeET4_T5_PSR_SS_PNS1_23onesweep_lookback_stateEbbT6_jjT7_P12ihipStream_tbENKUlT_T0_SG_SL_E_clIS9_SA_SB_SB_EEDaSZ_S10_SG_SL_EUlSZ_E_NS1_11comp_targetILNS1_3genE9ELNS1_11target_archE1100ELNS1_3gpuE3ELNS1_3repE0EEENS1_47radix_sort_onesweep_sort_config_static_selectorELNS0_4arch9wavefront6targetE0EEEvSG_
                                        ; -- End function
	.set _ZN7rocprim17ROCPRIM_400000_NS6detail17trampoline_kernelINS0_14default_configENS1_35radix_sort_onesweep_config_selectorImNS0_10empty_typeEEEZZNS1_29radix_sort_onesweep_iterationIS3_Lb0EPKmPmPS5_SB_mNS0_19identity_decomposerENS1_16block_id_wrapperIjLb1EEEEE10hipError_tT1_PNSt15iterator_traitsISG_E10value_typeET2_T3_PNSH_ISM_E10value_typeET4_T5_PSR_SS_PNS1_23onesweep_lookback_stateEbbT6_jjT7_P12ihipStream_tbENKUlT_T0_SG_SL_E_clIS9_SA_SB_SB_EEDaSZ_S10_SG_SL_EUlSZ_E_NS1_11comp_targetILNS1_3genE9ELNS1_11target_archE1100ELNS1_3gpuE3ELNS1_3repE0EEENS1_47radix_sort_onesweep_sort_config_static_selectorELNS0_4arch9wavefront6targetE0EEEvSG_.num_vgpr, 0
	.set _ZN7rocprim17ROCPRIM_400000_NS6detail17trampoline_kernelINS0_14default_configENS1_35radix_sort_onesweep_config_selectorImNS0_10empty_typeEEEZZNS1_29radix_sort_onesweep_iterationIS3_Lb0EPKmPmPS5_SB_mNS0_19identity_decomposerENS1_16block_id_wrapperIjLb1EEEEE10hipError_tT1_PNSt15iterator_traitsISG_E10value_typeET2_T3_PNSH_ISM_E10value_typeET4_T5_PSR_SS_PNS1_23onesweep_lookback_stateEbbT6_jjT7_P12ihipStream_tbENKUlT_T0_SG_SL_E_clIS9_SA_SB_SB_EEDaSZ_S10_SG_SL_EUlSZ_E_NS1_11comp_targetILNS1_3genE9ELNS1_11target_archE1100ELNS1_3gpuE3ELNS1_3repE0EEENS1_47radix_sort_onesweep_sort_config_static_selectorELNS0_4arch9wavefront6targetE0EEEvSG_.num_agpr, 0
	.set _ZN7rocprim17ROCPRIM_400000_NS6detail17trampoline_kernelINS0_14default_configENS1_35radix_sort_onesweep_config_selectorImNS0_10empty_typeEEEZZNS1_29radix_sort_onesweep_iterationIS3_Lb0EPKmPmPS5_SB_mNS0_19identity_decomposerENS1_16block_id_wrapperIjLb1EEEEE10hipError_tT1_PNSt15iterator_traitsISG_E10value_typeET2_T3_PNSH_ISM_E10value_typeET4_T5_PSR_SS_PNS1_23onesweep_lookback_stateEbbT6_jjT7_P12ihipStream_tbENKUlT_T0_SG_SL_E_clIS9_SA_SB_SB_EEDaSZ_S10_SG_SL_EUlSZ_E_NS1_11comp_targetILNS1_3genE9ELNS1_11target_archE1100ELNS1_3gpuE3ELNS1_3repE0EEENS1_47radix_sort_onesweep_sort_config_static_selectorELNS0_4arch9wavefront6targetE0EEEvSG_.numbered_sgpr, 0
	.set _ZN7rocprim17ROCPRIM_400000_NS6detail17trampoline_kernelINS0_14default_configENS1_35radix_sort_onesweep_config_selectorImNS0_10empty_typeEEEZZNS1_29radix_sort_onesweep_iterationIS3_Lb0EPKmPmPS5_SB_mNS0_19identity_decomposerENS1_16block_id_wrapperIjLb1EEEEE10hipError_tT1_PNSt15iterator_traitsISG_E10value_typeET2_T3_PNSH_ISM_E10value_typeET4_T5_PSR_SS_PNS1_23onesweep_lookback_stateEbbT6_jjT7_P12ihipStream_tbENKUlT_T0_SG_SL_E_clIS9_SA_SB_SB_EEDaSZ_S10_SG_SL_EUlSZ_E_NS1_11comp_targetILNS1_3genE9ELNS1_11target_archE1100ELNS1_3gpuE3ELNS1_3repE0EEENS1_47radix_sort_onesweep_sort_config_static_selectorELNS0_4arch9wavefront6targetE0EEEvSG_.num_named_barrier, 0
	.set _ZN7rocprim17ROCPRIM_400000_NS6detail17trampoline_kernelINS0_14default_configENS1_35radix_sort_onesweep_config_selectorImNS0_10empty_typeEEEZZNS1_29radix_sort_onesweep_iterationIS3_Lb0EPKmPmPS5_SB_mNS0_19identity_decomposerENS1_16block_id_wrapperIjLb1EEEEE10hipError_tT1_PNSt15iterator_traitsISG_E10value_typeET2_T3_PNSH_ISM_E10value_typeET4_T5_PSR_SS_PNS1_23onesweep_lookback_stateEbbT6_jjT7_P12ihipStream_tbENKUlT_T0_SG_SL_E_clIS9_SA_SB_SB_EEDaSZ_S10_SG_SL_EUlSZ_E_NS1_11comp_targetILNS1_3genE9ELNS1_11target_archE1100ELNS1_3gpuE3ELNS1_3repE0EEENS1_47radix_sort_onesweep_sort_config_static_selectorELNS0_4arch9wavefront6targetE0EEEvSG_.private_seg_size, 0
	.set _ZN7rocprim17ROCPRIM_400000_NS6detail17trampoline_kernelINS0_14default_configENS1_35radix_sort_onesweep_config_selectorImNS0_10empty_typeEEEZZNS1_29radix_sort_onesweep_iterationIS3_Lb0EPKmPmPS5_SB_mNS0_19identity_decomposerENS1_16block_id_wrapperIjLb1EEEEE10hipError_tT1_PNSt15iterator_traitsISG_E10value_typeET2_T3_PNSH_ISM_E10value_typeET4_T5_PSR_SS_PNS1_23onesweep_lookback_stateEbbT6_jjT7_P12ihipStream_tbENKUlT_T0_SG_SL_E_clIS9_SA_SB_SB_EEDaSZ_S10_SG_SL_EUlSZ_E_NS1_11comp_targetILNS1_3genE9ELNS1_11target_archE1100ELNS1_3gpuE3ELNS1_3repE0EEENS1_47radix_sort_onesweep_sort_config_static_selectorELNS0_4arch9wavefront6targetE0EEEvSG_.uses_vcc, 0
	.set _ZN7rocprim17ROCPRIM_400000_NS6detail17trampoline_kernelINS0_14default_configENS1_35radix_sort_onesweep_config_selectorImNS0_10empty_typeEEEZZNS1_29radix_sort_onesweep_iterationIS3_Lb0EPKmPmPS5_SB_mNS0_19identity_decomposerENS1_16block_id_wrapperIjLb1EEEEE10hipError_tT1_PNSt15iterator_traitsISG_E10value_typeET2_T3_PNSH_ISM_E10value_typeET4_T5_PSR_SS_PNS1_23onesweep_lookback_stateEbbT6_jjT7_P12ihipStream_tbENKUlT_T0_SG_SL_E_clIS9_SA_SB_SB_EEDaSZ_S10_SG_SL_EUlSZ_E_NS1_11comp_targetILNS1_3genE9ELNS1_11target_archE1100ELNS1_3gpuE3ELNS1_3repE0EEENS1_47radix_sort_onesweep_sort_config_static_selectorELNS0_4arch9wavefront6targetE0EEEvSG_.uses_flat_scratch, 0
	.set _ZN7rocprim17ROCPRIM_400000_NS6detail17trampoline_kernelINS0_14default_configENS1_35radix_sort_onesweep_config_selectorImNS0_10empty_typeEEEZZNS1_29radix_sort_onesweep_iterationIS3_Lb0EPKmPmPS5_SB_mNS0_19identity_decomposerENS1_16block_id_wrapperIjLb1EEEEE10hipError_tT1_PNSt15iterator_traitsISG_E10value_typeET2_T3_PNSH_ISM_E10value_typeET4_T5_PSR_SS_PNS1_23onesweep_lookback_stateEbbT6_jjT7_P12ihipStream_tbENKUlT_T0_SG_SL_E_clIS9_SA_SB_SB_EEDaSZ_S10_SG_SL_EUlSZ_E_NS1_11comp_targetILNS1_3genE9ELNS1_11target_archE1100ELNS1_3gpuE3ELNS1_3repE0EEENS1_47radix_sort_onesweep_sort_config_static_selectorELNS0_4arch9wavefront6targetE0EEEvSG_.has_dyn_sized_stack, 0
	.set _ZN7rocprim17ROCPRIM_400000_NS6detail17trampoline_kernelINS0_14default_configENS1_35radix_sort_onesweep_config_selectorImNS0_10empty_typeEEEZZNS1_29radix_sort_onesweep_iterationIS3_Lb0EPKmPmPS5_SB_mNS0_19identity_decomposerENS1_16block_id_wrapperIjLb1EEEEE10hipError_tT1_PNSt15iterator_traitsISG_E10value_typeET2_T3_PNSH_ISM_E10value_typeET4_T5_PSR_SS_PNS1_23onesweep_lookback_stateEbbT6_jjT7_P12ihipStream_tbENKUlT_T0_SG_SL_E_clIS9_SA_SB_SB_EEDaSZ_S10_SG_SL_EUlSZ_E_NS1_11comp_targetILNS1_3genE9ELNS1_11target_archE1100ELNS1_3gpuE3ELNS1_3repE0EEENS1_47radix_sort_onesweep_sort_config_static_selectorELNS0_4arch9wavefront6targetE0EEEvSG_.has_recursion, 0
	.set _ZN7rocprim17ROCPRIM_400000_NS6detail17trampoline_kernelINS0_14default_configENS1_35radix_sort_onesweep_config_selectorImNS0_10empty_typeEEEZZNS1_29radix_sort_onesweep_iterationIS3_Lb0EPKmPmPS5_SB_mNS0_19identity_decomposerENS1_16block_id_wrapperIjLb1EEEEE10hipError_tT1_PNSt15iterator_traitsISG_E10value_typeET2_T3_PNSH_ISM_E10value_typeET4_T5_PSR_SS_PNS1_23onesweep_lookback_stateEbbT6_jjT7_P12ihipStream_tbENKUlT_T0_SG_SL_E_clIS9_SA_SB_SB_EEDaSZ_S10_SG_SL_EUlSZ_E_NS1_11comp_targetILNS1_3genE9ELNS1_11target_archE1100ELNS1_3gpuE3ELNS1_3repE0EEENS1_47radix_sort_onesweep_sort_config_static_selectorELNS0_4arch9wavefront6targetE0EEEvSG_.has_indirect_call, 0
	.section	.AMDGPU.csdata,"",@progbits
; Kernel info:
; codeLenInByte = 0
; TotalNumSgprs: 0
; NumVgprs: 0
; ScratchSize: 0
; MemoryBound: 0
; FloatMode: 240
; IeeeMode: 1
; LDSByteSize: 0 bytes/workgroup (compile time only)
; SGPRBlocks: 0
; VGPRBlocks: 0
; NumSGPRsForWavesPerEU: 1
; NumVGPRsForWavesPerEU: 1
; NamedBarCnt: 0
; Occupancy: 16
; WaveLimiterHint : 0
; COMPUTE_PGM_RSRC2:SCRATCH_EN: 0
; COMPUTE_PGM_RSRC2:USER_SGPR: 2
; COMPUTE_PGM_RSRC2:TRAP_HANDLER: 0
; COMPUTE_PGM_RSRC2:TGID_X_EN: 1
; COMPUTE_PGM_RSRC2:TGID_Y_EN: 0
; COMPUTE_PGM_RSRC2:TGID_Z_EN: 0
; COMPUTE_PGM_RSRC2:TIDIG_COMP_CNT: 0
	.section	.text._ZN7rocprim17ROCPRIM_400000_NS6detail17trampoline_kernelINS0_14default_configENS1_35radix_sort_onesweep_config_selectorImNS0_10empty_typeEEEZZNS1_29radix_sort_onesweep_iterationIS3_Lb0EPKmPmPS5_SB_mNS0_19identity_decomposerENS1_16block_id_wrapperIjLb1EEEEE10hipError_tT1_PNSt15iterator_traitsISG_E10value_typeET2_T3_PNSH_ISM_E10value_typeET4_T5_PSR_SS_PNS1_23onesweep_lookback_stateEbbT6_jjT7_P12ihipStream_tbENKUlT_T0_SG_SL_E_clIS9_SA_SB_SB_EEDaSZ_S10_SG_SL_EUlSZ_E_NS1_11comp_targetILNS1_3genE8ELNS1_11target_archE1030ELNS1_3gpuE2ELNS1_3repE0EEENS1_47radix_sort_onesweep_sort_config_static_selectorELNS0_4arch9wavefront6targetE0EEEvSG_,"axG",@progbits,_ZN7rocprim17ROCPRIM_400000_NS6detail17trampoline_kernelINS0_14default_configENS1_35radix_sort_onesweep_config_selectorImNS0_10empty_typeEEEZZNS1_29radix_sort_onesweep_iterationIS3_Lb0EPKmPmPS5_SB_mNS0_19identity_decomposerENS1_16block_id_wrapperIjLb1EEEEE10hipError_tT1_PNSt15iterator_traitsISG_E10value_typeET2_T3_PNSH_ISM_E10value_typeET4_T5_PSR_SS_PNS1_23onesweep_lookback_stateEbbT6_jjT7_P12ihipStream_tbENKUlT_T0_SG_SL_E_clIS9_SA_SB_SB_EEDaSZ_S10_SG_SL_EUlSZ_E_NS1_11comp_targetILNS1_3genE8ELNS1_11target_archE1030ELNS1_3gpuE2ELNS1_3repE0EEENS1_47radix_sort_onesweep_sort_config_static_selectorELNS0_4arch9wavefront6targetE0EEEvSG_,comdat
	.protected	_ZN7rocprim17ROCPRIM_400000_NS6detail17trampoline_kernelINS0_14default_configENS1_35radix_sort_onesweep_config_selectorImNS0_10empty_typeEEEZZNS1_29radix_sort_onesweep_iterationIS3_Lb0EPKmPmPS5_SB_mNS0_19identity_decomposerENS1_16block_id_wrapperIjLb1EEEEE10hipError_tT1_PNSt15iterator_traitsISG_E10value_typeET2_T3_PNSH_ISM_E10value_typeET4_T5_PSR_SS_PNS1_23onesweep_lookback_stateEbbT6_jjT7_P12ihipStream_tbENKUlT_T0_SG_SL_E_clIS9_SA_SB_SB_EEDaSZ_S10_SG_SL_EUlSZ_E_NS1_11comp_targetILNS1_3genE8ELNS1_11target_archE1030ELNS1_3gpuE2ELNS1_3repE0EEENS1_47radix_sort_onesweep_sort_config_static_selectorELNS0_4arch9wavefront6targetE0EEEvSG_ ; -- Begin function _ZN7rocprim17ROCPRIM_400000_NS6detail17trampoline_kernelINS0_14default_configENS1_35radix_sort_onesweep_config_selectorImNS0_10empty_typeEEEZZNS1_29radix_sort_onesweep_iterationIS3_Lb0EPKmPmPS5_SB_mNS0_19identity_decomposerENS1_16block_id_wrapperIjLb1EEEEE10hipError_tT1_PNSt15iterator_traitsISG_E10value_typeET2_T3_PNSH_ISM_E10value_typeET4_T5_PSR_SS_PNS1_23onesweep_lookback_stateEbbT6_jjT7_P12ihipStream_tbENKUlT_T0_SG_SL_E_clIS9_SA_SB_SB_EEDaSZ_S10_SG_SL_EUlSZ_E_NS1_11comp_targetILNS1_3genE8ELNS1_11target_archE1030ELNS1_3gpuE2ELNS1_3repE0EEENS1_47radix_sort_onesweep_sort_config_static_selectorELNS0_4arch9wavefront6targetE0EEEvSG_
	.globl	_ZN7rocprim17ROCPRIM_400000_NS6detail17trampoline_kernelINS0_14default_configENS1_35radix_sort_onesweep_config_selectorImNS0_10empty_typeEEEZZNS1_29radix_sort_onesweep_iterationIS3_Lb0EPKmPmPS5_SB_mNS0_19identity_decomposerENS1_16block_id_wrapperIjLb1EEEEE10hipError_tT1_PNSt15iterator_traitsISG_E10value_typeET2_T3_PNSH_ISM_E10value_typeET4_T5_PSR_SS_PNS1_23onesweep_lookback_stateEbbT6_jjT7_P12ihipStream_tbENKUlT_T0_SG_SL_E_clIS9_SA_SB_SB_EEDaSZ_S10_SG_SL_EUlSZ_E_NS1_11comp_targetILNS1_3genE8ELNS1_11target_archE1030ELNS1_3gpuE2ELNS1_3repE0EEENS1_47radix_sort_onesweep_sort_config_static_selectorELNS0_4arch9wavefront6targetE0EEEvSG_
	.p2align	8
	.type	_ZN7rocprim17ROCPRIM_400000_NS6detail17trampoline_kernelINS0_14default_configENS1_35radix_sort_onesweep_config_selectorImNS0_10empty_typeEEEZZNS1_29radix_sort_onesweep_iterationIS3_Lb0EPKmPmPS5_SB_mNS0_19identity_decomposerENS1_16block_id_wrapperIjLb1EEEEE10hipError_tT1_PNSt15iterator_traitsISG_E10value_typeET2_T3_PNSH_ISM_E10value_typeET4_T5_PSR_SS_PNS1_23onesweep_lookback_stateEbbT6_jjT7_P12ihipStream_tbENKUlT_T0_SG_SL_E_clIS9_SA_SB_SB_EEDaSZ_S10_SG_SL_EUlSZ_E_NS1_11comp_targetILNS1_3genE8ELNS1_11target_archE1030ELNS1_3gpuE2ELNS1_3repE0EEENS1_47radix_sort_onesweep_sort_config_static_selectorELNS0_4arch9wavefront6targetE0EEEvSG_,@function
_ZN7rocprim17ROCPRIM_400000_NS6detail17trampoline_kernelINS0_14default_configENS1_35radix_sort_onesweep_config_selectorImNS0_10empty_typeEEEZZNS1_29radix_sort_onesweep_iterationIS3_Lb0EPKmPmPS5_SB_mNS0_19identity_decomposerENS1_16block_id_wrapperIjLb1EEEEE10hipError_tT1_PNSt15iterator_traitsISG_E10value_typeET2_T3_PNSH_ISM_E10value_typeET4_T5_PSR_SS_PNS1_23onesweep_lookback_stateEbbT6_jjT7_P12ihipStream_tbENKUlT_T0_SG_SL_E_clIS9_SA_SB_SB_EEDaSZ_S10_SG_SL_EUlSZ_E_NS1_11comp_targetILNS1_3genE8ELNS1_11target_archE1030ELNS1_3gpuE2ELNS1_3repE0EEENS1_47radix_sort_onesweep_sort_config_static_selectorELNS0_4arch9wavefront6targetE0EEEvSG_: ; @_ZN7rocprim17ROCPRIM_400000_NS6detail17trampoline_kernelINS0_14default_configENS1_35radix_sort_onesweep_config_selectorImNS0_10empty_typeEEEZZNS1_29radix_sort_onesweep_iterationIS3_Lb0EPKmPmPS5_SB_mNS0_19identity_decomposerENS1_16block_id_wrapperIjLb1EEEEE10hipError_tT1_PNSt15iterator_traitsISG_E10value_typeET2_T3_PNSH_ISM_E10value_typeET4_T5_PSR_SS_PNS1_23onesweep_lookback_stateEbbT6_jjT7_P12ihipStream_tbENKUlT_T0_SG_SL_E_clIS9_SA_SB_SB_EEDaSZ_S10_SG_SL_EUlSZ_E_NS1_11comp_targetILNS1_3genE8ELNS1_11target_archE1030ELNS1_3gpuE2ELNS1_3repE0EEENS1_47radix_sort_onesweep_sort_config_static_selectorELNS0_4arch9wavefront6targetE0EEEvSG_
; %bb.0:
	.section	.rodata,"a",@progbits
	.p2align	6, 0x0
	.amdhsa_kernel _ZN7rocprim17ROCPRIM_400000_NS6detail17trampoline_kernelINS0_14default_configENS1_35radix_sort_onesweep_config_selectorImNS0_10empty_typeEEEZZNS1_29radix_sort_onesweep_iterationIS3_Lb0EPKmPmPS5_SB_mNS0_19identity_decomposerENS1_16block_id_wrapperIjLb1EEEEE10hipError_tT1_PNSt15iterator_traitsISG_E10value_typeET2_T3_PNSH_ISM_E10value_typeET4_T5_PSR_SS_PNS1_23onesweep_lookback_stateEbbT6_jjT7_P12ihipStream_tbENKUlT_T0_SG_SL_E_clIS9_SA_SB_SB_EEDaSZ_S10_SG_SL_EUlSZ_E_NS1_11comp_targetILNS1_3genE8ELNS1_11target_archE1030ELNS1_3gpuE2ELNS1_3repE0EEENS1_47radix_sort_onesweep_sort_config_static_selectorELNS0_4arch9wavefront6targetE0EEEvSG_
		.amdhsa_group_segment_fixed_size 0
		.amdhsa_private_segment_fixed_size 0
		.amdhsa_kernarg_size 88
		.amdhsa_user_sgpr_count 2
		.amdhsa_user_sgpr_dispatch_ptr 0
		.amdhsa_user_sgpr_queue_ptr 0
		.amdhsa_user_sgpr_kernarg_segment_ptr 1
		.amdhsa_user_sgpr_dispatch_id 0
		.amdhsa_user_sgpr_kernarg_preload_length 0
		.amdhsa_user_sgpr_kernarg_preload_offset 0
		.amdhsa_user_sgpr_private_segment_size 0
		.amdhsa_wavefront_size32 1
		.amdhsa_uses_dynamic_stack 0
		.amdhsa_enable_private_segment 0
		.amdhsa_system_sgpr_workgroup_id_x 1
		.amdhsa_system_sgpr_workgroup_id_y 0
		.amdhsa_system_sgpr_workgroup_id_z 0
		.amdhsa_system_sgpr_workgroup_info 0
		.amdhsa_system_vgpr_workitem_id 0
		.amdhsa_next_free_vgpr 1
		.amdhsa_next_free_sgpr 1
		.amdhsa_named_barrier_count 0
		.amdhsa_reserve_vcc 0
		.amdhsa_float_round_mode_32 0
		.amdhsa_float_round_mode_16_64 0
		.amdhsa_float_denorm_mode_32 3
		.amdhsa_float_denorm_mode_16_64 3
		.amdhsa_fp16_overflow 0
		.amdhsa_memory_ordered 1
		.amdhsa_forward_progress 1
		.amdhsa_inst_pref_size 0
		.amdhsa_round_robin_scheduling 0
		.amdhsa_exception_fp_ieee_invalid_op 0
		.amdhsa_exception_fp_denorm_src 0
		.amdhsa_exception_fp_ieee_div_zero 0
		.amdhsa_exception_fp_ieee_overflow 0
		.amdhsa_exception_fp_ieee_underflow 0
		.amdhsa_exception_fp_ieee_inexact 0
		.amdhsa_exception_int_div_zero 0
	.end_amdhsa_kernel
	.section	.text._ZN7rocprim17ROCPRIM_400000_NS6detail17trampoline_kernelINS0_14default_configENS1_35radix_sort_onesweep_config_selectorImNS0_10empty_typeEEEZZNS1_29radix_sort_onesweep_iterationIS3_Lb0EPKmPmPS5_SB_mNS0_19identity_decomposerENS1_16block_id_wrapperIjLb1EEEEE10hipError_tT1_PNSt15iterator_traitsISG_E10value_typeET2_T3_PNSH_ISM_E10value_typeET4_T5_PSR_SS_PNS1_23onesweep_lookback_stateEbbT6_jjT7_P12ihipStream_tbENKUlT_T0_SG_SL_E_clIS9_SA_SB_SB_EEDaSZ_S10_SG_SL_EUlSZ_E_NS1_11comp_targetILNS1_3genE8ELNS1_11target_archE1030ELNS1_3gpuE2ELNS1_3repE0EEENS1_47radix_sort_onesweep_sort_config_static_selectorELNS0_4arch9wavefront6targetE0EEEvSG_,"axG",@progbits,_ZN7rocprim17ROCPRIM_400000_NS6detail17trampoline_kernelINS0_14default_configENS1_35radix_sort_onesweep_config_selectorImNS0_10empty_typeEEEZZNS1_29radix_sort_onesweep_iterationIS3_Lb0EPKmPmPS5_SB_mNS0_19identity_decomposerENS1_16block_id_wrapperIjLb1EEEEE10hipError_tT1_PNSt15iterator_traitsISG_E10value_typeET2_T3_PNSH_ISM_E10value_typeET4_T5_PSR_SS_PNS1_23onesweep_lookback_stateEbbT6_jjT7_P12ihipStream_tbENKUlT_T0_SG_SL_E_clIS9_SA_SB_SB_EEDaSZ_S10_SG_SL_EUlSZ_E_NS1_11comp_targetILNS1_3genE8ELNS1_11target_archE1030ELNS1_3gpuE2ELNS1_3repE0EEENS1_47radix_sort_onesweep_sort_config_static_selectorELNS0_4arch9wavefront6targetE0EEEvSG_,comdat
.Lfunc_end2999:
	.size	_ZN7rocprim17ROCPRIM_400000_NS6detail17trampoline_kernelINS0_14default_configENS1_35radix_sort_onesweep_config_selectorImNS0_10empty_typeEEEZZNS1_29radix_sort_onesweep_iterationIS3_Lb0EPKmPmPS5_SB_mNS0_19identity_decomposerENS1_16block_id_wrapperIjLb1EEEEE10hipError_tT1_PNSt15iterator_traitsISG_E10value_typeET2_T3_PNSH_ISM_E10value_typeET4_T5_PSR_SS_PNS1_23onesweep_lookback_stateEbbT6_jjT7_P12ihipStream_tbENKUlT_T0_SG_SL_E_clIS9_SA_SB_SB_EEDaSZ_S10_SG_SL_EUlSZ_E_NS1_11comp_targetILNS1_3genE8ELNS1_11target_archE1030ELNS1_3gpuE2ELNS1_3repE0EEENS1_47radix_sort_onesweep_sort_config_static_selectorELNS0_4arch9wavefront6targetE0EEEvSG_, .Lfunc_end2999-_ZN7rocprim17ROCPRIM_400000_NS6detail17trampoline_kernelINS0_14default_configENS1_35radix_sort_onesweep_config_selectorImNS0_10empty_typeEEEZZNS1_29radix_sort_onesweep_iterationIS3_Lb0EPKmPmPS5_SB_mNS0_19identity_decomposerENS1_16block_id_wrapperIjLb1EEEEE10hipError_tT1_PNSt15iterator_traitsISG_E10value_typeET2_T3_PNSH_ISM_E10value_typeET4_T5_PSR_SS_PNS1_23onesweep_lookback_stateEbbT6_jjT7_P12ihipStream_tbENKUlT_T0_SG_SL_E_clIS9_SA_SB_SB_EEDaSZ_S10_SG_SL_EUlSZ_E_NS1_11comp_targetILNS1_3genE8ELNS1_11target_archE1030ELNS1_3gpuE2ELNS1_3repE0EEENS1_47radix_sort_onesweep_sort_config_static_selectorELNS0_4arch9wavefront6targetE0EEEvSG_
                                        ; -- End function
	.set _ZN7rocprim17ROCPRIM_400000_NS6detail17trampoline_kernelINS0_14default_configENS1_35radix_sort_onesweep_config_selectorImNS0_10empty_typeEEEZZNS1_29radix_sort_onesweep_iterationIS3_Lb0EPKmPmPS5_SB_mNS0_19identity_decomposerENS1_16block_id_wrapperIjLb1EEEEE10hipError_tT1_PNSt15iterator_traitsISG_E10value_typeET2_T3_PNSH_ISM_E10value_typeET4_T5_PSR_SS_PNS1_23onesweep_lookback_stateEbbT6_jjT7_P12ihipStream_tbENKUlT_T0_SG_SL_E_clIS9_SA_SB_SB_EEDaSZ_S10_SG_SL_EUlSZ_E_NS1_11comp_targetILNS1_3genE8ELNS1_11target_archE1030ELNS1_3gpuE2ELNS1_3repE0EEENS1_47radix_sort_onesweep_sort_config_static_selectorELNS0_4arch9wavefront6targetE0EEEvSG_.num_vgpr, 0
	.set _ZN7rocprim17ROCPRIM_400000_NS6detail17trampoline_kernelINS0_14default_configENS1_35radix_sort_onesweep_config_selectorImNS0_10empty_typeEEEZZNS1_29radix_sort_onesweep_iterationIS3_Lb0EPKmPmPS5_SB_mNS0_19identity_decomposerENS1_16block_id_wrapperIjLb1EEEEE10hipError_tT1_PNSt15iterator_traitsISG_E10value_typeET2_T3_PNSH_ISM_E10value_typeET4_T5_PSR_SS_PNS1_23onesweep_lookback_stateEbbT6_jjT7_P12ihipStream_tbENKUlT_T0_SG_SL_E_clIS9_SA_SB_SB_EEDaSZ_S10_SG_SL_EUlSZ_E_NS1_11comp_targetILNS1_3genE8ELNS1_11target_archE1030ELNS1_3gpuE2ELNS1_3repE0EEENS1_47radix_sort_onesweep_sort_config_static_selectorELNS0_4arch9wavefront6targetE0EEEvSG_.num_agpr, 0
	.set _ZN7rocprim17ROCPRIM_400000_NS6detail17trampoline_kernelINS0_14default_configENS1_35radix_sort_onesweep_config_selectorImNS0_10empty_typeEEEZZNS1_29radix_sort_onesweep_iterationIS3_Lb0EPKmPmPS5_SB_mNS0_19identity_decomposerENS1_16block_id_wrapperIjLb1EEEEE10hipError_tT1_PNSt15iterator_traitsISG_E10value_typeET2_T3_PNSH_ISM_E10value_typeET4_T5_PSR_SS_PNS1_23onesweep_lookback_stateEbbT6_jjT7_P12ihipStream_tbENKUlT_T0_SG_SL_E_clIS9_SA_SB_SB_EEDaSZ_S10_SG_SL_EUlSZ_E_NS1_11comp_targetILNS1_3genE8ELNS1_11target_archE1030ELNS1_3gpuE2ELNS1_3repE0EEENS1_47radix_sort_onesweep_sort_config_static_selectorELNS0_4arch9wavefront6targetE0EEEvSG_.numbered_sgpr, 0
	.set _ZN7rocprim17ROCPRIM_400000_NS6detail17trampoline_kernelINS0_14default_configENS1_35radix_sort_onesweep_config_selectorImNS0_10empty_typeEEEZZNS1_29radix_sort_onesweep_iterationIS3_Lb0EPKmPmPS5_SB_mNS0_19identity_decomposerENS1_16block_id_wrapperIjLb1EEEEE10hipError_tT1_PNSt15iterator_traitsISG_E10value_typeET2_T3_PNSH_ISM_E10value_typeET4_T5_PSR_SS_PNS1_23onesweep_lookback_stateEbbT6_jjT7_P12ihipStream_tbENKUlT_T0_SG_SL_E_clIS9_SA_SB_SB_EEDaSZ_S10_SG_SL_EUlSZ_E_NS1_11comp_targetILNS1_3genE8ELNS1_11target_archE1030ELNS1_3gpuE2ELNS1_3repE0EEENS1_47radix_sort_onesweep_sort_config_static_selectorELNS0_4arch9wavefront6targetE0EEEvSG_.num_named_barrier, 0
	.set _ZN7rocprim17ROCPRIM_400000_NS6detail17trampoline_kernelINS0_14default_configENS1_35radix_sort_onesweep_config_selectorImNS0_10empty_typeEEEZZNS1_29radix_sort_onesweep_iterationIS3_Lb0EPKmPmPS5_SB_mNS0_19identity_decomposerENS1_16block_id_wrapperIjLb1EEEEE10hipError_tT1_PNSt15iterator_traitsISG_E10value_typeET2_T3_PNSH_ISM_E10value_typeET4_T5_PSR_SS_PNS1_23onesweep_lookback_stateEbbT6_jjT7_P12ihipStream_tbENKUlT_T0_SG_SL_E_clIS9_SA_SB_SB_EEDaSZ_S10_SG_SL_EUlSZ_E_NS1_11comp_targetILNS1_3genE8ELNS1_11target_archE1030ELNS1_3gpuE2ELNS1_3repE0EEENS1_47radix_sort_onesweep_sort_config_static_selectorELNS0_4arch9wavefront6targetE0EEEvSG_.private_seg_size, 0
	.set _ZN7rocprim17ROCPRIM_400000_NS6detail17trampoline_kernelINS0_14default_configENS1_35radix_sort_onesweep_config_selectorImNS0_10empty_typeEEEZZNS1_29radix_sort_onesweep_iterationIS3_Lb0EPKmPmPS5_SB_mNS0_19identity_decomposerENS1_16block_id_wrapperIjLb1EEEEE10hipError_tT1_PNSt15iterator_traitsISG_E10value_typeET2_T3_PNSH_ISM_E10value_typeET4_T5_PSR_SS_PNS1_23onesweep_lookback_stateEbbT6_jjT7_P12ihipStream_tbENKUlT_T0_SG_SL_E_clIS9_SA_SB_SB_EEDaSZ_S10_SG_SL_EUlSZ_E_NS1_11comp_targetILNS1_3genE8ELNS1_11target_archE1030ELNS1_3gpuE2ELNS1_3repE0EEENS1_47radix_sort_onesweep_sort_config_static_selectorELNS0_4arch9wavefront6targetE0EEEvSG_.uses_vcc, 0
	.set _ZN7rocprim17ROCPRIM_400000_NS6detail17trampoline_kernelINS0_14default_configENS1_35radix_sort_onesweep_config_selectorImNS0_10empty_typeEEEZZNS1_29radix_sort_onesweep_iterationIS3_Lb0EPKmPmPS5_SB_mNS0_19identity_decomposerENS1_16block_id_wrapperIjLb1EEEEE10hipError_tT1_PNSt15iterator_traitsISG_E10value_typeET2_T3_PNSH_ISM_E10value_typeET4_T5_PSR_SS_PNS1_23onesweep_lookback_stateEbbT6_jjT7_P12ihipStream_tbENKUlT_T0_SG_SL_E_clIS9_SA_SB_SB_EEDaSZ_S10_SG_SL_EUlSZ_E_NS1_11comp_targetILNS1_3genE8ELNS1_11target_archE1030ELNS1_3gpuE2ELNS1_3repE0EEENS1_47radix_sort_onesweep_sort_config_static_selectorELNS0_4arch9wavefront6targetE0EEEvSG_.uses_flat_scratch, 0
	.set _ZN7rocprim17ROCPRIM_400000_NS6detail17trampoline_kernelINS0_14default_configENS1_35radix_sort_onesweep_config_selectorImNS0_10empty_typeEEEZZNS1_29radix_sort_onesweep_iterationIS3_Lb0EPKmPmPS5_SB_mNS0_19identity_decomposerENS1_16block_id_wrapperIjLb1EEEEE10hipError_tT1_PNSt15iterator_traitsISG_E10value_typeET2_T3_PNSH_ISM_E10value_typeET4_T5_PSR_SS_PNS1_23onesweep_lookback_stateEbbT6_jjT7_P12ihipStream_tbENKUlT_T0_SG_SL_E_clIS9_SA_SB_SB_EEDaSZ_S10_SG_SL_EUlSZ_E_NS1_11comp_targetILNS1_3genE8ELNS1_11target_archE1030ELNS1_3gpuE2ELNS1_3repE0EEENS1_47radix_sort_onesweep_sort_config_static_selectorELNS0_4arch9wavefront6targetE0EEEvSG_.has_dyn_sized_stack, 0
	.set _ZN7rocprim17ROCPRIM_400000_NS6detail17trampoline_kernelINS0_14default_configENS1_35radix_sort_onesweep_config_selectorImNS0_10empty_typeEEEZZNS1_29radix_sort_onesweep_iterationIS3_Lb0EPKmPmPS5_SB_mNS0_19identity_decomposerENS1_16block_id_wrapperIjLb1EEEEE10hipError_tT1_PNSt15iterator_traitsISG_E10value_typeET2_T3_PNSH_ISM_E10value_typeET4_T5_PSR_SS_PNS1_23onesweep_lookback_stateEbbT6_jjT7_P12ihipStream_tbENKUlT_T0_SG_SL_E_clIS9_SA_SB_SB_EEDaSZ_S10_SG_SL_EUlSZ_E_NS1_11comp_targetILNS1_3genE8ELNS1_11target_archE1030ELNS1_3gpuE2ELNS1_3repE0EEENS1_47radix_sort_onesweep_sort_config_static_selectorELNS0_4arch9wavefront6targetE0EEEvSG_.has_recursion, 0
	.set _ZN7rocprim17ROCPRIM_400000_NS6detail17trampoline_kernelINS0_14default_configENS1_35radix_sort_onesweep_config_selectorImNS0_10empty_typeEEEZZNS1_29radix_sort_onesweep_iterationIS3_Lb0EPKmPmPS5_SB_mNS0_19identity_decomposerENS1_16block_id_wrapperIjLb1EEEEE10hipError_tT1_PNSt15iterator_traitsISG_E10value_typeET2_T3_PNSH_ISM_E10value_typeET4_T5_PSR_SS_PNS1_23onesweep_lookback_stateEbbT6_jjT7_P12ihipStream_tbENKUlT_T0_SG_SL_E_clIS9_SA_SB_SB_EEDaSZ_S10_SG_SL_EUlSZ_E_NS1_11comp_targetILNS1_3genE8ELNS1_11target_archE1030ELNS1_3gpuE2ELNS1_3repE0EEENS1_47radix_sort_onesweep_sort_config_static_selectorELNS0_4arch9wavefront6targetE0EEEvSG_.has_indirect_call, 0
	.section	.AMDGPU.csdata,"",@progbits
; Kernel info:
; codeLenInByte = 0
; TotalNumSgprs: 0
; NumVgprs: 0
; ScratchSize: 0
; MemoryBound: 0
; FloatMode: 240
; IeeeMode: 1
; LDSByteSize: 0 bytes/workgroup (compile time only)
; SGPRBlocks: 0
; VGPRBlocks: 0
; NumSGPRsForWavesPerEU: 1
; NumVGPRsForWavesPerEU: 1
; NamedBarCnt: 0
; Occupancy: 16
; WaveLimiterHint : 0
; COMPUTE_PGM_RSRC2:SCRATCH_EN: 0
; COMPUTE_PGM_RSRC2:USER_SGPR: 2
; COMPUTE_PGM_RSRC2:TRAP_HANDLER: 0
; COMPUTE_PGM_RSRC2:TGID_X_EN: 1
; COMPUTE_PGM_RSRC2:TGID_Y_EN: 0
; COMPUTE_PGM_RSRC2:TGID_Z_EN: 0
; COMPUTE_PGM_RSRC2:TIDIG_COMP_CNT: 0
	.section	.text._ZN7rocprim17ROCPRIM_400000_NS6detail17trampoline_kernelINS0_14default_configENS1_35radix_sort_onesweep_config_selectorImNS0_10empty_typeEEEZZNS1_29radix_sort_onesweep_iterationIS3_Lb0EPKmPmPS5_SB_mNS0_19identity_decomposerENS1_16block_id_wrapperIjLb1EEEEE10hipError_tT1_PNSt15iterator_traitsISG_E10value_typeET2_T3_PNSH_ISM_E10value_typeET4_T5_PSR_SS_PNS1_23onesweep_lookback_stateEbbT6_jjT7_P12ihipStream_tbENKUlT_T0_SG_SL_E_clISA_SA_SB_SB_EEDaSZ_S10_SG_SL_EUlSZ_E_NS1_11comp_targetILNS1_3genE0ELNS1_11target_archE4294967295ELNS1_3gpuE0ELNS1_3repE0EEENS1_47radix_sort_onesweep_sort_config_static_selectorELNS0_4arch9wavefront6targetE0EEEvSG_,"axG",@progbits,_ZN7rocprim17ROCPRIM_400000_NS6detail17trampoline_kernelINS0_14default_configENS1_35radix_sort_onesweep_config_selectorImNS0_10empty_typeEEEZZNS1_29radix_sort_onesweep_iterationIS3_Lb0EPKmPmPS5_SB_mNS0_19identity_decomposerENS1_16block_id_wrapperIjLb1EEEEE10hipError_tT1_PNSt15iterator_traitsISG_E10value_typeET2_T3_PNSH_ISM_E10value_typeET4_T5_PSR_SS_PNS1_23onesweep_lookback_stateEbbT6_jjT7_P12ihipStream_tbENKUlT_T0_SG_SL_E_clISA_SA_SB_SB_EEDaSZ_S10_SG_SL_EUlSZ_E_NS1_11comp_targetILNS1_3genE0ELNS1_11target_archE4294967295ELNS1_3gpuE0ELNS1_3repE0EEENS1_47radix_sort_onesweep_sort_config_static_selectorELNS0_4arch9wavefront6targetE0EEEvSG_,comdat
	.protected	_ZN7rocprim17ROCPRIM_400000_NS6detail17trampoline_kernelINS0_14default_configENS1_35radix_sort_onesweep_config_selectorImNS0_10empty_typeEEEZZNS1_29radix_sort_onesweep_iterationIS3_Lb0EPKmPmPS5_SB_mNS0_19identity_decomposerENS1_16block_id_wrapperIjLb1EEEEE10hipError_tT1_PNSt15iterator_traitsISG_E10value_typeET2_T3_PNSH_ISM_E10value_typeET4_T5_PSR_SS_PNS1_23onesweep_lookback_stateEbbT6_jjT7_P12ihipStream_tbENKUlT_T0_SG_SL_E_clISA_SA_SB_SB_EEDaSZ_S10_SG_SL_EUlSZ_E_NS1_11comp_targetILNS1_3genE0ELNS1_11target_archE4294967295ELNS1_3gpuE0ELNS1_3repE0EEENS1_47radix_sort_onesweep_sort_config_static_selectorELNS0_4arch9wavefront6targetE0EEEvSG_ ; -- Begin function _ZN7rocprim17ROCPRIM_400000_NS6detail17trampoline_kernelINS0_14default_configENS1_35radix_sort_onesweep_config_selectorImNS0_10empty_typeEEEZZNS1_29radix_sort_onesweep_iterationIS3_Lb0EPKmPmPS5_SB_mNS0_19identity_decomposerENS1_16block_id_wrapperIjLb1EEEEE10hipError_tT1_PNSt15iterator_traitsISG_E10value_typeET2_T3_PNSH_ISM_E10value_typeET4_T5_PSR_SS_PNS1_23onesweep_lookback_stateEbbT6_jjT7_P12ihipStream_tbENKUlT_T0_SG_SL_E_clISA_SA_SB_SB_EEDaSZ_S10_SG_SL_EUlSZ_E_NS1_11comp_targetILNS1_3genE0ELNS1_11target_archE4294967295ELNS1_3gpuE0ELNS1_3repE0EEENS1_47radix_sort_onesweep_sort_config_static_selectorELNS0_4arch9wavefront6targetE0EEEvSG_
	.globl	_ZN7rocprim17ROCPRIM_400000_NS6detail17trampoline_kernelINS0_14default_configENS1_35radix_sort_onesweep_config_selectorImNS0_10empty_typeEEEZZNS1_29radix_sort_onesweep_iterationIS3_Lb0EPKmPmPS5_SB_mNS0_19identity_decomposerENS1_16block_id_wrapperIjLb1EEEEE10hipError_tT1_PNSt15iterator_traitsISG_E10value_typeET2_T3_PNSH_ISM_E10value_typeET4_T5_PSR_SS_PNS1_23onesweep_lookback_stateEbbT6_jjT7_P12ihipStream_tbENKUlT_T0_SG_SL_E_clISA_SA_SB_SB_EEDaSZ_S10_SG_SL_EUlSZ_E_NS1_11comp_targetILNS1_3genE0ELNS1_11target_archE4294967295ELNS1_3gpuE0ELNS1_3repE0EEENS1_47radix_sort_onesweep_sort_config_static_selectorELNS0_4arch9wavefront6targetE0EEEvSG_
	.p2align	8
	.type	_ZN7rocprim17ROCPRIM_400000_NS6detail17trampoline_kernelINS0_14default_configENS1_35radix_sort_onesweep_config_selectorImNS0_10empty_typeEEEZZNS1_29radix_sort_onesweep_iterationIS3_Lb0EPKmPmPS5_SB_mNS0_19identity_decomposerENS1_16block_id_wrapperIjLb1EEEEE10hipError_tT1_PNSt15iterator_traitsISG_E10value_typeET2_T3_PNSH_ISM_E10value_typeET4_T5_PSR_SS_PNS1_23onesweep_lookback_stateEbbT6_jjT7_P12ihipStream_tbENKUlT_T0_SG_SL_E_clISA_SA_SB_SB_EEDaSZ_S10_SG_SL_EUlSZ_E_NS1_11comp_targetILNS1_3genE0ELNS1_11target_archE4294967295ELNS1_3gpuE0ELNS1_3repE0EEENS1_47radix_sort_onesweep_sort_config_static_selectorELNS0_4arch9wavefront6targetE0EEEvSG_,@function
_ZN7rocprim17ROCPRIM_400000_NS6detail17trampoline_kernelINS0_14default_configENS1_35radix_sort_onesweep_config_selectorImNS0_10empty_typeEEEZZNS1_29radix_sort_onesweep_iterationIS3_Lb0EPKmPmPS5_SB_mNS0_19identity_decomposerENS1_16block_id_wrapperIjLb1EEEEE10hipError_tT1_PNSt15iterator_traitsISG_E10value_typeET2_T3_PNSH_ISM_E10value_typeET4_T5_PSR_SS_PNS1_23onesweep_lookback_stateEbbT6_jjT7_P12ihipStream_tbENKUlT_T0_SG_SL_E_clISA_SA_SB_SB_EEDaSZ_S10_SG_SL_EUlSZ_E_NS1_11comp_targetILNS1_3genE0ELNS1_11target_archE4294967295ELNS1_3gpuE0ELNS1_3repE0EEENS1_47radix_sort_onesweep_sort_config_static_selectorELNS0_4arch9wavefront6targetE0EEEvSG_: ; @_ZN7rocprim17ROCPRIM_400000_NS6detail17trampoline_kernelINS0_14default_configENS1_35radix_sort_onesweep_config_selectorImNS0_10empty_typeEEEZZNS1_29radix_sort_onesweep_iterationIS3_Lb0EPKmPmPS5_SB_mNS0_19identity_decomposerENS1_16block_id_wrapperIjLb1EEEEE10hipError_tT1_PNSt15iterator_traitsISG_E10value_typeET2_T3_PNSH_ISM_E10value_typeET4_T5_PSR_SS_PNS1_23onesweep_lookback_stateEbbT6_jjT7_P12ihipStream_tbENKUlT_T0_SG_SL_E_clISA_SA_SB_SB_EEDaSZ_S10_SG_SL_EUlSZ_E_NS1_11comp_targetILNS1_3genE0ELNS1_11target_archE4294967295ELNS1_3gpuE0ELNS1_3repE0EEENS1_47radix_sort_onesweep_sort_config_static_selectorELNS0_4arch9wavefront6targetE0EEEvSG_
; %bb.0:
	s_clause 0x1
	s_load_b128 s[8:11], s[0:1], 0x28
	s_load_b64 s[20:21], s[0:1], 0x38
	v_and_b32_e32 v32, 0x3ff, v0
	s_delay_alu instid0(VALU_DEP_1)
	v_cmp_eq_u32_e64 s2, 0, v32
	s_and_saveexec_b32 s3, s2
	s_cbranch_execz .LBB3000_4
; %bb.1:
	s_mov_b32 s5, exec_lo
	s_mov_b32 s4, exec_lo
	v_mbcnt_lo_u32_b32 v1, s5, 0
                                        ; implicit-def: $vgpr2
	s_delay_alu instid0(VALU_DEP_1)
	v_cmpx_eq_u32_e32 0, v1
	s_cbranch_execz .LBB3000_3
; %bb.2:
	s_load_b64 s[6:7], s[0:1], 0x50
	s_bcnt1_i32_b32 s5, s5
	s_delay_alu instid0(SALU_CYCLE_1)
	v_dual_mov_b32 v2, 0 :: v_dual_mov_b32 v3, s5
	s_wait_xcnt 0x0
	s_wait_kmcnt 0x0
	global_atomic_add_u32 v2, v2, v3, s[6:7] th:TH_ATOMIC_RETURN scope:SCOPE_DEV
.LBB3000_3:
	s_wait_xcnt 0x0
	s_or_b32 exec_lo, exec_lo, s4
	s_wait_loadcnt 0x0
	v_readfirstlane_b32 s4, v2
	s_delay_alu instid0(VALU_DEP_1)
	v_dual_mov_b32 v2, 0 :: v_dual_add_nc_u32 v1, s4, v1
	ds_store_b32 v2, v1 offset:18496
.LBB3000_4:
	s_or_b32 exec_lo, exec_lo, s3
	v_dual_mov_b32 v7, 0 :: v_dual_lshlrev_b32 v2, 3, v32
	s_clause 0x2
	s_load_b128 s[12:15], s[0:1], 0x0
	s_load_b32 s3, s[0:1], 0x20
	s_load_b96 s[16:18], s[0:1], 0x44
	s_wait_dscnt 0x0
	s_barrier_signal -1
	s_barrier_wait -1
	ds_load_b32 v1, v7 offset:18496
	v_mbcnt_lo_u32_b32 v33, -1, 0
	s_mov_b32 s4, -1
	s_add_nc_u64 s[22:23], s[0:1], 0x58
	s_getreg_b32 s7, hwreg(HW_REG_IB_STS2, 6, 4)
	s_wait_dscnt 0x0
	s_barrier_signal -1
	s_barrier_wait -1
	s_wait_kmcnt 0x0
	v_cmp_le_u32_e32 vcc_lo, s18, v1
	v_readfirstlane_b32 s19, v1
	s_cbranch_vccz .LBB3000_70
; %bb.5:
	s_lshl_b32 s4, s19, 12
	s_mov_b32 s5, 0
	v_lshlrev_b32_e32 v6, 3, v33
	s_lshl_b64 s[4:5], s[4:5], 3
	v_and_b32_e32 v1, 0x1f00, v2
	s_add_nc_u64 s[4:5], s[12:13], s[4:5]
	v_mov_b64_e32 v[4:5], -1
	v_add_nc_u64_e32 v[8:9], s[4:5], v[6:7]
	s_lshl_b32 s4, s18, 12
	v_dual_lshlrev_b32 v6, 3, v1 :: v_dual_bitop2_b32 v1, v33, v1 bitop3:0x54
	s_sub_co_i32 s18, s3, s4
	s_mov_b32 s3, exec_lo
	s_delay_alu instid0(VALU_DEP_1)
	v_add_nc_u64_e32 v[20:21], v[8:9], v[6:7]
	v_mov_b64_e32 v[6:7], -1
	v_cmpx_gt_u32_e64 s18, v1
	s_cbranch_execz .LBB3000_7
; %bb.6:
	global_load_b64 v[6:7], v[20:21], off
.LBB3000_7:
	s_wait_xcnt 0x0
	s_or_b32 exec_lo, exec_lo, s3
	v_or_b32_e32 v3, 32, v1
	s_mov_b32 s3, exec_lo
	s_delay_alu instid0(VALU_DEP_1)
	v_cmpx_gt_u32_e64 s18, v3
	s_cbranch_execz .LBB3000_9
; %bb.8:
	global_load_b64 v[4:5], v[20:21], off offset:256
.LBB3000_9:
	s_wait_xcnt 0x0
	s_or_b32 exec_lo, exec_lo, s3
	v_mov_b64_e32 v[8:9], -1
	v_mov_b64_e32 v[10:11], -1
	v_or_b32_e32 v3, 64, v1
	s_mov_b32 s3, exec_lo
	s_delay_alu instid0(VALU_DEP_1)
	v_cmpx_gt_u32_e64 s18, v3
	s_cbranch_execz .LBB3000_11
; %bb.10:
	global_load_b64 v[10:11], v[20:21], off offset:512
.LBB3000_11:
	s_wait_xcnt 0x0
	s_or_b32 exec_lo, exec_lo, s3
	v_or_b32_e32 v3, 0x60, v1
	s_mov_b32 s3, exec_lo
	s_delay_alu instid0(VALU_DEP_1)
	v_cmpx_gt_u32_e64 s18, v3
	s_cbranch_execz .LBB3000_13
; %bb.12:
	global_load_b64 v[8:9], v[20:21], off offset:768
.LBB3000_13:
	s_wait_xcnt 0x0
	s_or_b32 exec_lo, exec_lo, s3
	v_mov_b64_e32 v[12:13], -1
	v_mov_b64_e32 v[14:15], -1
	v_or_b32_e32 v3, 0x80, v1
	s_mov_b32 s3, exec_lo
	s_delay_alu instid0(VALU_DEP_1)
	v_cmpx_gt_u32_e64 s18, v3
	s_cbranch_execz .LBB3000_15
; %bb.14:
	global_load_b64 v[14:15], v[20:21], off offset:1024
.LBB3000_15:
	;; [unrolled: 22-line block ×3, first 2 shown]
	s_wait_xcnt 0x0
	s_or_b32 exec_lo, exec_lo, s3
	v_or_b32_e32 v1, 0xe0, v1
	s_mov_b32 s3, exec_lo
	s_delay_alu instid0(VALU_DEP_1)
	v_cmpx_gt_u32_e64 s18, v1
	s_cbranch_execz .LBB3000_21
; %bb.20:
	global_load_b64 v[16:17], v[20:21], off offset:1792
.LBB3000_21:
	s_wait_xcnt 0x0
	s_or_b32 exec_lo, exec_lo, s3
	s_clause 0x1
	s_load_b32 s24, s[0:1], 0x58
	s_load_u16 s3, s[0:1], 0x66
	s_bfe_u32 s4, ttmp6, 0x4000c
	s_and_b32 s5, ttmp6, 15
	s_add_co_i32 s4, s4, 1
	s_wait_loadcnt 0x0
	v_lshrrev_b64 v[20:21], s16, v[6:7]
	s_mul_i32 s4, ttmp9, s4
	v_bfe_u32 v1, v0, 10, 10
	s_add_co_i32 s5, s5, s4
	s_cmp_eq_u32 s7, 0
	v_bfe_u32 v3, v0, 20, 10
	s_cselect_b32 s4, ttmp9, s5
	s_mov_b32 s5, 0
	s_wait_kmcnt 0x0
	s_cmp_lt_u32 s4, s24
	v_mad_u32_u24 v1, v3, s3, v1
	s_cselect_b32 s4, 12, 18
	s_lshl_b32 s25, -1, s17
	s_add_nc_u64 s[4:5], s[22:23], s[4:5]
	v_bitop3_b32 v3, v20, 1, s25 bitop3:0x40
	v_bitop3_b32 v20, v20, s25, v20 bitop3:0x30
	s_load_u16 s26, s[4:5], 0x0
	s_not_b32 s25, s25
	s_delay_alu instid0(VALU_DEP_2) | instskip(NEXT) | instid1(VALU_DEP_1)
	v_add_co_u32 v3, s3, v3, -1
	v_cndmask_b32_e64 v21, 0, 1, s3
	v_dual_lshlrev_b32 v22, 30, v20 :: v_dual_lshlrev_b32 v23, 29, v20
	v_dual_lshlrev_b32 v24, 28, v20 :: v_dual_lshlrev_b32 v25, 27, v20
	s_delay_alu instid0(VALU_DEP_3) | instskip(NEXT) | instid1(VALU_DEP_3)
	v_cmp_ne_u32_e32 vcc_lo, 0, v21
	v_not_b32_e32 v21, v22
	v_lshlrev_b32_e32 v28, 24, v20
	v_cmp_gt_i32_e64 s3, 0, v22
	s_wait_xcnt 0x0
	v_cmp_gt_i32_e64 s4, 0, v23
	v_not_b32_e32 v22, v23
	v_not_b32_e32 v23, v24
	v_dual_ashrrev_i32 v21, 31, v21 :: v_dual_lshlrev_b32 v26, 26, v20
	v_lshlrev_b32_e32 v27, 25, v20
	v_cmp_gt_i32_e64 s5, 0, v24
	v_not_b32_e32 v24, v25
	v_dual_ashrrev_i32 v22, 31, v22 :: v_dual_bitop2_b32 v3, vcc_lo, v3 bitop3:0x14
	v_dual_ashrrev_i32 v23, 31, v23 :: v_dual_bitop2_b32 v21, s3, v21 bitop3:0x14
	v_cmp_gt_i32_e64 s6, 0, v25
	v_not_b32_e32 v25, v26
	s_delay_alu instid0(VALU_DEP_4) | instskip(NEXT) | instid1(VALU_DEP_4)
	v_dual_ashrrev_i32 v24, 31, v24 :: v_dual_bitop2_b32 v22, s4, v22 bitop3:0x14
	v_xor_b32_e32 v23, s5, v23
	v_bitop3_b32 v3, v3, v21, exec_lo bitop3:0x80
	v_cmp_gt_i32_e32 vcc_lo, 0, v26
	v_ashrrev_i32_e32 v21, 31, v25
	v_not_b32_e32 v25, v27
	v_xor_b32_e32 v24, s6, v24
	v_bitop3_b32 v22, v3, v23, v22 bitop3:0x80
	v_not_b32_e32 v3, v28
	v_xor_b32_e32 v21, vcc_lo, v21
	v_cmp_gt_i32_e32 vcc_lo, 0, v27
	v_ashrrev_i32_e32 v23, 31, v25
	v_cmp_gt_i32_e64 s3, 0, v28
	v_ashrrev_i32_e32 v25, 31, v3
	s_wait_kmcnt 0x0
	v_mad_u32 v1, v1, s26, v32
	v_bitop3_b32 v21, v22, v21, v24 bitop3:0x80
	v_dual_mov_b32 v24, 0 :: v_dual_bitop2_b32 v22, vcc_lo, v23 bitop3:0x14
	v_xor_b32_e32 v23, s3, v25
	v_mul_u32_u24_e32 v3, 36, v32
	ds_store_2addr_b32 v3, v24, v24 offset0:16 offset1:17
	ds_store_2addr_b32 v3, v24, v24 offset0:18 offset1:19
	;; [unrolled: 1-line block ×4, first 2 shown]
	v_bitop3_b32 v21, v21, v23, v22 bitop3:0x80
	v_mul_lo_u32 v22, 0x44, v20
	v_lshrrev_b32_e32 v20, 3, v1
	ds_store_b32 v3, v24 offset:96
	s_wait_dscnt 0x0
	v_mbcnt_lo_u32_b32 v1, v21, 0
	v_cmp_ne_u32_e64 s3, 0, v21
	v_and_b32_e32 v20, 0x1ffffffc, v20
	s_barrier_signal -1
	s_barrier_wait -1
	v_cmp_eq_u32_e32 vcc_lo, 0, v1
	s_delay_alu instid0(VALU_DEP_2) | instskip(SKIP_1) | instid1(SALU_CYCLE_1)
	v_add_nc_u32_e32 v28, v20, v22
	; wave barrier
	s_and_b32 s4, s3, vcc_lo
	s_and_saveexec_b32 s3, s4
; %bb.22:
	v_bcnt_u32_b32 v21, v21, 0
	ds_store_b32 v28, v21 offset:64
; %bb.23:
	s_or_b32 exec_lo, exec_lo, s3
	v_lshrrev_b64 v[22:23], s16, v[4:5]
	; wave barrier
	s_delay_alu instid0(VALU_DEP_1) | instskip(SKIP_1) | instid1(VALU_DEP_2)
	v_and_b32_e32 v21, s25, v22
	v_bitop3_b32 v22, v22, 1, s25 bitop3:0x80
	v_lshlrev_b32_e32 v25, 30, v21
	s_delay_alu instid0(VALU_DEP_2) | instskip(NEXT) | instid1(VALU_DEP_1)
	v_add_co_u32 v22, s3, v22, -1
	v_cndmask_b32_e64 v24, 0, 1, s3
	s_delay_alu instid0(VALU_DEP_1) | instskip(NEXT) | instid1(VALU_DEP_4)
	v_cmp_ne_u32_e32 vcc_lo, 0, v24
	v_not_b32_e32 v24, v25
	s_delay_alu instid0(VALU_DEP_1) | instskip(SKIP_4) | instid1(VALU_DEP_4)
	v_dual_ashrrev_i32 v24, 31, v24 :: v_dual_bitop2_b32 v22, vcc_lo, v22 bitop3:0x14
	v_dual_lshlrev_b32 v26, 29, v21 :: v_dual_lshlrev_b32 v27, 28, v21
	v_lshlrev_b32_e32 v29, 27, v21
	v_cmp_gt_i32_e64 s3, 0, v25
	v_mul_lo_u32 v23, 0x44, v21
	v_cmp_gt_i32_e64 s4, 0, v26
	v_not_b32_e32 v25, v26
	v_not_b32_e32 v26, v27
	v_dual_lshlrev_b32 v30, 26, v21 :: v_dual_lshlrev_b32 v31, 25, v21
	v_lshlrev_b32_e32 v21, 24, v21
	v_cmp_gt_i32_e64 s5, 0, v27
	v_not_b32_e32 v27, v29
	v_dual_ashrrev_i32 v25, 31, v25 :: v_dual_ashrrev_i32 v26, 31, v26
	v_xor_b32_e32 v24, s3, v24
	v_cmp_gt_i32_e64 s6, 0, v29
	v_not_b32_e32 v29, v30
	s_delay_alu instid0(VALU_DEP_4)
	v_dual_ashrrev_i32 v27, 31, v27 :: v_dual_bitop2_b32 v25, s4, v25 bitop3:0x14
	v_xor_b32_e32 v26, s5, v26
	v_bitop3_b32 v22, v22, v24, exec_lo bitop3:0x80
	v_cmp_gt_i32_e32 vcc_lo, 0, v30
	v_ashrrev_i32_e32 v24, 31, v29
	v_not_b32_e32 v29, v31
	v_xor_b32_e32 v27, s6, v27
	v_bitop3_b32 v22, v22, v26, v25 bitop3:0x80
	v_not_b32_e32 v25, v21
	v_xor_b32_e32 v24, vcc_lo, v24
	v_cmp_gt_i32_e32 vcc_lo, 0, v31
	v_ashrrev_i32_e32 v26, 31, v29
	v_cmp_gt_i32_e64 s3, 0, v21
	v_dual_ashrrev_i32 v21, 31, v25 :: v_dual_add_nc_u32 v29, v20, v23
	v_bitop3_b32 v22, v22, v24, v27 bitop3:0x80
	s_delay_alu instid0(VALU_DEP_4) | instskip(NEXT) | instid1(VALU_DEP_3)
	v_xor_b32_e32 v23, vcc_lo, v26
	v_xor_b32_e32 v21, s3, v21
	ds_load_b32 v34, v29 offset:64
	; wave barrier
	v_bitop3_b32 v21, v22, v21, v23 bitop3:0x80
	s_delay_alu instid0(VALU_DEP_1) | instskip(SKIP_1) | instid1(VALU_DEP_2)
	v_mbcnt_lo_u32_b32 v35, v21, 0
	v_cmp_ne_u32_e64 s3, 0, v21
	v_cmp_eq_u32_e32 vcc_lo, 0, v35
	s_and_b32 s4, s3, vcc_lo
	s_delay_alu instid0(SALU_CYCLE_1)
	s_and_saveexec_b32 s3, s4
	s_cbranch_execz .LBB3000_25
; %bb.24:
	s_wait_dscnt 0x0
	v_bcnt_u32_b32 v21, v21, v34
	ds_store_b32 v29, v21 offset:64
.LBB3000_25:
	s_or_b32 exec_lo, exec_lo, s3
	v_lshrrev_b64 v[22:23], s16, v[10:11]
	; wave barrier
	s_delay_alu instid0(VALU_DEP_1) | instskip(SKIP_1) | instid1(VALU_DEP_2)
	v_and_b32_e32 v21, s25, v22
	v_bitop3_b32 v22, v22, 1, s25 bitop3:0x80
	v_lshlrev_b32_e32 v25, 30, v21
	s_delay_alu instid0(VALU_DEP_2) | instskip(NEXT) | instid1(VALU_DEP_1)
	v_add_co_u32 v22, s3, v22, -1
	v_cndmask_b32_e64 v24, 0, 1, s3
	s_delay_alu instid0(VALU_DEP_1) | instskip(NEXT) | instid1(VALU_DEP_4)
	v_cmp_ne_u32_e32 vcc_lo, 0, v24
	v_not_b32_e32 v24, v25
	s_delay_alu instid0(VALU_DEP_1) | instskip(SKIP_4) | instid1(VALU_DEP_4)
	v_dual_ashrrev_i32 v24, 31, v24 :: v_dual_bitop2_b32 v22, vcc_lo, v22 bitop3:0x14
	v_dual_lshlrev_b32 v26, 29, v21 :: v_dual_lshlrev_b32 v27, 28, v21
	v_lshlrev_b32_e32 v30, 27, v21
	v_cmp_gt_i32_e64 s3, 0, v25
	v_mul_lo_u32 v23, 0x44, v21
	v_cmp_gt_i32_e64 s4, 0, v26
	v_not_b32_e32 v25, v26
	v_not_b32_e32 v26, v27
	v_dual_lshlrev_b32 v31, 26, v21 :: v_dual_lshlrev_b32 v36, 25, v21
	v_lshlrev_b32_e32 v21, 24, v21
	v_cmp_gt_i32_e64 s5, 0, v27
	v_not_b32_e32 v27, v30
	v_dual_ashrrev_i32 v25, 31, v25 :: v_dual_ashrrev_i32 v26, 31, v26
	v_xor_b32_e32 v24, s3, v24
	v_cmp_gt_i32_e64 s6, 0, v30
	v_not_b32_e32 v30, v31
	s_delay_alu instid0(VALU_DEP_4)
	v_dual_ashrrev_i32 v27, 31, v27 :: v_dual_bitop2_b32 v25, s4, v25 bitop3:0x14
	v_xor_b32_e32 v26, s5, v26
	v_bitop3_b32 v22, v22, v24, exec_lo bitop3:0x80
	v_cmp_gt_i32_e32 vcc_lo, 0, v31
	v_ashrrev_i32_e32 v24, 31, v30
	v_not_b32_e32 v30, v36
	v_xor_b32_e32 v27, s6, v27
	v_bitop3_b32 v22, v22, v26, v25 bitop3:0x80
	v_not_b32_e32 v25, v21
	v_xor_b32_e32 v24, vcc_lo, v24
	v_cmp_gt_i32_e32 vcc_lo, 0, v36
	v_ashrrev_i32_e32 v26, 31, v30
	v_cmp_gt_i32_e64 s3, 0, v21
	v_dual_ashrrev_i32 v21, 31, v25 :: v_dual_add_nc_u32 v30, v20, v23
	v_bitop3_b32 v22, v22, v24, v27 bitop3:0x80
	s_delay_alu instid0(VALU_DEP_4) | instskip(NEXT) | instid1(VALU_DEP_3)
	v_xor_b32_e32 v23, vcc_lo, v26
	v_xor_b32_e32 v21, s3, v21
	ds_load_b32 v36, v30 offset:64
	; wave barrier
	v_bitop3_b32 v21, v22, v21, v23 bitop3:0x80
	s_delay_alu instid0(VALU_DEP_1) | instskip(SKIP_1) | instid1(VALU_DEP_2)
	v_mbcnt_lo_u32_b32 v37, v21, 0
	v_cmp_ne_u32_e64 s3, 0, v21
	v_cmp_eq_u32_e32 vcc_lo, 0, v37
	s_and_b32 s4, s3, vcc_lo
	s_delay_alu instid0(SALU_CYCLE_1)
	s_and_saveexec_b32 s3, s4
	s_cbranch_execz .LBB3000_27
; %bb.26:
	s_wait_dscnt 0x0
	v_bcnt_u32_b32 v21, v21, v36
	ds_store_b32 v30, v21 offset:64
.LBB3000_27:
	s_or_b32 exec_lo, exec_lo, s3
	v_lshrrev_b64 v[22:23], s16, v[8:9]
	; wave barrier
	s_delay_alu instid0(VALU_DEP_1) | instskip(SKIP_1) | instid1(VALU_DEP_2)
	v_and_b32_e32 v21, s25, v22
	v_bitop3_b32 v22, v22, 1, s25 bitop3:0x80
	v_lshlrev_b32_e32 v25, 30, v21
	s_delay_alu instid0(VALU_DEP_2) | instskip(NEXT) | instid1(VALU_DEP_1)
	v_add_co_u32 v22, s3, v22, -1
	v_cndmask_b32_e64 v24, 0, 1, s3
	s_delay_alu instid0(VALU_DEP_1) | instskip(NEXT) | instid1(VALU_DEP_4)
	v_cmp_ne_u32_e32 vcc_lo, 0, v24
	v_not_b32_e32 v24, v25
	s_delay_alu instid0(VALU_DEP_1) | instskip(SKIP_4) | instid1(VALU_DEP_4)
	v_dual_ashrrev_i32 v24, 31, v24 :: v_dual_bitop2_b32 v22, vcc_lo, v22 bitop3:0x14
	v_dual_lshlrev_b32 v26, 29, v21 :: v_dual_lshlrev_b32 v27, 28, v21
	v_lshlrev_b32_e32 v31, 27, v21
	v_cmp_gt_i32_e64 s3, 0, v25
	v_mul_lo_u32 v23, 0x44, v21
	v_cmp_gt_i32_e64 s4, 0, v26
	v_not_b32_e32 v25, v26
	v_not_b32_e32 v26, v27
	v_dual_lshlrev_b32 v38, 26, v21 :: v_dual_lshlrev_b32 v39, 25, v21
	v_lshlrev_b32_e32 v21, 24, v21
	v_cmp_gt_i32_e64 s5, 0, v27
	v_not_b32_e32 v27, v31
	v_dual_ashrrev_i32 v25, 31, v25 :: v_dual_ashrrev_i32 v26, 31, v26
	v_xor_b32_e32 v24, s3, v24
	v_cmp_gt_i32_e64 s6, 0, v31
	v_not_b32_e32 v31, v38
	s_delay_alu instid0(VALU_DEP_4)
	v_dual_ashrrev_i32 v27, 31, v27 :: v_dual_bitop2_b32 v25, s4, v25 bitop3:0x14
	v_xor_b32_e32 v26, s5, v26
	v_bitop3_b32 v22, v22, v24, exec_lo bitop3:0x80
	v_cmp_gt_i32_e32 vcc_lo, 0, v38
	v_ashrrev_i32_e32 v24, 31, v31
	v_not_b32_e32 v31, v39
	v_xor_b32_e32 v27, s6, v27
	v_bitop3_b32 v22, v22, v26, v25 bitop3:0x80
	v_not_b32_e32 v25, v21
	s_delay_alu instid0(VALU_DEP_4) | instskip(SKIP_2) | instid1(VALU_DEP_4)
	v_dual_ashrrev_i32 v26, 31, v31 :: v_dual_bitop2_b32 v24, vcc_lo, v24 bitop3:0x14
	v_cmp_gt_i32_e32 vcc_lo, 0, v39
	v_cmp_gt_i32_e64 s3, 0, v21
	v_dual_ashrrev_i32 v21, 31, v25 :: v_dual_add_nc_u32 v31, v20, v23
	s_delay_alu instid0(VALU_DEP_4) | instskip(SKIP_1) | instid1(VALU_DEP_3)
	v_bitop3_b32 v22, v22, v24, v27 bitop3:0x80
	v_xor_b32_e32 v23, vcc_lo, v26
	v_xor_b32_e32 v21, s3, v21
	ds_load_b32 v38, v31 offset:64
	; wave barrier
	v_bitop3_b32 v21, v22, v21, v23 bitop3:0x80
	s_delay_alu instid0(VALU_DEP_1) | instskip(SKIP_1) | instid1(VALU_DEP_2)
	v_mbcnt_lo_u32_b32 v39, v21, 0
	v_cmp_ne_u32_e64 s3, 0, v21
	v_cmp_eq_u32_e32 vcc_lo, 0, v39
	s_and_b32 s4, s3, vcc_lo
	s_delay_alu instid0(SALU_CYCLE_1)
	s_and_saveexec_b32 s3, s4
	s_cbranch_execz .LBB3000_29
; %bb.28:
	s_wait_dscnt 0x0
	v_bcnt_u32_b32 v21, v21, v38
	ds_store_b32 v31, v21 offset:64
.LBB3000_29:
	s_or_b32 exec_lo, exec_lo, s3
	v_lshrrev_b64 v[22:23], s16, v[14:15]
	; wave barrier
	s_delay_alu instid0(VALU_DEP_1) | instskip(SKIP_1) | instid1(VALU_DEP_2)
	v_and_b32_e32 v21, s25, v22
	v_bitop3_b32 v22, v22, 1, s25 bitop3:0x80
	v_lshlrev_b32_e32 v25, 30, v21
	s_delay_alu instid0(VALU_DEP_2) | instskip(NEXT) | instid1(VALU_DEP_1)
	v_add_co_u32 v22, s3, v22, -1
	v_cndmask_b32_e64 v24, 0, 1, s3
	s_delay_alu instid0(VALU_DEP_1) | instskip(NEXT) | instid1(VALU_DEP_4)
	v_cmp_ne_u32_e32 vcc_lo, 0, v24
	v_not_b32_e32 v24, v25
	s_delay_alu instid0(VALU_DEP_1) | instskip(SKIP_4) | instid1(VALU_DEP_4)
	v_dual_ashrrev_i32 v24, 31, v24 :: v_dual_bitop2_b32 v22, vcc_lo, v22 bitop3:0x14
	v_dual_lshlrev_b32 v26, 29, v21 :: v_dual_lshlrev_b32 v27, 28, v21
	v_lshlrev_b32_e32 v40, 27, v21
	v_cmp_gt_i32_e64 s3, 0, v25
	v_mul_lo_u32 v23, 0x44, v21
	v_cmp_gt_i32_e64 s4, 0, v26
	v_not_b32_e32 v25, v26
	v_not_b32_e32 v26, v27
	v_dual_lshlrev_b32 v41, 26, v21 :: v_dual_lshlrev_b32 v42, 25, v21
	v_lshlrev_b32_e32 v21, 24, v21
	v_cmp_gt_i32_e64 s5, 0, v27
	v_not_b32_e32 v27, v40
	v_dual_ashrrev_i32 v25, 31, v25 :: v_dual_ashrrev_i32 v26, 31, v26
	v_xor_b32_e32 v24, s3, v24
	v_cmp_gt_i32_e64 s6, 0, v40
	v_not_b32_e32 v40, v41
	s_delay_alu instid0(VALU_DEP_4)
	v_dual_ashrrev_i32 v27, 31, v27 :: v_dual_bitop2_b32 v25, s4, v25 bitop3:0x14
	v_xor_b32_e32 v26, s5, v26
	v_bitop3_b32 v22, v22, v24, exec_lo bitop3:0x80
	v_cmp_gt_i32_e32 vcc_lo, 0, v41
	v_ashrrev_i32_e32 v24, 31, v40
	v_not_b32_e32 v40, v42
	v_xor_b32_e32 v27, s6, v27
	v_bitop3_b32 v22, v22, v26, v25 bitop3:0x80
	v_not_b32_e32 v25, v21
	v_dual_add_nc_u32 v44, v20, v23 :: v_dual_bitop2_b32 v24, vcc_lo, v24 bitop3:0x14
	v_cmp_gt_i32_e32 vcc_lo, 0, v42
	v_ashrrev_i32_e32 v26, 31, v40
	v_cmp_gt_i32_e64 s3, 0, v21
	v_ashrrev_i32_e32 v21, 31, v25
	v_bitop3_b32 v22, v22, v24, v27 bitop3:0x80
	ds_load_b32 v40, v44 offset:64
	v_xor_b32_e32 v23, vcc_lo, v26
	v_xor_b32_e32 v21, s3, v21
	; wave barrier
	s_delay_alu instid0(VALU_DEP_1) | instskip(NEXT) | instid1(VALU_DEP_1)
	v_bitop3_b32 v21, v22, v21, v23 bitop3:0x80
	v_mbcnt_lo_u32_b32 v41, v21, 0
	v_cmp_ne_u32_e64 s3, 0, v21
	s_delay_alu instid0(VALU_DEP_2) | instskip(SKIP_1) | instid1(SALU_CYCLE_1)
	v_cmp_eq_u32_e32 vcc_lo, 0, v41
	s_and_b32 s4, s3, vcc_lo
	s_and_saveexec_b32 s3, s4
	s_cbranch_execz .LBB3000_31
; %bb.30:
	s_wait_dscnt 0x0
	v_bcnt_u32_b32 v21, v21, v40
	ds_store_b32 v44, v21 offset:64
.LBB3000_31:
	s_or_b32 exec_lo, exec_lo, s3
	v_lshrrev_b64 v[22:23], s16, v[12:13]
	; wave barrier
	s_delay_alu instid0(VALU_DEP_1) | instskip(SKIP_1) | instid1(VALU_DEP_2)
	v_and_b32_e32 v21, s25, v22
	v_bitop3_b32 v22, v22, 1, s25 bitop3:0x80
	v_lshlrev_b32_e32 v25, 30, v21
	s_delay_alu instid0(VALU_DEP_2) | instskip(NEXT) | instid1(VALU_DEP_1)
	v_add_co_u32 v22, s3, v22, -1
	v_cndmask_b32_e64 v24, 0, 1, s3
	s_delay_alu instid0(VALU_DEP_1) | instskip(NEXT) | instid1(VALU_DEP_4)
	v_cmp_ne_u32_e32 vcc_lo, 0, v24
	v_not_b32_e32 v24, v25
	s_delay_alu instid0(VALU_DEP_1) | instskip(SKIP_4) | instid1(VALU_DEP_4)
	v_dual_ashrrev_i32 v24, 31, v24 :: v_dual_bitop2_b32 v22, vcc_lo, v22 bitop3:0x14
	v_dual_lshlrev_b32 v26, 29, v21 :: v_dual_lshlrev_b32 v27, 28, v21
	v_lshlrev_b32_e32 v42, 27, v21
	v_cmp_gt_i32_e64 s3, 0, v25
	v_mul_lo_u32 v23, 0x44, v21
	v_cmp_gt_i32_e64 s4, 0, v26
	v_not_b32_e32 v25, v26
	v_not_b32_e32 v26, v27
	v_dual_lshlrev_b32 v43, 26, v21 :: v_dual_lshlrev_b32 v45, 25, v21
	v_lshlrev_b32_e32 v21, 24, v21
	v_cmp_gt_i32_e64 s5, 0, v27
	v_not_b32_e32 v27, v42
	v_dual_ashrrev_i32 v25, 31, v25 :: v_dual_ashrrev_i32 v26, 31, v26
	v_xor_b32_e32 v24, s3, v24
	v_cmp_gt_i32_e64 s6, 0, v42
	v_not_b32_e32 v42, v43
	s_delay_alu instid0(VALU_DEP_4)
	v_dual_ashrrev_i32 v27, 31, v27 :: v_dual_bitop2_b32 v25, s4, v25 bitop3:0x14
	v_xor_b32_e32 v26, s5, v26
	v_bitop3_b32 v22, v22, v24, exec_lo bitop3:0x80
	v_cmp_gt_i32_e32 vcc_lo, 0, v43
	v_ashrrev_i32_e32 v24, 31, v42
	v_not_b32_e32 v42, v45
	v_xor_b32_e32 v27, s6, v27
	v_bitop3_b32 v22, v22, v26, v25 bitop3:0x80
	v_not_b32_e32 v25, v21
	v_dual_add_nc_u32 v47, v20, v23 :: v_dual_bitop2_b32 v24, vcc_lo, v24 bitop3:0x14
	v_cmp_gt_i32_e32 vcc_lo, 0, v45
	v_ashrrev_i32_e32 v26, 31, v42
	v_cmp_gt_i32_e64 s3, 0, v21
	v_ashrrev_i32_e32 v21, 31, v25
	v_bitop3_b32 v22, v22, v24, v27 bitop3:0x80
	ds_load_b32 v42, v47 offset:64
	v_xor_b32_e32 v23, vcc_lo, v26
	v_xor_b32_e32 v21, s3, v21
	; wave barrier
	s_delay_alu instid0(VALU_DEP_1) | instskip(NEXT) | instid1(VALU_DEP_1)
	v_bitop3_b32 v21, v22, v21, v23 bitop3:0x80
	v_mbcnt_lo_u32_b32 v43, v21, 0
	v_cmp_ne_u32_e64 s3, 0, v21
	s_delay_alu instid0(VALU_DEP_2) | instskip(SKIP_1) | instid1(SALU_CYCLE_1)
	v_cmp_eq_u32_e32 vcc_lo, 0, v43
	s_and_b32 s4, s3, vcc_lo
	s_and_saveexec_b32 s3, s4
	s_cbranch_execz .LBB3000_33
; %bb.32:
	s_wait_dscnt 0x0
	v_bcnt_u32_b32 v21, v21, v42
	ds_store_b32 v47, v21 offset:64
.LBB3000_33:
	s_or_b32 exec_lo, exec_lo, s3
	v_lshrrev_b64 v[22:23], s16, v[18:19]
	; wave barrier
	s_delay_alu instid0(VALU_DEP_1) | instskip(SKIP_1) | instid1(VALU_DEP_2)
	v_and_b32_e32 v21, s25, v22
	v_bitop3_b32 v22, v22, 1, s25 bitop3:0x80
	v_lshlrev_b32_e32 v25, 30, v21
	s_delay_alu instid0(VALU_DEP_2) | instskip(NEXT) | instid1(VALU_DEP_1)
	v_add_co_u32 v22, s3, v22, -1
	v_cndmask_b32_e64 v24, 0, 1, s3
	s_delay_alu instid0(VALU_DEP_1) | instskip(NEXT) | instid1(VALU_DEP_4)
	v_cmp_ne_u32_e32 vcc_lo, 0, v24
	v_not_b32_e32 v24, v25
	s_delay_alu instid0(VALU_DEP_1) | instskip(SKIP_4) | instid1(VALU_DEP_4)
	v_dual_ashrrev_i32 v24, 31, v24 :: v_dual_bitop2_b32 v22, vcc_lo, v22 bitop3:0x14
	v_dual_lshlrev_b32 v26, 29, v21 :: v_dual_lshlrev_b32 v27, 28, v21
	v_lshlrev_b32_e32 v45, 27, v21
	v_cmp_gt_i32_e64 s3, 0, v25
	v_mul_lo_u32 v23, 0x44, v21
	v_cmp_gt_i32_e64 s4, 0, v26
	v_not_b32_e32 v25, v26
	v_not_b32_e32 v26, v27
	v_dual_lshlrev_b32 v46, 26, v21 :: v_dual_lshlrev_b32 v48, 25, v21
	v_lshlrev_b32_e32 v21, 24, v21
	v_cmp_gt_i32_e64 s5, 0, v27
	v_not_b32_e32 v27, v45
	v_dual_ashrrev_i32 v25, 31, v25 :: v_dual_ashrrev_i32 v26, 31, v26
	v_xor_b32_e32 v24, s3, v24
	v_cmp_gt_i32_e64 s6, 0, v45
	v_not_b32_e32 v45, v46
	s_delay_alu instid0(VALU_DEP_4)
	v_dual_ashrrev_i32 v27, 31, v27 :: v_dual_bitop2_b32 v25, s4, v25 bitop3:0x14
	v_dual_add_nc_u32 v50, v20, v23 :: v_dual_bitop2_b32 v26, s5, v26 bitop3:0x14
	v_bitop3_b32 v22, v22, v24, exec_lo bitop3:0x80
	v_cmp_gt_i32_e32 vcc_lo, 0, v46
	v_ashrrev_i32_e32 v24, 31, v45
	v_not_b32_e32 v45, v48
	v_xor_b32_e32 v27, s6, v27
	v_bitop3_b32 v22, v22, v26, v25 bitop3:0x80
	v_not_b32_e32 v25, v21
	v_xor_b32_e32 v24, vcc_lo, v24
	v_cmp_gt_i32_e32 vcc_lo, 0, v48
	v_ashrrev_i32_e32 v26, 31, v45
	v_cmp_gt_i32_e64 s3, 0, v21
	v_ashrrev_i32_e32 v21, 31, v25
	v_bitop3_b32 v22, v22, v24, v27 bitop3:0x80
	ds_load_b32 v45, v50 offset:64
	v_xor_b32_e32 v23, vcc_lo, v26
	v_xor_b32_e32 v21, s3, v21
	; wave barrier
	s_delay_alu instid0(VALU_DEP_1) | instskip(NEXT) | instid1(VALU_DEP_1)
	v_bitop3_b32 v21, v22, v21, v23 bitop3:0x80
	v_mbcnt_lo_u32_b32 v46, v21, 0
	v_cmp_ne_u32_e64 s3, 0, v21
	s_delay_alu instid0(VALU_DEP_2) | instskip(SKIP_1) | instid1(SALU_CYCLE_1)
	v_cmp_eq_u32_e32 vcc_lo, 0, v46
	s_and_b32 s4, s3, vcc_lo
	s_and_saveexec_b32 s3, s4
	s_cbranch_execz .LBB3000_35
; %bb.34:
	s_wait_dscnt 0x0
	v_bcnt_u32_b32 v21, v21, v45
	ds_store_b32 v50, v21 offset:64
.LBB3000_35:
	s_or_b32 exec_lo, exec_lo, s3
	v_lshrrev_b64 v[22:23], s16, v[16:17]
	; wave barrier
	s_delay_alu instid0(VALU_DEP_1) | instskip(SKIP_1) | instid1(VALU_DEP_2)
	v_and_b32_e32 v21, s25, v22
	v_bitop3_b32 v22, v22, 1, s25 bitop3:0x80
	v_lshlrev_b32_e32 v25, 30, v21
	s_delay_alu instid0(VALU_DEP_2) | instskip(NEXT) | instid1(VALU_DEP_1)
	v_add_co_u32 v22, s3, v22, -1
	v_cndmask_b32_e64 v24, 0, 1, s3
	s_delay_alu instid0(VALU_DEP_1) | instskip(NEXT) | instid1(VALU_DEP_4)
	v_cmp_ne_u32_e32 vcc_lo, 0, v24
	v_not_b32_e32 v24, v25
	s_delay_alu instid0(VALU_DEP_1) | instskip(SKIP_4) | instid1(VALU_DEP_4)
	v_dual_ashrrev_i32 v24, 31, v24 :: v_dual_bitop2_b32 v22, vcc_lo, v22 bitop3:0x14
	v_dual_lshlrev_b32 v26, 29, v21 :: v_dual_lshlrev_b32 v27, 28, v21
	v_lshlrev_b32_e32 v48, 27, v21
	v_cmp_gt_i32_e64 s3, 0, v25
	v_mul_lo_u32 v23, 0x44, v21
	v_cmp_gt_i32_e64 s4, 0, v26
	v_not_b32_e32 v25, v26
	v_not_b32_e32 v26, v27
	v_dual_lshlrev_b32 v49, 26, v21 :: v_dual_lshlrev_b32 v51, 25, v21
	v_lshlrev_b32_e32 v21, 24, v21
	v_cmp_gt_i32_e64 s5, 0, v27
	v_not_b32_e32 v27, v48
	v_dual_ashrrev_i32 v25, 31, v25 :: v_dual_ashrrev_i32 v26, 31, v26
	v_xor_b32_e32 v24, s3, v24
	v_cmp_gt_i32_e64 s6, 0, v48
	v_not_b32_e32 v48, v49
	s_delay_alu instid0(VALU_DEP_4)
	v_dual_ashrrev_i32 v27, 31, v27 :: v_dual_bitop2_b32 v25, s4, v25 bitop3:0x14
	v_xor_b32_e32 v26, s5, v26
	v_bitop3_b32 v22, v22, v24, exec_lo bitop3:0x80
	v_cmp_gt_i32_e32 vcc_lo, 0, v49
	v_ashrrev_i32_e32 v24, 31, v48
	v_not_b32_e32 v48, v51
	v_xor_b32_e32 v27, s6, v27
	v_bitop3_b32 v22, v22, v26, v25 bitop3:0x80
	v_not_b32_e32 v25, v21
	v_dual_add_nc_u32 v54, v20, v23 :: v_dual_bitop2_b32 v24, vcc_lo, v24 bitop3:0x14
	v_cmp_gt_i32_e32 vcc_lo, 0, v51
	v_ashrrev_i32_e32 v26, 31, v48
	v_cmp_gt_i32_e64 s3, 0, v21
	v_ashrrev_i32_e32 v21, 31, v25
	v_bitop3_b32 v20, v22, v24, v27 bitop3:0x80
	ds_load_b32 v48, v54 offset:64
	v_xor_b32_e32 v22, vcc_lo, v26
	v_xor_b32_e32 v21, s3, v21
	; wave barrier
	s_delay_alu instid0(VALU_DEP_1) | instskip(NEXT) | instid1(VALU_DEP_1)
	v_bitop3_b32 v20, v20, v21, v22 bitop3:0x80
	v_mbcnt_lo_u32_b32 v49, v20, 0
	v_cmp_ne_u32_e64 s3, 0, v20
	s_delay_alu instid0(VALU_DEP_2) | instskip(SKIP_1) | instid1(SALU_CYCLE_1)
	v_cmp_eq_u32_e32 vcc_lo, 0, v49
	s_and_b32 s4, s3, vcc_lo
	s_and_saveexec_b32 s3, s4
	s_cbranch_execz .LBB3000_37
; %bb.36:
	s_wait_dscnt 0x0
	v_bcnt_u32_b32 v20, v20, v48
	ds_store_b32 v54, v20 offset:64
.LBB3000_37:
	s_or_b32 exec_lo, exec_lo, s3
	; wave barrier
	s_wait_dscnt 0x0
	s_barrier_signal -1
	s_barrier_wait -1
	ds_load_2addr_b32 v[26:27], v3 offset0:16 offset1:17
	ds_load_2addr_b32 v[24:25], v3 offset0:18 offset1:19
	;; [unrolled: 1-line block ×4, first 2 shown]
	ds_load_b32 v51, v3 offset:96
	v_bfe_i32 v55, v33, 4, 1
	s_mov_b32 s26, exec_lo
	s_wait_dscnt 0x3
	v_add3_u32 v52, v27, v26, v24
	s_wait_dscnt 0x2
	s_delay_alu instid0(VALU_DEP_1) | instskip(SKIP_1) | instid1(VALU_DEP_1)
	v_add3_u32 v52, v52, v25, v22
	s_wait_dscnt 0x1
	v_add3_u32 v52, v52, v23, v20
	s_wait_dscnt 0x0
	s_delay_alu instid0(VALU_DEP_1) | instskip(SKIP_1) | instid1(VALU_DEP_2)
	v_add3_u32 v51, v52, v21, v51
	v_and_b32_e32 v52, 15, v33
	v_mov_b32_dpp v53, v51 row_shr:1 row_mask:0xf bank_mask:0xf
	s_delay_alu instid0(VALU_DEP_2) | instskip(NEXT) | instid1(VALU_DEP_2)
	v_cmp_eq_u32_e32 vcc_lo, 0, v52
	v_cndmask_b32_e64 v53, v53, 0, vcc_lo
	s_delay_alu instid0(VALU_DEP_1) | instskip(SKIP_3) | instid1(VALU_DEP_4)
	v_add_nc_u32_e32 v51, v53, v51
	v_cmp_lt_u32_e64 s3, 1, v52
	v_cmp_lt_u32_e64 s4, 3, v52
	;; [unrolled: 1-line block ×3, first 2 shown]
	v_mov_b32_dpp v53, v51 row_shr:2 row_mask:0xf bank_mask:0xf
	s_delay_alu instid0(VALU_DEP_1) | instskip(NEXT) | instid1(VALU_DEP_1)
	v_cndmask_b32_e64 v53, 0, v53, s3
	v_add_nc_u32_e32 v51, v51, v53
	s_delay_alu instid0(VALU_DEP_1) | instskip(NEXT) | instid1(VALU_DEP_1)
	v_mov_b32_dpp v53, v51 row_shr:4 row_mask:0xf bank_mask:0xf
	v_cndmask_b32_e64 v53, 0, v53, s4
	s_delay_alu instid0(VALU_DEP_1) | instskip(NEXT) | instid1(VALU_DEP_1)
	v_add_nc_u32_e32 v51, v51, v53
	v_mov_b32_dpp v53, v51 row_shr:8 row_mask:0xf bank_mask:0xf
	s_delay_alu instid0(VALU_DEP_1) | instskip(SKIP_1) | instid1(VALU_DEP_2)
	v_cndmask_b32_e64 v52, 0, v53, s5
	v_and_b32_e32 v53, 0x3e0, v32
	v_add_nc_u32_e32 v51, v51, v52
	s_delay_alu instid0(VALU_DEP_2) | instskip(SKIP_4) | instid1(VALU_DEP_1)
	v_min_u32_e32 v53, 0x1e0, v53
	ds_swizzle_b32 v52, v51 offset:swizzle(BROADCAST,32,15)
	v_or_b32_e32 v53, 31, v53
	s_wait_dscnt 0x0
	v_and_b32_e32 v55, v55, v52
	v_dual_lshrrev_b32 v52, 5, v32 :: v_dual_add_nc_u32 v51, v51, v55
	s_delay_alu instid0(VALU_DEP_3)
	v_cmpx_eq_u32_e64 v32, v53
; %bb.38:
	s_delay_alu instid0(VALU_DEP_2)
	v_lshlrev_b32_e32 v53, 2, v52
	ds_store_b32 v53, v51
; %bb.39:
	s_or_b32 exec_lo, exec_lo, s26
	s_delay_alu instid0(SALU_CYCLE_1)
	s_mov_b32 s26, exec_lo
	s_wait_dscnt 0x0
	s_barrier_signal -1
	s_barrier_wait -1
	v_cmpx_gt_u32_e32 16, v32
	s_cbranch_execz .LBB3000_41
; %bb.40:
	v_lshlrev_b32_e32 v53, 2, v32
	ds_load_b32 v55, v53
	s_wait_dscnt 0x0
	v_mov_b32_dpp v56, v55 row_shr:1 row_mask:0xf bank_mask:0xf
	s_delay_alu instid0(VALU_DEP_1) | instskip(NEXT) | instid1(VALU_DEP_1)
	v_cndmask_b32_e64 v56, v56, 0, vcc_lo
	v_add_nc_u32_e32 v55, v56, v55
	s_delay_alu instid0(VALU_DEP_1) | instskip(NEXT) | instid1(VALU_DEP_1)
	v_mov_b32_dpp v56, v55 row_shr:2 row_mask:0xf bank_mask:0xf
	v_cndmask_b32_e64 v56, 0, v56, s3
	s_delay_alu instid0(VALU_DEP_1) | instskip(NEXT) | instid1(VALU_DEP_1)
	v_add_nc_u32_e32 v55, v55, v56
	v_mov_b32_dpp v56, v55 row_shr:4 row_mask:0xf bank_mask:0xf
	s_delay_alu instid0(VALU_DEP_1) | instskip(NEXT) | instid1(VALU_DEP_1)
	v_cndmask_b32_e64 v56, 0, v56, s4
	v_add_nc_u32_e32 v55, v55, v56
	s_delay_alu instid0(VALU_DEP_1) | instskip(NEXT) | instid1(VALU_DEP_1)
	v_mov_b32_dpp v56, v55 row_shr:8 row_mask:0xf bank_mask:0xf
	v_cndmask_b32_e64 v56, 0, v56, s5
	s_delay_alu instid0(VALU_DEP_1)
	v_add_nc_u32_e32 v55, v55, v56
	ds_store_b32 v53, v55
.LBB3000_41:
	s_or_b32 exec_lo, exec_lo, s26
	v_mov_b32_e32 v53, 0
	s_mov_b32 s3, exec_lo
	s_wait_dscnt 0x0
	s_barrier_signal -1
	s_barrier_wait -1
	v_cmpx_lt_u32_e32 31, v32
; %bb.42:
	v_lshl_add_u32 v52, v52, 2, -4
	ds_load_b32 v53, v52
; %bb.43:
	s_or_b32 exec_lo, exec_lo, s3
	v_sub_co_u32 v52, vcc_lo, v33, 1
	s_wait_dscnt 0x0
	v_add_nc_u32_e32 v51, v53, v51
	s_delay_alu instid0(VALU_DEP_2) | instskip(NEXT) | instid1(VALU_DEP_1)
	v_cmp_gt_i32_e64 s3, 0, v52
	v_cndmask_b32_e64 v52, v52, v33, s3
	v_cmp_lt_u32_e64 s3, 0xff, v32
	s_delay_alu instid0(VALU_DEP_2) | instskip(SKIP_4) | instid1(VALU_DEP_2)
	v_lshlrev_b32_e32 v52, 2, v52
	ds_bpermute_b32 v51, v52, v51
	s_wait_dscnt 0x0
	v_cndmask_b32_e32 v51, v51, v53, vcc_lo
	v_cmp_gt_u32_e32 vcc_lo, 0x100, v32
	v_cndmask_b32_e64 v51, v51, 0, s2
	s_delay_alu instid0(VALU_DEP_1) | instskip(NEXT) | instid1(VALU_DEP_1)
	v_add_nc_u32_e32 v26, v51, v26
	v_add_nc_u32_e32 v27, v26, v27
	s_delay_alu instid0(VALU_DEP_1) | instskip(NEXT) | instid1(VALU_DEP_1)
	v_add_nc_u32_e32 v24, v27, v24
	v_add_nc_u32_e32 v25, v24, v25
	;; [unrolled: 3-line block ×4, first 2 shown]
	ds_store_2addr_b32 v3, v51, v26 offset0:16 offset1:17
	ds_store_2addr_b32 v3, v27, v24 offset0:18 offset1:19
	;; [unrolled: 1-line block ×4, first 2 shown]
	ds_store_b32 v3, v21 offset:96
	s_wait_dscnt 0x0
	s_barrier_signal -1
	s_barrier_wait -1
	ds_load_b32 v53, v28 offset:64
	ds_load_b32 v23, v29 offset:64
	;; [unrolled: 1-line block ×8, first 2 shown]
	v_mov_b64_e32 v[20:21], 0
                                        ; implicit-def: $vgpr22
	s_and_saveexec_b32 s5, vcc_lo
	s_cbranch_execz .LBB3000_47
; %bb.44:
	v_mul_u32_u24_e32 v3, 0x44, v32
	v_add_nc_u32_e32 v21, 1, v32
	s_mov_b32 s6, exec_lo
	ds_load_b32 v20, v3 offset:64
	v_mov_b32_e32 v3, 0x1000
	v_cmpx_ne_u32_e32 0x100, v21
; %bb.45:
	v_mul_u32_u24_e32 v3, 0x44, v21
	ds_load_b32 v3, v3 offset:64
; %bb.46:
	s_or_b32 exec_lo, exec_lo, s6
	s_wait_dscnt 0x0
	v_dual_mov_b32 v21, 0 :: v_dual_sub_nc_u32 v22, v3, v20
.LBB3000_47:
	s_or_b32 exec_lo, exec_lo, s5
	v_mov_b32_e32 v25, 0
	s_wait_dscnt 0x0
	s_barrier_signal -1
	s_barrier_wait -1
	s_and_saveexec_b32 s4, vcc_lo
	s_cbranch_execz .LBB3000_57
; %bb.48:
	v_lshl_add_u32 v24, s19, 8, v32
	v_dual_mov_b32 v28, 0 :: v_dual_bitop2_b32 v3, 2.0, v22 bitop3:0x54
	s_mov_b32 s5, 0
	s_mov_b32 s6, s19
	s_delay_alu instid0(VALU_DEP_2)
	v_lshl_add_u64 v[26:27], v[24:25], 2, s[20:21]
	global_store_b32 v24, v3, s[20:21] scale_offset scope:SCOPE_DEV
                                        ; implicit-def: $sgpr26
	s_branch .LBB3000_51
.LBB3000_49:                            ;   in Loop: Header=BB3000_51 Depth=1
	s_or_b32 exec_lo, exec_lo, s27
.LBB3000_50:                            ;   in Loop: Header=BB3000_51 Depth=1
	s_delay_alu instid0(SALU_CYCLE_1) | instskip(SKIP_2) | instid1(VALU_DEP_2)
	s_or_b32 exec_lo, exec_lo, s26
	v_and_b32_e32 v24, 0x3fffffff, v3
	v_cmp_gt_i32_e64 s26, -2.0, v3
	v_add_nc_u32_e32 v28, v24, v28
	s_and_b32 s27, exec_lo, s26
	s_delay_alu instid0(SALU_CYCLE_1) | instskip(NEXT) | instid1(SALU_CYCLE_1)
	s_or_b32 s5, s27, s5
	s_and_not1_b32 exec_lo, exec_lo, s5
	s_cbranch_execz .LBB3000_56
.LBB3000_51:                            ; =>This Loop Header: Depth=1
                                        ;     Child Loop BB3000_54 Depth 2
	s_or_b32 s26, s26, exec_lo
	s_cmp_eq_u32 s6, 0
	s_cbranch_scc1 .LBB3000_55
; %bb.52:                               ;   in Loop: Header=BB3000_51 Depth=1
	s_add_co_i32 s6, s6, -1
	s_mov_b32 s26, exec_lo
	s_wait_xcnt 0x0
	v_lshl_or_b32 v24, s6, 8, v32
	global_load_b32 v3, v24, s[20:21] scale_offset scope:SCOPE_DEV
	s_wait_loadcnt 0x0
	v_cmpx_gt_u32_e32 2.0, v3
	s_cbranch_execz .LBB3000_50
; %bb.53:                               ;   in Loop: Header=BB3000_51 Depth=1
	v_lshl_add_u64 v[30:31], v[24:25], 2, s[20:21]
	s_mov_b32 s27, 0
.LBB3000_54:                            ;   Parent Loop BB3000_51 Depth=1
                                        ; =>  This Inner Loop Header: Depth=2
	global_load_b32 v3, v[30:31], off scope:SCOPE_DEV
	s_wait_loadcnt 0x0
	v_cmp_lt_u32_e32 vcc_lo, 0x3fffffff, v3
	s_or_b32 s27, vcc_lo, s27
	s_wait_xcnt 0x0
	s_and_not1_b32 exec_lo, exec_lo, s27
	s_cbranch_execnz .LBB3000_54
	s_branch .LBB3000_49
.LBB3000_55:                            ;   in Loop: Header=BB3000_51 Depth=1
                                        ; implicit-def: $sgpr6
	s_and_b32 s27, exec_lo, s26
	s_delay_alu instid0(SALU_CYCLE_1)
	s_or_b32 s5, s27, s5
	s_wait_xcnt 0x0
	s_and_not1_b32 exec_lo, exec_lo, s5
	s_cbranch_execnz .LBB3000_51
.LBB3000_56:
	s_or_b32 exec_lo, exec_lo, s5
	v_dual_add_nc_u32 v3, v28, v22 :: v_dual_mov_b32 v29, 0
	s_delay_alu instid0(VALU_DEP_1)
	v_or_b32_e32 v3, 0x80000000, v3
	global_store_b32 v[26:27], v3, off scope:SCOPE_DEV
	global_load_b64 v[24:25], v32, s[8:9] scale_offset
	s_wait_xcnt 0x1
	v_sub_nc_u64_e32 v[26:27], v[28:29], v[20:21]
	s_wait_loadcnt 0x0
	s_delay_alu instid0(VALU_DEP_1)
	v_add_nc_u64_e32 v[24:25], v[26:27], v[24:25]
	ds_store_b64 v2, v[24:25]
.LBB3000_57:
	s_wait_xcnt 0x0
	s_or_b32 exec_lo, exec_lo, s4
	v_dual_mov_b32 v3, 0 :: v_dual_add_nc_u32 v1, v53, v1
	v_add3_u32 v26, v46, v50, v45
	v_add3_u32 v27, v43, v47, v42
	;; [unrolled: 1-line block ×3, first 2 shown]
	s_delay_alu instid0(VALU_DEP_4)
	v_add_nc_u64_e32 v[24:25], s[14:15], v[2:3]
	v_add3_u32 v3, v49, v54, v48
	v_add3_u32 v29, v39, v52, v38
	;; [unrolled: 1-line block ×4, first 2 shown]
	v_mov_b32_e32 v31, v32
	s_mov_b32 s5, -1
	v_add_nc_u64_e32 v[24:25], 0x3000, v[24:25]
	s_mov_b32 s4, 0
	s_branch .LBB3000_59
.LBB3000_58:                            ;   in Loop: Header=BB3000_59 Depth=1
	s_wait_xcnt 0x0
	s_or_b32 exec_lo, exec_lo, s6
	v_add_nc_u64_e32 v[24:25], 0x4000, v[24:25]
	v_add_nc_u32_e32 v31, 0x800, v31
	s_xor_b32 s5, s5, -1
	s_addk_co_i32 s4, 0xf800
	s_and_b32 vcc_lo, exec_lo, s5
	s_mov_b32 s5, 0
	s_wait_storecnt 0x0
	s_barrier_signal -1
	s_barrier_wait -1
	s_cbranch_vccnz .LBB3000_67
.LBB3000_59:                            ; =>This Inner Loop Header: Depth=1
	v_add_min_u32_e64 v34, v1, s4, 0x800
	v_add_min_u32_e64 v35, v23, s4, 0x800
	;; [unrolled: 1-line block ×5, first 2 shown]
	s_delay_alu instid0(VALU_DEP_4) | instskip(NEXT) | instid1(VALU_DEP_3)
	v_dual_lshlrev_b32 v34, 3, v34 :: v_dual_lshlrev_b32 v35, 3, v35
	v_dual_lshlrev_b32 v36, 3, v36 :: v_dual_lshlrev_b32 v37, 3, v37
	s_mov_b32 s6, exec_lo
	ds_store_b64 v34, v[6:7] offset:2048
	ds_store_b64 v35, v[4:5] offset:2048
	;; [unrolled: 1-line block ×3, first 2 shown]
	v_add_min_u32_e64 v34, v27, s4, 0x800
	v_add_min_u32_e64 v35, v26, s4, 0x800
	;; [unrolled: 1-line block ×3, first 2 shown]
	v_lshlrev_b32_e32 v38, 3, v38
	s_delay_alu instid0(VALU_DEP_3) | instskip(NEXT) | instid1(VALU_DEP_3)
	v_dual_lshlrev_b32 v34, 3, v34 :: v_dual_lshlrev_b32 v35, 3, v35
	v_lshlrev_b32_e32 v36, 3, v36
	ds_store_b64 v37, v[8:9] offset:2048
	ds_store_b64 v38, v[14:15] offset:2048
	;; [unrolled: 1-line block ×5, first 2 shown]
	s_wait_storecnt_dscnt 0x0
	s_barrier_signal -1
	s_barrier_wait -1
	v_cmpx_gt_u32_e64 s18, v31
	s_cbranch_execz .LBB3000_61
; %bb.60:                               ;   in Loop: Header=BB3000_59 Depth=1
	ds_load_b64 v[34:35], v2 offset:2048
	s_wait_dscnt 0x0
	v_lshrrev_b64 v[36:37], s16, v[34:35]
	s_delay_alu instid0(VALU_DEP_1) | instskip(NEXT) | instid1(VALU_DEP_1)
	v_and_b32_e32 v36, s25, v36
	v_lshlrev_b32_e32 v36, 3, v36
	ds_load_b64 v[36:37], v36
	s_wait_dscnt 0x0
	v_lshl_add_u64 v[36:37], v[36:37], 3, v[24:25]
	global_store_b64 v[36:37], v[34:35], off offset:-12288
.LBB3000_61:                            ;   in Loop: Header=BB3000_59 Depth=1
	s_wait_xcnt 0x0
	s_or_b32 exec_lo, exec_lo, s6
	v_add_nc_u32_e32 v34, 0x200, v31
	s_mov_b32 s6, exec_lo
	s_delay_alu instid0(VALU_DEP_1)
	v_cmpx_gt_u32_e64 s18, v34
	s_cbranch_execz .LBB3000_63
; %bb.62:                               ;   in Loop: Header=BB3000_59 Depth=1
	ds_load_b64 v[34:35], v2 offset:6144
	s_wait_dscnt 0x0
	v_lshrrev_b64 v[36:37], s16, v[34:35]
	s_delay_alu instid0(VALU_DEP_1) | instskip(NEXT) | instid1(VALU_DEP_1)
	v_and_b32_e32 v36, s25, v36
	v_lshlrev_b32_e32 v36, 3, v36
	ds_load_b64 v[36:37], v36
	s_wait_dscnt 0x0
	v_lshl_add_u64 v[36:37], v[36:37], 3, v[24:25]
	global_store_b64 v[36:37], v[34:35], off offset:-8192
.LBB3000_63:                            ;   in Loop: Header=BB3000_59 Depth=1
	s_wait_xcnt 0x0
	s_or_b32 exec_lo, exec_lo, s6
	v_add_nc_u32_e32 v34, 0x400, v31
	s_mov_b32 s6, exec_lo
	s_delay_alu instid0(VALU_DEP_1)
	;; [unrolled: 19-line block ×3, first 2 shown]
	v_cmpx_gt_u32_e64 s18, v34
	s_cbranch_execz .LBB3000_58
; %bb.66:                               ;   in Loop: Header=BB3000_59 Depth=1
	ds_load_b64 v[34:35], v2 offset:14336
	s_wait_dscnt 0x0
	v_lshrrev_b64 v[36:37], s16, v[34:35]
	s_delay_alu instid0(VALU_DEP_1) | instskip(NEXT) | instid1(VALU_DEP_1)
	v_and_b32_e32 v36, s25, v36
	v_lshlrev_b32_e32 v36, 3, v36
	ds_load_b64 v[36:37], v36
	s_wait_dscnt 0x0
	v_lshl_add_u64 v[36:37], v[36:37], 3, v[24:25]
	global_store_b64 v[36:37], v[34:35], off
	s_branch .LBB3000_58
.LBB3000_67:
	s_add_co_i32 s24, s24, -1
	s_delay_alu instid0(SALU_CYCLE_1) | instskip(SKIP_2) | instid1(SALU_CYCLE_1)
	s_cmp_eq_u32 s19, s24
	s_cselect_b32 s4, -1, 0
	s_xor_b32 s3, s3, -1
	s_and_b32 s4, s3, s4
	s_delay_alu instid0(SALU_CYCLE_1)
	s_and_saveexec_b32 s3, s4
	s_cbranch_execz .LBB3000_69
; %bb.68:
	ds_load_b64 v[4:5], v2
	v_mov_b32_e32 v23, 0
	s_delay_alu instid0(VALU_DEP_1) | instskip(SKIP_1) | instid1(VALU_DEP_1)
	v_add_nc_u64_e32 v[6:7], v[20:21], v[22:23]
	s_wait_dscnt 0x0
	v_add_nc_u64_e32 v[4:5], v[6:7], v[4:5]
	global_store_b64 v32, v[4:5], s[10:11] scale_offset
.LBB3000_69:
	s_wait_xcnt 0x0
	s_or_b32 exec_lo, exec_lo, s3
	s_mov_b32 s4, 0
.LBB3000_70:
	s_delay_alu instid0(SALU_CYCLE_1)
	s_and_b32 vcc_lo, exec_lo, s4
	s_cbranch_vccz .LBB3000_111
; %bb.71:
	s_lshl_b32 s4, s19, 12
	s_mov_b32 s5, 0
	v_dual_mov_b32 v21, 0 :: v_dual_lshlrev_b32 v20, 3, v33
	s_lshl_b64 s[24:25], s[4:5], 3
	v_lshlrev_b32_e32 v1, 6, v32
	s_add_nc_u64 s[12:13], s[12:13], s[24:25]
	s_delay_alu instid0(VALU_DEP_2) | instid1(SALU_CYCLE_1)
	v_add_nc_u64_e32 v[4:5], s[12:13], v[20:21]
	s_delay_alu instid0(VALU_DEP_2) | instskip(SKIP_2) | instid1(VALU_DEP_3)
	v_and_b32_e32 v20, 0xf800, v1
	v_bfe_u32 v1, v0, 10, 10
	v_bfe_u32 v0, v0, 20, 10
	v_add_nc_u64_e32 v[22:23], v[4:5], v[20:21]
	s_clause 0x7
	global_load_b64 v[4:5], v[22:23], off
	global_load_b64 v[6:7], v[22:23], off offset:256
	global_load_b64 v[8:9], v[22:23], off offset:512
	;; [unrolled: 1-line block ×7, first 2 shown]
	s_clause 0x1
	s_load_b32 s12, s[0:1], 0x58
	s_load_u16 s3, s[0:1], 0x66
	s_wait_xcnt 0x0
	s_bfe_u32 s0, ttmp6, 0x4000c
	s_and_b32 s1, ttmp6, 15
	s_add_co_i32 s0, s0, 1
	s_delay_alu instid0(SALU_CYCLE_1) | instskip(NEXT) | instid1(SALU_CYCLE_1)
	s_mul_i32 s0, ttmp9, s0
	s_add_co_i32 s1, s1, s0
	s_cmp_eq_u32 s7, 0
	s_cselect_b32 s0, ttmp9, s1
	s_wait_kmcnt 0x0
	s_cmp_lt_u32 s0, s12
	v_mad_u32_u24 v0, v0, s3, v1
	s_cselect_b32 s4, 12, 18
	s_lshl_b32 s13, -1, s17
	s_add_nc_u64 s[0:1], s[22:23], s[4:5]
	s_load_u16 s17, s[0:1], 0x0
	s_wait_kmcnt 0x0
	v_mad_u32 v0, v0, s17, v32
	s_delay_alu instid0(VALU_DEP_1) | instskip(NEXT) | instid1(VALU_DEP_1)
	v_lshrrev_b32_e32 v0, 3, v0
	v_and_b32_e32 v0, 0x1ffffffc, v0
	s_wait_loadcnt 0x7
	v_lshrrev_b64 v[22:23], s16, v[4:5]
	s_delay_alu instid0(VALU_DEP_1) | instskip(SKIP_1) | instid1(VALU_DEP_2)
	v_bitop3_b32 v1, v22, 1, s13 bitop3:0x40
	v_bitop3_b32 v3, v22, s13, v22 bitop3:0x30
	v_add_co_u32 v1, s0, v1, -1
	s_delay_alu instid0(VALU_DEP_1) | instskip(NEXT) | instid1(VALU_DEP_3)
	v_cndmask_b32_e64 v20, 0, 1, s0
	v_dual_lshlrev_b32 v22, 30, v3 :: v_dual_lshlrev_b32 v23, 29, v3
	v_dual_lshlrev_b32 v24, 28, v3 :: v_dual_lshlrev_b32 v25, 27, v3
	v_lshlrev_b32_e32 v26, 26, v3
	s_delay_alu instid0(VALU_DEP_4) | instskip(NEXT) | instid1(VALU_DEP_4)
	v_cmp_ne_u32_e32 vcc_lo, 0, v20
	v_not_b32_e32 v20, v22
	v_cmp_gt_i32_e64 s0, 0, v22
	v_cmp_gt_i32_e64 s1, 0, v23
	v_not_b32_e32 v22, v23
	v_not_b32_e32 v23, v24
	v_dual_ashrrev_i32 v20, 31, v20 :: v_dual_bitop2_b32 v1, vcc_lo, v1 bitop3:0x14
	v_dual_lshlrev_b32 v27, 25, v3 :: v_dual_lshlrev_b32 v28, 24, v3
	v_cmp_gt_i32_e64 s3, 0, v24
	v_cmp_gt_i32_e64 s4, 0, v25
	v_not_b32_e32 v24, v25
	v_not_b32_e32 v25, v26
	v_dual_ashrrev_i32 v22, 31, v22 :: v_dual_ashrrev_i32 v23, 31, v23
	v_xor_b32_e32 v20, s0, v20
	v_cmp_gt_i32_e64 s5, 0, v26
	v_cmp_gt_i32_e64 s6, 0, v27
	v_not_b32_e32 v26, v27
	v_not_b32_e32 v27, v28
	v_dual_ashrrev_i32 v24, 31, v24 :: v_dual_bitop2_b32 v22, s1, v22 bitop3:0x14
	v_dual_ashrrev_i32 v25, 31, v25 :: v_dual_bitop2_b32 v23, s3, v23 bitop3:0x14
	v_bitop3_b32 v1, v1, v20, exec_lo bitop3:0x80
	v_cmp_gt_i32_e64 s7, 0, v28
	v_dual_ashrrev_i32 v20, 31, v26 :: v_dual_ashrrev_i32 v26, 31, v27
	v_xor_b32_e32 v24, s4, v24
	v_xor_b32_e32 v25, s5, v25
	v_bitop3_b32 v1, v1, v23, v22 bitop3:0x80
	s_delay_alu instid0(VALU_DEP_4)
	v_xor_b32_e32 v20, s6, v20
	v_xor_b32_e32 v22, s7, v26
	v_mul_u32_u24_e32 v26, 36, v32
	s_not_b32 s5, s13
	v_bitop3_b32 v1, v1, v25, v24 bitop3:0x80
	ds_store_2addr_b32 v26, v21, v21 offset0:16 offset1:17
	ds_store_2addr_b32 v26, v21, v21 offset0:18 offset1:19
	;; [unrolled: 1-line block ×4, first 2 shown]
	ds_store_b32 v26, v21 offset:96
	v_bitop3_b32 v1, v1, v22, v20 bitop3:0x80
	v_mul_lo_u32 v20, 0x44, v3
	s_wait_storecnt 0x0
	s_wait_loadcnt_dscnt 0x0
	s_barrier_signal -1
	s_barrier_wait -1
	v_mbcnt_lo_u32_b32 v3, v1, 0
	v_cmp_ne_u32_e64 s0, 0, v1
	; wave barrier
	s_delay_alu instid0(VALU_DEP_2) | instskip(NEXT) | instid1(VALU_DEP_4)
	v_cmp_eq_u32_e32 vcc_lo, 0, v3
	v_add_nc_u32_e32 v27, v0, v20
	s_and_b32 s1, s0, vcc_lo
	s_delay_alu instid0(SALU_CYCLE_1)
	s_and_saveexec_b32 s0, s1
; %bb.72:
	v_bcnt_u32_b32 v1, v1, 0
	ds_store_b32 v27, v1 offset:64
; %bb.73:
	s_or_b32 exec_lo, exec_lo, s0
	v_lshrrev_b64 v[20:21], s16, v[6:7]
	; wave barrier
	s_delay_alu instid0(VALU_DEP_1) | instskip(SKIP_1) | instid1(VALU_DEP_2)
	v_and_b32_e32 v1, s5, v20
	v_bitop3_b32 v20, v20, 1, s5 bitop3:0x80
	v_lshlrev_b32_e32 v23, 30, v1
	s_delay_alu instid0(VALU_DEP_2) | instskip(NEXT) | instid1(VALU_DEP_1)
	v_add_co_u32 v20, s0, v20, -1
	v_cndmask_b32_e64 v22, 0, 1, s0
	s_delay_alu instid0(VALU_DEP_1) | instskip(NEXT) | instid1(VALU_DEP_4)
	v_cmp_ne_u32_e32 vcc_lo, 0, v22
	v_not_b32_e32 v22, v23
	s_delay_alu instid0(VALU_DEP_1) | instskip(SKIP_4) | instid1(VALU_DEP_4)
	v_dual_ashrrev_i32 v22, 31, v22 :: v_dual_bitop2_b32 v20, vcc_lo, v20 bitop3:0x14
	v_dual_lshlrev_b32 v24, 29, v1 :: v_dual_lshlrev_b32 v25, 28, v1
	v_lshlrev_b32_e32 v28, 27, v1
	v_cmp_gt_i32_e64 s0, 0, v23
	v_mul_lo_u32 v21, 0x44, v1
	v_cmp_gt_i32_e64 s1, 0, v24
	v_not_b32_e32 v23, v24
	v_not_b32_e32 v24, v25
	v_dual_lshlrev_b32 v29, 26, v1 :: v_dual_lshlrev_b32 v30, 25, v1
	v_lshlrev_b32_e32 v1, 24, v1
	v_cmp_gt_i32_e64 s3, 0, v25
	v_not_b32_e32 v25, v28
	v_dual_ashrrev_i32 v23, 31, v23 :: v_dual_ashrrev_i32 v24, 31, v24
	v_xor_b32_e32 v22, s0, v22
	v_cmp_gt_i32_e64 s4, 0, v28
	v_not_b32_e32 v28, v29
	s_delay_alu instid0(VALU_DEP_4)
	v_dual_ashrrev_i32 v25, 31, v25 :: v_dual_bitop2_b32 v23, s1, v23 bitop3:0x14
	v_xor_b32_e32 v24, s3, v24
	v_bitop3_b32 v20, v20, v22, exec_lo bitop3:0x80
	v_cmp_gt_i32_e32 vcc_lo, 0, v29
	v_ashrrev_i32_e32 v22, 31, v28
	v_not_b32_e32 v28, v30
	v_xor_b32_e32 v25, s4, v25
	v_bitop3_b32 v20, v20, v24, v23 bitop3:0x80
	v_not_b32_e32 v23, v1
	v_xor_b32_e32 v22, vcc_lo, v22
	v_cmp_gt_i32_e32 vcc_lo, 0, v30
	v_ashrrev_i32_e32 v24, 31, v28
	v_cmp_gt_i32_e64 s0, 0, v1
	v_dual_ashrrev_i32 v1, 31, v23 :: v_dual_add_nc_u32 v28, v0, v21
	v_bitop3_b32 v20, v20, v22, v25 bitop3:0x80
	s_delay_alu instid0(VALU_DEP_4) | instskip(NEXT) | instid1(VALU_DEP_3)
	v_xor_b32_e32 v21, vcc_lo, v24
	v_xor_b32_e32 v1, s0, v1
	ds_load_b32 v30, v28 offset:64
	; wave barrier
	v_bitop3_b32 v1, v20, v1, v21 bitop3:0x80
	s_delay_alu instid0(VALU_DEP_1) | instskip(SKIP_1) | instid1(VALU_DEP_2)
	v_mbcnt_lo_u32_b32 v31, v1, 0
	v_cmp_ne_u32_e64 s0, 0, v1
	v_cmp_eq_u32_e32 vcc_lo, 0, v31
	s_and_b32 s1, s0, vcc_lo
	s_delay_alu instid0(SALU_CYCLE_1)
	s_and_saveexec_b32 s0, s1
	s_cbranch_execz .LBB3000_75
; %bb.74:
	s_wait_dscnt 0x0
	v_bcnt_u32_b32 v1, v1, v30
	ds_store_b32 v28, v1 offset:64
.LBB3000_75:
	s_or_b32 exec_lo, exec_lo, s0
	v_lshrrev_b64 v[20:21], s16, v[8:9]
	; wave barrier
	s_delay_alu instid0(VALU_DEP_1) | instskip(SKIP_1) | instid1(VALU_DEP_2)
	v_and_b32_e32 v1, s5, v20
	v_bitop3_b32 v20, v20, 1, s5 bitop3:0x80
	v_lshlrev_b32_e32 v23, 30, v1
	s_delay_alu instid0(VALU_DEP_2) | instskip(NEXT) | instid1(VALU_DEP_1)
	v_add_co_u32 v20, s0, v20, -1
	v_cndmask_b32_e64 v22, 0, 1, s0
	s_delay_alu instid0(VALU_DEP_1) | instskip(NEXT) | instid1(VALU_DEP_4)
	v_cmp_ne_u32_e32 vcc_lo, 0, v22
	v_not_b32_e32 v22, v23
	s_delay_alu instid0(VALU_DEP_1) | instskip(SKIP_4) | instid1(VALU_DEP_4)
	v_dual_ashrrev_i32 v22, 31, v22 :: v_dual_bitop2_b32 v20, vcc_lo, v20 bitop3:0x14
	v_dual_lshlrev_b32 v24, 29, v1 :: v_dual_lshlrev_b32 v25, 28, v1
	v_lshlrev_b32_e32 v29, 27, v1
	v_cmp_gt_i32_e64 s0, 0, v23
	v_mul_lo_u32 v21, 0x44, v1
	v_cmp_gt_i32_e64 s1, 0, v24
	v_not_b32_e32 v23, v24
	v_not_b32_e32 v24, v25
	v_dual_lshlrev_b32 v34, 26, v1 :: v_dual_lshlrev_b32 v35, 25, v1
	v_lshlrev_b32_e32 v1, 24, v1
	v_cmp_gt_i32_e64 s3, 0, v25
	v_not_b32_e32 v25, v29
	v_dual_ashrrev_i32 v23, 31, v23 :: v_dual_ashrrev_i32 v24, 31, v24
	v_xor_b32_e32 v22, s0, v22
	v_cmp_gt_i32_e64 s4, 0, v29
	v_not_b32_e32 v29, v34
	s_delay_alu instid0(VALU_DEP_4)
	v_dual_ashrrev_i32 v25, 31, v25 :: v_dual_bitop2_b32 v23, s1, v23 bitop3:0x14
	v_xor_b32_e32 v24, s3, v24
	v_bitop3_b32 v20, v20, v22, exec_lo bitop3:0x80
	v_cmp_gt_i32_e32 vcc_lo, 0, v34
	v_ashrrev_i32_e32 v22, 31, v29
	v_not_b32_e32 v29, v35
	v_xor_b32_e32 v25, s4, v25
	v_bitop3_b32 v20, v20, v24, v23 bitop3:0x80
	v_not_b32_e32 v23, v1
	s_delay_alu instid0(VALU_DEP_4) | instskip(SKIP_2) | instid1(VALU_DEP_4)
	v_dual_ashrrev_i32 v24, 31, v29 :: v_dual_bitop2_b32 v22, vcc_lo, v22 bitop3:0x14
	v_cmp_gt_i32_e32 vcc_lo, 0, v35
	v_cmp_gt_i32_e64 s0, 0, v1
	v_dual_ashrrev_i32 v1, 31, v23 :: v_dual_add_nc_u32 v29, v0, v21
	s_delay_alu instid0(VALU_DEP_4) | instskip(SKIP_1) | instid1(VALU_DEP_3)
	v_bitop3_b32 v20, v20, v22, v25 bitop3:0x80
	v_xor_b32_e32 v21, vcc_lo, v24
	v_xor_b32_e32 v1, s0, v1
	ds_load_b32 v34, v29 offset:64
	; wave barrier
	v_bitop3_b32 v1, v20, v1, v21 bitop3:0x80
	s_delay_alu instid0(VALU_DEP_1) | instskip(SKIP_1) | instid1(VALU_DEP_2)
	v_mbcnt_lo_u32_b32 v35, v1, 0
	v_cmp_ne_u32_e64 s0, 0, v1
	v_cmp_eq_u32_e32 vcc_lo, 0, v35
	s_and_b32 s1, s0, vcc_lo
	s_delay_alu instid0(SALU_CYCLE_1)
	s_and_saveexec_b32 s0, s1
	s_cbranch_execz .LBB3000_77
; %bb.76:
	s_wait_dscnt 0x0
	v_bcnt_u32_b32 v1, v1, v34
	ds_store_b32 v29, v1 offset:64
.LBB3000_77:
	s_or_b32 exec_lo, exec_lo, s0
	v_lshrrev_b64 v[20:21], s16, v[10:11]
	; wave barrier
	s_delay_alu instid0(VALU_DEP_1) | instskip(SKIP_1) | instid1(VALU_DEP_2)
	v_and_b32_e32 v1, s5, v20
	v_bitop3_b32 v20, v20, 1, s5 bitop3:0x80
	v_lshlrev_b32_e32 v23, 30, v1
	s_delay_alu instid0(VALU_DEP_2) | instskip(NEXT) | instid1(VALU_DEP_1)
	v_add_co_u32 v20, s0, v20, -1
	v_cndmask_b32_e64 v22, 0, 1, s0
	s_delay_alu instid0(VALU_DEP_1) | instskip(NEXT) | instid1(VALU_DEP_4)
	v_cmp_ne_u32_e32 vcc_lo, 0, v22
	v_not_b32_e32 v22, v23
	s_delay_alu instid0(VALU_DEP_1) | instskip(SKIP_4) | instid1(VALU_DEP_4)
	v_dual_ashrrev_i32 v22, 31, v22 :: v_dual_bitop2_b32 v20, vcc_lo, v20 bitop3:0x14
	v_dual_lshlrev_b32 v24, 29, v1 :: v_dual_lshlrev_b32 v25, 28, v1
	v_lshlrev_b32_e32 v36, 27, v1
	v_cmp_gt_i32_e64 s0, 0, v23
	v_mul_lo_u32 v21, 0x44, v1
	v_cmp_gt_i32_e64 s1, 0, v24
	v_not_b32_e32 v23, v24
	v_not_b32_e32 v24, v25
	v_dual_lshlrev_b32 v37, 26, v1 :: v_dual_lshlrev_b32 v38, 25, v1
	v_lshlrev_b32_e32 v1, 24, v1
	v_cmp_gt_i32_e64 s3, 0, v25
	v_not_b32_e32 v25, v36
	v_dual_ashrrev_i32 v23, 31, v23 :: v_dual_ashrrev_i32 v24, 31, v24
	v_xor_b32_e32 v22, s0, v22
	v_cmp_gt_i32_e64 s4, 0, v36
	v_not_b32_e32 v36, v37
	s_delay_alu instid0(VALU_DEP_4)
	v_dual_ashrrev_i32 v25, 31, v25 :: v_dual_bitop2_b32 v23, s1, v23 bitop3:0x14
	v_xor_b32_e32 v24, s3, v24
	v_bitop3_b32 v20, v20, v22, exec_lo bitop3:0x80
	v_cmp_gt_i32_e32 vcc_lo, 0, v37
	v_ashrrev_i32_e32 v22, 31, v36
	v_not_b32_e32 v36, v38
	v_xor_b32_e32 v25, s4, v25
	v_bitop3_b32 v20, v20, v24, v23 bitop3:0x80
	v_not_b32_e32 v23, v1
	v_dual_add_nc_u32 v40, v0, v21 :: v_dual_bitop2_b32 v22, vcc_lo, v22 bitop3:0x14
	v_cmp_gt_i32_e32 vcc_lo, 0, v38
	v_ashrrev_i32_e32 v24, 31, v36
	v_cmp_gt_i32_e64 s0, 0, v1
	v_ashrrev_i32_e32 v1, 31, v23
	v_bitop3_b32 v20, v20, v22, v25 bitop3:0x80
	ds_load_b32 v36, v40 offset:64
	v_xor_b32_e32 v21, vcc_lo, v24
	v_xor_b32_e32 v1, s0, v1
	; wave barrier
	s_delay_alu instid0(VALU_DEP_1) | instskip(NEXT) | instid1(VALU_DEP_1)
	v_bitop3_b32 v1, v20, v1, v21 bitop3:0x80
	v_mbcnt_lo_u32_b32 v37, v1, 0
	v_cmp_ne_u32_e64 s0, 0, v1
	s_delay_alu instid0(VALU_DEP_2) | instskip(SKIP_1) | instid1(SALU_CYCLE_1)
	v_cmp_eq_u32_e32 vcc_lo, 0, v37
	s_and_b32 s1, s0, vcc_lo
	s_and_saveexec_b32 s0, s1
	s_cbranch_execz .LBB3000_79
; %bb.78:
	s_wait_dscnt 0x0
	v_bcnt_u32_b32 v1, v1, v36
	ds_store_b32 v40, v1 offset:64
.LBB3000_79:
	s_or_b32 exec_lo, exec_lo, s0
	v_lshrrev_b64 v[20:21], s16, v[12:13]
	; wave barrier
	s_delay_alu instid0(VALU_DEP_1) | instskip(SKIP_1) | instid1(VALU_DEP_2)
	v_and_b32_e32 v1, s5, v20
	v_bitop3_b32 v20, v20, 1, s5 bitop3:0x80
	v_lshlrev_b32_e32 v23, 30, v1
	s_delay_alu instid0(VALU_DEP_2) | instskip(NEXT) | instid1(VALU_DEP_1)
	v_add_co_u32 v20, s0, v20, -1
	v_cndmask_b32_e64 v22, 0, 1, s0
	s_delay_alu instid0(VALU_DEP_1) | instskip(NEXT) | instid1(VALU_DEP_4)
	v_cmp_ne_u32_e32 vcc_lo, 0, v22
	v_not_b32_e32 v22, v23
	s_delay_alu instid0(VALU_DEP_1) | instskip(SKIP_4) | instid1(VALU_DEP_4)
	v_dual_ashrrev_i32 v22, 31, v22 :: v_dual_bitop2_b32 v20, vcc_lo, v20 bitop3:0x14
	v_dual_lshlrev_b32 v24, 29, v1 :: v_dual_lshlrev_b32 v25, 28, v1
	v_lshlrev_b32_e32 v38, 27, v1
	v_cmp_gt_i32_e64 s0, 0, v23
	v_mul_lo_u32 v21, 0x44, v1
	v_cmp_gt_i32_e64 s1, 0, v24
	v_not_b32_e32 v23, v24
	v_not_b32_e32 v24, v25
	v_dual_lshlrev_b32 v39, 26, v1 :: v_dual_lshlrev_b32 v41, 25, v1
	v_lshlrev_b32_e32 v1, 24, v1
	v_cmp_gt_i32_e64 s3, 0, v25
	v_not_b32_e32 v25, v38
	v_dual_ashrrev_i32 v23, 31, v23 :: v_dual_ashrrev_i32 v24, 31, v24
	v_xor_b32_e32 v22, s0, v22
	v_cmp_gt_i32_e64 s4, 0, v38
	v_not_b32_e32 v38, v39
	s_delay_alu instid0(VALU_DEP_4)
	v_dual_ashrrev_i32 v25, 31, v25 :: v_dual_bitop2_b32 v23, s1, v23 bitop3:0x14
	v_xor_b32_e32 v24, s3, v24
	v_bitop3_b32 v20, v20, v22, exec_lo bitop3:0x80
	v_cmp_gt_i32_e32 vcc_lo, 0, v39
	v_ashrrev_i32_e32 v22, 31, v38
	v_not_b32_e32 v38, v41
	v_xor_b32_e32 v25, s4, v25
	v_bitop3_b32 v20, v20, v24, v23 bitop3:0x80
	v_not_b32_e32 v23, v1
	v_dual_add_nc_u32 v43, v0, v21 :: v_dual_bitop2_b32 v22, vcc_lo, v22 bitop3:0x14
	v_cmp_gt_i32_e32 vcc_lo, 0, v41
	v_ashrrev_i32_e32 v24, 31, v38
	v_cmp_gt_i32_e64 s0, 0, v1
	v_ashrrev_i32_e32 v1, 31, v23
	v_bitop3_b32 v20, v20, v22, v25 bitop3:0x80
	ds_load_b32 v38, v43 offset:64
	v_xor_b32_e32 v21, vcc_lo, v24
	v_xor_b32_e32 v1, s0, v1
	; wave barrier
	s_delay_alu instid0(VALU_DEP_1) | instskip(NEXT) | instid1(VALU_DEP_1)
	v_bitop3_b32 v1, v20, v1, v21 bitop3:0x80
	v_mbcnt_lo_u32_b32 v39, v1, 0
	v_cmp_ne_u32_e64 s0, 0, v1
	s_delay_alu instid0(VALU_DEP_2) | instskip(SKIP_1) | instid1(SALU_CYCLE_1)
	v_cmp_eq_u32_e32 vcc_lo, 0, v39
	s_and_b32 s1, s0, vcc_lo
	s_and_saveexec_b32 s0, s1
	s_cbranch_execz .LBB3000_81
; %bb.80:
	s_wait_dscnt 0x0
	v_bcnt_u32_b32 v1, v1, v38
	ds_store_b32 v43, v1 offset:64
.LBB3000_81:
	s_or_b32 exec_lo, exec_lo, s0
	v_lshrrev_b64 v[20:21], s16, v[14:15]
	; wave barrier
	s_delay_alu instid0(VALU_DEP_1) | instskip(SKIP_1) | instid1(VALU_DEP_2)
	v_and_b32_e32 v1, s5, v20
	v_bitop3_b32 v20, v20, 1, s5 bitop3:0x80
	v_lshlrev_b32_e32 v23, 30, v1
	s_delay_alu instid0(VALU_DEP_2) | instskip(NEXT) | instid1(VALU_DEP_1)
	v_add_co_u32 v20, s0, v20, -1
	v_cndmask_b32_e64 v22, 0, 1, s0
	s_delay_alu instid0(VALU_DEP_1) | instskip(NEXT) | instid1(VALU_DEP_4)
	v_cmp_ne_u32_e32 vcc_lo, 0, v22
	v_not_b32_e32 v22, v23
	s_delay_alu instid0(VALU_DEP_1) | instskip(SKIP_4) | instid1(VALU_DEP_4)
	v_dual_ashrrev_i32 v22, 31, v22 :: v_dual_bitop2_b32 v20, vcc_lo, v20 bitop3:0x14
	v_dual_lshlrev_b32 v24, 29, v1 :: v_dual_lshlrev_b32 v25, 28, v1
	v_lshlrev_b32_e32 v41, 27, v1
	v_cmp_gt_i32_e64 s0, 0, v23
	v_mul_lo_u32 v21, 0x44, v1
	v_cmp_gt_i32_e64 s1, 0, v24
	v_not_b32_e32 v23, v24
	v_not_b32_e32 v24, v25
	v_dual_lshlrev_b32 v42, 26, v1 :: v_dual_lshlrev_b32 v44, 25, v1
	v_lshlrev_b32_e32 v1, 24, v1
	v_cmp_gt_i32_e64 s3, 0, v25
	v_not_b32_e32 v25, v41
	v_dual_ashrrev_i32 v23, 31, v23 :: v_dual_ashrrev_i32 v24, 31, v24
	v_xor_b32_e32 v22, s0, v22
	v_cmp_gt_i32_e64 s4, 0, v41
	v_not_b32_e32 v41, v42
	s_delay_alu instid0(VALU_DEP_4)
	v_dual_ashrrev_i32 v25, 31, v25 :: v_dual_bitop2_b32 v23, s1, v23 bitop3:0x14
	v_xor_b32_e32 v24, s3, v24
	v_bitop3_b32 v20, v20, v22, exec_lo bitop3:0x80
	v_cmp_gt_i32_e32 vcc_lo, 0, v42
	v_ashrrev_i32_e32 v22, 31, v41
	v_not_b32_e32 v41, v44
	v_xor_b32_e32 v25, s4, v25
	v_bitop3_b32 v20, v20, v24, v23 bitop3:0x80
	v_not_b32_e32 v23, v1
	s_delay_alu instid0(VALU_DEP_4) | instskip(SKIP_2) | instid1(VALU_DEP_4)
	v_dual_ashrrev_i32 v24, 31, v41 :: v_dual_bitop2_b32 v22, vcc_lo, v22 bitop3:0x14
	v_cmp_gt_i32_e32 vcc_lo, 0, v44
	v_cmp_gt_i32_e64 s0, 0, v1
	v_dual_ashrrev_i32 v1, 31, v23 :: v_dual_add_nc_u32 v46, v0, v21
	s_delay_alu instid0(VALU_DEP_4) | instskip(SKIP_1) | instid1(VALU_DEP_3)
	v_bitop3_b32 v20, v20, v22, v25 bitop3:0x80
	v_xor_b32_e32 v21, vcc_lo, v24
	v_xor_b32_e32 v1, s0, v1
	ds_load_b32 v41, v46 offset:64
	; wave barrier
	v_bitop3_b32 v1, v20, v1, v21 bitop3:0x80
	s_delay_alu instid0(VALU_DEP_1) | instskip(SKIP_1) | instid1(VALU_DEP_2)
	v_mbcnt_lo_u32_b32 v42, v1, 0
	v_cmp_ne_u32_e64 s0, 0, v1
	v_cmp_eq_u32_e32 vcc_lo, 0, v42
	s_and_b32 s1, s0, vcc_lo
	s_delay_alu instid0(SALU_CYCLE_1)
	s_and_saveexec_b32 s0, s1
	s_cbranch_execz .LBB3000_83
; %bb.82:
	s_wait_dscnt 0x0
	v_bcnt_u32_b32 v1, v1, v41
	ds_store_b32 v46, v1 offset:64
.LBB3000_83:
	s_or_b32 exec_lo, exec_lo, s0
	v_lshrrev_b64 v[20:21], s16, v[16:17]
	; wave barrier
	s_delay_alu instid0(VALU_DEP_1) | instskip(SKIP_1) | instid1(VALU_DEP_2)
	v_and_b32_e32 v1, s5, v20
	v_bitop3_b32 v20, v20, 1, s5 bitop3:0x80
	v_lshlrev_b32_e32 v23, 30, v1
	s_delay_alu instid0(VALU_DEP_2) | instskip(NEXT) | instid1(VALU_DEP_1)
	v_add_co_u32 v20, s0, v20, -1
	v_cndmask_b32_e64 v22, 0, 1, s0
	s_delay_alu instid0(VALU_DEP_1) | instskip(NEXT) | instid1(VALU_DEP_4)
	v_cmp_ne_u32_e32 vcc_lo, 0, v22
	v_not_b32_e32 v22, v23
	s_delay_alu instid0(VALU_DEP_1) | instskip(SKIP_4) | instid1(VALU_DEP_4)
	v_dual_ashrrev_i32 v22, 31, v22 :: v_dual_bitop2_b32 v20, vcc_lo, v20 bitop3:0x14
	v_dual_lshlrev_b32 v24, 29, v1 :: v_dual_lshlrev_b32 v25, 28, v1
	v_lshlrev_b32_e32 v44, 27, v1
	v_cmp_gt_i32_e64 s0, 0, v23
	v_mul_lo_u32 v21, 0x44, v1
	v_cmp_gt_i32_e64 s1, 0, v24
	v_not_b32_e32 v23, v24
	v_not_b32_e32 v24, v25
	v_dual_lshlrev_b32 v45, 26, v1 :: v_dual_lshlrev_b32 v47, 25, v1
	v_lshlrev_b32_e32 v1, 24, v1
	v_cmp_gt_i32_e64 s3, 0, v25
	v_not_b32_e32 v25, v44
	v_dual_ashrrev_i32 v23, 31, v23 :: v_dual_ashrrev_i32 v24, 31, v24
	v_xor_b32_e32 v22, s0, v22
	v_cmp_gt_i32_e64 s4, 0, v44
	v_not_b32_e32 v44, v45
	s_delay_alu instid0(VALU_DEP_4)
	v_dual_ashrrev_i32 v25, 31, v25 :: v_dual_bitop2_b32 v23, s1, v23 bitop3:0x14
	v_xor_b32_e32 v24, s3, v24
	v_bitop3_b32 v20, v20, v22, exec_lo bitop3:0x80
	v_cmp_gt_i32_e32 vcc_lo, 0, v45
	v_ashrrev_i32_e32 v22, 31, v44
	v_not_b32_e32 v44, v47
	v_xor_b32_e32 v25, s4, v25
	v_bitop3_b32 v20, v20, v24, v23 bitop3:0x80
	v_not_b32_e32 v23, v1
	v_dual_add_nc_u32 v49, v0, v21 :: v_dual_bitop2_b32 v22, vcc_lo, v22 bitop3:0x14
	v_cmp_gt_i32_e32 vcc_lo, 0, v47
	v_ashrrev_i32_e32 v24, 31, v44
	v_cmp_gt_i32_e64 s0, 0, v1
	v_ashrrev_i32_e32 v1, 31, v23
	v_bitop3_b32 v20, v20, v22, v25 bitop3:0x80
	ds_load_b32 v44, v49 offset:64
	v_xor_b32_e32 v21, vcc_lo, v24
	v_xor_b32_e32 v1, s0, v1
	; wave barrier
	s_delay_alu instid0(VALU_DEP_1) | instskip(NEXT) | instid1(VALU_DEP_1)
	v_bitop3_b32 v1, v20, v1, v21 bitop3:0x80
	v_mbcnt_lo_u32_b32 v45, v1, 0
	v_cmp_ne_u32_e64 s0, 0, v1
	s_delay_alu instid0(VALU_DEP_2) | instskip(SKIP_1) | instid1(SALU_CYCLE_1)
	v_cmp_eq_u32_e32 vcc_lo, 0, v45
	s_and_b32 s1, s0, vcc_lo
	s_and_saveexec_b32 s0, s1
	s_cbranch_execz .LBB3000_85
; %bb.84:
	s_wait_dscnt 0x0
	v_bcnt_u32_b32 v1, v1, v44
	ds_store_b32 v49, v1 offset:64
.LBB3000_85:
	s_or_b32 exec_lo, exec_lo, s0
	v_lshrrev_b64 v[20:21], s16, v[18:19]
	; wave barrier
	s_delay_alu instid0(VALU_DEP_1) | instskip(SKIP_1) | instid1(VALU_DEP_2)
	v_and_b32_e32 v1, s5, v20
	v_bitop3_b32 v20, v20, 1, s5 bitop3:0x80
	v_lshlrev_b32_e32 v23, 30, v1
	s_delay_alu instid0(VALU_DEP_2) | instskip(NEXT) | instid1(VALU_DEP_1)
	v_add_co_u32 v20, s0, v20, -1
	v_cndmask_b32_e64 v22, 0, 1, s0
	s_delay_alu instid0(VALU_DEP_1) | instskip(NEXT) | instid1(VALU_DEP_4)
	v_cmp_ne_u32_e32 vcc_lo, 0, v22
	v_not_b32_e32 v22, v23
	s_delay_alu instid0(VALU_DEP_1) | instskip(SKIP_4) | instid1(VALU_DEP_4)
	v_dual_ashrrev_i32 v22, 31, v22 :: v_dual_bitop2_b32 v20, vcc_lo, v20 bitop3:0x14
	v_dual_lshlrev_b32 v24, 29, v1 :: v_dual_lshlrev_b32 v25, 28, v1
	v_lshlrev_b32_e32 v47, 27, v1
	v_cmp_gt_i32_e64 s0, 0, v23
	v_mul_lo_u32 v21, 0x44, v1
	v_cmp_gt_i32_e64 s1, 0, v24
	v_not_b32_e32 v23, v24
	v_not_b32_e32 v24, v25
	v_dual_lshlrev_b32 v48, 26, v1 :: v_dual_lshlrev_b32 v50, 25, v1
	v_lshlrev_b32_e32 v1, 24, v1
	v_cmp_gt_i32_e64 s3, 0, v25
	v_not_b32_e32 v25, v47
	v_dual_ashrrev_i32 v23, 31, v23 :: v_dual_ashrrev_i32 v24, 31, v24
	v_xor_b32_e32 v22, s0, v22
	v_cmp_gt_i32_e64 s4, 0, v47
	v_not_b32_e32 v47, v48
	s_delay_alu instid0(VALU_DEP_4)
	v_dual_ashrrev_i32 v25, 31, v25 :: v_dual_bitop2_b32 v23, s1, v23 bitop3:0x14
	v_dual_add_nc_u32 v51, v0, v21 :: v_dual_bitop2_b32 v24, s3, v24 bitop3:0x14
	v_bitop3_b32 v20, v20, v22, exec_lo bitop3:0x80
	v_cmp_gt_i32_e32 vcc_lo, 0, v48
	v_ashrrev_i32_e32 v22, 31, v47
	v_not_b32_e32 v47, v50
	v_xor_b32_e32 v25, s4, v25
	v_bitop3_b32 v20, v20, v24, v23 bitop3:0x80
	v_not_b32_e32 v23, v1
	v_xor_b32_e32 v22, vcc_lo, v22
	v_cmp_gt_i32_e32 vcc_lo, 0, v50
	v_ashrrev_i32_e32 v24, 31, v47
	v_cmp_gt_i32_e64 s0, 0, v1
	v_ashrrev_i32_e32 v1, 31, v23
	v_bitop3_b32 v0, v20, v22, v25 bitop3:0x80
	ds_load_b32 v47, v51 offset:64
	v_xor_b32_e32 v20, vcc_lo, v24
	v_xor_b32_e32 v1, s0, v1
	; wave barrier
	s_delay_alu instid0(VALU_DEP_1) | instskip(NEXT) | instid1(VALU_DEP_1)
	v_bitop3_b32 v0, v0, v1, v20 bitop3:0x80
	v_mbcnt_lo_u32_b32 v48, v0, 0
	v_cmp_ne_u32_e64 s0, 0, v0
	s_delay_alu instid0(VALU_DEP_2) | instskip(SKIP_1) | instid1(SALU_CYCLE_1)
	v_cmp_eq_u32_e32 vcc_lo, 0, v48
	s_and_b32 s1, s0, vcc_lo
	s_and_saveexec_b32 s0, s1
	s_cbranch_execz .LBB3000_87
; %bb.86:
	s_wait_dscnt 0x0
	v_bcnt_u32_b32 v0, v0, v47
	ds_store_b32 v51, v0 offset:64
.LBB3000_87:
	s_or_b32 exec_lo, exec_lo, s0
	; wave barrier
	s_wait_dscnt 0x0
	s_barrier_signal -1
	s_barrier_wait -1
	ds_load_2addr_b32 v[24:25], v26 offset0:16 offset1:17
	ds_load_2addr_b32 v[22:23], v26 offset0:18 offset1:19
	;; [unrolled: 1-line block ×4, first 2 shown]
	ds_load_b32 v50, v26 offset:96
	v_bfe_i32 v54, v33, 4, 1
	s_mov_b32 s6, exec_lo
	s_wait_dscnt 0x3
	v_add3_u32 v52, v25, v24, v22
	s_wait_dscnt 0x2
	s_delay_alu instid0(VALU_DEP_1) | instskip(SKIP_1) | instid1(VALU_DEP_1)
	v_add3_u32 v52, v52, v23, v20
	s_wait_dscnt 0x1
	v_add3_u32 v52, v52, v21, v0
	s_wait_dscnt 0x0
	s_delay_alu instid0(VALU_DEP_1) | instskip(SKIP_1) | instid1(VALU_DEP_2)
	v_add3_u32 v50, v52, v1, v50
	v_and_b32_e32 v52, 15, v33
	v_mov_b32_dpp v53, v50 row_shr:1 row_mask:0xf bank_mask:0xf
	s_delay_alu instid0(VALU_DEP_2) | instskip(NEXT) | instid1(VALU_DEP_2)
	v_cmp_eq_u32_e32 vcc_lo, 0, v52
	v_cndmask_b32_e64 v53, v53, 0, vcc_lo
	s_delay_alu instid0(VALU_DEP_1) | instskip(SKIP_3) | instid1(VALU_DEP_4)
	v_add_nc_u32_e32 v50, v53, v50
	v_cmp_lt_u32_e64 s0, 1, v52
	v_cmp_lt_u32_e64 s1, 3, v52
	;; [unrolled: 1-line block ×3, first 2 shown]
	v_mov_b32_dpp v53, v50 row_shr:2 row_mask:0xf bank_mask:0xf
	s_delay_alu instid0(VALU_DEP_1) | instskip(NEXT) | instid1(VALU_DEP_1)
	v_cndmask_b32_e64 v53, 0, v53, s0
	v_add_nc_u32_e32 v50, v50, v53
	s_delay_alu instid0(VALU_DEP_1) | instskip(NEXT) | instid1(VALU_DEP_1)
	v_mov_b32_dpp v53, v50 row_shr:4 row_mask:0xf bank_mask:0xf
	v_cndmask_b32_e64 v53, 0, v53, s1
	s_delay_alu instid0(VALU_DEP_1) | instskip(NEXT) | instid1(VALU_DEP_1)
	v_add_nc_u32_e32 v50, v50, v53
	v_mov_b32_dpp v53, v50 row_shr:8 row_mask:0xf bank_mask:0xf
	s_delay_alu instid0(VALU_DEP_1) | instskip(SKIP_1) | instid1(VALU_DEP_2)
	v_cndmask_b32_e64 v52, 0, v53, s3
	v_and_b32_e32 v53, 0x3e0, v32
	v_add_nc_u32_e32 v50, v50, v52
	s_delay_alu instid0(VALU_DEP_2) | instskip(SKIP_4) | instid1(VALU_DEP_1)
	v_min_u32_e32 v53, 0x1e0, v53
	ds_swizzle_b32 v52, v50 offset:swizzle(BROADCAST,32,15)
	v_or_b32_e32 v53, 31, v53
	s_wait_dscnt 0x0
	v_and_b32_e32 v54, v54, v52
	v_dual_lshrrev_b32 v52, 5, v32 :: v_dual_add_nc_u32 v50, v50, v54
	s_delay_alu instid0(VALU_DEP_3)
	v_cmpx_eq_u32_e64 v32, v53
; %bb.88:
	s_delay_alu instid0(VALU_DEP_2)
	v_lshlrev_b32_e32 v53, 2, v52
	ds_store_b32 v53, v50
; %bb.89:
	s_or_b32 exec_lo, exec_lo, s6
	s_delay_alu instid0(SALU_CYCLE_1)
	s_mov_b32 s6, exec_lo
	s_wait_dscnt 0x0
	s_barrier_signal -1
	s_barrier_wait -1
	v_cmpx_gt_u32_e32 16, v32
	s_cbranch_execz .LBB3000_91
; %bb.90:
	v_lshlrev_b32_e32 v53, 2, v32
	ds_load_b32 v54, v53
	s_wait_dscnt 0x0
	v_mov_b32_dpp v55, v54 row_shr:1 row_mask:0xf bank_mask:0xf
	s_delay_alu instid0(VALU_DEP_1) | instskip(NEXT) | instid1(VALU_DEP_1)
	v_cndmask_b32_e64 v55, v55, 0, vcc_lo
	v_add_nc_u32_e32 v54, v55, v54
	s_delay_alu instid0(VALU_DEP_1) | instskip(NEXT) | instid1(VALU_DEP_1)
	v_mov_b32_dpp v55, v54 row_shr:2 row_mask:0xf bank_mask:0xf
	v_cndmask_b32_e64 v55, 0, v55, s0
	s_delay_alu instid0(VALU_DEP_1) | instskip(NEXT) | instid1(VALU_DEP_1)
	v_add_nc_u32_e32 v54, v54, v55
	v_mov_b32_dpp v55, v54 row_shr:4 row_mask:0xf bank_mask:0xf
	s_delay_alu instid0(VALU_DEP_1) | instskip(NEXT) | instid1(VALU_DEP_1)
	v_cndmask_b32_e64 v55, 0, v55, s1
	v_add_nc_u32_e32 v54, v54, v55
	s_delay_alu instid0(VALU_DEP_1) | instskip(NEXT) | instid1(VALU_DEP_1)
	v_mov_b32_dpp v55, v54 row_shr:8 row_mask:0xf bank_mask:0xf
	v_cndmask_b32_e64 v55, 0, v55, s3
	s_delay_alu instid0(VALU_DEP_1)
	v_add_nc_u32_e32 v54, v54, v55
	ds_store_b32 v53, v54
.LBB3000_91:
	s_or_b32 exec_lo, exec_lo, s6
	v_mov_b32_e32 v53, 0
	s_mov_b32 s0, exec_lo
	s_wait_dscnt 0x0
	s_barrier_signal -1
	s_barrier_wait -1
	v_cmpx_lt_u32_e32 31, v32
; %bb.92:
	v_lshl_add_u32 v52, v52, 2, -4
	ds_load_b32 v53, v52
; %bb.93:
	s_or_b32 exec_lo, exec_lo, s0
	v_sub_co_u32 v52, vcc_lo, v33, 1
	s_wait_dscnt 0x0
	v_add_nc_u32_e32 v50, v53, v50
	s_delay_alu instid0(VALU_DEP_2) | instskip(NEXT) | instid1(VALU_DEP_1)
	v_cmp_gt_i32_e64 s0, 0, v52
	v_cndmask_b32_e64 v33, v52, v33, s0
	v_cmp_lt_u32_e64 s0, 0xff, v32
	s_delay_alu instid0(VALU_DEP_2) | instskip(SKIP_4) | instid1(VALU_DEP_2)
	v_lshlrev_b32_e32 v33, 2, v33
	ds_bpermute_b32 v33, v33, v50
	s_wait_dscnt 0x0
	v_cndmask_b32_e32 v33, v33, v53, vcc_lo
	v_cmp_gt_u32_e32 vcc_lo, 0x100, v32
	v_cndmask_b32_e64 v33, v33, 0, s2
	s_delay_alu instid0(VALU_DEP_1) | instskip(NEXT) | instid1(VALU_DEP_1)
	v_add_nc_u32_e32 v24, v33, v24
	v_add_nc_u32_e32 v25, v24, v25
	s_delay_alu instid0(VALU_DEP_1) | instskip(NEXT) | instid1(VALU_DEP_1)
	v_add_nc_u32_e32 v22, v25, v22
	v_add_nc_u32_e32 v23, v22, v23
	;; [unrolled: 3-line block ×4, first 2 shown]
	ds_store_2addr_b32 v26, v33, v24 offset0:16 offset1:17
	ds_store_2addr_b32 v26, v25, v22 offset0:18 offset1:19
	;; [unrolled: 1-line block ×4, first 2 shown]
	ds_store_b32 v26, v1 offset:96
	s_wait_dscnt 0x0
	s_barrier_signal -1
	s_barrier_wait -1
	ds_load_b32 v50, v27 offset:64
	ds_load_b32 v21, v28 offset:64
	;; [unrolled: 1-line block ×8, first 2 shown]
	v_mov_b64_e32 v[0:1], 0
                                        ; implicit-def: $vgpr20
	s_and_saveexec_b32 s2, vcc_lo
	s_cbranch_execz .LBB3000_97
; %bb.94:
	v_mul_u32_u24_e32 v0, 0x44, v32
	v_dual_mov_b32 v1, 0x1000 :: v_dual_add_nc_u32 v20, 1, v32
	s_mov_b32 s3, exec_lo
	ds_load_b32 v0, v0 offset:64
	v_cmpx_ne_u32_e32 0x100, v20
; %bb.95:
	v_mul_u32_u24_e32 v1, 0x44, v20
	ds_load_b32 v1, v1 offset:64
; %bb.96:
	s_or_b32 exec_lo, exec_lo, s3
	s_wait_dscnt 0x0
	v_dual_mov_b32 v1, 0 :: v_dual_sub_nc_u32 v20, v1, v0
.LBB3000_97:
	s_or_b32 exec_lo, exec_lo, s2
	v_mov_b32_e32 v23, 0
	s_wait_dscnt 0x0
	s_barrier_signal -1
	s_barrier_wait -1
	s_and_saveexec_b32 s1, vcc_lo
	s_cbranch_execz .LBB3000_107
; %bb.98:
	v_lshl_add_u32 v22, s19, 8, v32
	v_dual_mov_b32 v26, 0 :: v_dual_bitop2_b32 v27, 2.0, v20 bitop3:0x54
	s_mov_b32 s2, 0
	s_mov_b32 s3, s19
	s_delay_alu instid0(VALU_DEP_2)
	v_lshl_add_u64 v[24:25], v[22:23], 2, s[20:21]
	global_store_b32 v22, v27, s[20:21] scale_offset scope:SCOPE_DEV
                                        ; implicit-def: $sgpr4
	s_branch .LBB3000_101
.LBB3000_99:                            ;   in Loop: Header=BB3000_101 Depth=1
	s_or_b32 exec_lo, exec_lo, s6
.LBB3000_100:                           ;   in Loop: Header=BB3000_101 Depth=1
	s_delay_alu instid0(SALU_CYCLE_1) | instskip(SKIP_2) | instid1(VALU_DEP_2)
	s_or_b32 exec_lo, exec_lo, s4
	v_and_b32_e32 v22, 0x3fffffff, v27
	v_cmp_gt_i32_e64 s4, -2.0, v27
	v_add_nc_u32_e32 v26, v22, v26
	s_and_b32 s6, exec_lo, s4
	s_delay_alu instid0(SALU_CYCLE_1) | instskip(NEXT) | instid1(SALU_CYCLE_1)
	s_or_b32 s2, s6, s2
	s_and_not1_b32 exec_lo, exec_lo, s2
	s_cbranch_execz .LBB3000_106
.LBB3000_101:                           ; =>This Loop Header: Depth=1
                                        ;     Child Loop BB3000_104 Depth 2
	s_or_b32 s4, s4, exec_lo
	s_cmp_eq_u32 s3, 0
	s_cbranch_scc1 .LBB3000_105
; %bb.102:                              ;   in Loop: Header=BB3000_101 Depth=1
	s_add_co_i32 s3, s3, -1
	s_mov_b32 s4, exec_lo
	s_wait_xcnt 0x0
	v_lshl_or_b32 v22, s3, 8, v32
	global_load_b32 v27, v22, s[20:21] scale_offset scope:SCOPE_DEV
	s_wait_loadcnt 0x0
	v_cmpx_gt_u32_e32 2.0, v27
	s_cbranch_execz .LBB3000_100
; %bb.103:                              ;   in Loop: Header=BB3000_101 Depth=1
	v_lshl_add_u64 v[28:29], v[22:23], 2, s[20:21]
	s_mov_b32 s6, 0
.LBB3000_104:                           ;   Parent Loop BB3000_101 Depth=1
                                        ; =>  This Inner Loop Header: Depth=2
	global_load_b32 v27, v[28:29], off scope:SCOPE_DEV
	s_wait_loadcnt 0x0
	v_cmp_lt_u32_e32 vcc_lo, 0x3fffffff, v27
	s_or_b32 s6, vcc_lo, s6
	s_wait_xcnt 0x0
	s_and_not1_b32 exec_lo, exec_lo, s6
	s_cbranch_execnz .LBB3000_104
	s_branch .LBB3000_99
.LBB3000_105:                           ;   in Loop: Header=BB3000_101 Depth=1
                                        ; implicit-def: $sgpr3
	s_and_b32 s6, exec_lo, s4
	s_delay_alu instid0(SALU_CYCLE_1)
	s_or_b32 s2, s6, s2
	s_wait_xcnt 0x0
	s_and_not1_b32 exec_lo, exec_lo, s2
	s_cbranch_execnz .LBB3000_101
.LBB3000_106:
	s_or_b32 exec_lo, exec_lo, s2
	v_dual_mov_b32 v27, 0 :: v_dual_add_nc_u32 v22, v26, v20
	s_delay_alu instid0(VALU_DEP_1) | instskip(SKIP_4) | instid1(VALU_DEP_1)
	v_or_b32_e32 v22, 0x80000000, v22
	global_store_b32 v[24:25], v22, off scope:SCOPE_DEV
	global_load_b64 v[22:23], v32, s[8:9] scale_offset
	v_sub_nc_u64_e32 v[24:25], v[26:27], v[0:1]
	s_wait_loadcnt 0x0
	v_add_nc_u64_e32 v[22:23], v[24:25], v[22:23]
	ds_store_b64 v2, v[22:23]
.LBB3000_107:
	s_wait_xcnt 0x0
	s_or_b32 exec_lo, exec_lo, s1
	v_dual_mov_b32 v3, 0 :: v_dual_add_nc_u32 v24, v50, v3
	v_add3_u32 v25, v48, v51, v47
	v_add3_u32 v26, v45, v49, v44
	;; [unrolled: 1-line block ×4, first 2 shown]
	v_add_nc_u64_e32 v[22:23], s[14:15], v[2:3]
	v_add3_u32 v29, v37, v40, v36
	v_add3_u32 v3, v35, v33, v34
	;; [unrolled: 1-line block ×3, first 2 shown]
	s_mov_b32 s2, -1
	s_mov_b32 s1, 0
.LBB3000_108:                           ; =>This Inner Loop Header: Depth=1
	s_wait_xcnt 0x3
	v_add_min_u32_e64 v30, v24, s1, 0x800
	v_add_min_u32_e64 v31, v21, s1, 0x800
	;; [unrolled: 1-line block ×5, first 2 shown]
	s_wait_xcnt 0x2
	v_add_min_u32_e64 v36, v27, s1, 0x800
	v_add_min_u32_e64 v37, v26, s1, 0x800
	s_wait_xcnt 0x1
	v_add_min_u32_e64 v38, v25, s1, 0x800
	v_dual_lshlrev_b32 v30, 3, v30 :: v_dual_lshlrev_b32 v31, 3, v31
	v_dual_lshlrev_b32 v33, 3, v33 :: v_dual_lshlrev_b32 v34, 3, v34
	;; [unrolled: 1-line block ×3, first 2 shown]
	s_delay_alu instid0(VALU_DEP_4)
	v_dual_lshlrev_b32 v37, 3, v37 :: v_dual_lshlrev_b32 v38, 3, v38
	ds_store_b64 v30, v[4:5] offset:2048
	ds_store_b64 v31, v[6:7] offset:2048
	ds_store_b64 v33, v[8:9] offset:2048
	ds_store_b64 v34, v[10:11] offset:2048
	ds_store_b64 v35, v[12:13] offset:2048
	ds_store_b64 v36, v[14:15] offset:2048
	ds_store_b64 v37, v[16:17] offset:2048
	ds_store_b64 v38, v[18:19] offset:2048
	s_wait_storecnt_dscnt 0x0
	s_barrier_signal -1
	s_barrier_wait -1
	ds_load_2addr_stride64_b64 v[34:37], v2 offset0:4 offset1:12
	s_wait_xcnt 0x0
	ds_load_2addr_stride64_b64 v[38:41], v2 offset0:20 offset1:28
	s_addk_co_i32 s1, 0xf800
	s_and_b32 vcc_lo, exec_lo, s2
	s_mov_b32 s2, 0
	s_wait_dscnt 0x1
	v_lshrrev_b64 v[30:31], s16, v[34:35]
	s_wait_dscnt 0x0
	v_lshrrev_b64 v[44:45], s16, v[38:39]
	v_lshrrev_b64 v[42:43], s16, v[36:37]
	;; [unrolled: 1-line block ×3, first 2 shown]
	s_delay_alu instid0(VALU_DEP_3) | instskip(NEXT) | instid1(VALU_DEP_3)
	v_and_b32_e32 v33, s5, v44
	v_and_b32_e32 v31, s5, v42
	s_delay_alu instid0(VALU_DEP_2) | instskip(NEXT) | instid1(VALU_DEP_2)
	v_dual_lshlrev_b32 v33, 3, v33 :: v_dual_bitop2_b32 v42, s5, v46 bitop3:0x40
	v_dual_lshlrev_b32 v43, 3, v31 :: v_dual_bitop2_b32 v30, s5, v30 bitop3:0x40
	s_delay_alu instid0(VALU_DEP_2) | instskip(NEXT) | instid1(VALU_DEP_2)
	v_lshlrev_b32_e32 v46, 3, v42
	v_lshlrev_b32_e32 v30, 3, v30
	ds_load_b64 v[30:31], v30
	ds_load_b64 v[42:43], v43
	;; [unrolled: 1-line block ×4, first 2 shown]
	s_wait_dscnt 0x3
	v_lshl_add_u64 v[30:31], v[30:31], 3, v[22:23]
	s_wait_dscnt 0x2
	v_lshl_add_u64 v[42:43], v[42:43], 3, v[22:23]
	;; [unrolled: 2-line block ×4, first 2 shown]
	v_add_nc_u64_e32 v[22:23], 0x4000, v[22:23]
	s_clause 0x3
	global_store_b64 v[30:31], v[34:35], off
	global_store_b64 v[42:43], v[36:37], off offset:4096
	global_store_b64 v[44:45], v[38:39], off offset:8192
	;; [unrolled: 1-line block ×3, first 2 shown]
	s_wait_storecnt 0x0
	s_barrier_signal -1
	s_barrier_wait -1
	s_cbranch_vccnz .LBB3000_108
; %bb.109:
	s_add_co_i32 s12, s12, -1
	s_delay_alu instid0(SALU_CYCLE_1) | instskip(SKIP_2) | instid1(SALU_CYCLE_1)
	s_cmp_eq_u32 s19, s12
	s_cselect_b32 s1, -1, 0
	s_xor_b32 s0, s0, -1
	s_and_b32 s0, s0, s1
	s_wait_xcnt 0x0
	s_and_saveexec_b32 s1, s0
	s_cbranch_execz .LBB3000_111
; %bb.110:
	ds_load_b64 v[2:3], v2
	v_mov_b32_e32 v21, 0
	s_delay_alu instid0(VALU_DEP_1) | instskip(SKIP_1) | instid1(VALU_DEP_1)
	v_add_nc_u64_e32 v[0:1], v[0:1], v[20:21]
	s_wait_dscnt 0x0
	v_add_nc_u64_e32 v[0:1], v[0:1], v[2:3]
	global_store_b64 v32, v[0:1], s[10:11] scale_offset
.LBB3000_111:
	s_endpgm
	.section	.rodata,"a",@progbits
	.p2align	6, 0x0
	.amdhsa_kernel _ZN7rocprim17ROCPRIM_400000_NS6detail17trampoline_kernelINS0_14default_configENS1_35radix_sort_onesweep_config_selectorImNS0_10empty_typeEEEZZNS1_29radix_sort_onesweep_iterationIS3_Lb0EPKmPmPS5_SB_mNS0_19identity_decomposerENS1_16block_id_wrapperIjLb1EEEEE10hipError_tT1_PNSt15iterator_traitsISG_E10value_typeET2_T3_PNSH_ISM_E10value_typeET4_T5_PSR_SS_PNS1_23onesweep_lookback_stateEbbT6_jjT7_P12ihipStream_tbENKUlT_T0_SG_SL_E_clISA_SA_SB_SB_EEDaSZ_S10_SG_SL_EUlSZ_E_NS1_11comp_targetILNS1_3genE0ELNS1_11target_archE4294967295ELNS1_3gpuE0ELNS1_3repE0EEENS1_47radix_sort_onesweep_sort_config_static_selectorELNS0_4arch9wavefront6targetE0EEEvSG_
		.amdhsa_group_segment_fixed_size 18504
		.amdhsa_private_segment_fixed_size 0
		.amdhsa_kernarg_size 344
		.amdhsa_user_sgpr_count 2
		.amdhsa_user_sgpr_dispatch_ptr 0
		.amdhsa_user_sgpr_queue_ptr 0
		.amdhsa_user_sgpr_kernarg_segment_ptr 1
		.amdhsa_user_sgpr_dispatch_id 0
		.amdhsa_user_sgpr_kernarg_preload_length 0
		.amdhsa_user_sgpr_kernarg_preload_offset 0
		.amdhsa_user_sgpr_private_segment_size 0
		.amdhsa_wavefront_size32 1
		.amdhsa_uses_dynamic_stack 0
		.amdhsa_enable_private_segment 0
		.amdhsa_system_sgpr_workgroup_id_x 1
		.amdhsa_system_sgpr_workgroup_id_y 0
		.amdhsa_system_sgpr_workgroup_id_z 0
		.amdhsa_system_sgpr_workgroup_info 0
		.amdhsa_system_vgpr_workitem_id 2
		.amdhsa_next_free_vgpr 57
		.amdhsa_next_free_sgpr 28
		.amdhsa_named_barrier_count 0
		.amdhsa_reserve_vcc 1
		.amdhsa_float_round_mode_32 0
		.amdhsa_float_round_mode_16_64 0
		.amdhsa_float_denorm_mode_32 3
		.amdhsa_float_denorm_mode_16_64 3
		.amdhsa_fp16_overflow 0
		.amdhsa_memory_ordered 1
		.amdhsa_forward_progress 1
		.amdhsa_inst_pref_size 88
		.amdhsa_round_robin_scheduling 0
		.amdhsa_exception_fp_ieee_invalid_op 0
		.amdhsa_exception_fp_denorm_src 0
		.amdhsa_exception_fp_ieee_div_zero 0
		.amdhsa_exception_fp_ieee_overflow 0
		.amdhsa_exception_fp_ieee_underflow 0
		.amdhsa_exception_fp_ieee_inexact 0
		.amdhsa_exception_int_div_zero 0
	.end_amdhsa_kernel
	.section	.text._ZN7rocprim17ROCPRIM_400000_NS6detail17trampoline_kernelINS0_14default_configENS1_35radix_sort_onesweep_config_selectorImNS0_10empty_typeEEEZZNS1_29radix_sort_onesweep_iterationIS3_Lb0EPKmPmPS5_SB_mNS0_19identity_decomposerENS1_16block_id_wrapperIjLb1EEEEE10hipError_tT1_PNSt15iterator_traitsISG_E10value_typeET2_T3_PNSH_ISM_E10value_typeET4_T5_PSR_SS_PNS1_23onesweep_lookback_stateEbbT6_jjT7_P12ihipStream_tbENKUlT_T0_SG_SL_E_clISA_SA_SB_SB_EEDaSZ_S10_SG_SL_EUlSZ_E_NS1_11comp_targetILNS1_3genE0ELNS1_11target_archE4294967295ELNS1_3gpuE0ELNS1_3repE0EEENS1_47radix_sort_onesweep_sort_config_static_selectorELNS0_4arch9wavefront6targetE0EEEvSG_,"axG",@progbits,_ZN7rocprim17ROCPRIM_400000_NS6detail17trampoline_kernelINS0_14default_configENS1_35radix_sort_onesweep_config_selectorImNS0_10empty_typeEEEZZNS1_29radix_sort_onesweep_iterationIS3_Lb0EPKmPmPS5_SB_mNS0_19identity_decomposerENS1_16block_id_wrapperIjLb1EEEEE10hipError_tT1_PNSt15iterator_traitsISG_E10value_typeET2_T3_PNSH_ISM_E10value_typeET4_T5_PSR_SS_PNS1_23onesweep_lookback_stateEbbT6_jjT7_P12ihipStream_tbENKUlT_T0_SG_SL_E_clISA_SA_SB_SB_EEDaSZ_S10_SG_SL_EUlSZ_E_NS1_11comp_targetILNS1_3genE0ELNS1_11target_archE4294967295ELNS1_3gpuE0ELNS1_3repE0EEENS1_47radix_sort_onesweep_sort_config_static_selectorELNS0_4arch9wavefront6targetE0EEEvSG_,comdat
.Lfunc_end3000:
	.size	_ZN7rocprim17ROCPRIM_400000_NS6detail17trampoline_kernelINS0_14default_configENS1_35radix_sort_onesweep_config_selectorImNS0_10empty_typeEEEZZNS1_29radix_sort_onesweep_iterationIS3_Lb0EPKmPmPS5_SB_mNS0_19identity_decomposerENS1_16block_id_wrapperIjLb1EEEEE10hipError_tT1_PNSt15iterator_traitsISG_E10value_typeET2_T3_PNSH_ISM_E10value_typeET4_T5_PSR_SS_PNS1_23onesweep_lookback_stateEbbT6_jjT7_P12ihipStream_tbENKUlT_T0_SG_SL_E_clISA_SA_SB_SB_EEDaSZ_S10_SG_SL_EUlSZ_E_NS1_11comp_targetILNS1_3genE0ELNS1_11target_archE4294967295ELNS1_3gpuE0ELNS1_3repE0EEENS1_47radix_sort_onesweep_sort_config_static_selectorELNS0_4arch9wavefront6targetE0EEEvSG_, .Lfunc_end3000-_ZN7rocprim17ROCPRIM_400000_NS6detail17trampoline_kernelINS0_14default_configENS1_35radix_sort_onesweep_config_selectorImNS0_10empty_typeEEEZZNS1_29radix_sort_onesweep_iterationIS3_Lb0EPKmPmPS5_SB_mNS0_19identity_decomposerENS1_16block_id_wrapperIjLb1EEEEE10hipError_tT1_PNSt15iterator_traitsISG_E10value_typeET2_T3_PNSH_ISM_E10value_typeET4_T5_PSR_SS_PNS1_23onesweep_lookback_stateEbbT6_jjT7_P12ihipStream_tbENKUlT_T0_SG_SL_E_clISA_SA_SB_SB_EEDaSZ_S10_SG_SL_EUlSZ_E_NS1_11comp_targetILNS1_3genE0ELNS1_11target_archE4294967295ELNS1_3gpuE0ELNS1_3repE0EEENS1_47radix_sort_onesweep_sort_config_static_selectorELNS0_4arch9wavefront6targetE0EEEvSG_
                                        ; -- End function
	.set _ZN7rocprim17ROCPRIM_400000_NS6detail17trampoline_kernelINS0_14default_configENS1_35radix_sort_onesweep_config_selectorImNS0_10empty_typeEEEZZNS1_29radix_sort_onesweep_iterationIS3_Lb0EPKmPmPS5_SB_mNS0_19identity_decomposerENS1_16block_id_wrapperIjLb1EEEEE10hipError_tT1_PNSt15iterator_traitsISG_E10value_typeET2_T3_PNSH_ISM_E10value_typeET4_T5_PSR_SS_PNS1_23onesweep_lookback_stateEbbT6_jjT7_P12ihipStream_tbENKUlT_T0_SG_SL_E_clISA_SA_SB_SB_EEDaSZ_S10_SG_SL_EUlSZ_E_NS1_11comp_targetILNS1_3genE0ELNS1_11target_archE4294967295ELNS1_3gpuE0ELNS1_3repE0EEENS1_47radix_sort_onesweep_sort_config_static_selectorELNS0_4arch9wavefront6targetE0EEEvSG_.num_vgpr, 57
	.set _ZN7rocprim17ROCPRIM_400000_NS6detail17trampoline_kernelINS0_14default_configENS1_35radix_sort_onesweep_config_selectorImNS0_10empty_typeEEEZZNS1_29radix_sort_onesweep_iterationIS3_Lb0EPKmPmPS5_SB_mNS0_19identity_decomposerENS1_16block_id_wrapperIjLb1EEEEE10hipError_tT1_PNSt15iterator_traitsISG_E10value_typeET2_T3_PNSH_ISM_E10value_typeET4_T5_PSR_SS_PNS1_23onesweep_lookback_stateEbbT6_jjT7_P12ihipStream_tbENKUlT_T0_SG_SL_E_clISA_SA_SB_SB_EEDaSZ_S10_SG_SL_EUlSZ_E_NS1_11comp_targetILNS1_3genE0ELNS1_11target_archE4294967295ELNS1_3gpuE0ELNS1_3repE0EEENS1_47radix_sort_onesweep_sort_config_static_selectorELNS0_4arch9wavefront6targetE0EEEvSG_.num_agpr, 0
	.set _ZN7rocprim17ROCPRIM_400000_NS6detail17trampoline_kernelINS0_14default_configENS1_35radix_sort_onesweep_config_selectorImNS0_10empty_typeEEEZZNS1_29radix_sort_onesweep_iterationIS3_Lb0EPKmPmPS5_SB_mNS0_19identity_decomposerENS1_16block_id_wrapperIjLb1EEEEE10hipError_tT1_PNSt15iterator_traitsISG_E10value_typeET2_T3_PNSH_ISM_E10value_typeET4_T5_PSR_SS_PNS1_23onesweep_lookback_stateEbbT6_jjT7_P12ihipStream_tbENKUlT_T0_SG_SL_E_clISA_SA_SB_SB_EEDaSZ_S10_SG_SL_EUlSZ_E_NS1_11comp_targetILNS1_3genE0ELNS1_11target_archE4294967295ELNS1_3gpuE0ELNS1_3repE0EEENS1_47radix_sort_onesweep_sort_config_static_selectorELNS0_4arch9wavefront6targetE0EEEvSG_.numbered_sgpr, 28
	.set _ZN7rocprim17ROCPRIM_400000_NS6detail17trampoline_kernelINS0_14default_configENS1_35radix_sort_onesweep_config_selectorImNS0_10empty_typeEEEZZNS1_29radix_sort_onesweep_iterationIS3_Lb0EPKmPmPS5_SB_mNS0_19identity_decomposerENS1_16block_id_wrapperIjLb1EEEEE10hipError_tT1_PNSt15iterator_traitsISG_E10value_typeET2_T3_PNSH_ISM_E10value_typeET4_T5_PSR_SS_PNS1_23onesweep_lookback_stateEbbT6_jjT7_P12ihipStream_tbENKUlT_T0_SG_SL_E_clISA_SA_SB_SB_EEDaSZ_S10_SG_SL_EUlSZ_E_NS1_11comp_targetILNS1_3genE0ELNS1_11target_archE4294967295ELNS1_3gpuE0ELNS1_3repE0EEENS1_47radix_sort_onesweep_sort_config_static_selectorELNS0_4arch9wavefront6targetE0EEEvSG_.num_named_barrier, 0
	.set _ZN7rocprim17ROCPRIM_400000_NS6detail17trampoline_kernelINS0_14default_configENS1_35radix_sort_onesweep_config_selectorImNS0_10empty_typeEEEZZNS1_29radix_sort_onesweep_iterationIS3_Lb0EPKmPmPS5_SB_mNS0_19identity_decomposerENS1_16block_id_wrapperIjLb1EEEEE10hipError_tT1_PNSt15iterator_traitsISG_E10value_typeET2_T3_PNSH_ISM_E10value_typeET4_T5_PSR_SS_PNS1_23onesweep_lookback_stateEbbT6_jjT7_P12ihipStream_tbENKUlT_T0_SG_SL_E_clISA_SA_SB_SB_EEDaSZ_S10_SG_SL_EUlSZ_E_NS1_11comp_targetILNS1_3genE0ELNS1_11target_archE4294967295ELNS1_3gpuE0ELNS1_3repE0EEENS1_47radix_sort_onesweep_sort_config_static_selectorELNS0_4arch9wavefront6targetE0EEEvSG_.private_seg_size, 0
	.set _ZN7rocprim17ROCPRIM_400000_NS6detail17trampoline_kernelINS0_14default_configENS1_35radix_sort_onesweep_config_selectorImNS0_10empty_typeEEEZZNS1_29radix_sort_onesweep_iterationIS3_Lb0EPKmPmPS5_SB_mNS0_19identity_decomposerENS1_16block_id_wrapperIjLb1EEEEE10hipError_tT1_PNSt15iterator_traitsISG_E10value_typeET2_T3_PNSH_ISM_E10value_typeET4_T5_PSR_SS_PNS1_23onesweep_lookback_stateEbbT6_jjT7_P12ihipStream_tbENKUlT_T0_SG_SL_E_clISA_SA_SB_SB_EEDaSZ_S10_SG_SL_EUlSZ_E_NS1_11comp_targetILNS1_3genE0ELNS1_11target_archE4294967295ELNS1_3gpuE0ELNS1_3repE0EEENS1_47radix_sort_onesweep_sort_config_static_selectorELNS0_4arch9wavefront6targetE0EEEvSG_.uses_vcc, 1
	.set _ZN7rocprim17ROCPRIM_400000_NS6detail17trampoline_kernelINS0_14default_configENS1_35radix_sort_onesweep_config_selectorImNS0_10empty_typeEEEZZNS1_29radix_sort_onesweep_iterationIS3_Lb0EPKmPmPS5_SB_mNS0_19identity_decomposerENS1_16block_id_wrapperIjLb1EEEEE10hipError_tT1_PNSt15iterator_traitsISG_E10value_typeET2_T3_PNSH_ISM_E10value_typeET4_T5_PSR_SS_PNS1_23onesweep_lookback_stateEbbT6_jjT7_P12ihipStream_tbENKUlT_T0_SG_SL_E_clISA_SA_SB_SB_EEDaSZ_S10_SG_SL_EUlSZ_E_NS1_11comp_targetILNS1_3genE0ELNS1_11target_archE4294967295ELNS1_3gpuE0ELNS1_3repE0EEENS1_47radix_sort_onesweep_sort_config_static_selectorELNS0_4arch9wavefront6targetE0EEEvSG_.uses_flat_scratch, 0
	.set _ZN7rocprim17ROCPRIM_400000_NS6detail17trampoline_kernelINS0_14default_configENS1_35radix_sort_onesweep_config_selectorImNS0_10empty_typeEEEZZNS1_29radix_sort_onesweep_iterationIS3_Lb0EPKmPmPS5_SB_mNS0_19identity_decomposerENS1_16block_id_wrapperIjLb1EEEEE10hipError_tT1_PNSt15iterator_traitsISG_E10value_typeET2_T3_PNSH_ISM_E10value_typeET4_T5_PSR_SS_PNS1_23onesweep_lookback_stateEbbT6_jjT7_P12ihipStream_tbENKUlT_T0_SG_SL_E_clISA_SA_SB_SB_EEDaSZ_S10_SG_SL_EUlSZ_E_NS1_11comp_targetILNS1_3genE0ELNS1_11target_archE4294967295ELNS1_3gpuE0ELNS1_3repE0EEENS1_47radix_sort_onesweep_sort_config_static_selectorELNS0_4arch9wavefront6targetE0EEEvSG_.has_dyn_sized_stack, 0
	.set _ZN7rocprim17ROCPRIM_400000_NS6detail17trampoline_kernelINS0_14default_configENS1_35radix_sort_onesweep_config_selectorImNS0_10empty_typeEEEZZNS1_29radix_sort_onesweep_iterationIS3_Lb0EPKmPmPS5_SB_mNS0_19identity_decomposerENS1_16block_id_wrapperIjLb1EEEEE10hipError_tT1_PNSt15iterator_traitsISG_E10value_typeET2_T3_PNSH_ISM_E10value_typeET4_T5_PSR_SS_PNS1_23onesweep_lookback_stateEbbT6_jjT7_P12ihipStream_tbENKUlT_T0_SG_SL_E_clISA_SA_SB_SB_EEDaSZ_S10_SG_SL_EUlSZ_E_NS1_11comp_targetILNS1_3genE0ELNS1_11target_archE4294967295ELNS1_3gpuE0ELNS1_3repE0EEENS1_47radix_sort_onesweep_sort_config_static_selectorELNS0_4arch9wavefront6targetE0EEEvSG_.has_recursion, 0
	.set _ZN7rocprim17ROCPRIM_400000_NS6detail17trampoline_kernelINS0_14default_configENS1_35radix_sort_onesweep_config_selectorImNS0_10empty_typeEEEZZNS1_29radix_sort_onesweep_iterationIS3_Lb0EPKmPmPS5_SB_mNS0_19identity_decomposerENS1_16block_id_wrapperIjLb1EEEEE10hipError_tT1_PNSt15iterator_traitsISG_E10value_typeET2_T3_PNSH_ISM_E10value_typeET4_T5_PSR_SS_PNS1_23onesweep_lookback_stateEbbT6_jjT7_P12ihipStream_tbENKUlT_T0_SG_SL_E_clISA_SA_SB_SB_EEDaSZ_S10_SG_SL_EUlSZ_E_NS1_11comp_targetILNS1_3genE0ELNS1_11target_archE4294967295ELNS1_3gpuE0ELNS1_3repE0EEENS1_47radix_sort_onesweep_sort_config_static_selectorELNS0_4arch9wavefront6targetE0EEEvSG_.has_indirect_call, 0
	.section	.AMDGPU.csdata,"",@progbits
; Kernel info:
; codeLenInByte = 11208
; TotalNumSgprs: 30
; NumVgprs: 57
; ScratchSize: 0
; MemoryBound: 0
; FloatMode: 240
; IeeeMode: 1
; LDSByteSize: 18504 bytes/workgroup (compile time only)
; SGPRBlocks: 0
; VGPRBlocks: 3
; NumSGPRsForWavesPerEU: 30
; NumVGPRsForWavesPerEU: 57
; NamedBarCnt: 0
; Occupancy: 16
; WaveLimiterHint : 1
; COMPUTE_PGM_RSRC2:SCRATCH_EN: 0
; COMPUTE_PGM_RSRC2:USER_SGPR: 2
; COMPUTE_PGM_RSRC2:TRAP_HANDLER: 0
; COMPUTE_PGM_RSRC2:TGID_X_EN: 1
; COMPUTE_PGM_RSRC2:TGID_Y_EN: 0
; COMPUTE_PGM_RSRC2:TGID_Z_EN: 0
; COMPUTE_PGM_RSRC2:TIDIG_COMP_CNT: 2
	.section	.text._ZN7rocprim17ROCPRIM_400000_NS6detail17trampoline_kernelINS0_14default_configENS1_35radix_sort_onesweep_config_selectorImNS0_10empty_typeEEEZZNS1_29radix_sort_onesweep_iterationIS3_Lb0EPKmPmPS5_SB_mNS0_19identity_decomposerENS1_16block_id_wrapperIjLb1EEEEE10hipError_tT1_PNSt15iterator_traitsISG_E10value_typeET2_T3_PNSH_ISM_E10value_typeET4_T5_PSR_SS_PNS1_23onesweep_lookback_stateEbbT6_jjT7_P12ihipStream_tbENKUlT_T0_SG_SL_E_clISA_SA_SB_SB_EEDaSZ_S10_SG_SL_EUlSZ_E_NS1_11comp_targetILNS1_3genE6ELNS1_11target_archE950ELNS1_3gpuE13ELNS1_3repE0EEENS1_47radix_sort_onesweep_sort_config_static_selectorELNS0_4arch9wavefront6targetE0EEEvSG_,"axG",@progbits,_ZN7rocprim17ROCPRIM_400000_NS6detail17trampoline_kernelINS0_14default_configENS1_35radix_sort_onesweep_config_selectorImNS0_10empty_typeEEEZZNS1_29radix_sort_onesweep_iterationIS3_Lb0EPKmPmPS5_SB_mNS0_19identity_decomposerENS1_16block_id_wrapperIjLb1EEEEE10hipError_tT1_PNSt15iterator_traitsISG_E10value_typeET2_T3_PNSH_ISM_E10value_typeET4_T5_PSR_SS_PNS1_23onesweep_lookback_stateEbbT6_jjT7_P12ihipStream_tbENKUlT_T0_SG_SL_E_clISA_SA_SB_SB_EEDaSZ_S10_SG_SL_EUlSZ_E_NS1_11comp_targetILNS1_3genE6ELNS1_11target_archE950ELNS1_3gpuE13ELNS1_3repE0EEENS1_47radix_sort_onesweep_sort_config_static_selectorELNS0_4arch9wavefront6targetE0EEEvSG_,comdat
	.protected	_ZN7rocprim17ROCPRIM_400000_NS6detail17trampoline_kernelINS0_14default_configENS1_35radix_sort_onesweep_config_selectorImNS0_10empty_typeEEEZZNS1_29radix_sort_onesweep_iterationIS3_Lb0EPKmPmPS5_SB_mNS0_19identity_decomposerENS1_16block_id_wrapperIjLb1EEEEE10hipError_tT1_PNSt15iterator_traitsISG_E10value_typeET2_T3_PNSH_ISM_E10value_typeET4_T5_PSR_SS_PNS1_23onesweep_lookback_stateEbbT6_jjT7_P12ihipStream_tbENKUlT_T0_SG_SL_E_clISA_SA_SB_SB_EEDaSZ_S10_SG_SL_EUlSZ_E_NS1_11comp_targetILNS1_3genE6ELNS1_11target_archE950ELNS1_3gpuE13ELNS1_3repE0EEENS1_47radix_sort_onesweep_sort_config_static_selectorELNS0_4arch9wavefront6targetE0EEEvSG_ ; -- Begin function _ZN7rocprim17ROCPRIM_400000_NS6detail17trampoline_kernelINS0_14default_configENS1_35radix_sort_onesweep_config_selectorImNS0_10empty_typeEEEZZNS1_29radix_sort_onesweep_iterationIS3_Lb0EPKmPmPS5_SB_mNS0_19identity_decomposerENS1_16block_id_wrapperIjLb1EEEEE10hipError_tT1_PNSt15iterator_traitsISG_E10value_typeET2_T3_PNSH_ISM_E10value_typeET4_T5_PSR_SS_PNS1_23onesweep_lookback_stateEbbT6_jjT7_P12ihipStream_tbENKUlT_T0_SG_SL_E_clISA_SA_SB_SB_EEDaSZ_S10_SG_SL_EUlSZ_E_NS1_11comp_targetILNS1_3genE6ELNS1_11target_archE950ELNS1_3gpuE13ELNS1_3repE0EEENS1_47radix_sort_onesweep_sort_config_static_selectorELNS0_4arch9wavefront6targetE0EEEvSG_
	.globl	_ZN7rocprim17ROCPRIM_400000_NS6detail17trampoline_kernelINS0_14default_configENS1_35radix_sort_onesweep_config_selectorImNS0_10empty_typeEEEZZNS1_29radix_sort_onesweep_iterationIS3_Lb0EPKmPmPS5_SB_mNS0_19identity_decomposerENS1_16block_id_wrapperIjLb1EEEEE10hipError_tT1_PNSt15iterator_traitsISG_E10value_typeET2_T3_PNSH_ISM_E10value_typeET4_T5_PSR_SS_PNS1_23onesweep_lookback_stateEbbT6_jjT7_P12ihipStream_tbENKUlT_T0_SG_SL_E_clISA_SA_SB_SB_EEDaSZ_S10_SG_SL_EUlSZ_E_NS1_11comp_targetILNS1_3genE6ELNS1_11target_archE950ELNS1_3gpuE13ELNS1_3repE0EEENS1_47radix_sort_onesweep_sort_config_static_selectorELNS0_4arch9wavefront6targetE0EEEvSG_
	.p2align	8
	.type	_ZN7rocprim17ROCPRIM_400000_NS6detail17trampoline_kernelINS0_14default_configENS1_35radix_sort_onesweep_config_selectorImNS0_10empty_typeEEEZZNS1_29radix_sort_onesweep_iterationIS3_Lb0EPKmPmPS5_SB_mNS0_19identity_decomposerENS1_16block_id_wrapperIjLb1EEEEE10hipError_tT1_PNSt15iterator_traitsISG_E10value_typeET2_T3_PNSH_ISM_E10value_typeET4_T5_PSR_SS_PNS1_23onesweep_lookback_stateEbbT6_jjT7_P12ihipStream_tbENKUlT_T0_SG_SL_E_clISA_SA_SB_SB_EEDaSZ_S10_SG_SL_EUlSZ_E_NS1_11comp_targetILNS1_3genE6ELNS1_11target_archE950ELNS1_3gpuE13ELNS1_3repE0EEENS1_47radix_sort_onesweep_sort_config_static_selectorELNS0_4arch9wavefront6targetE0EEEvSG_,@function
_ZN7rocprim17ROCPRIM_400000_NS6detail17trampoline_kernelINS0_14default_configENS1_35radix_sort_onesweep_config_selectorImNS0_10empty_typeEEEZZNS1_29radix_sort_onesweep_iterationIS3_Lb0EPKmPmPS5_SB_mNS0_19identity_decomposerENS1_16block_id_wrapperIjLb1EEEEE10hipError_tT1_PNSt15iterator_traitsISG_E10value_typeET2_T3_PNSH_ISM_E10value_typeET4_T5_PSR_SS_PNS1_23onesweep_lookback_stateEbbT6_jjT7_P12ihipStream_tbENKUlT_T0_SG_SL_E_clISA_SA_SB_SB_EEDaSZ_S10_SG_SL_EUlSZ_E_NS1_11comp_targetILNS1_3genE6ELNS1_11target_archE950ELNS1_3gpuE13ELNS1_3repE0EEENS1_47radix_sort_onesweep_sort_config_static_selectorELNS0_4arch9wavefront6targetE0EEEvSG_: ; @_ZN7rocprim17ROCPRIM_400000_NS6detail17trampoline_kernelINS0_14default_configENS1_35radix_sort_onesweep_config_selectorImNS0_10empty_typeEEEZZNS1_29radix_sort_onesweep_iterationIS3_Lb0EPKmPmPS5_SB_mNS0_19identity_decomposerENS1_16block_id_wrapperIjLb1EEEEE10hipError_tT1_PNSt15iterator_traitsISG_E10value_typeET2_T3_PNSH_ISM_E10value_typeET4_T5_PSR_SS_PNS1_23onesweep_lookback_stateEbbT6_jjT7_P12ihipStream_tbENKUlT_T0_SG_SL_E_clISA_SA_SB_SB_EEDaSZ_S10_SG_SL_EUlSZ_E_NS1_11comp_targetILNS1_3genE6ELNS1_11target_archE950ELNS1_3gpuE13ELNS1_3repE0EEENS1_47radix_sort_onesweep_sort_config_static_selectorELNS0_4arch9wavefront6targetE0EEEvSG_
; %bb.0:
	.section	.rodata,"a",@progbits
	.p2align	6, 0x0
	.amdhsa_kernel _ZN7rocprim17ROCPRIM_400000_NS6detail17trampoline_kernelINS0_14default_configENS1_35radix_sort_onesweep_config_selectorImNS0_10empty_typeEEEZZNS1_29radix_sort_onesweep_iterationIS3_Lb0EPKmPmPS5_SB_mNS0_19identity_decomposerENS1_16block_id_wrapperIjLb1EEEEE10hipError_tT1_PNSt15iterator_traitsISG_E10value_typeET2_T3_PNSH_ISM_E10value_typeET4_T5_PSR_SS_PNS1_23onesweep_lookback_stateEbbT6_jjT7_P12ihipStream_tbENKUlT_T0_SG_SL_E_clISA_SA_SB_SB_EEDaSZ_S10_SG_SL_EUlSZ_E_NS1_11comp_targetILNS1_3genE6ELNS1_11target_archE950ELNS1_3gpuE13ELNS1_3repE0EEENS1_47radix_sort_onesweep_sort_config_static_selectorELNS0_4arch9wavefront6targetE0EEEvSG_
		.amdhsa_group_segment_fixed_size 0
		.amdhsa_private_segment_fixed_size 0
		.amdhsa_kernarg_size 88
		.amdhsa_user_sgpr_count 2
		.amdhsa_user_sgpr_dispatch_ptr 0
		.amdhsa_user_sgpr_queue_ptr 0
		.amdhsa_user_sgpr_kernarg_segment_ptr 1
		.amdhsa_user_sgpr_dispatch_id 0
		.amdhsa_user_sgpr_kernarg_preload_length 0
		.amdhsa_user_sgpr_kernarg_preload_offset 0
		.amdhsa_user_sgpr_private_segment_size 0
		.amdhsa_wavefront_size32 1
		.amdhsa_uses_dynamic_stack 0
		.amdhsa_enable_private_segment 0
		.amdhsa_system_sgpr_workgroup_id_x 1
		.amdhsa_system_sgpr_workgroup_id_y 0
		.amdhsa_system_sgpr_workgroup_id_z 0
		.amdhsa_system_sgpr_workgroup_info 0
		.amdhsa_system_vgpr_workitem_id 0
		.amdhsa_next_free_vgpr 1
		.amdhsa_next_free_sgpr 1
		.amdhsa_named_barrier_count 0
		.amdhsa_reserve_vcc 0
		.amdhsa_float_round_mode_32 0
		.amdhsa_float_round_mode_16_64 0
		.amdhsa_float_denorm_mode_32 3
		.amdhsa_float_denorm_mode_16_64 3
		.amdhsa_fp16_overflow 0
		.amdhsa_memory_ordered 1
		.amdhsa_forward_progress 1
		.amdhsa_inst_pref_size 0
		.amdhsa_round_robin_scheduling 0
		.amdhsa_exception_fp_ieee_invalid_op 0
		.amdhsa_exception_fp_denorm_src 0
		.amdhsa_exception_fp_ieee_div_zero 0
		.amdhsa_exception_fp_ieee_overflow 0
		.amdhsa_exception_fp_ieee_underflow 0
		.amdhsa_exception_fp_ieee_inexact 0
		.amdhsa_exception_int_div_zero 0
	.end_amdhsa_kernel
	.section	.text._ZN7rocprim17ROCPRIM_400000_NS6detail17trampoline_kernelINS0_14default_configENS1_35radix_sort_onesweep_config_selectorImNS0_10empty_typeEEEZZNS1_29radix_sort_onesweep_iterationIS3_Lb0EPKmPmPS5_SB_mNS0_19identity_decomposerENS1_16block_id_wrapperIjLb1EEEEE10hipError_tT1_PNSt15iterator_traitsISG_E10value_typeET2_T3_PNSH_ISM_E10value_typeET4_T5_PSR_SS_PNS1_23onesweep_lookback_stateEbbT6_jjT7_P12ihipStream_tbENKUlT_T0_SG_SL_E_clISA_SA_SB_SB_EEDaSZ_S10_SG_SL_EUlSZ_E_NS1_11comp_targetILNS1_3genE6ELNS1_11target_archE950ELNS1_3gpuE13ELNS1_3repE0EEENS1_47radix_sort_onesweep_sort_config_static_selectorELNS0_4arch9wavefront6targetE0EEEvSG_,"axG",@progbits,_ZN7rocprim17ROCPRIM_400000_NS6detail17trampoline_kernelINS0_14default_configENS1_35radix_sort_onesweep_config_selectorImNS0_10empty_typeEEEZZNS1_29radix_sort_onesweep_iterationIS3_Lb0EPKmPmPS5_SB_mNS0_19identity_decomposerENS1_16block_id_wrapperIjLb1EEEEE10hipError_tT1_PNSt15iterator_traitsISG_E10value_typeET2_T3_PNSH_ISM_E10value_typeET4_T5_PSR_SS_PNS1_23onesweep_lookback_stateEbbT6_jjT7_P12ihipStream_tbENKUlT_T0_SG_SL_E_clISA_SA_SB_SB_EEDaSZ_S10_SG_SL_EUlSZ_E_NS1_11comp_targetILNS1_3genE6ELNS1_11target_archE950ELNS1_3gpuE13ELNS1_3repE0EEENS1_47radix_sort_onesweep_sort_config_static_selectorELNS0_4arch9wavefront6targetE0EEEvSG_,comdat
.Lfunc_end3001:
	.size	_ZN7rocprim17ROCPRIM_400000_NS6detail17trampoline_kernelINS0_14default_configENS1_35radix_sort_onesweep_config_selectorImNS0_10empty_typeEEEZZNS1_29radix_sort_onesweep_iterationIS3_Lb0EPKmPmPS5_SB_mNS0_19identity_decomposerENS1_16block_id_wrapperIjLb1EEEEE10hipError_tT1_PNSt15iterator_traitsISG_E10value_typeET2_T3_PNSH_ISM_E10value_typeET4_T5_PSR_SS_PNS1_23onesweep_lookback_stateEbbT6_jjT7_P12ihipStream_tbENKUlT_T0_SG_SL_E_clISA_SA_SB_SB_EEDaSZ_S10_SG_SL_EUlSZ_E_NS1_11comp_targetILNS1_3genE6ELNS1_11target_archE950ELNS1_3gpuE13ELNS1_3repE0EEENS1_47radix_sort_onesweep_sort_config_static_selectorELNS0_4arch9wavefront6targetE0EEEvSG_, .Lfunc_end3001-_ZN7rocprim17ROCPRIM_400000_NS6detail17trampoline_kernelINS0_14default_configENS1_35radix_sort_onesweep_config_selectorImNS0_10empty_typeEEEZZNS1_29radix_sort_onesweep_iterationIS3_Lb0EPKmPmPS5_SB_mNS0_19identity_decomposerENS1_16block_id_wrapperIjLb1EEEEE10hipError_tT1_PNSt15iterator_traitsISG_E10value_typeET2_T3_PNSH_ISM_E10value_typeET4_T5_PSR_SS_PNS1_23onesweep_lookback_stateEbbT6_jjT7_P12ihipStream_tbENKUlT_T0_SG_SL_E_clISA_SA_SB_SB_EEDaSZ_S10_SG_SL_EUlSZ_E_NS1_11comp_targetILNS1_3genE6ELNS1_11target_archE950ELNS1_3gpuE13ELNS1_3repE0EEENS1_47radix_sort_onesweep_sort_config_static_selectorELNS0_4arch9wavefront6targetE0EEEvSG_
                                        ; -- End function
	.set _ZN7rocprim17ROCPRIM_400000_NS6detail17trampoline_kernelINS0_14default_configENS1_35radix_sort_onesweep_config_selectorImNS0_10empty_typeEEEZZNS1_29radix_sort_onesweep_iterationIS3_Lb0EPKmPmPS5_SB_mNS0_19identity_decomposerENS1_16block_id_wrapperIjLb1EEEEE10hipError_tT1_PNSt15iterator_traitsISG_E10value_typeET2_T3_PNSH_ISM_E10value_typeET4_T5_PSR_SS_PNS1_23onesweep_lookback_stateEbbT6_jjT7_P12ihipStream_tbENKUlT_T0_SG_SL_E_clISA_SA_SB_SB_EEDaSZ_S10_SG_SL_EUlSZ_E_NS1_11comp_targetILNS1_3genE6ELNS1_11target_archE950ELNS1_3gpuE13ELNS1_3repE0EEENS1_47radix_sort_onesweep_sort_config_static_selectorELNS0_4arch9wavefront6targetE0EEEvSG_.num_vgpr, 0
	.set _ZN7rocprim17ROCPRIM_400000_NS6detail17trampoline_kernelINS0_14default_configENS1_35radix_sort_onesweep_config_selectorImNS0_10empty_typeEEEZZNS1_29radix_sort_onesweep_iterationIS3_Lb0EPKmPmPS5_SB_mNS0_19identity_decomposerENS1_16block_id_wrapperIjLb1EEEEE10hipError_tT1_PNSt15iterator_traitsISG_E10value_typeET2_T3_PNSH_ISM_E10value_typeET4_T5_PSR_SS_PNS1_23onesweep_lookback_stateEbbT6_jjT7_P12ihipStream_tbENKUlT_T0_SG_SL_E_clISA_SA_SB_SB_EEDaSZ_S10_SG_SL_EUlSZ_E_NS1_11comp_targetILNS1_3genE6ELNS1_11target_archE950ELNS1_3gpuE13ELNS1_3repE0EEENS1_47radix_sort_onesweep_sort_config_static_selectorELNS0_4arch9wavefront6targetE0EEEvSG_.num_agpr, 0
	.set _ZN7rocprim17ROCPRIM_400000_NS6detail17trampoline_kernelINS0_14default_configENS1_35radix_sort_onesweep_config_selectorImNS0_10empty_typeEEEZZNS1_29radix_sort_onesweep_iterationIS3_Lb0EPKmPmPS5_SB_mNS0_19identity_decomposerENS1_16block_id_wrapperIjLb1EEEEE10hipError_tT1_PNSt15iterator_traitsISG_E10value_typeET2_T3_PNSH_ISM_E10value_typeET4_T5_PSR_SS_PNS1_23onesweep_lookback_stateEbbT6_jjT7_P12ihipStream_tbENKUlT_T0_SG_SL_E_clISA_SA_SB_SB_EEDaSZ_S10_SG_SL_EUlSZ_E_NS1_11comp_targetILNS1_3genE6ELNS1_11target_archE950ELNS1_3gpuE13ELNS1_3repE0EEENS1_47radix_sort_onesweep_sort_config_static_selectorELNS0_4arch9wavefront6targetE0EEEvSG_.numbered_sgpr, 0
	.set _ZN7rocprim17ROCPRIM_400000_NS6detail17trampoline_kernelINS0_14default_configENS1_35radix_sort_onesweep_config_selectorImNS0_10empty_typeEEEZZNS1_29radix_sort_onesweep_iterationIS3_Lb0EPKmPmPS5_SB_mNS0_19identity_decomposerENS1_16block_id_wrapperIjLb1EEEEE10hipError_tT1_PNSt15iterator_traitsISG_E10value_typeET2_T3_PNSH_ISM_E10value_typeET4_T5_PSR_SS_PNS1_23onesweep_lookback_stateEbbT6_jjT7_P12ihipStream_tbENKUlT_T0_SG_SL_E_clISA_SA_SB_SB_EEDaSZ_S10_SG_SL_EUlSZ_E_NS1_11comp_targetILNS1_3genE6ELNS1_11target_archE950ELNS1_3gpuE13ELNS1_3repE0EEENS1_47radix_sort_onesweep_sort_config_static_selectorELNS0_4arch9wavefront6targetE0EEEvSG_.num_named_barrier, 0
	.set _ZN7rocprim17ROCPRIM_400000_NS6detail17trampoline_kernelINS0_14default_configENS1_35radix_sort_onesweep_config_selectorImNS0_10empty_typeEEEZZNS1_29radix_sort_onesweep_iterationIS3_Lb0EPKmPmPS5_SB_mNS0_19identity_decomposerENS1_16block_id_wrapperIjLb1EEEEE10hipError_tT1_PNSt15iterator_traitsISG_E10value_typeET2_T3_PNSH_ISM_E10value_typeET4_T5_PSR_SS_PNS1_23onesweep_lookback_stateEbbT6_jjT7_P12ihipStream_tbENKUlT_T0_SG_SL_E_clISA_SA_SB_SB_EEDaSZ_S10_SG_SL_EUlSZ_E_NS1_11comp_targetILNS1_3genE6ELNS1_11target_archE950ELNS1_3gpuE13ELNS1_3repE0EEENS1_47radix_sort_onesweep_sort_config_static_selectorELNS0_4arch9wavefront6targetE0EEEvSG_.private_seg_size, 0
	.set _ZN7rocprim17ROCPRIM_400000_NS6detail17trampoline_kernelINS0_14default_configENS1_35radix_sort_onesweep_config_selectorImNS0_10empty_typeEEEZZNS1_29radix_sort_onesweep_iterationIS3_Lb0EPKmPmPS5_SB_mNS0_19identity_decomposerENS1_16block_id_wrapperIjLb1EEEEE10hipError_tT1_PNSt15iterator_traitsISG_E10value_typeET2_T3_PNSH_ISM_E10value_typeET4_T5_PSR_SS_PNS1_23onesweep_lookback_stateEbbT6_jjT7_P12ihipStream_tbENKUlT_T0_SG_SL_E_clISA_SA_SB_SB_EEDaSZ_S10_SG_SL_EUlSZ_E_NS1_11comp_targetILNS1_3genE6ELNS1_11target_archE950ELNS1_3gpuE13ELNS1_3repE0EEENS1_47radix_sort_onesweep_sort_config_static_selectorELNS0_4arch9wavefront6targetE0EEEvSG_.uses_vcc, 0
	.set _ZN7rocprim17ROCPRIM_400000_NS6detail17trampoline_kernelINS0_14default_configENS1_35radix_sort_onesweep_config_selectorImNS0_10empty_typeEEEZZNS1_29radix_sort_onesweep_iterationIS3_Lb0EPKmPmPS5_SB_mNS0_19identity_decomposerENS1_16block_id_wrapperIjLb1EEEEE10hipError_tT1_PNSt15iterator_traitsISG_E10value_typeET2_T3_PNSH_ISM_E10value_typeET4_T5_PSR_SS_PNS1_23onesweep_lookback_stateEbbT6_jjT7_P12ihipStream_tbENKUlT_T0_SG_SL_E_clISA_SA_SB_SB_EEDaSZ_S10_SG_SL_EUlSZ_E_NS1_11comp_targetILNS1_3genE6ELNS1_11target_archE950ELNS1_3gpuE13ELNS1_3repE0EEENS1_47radix_sort_onesweep_sort_config_static_selectorELNS0_4arch9wavefront6targetE0EEEvSG_.uses_flat_scratch, 0
	.set _ZN7rocprim17ROCPRIM_400000_NS6detail17trampoline_kernelINS0_14default_configENS1_35radix_sort_onesweep_config_selectorImNS0_10empty_typeEEEZZNS1_29radix_sort_onesweep_iterationIS3_Lb0EPKmPmPS5_SB_mNS0_19identity_decomposerENS1_16block_id_wrapperIjLb1EEEEE10hipError_tT1_PNSt15iterator_traitsISG_E10value_typeET2_T3_PNSH_ISM_E10value_typeET4_T5_PSR_SS_PNS1_23onesweep_lookback_stateEbbT6_jjT7_P12ihipStream_tbENKUlT_T0_SG_SL_E_clISA_SA_SB_SB_EEDaSZ_S10_SG_SL_EUlSZ_E_NS1_11comp_targetILNS1_3genE6ELNS1_11target_archE950ELNS1_3gpuE13ELNS1_3repE0EEENS1_47radix_sort_onesweep_sort_config_static_selectorELNS0_4arch9wavefront6targetE0EEEvSG_.has_dyn_sized_stack, 0
	.set _ZN7rocprim17ROCPRIM_400000_NS6detail17trampoline_kernelINS0_14default_configENS1_35radix_sort_onesweep_config_selectorImNS0_10empty_typeEEEZZNS1_29radix_sort_onesweep_iterationIS3_Lb0EPKmPmPS5_SB_mNS0_19identity_decomposerENS1_16block_id_wrapperIjLb1EEEEE10hipError_tT1_PNSt15iterator_traitsISG_E10value_typeET2_T3_PNSH_ISM_E10value_typeET4_T5_PSR_SS_PNS1_23onesweep_lookback_stateEbbT6_jjT7_P12ihipStream_tbENKUlT_T0_SG_SL_E_clISA_SA_SB_SB_EEDaSZ_S10_SG_SL_EUlSZ_E_NS1_11comp_targetILNS1_3genE6ELNS1_11target_archE950ELNS1_3gpuE13ELNS1_3repE0EEENS1_47radix_sort_onesweep_sort_config_static_selectorELNS0_4arch9wavefront6targetE0EEEvSG_.has_recursion, 0
	.set _ZN7rocprim17ROCPRIM_400000_NS6detail17trampoline_kernelINS0_14default_configENS1_35radix_sort_onesweep_config_selectorImNS0_10empty_typeEEEZZNS1_29radix_sort_onesweep_iterationIS3_Lb0EPKmPmPS5_SB_mNS0_19identity_decomposerENS1_16block_id_wrapperIjLb1EEEEE10hipError_tT1_PNSt15iterator_traitsISG_E10value_typeET2_T3_PNSH_ISM_E10value_typeET4_T5_PSR_SS_PNS1_23onesweep_lookback_stateEbbT6_jjT7_P12ihipStream_tbENKUlT_T0_SG_SL_E_clISA_SA_SB_SB_EEDaSZ_S10_SG_SL_EUlSZ_E_NS1_11comp_targetILNS1_3genE6ELNS1_11target_archE950ELNS1_3gpuE13ELNS1_3repE0EEENS1_47radix_sort_onesweep_sort_config_static_selectorELNS0_4arch9wavefront6targetE0EEEvSG_.has_indirect_call, 0
	.section	.AMDGPU.csdata,"",@progbits
; Kernel info:
; codeLenInByte = 0
; TotalNumSgprs: 0
; NumVgprs: 0
; ScratchSize: 0
; MemoryBound: 0
; FloatMode: 240
; IeeeMode: 1
; LDSByteSize: 0 bytes/workgroup (compile time only)
; SGPRBlocks: 0
; VGPRBlocks: 0
; NumSGPRsForWavesPerEU: 1
; NumVGPRsForWavesPerEU: 1
; NamedBarCnt: 0
; Occupancy: 16
; WaveLimiterHint : 0
; COMPUTE_PGM_RSRC2:SCRATCH_EN: 0
; COMPUTE_PGM_RSRC2:USER_SGPR: 2
; COMPUTE_PGM_RSRC2:TRAP_HANDLER: 0
; COMPUTE_PGM_RSRC2:TGID_X_EN: 1
; COMPUTE_PGM_RSRC2:TGID_Y_EN: 0
; COMPUTE_PGM_RSRC2:TGID_Z_EN: 0
; COMPUTE_PGM_RSRC2:TIDIG_COMP_CNT: 0
	.section	.text._ZN7rocprim17ROCPRIM_400000_NS6detail17trampoline_kernelINS0_14default_configENS1_35radix_sort_onesweep_config_selectorImNS0_10empty_typeEEEZZNS1_29radix_sort_onesweep_iterationIS3_Lb0EPKmPmPS5_SB_mNS0_19identity_decomposerENS1_16block_id_wrapperIjLb1EEEEE10hipError_tT1_PNSt15iterator_traitsISG_E10value_typeET2_T3_PNSH_ISM_E10value_typeET4_T5_PSR_SS_PNS1_23onesweep_lookback_stateEbbT6_jjT7_P12ihipStream_tbENKUlT_T0_SG_SL_E_clISA_SA_SB_SB_EEDaSZ_S10_SG_SL_EUlSZ_E_NS1_11comp_targetILNS1_3genE5ELNS1_11target_archE942ELNS1_3gpuE9ELNS1_3repE0EEENS1_47radix_sort_onesweep_sort_config_static_selectorELNS0_4arch9wavefront6targetE0EEEvSG_,"axG",@progbits,_ZN7rocprim17ROCPRIM_400000_NS6detail17trampoline_kernelINS0_14default_configENS1_35radix_sort_onesweep_config_selectorImNS0_10empty_typeEEEZZNS1_29radix_sort_onesweep_iterationIS3_Lb0EPKmPmPS5_SB_mNS0_19identity_decomposerENS1_16block_id_wrapperIjLb1EEEEE10hipError_tT1_PNSt15iterator_traitsISG_E10value_typeET2_T3_PNSH_ISM_E10value_typeET4_T5_PSR_SS_PNS1_23onesweep_lookback_stateEbbT6_jjT7_P12ihipStream_tbENKUlT_T0_SG_SL_E_clISA_SA_SB_SB_EEDaSZ_S10_SG_SL_EUlSZ_E_NS1_11comp_targetILNS1_3genE5ELNS1_11target_archE942ELNS1_3gpuE9ELNS1_3repE0EEENS1_47radix_sort_onesweep_sort_config_static_selectorELNS0_4arch9wavefront6targetE0EEEvSG_,comdat
	.protected	_ZN7rocprim17ROCPRIM_400000_NS6detail17trampoline_kernelINS0_14default_configENS1_35radix_sort_onesweep_config_selectorImNS0_10empty_typeEEEZZNS1_29radix_sort_onesweep_iterationIS3_Lb0EPKmPmPS5_SB_mNS0_19identity_decomposerENS1_16block_id_wrapperIjLb1EEEEE10hipError_tT1_PNSt15iterator_traitsISG_E10value_typeET2_T3_PNSH_ISM_E10value_typeET4_T5_PSR_SS_PNS1_23onesweep_lookback_stateEbbT6_jjT7_P12ihipStream_tbENKUlT_T0_SG_SL_E_clISA_SA_SB_SB_EEDaSZ_S10_SG_SL_EUlSZ_E_NS1_11comp_targetILNS1_3genE5ELNS1_11target_archE942ELNS1_3gpuE9ELNS1_3repE0EEENS1_47radix_sort_onesweep_sort_config_static_selectorELNS0_4arch9wavefront6targetE0EEEvSG_ ; -- Begin function _ZN7rocprim17ROCPRIM_400000_NS6detail17trampoline_kernelINS0_14default_configENS1_35radix_sort_onesweep_config_selectorImNS0_10empty_typeEEEZZNS1_29radix_sort_onesweep_iterationIS3_Lb0EPKmPmPS5_SB_mNS0_19identity_decomposerENS1_16block_id_wrapperIjLb1EEEEE10hipError_tT1_PNSt15iterator_traitsISG_E10value_typeET2_T3_PNSH_ISM_E10value_typeET4_T5_PSR_SS_PNS1_23onesweep_lookback_stateEbbT6_jjT7_P12ihipStream_tbENKUlT_T0_SG_SL_E_clISA_SA_SB_SB_EEDaSZ_S10_SG_SL_EUlSZ_E_NS1_11comp_targetILNS1_3genE5ELNS1_11target_archE942ELNS1_3gpuE9ELNS1_3repE0EEENS1_47radix_sort_onesweep_sort_config_static_selectorELNS0_4arch9wavefront6targetE0EEEvSG_
	.globl	_ZN7rocprim17ROCPRIM_400000_NS6detail17trampoline_kernelINS0_14default_configENS1_35radix_sort_onesweep_config_selectorImNS0_10empty_typeEEEZZNS1_29radix_sort_onesweep_iterationIS3_Lb0EPKmPmPS5_SB_mNS0_19identity_decomposerENS1_16block_id_wrapperIjLb1EEEEE10hipError_tT1_PNSt15iterator_traitsISG_E10value_typeET2_T3_PNSH_ISM_E10value_typeET4_T5_PSR_SS_PNS1_23onesweep_lookback_stateEbbT6_jjT7_P12ihipStream_tbENKUlT_T0_SG_SL_E_clISA_SA_SB_SB_EEDaSZ_S10_SG_SL_EUlSZ_E_NS1_11comp_targetILNS1_3genE5ELNS1_11target_archE942ELNS1_3gpuE9ELNS1_3repE0EEENS1_47radix_sort_onesweep_sort_config_static_selectorELNS0_4arch9wavefront6targetE0EEEvSG_
	.p2align	8
	.type	_ZN7rocprim17ROCPRIM_400000_NS6detail17trampoline_kernelINS0_14default_configENS1_35radix_sort_onesweep_config_selectorImNS0_10empty_typeEEEZZNS1_29radix_sort_onesweep_iterationIS3_Lb0EPKmPmPS5_SB_mNS0_19identity_decomposerENS1_16block_id_wrapperIjLb1EEEEE10hipError_tT1_PNSt15iterator_traitsISG_E10value_typeET2_T3_PNSH_ISM_E10value_typeET4_T5_PSR_SS_PNS1_23onesweep_lookback_stateEbbT6_jjT7_P12ihipStream_tbENKUlT_T0_SG_SL_E_clISA_SA_SB_SB_EEDaSZ_S10_SG_SL_EUlSZ_E_NS1_11comp_targetILNS1_3genE5ELNS1_11target_archE942ELNS1_3gpuE9ELNS1_3repE0EEENS1_47radix_sort_onesweep_sort_config_static_selectorELNS0_4arch9wavefront6targetE0EEEvSG_,@function
_ZN7rocprim17ROCPRIM_400000_NS6detail17trampoline_kernelINS0_14default_configENS1_35radix_sort_onesweep_config_selectorImNS0_10empty_typeEEEZZNS1_29radix_sort_onesweep_iterationIS3_Lb0EPKmPmPS5_SB_mNS0_19identity_decomposerENS1_16block_id_wrapperIjLb1EEEEE10hipError_tT1_PNSt15iterator_traitsISG_E10value_typeET2_T3_PNSH_ISM_E10value_typeET4_T5_PSR_SS_PNS1_23onesweep_lookback_stateEbbT6_jjT7_P12ihipStream_tbENKUlT_T0_SG_SL_E_clISA_SA_SB_SB_EEDaSZ_S10_SG_SL_EUlSZ_E_NS1_11comp_targetILNS1_3genE5ELNS1_11target_archE942ELNS1_3gpuE9ELNS1_3repE0EEENS1_47radix_sort_onesweep_sort_config_static_selectorELNS0_4arch9wavefront6targetE0EEEvSG_: ; @_ZN7rocprim17ROCPRIM_400000_NS6detail17trampoline_kernelINS0_14default_configENS1_35radix_sort_onesweep_config_selectorImNS0_10empty_typeEEEZZNS1_29radix_sort_onesweep_iterationIS3_Lb0EPKmPmPS5_SB_mNS0_19identity_decomposerENS1_16block_id_wrapperIjLb1EEEEE10hipError_tT1_PNSt15iterator_traitsISG_E10value_typeET2_T3_PNSH_ISM_E10value_typeET4_T5_PSR_SS_PNS1_23onesweep_lookback_stateEbbT6_jjT7_P12ihipStream_tbENKUlT_T0_SG_SL_E_clISA_SA_SB_SB_EEDaSZ_S10_SG_SL_EUlSZ_E_NS1_11comp_targetILNS1_3genE5ELNS1_11target_archE942ELNS1_3gpuE9ELNS1_3repE0EEENS1_47radix_sort_onesweep_sort_config_static_selectorELNS0_4arch9wavefront6targetE0EEEvSG_
; %bb.0:
	.section	.rodata,"a",@progbits
	.p2align	6, 0x0
	.amdhsa_kernel _ZN7rocprim17ROCPRIM_400000_NS6detail17trampoline_kernelINS0_14default_configENS1_35radix_sort_onesweep_config_selectorImNS0_10empty_typeEEEZZNS1_29radix_sort_onesweep_iterationIS3_Lb0EPKmPmPS5_SB_mNS0_19identity_decomposerENS1_16block_id_wrapperIjLb1EEEEE10hipError_tT1_PNSt15iterator_traitsISG_E10value_typeET2_T3_PNSH_ISM_E10value_typeET4_T5_PSR_SS_PNS1_23onesweep_lookback_stateEbbT6_jjT7_P12ihipStream_tbENKUlT_T0_SG_SL_E_clISA_SA_SB_SB_EEDaSZ_S10_SG_SL_EUlSZ_E_NS1_11comp_targetILNS1_3genE5ELNS1_11target_archE942ELNS1_3gpuE9ELNS1_3repE0EEENS1_47radix_sort_onesweep_sort_config_static_selectorELNS0_4arch9wavefront6targetE0EEEvSG_
		.amdhsa_group_segment_fixed_size 0
		.amdhsa_private_segment_fixed_size 0
		.amdhsa_kernarg_size 88
		.amdhsa_user_sgpr_count 2
		.amdhsa_user_sgpr_dispatch_ptr 0
		.amdhsa_user_sgpr_queue_ptr 0
		.amdhsa_user_sgpr_kernarg_segment_ptr 1
		.amdhsa_user_sgpr_dispatch_id 0
		.amdhsa_user_sgpr_kernarg_preload_length 0
		.amdhsa_user_sgpr_kernarg_preload_offset 0
		.amdhsa_user_sgpr_private_segment_size 0
		.amdhsa_wavefront_size32 1
		.amdhsa_uses_dynamic_stack 0
		.amdhsa_enable_private_segment 0
		.amdhsa_system_sgpr_workgroup_id_x 1
		.amdhsa_system_sgpr_workgroup_id_y 0
		.amdhsa_system_sgpr_workgroup_id_z 0
		.amdhsa_system_sgpr_workgroup_info 0
		.amdhsa_system_vgpr_workitem_id 0
		.amdhsa_next_free_vgpr 1
		.amdhsa_next_free_sgpr 1
		.amdhsa_named_barrier_count 0
		.amdhsa_reserve_vcc 0
		.amdhsa_float_round_mode_32 0
		.amdhsa_float_round_mode_16_64 0
		.amdhsa_float_denorm_mode_32 3
		.amdhsa_float_denorm_mode_16_64 3
		.amdhsa_fp16_overflow 0
		.amdhsa_memory_ordered 1
		.amdhsa_forward_progress 1
		.amdhsa_inst_pref_size 0
		.amdhsa_round_robin_scheduling 0
		.amdhsa_exception_fp_ieee_invalid_op 0
		.amdhsa_exception_fp_denorm_src 0
		.amdhsa_exception_fp_ieee_div_zero 0
		.amdhsa_exception_fp_ieee_overflow 0
		.amdhsa_exception_fp_ieee_underflow 0
		.amdhsa_exception_fp_ieee_inexact 0
		.amdhsa_exception_int_div_zero 0
	.end_amdhsa_kernel
	.section	.text._ZN7rocprim17ROCPRIM_400000_NS6detail17trampoline_kernelINS0_14default_configENS1_35radix_sort_onesweep_config_selectorImNS0_10empty_typeEEEZZNS1_29radix_sort_onesweep_iterationIS3_Lb0EPKmPmPS5_SB_mNS0_19identity_decomposerENS1_16block_id_wrapperIjLb1EEEEE10hipError_tT1_PNSt15iterator_traitsISG_E10value_typeET2_T3_PNSH_ISM_E10value_typeET4_T5_PSR_SS_PNS1_23onesweep_lookback_stateEbbT6_jjT7_P12ihipStream_tbENKUlT_T0_SG_SL_E_clISA_SA_SB_SB_EEDaSZ_S10_SG_SL_EUlSZ_E_NS1_11comp_targetILNS1_3genE5ELNS1_11target_archE942ELNS1_3gpuE9ELNS1_3repE0EEENS1_47radix_sort_onesweep_sort_config_static_selectorELNS0_4arch9wavefront6targetE0EEEvSG_,"axG",@progbits,_ZN7rocprim17ROCPRIM_400000_NS6detail17trampoline_kernelINS0_14default_configENS1_35radix_sort_onesweep_config_selectorImNS0_10empty_typeEEEZZNS1_29radix_sort_onesweep_iterationIS3_Lb0EPKmPmPS5_SB_mNS0_19identity_decomposerENS1_16block_id_wrapperIjLb1EEEEE10hipError_tT1_PNSt15iterator_traitsISG_E10value_typeET2_T3_PNSH_ISM_E10value_typeET4_T5_PSR_SS_PNS1_23onesweep_lookback_stateEbbT6_jjT7_P12ihipStream_tbENKUlT_T0_SG_SL_E_clISA_SA_SB_SB_EEDaSZ_S10_SG_SL_EUlSZ_E_NS1_11comp_targetILNS1_3genE5ELNS1_11target_archE942ELNS1_3gpuE9ELNS1_3repE0EEENS1_47radix_sort_onesweep_sort_config_static_selectorELNS0_4arch9wavefront6targetE0EEEvSG_,comdat
.Lfunc_end3002:
	.size	_ZN7rocprim17ROCPRIM_400000_NS6detail17trampoline_kernelINS0_14default_configENS1_35radix_sort_onesweep_config_selectorImNS0_10empty_typeEEEZZNS1_29radix_sort_onesweep_iterationIS3_Lb0EPKmPmPS5_SB_mNS0_19identity_decomposerENS1_16block_id_wrapperIjLb1EEEEE10hipError_tT1_PNSt15iterator_traitsISG_E10value_typeET2_T3_PNSH_ISM_E10value_typeET4_T5_PSR_SS_PNS1_23onesweep_lookback_stateEbbT6_jjT7_P12ihipStream_tbENKUlT_T0_SG_SL_E_clISA_SA_SB_SB_EEDaSZ_S10_SG_SL_EUlSZ_E_NS1_11comp_targetILNS1_3genE5ELNS1_11target_archE942ELNS1_3gpuE9ELNS1_3repE0EEENS1_47radix_sort_onesweep_sort_config_static_selectorELNS0_4arch9wavefront6targetE0EEEvSG_, .Lfunc_end3002-_ZN7rocprim17ROCPRIM_400000_NS6detail17trampoline_kernelINS0_14default_configENS1_35radix_sort_onesweep_config_selectorImNS0_10empty_typeEEEZZNS1_29radix_sort_onesweep_iterationIS3_Lb0EPKmPmPS5_SB_mNS0_19identity_decomposerENS1_16block_id_wrapperIjLb1EEEEE10hipError_tT1_PNSt15iterator_traitsISG_E10value_typeET2_T3_PNSH_ISM_E10value_typeET4_T5_PSR_SS_PNS1_23onesweep_lookback_stateEbbT6_jjT7_P12ihipStream_tbENKUlT_T0_SG_SL_E_clISA_SA_SB_SB_EEDaSZ_S10_SG_SL_EUlSZ_E_NS1_11comp_targetILNS1_3genE5ELNS1_11target_archE942ELNS1_3gpuE9ELNS1_3repE0EEENS1_47radix_sort_onesweep_sort_config_static_selectorELNS0_4arch9wavefront6targetE0EEEvSG_
                                        ; -- End function
	.set _ZN7rocprim17ROCPRIM_400000_NS6detail17trampoline_kernelINS0_14default_configENS1_35radix_sort_onesweep_config_selectorImNS0_10empty_typeEEEZZNS1_29radix_sort_onesweep_iterationIS3_Lb0EPKmPmPS5_SB_mNS0_19identity_decomposerENS1_16block_id_wrapperIjLb1EEEEE10hipError_tT1_PNSt15iterator_traitsISG_E10value_typeET2_T3_PNSH_ISM_E10value_typeET4_T5_PSR_SS_PNS1_23onesweep_lookback_stateEbbT6_jjT7_P12ihipStream_tbENKUlT_T0_SG_SL_E_clISA_SA_SB_SB_EEDaSZ_S10_SG_SL_EUlSZ_E_NS1_11comp_targetILNS1_3genE5ELNS1_11target_archE942ELNS1_3gpuE9ELNS1_3repE0EEENS1_47radix_sort_onesweep_sort_config_static_selectorELNS0_4arch9wavefront6targetE0EEEvSG_.num_vgpr, 0
	.set _ZN7rocprim17ROCPRIM_400000_NS6detail17trampoline_kernelINS0_14default_configENS1_35radix_sort_onesweep_config_selectorImNS0_10empty_typeEEEZZNS1_29radix_sort_onesweep_iterationIS3_Lb0EPKmPmPS5_SB_mNS0_19identity_decomposerENS1_16block_id_wrapperIjLb1EEEEE10hipError_tT1_PNSt15iterator_traitsISG_E10value_typeET2_T3_PNSH_ISM_E10value_typeET4_T5_PSR_SS_PNS1_23onesweep_lookback_stateEbbT6_jjT7_P12ihipStream_tbENKUlT_T0_SG_SL_E_clISA_SA_SB_SB_EEDaSZ_S10_SG_SL_EUlSZ_E_NS1_11comp_targetILNS1_3genE5ELNS1_11target_archE942ELNS1_3gpuE9ELNS1_3repE0EEENS1_47radix_sort_onesweep_sort_config_static_selectorELNS0_4arch9wavefront6targetE0EEEvSG_.num_agpr, 0
	.set _ZN7rocprim17ROCPRIM_400000_NS6detail17trampoline_kernelINS0_14default_configENS1_35radix_sort_onesweep_config_selectorImNS0_10empty_typeEEEZZNS1_29radix_sort_onesweep_iterationIS3_Lb0EPKmPmPS5_SB_mNS0_19identity_decomposerENS1_16block_id_wrapperIjLb1EEEEE10hipError_tT1_PNSt15iterator_traitsISG_E10value_typeET2_T3_PNSH_ISM_E10value_typeET4_T5_PSR_SS_PNS1_23onesweep_lookback_stateEbbT6_jjT7_P12ihipStream_tbENKUlT_T0_SG_SL_E_clISA_SA_SB_SB_EEDaSZ_S10_SG_SL_EUlSZ_E_NS1_11comp_targetILNS1_3genE5ELNS1_11target_archE942ELNS1_3gpuE9ELNS1_3repE0EEENS1_47radix_sort_onesweep_sort_config_static_selectorELNS0_4arch9wavefront6targetE0EEEvSG_.numbered_sgpr, 0
	.set _ZN7rocprim17ROCPRIM_400000_NS6detail17trampoline_kernelINS0_14default_configENS1_35radix_sort_onesweep_config_selectorImNS0_10empty_typeEEEZZNS1_29radix_sort_onesweep_iterationIS3_Lb0EPKmPmPS5_SB_mNS0_19identity_decomposerENS1_16block_id_wrapperIjLb1EEEEE10hipError_tT1_PNSt15iterator_traitsISG_E10value_typeET2_T3_PNSH_ISM_E10value_typeET4_T5_PSR_SS_PNS1_23onesweep_lookback_stateEbbT6_jjT7_P12ihipStream_tbENKUlT_T0_SG_SL_E_clISA_SA_SB_SB_EEDaSZ_S10_SG_SL_EUlSZ_E_NS1_11comp_targetILNS1_3genE5ELNS1_11target_archE942ELNS1_3gpuE9ELNS1_3repE0EEENS1_47radix_sort_onesweep_sort_config_static_selectorELNS0_4arch9wavefront6targetE0EEEvSG_.num_named_barrier, 0
	.set _ZN7rocprim17ROCPRIM_400000_NS6detail17trampoline_kernelINS0_14default_configENS1_35radix_sort_onesweep_config_selectorImNS0_10empty_typeEEEZZNS1_29radix_sort_onesweep_iterationIS3_Lb0EPKmPmPS5_SB_mNS0_19identity_decomposerENS1_16block_id_wrapperIjLb1EEEEE10hipError_tT1_PNSt15iterator_traitsISG_E10value_typeET2_T3_PNSH_ISM_E10value_typeET4_T5_PSR_SS_PNS1_23onesweep_lookback_stateEbbT6_jjT7_P12ihipStream_tbENKUlT_T0_SG_SL_E_clISA_SA_SB_SB_EEDaSZ_S10_SG_SL_EUlSZ_E_NS1_11comp_targetILNS1_3genE5ELNS1_11target_archE942ELNS1_3gpuE9ELNS1_3repE0EEENS1_47radix_sort_onesweep_sort_config_static_selectorELNS0_4arch9wavefront6targetE0EEEvSG_.private_seg_size, 0
	.set _ZN7rocprim17ROCPRIM_400000_NS6detail17trampoline_kernelINS0_14default_configENS1_35radix_sort_onesweep_config_selectorImNS0_10empty_typeEEEZZNS1_29radix_sort_onesweep_iterationIS3_Lb0EPKmPmPS5_SB_mNS0_19identity_decomposerENS1_16block_id_wrapperIjLb1EEEEE10hipError_tT1_PNSt15iterator_traitsISG_E10value_typeET2_T3_PNSH_ISM_E10value_typeET4_T5_PSR_SS_PNS1_23onesweep_lookback_stateEbbT6_jjT7_P12ihipStream_tbENKUlT_T0_SG_SL_E_clISA_SA_SB_SB_EEDaSZ_S10_SG_SL_EUlSZ_E_NS1_11comp_targetILNS1_3genE5ELNS1_11target_archE942ELNS1_3gpuE9ELNS1_3repE0EEENS1_47radix_sort_onesweep_sort_config_static_selectorELNS0_4arch9wavefront6targetE0EEEvSG_.uses_vcc, 0
	.set _ZN7rocprim17ROCPRIM_400000_NS6detail17trampoline_kernelINS0_14default_configENS1_35radix_sort_onesweep_config_selectorImNS0_10empty_typeEEEZZNS1_29radix_sort_onesweep_iterationIS3_Lb0EPKmPmPS5_SB_mNS0_19identity_decomposerENS1_16block_id_wrapperIjLb1EEEEE10hipError_tT1_PNSt15iterator_traitsISG_E10value_typeET2_T3_PNSH_ISM_E10value_typeET4_T5_PSR_SS_PNS1_23onesweep_lookback_stateEbbT6_jjT7_P12ihipStream_tbENKUlT_T0_SG_SL_E_clISA_SA_SB_SB_EEDaSZ_S10_SG_SL_EUlSZ_E_NS1_11comp_targetILNS1_3genE5ELNS1_11target_archE942ELNS1_3gpuE9ELNS1_3repE0EEENS1_47radix_sort_onesweep_sort_config_static_selectorELNS0_4arch9wavefront6targetE0EEEvSG_.uses_flat_scratch, 0
	.set _ZN7rocprim17ROCPRIM_400000_NS6detail17trampoline_kernelINS0_14default_configENS1_35radix_sort_onesweep_config_selectorImNS0_10empty_typeEEEZZNS1_29radix_sort_onesweep_iterationIS3_Lb0EPKmPmPS5_SB_mNS0_19identity_decomposerENS1_16block_id_wrapperIjLb1EEEEE10hipError_tT1_PNSt15iterator_traitsISG_E10value_typeET2_T3_PNSH_ISM_E10value_typeET4_T5_PSR_SS_PNS1_23onesweep_lookback_stateEbbT6_jjT7_P12ihipStream_tbENKUlT_T0_SG_SL_E_clISA_SA_SB_SB_EEDaSZ_S10_SG_SL_EUlSZ_E_NS1_11comp_targetILNS1_3genE5ELNS1_11target_archE942ELNS1_3gpuE9ELNS1_3repE0EEENS1_47radix_sort_onesweep_sort_config_static_selectorELNS0_4arch9wavefront6targetE0EEEvSG_.has_dyn_sized_stack, 0
	.set _ZN7rocprim17ROCPRIM_400000_NS6detail17trampoline_kernelINS0_14default_configENS1_35radix_sort_onesweep_config_selectorImNS0_10empty_typeEEEZZNS1_29radix_sort_onesweep_iterationIS3_Lb0EPKmPmPS5_SB_mNS0_19identity_decomposerENS1_16block_id_wrapperIjLb1EEEEE10hipError_tT1_PNSt15iterator_traitsISG_E10value_typeET2_T3_PNSH_ISM_E10value_typeET4_T5_PSR_SS_PNS1_23onesweep_lookback_stateEbbT6_jjT7_P12ihipStream_tbENKUlT_T0_SG_SL_E_clISA_SA_SB_SB_EEDaSZ_S10_SG_SL_EUlSZ_E_NS1_11comp_targetILNS1_3genE5ELNS1_11target_archE942ELNS1_3gpuE9ELNS1_3repE0EEENS1_47radix_sort_onesweep_sort_config_static_selectorELNS0_4arch9wavefront6targetE0EEEvSG_.has_recursion, 0
	.set _ZN7rocprim17ROCPRIM_400000_NS6detail17trampoline_kernelINS0_14default_configENS1_35radix_sort_onesweep_config_selectorImNS0_10empty_typeEEEZZNS1_29radix_sort_onesweep_iterationIS3_Lb0EPKmPmPS5_SB_mNS0_19identity_decomposerENS1_16block_id_wrapperIjLb1EEEEE10hipError_tT1_PNSt15iterator_traitsISG_E10value_typeET2_T3_PNSH_ISM_E10value_typeET4_T5_PSR_SS_PNS1_23onesweep_lookback_stateEbbT6_jjT7_P12ihipStream_tbENKUlT_T0_SG_SL_E_clISA_SA_SB_SB_EEDaSZ_S10_SG_SL_EUlSZ_E_NS1_11comp_targetILNS1_3genE5ELNS1_11target_archE942ELNS1_3gpuE9ELNS1_3repE0EEENS1_47radix_sort_onesweep_sort_config_static_selectorELNS0_4arch9wavefront6targetE0EEEvSG_.has_indirect_call, 0
	.section	.AMDGPU.csdata,"",@progbits
; Kernel info:
; codeLenInByte = 0
; TotalNumSgprs: 0
; NumVgprs: 0
; ScratchSize: 0
; MemoryBound: 0
; FloatMode: 240
; IeeeMode: 1
; LDSByteSize: 0 bytes/workgroup (compile time only)
; SGPRBlocks: 0
; VGPRBlocks: 0
; NumSGPRsForWavesPerEU: 1
; NumVGPRsForWavesPerEU: 1
; NamedBarCnt: 0
; Occupancy: 16
; WaveLimiterHint : 0
; COMPUTE_PGM_RSRC2:SCRATCH_EN: 0
; COMPUTE_PGM_RSRC2:USER_SGPR: 2
; COMPUTE_PGM_RSRC2:TRAP_HANDLER: 0
; COMPUTE_PGM_RSRC2:TGID_X_EN: 1
; COMPUTE_PGM_RSRC2:TGID_Y_EN: 0
; COMPUTE_PGM_RSRC2:TGID_Z_EN: 0
; COMPUTE_PGM_RSRC2:TIDIG_COMP_CNT: 0
	.section	.text._ZN7rocprim17ROCPRIM_400000_NS6detail17trampoline_kernelINS0_14default_configENS1_35radix_sort_onesweep_config_selectorImNS0_10empty_typeEEEZZNS1_29radix_sort_onesweep_iterationIS3_Lb0EPKmPmPS5_SB_mNS0_19identity_decomposerENS1_16block_id_wrapperIjLb1EEEEE10hipError_tT1_PNSt15iterator_traitsISG_E10value_typeET2_T3_PNSH_ISM_E10value_typeET4_T5_PSR_SS_PNS1_23onesweep_lookback_stateEbbT6_jjT7_P12ihipStream_tbENKUlT_T0_SG_SL_E_clISA_SA_SB_SB_EEDaSZ_S10_SG_SL_EUlSZ_E_NS1_11comp_targetILNS1_3genE2ELNS1_11target_archE906ELNS1_3gpuE6ELNS1_3repE0EEENS1_47radix_sort_onesweep_sort_config_static_selectorELNS0_4arch9wavefront6targetE0EEEvSG_,"axG",@progbits,_ZN7rocprim17ROCPRIM_400000_NS6detail17trampoline_kernelINS0_14default_configENS1_35radix_sort_onesweep_config_selectorImNS0_10empty_typeEEEZZNS1_29radix_sort_onesweep_iterationIS3_Lb0EPKmPmPS5_SB_mNS0_19identity_decomposerENS1_16block_id_wrapperIjLb1EEEEE10hipError_tT1_PNSt15iterator_traitsISG_E10value_typeET2_T3_PNSH_ISM_E10value_typeET4_T5_PSR_SS_PNS1_23onesweep_lookback_stateEbbT6_jjT7_P12ihipStream_tbENKUlT_T0_SG_SL_E_clISA_SA_SB_SB_EEDaSZ_S10_SG_SL_EUlSZ_E_NS1_11comp_targetILNS1_3genE2ELNS1_11target_archE906ELNS1_3gpuE6ELNS1_3repE0EEENS1_47radix_sort_onesweep_sort_config_static_selectorELNS0_4arch9wavefront6targetE0EEEvSG_,comdat
	.protected	_ZN7rocprim17ROCPRIM_400000_NS6detail17trampoline_kernelINS0_14default_configENS1_35radix_sort_onesweep_config_selectorImNS0_10empty_typeEEEZZNS1_29radix_sort_onesweep_iterationIS3_Lb0EPKmPmPS5_SB_mNS0_19identity_decomposerENS1_16block_id_wrapperIjLb1EEEEE10hipError_tT1_PNSt15iterator_traitsISG_E10value_typeET2_T3_PNSH_ISM_E10value_typeET4_T5_PSR_SS_PNS1_23onesweep_lookback_stateEbbT6_jjT7_P12ihipStream_tbENKUlT_T0_SG_SL_E_clISA_SA_SB_SB_EEDaSZ_S10_SG_SL_EUlSZ_E_NS1_11comp_targetILNS1_3genE2ELNS1_11target_archE906ELNS1_3gpuE6ELNS1_3repE0EEENS1_47radix_sort_onesweep_sort_config_static_selectorELNS0_4arch9wavefront6targetE0EEEvSG_ ; -- Begin function _ZN7rocprim17ROCPRIM_400000_NS6detail17trampoline_kernelINS0_14default_configENS1_35radix_sort_onesweep_config_selectorImNS0_10empty_typeEEEZZNS1_29radix_sort_onesweep_iterationIS3_Lb0EPKmPmPS5_SB_mNS0_19identity_decomposerENS1_16block_id_wrapperIjLb1EEEEE10hipError_tT1_PNSt15iterator_traitsISG_E10value_typeET2_T3_PNSH_ISM_E10value_typeET4_T5_PSR_SS_PNS1_23onesweep_lookback_stateEbbT6_jjT7_P12ihipStream_tbENKUlT_T0_SG_SL_E_clISA_SA_SB_SB_EEDaSZ_S10_SG_SL_EUlSZ_E_NS1_11comp_targetILNS1_3genE2ELNS1_11target_archE906ELNS1_3gpuE6ELNS1_3repE0EEENS1_47radix_sort_onesweep_sort_config_static_selectorELNS0_4arch9wavefront6targetE0EEEvSG_
	.globl	_ZN7rocprim17ROCPRIM_400000_NS6detail17trampoline_kernelINS0_14default_configENS1_35radix_sort_onesweep_config_selectorImNS0_10empty_typeEEEZZNS1_29radix_sort_onesweep_iterationIS3_Lb0EPKmPmPS5_SB_mNS0_19identity_decomposerENS1_16block_id_wrapperIjLb1EEEEE10hipError_tT1_PNSt15iterator_traitsISG_E10value_typeET2_T3_PNSH_ISM_E10value_typeET4_T5_PSR_SS_PNS1_23onesweep_lookback_stateEbbT6_jjT7_P12ihipStream_tbENKUlT_T0_SG_SL_E_clISA_SA_SB_SB_EEDaSZ_S10_SG_SL_EUlSZ_E_NS1_11comp_targetILNS1_3genE2ELNS1_11target_archE906ELNS1_3gpuE6ELNS1_3repE0EEENS1_47radix_sort_onesweep_sort_config_static_selectorELNS0_4arch9wavefront6targetE0EEEvSG_
	.p2align	8
	.type	_ZN7rocprim17ROCPRIM_400000_NS6detail17trampoline_kernelINS0_14default_configENS1_35radix_sort_onesweep_config_selectorImNS0_10empty_typeEEEZZNS1_29radix_sort_onesweep_iterationIS3_Lb0EPKmPmPS5_SB_mNS0_19identity_decomposerENS1_16block_id_wrapperIjLb1EEEEE10hipError_tT1_PNSt15iterator_traitsISG_E10value_typeET2_T3_PNSH_ISM_E10value_typeET4_T5_PSR_SS_PNS1_23onesweep_lookback_stateEbbT6_jjT7_P12ihipStream_tbENKUlT_T0_SG_SL_E_clISA_SA_SB_SB_EEDaSZ_S10_SG_SL_EUlSZ_E_NS1_11comp_targetILNS1_3genE2ELNS1_11target_archE906ELNS1_3gpuE6ELNS1_3repE0EEENS1_47radix_sort_onesweep_sort_config_static_selectorELNS0_4arch9wavefront6targetE0EEEvSG_,@function
_ZN7rocprim17ROCPRIM_400000_NS6detail17trampoline_kernelINS0_14default_configENS1_35radix_sort_onesweep_config_selectorImNS0_10empty_typeEEEZZNS1_29radix_sort_onesweep_iterationIS3_Lb0EPKmPmPS5_SB_mNS0_19identity_decomposerENS1_16block_id_wrapperIjLb1EEEEE10hipError_tT1_PNSt15iterator_traitsISG_E10value_typeET2_T3_PNSH_ISM_E10value_typeET4_T5_PSR_SS_PNS1_23onesweep_lookback_stateEbbT6_jjT7_P12ihipStream_tbENKUlT_T0_SG_SL_E_clISA_SA_SB_SB_EEDaSZ_S10_SG_SL_EUlSZ_E_NS1_11comp_targetILNS1_3genE2ELNS1_11target_archE906ELNS1_3gpuE6ELNS1_3repE0EEENS1_47radix_sort_onesweep_sort_config_static_selectorELNS0_4arch9wavefront6targetE0EEEvSG_: ; @_ZN7rocprim17ROCPRIM_400000_NS6detail17trampoline_kernelINS0_14default_configENS1_35radix_sort_onesweep_config_selectorImNS0_10empty_typeEEEZZNS1_29radix_sort_onesweep_iterationIS3_Lb0EPKmPmPS5_SB_mNS0_19identity_decomposerENS1_16block_id_wrapperIjLb1EEEEE10hipError_tT1_PNSt15iterator_traitsISG_E10value_typeET2_T3_PNSH_ISM_E10value_typeET4_T5_PSR_SS_PNS1_23onesweep_lookback_stateEbbT6_jjT7_P12ihipStream_tbENKUlT_T0_SG_SL_E_clISA_SA_SB_SB_EEDaSZ_S10_SG_SL_EUlSZ_E_NS1_11comp_targetILNS1_3genE2ELNS1_11target_archE906ELNS1_3gpuE6ELNS1_3repE0EEENS1_47radix_sort_onesweep_sort_config_static_selectorELNS0_4arch9wavefront6targetE0EEEvSG_
; %bb.0:
	.section	.rodata,"a",@progbits
	.p2align	6, 0x0
	.amdhsa_kernel _ZN7rocprim17ROCPRIM_400000_NS6detail17trampoline_kernelINS0_14default_configENS1_35radix_sort_onesweep_config_selectorImNS0_10empty_typeEEEZZNS1_29radix_sort_onesweep_iterationIS3_Lb0EPKmPmPS5_SB_mNS0_19identity_decomposerENS1_16block_id_wrapperIjLb1EEEEE10hipError_tT1_PNSt15iterator_traitsISG_E10value_typeET2_T3_PNSH_ISM_E10value_typeET4_T5_PSR_SS_PNS1_23onesweep_lookback_stateEbbT6_jjT7_P12ihipStream_tbENKUlT_T0_SG_SL_E_clISA_SA_SB_SB_EEDaSZ_S10_SG_SL_EUlSZ_E_NS1_11comp_targetILNS1_3genE2ELNS1_11target_archE906ELNS1_3gpuE6ELNS1_3repE0EEENS1_47radix_sort_onesweep_sort_config_static_selectorELNS0_4arch9wavefront6targetE0EEEvSG_
		.amdhsa_group_segment_fixed_size 0
		.amdhsa_private_segment_fixed_size 0
		.amdhsa_kernarg_size 88
		.amdhsa_user_sgpr_count 2
		.amdhsa_user_sgpr_dispatch_ptr 0
		.amdhsa_user_sgpr_queue_ptr 0
		.amdhsa_user_sgpr_kernarg_segment_ptr 1
		.amdhsa_user_sgpr_dispatch_id 0
		.amdhsa_user_sgpr_kernarg_preload_length 0
		.amdhsa_user_sgpr_kernarg_preload_offset 0
		.amdhsa_user_sgpr_private_segment_size 0
		.amdhsa_wavefront_size32 1
		.amdhsa_uses_dynamic_stack 0
		.amdhsa_enable_private_segment 0
		.amdhsa_system_sgpr_workgroup_id_x 1
		.amdhsa_system_sgpr_workgroup_id_y 0
		.amdhsa_system_sgpr_workgroup_id_z 0
		.amdhsa_system_sgpr_workgroup_info 0
		.amdhsa_system_vgpr_workitem_id 0
		.amdhsa_next_free_vgpr 1
		.amdhsa_next_free_sgpr 1
		.amdhsa_named_barrier_count 0
		.amdhsa_reserve_vcc 0
		.amdhsa_float_round_mode_32 0
		.amdhsa_float_round_mode_16_64 0
		.amdhsa_float_denorm_mode_32 3
		.amdhsa_float_denorm_mode_16_64 3
		.amdhsa_fp16_overflow 0
		.amdhsa_memory_ordered 1
		.amdhsa_forward_progress 1
		.amdhsa_inst_pref_size 0
		.amdhsa_round_robin_scheduling 0
		.amdhsa_exception_fp_ieee_invalid_op 0
		.amdhsa_exception_fp_denorm_src 0
		.amdhsa_exception_fp_ieee_div_zero 0
		.amdhsa_exception_fp_ieee_overflow 0
		.amdhsa_exception_fp_ieee_underflow 0
		.amdhsa_exception_fp_ieee_inexact 0
		.amdhsa_exception_int_div_zero 0
	.end_amdhsa_kernel
	.section	.text._ZN7rocprim17ROCPRIM_400000_NS6detail17trampoline_kernelINS0_14default_configENS1_35radix_sort_onesweep_config_selectorImNS0_10empty_typeEEEZZNS1_29radix_sort_onesweep_iterationIS3_Lb0EPKmPmPS5_SB_mNS0_19identity_decomposerENS1_16block_id_wrapperIjLb1EEEEE10hipError_tT1_PNSt15iterator_traitsISG_E10value_typeET2_T3_PNSH_ISM_E10value_typeET4_T5_PSR_SS_PNS1_23onesweep_lookback_stateEbbT6_jjT7_P12ihipStream_tbENKUlT_T0_SG_SL_E_clISA_SA_SB_SB_EEDaSZ_S10_SG_SL_EUlSZ_E_NS1_11comp_targetILNS1_3genE2ELNS1_11target_archE906ELNS1_3gpuE6ELNS1_3repE0EEENS1_47radix_sort_onesweep_sort_config_static_selectorELNS0_4arch9wavefront6targetE0EEEvSG_,"axG",@progbits,_ZN7rocprim17ROCPRIM_400000_NS6detail17trampoline_kernelINS0_14default_configENS1_35radix_sort_onesweep_config_selectorImNS0_10empty_typeEEEZZNS1_29radix_sort_onesweep_iterationIS3_Lb0EPKmPmPS5_SB_mNS0_19identity_decomposerENS1_16block_id_wrapperIjLb1EEEEE10hipError_tT1_PNSt15iterator_traitsISG_E10value_typeET2_T3_PNSH_ISM_E10value_typeET4_T5_PSR_SS_PNS1_23onesweep_lookback_stateEbbT6_jjT7_P12ihipStream_tbENKUlT_T0_SG_SL_E_clISA_SA_SB_SB_EEDaSZ_S10_SG_SL_EUlSZ_E_NS1_11comp_targetILNS1_3genE2ELNS1_11target_archE906ELNS1_3gpuE6ELNS1_3repE0EEENS1_47radix_sort_onesweep_sort_config_static_selectorELNS0_4arch9wavefront6targetE0EEEvSG_,comdat
.Lfunc_end3003:
	.size	_ZN7rocprim17ROCPRIM_400000_NS6detail17trampoline_kernelINS0_14default_configENS1_35radix_sort_onesweep_config_selectorImNS0_10empty_typeEEEZZNS1_29radix_sort_onesweep_iterationIS3_Lb0EPKmPmPS5_SB_mNS0_19identity_decomposerENS1_16block_id_wrapperIjLb1EEEEE10hipError_tT1_PNSt15iterator_traitsISG_E10value_typeET2_T3_PNSH_ISM_E10value_typeET4_T5_PSR_SS_PNS1_23onesweep_lookback_stateEbbT6_jjT7_P12ihipStream_tbENKUlT_T0_SG_SL_E_clISA_SA_SB_SB_EEDaSZ_S10_SG_SL_EUlSZ_E_NS1_11comp_targetILNS1_3genE2ELNS1_11target_archE906ELNS1_3gpuE6ELNS1_3repE0EEENS1_47radix_sort_onesweep_sort_config_static_selectorELNS0_4arch9wavefront6targetE0EEEvSG_, .Lfunc_end3003-_ZN7rocprim17ROCPRIM_400000_NS6detail17trampoline_kernelINS0_14default_configENS1_35radix_sort_onesweep_config_selectorImNS0_10empty_typeEEEZZNS1_29radix_sort_onesweep_iterationIS3_Lb0EPKmPmPS5_SB_mNS0_19identity_decomposerENS1_16block_id_wrapperIjLb1EEEEE10hipError_tT1_PNSt15iterator_traitsISG_E10value_typeET2_T3_PNSH_ISM_E10value_typeET4_T5_PSR_SS_PNS1_23onesweep_lookback_stateEbbT6_jjT7_P12ihipStream_tbENKUlT_T0_SG_SL_E_clISA_SA_SB_SB_EEDaSZ_S10_SG_SL_EUlSZ_E_NS1_11comp_targetILNS1_3genE2ELNS1_11target_archE906ELNS1_3gpuE6ELNS1_3repE0EEENS1_47radix_sort_onesweep_sort_config_static_selectorELNS0_4arch9wavefront6targetE0EEEvSG_
                                        ; -- End function
	.set _ZN7rocprim17ROCPRIM_400000_NS6detail17trampoline_kernelINS0_14default_configENS1_35radix_sort_onesweep_config_selectorImNS0_10empty_typeEEEZZNS1_29radix_sort_onesweep_iterationIS3_Lb0EPKmPmPS5_SB_mNS0_19identity_decomposerENS1_16block_id_wrapperIjLb1EEEEE10hipError_tT1_PNSt15iterator_traitsISG_E10value_typeET2_T3_PNSH_ISM_E10value_typeET4_T5_PSR_SS_PNS1_23onesweep_lookback_stateEbbT6_jjT7_P12ihipStream_tbENKUlT_T0_SG_SL_E_clISA_SA_SB_SB_EEDaSZ_S10_SG_SL_EUlSZ_E_NS1_11comp_targetILNS1_3genE2ELNS1_11target_archE906ELNS1_3gpuE6ELNS1_3repE0EEENS1_47radix_sort_onesweep_sort_config_static_selectorELNS0_4arch9wavefront6targetE0EEEvSG_.num_vgpr, 0
	.set _ZN7rocprim17ROCPRIM_400000_NS6detail17trampoline_kernelINS0_14default_configENS1_35radix_sort_onesweep_config_selectorImNS0_10empty_typeEEEZZNS1_29radix_sort_onesweep_iterationIS3_Lb0EPKmPmPS5_SB_mNS0_19identity_decomposerENS1_16block_id_wrapperIjLb1EEEEE10hipError_tT1_PNSt15iterator_traitsISG_E10value_typeET2_T3_PNSH_ISM_E10value_typeET4_T5_PSR_SS_PNS1_23onesweep_lookback_stateEbbT6_jjT7_P12ihipStream_tbENKUlT_T0_SG_SL_E_clISA_SA_SB_SB_EEDaSZ_S10_SG_SL_EUlSZ_E_NS1_11comp_targetILNS1_3genE2ELNS1_11target_archE906ELNS1_3gpuE6ELNS1_3repE0EEENS1_47radix_sort_onesweep_sort_config_static_selectorELNS0_4arch9wavefront6targetE0EEEvSG_.num_agpr, 0
	.set _ZN7rocprim17ROCPRIM_400000_NS6detail17trampoline_kernelINS0_14default_configENS1_35radix_sort_onesweep_config_selectorImNS0_10empty_typeEEEZZNS1_29radix_sort_onesweep_iterationIS3_Lb0EPKmPmPS5_SB_mNS0_19identity_decomposerENS1_16block_id_wrapperIjLb1EEEEE10hipError_tT1_PNSt15iterator_traitsISG_E10value_typeET2_T3_PNSH_ISM_E10value_typeET4_T5_PSR_SS_PNS1_23onesweep_lookback_stateEbbT6_jjT7_P12ihipStream_tbENKUlT_T0_SG_SL_E_clISA_SA_SB_SB_EEDaSZ_S10_SG_SL_EUlSZ_E_NS1_11comp_targetILNS1_3genE2ELNS1_11target_archE906ELNS1_3gpuE6ELNS1_3repE0EEENS1_47radix_sort_onesweep_sort_config_static_selectorELNS0_4arch9wavefront6targetE0EEEvSG_.numbered_sgpr, 0
	.set _ZN7rocprim17ROCPRIM_400000_NS6detail17trampoline_kernelINS0_14default_configENS1_35radix_sort_onesweep_config_selectorImNS0_10empty_typeEEEZZNS1_29radix_sort_onesweep_iterationIS3_Lb0EPKmPmPS5_SB_mNS0_19identity_decomposerENS1_16block_id_wrapperIjLb1EEEEE10hipError_tT1_PNSt15iterator_traitsISG_E10value_typeET2_T3_PNSH_ISM_E10value_typeET4_T5_PSR_SS_PNS1_23onesweep_lookback_stateEbbT6_jjT7_P12ihipStream_tbENKUlT_T0_SG_SL_E_clISA_SA_SB_SB_EEDaSZ_S10_SG_SL_EUlSZ_E_NS1_11comp_targetILNS1_3genE2ELNS1_11target_archE906ELNS1_3gpuE6ELNS1_3repE0EEENS1_47radix_sort_onesweep_sort_config_static_selectorELNS0_4arch9wavefront6targetE0EEEvSG_.num_named_barrier, 0
	.set _ZN7rocprim17ROCPRIM_400000_NS6detail17trampoline_kernelINS0_14default_configENS1_35radix_sort_onesweep_config_selectorImNS0_10empty_typeEEEZZNS1_29radix_sort_onesweep_iterationIS3_Lb0EPKmPmPS5_SB_mNS0_19identity_decomposerENS1_16block_id_wrapperIjLb1EEEEE10hipError_tT1_PNSt15iterator_traitsISG_E10value_typeET2_T3_PNSH_ISM_E10value_typeET4_T5_PSR_SS_PNS1_23onesweep_lookback_stateEbbT6_jjT7_P12ihipStream_tbENKUlT_T0_SG_SL_E_clISA_SA_SB_SB_EEDaSZ_S10_SG_SL_EUlSZ_E_NS1_11comp_targetILNS1_3genE2ELNS1_11target_archE906ELNS1_3gpuE6ELNS1_3repE0EEENS1_47radix_sort_onesweep_sort_config_static_selectorELNS0_4arch9wavefront6targetE0EEEvSG_.private_seg_size, 0
	.set _ZN7rocprim17ROCPRIM_400000_NS6detail17trampoline_kernelINS0_14default_configENS1_35radix_sort_onesweep_config_selectorImNS0_10empty_typeEEEZZNS1_29radix_sort_onesweep_iterationIS3_Lb0EPKmPmPS5_SB_mNS0_19identity_decomposerENS1_16block_id_wrapperIjLb1EEEEE10hipError_tT1_PNSt15iterator_traitsISG_E10value_typeET2_T3_PNSH_ISM_E10value_typeET4_T5_PSR_SS_PNS1_23onesweep_lookback_stateEbbT6_jjT7_P12ihipStream_tbENKUlT_T0_SG_SL_E_clISA_SA_SB_SB_EEDaSZ_S10_SG_SL_EUlSZ_E_NS1_11comp_targetILNS1_3genE2ELNS1_11target_archE906ELNS1_3gpuE6ELNS1_3repE0EEENS1_47radix_sort_onesweep_sort_config_static_selectorELNS0_4arch9wavefront6targetE0EEEvSG_.uses_vcc, 0
	.set _ZN7rocprim17ROCPRIM_400000_NS6detail17trampoline_kernelINS0_14default_configENS1_35radix_sort_onesweep_config_selectorImNS0_10empty_typeEEEZZNS1_29radix_sort_onesweep_iterationIS3_Lb0EPKmPmPS5_SB_mNS0_19identity_decomposerENS1_16block_id_wrapperIjLb1EEEEE10hipError_tT1_PNSt15iterator_traitsISG_E10value_typeET2_T3_PNSH_ISM_E10value_typeET4_T5_PSR_SS_PNS1_23onesweep_lookback_stateEbbT6_jjT7_P12ihipStream_tbENKUlT_T0_SG_SL_E_clISA_SA_SB_SB_EEDaSZ_S10_SG_SL_EUlSZ_E_NS1_11comp_targetILNS1_3genE2ELNS1_11target_archE906ELNS1_3gpuE6ELNS1_3repE0EEENS1_47radix_sort_onesweep_sort_config_static_selectorELNS0_4arch9wavefront6targetE0EEEvSG_.uses_flat_scratch, 0
	.set _ZN7rocprim17ROCPRIM_400000_NS6detail17trampoline_kernelINS0_14default_configENS1_35radix_sort_onesweep_config_selectorImNS0_10empty_typeEEEZZNS1_29radix_sort_onesweep_iterationIS3_Lb0EPKmPmPS5_SB_mNS0_19identity_decomposerENS1_16block_id_wrapperIjLb1EEEEE10hipError_tT1_PNSt15iterator_traitsISG_E10value_typeET2_T3_PNSH_ISM_E10value_typeET4_T5_PSR_SS_PNS1_23onesweep_lookback_stateEbbT6_jjT7_P12ihipStream_tbENKUlT_T0_SG_SL_E_clISA_SA_SB_SB_EEDaSZ_S10_SG_SL_EUlSZ_E_NS1_11comp_targetILNS1_3genE2ELNS1_11target_archE906ELNS1_3gpuE6ELNS1_3repE0EEENS1_47radix_sort_onesweep_sort_config_static_selectorELNS0_4arch9wavefront6targetE0EEEvSG_.has_dyn_sized_stack, 0
	.set _ZN7rocprim17ROCPRIM_400000_NS6detail17trampoline_kernelINS0_14default_configENS1_35radix_sort_onesweep_config_selectorImNS0_10empty_typeEEEZZNS1_29radix_sort_onesweep_iterationIS3_Lb0EPKmPmPS5_SB_mNS0_19identity_decomposerENS1_16block_id_wrapperIjLb1EEEEE10hipError_tT1_PNSt15iterator_traitsISG_E10value_typeET2_T3_PNSH_ISM_E10value_typeET4_T5_PSR_SS_PNS1_23onesweep_lookback_stateEbbT6_jjT7_P12ihipStream_tbENKUlT_T0_SG_SL_E_clISA_SA_SB_SB_EEDaSZ_S10_SG_SL_EUlSZ_E_NS1_11comp_targetILNS1_3genE2ELNS1_11target_archE906ELNS1_3gpuE6ELNS1_3repE0EEENS1_47radix_sort_onesweep_sort_config_static_selectorELNS0_4arch9wavefront6targetE0EEEvSG_.has_recursion, 0
	.set _ZN7rocprim17ROCPRIM_400000_NS6detail17trampoline_kernelINS0_14default_configENS1_35radix_sort_onesweep_config_selectorImNS0_10empty_typeEEEZZNS1_29radix_sort_onesweep_iterationIS3_Lb0EPKmPmPS5_SB_mNS0_19identity_decomposerENS1_16block_id_wrapperIjLb1EEEEE10hipError_tT1_PNSt15iterator_traitsISG_E10value_typeET2_T3_PNSH_ISM_E10value_typeET4_T5_PSR_SS_PNS1_23onesweep_lookback_stateEbbT6_jjT7_P12ihipStream_tbENKUlT_T0_SG_SL_E_clISA_SA_SB_SB_EEDaSZ_S10_SG_SL_EUlSZ_E_NS1_11comp_targetILNS1_3genE2ELNS1_11target_archE906ELNS1_3gpuE6ELNS1_3repE0EEENS1_47radix_sort_onesweep_sort_config_static_selectorELNS0_4arch9wavefront6targetE0EEEvSG_.has_indirect_call, 0
	.section	.AMDGPU.csdata,"",@progbits
; Kernel info:
; codeLenInByte = 0
; TotalNumSgprs: 0
; NumVgprs: 0
; ScratchSize: 0
; MemoryBound: 0
; FloatMode: 240
; IeeeMode: 1
; LDSByteSize: 0 bytes/workgroup (compile time only)
; SGPRBlocks: 0
; VGPRBlocks: 0
; NumSGPRsForWavesPerEU: 1
; NumVGPRsForWavesPerEU: 1
; NamedBarCnt: 0
; Occupancy: 16
; WaveLimiterHint : 0
; COMPUTE_PGM_RSRC2:SCRATCH_EN: 0
; COMPUTE_PGM_RSRC2:USER_SGPR: 2
; COMPUTE_PGM_RSRC2:TRAP_HANDLER: 0
; COMPUTE_PGM_RSRC2:TGID_X_EN: 1
; COMPUTE_PGM_RSRC2:TGID_Y_EN: 0
; COMPUTE_PGM_RSRC2:TGID_Z_EN: 0
; COMPUTE_PGM_RSRC2:TIDIG_COMP_CNT: 0
	.section	.text._ZN7rocprim17ROCPRIM_400000_NS6detail17trampoline_kernelINS0_14default_configENS1_35radix_sort_onesweep_config_selectorImNS0_10empty_typeEEEZZNS1_29radix_sort_onesweep_iterationIS3_Lb0EPKmPmPS5_SB_mNS0_19identity_decomposerENS1_16block_id_wrapperIjLb1EEEEE10hipError_tT1_PNSt15iterator_traitsISG_E10value_typeET2_T3_PNSH_ISM_E10value_typeET4_T5_PSR_SS_PNS1_23onesweep_lookback_stateEbbT6_jjT7_P12ihipStream_tbENKUlT_T0_SG_SL_E_clISA_SA_SB_SB_EEDaSZ_S10_SG_SL_EUlSZ_E_NS1_11comp_targetILNS1_3genE4ELNS1_11target_archE910ELNS1_3gpuE8ELNS1_3repE0EEENS1_47radix_sort_onesweep_sort_config_static_selectorELNS0_4arch9wavefront6targetE0EEEvSG_,"axG",@progbits,_ZN7rocprim17ROCPRIM_400000_NS6detail17trampoline_kernelINS0_14default_configENS1_35radix_sort_onesweep_config_selectorImNS0_10empty_typeEEEZZNS1_29radix_sort_onesweep_iterationIS3_Lb0EPKmPmPS5_SB_mNS0_19identity_decomposerENS1_16block_id_wrapperIjLb1EEEEE10hipError_tT1_PNSt15iterator_traitsISG_E10value_typeET2_T3_PNSH_ISM_E10value_typeET4_T5_PSR_SS_PNS1_23onesweep_lookback_stateEbbT6_jjT7_P12ihipStream_tbENKUlT_T0_SG_SL_E_clISA_SA_SB_SB_EEDaSZ_S10_SG_SL_EUlSZ_E_NS1_11comp_targetILNS1_3genE4ELNS1_11target_archE910ELNS1_3gpuE8ELNS1_3repE0EEENS1_47radix_sort_onesweep_sort_config_static_selectorELNS0_4arch9wavefront6targetE0EEEvSG_,comdat
	.protected	_ZN7rocprim17ROCPRIM_400000_NS6detail17trampoline_kernelINS0_14default_configENS1_35radix_sort_onesweep_config_selectorImNS0_10empty_typeEEEZZNS1_29radix_sort_onesweep_iterationIS3_Lb0EPKmPmPS5_SB_mNS0_19identity_decomposerENS1_16block_id_wrapperIjLb1EEEEE10hipError_tT1_PNSt15iterator_traitsISG_E10value_typeET2_T3_PNSH_ISM_E10value_typeET4_T5_PSR_SS_PNS1_23onesweep_lookback_stateEbbT6_jjT7_P12ihipStream_tbENKUlT_T0_SG_SL_E_clISA_SA_SB_SB_EEDaSZ_S10_SG_SL_EUlSZ_E_NS1_11comp_targetILNS1_3genE4ELNS1_11target_archE910ELNS1_3gpuE8ELNS1_3repE0EEENS1_47radix_sort_onesweep_sort_config_static_selectorELNS0_4arch9wavefront6targetE0EEEvSG_ ; -- Begin function _ZN7rocprim17ROCPRIM_400000_NS6detail17trampoline_kernelINS0_14default_configENS1_35radix_sort_onesweep_config_selectorImNS0_10empty_typeEEEZZNS1_29radix_sort_onesweep_iterationIS3_Lb0EPKmPmPS5_SB_mNS0_19identity_decomposerENS1_16block_id_wrapperIjLb1EEEEE10hipError_tT1_PNSt15iterator_traitsISG_E10value_typeET2_T3_PNSH_ISM_E10value_typeET4_T5_PSR_SS_PNS1_23onesweep_lookback_stateEbbT6_jjT7_P12ihipStream_tbENKUlT_T0_SG_SL_E_clISA_SA_SB_SB_EEDaSZ_S10_SG_SL_EUlSZ_E_NS1_11comp_targetILNS1_3genE4ELNS1_11target_archE910ELNS1_3gpuE8ELNS1_3repE0EEENS1_47radix_sort_onesweep_sort_config_static_selectorELNS0_4arch9wavefront6targetE0EEEvSG_
	.globl	_ZN7rocprim17ROCPRIM_400000_NS6detail17trampoline_kernelINS0_14default_configENS1_35radix_sort_onesweep_config_selectorImNS0_10empty_typeEEEZZNS1_29radix_sort_onesweep_iterationIS3_Lb0EPKmPmPS5_SB_mNS0_19identity_decomposerENS1_16block_id_wrapperIjLb1EEEEE10hipError_tT1_PNSt15iterator_traitsISG_E10value_typeET2_T3_PNSH_ISM_E10value_typeET4_T5_PSR_SS_PNS1_23onesweep_lookback_stateEbbT6_jjT7_P12ihipStream_tbENKUlT_T0_SG_SL_E_clISA_SA_SB_SB_EEDaSZ_S10_SG_SL_EUlSZ_E_NS1_11comp_targetILNS1_3genE4ELNS1_11target_archE910ELNS1_3gpuE8ELNS1_3repE0EEENS1_47radix_sort_onesweep_sort_config_static_selectorELNS0_4arch9wavefront6targetE0EEEvSG_
	.p2align	8
	.type	_ZN7rocprim17ROCPRIM_400000_NS6detail17trampoline_kernelINS0_14default_configENS1_35radix_sort_onesweep_config_selectorImNS0_10empty_typeEEEZZNS1_29radix_sort_onesweep_iterationIS3_Lb0EPKmPmPS5_SB_mNS0_19identity_decomposerENS1_16block_id_wrapperIjLb1EEEEE10hipError_tT1_PNSt15iterator_traitsISG_E10value_typeET2_T3_PNSH_ISM_E10value_typeET4_T5_PSR_SS_PNS1_23onesweep_lookback_stateEbbT6_jjT7_P12ihipStream_tbENKUlT_T0_SG_SL_E_clISA_SA_SB_SB_EEDaSZ_S10_SG_SL_EUlSZ_E_NS1_11comp_targetILNS1_3genE4ELNS1_11target_archE910ELNS1_3gpuE8ELNS1_3repE0EEENS1_47radix_sort_onesweep_sort_config_static_selectorELNS0_4arch9wavefront6targetE0EEEvSG_,@function
_ZN7rocprim17ROCPRIM_400000_NS6detail17trampoline_kernelINS0_14default_configENS1_35radix_sort_onesweep_config_selectorImNS0_10empty_typeEEEZZNS1_29radix_sort_onesweep_iterationIS3_Lb0EPKmPmPS5_SB_mNS0_19identity_decomposerENS1_16block_id_wrapperIjLb1EEEEE10hipError_tT1_PNSt15iterator_traitsISG_E10value_typeET2_T3_PNSH_ISM_E10value_typeET4_T5_PSR_SS_PNS1_23onesweep_lookback_stateEbbT6_jjT7_P12ihipStream_tbENKUlT_T0_SG_SL_E_clISA_SA_SB_SB_EEDaSZ_S10_SG_SL_EUlSZ_E_NS1_11comp_targetILNS1_3genE4ELNS1_11target_archE910ELNS1_3gpuE8ELNS1_3repE0EEENS1_47radix_sort_onesweep_sort_config_static_selectorELNS0_4arch9wavefront6targetE0EEEvSG_: ; @_ZN7rocprim17ROCPRIM_400000_NS6detail17trampoline_kernelINS0_14default_configENS1_35radix_sort_onesweep_config_selectorImNS0_10empty_typeEEEZZNS1_29radix_sort_onesweep_iterationIS3_Lb0EPKmPmPS5_SB_mNS0_19identity_decomposerENS1_16block_id_wrapperIjLb1EEEEE10hipError_tT1_PNSt15iterator_traitsISG_E10value_typeET2_T3_PNSH_ISM_E10value_typeET4_T5_PSR_SS_PNS1_23onesweep_lookback_stateEbbT6_jjT7_P12ihipStream_tbENKUlT_T0_SG_SL_E_clISA_SA_SB_SB_EEDaSZ_S10_SG_SL_EUlSZ_E_NS1_11comp_targetILNS1_3genE4ELNS1_11target_archE910ELNS1_3gpuE8ELNS1_3repE0EEENS1_47radix_sort_onesweep_sort_config_static_selectorELNS0_4arch9wavefront6targetE0EEEvSG_
; %bb.0:
	.section	.rodata,"a",@progbits
	.p2align	6, 0x0
	.amdhsa_kernel _ZN7rocprim17ROCPRIM_400000_NS6detail17trampoline_kernelINS0_14default_configENS1_35radix_sort_onesweep_config_selectorImNS0_10empty_typeEEEZZNS1_29radix_sort_onesweep_iterationIS3_Lb0EPKmPmPS5_SB_mNS0_19identity_decomposerENS1_16block_id_wrapperIjLb1EEEEE10hipError_tT1_PNSt15iterator_traitsISG_E10value_typeET2_T3_PNSH_ISM_E10value_typeET4_T5_PSR_SS_PNS1_23onesweep_lookback_stateEbbT6_jjT7_P12ihipStream_tbENKUlT_T0_SG_SL_E_clISA_SA_SB_SB_EEDaSZ_S10_SG_SL_EUlSZ_E_NS1_11comp_targetILNS1_3genE4ELNS1_11target_archE910ELNS1_3gpuE8ELNS1_3repE0EEENS1_47radix_sort_onesweep_sort_config_static_selectorELNS0_4arch9wavefront6targetE0EEEvSG_
		.amdhsa_group_segment_fixed_size 0
		.amdhsa_private_segment_fixed_size 0
		.amdhsa_kernarg_size 88
		.amdhsa_user_sgpr_count 2
		.amdhsa_user_sgpr_dispatch_ptr 0
		.amdhsa_user_sgpr_queue_ptr 0
		.amdhsa_user_sgpr_kernarg_segment_ptr 1
		.amdhsa_user_sgpr_dispatch_id 0
		.amdhsa_user_sgpr_kernarg_preload_length 0
		.amdhsa_user_sgpr_kernarg_preload_offset 0
		.amdhsa_user_sgpr_private_segment_size 0
		.amdhsa_wavefront_size32 1
		.amdhsa_uses_dynamic_stack 0
		.amdhsa_enable_private_segment 0
		.amdhsa_system_sgpr_workgroup_id_x 1
		.amdhsa_system_sgpr_workgroup_id_y 0
		.amdhsa_system_sgpr_workgroup_id_z 0
		.amdhsa_system_sgpr_workgroup_info 0
		.amdhsa_system_vgpr_workitem_id 0
		.amdhsa_next_free_vgpr 1
		.amdhsa_next_free_sgpr 1
		.amdhsa_named_barrier_count 0
		.amdhsa_reserve_vcc 0
		.amdhsa_float_round_mode_32 0
		.amdhsa_float_round_mode_16_64 0
		.amdhsa_float_denorm_mode_32 3
		.amdhsa_float_denorm_mode_16_64 3
		.amdhsa_fp16_overflow 0
		.amdhsa_memory_ordered 1
		.amdhsa_forward_progress 1
		.amdhsa_inst_pref_size 0
		.amdhsa_round_robin_scheduling 0
		.amdhsa_exception_fp_ieee_invalid_op 0
		.amdhsa_exception_fp_denorm_src 0
		.amdhsa_exception_fp_ieee_div_zero 0
		.amdhsa_exception_fp_ieee_overflow 0
		.amdhsa_exception_fp_ieee_underflow 0
		.amdhsa_exception_fp_ieee_inexact 0
		.amdhsa_exception_int_div_zero 0
	.end_amdhsa_kernel
	.section	.text._ZN7rocprim17ROCPRIM_400000_NS6detail17trampoline_kernelINS0_14default_configENS1_35radix_sort_onesweep_config_selectorImNS0_10empty_typeEEEZZNS1_29radix_sort_onesweep_iterationIS3_Lb0EPKmPmPS5_SB_mNS0_19identity_decomposerENS1_16block_id_wrapperIjLb1EEEEE10hipError_tT1_PNSt15iterator_traitsISG_E10value_typeET2_T3_PNSH_ISM_E10value_typeET4_T5_PSR_SS_PNS1_23onesweep_lookback_stateEbbT6_jjT7_P12ihipStream_tbENKUlT_T0_SG_SL_E_clISA_SA_SB_SB_EEDaSZ_S10_SG_SL_EUlSZ_E_NS1_11comp_targetILNS1_3genE4ELNS1_11target_archE910ELNS1_3gpuE8ELNS1_3repE0EEENS1_47radix_sort_onesweep_sort_config_static_selectorELNS0_4arch9wavefront6targetE0EEEvSG_,"axG",@progbits,_ZN7rocprim17ROCPRIM_400000_NS6detail17trampoline_kernelINS0_14default_configENS1_35radix_sort_onesweep_config_selectorImNS0_10empty_typeEEEZZNS1_29radix_sort_onesweep_iterationIS3_Lb0EPKmPmPS5_SB_mNS0_19identity_decomposerENS1_16block_id_wrapperIjLb1EEEEE10hipError_tT1_PNSt15iterator_traitsISG_E10value_typeET2_T3_PNSH_ISM_E10value_typeET4_T5_PSR_SS_PNS1_23onesweep_lookback_stateEbbT6_jjT7_P12ihipStream_tbENKUlT_T0_SG_SL_E_clISA_SA_SB_SB_EEDaSZ_S10_SG_SL_EUlSZ_E_NS1_11comp_targetILNS1_3genE4ELNS1_11target_archE910ELNS1_3gpuE8ELNS1_3repE0EEENS1_47radix_sort_onesweep_sort_config_static_selectorELNS0_4arch9wavefront6targetE0EEEvSG_,comdat
.Lfunc_end3004:
	.size	_ZN7rocprim17ROCPRIM_400000_NS6detail17trampoline_kernelINS0_14default_configENS1_35radix_sort_onesweep_config_selectorImNS0_10empty_typeEEEZZNS1_29radix_sort_onesweep_iterationIS3_Lb0EPKmPmPS5_SB_mNS0_19identity_decomposerENS1_16block_id_wrapperIjLb1EEEEE10hipError_tT1_PNSt15iterator_traitsISG_E10value_typeET2_T3_PNSH_ISM_E10value_typeET4_T5_PSR_SS_PNS1_23onesweep_lookback_stateEbbT6_jjT7_P12ihipStream_tbENKUlT_T0_SG_SL_E_clISA_SA_SB_SB_EEDaSZ_S10_SG_SL_EUlSZ_E_NS1_11comp_targetILNS1_3genE4ELNS1_11target_archE910ELNS1_3gpuE8ELNS1_3repE0EEENS1_47radix_sort_onesweep_sort_config_static_selectorELNS0_4arch9wavefront6targetE0EEEvSG_, .Lfunc_end3004-_ZN7rocprim17ROCPRIM_400000_NS6detail17trampoline_kernelINS0_14default_configENS1_35radix_sort_onesweep_config_selectorImNS0_10empty_typeEEEZZNS1_29radix_sort_onesweep_iterationIS3_Lb0EPKmPmPS5_SB_mNS0_19identity_decomposerENS1_16block_id_wrapperIjLb1EEEEE10hipError_tT1_PNSt15iterator_traitsISG_E10value_typeET2_T3_PNSH_ISM_E10value_typeET4_T5_PSR_SS_PNS1_23onesweep_lookback_stateEbbT6_jjT7_P12ihipStream_tbENKUlT_T0_SG_SL_E_clISA_SA_SB_SB_EEDaSZ_S10_SG_SL_EUlSZ_E_NS1_11comp_targetILNS1_3genE4ELNS1_11target_archE910ELNS1_3gpuE8ELNS1_3repE0EEENS1_47radix_sort_onesweep_sort_config_static_selectorELNS0_4arch9wavefront6targetE0EEEvSG_
                                        ; -- End function
	.set _ZN7rocprim17ROCPRIM_400000_NS6detail17trampoline_kernelINS0_14default_configENS1_35radix_sort_onesweep_config_selectorImNS0_10empty_typeEEEZZNS1_29radix_sort_onesweep_iterationIS3_Lb0EPKmPmPS5_SB_mNS0_19identity_decomposerENS1_16block_id_wrapperIjLb1EEEEE10hipError_tT1_PNSt15iterator_traitsISG_E10value_typeET2_T3_PNSH_ISM_E10value_typeET4_T5_PSR_SS_PNS1_23onesweep_lookback_stateEbbT6_jjT7_P12ihipStream_tbENKUlT_T0_SG_SL_E_clISA_SA_SB_SB_EEDaSZ_S10_SG_SL_EUlSZ_E_NS1_11comp_targetILNS1_3genE4ELNS1_11target_archE910ELNS1_3gpuE8ELNS1_3repE0EEENS1_47radix_sort_onesweep_sort_config_static_selectorELNS0_4arch9wavefront6targetE0EEEvSG_.num_vgpr, 0
	.set _ZN7rocprim17ROCPRIM_400000_NS6detail17trampoline_kernelINS0_14default_configENS1_35radix_sort_onesweep_config_selectorImNS0_10empty_typeEEEZZNS1_29radix_sort_onesweep_iterationIS3_Lb0EPKmPmPS5_SB_mNS0_19identity_decomposerENS1_16block_id_wrapperIjLb1EEEEE10hipError_tT1_PNSt15iterator_traitsISG_E10value_typeET2_T3_PNSH_ISM_E10value_typeET4_T5_PSR_SS_PNS1_23onesweep_lookback_stateEbbT6_jjT7_P12ihipStream_tbENKUlT_T0_SG_SL_E_clISA_SA_SB_SB_EEDaSZ_S10_SG_SL_EUlSZ_E_NS1_11comp_targetILNS1_3genE4ELNS1_11target_archE910ELNS1_3gpuE8ELNS1_3repE0EEENS1_47radix_sort_onesweep_sort_config_static_selectorELNS0_4arch9wavefront6targetE0EEEvSG_.num_agpr, 0
	.set _ZN7rocprim17ROCPRIM_400000_NS6detail17trampoline_kernelINS0_14default_configENS1_35radix_sort_onesweep_config_selectorImNS0_10empty_typeEEEZZNS1_29radix_sort_onesweep_iterationIS3_Lb0EPKmPmPS5_SB_mNS0_19identity_decomposerENS1_16block_id_wrapperIjLb1EEEEE10hipError_tT1_PNSt15iterator_traitsISG_E10value_typeET2_T3_PNSH_ISM_E10value_typeET4_T5_PSR_SS_PNS1_23onesweep_lookback_stateEbbT6_jjT7_P12ihipStream_tbENKUlT_T0_SG_SL_E_clISA_SA_SB_SB_EEDaSZ_S10_SG_SL_EUlSZ_E_NS1_11comp_targetILNS1_3genE4ELNS1_11target_archE910ELNS1_3gpuE8ELNS1_3repE0EEENS1_47radix_sort_onesweep_sort_config_static_selectorELNS0_4arch9wavefront6targetE0EEEvSG_.numbered_sgpr, 0
	.set _ZN7rocprim17ROCPRIM_400000_NS6detail17trampoline_kernelINS0_14default_configENS1_35radix_sort_onesweep_config_selectorImNS0_10empty_typeEEEZZNS1_29radix_sort_onesweep_iterationIS3_Lb0EPKmPmPS5_SB_mNS0_19identity_decomposerENS1_16block_id_wrapperIjLb1EEEEE10hipError_tT1_PNSt15iterator_traitsISG_E10value_typeET2_T3_PNSH_ISM_E10value_typeET4_T5_PSR_SS_PNS1_23onesweep_lookback_stateEbbT6_jjT7_P12ihipStream_tbENKUlT_T0_SG_SL_E_clISA_SA_SB_SB_EEDaSZ_S10_SG_SL_EUlSZ_E_NS1_11comp_targetILNS1_3genE4ELNS1_11target_archE910ELNS1_3gpuE8ELNS1_3repE0EEENS1_47radix_sort_onesweep_sort_config_static_selectorELNS0_4arch9wavefront6targetE0EEEvSG_.num_named_barrier, 0
	.set _ZN7rocprim17ROCPRIM_400000_NS6detail17trampoline_kernelINS0_14default_configENS1_35radix_sort_onesweep_config_selectorImNS0_10empty_typeEEEZZNS1_29radix_sort_onesweep_iterationIS3_Lb0EPKmPmPS5_SB_mNS0_19identity_decomposerENS1_16block_id_wrapperIjLb1EEEEE10hipError_tT1_PNSt15iterator_traitsISG_E10value_typeET2_T3_PNSH_ISM_E10value_typeET4_T5_PSR_SS_PNS1_23onesweep_lookback_stateEbbT6_jjT7_P12ihipStream_tbENKUlT_T0_SG_SL_E_clISA_SA_SB_SB_EEDaSZ_S10_SG_SL_EUlSZ_E_NS1_11comp_targetILNS1_3genE4ELNS1_11target_archE910ELNS1_3gpuE8ELNS1_3repE0EEENS1_47radix_sort_onesweep_sort_config_static_selectorELNS0_4arch9wavefront6targetE0EEEvSG_.private_seg_size, 0
	.set _ZN7rocprim17ROCPRIM_400000_NS6detail17trampoline_kernelINS0_14default_configENS1_35radix_sort_onesweep_config_selectorImNS0_10empty_typeEEEZZNS1_29radix_sort_onesweep_iterationIS3_Lb0EPKmPmPS5_SB_mNS0_19identity_decomposerENS1_16block_id_wrapperIjLb1EEEEE10hipError_tT1_PNSt15iterator_traitsISG_E10value_typeET2_T3_PNSH_ISM_E10value_typeET4_T5_PSR_SS_PNS1_23onesweep_lookback_stateEbbT6_jjT7_P12ihipStream_tbENKUlT_T0_SG_SL_E_clISA_SA_SB_SB_EEDaSZ_S10_SG_SL_EUlSZ_E_NS1_11comp_targetILNS1_3genE4ELNS1_11target_archE910ELNS1_3gpuE8ELNS1_3repE0EEENS1_47radix_sort_onesweep_sort_config_static_selectorELNS0_4arch9wavefront6targetE0EEEvSG_.uses_vcc, 0
	.set _ZN7rocprim17ROCPRIM_400000_NS6detail17trampoline_kernelINS0_14default_configENS1_35radix_sort_onesweep_config_selectorImNS0_10empty_typeEEEZZNS1_29radix_sort_onesweep_iterationIS3_Lb0EPKmPmPS5_SB_mNS0_19identity_decomposerENS1_16block_id_wrapperIjLb1EEEEE10hipError_tT1_PNSt15iterator_traitsISG_E10value_typeET2_T3_PNSH_ISM_E10value_typeET4_T5_PSR_SS_PNS1_23onesweep_lookback_stateEbbT6_jjT7_P12ihipStream_tbENKUlT_T0_SG_SL_E_clISA_SA_SB_SB_EEDaSZ_S10_SG_SL_EUlSZ_E_NS1_11comp_targetILNS1_3genE4ELNS1_11target_archE910ELNS1_3gpuE8ELNS1_3repE0EEENS1_47radix_sort_onesweep_sort_config_static_selectorELNS0_4arch9wavefront6targetE0EEEvSG_.uses_flat_scratch, 0
	.set _ZN7rocprim17ROCPRIM_400000_NS6detail17trampoline_kernelINS0_14default_configENS1_35radix_sort_onesweep_config_selectorImNS0_10empty_typeEEEZZNS1_29radix_sort_onesweep_iterationIS3_Lb0EPKmPmPS5_SB_mNS0_19identity_decomposerENS1_16block_id_wrapperIjLb1EEEEE10hipError_tT1_PNSt15iterator_traitsISG_E10value_typeET2_T3_PNSH_ISM_E10value_typeET4_T5_PSR_SS_PNS1_23onesweep_lookback_stateEbbT6_jjT7_P12ihipStream_tbENKUlT_T0_SG_SL_E_clISA_SA_SB_SB_EEDaSZ_S10_SG_SL_EUlSZ_E_NS1_11comp_targetILNS1_3genE4ELNS1_11target_archE910ELNS1_3gpuE8ELNS1_3repE0EEENS1_47radix_sort_onesweep_sort_config_static_selectorELNS0_4arch9wavefront6targetE0EEEvSG_.has_dyn_sized_stack, 0
	.set _ZN7rocprim17ROCPRIM_400000_NS6detail17trampoline_kernelINS0_14default_configENS1_35radix_sort_onesweep_config_selectorImNS0_10empty_typeEEEZZNS1_29radix_sort_onesweep_iterationIS3_Lb0EPKmPmPS5_SB_mNS0_19identity_decomposerENS1_16block_id_wrapperIjLb1EEEEE10hipError_tT1_PNSt15iterator_traitsISG_E10value_typeET2_T3_PNSH_ISM_E10value_typeET4_T5_PSR_SS_PNS1_23onesweep_lookback_stateEbbT6_jjT7_P12ihipStream_tbENKUlT_T0_SG_SL_E_clISA_SA_SB_SB_EEDaSZ_S10_SG_SL_EUlSZ_E_NS1_11comp_targetILNS1_3genE4ELNS1_11target_archE910ELNS1_3gpuE8ELNS1_3repE0EEENS1_47radix_sort_onesweep_sort_config_static_selectorELNS0_4arch9wavefront6targetE0EEEvSG_.has_recursion, 0
	.set _ZN7rocprim17ROCPRIM_400000_NS6detail17trampoline_kernelINS0_14default_configENS1_35radix_sort_onesweep_config_selectorImNS0_10empty_typeEEEZZNS1_29radix_sort_onesweep_iterationIS3_Lb0EPKmPmPS5_SB_mNS0_19identity_decomposerENS1_16block_id_wrapperIjLb1EEEEE10hipError_tT1_PNSt15iterator_traitsISG_E10value_typeET2_T3_PNSH_ISM_E10value_typeET4_T5_PSR_SS_PNS1_23onesweep_lookback_stateEbbT6_jjT7_P12ihipStream_tbENKUlT_T0_SG_SL_E_clISA_SA_SB_SB_EEDaSZ_S10_SG_SL_EUlSZ_E_NS1_11comp_targetILNS1_3genE4ELNS1_11target_archE910ELNS1_3gpuE8ELNS1_3repE0EEENS1_47radix_sort_onesweep_sort_config_static_selectorELNS0_4arch9wavefront6targetE0EEEvSG_.has_indirect_call, 0
	.section	.AMDGPU.csdata,"",@progbits
; Kernel info:
; codeLenInByte = 0
; TotalNumSgprs: 0
; NumVgprs: 0
; ScratchSize: 0
; MemoryBound: 0
; FloatMode: 240
; IeeeMode: 1
; LDSByteSize: 0 bytes/workgroup (compile time only)
; SGPRBlocks: 0
; VGPRBlocks: 0
; NumSGPRsForWavesPerEU: 1
; NumVGPRsForWavesPerEU: 1
; NamedBarCnt: 0
; Occupancy: 16
; WaveLimiterHint : 0
; COMPUTE_PGM_RSRC2:SCRATCH_EN: 0
; COMPUTE_PGM_RSRC2:USER_SGPR: 2
; COMPUTE_PGM_RSRC2:TRAP_HANDLER: 0
; COMPUTE_PGM_RSRC2:TGID_X_EN: 1
; COMPUTE_PGM_RSRC2:TGID_Y_EN: 0
; COMPUTE_PGM_RSRC2:TGID_Z_EN: 0
; COMPUTE_PGM_RSRC2:TIDIG_COMP_CNT: 0
	.section	.text._ZN7rocprim17ROCPRIM_400000_NS6detail17trampoline_kernelINS0_14default_configENS1_35radix_sort_onesweep_config_selectorImNS0_10empty_typeEEEZZNS1_29radix_sort_onesweep_iterationIS3_Lb0EPKmPmPS5_SB_mNS0_19identity_decomposerENS1_16block_id_wrapperIjLb1EEEEE10hipError_tT1_PNSt15iterator_traitsISG_E10value_typeET2_T3_PNSH_ISM_E10value_typeET4_T5_PSR_SS_PNS1_23onesweep_lookback_stateEbbT6_jjT7_P12ihipStream_tbENKUlT_T0_SG_SL_E_clISA_SA_SB_SB_EEDaSZ_S10_SG_SL_EUlSZ_E_NS1_11comp_targetILNS1_3genE3ELNS1_11target_archE908ELNS1_3gpuE7ELNS1_3repE0EEENS1_47radix_sort_onesweep_sort_config_static_selectorELNS0_4arch9wavefront6targetE0EEEvSG_,"axG",@progbits,_ZN7rocprim17ROCPRIM_400000_NS6detail17trampoline_kernelINS0_14default_configENS1_35radix_sort_onesweep_config_selectorImNS0_10empty_typeEEEZZNS1_29radix_sort_onesweep_iterationIS3_Lb0EPKmPmPS5_SB_mNS0_19identity_decomposerENS1_16block_id_wrapperIjLb1EEEEE10hipError_tT1_PNSt15iterator_traitsISG_E10value_typeET2_T3_PNSH_ISM_E10value_typeET4_T5_PSR_SS_PNS1_23onesweep_lookback_stateEbbT6_jjT7_P12ihipStream_tbENKUlT_T0_SG_SL_E_clISA_SA_SB_SB_EEDaSZ_S10_SG_SL_EUlSZ_E_NS1_11comp_targetILNS1_3genE3ELNS1_11target_archE908ELNS1_3gpuE7ELNS1_3repE0EEENS1_47radix_sort_onesweep_sort_config_static_selectorELNS0_4arch9wavefront6targetE0EEEvSG_,comdat
	.protected	_ZN7rocprim17ROCPRIM_400000_NS6detail17trampoline_kernelINS0_14default_configENS1_35radix_sort_onesweep_config_selectorImNS0_10empty_typeEEEZZNS1_29radix_sort_onesweep_iterationIS3_Lb0EPKmPmPS5_SB_mNS0_19identity_decomposerENS1_16block_id_wrapperIjLb1EEEEE10hipError_tT1_PNSt15iterator_traitsISG_E10value_typeET2_T3_PNSH_ISM_E10value_typeET4_T5_PSR_SS_PNS1_23onesweep_lookback_stateEbbT6_jjT7_P12ihipStream_tbENKUlT_T0_SG_SL_E_clISA_SA_SB_SB_EEDaSZ_S10_SG_SL_EUlSZ_E_NS1_11comp_targetILNS1_3genE3ELNS1_11target_archE908ELNS1_3gpuE7ELNS1_3repE0EEENS1_47radix_sort_onesweep_sort_config_static_selectorELNS0_4arch9wavefront6targetE0EEEvSG_ ; -- Begin function _ZN7rocprim17ROCPRIM_400000_NS6detail17trampoline_kernelINS0_14default_configENS1_35radix_sort_onesweep_config_selectorImNS0_10empty_typeEEEZZNS1_29radix_sort_onesweep_iterationIS3_Lb0EPKmPmPS5_SB_mNS0_19identity_decomposerENS1_16block_id_wrapperIjLb1EEEEE10hipError_tT1_PNSt15iterator_traitsISG_E10value_typeET2_T3_PNSH_ISM_E10value_typeET4_T5_PSR_SS_PNS1_23onesweep_lookback_stateEbbT6_jjT7_P12ihipStream_tbENKUlT_T0_SG_SL_E_clISA_SA_SB_SB_EEDaSZ_S10_SG_SL_EUlSZ_E_NS1_11comp_targetILNS1_3genE3ELNS1_11target_archE908ELNS1_3gpuE7ELNS1_3repE0EEENS1_47radix_sort_onesweep_sort_config_static_selectorELNS0_4arch9wavefront6targetE0EEEvSG_
	.globl	_ZN7rocprim17ROCPRIM_400000_NS6detail17trampoline_kernelINS0_14default_configENS1_35radix_sort_onesweep_config_selectorImNS0_10empty_typeEEEZZNS1_29radix_sort_onesweep_iterationIS3_Lb0EPKmPmPS5_SB_mNS0_19identity_decomposerENS1_16block_id_wrapperIjLb1EEEEE10hipError_tT1_PNSt15iterator_traitsISG_E10value_typeET2_T3_PNSH_ISM_E10value_typeET4_T5_PSR_SS_PNS1_23onesweep_lookback_stateEbbT6_jjT7_P12ihipStream_tbENKUlT_T0_SG_SL_E_clISA_SA_SB_SB_EEDaSZ_S10_SG_SL_EUlSZ_E_NS1_11comp_targetILNS1_3genE3ELNS1_11target_archE908ELNS1_3gpuE7ELNS1_3repE0EEENS1_47radix_sort_onesweep_sort_config_static_selectorELNS0_4arch9wavefront6targetE0EEEvSG_
	.p2align	8
	.type	_ZN7rocprim17ROCPRIM_400000_NS6detail17trampoline_kernelINS0_14default_configENS1_35radix_sort_onesweep_config_selectorImNS0_10empty_typeEEEZZNS1_29radix_sort_onesweep_iterationIS3_Lb0EPKmPmPS5_SB_mNS0_19identity_decomposerENS1_16block_id_wrapperIjLb1EEEEE10hipError_tT1_PNSt15iterator_traitsISG_E10value_typeET2_T3_PNSH_ISM_E10value_typeET4_T5_PSR_SS_PNS1_23onesweep_lookback_stateEbbT6_jjT7_P12ihipStream_tbENKUlT_T0_SG_SL_E_clISA_SA_SB_SB_EEDaSZ_S10_SG_SL_EUlSZ_E_NS1_11comp_targetILNS1_3genE3ELNS1_11target_archE908ELNS1_3gpuE7ELNS1_3repE0EEENS1_47radix_sort_onesweep_sort_config_static_selectorELNS0_4arch9wavefront6targetE0EEEvSG_,@function
_ZN7rocprim17ROCPRIM_400000_NS6detail17trampoline_kernelINS0_14default_configENS1_35radix_sort_onesweep_config_selectorImNS0_10empty_typeEEEZZNS1_29radix_sort_onesweep_iterationIS3_Lb0EPKmPmPS5_SB_mNS0_19identity_decomposerENS1_16block_id_wrapperIjLb1EEEEE10hipError_tT1_PNSt15iterator_traitsISG_E10value_typeET2_T3_PNSH_ISM_E10value_typeET4_T5_PSR_SS_PNS1_23onesweep_lookback_stateEbbT6_jjT7_P12ihipStream_tbENKUlT_T0_SG_SL_E_clISA_SA_SB_SB_EEDaSZ_S10_SG_SL_EUlSZ_E_NS1_11comp_targetILNS1_3genE3ELNS1_11target_archE908ELNS1_3gpuE7ELNS1_3repE0EEENS1_47radix_sort_onesweep_sort_config_static_selectorELNS0_4arch9wavefront6targetE0EEEvSG_: ; @_ZN7rocprim17ROCPRIM_400000_NS6detail17trampoline_kernelINS0_14default_configENS1_35radix_sort_onesweep_config_selectorImNS0_10empty_typeEEEZZNS1_29radix_sort_onesweep_iterationIS3_Lb0EPKmPmPS5_SB_mNS0_19identity_decomposerENS1_16block_id_wrapperIjLb1EEEEE10hipError_tT1_PNSt15iterator_traitsISG_E10value_typeET2_T3_PNSH_ISM_E10value_typeET4_T5_PSR_SS_PNS1_23onesweep_lookback_stateEbbT6_jjT7_P12ihipStream_tbENKUlT_T0_SG_SL_E_clISA_SA_SB_SB_EEDaSZ_S10_SG_SL_EUlSZ_E_NS1_11comp_targetILNS1_3genE3ELNS1_11target_archE908ELNS1_3gpuE7ELNS1_3repE0EEENS1_47radix_sort_onesweep_sort_config_static_selectorELNS0_4arch9wavefront6targetE0EEEvSG_
; %bb.0:
	.section	.rodata,"a",@progbits
	.p2align	6, 0x0
	.amdhsa_kernel _ZN7rocprim17ROCPRIM_400000_NS6detail17trampoline_kernelINS0_14default_configENS1_35radix_sort_onesweep_config_selectorImNS0_10empty_typeEEEZZNS1_29radix_sort_onesweep_iterationIS3_Lb0EPKmPmPS5_SB_mNS0_19identity_decomposerENS1_16block_id_wrapperIjLb1EEEEE10hipError_tT1_PNSt15iterator_traitsISG_E10value_typeET2_T3_PNSH_ISM_E10value_typeET4_T5_PSR_SS_PNS1_23onesweep_lookback_stateEbbT6_jjT7_P12ihipStream_tbENKUlT_T0_SG_SL_E_clISA_SA_SB_SB_EEDaSZ_S10_SG_SL_EUlSZ_E_NS1_11comp_targetILNS1_3genE3ELNS1_11target_archE908ELNS1_3gpuE7ELNS1_3repE0EEENS1_47radix_sort_onesweep_sort_config_static_selectorELNS0_4arch9wavefront6targetE0EEEvSG_
		.amdhsa_group_segment_fixed_size 0
		.amdhsa_private_segment_fixed_size 0
		.amdhsa_kernarg_size 88
		.amdhsa_user_sgpr_count 2
		.amdhsa_user_sgpr_dispatch_ptr 0
		.amdhsa_user_sgpr_queue_ptr 0
		.amdhsa_user_sgpr_kernarg_segment_ptr 1
		.amdhsa_user_sgpr_dispatch_id 0
		.amdhsa_user_sgpr_kernarg_preload_length 0
		.amdhsa_user_sgpr_kernarg_preload_offset 0
		.amdhsa_user_sgpr_private_segment_size 0
		.amdhsa_wavefront_size32 1
		.amdhsa_uses_dynamic_stack 0
		.amdhsa_enable_private_segment 0
		.amdhsa_system_sgpr_workgroup_id_x 1
		.amdhsa_system_sgpr_workgroup_id_y 0
		.amdhsa_system_sgpr_workgroup_id_z 0
		.amdhsa_system_sgpr_workgroup_info 0
		.amdhsa_system_vgpr_workitem_id 0
		.amdhsa_next_free_vgpr 1
		.amdhsa_next_free_sgpr 1
		.amdhsa_named_barrier_count 0
		.amdhsa_reserve_vcc 0
		.amdhsa_float_round_mode_32 0
		.amdhsa_float_round_mode_16_64 0
		.amdhsa_float_denorm_mode_32 3
		.amdhsa_float_denorm_mode_16_64 3
		.amdhsa_fp16_overflow 0
		.amdhsa_memory_ordered 1
		.amdhsa_forward_progress 1
		.amdhsa_inst_pref_size 0
		.amdhsa_round_robin_scheduling 0
		.amdhsa_exception_fp_ieee_invalid_op 0
		.amdhsa_exception_fp_denorm_src 0
		.amdhsa_exception_fp_ieee_div_zero 0
		.amdhsa_exception_fp_ieee_overflow 0
		.amdhsa_exception_fp_ieee_underflow 0
		.amdhsa_exception_fp_ieee_inexact 0
		.amdhsa_exception_int_div_zero 0
	.end_amdhsa_kernel
	.section	.text._ZN7rocprim17ROCPRIM_400000_NS6detail17trampoline_kernelINS0_14default_configENS1_35radix_sort_onesweep_config_selectorImNS0_10empty_typeEEEZZNS1_29radix_sort_onesweep_iterationIS3_Lb0EPKmPmPS5_SB_mNS0_19identity_decomposerENS1_16block_id_wrapperIjLb1EEEEE10hipError_tT1_PNSt15iterator_traitsISG_E10value_typeET2_T3_PNSH_ISM_E10value_typeET4_T5_PSR_SS_PNS1_23onesweep_lookback_stateEbbT6_jjT7_P12ihipStream_tbENKUlT_T0_SG_SL_E_clISA_SA_SB_SB_EEDaSZ_S10_SG_SL_EUlSZ_E_NS1_11comp_targetILNS1_3genE3ELNS1_11target_archE908ELNS1_3gpuE7ELNS1_3repE0EEENS1_47radix_sort_onesweep_sort_config_static_selectorELNS0_4arch9wavefront6targetE0EEEvSG_,"axG",@progbits,_ZN7rocprim17ROCPRIM_400000_NS6detail17trampoline_kernelINS0_14default_configENS1_35radix_sort_onesweep_config_selectorImNS0_10empty_typeEEEZZNS1_29radix_sort_onesweep_iterationIS3_Lb0EPKmPmPS5_SB_mNS0_19identity_decomposerENS1_16block_id_wrapperIjLb1EEEEE10hipError_tT1_PNSt15iterator_traitsISG_E10value_typeET2_T3_PNSH_ISM_E10value_typeET4_T5_PSR_SS_PNS1_23onesweep_lookback_stateEbbT6_jjT7_P12ihipStream_tbENKUlT_T0_SG_SL_E_clISA_SA_SB_SB_EEDaSZ_S10_SG_SL_EUlSZ_E_NS1_11comp_targetILNS1_3genE3ELNS1_11target_archE908ELNS1_3gpuE7ELNS1_3repE0EEENS1_47radix_sort_onesweep_sort_config_static_selectorELNS0_4arch9wavefront6targetE0EEEvSG_,comdat
.Lfunc_end3005:
	.size	_ZN7rocprim17ROCPRIM_400000_NS6detail17trampoline_kernelINS0_14default_configENS1_35radix_sort_onesweep_config_selectorImNS0_10empty_typeEEEZZNS1_29radix_sort_onesweep_iterationIS3_Lb0EPKmPmPS5_SB_mNS0_19identity_decomposerENS1_16block_id_wrapperIjLb1EEEEE10hipError_tT1_PNSt15iterator_traitsISG_E10value_typeET2_T3_PNSH_ISM_E10value_typeET4_T5_PSR_SS_PNS1_23onesweep_lookback_stateEbbT6_jjT7_P12ihipStream_tbENKUlT_T0_SG_SL_E_clISA_SA_SB_SB_EEDaSZ_S10_SG_SL_EUlSZ_E_NS1_11comp_targetILNS1_3genE3ELNS1_11target_archE908ELNS1_3gpuE7ELNS1_3repE0EEENS1_47radix_sort_onesweep_sort_config_static_selectorELNS0_4arch9wavefront6targetE0EEEvSG_, .Lfunc_end3005-_ZN7rocprim17ROCPRIM_400000_NS6detail17trampoline_kernelINS0_14default_configENS1_35radix_sort_onesweep_config_selectorImNS0_10empty_typeEEEZZNS1_29radix_sort_onesweep_iterationIS3_Lb0EPKmPmPS5_SB_mNS0_19identity_decomposerENS1_16block_id_wrapperIjLb1EEEEE10hipError_tT1_PNSt15iterator_traitsISG_E10value_typeET2_T3_PNSH_ISM_E10value_typeET4_T5_PSR_SS_PNS1_23onesweep_lookback_stateEbbT6_jjT7_P12ihipStream_tbENKUlT_T0_SG_SL_E_clISA_SA_SB_SB_EEDaSZ_S10_SG_SL_EUlSZ_E_NS1_11comp_targetILNS1_3genE3ELNS1_11target_archE908ELNS1_3gpuE7ELNS1_3repE0EEENS1_47radix_sort_onesweep_sort_config_static_selectorELNS0_4arch9wavefront6targetE0EEEvSG_
                                        ; -- End function
	.set _ZN7rocprim17ROCPRIM_400000_NS6detail17trampoline_kernelINS0_14default_configENS1_35radix_sort_onesweep_config_selectorImNS0_10empty_typeEEEZZNS1_29radix_sort_onesweep_iterationIS3_Lb0EPKmPmPS5_SB_mNS0_19identity_decomposerENS1_16block_id_wrapperIjLb1EEEEE10hipError_tT1_PNSt15iterator_traitsISG_E10value_typeET2_T3_PNSH_ISM_E10value_typeET4_T5_PSR_SS_PNS1_23onesweep_lookback_stateEbbT6_jjT7_P12ihipStream_tbENKUlT_T0_SG_SL_E_clISA_SA_SB_SB_EEDaSZ_S10_SG_SL_EUlSZ_E_NS1_11comp_targetILNS1_3genE3ELNS1_11target_archE908ELNS1_3gpuE7ELNS1_3repE0EEENS1_47radix_sort_onesweep_sort_config_static_selectorELNS0_4arch9wavefront6targetE0EEEvSG_.num_vgpr, 0
	.set _ZN7rocprim17ROCPRIM_400000_NS6detail17trampoline_kernelINS0_14default_configENS1_35radix_sort_onesweep_config_selectorImNS0_10empty_typeEEEZZNS1_29radix_sort_onesweep_iterationIS3_Lb0EPKmPmPS5_SB_mNS0_19identity_decomposerENS1_16block_id_wrapperIjLb1EEEEE10hipError_tT1_PNSt15iterator_traitsISG_E10value_typeET2_T3_PNSH_ISM_E10value_typeET4_T5_PSR_SS_PNS1_23onesweep_lookback_stateEbbT6_jjT7_P12ihipStream_tbENKUlT_T0_SG_SL_E_clISA_SA_SB_SB_EEDaSZ_S10_SG_SL_EUlSZ_E_NS1_11comp_targetILNS1_3genE3ELNS1_11target_archE908ELNS1_3gpuE7ELNS1_3repE0EEENS1_47radix_sort_onesweep_sort_config_static_selectorELNS0_4arch9wavefront6targetE0EEEvSG_.num_agpr, 0
	.set _ZN7rocprim17ROCPRIM_400000_NS6detail17trampoline_kernelINS0_14default_configENS1_35radix_sort_onesweep_config_selectorImNS0_10empty_typeEEEZZNS1_29radix_sort_onesweep_iterationIS3_Lb0EPKmPmPS5_SB_mNS0_19identity_decomposerENS1_16block_id_wrapperIjLb1EEEEE10hipError_tT1_PNSt15iterator_traitsISG_E10value_typeET2_T3_PNSH_ISM_E10value_typeET4_T5_PSR_SS_PNS1_23onesweep_lookback_stateEbbT6_jjT7_P12ihipStream_tbENKUlT_T0_SG_SL_E_clISA_SA_SB_SB_EEDaSZ_S10_SG_SL_EUlSZ_E_NS1_11comp_targetILNS1_3genE3ELNS1_11target_archE908ELNS1_3gpuE7ELNS1_3repE0EEENS1_47radix_sort_onesweep_sort_config_static_selectorELNS0_4arch9wavefront6targetE0EEEvSG_.numbered_sgpr, 0
	.set _ZN7rocprim17ROCPRIM_400000_NS6detail17trampoline_kernelINS0_14default_configENS1_35radix_sort_onesweep_config_selectorImNS0_10empty_typeEEEZZNS1_29radix_sort_onesweep_iterationIS3_Lb0EPKmPmPS5_SB_mNS0_19identity_decomposerENS1_16block_id_wrapperIjLb1EEEEE10hipError_tT1_PNSt15iterator_traitsISG_E10value_typeET2_T3_PNSH_ISM_E10value_typeET4_T5_PSR_SS_PNS1_23onesweep_lookback_stateEbbT6_jjT7_P12ihipStream_tbENKUlT_T0_SG_SL_E_clISA_SA_SB_SB_EEDaSZ_S10_SG_SL_EUlSZ_E_NS1_11comp_targetILNS1_3genE3ELNS1_11target_archE908ELNS1_3gpuE7ELNS1_3repE0EEENS1_47radix_sort_onesweep_sort_config_static_selectorELNS0_4arch9wavefront6targetE0EEEvSG_.num_named_barrier, 0
	.set _ZN7rocprim17ROCPRIM_400000_NS6detail17trampoline_kernelINS0_14default_configENS1_35radix_sort_onesweep_config_selectorImNS0_10empty_typeEEEZZNS1_29radix_sort_onesweep_iterationIS3_Lb0EPKmPmPS5_SB_mNS0_19identity_decomposerENS1_16block_id_wrapperIjLb1EEEEE10hipError_tT1_PNSt15iterator_traitsISG_E10value_typeET2_T3_PNSH_ISM_E10value_typeET4_T5_PSR_SS_PNS1_23onesweep_lookback_stateEbbT6_jjT7_P12ihipStream_tbENKUlT_T0_SG_SL_E_clISA_SA_SB_SB_EEDaSZ_S10_SG_SL_EUlSZ_E_NS1_11comp_targetILNS1_3genE3ELNS1_11target_archE908ELNS1_3gpuE7ELNS1_3repE0EEENS1_47radix_sort_onesweep_sort_config_static_selectorELNS0_4arch9wavefront6targetE0EEEvSG_.private_seg_size, 0
	.set _ZN7rocprim17ROCPRIM_400000_NS6detail17trampoline_kernelINS0_14default_configENS1_35radix_sort_onesweep_config_selectorImNS0_10empty_typeEEEZZNS1_29radix_sort_onesweep_iterationIS3_Lb0EPKmPmPS5_SB_mNS0_19identity_decomposerENS1_16block_id_wrapperIjLb1EEEEE10hipError_tT1_PNSt15iterator_traitsISG_E10value_typeET2_T3_PNSH_ISM_E10value_typeET4_T5_PSR_SS_PNS1_23onesweep_lookback_stateEbbT6_jjT7_P12ihipStream_tbENKUlT_T0_SG_SL_E_clISA_SA_SB_SB_EEDaSZ_S10_SG_SL_EUlSZ_E_NS1_11comp_targetILNS1_3genE3ELNS1_11target_archE908ELNS1_3gpuE7ELNS1_3repE0EEENS1_47radix_sort_onesweep_sort_config_static_selectorELNS0_4arch9wavefront6targetE0EEEvSG_.uses_vcc, 0
	.set _ZN7rocprim17ROCPRIM_400000_NS6detail17trampoline_kernelINS0_14default_configENS1_35radix_sort_onesweep_config_selectorImNS0_10empty_typeEEEZZNS1_29radix_sort_onesweep_iterationIS3_Lb0EPKmPmPS5_SB_mNS0_19identity_decomposerENS1_16block_id_wrapperIjLb1EEEEE10hipError_tT1_PNSt15iterator_traitsISG_E10value_typeET2_T3_PNSH_ISM_E10value_typeET4_T5_PSR_SS_PNS1_23onesweep_lookback_stateEbbT6_jjT7_P12ihipStream_tbENKUlT_T0_SG_SL_E_clISA_SA_SB_SB_EEDaSZ_S10_SG_SL_EUlSZ_E_NS1_11comp_targetILNS1_3genE3ELNS1_11target_archE908ELNS1_3gpuE7ELNS1_3repE0EEENS1_47radix_sort_onesweep_sort_config_static_selectorELNS0_4arch9wavefront6targetE0EEEvSG_.uses_flat_scratch, 0
	.set _ZN7rocprim17ROCPRIM_400000_NS6detail17trampoline_kernelINS0_14default_configENS1_35radix_sort_onesweep_config_selectorImNS0_10empty_typeEEEZZNS1_29radix_sort_onesweep_iterationIS3_Lb0EPKmPmPS5_SB_mNS0_19identity_decomposerENS1_16block_id_wrapperIjLb1EEEEE10hipError_tT1_PNSt15iterator_traitsISG_E10value_typeET2_T3_PNSH_ISM_E10value_typeET4_T5_PSR_SS_PNS1_23onesweep_lookback_stateEbbT6_jjT7_P12ihipStream_tbENKUlT_T0_SG_SL_E_clISA_SA_SB_SB_EEDaSZ_S10_SG_SL_EUlSZ_E_NS1_11comp_targetILNS1_3genE3ELNS1_11target_archE908ELNS1_3gpuE7ELNS1_3repE0EEENS1_47radix_sort_onesweep_sort_config_static_selectorELNS0_4arch9wavefront6targetE0EEEvSG_.has_dyn_sized_stack, 0
	.set _ZN7rocprim17ROCPRIM_400000_NS6detail17trampoline_kernelINS0_14default_configENS1_35radix_sort_onesweep_config_selectorImNS0_10empty_typeEEEZZNS1_29radix_sort_onesweep_iterationIS3_Lb0EPKmPmPS5_SB_mNS0_19identity_decomposerENS1_16block_id_wrapperIjLb1EEEEE10hipError_tT1_PNSt15iterator_traitsISG_E10value_typeET2_T3_PNSH_ISM_E10value_typeET4_T5_PSR_SS_PNS1_23onesweep_lookback_stateEbbT6_jjT7_P12ihipStream_tbENKUlT_T0_SG_SL_E_clISA_SA_SB_SB_EEDaSZ_S10_SG_SL_EUlSZ_E_NS1_11comp_targetILNS1_3genE3ELNS1_11target_archE908ELNS1_3gpuE7ELNS1_3repE0EEENS1_47radix_sort_onesweep_sort_config_static_selectorELNS0_4arch9wavefront6targetE0EEEvSG_.has_recursion, 0
	.set _ZN7rocprim17ROCPRIM_400000_NS6detail17trampoline_kernelINS0_14default_configENS1_35radix_sort_onesweep_config_selectorImNS0_10empty_typeEEEZZNS1_29radix_sort_onesweep_iterationIS3_Lb0EPKmPmPS5_SB_mNS0_19identity_decomposerENS1_16block_id_wrapperIjLb1EEEEE10hipError_tT1_PNSt15iterator_traitsISG_E10value_typeET2_T3_PNSH_ISM_E10value_typeET4_T5_PSR_SS_PNS1_23onesweep_lookback_stateEbbT6_jjT7_P12ihipStream_tbENKUlT_T0_SG_SL_E_clISA_SA_SB_SB_EEDaSZ_S10_SG_SL_EUlSZ_E_NS1_11comp_targetILNS1_3genE3ELNS1_11target_archE908ELNS1_3gpuE7ELNS1_3repE0EEENS1_47radix_sort_onesweep_sort_config_static_selectorELNS0_4arch9wavefront6targetE0EEEvSG_.has_indirect_call, 0
	.section	.AMDGPU.csdata,"",@progbits
; Kernel info:
; codeLenInByte = 0
; TotalNumSgprs: 0
; NumVgprs: 0
; ScratchSize: 0
; MemoryBound: 0
; FloatMode: 240
; IeeeMode: 1
; LDSByteSize: 0 bytes/workgroup (compile time only)
; SGPRBlocks: 0
; VGPRBlocks: 0
; NumSGPRsForWavesPerEU: 1
; NumVGPRsForWavesPerEU: 1
; NamedBarCnt: 0
; Occupancy: 16
; WaveLimiterHint : 0
; COMPUTE_PGM_RSRC2:SCRATCH_EN: 0
; COMPUTE_PGM_RSRC2:USER_SGPR: 2
; COMPUTE_PGM_RSRC2:TRAP_HANDLER: 0
; COMPUTE_PGM_RSRC2:TGID_X_EN: 1
; COMPUTE_PGM_RSRC2:TGID_Y_EN: 0
; COMPUTE_PGM_RSRC2:TGID_Z_EN: 0
; COMPUTE_PGM_RSRC2:TIDIG_COMP_CNT: 0
	.section	.text._ZN7rocprim17ROCPRIM_400000_NS6detail17trampoline_kernelINS0_14default_configENS1_35radix_sort_onesweep_config_selectorImNS0_10empty_typeEEEZZNS1_29radix_sort_onesweep_iterationIS3_Lb0EPKmPmPS5_SB_mNS0_19identity_decomposerENS1_16block_id_wrapperIjLb1EEEEE10hipError_tT1_PNSt15iterator_traitsISG_E10value_typeET2_T3_PNSH_ISM_E10value_typeET4_T5_PSR_SS_PNS1_23onesweep_lookback_stateEbbT6_jjT7_P12ihipStream_tbENKUlT_T0_SG_SL_E_clISA_SA_SB_SB_EEDaSZ_S10_SG_SL_EUlSZ_E_NS1_11comp_targetILNS1_3genE10ELNS1_11target_archE1201ELNS1_3gpuE5ELNS1_3repE0EEENS1_47radix_sort_onesweep_sort_config_static_selectorELNS0_4arch9wavefront6targetE0EEEvSG_,"axG",@progbits,_ZN7rocprim17ROCPRIM_400000_NS6detail17trampoline_kernelINS0_14default_configENS1_35radix_sort_onesweep_config_selectorImNS0_10empty_typeEEEZZNS1_29radix_sort_onesweep_iterationIS3_Lb0EPKmPmPS5_SB_mNS0_19identity_decomposerENS1_16block_id_wrapperIjLb1EEEEE10hipError_tT1_PNSt15iterator_traitsISG_E10value_typeET2_T3_PNSH_ISM_E10value_typeET4_T5_PSR_SS_PNS1_23onesweep_lookback_stateEbbT6_jjT7_P12ihipStream_tbENKUlT_T0_SG_SL_E_clISA_SA_SB_SB_EEDaSZ_S10_SG_SL_EUlSZ_E_NS1_11comp_targetILNS1_3genE10ELNS1_11target_archE1201ELNS1_3gpuE5ELNS1_3repE0EEENS1_47radix_sort_onesweep_sort_config_static_selectorELNS0_4arch9wavefront6targetE0EEEvSG_,comdat
	.protected	_ZN7rocprim17ROCPRIM_400000_NS6detail17trampoline_kernelINS0_14default_configENS1_35radix_sort_onesweep_config_selectorImNS0_10empty_typeEEEZZNS1_29radix_sort_onesweep_iterationIS3_Lb0EPKmPmPS5_SB_mNS0_19identity_decomposerENS1_16block_id_wrapperIjLb1EEEEE10hipError_tT1_PNSt15iterator_traitsISG_E10value_typeET2_T3_PNSH_ISM_E10value_typeET4_T5_PSR_SS_PNS1_23onesweep_lookback_stateEbbT6_jjT7_P12ihipStream_tbENKUlT_T0_SG_SL_E_clISA_SA_SB_SB_EEDaSZ_S10_SG_SL_EUlSZ_E_NS1_11comp_targetILNS1_3genE10ELNS1_11target_archE1201ELNS1_3gpuE5ELNS1_3repE0EEENS1_47radix_sort_onesweep_sort_config_static_selectorELNS0_4arch9wavefront6targetE0EEEvSG_ ; -- Begin function _ZN7rocprim17ROCPRIM_400000_NS6detail17trampoline_kernelINS0_14default_configENS1_35radix_sort_onesweep_config_selectorImNS0_10empty_typeEEEZZNS1_29radix_sort_onesweep_iterationIS3_Lb0EPKmPmPS5_SB_mNS0_19identity_decomposerENS1_16block_id_wrapperIjLb1EEEEE10hipError_tT1_PNSt15iterator_traitsISG_E10value_typeET2_T3_PNSH_ISM_E10value_typeET4_T5_PSR_SS_PNS1_23onesweep_lookback_stateEbbT6_jjT7_P12ihipStream_tbENKUlT_T0_SG_SL_E_clISA_SA_SB_SB_EEDaSZ_S10_SG_SL_EUlSZ_E_NS1_11comp_targetILNS1_3genE10ELNS1_11target_archE1201ELNS1_3gpuE5ELNS1_3repE0EEENS1_47radix_sort_onesweep_sort_config_static_selectorELNS0_4arch9wavefront6targetE0EEEvSG_
	.globl	_ZN7rocprim17ROCPRIM_400000_NS6detail17trampoline_kernelINS0_14default_configENS1_35radix_sort_onesweep_config_selectorImNS0_10empty_typeEEEZZNS1_29radix_sort_onesweep_iterationIS3_Lb0EPKmPmPS5_SB_mNS0_19identity_decomposerENS1_16block_id_wrapperIjLb1EEEEE10hipError_tT1_PNSt15iterator_traitsISG_E10value_typeET2_T3_PNSH_ISM_E10value_typeET4_T5_PSR_SS_PNS1_23onesweep_lookback_stateEbbT6_jjT7_P12ihipStream_tbENKUlT_T0_SG_SL_E_clISA_SA_SB_SB_EEDaSZ_S10_SG_SL_EUlSZ_E_NS1_11comp_targetILNS1_3genE10ELNS1_11target_archE1201ELNS1_3gpuE5ELNS1_3repE0EEENS1_47radix_sort_onesweep_sort_config_static_selectorELNS0_4arch9wavefront6targetE0EEEvSG_
	.p2align	8
	.type	_ZN7rocprim17ROCPRIM_400000_NS6detail17trampoline_kernelINS0_14default_configENS1_35radix_sort_onesweep_config_selectorImNS0_10empty_typeEEEZZNS1_29radix_sort_onesweep_iterationIS3_Lb0EPKmPmPS5_SB_mNS0_19identity_decomposerENS1_16block_id_wrapperIjLb1EEEEE10hipError_tT1_PNSt15iterator_traitsISG_E10value_typeET2_T3_PNSH_ISM_E10value_typeET4_T5_PSR_SS_PNS1_23onesweep_lookback_stateEbbT6_jjT7_P12ihipStream_tbENKUlT_T0_SG_SL_E_clISA_SA_SB_SB_EEDaSZ_S10_SG_SL_EUlSZ_E_NS1_11comp_targetILNS1_3genE10ELNS1_11target_archE1201ELNS1_3gpuE5ELNS1_3repE0EEENS1_47radix_sort_onesweep_sort_config_static_selectorELNS0_4arch9wavefront6targetE0EEEvSG_,@function
_ZN7rocprim17ROCPRIM_400000_NS6detail17trampoline_kernelINS0_14default_configENS1_35radix_sort_onesweep_config_selectorImNS0_10empty_typeEEEZZNS1_29radix_sort_onesweep_iterationIS3_Lb0EPKmPmPS5_SB_mNS0_19identity_decomposerENS1_16block_id_wrapperIjLb1EEEEE10hipError_tT1_PNSt15iterator_traitsISG_E10value_typeET2_T3_PNSH_ISM_E10value_typeET4_T5_PSR_SS_PNS1_23onesweep_lookback_stateEbbT6_jjT7_P12ihipStream_tbENKUlT_T0_SG_SL_E_clISA_SA_SB_SB_EEDaSZ_S10_SG_SL_EUlSZ_E_NS1_11comp_targetILNS1_3genE10ELNS1_11target_archE1201ELNS1_3gpuE5ELNS1_3repE0EEENS1_47radix_sort_onesweep_sort_config_static_selectorELNS0_4arch9wavefront6targetE0EEEvSG_: ; @_ZN7rocprim17ROCPRIM_400000_NS6detail17trampoline_kernelINS0_14default_configENS1_35radix_sort_onesweep_config_selectorImNS0_10empty_typeEEEZZNS1_29radix_sort_onesweep_iterationIS3_Lb0EPKmPmPS5_SB_mNS0_19identity_decomposerENS1_16block_id_wrapperIjLb1EEEEE10hipError_tT1_PNSt15iterator_traitsISG_E10value_typeET2_T3_PNSH_ISM_E10value_typeET4_T5_PSR_SS_PNS1_23onesweep_lookback_stateEbbT6_jjT7_P12ihipStream_tbENKUlT_T0_SG_SL_E_clISA_SA_SB_SB_EEDaSZ_S10_SG_SL_EUlSZ_E_NS1_11comp_targetILNS1_3genE10ELNS1_11target_archE1201ELNS1_3gpuE5ELNS1_3repE0EEENS1_47radix_sort_onesweep_sort_config_static_selectorELNS0_4arch9wavefront6targetE0EEEvSG_
; %bb.0:
	.section	.rodata,"a",@progbits
	.p2align	6, 0x0
	.amdhsa_kernel _ZN7rocprim17ROCPRIM_400000_NS6detail17trampoline_kernelINS0_14default_configENS1_35radix_sort_onesweep_config_selectorImNS0_10empty_typeEEEZZNS1_29radix_sort_onesweep_iterationIS3_Lb0EPKmPmPS5_SB_mNS0_19identity_decomposerENS1_16block_id_wrapperIjLb1EEEEE10hipError_tT1_PNSt15iterator_traitsISG_E10value_typeET2_T3_PNSH_ISM_E10value_typeET4_T5_PSR_SS_PNS1_23onesweep_lookback_stateEbbT6_jjT7_P12ihipStream_tbENKUlT_T0_SG_SL_E_clISA_SA_SB_SB_EEDaSZ_S10_SG_SL_EUlSZ_E_NS1_11comp_targetILNS1_3genE10ELNS1_11target_archE1201ELNS1_3gpuE5ELNS1_3repE0EEENS1_47radix_sort_onesweep_sort_config_static_selectorELNS0_4arch9wavefront6targetE0EEEvSG_
		.amdhsa_group_segment_fixed_size 0
		.amdhsa_private_segment_fixed_size 0
		.amdhsa_kernarg_size 88
		.amdhsa_user_sgpr_count 2
		.amdhsa_user_sgpr_dispatch_ptr 0
		.amdhsa_user_sgpr_queue_ptr 0
		.amdhsa_user_sgpr_kernarg_segment_ptr 1
		.amdhsa_user_sgpr_dispatch_id 0
		.amdhsa_user_sgpr_kernarg_preload_length 0
		.amdhsa_user_sgpr_kernarg_preload_offset 0
		.amdhsa_user_sgpr_private_segment_size 0
		.amdhsa_wavefront_size32 1
		.amdhsa_uses_dynamic_stack 0
		.amdhsa_enable_private_segment 0
		.amdhsa_system_sgpr_workgroup_id_x 1
		.amdhsa_system_sgpr_workgroup_id_y 0
		.amdhsa_system_sgpr_workgroup_id_z 0
		.amdhsa_system_sgpr_workgroup_info 0
		.amdhsa_system_vgpr_workitem_id 0
		.amdhsa_next_free_vgpr 1
		.amdhsa_next_free_sgpr 1
		.amdhsa_named_barrier_count 0
		.amdhsa_reserve_vcc 0
		.amdhsa_float_round_mode_32 0
		.amdhsa_float_round_mode_16_64 0
		.amdhsa_float_denorm_mode_32 3
		.amdhsa_float_denorm_mode_16_64 3
		.amdhsa_fp16_overflow 0
		.amdhsa_memory_ordered 1
		.amdhsa_forward_progress 1
		.amdhsa_inst_pref_size 0
		.amdhsa_round_robin_scheduling 0
		.amdhsa_exception_fp_ieee_invalid_op 0
		.amdhsa_exception_fp_denorm_src 0
		.amdhsa_exception_fp_ieee_div_zero 0
		.amdhsa_exception_fp_ieee_overflow 0
		.amdhsa_exception_fp_ieee_underflow 0
		.amdhsa_exception_fp_ieee_inexact 0
		.amdhsa_exception_int_div_zero 0
	.end_amdhsa_kernel
	.section	.text._ZN7rocprim17ROCPRIM_400000_NS6detail17trampoline_kernelINS0_14default_configENS1_35radix_sort_onesweep_config_selectorImNS0_10empty_typeEEEZZNS1_29radix_sort_onesweep_iterationIS3_Lb0EPKmPmPS5_SB_mNS0_19identity_decomposerENS1_16block_id_wrapperIjLb1EEEEE10hipError_tT1_PNSt15iterator_traitsISG_E10value_typeET2_T3_PNSH_ISM_E10value_typeET4_T5_PSR_SS_PNS1_23onesweep_lookback_stateEbbT6_jjT7_P12ihipStream_tbENKUlT_T0_SG_SL_E_clISA_SA_SB_SB_EEDaSZ_S10_SG_SL_EUlSZ_E_NS1_11comp_targetILNS1_3genE10ELNS1_11target_archE1201ELNS1_3gpuE5ELNS1_3repE0EEENS1_47radix_sort_onesweep_sort_config_static_selectorELNS0_4arch9wavefront6targetE0EEEvSG_,"axG",@progbits,_ZN7rocprim17ROCPRIM_400000_NS6detail17trampoline_kernelINS0_14default_configENS1_35radix_sort_onesweep_config_selectorImNS0_10empty_typeEEEZZNS1_29radix_sort_onesweep_iterationIS3_Lb0EPKmPmPS5_SB_mNS0_19identity_decomposerENS1_16block_id_wrapperIjLb1EEEEE10hipError_tT1_PNSt15iterator_traitsISG_E10value_typeET2_T3_PNSH_ISM_E10value_typeET4_T5_PSR_SS_PNS1_23onesweep_lookback_stateEbbT6_jjT7_P12ihipStream_tbENKUlT_T0_SG_SL_E_clISA_SA_SB_SB_EEDaSZ_S10_SG_SL_EUlSZ_E_NS1_11comp_targetILNS1_3genE10ELNS1_11target_archE1201ELNS1_3gpuE5ELNS1_3repE0EEENS1_47radix_sort_onesweep_sort_config_static_selectorELNS0_4arch9wavefront6targetE0EEEvSG_,comdat
.Lfunc_end3006:
	.size	_ZN7rocprim17ROCPRIM_400000_NS6detail17trampoline_kernelINS0_14default_configENS1_35radix_sort_onesweep_config_selectorImNS0_10empty_typeEEEZZNS1_29radix_sort_onesweep_iterationIS3_Lb0EPKmPmPS5_SB_mNS0_19identity_decomposerENS1_16block_id_wrapperIjLb1EEEEE10hipError_tT1_PNSt15iterator_traitsISG_E10value_typeET2_T3_PNSH_ISM_E10value_typeET4_T5_PSR_SS_PNS1_23onesweep_lookback_stateEbbT6_jjT7_P12ihipStream_tbENKUlT_T0_SG_SL_E_clISA_SA_SB_SB_EEDaSZ_S10_SG_SL_EUlSZ_E_NS1_11comp_targetILNS1_3genE10ELNS1_11target_archE1201ELNS1_3gpuE5ELNS1_3repE0EEENS1_47radix_sort_onesweep_sort_config_static_selectorELNS0_4arch9wavefront6targetE0EEEvSG_, .Lfunc_end3006-_ZN7rocprim17ROCPRIM_400000_NS6detail17trampoline_kernelINS0_14default_configENS1_35radix_sort_onesweep_config_selectorImNS0_10empty_typeEEEZZNS1_29radix_sort_onesweep_iterationIS3_Lb0EPKmPmPS5_SB_mNS0_19identity_decomposerENS1_16block_id_wrapperIjLb1EEEEE10hipError_tT1_PNSt15iterator_traitsISG_E10value_typeET2_T3_PNSH_ISM_E10value_typeET4_T5_PSR_SS_PNS1_23onesweep_lookback_stateEbbT6_jjT7_P12ihipStream_tbENKUlT_T0_SG_SL_E_clISA_SA_SB_SB_EEDaSZ_S10_SG_SL_EUlSZ_E_NS1_11comp_targetILNS1_3genE10ELNS1_11target_archE1201ELNS1_3gpuE5ELNS1_3repE0EEENS1_47radix_sort_onesweep_sort_config_static_selectorELNS0_4arch9wavefront6targetE0EEEvSG_
                                        ; -- End function
	.set _ZN7rocprim17ROCPRIM_400000_NS6detail17trampoline_kernelINS0_14default_configENS1_35radix_sort_onesweep_config_selectorImNS0_10empty_typeEEEZZNS1_29radix_sort_onesweep_iterationIS3_Lb0EPKmPmPS5_SB_mNS0_19identity_decomposerENS1_16block_id_wrapperIjLb1EEEEE10hipError_tT1_PNSt15iterator_traitsISG_E10value_typeET2_T3_PNSH_ISM_E10value_typeET4_T5_PSR_SS_PNS1_23onesweep_lookback_stateEbbT6_jjT7_P12ihipStream_tbENKUlT_T0_SG_SL_E_clISA_SA_SB_SB_EEDaSZ_S10_SG_SL_EUlSZ_E_NS1_11comp_targetILNS1_3genE10ELNS1_11target_archE1201ELNS1_3gpuE5ELNS1_3repE0EEENS1_47radix_sort_onesweep_sort_config_static_selectorELNS0_4arch9wavefront6targetE0EEEvSG_.num_vgpr, 0
	.set _ZN7rocprim17ROCPRIM_400000_NS6detail17trampoline_kernelINS0_14default_configENS1_35radix_sort_onesweep_config_selectorImNS0_10empty_typeEEEZZNS1_29radix_sort_onesweep_iterationIS3_Lb0EPKmPmPS5_SB_mNS0_19identity_decomposerENS1_16block_id_wrapperIjLb1EEEEE10hipError_tT1_PNSt15iterator_traitsISG_E10value_typeET2_T3_PNSH_ISM_E10value_typeET4_T5_PSR_SS_PNS1_23onesweep_lookback_stateEbbT6_jjT7_P12ihipStream_tbENKUlT_T0_SG_SL_E_clISA_SA_SB_SB_EEDaSZ_S10_SG_SL_EUlSZ_E_NS1_11comp_targetILNS1_3genE10ELNS1_11target_archE1201ELNS1_3gpuE5ELNS1_3repE0EEENS1_47radix_sort_onesweep_sort_config_static_selectorELNS0_4arch9wavefront6targetE0EEEvSG_.num_agpr, 0
	.set _ZN7rocprim17ROCPRIM_400000_NS6detail17trampoline_kernelINS0_14default_configENS1_35radix_sort_onesweep_config_selectorImNS0_10empty_typeEEEZZNS1_29radix_sort_onesweep_iterationIS3_Lb0EPKmPmPS5_SB_mNS0_19identity_decomposerENS1_16block_id_wrapperIjLb1EEEEE10hipError_tT1_PNSt15iterator_traitsISG_E10value_typeET2_T3_PNSH_ISM_E10value_typeET4_T5_PSR_SS_PNS1_23onesweep_lookback_stateEbbT6_jjT7_P12ihipStream_tbENKUlT_T0_SG_SL_E_clISA_SA_SB_SB_EEDaSZ_S10_SG_SL_EUlSZ_E_NS1_11comp_targetILNS1_3genE10ELNS1_11target_archE1201ELNS1_3gpuE5ELNS1_3repE0EEENS1_47radix_sort_onesweep_sort_config_static_selectorELNS0_4arch9wavefront6targetE0EEEvSG_.numbered_sgpr, 0
	.set _ZN7rocprim17ROCPRIM_400000_NS6detail17trampoline_kernelINS0_14default_configENS1_35radix_sort_onesweep_config_selectorImNS0_10empty_typeEEEZZNS1_29radix_sort_onesweep_iterationIS3_Lb0EPKmPmPS5_SB_mNS0_19identity_decomposerENS1_16block_id_wrapperIjLb1EEEEE10hipError_tT1_PNSt15iterator_traitsISG_E10value_typeET2_T3_PNSH_ISM_E10value_typeET4_T5_PSR_SS_PNS1_23onesweep_lookback_stateEbbT6_jjT7_P12ihipStream_tbENKUlT_T0_SG_SL_E_clISA_SA_SB_SB_EEDaSZ_S10_SG_SL_EUlSZ_E_NS1_11comp_targetILNS1_3genE10ELNS1_11target_archE1201ELNS1_3gpuE5ELNS1_3repE0EEENS1_47radix_sort_onesweep_sort_config_static_selectorELNS0_4arch9wavefront6targetE0EEEvSG_.num_named_barrier, 0
	.set _ZN7rocprim17ROCPRIM_400000_NS6detail17trampoline_kernelINS0_14default_configENS1_35radix_sort_onesweep_config_selectorImNS0_10empty_typeEEEZZNS1_29radix_sort_onesweep_iterationIS3_Lb0EPKmPmPS5_SB_mNS0_19identity_decomposerENS1_16block_id_wrapperIjLb1EEEEE10hipError_tT1_PNSt15iterator_traitsISG_E10value_typeET2_T3_PNSH_ISM_E10value_typeET4_T5_PSR_SS_PNS1_23onesweep_lookback_stateEbbT6_jjT7_P12ihipStream_tbENKUlT_T0_SG_SL_E_clISA_SA_SB_SB_EEDaSZ_S10_SG_SL_EUlSZ_E_NS1_11comp_targetILNS1_3genE10ELNS1_11target_archE1201ELNS1_3gpuE5ELNS1_3repE0EEENS1_47radix_sort_onesweep_sort_config_static_selectorELNS0_4arch9wavefront6targetE0EEEvSG_.private_seg_size, 0
	.set _ZN7rocprim17ROCPRIM_400000_NS6detail17trampoline_kernelINS0_14default_configENS1_35radix_sort_onesweep_config_selectorImNS0_10empty_typeEEEZZNS1_29radix_sort_onesweep_iterationIS3_Lb0EPKmPmPS5_SB_mNS0_19identity_decomposerENS1_16block_id_wrapperIjLb1EEEEE10hipError_tT1_PNSt15iterator_traitsISG_E10value_typeET2_T3_PNSH_ISM_E10value_typeET4_T5_PSR_SS_PNS1_23onesweep_lookback_stateEbbT6_jjT7_P12ihipStream_tbENKUlT_T0_SG_SL_E_clISA_SA_SB_SB_EEDaSZ_S10_SG_SL_EUlSZ_E_NS1_11comp_targetILNS1_3genE10ELNS1_11target_archE1201ELNS1_3gpuE5ELNS1_3repE0EEENS1_47radix_sort_onesweep_sort_config_static_selectorELNS0_4arch9wavefront6targetE0EEEvSG_.uses_vcc, 0
	.set _ZN7rocprim17ROCPRIM_400000_NS6detail17trampoline_kernelINS0_14default_configENS1_35radix_sort_onesweep_config_selectorImNS0_10empty_typeEEEZZNS1_29radix_sort_onesweep_iterationIS3_Lb0EPKmPmPS5_SB_mNS0_19identity_decomposerENS1_16block_id_wrapperIjLb1EEEEE10hipError_tT1_PNSt15iterator_traitsISG_E10value_typeET2_T3_PNSH_ISM_E10value_typeET4_T5_PSR_SS_PNS1_23onesweep_lookback_stateEbbT6_jjT7_P12ihipStream_tbENKUlT_T0_SG_SL_E_clISA_SA_SB_SB_EEDaSZ_S10_SG_SL_EUlSZ_E_NS1_11comp_targetILNS1_3genE10ELNS1_11target_archE1201ELNS1_3gpuE5ELNS1_3repE0EEENS1_47radix_sort_onesweep_sort_config_static_selectorELNS0_4arch9wavefront6targetE0EEEvSG_.uses_flat_scratch, 0
	.set _ZN7rocprim17ROCPRIM_400000_NS6detail17trampoline_kernelINS0_14default_configENS1_35radix_sort_onesweep_config_selectorImNS0_10empty_typeEEEZZNS1_29radix_sort_onesweep_iterationIS3_Lb0EPKmPmPS5_SB_mNS0_19identity_decomposerENS1_16block_id_wrapperIjLb1EEEEE10hipError_tT1_PNSt15iterator_traitsISG_E10value_typeET2_T3_PNSH_ISM_E10value_typeET4_T5_PSR_SS_PNS1_23onesweep_lookback_stateEbbT6_jjT7_P12ihipStream_tbENKUlT_T0_SG_SL_E_clISA_SA_SB_SB_EEDaSZ_S10_SG_SL_EUlSZ_E_NS1_11comp_targetILNS1_3genE10ELNS1_11target_archE1201ELNS1_3gpuE5ELNS1_3repE0EEENS1_47radix_sort_onesweep_sort_config_static_selectorELNS0_4arch9wavefront6targetE0EEEvSG_.has_dyn_sized_stack, 0
	.set _ZN7rocprim17ROCPRIM_400000_NS6detail17trampoline_kernelINS0_14default_configENS1_35radix_sort_onesweep_config_selectorImNS0_10empty_typeEEEZZNS1_29radix_sort_onesweep_iterationIS3_Lb0EPKmPmPS5_SB_mNS0_19identity_decomposerENS1_16block_id_wrapperIjLb1EEEEE10hipError_tT1_PNSt15iterator_traitsISG_E10value_typeET2_T3_PNSH_ISM_E10value_typeET4_T5_PSR_SS_PNS1_23onesweep_lookback_stateEbbT6_jjT7_P12ihipStream_tbENKUlT_T0_SG_SL_E_clISA_SA_SB_SB_EEDaSZ_S10_SG_SL_EUlSZ_E_NS1_11comp_targetILNS1_3genE10ELNS1_11target_archE1201ELNS1_3gpuE5ELNS1_3repE0EEENS1_47radix_sort_onesweep_sort_config_static_selectorELNS0_4arch9wavefront6targetE0EEEvSG_.has_recursion, 0
	.set _ZN7rocprim17ROCPRIM_400000_NS6detail17trampoline_kernelINS0_14default_configENS1_35radix_sort_onesweep_config_selectorImNS0_10empty_typeEEEZZNS1_29radix_sort_onesweep_iterationIS3_Lb0EPKmPmPS5_SB_mNS0_19identity_decomposerENS1_16block_id_wrapperIjLb1EEEEE10hipError_tT1_PNSt15iterator_traitsISG_E10value_typeET2_T3_PNSH_ISM_E10value_typeET4_T5_PSR_SS_PNS1_23onesweep_lookback_stateEbbT6_jjT7_P12ihipStream_tbENKUlT_T0_SG_SL_E_clISA_SA_SB_SB_EEDaSZ_S10_SG_SL_EUlSZ_E_NS1_11comp_targetILNS1_3genE10ELNS1_11target_archE1201ELNS1_3gpuE5ELNS1_3repE0EEENS1_47radix_sort_onesweep_sort_config_static_selectorELNS0_4arch9wavefront6targetE0EEEvSG_.has_indirect_call, 0
	.section	.AMDGPU.csdata,"",@progbits
; Kernel info:
; codeLenInByte = 0
; TotalNumSgprs: 0
; NumVgprs: 0
; ScratchSize: 0
; MemoryBound: 0
; FloatMode: 240
; IeeeMode: 1
; LDSByteSize: 0 bytes/workgroup (compile time only)
; SGPRBlocks: 0
; VGPRBlocks: 0
; NumSGPRsForWavesPerEU: 1
; NumVGPRsForWavesPerEU: 1
; NamedBarCnt: 0
; Occupancy: 16
; WaveLimiterHint : 0
; COMPUTE_PGM_RSRC2:SCRATCH_EN: 0
; COMPUTE_PGM_RSRC2:USER_SGPR: 2
; COMPUTE_PGM_RSRC2:TRAP_HANDLER: 0
; COMPUTE_PGM_RSRC2:TGID_X_EN: 1
; COMPUTE_PGM_RSRC2:TGID_Y_EN: 0
; COMPUTE_PGM_RSRC2:TGID_Z_EN: 0
; COMPUTE_PGM_RSRC2:TIDIG_COMP_CNT: 0
	.section	.text._ZN7rocprim17ROCPRIM_400000_NS6detail17trampoline_kernelINS0_14default_configENS1_35radix_sort_onesweep_config_selectorImNS0_10empty_typeEEEZZNS1_29radix_sort_onesweep_iterationIS3_Lb0EPKmPmPS5_SB_mNS0_19identity_decomposerENS1_16block_id_wrapperIjLb1EEEEE10hipError_tT1_PNSt15iterator_traitsISG_E10value_typeET2_T3_PNSH_ISM_E10value_typeET4_T5_PSR_SS_PNS1_23onesweep_lookback_stateEbbT6_jjT7_P12ihipStream_tbENKUlT_T0_SG_SL_E_clISA_SA_SB_SB_EEDaSZ_S10_SG_SL_EUlSZ_E_NS1_11comp_targetILNS1_3genE9ELNS1_11target_archE1100ELNS1_3gpuE3ELNS1_3repE0EEENS1_47radix_sort_onesweep_sort_config_static_selectorELNS0_4arch9wavefront6targetE0EEEvSG_,"axG",@progbits,_ZN7rocprim17ROCPRIM_400000_NS6detail17trampoline_kernelINS0_14default_configENS1_35radix_sort_onesweep_config_selectorImNS0_10empty_typeEEEZZNS1_29radix_sort_onesweep_iterationIS3_Lb0EPKmPmPS5_SB_mNS0_19identity_decomposerENS1_16block_id_wrapperIjLb1EEEEE10hipError_tT1_PNSt15iterator_traitsISG_E10value_typeET2_T3_PNSH_ISM_E10value_typeET4_T5_PSR_SS_PNS1_23onesweep_lookback_stateEbbT6_jjT7_P12ihipStream_tbENKUlT_T0_SG_SL_E_clISA_SA_SB_SB_EEDaSZ_S10_SG_SL_EUlSZ_E_NS1_11comp_targetILNS1_3genE9ELNS1_11target_archE1100ELNS1_3gpuE3ELNS1_3repE0EEENS1_47radix_sort_onesweep_sort_config_static_selectorELNS0_4arch9wavefront6targetE0EEEvSG_,comdat
	.protected	_ZN7rocprim17ROCPRIM_400000_NS6detail17trampoline_kernelINS0_14default_configENS1_35radix_sort_onesweep_config_selectorImNS0_10empty_typeEEEZZNS1_29radix_sort_onesweep_iterationIS3_Lb0EPKmPmPS5_SB_mNS0_19identity_decomposerENS1_16block_id_wrapperIjLb1EEEEE10hipError_tT1_PNSt15iterator_traitsISG_E10value_typeET2_T3_PNSH_ISM_E10value_typeET4_T5_PSR_SS_PNS1_23onesweep_lookback_stateEbbT6_jjT7_P12ihipStream_tbENKUlT_T0_SG_SL_E_clISA_SA_SB_SB_EEDaSZ_S10_SG_SL_EUlSZ_E_NS1_11comp_targetILNS1_3genE9ELNS1_11target_archE1100ELNS1_3gpuE3ELNS1_3repE0EEENS1_47radix_sort_onesweep_sort_config_static_selectorELNS0_4arch9wavefront6targetE0EEEvSG_ ; -- Begin function _ZN7rocprim17ROCPRIM_400000_NS6detail17trampoline_kernelINS0_14default_configENS1_35radix_sort_onesweep_config_selectorImNS0_10empty_typeEEEZZNS1_29radix_sort_onesweep_iterationIS3_Lb0EPKmPmPS5_SB_mNS0_19identity_decomposerENS1_16block_id_wrapperIjLb1EEEEE10hipError_tT1_PNSt15iterator_traitsISG_E10value_typeET2_T3_PNSH_ISM_E10value_typeET4_T5_PSR_SS_PNS1_23onesweep_lookback_stateEbbT6_jjT7_P12ihipStream_tbENKUlT_T0_SG_SL_E_clISA_SA_SB_SB_EEDaSZ_S10_SG_SL_EUlSZ_E_NS1_11comp_targetILNS1_3genE9ELNS1_11target_archE1100ELNS1_3gpuE3ELNS1_3repE0EEENS1_47radix_sort_onesweep_sort_config_static_selectorELNS0_4arch9wavefront6targetE0EEEvSG_
	.globl	_ZN7rocprim17ROCPRIM_400000_NS6detail17trampoline_kernelINS0_14default_configENS1_35radix_sort_onesweep_config_selectorImNS0_10empty_typeEEEZZNS1_29radix_sort_onesweep_iterationIS3_Lb0EPKmPmPS5_SB_mNS0_19identity_decomposerENS1_16block_id_wrapperIjLb1EEEEE10hipError_tT1_PNSt15iterator_traitsISG_E10value_typeET2_T3_PNSH_ISM_E10value_typeET4_T5_PSR_SS_PNS1_23onesweep_lookback_stateEbbT6_jjT7_P12ihipStream_tbENKUlT_T0_SG_SL_E_clISA_SA_SB_SB_EEDaSZ_S10_SG_SL_EUlSZ_E_NS1_11comp_targetILNS1_3genE9ELNS1_11target_archE1100ELNS1_3gpuE3ELNS1_3repE0EEENS1_47radix_sort_onesweep_sort_config_static_selectorELNS0_4arch9wavefront6targetE0EEEvSG_
	.p2align	8
	.type	_ZN7rocprim17ROCPRIM_400000_NS6detail17trampoline_kernelINS0_14default_configENS1_35radix_sort_onesweep_config_selectorImNS0_10empty_typeEEEZZNS1_29radix_sort_onesweep_iterationIS3_Lb0EPKmPmPS5_SB_mNS0_19identity_decomposerENS1_16block_id_wrapperIjLb1EEEEE10hipError_tT1_PNSt15iterator_traitsISG_E10value_typeET2_T3_PNSH_ISM_E10value_typeET4_T5_PSR_SS_PNS1_23onesweep_lookback_stateEbbT6_jjT7_P12ihipStream_tbENKUlT_T0_SG_SL_E_clISA_SA_SB_SB_EEDaSZ_S10_SG_SL_EUlSZ_E_NS1_11comp_targetILNS1_3genE9ELNS1_11target_archE1100ELNS1_3gpuE3ELNS1_3repE0EEENS1_47radix_sort_onesweep_sort_config_static_selectorELNS0_4arch9wavefront6targetE0EEEvSG_,@function
_ZN7rocprim17ROCPRIM_400000_NS6detail17trampoline_kernelINS0_14default_configENS1_35radix_sort_onesweep_config_selectorImNS0_10empty_typeEEEZZNS1_29radix_sort_onesweep_iterationIS3_Lb0EPKmPmPS5_SB_mNS0_19identity_decomposerENS1_16block_id_wrapperIjLb1EEEEE10hipError_tT1_PNSt15iterator_traitsISG_E10value_typeET2_T3_PNSH_ISM_E10value_typeET4_T5_PSR_SS_PNS1_23onesweep_lookback_stateEbbT6_jjT7_P12ihipStream_tbENKUlT_T0_SG_SL_E_clISA_SA_SB_SB_EEDaSZ_S10_SG_SL_EUlSZ_E_NS1_11comp_targetILNS1_3genE9ELNS1_11target_archE1100ELNS1_3gpuE3ELNS1_3repE0EEENS1_47radix_sort_onesweep_sort_config_static_selectorELNS0_4arch9wavefront6targetE0EEEvSG_: ; @_ZN7rocprim17ROCPRIM_400000_NS6detail17trampoline_kernelINS0_14default_configENS1_35radix_sort_onesweep_config_selectorImNS0_10empty_typeEEEZZNS1_29radix_sort_onesweep_iterationIS3_Lb0EPKmPmPS5_SB_mNS0_19identity_decomposerENS1_16block_id_wrapperIjLb1EEEEE10hipError_tT1_PNSt15iterator_traitsISG_E10value_typeET2_T3_PNSH_ISM_E10value_typeET4_T5_PSR_SS_PNS1_23onesweep_lookback_stateEbbT6_jjT7_P12ihipStream_tbENKUlT_T0_SG_SL_E_clISA_SA_SB_SB_EEDaSZ_S10_SG_SL_EUlSZ_E_NS1_11comp_targetILNS1_3genE9ELNS1_11target_archE1100ELNS1_3gpuE3ELNS1_3repE0EEENS1_47radix_sort_onesweep_sort_config_static_selectorELNS0_4arch9wavefront6targetE0EEEvSG_
; %bb.0:
	.section	.rodata,"a",@progbits
	.p2align	6, 0x0
	.amdhsa_kernel _ZN7rocprim17ROCPRIM_400000_NS6detail17trampoline_kernelINS0_14default_configENS1_35radix_sort_onesweep_config_selectorImNS0_10empty_typeEEEZZNS1_29radix_sort_onesweep_iterationIS3_Lb0EPKmPmPS5_SB_mNS0_19identity_decomposerENS1_16block_id_wrapperIjLb1EEEEE10hipError_tT1_PNSt15iterator_traitsISG_E10value_typeET2_T3_PNSH_ISM_E10value_typeET4_T5_PSR_SS_PNS1_23onesweep_lookback_stateEbbT6_jjT7_P12ihipStream_tbENKUlT_T0_SG_SL_E_clISA_SA_SB_SB_EEDaSZ_S10_SG_SL_EUlSZ_E_NS1_11comp_targetILNS1_3genE9ELNS1_11target_archE1100ELNS1_3gpuE3ELNS1_3repE0EEENS1_47radix_sort_onesweep_sort_config_static_selectorELNS0_4arch9wavefront6targetE0EEEvSG_
		.amdhsa_group_segment_fixed_size 0
		.amdhsa_private_segment_fixed_size 0
		.amdhsa_kernarg_size 88
		.amdhsa_user_sgpr_count 2
		.amdhsa_user_sgpr_dispatch_ptr 0
		.amdhsa_user_sgpr_queue_ptr 0
		.amdhsa_user_sgpr_kernarg_segment_ptr 1
		.amdhsa_user_sgpr_dispatch_id 0
		.amdhsa_user_sgpr_kernarg_preload_length 0
		.amdhsa_user_sgpr_kernarg_preload_offset 0
		.amdhsa_user_sgpr_private_segment_size 0
		.amdhsa_wavefront_size32 1
		.amdhsa_uses_dynamic_stack 0
		.amdhsa_enable_private_segment 0
		.amdhsa_system_sgpr_workgroup_id_x 1
		.amdhsa_system_sgpr_workgroup_id_y 0
		.amdhsa_system_sgpr_workgroup_id_z 0
		.amdhsa_system_sgpr_workgroup_info 0
		.amdhsa_system_vgpr_workitem_id 0
		.amdhsa_next_free_vgpr 1
		.amdhsa_next_free_sgpr 1
		.amdhsa_named_barrier_count 0
		.amdhsa_reserve_vcc 0
		.amdhsa_float_round_mode_32 0
		.amdhsa_float_round_mode_16_64 0
		.amdhsa_float_denorm_mode_32 3
		.amdhsa_float_denorm_mode_16_64 3
		.amdhsa_fp16_overflow 0
		.amdhsa_memory_ordered 1
		.amdhsa_forward_progress 1
		.amdhsa_inst_pref_size 0
		.amdhsa_round_robin_scheduling 0
		.amdhsa_exception_fp_ieee_invalid_op 0
		.amdhsa_exception_fp_denorm_src 0
		.amdhsa_exception_fp_ieee_div_zero 0
		.amdhsa_exception_fp_ieee_overflow 0
		.amdhsa_exception_fp_ieee_underflow 0
		.amdhsa_exception_fp_ieee_inexact 0
		.amdhsa_exception_int_div_zero 0
	.end_amdhsa_kernel
	.section	.text._ZN7rocprim17ROCPRIM_400000_NS6detail17trampoline_kernelINS0_14default_configENS1_35radix_sort_onesweep_config_selectorImNS0_10empty_typeEEEZZNS1_29radix_sort_onesweep_iterationIS3_Lb0EPKmPmPS5_SB_mNS0_19identity_decomposerENS1_16block_id_wrapperIjLb1EEEEE10hipError_tT1_PNSt15iterator_traitsISG_E10value_typeET2_T3_PNSH_ISM_E10value_typeET4_T5_PSR_SS_PNS1_23onesweep_lookback_stateEbbT6_jjT7_P12ihipStream_tbENKUlT_T0_SG_SL_E_clISA_SA_SB_SB_EEDaSZ_S10_SG_SL_EUlSZ_E_NS1_11comp_targetILNS1_3genE9ELNS1_11target_archE1100ELNS1_3gpuE3ELNS1_3repE0EEENS1_47radix_sort_onesweep_sort_config_static_selectorELNS0_4arch9wavefront6targetE0EEEvSG_,"axG",@progbits,_ZN7rocprim17ROCPRIM_400000_NS6detail17trampoline_kernelINS0_14default_configENS1_35radix_sort_onesweep_config_selectorImNS0_10empty_typeEEEZZNS1_29radix_sort_onesweep_iterationIS3_Lb0EPKmPmPS5_SB_mNS0_19identity_decomposerENS1_16block_id_wrapperIjLb1EEEEE10hipError_tT1_PNSt15iterator_traitsISG_E10value_typeET2_T3_PNSH_ISM_E10value_typeET4_T5_PSR_SS_PNS1_23onesweep_lookback_stateEbbT6_jjT7_P12ihipStream_tbENKUlT_T0_SG_SL_E_clISA_SA_SB_SB_EEDaSZ_S10_SG_SL_EUlSZ_E_NS1_11comp_targetILNS1_3genE9ELNS1_11target_archE1100ELNS1_3gpuE3ELNS1_3repE0EEENS1_47radix_sort_onesweep_sort_config_static_selectorELNS0_4arch9wavefront6targetE0EEEvSG_,comdat
.Lfunc_end3007:
	.size	_ZN7rocprim17ROCPRIM_400000_NS6detail17trampoline_kernelINS0_14default_configENS1_35radix_sort_onesweep_config_selectorImNS0_10empty_typeEEEZZNS1_29radix_sort_onesweep_iterationIS3_Lb0EPKmPmPS5_SB_mNS0_19identity_decomposerENS1_16block_id_wrapperIjLb1EEEEE10hipError_tT1_PNSt15iterator_traitsISG_E10value_typeET2_T3_PNSH_ISM_E10value_typeET4_T5_PSR_SS_PNS1_23onesweep_lookback_stateEbbT6_jjT7_P12ihipStream_tbENKUlT_T0_SG_SL_E_clISA_SA_SB_SB_EEDaSZ_S10_SG_SL_EUlSZ_E_NS1_11comp_targetILNS1_3genE9ELNS1_11target_archE1100ELNS1_3gpuE3ELNS1_3repE0EEENS1_47radix_sort_onesweep_sort_config_static_selectorELNS0_4arch9wavefront6targetE0EEEvSG_, .Lfunc_end3007-_ZN7rocprim17ROCPRIM_400000_NS6detail17trampoline_kernelINS0_14default_configENS1_35radix_sort_onesweep_config_selectorImNS0_10empty_typeEEEZZNS1_29radix_sort_onesweep_iterationIS3_Lb0EPKmPmPS5_SB_mNS0_19identity_decomposerENS1_16block_id_wrapperIjLb1EEEEE10hipError_tT1_PNSt15iterator_traitsISG_E10value_typeET2_T3_PNSH_ISM_E10value_typeET4_T5_PSR_SS_PNS1_23onesweep_lookback_stateEbbT6_jjT7_P12ihipStream_tbENKUlT_T0_SG_SL_E_clISA_SA_SB_SB_EEDaSZ_S10_SG_SL_EUlSZ_E_NS1_11comp_targetILNS1_3genE9ELNS1_11target_archE1100ELNS1_3gpuE3ELNS1_3repE0EEENS1_47radix_sort_onesweep_sort_config_static_selectorELNS0_4arch9wavefront6targetE0EEEvSG_
                                        ; -- End function
	.set _ZN7rocprim17ROCPRIM_400000_NS6detail17trampoline_kernelINS0_14default_configENS1_35radix_sort_onesweep_config_selectorImNS0_10empty_typeEEEZZNS1_29radix_sort_onesweep_iterationIS3_Lb0EPKmPmPS5_SB_mNS0_19identity_decomposerENS1_16block_id_wrapperIjLb1EEEEE10hipError_tT1_PNSt15iterator_traitsISG_E10value_typeET2_T3_PNSH_ISM_E10value_typeET4_T5_PSR_SS_PNS1_23onesweep_lookback_stateEbbT6_jjT7_P12ihipStream_tbENKUlT_T0_SG_SL_E_clISA_SA_SB_SB_EEDaSZ_S10_SG_SL_EUlSZ_E_NS1_11comp_targetILNS1_3genE9ELNS1_11target_archE1100ELNS1_3gpuE3ELNS1_3repE0EEENS1_47radix_sort_onesweep_sort_config_static_selectorELNS0_4arch9wavefront6targetE0EEEvSG_.num_vgpr, 0
	.set _ZN7rocprim17ROCPRIM_400000_NS6detail17trampoline_kernelINS0_14default_configENS1_35radix_sort_onesweep_config_selectorImNS0_10empty_typeEEEZZNS1_29radix_sort_onesweep_iterationIS3_Lb0EPKmPmPS5_SB_mNS0_19identity_decomposerENS1_16block_id_wrapperIjLb1EEEEE10hipError_tT1_PNSt15iterator_traitsISG_E10value_typeET2_T3_PNSH_ISM_E10value_typeET4_T5_PSR_SS_PNS1_23onesweep_lookback_stateEbbT6_jjT7_P12ihipStream_tbENKUlT_T0_SG_SL_E_clISA_SA_SB_SB_EEDaSZ_S10_SG_SL_EUlSZ_E_NS1_11comp_targetILNS1_3genE9ELNS1_11target_archE1100ELNS1_3gpuE3ELNS1_3repE0EEENS1_47radix_sort_onesweep_sort_config_static_selectorELNS0_4arch9wavefront6targetE0EEEvSG_.num_agpr, 0
	.set _ZN7rocprim17ROCPRIM_400000_NS6detail17trampoline_kernelINS0_14default_configENS1_35radix_sort_onesweep_config_selectorImNS0_10empty_typeEEEZZNS1_29radix_sort_onesweep_iterationIS3_Lb0EPKmPmPS5_SB_mNS0_19identity_decomposerENS1_16block_id_wrapperIjLb1EEEEE10hipError_tT1_PNSt15iterator_traitsISG_E10value_typeET2_T3_PNSH_ISM_E10value_typeET4_T5_PSR_SS_PNS1_23onesweep_lookback_stateEbbT6_jjT7_P12ihipStream_tbENKUlT_T0_SG_SL_E_clISA_SA_SB_SB_EEDaSZ_S10_SG_SL_EUlSZ_E_NS1_11comp_targetILNS1_3genE9ELNS1_11target_archE1100ELNS1_3gpuE3ELNS1_3repE0EEENS1_47radix_sort_onesweep_sort_config_static_selectorELNS0_4arch9wavefront6targetE0EEEvSG_.numbered_sgpr, 0
	.set _ZN7rocprim17ROCPRIM_400000_NS6detail17trampoline_kernelINS0_14default_configENS1_35radix_sort_onesweep_config_selectorImNS0_10empty_typeEEEZZNS1_29radix_sort_onesweep_iterationIS3_Lb0EPKmPmPS5_SB_mNS0_19identity_decomposerENS1_16block_id_wrapperIjLb1EEEEE10hipError_tT1_PNSt15iterator_traitsISG_E10value_typeET2_T3_PNSH_ISM_E10value_typeET4_T5_PSR_SS_PNS1_23onesweep_lookback_stateEbbT6_jjT7_P12ihipStream_tbENKUlT_T0_SG_SL_E_clISA_SA_SB_SB_EEDaSZ_S10_SG_SL_EUlSZ_E_NS1_11comp_targetILNS1_3genE9ELNS1_11target_archE1100ELNS1_3gpuE3ELNS1_3repE0EEENS1_47radix_sort_onesweep_sort_config_static_selectorELNS0_4arch9wavefront6targetE0EEEvSG_.num_named_barrier, 0
	.set _ZN7rocprim17ROCPRIM_400000_NS6detail17trampoline_kernelINS0_14default_configENS1_35radix_sort_onesweep_config_selectorImNS0_10empty_typeEEEZZNS1_29radix_sort_onesweep_iterationIS3_Lb0EPKmPmPS5_SB_mNS0_19identity_decomposerENS1_16block_id_wrapperIjLb1EEEEE10hipError_tT1_PNSt15iterator_traitsISG_E10value_typeET2_T3_PNSH_ISM_E10value_typeET4_T5_PSR_SS_PNS1_23onesweep_lookback_stateEbbT6_jjT7_P12ihipStream_tbENKUlT_T0_SG_SL_E_clISA_SA_SB_SB_EEDaSZ_S10_SG_SL_EUlSZ_E_NS1_11comp_targetILNS1_3genE9ELNS1_11target_archE1100ELNS1_3gpuE3ELNS1_3repE0EEENS1_47radix_sort_onesweep_sort_config_static_selectorELNS0_4arch9wavefront6targetE0EEEvSG_.private_seg_size, 0
	.set _ZN7rocprim17ROCPRIM_400000_NS6detail17trampoline_kernelINS0_14default_configENS1_35radix_sort_onesweep_config_selectorImNS0_10empty_typeEEEZZNS1_29radix_sort_onesweep_iterationIS3_Lb0EPKmPmPS5_SB_mNS0_19identity_decomposerENS1_16block_id_wrapperIjLb1EEEEE10hipError_tT1_PNSt15iterator_traitsISG_E10value_typeET2_T3_PNSH_ISM_E10value_typeET4_T5_PSR_SS_PNS1_23onesweep_lookback_stateEbbT6_jjT7_P12ihipStream_tbENKUlT_T0_SG_SL_E_clISA_SA_SB_SB_EEDaSZ_S10_SG_SL_EUlSZ_E_NS1_11comp_targetILNS1_3genE9ELNS1_11target_archE1100ELNS1_3gpuE3ELNS1_3repE0EEENS1_47radix_sort_onesweep_sort_config_static_selectorELNS0_4arch9wavefront6targetE0EEEvSG_.uses_vcc, 0
	.set _ZN7rocprim17ROCPRIM_400000_NS6detail17trampoline_kernelINS0_14default_configENS1_35radix_sort_onesweep_config_selectorImNS0_10empty_typeEEEZZNS1_29radix_sort_onesweep_iterationIS3_Lb0EPKmPmPS5_SB_mNS0_19identity_decomposerENS1_16block_id_wrapperIjLb1EEEEE10hipError_tT1_PNSt15iterator_traitsISG_E10value_typeET2_T3_PNSH_ISM_E10value_typeET4_T5_PSR_SS_PNS1_23onesweep_lookback_stateEbbT6_jjT7_P12ihipStream_tbENKUlT_T0_SG_SL_E_clISA_SA_SB_SB_EEDaSZ_S10_SG_SL_EUlSZ_E_NS1_11comp_targetILNS1_3genE9ELNS1_11target_archE1100ELNS1_3gpuE3ELNS1_3repE0EEENS1_47radix_sort_onesweep_sort_config_static_selectorELNS0_4arch9wavefront6targetE0EEEvSG_.uses_flat_scratch, 0
	.set _ZN7rocprim17ROCPRIM_400000_NS6detail17trampoline_kernelINS0_14default_configENS1_35radix_sort_onesweep_config_selectorImNS0_10empty_typeEEEZZNS1_29radix_sort_onesweep_iterationIS3_Lb0EPKmPmPS5_SB_mNS0_19identity_decomposerENS1_16block_id_wrapperIjLb1EEEEE10hipError_tT1_PNSt15iterator_traitsISG_E10value_typeET2_T3_PNSH_ISM_E10value_typeET4_T5_PSR_SS_PNS1_23onesweep_lookback_stateEbbT6_jjT7_P12ihipStream_tbENKUlT_T0_SG_SL_E_clISA_SA_SB_SB_EEDaSZ_S10_SG_SL_EUlSZ_E_NS1_11comp_targetILNS1_3genE9ELNS1_11target_archE1100ELNS1_3gpuE3ELNS1_3repE0EEENS1_47radix_sort_onesweep_sort_config_static_selectorELNS0_4arch9wavefront6targetE0EEEvSG_.has_dyn_sized_stack, 0
	.set _ZN7rocprim17ROCPRIM_400000_NS6detail17trampoline_kernelINS0_14default_configENS1_35radix_sort_onesweep_config_selectorImNS0_10empty_typeEEEZZNS1_29radix_sort_onesweep_iterationIS3_Lb0EPKmPmPS5_SB_mNS0_19identity_decomposerENS1_16block_id_wrapperIjLb1EEEEE10hipError_tT1_PNSt15iterator_traitsISG_E10value_typeET2_T3_PNSH_ISM_E10value_typeET4_T5_PSR_SS_PNS1_23onesweep_lookback_stateEbbT6_jjT7_P12ihipStream_tbENKUlT_T0_SG_SL_E_clISA_SA_SB_SB_EEDaSZ_S10_SG_SL_EUlSZ_E_NS1_11comp_targetILNS1_3genE9ELNS1_11target_archE1100ELNS1_3gpuE3ELNS1_3repE0EEENS1_47radix_sort_onesweep_sort_config_static_selectorELNS0_4arch9wavefront6targetE0EEEvSG_.has_recursion, 0
	.set _ZN7rocprim17ROCPRIM_400000_NS6detail17trampoline_kernelINS0_14default_configENS1_35radix_sort_onesweep_config_selectorImNS0_10empty_typeEEEZZNS1_29radix_sort_onesweep_iterationIS3_Lb0EPKmPmPS5_SB_mNS0_19identity_decomposerENS1_16block_id_wrapperIjLb1EEEEE10hipError_tT1_PNSt15iterator_traitsISG_E10value_typeET2_T3_PNSH_ISM_E10value_typeET4_T5_PSR_SS_PNS1_23onesweep_lookback_stateEbbT6_jjT7_P12ihipStream_tbENKUlT_T0_SG_SL_E_clISA_SA_SB_SB_EEDaSZ_S10_SG_SL_EUlSZ_E_NS1_11comp_targetILNS1_3genE9ELNS1_11target_archE1100ELNS1_3gpuE3ELNS1_3repE0EEENS1_47radix_sort_onesweep_sort_config_static_selectorELNS0_4arch9wavefront6targetE0EEEvSG_.has_indirect_call, 0
	.section	.AMDGPU.csdata,"",@progbits
; Kernel info:
; codeLenInByte = 0
; TotalNumSgprs: 0
; NumVgprs: 0
; ScratchSize: 0
; MemoryBound: 0
; FloatMode: 240
; IeeeMode: 1
; LDSByteSize: 0 bytes/workgroup (compile time only)
; SGPRBlocks: 0
; VGPRBlocks: 0
; NumSGPRsForWavesPerEU: 1
; NumVGPRsForWavesPerEU: 1
; NamedBarCnt: 0
; Occupancy: 16
; WaveLimiterHint : 0
; COMPUTE_PGM_RSRC2:SCRATCH_EN: 0
; COMPUTE_PGM_RSRC2:USER_SGPR: 2
; COMPUTE_PGM_RSRC2:TRAP_HANDLER: 0
; COMPUTE_PGM_RSRC2:TGID_X_EN: 1
; COMPUTE_PGM_RSRC2:TGID_Y_EN: 0
; COMPUTE_PGM_RSRC2:TGID_Z_EN: 0
; COMPUTE_PGM_RSRC2:TIDIG_COMP_CNT: 0
	.section	.text._ZN7rocprim17ROCPRIM_400000_NS6detail17trampoline_kernelINS0_14default_configENS1_35radix_sort_onesweep_config_selectorImNS0_10empty_typeEEEZZNS1_29radix_sort_onesweep_iterationIS3_Lb0EPKmPmPS5_SB_mNS0_19identity_decomposerENS1_16block_id_wrapperIjLb1EEEEE10hipError_tT1_PNSt15iterator_traitsISG_E10value_typeET2_T3_PNSH_ISM_E10value_typeET4_T5_PSR_SS_PNS1_23onesweep_lookback_stateEbbT6_jjT7_P12ihipStream_tbENKUlT_T0_SG_SL_E_clISA_SA_SB_SB_EEDaSZ_S10_SG_SL_EUlSZ_E_NS1_11comp_targetILNS1_3genE8ELNS1_11target_archE1030ELNS1_3gpuE2ELNS1_3repE0EEENS1_47radix_sort_onesweep_sort_config_static_selectorELNS0_4arch9wavefront6targetE0EEEvSG_,"axG",@progbits,_ZN7rocprim17ROCPRIM_400000_NS6detail17trampoline_kernelINS0_14default_configENS1_35radix_sort_onesweep_config_selectorImNS0_10empty_typeEEEZZNS1_29radix_sort_onesweep_iterationIS3_Lb0EPKmPmPS5_SB_mNS0_19identity_decomposerENS1_16block_id_wrapperIjLb1EEEEE10hipError_tT1_PNSt15iterator_traitsISG_E10value_typeET2_T3_PNSH_ISM_E10value_typeET4_T5_PSR_SS_PNS1_23onesweep_lookback_stateEbbT6_jjT7_P12ihipStream_tbENKUlT_T0_SG_SL_E_clISA_SA_SB_SB_EEDaSZ_S10_SG_SL_EUlSZ_E_NS1_11comp_targetILNS1_3genE8ELNS1_11target_archE1030ELNS1_3gpuE2ELNS1_3repE0EEENS1_47radix_sort_onesweep_sort_config_static_selectorELNS0_4arch9wavefront6targetE0EEEvSG_,comdat
	.protected	_ZN7rocprim17ROCPRIM_400000_NS6detail17trampoline_kernelINS0_14default_configENS1_35radix_sort_onesweep_config_selectorImNS0_10empty_typeEEEZZNS1_29radix_sort_onesweep_iterationIS3_Lb0EPKmPmPS5_SB_mNS0_19identity_decomposerENS1_16block_id_wrapperIjLb1EEEEE10hipError_tT1_PNSt15iterator_traitsISG_E10value_typeET2_T3_PNSH_ISM_E10value_typeET4_T5_PSR_SS_PNS1_23onesweep_lookback_stateEbbT6_jjT7_P12ihipStream_tbENKUlT_T0_SG_SL_E_clISA_SA_SB_SB_EEDaSZ_S10_SG_SL_EUlSZ_E_NS1_11comp_targetILNS1_3genE8ELNS1_11target_archE1030ELNS1_3gpuE2ELNS1_3repE0EEENS1_47radix_sort_onesweep_sort_config_static_selectorELNS0_4arch9wavefront6targetE0EEEvSG_ ; -- Begin function _ZN7rocprim17ROCPRIM_400000_NS6detail17trampoline_kernelINS0_14default_configENS1_35radix_sort_onesweep_config_selectorImNS0_10empty_typeEEEZZNS1_29radix_sort_onesweep_iterationIS3_Lb0EPKmPmPS5_SB_mNS0_19identity_decomposerENS1_16block_id_wrapperIjLb1EEEEE10hipError_tT1_PNSt15iterator_traitsISG_E10value_typeET2_T3_PNSH_ISM_E10value_typeET4_T5_PSR_SS_PNS1_23onesweep_lookback_stateEbbT6_jjT7_P12ihipStream_tbENKUlT_T0_SG_SL_E_clISA_SA_SB_SB_EEDaSZ_S10_SG_SL_EUlSZ_E_NS1_11comp_targetILNS1_3genE8ELNS1_11target_archE1030ELNS1_3gpuE2ELNS1_3repE0EEENS1_47radix_sort_onesweep_sort_config_static_selectorELNS0_4arch9wavefront6targetE0EEEvSG_
	.globl	_ZN7rocprim17ROCPRIM_400000_NS6detail17trampoline_kernelINS0_14default_configENS1_35radix_sort_onesweep_config_selectorImNS0_10empty_typeEEEZZNS1_29radix_sort_onesweep_iterationIS3_Lb0EPKmPmPS5_SB_mNS0_19identity_decomposerENS1_16block_id_wrapperIjLb1EEEEE10hipError_tT1_PNSt15iterator_traitsISG_E10value_typeET2_T3_PNSH_ISM_E10value_typeET4_T5_PSR_SS_PNS1_23onesweep_lookback_stateEbbT6_jjT7_P12ihipStream_tbENKUlT_T0_SG_SL_E_clISA_SA_SB_SB_EEDaSZ_S10_SG_SL_EUlSZ_E_NS1_11comp_targetILNS1_3genE8ELNS1_11target_archE1030ELNS1_3gpuE2ELNS1_3repE0EEENS1_47radix_sort_onesweep_sort_config_static_selectorELNS0_4arch9wavefront6targetE0EEEvSG_
	.p2align	8
	.type	_ZN7rocprim17ROCPRIM_400000_NS6detail17trampoline_kernelINS0_14default_configENS1_35radix_sort_onesweep_config_selectorImNS0_10empty_typeEEEZZNS1_29radix_sort_onesweep_iterationIS3_Lb0EPKmPmPS5_SB_mNS0_19identity_decomposerENS1_16block_id_wrapperIjLb1EEEEE10hipError_tT1_PNSt15iterator_traitsISG_E10value_typeET2_T3_PNSH_ISM_E10value_typeET4_T5_PSR_SS_PNS1_23onesweep_lookback_stateEbbT6_jjT7_P12ihipStream_tbENKUlT_T0_SG_SL_E_clISA_SA_SB_SB_EEDaSZ_S10_SG_SL_EUlSZ_E_NS1_11comp_targetILNS1_3genE8ELNS1_11target_archE1030ELNS1_3gpuE2ELNS1_3repE0EEENS1_47radix_sort_onesweep_sort_config_static_selectorELNS0_4arch9wavefront6targetE0EEEvSG_,@function
_ZN7rocprim17ROCPRIM_400000_NS6detail17trampoline_kernelINS0_14default_configENS1_35radix_sort_onesweep_config_selectorImNS0_10empty_typeEEEZZNS1_29radix_sort_onesweep_iterationIS3_Lb0EPKmPmPS5_SB_mNS0_19identity_decomposerENS1_16block_id_wrapperIjLb1EEEEE10hipError_tT1_PNSt15iterator_traitsISG_E10value_typeET2_T3_PNSH_ISM_E10value_typeET4_T5_PSR_SS_PNS1_23onesweep_lookback_stateEbbT6_jjT7_P12ihipStream_tbENKUlT_T0_SG_SL_E_clISA_SA_SB_SB_EEDaSZ_S10_SG_SL_EUlSZ_E_NS1_11comp_targetILNS1_3genE8ELNS1_11target_archE1030ELNS1_3gpuE2ELNS1_3repE0EEENS1_47radix_sort_onesweep_sort_config_static_selectorELNS0_4arch9wavefront6targetE0EEEvSG_: ; @_ZN7rocprim17ROCPRIM_400000_NS6detail17trampoline_kernelINS0_14default_configENS1_35radix_sort_onesweep_config_selectorImNS0_10empty_typeEEEZZNS1_29radix_sort_onesweep_iterationIS3_Lb0EPKmPmPS5_SB_mNS0_19identity_decomposerENS1_16block_id_wrapperIjLb1EEEEE10hipError_tT1_PNSt15iterator_traitsISG_E10value_typeET2_T3_PNSH_ISM_E10value_typeET4_T5_PSR_SS_PNS1_23onesweep_lookback_stateEbbT6_jjT7_P12ihipStream_tbENKUlT_T0_SG_SL_E_clISA_SA_SB_SB_EEDaSZ_S10_SG_SL_EUlSZ_E_NS1_11comp_targetILNS1_3genE8ELNS1_11target_archE1030ELNS1_3gpuE2ELNS1_3repE0EEENS1_47radix_sort_onesweep_sort_config_static_selectorELNS0_4arch9wavefront6targetE0EEEvSG_
; %bb.0:
	.section	.rodata,"a",@progbits
	.p2align	6, 0x0
	.amdhsa_kernel _ZN7rocprim17ROCPRIM_400000_NS6detail17trampoline_kernelINS0_14default_configENS1_35radix_sort_onesweep_config_selectorImNS0_10empty_typeEEEZZNS1_29radix_sort_onesweep_iterationIS3_Lb0EPKmPmPS5_SB_mNS0_19identity_decomposerENS1_16block_id_wrapperIjLb1EEEEE10hipError_tT1_PNSt15iterator_traitsISG_E10value_typeET2_T3_PNSH_ISM_E10value_typeET4_T5_PSR_SS_PNS1_23onesweep_lookback_stateEbbT6_jjT7_P12ihipStream_tbENKUlT_T0_SG_SL_E_clISA_SA_SB_SB_EEDaSZ_S10_SG_SL_EUlSZ_E_NS1_11comp_targetILNS1_3genE8ELNS1_11target_archE1030ELNS1_3gpuE2ELNS1_3repE0EEENS1_47radix_sort_onesweep_sort_config_static_selectorELNS0_4arch9wavefront6targetE0EEEvSG_
		.amdhsa_group_segment_fixed_size 0
		.amdhsa_private_segment_fixed_size 0
		.amdhsa_kernarg_size 88
		.amdhsa_user_sgpr_count 2
		.amdhsa_user_sgpr_dispatch_ptr 0
		.amdhsa_user_sgpr_queue_ptr 0
		.amdhsa_user_sgpr_kernarg_segment_ptr 1
		.amdhsa_user_sgpr_dispatch_id 0
		.amdhsa_user_sgpr_kernarg_preload_length 0
		.amdhsa_user_sgpr_kernarg_preload_offset 0
		.amdhsa_user_sgpr_private_segment_size 0
		.amdhsa_wavefront_size32 1
		.amdhsa_uses_dynamic_stack 0
		.amdhsa_enable_private_segment 0
		.amdhsa_system_sgpr_workgroup_id_x 1
		.amdhsa_system_sgpr_workgroup_id_y 0
		.amdhsa_system_sgpr_workgroup_id_z 0
		.amdhsa_system_sgpr_workgroup_info 0
		.amdhsa_system_vgpr_workitem_id 0
		.amdhsa_next_free_vgpr 1
		.amdhsa_next_free_sgpr 1
		.amdhsa_named_barrier_count 0
		.amdhsa_reserve_vcc 0
		.amdhsa_float_round_mode_32 0
		.amdhsa_float_round_mode_16_64 0
		.amdhsa_float_denorm_mode_32 3
		.amdhsa_float_denorm_mode_16_64 3
		.amdhsa_fp16_overflow 0
		.amdhsa_memory_ordered 1
		.amdhsa_forward_progress 1
		.amdhsa_inst_pref_size 0
		.amdhsa_round_robin_scheduling 0
		.amdhsa_exception_fp_ieee_invalid_op 0
		.amdhsa_exception_fp_denorm_src 0
		.amdhsa_exception_fp_ieee_div_zero 0
		.amdhsa_exception_fp_ieee_overflow 0
		.amdhsa_exception_fp_ieee_underflow 0
		.amdhsa_exception_fp_ieee_inexact 0
		.amdhsa_exception_int_div_zero 0
	.end_amdhsa_kernel
	.section	.text._ZN7rocprim17ROCPRIM_400000_NS6detail17trampoline_kernelINS0_14default_configENS1_35radix_sort_onesweep_config_selectorImNS0_10empty_typeEEEZZNS1_29radix_sort_onesweep_iterationIS3_Lb0EPKmPmPS5_SB_mNS0_19identity_decomposerENS1_16block_id_wrapperIjLb1EEEEE10hipError_tT1_PNSt15iterator_traitsISG_E10value_typeET2_T3_PNSH_ISM_E10value_typeET4_T5_PSR_SS_PNS1_23onesweep_lookback_stateEbbT6_jjT7_P12ihipStream_tbENKUlT_T0_SG_SL_E_clISA_SA_SB_SB_EEDaSZ_S10_SG_SL_EUlSZ_E_NS1_11comp_targetILNS1_3genE8ELNS1_11target_archE1030ELNS1_3gpuE2ELNS1_3repE0EEENS1_47radix_sort_onesweep_sort_config_static_selectorELNS0_4arch9wavefront6targetE0EEEvSG_,"axG",@progbits,_ZN7rocprim17ROCPRIM_400000_NS6detail17trampoline_kernelINS0_14default_configENS1_35radix_sort_onesweep_config_selectorImNS0_10empty_typeEEEZZNS1_29radix_sort_onesweep_iterationIS3_Lb0EPKmPmPS5_SB_mNS0_19identity_decomposerENS1_16block_id_wrapperIjLb1EEEEE10hipError_tT1_PNSt15iterator_traitsISG_E10value_typeET2_T3_PNSH_ISM_E10value_typeET4_T5_PSR_SS_PNS1_23onesweep_lookback_stateEbbT6_jjT7_P12ihipStream_tbENKUlT_T0_SG_SL_E_clISA_SA_SB_SB_EEDaSZ_S10_SG_SL_EUlSZ_E_NS1_11comp_targetILNS1_3genE8ELNS1_11target_archE1030ELNS1_3gpuE2ELNS1_3repE0EEENS1_47radix_sort_onesweep_sort_config_static_selectorELNS0_4arch9wavefront6targetE0EEEvSG_,comdat
.Lfunc_end3008:
	.size	_ZN7rocprim17ROCPRIM_400000_NS6detail17trampoline_kernelINS0_14default_configENS1_35radix_sort_onesweep_config_selectorImNS0_10empty_typeEEEZZNS1_29radix_sort_onesweep_iterationIS3_Lb0EPKmPmPS5_SB_mNS0_19identity_decomposerENS1_16block_id_wrapperIjLb1EEEEE10hipError_tT1_PNSt15iterator_traitsISG_E10value_typeET2_T3_PNSH_ISM_E10value_typeET4_T5_PSR_SS_PNS1_23onesweep_lookback_stateEbbT6_jjT7_P12ihipStream_tbENKUlT_T0_SG_SL_E_clISA_SA_SB_SB_EEDaSZ_S10_SG_SL_EUlSZ_E_NS1_11comp_targetILNS1_3genE8ELNS1_11target_archE1030ELNS1_3gpuE2ELNS1_3repE0EEENS1_47radix_sort_onesweep_sort_config_static_selectorELNS0_4arch9wavefront6targetE0EEEvSG_, .Lfunc_end3008-_ZN7rocprim17ROCPRIM_400000_NS6detail17trampoline_kernelINS0_14default_configENS1_35radix_sort_onesweep_config_selectorImNS0_10empty_typeEEEZZNS1_29radix_sort_onesweep_iterationIS3_Lb0EPKmPmPS5_SB_mNS0_19identity_decomposerENS1_16block_id_wrapperIjLb1EEEEE10hipError_tT1_PNSt15iterator_traitsISG_E10value_typeET2_T3_PNSH_ISM_E10value_typeET4_T5_PSR_SS_PNS1_23onesweep_lookback_stateEbbT6_jjT7_P12ihipStream_tbENKUlT_T0_SG_SL_E_clISA_SA_SB_SB_EEDaSZ_S10_SG_SL_EUlSZ_E_NS1_11comp_targetILNS1_3genE8ELNS1_11target_archE1030ELNS1_3gpuE2ELNS1_3repE0EEENS1_47radix_sort_onesweep_sort_config_static_selectorELNS0_4arch9wavefront6targetE0EEEvSG_
                                        ; -- End function
	.set _ZN7rocprim17ROCPRIM_400000_NS6detail17trampoline_kernelINS0_14default_configENS1_35radix_sort_onesweep_config_selectorImNS0_10empty_typeEEEZZNS1_29radix_sort_onesweep_iterationIS3_Lb0EPKmPmPS5_SB_mNS0_19identity_decomposerENS1_16block_id_wrapperIjLb1EEEEE10hipError_tT1_PNSt15iterator_traitsISG_E10value_typeET2_T3_PNSH_ISM_E10value_typeET4_T5_PSR_SS_PNS1_23onesweep_lookback_stateEbbT6_jjT7_P12ihipStream_tbENKUlT_T0_SG_SL_E_clISA_SA_SB_SB_EEDaSZ_S10_SG_SL_EUlSZ_E_NS1_11comp_targetILNS1_3genE8ELNS1_11target_archE1030ELNS1_3gpuE2ELNS1_3repE0EEENS1_47radix_sort_onesweep_sort_config_static_selectorELNS0_4arch9wavefront6targetE0EEEvSG_.num_vgpr, 0
	.set _ZN7rocprim17ROCPRIM_400000_NS6detail17trampoline_kernelINS0_14default_configENS1_35radix_sort_onesweep_config_selectorImNS0_10empty_typeEEEZZNS1_29radix_sort_onesweep_iterationIS3_Lb0EPKmPmPS5_SB_mNS0_19identity_decomposerENS1_16block_id_wrapperIjLb1EEEEE10hipError_tT1_PNSt15iterator_traitsISG_E10value_typeET2_T3_PNSH_ISM_E10value_typeET4_T5_PSR_SS_PNS1_23onesweep_lookback_stateEbbT6_jjT7_P12ihipStream_tbENKUlT_T0_SG_SL_E_clISA_SA_SB_SB_EEDaSZ_S10_SG_SL_EUlSZ_E_NS1_11comp_targetILNS1_3genE8ELNS1_11target_archE1030ELNS1_3gpuE2ELNS1_3repE0EEENS1_47radix_sort_onesweep_sort_config_static_selectorELNS0_4arch9wavefront6targetE0EEEvSG_.num_agpr, 0
	.set _ZN7rocprim17ROCPRIM_400000_NS6detail17trampoline_kernelINS0_14default_configENS1_35radix_sort_onesweep_config_selectorImNS0_10empty_typeEEEZZNS1_29radix_sort_onesweep_iterationIS3_Lb0EPKmPmPS5_SB_mNS0_19identity_decomposerENS1_16block_id_wrapperIjLb1EEEEE10hipError_tT1_PNSt15iterator_traitsISG_E10value_typeET2_T3_PNSH_ISM_E10value_typeET4_T5_PSR_SS_PNS1_23onesweep_lookback_stateEbbT6_jjT7_P12ihipStream_tbENKUlT_T0_SG_SL_E_clISA_SA_SB_SB_EEDaSZ_S10_SG_SL_EUlSZ_E_NS1_11comp_targetILNS1_3genE8ELNS1_11target_archE1030ELNS1_3gpuE2ELNS1_3repE0EEENS1_47radix_sort_onesweep_sort_config_static_selectorELNS0_4arch9wavefront6targetE0EEEvSG_.numbered_sgpr, 0
	.set _ZN7rocprim17ROCPRIM_400000_NS6detail17trampoline_kernelINS0_14default_configENS1_35radix_sort_onesweep_config_selectorImNS0_10empty_typeEEEZZNS1_29radix_sort_onesweep_iterationIS3_Lb0EPKmPmPS5_SB_mNS0_19identity_decomposerENS1_16block_id_wrapperIjLb1EEEEE10hipError_tT1_PNSt15iterator_traitsISG_E10value_typeET2_T3_PNSH_ISM_E10value_typeET4_T5_PSR_SS_PNS1_23onesweep_lookback_stateEbbT6_jjT7_P12ihipStream_tbENKUlT_T0_SG_SL_E_clISA_SA_SB_SB_EEDaSZ_S10_SG_SL_EUlSZ_E_NS1_11comp_targetILNS1_3genE8ELNS1_11target_archE1030ELNS1_3gpuE2ELNS1_3repE0EEENS1_47radix_sort_onesweep_sort_config_static_selectorELNS0_4arch9wavefront6targetE0EEEvSG_.num_named_barrier, 0
	.set _ZN7rocprim17ROCPRIM_400000_NS6detail17trampoline_kernelINS0_14default_configENS1_35radix_sort_onesweep_config_selectorImNS0_10empty_typeEEEZZNS1_29radix_sort_onesweep_iterationIS3_Lb0EPKmPmPS5_SB_mNS0_19identity_decomposerENS1_16block_id_wrapperIjLb1EEEEE10hipError_tT1_PNSt15iterator_traitsISG_E10value_typeET2_T3_PNSH_ISM_E10value_typeET4_T5_PSR_SS_PNS1_23onesweep_lookback_stateEbbT6_jjT7_P12ihipStream_tbENKUlT_T0_SG_SL_E_clISA_SA_SB_SB_EEDaSZ_S10_SG_SL_EUlSZ_E_NS1_11comp_targetILNS1_3genE8ELNS1_11target_archE1030ELNS1_3gpuE2ELNS1_3repE0EEENS1_47radix_sort_onesweep_sort_config_static_selectorELNS0_4arch9wavefront6targetE0EEEvSG_.private_seg_size, 0
	.set _ZN7rocprim17ROCPRIM_400000_NS6detail17trampoline_kernelINS0_14default_configENS1_35radix_sort_onesweep_config_selectorImNS0_10empty_typeEEEZZNS1_29radix_sort_onesweep_iterationIS3_Lb0EPKmPmPS5_SB_mNS0_19identity_decomposerENS1_16block_id_wrapperIjLb1EEEEE10hipError_tT1_PNSt15iterator_traitsISG_E10value_typeET2_T3_PNSH_ISM_E10value_typeET4_T5_PSR_SS_PNS1_23onesweep_lookback_stateEbbT6_jjT7_P12ihipStream_tbENKUlT_T0_SG_SL_E_clISA_SA_SB_SB_EEDaSZ_S10_SG_SL_EUlSZ_E_NS1_11comp_targetILNS1_3genE8ELNS1_11target_archE1030ELNS1_3gpuE2ELNS1_3repE0EEENS1_47radix_sort_onesweep_sort_config_static_selectorELNS0_4arch9wavefront6targetE0EEEvSG_.uses_vcc, 0
	.set _ZN7rocprim17ROCPRIM_400000_NS6detail17trampoline_kernelINS0_14default_configENS1_35radix_sort_onesweep_config_selectorImNS0_10empty_typeEEEZZNS1_29radix_sort_onesweep_iterationIS3_Lb0EPKmPmPS5_SB_mNS0_19identity_decomposerENS1_16block_id_wrapperIjLb1EEEEE10hipError_tT1_PNSt15iterator_traitsISG_E10value_typeET2_T3_PNSH_ISM_E10value_typeET4_T5_PSR_SS_PNS1_23onesweep_lookback_stateEbbT6_jjT7_P12ihipStream_tbENKUlT_T0_SG_SL_E_clISA_SA_SB_SB_EEDaSZ_S10_SG_SL_EUlSZ_E_NS1_11comp_targetILNS1_3genE8ELNS1_11target_archE1030ELNS1_3gpuE2ELNS1_3repE0EEENS1_47radix_sort_onesweep_sort_config_static_selectorELNS0_4arch9wavefront6targetE0EEEvSG_.uses_flat_scratch, 0
	.set _ZN7rocprim17ROCPRIM_400000_NS6detail17trampoline_kernelINS0_14default_configENS1_35radix_sort_onesweep_config_selectorImNS0_10empty_typeEEEZZNS1_29radix_sort_onesweep_iterationIS3_Lb0EPKmPmPS5_SB_mNS0_19identity_decomposerENS1_16block_id_wrapperIjLb1EEEEE10hipError_tT1_PNSt15iterator_traitsISG_E10value_typeET2_T3_PNSH_ISM_E10value_typeET4_T5_PSR_SS_PNS1_23onesweep_lookback_stateEbbT6_jjT7_P12ihipStream_tbENKUlT_T0_SG_SL_E_clISA_SA_SB_SB_EEDaSZ_S10_SG_SL_EUlSZ_E_NS1_11comp_targetILNS1_3genE8ELNS1_11target_archE1030ELNS1_3gpuE2ELNS1_3repE0EEENS1_47radix_sort_onesweep_sort_config_static_selectorELNS0_4arch9wavefront6targetE0EEEvSG_.has_dyn_sized_stack, 0
	.set _ZN7rocprim17ROCPRIM_400000_NS6detail17trampoline_kernelINS0_14default_configENS1_35radix_sort_onesweep_config_selectorImNS0_10empty_typeEEEZZNS1_29radix_sort_onesweep_iterationIS3_Lb0EPKmPmPS5_SB_mNS0_19identity_decomposerENS1_16block_id_wrapperIjLb1EEEEE10hipError_tT1_PNSt15iterator_traitsISG_E10value_typeET2_T3_PNSH_ISM_E10value_typeET4_T5_PSR_SS_PNS1_23onesweep_lookback_stateEbbT6_jjT7_P12ihipStream_tbENKUlT_T0_SG_SL_E_clISA_SA_SB_SB_EEDaSZ_S10_SG_SL_EUlSZ_E_NS1_11comp_targetILNS1_3genE8ELNS1_11target_archE1030ELNS1_3gpuE2ELNS1_3repE0EEENS1_47radix_sort_onesweep_sort_config_static_selectorELNS0_4arch9wavefront6targetE0EEEvSG_.has_recursion, 0
	.set _ZN7rocprim17ROCPRIM_400000_NS6detail17trampoline_kernelINS0_14default_configENS1_35radix_sort_onesweep_config_selectorImNS0_10empty_typeEEEZZNS1_29radix_sort_onesweep_iterationIS3_Lb0EPKmPmPS5_SB_mNS0_19identity_decomposerENS1_16block_id_wrapperIjLb1EEEEE10hipError_tT1_PNSt15iterator_traitsISG_E10value_typeET2_T3_PNSH_ISM_E10value_typeET4_T5_PSR_SS_PNS1_23onesweep_lookback_stateEbbT6_jjT7_P12ihipStream_tbENKUlT_T0_SG_SL_E_clISA_SA_SB_SB_EEDaSZ_S10_SG_SL_EUlSZ_E_NS1_11comp_targetILNS1_3genE8ELNS1_11target_archE1030ELNS1_3gpuE2ELNS1_3repE0EEENS1_47radix_sort_onesweep_sort_config_static_selectorELNS0_4arch9wavefront6targetE0EEEvSG_.has_indirect_call, 0
	.section	.AMDGPU.csdata,"",@progbits
; Kernel info:
; codeLenInByte = 0
; TotalNumSgprs: 0
; NumVgprs: 0
; ScratchSize: 0
; MemoryBound: 0
; FloatMode: 240
; IeeeMode: 1
; LDSByteSize: 0 bytes/workgroup (compile time only)
; SGPRBlocks: 0
; VGPRBlocks: 0
; NumSGPRsForWavesPerEU: 1
; NumVGPRsForWavesPerEU: 1
; NamedBarCnt: 0
; Occupancy: 16
; WaveLimiterHint : 0
; COMPUTE_PGM_RSRC2:SCRATCH_EN: 0
; COMPUTE_PGM_RSRC2:USER_SGPR: 2
; COMPUTE_PGM_RSRC2:TRAP_HANDLER: 0
; COMPUTE_PGM_RSRC2:TGID_X_EN: 1
; COMPUTE_PGM_RSRC2:TGID_Y_EN: 0
; COMPUTE_PGM_RSRC2:TGID_Z_EN: 0
; COMPUTE_PGM_RSRC2:TIDIG_COMP_CNT: 0
	.section	.text._ZN7rocprim17ROCPRIM_400000_NS6detail17trampoline_kernelINS0_14default_configENS1_35radix_sort_onesweep_config_selectorImNS0_10empty_typeEEEZZNS1_29radix_sort_onesweep_iterationIS3_Lb0EPKmPmPS5_SB_mNS0_19identity_decomposerENS1_16block_id_wrapperIjLb0EEEEE10hipError_tT1_PNSt15iterator_traitsISG_E10value_typeET2_T3_PNSH_ISM_E10value_typeET4_T5_PSR_SS_PNS1_23onesweep_lookback_stateEbbT6_jjT7_P12ihipStream_tbENKUlT_T0_SG_SL_E_clIS9_SA_SB_SB_EEDaSZ_S10_SG_SL_EUlSZ_E_NS1_11comp_targetILNS1_3genE0ELNS1_11target_archE4294967295ELNS1_3gpuE0ELNS1_3repE0EEENS1_47radix_sort_onesweep_sort_config_static_selectorELNS0_4arch9wavefront6targetE0EEEvSG_,"axG",@progbits,_ZN7rocprim17ROCPRIM_400000_NS6detail17trampoline_kernelINS0_14default_configENS1_35radix_sort_onesweep_config_selectorImNS0_10empty_typeEEEZZNS1_29radix_sort_onesweep_iterationIS3_Lb0EPKmPmPS5_SB_mNS0_19identity_decomposerENS1_16block_id_wrapperIjLb0EEEEE10hipError_tT1_PNSt15iterator_traitsISG_E10value_typeET2_T3_PNSH_ISM_E10value_typeET4_T5_PSR_SS_PNS1_23onesweep_lookback_stateEbbT6_jjT7_P12ihipStream_tbENKUlT_T0_SG_SL_E_clIS9_SA_SB_SB_EEDaSZ_S10_SG_SL_EUlSZ_E_NS1_11comp_targetILNS1_3genE0ELNS1_11target_archE4294967295ELNS1_3gpuE0ELNS1_3repE0EEENS1_47radix_sort_onesweep_sort_config_static_selectorELNS0_4arch9wavefront6targetE0EEEvSG_,comdat
	.protected	_ZN7rocprim17ROCPRIM_400000_NS6detail17trampoline_kernelINS0_14default_configENS1_35radix_sort_onesweep_config_selectorImNS0_10empty_typeEEEZZNS1_29radix_sort_onesweep_iterationIS3_Lb0EPKmPmPS5_SB_mNS0_19identity_decomposerENS1_16block_id_wrapperIjLb0EEEEE10hipError_tT1_PNSt15iterator_traitsISG_E10value_typeET2_T3_PNSH_ISM_E10value_typeET4_T5_PSR_SS_PNS1_23onesweep_lookback_stateEbbT6_jjT7_P12ihipStream_tbENKUlT_T0_SG_SL_E_clIS9_SA_SB_SB_EEDaSZ_S10_SG_SL_EUlSZ_E_NS1_11comp_targetILNS1_3genE0ELNS1_11target_archE4294967295ELNS1_3gpuE0ELNS1_3repE0EEENS1_47radix_sort_onesweep_sort_config_static_selectorELNS0_4arch9wavefront6targetE0EEEvSG_ ; -- Begin function _ZN7rocprim17ROCPRIM_400000_NS6detail17trampoline_kernelINS0_14default_configENS1_35radix_sort_onesweep_config_selectorImNS0_10empty_typeEEEZZNS1_29radix_sort_onesweep_iterationIS3_Lb0EPKmPmPS5_SB_mNS0_19identity_decomposerENS1_16block_id_wrapperIjLb0EEEEE10hipError_tT1_PNSt15iterator_traitsISG_E10value_typeET2_T3_PNSH_ISM_E10value_typeET4_T5_PSR_SS_PNS1_23onesweep_lookback_stateEbbT6_jjT7_P12ihipStream_tbENKUlT_T0_SG_SL_E_clIS9_SA_SB_SB_EEDaSZ_S10_SG_SL_EUlSZ_E_NS1_11comp_targetILNS1_3genE0ELNS1_11target_archE4294967295ELNS1_3gpuE0ELNS1_3repE0EEENS1_47radix_sort_onesweep_sort_config_static_selectorELNS0_4arch9wavefront6targetE0EEEvSG_
	.globl	_ZN7rocprim17ROCPRIM_400000_NS6detail17trampoline_kernelINS0_14default_configENS1_35radix_sort_onesweep_config_selectorImNS0_10empty_typeEEEZZNS1_29radix_sort_onesweep_iterationIS3_Lb0EPKmPmPS5_SB_mNS0_19identity_decomposerENS1_16block_id_wrapperIjLb0EEEEE10hipError_tT1_PNSt15iterator_traitsISG_E10value_typeET2_T3_PNSH_ISM_E10value_typeET4_T5_PSR_SS_PNS1_23onesweep_lookback_stateEbbT6_jjT7_P12ihipStream_tbENKUlT_T0_SG_SL_E_clIS9_SA_SB_SB_EEDaSZ_S10_SG_SL_EUlSZ_E_NS1_11comp_targetILNS1_3genE0ELNS1_11target_archE4294967295ELNS1_3gpuE0ELNS1_3repE0EEENS1_47radix_sort_onesweep_sort_config_static_selectorELNS0_4arch9wavefront6targetE0EEEvSG_
	.p2align	8
	.type	_ZN7rocprim17ROCPRIM_400000_NS6detail17trampoline_kernelINS0_14default_configENS1_35radix_sort_onesweep_config_selectorImNS0_10empty_typeEEEZZNS1_29radix_sort_onesweep_iterationIS3_Lb0EPKmPmPS5_SB_mNS0_19identity_decomposerENS1_16block_id_wrapperIjLb0EEEEE10hipError_tT1_PNSt15iterator_traitsISG_E10value_typeET2_T3_PNSH_ISM_E10value_typeET4_T5_PSR_SS_PNS1_23onesweep_lookback_stateEbbT6_jjT7_P12ihipStream_tbENKUlT_T0_SG_SL_E_clIS9_SA_SB_SB_EEDaSZ_S10_SG_SL_EUlSZ_E_NS1_11comp_targetILNS1_3genE0ELNS1_11target_archE4294967295ELNS1_3gpuE0ELNS1_3repE0EEENS1_47radix_sort_onesweep_sort_config_static_selectorELNS0_4arch9wavefront6targetE0EEEvSG_,@function
_ZN7rocprim17ROCPRIM_400000_NS6detail17trampoline_kernelINS0_14default_configENS1_35radix_sort_onesweep_config_selectorImNS0_10empty_typeEEEZZNS1_29radix_sort_onesweep_iterationIS3_Lb0EPKmPmPS5_SB_mNS0_19identity_decomposerENS1_16block_id_wrapperIjLb0EEEEE10hipError_tT1_PNSt15iterator_traitsISG_E10value_typeET2_T3_PNSH_ISM_E10value_typeET4_T5_PSR_SS_PNS1_23onesweep_lookback_stateEbbT6_jjT7_P12ihipStream_tbENKUlT_T0_SG_SL_E_clIS9_SA_SB_SB_EEDaSZ_S10_SG_SL_EUlSZ_E_NS1_11comp_targetILNS1_3genE0ELNS1_11target_archE4294967295ELNS1_3gpuE0ELNS1_3repE0EEENS1_47radix_sort_onesweep_sort_config_static_selectorELNS0_4arch9wavefront6targetE0EEEvSG_: ; @_ZN7rocprim17ROCPRIM_400000_NS6detail17trampoline_kernelINS0_14default_configENS1_35radix_sort_onesweep_config_selectorImNS0_10empty_typeEEEZZNS1_29radix_sort_onesweep_iterationIS3_Lb0EPKmPmPS5_SB_mNS0_19identity_decomposerENS1_16block_id_wrapperIjLb0EEEEE10hipError_tT1_PNSt15iterator_traitsISG_E10value_typeET2_T3_PNSH_ISM_E10value_typeET4_T5_PSR_SS_PNS1_23onesweep_lookback_stateEbbT6_jjT7_P12ihipStream_tbENKUlT_T0_SG_SL_E_clIS9_SA_SB_SB_EEDaSZ_S10_SG_SL_EUlSZ_E_NS1_11comp_targetILNS1_3genE0ELNS1_11target_archE4294967295ELNS1_3gpuE0ELNS1_3repE0EEENS1_47radix_sort_onesweep_sort_config_static_selectorELNS0_4arch9wavefront6targetE0EEEvSG_
; %bb.0:
	s_clause 0x3
	s_load_b96 s[20:22], s[0:1], 0x44
	s_load_b64 s[10:11], s[0:1], 0x38
	s_load_b128 s[16:19], s[0:1], 0x0
	s_load_b128 s[12:15], s[0:1], 0x28
	s_bfe_u32 s2, ttmp6, 0x4000c
	s_and_b32 s3, ttmp6, 15
	s_add_co_i32 s2, s2, 1
	s_getreg_b32 s4, hwreg(HW_REG_IB_STS2, 6, 4)
	s_mul_i32 s2, ttmp9, s2
	v_and_b32_e32 v32, 0x3ff, v0
	s_add_co_i32 s2, s3, s2
	s_cmp_eq_u32 s4, 0
	v_mbcnt_lo_u32_b32 v33, -1, 0
	s_cselect_b32 s9, ttmp9, s2
	s_mov_b32 s3, 0
	s_mov_b32 s2, -1
	s_add_nc_u64 s[24:25], s[0:1], 0x58
	s_wait_kmcnt 0x0
	s_cmp_ge_u32 s9, s22
	s_cbranch_scc0 .LBB3009_66
; %bb.1:
	v_dual_lshlrev_b32 v2, 3, v32 :: v_dual_lshlrev_b32 v6, 3, v33
	s_load_b32 s4, s[0:1], 0x20
	s_lshl_b32 s2, s9, 12
	v_mov_b64_e32 v[4:5], -1
	s_delay_alu instid0(VALU_DEP_2) | instskip(SKIP_2) | instid1(SALU_CYCLE_1)
	v_and_b32_e32 v1, 0xf00, v2
	v_mov_b32_e32 v7, 0
	s_lshl_b64 s[2:3], s[2:3], 3
	s_add_nc_u64 s[2:3], s[16:17], s[2:3]
	s_delay_alu instid0(VALU_DEP_1) | instid1(SALU_CYCLE_1)
	v_add_nc_u64_e32 v[8:9], s[2:3], v[6:7]
	v_dual_lshlrev_b32 v6, 3, v1 :: v_dual_bitop2_b32 v1, v33, v1 bitop3:0x54
	s_lshl_b32 s2, s22, 12
	s_delay_alu instid0(VALU_DEP_1)
	v_add_nc_u64_e32 v[20:21], v[8:9], v[6:7]
	v_mov_b64_e32 v[6:7], -1
	s_wait_kmcnt 0x0
	s_sub_co_i32 s22, s4, s2
	s_mov_b32 s2, exec_lo
	v_cmpx_gt_u32_e64 s22, v1
	s_cbranch_execz .LBB3009_3
; %bb.2:
	global_load_b64 v[6:7], v[20:21], off
.LBB3009_3:
	s_wait_xcnt 0x0
	s_or_b32 exec_lo, exec_lo, s2
	v_or_b32_e32 v3, 32, v1
	s_mov_b32 s2, exec_lo
	s_delay_alu instid0(VALU_DEP_1)
	v_cmpx_gt_u32_e64 s22, v3
	s_cbranch_execz .LBB3009_5
; %bb.4:
	global_load_b64 v[4:5], v[20:21], off offset:256
.LBB3009_5:
	s_wait_xcnt 0x0
	s_or_b32 exec_lo, exec_lo, s2
	v_mov_b64_e32 v[8:9], -1
	v_mov_b64_e32 v[10:11], -1
	v_or_b32_e32 v3, 64, v1
	s_mov_b32 s2, exec_lo
	s_delay_alu instid0(VALU_DEP_1)
	v_cmpx_gt_u32_e64 s22, v3
	s_cbranch_execz .LBB3009_7
; %bb.6:
	global_load_b64 v[10:11], v[20:21], off offset:512
.LBB3009_7:
	s_wait_xcnt 0x0
	s_or_b32 exec_lo, exec_lo, s2
	v_or_b32_e32 v3, 0x60, v1
	s_mov_b32 s2, exec_lo
	s_delay_alu instid0(VALU_DEP_1)
	v_cmpx_gt_u32_e64 s22, v3
	s_cbranch_execz .LBB3009_9
; %bb.8:
	global_load_b64 v[8:9], v[20:21], off offset:768
.LBB3009_9:
	s_wait_xcnt 0x0
	s_or_b32 exec_lo, exec_lo, s2
	v_mov_b64_e32 v[12:13], -1
	v_mov_b64_e32 v[14:15], -1
	v_or_b32_e32 v3, 0x80, v1
	s_mov_b32 s2, exec_lo
	s_delay_alu instid0(VALU_DEP_1)
	v_cmpx_gt_u32_e64 s22, v3
	s_cbranch_execz .LBB3009_11
; %bb.10:
	global_load_b64 v[14:15], v[20:21], off offset:1024
.LBB3009_11:
	;; [unrolled: 22-line block ×3, first 2 shown]
	s_wait_xcnt 0x0
	s_or_b32 exec_lo, exec_lo, s2
	v_or_b32_e32 v1, 0xe0, v1
	s_mov_b32 s2, exec_lo
	s_delay_alu instid0(VALU_DEP_1)
	v_cmpx_gt_u32_e64 s22, v1
	s_cbranch_execz .LBB3009_17
; %bb.16:
	global_load_b64 v[16:17], v[20:21], off offset:1792
.LBB3009_17:
	s_wait_xcnt 0x0
	s_or_b32 exec_lo, exec_lo, s2
	s_clause 0x1
	s_load_b32 s23, s[0:1], 0x58
	s_load_u16 s4, s[0:1], 0x66
	s_wait_loadcnt 0x0
	v_lshrrev_b64 v[20:21], s20, v[6:7]
	v_bfe_u32 v1, v0, 10, 10
	v_bfe_u32 v3, v0, 20, 10
	s_mov_b32 s3, 0
	s_wait_kmcnt 0x0
	s_cmp_lt_u32 s9, s23
	s_delay_alu instid0(VALU_DEP_1)
	v_mad_u32_u24 v1, v3, s4, v1
	s_cselect_b32 s2, 12, 18
	s_lshl_b32 s26, -1, s21
	s_add_nc_u64 s[2:3], s[24:25], s[2:3]
	v_bitop3_b32 v3, v20, 1, s26 bitop3:0x40
	v_bitop3_b32 v20, v20, s26, v20 bitop3:0x30
	s_load_u16 s27, s[2:3], 0x0
	s_wait_xcnt 0x0
	s_delay_alu instid0(VALU_DEP_2) | instskip(NEXT) | instid1(VALU_DEP_1)
	v_add_co_u32 v3, s2, v3, -1
	v_cndmask_b32_e64 v21, 0, 1, s2
	v_dual_lshlrev_b32 v22, 30, v20 :: v_dual_lshlrev_b32 v23, 29, v20
	v_dual_lshlrev_b32 v24, 28, v20 :: v_dual_lshlrev_b32 v25, 27, v20
	s_delay_alu instid0(VALU_DEP_3) | instskip(NEXT) | instid1(VALU_DEP_3)
	v_cmp_ne_u32_e32 vcc_lo, 0, v21
	v_not_b32_e32 v21, v22
	v_dual_lshlrev_b32 v26, 26, v20 :: v_dual_lshlrev_b32 v27, 25, v20
	v_lshlrev_b32_e32 v28, 24, v20
	v_cmp_gt_i32_e64 s2, 0, v22
	v_cmp_gt_i32_e64 s3, 0, v23
	v_not_b32_e32 v22, v23
	v_not_b32_e32 v23, v24
	v_ashrrev_i32_e32 v21, 31, v21
	v_cmp_gt_i32_e64 s4, 0, v24
	v_cmp_gt_i32_e64 s5, 0, v25
	v_not_b32_e32 v24, v25
	v_not_b32_e32 v25, v26
	v_dual_ashrrev_i32 v22, 31, v22 :: v_dual_bitop2_b32 v3, vcc_lo, v3 bitop3:0x14
	v_dual_ashrrev_i32 v23, 31, v23 :: v_dual_bitop2_b32 v21, s2, v21 bitop3:0x14
	v_cmp_gt_i32_e64 s6, 0, v26
	v_cmp_gt_i32_e64 s7, 0, v27
	v_not_b32_e32 v26, v27
	v_not_b32_e32 v27, v28
	v_dual_ashrrev_i32 v24, 31, v24 :: v_dual_ashrrev_i32 v25, 31, v25
	v_xor_b32_e32 v22, s3, v22
	v_xor_b32_e32 v23, s4, v23
	v_bitop3_b32 v3, v3, v21, exec_lo bitop3:0x80
	v_cmp_gt_i32_e64 s8, 0, v28
	v_dual_ashrrev_i32 v21, 31, v26 :: v_dual_ashrrev_i32 v26, 31, v27
	v_xor_b32_e32 v24, s5, v24
	v_xor_b32_e32 v25, s6, v25
	v_bitop3_b32 v3, v3, v23, v22 bitop3:0x80
	s_wait_kmcnt 0x0
	v_mad_u32 v1, v1, s27, v32
	v_dual_mov_b32 v22, 0 :: v_dual_bitop2_b32 v21, s7, v21 bitop3:0x14
	v_xor_b32_e32 v23, s8, v26
	v_bitop3_b32 v24, v3, v25, v24 bitop3:0x80
	v_mul_u32_u24_e32 v3, 36, v32
	s_not_b32 s6, s26
	ds_store_2addr_b32 v3, v22, v22 offset0:16 offset1:17
	ds_store_2addr_b32 v3, v22, v22 offset0:18 offset1:19
	;; [unrolled: 1-line block ×4, first 2 shown]
	v_bitop3_b32 v21, v24, v23, v21 bitop3:0x80
	v_mul_lo_u32 v23, 0x44, v20
	v_lshrrev_b32_e32 v20, 3, v1
	ds_store_b32 v3, v22 offset:96
	s_wait_dscnt 0x0
	v_mbcnt_lo_u32_b32 v1, v21, 0
	v_cmp_ne_u32_e64 s2, 0, v21
	v_and_b32_e32 v20, 0x1ffffffc, v20
	s_barrier_signal -1
	s_barrier_wait -1
	v_cmp_eq_u32_e32 vcc_lo, 0, v1
	s_delay_alu instid0(VALU_DEP_2) | instskip(SKIP_1) | instid1(SALU_CYCLE_1)
	v_add_nc_u32_e32 v28, v20, v23
	; wave barrier
	s_and_b32 s3, s2, vcc_lo
	s_and_saveexec_b32 s2, s3
; %bb.18:
	v_bcnt_u32_b32 v21, v21, 0
	ds_store_b32 v28, v21 offset:64
; %bb.19:
	s_or_b32 exec_lo, exec_lo, s2
	v_lshrrev_b64 v[22:23], s20, v[4:5]
	; wave barrier
	s_delay_alu instid0(VALU_DEP_1) | instskip(SKIP_1) | instid1(VALU_DEP_2)
	v_and_b32_e32 v21, s6, v22
	v_bitop3_b32 v22, v22, 1, s6 bitop3:0x80
	v_lshlrev_b32_e32 v25, 30, v21
	s_delay_alu instid0(VALU_DEP_2) | instskip(NEXT) | instid1(VALU_DEP_1)
	v_add_co_u32 v22, s2, v22, -1
	v_cndmask_b32_e64 v24, 0, 1, s2
	s_delay_alu instid0(VALU_DEP_1) | instskip(NEXT) | instid1(VALU_DEP_4)
	v_cmp_ne_u32_e32 vcc_lo, 0, v24
	v_not_b32_e32 v24, v25
	s_delay_alu instid0(VALU_DEP_1) | instskip(SKIP_4) | instid1(VALU_DEP_4)
	v_dual_ashrrev_i32 v24, 31, v24 :: v_dual_bitop2_b32 v22, vcc_lo, v22 bitop3:0x14
	v_dual_lshlrev_b32 v26, 29, v21 :: v_dual_lshlrev_b32 v27, 28, v21
	v_lshlrev_b32_e32 v29, 27, v21
	v_cmp_gt_i32_e64 s2, 0, v25
	v_mul_lo_u32 v23, 0x44, v21
	v_cmp_gt_i32_e64 s3, 0, v26
	v_not_b32_e32 v25, v26
	v_not_b32_e32 v26, v27
	v_dual_lshlrev_b32 v30, 26, v21 :: v_dual_lshlrev_b32 v31, 25, v21
	v_lshlrev_b32_e32 v21, 24, v21
	v_cmp_gt_i32_e64 s4, 0, v27
	v_not_b32_e32 v27, v29
	v_dual_ashrrev_i32 v25, 31, v25 :: v_dual_ashrrev_i32 v26, 31, v26
	v_xor_b32_e32 v24, s2, v24
	v_cmp_gt_i32_e64 s5, 0, v29
	v_not_b32_e32 v29, v30
	s_delay_alu instid0(VALU_DEP_4)
	v_dual_ashrrev_i32 v27, 31, v27 :: v_dual_bitop2_b32 v25, s3, v25 bitop3:0x14
	v_xor_b32_e32 v26, s4, v26
	v_bitop3_b32 v22, v22, v24, exec_lo bitop3:0x80
	v_cmp_gt_i32_e32 vcc_lo, 0, v30
	v_ashrrev_i32_e32 v24, 31, v29
	v_not_b32_e32 v29, v31
	v_xor_b32_e32 v27, s5, v27
	v_bitop3_b32 v22, v22, v26, v25 bitop3:0x80
	v_not_b32_e32 v25, v21
	v_xor_b32_e32 v24, vcc_lo, v24
	v_cmp_gt_i32_e32 vcc_lo, 0, v31
	v_ashrrev_i32_e32 v26, 31, v29
	v_cmp_gt_i32_e64 s2, 0, v21
	v_dual_ashrrev_i32 v21, 31, v25 :: v_dual_add_nc_u32 v29, v20, v23
	v_bitop3_b32 v22, v22, v24, v27 bitop3:0x80
	s_delay_alu instid0(VALU_DEP_4) | instskip(NEXT) | instid1(VALU_DEP_3)
	v_xor_b32_e32 v23, vcc_lo, v26
	v_xor_b32_e32 v21, s2, v21
	ds_load_b32 v34, v29 offset:64
	; wave barrier
	v_bitop3_b32 v21, v22, v21, v23 bitop3:0x80
	s_delay_alu instid0(VALU_DEP_1) | instskip(SKIP_1) | instid1(VALU_DEP_2)
	v_mbcnt_lo_u32_b32 v35, v21, 0
	v_cmp_ne_u32_e64 s2, 0, v21
	v_cmp_eq_u32_e32 vcc_lo, 0, v35
	s_and_b32 s3, s2, vcc_lo
	s_delay_alu instid0(SALU_CYCLE_1)
	s_and_saveexec_b32 s2, s3
	s_cbranch_execz .LBB3009_21
; %bb.20:
	s_wait_dscnt 0x0
	v_bcnt_u32_b32 v21, v21, v34
	ds_store_b32 v29, v21 offset:64
.LBB3009_21:
	s_or_b32 exec_lo, exec_lo, s2
	v_lshrrev_b64 v[22:23], s20, v[10:11]
	; wave barrier
	s_delay_alu instid0(VALU_DEP_1) | instskip(SKIP_1) | instid1(VALU_DEP_2)
	v_and_b32_e32 v21, s6, v22
	v_bitop3_b32 v22, v22, 1, s6 bitop3:0x80
	v_lshlrev_b32_e32 v25, 30, v21
	s_delay_alu instid0(VALU_DEP_2) | instskip(NEXT) | instid1(VALU_DEP_1)
	v_add_co_u32 v22, s2, v22, -1
	v_cndmask_b32_e64 v24, 0, 1, s2
	s_delay_alu instid0(VALU_DEP_1) | instskip(NEXT) | instid1(VALU_DEP_4)
	v_cmp_ne_u32_e32 vcc_lo, 0, v24
	v_not_b32_e32 v24, v25
	s_delay_alu instid0(VALU_DEP_1) | instskip(SKIP_4) | instid1(VALU_DEP_4)
	v_dual_ashrrev_i32 v24, 31, v24 :: v_dual_bitop2_b32 v22, vcc_lo, v22 bitop3:0x14
	v_dual_lshlrev_b32 v26, 29, v21 :: v_dual_lshlrev_b32 v27, 28, v21
	v_lshlrev_b32_e32 v30, 27, v21
	v_cmp_gt_i32_e64 s2, 0, v25
	v_mul_lo_u32 v23, 0x44, v21
	v_cmp_gt_i32_e64 s3, 0, v26
	v_not_b32_e32 v25, v26
	v_not_b32_e32 v26, v27
	v_dual_lshlrev_b32 v31, 26, v21 :: v_dual_lshlrev_b32 v36, 25, v21
	v_lshlrev_b32_e32 v21, 24, v21
	v_cmp_gt_i32_e64 s4, 0, v27
	v_not_b32_e32 v27, v30
	v_dual_ashrrev_i32 v25, 31, v25 :: v_dual_ashrrev_i32 v26, 31, v26
	v_xor_b32_e32 v24, s2, v24
	v_cmp_gt_i32_e64 s5, 0, v30
	v_not_b32_e32 v30, v31
	s_delay_alu instid0(VALU_DEP_4)
	v_dual_ashrrev_i32 v27, 31, v27 :: v_dual_bitop2_b32 v25, s3, v25 bitop3:0x14
	v_xor_b32_e32 v26, s4, v26
	v_bitop3_b32 v22, v22, v24, exec_lo bitop3:0x80
	v_cmp_gt_i32_e32 vcc_lo, 0, v31
	v_ashrrev_i32_e32 v24, 31, v30
	v_not_b32_e32 v30, v36
	v_xor_b32_e32 v27, s5, v27
	v_bitop3_b32 v22, v22, v26, v25 bitop3:0x80
	v_not_b32_e32 v25, v21
	v_xor_b32_e32 v24, vcc_lo, v24
	v_cmp_gt_i32_e32 vcc_lo, 0, v36
	v_ashrrev_i32_e32 v26, 31, v30
	v_cmp_gt_i32_e64 s2, 0, v21
	v_dual_ashrrev_i32 v21, 31, v25 :: v_dual_add_nc_u32 v30, v20, v23
	v_bitop3_b32 v22, v22, v24, v27 bitop3:0x80
	s_delay_alu instid0(VALU_DEP_4) | instskip(NEXT) | instid1(VALU_DEP_3)
	v_xor_b32_e32 v23, vcc_lo, v26
	v_xor_b32_e32 v21, s2, v21
	ds_load_b32 v36, v30 offset:64
	; wave barrier
	v_bitop3_b32 v21, v22, v21, v23 bitop3:0x80
	s_delay_alu instid0(VALU_DEP_1) | instskip(SKIP_1) | instid1(VALU_DEP_2)
	v_mbcnt_lo_u32_b32 v37, v21, 0
	v_cmp_ne_u32_e64 s2, 0, v21
	v_cmp_eq_u32_e32 vcc_lo, 0, v37
	s_and_b32 s3, s2, vcc_lo
	s_delay_alu instid0(SALU_CYCLE_1)
	s_and_saveexec_b32 s2, s3
	s_cbranch_execz .LBB3009_23
; %bb.22:
	s_wait_dscnt 0x0
	v_bcnt_u32_b32 v21, v21, v36
	ds_store_b32 v30, v21 offset:64
.LBB3009_23:
	s_or_b32 exec_lo, exec_lo, s2
	v_lshrrev_b64 v[22:23], s20, v[8:9]
	; wave barrier
	s_delay_alu instid0(VALU_DEP_1) | instskip(SKIP_1) | instid1(VALU_DEP_2)
	v_and_b32_e32 v21, s6, v22
	v_bitop3_b32 v22, v22, 1, s6 bitop3:0x80
	v_lshlrev_b32_e32 v25, 30, v21
	s_delay_alu instid0(VALU_DEP_2) | instskip(NEXT) | instid1(VALU_DEP_1)
	v_add_co_u32 v22, s2, v22, -1
	v_cndmask_b32_e64 v24, 0, 1, s2
	s_delay_alu instid0(VALU_DEP_1) | instskip(NEXT) | instid1(VALU_DEP_4)
	v_cmp_ne_u32_e32 vcc_lo, 0, v24
	v_not_b32_e32 v24, v25
	s_delay_alu instid0(VALU_DEP_1) | instskip(SKIP_4) | instid1(VALU_DEP_4)
	v_dual_ashrrev_i32 v24, 31, v24 :: v_dual_bitop2_b32 v22, vcc_lo, v22 bitop3:0x14
	v_dual_lshlrev_b32 v26, 29, v21 :: v_dual_lshlrev_b32 v27, 28, v21
	v_lshlrev_b32_e32 v31, 27, v21
	v_cmp_gt_i32_e64 s2, 0, v25
	v_mul_lo_u32 v23, 0x44, v21
	v_cmp_gt_i32_e64 s3, 0, v26
	v_not_b32_e32 v25, v26
	v_not_b32_e32 v26, v27
	v_dual_lshlrev_b32 v38, 26, v21 :: v_dual_lshlrev_b32 v39, 25, v21
	v_lshlrev_b32_e32 v21, 24, v21
	v_cmp_gt_i32_e64 s4, 0, v27
	v_not_b32_e32 v27, v31
	v_dual_ashrrev_i32 v25, 31, v25 :: v_dual_ashrrev_i32 v26, 31, v26
	v_xor_b32_e32 v24, s2, v24
	v_cmp_gt_i32_e64 s5, 0, v31
	v_not_b32_e32 v31, v38
	s_delay_alu instid0(VALU_DEP_4)
	v_dual_ashrrev_i32 v27, 31, v27 :: v_dual_bitop2_b32 v25, s3, v25 bitop3:0x14
	v_xor_b32_e32 v26, s4, v26
	v_bitop3_b32 v22, v22, v24, exec_lo bitop3:0x80
	v_cmp_gt_i32_e32 vcc_lo, 0, v38
	v_ashrrev_i32_e32 v24, 31, v31
	v_not_b32_e32 v31, v39
	v_xor_b32_e32 v27, s5, v27
	v_bitop3_b32 v22, v22, v26, v25 bitop3:0x80
	v_not_b32_e32 v25, v21
	s_delay_alu instid0(VALU_DEP_4) | instskip(SKIP_2) | instid1(VALU_DEP_4)
	v_dual_ashrrev_i32 v26, 31, v31 :: v_dual_bitop2_b32 v24, vcc_lo, v24 bitop3:0x14
	v_cmp_gt_i32_e32 vcc_lo, 0, v39
	v_cmp_gt_i32_e64 s2, 0, v21
	v_dual_ashrrev_i32 v21, 31, v25 :: v_dual_add_nc_u32 v31, v20, v23
	s_delay_alu instid0(VALU_DEP_4) | instskip(SKIP_1) | instid1(VALU_DEP_3)
	v_bitop3_b32 v22, v22, v24, v27 bitop3:0x80
	v_xor_b32_e32 v23, vcc_lo, v26
	v_xor_b32_e32 v21, s2, v21
	ds_load_b32 v38, v31 offset:64
	; wave barrier
	v_bitop3_b32 v21, v22, v21, v23 bitop3:0x80
	s_delay_alu instid0(VALU_DEP_1) | instskip(SKIP_1) | instid1(VALU_DEP_2)
	v_mbcnt_lo_u32_b32 v39, v21, 0
	v_cmp_ne_u32_e64 s2, 0, v21
	v_cmp_eq_u32_e32 vcc_lo, 0, v39
	s_and_b32 s3, s2, vcc_lo
	s_delay_alu instid0(SALU_CYCLE_1)
	s_and_saveexec_b32 s2, s3
	s_cbranch_execz .LBB3009_25
; %bb.24:
	s_wait_dscnt 0x0
	v_bcnt_u32_b32 v21, v21, v38
	ds_store_b32 v31, v21 offset:64
.LBB3009_25:
	s_or_b32 exec_lo, exec_lo, s2
	v_lshrrev_b64 v[22:23], s20, v[14:15]
	; wave barrier
	s_delay_alu instid0(VALU_DEP_1) | instskip(SKIP_1) | instid1(VALU_DEP_2)
	v_and_b32_e32 v21, s6, v22
	v_bitop3_b32 v22, v22, 1, s6 bitop3:0x80
	v_lshlrev_b32_e32 v25, 30, v21
	s_delay_alu instid0(VALU_DEP_2) | instskip(NEXT) | instid1(VALU_DEP_1)
	v_add_co_u32 v22, s2, v22, -1
	v_cndmask_b32_e64 v24, 0, 1, s2
	s_delay_alu instid0(VALU_DEP_1) | instskip(NEXT) | instid1(VALU_DEP_4)
	v_cmp_ne_u32_e32 vcc_lo, 0, v24
	v_not_b32_e32 v24, v25
	s_delay_alu instid0(VALU_DEP_1) | instskip(SKIP_4) | instid1(VALU_DEP_4)
	v_dual_ashrrev_i32 v24, 31, v24 :: v_dual_bitop2_b32 v22, vcc_lo, v22 bitop3:0x14
	v_dual_lshlrev_b32 v26, 29, v21 :: v_dual_lshlrev_b32 v27, 28, v21
	v_lshlrev_b32_e32 v40, 27, v21
	v_cmp_gt_i32_e64 s2, 0, v25
	v_mul_lo_u32 v23, 0x44, v21
	v_cmp_gt_i32_e64 s3, 0, v26
	v_not_b32_e32 v25, v26
	v_not_b32_e32 v26, v27
	v_dual_lshlrev_b32 v41, 26, v21 :: v_dual_lshlrev_b32 v42, 25, v21
	v_lshlrev_b32_e32 v21, 24, v21
	v_cmp_gt_i32_e64 s4, 0, v27
	v_not_b32_e32 v27, v40
	v_dual_ashrrev_i32 v25, 31, v25 :: v_dual_ashrrev_i32 v26, 31, v26
	v_xor_b32_e32 v24, s2, v24
	v_cmp_gt_i32_e64 s5, 0, v40
	v_not_b32_e32 v40, v41
	s_delay_alu instid0(VALU_DEP_4)
	v_dual_ashrrev_i32 v27, 31, v27 :: v_dual_bitop2_b32 v25, s3, v25 bitop3:0x14
	v_xor_b32_e32 v26, s4, v26
	v_bitop3_b32 v22, v22, v24, exec_lo bitop3:0x80
	v_cmp_gt_i32_e32 vcc_lo, 0, v41
	v_ashrrev_i32_e32 v24, 31, v40
	v_not_b32_e32 v40, v42
	v_xor_b32_e32 v27, s5, v27
	v_bitop3_b32 v22, v22, v26, v25 bitop3:0x80
	v_not_b32_e32 v25, v21
	v_dual_add_nc_u32 v44, v20, v23 :: v_dual_bitop2_b32 v24, vcc_lo, v24 bitop3:0x14
	v_cmp_gt_i32_e32 vcc_lo, 0, v42
	v_ashrrev_i32_e32 v26, 31, v40
	v_cmp_gt_i32_e64 s2, 0, v21
	v_ashrrev_i32_e32 v21, 31, v25
	v_bitop3_b32 v22, v22, v24, v27 bitop3:0x80
	ds_load_b32 v40, v44 offset:64
	v_xor_b32_e32 v23, vcc_lo, v26
	v_xor_b32_e32 v21, s2, v21
	; wave barrier
	s_delay_alu instid0(VALU_DEP_1) | instskip(NEXT) | instid1(VALU_DEP_1)
	v_bitop3_b32 v21, v22, v21, v23 bitop3:0x80
	v_mbcnt_lo_u32_b32 v41, v21, 0
	v_cmp_ne_u32_e64 s2, 0, v21
	s_delay_alu instid0(VALU_DEP_2) | instskip(SKIP_1) | instid1(SALU_CYCLE_1)
	v_cmp_eq_u32_e32 vcc_lo, 0, v41
	s_and_b32 s3, s2, vcc_lo
	s_and_saveexec_b32 s2, s3
	s_cbranch_execz .LBB3009_27
; %bb.26:
	s_wait_dscnt 0x0
	v_bcnt_u32_b32 v21, v21, v40
	ds_store_b32 v44, v21 offset:64
.LBB3009_27:
	s_or_b32 exec_lo, exec_lo, s2
	v_lshrrev_b64 v[22:23], s20, v[12:13]
	; wave barrier
	s_delay_alu instid0(VALU_DEP_1) | instskip(SKIP_1) | instid1(VALU_DEP_2)
	v_and_b32_e32 v21, s6, v22
	v_bitop3_b32 v22, v22, 1, s6 bitop3:0x80
	v_lshlrev_b32_e32 v25, 30, v21
	s_delay_alu instid0(VALU_DEP_2) | instskip(NEXT) | instid1(VALU_DEP_1)
	v_add_co_u32 v22, s2, v22, -1
	v_cndmask_b32_e64 v24, 0, 1, s2
	s_delay_alu instid0(VALU_DEP_1) | instskip(NEXT) | instid1(VALU_DEP_4)
	v_cmp_ne_u32_e32 vcc_lo, 0, v24
	v_not_b32_e32 v24, v25
	s_delay_alu instid0(VALU_DEP_1) | instskip(SKIP_4) | instid1(VALU_DEP_4)
	v_dual_ashrrev_i32 v24, 31, v24 :: v_dual_bitop2_b32 v22, vcc_lo, v22 bitop3:0x14
	v_dual_lshlrev_b32 v26, 29, v21 :: v_dual_lshlrev_b32 v27, 28, v21
	v_lshlrev_b32_e32 v42, 27, v21
	v_cmp_gt_i32_e64 s2, 0, v25
	v_mul_lo_u32 v23, 0x44, v21
	v_cmp_gt_i32_e64 s3, 0, v26
	v_not_b32_e32 v25, v26
	v_not_b32_e32 v26, v27
	v_dual_lshlrev_b32 v43, 26, v21 :: v_dual_lshlrev_b32 v45, 25, v21
	v_lshlrev_b32_e32 v21, 24, v21
	v_cmp_gt_i32_e64 s4, 0, v27
	v_not_b32_e32 v27, v42
	v_dual_ashrrev_i32 v25, 31, v25 :: v_dual_ashrrev_i32 v26, 31, v26
	v_xor_b32_e32 v24, s2, v24
	v_cmp_gt_i32_e64 s5, 0, v42
	v_not_b32_e32 v42, v43
	s_delay_alu instid0(VALU_DEP_4)
	v_dual_ashrrev_i32 v27, 31, v27 :: v_dual_bitop2_b32 v25, s3, v25 bitop3:0x14
	v_xor_b32_e32 v26, s4, v26
	v_bitop3_b32 v22, v22, v24, exec_lo bitop3:0x80
	v_cmp_gt_i32_e32 vcc_lo, 0, v43
	v_ashrrev_i32_e32 v24, 31, v42
	v_not_b32_e32 v42, v45
	v_xor_b32_e32 v27, s5, v27
	v_bitop3_b32 v22, v22, v26, v25 bitop3:0x80
	v_not_b32_e32 v25, v21
	v_dual_add_nc_u32 v47, v20, v23 :: v_dual_bitop2_b32 v24, vcc_lo, v24 bitop3:0x14
	v_cmp_gt_i32_e32 vcc_lo, 0, v45
	v_ashrrev_i32_e32 v26, 31, v42
	v_cmp_gt_i32_e64 s2, 0, v21
	v_ashrrev_i32_e32 v21, 31, v25
	v_bitop3_b32 v22, v22, v24, v27 bitop3:0x80
	ds_load_b32 v42, v47 offset:64
	v_xor_b32_e32 v23, vcc_lo, v26
	v_xor_b32_e32 v21, s2, v21
	; wave barrier
	s_delay_alu instid0(VALU_DEP_1) | instskip(NEXT) | instid1(VALU_DEP_1)
	v_bitop3_b32 v21, v22, v21, v23 bitop3:0x80
	v_mbcnt_lo_u32_b32 v43, v21, 0
	v_cmp_ne_u32_e64 s2, 0, v21
	s_delay_alu instid0(VALU_DEP_2) | instskip(SKIP_1) | instid1(SALU_CYCLE_1)
	v_cmp_eq_u32_e32 vcc_lo, 0, v43
	s_and_b32 s3, s2, vcc_lo
	s_and_saveexec_b32 s2, s3
	s_cbranch_execz .LBB3009_29
; %bb.28:
	s_wait_dscnt 0x0
	v_bcnt_u32_b32 v21, v21, v42
	ds_store_b32 v47, v21 offset:64
.LBB3009_29:
	s_or_b32 exec_lo, exec_lo, s2
	v_lshrrev_b64 v[22:23], s20, v[18:19]
	; wave barrier
	s_delay_alu instid0(VALU_DEP_1) | instskip(SKIP_1) | instid1(VALU_DEP_2)
	v_and_b32_e32 v21, s6, v22
	v_bitop3_b32 v22, v22, 1, s6 bitop3:0x80
	v_lshlrev_b32_e32 v25, 30, v21
	s_delay_alu instid0(VALU_DEP_2) | instskip(NEXT) | instid1(VALU_DEP_1)
	v_add_co_u32 v22, s2, v22, -1
	v_cndmask_b32_e64 v24, 0, 1, s2
	s_delay_alu instid0(VALU_DEP_1) | instskip(NEXT) | instid1(VALU_DEP_4)
	v_cmp_ne_u32_e32 vcc_lo, 0, v24
	v_not_b32_e32 v24, v25
	s_delay_alu instid0(VALU_DEP_1) | instskip(SKIP_4) | instid1(VALU_DEP_4)
	v_dual_ashrrev_i32 v24, 31, v24 :: v_dual_bitop2_b32 v22, vcc_lo, v22 bitop3:0x14
	v_dual_lshlrev_b32 v26, 29, v21 :: v_dual_lshlrev_b32 v27, 28, v21
	v_lshlrev_b32_e32 v45, 27, v21
	v_cmp_gt_i32_e64 s2, 0, v25
	v_mul_lo_u32 v23, 0x44, v21
	v_cmp_gt_i32_e64 s3, 0, v26
	v_not_b32_e32 v25, v26
	v_not_b32_e32 v26, v27
	v_dual_lshlrev_b32 v46, 26, v21 :: v_dual_lshlrev_b32 v48, 25, v21
	v_lshlrev_b32_e32 v21, 24, v21
	v_cmp_gt_i32_e64 s4, 0, v27
	v_not_b32_e32 v27, v45
	v_dual_ashrrev_i32 v25, 31, v25 :: v_dual_ashrrev_i32 v26, 31, v26
	v_xor_b32_e32 v24, s2, v24
	v_cmp_gt_i32_e64 s5, 0, v45
	v_not_b32_e32 v45, v46
	s_delay_alu instid0(VALU_DEP_4)
	v_dual_ashrrev_i32 v27, 31, v27 :: v_dual_bitop2_b32 v25, s3, v25 bitop3:0x14
	v_dual_add_nc_u32 v50, v20, v23 :: v_dual_bitop2_b32 v26, s4, v26 bitop3:0x14
	v_bitop3_b32 v22, v22, v24, exec_lo bitop3:0x80
	v_cmp_gt_i32_e32 vcc_lo, 0, v46
	v_ashrrev_i32_e32 v24, 31, v45
	v_not_b32_e32 v45, v48
	v_xor_b32_e32 v27, s5, v27
	v_bitop3_b32 v22, v22, v26, v25 bitop3:0x80
	v_not_b32_e32 v25, v21
	v_xor_b32_e32 v24, vcc_lo, v24
	v_cmp_gt_i32_e32 vcc_lo, 0, v48
	v_ashrrev_i32_e32 v26, 31, v45
	v_cmp_gt_i32_e64 s2, 0, v21
	v_ashrrev_i32_e32 v21, 31, v25
	v_bitop3_b32 v22, v22, v24, v27 bitop3:0x80
	ds_load_b32 v45, v50 offset:64
	v_xor_b32_e32 v23, vcc_lo, v26
	v_xor_b32_e32 v21, s2, v21
	; wave barrier
	s_delay_alu instid0(VALU_DEP_1) | instskip(NEXT) | instid1(VALU_DEP_1)
	v_bitop3_b32 v21, v22, v21, v23 bitop3:0x80
	v_mbcnt_lo_u32_b32 v46, v21, 0
	v_cmp_ne_u32_e64 s2, 0, v21
	s_delay_alu instid0(VALU_DEP_2) | instskip(SKIP_1) | instid1(SALU_CYCLE_1)
	v_cmp_eq_u32_e32 vcc_lo, 0, v46
	s_and_b32 s3, s2, vcc_lo
	s_and_saveexec_b32 s2, s3
	s_cbranch_execz .LBB3009_31
; %bb.30:
	s_wait_dscnt 0x0
	v_bcnt_u32_b32 v21, v21, v45
	ds_store_b32 v50, v21 offset:64
.LBB3009_31:
	s_or_b32 exec_lo, exec_lo, s2
	v_lshrrev_b64 v[22:23], s20, v[16:17]
	; wave barrier
	s_delay_alu instid0(VALU_DEP_1) | instskip(SKIP_1) | instid1(VALU_DEP_2)
	v_and_b32_e32 v21, s6, v22
	v_bitop3_b32 v22, v22, 1, s6 bitop3:0x80
	v_lshlrev_b32_e32 v25, 30, v21
	s_delay_alu instid0(VALU_DEP_2) | instskip(NEXT) | instid1(VALU_DEP_1)
	v_add_co_u32 v22, s2, v22, -1
	v_cndmask_b32_e64 v24, 0, 1, s2
	s_delay_alu instid0(VALU_DEP_1) | instskip(NEXT) | instid1(VALU_DEP_4)
	v_cmp_ne_u32_e32 vcc_lo, 0, v24
	v_not_b32_e32 v24, v25
	s_delay_alu instid0(VALU_DEP_1) | instskip(SKIP_4) | instid1(VALU_DEP_4)
	v_dual_ashrrev_i32 v24, 31, v24 :: v_dual_bitop2_b32 v22, vcc_lo, v22 bitop3:0x14
	v_dual_lshlrev_b32 v26, 29, v21 :: v_dual_lshlrev_b32 v27, 28, v21
	v_lshlrev_b32_e32 v48, 27, v21
	v_cmp_gt_i32_e64 s2, 0, v25
	v_mul_lo_u32 v23, 0x44, v21
	v_cmp_gt_i32_e64 s3, 0, v26
	v_not_b32_e32 v25, v26
	v_not_b32_e32 v26, v27
	v_dual_lshlrev_b32 v49, 26, v21 :: v_dual_lshlrev_b32 v51, 25, v21
	v_lshlrev_b32_e32 v21, 24, v21
	v_cmp_gt_i32_e64 s4, 0, v27
	v_not_b32_e32 v27, v48
	v_dual_ashrrev_i32 v25, 31, v25 :: v_dual_ashrrev_i32 v26, 31, v26
	v_xor_b32_e32 v24, s2, v24
	v_cmp_gt_i32_e64 s5, 0, v48
	v_not_b32_e32 v48, v49
	s_delay_alu instid0(VALU_DEP_4)
	v_dual_ashrrev_i32 v27, 31, v27 :: v_dual_bitop2_b32 v25, s3, v25 bitop3:0x14
	v_xor_b32_e32 v26, s4, v26
	v_bitop3_b32 v22, v22, v24, exec_lo bitop3:0x80
	v_cmp_gt_i32_e32 vcc_lo, 0, v49
	v_ashrrev_i32_e32 v24, 31, v48
	v_not_b32_e32 v48, v51
	v_xor_b32_e32 v27, s5, v27
	v_bitop3_b32 v22, v22, v26, v25 bitop3:0x80
	v_not_b32_e32 v25, v21
	v_dual_add_nc_u32 v54, v20, v23 :: v_dual_bitop2_b32 v24, vcc_lo, v24 bitop3:0x14
	v_cmp_gt_i32_e32 vcc_lo, 0, v51
	v_ashrrev_i32_e32 v26, 31, v48
	v_cmp_gt_i32_e64 s2, 0, v21
	v_ashrrev_i32_e32 v21, 31, v25
	v_bitop3_b32 v20, v22, v24, v27 bitop3:0x80
	ds_load_b32 v48, v54 offset:64
	v_xor_b32_e32 v22, vcc_lo, v26
	v_xor_b32_e32 v21, s2, v21
	; wave barrier
	s_delay_alu instid0(VALU_DEP_1) | instskip(NEXT) | instid1(VALU_DEP_1)
	v_bitop3_b32 v20, v20, v21, v22 bitop3:0x80
	v_mbcnt_lo_u32_b32 v49, v20, 0
	v_cmp_ne_u32_e64 s2, 0, v20
	s_delay_alu instid0(VALU_DEP_2) | instskip(SKIP_1) | instid1(SALU_CYCLE_1)
	v_cmp_eq_u32_e32 vcc_lo, 0, v49
	s_and_b32 s3, s2, vcc_lo
	s_and_saveexec_b32 s2, s3
	s_cbranch_execz .LBB3009_33
; %bb.32:
	s_wait_dscnt 0x0
	v_bcnt_u32_b32 v20, v20, v48
	ds_store_b32 v54, v20 offset:64
.LBB3009_33:
	s_or_b32 exec_lo, exec_lo, s2
	; wave barrier
	s_wait_dscnt 0x0
	s_barrier_signal -1
	s_barrier_wait -1
	ds_load_2addr_b32 v[26:27], v3 offset0:16 offset1:17
	ds_load_2addr_b32 v[24:25], v3 offset0:18 offset1:19
	;; [unrolled: 1-line block ×4, first 2 shown]
	ds_load_b32 v51, v3 offset:96
	v_bfe_i32 v55, v33, 4, 1
	s_mov_b32 s7, exec_lo
	s_wait_dscnt 0x3
	v_add3_u32 v52, v27, v26, v24
	s_wait_dscnt 0x2
	s_delay_alu instid0(VALU_DEP_1) | instskip(SKIP_1) | instid1(VALU_DEP_1)
	v_add3_u32 v52, v52, v25, v22
	s_wait_dscnt 0x1
	v_add3_u32 v52, v52, v23, v20
	s_wait_dscnt 0x0
	s_delay_alu instid0(VALU_DEP_1) | instskip(SKIP_1) | instid1(VALU_DEP_2)
	v_add3_u32 v51, v52, v21, v51
	v_and_b32_e32 v52, 15, v33
	v_mov_b32_dpp v53, v51 row_shr:1 row_mask:0xf bank_mask:0xf
	s_delay_alu instid0(VALU_DEP_2) | instskip(NEXT) | instid1(VALU_DEP_2)
	v_cmp_eq_u32_e32 vcc_lo, 0, v52
	v_cndmask_b32_e64 v53, v53, 0, vcc_lo
	s_delay_alu instid0(VALU_DEP_1) | instskip(SKIP_3) | instid1(VALU_DEP_4)
	v_add_nc_u32_e32 v51, v53, v51
	v_cmp_lt_u32_e64 s2, 1, v52
	v_cmp_lt_u32_e64 s3, 3, v52
	;; [unrolled: 1-line block ×3, first 2 shown]
	v_mov_b32_dpp v53, v51 row_shr:2 row_mask:0xf bank_mask:0xf
	s_delay_alu instid0(VALU_DEP_1) | instskip(NEXT) | instid1(VALU_DEP_1)
	v_cndmask_b32_e64 v53, 0, v53, s2
	v_add_nc_u32_e32 v51, v51, v53
	s_delay_alu instid0(VALU_DEP_1) | instskip(NEXT) | instid1(VALU_DEP_1)
	v_mov_b32_dpp v53, v51 row_shr:4 row_mask:0xf bank_mask:0xf
	v_cndmask_b32_e64 v53, 0, v53, s3
	s_delay_alu instid0(VALU_DEP_1) | instskip(NEXT) | instid1(VALU_DEP_1)
	v_add_nc_u32_e32 v51, v51, v53
	v_mov_b32_dpp v53, v51 row_shr:8 row_mask:0xf bank_mask:0xf
	s_delay_alu instid0(VALU_DEP_1) | instskip(SKIP_1) | instid1(VALU_DEP_2)
	v_cndmask_b32_e64 v52, 0, v53, s4
	v_and_b32_e32 v53, 0x3e0, v32
	v_add_nc_u32_e32 v51, v51, v52
	s_delay_alu instid0(VALU_DEP_2) | instskip(SKIP_4) | instid1(VALU_DEP_1)
	v_min_u32_e32 v53, 0x1e0, v53
	ds_swizzle_b32 v52, v51 offset:swizzle(BROADCAST,32,15)
	v_or_b32_e32 v53, 31, v53
	s_wait_dscnt 0x0
	v_and_b32_e32 v55, v55, v52
	v_dual_lshrrev_b32 v52, 5, v32 :: v_dual_add_nc_u32 v51, v51, v55
	s_delay_alu instid0(VALU_DEP_3)
	v_cmpx_eq_u32_e64 v32, v53
; %bb.34:
	s_delay_alu instid0(VALU_DEP_2)
	v_lshlrev_b32_e32 v53, 2, v52
	ds_store_b32 v53, v51
; %bb.35:
	s_or_b32 exec_lo, exec_lo, s7
	s_delay_alu instid0(SALU_CYCLE_1)
	s_mov_b32 s7, exec_lo
	s_wait_dscnt 0x0
	s_barrier_signal -1
	s_barrier_wait -1
	v_cmpx_gt_u32_e32 16, v32
	s_cbranch_execz .LBB3009_37
; %bb.36:
	v_lshlrev_b32_e32 v53, 2, v32
	ds_load_b32 v55, v53
	s_wait_dscnt 0x0
	v_mov_b32_dpp v56, v55 row_shr:1 row_mask:0xf bank_mask:0xf
	s_delay_alu instid0(VALU_DEP_1) | instskip(NEXT) | instid1(VALU_DEP_1)
	v_cndmask_b32_e64 v56, v56, 0, vcc_lo
	v_add_nc_u32_e32 v55, v56, v55
	s_delay_alu instid0(VALU_DEP_1) | instskip(NEXT) | instid1(VALU_DEP_1)
	v_mov_b32_dpp v56, v55 row_shr:2 row_mask:0xf bank_mask:0xf
	v_cndmask_b32_e64 v56, 0, v56, s2
	s_delay_alu instid0(VALU_DEP_1) | instskip(NEXT) | instid1(VALU_DEP_1)
	v_add_nc_u32_e32 v55, v55, v56
	v_mov_b32_dpp v56, v55 row_shr:4 row_mask:0xf bank_mask:0xf
	s_delay_alu instid0(VALU_DEP_1) | instskip(NEXT) | instid1(VALU_DEP_1)
	v_cndmask_b32_e64 v56, 0, v56, s3
	v_add_nc_u32_e32 v55, v55, v56
	s_delay_alu instid0(VALU_DEP_1) | instskip(NEXT) | instid1(VALU_DEP_1)
	v_mov_b32_dpp v56, v55 row_shr:8 row_mask:0xf bank_mask:0xf
	v_cndmask_b32_e64 v56, 0, v56, s4
	s_delay_alu instid0(VALU_DEP_1)
	v_add_nc_u32_e32 v55, v55, v56
	ds_store_b32 v53, v55
.LBB3009_37:
	s_or_b32 exec_lo, exec_lo, s7
	v_mov_b32_e32 v53, 0
	s_mov_b32 s2, exec_lo
	s_wait_dscnt 0x0
	s_barrier_signal -1
	s_barrier_wait -1
	v_cmpx_lt_u32_e32 31, v32
; %bb.38:
	v_lshl_add_u32 v52, v52, 2, -4
	ds_load_b32 v53, v52
; %bb.39:
	s_or_b32 exec_lo, exec_lo, s2
	v_sub_co_u32 v52, vcc_lo, v33, 1
	s_wait_dscnt 0x0
	v_add_nc_u32_e32 v51, v53, v51
	s_delay_alu instid0(VALU_DEP_2) | instskip(NEXT) | instid1(VALU_DEP_1)
	v_cmp_gt_i32_e64 s2, 0, v52
	v_cndmask_b32_e64 v52, v52, v33, s2
	v_cmp_lt_u32_e64 s2, 0xff, v32
	s_delay_alu instid0(VALU_DEP_2) | instskip(SKIP_4) | instid1(VALU_DEP_2)
	v_lshlrev_b32_e32 v52, 2, v52
	ds_bpermute_b32 v51, v52, v51
	s_wait_dscnt 0x0
	v_cndmask_b32_e32 v51, v51, v53, vcc_lo
	v_cmp_ne_u32_e32 vcc_lo, 0, v32
	v_cndmask_b32_e32 v51, 0, v51, vcc_lo
	v_cmp_gt_u32_e32 vcc_lo, 0x100, v32
	s_delay_alu instid0(VALU_DEP_2) | instskip(NEXT) | instid1(VALU_DEP_1)
	v_add_nc_u32_e32 v26, v51, v26
	v_add_nc_u32_e32 v27, v26, v27
	s_delay_alu instid0(VALU_DEP_1) | instskip(NEXT) | instid1(VALU_DEP_1)
	v_add_nc_u32_e32 v24, v27, v24
	v_add_nc_u32_e32 v25, v24, v25
	s_delay_alu instid0(VALU_DEP_1) | instskip(NEXT) | instid1(VALU_DEP_1)
	;; [unrolled: 3-line block ×3, first 2 shown]
	v_add_nc_u32_e32 v20, v23, v20
	v_add_nc_u32_e32 v21, v20, v21
	ds_store_2addr_b32 v3, v51, v26 offset0:16 offset1:17
	ds_store_2addr_b32 v3, v27, v24 offset0:18 offset1:19
	;; [unrolled: 1-line block ×4, first 2 shown]
	ds_store_b32 v3, v21 offset:96
	s_wait_dscnt 0x0
	s_barrier_signal -1
	s_barrier_wait -1
	ds_load_b32 v53, v28 offset:64
	ds_load_b32 v23, v29 offset:64
	;; [unrolled: 1-line block ×8, first 2 shown]
	v_mov_b64_e32 v[20:21], 0
                                        ; implicit-def: $vgpr22
	s_and_saveexec_b32 s4, vcc_lo
	s_cbranch_execz .LBB3009_43
; %bb.40:
	v_mul_u32_u24_e32 v3, 0x44, v32
	v_add_nc_u32_e32 v21, 1, v32
	s_mov_b32 s5, exec_lo
	ds_load_b32 v20, v3 offset:64
	v_mov_b32_e32 v3, 0x1000
	v_cmpx_ne_u32_e32 0x100, v21
; %bb.41:
	v_mul_u32_u24_e32 v3, 0x44, v21
	ds_load_b32 v3, v3 offset:64
; %bb.42:
	s_or_b32 exec_lo, exec_lo, s5
	s_wait_dscnt 0x0
	v_dual_mov_b32 v21, 0 :: v_dual_sub_nc_u32 v22, v3, v20
.LBB3009_43:
	s_or_b32 exec_lo, exec_lo, s4
	v_mov_b32_e32 v25, 0
	s_wait_dscnt 0x0
	s_barrier_signal -1
	s_barrier_wait -1
	s_and_saveexec_b32 s3, vcc_lo
	s_cbranch_execz .LBB3009_53
; %bb.44:
	v_lshl_add_u32 v24, s9, 8, v32
	v_dual_mov_b32 v28, 0 :: v_dual_bitop2_b32 v3, 2.0, v22 bitop3:0x54
	s_mov_b32 s4, 0
	s_mov_b32 s5, s9
	s_delay_alu instid0(VALU_DEP_2)
	v_lshl_add_u64 v[26:27], v[24:25], 2, s[10:11]
	global_store_b32 v24, v3, s[10:11] scale_offset scope:SCOPE_DEV
                                        ; implicit-def: $sgpr7
	s_branch .LBB3009_47
.LBB3009_45:                            ;   in Loop: Header=BB3009_47 Depth=1
	s_or_b32 exec_lo, exec_lo, s8
.LBB3009_46:                            ;   in Loop: Header=BB3009_47 Depth=1
	s_delay_alu instid0(SALU_CYCLE_1) | instskip(SKIP_2) | instid1(VALU_DEP_2)
	s_or_b32 exec_lo, exec_lo, s7
	v_and_b32_e32 v24, 0x3fffffff, v3
	v_cmp_gt_i32_e64 s7, -2.0, v3
	v_add_nc_u32_e32 v28, v24, v28
	s_and_b32 s8, exec_lo, s7
	s_delay_alu instid0(SALU_CYCLE_1) | instskip(NEXT) | instid1(SALU_CYCLE_1)
	s_or_b32 s4, s8, s4
	s_and_not1_b32 exec_lo, exec_lo, s4
	s_cbranch_execz .LBB3009_52
.LBB3009_47:                            ; =>This Loop Header: Depth=1
                                        ;     Child Loop BB3009_50 Depth 2
	s_or_b32 s7, s7, exec_lo
	s_cmp_eq_u32 s5, 0
	s_cbranch_scc1 .LBB3009_51
; %bb.48:                               ;   in Loop: Header=BB3009_47 Depth=1
	s_add_co_i32 s5, s5, -1
	s_mov_b32 s7, exec_lo
	s_wait_xcnt 0x0
	v_lshl_or_b32 v24, s5, 8, v32
	global_load_b32 v3, v24, s[10:11] scale_offset scope:SCOPE_DEV
	s_wait_loadcnt 0x0
	v_cmpx_gt_u32_e32 2.0, v3
	s_cbranch_execz .LBB3009_46
; %bb.49:                               ;   in Loop: Header=BB3009_47 Depth=1
	v_lshl_add_u64 v[30:31], v[24:25], 2, s[10:11]
	s_mov_b32 s8, 0
.LBB3009_50:                            ;   Parent Loop BB3009_47 Depth=1
                                        ; =>  This Inner Loop Header: Depth=2
	global_load_b32 v3, v[30:31], off scope:SCOPE_DEV
	s_wait_loadcnt 0x0
	v_cmp_lt_u32_e32 vcc_lo, 0x3fffffff, v3
	s_or_b32 s8, vcc_lo, s8
	s_wait_xcnt 0x0
	s_and_not1_b32 exec_lo, exec_lo, s8
	s_cbranch_execnz .LBB3009_50
	s_branch .LBB3009_45
.LBB3009_51:                            ;   in Loop: Header=BB3009_47 Depth=1
                                        ; implicit-def: $sgpr5
	s_and_b32 s8, exec_lo, s7
	s_delay_alu instid0(SALU_CYCLE_1)
	s_or_b32 s4, s8, s4
	s_wait_xcnt 0x0
	s_and_not1_b32 exec_lo, exec_lo, s4
	s_cbranch_execnz .LBB3009_47
.LBB3009_52:
	s_or_b32 exec_lo, exec_lo, s4
	v_dual_add_nc_u32 v3, v28, v22 :: v_dual_mov_b32 v29, 0
	s_delay_alu instid0(VALU_DEP_1)
	v_or_b32_e32 v3, 0x80000000, v3
	global_store_b32 v[26:27], v3, off scope:SCOPE_DEV
	global_load_b64 v[24:25], v32, s[12:13] scale_offset
	s_wait_xcnt 0x1
	v_sub_nc_u64_e32 v[26:27], v[28:29], v[20:21]
	s_wait_loadcnt 0x0
	s_delay_alu instid0(VALU_DEP_1)
	v_add_nc_u64_e32 v[24:25], v[26:27], v[24:25]
	ds_store_b64 v2, v[24:25]
.LBB3009_53:
	s_wait_xcnt 0x0
	s_or_b32 exec_lo, exec_lo, s3
	v_dual_mov_b32 v3, 0 :: v_dual_add_nc_u32 v1, v53, v1
	v_add3_u32 v26, v46, v50, v45
	v_add3_u32 v27, v43, v47, v42
	;; [unrolled: 1-line block ×3, first 2 shown]
	s_delay_alu instid0(VALU_DEP_4)
	v_add_nc_u64_e32 v[24:25], s[18:19], v[2:3]
	v_add3_u32 v3, v49, v54, v48
	v_add3_u32 v29, v39, v52, v38
	;; [unrolled: 1-line block ×4, first 2 shown]
	v_mov_b32_e32 v31, v32
	s_mov_b32 s4, -1
	v_add_nc_u64_e32 v[24:25], 0x3000, v[24:25]
	s_mov_b32 s3, 0
	s_branch .LBB3009_55
.LBB3009_54:                            ;   in Loop: Header=BB3009_55 Depth=1
	s_wait_xcnt 0x0
	s_or_b32 exec_lo, exec_lo, s5
	v_add_nc_u64_e32 v[24:25], 0x4000, v[24:25]
	v_add_nc_u32_e32 v31, 0x800, v31
	s_xor_b32 s4, s4, -1
	s_addk_co_i32 s3, 0xf800
	s_and_b32 vcc_lo, exec_lo, s4
	s_mov_b32 s4, 0
	s_wait_storecnt 0x0
	s_barrier_signal -1
	s_barrier_wait -1
	s_cbranch_vccnz .LBB3009_63
.LBB3009_55:                            ; =>This Inner Loop Header: Depth=1
	v_add_min_u32_e64 v34, v1, s3, 0x800
	v_add_min_u32_e64 v35, v23, s3, 0x800
	;; [unrolled: 1-line block ×5, first 2 shown]
	s_delay_alu instid0(VALU_DEP_4) | instskip(NEXT) | instid1(VALU_DEP_3)
	v_dual_lshlrev_b32 v34, 3, v34 :: v_dual_lshlrev_b32 v35, 3, v35
	v_dual_lshlrev_b32 v36, 3, v36 :: v_dual_lshlrev_b32 v37, 3, v37
	s_mov_b32 s5, exec_lo
	ds_store_b64 v34, v[6:7] offset:2048
	ds_store_b64 v35, v[4:5] offset:2048
	;; [unrolled: 1-line block ×3, first 2 shown]
	v_add_min_u32_e64 v34, v27, s3, 0x800
	v_add_min_u32_e64 v35, v26, s3, 0x800
	;; [unrolled: 1-line block ×3, first 2 shown]
	v_lshlrev_b32_e32 v38, 3, v38
	s_delay_alu instid0(VALU_DEP_3) | instskip(NEXT) | instid1(VALU_DEP_3)
	v_dual_lshlrev_b32 v34, 3, v34 :: v_dual_lshlrev_b32 v35, 3, v35
	v_lshlrev_b32_e32 v36, 3, v36
	ds_store_b64 v37, v[8:9] offset:2048
	ds_store_b64 v38, v[14:15] offset:2048
	;; [unrolled: 1-line block ×5, first 2 shown]
	s_wait_storecnt_dscnt 0x0
	s_barrier_signal -1
	s_barrier_wait -1
	v_cmpx_gt_u32_e64 s22, v31
	s_cbranch_execz .LBB3009_57
; %bb.56:                               ;   in Loop: Header=BB3009_55 Depth=1
	ds_load_b64 v[34:35], v2 offset:2048
	s_wait_dscnt 0x0
	v_lshrrev_b64 v[36:37], s20, v[34:35]
	s_delay_alu instid0(VALU_DEP_1) | instskip(NEXT) | instid1(VALU_DEP_1)
	v_and_b32_e32 v36, s6, v36
	v_lshlrev_b32_e32 v36, 3, v36
	ds_load_b64 v[36:37], v36
	s_wait_dscnt 0x0
	v_lshl_add_u64 v[36:37], v[36:37], 3, v[24:25]
	global_store_b64 v[36:37], v[34:35], off offset:-12288
.LBB3009_57:                            ;   in Loop: Header=BB3009_55 Depth=1
	s_wait_xcnt 0x0
	s_or_b32 exec_lo, exec_lo, s5
	v_add_nc_u32_e32 v34, 0x200, v31
	s_mov_b32 s5, exec_lo
	s_delay_alu instid0(VALU_DEP_1)
	v_cmpx_gt_u32_e64 s22, v34
	s_cbranch_execz .LBB3009_59
; %bb.58:                               ;   in Loop: Header=BB3009_55 Depth=1
	ds_load_b64 v[34:35], v2 offset:6144
	s_wait_dscnt 0x0
	v_lshrrev_b64 v[36:37], s20, v[34:35]
	s_delay_alu instid0(VALU_DEP_1) | instskip(NEXT) | instid1(VALU_DEP_1)
	v_and_b32_e32 v36, s6, v36
	v_lshlrev_b32_e32 v36, 3, v36
	ds_load_b64 v[36:37], v36
	s_wait_dscnt 0x0
	v_lshl_add_u64 v[36:37], v[36:37], 3, v[24:25]
	global_store_b64 v[36:37], v[34:35], off offset:-8192
.LBB3009_59:                            ;   in Loop: Header=BB3009_55 Depth=1
	s_wait_xcnt 0x0
	s_or_b32 exec_lo, exec_lo, s5
	v_add_nc_u32_e32 v34, 0x400, v31
	s_mov_b32 s5, exec_lo
	s_delay_alu instid0(VALU_DEP_1)
	;; [unrolled: 19-line block ×3, first 2 shown]
	v_cmpx_gt_u32_e64 s22, v34
	s_cbranch_execz .LBB3009_54
; %bb.62:                               ;   in Loop: Header=BB3009_55 Depth=1
	ds_load_b64 v[34:35], v2 offset:14336
	s_wait_dscnt 0x0
	v_lshrrev_b64 v[36:37], s20, v[34:35]
	s_delay_alu instid0(VALU_DEP_1) | instskip(NEXT) | instid1(VALU_DEP_1)
	v_and_b32_e32 v36, s6, v36
	v_lshlrev_b32_e32 v36, 3, v36
	ds_load_b64 v[36:37], v36
	s_wait_dscnt 0x0
	v_lshl_add_u64 v[36:37], v[36:37], 3, v[24:25]
	global_store_b64 v[36:37], v[34:35], off
	s_branch .LBB3009_54
.LBB3009_63:
	s_add_co_i32 s23, s23, -1
	s_delay_alu instid0(SALU_CYCLE_1) | instskip(SKIP_2) | instid1(SALU_CYCLE_1)
	s_cmp_eq_u32 s9, s23
	s_cselect_b32 s3, -1, 0
	s_xor_b32 s2, s2, -1
	s_and_b32 s3, s2, s3
	s_delay_alu instid0(SALU_CYCLE_1)
	s_and_saveexec_b32 s2, s3
	s_cbranch_execz .LBB3009_65
; %bb.64:
	ds_load_b64 v[2:3], v2
	v_mov_b32_e32 v23, 0
	s_delay_alu instid0(VALU_DEP_1) | instskip(SKIP_1) | instid1(VALU_DEP_1)
	v_add_nc_u64_e32 v[4:5], v[20:21], v[22:23]
	s_wait_dscnt 0x0
	v_add_nc_u64_e32 v[2:3], v[4:5], v[2:3]
	global_store_b64 v32, v[2:3], s[14:15] scale_offset
.LBB3009_65:
	s_wait_xcnt 0x0
	s_or_b32 exec_lo, exec_lo, s2
	s_mov_b32 s2, 0
.LBB3009_66:
	s_delay_alu instid0(SALU_CYCLE_1)
	s_and_b32 vcc_lo, exec_lo, s2
	s_cbranch_vccz .LBB3009_107
; %bb.67:
	s_lshl_b32 s2, s9, 12
	s_mov_b32 s3, 0
	v_dual_mov_b32 v19, 0 :: v_dual_lshlrev_b32 v18, 3, v33
	s_lshl_b64 s[4:5], s[2:3], 3
	v_lshlrev_b32_e32 v1, 6, v32
	s_add_nc_u64 s[4:5], s[16:17], s[4:5]
	s_delay_alu instid0(VALU_DEP_2) | instid1(SALU_CYCLE_1)
	v_add_nc_u64_e32 v[2:3], s[4:5], v[18:19]
	s_delay_alu instid0(VALU_DEP_2) | instskip(SKIP_2) | instid1(VALU_DEP_3)
	v_and_b32_e32 v18, 0x7800, v1
	v_bfe_u32 v1, v0, 10, 10
	v_bfe_u32 v0, v0, 20, 10
	v_add_nc_u64_e32 v[20:21], v[2:3], v[18:19]
	s_clause 0x7
	global_load_b64 v[2:3], v[20:21], off
	global_load_b64 v[4:5], v[20:21], off offset:256
	global_load_b64 v[6:7], v[20:21], off offset:512
	;; [unrolled: 1-line block ×7, first 2 shown]
	s_clause 0x1
	s_load_b32 s7, s[0:1], 0x58
	s_load_u16 s4, s[0:1], 0x66
	s_wait_kmcnt 0x0
	s_cmp_lt_u32 s9, s7
	v_mad_u32_u24 v0, v0, s4, v1
	s_cselect_b32 s2, 12, 18
	s_lshl_b32 s8, -1, s21
	s_add_nc_u64 s[0:1], s[24:25], s[2:3]
	s_load_u16 s16, s[0:1], 0x0
	s_wait_kmcnt 0x0
	v_mad_u32 v0, v0, s16, v32
	s_delay_alu instid0(VALU_DEP_1) | instskip(NEXT) | instid1(VALU_DEP_1)
	v_lshrrev_b32_e32 v0, 3, v0
	v_and_b32_e32 v0, 0x1ffffffc, v0
	s_wait_loadcnt 0x7
	v_lshrrev_b64 v[20:21], s20, v[2:3]
	s_delay_alu instid0(VALU_DEP_1) | instskip(SKIP_1) | instid1(VALU_DEP_2)
	v_bitop3_b32 v1, v20, 1, s8 bitop3:0x40
	v_bitop3_b32 v18, v20, s8, v20 bitop3:0x30
	v_add_co_u32 v1, s0, v1, -1
	s_delay_alu instid0(VALU_DEP_1) | instskip(NEXT) | instid1(VALU_DEP_3)
	v_cndmask_b32_e64 v20, 0, 1, s0
	v_dual_lshlrev_b32 v21, 30, v18 :: v_dual_lshlrev_b32 v22, 29, v18
	v_dual_lshlrev_b32 v23, 28, v18 :: v_dual_lshlrev_b32 v24, 27, v18
	v_lshlrev_b32_e32 v25, 26, v18
	s_delay_alu instid0(VALU_DEP_4) | instskip(NEXT) | instid1(VALU_DEP_4)
	v_cmp_ne_u32_e32 vcc_lo, 0, v20
	v_not_b32_e32 v20, v21
	v_dual_lshlrev_b32 v26, 25, v18 :: v_dual_lshlrev_b32 v27, 24, v18
	v_cmp_gt_i32_e64 s0, 0, v21
	v_cmp_gt_i32_e64 s1, 0, v22
	v_not_b32_e32 v21, v22
	v_not_b32_e32 v22, v23
	v_dual_ashrrev_i32 v20, 31, v20 :: v_dual_bitop2_b32 v1, vcc_lo, v1 bitop3:0x14
	v_cmp_gt_i32_e64 s2, 0, v23
	v_cmp_gt_i32_e64 s3, 0, v24
	v_not_b32_e32 v23, v24
	v_cmp_gt_i32_e64 s4, 0, v25
	v_not_b32_e32 v24, v25
	;; [unrolled: 2-line block ×3, first 2 shown]
	v_not_b32_e32 v26, v27
	v_dual_ashrrev_i32 v21, 31, v21 :: v_dual_ashrrev_i32 v22, 31, v22
	v_dual_ashrrev_i32 v23, 31, v23 :: v_dual_bitop2_b32 v20, s0, v20 bitop3:0x14
	v_cmp_gt_i32_e64 s6, 0, v27
	s_delay_alu instid0(VALU_DEP_3) | instskip(NEXT) | instid1(VALU_DEP_4)
	v_dual_ashrrev_i32 v24, 31, v24 :: v_dual_bitop2_b32 v21, s1, v21 bitop3:0x14
	v_xor_b32_e32 v22, s2, v22
	s_delay_alu instid0(VALU_DEP_4) | instskip(SKIP_3) | instid1(VALU_DEP_4)
	v_bitop3_b32 v1, v1, v20, exec_lo bitop3:0x80
	v_dual_ashrrev_i32 v20, 31, v25 :: v_dual_ashrrev_i32 v25, 31, v26
	v_xor_b32_e32 v23, s3, v23
	v_mul_lo_u32 v18, 0x44, v18
	v_bitop3_b32 v1, v1, v22, v21 bitop3:0x80
	v_xor_b32_e32 v24, s4, v24
	v_xor_b32_e32 v21, s6, v25
	;; [unrolled: 1-line block ×3, first 2 shown]
	s_not_b32 s4, s8
	v_add_nc_u32_e32 v25, v0, v18
	v_bitop3_b32 v1, v1, v24, v23 bitop3:0x80
	v_mul_u32_u24_e32 v24, 36, v32
	ds_store_2addr_b32 v24, v19, v19 offset0:16 offset1:17
	ds_store_2addr_b32 v24, v19, v19 offset0:18 offset1:19
	;; [unrolled: 1-line block ×4, first 2 shown]
	v_bitop3_b32 v1, v1, v21, v20 bitop3:0x80
	ds_store_b32 v24, v19 offset:96
	s_wait_storecnt 0x0
	s_wait_loadcnt_dscnt 0x0
	s_barrier_signal -1
	s_barrier_wait -1
	v_mbcnt_lo_u32_b32 v30, v1, 0
	v_cmp_ne_u32_e64 s0, 0, v1
	; wave barrier
	s_delay_alu instid0(VALU_DEP_2) | instskip(SKIP_1) | instid1(SALU_CYCLE_1)
	v_cmp_eq_u32_e32 vcc_lo, 0, v30
	s_and_b32 s1, s0, vcc_lo
	s_and_saveexec_b32 s0, s1
; %bb.68:
	v_bcnt_u32_b32 v1, v1, 0
	ds_store_b32 v25, v1 offset:64
; %bb.69:
	s_or_b32 exec_lo, exec_lo, s0
	v_lshrrev_b64 v[18:19], s20, v[4:5]
	; wave barrier
	s_delay_alu instid0(VALU_DEP_1) | instskip(SKIP_1) | instid1(VALU_DEP_2)
	v_and_b32_e32 v1, s4, v18
	v_bitop3_b32 v18, v18, 1, s4 bitop3:0x80
	v_lshlrev_b32_e32 v21, 30, v1
	s_delay_alu instid0(VALU_DEP_2) | instskip(NEXT) | instid1(VALU_DEP_1)
	v_add_co_u32 v18, s0, v18, -1
	v_cndmask_b32_e64 v20, 0, 1, s0
	s_delay_alu instid0(VALU_DEP_1) | instskip(NEXT) | instid1(VALU_DEP_4)
	v_cmp_ne_u32_e32 vcc_lo, 0, v20
	v_not_b32_e32 v20, v21
	s_delay_alu instid0(VALU_DEP_1) | instskip(SKIP_4) | instid1(VALU_DEP_4)
	v_dual_ashrrev_i32 v20, 31, v20 :: v_dual_bitop2_b32 v18, vcc_lo, v18 bitop3:0x14
	v_dual_lshlrev_b32 v22, 29, v1 :: v_dual_lshlrev_b32 v23, 28, v1
	v_lshlrev_b32_e32 v26, 27, v1
	v_cmp_gt_i32_e64 s0, 0, v21
	v_mul_lo_u32 v19, 0x44, v1
	v_cmp_gt_i32_e64 s1, 0, v22
	v_not_b32_e32 v21, v22
	v_not_b32_e32 v22, v23
	v_dual_lshlrev_b32 v27, 26, v1 :: v_dual_lshlrev_b32 v28, 25, v1
	v_lshlrev_b32_e32 v1, 24, v1
	v_cmp_gt_i32_e64 s2, 0, v23
	v_not_b32_e32 v23, v26
	v_dual_ashrrev_i32 v21, 31, v21 :: v_dual_ashrrev_i32 v22, 31, v22
	v_xor_b32_e32 v20, s0, v20
	v_cmp_gt_i32_e64 s3, 0, v26
	v_not_b32_e32 v26, v27
	s_delay_alu instid0(VALU_DEP_4)
	v_dual_ashrrev_i32 v23, 31, v23 :: v_dual_bitop2_b32 v21, s1, v21 bitop3:0x14
	v_xor_b32_e32 v22, s2, v22
	v_bitop3_b32 v18, v18, v20, exec_lo bitop3:0x80
	v_cmp_gt_i32_e32 vcc_lo, 0, v27
	v_ashrrev_i32_e32 v20, 31, v26
	v_not_b32_e32 v26, v28
	v_xor_b32_e32 v23, s3, v23
	v_bitop3_b32 v18, v18, v22, v21 bitop3:0x80
	v_not_b32_e32 v21, v1
	v_xor_b32_e32 v20, vcc_lo, v20
	v_cmp_gt_i32_e32 vcc_lo, 0, v28
	v_ashrrev_i32_e32 v22, 31, v26
	v_cmp_gt_i32_e64 s0, 0, v1
	v_dual_ashrrev_i32 v1, 31, v21 :: v_dual_add_nc_u32 v26, v0, v19
	v_bitop3_b32 v18, v18, v20, v23 bitop3:0x80
	s_delay_alu instid0(VALU_DEP_4) | instskip(NEXT) | instid1(VALU_DEP_3)
	v_xor_b32_e32 v19, vcc_lo, v22
	v_xor_b32_e32 v1, s0, v1
	ds_load_b32 v31, v26 offset:64
	; wave barrier
	v_bitop3_b32 v1, v18, v1, v19 bitop3:0x80
	s_delay_alu instid0(VALU_DEP_1) | instskip(SKIP_1) | instid1(VALU_DEP_2)
	v_mbcnt_lo_u32_b32 v34, v1, 0
	v_cmp_ne_u32_e64 s0, 0, v1
	v_cmp_eq_u32_e32 vcc_lo, 0, v34
	s_and_b32 s1, s0, vcc_lo
	s_delay_alu instid0(SALU_CYCLE_1)
	s_and_saveexec_b32 s0, s1
	s_cbranch_execz .LBB3009_71
; %bb.70:
	s_wait_dscnt 0x0
	v_bcnt_u32_b32 v1, v1, v31
	ds_store_b32 v26, v1 offset:64
.LBB3009_71:
	s_or_b32 exec_lo, exec_lo, s0
	v_lshrrev_b64 v[18:19], s20, v[6:7]
	; wave barrier
	s_delay_alu instid0(VALU_DEP_1) | instskip(SKIP_1) | instid1(VALU_DEP_2)
	v_and_b32_e32 v1, s4, v18
	v_bitop3_b32 v18, v18, 1, s4 bitop3:0x80
	v_lshlrev_b32_e32 v21, 30, v1
	s_delay_alu instid0(VALU_DEP_2) | instskip(NEXT) | instid1(VALU_DEP_1)
	v_add_co_u32 v18, s0, v18, -1
	v_cndmask_b32_e64 v20, 0, 1, s0
	s_delay_alu instid0(VALU_DEP_1) | instskip(NEXT) | instid1(VALU_DEP_4)
	v_cmp_ne_u32_e32 vcc_lo, 0, v20
	v_not_b32_e32 v20, v21
	s_delay_alu instid0(VALU_DEP_1) | instskip(SKIP_4) | instid1(VALU_DEP_4)
	v_dual_ashrrev_i32 v20, 31, v20 :: v_dual_bitop2_b32 v18, vcc_lo, v18 bitop3:0x14
	v_dual_lshlrev_b32 v22, 29, v1 :: v_dual_lshlrev_b32 v23, 28, v1
	v_lshlrev_b32_e32 v27, 27, v1
	v_cmp_gt_i32_e64 s0, 0, v21
	v_mul_lo_u32 v19, 0x44, v1
	v_cmp_gt_i32_e64 s1, 0, v22
	v_not_b32_e32 v21, v22
	v_not_b32_e32 v22, v23
	v_dual_lshlrev_b32 v28, 26, v1 :: v_dual_lshlrev_b32 v29, 25, v1
	v_lshlrev_b32_e32 v1, 24, v1
	v_cmp_gt_i32_e64 s2, 0, v23
	v_not_b32_e32 v23, v27
	v_dual_ashrrev_i32 v21, 31, v21 :: v_dual_ashrrev_i32 v22, 31, v22
	v_xor_b32_e32 v20, s0, v20
	v_cmp_gt_i32_e64 s3, 0, v27
	v_not_b32_e32 v27, v28
	s_delay_alu instid0(VALU_DEP_4)
	v_dual_ashrrev_i32 v23, 31, v23 :: v_dual_bitop2_b32 v21, s1, v21 bitop3:0x14
	v_xor_b32_e32 v22, s2, v22
	v_bitop3_b32 v18, v18, v20, exec_lo bitop3:0x80
	v_cmp_gt_i32_e32 vcc_lo, 0, v28
	v_ashrrev_i32_e32 v20, 31, v27
	v_not_b32_e32 v27, v29
	v_xor_b32_e32 v23, s3, v23
	v_bitop3_b32 v18, v18, v22, v21 bitop3:0x80
	v_not_b32_e32 v21, v1
	s_delay_alu instid0(VALU_DEP_4) | instskip(SKIP_2) | instid1(VALU_DEP_4)
	v_dual_ashrrev_i32 v22, 31, v27 :: v_dual_bitop2_b32 v20, vcc_lo, v20 bitop3:0x14
	v_cmp_gt_i32_e32 vcc_lo, 0, v29
	v_cmp_gt_i32_e64 s0, 0, v1
	v_dual_ashrrev_i32 v1, 31, v21 :: v_dual_add_nc_u32 v27, v0, v19
	s_delay_alu instid0(VALU_DEP_4) | instskip(SKIP_1) | instid1(VALU_DEP_3)
	v_bitop3_b32 v18, v18, v20, v23 bitop3:0x80
	v_xor_b32_e32 v19, vcc_lo, v22
	v_xor_b32_e32 v1, s0, v1
	ds_load_b32 v35, v27 offset:64
	; wave barrier
	v_bitop3_b32 v1, v18, v1, v19 bitop3:0x80
	s_delay_alu instid0(VALU_DEP_1) | instskip(SKIP_1) | instid1(VALU_DEP_2)
	v_mbcnt_lo_u32_b32 v36, v1, 0
	v_cmp_ne_u32_e64 s0, 0, v1
	v_cmp_eq_u32_e32 vcc_lo, 0, v36
	s_and_b32 s1, s0, vcc_lo
	s_delay_alu instid0(SALU_CYCLE_1)
	s_and_saveexec_b32 s0, s1
	s_cbranch_execz .LBB3009_73
; %bb.72:
	s_wait_dscnt 0x0
	v_bcnt_u32_b32 v1, v1, v35
	ds_store_b32 v27, v1 offset:64
.LBB3009_73:
	s_or_b32 exec_lo, exec_lo, s0
	v_lshrrev_b64 v[18:19], s20, v[8:9]
	; wave barrier
	s_delay_alu instid0(VALU_DEP_1) | instskip(SKIP_1) | instid1(VALU_DEP_2)
	v_and_b32_e32 v1, s4, v18
	v_bitop3_b32 v18, v18, 1, s4 bitop3:0x80
	v_lshlrev_b32_e32 v21, 30, v1
	s_delay_alu instid0(VALU_DEP_2) | instskip(NEXT) | instid1(VALU_DEP_1)
	v_add_co_u32 v18, s0, v18, -1
	v_cndmask_b32_e64 v20, 0, 1, s0
	s_delay_alu instid0(VALU_DEP_1) | instskip(NEXT) | instid1(VALU_DEP_4)
	v_cmp_ne_u32_e32 vcc_lo, 0, v20
	v_not_b32_e32 v20, v21
	s_delay_alu instid0(VALU_DEP_1) | instskip(SKIP_4) | instid1(VALU_DEP_4)
	v_dual_ashrrev_i32 v20, 31, v20 :: v_dual_bitop2_b32 v18, vcc_lo, v18 bitop3:0x14
	v_dual_lshlrev_b32 v22, 29, v1 :: v_dual_lshlrev_b32 v23, 28, v1
	v_lshlrev_b32_e32 v28, 27, v1
	v_cmp_gt_i32_e64 s0, 0, v21
	v_mul_lo_u32 v19, 0x44, v1
	v_cmp_gt_i32_e64 s1, 0, v22
	v_not_b32_e32 v21, v22
	v_not_b32_e32 v22, v23
	v_dual_lshlrev_b32 v29, 26, v1 :: v_dual_lshlrev_b32 v37, 25, v1
	v_lshlrev_b32_e32 v1, 24, v1
	v_cmp_gt_i32_e64 s2, 0, v23
	v_not_b32_e32 v23, v28
	v_dual_ashrrev_i32 v21, 31, v21 :: v_dual_ashrrev_i32 v22, 31, v22
	v_xor_b32_e32 v20, s0, v20
	v_cmp_gt_i32_e64 s3, 0, v28
	v_not_b32_e32 v28, v29
	s_delay_alu instid0(VALU_DEP_4)
	v_dual_ashrrev_i32 v23, 31, v23 :: v_dual_bitop2_b32 v21, s1, v21 bitop3:0x14
	v_xor_b32_e32 v22, s2, v22
	v_bitop3_b32 v18, v18, v20, exec_lo bitop3:0x80
	v_cmp_gt_i32_e32 vcc_lo, 0, v29
	v_ashrrev_i32_e32 v20, 31, v28
	v_not_b32_e32 v28, v37
	v_xor_b32_e32 v23, s3, v23
	v_bitop3_b32 v18, v18, v22, v21 bitop3:0x80
	v_not_b32_e32 v21, v1
	v_xor_b32_e32 v20, vcc_lo, v20
	v_cmp_gt_i32_e32 vcc_lo, 0, v37
	v_ashrrev_i32_e32 v22, 31, v28
	v_cmp_gt_i32_e64 s0, 0, v1
	v_dual_ashrrev_i32 v1, 31, v21 :: v_dual_add_nc_u32 v28, v0, v19
	v_bitop3_b32 v18, v18, v20, v23 bitop3:0x80
	s_delay_alu instid0(VALU_DEP_4) | instskip(NEXT) | instid1(VALU_DEP_3)
	v_xor_b32_e32 v19, vcc_lo, v22
	v_xor_b32_e32 v1, s0, v1
	ds_load_b32 v37, v28 offset:64
	; wave barrier
	v_bitop3_b32 v1, v18, v1, v19 bitop3:0x80
	s_delay_alu instid0(VALU_DEP_1) | instskip(SKIP_1) | instid1(VALU_DEP_2)
	v_mbcnt_lo_u32_b32 v38, v1, 0
	v_cmp_ne_u32_e64 s0, 0, v1
	v_cmp_eq_u32_e32 vcc_lo, 0, v38
	s_and_b32 s1, s0, vcc_lo
	s_delay_alu instid0(SALU_CYCLE_1)
	s_and_saveexec_b32 s0, s1
	s_cbranch_execz .LBB3009_75
; %bb.74:
	s_wait_dscnt 0x0
	v_bcnt_u32_b32 v1, v1, v37
	ds_store_b32 v28, v1 offset:64
.LBB3009_75:
	s_or_b32 exec_lo, exec_lo, s0
	v_lshrrev_b64 v[18:19], s20, v[10:11]
	; wave barrier
	s_delay_alu instid0(VALU_DEP_1) | instskip(SKIP_1) | instid1(VALU_DEP_2)
	v_and_b32_e32 v1, s4, v18
	v_bitop3_b32 v18, v18, 1, s4 bitop3:0x80
	v_lshlrev_b32_e32 v21, 30, v1
	s_delay_alu instid0(VALU_DEP_2) | instskip(NEXT) | instid1(VALU_DEP_1)
	v_add_co_u32 v18, s0, v18, -1
	v_cndmask_b32_e64 v20, 0, 1, s0
	s_delay_alu instid0(VALU_DEP_1) | instskip(NEXT) | instid1(VALU_DEP_4)
	v_cmp_ne_u32_e32 vcc_lo, 0, v20
	v_not_b32_e32 v20, v21
	s_delay_alu instid0(VALU_DEP_1) | instskip(SKIP_4) | instid1(VALU_DEP_4)
	v_dual_ashrrev_i32 v20, 31, v20 :: v_dual_bitop2_b32 v18, vcc_lo, v18 bitop3:0x14
	v_dual_lshlrev_b32 v22, 29, v1 :: v_dual_lshlrev_b32 v23, 28, v1
	v_lshlrev_b32_e32 v29, 27, v1
	v_cmp_gt_i32_e64 s0, 0, v21
	v_mul_lo_u32 v19, 0x44, v1
	v_cmp_gt_i32_e64 s1, 0, v22
	v_not_b32_e32 v21, v22
	v_not_b32_e32 v22, v23
	v_dual_lshlrev_b32 v39, 26, v1 :: v_dual_lshlrev_b32 v40, 25, v1
	v_lshlrev_b32_e32 v1, 24, v1
	v_cmp_gt_i32_e64 s2, 0, v23
	v_not_b32_e32 v23, v29
	v_dual_ashrrev_i32 v21, 31, v21 :: v_dual_ashrrev_i32 v22, 31, v22
	v_xor_b32_e32 v20, s0, v20
	v_cmp_gt_i32_e64 s3, 0, v29
	v_not_b32_e32 v29, v39
	s_delay_alu instid0(VALU_DEP_4)
	v_dual_ashrrev_i32 v23, 31, v23 :: v_dual_bitop2_b32 v21, s1, v21 bitop3:0x14
	v_xor_b32_e32 v22, s2, v22
	v_bitop3_b32 v18, v18, v20, exec_lo bitop3:0x80
	v_cmp_gt_i32_e32 vcc_lo, 0, v39
	v_ashrrev_i32_e32 v20, 31, v29
	v_not_b32_e32 v29, v40
	v_xor_b32_e32 v23, s3, v23
	v_bitop3_b32 v18, v18, v22, v21 bitop3:0x80
	v_not_b32_e32 v21, v1
	v_xor_b32_e32 v20, vcc_lo, v20
	v_cmp_gt_i32_e32 vcc_lo, 0, v40
	v_ashrrev_i32_e32 v22, 31, v29
	v_cmp_gt_i32_e64 s0, 0, v1
	v_dual_ashrrev_i32 v1, 31, v21 :: v_dual_add_nc_u32 v29, v0, v19
	v_bitop3_b32 v18, v18, v20, v23 bitop3:0x80
	s_delay_alu instid0(VALU_DEP_4) | instskip(NEXT) | instid1(VALU_DEP_3)
	v_xor_b32_e32 v19, vcc_lo, v22
	v_xor_b32_e32 v1, s0, v1
	ds_load_b32 v39, v29 offset:64
	; wave barrier
	v_bitop3_b32 v1, v18, v1, v19 bitop3:0x80
	s_delay_alu instid0(VALU_DEP_1) | instskip(SKIP_1) | instid1(VALU_DEP_2)
	v_mbcnt_lo_u32_b32 v40, v1, 0
	v_cmp_ne_u32_e64 s0, 0, v1
	v_cmp_eq_u32_e32 vcc_lo, 0, v40
	s_and_b32 s1, s0, vcc_lo
	s_delay_alu instid0(SALU_CYCLE_1)
	s_and_saveexec_b32 s0, s1
	s_cbranch_execz .LBB3009_77
; %bb.76:
	s_wait_dscnt 0x0
	v_bcnt_u32_b32 v1, v1, v39
	ds_store_b32 v29, v1 offset:64
.LBB3009_77:
	s_or_b32 exec_lo, exec_lo, s0
	v_lshrrev_b64 v[18:19], s20, v[12:13]
	; wave barrier
	s_delay_alu instid0(VALU_DEP_1) | instskip(SKIP_1) | instid1(VALU_DEP_2)
	v_and_b32_e32 v1, s4, v18
	v_bitop3_b32 v18, v18, 1, s4 bitop3:0x80
	v_lshlrev_b32_e32 v21, 30, v1
	s_delay_alu instid0(VALU_DEP_2) | instskip(NEXT) | instid1(VALU_DEP_1)
	v_add_co_u32 v18, s0, v18, -1
	v_cndmask_b32_e64 v20, 0, 1, s0
	s_delay_alu instid0(VALU_DEP_1) | instskip(NEXT) | instid1(VALU_DEP_4)
	v_cmp_ne_u32_e32 vcc_lo, 0, v20
	v_not_b32_e32 v20, v21
	s_delay_alu instid0(VALU_DEP_1) | instskip(SKIP_4) | instid1(VALU_DEP_4)
	v_dual_ashrrev_i32 v20, 31, v20 :: v_dual_bitop2_b32 v18, vcc_lo, v18 bitop3:0x14
	v_dual_lshlrev_b32 v22, 29, v1 :: v_dual_lshlrev_b32 v23, 28, v1
	v_lshlrev_b32_e32 v41, 27, v1
	v_cmp_gt_i32_e64 s0, 0, v21
	v_mul_lo_u32 v19, 0x44, v1
	v_cmp_gt_i32_e64 s1, 0, v22
	v_not_b32_e32 v21, v22
	v_not_b32_e32 v22, v23
	v_dual_lshlrev_b32 v42, 26, v1 :: v_dual_lshlrev_b32 v43, 25, v1
	v_lshlrev_b32_e32 v1, 24, v1
	v_cmp_gt_i32_e64 s2, 0, v23
	v_not_b32_e32 v23, v41
	v_dual_ashrrev_i32 v21, 31, v21 :: v_dual_ashrrev_i32 v22, 31, v22
	v_xor_b32_e32 v20, s0, v20
	v_cmp_gt_i32_e64 s3, 0, v41
	v_not_b32_e32 v41, v42
	s_delay_alu instid0(VALU_DEP_4)
	v_dual_ashrrev_i32 v23, 31, v23 :: v_dual_bitop2_b32 v21, s1, v21 bitop3:0x14
	v_dual_add_nc_u32 v45, v0, v19 :: v_dual_bitop2_b32 v22, s2, v22 bitop3:0x14
	v_bitop3_b32 v18, v18, v20, exec_lo bitop3:0x80
	v_cmp_gt_i32_e32 vcc_lo, 0, v42
	v_ashrrev_i32_e32 v20, 31, v41
	v_not_b32_e32 v41, v43
	v_xor_b32_e32 v23, s3, v23
	v_bitop3_b32 v18, v18, v22, v21 bitop3:0x80
	v_not_b32_e32 v21, v1
	v_xor_b32_e32 v20, vcc_lo, v20
	v_cmp_gt_i32_e32 vcc_lo, 0, v43
	v_ashrrev_i32_e32 v22, 31, v41
	v_cmp_gt_i32_e64 s0, 0, v1
	v_ashrrev_i32_e32 v1, 31, v21
	v_bitop3_b32 v18, v18, v20, v23 bitop3:0x80
	ds_load_b32 v41, v45 offset:64
	v_xor_b32_e32 v19, vcc_lo, v22
	v_xor_b32_e32 v1, s0, v1
	; wave barrier
	s_delay_alu instid0(VALU_DEP_1) | instskip(NEXT) | instid1(VALU_DEP_1)
	v_bitop3_b32 v1, v18, v1, v19 bitop3:0x80
	v_mbcnt_lo_u32_b32 v42, v1, 0
	v_cmp_ne_u32_e64 s0, 0, v1
	s_delay_alu instid0(VALU_DEP_2) | instskip(SKIP_1) | instid1(SALU_CYCLE_1)
	v_cmp_eq_u32_e32 vcc_lo, 0, v42
	s_and_b32 s1, s0, vcc_lo
	s_and_saveexec_b32 s0, s1
	s_cbranch_execz .LBB3009_79
; %bb.78:
	s_wait_dscnt 0x0
	v_bcnt_u32_b32 v1, v1, v41
	ds_store_b32 v45, v1 offset:64
.LBB3009_79:
	s_or_b32 exec_lo, exec_lo, s0
	v_lshrrev_b64 v[18:19], s20, v[14:15]
	; wave barrier
	s_delay_alu instid0(VALU_DEP_1) | instskip(SKIP_1) | instid1(VALU_DEP_2)
	v_and_b32_e32 v1, s4, v18
	v_bitop3_b32 v18, v18, 1, s4 bitop3:0x80
	v_lshlrev_b32_e32 v21, 30, v1
	s_delay_alu instid0(VALU_DEP_2) | instskip(NEXT) | instid1(VALU_DEP_1)
	v_add_co_u32 v18, s0, v18, -1
	v_cndmask_b32_e64 v20, 0, 1, s0
	s_delay_alu instid0(VALU_DEP_1) | instskip(NEXT) | instid1(VALU_DEP_4)
	v_cmp_ne_u32_e32 vcc_lo, 0, v20
	v_not_b32_e32 v20, v21
	s_delay_alu instid0(VALU_DEP_1) | instskip(SKIP_4) | instid1(VALU_DEP_4)
	v_dual_ashrrev_i32 v20, 31, v20 :: v_dual_bitop2_b32 v18, vcc_lo, v18 bitop3:0x14
	v_dual_lshlrev_b32 v22, 29, v1 :: v_dual_lshlrev_b32 v23, 28, v1
	v_lshlrev_b32_e32 v43, 27, v1
	v_cmp_gt_i32_e64 s0, 0, v21
	v_mul_lo_u32 v19, 0x44, v1
	v_cmp_gt_i32_e64 s1, 0, v22
	v_not_b32_e32 v21, v22
	v_not_b32_e32 v22, v23
	v_dual_lshlrev_b32 v44, 26, v1 :: v_dual_lshlrev_b32 v46, 25, v1
	v_lshlrev_b32_e32 v1, 24, v1
	v_cmp_gt_i32_e64 s2, 0, v23
	v_not_b32_e32 v23, v43
	v_dual_ashrrev_i32 v21, 31, v21 :: v_dual_ashrrev_i32 v22, 31, v22
	v_xor_b32_e32 v20, s0, v20
	v_cmp_gt_i32_e64 s3, 0, v43
	v_not_b32_e32 v43, v44
	s_delay_alu instid0(VALU_DEP_4)
	v_dual_ashrrev_i32 v23, 31, v23 :: v_dual_bitop2_b32 v21, s1, v21 bitop3:0x14
	v_xor_b32_e32 v22, s2, v22
	v_bitop3_b32 v18, v18, v20, exec_lo bitop3:0x80
	v_cmp_gt_i32_e32 vcc_lo, 0, v44
	v_ashrrev_i32_e32 v20, 31, v43
	v_not_b32_e32 v43, v46
	v_xor_b32_e32 v23, s3, v23
	v_bitop3_b32 v18, v18, v22, v21 bitop3:0x80
	v_not_b32_e32 v21, v1
	s_delay_alu instid0(VALU_DEP_4) | instskip(SKIP_2) | instid1(VALU_DEP_4)
	v_dual_ashrrev_i32 v22, 31, v43 :: v_dual_bitop2_b32 v20, vcc_lo, v20 bitop3:0x14
	v_cmp_gt_i32_e32 vcc_lo, 0, v46
	v_cmp_gt_i32_e64 s0, 0, v1
	v_dual_ashrrev_i32 v1, 31, v21 :: v_dual_add_nc_u32 v48, v0, v19
	s_delay_alu instid0(VALU_DEP_4) | instskip(SKIP_1) | instid1(VALU_DEP_3)
	v_bitop3_b32 v18, v18, v20, v23 bitop3:0x80
	v_xor_b32_e32 v19, vcc_lo, v22
	v_xor_b32_e32 v1, s0, v1
	ds_load_b32 v43, v48 offset:64
	; wave barrier
	v_bitop3_b32 v1, v18, v1, v19 bitop3:0x80
	s_delay_alu instid0(VALU_DEP_1) | instskip(SKIP_1) | instid1(VALU_DEP_2)
	v_mbcnt_lo_u32_b32 v44, v1, 0
	v_cmp_ne_u32_e64 s0, 0, v1
	v_cmp_eq_u32_e32 vcc_lo, 0, v44
	s_and_b32 s1, s0, vcc_lo
	s_delay_alu instid0(SALU_CYCLE_1)
	s_and_saveexec_b32 s0, s1
	s_cbranch_execz .LBB3009_81
; %bb.80:
	s_wait_dscnt 0x0
	v_bcnt_u32_b32 v1, v1, v43
	ds_store_b32 v48, v1 offset:64
.LBB3009_81:
	s_or_b32 exec_lo, exec_lo, s0
	v_lshrrev_b64 v[18:19], s20, v[16:17]
	; wave barrier
	s_delay_alu instid0(VALU_DEP_1) | instskip(SKIP_1) | instid1(VALU_DEP_2)
	v_and_b32_e32 v1, s4, v18
	v_bitop3_b32 v18, v18, 1, s4 bitop3:0x80
	v_lshlrev_b32_e32 v21, 30, v1
	s_delay_alu instid0(VALU_DEP_2) | instskip(NEXT) | instid1(VALU_DEP_1)
	v_add_co_u32 v18, s0, v18, -1
	v_cndmask_b32_e64 v20, 0, 1, s0
	s_delay_alu instid0(VALU_DEP_1) | instskip(NEXT) | instid1(VALU_DEP_4)
	v_cmp_ne_u32_e32 vcc_lo, 0, v20
	v_not_b32_e32 v20, v21
	s_delay_alu instid0(VALU_DEP_1) | instskip(SKIP_4) | instid1(VALU_DEP_4)
	v_dual_ashrrev_i32 v20, 31, v20 :: v_dual_bitop2_b32 v18, vcc_lo, v18 bitop3:0x14
	v_dual_lshlrev_b32 v22, 29, v1 :: v_dual_lshlrev_b32 v23, 28, v1
	v_lshlrev_b32_e32 v46, 27, v1
	v_cmp_gt_i32_e64 s0, 0, v21
	v_mul_lo_u32 v19, 0x44, v1
	v_cmp_gt_i32_e64 s1, 0, v22
	v_not_b32_e32 v21, v22
	v_not_b32_e32 v22, v23
	v_dual_lshlrev_b32 v47, 26, v1 :: v_dual_lshlrev_b32 v49, 25, v1
	v_lshlrev_b32_e32 v1, 24, v1
	v_cmp_gt_i32_e64 s2, 0, v23
	v_not_b32_e32 v23, v46
	v_dual_ashrrev_i32 v21, 31, v21 :: v_dual_ashrrev_i32 v22, 31, v22
	v_xor_b32_e32 v20, s0, v20
	v_cmp_gt_i32_e64 s3, 0, v46
	v_not_b32_e32 v46, v47
	s_delay_alu instid0(VALU_DEP_4)
	v_dual_ashrrev_i32 v23, 31, v23 :: v_dual_bitop2_b32 v21, s1, v21 bitop3:0x14
	v_xor_b32_e32 v22, s2, v22
	v_bitop3_b32 v18, v18, v20, exec_lo bitop3:0x80
	v_cmp_gt_i32_e32 vcc_lo, 0, v47
	v_ashrrev_i32_e32 v20, 31, v46
	v_not_b32_e32 v46, v49
	v_xor_b32_e32 v23, s3, v23
	v_bitop3_b32 v18, v18, v22, v21 bitop3:0x80
	v_not_b32_e32 v21, v1
	v_dual_add_nc_u32 v51, v0, v19 :: v_dual_bitop2_b32 v20, vcc_lo, v20 bitop3:0x14
	v_cmp_gt_i32_e32 vcc_lo, 0, v49
	v_ashrrev_i32_e32 v22, 31, v46
	v_cmp_gt_i32_e64 s0, 0, v1
	v_ashrrev_i32_e32 v1, 31, v21
	v_bitop3_b32 v0, v18, v20, v23 bitop3:0x80
	ds_load_b32 v46, v51 offset:64
	v_xor_b32_e32 v18, vcc_lo, v22
	v_xor_b32_e32 v1, s0, v1
	; wave barrier
	s_delay_alu instid0(VALU_DEP_1) | instskip(NEXT) | instid1(VALU_DEP_1)
	v_bitop3_b32 v0, v0, v1, v18 bitop3:0x80
	v_mbcnt_lo_u32_b32 v47, v0, 0
	v_cmp_ne_u32_e64 s0, 0, v0
	s_delay_alu instid0(VALU_DEP_2) | instskip(SKIP_1) | instid1(SALU_CYCLE_1)
	v_cmp_eq_u32_e32 vcc_lo, 0, v47
	s_and_b32 s1, s0, vcc_lo
	s_and_saveexec_b32 s0, s1
	s_cbranch_execz .LBB3009_83
; %bb.82:
	s_wait_dscnt 0x0
	v_bcnt_u32_b32 v0, v0, v46
	ds_store_b32 v51, v0 offset:64
.LBB3009_83:
	s_or_b32 exec_lo, exec_lo, s0
	; wave barrier
	s_wait_dscnt 0x0
	s_barrier_signal -1
	s_barrier_wait -1
	ds_load_2addr_b32 v[22:23], v24 offset0:16 offset1:17
	ds_load_2addr_b32 v[20:21], v24 offset0:18 offset1:19
	ds_load_2addr_b32 v[18:19], v24 offset0:20 offset1:21
	ds_load_2addr_b32 v[0:1], v24 offset0:22 offset1:23
	ds_load_b32 v49, v24 offset:96
	v_bfe_i32 v53, v33, 4, 1
	s_mov_b32 s5, exec_lo
	s_wait_dscnt 0x3
	v_add3_u32 v50, v23, v22, v20
	s_wait_dscnt 0x2
	s_delay_alu instid0(VALU_DEP_1) | instskip(SKIP_1) | instid1(VALU_DEP_1)
	v_add3_u32 v50, v50, v21, v18
	s_wait_dscnt 0x1
	v_add3_u32 v50, v50, v19, v0
	s_wait_dscnt 0x0
	s_delay_alu instid0(VALU_DEP_1) | instskip(SKIP_1) | instid1(VALU_DEP_2)
	v_add3_u32 v49, v50, v1, v49
	v_and_b32_e32 v50, 15, v33
	v_mov_b32_dpp v52, v49 row_shr:1 row_mask:0xf bank_mask:0xf
	s_delay_alu instid0(VALU_DEP_2) | instskip(SKIP_1) | instid1(VALU_DEP_3)
	v_cmp_eq_u32_e32 vcc_lo, 0, v50
	v_cmp_lt_u32_e64 s0, 1, v50
	v_cndmask_b32_e64 v52, v52, 0, vcc_lo
	s_delay_alu instid0(VALU_DEP_1) | instskip(NEXT) | instid1(VALU_DEP_1)
	v_add_nc_u32_e32 v49, v52, v49
	v_mov_b32_dpp v52, v49 row_shr:2 row_mask:0xf bank_mask:0xf
	s_delay_alu instid0(VALU_DEP_1) | instskip(SKIP_2) | instid1(VALU_DEP_3)
	v_cndmask_b32_e64 v52, 0, v52, s0
	v_cmp_lt_u32_e64 s2, 7, v50
	v_cmp_lt_u32_e64 s1, 3, v50
	v_add_nc_u32_e32 v49, v49, v52
	s_delay_alu instid0(VALU_DEP_1) | instskip(NEXT) | instid1(VALU_DEP_1)
	v_mov_b32_dpp v52, v49 row_shr:4 row_mask:0xf bank_mask:0xf
	v_cndmask_b32_e64 v52, 0, v52, s1
	s_delay_alu instid0(VALU_DEP_1) | instskip(NEXT) | instid1(VALU_DEP_1)
	v_add_nc_u32_e32 v49, v49, v52
	v_mov_b32_dpp v52, v49 row_shr:8 row_mask:0xf bank_mask:0xf
	s_delay_alu instid0(VALU_DEP_1) | instskip(SKIP_1) | instid1(VALU_DEP_1)
	v_cndmask_b32_e64 v50, 0, v52, s2
	v_and_b32_e32 v52, 0x3e0, v32
	v_min_u32_e32 v52, 0x1e0, v52
	s_delay_alu instid0(VALU_DEP_1) | instskip(SKIP_3) | instid1(VALU_DEP_1)
	v_dual_add_nc_u32 v49, v49, v50 :: v_dual_bitop2_b32 v52, 31, v52 bitop3:0x54
	ds_swizzle_b32 v50, v49 offset:swizzle(BROADCAST,32,15)
	s_wait_dscnt 0x0
	v_dual_lshrrev_b32 v50, 5, v32 :: v_dual_bitop2_b32 v53, v53, v50 bitop3:0x40
	v_add_nc_u32_e32 v49, v49, v53
	v_cmpx_eq_u32_e64 v32, v52
; %bb.84:
	s_delay_alu instid0(VALU_DEP_3)
	v_lshlrev_b32_e32 v52, 2, v50
	ds_store_b32 v52, v49
; %bb.85:
	s_or_b32 exec_lo, exec_lo, s5
	s_delay_alu instid0(SALU_CYCLE_1)
	s_mov_b32 s5, exec_lo
	s_wait_dscnt 0x0
	s_barrier_signal -1
	s_barrier_wait -1
	v_cmpx_gt_u32_e32 16, v32
	s_cbranch_execz .LBB3009_87
; %bb.86:
	v_lshlrev_b32_e32 v52, 2, v32
	ds_load_b32 v53, v52
	s_wait_dscnt 0x0
	v_mov_b32_dpp v54, v53 row_shr:1 row_mask:0xf bank_mask:0xf
	s_delay_alu instid0(VALU_DEP_1) | instskip(NEXT) | instid1(VALU_DEP_1)
	v_cndmask_b32_e64 v54, v54, 0, vcc_lo
	v_add_nc_u32_e32 v53, v54, v53
	s_delay_alu instid0(VALU_DEP_1) | instskip(NEXT) | instid1(VALU_DEP_1)
	v_mov_b32_dpp v54, v53 row_shr:2 row_mask:0xf bank_mask:0xf
	v_cndmask_b32_e64 v54, 0, v54, s0
	s_delay_alu instid0(VALU_DEP_1) | instskip(NEXT) | instid1(VALU_DEP_1)
	v_add_nc_u32_e32 v53, v53, v54
	v_mov_b32_dpp v54, v53 row_shr:4 row_mask:0xf bank_mask:0xf
	s_delay_alu instid0(VALU_DEP_1) | instskip(NEXT) | instid1(VALU_DEP_1)
	v_cndmask_b32_e64 v54, 0, v54, s1
	v_add_nc_u32_e32 v53, v53, v54
	s_delay_alu instid0(VALU_DEP_1) | instskip(NEXT) | instid1(VALU_DEP_1)
	v_mov_b32_dpp v54, v53 row_shr:8 row_mask:0xf bank_mask:0xf
	v_cndmask_b32_e64 v54, 0, v54, s2
	s_delay_alu instid0(VALU_DEP_1)
	v_add_nc_u32_e32 v53, v53, v54
	ds_store_b32 v52, v53
.LBB3009_87:
	s_or_b32 exec_lo, exec_lo, s5
	v_mov_b32_e32 v52, 0
	s_mov_b32 s0, exec_lo
	s_wait_dscnt 0x0
	s_barrier_signal -1
	s_barrier_wait -1
	v_cmpx_lt_u32_e32 31, v32
; %bb.88:
	v_lshl_add_u32 v50, v50, 2, -4
	ds_load_b32 v52, v50
; %bb.89:
	s_or_b32 exec_lo, exec_lo, s0
	v_sub_co_u32 v50, vcc_lo, v33, 1
	s_wait_dscnt 0x0
	v_add_nc_u32_e32 v49, v52, v49
	s_delay_alu instid0(VALU_DEP_2) | instskip(NEXT) | instid1(VALU_DEP_1)
	v_cmp_gt_i32_e64 s0, 0, v50
	v_cndmask_b32_e64 v33, v50, v33, s0
	v_cmp_lt_u32_e64 s0, 0xff, v32
	s_delay_alu instid0(VALU_DEP_2) | instskip(SKIP_4) | instid1(VALU_DEP_2)
	v_lshlrev_b32_e32 v33, 2, v33
	ds_bpermute_b32 v33, v33, v49
	s_wait_dscnt 0x0
	v_cndmask_b32_e32 v33, v33, v52, vcc_lo
	v_cmp_ne_u32_e32 vcc_lo, 0, v32
	v_cndmask_b32_e32 v33, 0, v33, vcc_lo
	v_cmp_gt_u32_e32 vcc_lo, 0x100, v32
	s_delay_alu instid0(VALU_DEP_2) | instskip(NEXT) | instid1(VALU_DEP_1)
	v_add_nc_u32_e32 v22, v33, v22
	v_add_nc_u32_e32 v23, v22, v23
	s_delay_alu instid0(VALU_DEP_1) | instskip(NEXT) | instid1(VALU_DEP_1)
	v_add_nc_u32_e32 v20, v23, v20
	v_add_nc_u32_e32 v21, v20, v21
	s_delay_alu instid0(VALU_DEP_1) | instskip(NEXT) | instid1(VALU_DEP_1)
	;; [unrolled: 3-line block ×3, first 2 shown]
	v_add_nc_u32_e32 v0, v19, v0
	v_add_nc_u32_e32 v1, v0, v1
	ds_store_2addr_b32 v24, v33, v22 offset0:16 offset1:17
	ds_store_2addr_b32 v24, v23, v20 offset0:18 offset1:19
	;; [unrolled: 1-line block ×4, first 2 shown]
	ds_store_b32 v24, v1 offset:96
	s_wait_dscnt 0x0
	s_barrier_signal -1
	s_barrier_wait -1
	ds_load_b32 v21, v25 offset:64
	ds_load_b32 v19, v26 offset:64
	;; [unrolled: 1-line block ×8, first 2 shown]
	v_mov_b64_e32 v[0:1], 0
                                        ; implicit-def: $vgpr18
	s_and_saveexec_b32 s2, vcc_lo
	s_cbranch_execz .LBB3009_93
; %bb.90:
	v_mul_u32_u24_e32 v0, 0x44, v32
	v_dual_mov_b32 v1, 0x1000 :: v_dual_add_nc_u32 v18, 1, v32
	s_mov_b32 s3, exec_lo
	ds_load_b32 v0, v0 offset:64
	v_cmpx_ne_u32_e32 0x100, v18
; %bb.91:
	v_mul_u32_u24_e32 v1, 0x44, v18
	ds_load_b32 v1, v1 offset:64
; %bb.92:
	s_or_b32 exec_lo, exec_lo, s3
	s_wait_dscnt 0x0
	v_dual_mov_b32 v1, 0 :: v_dual_sub_nc_u32 v18, v1, v0
.LBB3009_93:
	s_or_b32 exec_lo, exec_lo, s2
	v_dual_mov_b32 v23, 0 :: v_dual_lshlrev_b32 v20, 3, v32
	s_wait_dscnt 0x0
	s_barrier_signal -1
	s_barrier_wait -1
	s_and_saveexec_b32 s1, vcc_lo
	s_cbranch_execz .LBB3009_103
; %bb.94:
	v_lshl_add_u32 v22, s9, 8, v32
	v_dual_mov_b32 v26, 0 :: v_dual_bitop2_b32 v27, 2.0, v18 bitop3:0x54
	s_mov_b32 s2, 0
	s_mov_b32 s3, s9
	s_delay_alu instid0(VALU_DEP_2)
	v_lshl_add_u64 v[24:25], v[22:23], 2, s[10:11]
	global_store_b32 v22, v27, s[10:11] scale_offset scope:SCOPE_DEV
                                        ; implicit-def: $sgpr5
	s_branch .LBB3009_97
.LBB3009_95:                            ;   in Loop: Header=BB3009_97 Depth=1
	s_or_b32 exec_lo, exec_lo, s6
.LBB3009_96:                            ;   in Loop: Header=BB3009_97 Depth=1
	s_delay_alu instid0(SALU_CYCLE_1) | instskip(SKIP_2) | instid1(VALU_DEP_2)
	s_or_b32 exec_lo, exec_lo, s5
	v_and_b32_e32 v22, 0x3fffffff, v27
	v_cmp_gt_i32_e64 s5, -2.0, v27
	v_add_nc_u32_e32 v26, v22, v26
	s_and_b32 s6, exec_lo, s5
	s_delay_alu instid0(SALU_CYCLE_1) | instskip(NEXT) | instid1(SALU_CYCLE_1)
	s_or_b32 s2, s6, s2
	s_and_not1_b32 exec_lo, exec_lo, s2
	s_cbranch_execz .LBB3009_102
.LBB3009_97:                            ; =>This Loop Header: Depth=1
                                        ;     Child Loop BB3009_100 Depth 2
	s_or_b32 s5, s5, exec_lo
	s_cmp_eq_u32 s3, 0
	s_cbranch_scc1 .LBB3009_101
; %bb.98:                               ;   in Loop: Header=BB3009_97 Depth=1
	s_add_co_i32 s3, s3, -1
	s_mov_b32 s5, exec_lo
	s_wait_xcnt 0x0
	v_lshl_or_b32 v22, s3, 8, v32
	global_load_b32 v27, v22, s[10:11] scale_offset scope:SCOPE_DEV
	s_wait_loadcnt 0x0
	v_cmpx_gt_u32_e32 2.0, v27
	s_cbranch_execz .LBB3009_96
; %bb.99:                               ;   in Loop: Header=BB3009_97 Depth=1
	v_lshl_add_u64 v[28:29], v[22:23], 2, s[10:11]
	s_mov_b32 s6, 0
.LBB3009_100:                           ;   Parent Loop BB3009_97 Depth=1
                                        ; =>  This Inner Loop Header: Depth=2
	global_load_b32 v27, v[28:29], off scope:SCOPE_DEV
	s_wait_loadcnt 0x0
	v_cmp_lt_u32_e32 vcc_lo, 0x3fffffff, v27
	s_or_b32 s6, vcc_lo, s6
	s_wait_xcnt 0x0
	s_and_not1_b32 exec_lo, exec_lo, s6
	s_cbranch_execnz .LBB3009_100
	s_branch .LBB3009_95
.LBB3009_101:                           ;   in Loop: Header=BB3009_97 Depth=1
                                        ; implicit-def: $sgpr3
	s_and_b32 s6, exec_lo, s5
	s_delay_alu instid0(SALU_CYCLE_1)
	s_or_b32 s2, s6, s2
	s_wait_xcnt 0x0
	s_and_not1_b32 exec_lo, exec_lo, s2
	s_cbranch_execnz .LBB3009_97
.LBB3009_102:
	s_or_b32 exec_lo, exec_lo, s2
	v_dual_mov_b32 v27, 0 :: v_dual_add_nc_u32 v22, v26, v18
	s_delay_alu instid0(VALU_DEP_1) | instskip(SKIP_4) | instid1(VALU_DEP_1)
	v_or_b32_e32 v22, 0x80000000, v22
	global_store_b32 v[24:25], v22, off scope:SCOPE_DEV
	global_load_b64 v[22:23], v32, s[12:13] scale_offset
	v_sub_nc_u64_e32 v[24:25], v[26:27], v[0:1]
	s_wait_loadcnt 0x0
	v_add_nc_u64_e32 v[22:23], v[24:25], v[22:23]
	ds_store_b64 v20, v[22:23]
.LBB3009_103:
	s_wait_xcnt 0x0
	s_or_b32 exec_lo, exec_lo, s1
	v_dual_mov_b32 v21, 0 :: v_dual_add_nc_u32 v24, v21, v30
	v_add3_u32 v25, v47, v51, v46
	v_add3_u32 v26, v44, v48, v43
	;; [unrolled: 1-line block ×4, first 2 shown]
	v_add_nc_u64_e32 v[22:23], s[18:19], v[20:21]
	v_add3_u32 v29, v38, v49, v37
	v_add3_u32 v21, v36, v33, v35
	;; [unrolled: 1-line block ×3, first 2 shown]
	s_mov_b32 s2, -1
	s_mov_b32 s1, 0
.LBB3009_104:                           ; =>This Inner Loop Header: Depth=1
	s_wait_xcnt 0x3
	v_add_min_u32_e64 v30, v24, s1, 0x800
	v_add_min_u32_e64 v31, v19, s1, 0x800
	;; [unrolled: 1-line block ×5, first 2 shown]
	s_wait_xcnt 0x2
	v_add_min_u32_e64 v36, v27, s1, 0x800
	v_add_min_u32_e64 v37, v26, s1, 0x800
	s_wait_xcnt 0x1
	v_add_min_u32_e64 v38, v25, s1, 0x800
	v_dual_lshlrev_b32 v30, 3, v30 :: v_dual_lshlrev_b32 v31, 3, v31
	v_dual_lshlrev_b32 v33, 3, v33 :: v_dual_lshlrev_b32 v34, 3, v34
	;; [unrolled: 1-line block ×3, first 2 shown]
	s_delay_alu instid0(VALU_DEP_4)
	v_dual_lshlrev_b32 v37, 3, v37 :: v_dual_lshlrev_b32 v38, 3, v38
	ds_store_b64 v30, v[2:3] offset:2048
	ds_store_b64 v31, v[4:5] offset:2048
	;; [unrolled: 1-line block ×8, first 2 shown]
	s_wait_storecnt_dscnt 0x0
	s_barrier_signal -1
	s_barrier_wait -1
	ds_load_2addr_stride64_b64 v[34:37], v20 offset0:4 offset1:12
	s_wait_xcnt 0x0
	ds_load_2addr_stride64_b64 v[38:41], v20 offset0:20 offset1:28
	s_addk_co_i32 s1, 0xf800
	s_and_b32 vcc_lo, exec_lo, s2
	s_mov_b32 s2, 0
	s_wait_dscnt 0x1
	v_lshrrev_b64 v[30:31], s20, v[34:35]
	s_wait_dscnt 0x0
	v_lshrrev_b64 v[44:45], s20, v[38:39]
	v_lshrrev_b64 v[42:43], s20, v[36:37]
	;; [unrolled: 1-line block ×3, first 2 shown]
	s_delay_alu instid0(VALU_DEP_3) | instskip(NEXT) | instid1(VALU_DEP_3)
	v_and_b32_e32 v33, s4, v44
	v_and_b32_e32 v31, s4, v42
	s_delay_alu instid0(VALU_DEP_2) | instskip(NEXT) | instid1(VALU_DEP_2)
	v_dual_lshlrev_b32 v33, 3, v33 :: v_dual_bitop2_b32 v42, s4, v46 bitop3:0x40
	v_dual_lshlrev_b32 v43, 3, v31 :: v_dual_bitop2_b32 v30, s4, v30 bitop3:0x40
	s_delay_alu instid0(VALU_DEP_2) | instskip(NEXT) | instid1(VALU_DEP_2)
	v_lshlrev_b32_e32 v46, 3, v42
	v_lshlrev_b32_e32 v30, 3, v30
	ds_load_b64 v[30:31], v30
	ds_load_b64 v[42:43], v43
	;; [unrolled: 1-line block ×4, first 2 shown]
	s_wait_dscnt 0x3
	v_lshl_add_u64 v[30:31], v[30:31], 3, v[22:23]
	s_wait_dscnt 0x2
	v_lshl_add_u64 v[42:43], v[42:43], 3, v[22:23]
	;; [unrolled: 2-line block ×4, first 2 shown]
	v_add_nc_u64_e32 v[22:23], 0x4000, v[22:23]
	s_clause 0x3
	global_store_b64 v[30:31], v[34:35], off
	global_store_b64 v[42:43], v[36:37], off offset:4096
	global_store_b64 v[44:45], v[38:39], off offset:8192
	;; [unrolled: 1-line block ×3, first 2 shown]
	s_wait_storecnt 0x0
	s_barrier_signal -1
	s_barrier_wait -1
	s_cbranch_vccnz .LBB3009_104
; %bb.105:
	s_add_co_i32 s7, s7, -1
	s_delay_alu instid0(SALU_CYCLE_1) | instskip(SKIP_2) | instid1(SALU_CYCLE_1)
	s_cmp_eq_u32 s9, s7
	s_cselect_b32 s1, -1, 0
	s_xor_b32 s0, s0, -1
	s_and_b32 s0, s0, s1
	s_wait_xcnt 0x0
	s_and_saveexec_b32 s1, s0
	s_cbranch_execz .LBB3009_107
; %bb.106:
	ds_load_b64 v[2:3], v20
	v_mov_b32_e32 v19, 0
	s_delay_alu instid0(VALU_DEP_1) | instskip(SKIP_1) | instid1(VALU_DEP_1)
	v_add_nc_u64_e32 v[0:1], v[0:1], v[18:19]
	s_wait_dscnt 0x0
	v_add_nc_u64_e32 v[0:1], v[0:1], v[2:3]
	global_store_b64 v32, v[0:1], s[14:15] scale_offset
.LBB3009_107:
	s_endpgm
	.section	.rodata,"a",@progbits
	.p2align	6, 0x0
	.amdhsa_kernel _ZN7rocprim17ROCPRIM_400000_NS6detail17trampoline_kernelINS0_14default_configENS1_35radix_sort_onesweep_config_selectorImNS0_10empty_typeEEEZZNS1_29radix_sort_onesweep_iterationIS3_Lb0EPKmPmPS5_SB_mNS0_19identity_decomposerENS1_16block_id_wrapperIjLb0EEEEE10hipError_tT1_PNSt15iterator_traitsISG_E10value_typeET2_T3_PNSH_ISM_E10value_typeET4_T5_PSR_SS_PNS1_23onesweep_lookback_stateEbbT6_jjT7_P12ihipStream_tbENKUlT_T0_SG_SL_E_clIS9_SA_SB_SB_EEDaSZ_S10_SG_SL_EUlSZ_E_NS1_11comp_targetILNS1_3genE0ELNS1_11target_archE4294967295ELNS1_3gpuE0ELNS1_3repE0EEENS1_47radix_sort_onesweep_sort_config_static_selectorELNS0_4arch9wavefront6targetE0EEEvSG_
		.amdhsa_group_segment_fixed_size 18504
		.amdhsa_private_segment_fixed_size 0
		.amdhsa_kernarg_size 344
		.amdhsa_user_sgpr_count 2
		.amdhsa_user_sgpr_dispatch_ptr 0
		.amdhsa_user_sgpr_queue_ptr 0
		.amdhsa_user_sgpr_kernarg_segment_ptr 1
		.amdhsa_user_sgpr_dispatch_id 0
		.amdhsa_user_sgpr_kernarg_preload_length 0
		.amdhsa_user_sgpr_kernarg_preload_offset 0
		.amdhsa_user_sgpr_private_segment_size 0
		.amdhsa_wavefront_size32 1
		.amdhsa_uses_dynamic_stack 0
		.amdhsa_enable_private_segment 0
		.amdhsa_system_sgpr_workgroup_id_x 1
		.amdhsa_system_sgpr_workgroup_id_y 0
		.amdhsa_system_sgpr_workgroup_id_z 0
		.amdhsa_system_sgpr_workgroup_info 0
		.amdhsa_system_vgpr_workitem_id 2
		.amdhsa_next_free_vgpr 57
		.amdhsa_next_free_sgpr 28
		.amdhsa_named_barrier_count 0
		.amdhsa_reserve_vcc 1
		.amdhsa_float_round_mode_32 0
		.amdhsa_float_round_mode_16_64 0
		.amdhsa_float_denorm_mode_32 3
		.amdhsa_float_denorm_mode_16_64 3
		.amdhsa_fp16_overflow 0
		.amdhsa_memory_ordered 1
		.amdhsa_forward_progress 1
		.amdhsa_inst_pref_size 87
		.amdhsa_round_robin_scheduling 0
		.amdhsa_exception_fp_ieee_invalid_op 0
		.amdhsa_exception_fp_denorm_src 0
		.amdhsa_exception_fp_ieee_div_zero 0
		.amdhsa_exception_fp_ieee_overflow 0
		.amdhsa_exception_fp_ieee_underflow 0
		.amdhsa_exception_fp_ieee_inexact 0
		.amdhsa_exception_int_div_zero 0
	.end_amdhsa_kernel
	.section	.text._ZN7rocprim17ROCPRIM_400000_NS6detail17trampoline_kernelINS0_14default_configENS1_35radix_sort_onesweep_config_selectorImNS0_10empty_typeEEEZZNS1_29radix_sort_onesweep_iterationIS3_Lb0EPKmPmPS5_SB_mNS0_19identity_decomposerENS1_16block_id_wrapperIjLb0EEEEE10hipError_tT1_PNSt15iterator_traitsISG_E10value_typeET2_T3_PNSH_ISM_E10value_typeET4_T5_PSR_SS_PNS1_23onesweep_lookback_stateEbbT6_jjT7_P12ihipStream_tbENKUlT_T0_SG_SL_E_clIS9_SA_SB_SB_EEDaSZ_S10_SG_SL_EUlSZ_E_NS1_11comp_targetILNS1_3genE0ELNS1_11target_archE4294967295ELNS1_3gpuE0ELNS1_3repE0EEENS1_47radix_sort_onesweep_sort_config_static_selectorELNS0_4arch9wavefront6targetE0EEEvSG_,"axG",@progbits,_ZN7rocprim17ROCPRIM_400000_NS6detail17trampoline_kernelINS0_14default_configENS1_35radix_sort_onesweep_config_selectorImNS0_10empty_typeEEEZZNS1_29radix_sort_onesweep_iterationIS3_Lb0EPKmPmPS5_SB_mNS0_19identity_decomposerENS1_16block_id_wrapperIjLb0EEEEE10hipError_tT1_PNSt15iterator_traitsISG_E10value_typeET2_T3_PNSH_ISM_E10value_typeET4_T5_PSR_SS_PNS1_23onesweep_lookback_stateEbbT6_jjT7_P12ihipStream_tbENKUlT_T0_SG_SL_E_clIS9_SA_SB_SB_EEDaSZ_S10_SG_SL_EUlSZ_E_NS1_11comp_targetILNS1_3genE0ELNS1_11target_archE4294967295ELNS1_3gpuE0ELNS1_3repE0EEENS1_47radix_sort_onesweep_sort_config_static_selectorELNS0_4arch9wavefront6targetE0EEEvSG_,comdat
.Lfunc_end3009:
	.size	_ZN7rocprim17ROCPRIM_400000_NS6detail17trampoline_kernelINS0_14default_configENS1_35radix_sort_onesweep_config_selectorImNS0_10empty_typeEEEZZNS1_29radix_sort_onesweep_iterationIS3_Lb0EPKmPmPS5_SB_mNS0_19identity_decomposerENS1_16block_id_wrapperIjLb0EEEEE10hipError_tT1_PNSt15iterator_traitsISG_E10value_typeET2_T3_PNSH_ISM_E10value_typeET4_T5_PSR_SS_PNS1_23onesweep_lookback_stateEbbT6_jjT7_P12ihipStream_tbENKUlT_T0_SG_SL_E_clIS9_SA_SB_SB_EEDaSZ_S10_SG_SL_EUlSZ_E_NS1_11comp_targetILNS1_3genE0ELNS1_11target_archE4294967295ELNS1_3gpuE0ELNS1_3repE0EEENS1_47radix_sort_onesweep_sort_config_static_selectorELNS0_4arch9wavefront6targetE0EEEvSG_, .Lfunc_end3009-_ZN7rocprim17ROCPRIM_400000_NS6detail17trampoline_kernelINS0_14default_configENS1_35radix_sort_onesweep_config_selectorImNS0_10empty_typeEEEZZNS1_29radix_sort_onesweep_iterationIS3_Lb0EPKmPmPS5_SB_mNS0_19identity_decomposerENS1_16block_id_wrapperIjLb0EEEEE10hipError_tT1_PNSt15iterator_traitsISG_E10value_typeET2_T3_PNSH_ISM_E10value_typeET4_T5_PSR_SS_PNS1_23onesweep_lookback_stateEbbT6_jjT7_P12ihipStream_tbENKUlT_T0_SG_SL_E_clIS9_SA_SB_SB_EEDaSZ_S10_SG_SL_EUlSZ_E_NS1_11comp_targetILNS1_3genE0ELNS1_11target_archE4294967295ELNS1_3gpuE0ELNS1_3repE0EEENS1_47radix_sort_onesweep_sort_config_static_selectorELNS0_4arch9wavefront6targetE0EEEvSG_
                                        ; -- End function
	.set _ZN7rocprim17ROCPRIM_400000_NS6detail17trampoline_kernelINS0_14default_configENS1_35radix_sort_onesweep_config_selectorImNS0_10empty_typeEEEZZNS1_29radix_sort_onesweep_iterationIS3_Lb0EPKmPmPS5_SB_mNS0_19identity_decomposerENS1_16block_id_wrapperIjLb0EEEEE10hipError_tT1_PNSt15iterator_traitsISG_E10value_typeET2_T3_PNSH_ISM_E10value_typeET4_T5_PSR_SS_PNS1_23onesweep_lookback_stateEbbT6_jjT7_P12ihipStream_tbENKUlT_T0_SG_SL_E_clIS9_SA_SB_SB_EEDaSZ_S10_SG_SL_EUlSZ_E_NS1_11comp_targetILNS1_3genE0ELNS1_11target_archE4294967295ELNS1_3gpuE0ELNS1_3repE0EEENS1_47radix_sort_onesweep_sort_config_static_selectorELNS0_4arch9wavefront6targetE0EEEvSG_.num_vgpr, 57
	.set _ZN7rocprim17ROCPRIM_400000_NS6detail17trampoline_kernelINS0_14default_configENS1_35radix_sort_onesweep_config_selectorImNS0_10empty_typeEEEZZNS1_29radix_sort_onesweep_iterationIS3_Lb0EPKmPmPS5_SB_mNS0_19identity_decomposerENS1_16block_id_wrapperIjLb0EEEEE10hipError_tT1_PNSt15iterator_traitsISG_E10value_typeET2_T3_PNSH_ISM_E10value_typeET4_T5_PSR_SS_PNS1_23onesweep_lookback_stateEbbT6_jjT7_P12ihipStream_tbENKUlT_T0_SG_SL_E_clIS9_SA_SB_SB_EEDaSZ_S10_SG_SL_EUlSZ_E_NS1_11comp_targetILNS1_3genE0ELNS1_11target_archE4294967295ELNS1_3gpuE0ELNS1_3repE0EEENS1_47radix_sort_onesweep_sort_config_static_selectorELNS0_4arch9wavefront6targetE0EEEvSG_.num_agpr, 0
	.set _ZN7rocprim17ROCPRIM_400000_NS6detail17trampoline_kernelINS0_14default_configENS1_35radix_sort_onesweep_config_selectorImNS0_10empty_typeEEEZZNS1_29radix_sort_onesweep_iterationIS3_Lb0EPKmPmPS5_SB_mNS0_19identity_decomposerENS1_16block_id_wrapperIjLb0EEEEE10hipError_tT1_PNSt15iterator_traitsISG_E10value_typeET2_T3_PNSH_ISM_E10value_typeET4_T5_PSR_SS_PNS1_23onesweep_lookback_stateEbbT6_jjT7_P12ihipStream_tbENKUlT_T0_SG_SL_E_clIS9_SA_SB_SB_EEDaSZ_S10_SG_SL_EUlSZ_E_NS1_11comp_targetILNS1_3genE0ELNS1_11target_archE4294967295ELNS1_3gpuE0ELNS1_3repE0EEENS1_47radix_sort_onesweep_sort_config_static_selectorELNS0_4arch9wavefront6targetE0EEEvSG_.numbered_sgpr, 28
	.set _ZN7rocprim17ROCPRIM_400000_NS6detail17trampoline_kernelINS0_14default_configENS1_35radix_sort_onesweep_config_selectorImNS0_10empty_typeEEEZZNS1_29radix_sort_onesweep_iterationIS3_Lb0EPKmPmPS5_SB_mNS0_19identity_decomposerENS1_16block_id_wrapperIjLb0EEEEE10hipError_tT1_PNSt15iterator_traitsISG_E10value_typeET2_T3_PNSH_ISM_E10value_typeET4_T5_PSR_SS_PNS1_23onesweep_lookback_stateEbbT6_jjT7_P12ihipStream_tbENKUlT_T0_SG_SL_E_clIS9_SA_SB_SB_EEDaSZ_S10_SG_SL_EUlSZ_E_NS1_11comp_targetILNS1_3genE0ELNS1_11target_archE4294967295ELNS1_3gpuE0ELNS1_3repE0EEENS1_47radix_sort_onesweep_sort_config_static_selectorELNS0_4arch9wavefront6targetE0EEEvSG_.num_named_barrier, 0
	.set _ZN7rocprim17ROCPRIM_400000_NS6detail17trampoline_kernelINS0_14default_configENS1_35radix_sort_onesweep_config_selectorImNS0_10empty_typeEEEZZNS1_29radix_sort_onesweep_iterationIS3_Lb0EPKmPmPS5_SB_mNS0_19identity_decomposerENS1_16block_id_wrapperIjLb0EEEEE10hipError_tT1_PNSt15iterator_traitsISG_E10value_typeET2_T3_PNSH_ISM_E10value_typeET4_T5_PSR_SS_PNS1_23onesweep_lookback_stateEbbT6_jjT7_P12ihipStream_tbENKUlT_T0_SG_SL_E_clIS9_SA_SB_SB_EEDaSZ_S10_SG_SL_EUlSZ_E_NS1_11comp_targetILNS1_3genE0ELNS1_11target_archE4294967295ELNS1_3gpuE0ELNS1_3repE0EEENS1_47radix_sort_onesweep_sort_config_static_selectorELNS0_4arch9wavefront6targetE0EEEvSG_.private_seg_size, 0
	.set _ZN7rocprim17ROCPRIM_400000_NS6detail17trampoline_kernelINS0_14default_configENS1_35radix_sort_onesweep_config_selectorImNS0_10empty_typeEEEZZNS1_29radix_sort_onesweep_iterationIS3_Lb0EPKmPmPS5_SB_mNS0_19identity_decomposerENS1_16block_id_wrapperIjLb0EEEEE10hipError_tT1_PNSt15iterator_traitsISG_E10value_typeET2_T3_PNSH_ISM_E10value_typeET4_T5_PSR_SS_PNS1_23onesweep_lookback_stateEbbT6_jjT7_P12ihipStream_tbENKUlT_T0_SG_SL_E_clIS9_SA_SB_SB_EEDaSZ_S10_SG_SL_EUlSZ_E_NS1_11comp_targetILNS1_3genE0ELNS1_11target_archE4294967295ELNS1_3gpuE0ELNS1_3repE0EEENS1_47radix_sort_onesweep_sort_config_static_selectorELNS0_4arch9wavefront6targetE0EEEvSG_.uses_vcc, 1
	.set _ZN7rocprim17ROCPRIM_400000_NS6detail17trampoline_kernelINS0_14default_configENS1_35radix_sort_onesweep_config_selectorImNS0_10empty_typeEEEZZNS1_29radix_sort_onesweep_iterationIS3_Lb0EPKmPmPS5_SB_mNS0_19identity_decomposerENS1_16block_id_wrapperIjLb0EEEEE10hipError_tT1_PNSt15iterator_traitsISG_E10value_typeET2_T3_PNSH_ISM_E10value_typeET4_T5_PSR_SS_PNS1_23onesweep_lookback_stateEbbT6_jjT7_P12ihipStream_tbENKUlT_T0_SG_SL_E_clIS9_SA_SB_SB_EEDaSZ_S10_SG_SL_EUlSZ_E_NS1_11comp_targetILNS1_3genE0ELNS1_11target_archE4294967295ELNS1_3gpuE0ELNS1_3repE0EEENS1_47radix_sort_onesweep_sort_config_static_selectorELNS0_4arch9wavefront6targetE0EEEvSG_.uses_flat_scratch, 0
	.set _ZN7rocprim17ROCPRIM_400000_NS6detail17trampoline_kernelINS0_14default_configENS1_35radix_sort_onesweep_config_selectorImNS0_10empty_typeEEEZZNS1_29radix_sort_onesweep_iterationIS3_Lb0EPKmPmPS5_SB_mNS0_19identity_decomposerENS1_16block_id_wrapperIjLb0EEEEE10hipError_tT1_PNSt15iterator_traitsISG_E10value_typeET2_T3_PNSH_ISM_E10value_typeET4_T5_PSR_SS_PNS1_23onesweep_lookback_stateEbbT6_jjT7_P12ihipStream_tbENKUlT_T0_SG_SL_E_clIS9_SA_SB_SB_EEDaSZ_S10_SG_SL_EUlSZ_E_NS1_11comp_targetILNS1_3genE0ELNS1_11target_archE4294967295ELNS1_3gpuE0ELNS1_3repE0EEENS1_47radix_sort_onesweep_sort_config_static_selectorELNS0_4arch9wavefront6targetE0EEEvSG_.has_dyn_sized_stack, 0
	.set _ZN7rocprim17ROCPRIM_400000_NS6detail17trampoline_kernelINS0_14default_configENS1_35radix_sort_onesweep_config_selectorImNS0_10empty_typeEEEZZNS1_29radix_sort_onesweep_iterationIS3_Lb0EPKmPmPS5_SB_mNS0_19identity_decomposerENS1_16block_id_wrapperIjLb0EEEEE10hipError_tT1_PNSt15iterator_traitsISG_E10value_typeET2_T3_PNSH_ISM_E10value_typeET4_T5_PSR_SS_PNS1_23onesweep_lookback_stateEbbT6_jjT7_P12ihipStream_tbENKUlT_T0_SG_SL_E_clIS9_SA_SB_SB_EEDaSZ_S10_SG_SL_EUlSZ_E_NS1_11comp_targetILNS1_3genE0ELNS1_11target_archE4294967295ELNS1_3gpuE0ELNS1_3repE0EEENS1_47radix_sort_onesweep_sort_config_static_selectorELNS0_4arch9wavefront6targetE0EEEvSG_.has_recursion, 0
	.set _ZN7rocprim17ROCPRIM_400000_NS6detail17trampoline_kernelINS0_14default_configENS1_35radix_sort_onesweep_config_selectorImNS0_10empty_typeEEEZZNS1_29radix_sort_onesweep_iterationIS3_Lb0EPKmPmPS5_SB_mNS0_19identity_decomposerENS1_16block_id_wrapperIjLb0EEEEE10hipError_tT1_PNSt15iterator_traitsISG_E10value_typeET2_T3_PNSH_ISM_E10value_typeET4_T5_PSR_SS_PNS1_23onesweep_lookback_stateEbbT6_jjT7_P12ihipStream_tbENKUlT_T0_SG_SL_E_clIS9_SA_SB_SB_EEDaSZ_S10_SG_SL_EUlSZ_E_NS1_11comp_targetILNS1_3genE0ELNS1_11target_archE4294967295ELNS1_3gpuE0ELNS1_3repE0EEENS1_47radix_sort_onesweep_sort_config_static_selectorELNS0_4arch9wavefront6targetE0EEEvSG_.has_indirect_call, 0
	.section	.AMDGPU.csdata,"",@progbits
; Kernel info:
; codeLenInByte = 11036
; TotalNumSgprs: 30
; NumVgprs: 57
; ScratchSize: 0
; MemoryBound: 0
; FloatMode: 240
; IeeeMode: 1
; LDSByteSize: 18504 bytes/workgroup (compile time only)
; SGPRBlocks: 0
; VGPRBlocks: 3
; NumSGPRsForWavesPerEU: 30
; NumVGPRsForWavesPerEU: 57
; NamedBarCnt: 0
; Occupancy: 16
; WaveLimiterHint : 1
; COMPUTE_PGM_RSRC2:SCRATCH_EN: 0
; COMPUTE_PGM_RSRC2:USER_SGPR: 2
; COMPUTE_PGM_RSRC2:TRAP_HANDLER: 0
; COMPUTE_PGM_RSRC2:TGID_X_EN: 1
; COMPUTE_PGM_RSRC2:TGID_Y_EN: 0
; COMPUTE_PGM_RSRC2:TGID_Z_EN: 0
; COMPUTE_PGM_RSRC2:TIDIG_COMP_CNT: 2
	.section	.text._ZN7rocprim17ROCPRIM_400000_NS6detail17trampoline_kernelINS0_14default_configENS1_35radix_sort_onesweep_config_selectorImNS0_10empty_typeEEEZZNS1_29radix_sort_onesweep_iterationIS3_Lb0EPKmPmPS5_SB_mNS0_19identity_decomposerENS1_16block_id_wrapperIjLb0EEEEE10hipError_tT1_PNSt15iterator_traitsISG_E10value_typeET2_T3_PNSH_ISM_E10value_typeET4_T5_PSR_SS_PNS1_23onesweep_lookback_stateEbbT6_jjT7_P12ihipStream_tbENKUlT_T0_SG_SL_E_clIS9_SA_SB_SB_EEDaSZ_S10_SG_SL_EUlSZ_E_NS1_11comp_targetILNS1_3genE6ELNS1_11target_archE950ELNS1_3gpuE13ELNS1_3repE0EEENS1_47radix_sort_onesweep_sort_config_static_selectorELNS0_4arch9wavefront6targetE0EEEvSG_,"axG",@progbits,_ZN7rocprim17ROCPRIM_400000_NS6detail17trampoline_kernelINS0_14default_configENS1_35radix_sort_onesweep_config_selectorImNS0_10empty_typeEEEZZNS1_29radix_sort_onesweep_iterationIS3_Lb0EPKmPmPS5_SB_mNS0_19identity_decomposerENS1_16block_id_wrapperIjLb0EEEEE10hipError_tT1_PNSt15iterator_traitsISG_E10value_typeET2_T3_PNSH_ISM_E10value_typeET4_T5_PSR_SS_PNS1_23onesweep_lookback_stateEbbT6_jjT7_P12ihipStream_tbENKUlT_T0_SG_SL_E_clIS9_SA_SB_SB_EEDaSZ_S10_SG_SL_EUlSZ_E_NS1_11comp_targetILNS1_3genE6ELNS1_11target_archE950ELNS1_3gpuE13ELNS1_3repE0EEENS1_47radix_sort_onesweep_sort_config_static_selectorELNS0_4arch9wavefront6targetE0EEEvSG_,comdat
	.protected	_ZN7rocprim17ROCPRIM_400000_NS6detail17trampoline_kernelINS0_14default_configENS1_35radix_sort_onesweep_config_selectorImNS0_10empty_typeEEEZZNS1_29radix_sort_onesweep_iterationIS3_Lb0EPKmPmPS5_SB_mNS0_19identity_decomposerENS1_16block_id_wrapperIjLb0EEEEE10hipError_tT1_PNSt15iterator_traitsISG_E10value_typeET2_T3_PNSH_ISM_E10value_typeET4_T5_PSR_SS_PNS1_23onesweep_lookback_stateEbbT6_jjT7_P12ihipStream_tbENKUlT_T0_SG_SL_E_clIS9_SA_SB_SB_EEDaSZ_S10_SG_SL_EUlSZ_E_NS1_11comp_targetILNS1_3genE6ELNS1_11target_archE950ELNS1_3gpuE13ELNS1_3repE0EEENS1_47radix_sort_onesweep_sort_config_static_selectorELNS0_4arch9wavefront6targetE0EEEvSG_ ; -- Begin function _ZN7rocprim17ROCPRIM_400000_NS6detail17trampoline_kernelINS0_14default_configENS1_35radix_sort_onesweep_config_selectorImNS0_10empty_typeEEEZZNS1_29radix_sort_onesweep_iterationIS3_Lb0EPKmPmPS5_SB_mNS0_19identity_decomposerENS1_16block_id_wrapperIjLb0EEEEE10hipError_tT1_PNSt15iterator_traitsISG_E10value_typeET2_T3_PNSH_ISM_E10value_typeET4_T5_PSR_SS_PNS1_23onesweep_lookback_stateEbbT6_jjT7_P12ihipStream_tbENKUlT_T0_SG_SL_E_clIS9_SA_SB_SB_EEDaSZ_S10_SG_SL_EUlSZ_E_NS1_11comp_targetILNS1_3genE6ELNS1_11target_archE950ELNS1_3gpuE13ELNS1_3repE0EEENS1_47radix_sort_onesweep_sort_config_static_selectorELNS0_4arch9wavefront6targetE0EEEvSG_
	.globl	_ZN7rocprim17ROCPRIM_400000_NS6detail17trampoline_kernelINS0_14default_configENS1_35radix_sort_onesweep_config_selectorImNS0_10empty_typeEEEZZNS1_29radix_sort_onesweep_iterationIS3_Lb0EPKmPmPS5_SB_mNS0_19identity_decomposerENS1_16block_id_wrapperIjLb0EEEEE10hipError_tT1_PNSt15iterator_traitsISG_E10value_typeET2_T3_PNSH_ISM_E10value_typeET4_T5_PSR_SS_PNS1_23onesweep_lookback_stateEbbT6_jjT7_P12ihipStream_tbENKUlT_T0_SG_SL_E_clIS9_SA_SB_SB_EEDaSZ_S10_SG_SL_EUlSZ_E_NS1_11comp_targetILNS1_3genE6ELNS1_11target_archE950ELNS1_3gpuE13ELNS1_3repE0EEENS1_47radix_sort_onesweep_sort_config_static_selectorELNS0_4arch9wavefront6targetE0EEEvSG_
	.p2align	8
	.type	_ZN7rocprim17ROCPRIM_400000_NS6detail17trampoline_kernelINS0_14default_configENS1_35radix_sort_onesweep_config_selectorImNS0_10empty_typeEEEZZNS1_29radix_sort_onesweep_iterationIS3_Lb0EPKmPmPS5_SB_mNS0_19identity_decomposerENS1_16block_id_wrapperIjLb0EEEEE10hipError_tT1_PNSt15iterator_traitsISG_E10value_typeET2_T3_PNSH_ISM_E10value_typeET4_T5_PSR_SS_PNS1_23onesweep_lookback_stateEbbT6_jjT7_P12ihipStream_tbENKUlT_T0_SG_SL_E_clIS9_SA_SB_SB_EEDaSZ_S10_SG_SL_EUlSZ_E_NS1_11comp_targetILNS1_3genE6ELNS1_11target_archE950ELNS1_3gpuE13ELNS1_3repE0EEENS1_47radix_sort_onesweep_sort_config_static_selectorELNS0_4arch9wavefront6targetE0EEEvSG_,@function
_ZN7rocprim17ROCPRIM_400000_NS6detail17trampoline_kernelINS0_14default_configENS1_35radix_sort_onesweep_config_selectorImNS0_10empty_typeEEEZZNS1_29radix_sort_onesweep_iterationIS3_Lb0EPKmPmPS5_SB_mNS0_19identity_decomposerENS1_16block_id_wrapperIjLb0EEEEE10hipError_tT1_PNSt15iterator_traitsISG_E10value_typeET2_T3_PNSH_ISM_E10value_typeET4_T5_PSR_SS_PNS1_23onesweep_lookback_stateEbbT6_jjT7_P12ihipStream_tbENKUlT_T0_SG_SL_E_clIS9_SA_SB_SB_EEDaSZ_S10_SG_SL_EUlSZ_E_NS1_11comp_targetILNS1_3genE6ELNS1_11target_archE950ELNS1_3gpuE13ELNS1_3repE0EEENS1_47radix_sort_onesweep_sort_config_static_selectorELNS0_4arch9wavefront6targetE0EEEvSG_: ; @_ZN7rocprim17ROCPRIM_400000_NS6detail17trampoline_kernelINS0_14default_configENS1_35radix_sort_onesweep_config_selectorImNS0_10empty_typeEEEZZNS1_29radix_sort_onesweep_iterationIS3_Lb0EPKmPmPS5_SB_mNS0_19identity_decomposerENS1_16block_id_wrapperIjLb0EEEEE10hipError_tT1_PNSt15iterator_traitsISG_E10value_typeET2_T3_PNSH_ISM_E10value_typeET4_T5_PSR_SS_PNS1_23onesweep_lookback_stateEbbT6_jjT7_P12ihipStream_tbENKUlT_T0_SG_SL_E_clIS9_SA_SB_SB_EEDaSZ_S10_SG_SL_EUlSZ_E_NS1_11comp_targetILNS1_3genE6ELNS1_11target_archE950ELNS1_3gpuE13ELNS1_3repE0EEENS1_47radix_sort_onesweep_sort_config_static_selectorELNS0_4arch9wavefront6targetE0EEEvSG_
; %bb.0:
	.section	.rodata,"a",@progbits
	.p2align	6, 0x0
	.amdhsa_kernel _ZN7rocprim17ROCPRIM_400000_NS6detail17trampoline_kernelINS0_14default_configENS1_35radix_sort_onesweep_config_selectorImNS0_10empty_typeEEEZZNS1_29radix_sort_onesweep_iterationIS3_Lb0EPKmPmPS5_SB_mNS0_19identity_decomposerENS1_16block_id_wrapperIjLb0EEEEE10hipError_tT1_PNSt15iterator_traitsISG_E10value_typeET2_T3_PNSH_ISM_E10value_typeET4_T5_PSR_SS_PNS1_23onesweep_lookback_stateEbbT6_jjT7_P12ihipStream_tbENKUlT_T0_SG_SL_E_clIS9_SA_SB_SB_EEDaSZ_S10_SG_SL_EUlSZ_E_NS1_11comp_targetILNS1_3genE6ELNS1_11target_archE950ELNS1_3gpuE13ELNS1_3repE0EEENS1_47radix_sort_onesweep_sort_config_static_selectorELNS0_4arch9wavefront6targetE0EEEvSG_
		.amdhsa_group_segment_fixed_size 0
		.amdhsa_private_segment_fixed_size 0
		.amdhsa_kernarg_size 88
		.amdhsa_user_sgpr_count 2
		.amdhsa_user_sgpr_dispatch_ptr 0
		.amdhsa_user_sgpr_queue_ptr 0
		.amdhsa_user_sgpr_kernarg_segment_ptr 1
		.amdhsa_user_sgpr_dispatch_id 0
		.amdhsa_user_sgpr_kernarg_preload_length 0
		.amdhsa_user_sgpr_kernarg_preload_offset 0
		.amdhsa_user_sgpr_private_segment_size 0
		.amdhsa_wavefront_size32 1
		.amdhsa_uses_dynamic_stack 0
		.amdhsa_enable_private_segment 0
		.amdhsa_system_sgpr_workgroup_id_x 1
		.amdhsa_system_sgpr_workgroup_id_y 0
		.amdhsa_system_sgpr_workgroup_id_z 0
		.amdhsa_system_sgpr_workgroup_info 0
		.amdhsa_system_vgpr_workitem_id 0
		.amdhsa_next_free_vgpr 1
		.amdhsa_next_free_sgpr 1
		.amdhsa_named_barrier_count 0
		.amdhsa_reserve_vcc 0
		.amdhsa_float_round_mode_32 0
		.amdhsa_float_round_mode_16_64 0
		.amdhsa_float_denorm_mode_32 3
		.amdhsa_float_denorm_mode_16_64 3
		.amdhsa_fp16_overflow 0
		.amdhsa_memory_ordered 1
		.amdhsa_forward_progress 1
		.amdhsa_inst_pref_size 0
		.amdhsa_round_robin_scheduling 0
		.amdhsa_exception_fp_ieee_invalid_op 0
		.amdhsa_exception_fp_denorm_src 0
		.amdhsa_exception_fp_ieee_div_zero 0
		.amdhsa_exception_fp_ieee_overflow 0
		.amdhsa_exception_fp_ieee_underflow 0
		.amdhsa_exception_fp_ieee_inexact 0
		.amdhsa_exception_int_div_zero 0
	.end_amdhsa_kernel
	.section	.text._ZN7rocprim17ROCPRIM_400000_NS6detail17trampoline_kernelINS0_14default_configENS1_35radix_sort_onesweep_config_selectorImNS0_10empty_typeEEEZZNS1_29radix_sort_onesweep_iterationIS3_Lb0EPKmPmPS5_SB_mNS0_19identity_decomposerENS1_16block_id_wrapperIjLb0EEEEE10hipError_tT1_PNSt15iterator_traitsISG_E10value_typeET2_T3_PNSH_ISM_E10value_typeET4_T5_PSR_SS_PNS1_23onesweep_lookback_stateEbbT6_jjT7_P12ihipStream_tbENKUlT_T0_SG_SL_E_clIS9_SA_SB_SB_EEDaSZ_S10_SG_SL_EUlSZ_E_NS1_11comp_targetILNS1_3genE6ELNS1_11target_archE950ELNS1_3gpuE13ELNS1_3repE0EEENS1_47radix_sort_onesweep_sort_config_static_selectorELNS0_4arch9wavefront6targetE0EEEvSG_,"axG",@progbits,_ZN7rocprim17ROCPRIM_400000_NS6detail17trampoline_kernelINS0_14default_configENS1_35radix_sort_onesweep_config_selectorImNS0_10empty_typeEEEZZNS1_29radix_sort_onesweep_iterationIS3_Lb0EPKmPmPS5_SB_mNS0_19identity_decomposerENS1_16block_id_wrapperIjLb0EEEEE10hipError_tT1_PNSt15iterator_traitsISG_E10value_typeET2_T3_PNSH_ISM_E10value_typeET4_T5_PSR_SS_PNS1_23onesweep_lookback_stateEbbT6_jjT7_P12ihipStream_tbENKUlT_T0_SG_SL_E_clIS9_SA_SB_SB_EEDaSZ_S10_SG_SL_EUlSZ_E_NS1_11comp_targetILNS1_3genE6ELNS1_11target_archE950ELNS1_3gpuE13ELNS1_3repE0EEENS1_47radix_sort_onesweep_sort_config_static_selectorELNS0_4arch9wavefront6targetE0EEEvSG_,comdat
.Lfunc_end3010:
	.size	_ZN7rocprim17ROCPRIM_400000_NS6detail17trampoline_kernelINS0_14default_configENS1_35radix_sort_onesweep_config_selectorImNS0_10empty_typeEEEZZNS1_29radix_sort_onesweep_iterationIS3_Lb0EPKmPmPS5_SB_mNS0_19identity_decomposerENS1_16block_id_wrapperIjLb0EEEEE10hipError_tT1_PNSt15iterator_traitsISG_E10value_typeET2_T3_PNSH_ISM_E10value_typeET4_T5_PSR_SS_PNS1_23onesweep_lookback_stateEbbT6_jjT7_P12ihipStream_tbENKUlT_T0_SG_SL_E_clIS9_SA_SB_SB_EEDaSZ_S10_SG_SL_EUlSZ_E_NS1_11comp_targetILNS1_3genE6ELNS1_11target_archE950ELNS1_3gpuE13ELNS1_3repE0EEENS1_47radix_sort_onesweep_sort_config_static_selectorELNS0_4arch9wavefront6targetE0EEEvSG_, .Lfunc_end3010-_ZN7rocprim17ROCPRIM_400000_NS6detail17trampoline_kernelINS0_14default_configENS1_35radix_sort_onesweep_config_selectorImNS0_10empty_typeEEEZZNS1_29radix_sort_onesweep_iterationIS3_Lb0EPKmPmPS5_SB_mNS0_19identity_decomposerENS1_16block_id_wrapperIjLb0EEEEE10hipError_tT1_PNSt15iterator_traitsISG_E10value_typeET2_T3_PNSH_ISM_E10value_typeET4_T5_PSR_SS_PNS1_23onesweep_lookback_stateEbbT6_jjT7_P12ihipStream_tbENKUlT_T0_SG_SL_E_clIS9_SA_SB_SB_EEDaSZ_S10_SG_SL_EUlSZ_E_NS1_11comp_targetILNS1_3genE6ELNS1_11target_archE950ELNS1_3gpuE13ELNS1_3repE0EEENS1_47radix_sort_onesweep_sort_config_static_selectorELNS0_4arch9wavefront6targetE0EEEvSG_
                                        ; -- End function
	.set _ZN7rocprim17ROCPRIM_400000_NS6detail17trampoline_kernelINS0_14default_configENS1_35radix_sort_onesweep_config_selectorImNS0_10empty_typeEEEZZNS1_29radix_sort_onesweep_iterationIS3_Lb0EPKmPmPS5_SB_mNS0_19identity_decomposerENS1_16block_id_wrapperIjLb0EEEEE10hipError_tT1_PNSt15iterator_traitsISG_E10value_typeET2_T3_PNSH_ISM_E10value_typeET4_T5_PSR_SS_PNS1_23onesweep_lookback_stateEbbT6_jjT7_P12ihipStream_tbENKUlT_T0_SG_SL_E_clIS9_SA_SB_SB_EEDaSZ_S10_SG_SL_EUlSZ_E_NS1_11comp_targetILNS1_3genE6ELNS1_11target_archE950ELNS1_3gpuE13ELNS1_3repE0EEENS1_47radix_sort_onesweep_sort_config_static_selectorELNS0_4arch9wavefront6targetE0EEEvSG_.num_vgpr, 0
	.set _ZN7rocprim17ROCPRIM_400000_NS6detail17trampoline_kernelINS0_14default_configENS1_35radix_sort_onesweep_config_selectorImNS0_10empty_typeEEEZZNS1_29radix_sort_onesweep_iterationIS3_Lb0EPKmPmPS5_SB_mNS0_19identity_decomposerENS1_16block_id_wrapperIjLb0EEEEE10hipError_tT1_PNSt15iterator_traitsISG_E10value_typeET2_T3_PNSH_ISM_E10value_typeET4_T5_PSR_SS_PNS1_23onesweep_lookback_stateEbbT6_jjT7_P12ihipStream_tbENKUlT_T0_SG_SL_E_clIS9_SA_SB_SB_EEDaSZ_S10_SG_SL_EUlSZ_E_NS1_11comp_targetILNS1_3genE6ELNS1_11target_archE950ELNS1_3gpuE13ELNS1_3repE0EEENS1_47radix_sort_onesweep_sort_config_static_selectorELNS0_4arch9wavefront6targetE0EEEvSG_.num_agpr, 0
	.set _ZN7rocprim17ROCPRIM_400000_NS6detail17trampoline_kernelINS0_14default_configENS1_35radix_sort_onesweep_config_selectorImNS0_10empty_typeEEEZZNS1_29radix_sort_onesweep_iterationIS3_Lb0EPKmPmPS5_SB_mNS0_19identity_decomposerENS1_16block_id_wrapperIjLb0EEEEE10hipError_tT1_PNSt15iterator_traitsISG_E10value_typeET2_T3_PNSH_ISM_E10value_typeET4_T5_PSR_SS_PNS1_23onesweep_lookback_stateEbbT6_jjT7_P12ihipStream_tbENKUlT_T0_SG_SL_E_clIS9_SA_SB_SB_EEDaSZ_S10_SG_SL_EUlSZ_E_NS1_11comp_targetILNS1_3genE6ELNS1_11target_archE950ELNS1_3gpuE13ELNS1_3repE0EEENS1_47radix_sort_onesweep_sort_config_static_selectorELNS0_4arch9wavefront6targetE0EEEvSG_.numbered_sgpr, 0
	.set _ZN7rocprim17ROCPRIM_400000_NS6detail17trampoline_kernelINS0_14default_configENS1_35radix_sort_onesweep_config_selectorImNS0_10empty_typeEEEZZNS1_29radix_sort_onesweep_iterationIS3_Lb0EPKmPmPS5_SB_mNS0_19identity_decomposerENS1_16block_id_wrapperIjLb0EEEEE10hipError_tT1_PNSt15iterator_traitsISG_E10value_typeET2_T3_PNSH_ISM_E10value_typeET4_T5_PSR_SS_PNS1_23onesweep_lookback_stateEbbT6_jjT7_P12ihipStream_tbENKUlT_T0_SG_SL_E_clIS9_SA_SB_SB_EEDaSZ_S10_SG_SL_EUlSZ_E_NS1_11comp_targetILNS1_3genE6ELNS1_11target_archE950ELNS1_3gpuE13ELNS1_3repE0EEENS1_47radix_sort_onesweep_sort_config_static_selectorELNS0_4arch9wavefront6targetE0EEEvSG_.num_named_barrier, 0
	.set _ZN7rocprim17ROCPRIM_400000_NS6detail17trampoline_kernelINS0_14default_configENS1_35radix_sort_onesweep_config_selectorImNS0_10empty_typeEEEZZNS1_29radix_sort_onesweep_iterationIS3_Lb0EPKmPmPS5_SB_mNS0_19identity_decomposerENS1_16block_id_wrapperIjLb0EEEEE10hipError_tT1_PNSt15iterator_traitsISG_E10value_typeET2_T3_PNSH_ISM_E10value_typeET4_T5_PSR_SS_PNS1_23onesweep_lookback_stateEbbT6_jjT7_P12ihipStream_tbENKUlT_T0_SG_SL_E_clIS9_SA_SB_SB_EEDaSZ_S10_SG_SL_EUlSZ_E_NS1_11comp_targetILNS1_3genE6ELNS1_11target_archE950ELNS1_3gpuE13ELNS1_3repE0EEENS1_47radix_sort_onesweep_sort_config_static_selectorELNS0_4arch9wavefront6targetE0EEEvSG_.private_seg_size, 0
	.set _ZN7rocprim17ROCPRIM_400000_NS6detail17trampoline_kernelINS0_14default_configENS1_35radix_sort_onesweep_config_selectorImNS0_10empty_typeEEEZZNS1_29radix_sort_onesweep_iterationIS3_Lb0EPKmPmPS5_SB_mNS0_19identity_decomposerENS1_16block_id_wrapperIjLb0EEEEE10hipError_tT1_PNSt15iterator_traitsISG_E10value_typeET2_T3_PNSH_ISM_E10value_typeET4_T5_PSR_SS_PNS1_23onesweep_lookback_stateEbbT6_jjT7_P12ihipStream_tbENKUlT_T0_SG_SL_E_clIS9_SA_SB_SB_EEDaSZ_S10_SG_SL_EUlSZ_E_NS1_11comp_targetILNS1_3genE6ELNS1_11target_archE950ELNS1_3gpuE13ELNS1_3repE0EEENS1_47radix_sort_onesweep_sort_config_static_selectorELNS0_4arch9wavefront6targetE0EEEvSG_.uses_vcc, 0
	.set _ZN7rocprim17ROCPRIM_400000_NS6detail17trampoline_kernelINS0_14default_configENS1_35radix_sort_onesweep_config_selectorImNS0_10empty_typeEEEZZNS1_29radix_sort_onesweep_iterationIS3_Lb0EPKmPmPS5_SB_mNS0_19identity_decomposerENS1_16block_id_wrapperIjLb0EEEEE10hipError_tT1_PNSt15iterator_traitsISG_E10value_typeET2_T3_PNSH_ISM_E10value_typeET4_T5_PSR_SS_PNS1_23onesweep_lookback_stateEbbT6_jjT7_P12ihipStream_tbENKUlT_T0_SG_SL_E_clIS9_SA_SB_SB_EEDaSZ_S10_SG_SL_EUlSZ_E_NS1_11comp_targetILNS1_3genE6ELNS1_11target_archE950ELNS1_3gpuE13ELNS1_3repE0EEENS1_47radix_sort_onesweep_sort_config_static_selectorELNS0_4arch9wavefront6targetE0EEEvSG_.uses_flat_scratch, 0
	.set _ZN7rocprim17ROCPRIM_400000_NS6detail17trampoline_kernelINS0_14default_configENS1_35radix_sort_onesweep_config_selectorImNS0_10empty_typeEEEZZNS1_29radix_sort_onesweep_iterationIS3_Lb0EPKmPmPS5_SB_mNS0_19identity_decomposerENS1_16block_id_wrapperIjLb0EEEEE10hipError_tT1_PNSt15iterator_traitsISG_E10value_typeET2_T3_PNSH_ISM_E10value_typeET4_T5_PSR_SS_PNS1_23onesweep_lookback_stateEbbT6_jjT7_P12ihipStream_tbENKUlT_T0_SG_SL_E_clIS9_SA_SB_SB_EEDaSZ_S10_SG_SL_EUlSZ_E_NS1_11comp_targetILNS1_3genE6ELNS1_11target_archE950ELNS1_3gpuE13ELNS1_3repE0EEENS1_47radix_sort_onesweep_sort_config_static_selectorELNS0_4arch9wavefront6targetE0EEEvSG_.has_dyn_sized_stack, 0
	.set _ZN7rocprim17ROCPRIM_400000_NS6detail17trampoline_kernelINS0_14default_configENS1_35radix_sort_onesweep_config_selectorImNS0_10empty_typeEEEZZNS1_29radix_sort_onesweep_iterationIS3_Lb0EPKmPmPS5_SB_mNS0_19identity_decomposerENS1_16block_id_wrapperIjLb0EEEEE10hipError_tT1_PNSt15iterator_traitsISG_E10value_typeET2_T3_PNSH_ISM_E10value_typeET4_T5_PSR_SS_PNS1_23onesweep_lookback_stateEbbT6_jjT7_P12ihipStream_tbENKUlT_T0_SG_SL_E_clIS9_SA_SB_SB_EEDaSZ_S10_SG_SL_EUlSZ_E_NS1_11comp_targetILNS1_3genE6ELNS1_11target_archE950ELNS1_3gpuE13ELNS1_3repE0EEENS1_47radix_sort_onesweep_sort_config_static_selectorELNS0_4arch9wavefront6targetE0EEEvSG_.has_recursion, 0
	.set _ZN7rocprim17ROCPRIM_400000_NS6detail17trampoline_kernelINS0_14default_configENS1_35radix_sort_onesweep_config_selectorImNS0_10empty_typeEEEZZNS1_29radix_sort_onesweep_iterationIS3_Lb0EPKmPmPS5_SB_mNS0_19identity_decomposerENS1_16block_id_wrapperIjLb0EEEEE10hipError_tT1_PNSt15iterator_traitsISG_E10value_typeET2_T3_PNSH_ISM_E10value_typeET4_T5_PSR_SS_PNS1_23onesweep_lookback_stateEbbT6_jjT7_P12ihipStream_tbENKUlT_T0_SG_SL_E_clIS9_SA_SB_SB_EEDaSZ_S10_SG_SL_EUlSZ_E_NS1_11comp_targetILNS1_3genE6ELNS1_11target_archE950ELNS1_3gpuE13ELNS1_3repE0EEENS1_47radix_sort_onesweep_sort_config_static_selectorELNS0_4arch9wavefront6targetE0EEEvSG_.has_indirect_call, 0
	.section	.AMDGPU.csdata,"",@progbits
; Kernel info:
; codeLenInByte = 0
; TotalNumSgprs: 0
; NumVgprs: 0
; ScratchSize: 0
; MemoryBound: 0
; FloatMode: 240
; IeeeMode: 1
; LDSByteSize: 0 bytes/workgroup (compile time only)
; SGPRBlocks: 0
; VGPRBlocks: 0
; NumSGPRsForWavesPerEU: 1
; NumVGPRsForWavesPerEU: 1
; NamedBarCnt: 0
; Occupancy: 16
; WaveLimiterHint : 0
; COMPUTE_PGM_RSRC2:SCRATCH_EN: 0
; COMPUTE_PGM_RSRC2:USER_SGPR: 2
; COMPUTE_PGM_RSRC2:TRAP_HANDLER: 0
; COMPUTE_PGM_RSRC2:TGID_X_EN: 1
; COMPUTE_PGM_RSRC2:TGID_Y_EN: 0
; COMPUTE_PGM_RSRC2:TGID_Z_EN: 0
; COMPUTE_PGM_RSRC2:TIDIG_COMP_CNT: 0
	.section	.text._ZN7rocprim17ROCPRIM_400000_NS6detail17trampoline_kernelINS0_14default_configENS1_35radix_sort_onesweep_config_selectorImNS0_10empty_typeEEEZZNS1_29radix_sort_onesweep_iterationIS3_Lb0EPKmPmPS5_SB_mNS0_19identity_decomposerENS1_16block_id_wrapperIjLb0EEEEE10hipError_tT1_PNSt15iterator_traitsISG_E10value_typeET2_T3_PNSH_ISM_E10value_typeET4_T5_PSR_SS_PNS1_23onesweep_lookback_stateEbbT6_jjT7_P12ihipStream_tbENKUlT_T0_SG_SL_E_clIS9_SA_SB_SB_EEDaSZ_S10_SG_SL_EUlSZ_E_NS1_11comp_targetILNS1_3genE5ELNS1_11target_archE942ELNS1_3gpuE9ELNS1_3repE0EEENS1_47radix_sort_onesweep_sort_config_static_selectorELNS0_4arch9wavefront6targetE0EEEvSG_,"axG",@progbits,_ZN7rocprim17ROCPRIM_400000_NS6detail17trampoline_kernelINS0_14default_configENS1_35radix_sort_onesweep_config_selectorImNS0_10empty_typeEEEZZNS1_29radix_sort_onesweep_iterationIS3_Lb0EPKmPmPS5_SB_mNS0_19identity_decomposerENS1_16block_id_wrapperIjLb0EEEEE10hipError_tT1_PNSt15iterator_traitsISG_E10value_typeET2_T3_PNSH_ISM_E10value_typeET4_T5_PSR_SS_PNS1_23onesweep_lookback_stateEbbT6_jjT7_P12ihipStream_tbENKUlT_T0_SG_SL_E_clIS9_SA_SB_SB_EEDaSZ_S10_SG_SL_EUlSZ_E_NS1_11comp_targetILNS1_3genE5ELNS1_11target_archE942ELNS1_3gpuE9ELNS1_3repE0EEENS1_47radix_sort_onesweep_sort_config_static_selectorELNS0_4arch9wavefront6targetE0EEEvSG_,comdat
	.protected	_ZN7rocprim17ROCPRIM_400000_NS6detail17trampoline_kernelINS0_14default_configENS1_35radix_sort_onesweep_config_selectorImNS0_10empty_typeEEEZZNS1_29radix_sort_onesweep_iterationIS3_Lb0EPKmPmPS5_SB_mNS0_19identity_decomposerENS1_16block_id_wrapperIjLb0EEEEE10hipError_tT1_PNSt15iterator_traitsISG_E10value_typeET2_T3_PNSH_ISM_E10value_typeET4_T5_PSR_SS_PNS1_23onesweep_lookback_stateEbbT6_jjT7_P12ihipStream_tbENKUlT_T0_SG_SL_E_clIS9_SA_SB_SB_EEDaSZ_S10_SG_SL_EUlSZ_E_NS1_11comp_targetILNS1_3genE5ELNS1_11target_archE942ELNS1_3gpuE9ELNS1_3repE0EEENS1_47radix_sort_onesweep_sort_config_static_selectorELNS0_4arch9wavefront6targetE0EEEvSG_ ; -- Begin function _ZN7rocprim17ROCPRIM_400000_NS6detail17trampoline_kernelINS0_14default_configENS1_35radix_sort_onesweep_config_selectorImNS0_10empty_typeEEEZZNS1_29radix_sort_onesweep_iterationIS3_Lb0EPKmPmPS5_SB_mNS0_19identity_decomposerENS1_16block_id_wrapperIjLb0EEEEE10hipError_tT1_PNSt15iterator_traitsISG_E10value_typeET2_T3_PNSH_ISM_E10value_typeET4_T5_PSR_SS_PNS1_23onesweep_lookback_stateEbbT6_jjT7_P12ihipStream_tbENKUlT_T0_SG_SL_E_clIS9_SA_SB_SB_EEDaSZ_S10_SG_SL_EUlSZ_E_NS1_11comp_targetILNS1_3genE5ELNS1_11target_archE942ELNS1_3gpuE9ELNS1_3repE0EEENS1_47radix_sort_onesweep_sort_config_static_selectorELNS0_4arch9wavefront6targetE0EEEvSG_
	.globl	_ZN7rocprim17ROCPRIM_400000_NS6detail17trampoline_kernelINS0_14default_configENS1_35radix_sort_onesweep_config_selectorImNS0_10empty_typeEEEZZNS1_29radix_sort_onesweep_iterationIS3_Lb0EPKmPmPS5_SB_mNS0_19identity_decomposerENS1_16block_id_wrapperIjLb0EEEEE10hipError_tT1_PNSt15iterator_traitsISG_E10value_typeET2_T3_PNSH_ISM_E10value_typeET4_T5_PSR_SS_PNS1_23onesweep_lookback_stateEbbT6_jjT7_P12ihipStream_tbENKUlT_T0_SG_SL_E_clIS9_SA_SB_SB_EEDaSZ_S10_SG_SL_EUlSZ_E_NS1_11comp_targetILNS1_3genE5ELNS1_11target_archE942ELNS1_3gpuE9ELNS1_3repE0EEENS1_47radix_sort_onesweep_sort_config_static_selectorELNS0_4arch9wavefront6targetE0EEEvSG_
	.p2align	8
	.type	_ZN7rocprim17ROCPRIM_400000_NS6detail17trampoline_kernelINS0_14default_configENS1_35radix_sort_onesweep_config_selectorImNS0_10empty_typeEEEZZNS1_29radix_sort_onesweep_iterationIS3_Lb0EPKmPmPS5_SB_mNS0_19identity_decomposerENS1_16block_id_wrapperIjLb0EEEEE10hipError_tT1_PNSt15iterator_traitsISG_E10value_typeET2_T3_PNSH_ISM_E10value_typeET4_T5_PSR_SS_PNS1_23onesweep_lookback_stateEbbT6_jjT7_P12ihipStream_tbENKUlT_T0_SG_SL_E_clIS9_SA_SB_SB_EEDaSZ_S10_SG_SL_EUlSZ_E_NS1_11comp_targetILNS1_3genE5ELNS1_11target_archE942ELNS1_3gpuE9ELNS1_3repE0EEENS1_47radix_sort_onesweep_sort_config_static_selectorELNS0_4arch9wavefront6targetE0EEEvSG_,@function
_ZN7rocprim17ROCPRIM_400000_NS6detail17trampoline_kernelINS0_14default_configENS1_35radix_sort_onesweep_config_selectorImNS0_10empty_typeEEEZZNS1_29radix_sort_onesweep_iterationIS3_Lb0EPKmPmPS5_SB_mNS0_19identity_decomposerENS1_16block_id_wrapperIjLb0EEEEE10hipError_tT1_PNSt15iterator_traitsISG_E10value_typeET2_T3_PNSH_ISM_E10value_typeET4_T5_PSR_SS_PNS1_23onesweep_lookback_stateEbbT6_jjT7_P12ihipStream_tbENKUlT_T0_SG_SL_E_clIS9_SA_SB_SB_EEDaSZ_S10_SG_SL_EUlSZ_E_NS1_11comp_targetILNS1_3genE5ELNS1_11target_archE942ELNS1_3gpuE9ELNS1_3repE0EEENS1_47radix_sort_onesweep_sort_config_static_selectorELNS0_4arch9wavefront6targetE0EEEvSG_: ; @_ZN7rocprim17ROCPRIM_400000_NS6detail17trampoline_kernelINS0_14default_configENS1_35radix_sort_onesweep_config_selectorImNS0_10empty_typeEEEZZNS1_29radix_sort_onesweep_iterationIS3_Lb0EPKmPmPS5_SB_mNS0_19identity_decomposerENS1_16block_id_wrapperIjLb0EEEEE10hipError_tT1_PNSt15iterator_traitsISG_E10value_typeET2_T3_PNSH_ISM_E10value_typeET4_T5_PSR_SS_PNS1_23onesweep_lookback_stateEbbT6_jjT7_P12ihipStream_tbENKUlT_T0_SG_SL_E_clIS9_SA_SB_SB_EEDaSZ_S10_SG_SL_EUlSZ_E_NS1_11comp_targetILNS1_3genE5ELNS1_11target_archE942ELNS1_3gpuE9ELNS1_3repE0EEENS1_47radix_sort_onesweep_sort_config_static_selectorELNS0_4arch9wavefront6targetE0EEEvSG_
; %bb.0:
	.section	.rodata,"a",@progbits
	.p2align	6, 0x0
	.amdhsa_kernel _ZN7rocprim17ROCPRIM_400000_NS6detail17trampoline_kernelINS0_14default_configENS1_35radix_sort_onesweep_config_selectorImNS0_10empty_typeEEEZZNS1_29radix_sort_onesweep_iterationIS3_Lb0EPKmPmPS5_SB_mNS0_19identity_decomposerENS1_16block_id_wrapperIjLb0EEEEE10hipError_tT1_PNSt15iterator_traitsISG_E10value_typeET2_T3_PNSH_ISM_E10value_typeET4_T5_PSR_SS_PNS1_23onesweep_lookback_stateEbbT6_jjT7_P12ihipStream_tbENKUlT_T0_SG_SL_E_clIS9_SA_SB_SB_EEDaSZ_S10_SG_SL_EUlSZ_E_NS1_11comp_targetILNS1_3genE5ELNS1_11target_archE942ELNS1_3gpuE9ELNS1_3repE0EEENS1_47radix_sort_onesweep_sort_config_static_selectorELNS0_4arch9wavefront6targetE0EEEvSG_
		.amdhsa_group_segment_fixed_size 0
		.amdhsa_private_segment_fixed_size 0
		.amdhsa_kernarg_size 88
		.amdhsa_user_sgpr_count 2
		.amdhsa_user_sgpr_dispatch_ptr 0
		.amdhsa_user_sgpr_queue_ptr 0
		.amdhsa_user_sgpr_kernarg_segment_ptr 1
		.amdhsa_user_sgpr_dispatch_id 0
		.amdhsa_user_sgpr_kernarg_preload_length 0
		.amdhsa_user_sgpr_kernarg_preload_offset 0
		.amdhsa_user_sgpr_private_segment_size 0
		.amdhsa_wavefront_size32 1
		.amdhsa_uses_dynamic_stack 0
		.amdhsa_enable_private_segment 0
		.amdhsa_system_sgpr_workgroup_id_x 1
		.amdhsa_system_sgpr_workgroup_id_y 0
		.amdhsa_system_sgpr_workgroup_id_z 0
		.amdhsa_system_sgpr_workgroup_info 0
		.amdhsa_system_vgpr_workitem_id 0
		.amdhsa_next_free_vgpr 1
		.amdhsa_next_free_sgpr 1
		.amdhsa_named_barrier_count 0
		.amdhsa_reserve_vcc 0
		.amdhsa_float_round_mode_32 0
		.amdhsa_float_round_mode_16_64 0
		.amdhsa_float_denorm_mode_32 3
		.amdhsa_float_denorm_mode_16_64 3
		.amdhsa_fp16_overflow 0
		.amdhsa_memory_ordered 1
		.amdhsa_forward_progress 1
		.amdhsa_inst_pref_size 0
		.amdhsa_round_robin_scheduling 0
		.amdhsa_exception_fp_ieee_invalid_op 0
		.amdhsa_exception_fp_denorm_src 0
		.amdhsa_exception_fp_ieee_div_zero 0
		.amdhsa_exception_fp_ieee_overflow 0
		.amdhsa_exception_fp_ieee_underflow 0
		.amdhsa_exception_fp_ieee_inexact 0
		.amdhsa_exception_int_div_zero 0
	.end_amdhsa_kernel
	.section	.text._ZN7rocprim17ROCPRIM_400000_NS6detail17trampoline_kernelINS0_14default_configENS1_35radix_sort_onesweep_config_selectorImNS0_10empty_typeEEEZZNS1_29radix_sort_onesweep_iterationIS3_Lb0EPKmPmPS5_SB_mNS0_19identity_decomposerENS1_16block_id_wrapperIjLb0EEEEE10hipError_tT1_PNSt15iterator_traitsISG_E10value_typeET2_T3_PNSH_ISM_E10value_typeET4_T5_PSR_SS_PNS1_23onesweep_lookback_stateEbbT6_jjT7_P12ihipStream_tbENKUlT_T0_SG_SL_E_clIS9_SA_SB_SB_EEDaSZ_S10_SG_SL_EUlSZ_E_NS1_11comp_targetILNS1_3genE5ELNS1_11target_archE942ELNS1_3gpuE9ELNS1_3repE0EEENS1_47radix_sort_onesweep_sort_config_static_selectorELNS0_4arch9wavefront6targetE0EEEvSG_,"axG",@progbits,_ZN7rocprim17ROCPRIM_400000_NS6detail17trampoline_kernelINS0_14default_configENS1_35radix_sort_onesweep_config_selectorImNS0_10empty_typeEEEZZNS1_29radix_sort_onesweep_iterationIS3_Lb0EPKmPmPS5_SB_mNS0_19identity_decomposerENS1_16block_id_wrapperIjLb0EEEEE10hipError_tT1_PNSt15iterator_traitsISG_E10value_typeET2_T3_PNSH_ISM_E10value_typeET4_T5_PSR_SS_PNS1_23onesweep_lookback_stateEbbT6_jjT7_P12ihipStream_tbENKUlT_T0_SG_SL_E_clIS9_SA_SB_SB_EEDaSZ_S10_SG_SL_EUlSZ_E_NS1_11comp_targetILNS1_3genE5ELNS1_11target_archE942ELNS1_3gpuE9ELNS1_3repE0EEENS1_47radix_sort_onesweep_sort_config_static_selectorELNS0_4arch9wavefront6targetE0EEEvSG_,comdat
.Lfunc_end3011:
	.size	_ZN7rocprim17ROCPRIM_400000_NS6detail17trampoline_kernelINS0_14default_configENS1_35radix_sort_onesweep_config_selectorImNS0_10empty_typeEEEZZNS1_29radix_sort_onesweep_iterationIS3_Lb0EPKmPmPS5_SB_mNS0_19identity_decomposerENS1_16block_id_wrapperIjLb0EEEEE10hipError_tT1_PNSt15iterator_traitsISG_E10value_typeET2_T3_PNSH_ISM_E10value_typeET4_T5_PSR_SS_PNS1_23onesweep_lookback_stateEbbT6_jjT7_P12ihipStream_tbENKUlT_T0_SG_SL_E_clIS9_SA_SB_SB_EEDaSZ_S10_SG_SL_EUlSZ_E_NS1_11comp_targetILNS1_3genE5ELNS1_11target_archE942ELNS1_3gpuE9ELNS1_3repE0EEENS1_47radix_sort_onesweep_sort_config_static_selectorELNS0_4arch9wavefront6targetE0EEEvSG_, .Lfunc_end3011-_ZN7rocprim17ROCPRIM_400000_NS6detail17trampoline_kernelINS0_14default_configENS1_35radix_sort_onesweep_config_selectorImNS0_10empty_typeEEEZZNS1_29radix_sort_onesweep_iterationIS3_Lb0EPKmPmPS5_SB_mNS0_19identity_decomposerENS1_16block_id_wrapperIjLb0EEEEE10hipError_tT1_PNSt15iterator_traitsISG_E10value_typeET2_T3_PNSH_ISM_E10value_typeET4_T5_PSR_SS_PNS1_23onesweep_lookback_stateEbbT6_jjT7_P12ihipStream_tbENKUlT_T0_SG_SL_E_clIS9_SA_SB_SB_EEDaSZ_S10_SG_SL_EUlSZ_E_NS1_11comp_targetILNS1_3genE5ELNS1_11target_archE942ELNS1_3gpuE9ELNS1_3repE0EEENS1_47radix_sort_onesweep_sort_config_static_selectorELNS0_4arch9wavefront6targetE0EEEvSG_
                                        ; -- End function
	.set _ZN7rocprim17ROCPRIM_400000_NS6detail17trampoline_kernelINS0_14default_configENS1_35radix_sort_onesweep_config_selectorImNS0_10empty_typeEEEZZNS1_29radix_sort_onesweep_iterationIS3_Lb0EPKmPmPS5_SB_mNS0_19identity_decomposerENS1_16block_id_wrapperIjLb0EEEEE10hipError_tT1_PNSt15iterator_traitsISG_E10value_typeET2_T3_PNSH_ISM_E10value_typeET4_T5_PSR_SS_PNS1_23onesweep_lookback_stateEbbT6_jjT7_P12ihipStream_tbENKUlT_T0_SG_SL_E_clIS9_SA_SB_SB_EEDaSZ_S10_SG_SL_EUlSZ_E_NS1_11comp_targetILNS1_3genE5ELNS1_11target_archE942ELNS1_3gpuE9ELNS1_3repE0EEENS1_47radix_sort_onesweep_sort_config_static_selectorELNS0_4arch9wavefront6targetE0EEEvSG_.num_vgpr, 0
	.set _ZN7rocprim17ROCPRIM_400000_NS6detail17trampoline_kernelINS0_14default_configENS1_35radix_sort_onesweep_config_selectorImNS0_10empty_typeEEEZZNS1_29radix_sort_onesweep_iterationIS3_Lb0EPKmPmPS5_SB_mNS0_19identity_decomposerENS1_16block_id_wrapperIjLb0EEEEE10hipError_tT1_PNSt15iterator_traitsISG_E10value_typeET2_T3_PNSH_ISM_E10value_typeET4_T5_PSR_SS_PNS1_23onesweep_lookback_stateEbbT6_jjT7_P12ihipStream_tbENKUlT_T0_SG_SL_E_clIS9_SA_SB_SB_EEDaSZ_S10_SG_SL_EUlSZ_E_NS1_11comp_targetILNS1_3genE5ELNS1_11target_archE942ELNS1_3gpuE9ELNS1_3repE0EEENS1_47radix_sort_onesweep_sort_config_static_selectorELNS0_4arch9wavefront6targetE0EEEvSG_.num_agpr, 0
	.set _ZN7rocprim17ROCPRIM_400000_NS6detail17trampoline_kernelINS0_14default_configENS1_35radix_sort_onesweep_config_selectorImNS0_10empty_typeEEEZZNS1_29radix_sort_onesweep_iterationIS3_Lb0EPKmPmPS5_SB_mNS0_19identity_decomposerENS1_16block_id_wrapperIjLb0EEEEE10hipError_tT1_PNSt15iterator_traitsISG_E10value_typeET2_T3_PNSH_ISM_E10value_typeET4_T5_PSR_SS_PNS1_23onesweep_lookback_stateEbbT6_jjT7_P12ihipStream_tbENKUlT_T0_SG_SL_E_clIS9_SA_SB_SB_EEDaSZ_S10_SG_SL_EUlSZ_E_NS1_11comp_targetILNS1_3genE5ELNS1_11target_archE942ELNS1_3gpuE9ELNS1_3repE0EEENS1_47radix_sort_onesweep_sort_config_static_selectorELNS0_4arch9wavefront6targetE0EEEvSG_.numbered_sgpr, 0
	.set _ZN7rocprim17ROCPRIM_400000_NS6detail17trampoline_kernelINS0_14default_configENS1_35radix_sort_onesweep_config_selectorImNS0_10empty_typeEEEZZNS1_29radix_sort_onesweep_iterationIS3_Lb0EPKmPmPS5_SB_mNS0_19identity_decomposerENS1_16block_id_wrapperIjLb0EEEEE10hipError_tT1_PNSt15iterator_traitsISG_E10value_typeET2_T3_PNSH_ISM_E10value_typeET4_T5_PSR_SS_PNS1_23onesweep_lookback_stateEbbT6_jjT7_P12ihipStream_tbENKUlT_T0_SG_SL_E_clIS9_SA_SB_SB_EEDaSZ_S10_SG_SL_EUlSZ_E_NS1_11comp_targetILNS1_3genE5ELNS1_11target_archE942ELNS1_3gpuE9ELNS1_3repE0EEENS1_47radix_sort_onesweep_sort_config_static_selectorELNS0_4arch9wavefront6targetE0EEEvSG_.num_named_barrier, 0
	.set _ZN7rocprim17ROCPRIM_400000_NS6detail17trampoline_kernelINS0_14default_configENS1_35radix_sort_onesweep_config_selectorImNS0_10empty_typeEEEZZNS1_29radix_sort_onesweep_iterationIS3_Lb0EPKmPmPS5_SB_mNS0_19identity_decomposerENS1_16block_id_wrapperIjLb0EEEEE10hipError_tT1_PNSt15iterator_traitsISG_E10value_typeET2_T3_PNSH_ISM_E10value_typeET4_T5_PSR_SS_PNS1_23onesweep_lookback_stateEbbT6_jjT7_P12ihipStream_tbENKUlT_T0_SG_SL_E_clIS9_SA_SB_SB_EEDaSZ_S10_SG_SL_EUlSZ_E_NS1_11comp_targetILNS1_3genE5ELNS1_11target_archE942ELNS1_3gpuE9ELNS1_3repE0EEENS1_47radix_sort_onesweep_sort_config_static_selectorELNS0_4arch9wavefront6targetE0EEEvSG_.private_seg_size, 0
	.set _ZN7rocprim17ROCPRIM_400000_NS6detail17trampoline_kernelINS0_14default_configENS1_35radix_sort_onesweep_config_selectorImNS0_10empty_typeEEEZZNS1_29radix_sort_onesweep_iterationIS3_Lb0EPKmPmPS5_SB_mNS0_19identity_decomposerENS1_16block_id_wrapperIjLb0EEEEE10hipError_tT1_PNSt15iterator_traitsISG_E10value_typeET2_T3_PNSH_ISM_E10value_typeET4_T5_PSR_SS_PNS1_23onesweep_lookback_stateEbbT6_jjT7_P12ihipStream_tbENKUlT_T0_SG_SL_E_clIS9_SA_SB_SB_EEDaSZ_S10_SG_SL_EUlSZ_E_NS1_11comp_targetILNS1_3genE5ELNS1_11target_archE942ELNS1_3gpuE9ELNS1_3repE0EEENS1_47radix_sort_onesweep_sort_config_static_selectorELNS0_4arch9wavefront6targetE0EEEvSG_.uses_vcc, 0
	.set _ZN7rocprim17ROCPRIM_400000_NS6detail17trampoline_kernelINS0_14default_configENS1_35radix_sort_onesweep_config_selectorImNS0_10empty_typeEEEZZNS1_29radix_sort_onesweep_iterationIS3_Lb0EPKmPmPS5_SB_mNS0_19identity_decomposerENS1_16block_id_wrapperIjLb0EEEEE10hipError_tT1_PNSt15iterator_traitsISG_E10value_typeET2_T3_PNSH_ISM_E10value_typeET4_T5_PSR_SS_PNS1_23onesweep_lookback_stateEbbT6_jjT7_P12ihipStream_tbENKUlT_T0_SG_SL_E_clIS9_SA_SB_SB_EEDaSZ_S10_SG_SL_EUlSZ_E_NS1_11comp_targetILNS1_3genE5ELNS1_11target_archE942ELNS1_3gpuE9ELNS1_3repE0EEENS1_47radix_sort_onesweep_sort_config_static_selectorELNS0_4arch9wavefront6targetE0EEEvSG_.uses_flat_scratch, 0
	.set _ZN7rocprim17ROCPRIM_400000_NS6detail17trampoline_kernelINS0_14default_configENS1_35radix_sort_onesweep_config_selectorImNS0_10empty_typeEEEZZNS1_29radix_sort_onesweep_iterationIS3_Lb0EPKmPmPS5_SB_mNS0_19identity_decomposerENS1_16block_id_wrapperIjLb0EEEEE10hipError_tT1_PNSt15iterator_traitsISG_E10value_typeET2_T3_PNSH_ISM_E10value_typeET4_T5_PSR_SS_PNS1_23onesweep_lookback_stateEbbT6_jjT7_P12ihipStream_tbENKUlT_T0_SG_SL_E_clIS9_SA_SB_SB_EEDaSZ_S10_SG_SL_EUlSZ_E_NS1_11comp_targetILNS1_3genE5ELNS1_11target_archE942ELNS1_3gpuE9ELNS1_3repE0EEENS1_47radix_sort_onesweep_sort_config_static_selectorELNS0_4arch9wavefront6targetE0EEEvSG_.has_dyn_sized_stack, 0
	.set _ZN7rocprim17ROCPRIM_400000_NS6detail17trampoline_kernelINS0_14default_configENS1_35radix_sort_onesweep_config_selectorImNS0_10empty_typeEEEZZNS1_29radix_sort_onesweep_iterationIS3_Lb0EPKmPmPS5_SB_mNS0_19identity_decomposerENS1_16block_id_wrapperIjLb0EEEEE10hipError_tT1_PNSt15iterator_traitsISG_E10value_typeET2_T3_PNSH_ISM_E10value_typeET4_T5_PSR_SS_PNS1_23onesweep_lookback_stateEbbT6_jjT7_P12ihipStream_tbENKUlT_T0_SG_SL_E_clIS9_SA_SB_SB_EEDaSZ_S10_SG_SL_EUlSZ_E_NS1_11comp_targetILNS1_3genE5ELNS1_11target_archE942ELNS1_3gpuE9ELNS1_3repE0EEENS1_47radix_sort_onesweep_sort_config_static_selectorELNS0_4arch9wavefront6targetE0EEEvSG_.has_recursion, 0
	.set _ZN7rocprim17ROCPRIM_400000_NS6detail17trampoline_kernelINS0_14default_configENS1_35radix_sort_onesweep_config_selectorImNS0_10empty_typeEEEZZNS1_29radix_sort_onesweep_iterationIS3_Lb0EPKmPmPS5_SB_mNS0_19identity_decomposerENS1_16block_id_wrapperIjLb0EEEEE10hipError_tT1_PNSt15iterator_traitsISG_E10value_typeET2_T3_PNSH_ISM_E10value_typeET4_T5_PSR_SS_PNS1_23onesweep_lookback_stateEbbT6_jjT7_P12ihipStream_tbENKUlT_T0_SG_SL_E_clIS9_SA_SB_SB_EEDaSZ_S10_SG_SL_EUlSZ_E_NS1_11comp_targetILNS1_3genE5ELNS1_11target_archE942ELNS1_3gpuE9ELNS1_3repE0EEENS1_47radix_sort_onesweep_sort_config_static_selectorELNS0_4arch9wavefront6targetE0EEEvSG_.has_indirect_call, 0
	.section	.AMDGPU.csdata,"",@progbits
; Kernel info:
; codeLenInByte = 0
; TotalNumSgprs: 0
; NumVgprs: 0
; ScratchSize: 0
; MemoryBound: 0
; FloatMode: 240
; IeeeMode: 1
; LDSByteSize: 0 bytes/workgroup (compile time only)
; SGPRBlocks: 0
; VGPRBlocks: 0
; NumSGPRsForWavesPerEU: 1
; NumVGPRsForWavesPerEU: 1
; NamedBarCnt: 0
; Occupancy: 16
; WaveLimiterHint : 0
; COMPUTE_PGM_RSRC2:SCRATCH_EN: 0
; COMPUTE_PGM_RSRC2:USER_SGPR: 2
; COMPUTE_PGM_RSRC2:TRAP_HANDLER: 0
; COMPUTE_PGM_RSRC2:TGID_X_EN: 1
; COMPUTE_PGM_RSRC2:TGID_Y_EN: 0
; COMPUTE_PGM_RSRC2:TGID_Z_EN: 0
; COMPUTE_PGM_RSRC2:TIDIG_COMP_CNT: 0
	.section	.text._ZN7rocprim17ROCPRIM_400000_NS6detail17trampoline_kernelINS0_14default_configENS1_35radix_sort_onesweep_config_selectorImNS0_10empty_typeEEEZZNS1_29radix_sort_onesweep_iterationIS3_Lb0EPKmPmPS5_SB_mNS0_19identity_decomposerENS1_16block_id_wrapperIjLb0EEEEE10hipError_tT1_PNSt15iterator_traitsISG_E10value_typeET2_T3_PNSH_ISM_E10value_typeET4_T5_PSR_SS_PNS1_23onesweep_lookback_stateEbbT6_jjT7_P12ihipStream_tbENKUlT_T0_SG_SL_E_clIS9_SA_SB_SB_EEDaSZ_S10_SG_SL_EUlSZ_E_NS1_11comp_targetILNS1_3genE2ELNS1_11target_archE906ELNS1_3gpuE6ELNS1_3repE0EEENS1_47radix_sort_onesweep_sort_config_static_selectorELNS0_4arch9wavefront6targetE0EEEvSG_,"axG",@progbits,_ZN7rocprim17ROCPRIM_400000_NS6detail17trampoline_kernelINS0_14default_configENS1_35radix_sort_onesweep_config_selectorImNS0_10empty_typeEEEZZNS1_29radix_sort_onesweep_iterationIS3_Lb0EPKmPmPS5_SB_mNS0_19identity_decomposerENS1_16block_id_wrapperIjLb0EEEEE10hipError_tT1_PNSt15iterator_traitsISG_E10value_typeET2_T3_PNSH_ISM_E10value_typeET4_T5_PSR_SS_PNS1_23onesweep_lookback_stateEbbT6_jjT7_P12ihipStream_tbENKUlT_T0_SG_SL_E_clIS9_SA_SB_SB_EEDaSZ_S10_SG_SL_EUlSZ_E_NS1_11comp_targetILNS1_3genE2ELNS1_11target_archE906ELNS1_3gpuE6ELNS1_3repE0EEENS1_47radix_sort_onesweep_sort_config_static_selectorELNS0_4arch9wavefront6targetE0EEEvSG_,comdat
	.protected	_ZN7rocprim17ROCPRIM_400000_NS6detail17trampoline_kernelINS0_14default_configENS1_35radix_sort_onesweep_config_selectorImNS0_10empty_typeEEEZZNS1_29radix_sort_onesweep_iterationIS3_Lb0EPKmPmPS5_SB_mNS0_19identity_decomposerENS1_16block_id_wrapperIjLb0EEEEE10hipError_tT1_PNSt15iterator_traitsISG_E10value_typeET2_T3_PNSH_ISM_E10value_typeET4_T5_PSR_SS_PNS1_23onesweep_lookback_stateEbbT6_jjT7_P12ihipStream_tbENKUlT_T0_SG_SL_E_clIS9_SA_SB_SB_EEDaSZ_S10_SG_SL_EUlSZ_E_NS1_11comp_targetILNS1_3genE2ELNS1_11target_archE906ELNS1_3gpuE6ELNS1_3repE0EEENS1_47radix_sort_onesweep_sort_config_static_selectorELNS0_4arch9wavefront6targetE0EEEvSG_ ; -- Begin function _ZN7rocprim17ROCPRIM_400000_NS6detail17trampoline_kernelINS0_14default_configENS1_35radix_sort_onesweep_config_selectorImNS0_10empty_typeEEEZZNS1_29radix_sort_onesweep_iterationIS3_Lb0EPKmPmPS5_SB_mNS0_19identity_decomposerENS1_16block_id_wrapperIjLb0EEEEE10hipError_tT1_PNSt15iterator_traitsISG_E10value_typeET2_T3_PNSH_ISM_E10value_typeET4_T5_PSR_SS_PNS1_23onesweep_lookback_stateEbbT6_jjT7_P12ihipStream_tbENKUlT_T0_SG_SL_E_clIS9_SA_SB_SB_EEDaSZ_S10_SG_SL_EUlSZ_E_NS1_11comp_targetILNS1_3genE2ELNS1_11target_archE906ELNS1_3gpuE6ELNS1_3repE0EEENS1_47radix_sort_onesweep_sort_config_static_selectorELNS0_4arch9wavefront6targetE0EEEvSG_
	.globl	_ZN7rocprim17ROCPRIM_400000_NS6detail17trampoline_kernelINS0_14default_configENS1_35radix_sort_onesweep_config_selectorImNS0_10empty_typeEEEZZNS1_29radix_sort_onesweep_iterationIS3_Lb0EPKmPmPS5_SB_mNS0_19identity_decomposerENS1_16block_id_wrapperIjLb0EEEEE10hipError_tT1_PNSt15iterator_traitsISG_E10value_typeET2_T3_PNSH_ISM_E10value_typeET4_T5_PSR_SS_PNS1_23onesweep_lookback_stateEbbT6_jjT7_P12ihipStream_tbENKUlT_T0_SG_SL_E_clIS9_SA_SB_SB_EEDaSZ_S10_SG_SL_EUlSZ_E_NS1_11comp_targetILNS1_3genE2ELNS1_11target_archE906ELNS1_3gpuE6ELNS1_3repE0EEENS1_47radix_sort_onesweep_sort_config_static_selectorELNS0_4arch9wavefront6targetE0EEEvSG_
	.p2align	8
	.type	_ZN7rocprim17ROCPRIM_400000_NS6detail17trampoline_kernelINS0_14default_configENS1_35radix_sort_onesweep_config_selectorImNS0_10empty_typeEEEZZNS1_29radix_sort_onesweep_iterationIS3_Lb0EPKmPmPS5_SB_mNS0_19identity_decomposerENS1_16block_id_wrapperIjLb0EEEEE10hipError_tT1_PNSt15iterator_traitsISG_E10value_typeET2_T3_PNSH_ISM_E10value_typeET4_T5_PSR_SS_PNS1_23onesweep_lookback_stateEbbT6_jjT7_P12ihipStream_tbENKUlT_T0_SG_SL_E_clIS9_SA_SB_SB_EEDaSZ_S10_SG_SL_EUlSZ_E_NS1_11comp_targetILNS1_3genE2ELNS1_11target_archE906ELNS1_3gpuE6ELNS1_3repE0EEENS1_47radix_sort_onesweep_sort_config_static_selectorELNS0_4arch9wavefront6targetE0EEEvSG_,@function
_ZN7rocprim17ROCPRIM_400000_NS6detail17trampoline_kernelINS0_14default_configENS1_35radix_sort_onesweep_config_selectorImNS0_10empty_typeEEEZZNS1_29radix_sort_onesweep_iterationIS3_Lb0EPKmPmPS5_SB_mNS0_19identity_decomposerENS1_16block_id_wrapperIjLb0EEEEE10hipError_tT1_PNSt15iterator_traitsISG_E10value_typeET2_T3_PNSH_ISM_E10value_typeET4_T5_PSR_SS_PNS1_23onesweep_lookback_stateEbbT6_jjT7_P12ihipStream_tbENKUlT_T0_SG_SL_E_clIS9_SA_SB_SB_EEDaSZ_S10_SG_SL_EUlSZ_E_NS1_11comp_targetILNS1_3genE2ELNS1_11target_archE906ELNS1_3gpuE6ELNS1_3repE0EEENS1_47radix_sort_onesweep_sort_config_static_selectorELNS0_4arch9wavefront6targetE0EEEvSG_: ; @_ZN7rocprim17ROCPRIM_400000_NS6detail17trampoline_kernelINS0_14default_configENS1_35radix_sort_onesweep_config_selectorImNS0_10empty_typeEEEZZNS1_29radix_sort_onesweep_iterationIS3_Lb0EPKmPmPS5_SB_mNS0_19identity_decomposerENS1_16block_id_wrapperIjLb0EEEEE10hipError_tT1_PNSt15iterator_traitsISG_E10value_typeET2_T3_PNSH_ISM_E10value_typeET4_T5_PSR_SS_PNS1_23onesweep_lookback_stateEbbT6_jjT7_P12ihipStream_tbENKUlT_T0_SG_SL_E_clIS9_SA_SB_SB_EEDaSZ_S10_SG_SL_EUlSZ_E_NS1_11comp_targetILNS1_3genE2ELNS1_11target_archE906ELNS1_3gpuE6ELNS1_3repE0EEENS1_47radix_sort_onesweep_sort_config_static_selectorELNS0_4arch9wavefront6targetE0EEEvSG_
; %bb.0:
	.section	.rodata,"a",@progbits
	.p2align	6, 0x0
	.amdhsa_kernel _ZN7rocprim17ROCPRIM_400000_NS6detail17trampoline_kernelINS0_14default_configENS1_35radix_sort_onesweep_config_selectorImNS0_10empty_typeEEEZZNS1_29radix_sort_onesweep_iterationIS3_Lb0EPKmPmPS5_SB_mNS0_19identity_decomposerENS1_16block_id_wrapperIjLb0EEEEE10hipError_tT1_PNSt15iterator_traitsISG_E10value_typeET2_T3_PNSH_ISM_E10value_typeET4_T5_PSR_SS_PNS1_23onesweep_lookback_stateEbbT6_jjT7_P12ihipStream_tbENKUlT_T0_SG_SL_E_clIS9_SA_SB_SB_EEDaSZ_S10_SG_SL_EUlSZ_E_NS1_11comp_targetILNS1_3genE2ELNS1_11target_archE906ELNS1_3gpuE6ELNS1_3repE0EEENS1_47radix_sort_onesweep_sort_config_static_selectorELNS0_4arch9wavefront6targetE0EEEvSG_
		.amdhsa_group_segment_fixed_size 0
		.amdhsa_private_segment_fixed_size 0
		.amdhsa_kernarg_size 88
		.amdhsa_user_sgpr_count 2
		.amdhsa_user_sgpr_dispatch_ptr 0
		.amdhsa_user_sgpr_queue_ptr 0
		.amdhsa_user_sgpr_kernarg_segment_ptr 1
		.amdhsa_user_sgpr_dispatch_id 0
		.amdhsa_user_sgpr_kernarg_preload_length 0
		.amdhsa_user_sgpr_kernarg_preload_offset 0
		.amdhsa_user_sgpr_private_segment_size 0
		.amdhsa_wavefront_size32 1
		.amdhsa_uses_dynamic_stack 0
		.amdhsa_enable_private_segment 0
		.amdhsa_system_sgpr_workgroup_id_x 1
		.amdhsa_system_sgpr_workgroup_id_y 0
		.amdhsa_system_sgpr_workgroup_id_z 0
		.amdhsa_system_sgpr_workgroup_info 0
		.amdhsa_system_vgpr_workitem_id 0
		.amdhsa_next_free_vgpr 1
		.amdhsa_next_free_sgpr 1
		.amdhsa_named_barrier_count 0
		.amdhsa_reserve_vcc 0
		.amdhsa_float_round_mode_32 0
		.amdhsa_float_round_mode_16_64 0
		.amdhsa_float_denorm_mode_32 3
		.amdhsa_float_denorm_mode_16_64 3
		.amdhsa_fp16_overflow 0
		.amdhsa_memory_ordered 1
		.amdhsa_forward_progress 1
		.amdhsa_inst_pref_size 0
		.amdhsa_round_robin_scheduling 0
		.amdhsa_exception_fp_ieee_invalid_op 0
		.amdhsa_exception_fp_denorm_src 0
		.amdhsa_exception_fp_ieee_div_zero 0
		.amdhsa_exception_fp_ieee_overflow 0
		.amdhsa_exception_fp_ieee_underflow 0
		.amdhsa_exception_fp_ieee_inexact 0
		.amdhsa_exception_int_div_zero 0
	.end_amdhsa_kernel
	.section	.text._ZN7rocprim17ROCPRIM_400000_NS6detail17trampoline_kernelINS0_14default_configENS1_35radix_sort_onesweep_config_selectorImNS0_10empty_typeEEEZZNS1_29radix_sort_onesweep_iterationIS3_Lb0EPKmPmPS5_SB_mNS0_19identity_decomposerENS1_16block_id_wrapperIjLb0EEEEE10hipError_tT1_PNSt15iterator_traitsISG_E10value_typeET2_T3_PNSH_ISM_E10value_typeET4_T5_PSR_SS_PNS1_23onesweep_lookback_stateEbbT6_jjT7_P12ihipStream_tbENKUlT_T0_SG_SL_E_clIS9_SA_SB_SB_EEDaSZ_S10_SG_SL_EUlSZ_E_NS1_11comp_targetILNS1_3genE2ELNS1_11target_archE906ELNS1_3gpuE6ELNS1_3repE0EEENS1_47radix_sort_onesweep_sort_config_static_selectorELNS0_4arch9wavefront6targetE0EEEvSG_,"axG",@progbits,_ZN7rocprim17ROCPRIM_400000_NS6detail17trampoline_kernelINS0_14default_configENS1_35radix_sort_onesweep_config_selectorImNS0_10empty_typeEEEZZNS1_29radix_sort_onesweep_iterationIS3_Lb0EPKmPmPS5_SB_mNS0_19identity_decomposerENS1_16block_id_wrapperIjLb0EEEEE10hipError_tT1_PNSt15iterator_traitsISG_E10value_typeET2_T3_PNSH_ISM_E10value_typeET4_T5_PSR_SS_PNS1_23onesweep_lookback_stateEbbT6_jjT7_P12ihipStream_tbENKUlT_T0_SG_SL_E_clIS9_SA_SB_SB_EEDaSZ_S10_SG_SL_EUlSZ_E_NS1_11comp_targetILNS1_3genE2ELNS1_11target_archE906ELNS1_3gpuE6ELNS1_3repE0EEENS1_47radix_sort_onesweep_sort_config_static_selectorELNS0_4arch9wavefront6targetE0EEEvSG_,comdat
.Lfunc_end3012:
	.size	_ZN7rocprim17ROCPRIM_400000_NS6detail17trampoline_kernelINS0_14default_configENS1_35radix_sort_onesweep_config_selectorImNS0_10empty_typeEEEZZNS1_29radix_sort_onesweep_iterationIS3_Lb0EPKmPmPS5_SB_mNS0_19identity_decomposerENS1_16block_id_wrapperIjLb0EEEEE10hipError_tT1_PNSt15iterator_traitsISG_E10value_typeET2_T3_PNSH_ISM_E10value_typeET4_T5_PSR_SS_PNS1_23onesweep_lookback_stateEbbT6_jjT7_P12ihipStream_tbENKUlT_T0_SG_SL_E_clIS9_SA_SB_SB_EEDaSZ_S10_SG_SL_EUlSZ_E_NS1_11comp_targetILNS1_3genE2ELNS1_11target_archE906ELNS1_3gpuE6ELNS1_3repE0EEENS1_47radix_sort_onesweep_sort_config_static_selectorELNS0_4arch9wavefront6targetE0EEEvSG_, .Lfunc_end3012-_ZN7rocprim17ROCPRIM_400000_NS6detail17trampoline_kernelINS0_14default_configENS1_35radix_sort_onesweep_config_selectorImNS0_10empty_typeEEEZZNS1_29radix_sort_onesweep_iterationIS3_Lb0EPKmPmPS5_SB_mNS0_19identity_decomposerENS1_16block_id_wrapperIjLb0EEEEE10hipError_tT1_PNSt15iterator_traitsISG_E10value_typeET2_T3_PNSH_ISM_E10value_typeET4_T5_PSR_SS_PNS1_23onesweep_lookback_stateEbbT6_jjT7_P12ihipStream_tbENKUlT_T0_SG_SL_E_clIS9_SA_SB_SB_EEDaSZ_S10_SG_SL_EUlSZ_E_NS1_11comp_targetILNS1_3genE2ELNS1_11target_archE906ELNS1_3gpuE6ELNS1_3repE0EEENS1_47radix_sort_onesweep_sort_config_static_selectorELNS0_4arch9wavefront6targetE0EEEvSG_
                                        ; -- End function
	.set _ZN7rocprim17ROCPRIM_400000_NS6detail17trampoline_kernelINS0_14default_configENS1_35radix_sort_onesweep_config_selectorImNS0_10empty_typeEEEZZNS1_29radix_sort_onesweep_iterationIS3_Lb0EPKmPmPS5_SB_mNS0_19identity_decomposerENS1_16block_id_wrapperIjLb0EEEEE10hipError_tT1_PNSt15iterator_traitsISG_E10value_typeET2_T3_PNSH_ISM_E10value_typeET4_T5_PSR_SS_PNS1_23onesweep_lookback_stateEbbT6_jjT7_P12ihipStream_tbENKUlT_T0_SG_SL_E_clIS9_SA_SB_SB_EEDaSZ_S10_SG_SL_EUlSZ_E_NS1_11comp_targetILNS1_3genE2ELNS1_11target_archE906ELNS1_3gpuE6ELNS1_3repE0EEENS1_47radix_sort_onesweep_sort_config_static_selectorELNS0_4arch9wavefront6targetE0EEEvSG_.num_vgpr, 0
	.set _ZN7rocprim17ROCPRIM_400000_NS6detail17trampoline_kernelINS0_14default_configENS1_35radix_sort_onesweep_config_selectorImNS0_10empty_typeEEEZZNS1_29radix_sort_onesweep_iterationIS3_Lb0EPKmPmPS5_SB_mNS0_19identity_decomposerENS1_16block_id_wrapperIjLb0EEEEE10hipError_tT1_PNSt15iterator_traitsISG_E10value_typeET2_T3_PNSH_ISM_E10value_typeET4_T5_PSR_SS_PNS1_23onesweep_lookback_stateEbbT6_jjT7_P12ihipStream_tbENKUlT_T0_SG_SL_E_clIS9_SA_SB_SB_EEDaSZ_S10_SG_SL_EUlSZ_E_NS1_11comp_targetILNS1_3genE2ELNS1_11target_archE906ELNS1_3gpuE6ELNS1_3repE0EEENS1_47radix_sort_onesweep_sort_config_static_selectorELNS0_4arch9wavefront6targetE0EEEvSG_.num_agpr, 0
	.set _ZN7rocprim17ROCPRIM_400000_NS6detail17trampoline_kernelINS0_14default_configENS1_35radix_sort_onesweep_config_selectorImNS0_10empty_typeEEEZZNS1_29radix_sort_onesweep_iterationIS3_Lb0EPKmPmPS5_SB_mNS0_19identity_decomposerENS1_16block_id_wrapperIjLb0EEEEE10hipError_tT1_PNSt15iterator_traitsISG_E10value_typeET2_T3_PNSH_ISM_E10value_typeET4_T5_PSR_SS_PNS1_23onesweep_lookback_stateEbbT6_jjT7_P12ihipStream_tbENKUlT_T0_SG_SL_E_clIS9_SA_SB_SB_EEDaSZ_S10_SG_SL_EUlSZ_E_NS1_11comp_targetILNS1_3genE2ELNS1_11target_archE906ELNS1_3gpuE6ELNS1_3repE0EEENS1_47radix_sort_onesweep_sort_config_static_selectorELNS0_4arch9wavefront6targetE0EEEvSG_.numbered_sgpr, 0
	.set _ZN7rocprim17ROCPRIM_400000_NS6detail17trampoline_kernelINS0_14default_configENS1_35radix_sort_onesweep_config_selectorImNS0_10empty_typeEEEZZNS1_29radix_sort_onesweep_iterationIS3_Lb0EPKmPmPS5_SB_mNS0_19identity_decomposerENS1_16block_id_wrapperIjLb0EEEEE10hipError_tT1_PNSt15iterator_traitsISG_E10value_typeET2_T3_PNSH_ISM_E10value_typeET4_T5_PSR_SS_PNS1_23onesweep_lookback_stateEbbT6_jjT7_P12ihipStream_tbENKUlT_T0_SG_SL_E_clIS9_SA_SB_SB_EEDaSZ_S10_SG_SL_EUlSZ_E_NS1_11comp_targetILNS1_3genE2ELNS1_11target_archE906ELNS1_3gpuE6ELNS1_3repE0EEENS1_47radix_sort_onesweep_sort_config_static_selectorELNS0_4arch9wavefront6targetE0EEEvSG_.num_named_barrier, 0
	.set _ZN7rocprim17ROCPRIM_400000_NS6detail17trampoline_kernelINS0_14default_configENS1_35radix_sort_onesweep_config_selectorImNS0_10empty_typeEEEZZNS1_29radix_sort_onesweep_iterationIS3_Lb0EPKmPmPS5_SB_mNS0_19identity_decomposerENS1_16block_id_wrapperIjLb0EEEEE10hipError_tT1_PNSt15iterator_traitsISG_E10value_typeET2_T3_PNSH_ISM_E10value_typeET4_T5_PSR_SS_PNS1_23onesweep_lookback_stateEbbT6_jjT7_P12ihipStream_tbENKUlT_T0_SG_SL_E_clIS9_SA_SB_SB_EEDaSZ_S10_SG_SL_EUlSZ_E_NS1_11comp_targetILNS1_3genE2ELNS1_11target_archE906ELNS1_3gpuE6ELNS1_3repE0EEENS1_47radix_sort_onesweep_sort_config_static_selectorELNS0_4arch9wavefront6targetE0EEEvSG_.private_seg_size, 0
	.set _ZN7rocprim17ROCPRIM_400000_NS6detail17trampoline_kernelINS0_14default_configENS1_35radix_sort_onesweep_config_selectorImNS0_10empty_typeEEEZZNS1_29radix_sort_onesweep_iterationIS3_Lb0EPKmPmPS5_SB_mNS0_19identity_decomposerENS1_16block_id_wrapperIjLb0EEEEE10hipError_tT1_PNSt15iterator_traitsISG_E10value_typeET2_T3_PNSH_ISM_E10value_typeET4_T5_PSR_SS_PNS1_23onesweep_lookback_stateEbbT6_jjT7_P12ihipStream_tbENKUlT_T0_SG_SL_E_clIS9_SA_SB_SB_EEDaSZ_S10_SG_SL_EUlSZ_E_NS1_11comp_targetILNS1_3genE2ELNS1_11target_archE906ELNS1_3gpuE6ELNS1_3repE0EEENS1_47radix_sort_onesweep_sort_config_static_selectorELNS0_4arch9wavefront6targetE0EEEvSG_.uses_vcc, 0
	.set _ZN7rocprim17ROCPRIM_400000_NS6detail17trampoline_kernelINS0_14default_configENS1_35radix_sort_onesweep_config_selectorImNS0_10empty_typeEEEZZNS1_29radix_sort_onesweep_iterationIS3_Lb0EPKmPmPS5_SB_mNS0_19identity_decomposerENS1_16block_id_wrapperIjLb0EEEEE10hipError_tT1_PNSt15iterator_traitsISG_E10value_typeET2_T3_PNSH_ISM_E10value_typeET4_T5_PSR_SS_PNS1_23onesweep_lookback_stateEbbT6_jjT7_P12ihipStream_tbENKUlT_T0_SG_SL_E_clIS9_SA_SB_SB_EEDaSZ_S10_SG_SL_EUlSZ_E_NS1_11comp_targetILNS1_3genE2ELNS1_11target_archE906ELNS1_3gpuE6ELNS1_3repE0EEENS1_47radix_sort_onesweep_sort_config_static_selectorELNS0_4arch9wavefront6targetE0EEEvSG_.uses_flat_scratch, 0
	.set _ZN7rocprim17ROCPRIM_400000_NS6detail17trampoline_kernelINS0_14default_configENS1_35radix_sort_onesweep_config_selectorImNS0_10empty_typeEEEZZNS1_29radix_sort_onesweep_iterationIS3_Lb0EPKmPmPS5_SB_mNS0_19identity_decomposerENS1_16block_id_wrapperIjLb0EEEEE10hipError_tT1_PNSt15iterator_traitsISG_E10value_typeET2_T3_PNSH_ISM_E10value_typeET4_T5_PSR_SS_PNS1_23onesweep_lookback_stateEbbT6_jjT7_P12ihipStream_tbENKUlT_T0_SG_SL_E_clIS9_SA_SB_SB_EEDaSZ_S10_SG_SL_EUlSZ_E_NS1_11comp_targetILNS1_3genE2ELNS1_11target_archE906ELNS1_3gpuE6ELNS1_3repE0EEENS1_47radix_sort_onesweep_sort_config_static_selectorELNS0_4arch9wavefront6targetE0EEEvSG_.has_dyn_sized_stack, 0
	.set _ZN7rocprim17ROCPRIM_400000_NS6detail17trampoline_kernelINS0_14default_configENS1_35radix_sort_onesweep_config_selectorImNS0_10empty_typeEEEZZNS1_29radix_sort_onesweep_iterationIS3_Lb0EPKmPmPS5_SB_mNS0_19identity_decomposerENS1_16block_id_wrapperIjLb0EEEEE10hipError_tT1_PNSt15iterator_traitsISG_E10value_typeET2_T3_PNSH_ISM_E10value_typeET4_T5_PSR_SS_PNS1_23onesweep_lookback_stateEbbT6_jjT7_P12ihipStream_tbENKUlT_T0_SG_SL_E_clIS9_SA_SB_SB_EEDaSZ_S10_SG_SL_EUlSZ_E_NS1_11comp_targetILNS1_3genE2ELNS1_11target_archE906ELNS1_3gpuE6ELNS1_3repE0EEENS1_47radix_sort_onesweep_sort_config_static_selectorELNS0_4arch9wavefront6targetE0EEEvSG_.has_recursion, 0
	.set _ZN7rocprim17ROCPRIM_400000_NS6detail17trampoline_kernelINS0_14default_configENS1_35radix_sort_onesweep_config_selectorImNS0_10empty_typeEEEZZNS1_29radix_sort_onesweep_iterationIS3_Lb0EPKmPmPS5_SB_mNS0_19identity_decomposerENS1_16block_id_wrapperIjLb0EEEEE10hipError_tT1_PNSt15iterator_traitsISG_E10value_typeET2_T3_PNSH_ISM_E10value_typeET4_T5_PSR_SS_PNS1_23onesweep_lookback_stateEbbT6_jjT7_P12ihipStream_tbENKUlT_T0_SG_SL_E_clIS9_SA_SB_SB_EEDaSZ_S10_SG_SL_EUlSZ_E_NS1_11comp_targetILNS1_3genE2ELNS1_11target_archE906ELNS1_3gpuE6ELNS1_3repE0EEENS1_47radix_sort_onesweep_sort_config_static_selectorELNS0_4arch9wavefront6targetE0EEEvSG_.has_indirect_call, 0
	.section	.AMDGPU.csdata,"",@progbits
; Kernel info:
; codeLenInByte = 0
; TotalNumSgprs: 0
; NumVgprs: 0
; ScratchSize: 0
; MemoryBound: 0
; FloatMode: 240
; IeeeMode: 1
; LDSByteSize: 0 bytes/workgroup (compile time only)
; SGPRBlocks: 0
; VGPRBlocks: 0
; NumSGPRsForWavesPerEU: 1
; NumVGPRsForWavesPerEU: 1
; NamedBarCnt: 0
; Occupancy: 16
; WaveLimiterHint : 0
; COMPUTE_PGM_RSRC2:SCRATCH_EN: 0
; COMPUTE_PGM_RSRC2:USER_SGPR: 2
; COMPUTE_PGM_RSRC2:TRAP_HANDLER: 0
; COMPUTE_PGM_RSRC2:TGID_X_EN: 1
; COMPUTE_PGM_RSRC2:TGID_Y_EN: 0
; COMPUTE_PGM_RSRC2:TGID_Z_EN: 0
; COMPUTE_PGM_RSRC2:TIDIG_COMP_CNT: 0
	.section	.text._ZN7rocprim17ROCPRIM_400000_NS6detail17trampoline_kernelINS0_14default_configENS1_35radix_sort_onesweep_config_selectorImNS0_10empty_typeEEEZZNS1_29radix_sort_onesweep_iterationIS3_Lb0EPKmPmPS5_SB_mNS0_19identity_decomposerENS1_16block_id_wrapperIjLb0EEEEE10hipError_tT1_PNSt15iterator_traitsISG_E10value_typeET2_T3_PNSH_ISM_E10value_typeET4_T5_PSR_SS_PNS1_23onesweep_lookback_stateEbbT6_jjT7_P12ihipStream_tbENKUlT_T0_SG_SL_E_clIS9_SA_SB_SB_EEDaSZ_S10_SG_SL_EUlSZ_E_NS1_11comp_targetILNS1_3genE4ELNS1_11target_archE910ELNS1_3gpuE8ELNS1_3repE0EEENS1_47radix_sort_onesweep_sort_config_static_selectorELNS0_4arch9wavefront6targetE0EEEvSG_,"axG",@progbits,_ZN7rocprim17ROCPRIM_400000_NS6detail17trampoline_kernelINS0_14default_configENS1_35radix_sort_onesweep_config_selectorImNS0_10empty_typeEEEZZNS1_29radix_sort_onesweep_iterationIS3_Lb0EPKmPmPS5_SB_mNS0_19identity_decomposerENS1_16block_id_wrapperIjLb0EEEEE10hipError_tT1_PNSt15iterator_traitsISG_E10value_typeET2_T3_PNSH_ISM_E10value_typeET4_T5_PSR_SS_PNS1_23onesweep_lookback_stateEbbT6_jjT7_P12ihipStream_tbENKUlT_T0_SG_SL_E_clIS9_SA_SB_SB_EEDaSZ_S10_SG_SL_EUlSZ_E_NS1_11comp_targetILNS1_3genE4ELNS1_11target_archE910ELNS1_3gpuE8ELNS1_3repE0EEENS1_47radix_sort_onesweep_sort_config_static_selectorELNS0_4arch9wavefront6targetE0EEEvSG_,comdat
	.protected	_ZN7rocprim17ROCPRIM_400000_NS6detail17trampoline_kernelINS0_14default_configENS1_35radix_sort_onesweep_config_selectorImNS0_10empty_typeEEEZZNS1_29radix_sort_onesweep_iterationIS3_Lb0EPKmPmPS5_SB_mNS0_19identity_decomposerENS1_16block_id_wrapperIjLb0EEEEE10hipError_tT1_PNSt15iterator_traitsISG_E10value_typeET2_T3_PNSH_ISM_E10value_typeET4_T5_PSR_SS_PNS1_23onesweep_lookback_stateEbbT6_jjT7_P12ihipStream_tbENKUlT_T0_SG_SL_E_clIS9_SA_SB_SB_EEDaSZ_S10_SG_SL_EUlSZ_E_NS1_11comp_targetILNS1_3genE4ELNS1_11target_archE910ELNS1_3gpuE8ELNS1_3repE0EEENS1_47radix_sort_onesweep_sort_config_static_selectorELNS0_4arch9wavefront6targetE0EEEvSG_ ; -- Begin function _ZN7rocprim17ROCPRIM_400000_NS6detail17trampoline_kernelINS0_14default_configENS1_35radix_sort_onesweep_config_selectorImNS0_10empty_typeEEEZZNS1_29radix_sort_onesweep_iterationIS3_Lb0EPKmPmPS5_SB_mNS0_19identity_decomposerENS1_16block_id_wrapperIjLb0EEEEE10hipError_tT1_PNSt15iterator_traitsISG_E10value_typeET2_T3_PNSH_ISM_E10value_typeET4_T5_PSR_SS_PNS1_23onesweep_lookback_stateEbbT6_jjT7_P12ihipStream_tbENKUlT_T0_SG_SL_E_clIS9_SA_SB_SB_EEDaSZ_S10_SG_SL_EUlSZ_E_NS1_11comp_targetILNS1_3genE4ELNS1_11target_archE910ELNS1_3gpuE8ELNS1_3repE0EEENS1_47radix_sort_onesweep_sort_config_static_selectorELNS0_4arch9wavefront6targetE0EEEvSG_
	.globl	_ZN7rocprim17ROCPRIM_400000_NS6detail17trampoline_kernelINS0_14default_configENS1_35radix_sort_onesweep_config_selectorImNS0_10empty_typeEEEZZNS1_29radix_sort_onesweep_iterationIS3_Lb0EPKmPmPS5_SB_mNS0_19identity_decomposerENS1_16block_id_wrapperIjLb0EEEEE10hipError_tT1_PNSt15iterator_traitsISG_E10value_typeET2_T3_PNSH_ISM_E10value_typeET4_T5_PSR_SS_PNS1_23onesweep_lookback_stateEbbT6_jjT7_P12ihipStream_tbENKUlT_T0_SG_SL_E_clIS9_SA_SB_SB_EEDaSZ_S10_SG_SL_EUlSZ_E_NS1_11comp_targetILNS1_3genE4ELNS1_11target_archE910ELNS1_3gpuE8ELNS1_3repE0EEENS1_47radix_sort_onesweep_sort_config_static_selectorELNS0_4arch9wavefront6targetE0EEEvSG_
	.p2align	8
	.type	_ZN7rocprim17ROCPRIM_400000_NS6detail17trampoline_kernelINS0_14default_configENS1_35radix_sort_onesweep_config_selectorImNS0_10empty_typeEEEZZNS1_29radix_sort_onesweep_iterationIS3_Lb0EPKmPmPS5_SB_mNS0_19identity_decomposerENS1_16block_id_wrapperIjLb0EEEEE10hipError_tT1_PNSt15iterator_traitsISG_E10value_typeET2_T3_PNSH_ISM_E10value_typeET4_T5_PSR_SS_PNS1_23onesweep_lookback_stateEbbT6_jjT7_P12ihipStream_tbENKUlT_T0_SG_SL_E_clIS9_SA_SB_SB_EEDaSZ_S10_SG_SL_EUlSZ_E_NS1_11comp_targetILNS1_3genE4ELNS1_11target_archE910ELNS1_3gpuE8ELNS1_3repE0EEENS1_47radix_sort_onesweep_sort_config_static_selectorELNS0_4arch9wavefront6targetE0EEEvSG_,@function
_ZN7rocprim17ROCPRIM_400000_NS6detail17trampoline_kernelINS0_14default_configENS1_35radix_sort_onesweep_config_selectorImNS0_10empty_typeEEEZZNS1_29radix_sort_onesweep_iterationIS3_Lb0EPKmPmPS5_SB_mNS0_19identity_decomposerENS1_16block_id_wrapperIjLb0EEEEE10hipError_tT1_PNSt15iterator_traitsISG_E10value_typeET2_T3_PNSH_ISM_E10value_typeET4_T5_PSR_SS_PNS1_23onesweep_lookback_stateEbbT6_jjT7_P12ihipStream_tbENKUlT_T0_SG_SL_E_clIS9_SA_SB_SB_EEDaSZ_S10_SG_SL_EUlSZ_E_NS1_11comp_targetILNS1_3genE4ELNS1_11target_archE910ELNS1_3gpuE8ELNS1_3repE0EEENS1_47radix_sort_onesweep_sort_config_static_selectorELNS0_4arch9wavefront6targetE0EEEvSG_: ; @_ZN7rocprim17ROCPRIM_400000_NS6detail17trampoline_kernelINS0_14default_configENS1_35radix_sort_onesweep_config_selectorImNS0_10empty_typeEEEZZNS1_29radix_sort_onesweep_iterationIS3_Lb0EPKmPmPS5_SB_mNS0_19identity_decomposerENS1_16block_id_wrapperIjLb0EEEEE10hipError_tT1_PNSt15iterator_traitsISG_E10value_typeET2_T3_PNSH_ISM_E10value_typeET4_T5_PSR_SS_PNS1_23onesweep_lookback_stateEbbT6_jjT7_P12ihipStream_tbENKUlT_T0_SG_SL_E_clIS9_SA_SB_SB_EEDaSZ_S10_SG_SL_EUlSZ_E_NS1_11comp_targetILNS1_3genE4ELNS1_11target_archE910ELNS1_3gpuE8ELNS1_3repE0EEENS1_47radix_sort_onesweep_sort_config_static_selectorELNS0_4arch9wavefront6targetE0EEEvSG_
; %bb.0:
	.section	.rodata,"a",@progbits
	.p2align	6, 0x0
	.amdhsa_kernel _ZN7rocprim17ROCPRIM_400000_NS6detail17trampoline_kernelINS0_14default_configENS1_35radix_sort_onesweep_config_selectorImNS0_10empty_typeEEEZZNS1_29radix_sort_onesweep_iterationIS3_Lb0EPKmPmPS5_SB_mNS0_19identity_decomposerENS1_16block_id_wrapperIjLb0EEEEE10hipError_tT1_PNSt15iterator_traitsISG_E10value_typeET2_T3_PNSH_ISM_E10value_typeET4_T5_PSR_SS_PNS1_23onesweep_lookback_stateEbbT6_jjT7_P12ihipStream_tbENKUlT_T0_SG_SL_E_clIS9_SA_SB_SB_EEDaSZ_S10_SG_SL_EUlSZ_E_NS1_11comp_targetILNS1_3genE4ELNS1_11target_archE910ELNS1_3gpuE8ELNS1_3repE0EEENS1_47radix_sort_onesweep_sort_config_static_selectorELNS0_4arch9wavefront6targetE0EEEvSG_
		.amdhsa_group_segment_fixed_size 0
		.amdhsa_private_segment_fixed_size 0
		.amdhsa_kernarg_size 88
		.amdhsa_user_sgpr_count 2
		.amdhsa_user_sgpr_dispatch_ptr 0
		.amdhsa_user_sgpr_queue_ptr 0
		.amdhsa_user_sgpr_kernarg_segment_ptr 1
		.amdhsa_user_sgpr_dispatch_id 0
		.amdhsa_user_sgpr_kernarg_preload_length 0
		.amdhsa_user_sgpr_kernarg_preload_offset 0
		.amdhsa_user_sgpr_private_segment_size 0
		.amdhsa_wavefront_size32 1
		.amdhsa_uses_dynamic_stack 0
		.amdhsa_enable_private_segment 0
		.amdhsa_system_sgpr_workgroup_id_x 1
		.amdhsa_system_sgpr_workgroup_id_y 0
		.amdhsa_system_sgpr_workgroup_id_z 0
		.amdhsa_system_sgpr_workgroup_info 0
		.amdhsa_system_vgpr_workitem_id 0
		.amdhsa_next_free_vgpr 1
		.amdhsa_next_free_sgpr 1
		.amdhsa_named_barrier_count 0
		.amdhsa_reserve_vcc 0
		.amdhsa_float_round_mode_32 0
		.amdhsa_float_round_mode_16_64 0
		.amdhsa_float_denorm_mode_32 3
		.amdhsa_float_denorm_mode_16_64 3
		.amdhsa_fp16_overflow 0
		.amdhsa_memory_ordered 1
		.amdhsa_forward_progress 1
		.amdhsa_inst_pref_size 0
		.amdhsa_round_robin_scheduling 0
		.amdhsa_exception_fp_ieee_invalid_op 0
		.amdhsa_exception_fp_denorm_src 0
		.amdhsa_exception_fp_ieee_div_zero 0
		.amdhsa_exception_fp_ieee_overflow 0
		.amdhsa_exception_fp_ieee_underflow 0
		.amdhsa_exception_fp_ieee_inexact 0
		.amdhsa_exception_int_div_zero 0
	.end_amdhsa_kernel
	.section	.text._ZN7rocprim17ROCPRIM_400000_NS6detail17trampoline_kernelINS0_14default_configENS1_35radix_sort_onesweep_config_selectorImNS0_10empty_typeEEEZZNS1_29radix_sort_onesweep_iterationIS3_Lb0EPKmPmPS5_SB_mNS0_19identity_decomposerENS1_16block_id_wrapperIjLb0EEEEE10hipError_tT1_PNSt15iterator_traitsISG_E10value_typeET2_T3_PNSH_ISM_E10value_typeET4_T5_PSR_SS_PNS1_23onesweep_lookback_stateEbbT6_jjT7_P12ihipStream_tbENKUlT_T0_SG_SL_E_clIS9_SA_SB_SB_EEDaSZ_S10_SG_SL_EUlSZ_E_NS1_11comp_targetILNS1_3genE4ELNS1_11target_archE910ELNS1_3gpuE8ELNS1_3repE0EEENS1_47radix_sort_onesweep_sort_config_static_selectorELNS0_4arch9wavefront6targetE0EEEvSG_,"axG",@progbits,_ZN7rocprim17ROCPRIM_400000_NS6detail17trampoline_kernelINS0_14default_configENS1_35radix_sort_onesweep_config_selectorImNS0_10empty_typeEEEZZNS1_29radix_sort_onesweep_iterationIS3_Lb0EPKmPmPS5_SB_mNS0_19identity_decomposerENS1_16block_id_wrapperIjLb0EEEEE10hipError_tT1_PNSt15iterator_traitsISG_E10value_typeET2_T3_PNSH_ISM_E10value_typeET4_T5_PSR_SS_PNS1_23onesweep_lookback_stateEbbT6_jjT7_P12ihipStream_tbENKUlT_T0_SG_SL_E_clIS9_SA_SB_SB_EEDaSZ_S10_SG_SL_EUlSZ_E_NS1_11comp_targetILNS1_3genE4ELNS1_11target_archE910ELNS1_3gpuE8ELNS1_3repE0EEENS1_47radix_sort_onesweep_sort_config_static_selectorELNS0_4arch9wavefront6targetE0EEEvSG_,comdat
.Lfunc_end3013:
	.size	_ZN7rocprim17ROCPRIM_400000_NS6detail17trampoline_kernelINS0_14default_configENS1_35radix_sort_onesweep_config_selectorImNS0_10empty_typeEEEZZNS1_29radix_sort_onesweep_iterationIS3_Lb0EPKmPmPS5_SB_mNS0_19identity_decomposerENS1_16block_id_wrapperIjLb0EEEEE10hipError_tT1_PNSt15iterator_traitsISG_E10value_typeET2_T3_PNSH_ISM_E10value_typeET4_T5_PSR_SS_PNS1_23onesweep_lookback_stateEbbT6_jjT7_P12ihipStream_tbENKUlT_T0_SG_SL_E_clIS9_SA_SB_SB_EEDaSZ_S10_SG_SL_EUlSZ_E_NS1_11comp_targetILNS1_3genE4ELNS1_11target_archE910ELNS1_3gpuE8ELNS1_3repE0EEENS1_47radix_sort_onesweep_sort_config_static_selectorELNS0_4arch9wavefront6targetE0EEEvSG_, .Lfunc_end3013-_ZN7rocprim17ROCPRIM_400000_NS6detail17trampoline_kernelINS0_14default_configENS1_35radix_sort_onesweep_config_selectorImNS0_10empty_typeEEEZZNS1_29radix_sort_onesweep_iterationIS3_Lb0EPKmPmPS5_SB_mNS0_19identity_decomposerENS1_16block_id_wrapperIjLb0EEEEE10hipError_tT1_PNSt15iterator_traitsISG_E10value_typeET2_T3_PNSH_ISM_E10value_typeET4_T5_PSR_SS_PNS1_23onesweep_lookback_stateEbbT6_jjT7_P12ihipStream_tbENKUlT_T0_SG_SL_E_clIS9_SA_SB_SB_EEDaSZ_S10_SG_SL_EUlSZ_E_NS1_11comp_targetILNS1_3genE4ELNS1_11target_archE910ELNS1_3gpuE8ELNS1_3repE0EEENS1_47radix_sort_onesweep_sort_config_static_selectorELNS0_4arch9wavefront6targetE0EEEvSG_
                                        ; -- End function
	.set _ZN7rocprim17ROCPRIM_400000_NS6detail17trampoline_kernelINS0_14default_configENS1_35radix_sort_onesweep_config_selectorImNS0_10empty_typeEEEZZNS1_29radix_sort_onesweep_iterationIS3_Lb0EPKmPmPS5_SB_mNS0_19identity_decomposerENS1_16block_id_wrapperIjLb0EEEEE10hipError_tT1_PNSt15iterator_traitsISG_E10value_typeET2_T3_PNSH_ISM_E10value_typeET4_T5_PSR_SS_PNS1_23onesweep_lookback_stateEbbT6_jjT7_P12ihipStream_tbENKUlT_T0_SG_SL_E_clIS9_SA_SB_SB_EEDaSZ_S10_SG_SL_EUlSZ_E_NS1_11comp_targetILNS1_3genE4ELNS1_11target_archE910ELNS1_3gpuE8ELNS1_3repE0EEENS1_47radix_sort_onesweep_sort_config_static_selectorELNS0_4arch9wavefront6targetE0EEEvSG_.num_vgpr, 0
	.set _ZN7rocprim17ROCPRIM_400000_NS6detail17trampoline_kernelINS0_14default_configENS1_35radix_sort_onesweep_config_selectorImNS0_10empty_typeEEEZZNS1_29radix_sort_onesweep_iterationIS3_Lb0EPKmPmPS5_SB_mNS0_19identity_decomposerENS1_16block_id_wrapperIjLb0EEEEE10hipError_tT1_PNSt15iterator_traitsISG_E10value_typeET2_T3_PNSH_ISM_E10value_typeET4_T5_PSR_SS_PNS1_23onesweep_lookback_stateEbbT6_jjT7_P12ihipStream_tbENKUlT_T0_SG_SL_E_clIS9_SA_SB_SB_EEDaSZ_S10_SG_SL_EUlSZ_E_NS1_11comp_targetILNS1_3genE4ELNS1_11target_archE910ELNS1_3gpuE8ELNS1_3repE0EEENS1_47radix_sort_onesweep_sort_config_static_selectorELNS0_4arch9wavefront6targetE0EEEvSG_.num_agpr, 0
	.set _ZN7rocprim17ROCPRIM_400000_NS6detail17trampoline_kernelINS0_14default_configENS1_35radix_sort_onesweep_config_selectorImNS0_10empty_typeEEEZZNS1_29radix_sort_onesweep_iterationIS3_Lb0EPKmPmPS5_SB_mNS0_19identity_decomposerENS1_16block_id_wrapperIjLb0EEEEE10hipError_tT1_PNSt15iterator_traitsISG_E10value_typeET2_T3_PNSH_ISM_E10value_typeET4_T5_PSR_SS_PNS1_23onesweep_lookback_stateEbbT6_jjT7_P12ihipStream_tbENKUlT_T0_SG_SL_E_clIS9_SA_SB_SB_EEDaSZ_S10_SG_SL_EUlSZ_E_NS1_11comp_targetILNS1_3genE4ELNS1_11target_archE910ELNS1_3gpuE8ELNS1_3repE0EEENS1_47radix_sort_onesweep_sort_config_static_selectorELNS0_4arch9wavefront6targetE0EEEvSG_.numbered_sgpr, 0
	.set _ZN7rocprim17ROCPRIM_400000_NS6detail17trampoline_kernelINS0_14default_configENS1_35radix_sort_onesweep_config_selectorImNS0_10empty_typeEEEZZNS1_29radix_sort_onesweep_iterationIS3_Lb0EPKmPmPS5_SB_mNS0_19identity_decomposerENS1_16block_id_wrapperIjLb0EEEEE10hipError_tT1_PNSt15iterator_traitsISG_E10value_typeET2_T3_PNSH_ISM_E10value_typeET4_T5_PSR_SS_PNS1_23onesweep_lookback_stateEbbT6_jjT7_P12ihipStream_tbENKUlT_T0_SG_SL_E_clIS9_SA_SB_SB_EEDaSZ_S10_SG_SL_EUlSZ_E_NS1_11comp_targetILNS1_3genE4ELNS1_11target_archE910ELNS1_3gpuE8ELNS1_3repE0EEENS1_47radix_sort_onesweep_sort_config_static_selectorELNS0_4arch9wavefront6targetE0EEEvSG_.num_named_barrier, 0
	.set _ZN7rocprim17ROCPRIM_400000_NS6detail17trampoline_kernelINS0_14default_configENS1_35radix_sort_onesweep_config_selectorImNS0_10empty_typeEEEZZNS1_29radix_sort_onesweep_iterationIS3_Lb0EPKmPmPS5_SB_mNS0_19identity_decomposerENS1_16block_id_wrapperIjLb0EEEEE10hipError_tT1_PNSt15iterator_traitsISG_E10value_typeET2_T3_PNSH_ISM_E10value_typeET4_T5_PSR_SS_PNS1_23onesweep_lookback_stateEbbT6_jjT7_P12ihipStream_tbENKUlT_T0_SG_SL_E_clIS9_SA_SB_SB_EEDaSZ_S10_SG_SL_EUlSZ_E_NS1_11comp_targetILNS1_3genE4ELNS1_11target_archE910ELNS1_3gpuE8ELNS1_3repE0EEENS1_47radix_sort_onesweep_sort_config_static_selectorELNS0_4arch9wavefront6targetE0EEEvSG_.private_seg_size, 0
	.set _ZN7rocprim17ROCPRIM_400000_NS6detail17trampoline_kernelINS0_14default_configENS1_35radix_sort_onesweep_config_selectorImNS0_10empty_typeEEEZZNS1_29radix_sort_onesweep_iterationIS3_Lb0EPKmPmPS5_SB_mNS0_19identity_decomposerENS1_16block_id_wrapperIjLb0EEEEE10hipError_tT1_PNSt15iterator_traitsISG_E10value_typeET2_T3_PNSH_ISM_E10value_typeET4_T5_PSR_SS_PNS1_23onesweep_lookback_stateEbbT6_jjT7_P12ihipStream_tbENKUlT_T0_SG_SL_E_clIS9_SA_SB_SB_EEDaSZ_S10_SG_SL_EUlSZ_E_NS1_11comp_targetILNS1_3genE4ELNS1_11target_archE910ELNS1_3gpuE8ELNS1_3repE0EEENS1_47radix_sort_onesweep_sort_config_static_selectorELNS0_4arch9wavefront6targetE0EEEvSG_.uses_vcc, 0
	.set _ZN7rocprim17ROCPRIM_400000_NS6detail17trampoline_kernelINS0_14default_configENS1_35radix_sort_onesweep_config_selectorImNS0_10empty_typeEEEZZNS1_29radix_sort_onesweep_iterationIS3_Lb0EPKmPmPS5_SB_mNS0_19identity_decomposerENS1_16block_id_wrapperIjLb0EEEEE10hipError_tT1_PNSt15iterator_traitsISG_E10value_typeET2_T3_PNSH_ISM_E10value_typeET4_T5_PSR_SS_PNS1_23onesweep_lookback_stateEbbT6_jjT7_P12ihipStream_tbENKUlT_T0_SG_SL_E_clIS9_SA_SB_SB_EEDaSZ_S10_SG_SL_EUlSZ_E_NS1_11comp_targetILNS1_3genE4ELNS1_11target_archE910ELNS1_3gpuE8ELNS1_3repE0EEENS1_47radix_sort_onesweep_sort_config_static_selectorELNS0_4arch9wavefront6targetE0EEEvSG_.uses_flat_scratch, 0
	.set _ZN7rocprim17ROCPRIM_400000_NS6detail17trampoline_kernelINS0_14default_configENS1_35radix_sort_onesweep_config_selectorImNS0_10empty_typeEEEZZNS1_29radix_sort_onesweep_iterationIS3_Lb0EPKmPmPS5_SB_mNS0_19identity_decomposerENS1_16block_id_wrapperIjLb0EEEEE10hipError_tT1_PNSt15iterator_traitsISG_E10value_typeET2_T3_PNSH_ISM_E10value_typeET4_T5_PSR_SS_PNS1_23onesweep_lookback_stateEbbT6_jjT7_P12ihipStream_tbENKUlT_T0_SG_SL_E_clIS9_SA_SB_SB_EEDaSZ_S10_SG_SL_EUlSZ_E_NS1_11comp_targetILNS1_3genE4ELNS1_11target_archE910ELNS1_3gpuE8ELNS1_3repE0EEENS1_47radix_sort_onesweep_sort_config_static_selectorELNS0_4arch9wavefront6targetE0EEEvSG_.has_dyn_sized_stack, 0
	.set _ZN7rocprim17ROCPRIM_400000_NS6detail17trampoline_kernelINS0_14default_configENS1_35radix_sort_onesweep_config_selectorImNS0_10empty_typeEEEZZNS1_29radix_sort_onesweep_iterationIS3_Lb0EPKmPmPS5_SB_mNS0_19identity_decomposerENS1_16block_id_wrapperIjLb0EEEEE10hipError_tT1_PNSt15iterator_traitsISG_E10value_typeET2_T3_PNSH_ISM_E10value_typeET4_T5_PSR_SS_PNS1_23onesweep_lookback_stateEbbT6_jjT7_P12ihipStream_tbENKUlT_T0_SG_SL_E_clIS9_SA_SB_SB_EEDaSZ_S10_SG_SL_EUlSZ_E_NS1_11comp_targetILNS1_3genE4ELNS1_11target_archE910ELNS1_3gpuE8ELNS1_3repE0EEENS1_47radix_sort_onesweep_sort_config_static_selectorELNS0_4arch9wavefront6targetE0EEEvSG_.has_recursion, 0
	.set _ZN7rocprim17ROCPRIM_400000_NS6detail17trampoline_kernelINS0_14default_configENS1_35radix_sort_onesweep_config_selectorImNS0_10empty_typeEEEZZNS1_29radix_sort_onesweep_iterationIS3_Lb0EPKmPmPS5_SB_mNS0_19identity_decomposerENS1_16block_id_wrapperIjLb0EEEEE10hipError_tT1_PNSt15iterator_traitsISG_E10value_typeET2_T3_PNSH_ISM_E10value_typeET4_T5_PSR_SS_PNS1_23onesweep_lookback_stateEbbT6_jjT7_P12ihipStream_tbENKUlT_T0_SG_SL_E_clIS9_SA_SB_SB_EEDaSZ_S10_SG_SL_EUlSZ_E_NS1_11comp_targetILNS1_3genE4ELNS1_11target_archE910ELNS1_3gpuE8ELNS1_3repE0EEENS1_47radix_sort_onesweep_sort_config_static_selectorELNS0_4arch9wavefront6targetE0EEEvSG_.has_indirect_call, 0
	.section	.AMDGPU.csdata,"",@progbits
; Kernel info:
; codeLenInByte = 0
; TotalNumSgprs: 0
; NumVgprs: 0
; ScratchSize: 0
; MemoryBound: 0
; FloatMode: 240
; IeeeMode: 1
; LDSByteSize: 0 bytes/workgroup (compile time only)
; SGPRBlocks: 0
; VGPRBlocks: 0
; NumSGPRsForWavesPerEU: 1
; NumVGPRsForWavesPerEU: 1
; NamedBarCnt: 0
; Occupancy: 16
; WaveLimiterHint : 0
; COMPUTE_PGM_RSRC2:SCRATCH_EN: 0
; COMPUTE_PGM_RSRC2:USER_SGPR: 2
; COMPUTE_PGM_RSRC2:TRAP_HANDLER: 0
; COMPUTE_PGM_RSRC2:TGID_X_EN: 1
; COMPUTE_PGM_RSRC2:TGID_Y_EN: 0
; COMPUTE_PGM_RSRC2:TGID_Z_EN: 0
; COMPUTE_PGM_RSRC2:TIDIG_COMP_CNT: 0
	.section	.text._ZN7rocprim17ROCPRIM_400000_NS6detail17trampoline_kernelINS0_14default_configENS1_35radix_sort_onesweep_config_selectorImNS0_10empty_typeEEEZZNS1_29radix_sort_onesweep_iterationIS3_Lb0EPKmPmPS5_SB_mNS0_19identity_decomposerENS1_16block_id_wrapperIjLb0EEEEE10hipError_tT1_PNSt15iterator_traitsISG_E10value_typeET2_T3_PNSH_ISM_E10value_typeET4_T5_PSR_SS_PNS1_23onesweep_lookback_stateEbbT6_jjT7_P12ihipStream_tbENKUlT_T0_SG_SL_E_clIS9_SA_SB_SB_EEDaSZ_S10_SG_SL_EUlSZ_E_NS1_11comp_targetILNS1_3genE3ELNS1_11target_archE908ELNS1_3gpuE7ELNS1_3repE0EEENS1_47radix_sort_onesweep_sort_config_static_selectorELNS0_4arch9wavefront6targetE0EEEvSG_,"axG",@progbits,_ZN7rocprim17ROCPRIM_400000_NS6detail17trampoline_kernelINS0_14default_configENS1_35radix_sort_onesweep_config_selectorImNS0_10empty_typeEEEZZNS1_29radix_sort_onesweep_iterationIS3_Lb0EPKmPmPS5_SB_mNS0_19identity_decomposerENS1_16block_id_wrapperIjLb0EEEEE10hipError_tT1_PNSt15iterator_traitsISG_E10value_typeET2_T3_PNSH_ISM_E10value_typeET4_T5_PSR_SS_PNS1_23onesweep_lookback_stateEbbT6_jjT7_P12ihipStream_tbENKUlT_T0_SG_SL_E_clIS9_SA_SB_SB_EEDaSZ_S10_SG_SL_EUlSZ_E_NS1_11comp_targetILNS1_3genE3ELNS1_11target_archE908ELNS1_3gpuE7ELNS1_3repE0EEENS1_47radix_sort_onesweep_sort_config_static_selectorELNS0_4arch9wavefront6targetE0EEEvSG_,comdat
	.protected	_ZN7rocprim17ROCPRIM_400000_NS6detail17trampoline_kernelINS0_14default_configENS1_35radix_sort_onesweep_config_selectorImNS0_10empty_typeEEEZZNS1_29radix_sort_onesweep_iterationIS3_Lb0EPKmPmPS5_SB_mNS0_19identity_decomposerENS1_16block_id_wrapperIjLb0EEEEE10hipError_tT1_PNSt15iterator_traitsISG_E10value_typeET2_T3_PNSH_ISM_E10value_typeET4_T5_PSR_SS_PNS1_23onesweep_lookback_stateEbbT6_jjT7_P12ihipStream_tbENKUlT_T0_SG_SL_E_clIS9_SA_SB_SB_EEDaSZ_S10_SG_SL_EUlSZ_E_NS1_11comp_targetILNS1_3genE3ELNS1_11target_archE908ELNS1_3gpuE7ELNS1_3repE0EEENS1_47radix_sort_onesweep_sort_config_static_selectorELNS0_4arch9wavefront6targetE0EEEvSG_ ; -- Begin function _ZN7rocprim17ROCPRIM_400000_NS6detail17trampoline_kernelINS0_14default_configENS1_35radix_sort_onesweep_config_selectorImNS0_10empty_typeEEEZZNS1_29radix_sort_onesweep_iterationIS3_Lb0EPKmPmPS5_SB_mNS0_19identity_decomposerENS1_16block_id_wrapperIjLb0EEEEE10hipError_tT1_PNSt15iterator_traitsISG_E10value_typeET2_T3_PNSH_ISM_E10value_typeET4_T5_PSR_SS_PNS1_23onesweep_lookback_stateEbbT6_jjT7_P12ihipStream_tbENKUlT_T0_SG_SL_E_clIS9_SA_SB_SB_EEDaSZ_S10_SG_SL_EUlSZ_E_NS1_11comp_targetILNS1_3genE3ELNS1_11target_archE908ELNS1_3gpuE7ELNS1_3repE0EEENS1_47radix_sort_onesweep_sort_config_static_selectorELNS0_4arch9wavefront6targetE0EEEvSG_
	.globl	_ZN7rocprim17ROCPRIM_400000_NS6detail17trampoline_kernelINS0_14default_configENS1_35radix_sort_onesweep_config_selectorImNS0_10empty_typeEEEZZNS1_29radix_sort_onesweep_iterationIS3_Lb0EPKmPmPS5_SB_mNS0_19identity_decomposerENS1_16block_id_wrapperIjLb0EEEEE10hipError_tT1_PNSt15iterator_traitsISG_E10value_typeET2_T3_PNSH_ISM_E10value_typeET4_T5_PSR_SS_PNS1_23onesweep_lookback_stateEbbT6_jjT7_P12ihipStream_tbENKUlT_T0_SG_SL_E_clIS9_SA_SB_SB_EEDaSZ_S10_SG_SL_EUlSZ_E_NS1_11comp_targetILNS1_3genE3ELNS1_11target_archE908ELNS1_3gpuE7ELNS1_3repE0EEENS1_47radix_sort_onesweep_sort_config_static_selectorELNS0_4arch9wavefront6targetE0EEEvSG_
	.p2align	8
	.type	_ZN7rocprim17ROCPRIM_400000_NS6detail17trampoline_kernelINS0_14default_configENS1_35radix_sort_onesweep_config_selectorImNS0_10empty_typeEEEZZNS1_29radix_sort_onesweep_iterationIS3_Lb0EPKmPmPS5_SB_mNS0_19identity_decomposerENS1_16block_id_wrapperIjLb0EEEEE10hipError_tT1_PNSt15iterator_traitsISG_E10value_typeET2_T3_PNSH_ISM_E10value_typeET4_T5_PSR_SS_PNS1_23onesweep_lookback_stateEbbT6_jjT7_P12ihipStream_tbENKUlT_T0_SG_SL_E_clIS9_SA_SB_SB_EEDaSZ_S10_SG_SL_EUlSZ_E_NS1_11comp_targetILNS1_3genE3ELNS1_11target_archE908ELNS1_3gpuE7ELNS1_3repE0EEENS1_47radix_sort_onesweep_sort_config_static_selectorELNS0_4arch9wavefront6targetE0EEEvSG_,@function
_ZN7rocprim17ROCPRIM_400000_NS6detail17trampoline_kernelINS0_14default_configENS1_35radix_sort_onesweep_config_selectorImNS0_10empty_typeEEEZZNS1_29radix_sort_onesweep_iterationIS3_Lb0EPKmPmPS5_SB_mNS0_19identity_decomposerENS1_16block_id_wrapperIjLb0EEEEE10hipError_tT1_PNSt15iterator_traitsISG_E10value_typeET2_T3_PNSH_ISM_E10value_typeET4_T5_PSR_SS_PNS1_23onesweep_lookback_stateEbbT6_jjT7_P12ihipStream_tbENKUlT_T0_SG_SL_E_clIS9_SA_SB_SB_EEDaSZ_S10_SG_SL_EUlSZ_E_NS1_11comp_targetILNS1_3genE3ELNS1_11target_archE908ELNS1_3gpuE7ELNS1_3repE0EEENS1_47radix_sort_onesweep_sort_config_static_selectorELNS0_4arch9wavefront6targetE0EEEvSG_: ; @_ZN7rocprim17ROCPRIM_400000_NS6detail17trampoline_kernelINS0_14default_configENS1_35radix_sort_onesweep_config_selectorImNS0_10empty_typeEEEZZNS1_29radix_sort_onesweep_iterationIS3_Lb0EPKmPmPS5_SB_mNS0_19identity_decomposerENS1_16block_id_wrapperIjLb0EEEEE10hipError_tT1_PNSt15iterator_traitsISG_E10value_typeET2_T3_PNSH_ISM_E10value_typeET4_T5_PSR_SS_PNS1_23onesweep_lookback_stateEbbT6_jjT7_P12ihipStream_tbENKUlT_T0_SG_SL_E_clIS9_SA_SB_SB_EEDaSZ_S10_SG_SL_EUlSZ_E_NS1_11comp_targetILNS1_3genE3ELNS1_11target_archE908ELNS1_3gpuE7ELNS1_3repE0EEENS1_47radix_sort_onesweep_sort_config_static_selectorELNS0_4arch9wavefront6targetE0EEEvSG_
; %bb.0:
	.section	.rodata,"a",@progbits
	.p2align	6, 0x0
	.amdhsa_kernel _ZN7rocprim17ROCPRIM_400000_NS6detail17trampoline_kernelINS0_14default_configENS1_35radix_sort_onesweep_config_selectorImNS0_10empty_typeEEEZZNS1_29radix_sort_onesweep_iterationIS3_Lb0EPKmPmPS5_SB_mNS0_19identity_decomposerENS1_16block_id_wrapperIjLb0EEEEE10hipError_tT1_PNSt15iterator_traitsISG_E10value_typeET2_T3_PNSH_ISM_E10value_typeET4_T5_PSR_SS_PNS1_23onesweep_lookback_stateEbbT6_jjT7_P12ihipStream_tbENKUlT_T0_SG_SL_E_clIS9_SA_SB_SB_EEDaSZ_S10_SG_SL_EUlSZ_E_NS1_11comp_targetILNS1_3genE3ELNS1_11target_archE908ELNS1_3gpuE7ELNS1_3repE0EEENS1_47radix_sort_onesweep_sort_config_static_selectorELNS0_4arch9wavefront6targetE0EEEvSG_
		.amdhsa_group_segment_fixed_size 0
		.amdhsa_private_segment_fixed_size 0
		.amdhsa_kernarg_size 88
		.amdhsa_user_sgpr_count 2
		.amdhsa_user_sgpr_dispatch_ptr 0
		.amdhsa_user_sgpr_queue_ptr 0
		.amdhsa_user_sgpr_kernarg_segment_ptr 1
		.amdhsa_user_sgpr_dispatch_id 0
		.amdhsa_user_sgpr_kernarg_preload_length 0
		.amdhsa_user_sgpr_kernarg_preload_offset 0
		.amdhsa_user_sgpr_private_segment_size 0
		.amdhsa_wavefront_size32 1
		.amdhsa_uses_dynamic_stack 0
		.amdhsa_enable_private_segment 0
		.amdhsa_system_sgpr_workgroup_id_x 1
		.amdhsa_system_sgpr_workgroup_id_y 0
		.amdhsa_system_sgpr_workgroup_id_z 0
		.amdhsa_system_sgpr_workgroup_info 0
		.amdhsa_system_vgpr_workitem_id 0
		.amdhsa_next_free_vgpr 1
		.amdhsa_next_free_sgpr 1
		.amdhsa_named_barrier_count 0
		.amdhsa_reserve_vcc 0
		.amdhsa_float_round_mode_32 0
		.amdhsa_float_round_mode_16_64 0
		.amdhsa_float_denorm_mode_32 3
		.amdhsa_float_denorm_mode_16_64 3
		.amdhsa_fp16_overflow 0
		.amdhsa_memory_ordered 1
		.amdhsa_forward_progress 1
		.amdhsa_inst_pref_size 0
		.amdhsa_round_robin_scheduling 0
		.amdhsa_exception_fp_ieee_invalid_op 0
		.amdhsa_exception_fp_denorm_src 0
		.amdhsa_exception_fp_ieee_div_zero 0
		.amdhsa_exception_fp_ieee_overflow 0
		.amdhsa_exception_fp_ieee_underflow 0
		.amdhsa_exception_fp_ieee_inexact 0
		.amdhsa_exception_int_div_zero 0
	.end_amdhsa_kernel
	.section	.text._ZN7rocprim17ROCPRIM_400000_NS6detail17trampoline_kernelINS0_14default_configENS1_35radix_sort_onesweep_config_selectorImNS0_10empty_typeEEEZZNS1_29radix_sort_onesweep_iterationIS3_Lb0EPKmPmPS5_SB_mNS0_19identity_decomposerENS1_16block_id_wrapperIjLb0EEEEE10hipError_tT1_PNSt15iterator_traitsISG_E10value_typeET2_T3_PNSH_ISM_E10value_typeET4_T5_PSR_SS_PNS1_23onesweep_lookback_stateEbbT6_jjT7_P12ihipStream_tbENKUlT_T0_SG_SL_E_clIS9_SA_SB_SB_EEDaSZ_S10_SG_SL_EUlSZ_E_NS1_11comp_targetILNS1_3genE3ELNS1_11target_archE908ELNS1_3gpuE7ELNS1_3repE0EEENS1_47radix_sort_onesweep_sort_config_static_selectorELNS0_4arch9wavefront6targetE0EEEvSG_,"axG",@progbits,_ZN7rocprim17ROCPRIM_400000_NS6detail17trampoline_kernelINS0_14default_configENS1_35radix_sort_onesweep_config_selectorImNS0_10empty_typeEEEZZNS1_29radix_sort_onesweep_iterationIS3_Lb0EPKmPmPS5_SB_mNS0_19identity_decomposerENS1_16block_id_wrapperIjLb0EEEEE10hipError_tT1_PNSt15iterator_traitsISG_E10value_typeET2_T3_PNSH_ISM_E10value_typeET4_T5_PSR_SS_PNS1_23onesweep_lookback_stateEbbT6_jjT7_P12ihipStream_tbENKUlT_T0_SG_SL_E_clIS9_SA_SB_SB_EEDaSZ_S10_SG_SL_EUlSZ_E_NS1_11comp_targetILNS1_3genE3ELNS1_11target_archE908ELNS1_3gpuE7ELNS1_3repE0EEENS1_47radix_sort_onesweep_sort_config_static_selectorELNS0_4arch9wavefront6targetE0EEEvSG_,comdat
.Lfunc_end3014:
	.size	_ZN7rocprim17ROCPRIM_400000_NS6detail17trampoline_kernelINS0_14default_configENS1_35radix_sort_onesweep_config_selectorImNS0_10empty_typeEEEZZNS1_29radix_sort_onesweep_iterationIS3_Lb0EPKmPmPS5_SB_mNS0_19identity_decomposerENS1_16block_id_wrapperIjLb0EEEEE10hipError_tT1_PNSt15iterator_traitsISG_E10value_typeET2_T3_PNSH_ISM_E10value_typeET4_T5_PSR_SS_PNS1_23onesweep_lookback_stateEbbT6_jjT7_P12ihipStream_tbENKUlT_T0_SG_SL_E_clIS9_SA_SB_SB_EEDaSZ_S10_SG_SL_EUlSZ_E_NS1_11comp_targetILNS1_3genE3ELNS1_11target_archE908ELNS1_3gpuE7ELNS1_3repE0EEENS1_47radix_sort_onesweep_sort_config_static_selectorELNS0_4arch9wavefront6targetE0EEEvSG_, .Lfunc_end3014-_ZN7rocprim17ROCPRIM_400000_NS6detail17trampoline_kernelINS0_14default_configENS1_35radix_sort_onesweep_config_selectorImNS0_10empty_typeEEEZZNS1_29radix_sort_onesweep_iterationIS3_Lb0EPKmPmPS5_SB_mNS0_19identity_decomposerENS1_16block_id_wrapperIjLb0EEEEE10hipError_tT1_PNSt15iterator_traitsISG_E10value_typeET2_T3_PNSH_ISM_E10value_typeET4_T5_PSR_SS_PNS1_23onesweep_lookback_stateEbbT6_jjT7_P12ihipStream_tbENKUlT_T0_SG_SL_E_clIS9_SA_SB_SB_EEDaSZ_S10_SG_SL_EUlSZ_E_NS1_11comp_targetILNS1_3genE3ELNS1_11target_archE908ELNS1_3gpuE7ELNS1_3repE0EEENS1_47radix_sort_onesweep_sort_config_static_selectorELNS0_4arch9wavefront6targetE0EEEvSG_
                                        ; -- End function
	.set _ZN7rocprim17ROCPRIM_400000_NS6detail17trampoline_kernelINS0_14default_configENS1_35radix_sort_onesweep_config_selectorImNS0_10empty_typeEEEZZNS1_29radix_sort_onesweep_iterationIS3_Lb0EPKmPmPS5_SB_mNS0_19identity_decomposerENS1_16block_id_wrapperIjLb0EEEEE10hipError_tT1_PNSt15iterator_traitsISG_E10value_typeET2_T3_PNSH_ISM_E10value_typeET4_T5_PSR_SS_PNS1_23onesweep_lookback_stateEbbT6_jjT7_P12ihipStream_tbENKUlT_T0_SG_SL_E_clIS9_SA_SB_SB_EEDaSZ_S10_SG_SL_EUlSZ_E_NS1_11comp_targetILNS1_3genE3ELNS1_11target_archE908ELNS1_3gpuE7ELNS1_3repE0EEENS1_47radix_sort_onesweep_sort_config_static_selectorELNS0_4arch9wavefront6targetE0EEEvSG_.num_vgpr, 0
	.set _ZN7rocprim17ROCPRIM_400000_NS6detail17trampoline_kernelINS0_14default_configENS1_35radix_sort_onesweep_config_selectorImNS0_10empty_typeEEEZZNS1_29radix_sort_onesweep_iterationIS3_Lb0EPKmPmPS5_SB_mNS0_19identity_decomposerENS1_16block_id_wrapperIjLb0EEEEE10hipError_tT1_PNSt15iterator_traitsISG_E10value_typeET2_T3_PNSH_ISM_E10value_typeET4_T5_PSR_SS_PNS1_23onesweep_lookback_stateEbbT6_jjT7_P12ihipStream_tbENKUlT_T0_SG_SL_E_clIS9_SA_SB_SB_EEDaSZ_S10_SG_SL_EUlSZ_E_NS1_11comp_targetILNS1_3genE3ELNS1_11target_archE908ELNS1_3gpuE7ELNS1_3repE0EEENS1_47radix_sort_onesweep_sort_config_static_selectorELNS0_4arch9wavefront6targetE0EEEvSG_.num_agpr, 0
	.set _ZN7rocprim17ROCPRIM_400000_NS6detail17trampoline_kernelINS0_14default_configENS1_35radix_sort_onesweep_config_selectorImNS0_10empty_typeEEEZZNS1_29radix_sort_onesweep_iterationIS3_Lb0EPKmPmPS5_SB_mNS0_19identity_decomposerENS1_16block_id_wrapperIjLb0EEEEE10hipError_tT1_PNSt15iterator_traitsISG_E10value_typeET2_T3_PNSH_ISM_E10value_typeET4_T5_PSR_SS_PNS1_23onesweep_lookback_stateEbbT6_jjT7_P12ihipStream_tbENKUlT_T0_SG_SL_E_clIS9_SA_SB_SB_EEDaSZ_S10_SG_SL_EUlSZ_E_NS1_11comp_targetILNS1_3genE3ELNS1_11target_archE908ELNS1_3gpuE7ELNS1_3repE0EEENS1_47radix_sort_onesweep_sort_config_static_selectorELNS0_4arch9wavefront6targetE0EEEvSG_.numbered_sgpr, 0
	.set _ZN7rocprim17ROCPRIM_400000_NS6detail17trampoline_kernelINS0_14default_configENS1_35radix_sort_onesweep_config_selectorImNS0_10empty_typeEEEZZNS1_29radix_sort_onesweep_iterationIS3_Lb0EPKmPmPS5_SB_mNS0_19identity_decomposerENS1_16block_id_wrapperIjLb0EEEEE10hipError_tT1_PNSt15iterator_traitsISG_E10value_typeET2_T3_PNSH_ISM_E10value_typeET4_T5_PSR_SS_PNS1_23onesweep_lookback_stateEbbT6_jjT7_P12ihipStream_tbENKUlT_T0_SG_SL_E_clIS9_SA_SB_SB_EEDaSZ_S10_SG_SL_EUlSZ_E_NS1_11comp_targetILNS1_3genE3ELNS1_11target_archE908ELNS1_3gpuE7ELNS1_3repE0EEENS1_47radix_sort_onesweep_sort_config_static_selectorELNS0_4arch9wavefront6targetE0EEEvSG_.num_named_barrier, 0
	.set _ZN7rocprim17ROCPRIM_400000_NS6detail17trampoline_kernelINS0_14default_configENS1_35radix_sort_onesweep_config_selectorImNS0_10empty_typeEEEZZNS1_29radix_sort_onesweep_iterationIS3_Lb0EPKmPmPS5_SB_mNS0_19identity_decomposerENS1_16block_id_wrapperIjLb0EEEEE10hipError_tT1_PNSt15iterator_traitsISG_E10value_typeET2_T3_PNSH_ISM_E10value_typeET4_T5_PSR_SS_PNS1_23onesweep_lookback_stateEbbT6_jjT7_P12ihipStream_tbENKUlT_T0_SG_SL_E_clIS9_SA_SB_SB_EEDaSZ_S10_SG_SL_EUlSZ_E_NS1_11comp_targetILNS1_3genE3ELNS1_11target_archE908ELNS1_3gpuE7ELNS1_3repE0EEENS1_47radix_sort_onesweep_sort_config_static_selectorELNS0_4arch9wavefront6targetE0EEEvSG_.private_seg_size, 0
	.set _ZN7rocprim17ROCPRIM_400000_NS6detail17trampoline_kernelINS0_14default_configENS1_35radix_sort_onesweep_config_selectorImNS0_10empty_typeEEEZZNS1_29radix_sort_onesweep_iterationIS3_Lb0EPKmPmPS5_SB_mNS0_19identity_decomposerENS1_16block_id_wrapperIjLb0EEEEE10hipError_tT1_PNSt15iterator_traitsISG_E10value_typeET2_T3_PNSH_ISM_E10value_typeET4_T5_PSR_SS_PNS1_23onesweep_lookback_stateEbbT6_jjT7_P12ihipStream_tbENKUlT_T0_SG_SL_E_clIS9_SA_SB_SB_EEDaSZ_S10_SG_SL_EUlSZ_E_NS1_11comp_targetILNS1_3genE3ELNS1_11target_archE908ELNS1_3gpuE7ELNS1_3repE0EEENS1_47radix_sort_onesweep_sort_config_static_selectorELNS0_4arch9wavefront6targetE0EEEvSG_.uses_vcc, 0
	.set _ZN7rocprim17ROCPRIM_400000_NS6detail17trampoline_kernelINS0_14default_configENS1_35radix_sort_onesweep_config_selectorImNS0_10empty_typeEEEZZNS1_29radix_sort_onesweep_iterationIS3_Lb0EPKmPmPS5_SB_mNS0_19identity_decomposerENS1_16block_id_wrapperIjLb0EEEEE10hipError_tT1_PNSt15iterator_traitsISG_E10value_typeET2_T3_PNSH_ISM_E10value_typeET4_T5_PSR_SS_PNS1_23onesweep_lookback_stateEbbT6_jjT7_P12ihipStream_tbENKUlT_T0_SG_SL_E_clIS9_SA_SB_SB_EEDaSZ_S10_SG_SL_EUlSZ_E_NS1_11comp_targetILNS1_3genE3ELNS1_11target_archE908ELNS1_3gpuE7ELNS1_3repE0EEENS1_47radix_sort_onesweep_sort_config_static_selectorELNS0_4arch9wavefront6targetE0EEEvSG_.uses_flat_scratch, 0
	.set _ZN7rocprim17ROCPRIM_400000_NS6detail17trampoline_kernelINS0_14default_configENS1_35radix_sort_onesweep_config_selectorImNS0_10empty_typeEEEZZNS1_29radix_sort_onesweep_iterationIS3_Lb0EPKmPmPS5_SB_mNS0_19identity_decomposerENS1_16block_id_wrapperIjLb0EEEEE10hipError_tT1_PNSt15iterator_traitsISG_E10value_typeET2_T3_PNSH_ISM_E10value_typeET4_T5_PSR_SS_PNS1_23onesweep_lookback_stateEbbT6_jjT7_P12ihipStream_tbENKUlT_T0_SG_SL_E_clIS9_SA_SB_SB_EEDaSZ_S10_SG_SL_EUlSZ_E_NS1_11comp_targetILNS1_3genE3ELNS1_11target_archE908ELNS1_3gpuE7ELNS1_3repE0EEENS1_47radix_sort_onesweep_sort_config_static_selectorELNS0_4arch9wavefront6targetE0EEEvSG_.has_dyn_sized_stack, 0
	.set _ZN7rocprim17ROCPRIM_400000_NS6detail17trampoline_kernelINS0_14default_configENS1_35radix_sort_onesweep_config_selectorImNS0_10empty_typeEEEZZNS1_29radix_sort_onesweep_iterationIS3_Lb0EPKmPmPS5_SB_mNS0_19identity_decomposerENS1_16block_id_wrapperIjLb0EEEEE10hipError_tT1_PNSt15iterator_traitsISG_E10value_typeET2_T3_PNSH_ISM_E10value_typeET4_T5_PSR_SS_PNS1_23onesweep_lookback_stateEbbT6_jjT7_P12ihipStream_tbENKUlT_T0_SG_SL_E_clIS9_SA_SB_SB_EEDaSZ_S10_SG_SL_EUlSZ_E_NS1_11comp_targetILNS1_3genE3ELNS1_11target_archE908ELNS1_3gpuE7ELNS1_3repE0EEENS1_47radix_sort_onesweep_sort_config_static_selectorELNS0_4arch9wavefront6targetE0EEEvSG_.has_recursion, 0
	.set _ZN7rocprim17ROCPRIM_400000_NS6detail17trampoline_kernelINS0_14default_configENS1_35radix_sort_onesweep_config_selectorImNS0_10empty_typeEEEZZNS1_29radix_sort_onesweep_iterationIS3_Lb0EPKmPmPS5_SB_mNS0_19identity_decomposerENS1_16block_id_wrapperIjLb0EEEEE10hipError_tT1_PNSt15iterator_traitsISG_E10value_typeET2_T3_PNSH_ISM_E10value_typeET4_T5_PSR_SS_PNS1_23onesweep_lookback_stateEbbT6_jjT7_P12ihipStream_tbENKUlT_T0_SG_SL_E_clIS9_SA_SB_SB_EEDaSZ_S10_SG_SL_EUlSZ_E_NS1_11comp_targetILNS1_3genE3ELNS1_11target_archE908ELNS1_3gpuE7ELNS1_3repE0EEENS1_47radix_sort_onesweep_sort_config_static_selectorELNS0_4arch9wavefront6targetE0EEEvSG_.has_indirect_call, 0
	.section	.AMDGPU.csdata,"",@progbits
; Kernel info:
; codeLenInByte = 0
; TotalNumSgprs: 0
; NumVgprs: 0
; ScratchSize: 0
; MemoryBound: 0
; FloatMode: 240
; IeeeMode: 1
; LDSByteSize: 0 bytes/workgroup (compile time only)
; SGPRBlocks: 0
; VGPRBlocks: 0
; NumSGPRsForWavesPerEU: 1
; NumVGPRsForWavesPerEU: 1
; NamedBarCnt: 0
; Occupancy: 16
; WaveLimiterHint : 0
; COMPUTE_PGM_RSRC2:SCRATCH_EN: 0
; COMPUTE_PGM_RSRC2:USER_SGPR: 2
; COMPUTE_PGM_RSRC2:TRAP_HANDLER: 0
; COMPUTE_PGM_RSRC2:TGID_X_EN: 1
; COMPUTE_PGM_RSRC2:TGID_Y_EN: 0
; COMPUTE_PGM_RSRC2:TGID_Z_EN: 0
; COMPUTE_PGM_RSRC2:TIDIG_COMP_CNT: 0
	.section	.text._ZN7rocprim17ROCPRIM_400000_NS6detail17trampoline_kernelINS0_14default_configENS1_35radix_sort_onesweep_config_selectorImNS0_10empty_typeEEEZZNS1_29radix_sort_onesweep_iterationIS3_Lb0EPKmPmPS5_SB_mNS0_19identity_decomposerENS1_16block_id_wrapperIjLb0EEEEE10hipError_tT1_PNSt15iterator_traitsISG_E10value_typeET2_T3_PNSH_ISM_E10value_typeET4_T5_PSR_SS_PNS1_23onesweep_lookback_stateEbbT6_jjT7_P12ihipStream_tbENKUlT_T0_SG_SL_E_clIS9_SA_SB_SB_EEDaSZ_S10_SG_SL_EUlSZ_E_NS1_11comp_targetILNS1_3genE10ELNS1_11target_archE1201ELNS1_3gpuE5ELNS1_3repE0EEENS1_47radix_sort_onesweep_sort_config_static_selectorELNS0_4arch9wavefront6targetE0EEEvSG_,"axG",@progbits,_ZN7rocprim17ROCPRIM_400000_NS6detail17trampoline_kernelINS0_14default_configENS1_35radix_sort_onesweep_config_selectorImNS0_10empty_typeEEEZZNS1_29radix_sort_onesweep_iterationIS3_Lb0EPKmPmPS5_SB_mNS0_19identity_decomposerENS1_16block_id_wrapperIjLb0EEEEE10hipError_tT1_PNSt15iterator_traitsISG_E10value_typeET2_T3_PNSH_ISM_E10value_typeET4_T5_PSR_SS_PNS1_23onesweep_lookback_stateEbbT6_jjT7_P12ihipStream_tbENKUlT_T0_SG_SL_E_clIS9_SA_SB_SB_EEDaSZ_S10_SG_SL_EUlSZ_E_NS1_11comp_targetILNS1_3genE10ELNS1_11target_archE1201ELNS1_3gpuE5ELNS1_3repE0EEENS1_47radix_sort_onesweep_sort_config_static_selectorELNS0_4arch9wavefront6targetE0EEEvSG_,comdat
	.protected	_ZN7rocprim17ROCPRIM_400000_NS6detail17trampoline_kernelINS0_14default_configENS1_35radix_sort_onesweep_config_selectorImNS0_10empty_typeEEEZZNS1_29radix_sort_onesweep_iterationIS3_Lb0EPKmPmPS5_SB_mNS0_19identity_decomposerENS1_16block_id_wrapperIjLb0EEEEE10hipError_tT1_PNSt15iterator_traitsISG_E10value_typeET2_T3_PNSH_ISM_E10value_typeET4_T5_PSR_SS_PNS1_23onesweep_lookback_stateEbbT6_jjT7_P12ihipStream_tbENKUlT_T0_SG_SL_E_clIS9_SA_SB_SB_EEDaSZ_S10_SG_SL_EUlSZ_E_NS1_11comp_targetILNS1_3genE10ELNS1_11target_archE1201ELNS1_3gpuE5ELNS1_3repE0EEENS1_47radix_sort_onesweep_sort_config_static_selectorELNS0_4arch9wavefront6targetE0EEEvSG_ ; -- Begin function _ZN7rocprim17ROCPRIM_400000_NS6detail17trampoline_kernelINS0_14default_configENS1_35radix_sort_onesweep_config_selectorImNS0_10empty_typeEEEZZNS1_29radix_sort_onesweep_iterationIS3_Lb0EPKmPmPS5_SB_mNS0_19identity_decomposerENS1_16block_id_wrapperIjLb0EEEEE10hipError_tT1_PNSt15iterator_traitsISG_E10value_typeET2_T3_PNSH_ISM_E10value_typeET4_T5_PSR_SS_PNS1_23onesweep_lookback_stateEbbT6_jjT7_P12ihipStream_tbENKUlT_T0_SG_SL_E_clIS9_SA_SB_SB_EEDaSZ_S10_SG_SL_EUlSZ_E_NS1_11comp_targetILNS1_3genE10ELNS1_11target_archE1201ELNS1_3gpuE5ELNS1_3repE0EEENS1_47radix_sort_onesweep_sort_config_static_selectorELNS0_4arch9wavefront6targetE0EEEvSG_
	.globl	_ZN7rocprim17ROCPRIM_400000_NS6detail17trampoline_kernelINS0_14default_configENS1_35radix_sort_onesweep_config_selectorImNS0_10empty_typeEEEZZNS1_29radix_sort_onesweep_iterationIS3_Lb0EPKmPmPS5_SB_mNS0_19identity_decomposerENS1_16block_id_wrapperIjLb0EEEEE10hipError_tT1_PNSt15iterator_traitsISG_E10value_typeET2_T3_PNSH_ISM_E10value_typeET4_T5_PSR_SS_PNS1_23onesweep_lookback_stateEbbT6_jjT7_P12ihipStream_tbENKUlT_T0_SG_SL_E_clIS9_SA_SB_SB_EEDaSZ_S10_SG_SL_EUlSZ_E_NS1_11comp_targetILNS1_3genE10ELNS1_11target_archE1201ELNS1_3gpuE5ELNS1_3repE0EEENS1_47radix_sort_onesweep_sort_config_static_selectorELNS0_4arch9wavefront6targetE0EEEvSG_
	.p2align	8
	.type	_ZN7rocprim17ROCPRIM_400000_NS6detail17trampoline_kernelINS0_14default_configENS1_35radix_sort_onesweep_config_selectorImNS0_10empty_typeEEEZZNS1_29radix_sort_onesweep_iterationIS3_Lb0EPKmPmPS5_SB_mNS0_19identity_decomposerENS1_16block_id_wrapperIjLb0EEEEE10hipError_tT1_PNSt15iterator_traitsISG_E10value_typeET2_T3_PNSH_ISM_E10value_typeET4_T5_PSR_SS_PNS1_23onesweep_lookback_stateEbbT6_jjT7_P12ihipStream_tbENKUlT_T0_SG_SL_E_clIS9_SA_SB_SB_EEDaSZ_S10_SG_SL_EUlSZ_E_NS1_11comp_targetILNS1_3genE10ELNS1_11target_archE1201ELNS1_3gpuE5ELNS1_3repE0EEENS1_47radix_sort_onesweep_sort_config_static_selectorELNS0_4arch9wavefront6targetE0EEEvSG_,@function
_ZN7rocprim17ROCPRIM_400000_NS6detail17trampoline_kernelINS0_14default_configENS1_35radix_sort_onesweep_config_selectorImNS0_10empty_typeEEEZZNS1_29radix_sort_onesweep_iterationIS3_Lb0EPKmPmPS5_SB_mNS0_19identity_decomposerENS1_16block_id_wrapperIjLb0EEEEE10hipError_tT1_PNSt15iterator_traitsISG_E10value_typeET2_T3_PNSH_ISM_E10value_typeET4_T5_PSR_SS_PNS1_23onesweep_lookback_stateEbbT6_jjT7_P12ihipStream_tbENKUlT_T0_SG_SL_E_clIS9_SA_SB_SB_EEDaSZ_S10_SG_SL_EUlSZ_E_NS1_11comp_targetILNS1_3genE10ELNS1_11target_archE1201ELNS1_3gpuE5ELNS1_3repE0EEENS1_47radix_sort_onesweep_sort_config_static_selectorELNS0_4arch9wavefront6targetE0EEEvSG_: ; @_ZN7rocprim17ROCPRIM_400000_NS6detail17trampoline_kernelINS0_14default_configENS1_35radix_sort_onesweep_config_selectorImNS0_10empty_typeEEEZZNS1_29radix_sort_onesweep_iterationIS3_Lb0EPKmPmPS5_SB_mNS0_19identity_decomposerENS1_16block_id_wrapperIjLb0EEEEE10hipError_tT1_PNSt15iterator_traitsISG_E10value_typeET2_T3_PNSH_ISM_E10value_typeET4_T5_PSR_SS_PNS1_23onesweep_lookback_stateEbbT6_jjT7_P12ihipStream_tbENKUlT_T0_SG_SL_E_clIS9_SA_SB_SB_EEDaSZ_S10_SG_SL_EUlSZ_E_NS1_11comp_targetILNS1_3genE10ELNS1_11target_archE1201ELNS1_3gpuE5ELNS1_3repE0EEENS1_47radix_sort_onesweep_sort_config_static_selectorELNS0_4arch9wavefront6targetE0EEEvSG_
; %bb.0:
	.section	.rodata,"a",@progbits
	.p2align	6, 0x0
	.amdhsa_kernel _ZN7rocprim17ROCPRIM_400000_NS6detail17trampoline_kernelINS0_14default_configENS1_35radix_sort_onesweep_config_selectorImNS0_10empty_typeEEEZZNS1_29radix_sort_onesweep_iterationIS3_Lb0EPKmPmPS5_SB_mNS0_19identity_decomposerENS1_16block_id_wrapperIjLb0EEEEE10hipError_tT1_PNSt15iterator_traitsISG_E10value_typeET2_T3_PNSH_ISM_E10value_typeET4_T5_PSR_SS_PNS1_23onesweep_lookback_stateEbbT6_jjT7_P12ihipStream_tbENKUlT_T0_SG_SL_E_clIS9_SA_SB_SB_EEDaSZ_S10_SG_SL_EUlSZ_E_NS1_11comp_targetILNS1_3genE10ELNS1_11target_archE1201ELNS1_3gpuE5ELNS1_3repE0EEENS1_47radix_sort_onesweep_sort_config_static_selectorELNS0_4arch9wavefront6targetE0EEEvSG_
		.amdhsa_group_segment_fixed_size 0
		.amdhsa_private_segment_fixed_size 0
		.amdhsa_kernarg_size 88
		.amdhsa_user_sgpr_count 2
		.amdhsa_user_sgpr_dispatch_ptr 0
		.amdhsa_user_sgpr_queue_ptr 0
		.amdhsa_user_sgpr_kernarg_segment_ptr 1
		.amdhsa_user_sgpr_dispatch_id 0
		.amdhsa_user_sgpr_kernarg_preload_length 0
		.amdhsa_user_sgpr_kernarg_preload_offset 0
		.amdhsa_user_sgpr_private_segment_size 0
		.amdhsa_wavefront_size32 1
		.amdhsa_uses_dynamic_stack 0
		.amdhsa_enable_private_segment 0
		.amdhsa_system_sgpr_workgroup_id_x 1
		.amdhsa_system_sgpr_workgroup_id_y 0
		.amdhsa_system_sgpr_workgroup_id_z 0
		.amdhsa_system_sgpr_workgroup_info 0
		.amdhsa_system_vgpr_workitem_id 0
		.amdhsa_next_free_vgpr 1
		.amdhsa_next_free_sgpr 1
		.amdhsa_named_barrier_count 0
		.amdhsa_reserve_vcc 0
		.amdhsa_float_round_mode_32 0
		.amdhsa_float_round_mode_16_64 0
		.amdhsa_float_denorm_mode_32 3
		.amdhsa_float_denorm_mode_16_64 3
		.amdhsa_fp16_overflow 0
		.amdhsa_memory_ordered 1
		.amdhsa_forward_progress 1
		.amdhsa_inst_pref_size 0
		.amdhsa_round_robin_scheduling 0
		.amdhsa_exception_fp_ieee_invalid_op 0
		.amdhsa_exception_fp_denorm_src 0
		.amdhsa_exception_fp_ieee_div_zero 0
		.amdhsa_exception_fp_ieee_overflow 0
		.amdhsa_exception_fp_ieee_underflow 0
		.amdhsa_exception_fp_ieee_inexact 0
		.amdhsa_exception_int_div_zero 0
	.end_amdhsa_kernel
	.section	.text._ZN7rocprim17ROCPRIM_400000_NS6detail17trampoline_kernelINS0_14default_configENS1_35radix_sort_onesweep_config_selectorImNS0_10empty_typeEEEZZNS1_29radix_sort_onesweep_iterationIS3_Lb0EPKmPmPS5_SB_mNS0_19identity_decomposerENS1_16block_id_wrapperIjLb0EEEEE10hipError_tT1_PNSt15iterator_traitsISG_E10value_typeET2_T3_PNSH_ISM_E10value_typeET4_T5_PSR_SS_PNS1_23onesweep_lookback_stateEbbT6_jjT7_P12ihipStream_tbENKUlT_T0_SG_SL_E_clIS9_SA_SB_SB_EEDaSZ_S10_SG_SL_EUlSZ_E_NS1_11comp_targetILNS1_3genE10ELNS1_11target_archE1201ELNS1_3gpuE5ELNS1_3repE0EEENS1_47radix_sort_onesweep_sort_config_static_selectorELNS0_4arch9wavefront6targetE0EEEvSG_,"axG",@progbits,_ZN7rocprim17ROCPRIM_400000_NS6detail17trampoline_kernelINS0_14default_configENS1_35radix_sort_onesweep_config_selectorImNS0_10empty_typeEEEZZNS1_29radix_sort_onesweep_iterationIS3_Lb0EPKmPmPS5_SB_mNS0_19identity_decomposerENS1_16block_id_wrapperIjLb0EEEEE10hipError_tT1_PNSt15iterator_traitsISG_E10value_typeET2_T3_PNSH_ISM_E10value_typeET4_T5_PSR_SS_PNS1_23onesweep_lookback_stateEbbT6_jjT7_P12ihipStream_tbENKUlT_T0_SG_SL_E_clIS9_SA_SB_SB_EEDaSZ_S10_SG_SL_EUlSZ_E_NS1_11comp_targetILNS1_3genE10ELNS1_11target_archE1201ELNS1_3gpuE5ELNS1_3repE0EEENS1_47radix_sort_onesweep_sort_config_static_selectorELNS0_4arch9wavefront6targetE0EEEvSG_,comdat
.Lfunc_end3015:
	.size	_ZN7rocprim17ROCPRIM_400000_NS6detail17trampoline_kernelINS0_14default_configENS1_35radix_sort_onesweep_config_selectorImNS0_10empty_typeEEEZZNS1_29radix_sort_onesweep_iterationIS3_Lb0EPKmPmPS5_SB_mNS0_19identity_decomposerENS1_16block_id_wrapperIjLb0EEEEE10hipError_tT1_PNSt15iterator_traitsISG_E10value_typeET2_T3_PNSH_ISM_E10value_typeET4_T5_PSR_SS_PNS1_23onesweep_lookback_stateEbbT6_jjT7_P12ihipStream_tbENKUlT_T0_SG_SL_E_clIS9_SA_SB_SB_EEDaSZ_S10_SG_SL_EUlSZ_E_NS1_11comp_targetILNS1_3genE10ELNS1_11target_archE1201ELNS1_3gpuE5ELNS1_3repE0EEENS1_47radix_sort_onesweep_sort_config_static_selectorELNS0_4arch9wavefront6targetE0EEEvSG_, .Lfunc_end3015-_ZN7rocprim17ROCPRIM_400000_NS6detail17trampoline_kernelINS0_14default_configENS1_35radix_sort_onesweep_config_selectorImNS0_10empty_typeEEEZZNS1_29radix_sort_onesweep_iterationIS3_Lb0EPKmPmPS5_SB_mNS0_19identity_decomposerENS1_16block_id_wrapperIjLb0EEEEE10hipError_tT1_PNSt15iterator_traitsISG_E10value_typeET2_T3_PNSH_ISM_E10value_typeET4_T5_PSR_SS_PNS1_23onesweep_lookback_stateEbbT6_jjT7_P12ihipStream_tbENKUlT_T0_SG_SL_E_clIS9_SA_SB_SB_EEDaSZ_S10_SG_SL_EUlSZ_E_NS1_11comp_targetILNS1_3genE10ELNS1_11target_archE1201ELNS1_3gpuE5ELNS1_3repE0EEENS1_47radix_sort_onesweep_sort_config_static_selectorELNS0_4arch9wavefront6targetE0EEEvSG_
                                        ; -- End function
	.set _ZN7rocprim17ROCPRIM_400000_NS6detail17trampoline_kernelINS0_14default_configENS1_35radix_sort_onesweep_config_selectorImNS0_10empty_typeEEEZZNS1_29radix_sort_onesweep_iterationIS3_Lb0EPKmPmPS5_SB_mNS0_19identity_decomposerENS1_16block_id_wrapperIjLb0EEEEE10hipError_tT1_PNSt15iterator_traitsISG_E10value_typeET2_T3_PNSH_ISM_E10value_typeET4_T5_PSR_SS_PNS1_23onesweep_lookback_stateEbbT6_jjT7_P12ihipStream_tbENKUlT_T0_SG_SL_E_clIS9_SA_SB_SB_EEDaSZ_S10_SG_SL_EUlSZ_E_NS1_11comp_targetILNS1_3genE10ELNS1_11target_archE1201ELNS1_3gpuE5ELNS1_3repE0EEENS1_47radix_sort_onesweep_sort_config_static_selectorELNS0_4arch9wavefront6targetE0EEEvSG_.num_vgpr, 0
	.set _ZN7rocprim17ROCPRIM_400000_NS6detail17trampoline_kernelINS0_14default_configENS1_35radix_sort_onesweep_config_selectorImNS0_10empty_typeEEEZZNS1_29radix_sort_onesweep_iterationIS3_Lb0EPKmPmPS5_SB_mNS0_19identity_decomposerENS1_16block_id_wrapperIjLb0EEEEE10hipError_tT1_PNSt15iterator_traitsISG_E10value_typeET2_T3_PNSH_ISM_E10value_typeET4_T5_PSR_SS_PNS1_23onesweep_lookback_stateEbbT6_jjT7_P12ihipStream_tbENKUlT_T0_SG_SL_E_clIS9_SA_SB_SB_EEDaSZ_S10_SG_SL_EUlSZ_E_NS1_11comp_targetILNS1_3genE10ELNS1_11target_archE1201ELNS1_3gpuE5ELNS1_3repE0EEENS1_47radix_sort_onesweep_sort_config_static_selectorELNS0_4arch9wavefront6targetE0EEEvSG_.num_agpr, 0
	.set _ZN7rocprim17ROCPRIM_400000_NS6detail17trampoline_kernelINS0_14default_configENS1_35radix_sort_onesweep_config_selectorImNS0_10empty_typeEEEZZNS1_29radix_sort_onesweep_iterationIS3_Lb0EPKmPmPS5_SB_mNS0_19identity_decomposerENS1_16block_id_wrapperIjLb0EEEEE10hipError_tT1_PNSt15iterator_traitsISG_E10value_typeET2_T3_PNSH_ISM_E10value_typeET4_T5_PSR_SS_PNS1_23onesweep_lookback_stateEbbT6_jjT7_P12ihipStream_tbENKUlT_T0_SG_SL_E_clIS9_SA_SB_SB_EEDaSZ_S10_SG_SL_EUlSZ_E_NS1_11comp_targetILNS1_3genE10ELNS1_11target_archE1201ELNS1_3gpuE5ELNS1_3repE0EEENS1_47radix_sort_onesweep_sort_config_static_selectorELNS0_4arch9wavefront6targetE0EEEvSG_.numbered_sgpr, 0
	.set _ZN7rocprim17ROCPRIM_400000_NS6detail17trampoline_kernelINS0_14default_configENS1_35radix_sort_onesweep_config_selectorImNS0_10empty_typeEEEZZNS1_29radix_sort_onesweep_iterationIS3_Lb0EPKmPmPS5_SB_mNS0_19identity_decomposerENS1_16block_id_wrapperIjLb0EEEEE10hipError_tT1_PNSt15iterator_traitsISG_E10value_typeET2_T3_PNSH_ISM_E10value_typeET4_T5_PSR_SS_PNS1_23onesweep_lookback_stateEbbT6_jjT7_P12ihipStream_tbENKUlT_T0_SG_SL_E_clIS9_SA_SB_SB_EEDaSZ_S10_SG_SL_EUlSZ_E_NS1_11comp_targetILNS1_3genE10ELNS1_11target_archE1201ELNS1_3gpuE5ELNS1_3repE0EEENS1_47radix_sort_onesweep_sort_config_static_selectorELNS0_4arch9wavefront6targetE0EEEvSG_.num_named_barrier, 0
	.set _ZN7rocprim17ROCPRIM_400000_NS6detail17trampoline_kernelINS0_14default_configENS1_35radix_sort_onesweep_config_selectorImNS0_10empty_typeEEEZZNS1_29radix_sort_onesweep_iterationIS3_Lb0EPKmPmPS5_SB_mNS0_19identity_decomposerENS1_16block_id_wrapperIjLb0EEEEE10hipError_tT1_PNSt15iterator_traitsISG_E10value_typeET2_T3_PNSH_ISM_E10value_typeET4_T5_PSR_SS_PNS1_23onesweep_lookback_stateEbbT6_jjT7_P12ihipStream_tbENKUlT_T0_SG_SL_E_clIS9_SA_SB_SB_EEDaSZ_S10_SG_SL_EUlSZ_E_NS1_11comp_targetILNS1_3genE10ELNS1_11target_archE1201ELNS1_3gpuE5ELNS1_3repE0EEENS1_47radix_sort_onesweep_sort_config_static_selectorELNS0_4arch9wavefront6targetE0EEEvSG_.private_seg_size, 0
	.set _ZN7rocprim17ROCPRIM_400000_NS6detail17trampoline_kernelINS0_14default_configENS1_35radix_sort_onesweep_config_selectorImNS0_10empty_typeEEEZZNS1_29radix_sort_onesweep_iterationIS3_Lb0EPKmPmPS5_SB_mNS0_19identity_decomposerENS1_16block_id_wrapperIjLb0EEEEE10hipError_tT1_PNSt15iterator_traitsISG_E10value_typeET2_T3_PNSH_ISM_E10value_typeET4_T5_PSR_SS_PNS1_23onesweep_lookback_stateEbbT6_jjT7_P12ihipStream_tbENKUlT_T0_SG_SL_E_clIS9_SA_SB_SB_EEDaSZ_S10_SG_SL_EUlSZ_E_NS1_11comp_targetILNS1_3genE10ELNS1_11target_archE1201ELNS1_3gpuE5ELNS1_3repE0EEENS1_47radix_sort_onesweep_sort_config_static_selectorELNS0_4arch9wavefront6targetE0EEEvSG_.uses_vcc, 0
	.set _ZN7rocprim17ROCPRIM_400000_NS6detail17trampoline_kernelINS0_14default_configENS1_35radix_sort_onesweep_config_selectorImNS0_10empty_typeEEEZZNS1_29radix_sort_onesweep_iterationIS3_Lb0EPKmPmPS5_SB_mNS0_19identity_decomposerENS1_16block_id_wrapperIjLb0EEEEE10hipError_tT1_PNSt15iterator_traitsISG_E10value_typeET2_T3_PNSH_ISM_E10value_typeET4_T5_PSR_SS_PNS1_23onesweep_lookback_stateEbbT6_jjT7_P12ihipStream_tbENKUlT_T0_SG_SL_E_clIS9_SA_SB_SB_EEDaSZ_S10_SG_SL_EUlSZ_E_NS1_11comp_targetILNS1_3genE10ELNS1_11target_archE1201ELNS1_3gpuE5ELNS1_3repE0EEENS1_47radix_sort_onesweep_sort_config_static_selectorELNS0_4arch9wavefront6targetE0EEEvSG_.uses_flat_scratch, 0
	.set _ZN7rocprim17ROCPRIM_400000_NS6detail17trampoline_kernelINS0_14default_configENS1_35radix_sort_onesweep_config_selectorImNS0_10empty_typeEEEZZNS1_29radix_sort_onesweep_iterationIS3_Lb0EPKmPmPS5_SB_mNS0_19identity_decomposerENS1_16block_id_wrapperIjLb0EEEEE10hipError_tT1_PNSt15iterator_traitsISG_E10value_typeET2_T3_PNSH_ISM_E10value_typeET4_T5_PSR_SS_PNS1_23onesweep_lookback_stateEbbT6_jjT7_P12ihipStream_tbENKUlT_T0_SG_SL_E_clIS9_SA_SB_SB_EEDaSZ_S10_SG_SL_EUlSZ_E_NS1_11comp_targetILNS1_3genE10ELNS1_11target_archE1201ELNS1_3gpuE5ELNS1_3repE0EEENS1_47radix_sort_onesweep_sort_config_static_selectorELNS0_4arch9wavefront6targetE0EEEvSG_.has_dyn_sized_stack, 0
	.set _ZN7rocprim17ROCPRIM_400000_NS6detail17trampoline_kernelINS0_14default_configENS1_35radix_sort_onesweep_config_selectorImNS0_10empty_typeEEEZZNS1_29radix_sort_onesweep_iterationIS3_Lb0EPKmPmPS5_SB_mNS0_19identity_decomposerENS1_16block_id_wrapperIjLb0EEEEE10hipError_tT1_PNSt15iterator_traitsISG_E10value_typeET2_T3_PNSH_ISM_E10value_typeET4_T5_PSR_SS_PNS1_23onesweep_lookback_stateEbbT6_jjT7_P12ihipStream_tbENKUlT_T0_SG_SL_E_clIS9_SA_SB_SB_EEDaSZ_S10_SG_SL_EUlSZ_E_NS1_11comp_targetILNS1_3genE10ELNS1_11target_archE1201ELNS1_3gpuE5ELNS1_3repE0EEENS1_47radix_sort_onesweep_sort_config_static_selectorELNS0_4arch9wavefront6targetE0EEEvSG_.has_recursion, 0
	.set _ZN7rocprim17ROCPRIM_400000_NS6detail17trampoline_kernelINS0_14default_configENS1_35radix_sort_onesweep_config_selectorImNS0_10empty_typeEEEZZNS1_29radix_sort_onesweep_iterationIS3_Lb0EPKmPmPS5_SB_mNS0_19identity_decomposerENS1_16block_id_wrapperIjLb0EEEEE10hipError_tT1_PNSt15iterator_traitsISG_E10value_typeET2_T3_PNSH_ISM_E10value_typeET4_T5_PSR_SS_PNS1_23onesweep_lookback_stateEbbT6_jjT7_P12ihipStream_tbENKUlT_T0_SG_SL_E_clIS9_SA_SB_SB_EEDaSZ_S10_SG_SL_EUlSZ_E_NS1_11comp_targetILNS1_3genE10ELNS1_11target_archE1201ELNS1_3gpuE5ELNS1_3repE0EEENS1_47radix_sort_onesweep_sort_config_static_selectorELNS0_4arch9wavefront6targetE0EEEvSG_.has_indirect_call, 0
	.section	.AMDGPU.csdata,"",@progbits
; Kernel info:
; codeLenInByte = 0
; TotalNumSgprs: 0
; NumVgprs: 0
; ScratchSize: 0
; MemoryBound: 0
; FloatMode: 240
; IeeeMode: 1
; LDSByteSize: 0 bytes/workgroup (compile time only)
; SGPRBlocks: 0
; VGPRBlocks: 0
; NumSGPRsForWavesPerEU: 1
; NumVGPRsForWavesPerEU: 1
; NamedBarCnt: 0
; Occupancy: 16
; WaveLimiterHint : 0
; COMPUTE_PGM_RSRC2:SCRATCH_EN: 0
; COMPUTE_PGM_RSRC2:USER_SGPR: 2
; COMPUTE_PGM_RSRC2:TRAP_HANDLER: 0
; COMPUTE_PGM_RSRC2:TGID_X_EN: 1
; COMPUTE_PGM_RSRC2:TGID_Y_EN: 0
; COMPUTE_PGM_RSRC2:TGID_Z_EN: 0
; COMPUTE_PGM_RSRC2:TIDIG_COMP_CNT: 0
	.section	.text._ZN7rocprim17ROCPRIM_400000_NS6detail17trampoline_kernelINS0_14default_configENS1_35radix_sort_onesweep_config_selectorImNS0_10empty_typeEEEZZNS1_29radix_sort_onesweep_iterationIS3_Lb0EPKmPmPS5_SB_mNS0_19identity_decomposerENS1_16block_id_wrapperIjLb0EEEEE10hipError_tT1_PNSt15iterator_traitsISG_E10value_typeET2_T3_PNSH_ISM_E10value_typeET4_T5_PSR_SS_PNS1_23onesweep_lookback_stateEbbT6_jjT7_P12ihipStream_tbENKUlT_T0_SG_SL_E_clIS9_SA_SB_SB_EEDaSZ_S10_SG_SL_EUlSZ_E_NS1_11comp_targetILNS1_3genE9ELNS1_11target_archE1100ELNS1_3gpuE3ELNS1_3repE0EEENS1_47radix_sort_onesweep_sort_config_static_selectorELNS0_4arch9wavefront6targetE0EEEvSG_,"axG",@progbits,_ZN7rocprim17ROCPRIM_400000_NS6detail17trampoline_kernelINS0_14default_configENS1_35radix_sort_onesweep_config_selectorImNS0_10empty_typeEEEZZNS1_29radix_sort_onesweep_iterationIS3_Lb0EPKmPmPS5_SB_mNS0_19identity_decomposerENS1_16block_id_wrapperIjLb0EEEEE10hipError_tT1_PNSt15iterator_traitsISG_E10value_typeET2_T3_PNSH_ISM_E10value_typeET4_T5_PSR_SS_PNS1_23onesweep_lookback_stateEbbT6_jjT7_P12ihipStream_tbENKUlT_T0_SG_SL_E_clIS9_SA_SB_SB_EEDaSZ_S10_SG_SL_EUlSZ_E_NS1_11comp_targetILNS1_3genE9ELNS1_11target_archE1100ELNS1_3gpuE3ELNS1_3repE0EEENS1_47radix_sort_onesweep_sort_config_static_selectorELNS0_4arch9wavefront6targetE0EEEvSG_,comdat
	.protected	_ZN7rocprim17ROCPRIM_400000_NS6detail17trampoline_kernelINS0_14default_configENS1_35radix_sort_onesweep_config_selectorImNS0_10empty_typeEEEZZNS1_29radix_sort_onesweep_iterationIS3_Lb0EPKmPmPS5_SB_mNS0_19identity_decomposerENS1_16block_id_wrapperIjLb0EEEEE10hipError_tT1_PNSt15iterator_traitsISG_E10value_typeET2_T3_PNSH_ISM_E10value_typeET4_T5_PSR_SS_PNS1_23onesweep_lookback_stateEbbT6_jjT7_P12ihipStream_tbENKUlT_T0_SG_SL_E_clIS9_SA_SB_SB_EEDaSZ_S10_SG_SL_EUlSZ_E_NS1_11comp_targetILNS1_3genE9ELNS1_11target_archE1100ELNS1_3gpuE3ELNS1_3repE0EEENS1_47radix_sort_onesweep_sort_config_static_selectorELNS0_4arch9wavefront6targetE0EEEvSG_ ; -- Begin function _ZN7rocprim17ROCPRIM_400000_NS6detail17trampoline_kernelINS0_14default_configENS1_35radix_sort_onesweep_config_selectorImNS0_10empty_typeEEEZZNS1_29radix_sort_onesweep_iterationIS3_Lb0EPKmPmPS5_SB_mNS0_19identity_decomposerENS1_16block_id_wrapperIjLb0EEEEE10hipError_tT1_PNSt15iterator_traitsISG_E10value_typeET2_T3_PNSH_ISM_E10value_typeET4_T5_PSR_SS_PNS1_23onesweep_lookback_stateEbbT6_jjT7_P12ihipStream_tbENKUlT_T0_SG_SL_E_clIS9_SA_SB_SB_EEDaSZ_S10_SG_SL_EUlSZ_E_NS1_11comp_targetILNS1_3genE9ELNS1_11target_archE1100ELNS1_3gpuE3ELNS1_3repE0EEENS1_47radix_sort_onesweep_sort_config_static_selectorELNS0_4arch9wavefront6targetE0EEEvSG_
	.globl	_ZN7rocprim17ROCPRIM_400000_NS6detail17trampoline_kernelINS0_14default_configENS1_35radix_sort_onesweep_config_selectorImNS0_10empty_typeEEEZZNS1_29radix_sort_onesweep_iterationIS3_Lb0EPKmPmPS5_SB_mNS0_19identity_decomposerENS1_16block_id_wrapperIjLb0EEEEE10hipError_tT1_PNSt15iterator_traitsISG_E10value_typeET2_T3_PNSH_ISM_E10value_typeET4_T5_PSR_SS_PNS1_23onesweep_lookback_stateEbbT6_jjT7_P12ihipStream_tbENKUlT_T0_SG_SL_E_clIS9_SA_SB_SB_EEDaSZ_S10_SG_SL_EUlSZ_E_NS1_11comp_targetILNS1_3genE9ELNS1_11target_archE1100ELNS1_3gpuE3ELNS1_3repE0EEENS1_47radix_sort_onesweep_sort_config_static_selectorELNS0_4arch9wavefront6targetE0EEEvSG_
	.p2align	8
	.type	_ZN7rocprim17ROCPRIM_400000_NS6detail17trampoline_kernelINS0_14default_configENS1_35radix_sort_onesweep_config_selectorImNS0_10empty_typeEEEZZNS1_29radix_sort_onesweep_iterationIS3_Lb0EPKmPmPS5_SB_mNS0_19identity_decomposerENS1_16block_id_wrapperIjLb0EEEEE10hipError_tT1_PNSt15iterator_traitsISG_E10value_typeET2_T3_PNSH_ISM_E10value_typeET4_T5_PSR_SS_PNS1_23onesweep_lookback_stateEbbT6_jjT7_P12ihipStream_tbENKUlT_T0_SG_SL_E_clIS9_SA_SB_SB_EEDaSZ_S10_SG_SL_EUlSZ_E_NS1_11comp_targetILNS1_3genE9ELNS1_11target_archE1100ELNS1_3gpuE3ELNS1_3repE0EEENS1_47radix_sort_onesweep_sort_config_static_selectorELNS0_4arch9wavefront6targetE0EEEvSG_,@function
_ZN7rocprim17ROCPRIM_400000_NS6detail17trampoline_kernelINS0_14default_configENS1_35radix_sort_onesweep_config_selectorImNS0_10empty_typeEEEZZNS1_29radix_sort_onesweep_iterationIS3_Lb0EPKmPmPS5_SB_mNS0_19identity_decomposerENS1_16block_id_wrapperIjLb0EEEEE10hipError_tT1_PNSt15iterator_traitsISG_E10value_typeET2_T3_PNSH_ISM_E10value_typeET4_T5_PSR_SS_PNS1_23onesweep_lookback_stateEbbT6_jjT7_P12ihipStream_tbENKUlT_T0_SG_SL_E_clIS9_SA_SB_SB_EEDaSZ_S10_SG_SL_EUlSZ_E_NS1_11comp_targetILNS1_3genE9ELNS1_11target_archE1100ELNS1_3gpuE3ELNS1_3repE0EEENS1_47radix_sort_onesweep_sort_config_static_selectorELNS0_4arch9wavefront6targetE0EEEvSG_: ; @_ZN7rocprim17ROCPRIM_400000_NS6detail17trampoline_kernelINS0_14default_configENS1_35radix_sort_onesweep_config_selectorImNS0_10empty_typeEEEZZNS1_29radix_sort_onesweep_iterationIS3_Lb0EPKmPmPS5_SB_mNS0_19identity_decomposerENS1_16block_id_wrapperIjLb0EEEEE10hipError_tT1_PNSt15iterator_traitsISG_E10value_typeET2_T3_PNSH_ISM_E10value_typeET4_T5_PSR_SS_PNS1_23onesweep_lookback_stateEbbT6_jjT7_P12ihipStream_tbENKUlT_T0_SG_SL_E_clIS9_SA_SB_SB_EEDaSZ_S10_SG_SL_EUlSZ_E_NS1_11comp_targetILNS1_3genE9ELNS1_11target_archE1100ELNS1_3gpuE3ELNS1_3repE0EEENS1_47radix_sort_onesweep_sort_config_static_selectorELNS0_4arch9wavefront6targetE0EEEvSG_
; %bb.0:
	.section	.rodata,"a",@progbits
	.p2align	6, 0x0
	.amdhsa_kernel _ZN7rocprim17ROCPRIM_400000_NS6detail17trampoline_kernelINS0_14default_configENS1_35radix_sort_onesweep_config_selectorImNS0_10empty_typeEEEZZNS1_29radix_sort_onesweep_iterationIS3_Lb0EPKmPmPS5_SB_mNS0_19identity_decomposerENS1_16block_id_wrapperIjLb0EEEEE10hipError_tT1_PNSt15iterator_traitsISG_E10value_typeET2_T3_PNSH_ISM_E10value_typeET4_T5_PSR_SS_PNS1_23onesweep_lookback_stateEbbT6_jjT7_P12ihipStream_tbENKUlT_T0_SG_SL_E_clIS9_SA_SB_SB_EEDaSZ_S10_SG_SL_EUlSZ_E_NS1_11comp_targetILNS1_3genE9ELNS1_11target_archE1100ELNS1_3gpuE3ELNS1_3repE0EEENS1_47radix_sort_onesweep_sort_config_static_selectorELNS0_4arch9wavefront6targetE0EEEvSG_
		.amdhsa_group_segment_fixed_size 0
		.amdhsa_private_segment_fixed_size 0
		.amdhsa_kernarg_size 88
		.amdhsa_user_sgpr_count 2
		.amdhsa_user_sgpr_dispatch_ptr 0
		.amdhsa_user_sgpr_queue_ptr 0
		.amdhsa_user_sgpr_kernarg_segment_ptr 1
		.amdhsa_user_sgpr_dispatch_id 0
		.amdhsa_user_sgpr_kernarg_preload_length 0
		.amdhsa_user_sgpr_kernarg_preload_offset 0
		.amdhsa_user_sgpr_private_segment_size 0
		.amdhsa_wavefront_size32 1
		.amdhsa_uses_dynamic_stack 0
		.amdhsa_enable_private_segment 0
		.amdhsa_system_sgpr_workgroup_id_x 1
		.amdhsa_system_sgpr_workgroup_id_y 0
		.amdhsa_system_sgpr_workgroup_id_z 0
		.amdhsa_system_sgpr_workgroup_info 0
		.amdhsa_system_vgpr_workitem_id 0
		.amdhsa_next_free_vgpr 1
		.amdhsa_next_free_sgpr 1
		.amdhsa_named_barrier_count 0
		.amdhsa_reserve_vcc 0
		.amdhsa_float_round_mode_32 0
		.amdhsa_float_round_mode_16_64 0
		.amdhsa_float_denorm_mode_32 3
		.amdhsa_float_denorm_mode_16_64 3
		.amdhsa_fp16_overflow 0
		.amdhsa_memory_ordered 1
		.amdhsa_forward_progress 1
		.amdhsa_inst_pref_size 0
		.amdhsa_round_robin_scheduling 0
		.amdhsa_exception_fp_ieee_invalid_op 0
		.amdhsa_exception_fp_denorm_src 0
		.amdhsa_exception_fp_ieee_div_zero 0
		.amdhsa_exception_fp_ieee_overflow 0
		.amdhsa_exception_fp_ieee_underflow 0
		.amdhsa_exception_fp_ieee_inexact 0
		.amdhsa_exception_int_div_zero 0
	.end_amdhsa_kernel
	.section	.text._ZN7rocprim17ROCPRIM_400000_NS6detail17trampoline_kernelINS0_14default_configENS1_35radix_sort_onesweep_config_selectorImNS0_10empty_typeEEEZZNS1_29radix_sort_onesweep_iterationIS3_Lb0EPKmPmPS5_SB_mNS0_19identity_decomposerENS1_16block_id_wrapperIjLb0EEEEE10hipError_tT1_PNSt15iterator_traitsISG_E10value_typeET2_T3_PNSH_ISM_E10value_typeET4_T5_PSR_SS_PNS1_23onesweep_lookback_stateEbbT6_jjT7_P12ihipStream_tbENKUlT_T0_SG_SL_E_clIS9_SA_SB_SB_EEDaSZ_S10_SG_SL_EUlSZ_E_NS1_11comp_targetILNS1_3genE9ELNS1_11target_archE1100ELNS1_3gpuE3ELNS1_3repE0EEENS1_47radix_sort_onesweep_sort_config_static_selectorELNS0_4arch9wavefront6targetE0EEEvSG_,"axG",@progbits,_ZN7rocprim17ROCPRIM_400000_NS6detail17trampoline_kernelINS0_14default_configENS1_35radix_sort_onesweep_config_selectorImNS0_10empty_typeEEEZZNS1_29radix_sort_onesweep_iterationIS3_Lb0EPKmPmPS5_SB_mNS0_19identity_decomposerENS1_16block_id_wrapperIjLb0EEEEE10hipError_tT1_PNSt15iterator_traitsISG_E10value_typeET2_T3_PNSH_ISM_E10value_typeET4_T5_PSR_SS_PNS1_23onesweep_lookback_stateEbbT6_jjT7_P12ihipStream_tbENKUlT_T0_SG_SL_E_clIS9_SA_SB_SB_EEDaSZ_S10_SG_SL_EUlSZ_E_NS1_11comp_targetILNS1_3genE9ELNS1_11target_archE1100ELNS1_3gpuE3ELNS1_3repE0EEENS1_47radix_sort_onesweep_sort_config_static_selectorELNS0_4arch9wavefront6targetE0EEEvSG_,comdat
.Lfunc_end3016:
	.size	_ZN7rocprim17ROCPRIM_400000_NS6detail17trampoline_kernelINS0_14default_configENS1_35radix_sort_onesweep_config_selectorImNS0_10empty_typeEEEZZNS1_29radix_sort_onesweep_iterationIS3_Lb0EPKmPmPS5_SB_mNS0_19identity_decomposerENS1_16block_id_wrapperIjLb0EEEEE10hipError_tT1_PNSt15iterator_traitsISG_E10value_typeET2_T3_PNSH_ISM_E10value_typeET4_T5_PSR_SS_PNS1_23onesweep_lookback_stateEbbT6_jjT7_P12ihipStream_tbENKUlT_T0_SG_SL_E_clIS9_SA_SB_SB_EEDaSZ_S10_SG_SL_EUlSZ_E_NS1_11comp_targetILNS1_3genE9ELNS1_11target_archE1100ELNS1_3gpuE3ELNS1_3repE0EEENS1_47radix_sort_onesweep_sort_config_static_selectorELNS0_4arch9wavefront6targetE0EEEvSG_, .Lfunc_end3016-_ZN7rocprim17ROCPRIM_400000_NS6detail17trampoline_kernelINS0_14default_configENS1_35radix_sort_onesweep_config_selectorImNS0_10empty_typeEEEZZNS1_29radix_sort_onesweep_iterationIS3_Lb0EPKmPmPS5_SB_mNS0_19identity_decomposerENS1_16block_id_wrapperIjLb0EEEEE10hipError_tT1_PNSt15iterator_traitsISG_E10value_typeET2_T3_PNSH_ISM_E10value_typeET4_T5_PSR_SS_PNS1_23onesweep_lookback_stateEbbT6_jjT7_P12ihipStream_tbENKUlT_T0_SG_SL_E_clIS9_SA_SB_SB_EEDaSZ_S10_SG_SL_EUlSZ_E_NS1_11comp_targetILNS1_3genE9ELNS1_11target_archE1100ELNS1_3gpuE3ELNS1_3repE0EEENS1_47radix_sort_onesweep_sort_config_static_selectorELNS0_4arch9wavefront6targetE0EEEvSG_
                                        ; -- End function
	.set _ZN7rocprim17ROCPRIM_400000_NS6detail17trampoline_kernelINS0_14default_configENS1_35radix_sort_onesweep_config_selectorImNS0_10empty_typeEEEZZNS1_29radix_sort_onesweep_iterationIS3_Lb0EPKmPmPS5_SB_mNS0_19identity_decomposerENS1_16block_id_wrapperIjLb0EEEEE10hipError_tT1_PNSt15iterator_traitsISG_E10value_typeET2_T3_PNSH_ISM_E10value_typeET4_T5_PSR_SS_PNS1_23onesweep_lookback_stateEbbT6_jjT7_P12ihipStream_tbENKUlT_T0_SG_SL_E_clIS9_SA_SB_SB_EEDaSZ_S10_SG_SL_EUlSZ_E_NS1_11comp_targetILNS1_3genE9ELNS1_11target_archE1100ELNS1_3gpuE3ELNS1_3repE0EEENS1_47radix_sort_onesweep_sort_config_static_selectorELNS0_4arch9wavefront6targetE0EEEvSG_.num_vgpr, 0
	.set _ZN7rocprim17ROCPRIM_400000_NS6detail17trampoline_kernelINS0_14default_configENS1_35radix_sort_onesweep_config_selectorImNS0_10empty_typeEEEZZNS1_29radix_sort_onesweep_iterationIS3_Lb0EPKmPmPS5_SB_mNS0_19identity_decomposerENS1_16block_id_wrapperIjLb0EEEEE10hipError_tT1_PNSt15iterator_traitsISG_E10value_typeET2_T3_PNSH_ISM_E10value_typeET4_T5_PSR_SS_PNS1_23onesweep_lookback_stateEbbT6_jjT7_P12ihipStream_tbENKUlT_T0_SG_SL_E_clIS9_SA_SB_SB_EEDaSZ_S10_SG_SL_EUlSZ_E_NS1_11comp_targetILNS1_3genE9ELNS1_11target_archE1100ELNS1_3gpuE3ELNS1_3repE0EEENS1_47radix_sort_onesweep_sort_config_static_selectorELNS0_4arch9wavefront6targetE0EEEvSG_.num_agpr, 0
	.set _ZN7rocprim17ROCPRIM_400000_NS6detail17trampoline_kernelINS0_14default_configENS1_35radix_sort_onesweep_config_selectorImNS0_10empty_typeEEEZZNS1_29radix_sort_onesweep_iterationIS3_Lb0EPKmPmPS5_SB_mNS0_19identity_decomposerENS1_16block_id_wrapperIjLb0EEEEE10hipError_tT1_PNSt15iterator_traitsISG_E10value_typeET2_T3_PNSH_ISM_E10value_typeET4_T5_PSR_SS_PNS1_23onesweep_lookback_stateEbbT6_jjT7_P12ihipStream_tbENKUlT_T0_SG_SL_E_clIS9_SA_SB_SB_EEDaSZ_S10_SG_SL_EUlSZ_E_NS1_11comp_targetILNS1_3genE9ELNS1_11target_archE1100ELNS1_3gpuE3ELNS1_3repE0EEENS1_47radix_sort_onesweep_sort_config_static_selectorELNS0_4arch9wavefront6targetE0EEEvSG_.numbered_sgpr, 0
	.set _ZN7rocprim17ROCPRIM_400000_NS6detail17trampoline_kernelINS0_14default_configENS1_35radix_sort_onesweep_config_selectorImNS0_10empty_typeEEEZZNS1_29radix_sort_onesweep_iterationIS3_Lb0EPKmPmPS5_SB_mNS0_19identity_decomposerENS1_16block_id_wrapperIjLb0EEEEE10hipError_tT1_PNSt15iterator_traitsISG_E10value_typeET2_T3_PNSH_ISM_E10value_typeET4_T5_PSR_SS_PNS1_23onesweep_lookback_stateEbbT6_jjT7_P12ihipStream_tbENKUlT_T0_SG_SL_E_clIS9_SA_SB_SB_EEDaSZ_S10_SG_SL_EUlSZ_E_NS1_11comp_targetILNS1_3genE9ELNS1_11target_archE1100ELNS1_3gpuE3ELNS1_3repE0EEENS1_47radix_sort_onesweep_sort_config_static_selectorELNS0_4arch9wavefront6targetE0EEEvSG_.num_named_barrier, 0
	.set _ZN7rocprim17ROCPRIM_400000_NS6detail17trampoline_kernelINS0_14default_configENS1_35radix_sort_onesweep_config_selectorImNS0_10empty_typeEEEZZNS1_29radix_sort_onesweep_iterationIS3_Lb0EPKmPmPS5_SB_mNS0_19identity_decomposerENS1_16block_id_wrapperIjLb0EEEEE10hipError_tT1_PNSt15iterator_traitsISG_E10value_typeET2_T3_PNSH_ISM_E10value_typeET4_T5_PSR_SS_PNS1_23onesweep_lookback_stateEbbT6_jjT7_P12ihipStream_tbENKUlT_T0_SG_SL_E_clIS9_SA_SB_SB_EEDaSZ_S10_SG_SL_EUlSZ_E_NS1_11comp_targetILNS1_3genE9ELNS1_11target_archE1100ELNS1_3gpuE3ELNS1_3repE0EEENS1_47radix_sort_onesweep_sort_config_static_selectorELNS0_4arch9wavefront6targetE0EEEvSG_.private_seg_size, 0
	.set _ZN7rocprim17ROCPRIM_400000_NS6detail17trampoline_kernelINS0_14default_configENS1_35radix_sort_onesweep_config_selectorImNS0_10empty_typeEEEZZNS1_29radix_sort_onesweep_iterationIS3_Lb0EPKmPmPS5_SB_mNS0_19identity_decomposerENS1_16block_id_wrapperIjLb0EEEEE10hipError_tT1_PNSt15iterator_traitsISG_E10value_typeET2_T3_PNSH_ISM_E10value_typeET4_T5_PSR_SS_PNS1_23onesweep_lookback_stateEbbT6_jjT7_P12ihipStream_tbENKUlT_T0_SG_SL_E_clIS9_SA_SB_SB_EEDaSZ_S10_SG_SL_EUlSZ_E_NS1_11comp_targetILNS1_3genE9ELNS1_11target_archE1100ELNS1_3gpuE3ELNS1_3repE0EEENS1_47radix_sort_onesweep_sort_config_static_selectorELNS0_4arch9wavefront6targetE0EEEvSG_.uses_vcc, 0
	.set _ZN7rocprim17ROCPRIM_400000_NS6detail17trampoline_kernelINS0_14default_configENS1_35radix_sort_onesweep_config_selectorImNS0_10empty_typeEEEZZNS1_29radix_sort_onesweep_iterationIS3_Lb0EPKmPmPS5_SB_mNS0_19identity_decomposerENS1_16block_id_wrapperIjLb0EEEEE10hipError_tT1_PNSt15iterator_traitsISG_E10value_typeET2_T3_PNSH_ISM_E10value_typeET4_T5_PSR_SS_PNS1_23onesweep_lookback_stateEbbT6_jjT7_P12ihipStream_tbENKUlT_T0_SG_SL_E_clIS9_SA_SB_SB_EEDaSZ_S10_SG_SL_EUlSZ_E_NS1_11comp_targetILNS1_3genE9ELNS1_11target_archE1100ELNS1_3gpuE3ELNS1_3repE0EEENS1_47radix_sort_onesweep_sort_config_static_selectorELNS0_4arch9wavefront6targetE0EEEvSG_.uses_flat_scratch, 0
	.set _ZN7rocprim17ROCPRIM_400000_NS6detail17trampoline_kernelINS0_14default_configENS1_35radix_sort_onesweep_config_selectorImNS0_10empty_typeEEEZZNS1_29radix_sort_onesweep_iterationIS3_Lb0EPKmPmPS5_SB_mNS0_19identity_decomposerENS1_16block_id_wrapperIjLb0EEEEE10hipError_tT1_PNSt15iterator_traitsISG_E10value_typeET2_T3_PNSH_ISM_E10value_typeET4_T5_PSR_SS_PNS1_23onesweep_lookback_stateEbbT6_jjT7_P12ihipStream_tbENKUlT_T0_SG_SL_E_clIS9_SA_SB_SB_EEDaSZ_S10_SG_SL_EUlSZ_E_NS1_11comp_targetILNS1_3genE9ELNS1_11target_archE1100ELNS1_3gpuE3ELNS1_3repE0EEENS1_47radix_sort_onesweep_sort_config_static_selectorELNS0_4arch9wavefront6targetE0EEEvSG_.has_dyn_sized_stack, 0
	.set _ZN7rocprim17ROCPRIM_400000_NS6detail17trampoline_kernelINS0_14default_configENS1_35radix_sort_onesweep_config_selectorImNS0_10empty_typeEEEZZNS1_29radix_sort_onesweep_iterationIS3_Lb0EPKmPmPS5_SB_mNS0_19identity_decomposerENS1_16block_id_wrapperIjLb0EEEEE10hipError_tT1_PNSt15iterator_traitsISG_E10value_typeET2_T3_PNSH_ISM_E10value_typeET4_T5_PSR_SS_PNS1_23onesweep_lookback_stateEbbT6_jjT7_P12ihipStream_tbENKUlT_T0_SG_SL_E_clIS9_SA_SB_SB_EEDaSZ_S10_SG_SL_EUlSZ_E_NS1_11comp_targetILNS1_3genE9ELNS1_11target_archE1100ELNS1_3gpuE3ELNS1_3repE0EEENS1_47radix_sort_onesweep_sort_config_static_selectorELNS0_4arch9wavefront6targetE0EEEvSG_.has_recursion, 0
	.set _ZN7rocprim17ROCPRIM_400000_NS6detail17trampoline_kernelINS0_14default_configENS1_35radix_sort_onesweep_config_selectorImNS0_10empty_typeEEEZZNS1_29radix_sort_onesweep_iterationIS3_Lb0EPKmPmPS5_SB_mNS0_19identity_decomposerENS1_16block_id_wrapperIjLb0EEEEE10hipError_tT1_PNSt15iterator_traitsISG_E10value_typeET2_T3_PNSH_ISM_E10value_typeET4_T5_PSR_SS_PNS1_23onesweep_lookback_stateEbbT6_jjT7_P12ihipStream_tbENKUlT_T0_SG_SL_E_clIS9_SA_SB_SB_EEDaSZ_S10_SG_SL_EUlSZ_E_NS1_11comp_targetILNS1_3genE9ELNS1_11target_archE1100ELNS1_3gpuE3ELNS1_3repE0EEENS1_47radix_sort_onesweep_sort_config_static_selectorELNS0_4arch9wavefront6targetE0EEEvSG_.has_indirect_call, 0
	.section	.AMDGPU.csdata,"",@progbits
; Kernel info:
; codeLenInByte = 0
; TotalNumSgprs: 0
; NumVgprs: 0
; ScratchSize: 0
; MemoryBound: 0
; FloatMode: 240
; IeeeMode: 1
; LDSByteSize: 0 bytes/workgroup (compile time only)
; SGPRBlocks: 0
; VGPRBlocks: 0
; NumSGPRsForWavesPerEU: 1
; NumVGPRsForWavesPerEU: 1
; NamedBarCnt: 0
; Occupancy: 16
; WaveLimiterHint : 0
; COMPUTE_PGM_RSRC2:SCRATCH_EN: 0
; COMPUTE_PGM_RSRC2:USER_SGPR: 2
; COMPUTE_PGM_RSRC2:TRAP_HANDLER: 0
; COMPUTE_PGM_RSRC2:TGID_X_EN: 1
; COMPUTE_PGM_RSRC2:TGID_Y_EN: 0
; COMPUTE_PGM_RSRC2:TGID_Z_EN: 0
; COMPUTE_PGM_RSRC2:TIDIG_COMP_CNT: 0
	.section	.text._ZN7rocprim17ROCPRIM_400000_NS6detail17trampoline_kernelINS0_14default_configENS1_35radix_sort_onesweep_config_selectorImNS0_10empty_typeEEEZZNS1_29radix_sort_onesweep_iterationIS3_Lb0EPKmPmPS5_SB_mNS0_19identity_decomposerENS1_16block_id_wrapperIjLb0EEEEE10hipError_tT1_PNSt15iterator_traitsISG_E10value_typeET2_T3_PNSH_ISM_E10value_typeET4_T5_PSR_SS_PNS1_23onesweep_lookback_stateEbbT6_jjT7_P12ihipStream_tbENKUlT_T0_SG_SL_E_clIS9_SA_SB_SB_EEDaSZ_S10_SG_SL_EUlSZ_E_NS1_11comp_targetILNS1_3genE8ELNS1_11target_archE1030ELNS1_3gpuE2ELNS1_3repE0EEENS1_47radix_sort_onesweep_sort_config_static_selectorELNS0_4arch9wavefront6targetE0EEEvSG_,"axG",@progbits,_ZN7rocprim17ROCPRIM_400000_NS6detail17trampoline_kernelINS0_14default_configENS1_35radix_sort_onesweep_config_selectorImNS0_10empty_typeEEEZZNS1_29radix_sort_onesweep_iterationIS3_Lb0EPKmPmPS5_SB_mNS0_19identity_decomposerENS1_16block_id_wrapperIjLb0EEEEE10hipError_tT1_PNSt15iterator_traitsISG_E10value_typeET2_T3_PNSH_ISM_E10value_typeET4_T5_PSR_SS_PNS1_23onesweep_lookback_stateEbbT6_jjT7_P12ihipStream_tbENKUlT_T0_SG_SL_E_clIS9_SA_SB_SB_EEDaSZ_S10_SG_SL_EUlSZ_E_NS1_11comp_targetILNS1_3genE8ELNS1_11target_archE1030ELNS1_3gpuE2ELNS1_3repE0EEENS1_47radix_sort_onesweep_sort_config_static_selectorELNS0_4arch9wavefront6targetE0EEEvSG_,comdat
	.protected	_ZN7rocprim17ROCPRIM_400000_NS6detail17trampoline_kernelINS0_14default_configENS1_35radix_sort_onesweep_config_selectorImNS0_10empty_typeEEEZZNS1_29radix_sort_onesweep_iterationIS3_Lb0EPKmPmPS5_SB_mNS0_19identity_decomposerENS1_16block_id_wrapperIjLb0EEEEE10hipError_tT1_PNSt15iterator_traitsISG_E10value_typeET2_T3_PNSH_ISM_E10value_typeET4_T5_PSR_SS_PNS1_23onesweep_lookback_stateEbbT6_jjT7_P12ihipStream_tbENKUlT_T0_SG_SL_E_clIS9_SA_SB_SB_EEDaSZ_S10_SG_SL_EUlSZ_E_NS1_11comp_targetILNS1_3genE8ELNS1_11target_archE1030ELNS1_3gpuE2ELNS1_3repE0EEENS1_47radix_sort_onesweep_sort_config_static_selectorELNS0_4arch9wavefront6targetE0EEEvSG_ ; -- Begin function _ZN7rocprim17ROCPRIM_400000_NS6detail17trampoline_kernelINS0_14default_configENS1_35radix_sort_onesweep_config_selectorImNS0_10empty_typeEEEZZNS1_29radix_sort_onesweep_iterationIS3_Lb0EPKmPmPS5_SB_mNS0_19identity_decomposerENS1_16block_id_wrapperIjLb0EEEEE10hipError_tT1_PNSt15iterator_traitsISG_E10value_typeET2_T3_PNSH_ISM_E10value_typeET4_T5_PSR_SS_PNS1_23onesweep_lookback_stateEbbT6_jjT7_P12ihipStream_tbENKUlT_T0_SG_SL_E_clIS9_SA_SB_SB_EEDaSZ_S10_SG_SL_EUlSZ_E_NS1_11comp_targetILNS1_3genE8ELNS1_11target_archE1030ELNS1_3gpuE2ELNS1_3repE0EEENS1_47radix_sort_onesweep_sort_config_static_selectorELNS0_4arch9wavefront6targetE0EEEvSG_
	.globl	_ZN7rocprim17ROCPRIM_400000_NS6detail17trampoline_kernelINS0_14default_configENS1_35radix_sort_onesweep_config_selectorImNS0_10empty_typeEEEZZNS1_29radix_sort_onesweep_iterationIS3_Lb0EPKmPmPS5_SB_mNS0_19identity_decomposerENS1_16block_id_wrapperIjLb0EEEEE10hipError_tT1_PNSt15iterator_traitsISG_E10value_typeET2_T3_PNSH_ISM_E10value_typeET4_T5_PSR_SS_PNS1_23onesweep_lookback_stateEbbT6_jjT7_P12ihipStream_tbENKUlT_T0_SG_SL_E_clIS9_SA_SB_SB_EEDaSZ_S10_SG_SL_EUlSZ_E_NS1_11comp_targetILNS1_3genE8ELNS1_11target_archE1030ELNS1_3gpuE2ELNS1_3repE0EEENS1_47radix_sort_onesweep_sort_config_static_selectorELNS0_4arch9wavefront6targetE0EEEvSG_
	.p2align	8
	.type	_ZN7rocprim17ROCPRIM_400000_NS6detail17trampoline_kernelINS0_14default_configENS1_35radix_sort_onesweep_config_selectorImNS0_10empty_typeEEEZZNS1_29radix_sort_onesweep_iterationIS3_Lb0EPKmPmPS5_SB_mNS0_19identity_decomposerENS1_16block_id_wrapperIjLb0EEEEE10hipError_tT1_PNSt15iterator_traitsISG_E10value_typeET2_T3_PNSH_ISM_E10value_typeET4_T5_PSR_SS_PNS1_23onesweep_lookback_stateEbbT6_jjT7_P12ihipStream_tbENKUlT_T0_SG_SL_E_clIS9_SA_SB_SB_EEDaSZ_S10_SG_SL_EUlSZ_E_NS1_11comp_targetILNS1_3genE8ELNS1_11target_archE1030ELNS1_3gpuE2ELNS1_3repE0EEENS1_47radix_sort_onesweep_sort_config_static_selectorELNS0_4arch9wavefront6targetE0EEEvSG_,@function
_ZN7rocprim17ROCPRIM_400000_NS6detail17trampoline_kernelINS0_14default_configENS1_35radix_sort_onesweep_config_selectorImNS0_10empty_typeEEEZZNS1_29radix_sort_onesweep_iterationIS3_Lb0EPKmPmPS5_SB_mNS0_19identity_decomposerENS1_16block_id_wrapperIjLb0EEEEE10hipError_tT1_PNSt15iterator_traitsISG_E10value_typeET2_T3_PNSH_ISM_E10value_typeET4_T5_PSR_SS_PNS1_23onesweep_lookback_stateEbbT6_jjT7_P12ihipStream_tbENKUlT_T0_SG_SL_E_clIS9_SA_SB_SB_EEDaSZ_S10_SG_SL_EUlSZ_E_NS1_11comp_targetILNS1_3genE8ELNS1_11target_archE1030ELNS1_3gpuE2ELNS1_3repE0EEENS1_47radix_sort_onesweep_sort_config_static_selectorELNS0_4arch9wavefront6targetE0EEEvSG_: ; @_ZN7rocprim17ROCPRIM_400000_NS6detail17trampoline_kernelINS0_14default_configENS1_35radix_sort_onesweep_config_selectorImNS0_10empty_typeEEEZZNS1_29radix_sort_onesweep_iterationIS3_Lb0EPKmPmPS5_SB_mNS0_19identity_decomposerENS1_16block_id_wrapperIjLb0EEEEE10hipError_tT1_PNSt15iterator_traitsISG_E10value_typeET2_T3_PNSH_ISM_E10value_typeET4_T5_PSR_SS_PNS1_23onesweep_lookback_stateEbbT6_jjT7_P12ihipStream_tbENKUlT_T0_SG_SL_E_clIS9_SA_SB_SB_EEDaSZ_S10_SG_SL_EUlSZ_E_NS1_11comp_targetILNS1_3genE8ELNS1_11target_archE1030ELNS1_3gpuE2ELNS1_3repE0EEENS1_47radix_sort_onesweep_sort_config_static_selectorELNS0_4arch9wavefront6targetE0EEEvSG_
; %bb.0:
	.section	.rodata,"a",@progbits
	.p2align	6, 0x0
	.amdhsa_kernel _ZN7rocprim17ROCPRIM_400000_NS6detail17trampoline_kernelINS0_14default_configENS1_35radix_sort_onesweep_config_selectorImNS0_10empty_typeEEEZZNS1_29radix_sort_onesweep_iterationIS3_Lb0EPKmPmPS5_SB_mNS0_19identity_decomposerENS1_16block_id_wrapperIjLb0EEEEE10hipError_tT1_PNSt15iterator_traitsISG_E10value_typeET2_T3_PNSH_ISM_E10value_typeET4_T5_PSR_SS_PNS1_23onesweep_lookback_stateEbbT6_jjT7_P12ihipStream_tbENKUlT_T0_SG_SL_E_clIS9_SA_SB_SB_EEDaSZ_S10_SG_SL_EUlSZ_E_NS1_11comp_targetILNS1_3genE8ELNS1_11target_archE1030ELNS1_3gpuE2ELNS1_3repE0EEENS1_47radix_sort_onesweep_sort_config_static_selectorELNS0_4arch9wavefront6targetE0EEEvSG_
		.amdhsa_group_segment_fixed_size 0
		.amdhsa_private_segment_fixed_size 0
		.amdhsa_kernarg_size 88
		.amdhsa_user_sgpr_count 2
		.amdhsa_user_sgpr_dispatch_ptr 0
		.amdhsa_user_sgpr_queue_ptr 0
		.amdhsa_user_sgpr_kernarg_segment_ptr 1
		.amdhsa_user_sgpr_dispatch_id 0
		.amdhsa_user_sgpr_kernarg_preload_length 0
		.amdhsa_user_sgpr_kernarg_preload_offset 0
		.amdhsa_user_sgpr_private_segment_size 0
		.amdhsa_wavefront_size32 1
		.amdhsa_uses_dynamic_stack 0
		.amdhsa_enable_private_segment 0
		.amdhsa_system_sgpr_workgroup_id_x 1
		.amdhsa_system_sgpr_workgroup_id_y 0
		.amdhsa_system_sgpr_workgroup_id_z 0
		.amdhsa_system_sgpr_workgroup_info 0
		.amdhsa_system_vgpr_workitem_id 0
		.amdhsa_next_free_vgpr 1
		.amdhsa_next_free_sgpr 1
		.amdhsa_named_barrier_count 0
		.amdhsa_reserve_vcc 0
		.amdhsa_float_round_mode_32 0
		.amdhsa_float_round_mode_16_64 0
		.amdhsa_float_denorm_mode_32 3
		.amdhsa_float_denorm_mode_16_64 3
		.amdhsa_fp16_overflow 0
		.amdhsa_memory_ordered 1
		.amdhsa_forward_progress 1
		.amdhsa_inst_pref_size 0
		.amdhsa_round_robin_scheduling 0
		.amdhsa_exception_fp_ieee_invalid_op 0
		.amdhsa_exception_fp_denorm_src 0
		.amdhsa_exception_fp_ieee_div_zero 0
		.amdhsa_exception_fp_ieee_overflow 0
		.amdhsa_exception_fp_ieee_underflow 0
		.amdhsa_exception_fp_ieee_inexact 0
		.amdhsa_exception_int_div_zero 0
	.end_amdhsa_kernel
	.section	.text._ZN7rocprim17ROCPRIM_400000_NS6detail17trampoline_kernelINS0_14default_configENS1_35radix_sort_onesweep_config_selectorImNS0_10empty_typeEEEZZNS1_29radix_sort_onesweep_iterationIS3_Lb0EPKmPmPS5_SB_mNS0_19identity_decomposerENS1_16block_id_wrapperIjLb0EEEEE10hipError_tT1_PNSt15iterator_traitsISG_E10value_typeET2_T3_PNSH_ISM_E10value_typeET4_T5_PSR_SS_PNS1_23onesweep_lookback_stateEbbT6_jjT7_P12ihipStream_tbENKUlT_T0_SG_SL_E_clIS9_SA_SB_SB_EEDaSZ_S10_SG_SL_EUlSZ_E_NS1_11comp_targetILNS1_3genE8ELNS1_11target_archE1030ELNS1_3gpuE2ELNS1_3repE0EEENS1_47radix_sort_onesweep_sort_config_static_selectorELNS0_4arch9wavefront6targetE0EEEvSG_,"axG",@progbits,_ZN7rocprim17ROCPRIM_400000_NS6detail17trampoline_kernelINS0_14default_configENS1_35radix_sort_onesweep_config_selectorImNS0_10empty_typeEEEZZNS1_29radix_sort_onesweep_iterationIS3_Lb0EPKmPmPS5_SB_mNS0_19identity_decomposerENS1_16block_id_wrapperIjLb0EEEEE10hipError_tT1_PNSt15iterator_traitsISG_E10value_typeET2_T3_PNSH_ISM_E10value_typeET4_T5_PSR_SS_PNS1_23onesweep_lookback_stateEbbT6_jjT7_P12ihipStream_tbENKUlT_T0_SG_SL_E_clIS9_SA_SB_SB_EEDaSZ_S10_SG_SL_EUlSZ_E_NS1_11comp_targetILNS1_3genE8ELNS1_11target_archE1030ELNS1_3gpuE2ELNS1_3repE0EEENS1_47radix_sort_onesweep_sort_config_static_selectorELNS0_4arch9wavefront6targetE0EEEvSG_,comdat
.Lfunc_end3017:
	.size	_ZN7rocprim17ROCPRIM_400000_NS6detail17trampoline_kernelINS0_14default_configENS1_35radix_sort_onesweep_config_selectorImNS0_10empty_typeEEEZZNS1_29radix_sort_onesweep_iterationIS3_Lb0EPKmPmPS5_SB_mNS0_19identity_decomposerENS1_16block_id_wrapperIjLb0EEEEE10hipError_tT1_PNSt15iterator_traitsISG_E10value_typeET2_T3_PNSH_ISM_E10value_typeET4_T5_PSR_SS_PNS1_23onesweep_lookback_stateEbbT6_jjT7_P12ihipStream_tbENKUlT_T0_SG_SL_E_clIS9_SA_SB_SB_EEDaSZ_S10_SG_SL_EUlSZ_E_NS1_11comp_targetILNS1_3genE8ELNS1_11target_archE1030ELNS1_3gpuE2ELNS1_3repE0EEENS1_47radix_sort_onesweep_sort_config_static_selectorELNS0_4arch9wavefront6targetE0EEEvSG_, .Lfunc_end3017-_ZN7rocprim17ROCPRIM_400000_NS6detail17trampoline_kernelINS0_14default_configENS1_35radix_sort_onesweep_config_selectorImNS0_10empty_typeEEEZZNS1_29radix_sort_onesweep_iterationIS3_Lb0EPKmPmPS5_SB_mNS0_19identity_decomposerENS1_16block_id_wrapperIjLb0EEEEE10hipError_tT1_PNSt15iterator_traitsISG_E10value_typeET2_T3_PNSH_ISM_E10value_typeET4_T5_PSR_SS_PNS1_23onesweep_lookback_stateEbbT6_jjT7_P12ihipStream_tbENKUlT_T0_SG_SL_E_clIS9_SA_SB_SB_EEDaSZ_S10_SG_SL_EUlSZ_E_NS1_11comp_targetILNS1_3genE8ELNS1_11target_archE1030ELNS1_3gpuE2ELNS1_3repE0EEENS1_47radix_sort_onesweep_sort_config_static_selectorELNS0_4arch9wavefront6targetE0EEEvSG_
                                        ; -- End function
	.set _ZN7rocprim17ROCPRIM_400000_NS6detail17trampoline_kernelINS0_14default_configENS1_35radix_sort_onesweep_config_selectorImNS0_10empty_typeEEEZZNS1_29radix_sort_onesweep_iterationIS3_Lb0EPKmPmPS5_SB_mNS0_19identity_decomposerENS1_16block_id_wrapperIjLb0EEEEE10hipError_tT1_PNSt15iterator_traitsISG_E10value_typeET2_T3_PNSH_ISM_E10value_typeET4_T5_PSR_SS_PNS1_23onesweep_lookback_stateEbbT6_jjT7_P12ihipStream_tbENKUlT_T0_SG_SL_E_clIS9_SA_SB_SB_EEDaSZ_S10_SG_SL_EUlSZ_E_NS1_11comp_targetILNS1_3genE8ELNS1_11target_archE1030ELNS1_3gpuE2ELNS1_3repE0EEENS1_47radix_sort_onesweep_sort_config_static_selectorELNS0_4arch9wavefront6targetE0EEEvSG_.num_vgpr, 0
	.set _ZN7rocprim17ROCPRIM_400000_NS6detail17trampoline_kernelINS0_14default_configENS1_35radix_sort_onesweep_config_selectorImNS0_10empty_typeEEEZZNS1_29radix_sort_onesweep_iterationIS3_Lb0EPKmPmPS5_SB_mNS0_19identity_decomposerENS1_16block_id_wrapperIjLb0EEEEE10hipError_tT1_PNSt15iterator_traitsISG_E10value_typeET2_T3_PNSH_ISM_E10value_typeET4_T5_PSR_SS_PNS1_23onesweep_lookback_stateEbbT6_jjT7_P12ihipStream_tbENKUlT_T0_SG_SL_E_clIS9_SA_SB_SB_EEDaSZ_S10_SG_SL_EUlSZ_E_NS1_11comp_targetILNS1_3genE8ELNS1_11target_archE1030ELNS1_3gpuE2ELNS1_3repE0EEENS1_47radix_sort_onesweep_sort_config_static_selectorELNS0_4arch9wavefront6targetE0EEEvSG_.num_agpr, 0
	.set _ZN7rocprim17ROCPRIM_400000_NS6detail17trampoline_kernelINS0_14default_configENS1_35radix_sort_onesweep_config_selectorImNS0_10empty_typeEEEZZNS1_29radix_sort_onesweep_iterationIS3_Lb0EPKmPmPS5_SB_mNS0_19identity_decomposerENS1_16block_id_wrapperIjLb0EEEEE10hipError_tT1_PNSt15iterator_traitsISG_E10value_typeET2_T3_PNSH_ISM_E10value_typeET4_T5_PSR_SS_PNS1_23onesweep_lookback_stateEbbT6_jjT7_P12ihipStream_tbENKUlT_T0_SG_SL_E_clIS9_SA_SB_SB_EEDaSZ_S10_SG_SL_EUlSZ_E_NS1_11comp_targetILNS1_3genE8ELNS1_11target_archE1030ELNS1_3gpuE2ELNS1_3repE0EEENS1_47radix_sort_onesweep_sort_config_static_selectorELNS0_4arch9wavefront6targetE0EEEvSG_.numbered_sgpr, 0
	.set _ZN7rocprim17ROCPRIM_400000_NS6detail17trampoline_kernelINS0_14default_configENS1_35radix_sort_onesweep_config_selectorImNS0_10empty_typeEEEZZNS1_29radix_sort_onesweep_iterationIS3_Lb0EPKmPmPS5_SB_mNS0_19identity_decomposerENS1_16block_id_wrapperIjLb0EEEEE10hipError_tT1_PNSt15iterator_traitsISG_E10value_typeET2_T3_PNSH_ISM_E10value_typeET4_T5_PSR_SS_PNS1_23onesweep_lookback_stateEbbT6_jjT7_P12ihipStream_tbENKUlT_T0_SG_SL_E_clIS9_SA_SB_SB_EEDaSZ_S10_SG_SL_EUlSZ_E_NS1_11comp_targetILNS1_3genE8ELNS1_11target_archE1030ELNS1_3gpuE2ELNS1_3repE0EEENS1_47radix_sort_onesweep_sort_config_static_selectorELNS0_4arch9wavefront6targetE0EEEvSG_.num_named_barrier, 0
	.set _ZN7rocprim17ROCPRIM_400000_NS6detail17trampoline_kernelINS0_14default_configENS1_35radix_sort_onesweep_config_selectorImNS0_10empty_typeEEEZZNS1_29radix_sort_onesweep_iterationIS3_Lb0EPKmPmPS5_SB_mNS0_19identity_decomposerENS1_16block_id_wrapperIjLb0EEEEE10hipError_tT1_PNSt15iterator_traitsISG_E10value_typeET2_T3_PNSH_ISM_E10value_typeET4_T5_PSR_SS_PNS1_23onesweep_lookback_stateEbbT6_jjT7_P12ihipStream_tbENKUlT_T0_SG_SL_E_clIS9_SA_SB_SB_EEDaSZ_S10_SG_SL_EUlSZ_E_NS1_11comp_targetILNS1_3genE8ELNS1_11target_archE1030ELNS1_3gpuE2ELNS1_3repE0EEENS1_47radix_sort_onesweep_sort_config_static_selectorELNS0_4arch9wavefront6targetE0EEEvSG_.private_seg_size, 0
	.set _ZN7rocprim17ROCPRIM_400000_NS6detail17trampoline_kernelINS0_14default_configENS1_35radix_sort_onesweep_config_selectorImNS0_10empty_typeEEEZZNS1_29radix_sort_onesweep_iterationIS3_Lb0EPKmPmPS5_SB_mNS0_19identity_decomposerENS1_16block_id_wrapperIjLb0EEEEE10hipError_tT1_PNSt15iterator_traitsISG_E10value_typeET2_T3_PNSH_ISM_E10value_typeET4_T5_PSR_SS_PNS1_23onesweep_lookback_stateEbbT6_jjT7_P12ihipStream_tbENKUlT_T0_SG_SL_E_clIS9_SA_SB_SB_EEDaSZ_S10_SG_SL_EUlSZ_E_NS1_11comp_targetILNS1_3genE8ELNS1_11target_archE1030ELNS1_3gpuE2ELNS1_3repE0EEENS1_47radix_sort_onesweep_sort_config_static_selectorELNS0_4arch9wavefront6targetE0EEEvSG_.uses_vcc, 0
	.set _ZN7rocprim17ROCPRIM_400000_NS6detail17trampoline_kernelINS0_14default_configENS1_35radix_sort_onesweep_config_selectorImNS0_10empty_typeEEEZZNS1_29radix_sort_onesweep_iterationIS3_Lb0EPKmPmPS5_SB_mNS0_19identity_decomposerENS1_16block_id_wrapperIjLb0EEEEE10hipError_tT1_PNSt15iterator_traitsISG_E10value_typeET2_T3_PNSH_ISM_E10value_typeET4_T5_PSR_SS_PNS1_23onesweep_lookback_stateEbbT6_jjT7_P12ihipStream_tbENKUlT_T0_SG_SL_E_clIS9_SA_SB_SB_EEDaSZ_S10_SG_SL_EUlSZ_E_NS1_11comp_targetILNS1_3genE8ELNS1_11target_archE1030ELNS1_3gpuE2ELNS1_3repE0EEENS1_47radix_sort_onesweep_sort_config_static_selectorELNS0_4arch9wavefront6targetE0EEEvSG_.uses_flat_scratch, 0
	.set _ZN7rocprim17ROCPRIM_400000_NS6detail17trampoline_kernelINS0_14default_configENS1_35radix_sort_onesweep_config_selectorImNS0_10empty_typeEEEZZNS1_29radix_sort_onesweep_iterationIS3_Lb0EPKmPmPS5_SB_mNS0_19identity_decomposerENS1_16block_id_wrapperIjLb0EEEEE10hipError_tT1_PNSt15iterator_traitsISG_E10value_typeET2_T3_PNSH_ISM_E10value_typeET4_T5_PSR_SS_PNS1_23onesweep_lookback_stateEbbT6_jjT7_P12ihipStream_tbENKUlT_T0_SG_SL_E_clIS9_SA_SB_SB_EEDaSZ_S10_SG_SL_EUlSZ_E_NS1_11comp_targetILNS1_3genE8ELNS1_11target_archE1030ELNS1_3gpuE2ELNS1_3repE0EEENS1_47radix_sort_onesweep_sort_config_static_selectorELNS0_4arch9wavefront6targetE0EEEvSG_.has_dyn_sized_stack, 0
	.set _ZN7rocprim17ROCPRIM_400000_NS6detail17trampoline_kernelINS0_14default_configENS1_35radix_sort_onesweep_config_selectorImNS0_10empty_typeEEEZZNS1_29radix_sort_onesweep_iterationIS3_Lb0EPKmPmPS5_SB_mNS0_19identity_decomposerENS1_16block_id_wrapperIjLb0EEEEE10hipError_tT1_PNSt15iterator_traitsISG_E10value_typeET2_T3_PNSH_ISM_E10value_typeET4_T5_PSR_SS_PNS1_23onesweep_lookback_stateEbbT6_jjT7_P12ihipStream_tbENKUlT_T0_SG_SL_E_clIS9_SA_SB_SB_EEDaSZ_S10_SG_SL_EUlSZ_E_NS1_11comp_targetILNS1_3genE8ELNS1_11target_archE1030ELNS1_3gpuE2ELNS1_3repE0EEENS1_47radix_sort_onesweep_sort_config_static_selectorELNS0_4arch9wavefront6targetE0EEEvSG_.has_recursion, 0
	.set _ZN7rocprim17ROCPRIM_400000_NS6detail17trampoline_kernelINS0_14default_configENS1_35radix_sort_onesweep_config_selectorImNS0_10empty_typeEEEZZNS1_29radix_sort_onesweep_iterationIS3_Lb0EPKmPmPS5_SB_mNS0_19identity_decomposerENS1_16block_id_wrapperIjLb0EEEEE10hipError_tT1_PNSt15iterator_traitsISG_E10value_typeET2_T3_PNSH_ISM_E10value_typeET4_T5_PSR_SS_PNS1_23onesweep_lookback_stateEbbT6_jjT7_P12ihipStream_tbENKUlT_T0_SG_SL_E_clIS9_SA_SB_SB_EEDaSZ_S10_SG_SL_EUlSZ_E_NS1_11comp_targetILNS1_3genE8ELNS1_11target_archE1030ELNS1_3gpuE2ELNS1_3repE0EEENS1_47radix_sort_onesweep_sort_config_static_selectorELNS0_4arch9wavefront6targetE0EEEvSG_.has_indirect_call, 0
	.section	.AMDGPU.csdata,"",@progbits
; Kernel info:
; codeLenInByte = 0
; TotalNumSgprs: 0
; NumVgprs: 0
; ScratchSize: 0
; MemoryBound: 0
; FloatMode: 240
; IeeeMode: 1
; LDSByteSize: 0 bytes/workgroup (compile time only)
; SGPRBlocks: 0
; VGPRBlocks: 0
; NumSGPRsForWavesPerEU: 1
; NumVGPRsForWavesPerEU: 1
; NamedBarCnt: 0
; Occupancy: 16
; WaveLimiterHint : 0
; COMPUTE_PGM_RSRC2:SCRATCH_EN: 0
; COMPUTE_PGM_RSRC2:USER_SGPR: 2
; COMPUTE_PGM_RSRC2:TRAP_HANDLER: 0
; COMPUTE_PGM_RSRC2:TGID_X_EN: 1
; COMPUTE_PGM_RSRC2:TGID_Y_EN: 0
; COMPUTE_PGM_RSRC2:TGID_Z_EN: 0
; COMPUTE_PGM_RSRC2:TIDIG_COMP_CNT: 0
	.section	.text._ZN7rocprim17ROCPRIM_400000_NS6detail17trampoline_kernelINS0_14default_configENS1_35radix_sort_onesweep_config_selectorImNS0_10empty_typeEEEZZNS1_29radix_sort_onesweep_iterationIS3_Lb0EPKmPmPS5_SB_mNS0_19identity_decomposerENS1_16block_id_wrapperIjLb0EEEEE10hipError_tT1_PNSt15iterator_traitsISG_E10value_typeET2_T3_PNSH_ISM_E10value_typeET4_T5_PSR_SS_PNS1_23onesweep_lookback_stateEbbT6_jjT7_P12ihipStream_tbENKUlT_T0_SG_SL_E_clISA_SA_SB_SB_EEDaSZ_S10_SG_SL_EUlSZ_E_NS1_11comp_targetILNS1_3genE0ELNS1_11target_archE4294967295ELNS1_3gpuE0ELNS1_3repE0EEENS1_47radix_sort_onesweep_sort_config_static_selectorELNS0_4arch9wavefront6targetE0EEEvSG_,"axG",@progbits,_ZN7rocprim17ROCPRIM_400000_NS6detail17trampoline_kernelINS0_14default_configENS1_35radix_sort_onesweep_config_selectorImNS0_10empty_typeEEEZZNS1_29radix_sort_onesweep_iterationIS3_Lb0EPKmPmPS5_SB_mNS0_19identity_decomposerENS1_16block_id_wrapperIjLb0EEEEE10hipError_tT1_PNSt15iterator_traitsISG_E10value_typeET2_T3_PNSH_ISM_E10value_typeET4_T5_PSR_SS_PNS1_23onesweep_lookback_stateEbbT6_jjT7_P12ihipStream_tbENKUlT_T0_SG_SL_E_clISA_SA_SB_SB_EEDaSZ_S10_SG_SL_EUlSZ_E_NS1_11comp_targetILNS1_3genE0ELNS1_11target_archE4294967295ELNS1_3gpuE0ELNS1_3repE0EEENS1_47radix_sort_onesweep_sort_config_static_selectorELNS0_4arch9wavefront6targetE0EEEvSG_,comdat
	.protected	_ZN7rocprim17ROCPRIM_400000_NS6detail17trampoline_kernelINS0_14default_configENS1_35radix_sort_onesweep_config_selectorImNS0_10empty_typeEEEZZNS1_29radix_sort_onesweep_iterationIS3_Lb0EPKmPmPS5_SB_mNS0_19identity_decomposerENS1_16block_id_wrapperIjLb0EEEEE10hipError_tT1_PNSt15iterator_traitsISG_E10value_typeET2_T3_PNSH_ISM_E10value_typeET4_T5_PSR_SS_PNS1_23onesweep_lookback_stateEbbT6_jjT7_P12ihipStream_tbENKUlT_T0_SG_SL_E_clISA_SA_SB_SB_EEDaSZ_S10_SG_SL_EUlSZ_E_NS1_11comp_targetILNS1_3genE0ELNS1_11target_archE4294967295ELNS1_3gpuE0ELNS1_3repE0EEENS1_47radix_sort_onesweep_sort_config_static_selectorELNS0_4arch9wavefront6targetE0EEEvSG_ ; -- Begin function _ZN7rocprim17ROCPRIM_400000_NS6detail17trampoline_kernelINS0_14default_configENS1_35radix_sort_onesweep_config_selectorImNS0_10empty_typeEEEZZNS1_29radix_sort_onesweep_iterationIS3_Lb0EPKmPmPS5_SB_mNS0_19identity_decomposerENS1_16block_id_wrapperIjLb0EEEEE10hipError_tT1_PNSt15iterator_traitsISG_E10value_typeET2_T3_PNSH_ISM_E10value_typeET4_T5_PSR_SS_PNS1_23onesweep_lookback_stateEbbT6_jjT7_P12ihipStream_tbENKUlT_T0_SG_SL_E_clISA_SA_SB_SB_EEDaSZ_S10_SG_SL_EUlSZ_E_NS1_11comp_targetILNS1_3genE0ELNS1_11target_archE4294967295ELNS1_3gpuE0ELNS1_3repE0EEENS1_47radix_sort_onesweep_sort_config_static_selectorELNS0_4arch9wavefront6targetE0EEEvSG_
	.globl	_ZN7rocprim17ROCPRIM_400000_NS6detail17trampoline_kernelINS0_14default_configENS1_35radix_sort_onesweep_config_selectorImNS0_10empty_typeEEEZZNS1_29radix_sort_onesweep_iterationIS3_Lb0EPKmPmPS5_SB_mNS0_19identity_decomposerENS1_16block_id_wrapperIjLb0EEEEE10hipError_tT1_PNSt15iterator_traitsISG_E10value_typeET2_T3_PNSH_ISM_E10value_typeET4_T5_PSR_SS_PNS1_23onesweep_lookback_stateEbbT6_jjT7_P12ihipStream_tbENKUlT_T0_SG_SL_E_clISA_SA_SB_SB_EEDaSZ_S10_SG_SL_EUlSZ_E_NS1_11comp_targetILNS1_3genE0ELNS1_11target_archE4294967295ELNS1_3gpuE0ELNS1_3repE0EEENS1_47radix_sort_onesweep_sort_config_static_selectorELNS0_4arch9wavefront6targetE0EEEvSG_
	.p2align	8
	.type	_ZN7rocprim17ROCPRIM_400000_NS6detail17trampoline_kernelINS0_14default_configENS1_35radix_sort_onesweep_config_selectorImNS0_10empty_typeEEEZZNS1_29radix_sort_onesweep_iterationIS3_Lb0EPKmPmPS5_SB_mNS0_19identity_decomposerENS1_16block_id_wrapperIjLb0EEEEE10hipError_tT1_PNSt15iterator_traitsISG_E10value_typeET2_T3_PNSH_ISM_E10value_typeET4_T5_PSR_SS_PNS1_23onesweep_lookback_stateEbbT6_jjT7_P12ihipStream_tbENKUlT_T0_SG_SL_E_clISA_SA_SB_SB_EEDaSZ_S10_SG_SL_EUlSZ_E_NS1_11comp_targetILNS1_3genE0ELNS1_11target_archE4294967295ELNS1_3gpuE0ELNS1_3repE0EEENS1_47radix_sort_onesweep_sort_config_static_selectorELNS0_4arch9wavefront6targetE0EEEvSG_,@function
_ZN7rocprim17ROCPRIM_400000_NS6detail17trampoline_kernelINS0_14default_configENS1_35radix_sort_onesweep_config_selectorImNS0_10empty_typeEEEZZNS1_29radix_sort_onesweep_iterationIS3_Lb0EPKmPmPS5_SB_mNS0_19identity_decomposerENS1_16block_id_wrapperIjLb0EEEEE10hipError_tT1_PNSt15iterator_traitsISG_E10value_typeET2_T3_PNSH_ISM_E10value_typeET4_T5_PSR_SS_PNS1_23onesweep_lookback_stateEbbT6_jjT7_P12ihipStream_tbENKUlT_T0_SG_SL_E_clISA_SA_SB_SB_EEDaSZ_S10_SG_SL_EUlSZ_E_NS1_11comp_targetILNS1_3genE0ELNS1_11target_archE4294967295ELNS1_3gpuE0ELNS1_3repE0EEENS1_47radix_sort_onesweep_sort_config_static_selectorELNS0_4arch9wavefront6targetE0EEEvSG_: ; @_ZN7rocprim17ROCPRIM_400000_NS6detail17trampoline_kernelINS0_14default_configENS1_35radix_sort_onesweep_config_selectorImNS0_10empty_typeEEEZZNS1_29radix_sort_onesweep_iterationIS3_Lb0EPKmPmPS5_SB_mNS0_19identity_decomposerENS1_16block_id_wrapperIjLb0EEEEE10hipError_tT1_PNSt15iterator_traitsISG_E10value_typeET2_T3_PNSH_ISM_E10value_typeET4_T5_PSR_SS_PNS1_23onesweep_lookback_stateEbbT6_jjT7_P12ihipStream_tbENKUlT_T0_SG_SL_E_clISA_SA_SB_SB_EEDaSZ_S10_SG_SL_EUlSZ_E_NS1_11comp_targetILNS1_3genE0ELNS1_11target_archE4294967295ELNS1_3gpuE0ELNS1_3repE0EEENS1_47radix_sort_onesweep_sort_config_static_selectorELNS0_4arch9wavefront6targetE0EEEvSG_
; %bb.0:
	s_clause 0x3
	s_load_b96 s[20:22], s[0:1], 0x44
	s_load_b64 s[10:11], s[0:1], 0x38
	s_load_b128 s[16:19], s[0:1], 0x0
	s_load_b128 s[12:15], s[0:1], 0x28
	s_bfe_u32 s2, ttmp6, 0x4000c
	s_and_b32 s3, ttmp6, 15
	s_add_co_i32 s2, s2, 1
	s_getreg_b32 s4, hwreg(HW_REG_IB_STS2, 6, 4)
	s_mul_i32 s2, ttmp9, s2
	v_and_b32_e32 v32, 0x3ff, v0
	s_add_co_i32 s2, s3, s2
	s_cmp_eq_u32 s4, 0
	v_mbcnt_lo_u32_b32 v33, -1, 0
	s_cselect_b32 s9, ttmp9, s2
	s_mov_b32 s3, 0
	s_mov_b32 s2, -1
	s_add_nc_u64 s[24:25], s[0:1], 0x58
	s_wait_kmcnt 0x0
	s_cmp_ge_u32 s9, s22
	s_cbranch_scc0 .LBB3018_66
; %bb.1:
	v_dual_lshlrev_b32 v2, 3, v32 :: v_dual_lshlrev_b32 v6, 3, v33
	s_load_b32 s4, s[0:1], 0x20
	s_lshl_b32 s2, s9, 12
	v_mov_b64_e32 v[4:5], -1
	s_delay_alu instid0(VALU_DEP_2) | instskip(SKIP_2) | instid1(SALU_CYCLE_1)
	v_and_b32_e32 v1, 0xf00, v2
	v_mov_b32_e32 v7, 0
	s_lshl_b64 s[2:3], s[2:3], 3
	s_add_nc_u64 s[2:3], s[16:17], s[2:3]
	s_delay_alu instid0(VALU_DEP_1) | instid1(SALU_CYCLE_1)
	v_add_nc_u64_e32 v[8:9], s[2:3], v[6:7]
	v_dual_lshlrev_b32 v6, 3, v1 :: v_dual_bitop2_b32 v1, v33, v1 bitop3:0x54
	s_lshl_b32 s2, s22, 12
	s_delay_alu instid0(VALU_DEP_1)
	v_add_nc_u64_e32 v[20:21], v[8:9], v[6:7]
	v_mov_b64_e32 v[6:7], -1
	s_wait_kmcnt 0x0
	s_sub_co_i32 s22, s4, s2
	s_mov_b32 s2, exec_lo
	v_cmpx_gt_u32_e64 s22, v1
	s_cbranch_execz .LBB3018_3
; %bb.2:
	global_load_b64 v[6:7], v[20:21], off
.LBB3018_3:
	s_wait_xcnt 0x0
	s_or_b32 exec_lo, exec_lo, s2
	v_or_b32_e32 v3, 32, v1
	s_mov_b32 s2, exec_lo
	s_delay_alu instid0(VALU_DEP_1)
	v_cmpx_gt_u32_e64 s22, v3
	s_cbranch_execz .LBB3018_5
; %bb.4:
	global_load_b64 v[4:5], v[20:21], off offset:256
.LBB3018_5:
	s_wait_xcnt 0x0
	s_or_b32 exec_lo, exec_lo, s2
	v_mov_b64_e32 v[8:9], -1
	v_mov_b64_e32 v[10:11], -1
	v_or_b32_e32 v3, 64, v1
	s_mov_b32 s2, exec_lo
	s_delay_alu instid0(VALU_DEP_1)
	v_cmpx_gt_u32_e64 s22, v3
	s_cbranch_execz .LBB3018_7
; %bb.6:
	global_load_b64 v[10:11], v[20:21], off offset:512
.LBB3018_7:
	s_wait_xcnt 0x0
	s_or_b32 exec_lo, exec_lo, s2
	v_or_b32_e32 v3, 0x60, v1
	s_mov_b32 s2, exec_lo
	s_delay_alu instid0(VALU_DEP_1)
	v_cmpx_gt_u32_e64 s22, v3
	s_cbranch_execz .LBB3018_9
; %bb.8:
	global_load_b64 v[8:9], v[20:21], off offset:768
.LBB3018_9:
	s_wait_xcnt 0x0
	s_or_b32 exec_lo, exec_lo, s2
	v_mov_b64_e32 v[12:13], -1
	v_mov_b64_e32 v[14:15], -1
	v_or_b32_e32 v3, 0x80, v1
	s_mov_b32 s2, exec_lo
	s_delay_alu instid0(VALU_DEP_1)
	v_cmpx_gt_u32_e64 s22, v3
	s_cbranch_execz .LBB3018_11
; %bb.10:
	global_load_b64 v[14:15], v[20:21], off offset:1024
.LBB3018_11:
	;; [unrolled: 22-line block ×3, first 2 shown]
	s_wait_xcnt 0x0
	s_or_b32 exec_lo, exec_lo, s2
	v_or_b32_e32 v1, 0xe0, v1
	s_mov_b32 s2, exec_lo
	s_delay_alu instid0(VALU_DEP_1)
	v_cmpx_gt_u32_e64 s22, v1
	s_cbranch_execz .LBB3018_17
; %bb.16:
	global_load_b64 v[16:17], v[20:21], off offset:1792
.LBB3018_17:
	s_wait_xcnt 0x0
	s_or_b32 exec_lo, exec_lo, s2
	s_clause 0x1
	s_load_b32 s23, s[0:1], 0x58
	s_load_u16 s4, s[0:1], 0x66
	s_wait_loadcnt 0x0
	v_lshrrev_b64 v[20:21], s20, v[6:7]
	v_bfe_u32 v1, v0, 10, 10
	v_bfe_u32 v3, v0, 20, 10
	s_mov_b32 s3, 0
	s_wait_kmcnt 0x0
	s_cmp_lt_u32 s9, s23
	s_delay_alu instid0(VALU_DEP_1)
	v_mad_u32_u24 v1, v3, s4, v1
	s_cselect_b32 s2, 12, 18
	s_lshl_b32 s26, -1, s21
	s_add_nc_u64 s[2:3], s[24:25], s[2:3]
	v_bitop3_b32 v3, v20, 1, s26 bitop3:0x40
	v_bitop3_b32 v20, v20, s26, v20 bitop3:0x30
	s_load_u16 s27, s[2:3], 0x0
	s_wait_xcnt 0x0
	s_delay_alu instid0(VALU_DEP_2) | instskip(NEXT) | instid1(VALU_DEP_1)
	v_add_co_u32 v3, s2, v3, -1
	v_cndmask_b32_e64 v21, 0, 1, s2
	v_dual_lshlrev_b32 v22, 30, v20 :: v_dual_lshlrev_b32 v23, 29, v20
	v_dual_lshlrev_b32 v24, 28, v20 :: v_dual_lshlrev_b32 v25, 27, v20
	s_delay_alu instid0(VALU_DEP_3) | instskip(NEXT) | instid1(VALU_DEP_3)
	v_cmp_ne_u32_e32 vcc_lo, 0, v21
	v_not_b32_e32 v21, v22
	v_dual_lshlrev_b32 v26, 26, v20 :: v_dual_lshlrev_b32 v27, 25, v20
	v_lshlrev_b32_e32 v28, 24, v20
	v_cmp_gt_i32_e64 s2, 0, v22
	v_cmp_gt_i32_e64 s3, 0, v23
	v_not_b32_e32 v22, v23
	v_not_b32_e32 v23, v24
	v_ashrrev_i32_e32 v21, 31, v21
	v_cmp_gt_i32_e64 s4, 0, v24
	v_cmp_gt_i32_e64 s5, 0, v25
	v_not_b32_e32 v24, v25
	v_not_b32_e32 v25, v26
	v_dual_ashrrev_i32 v22, 31, v22 :: v_dual_bitop2_b32 v3, vcc_lo, v3 bitop3:0x14
	v_dual_ashrrev_i32 v23, 31, v23 :: v_dual_bitop2_b32 v21, s2, v21 bitop3:0x14
	v_cmp_gt_i32_e64 s6, 0, v26
	v_cmp_gt_i32_e64 s7, 0, v27
	v_not_b32_e32 v26, v27
	v_not_b32_e32 v27, v28
	v_dual_ashrrev_i32 v24, 31, v24 :: v_dual_ashrrev_i32 v25, 31, v25
	v_xor_b32_e32 v22, s3, v22
	v_xor_b32_e32 v23, s4, v23
	v_bitop3_b32 v3, v3, v21, exec_lo bitop3:0x80
	v_cmp_gt_i32_e64 s8, 0, v28
	v_dual_ashrrev_i32 v21, 31, v26 :: v_dual_ashrrev_i32 v26, 31, v27
	v_xor_b32_e32 v24, s5, v24
	v_xor_b32_e32 v25, s6, v25
	v_bitop3_b32 v3, v3, v23, v22 bitop3:0x80
	s_wait_kmcnt 0x0
	v_mad_u32 v1, v1, s27, v32
	v_dual_mov_b32 v22, 0 :: v_dual_bitop2_b32 v21, s7, v21 bitop3:0x14
	v_xor_b32_e32 v23, s8, v26
	v_bitop3_b32 v24, v3, v25, v24 bitop3:0x80
	v_mul_u32_u24_e32 v3, 36, v32
	s_not_b32 s6, s26
	ds_store_2addr_b32 v3, v22, v22 offset0:16 offset1:17
	ds_store_2addr_b32 v3, v22, v22 offset0:18 offset1:19
	;; [unrolled: 1-line block ×4, first 2 shown]
	v_bitop3_b32 v21, v24, v23, v21 bitop3:0x80
	v_mul_lo_u32 v23, 0x44, v20
	v_lshrrev_b32_e32 v20, 3, v1
	ds_store_b32 v3, v22 offset:96
	s_wait_dscnt 0x0
	v_mbcnt_lo_u32_b32 v1, v21, 0
	v_cmp_ne_u32_e64 s2, 0, v21
	v_and_b32_e32 v20, 0x1ffffffc, v20
	s_barrier_signal -1
	s_barrier_wait -1
	v_cmp_eq_u32_e32 vcc_lo, 0, v1
	s_delay_alu instid0(VALU_DEP_2) | instskip(SKIP_1) | instid1(SALU_CYCLE_1)
	v_add_nc_u32_e32 v28, v20, v23
	; wave barrier
	s_and_b32 s3, s2, vcc_lo
	s_and_saveexec_b32 s2, s3
; %bb.18:
	v_bcnt_u32_b32 v21, v21, 0
	ds_store_b32 v28, v21 offset:64
; %bb.19:
	s_or_b32 exec_lo, exec_lo, s2
	v_lshrrev_b64 v[22:23], s20, v[4:5]
	; wave barrier
	s_delay_alu instid0(VALU_DEP_1) | instskip(SKIP_1) | instid1(VALU_DEP_2)
	v_and_b32_e32 v21, s6, v22
	v_bitop3_b32 v22, v22, 1, s6 bitop3:0x80
	v_lshlrev_b32_e32 v25, 30, v21
	s_delay_alu instid0(VALU_DEP_2) | instskip(NEXT) | instid1(VALU_DEP_1)
	v_add_co_u32 v22, s2, v22, -1
	v_cndmask_b32_e64 v24, 0, 1, s2
	s_delay_alu instid0(VALU_DEP_1) | instskip(NEXT) | instid1(VALU_DEP_4)
	v_cmp_ne_u32_e32 vcc_lo, 0, v24
	v_not_b32_e32 v24, v25
	s_delay_alu instid0(VALU_DEP_1) | instskip(SKIP_4) | instid1(VALU_DEP_4)
	v_dual_ashrrev_i32 v24, 31, v24 :: v_dual_bitop2_b32 v22, vcc_lo, v22 bitop3:0x14
	v_dual_lshlrev_b32 v26, 29, v21 :: v_dual_lshlrev_b32 v27, 28, v21
	v_lshlrev_b32_e32 v29, 27, v21
	v_cmp_gt_i32_e64 s2, 0, v25
	v_mul_lo_u32 v23, 0x44, v21
	v_cmp_gt_i32_e64 s3, 0, v26
	v_not_b32_e32 v25, v26
	v_not_b32_e32 v26, v27
	v_dual_lshlrev_b32 v30, 26, v21 :: v_dual_lshlrev_b32 v31, 25, v21
	v_lshlrev_b32_e32 v21, 24, v21
	v_cmp_gt_i32_e64 s4, 0, v27
	v_not_b32_e32 v27, v29
	v_dual_ashrrev_i32 v25, 31, v25 :: v_dual_ashrrev_i32 v26, 31, v26
	v_xor_b32_e32 v24, s2, v24
	v_cmp_gt_i32_e64 s5, 0, v29
	v_not_b32_e32 v29, v30
	s_delay_alu instid0(VALU_DEP_4)
	v_dual_ashrrev_i32 v27, 31, v27 :: v_dual_bitop2_b32 v25, s3, v25 bitop3:0x14
	v_xor_b32_e32 v26, s4, v26
	v_bitop3_b32 v22, v22, v24, exec_lo bitop3:0x80
	v_cmp_gt_i32_e32 vcc_lo, 0, v30
	v_ashrrev_i32_e32 v24, 31, v29
	v_not_b32_e32 v29, v31
	v_xor_b32_e32 v27, s5, v27
	v_bitop3_b32 v22, v22, v26, v25 bitop3:0x80
	v_not_b32_e32 v25, v21
	v_xor_b32_e32 v24, vcc_lo, v24
	v_cmp_gt_i32_e32 vcc_lo, 0, v31
	v_ashrrev_i32_e32 v26, 31, v29
	v_cmp_gt_i32_e64 s2, 0, v21
	v_dual_ashrrev_i32 v21, 31, v25 :: v_dual_add_nc_u32 v29, v20, v23
	v_bitop3_b32 v22, v22, v24, v27 bitop3:0x80
	s_delay_alu instid0(VALU_DEP_4) | instskip(NEXT) | instid1(VALU_DEP_3)
	v_xor_b32_e32 v23, vcc_lo, v26
	v_xor_b32_e32 v21, s2, v21
	ds_load_b32 v34, v29 offset:64
	; wave barrier
	v_bitop3_b32 v21, v22, v21, v23 bitop3:0x80
	s_delay_alu instid0(VALU_DEP_1) | instskip(SKIP_1) | instid1(VALU_DEP_2)
	v_mbcnt_lo_u32_b32 v35, v21, 0
	v_cmp_ne_u32_e64 s2, 0, v21
	v_cmp_eq_u32_e32 vcc_lo, 0, v35
	s_and_b32 s3, s2, vcc_lo
	s_delay_alu instid0(SALU_CYCLE_1)
	s_and_saveexec_b32 s2, s3
	s_cbranch_execz .LBB3018_21
; %bb.20:
	s_wait_dscnt 0x0
	v_bcnt_u32_b32 v21, v21, v34
	ds_store_b32 v29, v21 offset:64
.LBB3018_21:
	s_or_b32 exec_lo, exec_lo, s2
	v_lshrrev_b64 v[22:23], s20, v[10:11]
	; wave barrier
	s_delay_alu instid0(VALU_DEP_1) | instskip(SKIP_1) | instid1(VALU_DEP_2)
	v_and_b32_e32 v21, s6, v22
	v_bitop3_b32 v22, v22, 1, s6 bitop3:0x80
	v_lshlrev_b32_e32 v25, 30, v21
	s_delay_alu instid0(VALU_DEP_2) | instskip(NEXT) | instid1(VALU_DEP_1)
	v_add_co_u32 v22, s2, v22, -1
	v_cndmask_b32_e64 v24, 0, 1, s2
	s_delay_alu instid0(VALU_DEP_1) | instskip(NEXT) | instid1(VALU_DEP_4)
	v_cmp_ne_u32_e32 vcc_lo, 0, v24
	v_not_b32_e32 v24, v25
	s_delay_alu instid0(VALU_DEP_1) | instskip(SKIP_4) | instid1(VALU_DEP_4)
	v_dual_ashrrev_i32 v24, 31, v24 :: v_dual_bitop2_b32 v22, vcc_lo, v22 bitop3:0x14
	v_dual_lshlrev_b32 v26, 29, v21 :: v_dual_lshlrev_b32 v27, 28, v21
	v_lshlrev_b32_e32 v30, 27, v21
	v_cmp_gt_i32_e64 s2, 0, v25
	v_mul_lo_u32 v23, 0x44, v21
	v_cmp_gt_i32_e64 s3, 0, v26
	v_not_b32_e32 v25, v26
	v_not_b32_e32 v26, v27
	v_dual_lshlrev_b32 v31, 26, v21 :: v_dual_lshlrev_b32 v36, 25, v21
	v_lshlrev_b32_e32 v21, 24, v21
	v_cmp_gt_i32_e64 s4, 0, v27
	v_not_b32_e32 v27, v30
	v_dual_ashrrev_i32 v25, 31, v25 :: v_dual_ashrrev_i32 v26, 31, v26
	v_xor_b32_e32 v24, s2, v24
	v_cmp_gt_i32_e64 s5, 0, v30
	v_not_b32_e32 v30, v31
	s_delay_alu instid0(VALU_DEP_4)
	v_dual_ashrrev_i32 v27, 31, v27 :: v_dual_bitop2_b32 v25, s3, v25 bitop3:0x14
	v_xor_b32_e32 v26, s4, v26
	v_bitop3_b32 v22, v22, v24, exec_lo bitop3:0x80
	v_cmp_gt_i32_e32 vcc_lo, 0, v31
	v_ashrrev_i32_e32 v24, 31, v30
	v_not_b32_e32 v30, v36
	v_xor_b32_e32 v27, s5, v27
	v_bitop3_b32 v22, v22, v26, v25 bitop3:0x80
	v_not_b32_e32 v25, v21
	v_xor_b32_e32 v24, vcc_lo, v24
	v_cmp_gt_i32_e32 vcc_lo, 0, v36
	v_ashrrev_i32_e32 v26, 31, v30
	v_cmp_gt_i32_e64 s2, 0, v21
	v_dual_ashrrev_i32 v21, 31, v25 :: v_dual_add_nc_u32 v30, v20, v23
	v_bitop3_b32 v22, v22, v24, v27 bitop3:0x80
	s_delay_alu instid0(VALU_DEP_4) | instskip(NEXT) | instid1(VALU_DEP_3)
	v_xor_b32_e32 v23, vcc_lo, v26
	v_xor_b32_e32 v21, s2, v21
	ds_load_b32 v36, v30 offset:64
	; wave barrier
	v_bitop3_b32 v21, v22, v21, v23 bitop3:0x80
	s_delay_alu instid0(VALU_DEP_1) | instskip(SKIP_1) | instid1(VALU_DEP_2)
	v_mbcnt_lo_u32_b32 v37, v21, 0
	v_cmp_ne_u32_e64 s2, 0, v21
	v_cmp_eq_u32_e32 vcc_lo, 0, v37
	s_and_b32 s3, s2, vcc_lo
	s_delay_alu instid0(SALU_CYCLE_1)
	s_and_saveexec_b32 s2, s3
	s_cbranch_execz .LBB3018_23
; %bb.22:
	s_wait_dscnt 0x0
	v_bcnt_u32_b32 v21, v21, v36
	ds_store_b32 v30, v21 offset:64
.LBB3018_23:
	s_or_b32 exec_lo, exec_lo, s2
	v_lshrrev_b64 v[22:23], s20, v[8:9]
	; wave barrier
	s_delay_alu instid0(VALU_DEP_1) | instskip(SKIP_1) | instid1(VALU_DEP_2)
	v_and_b32_e32 v21, s6, v22
	v_bitop3_b32 v22, v22, 1, s6 bitop3:0x80
	v_lshlrev_b32_e32 v25, 30, v21
	s_delay_alu instid0(VALU_DEP_2) | instskip(NEXT) | instid1(VALU_DEP_1)
	v_add_co_u32 v22, s2, v22, -1
	v_cndmask_b32_e64 v24, 0, 1, s2
	s_delay_alu instid0(VALU_DEP_1) | instskip(NEXT) | instid1(VALU_DEP_4)
	v_cmp_ne_u32_e32 vcc_lo, 0, v24
	v_not_b32_e32 v24, v25
	s_delay_alu instid0(VALU_DEP_1) | instskip(SKIP_4) | instid1(VALU_DEP_4)
	v_dual_ashrrev_i32 v24, 31, v24 :: v_dual_bitop2_b32 v22, vcc_lo, v22 bitop3:0x14
	v_dual_lshlrev_b32 v26, 29, v21 :: v_dual_lshlrev_b32 v27, 28, v21
	v_lshlrev_b32_e32 v31, 27, v21
	v_cmp_gt_i32_e64 s2, 0, v25
	v_mul_lo_u32 v23, 0x44, v21
	v_cmp_gt_i32_e64 s3, 0, v26
	v_not_b32_e32 v25, v26
	v_not_b32_e32 v26, v27
	v_dual_lshlrev_b32 v38, 26, v21 :: v_dual_lshlrev_b32 v39, 25, v21
	v_lshlrev_b32_e32 v21, 24, v21
	v_cmp_gt_i32_e64 s4, 0, v27
	v_not_b32_e32 v27, v31
	v_dual_ashrrev_i32 v25, 31, v25 :: v_dual_ashrrev_i32 v26, 31, v26
	v_xor_b32_e32 v24, s2, v24
	v_cmp_gt_i32_e64 s5, 0, v31
	v_not_b32_e32 v31, v38
	s_delay_alu instid0(VALU_DEP_4)
	v_dual_ashrrev_i32 v27, 31, v27 :: v_dual_bitop2_b32 v25, s3, v25 bitop3:0x14
	v_xor_b32_e32 v26, s4, v26
	v_bitop3_b32 v22, v22, v24, exec_lo bitop3:0x80
	v_cmp_gt_i32_e32 vcc_lo, 0, v38
	v_ashrrev_i32_e32 v24, 31, v31
	v_not_b32_e32 v31, v39
	v_xor_b32_e32 v27, s5, v27
	v_bitop3_b32 v22, v22, v26, v25 bitop3:0x80
	v_not_b32_e32 v25, v21
	s_delay_alu instid0(VALU_DEP_4) | instskip(SKIP_2) | instid1(VALU_DEP_4)
	v_dual_ashrrev_i32 v26, 31, v31 :: v_dual_bitop2_b32 v24, vcc_lo, v24 bitop3:0x14
	v_cmp_gt_i32_e32 vcc_lo, 0, v39
	v_cmp_gt_i32_e64 s2, 0, v21
	v_dual_ashrrev_i32 v21, 31, v25 :: v_dual_add_nc_u32 v31, v20, v23
	s_delay_alu instid0(VALU_DEP_4) | instskip(SKIP_1) | instid1(VALU_DEP_3)
	v_bitop3_b32 v22, v22, v24, v27 bitop3:0x80
	v_xor_b32_e32 v23, vcc_lo, v26
	v_xor_b32_e32 v21, s2, v21
	ds_load_b32 v38, v31 offset:64
	; wave barrier
	v_bitop3_b32 v21, v22, v21, v23 bitop3:0x80
	s_delay_alu instid0(VALU_DEP_1) | instskip(SKIP_1) | instid1(VALU_DEP_2)
	v_mbcnt_lo_u32_b32 v39, v21, 0
	v_cmp_ne_u32_e64 s2, 0, v21
	v_cmp_eq_u32_e32 vcc_lo, 0, v39
	s_and_b32 s3, s2, vcc_lo
	s_delay_alu instid0(SALU_CYCLE_1)
	s_and_saveexec_b32 s2, s3
	s_cbranch_execz .LBB3018_25
; %bb.24:
	s_wait_dscnt 0x0
	v_bcnt_u32_b32 v21, v21, v38
	ds_store_b32 v31, v21 offset:64
.LBB3018_25:
	s_or_b32 exec_lo, exec_lo, s2
	v_lshrrev_b64 v[22:23], s20, v[14:15]
	; wave barrier
	s_delay_alu instid0(VALU_DEP_1) | instskip(SKIP_1) | instid1(VALU_DEP_2)
	v_and_b32_e32 v21, s6, v22
	v_bitop3_b32 v22, v22, 1, s6 bitop3:0x80
	v_lshlrev_b32_e32 v25, 30, v21
	s_delay_alu instid0(VALU_DEP_2) | instskip(NEXT) | instid1(VALU_DEP_1)
	v_add_co_u32 v22, s2, v22, -1
	v_cndmask_b32_e64 v24, 0, 1, s2
	s_delay_alu instid0(VALU_DEP_1) | instskip(NEXT) | instid1(VALU_DEP_4)
	v_cmp_ne_u32_e32 vcc_lo, 0, v24
	v_not_b32_e32 v24, v25
	s_delay_alu instid0(VALU_DEP_1) | instskip(SKIP_4) | instid1(VALU_DEP_4)
	v_dual_ashrrev_i32 v24, 31, v24 :: v_dual_bitop2_b32 v22, vcc_lo, v22 bitop3:0x14
	v_dual_lshlrev_b32 v26, 29, v21 :: v_dual_lshlrev_b32 v27, 28, v21
	v_lshlrev_b32_e32 v40, 27, v21
	v_cmp_gt_i32_e64 s2, 0, v25
	v_mul_lo_u32 v23, 0x44, v21
	v_cmp_gt_i32_e64 s3, 0, v26
	v_not_b32_e32 v25, v26
	v_not_b32_e32 v26, v27
	v_dual_lshlrev_b32 v41, 26, v21 :: v_dual_lshlrev_b32 v42, 25, v21
	v_lshlrev_b32_e32 v21, 24, v21
	v_cmp_gt_i32_e64 s4, 0, v27
	v_not_b32_e32 v27, v40
	v_dual_ashrrev_i32 v25, 31, v25 :: v_dual_ashrrev_i32 v26, 31, v26
	v_xor_b32_e32 v24, s2, v24
	v_cmp_gt_i32_e64 s5, 0, v40
	v_not_b32_e32 v40, v41
	s_delay_alu instid0(VALU_DEP_4)
	v_dual_ashrrev_i32 v27, 31, v27 :: v_dual_bitop2_b32 v25, s3, v25 bitop3:0x14
	v_xor_b32_e32 v26, s4, v26
	v_bitop3_b32 v22, v22, v24, exec_lo bitop3:0x80
	v_cmp_gt_i32_e32 vcc_lo, 0, v41
	v_ashrrev_i32_e32 v24, 31, v40
	v_not_b32_e32 v40, v42
	v_xor_b32_e32 v27, s5, v27
	v_bitop3_b32 v22, v22, v26, v25 bitop3:0x80
	v_not_b32_e32 v25, v21
	v_dual_add_nc_u32 v44, v20, v23 :: v_dual_bitop2_b32 v24, vcc_lo, v24 bitop3:0x14
	v_cmp_gt_i32_e32 vcc_lo, 0, v42
	v_ashrrev_i32_e32 v26, 31, v40
	v_cmp_gt_i32_e64 s2, 0, v21
	v_ashrrev_i32_e32 v21, 31, v25
	v_bitop3_b32 v22, v22, v24, v27 bitop3:0x80
	ds_load_b32 v40, v44 offset:64
	v_xor_b32_e32 v23, vcc_lo, v26
	v_xor_b32_e32 v21, s2, v21
	; wave barrier
	s_delay_alu instid0(VALU_DEP_1) | instskip(NEXT) | instid1(VALU_DEP_1)
	v_bitop3_b32 v21, v22, v21, v23 bitop3:0x80
	v_mbcnt_lo_u32_b32 v41, v21, 0
	v_cmp_ne_u32_e64 s2, 0, v21
	s_delay_alu instid0(VALU_DEP_2) | instskip(SKIP_1) | instid1(SALU_CYCLE_1)
	v_cmp_eq_u32_e32 vcc_lo, 0, v41
	s_and_b32 s3, s2, vcc_lo
	s_and_saveexec_b32 s2, s3
	s_cbranch_execz .LBB3018_27
; %bb.26:
	s_wait_dscnt 0x0
	v_bcnt_u32_b32 v21, v21, v40
	ds_store_b32 v44, v21 offset:64
.LBB3018_27:
	s_or_b32 exec_lo, exec_lo, s2
	v_lshrrev_b64 v[22:23], s20, v[12:13]
	; wave barrier
	s_delay_alu instid0(VALU_DEP_1) | instskip(SKIP_1) | instid1(VALU_DEP_2)
	v_and_b32_e32 v21, s6, v22
	v_bitop3_b32 v22, v22, 1, s6 bitop3:0x80
	v_lshlrev_b32_e32 v25, 30, v21
	s_delay_alu instid0(VALU_DEP_2) | instskip(NEXT) | instid1(VALU_DEP_1)
	v_add_co_u32 v22, s2, v22, -1
	v_cndmask_b32_e64 v24, 0, 1, s2
	s_delay_alu instid0(VALU_DEP_1) | instskip(NEXT) | instid1(VALU_DEP_4)
	v_cmp_ne_u32_e32 vcc_lo, 0, v24
	v_not_b32_e32 v24, v25
	s_delay_alu instid0(VALU_DEP_1) | instskip(SKIP_4) | instid1(VALU_DEP_4)
	v_dual_ashrrev_i32 v24, 31, v24 :: v_dual_bitop2_b32 v22, vcc_lo, v22 bitop3:0x14
	v_dual_lshlrev_b32 v26, 29, v21 :: v_dual_lshlrev_b32 v27, 28, v21
	v_lshlrev_b32_e32 v42, 27, v21
	v_cmp_gt_i32_e64 s2, 0, v25
	v_mul_lo_u32 v23, 0x44, v21
	v_cmp_gt_i32_e64 s3, 0, v26
	v_not_b32_e32 v25, v26
	v_not_b32_e32 v26, v27
	v_dual_lshlrev_b32 v43, 26, v21 :: v_dual_lshlrev_b32 v45, 25, v21
	v_lshlrev_b32_e32 v21, 24, v21
	v_cmp_gt_i32_e64 s4, 0, v27
	v_not_b32_e32 v27, v42
	v_dual_ashrrev_i32 v25, 31, v25 :: v_dual_ashrrev_i32 v26, 31, v26
	v_xor_b32_e32 v24, s2, v24
	v_cmp_gt_i32_e64 s5, 0, v42
	v_not_b32_e32 v42, v43
	s_delay_alu instid0(VALU_DEP_4)
	v_dual_ashrrev_i32 v27, 31, v27 :: v_dual_bitop2_b32 v25, s3, v25 bitop3:0x14
	v_xor_b32_e32 v26, s4, v26
	v_bitop3_b32 v22, v22, v24, exec_lo bitop3:0x80
	v_cmp_gt_i32_e32 vcc_lo, 0, v43
	v_ashrrev_i32_e32 v24, 31, v42
	v_not_b32_e32 v42, v45
	v_xor_b32_e32 v27, s5, v27
	v_bitop3_b32 v22, v22, v26, v25 bitop3:0x80
	v_not_b32_e32 v25, v21
	v_dual_add_nc_u32 v47, v20, v23 :: v_dual_bitop2_b32 v24, vcc_lo, v24 bitop3:0x14
	v_cmp_gt_i32_e32 vcc_lo, 0, v45
	v_ashrrev_i32_e32 v26, 31, v42
	v_cmp_gt_i32_e64 s2, 0, v21
	v_ashrrev_i32_e32 v21, 31, v25
	v_bitop3_b32 v22, v22, v24, v27 bitop3:0x80
	ds_load_b32 v42, v47 offset:64
	v_xor_b32_e32 v23, vcc_lo, v26
	v_xor_b32_e32 v21, s2, v21
	; wave barrier
	s_delay_alu instid0(VALU_DEP_1) | instskip(NEXT) | instid1(VALU_DEP_1)
	v_bitop3_b32 v21, v22, v21, v23 bitop3:0x80
	v_mbcnt_lo_u32_b32 v43, v21, 0
	v_cmp_ne_u32_e64 s2, 0, v21
	s_delay_alu instid0(VALU_DEP_2) | instskip(SKIP_1) | instid1(SALU_CYCLE_1)
	v_cmp_eq_u32_e32 vcc_lo, 0, v43
	s_and_b32 s3, s2, vcc_lo
	s_and_saveexec_b32 s2, s3
	s_cbranch_execz .LBB3018_29
; %bb.28:
	s_wait_dscnt 0x0
	v_bcnt_u32_b32 v21, v21, v42
	ds_store_b32 v47, v21 offset:64
.LBB3018_29:
	s_or_b32 exec_lo, exec_lo, s2
	v_lshrrev_b64 v[22:23], s20, v[18:19]
	; wave barrier
	s_delay_alu instid0(VALU_DEP_1) | instskip(SKIP_1) | instid1(VALU_DEP_2)
	v_and_b32_e32 v21, s6, v22
	v_bitop3_b32 v22, v22, 1, s6 bitop3:0x80
	v_lshlrev_b32_e32 v25, 30, v21
	s_delay_alu instid0(VALU_DEP_2) | instskip(NEXT) | instid1(VALU_DEP_1)
	v_add_co_u32 v22, s2, v22, -1
	v_cndmask_b32_e64 v24, 0, 1, s2
	s_delay_alu instid0(VALU_DEP_1) | instskip(NEXT) | instid1(VALU_DEP_4)
	v_cmp_ne_u32_e32 vcc_lo, 0, v24
	v_not_b32_e32 v24, v25
	s_delay_alu instid0(VALU_DEP_1) | instskip(SKIP_4) | instid1(VALU_DEP_4)
	v_dual_ashrrev_i32 v24, 31, v24 :: v_dual_bitop2_b32 v22, vcc_lo, v22 bitop3:0x14
	v_dual_lshlrev_b32 v26, 29, v21 :: v_dual_lshlrev_b32 v27, 28, v21
	v_lshlrev_b32_e32 v45, 27, v21
	v_cmp_gt_i32_e64 s2, 0, v25
	v_mul_lo_u32 v23, 0x44, v21
	v_cmp_gt_i32_e64 s3, 0, v26
	v_not_b32_e32 v25, v26
	v_not_b32_e32 v26, v27
	v_dual_lshlrev_b32 v46, 26, v21 :: v_dual_lshlrev_b32 v48, 25, v21
	v_lshlrev_b32_e32 v21, 24, v21
	v_cmp_gt_i32_e64 s4, 0, v27
	v_not_b32_e32 v27, v45
	v_dual_ashrrev_i32 v25, 31, v25 :: v_dual_ashrrev_i32 v26, 31, v26
	v_xor_b32_e32 v24, s2, v24
	v_cmp_gt_i32_e64 s5, 0, v45
	v_not_b32_e32 v45, v46
	s_delay_alu instid0(VALU_DEP_4)
	v_dual_ashrrev_i32 v27, 31, v27 :: v_dual_bitop2_b32 v25, s3, v25 bitop3:0x14
	v_dual_add_nc_u32 v50, v20, v23 :: v_dual_bitop2_b32 v26, s4, v26 bitop3:0x14
	v_bitop3_b32 v22, v22, v24, exec_lo bitop3:0x80
	v_cmp_gt_i32_e32 vcc_lo, 0, v46
	v_ashrrev_i32_e32 v24, 31, v45
	v_not_b32_e32 v45, v48
	v_xor_b32_e32 v27, s5, v27
	v_bitop3_b32 v22, v22, v26, v25 bitop3:0x80
	v_not_b32_e32 v25, v21
	v_xor_b32_e32 v24, vcc_lo, v24
	v_cmp_gt_i32_e32 vcc_lo, 0, v48
	v_ashrrev_i32_e32 v26, 31, v45
	v_cmp_gt_i32_e64 s2, 0, v21
	v_ashrrev_i32_e32 v21, 31, v25
	v_bitop3_b32 v22, v22, v24, v27 bitop3:0x80
	ds_load_b32 v45, v50 offset:64
	v_xor_b32_e32 v23, vcc_lo, v26
	v_xor_b32_e32 v21, s2, v21
	; wave barrier
	s_delay_alu instid0(VALU_DEP_1) | instskip(NEXT) | instid1(VALU_DEP_1)
	v_bitop3_b32 v21, v22, v21, v23 bitop3:0x80
	v_mbcnt_lo_u32_b32 v46, v21, 0
	v_cmp_ne_u32_e64 s2, 0, v21
	s_delay_alu instid0(VALU_DEP_2) | instskip(SKIP_1) | instid1(SALU_CYCLE_1)
	v_cmp_eq_u32_e32 vcc_lo, 0, v46
	s_and_b32 s3, s2, vcc_lo
	s_and_saveexec_b32 s2, s3
	s_cbranch_execz .LBB3018_31
; %bb.30:
	s_wait_dscnt 0x0
	v_bcnt_u32_b32 v21, v21, v45
	ds_store_b32 v50, v21 offset:64
.LBB3018_31:
	s_or_b32 exec_lo, exec_lo, s2
	v_lshrrev_b64 v[22:23], s20, v[16:17]
	; wave barrier
	s_delay_alu instid0(VALU_DEP_1) | instskip(SKIP_1) | instid1(VALU_DEP_2)
	v_and_b32_e32 v21, s6, v22
	v_bitop3_b32 v22, v22, 1, s6 bitop3:0x80
	v_lshlrev_b32_e32 v25, 30, v21
	s_delay_alu instid0(VALU_DEP_2) | instskip(NEXT) | instid1(VALU_DEP_1)
	v_add_co_u32 v22, s2, v22, -1
	v_cndmask_b32_e64 v24, 0, 1, s2
	s_delay_alu instid0(VALU_DEP_1) | instskip(NEXT) | instid1(VALU_DEP_4)
	v_cmp_ne_u32_e32 vcc_lo, 0, v24
	v_not_b32_e32 v24, v25
	s_delay_alu instid0(VALU_DEP_1) | instskip(SKIP_4) | instid1(VALU_DEP_4)
	v_dual_ashrrev_i32 v24, 31, v24 :: v_dual_bitop2_b32 v22, vcc_lo, v22 bitop3:0x14
	v_dual_lshlrev_b32 v26, 29, v21 :: v_dual_lshlrev_b32 v27, 28, v21
	v_lshlrev_b32_e32 v48, 27, v21
	v_cmp_gt_i32_e64 s2, 0, v25
	v_mul_lo_u32 v23, 0x44, v21
	v_cmp_gt_i32_e64 s3, 0, v26
	v_not_b32_e32 v25, v26
	v_not_b32_e32 v26, v27
	v_dual_lshlrev_b32 v49, 26, v21 :: v_dual_lshlrev_b32 v51, 25, v21
	v_lshlrev_b32_e32 v21, 24, v21
	v_cmp_gt_i32_e64 s4, 0, v27
	v_not_b32_e32 v27, v48
	v_dual_ashrrev_i32 v25, 31, v25 :: v_dual_ashrrev_i32 v26, 31, v26
	v_xor_b32_e32 v24, s2, v24
	v_cmp_gt_i32_e64 s5, 0, v48
	v_not_b32_e32 v48, v49
	s_delay_alu instid0(VALU_DEP_4)
	v_dual_ashrrev_i32 v27, 31, v27 :: v_dual_bitop2_b32 v25, s3, v25 bitop3:0x14
	v_xor_b32_e32 v26, s4, v26
	v_bitop3_b32 v22, v22, v24, exec_lo bitop3:0x80
	v_cmp_gt_i32_e32 vcc_lo, 0, v49
	v_ashrrev_i32_e32 v24, 31, v48
	v_not_b32_e32 v48, v51
	v_xor_b32_e32 v27, s5, v27
	v_bitop3_b32 v22, v22, v26, v25 bitop3:0x80
	v_not_b32_e32 v25, v21
	v_dual_add_nc_u32 v54, v20, v23 :: v_dual_bitop2_b32 v24, vcc_lo, v24 bitop3:0x14
	v_cmp_gt_i32_e32 vcc_lo, 0, v51
	v_ashrrev_i32_e32 v26, 31, v48
	v_cmp_gt_i32_e64 s2, 0, v21
	v_ashrrev_i32_e32 v21, 31, v25
	v_bitop3_b32 v20, v22, v24, v27 bitop3:0x80
	ds_load_b32 v48, v54 offset:64
	v_xor_b32_e32 v22, vcc_lo, v26
	v_xor_b32_e32 v21, s2, v21
	; wave barrier
	s_delay_alu instid0(VALU_DEP_1) | instskip(NEXT) | instid1(VALU_DEP_1)
	v_bitop3_b32 v20, v20, v21, v22 bitop3:0x80
	v_mbcnt_lo_u32_b32 v49, v20, 0
	v_cmp_ne_u32_e64 s2, 0, v20
	s_delay_alu instid0(VALU_DEP_2) | instskip(SKIP_1) | instid1(SALU_CYCLE_1)
	v_cmp_eq_u32_e32 vcc_lo, 0, v49
	s_and_b32 s3, s2, vcc_lo
	s_and_saveexec_b32 s2, s3
	s_cbranch_execz .LBB3018_33
; %bb.32:
	s_wait_dscnt 0x0
	v_bcnt_u32_b32 v20, v20, v48
	ds_store_b32 v54, v20 offset:64
.LBB3018_33:
	s_or_b32 exec_lo, exec_lo, s2
	; wave barrier
	s_wait_dscnt 0x0
	s_barrier_signal -1
	s_barrier_wait -1
	ds_load_2addr_b32 v[26:27], v3 offset0:16 offset1:17
	ds_load_2addr_b32 v[24:25], v3 offset0:18 offset1:19
	;; [unrolled: 1-line block ×4, first 2 shown]
	ds_load_b32 v51, v3 offset:96
	v_bfe_i32 v55, v33, 4, 1
	s_mov_b32 s7, exec_lo
	s_wait_dscnt 0x3
	v_add3_u32 v52, v27, v26, v24
	s_wait_dscnt 0x2
	s_delay_alu instid0(VALU_DEP_1) | instskip(SKIP_1) | instid1(VALU_DEP_1)
	v_add3_u32 v52, v52, v25, v22
	s_wait_dscnt 0x1
	v_add3_u32 v52, v52, v23, v20
	s_wait_dscnt 0x0
	s_delay_alu instid0(VALU_DEP_1) | instskip(SKIP_1) | instid1(VALU_DEP_2)
	v_add3_u32 v51, v52, v21, v51
	v_and_b32_e32 v52, 15, v33
	v_mov_b32_dpp v53, v51 row_shr:1 row_mask:0xf bank_mask:0xf
	s_delay_alu instid0(VALU_DEP_2) | instskip(NEXT) | instid1(VALU_DEP_2)
	v_cmp_eq_u32_e32 vcc_lo, 0, v52
	v_cndmask_b32_e64 v53, v53, 0, vcc_lo
	s_delay_alu instid0(VALU_DEP_1) | instskip(SKIP_3) | instid1(VALU_DEP_4)
	v_add_nc_u32_e32 v51, v53, v51
	v_cmp_lt_u32_e64 s2, 1, v52
	v_cmp_lt_u32_e64 s3, 3, v52
	;; [unrolled: 1-line block ×3, first 2 shown]
	v_mov_b32_dpp v53, v51 row_shr:2 row_mask:0xf bank_mask:0xf
	s_delay_alu instid0(VALU_DEP_1) | instskip(NEXT) | instid1(VALU_DEP_1)
	v_cndmask_b32_e64 v53, 0, v53, s2
	v_add_nc_u32_e32 v51, v51, v53
	s_delay_alu instid0(VALU_DEP_1) | instskip(NEXT) | instid1(VALU_DEP_1)
	v_mov_b32_dpp v53, v51 row_shr:4 row_mask:0xf bank_mask:0xf
	v_cndmask_b32_e64 v53, 0, v53, s3
	s_delay_alu instid0(VALU_DEP_1) | instskip(NEXT) | instid1(VALU_DEP_1)
	v_add_nc_u32_e32 v51, v51, v53
	v_mov_b32_dpp v53, v51 row_shr:8 row_mask:0xf bank_mask:0xf
	s_delay_alu instid0(VALU_DEP_1) | instskip(SKIP_1) | instid1(VALU_DEP_2)
	v_cndmask_b32_e64 v52, 0, v53, s4
	v_and_b32_e32 v53, 0x3e0, v32
	v_add_nc_u32_e32 v51, v51, v52
	s_delay_alu instid0(VALU_DEP_2) | instskip(SKIP_4) | instid1(VALU_DEP_1)
	v_min_u32_e32 v53, 0x1e0, v53
	ds_swizzle_b32 v52, v51 offset:swizzle(BROADCAST,32,15)
	v_or_b32_e32 v53, 31, v53
	s_wait_dscnt 0x0
	v_and_b32_e32 v55, v55, v52
	v_dual_lshrrev_b32 v52, 5, v32 :: v_dual_add_nc_u32 v51, v51, v55
	s_delay_alu instid0(VALU_DEP_3)
	v_cmpx_eq_u32_e64 v32, v53
; %bb.34:
	s_delay_alu instid0(VALU_DEP_2)
	v_lshlrev_b32_e32 v53, 2, v52
	ds_store_b32 v53, v51
; %bb.35:
	s_or_b32 exec_lo, exec_lo, s7
	s_delay_alu instid0(SALU_CYCLE_1)
	s_mov_b32 s7, exec_lo
	s_wait_dscnt 0x0
	s_barrier_signal -1
	s_barrier_wait -1
	v_cmpx_gt_u32_e32 16, v32
	s_cbranch_execz .LBB3018_37
; %bb.36:
	v_lshlrev_b32_e32 v53, 2, v32
	ds_load_b32 v55, v53
	s_wait_dscnt 0x0
	v_mov_b32_dpp v56, v55 row_shr:1 row_mask:0xf bank_mask:0xf
	s_delay_alu instid0(VALU_DEP_1) | instskip(NEXT) | instid1(VALU_DEP_1)
	v_cndmask_b32_e64 v56, v56, 0, vcc_lo
	v_add_nc_u32_e32 v55, v56, v55
	s_delay_alu instid0(VALU_DEP_1) | instskip(NEXT) | instid1(VALU_DEP_1)
	v_mov_b32_dpp v56, v55 row_shr:2 row_mask:0xf bank_mask:0xf
	v_cndmask_b32_e64 v56, 0, v56, s2
	s_delay_alu instid0(VALU_DEP_1) | instskip(NEXT) | instid1(VALU_DEP_1)
	v_add_nc_u32_e32 v55, v55, v56
	v_mov_b32_dpp v56, v55 row_shr:4 row_mask:0xf bank_mask:0xf
	s_delay_alu instid0(VALU_DEP_1) | instskip(NEXT) | instid1(VALU_DEP_1)
	v_cndmask_b32_e64 v56, 0, v56, s3
	v_add_nc_u32_e32 v55, v55, v56
	s_delay_alu instid0(VALU_DEP_1) | instskip(NEXT) | instid1(VALU_DEP_1)
	v_mov_b32_dpp v56, v55 row_shr:8 row_mask:0xf bank_mask:0xf
	v_cndmask_b32_e64 v56, 0, v56, s4
	s_delay_alu instid0(VALU_DEP_1)
	v_add_nc_u32_e32 v55, v55, v56
	ds_store_b32 v53, v55
.LBB3018_37:
	s_or_b32 exec_lo, exec_lo, s7
	v_mov_b32_e32 v53, 0
	s_mov_b32 s2, exec_lo
	s_wait_dscnt 0x0
	s_barrier_signal -1
	s_barrier_wait -1
	v_cmpx_lt_u32_e32 31, v32
; %bb.38:
	v_lshl_add_u32 v52, v52, 2, -4
	ds_load_b32 v53, v52
; %bb.39:
	s_or_b32 exec_lo, exec_lo, s2
	v_sub_co_u32 v52, vcc_lo, v33, 1
	s_wait_dscnt 0x0
	v_add_nc_u32_e32 v51, v53, v51
	s_delay_alu instid0(VALU_DEP_2) | instskip(NEXT) | instid1(VALU_DEP_1)
	v_cmp_gt_i32_e64 s2, 0, v52
	v_cndmask_b32_e64 v52, v52, v33, s2
	v_cmp_lt_u32_e64 s2, 0xff, v32
	s_delay_alu instid0(VALU_DEP_2) | instskip(SKIP_4) | instid1(VALU_DEP_2)
	v_lshlrev_b32_e32 v52, 2, v52
	ds_bpermute_b32 v51, v52, v51
	s_wait_dscnt 0x0
	v_cndmask_b32_e32 v51, v51, v53, vcc_lo
	v_cmp_ne_u32_e32 vcc_lo, 0, v32
	v_cndmask_b32_e32 v51, 0, v51, vcc_lo
	v_cmp_gt_u32_e32 vcc_lo, 0x100, v32
	s_delay_alu instid0(VALU_DEP_2) | instskip(NEXT) | instid1(VALU_DEP_1)
	v_add_nc_u32_e32 v26, v51, v26
	v_add_nc_u32_e32 v27, v26, v27
	s_delay_alu instid0(VALU_DEP_1) | instskip(NEXT) | instid1(VALU_DEP_1)
	v_add_nc_u32_e32 v24, v27, v24
	v_add_nc_u32_e32 v25, v24, v25
	s_delay_alu instid0(VALU_DEP_1) | instskip(NEXT) | instid1(VALU_DEP_1)
	v_add_nc_u32_e32 v22, v25, v22
	v_add_nc_u32_e32 v23, v22, v23
	s_delay_alu instid0(VALU_DEP_1) | instskip(NEXT) | instid1(VALU_DEP_1)
	v_add_nc_u32_e32 v20, v23, v20
	v_add_nc_u32_e32 v21, v20, v21
	ds_store_2addr_b32 v3, v51, v26 offset0:16 offset1:17
	ds_store_2addr_b32 v3, v27, v24 offset0:18 offset1:19
	;; [unrolled: 1-line block ×4, first 2 shown]
	ds_store_b32 v3, v21 offset:96
	s_wait_dscnt 0x0
	s_barrier_signal -1
	s_barrier_wait -1
	ds_load_b32 v53, v28 offset:64
	ds_load_b32 v23, v29 offset:64
	;; [unrolled: 1-line block ×8, first 2 shown]
	v_mov_b64_e32 v[20:21], 0
                                        ; implicit-def: $vgpr22
	s_and_saveexec_b32 s4, vcc_lo
	s_cbranch_execz .LBB3018_43
; %bb.40:
	v_mul_u32_u24_e32 v3, 0x44, v32
	v_add_nc_u32_e32 v21, 1, v32
	s_mov_b32 s5, exec_lo
	ds_load_b32 v20, v3 offset:64
	v_mov_b32_e32 v3, 0x1000
	v_cmpx_ne_u32_e32 0x100, v21
; %bb.41:
	v_mul_u32_u24_e32 v3, 0x44, v21
	ds_load_b32 v3, v3 offset:64
; %bb.42:
	s_or_b32 exec_lo, exec_lo, s5
	s_wait_dscnt 0x0
	v_dual_mov_b32 v21, 0 :: v_dual_sub_nc_u32 v22, v3, v20
.LBB3018_43:
	s_or_b32 exec_lo, exec_lo, s4
	v_mov_b32_e32 v25, 0
	s_wait_dscnt 0x0
	s_barrier_signal -1
	s_barrier_wait -1
	s_and_saveexec_b32 s3, vcc_lo
	s_cbranch_execz .LBB3018_53
; %bb.44:
	v_lshl_add_u32 v24, s9, 8, v32
	v_dual_mov_b32 v28, 0 :: v_dual_bitop2_b32 v3, 2.0, v22 bitop3:0x54
	s_mov_b32 s4, 0
	s_mov_b32 s5, s9
	s_delay_alu instid0(VALU_DEP_2)
	v_lshl_add_u64 v[26:27], v[24:25], 2, s[10:11]
	global_store_b32 v24, v3, s[10:11] scale_offset scope:SCOPE_DEV
                                        ; implicit-def: $sgpr7
	s_branch .LBB3018_47
.LBB3018_45:                            ;   in Loop: Header=BB3018_47 Depth=1
	s_or_b32 exec_lo, exec_lo, s8
.LBB3018_46:                            ;   in Loop: Header=BB3018_47 Depth=1
	s_delay_alu instid0(SALU_CYCLE_1) | instskip(SKIP_2) | instid1(VALU_DEP_2)
	s_or_b32 exec_lo, exec_lo, s7
	v_and_b32_e32 v24, 0x3fffffff, v3
	v_cmp_gt_i32_e64 s7, -2.0, v3
	v_add_nc_u32_e32 v28, v24, v28
	s_and_b32 s8, exec_lo, s7
	s_delay_alu instid0(SALU_CYCLE_1) | instskip(NEXT) | instid1(SALU_CYCLE_1)
	s_or_b32 s4, s8, s4
	s_and_not1_b32 exec_lo, exec_lo, s4
	s_cbranch_execz .LBB3018_52
.LBB3018_47:                            ; =>This Loop Header: Depth=1
                                        ;     Child Loop BB3018_50 Depth 2
	s_or_b32 s7, s7, exec_lo
	s_cmp_eq_u32 s5, 0
	s_cbranch_scc1 .LBB3018_51
; %bb.48:                               ;   in Loop: Header=BB3018_47 Depth=1
	s_add_co_i32 s5, s5, -1
	s_mov_b32 s7, exec_lo
	s_wait_xcnt 0x0
	v_lshl_or_b32 v24, s5, 8, v32
	global_load_b32 v3, v24, s[10:11] scale_offset scope:SCOPE_DEV
	s_wait_loadcnt 0x0
	v_cmpx_gt_u32_e32 2.0, v3
	s_cbranch_execz .LBB3018_46
; %bb.49:                               ;   in Loop: Header=BB3018_47 Depth=1
	v_lshl_add_u64 v[30:31], v[24:25], 2, s[10:11]
	s_mov_b32 s8, 0
.LBB3018_50:                            ;   Parent Loop BB3018_47 Depth=1
                                        ; =>  This Inner Loop Header: Depth=2
	global_load_b32 v3, v[30:31], off scope:SCOPE_DEV
	s_wait_loadcnt 0x0
	v_cmp_lt_u32_e32 vcc_lo, 0x3fffffff, v3
	s_or_b32 s8, vcc_lo, s8
	s_wait_xcnt 0x0
	s_and_not1_b32 exec_lo, exec_lo, s8
	s_cbranch_execnz .LBB3018_50
	s_branch .LBB3018_45
.LBB3018_51:                            ;   in Loop: Header=BB3018_47 Depth=1
                                        ; implicit-def: $sgpr5
	s_and_b32 s8, exec_lo, s7
	s_delay_alu instid0(SALU_CYCLE_1)
	s_or_b32 s4, s8, s4
	s_wait_xcnt 0x0
	s_and_not1_b32 exec_lo, exec_lo, s4
	s_cbranch_execnz .LBB3018_47
.LBB3018_52:
	s_or_b32 exec_lo, exec_lo, s4
	v_dual_add_nc_u32 v3, v28, v22 :: v_dual_mov_b32 v29, 0
	s_delay_alu instid0(VALU_DEP_1)
	v_or_b32_e32 v3, 0x80000000, v3
	global_store_b32 v[26:27], v3, off scope:SCOPE_DEV
	global_load_b64 v[24:25], v32, s[12:13] scale_offset
	s_wait_xcnt 0x1
	v_sub_nc_u64_e32 v[26:27], v[28:29], v[20:21]
	s_wait_loadcnt 0x0
	s_delay_alu instid0(VALU_DEP_1)
	v_add_nc_u64_e32 v[24:25], v[26:27], v[24:25]
	ds_store_b64 v2, v[24:25]
.LBB3018_53:
	s_wait_xcnt 0x0
	s_or_b32 exec_lo, exec_lo, s3
	v_dual_mov_b32 v3, 0 :: v_dual_add_nc_u32 v1, v53, v1
	v_add3_u32 v26, v46, v50, v45
	v_add3_u32 v27, v43, v47, v42
	;; [unrolled: 1-line block ×3, first 2 shown]
	s_delay_alu instid0(VALU_DEP_4)
	v_add_nc_u64_e32 v[24:25], s[18:19], v[2:3]
	v_add3_u32 v3, v49, v54, v48
	v_add3_u32 v29, v39, v52, v38
	;; [unrolled: 1-line block ×4, first 2 shown]
	v_mov_b32_e32 v31, v32
	s_mov_b32 s4, -1
	v_add_nc_u64_e32 v[24:25], 0x3000, v[24:25]
	s_mov_b32 s3, 0
	s_branch .LBB3018_55
.LBB3018_54:                            ;   in Loop: Header=BB3018_55 Depth=1
	s_wait_xcnt 0x0
	s_or_b32 exec_lo, exec_lo, s5
	v_add_nc_u64_e32 v[24:25], 0x4000, v[24:25]
	v_add_nc_u32_e32 v31, 0x800, v31
	s_xor_b32 s4, s4, -1
	s_addk_co_i32 s3, 0xf800
	s_and_b32 vcc_lo, exec_lo, s4
	s_mov_b32 s4, 0
	s_wait_storecnt 0x0
	s_barrier_signal -1
	s_barrier_wait -1
	s_cbranch_vccnz .LBB3018_63
.LBB3018_55:                            ; =>This Inner Loop Header: Depth=1
	v_add_min_u32_e64 v34, v1, s3, 0x800
	v_add_min_u32_e64 v35, v23, s3, 0x800
	;; [unrolled: 1-line block ×5, first 2 shown]
	s_delay_alu instid0(VALU_DEP_4) | instskip(NEXT) | instid1(VALU_DEP_3)
	v_dual_lshlrev_b32 v34, 3, v34 :: v_dual_lshlrev_b32 v35, 3, v35
	v_dual_lshlrev_b32 v36, 3, v36 :: v_dual_lshlrev_b32 v37, 3, v37
	s_mov_b32 s5, exec_lo
	ds_store_b64 v34, v[6:7] offset:2048
	ds_store_b64 v35, v[4:5] offset:2048
	;; [unrolled: 1-line block ×3, first 2 shown]
	v_add_min_u32_e64 v34, v27, s3, 0x800
	v_add_min_u32_e64 v35, v26, s3, 0x800
	;; [unrolled: 1-line block ×3, first 2 shown]
	v_lshlrev_b32_e32 v38, 3, v38
	s_delay_alu instid0(VALU_DEP_3) | instskip(NEXT) | instid1(VALU_DEP_3)
	v_dual_lshlrev_b32 v34, 3, v34 :: v_dual_lshlrev_b32 v35, 3, v35
	v_lshlrev_b32_e32 v36, 3, v36
	ds_store_b64 v37, v[8:9] offset:2048
	ds_store_b64 v38, v[14:15] offset:2048
	;; [unrolled: 1-line block ×5, first 2 shown]
	s_wait_storecnt_dscnt 0x0
	s_barrier_signal -1
	s_barrier_wait -1
	v_cmpx_gt_u32_e64 s22, v31
	s_cbranch_execz .LBB3018_57
; %bb.56:                               ;   in Loop: Header=BB3018_55 Depth=1
	ds_load_b64 v[34:35], v2 offset:2048
	s_wait_dscnt 0x0
	v_lshrrev_b64 v[36:37], s20, v[34:35]
	s_delay_alu instid0(VALU_DEP_1) | instskip(NEXT) | instid1(VALU_DEP_1)
	v_and_b32_e32 v36, s6, v36
	v_lshlrev_b32_e32 v36, 3, v36
	ds_load_b64 v[36:37], v36
	s_wait_dscnt 0x0
	v_lshl_add_u64 v[36:37], v[36:37], 3, v[24:25]
	global_store_b64 v[36:37], v[34:35], off offset:-12288
.LBB3018_57:                            ;   in Loop: Header=BB3018_55 Depth=1
	s_wait_xcnt 0x0
	s_or_b32 exec_lo, exec_lo, s5
	v_add_nc_u32_e32 v34, 0x200, v31
	s_mov_b32 s5, exec_lo
	s_delay_alu instid0(VALU_DEP_1)
	v_cmpx_gt_u32_e64 s22, v34
	s_cbranch_execz .LBB3018_59
; %bb.58:                               ;   in Loop: Header=BB3018_55 Depth=1
	ds_load_b64 v[34:35], v2 offset:6144
	s_wait_dscnt 0x0
	v_lshrrev_b64 v[36:37], s20, v[34:35]
	s_delay_alu instid0(VALU_DEP_1) | instskip(NEXT) | instid1(VALU_DEP_1)
	v_and_b32_e32 v36, s6, v36
	v_lshlrev_b32_e32 v36, 3, v36
	ds_load_b64 v[36:37], v36
	s_wait_dscnt 0x0
	v_lshl_add_u64 v[36:37], v[36:37], 3, v[24:25]
	global_store_b64 v[36:37], v[34:35], off offset:-8192
.LBB3018_59:                            ;   in Loop: Header=BB3018_55 Depth=1
	s_wait_xcnt 0x0
	s_or_b32 exec_lo, exec_lo, s5
	v_add_nc_u32_e32 v34, 0x400, v31
	s_mov_b32 s5, exec_lo
	s_delay_alu instid0(VALU_DEP_1)
	;; [unrolled: 19-line block ×3, first 2 shown]
	v_cmpx_gt_u32_e64 s22, v34
	s_cbranch_execz .LBB3018_54
; %bb.62:                               ;   in Loop: Header=BB3018_55 Depth=1
	ds_load_b64 v[34:35], v2 offset:14336
	s_wait_dscnt 0x0
	v_lshrrev_b64 v[36:37], s20, v[34:35]
	s_delay_alu instid0(VALU_DEP_1) | instskip(NEXT) | instid1(VALU_DEP_1)
	v_and_b32_e32 v36, s6, v36
	v_lshlrev_b32_e32 v36, 3, v36
	ds_load_b64 v[36:37], v36
	s_wait_dscnt 0x0
	v_lshl_add_u64 v[36:37], v[36:37], 3, v[24:25]
	global_store_b64 v[36:37], v[34:35], off
	s_branch .LBB3018_54
.LBB3018_63:
	s_add_co_i32 s23, s23, -1
	s_delay_alu instid0(SALU_CYCLE_1) | instskip(SKIP_2) | instid1(SALU_CYCLE_1)
	s_cmp_eq_u32 s9, s23
	s_cselect_b32 s3, -1, 0
	s_xor_b32 s2, s2, -1
	s_and_b32 s3, s2, s3
	s_delay_alu instid0(SALU_CYCLE_1)
	s_and_saveexec_b32 s2, s3
	s_cbranch_execz .LBB3018_65
; %bb.64:
	ds_load_b64 v[2:3], v2
	v_mov_b32_e32 v23, 0
	s_delay_alu instid0(VALU_DEP_1) | instskip(SKIP_1) | instid1(VALU_DEP_1)
	v_add_nc_u64_e32 v[4:5], v[20:21], v[22:23]
	s_wait_dscnt 0x0
	v_add_nc_u64_e32 v[2:3], v[4:5], v[2:3]
	global_store_b64 v32, v[2:3], s[14:15] scale_offset
.LBB3018_65:
	s_wait_xcnt 0x0
	s_or_b32 exec_lo, exec_lo, s2
	s_mov_b32 s2, 0
.LBB3018_66:
	s_delay_alu instid0(SALU_CYCLE_1)
	s_and_b32 vcc_lo, exec_lo, s2
	s_cbranch_vccz .LBB3018_107
; %bb.67:
	s_lshl_b32 s2, s9, 12
	s_mov_b32 s3, 0
	v_dual_mov_b32 v19, 0 :: v_dual_lshlrev_b32 v18, 3, v33
	s_lshl_b64 s[4:5], s[2:3], 3
	v_lshlrev_b32_e32 v1, 6, v32
	s_add_nc_u64 s[4:5], s[16:17], s[4:5]
	s_delay_alu instid0(VALU_DEP_2) | instid1(SALU_CYCLE_1)
	v_add_nc_u64_e32 v[2:3], s[4:5], v[18:19]
	s_delay_alu instid0(VALU_DEP_2) | instskip(SKIP_2) | instid1(VALU_DEP_3)
	v_and_b32_e32 v18, 0x7800, v1
	v_bfe_u32 v1, v0, 10, 10
	v_bfe_u32 v0, v0, 20, 10
	v_add_nc_u64_e32 v[20:21], v[2:3], v[18:19]
	s_clause 0x7
	global_load_b64 v[2:3], v[20:21], off
	global_load_b64 v[4:5], v[20:21], off offset:256
	global_load_b64 v[6:7], v[20:21], off offset:512
	;; [unrolled: 1-line block ×7, first 2 shown]
	s_clause 0x1
	s_load_b32 s7, s[0:1], 0x58
	s_load_u16 s4, s[0:1], 0x66
	s_wait_kmcnt 0x0
	s_cmp_lt_u32 s9, s7
	v_mad_u32_u24 v0, v0, s4, v1
	s_cselect_b32 s2, 12, 18
	s_lshl_b32 s8, -1, s21
	s_add_nc_u64 s[0:1], s[24:25], s[2:3]
	s_load_u16 s16, s[0:1], 0x0
	s_wait_kmcnt 0x0
	v_mad_u32 v0, v0, s16, v32
	s_delay_alu instid0(VALU_DEP_1) | instskip(NEXT) | instid1(VALU_DEP_1)
	v_lshrrev_b32_e32 v0, 3, v0
	v_and_b32_e32 v0, 0x1ffffffc, v0
	s_wait_loadcnt 0x7
	v_lshrrev_b64 v[20:21], s20, v[2:3]
	s_delay_alu instid0(VALU_DEP_1) | instskip(SKIP_1) | instid1(VALU_DEP_2)
	v_bitop3_b32 v1, v20, 1, s8 bitop3:0x40
	v_bitop3_b32 v18, v20, s8, v20 bitop3:0x30
	v_add_co_u32 v1, s0, v1, -1
	s_delay_alu instid0(VALU_DEP_1) | instskip(NEXT) | instid1(VALU_DEP_3)
	v_cndmask_b32_e64 v20, 0, 1, s0
	v_dual_lshlrev_b32 v21, 30, v18 :: v_dual_lshlrev_b32 v22, 29, v18
	v_dual_lshlrev_b32 v23, 28, v18 :: v_dual_lshlrev_b32 v24, 27, v18
	v_lshlrev_b32_e32 v25, 26, v18
	s_delay_alu instid0(VALU_DEP_4) | instskip(NEXT) | instid1(VALU_DEP_4)
	v_cmp_ne_u32_e32 vcc_lo, 0, v20
	v_not_b32_e32 v20, v21
	v_dual_lshlrev_b32 v26, 25, v18 :: v_dual_lshlrev_b32 v27, 24, v18
	v_cmp_gt_i32_e64 s0, 0, v21
	v_cmp_gt_i32_e64 s1, 0, v22
	v_not_b32_e32 v21, v22
	v_not_b32_e32 v22, v23
	v_dual_ashrrev_i32 v20, 31, v20 :: v_dual_bitop2_b32 v1, vcc_lo, v1 bitop3:0x14
	v_cmp_gt_i32_e64 s2, 0, v23
	v_cmp_gt_i32_e64 s3, 0, v24
	v_not_b32_e32 v23, v24
	v_cmp_gt_i32_e64 s4, 0, v25
	v_not_b32_e32 v24, v25
	;; [unrolled: 2-line block ×3, first 2 shown]
	v_not_b32_e32 v26, v27
	v_dual_ashrrev_i32 v21, 31, v21 :: v_dual_ashrrev_i32 v22, 31, v22
	v_dual_ashrrev_i32 v23, 31, v23 :: v_dual_bitop2_b32 v20, s0, v20 bitop3:0x14
	v_cmp_gt_i32_e64 s6, 0, v27
	s_delay_alu instid0(VALU_DEP_3) | instskip(NEXT) | instid1(VALU_DEP_4)
	v_dual_ashrrev_i32 v24, 31, v24 :: v_dual_bitop2_b32 v21, s1, v21 bitop3:0x14
	v_xor_b32_e32 v22, s2, v22
	s_delay_alu instid0(VALU_DEP_4) | instskip(SKIP_3) | instid1(VALU_DEP_4)
	v_bitop3_b32 v1, v1, v20, exec_lo bitop3:0x80
	v_dual_ashrrev_i32 v20, 31, v25 :: v_dual_ashrrev_i32 v25, 31, v26
	v_xor_b32_e32 v23, s3, v23
	v_mul_lo_u32 v18, 0x44, v18
	v_bitop3_b32 v1, v1, v22, v21 bitop3:0x80
	v_xor_b32_e32 v24, s4, v24
	v_xor_b32_e32 v21, s6, v25
	;; [unrolled: 1-line block ×3, first 2 shown]
	s_not_b32 s4, s8
	v_add_nc_u32_e32 v25, v0, v18
	v_bitop3_b32 v1, v1, v24, v23 bitop3:0x80
	v_mul_u32_u24_e32 v24, 36, v32
	ds_store_2addr_b32 v24, v19, v19 offset0:16 offset1:17
	ds_store_2addr_b32 v24, v19, v19 offset0:18 offset1:19
	;; [unrolled: 1-line block ×4, first 2 shown]
	v_bitop3_b32 v1, v1, v21, v20 bitop3:0x80
	ds_store_b32 v24, v19 offset:96
	s_wait_storecnt 0x0
	s_wait_loadcnt_dscnt 0x0
	s_barrier_signal -1
	s_barrier_wait -1
	v_mbcnt_lo_u32_b32 v30, v1, 0
	v_cmp_ne_u32_e64 s0, 0, v1
	; wave barrier
	s_delay_alu instid0(VALU_DEP_2) | instskip(SKIP_1) | instid1(SALU_CYCLE_1)
	v_cmp_eq_u32_e32 vcc_lo, 0, v30
	s_and_b32 s1, s0, vcc_lo
	s_and_saveexec_b32 s0, s1
; %bb.68:
	v_bcnt_u32_b32 v1, v1, 0
	ds_store_b32 v25, v1 offset:64
; %bb.69:
	s_or_b32 exec_lo, exec_lo, s0
	v_lshrrev_b64 v[18:19], s20, v[4:5]
	; wave barrier
	s_delay_alu instid0(VALU_DEP_1) | instskip(SKIP_1) | instid1(VALU_DEP_2)
	v_and_b32_e32 v1, s4, v18
	v_bitop3_b32 v18, v18, 1, s4 bitop3:0x80
	v_lshlrev_b32_e32 v21, 30, v1
	s_delay_alu instid0(VALU_DEP_2) | instskip(NEXT) | instid1(VALU_DEP_1)
	v_add_co_u32 v18, s0, v18, -1
	v_cndmask_b32_e64 v20, 0, 1, s0
	s_delay_alu instid0(VALU_DEP_1) | instskip(NEXT) | instid1(VALU_DEP_4)
	v_cmp_ne_u32_e32 vcc_lo, 0, v20
	v_not_b32_e32 v20, v21
	s_delay_alu instid0(VALU_DEP_1) | instskip(SKIP_4) | instid1(VALU_DEP_4)
	v_dual_ashrrev_i32 v20, 31, v20 :: v_dual_bitop2_b32 v18, vcc_lo, v18 bitop3:0x14
	v_dual_lshlrev_b32 v22, 29, v1 :: v_dual_lshlrev_b32 v23, 28, v1
	v_lshlrev_b32_e32 v26, 27, v1
	v_cmp_gt_i32_e64 s0, 0, v21
	v_mul_lo_u32 v19, 0x44, v1
	v_cmp_gt_i32_e64 s1, 0, v22
	v_not_b32_e32 v21, v22
	v_not_b32_e32 v22, v23
	v_dual_lshlrev_b32 v27, 26, v1 :: v_dual_lshlrev_b32 v28, 25, v1
	v_lshlrev_b32_e32 v1, 24, v1
	v_cmp_gt_i32_e64 s2, 0, v23
	v_not_b32_e32 v23, v26
	v_dual_ashrrev_i32 v21, 31, v21 :: v_dual_ashrrev_i32 v22, 31, v22
	v_xor_b32_e32 v20, s0, v20
	v_cmp_gt_i32_e64 s3, 0, v26
	v_not_b32_e32 v26, v27
	s_delay_alu instid0(VALU_DEP_4)
	v_dual_ashrrev_i32 v23, 31, v23 :: v_dual_bitop2_b32 v21, s1, v21 bitop3:0x14
	v_xor_b32_e32 v22, s2, v22
	v_bitop3_b32 v18, v18, v20, exec_lo bitop3:0x80
	v_cmp_gt_i32_e32 vcc_lo, 0, v27
	v_ashrrev_i32_e32 v20, 31, v26
	v_not_b32_e32 v26, v28
	v_xor_b32_e32 v23, s3, v23
	v_bitop3_b32 v18, v18, v22, v21 bitop3:0x80
	v_not_b32_e32 v21, v1
	v_xor_b32_e32 v20, vcc_lo, v20
	v_cmp_gt_i32_e32 vcc_lo, 0, v28
	v_ashrrev_i32_e32 v22, 31, v26
	v_cmp_gt_i32_e64 s0, 0, v1
	v_dual_ashrrev_i32 v1, 31, v21 :: v_dual_add_nc_u32 v26, v0, v19
	v_bitop3_b32 v18, v18, v20, v23 bitop3:0x80
	s_delay_alu instid0(VALU_DEP_4) | instskip(NEXT) | instid1(VALU_DEP_3)
	v_xor_b32_e32 v19, vcc_lo, v22
	v_xor_b32_e32 v1, s0, v1
	ds_load_b32 v31, v26 offset:64
	; wave barrier
	v_bitop3_b32 v1, v18, v1, v19 bitop3:0x80
	s_delay_alu instid0(VALU_DEP_1) | instskip(SKIP_1) | instid1(VALU_DEP_2)
	v_mbcnt_lo_u32_b32 v34, v1, 0
	v_cmp_ne_u32_e64 s0, 0, v1
	v_cmp_eq_u32_e32 vcc_lo, 0, v34
	s_and_b32 s1, s0, vcc_lo
	s_delay_alu instid0(SALU_CYCLE_1)
	s_and_saveexec_b32 s0, s1
	s_cbranch_execz .LBB3018_71
; %bb.70:
	s_wait_dscnt 0x0
	v_bcnt_u32_b32 v1, v1, v31
	ds_store_b32 v26, v1 offset:64
.LBB3018_71:
	s_or_b32 exec_lo, exec_lo, s0
	v_lshrrev_b64 v[18:19], s20, v[6:7]
	; wave barrier
	s_delay_alu instid0(VALU_DEP_1) | instskip(SKIP_1) | instid1(VALU_DEP_2)
	v_and_b32_e32 v1, s4, v18
	v_bitop3_b32 v18, v18, 1, s4 bitop3:0x80
	v_lshlrev_b32_e32 v21, 30, v1
	s_delay_alu instid0(VALU_DEP_2) | instskip(NEXT) | instid1(VALU_DEP_1)
	v_add_co_u32 v18, s0, v18, -1
	v_cndmask_b32_e64 v20, 0, 1, s0
	s_delay_alu instid0(VALU_DEP_1) | instskip(NEXT) | instid1(VALU_DEP_4)
	v_cmp_ne_u32_e32 vcc_lo, 0, v20
	v_not_b32_e32 v20, v21
	s_delay_alu instid0(VALU_DEP_1) | instskip(SKIP_4) | instid1(VALU_DEP_4)
	v_dual_ashrrev_i32 v20, 31, v20 :: v_dual_bitop2_b32 v18, vcc_lo, v18 bitop3:0x14
	v_dual_lshlrev_b32 v22, 29, v1 :: v_dual_lshlrev_b32 v23, 28, v1
	v_lshlrev_b32_e32 v27, 27, v1
	v_cmp_gt_i32_e64 s0, 0, v21
	v_mul_lo_u32 v19, 0x44, v1
	v_cmp_gt_i32_e64 s1, 0, v22
	v_not_b32_e32 v21, v22
	v_not_b32_e32 v22, v23
	v_dual_lshlrev_b32 v28, 26, v1 :: v_dual_lshlrev_b32 v29, 25, v1
	v_lshlrev_b32_e32 v1, 24, v1
	v_cmp_gt_i32_e64 s2, 0, v23
	v_not_b32_e32 v23, v27
	v_dual_ashrrev_i32 v21, 31, v21 :: v_dual_ashrrev_i32 v22, 31, v22
	v_xor_b32_e32 v20, s0, v20
	v_cmp_gt_i32_e64 s3, 0, v27
	v_not_b32_e32 v27, v28
	s_delay_alu instid0(VALU_DEP_4)
	v_dual_ashrrev_i32 v23, 31, v23 :: v_dual_bitop2_b32 v21, s1, v21 bitop3:0x14
	v_xor_b32_e32 v22, s2, v22
	v_bitop3_b32 v18, v18, v20, exec_lo bitop3:0x80
	v_cmp_gt_i32_e32 vcc_lo, 0, v28
	v_ashrrev_i32_e32 v20, 31, v27
	v_not_b32_e32 v27, v29
	v_xor_b32_e32 v23, s3, v23
	v_bitop3_b32 v18, v18, v22, v21 bitop3:0x80
	v_not_b32_e32 v21, v1
	s_delay_alu instid0(VALU_DEP_4) | instskip(SKIP_2) | instid1(VALU_DEP_4)
	v_dual_ashrrev_i32 v22, 31, v27 :: v_dual_bitop2_b32 v20, vcc_lo, v20 bitop3:0x14
	v_cmp_gt_i32_e32 vcc_lo, 0, v29
	v_cmp_gt_i32_e64 s0, 0, v1
	v_dual_ashrrev_i32 v1, 31, v21 :: v_dual_add_nc_u32 v27, v0, v19
	s_delay_alu instid0(VALU_DEP_4) | instskip(SKIP_1) | instid1(VALU_DEP_3)
	v_bitop3_b32 v18, v18, v20, v23 bitop3:0x80
	v_xor_b32_e32 v19, vcc_lo, v22
	v_xor_b32_e32 v1, s0, v1
	ds_load_b32 v35, v27 offset:64
	; wave barrier
	v_bitop3_b32 v1, v18, v1, v19 bitop3:0x80
	s_delay_alu instid0(VALU_DEP_1) | instskip(SKIP_1) | instid1(VALU_DEP_2)
	v_mbcnt_lo_u32_b32 v36, v1, 0
	v_cmp_ne_u32_e64 s0, 0, v1
	v_cmp_eq_u32_e32 vcc_lo, 0, v36
	s_and_b32 s1, s0, vcc_lo
	s_delay_alu instid0(SALU_CYCLE_1)
	s_and_saveexec_b32 s0, s1
	s_cbranch_execz .LBB3018_73
; %bb.72:
	s_wait_dscnt 0x0
	v_bcnt_u32_b32 v1, v1, v35
	ds_store_b32 v27, v1 offset:64
.LBB3018_73:
	s_or_b32 exec_lo, exec_lo, s0
	v_lshrrev_b64 v[18:19], s20, v[8:9]
	; wave barrier
	s_delay_alu instid0(VALU_DEP_1) | instskip(SKIP_1) | instid1(VALU_DEP_2)
	v_and_b32_e32 v1, s4, v18
	v_bitop3_b32 v18, v18, 1, s4 bitop3:0x80
	v_lshlrev_b32_e32 v21, 30, v1
	s_delay_alu instid0(VALU_DEP_2) | instskip(NEXT) | instid1(VALU_DEP_1)
	v_add_co_u32 v18, s0, v18, -1
	v_cndmask_b32_e64 v20, 0, 1, s0
	s_delay_alu instid0(VALU_DEP_1) | instskip(NEXT) | instid1(VALU_DEP_4)
	v_cmp_ne_u32_e32 vcc_lo, 0, v20
	v_not_b32_e32 v20, v21
	s_delay_alu instid0(VALU_DEP_1) | instskip(SKIP_4) | instid1(VALU_DEP_4)
	v_dual_ashrrev_i32 v20, 31, v20 :: v_dual_bitop2_b32 v18, vcc_lo, v18 bitop3:0x14
	v_dual_lshlrev_b32 v22, 29, v1 :: v_dual_lshlrev_b32 v23, 28, v1
	v_lshlrev_b32_e32 v28, 27, v1
	v_cmp_gt_i32_e64 s0, 0, v21
	v_mul_lo_u32 v19, 0x44, v1
	v_cmp_gt_i32_e64 s1, 0, v22
	v_not_b32_e32 v21, v22
	v_not_b32_e32 v22, v23
	v_dual_lshlrev_b32 v29, 26, v1 :: v_dual_lshlrev_b32 v37, 25, v1
	v_lshlrev_b32_e32 v1, 24, v1
	v_cmp_gt_i32_e64 s2, 0, v23
	v_not_b32_e32 v23, v28
	v_dual_ashrrev_i32 v21, 31, v21 :: v_dual_ashrrev_i32 v22, 31, v22
	v_xor_b32_e32 v20, s0, v20
	v_cmp_gt_i32_e64 s3, 0, v28
	v_not_b32_e32 v28, v29
	s_delay_alu instid0(VALU_DEP_4)
	v_dual_ashrrev_i32 v23, 31, v23 :: v_dual_bitop2_b32 v21, s1, v21 bitop3:0x14
	v_xor_b32_e32 v22, s2, v22
	v_bitop3_b32 v18, v18, v20, exec_lo bitop3:0x80
	v_cmp_gt_i32_e32 vcc_lo, 0, v29
	v_ashrrev_i32_e32 v20, 31, v28
	v_not_b32_e32 v28, v37
	v_xor_b32_e32 v23, s3, v23
	v_bitop3_b32 v18, v18, v22, v21 bitop3:0x80
	v_not_b32_e32 v21, v1
	v_xor_b32_e32 v20, vcc_lo, v20
	v_cmp_gt_i32_e32 vcc_lo, 0, v37
	v_ashrrev_i32_e32 v22, 31, v28
	v_cmp_gt_i32_e64 s0, 0, v1
	v_dual_ashrrev_i32 v1, 31, v21 :: v_dual_add_nc_u32 v28, v0, v19
	v_bitop3_b32 v18, v18, v20, v23 bitop3:0x80
	s_delay_alu instid0(VALU_DEP_4) | instskip(NEXT) | instid1(VALU_DEP_3)
	v_xor_b32_e32 v19, vcc_lo, v22
	v_xor_b32_e32 v1, s0, v1
	ds_load_b32 v37, v28 offset:64
	; wave barrier
	v_bitop3_b32 v1, v18, v1, v19 bitop3:0x80
	s_delay_alu instid0(VALU_DEP_1) | instskip(SKIP_1) | instid1(VALU_DEP_2)
	v_mbcnt_lo_u32_b32 v38, v1, 0
	v_cmp_ne_u32_e64 s0, 0, v1
	v_cmp_eq_u32_e32 vcc_lo, 0, v38
	s_and_b32 s1, s0, vcc_lo
	s_delay_alu instid0(SALU_CYCLE_1)
	s_and_saveexec_b32 s0, s1
	s_cbranch_execz .LBB3018_75
; %bb.74:
	s_wait_dscnt 0x0
	v_bcnt_u32_b32 v1, v1, v37
	ds_store_b32 v28, v1 offset:64
.LBB3018_75:
	s_or_b32 exec_lo, exec_lo, s0
	v_lshrrev_b64 v[18:19], s20, v[10:11]
	; wave barrier
	s_delay_alu instid0(VALU_DEP_1) | instskip(SKIP_1) | instid1(VALU_DEP_2)
	v_and_b32_e32 v1, s4, v18
	v_bitop3_b32 v18, v18, 1, s4 bitop3:0x80
	v_lshlrev_b32_e32 v21, 30, v1
	s_delay_alu instid0(VALU_DEP_2) | instskip(NEXT) | instid1(VALU_DEP_1)
	v_add_co_u32 v18, s0, v18, -1
	v_cndmask_b32_e64 v20, 0, 1, s0
	s_delay_alu instid0(VALU_DEP_1) | instskip(NEXT) | instid1(VALU_DEP_4)
	v_cmp_ne_u32_e32 vcc_lo, 0, v20
	v_not_b32_e32 v20, v21
	s_delay_alu instid0(VALU_DEP_1) | instskip(SKIP_4) | instid1(VALU_DEP_4)
	v_dual_ashrrev_i32 v20, 31, v20 :: v_dual_bitop2_b32 v18, vcc_lo, v18 bitop3:0x14
	v_dual_lshlrev_b32 v22, 29, v1 :: v_dual_lshlrev_b32 v23, 28, v1
	v_lshlrev_b32_e32 v29, 27, v1
	v_cmp_gt_i32_e64 s0, 0, v21
	v_mul_lo_u32 v19, 0x44, v1
	v_cmp_gt_i32_e64 s1, 0, v22
	v_not_b32_e32 v21, v22
	v_not_b32_e32 v22, v23
	v_dual_lshlrev_b32 v39, 26, v1 :: v_dual_lshlrev_b32 v40, 25, v1
	v_lshlrev_b32_e32 v1, 24, v1
	v_cmp_gt_i32_e64 s2, 0, v23
	v_not_b32_e32 v23, v29
	v_dual_ashrrev_i32 v21, 31, v21 :: v_dual_ashrrev_i32 v22, 31, v22
	v_xor_b32_e32 v20, s0, v20
	v_cmp_gt_i32_e64 s3, 0, v29
	v_not_b32_e32 v29, v39
	s_delay_alu instid0(VALU_DEP_4)
	v_dual_ashrrev_i32 v23, 31, v23 :: v_dual_bitop2_b32 v21, s1, v21 bitop3:0x14
	v_xor_b32_e32 v22, s2, v22
	v_bitop3_b32 v18, v18, v20, exec_lo bitop3:0x80
	v_cmp_gt_i32_e32 vcc_lo, 0, v39
	v_ashrrev_i32_e32 v20, 31, v29
	v_not_b32_e32 v29, v40
	v_xor_b32_e32 v23, s3, v23
	v_bitop3_b32 v18, v18, v22, v21 bitop3:0x80
	v_not_b32_e32 v21, v1
	v_xor_b32_e32 v20, vcc_lo, v20
	v_cmp_gt_i32_e32 vcc_lo, 0, v40
	v_ashrrev_i32_e32 v22, 31, v29
	v_cmp_gt_i32_e64 s0, 0, v1
	v_dual_ashrrev_i32 v1, 31, v21 :: v_dual_add_nc_u32 v29, v0, v19
	v_bitop3_b32 v18, v18, v20, v23 bitop3:0x80
	s_delay_alu instid0(VALU_DEP_4) | instskip(NEXT) | instid1(VALU_DEP_3)
	v_xor_b32_e32 v19, vcc_lo, v22
	v_xor_b32_e32 v1, s0, v1
	ds_load_b32 v39, v29 offset:64
	; wave barrier
	v_bitop3_b32 v1, v18, v1, v19 bitop3:0x80
	s_delay_alu instid0(VALU_DEP_1) | instskip(SKIP_1) | instid1(VALU_DEP_2)
	v_mbcnt_lo_u32_b32 v40, v1, 0
	v_cmp_ne_u32_e64 s0, 0, v1
	v_cmp_eq_u32_e32 vcc_lo, 0, v40
	s_and_b32 s1, s0, vcc_lo
	s_delay_alu instid0(SALU_CYCLE_1)
	s_and_saveexec_b32 s0, s1
	s_cbranch_execz .LBB3018_77
; %bb.76:
	s_wait_dscnt 0x0
	v_bcnt_u32_b32 v1, v1, v39
	ds_store_b32 v29, v1 offset:64
.LBB3018_77:
	s_or_b32 exec_lo, exec_lo, s0
	v_lshrrev_b64 v[18:19], s20, v[12:13]
	; wave barrier
	s_delay_alu instid0(VALU_DEP_1) | instskip(SKIP_1) | instid1(VALU_DEP_2)
	v_and_b32_e32 v1, s4, v18
	v_bitop3_b32 v18, v18, 1, s4 bitop3:0x80
	v_lshlrev_b32_e32 v21, 30, v1
	s_delay_alu instid0(VALU_DEP_2) | instskip(NEXT) | instid1(VALU_DEP_1)
	v_add_co_u32 v18, s0, v18, -1
	v_cndmask_b32_e64 v20, 0, 1, s0
	s_delay_alu instid0(VALU_DEP_1) | instskip(NEXT) | instid1(VALU_DEP_4)
	v_cmp_ne_u32_e32 vcc_lo, 0, v20
	v_not_b32_e32 v20, v21
	s_delay_alu instid0(VALU_DEP_1) | instskip(SKIP_4) | instid1(VALU_DEP_4)
	v_dual_ashrrev_i32 v20, 31, v20 :: v_dual_bitop2_b32 v18, vcc_lo, v18 bitop3:0x14
	v_dual_lshlrev_b32 v22, 29, v1 :: v_dual_lshlrev_b32 v23, 28, v1
	v_lshlrev_b32_e32 v41, 27, v1
	v_cmp_gt_i32_e64 s0, 0, v21
	v_mul_lo_u32 v19, 0x44, v1
	v_cmp_gt_i32_e64 s1, 0, v22
	v_not_b32_e32 v21, v22
	v_not_b32_e32 v22, v23
	v_dual_lshlrev_b32 v42, 26, v1 :: v_dual_lshlrev_b32 v43, 25, v1
	v_lshlrev_b32_e32 v1, 24, v1
	v_cmp_gt_i32_e64 s2, 0, v23
	v_not_b32_e32 v23, v41
	v_dual_ashrrev_i32 v21, 31, v21 :: v_dual_ashrrev_i32 v22, 31, v22
	v_xor_b32_e32 v20, s0, v20
	v_cmp_gt_i32_e64 s3, 0, v41
	v_not_b32_e32 v41, v42
	s_delay_alu instid0(VALU_DEP_4)
	v_dual_ashrrev_i32 v23, 31, v23 :: v_dual_bitop2_b32 v21, s1, v21 bitop3:0x14
	v_dual_add_nc_u32 v45, v0, v19 :: v_dual_bitop2_b32 v22, s2, v22 bitop3:0x14
	v_bitop3_b32 v18, v18, v20, exec_lo bitop3:0x80
	v_cmp_gt_i32_e32 vcc_lo, 0, v42
	v_ashrrev_i32_e32 v20, 31, v41
	v_not_b32_e32 v41, v43
	v_xor_b32_e32 v23, s3, v23
	v_bitop3_b32 v18, v18, v22, v21 bitop3:0x80
	v_not_b32_e32 v21, v1
	v_xor_b32_e32 v20, vcc_lo, v20
	v_cmp_gt_i32_e32 vcc_lo, 0, v43
	v_ashrrev_i32_e32 v22, 31, v41
	v_cmp_gt_i32_e64 s0, 0, v1
	v_ashrrev_i32_e32 v1, 31, v21
	v_bitop3_b32 v18, v18, v20, v23 bitop3:0x80
	ds_load_b32 v41, v45 offset:64
	v_xor_b32_e32 v19, vcc_lo, v22
	v_xor_b32_e32 v1, s0, v1
	; wave barrier
	s_delay_alu instid0(VALU_DEP_1) | instskip(NEXT) | instid1(VALU_DEP_1)
	v_bitop3_b32 v1, v18, v1, v19 bitop3:0x80
	v_mbcnt_lo_u32_b32 v42, v1, 0
	v_cmp_ne_u32_e64 s0, 0, v1
	s_delay_alu instid0(VALU_DEP_2) | instskip(SKIP_1) | instid1(SALU_CYCLE_1)
	v_cmp_eq_u32_e32 vcc_lo, 0, v42
	s_and_b32 s1, s0, vcc_lo
	s_and_saveexec_b32 s0, s1
	s_cbranch_execz .LBB3018_79
; %bb.78:
	s_wait_dscnt 0x0
	v_bcnt_u32_b32 v1, v1, v41
	ds_store_b32 v45, v1 offset:64
.LBB3018_79:
	s_or_b32 exec_lo, exec_lo, s0
	v_lshrrev_b64 v[18:19], s20, v[14:15]
	; wave barrier
	s_delay_alu instid0(VALU_DEP_1) | instskip(SKIP_1) | instid1(VALU_DEP_2)
	v_and_b32_e32 v1, s4, v18
	v_bitop3_b32 v18, v18, 1, s4 bitop3:0x80
	v_lshlrev_b32_e32 v21, 30, v1
	s_delay_alu instid0(VALU_DEP_2) | instskip(NEXT) | instid1(VALU_DEP_1)
	v_add_co_u32 v18, s0, v18, -1
	v_cndmask_b32_e64 v20, 0, 1, s0
	s_delay_alu instid0(VALU_DEP_1) | instskip(NEXT) | instid1(VALU_DEP_4)
	v_cmp_ne_u32_e32 vcc_lo, 0, v20
	v_not_b32_e32 v20, v21
	s_delay_alu instid0(VALU_DEP_1) | instskip(SKIP_4) | instid1(VALU_DEP_4)
	v_dual_ashrrev_i32 v20, 31, v20 :: v_dual_bitop2_b32 v18, vcc_lo, v18 bitop3:0x14
	v_dual_lshlrev_b32 v22, 29, v1 :: v_dual_lshlrev_b32 v23, 28, v1
	v_lshlrev_b32_e32 v43, 27, v1
	v_cmp_gt_i32_e64 s0, 0, v21
	v_mul_lo_u32 v19, 0x44, v1
	v_cmp_gt_i32_e64 s1, 0, v22
	v_not_b32_e32 v21, v22
	v_not_b32_e32 v22, v23
	v_dual_lshlrev_b32 v44, 26, v1 :: v_dual_lshlrev_b32 v46, 25, v1
	v_lshlrev_b32_e32 v1, 24, v1
	v_cmp_gt_i32_e64 s2, 0, v23
	v_not_b32_e32 v23, v43
	v_dual_ashrrev_i32 v21, 31, v21 :: v_dual_ashrrev_i32 v22, 31, v22
	v_xor_b32_e32 v20, s0, v20
	v_cmp_gt_i32_e64 s3, 0, v43
	v_not_b32_e32 v43, v44
	s_delay_alu instid0(VALU_DEP_4)
	v_dual_ashrrev_i32 v23, 31, v23 :: v_dual_bitop2_b32 v21, s1, v21 bitop3:0x14
	v_xor_b32_e32 v22, s2, v22
	v_bitop3_b32 v18, v18, v20, exec_lo bitop3:0x80
	v_cmp_gt_i32_e32 vcc_lo, 0, v44
	v_ashrrev_i32_e32 v20, 31, v43
	v_not_b32_e32 v43, v46
	v_xor_b32_e32 v23, s3, v23
	v_bitop3_b32 v18, v18, v22, v21 bitop3:0x80
	v_not_b32_e32 v21, v1
	s_delay_alu instid0(VALU_DEP_4) | instskip(SKIP_2) | instid1(VALU_DEP_4)
	v_dual_ashrrev_i32 v22, 31, v43 :: v_dual_bitop2_b32 v20, vcc_lo, v20 bitop3:0x14
	v_cmp_gt_i32_e32 vcc_lo, 0, v46
	v_cmp_gt_i32_e64 s0, 0, v1
	v_dual_ashrrev_i32 v1, 31, v21 :: v_dual_add_nc_u32 v48, v0, v19
	s_delay_alu instid0(VALU_DEP_4) | instskip(SKIP_1) | instid1(VALU_DEP_3)
	v_bitop3_b32 v18, v18, v20, v23 bitop3:0x80
	v_xor_b32_e32 v19, vcc_lo, v22
	v_xor_b32_e32 v1, s0, v1
	ds_load_b32 v43, v48 offset:64
	; wave barrier
	v_bitop3_b32 v1, v18, v1, v19 bitop3:0x80
	s_delay_alu instid0(VALU_DEP_1) | instskip(SKIP_1) | instid1(VALU_DEP_2)
	v_mbcnt_lo_u32_b32 v44, v1, 0
	v_cmp_ne_u32_e64 s0, 0, v1
	v_cmp_eq_u32_e32 vcc_lo, 0, v44
	s_and_b32 s1, s0, vcc_lo
	s_delay_alu instid0(SALU_CYCLE_1)
	s_and_saveexec_b32 s0, s1
	s_cbranch_execz .LBB3018_81
; %bb.80:
	s_wait_dscnt 0x0
	v_bcnt_u32_b32 v1, v1, v43
	ds_store_b32 v48, v1 offset:64
.LBB3018_81:
	s_or_b32 exec_lo, exec_lo, s0
	v_lshrrev_b64 v[18:19], s20, v[16:17]
	; wave barrier
	s_delay_alu instid0(VALU_DEP_1) | instskip(SKIP_1) | instid1(VALU_DEP_2)
	v_and_b32_e32 v1, s4, v18
	v_bitop3_b32 v18, v18, 1, s4 bitop3:0x80
	v_lshlrev_b32_e32 v21, 30, v1
	s_delay_alu instid0(VALU_DEP_2) | instskip(NEXT) | instid1(VALU_DEP_1)
	v_add_co_u32 v18, s0, v18, -1
	v_cndmask_b32_e64 v20, 0, 1, s0
	s_delay_alu instid0(VALU_DEP_1) | instskip(NEXT) | instid1(VALU_DEP_4)
	v_cmp_ne_u32_e32 vcc_lo, 0, v20
	v_not_b32_e32 v20, v21
	s_delay_alu instid0(VALU_DEP_1) | instskip(SKIP_4) | instid1(VALU_DEP_4)
	v_dual_ashrrev_i32 v20, 31, v20 :: v_dual_bitop2_b32 v18, vcc_lo, v18 bitop3:0x14
	v_dual_lshlrev_b32 v22, 29, v1 :: v_dual_lshlrev_b32 v23, 28, v1
	v_lshlrev_b32_e32 v46, 27, v1
	v_cmp_gt_i32_e64 s0, 0, v21
	v_mul_lo_u32 v19, 0x44, v1
	v_cmp_gt_i32_e64 s1, 0, v22
	v_not_b32_e32 v21, v22
	v_not_b32_e32 v22, v23
	v_dual_lshlrev_b32 v47, 26, v1 :: v_dual_lshlrev_b32 v49, 25, v1
	v_lshlrev_b32_e32 v1, 24, v1
	v_cmp_gt_i32_e64 s2, 0, v23
	v_not_b32_e32 v23, v46
	v_dual_ashrrev_i32 v21, 31, v21 :: v_dual_ashrrev_i32 v22, 31, v22
	v_xor_b32_e32 v20, s0, v20
	v_cmp_gt_i32_e64 s3, 0, v46
	v_not_b32_e32 v46, v47
	s_delay_alu instid0(VALU_DEP_4)
	v_dual_ashrrev_i32 v23, 31, v23 :: v_dual_bitop2_b32 v21, s1, v21 bitop3:0x14
	v_xor_b32_e32 v22, s2, v22
	v_bitop3_b32 v18, v18, v20, exec_lo bitop3:0x80
	v_cmp_gt_i32_e32 vcc_lo, 0, v47
	v_ashrrev_i32_e32 v20, 31, v46
	v_not_b32_e32 v46, v49
	v_xor_b32_e32 v23, s3, v23
	v_bitop3_b32 v18, v18, v22, v21 bitop3:0x80
	v_not_b32_e32 v21, v1
	v_dual_add_nc_u32 v51, v0, v19 :: v_dual_bitop2_b32 v20, vcc_lo, v20 bitop3:0x14
	v_cmp_gt_i32_e32 vcc_lo, 0, v49
	v_ashrrev_i32_e32 v22, 31, v46
	v_cmp_gt_i32_e64 s0, 0, v1
	v_ashrrev_i32_e32 v1, 31, v21
	v_bitop3_b32 v0, v18, v20, v23 bitop3:0x80
	ds_load_b32 v46, v51 offset:64
	v_xor_b32_e32 v18, vcc_lo, v22
	v_xor_b32_e32 v1, s0, v1
	; wave barrier
	s_delay_alu instid0(VALU_DEP_1) | instskip(NEXT) | instid1(VALU_DEP_1)
	v_bitop3_b32 v0, v0, v1, v18 bitop3:0x80
	v_mbcnt_lo_u32_b32 v47, v0, 0
	v_cmp_ne_u32_e64 s0, 0, v0
	s_delay_alu instid0(VALU_DEP_2) | instskip(SKIP_1) | instid1(SALU_CYCLE_1)
	v_cmp_eq_u32_e32 vcc_lo, 0, v47
	s_and_b32 s1, s0, vcc_lo
	s_and_saveexec_b32 s0, s1
	s_cbranch_execz .LBB3018_83
; %bb.82:
	s_wait_dscnt 0x0
	v_bcnt_u32_b32 v0, v0, v46
	ds_store_b32 v51, v0 offset:64
.LBB3018_83:
	s_or_b32 exec_lo, exec_lo, s0
	; wave barrier
	s_wait_dscnt 0x0
	s_barrier_signal -1
	s_barrier_wait -1
	ds_load_2addr_b32 v[22:23], v24 offset0:16 offset1:17
	ds_load_2addr_b32 v[20:21], v24 offset0:18 offset1:19
	;; [unrolled: 1-line block ×4, first 2 shown]
	ds_load_b32 v49, v24 offset:96
	v_bfe_i32 v53, v33, 4, 1
	s_mov_b32 s5, exec_lo
	s_wait_dscnt 0x3
	v_add3_u32 v50, v23, v22, v20
	s_wait_dscnt 0x2
	s_delay_alu instid0(VALU_DEP_1) | instskip(SKIP_1) | instid1(VALU_DEP_1)
	v_add3_u32 v50, v50, v21, v18
	s_wait_dscnt 0x1
	v_add3_u32 v50, v50, v19, v0
	s_wait_dscnt 0x0
	s_delay_alu instid0(VALU_DEP_1) | instskip(SKIP_1) | instid1(VALU_DEP_2)
	v_add3_u32 v49, v50, v1, v49
	v_and_b32_e32 v50, 15, v33
	v_mov_b32_dpp v52, v49 row_shr:1 row_mask:0xf bank_mask:0xf
	s_delay_alu instid0(VALU_DEP_2) | instskip(SKIP_1) | instid1(VALU_DEP_3)
	v_cmp_eq_u32_e32 vcc_lo, 0, v50
	v_cmp_lt_u32_e64 s0, 1, v50
	v_cndmask_b32_e64 v52, v52, 0, vcc_lo
	s_delay_alu instid0(VALU_DEP_1) | instskip(NEXT) | instid1(VALU_DEP_1)
	v_add_nc_u32_e32 v49, v52, v49
	v_mov_b32_dpp v52, v49 row_shr:2 row_mask:0xf bank_mask:0xf
	s_delay_alu instid0(VALU_DEP_1) | instskip(SKIP_2) | instid1(VALU_DEP_3)
	v_cndmask_b32_e64 v52, 0, v52, s0
	v_cmp_lt_u32_e64 s2, 7, v50
	v_cmp_lt_u32_e64 s1, 3, v50
	v_add_nc_u32_e32 v49, v49, v52
	s_delay_alu instid0(VALU_DEP_1) | instskip(NEXT) | instid1(VALU_DEP_1)
	v_mov_b32_dpp v52, v49 row_shr:4 row_mask:0xf bank_mask:0xf
	v_cndmask_b32_e64 v52, 0, v52, s1
	s_delay_alu instid0(VALU_DEP_1) | instskip(NEXT) | instid1(VALU_DEP_1)
	v_add_nc_u32_e32 v49, v49, v52
	v_mov_b32_dpp v52, v49 row_shr:8 row_mask:0xf bank_mask:0xf
	s_delay_alu instid0(VALU_DEP_1) | instskip(SKIP_1) | instid1(VALU_DEP_1)
	v_cndmask_b32_e64 v50, 0, v52, s2
	v_and_b32_e32 v52, 0x3e0, v32
	v_min_u32_e32 v52, 0x1e0, v52
	s_delay_alu instid0(VALU_DEP_1) | instskip(SKIP_3) | instid1(VALU_DEP_1)
	v_dual_add_nc_u32 v49, v49, v50 :: v_dual_bitop2_b32 v52, 31, v52 bitop3:0x54
	ds_swizzle_b32 v50, v49 offset:swizzle(BROADCAST,32,15)
	s_wait_dscnt 0x0
	v_dual_lshrrev_b32 v50, 5, v32 :: v_dual_bitop2_b32 v53, v53, v50 bitop3:0x40
	v_add_nc_u32_e32 v49, v49, v53
	v_cmpx_eq_u32_e64 v32, v52
; %bb.84:
	s_delay_alu instid0(VALU_DEP_3)
	v_lshlrev_b32_e32 v52, 2, v50
	ds_store_b32 v52, v49
; %bb.85:
	s_or_b32 exec_lo, exec_lo, s5
	s_delay_alu instid0(SALU_CYCLE_1)
	s_mov_b32 s5, exec_lo
	s_wait_dscnt 0x0
	s_barrier_signal -1
	s_barrier_wait -1
	v_cmpx_gt_u32_e32 16, v32
	s_cbranch_execz .LBB3018_87
; %bb.86:
	v_lshlrev_b32_e32 v52, 2, v32
	ds_load_b32 v53, v52
	s_wait_dscnt 0x0
	v_mov_b32_dpp v54, v53 row_shr:1 row_mask:0xf bank_mask:0xf
	s_delay_alu instid0(VALU_DEP_1) | instskip(NEXT) | instid1(VALU_DEP_1)
	v_cndmask_b32_e64 v54, v54, 0, vcc_lo
	v_add_nc_u32_e32 v53, v54, v53
	s_delay_alu instid0(VALU_DEP_1) | instskip(NEXT) | instid1(VALU_DEP_1)
	v_mov_b32_dpp v54, v53 row_shr:2 row_mask:0xf bank_mask:0xf
	v_cndmask_b32_e64 v54, 0, v54, s0
	s_delay_alu instid0(VALU_DEP_1) | instskip(NEXT) | instid1(VALU_DEP_1)
	v_add_nc_u32_e32 v53, v53, v54
	v_mov_b32_dpp v54, v53 row_shr:4 row_mask:0xf bank_mask:0xf
	s_delay_alu instid0(VALU_DEP_1) | instskip(NEXT) | instid1(VALU_DEP_1)
	v_cndmask_b32_e64 v54, 0, v54, s1
	v_add_nc_u32_e32 v53, v53, v54
	s_delay_alu instid0(VALU_DEP_1) | instskip(NEXT) | instid1(VALU_DEP_1)
	v_mov_b32_dpp v54, v53 row_shr:8 row_mask:0xf bank_mask:0xf
	v_cndmask_b32_e64 v54, 0, v54, s2
	s_delay_alu instid0(VALU_DEP_1)
	v_add_nc_u32_e32 v53, v53, v54
	ds_store_b32 v52, v53
.LBB3018_87:
	s_or_b32 exec_lo, exec_lo, s5
	v_mov_b32_e32 v52, 0
	s_mov_b32 s0, exec_lo
	s_wait_dscnt 0x0
	s_barrier_signal -1
	s_barrier_wait -1
	v_cmpx_lt_u32_e32 31, v32
; %bb.88:
	v_lshl_add_u32 v50, v50, 2, -4
	ds_load_b32 v52, v50
; %bb.89:
	s_or_b32 exec_lo, exec_lo, s0
	v_sub_co_u32 v50, vcc_lo, v33, 1
	s_wait_dscnt 0x0
	v_add_nc_u32_e32 v49, v52, v49
	s_delay_alu instid0(VALU_DEP_2) | instskip(NEXT) | instid1(VALU_DEP_1)
	v_cmp_gt_i32_e64 s0, 0, v50
	v_cndmask_b32_e64 v33, v50, v33, s0
	v_cmp_lt_u32_e64 s0, 0xff, v32
	s_delay_alu instid0(VALU_DEP_2) | instskip(SKIP_4) | instid1(VALU_DEP_2)
	v_lshlrev_b32_e32 v33, 2, v33
	ds_bpermute_b32 v33, v33, v49
	s_wait_dscnt 0x0
	v_cndmask_b32_e32 v33, v33, v52, vcc_lo
	v_cmp_ne_u32_e32 vcc_lo, 0, v32
	v_cndmask_b32_e32 v33, 0, v33, vcc_lo
	v_cmp_gt_u32_e32 vcc_lo, 0x100, v32
	s_delay_alu instid0(VALU_DEP_2) | instskip(NEXT) | instid1(VALU_DEP_1)
	v_add_nc_u32_e32 v22, v33, v22
	v_add_nc_u32_e32 v23, v22, v23
	s_delay_alu instid0(VALU_DEP_1) | instskip(NEXT) | instid1(VALU_DEP_1)
	v_add_nc_u32_e32 v20, v23, v20
	v_add_nc_u32_e32 v21, v20, v21
	s_delay_alu instid0(VALU_DEP_1) | instskip(NEXT) | instid1(VALU_DEP_1)
	;; [unrolled: 3-line block ×3, first 2 shown]
	v_add_nc_u32_e32 v0, v19, v0
	v_add_nc_u32_e32 v1, v0, v1
	ds_store_2addr_b32 v24, v33, v22 offset0:16 offset1:17
	ds_store_2addr_b32 v24, v23, v20 offset0:18 offset1:19
	;; [unrolled: 1-line block ×4, first 2 shown]
	ds_store_b32 v24, v1 offset:96
	s_wait_dscnt 0x0
	s_barrier_signal -1
	s_barrier_wait -1
	ds_load_b32 v21, v25 offset:64
	ds_load_b32 v19, v26 offset:64
	;; [unrolled: 1-line block ×8, first 2 shown]
	v_mov_b64_e32 v[0:1], 0
                                        ; implicit-def: $vgpr18
	s_and_saveexec_b32 s2, vcc_lo
	s_cbranch_execz .LBB3018_93
; %bb.90:
	v_mul_u32_u24_e32 v0, 0x44, v32
	v_dual_mov_b32 v1, 0x1000 :: v_dual_add_nc_u32 v18, 1, v32
	s_mov_b32 s3, exec_lo
	ds_load_b32 v0, v0 offset:64
	v_cmpx_ne_u32_e32 0x100, v18
; %bb.91:
	v_mul_u32_u24_e32 v1, 0x44, v18
	ds_load_b32 v1, v1 offset:64
; %bb.92:
	s_or_b32 exec_lo, exec_lo, s3
	s_wait_dscnt 0x0
	v_dual_mov_b32 v1, 0 :: v_dual_sub_nc_u32 v18, v1, v0
.LBB3018_93:
	s_or_b32 exec_lo, exec_lo, s2
	v_dual_mov_b32 v23, 0 :: v_dual_lshlrev_b32 v20, 3, v32
	s_wait_dscnt 0x0
	s_barrier_signal -1
	s_barrier_wait -1
	s_and_saveexec_b32 s1, vcc_lo
	s_cbranch_execz .LBB3018_103
; %bb.94:
	v_lshl_add_u32 v22, s9, 8, v32
	v_dual_mov_b32 v26, 0 :: v_dual_bitop2_b32 v27, 2.0, v18 bitop3:0x54
	s_mov_b32 s2, 0
	s_mov_b32 s3, s9
	s_delay_alu instid0(VALU_DEP_2)
	v_lshl_add_u64 v[24:25], v[22:23], 2, s[10:11]
	global_store_b32 v22, v27, s[10:11] scale_offset scope:SCOPE_DEV
                                        ; implicit-def: $sgpr5
	s_branch .LBB3018_97
.LBB3018_95:                            ;   in Loop: Header=BB3018_97 Depth=1
	s_or_b32 exec_lo, exec_lo, s6
.LBB3018_96:                            ;   in Loop: Header=BB3018_97 Depth=1
	s_delay_alu instid0(SALU_CYCLE_1) | instskip(SKIP_2) | instid1(VALU_DEP_2)
	s_or_b32 exec_lo, exec_lo, s5
	v_and_b32_e32 v22, 0x3fffffff, v27
	v_cmp_gt_i32_e64 s5, -2.0, v27
	v_add_nc_u32_e32 v26, v22, v26
	s_and_b32 s6, exec_lo, s5
	s_delay_alu instid0(SALU_CYCLE_1) | instskip(NEXT) | instid1(SALU_CYCLE_1)
	s_or_b32 s2, s6, s2
	s_and_not1_b32 exec_lo, exec_lo, s2
	s_cbranch_execz .LBB3018_102
.LBB3018_97:                            ; =>This Loop Header: Depth=1
                                        ;     Child Loop BB3018_100 Depth 2
	s_or_b32 s5, s5, exec_lo
	s_cmp_eq_u32 s3, 0
	s_cbranch_scc1 .LBB3018_101
; %bb.98:                               ;   in Loop: Header=BB3018_97 Depth=1
	s_add_co_i32 s3, s3, -1
	s_mov_b32 s5, exec_lo
	s_wait_xcnt 0x0
	v_lshl_or_b32 v22, s3, 8, v32
	global_load_b32 v27, v22, s[10:11] scale_offset scope:SCOPE_DEV
	s_wait_loadcnt 0x0
	v_cmpx_gt_u32_e32 2.0, v27
	s_cbranch_execz .LBB3018_96
; %bb.99:                               ;   in Loop: Header=BB3018_97 Depth=1
	v_lshl_add_u64 v[28:29], v[22:23], 2, s[10:11]
	s_mov_b32 s6, 0
.LBB3018_100:                           ;   Parent Loop BB3018_97 Depth=1
                                        ; =>  This Inner Loop Header: Depth=2
	global_load_b32 v27, v[28:29], off scope:SCOPE_DEV
	s_wait_loadcnt 0x0
	v_cmp_lt_u32_e32 vcc_lo, 0x3fffffff, v27
	s_or_b32 s6, vcc_lo, s6
	s_wait_xcnt 0x0
	s_and_not1_b32 exec_lo, exec_lo, s6
	s_cbranch_execnz .LBB3018_100
	s_branch .LBB3018_95
.LBB3018_101:                           ;   in Loop: Header=BB3018_97 Depth=1
                                        ; implicit-def: $sgpr3
	s_and_b32 s6, exec_lo, s5
	s_delay_alu instid0(SALU_CYCLE_1)
	s_or_b32 s2, s6, s2
	s_wait_xcnt 0x0
	s_and_not1_b32 exec_lo, exec_lo, s2
	s_cbranch_execnz .LBB3018_97
.LBB3018_102:
	s_or_b32 exec_lo, exec_lo, s2
	v_dual_mov_b32 v27, 0 :: v_dual_add_nc_u32 v22, v26, v18
	s_delay_alu instid0(VALU_DEP_1) | instskip(SKIP_4) | instid1(VALU_DEP_1)
	v_or_b32_e32 v22, 0x80000000, v22
	global_store_b32 v[24:25], v22, off scope:SCOPE_DEV
	global_load_b64 v[22:23], v32, s[12:13] scale_offset
	v_sub_nc_u64_e32 v[24:25], v[26:27], v[0:1]
	s_wait_loadcnt 0x0
	v_add_nc_u64_e32 v[22:23], v[24:25], v[22:23]
	ds_store_b64 v20, v[22:23]
.LBB3018_103:
	s_wait_xcnt 0x0
	s_or_b32 exec_lo, exec_lo, s1
	v_dual_mov_b32 v21, 0 :: v_dual_add_nc_u32 v24, v21, v30
	v_add3_u32 v25, v47, v51, v46
	v_add3_u32 v26, v44, v48, v43
	;; [unrolled: 1-line block ×4, first 2 shown]
	v_add_nc_u64_e32 v[22:23], s[18:19], v[20:21]
	v_add3_u32 v29, v38, v49, v37
	v_add3_u32 v21, v36, v33, v35
	;; [unrolled: 1-line block ×3, first 2 shown]
	s_mov_b32 s2, -1
	s_mov_b32 s1, 0
.LBB3018_104:                           ; =>This Inner Loop Header: Depth=1
	s_wait_xcnt 0x3
	v_add_min_u32_e64 v30, v24, s1, 0x800
	v_add_min_u32_e64 v31, v19, s1, 0x800
	;; [unrolled: 1-line block ×5, first 2 shown]
	s_wait_xcnt 0x2
	v_add_min_u32_e64 v36, v27, s1, 0x800
	v_add_min_u32_e64 v37, v26, s1, 0x800
	s_wait_xcnt 0x1
	v_add_min_u32_e64 v38, v25, s1, 0x800
	v_dual_lshlrev_b32 v30, 3, v30 :: v_dual_lshlrev_b32 v31, 3, v31
	v_dual_lshlrev_b32 v33, 3, v33 :: v_dual_lshlrev_b32 v34, 3, v34
	;; [unrolled: 1-line block ×3, first 2 shown]
	s_delay_alu instid0(VALU_DEP_4)
	v_dual_lshlrev_b32 v37, 3, v37 :: v_dual_lshlrev_b32 v38, 3, v38
	ds_store_b64 v30, v[2:3] offset:2048
	ds_store_b64 v31, v[4:5] offset:2048
	ds_store_b64 v33, v[6:7] offset:2048
	ds_store_b64 v34, v[8:9] offset:2048
	ds_store_b64 v35, v[10:11] offset:2048
	ds_store_b64 v36, v[12:13] offset:2048
	ds_store_b64 v37, v[14:15] offset:2048
	ds_store_b64 v38, v[16:17] offset:2048
	s_wait_storecnt_dscnt 0x0
	s_barrier_signal -1
	s_barrier_wait -1
	ds_load_2addr_stride64_b64 v[34:37], v20 offset0:4 offset1:12
	s_wait_xcnt 0x0
	ds_load_2addr_stride64_b64 v[38:41], v20 offset0:20 offset1:28
	s_addk_co_i32 s1, 0xf800
	s_and_b32 vcc_lo, exec_lo, s2
	s_mov_b32 s2, 0
	s_wait_dscnt 0x1
	v_lshrrev_b64 v[30:31], s20, v[34:35]
	s_wait_dscnt 0x0
	v_lshrrev_b64 v[44:45], s20, v[38:39]
	v_lshrrev_b64 v[42:43], s20, v[36:37]
	v_lshrrev_b64 v[46:47], s20, v[40:41]
	s_delay_alu instid0(VALU_DEP_3) | instskip(NEXT) | instid1(VALU_DEP_3)
	v_and_b32_e32 v33, s4, v44
	v_and_b32_e32 v31, s4, v42
	s_delay_alu instid0(VALU_DEP_2) | instskip(NEXT) | instid1(VALU_DEP_2)
	v_dual_lshlrev_b32 v33, 3, v33 :: v_dual_bitop2_b32 v42, s4, v46 bitop3:0x40
	v_dual_lshlrev_b32 v43, 3, v31 :: v_dual_bitop2_b32 v30, s4, v30 bitop3:0x40
	s_delay_alu instid0(VALU_DEP_2) | instskip(NEXT) | instid1(VALU_DEP_2)
	v_lshlrev_b32_e32 v46, 3, v42
	v_lshlrev_b32_e32 v30, 3, v30
	ds_load_b64 v[30:31], v30
	ds_load_b64 v[42:43], v43
	;; [unrolled: 1-line block ×4, first 2 shown]
	s_wait_dscnt 0x3
	v_lshl_add_u64 v[30:31], v[30:31], 3, v[22:23]
	s_wait_dscnt 0x2
	v_lshl_add_u64 v[42:43], v[42:43], 3, v[22:23]
	;; [unrolled: 2-line block ×4, first 2 shown]
	v_add_nc_u64_e32 v[22:23], 0x4000, v[22:23]
	s_clause 0x3
	global_store_b64 v[30:31], v[34:35], off
	global_store_b64 v[42:43], v[36:37], off offset:4096
	global_store_b64 v[44:45], v[38:39], off offset:8192
	global_store_b64 v[46:47], v[40:41], off offset:12288
	s_wait_storecnt 0x0
	s_barrier_signal -1
	s_barrier_wait -1
	s_cbranch_vccnz .LBB3018_104
; %bb.105:
	s_add_co_i32 s7, s7, -1
	s_delay_alu instid0(SALU_CYCLE_1) | instskip(SKIP_2) | instid1(SALU_CYCLE_1)
	s_cmp_eq_u32 s9, s7
	s_cselect_b32 s1, -1, 0
	s_xor_b32 s0, s0, -1
	s_and_b32 s0, s0, s1
	s_wait_xcnt 0x0
	s_and_saveexec_b32 s1, s0
	s_cbranch_execz .LBB3018_107
; %bb.106:
	ds_load_b64 v[2:3], v20
	v_mov_b32_e32 v19, 0
	s_delay_alu instid0(VALU_DEP_1) | instskip(SKIP_1) | instid1(VALU_DEP_1)
	v_add_nc_u64_e32 v[0:1], v[0:1], v[18:19]
	s_wait_dscnt 0x0
	v_add_nc_u64_e32 v[0:1], v[0:1], v[2:3]
	global_store_b64 v32, v[0:1], s[14:15] scale_offset
.LBB3018_107:
	s_endpgm
	.section	.rodata,"a",@progbits
	.p2align	6, 0x0
	.amdhsa_kernel _ZN7rocprim17ROCPRIM_400000_NS6detail17trampoline_kernelINS0_14default_configENS1_35radix_sort_onesweep_config_selectorImNS0_10empty_typeEEEZZNS1_29radix_sort_onesweep_iterationIS3_Lb0EPKmPmPS5_SB_mNS0_19identity_decomposerENS1_16block_id_wrapperIjLb0EEEEE10hipError_tT1_PNSt15iterator_traitsISG_E10value_typeET2_T3_PNSH_ISM_E10value_typeET4_T5_PSR_SS_PNS1_23onesweep_lookback_stateEbbT6_jjT7_P12ihipStream_tbENKUlT_T0_SG_SL_E_clISA_SA_SB_SB_EEDaSZ_S10_SG_SL_EUlSZ_E_NS1_11comp_targetILNS1_3genE0ELNS1_11target_archE4294967295ELNS1_3gpuE0ELNS1_3repE0EEENS1_47radix_sort_onesweep_sort_config_static_selectorELNS0_4arch9wavefront6targetE0EEEvSG_
		.amdhsa_group_segment_fixed_size 18504
		.amdhsa_private_segment_fixed_size 0
		.amdhsa_kernarg_size 344
		.amdhsa_user_sgpr_count 2
		.amdhsa_user_sgpr_dispatch_ptr 0
		.amdhsa_user_sgpr_queue_ptr 0
		.amdhsa_user_sgpr_kernarg_segment_ptr 1
		.amdhsa_user_sgpr_dispatch_id 0
		.amdhsa_user_sgpr_kernarg_preload_length 0
		.amdhsa_user_sgpr_kernarg_preload_offset 0
		.amdhsa_user_sgpr_private_segment_size 0
		.amdhsa_wavefront_size32 1
		.amdhsa_uses_dynamic_stack 0
		.amdhsa_enable_private_segment 0
		.amdhsa_system_sgpr_workgroup_id_x 1
		.amdhsa_system_sgpr_workgroup_id_y 0
		.amdhsa_system_sgpr_workgroup_id_z 0
		.amdhsa_system_sgpr_workgroup_info 0
		.amdhsa_system_vgpr_workitem_id 2
		.amdhsa_next_free_vgpr 57
		.amdhsa_next_free_sgpr 28
		.amdhsa_named_barrier_count 0
		.amdhsa_reserve_vcc 1
		.amdhsa_float_round_mode_32 0
		.amdhsa_float_round_mode_16_64 0
		.amdhsa_float_denorm_mode_32 3
		.amdhsa_float_denorm_mode_16_64 3
		.amdhsa_fp16_overflow 0
		.amdhsa_memory_ordered 1
		.amdhsa_forward_progress 1
		.amdhsa_inst_pref_size 87
		.amdhsa_round_robin_scheduling 0
		.amdhsa_exception_fp_ieee_invalid_op 0
		.amdhsa_exception_fp_denorm_src 0
		.amdhsa_exception_fp_ieee_div_zero 0
		.amdhsa_exception_fp_ieee_overflow 0
		.amdhsa_exception_fp_ieee_underflow 0
		.amdhsa_exception_fp_ieee_inexact 0
		.amdhsa_exception_int_div_zero 0
	.end_amdhsa_kernel
	.section	.text._ZN7rocprim17ROCPRIM_400000_NS6detail17trampoline_kernelINS0_14default_configENS1_35radix_sort_onesweep_config_selectorImNS0_10empty_typeEEEZZNS1_29radix_sort_onesweep_iterationIS3_Lb0EPKmPmPS5_SB_mNS0_19identity_decomposerENS1_16block_id_wrapperIjLb0EEEEE10hipError_tT1_PNSt15iterator_traitsISG_E10value_typeET2_T3_PNSH_ISM_E10value_typeET4_T5_PSR_SS_PNS1_23onesweep_lookback_stateEbbT6_jjT7_P12ihipStream_tbENKUlT_T0_SG_SL_E_clISA_SA_SB_SB_EEDaSZ_S10_SG_SL_EUlSZ_E_NS1_11comp_targetILNS1_3genE0ELNS1_11target_archE4294967295ELNS1_3gpuE0ELNS1_3repE0EEENS1_47radix_sort_onesweep_sort_config_static_selectorELNS0_4arch9wavefront6targetE0EEEvSG_,"axG",@progbits,_ZN7rocprim17ROCPRIM_400000_NS6detail17trampoline_kernelINS0_14default_configENS1_35radix_sort_onesweep_config_selectorImNS0_10empty_typeEEEZZNS1_29radix_sort_onesweep_iterationIS3_Lb0EPKmPmPS5_SB_mNS0_19identity_decomposerENS1_16block_id_wrapperIjLb0EEEEE10hipError_tT1_PNSt15iterator_traitsISG_E10value_typeET2_T3_PNSH_ISM_E10value_typeET4_T5_PSR_SS_PNS1_23onesweep_lookback_stateEbbT6_jjT7_P12ihipStream_tbENKUlT_T0_SG_SL_E_clISA_SA_SB_SB_EEDaSZ_S10_SG_SL_EUlSZ_E_NS1_11comp_targetILNS1_3genE0ELNS1_11target_archE4294967295ELNS1_3gpuE0ELNS1_3repE0EEENS1_47radix_sort_onesweep_sort_config_static_selectorELNS0_4arch9wavefront6targetE0EEEvSG_,comdat
.Lfunc_end3018:
	.size	_ZN7rocprim17ROCPRIM_400000_NS6detail17trampoline_kernelINS0_14default_configENS1_35radix_sort_onesweep_config_selectorImNS0_10empty_typeEEEZZNS1_29radix_sort_onesweep_iterationIS3_Lb0EPKmPmPS5_SB_mNS0_19identity_decomposerENS1_16block_id_wrapperIjLb0EEEEE10hipError_tT1_PNSt15iterator_traitsISG_E10value_typeET2_T3_PNSH_ISM_E10value_typeET4_T5_PSR_SS_PNS1_23onesweep_lookback_stateEbbT6_jjT7_P12ihipStream_tbENKUlT_T0_SG_SL_E_clISA_SA_SB_SB_EEDaSZ_S10_SG_SL_EUlSZ_E_NS1_11comp_targetILNS1_3genE0ELNS1_11target_archE4294967295ELNS1_3gpuE0ELNS1_3repE0EEENS1_47radix_sort_onesweep_sort_config_static_selectorELNS0_4arch9wavefront6targetE0EEEvSG_, .Lfunc_end3018-_ZN7rocprim17ROCPRIM_400000_NS6detail17trampoline_kernelINS0_14default_configENS1_35radix_sort_onesweep_config_selectorImNS0_10empty_typeEEEZZNS1_29radix_sort_onesweep_iterationIS3_Lb0EPKmPmPS5_SB_mNS0_19identity_decomposerENS1_16block_id_wrapperIjLb0EEEEE10hipError_tT1_PNSt15iterator_traitsISG_E10value_typeET2_T3_PNSH_ISM_E10value_typeET4_T5_PSR_SS_PNS1_23onesweep_lookback_stateEbbT6_jjT7_P12ihipStream_tbENKUlT_T0_SG_SL_E_clISA_SA_SB_SB_EEDaSZ_S10_SG_SL_EUlSZ_E_NS1_11comp_targetILNS1_3genE0ELNS1_11target_archE4294967295ELNS1_3gpuE0ELNS1_3repE0EEENS1_47radix_sort_onesweep_sort_config_static_selectorELNS0_4arch9wavefront6targetE0EEEvSG_
                                        ; -- End function
	.set _ZN7rocprim17ROCPRIM_400000_NS6detail17trampoline_kernelINS0_14default_configENS1_35radix_sort_onesweep_config_selectorImNS0_10empty_typeEEEZZNS1_29radix_sort_onesweep_iterationIS3_Lb0EPKmPmPS5_SB_mNS0_19identity_decomposerENS1_16block_id_wrapperIjLb0EEEEE10hipError_tT1_PNSt15iterator_traitsISG_E10value_typeET2_T3_PNSH_ISM_E10value_typeET4_T5_PSR_SS_PNS1_23onesweep_lookback_stateEbbT6_jjT7_P12ihipStream_tbENKUlT_T0_SG_SL_E_clISA_SA_SB_SB_EEDaSZ_S10_SG_SL_EUlSZ_E_NS1_11comp_targetILNS1_3genE0ELNS1_11target_archE4294967295ELNS1_3gpuE0ELNS1_3repE0EEENS1_47radix_sort_onesweep_sort_config_static_selectorELNS0_4arch9wavefront6targetE0EEEvSG_.num_vgpr, 57
	.set _ZN7rocprim17ROCPRIM_400000_NS6detail17trampoline_kernelINS0_14default_configENS1_35radix_sort_onesweep_config_selectorImNS0_10empty_typeEEEZZNS1_29radix_sort_onesweep_iterationIS3_Lb0EPKmPmPS5_SB_mNS0_19identity_decomposerENS1_16block_id_wrapperIjLb0EEEEE10hipError_tT1_PNSt15iterator_traitsISG_E10value_typeET2_T3_PNSH_ISM_E10value_typeET4_T5_PSR_SS_PNS1_23onesweep_lookback_stateEbbT6_jjT7_P12ihipStream_tbENKUlT_T0_SG_SL_E_clISA_SA_SB_SB_EEDaSZ_S10_SG_SL_EUlSZ_E_NS1_11comp_targetILNS1_3genE0ELNS1_11target_archE4294967295ELNS1_3gpuE0ELNS1_3repE0EEENS1_47radix_sort_onesweep_sort_config_static_selectorELNS0_4arch9wavefront6targetE0EEEvSG_.num_agpr, 0
	.set _ZN7rocprim17ROCPRIM_400000_NS6detail17trampoline_kernelINS0_14default_configENS1_35radix_sort_onesweep_config_selectorImNS0_10empty_typeEEEZZNS1_29radix_sort_onesweep_iterationIS3_Lb0EPKmPmPS5_SB_mNS0_19identity_decomposerENS1_16block_id_wrapperIjLb0EEEEE10hipError_tT1_PNSt15iterator_traitsISG_E10value_typeET2_T3_PNSH_ISM_E10value_typeET4_T5_PSR_SS_PNS1_23onesweep_lookback_stateEbbT6_jjT7_P12ihipStream_tbENKUlT_T0_SG_SL_E_clISA_SA_SB_SB_EEDaSZ_S10_SG_SL_EUlSZ_E_NS1_11comp_targetILNS1_3genE0ELNS1_11target_archE4294967295ELNS1_3gpuE0ELNS1_3repE0EEENS1_47radix_sort_onesweep_sort_config_static_selectorELNS0_4arch9wavefront6targetE0EEEvSG_.numbered_sgpr, 28
	.set _ZN7rocprim17ROCPRIM_400000_NS6detail17trampoline_kernelINS0_14default_configENS1_35radix_sort_onesweep_config_selectorImNS0_10empty_typeEEEZZNS1_29radix_sort_onesweep_iterationIS3_Lb0EPKmPmPS5_SB_mNS0_19identity_decomposerENS1_16block_id_wrapperIjLb0EEEEE10hipError_tT1_PNSt15iterator_traitsISG_E10value_typeET2_T3_PNSH_ISM_E10value_typeET4_T5_PSR_SS_PNS1_23onesweep_lookback_stateEbbT6_jjT7_P12ihipStream_tbENKUlT_T0_SG_SL_E_clISA_SA_SB_SB_EEDaSZ_S10_SG_SL_EUlSZ_E_NS1_11comp_targetILNS1_3genE0ELNS1_11target_archE4294967295ELNS1_3gpuE0ELNS1_3repE0EEENS1_47radix_sort_onesweep_sort_config_static_selectorELNS0_4arch9wavefront6targetE0EEEvSG_.num_named_barrier, 0
	.set _ZN7rocprim17ROCPRIM_400000_NS6detail17trampoline_kernelINS0_14default_configENS1_35radix_sort_onesweep_config_selectorImNS0_10empty_typeEEEZZNS1_29radix_sort_onesweep_iterationIS3_Lb0EPKmPmPS5_SB_mNS0_19identity_decomposerENS1_16block_id_wrapperIjLb0EEEEE10hipError_tT1_PNSt15iterator_traitsISG_E10value_typeET2_T3_PNSH_ISM_E10value_typeET4_T5_PSR_SS_PNS1_23onesweep_lookback_stateEbbT6_jjT7_P12ihipStream_tbENKUlT_T0_SG_SL_E_clISA_SA_SB_SB_EEDaSZ_S10_SG_SL_EUlSZ_E_NS1_11comp_targetILNS1_3genE0ELNS1_11target_archE4294967295ELNS1_3gpuE0ELNS1_3repE0EEENS1_47radix_sort_onesweep_sort_config_static_selectorELNS0_4arch9wavefront6targetE0EEEvSG_.private_seg_size, 0
	.set _ZN7rocprim17ROCPRIM_400000_NS6detail17trampoline_kernelINS0_14default_configENS1_35radix_sort_onesweep_config_selectorImNS0_10empty_typeEEEZZNS1_29radix_sort_onesweep_iterationIS3_Lb0EPKmPmPS5_SB_mNS0_19identity_decomposerENS1_16block_id_wrapperIjLb0EEEEE10hipError_tT1_PNSt15iterator_traitsISG_E10value_typeET2_T3_PNSH_ISM_E10value_typeET4_T5_PSR_SS_PNS1_23onesweep_lookback_stateEbbT6_jjT7_P12ihipStream_tbENKUlT_T0_SG_SL_E_clISA_SA_SB_SB_EEDaSZ_S10_SG_SL_EUlSZ_E_NS1_11comp_targetILNS1_3genE0ELNS1_11target_archE4294967295ELNS1_3gpuE0ELNS1_3repE0EEENS1_47radix_sort_onesweep_sort_config_static_selectorELNS0_4arch9wavefront6targetE0EEEvSG_.uses_vcc, 1
	.set _ZN7rocprim17ROCPRIM_400000_NS6detail17trampoline_kernelINS0_14default_configENS1_35radix_sort_onesweep_config_selectorImNS0_10empty_typeEEEZZNS1_29radix_sort_onesweep_iterationIS3_Lb0EPKmPmPS5_SB_mNS0_19identity_decomposerENS1_16block_id_wrapperIjLb0EEEEE10hipError_tT1_PNSt15iterator_traitsISG_E10value_typeET2_T3_PNSH_ISM_E10value_typeET4_T5_PSR_SS_PNS1_23onesweep_lookback_stateEbbT6_jjT7_P12ihipStream_tbENKUlT_T0_SG_SL_E_clISA_SA_SB_SB_EEDaSZ_S10_SG_SL_EUlSZ_E_NS1_11comp_targetILNS1_3genE0ELNS1_11target_archE4294967295ELNS1_3gpuE0ELNS1_3repE0EEENS1_47radix_sort_onesweep_sort_config_static_selectorELNS0_4arch9wavefront6targetE0EEEvSG_.uses_flat_scratch, 0
	.set _ZN7rocprim17ROCPRIM_400000_NS6detail17trampoline_kernelINS0_14default_configENS1_35radix_sort_onesweep_config_selectorImNS0_10empty_typeEEEZZNS1_29radix_sort_onesweep_iterationIS3_Lb0EPKmPmPS5_SB_mNS0_19identity_decomposerENS1_16block_id_wrapperIjLb0EEEEE10hipError_tT1_PNSt15iterator_traitsISG_E10value_typeET2_T3_PNSH_ISM_E10value_typeET4_T5_PSR_SS_PNS1_23onesweep_lookback_stateEbbT6_jjT7_P12ihipStream_tbENKUlT_T0_SG_SL_E_clISA_SA_SB_SB_EEDaSZ_S10_SG_SL_EUlSZ_E_NS1_11comp_targetILNS1_3genE0ELNS1_11target_archE4294967295ELNS1_3gpuE0ELNS1_3repE0EEENS1_47radix_sort_onesweep_sort_config_static_selectorELNS0_4arch9wavefront6targetE0EEEvSG_.has_dyn_sized_stack, 0
	.set _ZN7rocprim17ROCPRIM_400000_NS6detail17trampoline_kernelINS0_14default_configENS1_35radix_sort_onesweep_config_selectorImNS0_10empty_typeEEEZZNS1_29radix_sort_onesweep_iterationIS3_Lb0EPKmPmPS5_SB_mNS0_19identity_decomposerENS1_16block_id_wrapperIjLb0EEEEE10hipError_tT1_PNSt15iterator_traitsISG_E10value_typeET2_T3_PNSH_ISM_E10value_typeET4_T5_PSR_SS_PNS1_23onesweep_lookback_stateEbbT6_jjT7_P12ihipStream_tbENKUlT_T0_SG_SL_E_clISA_SA_SB_SB_EEDaSZ_S10_SG_SL_EUlSZ_E_NS1_11comp_targetILNS1_3genE0ELNS1_11target_archE4294967295ELNS1_3gpuE0ELNS1_3repE0EEENS1_47radix_sort_onesweep_sort_config_static_selectorELNS0_4arch9wavefront6targetE0EEEvSG_.has_recursion, 0
	.set _ZN7rocprim17ROCPRIM_400000_NS6detail17trampoline_kernelINS0_14default_configENS1_35radix_sort_onesweep_config_selectorImNS0_10empty_typeEEEZZNS1_29radix_sort_onesweep_iterationIS3_Lb0EPKmPmPS5_SB_mNS0_19identity_decomposerENS1_16block_id_wrapperIjLb0EEEEE10hipError_tT1_PNSt15iterator_traitsISG_E10value_typeET2_T3_PNSH_ISM_E10value_typeET4_T5_PSR_SS_PNS1_23onesweep_lookback_stateEbbT6_jjT7_P12ihipStream_tbENKUlT_T0_SG_SL_E_clISA_SA_SB_SB_EEDaSZ_S10_SG_SL_EUlSZ_E_NS1_11comp_targetILNS1_3genE0ELNS1_11target_archE4294967295ELNS1_3gpuE0ELNS1_3repE0EEENS1_47radix_sort_onesweep_sort_config_static_selectorELNS0_4arch9wavefront6targetE0EEEvSG_.has_indirect_call, 0
	.section	.AMDGPU.csdata,"",@progbits
; Kernel info:
; codeLenInByte = 11036
; TotalNumSgprs: 30
; NumVgprs: 57
; ScratchSize: 0
; MemoryBound: 0
; FloatMode: 240
; IeeeMode: 1
; LDSByteSize: 18504 bytes/workgroup (compile time only)
; SGPRBlocks: 0
; VGPRBlocks: 3
; NumSGPRsForWavesPerEU: 30
; NumVGPRsForWavesPerEU: 57
; NamedBarCnt: 0
; Occupancy: 16
; WaveLimiterHint : 1
; COMPUTE_PGM_RSRC2:SCRATCH_EN: 0
; COMPUTE_PGM_RSRC2:USER_SGPR: 2
; COMPUTE_PGM_RSRC2:TRAP_HANDLER: 0
; COMPUTE_PGM_RSRC2:TGID_X_EN: 1
; COMPUTE_PGM_RSRC2:TGID_Y_EN: 0
; COMPUTE_PGM_RSRC2:TGID_Z_EN: 0
; COMPUTE_PGM_RSRC2:TIDIG_COMP_CNT: 2
	.section	.text._ZN7rocprim17ROCPRIM_400000_NS6detail17trampoline_kernelINS0_14default_configENS1_35radix_sort_onesweep_config_selectorImNS0_10empty_typeEEEZZNS1_29radix_sort_onesweep_iterationIS3_Lb0EPKmPmPS5_SB_mNS0_19identity_decomposerENS1_16block_id_wrapperIjLb0EEEEE10hipError_tT1_PNSt15iterator_traitsISG_E10value_typeET2_T3_PNSH_ISM_E10value_typeET4_T5_PSR_SS_PNS1_23onesweep_lookback_stateEbbT6_jjT7_P12ihipStream_tbENKUlT_T0_SG_SL_E_clISA_SA_SB_SB_EEDaSZ_S10_SG_SL_EUlSZ_E_NS1_11comp_targetILNS1_3genE6ELNS1_11target_archE950ELNS1_3gpuE13ELNS1_3repE0EEENS1_47radix_sort_onesweep_sort_config_static_selectorELNS0_4arch9wavefront6targetE0EEEvSG_,"axG",@progbits,_ZN7rocprim17ROCPRIM_400000_NS6detail17trampoline_kernelINS0_14default_configENS1_35radix_sort_onesweep_config_selectorImNS0_10empty_typeEEEZZNS1_29radix_sort_onesweep_iterationIS3_Lb0EPKmPmPS5_SB_mNS0_19identity_decomposerENS1_16block_id_wrapperIjLb0EEEEE10hipError_tT1_PNSt15iterator_traitsISG_E10value_typeET2_T3_PNSH_ISM_E10value_typeET4_T5_PSR_SS_PNS1_23onesweep_lookback_stateEbbT6_jjT7_P12ihipStream_tbENKUlT_T0_SG_SL_E_clISA_SA_SB_SB_EEDaSZ_S10_SG_SL_EUlSZ_E_NS1_11comp_targetILNS1_3genE6ELNS1_11target_archE950ELNS1_3gpuE13ELNS1_3repE0EEENS1_47radix_sort_onesweep_sort_config_static_selectorELNS0_4arch9wavefront6targetE0EEEvSG_,comdat
	.protected	_ZN7rocprim17ROCPRIM_400000_NS6detail17trampoline_kernelINS0_14default_configENS1_35radix_sort_onesweep_config_selectorImNS0_10empty_typeEEEZZNS1_29radix_sort_onesweep_iterationIS3_Lb0EPKmPmPS5_SB_mNS0_19identity_decomposerENS1_16block_id_wrapperIjLb0EEEEE10hipError_tT1_PNSt15iterator_traitsISG_E10value_typeET2_T3_PNSH_ISM_E10value_typeET4_T5_PSR_SS_PNS1_23onesweep_lookback_stateEbbT6_jjT7_P12ihipStream_tbENKUlT_T0_SG_SL_E_clISA_SA_SB_SB_EEDaSZ_S10_SG_SL_EUlSZ_E_NS1_11comp_targetILNS1_3genE6ELNS1_11target_archE950ELNS1_3gpuE13ELNS1_3repE0EEENS1_47radix_sort_onesweep_sort_config_static_selectorELNS0_4arch9wavefront6targetE0EEEvSG_ ; -- Begin function _ZN7rocprim17ROCPRIM_400000_NS6detail17trampoline_kernelINS0_14default_configENS1_35radix_sort_onesweep_config_selectorImNS0_10empty_typeEEEZZNS1_29radix_sort_onesweep_iterationIS3_Lb0EPKmPmPS5_SB_mNS0_19identity_decomposerENS1_16block_id_wrapperIjLb0EEEEE10hipError_tT1_PNSt15iterator_traitsISG_E10value_typeET2_T3_PNSH_ISM_E10value_typeET4_T5_PSR_SS_PNS1_23onesweep_lookback_stateEbbT6_jjT7_P12ihipStream_tbENKUlT_T0_SG_SL_E_clISA_SA_SB_SB_EEDaSZ_S10_SG_SL_EUlSZ_E_NS1_11comp_targetILNS1_3genE6ELNS1_11target_archE950ELNS1_3gpuE13ELNS1_3repE0EEENS1_47radix_sort_onesweep_sort_config_static_selectorELNS0_4arch9wavefront6targetE0EEEvSG_
	.globl	_ZN7rocprim17ROCPRIM_400000_NS6detail17trampoline_kernelINS0_14default_configENS1_35radix_sort_onesweep_config_selectorImNS0_10empty_typeEEEZZNS1_29radix_sort_onesweep_iterationIS3_Lb0EPKmPmPS5_SB_mNS0_19identity_decomposerENS1_16block_id_wrapperIjLb0EEEEE10hipError_tT1_PNSt15iterator_traitsISG_E10value_typeET2_T3_PNSH_ISM_E10value_typeET4_T5_PSR_SS_PNS1_23onesweep_lookback_stateEbbT6_jjT7_P12ihipStream_tbENKUlT_T0_SG_SL_E_clISA_SA_SB_SB_EEDaSZ_S10_SG_SL_EUlSZ_E_NS1_11comp_targetILNS1_3genE6ELNS1_11target_archE950ELNS1_3gpuE13ELNS1_3repE0EEENS1_47radix_sort_onesweep_sort_config_static_selectorELNS0_4arch9wavefront6targetE0EEEvSG_
	.p2align	8
	.type	_ZN7rocprim17ROCPRIM_400000_NS6detail17trampoline_kernelINS0_14default_configENS1_35radix_sort_onesweep_config_selectorImNS0_10empty_typeEEEZZNS1_29radix_sort_onesweep_iterationIS3_Lb0EPKmPmPS5_SB_mNS0_19identity_decomposerENS1_16block_id_wrapperIjLb0EEEEE10hipError_tT1_PNSt15iterator_traitsISG_E10value_typeET2_T3_PNSH_ISM_E10value_typeET4_T5_PSR_SS_PNS1_23onesweep_lookback_stateEbbT6_jjT7_P12ihipStream_tbENKUlT_T0_SG_SL_E_clISA_SA_SB_SB_EEDaSZ_S10_SG_SL_EUlSZ_E_NS1_11comp_targetILNS1_3genE6ELNS1_11target_archE950ELNS1_3gpuE13ELNS1_3repE0EEENS1_47radix_sort_onesweep_sort_config_static_selectorELNS0_4arch9wavefront6targetE0EEEvSG_,@function
_ZN7rocprim17ROCPRIM_400000_NS6detail17trampoline_kernelINS0_14default_configENS1_35radix_sort_onesweep_config_selectorImNS0_10empty_typeEEEZZNS1_29radix_sort_onesweep_iterationIS3_Lb0EPKmPmPS5_SB_mNS0_19identity_decomposerENS1_16block_id_wrapperIjLb0EEEEE10hipError_tT1_PNSt15iterator_traitsISG_E10value_typeET2_T3_PNSH_ISM_E10value_typeET4_T5_PSR_SS_PNS1_23onesweep_lookback_stateEbbT6_jjT7_P12ihipStream_tbENKUlT_T0_SG_SL_E_clISA_SA_SB_SB_EEDaSZ_S10_SG_SL_EUlSZ_E_NS1_11comp_targetILNS1_3genE6ELNS1_11target_archE950ELNS1_3gpuE13ELNS1_3repE0EEENS1_47radix_sort_onesweep_sort_config_static_selectorELNS0_4arch9wavefront6targetE0EEEvSG_: ; @_ZN7rocprim17ROCPRIM_400000_NS6detail17trampoline_kernelINS0_14default_configENS1_35radix_sort_onesweep_config_selectorImNS0_10empty_typeEEEZZNS1_29radix_sort_onesweep_iterationIS3_Lb0EPKmPmPS5_SB_mNS0_19identity_decomposerENS1_16block_id_wrapperIjLb0EEEEE10hipError_tT1_PNSt15iterator_traitsISG_E10value_typeET2_T3_PNSH_ISM_E10value_typeET4_T5_PSR_SS_PNS1_23onesweep_lookback_stateEbbT6_jjT7_P12ihipStream_tbENKUlT_T0_SG_SL_E_clISA_SA_SB_SB_EEDaSZ_S10_SG_SL_EUlSZ_E_NS1_11comp_targetILNS1_3genE6ELNS1_11target_archE950ELNS1_3gpuE13ELNS1_3repE0EEENS1_47radix_sort_onesweep_sort_config_static_selectorELNS0_4arch9wavefront6targetE0EEEvSG_
; %bb.0:
	.section	.rodata,"a",@progbits
	.p2align	6, 0x0
	.amdhsa_kernel _ZN7rocprim17ROCPRIM_400000_NS6detail17trampoline_kernelINS0_14default_configENS1_35radix_sort_onesweep_config_selectorImNS0_10empty_typeEEEZZNS1_29radix_sort_onesweep_iterationIS3_Lb0EPKmPmPS5_SB_mNS0_19identity_decomposerENS1_16block_id_wrapperIjLb0EEEEE10hipError_tT1_PNSt15iterator_traitsISG_E10value_typeET2_T3_PNSH_ISM_E10value_typeET4_T5_PSR_SS_PNS1_23onesweep_lookback_stateEbbT6_jjT7_P12ihipStream_tbENKUlT_T0_SG_SL_E_clISA_SA_SB_SB_EEDaSZ_S10_SG_SL_EUlSZ_E_NS1_11comp_targetILNS1_3genE6ELNS1_11target_archE950ELNS1_3gpuE13ELNS1_3repE0EEENS1_47radix_sort_onesweep_sort_config_static_selectorELNS0_4arch9wavefront6targetE0EEEvSG_
		.amdhsa_group_segment_fixed_size 0
		.amdhsa_private_segment_fixed_size 0
		.amdhsa_kernarg_size 88
		.amdhsa_user_sgpr_count 2
		.amdhsa_user_sgpr_dispatch_ptr 0
		.amdhsa_user_sgpr_queue_ptr 0
		.amdhsa_user_sgpr_kernarg_segment_ptr 1
		.amdhsa_user_sgpr_dispatch_id 0
		.amdhsa_user_sgpr_kernarg_preload_length 0
		.amdhsa_user_sgpr_kernarg_preload_offset 0
		.amdhsa_user_sgpr_private_segment_size 0
		.amdhsa_wavefront_size32 1
		.amdhsa_uses_dynamic_stack 0
		.amdhsa_enable_private_segment 0
		.amdhsa_system_sgpr_workgroup_id_x 1
		.amdhsa_system_sgpr_workgroup_id_y 0
		.amdhsa_system_sgpr_workgroup_id_z 0
		.amdhsa_system_sgpr_workgroup_info 0
		.amdhsa_system_vgpr_workitem_id 0
		.amdhsa_next_free_vgpr 1
		.amdhsa_next_free_sgpr 1
		.amdhsa_named_barrier_count 0
		.amdhsa_reserve_vcc 0
		.amdhsa_float_round_mode_32 0
		.amdhsa_float_round_mode_16_64 0
		.amdhsa_float_denorm_mode_32 3
		.amdhsa_float_denorm_mode_16_64 3
		.amdhsa_fp16_overflow 0
		.amdhsa_memory_ordered 1
		.amdhsa_forward_progress 1
		.amdhsa_inst_pref_size 0
		.amdhsa_round_robin_scheduling 0
		.amdhsa_exception_fp_ieee_invalid_op 0
		.amdhsa_exception_fp_denorm_src 0
		.amdhsa_exception_fp_ieee_div_zero 0
		.amdhsa_exception_fp_ieee_overflow 0
		.amdhsa_exception_fp_ieee_underflow 0
		.amdhsa_exception_fp_ieee_inexact 0
		.amdhsa_exception_int_div_zero 0
	.end_amdhsa_kernel
	.section	.text._ZN7rocprim17ROCPRIM_400000_NS6detail17trampoline_kernelINS0_14default_configENS1_35radix_sort_onesweep_config_selectorImNS0_10empty_typeEEEZZNS1_29radix_sort_onesweep_iterationIS3_Lb0EPKmPmPS5_SB_mNS0_19identity_decomposerENS1_16block_id_wrapperIjLb0EEEEE10hipError_tT1_PNSt15iterator_traitsISG_E10value_typeET2_T3_PNSH_ISM_E10value_typeET4_T5_PSR_SS_PNS1_23onesweep_lookback_stateEbbT6_jjT7_P12ihipStream_tbENKUlT_T0_SG_SL_E_clISA_SA_SB_SB_EEDaSZ_S10_SG_SL_EUlSZ_E_NS1_11comp_targetILNS1_3genE6ELNS1_11target_archE950ELNS1_3gpuE13ELNS1_3repE0EEENS1_47radix_sort_onesweep_sort_config_static_selectorELNS0_4arch9wavefront6targetE0EEEvSG_,"axG",@progbits,_ZN7rocprim17ROCPRIM_400000_NS6detail17trampoline_kernelINS0_14default_configENS1_35radix_sort_onesweep_config_selectorImNS0_10empty_typeEEEZZNS1_29radix_sort_onesweep_iterationIS3_Lb0EPKmPmPS5_SB_mNS0_19identity_decomposerENS1_16block_id_wrapperIjLb0EEEEE10hipError_tT1_PNSt15iterator_traitsISG_E10value_typeET2_T3_PNSH_ISM_E10value_typeET4_T5_PSR_SS_PNS1_23onesweep_lookback_stateEbbT6_jjT7_P12ihipStream_tbENKUlT_T0_SG_SL_E_clISA_SA_SB_SB_EEDaSZ_S10_SG_SL_EUlSZ_E_NS1_11comp_targetILNS1_3genE6ELNS1_11target_archE950ELNS1_3gpuE13ELNS1_3repE0EEENS1_47radix_sort_onesweep_sort_config_static_selectorELNS0_4arch9wavefront6targetE0EEEvSG_,comdat
.Lfunc_end3019:
	.size	_ZN7rocprim17ROCPRIM_400000_NS6detail17trampoline_kernelINS0_14default_configENS1_35radix_sort_onesweep_config_selectorImNS0_10empty_typeEEEZZNS1_29radix_sort_onesweep_iterationIS3_Lb0EPKmPmPS5_SB_mNS0_19identity_decomposerENS1_16block_id_wrapperIjLb0EEEEE10hipError_tT1_PNSt15iterator_traitsISG_E10value_typeET2_T3_PNSH_ISM_E10value_typeET4_T5_PSR_SS_PNS1_23onesweep_lookback_stateEbbT6_jjT7_P12ihipStream_tbENKUlT_T0_SG_SL_E_clISA_SA_SB_SB_EEDaSZ_S10_SG_SL_EUlSZ_E_NS1_11comp_targetILNS1_3genE6ELNS1_11target_archE950ELNS1_3gpuE13ELNS1_3repE0EEENS1_47radix_sort_onesweep_sort_config_static_selectorELNS0_4arch9wavefront6targetE0EEEvSG_, .Lfunc_end3019-_ZN7rocprim17ROCPRIM_400000_NS6detail17trampoline_kernelINS0_14default_configENS1_35radix_sort_onesweep_config_selectorImNS0_10empty_typeEEEZZNS1_29radix_sort_onesweep_iterationIS3_Lb0EPKmPmPS5_SB_mNS0_19identity_decomposerENS1_16block_id_wrapperIjLb0EEEEE10hipError_tT1_PNSt15iterator_traitsISG_E10value_typeET2_T3_PNSH_ISM_E10value_typeET4_T5_PSR_SS_PNS1_23onesweep_lookback_stateEbbT6_jjT7_P12ihipStream_tbENKUlT_T0_SG_SL_E_clISA_SA_SB_SB_EEDaSZ_S10_SG_SL_EUlSZ_E_NS1_11comp_targetILNS1_3genE6ELNS1_11target_archE950ELNS1_3gpuE13ELNS1_3repE0EEENS1_47radix_sort_onesweep_sort_config_static_selectorELNS0_4arch9wavefront6targetE0EEEvSG_
                                        ; -- End function
	.set _ZN7rocprim17ROCPRIM_400000_NS6detail17trampoline_kernelINS0_14default_configENS1_35radix_sort_onesweep_config_selectorImNS0_10empty_typeEEEZZNS1_29radix_sort_onesweep_iterationIS3_Lb0EPKmPmPS5_SB_mNS0_19identity_decomposerENS1_16block_id_wrapperIjLb0EEEEE10hipError_tT1_PNSt15iterator_traitsISG_E10value_typeET2_T3_PNSH_ISM_E10value_typeET4_T5_PSR_SS_PNS1_23onesweep_lookback_stateEbbT6_jjT7_P12ihipStream_tbENKUlT_T0_SG_SL_E_clISA_SA_SB_SB_EEDaSZ_S10_SG_SL_EUlSZ_E_NS1_11comp_targetILNS1_3genE6ELNS1_11target_archE950ELNS1_3gpuE13ELNS1_3repE0EEENS1_47radix_sort_onesweep_sort_config_static_selectorELNS0_4arch9wavefront6targetE0EEEvSG_.num_vgpr, 0
	.set _ZN7rocprim17ROCPRIM_400000_NS6detail17trampoline_kernelINS0_14default_configENS1_35radix_sort_onesweep_config_selectorImNS0_10empty_typeEEEZZNS1_29radix_sort_onesweep_iterationIS3_Lb0EPKmPmPS5_SB_mNS0_19identity_decomposerENS1_16block_id_wrapperIjLb0EEEEE10hipError_tT1_PNSt15iterator_traitsISG_E10value_typeET2_T3_PNSH_ISM_E10value_typeET4_T5_PSR_SS_PNS1_23onesweep_lookback_stateEbbT6_jjT7_P12ihipStream_tbENKUlT_T0_SG_SL_E_clISA_SA_SB_SB_EEDaSZ_S10_SG_SL_EUlSZ_E_NS1_11comp_targetILNS1_3genE6ELNS1_11target_archE950ELNS1_3gpuE13ELNS1_3repE0EEENS1_47radix_sort_onesweep_sort_config_static_selectorELNS0_4arch9wavefront6targetE0EEEvSG_.num_agpr, 0
	.set _ZN7rocprim17ROCPRIM_400000_NS6detail17trampoline_kernelINS0_14default_configENS1_35radix_sort_onesweep_config_selectorImNS0_10empty_typeEEEZZNS1_29radix_sort_onesweep_iterationIS3_Lb0EPKmPmPS5_SB_mNS0_19identity_decomposerENS1_16block_id_wrapperIjLb0EEEEE10hipError_tT1_PNSt15iterator_traitsISG_E10value_typeET2_T3_PNSH_ISM_E10value_typeET4_T5_PSR_SS_PNS1_23onesweep_lookback_stateEbbT6_jjT7_P12ihipStream_tbENKUlT_T0_SG_SL_E_clISA_SA_SB_SB_EEDaSZ_S10_SG_SL_EUlSZ_E_NS1_11comp_targetILNS1_3genE6ELNS1_11target_archE950ELNS1_3gpuE13ELNS1_3repE0EEENS1_47radix_sort_onesweep_sort_config_static_selectorELNS0_4arch9wavefront6targetE0EEEvSG_.numbered_sgpr, 0
	.set _ZN7rocprim17ROCPRIM_400000_NS6detail17trampoline_kernelINS0_14default_configENS1_35radix_sort_onesweep_config_selectorImNS0_10empty_typeEEEZZNS1_29radix_sort_onesweep_iterationIS3_Lb0EPKmPmPS5_SB_mNS0_19identity_decomposerENS1_16block_id_wrapperIjLb0EEEEE10hipError_tT1_PNSt15iterator_traitsISG_E10value_typeET2_T3_PNSH_ISM_E10value_typeET4_T5_PSR_SS_PNS1_23onesweep_lookback_stateEbbT6_jjT7_P12ihipStream_tbENKUlT_T0_SG_SL_E_clISA_SA_SB_SB_EEDaSZ_S10_SG_SL_EUlSZ_E_NS1_11comp_targetILNS1_3genE6ELNS1_11target_archE950ELNS1_3gpuE13ELNS1_3repE0EEENS1_47radix_sort_onesweep_sort_config_static_selectorELNS0_4arch9wavefront6targetE0EEEvSG_.num_named_barrier, 0
	.set _ZN7rocprim17ROCPRIM_400000_NS6detail17trampoline_kernelINS0_14default_configENS1_35radix_sort_onesweep_config_selectorImNS0_10empty_typeEEEZZNS1_29radix_sort_onesweep_iterationIS3_Lb0EPKmPmPS5_SB_mNS0_19identity_decomposerENS1_16block_id_wrapperIjLb0EEEEE10hipError_tT1_PNSt15iterator_traitsISG_E10value_typeET2_T3_PNSH_ISM_E10value_typeET4_T5_PSR_SS_PNS1_23onesweep_lookback_stateEbbT6_jjT7_P12ihipStream_tbENKUlT_T0_SG_SL_E_clISA_SA_SB_SB_EEDaSZ_S10_SG_SL_EUlSZ_E_NS1_11comp_targetILNS1_3genE6ELNS1_11target_archE950ELNS1_3gpuE13ELNS1_3repE0EEENS1_47radix_sort_onesweep_sort_config_static_selectorELNS0_4arch9wavefront6targetE0EEEvSG_.private_seg_size, 0
	.set _ZN7rocprim17ROCPRIM_400000_NS6detail17trampoline_kernelINS0_14default_configENS1_35radix_sort_onesweep_config_selectorImNS0_10empty_typeEEEZZNS1_29radix_sort_onesweep_iterationIS3_Lb0EPKmPmPS5_SB_mNS0_19identity_decomposerENS1_16block_id_wrapperIjLb0EEEEE10hipError_tT1_PNSt15iterator_traitsISG_E10value_typeET2_T3_PNSH_ISM_E10value_typeET4_T5_PSR_SS_PNS1_23onesweep_lookback_stateEbbT6_jjT7_P12ihipStream_tbENKUlT_T0_SG_SL_E_clISA_SA_SB_SB_EEDaSZ_S10_SG_SL_EUlSZ_E_NS1_11comp_targetILNS1_3genE6ELNS1_11target_archE950ELNS1_3gpuE13ELNS1_3repE0EEENS1_47radix_sort_onesweep_sort_config_static_selectorELNS0_4arch9wavefront6targetE0EEEvSG_.uses_vcc, 0
	.set _ZN7rocprim17ROCPRIM_400000_NS6detail17trampoline_kernelINS0_14default_configENS1_35radix_sort_onesweep_config_selectorImNS0_10empty_typeEEEZZNS1_29radix_sort_onesweep_iterationIS3_Lb0EPKmPmPS5_SB_mNS0_19identity_decomposerENS1_16block_id_wrapperIjLb0EEEEE10hipError_tT1_PNSt15iterator_traitsISG_E10value_typeET2_T3_PNSH_ISM_E10value_typeET4_T5_PSR_SS_PNS1_23onesweep_lookback_stateEbbT6_jjT7_P12ihipStream_tbENKUlT_T0_SG_SL_E_clISA_SA_SB_SB_EEDaSZ_S10_SG_SL_EUlSZ_E_NS1_11comp_targetILNS1_3genE6ELNS1_11target_archE950ELNS1_3gpuE13ELNS1_3repE0EEENS1_47radix_sort_onesweep_sort_config_static_selectorELNS0_4arch9wavefront6targetE0EEEvSG_.uses_flat_scratch, 0
	.set _ZN7rocprim17ROCPRIM_400000_NS6detail17trampoline_kernelINS0_14default_configENS1_35radix_sort_onesweep_config_selectorImNS0_10empty_typeEEEZZNS1_29radix_sort_onesweep_iterationIS3_Lb0EPKmPmPS5_SB_mNS0_19identity_decomposerENS1_16block_id_wrapperIjLb0EEEEE10hipError_tT1_PNSt15iterator_traitsISG_E10value_typeET2_T3_PNSH_ISM_E10value_typeET4_T5_PSR_SS_PNS1_23onesweep_lookback_stateEbbT6_jjT7_P12ihipStream_tbENKUlT_T0_SG_SL_E_clISA_SA_SB_SB_EEDaSZ_S10_SG_SL_EUlSZ_E_NS1_11comp_targetILNS1_3genE6ELNS1_11target_archE950ELNS1_3gpuE13ELNS1_3repE0EEENS1_47radix_sort_onesweep_sort_config_static_selectorELNS0_4arch9wavefront6targetE0EEEvSG_.has_dyn_sized_stack, 0
	.set _ZN7rocprim17ROCPRIM_400000_NS6detail17trampoline_kernelINS0_14default_configENS1_35radix_sort_onesweep_config_selectorImNS0_10empty_typeEEEZZNS1_29radix_sort_onesweep_iterationIS3_Lb0EPKmPmPS5_SB_mNS0_19identity_decomposerENS1_16block_id_wrapperIjLb0EEEEE10hipError_tT1_PNSt15iterator_traitsISG_E10value_typeET2_T3_PNSH_ISM_E10value_typeET4_T5_PSR_SS_PNS1_23onesweep_lookback_stateEbbT6_jjT7_P12ihipStream_tbENKUlT_T0_SG_SL_E_clISA_SA_SB_SB_EEDaSZ_S10_SG_SL_EUlSZ_E_NS1_11comp_targetILNS1_3genE6ELNS1_11target_archE950ELNS1_3gpuE13ELNS1_3repE0EEENS1_47radix_sort_onesweep_sort_config_static_selectorELNS0_4arch9wavefront6targetE0EEEvSG_.has_recursion, 0
	.set _ZN7rocprim17ROCPRIM_400000_NS6detail17trampoline_kernelINS0_14default_configENS1_35radix_sort_onesweep_config_selectorImNS0_10empty_typeEEEZZNS1_29radix_sort_onesweep_iterationIS3_Lb0EPKmPmPS5_SB_mNS0_19identity_decomposerENS1_16block_id_wrapperIjLb0EEEEE10hipError_tT1_PNSt15iterator_traitsISG_E10value_typeET2_T3_PNSH_ISM_E10value_typeET4_T5_PSR_SS_PNS1_23onesweep_lookback_stateEbbT6_jjT7_P12ihipStream_tbENKUlT_T0_SG_SL_E_clISA_SA_SB_SB_EEDaSZ_S10_SG_SL_EUlSZ_E_NS1_11comp_targetILNS1_3genE6ELNS1_11target_archE950ELNS1_3gpuE13ELNS1_3repE0EEENS1_47radix_sort_onesweep_sort_config_static_selectorELNS0_4arch9wavefront6targetE0EEEvSG_.has_indirect_call, 0
	.section	.AMDGPU.csdata,"",@progbits
; Kernel info:
; codeLenInByte = 0
; TotalNumSgprs: 0
; NumVgprs: 0
; ScratchSize: 0
; MemoryBound: 0
; FloatMode: 240
; IeeeMode: 1
; LDSByteSize: 0 bytes/workgroup (compile time only)
; SGPRBlocks: 0
; VGPRBlocks: 0
; NumSGPRsForWavesPerEU: 1
; NumVGPRsForWavesPerEU: 1
; NamedBarCnt: 0
; Occupancy: 16
; WaveLimiterHint : 0
; COMPUTE_PGM_RSRC2:SCRATCH_EN: 0
; COMPUTE_PGM_RSRC2:USER_SGPR: 2
; COMPUTE_PGM_RSRC2:TRAP_HANDLER: 0
; COMPUTE_PGM_RSRC2:TGID_X_EN: 1
; COMPUTE_PGM_RSRC2:TGID_Y_EN: 0
; COMPUTE_PGM_RSRC2:TGID_Z_EN: 0
; COMPUTE_PGM_RSRC2:TIDIG_COMP_CNT: 0
	.section	.text._ZN7rocprim17ROCPRIM_400000_NS6detail17trampoline_kernelINS0_14default_configENS1_35radix_sort_onesweep_config_selectorImNS0_10empty_typeEEEZZNS1_29radix_sort_onesweep_iterationIS3_Lb0EPKmPmPS5_SB_mNS0_19identity_decomposerENS1_16block_id_wrapperIjLb0EEEEE10hipError_tT1_PNSt15iterator_traitsISG_E10value_typeET2_T3_PNSH_ISM_E10value_typeET4_T5_PSR_SS_PNS1_23onesweep_lookback_stateEbbT6_jjT7_P12ihipStream_tbENKUlT_T0_SG_SL_E_clISA_SA_SB_SB_EEDaSZ_S10_SG_SL_EUlSZ_E_NS1_11comp_targetILNS1_3genE5ELNS1_11target_archE942ELNS1_3gpuE9ELNS1_3repE0EEENS1_47radix_sort_onesweep_sort_config_static_selectorELNS0_4arch9wavefront6targetE0EEEvSG_,"axG",@progbits,_ZN7rocprim17ROCPRIM_400000_NS6detail17trampoline_kernelINS0_14default_configENS1_35radix_sort_onesweep_config_selectorImNS0_10empty_typeEEEZZNS1_29radix_sort_onesweep_iterationIS3_Lb0EPKmPmPS5_SB_mNS0_19identity_decomposerENS1_16block_id_wrapperIjLb0EEEEE10hipError_tT1_PNSt15iterator_traitsISG_E10value_typeET2_T3_PNSH_ISM_E10value_typeET4_T5_PSR_SS_PNS1_23onesweep_lookback_stateEbbT6_jjT7_P12ihipStream_tbENKUlT_T0_SG_SL_E_clISA_SA_SB_SB_EEDaSZ_S10_SG_SL_EUlSZ_E_NS1_11comp_targetILNS1_3genE5ELNS1_11target_archE942ELNS1_3gpuE9ELNS1_3repE0EEENS1_47radix_sort_onesweep_sort_config_static_selectorELNS0_4arch9wavefront6targetE0EEEvSG_,comdat
	.protected	_ZN7rocprim17ROCPRIM_400000_NS6detail17trampoline_kernelINS0_14default_configENS1_35radix_sort_onesweep_config_selectorImNS0_10empty_typeEEEZZNS1_29radix_sort_onesweep_iterationIS3_Lb0EPKmPmPS5_SB_mNS0_19identity_decomposerENS1_16block_id_wrapperIjLb0EEEEE10hipError_tT1_PNSt15iterator_traitsISG_E10value_typeET2_T3_PNSH_ISM_E10value_typeET4_T5_PSR_SS_PNS1_23onesweep_lookback_stateEbbT6_jjT7_P12ihipStream_tbENKUlT_T0_SG_SL_E_clISA_SA_SB_SB_EEDaSZ_S10_SG_SL_EUlSZ_E_NS1_11comp_targetILNS1_3genE5ELNS1_11target_archE942ELNS1_3gpuE9ELNS1_3repE0EEENS1_47radix_sort_onesweep_sort_config_static_selectorELNS0_4arch9wavefront6targetE0EEEvSG_ ; -- Begin function _ZN7rocprim17ROCPRIM_400000_NS6detail17trampoline_kernelINS0_14default_configENS1_35radix_sort_onesweep_config_selectorImNS0_10empty_typeEEEZZNS1_29radix_sort_onesweep_iterationIS3_Lb0EPKmPmPS5_SB_mNS0_19identity_decomposerENS1_16block_id_wrapperIjLb0EEEEE10hipError_tT1_PNSt15iterator_traitsISG_E10value_typeET2_T3_PNSH_ISM_E10value_typeET4_T5_PSR_SS_PNS1_23onesweep_lookback_stateEbbT6_jjT7_P12ihipStream_tbENKUlT_T0_SG_SL_E_clISA_SA_SB_SB_EEDaSZ_S10_SG_SL_EUlSZ_E_NS1_11comp_targetILNS1_3genE5ELNS1_11target_archE942ELNS1_3gpuE9ELNS1_3repE0EEENS1_47radix_sort_onesweep_sort_config_static_selectorELNS0_4arch9wavefront6targetE0EEEvSG_
	.globl	_ZN7rocprim17ROCPRIM_400000_NS6detail17trampoline_kernelINS0_14default_configENS1_35radix_sort_onesweep_config_selectorImNS0_10empty_typeEEEZZNS1_29radix_sort_onesweep_iterationIS3_Lb0EPKmPmPS5_SB_mNS0_19identity_decomposerENS1_16block_id_wrapperIjLb0EEEEE10hipError_tT1_PNSt15iterator_traitsISG_E10value_typeET2_T3_PNSH_ISM_E10value_typeET4_T5_PSR_SS_PNS1_23onesweep_lookback_stateEbbT6_jjT7_P12ihipStream_tbENKUlT_T0_SG_SL_E_clISA_SA_SB_SB_EEDaSZ_S10_SG_SL_EUlSZ_E_NS1_11comp_targetILNS1_3genE5ELNS1_11target_archE942ELNS1_3gpuE9ELNS1_3repE0EEENS1_47radix_sort_onesweep_sort_config_static_selectorELNS0_4arch9wavefront6targetE0EEEvSG_
	.p2align	8
	.type	_ZN7rocprim17ROCPRIM_400000_NS6detail17trampoline_kernelINS0_14default_configENS1_35radix_sort_onesweep_config_selectorImNS0_10empty_typeEEEZZNS1_29radix_sort_onesweep_iterationIS3_Lb0EPKmPmPS5_SB_mNS0_19identity_decomposerENS1_16block_id_wrapperIjLb0EEEEE10hipError_tT1_PNSt15iterator_traitsISG_E10value_typeET2_T3_PNSH_ISM_E10value_typeET4_T5_PSR_SS_PNS1_23onesweep_lookback_stateEbbT6_jjT7_P12ihipStream_tbENKUlT_T0_SG_SL_E_clISA_SA_SB_SB_EEDaSZ_S10_SG_SL_EUlSZ_E_NS1_11comp_targetILNS1_3genE5ELNS1_11target_archE942ELNS1_3gpuE9ELNS1_3repE0EEENS1_47radix_sort_onesweep_sort_config_static_selectorELNS0_4arch9wavefront6targetE0EEEvSG_,@function
_ZN7rocprim17ROCPRIM_400000_NS6detail17trampoline_kernelINS0_14default_configENS1_35radix_sort_onesweep_config_selectorImNS0_10empty_typeEEEZZNS1_29radix_sort_onesweep_iterationIS3_Lb0EPKmPmPS5_SB_mNS0_19identity_decomposerENS1_16block_id_wrapperIjLb0EEEEE10hipError_tT1_PNSt15iterator_traitsISG_E10value_typeET2_T3_PNSH_ISM_E10value_typeET4_T5_PSR_SS_PNS1_23onesweep_lookback_stateEbbT6_jjT7_P12ihipStream_tbENKUlT_T0_SG_SL_E_clISA_SA_SB_SB_EEDaSZ_S10_SG_SL_EUlSZ_E_NS1_11comp_targetILNS1_3genE5ELNS1_11target_archE942ELNS1_3gpuE9ELNS1_3repE0EEENS1_47radix_sort_onesweep_sort_config_static_selectorELNS0_4arch9wavefront6targetE0EEEvSG_: ; @_ZN7rocprim17ROCPRIM_400000_NS6detail17trampoline_kernelINS0_14default_configENS1_35radix_sort_onesweep_config_selectorImNS0_10empty_typeEEEZZNS1_29radix_sort_onesweep_iterationIS3_Lb0EPKmPmPS5_SB_mNS0_19identity_decomposerENS1_16block_id_wrapperIjLb0EEEEE10hipError_tT1_PNSt15iterator_traitsISG_E10value_typeET2_T3_PNSH_ISM_E10value_typeET4_T5_PSR_SS_PNS1_23onesweep_lookback_stateEbbT6_jjT7_P12ihipStream_tbENKUlT_T0_SG_SL_E_clISA_SA_SB_SB_EEDaSZ_S10_SG_SL_EUlSZ_E_NS1_11comp_targetILNS1_3genE5ELNS1_11target_archE942ELNS1_3gpuE9ELNS1_3repE0EEENS1_47radix_sort_onesweep_sort_config_static_selectorELNS0_4arch9wavefront6targetE0EEEvSG_
; %bb.0:
	.section	.rodata,"a",@progbits
	.p2align	6, 0x0
	.amdhsa_kernel _ZN7rocprim17ROCPRIM_400000_NS6detail17trampoline_kernelINS0_14default_configENS1_35radix_sort_onesweep_config_selectorImNS0_10empty_typeEEEZZNS1_29radix_sort_onesweep_iterationIS3_Lb0EPKmPmPS5_SB_mNS0_19identity_decomposerENS1_16block_id_wrapperIjLb0EEEEE10hipError_tT1_PNSt15iterator_traitsISG_E10value_typeET2_T3_PNSH_ISM_E10value_typeET4_T5_PSR_SS_PNS1_23onesweep_lookback_stateEbbT6_jjT7_P12ihipStream_tbENKUlT_T0_SG_SL_E_clISA_SA_SB_SB_EEDaSZ_S10_SG_SL_EUlSZ_E_NS1_11comp_targetILNS1_3genE5ELNS1_11target_archE942ELNS1_3gpuE9ELNS1_3repE0EEENS1_47radix_sort_onesweep_sort_config_static_selectorELNS0_4arch9wavefront6targetE0EEEvSG_
		.amdhsa_group_segment_fixed_size 0
		.amdhsa_private_segment_fixed_size 0
		.amdhsa_kernarg_size 88
		.amdhsa_user_sgpr_count 2
		.amdhsa_user_sgpr_dispatch_ptr 0
		.amdhsa_user_sgpr_queue_ptr 0
		.amdhsa_user_sgpr_kernarg_segment_ptr 1
		.amdhsa_user_sgpr_dispatch_id 0
		.amdhsa_user_sgpr_kernarg_preload_length 0
		.amdhsa_user_sgpr_kernarg_preload_offset 0
		.amdhsa_user_sgpr_private_segment_size 0
		.amdhsa_wavefront_size32 1
		.amdhsa_uses_dynamic_stack 0
		.amdhsa_enable_private_segment 0
		.amdhsa_system_sgpr_workgroup_id_x 1
		.amdhsa_system_sgpr_workgroup_id_y 0
		.amdhsa_system_sgpr_workgroup_id_z 0
		.amdhsa_system_sgpr_workgroup_info 0
		.amdhsa_system_vgpr_workitem_id 0
		.amdhsa_next_free_vgpr 1
		.amdhsa_next_free_sgpr 1
		.amdhsa_named_barrier_count 0
		.amdhsa_reserve_vcc 0
		.amdhsa_float_round_mode_32 0
		.amdhsa_float_round_mode_16_64 0
		.amdhsa_float_denorm_mode_32 3
		.amdhsa_float_denorm_mode_16_64 3
		.amdhsa_fp16_overflow 0
		.amdhsa_memory_ordered 1
		.amdhsa_forward_progress 1
		.amdhsa_inst_pref_size 0
		.amdhsa_round_robin_scheduling 0
		.amdhsa_exception_fp_ieee_invalid_op 0
		.amdhsa_exception_fp_denorm_src 0
		.amdhsa_exception_fp_ieee_div_zero 0
		.amdhsa_exception_fp_ieee_overflow 0
		.amdhsa_exception_fp_ieee_underflow 0
		.amdhsa_exception_fp_ieee_inexact 0
		.amdhsa_exception_int_div_zero 0
	.end_amdhsa_kernel
	.section	.text._ZN7rocprim17ROCPRIM_400000_NS6detail17trampoline_kernelINS0_14default_configENS1_35radix_sort_onesweep_config_selectorImNS0_10empty_typeEEEZZNS1_29radix_sort_onesweep_iterationIS3_Lb0EPKmPmPS5_SB_mNS0_19identity_decomposerENS1_16block_id_wrapperIjLb0EEEEE10hipError_tT1_PNSt15iterator_traitsISG_E10value_typeET2_T3_PNSH_ISM_E10value_typeET4_T5_PSR_SS_PNS1_23onesweep_lookback_stateEbbT6_jjT7_P12ihipStream_tbENKUlT_T0_SG_SL_E_clISA_SA_SB_SB_EEDaSZ_S10_SG_SL_EUlSZ_E_NS1_11comp_targetILNS1_3genE5ELNS1_11target_archE942ELNS1_3gpuE9ELNS1_3repE0EEENS1_47radix_sort_onesweep_sort_config_static_selectorELNS0_4arch9wavefront6targetE0EEEvSG_,"axG",@progbits,_ZN7rocprim17ROCPRIM_400000_NS6detail17trampoline_kernelINS0_14default_configENS1_35radix_sort_onesweep_config_selectorImNS0_10empty_typeEEEZZNS1_29radix_sort_onesweep_iterationIS3_Lb0EPKmPmPS5_SB_mNS0_19identity_decomposerENS1_16block_id_wrapperIjLb0EEEEE10hipError_tT1_PNSt15iterator_traitsISG_E10value_typeET2_T3_PNSH_ISM_E10value_typeET4_T5_PSR_SS_PNS1_23onesweep_lookback_stateEbbT6_jjT7_P12ihipStream_tbENKUlT_T0_SG_SL_E_clISA_SA_SB_SB_EEDaSZ_S10_SG_SL_EUlSZ_E_NS1_11comp_targetILNS1_3genE5ELNS1_11target_archE942ELNS1_3gpuE9ELNS1_3repE0EEENS1_47radix_sort_onesweep_sort_config_static_selectorELNS0_4arch9wavefront6targetE0EEEvSG_,comdat
.Lfunc_end3020:
	.size	_ZN7rocprim17ROCPRIM_400000_NS6detail17trampoline_kernelINS0_14default_configENS1_35radix_sort_onesweep_config_selectorImNS0_10empty_typeEEEZZNS1_29radix_sort_onesweep_iterationIS3_Lb0EPKmPmPS5_SB_mNS0_19identity_decomposerENS1_16block_id_wrapperIjLb0EEEEE10hipError_tT1_PNSt15iterator_traitsISG_E10value_typeET2_T3_PNSH_ISM_E10value_typeET4_T5_PSR_SS_PNS1_23onesweep_lookback_stateEbbT6_jjT7_P12ihipStream_tbENKUlT_T0_SG_SL_E_clISA_SA_SB_SB_EEDaSZ_S10_SG_SL_EUlSZ_E_NS1_11comp_targetILNS1_3genE5ELNS1_11target_archE942ELNS1_3gpuE9ELNS1_3repE0EEENS1_47radix_sort_onesweep_sort_config_static_selectorELNS0_4arch9wavefront6targetE0EEEvSG_, .Lfunc_end3020-_ZN7rocprim17ROCPRIM_400000_NS6detail17trampoline_kernelINS0_14default_configENS1_35radix_sort_onesweep_config_selectorImNS0_10empty_typeEEEZZNS1_29radix_sort_onesweep_iterationIS3_Lb0EPKmPmPS5_SB_mNS0_19identity_decomposerENS1_16block_id_wrapperIjLb0EEEEE10hipError_tT1_PNSt15iterator_traitsISG_E10value_typeET2_T3_PNSH_ISM_E10value_typeET4_T5_PSR_SS_PNS1_23onesweep_lookback_stateEbbT6_jjT7_P12ihipStream_tbENKUlT_T0_SG_SL_E_clISA_SA_SB_SB_EEDaSZ_S10_SG_SL_EUlSZ_E_NS1_11comp_targetILNS1_3genE5ELNS1_11target_archE942ELNS1_3gpuE9ELNS1_3repE0EEENS1_47radix_sort_onesweep_sort_config_static_selectorELNS0_4arch9wavefront6targetE0EEEvSG_
                                        ; -- End function
	.set _ZN7rocprim17ROCPRIM_400000_NS6detail17trampoline_kernelINS0_14default_configENS1_35radix_sort_onesweep_config_selectorImNS0_10empty_typeEEEZZNS1_29radix_sort_onesweep_iterationIS3_Lb0EPKmPmPS5_SB_mNS0_19identity_decomposerENS1_16block_id_wrapperIjLb0EEEEE10hipError_tT1_PNSt15iterator_traitsISG_E10value_typeET2_T3_PNSH_ISM_E10value_typeET4_T5_PSR_SS_PNS1_23onesweep_lookback_stateEbbT6_jjT7_P12ihipStream_tbENKUlT_T0_SG_SL_E_clISA_SA_SB_SB_EEDaSZ_S10_SG_SL_EUlSZ_E_NS1_11comp_targetILNS1_3genE5ELNS1_11target_archE942ELNS1_3gpuE9ELNS1_3repE0EEENS1_47radix_sort_onesweep_sort_config_static_selectorELNS0_4arch9wavefront6targetE0EEEvSG_.num_vgpr, 0
	.set _ZN7rocprim17ROCPRIM_400000_NS6detail17trampoline_kernelINS0_14default_configENS1_35radix_sort_onesweep_config_selectorImNS0_10empty_typeEEEZZNS1_29radix_sort_onesweep_iterationIS3_Lb0EPKmPmPS5_SB_mNS0_19identity_decomposerENS1_16block_id_wrapperIjLb0EEEEE10hipError_tT1_PNSt15iterator_traitsISG_E10value_typeET2_T3_PNSH_ISM_E10value_typeET4_T5_PSR_SS_PNS1_23onesweep_lookback_stateEbbT6_jjT7_P12ihipStream_tbENKUlT_T0_SG_SL_E_clISA_SA_SB_SB_EEDaSZ_S10_SG_SL_EUlSZ_E_NS1_11comp_targetILNS1_3genE5ELNS1_11target_archE942ELNS1_3gpuE9ELNS1_3repE0EEENS1_47radix_sort_onesweep_sort_config_static_selectorELNS0_4arch9wavefront6targetE0EEEvSG_.num_agpr, 0
	.set _ZN7rocprim17ROCPRIM_400000_NS6detail17trampoline_kernelINS0_14default_configENS1_35radix_sort_onesweep_config_selectorImNS0_10empty_typeEEEZZNS1_29radix_sort_onesweep_iterationIS3_Lb0EPKmPmPS5_SB_mNS0_19identity_decomposerENS1_16block_id_wrapperIjLb0EEEEE10hipError_tT1_PNSt15iterator_traitsISG_E10value_typeET2_T3_PNSH_ISM_E10value_typeET4_T5_PSR_SS_PNS1_23onesweep_lookback_stateEbbT6_jjT7_P12ihipStream_tbENKUlT_T0_SG_SL_E_clISA_SA_SB_SB_EEDaSZ_S10_SG_SL_EUlSZ_E_NS1_11comp_targetILNS1_3genE5ELNS1_11target_archE942ELNS1_3gpuE9ELNS1_3repE0EEENS1_47radix_sort_onesweep_sort_config_static_selectorELNS0_4arch9wavefront6targetE0EEEvSG_.numbered_sgpr, 0
	.set _ZN7rocprim17ROCPRIM_400000_NS6detail17trampoline_kernelINS0_14default_configENS1_35radix_sort_onesweep_config_selectorImNS0_10empty_typeEEEZZNS1_29radix_sort_onesweep_iterationIS3_Lb0EPKmPmPS5_SB_mNS0_19identity_decomposerENS1_16block_id_wrapperIjLb0EEEEE10hipError_tT1_PNSt15iterator_traitsISG_E10value_typeET2_T3_PNSH_ISM_E10value_typeET4_T5_PSR_SS_PNS1_23onesweep_lookback_stateEbbT6_jjT7_P12ihipStream_tbENKUlT_T0_SG_SL_E_clISA_SA_SB_SB_EEDaSZ_S10_SG_SL_EUlSZ_E_NS1_11comp_targetILNS1_3genE5ELNS1_11target_archE942ELNS1_3gpuE9ELNS1_3repE0EEENS1_47radix_sort_onesweep_sort_config_static_selectorELNS0_4arch9wavefront6targetE0EEEvSG_.num_named_barrier, 0
	.set _ZN7rocprim17ROCPRIM_400000_NS6detail17trampoline_kernelINS0_14default_configENS1_35radix_sort_onesweep_config_selectorImNS0_10empty_typeEEEZZNS1_29radix_sort_onesweep_iterationIS3_Lb0EPKmPmPS5_SB_mNS0_19identity_decomposerENS1_16block_id_wrapperIjLb0EEEEE10hipError_tT1_PNSt15iterator_traitsISG_E10value_typeET2_T3_PNSH_ISM_E10value_typeET4_T5_PSR_SS_PNS1_23onesweep_lookback_stateEbbT6_jjT7_P12ihipStream_tbENKUlT_T0_SG_SL_E_clISA_SA_SB_SB_EEDaSZ_S10_SG_SL_EUlSZ_E_NS1_11comp_targetILNS1_3genE5ELNS1_11target_archE942ELNS1_3gpuE9ELNS1_3repE0EEENS1_47radix_sort_onesweep_sort_config_static_selectorELNS0_4arch9wavefront6targetE0EEEvSG_.private_seg_size, 0
	.set _ZN7rocprim17ROCPRIM_400000_NS6detail17trampoline_kernelINS0_14default_configENS1_35radix_sort_onesweep_config_selectorImNS0_10empty_typeEEEZZNS1_29radix_sort_onesweep_iterationIS3_Lb0EPKmPmPS5_SB_mNS0_19identity_decomposerENS1_16block_id_wrapperIjLb0EEEEE10hipError_tT1_PNSt15iterator_traitsISG_E10value_typeET2_T3_PNSH_ISM_E10value_typeET4_T5_PSR_SS_PNS1_23onesweep_lookback_stateEbbT6_jjT7_P12ihipStream_tbENKUlT_T0_SG_SL_E_clISA_SA_SB_SB_EEDaSZ_S10_SG_SL_EUlSZ_E_NS1_11comp_targetILNS1_3genE5ELNS1_11target_archE942ELNS1_3gpuE9ELNS1_3repE0EEENS1_47radix_sort_onesweep_sort_config_static_selectorELNS0_4arch9wavefront6targetE0EEEvSG_.uses_vcc, 0
	.set _ZN7rocprim17ROCPRIM_400000_NS6detail17trampoline_kernelINS0_14default_configENS1_35radix_sort_onesweep_config_selectorImNS0_10empty_typeEEEZZNS1_29radix_sort_onesweep_iterationIS3_Lb0EPKmPmPS5_SB_mNS0_19identity_decomposerENS1_16block_id_wrapperIjLb0EEEEE10hipError_tT1_PNSt15iterator_traitsISG_E10value_typeET2_T3_PNSH_ISM_E10value_typeET4_T5_PSR_SS_PNS1_23onesweep_lookback_stateEbbT6_jjT7_P12ihipStream_tbENKUlT_T0_SG_SL_E_clISA_SA_SB_SB_EEDaSZ_S10_SG_SL_EUlSZ_E_NS1_11comp_targetILNS1_3genE5ELNS1_11target_archE942ELNS1_3gpuE9ELNS1_3repE0EEENS1_47radix_sort_onesweep_sort_config_static_selectorELNS0_4arch9wavefront6targetE0EEEvSG_.uses_flat_scratch, 0
	.set _ZN7rocprim17ROCPRIM_400000_NS6detail17trampoline_kernelINS0_14default_configENS1_35radix_sort_onesweep_config_selectorImNS0_10empty_typeEEEZZNS1_29radix_sort_onesweep_iterationIS3_Lb0EPKmPmPS5_SB_mNS0_19identity_decomposerENS1_16block_id_wrapperIjLb0EEEEE10hipError_tT1_PNSt15iterator_traitsISG_E10value_typeET2_T3_PNSH_ISM_E10value_typeET4_T5_PSR_SS_PNS1_23onesweep_lookback_stateEbbT6_jjT7_P12ihipStream_tbENKUlT_T0_SG_SL_E_clISA_SA_SB_SB_EEDaSZ_S10_SG_SL_EUlSZ_E_NS1_11comp_targetILNS1_3genE5ELNS1_11target_archE942ELNS1_3gpuE9ELNS1_3repE0EEENS1_47radix_sort_onesweep_sort_config_static_selectorELNS0_4arch9wavefront6targetE0EEEvSG_.has_dyn_sized_stack, 0
	.set _ZN7rocprim17ROCPRIM_400000_NS6detail17trampoline_kernelINS0_14default_configENS1_35radix_sort_onesweep_config_selectorImNS0_10empty_typeEEEZZNS1_29radix_sort_onesweep_iterationIS3_Lb0EPKmPmPS5_SB_mNS0_19identity_decomposerENS1_16block_id_wrapperIjLb0EEEEE10hipError_tT1_PNSt15iterator_traitsISG_E10value_typeET2_T3_PNSH_ISM_E10value_typeET4_T5_PSR_SS_PNS1_23onesweep_lookback_stateEbbT6_jjT7_P12ihipStream_tbENKUlT_T0_SG_SL_E_clISA_SA_SB_SB_EEDaSZ_S10_SG_SL_EUlSZ_E_NS1_11comp_targetILNS1_3genE5ELNS1_11target_archE942ELNS1_3gpuE9ELNS1_3repE0EEENS1_47radix_sort_onesweep_sort_config_static_selectorELNS0_4arch9wavefront6targetE0EEEvSG_.has_recursion, 0
	.set _ZN7rocprim17ROCPRIM_400000_NS6detail17trampoline_kernelINS0_14default_configENS1_35radix_sort_onesweep_config_selectorImNS0_10empty_typeEEEZZNS1_29radix_sort_onesweep_iterationIS3_Lb0EPKmPmPS5_SB_mNS0_19identity_decomposerENS1_16block_id_wrapperIjLb0EEEEE10hipError_tT1_PNSt15iterator_traitsISG_E10value_typeET2_T3_PNSH_ISM_E10value_typeET4_T5_PSR_SS_PNS1_23onesweep_lookback_stateEbbT6_jjT7_P12ihipStream_tbENKUlT_T0_SG_SL_E_clISA_SA_SB_SB_EEDaSZ_S10_SG_SL_EUlSZ_E_NS1_11comp_targetILNS1_3genE5ELNS1_11target_archE942ELNS1_3gpuE9ELNS1_3repE0EEENS1_47radix_sort_onesweep_sort_config_static_selectorELNS0_4arch9wavefront6targetE0EEEvSG_.has_indirect_call, 0
	.section	.AMDGPU.csdata,"",@progbits
; Kernel info:
; codeLenInByte = 0
; TotalNumSgprs: 0
; NumVgprs: 0
; ScratchSize: 0
; MemoryBound: 0
; FloatMode: 240
; IeeeMode: 1
; LDSByteSize: 0 bytes/workgroup (compile time only)
; SGPRBlocks: 0
; VGPRBlocks: 0
; NumSGPRsForWavesPerEU: 1
; NumVGPRsForWavesPerEU: 1
; NamedBarCnt: 0
; Occupancy: 16
; WaveLimiterHint : 0
; COMPUTE_PGM_RSRC2:SCRATCH_EN: 0
; COMPUTE_PGM_RSRC2:USER_SGPR: 2
; COMPUTE_PGM_RSRC2:TRAP_HANDLER: 0
; COMPUTE_PGM_RSRC2:TGID_X_EN: 1
; COMPUTE_PGM_RSRC2:TGID_Y_EN: 0
; COMPUTE_PGM_RSRC2:TGID_Z_EN: 0
; COMPUTE_PGM_RSRC2:TIDIG_COMP_CNT: 0
	.section	.text._ZN7rocprim17ROCPRIM_400000_NS6detail17trampoline_kernelINS0_14default_configENS1_35radix_sort_onesweep_config_selectorImNS0_10empty_typeEEEZZNS1_29radix_sort_onesweep_iterationIS3_Lb0EPKmPmPS5_SB_mNS0_19identity_decomposerENS1_16block_id_wrapperIjLb0EEEEE10hipError_tT1_PNSt15iterator_traitsISG_E10value_typeET2_T3_PNSH_ISM_E10value_typeET4_T5_PSR_SS_PNS1_23onesweep_lookback_stateEbbT6_jjT7_P12ihipStream_tbENKUlT_T0_SG_SL_E_clISA_SA_SB_SB_EEDaSZ_S10_SG_SL_EUlSZ_E_NS1_11comp_targetILNS1_3genE2ELNS1_11target_archE906ELNS1_3gpuE6ELNS1_3repE0EEENS1_47radix_sort_onesweep_sort_config_static_selectorELNS0_4arch9wavefront6targetE0EEEvSG_,"axG",@progbits,_ZN7rocprim17ROCPRIM_400000_NS6detail17trampoline_kernelINS0_14default_configENS1_35radix_sort_onesweep_config_selectorImNS0_10empty_typeEEEZZNS1_29radix_sort_onesweep_iterationIS3_Lb0EPKmPmPS5_SB_mNS0_19identity_decomposerENS1_16block_id_wrapperIjLb0EEEEE10hipError_tT1_PNSt15iterator_traitsISG_E10value_typeET2_T3_PNSH_ISM_E10value_typeET4_T5_PSR_SS_PNS1_23onesweep_lookback_stateEbbT6_jjT7_P12ihipStream_tbENKUlT_T0_SG_SL_E_clISA_SA_SB_SB_EEDaSZ_S10_SG_SL_EUlSZ_E_NS1_11comp_targetILNS1_3genE2ELNS1_11target_archE906ELNS1_3gpuE6ELNS1_3repE0EEENS1_47radix_sort_onesweep_sort_config_static_selectorELNS0_4arch9wavefront6targetE0EEEvSG_,comdat
	.protected	_ZN7rocprim17ROCPRIM_400000_NS6detail17trampoline_kernelINS0_14default_configENS1_35radix_sort_onesweep_config_selectorImNS0_10empty_typeEEEZZNS1_29radix_sort_onesweep_iterationIS3_Lb0EPKmPmPS5_SB_mNS0_19identity_decomposerENS1_16block_id_wrapperIjLb0EEEEE10hipError_tT1_PNSt15iterator_traitsISG_E10value_typeET2_T3_PNSH_ISM_E10value_typeET4_T5_PSR_SS_PNS1_23onesweep_lookback_stateEbbT6_jjT7_P12ihipStream_tbENKUlT_T0_SG_SL_E_clISA_SA_SB_SB_EEDaSZ_S10_SG_SL_EUlSZ_E_NS1_11comp_targetILNS1_3genE2ELNS1_11target_archE906ELNS1_3gpuE6ELNS1_3repE0EEENS1_47radix_sort_onesweep_sort_config_static_selectorELNS0_4arch9wavefront6targetE0EEEvSG_ ; -- Begin function _ZN7rocprim17ROCPRIM_400000_NS6detail17trampoline_kernelINS0_14default_configENS1_35radix_sort_onesweep_config_selectorImNS0_10empty_typeEEEZZNS1_29radix_sort_onesweep_iterationIS3_Lb0EPKmPmPS5_SB_mNS0_19identity_decomposerENS1_16block_id_wrapperIjLb0EEEEE10hipError_tT1_PNSt15iterator_traitsISG_E10value_typeET2_T3_PNSH_ISM_E10value_typeET4_T5_PSR_SS_PNS1_23onesweep_lookback_stateEbbT6_jjT7_P12ihipStream_tbENKUlT_T0_SG_SL_E_clISA_SA_SB_SB_EEDaSZ_S10_SG_SL_EUlSZ_E_NS1_11comp_targetILNS1_3genE2ELNS1_11target_archE906ELNS1_3gpuE6ELNS1_3repE0EEENS1_47radix_sort_onesweep_sort_config_static_selectorELNS0_4arch9wavefront6targetE0EEEvSG_
	.globl	_ZN7rocprim17ROCPRIM_400000_NS6detail17trampoline_kernelINS0_14default_configENS1_35radix_sort_onesweep_config_selectorImNS0_10empty_typeEEEZZNS1_29radix_sort_onesweep_iterationIS3_Lb0EPKmPmPS5_SB_mNS0_19identity_decomposerENS1_16block_id_wrapperIjLb0EEEEE10hipError_tT1_PNSt15iterator_traitsISG_E10value_typeET2_T3_PNSH_ISM_E10value_typeET4_T5_PSR_SS_PNS1_23onesweep_lookback_stateEbbT6_jjT7_P12ihipStream_tbENKUlT_T0_SG_SL_E_clISA_SA_SB_SB_EEDaSZ_S10_SG_SL_EUlSZ_E_NS1_11comp_targetILNS1_3genE2ELNS1_11target_archE906ELNS1_3gpuE6ELNS1_3repE0EEENS1_47radix_sort_onesweep_sort_config_static_selectorELNS0_4arch9wavefront6targetE0EEEvSG_
	.p2align	8
	.type	_ZN7rocprim17ROCPRIM_400000_NS6detail17trampoline_kernelINS0_14default_configENS1_35radix_sort_onesweep_config_selectorImNS0_10empty_typeEEEZZNS1_29radix_sort_onesweep_iterationIS3_Lb0EPKmPmPS5_SB_mNS0_19identity_decomposerENS1_16block_id_wrapperIjLb0EEEEE10hipError_tT1_PNSt15iterator_traitsISG_E10value_typeET2_T3_PNSH_ISM_E10value_typeET4_T5_PSR_SS_PNS1_23onesweep_lookback_stateEbbT6_jjT7_P12ihipStream_tbENKUlT_T0_SG_SL_E_clISA_SA_SB_SB_EEDaSZ_S10_SG_SL_EUlSZ_E_NS1_11comp_targetILNS1_3genE2ELNS1_11target_archE906ELNS1_3gpuE6ELNS1_3repE0EEENS1_47radix_sort_onesweep_sort_config_static_selectorELNS0_4arch9wavefront6targetE0EEEvSG_,@function
_ZN7rocprim17ROCPRIM_400000_NS6detail17trampoline_kernelINS0_14default_configENS1_35radix_sort_onesweep_config_selectorImNS0_10empty_typeEEEZZNS1_29radix_sort_onesweep_iterationIS3_Lb0EPKmPmPS5_SB_mNS0_19identity_decomposerENS1_16block_id_wrapperIjLb0EEEEE10hipError_tT1_PNSt15iterator_traitsISG_E10value_typeET2_T3_PNSH_ISM_E10value_typeET4_T5_PSR_SS_PNS1_23onesweep_lookback_stateEbbT6_jjT7_P12ihipStream_tbENKUlT_T0_SG_SL_E_clISA_SA_SB_SB_EEDaSZ_S10_SG_SL_EUlSZ_E_NS1_11comp_targetILNS1_3genE2ELNS1_11target_archE906ELNS1_3gpuE6ELNS1_3repE0EEENS1_47radix_sort_onesweep_sort_config_static_selectorELNS0_4arch9wavefront6targetE0EEEvSG_: ; @_ZN7rocprim17ROCPRIM_400000_NS6detail17trampoline_kernelINS0_14default_configENS1_35radix_sort_onesweep_config_selectorImNS0_10empty_typeEEEZZNS1_29radix_sort_onesweep_iterationIS3_Lb0EPKmPmPS5_SB_mNS0_19identity_decomposerENS1_16block_id_wrapperIjLb0EEEEE10hipError_tT1_PNSt15iterator_traitsISG_E10value_typeET2_T3_PNSH_ISM_E10value_typeET4_T5_PSR_SS_PNS1_23onesweep_lookback_stateEbbT6_jjT7_P12ihipStream_tbENKUlT_T0_SG_SL_E_clISA_SA_SB_SB_EEDaSZ_S10_SG_SL_EUlSZ_E_NS1_11comp_targetILNS1_3genE2ELNS1_11target_archE906ELNS1_3gpuE6ELNS1_3repE0EEENS1_47radix_sort_onesweep_sort_config_static_selectorELNS0_4arch9wavefront6targetE0EEEvSG_
; %bb.0:
	.section	.rodata,"a",@progbits
	.p2align	6, 0x0
	.amdhsa_kernel _ZN7rocprim17ROCPRIM_400000_NS6detail17trampoline_kernelINS0_14default_configENS1_35radix_sort_onesweep_config_selectorImNS0_10empty_typeEEEZZNS1_29radix_sort_onesweep_iterationIS3_Lb0EPKmPmPS5_SB_mNS0_19identity_decomposerENS1_16block_id_wrapperIjLb0EEEEE10hipError_tT1_PNSt15iterator_traitsISG_E10value_typeET2_T3_PNSH_ISM_E10value_typeET4_T5_PSR_SS_PNS1_23onesweep_lookback_stateEbbT6_jjT7_P12ihipStream_tbENKUlT_T0_SG_SL_E_clISA_SA_SB_SB_EEDaSZ_S10_SG_SL_EUlSZ_E_NS1_11comp_targetILNS1_3genE2ELNS1_11target_archE906ELNS1_3gpuE6ELNS1_3repE0EEENS1_47radix_sort_onesweep_sort_config_static_selectorELNS0_4arch9wavefront6targetE0EEEvSG_
		.amdhsa_group_segment_fixed_size 0
		.amdhsa_private_segment_fixed_size 0
		.amdhsa_kernarg_size 88
		.amdhsa_user_sgpr_count 2
		.amdhsa_user_sgpr_dispatch_ptr 0
		.amdhsa_user_sgpr_queue_ptr 0
		.amdhsa_user_sgpr_kernarg_segment_ptr 1
		.amdhsa_user_sgpr_dispatch_id 0
		.amdhsa_user_sgpr_kernarg_preload_length 0
		.amdhsa_user_sgpr_kernarg_preload_offset 0
		.amdhsa_user_sgpr_private_segment_size 0
		.amdhsa_wavefront_size32 1
		.amdhsa_uses_dynamic_stack 0
		.amdhsa_enable_private_segment 0
		.amdhsa_system_sgpr_workgroup_id_x 1
		.amdhsa_system_sgpr_workgroup_id_y 0
		.amdhsa_system_sgpr_workgroup_id_z 0
		.amdhsa_system_sgpr_workgroup_info 0
		.amdhsa_system_vgpr_workitem_id 0
		.amdhsa_next_free_vgpr 1
		.amdhsa_next_free_sgpr 1
		.amdhsa_named_barrier_count 0
		.amdhsa_reserve_vcc 0
		.amdhsa_float_round_mode_32 0
		.amdhsa_float_round_mode_16_64 0
		.amdhsa_float_denorm_mode_32 3
		.amdhsa_float_denorm_mode_16_64 3
		.amdhsa_fp16_overflow 0
		.amdhsa_memory_ordered 1
		.amdhsa_forward_progress 1
		.amdhsa_inst_pref_size 0
		.amdhsa_round_robin_scheduling 0
		.amdhsa_exception_fp_ieee_invalid_op 0
		.amdhsa_exception_fp_denorm_src 0
		.amdhsa_exception_fp_ieee_div_zero 0
		.amdhsa_exception_fp_ieee_overflow 0
		.amdhsa_exception_fp_ieee_underflow 0
		.amdhsa_exception_fp_ieee_inexact 0
		.amdhsa_exception_int_div_zero 0
	.end_amdhsa_kernel
	.section	.text._ZN7rocprim17ROCPRIM_400000_NS6detail17trampoline_kernelINS0_14default_configENS1_35radix_sort_onesweep_config_selectorImNS0_10empty_typeEEEZZNS1_29radix_sort_onesweep_iterationIS3_Lb0EPKmPmPS5_SB_mNS0_19identity_decomposerENS1_16block_id_wrapperIjLb0EEEEE10hipError_tT1_PNSt15iterator_traitsISG_E10value_typeET2_T3_PNSH_ISM_E10value_typeET4_T5_PSR_SS_PNS1_23onesweep_lookback_stateEbbT6_jjT7_P12ihipStream_tbENKUlT_T0_SG_SL_E_clISA_SA_SB_SB_EEDaSZ_S10_SG_SL_EUlSZ_E_NS1_11comp_targetILNS1_3genE2ELNS1_11target_archE906ELNS1_3gpuE6ELNS1_3repE0EEENS1_47radix_sort_onesweep_sort_config_static_selectorELNS0_4arch9wavefront6targetE0EEEvSG_,"axG",@progbits,_ZN7rocprim17ROCPRIM_400000_NS6detail17trampoline_kernelINS0_14default_configENS1_35radix_sort_onesweep_config_selectorImNS0_10empty_typeEEEZZNS1_29radix_sort_onesweep_iterationIS3_Lb0EPKmPmPS5_SB_mNS0_19identity_decomposerENS1_16block_id_wrapperIjLb0EEEEE10hipError_tT1_PNSt15iterator_traitsISG_E10value_typeET2_T3_PNSH_ISM_E10value_typeET4_T5_PSR_SS_PNS1_23onesweep_lookback_stateEbbT6_jjT7_P12ihipStream_tbENKUlT_T0_SG_SL_E_clISA_SA_SB_SB_EEDaSZ_S10_SG_SL_EUlSZ_E_NS1_11comp_targetILNS1_3genE2ELNS1_11target_archE906ELNS1_3gpuE6ELNS1_3repE0EEENS1_47radix_sort_onesweep_sort_config_static_selectorELNS0_4arch9wavefront6targetE0EEEvSG_,comdat
.Lfunc_end3021:
	.size	_ZN7rocprim17ROCPRIM_400000_NS6detail17trampoline_kernelINS0_14default_configENS1_35radix_sort_onesweep_config_selectorImNS0_10empty_typeEEEZZNS1_29radix_sort_onesweep_iterationIS3_Lb0EPKmPmPS5_SB_mNS0_19identity_decomposerENS1_16block_id_wrapperIjLb0EEEEE10hipError_tT1_PNSt15iterator_traitsISG_E10value_typeET2_T3_PNSH_ISM_E10value_typeET4_T5_PSR_SS_PNS1_23onesweep_lookback_stateEbbT6_jjT7_P12ihipStream_tbENKUlT_T0_SG_SL_E_clISA_SA_SB_SB_EEDaSZ_S10_SG_SL_EUlSZ_E_NS1_11comp_targetILNS1_3genE2ELNS1_11target_archE906ELNS1_3gpuE6ELNS1_3repE0EEENS1_47radix_sort_onesweep_sort_config_static_selectorELNS0_4arch9wavefront6targetE0EEEvSG_, .Lfunc_end3021-_ZN7rocprim17ROCPRIM_400000_NS6detail17trampoline_kernelINS0_14default_configENS1_35radix_sort_onesweep_config_selectorImNS0_10empty_typeEEEZZNS1_29radix_sort_onesweep_iterationIS3_Lb0EPKmPmPS5_SB_mNS0_19identity_decomposerENS1_16block_id_wrapperIjLb0EEEEE10hipError_tT1_PNSt15iterator_traitsISG_E10value_typeET2_T3_PNSH_ISM_E10value_typeET4_T5_PSR_SS_PNS1_23onesweep_lookback_stateEbbT6_jjT7_P12ihipStream_tbENKUlT_T0_SG_SL_E_clISA_SA_SB_SB_EEDaSZ_S10_SG_SL_EUlSZ_E_NS1_11comp_targetILNS1_3genE2ELNS1_11target_archE906ELNS1_3gpuE6ELNS1_3repE0EEENS1_47radix_sort_onesweep_sort_config_static_selectorELNS0_4arch9wavefront6targetE0EEEvSG_
                                        ; -- End function
	.set _ZN7rocprim17ROCPRIM_400000_NS6detail17trampoline_kernelINS0_14default_configENS1_35radix_sort_onesweep_config_selectorImNS0_10empty_typeEEEZZNS1_29radix_sort_onesweep_iterationIS3_Lb0EPKmPmPS5_SB_mNS0_19identity_decomposerENS1_16block_id_wrapperIjLb0EEEEE10hipError_tT1_PNSt15iterator_traitsISG_E10value_typeET2_T3_PNSH_ISM_E10value_typeET4_T5_PSR_SS_PNS1_23onesweep_lookback_stateEbbT6_jjT7_P12ihipStream_tbENKUlT_T0_SG_SL_E_clISA_SA_SB_SB_EEDaSZ_S10_SG_SL_EUlSZ_E_NS1_11comp_targetILNS1_3genE2ELNS1_11target_archE906ELNS1_3gpuE6ELNS1_3repE0EEENS1_47radix_sort_onesweep_sort_config_static_selectorELNS0_4arch9wavefront6targetE0EEEvSG_.num_vgpr, 0
	.set _ZN7rocprim17ROCPRIM_400000_NS6detail17trampoline_kernelINS0_14default_configENS1_35radix_sort_onesweep_config_selectorImNS0_10empty_typeEEEZZNS1_29radix_sort_onesweep_iterationIS3_Lb0EPKmPmPS5_SB_mNS0_19identity_decomposerENS1_16block_id_wrapperIjLb0EEEEE10hipError_tT1_PNSt15iterator_traitsISG_E10value_typeET2_T3_PNSH_ISM_E10value_typeET4_T5_PSR_SS_PNS1_23onesweep_lookback_stateEbbT6_jjT7_P12ihipStream_tbENKUlT_T0_SG_SL_E_clISA_SA_SB_SB_EEDaSZ_S10_SG_SL_EUlSZ_E_NS1_11comp_targetILNS1_3genE2ELNS1_11target_archE906ELNS1_3gpuE6ELNS1_3repE0EEENS1_47radix_sort_onesweep_sort_config_static_selectorELNS0_4arch9wavefront6targetE0EEEvSG_.num_agpr, 0
	.set _ZN7rocprim17ROCPRIM_400000_NS6detail17trampoline_kernelINS0_14default_configENS1_35radix_sort_onesweep_config_selectorImNS0_10empty_typeEEEZZNS1_29radix_sort_onesweep_iterationIS3_Lb0EPKmPmPS5_SB_mNS0_19identity_decomposerENS1_16block_id_wrapperIjLb0EEEEE10hipError_tT1_PNSt15iterator_traitsISG_E10value_typeET2_T3_PNSH_ISM_E10value_typeET4_T5_PSR_SS_PNS1_23onesweep_lookback_stateEbbT6_jjT7_P12ihipStream_tbENKUlT_T0_SG_SL_E_clISA_SA_SB_SB_EEDaSZ_S10_SG_SL_EUlSZ_E_NS1_11comp_targetILNS1_3genE2ELNS1_11target_archE906ELNS1_3gpuE6ELNS1_3repE0EEENS1_47radix_sort_onesweep_sort_config_static_selectorELNS0_4arch9wavefront6targetE0EEEvSG_.numbered_sgpr, 0
	.set _ZN7rocprim17ROCPRIM_400000_NS6detail17trampoline_kernelINS0_14default_configENS1_35radix_sort_onesweep_config_selectorImNS0_10empty_typeEEEZZNS1_29radix_sort_onesweep_iterationIS3_Lb0EPKmPmPS5_SB_mNS0_19identity_decomposerENS1_16block_id_wrapperIjLb0EEEEE10hipError_tT1_PNSt15iterator_traitsISG_E10value_typeET2_T3_PNSH_ISM_E10value_typeET4_T5_PSR_SS_PNS1_23onesweep_lookback_stateEbbT6_jjT7_P12ihipStream_tbENKUlT_T0_SG_SL_E_clISA_SA_SB_SB_EEDaSZ_S10_SG_SL_EUlSZ_E_NS1_11comp_targetILNS1_3genE2ELNS1_11target_archE906ELNS1_3gpuE6ELNS1_3repE0EEENS1_47radix_sort_onesweep_sort_config_static_selectorELNS0_4arch9wavefront6targetE0EEEvSG_.num_named_barrier, 0
	.set _ZN7rocprim17ROCPRIM_400000_NS6detail17trampoline_kernelINS0_14default_configENS1_35radix_sort_onesweep_config_selectorImNS0_10empty_typeEEEZZNS1_29radix_sort_onesweep_iterationIS3_Lb0EPKmPmPS5_SB_mNS0_19identity_decomposerENS1_16block_id_wrapperIjLb0EEEEE10hipError_tT1_PNSt15iterator_traitsISG_E10value_typeET2_T3_PNSH_ISM_E10value_typeET4_T5_PSR_SS_PNS1_23onesweep_lookback_stateEbbT6_jjT7_P12ihipStream_tbENKUlT_T0_SG_SL_E_clISA_SA_SB_SB_EEDaSZ_S10_SG_SL_EUlSZ_E_NS1_11comp_targetILNS1_3genE2ELNS1_11target_archE906ELNS1_3gpuE6ELNS1_3repE0EEENS1_47radix_sort_onesweep_sort_config_static_selectorELNS0_4arch9wavefront6targetE0EEEvSG_.private_seg_size, 0
	.set _ZN7rocprim17ROCPRIM_400000_NS6detail17trampoline_kernelINS0_14default_configENS1_35radix_sort_onesweep_config_selectorImNS0_10empty_typeEEEZZNS1_29radix_sort_onesweep_iterationIS3_Lb0EPKmPmPS5_SB_mNS0_19identity_decomposerENS1_16block_id_wrapperIjLb0EEEEE10hipError_tT1_PNSt15iterator_traitsISG_E10value_typeET2_T3_PNSH_ISM_E10value_typeET4_T5_PSR_SS_PNS1_23onesweep_lookback_stateEbbT6_jjT7_P12ihipStream_tbENKUlT_T0_SG_SL_E_clISA_SA_SB_SB_EEDaSZ_S10_SG_SL_EUlSZ_E_NS1_11comp_targetILNS1_3genE2ELNS1_11target_archE906ELNS1_3gpuE6ELNS1_3repE0EEENS1_47radix_sort_onesweep_sort_config_static_selectorELNS0_4arch9wavefront6targetE0EEEvSG_.uses_vcc, 0
	.set _ZN7rocprim17ROCPRIM_400000_NS6detail17trampoline_kernelINS0_14default_configENS1_35radix_sort_onesweep_config_selectorImNS0_10empty_typeEEEZZNS1_29radix_sort_onesweep_iterationIS3_Lb0EPKmPmPS5_SB_mNS0_19identity_decomposerENS1_16block_id_wrapperIjLb0EEEEE10hipError_tT1_PNSt15iterator_traitsISG_E10value_typeET2_T3_PNSH_ISM_E10value_typeET4_T5_PSR_SS_PNS1_23onesweep_lookback_stateEbbT6_jjT7_P12ihipStream_tbENKUlT_T0_SG_SL_E_clISA_SA_SB_SB_EEDaSZ_S10_SG_SL_EUlSZ_E_NS1_11comp_targetILNS1_3genE2ELNS1_11target_archE906ELNS1_3gpuE6ELNS1_3repE0EEENS1_47radix_sort_onesweep_sort_config_static_selectorELNS0_4arch9wavefront6targetE0EEEvSG_.uses_flat_scratch, 0
	.set _ZN7rocprim17ROCPRIM_400000_NS6detail17trampoline_kernelINS0_14default_configENS1_35radix_sort_onesweep_config_selectorImNS0_10empty_typeEEEZZNS1_29radix_sort_onesweep_iterationIS3_Lb0EPKmPmPS5_SB_mNS0_19identity_decomposerENS1_16block_id_wrapperIjLb0EEEEE10hipError_tT1_PNSt15iterator_traitsISG_E10value_typeET2_T3_PNSH_ISM_E10value_typeET4_T5_PSR_SS_PNS1_23onesweep_lookback_stateEbbT6_jjT7_P12ihipStream_tbENKUlT_T0_SG_SL_E_clISA_SA_SB_SB_EEDaSZ_S10_SG_SL_EUlSZ_E_NS1_11comp_targetILNS1_3genE2ELNS1_11target_archE906ELNS1_3gpuE6ELNS1_3repE0EEENS1_47radix_sort_onesweep_sort_config_static_selectorELNS0_4arch9wavefront6targetE0EEEvSG_.has_dyn_sized_stack, 0
	.set _ZN7rocprim17ROCPRIM_400000_NS6detail17trampoline_kernelINS0_14default_configENS1_35radix_sort_onesweep_config_selectorImNS0_10empty_typeEEEZZNS1_29radix_sort_onesweep_iterationIS3_Lb0EPKmPmPS5_SB_mNS0_19identity_decomposerENS1_16block_id_wrapperIjLb0EEEEE10hipError_tT1_PNSt15iterator_traitsISG_E10value_typeET2_T3_PNSH_ISM_E10value_typeET4_T5_PSR_SS_PNS1_23onesweep_lookback_stateEbbT6_jjT7_P12ihipStream_tbENKUlT_T0_SG_SL_E_clISA_SA_SB_SB_EEDaSZ_S10_SG_SL_EUlSZ_E_NS1_11comp_targetILNS1_3genE2ELNS1_11target_archE906ELNS1_3gpuE6ELNS1_3repE0EEENS1_47radix_sort_onesweep_sort_config_static_selectorELNS0_4arch9wavefront6targetE0EEEvSG_.has_recursion, 0
	.set _ZN7rocprim17ROCPRIM_400000_NS6detail17trampoline_kernelINS0_14default_configENS1_35radix_sort_onesweep_config_selectorImNS0_10empty_typeEEEZZNS1_29radix_sort_onesweep_iterationIS3_Lb0EPKmPmPS5_SB_mNS0_19identity_decomposerENS1_16block_id_wrapperIjLb0EEEEE10hipError_tT1_PNSt15iterator_traitsISG_E10value_typeET2_T3_PNSH_ISM_E10value_typeET4_T5_PSR_SS_PNS1_23onesweep_lookback_stateEbbT6_jjT7_P12ihipStream_tbENKUlT_T0_SG_SL_E_clISA_SA_SB_SB_EEDaSZ_S10_SG_SL_EUlSZ_E_NS1_11comp_targetILNS1_3genE2ELNS1_11target_archE906ELNS1_3gpuE6ELNS1_3repE0EEENS1_47radix_sort_onesweep_sort_config_static_selectorELNS0_4arch9wavefront6targetE0EEEvSG_.has_indirect_call, 0
	.section	.AMDGPU.csdata,"",@progbits
; Kernel info:
; codeLenInByte = 0
; TotalNumSgprs: 0
; NumVgprs: 0
; ScratchSize: 0
; MemoryBound: 0
; FloatMode: 240
; IeeeMode: 1
; LDSByteSize: 0 bytes/workgroup (compile time only)
; SGPRBlocks: 0
; VGPRBlocks: 0
; NumSGPRsForWavesPerEU: 1
; NumVGPRsForWavesPerEU: 1
; NamedBarCnt: 0
; Occupancy: 16
; WaveLimiterHint : 0
; COMPUTE_PGM_RSRC2:SCRATCH_EN: 0
; COMPUTE_PGM_RSRC2:USER_SGPR: 2
; COMPUTE_PGM_RSRC2:TRAP_HANDLER: 0
; COMPUTE_PGM_RSRC2:TGID_X_EN: 1
; COMPUTE_PGM_RSRC2:TGID_Y_EN: 0
; COMPUTE_PGM_RSRC2:TGID_Z_EN: 0
; COMPUTE_PGM_RSRC2:TIDIG_COMP_CNT: 0
	.section	.text._ZN7rocprim17ROCPRIM_400000_NS6detail17trampoline_kernelINS0_14default_configENS1_35radix_sort_onesweep_config_selectorImNS0_10empty_typeEEEZZNS1_29radix_sort_onesweep_iterationIS3_Lb0EPKmPmPS5_SB_mNS0_19identity_decomposerENS1_16block_id_wrapperIjLb0EEEEE10hipError_tT1_PNSt15iterator_traitsISG_E10value_typeET2_T3_PNSH_ISM_E10value_typeET4_T5_PSR_SS_PNS1_23onesweep_lookback_stateEbbT6_jjT7_P12ihipStream_tbENKUlT_T0_SG_SL_E_clISA_SA_SB_SB_EEDaSZ_S10_SG_SL_EUlSZ_E_NS1_11comp_targetILNS1_3genE4ELNS1_11target_archE910ELNS1_3gpuE8ELNS1_3repE0EEENS1_47radix_sort_onesweep_sort_config_static_selectorELNS0_4arch9wavefront6targetE0EEEvSG_,"axG",@progbits,_ZN7rocprim17ROCPRIM_400000_NS6detail17trampoline_kernelINS0_14default_configENS1_35radix_sort_onesweep_config_selectorImNS0_10empty_typeEEEZZNS1_29radix_sort_onesweep_iterationIS3_Lb0EPKmPmPS5_SB_mNS0_19identity_decomposerENS1_16block_id_wrapperIjLb0EEEEE10hipError_tT1_PNSt15iterator_traitsISG_E10value_typeET2_T3_PNSH_ISM_E10value_typeET4_T5_PSR_SS_PNS1_23onesweep_lookback_stateEbbT6_jjT7_P12ihipStream_tbENKUlT_T0_SG_SL_E_clISA_SA_SB_SB_EEDaSZ_S10_SG_SL_EUlSZ_E_NS1_11comp_targetILNS1_3genE4ELNS1_11target_archE910ELNS1_3gpuE8ELNS1_3repE0EEENS1_47radix_sort_onesweep_sort_config_static_selectorELNS0_4arch9wavefront6targetE0EEEvSG_,comdat
	.protected	_ZN7rocprim17ROCPRIM_400000_NS6detail17trampoline_kernelINS0_14default_configENS1_35radix_sort_onesweep_config_selectorImNS0_10empty_typeEEEZZNS1_29radix_sort_onesweep_iterationIS3_Lb0EPKmPmPS5_SB_mNS0_19identity_decomposerENS1_16block_id_wrapperIjLb0EEEEE10hipError_tT1_PNSt15iterator_traitsISG_E10value_typeET2_T3_PNSH_ISM_E10value_typeET4_T5_PSR_SS_PNS1_23onesweep_lookback_stateEbbT6_jjT7_P12ihipStream_tbENKUlT_T0_SG_SL_E_clISA_SA_SB_SB_EEDaSZ_S10_SG_SL_EUlSZ_E_NS1_11comp_targetILNS1_3genE4ELNS1_11target_archE910ELNS1_3gpuE8ELNS1_3repE0EEENS1_47radix_sort_onesweep_sort_config_static_selectorELNS0_4arch9wavefront6targetE0EEEvSG_ ; -- Begin function _ZN7rocprim17ROCPRIM_400000_NS6detail17trampoline_kernelINS0_14default_configENS1_35radix_sort_onesweep_config_selectorImNS0_10empty_typeEEEZZNS1_29radix_sort_onesweep_iterationIS3_Lb0EPKmPmPS5_SB_mNS0_19identity_decomposerENS1_16block_id_wrapperIjLb0EEEEE10hipError_tT1_PNSt15iterator_traitsISG_E10value_typeET2_T3_PNSH_ISM_E10value_typeET4_T5_PSR_SS_PNS1_23onesweep_lookback_stateEbbT6_jjT7_P12ihipStream_tbENKUlT_T0_SG_SL_E_clISA_SA_SB_SB_EEDaSZ_S10_SG_SL_EUlSZ_E_NS1_11comp_targetILNS1_3genE4ELNS1_11target_archE910ELNS1_3gpuE8ELNS1_3repE0EEENS1_47radix_sort_onesweep_sort_config_static_selectorELNS0_4arch9wavefront6targetE0EEEvSG_
	.globl	_ZN7rocprim17ROCPRIM_400000_NS6detail17trampoline_kernelINS0_14default_configENS1_35radix_sort_onesweep_config_selectorImNS0_10empty_typeEEEZZNS1_29radix_sort_onesweep_iterationIS3_Lb0EPKmPmPS5_SB_mNS0_19identity_decomposerENS1_16block_id_wrapperIjLb0EEEEE10hipError_tT1_PNSt15iterator_traitsISG_E10value_typeET2_T3_PNSH_ISM_E10value_typeET4_T5_PSR_SS_PNS1_23onesweep_lookback_stateEbbT6_jjT7_P12ihipStream_tbENKUlT_T0_SG_SL_E_clISA_SA_SB_SB_EEDaSZ_S10_SG_SL_EUlSZ_E_NS1_11comp_targetILNS1_3genE4ELNS1_11target_archE910ELNS1_3gpuE8ELNS1_3repE0EEENS1_47radix_sort_onesweep_sort_config_static_selectorELNS0_4arch9wavefront6targetE0EEEvSG_
	.p2align	8
	.type	_ZN7rocprim17ROCPRIM_400000_NS6detail17trampoline_kernelINS0_14default_configENS1_35radix_sort_onesweep_config_selectorImNS0_10empty_typeEEEZZNS1_29radix_sort_onesweep_iterationIS3_Lb0EPKmPmPS5_SB_mNS0_19identity_decomposerENS1_16block_id_wrapperIjLb0EEEEE10hipError_tT1_PNSt15iterator_traitsISG_E10value_typeET2_T3_PNSH_ISM_E10value_typeET4_T5_PSR_SS_PNS1_23onesweep_lookback_stateEbbT6_jjT7_P12ihipStream_tbENKUlT_T0_SG_SL_E_clISA_SA_SB_SB_EEDaSZ_S10_SG_SL_EUlSZ_E_NS1_11comp_targetILNS1_3genE4ELNS1_11target_archE910ELNS1_3gpuE8ELNS1_3repE0EEENS1_47radix_sort_onesweep_sort_config_static_selectorELNS0_4arch9wavefront6targetE0EEEvSG_,@function
_ZN7rocprim17ROCPRIM_400000_NS6detail17trampoline_kernelINS0_14default_configENS1_35radix_sort_onesweep_config_selectorImNS0_10empty_typeEEEZZNS1_29radix_sort_onesweep_iterationIS3_Lb0EPKmPmPS5_SB_mNS0_19identity_decomposerENS1_16block_id_wrapperIjLb0EEEEE10hipError_tT1_PNSt15iterator_traitsISG_E10value_typeET2_T3_PNSH_ISM_E10value_typeET4_T5_PSR_SS_PNS1_23onesweep_lookback_stateEbbT6_jjT7_P12ihipStream_tbENKUlT_T0_SG_SL_E_clISA_SA_SB_SB_EEDaSZ_S10_SG_SL_EUlSZ_E_NS1_11comp_targetILNS1_3genE4ELNS1_11target_archE910ELNS1_3gpuE8ELNS1_3repE0EEENS1_47radix_sort_onesweep_sort_config_static_selectorELNS0_4arch9wavefront6targetE0EEEvSG_: ; @_ZN7rocprim17ROCPRIM_400000_NS6detail17trampoline_kernelINS0_14default_configENS1_35radix_sort_onesweep_config_selectorImNS0_10empty_typeEEEZZNS1_29radix_sort_onesweep_iterationIS3_Lb0EPKmPmPS5_SB_mNS0_19identity_decomposerENS1_16block_id_wrapperIjLb0EEEEE10hipError_tT1_PNSt15iterator_traitsISG_E10value_typeET2_T3_PNSH_ISM_E10value_typeET4_T5_PSR_SS_PNS1_23onesweep_lookback_stateEbbT6_jjT7_P12ihipStream_tbENKUlT_T0_SG_SL_E_clISA_SA_SB_SB_EEDaSZ_S10_SG_SL_EUlSZ_E_NS1_11comp_targetILNS1_3genE4ELNS1_11target_archE910ELNS1_3gpuE8ELNS1_3repE0EEENS1_47radix_sort_onesweep_sort_config_static_selectorELNS0_4arch9wavefront6targetE0EEEvSG_
; %bb.0:
	.section	.rodata,"a",@progbits
	.p2align	6, 0x0
	.amdhsa_kernel _ZN7rocprim17ROCPRIM_400000_NS6detail17trampoline_kernelINS0_14default_configENS1_35radix_sort_onesweep_config_selectorImNS0_10empty_typeEEEZZNS1_29radix_sort_onesweep_iterationIS3_Lb0EPKmPmPS5_SB_mNS0_19identity_decomposerENS1_16block_id_wrapperIjLb0EEEEE10hipError_tT1_PNSt15iterator_traitsISG_E10value_typeET2_T3_PNSH_ISM_E10value_typeET4_T5_PSR_SS_PNS1_23onesweep_lookback_stateEbbT6_jjT7_P12ihipStream_tbENKUlT_T0_SG_SL_E_clISA_SA_SB_SB_EEDaSZ_S10_SG_SL_EUlSZ_E_NS1_11comp_targetILNS1_3genE4ELNS1_11target_archE910ELNS1_3gpuE8ELNS1_3repE0EEENS1_47radix_sort_onesweep_sort_config_static_selectorELNS0_4arch9wavefront6targetE0EEEvSG_
		.amdhsa_group_segment_fixed_size 0
		.amdhsa_private_segment_fixed_size 0
		.amdhsa_kernarg_size 88
		.amdhsa_user_sgpr_count 2
		.amdhsa_user_sgpr_dispatch_ptr 0
		.amdhsa_user_sgpr_queue_ptr 0
		.amdhsa_user_sgpr_kernarg_segment_ptr 1
		.amdhsa_user_sgpr_dispatch_id 0
		.amdhsa_user_sgpr_kernarg_preload_length 0
		.amdhsa_user_sgpr_kernarg_preload_offset 0
		.amdhsa_user_sgpr_private_segment_size 0
		.amdhsa_wavefront_size32 1
		.amdhsa_uses_dynamic_stack 0
		.amdhsa_enable_private_segment 0
		.amdhsa_system_sgpr_workgroup_id_x 1
		.amdhsa_system_sgpr_workgroup_id_y 0
		.amdhsa_system_sgpr_workgroup_id_z 0
		.amdhsa_system_sgpr_workgroup_info 0
		.amdhsa_system_vgpr_workitem_id 0
		.amdhsa_next_free_vgpr 1
		.amdhsa_next_free_sgpr 1
		.amdhsa_named_barrier_count 0
		.amdhsa_reserve_vcc 0
		.amdhsa_float_round_mode_32 0
		.amdhsa_float_round_mode_16_64 0
		.amdhsa_float_denorm_mode_32 3
		.amdhsa_float_denorm_mode_16_64 3
		.amdhsa_fp16_overflow 0
		.amdhsa_memory_ordered 1
		.amdhsa_forward_progress 1
		.amdhsa_inst_pref_size 0
		.amdhsa_round_robin_scheduling 0
		.amdhsa_exception_fp_ieee_invalid_op 0
		.amdhsa_exception_fp_denorm_src 0
		.amdhsa_exception_fp_ieee_div_zero 0
		.amdhsa_exception_fp_ieee_overflow 0
		.amdhsa_exception_fp_ieee_underflow 0
		.amdhsa_exception_fp_ieee_inexact 0
		.amdhsa_exception_int_div_zero 0
	.end_amdhsa_kernel
	.section	.text._ZN7rocprim17ROCPRIM_400000_NS6detail17trampoline_kernelINS0_14default_configENS1_35radix_sort_onesweep_config_selectorImNS0_10empty_typeEEEZZNS1_29radix_sort_onesweep_iterationIS3_Lb0EPKmPmPS5_SB_mNS0_19identity_decomposerENS1_16block_id_wrapperIjLb0EEEEE10hipError_tT1_PNSt15iterator_traitsISG_E10value_typeET2_T3_PNSH_ISM_E10value_typeET4_T5_PSR_SS_PNS1_23onesweep_lookback_stateEbbT6_jjT7_P12ihipStream_tbENKUlT_T0_SG_SL_E_clISA_SA_SB_SB_EEDaSZ_S10_SG_SL_EUlSZ_E_NS1_11comp_targetILNS1_3genE4ELNS1_11target_archE910ELNS1_3gpuE8ELNS1_3repE0EEENS1_47radix_sort_onesweep_sort_config_static_selectorELNS0_4arch9wavefront6targetE0EEEvSG_,"axG",@progbits,_ZN7rocprim17ROCPRIM_400000_NS6detail17trampoline_kernelINS0_14default_configENS1_35radix_sort_onesweep_config_selectorImNS0_10empty_typeEEEZZNS1_29radix_sort_onesweep_iterationIS3_Lb0EPKmPmPS5_SB_mNS0_19identity_decomposerENS1_16block_id_wrapperIjLb0EEEEE10hipError_tT1_PNSt15iterator_traitsISG_E10value_typeET2_T3_PNSH_ISM_E10value_typeET4_T5_PSR_SS_PNS1_23onesweep_lookback_stateEbbT6_jjT7_P12ihipStream_tbENKUlT_T0_SG_SL_E_clISA_SA_SB_SB_EEDaSZ_S10_SG_SL_EUlSZ_E_NS1_11comp_targetILNS1_3genE4ELNS1_11target_archE910ELNS1_3gpuE8ELNS1_3repE0EEENS1_47radix_sort_onesweep_sort_config_static_selectorELNS0_4arch9wavefront6targetE0EEEvSG_,comdat
.Lfunc_end3022:
	.size	_ZN7rocprim17ROCPRIM_400000_NS6detail17trampoline_kernelINS0_14default_configENS1_35radix_sort_onesweep_config_selectorImNS0_10empty_typeEEEZZNS1_29radix_sort_onesweep_iterationIS3_Lb0EPKmPmPS5_SB_mNS0_19identity_decomposerENS1_16block_id_wrapperIjLb0EEEEE10hipError_tT1_PNSt15iterator_traitsISG_E10value_typeET2_T3_PNSH_ISM_E10value_typeET4_T5_PSR_SS_PNS1_23onesweep_lookback_stateEbbT6_jjT7_P12ihipStream_tbENKUlT_T0_SG_SL_E_clISA_SA_SB_SB_EEDaSZ_S10_SG_SL_EUlSZ_E_NS1_11comp_targetILNS1_3genE4ELNS1_11target_archE910ELNS1_3gpuE8ELNS1_3repE0EEENS1_47radix_sort_onesweep_sort_config_static_selectorELNS0_4arch9wavefront6targetE0EEEvSG_, .Lfunc_end3022-_ZN7rocprim17ROCPRIM_400000_NS6detail17trampoline_kernelINS0_14default_configENS1_35radix_sort_onesweep_config_selectorImNS0_10empty_typeEEEZZNS1_29radix_sort_onesweep_iterationIS3_Lb0EPKmPmPS5_SB_mNS0_19identity_decomposerENS1_16block_id_wrapperIjLb0EEEEE10hipError_tT1_PNSt15iterator_traitsISG_E10value_typeET2_T3_PNSH_ISM_E10value_typeET4_T5_PSR_SS_PNS1_23onesweep_lookback_stateEbbT6_jjT7_P12ihipStream_tbENKUlT_T0_SG_SL_E_clISA_SA_SB_SB_EEDaSZ_S10_SG_SL_EUlSZ_E_NS1_11comp_targetILNS1_3genE4ELNS1_11target_archE910ELNS1_3gpuE8ELNS1_3repE0EEENS1_47radix_sort_onesweep_sort_config_static_selectorELNS0_4arch9wavefront6targetE0EEEvSG_
                                        ; -- End function
	.set _ZN7rocprim17ROCPRIM_400000_NS6detail17trampoline_kernelINS0_14default_configENS1_35radix_sort_onesweep_config_selectorImNS0_10empty_typeEEEZZNS1_29radix_sort_onesweep_iterationIS3_Lb0EPKmPmPS5_SB_mNS0_19identity_decomposerENS1_16block_id_wrapperIjLb0EEEEE10hipError_tT1_PNSt15iterator_traitsISG_E10value_typeET2_T3_PNSH_ISM_E10value_typeET4_T5_PSR_SS_PNS1_23onesweep_lookback_stateEbbT6_jjT7_P12ihipStream_tbENKUlT_T0_SG_SL_E_clISA_SA_SB_SB_EEDaSZ_S10_SG_SL_EUlSZ_E_NS1_11comp_targetILNS1_3genE4ELNS1_11target_archE910ELNS1_3gpuE8ELNS1_3repE0EEENS1_47radix_sort_onesweep_sort_config_static_selectorELNS0_4arch9wavefront6targetE0EEEvSG_.num_vgpr, 0
	.set _ZN7rocprim17ROCPRIM_400000_NS6detail17trampoline_kernelINS0_14default_configENS1_35radix_sort_onesweep_config_selectorImNS0_10empty_typeEEEZZNS1_29radix_sort_onesweep_iterationIS3_Lb0EPKmPmPS5_SB_mNS0_19identity_decomposerENS1_16block_id_wrapperIjLb0EEEEE10hipError_tT1_PNSt15iterator_traitsISG_E10value_typeET2_T3_PNSH_ISM_E10value_typeET4_T5_PSR_SS_PNS1_23onesweep_lookback_stateEbbT6_jjT7_P12ihipStream_tbENKUlT_T0_SG_SL_E_clISA_SA_SB_SB_EEDaSZ_S10_SG_SL_EUlSZ_E_NS1_11comp_targetILNS1_3genE4ELNS1_11target_archE910ELNS1_3gpuE8ELNS1_3repE0EEENS1_47radix_sort_onesweep_sort_config_static_selectorELNS0_4arch9wavefront6targetE0EEEvSG_.num_agpr, 0
	.set _ZN7rocprim17ROCPRIM_400000_NS6detail17trampoline_kernelINS0_14default_configENS1_35radix_sort_onesweep_config_selectorImNS0_10empty_typeEEEZZNS1_29radix_sort_onesweep_iterationIS3_Lb0EPKmPmPS5_SB_mNS0_19identity_decomposerENS1_16block_id_wrapperIjLb0EEEEE10hipError_tT1_PNSt15iterator_traitsISG_E10value_typeET2_T3_PNSH_ISM_E10value_typeET4_T5_PSR_SS_PNS1_23onesweep_lookback_stateEbbT6_jjT7_P12ihipStream_tbENKUlT_T0_SG_SL_E_clISA_SA_SB_SB_EEDaSZ_S10_SG_SL_EUlSZ_E_NS1_11comp_targetILNS1_3genE4ELNS1_11target_archE910ELNS1_3gpuE8ELNS1_3repE0EEENS1_47radix_sort_onesweep_sort_config_static_selectorELNS0_4arch9wavefront6targetE0EEEvSG_.numbered_sgpr, 0
	.set _ZN7rocprim17ROCPRIM_400000_NS6detail17trampoline_kernelINS0_14default_configENS1_35radix_sort_onesweep_config_selectorImNS0_10empty_typeEEEZZNS1_29radix_sort_onesweep_iterationIS3_Lb0EPKmPmPS5_SB_mNS0_19identity_decomposerENS1_16block_id_wrapperIjLb0EEEEE10hipError_tT1_PNSt15iterator_traitsISG_E10value_typeET2_T3_PNSH_ISM_E10value_typeET4_T5_PSR_SS_PNS1_23onesweep_lookback_stateEbbT6_jjT7_P12ihipStream_tbENKUlT_T0_SG_SL_E_clISA_SA_SB_SB_EEDaSZ_S10_SG_SL_EUlSZ_E_NS1_11comp_targetILNS1_3genE4ELNS1_11target_archE910ELNS1_3gpuE8ELNS1_3repE0EEENS1_47radix_sort_onesweep_sort_config_static_selectorELNS0_4arch9wavefront6targetE0EEEvSG_.num_named_barrier, 0
	.set _ZN7rocprim17ROCPRIM_400000_NS6detail17trampoline_kernelINS0_14default_configENS1_35radix_sort_onesweep_config_selectorImNS0_10empty_typeEEEZZNS1_29radix_sort_onesweep_iterationIS3_Lb0EPKmPmPS5_SB_mNS0_19identity_decomposerENS1_16block_id_wrapperIjLb0EEEEE10hipError_tT1_PNSt15iterator_traitsISG_E10value_typeET2_T3_PNSH_ISM_E10value_typeET4_T5_PSR_SS_PNS1_23onesweep_lookback_stateEbbT6_jjT7_P12ihipStream_tbENKUlT_T0_SG_SL_E_clISA_SA_SB_SB_EEDaSZ_S10_SG_SL_EUlSZ_E_NS1_11comp_targetILNS1_3genE4ELNS1_11target_archE910ELNS1_3gpuE8ELNS1_3repE0EEENS1_47radix_sort_onesweep_sort_config_static_selectorELNS0_4arch9wavefront6targetE0EEEvSG_.private_seg_size, 0
	.set _ZN7rocprim17ROCPRIM_400000_NS6detail17trampoline_kernelINS0_14default_configENS1_35radix_sort_onesweep_config_selectorImNS0_10empty_typeEEEZZNS1_29radix_sort_onesweep_iterationIS3_Lb0EPKmPmPS5_SB_mNS0_19identity_decomposerENS1_16block_id_wrapperIjLb0EEEEE10hipError_tT1_PNSt15iterator_traitsISG_E10value_typeET2_T3_PNSH_ISM_E10value_typeET4_T5_PSR_SS_PNS1_23onesweep_lookback_stateEbbT6_jjT7_P12ihipStream_tbENKUlT_T0_SG_SL_E_clISA_SA_SB_SB_EEDaSZ_S10_SG_SL_EUlSZ_E_NS1_11comp_targetILNS1_3genE4ELNS1_11target_archE910ELNS1_3gpuE8ELNS1_3repE0EEENS1_47radix_sort_onesweep_sort_config_static_selectorELNS0_4arch9wavefront6targetE0EEEvSG_.uses_vcc, 0
	.set _ZN7rocprim17ROCPRIM_400000_NS6detail17trampoline_kernelINS0_14default_configENS1_35radix_sort_onesweep_config_selectorImNS0_10empty_typeEEEZZNS1_29radix_sort_onesweep_iterationIS3_Lb0EPKmPmPS5_SB_mNS0_19identity_decomposerENS1_16block_id_wrapperIjLb0EEEEE10hipError_tT1_PNSt15iterator_traitsISG_E10value_typeET2_T3_PNSH_ISM_E10value_typeET4_T5_PSR_SS_PNS1_23onesweep_lookback_stateEbbT6_jjT7_P12ihipStream_tbENKUlT_T0_SG_SL_E_clISA_SA_SB_SB_EEDaSZ_S10_SG_SL_EUlSZ_E_NS1_11comp_targetILNS1_3genE4ELNS1_11target_archE910ELNS1_3gpuE8ELNS1_3repE0EEENS1_47radix_sort_onesweep_sort_config_static_selectorELNS0_4arch9wavefront6targetE0EEEvSG_.uses_flat_scratch, 0
	.set _ZN7rocprim17ROCPRIM_400000_NS6detail17trampoline_kernelINS0_14default_configENS1_35radix_sort_onesweep_config_selectorImNS0_10empty_typeEEEZZNS1_29radix_sort_onesweep_iterationIS3_Lb0EPKmPmPS5_SB_mNS0_19identity_decomposerENS1_16block_id_wrapperIjLb0EEEEE10hipError_tT1_PNSt15iterator_traitsISG_E10value_typeET2_T3_PNSH_ISM_E10value_typeET4_T5_PSR_SS_PNS1_23onesweep_lookback_stateEbbT6_jjT7_P12ihipStream_tbENKUlT_T0_SG_SL_E_clISA_SA_SB_SB_EEDaSZ_S10_SG_SL_EUlSZ_E_NS1_11comp_targetILNS1_3genE4ELNS1_11target_archE910ELNS1_3gpuE8ELNS1_3repE0EEENS1_47radix_sort_onesweep_sort_config_static_selectorELNS0_4arch9wavefront6targetE0EEEvSG_.has_dyn_sized_stack, 0
	.set _ZN7rocprim17ROCPRIM_400000_NS6detail17trampoline_kernelINS0_14default_configENS1_35radix_sort_onesweep_config_selectorImNS0_10empty_typeEEEZZNS1_29radix_sort_onesweep_iterationIS3_Lb0EPKmPmPS5_SB_mNS0_19identity_decomposerENS1_16block_id_wrapperIjLb0EEEEE10hipError_tT1_PNSt15iterator_traitsISG_E10value_typeET2_T3_PNSH_ISM_E10value_typeET4_T5_PSR_SS_PNS1_23onesweep_lookback_stateEbbT6_jjT7_P12ihipStream_tbENKUlT_T0_SG_SL_E_clISA_SA_SB_SB_EEDaSZ_S10_SG_SL_EUlSZ_E_NS1_11comp_targetILNS1_3genE4ELNS1_11target_archE910ELNS1_3gpuE8ELNS1_3repE0EEENS1_47radix_sort_onesweep_sort_config_static_selectorELNS0_4arch9wavefront6targetE0EEEvSG_.has_recursion, 0
	.set _ZN7rocprim17ROCPRIM_400000_NS6detail17trampoline_kernelINS0_14default_configENS1_35radix_sort_onesweep_config_selectorImNS0_10empty_typeEEEZZNS1_29radix_sort_onesweep_iterationIS3_Lb0EPKmPmPS5_SB_mNS0_19identity_decomposerENS1_16block_id_wrapperIjLb0EEEEE10hipError_tT1_PNSt15iterator_traitsISG_E10value_typeET2_T3_PNSH_ISM_E10value_typeET4_T5_PSR_SS_PNS1_23onesweep_lookback_stateEbbT6_jjT7_P12ihipStream_tbENKUlT_T0_SG_SL_E_clISA_SA_SB_SB_EEDaSZ_S10_SG_SL_EUlSZ_E_NS1_11comp_targetILNS1_3genE4ELNS1_11target_archE910ELNS1_3gpuE8ELNS1_3repE0EEENS1_47radix_sort_onesweep_sort_config_static_selectorELNS0_4arch9wavefront6targetE0EEEvSG_.has_indirect_call, 0
	.section	.AMDGPU.csdata,"",@progbits
; Kernel info:
; codeLenInByte = 0
; TotalNumSgprs: 0
; NumVgprs: 0
; ScratchSize: 0
; MemoryBound: 0
; FloatMode: 240
; IeeeMode: 1
; LDSByteSize: 0 bytes/workgroup (compile time only)
; SGPRBlocks: 0
; VGPRBlocks: 0
; NumSGPRsForWavesPerEU: 1
; NumVGPRsForWavesPerEU: 1
; NamedBarCnt: 0
; Occupancy: 16
; WaveLimiterHint : 0
; COMPUTE_PGM_RSRC2:SCRATCH_EN: 0
; COMPUTE_PGM_RSRC2:USER_SGPR: 2
; COMPUTE_PGM_RSRC2:TRAP_HANDLER: 0
; COMPUTE_PGM_RSRC2:TGID_X_EN: 1
; COMPUTE_PGM_RSRC2:TGID_Y_EN: 0
; COMPUTE_PGM_RSRC2:TGID_Z_EN: 0
; COMPUTE_PGM_RSRC2:TIDIG_COMP_CNT: 0
	.section	.text._ZN7rocprim17ROCPRIM_400000_NS6detail17trampoline_kernelINS0_14default_configENS1_35radix_sort_onesweep_config_selectorImNS0_10empty_typeEEEZZNS1_29radix_sort_onesweep_iterationIS3_Lb0EPKmPmPS5_SB_mNS0_19identity_decomposerENS1_16block_id_wrapperIjLb0EEEEE10hipError_tT1_PNSt15iterator_traitsISG_E10value_typeET2_T3_PNSH_ISM_E10value_typeET4_T5_PSR_SS_PNS1_23onesweep_lookback_stateEbbT6_jjT7_P12ihipStream_tbENKUlT_T0_SG_SL_E_clISA_SA_SB_SB_EEDaSZ_S10_SG_SL_EUlSZ_E_NS1_11comp_targetILNS1_3genE3ELNS1_11target_archE908ELNS1_3gpuE7ELNS1_3repE0EEENS1_47radix_sort_onesweep_sort_config_static_selectorELNS0_4arch9wavefront6targetE0EEEvSG_,"axG",@progbits,_ZN7rocprim17ROCPRIM_400000_NS6detail17trampoline_kernelINS0_14default_configENS1_35radix_sort_onesweep_config_selectorImNS0_10empty_typeEEEZZNS1_29radix_sort_onesweep_iterationIS3_Lb0EPKmPmPS5_SB_mNS0_19identity_decomposerENS1_16block_id_wrapperIjLb0EEEEE10hipError_tT1_PNSt15iterator_traitsISG_E10value_typeET2_T3_PNSH_ISM_E10value_typeET4_T5_PSR_SS_PNS1_23onesweep_lookback_stateEbbT6_jjT7_P12ihipStream_tbENKUlT_T0_SG_SL_E_clISA_SA_SB_SB_EEDaSZ_S10_SG_SL_EUlSZ_E_NS1_11comp_targetILNS1_3genE3ELNS1_11target_archE908ELNS1_3gpuE7ELNS1_3repE0EEENS1_47radix_sort_onesweep_sort_config_static_selectorELNS0_4arch9wavefront6targetE0EEEvSG_,comdat
	.protected	_ZN7rocprim17ROCPRIM_400000_NS6detail17trampoline_kernelINS0_14default_configENS1_35radix_sort_onesweep_config_selectorImNS0_10empty_typeEEEZZNS1_29radix_sort_onesweep_iterationIS3_Lb0EPKmPmPS5_SB_mNS0_19identity_decomposerENS1_16block_id_wrapperIjLb0EEEEE10hipError_tT1_PNSt15iterator_traitsISG_E10value_typeET2_T3_PNSH_ISM_E10value_typeET4_T5_PSR_SS_PNS1_23onesweep_lookback_stateEbbT6_jjT7_P12ihipStream_tbENKUlT_T0_SG_SL_E_clISA_SA_SB_SB_EEDaSZ_S10_SG_SL_EUlSZ_E_NS1_11comp_targetILNS1_3genE3ELNS1_11target_archE908ELNS1_3gpuE7ELNS1_3repE0EEENS1_47radix_sort_onesweep_sort_config_static_selectorELNS0_4arch9wavefront6targetE0EEEvSG_ ; -- Begin function _ZN7rocprim17ROCPRIM_400000_NS6detail17trampoline_kernelINS0_14default_configENS1_35radix_sort_onesweep_config_selectorImNS0_10empty_typeEEEZZNS1_29radix_sort_onesweep_iterationIS3_Lb0EPKmPmPS5_SB_mNS0_19identity_decomposerENS1_16block_id_wrapperIjLb0EEEEE10hipError_tT1_PNSt15iterator_traitsISG_E10value_typeET2_T3_PNSH_ISM_E10value_typeET4_T5_PSR_SS_PNS1_23onesweep_lookback_stateEbbT6_jjT7_P12ihipStream_tbENKUlT_T0_SG_SL_E_clISA_SA_SB_SB_EEDaSZ_S10_SG_SL_EUlSZ_E_NS1_11comp_targetILNS1_3genE3ELNS1_11target_archE908ELNS1_3gpuE7ELNS1_3repE0EEENS1_47radix_sort_onesweep_sort_config_static_selectorELNS0_4arch9wavefront6targetE0EEEvSG_
	.globl	_ZN7rocprim17ROCPRIM_400000_NS6detail17trampoline_kernelINS0_14default_configENS1_35radix_sort_onesweep_config_selectorImNS0_10empty_typeEEEZZNS1_29radix_sort_onesweep_iterationIS3_Lb0EPKmPmPS5_SB_mNS0_19identity_decomposerENS1_16block_id_wrapperIjLb0EEEEE10hipError_tT1_PNSt15iterator_traitsISG_E10value_typeET2_T3_PNSH_ISM_E10value_typeET4_T5_PSR_SS_PNS1_23onesweep_lookback_stateEbbT6_jjT7_P12ihipStream_tbENKUlT_T0_SG_SL_E_clISA_SA_SB_SB_EEDaSZ_S10_SG_SL_EUlSZ_E_NS1_11comp_targetILNS1_3genE3ELNS1_11target_archE908ELNS1_3gpuE7ELNS1_3repE0EEENS1_47radix_sort_onesweep_sort_config_static_selectorELNS0_4arch9wavefront6targetE0EEEvSG_
	.p2align	8
	.type	_ZN7rocprim17ROCPRIM_400000_NS6detail17trampoline_kernelINS0_14default_configENS1_35radix_sort_onesweep_config_selectorImNS0_10empty_typeEEEZZNS1_29radix_sort_onesweep_iterationIS3_Lb0EPKmPmPS5_SB_mNS0_19identity_decomposerENS1_16block_id_wrapperIjLb0EEEEE10hipError_tT1_PNSt15iterator_traitsISG_E10value_typeET2_T3_PNSH_ISM_E10value_typeET4_T5_PSR_SS_PNS1_23onesweep_lookback_stateEbbT6_jjT7_P12ihipStream_tbENKUlT_T0_SG_SL_E_clISA_SA_SB_SB_EEDaSZ_S10_SG_SL_EUlSZ_E_NS1_11comp_targetILNS1_3genE3ELNS1_11target_archE908ELNS1_3gpuE7ELNS1_3repE0EEENS1_47radix_sort_onesweep_sort_config_static_selectorELNS0_4arch9wavefront6targetE0EEEvSG_,@function
_ZN7rocprim17ROCPRIM_400000_NS6detail17trampoline_kernelINS0_14default_configENS1_35radix_sort_onesweep_config_selectorImNS0_10empty_typeEEEZZNS1_29radix_sort_onesweep_iterationIS3_Lb0EPKmPmPS5_SB_mNS0_19identity_decomposerENS1_16block_id_wrapperIjLb0EEEEE10hipError_tT1_PNSt15iterator_traitsISG_E10value_typeET2_T3_PNSH_ISM_E10value_typeET4_T5_PSR_SS_PNS1_23onesweep_lookback_stateEbbT6_jjT7_P12ihipStream_tbENKUlT_T0_SG_SL_E_clISA_SA_SB_SB_EEDaSZ_S10_SG_SL_EUlSZ_E_NS1_11comp_targetILNS1_3genE3ELNS1_11target_archE908ELNS1_3gpuE7ELNS1_3repE0EEENS1_47radix_sort_onesweep_sort_config_static_selectorELNS0_4arch9wavefront6targetE0EEEvSG_: ; @_ZN7rocprim17ROCPRIM_400000_NS6detail17trampoline_kernelINS0_14default_configENS1_35radix_sort_onesweep_config_selectorImNS0_10empty_typeEEEZZNS1_29radix_sort_onesweep_iterationIS3_Lb0EPKmPmPS5_SB_mNS0_19identity_decomposerENS1_16block_id_wrapperIjLb0EEEEE10hipError_tT1_PNSt15iterator_traitsISG_E10value_typeET2_T3_PNSH_ISM_E10value_typeET4_T5_PSR_SS_PNS1_23onesweep_lookback_stateEbbT6_jjT7_P12ihipStream_tbENKUlT_T0_SG_SL_E_clISA_SA_SB_SB_EEDaSZ_S10_SG_SL_EUlSZ_E_NS1_11comp_targetILNS1_3genE3ELNS1_11target_archE908ELNS1_3gpuE7ELNS1_3repE0EEENS1_47radix_sort_onesweep_sort_config_static_selectorELNS0_4arch9wavefront6targetE0EEEvSG_
; %bb.0:
	.section	.rodata,"a",@progbits
	.p2align	6, 0x0
	.amdhsa_kernel _ZN7rocprim17ROCPRIM_400000_NS6detail17trampoline_kernelINS0_14default_configENS1_35radix_sort_onesweep_config_selectorImNS0_10empty_typeEEEZZNS1_29radix_sort_onesweep_iterationIS3_Lb0EPKmPmPS5_SB_mNS0_19identity_decomposerENS1_16block_id_wrapperIjLb0EEEEE10hipError_tT1_PNSt15iterator_traitsISG_E10value_typeET2_T3_PNSH_ISM_E10value_typeET4_T5_PSR_SS_PNS1_23onesweep_lookback_stateEbbT6_jjT7_P12ihipStream_tbENKUlT_T0_SG_SL_E_clISA_SA_SB_SB_EEDaSZ_S10_SG_SL_EUlSZ_E_NS1_11comp_targetILNS1_3genE3ELNS1_11target_archE908ELNS1_3gpuE7ELNS1_3repE0EEENS1_47radix_sort_onesweep_sort_config_static_selectorELNS0_4arch9wavefront6targetE0EEEvSG_
		.amdhsa_group_segment_fixed_size 0
		.amdhsa_private_segment_fixed_size 0
		.amdhsa_kernarg_size 88
		.amdhsa_user_sgpr_count 2
		.amdhsa_user_sgpr_dispatch_ptr 0
		.amdhsa_user_sgpr_queue_ptr 0
		.amdhsa_user_sgpr_kernarg_segment_ptr 1
		.amdhsa_user_sgpr_dispatch_id 0
		.amdhsa_user_sgpr_kernarg_preload_length 0
		.amdhsa_user_sgpr_kernarg_preload_offset 0
		.amdhsa_user_sgpr_private_segment_size 0
		.amdhsa_wavefront_size32 1
		.amdhsa_uses_dynamic_stack 0
		.amdhsa_enable_private_segment 0
		.amdhsa_system_sgpr_workgroup_id_x 1
		.amdhsa_system_sgpr_workgroup_id_y 0
		.amdhsa_system_sgpr_workgroup_id_z 0
		.amdhsa_system_sgpr_workgroup_info 0
		.amdhsa_system_vgpr_workitem_id 0
		.amdhsa_next_free_vgpr 1
		.amdhsa_next_free_sgpr 1
		.amdhsa_named_barrier_count 0
		.amdhsa_reserve_vcc 0
		.amdhsa_float_round_mode_32 0
		.amdhsa_float_round_mode_16_64 0
		.amdhsa_float_denorm_mode_32 3
		.amdhsa_float_denorm_mode_16_64 3
		.amdhsa_fp16_overflow 0
		.amdhsa_memory_ordered 1
		.amdhsa_forward_progress 1
		.amdhsa_inst_pref_size 0
		.amdhsa_round_robin_scheduling 0
		.amdhsa_exception_fp_ieee_invalid_op 0
		.amdhsa_exception_fp_denorm_src 0
		.amdhsa_exception_fp_ieee_div_zero 0
		.amdhsa_exception_fp_ieee_overflow 0
		.amdhsa_exception_fp_ieee_underflow 0
		.amdhsa_exception_fp_ieee_inexact 0
		.amdhsa_exception_int_div_zero 0
	.end_amdhsa_kernel
	.section	.text._ZN7rocprim17ROCPRIM_400000_NS6detail17trampoline_kernelINS0_14default_configENS1_35radix_sort_onesweep_config_selectorImNS0_10empty_typeEEEZZNS1_29radix_sort_onesweep_iterationIS3_Lb0EPKmPmPS5_SB_mNS0_19identity_decomposerENS1_16block_id_wrapperIjLb0EEEEE10hipError_tT1_PNSt15iterator_traitsISG_E10value_typeET2_T3_PNSH_ISM_E10value_typeET4_T5_PSR_SS_PNS1_23onesweep_lookback_stateEbbT6_jjT7_P12ihipStream_tbENKUlT_T0_SG_SL_E_clISA_SA_SB_SB_EEDaSZ_S10_SG_SL_EUlSZ_E_NS1_11comp_targetILNS1_3genE3ELNS1_11target_archE908ELNS1_3gpuE7ELNS1_3repE0EEENS1_47radix_sort_onesweep_sort_config_static_selectorELNS0_4arch9wavefront6targetE0EEEvSG_,"axG",@progbits,_ZN7rocprim17ROCPRIM_400000_NS6detail17trampoline_kernelINS0_14default_configENS1_35radix_sort_onesweep_config_selectorImNS0_10empty_typeEEEZZNS1_29radix_sort_onesweep_iterationIS3_Lb0EPKmPmPS5_SB_mNS0_19identity_decomposerENS1_16block_id_wrapperIjLb0EEEEE10hipError_tT1_PNSt15iterator_traitsISG_E10value_typeET2_T3_PNSH_ISM_E10value_typeET4_T5_PSR_SS_PNS1_23onesweep_lookback_stateEbbT6_jjT7_P12ihipStream_tbENKUlT_T0_SG_SL_E_clISA_SA_SB_SB_EEDaSZ_S10_SG_SL_EUlSZ_E_NS1_11comp_targetILNS1_3genE3ELNS1_11target_archE908ELNS1_3gpuE7ELNS1_3repE0EEENS1_47radix_sort_onesweep_sort_config_static_selectorELNS0_4arch9wavefront6targetE0EEEvSG_,comdat
.Lfunc_end3023:
	.size	_ZN7rocprim17ROCPRIM_400000_NS6detail17trampoline_kernelINS0_14default_configENS1_35radix_sort_onesweep_config_selectorImNS0_10empty_typeEEEZZNS1_29radix_sort_onesweep_iterationIS3_Lb0EPKmPmPS5_SB_mNS0_19identity_decomposerENS1_16block_id_wrapperIjLb0EEEEE10hipError_tT1_PNSt15iterator_traitsISG_E10value_typeET2_T3_PNSH_ISM_E10value_typeET4_T5_PSR_SS_PNS1_23onesweep_lookback_stateEbbT6_jjT7_P12ihipStream_tbENKUlT_T0_SG_SL_E_clISA_SA_SB_SB_EEDaSZ_S10_SG_SL_EUlSZ_E_NS1_11comp_targetILNS1_3genE3ELNS1_11target_archE908ELNS1_3gpuE7ELNS1_3repE0EEENS1_47radix_sort_onesweep_sort_config_static_selectorELNS0_4arch9wavefront6targetE0EEEvSG_, .Lfunc_end3023-_ZN7rocprim17ROCPRIM_400000_NS6detail17trampoline_kernelINS0_14default_configENS1_35radix_sort_onesweep_config_selectorImNS0_10empty_typeEEEZZNS1_29radix_sort_onesweep_iterationIS3_Lb0EPKmPmPS5_SB_mNS0_19identity_decomposerENS1_16block_id_wrapperIjLb0EEEEE10hipError_tT1_PNSt15iterator_traitsISG_E10value_typeET2_T3_PNSH_ISM_E10value_typeET4_T5_PSR_SS_PNS1_23onesweep_lookback_stateEbbT6_jjT7_P12ihipStream_tbENKUlT_T0_SG_SL_E_clISA_SA_SB_SB_EEDaSZ_S10_SG_SL_EUlSZ_E_NS1_11comp_targetILNS1_3genE3ELNS1_11target_archE908ELNS1_3gpuE7ELNS1_3repE0EEENS1_47radix_sort_onesweep_sort_config_static_selectorELNS0_4arch9wavefront6targetE0EEEvSG_
                                        ; -- End function
	.set _ZN7rocprim17ROCPRIM_400000_NS6detail17trampoline_kernelINS0_14default_configENS1_35radix_sort_onesweep_config_selectorImNS0_10empty_typeEEEZZNS1_29radix_sort_onesweep_iterationIS3_Lb0EPKmPmPS5_SB_mNS0_19identity_decomposerENS1_16block_id_wrapperIjLb0EEEEE10hipError_tT1_PNSt15iterator_traitsISG_E10value_typeET2_T3_PNSH_ISM_E10value_typeET4_T5_PSR_SS_PNS1_23onesweep_lookback_stateEbbT6_jjT7_P12ihipStream_tbENKUlT_T0_SG_SL_E_clISA_SA_SB_SB_EEDaSZ_S10_SG_SL_EUlSZ_E_NS1_11comp_targetILNS1_3genE3ELNS1_11target_archE908ELNS1_3gpuE7ELNS1_3repE0EEENS1_47radix_sort_onesweep_sort_config_static_selectorELNS0_4arch9wavefront6targetE0EEEvSG_.num_vgpr, 0
	.set _ZN7rocprim17ROCPRIM_400000_NS6detail17trampoline_kernelINS0_14default_configENS1_35radix_sort_onesweep_config_selectorImNS0_10empty_typeEEEZZNS1_29radix_sort_onesweep_iterationIS3_Lb0EPKmPmPS5_SB_mNS0_19identity_decomposerENS1_16block_id_wrapperIjLb0EEEEE10hipError_tT1_PNSt15iterator_traitsISG_E10value_typeET2_T3_PNSH_ISM_E10value_typeET4_T5_PSR_SS_PNS1_23onesweep_lookback_stateEbbT6_jjT7_P12ihipStream_tbENKUlT_T0_SG_SL_E_clISA_SA_SB_SB_EEDaSZ_S10_SG_SL_EUlSZ_E_NS1_11comp_targetILNS1_3genE3ELNS1_11target_archE908ELNS1_3gpuE7ELNS1_3repE0EEENS1_47radix_sort_onesweep_sort_config_static_selectorELNS0_4arch9wavefront6targetE0EEEvSG_.num_agpr, 0
	.set _ZN7rocprim17ROCPRIM_400000_NS6detail17trampoline_kernelINS0_14default_configENS1_35radix_sort_onesweep_config_selectorImNS0_10empty_typeEEEZZNS1_29radix_sort_onesweep_iterationIS3_Lb0EPKmPmPS5_SB_mNS0_19identity_decomposerENS1_16block_id_wrapperIjLb0EEEEE10hipError_tT1_PNSt15iterator_traitsISG_E10value_typeET2_T3_PNSH_ISM_E10value_typeET4_T5_PSR_SS_PNS1_23onesweep_lookback_stateEbbT6_jjT7_P12ihipStream_tbENKUlT_T0_SG_SL_E_clISA_SA_SB_SB_EEDaSZ_S10_SG_SL_EUlSZ_E_NS1_11comp_targetILNS1_3genE3ELNS1_11target_archE908ELNS1_3gpuE7ELNS1_3repE0EEENS1_47radix_sort_onesweep_sort_config_static_selectorELNS0_4arch9wavefront6targetE0EEEvSG_.numbered_sgpr, 0
	.set _ZN7rocprim17ROCPRIM_400000_NS6detail17trampoline_kernelINS0_14default_configENS1_35radix_sort_onesweep_config_selectorImNS0_10empty_typeEEEZZNS1_29radix_sort_onesweep_iterationIS3_Lb0EPKmPmPS5_SB_mNS0_19identity_decomposerENS1_16block_id_wrapperIjLb0EEEEE10hipError_tT1_PNSt15iterator_traitsISG_E10value_typeET2_T3_PNSH_ISM_E10value_typeET4_T5_PSR_SS_PNS1_23onesweep_lookback_stateEbbT6_jjT7_P12ihipStream_tbENKUlT_T0_SG_SL_E_clISA_SA_SB_SB_EEDaSZ_S10_SG_SL_EUlSZ_E_NS1_11comp_targetILNS1_3genE3ELNS1_11target_archE908ELNS1_3gpuE7ELNS1_3repE0EEENS1_47radix_sort_onesweep_sort_config_static_selectorELNS0_4arch9wavefront6targetE0EEEvSG_.num_named_barrier, 0
	.set _ZN7rocprim17ROCPRIM_400000_NS6detail17trampoline_kernelINS0_14default_configENS1_35radix_sort_onesweep_config_selectorImNS0_10empty_typeEEEZZNS1_29radix_sort_onesweep_iterationIS3_Lb0EPKmPmPS5_SB_mNS0_19identity_decomposerENS1_16block_id_wrapperIjLb0EEEEE10hipError_tT1_PNSt15iterator_traitsISG_E10value_typeET2_T3_PNSH_ISM_E10value_typeET4_T5_PSR_SS_PNS1_23onesweep_lookback_stateEbbT6_jjT7_P12ihipStream_tbENKUlT_T0_SG_SL_E_clISA_SA_SB_SB_EEDaSZ_S10_SG_SL_EUlSZ_E_NS1_11comp_targetILNS1_3genE3ELNS1_11target_archE908ELNS1_3gpuE7ELNS1_3repE0EEENS1_47radix_sort_onesweep_sort_config_static_selectorELNS0_4arch9wavefront6targetE0EEEvSG_.private_seg_size, 0
	.set _ZN7rocprim17ROCPRIM_400000_NS6detail17trampoline_kernelINS0_14default_configENS1_35radix_sort_onesweep_config_selectorImNS0_10empty_typeEEEZZNS1_29radix_sort_onesweep_iterationIS3_Lb0EPKmPmPS5_SB_mNS0_19identity_decomposerENS1_16block_id_wrapperIjLb0EEEEE10hipError_tT1_PNSt15iterator_traitsISG_E10value_typeET2_T3_PNSH_ISM_E10value_typeET4_T5_PSR_SS_PNS1_23onesweep_lookback_stateEbbT6_jjT7_P12ihipStream_tbENKUlT_T0_SG_SL_E_clISA_SA_SB_SB_EEDaSZ_S10_SG_SL_EUlSZ_E_NS1_11comp_targetILNS1_3genE3ELNS1_11target_archE908ELNS1_3gpuE7ELNS1_3repE0EEENS1_47radix_sort_onesweep_sort_config_static_selectorELNS0_4arch9wavefront6targetE0EEEvSG_.uses_vcc, 0
	.set _ZN7rocprim17ROCPRIM_400000_NS6detail17trampoline_kernelINS0_14default_configENS1_35radix_sort_onesweep_config_selectorImNS0_10empty_typeEEEZZNS1_29radix_sort_onesweep_iterationIS3_Lb0EPKmPmPS5_SB_mNS0_19identity_decomposerENS1_16block_id_wrapperIjLb0EEEEE10hipError_tT1_PNSt15iterator_traitsISG_E10value_typeET2_T3_PNSH_ISM_E10value_typeET4_T5_PSR_SS_PNS1_23onesweep_lookback_stateEbbT6_jjT7_P12ihipStream_tbENKUlT_T0_SG_SL_E_clISA_SA_SB_SB_EEDaSZ_S10_SG_SL_EUlSZ_E_NS1_11comp_targetILNS1_3genE3ELNS1_11target_archE908ELNS1_3gpuE7ELNS1_3repE0EEENS1_47radix_sort_onesweep_sort_config_static_selectorELNS0_4arch9wavefront6targetE0EEEvSG_.uses_flat_scratch, 0
	.set _ZN7rocprim17ROCPRIM_400000_NS6detail17trampoline_kernelINS0_14default_configENS1_35radix_sort_onesweep_config_selectorImNS0_10empty_typeEEEZZNS1_29radix_sort_onesweep_iterationIS3_Lb0EPKmPmPS5_SB_mNS0_19identity_decomposerENS1_16block_id_wrapperIjLb0EEEEE10hipError_tT1_PNSt15iterator_traitsISG_E10value_typeET2_T3_PNSH_ISM_E10value_typeET4_T5_PSR_SS_PNS1_23onesweep_lookback_stateEbbT6_jjT7_P12ihipStream_tbENKUlT_T0_SG_SL_E_clISA_SA_SB_SB_EEDaSZ_S10_SG_SL_EUlSZ_E_NS1_11comp_targetILNS1_3genE3ELNS1_11target_archE908ELNS1_3gpuE7ELNS1_3repE0EEENS1_47radix_sort_onesweep_sort_config_static_selectorELNS0_4arch9wavefront6targetE0EEEvSG_.has_dyn_sized_stack, 0
	.set _ZN7rocprim17ROCPRIM_400000_NS6detail17trampoline_kernelINS0_14default_configENS1_35radix_sort_onesweep_config_selectorImNS0_10empty_typeEEEZZNS1_29radix_sort_onesweep_iterationIS3_Lb0EPKmPmPS5_SB_mNS0_19identity_decomposerENS1_16block_id_wrapperIjLb0EEEEE10hipError_tT1_PNSt15iterator_traitsISG_E10value_typeET2_T3_PNSH_ISM_E10value_typeET4_T5_PSR_SS_PNS1_23onesweep_lookback_stateEbbT6_jjT7_P12ihipStream_tbENKUlT_T0_SG_SL_E_clISA_SA_SB_SB_EEDaSZ_S10_SG_SL_EUlSZ_E_NS1_11comp_targetILNS1_3genE3ELNS1_11target_archE908ELNS1_3gpuE7ELNS1_3repE0EEENS1_47radix_sort_onesweep_sort_config_static_selectorELNS0_4arch9wavefront6targetE0EEEvSG_.has_recursion, 0
	.set _ZN7rocprim17ROCPRIM_400000_NS6detail17trampoline_kernelINS0_14default_configENS1_35radix_sort_onesweep_config_selectorImNS0_10empty_typeEEEZZNS1_29radix_sort_onesweep_iterationIS3_Lb0EPKmPmPS5_SB_mNS0_19identity_decomposerENS1_16block_id_wrapperIjLb0EEEEE10hipError_tT1_PNSt15iterator_traitsISG_E10value_typeET2_T3_PNSH_ISM_E10value_typeET4_T5_PSR_SS_PNS1_23onesweep_lookback_stateEbbT6_jjT7_P12ihipStream_tbENKUlT_T0_SG_SL_E_clISA_SA_SB_SB_EEDaSZ_S10_SG_SL_EUlSZ_E_NS1_11comp_targetILNS1_3genE3ELNS1_11target_archE908ELNS1_3gpuE7ELNS1_3repE0EEENS1_47radix_sort_onesweep_sort_config_static_selectorELNS0_4arch9wavefront6targetE0EEEvSG_.has_indirect_call, 0
	.section	.AMDGPU.csdata,"",@progbits
; Kernel info:
; codeLenInByte = 0
; TotalNumSgprs: 0
; NumVgprs: 0
; ScratchSize: 0
; MemoryBound: 0
; FloatMode: 240
; IeeeMode: 1
; LDSByteSize: 0 bytes/workgroup (compile time only)
; SGPRBlocks: 0
; VGPRBlocks: 0
; NumSGPRsForWavesPerEU: 1
; NumVGPRsForWavesPerEU: 1
; NamedBarCnt: 0
; Occupancy: 16
; WaveLimiterHint : 0
; COMPUTE_PGM_RSRC2:SCRATCH_EN: 0
; COMPUTE_PGM_RSRC2:USER_SGPR: 2
; COMPUTE_PGM_RSRC2:TRAP_HANDLER: 0
; COMPUTE_PGM_RSRC2:TGID_X_EN: 1
; COMPUTE_PGM_RSRC2:TGID_Y_EN: 0
; COMPUTE_PGM_RSRC2:TGID_Z_EN: 0
; COMPUTE_PGM_RSRC2:TIDIG_COMP_CNT: 0
	.section	.text._ZN7rocprim17ROCPRIM_400000_NS6detail17trampoline_kernelINS0_14default_configENS1_35radix_sort_onesweep_config_selectorImNS0_10empty_typeEEEZZNS1_29radix_sort_onesweep_iterationIS3_Lb0EPKmPmPS5_SB_mNS0_19identity_decomposerENS1_16block_id_wrapperIjLb0EEEEE10hipError_tT1_PNSt15iterator_traitsISG_E10value_typeET2_T3_PNSH_ISM_E10value_typeET4_T5_PSR_SS_PNS1_23onesweep_lookback_stateEbbT6_jjT7_P12ihipStream_tbENKUlT_T0_SG_SL_E_clISA_SA_SB_SB_EEDaSZ_S10_SG_SL_EUlSZ_E_NS1_11comp_targetILNS1_3genE10ELNS1_11target_archE1201ELNS1_3gpuE5ELNS1_3repE0EEENS1_47radix_sort_onesweep_sort_config_static_selectorELNS0_4arch9wavefront6targetE0EEEvSG_,"axG",@progbits,_ZN7rocprim17ROCPRIM_400000_NS6detail17trampoline_kernelINS0_14default_configENS1_35radix_sort_onesweep_config_selectorImNS0_10empty_typeEEEZZNS1_29radix_sort_onesweep_iterationIS3_Lb0EPKmPmPS5_SB_mNS0_19identity_decomposerENS1_16block_id_wrapperIjLb0EEEEE10hipError_tT1_PNSt15iterator_traitsISG_E10value_typeET2_T3_PNSH_ISM_E10value_typeET4_T5_PSR_SS_PNS1_23onesweep_lookback_stateEbbT6_jjT7_P12ihipStream_tbENKUlT_T0_SG_SL_E_clISA_SA_SB_SB_EEDaSZ_S10_SG_SL_EUlSZ_E_NS1_11comp_targetILNS1_3genE10ELNS1_11target_archE1201ELNS1_3gpuE5ELNS1_3repE0EEENS1_47radix_sort_onesweep_sort_config_static_selectorELNS0_4arch9wavefront6targetE0EEEvSG_,comdat
	.protected	_ZN7rocprim17ROCPRIM_400000_NS6detail17trampoline_kernelINS0_14default_configENS1_35radix_sort_onesweep_config_selectorImNS0_10empty_typeEEEZZNS1_29radix_sort_onesweep_iterationIS3_Lb0EPKmPmPS5_SB_mNS0_19identity_decomposerENS1_16block_id_wrapperIjLb0EEEEE10hipError_tT1_PNSt15iterator_traitsISG_E10value_typeET2_T3_PNSH_ISM_E10value_typeET4_T5_PSR_SS_PNS1_23onesweep_lookback_stateEbbT6_jjT7_P12ihipStream_tbENKUlT_T0_SG_SL_E_clISA_SA_SB_SB_EEDaSZ_S10_SG_SL_EUlSZ_E_NS1_11comp_targetILNS1_3genE10ELNS1_11target_archE1201ELNS1_3gpuE5ELNS1_3repE0EEENS1_47radix_sort_onesweep_sort_config_static_selectorELNS0_4arch9wavefront6targetE0EEEvSG_ ; -- Begin function _ZN7rocprim17ROCPRIM_400000_NS6detail17trampoline_kernelINS0_14default_configENS1_35radix_sort_onesweep_config_selectorImNS0_10empty_typeEEEZZNS1_29radix_sort_onesweep_iterationIS3_Lb0EPKmPmPS5_SB_mNS0_19identity_decomposerENS1_16block_id_wrapperIjLb0EEEEE10hipError_tT1_PNSt15iterator_traitsISG_E10value_typeET2_T3_PNSH_ISM_E10value_typeET4_T5_PSR_SS_PNS1_23onesweep_lookback_stateEbbT6_jjT7_P12ihipStream_tbENKUlT_T0_SG_SL_E_clISA_SA_SB_SB_EEDaSZ_S10_SG_SL_EUlSZ_E_NS1_11comp_targetILNS1_3genE10ELNS1_11target_archE1201ELNS1_3gpuE5ELNS1_3repE0EEENS1_47radix_sort_onesweep_sort_config_static_selectorELNS0_4arch9wavefront6targetE0EEEvSG_
	.globl	_ZN7rocprim17ROCPRIM_400000_NS6detail17trampoline_kernelINS0_14default_configENS1_35radix_sort_onesweep_config_selectorImNS0_10empty_typeEEEZZNS1_29radix_sort_onesweep_iterationIS3_Lb0EPKmPmPS5_SB_mNS0_19identity_decomposerENS1_16block_id_wrapperIjLb0EEEEE10hipError_tT1_PNSt15iterator_traitsISG_E10value_typeET2_T3_PNSH_ISM_E10value_typeET4_T5_PSR_SS_PNS1_23onesweep_lookback_stateEbbT6_jjT7_P12ihipStream_tbENKUlT_T0_SG_SL_E_clISA_SA_SB_SB_EEDaSZ_S10_SG_SL_EUlSZ_E_NS1_11comp_targetILNS1_3genE10ELNS1_11target_archE1201ELNS1_3gpuE5ELNS1_3repE0EEENS1_47radix_sort_onesweep_sort_config_static_selectorELNS0_4arch9wavefront6targetE0EEEvSG_
	.p2align	8
	.type	_ZN7rocprim17ROCPRIM_400000_NS6detail17trampoline_kernelINS0_14default_configENS1_35radix_sort_onesweep_config_selectorImNS0_10empty_typeEEEZZNS1_29radix_sort_onesweep_iterationIS3_Lb0EPKmPmPS5_SB_mNS0_19identity_decomposerENS1_16block_id_wrapperIjLb0EEEEE10hipError_tT1_PNSt15iterator_traitsISG_E10value_typeET2_T3_PNSH_ISM_E10value_typeET4_T5_PSR_SS_PNS1_23onesweep_lookback_stateEbbT6_jjT7_P12ihipStream_tbENKUlT_T0_SG_SL_E_clISA_SA_SB_SB_EEDaSZ_S10_SG_SL_EUlSZ_E_NS1_11comp_targetILNS1_3genE10ELNS1_11target_archE1201ELNS1_3gpuE5ELNS1_3repE0EEENS1_47radix_sort_onesweep_sort_config_static_selectorELNS0_4arch9wavefront6targetE0EEEvSG_,@function
_ZN7rocprim17ROCPRIM_400000_NS6detail17trampoline_kernelINS0_14default_configENS1_35radix_sort_onesweep_config_selectorImNS0_10empty_typeEEEZZNS1_29radix_sort_onesweep_iterationIS3_Lb0EPKmPmPS5_SB_mNS0_19identity_decomposerENS1_16block_id_wrapperIjLb0EEEEE10hipError_tT1_PNSt15iterator_traitsISG_E10value_typeET2_T3_PNSH_ISM_E10value_typeET4_T5_PSR_SS_PNS1_23onesweep_lookback_stateEbbT6_jjT7_P12ihipStream_tbENKUlT_T0_SG_SL_E_clISA_SA_SB_SB_EEDaSZ_S10_SG_SL_EUlSZ_E_NS1_11comp_targetILNS1_3genE10ELNS1_11target_archE1201ELNS1_3gpuE5ELNS1_3repE0EEENS1_47radix_sort_onesweep_sort_config_static_selectorELNS0_4arch9wavefront6targetE0EEEvSG_: ; @_ZN7rocprim17ROCPRIM_400000_NS6detail17trampoline_kernelINS0_14default_configENS1_35radix_sort_onesweep_config_selectorImNS0_10empty_typeEEEZZNS1_29radix_sort_onesweep_iterationIS3_Lb0EPKmPmPS5_SB_mNS0_19identity_decomposerENS1_16block_id_wrapperIjLb0EEEEE10hipError_tT1_PNSt15iterator_traitsISG_E10value_typeET2_T3_PNSH_ISM_E10value_typeET4_T5_PSR_SS_PNS1_23onesweep_lookback_stateEbbT6_jjT7_P12ihipStream_tbENKUlT_T0_SG_SL_E_clISA_SA_SB_SB_EEDaSZ_S10_SG_SL_EUlSZ_E_NS1_11comp_targetILNS1_3genE10ELNS1_11target_archE1201ELNS1_3gpuE5ELNS1_3repE0EEENS1_47radix_sort_onesweep_sort_config_static_selectorELNS0_4arch9wavefront6targetE0EEEvSG_
; %bb.0:
	.section	.rodata,"a",@progbits
	.p2align	6, 0x0
	.amdhsa_kernel _ZN7rocprim17ROCPRIM_400000_NS6detail17trampoline_kernelINS0_14default_configENS1_35radix_sort_onesweep_config_selectorImNS0_10empty_typeEEEZZNS1_29radix_sort_onesweep_iterationIS3_Lb0EPKmPmPS5_SB_mNS0_19identity_decomposerENS1_16block_id_wrapperIjLb0EEEEE10hipError_tT1_PNSt15iterator_traitsISG_E10value_typeET2_T3_PNSH_ISM_E10value_typeET4_T5_PSR_SS_PNS1_23onesweep_lookback_stateEbbT6_jjT7_P12ihipStream_tbENKUlT_T0_SG_SL_E_clISA_SA_SB_SB_EEDaSZ_S10_SG_SL_EUlSZ_E_NS1_11comp_targetILNS1_3genE10ELNS1_11target_archE1201ELNS1_3gpuE5ELNS1_3repE0EEENS1_47radix_sort_onesweep_sort_config_static_selectorELNS0_4arch9wavefront6targetE0EEEvSG_
		.amdhsa_group_segment_fixed_size 0
		.amdhsa_private_segment_fixed_size 0
		.amdhsa_kernarg_size 88
		.amdhsa_user_sgpr_count 2
		.amdhsa_user_sgpr_dispatch_ptr 0
		.amdhsa_user_sgpr_queue_ptr 0
		.amdhsa_user_sgpr_kernarg_segment_ptr 1
		.amdhsa_user_sgpr_dispatch_id 0
		.amdhsa_user_sgpr_kernarg_preload_length 0
		.amdhsa_user_sgpr_kernarg_preload_offset 0
		.amdhsa_user_sgpr_private_segment_size 0
		.amdhsa_wavefront_size32 1
		.amdhsa_uses_dynamic_stack 0
		.amdhsa_enable_private_segment 0
		.amdhsa_system_sgpr_workgroup_id_x 1
		.amdhsa_system_sgpr_workgroup_id_y 0
		.amdhsa_system_sgpr_workgroup_id_z 0
		.amdhsa_system_sgpr_workgroup_info 0
		.amdhsa_system_vgpr_workitem_id 0
		.amdhsa_next_free_vgpr 1
		.amdhsa_next_free_sgpr 1
		.amdhsa_named_barrier_count 0
		.amdhsa_reserve_vcc 0
		.amdhsa_float_round_mode_32 0
		.amdhsa_float_round_mode_16_64 0
		.amdhsa_float_denorm_mode_32 3
		.amdhsa_float_denorm_mode_16_64 3
		.amdhsa_fp16_overflow 0
		.amdhsa_memory_ordered 1
		.amdhsa_forward_progress 1
		.amdhsa_inst_pref_size 0
		.amdhsa_round_robin_scheduling 0
		.amdhsa_exception_fp_ieee_invalid_op 0
		.amdhsa_exception_fp_denorm_src 0
		.amdhsa_exception_fp_ieee_div_zero 0
		.amdhsa_exception_fp_ieee_overflow 0
		.amdhsa_exception_fp_ieee_underflow 0
		.amdhsa_exception_fp_ieee_inexact 0
		.amdhsa_exception_int_div_zero 0
	.end_amdhsa_kernel
	.section	.text._ZN7rocprim17ROCPRIM_400000_NS6detail17trampoline_kernelINS0_14default_configENS1_35radix_sort_onesweep_config_selectorImNS0_10empty_typeEEEZZNS1_29radix_sort_onesweep_iterationIS3_Lb0EPKmPmPS5_SB_mNS0_19identity_decomposerENS1_16block_id_wrapperIjLb0EEEEE10hipError_tT1_PNSt15iterator_traitsISG_E10value_typeET2_T3_PNSH_ISM_E10value_typeET4_T5_PSR_SS_PNS1_23onesweep_lookback_stateEbbT6_jjT7_P12ihipStream_tbENKUlT_T0_SG_SL_E_clISA_SA_SB_SB_EEDaSZ_S10_SG_SL_EUlSZ_E_NS1_11comp_targetILNS1_3genE10ELNS1_11target_archE1201ELNS1_3gpuE5ELNS1_3repE0EEENS1_47radix_sort_onesweep_sort_config_static_selectorELNS0_4arch9wavefront6targetE0EEEvSG_,"axG",@progbits,_ZN7rocprim17ROCPRIM_400000_NS6detail17trampoline_kernelINS0_14default_configENS1_35radix_sort_onesweep_config_selectorImNS0_10empty_typeEEEZZNS1_29radix_sort_onesweep_iterationIS3_Lb0EPKmPmPS5_SB_mNS0_19identity_decomposerENS1_16block_id_wrapperIjLb0EEEEE10hipError_tT1_PNSt15iterator_traitsISG_E10value_typeET2_T3_PNSH_ISM_E10value_typeET4_T5_PSR_SS_PNS1_23onesweep_lookback_stateEbbT6_jjT7_P12ihipStream_tbENKUlT_T0_SG_SL_E_clISA_SA_SB_SB_EEDaSZ_S10_SG_SL_EUlSZ_E_NS1_11comp_targetILNS1_3genE10ELNS1_11target_archE1201ELNS1_3gpuE5ELNS1_3repE0EEENS1_47radix_sort_onesweep_sort_config_static_selectorELNS0_4arch9wavefront6targetE0EEEvSG_,comdat
.Lfunc_end3024:
	.size	_ZN7rocprim17ROCPRIM_400000_NS6detail17trampoline_kernelINS0_14default_configENS1_35radix_sort_onesweep_config_selectorImNS0_10empty_typeEEEZZNS1_29radix_sort_onesweep_iterationIS3_Lb0EPKmPmPS5_SB_mNS0_19identity_decomposerENS1_16block_id_wrapperIjLb0EEEEE10hipError_tT1_PNSt15iterator_traitsISG_E10value_typeET2_T3_PNSH_ISM_E10value_typeET4_T5_PSR_SS_PNS1_23onesweep_lookback_stateEbbT6_jjT7_P12ihipStream_tbENKUlT_T0_SG_SL_E_clISA_SA_SB_SB_EEDaSZ_S10_SG_SL_EUlSZ_E_NS1_11comp_targetILNS1_3genE10ELNS1_11target_archE1201ELNS1_3gpuE5ELNS1_3repE0EEENS1_47radix_sort_onesweep_sort_config_static_selectorELNS0_4arch9wavefront6targetE0EEEvSG_, .Lfunc_end3024-_ZN7rocprim17ROCPRIM_400000_NS6detail17trampoline_kernelINS0_14default_configENS1_35radix_sort_onesweep_config_selectorImNS0_10empty_typeEEEZZNS1_29radix_sort_onesweep_iterationIS3_Lb0EPKmPmPS5_SB_mNS0_19identity_decomposerENS1_16block_id_wrapperIjLb0EEEEE10hipError_tT1_PNSt15iterator_traitsISG_E10value_typeET2_T3_PNSH_ISM_E10value_typeET4_T5_PSR_SS_PNS1_23onesweep_lookback_stateEbbT6_jjT7_P12ihipStream_tbENKUlT_T0_SG_SL_E_clISA_SA_SB_SB_EEDaSZ_S10_SG_SL_EUlSZ_E_NS1_11comp_targetILNS1_3genE10ELNS1_11target_archE1201ELNS1_3gpuE5ELNS1_3repE0EEENS1_47radix_sort_onesweep_sort_config_static_selectorELNS0_4arch9wavefront6targetE0EEEvSG_
                                        ; -- End function
	.set _ZN7rocprim17ROCPRIM_400000_NS6detail17trampoline_kernelINS0_14default_configENS1_35radix_sort_onesweep_config_selectorImNS0_10empty_typeEEEZZNS1_29radix_sort_onesweep_iterationIS3_Lb0EPKmPmPS5_SB_mNS0_19identity_decomposerENS1_16block_id_wrapperIjLb0EEEEE10hipError_tT1_PNSt15iterator_traitsISG_E10value_typeET2_T3_PNSH_ISM_E10value_typeET4_T5_PSR_SS_PNS1_23onesweep_lookback_stateEbbT6_jjT7_P12ihipStream_tbENKUlT_T0_SG_SL_E_clISA_SA_SB_SB_EEDaSZ_S10_SG_SL_EUlSZ_E_NS1_11comp_targetILNS1_3genE10ELNS1_11target_archE1201ELNS1_3gpuE5ELNS1_3repE0EEENS1_47radix_sort_onesweep_sort_config_static_selectorELNS0_4arch9wavefront6targetE0EEEvSG_.num_vgpr, 0
	.set _ZN7rocprim17ROCPRIM_400000_NS6detail17trampoline_kernelINS0_14default_configENS1_35radix_sort_onesweep_config_selectorImNS0_10empty_typeEEEZZNS1_29radix_sort_onesweep_iterationIS3_Lb0EPKmPmPS5_SB_mNS0_19identity_decomposerENS1_16block_id_wrapperIjLb0EEEEE10hipError_tT1_PNSt15iterator_traitsISG_E10value_typeET2_T3_PNSH_ISM_E10value_typeET4_T5_PSR_SS_PNS1_23onesweep_lookback_stateEbbT6_jjT7_P12ihipStream_tbENKUlT_T0_SG_SL_E_clISA_SA_SB_SB_EEDaSZ_S10_SG_SL_EUlSZ_E_NS1_11comp_targetILNS1_3genE10ELNS1_11target_archE1201ELNS1_3gpuE5ELNS1_3repE0EEENS1_47radix_sort_onesweep_sort_config_static_selectorELNS0_4arch9wavefront6targetE0EEEvSG_.num_agpr, 0
	.set _ZN7rocprim17ROCPRIM_400000_NS6detail17trampoline_kernelINS0_14default_configENS1_35radix_sort_onesweep_config_selectorImNS0_10empty_typeEEEZZNS1_29radix_sort_onesweep_iterationIS3_Lb0EPKmPmPS5_SB_mNS0_19identity_decomposerENS1_16block_id_wrapperIjLb0EEEEE10hipError_tT1_PNSt15iterator_traitsISG_E10value_typeET2_T3_PNSH_ISM_E10value_typeET4_T5_PSR_SS_PNS1_23onesweep_lookback_stateEbbT6_jjT7_P12ihipStream_tbENKUlT_T0_SG_SL_E_clISA_SA_SB_SB_EEDaSZ_S10_SG_SL_EUlSZ_E_NS1_11comp_targetILNS1_3genE10ELNS1_11target_archE1201ELNS1_3gpuE5ELNS1_3repE0EEENS1_47radix_sort_onesweep_sort_config_static_selectorELNS0_4arch9wavefront6targetE0EEEvSG_.numbered_sgpr, 0
	.set _ZN7rocprim17ROCPRIM_400000_NS6detail17trampoline_kernelINS0_14default_configENS1_35radix_sort_onesweep_config_selectorImNS0_10empty_typeEEEZZNS1_29radix_sort_onesweep_iterationIS3_Lb0EPKmPmPS5_SB_mNS0_19identity_decomposerENS1_16block_id_wrapperIjLb0EEEEE10hipError_tT1_PNSt15iterator_traitsISG_E10value_typeET2_T3_PNSH_ISM_E10value_typeET4_T5_PSR_SS_PNS1_23onesweep_lookback_stateEbbT6_jjT7_P12ihipStream_tbENKUlT_T0_SG_SL_E_clISA_SA_SB_SB_EEDaSZ_S10_SG_SL_EUlSZ_E_NS1_11comp_targetILNS1_3genE10ELNS1_11target_archE1201ELNS1_3gpuE5ELNS1_3repE0EEENS1_47radix_sort_onesweep_sort_config_static_selectorELNS0_4arch9wavefront6targetE0EEEvSG_.num_named_barrier, 0
	.set _ZN7rocprim17ROCPRIM_400000_NS6detail17trampoline_kernelINS0_14default_configENS1_35radix_sort_onesweep_config_selectorImNS0_10empty_typeEEEZZNS1_29radix_sort_onesweep_iterationIS3_Lb0EPKmPmPS5_SB_mNS0_19identity_decomposerENS1_16block_id_wrapperIjLb0EEEEE10hipError_tT1_PNSt15iterator_traitsISG_E10value_typeET2_T3_PNSH_ISM_E10value_typeET4_T5_PSR_SS_PNS1_23onesweep_lookback_stateEbbT6_jjT7_P12ihipStream_tbENKUlT_T0_SG_SL_E_clISA_SA_SB_SB_EEDaSZ_S10_SG_SL_EUlSZ_E_NS1_11comp_targetILNS1_3genE10ELNS1_11target_archE1201ELNS1_3gpuE5ELNS1_3repE0EEENS1_47radix_sort_onesweep_sort_config_static_selectorELNS0_4arch9wavefront6targetE0EEEvSG_.private_seg_size, 0
	.set _ZN7rocprim17ROCPRIM_400000_NS6detail17trampoline_kernelINS0_14default_configENS1_35radix_sort_onesweep_config_selectorImNS0_10empty_typeEEEZZNS1_29radix_sort_onesweep_iterationIS3_Lb0EPKmPmPS5_SB_mNS0_19identity_decomposerENS1_16block_id_wrapperIjLb0EEEEE10hipError_tT1_PNSt15iterator_traitsISG_E10value_typeET2_T3_PNSH_ISM_E10value_typeET4_T5_PSR_SS_PNS1_23onesweep_lookback_stateEbbT6_jjT7_P12ihipStream_tbENKUlT_T0_SG_SL_E_clISA_SA_SB_SB_EEDaSZ_S10_SG_SL_EUlSZ_E_NS1_11comp_targetILNS1_3genE10ELNS1_11target_archE1201ELNS1_3gpuE5ELNS1_3repE0EEENS1_47radix_sort_onesweep_sort_config_static_selectorELNS0_4arch9wavefront6targetE0EEEvSG_.uses_vcc, 0
	.set _ZN7rocprim17ROCPRIM_400000_NS6detail17trampoline_kernelINS0_14default_configENS1_35radix_sort_onesweep_config_selectorImNS0_10empty_typeEEEZZNS1_29radix_sort_onesweep_iterationIS3_Lb0EPKmPmPS5_SB_mNS0_19identity_decomposerENS1_16block_id_wrapperIjLb0EEEEE10hipError_tT1_PNSt15iterator_traitsISG_E10value_typeET2_T3_PNSH_ISM_E10value_typeET4_T5_PSR_SS_PNS1_23onesweep_lookback_stateEbbT6_jjT7_P12ihipStream_tbENKUlT_T0_SG_SL_E_clISA_SA_SB_SB_EEDaSZ_S10_SG_SL_EUlSZ_E_NS1_11comp_targetILNS1_3genE10ELNS1_11target_archE1201ELNS1_3gpuE5ELNS1_3repE0EEENS1_47radix_sort_onesweep_sort_config_static_selectorELNS0_4arch9wavefront6targetE0EEEvSG_.uses_flat_scratch, 0
	.set _ZN7rocprim17ROCPRIM_400000_NS6detail17trampoline_kernelINS0_14default_configENS1_35radix_sort_onesweep_config_selectorImNS0_10empty_typeEEEZZNS1_29radix_sort_onesweep_iterationIS3_Lb0EPKmPmPS5_SB_mNS0_19identity_decomposerENS1_16block_id_wrapperIjLb0EEEEE10hipError_tT1_PNSt15iterator_traitsISG_E10value_typeET2_T3_PNSH_ISM_E10value_typeET4_T5_PSR_SS_PNS1_23onesweep_lookback_stateEbbT6_jjT7_P12ihipStream_tbENKUlT_T0_SG_SL_E_clISA_SA_SB_SB_EEDaSZ_S10_SG_SL_EUlSZ_E_NS1_11comp_targetILNS1_3genE10ELNS1_11target_archE1201ELNS1_3gpuE5ELNS1_3repE0EEENS1_47radix_sort_onesweep_sort_config_static_selectorELNS0_4arch9wavefront6targetE0EEEvSG_.has_dyn_sized_stack, 0
	.set _ZN7rocprim17ROCPRIM_400000_NS6detail17trampoline_kernelINS0_14default_configENS1_35radix_sort_onesweep_config_selectorImNS0_10empty_typeEEEZZNS1_29radix_sort_onesweep_iterationIS3_Lb0EPKmPmPS5_SB_mNS0_19identity_decomposerENS1_16block_id_wrapperIjLb0EEEEE10hipError_tT1_PNSt15iterator_traitsISG_E10value_typeET2_T3_PNSH_ISM_E10value_typeET4_T5_PSR_SS_PNS1_23onesweep_lookback_stateEbbT6_jjT7_P12ihipStream_tbENKUlT_T0_SG_SL_E_clISA_SA_SB_SB_EEDaSZ_S10_SG_SL_EUlSZ_E_NS1_11comp_targetILNS1_3genE10ELNS1_11target_archE1201ELNS1_3gpuE5ELNS1_3repE0EEENS1_47radix_sort_onesweep_sort_config_static_selectorELNS0_4arch9wavefront6targetE0EEEvSG_.has_recursion, 0
	.set _ZN7rocprim17ROCPRIM_400000_NS6detail17trampoline_kernelINS0_14default_configENS1_35radix_sort_onesweep_config_selectorImNS0_10empty_typeEEEZZNS1_29radix_sort_onesweep_iterationIS3_Lb0EPKmPmPS5_SB_mNS0_19identity_decomposerENS1_16block_id_wrapperIjLb0EEEEE10hipError_tT1_PNSt15iterator_traitsISG_E10value_typeET2_T3_PNSH_ISM_E10value_typeET4_T5_PSR_SS_PNS1_23onesweep_lookback_stateEbbT6_jjT7_P12ihipStream_tbENKUlT_T0_SG_SL_E_clISA_SA_SB_SB_EEDaSZ_S10_SG_SL_EUlSZ_E_NS1_11comp_targetILNS1_3genE10ELNS1_11target_archE1201ELNS1_3gpuE5ELNS1_3repE0EEENS1_47radix_sort_onesweep_sort_config_static_selectorELNS0_4arch9wavefront6targetE0EEEvSG_.has_indirect_call, 0
	.section	.AMDGPU.csdata,"",@progbits
; Kernel info:
; codeLenInByte = 0
; TotalNumSgprs: 0
; NumVgprs: 0
; ScratchSize: 0
; MemoryBound: 0
; FloatMode: 240
; IeeeMode: 1
; LDSByteSize: 0 bytes/workgroup (compile time only)
; SGPRBlocks: 0
; VGPRBlocks: 0
; NumSGPRsForWavesPerEU: 1
; NumVGPRsForWavesPerEU: 1
; NamedBarCnt: 0
; Occupancy: 16
; WaveLimiterHint : 0
; COMPUTE_PGM_RSRC2:SCRATCH_EN: 0
; COMPUTE_PGM_RSRC2:USER_SGPR: 2
; COMPUTE_PGM_RSRC2:TRAP_HANDLER: 0
; COMPUTE_PGM_RSRC2:TGID_X_EN: 1
; COMPUTE_PGM_RSRC2:TGID_Y_EN: 0
; COMPUTE_PGM_RSRC2:TGID_Z_EN: 0
; COMPUTE_PGM_RSRC2:TIDIG_COMP_CNT: 0
	.section	.text._ZN7rocprim17ROCPRIM_400000_NS6detail17trampoline_kernelINS0_14default_configENS1_35radix_sort_onesweep_config_selectorImNS0_10empty_typeEEEZZNS1_29radix_sort_onesweep_iterationIS3_Lb0EPKmPmPS5_SB_mNS0_19identity_decomposerENS1_16block_id_wrapperIjLb0EEEEE10hipError_tT1_PNSt15iterator_traitsISG_E10value_typeET2_T3_PNSH_ISM_E10value_typeET4_T5_PSR_SS_PNS1_23onesweep_lookback_stateEbbT6_jjT7_P12ihipStream_tbENKUlT_T0_SG_SL_E_clISA_SA_SB_SB_EEDaSZ_S10_SG_SL_EUlSZ_E_NS1_11comp_targetILNS1_3genE9ELNS1_11target_archE1100ELNS1_3gpuE3ELNS1_3repE0EEENS1_47radix_sort_onesweep_sort_config_static_selectorELNS0_4arch9wavefront6targetE0EEEvSG_,"axG",@progbits,_ZN7rocprim17ROCPRIM_400000_NS6detail17trampoline_kernelINS0_14default_configENS1_35radix_sort_onesweep_config_selectorImNS0_10empty_typeEEEZZNS1_29radix_sort_onesweep_iterationIS3_Lb0EPKmPmPS5_SB_mNS0_19identity_decomposerENS1_16block_id_wrapperIjLb0EEEEE10hipError_tT1_PNSt15iterator_traitsISG_E10value_typeET2_T3_PNSH_ISM_E10value_typeET4_T5_PSR_SS_PNS1_23onesweep_lookback_stateEbbT6_jjT7_P12ihipStream_tbENKUlT_T0_SG_SL_E_clISA_SA_SB_SB_EEDaSZ_S10_SG_SL_EUlSZ_E_NS1_11comp_targetILNS1_3genE9ELNS1_11target_archE1100ELNS1_3gpuE3ELNS1_3repE0EEENS1_47radix_sort_onesweep_sort_config_static_selectorELNS0_4arch9wavefront6targetE0EEEvSG_,comdat
	.protected	_ZN7rocprim17ROCPRIM_400000_NS6detail17trampoline_kernelINS0_14default_configENS1_35radix_sort_onesweep_config_selectorImNS0_10empty_typeEEEZZNS1_29radix_sort_onesweep_iterationIS3_Lb0EPKmPmPS5_SB_mNS0_19identity_decomposerENS1_16block_id_wrapperIjLb0EEEEE10hipError_tT1_PNSt15iterator_traitsISG_E10value_typeET2_T3_PNSH_ISM_E10value_typeET4_T5_PSR_SS_PNS1_23onesweep_lookback_stateEbbT6_jjT7_P12ihipStream_tbENKUlT_T0_SG_SL_E_clISA_SA_SB_SB_EEDaSZ_S10_SG_SL_EUlSZ_E_NS1_11comp_targetILNS1_3genE9ELNS1_11target_archE1100ELNS1_3gpuE3ELNS1_3repE0EEENS1_47radix_sort_onesweep_sort_config_static_selectorELNS0_4arch9wavefront6targetE0EEEvSG_ ; -- Begin function _ZN7rocprim17ROCPRIM_400000_NS6detail17trampoline_kernelINS0_14default_configENS1_35radix_sort_onesweep_config_selectorImNS0_10empty_typeEEEZZNS1_29radix_sort_onesweep_iterationIS3_Lb0EPKmPmPS5_SB_mNS0_19identity_decomposerENS1_16block_id_wrapperIjLb0EEEEE10hipError_tT1_PNSt15iterator_traitsISG_E10value_typeET2_T3_PNSH_ISM_E10value_typeET4_T5_PSR_SS_PNS1_23onesweep_lookback_stateEbbT6_jjT7_P12ihipStream_tbENKUlT_T0_SG_SL_E_clISA_SA_SB_SB_EEDaSZ_S10_SG_SL_EUlSZ_E_NS1_11comp_targetILNS1_3genE9ELNS1_11target_archE1100ELNS1_3gpuE3ELNS1_3repE0EEENS1_47radix_sort_onesweep_sort_config_static_selectorELNS0_4arch9wavefront6targetE0EEEvSG_
	.globl	_ZN7rocprim17ROCPRIM_400000_NS6detail17trampoline_kernelINS0_14default_configENS1_35radix_sort_onesweep_config_selectorImNS0_10empty_typeEEEZZNS1_29radix_sort_onesweep_iterationIS3_Lb0EPKmPmPS5_SB_mNS0_19identity_decomposerENS1_16block_id_wrapperIjLb0EEEEE10hipError_tT1_PNSt15iterator_traitsISG_E10value_typeET2_T3_PNSH_ISM_E10value_typeET4_T5_PSR_SS_PNS1_23onesweep_lookback_stateEbbT6_jjT7_P12ihipStream_tbENKUlT_T0_SG_SL_E_clISA_SA_SB_SB_EEDaSZ_S10_SG_SL_EUlSZ_E_NS1_11comp_targetILNS1_3genE9ELNS1_11target_archE1100ELNS1_3gpuE3ELNS1_3repE0EEENS1_47radix_sort_onesweep_sort_config_static_selectorELNS0_4arch9wavefront6targetE0EEEvSG_
	.p2align	8
	.type	_ZN7rocprim17ROCPRIM_400000_NS6detail17trampoline_kernelINS0_14default_configENS1_35radix_sort_onesweep_config_selectorImNS0_10empty_typeEEEZZNS1_29radix_sort_onesweep_iterationIS3_Lb0EPKmPmPS5_SB_mNS0_19identity_decomposerENS1_16block_id_wrapperIjLb0EEEEE10hipError_tT1_PNSt15iterator_traitsISG_E10value_typeET2_T3_PNSH_ISM_E10value_typeET4_T5_PSR_SS_PNS1_23onesweep_lookback_stateEbbT6_jjT7_P12ihipStream_tbENKUlT_T0_SG_SL_E_clISA_SA_SB_SB_EEDaSZ_S10_SG_SL_EUlSZ_E_NS1_11comp_targetILNS1_3genE9ELNS1_11target_archE1100ELNS1_3gpuE3ELNS1_3repE0EEENS1_47radix_sort_onesweep_sort_config_static_selectorELNS0_4arch9wavefront6targetE0EEEvSG_,@function
_ZN7rocprim17ROCPRIM_400000_NS6detail17trampoline_kernelINS0_14default_configENS1_35radix_sort_onesweep_config_selectorImNS0_10empty_typeEEEZZNS1_29radix_sort_onesweep_iterationIS3_Lb0EPKmPmPS5_SB_mNS0_19identity_decomposerENS1_16block_id_wrapperIjLb0EEEEE10hipError_tT1_PNSt15iterator_traitsISG_E10value_typeET2_T3_PNSH_ISM_E10value_typeET4_T5_PSR_SS_PNS1_23onesweep_lookback_stateEbbT6_jjT7_P12ihipStream_tbENKUlT_T0_SG_SL_E_clISA_SA_SB_SB_EEDaSZ_S10_SG_SL_EUlSZ_E_NS1_11comp_targetILNS1_3genE9ELNS1_11target_archE1100ELNS1_3gpuE3ELNS1_3repE0EEENS1_47radix_sort_onesweep_sort_config_static_selectorELNS0_4arch9wavefront6targetE0EEEvSG_: ; @_ZN7rocprim17ROCPRIM_400000_NS6detail17trampoline_kernelINS0_14default_configENS1_35radix_sort_onesweep_config_selectorImNS0_10empty_typeEEEZZNS1_29radix_sort_onesweep_iterationIS3_Lb0EPKmPmPS5_SB_mNS0_19identity_decomposerENS1_16block_id_wrapperIjLb0EEEEE10hipError_tT1_PNSt15iterator_traitsISG_E10value_typeET2_T3_PNSH_ISM_E10value_typeET4_T5_PSR_SS_PNS1_23onesweep_lookback_stateEbbT6_jjT7_P12ihipStream_tbENKUlT_T0_SG_SL_E_clISA_SA_SB_SB_EEDaSZ_S10_SG_SL_EUlSZ_E_NS1_11comp_targetILNS1_3genE9ELNS1_11target_archE1100ELNS1_3gpuE3ELNS1_3repE0EEENS1_47radix_sort_onesweep_sort_config_static_selectorELNS0_4arch9wavefront6targetE0EEEvSG_
; %bb.0:
	.section	.rodata,"a",@progbits
	.p2align	6, 0x0
	.amdhsa_kernel _ZN7rocprim17ROCPRIM_400000_NS6detail17trampoline_kernelINS0_14default_configENS1_35radix_sort_onesweep_config_selectorImNS0_10empty_typeEEEZZNS1_29radix_sort_onesweep_iterationIS3_Lb0EPKmPmPS5_SB_mNS0_19identity_decomposerENS1_16block_id_wrapperIjLb0EEEEE10hipError_tT1_PNSt15iterator_traitsISG_E10value_typeET2_T3_PNSH_ISM_E10value_typeET4_T5_PSR_SS_PNS1_23onesweep_lookback_stateEbbT6_jjT7_P12ihipStream_tbENKUlT_T0_SG_SL_E_clISA_SA_SB_SB_EEDaSZ_S10_SG_SL_EUlSZ_E_NS1_11comp_targetILNS1_3genE9ELNS1_11target_archE1100ELNS1_3gpuE3ELNS1_3repE0EEENS1_47radix_sort_onesweep_sort_config_static_selectorELNS0_4arch9wavefront6targetE0EEEvSG_
		.amdhsa_group_segment_fixed_size 0
		.amdhsa_private_segment_fixed_size 0
		.amdhsa_kernarg_size 88
		.amdhsa_user_sgpr_count 2
		.amdhsa_user_sgpr_dispatch_ptr 0
		.amdhsa_user_sgpr_queue_ptr 0
		.amdhsa_user_sgpr_kernarg_segment_ptr 1
		.amdhsa_user_sgpr_dispatch_id 0
		.amdhsa_user_sgpr_kernarg_preload_length 0
		.amdhsa_user_sgpr_kernarg_preload_offset 0
		.amdhsa_user_sgpr_private_segment_size 0
		.amdhsa_wavefront_size32 1
		.amdhsa_uses_dynamic_stack 0
		.amdhsa_enable_private_segment 0
		.amdhsa_system_sgpr_workgroup_id_x 1
		.amdhsa_system_sgpr_workgroup_id_y 0
		.amdhsa_system_sgpr_workgroup_id_z 0
		.amdhsa_system_sgpr_workgroup_info 0
		.amdhsa_system_vgpr_workitem_id 0
		.amdhsa_next_free_vgpr 1
		.amdhsa_next_free_sgpr 1
		.amdhsa_named_barrier_count 0
		.amdhsa_reserve_vcc 0
		.amdhsa_float_round_mode_32 0
		.amdhsa_float_round_mode_16_64 0
		.amdhsa_float_denorm_mode_32 3
		.amdhsa_float_denorm_mode_16_64 3
		.amdhsa_fp16_overflow 0
		.amdhsa_memory_ordered 1
		.amdhsa_forward_progress 1
		.amdhsa_inst_pref_size 0
		.amdhsa_round_robin_scheduling 0
		.amdhsa_exception_fp_ieee_invalid_op 0
		.amdhsa_exception_fp_denorm_src 0
		.amdhsa_exception_fp_ieee_div_zero 0
		.amdhsa_exception_fp_ieee_overflow 0
		.amdhsa_exception_fp_ieee_underflow 0
		.amdhsa_exception_fp_ieee_inexact 0
		.amdhsa_exception_int_div_zero 0
	.end_amdhsa_kernel
	.section	.text._ZN7rocprim17ROCPRIM_400000_NS6detail17trampoline_kernelINS0_14default_configENS1_35radix_sort_onesweep_config_selectorImNS0_10empty_typeEEEZZNS1_29radix_sort_onesweep_iterationIS3_Lb0EPKmPmPS5_SB_mNS0_19identity_decomposerENS1_16block_id_wrapperIjLb0EEEEE10hipError_tT1_PNSt15iterator_traitsISG_E10value_typeET2_T3_PNSH_ISM_E10value_typeET4_T5_PSR_SS_PNS1_23onesweep_lookback_stateEbbT6_jjT7_P12ihipStream_tbENKUlT_T0_SG_SL_E_clISA_SA_SB_SB_EEDaSZ_S10_SG_SL_EUlSZ_E_NS1_11comp_targetILNS1_3genE9ELNS1_11target_archE1100ELNS1_3gpuE3ELNS1_3repE0EEENS1_47radix_sort_onesweep_sort_config_static_selectorELNS0_4arch9wavefront6targetE0EEEvSG_,"axG",@progbits,_ZN7rocprim17ROCPRIM_400000_NS6detail17trampoline_kernelINS0_14default_configENS1_35radix_sort_onesweep_config_selectorImNS0_10empty_typeEEEZZNS1_29radix_sort_onesweep_iterationIS3_Lb0EPKmPmPS5_SB_mNS0_19identity_decomposerENS1_16block_id_wrapperIjLb0EEEEE10hipError_tT1_PNSt15iterator_traitsISG_E10value_typeET2_T3_PNSH_ISM_E10value_typeET4_T5_PSR_SS_PNS1_23onesweep_lookback_stateEbbT6_jjT7_P12ihipStream_tbENKUlT_T0_SG_SL_E_clISA_SA_SB_SB_EEDaSZ_S10_SG_SL_EUlSZ_E_NS1_11comp_targetILNS1_3genE9ELNS1_11target_archE1100ELNS1_3gpuE3ELNS1_3repE0EEENS1_47radix_sort_onesweep_sort_config_static_selectorELNS0_4arch9wavefront6targetE0EEEvSG_,comdat
.Lfunc_end3025:
	.size	_ZN7rocprim17ROCPRIM_400000_NS6detail17trampoline_kernelINS0_14default_configENS1_35radix_sort_onesweep_config_selectorImNS0_10empty_typeEEEZZNS1_29radix_sort_onesweep_iterationIS3_Lb0EPKmPmPS5_SB_mNS0_19identity_decomposerENS1_16block_id_wrapperIjLb0EEEEE10hipError_tT1_PNSt15iterator_traitsISG_E10value_typeET2_T3_PNSH_ISM_E10value_typeET4_T5_PSR_SS_PNS1_23onesweep_lookback_stateEbbT6_jjT7_P12ihipStream_tbENKUlT_T0_SG_SL_E_clISA_SA_SB_SB_EEDaSZ_S10_SG_SL_EUlSZ_E_NS1_11comp_targetILNS1_3genE9ELNS1_11target_archE1100ELNS1_3gpuE3ELNS1_3repE0EEENS1_47radix_sort_onesweep_sort_config_static_selectorELNS0_4arch9wavefront6targetE0EEEvSG_, .Lfunc_end3025-_ZN7rocprim17ROCPRIM_400000_NS6detail17trampoline_kernelINS0_14default_configENS1_35radix_sort_onesweep_config_selectorImNS0_10empty_typeEEEZZNS1_29radix_sort_onesweep_iterationIS3_Lb0EPKmPmPS5_SB_mNS0_19identity_decomposerENS1_16block_id_wrapperIjLb0EEEEE10hipError_tT1_PNSt15iterator_traitsISG_E10value_typeET2_T3_PNSH_ISM_E10value_typeET4_T5_PSR_SS_PNS1_23onesweep_lookback_stateEbbT6_jjT7_P12ihipStream_tbENKUlT_T0_SG_SL_E_clISA_SA_SB_SB_EEDaSZ_S10_SG_SL_EUlSZ_E_NS1_11comp_targetILNS1_3genE9ELNS1_11target_archE1100ELNS1_3gpuE3ELNS1_3repE0EEENS1_47radix_sort_onesweep_sort_config_static_selectorELNS0_4arch9wavefront6targetE0EEEvSG_
                                        ; -- End function
	.set _ZN7rocprim17ROCPRIM_400000_NS6detail17trampoline_kernelINS0_14default_configENS1_35radix_sort_onesweep_config_selectorImNS0_10empty_typeEEEZZNS1_29radix_sort_onesweep_iterationIS3_Lb0EPKmPmPS5_SB_mNS0_19identity_decomposerENS1_16block_id_wrapperIjLb0EEEEE10hipError_tT1_PNSt15iterator_traitsISG_E10value_typeET2_T3_PNSH_ISM_E10value_typeET4_T5_PSR_SS_PNS1_23onesweep_lookback_stateEbbT6_jjT7_P12ihipStream_tbENKUlT_T0_SG_SL_E_clISA_SA_SB_SB_EEDaSZ_S10_SG_SL_EUlSZ_E_NS1_11comp_targetILNS1_3genE9ELNS1_11target_archE1100ELNS1_3gpuE3ELNS1_3repE0EEENS1_47radix_sort_onesweep_sort_config_static_selectorELNS0_4arch9wavefront6targetE0EEEvSG_.num_vgpr, 0
	.set _ZN7rocprim17ROCPRIM_400000_NS6detail17trampoline_kernelINS0_14default_configENS1_35radix_sort_onesweep_config_selectorImNS0_10empty_typeEEEZZNS1_29radix_sort_onesweep_iterationIS3_Lb0EPKmPmPS5_SB_mNS0_19identity_decomposerENS1_16block_id_wrapperIjLb0EEEEE10hipError_tT1_PNSt15iterator_traitsISG_E10value_typeET2_T3_PNSH_ISM_E10value_typeET4_T5_PSR_SS_PNS1_23onesweep_lookback_stateEbbT6_jjT7_P12ihipStream_tbENKUlT_T0_SG_SL_E_clISA_SA_SB_SB_EEDaSZ_S10_SG_SL_EUlSZ_E_NS1_11comp_targetILNS1_3genE9ELNS1_11target_archE1100ELNS1_3gpuE3ELNS1_3repE0EEENS1_47radix_sort_onesweep_sort_config_static_selectorELNS0_4arch9wavefront6targetE0EEEvSG_.num_agpr, 0
	.set _ZN7rocprim17ROCPRIM_400000_NS6detail17trampoline_kernelINS0_14default_configENS1_35radix_sort_onesweep_config_selectorImNS0_10empty_typeEEEZZNS1_29radix_sort_onesweep_iterationIS3_Lb0EPKmPmPS5_SB_mNS0_19identity_decomposerENS1_16block_id_wrapperIjLb0EEEEE10hipError_tT1_PNSt15iterator_traitsISG_E10value_typeET2_T3_PNSH_ISM_E10value_typeET4_T5_PSR_SS_PNS1_23onesweep_lookback_stateEbbT6_jjT7_P12ihipStream_tbENKUlT_T0_SG_SL_E_clISA_SA_SB_SB_EEDaSZ_S10_SG_SL_EUlSZ_E_NS1_11comp_targetILNS1_3genE9ELNS1_11target_archE1100ELNS1_3gpuE3ELNS1_3repE0EEENS1_47radix_sort_onesweep_sort_config_static_selectorELNS0_4arch9wavefront6targetE0EEEvSG_.numbered_sgpr, 0
	.set _ZN7rocprim17ROCPRIM_400000_NS6detail17trampoline_kernelINS0_14default_configENS1_35radix_sort_onesweep_config_selectorImNS0_10empty_typeEEEZZNS1_29radix_sort_onesweep_iterationIS3_Lb0EPKmPmPS5_SB_mNS0_19identity_decomposerENS1_16block_id_wrapperIjLb0EEEEE10hipError_tT1_PNSt15iterator_traitsISG_E10value_typeET2_T3_PNSH_ISM_E10value_typeET4_T5_PSR_SS_PNS1_23onesweep_lookback_stateEbbT6_jjT7_P12ihipStream_tbENKUlT_T0_SG_SL_E_clISA_SA_SB_SB_EEDaSZ_S10_SG_SL_EUlSZ_E_NS1_11comp_targetILNS1_3genE9ELNS1_11target_archE1100ELNS1_3gpuE3ELNS1_3repE0EEENS1_47radix_sort_onesweep_sort_config_static_selectorELNS0_4arch9wavefront6targetE0EEEvSG_.num_named_barrier, 0
	.set _ZN7rocprim17ROCPRIM_400000_NS6detail17trampoline_kernelINS0_14default_configENS1_35radix_sort_onesweep_config_selectorImNS0_10empty_typeEEEZZNS1_29radix_sort_onesweep_iterationIS3_Lb0EPKmPmPS5_SB_mNS0_19identity_decomposerENS1_16block_id_wrapperIjLb0EEEEE10hipError_tT1_PNSt15iterator_traitsISG_E10value_typeET2_T3_PNSH_ISM_E10value_typeET4_T5_PSR_SS_PNS1_23onesweep_lookback_stateEbbT6_jjT7_P12ihipStream_tbENKUlT_T0_SG_SL_E_clISA_SA_SB_SB_EEDaSZ_S10_SG_SL_EUlSZ_E_NS1_11comp_targetILNS1_3genE9ELNS1_11target_archE1100ELNS1_3gpuE3ELNS1_3repE0EEENS1_47radix_sort_onesweep_sort_config_static_selectorELNS0_4arch9wavefront6targetE0EEEvSG_.private_seg_size, 0
	.set _ZN7rocprim17ROCPRIM_400000_NS6detail17trampoline_kernelINS0_14default_configENS1_35radix_sort_onesweep_config_selectorImNS0_10empty_typeEEEZZNS1_29radix_sort_onesweep_iterationIS3_Lb0EPKmPmPS5_SB_mNS0_19identity_decomposerENS1_16block_id_wrapperIjLb0EEEEE10hipError_tT1_PNSt15iterator_traitsISG_E10value_typeET2_T3_PNSH_ISM_E10value_typeET4_T5_PSR_SS_PNS1_23onesweep_lookback_stateEbbT6_jjT7_P12ihipStream_tbENKUlT_T0_SG_SL_E_clISA_SA_SB_SB_EEDaSZ_S10_SG_SL_EUlSZ_E_NS1_11comp_targetILNS1_3genE9ELNS1_11target_archE1100ELNS1_3gpuE3ELNS1_3repE0EEENS1_47radix_sort_onesweep_sort_config_static_selectorELNS0_4arch9wavefront6targetE0EEEvSG_.uses_vcc, 0
	.set _ZN7rocprim17ROCPRIM_400000_NS6detail17trampoline_kernelINS0_14default_configENS1_35radix_sort_onesweep_config_selectorImNS0_10empty_typeEEEZZNS1_29radix_sort_onesweep_iterationIS3_Lb0EPKmPmPS5_SB_mNS0_19identity_decomposerENS1_16block_id_wrapperIjLb0EEEEE10hipError_tT1_PNSt15iterator_traitsISG_E10value_typeET2_T3_PNSH_ISM_E10value_typeET4_T5_PSR_SS_PNS1_23onesweep_lookback_stateEbbT6_jjT7_P12ihipStream_tbENKUlT_T0_SG_SL_E_clISA_SA_SB_SB_EEDaSZ_S10_SG_SL_EUlSZ_E_NS1_11comp_targetILNS1_3genE9ELNS1_11target_archE1100ELNS1_3gpuE3ELNS1_3repE0EEENS1_47radix_sort_onesweep_sort_config_static_selectorELNS0_4arch9wavefront6targetE0EEEvSG_.uses_flat_scratch, 0
	.set _ZN7rocprim17ROCPRIM_400000_NS6detail17trampoline_kernelINS0_14default_configENS1_35radix_sort_onesweep_config_selectorImNS0_10empty_typeEEEZZNS1_29radix_sort_onesweep_iterationIS3_Lb0EPKmPmPS5_SB_mNS0_19identity_decomposerENS1_16block_id_wrapperIjLb0EEEEE10hipError_tT1_PNSt15iterator_traitsISG_E10value_typeET2_T3_PNSH_ISM_E10value_typeET4_T5_PSR_SS_PNS1_23onesweep_lookback_stateEbbT6_jjT7_P12ihipStream_tbENKUlT_T0_SG_SL_E_clISA_SA_SB_SB_EEDaSZ_S10_SG_SL_EUlSZ_E_NS1_11comp_targetILNS1_3genE9ELNS1_11target_archE1100ELNS1_3gpuE3ELNS1_3repE0EEENS1_47radix_sort_onesweep_sort_config_static_selectorELNS0_4arch9wavefront6targetE0EEEvSG_.has_dyn_sized_stack, 0
	.set _ZN7rocprim17ROCPRIM_400000_NS6detail17trampoline_kernelINS0_14default_configENS1_35radix_sort_onesweep_config_selectorImNS0_10empty_typeEEEZZNS1_29radix_sort_onesweep_iterationIS3_Lb0EPKmPmPS5_SB_mNS0_19identity_decomposerENS1_16block_id_wrapperIjLb0EEEEE10hipError_tT1_PNSt15iterator_traitsISG_E10value_typeET2_T3_PNSH_ISM_E10value_typeET4_T5_PSR_SS_PNS1_23onesweep_lookback_stateEbbT6_jjT7_P12ihipStream_tbENKUlT_T0_SG_SL_E_clISA_SA_SB_SB_EEDaSZ_S10_SG_SL_EUlSZ_E_NS1_11comp_targetILNS1_3genE9ELNS1_11target_archE1100ELNS1_3gpuE3ELNS1_3repE0EEENS1_47radix_sort_onesweep_sort_config_static_selectorELNS0_4arch9wavefront6targetE0EEEvSG_.has_recursion, 0
	.set _ZN7rocprim17ROCPRIM_400000_NS6detail17trampoline_kernelINS0_14default_configENS1_35radix_sort_onesweep_config_selectorImNS0_10empty_typeEEEZZNS1_29radix_sort_onesweep_iterationIS3_Lb0EPKmPmPS5_SB_mNS0_19identity_decomposerENS1_16block_id_wrapperIjLb0EEEEE10hipError_tT1_PNSt15iterator_traitsISG_E10value_typeET2_T3_PNSH_ISM_E10value_typeET4_T5_PSR_SS_PNS1_23onesweep_lookback_stateEbbT6_jjT7_P12ihipStream_tbENKUlT_T0_SG_SL_E_clISA_SA_SB_SB_EEDaSZ_S10_SG_SL_EUlSZ_E_NS1_11comp_targetILNS1_3genE9ELNS1_11target_archE1100ELNS1_3gpuE3ELNS1_3repE0EEENS1_47radix_sort_onesweep_sort_config_static_selectorELNS0_4arch9wavefront6targetE0EEEvSG_.has_indirect_call, 0
	.section	.AMDGPU.csdata,"",@progbits
; Kernel info:
; codeLenInByte = 0
; TotalNumSgprs: 0
; NumVgprs: 0
; ScratchSize: 0
; MemoryBound: 0
; FloatMode: 240
; IeeeMode: 1
; LDSByteSize: 0 bytes/workgroup (compile time only)
; SGPRBlocks: 0
; VGPRBlocks: 0
; NumSGPRsForWavesPerEU: 1
; NumVGPRsForWavesPerEU: 1
; NamedBarCnt: 0
; Occupancy: 16
; WaveLimiterHint : 0
; COMPUTE_PGM_RSRC2:SCRATCH_EN: 0
; COMPUTE_PGM_RSRC2:USER_SGPR: 2
; COMPUTE_PGM_RSRC2:TRAP_HANDLER: 0
; COMPUTE_PGM_RSRC2:TGID_X_EN: 1
; COMPUTE_PGM_RSRC2:TGID_Y_EN: 0
; COMPUTE_PGM_RSRC2:TGID_Z_EN: 0
; COMPUTE_PGM_RSRC2:TIDIG_COMP_CNT: 0
	.section	.text._ZN7rocprim17ROCPRIM_400000_NS6detail17trampoline_kernelINS0_14default_configENS1_35radix_sort_onesweep_config_selectorImNS0_10empty_typeEEEZZNS1_29radix_sort_onesweep_iterationIS3_Lb0EPKmPmPS5_SB_mNS0_19identity_decomposerENS1_16block_id_wrapperIjLb0EEEEE10hipError_tT1_PNSt15iterator_traitsISG_E10value_typeET2_T3_PNSH_ISM_E10value_typeET4_T5_PSR_SS_PNS1_23onesweep_lookback_stateEbbT6_jjT7_P12ihipStream_tbENKUlT_T0_SG_SL_E_clISA_SA_SB_SB_EEDaSZ_S10_SG_SL_EUlSZ_E_NS1_11comp_targetILNS1_3genE8ELNS1_11target_archE1030ELNS1_3gpuE2ELNS1_3repE0EEENS1_47radix_sort_onesweep_sort_config_static_selectorELNS0_4arch9wavefront6targetE0EEEvSG_,"axG",@progbits,_ZN7rocprim17ROCPRIM_400000_NS6detail17trampoline_kernelINS0_14default_configENS1_35radix_sort_onesweep_config_selectorImNS0_10empty_typeEEEZZNS1_29radix_sort_onesweep_iterationIS3_Lb0EPKmPmPS5_SB_mNS0_19identity_decomposerENS1_16block_id_wrapperIjLb0EEEEE10hipError_tT1_PNSt15iterator_traitsISG_E10value_typeET2_T3_PNSH_ISM_E10value_typeET4_T5_PSR_SS_PNS1_23onesweep_lookback_stateEbbT6_jjT7_P12ihipStream_tbENKUlT_T0_SG_SL_E_clISA_SA_SB_SB_EEDaSZ_S10_SG_SL_EUlSZ_E_NS1_11comp_targetILNS1_3genE8ELNS1_11target_archE1030ELNS1_3gpuE2ELNS1_3repE0EEENS1_47radix_sort_onesweep_sort_config_static_selectorELNS0_4arch9wavefront6targetE0EEEvSG_,comdat
	.protected	_ZN7rocprim17ROCPRIM_400000_NS6detail17trampoline_kernelINS0_14default_configENS1_35radix_sort_onesweep_config_selectorImNS0_10empty_typeEEEZZNS1_29radix_sort_onesweep_iterationIS3_Lb0EPKmPmPS5_SB_mNS0_19identity_decomposerENS1_16block_id_wrapperIjLb0EEEEE10hipError_tT1_PNSt15iterator_traitsISG_E10value_typeET2_T3_PNSH_ISM_E10value_typeET4_T5_PSR_SS_PNS1_23onesweep_lookback_stateEbbT6_jjT7_P12ihipStream_tbENKUlT_T0_SG_SL_E_clISA_SA_SB_SB_EEDaSZ_S10_SG_SL_EUlSZ_E_NS1_11comp_targetILNS1_3genE8ELNS1_11target_archE1030ELNS1_3gpuE2ELNS1_3repE0EEENS1_47radix_sort_onesweep_sort_config_static_selectorELNS0_4arch9wavefront6targetE0EEEvSG_ ; -- Begin function _ZN7rocprim17ROCPRIM_400000_NS6detail17trampoline_kernelINS0_14default_configENS1_35radix_sort_onesweep_config_selectorImNS0_10empty_typeEEEZZNS1_29radix_sort_onesweep_iterationIS3_Lb0EPKmPmPS5_SB_mNS0_19identity_decomposerENS1_16block_id_wrapperIjLb0EEEEE10hipError_tT1_PNSt15iterator_traitsISG_E10value_typeET2_T3_PNSH_ISM_E10value_typeET4_T5_PSR_SS_PNS1_23onesweep_lookback_stateEbbT6_jjT7_P12ihipStream_tbENKUlT_T0_SG_SL_E_clISA_SA_SB_SB_EEDaSZ_S10_SG_SL_EUlSZ_E_NS1_11comp_targetILNS1_3genE8ELNS1_11target_archE1030ELNS1_3gpuE2ELNS1_3repE0EEENS1_47radix_sort_onesweep_sort_config_static_selectorELNS0_4arch9wavefront6targetE0EEEvSG_
	.globl	_ZN7rocprim17ROCPRIM_400000_NS6detail17trampoline_kernelINS0_14default_configENS1_35radix_sort_onesweep_config_selectorImNS0_10empty_typeEEEZZNS1_29radix_sort_onesweep_iterationIS3_Lb0EPKmPmPS5_SB_mNS0_19identity_decomposerENS1_16block_id_wrapperIjLb0EEEEE10hipError_tT1_PNSt15iterator_traitsISG_E10value_typeET2_T3_PNSH_ISM_E10value_typeET4_T5_PSR_SS_PNS1_23onesweep_lookback_stateEbbT6_jjT7_P12ihipStream_tbENKUlT_T0_SG_SL_E_clISA_SA_SB_SB_EEDaSZ_S10_SG_SL_EUlSZ_E_NS1_11comp_targetILNS1_3genE8ELNS1_11target_archE1030ELNS1_3gpuE2ELNS1_3repE0EEENS1_47radix_sort_onesweep_sort_config_static_selectorELNS0_4arch9wavefront6targetE0EEEvSG_
	.p2align	8
	.type	_ZN7rocprim17ROCPRIM_400000_NS6detail17trampoline_kernelINS0_14default_configENS1_35radix_sort_onesweep_config_selectorImNS0_10empty_typeEEEZZNS1_29radix_sort_onesweep_iterationIS3_Lb0EPKmPmPS5_SB_mNS0_19identity_decomposerENS1_16block_id_wrapperIjLb0EEEEE10hipError_tT1_PNSt15iterator_traitsISG_E10value_typeET2_T3_PNSH_ISM_E10value_typeET4_T5_PSR_SS_PNS1_23onesweep_lookback_stateEbbT6_jjT7_P12ihipStream_tbENKUlT_T0_SG_SL_E_clISA_SA_SB_SB_EEDaSZ_S10_SG_SL_EUlSZ_E_NS1_11comp_targetILNS1_3genE8ELNS1_11target_archE1030ELNS1_3gpuE2ELNS1_3repE0EEENS1_47radix_sort_onesweep_sort_config_static_selectorELNS0_4arch9wavefront6targetE0EEEvSG_,@function
_ZN7rocprim17ROCPRIM_400000_NS6detail17trampoline_kernelINS0_14default_configENS1_35radix_sort_onesweep_config_selectorImNS0_10empty_typeEEEZZNS1_29radix_sort_onesweep_iterationIS3_Lb0EPKmPmPS5_SB_mNS0_19identity_decomposerENS1_16block_id_wrapperIjLb0EEEEE10hipError_tT1_PNSt15iterator_traitsISG_E10value_typeET2_T3_PNSH_ISM_E10value_typeET4_T5_PSR_SS_PNS1_23onesweep_lookback_stateEbbT6_jjT7_P12ihipStream_tbENKUlT_T0_SG_SL_E_clISA_SA_SB_SB_EEDaSZ_S10_SG_SL_EUlSZ_E_NS1_11comp_targetILNS1_3genE8ELNS1_11target_archE1030ELNS1_3gpuE2ELNS1_3repE0EEENS1_47radix_sort_onesweep_sort_config_static_selectorELNS0_4arch9wavefront6targetE0EEEvSG_: ; @_ZN7rocprim17ROCPRIM_400000_NS6detail17trampoline_kernelINS0_14default_configENS1_35radix_sort_onesweep_config_selectorImNS0_10empty_typeEEEZZNS1_29radix_sort_onesweep_iterationIS3_Lb0EPKmPmPS5_SB_mNS0_19identity_decomposerENS1_16block_id_wrapperIjLb0EEEEE10hipError_tT1_PNSt15iterator_traitsISG_E10value_typeET2_T3_PNSH_ISM_E10value_typeET4_T5_PSR_SS_PNS1_23onesweep_lookback_stateEbbT6_jjT7_P12ihipStream_tbENKUlT_T0_SG_SL_E_clISA_SA_SB_SB_EEDaSZ_S10_SG_SL_EUlSZ_E_NS1_11comp_targetILNS1_3genE8ELNS1_11target_archE1030ELNS1_3gpuE2ELNS1_3repE0EEENS1_47radix_sort_onesweep_sort_config_static_selectorELNS0_4arch9wavefront6targetE0EEEvSG_
; %bb.0:
	.section	.rodata,"a",@progbits
	.p2align	6, 0x0
	.amdhsa_kernel _ZN7rocprim17ROCPRIM_400000_NS6detail17trampoline_kernelINS0_14default_configENS1_35radix_sort_onesweep_config_selectorImNS0_10empty_typeEEEZZNS1_29radix_sort_onesweep_iterationIS3_Lb0EPKmPmPS5_SB_mNS0_19identity_decomposerENS1_16block_id_wrapperIjLb0EEEEE10hipError_tT1_PNSt15iterator_traitsISG_E10value_typeET2_T3_PNSH_ISM_E10value_typeET4_T5_PSR_SS_PNS1_23onesweep_lookback_stateEbbT6_jjT7_P12ihipStream_tbENKUlT_T0_SG_SL_E_clISA_SA_SB_SB_EEDaSZ_S10_SG_SL_EUlSZ_E_NS1_11comp_targetILNS1_3genE8ELNS1_11target_archE1030ELNS1_3gpuE2ELNS1_3repE0EEENS1_47radix_sort_onesweep_sort_config_static_selectorELNS0_4arch9wavefront6targetE0EEEvSG_
		.amdhsa_group_segment_fixed_size 0
		.amdhsa_private_segment_fixed_size 0
		.amdhsa_kernarg_size 88
		.amdhsa_user_sgpr_count 2
		.amdhsa_user_sgpr_dispatch_ptr 0
		.amdhsa_user_sgpr_queue_ptr 0
		.amdhsa_user_sgpr_kernarg_segment_ptr 1
		.amdhsa_user_sgpr_dispatch_id 0
		.amdhsa_user_sgpr_kernarg_preload_length 0
		.amdhsa_user_sgpr_kernarg_preload_offset 0
		.amdhsa_user_sgpr_private_segment_size 0
		.amdhsa_wavefront_size32 1
		.amdhsa_uses_dynamic_stack 0
		.amdhsa_enable_private_segment 0
		.amdhsa_system_sgpr_workgroup_id_x 1
		.amdhsa_system_sgpr_workgroup_id_y 0
		.amdhsa_system_sgpr_workgroup_id_z 0
		.amdhsa_system_sgpr_workgroup_info 0
		.amdhsa_system_vgpr_workitem_id 0
		.amdhsa_next_free_vgpr 1
		.amdhsa_next_free_sgpr 1
		.amdhsa_named_barrier_count 0
		.amdhsa_reserve_vcc 0
		.amdhsa_float_round_mode_32 0
		.amdhsa_float_round_mode_16_64 0
		.amdhsa_float_denorm_mode_32 3
		.amdhsa_float_denorm_mode_16_64 3
		.amdhsa_fp16_overflow 0
		.amdhsa_memory_ordered 1
		.amdhsa_forward_progress 1
		.amdhsa_inst_pref_size 0
		.amdhsa_round_robin_scheduling 0
		.amdhsa_exception_fp_ieee_invalid_op 0
		.amdhsa_exception_fp_denorm_src 0
		.amdhsa_exception_fp_ieee_div_zero 0
		.amdhsa_exception_fp_ieee_overflow 0
		.amdhsa_exception_fp_ieee_underflow 0
		.amdhsa_exception_fp_ieee_inexact 0
		.amdhsa_exception_int_div_zero 0
	.end_amdhsa_kernel
	.section	.text._ZN7rocprim17ROCPRIM_400000_NS6detail17trampoline_kernelINS0_14default_configENS1_35radix_sort_onesweep_config_selectorImNS0_10empty_typeEEEZZNS1_29radix_sort_onesweep_iterationIS3_Lb0EPKmPmPS5_SB_mNS0_19identity_decomposerENS1_16block_id_wrapperIjLb0EEEEE10hipError_tT1_PNSt15iterator_traitsISG_E10value_typeET2_T3_PNSH_ISM_E10value_typeET4_T5_PSR_SS_PNS1_23onesweep_lookback_stateEbbT6_jjT7_P12ihipStream_tbENKUlT_T0_SG_SL_E_clISA_SA_SB_SB_EEDaSZ_S10_SG_SL_EUlSZ_E_NS1_11comp_targetILNS1_3genE8ELNS1_11target_archE1030ELNS1_3gpuE2ELNS1_3repE0EEENS1_47radix_sort_onesweep_sort_config_static_selectorELNS0_4arch9wavefront6targetE0EEEvSG_,"axG",@progbits,_ZN7rocprim17ROCPRIM_400000_NS6detail17trampoline_kernelINS0_14default_configENS1_35radix_sort_onesweep_config_selectorImNS0_10empty_typeEEEZZNS1_29radix_sort_onesweep_iterationIS3_Lb0EPKmPmPS5_SB_mNS0_19identity_decomposerENS1_16block_id_wrapperIjLb0EEEEE10hipError_tT1_PNSt15iterator_traitsISG_E10value_typeET2_T3_PNSH_ISM_E10value_typeET4_T5_PSR_SS_PNS1_23onesweep_lookback_stateEbbT6_jjT7_P12ihipStream_tbENKUlT_T0_SG_SL_E_clISA_SA_SB_SB_EEDaSZ_S10_SG_SL_EUlSZ_E_NS1_11comp_targetILNS1_3genE8ELNS1_11target_archE1030ELNS1_3gpuE2ELNS1_3repE0EEENS1_47radix_sort_onesweep_sort_config_static_selectorELNS0_4arch9wavefront6targetE0EEEvSG_,comdat
.Lfunc_end3026:
	.size	_ZN7rocprim17ROCPRIM_400000_NS6detail17trampoline_kernelINS0_14default_configENS1_35radix_sort_onesweep_config_selectorImNS0_10empty_typeEEEZZNS1_29radix_sort_onesweep_iterationIS3_Lb0EPKmPmPS5_SB_mNS0_19identity_decomposerENS1_16block_id_wrapperIjLb0EEEEE10hipError_tT1_PNSt15iterator_traitsISG_E10value_typeET2_T3_PNSH_ISM_E10value_typeET4_T5_PSR_SS_PNS1_23onesweep_lookback_stateEbbT6_jjT7_P12ihipStream_tbENKUlT_T0_SG_SL_E_clISA_SA_SB_SB_EEDaSZ_S10_SG_SL_EUlSZ_E_NS1_11comp_targetILNS1_3genE8ELNS1_11target_archE1030ELNS1_3gpuE2ELNS1_3repE0EEENS1_47radix_sort_onesweep_sort_config_static_selectorELNS0_4arch9wavefront6targetE0EEEvSG_, .Lfunc_end3026-_ZN7rocprim17ROCPRIM_400000_NS6detail17trampoline_kernelINS0_14default_configENS1_35radix_sort_onesweep_config_selectorImNS0_10empty_typeEEEZZNS1_29radix_sort_onesweep_iterationIS3_Lb0EPKmPmPS5_SB_mNS0_19identity_decomposerENS1_16block_id_wrapperIjLb0EEEEE10hipError_tT1_PNSt15iterator_traitsISG_E10value_typeET2_T3_PNSH_ISM_E10value_typeET4_T5_PSR_SS_PNS1_23onesweep_lookback_stateEbbT6_jjT7_P12ihipStream_tbENKUlT_T0_SG_SL_E_clISA_SA_SB_SB_EEDaSZ_S10_SG_SL_EUlSZ_E_NS1_11comp_targetILNS1_3genE8ELNS1_11target_archE1030ELNS1_3gpuE2ELNS1_3repE0EEENS1_47radix_sort_onesweep_sort_config_static_selectorELNS0_4arch9wavefront6targetE0EEEvSG_
                                        ; -- End function
	.set _ZN7rocprim17ROCPRIM_400000_NS6detail17trampoline_kernelINS0_14default_configENS1_35radix_sort_onesweep_config_selectorImNS0_10empty_typeEEEZZNS1_29radix_sort_onesweep_iterationIS3_Lb0EPKmPmPS5_SB_mNS0_19identity_decomposerENS1_16block_id_wrapperIjLb0EEEEE10hipError_tT1_PNSt15iterator_traitsISG_E10value_typeET2_T3_PNSH_ISM_E10value_typeET4_T5_PSR_SS_PNS1_23onesweep_lookback_stateEbbT6_jjT7_P12ihipStream_tbENKUlT_T0_SG_SL_E_clISA_SA_SB_SB_EEDaSZ_S10_SG_SL_EUlSZ_E_NS1_11comp_targetILNS1_3genE8ELNS1_11target_archE1030ELNS1_3gpuE2ELNS1_3repE0EEENS1_47radix_sort_onesweep_sort_config_static_selectorELNS0_4arch9wavefront6targetE0EEEvSG_.num_vgpr, 0
	.set _ZN7rocprim17ROCPRIM_400000_NS6detail17trampoline_kernelINS0_14default_configENS1_35radix_sort_onesweep_config_selectorImNS0_10empty_typeEEEZZNS1_29radix_sort_onesweep_iterationIS3_Lb0EPKmPmPS5_SB_mNS0_19identity_decomposerENS1_16block_id_wrapperIjLb0EEEEE10hipError_tT1_PNSt15iterator_traitsISG_E10value_typeET2_T3_PNSH_ISM_E10value_typeET4_T5_PSR_SS_PNS1_23onesweep_lookback_stateEbbT6_jjT7_P12ihipStream_tbENKUlT_T0_SG_SL_E_clISA_SA_SB_SB_EEDaSZ_S10_SG_SL_EUlSZ_E_NS1_11comp_targetILNS1_3genE8ELNS1_11target_archE1030ELNS1_3gpuE2ELNS1_3repE0EEENS1_47radix_sort_onesweep_sort_config_static_selectorELNS0_4arch9wavefront6targetE0EEEvSG_.num_agpr, 0
	.set _ZN7rocprim17ROCPRIM_400000_NS6detail17trampoline_kernelINS0_14default_configENS1_35radix_sort_onesweep_config_selectorImNS0_10empty_typeEEEZZNS1_29radix_sort_onesweep_iterationIS3_Lb0EPKmPmPS5_SB_mNS0_19identity_decomposerENS1_16block_id_wrapperIjLb0EEEEE10hipError_tT1_PNSt15iterator_traitsISG_E10value_typeET2_T3_PNSH_ISM_E10value_typeET4_T5_PSR_SS_PNS1_23onesweep_lookback_stateEbbT6_jjT7_P12ihipStream_tbENKUlT_T0_SG_SL_E_clISA_SA_SB_SB_EEDaSZ_S10_SG_SL_EUlSZ_E_NS1_11comp_targetILNS1_3genE8ELNS1_11target_archE1030ELNS1_3gpuE2ELNS1_3repE0EEENS1_47radix_sort_onesweep_sort_config_static_selectorELNS0_4arch9wavefront6targetE0EEEvSG_.numbered_sgpr, 0
	.set _ZN7rocprim17ROCPRIM_400000_NS6detail17trampoline_kernelINS0_14default_configENS1_35radix_sort_onesweep_config_selectorImNS0_10empty_typeEEEZZNS1_29radix_sort_onesweep_iterationIS3_Lb0EPKmPmPS5_SB_mNS0_19identity_decomposerENS1_16block_id_wrapperIjLb0EEEEE10hipError_tT1_PNSt15iterator_traitsISG_E10value_typeET2_T3_PNSH_ISM_E10value_typeET4_T5_PSR_SS_PNS1_23onesweep_lookback_stateEbbT6_jjT7_P12ihipStream_tbENKUlT_T0_SG_SL_E_clISA_SA_SB_SB_EEDaSZ_S10_SG_SL_EUlSZ_E_NS1_11comp_targetILNS1_3genE8ELNS1_11target_archE1030ELNS1_3gpuE2ELNS1_3repE0EEENS1_47radix_sort_onesweep_sort_config_static_selectorELNS0_4arch9wavefront6targetE0EEEvSG_.num_named_barrier, 0
	.set _ZN7rocprim17ROCPRIM_400000_NS6detail17trampoline_kernelINS0_14default_configENS1_35radix_sort_onesweep_config_selectorImNS0_10empty_typeEEEZZNS1_29radix_sort_onesweep_iterationIS3_Lb0EPKmPmPS5_SB_mNS0_19identity_decomposerENS1_16block_id_wrapperIjLb0EEEEE10hipError_tT1_PNSt15iterator_traitsISG_E10value_typeET2_T3_PNSH_ISM_E10value_typeET4_T5_PSR_SS_PNS1_23onesweep_lookback_stateEbbT6_jjT7_P12ihipStream_tbENKUlT_T0_SG_SL_E_clISA_SA_SB_SB_EEDaSZ_S10_SG_SL_EUlSZ_E_NS1_11comp_targetILNS1_3genE8ELNS1_11target_archE1030ELNS1_3gpuE2ELNS1_3repE0EEENS1_47radix_sort_onesweep_sort_config_static_selectorELNS0_4arch9wavefront6targetE0EEEvSG_.private_seg_size, 0
	.set _ZN7rocprim17ROCPRIM_400000_NS6detail17trampoline_kernelINS0_14default_configENS1_35radix_sort_onesweep_config_selectorImNS0_10empty_typeEEEZZNS1_29radix_sort_onesweep_iterationIS3_Lb0EPKmPmPS5_SB_mNS0_19identity_decomposerENS1_16block_id_wrapperIjLb0EEEEE10hipError_tT1_PNSt15iterator_traitsISG_E10value_typeET2_T3_PNSH_ISM_E10value_typeET4_T5_PSR_SS_PNS1_23onesweep_lookback_stateEbbT6_jjT7_P12ihipStream_tbENKUlT_T0_SG_SL_E_clISA_SA_SB_SB_EEDaSZ_S10_SG_SL_EUlSZ_E_NS1_11comp_targetILNS1_3genE8ELNS1_11target_archE1030ELNS1_3gpuE2ELNS1_3repE0EEENS1_47radix_sort_onesweep_sort_config_static_selectorELNS0_4arch9wavefront6targetE0EEEvSG_.uses_vcc, 0
	.set _ZN7rocprim17ROCPRIM_400000_NS6detail17trampoline_kernelINS0_14default_configENS1_35radix_sort_onesweep_config_selectorImNS0_10empty_typeEEEZZNS1_29radix_sort_onesweep_iterationIS3_Lb0EPKmPmPS5_SB_mNS0_19identity_decomposerENS1_16block_id_wrapperIjLb0EEEEE10hipError_tT1_PNSt15iterator_traitsISG_E10value_typeET2_T3_PNSH_ISM_E10value_typeET4_T5_PSR_SS_PNS1_23onesweep_lookback_stateEbbT6_jjT7_P12ihipStream_tbENKUlT_T0_SG_SL_E_clISA_SA_SB_SB_EEDaSZ_S10_SG_SL_EUlSZ_E_NS1_11comp_targetILNS1_3genE8ELNS1_11target_archE1030ELNS1_3gpuE2ELNS1_3repE0EEENS1_47radix_sort_onesweep_sort_config_static_selectorELNS0_4arch9wavefront6targetE0EEEvSG_.uses_flat_scratch, 0
	.set _ZN7rocprim17ROCPRIM_400000_NS6detail17trampoline_kernelINS0_14default_configENS1_35radix_sort_onesweep_config_selectorImNS0_10empty_typeEEEZZNS1_29radix_sort_onesweep_iterationIS3_Lb0EPKmPmPS5_SB_mNS0_19identity_decomposerENS1_16block_id_wrapperIjLb0EEEEE10hipError_tT1_PNSt15iterator_traitsISG_E10value_typeET2_T3_PNSH_ISM_E10value_typeET4_T5_PSR_SS_PNS1_23onesweep_lookback_stateEbbT6_jjT7_P12ihipStream_tbENKUlT_T0_SG_SL_E_clISA_SA_SB_SB_EEDaSZ_S10_SG_SL_EUlSZ_E_NS1_11comp_targetILNS1_3genE8ELNS1_11target_archE1030ELNS1_3gpuE2ELNS1_3repE0EEENS1_47radix_sort_onesweep_sort_config_static_selectorELNS0_4arch9wavefront6targetE0EEEvSG_.has_dyn_sized_stack, 0
	.set _ZN7rocprim17ROCPRIM_400000_NS6detail17trampoline_kernelINS0_14default_configENS1_35radix_sort_onesweep_config_selectorImNS0_10empty_typeEEEZZNS1_29radix_sort_onesweep_iterationIS3_Lb0EPKmPmPS5_SB_mNS0_19identity_decomposerENS1_16block_id_wrapperIjLb0EEEEE10hipError_tT1_PNSt15iterator_traitsISG_E10value_typeET2_T3_PNSH_ISM_E10value_typeET4_T5_PSR_SS_PNS1_23onesweep_lookback_stateEbbT6_jjT7_P12ihipStream_tbENKUlT_T0_SG_SL_E_clISA_SA_SB_SB_EEDaSZ_S10_SG_SL_EUlSZ_E_NS1_11comp_targetILNS1_3genE8ELNS1_11target_archE1030ELNS1_3gpuE2ELNS1_3repE0EEENS1_47radix_sort_onesweep_sort_config_static_selectorELNS0_4arch9wavefront6targetE0EEEvSG_.has_recursion, 0
	.set _ZN7rocprim17ROCPRIM_400000_NS6detail17trampoline_kernelINS0_14default_configENS1_35radix_sort_onesweep_config_selectorImNS0_10empty_typeEEEZZNS1_29radix_sort_onesweep_iterationIS3_Lb0EPKmPmPS5_SB_mNS0_19identity_decomposerENS1_16block_id_wrapperIjLb0EEEEE10hipError_tT1_PNSt15iterator_traitsISG_E10value_typeET2_T3_PNSH_ISM_E10value_typeET4_T5_PSR_SS_PNS1_23onesweep_lookback_stateEbbT6_jjT7_P12ihipStream_tbENKUlT_T0_SG_SL_E_clISA_SA_SB_SB_EEDaSZ_S10_SG_SL_EUlSZ_E_NS1_11comp_targetILNS1_3genE8ELNS1_11target_archE1030ELNS1_3gpuE2ELNS1_3repE0EEENS1_47radix_sort_onesweep_sort_config_static_selectorELNS0_4arch9wavefront6targetE0EEEvSG_.has_indirect_call, 0
	.section	.AMDGPU.csdata,"",@progbits
; Kernel info:
; codeLenInByte = 0
; TotalNumSgprs: 0
; NumVgprs: 0
; ScratchSize: 0
; MemoryBound: 0
; FloatMode: 240
; IeeeMode: 1
; LDSByteSize: 0 bytes/workgroup (compile time only)
; SGPRBlocks: 0
; VGPRBlocks: 0
; NumSGPRsForWavesPerEU: 1
; NumVGPRsForWavesPerEU: 1
; NamedBarCnt: 0
; Occupancy: 16
; WaveLimiterHint : 0
; COMPUTE_PGM_RSRC2:SCRATCH_EN: 0
; COMPUTE_PGM_RSRC2:USER_SGPR: 2
; COMPUTE_PGM_RSRC2:TRAP_HANDLER: 0
; COMPUTE_PGM_RSRC2:TGID_X_EN: 1
; COMPUTE_PGM_RSRC2:TGID_Y_EN: 0
; COMPUTE_PGM_RSRC2:TGID_Z_EN: 0
; COMPUTE_PGM_RSRC2:TIDIG_COMP_CNT: 0
	.section	.AMDGPU.gpr_maximums,"",@progbits
	.set amdgpu.max_num_vgpr, 0
	.set amdgpu.max_num_agpr, 0
	.set amdgpu.max_num_sgpr, 0
	.section	.AMDGPU.csdata,"",@progbits
	.protected	_ZN7rocprim17ROCPRIM_400000_NS16block_radix_sortIhLj256ELj4ENS0_10empty_typeELj1ELj1ELj0ELNS0_26block_radix_rank_algorithmE1ELNS0_18block_padding_hintE2ELNS0_4arch9wavefront6targetE0EE19radix_bits_per_passE ; @_ZN7rocprim17ROCPRIM_400000_NS16block_radix_sortIhLj256ELj4ENS0_10empty_typeELj1ELj1ELj0ELNS0_26block_radix_rank_algorithmE1ELNS0_18block_padding_hintE2ELNS0_4arch9wavefront6targetE0EE19radix_bits_per_passE
	.type	_ZN7rocprim17ROCPRIM_400000_NS16block_radix_sortIhLj256ELj4ENS0_10empty_typeELj1ELj1ELj0ELNS0_26block_radix_rank_algorithmE1ELNS0_18block_padding_hintE2ELNS0_4arch9wavefront6targetE0EE19radix_bits_per_passE,@object
	.section	.rodata._ZN7rocprim17ROCPRIM_400000_NS16block_radix_sortIhLj256ELj4ENS0_10empty_typeELj1ELj1ELj0ELNS0_26block_radix_rank_algorithmE1ELNS0_18block_padding_hintE2ELNS0_4arch9wavefront6targetE0EE19radix_bits_per_passE,"aG",@progbits,_ZN7rocprim17ROCPRIM_400000_NS16block_radix_sortIhLj256ELj4ENS0_10empty_typeELj1ELj1ELj0ELNS0_26block_radix_rank_algorithmE1ELNS0_18block_padding_hintE2ELNS0_4arch9wavefront6targetE0EE19radix_bits_per_passE,comdat
	.weak	_ZN7rocprim17ROCPRIM_400000_NS16block_radix_sortIhLj256ELj4ENS0_10empty_typeELj1ELj1ELj0ELNS0_26block_radix_rank_algorithmE1ELNS0_18block_padding_hintE2ELNS0_4arch9wavefront6targetE0EE19radix_bits_per_passE
	.p2align	2, 0x0
_ZN7rocprim17ROCPRIM_400000_NS16block_radix_sortIhLj256ELj4ENS0_10empty_typeELj1ELj1ELj0ELNS0_26block_radix_rank_algorithmE1ELNS0_18block_padding_hintE2ELNS0_4arch9wavefront6targetE0EE19radix_bits_per_passE:
	.long	8                               ; 0x8
	.size	_ZN7rocprim17ROCPRIM_400000_NS16block_radix_sortIhLj256ELj4ENS0_10empty_typeELj1ELj1ELj0ELNS0_26block_radix_rank_algorithmE1ELNS0_18block_padding_hintE2ELNS0_4arch9wavefront6targetE0EE19radix_bits_per_passE, 4

	.protected	_ZN7rocprim17ROCPRIM_400000_NS16block_radix_sortIaLj256ELj4ENS0_10empty_typeELj1ELj1ELj0ELNS0_26block_radix_rank_algorithmE1ELNS0_18block_padding_hintE2ELNS0_4arch9wavefront6targetE0EE19radix_bits_per_passE ; @_ZN7rocprim17ROCPRIM_400000_NS16block_radix_sortIaLj256ELj4ENS0_10empty_typeELj1ELj1ELj0ELNS0_26block_radix_rank_algorithmE1ELNS0_18block_padding_hintE2ELNS0_4arch9wavefront6targetE0EE19radix_bits_per_passE
	.type	_ZN7rocprim17ROCPRIM_400000_NS16block_radix_sortIaLj256ELj4ENS0_10empty_typeELj1ELj1ELj0ELNS0_26block_radix_rank_algorithmE1ELNS0_18block_padding_hintE2ELNS0_4arch9wavefront6targetE0EE19radix_bits_per_passE,@object
	.section	.rodata._ZN7rocprim17ROCPRIM_400000_NS16block_radix_sortIaLj256ELj4ENS0_10empty_typeELj1ELj1ELj0ELNS0_26block_radix_rank_algorithmE1ELNS0_18block_padding_hintE2ELNS0_4arch9wavefront6targetE0EE19radix_bits_per_passE,"aG",@progbits,_ZN7rocprim17ROCPRIM_400000_NS16block_radix_sortIaLj256ELj4ENS0_10empty_typeELj1ELj1ELj0ELNS0_26block_radix_rank_algorithmE1ELNS0_18block_padding_hintE2ELNS0_4arch9wavefront6targetE0EE19radix_bits_per_passE,comdat
	.weak	_ZN7rocprim17ROCPRIM_400000_NS16block_radix_sortIaLj256ELj4ENS0_10empty_typeELj1ELj1ELj0ELNS0_26block_radix_rank_algorithmE1ELNS0_18block_padding_hintE2ELNS0_4arch9wavefront6targetE0EE19radix_bits_per_passE
	.p2align	2, 0x0
_ZN7rocprim17ROCPRIM_400000_NS16block_radix_sortIaLj256ELj4ENS0_10empty_typeELj1ELj1ELj0ELNS0_26block_radix_rank_algorithmE1ELNS0_18block_padding_hintE2ELNS0_4arch9wavefront6targetE0EE19radix_bits_per_passE:
	.long	8                               ; 0x8
	.size	_ZN7rocprim17ROCPRIM_400000_NS16block_radix_sortIaLj256ELj4ENS0_10empty_typeELj1ELj1ELj0ELNS0_26block_radix_rank_algorithmE1ELNS0_18block_padding_hintE2ELNS0_4arch9wavefront6targetE0EE19radix_bits_per_passE, 4

	.protected	_ZN7rocprim17ROCPRIM_400000_NS16block_radix_sortIsLj256ELj4ENS0_10empty_typeELj1ELj1ELj0ELNS0_26block_radix_rank_algorithmE1ELNS0_18block_padding_hintE2ELNS0_4arch9wavefront6targetE0EE19radix_bits_per_passE ; @_ZN7rocprim17ROCPRIM_400000_NS16block_radix_sortIsLj256ELj4ENS0_10empty_typeELj1ELj1ELj0ELNS0_26block_radix_rank_algorithmE1ELNS0_18block_padding_hintE2ELNS0_4arch9wavefront6targetE0EE19radix_bits_per_passE
	.type	_ZN7rocprim17ROCPRIM_400000_NS16block_radix_sortIsLj256ELj4ENS0_10empty_typeELj1ELj1ELj0ELNS0_26block_radix_rank_algorithmE1ELNS0_18block_padding_hintE2ELNS0_4arch9wavefront6targetE0EE19radix_bits_per_passE,@object
	.section	.rodata._ZN7rocprim17ROCPRIM_400000_NS16block_radix_sortIsLj256ELj4ENS0_10empty_typeELj1ELj1ELj0ELNS0_26block_radix_rank_algorithmE1ELNS0_18block_padding_hintE2ELNS0_4arch9wavefront6targetE0EE19radix_bits_per_passE,"aG",@progbits,_ZN7rocprim17ROCPRIM_400000_NS16block_radix_sortIsLj256ELj4ENS0_10empty_typeELj1ELj1ELj0ELNS0_26block_radix_rank_algorithmE1ELNS0_18block_padding_hintE2ELNS0_4arch9wavefront6targetE0EE19radix_bits_per_passE,comdat
	.weak	_ZN7rocprim17ROCPRIM_400000_NS16block_radix_sortIsLj256ELj4ENS0_10empty_typeELj1ELj1ELj0ELNS0_26block_radix_rank_algorithmE1ELNS0_18block_padding_hintE2ELNS0_4arch9wavefront6targetE0EE19radix_bits_per_passE
	.p2align	2, 0x0
_ZN7rocprim17ROCPRIM_400000_NS16block_radix_sortIsLj256ELj4ENS0_10empty_typeELj1ELj1ELj0ELNS0_26block_radix_rank_algorithmE1ELNS0_18block_padding_hintE2ELNS0_4arch9wavefront6targetE0EE19radix_bits_per_passE:
	.long	8                               ; 0x8
	.size	_ZN7rocprim17ROCPRIM_400000_NS16block_radix_sortIsLj256ELj4ENS0_10empty_typeELj1ELj1ELj0ELNS0_26block_radix_rank_algorithmE1ELNS0_18block_padding_hintE2ELNS0_4arch9wavefront6targetE0EE19radix_bits_per_passE, 4

	.protected	_ZN7rocprim17ROCPRIM_400000_NS16block_radix_sortIiLj256ELj4ENS0_10empty_typeELj1ELj1ELj0ELNS0_26block_radix_rank_algorithmE1ELNS0_18block_padding_hintE2ELNS0_4arch9wavefront6targetE0EE19radix_bits_per_passE ; @_ZN7rocprim17ROCPRIM_400000_NS16block_radix_sortIiLj256ELj4ENS0_10empty_typeELj1ELj1ELj0ELNS0_26block_radix_rank_algorithmE1ELNS0_18block_padding_hintE2ELNS0_4arch9wavefront6targetE0EE19radix_bits_per_passE
	.type	_ZN7rocprim17ROCPRIM_400000_NS16block_radix_sortIiLj256ELj4ENS0_10empty_typeELj1ELj1ELj0ELNS0_26block_radix_rank_algorithmE1ELNS0_18block_padding_hintE2ELNS0_4arch9wavefront6targetE0EE19radix_bits_per_passE,@object
	.section	.rodata._ZN7rocprim17ROCPRIM_400000_NS16block_radix_sortIiLj256ELj4ENS0_10empty_typeELj1ELj1ELj0ELNS0_26block_radix_rank_algorithmE1ELNS0_18block_padding_hintE2ELNS0_4arch9wavefront6targetE0EE19radix_bits_per_passE,"aG",@progbits,_ZN7rocprim17ROCPRIM_400000_NS16block_radix_sortIiLj256ELj4ENS0_10empty_typeELj1ELj1ELj0ELNS0_26block_radix_rank_algorithmE1ELNS0_18block_padding_hintE2ELNS0_4arch9wavefront6targetE0EE19radix_bits_per_passE,comdat
	.weak	_ZN7rocprim17ROCPRIM_400000_NS16block_radix_sortIiLj256ELj4ENS0_10empty_typeELj1ELj1ELj0ELNS0_26block_radix_rank_algorithmE1ELNS0_18block_padding_hintE2ELNS0_4arch9wavefront6targetE0EE19radix_bits_per_passE
	.p2align	2, 0x0
_ZN7rocprim17ROCPRIM_400000_NS16block_radix_sortIiLj256ELj4ENS0_10empty_typeELj1ELj1ELj0ELNS0_26block_radix_rank_algorithmE1ELNS0_18block_padding_hintE2ELNS0_4arch9wavefront6targetE0EE19radix_bits_per_passE:
	.long	8                               ; 0x8
	.size	_ZN7rocprim17ROCPRIM_400000_NS16block_radix_sortIiLj256ELj4ENS0_10empty_typeELj1ELj1ELj0ELNS0_26block_radix_rank_algorithmE1ELNS0_18block_padding_hintE2ELNS0_4arch9wavefront6targetE0EE19radix_bits_per_passE, 4

	.protected	_ZN7rocprim17ROCPRIM_400000_NS16block_radix_sortIlLj256ELj4ENS0_10empty_typeELj1ELj1ELj0ELNS0_26block_radix_rank_algorithmE1ELNS0_18block_padding_hintE2ELNS0_4arch9wavefront6targetE0EE19radix_bits_per_passE ; @_ZN7rocprim17ROCPRIM_400000_NS16block_radix_sortIlLj256ELj4ENS0_10empty_typeELj1ELj1ELj0ELNS0_26block_radix_rank_algorithmE1ELNS0_18block_padding_hintE2ELNS0_4arch9wavefront6targetE0EE19radix_bits_per_passE
	.type	_ZN7rocprim17ROCPRIM_400000_NS16block_radix_sortIlLj256ELj4ENS0_10empty_typeELj1ELj1ELj0ELNS0_26block_radix_rank_algorithmE1ELNS0_18block_padding_hintE2ELNS0_4arch9wavefront6targetE0EE19radix_bits_per_passE,@object
	.section	.rodata._ZN7rocprim17ROCPRIM_400000_NS16block_radix_sortIlLj256ELj4ENS0_10empty_typeELj1ELj1ELj0ELNS0_26block_radix_rank_algorithmE1ELNS0_18block_padding_hintE2ELNS0_4arch9wavefront6targetE0EE19radix_bits_per_passE,"aG",@progbits,_ZN7rocprim17ROCPRIM_400000_NS16block_radix_sortIlLj256ELj4ENS0_10empty_typeELj1ELj1ELj0ELNS0_26block_radix_rank_algorithmE1ELNS0_18block_padding_hintE2ELNS0_4arch9wavefront6targetE0EE19radix_bits_per_passE,comdat
	.weak	_ZN7rocprim17ROCPRIM_400000_NS16block_radix_sortIlLj256ELj4ENS0_10empty_typeELj1ELj1ELj0ELNS0_26block_radix_rank_algorithmE1ELNS0_18block_padding_hintE2ELNS0_4arch9wavefront6targetE0EE19radix_bits_per_passE
	.p2align	2, 0x0
_ZN7rocprim17ROCPRIM_400000_NS16block_radix_sortIlLj256ELj4ENS0_10empty_typeELj1ELj1ELj0ELNS0_26block_radix_rank_algorithmE1ELNS0_18block_padding_hintE2ELNS0_4arch9wavefront6targetE0EE19radix_bits_per_passE:
	.long	8                               ; 0x8
	.size	_ZN7rocprim17ROCPRIM_400000_NS16block_radix_sortIlLj256ELj4ENS0_10empty_typeELj1ELj1ELj0ELNS0_26block_radix_rank_algorithmE1ELNS0_18block_padding_hintE2ELNS0_4arch9wavefront6targetE0EE19radix_bits_per_passE, 4

	.protected	_ZN7rocprim17ROCPRIM_400000_NS16block_radix_sortIfLj256ELj4ENS0_10empty_typeELj1ELj1ELj0ELNS0_26block_radix_rank_algorithmE1ELNS0_18block_padding_hintE2ELNS0_4arch9wavefront6targetE0EE19radix_bits_per_passE ; @_ZN7rocprim17ROCPRIM_400000_NS16block_radix_sortIfLj256ELj4ENS0_10empty_typeELj1ELj1ELj0ELNS0_26block_radix_rank_algorithmE1ELNS0_18block_padding_hintE2ELNS0_4arch9wavefront6targetE0EE19radix_bits_per_passE
	.type	_ZN7rocprim17ROCPRIM_400000_NS16block_radix_sortIfLj256ELj4ENS0_10empty_typeELj1ELj1ELj0ELNS0_26block_radix_rank_algorithmE1ELNS0_18block_padding_hintE2ELNS0_4arch9wavefront6targetE0EE19radix_bits_per_passE,@object
	.section	.rodata._ZN7rocprim17ROCPRIM_400000_NS16block_radix_sortIfLj256ELj4ENS0_10empty_typeELj1ELj1ELj0ELNS0_26block_radix_rank_algorithmE1ELNS0_18block_padding_hintE2ELNS0_4arch9wavefront6targetE0EE19radix_bits_per_passE,"aG",@progbits,_ZN7rocprim17ROCPRIM_400000_NS16block_radix_sortIfLj256ELj4ENS0_10empty_typeELj1ELj1ELj0ELNS0_26block_radix_rank_algorithmE1ELNS0_18block_padding_hintE2ELNS0_4arch9wavefront6targetE0EE19radix_bits_per_passE,comdat
	.weak	_ZN7rocprim17ROCPRIM_400000_NS16block_radix_sortIfLj256ELj4ENS0_10empty_typeELj1ELj1ELj0ELNS0_26block_radix_rank_algorithmE1ELNS0_18block_padding_hintE2ELNS0_4arch9wavefront6targetE0EE19radix_bits_per_passE
	.p2align	2, 0x0
_ZN7rocprim17ROCPRIM_400000_NS16block_radix_sortIfLj256ELj4ENS0_10empty_typeELj1ELj1ELj0ELNS0_26block_radix_rank_algorithmE1ELNS0_18block_padding_hintE2ELNS0_4arch9wavefront6targetE0EE19radix_bits_per_passE:
	.long	8                               ; 0x8
	.size	_ZN7rocprim17ROCPRIM_400000_NS16block_radix_sortIfLj256ELj4ENS0_10empty_typeELj1ELj1ELj0ELNS0_26block_radix_rank_algorithmE1ELNS0_18block_padding_hintE2ELNS0_4arch9wavefront6targetE0EE19radix_bits_per_passE, 4

	.protected	_ZN7rocprim17ROCPRIM_400000_NS16block_radix_sortIdLj256ELj4ENS0_10empty_typeELj1ELj1ELj0ELNS0_26block_radix_rank_algorithmE1ELNS0_18block_padding_hintE2ELNS0_4arch9wavefront6targetE0EE19radix_bits_per_passE ; @_ZN7rocprim17ROCPRIM_400000_NS16block_radix_sortIdLj256ELj4ENS0_10empty_typeELj1ELj1ELj0ELNS0_26block_radix_rank_algorithmE1ELNS0_18block_padding_hintE2ELNS0_4arch9wavefront6targetE0EE19radix_bits_per_passE
	.type	_ZN7rocprim17ROCPRIM_400000_NS16block_radix_sortIdLj256ELj4ENS0_10empty_typeELj1ELj1ELj0ELNS0_26block_radix_rank_algorithmE1ELNS0_18block_padding_hintE2ELNS0_4arch9wavefront6targetE0EE19radix_bits_per_passE,@object
	.section	.rodata._ZN7rocprim17ROCPRIM_400000_NS16block_radix_sortIdLj256ELj4ENS0_10empty_typeELj1ELj1ELj0ELNS0_26block_radix_rank_algorithmE1ELNS0_18block_padding_hintE2ELNS0_4arch9wavefront6targetE0EE19radix_bits_per_passE,"aG",@progbits,_ZN7rocprim17ROCPRIM_400000_NS16block_radix_sortIdLj256ELj4ENS0_10empty_typeELj1ELj1ELj0ELNS0_26block_radix_rank_algorithmE1ELNS0_18block_padding_hintE2ELNS0_4arch9wavefront6targetE0EE19radix_bits_per_passE,comdat
	.weak	_ZN7rocprim17ROCPRIM_400000_NS16block_radix_sortIdLj256ELj4ENS0_10empty_typeELj1ELj1ELj0ELNS0_26block_radix_rank_algorithmE1ELNS0_18block_padding_hintE2ELNS0_4arch9wavefront6targetE0EE19radix_bits_per_passE
	.p2align	2, 0x0
_ZN7rocprim17ROCPRIM_400000_NS16block_radix_sortIdLj256ELj4ENS0_10empty_typeELj1ELj1ELj0ELNS0_26block_radix_rank_algorithmE1ELNS0_18block_padding_hintE2ELNS0_4arch9wavefront6targetE0EE19radix_bits_per_passE:
	.long	8                               ; 0x8
	.size	_ZN7rocprim17ROCPRIM_400000_NS16block_radix_sortIdLj256ELj4ENS0_10empty_typeELj1ELj1ELj0ELNS0_26block_radix_rank_algorithmE1ELNS0_18block_padding_hintE2ELNS0_4arch9wavefront6targetE0EE19radix_bits_per_passE, 4

	.protected	_ZN7rocprim17ROCPRIM_400000_NS16block_radix_sortIbLj256ELj4ENS0_10empty_typeELj1ELj1ELj0ELNS0_26block_radix_rank_algorithmE1ELNS0_18block_padding_hintE2ELNS0_4arch9wavefront6targetE0EE19radix_bits_per_passE ; @_ZN7rocprim17ROCPRIM_400000_NS16block_radix_sortIbLj256ELj4ENS0_10empty_typeELj1ELj1ELj0ELNS0_26block_radix_rank_algorithmE1ELNS0_18block_padding_hintE2ELNS0_4arch9wavefront6targetE0EE19radix_bits_per_passE
	.type	_ZN7rocprim17ROCPRIM_400000_NS16block_radix_sortIbLj256ELj4ENS0_10empty_typeELj1ELj1ELj0ELNS0_26block_radix_rank_algorithmE1ELNS0_18block_padding_hintE2ELNS0_4arch9wavefront6targetE0EE19radix_bits_per_passE,@object
	.section	.rodata._ZN7rocprim17ROCPRIM_400000_NS16block_radix_sortIbLj256ELj4ENS0_10empty_typeELj1ELj1ELj0ELNS0_26block_radix_rank_algorithmE1ELNS0_18block_padding_hintE2ELNS0_4arch9wavefront6targetE0EE19radix_bits_per_passE,"aG",@progbits,_ZN7rocprim17ROCPRIM_400000_NS16block_radix_sortIbLj256ELj4ENS0_10empty_typeELj1ELj1ELj0ELNS0_26block_radix_rank_algorithmE1ELNS0_18block_padding_hintE2ELNS0_4arch9wavefront6targetE0EE19radix_bits_per_passE,comdat
	.weak	_ZN7rocprim17ROCPRIM_400000_NS16block_radix_sortIbLj256ELj4ENS0_10empty_typeELj1ELj1ELj0ELNS0_26block_radix_rank_algorithmE1ELNS0_18block_padding_hintE2ELNS0_4arch9wavefront6targetE0EE19radix_bits_per_passE
	.p2align	2, 0x0
_ZN7rocprim17ROCPRIM_400000_NS16block_radix_sortIbLj256ELj4ENS0_10empty_typeELj1ELj1ELj0ELNS0_26block_radix_rank_algorithmE1ELNS0_18block_padding_hintE2ELNS0_4arch9wavefront6targetE0EE19radix_bits_per_passE:
	.long	8                               ; 0x8
	.size	_ZN7rocprim17ROCPRIM_400000_NS16block_radix_sortIbLj256ELj4ENS0_10empty_typeELj1ELj1ELj0ELNS0_26block_radix_rank_algorithmE1ELNS0_18block_padding_hintE2ELNS0_4arch9wavefront6targetE0EE19radix_bits_per_passE, 4

	.protected	_ZN7rocprim17ROCPRIM_400000_NS16block_radix_sortI12hip_bfloat16Lj256ELj4ENS0_10empty_typeELj1ELj1ELj0ELNS0_26block_radix_rank_algorithmE1ELNS0_18block_padding_hintE2ELNS0_4arch9wavefront6targetE0EE19radix_bits_per_passE ; @_ZN7rocprim17ROCPRIM_400000_NS16block_radix_sortI12hip_bfloat16Lj256ELj4ENS0_10empty_typeELj1ELj1ELj0ELNS0_26block_radix_rank_algorithmE1ELNS0_18block_padding_hintE2ELNS0_4arch9wavefront6targetE0EE19radix_bits_per_passE
	.type	_ZN7rocprim17ROCPRIM_400000_NS16block_radix_sortI12hip_bfloat16Lj256ELj4ENS0_10empty_typeELj1ELj1ELj0ELNS0_26block_radix_rank_algorithmE1ELNS0_18block_padding_hintE2ELNS0_4arch9wavefront6targetE0EE19radix_bits_per_passE,@object
	.section	.rodata._ZN7rocprim17ROCPRIM_400000_NS16block_radix_sortI12hip_bfloat16Lj256ELj4ENS0_10empty_typeELj1ELj1ELj0ELNS0_26block_radix_rank_algorithmE1ELNS0_18block_padding_hintE2ELNS0_4arch9wavefront6targetE0EE19radix_bits_per_passE,"aG",@progbits,_ZN7rocprim17ROCPRIM_400000_NS16block_radix_sortI12hip_bfloat16Lj256ELj4ENS0_10empty_typeELj1ELj1ELj0ELNS0_26block_radix_rank_algorithmE1ELNS0_18block_padding_hintE2ELNS0_4arch9wavefront6targetE0EE19radix_bits_per_passE,comdat
	.weak	_ZN7rocprim17ROCPRIM_400000_NS16block_radix_sortI12hip_bfloat16Lj256ELj4ENS0_10empty_typeELj1ELj1ELj0ELNS0_26block_radix_rank_algorithmE1ELNS0_18block_padding_hintE2ELNS0_4arch9wavefront6targetE0EE19radix_bits_per_passE
	.p2align	2, 0x0
_ZN7rocprim17ROCPRIM_400000_NS16block_radix_sortI12hip_bfloat16Lj256ELj4ENS0_10empty_typeELj1ELj1ELj0ELNS0_26block_radix_rank_algorithmE1ELNS0_18block_padding_hintE2ELNS0_4arch9wavefront6targetE0EE19radix_bits_per_passE:
	.long	8                               ; 0x8
	.size	_ZN7rocprim17ROCPRIM_400000_NS16block_radix_sortI12hip_bfloat16Lj256ELj4ENS0_10empty_typeELj1ELj1ELj0ELNS0_26block_radix_rank_algorithmE1ELNS0_18block_padding_hintE2ELNS0_4arch9wavefront6targetE0EE19radix_bits_per_passE, 4

	.protected	_ZN7rocprim17ROCPRIM_400000_NS16block_radix_sortI6__halfLj256ELj4ENS0_10empty_typeELj1ELj1ELj0ELNS0_26block_radix_rank_algorithmE1ELNS0_18block_padding_hintE2ELNS0_4arch9wavefront6targetE0EE19radix_bits_per_passE ; @_ZN7rocprim17ROCPRIM_400000_NS16block_radix_sortI6__halfLj256ELj4ENS0_10empty_typeELj1ELj1ELj0ELNS0_26block_radix_rank_algorithmE1ELNS0_18block_padding_hintE2ELNS0_4arch9wavefront6targetE0EE19radix_bits_per_passE
	.type	_ZN7rocprim17ROCPRIM_400000_NS16block_radix_sortI6__halfLj256ELj4ENS0_10empty_typeELj1ELj1ELj0ELNS0_26block_radix_rank_algorithmE1ELNS0_18block_padding_hintE2ELNS0_4arch9wavefront6targetE0EE19radix_bits_per_passE,@object
	.section	.rodata._ZN7rocprim17ROCPRIM_400000_NS16block_radix_sortI6__halfLj256ELj4ENS0_10empty_typeELj1ELj1ELj0ELNS0_26block_radix_rank_algorithmE1ELNS0_18block_padding_hintE2ELNS0_4arch9wavefront6targetE0EE19radix_bits_per_passE,"aG",@progbits,_ZN7rocprim17ROCPRIM_400000_NS16block_radix_sortI6__halfLj256ELj4ENS0_10empty_typeELj1ELj1ELj0ELNS0_26block_radix_rank_algorithmE1ELNS0_18block_padding_hintE2ELNS0_4arch9wavefront6targetE0EE19radix_bits_per_passE,comdat
	.weak	_ZN7rocprim17ROCPRIM_400000_NS16block_radix_sortI6__halfLj256ELj4ENS0_10empty_typeELj1ELj1ELj0ELNS0_26block_radix_rank_algorithmE1ELNS0_18block_padding_hintE2ELNS0_4arch9wavefront6targetE0EE19radix_bits_per_passE
	.p2align	2, 0x0
_ZN7rocprim17ROCPRIM_400000_NS16block_radix_sortI6__halfLj256ELj4ENS0_10empty_typeELj1ELj1ELj0ELNS0_26block_radix_rank_algorithmE1ELNS0_18block_padding_hintE2ELNS0_4arch9wavefront6targetE0EE19radix_bits_per_passE:
	.long	8                               ; 0x8
	.size	_ZN7rocprim17ROCPRIM_400000_NS16block_radix_sortI6__halfLj256ELj4ENS0_10empty_typeELj1ELj1ELj0ELNS0_26block_radix_rank_algorithmE1ELNS0_18block_padding_hintE2ELNS0_4arch9wavefront6targetE0EE19radix_bits_per_passE, 4

	.protected	_ZN7rocprim17ROCPRIM_400000_NS16block_radix_sortItLj256ELj4ENS0_10empty_typeELj1ELj1ELj0ELNS0_26block_radix_rank_algorithmE1ELNS0_18block_padding_hintE2ELNS0_4arch9wavefront6targetE0EE19radix_bits_per_passE ; @_ZN7rocprim17ROCPRIM_400000_NS16block_radix_sortItLj256ELj4ENS0_10empty_typeELj1ELj1ELj0ELNS0_26block_radix_rank_algorithmE1ELNS0_18block_padding_hintE2ELNS0_4arch9wavefront6targetE0EE19radix_bits_per_passE
	.type	_ZN7rocprim17ROCPRIM_400000_NS16block_radix_sortItLj256ELj4ENS0_10empty_typeELj1ELj1ELj0ELNS0_26block_radix_rank_algorithmE1ELNS0_18block_padding_hintE2ELNS0_4arch9wavefront6targetE0EE19radix_bits_per_passE,@object
	.section	.rodata._ZN7rocprim17ROCPRIM_400000_NS16block_radix_sortItLj256ELj4ENS0_10empty_typeELj1ELj1ELj0ELNS0_26block_radix_rank_algorithmE1ELNS0_18block_padding_hintE2ELNS0_4arch9wavefront6targetE0EE19radix_bits_per_passE,"aG",@progbits,_ZN7rocprim17ROCPRIM_400000_NS16block_radix_sortItLj256ELj4ENS0_10empty_typeELj1ELj1ELj0ELNS0_26block_radix_rank_algorithmE1ELNS0_18block_padding_hintE2ELNS0_4arch9wavefront6targetE0EE19radix_bits_per_passE,comdat
	.weak	_ZN7rocprim17ROCPRIM_400000_NS16block_radix_sortItLj256ELj4ENS0_10empty_typeELj1ELj1ELj0ELNS0_26block_radix_rank_algorithmE1ELNS0_18block_padding_hintE2ELNS0_4arch9wavefront6targetE0EE19radix_bits_per_passE
	.p2align	2, 0x0
_ZN7rocprim17ROCPRIM_400000_NS16block_radix_sortItLj256ELj4ENS0_10empty_typeELj1ELj1ELj0ELNS0_26block_radix_rank_algorithmE1ELNS0_18block_padding_hintE2ELNS0_4arch9wavefront6targetE0EE19radix_bits_per_passE:
	.long	8                               ; 0x8
	.size	_ZN7rocprim17ROCPRIM_400000_NS16block_radix_sortItLj256ELj4ENS0_10empty_typeELj1ELj1ELj0ELNS0_26block_radix_rank_algorithmE1ELNS0_18block_padding_hintE2ELNS0_4arch9wavefront6targetE0EE19radix_bits_per_passE, 4

	.protected	_ZN7rocprim17ROCPRIM_400000_NS16block_radix_sortIjLj256ELj4ENS0_10empty_typeELj1ELj1ELj0ELNS0_26block_radix_rank_algorithmE1ELNS0_18block_padding_hintE2ELNS0_4arch9wavefront6targetE0EE19radix_bits_per_passE ; @_ZN7rocprim17ROCPRIM_400000_NS16block_radix_sortIjLj256ELj4ENS0_10empty_typeELj1ELj1ELj0ELNS0_26block_radix_rank_algorithmE1ELNS0_18block_padding_hintE2ELNS0_4arch9wavefront6targetE0EE19radix_bits_per_passE
	.type	_ZN7rocprim17ROCPRIM_400000_NS16block_radix_sortIjLj256ELj4ENS0_10empty_typeELj1ELj1ELj0ELNS0_26block_radix_rank_algorithmE1ELNS0_18block_padding_hintE2ELNS0_4arch9wavefront6targetE0EE19radix_bits_per_passE,@object
	.section	.rodata._ZN7rocprim17ROCPRIM_400000_NS16block_radix_sortIjLj256ELj4ENS0_10empty_typeELj1ELj1ELj0ELNS0_26block_radix_rank_algorithmE1ELNS0_18block_padding_hintE2ELNS0_4arch9wavefront6targetE0EE19radix_bits_per_passE,"aG",@progbits,_ZN7rocprim17ROCPRIM_400000_NS16block_radix_sortIjLj256ELj4ENS0_10empty_typeELj1ELj1ELj0ELNS0_26block_radix_rank_algorithmE1ELNS0_18block_padding_hintE2ELNS0_4arch9wavefront6targetE0EE19radix_bits_per_passE,comdat
	.weak	_ZN7rocprim17ROCPRIM_400000_NS16block_radix_sortIjLj256ELj4ENS0_10empty_typeELj1ELj1ELj0ELNS0_26block_radix_rank_algorithmE1ELNS0_18block_padding_hintE2ELNS0_4arch9wavefront6targetE0EE19radix_bits_per_passE
	.p2align	2, 0x0
_ZN7rocprim17ROCPRIM_400000_NS16block_radix_sortIjLj256ELj4ENS0_10empty_typeELj1ELj1ELj0ELNS0_26block_radix_rank_algorithmE1ELNS0_18block_padding_hintE2ELNS0_4arch9wavefront6targetE0EE19radix_bits_per_passE:
	.long	8                               ; 0x8
	.size	_ZN7rocprim17ROCPRIM_400000_NS16block_radix_sortIjLj256ELj4ENS0_10empty_typeELj1ELj1ELj0ELNS0_26block_radix_rank_algorithmE1ELNS0_18block_padding_hintE2ELNS0_4arch9wavefront6targetE0EE19radix_bits_per_passE, 4

	.protected	_ZN7rocprim17ROCPRIM_400000_NS16block_radix_sortImLj256ELj4ENS0_10empty_typeELj1ELj1ELj0ELNS0_26block_radix_rank_algorithmE1ELNS0_18block_padding_hintE2ELNS0_4arch9wavefront6targetE0EE19radix_bits_per_passE ; @_ZN7rocprim17ROCPRIM_400000_NS16block_radix_sortImLj256ELj4ENS0_10empty_typeELj1ELj1ELj0ELNS0_26block_radix_rank_algorithmE1ELNS0_18block_padding_hintE2ELNS0_4arch9wavefront6targetE0EE19radix_bits_per_passE
	.type	_ZN7rocprim17ROCPRIM_400000_NS16block_radix_sortImLj256ELj4ENS0_10empty_typeELj1ELj1ELj0ELNS0_26block_radix_rank_algorithmE1ELNS0_18block_padding_hintE2ELNS0_4arch9wavefront6targetE0EE19radix_bits_per_passE,@object
	.section	.rodata._ZN7rocprim17ROCPRIM_400000_NS16block_radix_sortImLj256ELj4ENS0_10empty_typeELj1ELj1ELj0ELNS0_26block_radix_rank_algorithmE1ELNS0_18block_padding_hintE2ELNS0_4arch9wavefront6targetE0EE19radix_bits_per_passE,"aG",@progbits,_ZN7rocprim17ROCPRIM_400000_NS16block_radix_sortImLj256ELj4ENS0_10empty_typeELj1ELj1ELj0ELNS0_26block_radix_rank_algorithmE1ELNS0_18block_padding_hintE2ELNS0_4arch9wavefront6targetE0EE19radix_bits_per_passE,comdat
	.weak	_ZN7rocprim17ROCPRIM_400000_NS16block_radix_sortImLj256ELj4ENS0_10empty_typeELj1ELj1ELj0ELNS0_26block_radix_rank_algorithmE1ELNS0_18block_padding_hintE2ELNS0_4arch9wavefront6targetE0EE19radix_bits_per_passE
	.p2align	2, 0x0
_ZN7rocprim17ROCPRIM_400000_NS16block_radix_sortImLj256ELj4ENS0_10empty_typeELj1ELj1ELj0ELNS0_26block_radix_rank_algorithmE1ELNS0_18block_padding_hintE2ELNS0_4arch9wavefront6targetE0EE19radix_bits_per_passE:
	.long	8                               ; 0x8
	.size	_ZN7rocprim17ROCPRIM_400000_NS16block_radix_sortImLj256ELj4ENS0_10empty_typeELj1ELj1ELj0ELNS0_26block_radix_rank_algorithmE1ELNS0_18block_padding_hintE2ELNS0_4arch9wavefront6targetE0EE19radix_bits_per_passE, 4

	.type	__hip_cuid_bafb7c516c51b7b,@object ; @__hip_cuid_bafb7c516c51b7b
	.section	.bss,"aw",@nobits
	.globl	__hip_cuid_bafb7c516c51b7b
__hip_cuid_bafb7c516c51b7b:
	.byte	0                               ; 0x0
	.size	__hip_cuid_bafb7c516c51b7b, 1

	.ident	"AMD clang version 22.0.0git (https://github.com/RadeonOpenCompute/llvm-project roc-7.2.4 26084 f58b06dce1f9c15707c5f808fd002e18c2accf7e)"
	.section	".note.GNU-stack","",@progbits
	.addrsig
	.addrsig_sym __hip_cuid_bafb7c516c51b7b
	.amdgpu_metadata
---
amdhsa.kernels:
  - .args:
      - .offset:         0
        .size:           48
        .value_kind:     by_value
      - .offset:         48
        .size:           4
        .value_kind:     hidden_block_count_x
      - .offset:         52
        .size:           4
        .value_kind:     hidden_block_count_y
      - .offset:         56
        .size:           4
        .value_kind:     hidden_block_count_z
      - .offset:         60
        .size:           2
        .value_kind:     hidden_group_size_x
      - .offset:         62
        .size:           2
        .value_kind:     hidden_group_size_y
      - .offset:         64
        .size:           2
        .value_kind:     hidden_group_size_z
      - .offset:         66
        .size:           2
        .value_kind:     hidden_remainder_x
      - .offset:         68
        .size:           2
        .value_kind:     hidden_remainder_y
      - .offset:         70
        .size:           2
        .value_kind:     hidden_remainder_z
      - .offset:         88
        .size:           8
        .value_kind:     hidden_global_offset_x
      - .offset:         96
        .size:           8
        .value_kind:     hidden_global_offset_y
      - .offset:         104
        .size:           8
        .value_kind:     hidden_global_offset_z
      - .offset:         112
        .size:           2
        .value_kind:     hidden_grid_dims
    .group_segment_fixed_size: 8224
    .kernarg_segment_align: 8
    .kernarg_segment_size: 304
    .language:       OpenCL C
    .language_version:
      - 2
      - 0
    .max_flat_workgroup_size: 256
    .name:           _ZN7rocprim17ROCPRIM_400000_NS6detail17trampoline_kernelINS0_13kernel_configILj256ELj4ELj4294967295EEENS1_37radix_sort_block_sort_config_selectorIhNS0_10empty_typeEEEZNS1_21radix_sort_block_sortIS4_Lb1EPKhPhPS6_SC_NS0_19identity_decomposerEEE10hipError_tT1_T2_T3_T4_jRjT5_jjP12ihipStream_tbEUlT_E_NS1_11comp_targetILNS1_3genE0ELNS1_11target_archE4294967295ELNS1_3gpuE0ELNS1_3repE0EEENS1_44radix_sort_block_sort_config_static_selectorELNS0_4arch9wavefront6targetE0EEEvSF_
    .private_segment_fixed_size: 0
    .sgpr_count:     31
    .sgpr_spill_count: 0
    .symbol:         _ZN7rocprim17ROCPRIM_400000_NS6detail17trampoline_kernelINS0_13kernel_configILj256ELj4ELj4294967295EEENS1_37radix_sort_block_sort_config_selectorIhNS0_10empty_typeEEEZNS1_21radix_sort_block_sortIS4_Lb1EPKhPhPS6_SC_NS0_19identity_decomposerEEE10hipError_tT1_T2_T3_T4_jRjT5_jjP12ihipStream_tbEUlT_E_NS1_11comp_targetILNS1_3genE0ELNS1_11target_archE4294967295ELNS1_3gpuE0ELNS1_3repE0EEENS1_44radix_sort_block_sort_config_static_selectorELNS0_4arch9wavefront6targetE0EEEvSF_.kd
    .uniform_work_group_size: 1
    .uses_dynamic_stack: false
    .vgpr_count:     36
    .vgpr_spill_count: 0
    .wavefront_size: 32
  - .args:
      - .offset:         0
        .size:           48
        .value_kind:     by_value
    .group_segment_fixed_size: 0
    .kernarg_segment_align: 8
    .kernarg_segment_size: 48
    .language:       OpenCL C
    .language_version:
      - 2
      - 0
    .max_flat_workgroup_size: 256
    .name:           _ZN7rocprim17ROCPRIM_400000_NS6detail17trampoline_kernelINS0_13kernel_configILj256ELj4ELj4294967295EEENS1_37radix_sort_block_sort_config_selectorIhNS0_10empty_typeEEEZNS1_21radix_sort_block_sortIS4_Lb1EPKhPhPS6_SC_NS0_19identity_decomposerEEE10hipError_tT1_T2_T3_T4_jRjT5_jjP12ihipStream_tbEUlT_E_NS1_11comp_targetILNS1_3genE5ELNS1_11target_archE942ELNS1_3gpuE9ELNS1_3repE0EEENS1_44radix_sort_block_sort_config_static_selectorELNS0_4arch9wavefront6targetE0EEEvSF_
    .private_segment_fixed_size: 0
    .sgpr_count:     0
    .sgpr_spill_count: 0
    .symbol:         _ZN7rocprim17ROCPRIM_400000_NS6detail17trampoline_kernelINS0_13kernel_configILj256ELj4ELj4294967295EEENS1_37radix_sort_block_sort_config_selectorIhNS0_10empty_typeEEEZNS1_21radix_sort_block_sortIS4_Lb1EPKhPhPS6_SC_NS0_19identity_decomposerEEE10hipError_tT1_T2_T3_T4_jRjT5_jjP12ihipStream_tbEUlT_E_NS1_11comp_targetILNS1_3genE5ELNS1_11target_archE942ELNS1_3gpuE9ELNS1_3repE0EEENS1_44radix_sort_block_sort_config_static_selectorELNS0_4arch9wavefront6targetE0EEEvSF_.kd
    .uniform_work_group_size: 1
    .uses_dynamic_stack: false
    .vgpr_count:     0
    .vgpr_spill_count: 0
    .wavefront_size: 32
  - .args:
      - .offset:         0
        .size:           48
        .value_kind:     by_value
    .group_segment_fixed_size: 0
    .kernarg_segment_align: 8
    .kernarg_segment_size: 48
    .language:       OpenCL C
    .language_version:
      - 2
      - 0
    .max_flat_workgroup_size: 256
    .name:           _ZN7rocprim17ROCPRIM_400000_NS6detail17trampoline_kernelINS0_13kernel_configILj256ELj4ELj4294967295EEENS1_37radix_sort_block_sort_config_selectorIhNS0_10empty_typeEEEZNS1_21radix_sort_block_sortIS4_Lb1EPKhPhPS6_SC_NS0_19identity_decomposerEEE10hipError_tT1_T2_T3_T4_jRjT5_jjP12ihipStream_tbEUlT_E_NS1_11comp_targetILNS1_3genE4ELNS1_11target_archE910ELNS1_3gpuE8ELNS1_3repE0EEENS1_44radix_sort_block_sort_config_static_selectorELNS0_4arch9wavefront6targetE0EEEvSF_
    .private_segment_fixed_size: 0
    .sgpr_count:     0
    .sgpr_spill_count: 0
    .symbol:         _ZN7rocprim17ROCPRIM_400000_NS6detail17trampoline_kernelINS0_13kernel_configILj256ELj4ELj4294967295EEENS1_37radix_sort_block_sort_config_selectorIhNS0_10empty_typeEEEZNS1_21radix_sort_block_sortIS4_Lb1EPKhPhPS6_SC_NS0_19identity_decomposerEEE10hipError_tT1_T2_T3_T4_jRjT5_jjP12ihipStream_tbEUlT_E_NS1_11comp_targetILNS1_3genE4ELNS1_11target_archE910ELNS1_3gpuE8ELNS1_3repE0EEENS1_44radix_sort_block_sort_config_static_selectorELNS0_4arch9wavefront6targetE0EEEvSF_.kd
    .uniform_work_group_size: 1
    .uses_dynamic_stack: false
    .vgpr_count:     0
    .vgpr_spill_count: 0
    .wavefront_size: 32
  - .args:
      - .offset:         0
        .size:           48
        .value_kind:     by_value
    .group_segment_fixed_size: 0
    .kernarg_segment_align: 8
    .kernarg_segment_size: 48
    .language:       OpenCL C
    .language_version:
      - 2
      - 0
    .max_flat_workgroup_size: 256
    .name:           _ZN7rocprim17ROCPRIM_400000_NS6detail17trampoline_kernelINS0_13kernel_configILj256ELj4ELj4294967295EEENS1_37radix_sort_block_sort_config_selectorIhNS0_10empty_typeEEEZNS1_21radix_sort_block_sortIS4_Lb1EPKhPhPS6_SC_NS0_19identity_decomposerEEE10hipError_tT1_T2_T3_T4_jRjT5_jjP12ihipStream_tbEUlT_E_NS1_11comp_targetILNS1_3genE3ELNS1_11target_archE908ELNS1_3gpuE7ELNS1_3repE0EEENS1_44radix_sort_block_sort_config_static_selectorELNS0_4arch9wavefront6targetE0EEEvSF_
    .private_segment_fixed_size: 0
    .sgpr_count:     0
    .sgpr_spill_count: 0
    .symbol:         _ZN7rocprim17ROCPRIM_400000_NS6detail17trampoline_kernelINS0_13kernel_configILj256ELj4ELj4294967295EEENS1_37radix_sort_block_sort_config_selectorIhNS0_10empty_typeEEEZNS1_21radix_sort_block_sortIS4_Lb1EPKhPhPS6_SC_NS0_19identity_decomposerEEE10hipError_tT1_T2_T3_T4_jRjT5_jjP12ihipStream_tbEUlT_E_NS1_11comp_targetILNS1_3genE3ELNS1_11target_archE908ELNS1_3gpuE7ELNS1_3repE0EEENS1_44radix_sort_block_sort_config_static_selectorELNS0_4arch9wavefront6targetE0EEEvSF_.kd
    .uniform_work_group_size: 1
    .uses_dynamic_stack: false
    .vgpr_count:     0
    .vgpr_spill_count: 0
    .wavefront_size: 32
  - .args:
      - .offset:         0
        .size:           48
        .value_kind:     by_value
    .group_segment_fixed_size: 0
    .kernarg_segment_align: 8
    .kernarg_segment_size: 48
    .language:       OpenCL C
    .language_version:
      - 2
      - 0
    .max_flat_workgroup_size: 256
    .name:           _ZN7rocprim17ROCPRIM_400000_NS6detail17trampoline_kernelINS0_13kernel_configILj256ELj4ELj4294967295EEENS1_37radix_sort_block_sort_config_selectorIhNS0_10empty_typeEEEZNS1_21radix_sort_block_sortIS4_Lb1EPKhPhPS6_SC_NS0_19identity_decomposerEEE10hipError_tT1_T2_T3_T4_jRjT5_jjP12ihipStream_tbEUlT_E_NS1_11comp_targetILNS1_3genE2ELNS1_11target_archE906ELNS1_3gpuE6ELNS1_3repE0EEENS1_44radix_sort_block_sort_config_static_selectorELNS0_4arch9wavefront6targetE0EEEvSF_
    .private_segment_fixed_size: 0
    .sgpr_count:     0
    .sgpr_spill_count: 0
    .symbol:         _ZN7rocprim17ROCPRIM_400000_NS6detail17trampoline_kernelINS0_13kernel_configILj256ELj4ELj4294967295EEENS1_37radix_sort_block_sort_config_selectorIhNS0_10empty_typeEEEZNS1_21radix_sort_block_sortIS4_Lb1EPKhPhPS6_SC_NS0_19identity_decomposerEEE10hipError_tT1_T2_T3_T4_jRjT5_jjP12ihipStream_tbEUlT_E_NS1_11comp_targetILNS1_3genE2ELNS1_11target_archE906ELNS1_3gpuE6ELNS1_3repE0EEENS1_44radix_sort_block_sort_config_static_selectorELNS0_4arch9wavefront6targetE0EEEvSF_.kd
    .uniform_work_group_size: 1
    .uses_dynamic_stack: false
    .vgpr_count:     0
    .vgpr_spill_count: 0
    .wavefront_size: 32
  - .args:
      - .offset:         0
        .size:           48
        .value_kind:     by_value
    .group_segment_fixed_size: 0
    .kernarg_segment_align: 8
    .kernarg_segment_size: 48
    .language:       OpenCL C
    .language_version:
      - 2
      - 0
    .max_flat_workgroup_size: 256
    .name:           _ZN7rocprim17ROCPRIM_400000_NS6detail17trampoline_kernelINS0_13kernel_configILj256ELj4ELj4294967295EEENS1_37radix_sort_block_sort_config_selectorIhNS0_10empty_typeEEEZNS1_21radix_sort_block_sortIS4_Lb1EPKhPhPS6_SC_NS0_19identity_decomposerEEE10hipError_tT1_T2_T3_T4_jRjT5_jjP12ihipStream_tbEUlT_E_NS1_11comp_targetILNS1_3genE10ELNS1_11target_archE1201ELNS1_3gpuE5ELNS1_3repE0EEENS1_44radix_sort_block_sort_config_static_selectorELNS0_4arch9wavefront6targetE0EEEvSF_
    .private_segment_fixed_size: 0
    .sgpr_count:     0
    .sgpr_spill_count: 0
    .symbol:         _ZN7rocprim17ROCPRIM_400000_NS6detail17trampoline_kernelINS0_13kernel_configILj256ELj4ELj4294967295EEENS1_37radix_sort_block_sort_config_selectorIhNS0_10empty_typeEEEZNS1_21radix_sort_block_sortIS4_Lb1EPKhPhPS6_SC_NS0_19identity_decomposerEEE10hipError_tT1_T2_T3_T4_jRjT5_jjP12ihipStream_tbEUlT_E_NS1_11comp_targetILNS1_3genE10ELNS1_11target_archE1201ELNS1_3gpuE5ELNS1_3repE0EEENS1_44radix_sort_block_sort_config_static_selectorELNS0_4arch9wavefront6targetE0EEEvSF_.kd
    .uniform_work_group_size: 1
    .uses_dynamic_stack: false
    .vgpr_count:     0
    .vgpr_spill_count: 0
    .wavefront_size: 32
  - .args:
      - .offset:         0
        .size:           48
        .value_kind:     by_value
    .group_segment_fixed_size: 0
    .kernarg_segment_align: 8
    .kernarg_segment_size: 48
    .language:       OpenCL C
    .language_version:
      - 2
      - 0
    .max_flat_workgroup_size: 256
    .name:           _ZN7rocprim17ROCPRIM_400000_NS6detail17trampoline_kernelINS0_13kernel_configILj256ELj4ELj4294967295EEENS1_37radix_sort_block_sort_config_selectorIhNS0_10empty_typeEEEZNS1_21radix_sort_block_sortIS4_Lb1EPKhPhPS6_SC_NS0_19identity_decomposerEEE10hipError_tT1_T2_T3_T4_jRjT5_jjP12ihipStream_tbEUlT_E_NS1_11comp_targetILNS1_3genE10ELNS1_11target_archE1200ELNS1_3gpuE4ELNS1_3repE0EEENS1_44radix_sort_block_sort_config_static_selectorELNS0_4arch9wavefront6targetE0EEEvSF_
    .private_segment_fixed_size: 0
    .sgpr_count:     0
    .sgpr_spill_count: 0
    .symbol:         _ZN7rocprim17ROCPRIM_400000_NS6detail17trampoline_kernelINS0_13kernel_configILj256ELj4ELj4294967295EEENS1_37radix_sort_block_sort_config_selectorIhNS0_10empty_typeEEEZNS1_21radix_sort_block_sortIS4_Lb1EPKhPhPS6_SC_NS0_19identity_decomposerEEE10hipError_tT1_T2_T3_T4_jRjT5_jjP12ihipStream_tbEUlT_E_NS1_11comp_targetILNS1_3genE10ELNS1_11target_archE1200ELNS1_3gpuE4ELNS1_3repE0EEENS1_44radix_sort_block_sort_config_static_selectorELNS0_4arch9wavefront6targetE0EEEvSF_.kd
    .uniform_work_group_size: 1
    .uses_dynamic_stack: false
    .vgpr_count:     0
    .vgpr_spill_count: 0
    .wavefront_size: 32
  - .args:
      - .offset:         0
        .size:           48
        .value_kind:     by_value
    .group_segment_fixed_size: 0
    .kernarg_segment_align: 8
    .kernarg_segment_size: 48
    .language:       OpenCL C
    .language_version:
      - 2
      - 0
    .max_flat_workgroup_size: 256
    .name:           _ZN7rocprim17ROCPRIM_400000_NS6detail17trampoline_kernelINS0_13kernel_configILj256ELj4ELj4294967295EEENS1_37radix_sort_block_sort_config_selectorIhNS0_10empty_typeEEEZNS1_21radix_sort_block_sortIS4_Lb1EPKhPhPS6_SC_NS0_19identity_decomposerEEE10hipError_tT1_T2_T3_T4_jRjT5_jjP12ihipStream_tbEUlT_E_NS1_11comp_targetILNS1_3genE9ELNS1_11target_archE1100ELNS1_3gpuE3ELNS1_3repE0EEENS1_44radix_sort_block_sort_config_static_selectorELNS0_4arch9wavefront6targetE0EEEvSF_
    .private_segment_fixed_size: 0
    .sgpr_count:     0
    .sgpr_spill_count: 0
    .symbol:         _ZN7rocprim17ROCPRIM_400000_NS6detail17trampoline_kernelINS0_13kernel_configILj256ELj4ELj4294967295EEENS1_37radix_sort_block_sort_config_selectorIhNS0_10empty_typeEEEZNS1_21radix_sort_block_sortIS4_Lb1EPKhPhPS6_SC_NS0_19identity_decomposerEEE10hipError_tT1_T2_T3_T4_jRjT5_jjP12ihipStream_tbEUlT_E_NS1_11comp_targetILNS1_3genE9ELNS1_11target_archE1100ELNS1_3gpuE3ELNS1_3repE0EEENS1_44radix_sort_block_sort_config_static_selectorELNS0_4arch9wavefront6targetE0EEEvSF_.kd
    .uniform_work_group_size: 1
    .uses_dynamic_stack: false
    .vgpr_count:     0
    .vgpr_spill_count: 0
    .wavefront_size: 32
  - .args:
      - .offset:         0
        .size:           48
        .value_kind:     by_value
    .group_segment_fixed_size: 0
    .kernarg_segment_align: 8
    .kernarg_segment_size: 48
    .language:       OpenCL C
    .language_version:
      - 2
      - 0
    .max_flat_workgroup_size: 256
    .name:           _ZN7rocprim17ROCPRIM_400000_NS6detail17trampoline_kernelINS0_13kernel_configILj256ELj4ELj4294967295EEENS1_37radix_sort_block_sort_config_selectorIhNS0_10empty_typeEEEZNS1_21radix_sort_block_sortIS4_Lb1EPKhPhPS6_SC_NS0_19identity_decomposerEEE10hipError_tT1_T2_T3_T4_jRjT5_jjP12ihipStream_tbEUlT_E_NS1_11comp_targetILNS1_3genE8ELNS1_11target_archE1030ELNS1_3gpuE2ELNS1_3repE0EEENS1_44radix_sort_block_sort_config_static_selectorELNS0_4arch9wavefront6targetE0EEEvSF_
    .private_segment_fixed_size: 0
    .sgpr_count:     0
    .sgpr_spill_count: 0
    .symbol:         _ZN7rocprim17ROCPRIM_400000_NS6detail17trampoline_kernelINS0_13kernel_configILj256ELj4ELj4294967295EEENS1_37radix_sort_block_sort_config_selectorIhNS0_10empty_typeEEEZNS1_21radix_sort_block_sortIS4_Lb1EPKhPhPS6_SC_NS0_19identity_decomposerEEE10hipError_tT1_T2_T3_T4_jRjT5_jjP12ihipStream_tbEUlT_E_NS1_11comp_targetILNS1_3genE8ELNS1_11target_archE1030ELNS1_3gpuE2ELNS1_3repE0EEENS1_44radix_sort_block_sort_config_static_selectorELNS0_4arch9wavefront6targetE0EEEvSF_.kd
    .uniform_work_group_size: 1
    .uses_dynamic_stack: false
    .vgpr_count:     0
    .vgpr_spill_count: 0
    .wavefront_size: 32
  - .args:           []
    .group_segment_fixed_size: 0
    .kernarg_segment_align: 4
    .kernarg_segment_size: 0
    .language:       OpenCL C
    .language_version:
      - 2
      - 0
    .max_flat_workgroup_size: 1024
    .name:           _ZN7rocprim17ROCPRIM_400000_NS6detail44device_merge_sort_compile_time_verifier_archINS1_11comp_targetILNS1_3genE0ELNS1_11target_archE4294967295ELNS1_3gpuE0ELNS1_3repE0EEES8_NS1_28merge_sort_block_sort_configILj256ELj4ELNS0_20block_sort_algorithmE0EEENS0_14default_configENS1_37merge_sort_block_sort_config_selectorIhNS0_10empty_typeEEENS1_38merge_sort_block_merge_config_selectorIhSE_EEEEvv
    .private_segment_fixed_size: 0
    .sgpr_count:     0
    .sgpr_spill_count: 0
    .symbol:         _ZN7rocprim17ROCPRIM_400000_NS6detail44device_merge_sort_compile_time_verifier_archINS1_11comp_targetILNS1_3genE0ELNS1_11target_archE4294967295ELNS1_3gpuE0ELNS1_3repE0EEES8_NS1_28merge_sort_block_sort_configILj256ELj4ELNS0_20block_sort_algorithmE0EEENS0_14default_configENS1_37merge_sort_block_sort_config_selectorIhNS0_10empty_typeEEENS1_38merge_sort_block_merge_config_selectorIhSE_EEEEvv.kd
    .uniform_work_group_size: 1
    .uses_dynamic_stack: false
    .vgpr_count:     0
    .vgpr_spill_count: 0
    .wavefront_size: 32
  - .args:           []
    .group_segment_fixed_size: 0
    .kernarg_segment_align: 4
    .kernarg_segment_size: 0
    .language:       OpenCL C
    .language_version:
      - 2
      - 0
    .max_flat_workgroup_size: 1024
    .name:           _ZN7rocprim17ROCPRIM_400000_NS6detail44device_merge_sort_compile_time_verifier_archINS1_11comp_targetILNS1_3genE5ELNS1_11target_archE942ELNS1_3gpuE9ELNS1_3repE0EEES8_NS1_28merge_sort_block_sort_configILj256ELj4ELNS0_20block_sort_algorithmE0EEENS0_14default_configENS1_37merge_sort_block_sort_config_selectorIhNS0_10empty_typeEEENS1_38merge_sort_block_merge_config_selectorIhSE_EEEEvv
    .private_segment_fixed_size: 0
    .sgpr_count:     0
    .sgpr_spill_count: 0
    .symbol:         _ZN7rocprim17ROCPRIM_400000_NS6detail44device_merge_sort_compile_time_verifier_archINS1_11comp_targetILNS1_3genE5ELNS1_11target_archE942ELNS1_3gpuE9ELNS1_3repE0EEES8_NS1_28merge_sort_block_sort_configILj256ELj4ELNS0_20block_sort_algorithmE0EEENS0_14default_configENS1_37merge_sort_block_sort_config_selectorIhNS0_10empty_typeEEENS1_38merge_sort_block_merge_config_selectorIhSE_EEEEvv.kd
    .uniform_work_group_size: 1
    .uses_dynamic_stack: false
    .vgpr_count:     0
    .vgpr_spill_count: 0
    .wavefront_size: 32
  - .args:           []
    .group_segment_fixed_size: 0
    .kernarg_segment_align: 4
    .kernarg_segment_size: 0
    .language:       OpenCL C
    .language_version:
      - 2
      - 0
    .max_flat_workgroup_size: 1024
    .name:           _ZN7rocprim17ROCPRIM_400000_NS6detail44device_merge_sort_compile_time_verifier_archINS1_11comp_targetILNS1_3genE4ELNS1_11target_archE910ELNS1_3gpuE8ELNS1_3repE0EEES8_NS1_28merge_sort_block_sort_configILj256ELj4ELNS0_20block_sort_algorithmE0EEENS0_14default_configENS1_37merge_sort_block_sort_config_selectorIhNS0_10empty_typeEEENS1_38merge_sort_block_merge_config_selectorIhSE_EEEEvv
    .private_segment_fixed_size: 0
    .sgpr_count:     0
    .sgpr_spill_count: 0
    .symbol:         _ZN7rocprim17ROCPRIM_400000_NS6detail44device_merge_sort_compile_time_verifier_archINS1_11comp_targetILNS1_3genE4ELNS1_11target_archE910ELNS1_3gpuE8ELNS1_3repE0EEES8_NS1_28merge_sort_block_sort_configILj256ELj4ELNS0_20block_sort_algorithmE0EEENS0_14default_configENS1_37merge_sort_block_sort_config_selectorIhNS0_10empty_typeEEENS1_38merge_sort_block_merge_config_selectorIhSE_EEEEvv.kd
    .uniform_work_group_size: 1
    .uses_dynamic_stack: false
    .vgpr_count:     0
    .vgpr_spill_count: 0
    .wavefront_size: 32
  - .args:           []
    .group_segment_fixed_size: 0
    .kernarg_segment_align: 4
    .kernarg_segment_size: 0
    .language:       OpenCL C
    .language_version:
      - 2
      - 0
    .max_flat_workgroup_size: 1024
    .name:           _ZN7rocprim17ROCPRIM_400000_NS6detail44device_merge_sort_compile_time_verifier_archINS1_11comp_targetILNS1_3genE3ELNS1_11target_archE908ELNS1_3gpuE7ELNS1_3repE0EEES8_NS1_28merge_sort_block_sort_configILj256ELj4ELNS0_20block_sort_algorithmE0EEENS0_14default_configENS1_37merge_sort_block_sort_config_selectorIhNS0_10empty_typeEEENS1_38merge_sort_block_merge_config_selectorIhSE_EEEEvv
    .private_segment_fixed_size: 0
    .sgpr_count:     0
    .sgpr_spill_count: 0
    .symbol:         _ZN7rocprim17ROCPRIM_400000_NS6detail44device_merge_sort_compile_time_verifier_archINS1_11comp_targetILNS1_3genE3ELNS1_11target_archE908ELNS1_3gpuE7ELNS1_3repE0EEES8_NS1_28merge_sort_block_sort_configILj256ELj4ELNS0_20block_sort_algorithmE0EEENS0_14default_configENS1_37merge_sort_block_sort_config_selectorIhNS0_10empty_typeEEENS1_38merge_sort_block_merge_config_selectorIhSE_EEEEvv.kd
    .uniform_work_group_size: 1
    .uses_dynamic_stack: false
    .vgpr_count:     0
    .vgpr_spill_count: 0
    .wavefront_size: 32
  - .args:           []
    .group_segment_fixed_size: 0
    .kernarg_segment_align: 4
    .kernarg_segment_size: 0
    .language:       OpenCL C
    .language_version:
      - 2
      - 0
    .max_flat_workgroup_size: 1024
    .name:           _ZN7rocprim17ROCPRIM_400000_NS6detail44device_merge_sort_compile_time_verifier_archINS1_11comp_targetILNS1_3genE2ELNS1_11target_archE906ELNS1_3gpuE6ELNS1_3repE0EEES8_NS1_28merge_sort_block_sort_configILj256ELj4ELNS0_20block_sort_algorithmE0EEENS0_14default_configENS1_37merge_sort_block_sort_config_selectorIhNS0_10empty_typeEEENS1_38merge_sort_block_merge_config_selectorIhSE_EEEEvv
    .private_segment_fixed_size: 0
    .sgpr_count:     0
    .sgpr_spill_count: 0
    .symbol:         _ZN7rocprim17ROCPRIM_400000_NS6detail44device_merge_sort_compile_time_verifier_archINS1_11comp_targetILNS1_3genE2ELNS1_11target_archE906ELNS1_3gpuE6ELNS1_3repE0EEES8_NS1_28merge_sort_block_sort_configILj256ELj4ELNS0_20block_sort_algorithmE0EEENS0_14default_configENS1_37merge_sort_block_sort_config_selectorIhNS0_10empty_typeEEENS1_38merge_sort_block_merge_config_selectorIhSE_EEEEvv.kd
    .uniform_work_group_size: 1
    .uses_dynamic_stack: false
    .vgpr_count:     0
    .vgpr_spill_count: 0
    .wavefront_size: 32
  - .args:           []
    .group_segment_fixed_size: 0
    .kernarg_segment_align: 4
    .kernarg_segment_size: 0
    .language:       OpenCL C
    .language_version:
      - 2
      - 0
    .max_flat_workgroup_size: 1024
    .name:           _ZN7rocprim17ROCPRIM_400000_NS6detail44device_merge_sort_compile_time_verifier_archINS1_11comp_targetILNS1_3genE10ELNS1_11target_archE1201ELNS1_3gpuE5ELNS1_3repE0EEES8_NS1_28merge_sort_block_sort_configILj256ELj4ELNS0_20block_sort_algorithmE0EEENS0_14default_configENS1_37merge_sort_block_sort_config_selectorIhNS0_10empty_typeEEENS1_38merge_sort_block_merge_config_selectorIhSE_EEEEvv
    .private_segment_fixed_size: 0
    .sgpr_count:     0
    .sgpr_spill_count: 0
    .symbol:         _ZN7rocprim17ROCPRIM_400000_NS6detail44device_merge_sort_compile_time_verifier_archINS1_11comp_targetILNS1_3genE10ELNS1_11target_archE1201ELNS1_3gpuE5ELNS1_3repE0EEES8_NS1_28merge_sort_block_sort_configILj256ELj4ELNS0_20block_sort_algorithmE0EEENS0_14default_configENS1_37merge_sort_block_sort_config_selectorIhNS0_10empty_typeEEENS1_38merge_sort_block_merge_config_selectorIhSE_EEEEvv.kd
    .uniform_work_group_size: 1
    .uses_dynamic_stack: false
    .vgpr_count:     0
    .vgpr_spill_count: 0
    .wavefront_size: 32
  - .args:           []
    .group_segment_fixed_size: 0
    .kernarg_segment_align: 4
    .kernarg_segment_size: 0
    .language:       OpenCL C
    .language_version:
      - 2
      - 0
    .max_flat_workgroup_size: 1024
    .name:           _ZN7rocprim17ROCPRIM_400000_NS6detail44device_merge_sort_compile_time_verifier_archINS1_11comp_targetILNS1_3genE10ELNS1_11target_archE1200ELNS1_3gpuE4ELNS1_3repE0EEENS3_ILS4_10ELS5_1201ELS6_5ELS7_0EEENS1_28merge_sort_block_sort_configILj256ELj4ELNS0_20block_sort_algorithmE0EEENS0_14default_configENS1_37merge_sort_block_sort_config_selectorIhNS0_10empty_typeEEENS1_38merge_sort_block_merge_config_selectorIhSF_EEEEvv
    .private_segment_fixed_size: 0
    .sgpr_count:     0
    .sgpr_spill_count: 0
    .symbol:         _ZN7rocprim17ROCPRIM_400000_NS6detail44device_merge_sort_compile_time_verifier_archINS1_11comp_targetILNS1_3genE10ELNS1_11target_archE1200ELNS1_3gpuE4ELNS1_3repE0EEENS3_ILS4_10ELS5_1201ELS6_5ELS7_0EEENS1_28merge_sort_block_sort_configILj256ELj4ELNS0_20block_sort_algorithmE0EEENS0_14default_configENS1_37merge_sort_block_sort_config_selectorIhNS0_10empty_typeEEENS1_38merge_sort_block_merge_config_selectorIhSF_EEEEvv.kd
    .uniform_work_group_size: 1
    .uses_dynamic_stack: false
    .vgpr_count:     0
    .vgpr_spill_count: 0
    .wavefront_size: 32
  - .args:           []
    .group_segment_fixed_size: 0
    .kernarg_segment_align: 4
    .kernarg_segment_size: 0
    .language:       OpenCL C
    .language_version:
      - 2
      - 0
    .max_flat_workgroup_size: 1024
    .name:           _ZN7rocprim17ROCPRIM_400000_NS6detail44device_merge_sort_compile_time_verifier_archINS1_11comp_targetILNS1_3genE9ELNS1_11target_archE1100ELNS1_3gpuE3ELNS1_3repE0EEES8_NS1_28merge_sort_block_sort_configILj256ELj4ELNS0_20block_sort_algorithmE0EEENS0_14default_configENS1_37merge_sort_block_sort_config_selectorIhNS0_10empty_typeEEENS1_38merge_sort_block_merge_config_selectorIhSE_EEEEvv
    .private_segment_fixed_size: 0
    .sgpr_count:     0
    .sgpr_spill_count: 0
    .symbol:         _ZN7rocprim17ROCPRIM_400000_NS6detail44device_merge_sort_compile_time_verifier_archINS1_11comp_targetILNS1_3genE9ELNS1_11target_archE1100ELNS1_3gpuE3ELNS1_3repE0EEES8_NS1_28merge_sort_block_sort_configILj256ELj4ELNS0_20block_sort_algorithmE0EEENS0_14default_configENS1_37merge_sort_block_sort_config_selectorIhNS0_10empty_typeEEENS1_38merge_sort_block_merge_config_selectorIhSE_EEEEvv.kd
    .uniform_work_group_size: 1
    .uses_dynamic_stack: false
    .vgpr_count:     0
    .vgpr_spill_count: 0
    .wavefront_size: 32
  - .args:           []
    .group_segment_fixed_size: 0
    .kernarg_segment_align: 4
    .kernarg_segment_size: 0
    .language:       OpenCL C
    .language_version:
      - 2
      - 0
    .max_flat_workgroup_size: 1024
    .name:           _ZN7rocprim17ROCPRIM_400000_NS6detail44device_merge_sort_compile_time_verifier_archINS1_11comp_targetILNS1_3genE8ELNS1_11target_archE1030ELNS1_3gpuE2ELNS1_3repE0EEES8_NS1_28merge_sort_block_sort_configILj256ELj4ELNS0_20block_sort_algorithmE0EEENS0_14default_configENS1_37merge_sort_block_sort_config_selectorIhNS0_10empty_typeEEENS1_38merge_sort_block_merge_config_selectorIhSE_EEEEvv
    .private_segment_fixed_size: 0
    .sgpr_count:     0
    .sgpr_spill_count: 0
    .symbol:         _ZN7rocprim17ROCPRIM_400000_NS6detail44device_merge_sort_compile_time_verifier_archINS1_11comp_targetILNS1_3genE8ELNS1_11target_archE1030ELNS1_3gpuE2ELNS1_3repE0EEES8_NS1_28merge_sort_block_sort_configILj256ELj4ELNS0_20block_sort_algorithmE0EEENS0_14default_configENS1_37merge_sort_block_sort_config_selectorIhNS0_10empty_typeEEENS1_38merge_sort_block_merge_config_selectorIhSE_EEEEvv.kd
    .uniform_work_group_size: 1
    .uses_dynamic_stack: false
    .vgpr_count:     0
    .vgpr_spill_count: 0
    .wavefront_size: 32
  - .args:
      - .offset:         0
        .size:           40
        .value_kind:     by_value
    .group_segment_fixed_size: 0
    .kernarg_segment_align: 8
    .kernarg_segment_size: 40
    .language:       OpenCL C
    .language_version:
      - 2
      - 0
    .max_flat_workgroup_size: 128
    .name:           _ZN7rocprim17ROCPRIM_400000_NS6detail17trampoline_kernelINS0_14default_configENS1_38merge_sort_block_merge_config_selectorIhNS0_10empty_typeEEEZZNS1_27merge_sort_block_merge_implIS3_PhPS5_jNS1_19radix_merge_compareILb1ELb0EhNS0_19identity_decomposerEEEEE10hipError_tT0_T1_T2_jT3_P12ihipStream_tbPNSt15iterator_traitsISE_E10value_typeEPNSK_ISF_E10value_typeEPSG_NS1_7vsmem_tEENKUlT_SE_SF_SG_E_clIS8_S8_S9_S9_EESD_ST_SE_SF_SG_EUlST_E_NS1_11comp_targetILNS1_3genE0ELNS1_11target_archE4294967295ELNS1_3gpuE0ELNS1_3repE0EEENS1_48merge_mergepath_partition_config_static_selectorELNS0_4arch9wavefront6targetE0EEEvSF_
    .private_segment_fixed_size: 0
    .sgpr_count:     8
    .sgpr_spill_count: 0
    .symbol:         _ZN7rocprim17ROCPRIM_400000_NS6detail17trampoline_kernelINS0_14default_configENS1_38merge_sort_block_merge_config_selectorIhNS0_10empty_typeEEEZZNS1_27merge_sort_block_merge_implIS3_PhPS5_jNS1_19radix_merge_compareILb1ELb0EhNS0_19identity_decomposerEEEEE10hipError_tT0_T1_T2_jT3_P12ihipStream_tbPNSt15iterator_traitsISE_E10value_typeEPNSK_ISF_E10value_typeEPSG_NS1_7vsmem_tEENKUlT_SE_SF_SG_E_clIS8_S8_S9_S9_EESD_ST_SE_SF_SG_EUlST_E_NS1_11comp_targetILNS1_3genE0ELNS1_11target_archE4294967295ELNS1_3gpuE0ELNS1_3repE0EEENS1_48merge_mergepath_partition_config_static_selectorELNS0_4arch9wavefront6targetE0EEEvSF_.kd
    .uniform_work_group_size: 1
    .uses_dynamic_stack: false
    .vgpr_count:     17
    .vgpr_spill_count: 0
    .wavefront_size: 32
  - .args:
      - .offset:         0
        .size:           40
        .value_kind:     by_value
    .group_segment_fixed_size: 0
    .kernarg_segment_align: 8
    .kernarg_segment_size: 40
    .language:       OpenCL C
    .language_version:
      - 2
      - 0
    .max_flat_workgroup_size: 128
    .name:           _ZN7rocprim17ROCPRIM_400000_NS6detail17trampoline_kernelINS0_14default_configENS1_38merge_sort_block_merge_config_selectorIhNS0_10empty_typeEEEZZNS1_27merge_sort_block_merge_implIS3_PhPS5_jNS1_19radix_merge_compareILb1ELb0EhNS0_19identity_decomposerEEEEE10hipError_tT0_T1_T2_jT3_P12ihipStream_tbPNSt15iterator_traitsISE_E10value_typeEPNSK_ISF_E10value_typeEPSG_NS1_7vsmem_tEENKUlT_SE_SF_SG_E_clIS8_S8_S9_S9_EESD_ST_SE_SF_SG_EUlST_E_NS1_11comp_targetILNS1_3genE10ELNS1_11target_archE1201ELNS1_3gpuE5ELNS1_3repE0EEENS1_48merge_mergepath_partition_config_static_selectorELNS0_4arch9wavefront6targetE0EEEvSF_
    .private_segment_fixed_size: 0
    .sgpr_count:     0
    .sgpr_spill_count: 0
    .symbol:         _ZN7rocprim17ROCPRIM_400000_NS6detail17trampoline_kernelINS0_14default_configENS1_38merge_sort_block_merge_config_selectorIhNS0_10empty_typeEEEZZNS1_27merge_sort_block_merge_implIS3_PhPS5_jNS1_19radix_merge_compareILb1ELb0EhNS0_19identity_decomposerEEEEE10hipError_tT0_T1_T2_jT3_P12ihipStream_tbPNSt15iterator_traitsISE_E10value_typeEPNSK_ISF_E10value_typeEPSG_NS1_7vsmem_tEENKUlT_SE_SF_SG_E_clIS8_S8_S9_S9_EESD_ST_SE_SF_SG_EUlST_E_NS1_11comp_targetILNS1_3genE10ELNS1_11target_archE1201ELNS1_3gpuE5ELNS1_3repE0EEENS1_48merge_mergepath_partition_config_static_selectorELNS0_4arch9wavefront6targetE0EEEvSF_.kd
    .uniform_work_group_size: 1
    .uses_dynamic_stack: false
    .vgpr_count:     0
    .vgpr_spill_count: 0
    .wavefront_size: 32
  - .args:
      - .offset:         0
        .size:           40
        .value_kind:     by_value
    .group_segment_fixed_size: 0
    .kernarg_segment_align: 8
    .kernarg_segment_size: 40
    .language:       OpenCL C
    .language_version:
      - 2
      - 0
    .max_flat_workgroup_size: 128
    .name:           _ZN7rocprim17ROCPRIM_400000_NS6detail17trampoline_kernelINS0_14default_configENS1_38merge_sort_block_merge_config_selectorIhNS0_10empty_typeEEEZZNS1_27merge_sort_block_merge_implIS3_PhPS5_jNS1_19radix_merge_compareILb1ELb0EhNS0_19identity_decomposerEEEEE10hipError_tT0_T1_T2_jT3_P12ihipStream_tbPNSt15iterator_traitsISE_E10value_typeEPNSK_ISF_E10value_typeEPSG_NS1_7vsmem_tEENKUlT_SE_SF_SG_E_clIS8_S8_S9_S9_EESD_ST_SE_SF_SG_EUlST_E_NS1_11comp_targetILNS1_3genE5ELNS1_11target_archE942ELNS1_3gpuE9ELNS1_3repE0EEENS1_48merge_mergepath_partition_config_static_selectorELNS0_4arch9wavefront6targetE0EEEvSF_
    .private_segment_fixed_size: 0
    .sgpr_count:     0
    .sgpr_spill_count: 0
    .symbol:         _ZN7rocprim17ROCPRIM_400000_NS6detail17trampoline_kernelINS0_14default_configENS1_38merge_sort_block_merge_config_selectorIhNS0_10empty_typeEEEZZNS1_27merge_sort_block_merge_implIS3_PhPS5_jNS1_19radix_merge_compareILb1ELb0EhNS0_19identity_decomposerEEEEE10hipError_tT0_T1_T2_jT3_P12ihipStream_tbPNSt15iterator_traitsISE_E10value_typeEPNSK_ISF_E10value_typeEPSG_NS1_7vsmem_tEENKUlT_SE_SF_SG_E_clIS8_S8_S9_S9_EESD_ST_SE_SF_SG_EUlST_E_NS1_11comp_targetILNS1_3genE5ELNS1_11target_archE942ELNS1_3gpuE9ELNS1_3repE0EEENS1_48merge_mergepath_partition_config_static_selectorELNS0_4arch9wavefront6targetE0EEEvSF_.kd
    .uniform_work_group_size: 1
    .uses_dynamic_stack: false
    .vgpr_count:     0
    .vgpr_spill_count: 0
    .wavefront_size: 32
  - .args:
      - .offset:         0
        .size:           40
        .value_kind:     by_value
    .group_segment_fixed_size: 0
    .kernarg_segment_align: 8
    .kernarg_segment_size: 40
    .language:       OpenCL C
    .language_version:
      - 2
      - 0
    .max_flat_workgroup_size: 128
    .name:           _ZN7rocprim17ROCPRIM_400000_NS6detail17trampoline_kernelINS0_14default_configENS1_38merge_sort_block_merge_config_selectorIhNS0_10empty_typeEEEZZNS1_27merge_sort_block_merge_implIS3_PhPS5_jNS1_19radix_merge_compareILb1ELb0EhNS0_19identity_decomposerEEEEE10hipError_tT0_T1_T2_jT3_P12ihipStream_tbPNSt15iterator_traitsISE_E10value_typeEPNSK_ISF_E10value_typeEPSG_NS1_7vsmem_tEENKUlT_SE_SF_SG_E_clIS8_S8_S9_S9_EESD_ST_SE_SF_SG_EUlST_E_NS1_11comp_targetILNS1_3genE4ELNS1_11target_archE910ELNS1_3gpuE8ELNS1_3repE0EEENS1_48merge_mergepath_partition_config_static_selectorELNS0_4arch9wavefront6targetE0EEEvSF_
    .private_segment_fixed_size: 0
    .sgpr_count:     0
    .sgpr_spill_count: 0
    .symbol:         _ZN7rocprim17ROCPRIM_400000_NS6detail17trampoline_kernelINS0_14default_configENS1_38merge_sort_block_merge_config_selectorIhNS0_10empty_typeEEEZZNS1_27merge_sort_block_merge_implIS3_PhPS5_jNS1_19radix_merge_compareILb1ELb0EhNS0_19identity_decomposerEEEEE10hipError_tT0_T1_T2_jT3_P12ihipStream_tbPNSt15iterator_traitsISE_E10value_typeEPNSK_ISF_E10value_typeEPSG_NS1_7vsmem_tEENKUlT_SE_SF_SG_E_clIS8_S8_S9_S9_EESD_ST_SE_SF_SG_EUlST_E_NS1_11comp_targetILNS1_3genE4ELNS1_11target_archE910ELNS1_3gpuE8ELNS1_3repE0EEENS1_48merge_mergepath_partition_config_static_selectorELNS0_4arch9wavefront6targetE0EEEvSF_.kd
    .uniform_work_group_size: 1
    .uses_dynamic_stack: false
    .vgpr_count:     0
    .vgpr_spill_count: 0
    .wavefront_size: 32
  - .args:
      - .offset:         0
        .size:           40
        .value_kind:     by_value
    .group_segment_fixed_size: 0
    .kernarg_segment_align: 8
    .kernarg_segment_size: 40
    .language:       OpenCL C
    .language_version:
      - 2
      - 0
    .max_flat_workgroup_size: 128
    .name:           _ZN7rocprim17ROCPRIM_400000_NS6detail17trampoline_kernelINS0_14default_configENS1_38merge_sort_block_merge_config_selectorIhNS0_10empty_typeEEEZZNS1_27merge_sort_block_merge_implIS3_PhPS5_jNS1_19radix_merge_compareILb1ELb0EhNS0_19identity_decomposerEEEEE10hipError_tT0_T1_T2_jT3_P12ihipStream_tbPNSt15iterator_traitsISE_E10value_typeEPNSK_ISF_E10value_typeEPSG_NS1_7vsmem_tEENKUlT_SE_SF_SG_E_clIS8_S8_S9_S9_EESD_ST_SE_SF_SG_EUlST_E_NS1_11comp_targetILNS1_3genE3ELNS1_11target_archE908ELNS1_3gpuE7ELNS1_3repE0EEENS1_48merge_mergepath_partition_config_static_selectorELNS0_4arch9wavefront6targetE0EEEvSF_
    .private_segment_fixed_size: 0
    .sgpr_count:     0
    .sgpr_spill_count: 0
    .symbol:         _ZN7rocprim17ROCPRIM_400000_NS6detail17trampoline_kernelINS0_14default_configENS1_38merge_sort_block_merge_config_selectorIhNS0_10empty_typeEEEZZNS1_27merge_sort_block_merge_implIS3_PhPS5_jNS1_19radix_merge_compareILb1ELb0EhNS0_19identity_decomposerEEEEE10hipError_tT0_T1_T2_jT3_P12ihipStream_tbPNSt15iterator_traitsISE_E10value_typeEPNSK_ISF_E10value_typeEPSG_NS1_7vsmem_tEENKUlT_SE_SF_SG_E_clIS8_S8_S9_S9_EESD_ST_SE_SF_SG_EUlST_E_NS1_11comp_targetILNS1_3genE3ELNS1_11target_archE908ELNS1_3gpuE7ELNS1_3repE0EEENS1_48merge_mergepath_partition_config_static_selectorELNS0_4arch9wavefront6targetE0EEEvSF_.kd
    .uniform_work_group_size: 1
    .uses_dynamic_stack: false
    .vgpr_count:     0
    .vgpr_spill_count: 0
    .wavefront_size: 32
  - .args:
      - .offset:         0
        .size:           40
        .value_kind:     by_value
    .group_segment_fixed_size: 0
    .kernarg_segment_align: 8
    .kernarg_segment_size: 40
    .language:       OpenCL C
    .language_version:
      - 2
      - 0
    .max_flat_workgroup_size: 128
    .name:           _ZN7rocprim17ROCPRIM_400000_NS6detail17trampoline_kernelINS0_14default_configENS1_38merge_sort_block_merge_config_selectorIhNS0_10empty_typeEEEZZNS1_27merge_sort_block_merge_implIS3_PhPS5_jNS1_19radix_merge_compareILb1ELb0EhNS0_19identity_decomposerEEEEE10hipError_tT0_T1_T2_jT3_P12ihipStream_tbPNSt15iterator_traitsISE_E10value_typeEPNSK_ISF_E10value_typeEPSG_NS1_7vsmem_tEENKUlT_SE_SF_SG_E_clIS8_S8_S9_S9_EESD_ST_SE_SF_SG_EUlST_E_NS1_11comp_targetILNS1_3genE2ELNS1_11target_archE906ELNS1_3gpuE6ELNS1_3repE0EEENS1_48merge_mergepath_partition_config_static_selectorELNS0_4arch9wavefront6targetE0EEEvSF_
    .private_segment_fixed_size: 0
    .sgpr_count:     0
    .sgpr_spill_count: 0
    .symbol:         _ZN7rocprim17ROCPRIM_400000_NS6detail17trampoline_kernelINS0_14default_configENS1_38merge_sort_block_merge_config_selectorIhNS0_10empty_typeEEEZZNS1_27merge_sort_block_merge_implIS3_PhPS5_jNS1_19radix_merge_compareILb1ELb0EhNS0_19identity_decomposerEEEEE10hipError_tT0_T1_T2_jT3_P12ihipStream_tbPNSt15iterator_traitsISE_E10value_typeEPNSK_ISF_E10value_typeEPSG_NS1_7vsmem_tEENKUlT_SE_SF_SG_E_clIS8_S8_S9_S9_EESD_ST_SE_SF_SG_EUlST_E_NS1_11comp_targetILNS1_3genE2ELNS1_11target_archE906ELNS1_3gpuE6ELNS1_3repE0EEENS1_48merge_mergepath_partition_config_static_selectorELNS0_4arch9wavefront6targetE0EEEvSF_.kd
    .uniform_work_group_size: 1
    .uses_dynamic_stack: false
    .vgpr_count:     0
    .vgpr_spill_count: 0
    .wavefront_size: 32
  - .args:
      - .offset:         0
        .size:           40
        .value_kind:     by_value
    .group_segment_fixed_size: 0
    .kernarg_segment_align: 8
    .kernarg_segment_size: 40
    .language:       OpenCL C
    .language_version:
      - 2
      - 0
    .max_flat_workgroup_size: 128
    .name:           _ZN7rocprim17ROCPRIM_400000_NS6detail17trampoline_kernelINS0_14default_configENS1_38merge_sort_block_merge_config_selectorIhNS0_10empty_typeEEEZZNS1_27merge_sort_block_merge_implIS3_PhPS5_jNS1_19radix_merge_compareILb1ELb0EhNS0_19identity_decomposerEEEEE10hipError_tT0_T1_T2_jT3_P12ihipStream_tbPNSt15iterator_traitsISE_E10value_typeEPNSK_ISF_E10value_typeEPSG_NS1_7vsmem_tEENKUlT_SE_SF_SG_E_clIS8_S8_S9_S9_EESD_ST_SE_SF_SG_EUlST_E_NS1_11comp_targetILNS1_3genE9ELNS1_11target_archE1100ELNS1_3gpuE3ELNS1_3repE0EEENS1_48merge_mergepath_partition_config_static_selectorELNS0_4arch9wavefront6targetE0EEEvSF_
    .private_segment_fixed_size: 0
    .sgpr_count:     0
    .sgpr_spill_count: 0
    .symbol:         _ZN7rocprim17ROCPRIM_400000_NS6detail17trampoline_kernelINS0_14default_configENS1_38merge_sort_block_merge_config_selectorIhNS0_10empty_typeEEEZZNS1_27merge_sort_block_merge_implIS3_PhPS5_jNS1_19radix_merge_compareILb1ELb0EhNS0_19identity_decomposerEEEEE10hipError_tT0_T1_T2_jT3_P12ihipStream_tbPNSt15iterator_traitsISE_E10value_typeEPNSK_ISF_E10value_typeEPSG_NS1_7vsmem_tEENKUlT_SE_SF_SG_E_clIS8_S8_S9_S9_EESD_ST_SE_SF_SG_EUlST_E_NS1_11comp_targetILNS1_3genE9ELNS1_11target_archE1100ELNS1_3gpuE3ELNS1_3repE0EEENS1_48merge_mergepath_partition_config_static_selectorELNS0_4arch9wavefront6targetE0EEEvSF_.kd
    .uniform_work_group_size: 1
    .uses_dynamic_stack: false
    .vgpr_count:     0
    .vgpr_spill_count: 0
    .wavefront_size: 32
  - .args:
      - .offset:         0
        .size:           40
        .value_kind:     by_value
    .group_segment_fixed_size: 0
    .kernarg_segment_align: 8
    .kernarg_segment_size: 40
    .language:       OpenCL C
    .language_version:
      - 2
      - 0
    .max_flat_workgroup_size: 128
    .name:           _ZN7rocprim17ROCPRIM_400000_NS6detail17trampoline_kernelINS0_14default_configENS1_38merge_sort_block_merge_config_selectorIhNS0_10empty_typeEEEZZNS1_27merge_sort_block_merge_implIS3_PhPS5_jNS1_19radix_merge_compareILb1ELb0EhNS0_19identity_decomposerEEEEE10hipError_tT0_T1_T2_jT3_P12ihipStream_tbPNSt15iterator_traitsISE_E10value_typeEPNSK_ISF_E10value_typeEPSG_NS1_7vsmem_tEENKUlT_SE_SF_SG_E_clIS8_S8_S9_S9_EESD_ST_SE_SF_SG_EUlST_E_NS1_11comp_targetILNS1_3genE8ELNS1_11target_archE1030ELNS1_3gpuE2ELNS1_3repE0EEENS1_48merge_mergepath_partition_config_static_selectorELNS0_4arch9wavefront6targetE0EEEvSF_
    .private_segment_fixed_size: 0
    .sgpr_count:     0
    .sgpr_spill_count: 0
    .symbol:         _ZN7rocprim17ROCPRIM_400000_NS6detail17trampoline_kernelINS0_14default_configENS1_38merge_sort_block_merge_config_selectorIhNS0_10empty_typeEEEZZNS1_27merge_sort_block_merge_implIS3_PhPS5_jNS1_19radix_merge_compareILb1ELb0EhNS0_19identity_decomposerEEEEE10hipError_tT0_T1_T2_jT3_P12ihipStream_tbPNSt15iterator_traitsISE_E10value_typeEPNSK_ISF_E10value_typeEPSG_NS1_7vsmem_tEENKUlT_SE_SF_SG_E_clIS8_S8_S9_S9_EESD_ST_SE_SF_SG_EUlST_E_NS1_11comp_targetILNS1_3genE8ELNS1_11target_archE1030ELNS1_3gpuE2ELNS1_3repE0EEENS1_48merge_mergepath_partition_config_static_selectorELNS0_4arch9wavefront6targetE0EEEvSF_.kd
    .uniform_work_group_size: 1
    .uses_dynamic_stack: false
    .vgpr_count:     0
    .vgpr_spill_count: 0
    .wavefront_size: 32
  - .args:
      - .offset:         0
        .size:           64
        .value_kind:     by_value
      - .offset:         64
        .size:           4
        .value_kind:     hidden_block_count_x
      - .offset:         68
        .size:           4
        .value_kind:     hidden_block_count_y
      - .offset:         72
        .size:           4
        .value_kind:     hidden_block_count_z
      - .offset:         76
        .size:           2
        .value_kind:     hidden_group_size_x
      - .offset:         78
        .size:           2
        .value_kind:     hidden_group_size_y
      - .offset:         80
        .size:           2
        .value_kind:     hidden_group_size_z
      - .offset:         82
        .size:           2
        .value_kind:     hidden_remainder_x
      - .offset:         84
        .size:           2
        .value_kind:     hidden_remainder_y
      - .offset:         86
        .size:           2
        .value_kind:     hidden_remainder_z
      - .offset:         104
        .size:           8
        .value_kind:     hidden_global_offset_x
      - .offset:         112
        .size:           8
        .value_kind:     hidden_global_offset_y
      - .offset:         120
        .size:           8
        .value_kind:     hidden_global_offset_z
      - .offset:         128
        .size:           2
        .value_kind:     hidden_grid_dims
    .group_segment_fixed_size: 1056
    .kernarg_segment_align: 8
    .kernarg_segment_size: 320
    .language:       OpenCL C
    .language_version:
      - 2
      - 0
    .max_flat_workgroup_size: 128
    .name:           _ZN7rocprim17ROCPRIM_400000_NS6detail17trampoline_kernelINS0_14default_configENS1_38merge_sort_block_merge_config_selectorIhNS0_10empty_typeEEEZZNS1_27merge_sort_block_merge_implIS3_PhPS5_jNS1_19radix_merge_compareILb1ELb0EhNS0_19identity_decomposerEEEEE10hipError_tT0_T1_T2_jT3_P12ihipStream_tbPNSt15iterator_traitsISE_E10value_typeEPNSK_ISF_E10value_typeEPSG_NS1_7vsmem_tEENKUlT_SE_SF_SG_E_clIS8_S8_S9_S9_EESD_ST_SE_SF_SG_EUlST_E0_NS1_11comp_targetILNS1_3genE0ELNS1_11target_archE4294967295ELNS1_3gpuE0ELNS1_3repE0EEENS1_38merge_mergepath_config_static_selectorELNS0_4arch9wavefront6targetE0EEEvSF_
    .private_segment_fixed_size: 0
    .sgpr_count:     24
    .sgpr_spill_count: 0
    .symbol:         _ZN7rocprim17ROCPRIM_400000_NS6detail17trampoline_kernelINS0_14default_configENS1_38merge_sort_block_merge_config_selectorIhNS0_10empty_typeEEEZZNS1_27merge_sort_block_merge_implIS3_PhPS5_jNS1_19radix_merge_compareILb1ELb0EhNS0_19identity_decomposerEEEEE10hipError_tT0_T1_T2_jT3_P12ihipStream_tbPNSt15iterator_traitsISE_E10value_typeEPNSK_ISF_E10value_typeEPSG_NS1_7vsmem_tEENKUlT_SE_SF_SG_E_clIS8_S8_S9_S9_EESD_ST_SE_SF_SG_EUlST_E0_NS1_11comp_targetILNS1_3genE0ELNS1_11target_archE4294967295ELNS1_3gpuE0ELNS1_3repE0EEENS1_38merge_mergepath_config_static_selectorELNS0_4arch9wavefront6targetE0EEEvSF_.kd
    .uniform_work_group_size: 1
    .uses_dynamic_stack: false
    .vgpr_count:     34
    .vgpr_spill_count: 0
    .wavefront_size: 32
  - .args:
      - .offset:         0
        .size:           64
        .value_kind:     by_value
    .group_segment_fixed_size: 0
    .kernarg_segment_align: 8
    .kernarg_segment_size: 64
    .language:       OpenCL C
    .language_version:
      - 2
      - 0
    .max_flat_workgroup_size: 128
    .name:           _ZN7rocprim17ROCPRIM_400000_NS6detail17trampoline_kernelINS0_14default_configENS1_38merge_sort_block_merge_config_selectorIhNS0_10empty_typeEEEZZNS1_27merge_sort_block_merge_implIS3_PhPS5_jNS1_19radix_merge_compareILb1ELb0EhNS0_19identity_decomposerEEEEE10hipError_tT0_T1_T2_jT3_P12ihipStream_tbPNSt15iterator_traitsISE_E10value_typeEPNSK_ISF_E10value_typeEPSG_NS1_7vsmem_tEENKUlT_SE_SF_SG_E_clIS8_S8_S9_S9_EESD_ST_SE_SF_SG_EUlST_E0_NS1_11comp_targetILNS1_3genE10ELNS1_11target_archE1201ELNS1_3gpuE5ELNS1_3repE0EEENS1_38merge_mergepath_config_static_selectorELNS0_4arch9wavefront6targetE0EEEvSF_
    .private_segment_fixed_size: 0
    .sgpr_count:     0
    .sgpr_spill_count: 0
    .symbol:         _ZN7rocprim17ROCPRIM_400000_NS6detail17trampoline_kernelINS0_14default_configENS1_38merge_sort_block_merge_config_selectorIhNS0_10empty_typeEEEZZNS1_27merge_sort_block_merge_implIS3_PhPS5_jNS1_19radix_merge_compareILb1ELb0EhNS0_19identity_decomposerEEEEE10hipError_tT0_T1_T2_jT3_P12ihipStream_tbPNSt15iterator_traitsISE_E10value_typeEPNSK_ISF_E10value_typeEPSG_NS1_7vsmem_tEENKUlT_SE_SF_SG_E_clIS8_S8_S9_S9_EESD_ST_SE_SF_SG_EUlST_E0_NS1_11comp_targetILNS1_3genE10ELNS1_11target_archE1201ELNS1_3gpuE5ELNS1_3repE0EEENS1_38merge_mergepath_config_static_selectorELNS0_4arch9wavefront6targetE0EEEvSF_.kd
    .uniform_work_group_size: 1
    .uses_dynamic_stack: false
    .vgpr_count:     0
    .vgpr_spill_count: 0
    .wavefront_size: 32
  - .args:
      - .offset:         0
        .size:           64
        .value_kind:     by_value
    .group_segment_fixed_size: 0
    .kernarg_segment_align: 8
    .kernarg_segment_size: 64
    .language:       OpenCL C
    .language_version:
      - 2
      - 0
    .max_flat_workgroup_size: 128
    .name:           _ZN7rocprim17ROCPRIM_400000_NS6detail17trampoline_kernelINS0_14default_configENS1_38merge_sort_block_merge_config_selectorIhNS0_10empty_typeEEEZZNS1_27merge_sort_block_merge_implIS3_PhPS5_jNS1_19radix_merge_compareILb1ELb0EhNS0_19identity_decomposerEEEEE10hipError_tT0_T1_T2_jT3_P12ihipStream_tbPNSt15iterator_traitsISE_E10value_typeEPNSK_ISF_E10value_typeEPSG_NS1_7vsmem_tEENKUlT_SE_SF_SG_E_clIS8_S8_S9_S9_EESD_ST_SE_SF_SG_EUlST_E0_NS1_11comp_targetILNS1_3genE5ELNS1_11target_archE942ELNS1_3gpuE9ELNS1_3repE0EEENS1_38merge_mergepath_config_static_selectorELNS0_4arch9wavefront6targetE0EEEvSF_
    .private_segment_fixed_size: 0
    .sgpr_count:     0
    .sgpr_spill_count: 0
    .symbol:         _ZN7rocprim17ROCPRIM_400000_NS6detail17trampoline_kernelINS0_14default_configENS1_38merge_sort_block_merge_config_selectorIhNS0_10empty_typeEEEZZNS1_27merge_sort_block_merge_implIS3_PhPS5_jNS1_19radix_merge_compareILb1ELb0EhNS0_19identity_decomposerEEEEE10hipError_tT0_T1_T2_jT3_P12ihipStream_tbPNSt15iterator_traitsISE_E10value_typeEPNSK_ISF_E10value_typeEPSG_NS1_7vsmem_tEENKUlT_SE_SF_SG_E_clIS8_S8_S9_S9_EESD_ST_SE_SF_SG_EUlST_E0_NS1_11comp_targetILNS1_3genE5ELNS1_11target_archE942ELNS1_3gpuE9ELNS1_3repE0EEENS1_38merge_mergepath_config_static_selectorELNS0_4arch9wavefront6targetE0EEEvSF_.kd
    .uniform_work_group_size: 1
    .uses_dynamic_stack: false
    .vgpr_count:     0
    .vgpr_spill_count: 0
    .wavefront_size: 32
  - .args:
      - .offset:         0
        .size:           64
        .value_kind:     by_value
    .group_segment_fixed_size: 0
    .kernarg_segment_align: 8
    .kernarg_segment_size: 64
    .language:       OpenCL C
    .language_version:
      - 2
      - 0
    .max_flat_workgroup_size: 128
    .name:           _ZN7rocprim17ROCPRIM_400000_NS6detail17trampoline_kernelINS0_14default_configENS1_38merge_sort_block_merge_config_selectorIhNS0_10empty_typeEEEZZNS1_27merge_sort_block_merge_implIS3_PhPS5_jNS1_19radix_merge_compareILb1ELb0EhNS0_19identity_decomposerEEEEE10hipError_tT0_T1_T2_jT3_P12ihipStream_tbPNSt15iterator_traitsISE_E10value_typeEPNSK_ISF_E10value_typeEPSG_NS1_7vsmem_tEENKUlT_SE_SF_SG_E_clIS8_S8_S9_S9_EESD_ST_SE_SF_SG_EUlST_E0_NS1_11comp_targetILNS1_3genE4ELNS1_11target_archE910ELNS1_3gpuE8ELNS1_3repE0EEENS1_38merge_mergepath_config_static_selectorELNS0_4arch9wavefront6targetE0EEEvSF_
    .private_segment_fixed_size: 0
    .sgpr_count:     0
    .sgpr_spill_count: 0
    .symbol:         _ZN7rocprim17ROCPRIM_400000_NS6detail17trampoline_kernelINS0_14default_configENS1_38merge_sort_block_merge_config_selectorIhNS0_10empty_typeEEEZZNS1_27merge_sort_block_merge_implIS3_PhPS5_jNS1_19radix_merge_compareILb1ELb0EhNS0_19identity_decomposerEEEEE10hipError_tT0_T1_T2_jT3_P12ihipStream_tbPNSt15iterator_traitsISE_E10value_typeEPNSK_ISF_E10value_typeEPSG_NS1_7vsmem_tEENKUlT_SE_SF_SG_E_clIS8_S8_S9_S9_EESD_ST_SE_SF_SG_EUlST_E0_NS1_11comp_targetILNS1_3genE4ELNS1_11target_archE910ELNS1_3gpuE8ELNS1_3repE0EEENS1_38merge_mergepath_config_static_selectorELNS0_4arch9wavefront6targetE0EEEvSF_.kd
    .uniform_work_group_size: 1
    .uses_dynamic_stack: false
    .vgpr_count:     0
    .vgpr_spill_count: 0
    .wavefront_size: 32
  - .args:
      - .offset:         0
        .size:           64
        .value_kind:     by_value
    .group_segment_fixed_size: 0
    .kernarg_segment_align: 8
    .kernarg_segment_size: 64
    .language:       OpenCL C
    .language_version:
      - 2
      - 0
    .max_flat_workgroup_size: 128
    .name:           _ZN7rocprim17ROCPRIM_400000_NS6detail17trampoline_kernelINS0_14default_configENS1_38merge_sort_block_merge_config_selectorIhNS0_10empty_typeEEEZZNS1_27merge_sort_block_merge_implIS3_PhPS5_jNS1_19radix_merge_compareILb1ELb0EhNS0_19identity_decomposerEEEEE10hipError_tT0_T1_T2_jT3_P12ihipStream_tbPNSt15iterator_traitsISE_E10value_typeEPNSK_ISF_E10value_typeEPSG_NS1_7vsmem_tEENKUlT_SE_SF_SG_E_clIS8_S8_S9_S9_EESD_ST_SE_SF_SG_EUlST_E0_NS1_11comp_targetILNS1_3genE3ELNS1_11target_archE908ELNS1_3gpuE7ELNS1_3repE0EEENS1_38merge_mergepath_config_static_selectorELNS0_4arch9wavefront6targetE0EEEvSF_
    .private_segment_fixed_size: 0
    .sgpr_count:     0
    .sgpr_spill_count: 0
    .symbol:         _ZN7rocprim17ROCPRIM_400000_NS6detail17trampoline_kernelINS0_14default_configENS1_38merge_sort_block_merge_config_selectorIhNS0_10empty_typeEEEZZNS1_27merge_sort_block_merge_implIS3_PhPS5_jNS1_19radix_merge_compareILb1ELb0EhNS0_19identity_decomposerEEEEE10hipError_tT0_T1_T2_jT3_P12ihipStream_tbPNSt15iterator_traitsISE_E10value_typeEPNSK_ISF_E10value_typeEPSG_NS1_7vsmem_tEENKUlT_SE_SF_SG_E_clIS8_S8_S9_S9_EESD_ST_SE_SF_SG_EUlST_E0_NS1_11comp_targetILNS1_3genE3ELNS1_11target_archE908ELNS1_3gpuE7ELNS1_3repE0EEENS1_38merge_mergepath_config_static_selectorELNS0_4arch9wavefront6targetE0EEEvSF_.kd
    .uniform_work_group_size: 1
    .uses_dynamic_stack: false
    .vgpr_count:     0
    .vgpr_spill_count: 0
    .wavefront_size: 32
  - .args:
      - .offset:         0
        .size:           64
        .value_kind:     by_value
    .group_segment_fixed_size: 0
    .kernarg_segment_align: 8
    .kernarg_segment_size: 64
    .language:       OpenCL C
    .language_version:
      - 2
      - 0
    .max_flat_workgroup_size: 128
    .name:           _ZN7rocprim17ROCPRIM_400000_NS6detail17trampoline_kernelINS0_14default_configENS1_38merge_sort_block_merge_config_selectorIhNS0_10empty_typeEEEZZNS1_27merge_sort_block_merge_implIS3_PhPS5_jNS1_19radix_merge_compareILb1ELb0EhNS0_19identity_decomposerEEEEE10hipError_tT0_T1_T2_jT3_P12ihipStream_tbPNSt15iterator_traitsISE_E10value_typeEPNSK_ISF_E10value_typeEPSG_NS1_7vsmem_tEENKUlT_SE_SF_SG_E_clIS8_S8_S9_S9_EESD_ST_SE_SF_SG_EUlST_E0_NS1_11comp_targetILNS1_3genE2ELNS1_11target_archE906ELNS1_3gpuE6ELNS1_3repE0EEENS1_38merge_mergepath_config_static_selectorELNS0_4arch9wavefront6targetE0EEEvSF_
    .private_segment_fixed_size: 0
    .sgpr_count:     0
    .sgpr_spill_count: 0
    .symbol:         _ZN7rocprim17ROCPRIM_400000_NS6detail17trampoline_kernelINS0_14default_configENS1_38merge_sort_block_merge_config_selectorIhNS0_10empty_typeEEEZZNS1_27merge_sort_block_merge_implIS3_PhPS5_jNS1_19radix_merge_compareILb1ELb0EhNS0_19identity_decomposerEEEEE10hipError_tT0_T1_T2_jT3_P12ihipStream_tbPNSt15iterator_traitsISE_E10value_typeEPNSK_ISF_E10value_typeEPSG_NS1_7vsmem_tEENKUlT_SE_SF_SG_E_clIS8_S8_S9_S9_EESD_ST_SE_SF_SG_EUlST_E0_NS1_11comp_targetILNS1_3genE2ELNS1_11target_archE906ELNS1_3gpuE6ELNS1_3repE0EEENS1_38merge_mergepath_config_static_selectorELNS0_4arch9wavefront6targetE0EEEvSF_.kd
    .uniform_work_group_size: 1
    .uses_dynamic_stack: false
    .vgpr_count:     0
    .vgpr_spill_count: 0
    .wavefront_size: 32
  - .args:
      - .offset:         0
        .size:           64
        .value_kind:     by_value
    .group_segment_fixed_size: 0
    .kernarg_segment_align: 8
    .kernarg_segment_size: 64
    .language:       OpenCL C
    .language_version:
      - 2
      - 0
    .max_flat_workgroup_size: 128
    .name:           _ZN7rocprim17ROCPRIM_400000_NS6detail17trampoline_kernelINS0_14default_configENS1_38merge_sort_block_merge_config_selectorIhNS0_10empty_typeEEEZZNS1_27merge_sort_block_merge_implIS3_PhPS5_jNS1_19radix_merge_compareILb1ELb0EhNS0_19identity_decomposerEEEEE10hipError_tT0_T1_T2_jT3_P12ihipStream_tbPNSt15iterator_traitsISE_E10value_typeEPNSK_ISF_E10value_typeEPSG_NS1_7vsmem_tEENKUlT_SE_SF_SG_E_clIS8_S8_S9_S9_EESD_ST_SE_SF_SG_EUlST_E0_NS1_11comp_targetILNS1_3genE9ELNS1_11target_archE1100ELNS1_3gpuE3ELNS1_3repE0EEENS1_38merge_mergepath_config_static_selectorELNS0_4arch9wavefront6targetE0EEEvSF_
    .private_segment_fixed_size: 0
    .sgpr_count:     0
    .sgpr_spill_count: 0
    .symbol:         _ZN7rocprim17ROCPRIM_400000_NS6detail17trampoline_kernelINS0_14default_configENS1_38merge_sort_block_merge_config_selectorIhNS0_10empty_typeEEEZZNS1_27merge_sort_block_merge_implIS3_PhPS5_jNS1_19radix_merge_compareILb1ELb0EhNS0_19identity_decomposerEEEEE10hipError_tT0_T1_T2_jT3_P12ihipStream_tbPNSt15iterator_traitsISE_E10value_typeEPNSK_ISF_E10value_typeEPSG_NS1_7vsmem_tEENKUlT_SE_SF_SG_E_clIS8_S8_S9_S9_EESD_ST_SE_SF_SG_EUlST_E0_NS1_11comp_targetILNS1_3genE9ELNS1_11target_archE1100ELNS1_3gpuE3ELNS1_3repE0EEENS1_38merge_mergepath_config_static_selectorELNS0_4arch9wavefront6targetE0EEEvSF_.kd
    .uniform_work_group_size: 1
    .uses_dynamic_stack: false
    .vgpr_count:     0
    .vgpr_spill_count: 0
    .wavefront_size: 32
  - .args:
      - .offset:         0
        .size:           64
        .value_kind:     by_value
    .group_segment_fixed_size: 0
    .kernarg_segment_align: 8
    .kernarg_segment_size: 64
    .language:       OpenCL C
    .language_version:
      - 2
      - 0
    .max_flat_workgroup_size: 128
    .name:           _ZN7rocprim17ROCPRIM_400000_NS6detail17trampoline_kernelINS0_14default_configENS1_38merge_sort_block_merge_config_selectorIhNS0_10empty_typeEEEZZNS1_27merge_sort_block_merge_implIS3_PhPS5_jNS1_19radix_merge_compareILb1ELb0EhNS0_19identity_decomposerEEEEE10hipError_tT0_T1_T2_jT3_P12ihipStream_tbPNSt15iterator_traitsISE_E10value_typeEPNSK_ISF_E10value_typeEPSG_NS1_7vsmem_tEENKUlT_SE_SF_SG_E_clIS8_S8_S9_S9_EESD_ST_SE_SF_SG_EUlST_E0_NS1_11comp_targetILNS1_3genE8ELNS1_11target_archE1030ELNS1_3gpuE2ELNS1_3repE0EEENS1_38merge_mergepath_config_static_selectorELNS0_4arch9wavefront6targetE0EEEvSF_
    .private_segment_fixed_size: 0
    .sgpr_count:     0
    .sgpr_spill_count: 0
    .symbol:         _ZN7rocprim17ROCPRIM_400000_NS6detail17trampoline_kernelINS0_14default_configENS1_38merge_sort_block_merge_config_selectorIhNS0_10empty_typeEEEZZNS1_27merge_sort_block_merge_implIS3_PhPS5_jNS1_19radix_merge_compareILb1ELb0EhNS0_19identity_decomposerEEEEE10hipError_tT0_T1_T2_jT3_P12ihipStream_tbPNSt15iterator_traitsISE_E10value_typeEPNSK_ISF_E10value_typeEPSG_NS1_7vsmem_tEENKUlT_SE_SF_SG_E_clIS8_S8_S9_S9_EESD_ST_SE_SF_SG_EUlST_E0_NS1_11comp_targetILNS1_3genE8ELNS1_11target_archE1030ELNS1_3gpuE2ELNS1_3repE0EEENS1_38merge_mergepath_config_static_selectorELNS0_4arch9wavefront6targetE0EEEvSF_.kd
    .uniform_work_group_size: 1
    .uses_dynamic_stack: false
    .vgpr_count:     0
    .vgpr_spill_count: 0
    .wavefront_size: 32
  - .args:
      - .offset:         0
        .size:           48
        .value_kind:     by_value
    .group_segment_fixed_size: 0
    .kernarg_segment_align: 8
    .kernarg_segment_size: 48
    .language:       OpenCL C
    .language_version:
      - 2
      - 0
    .max_flat_workgroup_size: 256
    .name:           _ZN7rocprim17ROCPRIM_400000_NS6detail17trampoline_kernelINS0_14default_configENS1_38merge_sort_block_merge_config_selectorIhNS0_10empty_typeEEEZZNS1_27merge_sort_block_merge_implIS3_PhPS5_jNS1_19radix_merge_compareILb1ELb0EhNS0_19identity_decomposerEEEEE10hipError_tT0_T1_T2_jT3_P12ihipStream_tbPNSt15iterator_traitsISE_E10value_typeEPNSK_ISF_E10value_typeEPSG_NS1_7vsmem_tEENKUlT_SE_SF_SG_E_clIS8_S8_S9_S9_EESD_ST_SE_SF_SG_EUlST_E1_NS1_11comp_targetILNS1_3genE0ELNS1_11target_archE4294967295ELNS1_3gpuE0ELNS1_3repE0EEENS1_36merge_oddeven_config_static_selectorELNS0_4arch9wavefront6targetE0EEEvSF_
    .private_segment_fixed_size: 0
    .sgpr_count:     17
    .sgpr_spill_count: 0
    .symbol:         _ZN7rocprim17ROCPRIM_400000_NS6detail17trampoline_kernelINS0_14default_configENS1_38merge_sort_block_merge_config_selectorIhNS0_10empty_typeEEEZZNS1_27merge_sort_block_merge_implIS3_PhPS5_jNS1_19radix_merge_compareILb1ELb0EhNS0_19identity_decomposerEEEEE10hipError_tT0_T1_T2_jT3_P12ihipStream_tbPNSt15iterator_traitsISE_E10value_typeEPNSK_ISF_E10value_typeEPSG_NS1_7vsmem_tEENKUlT_SE_SF_SG_E_clIS8_S8_S9_S9_EESD_ST_SE_SF_SG_EUlST_E1_NS1_11comp_targetILNS1_3genE0ELNS1_11target_archE4294967295ELNS1_3gpuE0ELNS1_3repE0EEENS1_36merge_oddeven_config_static_selectorELNS0_4arch9wavefront6targetE0EEEvSF_.kd
    .uniform_work_group_size: 1
    .uses_dynamic_stack: false
    .vgpr_count:     8
    .vgpr_spill_count: 0
    .wavefront_size: 32
  - .args:
      - .offset:         0
        .size:           48
        .value_kind:     by_value
    .group_segment_fixed_size: 0
    .kernarg_segment_align: 8
    .kernarg_segment_size: 48
    .language:       OpenCL C
    .language_version:
      - 2
      - 0
    .max_flat_workgroup_size: 256
    .name:           _ZN7rocprim17ROCPRIM_400000_NS6detail17trampoline_kernelINS0_14default_configENS1_38merge_sort_block_merge_config_selectorIhNS0_10empty_typeEEEZZNS1_27merge_sort_block_merge_implIS3_PhPS5_jNS1_19radix_merge_compareILb1ELb0EhNS0_19identity_decomposerEEEEE10hipError_tT0_T1_T2_jT3_P12ihipStream_tbPNSt15iterator_traitsISE_E10value_typeEPNSK_ISF_E10value_typeEPSG_NS1_7vsmem_tEENKUlT_SE_SF_SG_E_clIS8_S8_S9_S9_EESD_ST_SE_SF_SG_EUlST_E1_NS1_11comp_targetILNS1_3genE10ELNS1_11target_archE1201ELNS1_3gpuE5ELNS1_3repE0EEENS1_36merge_oddeven_config_static_selectorELNS0_4arch9wavefront6targetE0EEEvSF_
    .private_segment_fixed_size: 0
    .sgpr_count:     0
    .sgpr_spill_count: 0
    .symbol:         _ZN7rocprim17ROCPRIM_400000_NS6detail17trampoline_kernelINS0_14default_configENS1_38merge_sort_block_merge_config_selectorIhNS0_10empty_typeEEEZZNS1_27merge_sort_block_merge_implIS3_PhPS5_jNS1_19radix_merge_compareILb1ELb0EhNS0_19identity_decomposerEEEEE10hipError_tT0_T1_T2_jT3_P12ihipStream_tbPNSt15iterator_traitsISE_E10value_typeEPNSK_ISF_E10value_typeEPSG_NS1_7vsmem_tEENKUlT_SE_SF_SG_E_clIS8_S8_S9_S9_EESD_ST_SE_SF_SG_EUlST_E1_NS1_11comp_targetILNS1_3genE10ELNS1_11target_archE1201ELNS1_3gpuE5ELNS1_3repE0EEENS1_36merge_oddeven_config_static_selectorELNS0_4arch9wavefront6targetE0EEEvSF_.kd
    .uniform_work_group_size: 1
    .uses_dynamic_stack: false
    .vgpr_count:     0
    .vgpr_spill_count: 0
    .wavefront_size: 32
  - .args:
      - .offset:         0
        .size:           48
        .value_kind:     by_value
    .group_segment_fixed_size: 0
    .kernarg_segment_align: 8
    .kernarg_segment_size: 48
    .language:       OpenCL C
    .language_version:
      - 2
      - 0
    .max_flat_workgroup_size: 256
    .name:           _ZN7rocprim17ROCPRIM_400000_NS6detail17trampoline_kernelINS0_14default_configENS1_38merge_sort_block_merge_config_selectorIhNS0_10empty_typeEEEZZNS1_27merge_sort_block_merge_implIS3_PhPS5_jNS1_19radix_merge_compareILb1ELb0EhNS0_19identity_decomposerEEEEE10hipError_tT0_T1_T2_jT3_P12ihipStream_tbPNSt15iterator_traitsISE_E10value_typeEPNSK_ISF_E10value_typeEPSG_NS1_7vsmem_tEENKUlT_SE_SF_SG_E_clIS8_S8_S9_S9_EESD_ST_SE_SF_SG_EUlST_E1_NS1_11comp_targetILNS1_3genE5ELNS1_11target_archE942ELNS1_3gpuE9ELNS1_3repE0EEENS1_36merge_oddeven_config_static_selectorELNS0_4arch9wavefront6targetE0EEEvSF_
    .private_segment_fixed_size: 0
    .sgpr_count:     0
    .sgpr_spill_count: 0
    .symbol:         _ZN7rocprim17ROCPRIM_400000_NS6detail17trampoline_kernelINS0_14default_configENS1_38merge_sort_block_merge_config_selectorIhNS0_10empty_typeEEEZZNS1_27merge_sort_block_merge_implIS3_PhPS5_jNS1_19radix_merge_compareILb1ELb0EhNS0_19identity_decomposerEEEEE10hipError_tT0_T1_T2_jT3_P12ihipStream_tbPNSt15iterator_traitsISE_E10value_typeEPNSK_ISF_E10value_typeEPSG_NS1_7vsmem_tEENKUlT_SE_SF_SG_E_clIS8_S8_S9_S9_EESD_ST_SE_SF_SG_EUlST_E1_NS1_11comp_targetILNS1_3genE5ELNS1_11target_archE942ELNS1_3gpuE9ELNS1_3repE0EEENS1_36merge_oddeven_config_static_selectorELNS0_4arch9wavefront6targetE0EEEvSF_.kd
    .uniform_work_group_size: 1
    .uses_dynamic_stack: false
    .vgpr_count:     0
    .vgpr_spill_count: 0
    .wavefront_size: 32
  - .args:
      - .offset:         0
        .size:           48
        .value_kind:     by_value
    .group_segment_fixed_size: 0
    .kernarg_segment_align: 8
    .kernarg_segment_size: 48
    .language:       OpenCL C
    .language_version:
      - 2
      - 0
    .max_flat_workgroup_size: 256
    .name:           _ZN7rocprim17ROCPRIM_400000_NS6detail17trampoline_kernelINS0_14default_configENS1_38merge_sort_block_merge_config_selectorIhNS0_10empty_typeEEEZZNS1_27merge_sort_block_merge_implIS3_PhPS5_jNS1_19radix_merge_compareILb1ELb0EhNS0_19identity_decomposerEEEEE10hipError_tT0_T1_T2_jT3_P12ihipStream_tbPNSt15iterator_traitsISE_E10value_typeEPNSK_ISF_E10value_typeEPSG_NS1_7vsmem_tEENKUlT_SE_SF_SG_E_clIS8_S8_S9_S9_EESD_ST_SE_SF_SG_EUlST_E1_NS1_11comp_targetILNS1_3genE4ELNS1_11target_archE910ELNS1_3gpuE8ELNS1_3repE0EEENS1_36merge_oddeven_config_static_selectorELNS0_4arch9wavefront6targetE0EEEvSF_
    .private_segment_fixed_size: 0
    .sgpr_count:     0
    .sgpr_spill_count: 0
    .symbol:         _ZN7rocprim17ROCPRIM_400000_NS6detail17trampoline_kernelINS0_14default_configENS1_38merge_sort_block_merge_config_selectorIhNS0_10empty_typeEEEZZNS1_27merge_sort_block_merge_implIS3_PhPS5_jNS1_19radix_merge_compareILb1ELb0EhNS0_19identity_decomposerEEEEE10hipError_tT0_T1_T2_jT3_P12ihipStream_tbPNSt15iterator_traitsISE_E10value_typeEPNSK_ISF_E10value_typeEPSG_NS1_7vsmem_tEENKUlT_SE_SF_SG_E_clIS8_S8_S9_S9_EESD_ST_SE_SF_SG_EUlST_E1_NS1_11comp_targetILNS1_3genE4ELNS1_11target_archE910ELNS1_3gpuE8ELNS1_3repE0EEENS1_36merge_oddeven_config_static_selectorELNS0_4arch9wavefront6targetE0EEEvSF_.kd
    .uniform_work_group_size: 1
    .uses_dynamic_stack: false
    .vgpr_count:     0
    .vgpr_spill_count: 0
    .wavefront_size: 32
  - .args:
      - .offset:         0
        .size:           48
        .value_kind:     by_value
    .group_segment_fixed_size: 0
    .kernarg_segment_align: 8
    .kernarg_segment_size: 48
    .language:       OpenCL C
    .language_version:
      - 2
      - 0
    .max_flat_workgroup_size: 256
    .name:           _ZN7rocprim17ROCPRIM_400000_NS6detail17trampoline_kernelINS0_14default_configENS1_38merge_sort_block_merge_config_selectorIhNS0_10empty_typeEEEZZNS1_27merge_sort_block_merge_implIS3_PhPS5_jNS1_19radix_merge_compareILb1ELb0EhNS0_19identity_decomposerEEEEE10hipError_tT0_T1_T2_jT3_P12ihipStream_tbPNSt15iterator_traitsISE_E10value_typeEPNSK_ISF_E10value_typeEPSG_NS1_7vsmem_tEENKUlT_SE_SF_SG_E_clIS8_S8_S9_S9_EESD_ST_SE_SF_SG_EUlST_E1_NS1_11comp_targetILNS1_3genE3ELNS1_11target_archE908ELNS1_3gpuE7ELNS1_3repE0EEENS1_36merge_oddeven_config_static_selectorELNS0_4arch9wavefront6targetE0EEEvSF_
    .private_segment_fixed_size: 0
    .sgpr_count:     0
    .sgpr_spill_count: 0
    .symbol:         _ZN7rocprim17ROCPRIM_400000_NS6detail17trampoline_kernelINS0_14default_configENS1_38merge_sort_block_merge_config_selectorIhNS0_10empty_typeEEEZZNS1_27merge_sort_block_merge_implIS3_PhPS5_jNS1_19radix_merge_compareILb1ELb0EhNS0_19identity_decomposerEEEEE10hipError_tT0_T1_T2_jT3_P12ihipStream_tbPNSt15iterator_traitsISE_E10value_typeEPNSK_ISF_E10value_typeEPSG_NS1_7vsmem_tEENKUlT_SE_SF_SG_E_clIS8_S8_S9_S9_EESD_ST_SE_SF_SG_EUlST_E1_NS1_11comp_targetILNS1_3genE3ELNS1_11target_archE908ELNS1_3gpuE7ELNS1_3repE0EEENS1_36merge_oddeven_config_static_selectorELNS0_4arch9wavefront6targetE0EEEvSF_.kd
    .uniform_work_group_size: 1
    .uses_dynamic_stack: false
    .vgpr_count:     0
    .vgpr_spill_count: 0
    .wavefront_size: 32
  - .args:
      - .offset:         0
        .size:           48
        .value_kind:     by_value
    .group_segment_fixed_size: 0
    .kernarg_segment_align: 8
    .kernarg_segment_size: 48
    .language:       OpenCL C
    .language_version:
      - 2
      - 0
    .max_flat_workgroup_size: 256
    .name:           _ZN7rocprim17ROCPRIM_400000_NS6detail17trampoline_kernelINS0_14default_configENS1_38merge_sort_block_merge_config_selectorIhNS0_10empty_typeEEEZZNS1_27merge_sort_block_merge_implIS3_PhPS5_jNS1_19radix_merge_compareILb1ELb0EhNS0_19identity_decomposerEEEEE10hipError_tT0_T1_T2_jT3_P12ihipStream_tbPNSt15iterator_traitsISE_E10value_typeEPNSK_ISF_E10value_typeEPSG_NS1_7vsmem_tEENKUlT_SE_SF_SG_E_clIS8_S8_S9_S9_EESD_ST_SE_SF_SG_EUlST_E1_NS1_11comp_targetILNS1_3genE2ELNS1_11target_archE906ELNS1_3gpuE6ELNS1_3repE0EEENS1_36merge_oddeven_config_static_selectorELNS0_4arch9wavefront6targetE0EEEvSF_
    .private_segment_fixed_size: 0
    .sgpr_count:     0
    .sgpr_spill_count: 0
    .symbol:         _ZN7rocprim17ROCPRIM_400000_NS6detail17trampoline_kernelINS0_14default_configENS1_38merge_sort_block_merge_config_selectorIhNS0_10empty_typeEEEZZNS1_27merge_sort_block_merge_implIS3_PhPS5_jNS1_19radix_merge_compareILb1ELb0EhNS0_19identity_decomposerEEEEE10hipError_tT0_T1_T2_jT3_P12ihipStream_tbPNSt15iterator_traitsISE_E10value_typeEPNSK_ISF_E10value_typeEPSG_NS1_7vsmem_tEENKUlT_SE_SF_SG_E_clIS8_S8_S9_S9_EESD_ST_SE_SF_SG_EUlST_E1_NS1_11comp_targetILNS1_3genE2ELNS1_11target_archE906ELNS1_3gpuE6ELNS1_3repE0EEENS1_36merge_oddeven_config_static_selectorELNS0_4arch9wavefront6targetE0EEEvSF_.kd
    .uniform_work_group_size: 1
    .uses_dynamic_stack: false
    .vgpr_count:     0
    .vgpr_spill_count: 0
    .wavefront_size: 32
  - .args:
      - .offset:         0
        .size:           48
        .value_kind:     by_value
    .group_segment_fixed_size: 0
    .kernarg_segment_align: 8
    .kernarg_segment_size: 48
    .language:       OpenCL C
    .language_version:
      - 2
      - 0
    .max_flat_workgroup_size: 256
    .name:           _ZN7rocprim17ROCPRIM_400000_NS6detail17trampoline_kernelINS0_14default_configENS1_38merge_sort_block_merge_config_selectorIhNS0_10empty_typeEEEZZNS1_27merge_sort_block_merge_implIS3_PhPS5_jNS1_19radix_merge_compareILb1ELb0EhNS0_19identity_decomposerEEEEE10hipError_tT0_T1_T2_jT3_P12ihipStream_tbPNSt15iterator_traitsISE_E10value_typeEPNSK_ISF_E10value_typeEPSG_NS1_7vsmem_tEENKUlT_SE_SF_SG_E_clIS8_S8_S9_S9_EESD_ST_SE_SF_SG_EUlST_E1_NS1_11comp_targetILNS1_3genE9ELNS1_11target_archE1100ELNS1_3gpuE3ELNS1_3repE0EEENS1_36merge_oddeven_config_static_selectorELNS0_4arch9wavefront6targetE0EEEvSF_
    .private_segment_fixed_size: 0
    .sgpr_count:     0
    .sgpr_spill_count: 0
    .symbol:         _ZN7rocprim17ROCPRIM_400000_NS6detail17trampoline_kernelINS0_14default_configENS1_38merge_sort_block_merge_config_selectorIhNS0_10empty_typeEEEZZNS1_27merge_sort_block_merge_implIS3_PhPS5_jNS1_19radix_merge_compareILb1ELb0EhNS0_19identity_decomposerEEEEE10hipError_tT0_T1_T2_jT3_P12ihipStream_tbPNSt15iterator_traitsISE_E10value_typeEPNSK_ISF_E10value_typeEPSG_NS1_7vsmem_tEENKUlT_SE_SF_SG_E_clIS8_S8_S9_S9_EESD_ST_SE_SF_SG_EUlST_E1_NS1_11comp_targetILNS1_3genE9ELNS1_11target_archE1100ELNS1_3gpuE3ELNS1_3repE0EEENS1_36merge_oddeven_config_static_selectorELNS0_4arch9wavefront6targetE0EEEvSF_.kd
    .uniform_work_group_size: 1
    .uses_dynamic_stack: false
    .vgpr_count:     0
    .vgpr_spill_count: 0
    .wavefront_size: 32
  - .args:
      - .offset:         0
        .size:           48
        .value_kind:     by_value
    .group_segment_fixed_size: 0
    .kernarg_segment_align: 8
    .kernarg_segment_size: 48
    .language:       OpenCL C
    .language_version:
      - 2
      - 0
    .max_flat_workgroup_size: 256
    .name:           _ZN7rocprim17ROCPRIM_400000_NS6detail17trampoline_kernelINS0_14default_configENS1_38merge_sort_block_merge_config_selectorIhNS0_10empty_typeEEEZZNS1_27merge_sort_block_merge_implIS3_PhPS5_jNS1_19radix_merge_compareILb1ELb0EhNS0_19identity_decomposerEEEEE10hipError_tT0_T1_T2_jT3_P12ihipStream_tbPNSt15iterator_traitsISE_E10value_typeEPNSK_ISF_E10value_typeEPSG_NS1_7vsmem_tEENKUlT_SE_SF_SG_E_clIS8_S8_S9_S9_EESD_ST_SE_SF_SG_EUlST_E1_NS1_11comp_targetILNS1_3genE8ELNS1_11target_archE1030ELNS1_3gpuE2ELNS1_3repE0EEENS1_36merge_oddeven_config_static_selectorELNS0_4arch9wavefront6targetE0EEEvSF_
    .private_segment_fixed_size: 0
    .sgpr_count:     0
    .sgpr_spill_count: 0
    .symbol:         _ZN7rocprim17ROCPRIM_400000_NS6detail17trampoline_kernelINS0_14default_configENS1_38merge_sort_block_merge_config_selectorIhNS0_10empty_typeEEEZZNS1_27merge_sort_block_merge_implIS3_PhPS5_jNS1_19radix_merge_compareILb1ELb0EhNS0_19identity_decomposerEEEEE10hipError_tT0_T1_T2_jT3_P12ihipStream_tbPNSt15iterator_traitsISE_E10value_typeEPNSK_ISF_E10value_typeEPSG_NS1_7vsmem_tEENKUlT_SE_SF_SG_E_clIS8_S8_S9_S9_EESD_ST_SE_SF_SG_EUlST_E1_NS1_11comp_targetILNS1_3genE8ELNS1_11target_archE1030ELNS1_3gpuE2ELNS1_3repE0EEENS1_36merge_oddeven_config_static_selectorELNS0_4arch9wavefront6targetE0EEEvSF_.kd
    .uniform_work_group_size: 1
    .uses_dynamic_stack: false
    .vgpr_count:     0
    .vgpr_spill_count: 0
    .wavefront_size: 32
  - .args:
      - .offset:         0
        .size:           40
        .value_kind:     by_value
      - .offset:         40
        .size:           4
        .value_kind:     hidden_block_count_x
      - .offset:         44
        .size:           4
        .value_kind:     hidden_block_count_y
      - .offset:         48
        .size:           4
        .value_kind:     hidden_block_count_z
      - .offset:         52
        .size:           2
        .value_kind:     hidden_group_size_x
      - .offset:         54
        .size:           2
        .value_kind:     hidden_group_size_y
      - .offset:         56
        .size:           2
        .value_kind:     hidden_group_size_z
      - .offset:         58
        .size:           2
        .value_kind:     hidden_remainder_x
      - .offset:         60
        .size:           2
        .value_kind:     hidden_remainder_y
      - .offset:         62
        .size:           2
        .value_kind:     hidden_remainder_z
      - .offset:         80
        .size:           8
        .value_kind:     hidden_global_offset_x
      - .offset:         88
        .size:           8
        .value_kind:     hidden_global_offset_y
      - .offset:         96
        .size:           8
        .value_kind:     hidden_global_offset_z
      - .offset:         104
        .size:           2
        .value_kind:     hidden_grid_dims
    .group_segment_fixed_size: 0
    .kernarg_segment_align: 8
    .kernarg_segment_size: 296
    .language:       OpenCL C
    .language_version:
      - 2
      - 0
    .max_flat_workgroup_size: 128
    .name:           _ZN7rocprim17ROCPRIM_400000_NS6detail17trampoline_kernelINS0_14default_configENS1_25transform_config_selectorIhLb1EEEZNS1_14transform_implILb1ES3_S5_PhS7_NS0_8identityIhEEEE10hipError_tT2_T3_mT4_P12ihipStream_tbEUlT_E_NS1_11comp_targetILNS1_3genE0ELNS1_11target_archE4294967295ELNS1_3gpuE0ELNS1_3repE0EEENS1_30default_config_static_selectorELNS0_4arch9wavefront6targetE0EEEvT1_
    .private_segment_fixed_size: 0
    .sgpr_count:     16
    .sgpr_spill_count: 0
    .symbol:         _ZN7rocprim17ROCPRIM_400000_NS6detail17trampoline_kernelINS0_14default_configENS1_25transform_config_selectorIhLb1EEEZNS1_14transform_implILb1ES3_S5_PhS7_NS0_8identityIhEEEE10hipError_tT2_T3_mT4_P12ihipStream_tbEUlT_E_NS1_11comp_targetILNS1_3genE0ELNS1_11target_archE4294967295ELNS1_3gpuE0ELNS1_3repE0EEENS1_30default_config_static_selectorELNS0_4arch9wavefront6targetE0EEEvT1_.kd
    .uniform_work_group_size: 1
    .uses_dynamic_stack: false
    .vgpr_count:     13
    .vgpr_spill_count: 0
    .wavefront_size: 32
  - .args:
      - .offset:         0
        .size:           40
        .value_kind:     by_value
    .group_segment_fixed_size: 0
    .kernarg_segment_align: 8
    .kernarg_segment_size: 40
    .language:       OpenCL C
    .language_version:
      - 2
      - 0
    .max_flat_workgroup_size: 1024
    .name:           _ZN7rocprim17ROCPRIM_400000_NS6detail17trampoline_kernelINS0_14default_configENS1_25transform_config_selectorIhLb1EEEZNS1_14transform_implILb1ES3_S5_PhS7_NS0_8identityIhEEEE10hipError_tT2_T3_mT4_P12ihipStream_tbEUlT_E_NS1_11comp_targetILNS1_3genE10ELNS1_11target_archE1201ELNS1_3gpuE5ELNS1_3repE0EEENS1_30default_config_static_selectorELNS0_4arch9wavefront6targetE0EEEvT1_
    .private_segment_fixed_size: 0
    .sgpr_count:     0
    .sgpr_spill_count: 0
    .symbol:         _ZN7rocprim17ROCPRIM_400000_NS6detail17trampoline_kernelINS0_14default_configENS1_25transform_config_selectorIhLb1EEEZNS1_14transform_implILb1ES3_S5_PhS7_NS0_8identityIhEEEE10hipError_tT2_T3_mT4_P12ihipStream_tbEUlT_E_NS1_11comp_targetILNS1_3genE10ELNS1_11target_archE1201ELNS1_3gpuE5ELNS1_3repE0EEENS1_30default_config_static_selectorELNS0_4arch9wavefront6targetE0EEEvT1_.kd
    .uniform_work_group_size: 1
    .uses_dynamic_stack: false
    .vgpr_count:     0
    .vgpr_spill_count: 0
    .wavefront_size: 32
  - .args:
      - .offset:         0
        .size:           40
        .value_kind:     by_value
    .group_segment_fixed_size: 0
    .kernarg_segment_align: 8
    .kernarg_segment_size: 40
    .language:       OpenCL C
    .language_version:
      - 2
      - 0
    .max_flat_workgroup_size: 256
    .name:           _ZN7rocprim17ROCPRIM_400000_NS6detail17trampoline_kernelINS0_14default_configENS1_25transform_config_selectorIhLb1EEEZNS1_14transform_implILb1ES3_S5_PhS7_NS0_8identityIhEEEE10hipError_tT2_T3_mT4_P12ihipStream_tbEUlT_E_NS1_11comp_targetILNS1_3genE5ELNS1_11target_archE942ELNS1_3gpuE9ELNS1_3repE0EEENS1_30default_config_static_selectorELNS0_4arch9wavefront6targetE0EEEvT1_
    .private_segment_fixed_size: 0
    .sgpr_count:     0
    .sgpr_spill_count: 0
    .symbol:         _ZN7rocprim17ROCPRIM_400000_NS6detail17trampoline_kernelINS0_14default_configENS1_25transform_config_selectorIhLb1EEEZNS1_14transform_implILb1ES3_S5_PhS7_NS0_8identityIhEEEE10hipError_tT2_T3_mT4_P12ihipStream_tbEUlT_E_NS1_11comp_targetILNS1_3genE5ELNS1_11target_archE942ELNS1_3gpuE9ELNS1_3repE0EEENS1_30default_config_static_selectorELNS0_4arch9wavefront6targetE0EEEvT1_.kd
    .uniform_work_group_size: 1
    .uses_dynamic_stack: false
    .vgpr_count:     0
    .vgpr_spill_count: 0
    .wavefront_size: 32
  - .args:
      - .offset:         0
        .size:           40
        .value_kind:     by_value
    .group_segment_fixed_size: 0
    .kernarg_segment_align: 8
    .kernarg_segment_size: 40
    .language:       OpenCL C
    .language_version:
      - 2
      - 0
    .max_flat_workgroup_size: 1024
    .name:           _ZN7rocprim17ROCPRIM_400000_NS6detail17trampoline_kernelINS0_14default_configENS1_25transform_config_selectorIhLb1EEEZNS1_14transform_implILb1ES3_S5_PhS7_NS0_8identityIhEEEE10hipError_tT2_T3_mT4_P12ihipStream_tbEUlT_E_NS1_11comp_targetILNS1_3genE4ELNS1_11target_archE910ELNS1_3gpuE8ELNS1_3repE0EEENS1_30default_config_static_selectorELNS0_4arch9wavefront6targetE0EEEvT1_
    .private_segment_fixed_size: 0
    .sgpr_count:     0
    .sgpr_spill_count: 0
    .symbol:         _ZN7rocprim17ROCPRIM_400000_NS6detail17trampoline_kernelINS0_14default_configENS1_25transform_config_selectorIhLb1EEEZNS1_14transform_implILb1ES3_S5_PhS7_NS0_8identityIhEEEE10hipError_tT2_T3_mT4_P12ihipStream_tbEUlT_E_NS1_11comp_targetILNS1_3genE4ELNS1_11target_archE910ELNS1_3gpuE8ELNS1_3repE0EEENS1_30default_config_static_selectorELNS0_4arch9wavefront6targetE0EEEvT1_.kd
    .uniform_work_group_size: 1
    .uses_dynamic_stack: false
    .vgpr_count:     0
    .vgpr_spill_count: 0
    .wavefront_size: 32
  - .args:
      - .offset:         0
        .size:           40
        .value_kind:     by_value
    .group_segment_fixed_size: 0
    .kernarg_segment_align: 8
    .kernarg_segment_size: 40
    .language:       OpenCL C
    .language_version:
      - 2
      - 0
    .max_flat_workgroup_size: 128
    .name:           _ZN7rocprim17ROCPRIM_400000_NS6detail17trampoline_kernelINS0_14default_configENS1_25transform_config_selectorIhLb1EEEZNS1_14transform_implILb1ES3_S5_PhS7_NS0_8identityIhEEEE10hipError_tT2_T3_mT4_P12ihipStream_tbEUlT_E_NS1_11comp_targetILNS1_3genE3ELNS1_11target_archE908ELNS1_3gpuE7ELNS1_3repE0EEENS1_30default_config_static_selectorELNS0_4arch9wavefront6targetE0EEEvT1_
    .private_segment_fixed_size: 0
    .sgpr_count:     0
    .sgpr_spill_count: 0
    .symbol:         _ZN7rocprim17ROCPRIM_400000_NS6detail17trampoline_kernelINS0_14default_configENS1_25transform_config_selectorIhLb1EEEZNS1_14transform_implILb1ES3_S5_PhS7_NS0_8identityIhEEEE10hipError_tT2_T3_mT4_P12ihipStream_tbEUlT_E_NS1_11comp_targetILNS1_3genE3ELNS1_11target_archE908ELNS1_3gpuE7ELNS1_3repE0EEENS1_30default_config_static_selectorELNS0_4arch9wavefront6targetE0EEEvT1_.kd
    .uniform_work_group_size: 1
    .uses_dynamic_stack: false
    .vgpr_count:     0
    .vgpr_spill_count: 0
    .wavefront_size: 32
  - .args:
      - .offset:         0
        .size:           40
        .value_kind:     by_value
    .group_segment_fixed_size: 0
    .kernarg_segment_align: 8
    .kernarg_segment_size: 40
    .language:       OpenCL C
    .language_version:
      - 2
      - 0
    .max_flat_workgroup_size: 512
    .name:           _ZN7rocprim17ROCPRIM_400000_NS6detail17trampoline_kernelINS0_14default_configENS1_25transform_config_selectorIhLb1EEEZNS1_14transform_implILb1ES3_S5_PhS7_NS0_8identityIhEEEE10hipError_tT2_T3_mT4_P12ihipStream_tbEUlT_E_NS1_11comp_targetILNS1_3genE2ELNS1_11target_archE906ELNS1_3gpuE6ELNS1_3repE0EEENS1_30default_config_static_selectorELNS0_4arch9wavefront6targetE0EEEvT1_
    .private_segment_fixed_size: 0
    .sgpr_count:     0
    .sgpr_spill_count: 0
    .symbol:         _ZN7rocprim17ROCPRIM_400000_NS6detail17trampoline_kernelINS0_14default_configENS1_25transform_config_selectorIhLb1EEEZNS1_14transform_implILb1ES3_S5_PhS7_NS0_8identityIhEEEE10hipError_tT2_T3_mT4_P12ihipStream_tbEUlT_E_NS1_11comp_targetILNS1_3genE2ELNS1_11target_archE906ELNS1_3gpuE6ELNS1_3repE0EEENS1_30default_config_static_selectorELNS0_4arch9wavefront6targetE0EEEvT1_.kd
    .uniform_work_group_size: 1
    .uses_dynamic_stack: false
    .vgpr_count:     0
    .vgpr_spill_count: 0
    .wavefront_size: 32
  - .args:
      - .offset:         0
        .size:           40
        .value_kind:     by_value
    .group_segment_fixed_size: 0
    .kernarg_segment_align: 8
    .kernarg_segment_size: 40
    .language:       OpenCL C
    .language_version:
      - 2
      - 0
    .max_flat_workgroup_size: 1024
    .name:           _ZN7rocprim17ROCPRIM_400000_NS6detail17trampoline_kernelINS0_14default_configENS1_25transform_config_selectorIhLb1EEEZNS1_14transform_implILb1ES3_S5_PhS7_NS0_8identityIhEEEE10hipError_tT2_T3_mT4_P12ihipStream_tbEUlT_E_NS1_11comp_targetILNS1_3genE9ELNS1_11target_archE1100ELNS1_3gpuE3ELNS1_3repE0EEENS1_30default_config_static_selectorELNS0_4arch9wavefront6targetE0EEEvT1_
    .private_segment_fixed_size: 0
    .sgpr_count:     0
    .sgpr_spill_count: 0
    .symbol:         _ZN7rocprim17ROCPRIM_400000_NS6detail17trampoline_kernelINS0_14default_configENS1_25transform_config_selectorIhLb1EEEZNS1_14transform_implILb1ES3_S5_PhS7_NS0_8identityIhEEEE10hipError_tT2_T3_mT4_P12ihipStream_tbEUlT_E_NS1_11comp_targetILNS1_3genE9ELNS1_11target_archE1100ELNS1_3gpuE3ELNS1_3repE0EEENS1_30default_config_static_selectorELNS0_4arch9wavefront6targetE0EEEvT1_.kd
    .uniform_work_group_size: 1
    .uses_dynamic_stack: false
    .vgpr_count:     0
    .vgpr_spill_count: 0
    .wavefront_size: 32
  - .args:
      - .offset:         0
        .size:           40
        .value_kind:     by_value
    .group_segment_fixed_size: 0
    .kernarg_segment_align: 8
    .kernarg_segment_size: 40
    .language:       OpenCL C
    .language_version:
      - 2
      - 0
    .max_flat_workgroup_size: 1024
    .name:           _ZN7rocprim17ROCPRIM_400000_NS6detail17trampoline_kernelINS0_14default_configENS1_25transform_config_selectorIhLb1EEEZNS1_14transform_implILb1ES3_S5_PhS7_NS0_8identityIhEEEE10hipError_tT2_T3_mT4_P12ihipStream_tbEUlT_E_NS1_11comp_targetILNS1_3genE8ELNS1_11target_archE1030ELNS1_3gpuE2ELNS1_3repE0EEENS1_30default_config_static_selectorELNS0_4arch9wavefront6targetE0EEEvT1_
    .private_segment_fixed_size: 0
    .sgpr_count:     0
    .sgpr_spill_count: 0
    .symbol:         _ZN7rocprim17ROCPRIM_400000_NS6detail17trampoline_kernelINS0_14default_configENS1_25transform_config_selectorIhLb1EEEZNS1_14transform_implILb1ES3_S5_PhS7_NS0_8identityIhEEEE10hipError_tT2_T3_mT4_P12ihipStream_tbEUlT_E_NS1_11comp_targetILNS1_3genE8ELNS1_11target_archE1030ELNS1_3gpuE2ELNS1_3repE0EEENS1_30default_config_static_selectorELNS0_4arch9wavefront6targetE0EEEvT1_.kd
    .uniform_work_group_size: 1
    .uses_dynamic_stack: false
    .vgpr_count:     0
    .vgpr_spill_count: 0
    .wavefront_size: 32
  - .args:
      - .offset:         0
        .size:           40
        .value_kind:     by_value
    .group_segment_fixed_size: 0
    .kernarg_segment_align: 8
    .kernarg_segment_size: 40
    .language:       OpenCL C
    .language_version:
      - 2
      - 0
    .max_flat_workgroup_size: 128
    .name:           _ZN7rocprim17ROCPRIM_400000_NS6detail17trampoline_kernelINS0_14default_configENS1_25transform_config_selectorINS0_10empty_typeELb1EEEZNS1_14transform_implILb1ES3_S6_PS5_S8_NS0_8identityIS5_EEEE10hipError_tT2_T3_mT4_P12ihipStream_tbEUlT_E_NS1_11comp_targetILNS1_3genE0ELNS1_11target_archE4294967295ELNS1_3gpuE0ELNS1_3repE0EEENS1_30default_config_static_selectorELNS0_4arch9wavefront6targetE0EEEvT1_
    .private_segment_fixed_size: 0
    .sgpr_count:     0
    .sgpr_spill_count: 0
    .symbol:         _ZN7rocprim17ROCPRIM_400000_NS6detail17trampoline_kernelINS0_14default_configENS1_25transform_config_selectorINS0_10empty_typeELb1EEEZNS1_14transform_implILb1ES3_S6_PS5_S8_NS0_8identityIS5_EEEE10hipError_tT2_T3_mT4_P12ihipStream_tbEUlT_E_NS1_11comp_targetILNS1_3genE0ELNS1_11target_archE4294967295ELNS1_3gpuE0ELNS1_3repE0EEENS1_30default_config_static_selectorELNS0_4arch9wavefront6targetE0EEEvT1_.kd
    .uniform_work_group_size: 1
    .uses_dynamic_stack: false
    .vgpr_count:     0
    .vgpr_spill_count: 0
    .wavefront_size: 32
  - .args:
      - .offset:         0
        .size:           40
        .value_kind:     by_value
    .group_segment_fixed_size: 0
    .kernarg_segment_align: 8
    .kernarg_segment_size: 40
    .language:       OpenCL C
    .language_version:
      - 2
      - 0
    .max_flat_workgroup_size: 1024
    .name:           _ZN7rocprim17ROCPRIM_400000_NS6detail17trampoline_kernelINS0_14default_configENS1_25transform_config_selectorINS0_10empty_typeELb1EEEZNS1_14transform_implILb1ES3_S6_PS5_S8_NS0_8identityIS5_EEEE10hipError_tT2_T3_mT4_P12ihipStream_tbEUlT_E_NS1_11comp_targetILNS1_3genE10ELNS1_11target_archE1201ELNS1_3gpuE5ELNS1_3repE0EEENS1_30default_config_static_selectorELNS0_4arch9wavefront6targetE0EEEvT1_
    .private_segment_fixed_size: 0
    .sgpr_count:     0
    .sgpr_spill_count: 0
    .symbol:         _ZN7rocprim17ROCPRIM_400000_NS6detail17trampoline_kernelINS0_14default_configENS1_25transform_config_selectorINS0_10empty_typeELb1EEEZNS1_14transform_implILb1ES3_S6_PS5_S8_NS0_8identityIS5_EEEE10hipError_tT2_T3_mT4_P12ihipStream_tbEUlT_E_NS1_11comp_targetILNS1_3genE10ELNS1_11target_archE1201ELNS1_3gpuE5ELNS1_3repE0EEENS1_30default_config_static_selectorELNS0_4arch9wavefront6targetE0EEEvT1_.kd
    .uniform_work_group_size: 1
    .uses_dynamic_stack: false
    .vgpr_count:     0
    .vgpr_spill_count: 0
    .wavefront_size: 32
  - .args:
      - .offset:         0
        .size:           40
        .value_kind:     by_value
    .group_segment_fixed_size: 0
    .kernarg_segment_align: 8
    .kernarg_segment_size: 40
    .language:       OpenCL C
    .language_version:
      - 2
      - 0
    .max_flat_workgroup_size: 256
    .name:           _ZN7rocprim17ROCPRIM_400000_NS6detail17trampoline_kernelINS0_14default_configENS1_25transform_config_selectorINS0_10empty_typeELb1EEEZNS1_14transform_implILb1ES3_S6_PS5_S8_NS0_8identityIS5_EEEE10hipError_tT2_T3_mT4_P12ihipStream_tbEUlT_E_NS1_11comp_targetILNS1_3genE5ELNS1_11target_archE942ELNS1_3gpuE9ELNS1_3repE0EEENS1_30default_config_static_selectorELNS0_4arch9wavefront6targetE0EEEvT1_
    .private_segment_fixed_size: 0
    .sgpr_count:     0
    .sgpr_spill_count: 0
    .symbol:         _ZN7rocprim17ROCPRIM_400000_NS6detail17trampoline_kernelINS0_14default_configENS1_25transform_config_selectorINS0_10empty_typeELb1EEEZNS1_14transform_implILb1ES3_S6_PS5_S8_NS0_8identityIS5_EEEE10hipError_tT2_T3_mT4_P12ihipStream_tbEUlT_E_NS1_11comp_targetILNS1_3genE5ELNS1_11target_archE942ELNS1_3gpuE9ELNS1_3repE0EEENS1_30default_config_static_selectorELNS0_4arch9wavefront6targetE0EEEvT1_.kd
    .uniform_work_group_size: 1
    .uses_dynamic_stack: false
    .vgpr_count:     0
    .vgpr_spill_count: 0
    .wavefront_size: 32
  - .args:
      - .offset:         0
        .size:           40
        .value_kind:     by_value
    .group_segment_fixed_size: 0
    .kernarg_segment_align: 8
    .kernarg_segment_size: 40
    .language:       OpenCL C
    .language_version:
      - 2
      - 0
    .max_flat_workgroup_size: 1024
    .name:           _ZN7rocprim17ROCPRIM_400000_NS6detail17trampoline_kernelINS0_14default_configENS1_25transform_config_selectorINS0_10empty_typeELb1EEEZNS1_14transform_implILb1ES3_S6_PS5_S8_NS0_8identityIS5_EEEE10hipError_tT2_T3_mT4_P12ihipStream_tbEUlT_E_NS1_11comp_targetILNS1_3genE4ELNS1_11target_archE910ELNS1_3gpuE8ELNS1_3repE0EEENS1_30default_config_static_selectorELNS0_4arch9wavefront6targetE0EEEvT1_
    .private_segment_fixed_size: 0
    .sgpr_count:     0
    .sgpr_spill_count: 0
    .symbol:         _ZN7rocprim17ROCPRIM_400000_NS6detail17trampoline_kernelINS0_14default_configENS1_25transform_config_selectorINS0_10empty_typeELb1EEEZNS1_14transform_implILb1ES3_S6_PS5_S8_NS0_8identityIS5_EEEE10hipError_tT2_T3_mT4_P12ihipStream_tbEUlT_E_NS1_11comp_targetILNS1_3genE4ELNS1_11target_archE910ELNS1_3gpuE8ELNS1_3repE0EEENS1_30default_config_static_selectorELNS0_4arch9wavefront6targetE0EEEvT1_.kd
    .uniform_work_group_size: 1
    .uses_dynamic_stack: false
    .vgpr_count:     0
    .vgpr_spill_count: 0
    .wavefront_size: 32
  - .args:
      - .offset:         0
        .size:           40
        .value_kind:     by_value
    .group_segment_fixed_size: 0
    .kernarg_segment_align: 8
    .kernarg_segment_size: 40
    .language:       OpenCL C
    .language_version:
      - 2
      - 0
    .max_flat_workgroup_size: 128
    .name:           _ZN7rocprim17ROCPRIM_400000_NS6detail17trampoline_kernelINS0_14default_configENS1_25transform_config_selectorINS0_10empty_typeELb1EEEZNS1_14transform_implILb1ES3_S6_PS5_S8_NS0_8identityIS5_EEEE10hipError_tT2_T3_mT4_P12ihipStream_tbEUlT_E_NS1_11comp_targetILNS1_3genE3ELNS1_11target_archE908ELNS1_3gpuE7ELNS1_3repE0EEENS1_30default_config_static_selectorELNS0_4arch9wavefront6targetE0EEEvT1_
    .private_segment_fixed_size: 0
    .sgpr_count:     0
    .sgpr_spill_count: 0
    .symbol:         _ZN7rocprim17ROCPRIM_400000_NS6detail17trampoline_kernelINS0_14default_configENS1_25transform_config_selectorINS0_10empty_typeELb1EEEZNS1_14transform_implILb1ES3_S6_PS5_S8_NS0_8identityIS5_EEEE10hipError_tT2_T3_mT4_P12ihipStream_tbEUlT_E_NS1_11comp_targetILNS1_3genE3ELNS1_11target_archE908ELNS1_3gpuE7ELNS1_3repE0EEENS1_30default_config_static_selectorELNS0_4arch9wavefront6targetE0EEEvT1_.kd
    .uniform_work_group_size: 1
    .uses_dynamic_stack: false
    .vgpr_count:     0
    .vgpr_spill_count: 0
    .wavefront_size: 32
  - .args:
      - .offset:         0
        .size:           40
        .value_kind:     by_value
    .group_segment_fixed_size: 0
    .kernarg_segment_align: 8
    .kernarg_segment_size: 40
    .language:       OpenCL C
    .language_version:
      - 2
      - 0
    .max_flat_workgroup_size: 512
    .name:           _ZN7rocprim17ROCPRIM_400000_NS6detail17trampoline_kernelINS0_14default_configENS1_25transform_config_selectorINS0_10empty_typeELb1EEEZNS1_14transform_implILb1ES3_S6_PS5_S8_NS0_8identityIS5_EEEE10hipError_tT2_T3_mT4_P12ihipStream_tbEUlT_E_NS1_11comp_targetILNS1_3genE2ELNS1_11target_archE906ELNS1_3gpuE6ELNS1_3repE0EEENS1_30default_config_static_selectorELNS0_4arch9wavefront6targetE0EEEvT1_
    .private_segment_fixed_size: 0
    .sgpr_count:     0
    .sgpr_spill_count: 0
    .symbol:         _ZN7rocprim17ROCPRIM_400000_NS6detail17trampoline_kernelINS0_14default_configENS1_25transform_config_selectorINS0_10empty_typeELb1EEEZNS1_14transform_implILb1ES3_S6_PS5_S8_NS0_8identityIS5_EEEE10hipError_tT2_T3_mT4_P12ihipStream_tbEUlT_E_NS1_11comp_targetILNS1_3genE2ELNS1_11target_archE906ELNS1_3gpuE6ELNS1_3repE0EEENS1_30default_config_static_selectorELNS0_4arch9wavefront6targetE0EEEvT1_.kd
    .uniform_work_group_size: 1
    .uses_dynamic_stack: false
    .vgpr_count:     0
    .vgpr_spill_count: 0
    .wavefront_size: 32
  - .args:
      - .offset:         0
        .size:           40
        .value_kind:     by_value
    .group_segment_fixed_size: 0
    .kernarg_segment_align: 8
    .kernarg_segment_size: 40
    .language:       OpenCL C
    .language_version:
      - 2
      - 0
    .max_flat_workgroup_size: 1024
    .name:           _ZN7rocprim17ROCPRIM_400000_NS6detail17trampoline_kernelINS0_14default_configENS1_25transform_config_selectorINS0_10empty_typeELb1EEEZNS1_14transform_implILb1ES3_S6_PS5_S8_NS0_8identityIS5_EEEE10hipError_tT2_T3_mT4_P12ihipStream_tbEUlT_E_NS1_11comp_targetILNS1_3genE9ELNS1_11target_archE1100ELNS1_3gpuE3ELNS1_3repE0EEENS1_30default_config_static_selectorELNS0_4arch9wavefront6targetE0EEEvT1_
    .private_segment_fixed_size: 0
    .sgpr_count:     0
    .sgpr_spill_count: 0
    .symbol:         _ZN7rocprim17ROCPRIM_400000_NS6detail17trampoline_kernelINS0_14default_configENS1_25transform_config_selectorINS0_10empty_typeELb1EEEZNS1_14transform_implILb1ES3_S6_PS5_S8_NS0_8identityIS5_EEEE10hipError_tT2_T3_mT4_P12ihipStream_tbEUlT_E_NS1_11comp_targetILNS1_3genE9ELNS1_11target_archE1100ELNS1_3gpuE3ELNS1_3repE0EEENS1_30default_config_static_selectorELNS0_4arch9wavefront6targetE0EEEvT1_.kd
    .uniform_work_group_size: 1
    .uses_dynamic_stack: false
    .vgpr_count:     0
    .vgpr_spill_count: 0
    .wavefront_size: 32
  - .args:
      - .offset:         0
        .size:           40
        .value_kind:     by_value
    .group_segment_fixed_size: 0
    .kernarg_segment_align: 8
    .kernarg_segment_size: 40
    .language:       OpenCL C
    .language_version:
      - 2
      - 0
    .max_flat_workgroup_size: 1024
    .name:           _ZN7rocprim17ROCPRIM_400000_NS6detail17trampoline_kernelINS0_14default_configENS1_25transform_config_selectorINS0_10empty_typeELb1EEEZNS1_14transform_implILb1ES3_S6_PS5_S8_NS0_8identityIS5_EEEE10hipError_tT2_T3_mT4_P12ihipStream_tbEUlT_E_NS1_11comp_targetILNS1_3genE8ELNS1_11target_archE1030ELNS1_3gpuE2ELNS1_3repE0EEENS1_30default_config_static_selectorELNS0_4arch9wavefront6targetE0EEEvT1_
    .private_segment_fixed_size: 0
    .sgpr_count:     0
    .sgpr_spill_count: 0
    .symbol:         _ZN7rocprim17ROCPRIM_400000_NS6detail17trampoline_kernelINS0_14default_configENS1_25transform_config_selectorINS0_10empty_typeELb1EEEZNS1_14transform_implILb1ES3_S6_PS5_S8_NS0_8identityIS5_EEEE10hipError_tT2_T3_mT4_P12ihipStream_tbEUlT_E_NS1_11comp_targetILNS1_3genE8ELNS1_11target_archE1030ELNS1_3gpuE2ELNS1_3repE0EEENS1_30default_config_static_selectorELNS0_4arch9wavefront6targetE0EEEvT1_.kd
    .uniform_work_group_size: 1
    .uses_dynamic_stack: false
    .vgpr_count:     0
    .vgpr_spill_count: 0
    .wavefront_size: 32
  - .args:
      - .offset:         0
        .size:           40
        .value_kind:     by_value
    .group_segment_fixed_size: 0
    .kernarg_segment_align: 8
    .kernarg_segment_size: 40
    .language:       OpenCL C
    .language_version:
      - 2
      - 0
    .max_flat_workgroup_size: 128
    .name:           _ZN7rocprim17ROCPRIM_400000_NS6detail17trampoline_kernelINS0_14default_configENS1_38merge_sort_block_merge_config_selectorIhNS0_10empty_typeEEEZZNS1_27merge_sort_block_merge_implIS3_PhPS5_jNS1_19radix_merge_compareILb1ELb1EhNS0_19identity_decomposerEEEEE10hipError_tT0_T1_T2_jT3_P12ihipStream_tbPNSt15iterator_traitsISE_E10value_typeEPNSK_ISF_E10value_typeEPSG_NS1_7vsmem_tEENKUlT_SE_SF_SG_E_clIS8_S8_S9_S9_EESD_ST_SE_SF_SG_EUlST_E_NS1_11comp_targetILNS1_3genE0ELNS1_11target_archE4294967295ELNS1_3gpuE0ELNS1_3repE0EEENS1_48merge_mergepath_partition_config_static_selectorELNS0_4arch9wavefront6targetE0EEEvSF_
    .private_segment_fixed_size: 0
    .sgpr_count:     10
    .sgpr_spill_count: 0
    .symbol:         _ZN7rocprim17ROCPRIM_400000_NS6detail17trampoline_kernelINS0_14default_configENS1_38merge_sort_block_merge_config_selectorIhNS0_10empty_typeEEEZZNS1_27merge_sort_block_merge_implIS3_PhPS5_jNS1_19radix_merge_compareILb1ELb1EhNS0_19identity_decomposerEEEEE10hipError_tT0_T1_T2_jT3_P12ihipStream_tbPNSt15iterator_traitsISE_E10value_typeEPNSK_ISF_E10value_typeEPSG_NS1_7vsmem_tEENKUlT_SE_SF_SG_E_clIS8_S8_S9_S9_EESD_ST_SE_SF_SG_EUlST_E_NS1_11comp_targetILNS1_3genE0ELNS1_11target_archE4294967295ELNS1_3gpuE0ELNS1_3repE0EEENS1_48merge_mergepath_partition_config_static_selectorELNS0_4arch9wavefront6targetE0EEEvSF_.kd
    .uniform_work_group_size: 1
    .uses_dynamic_stack: false
    .vgpr_count:     17
    .vgpr_spill_count: 0
    .wavefront_size: 32
  - .args:
      - .offset:         0
        .size:           40
        .value_kind:     by_value
    .group_segment_fixed_size: 0
    .kernarg_segment_align: 8
    .kernarg_segment_size: 40
    .language:       OpenCL C
    .language_version:
      - 2
      - 0
    .max_flat_workgroup_size: 128
    .name:           _ZN7rocprim17ROCPRIM_400000_NS6detail17trampoline_kernelINS0_14default_configENS1_38merge_sort_block_merge_config_selectorIhNS0_10empty_typeEEEZZNS1_27merge_sort_block_merge_implIS3_PhPS5_jNS1_19radix_merge_compareILb1ELb1EhNS0_19identity_decomposerEEEEE10hipError_tT0_T1_T2_jT3_P12ihipStream_tbPNSt15iterator_traitsISE_E10value_typeEPNSK_ISF_E10value_typeEPSG_NS1_7vsmem_tEENKUlT_SE_SF_SG_E_clIS8_S8_S9_S9_EESD_ST_SE_SF_SG_EUlST_E_NS1_11comp_targetILNS1_3genE10ELNS1_11target_archE1201ELNS1_3gpuE5ELNS1_3repE0EEENS1_48merge_mergepath_partition_config_static_selectorELNS0_4arch9wavefront6targetE0EEEvSF_
    .private_segment_fixed_size: 0
    .sgpr_count:     0
    .sgpr_spill_count: 0
    .symbol:         _ZN7rocprim17ROCPRIM_400000_NS6detail17trampoline_kernelINS0_14default_configENS1_38merge_sort_block_merge_config_selectorIhNS0_10empty_typeEEEZZNS1_27merge_sort_block_merge_implIS3_PhPS5_jNS1_19radix_merge_compareILb1ELb1EhNS0_19identity_decomposerEEEEE10hipError_tT0_T1_T2_jT3_P12ihipStream_tbPNSt15iterator_traitsISE_E10value_typeEPNSK_ISF_E10value_typeEPSG_NS1_7vsmem_tEENKUlT_SE_SF_SG_E_clIS8_S8_S9_S9_EESD_ST_SE_SF_SG_EUlST_E_NS1_11comp_targetILNS1_3genE10ELNS1_11target_archE1201ELNS1_3gpuE5ELNS1_3repE0EEENS1_48merge_mergepath_partition_config_static_selectorELNS0_4arch9wavefront6targetE0EEEvSF_.kd
    .uniform_work_group_size: 1
    .uses_dynamic_stack: false
    .vgpr_count:     0
    .vgpr_spill_count: 0
    .wavefront_size: 32
  - .args:
      - .offset:         0
        .size:           40
        .value_kind:     by_value
    .group_segment_fixed_size: 0
    .kernarg_segment_align: 8
    .kernarg_segment_size: 40
    .language:       OpenCL C
    .language_version:
      - 2
      - 0
    .max_flat_workgroup_size: 128
    .name:           _ZN7rocprim17ROCPRIM_400000_NS6detail17trampoline_kernelINS0_14default_configENS1_38merge_sort_block_merge_config_selectorIhNS0_10empty_typeEEEZZNS1_27merge_sort_block_merge_implIS3_PhPS5_jNS1_19radix_merge_compareILb1ELb1EhNS0_19identity_decomposerEEEEE10hipError_tT0_T1_T2_jT3_P12ihipStream_tbPNSt15iterator_traitsISE_E10value_typeEPNSK_ISF_E10value_typeEPSG_NS1_7vsmem_tEENKUlT_SE_SF_SG_E_clIS8_S8_S9_S9_EESD_ST_SE_SF_SG_EUlST_E_NS1_11comp_targetILNS1_3genE5ELNS1_11target_archE942ELNS1_3gpuE9ELNS1_3repE0EEENS1_48merge_mergepath_partition_config_static_selectorELNS0_4arch9wavefront6targetE0EEEvSF_
    .private_segment_fixed_size: 0
    .sgpr_count:     0
    .sgpr_spill_count: 0
    .symbol:         _ZN7rocprim17ROCPRIM_400000_NS6detail17trampoline_kernelINS0_14default_configENS1_38merge_sort_block_merge_config_selectorIhNS0_10empty_typeEEEZZNS1_27merge_sort_block_merge_implIS3_PhPS5_jNS1_19radix_merge_compareILb1ELb1EhNS0_19identity_decomposerEEEEE10hipError_tT0_T1_T2_jT3_P12ihipStream_tbPNSt15iterator_traitsISE_E10value_typeEPNSK_ISF_E10value_typeEPSG_NS1_7vsmem_tEENKUlT_SE_SF_SG_E_clIS8_S8_S9_S9_EESD_ST_SE_SF_SG_EUlST_E_NS1_11comp_targetILNS1_3genE5ELNS1_11target_archE942ELNS1_3gpuE9ELNS1_3repE0EEENS1_48merge_mergepath_partition_config_static_selectorELNS0_4arch9wavefront6targetE0EEEvSF_.kd
    .uniform_work_group_size: 1
    .uses_dynamic_stack: false
    .vgpr_count:     0
    .vgpr_spill_count: 0
    .wavefront_size: 32
  - .args:
      - .offset:         0
        .size:           40
        .value_kind:     by_value
    .group_segment_fixed_size: 0
    .kernarg_segment_align: 8
    .kernarg_segment_size: 40
    .language:       OpenCL C
    .language_version:
      - 2
      - 0
    .max_flat_workgroup_size: 128
    .name:           _ZN7rocprim17ROCPRIM_400000_NS6detail17trampoline_kernelINS0_14default_configENS1_38merge_sort_block_merge_config_selectorIhNS0_10empty_typeEEEZZNS1_27merge_sort_block_merge_implIS3_PhPS5_jNS1_19radix_merge_compareILb1ELb1EhNS0_19identity_decomposerEEEEE10hipError_tT0_T1_T2_jT3_P12ihipStream_tbPNSt15iterator_traitsISE_E10value_typeEPNSK_ISF_E10value_typeEPSG_NS1_7vsmem_tEENKUlT_SE_SF_SG_E_clIS8_S8_S9_S9_EESD_ST_SE_SF_SG_EUlST_E_NS1_11comp_targetILNS1_3genE4ELNS1_11target_archE910ELNS1_3gpuE8ELNS1_3repE0EEENS1_48merge_mergepath_partition_config_static_selectorELNS0_4arch9wavefront6targetE0EEEvSF_
    .private_segment_fixed_size: 0
    .sgpr_count:     0
    .sgpr_spill_count: 0
    .symbol:         _ZN7rocprim17ROCPRIM_400000_NS6detail17trampoline_kernelINS0_14default_configENS1_38merge_sort_block_merge_config_selectorIhNS0_10empty_typeEEEZZNS1_27merge_sort_block_merge_implIS3_PhPS5_jNS1_19radix_merge_compareILb1ELb1EhNS0_19identity_decomposerEEEEE10hipError_tT0_T1_T2_jT3_P12ihipStream_tbPNSt15iterator_traitsISE_E10value_typeEPNSK_ISF_E10value_typeEPSG_NS1_7vsmem_tEENKUlT_SE_SF_SG_E_clIS8_S8_S9_S9_EESD_ST_SE_SF_SG_EUlST_E_NS1_11comp_targetILNS1_3genE4ELNS1_11target_archE910ELNS1_3gpuE8ELNS1_3repE0EEENS1_48merge_mergepath_partition_config_static_selectorELNS0_4arch9wavefront6targetE0EEEvSF_.kd
    .uniform_work_group_size: 1
    .uses_dynamic_stack: false
    .vgpr_count:     0
    .vgpr_spill_count: 0
    .wavefront_size: 32
  - .args:
      - .offset:         0
        .size:           40
        .value_kind:     by_value
    .group_segment_fixed_size: 0
    .kernarg_segment_align: 8
    .kernarg_segment_size: 40
    .language:       OpenCL C
    .language_version:
      - 2
      - 0
    .max_flat_workgroup_size: 128
    .name:           _ZN7rocprim17ROCPRIM_400000_NS6detail17trampoline_kernelINS0_14default_configENS1_38merge_sort_block_merge_config_selectorIhNS0_10empty_typeEEEZZNS1_27merge_sort_block_merge_implIS3_PhPS5_jNS1_19radix_merge_compareILb1ELb1EhNS0_19identity_decomposerEEEEE10hipError_tT0_T1_T2_jT3_P12ihipStream_tbPNSt15iterator_traitsISE_E10value_typeEPNSK_ISF_E10value_typeEPSG_NS1_7vsmem_tEENKUlT_SE_SF_SG_E_clIS8_S8_S9_S9_EESD_ST_SE_SF_SG_EUlST_E_NS1_11comp_targetILNS1_3genE3ELNS1_11target_archE908ELNS1_3gpuE7ELNS1_3repE0EEENS1_48merge_mergepath_partition_config_static_selectorELNS0_4arch9wavefront6targetE0EEEvSF_
    .private_segment_fixed_size: 0
    .sgpr_count:     0
    .sgpr_spill_count: 0
    .symbol:         _ZN7rocprim17ROCPRIM_400000_NS6detail17trampoline_kernelINS0_14default_configENS1_38merge_sort_block_merge_config_selectorIhNS0_10empty_typeEEEZZNS1_27merge_sort_block_merge_implIS3_PhPS5_jNS1_19radix_merge_compareILb1ELb1EhNS0_19identity_decomposerEEEEE10hipError_tT0_T1_T2_jT3_P12ihipStream_tbPNSt15iterator_traitsISE_E10value_typeEPNSK_ISF_E10value_typeEPSG_NS1_7vsmem_tEENKUlT_SE_SF_SG_E_clIS8_S8_S9_S9_EESD_ST_SE_SF_SG_EUlST_E_NS1_11comp_targetILNS1_3genE3ELNS1_11target_archE908ELNS1_3gpuE7ELNS1_3repE0EEENS1_48merge_mergepath_partition_config_static_selectorELNS0_4arch9wavefront6targetE0EEEvSF_.kd
    .uniform_work_group_size: 1
    .uses_dynamic_stack: false
    .vgpr_count:     0
    .vgpr_spill_count: 0
    .wavefront_size: 32
  - .args:
      - .offset:         0
        .size:           40
        .value_kind:     by_value
    .group_segment_fixed_size: 0
    .kernarg_segment_align: 8
    .kernarg_segment_size: 40
    .language:       OpenCL C
    .language_version:
      - 2
      - 0
    .max_flat_workgroup_size: 128
    .name:           _ZN7rocprim17ROCPRIM_400000_NS6detail17trampoline_kernelINS0_14default_configENS1_38merge_sort_block_merge_config_selectorIhNS0_10empty_typeEEEZZNS1_27merge_sort_block_merge_implIS3_PhPS5_jNS1_19radix_merge_compareILb1ELb1EhNS0_19identity_decomposerEEEEE10hipError_tT0_T1_T2_jT3_P12ihipStream_tbPNSt15iterator_traitsISE_E10value_typeEPNSK_ISF_E10value_typeEPSG_NS1_7vsmem_tEENKUlT_SE_SF_SG_E_clIS8_S8_S9_S9_EESD_ST_SE_SF_SG_EUlST_E_NS1_11comp_targetILNS1_3genE2ELNS1_11target_archE906ELNS1_3gpuE6ELNS1_3repE0EEENS1_48merge_mergepath_partition_config_static_selectorELNS0_4arch9wavefront6targetE0EEEvSF_
    .private_segment_fixed_size: 0
    .sgpr_count:     0
    .sgpr_spill_count: 0
    .symbol:         _ZN7rocprim17ROCPRIM_400000_NS6detail17trampoline_kernelINS0_14default_configENS1_38merge_sort_block_merge_config_selectorIhNS0_10empty_typeEEEZZNS1_27merge_sort_block_merge_implIS3_PhPS5_jNS1_19radix_merge_compareILb1ELb1EhNS0_19identity_decomposerEEEEE10hipError_tT0_T1_T2_jT3_P12ihipStream_tbPNSt15iterator_traitsISE_E10value_typeEPNSK_ISF_E10value_typeEPSG_NS1_7vsmem_tEENKUlT_SE_SF_SG_E_clIS8_S8_S9_S9_EESD_ST_SE_SF_SG_EUlST_E_NS1_11comp_targetILNS1_3genE2ELNS1_11target_archE906ELNS1_3gpuE6ELNS1_3repE0EEENS1_48merge_mergepath_partition_config_static_selectorELNS0_4arch9wavefront6targetE0EEEvSF_.kd
    .uniform_work_group_size: 1
    .uses_dynamic_stack: false
    .vgpr_count:     0
    .vgpr_spill_count: 0
    .wavefront_size: 32
  - .args:
      - .offset:         0
        .size:           40
        .value_kind:     by_value
    .group_segment_fixed_size: 0
    .kernarg_segment_align: 8
    .kernarg_segment_size: 40
    .language:       OpenCL C
    .language_version:
      - 2
      - 0
    .max_flat_workgroup_size: 128
    .name:           _ZN7rocprim17ROCPRIM_400000_NS6detail17trampoline_kernelINS0_14default_configENS1_38merge_sort_block_merge_config_selectorIhNS0_10empty_typeEEEZZNS1_27merge_sort_block_merge_implIS3_PhPS5_jNS1_19radix_merge_compareILb1ELb1EhNS0_19identity_decomposerEEEEE10hipError_tT0_T1_T2_jT3_P12ihipStream_tbPNSt15iterator_traitsISE_E10value_typeEPNSK_ISF_E10value_typeEPSG_NS1_7vsmem_tEENKUlT_SE_SF_SG_E_clIS8_S8_S9_S9_EESD_ST_SE_SF_SG_EUlST_E_NS1_11comp_targetILNS1_3genE9ELNS1_11target_archE1100ELNS1_3gpuE3ELNS1_3repE0EEENS1_48merge_mergepath_partition_config_static_selectorELNS0_4arch9wavefront6targetE0EEEvSF_
    .private_segment_fixed_size: 0
    .sgpr_count:     0
    .sgpr_spill_count: 0
    .symbol:         _ZN7rocprim17ROCPRIM_400000_NS6detail17trampoline_kernelINS0_14default_configENS1_38merge_sort_block_merge_config_selectorIhNS0_10empty_typeEEEZZNS1_27merge_sort_block_merge_implIS3_PhPS5_jNS1_19radix_merge_compareILb1ELb1EhNS0_19identity_decomposerEEEEE10hipError_tT0_T1_T2_jT3_P12ihipStream_tbPNSt15iterator_traitsISE_E10value_typeEPNSK_ISF_E10value_typeEPSG_NS1_7vsmem_tEENKUlT_SE_SF_SG_E_clIS8_S8_S9_S9_EESD_ST_SE_SF_SG_EUlST_E_NS1_11comp_targetILNS1_3genE9ELNS1_11target_archE1100ELNS1_3gpuE3ELNS1_3repE0EEENS1_48merge_mergepath_partition_config_static_selectorELNS0_4arch9wavefront6targetE0EEEvSF_.kd
    .uniform_work_group_size: 1
    .uses_dynamic_stack: false
    .vgpr_count:     0
    .vgpr_spill_count: 0
    .wavefront_size: 32
  - .args:
      - .offset:         0
        .size:           40
        .value_kind:     by_value
    .group_segment_fixed_size: 0
    .kernarg_segment_align: 8
    .kernarg_segment_size: 40
    .language:       OpenCL C
    .language_version:
      - 2
      - 0
    .max_flat_workgroup_size: 128
    .name:           _ZN7rocprim17ROCPRIM_400000_NS6detail17trampoline_kernelINS0_14default_configENS1_38merge_sort_block_merge_config_selectorIhNS0_10empty_typeEEEZZNS1_27merge_sort_block_merge_implIS3_PhPS5_jNS1_19radix_merge_compareILb1ELb1EhNS0_19identity_decomposerEEEEE10hipError_tT0_T1_T2_jT3_P12ihipStream_tbPNSt15iterator_traitsISE_E10value_typeEPNSK_ISF_E10value_typeEPSG_NS1_7vsmem_tEENKUlT_SE_SF_SG_E_clIS8_S8_S9_S9_EESD_ST_SE_SF_SG_EUlST_E_NS1_11comp_targetILNS1_3genE8ELNS1_11target_archE1030ELNS1_3gpuE2ELNS1_3repE0EEENS1_48merge_mergepath_partition_config_static_selectorELNS0_4arch9wavefront6targetE0EEEvSF_
    .private_segment_fixed_size: 0
    .sgpr_count:     0
    .sgpr_spill_count: 0
    .symbol:         _ZN7rocprim17ROCPRIM_400000_NS6detail17trampoline_kernelINS0_14default_configENS1_38merge_sort_block_merge_config_selectorIhNS0_10empty_typeEEEZZNS1_27merge_sort_block_merge_implIS3_PhPS5_jNS1_19radix_merge_compareILb1ELb1EhNS0_19identity_decomposerEEEEE10hipError_tT0_T1_T2_jT3_P12ihipStream_tbPNSt15iterator_traitsISE_E10value_typeEPNSK_ISF_E10value_typeEPSG_NS1_7vsmem_tEENKUlT_SE_SF_SG_E_clIS8_S8_S9_S9_EESD_ST_SE_SF_SG_EUlST_E_NS1_11comp_targetILNS1_3genE8ELNS1_11target_archE1030ELNS1_3gpuE2ELNS1_3repE0EEENS1_48merge_mergepath_partition_config_static_selectorELNS0_4arch9wavefront6targetE0EEEvSF_.kd
    .uniform_work_group_size: 1
    .uses_dynamic_stack: false
    .vgpr_count:     0
    .vgpr_spill_count: 0
    .wavefront_size: 32
  - .args:
      - .offset:         0
        .size:           64
        .value_kind:     by_value
      - .offset:         64
        .size:           4
        .value_kind:     hidden_block_count_x
      - .offset:         68
        .size:           4
        .value_kind:     hidden_block_count_y
      - .offset:         72
        .size:           4
        .value_kind:     hidden_block_count_z
      - .offset:         76
        .size:           2
        .value_kind:     hidden_group_size_x
      - .offset:         78
        .size:           2
        .value_kind:     hidden_group_size_y
      - .offset:         80
        .size:           2
        .value_kind:     hidden_group_size_z
      - .offset:         82
        .size:           2
        .value_kind:     hidden_remainder_x
      - .offset:         84
        .size:           2
        .value_kind:     hidden_remainder_y
      - .offset:         86
        .size:           2
        .value_kind:     hidden_remainder_z
      - .offset:         104
        .size:           8
        .value_kind:     hidden_global_offset_x
      - .offset:         112
        .size:           8
        .value_kind:     hidden_global_offset_y
      - .offset:         120
        .size:           8
        .value_kind:     hidden_global_offset_z
      - .offset:         128
        .size:           2
        .value_kind:     hidden_grid_dims
    .group_segment_fixed_size: 1056
    .kernarg_segment_align: 8
    .kernarg_segment_size: 320
    .language:       OpenCL C
    .language_version:
      - 2
      - 0
    .max_flat_workgroup_size: 128
    .name:           _ZN7rocprim17ROCPRIM_400000_NS6detail17trampoline_kernelINS0_14default_configENS1_38merge_sort_block_merge_config_selectorIhNS0_10empty_typeEEEZZNS1_27merge_sort_block_merge_implIS3_PhPS5_jNS1_19radix_merge_compareILb1ELb1EhNS0_19identity_decomposerEEEEE10hipError_tT0_T1_T2_jT3_P12ihipStream_tbPNSt15iterator_traitsISE_E10value_typeEPNSK_ISF_E10value_typeEPSG_NS1_7vsmem_tEENKUlT_SE_SF_SG_E_clIS8_S8_S9_S9_EESD_ST_SE_SF_SG_EUlST_E0_NS1_11comp_targetILNS1_3genE0ELNS1_11target_archE4294967295ELNS1_3gpuE0ELNS1_3repE0EEENS1_38merge_mergepath_config_static_selectorELNS0_4arch9wavefront6targetE0EEEvSF_
    .private_segment_fixed_size: 0
    .sgpr_count:     24
    .sgpr_spill_count: 0
    .symbol:         _ZN7rocprim17ROCPRIM_400000_NS6detail17trampoline_kernelINS0_14default_configENS1_38merge_sort_block_merge_config_selectorIhNS0_10empty_typeEEEZZNS1_27merge_sort_block_merge_implIS3_PhPS5_jNS1_19radix_merge_compareILb1ELb1EhNS0_19identity_decomposerEEEEE10hipError_tT0_T1_T2_jT3_P12ihipStream_tbPNSt15iterator_traitsISE_E10value_typeEPNSK_ISF_E10value_typeEPSG_NS1_7vsmem_tEENKUlT_SE_SF_SG_E_clIS8_S8_S9_S9_EESD_ST_SE_SF_SG_EUlST_E0_NS1_11comp_targetILNS1_3genE0ELNS1_11target_archE4294967295ELNS1_3gpuE0ELNS1_3repE0EEENS1_38merge_mergepath_config_static_selectorELNS0_4arch9wavefront6targetE0EEEvSF_.kd
    .uniform_work_group_size: 1
    .uses_dynamic_stack: false
    .vgpr_count:     34
    .vgpr_spill_count: 0
    .wavefront_size: 32
  - .args:
      - .offset:         0
        .size:           64
        .value_kind:     by_value
    .group_segment_fixed_size: 0
    .kernarg_segment_align: 8
    .kernarg_segment_size: 64
    .language:       OpenCL C
    .language_version:
      - 2
      - 0
    .max_flat_workgroup_size: 128
    .name:           _ZN7rocprim17ROCPRIM_400000_NS6detail17trampoline_kernelINS0_14default_configENS1_38merge_sort_block_merge_config_selectorIhNS0_10empty_typeEEEZZNS1_27merge_sort_block_merge_implIS3_PhPS5_jNS1_19radix_merge_compareILb1ELb1EhNS0_19identity_decomposerEEEEE10hipError_tT0_T1_T2_jT3_P12ihipStream_tbPNSt15iterator_traitsISE_E10value_typeEPNSK_ISF_E10value_typeEPSG_NS1_7vsmem_tEENKUlT_SE_SF_SG_E_clIS8_S8_S9_S9_EESD_ST_SE_SF_SG_EUlST_E0_NS1_11comp_targetILNS1_3genE10ELNS1_11target_archE1201ELNS1_3gpuE5ELNS1_3repE0EEENS1_38merge_mergepath_config_static_selectorELNS0_4arch9wavefront6targetE0EEEvSF_
    .private_segment_fixed_size: 0
    .sgpr_count:     0
    .sgpr_spill_count: 0
    .symbol:         _ZN7rocprim17ROCPRIM_400000_NS6detail17trampoline_kernelINS0_14default_configENS1_38merge_sort_block_merge_config_selectorIhNS0_10empty_typeEEEZZNS1_27merge_sort_block_merge_implIS3_PhPS5_jNS1_19radix_merge_compareILb1ELb1EhNS0_19identity_decomposerEEEEE10hipError_tT0_T1_T2_jT3_P12ihipStream_tbPNSt15iterator_traitsISE_E10value_typeEPNSK_ISF_E10value_typeEPSG_NS1_7vsmem_tEENKUlT_SE_SF_SG_E_clIS8_S8_S9_S9_EESD_ST_SE_SF_SG_EUlST_E0_NS1_11comp_targetILNS1_3genE10ELNS1_11target_archE1201ELNS1_3gpuE5ELNS1_3repE0EEENS1_38merge_mergepath_config_static_selectorELNS0_4arch9wavefront6targetE0EEEvSF_.kd
    .uniform_work_group_size: 1
    .uses_dynamic_stack: false
    .vgpr_count:     0
    .vgpr_spill_count: 0
    .wavefront_size: 32
  - .args:
      - .offset:         0
        .size:           64
        .value_kind:     by_value
    .group_segment_fixed_size: 0
    .kernarg_segment_align: 8
    .kernarg_segment_size: 64
    .language:       OpenCL C
    .language_version:
      - 2
      - 0
    .max_flat_workgroup_size: 128
    .name:           _ZN7rocprim17ROCPRIM_400000_NS6detail17trampoline_kernelINS0_14default_configENS1_38merge_sort_block_merge_config_selectorIhNS0_10empty_typeEEEZZNS1_27merge_sort_block_merge_implIS3_PhPS5_jNS1_19radix_merge_compareILb1ELb1EhNS0_19identity_decomposerEEEEE10hipError_tT0_T1_T2_jT3_P12ihipStream_tbPNSt15iterator_traitsISE_E10value_typeEPNSK_ISF_E10value_typeEPSG_NS1_7vsmem_tEENKUlT_SE_SF_SG_E_clIS8_S8_S9_S9_EESD_ST_SE_SF_SG_EUlST_E0_NS1_11comp_targetILNS1_3genE5ELNS1_11target_archE942ELNS1_3gpuE9ELNS1_3repE0EEENS1_38merge_mergepath_config_static_selectorELNS0_4arch9wavefront6targetE0EEEvSF_
    .private_segment_fixed_size: 0
    .sgpr_count:     0
    .sgpr_spill_count: 0
    .symbol:         _ZN7rocprim17ROCPRIM_400000_NS6detail17trampoline_kernelINS0_14default_configENS1_38merge_sort_block_merge_config_selectorIhNS0_10empty_typeEEEZZNS1_27merge_sort_block_merge_implIS3_PhPS5_jNS1_19radix_merge_compareILb1ELb1EhNS0_19identity_decomposerEEEEE10hipError_tT0_T1_T2_jT3_P12ihipStream_tbPNSt15iterator_traitsISE_E10value_typeEPNSK_ISF_E10value_typeEPSG_NS1_7vsmem_tEENKUlT_SE_SF_SG_E_clIS8_S8_S9_S9_EESD_ST_SE_SF_SG_EUlST_E0_NS1_11comp_targetILNS1_3genE5ELNS1_11target_archE942ELNS1_3gpuE9ELNS1_3repE0EEENS1_38merge_mergepath_config_static_selectorELNS0_4arch9wavefront6targetE0EEEvSF_.kd
    .uniform_work_group_size: 1
    .uses_dynamic_stack: false
    .vgpr_count:     0
    .vgpr_spill_count: 0
    .wavefront_size: 32
  - .args:
      - .offset:         0
        .size:           64
        .value_kind:     by_value
    .group_segment_fixed_size: 0
    .kernarg_segment_align: 8
    .kernarg_segment_size: 64
    .language:       OpenCL C
    .language_version:
      - 2
      - 0
    .max_flat_workgroup_size: 128
    .name:           _ZN7rocprim17ROCPRIM_400000_NS6detail17trampoline_kernelINS0_14default_configENS1_38merge_sort_block_merge_config_selectorIhNS0_10empty_typeEEEZZNS1_27merge_sort_block_merge_implIS3_PhPS5_jNS1_19radix_merge_compareILb1ELb1EhNS0_19identity_decomposerEEEEE10hipError_tT0_T1_T2_jT3_P12ihipStream_tbPNSt15iterator_traitsISE_E10value_typeEPNSK_ISF_E10value_typeEPSG_NS1_7vsmem_tEENKUlT_SE_SF_SG_E_clIS8_S8_S9_S9_EESD_ST_SE_SF_SG_EUlST_E0_NS1_11comp_targetILNS1_3genE4ELNS1_11target_archE910ELNS1_3gpuE8ELNS1_3repE0EEENS1_38merge_mergepath_config_static_selectorELNS0_4arch9wavefront6targetE0EEEvSF_
    .private_segment_fixed_size: 0
    .sgpr_count:     0
    .sgpr_spill_count: 0
    .symbol:         _ZN7rocprim17ROCPRIM_400000_NS6detail17trampoline_kernelINS0_14default_configENS1_38merge_sort_block_merge_config_selectorIhNS0_10empty_typeEEEZZNS1_27merge_sort_block_merge_implIS3_PhPS5_jNS1_19radix_merge_compareILb1ELb1EhNS0_19identity_decomposerEEEEE10hipError_tT0_T1_T2_jT3_P12ihipStream_tbPNSt15iterator_traitsISE_E10value_typeEPNSK_ISF_E10value_typeEPSG_NS1_7vsmem_tEENKUlT_SE_SF_SG_E_clIS8_S8_S9_S9_EESD_ST_SE_SF_SG_EUlST_E0_NS1_11comp_targetILNS1_3genE4ELNS1_11target_archE910ELNS1_3gpuE8ELNS1_3repE0EEENS1_38merge_mergepath_config_static_selectorELNS0_4arch9wavefront6targetE0EEEvSF_.kd
    .uniform_work_group_size: 1
    .uses_dynamic_stack: false
    .vgpr_count:     0
    .vgpr_spill_count: 0
    .wavefront_size: 32
  - .args:
      - .offset:         0
        .size:           64
        .value_kind:     by_value
    .group_segment_fixed_size: 0
    .kernarg_segment_align: 8
    .kernarg_segment_size: 64
    .language:       OpenCL C
    .language_version:
      - 2
      - 0
    .max_flat_workgroup_size: 128
    .name:           _ZN7rocprim17ROCPRIM_400000_NS6detail17trampoline_kernelINS0_14default_configENS1_38merge_sort_block_merge_config_selectorIhNS0_10empty_typeEEEZZNS1_27merge_sort_block_merge_implIS3_PhPS5_jNS1_19radix_merge_compareILb1ELb1EhNS0_19identity_decomposerEEEEE10hipError_tT0_T1_T2_jT3_P12ihipStream_tbPNSt15iterator_traitsISE_E10value_typeEPNSK_ISF_E10value_typeEPSG_NS1_7vsmem_tEENKUlT_SE_SF_SG_E_clIS8_S8_S9_S9_EESD_ST_SE_SF_SG_EUlST_E0_NS1_11comp_targetILNS1_3genE3ELNS1_11target_archE908ELNS1_3gpuE7ELNS1_3repE0EEENS1_38merge_mergepath_config_static_selectorELNS0_4arch9wavefront6targetE0EEEvSF_
    .private_segment_fixed_size: 0
    .sgpr_count:     0
    .sgpr_spill_count: 0
    .symbol:         _ZN7rocprim17ROCPRIM_400000_NS6detail17trampoline_kernelINS0_14default_configENS1_38merge_sort_block_merge_config_selectorIhNS0_10empty_typeEEEZZNS1_27merge_sort_block_merge_implIS3_PhPS5_jNS1_19radix_merge_compareILb1ELb1EhNS0_19identity_decomposerEEEEE10hipError_tT0_T1_T2_jT3_P12ihipStream_tbPNSt15iterator_traitsISE_E10value_typeEPNSK_ISF_E10value_typeEPSG_NS1_7vsmem_tEENKUlT_SE_SF_SG_E_clIS8_S8_S9_S9_EESD_ST_SE_SF_SG_EUlST_E0_NS1_11comp_targetILNS1_3genE3ELNS1_11target_archE908ELNS1_3gpuE7ELNS1_3repE0EEENS1_38merge_mergepath_config_static_selectorELNS0_4arch9wavefront6targetE0EEEvSF_.kd
    .uniform_work_group_size: 1
    .uses_dynamic_stack: false
    .vgpr_count:     0
    .vgpr_spill_count: 0
    .wavefront_size: 32
  - .args:
      - .offset:         0
        .size:           64
        .value_kind:     by_value
    .group_segment_fixed_size: 0
    .kernarg_segment_align: 8
    .kernarg_segment_size: 64
    .language:       OpenCL C
    .language_version:
      - 2
      - 0
    .max_flat_workgroup_size: 128
    .name:           _ZN7rocprim17ROCPRIM_400000_NS6detail17trampoline_kernelINS0_14default_configENS1_38merge_sort_block_merge_config_selectorIhNS0_10empty_typeEEEZZNS1_27merge_sort_block_merge_implIS3_PhPS5_jNS1_19radix_merge_compareILb1ELb1EhNS0_19identity_decomposerEEEEE10hipError_tT0_T1_T2_jT3_P12ihipStream_tbPNSt15iterator_traitsISE_E10value_typeEPNSK_ISF_E10value_typeEPSG_NS1_7vsmem_tEENKUlT_SE_SF_SG_E_clIS8_S8_S9_S9_EESD_ST_SE_SF_SG_EUlST_E0_NS1_11comp_targetILNS1_3genE2ELNS1_11target_archE906ELNS1_3gpuE6ELNS1_3repE0EEENS1_38merge_mergepath_config_static_selectorELNS0_4arch9wavefront6targetE0EEEvSF_
    .private_segment_fixed_size: 0
    .sgpr_count:     0
    .sgpr_spill_count: 0
    .symbol:         _ZN7rocprim17ROCPRIM_400000_NS6detail17trampoline_kernelINS0_14default_configENS1_38merge_sort_block_merge_config_selectorIhNS0_10empty_typeEEEZZNS1_27merge_sort_block_merge_implIS3_PhPS5_jNS1_19radix_merge_compareILb1ELb1EhNS0_19identity_decomposerEEEEE10hipError_tT0_T1_T2_jT3_P12ihipStream_tbPNSt15iterator_traitsISE_E10value_typeEPNSK_ISF_E10value_typeEPSG_NS1_7vsmem_tEENKUlT_SE_SF_SG_E_clIS8_S8_S9_S9_EESD_ST_SE_SF_SG_EUlST_E0_NS1_11comp_targetILNS1_3genE2ELNS1_11target_archE906ELNS1_3gpuE6ELNS1_3repE0EEENS1_38merge_mergepath_config_static_selectorELNS0_4arch9wavefront6targetE0EEEvSF_.kd
    .uniform_work_group_size: 1
    .uses_dynamic_stack: false
    .vgpr_count:     0
    .vgpr_spill_count: 0
    .wavefront_size: 32
  - .args:
      - .offset:         0
        .size:           64
        .value_kind:     by_value
    .group_segment_fixed_size: 0
    .kernarg_segment_align: 8
    .kernarg_segment_size: 64
    .language:       OpenCL C
    .language_version:
      - 2
      - 0
    .max_flat_workgroup_size: 128
    .name:           _ZN7rocprim17ROCPRIM_400000_NS6detail17trampoline_kernelINS0_14default_configENS1_38merge_sort_block_merge_config_selectorIhNS0_10empty_typeEEEZZNS1_27merge_sort_block_merge_implIS3_PhPS5_jNS1_19radix_merge_compareILb1ELb1EhNS0_19identity_decomposerEEEEE10hipError_tT0_T1_T2_jT3_P12ihipStream_tbPNSt15iterator_traitsISE_E10value_typeEPNSK_ISF_E10value_typeEPSG_NS1_7vsmem_tEENKUlT_SE_SF_SG_E_clIS8_S8_S9_S9_EESD_ST_SE_SF_SG_EUlST_E0_NS1_11comp_targetILNS1_3genE9ELNS1_11target_archE1100ELNS1_3gpuE3ELNS1_3repE0EEENS1_38merge_mergepath_config_static_selectorELNS0_4arch9wavefront6targetE0EEEvSF_
    .private_segment_fixed_size: 0
    .sgpr_count:     0
    .sgpr_spill_count: 0
    .symbol:         _ZN7rocprim17ROCPRIM_400000_NS6detail17trampoline_kernelINS0_14default_configENS1_38merge_sort_block_merge_config_selectorIhNS0_10empty_typeEEEZZNS1_27merge_sort_block_merge_implIS3_PhPS5_jNS1_19radix_merge_compareILb1ELb1EhNS0_19identity_decomposerEEEEE10hipError_tT0_T1_T2_jT3_P12ihipStream_tbPNSt15iterator_traitsISE_E10value_typeEPNSK_ISF_E10value_typeEPSG_NS1_7vsmem_tEENKUlT_SE_SF_SG_E_clIS8_S8_S9_S9_EESD_ST_SE_SF_SG_EUlST_E0_NS1_11comp_targetILNS1_3genE9ELNS1_11target_archE1100ELNS1_3gpuE3ELNS1_3repE0EEENS1_38merge_mergepath_config_static_selectorELNS0_4arch9wavefront6targetE0EEEvSF_.kd
    .uniform_work_group_size: 1
    .uses_dynamic_stack: false
    .vgpr_count:     0
    .vgpr_spill_count: 0
    .wavefront_size: 32
  - .args:
      - .offset:         0
        .size:           64
        .value_kind:     by_value
    .group_segment_fixed_size: 0
    .kernarg_segment_align: 8
    .kernarg_segment_size: 64
    .language:       OpenCL C
    .language_version:
      - 2
      - 0
    .max_flat_workgroup_size: 128
    .name:           _ZN7rocprim17ROCPRIM_400000_NS6detail17trampoline_kernelINS0_14default_configENS1_38merge_sort_block_merge_config_selectorIhNS0_10empty_typeEEEZZNS1_27merge_sort_block_merge_implIS3_PhPS5_jNS1_19radix_merge_compareILb1ELb1EhNS0_19identity_decomposerEEEEE10hipError_tT0_T1_T2_jT3_P12ihipStream_tbPNSt15iterator_traitsISE_E10value_typeEPNSK_ISF_E10value_typeEPSG_NS1_7vsmem_tEENKUlT_SE_SF_SG_E_clIS8_S8_S9_S9_EESD_ST_SE_SF_SG_EUlST_E0_NS1_11comp_targetILNS1_3genE8ELNS1_11target_archE1030ELNS1_3gpuE2ELNS1_3repE0EEENS1_38merge_mergepath_config_static_selectorELNS0_4arch9wavefront6targetE0EEEvSF_
    .private_segment_fixed_size: 0
    .sgpr_count:     0
    .sgpr_spill_count: 0
    .symbol:         _ZN7rocprim17ROCPRIM_400000_NS6detail17trampoline_kernelINS0_14default_configENS1_38merge_sort_block_merge_config_selectorIhNS0_10empty_typeEEEZZNS1_27merge_sort_block_merge_implIS3_PhPS5_jNS1_19radix_merge_compareILb1ELb1EhNS0_19identity_decomposerEEEEE10hipError_tT0_T1_T2_jT3_P12ihipStream_tbPNSt15iterator_traitsISE_E10value_typeEPNSK_ISF_E10value_typeEPSG_NS1_7vsmem_tEENKUlT_SE_SF_SG_E_clIS8_S8_S9_S9_EESD_ST_SE_SF_SG_EUlST_E0_NS1_11comp_targetILNS1_3genE8ELNS1_11target_archE1030ELNS1_3gpuE2ELNS1_3repE0EEENS1_38merge_mergepath_config_static_selectorELNS0_4arch9wavefront6targetE0EEEvSF_.kd
    .uniform_work_group_size: 1
    .uses_dynamic_stack: false
    .vgpr_count:     0
    .vgpr_spill_count: 0
    .wavefront_size: 32
  - .args:
      - .offset:         0
        .size:           48
        .value_kind:     by_value
    .group_segment_fixed_size: 0
    .kernarg_segment_align: 8
    .kernarg_segment_size: 48
    .language:       OpenCL C
    .language_version:
      - 2
      - 0
    .max_flat_workgroup_size: 256
    .name:           _ZN7rocprim17ROCPRIM_400000_NS6detail17trampoline_kernelINS0_14default_configENS1_38merge_sort_block_merge_config_selectorIhNS0_10empty_typeEEEZZNS1_27merge_sort_block_merge_implIS3_PhPS5_jNS1_19radix_merge_compareILb1ELb1EhNS0_19identity_decomposerEEEEE10hipError_tT0_T1_T2_jT3_P12ihipStream_tbPNSt15iterator_traitsISE_E10value_typeEPNSK_ISF_E10value_typeEPSG_NS1_7vsmem_tEENKUlT_SE_SF_SG_E_clIS8_S8_S9_S9_EESD_ST_SE_SF_SG_EUlST_E1_NS1_11comp_targetILNS1_3genE0ELNS1_11target_archE4294967295ELNS1_3gpuE0ELNS1_3repE0EEENS1_36merge_oddeven_config_static_selectorELNS0_4arch9wavefront6targetE0EEEvSF_
    .private_segment_fixed_size: 0
    .sgpr_count:     20
    .sgpr_spill_count: 0
    .symbol:         _ZN7rocprim17ROCPRIM_400000_NS6detail17trampoline_kernelINS0_14default_configENS1_38merge_sort_block_merge_config_selectorIhNS0_10empty_typeEEEZZNS1_27merge_sort_block_merge_implIS3_PhPS5_jNS1_19radix_merge_compareILb1ELb1EhNS0_19identity_decomposerEEEEE10hipError_tT0_T1_T2_jT3_P12ihipStream_tbPNSt15iterator_traitsISE_E10value_typeEPNSK_ISF_E10value_typeEPSG_NS1_7vsmem_tEENKUlT_SE_SF_SG_E_clIS8_S8_S9_S9_EESD_ST_SE_SF_SG_EUlST_E1_NS1_11comp_targetILNS1_3genE0ELNS1_11target_archE4294967295ELNS1_3gpuE0ELNS1_3repE0EEENS1_36merge_oddeven_config_static_selectorELNS0_4arch9wavefront6targetE0EEEvSF_.kd
    .uniform_work_group_size: 1
    .uses_dynamic_stack: false
    .vgpr_count:     9
    .vgpr_spill_count: 0
    .wavefront_size: 32
  - .args:
      - .offset:         0
        .size:           48
        .value_kind:     by_value
    .group_segment_fixed_size: 0
    .kernarg_segment_align: 8
    .kernarg_segment_size: 48
    .language:       OpenCL C
    .language_version:
      - 2
      - 0
    .max_flat_workgroup_size: 256
    .name:           _ZN7rocprim17ROCPRIM_400000_NS6detail17trampoline_kernelINS0_14default_configENS1_38merge_sort_block_merge_config_selectorIhNS0_10empty_typeEEEZZNS1_27merge_sort_block_merge_implIS3_PhPS5_jNS1_19radix_merge_compareILb1ELb1EhNS0_19identity_decomposerEEEEE10hipError_tT0_T1_T2_jT3_P12ihipStream_tbPNSt15iterator_traitsISE_E10value_typeEPNSK_ISF_E10value_typeEPSG_NS1_7vsmem_tEENKUlT_SE_SF_SG_E_clIS8_S8_S9_S9_EESD_ST_SE_SF_SG_EUlST_E1_NS1_11comp_targetILNS1_3genE10ELNS1_11target_archE1201ELNS1_3gpuE5ELNS1_3repE0EEENS1_36merge_oddeven_config_static_selectorELNS0_4arch9wavefront6targetE0EEEvSF_
    .private_segment_fixed_size: 0
    .sgpr_count:     0
    .sgpr_spill_count: 0
    .symbol:         _ZN7rocprim17ROCPRIM_400000_NS6detail17trampoline_kernelINS0_14default_configENS1_38merge_sort_block_merge_config_selectorIhNS0_10empty_typeEEEZZNS1_27merge_sort_block_merge_implIS3_PhPS5_jNS1_19radix_merge_compareILb1ELb1EhNS0_19identity_decomposerEEEEE10hipError_tT0_T1_T2_jT3_P12ihipStream_tbPNSt15iterator_traitsISE_E10value_typeEPNSK_ISF_E10value_typeEPSG_NS1_7vsmem_tEENKUlT_SE_SF_SG_E_clIS8_S8_S9_S9_EESD_ST_SE_SF_SG_EUlST_E1_NS1_11comp_targetILNS1_3genE10ELNS1_11target_archE1201ELNS1_3gpuE5ELNS1_3repE0EEENS1_36merge_oddeven_config_static_selectorELNS0_4arch9wavefront6targetE0EEEvSF_.kd
    .uniform_work_group_size: 1
    .uses_dynamic_stack: false
    .vgpr_count:     0
    .vgpr_spill_count: 0
    .wavefront_size: 32
  - .args:
      - .offset:         0
        .size:           48
        .value_kind:     by_value
    .group_segment_fixed_size: 0
    .kernarg_segment_align: 8
    .kernarg_segment_size: 48
    .language:       OpenCL C
    .language_version:
      - 2
      - 0
    .max_flat_workgroup_size: 256
    .name:           _ZN7rocprim17ROCPRIM_400000_NS6detail17trampoline_kernelINS0_14default_configENS1_38merge_sort_block_merge_config_selectorIhNS0_10empty_typeEEEZZNS1_27merge_sort_block_merge_implIS3_PhPS5_jNS1_19radix_merge_compareILb1ELb1EhNS0_19identity_decomposerEEEEE10hipError_tT0_T1_T2_jT3_P12ihipStream_tbPNSt15iterator_traitsISE_E10value_typeEPNSK_ISF_E10value_typeEPSG_NS1_7vsmem_tEENKUlT_SE_SF_SG_E_clIS8_S8_S9_S9_EESD_ST_SE_SF_SG_EUlST_E1_NS1_11comp_targetILNS1_3genE5ELNS1_11target_archE942ELNS1_3gpuE9ELNS1_3repE0EEENS1_36merge_oddeven_config_static_selectorELNS0_4arch9wavefront6targetE0EEEvSF_
    .private_segment_fixed_size: 0
    .sgpr_count:     0
    .sgpr_spill_count: 0
    .symbol:         _ZN7rocprim17ROCPRIM_400000_NS6detail17trampoline_kernelINS0_14default_configENS1_38merge_sort_block_merge_config_selectorIhNS0_10empty_typeEEEZZNS1_27merge_sort_block_merge_implIS3_PhPS5_jNS1_19radix_merge_compareILb1ELb1EhNS0_19identity_decomposerEEEEE10hipError_tT0_T1_T2_jT3_P12ihipStream_tbPNSt15iterator_traitsISE_E10value_typeEPNSK_ISF_E10value_typeEPSG_NS1_7vsmem_tEENKUlT_SE_SF_SG_E_clIS8_S8_S9_S9_EESD_ST_SE_SF_SG_EUlST_E1_NS1_11comp_targetILNS1_3genE5ELNS1_11target_archE942ELNS1_3gpuE9ELNS1_3repE0EEENS1_36merge_oddeven_config_static_selectorELNS0_4arch9wavefront6targetE0EEEvSF_.kd
    .uniform_work_group_size: 1
    .uses_dynamic_stack: false
    .vgpr_count:     0
    .vgpr_spill_count: 0
    .wavefront_size: 32
  - .args:
      - .offset:         0
        .size:           48
        .value_kind:     by_value
    .group_segment_fixed_size: 0
    .kernarg_segment_align: 8
    .kernarg_segment_size: 48
    .language:       OpenCL C
    .language_version:
      - 2
      - 0
    .max_flat_workgroup_size: 256
    .name:           _ZN7rocprim17ROCPRIM_400000_NS6detail17trampoline_kernelINS0_14default_configENS1_38merge_sort_block_merge_config_selectorIhNS0_10empty_typeEEEZZNS1_27merge_sort_block_merge_implIS3_PhPS5_jNS1_19radix_merge_compareILb1ELb1EhNS0_19identity_decomposerEEEEE10hipError_tT0_T1_T2_jT3_P12ihipStream_tbPNSt15iterator_traitsISE_E10value_typeEPNSK_ISF_E10value_typeEPSG_NS1_7vsmem_tEENKUlT_SE_SF_SG_E_clIS8_S8_S9_S9_EESD_ST_SE_SF_SG_EUlST_E1_NS1_11comp_targetILNS1_3genE4ELNS1_11target_archE910ELNS1_3gpuE8ELNS1_3repE0EEENS1_36merge_oddeven_config_static_selectorELNS0_4arch9wavefront6targetE0EEEvSF_
    .private_segment_fixed_size: 0
    .sgpr_count:     0
    .sgpr_spill_count: 0
    .symbol:         _ZN7rocprim17ROCPRIM_400000_NS6detail17trampoline_kernelINS0_14default_configENS1_38merge_sort_block_merge_config_selectorIhNS0_10empty_typeEEEZZNS1_27merge_sort_block_merge_implIS3_PhPS5_jNS1_19radix_merge_compareILb1ELb1EhNS0_19identity_decomposerEEEEE10hipError_tT0_T1_T2_jT3_P12ihipStream_tbPNSt15iterator_traitsISE_E10value_typeEPNSK_ISF_E10value_typeEPSG_NS1_7vsmem_tEENKUlT_SE_SF_SG_E_clIS8_S8_S9_S9_EESD_ST_SE_SF_SG_EUlST_E1_NS1_11comp_targetILNS1_3genE4ELNS1_11target_archE910ELNS1_3gpuE8ELNS1_3repE0EEENS1_36merge_oddeven_config_static_selectorELNS0_4arch9wavefront6targetE0EEEvSF_.kd
    .uniform_work_group_size: 1
    .uses_dynamic_stack: false
    .vgpr_count:     0
    .vgpr_spill_count: 0
    .wavefront_size: 32
  - .args:
      - .offset:         0
        .size:           48
        .value_kind:     by_value
    .group_segment_fixed_size: 0
    .kernarg_segment_align: 8
    .kernarg_segment_size: 48
    .language:       OpenCL C
    .language_version:
      - 2
      - 0
    .max_flat_workgroup_size: 256
    .name:           _ZN7rocprim17ROCPRIM_400000_NS6detail17trampoline_kernelINS0_14default_configENS1_38merge_sort_block_merge_config_selectorIhNS0_10empty_typeEEEZZNS1_27merge_sort_block_merge_implIS3_PhPS5_jNS1_19radix_merge_compareILb1ELb1EhNS0_19identity_decomposerEEEEE10hipError_tT0_T1_T2_jT3_P12ihipStream_tbPNSt15iterator_traitsISE_E10value_typeEPNSK_ISF_E10value_typeEPSG_NS1_7vsmem_tEENKUlT_SE_SF_SG_E_clIS8_S8_S9_S9_EESD_ST_SE_SF_SG_EUlST_E1_NS1_11comp_targetILNS1_3genE3ELNS1_11target_archE908ELNS1_3gpuE7ELNS1_3repE0EEENS1_36merge_oddeven_config_static_selectorELNS0_4arch9wavefront6targetE0EEEvSF_
    .private_segment_fixed_size: 0
    .sgpr_count:     0
    .sgpr_spill_count: 0
    .symbol:         _ZN7rocprim17ROCPRIM_400000_NS6detail17trampoline_kernelINS0_14default_configENS1_38merge_sort_block_merge_config_selectorIhNS0_10empty_typeEEEZZNS1_27merge_sort_block_merge_implIS3_PhPS5_jNS1_19radix_merge_compareILb1ELb1EhNS0_19identity_decomposerEEEEE10hipError_tT0_T1_T2_jT3_P12ihipStream_tbPNSt15iterator_traitsISE_E10value_typeEPNSK_ISF_E10value_typeEPSG_NS1_7vsmem_tEENKUlT_SE_SF_SG_E_clIS8_S8_S9_S9_EESD_ST_SE_SF_SG_EUlST_E1_NS1_11comp_targetILNS1_3genE3ELNS1_11target_archE908ELNS1_3gpuE7ELNS1_3repE0EEENS1_36merge_oddeven_config_static_selectorELNS0_4arch9wavefront6targetE0EEEvSF_.kd
    .uniform_work_group_size: 1
    .uses_dynamic_stack: false
    .vgpr_count:     0
    .vgpr_spill_count: 0
    .wavefront_size: 32
  - .args:
      - .offset:         0
        .size:           48
        .value_kind:     by_value
    .group_segment_fixed_size: 0
    .kernarg_segment_align: 8
    .kernarg_segment_size: 48
    .language:       OpenCL C
    .language_version:
      - 2
      - 0
    .max_flat_workgroup_size: 256
    .name:           _ZN7rocprim17ROCPRIM_400000_NS6detail17trampoline_kernelINS0_14default_configENS1_38merge_sort_block_merge_config_selectorIhNS0_10empty_typeEEEZZNS1_27merge_sort_block_merge_implIS3_PhPS5_jNS1_19radix_merge_compareILb1ELb1EhNS0_19identity_decomposerEEEEE10hipError_tT0_T1_T2_jT3_P12ihipStream_tbPNSt15iterator_traitsISE_E10value_typeEPNSK_ISF_E10value_typeEPSG_NS1_7vsmem_tEENKUlT_SE_SF_SG_E_clIS8_S8_S9_S9_EESD_ST_SE_SF_SG_EUlST_E1_NS1_11comp_targetILNS1_3genE2ELNS1_11target_archE906ELNS1_3gpuE6ELNS1_3repE0EEENS1_36merge_oddeven_config_static_selectorELNS0_4arch9wavefront6targetE0EEEvSF_
    .private_segment_fixed_size: 0
    .sgpr_count:     0
    .sgpr_spill_count: 0
    .symbol:         _ZN7rocprim17ROCPRIM_400000_NS6detail17trampoline_kernelINS0_14default_configENS1_38merge_sort_block_merge_config_selectorIhNS0_10empty_typeEEEZZNS1_27merge_sort_block_merge_implIS3_PhPS5_jNS1_19radix_merge_compareILb1ELb1EhNS0_19identity_decomposerEEEEE10hipError_tT0_T1_T2_jT3_P12ihipStream_tbPNSt15iterator_traitsISE_E10value_typeEPNSK_ISF_E10value_typeEPSG_NS1_7vsmem_tEENKUlT_SE_SF_SG_E_clIS8_S8_S9_S9_EESD_ST_SE_SF_SG_EUlST_E1_NS1_11comp_targetILNS1_3genE2ELNS1_11target_archE906ELNS1_3gpuE6ELNS1_3repE0EEENS1_36merge_oddeven_config_static_selectorELNS0_4arch9wavefront6targetE0EEEvSF_.kd
    .uniform_work_group_size: 1
    .uses_dynamic_stack: false
    .vgpr_count:     0
    .vgpr_spill_count: 0
    .wavefront_size: 32
  - .args:
      - .offset:         0
        .size:           48
        .value_kind:     by_value
    .group_segment_fixed_size: 0
    .kernarg_segment_align: 8
    .kernarg_segment_size: 48
    .language:       OpenCL C
    .language_version:
      - 2
      - 0
    .max_flat_workgroup_size: 256
    .name:           _ZN7rocprim17ROCPRIM_400000_NS6detail17trampoline_kernelINS0_14default_configENS1_38merge_sort_block_merge_config_selectorIhNS0_10empty_typeEEEZZNS1_27merge_sort_block_merge_implIS3_PhPS5_jNS1_19radix_merge_compareILb1ELb1EhNS0_19identity_decomposerEEEEE10hipError_tT0_T1_T2_jT3_P12ihipStream_tbPNSt15iterator_traitsISE_E10value_typeEPNSK_ISF_E10value_typeEPSG_NS1_7vsmem_tEENKUlT_SE_SF_SG_E_clIS8_S8_S9_S9_EESD_ST_SE_SF_SG_EUlST_E1_NS1_11comp_targetILNS1_3genE9ELNS1_11target_archE1100ELNS1_3gpuE3ELNS1_3repE0EEENS1_36merge_oddeven_config_static_selectorELNS0_4arch9wavefront6targetE0EEEvSF_
    .private_segment_fixed_size: 0
    .sgpr_count:     0
    .sgpr_spill_count: 0
    .symbol:         _ZN7rocprim17ROCPRIM_400000_NS6detail17trampoline_kernelINS0_14default_configENS1_38merge_sort_block_merge_config_selectorIhNS0_10empty_typeEEEZZNS1_27merge_sort_block_merge_implIS3_PhPS5_jNS1_19radix_merge_compareILb1ELb1EhNS0_19identity_decomposerEEEEE10hipError_tT0_T1_T2_jT3_P12ihipStream_tbPNSt15iterator_traitsISE_E10value_typeEPNSK_ISF_E10value_typeEPSG_NS1_7vsmem_tEENKUlT_SE_SF_SG_E_clIS8_S8_S9_S9_EESD_ST_SE_SF_SG_EUlST_E1_NS1_11comp_targetILNS1_3genE9ELNS1_11target_archE1100ELNS1_3gpuE3ELNS1_3repE0EEENS1_36merge_oddeven_config_static_selectorELNS0_4arch9wavefront6targetE0EEEvSF_.kd
    .uniform_work_group_size: 1
    .uses_dynamic_stack: false
    .vgpr_count:     0
    .vgpr_spill_count: 0
    .wavefront_size: 32
  - .args:
      - .offset:         0
        .size:           48
        .value_kind:     by_value
    .group_segment_fixed_size: 0
    .kernarg_segment_align: 8
    .kernarg_segment_size: 48
    .language:       OpenCL C
    .language_version:
      - 2
      - 0
    .max_flat_workgroup_size: 256
    .name:           _ZN7rocprim17ROCPRIM_400000_NS6detail17trampoline_kernelINS0_14default_configENS1_38merge_sort_block_merge_config_selectorIhNS0_10empty_typeEEEZZNS1_27merge_sort_block_merge_implIS3_PhPS5_jNS1_19radix_merge_compareILb1ELb1EhNS0_19identity_decomposerEEEEE10hipError_tT0_T1_T2_jT3_P12ihipStream_tbPNSt15iterator_traitsISE_E10value_typeEPNSK_ISF_E10value_typeEPSG_NS1_7vsmem_tEENKUlT_SE_SF_SG_E_clIS8_S8_S9_S9_EESD_ST_SE_SF_SG_EUlST_E1_NS1_11comp_targetILNS1_3genE8ELNS1_11target_archE1030ELNS1_3gpuE2ELNS1_3repE0EEENS1_36merge_oddeven_config_static_selectorELNS0_4arch9wavefront6targetE0EEEvSF_
    .private_segment_fixed_size: 0
    .sgpr_count:     0
    .sgpr_spill_count: 0
    .symbol:         _ZN7rocprim17ROCPRIM_400000_NS6detail17trampoline_kernelINS0_14default_configENS1_38merge_sort_block_merge_config_selectorIhNS0_10empty_typeEEEZZNS1_27merge_sort_block_merge_implIS3_PhPS5_jNS1_19radix_merge_compareILb1ELb1EhNS0_19identity_decomposerEEEEE10hipError_tT0_T1_T2_jT3_P12ihipStream_tbPNSt15iterator_traitsISE_E10value_typeEPNSK_ISF_E10value_typeEPSG_NS1_7vsmem_tEENKUlT_SE_SF_SG_E_clIS8_S8_S9_S9_EESD_ST_SE_SF_SG_EUlST_E1_NS1_11comp_targetILNS1_3genE8ELNS1_11target_archE1030ELNS1_3gpuE2ELNS1_3repE0EEENS1_36merge_oddeven_config_static_selectorELNS0_4arch9wavefront6targetE0EEEvSF_.kd
    .uniform_work_group_size: 1
    .uses_dynamic_stack: false
    .vgpr_count:     0
    .vgpr_spill_count: 0
    .wavefront_size: 32
  - .args:
      - .offset:         0
        .size:           48
        .value_kind:     by_value
    .group_segment_fixed_size: 512
    .kernarg_segment_align: 8
    .kernarg_segment_size: 48
    .language:       OpenCL C
    .language_version:
      - 2
      - 0
    .max_flat_workgroup_size: 1024
    .name:           _ZN7rocprim17ROCPRIM_400000_NS6detail17trampoline_kernelINS0_14default_configENS1_35radix_sort_onesweep_config_selectorIhNS0_10empty_typeEEEZNS1_34radix_sort_onesweep_global_offsetsIS3_Lb1EPKhPS5_mNS0_19identity_decomposerEEE10hipError_tT1_T2_PT3_SF_jT4_jjP12ihipStream_tbEUlT_E_NS1_11comp_targetILNS1_3genE0ELNS1_11target_archE4294967295ELNS1_3gpuE0ELNS1_3repE0EEENS1_52radix_sort_onesweep_histogram_config_static_selectorELNS0_4arch9wavefront6targetE0EEEvSD_
    .private_segment_fixed_size: 0
    .sgpr_count:     15
    .sgpr_spill_count: 0
    .symbol:         _ZN7rocprim17ROCPRIM_400000_NS6detail17trampoline_kernelINS0_14default_configENS1_35radix_sort_onesweep_config_selectorIhNS0_10empty_typeEEEZNS1_34radix_sort_onesweep_global_offsetsIS3_Lb1EPKhPS5_mNS0_19identity_decomposerEEE10hipError_tT1_T2_PT3_SF_jT4_jjP12ihipStream_tbEUlT_E_NS1_11comp_targetILNS1_3genE0ELNS1_11target_archE4294967295ELNS1_3gpuE0ELNS1_3repE0EEENS1_52radix_sort_onesweep_histogram_config_static_selectorELNS0_4arch9wavefront6targetE0EEEvSD_.kd
    .uniform_work_group_size: 1
    .uses_dynamic_stack: false
    .vgpr_count:     47
    .vgpr_spill_count: 0
    .wavefront_size: 32
  - .args:
      - .offset:         0
        .size:           48
        .value_kind:     by_value
    .group_segment_fixed_size: 0
    .kernarg_segment_align: 8
    .kernarg_segment_size: 48
    .language:       OpenCL C
    .language_version:
      - 2
      - 0
    .max_flat_workgroup_size: 1024
    .name:           _ZN7rocprim17ROCPRIM_400000_NS6detail17trampoline_kernelINS0_14default_configENS1_35radix_sort_onesweep_config_selectorIhNS0_10empty_typeEEEZNS1_34radix_sort_onesweep_global_offsetsIS3_Lb1EPKhPS5_mNS0_19identity_decomposerEEE10hipError_tT1_T2_PT3_SF_jT4_jjP12ihipStream_tbEUlT_E_NS1_11comp_targetILNS1_3genE6ELNS1_11target_archE950ELNS1_3gpuE13ELNS1_3repE0EEENS1_52radix_sort_onesweep_histogram_config_static_selectorELNS0_4arch9wavefront6targetE0EEEvSD_
    .private_segment_fixed_size: 0
    .sgpr_count:     0
    .sgpr_spill_count: 0
    .symbol:         _ZN7rocprim17ROCPRIM_400000_NS6detail17trampoline_kernelINS0_14default_configENS1_35radix_sort_onesweep_config_selectorIhNS0_10empty_typeEEEZNS1_34radix_sort_onesweep_global_offsetsIS3_Lb1EPKhPS5_mNS0_19identity_decomposerEEE10hipError_tT1_T2_PT3_SF_jT4_jjP12ihipStream_tbEUlT_E_NS1_11comp_targetILNS1_3genE6ELNS1_11target_archE950ELNS1_3gpuE13ELNS1_3repE0EEENS1_52radix_sort_onesweep_histogram_config_static_selectorELNS0_4arch9wavefront6targetE0EEEvSD_.kd
    .uniform_work_group_size: 1
    .uses_dynamic_stack: false
    .vgpr_count:     0
    .vgpr_spill_count: 0
    .wavefront_size: 32
  - .args:
      - .offset:         0
        .size:           48
        .value_kind:     by_value
    .group_segment_fixed_size: 0
    .kernarg_segment_align: 8
    .kernarg_segment_size: 48
    .language:       OpenCL C
    .language_version:
      - 2
      - 0
    .max_flat_workgroup_size: 1024
    .name:           _ZN7rocprim17ROCPRIM_400000_NS6detail17trampoline_kernelINS0_14default_configENS1_35radix_sort_onesweep_config_selectorIhNS0_10empty_typeEEEZNS1_34radix_sort_onesweep_global_offsetsIS3_Lb1EPKhPS5_mNS0_19identity_decomposerEEE10hipError_tT1_T2_PT3_SF_jT4_jjP12ihipStream_tbEUlT_E_NS1_11comp_targetILNS1_3genE5ELNS1_11target_archE942ELNS1_3gpuE9ELNS1_3repE0EEENS1_52radix_sort_onesweep_histogram_config_static_selectorELNS0_4arch9wavefront6targetE0EEEvSD_
    .private_segment_fixed_size: 0
    .sgpr_count:     0
    .sgpr_spill_count: 0
    .symbol:         _ZN7rocprim17ROCPRIM_400000_NS6detail17trampoline_kernelINS0_14default_configENS1_35radix_sort_onesweep_config_selectorIhNS0_10empty_typeEEEZNS1_34radix_sort_onesweep_global_offsetsIS3_Lb1EPKhPS5_mNS0_19identity_decomposerEEE10hipError_tT1_T2_PT3_SF_jT4_jjP12ihipStream_tbEUlT_E_NS1_11comp_targetILNS1_3genE5ELNS1_11target_archE942ELNS1_3gpuE9ELNS1_3repE0EEENS1_52radix_sort_onesweep_histogram_config_static_selectorELNS0_4arch9wavefront6targetE0EEEvSD_.kd
    .uniform_work_group_size: 1
    .uses_dynamic_stack: false
    .vgpr_count:     0
    .vgpr_spill_count: 0
    .wavefront_size: 32
  - .args:
      - .offset:         0
        .size:           48
        .value_kind:     by_value
    .group_segment_fixed_size: 0
    .kernarg_segment_align: 8
    .kernarg_segment_size: 48
    .language:       OpenCL C
    .language_version:
      - 2
      - 0
    .max_flat_workgroup_size: 512
    .name:           _ZN7rocprim17ROCPRIM_400000_NS6detail17trampoline_kernelINS0_14default_configENS1_35radix_sort_onesweep_config_selectorIhNS0_10empty_typeEEEZNS1_34radix_sort_onesweep_global_offsetsIS3_Lb1EPKhPS5_mNS0_19identity_decomposerEEE10hipError_tT1_T2_PT3_SF_jT4_jjP12ihipStream_tbEUlT_E_NS1_11comp_targetILNS1_3genE2ELNS1_11target_archE906ELNS1_3gpuE6ELNS1_3repE0EEENS1_52radix_sort_onesweep_histogram_config_static_selectorELNS0_4arch9wavefront6targetE0EEEvSD_
    .private_segment_fixed_size: 0
    .sgpr_count:     0
    .sgpr_spill_count: 0
    .symbol:         _ZN7rocprim17ROCPRIM_400000_NS6detail17trampoline_kernelINS0_14default_configENS1_35radix_sort_onesweep_config_selectorIhNS0_10empty_typeEEEZNS1_34radix_sort_onesweep_global_offsetsIS3_Lb1EPKhPS5_mNS0_19identity_decomposerEEE10hipError_tT1_T2_PT3_SF_jT4_jjP12ihipStream_tbEUlT_E_NS1_11comp_targetILNS1_3genE2ELNS1_11target_archE906ELNS1_3gpuE6ELNS1_3repE0EEENS1_52radix_sort_onesweep_histogram_config_static_selectorELNS0_4arch9wavefront6targetE0EEEvSD_.kd
    .uniform_work_group_size: 1
    .uses_dynamic_stack: false
    .vgpr_count:     0
    .vgpr_spill_count: 0
    .wavefront_size: 32
  - .args:
      - .offset:         0
        .size:           48
        .value_kind:     by_value
    .group_segment_fixed_size: 0
    .kernarg_segment_align: 8
    .kernarg_segment_size: 48
    .language:       OpenCL C
    .language_version:
      - 2
      - 0
    .max_flat_workgroup_size: 512
    .name:           _ZN7rocprim17ROCPRIM_400000_NS6detail17trampoline_kernelINS0_14default_configENS1_35radix_sort_onesweep_config_selectorIhNS0_10empty_typeEEEZNS1_34radix_sort_onesweep_global_offsetsIS3_Lb1EPKhPS5_mNS0_19identity_decomposerEEE10hipError_tT1_T2_PT3_SF_jT4_jjP12ihipStream_tbEUlT_E_NS1_11comp_targetILNS1_3genE4ELNS1_11target_archE910ELNS1_3gpuE8ELNS1_3repE0EEENS1_52radix_sort_onesweep_histogram_config_static_selectorELNS0_4arch9wavefront6targetE0EEEvSD_
    .private_segment_fixed_size: 0
    .sgpr_count:     0
    .sgpr_spill_count: 0
    .symbol:         _ZN7rocprim17ROCPRIM_400000_NS6detail17trampoline_kernelINS0_14default_configENS1_35radix_sort_onesweep_config_selectorIhNS0_10empty_typeEEEZNS1_34radix_sort_onesweep_global_offsetsIS3_Lb1EPKhPS5_mNS0_19identity_decomposerEEE10hipError_tT1_T2_PT3_SF_jT4_jjP12ihipStream_tbEUlT_E_NS1_11comp_targetILNS1_3genE4ELNS1_11target_archE910ELNS1_3gpuE8ELNS1_3repE0EEENS1_52radix_sort_onesweep_histogram_config_static_selectorELNS0_4arch9wavefront6targetE0EEEvSD_.kd
    .uniform_work_group_size: 1
    .uses_dynamic_stack: false
    .vgpr_count:     0
    .vgpr_spill_count: 0
    .wavefront_size: 32
  - .args:
      - .offset:         0
        .size:           48
        .value_kind:     by_value
    .group_segment_fixed_size: 0
    .kernarg_segment_align: 8
    .kernarg_segment_size: 48
    .language:       OpenCL C
    .language_version:
      - 2
      - 0
    .max_flat_workgroup_size: 1024
    .name:           _ZN7rocprim17ROCPRIM_400000_NS6detail17trampoline_kernelINS0_14default_configENS1_35radix_sort_onesweep_config_selectorIhNS0_10empty_typeEEEZNS1_34radix_sort_onesweep_global_offsetsIS3_Lb1EPKhPS5_mNS0_19identity_decomposerEEE10hipError_tT1_T2_PT3_SF_jT4_jjP12ihipStream_tbEUlT_E_NS1_11comp_targetILNS1_3genE3ELNS1_11target_archE908ELNS1_3gpuE7ELNS1_3repE0EEENS1_52radix_sort_onesweep_histogram_config_static_selectorELNS0_4arch9wavefront6targetE0EEEvSD_
    .private_segment_fixed_size: 0
    .sgpr_count:     0
    .sgpr_spill_count: 0
    .symbol:         _ZN7rocprim17ROCPRIM_400000_NS6detail17trampoline_kernelINS0_14default_configENS1_35radix_sort_onesweep_config_selectorIhNS0_10empty_typeEEEZNS1_34radix_sort_onesweep_global_offsetsIS3_Lb1EPKhPS5_mNS0_19identity_decomposerEEE10hipError_tT1_T2_PT3_SF_jT4_jjP12ihipStream_tbEUlT_E_NS1_11comp_targetILNS1_3genE3ELNS1_11target_archE908ELNS1_3gpuE7ELNS1_3repE0EEENS1_52radix_sort_onesweep_histogram_config_static_selectorELNS0_4arch9wavefront6targetE0EEEvSD_.kd
    .uniform_work_group_size: 1
    .uses_dynamic_stack: false
    .vgpr_count:     0
    .vgpr_spill_count: 0
    .wavefront_size: 32
  - .args:
      - .offset:         0
        .size:           48
        .value_kind:     by_value
    .group_segment_fixed_size: 0
    .kernarg_segment_align: 8
    .kernarg_segment_size: 48
    .language:       OpenCL C
    .language_version:
      - 2
      - 0
    .max_flat_workgroup_size: 256
    .name:           _ZN7rocprim17ROCPRIM_400000_NS6detail17trampoline_kernelINS0_14default_configENS1_35radix_sort_onesweep_config_selectorIhNS0_10empty_typeEEEZNS1_34radix_sort_onesweep_global_offsetsIS3_Lb1EPKhPS5_mNS0_19identity_decomposerEEE10hipError_tT1_T2_PT3_SF_jT4_jjP12ihipStream_tbEUlT_E_NS1_11comp_targetILNS1_3genE10ELNS1_11target_archE1201ELNS1_3gpuE5ELNS1_3repE0EEENS1_52radix_sort_onesweep_histogram_config_static_selectorELNS0_4arch9wavefront6targetE0EEEvSD_
    .private_segment_fixed_size: 0
    .sgpr_count:     0
    .sgpr_spill_count: 0
    .symbol:         _ZN7rocprim17ROCPRIM_400000_NS6detail17trampoline_kernelINS0_14default_configENS1_35radix_sort_onesweep_config_selectorIhNS0_10empty_typeEEEZNS1_34radix_sort_onesweep_global_offsetsIS3_Lb1EPKhPS5_mNS0_19identity_decomposerEEE10hipError_tT1_T2_PT3_SF_jT4_jjP12ihipStream_tbEUlT_E_NS1_11comp_targetILNS1_3genE10ELNS1_11target_archE1201ELNS1_3gpuE5ELNS1_3repE0EEENS1_52radix_sort_onesweep_histogram_config_static_selectorELNS0_4arch9wavefront6targetE0EEEvSD_.kd
    .uniform_work_group_size: 1
    .uses_dynamic_stack: false
    .vgpr_count:     0
    .vgpr_spill_count: 0
    .wavefront_size: 32
  - .args:
      - .offset:         0
        .size:           48
        .value_kind:     by_value
    .group_segment_fixed_size: 0
    .kernarg_segment_align: 8
    .kernarg_segment_size: 48
    .language:       OpenCL C
    .language_version:
      - 2
      - 0
    .max_flat_workgroup_size: 256
    .name:           _ZN7rocprim17ROCPRIM_400000_NS6detail17trampoline_kernelINS0_14default_configENS1_35radix_sort_onesweep_config_selectorIhNS0_10empty_typeEEEZNS1_34radix_sort_onesweep_global_offsetsIS3_Lb1EPKhPS5_mNS0_19identity_decomposerEEE10hipError_tT1_T2_PT3_SF_jT4_jjP12ihipStream_tbEUlT_E_NS1_11comp_targetILNS1_3genE9ELNS1_11target_archE1100ELNS1_3gpuE3ELNS1_3repE0EEENS1_52radix_sort_onesweep_histogram_config_static_selectorELNS0_4arch9wavefront6targetE0EEEvSD_
    .private_segment_fixed_size: 0
    .sgpr_count:     0
    .sgpr_spill_count: 0
    .symbol:         _ZN7rocprim17ROCPRIM_400000_NS6detail17trampoline_kernelINS0_14default_configENS1_35radix_sort_onesweep_config_selectorIhNS0_10empty_typeEEEZNS1_34radix_sort_onesweep_global_offsetsIS3_Lb1EPKhPS5_mNS0_19identity_decomposerEEE10hipError_tT1_T2_PT3_SF_jT4_jjP12ihipStream_tbEUlT_E_NS1_11comp_targetILNS1_3genE9ELNS1_11target_archE1100ELNS1_3gpuE3ELNS1_3repE0EEENS1_52radix_sort_onesweep_histogram_config_static_selectorELNS0_4arch9wavefront6targetE0EEEvSD_.kd
    .uniform_work_group_size: 1
    .uses_dynamic_stack: false
    .vgpr_count:     0
    .vgpr_spill_count: 0
    .wavefront_size: 32
  - .args:
      - .offset:         0
        .size:           48
        .value_kind:     by_value
    .group_segment_fixed_size: 0
    .kernarg_segment_align: 8
    .kernarg_segment_size: 48
    .language:       OpenCL C
    .language_version:
      - 2
      - 0
    .max_flat_workgroup_size: 256
    .name:           _ZN7rocprim17ROCPRIM_400000_NS6detail17trampoline_kernelINS0_14default_configENS1_35radix_sort_onesweep_config_selectorIhNS0_10empty_typeEEEZNS1_34radix_sort_onesweep_global_offsetsIS3_Lb1EPKhPS5_mNS0_19identity_decomposerEEE10hipError_tT1_T2_PT3_SF_jT4_jjP12ihipStream_tbEUlT_E_NS1_11comp_targetILNS1_3genE8ELNS1_11target_archE1030ELNS1_3gpuE2ELNS1_3repE0EEENS1_52radix_sort_onesweep_histogram_config_static_selectorELNS0_4arch9wavefront6targetE0EEEvSD_
    .private_segment_fixed_size: 0
    .sgpr_count:     0
    .sgpr_spill_count: 0
    .symbol:         _ZN7rocprim17ROCPRIM_400000_NS6detail17trampoline_kernelINS0_14default_configENS1_35radix_sort_onesweep_config_selectorIhNS0_10empty_typeEEEZNS1_34radix_sort_onesweep_global_offsetsIS3_Lb1EPKhPS5_mNS0_19identity_decomposerEEE10hipError_tT1_T2_PT3_SF_jT4_jjP12ihipStream_tbEUlT_E_NS1_11comp_targetILNS1_3genE8ELNS1_11target_archE1030ELNS1_3gpuE2ELNS1_3repE0EEENS1_52radix_sort_onesweep_histogram_config_static_selectorELNS0_4arch9wavefront6targetE0EEEvSD_.kd
    .uniform_work_group_size: 1
    .uses_dynamic_stack: false
    .vgpr_count:     0
    .vgpr_spill_count: 0
    .wavefront_size: 32
  - .args:
      - .address_space:  global
        .offset:         0
        .size:           8
        .value_kind:     global_buffer
    .group_segment_fixed_size: 256
    .kernarg_segment_align: 8
    .kernarg_segment_size: 8
    .language:       OpenCL C
    .language_version:
      - 2
      - 0
    .max_flat_workgroup_size: 1024
    .name:           _ZN7rocprim17ROCPRIM_400000_NS6detail17trampoline_kernelINS0_14default_configENS1_35radix_sort_onesweep_config_selectorIhNS0_10empty_typeEEEZNS1_34radix_sort_onesweep_global_offsetsIS3_Lb1EPKhPS5_mNS0_19identity_decomposerEEE10hipError_tT1_T2_PT3_SF_jT4_jjP12ihipStream_tbEUlT_E0_NS1_11comp_targetILNS1_3genE0ELNS1_11target_archE4294967295ELNS1_3gpuE0ELNS1_3repE0EEENS1_52radix_sort_onesweep_histogram_config_static_selectorELNS0_4arch9wavefront6targetE0EEEvSD_
    .private_segment_fixed_size: 0
    .sgpr_count:     12
    .sgpr_spill_count: 0
    .symbol:         _ZN7rocprim17ROCPRIM_400000_NS6detail17trampoline_kernelINS0_14default_configENS1_35radix_sort_onesweep_config_selectorIhNS0_10empty_typeEEEZNS1_34radix_sort_onesweep_global_offsetsIS3_Lb1EPKhPS5_mNS0_19identity_decomposerEEE10hipError_tT1_T2_PT3_SF_jT4_jjP12ihipStream_tbEUlT_E0_NS1_11comp_targetILNS1_3genE0ELNS1_11target_archE4294967295ELNS1_3gpuE0ELNS1_3repE0EEENS1_52radix_sort_onesweep_histogram_config_static_selectorELNS0_4arch9wavefront6targetE0EEEvSD_.kd
    .uniform_work_group_size: 1
    .uses_dynamic_stack: false
    .vgpr_count:     14
    .vgpr_spill_count: 0
    .wavefront_size: 32
  - .args:
      - .address_space:  global
        .offset:         0
        .size:           8
        .value_kind:     global_buffer
    .group_segment_fixed_size: 0
    .kernarg_segment_align: 8
    .kernarg_segment_size: 8
    .language:       OpenCL C
    .language_version:
      - 2
      - 0
    .max_flat_workgroup_size: 1024
    .name:           _ZN7rocprim17ROCPRIM_400000_NS6detail17trampoline_kernelINS0_14default_configENS1_35radix_sort_onesweep_config_selectorIhNS0_10empty_typeEEEZNS1_34radix_sort_onesweep_global_offsetsIS3_Lb1EPKhPS5_mNS0_19identity_decomposerEEE10hipError_tT1_T2_PT3_SF_jT4_jjP12ihipStream_tbEUlT_E0_NS1_11comp_targetILNS1_3genE6ELNS1_11target_archE950ELNS1_3gpuE13ELNS1_3repE0EEENS1_52radix_sort_onesweep_histogram_config_static_selectorELNS0_4arch9wavefront6targetE0EEEvSD_
    .private_segment_fixed_size: 0
    .sgpr_count:     0
    .sgpr_spill_count: 0
    .symbol:         _ZN7rocprim17ROCPRIM_400000_NS6detail17trampoline_kernelINS0_14default_configENS1_35radix_sort_onesweep_config_selectorIhNS0_10empty_typeEEEZNS1_34radix_sort_onesweep_global_offsetsIS3_Lb1EPKhPS5_mNS0_19identity_decomposerEEE10hipError_tT1_T2_PT3_SF_jT4_jjP12ihipStream_tbEUlT_E0_NS1_11comp_targetILNS1_3genE6ELNS1_11target_archE950ELNS1_3gpuE13ELNS1_3repE0EEENS1_52radix_sort_onesweep_histogram_config_static_selectorELNS0_4arch9wavefront6targetE0EEEvSD_.kd
    .uniform_work_group_size: 1
    .uses_dynamic_stack: false
    .vgpr_count:     0
    .vgpr_spill_count: 0
    .wavefront_size: 32
  - .args:
      - .address_space:  global
        .offset:         0
        .size:           8
        .value_kind:     global_buffer
    .group_segment_fixed_size: 0
    .kernarg_segment_align: 8
    .kernarg_segment_size: 8
    .language:       OpenCL C
    .language_version:
      - 2
      - 0
    .max_flat_workgroup_size: 1024
    .name:           _ZN7rocprim17ROCPRIM_400000_NS6detail17trampoline_kernelINS0_14default_configENS1_35radix_sort_onesweep_config_selectorIhNS0_10empty_typeEEEZNS1_34radix_sort_onesweep_global_offsetsIS3_Lb1EPKhPS5_mNS0_19identity_decomposerEEE10hipError_tT1_T2_PT3_SF_jT4_jjP12ihipStream_tbEUlT_E0_NS1_11comp_targetILNS1_3genE5ELNS1_11target_archE942ELNS1_3gpuE9ELNS1_3repE0EEENS1_52radix_sort_onesweep_histogram_config_static_selectorELNS0_4arch9wavefront6targetE0EEEvSD_
    .private_segment_fixed_size: 0
    .sgpr_count:     0
    .sgpr_spill_count: 0
    .symbol:         _ZN7rocprim17ROCPRIM_400000_NS6detail17trampoline_kernelINS0_14default_configENS1_35radix_sort_onesweep_config_selectorIhNS0_10empty_typeEEEZNS1_34radix_sort_onesweep_global_offsetsIS3_Lb1EPKhPS5_mNS0_19identity_decomposerEEE10hipError_tT1_T2_PT3_SF_jT4_jjP12ihipStream_tbEUlT_E0_NS1_11comp_targetILNS1_3genE5ELNS1_11target_archE942ELNS1_3gpuE9ELNS1_3repE0EEENS1_52radix_sort_onesweep_histogram_config_static_selectorELNS0_4arch9wavefront6targetE0EEEvSD_.kd
    .uniform_work_group_size: 1
    .uses_dynamic_stack: false
    .vgpr_count:     0
    .vgpr_spill_count: 0
    .wavefront_size: 32
  - .args:
      - .address_space:  global
        .offset:         0
        .size:           8
        .value_kind:     global_buffer
    .group_segment_fixed_size: 0
    .kernarg_segment_align: 8
    .kernarg_segment_size: 8
    .language:       OpenCL C
    .language_version:
      - 2
      - 0
    .max_flat_workgroup_size: 512
    .name:           _ZN7rocprim17ROCPRIM_400000_NS6detail17trampoline_kernelINS0_14default_configENS1_35radix_sort_onesweep_config_selectorIhNS0_10empty_typeEEEZNS1_34radix_sort_onesweep_global_offsetsIS3_Lb1EPKhPS5_mNS0_19identity_decomposerEEE10hipError_tT1_T2_PT3_SF_jT4_jjP12ihipStream_tbEUlT_E0_NS1_11comp_targetILNS1_3genE2ELNS1_11target_archE906ELNS1_3gpuE6ELNS1_3repE0EEENS1_52radix_sort_onesweep_histogram_config_static_selectorELNS0_4arch9wavefront6targetE0EEEvSD_
    .private_segment_fixed_size: 0
    .sgpr_count:     0
    .sgpr_spill_count: 0
    .symbol:         _ZN7rocprim17ROCPRIM_400000_NS6detail17trampoline_kernelINS0_14default_configENS1_35radix_sort_onesweep_config_selectorIhNS0_10empty_typeEEEZNS1_34radix_sort_onesweep_global_offsetsIS3_Lb1EPKhPS5_mNS0_19identity_decomposerEEE10hipError_tT1_T2_PT3_SF_jT4_jjP12ihipStream_tbEUlT_E0_NS1_11comp_targetILNS1_3genE2ELNS1_11target_archE906ELNS1_3gpuE6ELNS1_3repE0EEENS1_52radix_sort_onesweep_histogram_config_static_selectorELNS0_4arch9wavefront6targetE0EEEvSD_.kd
    .uniform_work_group_size: 1
    .uses_dynamic_stack: false
    .vgpr_count:     0
    .vgpr_spill_count: 0
    .wavefront_size: 32
  - .args:
      - .address_space:  global
        .offset:         0
        .size:           8
        .value_kind:     global_buffer
    .group_segment_fixed_size: 0
    .kernarg_segment_align: 8
    .kernarg_segment_size: 8
    .language:       OpenCL C
    .language_version:
      - 2
      - 0
    .max_flat_workgroup_size: 512
    .name:           _ZN7rocprim17ROCPRIM_400000_NS6detail17trampoline_kernelINS0_14default_configENS1_35radix_sort_onesweep_config_selectorIhNS0_10empty_typeEEEZNS1_34radix_sort_onesweep_global_offsetsIS3_Lb1EPKhPS5_mNS0_19identity_decomposerEEE10hipError_tT1_T2_PT3_SF_jT4_jjP12ihipStream_tbEUlT_E0_NS1_11comp_targetILNS1_3genE4ELNS1_11target_archE910ELNS1_3gpuE8ELNS1_3repE0EEENS1_52radix_sort_onesweep_histogram_config_static_selectorELNS0_4arch9wavefront6targetE0EEEvSD_
    .private_segment_fixed_size: 0
    .sgpr_count:     0
    .sgpr_spill_count: 0
    .symbol:         _ZN7rocprim17ROCPRIM_400000_NS6detail17trampoline_kernelINS0_14default_configENS1_35radix_sort_onesweep_config_selectorIhNS0_10empty_typeEEEZNS1_34radix_sort_onesweep_global_offsetsIS3_Lb1EPKhPS5_mNS0_19identity_decomposerEEE10hipError_tT1_T2_PT3_SF_jT4_jjP12ihipStream_tbEUlT_E0_NS1_11comp_targetILNS1_3genE4ELNS1_11target_archE910ELNS1_3gpuE8ELNS1_3repE0EEENS1_52radix_sort_onesweep_histogram_config_static_selectorELNS0_4arch9wavefront6targetE0EEEvSD_.kd
    .uniform_work_group_size: 1
    .uses_dynamic_stack: false
    .vgpr_count:     0
    .vgpr_spill_count: 0
    .wavefront_size: 32
  - .args:
      - .address_space:  global
        .offset:         0
        .size:           8
        .value_kind:     global_buffer
    .group_segment_fixed_size: 0
    .kernarg_segment_align: 8
    .kernarg_segment_size: 8
    .language:       OpenCL C
    .language_version:
      - 2
      - 0
    .max_flat_workgroup_size: 1024
    .name:           _ZN7rocprim17ROCPRIM_400000_NS6detail17trampoline_kernelINS0_14default_configENS1_35radix_sort_onesweep_config_selectorIhNS0_10empty_typeEEEZNS1_34radix_sort_onesweep_global_offsetsIS3_Lb1EPKhPS5_mNS0_19identity_decomposerEEE10hipError_tT1_T2_PT3_SF_jT4_jjP12ihipStream_tbEUlT_E0_NS1_11comp_targetILNS1_3genE3ELNS1_11target_archE908ELNS1_3gpuE7ELNS1_3repE0EEENS1_52radix_sort_onesweep_histogram_config_static_selectorELNS0_4arch9wavefront6targetE0EEEvSD_
    .private_segment_fixed_size: 0
    .sgpr_count:     0
    .sgpr_spill_count: 0
    .symbol:         _ZN7rocprim17ROCPRIM_400000_NS6detail17trampoline_kernelINS0_14default_configENS1_35radix_sort_onesweep_config_selectorIhNS0_10empty_typeEEEZNS1_34radix_sort_onesweep_global_offsetsIS3_Lb1EPKhPS5_mNS0_19identity_decomposerEEE10hipError_tT1_T2_PT3_SF_jT4_jjP12ihipStream_tbEUlT_E0_NS1_11comp_targetILNS1_3genE3ELNS1_11target_archE908ELNS1_3gpuE7ELNS1_3repE0EEENS1_52radix_sort_onesweep_histogram_config_static_selectorELNS0_4arch9wavefront6targetE0EEEvSD_.kd
    .uniform_work_group_size: 1
    .uses_dynamic_stack: false
    .vgpr_count:     0
    .vgpr_spill_count: 0
    .wavefront_size: 32
  - .args:
      - .address_space:  global
        .offset:         0
        .size:           8
        .value_kind:     global_buffer
    .group_segment_fixed_size: 0
    .kernarg_segment_align: 8
    .kernarg_segment_size: 8
    .language:       OpenCL C
    .language_version:
      - 2
      - 0
    .max_flat_workgroup_size: 256
    .name:           _ZN7rocprim17ROCPRIM_400000_NS6detail17trampoline_kernelINS0_14default_configENS1_35radix_sort_onesweep_config_selectorIhNS0_10empty_typeEEEZNS1_34radix_sort_onesweep_global_offsetsIS3_Lb1EPKhPS5_mNS0_19identity_decomposerEEE10hipError_tT1_T2_PT3_SF_jT4_jjP12ihipStream_tbEUlT_E0_NS1_11comp_targetILNS1_3genE10ELNS1_11target_archE1201ELNS1_3gpuE5ELNS1_3repE0EEENS1_52radix_sort_onesweep_histogram_config_static_selectorELNS0_4arch9wavefront6targetE0EEEvSD_
    .private_segment_fixed_size: 0
    .sgpr_count:     0
    .sgpr_spill_count: 0
    .symbol:         _ZN7rocprim17ROCPRIM_400000_NS6detail17trampoline_kernelINS0_14default_configENS1_35radix_sort_onesweep_config_selectorIhNS0_10empty_typeEEEZNS1_34radix_sort_onesweep_global_offsetsIS3_Lb1EPKhPS5_mNS0_19identity_decomposerEEE10hipError_tT1_T2_PT3_SF_jT4_jjP12ihipStream_tbEUlT_E0_NS1_11comp_targetILNS1_3genE10ELNS1_11target_archE1201ELNS1_3gpuE5ELNS1_3repE0EEENS1_52radix_sort_onesweep_histogram_config_static_selectorELNS0_4arch9wavefront6targetE0EEEvSD_.kd
    .uniform_work_group_size: 1
    .uses_dynamic_stack: false
    .vgpr_count:     0
    .vgpr_spill_count: 0
    .wavefront_size: 32
  - .args:
      - .address_space:  global
        .offset:         0
        .size:           8
        .value_kind:     global_buffer
    .group_segment_fixed_size: 0
    .kernarg_segment_align: 8
    .kernarg_segment_size: 8
    .language:       OpenCL C
    .language_version:
      - 2
      - 0
    .max_flat_workgroup_size: 256
    .name:           _ZN7rocprim17ROCPRIM_400000_NS6detail17trampoline_kernelINS0_14default_configENS1_35radix_sort_onesweep_config_selectorIhNS0_10empty_typeEEEZNS1_34radix_sort_onesweep_global_offsetsIS3_Lb1EPKhPS5_mNS0_19identity_decomposerEEE10hipError_tT1_T2_PT3_SF_jT4_jjP12ihipStream_tbEUlT_E0_NS1_11comp_targetILNS1_3genE9ELNS1_11target_archE1100ELNS1_3gpuE3ELNS1_3repE0EEENS1_52radix_sort_onesweep_histogram_config_static_selectorELNS0_4arch9wavefront6targetE0EEEvSD_
    .private_segment_fixed_size: 0
    .sgpr_count:     0
    .sgpr_spill_count: 0
    .symbol:         _ZN7rocprim17ROCPRIM_400000_NS6detail17trampoline_kernelINS0_14default_configENS1_35radix_sort_onesweep_config_selectorIhNS0_10empty_typeEEEZNS1_34radix_sort_onesweep_global_offsetsIS3_Lb1EPKhPS5_mNS0_19identity_decomposerEEE10hipError_tT1_T2_PT3_SF_jT4_jjP12ihipStream_tbEUlT_E0_NS1_11comp_targetILNS1_3genE9ELNS1_11target_archE1100ELNS1_3gpuE3ELNS1_3repE0EEENS1_52radix_sort_onesweep_histogram_config_static_selectorELNS0_4arch9wavefront6targetE0EEEvSD_.kd
    .uniform_work_group_size: 1
    .uses_dynamic_stack: false
    .vgpr_count:     0
    .vgpr_spill_count: 0
    .wavefront_size: 32
  - .args:
      - .address_space:  global
        .offset:         0
        .size:           8
        .value_kind:     global_buffer
    .group_segment_fixed_size: 0
    .kernarg_segment_align: 8
    .kernarg_segment_size: 8
    .language:       OpenCL C
    .language_version:
      - 2
      - 0
    .max_flat_workgroup_size: 256
    .name:           _ZN7rocprim17ROCPRIM_400000_NS6detail17trampoline_kernelINS0_14default_configENS1_35radix_sort_onesweep_config_selectorIhNS0_10empty_typeEEEZNS1_34radix_sort_onesweep_global_offsetsIS3_Lb1EPKhPS5_mNS0_19identity_decomposerEEE10hipError_tT1_T2_PT3_SF_jT4_jjP12ihipStream_tbEUlT_E0_NS1_11comp_targetILNS1_3genE8ELNS1_11target_archE1030ELNS1_3gpuE2ELNS1_3repE0EEENS1_52radix_sort_onesweep_histogram_config_static_selectorELNS0_4arch9wavefront6targetE0EEEvSD_
    .private_segment_fixed_size: 0
    .sgpr_count:     0
    .sgpr_spill_count: 0
    .symbol:         _ZN7rocprim17ROCPRIM_400000_NS6detail17trampoline_kernelINS0_14default_configENS1_35radix_sort_onesweep_config_selectorIhNS0_10empty_typeEEEZNS1_34radix_sort_onesweep_global_offsetsIS3_Lb1EPKhPS5_mNS0_19identity_decomposerEEE10hipError_tT1_T2_PT3_SF_jT4_jjP12ihipStream_tbEUlT_E0_NS1_11comp_targetILNS1_3genE8ELNS1_11target_archE1030ELNS1_3gpuE2ELNS1_3repE0EEENS1_52radix_sort_onesweep_histogram_config_static_selectorELNS0_4arch9wavefront6targetE0EEEvSD_.kd
    .uniform_work_group_size: 1
    .uses_dynamic_stack: false
    .vgpr_count:     0
    .vgpr_spill_count: 0
    .wavefront_size: 32
  - .args:
      - .offset:         0
        .size:           40
        .value_kind:     by_value
      - .offset:         40
        .size:           4
        .value_kind:     hidden_block_count_x
      - .offset:         44
        .size:           4
        .value_kind:     hidden_block_count_y
      - .offset:         48
        .size:           4
        .value_kind:     hidden_block_count_z
      - .offset:         52
        .size:           2
        .value_kind:     hidden_group_size_x
      - .offset:         54
        .size:           2
        .value_kind:     hidden_group_size_y
      - .offset:         56
        .size:           2
        .value_kind:     hidden_group_size_z
      - .offset:         58
        .size:           2
        .value_kind:     hidden_remainder_x
      - .offset:         60
        .size:           2
        .value_kind:     hidden_remainder_y
      - .offset:         62
        .size:           2
        .value_kind:     hidden_remainder_z
      - .offset:         80
        .size:           8
        .value_kind:     hidden_global_offset_x
      - .offset:         88
        .size:           8
        .value_kind:     hidden_global_offset_y
      - .offset:         96
        .size:           8
        .value_kind:     hidden_global_offset_z
      - .offset:         104
        .size:           2
        .value_kind:     hidden_grid_dims
    .group_segment_fixed_size: 0
    .kernarg_segment_align: 8
    .kernarg_segment_size: 296
    .language:       OpenCL C
    .language_version:
      - 2
      - 0
    .max_flat_workgroup_size: 128
    .name:           _ZN7rocprim17ROCPRIM_400000_NS6detail17trampoline_kernelINS0_14default_configENS1_25transform_config_selectorIhLb1EEEZNS1_14transform_implILb1ES3_S5_PKhPhNS0_8identityIhEEEE10hipError_tT2_T3_mT4_P12ihipStream_tbEUlT_E_NS1_11comp_targetILNS1_3genE0ELNS1_11target_archE4294967295ELNS1_3gpuE0ELNS1_3repE0EEENS1_30default_config_static_selectorELNS0_4arch9wavefront6targetE0EEEvT1_
    .private_segment_fixed_size: 0
    .sgpr_count:     16
    .sgpr_spill_count: 0
    .symbol:         _ZN7rocprim17ROCPRIM_400000_NS6detail17trampoline_kernelINS0_14default_configENS1_25transform_config_selectorIhLb1EEEZNS1_14transform_implILb1ES3_S5_PKhPhNS0_8identityIhEEEE10hipError_tT2_T3_mT4_P12ihipStream_tbEUlT_E_NS1_11comp_targetILNS1_3genE0ELNS1_11target_archE4294967295ELNS1_3gpuE0ELNS1_3repE0EEENS1_30default_config_static_selectorELNS0_4arch9wavefront6targetE0EEEvT1_.kd
    .uniform_work_group_size: 1
    .uses_dynamic_stack: false
    .vgpr_count:     13
    .vgpr_spill_count: 0
    .wavefront_size: 32
  - .args:
      - .offset:         0
        .size:           40
        .value_kind:     by_value
    .group_segment_fixed_size: 0
    .kernarg_segment_align: 8
    .kernarg_segment_size: 40
    .language:       OpenCL C
    .language_version:
      - 2
      - 0
    .max_flat_workgroup_size: 1024
    .name:           _ZN7rocprim17ROCPRIM_400000_NS6detail17trampoline_kernelINS0_14default_configENS1_25transform_config_selectorIhLb1EEEZNS1_14transform_implILb1ES3_S5_PKhPhNS0_8identityIhEEEE10hipError_tT2_T3_mT4_P12ihipStream_tbEUlT_E_NS1_11comp_targetILNS1_3genE10ELNS1_11target_archE1201ELNS1_3gpuE5ELNS1_3repE0EEENS1_30default_config_static_selectorELNS0_4arch9wavefront6targetE0EEEvT1_
    .private_segment_fixed_size: 0
    .sgpr_count:     0
    .sgpr_spill_count: 0
    .symbol:         _ZN7rocprim17ROCPRIM_400000_NS6detail17trampoline_kernelINS0_14default_configENS1_25transform_config_selectorIhLb1EEEZNS1_14transform_implILb1ES3_S5_PKhPhNS0_8identityIhEEEE10hipError_tT2_T3_mT4_P12ihipStream_tbEUlT_E_NS1_11comp_targetILNS1_3genE10ELNS1_11target_archE1201ELNS1_3gpuE5ELNS1_3repE0EEENS1_30default_config_static_selectorELNS0_4arch9wavefront6targetE0EEEvT1_.kd
    .uniform_work_group_size: 1
    .uses_dynamic_stack: false
    .vgpr_count:     0
    .vgpr_spill_count: 0
    .wavefront_size: 32
  - .args:
      - .offset:         0
        .size:           40
        .value_kind:     by_value
    .group_segment_fixed_size: 0
    .kernarg_segment_align: 8
    .kernarg_segment_size: 40
    .language:       OpenCL C
    .language_version:
      - 2
      - 0
    .max_flat_workgroup_size: 256
    .name:           _ZN7rocprim17ROCPRIM_400000_NS6detail17trampoline_kernelINS0_14default_configENS1_25transform_config_selectorIhLb1EEEZNS1_14transform_implILb1ES3_S5_PKhPhNS0_8identityIhEEEE10hipError_tT2_T3_mT4_P12ihipStream_tbEUlT_E_NS1_11comp_targetILNS1_3genE5ELNS1_11target_archE942ELNS1_3gpuE9ELNS1_3repE0EEENS1_30default_config_static_selectorELNS0_4arch9wavefront6targetE0EEEvT1_
    .private_segment_fixed_size: 0
    .sgpr_count:     0
    .sgpr_spill_count: 0
    .symbol:         _ZN7rocprim17ROCPRIM_400000_NS6detail17trampoline_kernelINS0_14default_configENS1_25transform_config_selectorIhLb1EEEZNS1_14transform_implILb1ES3_S5_PKhPhNS0_8identityIhEEEE10hipError_tT2_T3_mT4_P12ihipStream_tbEUlT_E_NS1_11comp_targetILNS1_3genE5ELNS1_11target_archE942ELNS1_3gpuE9ELNS1_3repE0EEENS1_30default_config_static_selectorELNS0_4arch9wavefront6targetE0EEEvT1_.kd
    .uniform_work_group_size: 1
    .uses_dynamic_stack: false
    .vgpr_count:     0
    .vgpr_spill_count: 0
    .wavefront_size: 32
  - .args:
      - .offset:         0
        .size:           40
        .value_kind:     by_value
    .group_segment_fixed_size: 0
    .kernarg_segment_align: 8
    .kernarg_segment_size: 40
    .language:       OpenCL C
    .language_version:
      - 2
      - 0
    .max_flat_workgroup_size: 1024
    .name:           _ZN7rocprim17ROCPRIM_400000_NS6detail17trampoline_kernelINS0_14default_configENS1_25transform_config_selectorIhLb1EEEZNS1_14transform_implILb1ES3_S5_PKhPhNS0_8identityIhEEEE10hipError_tT2_T3_mT4_P12ihipStream_tbEUlT_E_NS1_11comp_targetILNS1_3genE4ELNS1_11target_archE910ELNS1_3gpuE8ELNS1_3repE0EEENS1_30default_config_static_selectorELNS0_4arch9wavefront6targetE0EEEvT1_
    .private_segment_fixed_size: 0
    .sgpr_count:     0
    .sgpr_spill_count: 0
    .symbol:         _ZN7rocprim17ROCPRIM_400000_NS6detail17trampoline_kernelINS0_14default_configENS1_25transform_config_selectorIhLb1EEEZNS1_14transform_implILb1ES3_S5_PKhPhNS0_8identityIhEEEE10hipError_tT2_T3_mT4_P12ihipStream_tbEUlT_E_NS1_11comp_targetILNS1_3genE4ELNS1_11target_archE910ELNS1_3gpuE8ELNS1_3repE0EEENS1_30default_config_static_selectorELNS0_4arch9wavefront6targetE0EEEvT1_.kd
    .uniform_work_group_size: 1
    .uses_dynamic_stack: false
    .vgpr_count:     0
    .vgpr_spill_count: 0
    .wavefront_size: 32
  - .args:
      - .offset:         0
        .size:           40
        .value_kind:     by_value
    .group_segment_fixed_size: 0
    .kernarg_segment_align: 8
    .kernarg_segment_size: 40
    .language:       OpenCL C
    .language_version:
      - 2
      - 0
    .max_flat_workgroup_size: 128
    .name:           _ZN7rocprim17ROCPRIM_400000_NS6detail17trampoline_kernelINS0_14default_configENS1_25transform_config_selectorIhLb1EEEZNS1_14transform_implILb1ES3_S5_PKhPhNS0_8identityIhEEEE10hipError_tT2_T3_mT4_P12ihipStream_tbEUlT_E_NS1_11comp_targetILNS1_3genE3ELNS1_11target_archE908ELNS1_3gpuE7ELNS1_3repE0EEENS1_30default_config_static_selectorELNS0_4arch9wavefront6targetE0EEEvT1_
    .private_segment_fixed_size: 0
    .sgpr_count:     0
    .sgpr_spill_count: 0
    .symbol:         _ZN7rocprim17ROCPRIM_400000_NS6detail17trampoline_kernelINS0_14default_configENS1_25transform_config_selectorIhLb1EEEZNS1_14transform_implILb1ES3_S5_PKhPhNS0_8identityIhEEEE10hipError_tT2_T3_mT4_P12ihipStream_tbEUlT_E_NS1_11comp_targetILNS1_3genE3ELNS1_11target_archE908ELNS1_3gpuE7ELNS1_3repE0EEENS1_30default_config_static_selectorELNS0_4arch9wavefront6targetE0EEEvT1_.kd
    .uniform_work_group_size: 1
    .uses_dynamic_stack: false
    .vgpr_count:     0
    .vgpr_spill_count: 0
    .wavefront_size: 32
  - .args:
      - .offset:         0
        .size:           40
        .value_kind:     by_value
    .group_segment_fixed_size: 0
    .kernarg_segment_align: 8
    .kernarg_segment_size: 40
    .language:       OpenCL C
    .language_version:
      - 2
      - 0
    .max_flat_workgroup_size: 512
    .name:           _ZN7rocprim17ROCPRIM_400000_NS6detail17trampoline_kernelINS0_14default_configENS1_25transform_config_selectorIhLb1EEEZNS1_14transform_implILb1ES3_S5_PKhPhNS0_8identityIhEEEE10hipError_tT2_T3_mT4_P12ihipStream_tbEUlT_E_NS1_11comp_targetILNS1_3genE2ELNS1_11target_archE906ELNS1_3gpuE6ELNS1_3repE0EEENS1_30default_config_static_selectorELNS0_4arch9wavefront6targetE0EEEvT1_
    .private_segment_fixed_size: 0
    .sgpr_count:     0
    .sgpr_spill_count: 0
    .symbol:         _ZN7rocprim17ROCPRIM_400000_NS6detail17trampoline_kernelINS0_14default_configENS1_25transform_config_selectorIhLb1EEEZNS1_14transform_implILb1ES3_S5_PKhPhNS0_8identityIhEEEE10hipError_tT2_T3_mT4_P12ihipStream_tbEUlT_E_NS1_11comp_targetILNS1_3genE2ELNS1_11target_archE906ELNS1_3gpuE6ELNS1_3repE0EEENS1_30default_config_static_selectorELNS0_4arch9wavefront6targetE0EEEvT1_.kd
    .uniform_work_group_size: 1
    .uses_dynamic_stack: false
    .vgpr_count:     0
    .vgpr_spill_count: 0
    .wavefront_size: 32
  - .args:
      - .offset:         0
        .size:           40
        .value_kind:     by_value
    .group_segment_fixed_size: 0
    .kernarg_segment_align: 8
    .kernarg_segment_size: 40
    .language:       OpenCL C
    .language_version:
      - 2
      - 0
    .max_flat_workgroup_size: 1024
    .name:           _ZN7rocprim17ROCPRIM_400000_NS6detail17trampoline_kernelINS0_14default_configENS1_25transform_config_selectorIhLb1EEEZNS1_14transform_implILb1ES3_S5_PKhPhNS0_8identityIhEEEE10hipError_tT2_T3_mT4_P12ihipStream_tbEUlT_E_NS1_11comp_targetILNS1_3genE9ELNS1_11target_archE1100ELNS1_3gpuE3ELNS1_3repE0EEENS1_30default_config_static_selectorELNS0_4arch9wavefront6targetE0EEEvT1_
    .private_segment_fixed_size: 0
    .sgpr_count:     0
    .sgpr_spill_count: 0
    .symbol:         _ZN7rocprim17ROCPRIM_400000_NS6detail17trampoline_kernelINS0_14default_configENS1_25transform_config_selectorIhLb1EEEZNS1_14transform_implILb1ES3_S5_PKhPhNS0_8identityIhEEEE10hipError_tT2_T3_mT4_P12ihipStream_tbEUlT_E_NS1_11comp_targetILNS1_3genE9ELNS1_11target_archE1100ELNS1_3gpuE3ELNS1_3repE0EEENS1_30default_config_static_selectorELNS0_4arch9wavefront6targetE0EEEvT1_.kd
    .uniform_work_group_size: 1
    .uses_dynamic_stack: false
    .vgpr_count:     0
    .vgpr_spill_count: 0
    .wavefront_size: 32
  - .args:
      - .offset:         0
        .size:           40
        .value_kind:     by_value
    .group_segment_fixed_size: 0
    .kernarg_segment_align: 8
    .kernarg_segment_size: 40
    .language:       OpenCL C
    .language_version:
      - 2
      - 0
    .max_flat_workgroup_size: 1024
    .name:           _ZN7rocprim17ROCPRIM_400000_NS6detail17trampoline_kernelINS0_14default_configENS1_25transform_config_selectorIhLb1EEEZNS1_14transform_implILb1ES3_S5_PKhPhNS0_8identityIhEEEE10hipError_tT2_T3_mT4_P12ihipStream_tbEUlT_E_NS1_11comp_targetILNS1_3genE8ELNS1_11target_archE1030ELNS1_3gpuE2ELNS1_3repE0EEENS1_30default_config_static_selectorELNS0_4arch9wavefront6targetE0EEEvT1_
    .private_segment_fixed_size: 0
    .sgpr_count:     0
    .sgpr_spill_count: 0
    .symbol:         _ZN7rocprim17ROCPRIM_400000_NS6detail17trampoline_kernelINS0_14default_configENS1_25transform_config_selectorIhLb1EEEZNS1_14transform_implILb1ES3_S5_PKhPhNS0_8identityIhEEEE10hipError_tT2_T3_mT4_P12ihipStream_tbEUlT_E_NS1_11comp_targetILNS1_3genE8ELNS1_11target_archE1030ELNS1_3gpuE2ELNS1_3repE0EEENS1_30default_config_static_selectorELNS0_4arch9wavefront6targetE0EEEvT1_.kd
    .uniform_work_group_size: 1
    .uses_dynamic_stack: false
    .vgpr_count:     0
    .vgpr_spill_count: 0
    .wavefront_size: 32
  - .args:
      - .offset:         0
        .size:           88
        .value_kind:     by_value
      - .offset:         88
        .size:           4
        .value_kind:     hidden_block_count_x
      - .offset:         92
        .size:           4
        .value_kind:     hidden_block_count_y
      - .offset:         96
        .size:           4
        .value_kind:     hidden_block_count_z
      - .offset:         100
        .size:           2
        .value_kind:     hidden_group_size_x
      - .offset:         102
        .size:           2
        .value_kind:     hidden_group_size_y
      - .offset:         104
        .size:           2
        .value_kind:     hidden_group_size_z
      - .offset:         106
        .size:           2
        .value_kind:     hidden_remainder_x
      - .offset:         108
        .size:           2
        .value_kind:     hidden_remainder_y
      - .offset:         110
        .size:           2
        .value_kind:     hidden_remainder_z
      - .offset:         128
        .size:           8
        .value_kind:     hidden_global_offset_x
      - .offset:         136
        .size:           8
        .value_kind:     hidden_global_offset_y
      - .offset:         144
        .size:           8
        .value_kind:     hidden_global_offset_z
      - .offset:         152
        .size:           2
        .value_kind:     hidden_grid_dims
    .group_segment_fixed_size: 32904
    .kernarg_segment_align: 8
    .kernarg_segment_size: 344
    .language:       OpenCL C
    .language_version:
      - 2
      - 0
    .max_flat_workgroup_size: 1024
    .name:           _ZN7rocprim17ROCPRIM_400000_NS6detail17trampoline_kernelINS0_14default_configENS1_35radix_sort_onesweep_config_selectorIhNS0_10empty_typeEEEZZNS1_29radix_sort_onesweep_iterationIS3_Lb1EPKhPhPS5_SB_mNS0_19identity_decomposerENS1_16block_id_wrapperIjLb1EEEEE10hipError_tT1_PNSt15iterator_traitsISG_E10value_typeET2_T3_PNSH_ISM_E10value_typeET4_T5_PSR_SS_PNS1_23onesweep_lookback_stateEbbT6_jjT7_P12ihipStream_tbENKUlT_T0_SG_SL_E_clIS9_SA_SB_SB_EEDaSZ_S10_SG_SL_EUlSZ_E_NS1_11comp_targetILNS1_3genE0ELNS1_11target_archE4294967295ELNS1_3gpuE0ELNS1_3repE0EEENS1_47radix_sort_onesweep_sort_config_static_selectorELNS0_4arch9wavefront6targetE0EEEvSG_
    .private_segment_fixed_size: 0
    .sgpr_count:     27
    .sgpr_spill_count: 0
    .symbol:         _ZN7rocprim17ROCPRIM_400000_NS6detail17trampoline_kernelINS0_14default_configENS1_35radix_sort_onesweep_config_selectorIhNS0_10empty_typeEEEZZNS1_29radix_sort_onesweep_iterationIS3_Lb1EPKhPhPS5_SB_mNS0_19identity_decomposerENS1_16block_id_wrapperIjLb1EEEEE10hipError_tT1_PNSt15iterator_traitsISG_E10value_typeET2_T3_PNSH_ISM_E10value_typeET4_T5_PSR_SS_PNS1_23onesweep_lookback_stateEbbT6_jjT7_P12ihipStream_tbENKUlT_T0_SG_SL_E_clIS9_SA_SB_SB_EEDaSZ_S10_SG_SL_EUlSZ_E_NS1_11comp_targetILNS1_3genE0ELNS1_11target_archE4294967295ELNS1_3gpuE0ELNS1_3repE0EEENS1_47radix_sort_onesweep_sort_config_static_selectorELNS0_4arch9wavefront6targetE0EEEvSG_.kd
    .uniform_work_group_size: 1
    .uses_dynamic_stack: false
    .vgpr_count:     79
    .vgpr_spill_count: 0
    .wavefront_size: 32
  - .args:
      - .offset:         0
        .size:           88
        .value_kind:     by_value
    .group_segment_fixed_size: 0
    .kernarg_segment_align: 8
    .kernarg_segment_size: 88
    .language:       OpenCL C
    .language_version:
      - 2
      - 0
    .max_flat_workgroup_size: 1024
    .name:           _ZN7rocprim17ROCPRIM_400000_NS6detail17trampoline_kernelINS0_14default_configENS1_35radix_sort_onesweep_config_selectorIhNS0_10empty_typeEEEZZNS1_29radix_sort_onesweep_iterationIS3_Lb1EPKhPhPS5_SB_mNS0_19identity_decomposerENS1_16block_id_wrapperIjLb1EEEEE10hipError_tT1_PNSt15iterator_traitsISG_E10value_typeET2_T3_PNSH_ISM_E10value_typeET4_T5_PSR_SS_PNS1_23onesweep_lookback_stateEbbT6_jjT7_P12ihipStream_tbENKUlT_T0_SG_SL_E_clIS9_SA_SB_SB_EEDaSZ_S10_SG_SL_EUlSZ_E_NS1_11comp_targetILNS1_3genE6ELNS1_11target_archE950ELNS1_3gpuE13ELNS1_3repE0EEENS1_47radix_sort_onesweep_sort_config_static_selectorELNS0_4arch9wavefront6targetE0EEEvSG_
    .private_segment_fixed_size: 0
    .sgpr_count:     0
    .sgpr_spill_count: 0
    .symbol:         _ZN7rocprim17ROCPRIM_400000_NS6detail17trampoline_kernelINS0_14default_configENS1_35radix_sort_onesweep_config_selectorIhNS0_10empty_typeEEEZZNS1_29radix_sort_onesweep_iterationIS3_Lb1EPKhPhPS5_SB_mNS0_19identity_decomposerENS1_16block_id_wrapperIjLb1EEEEE10hipError_tT1_PNSt15iterator_traitsISG_E10value_typeET2_T3_PNSH_ISM_E10value_typeET4_T5_PSR_SS_PNS1_23onesweep_lookback_stateEbbT6_jjT7_P12ihipStream_tbENKUlT_T0_SG_SL_E_clIS9_SA_SB_SB_EEDaSZ_S10_SG_SL_EUlSZ_E_NS1_11comp_targetILNS1_3genE6ELNS1_11target_archE950ELNS1_3gpuE13ELNS1_3repE0EEENS1_47radix_sort_onesweep_sort_config_static_selectorELNS0_4arch9wavefront6targetE0EEEvSG_.kd
    .uniform_work_group_size: 1
    .uses_dynamic_stack: false
    .vgpr_count:     0
    .vgpr_spill_count: 0
    .wavefront_size: 32
  - .args:
      - .offset:         0
        .size:           88
        .value_kind:     by_value
    .group_segment_fixed_size: 0
    .kernarg_segment_align: 8
    .kernarg_segment_size: 88
    .language:       OpenCL C
    .language_version:
      - 2
      - 0
    .max_flat_workgroup_size: 1024
    .name:           _ZN7rocprim17ROCPRIM_400000_NS6detail17trampoline_kernelINS0_14default_configENS1_35radix_sort_onesweep_config_selectorIhNS0_10empty_typeEEEZZNS1_29radix_sort_onesweep_iterationIS3_Lb1EPKhPhPS5_SB_mNS0_19identity_decomposerENS1_16block_id_wrapperIjLb1EEEEE10hipError_tT1_PNSt15iterator_traitsISG_E10value_typeET2_T3_PNSH_ISM_E10value_typeET4_T5_PSR_SS_PNS1_23onesweep_lookback_stateEbbT6_jjT7_P12ihipStream_tbENKUlT_T0_SG_SL_E_clIS9_SA_SB_SB_EEDaSZ_S10_SG_SL_EUlSZ_E_NS1_11comp_targetILNS1_3genE5ELNS1_11target_archE942ELNS1_3gpuE9ELNS1_3repE0EEENS1_47radix_sort_onesweep_sort_config_static_selectorELNS0_4arch9wavefront6targetE0EEEvSG_
    .private_segment_fixed_size: 0
    .sgpr_count:     0
    .sgpr_spill_count: 0
    .symbol:         _ZN7rocprim17ROCPRIM_400000_NS6detail17trampoline_kernelINS0_14default_configENS1_35radix_sort_onesweep_config_selectorIhNS0_10empty_typeEEEZZNS1_29radix_sort_onesweep_iterationIS3_Lb1EPKhPhPS5_SB_mNS0_19identity_decomposerENS1_16block_id_wrapperIjLb1EEEEE10hipError_tT1_PNSt15iterator_traitsISG_E10value_typeET2_T3_PNSH_ISM_E10value_typeET4_T5_PSR_SS_PNS1_23onesweep_lookback_stateEbbT6_jjT7_P12ihipStream_tbENKUlT_T0_SG_SL_E_clIS9_SA_SB_SB_EEDaSZ_S10_SG_SL_EUlSZ_E_NS1_11comp_targetILNS1_3genE5ELNS1_11target_archE942ELNS1_3gpuE9ELNS1_3repE0EEENS1_47radix_sort_onesweep_sort_config_static_selectorELNS0_4arch9wavefront6targetE0EEEvSG_.kd
    .uniform_work_group_size: 1
    .uses_dynamic_stack: false
    .vgpr_count:     0
    .vgpr_spill_count: 0
    .wavefront_size: 32
  - .args:
      - .offset:         0
        .size:           88
        .value_kind:     by_value
    .group_segment_fixed_size: 0
    .kernarg_segment_align: 8
    .kernarg_segment_size: 88
    .language:       OpenCL C
    .language_version:
      - 2
      - 0
    .max_flat_workgroup_size: 512
    .name:           _ZN7rocprim17ROCPRIM_400000_NS6detail17trampoline_kernelINS0_14default_configENS1_35radix_sort_onesweep_config_selectorIhNS0_10empty_typeEEEZZNS1_29radix_sort_onesweep_iterationIS3_Lb1EPKhPhPS5_SB_mNS0_19identity_decomposerENS1_16block_id_wrapperIjLb1EEEEE10hipError_tT1_PNSt15iterator_traitsISG_E10value_typeET2_T3_PNSH_ISM_E10value_typeET4_T5_PSR_SS_PNS1_23onesweep_lookback_stateEbbT6_jjT7_P12ihipStream_tbENKUlT_T0_SG_SL_E_clIS9_SA_SB_SB_EEDaSZ_S10_SG_SL_EUlSZ_E_NS1_11comp_targetILNS1_3genE2ELNS1_11target_archE906ELNS1_3gpuE6ELNS1_3repE0EEENS1_47radix_sort_onesweep_sort_config_static_selectorELNS0_4arch9wavefront6targetE0EEEvSG_
    .private_segment_fixed_size: 0
    .sgpr_count:     0
    .sgpr_spill_count: 0
    .symbol:         _ZN7rocprim17ROCPRIM_400000_NS6detail17trampoline_kernelINS0_14default_configENS1_35radix_sort_onesweep_config_selectorIhNS0_10empty_typeEEEZZNS1_29radix_sort_onesweep_iterationIS3_Lb1EPKhPhPS5_SB_mNS0_19identity_decomposerENS1_16block_id_wrapperIjLb1EEEEE10hipError_tT1_PNSt15iterator_traitsISG_E10value_typeET2_T3_PNSH_ISM_E10value_typeET4_T5_PSR_SS_PNS1_23onesweep_lookback_stateEbbT6_jjT7_P12ihipStream_tbENKUlT_T0_SG_SL_E_clIS9_SA_SB_SB_EEDaSZ_S10_SG_SL_EUlSZ_E_NS1_11comp_targetILNS1_3genE2ELNS1_11target_archE906ELNS1_3gpuE6ELNS1_3repE0EEENS1_47radix_sort_onesweep_sort_config_static_selectorELNS0_4arch9wavefront6targetE0EEEvSG_.kd
    .uniform_work_group_size: 1
    .uses_dynamic_stack: false
    .vgpr_count:     0
    .vgpr_spill_count: 0
    .wavefront_size: 32
  - .args:
      - .offset:         0
        .size:           88
        .value_kind:     by_value
    .group_segment_fixed_size: 0
    .kernarg_segment_align: 8
    .kernarg_segment_size: 88
    .language:       OpenCL C
    .language_version:
      - 2
      - 0
    .max_flat_workgroup_size: 512
    .name:           _ZN7rocprim17ROCPRIM_400000_NS6detail17trampoline_kernelINS0_14default_configENS1_35radix_sort_onesweep_config_selectorIhNS0_10empty_typeEEEZZNS1_29radix_sort_onesweep_iterationIS3_Lb1EPKhPhPS5_SB_mNS0_19identity_decomposerENS1_16block_id_wrapperIjLb1EEEEE10hipError_tT1_PNSt15iterator_traitsISG_E10value_typeET2_T3_PNSH_ISM_E10value_typeET4_T5_PSR_SS_PNS1_23onesweep_lookback_stateEbbT6_jjT7_P12ihipStream_tbENKUlT_T0_SG_SL_E_clIS9_SA_SB_SB_EEDaSZ_S10_SG_SL_EUlSZ_E_NS1_11comp_targetILNS1_3genE4ELNS1_11target_archE910ELNS1_3gpuE8ELNS1_3repE0EEENS1_47radix_sort_onesweep_sort_config_static_selectorELNS0_4arch9wavefront6targetE0EEEvSG_
    .private_segment_fixed_size: 0
    .sgpr_count:     0
    .sgpr_spill_count: 0
    .symbol:         _ZN7rocprim17ROCPRIM_400000_NS6detail17trampoline_kernelINS0_14default_configENS1_35radix_sort_onesweep_config_selectorIhNS0_10empty_typeEEEZZNS1_29radix_sort_onesweep_iterationIS3_Lb1EPKhPhPS5_SB_mNS0_19identity_decomposerENS1_16block_id_wrapperIjLb1EEEEE10hipError_tT1_PNSt15iterator_traitsISG_E10value_typeET2_T3_PNSH_ISM_E10value_typeET4_T5_PSR_SS_PNS1_23onesweep_lookback_stateEbbT6_jjT7_P12ihipStream_tbENKUlT_T0_SG_SL_E_clIS9_SA_SB_SB_EEDaSZ_S10_SG_SL_EUlSZ_E_NS1_11comp_targetILNS1_3genE4ELNS1_11target_archE910ELNS1_3gpuE8ELNS1_3repE0EEENS1_47radix_sort_onesweep_sort_config_static_selectorELNS0_4arch9wavefront6targetE0EEEvSG_.kd
    .uniform_work_group_size: 1
    .uses_dynamic_stack: false
    .vgpr_count:     0
    .vgpr_spill_count: 0
    .wavefront_size: 32
  - .args:
      - .offset:         0
        .size:           88
        .value_kind:     by_value
    .group_segment_fixed_size: 0
    .kernarg_segment_align: 8
    .kernarg_segment_size: 88
    .language:       OpenCL C
    .language_version:
      - 2
      - 0
    .max_flat_workgroup_size: 1024
    .name:           _ZN7rocprim17ROCPRIM_400000_NS6detail17trampoline_kernelINS0_14default_configENS1_35radix_sort_onesweep_config_selectorIhNS0_10empty_typeEEEZZNS1_29radix_sort_onesweep_iterationIS3_Lb1EPKhPhPS5_SB_mNS0_19identity_decomposerENS1_16block_id_wrapperIjLb1EEEEE10hipError_tT1_PNSt15iterator_traitsISG_E10value_typeET2_T3_PNSH_ISM_E10value_typeET4_T5_PSR_SS_PNS1_23onesweep_lookback_stateEbbT6_jjT7_P12ihipStream_tbENKUlT_T0_SG_SL_E_clIS9_SA_SB_SB_EEDaSZ_S10_SG_SL_EUlSZ_E_NS1_11comp_targetILNS1_3genE3ELNS1_11target_archE908ELNS1_3gpuE7ELNS1_3repE0EEENS1_47radix_sort_onesweep_sort_config_static_selectorELNS0_4arch9wavefront6targetE0EEEvSG_
    .private_segment_fixed_size: 0
    .sgpr_count:     0
    .sgpr_spill_count: 0
    .symbol:         _ZN7rocprim17ROCPRIM_400000_NS6detail17trampoline_kernelINS0_14default_configENS1_35radix_sort_onesweep_config_selectorIhNS0_10empty_typeEEEZZNS1_29radix_sort_onesweep_iterationIS3_Lb1EPKhPhPS5_SB_mNS0_19identity_decomposerENS1_16block_id_wrapperIjLb1EEEEE10hipError_tT1_PNSt15iterator_traitsISG_E10value_typeET2_T3_PNSH_ISM_E10value_typeET4_T5_PSR_SS_PNS1_23onesweep_lookback_stateEbbT6_jjT7_P12ihipStream_tbENKUlT_T0_SG_SL_E_clIS9_SA_SB_SB_EEDaSZ_S10_SG_SL_EUlSZ_E_NS1_11comp_targetILNS1_3genE3ELNS1_11target_archE908ELNS1_3gpuE7ELNS1_3repE0EEENS1_47radix_sort_onesweep_sort_config_static_selectorELNS0_4arch9wavefront6targetE0EEEvSG_.kd
    .uniform_work_group_size: 1
    .uses_dynamic_stack: false
    .vgpr_count:     0
    .vgpr_spill_count: 0
    .wavefront_size: 32
  - .args:
      - .offset:         0
        .size:           88
        .value_kind:     by_value
    .group_segment_fixed_size: 0
    .kernarg_segment_align: 8
    .kernarg_segment_size: 88
    .language:       OpenCL C
    .language_version:
      - 2
      - 0
    .max_flat_workgroup_size: 256
    .name:           _ZN7rocprim17ROCPRIM_400000_NS6detail17trampoline_kernelINS0_14default_configENS1_35radix_sort_onesweep_config_selectorIhNS0_10empty_typeEEEZZNS1_29radix_sort_onesweep_iterationIS3_Lb1EPKhPhPS5_SB_mNS0_19identity_decomposerENS1_16block_id_wrapperIjLb1EEEEE10hipError_tT1_PNSt15iterator_traitsISG_E10value_typeET2_T3_PNSH_ISM_E10value_typeET4_T5_PSR_SS_PNS1_23onesweep_lookback_stateEbbT6_jjT7_P12ihipStream_tbENKUlT_T0_SG_SL_E_clIS9_SA_SB_SB_EEDaSZ_S10_SG_SL_EUlSZ_E_NS1_11comp_targetILNS1_3genE10ELNS1_11target_archE1201ELNS1_3gpuE5ELNS1_3repE0EEENS1_47radix_sort_onesweep_sort_config_static_selectorELNS0_4arch9wavefront6targetE0EEEvSG_
    .private_segment_fixed_size: 0
    .sgpr_count:     0
    .sgpr_spill_count: 0
    .symbol:         _ZN7rocprim17ROCPRIM_400000_NS6detail17trampoline_kernelINS0_14default_configENS1_35radix_sort_onesweep_config_selectorIhNS0_10empty_typeEEEZZNS1_29radix_sort_onesweep_iterationIS3_Lb1EPKhPhPS5_SB_mNS0_19identity_decomposerENS1_16block_id_wrapperIjLb1EEEEE10hipError_tT1_PNSt15iterator_traitsISG_E10value_typeET2_T3_PNSH_ISM_E10value_typeET4_T5_PSR_SS_PNS1_23onesweep_lookback_stateEbbT6_jjT7_P12ihipStream_tbENKUlT_T0_SG_SL_E_clIS9_SA_SB_SB_EEDaSZ_S10_SG_SL_EUlSZ_E_NS1_11comp_targetILNS1_3genE10ELNS1_11target_archE1201ELNS1_3gpuE5ELNS1_3repE0EEENS1_47radix_sort_onesweep_sort_config_static_selectorELNS0_4arch9wavefront6targetE0EEEvSG_.kd
    .uniform_work_group_size: 1
    .uses_dynamic_stack: false
    .vgpr_count:     0
    .vgpr_spill_count: 0
    .wavefront_size: 32
  - .args:
      - .offset:         0
        .size:           88
        .value_kind:     by_value
    .group_segment_fixed_size: 0
    .kernarg_segment_align: 8
    .kernarg_segment_size: 88
    .language:       OpenCL C
    .language_version:
      - 2
      - 0
    .max_flat_workgroup_size: 256
    .name:           _ZN7rocprim17ROCPRIM_400000_NS6detail17trampoline_kernelINS0_14default_configENS1_35radix_sort_onesweep_config_selectorIhNS0_10empty_typeEEEZZNS1_29radix_sort_onesweep_iterationIS3_Lb1EPKhPhPS5_SB_mNS0_19identity_decomposerENS1_16block_id_wrapperIjLb1EEEEE10hipError_tT1_PNSt15iterator_traitsISG_E10value_typeET2_T3_PNSH_ISM_E10value_typeET4_T5_PSR_SS_PNS1_23onesweep_lookback_stateEbbT6_jjT7_P12ihipStream_tbENKUlT_T0_SG_SL_E_clIS9_SA_SB_SB_EEDaSZ_S10_SG_SL_EUlSZ_E_NS1_11comp_targetILNS1_3genE9ELNS1_11target_archE1100ELNS1_3gpuE3ELNS1_3repE0EEENS1_47radix_sort_onesweep_sort_config_static_selectorELNS0_4arch9wavefront6targetE0EEEvSG_
    .private_segment_fixed_size: 0
    .sgpr_count:     0
    .sgpr_spill_count: 0
    .symbol:         _ZN7rocprim17ROCPRIM_400000_NS6detail17trampoline_kernelINS0_14default_configENS1_35radix_sort_onesweep_config_selectorIhNS0_10empty_typeEEEZZNS1_29radix_sort_onesweep_iterationIS3_Lb1EPKhPhPS5_SB_mNS0_19identity_decomposerENS1_16block_id_wrapperIjLb1EEEEE10hipError_tT1_PNSt15iterator_traitsISG_E10value_typeET2_T3_PNSH_ISM_E10value_typeET4_T5_PSR_SS_PNS1_23onesweep_lookback_stateEbbT6_jjT7_P12ihipStream_tbENKUlT_T0_SG_SL_E_clIS9_SA_SB_SB_EEDaSZ_S10_SG_SL_EUlSZ_E_NS1_11comp_targetILNS1_3genE9ELNS1_11target_archE1100ELNS1_3gpuE3ELNS1_3repE0EEENS1_47radix_sort_onesweep_sort_config_static_selectorELNS0_4arch9wavefront6targetE0EEEvSG_.kd
    .uniform_work_group_size: 1
    .uses_dynamic_stack: false
    .vgpr_count:     0
    .vgpr_spill_count: 0
    .wavefront_size: 32
  - .args:
      - .offset:         0
        .size:           88
        .value_kind:     by_value
    .group_segment_fixed_size: 0
    .kernarg_segment_align: 8
    .kernarg_segment_size: 88
    .language:       OpenCL C
    .language_version:
      - 2
      - 0
    .max_flat_workgroup_size: 256
    .name:           _ZN7rocprim17ROCPRIM_400000_NS6detail17trampoline_kernelINS0_14default_configENS1_35radix_sort_onesweep_config_selectorIhNS0_10empty_typeEEEZZNS1_29radix_sort_onesweep_iterationIS3_Lb1EPKhPhPS5_SB_mNS0_19identity_decomposerENS1_16block_id_wrapperIjLb1EEEEE10hipError_tT1_PNSt15iterator_traitsISG_E10value_typeET2_T3_PNSH_ISM_E10value_typeET4_T5_PSR_SS_PNS1_23onesweep_lookback_stateEbbT6_jjT7_P12ihipStream_tbENKUlT_T0_SG_SL_E_clIS9_SA_SB_SB_EEDaSZ_S10_SG_SL_EUlSZ_E_NS1_11comp_targetILNS1_3genE8ELNS1_11target_archE1030ELNS1_3gpuE2ELNS1_3repE0EEENS1_47radix_sort_onesweep_sort_config_static_selectorELNS0_4arch9wavefront6targetE0EEEvSG_
    .private_segment_fixed_size: 0
    .sgpr_count:     0
    .sgpr_spill_count: 0
    .symbol:         _ZN7rocprim17ROCPRIM_400000_NS6detail17trampoline_kernelINS0_14default_configENS1_35radix_sort_onesweep_config_selectorIhNS0_10empty_typeEEEZZNS1_29radix_sort_onesweep_iterationIS3_Lb1EPKhPhPS5_SB_mNS0_19identity_decomposerENS1_16block_id_wrapperIjLb1EEEEE10hipError_tT1_PNSt15iterator_traitsISG_E10value_typeET2_T3_PNSH_ISM_E10value_typeET4_T5_PSR_SS_PNS1_23onesweep_lookback_stateEbbT6_jjT7_P12ihipStream_tbENKUlT_T0_SG_SL_E_clIS9_SA_SB_SB_EEDaSZ_S10_SG_SL_EUlSZ_E_NS1_11comp_targetILNS1_3genE8ELNS1_11target_archE1030ELNS1_3gpuE2ELNS1_3repE0EEENS1_47radix_sort_onesweep_sort_config_static_selectorELNS0_4arch9wavefront6targetE0EEEvSG_.kd
    .uniform_work_group_size: 1
    .uses_dynamic_stack: false
    .vgpr_count:     0
    .vgpr_spill_count: 0
    .wavefront_size: 32
  - .args:
      - .offset:         0
        .size:           88
        .value_kind:     by_value
      - .offset:         88
        .size:           4
        .value_kind:     hidden_block_count_x
      - .offset:         92
        .size:           4
        .value_kind:     hidden_block_count_y
      - .offset:         96
        .size:           4
        .value_kind:     hidden_block_count_z
      - .offset:         100
        .size:           2
        .value_kind:     hidden_group_size_x
      - .offset:         102
        .size:           2
        .value_kind:     hidden_group_size_y
      - .offset:         104
        .size:           2
        .value_kind:     hidden_group_size_z
      - .offset:         106
        .size:           2
        .value_kind:     hidden_remainder_x
      - .offset:         108
        .size:           2
        .value_kind:     hidden_remainder_y
      - .offset:         110
        .size:           2
        .value_kind:     hidden_remainder_z
      - .offset:         128
        .size:           8
        .value_kind:     hidden_global_offset_x
      - .offset:         136
        .size:           8
        .value_kind:     hidden_global_offset_y
      - .offset:         144
        .size:           8
        .value_kind:     hidden_global_offset_z
      - .offset:         152
        .size:           2
        .value_kind:     hidden_grid_dims
    .group_segment_fixed_size: 32904
    .kernarg_segment_align: 8
    .kernarg_segment_size: 344
    .language:       OpenCL C
    .language_version:
      - 2
      - 0
    .max_flat_workgroup_size: 1024
    .name:           _ZN7rocprim17ROCPRIM_400000_NS6detail17trampoline_kernelINS0_14default_configENS1_35radix_sort_onesweep_config_selectorIhNS0_10empty_typeEEEZZNS1_29radix_sort_onesweep_iterationIS3_Lb1EPKhPhPS5_SB_mNS0_19identity_decomposerENS1_16block_id_wrapperIjLb1EEEEE10hipError_tT1_PNSt15iterator_traitsISG_E10value_typeET2_T3_PNSH_ISM_E10value_typeET4_T5_PSR_SS_PNS1_23onesweep_lookback_stateEbbT6_jjT7_P12ihipStream_tbENKUlT_T0_SG_SL_E_clISA_SA_SB_SB_EEDaSZ_S10_SG_SL_EUlSZ_E_NS1_11comp_targetILNS1_3genE0ELNS1_11target_archE4294967295ELNS1_3gpuE0ELNS1_3repE0EEENS1_47radix_sort_onesweep_sort_config_static_selectorELNS0_4arch9wavefront6targetE0EEEvSG_
    .private_segment_fixed_size: 0
    .sgpr_count:     27
    .sgpr_spill_count: 0
    .symbol:         _ZN7rocprim17ROCPRIM_400000_NS6detail17trampoline_kernelINS0_14default_configENS1_35radix_sort_onesweep_config_selectorIhNS0_10empty_typeEEEZZNS1_29radix_sort_onesweep_iterationIS3_Lb1EPKhPhPS5_SB_mNS0_19identity_decomposerENS1_16block_id_wrapperIjLb1EEEEE10hipError_tT1_PNSt15iterator_traitsISG_E10value_typeET2_T3_PNSH_ISM_E10value_typeET4_T5_PSR_SS_PNS1_23onesweep_lookback_stateEbbT6_jjT7_P12ihipStream_tbENKUlT_T0_SG_SL_E_clISA_SA_SB_SB_EEDaSZ_S10_SG_SL_EUlSZ_E_NS1_11comp_targetILNS1_3genE0ELNS1_11target_archE4294967295ELNS1_3gpuE0ELNS1_3repE0EEENS1_47radix_sort_onesweep_sort_config_static_selectorELNS0_4arch9wavefront6targetE0EEEvSG_.kd
    .uniform_work_group_size: 1
    .uses_dynamic_stack: false
    .vgpr_count:     79
    .vgpr_spill_count: 0
    .wavefront_size: 32
  - .args:
      - .offset:         0
        .size:           88
        .value_kind:     by_value
    .group_segment_fixed_size: 0
    .kernarg_segment_align: 8
    .kernarg_segment_size: 88
    .language:       OpenCL C
    .language_version:
      - 2
      - 0
    .max_flat_workgroup_size: 1024
    .name:           _ZN7rocprim17ROCPRIM_400000_NS6detail17trampoline_kernelINS0_14default_configENS1_35radix_sort_onesweep_config_selectorIhNS0_10empty_typeEEEZZNS1_29radix_sort_onesweep_iterationIS3_Lb1EPKhPhPS5_SB_mNS0_19identity_decomposerENS1_16block_id_wrapperIjLb1EEEEE10hipError_tT1_PNSt15iterator_traitsISG_E10value_typeET2_T3_PNSH_ISM_E10value_typeET4_T5_PSR_SS_PNS1_23onesweep_lookback_stateEbbT6_jjT7_P12ihipStream_tbENKUlT_T0_SG_SL_E_clISA_SA_SB_SB_EEDaSZ_S10_SG_SL_EUlSZ_E_NS1_11comp_targetILNS1_3genE6ELNS1_11target_archE950ELNS1_3gpuE13ELNS1_3repE0EEENS1_47radix_sort_onesweep_sort_config_static_selectorELNS0_4arch9wavefront6targetE0EEEvSG_
    .private_segment_fixed_size: 0
    .sgpr_count:     0
    .sgpr_spill_count: 0
    .symbol:         _ZN7rocprim17ROCPRIM_400000_NS6detail17trampoline_kernelINS0_14default_configENS1_35radix_sort_onesweep_config_selectorIhNS0_10empty_typeEEEZZNS1_29radix_sort_onesweep_iterationIS3_Lb1EPKhPhPS5_SB_mNS0_19identity_decomposerENS1_16block_id_wrapperIjLb1EEEEE10hipError_tT1_PNSt15iterator_traitsISG_E10value_typeET2_T3_PNSH_ISM_E10value_typeET4_T5_PSR_SS_PNS1_23onesweep_lookback_stateEbbT6_jjT7_P12ihipStream_tbENKUlT_T0_SG_SL_E_clISA_SA_SB_SB_EEDaSZ_S10_SG_SL_EUlSZ_E_NS1_11comp_targetILNS1_3genE6ELNS1_11target_archE950ELNS1_3gpuE13ELNS1_3repE0EEENS1_47radix_sort_onesweep_sort_config_static_selectorELNS0_4arch9wavefront6targetE0EEEvSG_.kd
    .uniform_work_group_size: 1
    .uses_dynamic_stack: false
    .vgpr_count:     0
    .vgpr_spill_count: 0
    .wavefront_size: 32
  - .args:
      - .offset:         0
        .size:           88
        .value_kind:     by_value
    .group_segment_fixed_size: 0
    .kernarg_segment_align: 8
    .kernarg_segment_size: 88
    .language:       OpenCL C
    .language_version:
      - 2
      - 0
    .max_flat_workgroup_size: 1024
    .name:           _ZN7rocprim17ROCPRIM_400000_NS6detail17trampoline_kernelINS0_14default_configENS1_35radix_sort_onesweep_config_selectorIhNS0_10empty_typeEEEZZNS1_29radix_sort_onesweep_iterationIS3_Lb1EPKhPhPS5_SB_mNS0_19identity_decomposerENS1_16block_id_wrapperIjLb1EEEEE10hipError_tT1_PNSt15iterator_traitsISG_E10value_typeET2_T3_PNSH_ISM_E10value_typeET4_T5_PSR_SS_PNS1_23onesweep_lookback_stateEbbT6_jjT7_P12ihipStream_tbENKUlT_T0_SG_SL_E_clISA_SA_SB_SB_EEDaSZ_S10_SG_SL_EUlSZ_E_NS1_11comp_targetILNS1_3genE5ELNS1_11target_archE942ELNS1_3gpuE9ELNS1_3repE0EEENS1_47radix_sort_onesweep_sort_config_static_selectorELNS0_4arch9wavefront6targetE0EEEvSG_
    .private_segment_fixed_size: 0
    .sgpr_count:     0
    .sgpr_spill_count: 0
    .symbol:         _ZN7rocprim17ROCPRIM_400000_NS6detail17trampoline_kernelINS0_14default_configENS1_35radix_sort_onesweep_config_selectorIhNS0_10empty_typeEEEZZNS1_29radix_sort_onesweep_iterationIS3_Lb1EPKhPhPS5_SB_mNS0_19identity_decomposerENS1_16block_id_wrapperIjLb1EEEEE10hipError_tT1_PNSt15iterator_traitsISG_E10value_typeET2_T3_PNSH_ISM_E10value_typeET4_T5_PSR_SS_PNS1_23onesweep_lookback_stateEbbT6_jjT7_P12ihipStream_tbENKUlT_T0_SG_SL_E_clISA_SA_SB_SB_EEDaSZ_S10_SG_SL_EUlSZ_E_NS1_11comp_targetILNS1_3genE5ELNS1_11target_archE942ELNS1_3gpuE9ELNS1_3repE0EEENS1_47radix_sort_onesweep_sort_config_static_selectorELNS0_4arch9wavefront6targetE0EEEvSG_.kd
    .uniform_work_group_size: 1
    .uses_dynamic_stack: false
    .vgpr_count:     0
    .vgpr_spill_count: 0
    .wavefront_size: 32
  - .args:
      - .offset:         0
        .size:           88
        .value_kind:     by_value
    .group_segment_fixed_size: 0
    .kernarg_segment_align: 8
    .kernarg_segment_size: 88
    .language:       OpenCL C
    .language_version:
      - 2
      - 0
    .max_flat_workgroup_size: 512
    .name:           _ZN7rocprim17ROCPRIM_400000_NS6detail17trampoline_kernelINS0_14default_configENS1_35radix_sort_onesweep_config_selectorIhNS0_10empty_typeEEEZZNS1_29radix_sort_onesweep_iterationIS3_Lb1EPKhPhPS5_SB_mNS0_19identity_decomposerENS1_16block_id_wrapperIjLb1EEEEE10hipError_tT1_PNSt15iterator_traitsISG_E10value_typeET2_T3_PNSH_ISM_E10value_typeET4_T5_PSR_SS_PNS1_23onesweep_lookback_stateEbbT6_jjT7_P12ihipStream_tbENKUlT_T0_SG_SL_E_clISA_SA_SB_SB_EEDaSZ_S10_SG_SL_EUlSZ_E_NS1_11comp_targetILNS1_3genE2ELNS1_11target_archE906ELNS1_3gpuE6ELNS1_3repE0EEENS1_47radix_sort_onesweep_sort_config_static_selectorELNS0_4arch9wavefront6targetE0EEEvSG_
    .private_segment_fixed_size: 0
    .sgpr_count:     0
    .sgpr_spill_count: 0
    .symbol:         _ZN7rocprim17ROCPRIM_400000_NS6detail17trampoline_kernelINS0_14default_configENS1_35radix_sort_onesweep_config_selectorIhNS0_10empty_typeEEEZZNS1_29radix_sort_onesweep_iterationIS3_Lb1EPKhPhPS5_SB_mNS0_19identity_decomposerENS1_16block_id_wrapperIjLb1EEEEE10hipError_tT1_PNSt15iterator_traitsISG_E10value_typeET2_T3_PNSH_ISM_E10value_typeET4_T5_PSR_SS_PNS1_23onesweep_lookback_stateEbbT6_jjT7_P12ihipStream_tbENKUlT_T0_SG_SL_E_clISA_SA_SB_SB_EEDaSZ_S10_SG_SL_EUlSZ_E_NS1_11comp_targetILNS1_3genE2ELNS1_11target_archE906ELNS1_3gpuE6ELNS1_3repE0EEENS1_47radix_sort_onesweep_sort_config_static_selectorELNS0_4arch9wavefront6targetE0EEEvSG_.kd
    .uniform_work_group_size: 1
    .uses_dynamic_stack: false
    .vgpr_count:     0
    .vgpr_spill_count: 0
    .wavefront_size: 32
  - .args:
      - .offset:         0
        .size:           88
        .value_kind:     by_value
    .group_segment_fixed_size: 0
    .kernarg_segment_align: 8
    .kernarg_segment_size: 88
    .language:       OpenCL C
    .language_version:
      - 2
      - 0
    .max_flat_workgroup_size: 512
    .name:           _ZN7rocprim17ROCPRIM_400000_NS6detail17trampoline_kernelINS0_14default_configENS1_35radix_sort_onesweep_config_selectorIhNS0_10empty_typeEEEZZNS1_29radix_sort_onesweep_iterationIS3_Lb1EPKhPhPS5_SB_mNS0_19identity_decomposerENS1_16block_id_wrapperIjLb1EEEEE10hipError_tT1_PNSt15iterator_traitsISG_E10value_typeET2_T3_PNSH_ISM_E10value_typeET4_T5_PSR_SS_PNS1_23onesweep_lookback_stateEbbT6_jjT7_P12ihipStream_tbENKUlT_T0_SG_SL_E_clISA_SA_SB_SB_EEDaSZ_S10_SG_SL_EUlSZ_E_NS1_11comp_targetILNS1_3genE4ELNS1_11target_archE910ELNS1_3gpuE8ELNS1_3repE0EEENS1_47radix_sort_onesweep_sort_config_static_selectorELNS0_4arch9wavefront6targetE0EEEvSG_
    .private_segment_fixed_size: 0
    .sgpr_count:     0
    .sgpr_spill_count: 0
    .symbol:         _ZN7rocprim17ROCPRIM_400000_NS6detail17trampoline_kernelINS0_14default_configENS1_35radix_sort_onesweep_config_selectorIhNS0_10empty_typeEEEZZNS1_29radix_sort_onesweep_iterationIS3_Lb1EPKhPhPS5_SB_mNS0_19identity_decomposerENS1_16block_id_wrapperIjLb1EEEEE10hipError_tT1_PNSt15iterator_traitsISG_E10value_typeET2_T3_PNSH_ISM_E10value_typeET4_T5_PSR_SS_PNS1_23onesweep_lookback_stateEbbT6_jjT7_P12ihipStream_tbENKUlT_T0_SG_SL_E_clISA_SA_SB_SB_EEDaSZ_S10_SG_SL_EUlSZ_E_NS1_11comp_targetILNS1_3genE4ELNS1_11target_archE910ELNS1_3gpuE8ELNS1_3repE0EEENS1_47radix_sort_onesweep_sort_config_static_selectorELNS0_4arch9wavefront6targetE0EEEvSG_.kd
    .uniform_work_group_size: 1
    .uses_dynamic_stack: false
    .vgpr_count:     0
    .vgpr_spill_count: 0
    .wavefront_size: 32
  - .args:
      - .offset:         0
        .size:           88
        .value_kind:     by_value
    .group_segment_fixed_size: 0
    .kernarg_segment_align: 8
    .kernarg_segment_size: 88
    .language:       OpenCL C
    .language_version:
      - 2
      - 0
    .max_flat_workgroup_size: 1024
    .name:           _ZN7rocprim17ROCPRIM_400000_NS6detail17trampoline_kernelINS0_14default_configENS1_35radix_sort_onesweep_config_selectorIhNS0_10empty_typeEEEZZNS1_29radix_sort_onesweep_iterationIS3_Lb1EPKhPhPS5_SB_mNS0_19identity_decomposerENS1_16block_id_wrapperIjLb1EEEEE10hipError_tT1_PNSt15iterator_traitsISG_E10value_typeET2_T3_PNSH_ISM_E10value_typeET4_T5_PSR_SS_PNS1_23onesweep_lookback_stateEbbT6_jjT7_P12ihipStream_tbENKUlT_T0_SG_SL_E_clISA_SA_SB_SB_EEDaSZ_S10_SG_SL_EUlSZ_E_NS1_11comp_targetILNS1_3genE3ELNS1_11target_archE908ELNS1_3gpuE7ELNS1_3repE0EEENS1_47radix_sort_onesweep_sort_config_static_selectorELNS0_4arch9wavefront6targetE0EEEvSG_
    .private_segment_fixed_size: 0
    .sgpr_count:     0
    .sgpr_spill_count: 0
    .symbol:         _ZN7rocprim17ROCPRIM_400000_NS6detail17trampoline_kernelINS0_14default_configENS1_35radix_sort_onesweep_config_selectorIhNS0_10empty_typeEEEZZNS1_29radix_sort_onesweep_iterationIS3_Lb1EPKhPhPS5_SB_mNS0_19identity_decomposerENS1_16block_id_wrapperIjLb1EEEEE10hipError_tT1_PNSt15iterator_traitsISG_E10value_typeET2_T3_PNSH_ISM_E10value_typeET4_T5_PSR_SS_PNS1_23onesweep_lookback_stateEbbT6_jjT7_P12ihipStream_tbENKUlT_T0_SG_SL_E_clISA_SA_SB_SB_EEDaSZ_S10_SG_SL_EUlSZ_E_NS1_11comp_targetILNS1_3genE3ELNS1_11target_archE908ELNS1_3gpuE7ELNS1_3repE0EEENS1_47radix_sort_onesweep_sort_config_static_selectorELNS0_4arch9wavefront6targetE0EEEvSG_.kd
    .uniform_work_group_size: 1
    .uses_dynamic_stack: false
    .vgpr_count:     0
    .vgpr_spill_count: 0
    .wavefront_size: 32
  - .args:
      - .offset:         0
        .size:           88
        .value_kind:     by_value
    .group_segment_fixed_size: 0
    .kernarg_segment_align: 8
    .kernarg_segment_size: 88
    .language:       OpenCL C
    .language_version:
      - 2
      - 0
    .max_flat_workgroup_size: 256
    .name:           _ZN7rocprim17ROCPRIM_400000_NS6detail17trampoline_kernelINS0_14default_configENS1_35radix_sort_onesweep_config_selectorIhNS0_10empty_typeEEEZZNS1_29radix_sort_onesweep_iterationIS3_Lb1EPKhPhPS5_SB_mNS0_19identity_decomposerENS1_16block_id_wrapperIjLb1EEEEE10hipError_tT1_PNSt15iterator_traitsISG_E10value_typeET2_T3_PNSH_ISM_E10value_typeET4_T5_PSR_SS_PNS1_23onesweep_lookback_stateEbbT6_jjT7_P12ihipStream_tbENKUlT_T0_SG_SL_E_clISA_SA_SB_SB_EEDaSZ_S10_SG_SL_EUlSZ_E_NS1_11comp_targetILNS1_3genE10ELNS1_11target_archE1201ELNS1_3gpuE5ELNS1_3repE0EEENS1_47radix_sort_onesweep_sort_config_static_selectorELNS0_4arch9wavefront6targetE0EEEvSG_
    .private_segment_fixed_size: 0
    .sgpr_count:     0
    .sgpr_spill_count: 0
    .symbol:         _ZN7rocprim17ROCPRIM_400000_NS6detail17trampoline_kernelINS0_14default_configENS1_35radix_sort_onesweep_config_selectorIhNS0_10empty_typeEEEZZNS1_29radix_sort_onesweep_iterationIS3_Lb1EPKhPhPS5_SB_mNS0_19identity_decomposerENS1_16block_id_wrapperIjLb1EEEEE10hipError_tT1_PNSt15iterator_traitsISG_E10value_typeET2_T3_PNSH_ISM_E10value_typeET4_T5_PSR_SS_PNS1_23onesweep_lookback_stateEbbT6_jjT7_P12ihipStream_tbENKUlT_T0_SG_SL_E_clISA_SA_SB_SB_EEDaSZ_S10_SG_SL_EUlSZ_E_NS1_11comp_targetILNS1_3genE10ELNS1_11target_archE1201ELNS1_3gpuE5ELNS1_3repE0EEENS1_47radix_sort_onesweep_sort_config_static_selectorELNS0_4arch9wavefront6targetE0EEEvSG_.kd
    .uniform_work_group_size: 1
    .uses_dynamic_stack: false
    .vgpr_count:     0
    .vgpr_spill_count: 0
    .wavefront_size: 32
  - .args:
      - .offset:         0
        .size:           88
        .value_kind:     by_value
    .group_segment_fixed_size: 0
    .kernarg_segment_align: 8
    .kernarg_segment_size: 88
    .language:       OpenCL C
    .language_version:
      - 2
      - 0
    .max_flat_workgroup_size: 256
    .name:           _ZN7rocprim17ROCPRIM_400000_NS6detail17trampoline_kernelINS0_14default_configENS1_35radix_sort_onesweep_config_selectorIhNS0_10empty_typeEEEZZNS1_29radix_sort_onesweep_iterationIS3_Lb1EPKhPhPS5_SB_mNS0_19identity_decomposerENS1_16block_id_wrapperIjLb1EEEEE10hipError_tT1_PNSt15iterator_traitsISG_E10value_typeET2_T3_PNSH_ISM_E10value_typeET4_T5_PSR_SS_PNS1_23onesweep_lookback_stateEbbT6_jjT7_P12ihipStream_tbENKUlT_T0_SG_SL_E_clISA_SA_SB_SB_EEDaSZ_S10_SG_SL_EUlSZ_E_NS1_11comp_targetILNS1_3genE9ELNS1_11target_archE1100ELNS1_3gpuE3ELNS1_3repE0EEENS1_47radix_sort_onesweep_sort_config_static_selectorELNS0_4arch9wavefront6targetE0EEEvSG_
    .private_segment_fixed_size: 0
    .sgpr_count:     0
    .sgpr_spill_count: 0
    .symbol:         _ZN7rocprim17ROCPRIM_400000_NS6detail17trampoline_kernelINS0_14default_configENS1_35radix_sort_onesweep_config_selectorIhNS0_10empty_typeEEEZZNS1_29radix_sort_onesweep_iterationIS3_Lb1EPKhPhPS5_SB_mNS0_19identity_decomposerENS1_16block_id_wrapperIjLb1EEEEE10hipError_tT1_PNSt15iterator_traitsISG_E10value_typeET2_T3_PNSH_ISM_E10value_typeET4_T5_PSR_SS_PNS1_23onesweep_lookback_stateEbbT6_jjT7_P12ihipStream_tbENKUlT_T0_SG_SL_E_clISA_SA_SB_SB_EEDaSZ_S10_SG_SL_EUlSZ_E_NS1_11comp_targetILNS1_3genE9ELNS1_11target_archE1100ELNS1_3gpuE3ELNS1_3repE0EEENS1_47radix_sort_onesweep_sort_config_static_selectorELNS0_4arch9wavefront6targetE0EEEvSG_.kd
    .uniform_work_group_size: 1
    .uses_dynamic_stack: false
    .vgpr_count:     0
    .vgpr_spill_count: 0
    .wavefront_size: 32
  - .args:
      - .offset:         0
        .size:           88
        .value_kind:     by_value
    .group_segment_fixed_size: 0
    .kernarg_segment_align: 8
    .kernarg_segment_size: 88
    .language:       OpenCL C
    .language_version:
      - 2
      - 0
    .max_flat_workgroup_size: 256
    .name:           _ZN7rocprim17ROCPRIM_400000_NS6detail17trampoline_kernelINS0_14default_configENS1_35radix_sort_onesweep_config_selectorIhNS0_10empty_typeEEEZZNS1_29radix_sort_onesweep_iterationIS3_Lb1EPKhPhPS5_SB_mNS0_19identity_decomposerENS1_16block_id_wrapperIjLb1EEEEE10hipError_tT1_PNSt15iterator_traitsISG_E10value_typeET2_T3_PNSH_ISM_E10value_typeET4_T5_PSR_SS_PNS1_23onesweep_lookback_stateEbbT6_jjT7_P12ihipStream_tbENKUlT_T0_SG_SL_E_clISA_SA_SB_SB_EEDaSZ_S10_SG_SL_EUlSZ_E_NS1_11comp_targetILNS1_3genE8ELNS1_11target_archE1030ELNS1_3gpuE2ELNS1_3repE0EEENS1_47radix_sort_onesweep_sort_config_static_selectorELNS0_4arch9wavefront6targetE0EEEvSG_
    .private_segment_fixed_size: 0
    .sgpr_count:     0
    .sgpr_spill_count: 0
    .symbol:         _ZN7rocprim17ROCPRIM_400000_NS6detail17trampoline_kernelINS0_14default_configENS1_35radix_sort_onesweep_config_selectorIhNS0_10empty_typeEEEZZNS1_29radix_sort_onesweep_iterationIS3_Lb1EPKhPhPS5_SB_mNS0_19identity_decomposerENS1_16block_id_wrapperIjLb1EEEEE10hipError_tT1_PNSt15iterator_traitsISG_E10value_typeET2_T3_PNSH_ISM_E10value_typeET4_T5_PSR_SS_PNS1_23onesweep_lookback_stateEbbT6_jjT7_P12ihipStream_tbENKUlT_T0_SG_SL_E_clISA_SA_SB_SB_EEDaSZ_S10_SG_SL_EUlSZ_E_NS1_11comp_targetILNS1_3genE8ELNS1_11target_archE1030ELNS1_3gpuE2ELNS1_3repE0EEENS1_47radix_sort_onesweep_sort_config_static_selectorELNS0_4arch9wavefront6targetE0EEEvSG_.kd
    .uniform_work_group_size: 1
    .uses_dynamic_stack: false
    .vgpr_count:     0
    .vgpr_spill_count: 0
    .wavefront_size: 32
  - .args:
      - .offset:         0
        .size:           88
        .value_kind:     by_value
      - .offset:         88
        .size:           4
        .value_kind:     hidden_block_count_x
      - .offset:         92
        .size:           4
        .value_kind:     hidden_block_count_y
      - .offset:         96
        .size:           4
        .value_kind:     hidden_block_count_z
      - .offset:         100
        .size:           2
        .value_kind:     hidden_group_size_x
      - .offset:         102
        .size:           2
        .value_kind:     hidden_group_size_y
      - .offset:         104
        .size:           2
        .value_kind:     hidden_group_size_z
      - .offset:         106
        .size:           2
        .value_kind:     hidden_remainder_x
      - .offset:         108
        .size:           2
        .value_kind:     hidden_remainder_y
      - .offset:         110
        .size:           2
        .value_kind:     hidden_remainder_z
      - .offset:         128
        .size:           8
        .value_kind:     hidden_global_offset_x
      - .offset:         136
        .size:           8
        .value_kind:     hidden_global_offset_y
      - .offset:         144
        .size:           8
        .value_kind:     hidden_global_offset_z
      - .offset:         152
        .size:           2
        .value_kind:     hidden_grid_dims
    .group_segment_fixed_size: 32904
    .kernarg_segment_align: 8
    .kernarg_segment_size: 344
    .language:       OpenCL C
    .language_version:
      - 2
      - 0
    .max_flat_workgroup_size: 1024
    .name:           _ZN7rocprim17ROCPRIM_400000_NS6detail17trampoline_kernelINS0_14default_configENS1_35radix_sort_onesweep_config_selectorIhNS0_10empty_typeEEEZZNS1_29radix_sort_onesweep_iterationIS3_Lb1EPKhPhPS5_SB_mNS0_19identity_decomposerENS1_16block_id_wrapperIjLb0EEEEE10hipError_tT1_PNSt15iterator_traitsISG_E10value_typeET2_T3_PNSH_ISM_E10value_typeET4_T5_PSR_SS_PNS1_23onesweep_lookback_stateEbbT6_jjT7_P12ihipStream_tbENKUlT_T0_SG_SL_E_clIS9_SA_SB_SB_EEDaSZ_S10_SG_SL_EUlSZ_E_NS1_11comp_targetILNS1_3genE0ELNS1_11target_archE4294967295ELNS1_3gpuE0ELNS1_3repE0EEENS1_47radix_sort_onesweep_sort_config_static_selectorELNS0_4arch9wavefront6targetE0EEEvSG_
    .private_segment_fixed_size: 0
    .sgpr_count:     27
    .sgpr_spill_count: 0
    .symbol:         _ZN7rocprim17ROCPRIM_400000_NS6detail17trampoline_kernelINS0_14default_configENS1_35radix_sort_onesweep_config_selectorIhNS0_10empty_typeEEEZZNS1_29radix_sort_onesweep_iterationIS3_Lb1EPKhPhPS5_SB_mNS0_19identity_decomposerENS1_16block_id_wrapperIjLb0EEEEE10hipError_tT1_PNSt15iterator_traitsISG_E10value_typeET2_T3_PNSH_ISM_E10value_typeET4_T5_PSR_SS_PNS1_23onesweep_lookback_stateEbbT6_jjT7_P12ihipStream_tbENKUlT_T0_SG_SL_E_clIS9_SA_SB_SB_EEDaSZ_S10_SG_SL_EUlSZ_E_NS1_11comp_targetILNS1_3genE0ELNS1_11target_archE4294967295ELNS1_3gpuE0ELNS1_3repE0EEENS1_47radix_sort_onesweep_sort_config_static_selectorELNS0_4arch9wavefront6targetE0EEEvSG_.kd
    .uniform_work_group_size: 1
    .uses_dynamic_stack: false
    .vgpr_count:     79
    .vgpr_spill_count: 0
    .wavefront_size: 32
  - .args:
      - .offset:         0
        .size:           88
        .value_kind:     by_value
    .group_segment_fixed_size: 0
    .kernarg_segment_align: 8
    .kernarg_segment_size: 88
    .language:       OpenCL C
    .language_version:
      - 2
      - 0
    .max_flat_workgroup_size: 1024
    .name:           _ZN7rocprim17ROCPRIM_400000_NS6detail17trampoline_kernelINS0_14default_configENS1_35radix_sort_onesweep_config_selectorIhNS0_10empty_typeEEEZZNS1_29radix_sort_onesweep_iterationIS3_Lb1EPKhPhPS5_SB_mNS0_19identity_decomposerENS1_16block_id_wrapperIjLb0EEEEE10hipError_tT1_PNSt15iterator_traitsISG_E10value_typeET2_T3_PNSH_ISM_E10value_typeET4_T5_PSR_SS_PNS1_23onesweep_lookback_stateEbbT6_jjT7_P12ihipStream_tbENKUlT_T0_SG_SL_E_clIS9_SA_SB_SB_EEDaSZ_S10_SG_SL_EUlSZ_E_NS1_11comp_targetILNS1_3genE6ELNS1_11target_archE950ELNS1_3gpuE13ELNS1_3repE0EEENS1_47radix_sort_onesweep_sort_config_static_selectorELNS0_4arch9wavefront6targetE0EEEvSG_
    .private_segment_fixed_size: 0
    .sgpr_count:     0
    .sgpr_spill_count: 0
    .symbol:         _ZN7rocprim17ROCPRIM_400000_NS6detail17trampoline_kernelINS0_14default_configENS1_35radix_sort_onesweep_config_selectorIhNS0_10empty_typeEEEZZNS1_29radix_sort_onesweep_iterationIS3_Lb1EPKhPhPS5_SB_mNS0_19identity_decomposerENS1_16block_id_wrapperIjLb0EEEEE10hipError_tT1_PNSt15iterator_traitsISG_E10value_typeET2_T3_PNSH_ISM_E10value_typeET4_T5_PSR_SS_PNS1_23onesweep_lookback_stateEbbT6_jjT7_P12ihipStream_tbENKUlT_T0_SG_SL_E_clIS9_SA_SB_SB_EEDaSZ_S10_SG_SL_EUlSZ_E_NS1_11comp_targetILNS1_3genE6ELNS1_11target_archE950ELNS1_3gpuE13ELNS1_3repE0EEENS1_47radix_sort_onesweep_sort_config_static_selectorELNS0_4arch9wavefront6targetE0EEEvSG_.kd
    .uniform_work_group_size: 1
    .uses_dynamic_stack: false
    .vgpr_count:     0
    .vgpr_spill_count: 0
    .wavefront_size: 32
  - .args:
      - .offset:         0
        .size:           88
        .value_kind:     by_value
    .group_segment_fixed_size: 0
    .kernarg_segment_align: 8
    .kernarg_segment_size: 88
    .language:       OpenCL C
    .language_version:
      - 2
      - 0
    .max_flat_workgroup_size: 1024
    .name:           _ZN7rocprim17ROCPRIM_400000_NS6detail17trampoline_kernelINS0_14default_configENS1_35radix_sort_onesweep_config_selectorIhNS0_10empty_typeEEEZZNS1_29radix_sort_onesweep_iterationIS3_Lb1EPKhPhPS5_SB_mNS0_19identity_decomposerENS1_16block_id_wrapperIjLb0EEEEE10hipError_tT1_PNSt15iterator_traitsISG_E10value_typeET2_T3_PNSH_ISM_E10value_typeET4_T5_PSR_SS_PNS1_23onesweep_lookback_stateEbbT6_jjT7_P12ihipStream_tbENKUlT_T0_SG_SL_E_clIS9_SA_SB_SB_EEDaSZ_S10_SG_SL_EUlSZ_E_NS1_11comp_targetILNS1_3genE5ELNS1_11target_archE942ELNS1_3gpuE9ELNS1_3repE0EEENS1_47radix_sort_onesweep_sort_config_static_selectorELNS0_4arch9wavefront6targetE0EEEvSG_
    .private_segment_fixed_size: 0
    .sgpr_count:     0
    .sgpr_spill_count: 0
    .symbol:         _ZN7rocprim17ROCPRIM_400000_NS6detail17trampoline_kernelINS0_14default_configENS1_35radix_sort_onesweep_config_selectorIhNS0_10empty_typeEEEZZNS1_29radix_sort_onesweep_iterationIS3_Lb1EPKhPhPS5_SB_mNS0_19identity_decomposerENS1_16block_id_wrapperIjLb0EEEEE10hipError_tT1_PNSt15iterator_traitsISG_E10value_typeET2_T3_PNSH_ISM_E10value_typeET4_T5_PSR_SS_PNS1_23onesweep_lookback_stateEbbT6_jjT7_P12ihipStream_tbENKUlT_T0_SG_SL_E_clIS9_SA_SB_SB_EEDaSZ_S10_SG_SL_EUlSZ_E_NS1_11comp_targetILNS1_3genE5ELNS1_11target_archE942ELNS1_3gpuE9ELNS1_3repE0EEENS1_47radix_sort_onesweep_sort_config_static_selectorELNS0_4arch9wavefront6targetE0EEEvSG_.kd
    .uniform_work_group_size: 1
    .uses_dynamic_stack: false
    .vgpr_count:     0
    .vgpr_spill_count: 0
    .wavefront_size: 32
  - .args:
      - .offset:         0
        .size:           88
        .value_kind:     by_value
    .group_segment_fixed_size: 0
    .kernarg_segment_align: 8
    .kernarg_segment_size: 88
    .language:       OpenCL C
    .language_version:
      - 2
      - 0
    .max_flat_workgroup_size: 512
    .name:           _ZN7rocprim17ROCPRIM_400000_NS6detail17trampoline_kernelINS0_14default_configENS1_35radix_sort_onesweep_config_selectorIhNS0_10empty_typeEEEZZNS1_29radix_sort_onesweep_iterationIS3_Lb1EPKhPhPS5_SB_mNS0_19identity_decomposerENS1_16block_id_wrapperIjLb0EEEEE10hipError_tT1_PNSt15iterator_traitsISG_E10value_typeET2_T3_PNSH_ISM_E10value_typeET4_T5_PSR_SS_PNS1_23onesweep_lookback_stateEbbT6_jjT7_P12ihipStream_tbENKUlT_T0_SG_SL_E_clIS9_SA_SB_SB_EEDaSZ_S10_SG_SL_EUlSZ_E_NS1_11comp_targetILNS1_3genE2ELNS1_11target_archE906ELNS1_3gpuE6ELNS1_3repE0EEENS1_47radix_sort_onesweep_sort_config_static_selectorELNS0_4arch9wavefront6targetE0EEEvSG_
    .private_segment_fixed_size: 0
    .sgpr_count:     0
    .sgpr_spill_count: 0
    .symbol:         _ZN7rocprim17ROCPRIM_400000_NS6detail17trampoline_kernelINS0_14default_configENS1_35radix_sort_onesweep_config_selectorIhNS0_10empty_typeEEEZZNS1_29radix_sort_onesweep_iterationIS3_Lb1EPKhPhPS5_SB_mNS0_19identity_decomposerENS1_16block_id_wrapperIjLb0EEEEE10hipError_tT1_PNSt15iterator_traitsISG_E10value_typeET2_T3_PNSH_ISM_E10value_typeET4_T5_PSR_SS_PNS1_23onesweep_lookback_stateEbbT6_jjT7_P12ihipStream_tbENKUlT_T0_SG_SL_E_clIS9_SA_SB_SB_EEDaSZ_S10_SG_SL_EUlSZ_E_NS1_11comp_targetILNS1_3genE2ELNS1_11target_archE906ELNS1_3gpuE6ELNS1_3repE0EEENS1_47radix_sort_onesweep_sort_config_static_selectorELNS0_4arch9wavefront6targetE0EEEvSG_.kd
    .uniform_work_group_size: 1
    .uses_dynamic_stack: false
    .vgpr_count:     0
    .vgpr_spill_count: 0
    .wavefront_size: 32
  - .args:
      - .offset:         0
        .size:           88
        .value_kind:     by_value
    .group_segment_fixed_size: 0
    .kernarg_segment_align: 8
    .kernarg_segment_size: 88
    .language:       OpenCL C
    .language_version:
      - 2
      - 0
    .max_flat_workgroup_size: 512
    .name:           _ZN7rocprim17ROCPRIM_400000_NS6detail17trampoline_kernelINS0_14default_configENS1_35radix_sort_onesweep_config_selectorIhNS0_10empty_typeEEEZZNS1_29radix_sort_onesweep_iterationIS3_Lb1EPKhPhPS5_SB_mNS0_19identity_decomposerENS1_16block_id_wrapperIjLb0EEEEE10hipError_tT1_PNSt15iterator_traitsISG_E10value_typeET2_T3_PNSH_ISM_E10value_typeET4_T5_PSR_SS_PNS1_23onesweep_lookback_stateEbbT6_jjT7_P12ihipStream_tbENKUlT_T0_SG_SL_E_clIS9_SA_SB_SB_EEDaSZ_S10_SG_SL_EUlSZ_E_NS1_11comp_targetILNS1_3genE4ELNS1_11target_archE910ELNS1_3gpuE8ELNS1_3repE0EEENS1_47radix_sort_onesweep_sort_config_static_selectorELNS0_4arch9wavefront6targetE0EEEvSG_
    .private_segment_fixed_size: 0
    .sgpr_count:     0
    .sgpr_spill_count: 0
    .symbol:         _ZN7rocprim17ROCPRIM_400000_NS6detail17trampoline_kernelINS0_14default_configENS1_35radix_sort_onesweep_config_selectorIhNS0_10empty_typeEEEZZNS1_29radix_sort_onesweep_iterationIS3_Lb1EPKhPhPS5_SB_mNS0_19identity_decomposerENS1_16block_id_wrapperIjLb0EEEEE10hipError_tT1_PNSt15iterator_traitsISG_E10value_typeET2_T3_PNSH_ISM_E10value_typeET4_T5_PSR_SS_PNS1_23onesweep_lookback_stateEbbT6_jjT7_P12ihipStream_tbENKUlT_T0_SG_SL_E_clIS9_SA_SB_SB_EEDaSZ_S10_SG_SL_EUlSZ_E_NS1_11comp_targetILNS1_3genE4ELNS1_11target_archE910ELNS1_3gpuE8ELNS1_3repE0EEENS1_47radix_sort_onesweep_sort_config_static_selectorELNS0_4arch9wavefront6targetE0EEEvSG_.kd
    .uniform_work_group_size: 1
    .uses_dynamic_stack: false
    .vgpr_count:     0
    .vgpr_spill_count: 0
    .wavefront_size: 32
  - .args:
      - .offset:         0
        .size:           88
        .value_kind:     by_value
    .group_segment_fixed_size: 0
    .kernarg_segment_align: 8
    .kernarg_segment_size: 88
    .language:       OpenCL C
    .language_version:
      - 2
      - 0
    .max_flat_workgroup_size: 1024
    .name:           _ZN7rocprim17ROCPRIM_400000_NS6detail17trampoline_kernelINS0_14default_configENS1_35radix_sort_onesweep_config_selectorIhNS0_10empty_typeEEEZZNS1_29radix_sort_onesweep_iterationIS3_Lb1EPKhPhPS5_SB_mNS0_19identity_decomposerENS1_16block_id_wrapperIjLb0EEEEE10hipError_tT1_PNSt15iterator_traitsISG_E10value_typeET2_T3_PNSH_ISM_E10value_typeET4_T5_PSR_SS_PNS1_23onesweep_lookback_stateEbbT6_jjT7_P12ihipStream_tbENKUlT_T0_SG_SL_E_clIS9_SA_SB_SB_EEDaSZ_S10_SG_SL_EUlSZ_E_NS1_11comp_targetILNS1_3genE3ELNS1_11target_archE908ELNS1_3gpuE7ELNS1_3repE0EEENS1_47radix_sort_onesweep_sort_config_static_selectorELNS0_4arch9wavefront6targetE0EEEvSG_
    .private_segment_fixed_size: 0
    .sgpr_count:     0
    .sgpr_spill_count: 0
    .symbol:         _ZN7rocprim17ROCPRIM_400000_NS6detail17trampoline_kernelINS0_14default_configENS1_35radix_sort_onesweep_config_selectorIhNS0_10empty_typeEEEZZNS1_29radix_sort_onesweep_iterationIS3_Lb1EPKhPhPS5_SB_mNS0_19identity_decomposerENS1_16block_id_wrapperIjLb0EEEEE10hipError_tT1_PNSt15iterator_traitsISG_E10value_typeET2_T3_PNSH_ISM_E10value_typeET4_T5_PSR_SS_PNS1_23onesweep_lookback_stateEbbT6_jjT7_P12ihipStream_tbENKUlT_T0_SG_SL_E_clIS9_SA_SB_SB_EEDaSZ_S10_SG_SL_EUlSZ_E_NS1_11comp_targetILNS1_3genE3ELNS1_11target_archE908ELNS1_3gpuE7ELNS1_3repE0EEENS1_47radix_sort_onesweep_sort_config_static_selectorELNS0_4arch9wavefront6targetE0EEEvSG_.kd
    .uniform_work_group_size: 1
    .uses_dynamic_stack: false
    .vgpr_count:     0
    .vgpr_spill_count: 0
    .wavefront_size: 32
  - .args:
      - .offset:         0
        .size:           88
        .value_kind:     by_value
    .group_segment_fixed_size: 0
    .kernarg_segment_align: 8
    .kernarg_segment_size: 88
    .language:       OpenCL C
    .language_version:
      - 2
      - 0
    .max_flat_workgroup_size: 256
    .name:           _ZN7rocprim17ROCPRIM_400000_NS6detail17trampoline_kernelINS0_14default_configENS1_35radix_sort_onesweep_config_selectorIhNS0_10empty_typeEEEZZNS1_29radix_sort_onesweep_iterationIS3_Lb1EPKhPhPS5_SB_mNS0_19identity_decomposerENS1_16block_id_wrapperIjLb0EEEEE10hipError_tT1_PNSt15iterator_traitsISG_E10value_typeET2_T3_PNSH_ISM_E10value_typeET4_T5_PSR_SS_PNS1_23onesweep_lookback_stateEbbT6_jjT7_P12ihipStream_tbENKUlT_T0_SG_SL_E_clIS9_SA_SB_SB_EEDaSZ_S10_SG_SL_EUlSZ_E_NS1_11comp_targetILNS1_3genE10ELNS1_11target_archE1201ELNS1_3gpuE5ELNS1_3repE0EEENS1_47radix_sort_onesweep_sort_config_static_selectorELNS0_4arch9wavefront6targetE0EEEvSG_
    .private_segment_fixed_size: 0
    .sgpr_count:     0
    .sgpr_spill_count: 0
    .symbol:         _ZN7rocprim17ROCPRIM_400000_NS6detail17trampoline_kernelINS0_14default_configENS1_35radix_sort_onesweep_config_selectorIhNS0_10empty_typeEEEZZNS1_29radix_sort_onesweep_iterationIS3_Lb1EPKhPhPS5_SB_mNS0_19identity_decomposerENS1_16block_id_wrapperIjLb0EEEEE10hipError_tT1_PNSt15iterator_traitsISG_E10value_typeET2_T3_PNSH_ISM_E10value_typeET4_T5_PSR_SS_PNS1_23onesweep_lookback_stateEbbT6_jjT7_P12ihipStream_tbENKUlT_T0_SG_SL_E_clIS9_SA_SB_SB_EEDaSZ_S10_SG_SL_EUlSZ_E_NS1_11comp_targetILNS1_3genE10ELNS1_11target_archE1201ELNS1_3gpuE5ELNS1_3repE0EEENS1_47radix_sort_onesweep_sort_config_static_selectorELNS0_4arch9wavefront6targetE0EEEvSG_.kd
    .uniform_work_group_size: 1
    .uses_dynamic_stack: false
    .vgpr_count:     0
    .vgpr_spill_count: 0
    .wavefront_size: 32
  - .args:
      - .offset:         0
        .size:           88
        .value_kind:     by_value
    .group_segment_fixed_size: 0
    .kernarg_segment_align: 8
    .kernarg_segment_size: 88
    .language:       OpenCL C
    .language_version:
      - 2
      - 0
    .max_flat_workgroup_size: 256
    .name:           _ZN7rocprim17ROCPRIM_400000_NS6detail17trampoline_kernelINS0_14default_configENS1_35radix_sort_onesweep_config_selectorIhNS0_10empty_typeEEEZZNS1_29radix_sort_onesweep_iterationIS3_Lb1EPKhPhPS5_SB_mNS0_19identity_decomposerENS1_16block_id_wrapperIjLb0EEEEE10hipError_tT1_PNSt15iterator_traitsISG_E10value_typeET2_T3_PNSH_ISM_E10value_typeET4_T5_PSR_SS_PNS1_23onesweep_lookback_stateEbbT6_jjT7_P12ihipStream_tbENKUlT_T0_SG_SL_E_clIS9_SA_SB_SB_EEDaSZ_S10_SG_SL_EUlSZ_E_NS1_11comp_targetILNS1_3genE9ELNS1_11target_archE1100ELNS1_3gpuE3ELNS1_3repE0EEENS1_47radix_sort_onesweep_sort_config_static_selectorELNS0_4arch9wavefront6targetE0EEEvSG_
    .private_segment_fixed_size: 0
    .sgpr_count:     0
    .sgpr_spill_count: 0
    .symbol:         _ZN7rocprim17ROCPRIM_400000_NS6detail17trampoline_kernelINS0_14default_configENS1_35radix_sort_onesweep_config_selectorIhNS0_10empty_typeEEEZZNS1_29radix_sort_onesweep_iterationIS3_Lb1EPKhPhPS5_SB_mNS0_19identity_decomposerENS1_16block_id_wrapperIjLb0EEEEE10hipError_tT1_PNSt15iterator_traitsISG_E10value_typeET2_T3_PNSH_ISM_E10value_typeET4_T5_PSR_SS_PNS1_23onesweep_lookback_stateEbbT6_jjT7_P12ihipStream_tbENKUlT_T0_SG_SL_E_clIS9_SA_SB_SB_EEDaSZ_S10_SG_SL_EUlSZ_E_NS1_11comp_targetILNS1_3genE9ELNS1_11target_archE1100ELNS1_3gpuE3ELNS1_3repE0EEENS1_47radix_sort_onesweep_sort_config_static_selectorELNS0_4arch9wavefront6targetE0EEEvSG_.kd
    .uniform_work_group_size: 1
    .uses_dynamic_stack: false
    .vgpr_count:     0
    .vgpr_spill_count: 0
    .wavefront_size: 32
  - .args:
      - .offset:         0
        .size:           88
        .value_kind:     by_value
    .group_segment_fixed_size: 0
    .kernarg_segment_align: 8
    .kernarg_segment_size: 88
    .language:       OpenCL C
    .language_version:
      - 2
      - 0
    .max_flat_workgroup_size: 256
    .name:           _ZN7rocprim17ROCPRIM_400000_NS6detail17trampoline_kernelINS0_14default_configENS1_35radix_sort_onesweep_config_selectorIhNS0_10empty_typeEEEZZNS1_29radix_sort_onesweep_iterationIS3_Lb1EPKhPhPS5_SB_mNS0_19identity_decomposerENS1_16block_id_wrapperIjLb0EEEEE10hipError_tT1_PNSt15iterator_traitsISG_E10value_typeET2_T3_PNSH_ISM_E10value_typeET4_T5_PSR_SS_PNS1_23onesweep_lookback_stateEbbT6_jjT7_P12ihipStream_tbENKUlT_T0_SG_SL_E_clIS9_SA_SB_SB_EEDaSZ_S10_SG_SL_EUlSZ_E_NS1_11comp_targetILNS1_3genE8ELNS1_11target_archE1030ELNS1_3gpuE2ELNS1_3repE0EEENS1_47radix_sort_onesweep_sort_config_static_selectorELNS0_4arch9wavefront6targetE0EEEvSG_
    .private_segment_fixed_size: 0
    .sgpr_count:     0
    .sgpr_spill_count: 0
    .symbol:         _ZN7rocprim17ROCPRIM_400000_NS6detail17trampoline_kernelINS0_14default_configENS1_35radix_sort_onesweep_config_selectorIhNS0_10empty_typeEEEZZNS1_29radix_sort_onesweep_iterationIS3_Lb1EPKhPhPS5_SB_mNS0_19identity_decomposerENS1_16block_id_wrapperIjLb0EEEEE10hipError_tT1_PNSt15iterator_traitsISG_E10value_typeET2_T3_PNSH_ISM_E10value_typeET4_T5_PSR_SS_PNS1_23onesweep_lookback_stateEbbT6_jjT7_P12ihipStream_tbENKUlT_T0_SG_SL_E_clIS9_SA_SB_SB_EEDaSZ_S10_SG_SL_EUlSZ_E_NS1_11comp_targetILNS1_3genE8ELNS1_11target_archE1030ELNS1_3gpuE2ELNS1_3repE0EEENS1_47radix_sort_onesweep_sort_config_static_selectorELNS0_4arch9wavefront6targetE0EEEvSG_.kd
    .uniform_work_group_size: 1
    .uses_dynamic_stack: false
    .vgpr_count:     0
    .vgpr_spill_count: 0
    .wavefront_size: 32
  - .args:
      - .offset:         0
        .size:           88
        .value_kind:     by_value
      - .offset:         88
        .size:           4
        .value_kind:     hidden_block_count_x
      - .offset:         92
        .size:           4
        .value_kind:     hidden_block_count_y
      - .offset:         96
        .size:           4
        .value_kind:     hidden_block_count_z
      - .offset:         100
        .size:           2
        .value_kind:     hidden_group_size_x
      - .offset:         102
        .size:           2
        .value_kind:     hidden_group_size_y
      - .offset:         104
        .size:           2
        .value_kind:     hidden_group_size_z
      - .offset:         106
        .size:           2
        .value_kind:     hidden_remainder_x
      - .offset:         108
        .size:           2
        .value_kind:     hidden_remainder_y
      - .offset:         110
        .size:           2
        .value_kind:     hidden_remainder_z
      - .offset:         128
        .size:           8
        .value_kind:     hidden_global_offset_x
      - .offset:         136
        .size:           8
        .value_kind:     hidden_global_offset_y
      - .offset:         144
        .size:           8
        .value_kind:     hidden_global_offset_z
      - .offset:         152
        .size:           2
        .value_kind:     hidden_grid_dims
    .group_segment_fixed_size: 32904
    .kernarg_segment_align: 8
    .kernarg_segment_size: 344
    .language:       OpenCL C
    .language_version:
      - 2
      - 0
    .max_flat_workgroup_size: 1024
    .name:           _ZN7rocprim17ROCPRIM_400000_NS6detail17trampoline_kernelINS0_14default_configENS1_35radix_sort_onesweep_config_selectorIhNS0_10empty_typeEEEZZNS1_29radix_sort_onesweep_iterationIS3_Lb1EPKhPhPS5_SB_mNS0_19identity_decomposerENS1_16block_id_wrapperIjLb0EEEEE10hipError_tT1_PNSt15iterator_traitsISG_E10value_typeET2_T3_PNSH_ISM_E10value_typeET4_T5_PSR_SS_PNS1_23onesweep_lookback_stateEbbT6_jjT7_P12ihipStream_tbENKUlT_T0_SG_SL_E_clISA_SA_SB_SB_EEDaSZ_S10_SG_SL_EUlSZ_E_NS1_11comp_targetILNS1_3genE0ELNS1_11target_archE4294967295ELNS1_3gpuE0ELNS1_3repE0EEENS1_47radix_sort_onesweep_sort_config_static_selectorELNS0_4arch9wavefront6targetE0EEEvSG_
    .private_segment_fixed_size: 0
    .sgpr_count:     27
    .sgpr_spill_count: 0
    .symbol:         _ZN7rocprim17ROCPRIM_400000_NS6detail17trampoline_kernelINS0_14default_configENS1_35radix_sort_onesweep_config_selectorIhNS0_10empty_typeEEEZZNS1_29radix_sort_onesweep_iterationIS3_Lb1EPKhPhPS5_SB_mNS0_19identity_decomposerENS1_16block_id_wrapperIjLb0EEEEE10hipError_tT1_PNSt15iterator_traitsISG_E10value_typeET2_T3_PNSH_ISM_E10value_typeET4_T5_PSR_SS_PNS1_23onesweep_lookback_stateEbbT6_jjT7_P12ihipStream_tbENKUlT_T0_SG_SL_E_clISA_SA_SB_SB_EEDaSZ_S10_SG_SL_EUlSZ_E_NS1_11comp_targetILNS1_3genE0ELNS1_11target_archE4294967295ELNS1_3gpuE0ELNS1_3repE0EEENS1_47radix_sort_onesweep_sort_config_static_selectorELNS0_4arch9wavefront6targetE0EEEvSG_.kd
    .uniform_work_group_size: 1
    .uses_dynamic_stack: false
    .vgpr_count:     79
    .vgpr_spill_count: 0
    .wavefront_size: 32
  - .args:
      - .offset:         0
        .size:           88
        .value_kind:     by_value
    .group_segment_fixed_size: 0
    .kernarg_segment_align: 8
    .kernarg_segment_size: 88
    .language:       OpenCL C
    .language_version:
      - 2
      - 0
    .max_flat_workgroup_size: 1024
    .name:           _ZN7rocprim17ROCPRIM_400000_NS6detail17trampoline_kernelINS0_14default_configENS1_35radix_sort_onesweep_config_selectorIhNS0_10empty_typeEEEZZNS1_29radix_sort_onesweep_iterationIS3_Lb1EPKhPhPS5_SB_mNS0_19identity_decomposerENS1_16block_id_wrapperIjLb0EEEEE10hipError_tT1_PNSt15iterator_traitsISG_E10value_typeET2_T3_PNSH_ISM_E10value_typeET4_T5_PSR_SS_PNS1_23onesweep_lookback_stateEbbT6_jjT7_P12ihipStream_tbENKUlT_T0_SG_SL_E_clISA_SA_SB_SB_EEDaSZ_S10_SG_SL_EUlSZ_E_NS1_11comp_targetILNS1_3genE6ELNS1_11target_archE950ELNS1_3gpuE13ELNS1_3repE0EEENS1_47radix_sort_onesweep_sort_config_static_selectorELNS0_4arch9wavefront6targetE0EEEvSG_
    .private_segment_fixed_size: 0
    .sgpr_count:     0
    .sgpr_spill_count: 0
    .symbol:         _ZN7rocprim17ROCPRIM_400000_NS6detail17trampoline_kernelINS0_14default_configENS1_35radix_sort_onesweep_config_selectorIhNS0_10empty_typeEEEZZNS1_29radix_sort_onesweep_iterationIS3_Lb1EPKhPhPS5_SB_mNS0_19identity_decomposerENS1_16block_id_wrapperIjLb0EEEEE10hipError_tT1_PNSt15iterator_traitsISG_E10value_typeET2_T3_PNSH_ISM_E10value_typeET4_T5_PSR_SS_PNS1_23onesweep_lookback_stateEbbT6_jjT7_P12ihipStream_tbENKUlT_T0_SG_SL_E_clISA_SA_SB_SB_EEDaSZ_S10_SG_SL_EUlSZ_E_NS1_11comp_targetILNS1_3genE6ELNS1_11target_archE950ELNS1_3gpuE13ELNS1_3repE0EEENS1_47radix_sort_onesweep_sort_config_static_selectorELNS0_4arch9wavefront6targetE0EEEvSG_.kd
    .uniform_work_group_size: 1
    .uses_dynamic_stack: false
    .vgpr_count:     0
    .vgpr_spill_count: 0
    .wavefront_size: 32
  - .args:
      - .offset:         0
        .size:           88
        .value_kind:     by_value
    .group_segment_fixed_size: 0
    .kernarg_segment_align: 8
    .kernarg_segment_size: 88
    .language:       OpenCL C
    .language_version:
      - 2
      - 0
    .max_flat_workgroup_size: 1024
    .name:           _ZN7rocprim17ROCPRIM_400000_NS6detail17trampoline_kernelINS0_14default_configENS1_35radix_sort_onesweep_config_selectorIhNS0_10empty_typeEEEZZNS1_29radix_sort_onesweep_iterationIS3_Lb1EPKhPhPS5_SB_mNS0_19identity_decomposerENS1_16block_id_wrapperIjLb0EEEEE10hipError_tT1_PNSt15iterator_traitsISG_E10value_typeET2_T3_PNSH_ISM_E10value_typeET4_T5_PSR_SS_PNS1_23onesweep_lookback_stateEbbT6_jjT7_P12ihipStream_tbENKUlT_T0_SG_SL_E_clISA_SA_SB_SB_EEDaSZ_S10_SG_SL_EUlSZ_E_NS1_11comp_targetILNS1_3genE5ELNS1_11target_archE942ELNS1_3gpuE9ELNS1_3repE0EEENS1_47radix_sort_onesweep_sort_config_static_selectorELNS0_4arch9wavefront6targetE0EEEvSG_
    .private_segment_fixed_size: 0
    .sgpr_count:     0
    .sgpr_spill_count: 0
    .symbol:         _ZN7rocprim17ROCPRIM_400000_NS6detail17trampoline_kernelINS0_14default_configENS1_35radix_sort_onesweep_config_selectorIhNS0_10empty_typeEEEZZNS1_29radix_sort_onesweep_iterationIS3_Lb1EPKhPhPS5_SB_mNS0_19identity_decomposerENS1_16block_id_wrapperIjLb0EEEEE10hipError_tT1_PNSt15iterator_traitsISG_E10value_typeET2_T3_PNSH_ISM_E10value_typeET4_T5_PSR_SS_PNS1_23onesweep_lookback_stateEbbT6_jjT7_P12ihipStream_tbENKUlT_T0_SG_SL_E_clISA_SA_SB_SB_EEDaSZ_S10_SG_SL_EUlSZ_E_NS1_11comp_targetILNS1_3genE5ELNS1_11target_archE942ELNS1_3gpuE9ELNS1_3repE0EEENS1_47radix_sort_onesweep_sort_config_static_selectorELNS0_4arch9wavefront6targetE0EEEvSG_.kd
    .uniform_work_group_size: 1
    .uses_dynamic_stack: false
    .vgpr_count:     0
    .vgpr_spill_count: 0
    .wavefront_size: 32
  - .args:
      - .offset:         0
        .size:           88
        .value_kind:     by_value
    .group_segment_fixed_size: 0
    .kernarg_segment_align: 8
    .kernarg_segment_size: 88
    .language:       OpenCL C
    .language_version:
      - 2
      - 0
    .max_flat_workgroup_size: 512
    .name:           _ZN7rocprim17ROCPRIM_400000_NS6detail17trampoline_kernelINS0_14default_configENS1_35radix_sort_onesweep_config_selectorIhNS0_10empty_typeEEEZZNS1_29radix_sort_onesweep_iterationIS3_Lb1EPKhPhPS5_SB_mNS0_19identity_decomposerENS1_16block_id_wrapperIjLb0EEEEE10hipError_tT1_PNSt15iterator_traitsISG_E10value_typeET2_T3_PNSH_ISM_E10value_typeET4_T5_PSR_SS_PNS1_23onesweep_lookback_stateEbbT6_jjT7_P12ihipStream_tbENKUlT_T0_SG_SL_E_clISA_SA_SB_SB_EEDaSZ_S10_SG_SL_EUlSZ_E_NS1_11comp_targetILNS1_3genE2ELNS1_11target_archE906ELNS1_3gpuE6ELNS1_3repE0EEENS1_47radix_sort_onesweep_sort_config_static_selectorELNS0_4arch9wavefront6targetE0EEEvSG_
    .private_segment_fixed_size: 0
    .sgpr_count:     0
    .sgpr_spill_count: 0
    .symbol:         _ZN7rocprim17ROCPRIM_400000_NS6detail17trampoline_kernelINS0_14default_configENS1_35radix_sort_onesweep_config_selectorIhNS0_10empty_typeEEEZZNS1_29radix_sort_onesweep_iterationIS3_Lb1EPKhPhPS5_SB_mNS0_19identity_decomposerENS1_16block_id_wrapperIjLb0EEEEE10hipError_tT1_PNSt15iterator_traitsISG_E10value_typeET2_T3_PNSH_ISM_E10value_typeET4_T5_PSR_SS_PNS1_23onesweep_lookback_stateEbbT6_jjT7_P12ihipStream_tbENKUlT_T0_SG_SL_E_clISA_SA_SB_SB_EEDaSZ_S10_SG_SL_EUlSZ_E_NS1_11comp_targetILNS1_3genE2ELNS1_11target_archE906ELNS1_3gpuE6ELNS1_3repE0EEENS1_47radix_sort_onesweep_sort_config_static_selectorELNS0_4arch9wavefront6targetE0EEEvSG_.kd
    .uniform_work_group_size: 1
    .uses_dynamic_stack: false
    .vgpr_count:     0
    .vgpr_spill_count: 0
    .wavefront_size: 32
  - .args:
      - .offset:         0
        .size:           88
        .value_kind:     by_value
    .group_segment_fixed_size: 0
    .kernarg_segment_align: 8
    .kernarg_segment_size: 88
    .language:       OpenCL C
    .language_version:
      - 2
      - 0
    .max_flat_workgroup_size: 512
    .name:           _ZN7rocprim17ROCPRIM_400000_NS6detail17trampoline_kernelINS0_14default_configENS1_35radix_sort_onesweep_config_selectorIhNS0_10empty_typeEEEZZNS1_29radix_sort_onesweep_iterationIS3_Lb1EPKhPhPS5_SB_mNS0_19identity_decomposerENS1_16block_id_wrapperIjLb0EEEEE10hipError_tT1_PNSt15iterator_traitsISG_E10value_typeET2_T3_PNSH_ISM_E10value_typeET4_T5_PSR_SS_PNS1_23onesweep_lookback_stateEbbT6_jjT7_P12ihipStream_tbENKUlT_T0_SG_SL_E_clISA_SA_SB_SB_EEDaSZ_S10_SG_SL_EUlSZ_E_NS1_11comp_targetILNS1_3genE4ELNS1_11target_archE910ELNS1_3gpuE8ELNS1_3repE0EEENS1_47radix_sort_onesweep_sort_config_static_selectorELNS0_4arch9wavefront6targetE0EEEvSG_
    .private_segment_fixed_size: 0
    .sgpr_count:     0
    .sgpr_spill_count: 0
    .symbol:         _ZN7rocprim17ROCPRIM_400000_NS6detail17trampoline_kernelINS0_14default_configENS1_35radix_sort_onesweep_config_selectorIhNS0_10empty_typeEEEZZNS1_29radix_sort_onesweep_iterationIS3_Lb1EPKhPhPS5_SB_mNS0_19identity_decomposerENS1_16block_id_wrapperIjLb0EEEEE10hipError_tT1_PNSt15iterator_traitsISG_E10value_typeET2_T3_PNSH_ISM_E10value_typeET4_T5_PSR_SS_PNS1_23onesweep_lookback_stateEbbT6_jjT7_P12ihipStream_tbENKUlT_T0_SG_SL_E_clISA_SA_SB_SB_EEDaSZ_S10_SG_SL_EUlSZ_E_NS1_11comp_targetILNS1_3genE4ELNS1_11target_archE910ELNS1_3gpuE8ELNS1_3repE0EEENS1_47radix_sort_onesweep_sort_config_static_selectorELNS0_4arch9wavefront6targetE0EEEvSG_.kd
    .uniform_work_group_size: 1
    .uses_dynamic_stack: false
    .vgpr_count:     0
    .vgpr_spill_count: 0
    .wavefront_size: 32
  - .args:
      - .offset:         0
        .size:           88
        .value_kind:     by_value
    .group_segment_fixed_size: 0
    .kernarg_segment_align: 8
    .kernarg_segment_size: 88
    .language:       OpenCL C
    .language_version:
      - 2
      - 0
    .max_flat_workgroup_size: 1024
    .name:           _ZN7rocprim17ROCPRIM_400000_NS6detail17trampoline_kernelINS0_14default_configENS1_35radix_sort_onesweep_config_selectorIhNS0_10empty_typeEEEZZNS1_29radix_sort_onesweep_iterationIS3_Lb1EPKhPhPS5_SB_mNS0_19identity_decomposerENS1_16block_id_wrapperIjLb0EEEEE10hipError_tT1_PNSt15iterator_traitsISG_E10value_typeET2_T3_PNSH_ISM_E10value_typeET4_T5_PSR_SS_PNS1_23onesweep_lookback_stateEbbT6_jjT7_P12ihipStream_tbENKUlT_T0_SG_SL_E_clISA_SA_SB_SB_EEDaSZ_S10_SG_SL_EUlSZ_E_NS1_11comp_targetILNS1_3genE3ELNS1_11target_archE908ELNS1_3gpuE7ELNS1_3repE0EEENS1_47radix_sort_onesweep_sort_config_static_selectorELNS0_4arch9wavefront6targetE0EEEvSG_
    .private_segment_fixed_size: 0
    .sgpr_count:     0
    .sgpr_spill_count: 0
    .symbol:         _ZN7rocprim17ROCPRIM_400000_NS6detail17trampoline_kernelINS0_14default_configENS1_35radix_sort_onesweep_config_selectorIhNS0_10empty_typeEEEZZNS1_29radix_sort_onesweep_iterationIS3_Lb1EPKhPhPS5_SB_mNS0_19identity_decomposerENS1_16block_id_wrapperIjLb0EEEEE10hipError_tT1_PNSt15iterator_traitsISG_E10value_typeET2_T3_PNSH_ISM_E10value_typeET4_T5_PSR_SS_PNS1_23onesweep_lookback_stateEbbT6_jjT7_P12ihipStream_tbENKUlT_T0_SG_SL_E_clISA_SA_SB_SB_EEDaSZ_S10_SG_SL_EUlSZ_E_NS1_11comp_targetILNS1_3genE3ELNS1_11target_archE908ELNS1_3gpuE7ELNS1_3repE0EEENS1_47radix_sort_onesweep_sort_config_static_selectorELNS0_4arch9wavefront6targetE0EEEvSG_.kd
    .uniform_work_group_size: 1
    .uses_dynamic_stack: false
    .vgpr_count:     0
    .vgpr_spill_count: 0
    .wavefront_size: 32
  - .args:
      - .offset:         0
        .size:           88
        .value_kind:     by_value
    .group_segment_fixed_size: 0
    .kernarg_segment_align: 8
    .kernarg_segment_size: 88
    .language:       OpenCL C
    .language_version:
      - 2
      - 0
    .max_flat_workgroup_size: 256
    .name:           _ZN7rocprim17ROCPRIM_400000_NS6detail17trampoline_kernelINS0_14default_configENS1_35radix_sort_onesweep_config_selectorIhNS0_10empty_typeEEEZZNS1_29radix_sort_onesweep_iterationIS3_Lb1EPKhPhPS5_SB_mNS0_19identity_decomposerENS1_16block_id_wrapperIjLb0EEEEE10hipError_tT1_PNSt15iterator_traitsISG_E10value_typeET2_T3_PNSH_ISM_E10value_typeET4_T5_PSR_SS_PNS1_23onesweep_lookback_stateEbbT6_jjT7_P12ihipStream_tbENKUlT_T0_SG_SL_E_clISA_SA_SB_SB_EEDaSZ_S10_SG_SL_EUlSZ_E_NS1_11comp_targetILNS1_3genE10ELNS1_11target_archE1201ELNS1_3gpuE5ELNS1_3repE0EEENS1_47radix_sort_onesweep_sort_config_static_selectorELNS0_4arch9wavefront6targetE0EEEvSG_
    .private_segment_fixed_size: 0
    .sgpr_count:     0
    .sgpr_spill_count: 0
    .symbol:         _ZN7rocprim17ROCPRIM_400000_NS6detail17trampoline_kernelINS0_14default_configENS1_35radix_sort_onesweep_config_selectorIhNS0_10empty_typeEEEZZNS1_29radix_sort_onesweep_iterationIS3_Lb1EPKhPhPS5_SB_mNS0_19identity_decomposerENS1_16block_id_wrapperIjLb0EEEEE10hipError_tT1_PNSt15iterator_traitsISG_E10value_typeET2_T3_PNSH_ISM_E10value_typeET4_T5_PSR_SS_PNS1_23onesweep_lookback_stateEbbT6_jjT7_P12ihipStream_tbENKUlT_T0_SG_SL_E_clISA_SA_SB_SB_EEDaSZ_S10_SG_SL_EUlSZ_E_NS1_11comp_targetILNS1_3genE10ELNS1_11target_archE1201ELNS1_3gpuE5ELNS1_3repE0EEENS1_47radix_sort_onesweep_sort_config_static_selectorELNS0_4arch9wavefront6targetE0EEEvSG_.kd
    .uniform_work_group_size: 1
    .uses_dynamic_stack: false
    .vgpr_count:     0
    .vgpr_spill_count: 0
    .wavefront_size: 32
  - .args:
      - .offset:         0
        .size:           88
        .value_kind:     by_value
    .group_segment_fixed_size: 0
    .kernarg_segment_align: 8
    .kernarg_segment_size: 88
    .language:       OpenCL C
    .language_version:
      - 2
      - 0
    .max_flat_workgroup_size: 256
    .name:           _ZN7rocprim17ROCPRIM_400000_NS6detail17trampoline_kernelINS0_14default_configENS1_35radix_sort_onesweep_config_selectorIhNS0_10empty_typeEEEZZNS1_29radix_sort_onesweep_iterationIS3_Lb1EPKhPhPS5_SB_mNS0_19identity_decomposerENS1_16block_id_wrapperIjLb0EEEEE10hipError_tT1_PNSt15iterator_traitsISG_E10value_typeET2_T3_PNSH_ISM_E10value_typeET4_T5_PSR_SS_PNS1_23onesweep_lookback_stateEbbT6_jjT7_P12ihipStream_tbENKUlT_T0_SG_SL_E_clISA_SA_SB_SB_EEDaSZ_S10_SG_SL_EUlSZ_E_NS1_11comp_targetILNS1_3genE9ELNS1_11target_archE1100ELNS1_3gpuE3ELNS1_3repE0EEENS1_47radix_sort_onesweep_sort_config_static_selectorELNS0_4arch9wavefront6targetE0EEEvSG_
    .private_segment_fixed_size: 0
    .sgpr_count:     0
    .sgpr_spill_count: 0
    .symbol:         _ZN7rocprim17ROCPRIM_400000_NS6detail17trampoline_kernelINS0_14default_configENS1_35radix_sort_onesweep_config_selectorIhNS0_10empty_typeEEEZZNS1_29radix_sort_onesweep_iterationIS3_Lb1EPKhPhPS5_SB_mNS0_19identity_decomposerENS1_16block_id_wrapperIjLb0EEEEE10hipError_tT1_PNSt15iterator_traitsISG_E10value_typeET2_T3_PNSH_ISM_E10value_typeET4_T5_PSR_SS_PNS1_23onesweep_lookback_stateEbbT6_jjT7_P12ihipStream_tbENKUlT_T0_SG_SL_E_clISA_SA_SB_SB_EEDaSZ_S10_SG_SL_EUlSZ_E_NS1_11comp_targetILNS1_3genE9ELNS1_11target_archE1100ELNS1_3gpuE3ELNS1_3repE0EEENS1_47radix_sort_onesweep_sort_config_static_selectorELNS0_4arch9wavefront6targetE0EEEvSG_.kd
    .uniform_work_group_size: 1
    .uses_dynamic_stack: false
    .vgpr_count:     0
    .vgpr_spill_count: 0
    .wavefront_size: 32
  - .args:
      - .offset:         0
        .size:           88
        .value_kind:     by_value
    .group_segment_fixed_size: 0
    .kernarg_segment_align: 8
    .kernarg_segment_size: 88
    .language:       OpenCL C
    .language_version:
      - 2
      - 0
    .max_flat_workgroup_size: 256
    .name:           _ZN7rocprim17ROCPRIM_400000_NS6detail17trampoline_kernelINS0_14default_configENS1_35radix_sort_onesweep_config_selectorIhNS0_10empty_typeEEEZZNS1_29radix_sort_onesweep_iterationIS3_Lb1EPKhPhPS5_SB_mNS0_19identity_decomposerENS1_16block_id_wrapperIjLb0EEEEE10hipError_tT1_PNSt15iterator_traitsISG_E10value_typeET2_T3_PNSH_ISM_E10value_typeET4_T5_PSR_SS_PNS1_23onesweep_lookback_stateEbbT6_jjT7_P12ihipStream_tbENKUlT_T0_SG_SL_E_clISA_SA_SB_SB_EEDaSZ_S10_SG_SL_EUlSZ_E_NS1_11comp_targetILNS1_3genE8ELNS1_11target_archE1030ELNS1_3gpuE2ELNS1_3repE0EEENS1_47radix_sort_onesweep_sort_config_static_selectorELNS0_4arch9wavefront6targetE0EEEvSG_
    .private_segment_fixed_size: 0
    .sgpr_count:     0
    .sgpr_spill_count: 0
    .symbol:         _ZN7rocprim17ROCPRIM_400000_NS6detail17trampoline_kernelINS0_14default_configENS1_35radix_sort_onesweep_config_selectorIhNS0_10empty_typeEEEZZNS1_29radix_sort_onesweep_iterationIS3_Lb1EPKhPhPS5_SB_mNS0_19identity_decomposerENS1_16block_id_wrapperIjLb0EEEEE10hipError_tT1_PNSt15iterator_traitsISG_E10value_typeET2_T3_PNSH_ISM_E10value_typeET4_T5_PSR_SS_PNS1_23onesweep_lookback_stateEbbT6_jjT7_P12ihipStream_tbENKUlT_T0_SG_SL_E_clISA_SA_SB_SB_EEDaSZ_S10_SG_SL_EUlSZ_E_NS1_11comp_targetILNS1_3genE8ELNS1_11target_archE1030ELNS1_3gpuE2ELNS1_3repE0EEENS1_47radix_sort_onesweep_sort_config_static_selectorELNS0_4arch9wavefront6targetE0EEEvSG_.kd
    .uniform_work_group_size: 1
    .uses_dynamic_stack: false
    .vgpr_count:     0
    .vgpr_spill_count: 0
    .wavefront_size: 32
  - .args:
      - .offset:         0
        .size:           48
        .value_kind:     by_value
      - .offset:         48
        .size:           4
        .value_kind:     hidden_block_count_x
      - .offset:         52
        .size:           4
        .value_kind:     hidden_block_count_y
      - .offset:         56
        .size:           4
        .value_kind:     hidden_block_count_z
      - .offset:         60
        .size:           2
        .value_kind:     hidden_group_size_x
      - .offset:         62
        .size:           2
        .value_kind:     hidden_group_size_y
      - .offset:         64
        .size:           2
        .value_kind:     hidden_group_size_z
      - .offset:         66
        .size:           2
        .value_kind:     hidden_remainder_x
      - .offset:         68
        .size:           2
        .value_kind:     hidden_remainder_y
      - .offset:         70
        .size:           2
        .value_kind:     hidden_remainder_z
      - .offset:         88
        .size:           8
        .value_kind:     hidden_global_offset_x
      - .offset:         96
        .size:           8
        .value_kind:     hidden_global_offset_y
      - .offset:         104
        .size:           8
        .value_kind:     hidden_global_offset_z
      - .offset:         112
        .size:           2
        .value_kind:     hidden_grid_dims
    .group_segment_fixed_size: 8224
    .kernarg_segment_align: 8
    .kernarg_segment_size: 304
    .language:       OpenCL C
    .language_version:
      - 2
      - 0
    .max_flat_workgroup_size: 256
    .name:           _ZN7rocprim17ROCPRIM_400000_NS6detail17trampoline_kernelINS0_13kernel_configILj256ELj4ELj4294967295EEENS1_37radix_sort_block_sort_config_selectorIhNS0_10empty_typeEEEZNS1_21radix_sort_block_sortIS4_Lb0EPKhPhPS6_SC_NS0_19identity_decomposerEEE10hipError_tT1_T2_T3_T4_jRjT5_jjP12ihipStream_tbEUlT_E_NS1_11comp_targetILNS1_3genE0ELNS1_11target_archE4294967295ELNS1_3gpuE0ELNS1_3repE0EEENS1_44radix_sort_block_sort_config_static_selectorELNS0_4arch9wavefront6targetE0EEEvSF_
    .private_segment_fixed_size: 0
    .sgpr_count:     31
    .sgpr_spill_count: 0
    .symbol:         _ZN7rocprim17ROCPRIM_400000_NS6detail17trampoline_kernelINS0_13kernel_configILj256ELj4ELj4294967295EEENS1_37radix_sort_block_sort_config_selectorIhNS0_10empty_typeEEEZNS1_21radix_sort_block_sortIS4_Lb0EPKhPhPS6_SC_NS0_19identity_decomposerEEE10hipError_tT1_T2_T3_T4_jRjT5_jjP12ihipStream_tbEUlT_E_NS1_11comp_targetILNS1_3genE0ELNS1_11target_archE4294967295ELNS1_3gpuE0ELNS1_3repE0EEENS1_44radix_sort_block_sort_config_static_selectorELNS0_4arch9wavefront6targetE0EEEvSF_.kd
    .uniform_work_group_size: 1
    .uses_dynamic_stack: false
    .vgpr_count:     38
    .vgpr_spill_count: 0
    .wavefront_size: 32
  - .args:
      - .offset:         0
        .size:           48
        .value_kind:     by_value
    .group_segment_fixed_size: 0
    .kernarg_segment_align: 8
    .kernarg_segment_size: 48
    .language:       OpenCL C
    .language_version:
      - 2
      - 0
    .max_flat_workgroup_size: 256
    .name:           _ZN7rocprim17ROCPRIM_400000_NS6detail17trampoline_kernelINS0_13kernel_configILj256ELj4ELj4294967295EEENS1_37radix_sort_block_sort_config_selectorIhNS0_10empty_typeEEEZNS1_21radix_sort_block_sortIS4_Lb0EPKhPhPS6_SC_NS0_19identity_decomposerEEE10hipError_tT1_T2_T3_T4_jRjT5_jjP12ihipStream_tbEUlT_E_NS1_11comp_targetILNS1_3genE5ELNS1_11target_archE942ELNS1_3gpuE9ELNS1_3repE0EEENS1_44radix_sort_block_sort_config_static_selectorELNS0_4arch9wavefront6targetE0EEEvSF_
    .private_segment_fixed_size: 0
    .sgpr_count:     0
    .sgpr_spill_count: 0
    .symbol:         _ZN7rocprim17ROCPRIM_400000_NS6detail17trampoline_kernelINS0_13kernel_configILj256ELj4ELj4294967295EEENS1_37radix_sort_block_sort_config_selectorIhNS0_10empty_typeEEEZNS1_21radix_sort_block_sortIS4_Lb0EPKhPhPS6_SC_NS0_19identity_decomposerEEE10hipError_tT1_T2_T3_T4_jRjT5_jjP12ihipStream_tbEUlT_E_NS1_11comp_targetILNS1_3genE5ELNS1_11target_archE942ELNS1_3gpuE9ELNS1_3repE0EEENS1_44radix_sort_block_sort_config_static_selectorELNS0_4arch9wavefront6targetE0EEEvSF_.kd
    .uniform_work_group_size: 1
    .uses_dynamic_stack: false
    .vgpr_count:     0
    .vgpr_spill_count: 0
    .wavefront_size: 32
  - .args:
      - .offset:         0
        .size:           48
        .value_kind:     by_value
    .group_segment_fixed_size: 0
    .kernarg_segment_align: 8
    .kernarg_segment_size: 48
    .language:       OpenCL C
    .language_version:
      - 2
      - 0
    .max_flat_workgroup_size: 256
    .name:           _ZN7rocprim17ROCPRIM_400000_NS6detail17trampoline_kernelINS0_13kernel_configILj256ELj4ELj4294967295EEENS1_37radix_sort_block_sort_config_selectorIhNS0_10empty_typeEEEZNS1_21radix_sort_block_sortIS4_Lb0EPKhPhPS6_SC_NS0_19identity_decomposerEEE10hipError_tT1_T2_T3_T4_jRjT5_jjP12ihipStream_tbEUlT_E_NS1_11comp_targetILNS1_3genE4ELNS1_11target_archE910ELNS1_3gpuE8ELNS1_3repE0EEENS1_44radix_sort_block_sort_config_static_selectorELNS0_4arch9wavefront6targetE0EEEvSF_
    .private_segment_fixed_size: 0
    .sgpr_count:     0
    .sgpr_spill_count: 0
    .symbol:         _ZN7rocprim17ROCPRIM_400000_NS6detail17trampoline_kernelINS0_13kernel_configILj256ELj4ELj4294967295EEENS1_37radix_sort_block_sort_config_selectorIhNS0_10empty_typeEEEZNS1_21radix_sort_block_sortIS4_Lb0EPKhPhPS6_SC_NS0_19identity_decomposerEEE10hipError_tT1_T2_T3_T4_jRjT5_jjP12ihipStream_tbEUlT_E_NS1_11comp_targetILNS1_3genE4ELNS1_11target_archE910ELNS1_3gpuE8ELNS1_3repE0EEENS1_44radix_sort_block_sort_config_static_selectorELNS0_4arch9wavefront6targetE0EEEvSF_.kd
    .uniform_work_group_size: 1
    .uses_dynamic_stack: false
    .vgpr_count:     0
    .vgpr_spill_count: 0
    .wavefront_size: 32
  - .args:
      - .offset:         0
        .size:           48
        .value_kind:     by_value
    .group_segment_fixed_size: 0
    .kernarg_segment_align: 8
    .kernarg_segment_size: 48
    .language:       OpenCL C
    .language_version:
      - 2
      - 0
    .max_flat_workgroup_size: 256
    .name:           _ZN7rocprim17ROCPRIM_400000_NS6detail17trampoline_kernelINS0_13kernel_configILj256ELj4ELj4294967295EEENS1_37radix_sort_block_sort_config_selectorIhNS0_10empty_typeEEEZNS1_21radix_sort_block_sortIS4_Lb0EPKhPhPS6_SC_NS0_19identity_decomposerEEE10hipError_tT1_T2_T3_T4_jRjT5_jjP12ihipStream_tbEUlT_E_NS1_11comp_targetILNS1_3genE3ELNS1_11target_archE908ELNS1_3gpuE7ELNS1_3repE0EEENS1_44radix_sort_block_sort_config_static_selectorELNS0_4arch9wavefront6targetE0EEEvSF_
    .private_segment_fixed_size: 0
    .sgpr_count:     0
    .sgpr_spill_count: 0
    .symbol:         _ZN7rocprim17ROCPRIM_400000_NS6detail17trampoline_kernelINS0_13kernel_configILj256ELj4ELj4294967295EEENS1_37radix_sort_block_sort_config_selectorIhNS0_10empty_typeEEEZNS1_21radix_sort_block_sortIS4_Lb0EPKhPhPS6_SC_NS0_19identity_decomposerEEE10hipError_tT1_T2_T3_T4_jRjT5_jjP12ihipStream_tbEUlT_E_NS1_11comp_targetILNS1_3genE3ELNS1_11target_archE908ELNS1_3gpuE7ELNS1_3repE0EEENS1_44radix_sort_block_sort_config_static_selectorELNS0_4arch9wavefront6targetE0EEEvSF_.kd
    .uniform_work_group_size: 1
    .uses_dynamic_stack: false
    .vgpr_count:     0
    .vgpr_spill_count: 0
    .wavefront_size: 32
  - .args:
      - .offset:         0
        .size:           48
        .value_kind:     by_value
    .group_segment_fixed_size: 0
    .kernarg_segment_align: 8
    .kernarg_segment_size: 48
    .language:       OpenCL C
    .language_version:
      - 2
      - 0
    .max_flat_workgroup_size: 256
    .name:           _ZN7rocprim17ROCPRIM_400000_NS6detail17trampoline_kernelINS0_13kernel_configILj256ELj4ELj4294967295EEENS1_37radix_sort_block_sort_config_selectorIhNS0_10empty_typeEEEZNS1_21radix_sort_block_sortIS4_Lb0EPKhPhPS6_SC_NS0_19identity_decomposerEEE10hipError_tT1_T2_T3_T4_jRjT5_jjP12ihipStream_tbEUlT_E_NS1_11comp_targetILNS1_3genE2ELNS1_11target_archE906ELNS1_3gpuE6ELNS1_3repE0EEENS1_44radix_sort_block_sort_config_static_selectorELNS0_4arch9wavefront6targetE0EEEvSF_
    .private_segment_fixed_size: 0
    .sgpr_count:     0
    .sgpr_spill_count: 0
    .symbol:         _ZN7rocprim17ROCPRIM_400000_NS6detail17trampoline_kernelINS0_13kernel_configILj256ELj4ELj4294967295EEENS1_37radix_sort_block_sort_config_selectorIhNS0_10empty_typeEEEZNS1_21radix_sort_block_sortIS4_Lb0EPKhPhPS6_SC_NS0_19identity_decomposerEEE10hipError_tT1_T2_T3_T4_jRjT5_jjP12ihipStream_tbEUlT_E_NS1_11comp_targetILNS1_3genE2ELNS1_11target_archE906ELNS1_3gpuE6ELNS1_3repE0EEENS1_44radix_sort_block_sort_config_static_selectorELNS0_4arch9wavefront6targetE0EEEvSF_.kd
    .uniform_work_group_size: 1
    .uses_dynamic_stack: false
    .vgpr_count:     0
    .vgpr_spill_count: 0
    .wavefront_size: 32
  - .args:
      - .offset:         0
        .size:           48
        .value_kind:     by_value
    .group_segment_fixed_size: 0
    .kernarg_segment_align: 8
    .kernarg_segment_size: 48
    .language:       OpenCL C
    .language_version:
      - 2
      - 0
    .max_flat_workgroup_size: 256
    .name:           _ZN7rocprim17ROCPRIM_400000_NS6detail17trampoline_kernelINS0_13kernel_configILj256ELj4ELj4294967295EEENS1_37radix_sort_block_sort_config_selectorIhNS0_10empty_typeEEEZNS1_21radix_sort_block_sortIS4_Lb0EPKhPhPS6_SC_NS0_19identity_decomposerEEE10hipError_tT1_T2_T3_T4_jRjT5_jjP12ihipStream_tbEUlT_E_NS1_11comp_targetILNS1_3genE10ELNS1_11target_archE1201ELNS1_3gpuE5ELNS1_3repE0EEENS1_44radix_sort_block_sort_config_static_selectorELNS0_4arch9wavefront6targetE0EEEvSF_
    .private_segment_fixed_size: 0
    .sgpr_count:     0
    .sgpr_spill_count: 0
    .symbol:         _ZN7rocprim17ROCPRIM_400000_NS6detail17trampoline_kernelINS0_13kernel_configILj256ELj4ELj4294967295EEENS1_37radix_sort_block_sort_config_selectorIhNS0_10empty_typeEEEZNS1_21radix_sort_block_sortIS4_Lb0EPKhPhPS6_SC_NS0_19identity_decomposerEEE10hipError_tT1_T2_T3_T4_jRjT5_jjP12ihipStream_tbEUlT_E_NS1_11comp_targetILNS1_3genE10ELNS1_11target_archE1201ELNS1_3gpuE5ELNS1_3repE0EEENS1_44radix_sort_block_sort_config_static_selectorELNS0_4arch9wavefront6targetE0EEEvSF_.kd
    .uniform_work_group_size: 1
    .uses_dynamic_stack: false
    .vgpr_count:     0
    .vgpr_spill_count: 0
    .wavefront_size: 32
  - .args:
      - .offset:         0
        .size:           48
        .value_kind:     by_value
    .group_segment_fixed_size: 0
    .kernarg_segment_align: 8
    .kernarg_segment_size: 48
    .language:       OpenCL C
    .language_version:
      - 2
      - 0
    .max_flat_workgroup_size: 256
    .name:           _ZN7rocprim17ROCPRIM_400000_NS6detail17trampoline_kernelINS0_13kernel_configILj256ELj4ELj4294967295EEENS1_37radix_sort_block_sort_config_selectorIhNS0_10empty_typeEEEZNS1_21radix_sort_block_sortIS4_Lb0EPKhPhPS6_SC_NS0_19identity_decomposerEEE10hipError_tT1_T2_T3_T4_jRjT5_jjP12ihipStream_tbEUlT_E_NS1_11comp_targetILNS1_3genE10ELNS1_11target_archE1200ELNS1_3gpuE4ELNS1_3repE0EEENS1_44radix_sort_block_sort_config_static_selectorELNS0_4arch9wavefront6targetE0EEEvSF_
    .private_segment_fixed_size: 0
    .sgpr_count:     0
    .sgpr_spill_count: 0
    .symbol:         _ZN7rocprim17ROCPRIM_400000_NS6detail17trampoline_kernelINS0_13kernel_configILj256ELj4ELj4294967295EEENS1_37radix_sort_block_sort_config_selectorIhNS0_10empty_typeEEEZNS1_21radix_sort_block_sortIS4_Lb0EPKhPhPS6_SC_NS0_19identity_decomposerEEE10hipError_tT1_T2_T3_T4_jRjT5_jjP12ihipStream_tbEUlT_E_NS1_11comp_targetILNS1_3genE10ELNS1_11target_archE1200ELNS1_3gpuE4ELNS1_3repE0EEENS1_44radix_sort_block_sort_config_static_selectorELNS0_4arch9wavefront6targetE0EEEvSF_.kd
    .uniform_work_group_size: 1
    .uses_dynamic_stack: false
    .vgpr_count:     0
    .vgpr_spill_count: 0
    .wavefront_size: 32
  - .args:
      - .offset:         0
        .size:           48
        .value_kind:     by_value
    .group_segment_fixed_size: 0
    .kernarg_segment_align: 8
    .kernarg_segment_size: 48
    .language:       OpenCL C
    .language_version:
      - 2
      - 0
    .max_flat_workgroup_size: 256
    .name:           _ZN7rocprim17ROCPRIM_400000_NS6detail17trampoline_kernelINS0_13kernel_configILj256ELj4ELj4294967295EEENS1_37radix_sort_block_sort_config_selectorIhNS0_10empty_typeEEEZNS1_21radix_sort_block_sortIS4_Lb0EPKhPhPS6_SC_NS0_19identity_decomposerEEE10hipError_tT1_T2_T3_T4_jRjT5_jjP12ihipStream_tbEUlT_E_NS1_11comp_targetILNS1_3genE9ELNS1_11target_archE1100ELNS1_3gpuE3ELNS1_3repE0EEENS1_44radix_sort_block_sort_config_static_selectorELNS0_4arch9wavefront6targetE0EEEvSF_
    .private_segment_fixed_size: 0
    .sgpr_count:     0
    .sgpr_spill_count: 0
    .symbol:         _ZN7rocprim17ROCPRIM_400000_NS6detail17trampoline_kernelINS0_13kernel_configILj256ELj4ELj4294967295EEENS1_37radix_sort_block_sort_config_selectorIhNS0_10empty_typeEEEZNS1_21radix_sort_block_sortIS4_Lb0EPKhPhPS6_SC_NS0_19identity_decomposerEEE10hipError_tT1_T2_T3_T4_jRjT5_jjP12ihipStream_tbEUlT_E_NS1_11comp_targetILNS1_3genE9ELNS1_11target_archE1100ELNS1_3gpuE3ELNS1_3repE0EEENS1_44radix_sort_block_sort_config_static_selectorELNS0_4arch9wavefront6targetE0EEEvSF_.kd
    .uniform_work_group_size: 1
    .uses_dynamic_stack: false
    .vgpr_count:     0
    .vgpr_spill_count: 0
    .wavefront_size: 32
  - .args:
      - .offset:         0
        .size:           48
        .value_kind:     by_value
    .group_segment_fixed_size: 0
    .kernarg_segment_align: 8
    .kernarg_segment_size: 48
    .language:       OpenCL C
    .language_version:
      - 2
      - 0
    .max_flat_workgroup_size: 256
    .name:           _ZN7rocprim17ROCPRIM_400000_NS6detail17trampoline_kernelINS0_13kernel_configILj256ELj4ELj4294967295EEENS1_37radix_sort_block_sort_config_selectorIhNS0_10empty_typeEEEZNS1_21radix_sort_block_sortIS4_Lb0EPKhPhPS6_SC_NS0_19identity_decomposerEEE10hipError_tT1_T2_T3_T4_jRjT5_jjP12ihipStream_tbEUlT_E_NS1_11comp_targetILNS1_3genE8ELNS1_11target_archE1030ELNS1_3gpuE2ELNS1_3repE0EEENS1_44radix_sort_block_sort_config_static_selectorELNS0_4arch9wavefront6targetE0EEEvSF_
    .private_segment_fixed_size: 0
    .sgpr_count:     0
    .sgpr_spill_count: 0
    .symbol:         _ZN7rocprim17ROCPRIM_400000_NS6detail17trampoline_kernelINS0_13kernel_configILj256ELj4ELj4294967295EEENS1_37radix_sort_block_sort_config_selectorIhNS0_10empty_typeEEEZNS1_21radix_sort_block_sortIS4_Lb0EPKhPhPS6_SC_NS0_19identity_decomposerEEE10hipError_tT1_T2_T3_T4_jRjT5_jjP12ihipStream_tbEUlT_E_NS1_11comp_targetILNS1_3genE8ELNS1_11target_archE1030ELNS1_3gpuE2ELNS1_3repE0EEENS1_44radix_sort_block_sort_config_static_selectorELNS0_4arch9wavefront6targetE0EEEvSF_.kd
    .uniform_work_group_size: 1
    .uses_dynamic_stack: false
    .vgpr_count:     0
    .vgpr_spill_count: 0
    .wavefront_size: 32
  - .args:
      - .offset:         0
        .size:           40
        .value_kind:     by_value
    .group_segment_fixed_size: 0
    .kernarg_segment_align: 8
    .kernarg_segment_size: 40
    .language:       OpenCL C
    .language_version:
      - 2
      - 0
    .max_flat_workgroup_size: 128
    .name:           _ZN7rocprim17ROCPRIM_400000_NS6detail17trampoline_kernelINS0_14default_configENS1_38merge_sort_block_merge_config_selectorIhNS0_10empty_typeEEEZZNS1_27merge_sort_block_merge_implIS3_PhPS5_jNS1_19radix_merge_compareILb0ELb0EhNS0_19identity_decomposerEEEEE10hipError_tT0_T1_T2_jT3_P12ihipStream_tbPNSt15iterator_traitsISE_E10value_typeEPNSK_ISF_E10value_typeEPSG_NS1_7vsmem_tEENKUlT_SE_SF_SG_E_clIS8_S8_S9_S9_EESD_ST_SE_SF_SG_EUlST_E_NS1_11comp_targetILNS1_3genE0ELNS1_11target_archE4294967295ELNS1_3gpuE0ELNS1_3repE0EEENS1_48merge_mergepath_partition_config_static_selectorELNS0_4arch9wavefront6targetE0EEEvSF_
    .private_segment_fixed_size: 0
    .sgpr_count:     8
    .sgpr_spill_count: 0
    .symbol:         _ZN7rocprim17ROCPRIM_400000_NS6detail17trampoline_kernelINS0_14default_configENS1_38merge_sort_block_merge_config_selectorIhNS0_10empty_typeEEEZZNS1_27merge_sort_block_merge_implIS3_PhPS5_jNS1_19radix_merge_compareILb0ELb0EhNS0_19identity_decomposerEEEEE10hipError_tT0_T1_T2_jT3_P12ihipStream_tbPNSt15iterator_traitsISE_E10value_typeEPNSK_ISF_E10value_typeEPSG_NS1_7vsmem_tEENKUlT_SE_SF_SG_E_clIS8_S8_S9_S9_EESD_ST_SE_SF_SG_EUlST_E_NS1_11comp_targetILNS1_3genE0ELNS1_11target_archE4294967295ELNS1_3gpuE0ELNS1_3repE0EEENS1_48merge_mergepath_partition_config_static_selectorELNS0_4arch9wavefront6targetE0EEEvSF_.kd
    .uniform_work_group_size: 1
    .uses_dynamic_stack: false
    .vgpr_count:     17
    .vgpr_spill_count: 0
    .wavefront_size: 32
  - .args:
      - .offset:         0
        .size:           40
        .value_kind:     by_value
    .group_segment_fixed_size: 0
    .kernarg_segment_align: 8
    .kernarg_segment_size: 40
    .language:       OpenCL C
    .language_version:
      - 2
      - 0
    .max_flat_workgroup_size: 128
    .name:           _ZN7rocprim17ROCPRIM_400000_NS6detail17trampoline_kernelINS0_14default_configENS1_38merge_sort_block_merge_config_selectorIhNS0_10empty_typeEEEZZNS1_27merge_sort_block_merge_implIS3_PhPS5_jNS1_19radix_merge_compareILb0ELb0EhNS0_19identity_decomposerEEEEE10hipError_tT0_T1_T2_jT3_P12ihipStream_tbPNSt15iterator_traitsISE_E10value_typeEPNSK_ISF_E10value_typeEPSG_NS1_7vsmem_tEENKUlT_SE_SF_SG_E_clIS8_S8_S9_S9_EESD_ST_SE_SF_SG_EUlST_E_NS1_11comp_targetILNS1_3genE10ELNS1_11target_archE1201ELNS1_3gpuE5ELNS1_3repE0EEENS1_48merge_mergepath_partition_config_static_selectorELNS0_4arch9wavefront6targetE0EEEvSF_
    .private_segment_fixed_size: 0
    .sgpr_count:     0
    .sgpr_spill_count: 0
    .symbol:         _ZN7rocprim17ROCPRIM_400000_NS6detail17trampoline_kernelINS0_14default_configENS1_38merge_sort_block_merge_config_selectorIhNS0_10empty_typeEEEZZNS1_27merge_sort_block_merge_implIS3_PhPS5_jNS1_19radix_merge_compareILb0ELb0EhNS0_19identity_decomposerEEEEE10hipError_tT0_T1_T2_jT3_P12ihipStream_tbPNSt15iterator_traitsISE_E10value_typeEPNSK_ISF_E10value_typeEPSG_NS1_7vsmem_tEENKUlT_SE_SF_SG_E_clIS8_S8_S9_S9_EESD_ST_SE_SF_SG_EUlST_E_NS1_11comp_targetILNS1_3genE10ELNS1_11target_archE1201ELNS1_3gpuE5ELNS1_3repE0EEENS1_48merge_mergepath_partition_config_static_selectorELNS0_4arch9wavefront6targetE0EEEvSF_.kd
    .uniform_work_group_size: 1
    .uses_dynamic_stack: false
    .vgpr_count:     0
    .vgpr_spill_count: 0
    .wavefront_size: 32
  - .args:
      - .offset:         0
        .size:           40
        .value_kind:     by_value
    .group_segment_fixed_size: 0
    .kernarg_segment_align: 8
    .kernarg_segment_size: 40
    .language:       OpenCL C
    .language_version:
      - 2
      - 0
    .max_flat_workgroup_size: 128
    .name:           _ZN7rocprim17ROCPRIM_400000_NS6detail17trampoline_kernelINS0_14default_configENS1_38merge_sort_block_merge_config_selectorIhNS0_10empty_typeEEEZZNS1_27merge_sort_block_merge_implIS3_PhPS5_jNS1_19radix_merge_compareILb0ELb0EhNS0_19identity_decomposerEEEEE10hipError_tT0_T1_T2_jT3_P12ihipStream_tbPNSt15iterator_traitsISE_E10value_typeEPNSK_ISF_E10value_typeEPSG_NS1_7vsmem_tEENKUlT_SE_SF_SG_E_clIS8_S8_S9_S9_EESD_ST_SE_SF_SG_EUlST_E_NS1_11comp_targetILNS1_3genE5ELNS1_11target_archE942ELNS1_3gpuE9ELNS1_3repE0EEENS1_48merge_mergepath_partition_config_static_selectorELNS0_4arch9wavefront6targetE0EEEvSF_
    .private_segment_fixed_size: 0
    .sgpr_count:     0
    .sgpr_spill_count: 0
    .symbol:         _ZN7rocprim17ROCPRIM_400000_NS6detail17trampoline_kernelINS0_14default_configENS1_38merge_sort_block_merge_config_selectorIhNS0_10empty_typeEEEZZNS1_27merge_sort_block_merge_implIS3_PhPS5_jNS1_19radix_merge_compareILb0ELb0EhNS0_19identity_decomposerEEEEE10hipError_tT0_T1_T2_jT3_P12ihipStream_tbPNSt15iterator_traitsISE_E10value_typeEPNSK_ISF_E10value_typeEPSG_NS1_7vsmem_tEENKUlT_SE_SF_SG_E_clIS8_S8_S9_S9_EESD_ST_SE_SF_SG_EUlST_E_NS1_11comp_targetILNS1_3genE5ELNS1_11target_archE942ELNS1_3gpuE9ELNS1_3repE0EEENS1_48merge_mergepath_partition_config_static_selectorELNS0_4arch9wavefront6targetE0EEEvSF_.kd
    .uniform_work_group_size: 1
    .uses_dynamic_stack: false
    .vgpr_count:     0
    .vgpr_spill_count: 0
    .wavefront_size: 32
  - .args:
      - .offset:         0
        .size:           40
        .value_kind:     by_value
    .group_segment_fixed_size: 0
    .kernarg_segment_align: 8
    .kernarg_segment_size: 40
    .language:       OpenCL C
    .language_version:
      - 2
      - 0
    .max_flat_workgroup_size: 128
    .name:           _ZN7rocprim17ROCPRIM_400000_NS6detail17trampoline_kernelINS0_14default_configENS1_38merge_sort_block_merge_config_selectorIhNS0_10empty_typeEEEZZNS1_27merge_sort_block_merge_implIS3_PhPS5_jNS1_19radix_merge_compareILb0ELb0EhNS0_19identity_decomposerEEEEE10hipError_tT0_T1_T2_jT3_P12ihipStream_tbPNSt15iterator_traitsISE_E10value_typeEPNSK_ISF_E10value_typeEPSG_NS1_7vsmem_tEENKUlT_SE_SF_SG_E_clIS8_S8_S9_S9_EESD_ST_SE_SF_SG_EUlST_E_NS1_11comp_targetILNS1_3genE4ELNS1_11target_archE910ELNS1_3gpuE8ELNS1_3repE0EEENS1_48merge_mergepath_partition_config_static_selectorELNS0_4arch9wavefront6targetE0EEEvSF_
    .private_segment_fixed_size: 0
    .sgpr_count:     0
    .sgpr_spill_count: 0
    .symbol:         _ZN7rocprim17ROCPRIM_400000_NS6detail17trampoline_kernelINS0_14default_configENS1_38merge_sort_block_merge_config_selectorIhNS0_10empty_typeEEEZZNS1_27merge_sort_block_merge_implIS3_PhPS5_jNS1_19radix_merge_compareILb0ELb0EhNS0_19identity_decomposerEEEEE10hipError_tT0_T1_T2_jT3_P12ihipStream_tbPNSt15iterator_traitsISE_E10value_typeEPNSK_ISF_E10value_typeEPSG_NS1_7vsmem_tEENKUlT_SE_SF_SG_E_clIS8_S8_S9_S9_EESD_ST_SE_SF_SG_EUlST_E_NS1_11comp_targetILNS1_3genE4ELNS1_11target_archE910ELNS1_3gpuE8ELNS1_3repE0EEENS1_48merge_mergepath_partition_config_static_selectorELNS0_4arch9wavefront6targetE0EEEvSF_.kd
    .uniform_work_group_size: 1
    .uses_dynamic_stack: false
    .vgpr_count:     0
    .vgpr_spill_count: 0
    .wavefront_size: 32
  - .args:
      - .offset:         0
        .size:           40
        .value_kind:     by_value
    .group_segment_fixed_size: 0
    .kernarg_segment_align: 8
    .kernarg_segment_size: 40
    .language:       OpenCL C
    .language_version:
      - 2
      - 0
    .max_flat_workgroup_size: 128
    .name:           _ZN7rocprim17ROCPRIM_400000_NS6detail17trampoline_kernelINS0_14default_configENS1_38merge_sort_block_merge_config_selectorIhNS0_10empty_typeEEEZZNS1_27merge_sort_block_merge_implIS3_PhPS5_jNS1_19radix_merge_compareILb0ELb0EhNS0_19identity_decomposerEEEEE10hipError_tT0_T1_T2_jT3_P12ihipStream_tbPNSt15iterator_traitsISE_E10value_typeEPNSK_ISF_E10value_typeEPSG_NS1_7vsmem_tEENKUlT_SE_SF_SG_E_clIS8_S8_S9_S9_EESD_ST_SE_SF_SG_EUlST_E_NS1_11comp_targetILNS1_3genE3ELNS1_11target_archE908ELNS1_3gpuE7ELNS1_3repE0EEENS1_48merge_mergepath_partition_config_static_selectorELNS0_4arch9wavefront6targetE0EEEvSF_
    .private_segment_fixed_size: 0
    .sgpr_count:     0
    .sgpr_spill_count: 0
    .symbol:         _ZN7rocprim17ROCPRIM_400000_NS6detail17trampoline_kernelINS0_14default_configENS1_38merge_sort_block_merge_config_selectorIhNS0_10empty_typeEEEZZNS1_27merge_sort_block_merge_implIS3_PhPS5_jNS1_19radix_merge_compareILb0ELb0EhNS0_19identity_decomposerEEEEE10hipError_tT0_T1_T2_jT3_P12ihipStream_tbPNSt15iterator_traitsISE_E10value_typeEPNSK_ISF_E10value_typeEPSG_NS1_7vsmem_tEENKUlT_SE_SF_SG_E_clIS8_S8_S9_S9_EESD_ST_SE_SF_SG_EUlST_E_NS1_11comp_targetILNS1_3genE3ELNS1_11target_archE908ELNS1_3gpuE7ELNS1_3repE0EEENS1_48merge_mergepath_partition_config_static_selectorELNS0_4arch9wavefront6targetE0EEEvSF_.kd
    .uniform_work_group_size: 1
    .uses_dynamic_stack: false
    .vgpr_count:     0
    .vgpr_spill_count: 0
    .wavefront_size: 32
  - .args:
      - .offset:         0
        .size:           40
        .value_kind:     by_value
    .group_segment_fixed_size: 0
    .kernarg_segment_align: 8
    .kernarg_segment_size: 40
    .language:       OpenCL C
    .language_version:
      - 2
      - 0
    .max_flat_workgroup_size: 128
    .name:           _ZN7rocprim17ROCPRIM_400000_NS6detail17trampoline_kernelINS0_14default_configENS1_38merge_sort_block_merge_config_selectorIhNS0_10empty_typeEEEZZNS1_27merge_sort_block_merge_implIS3_PhPS5_jNS1_19radix_merge_compareILb0ELb0EhNS0_19identity_decomposerEEEEE10hipError_tT0_T1_T2_jT3_P12ihipStream_tbPNSt15iterator_traitsISE_E10value_typeEPNSK_ISF_E10value_typeEPSG_NS1_7vsmem_tEENKUlT_SE_SF_SG_E_clIS8_S8_S9_S9_EESD_ST_SE_SF_SG_EUlST_E_NS1_11comp_targetILNS1_3genE2ELNS1_11target_archE906ELNS1_3gpuE6ELNS1_3repE0EEENS1_48merge_mergepath_partition_config_static_selectorELNS0_4arch9wavefront6targetE0EEEvSF_
    .private_segment_fixed_size: 0
    .sgpr_count:     0
    .sgpr_spill_count: 0
    .symbol:         _ZN7rocprim17ROCPRIM_400000_NS6detail17trampoline_kernelINS0_14default_configENS1_38merge_sort_block_merge_config_selectorIhNS0_10empty_typeEEEZZNS1_27merge_sort_block_merge_implIS3_PhPS5_jNS1_19radix_merge_compareILb0ELb0EhNS0_19identity_decomposerEEEEE10hipError_tT0_T1_T2_jT3_P12ihipStream_tbPNSt15iterator_traitsISE_E10value_typeEPNSK_ISF_E10value_typeEPSG_NS1_7vsmem_tEENKUlT_SE_SF_SG_E_clIS8_S8_S9_S9_EESD_ST_SE_SF_SG_EUlST_E_NS1_11comp_targetILNS1_3genE2ELNS1_11target_archE906ELNS1_3gpuE6ELNS1_3repE0EEENS1_48merge_mergepath_partition_config_static_selectorELNS0_4arch9wavefront6targetE0EEEvSF_.kd
    .uniform_work_group_size: 1
    .uses_dynamic_stack: false
    .vgpr_count:     0
    .vgpr_spill_count: 0
    .wavefront_size: 32
  - .args:
      - .offset:         0
        .size:           40
        .value_kind:     by_value
    .group_segment_fixed_size: 0
    .kernarg_segment_align: 8
    .kernarg_segment_size: 40
    .language:       OpenCL C
    .language_version:
      - 2
      - 0
    .max_flat_workgroup_size: 128
    .name:           _ZN7rocprim17ROCPRIM_400000_NS6detail17trampoline_kernelINS0_14default_configENS1_38merge_sort_block_merge_config_selectorIhNS0_10empty_typeEEEZZNS1_27merge_sort_block_merge_implIS3_PhPS5_jNS1_19radix_merge_compareILb0ELb0EhNS0_19identity_decomposerEEEEE10hipError_tT0_T1_T2_jT3_P12ihipStream_tbPNSt15iterator_traitsISE_E10value_typeEPNSK_ISF_E10value_typeEPSG_NS1_7vsmem_tEENKUlT_SE_SF_SG_E_clIS8_S8_S9_S9_EESD_ST_SE_SF_SG_EUlST_E_NS1_11comp_targetILNS1_3genE9ELNS1_11target_archE1100ELNS1_3gpuE3ELNS1_3repE0EEENS1_48merge_mergepath_partition_config_static_selectorELNS0_4arch9wavefront6targetE0EEEvSF_
    .private_segment_fixed_size: 0
    .sgpr_count:     0
    .sgpr_spill_count: 0
    .symbol:         _ZN7rocprim17ROCPRIM_400000_NS6detail17trampoline_kernelINS0_14default_configENS1_38merge_sort_block_merge_config_selectorIhNS0_10empty_typeEEEZZNS1_27merge_sort_block_merge_implIS3_PhPS5_jNS1_19radix_merge_compareILb0ELb0EhNS0_19identity_decomposerEEEEE10hipError_tT0_T1_T2_jT3_P12ihipStream_tbPNSt15iterator_traitsISE_E10value_typeEPNSK_ISF_E10value_typeEPSG_NS1_7vsmem_tEENKUlT_SE_SF_SG_E_clIS8_S8_S9_S9_EESD_ST_SE_SF_SG_EUlST_E_NS1_11comp_targetILNS1_3genE9ELNS1_11target_archE1100ELNS1_3gpuE3ELNS1_3repE0EEENS1_48merge_mergepath_partition_config_static_selectorELNS0_4arch9wavefront6targetE0EEEvSF_.kd
    .uniform_work_group_size: 1
    .uses_dynamic_stack: false
    .vgpr_count:     0
    .vgpr_spill_count: 0
    .wavefront_size: 32
  - .args:
      - .offset:         0
        .size:           40
        .value_kind:     by_value
    .group_segment_fixed_size: 0
    .kernarg_segment_align: 8
    .kernarg_segment_size: 40
    .language:       OpenCL C
    .language_version:
      - 2
      - 0
    .max_flat_workgroup_size: 128
    .name:           _ZN7rocprim17ROCPRIM_400000_NS6detail17trampoline_kernelINS0_14default_configENS1_38merge_sort_block_merge_config_selectorIhNS0_10empty_typeEEEZZNS1_27merge_sort_block_merge_implIS3_PhPS5_jNS1_19radix_merge_compareILb0ELb0EhNS0_19identity_decomposerEEEEE10hipError_tT0_T1_T2_jT3_P12ihipStream_tbPNSt15iterator_traitsISE_E10value_typeEPNSK_ISF_E10value_typeEPSG_NS1_7vsmem_tEENKUlT_SE_SF_SG_E_clIS8_S8_S9_S9_EESD_ST_SE_SF_SG_EUlST_E_NS1_11comp_targetILNS1_3genE8ELNS1_11target_archE1030ELNS1_3gpuE2ELNS1_3repE0EEENS1_48merge_mergepath_partition_config_static_selectorELNS0_4arch9wavefront6targetE0EEEvSF_
    .private_segment_fixed_size: 0
    .sgpr_count:     0
    .sgpr_spill_count: 0
    .symbol:         _ZN7rocprim17ROCPRIM_400000_NS6detail17trampoline_kernelINS0_14default_configENS1_38merge_sort_block_merge_config_selectorIhNS0_10empty_typeEEEZZNS1_27merge_sort_block_merge_implIS3_PhPS5_jNS1_19radix_merge_compareILb0ELb0EhNS0_19identity_decomposerEEEEE10hipError_tT0_T1_T2_jT3_P12ihipStream_tbPNSt15iterator_traitsISE_E10value_typeEPNSK_ISF_E10value_typeEPSG_NS1_7vsmem_tEENKUlT_SE_SF_SG_E_clIS8_S8_S9_S9_EESD_ST_SE_SF_SG_EUlST_E_NS1_11comp_targetILNS1_3genE8ELNS1_11target_archE1030ELNS1_3gpuE2ELNS1_3repE0EEENS1_48merge_mergepath_partition_config_static_selectorELNS0_4arch9wavefront6targetE0EEEvSF_.kd
    .uniform_work_group_size: 1
    .uses_dynamic_stack: false
    .vgpr_count:     0
    .vgpr_spill_count: 0
    .wavefront_size: 32
  - .args:
      - .offset:         0
        .size:           64
        .value_kind:     by_value
      - .offset:         64
        .size:           4
        .value_kind:     hidden_block_count_x
      - .offset:         68
        .size:           4
        .value_kind:     hidden_block_count_y
      - .offset:         72
        .size:           4
        .value_kind:     hidden_block_count_z
      - .offset:         76
        .size:           2
        .value_kind:     hidden_group_size_x
      - .offset:         78
        .size:           2
        .value_kind:     hidden_group_size_y
      - .offset:         80
        .size:           2
        .value_kind:     hidden_group_size_z
      - .offset:         82
        .size:           2
        .value_kind:     hidden_remainder_x
      - .offset:         84
        .size:           2
        .value_kind:     hidden_remainder_y
      - .offset:         86
        .size:           2
        .value_kind:     hidden_remainder_z
      - .offset:         104
        .size:           8
        .value_kind:     hidden_global_offset_x
      - .offset:         112
        .size:           8
        .value_kind:     hidden_global_offset_y
      - .offset:         120
        .size:           8
        .value_kind:     hidden_global_offset_z
      - .offset:         128
        .size:           2
        .value_kind:     hidden_grid_dims
    .group_segment_fixed_size: 1056
    .kernarg_segment_align: 8
    .kernarg_segment_size: 320
    .language:       OpenCL C
    .language_version:
      - 2
      - 0
    .max_flat_workgroup_size: 128
    .name:           _ZN7rocprim17ROCPRIM_400000_NS6detail17trampoline_kernelINS0_14default_configENS1_38merge_sort_block_merge_config_selectorIhNS0_10empty_typeEEEZZNS1_27merge_sort_block_merge_implIS3_PhPS5_jNS1_19radix_merge_compareILb0ELb0EhNS0_19identity_decomposerEEEEE10hipError_tT0_T1_T2_jT3_P12ihipStream_tbPNSt15iterator_traitsISE_E10value_typeEPNSK_ISF_E10value_typeEPSG_NS1_7vsmem_tEENKUlT_SE_SF_SG_E_clIS8_S8_S9_S9_EESD_ST_SE_SF_SG_EUlST_E0_NS1_11comp_targetILNS1_3genE0ELNS1_11target_archE4294967295ELNS1_3gpuE0ELNS1_3repE0EEENS1_38merge_mergepath_config_static_selectorELNS0_4arch9wavefront6targetE0EEEvSF_
    .private_segment_fixed_size: 0
    .sgpr_count:     24
    .sgpr_spill_count: 0
    .symbol:         _ZN7rocprim17ROCPRIM_400000_NS6detail17trampoline_kernelINS0_14default_configENS1_38merge_sort_block_merge_config_selectorIhNS0_10empty_typeEEEZZNS1_27merge_sort_block_merge_implIS3_PhPS5_jNS1_19radix_merge_compareILb0ELb0EhNS0_19identity_decomposerEEEEE10hipError_tT0_T1_T2_jT3_P12ihipStream_tbPNSt15iterator_traitsISE_E10value_typeEPNSK_ISF_E10value_typeEPSG_NS1_7vsmem_tEENKUlT_SE_SF_SG_E_clIS8_S8_S9_S9_EESD_ST_SE_SF_SG_EUlST_E0_NS1_11comp_targetILNS1_3genE0ELNS1_11target_archE4294967295ELNS1_3gpuE0ELNS1_3repE0EEENS1_38merge_mergepath_config_static_selectorELNS0_4arch9wavefront6targetE0EEEvSF_.kd
    .uniform_work_group_size: 1
    .uses_dynamic_stack: false
    .vgpr_count:     34
    .vgpr_spill_count: 0
    .wavefront_size: 32
  - .args:
      - .offset:         0
        .size:           64
        .value_kind:     by_value
    .group_segment_fixed_size: 0
    .kernarg_segment_align: 8
    .kernarg_segment_size: 64
    .language:       OpenCL C
    .language_version:
      - 2
      - 0
    .max_flat_workgroup_size: 128
    .name:           _ZN7rocprim17ROCPRIM_400000_NS6detail17trampoline_kernelINS0_14default_configENS1_38merge_sort_block_merge_config_selectorIhNS0_10empty_typeEEEZZNS1_27merge_sort_block_merge_implIS3_PhPS5_jNS1_19radix_merge_compareILb0ELb0EhNS0_19identity_decomposerEEEEE10hipError_tT0_T1_T2_jT3_P12ihipStream_tbPNSt15iterator_traitsISE_E10value_typeEPNSK_ISF_E10value_typeEPSG_NS1_7vsmem_tEENKUlT_SE_SF_SG_E_clIS8_S8_S9_S9_EESD_ST_SE_SF_SG_EUlST_E0_NS1_11comp_targetILNS1_3genE10ELNS1_11target_archE1201ELNS1_3gpuE5ELNS1_3repE0EEENS1_38merge_mergepath_config_static_selectorELNS0_4arch9wavefront6targetE0EEEvSF_
    .private_segment_fixed_size: 0
    .sgpr_count:     0
    .sgpr_spill_count: 0
    .symbol:         _ZN7rocprim17ROCPRIM_400000_NS6detail17trampoline_kernelINS0_14default_configENS1_38merge_sort_block_merge_config_selectorIhNS0_10empty_typeEEEZZNS1_27merge_sort_block_merge_implIS3_PhPS5_jNS1_19radix_merge_compareILb0ELb0EhNS0_19identity_decomposerEEEEE10hipError_tT0_T1_T2_jT3_P12ihipStream_tbPNSt15iterator_traitsISE_E10value_typeEPNSK_ISF_E10value_typeEPSG_NS1_7vsmem_tEENKUlT_SE_SF_SG_E_clIS8_S8_S9_S9_EESD_ST_SE_SF_SG_EUlST_E0_NS1_11comp_targetILNS1_3genE10ELNS1_11target_archE1201ELNS1_3gpuE5ELNS1_3repE0EEENS1_38merge_mergepath_config_static_selectorELNS0_4arch9wavefront6targetE0EEEvSF_.kd
    .uniform_work_group_size: 1
    .uses_dynamic_stack: false
    .vgpr_count:     0
    .vgpr_spill_count: 0
    .wavefront_size: 32
  - .args:
      - .offset:         0
        .size:           64
        .value_kind:     by_value
    .group_segment_fixed_size: 0
    .kernarg_segment_align: 8
    .kernarg_segment_size: 64
    .language:       OpenCL C
    .language_version:
      - 2
      - 0
    .max_flat_workgroup_size: 128
    .name:           _ZN7rocprim17ROCPRIM_400000_NS6detail17trampoline_kernelINS0_14default_configENS1_38merge_sort_block_merge_config_selectorIhNS0_10empty_typeEEEZZNS1_27merge_sort_block_merge_implIS3_PhPS5_jNS1_19radix_merge_compareILb0ELb0EhNS0_19identity_decomposerEEEEE10hipError_tT0_T1_T2_jT3_P12ihipStream_tbPNSt15iterator_traitsISE_E10value_typeEPNSK_ISF_E10value_typeEPSG_NS1_7vsmem_tEENKUlT_SE_SF_SG_E_clIS8_S8_S9_S9_EESD_ST_SE_SF_SG_EUlST_E0_NS1_11comp_targetILNS1_3genE5ELNS1_11target_archE942ELNS1_3gpuE9ELNS1_3repE0EEENS1_38merge_mergepath_config_static_selectorELNS0_4arch9wavefront6targetE0EEEvSF_
    .private_segment_fixed_size: 0
    .sgpr_count:     0
    .sgpr_spill_count: 0
    .symbol:         _ZN7rocprim17ROCPRIM_400000_NS6detail17trampoline_kernelINS0_14default_configENS1_38merge_sort_block_merge_config_selectorIhNS0_10empty_typeEEEZZNS1_27merge_sort_block_merge_implIS3_PhPS5_jNS1_19radix_merge_compareILb0ELb0EhNS0_19identity_decomposerEEEEE10hipError_tT0_T1_T2_jT3_P12ihipStream_tbPNSt15iterator_traitsISE_E10value_typeEPNSK_ISF_E10value_typeEPSG_NS1_7vsmem_tEENKUlT_SE_SF_SG_E_clIS8_S8_S9_S9_EESD_ST_SE_SF_SG_EUlST_E0_NS1_11comp_targetILNS1_3genE5ELNS1_11target_archE942ELNS1_3gpuE9ELNS1_3repE0EEENS1_38merge_mergepath_config_static_selectorELNS0_4arch9wavefront6targetE0EEEvSF_.kd
    .uniform_work_group_size: 1
    .uses_dynamic_stack: false
    .vgpr_count:     0
    .vgpr_spill_count: 0
    .wavefront_size: 32
  - .args:
      - .offset:         0
        .size:           64
        .value_kind:     by_value
    .group_segment_fixed_size: 0
    .kernarg_segment_align: 8
    .kernarg_segment_size: 64
    .language:       OpenCL C
    .language_version:
      - 2
      - 0
    .max_flat_workgroup_size: 128
    .name:           _ZN7rocprim17ROCPRIM_400000_NS6detail17trampoline_kernelINS0_14default_configENS1_38merge_sort_block_merge_config_selectorIhNS0_10empty_typeEEEZZNS1_27merge_sort_block_merge_implIS3_PhPS5_jNS1_19radix_merge_compareILb0ELb0EhNS0_19identity_decomposerEEEEE10hipError_tT0_T1_T2_jT3_P12ihipStream_tbPNSt15iterator_traitsISE_E10value_typeEPNSK_ISF_E10value_typeEPSG_NS1_7vsmem_tEENKUlT_SE_SF_SG_E_clIS8_S8_S9_S9_EESD_ST_SE_SF_SG_EUlST_E0_NS1_11comp_targetILNS1_3genE4ELNS1_11target_archE910ELNS1_3gpuE8ELNS1_3repE0EEENS1_38merge_mergepath_config_static_selectorELNS0_4arch9wavefront6targetE0EEEvSF_
    .private_segment_fixed_size: 0
    .sgpr_count:     0
    .sgpr_spill_count: 0
    .symbol:         _ZN7rocprim17ROCPRIM_400000_NS6detail17trampoline_kernelINS0_14default_configENS1_38merge_sort_block_merge_config_selectorIhNS0_10empty_typeEEEZZNS1_27merge_sort_block_merge_implIS3_PhPS5_jNS1_19radix_merge_compareILb0ELb0EhNS0_19identity_decomposerEEEEE10hipError_tT0_T1_T2_jT3_P12ihipStream_tbPNSt15iterator_traitsISE_E10value_typeEPNSK_ISF_E10value_typeEPSG_NS1_7vsmem_tEENKUlT_SE_SF_SG_E_clIS8_S8_S9_S9_EESD_ST_SE_SF_SG_EUlST_E0_NS1_11comp_targetILNS1_3genE4ELNS1_11target_archE910ELNS1_3gpuE8ELNS1_3repE0EEENS1_38merge_mergepath_config_static_selectorELNS0_4arch9wavefront6targetE0EEEvSF_.kd
    .uniform_work_group_size: 1
    .uses_dynamic_stack: false
    .vgpr_count:     0
    .vgpr_spill_count: 0
    .wavefront_size: 32
  - .args:
      - .offset:         0
        .size:           64
        .value_kind:     by_value
    .group_segment_fixed_size: 0
    .kernarg_segment_align: 8
    .kernarg_segment_size: 64
    .language:       OpenCL C
    .language_version:
      - 2
      - 0
    .max_flat_workgroup_size: 128
    .name:           _ZN7rocprim17ROCPRIM_400000_NS6detail17trampoline_kernelINS0_14default_configENS1_38merge_sort_block_merge_config_selectorIhNS0_10empty_typeEEEZZNS1_27merge_sort_block_merge_implIS3_PhPS5_jNS1_19radix_merge_compareILb0ELb0EhNS0_19identity_decomposerEEEEE10hipError_tT0_T1_T2_jT3_P12ihipStream_tbPNSt15iterator_traitsISE_E10value_typeEPNSK_ISF_E10value_typeEPSG_NS1_7vsmem_tEENKUlT_SE_SF_SG_E_clIS8_S8_S9_S9_EESD_ST_SE_SF_SG_EUlST_E0_NS1_11comp_targetILNS1_3genE3ELNS1_11target_archE908ELNS1_3gpuE7ELNS1_3repE0EEENS1_38merge_mergepath_config_static_selectorELNS0_4arch9wavefront6targetE0EEEvSF_
    .private_segment_fixed_size: 0
    .sgpr_count:     0
    .sgpr_spill_count: 0
    .symbol:         _ZN7rocprim17ROCPRIM_400000_NS6detail17trampoline_kernelINS0_14default_configENS1_38merge_sort_block_merge_config_selectorIhNS0_10empty_typeEEEZZNS1_27merge_sort_block_merge_implIS3_PhPS5_jNS1_19radix_merge_compareILb0ELb0EhNS0_19identity_decomposerEEEEE10hipError_tT0_T1_T2_jT3_P12ihipStream_tbPNSt15iterator_traitsISE_E10value_typeEPNSK_ISF_E10value_typeEPSG_NS1_7vsmem_tEENKUlT_SE_SF_SG_E_clIS8_S8_S9_S9_EESD_ST_SE_SF_SG_EUlST_E0_NS1_11comp_targetILNS1_3genE3ELNS1_11target_archE908ELNS1_3gpuE7ELNS1_3repE0EEENS1_38merge_mergepath_config_static_selectorELNS0_4arch9wavefront6targetE0EEEvSF_.kd
    .uniform_work_group_size: 1
    .uses_dynamic_stack: false
    .vgpr_count:     0
    .vgpr_spill_count: 0
    .wavefront_size: 32
  - .args:
      - .offset:         0
        .size:           64
        .value_kind:     by_value
    .group_segment_fixed_size: 0
    .kernarg_segment_align: 8
    .kernarg_segment_size: 64
    .language:       OpenCL C
    .language_version:
      - 2
      - 0
    .max_flat_workgroup_size: 128
    .name:           _ZN7rocprim17ROCPRIM_400000_NS6detail17trampoline_kernelINS0_14default_configENS1_38merge_sort_block_merge_config_selectorIhNS0_10empty_typeEEEZZNS1_27merge_sort_block_merge_implIS3_PhPS5_jNS1_19radix_merge_compareILb0ELb0EhNS0_19identity_decomposerEEEEE10hipError_tT0_T1_T2_jT3_P12ihipStream_tbPNSt15iterator_traitsISE_E10value_typeEPNSK_ISF_E10value_typeEPSG_NS1_7vsmem_tEENKUlT_SE_SF_SG_E_clIS8_S8_S9_S9_EESD_ST_SE_SF_SG_EUlST_E0_NS1_11comp_targetILNS1_3genE2ELNS1_11target_archE906ELNS1_3gpuE6ELNS1_3repE0EEENS1_38merge_mergepath_config_static_selectorELNS0_4arch9wavefront6targetE0EEEvSF_
    .private_segment_fixed_size: 0
    .sgpr_count:     0
    .sgpr_spill_count: 0
    .symbol:         _ZN7rocprim17ROCPRIM_400000_NS6detail17trampoline_kernelINS0_14default_configENS1_38merge_sort_block_merge_config_selectorIhNS0_10empty_typeEEEZZNS1_27merge_sort_block_merge_implIS3_PhPS5_jNS1_19radix_merge_compareILb0ELb0EhNS0_19identity_decomposerEEEEE10hipError_tT0_T1_T2_jT3_P12ihipStream_tbPNSt15iterator_traitsISE_E10value_typeEPNSK_ISF_E10value_typeEPSG_NS1_7vsmem_tEENKUlT_SE_SF_SG_E_clIS8_S8_S9_S9_EESD_ST_SE_SF_SG_EUlST_E0_NS1_11comp_targetILNS1_3genE2ELNS1_11target_archE906ELNS1_3gpuE6ELNS1_3repE0EEENS1_38merge_mergepath_config_static_selectorELNS0_4arch9wavefront6targetE0EEEvSF_.kd
    .uniform_work_group_size: 1
    .uses_dynamic_stack: false
    .vgpr_count:     0
    .vgpr_spill_count: 0
    .wavefront_size: 32
  - .args:
      - .offset:         0
        .size:           64
        .value_kind:     by_value
    .group_segment_fixed_size: 0
    .kernarg_segment_align: 8
    .kernarg_segment_size: 64
    .language:       OpenCL C
    .language_version:
      - 2
      - 0
    .max_flat_workgroup_size: 128
    .name:           _ZN7rocprim17ROCPRIM_400000_NS6detail17trampoline_kernelINS0_14default_configENS1_38merge_sort_block_merge_config_selectorIhNS0_10empty_typeEEEZZNS1_27merge_sort_block_merge_implIS3_PhPS5_jNS1_19radix_merge_compareILb0ELb0EhNS0_19identity_decomposerEEEEE10hipError_tT0_T1_T2_jT3_P12ihipStream_tbPNSt15iterator_traitsISE_E10value_typeEPNSK_ISF_E10value_typeEPSG_NS1_7vsmem_tEENKUlT_SE_SF_SG_E_clIS8_S8_S9_S9_EESD_ST_SE_SF_SG_EUlST_E0_NS1_11comp_targetILNS1_3genE9ELNS1_11target_archE1100ELNS1_3gpuE3ELNS1_3repE0EEENS1_38merge_mergepath_config_static_selectorELNS0_4arch9wavefront6targetE0EEEvSF_
    .private_segment_fixed_size: 0
    .sgpr_count:     0
    .sgpr_spill_count: 0
    .symbol:         _ZN7rocprim17ROCPRIM_400000_NS6detail17trampoline_kernelINS0_14default_configENS1_38merge_sort_block_merge_config_selectorIhNS0_10empty_typeEEEZZNS1_27merge_sort_block_merge_implIS3_PhPS5_jNS1_19radix_merge_compareILb0ELb0EhNS0_19identity_decomposerEEEEE10hipError_tT0_T1_T2_jT3_P12ihipStream_tbPNSt15iterator_traitsISE_E10value_typeEPNSK_ISF_E10value_typeEPSG_NS1_7vsmem_tEENKUlT_SE_SF_SG_E_clIS8_S8_S9_S9_EESD_ST_SE_SF_SG_EUlST_E0_NS1_11comp_targetILNS1_3genE9ELNS1_11target_archE1100ELNS1_3gpuE3ELNS1_3repE0EEENS1_38merge_mergepath_config_static_selectorELNS0_4arch9wavefront6targetE0EEEvSF_.kd
    .uniform_work_group_size: 1
    .uses_dynamic_stack: false
    .vgpr_count:     0
    .vgpr_spill_count: 0
    .wavefront_size: 32
  - .args:
      - .offset:         0
        .size:           64
        .value_kind:     by_value
    .group_segment_fixed_size: 0
    .kernarg_segment_align: 8
    .kernarg_segment_size: 64
    .language:       OpenCL C
    .language_version:
      - 2
      - 0
    .max_flat_workgroup_size: 128
    .name:           _ZN7rocprim17ROCPRIM_400000_NS6detail17trampoline_kernelINS0_14default_configENS1_38merge_sort_block_merge_config_selectorIhNS0_10empty_typeEEEZZNS1_27merge_sort_block_merge_implIS3_PhPS5_jNS1_19radix_merge_compareILb0ELb0EhNS0_19identity_decomposerEEEEE10hipError_tT0_T1_T2_jT3_P12ihipStream_tbPNSt15iterator_traitsISE_E10value_typeEPNSK_ISF_E10value_typeEPSG_NS1_7vsmem_tEENKUlT_SE_SF_SG_E_clIS8_S8_S9_S9_EESD_ST_SE_SF_SG_EUlST_E0_NS1_11comp_targetILNS1_3genE8ELNS1_11target_archE1030ELNS1_3gpuE2ELNS1_3repE0EEENS1_38merge_mergepath_config_static_selectorELNS0_4arch9wavefront6targetE0EEEvSF_
    .private_segment_fixed_size: 0
    .sgpr_count:     0
    .sgpr_spill_count: 0
    .symbol:         _ZN7rocprim17ROCPRIM_400000_NS6detail17trampoline_kernelINS0_14default_configENS1_38merge_sort_block_merge_config_selectorIhNS0_10empty_typeEEEZZNS1_27merge_sort_block_merge_implIS3_PhPS5_jNS1_19radix_merge_compareILb0ELb0EhNS0_19identity_decomposerEEEEE10hipError_tT0_T1_T2_jT3_P12ihipStream_tbPNSt15iterator_traitsISE_E10value_typeEPNSK_ISF_E10value_typeEPSG_NS1_7vsmem_tEENKUlT_SE_SF_SG_E_clIS8_S8_S9_S9_EESD_ST_SE_SF_SG_EUlST_E0_NS1_11comp_targetILNS1_3genE8ELNS1_11target_archE1030ELNS1_3gpuE2ELNS1_3repE0EEENS1_38merge_mergepath_config_static_selectorELNS0_4arch9wavefront6targetE0EEEvSF_.kd
    .uniform_work_group_size: 1
    .uses_dynamic_stack: false
    .vgpr_count:     0
    .vgpr_spill_count: 0
    .wavefront_size: 32
  - .args:
      - .offset:         0
        .size:           48
        .value_kind:     by_value
    .group_segment_fixed_size: 0
    .kernarg_segment_align: 8
    .kernarg_segment_size: 48
    .language:       OpenCL C
    .language_version:
      - 2
      - 0
    .max_flat_workgroup_size: 256
    .name:           _ZN7rocprim17ROCPRIM_400000_NS6detail17trampoline_kernelINS0_14default_configENS1_38merge_sort_block_merge_config_selectorIhNS0_10empty_typeEEEZZNS1_27merge_sort_block_merge_implIS3_PhPS5_jNS1_19radix_merge_compareILb0ELb0EhNS0_19identity_decomposerEEEEE10hipError_tT0_T1_T2_jT3_P12ihipStream_tbPNSt15iterator_traitsISE_E10value_typeEPNSK_ISF_E10value_typeEPSG_NS1_7vsmem_tEENKUlT_SE_SF_SG_E_clIS8_S8_S9_S9_EESD_ST_SE_SF_SG_EUlST_E1_NS1_11comp_targetILNS1_3genE0ELNS1_11target_archE4294967295ELNS1_3gpuE0ELNS1_3repE0EEENS1_36merge_oddeven_config_static_selectorELNS0_4arch9wavefront6targetE0EEEvSF_
    .private_segment_fixed_size: 0
    .sgpr_count:     17
    .sgpr_spill_count: 0
    .symbol:         _ZN7rocprim17ROCPRIM_400000_NS6detail17trampoline_kernelINS0_14default_configENS1_38merge_sort_block_merge_config_selectorIhNS0_10empty_typeEEEZZNS1_27merge_sort_block_merge_implIS3_PhPS5_jNS1_19radix_merge_compareILb0ELb0EhNS0_19identity_decomposerEEEEE10hipError_tT0_T1_T2_jT3_P12ihipStream_tbPNSt15iterator_traitsISE_E10value_typeEPNSK_ISF_E10value_typeEPSG_NS1_7vsmem_tEENKUlT_SE_SF_SG_E_clIS8_S8_S9_S9_EESD_ST_SE_SF_SG_EUlST_E1_NS1_11comp_targetILNS1_3genE0ELNS1_11target_archE4294967295ELNS1_3gpuE0ELNS1_3repE0EEENS1_36merge_oddeven_config_static_selectorELNS0_4arch9wavefront6targetE0EEEvSF_.kd
    .uniform_work_group_size: 1
    .uses_dynamic_stack: false
    .vgpr_count:     8
    .vgpr_spill_count: 0
    .wavefront_size: 32
  - .args:
      - .offset:         0
        .size:           48
        .value_kind:     by_value
    .group_segment_fixed_size: 0
    .kernarg_segment_align: 8
    .kernarg_segment_size: 48
    .language:       OpenCL C
    .language_version:
      - 2
      - 0
    .max_flat_workgroup_size: 256
    .name:           _ZN7rocprim17ROCPRIM_400000_NS6detail17trampoline_kernelINS0_14default_configENS1_38merge_sort_block_merge_config_selectorIhNS0_10empty_typeEEEZZNS1_27merge_sort_block_merge_implIS3_PhPS5_jNS1_19radix_merge_compareILb0ELb0EhNS0_19identity_decomposerEEEEE10hipError_tT0_T1_T2_jT3_P12ihipStream_tbPNSt15iterator_traitsISE_E10value_typeEPNSK_ISF_E10value_typeEPSG_NS1_7vsmem_tEENKUlT_SE_SF_SG_E_clIS8_S8_S9_S9_EESD_ST_SE_SF_SG_EUlST_E1_NS1_11comp_targetILNS1_3genE10ELNS1_11target_archE1201ELNS1_3gpuE5ELNS1_3repE0EEENS1_36merge_oddeven_config_static_selectorELNS0_4arch9wavefront6targetE0EEEvSF_
    .private_segment_fixed_size: 0
    .sgpr_count:     0
    .sgpr_spill_count: 0
    .symbol:         _ZN7rocprim17ROCPRIM_400000_NS6detail17trampoline_kernelINS0_14default_configENS1_38merge_sort_block_merge_config_selectorIhNS0_10empty_typeEEEZZNS1_27merge_sort_block_merge_implIS3_PhPS5_jNS1_19radix_merge_compareILb0ELb0EhNS0_19identity_decomposerEEEEE10hipError_tT0_T1_T2_jT3_P12ihipStream_tbPNSt15iterator_traitsISE_E10value_typeEPNSK_ISF_E10value_typeEPSG_NS1_7vsmem_tEENKUlT_SE_SF_SG_E_clIS8_S8_S9_S9_EESD_ST_SE_SF_SG_EUlST_E1_NS1_11comp_targetILNS1_3genE10ELNS1_11target_archE1201ELNS1_3gpuE5ELNS1_3repE0EEENS1_36merge_oddeven_config_static_selectorELNS0_4arch9wavefront6targetE0EEEvSF_.kd
    .uniform_work_group_size: 1
    .uses_dynamic_stack: false
    .vgpr_count:     0
    .vgpr_spill_count: 0
    .wavefront_size: 32
  - .args:
      - .offset:         0
        .size:           48
        .value_kind:     by_value
    .group_segment_fixed_size: 0
    .kernarg_segment_align: 8
    .kernarg_segment_size: 48
    .language:       OpenCL C
    .language_version:
      - 2
      - 0
    .max_flat_workgroup_size: 256
    .name:           _ZN7rocprim17ROCPRIM_400000_NS6detail17trampoline_kernelINS0_14default_configENS1_38merge_sort_block_merge_config_selectorIhNS0_10empty_typeEEEZZNS1_27merge_sort_block_merge_implIS3_PhPS5_jNS1_19radix_merge_compareILb0ELb0EhNS0_19identity_decomposerEEEEE10hipError_tT0_T1_T2_jT3_P12ihipStream_tbPNSt15iterator_traitsISE_E10value_typeEPNSK_ISF_E10value_typeEPSG_NS1_7vsmem_tEENKUlT_SE_SF_SG_E_clIS8_S8_S9_S9_EESD_ST_SE_SF_SG_EUlST_E1_NS1_11comp_targetILNS1_3genE5ELNS1_11target_archE942ELNS1_3gpuE9ELNS1_3repE0EEENS1_36merge_oddeven_config_static_selectorELNS0_4arch9wavefront6targetE0EEEvSF_
    .private_segment_fixed_size: 0
    .sgpr_count:     0
    .sgpr_spill_count: 0
    .symbol:         _ZN7rocprim17ROCPRIM_400000_NS6detail17trampoline_kernelINS0_14default_configENS1_38merge_sort_block_merge_config_selectorIhNS0_10empty_typeEEEZZNS1_27merge_sort_block_merge_implIS3_PhPS5_jNS1_19radix_merge_compareILb0ELb0EhNS0_19identity_decomposerEEEEE10hipError_tT0_T1_T2_jT3_P12ihipStream_tbPNSt15iterator_traitsISE_E10value_typeEPNSK_ISF_E10value_typeEPSG_NS1_7vsmem_tEENKUlT_SE_SF_SG_E_clIS8_S8_S9_S9_EESD_ST_SE_SF_SG_EUlST_E1_NS1_11comp_targetILNS1_3genE5ELNS1_11target_archE942ELNS1_3gpuE9ELNS1_3repE0EEENS1_36merge_oddeven_config_static_selectorELNS0_4arch9wavefront6targetE0EEEvSF_.kd
    .uniform_work_group_size: 1
    .uses_dynamic_stack: false
    .vgpr_count:     0
    .vgpr_spill_count: 0
    .wavefront_size: 32
  - .args:
      - .offset:         0
        .size:           48
        .value_kind:     by_value
    .group_segment_fixed_size: 0
    .kernarg_segment_align: 8
    .kernarg_segment_size: 48
    .language:       OpenCL C
    .language_version:
      - 2
      - 0
    .max_flat_workgroup_size: 256
    .name:           _ZN7rocprim17ROCPRIM_400000_NS6detail17trampoline_kernelINS0_14default_configENS1_38merge_sort_block_merge_config_selectorIhNS0_10empty_typeEEEZZNS1_27merge_sort_block_merge_implIS3_PhPS5_jNS1_19radix_merge_compareILb0ELb0EhNS0_19identity_decomposerEEEEE10hipError_tT0_T1_T2_jT3_P12ihipStream_tbPNSt15iterator_traitsISE_E10value_typeEPNSK_ISF_E10value_typeEPSG_NS1_7vsmem_tEENKUlT_SE_SF_SG_E_clIS8_S8_S9_S9_EESD_ST_SE_SF_SG_EUlST_E1_NS1_11comp_targetILNS1_3genE4ELNS1_11target_archE910ELNS1_3gpuE8ELNS1_3repE0EEENS1_36merge_oddeven_config_static_selectorELNS0_4arch9wavefront6targetE0EEEvSF_
    .private_segment_fixed_size: 0
    .sgpr_count:     0
    .sgpr_spill_count: 0
    .symbol:         _ZN7rocprim17ROCPRIM_400000_NS6detail17trampoline_kernelINS0_14default_configENS1_38merge_sort_block_merge_config_selectorIhNS0_10empty_typeEEEZZNS1_27merge_sort_block_merge_implIS3_PhPS5_jNS1_19radix_merge_compareILb0ELb0EhNS0_19identity_decomposerEEEEE10hipError_tT0_T1_T2_jT3_P12ihipStream_tbPNSt15iterator_traitsISE_E10value_typeEPNSK_ISF_E10value_typeEPSG_NS1_7vsmem_tEENKUlT_SE_SF_SG_E_clIS8_S8_S9_S9_EESD_ST_SE_SF_SG_EUlST_E1_NS1_11comp_targetILNS1_3genE4ELNS1_11target_archE910ELNS1_3gpuE8ELNS1_3repE0EEENS1_36merge_oddeven_config_static_selectorELNS0_4arch9wavefront6targetE0EEEvSF_.kd
    .uniform_work_group_size: 1
    .uses_dynamic_stack: false
    .vgpr_count:     0
    .vgpr_spill_count: 0
    .wavefront_size: 32
  - .args:
      - .offset:         0
        .size:           48
        .value_kind:     by_value
    .group_segment_fixed_size: 0
    .kernarg_segment_align: 8
    .kernarg_segment_size: 48
    .language:       OpenCL C
    .language_version:
      - 2
      - 0
    .max_flat_workgroup_size: 256
    .name:           _ZN7rocprim17ROCPRIM_400000_NS6detail17trampoline_kernelINS0_14default_configENS1_38merge_sort_block_merge_config_selectorIhNS0_10empty_typeEEEZZNS1_27merge_sort_block_merge_implIS3_PhPS5_jNS1_19radix_merge_compareILb0ELb0EhNS0_19identity_decomposerEEEEE10hipError_tT0_T1_T2_jT3_P12ihipStream_tbPNSt15iterator_traitsISE_E10value_typeEPNSK_ISF_E10value_typeEPSG_NS1_7vsmem_tEENKUlT_SE_SF_SG_E_clIS8_S8_S9_S9_EESD_ST_SE_SF_SG_EUlST_E1_NS1_11comp_targetILNS1_3genE3ELNS1_11target_archE908ELNS1_3gpuE7ELNS1_3repE0EEENS1_36merge_oddeven_config_static_selectorELNS0_4arch9wavefront6targetE0EEEvSF_
    .private_segment_fixed_size: 0
    .sgpr_count:     0
    .sgpr_spill_count: 0
    .symbol:         _ZN7rocprim17ROCPRIM_400000_NS6detail17trampoline_kernelINS0_14default_configENS1_38merge_sort_block_merge_config_selectorIhNS0_10empty_typeEEEZZNS1_27merge_sort_block_merge_implIS3_PhPS5_jNS1_19radix_merge_compareILb0ELb0EhNS0_19identity_decomposerEEEEE10hipError_tT0_T1_T2_jT3_P12ihipStream_tbPNSt15iterator_traitsISE_E10value_typeEPNSK_ISF_E10value_typeEPSG_NS1_7vsmem_tEENKUlT_SE_SF_SG_E_clIS8_S8_S9_S9_EESD_ST_SE_SF_SG_EUlST_E1_NS1_11comp_targetILNS1_3genE3ELNS1_11target_archE908ELNS1_3gpuE7ELNS1_3repE0EEENS1_36merge_oddeven_config_static_selectorELNS0_4arch9wavefront6targetE0EEEvSF_.kd
    .uniform_work_group_size: 1
    .uses_dynamic_stack: false
    .vgpr_count:     0
    .vgpr_spill_count: 0
    .wavefront_size: 32
  - .args:
      - .offset:         0
        .size:           48
        .value_kind:     by_value
    .group_segment_fixed_size: 0
    .kernarg_segment_align: 8
    .kernarg_segment_size: 48
    .language:       OpenCL C
    .language_version:
      - 2
      - 0
    .max_flat_workgroup_size: 256
    .name:           _ZN7rocprim17ROCPRIM_400000_NS6detail17trampoline_kernelINS0_14default_configENS1_38merge_sort_block_merge_config_selectorIhNS0_10empty_typeEEEZZNS1_27merge_sort_block_merge_implIS3_PhPS5_jNS1_19radix_merge_compareILb0ELb0EhNS0_19identity_decomposerEEEEE10hipError_tT0_T1_T2_jT3_P12ihipStream_tbPNSt15iterator_traitsISE_E10value_typeEPNSK_ISF_E10value_typeEPSG_NS1_7vsmem_tEENKUlT_SE_SF_SG_E_clIS8_S8_S9_S9_EESD_ST_SE_SF_SG_EUlST_E1_NS1_11comp_targetILNS1_3genE2ELNS1_11target_archE906ELNS1_3gpuE6ELNS1_3repE0EEENS1_36merge_oddeven_config_static_selectorELNS0_4arch9wavefront6targetE0EEEvSF_
    .private_segment_fixed_size: 0
    .sgpr_count:     0
    .sgpr_spill_count: 0
    .symbol:         _ZN7rocprim17ROCPRIM_400000_NS6detail17trampoline_kernelINS0_14default_configENS1_38merge_sort_block_merge_config_selectorIhNS0_10empty_typeEEEZZNS1_27merge_sort_block_merge_implIS3_PhPS5_jNS1_19radix_merge_compareILb0ELb0EhNS0_19identity_decomposerEEEEE10hipError_tT0_T1_T2_jT3_P12ihipStream_tbPNSt15iterator_traitsISE_E10value_typeEPNSK_ISF_E10value_typeEPSG_NS1_7vsmem_tEENKUlT_SE_SF_SG_E_clIS8_S8_S9_S9_EESD_ST_SE_SF_SG_EUlST_E1_NS1_11comp_targetILNS1_3genE2ELNS1_11target_archE906ELNS1_3gpuE6ELNS1_3repE0EEENS1_36merge_oddeven_config_static_selectorELNS0_4arch9wavefront6targetE0EEEvSF_.kd
    .uniform_work_group_size: 1
    .uses_dynamic_stack: false
    .vgpr_count:     0
    .vgpr_spill_count: 0
    .wavefront_size: 32
  - .args:
      - .offset:         0
        .size:           48
        .value_kind:     by_value
    .group_segment_fixed_size: 0
    .kernarg_segment_align: 8
    .kernarg_segment_size: 48
    .language:       OpenCL C
    .language_version:
      - 2
      - 0
    .max_flat_workgroup_size: 256
    .name:           _ZN7rocprim17ROCPRIM_400000_NS6detail17trampoline_kernelINS0_14default_configENS1_38merge_sort_block_merge_config_selectorIhNS0_10empty_typeEEEZZNS1_27merge_sort_block_merge_implIS3_PhPS5_jNS1_19radix_merge_compareILb0ELb0EhNS0_19identity_decomposerEEEEE10hipError_tT0_T1_T2_jT3_P12ihipStream_tbPNSt15iterator_traitsISE_E10value_typeEPNSK_ISF_E10value_typeEPSG_NS1_7vsmem_tEENKUlT_SE_SF_SG_E_clIS8_S8_S9_S9_EESD_ST_SE_SF_SG_EUlST_E1_NS1_11comp_targetILNS1_3genE9ELNS1_11target_archE1100ELNS1_3gpuE3ELNS1_3repE0EEENS1_36merge_oddeven_config_static_selectorELNS0_4arch9wavefront6targetE0EEEvSF_
    .private_segment_fixed_size: 0
    .sgpr_count:     0
    .sgpr_spill_count: 0
    .symbol:         _ZN7rocprim17ROCPRIM_400000_NS6detail17trampoline_kernelINS0_14default_configENS1_38merge_sort_block_merge_config_selectorIhNS0_10empty_typeEEEZZNS1_27merge_sort_block_merge_implIS3_PhPS5_jNS1_19radix_merge_compareILb0ELb0EhNS0_19identity_decomposerEEEEE10hipError_tT0_T1_T2_jT3_P12ihipStream_tbPNSt15iterator_traitsISE_E10value_typeEPNSK_ISF_E10value_typeEPSG_NS1_7vsmem_tEENKUlT_SE_SF_SG_E_clIS8_S8_S9_S9_EESD_ST_SE_SF_SG_EUlST_E1_NS1_11comp_targetILNS1_3genE9ELNS1_11target_archE1100ELNS1_3gpuE3ELNS1_3repE0EEENS1_36merge_oddeven_config_static_selectorELNS0_4arch9wavefront6targetE0EEEvSF_.kd
    .uniform_work_group_size: 1
    .uses_dynamic_stack: false
    .vgpr_count:     0
    .vgpr_spill_count: 0
    .wavefront_size: 32
  - .args:
      - .offset:         0
        .size:           48
        .value_kind:     by_value
    .group_segment_fixed_size: 0
    .kernarg_segment_align: 8
    .kernarg_segment_size: 48
    .language:       OpenCL C
    .language_version:
      - 2
      - 0
    .max_flat_workgroup_size: 256
    .name:           _ZN7rocprim17ROCPRIM_400000_NS6detail17trampoline_kernelINS0_14default_configENS1_38merge_sort_block_merge_config_selectorIhNS0_10empty_typeEEEZZNS1_27merge_sort_block_merge_implIS3_PhPS5_jNS1_19radix_merge_compareILb0ELb0EhNS0_19identity_decomposerEEEEE10hipError_tT0_T1_T2_jT3_P12ihipStream_tbPNSt15iterator_traitsISE_E10value_typeEPNSK_ISF_E10value_typeEPSG_NS1_7vsmem_tEENKUlT_SE_SF_SG_E_clIS8_S8_S9_S9_EESD_ST_SE_SF_SG_EUlST_E1_NS1_11comp_targetILNS1_3genE8ELNS1_11target_archE1030ELNS1_3gpuE2ELNS1_3repE0EEENS1_36merge_oddeven_config_static_selectorELNS0_4arch9wavefront6targetE0EEEvSF_
    .private_segment_fixed_size: 0
    .sgpr_count:     0
    .sgpr_spill_count: 0
    .symbol:         _ZN7rocprim17ROCPRIM_400000_NS6detail17trampoline_kernelINS0_14default_configENS1_38merge_sort_block_merge_config_selectorIhNS0_10empty_typeEEEZZNS1_27merge_sort_block_merge_implIS3_PhPS5_jNS1_19radix_merge_compareILb0ELb0EhNS0_19identity_decomposerEEEEE10hipError_tT0_T1_T2_jT3_P12ihipStream_tbPNSt15iterator_traitsISE_E10value_typeEPNSK_ISF_E10value_typeEPSG_NS1_7vsmem_tEENKUlT_SE_SF_SG_E_clIS8_S8_S9_S9_EESD_ST_SE_SF_SG_EUlST_E1_NS1_11comp_targetILNS1_3genE8ELNS1_11target_archE1030ELNS1_3gpuE2ELNS1_3repE0EEENS1_36merge_oddeven_config_static_selectorELNS0_4arch9wavefront6targetE0EEEvSF_.kd
    .uniform_work_group_size: 1
    .uses_dynamic_stack: false
    .vgpr_count:     0
    .vgpr_spill_count: 0
    .wavefront_size: 32
  - .args:
      - .offset:         0
        .size:           40
        .value_kind:     by_value
    .group_segment_fixed_size: 0
    .kernarg_segment_align: 8
    .kernarg_segment_size: 40
    .language:       OpenCL C
    .language_version:
      - 2
      - 0
    .max_flat_workgroup_size: 128
    .name:           _ZN7rocprim17ROCPRIM_400000_NS6detail17trampoline_kernelINS0_14default_configENS1_38merge_sort_block_merge_config_selectorIhNS0_10empty_typeEEEZZNS1_27merge_sort_block_merge_implIS3_PhPS5_jNS1_19radix_merge_compareILb0ELb1EhNS0_19identity_decomposerEEEEE10hipError_tT0_T1_T2_jT3_P12ihipStream_tbPNSt15iterator_traitsISE_E10value_typeEPNSK_ISF_E10value_typeEPSG_NS1_7vsmem_tEENKUlT_SE_SF_SG_E_clIS8_S8_S9_S9_EESD_ST_SE_SF_SG_EUlST_E_NS1_11comp_targetILNS1_3genE0ELNS1_11target_archE4294967295ELNS1_3gpuE0ELNS1_3repE0EEENS1_48merge_mergepath_partition_config_static_selectorELNS0_4arch9wavefront6targetE0EEEvSF_
    .private_segment_fixed_size: 0
    .sgpr_count:     10
    .sgpr_spill_count: 0
    .symbol:         _ZN7rocprim17ROCPRIM_400000_NS6detail17trampoline_kernelINS0_14default_configENS1_38merge_sort_block_merge_config_selectorIhNS0_10empty_typeEEEZZNS1_27merge_sort_block_merge_implIS3_PhPS5_jNS1_19radix_merge_compareILb0ELb1EhNS0_19identity_decomposerEEEEE10hipError_tT0_T1_T2_jT3_P12ihipStream_tbPNSt15iterator_traitsISE_E10value_typeEPNSK_ISF_E10value_typeEPSG_NS1_7vsmem_tEENKUlT_SE_SF_SG_E_clIS8_S8_S9_S9_EESD_ST_SE_SF_SG_EUlST_E_NS1_11comp_targetILNS1_3genE0ELNS1_11target_archE4294967295ELNS1_3gpuE0ELNS1_3repE0EEENS1_48merge_mergepath_partition_config_static_selectorELNS0_4arch9wavefront6targetE0EEEvSF_.kd
    .uniform_work_group_size: 1
    .uses_dynamic_stack: false
    .vgpr_count:     17
    .vgpr_spill_count: 0
    .wavefront_size: 32
  - .args:
      - .offset:         0
        .size:           40
        .value_kind:     by_value
    .group_segment_fixed_size: 0
    .kernarg_segment_align: 8
    .kernarg_segment_size: 40
    .language:       OpenCL C
    .language_version:
      - 2
      - 0
    .max_flat_workgroup_size: 128
    .name:           _ZN7rocprim17ROCPRIM_400000_NS6detail17trampoline_kernelINS0_14default_configENS1_38merge_sort_block_merge_config_selectorIhNS0_10empty_typeEEEZZNS1_27merge_sort_block_merge_implIS3_PhPS5_jNS1_19radix_merge_compareILb0ELb1EhNS0_19identity_decomposerEEEEE10hipError_tT0_T1_T2_jT3_P12ihipStream_tbPNSt15iterator_traitsISE_E10value_typeEPNSK_ISF_E10value_typeEPSG_NS1_7vsmem_tEENKUlT_SE_SF_SG_E_clIS8_S8_S9_S9_EESD_ST_SE_SF_SG_EUlST_E_NS1_11comp_targetILNS1_3genE10ELNS1_11target_archE1201ELNS1_3gpuE5ELNS1_3repE0EEENS1_48merge_mergepath_partition_config_static_selectorELNS0_4arch9wavefront6targetE0EEEvSF_
    .private_segment_fixed_size: 0
    .sgpr_count:     0
    .sgpr_spill_count: 0
    .symbol:         _ZN7rocprim17ROCPRIM_400000_NS6detail17trampoline_kernelINS0_14default_configENS1_38merge_sort_block_merge_config_selectorIhNS0_10empty_typeEEEZZNS1_27merge_sort_block_merge_implIS3_PhPS5_jNS1_19radix_merge_compareILb0ELb1EhNS0_19identity_decomposerEEEEE10hipError_tT0_T1_T2_jT3_P12ihipStream_tbPNSt15iterator_traitsISE_E10value_typeEPNSK_ISF_E10value_typeEPSG_NS1_7vsmem_tEENKUlT_SE_SF_SG_E_clIS8_S8_S9_S9_EESD_ST_SE_SF_SG_EUlST_E_NS1_11comp_targetILNS1_3genE10ELNS1_11target_archE1201ELNS1_3gpuE5ELNS1_3repE0EEENS1_48merge_mergepath_partition_config_static_selectorELNS0_4arch9wavefront6targetE0EEEvSF_.kd
    .uniform_work_group_size: 1
    .uses_dynamic_stack: false
    .vgpr_count:     0
    .vgpr_spill_count: 0
    .wavefront_size: 32
  - .args:
      - .offset:         0
        .size:           40
        .value_kind:     by_value
    .group_segment_fixed_size: 0
    .kernarg_segment_align: 8
    .kernarg_segment_size: 40
    .language:       OpenCL C
    .language_version:
      - 2
      - 0
    .max_flat_workgroup_size: 128
    .name:           _ZN7rocprim17ROCPRIM_400000_NS6detail17trampoline_kernelINS0_14default_configENS1_38merge_sort_block_merge_config_selectorIhNS0_10empty_typeEEEZZNS1_27merge_sort_block_merge_implIS3_PhPS5_jNS1_19radix_merge_compareILb0ELb1EhNS0_19identity_decomposerEEEEE10hipError_tT0_T1_T2_jT3_P12ihipStream_tbPNSt15iterator_traitsISE_E10value_typeEPNSK_ISF_E10value_typeEPSG_NS1_7vsmem_tEENKUlT_SE_SF_SG_E_clIS8_S8_S9_S9_EESD_ST_SE_SF_SG_EUlST_E_NS1_11comp_targetILNS1_3genE5ELNS1_11target_archE942ELNS1_3gpuE9ELNS1_3repE0EEENS1_48merge_mergepath_partition_config_static_selectorELNS0_4arch9wavefront6targetE0EEEvSF_
    .private_segment_fixed_size: 0
    .sgpr_count:     0
    .sgpr_spill_count: 0
    .symbol:         _ZN7rocprim17ROCPRIM_400000_NS6detail17trampoline_kernelINS0_14default_configENS1_38merge_sort_block_merge_config_selectorIhNS0_10empty_typeEEEZZNS1_27merge_sort_block_merge_implIS3_PhPS5_jNS1_19radix_merge_compareILb0ELb1EhNS0_19identity_decomposerEEEEE10hipError_tT0_T1_T2_jT3_P12ihipStream_tbPNSt15iterator_traitsISE_E10value_typeEPNSK_ISF_E10value_typeEPSG_NS1_7vsmem_tEENKUlT_SE_SF_SG_E_clIS8_S8_S9_S9_EESD_ST_SE_SF_SG_EUlST_E_NS1_11comp_targetILNS1_3genE5ELNS1_11target_archE942ELNS1_3gpuE9ELNS1_3repE0EEENS1_48merge_mergepath_partition_config_static_selectorELNS0_4arch9wavefront6targetE0EEEvSF_.kd
    .uniform_work_group_size: 1
    .uses_dynamic_stack: false
    .vgpr_count:     0
    .vgpr_spill_count: 0
    .wavefront_size: 32
  - .args:
      - .offset:         0
        .size:           40
        .value_kind:     by_value
    .group_segment_fixed_size: 0
    .kernarg_segment_align: 8
    .kernarg_segment_size: 40
    .language:       OpenCL C
    .language_version:
      - 2
      - 0
    .max_flat_workgroup_size: 128
    .name:           _ZN7rocprim17ROCPRIM_400000_NS6detail17trampoline_kernelINS0_14default_configENS1_38merge_sort_block_merge_config_selectorIhNS0_10empty_typeEEEZZNS1_27merge_sort_block_merge_implIS3_PhPS5_jNS1_19radix_merge_compareILb0ELb1EhNS0_19identity_decomposerEEEEE10hipError_tT0_T1_T2_jT3_P12ihipStream_tbPNSt15iterator_traitsISE_E10value_typeEPNSK_ISF_E10value_typeEPSG_NS1_7vsmem_tEENKUlT_SE_SF_SG_E_clIS8_S8_S9_S9_EESD_ST_SE_SF_SG_EUlST_E_NS1_11comp_targetILNS1_3genE4ELNS1_11target_archE910ELNS1_3gpuE8ELNS1_3repE0EEENS1_48merge_mergepath_partition_config_static_selectorELNS0_4arch9wavefront6targetE0EEEvSF_
    .private_segment_fixed_size: 0
    .sgpr_count:     0
    .sgpr_spill_count: 0
    .symbol:         _ZN7rocprim17ROCPRIM_400000_NS6detail17trampoline_kernelINS0_14default_configENS1_38merge_sort_block_merge_config_selectorIhNS0_10empty_typeEEEZZNS1_27merge_sort_block_merge_implIS3_PhPS5_jNS1_19radix_merge_compareILb0ELb1EhNS0_19identity_decomposerEEEEE10hipError_tT0_T1_T2_jT3_P12ihipStream_tbPNSt15iterator_traitsISE_E10value_typeEPNSK_ISF_E10value_typeEPSG_NS1_7vsmem_tEENKUlT_SE_SF_SG_E_clIS8_S8_S9_S9_EESD_ST_SE_SF_SG_EUlST_E_NS1_11comp_targetILNS1_3genE4ELNS1_11target_archE910ELNS1_3gpuE8ELNS1_3repE0EEENS1_48merge_mergepath_partition_config_static_selectorELNS0_4arch9wavefront6targetE0EEEvSF_.kd
    .uniform_work_group_size: 1
    .uses_dynamic_stack: false
    .vgpr_count:     0
    .vgpr_spill_count: 0
    .wavefront_size: 32
  - .args:
      - .offset:         0
        .size:           40
        .value_kind:     by_value
    .group_segment_fixed_size: 0
    .kernarg_segment_align: 8
    .kernarg_segment_size: 40
    .language:       OpenCL C
    .language_version:
      - 2
      - 0
    .max_flat_workgroup_size: 128
    .name:           _ZN7rocprim17ROCPRIM_400000_NS6detail17trampoline_kernelINS0_14default_configENS1_38merge_sort_block_merge_config_selectorIhNS0_10empty_typeEEEZZNS1_27merge_sort_block_merge_implIS3_PhPS5_jNS1_19radix_merge_compareILb0ELb1EhNS0_19identity_decomposerEEEEE10hipError_tT0_T1_T2_jT3_P12ihipStream_tbPNSt15iterator_traitsISE_E10value_typeEPNSK_ISF_E10value_typeEPSG_NS1_7vsmem_tEENKUlT_SE_SF_SG_E_clIS8_S8_S9_S9_EESD_ST_SE_SF_SG_EUlST_E_NS1_11comp_targetILNS1_3genE3ELNS1_11target_archE908ELNS1_3gpuE7ELNS1_3repE0EEENS1_48merge_mergepath_partition_config_static_selectorELNS0_4arch9wavefront6targetE0EEEvSF_
    .private_segment_fixed_size: 0
    .sgpr_count:     0
    .sgpr_spill_count: 0
    .symbol:         _ZN7rocprim17ROCPRIM_400000_NS6detail17trampoline_kernelINS0_14default_configENS1_38merge_sort_block_merge_config_selectorIhNS0_10empty_typeEEEZZNS1_27merge_sort_block_merge_implIS3_PhPS5_jNS1_19radix_merge_compareILb0ELb1EhNS0_19identity_decomposerEEEEE10hipError_tT0_T1_T2_jT3_P12ihipStream_tbPNSt15iterator_traitsISE_E10value_typeEPNSK_ISF_E10value_typeEPSG_NS1_7vsmem_tEENKUlT_SE_SF_SG_E_clIS8_S8_S9_S9_EESD_ST_SE_SF_SG_EUlST_E_NS1_11comp_targetILNS1_3genE3ELNS1_11target_archE908ELNS1_3gpuE7ELNS1_3repE0EEENS1_48merge_mergepath_partition_config_static_selectorELNS0_4arch9wavefront6targetE0EEEvSF_.kd
    .uniform_work_group_size: 1
    .uses_dynamic_stack: false
    .vgpr_count:     0
    .vgpr_spill_count: 0
    .wavefront_size: 32
  - .args:
      - .offset:         0
        .size:           40
        .value_kind:     by_value
    .group_segment_fixed_size: 0
    .kernarg_segment_align: 8
    .kernarg_segment_size: 40
    .language:       OpenCL C
    .language_version:
      - 2
      - 0
    .max_flat_workgroup_size: 128
    .name:           _ZN7rocprim17ROCPRIM_400000_NS6detail17trampoline_kernelINS0_14default_configENS1_38merge_sort_block_merge_config_selectorIhNS0_10empty_typeEEEZZNS1_27merge_sort_block_merge_implIS3_PhPS5_jNS1_19radix_merge_compareILb0ELb1EhNS0_19identity_decomposerEEEEE10hipError_tT0_T1_T2_jT3_P12ihipStream_tbPNSt15iterator_traitsISE_E10value_typeEPNSK_ISF_E10value_typeEPSG_NS1_7vsmem_tEENKUlT_SE_SF_SG_E_clIS8_S8_S9_S9_EESD_ST_SE_SF_SG_EUlST_E_NS1_11comp_targetILNS1_3genE2ELNS1_11target_archE906ELNS1_3gpuE6ELNS1_3repE0EEENS1_48merge_mergepath_partition_config_static_selectorELNS0_4arch9wavefront6targetE0EEEvSF_
    .private_segment_fixed_size: 0
    .sgpr_count:     0
    .sgpr_spill_count: 0
    .symbol:         _ZN7rocprim17ROCPRIM_400000_NS6detail17trampoline_kernelINS0_14default_configENS1_38merge_sort_block_merge_config_selectorIhNS0_10empty_typeEEEZZNS1_27merge_sort_block_merge_implIS3_PhPS5_jNS1_19radix_merge_compareILb0ELb1EhNS0_19identity_decomposerEEEEE10hipError_tT0_T1_T2_jT3_P12ihipStream_tbPNSt15iterator_traitsISE_E10value_typeEPNSK_ISF_E10value_typeEPSG_NS1_7vsmem_tEENKUlT_SE_SF_SG_E_clIS8_S8_S9_S9_EESD_ST_SE_SF_SG_EUlST_E_NS1_11comp_targetILNS1_3genE2ELNS1_11target_archE906ELNS1_3gpuE6ELNS1_3repE0EEENS1_48merge_mergepath_partition_config_static_selectorELNS0_4arch9wavefront6targetE0EEEvSF_.kd
    .uniform_work_group_size: 1
    .uses_dynamic_stack: false
    .vgpr_count:     0
    .vgpr_spill_count: 0
    .wavefront_size: 32
  - .args:
      - .offset:         0
        .size:           40
        .value_kind:     by_value
    .group_segment_fixed_size: 0
    .kernarg_segment_align: 8
    .kernarg_segment_size: 40
    .language:       OpenCL C
    .language_version:
      - 2
      - 0
    .max_flat_workgroup_size: 128
    .name:           _ZN7rocprim17ROCPRIM_400000_NS6detail17trampoline_kernelINS0_14default_configENS1_38merge_sort_block_merge_config_selectorIhNS0_10empty_typeEEEZZNS1_27merge_sort_block_merge_implIS3_PhPS5_jNS1_19radix_merge_compareILb0ELb1EhNS0_19identity_decomposerEEEEE10hipError_tT0_T1_T2_jT3_P12ihipStream_tbPNSt15iterator_traitsISE_E10value_typeEPNSK_ISF_E10value_typeEPSG_NS1_7vsmem_tEENKUlT_SE_SF_SG_E_clIS8_S8_S9_S9_EESD_ST_SE_SF_SG_EUlST_E_NS1_11comp_targetILNS1_3genE9ELNS1_11target_archE1100ELNS1_3gpuE3ELNS1_3repE0EEENS1_48merge_mergepath_partition_config_static_selectorELNS0_4arch9wavefront6targetE0EEEvSF_
    .private_segment_fixed_size: 0
    .sgpr_count:     0
    .sgpr_spill_count: 0
    .symbol:         _ZN7rocprim17ROCPRIM_400000_NS6detail17trampoline_kernelINS0_14default_configENS1_38merge_sort_block_merge_config_selectorIhNS0_10empty_typeEEEZZNS1_27merge_sort_block_merge_implIS3_PhPS5_jNS1_19radix_merge_compareILb0ELb1EhNS0_19identity_decomposerEEEEE10hipError_tT0_T1_T2_jT3_P12ihipStream_tbPNSt15iterator_traitsISE_E10value_typeEPNSK_ISF_E10value_typeEPSG_NS1_7vsmem_tEENKUlT_SE_SF_SG_E_clIS8_S8_S9_S9_EESD_ST_SE_SF_SG_EUlST_E_NS1_11comp_targetILNS1_3genE9ELNS1_11target_archE1100ELNS1_3gpuE3ELNS1_3repE0EEENS1_48merge_mergepath_partition_config_static_selectorELNS0_4arch9wavefront6targetE0EEEvSF_.kd
    .uniform_work_group_size: 1
    .uses_dynamic_stack: false
    .vgpr_count:     0
    .vgpr_spill_count: 0
    .wavefront_size: 32
  - .args:
      - .offset:         0
        .size:           40
        .value_kind:     by_value
    .group_segment_fixed_size: 0
    .kernarg_segment_align: 8
    .kernarg_segment_size: 40
    .language:       OpenCL C
    .language_version:
      - 2
      - 0
    .max_flat_workgroup_size: 128
    .name:           _ZN7rocprim17ROCPRIM_400000_NS6detail17trampoline_kernelINS0_14default_configENS1_38merge_sort_block_merge_config_selectorIhNS0_10empty_typeEEEZZNS1_27merge_sort_block_merge_implIS3_PhPS5_jNS1_19radix_merge_compareILb0ELb1EhNS0_19identity_decomposerEEEEE10hipError_tT0_T1_T2_jT3_P12ihipStream_tbPNSt15iterator_traitsISE_E10value_typeEPNSK_ISF_E10value_typeEPSG_NS1_7vsmem_tEENKUlT_SE_SF_SG_E_clIS8_S8_S9_S9_EESD_ST_SE_SF_SG_EUlST_E_NS1_11comp_targetILNS1_3genE8ELNS1_11target_archE1030ELNS1_3gpuE2ELNS1_3repE0EEENS1_48merge_mergepath_partition_config_static_selectorELNS0_4arch9wavefront6targetE0EEEvSF_
    .private_segment_fixed_size: 0
    .sgpr_count:     0
    .sgpr_spill_count: 0
    .symbol:         _ZN7rocprim17ROCPRIM_400000_NS6detail17trampoline_kernelINS0_14default_configENS1_38merge_sort_block_merge_config_selectorIhNS0_10empty_typeEEEZZNS1_27merge_sort_block_merge_implIS3_PhPS5_jNS1_19radix_merge_compareILb0ELb1EhNS0_19identity_decomposerEEEEE10hipError_tT0_T1_T2_jT3_P12ihipStream_tbPNSt15iterator_traitsISE_E10value_typeEPNSK_ISF_E10value_typeEPSG_NS1_7vsmem_tEENKUlT_SE_SF_SG_E_clIS8_S8_S9_S9_EESD_ST_SE_SF_SG_EUlST_E_NS1_11comp_targetILNS1_3genE8ELNS1_11target_archE1030ELNS1_3gpuE2ELNS1_3repE0EEENS1_48merge_mergepath_partition_config_static_selectorELNS0_4arch9wavefront6targetE0EEEvSF_.kd
    .uniform_work_group_size: 1
    .uses_dynamic_stack: false
    .vgpr_count:     0
    .vgpr_spill_count: 0
    .wavefront_size: 32
  - .args:
      - .offset:         0
        .size:           64
        .value_kind:     by_value
      - .offset:         64
        .size:           4
        .value_kind:     hidden_block_count_x
      - .offset:         68
        .size:           4
        .value_kind:     hidden_block_count_y
      - .offset:         72
        .size:           4
        .value_kind:     hidden_block_count_z
      - .offset:         76
        .size:           2
        .value_kind:     hidden_group_size_x
      - .offset:         78
        .size:           2
        .value_kind:     hidden_group_size_y
      - .offset:         80
        .size:           2
        .value_kind:     hidden_group_size_z
      - .offset:         82
        .size:           2
        .value_kind:     hidden_remainder_x
      - .offset:         84
        .size:           2
        .value_kind:     hidden_remainder_y
      - .offset:         86
        .size:           2
        .value_kind:     hidden_remainder_z
      - .offset:         104
        .size:           8
        .value_kind:     hidden_global_offset_x
      - .offset:         112
        .size:           8
        .value_kind:     hidden_global_offset_y
      - .offset:         120
        .size:           8
        .value_kind:     hidden_global_offset_z
      - .offset:         128
        .size:           2
        .value_kind:     hidden_grid_dims
    .group_segment_fixed_size: 1056
    .kernarg_segment_align: 8
    .kernarg_segment_size: 320
    .language:       OpenCL C
    .language_version:
      - 2
      - 0
    .max_flat_workgroup_size: 128
    .name:           _ZN7rocprim17ROCPRIM_400000_NS6detail17trampoline_kernelINS0_14default_configENS1_38merge_sort_block_merge_config_selectorIhNS0_10empty_typeEEEZZNS1_27merge_sort_block_merge_implIS3_PhPS5_jNS1_19radix_merge_compareILb0ELb1EhNS0_19identity_decomposerEEEEE10hipError_tT0_T1_T2_jT3_P12ihipStream_tbPNSt15iterator_traitsISE_E10value_typeEPNSK_ISF_E10value_typeEPSG_NS1_7vsmem_tEENKUlT_SE_SF_SG_E_clIS8_S8_S9_S9_EESD_ST_SE_SF_SG_EUlST_E0_NS1_11comp_targetILNS1_3genE0ELNS1_11target_archE4294967295ELNS1_3gpuE0ELNS1_3repE0EEENS1_38merge_mergepath_config_static_selectorELNS0_4arch9wavefront6targetE0EEEvSF_
    .private_segment_fixed_size: 0
    .sgpr_count:     24
    .sgpr_spill_count: 0
    .symbol:         _ZN7rocprim17ROCPRIM_400000_NS6detail17trampoline_kernelINS0_14default_configENS1_38merge_sort_block_merge_config_selectorIhNS0_10empty_typeEEEZZNS1_27merge_sort_block_merge_implIS3_PhPS5_jNS1_19radix_merge_compareILb0ELb1EhNS0_19identity_decomposerEEEEE10hipError_tT0_T1_T2_jT3_P12ihipStream_tbPNSt15iterator_traitsISE_E10value_typeEPNSK_ISF_E10value_typeEPSG_NS1_7vsmem_tEENKUlT_SE_SF_SG_E_clIS8_S8_S9_S9_EESD_ST_SE_SF_SG_EUlST_E0_NS1_11comp_targetILNS1_3genE0ELNS1_11target_archE4294967295ELNS1_3gpuE0ELNS1_3repE0EEENS1_38merge_mergepath_config_static_selectorELNS0_4arch9wavefront6targetE0EEEvSF_.kd
    .uniform_work_group_size: 1
    .uses_dynamic_stack: false
    .vgpr_count:     34
    .vgpr_spill_count: 0
    .wavefront_size: 32
  - .args:
      - .offset:         0
        .size:           64
        .value_kind:     by_value
    .group_segment_fixed_size: 0
    .kernarg_segment_align: 8
    .kernarg_segment_size: 64
    .language:       OpenCL C
    .language_version:
      - 2
      - 0
    .max_flat_workgroup_size: 128
    .name:           _ZN7rocprim17ROCPRIM_400000_NS6detail17trampoline_kernelINS0_14default_configENS1_38merge_sort_block_merge_config_selectorIhNS0_10empty_typeEEEZZNS1_27merge_sort_block_merge_implIS3_PhPS5_jNS1_19radix_merge_compareILb0ELb1EhNS0_19identity_decomposerEEEEE10hipError_tT0_T1_T2_jT3_P12ihipStream_tbPNSt15iterator_traitsISE_E10value_typeEPNSK_ISF_E10value_typeEPSG_NS1_7vsmem_tEENKUlT_SE_SF_SG_E_clIS8_S8_S9_S9_EESD_ST_SE_SF_SG_EUlST_E0_NS1_11comp_targetILNS1_3genE10ELNS1_11target_archE1201ELNS1_3gpuE5ELNS1_3repE0EEENS1_38merge_mergepath_config_static_selectorELNS0_4arch9wavefront6targetE0EEEvSF_
    .private_segment_fixed_size: 0
    .sgpr_count:     0
    .sgpr_spill_count: 0
    .symbol:         _ZN7rocprim17ROCPRIM_400000_NS6detail17trampoline_kernelINS0_14default_configENS1_38merge_sort_block_merge_config_selectorIhNS0_10empty_typeEEEZZNS1_27merge_sort_block_merge_implIS3_PhPS5_jNS1_19radix_merge_compareILb0ELb1EhNS0_19identity_decomposerEEEEE10hipError_tT0_T1_T2_jT3_P12ihipStream_tbPNSt15iterator_traitsISE_E10value_typeEPNSK_ISF_E10value_typeEPSG_NS1_7vsmem_tEENKUlT_SE_SF_SG_E_clIS8_S8_S9_S9_EESD_ST_SE_SF_SG_EUlST_E0_NS1_11comp_targetILNS1_3genE10ELNS1_11target_archE1201ELNS1_3gpuE5ELNS1_3repE0EEENS1_38merge_mergepath_config_static_selectorELNS0_4arch9wavefront6targetE0EEEvSF_.kd
    .uniform_work_group_size: 1
    .uses_dynamic_stack: false
    .vgpr_count:     0
    .vgpr_spill_count: 0
    .wavefront_size: 32
  - .args:
      - .offset:         0
        .size:           64
        .value_kind:     by_value
    .group_segment_fixed_size: 0
    .kernarg_segment_align: 8
    .kernarg_segment_size: 64
    .language:       OpenCL C
    .language_version:
      - 2
      - 0
    .max_flat_workgroup_size: 128
    .name:           _ZN7rocprim17ROCPRIM_400000_NS6detail17trampoline_kernelINS0_14default_configENS1_38merge_sort_block_merge_config_selectorIhNS0_10empty_typeEEEZZNS1_27merge_sort_block_merge_implIS3_PhPS5_jNS1_19radix_merge_compareILb0ELb1EhNS0_19identity_decomposerEEEEE10hipError_tT0_T1_T2_jT3_P12ihipStream_tbPNSt15iterator_traitsISE_E10value_typeEPNSK_ISF_E10value_typeEPSG_NS1_7vsmem_tEENKUlT_SE_SF_SG_E_clIS8_S8_S9_S9_EESD_ST_SE_SF_SG_EUlST_E0_NS1_11comp_targetILNS1_3genE5ELNS1_11target_archE942ELNS1_3gpuE9ELNS1_3repE0EEENS1_38merge_mergepath_config_static_selectorELNS0_4arch9wavefront6targetE0EEEvSF_
    .private_segment_fixed_size: 0
    .sgpr_count:     0
    .sgpr_spill_count: 0
    .symbol:         _ZN7rocprim17ROCPRIM_400000_NS6detail17trampoline_kernelINS0_14default_configENS1_38merge_sort_block_merge_config_selectorIhNS0_10empty_typeEEEZZNS1_27merge_sort_block_merge_implIS3_PhPS5_jNS1_19radix_merge_compareILb0ELb1EhNS0_19identity_decomposerEEEEE10hipError_tT0_T1_T2_jT3_P12ihipStream_tbPNSt15iterator_traitsISE_E10value_typeEPNSK_ISF_E10value_typeEPSG_NS1_7vsmem_tEENKUlT_SE_SF_SG_E_clIS8_S8_S9_S9_EESD_ST_SE_SF_SG_EUlST_E0_NS1_11comp_targetILNS1_3genE5ELNS1_11target_archE942ELNS1_3gpuE9ELNS1_3repE0EEENS1_38merge_mergepath_config_static_selectorELNS0_4arch9wavefront6targetE0EEEvSF_.kd
    .uniform_work_group_size: 1
    .uses_dynamic_stack: false
    .vgpr_count:     0
    .vgpr_spill_count: 0
    .wavefront_size: 32
  - .args:
      - .offset:         0
        .size:           64
        .value_kind:     by_value
    .group_segment_fixed_size: 0
    .kernarg_segment_align: 8
    .kernarg_segment_size: 64
    .language:       OpenCL C
    .language_version:
      - 2
      - 0
    .max_flat_workgroup_size: 128
    .name:           _ZN7rocprim17ROCPRIM_400000_NS6detail17trampoline_kernelINS0_14default_configENS1_38merge_sort_block_merge_config_selectorIhNS0_10empty_typeEEEZZNS1_27merge_sort_block_merge_implIS3_PhPS5_jNS1_19radix_merge_compareILb0ELb1EhNS0_19identity_decomposerEEEEE10hipError_tT0_T1_T2_jT3_P12ihipStream_tbPNSt15iterator_traitsISE_E10value_typeEPNSK_ISF_E10value_typeEPSG_NS1_7vsmem_tEENKUlT_SE_SF_SG_E_clIS8_S8_S9_S9_EESD_ST_SE_SF_SG_EUlST_E0_NS1_11comp_targetILNS1_3genE4ELNS1_11target_archE910ELNS1_3gpuE8ELNS1_3repE0EEENS1_38merge_mergepath_config_static_selectorELNS0_4arch9wavefront6targetE0EEEvSF_
    .private_segment_fixed_size: 0
    .sgpr_count:     0
    .sgpr_spill_count: 0
    .symbol:         _ZN7rocprim17ROCPRIM_400000_NS6detail17trampoline_kernelINS0_14default_configENS1_38merge_sort_block_merge_config_selectorIhNS0_10empty_typeEEEZZNS1_27merge_sort_block_merge_implIS3_PhPS5_jNS1_19radix_merge_compareILb0ELb1EhNS0_19identity_decomposerEEEEE10hipError_tT0_T1_T2_jT3_P12ihipStream_tbPNSt15iterator_traitsISE_E10value_typeEPNSK_ISF_E10value_typeEPSG_NS1_7vsmem_tEENKUlT_SE_SF_SG_E_clIS8_S8_S9_S9_EESD_ST_SE_SF_SG_EUlST_E0_NS1_11comp_targetILNS1_3genE4ELNS1_11target_archE910ELNS1_3gpuE8ELNS1_3repE0EEENS1_38merge_mergepath_config_static_selectorELNS0_4arch9wavefront6targetE0EEEvSF_.kd
    .uniform_work_group_size: 1
    .uses_dynamic_stack: false
    .vgpr_count:     0
    .vgpr_spill_count: 0
    .wavefront_size: 32
  - .args:
      - .offset:         0
        .size:           64
        .value_kind:     by_value
    .group_segment_fixed_size: 0
    .kernarg_segment_align: 8
    .kernarg_segment_size: 64
    .language:       OpenCL C
    .language_version:
      - 2
      - 0
    .max_flat_workgroup_size: 128
    .name:           _ZN7rocprim17ROCPRIM_400000_NS6detail17trampoline_kernelINS0_14default_configENS1_38merge_sort_block_merge_config_selectorIhNS0_10empty_typeEEEZZNS1_27merge_sort_block_merge_implIS3_PhPS5_jNS1_19radix_merge_compareILb0ELb1EhNS0_19identity_decomposerEEEEE10hipError_tT0_T1_T2_jT3_P12ihipStream_tbPNSt15iterator_traitsISE_E10value_typeEPNSK_ISF_E10value_typeEPSG_NS1_7vsmem_tEENKUlT_SE_SF_SG_E_clIS8_S8_S9_S9_EESD_ST_SE_SF_SG_EUlST_E0_NS1_11comp_targetILNS1_3genE3ELNS1_11target_archE908ELNS1_3gpuE7ELNS1_3repE0EEENS1_38merge_mergepath_config_static_selectorELNS0_4arch9wavefront6targetE0EEEvSF_
    .private_segment_fixed_size: 0
    .sgpr_count:     0
    .sgpr_spill_count: 0
    .symbol:         _ZN7rocprim17ROCPRIM_400000_NS6detail17trampoline_kernelINS0_14default_configENS1_38merge_sort_block_merge_config_selectorIhNS0_10empty_typeEEEZZNS1_27merge_sort_block_merge_implIS3_PhPS5_jNS1_19radix_merge_compareILb0ELb1EhNS0_19identity_decomposerEEEEE10hipError_tT0_T1_T2_jT3_P12ihipStream_tbPNSt15iterator_traitsISE_E10value_typeEPNSK_ISF_E10value_typeEPSG_NS1_7vsmem_tEENKUlT_SE_SF_SG_E_clIS8_S8_S9_S9_EESD_ST_SE_SF_SG_EUlST_E0_NS1_11comp_targetILNS1_3genE3ELNS1_11target_archE908ELNS1_3gpuE7ELNS1_3repE0EEENS1_38merge_mergepath_config_static_selectorELNS0_4arch9wavefront6targetE0EEEvSF_.kd
    .uniform_work_group_size: 1
    .uses_dynamic_stack: false
    .vgpr_count:     0
    .vgpr_spill_count: 0
    .wavefront_size: 32
  - .args:
      - .offset:         0
        .size:           64
        .value_kind:     by_value
    .group_segment_fixed_size: 0
    .kernarg_segment_align: 8
    .kernarg_segment_size: 64
    .language:       OpenCL C
    .language_version:
      - 2
      - 0
    .max_flat_workgroup_size: 128
    .name:           _ZN7rocprim17ROCPRIM_400000_NS6detail17trampoline_kernelINS0_14default_configENS1_38merge_sort_block_merge_config_selectorIhNS0_10empty_typeEEEZZNS1_27merge_sort_block_merge_implIS3_PhPS5_jNS1_19radix_merge_compareILb0ELb1EhNS0_19identity_decomposerEEEEE10hipError_tT0_T1_T2_jT3_P12ihipStream_tbPNSt15iterator_traitsISE_E10value_typeEPNSK_ISF_E10value_typeEPSG_NS1_7vsmem_tEENKUlT_SE_SF_SG_E_clIS8_S8_S9_S9_EESD_ST_SE_SF_SG_EUlST_E0_NS1_11comp_targetILNS1_3genE2ELNS1_11target_archE906ELNS1_3gpuE6ELNS1_3repE0EEENS1_38merge_mergepath_config_static_selectorELNS0_4arch9wavefront6targetE0EEEvSF_
    .private_segment_fixed_size: 0
    .sgpr_count:     0
    .sgpr_spill_count: 0
    .symbol:         _ZN7rocprim17ROCPRIM_400000_NS6detail17trampoline_kernelINS0_14default_configENS1_38merge_sort_block_merge_config_selectorIhNS0_10empty_typeEEEZZNS1_27merge_sort_block_merge_implIS3_PhPS5_jNS1_19radix_merge_compareILb0ELb1EhNS0_19identity_decomposerEEEEE10hipError_tT0_T1_T2_jT3_P12ihipStream_tbPNSt15iterator_traitsISE_E10value_typeEPNSK_ISF_E10value_typeEPSG_NS1_7vsmem_tEENKUlT_SE_SF_SG_E_clIS8_S8_S9_S9_EESD_ST_SE_SF_SG_EUlST_E0_NS1_11comp_targetILNS1_3genE2ELNS1_11target_archE906ELNS1_3gpuE6ELNS1_3repE0EEENS1_38merge_mergepath_config_static_selectorELNS0_4arch9wavefront6targetE0EEEvSF_.kd
    .uniform_work_group_size: 1
    .uses_dynamic_stack: false
    .vgpr_count:     0
    .vgpr_spill_count: 0
    .wavefront_size: 32
  - .args:
      - .offset:         0
        .size:           64
        .value_kind:     by_value
    .group_segment_fixed_size: 0
    .kernarg_segment_align: 8
    .kernarg_segment_size: 64
    .language:       OpenCL C
    .language_version:
      - 2
      - 0
    .max_flat_workgroup_size: 128
    .name:           _ZN7rocprim17ROCPRIM_400000_NS6detail17trampoline_kernelINS0_14default_configENS1_38merge_sort_block_merge_config_selectorIhNS0_10empty_typeEEEZZNS1_27merge_sort_block_merge_implIS3_PhPS5_jNS1_19radix_merge_compareILb0ELb1EhNS0_19identity_decomposerEEEEE10hipError_tT0_T1_T2_jT3_P12ihipStream_tbPNSt15iterator_traitsISE_E10value_typeEPNSK_ISF_E10value_typeEPSG_NS1_7vsmem_tEENKUlT_SE_SF_SG_E_clIS8_S8_S9_S9_EESD_ST_SE_SF_SG_EUlST_E0_NS1_11comp_targetILNS1_3genE9ELNS1_11target_archE1100ELNS1_3gpuE3ELNS1_3repE0EEENS1_38merge_mergepath_config_static_selectorELNS0_4arch9wavefront6targetE0EEEvSF_
    .private_segment_fixed_size: 0
    .sgpr_count:     0
    .sgpr_spill_count: 0
    .symbol:         _ZN7rocprim17ROCPRIM_400000_NS6detail17trampoline_kernelINS0_14default_configENS1_38merge_sort_block_merge_config_selectorIhNS0_10empty_typeEEEZZNS1_27merge_sort_block_merge_implIS3_PhPS5_jNS1_19radix_merge_compareILb0ELb1EhNS0_19identity_decomposerEEEEE10hipError_tT0_T1_T2_jT3_P12ihipStream_tbPNSt15iterator_traitsISE_E10value_typeEPNSK_ISF_E10value_typeEPSG_NS1_7vsmem_tEENKUlT_SE_SF_SG_E_clIS8_S8_S9_S9_EESD_ST_SE_SF_SG_EUlST_E0_NS1_11comp_targetILNS1_3genE9ELNS1_11target_archE1100ELNS1_3gpuE3ELNS1_3repE0EEENS1_38merge_mergepath_config_static_selectorELNS0_4arch9wavefront6targetE0EEEvSF_.kd
    .uniform_work_group_size: 1
    .uses_dynamic_stack: false
    .vgpr_count:     0
    .vgpr_spill_count: 0
    .wavefront_size: 32
  - .args:
      - .offset:         0
        .size:           64
        .value_kind:     by_value
    .group_segment_fixed_size: 0
    .kernarg_segment_align: 8
    .kernarg_segment_size: 64
    .language:       OpenCL C
    .language_version:
      - 2
      - 0
    .max_flat_workgroup_size: 128
    .name:           _ZN7rocprim17ROCPRIM_400000_NS6detail17trampoline_kernelINS0_14default_configENS1_38merge_sort_block_merge_config_selectorIhNS0_10empty_typeEEEZZNS1_27merge_sort_block_merge_implIS3_PhPS5_jNS1_19radix_merge_compareILb0ELb1EhNS0_19identity_decomposerEEEEE10hipError_tT0_T1_T2_jT3_P12ihipStream_tbPNSt15iterator_traitsISE_E10value_typeEPNSK_ISF_E10value_typeEPSG_NS1_7vsmem_tEENKUlT_SE_SF_SG_E_clIS8_S8_S9_S9_EESD_ST_SE_SF_SG_EUlST_E0_NS1_11comp_targetILNS1_3genE8ELNS1_11target_archE1030ELNS1_3gpuE2ELNS1_3repE0EEENS1_38merge_mergepath_config_static_selectorELNS0_4arch9wavefront6targetE0EEEvSF_
    .private_segment_fixed_size: 0
    .sgpr_count:     0
    .sgpr_spill_count: 0
    .symbol:         _ZN7rocprim17ROCPRIM_400000_NS6detail17trampoline_kernelINS0_14default_configENS1_38merge_sort_block_merge_config_selectorIhNS0_10empty_typeEEEZZNS1_27merge_sort_block_merge_implIS3_PhPS5_jNS1_19radix_merge_compareILb0ELb1EhNS0_19identity_decomposerEEEEE10hipError_tT0_T1_T2_jT3_P12ihipStream_tbPNSt15iterator_traitsISE_E10value_typeEPNSK_ISF_E10value_typeEPSG_NS1_7vsmem_tEENKUlT_SE_SF_SG_E_clIS8_S8_S9_S9_EESD_ST_SE_SF_SG_EUlST_E0_NS1_11comp_targetILNS1_3genE8ELNS1_11target_archE1030ELNS1_3gpuE2ELNS1_3repE0EEENS1_38merge_mergepath_config_static_selectorELNS0_4arch9wavefront6targetE0EEEvSF_.kd
    .uniform_work_group_size: 1
    .uses_dynamic_stack: false
    .vgpr_count:     0
    .vgpr_spill_count: 0
    .wavefront_size: 32
  - .args:
      - .offset:         0
        .size:           48
        .value_kind:     by_value
    .group_segment_fixed_size: 0
    .kernarg_segment_align: 8
    .kernarg_segment_size: 48
    .language:       OpenCL C
    .language_version:
      - 2
      - 0
    .max_flat_workgroup_size: 256
    .name:           _ZN7rocprim17ROCPRIM_400000_NS6detail17trampoline_kernelINS0_14default_configENS1_38merge_sort_block_merge_config_selectorIhNS0_10empty_typeEEEZZNS1_27merge_sort_block_merge_implIS3_PhPS5_jNS1_19radix_merge_compareILb0ELb1EhNS0_19identity_decomposerEEEEE10hipError_tT0_T1_T2_jT3_P12ihipStream_tbPNSt15iterator_traitsISE_E10value_typeEPNSK_ISF_E10value_typeEPSG_NS1_7vsmem_tEENKUlT_SE_SF_SG_E_clIS8_S8_S9_S9_EESD_ST_SE_SF_SG_EUlST_E1_NS1_11comp_targetILNS1_3genE0ELNS1_11target_archE4294967295ELNS1_3gpuE0ELNS1_3repE0EEENS1_36merge_oddeven_config_static_selectorELNS0_4arch9wavefront6targetE0EEEvSF_
    .private_segment_fixed_size: 0
    .sgpr_count:     20
    .sgpr_spill_count: 0
    .symbol:         _ZN7rocprim17ROCPRIM_400000_NS6detail17trampoline_kernelINS0_14default_configENS1_38merge_sort_block_merge_config_selectorIhNS0_10empty_typeEEEZZNS1_27merge_sort_block_merge_implIS3_PhPS5_jNS1_19radix_merge_compareILb0ELb1EhNS0_19identity_decomposerEEEEE10hipError_tT0_T1_T2_jT3_P12ihipStream_tbPNSt15iterator_traitsISE_E10value_typeEPNSK_ISF_E10value_typeEPSG_NS1_7vsmem_tEENKUlT_SE_SF_SG_E_clIS8_S8_S9_S9_EESD_ST_SE_SF_SG_EUlST_E1_NS1_11comp_targetILNS1_3genE0ELNS1_11target_archE4294967295ELNS1_3gpuE0ELNS1_3repE0EEENS1_36merge_oddeven_config_static_selectorELNS0_4arch9wavefront6targetE0EEEvSF_.kd
    .uniform_work_group_size: 1
    .uses_dynamic_stack: false
    .vgpr_count:     9
    .vgpr_spill_count: 0
    .wavefront_size: 32
  - .args:
      - .offset:         0
        .size:           48
        .value_kind:     by_value
    .group_segment_fixed_size: 0
    .kernarg_segment_align: 8
    .kernarg_segment_size: 48
    .language:       OpenCL C
    .language_version:
      - 2
      - 0
    .max_flat_workgroup_size: 256
    .name:           _ZN7rocprim17ROCPRIM_400000_NS6detail17trampoline_kernelINS0_14default_configENS1_38merge_sort_block_merge_config_selectorIhNS0_10empty_typeEEEZZNS1_27merge_sort_block_merge_implIS3_PhPS5_jNS1_19radix_merge_compareILb0ELb1EhNS0_19identity_decomposerEEEEE10hipError_tT0_T1_T2_jT3_P12ihipStream_tbPNSt15iterator_traitsISE_E10value_typeEPNSK_ISF_E10value_typeEPSG_NS1_7vsmem_tEENKUlT_SE_SF_SG_E_clIS8_S8_S9_S9_EESD_ST_SE_SF_SG_EUlST_E1_NS1_11comp_targetILNS1_3genE10ELNS1_11target_archE1201ELNS1_3gpuE5ELNS1_3repE0EEENS1_36merge_oddeven_config_static_selectorELNS0_4arch9wavefront6targetE0EEEvSF_
    .private_segment_fixed_size: 0
    .sgpr_count:     0
    .sgpr_spill_count: 0
    .symbol:         _ZN7rocprim17ROCPRIM_400000_NS6detail17trampoline_kernelINS0_14default_configENS1_38merge_sort_block_merge_config_selectorIhNS0_10empty_typeEEEZZNS1_27merge_sort_block_merge_implIS3_PhPS5_jNS1_19radix_merge_compareILb0ELb1EhNS0_19identity_decomposerEEEEE10hipError_tT0_T1_T2_jT3_P12ihipStream_tbPNSt15iterator_traitsISE_E10value_typeEPNSK_ISF_E10value_typeEPSG_NS1_7vsmem_tEENKUlT_SE_SF_SG_E_clIS8_S8_S9_S9_EESD_ST_SE_SF_SG_EUlST_E1_NS1_11comp_targetILNS1_3genE10ELNS1_11target_archE1201ELNS1_3gpuE5ELNS1_3repE0EEENS1_36merge_oddeven_config_static_selectorELNS0_4arch9wavefront6targetE0EEEvSF_.kd
    .uniform_work_group_size: 1
    .uses_dynamic_stack: false
    .vgpr_count:     0
    .vgpr_spill_count: 0
    .wavefront_size: 32
  - .args:
      - .offset:         0
        .size:           48
        .value_kind:     by_value
    .group_segment_fixed_size: 0
    .kernarg_segment_align: 8
    .kernarg_segment_size: 48
    .language:       OpenCL C
    .language_version:
      - 2
      - 0
    .max_flat_workgroup_size: 256
    .name:           _ZN7rocprim17ROCPRIM_400000_NS6detail17trampoline_kernelINS0_14default_configENS1_38merge_sort_block_merge_config_selectorIhNS0_10empty_typeEEEZZNS1_27merge_sort_block_merge_implIS3_PhPS5_jNS1_19radix_merge_compareILb0ELb1EhNS0_19identity_decomposerEEEEE10hipError_tT0_T1_T2_jT3_P12ihipStream_tbPNSt15iterator_traitsISE_E10value_typeEPNSK_ISF_E10value_typeEPSG_NS1_7vsmem_tEENKUlT_SE_SF_SG_E_clIS8_S8_S9_S9_EESD_ST_SE_SF_SG_EUlST_E1_NS1_11comp_targetILNS1_3genE5ELNS1_11target_archE942ELNS1_3gpuE9ELNS1_3repE0EEENS1_36merge_oddeven_config_static_selectorELNS0_4arch9wavefront6targetE0EEEvSF_
    .private_segment_fixed_size: 0
    .sgpr_count:     0
    .sgpr_spill_count: 0
    .symbol:         _ZN7rocprim17ROCPRIM_400000_NS6detail17trampoline_kernelINS0_14default_configENS1_38merge_sort_block_merge_config_selectorIhNS0_10empty_typeEEEZZNS1_27merge_sort_block_merge_implIS3_PhPS5_jNS1_19radix_merge_compareILb0ELb1EhNS0_19identity_decomposerEEEEE10hipError_tT0_T1_T2_jT3_P12ihipStream_tbPNSt15iterator_traitsISE_E10value_typeEPNSK_ISF_E10value_typeEPSG_NS1_7vsmem_tEENKUlT_SE_SF_SG_E_clIS8_S8_S9_S9_EESD_ST_SE_SF_SG_EUlST_E1_NS1_11comp_targetILNS1_3genE5ELNS1_11target_archE942ELNS1_3gpuE9ELNS1_3repE0EEENS1_36merge_oddeven_config_static_selectorELNS0_4arch9wavefront6targetE0EEEvSF_.kd
    .uniform_work_group_size: 1
    .uses_dynamic_stack: false
    .vgpr_count:     0
    .vgpr_spill_count: 0
    .wavefront_size: 32
  - .args:
      - .offset:         0
        .size:           48
        .value_kind:     by_value
    .group_segment_fixed_size: 0
    .kernarg_segment_align: 8
    .kernarg_segment_size: 48
    .language:       OpenCL C
    .language_version:
      - 2
      - 0
    .max_flat_workgroup_size: 256
    .name:           _ZN7rocprim17ROCPRIM_400000_NS6detail17trampoline_kernelINS0_14default_configENS1_38merge_sort_block_merge_config_selectorIhNS0_10empty_typeEEEZZNS1_27merge_sort_block_merge_implIS3_PhPS5_jNS1_19radix_merge_compareILb0ELb1EhNS0_19identity_decomposerEEEEE10hipError_tT0_T1_T2_jT3_P12ihipStream_tbPNSt15iterator_traitsISE_E10value_typeEPNSK_ISF_E10value_typeEPSG_NS1_7vsmem_tEENKUlT_SE_SF_SG_E_clIS8_S8_S9_S9_EESD_ST_SE_SF_SG_EUlST_E1_NS1_11comp_targetILNS1_3genE4ELNS1_11target_archE910ELNS1_3gpuE8ELNS1_3repE0EEENS1_36merge_oddeven_config_static_selectorELNS0_4arch9wavefront6targetE0EEEvSF_
    .private_segment_fixed_size: 0
    .sgpr_count:     0
    .sgpr_spill_count: 0
    .symbol:         _ZN7rocprim17ROCPRIM_400000_NS6detail17trampoline_kernelINS0_14default_configENS1_38merge_sort_block_merge_config_selectorIhNS0_10empty_typeEEEZZNS1_27merge_sort_block_merge_implIS3_PhPS5_jNS1_19radix_merge_compareILb0ELb1EhNS0_19identity_decomposerEEEEE10hipError_tT0_T1_T2_jT3_P12ihipStream_tbPNSt15iterator_traitsISE_E10value_typeEPNSK_ISF_E10value_typeEPSG_NS1_7vsmem_tEENKUlT_SE_SF_SG_E_clIS8_S8_S9_S9_EESD_ST_SE_SF_SG_EUlST_E1_NS1_11comp_targetILNS1_3genE4ELNS1_11target_archE910ELNS1_3gpuE8ELNS1_3repE0EEENS1_36merge_oddeven_config_static_selectorELNS0_4arch9wavefront6targetE0EEEvSF_.kd
    .uniform_work_group_size: 1
    .uses_dynamic_stack: false
    .vgpr_count:     0
    .vgpr_spill_count: 0
    .wavefront_size: 32
  - .args:
      - .offset:         0
        .size:           48
        .value_kind:     by_value
    .group_segment_fixed_size: 0
    .kernarg_segment_align: 8
    .kernarg_segment_size: 48
    .language:       OpenCL C
    .language_version:
      - 2
      - 0
    .max_flat_workgroup_size: 256
    .name:           _ZN7rocprim17ROCPRIM_400000_NS6detail17trampoline_kernelINS0_14default_configENS1_38merge_sort_block_merge_config_selectorIhNS0_10empty_typeEEEZZNS1_27merge_sort_block_merge_implIS3_PhPS5_jNS1_19radix_merge_compareILb0ELb1EhNS0_19identity_decomposerEEEEE10hipError_tT0_T1_T2_jT3_P12ihipStream_tbPNSt15iterator_traitsISE_E10value_typeEPNSK_ISF_E10value_typeEPSG_NS1_7vsmem_tEENKUlT_SE_SF_SG_E_clIS8_S8_S9_S9_EESD_ST_SE_SF_SG_EUlST_E1_NS1_11comp_targetILNS1_3genE3ELNS1_11target_archE908ELNS1_3gpuE7ELNS1_3repE0EEENS1_36merge_oddeven_config_static_selectorELNS0_4arch9wavefront6targetE0EEEvSF_
    .private_segment_fixed_size: 0
    .sgpr_count:     0
    .sgpr_spill_count: 0
    .symbol:         _ZN7rocprim17ROCPRIM_400000_NS6detail17trampoline_kernelINS0_14default_configENS1_38merge_sort_block_merge_config_selectorIhNS0_10empty_typeEEEZZNS1_27merge_sort_block_merge_implIS3_PhPS5_jNS1_19radix_merge_compareILb0ELb1EhNS0_19identity_decomposerEEEEE10hipError_tT0_T1_T2_jT3_P12ihipStream_tbPNSt15iterator_traitsISE_E10value_typeEPNSK_ISF_E10value_typeEPSG_NS1_7vsmem_tEENKUlT_SE_SF_SG_E_clIS8_S8_S9_S9_EESD_ST_SE_SF_SG_EUlST_E1_NS1_11comp_targetILNS1_3genE3ELNS1_11target_archE908ELNS1_3gpuE7ELNS1_3repE0EEENS1_36merge_oddeven_config_static_selectorELNS0_4arch9wavefront6targetE0EEEvSF_.kd
    .uniform_work_group_size: 1
    .uses_dynamic_stack: false
    .vgpr_count:     0
    .vgpr_spill_count: 0
    .wavefront_size: 32
  - .args:
      - .offset:         0
        .size:           48
        .value_kind:     by_value
    .group_segment_fixed_size: 0
    .kernarg_segment_align: 8
    .kernarg_segment_size: 48
    .language:       OpenCL C
    .language_version:
      - 2
      - 0
    .max_flat_workgroup_size: 256
    .name:           _ZN7rocprim17ROCPRIM_400000_NS6detail17trampoline_kernelINS0_14default_configENS1_38merge_sort_block_merge_config_selectorIhNS0_10empty_typeEEEZZNS1_27merge_sort_block_merge_implIS3_PhPS5_jNS1_19radix_merge_compareILb0ELb1EhNS0_19identity_decomposerEEEEE10hipError_tT0_T1_T2_jT3_P12ihipStream_tbPNSt15iterator_traitsISE_E10value_typeEPNSK_ISF_E10value_typeEPSG_NS1_7vsmem_tEENKUlT_SE_SF_SG_E_clIS8_S8_S9_S9_EESD_ST_SE_SF_SG_EUlST_E1_NS1_11comp_targetILNS1_3genE2ELNS1_11target_archE906ELNS1_3gpuE6ELNS1_3repE0EEENS1_36merge_oddeven_config_static_selectorELNS0_4arch9wavefront6targetE0EEEvSF_
    .private_segment_fixed_size: 0
    .sgpr_count:     0
    .sgpr_spill_count: 0
    .symbol:         _ZN7rocprim17ROCPRIM_400000_NS6detail17trampoline_kernelINS0_14default_configENS1_38merge_sort_block_merge_config_selectorIhNS0_10empty_typeEEEZZNS1_27merge_sort_block_merge_implIS3_PhPS5_jNS1_19radix_merge_compareILb0ELb1EhNS0_19identity_decomposerEEEEE10hipError_tT0_T1_T2_jT3_P12ihipStream_tbPNSt15iterator_traitsISE_E10value_typeEPNSK_ISF_E10value_typeEPSG_NS1_7vsmem_tEENKUlT_SE_SF_SG_E_clIS8_S8_S9_S9_EESD_ST_SE_SF_SG_EUlST_E1_NS1_11comp_targetILNS1_3genE2ELNS1_11target_archE906ELNS1_3gpuE6ELNS1_3repE0EEENS1_36merge_oddeven_config_static_selectorELNS0_4arch9wavefront6targetE0EEEvSF_.kd
    .uniform_work_group_size: 1
    .uses_dynamic_stack: false
    .vgpr_count:     0
    .vgpr_spill_count: 0
    .wavefront_size: 32
  - .args:
      - .offset:         0
        .size:           48
        .value_kind:     by_value
    .group_segment_fixed_size: 0
    .kernarg_segment_align: 8
    .kernarg_segment_size: 48
    .language:       OpenCL C
    .language_version:
      - 2
      - 0
    .max_flat_workgroup_size: 256
    .name:           _ZN7rocprim17ROCPRIM_400000_NS6detail17trampoline_kernelINS0_14default_configENS1_38merge_sort_block_merge_config_selectorIhNS0_10empty_typeEEEZZNS1_27merge_sort_block_merge_implIS3_PhPS5_jNS1_19radix_merge_compareILb0ELb1EhNS0_19identity_decomposerEEEEE10hipError_tT0_T1_T2_jT3_P12ihipStream_tbPNSt15iterator_traitsISE_E10value_typeEPNSK_ISF_E10value_typeEPSG_NS1_7vsmem_tEENKUlT_SE_SF_SG_E_clIS8_S8_S9_S9_EESD_ST_SE_SF_SG_EUlST_E1_NS1_11comp_targetILNS1_3genE9ELNS1_11target_archE1100ELNS1_3gpuE3ELNS1_3repE0EEENS1_36merge_oddeven_config_static_selectorELNS0_4arch9wavefront6targetE0EEEvSF_
    .private_segment_fixed_size: 0
    .sgpr_count:     0
    .sgpr_spill_count: 0
    .symbol:         _ZN7rocprim17ROCPRIM_400000_NS6detail17trampoline_kernelINS0_14default_configENS1_38merge_sort_block_merge_config_selectorIhNS0_10empty_typeEEEZZNS1_27merge_sort_block_merge_implIS3_PhPS5_jNS1_19radix_merge_compareILb0ELb1EhNS0_19identity_decomposerEEEEE10hipError_tT0_T1_T2_jT3_P12ihipStream_tbPNSt15iterator_traitsISE_E10value_typeEPNSK_ISF_E10value_typeEPSG_NS1_7vsmem_tEENKUlT_SE_SF_SG_E_clIS8_S8_S9_S9_EESD_ST_SE_SF_SG_EUlST_E1_NS1_11comp_targetILNS1_3genE9ELNS1_11target_archE1100ELNS1_3gpuE3ELNS1_3repE0EEENS1_36merge_oddeven_config_static_selectorELNS0_4arch9wavefront6targetE0EEEvSF_.kd
    .uniform_work_group_size: 1
    .uses_dynamic_stack: false
    .vgpr_count:     0
    .vgpr_spill_count: 0
    .wavefront_size: 32
  - .args:
      - .offset:         0
        .size:           48
        .value_kind:     by_value
    .group_segment_fixed_size: 0
    .kernarg_segment_align: 8
    .kernarg_segment_size: 48
    .language:       OpenCL C
    .language_version:
      - 2
      - 0
    .max_flat_workgroup_size: 256
    .name:           _ZN7rocprim17ROCPRIM_400000_NS6detail17trampoline_kernelINS0_14default_configENS1_38merge_sort_block_merge_config_selectorIhNS0_10empty_typeEEEZZNS1_27merge_sort_block_merge_implIS3_PhPS5_jNS1_19radix_merge_compareILb0ELb1EhNS0_19identity_decomposerEEEEE10hipError_tT0_T1_T2_jT3_P12ihipStream_tbPNSt15iterator_traitsISE_E10value_typeEPNSK_ISF_E10value_typeEPSG_NS1_7vsmem_tEENKUlT_SE_SF_SG_E_clIS8_S8_S9_S9_EESD_ST_SE_SF_SG_EUlST_E1_NS1_11comp_targetILNS1_3genE8ELNS1_11target_archE1030ELNS1_3gpuE2ELNS1_3repE0EEENS1_36merge_oddeven_config_static_selectorELNS0_4arch9wavefront6targetE0EEEvSF_
    .private_segment_fixed_size: 0
    .sgpr_count:     0
    .sgpr_spill_count: 0
    .symbol:         _ZN7rocprim17ROCPRIM_400000_NS6detail17trampoline_kernelINS0_14default_configENS1_38merge_sort_block_merge_config_selectorIhNS0_10empty_typeEEEZZNS1_27merge_sort_block_merge_implIS3_PhPS5_jNS1_19radix_merge_compareILb0ELb1EhNS0_19identity_decomposerEEEEE10hipError_tT0_T1_T2_jT3_P12ihipStream_tbPNSt15iterator_traitsISE_E10value_typeEPNSK_ISF_E10value_typeEPSG_NS1_7vsmem_tEENKUlT_SE_SF_SG_E_clIS8_S8_S9_S9_EESD_ST_SE_SF_SG_EUlST_E1_NS1_11comp_targetILNS1_3genE8ELNS1_11target_archE1030ELNS1_3gpuE2ELNS1_3repE0EEENS1_36merge_oddeven_config_static_selectorELNS0_4arch9wavefront6targetE0EEEvSF_.kd
    .uniform_work_group_size: 1
    .uses_dynamic_stack: false
    .vgpr_count:     0
    .vgpr_spill_count: 0
    .wavefront_size: 32
  - .args:
      - .offset:         0
        .size:           48
        .value_kind:     by_value
    .group_segment_fixed_size: 512
    .kernarg_segment_align: 8
    .kernarg_segment_size: 48
    .language:       OpenCL C
    .language_version:
      - 2
      - 0
    .max_flat_workgroup_size: 1024
    .name:           _ZN7rocprim17ROCPRIM_400000_NS6detail17trampoline_kernelINS0_14default_configENS1_35radix_sort_onesweep_config_selectorIhNS0_10empty_typeEEEZNS1_34radix_sort_onesweep_global_offsetsIS3_Lb0EPKhPS5_mNS0_19identity_decomposerEEE10hipError_tT1_T2_PT3_SF_jT4_jjP12ihipStream_tbEUlT_E_NS1_11comp_targetILNS1_3genE0ELNS1_11target_archE4294967295ELNS1_3gpuE0ELNS1_3repE0EEENS1_52radix_sort_onesweep_histogram_config_static_selectorELNS0_4arch9wavefront6targetE0EEEvSD_
    .private_segment_fixed_size: 0
    .sgpr_count:     15
    .sgpr_spill_count: 0
    .symbol:         _ZN7rocprim17ROCPRIM_400000_NS6detail17trampoline_kernelINS0_14default_configENS1_35radix_sort_onesweep_config_selectorIhNS0_10empty_typeEEEZNS1_34radix_sort_onesweep_global_offsetsIS3_Lb0EPKhPS5_mNS0_19identity_decomposerEEE10hipError_tT1_T2_PT3_SF_jT4_jjP12ihipStream_tbEUlT_E_NS1_11comp_targetILNS1_3genE0ELNS1_11target_archE4294967295ELNS1_3gpuE0ELNS1_3repE0EEENS1_52radix_sort_onesweep_histogram_config_static_selectorELNS0_4arch9wavefront6targetE0EEEvSD_.kd
    .uniform_work_group_size: 1
    .uses_dynamic_stack: false
    .vgpr_count:     47
    .vgpr_spill_count: 0
    .wavefront_size: 32
  - .args:
      - .offset:         0
        .size:           48
        .value_kind:     by_value
    .group_segment_fixed_size: 0
    .kernarg_segment_align: 8
    .kernarg_segment_size: 48
    .language:       OpenCL C
    .language_version:
      - 2
      - 0
    .max_flat_workgroup_size: 1024
    .name:           _ZN7rocprim17ROCPRIM_400000_NS6detail17trampoline_kernelINS0_14default_configENS1_35radix_sort_onesweep_config_selectorIhNS0_10empty_typeEEEZNS1_34radix_sort_onesweep_global_offsetsIS3_Lb0EPKhPS5_mNS0_19identity_decomposerEEE10hipError_tT1_T2_PT3_SF_jT4_jjP12ihipStream_tbEUlT_E_NS1_11comp_targetILNS1_3genE6ELNS1_11target_archE950ELNS1_3gpuE13ELNS1_3repE0EEENS1_52radix_sort_onesweep_histogram_config_static_selectorELNS0_4arch9wavefront6targetE0EEEvSD_
    .private_segment_fixed_size: 0
    .sgpr_count:     0
    .sgpr_spill_count: 0
    .symbol:         _ZN7rocprim17ROCPRIM_400000_NS6detail17trampoline_kernelINS0_14default_configENS1_35radix_sort_onesweep_config_selectorIhNS0_10empty_typeEEEZNS1_34radix_sort_onesweep_global_offsetsIS3_Lb0EPKhPS5_mNS0_19identity_decomposerEEE10hipError_tT1_T2_PT3_SF_jT4_jjP12ihipStream_tbEUlT_E_NS1_11comp_targetILNS1_3genE6ELNS1_11target_archE950ELNS1_3gpuE13ELNS1_3repE0EEENS1_52radix_sort_onesweep_histogram_config_static_selectorELNS0_4arch9wavefront6targetE0EEEvSD_.kd
    .uniform_work_group_size: 1
    .uses_dynamic_stack: false
    .vgpr_count:     0
    .vgpr_spill_count: 0
    .wavefront_size: 32
  - .args:
      - .offset:         0
        .size:           48
        .value_kind:     by_value
    .group_segment_fixed_size: 0
    .kernarg_segment_align: 8
    .kernarg_segment_size: 48
    .language:       OpenCL C
    .language_version:
      - 2
      - 0
    .max_flat_workgroup_size: 1024
    .name:           _ZN7rocprim17ROCPRIM_400000_NS6detail17trampoline_kernelINS0_14default_configENS1_35radix_sort_onesweep_config_selectorIhNS0_10empty_typeEEEZNS1_34radix_sort_onesweep_global_offsetsIS3_Lb0EPKhPS5_mNS0_19identity_decomposerEEE10hipError_tT1_T2_PT3_SF_jT4_jjP12ihipStream_tbEUlT_E_NS1_11comp_targetILNS1_3genE5ELNS1_11target_archE942ELNS1_3gpuE9ELNS1_3repE0EEENS1_52radix_sort_onesweep_histogram_config_static_selectorELNS0_4arch9wavefront6targetE0EEEvSD_
    .private_segment_fixed_size: 0
    .sgpr_count:     0
    .sgpr_spill_count: 0
    .symbol:         _ZN7rocprim17ROCPRIM_400000_NS6detail17trampoline_kernelINS0_14default_configENS1_35radix_sort_onesweep_config_selectorIhNS0_10empty_typeEEEZNS1_34radix_sort_onesweep_global_offsetsIS3_Lb0EPKhPS5_mNS0_19identity_decomposerEEE10hipError_tT1_T2_PT3_SF_jT4_jjP12ihipStream_tbEUlT_E_NS1_11comp_targetILNS1_3genE5ELNS1_11target_archE942ELNS1_3gpuE9ELNS1_3repE0EEENS1_52radix_sort_onesweep_histogram_config_static_selectorELNS0_4arch9wavefront6targetE0EEEvSD_.kd
    .uniform_work_group_size: 1
    .uses_dynamic_stack: false
    .vgpr_count:     0
    .vgpr_spill_count: 0
    .wavefront_size: 32
  - .args:
      - .offset:         0
        .size:           48
        .value_kind:     by_value
    .group_segment_fixed_size: 0
    .kernarg_segment_align: 8
    .kernarg_segment_size: 48
    .language:       OpenCL C
    .language_version:
      - 2
      - 0
    .max_flat_workgroup_size: 512
    .name:           _ZN7rocprim17ROCPRIM_400000_NS6detail17trampoline_kernelINS0_14default_configENS1_35radix_sort_onesweep_config_selectorIhNS0_10empty_typeEEEZNS1_34radix_sort_onesweep_global_offsetsIS3_Lb0EPKhPS5_mNS0_19identity_decomposerEEE10hipError_tT1_T2_PT3_SF_jT4_jjP12ihipStream_tbEUlT_E_NS1_11comp_targetILNS1_3genE2ELNS1_11target_archE906ELNS1_3gpuE6ELNS1_3repE0EEENS1_52radix_sort_onesweep_histogram_config_static_selectorELNS0_4arch9wavefront6targetE0EEEvSD_
    .private_segment_fixed_size: 0
    .sgpr_count:     0
    .sgpr_spill_count: 0
    .symbol:         _ZN7rocprim17ROCPRIM_400000_NS6detail17trampoline_kernelINS0_14default_configENS1_35radix_sort_onesweep_config_selectorIhNS0_10empty_typeEEEZNS1_34radix_sort_onesweep_global_offsetsIS3_Lb0EPKhPS5_mNS0_19identity_decomposerEEE10hipError_tT1_T2_PT3_SF_jT4_jjP12ihipStream_tbEUlT_E_NS1_11comp_targetILNS1_3genE2ELNS1_11target_archE906ELNS1_3gpuE6ELNS1_3repE0EEENS1_52radix_sort_onesweep_histogram_config_static_selectorELNS0_4arch9wavefront6targetE0EEEvSD_.kd
    .uniform_work_group_size: 1
    .uses_dynamic_stack: false
    .vgpr_count:     0
    .vgpr_spill_count: 0
    .wavefront_size: 32
  - .args:
      - .offset:         0
        .size:           48
        .value_kind:     by_value
    .group_segment_fixed_size: 0
    .kernarg_segment_align: 8
    .kernarg_segment_size: 48
    .language:       OpenCL C
    .language_version:
      - 2
      - 0
    .max_flat_workgroup_size: 512
    .name:           _ZN7rocprim17ROCPRIM_400000_NS6detail17trampoline_kernelINS0_14default_configENS1_35radix_sort_onesweep_config_selectorIhNS0_10empty_typeEEEZNS1_34radix_sort_onesweep_global_offsetsIS3_Lb0EPKhPS5_mNS0_19identity_decomposerEEE10hipError_tT1_T2_PT3_SF_jT4_jjP12ihipStream_tbEUlT_E_NS1_11comp_targetILNS1_3genE4ELNS1_11target_archE910ELNS1_3gpuE8ELNS1_3repE0EEENS1_52radix_sort_onesweep_histogram_config_static_selectorELNS0_4arch9wavefront6targetE0EEEvSD_
    .private_segment_fixed_size: 0
    .sgpr_count:     0
    .sgpr_spill_count: 0
    .symbol:         _ZN7rocprim17ROCPRIM_400000_NS6detail17trampoline_kernelINS0_14default_configENS1_35radix_sort_onesweep_config_selectorIhNS0_10empty_typeEEEZNS1_34radix_sort_onesweep_global_offsetsIS3_Lb0EPKhPS5_mNS0_19identity_decomposerEEE10hipError_tT1_T2_PT3_SF_jT4_jjP12ihipStream_tbEUlT_E_NS1_11comp_targetILNS1_3genE4ELNS1_11target_archE910ELNS1_3gpuE8ELNS1_3repE0EEENS1_52radix_sort_onesweep_histogram_config_static_selectorELNS0_4arch9wavefront6targetE0EEEvSD_.kd
    .uniform_work_group_size: 1
    .uses_dynamic_stack: false
    .vgpr_count:     0
    .vgpr_spill_count: 0
    .wavefront_size: 32
  - .args:
      - .offset:         0
        .size:           48
        .value_kind:     by_value
    .group_segment_fixed_size: 0
    .kernarg_segment_align: 8
    .kernarg_segment_size: 48
    .language:       OpenCL C
    .language_version:
      - 2
      - 0
    .max_flat_workgroup_size: 1024
    .name:           _ZN7rocprim17ROCPRIM_400000_NS6detail17trampoline_kernelINS0_14default_configENS1_35radix_sort_onesweep_config_selectorIhNS0_10empty_typeEEEZNS1_34radix_sort_onesweep_global_offsetsIS3_Lb0EPKhPS5_mNS0_19identity_decomposerEEE10hipError_tT1_T2_PT3_SF_jT4_jjP12ihipStream_tbEUlT_E_NS1_11comp_targetILNS1_3genE3ELNS1_11target_archE908ELNS1_3gpuE7ELNS1_3repE0EEENS1_52radix_sort_onesweep_histogram_config_static_selectorELNS0_4arch9wavefront6targetE0EEEvSD_
    .private_segment_fixed_size: 0
    .sgpr_count:     0
    .sgpr_spill_count: 0
    .symbol:         _ZN7rocprim17ROCPRIM_400000_NS6detail17trampoline_kernelINS0_14default_configENS1_35radix_sort_onesweep_config_selectorIhNS0_10empty_typeEEEZNS1_34radix_sort_onesweep_global_offsetsIS3_Lb0EPKhPS5_mNS0_19identity_decomposerEEE10hipError_tT1_T2_PT3_SF_jT4_jjP12ihipStream_tbEUlT_E_NS1_11comp_targetILNS1_3genE3ELNS1_11target_archE908ELNS1_3gpuE7ELNS1_3repE0EEENS1_52radix_sort_onesweep_histogram_config_static_selectorELNS0_4arch9wavefront6targetE0EEEvSD_.kd
    .uniform_work_group_size: 1
    .uses_dynamic_stack: false
    .vgpr_count:     0
    .vgpr_spill_count: 0
    .wavefront_size: 32
  - .args:
      - .offset:         0
        .size:           48
        .value_kind:     by_value
    .group_segment_fixed_size: 0
    .kernarg_segment_align: 8
    .kernarg_segment_size: 48
    .language:       OpenCL C
    .language_version:
      - 2
      - 0
    .max_flat_workgroup_size: 256
    .name:           _ZN7rocprim17ROCPRIM_400000_NS6detail17trampoline_kernelINS0_14default_configENS1_35radix_sort_onesweep_config_selectorIhNS0_10empty_typeEEEZNS1_34radix_sort_onesweep_global_offsetsIS3_Lb0EPKhPS5_mNS0_19identity_decomposerEEE10hipError_tT1_T2_PT3_SF_jT4_jjP12ihipStream_tbEUlT_E_NS1_11comp_targetILNS1_3genE10ELNS1_11target_archE1201ELNS1_3gpuE5ELNS1_3repE0EEENS1_52radix_sort_onesweep_histogram_config_static_selectorELNS0_4arch9wavefront6targetE0EEEvSD_
    .private_segment_fixed_size: 0
    .sgpr_count:     0
    .sgpr_spill_count: 0
    .symbol:         _ZN7rocprim17ROCPRIM_400000_NS6detail17trampoline_kernelINS0_14default_configENS1_35radix_sort_onesweep_config_selectorIhNS0_10empty_typeEEEZNS1_34radix_sort_onesweep_global_offsetsIS3_Lb0EPKhPS5_mNS0_19identity_decomposerEEE10hipError_tT1_T2_PT3_SF_jT4_jjP12ihipStream_tbEUlT_E_NS1_11comp_targetILNS1_3genE10ELNS1_11target_archE1201ELNS1_3gpuE5ELNS1_3repE0EEENS1_52radix_sort_onesweep_histogram_config_static_selectorELNS0_4arch9wavefront6targetE0EEEvSD_.kd
    .uniform_work_group_size: 1
    .uses_dynamic_stack: false
    .vgpr_count:     0
    .vgpr_spill_count: 0
    .wavefront_size: 32
  - .args:
      - .offset:         0
        .size:           48
        .value_kind:     by_value
    .group_segment_fixed_size: 0
    .kernarg_segment_align: 8
    .kernarg_segment_size: 48
    .language:       OpenCL C
    .language_version:
      - 2
      - 0
    .max_flat_workgroup_size: 256
    .name:           _ZN7rocprim17ROCPRIM_400000_NS6detail17trampoline_kernelINS0_14default_configENS1_35radix_sort_onesweep_config_selectorIhNS0_10empty_typeEEEZNS1_34radix_sort_onesweep_global_offsetsIS3_Lb0EPKhPS5_mNS0_19identity_decomposerEEE10hipError_tT1_T2_PT3_SF_jT4_jjP12ihipStream_tbEUlT_E_NS1_11comp_targetILNS1_3genE9ELNS1_11target_archE1100ELNS1_3gpuE3ELNS1_3repE0EEENS1_52radix_sort_onesweep_histogram_config_static_selectorELNS0_4arch9wavefront6targetE0EEEvSD_
    .private_segment_fixed_size: 0
    .sgpr_count:     0
    .sgpr_spill_count: 0
    .symbol:         _ZN7rocprim17ROCPRIM_400000_NS6detail17trampoline_kernelINS0_14default_configENS1_35radix_sort_onesweep_config_selectorIhNS0_10empty_typeEEEZNS1_34radix_sort_onesweep_global_offsetsIS3_Lb0EPKhPS5_mNS0_19identity_decomposerEEE10hipError_tT1_T2_PT3_SF_jT4_jjP12ihipStream_tbEUlT_E_NS1_11comp_targetILNS1_3genE9ELNS1_11target_archE1100ELNS1_3gpuE3ELNS1_3repE0EEENS1_52radix_sort_onesweep_histogram_config_static_selectorELNS0_4arch9wavefront6targetE0EEEvSD_.kd
    .uniform_work_group_size: 1
    .uses_dynamic_stack: false
    .vgpr_count:     0
    .vgpr_spill_count: 0
    .wavefront_size: 32
  - .args:
      - .offset:         0
        .size:           48
        .value_kind:     by_value
    .group_segment_fixed_size: 0
    .kernarg_segment_align: 8
    .kernarg_segment_size: 48
    .language:       OpenCL C
    .language_version:
      - 2
      - 0
    .max_flat_workgroup_size: 256
    .name:           _ZN7rocprim17ROCPRIM_400000_NS6detail17trampoline_kernelINS0_14default_configENS1_35radix_sort_onesweep_config_selectorIhNS0_10empty_typeEEEZNS1_34radix_sort_onesweep_global_offsetsIS3_Lb0EPKhPS5_mNS0_19identity_decomposerEEE10hipError_tT1_T2_PT3_SF_jT4_jjP12ihipStream_tbEUlT_E_NS1_11comp_targetILNS1_3genE8ELNS1_11target_archE1030ELNS1_3gpuE2ELNS1_3repE0EEENS1_52radix_sort_onesweep_histogram_config_static_selectorELNS0_4arch9wavefront6targetE0EEEvSD_
    .private_segment_fixed_size: 0
    .sgpr_count:     0
    .sgpr_spill_count: 0
    .symbol:         _ZN7rocprim17ROCPRIM_400000_NS6detail17trampoline_kernelINS0_14default_configENS1_35radix_sort_onesweep_config_selectorIhNS0_10empty_typeEEEZNS1_34radix_sort_onesweep_global_offsetsIS3_Lb0EPKhPS5_mNS0_19identity_decomposerEEE10hipError_tT1_T2_PT3_SF_jT4_jjP12ihipStream_tbEUlT_E_NS1_11comp_targetILNS1_3genE8ELNS1_11target_archE1030ELNS1_3gpuE2ELNS1_3repE0EEENS1_52radix_sort_onesweep_histogram_config_static_selectorELNS0_4arch9wavefront6targetE0EEEvSD_.kd
    .uniform_work_group_size: 1
    .uses_dynamic_stack: false
    .vgpr_count:     0
    .vgpr_spill_count: 0
    .wavefront_size: 32
  - .args:
      - .address_space:  global
        .offset:         0
        .size:           8
        .value_kind:     global_buffer
    .group_segment_fixed_size: 256
    .kernarg_segment_align: 8
    .kernarg_segment_size: 8
    .language:       OpenCL C
    .language_version:
      - 2
      - 0
    .max_flat_workgroup_size: 1024
    .name:           _ZN7rocprim17ROCPRIM_400000_NS6detail17trampoline_kernelINS0_14default_configENS1_35radix_sort_onesweep_config_selectorIhNS0_10empty_typeEEEZNS1_34radix_sort_onesweep_global_offsetsIS3_Lb0EPKhPS5_mNS0_19identity_decomposerEEE10hipError_tT1_T2_PT3_SF_jT4_jjP12ihipStream_tbEUlT_E0_NS1_11comp_targetILNS1_3genE0ELNS1_11target_archE4294967295ELNS1_3gpuE0ELNS1_3repE0EEENS1_52radix_sort_onesweep_histogram_config_static_selectorELNS0_4arch9wavefront6targetE0EEEvSD_
    .private_segment_fixed_size: 0
    .sgpr_count:     12
    .sgpr_spill_count: 0
    .symbol:         _ZN7rocprim17ROCPRIM_400000_NS6detail17trampoline_kernelINS0_14default_configENS1_35radix_sort_onesweep_config_selectorIhNS0_10empty_typeEEEZNS1_34radix_sort_onesweep_global_offsetsIS3_Lb0EPKhPS5_mNS0_19identity_decomposerEEE10hipError_tT1_T2_PT3_SF_jT4_jjP12ihipStream_tbEUlT_E0_NS1_11comp_targetILNS1_3genE0ELNS1_11target_archE4294967295ELNS1_3gpuE0ELNS1_3repE0EEENS1_52radix_sort_onesweep_histogram_config_static_selectorELNS0_4arch9wavefront6targetE0EEEvSD_.kd
    .uniform_work_group_size: 1
    .uses_dynamic_stack: false
    .vgpr_count:     14
    .vgpr_spill_count: 0
    .wavefront_size: 32
  - .args:
      - .address_space:  global
        .offset:         0
        .size:           8
        .value_kind:     global_buffer
    .group_segment_fixed_size: 0
    .kernarg_segment_align: 8
    .kernarg_segment_size: 8
    .language:       OpenCL C
    .language_version:
      - 2
      - 0
    .max_flat_workgroup_size: 1024
    .name:           _ZN7rocprim17ROCPRIM_400000_NS6detail17trampoline_kernelINS0_14default_configENS1_35radix_sort_onesweep_config_selectorIhNS0_10empty_typeEEEZNS1_34radix_sort_onesweep_global_offsetsIS3_Lb0EPKhPS5_mNS0_19identity_decomposerEEE10hipError_tT1_T2_PT3_SF_jT4_jjP12ihipStream_tbEUlT_E0_NS1_11comp_targetILNS1_3genE6ELNS1_11target_archE950ELNS1_3gpuE13ELNS1_3repE0EEENS1_52radix_sort_onesweep_histogram_config_static_selectorELNS0_4arch9wavefront6targetE0EEEvSD_
    .private_segment_fixed_size: 0
    .sgpr_count:     0
    .sgpr_spill_count: 0
    .symbol:         _ZN7rocprim17ROCPRIM_400000_NS6detail17trampoline_kernelINS0_14default_configENS1_35radix_sort_onesweep_config_selectorIhNS0_10empty_typeEEEZNS1_34radix_sort_onesweep_global_offsetsIS3_Lb0EPKhPS5_mNS0_19identity_decomposerEEE10hipError_tT1_T2_PT3_SF_jT4_jjP12ihipStream_tbEUlT_E0_NS1_11comp_targetILNS1_3genE6ELNS1_11target_archE950ELNS1_3gpuE13ELNS1_3repE0EEENS1_52radix_sort_onesweep_histogram_config_static_selectorELNS0_4arch9wavefront6targetE0EEEvSD_.kd
    .uniform_work_group_size: 1
    .uses_dynamic_stack: false
    .vgpr_count:     0
    .vgpr_spill_count: 0
    .wavefront_size: 32
  - .args:
      - .address_space:  global
        .offset:         0
        .size:           8
        .value_kind:     global_buffer
    .group_segment_fixed_size: 0
    .kernarg_segment_align: 8
    .kernarg_segment_size: 8
    .language:       OpenCL C
    .language_version:
      - 2
      - 0
    .max_flat_workgroup_size: 1024
    .name:           _ZN7rocprim17ROCPRIM_400000_NS6detail17trampoline_kernelINS0_14default_configENS1_35radix_sort_onesweep_config_selectorIhNS0_10empty_typeEEEZNS1_34radix_sort_onesweep_global_offsetsIS3_Lb0EPKhPS5_mNS0_19identity_decomposerEEE10hipError_tT1_T2_PT3_SF_jT4_jjP12ihipStream_tbEUlT_E0_NS1_11comp_targetILNS1_3genE5ELNS1_11target_archE942ELNS1_3gpuE9ELNS1_3repE0EEENS1_52radix_sort_onesweep_histogram_config_static_selectorELNS0_4arch9wavefront6targetE0EEEvSD_
    .private_segment_fixed_size: 0
    .sgpr_count:     0
    .sgpr_spill_count: 0
    .symbol:         _ZN7rocprim17ROCPRIM_400000_NS6detail17trampoline_kernelINS0_14default_configENS1_35radix_sort_onesweep_config_selectorIhNS0_10empty_typeEEEZNS1_34radix_sort_onesweep_global_offsetsIS3_Lb0EPKhPS5_mNS0_19identity_decomposerEEE10hipError_tT1_T2_PT3_SF_jT4_jjP12ihipStream_tbEUlT_E0_NS1_11comp_targetILNS1_3genE5ELNS1_11target_archE942ELNS1_3gpuE9ELNS1_3repE0EEENS1_52radix_sort_onesweep_histogram_config_static_selectorELNS0_4arch9wavefront6targetE0EEEvSD_.kd
    .uniform_work_group_size: 1
    .uses_dynamic_stack: false
    .vgpr_count:     0
    .vgpr_spill_count: 0
    .wavefront_size: 32
  - .args:
      - .address_space:  global
        .offset:         0
        .size:           8
        .value_kind:     global_buffer
    .group_segment_fixed_size: 0
    .kernarg_segment_align: 8
    .kernarg_segment_size: 8
    .language:       OpenCL C
    .language_version:
      - 2
      - 0
    .max_flat_workgroup_size: 512
    .name:           _ZN7rocprim17ROCPRIM_400000_NS6detail17trampoline_kernelINS0_14default_configENS1_35radix_sort_onesweep_config_selectorIhNS0_10empty_typeEEEZNS1_34radix_sort_onesweep_global_offsetsIS3_Lb0EPKhPS5_mNS0_19identity_decomposerEEE10hipError_tT1_T2_PT3_SF_jT4_jjP12ihipStream_tbEUlT_E0_NS1_11comp_targetILNS1_3genE2ELNS1_11target_archE906ELNS1_3gpuE6ELNS1_3repE0EEENS1_52radix_sort_onesweep_histogram_config_static_selectorELNS0_4arch9wavefront6targetE0EEEvSD_
    .private_segment_fixed_size: 0
    .sgpr_count:     0
    .sgpr_spill_count: 0
    .symbol:         _ZN7rocprim17ROCPRIM_400000_NS6detail17trampoline_kernelINS0_14default_configENS1_35radix_sort_onesweep_config_selectorIhNS0_10empty_typeEEEZNS1_34radix_sort_onesweep_global_offsetsIS3_Lb0EPKhPS5_mNS0_19identity_decomposerEEE10hipError_tT1_T2_PT3_SF_jT4_jjP12ihipStream_tbEUlT_E0_NS1_11comp_targetILNS1_3genE2ELNS1_11target_archE906ELNS1_3gpuE6ELNS1_3repE0EEENS1_52radix_sort_onesweep_histogram_config_static_selectorELNS0_4arch9wavefront6targetE0EEEvSD_.kd
    .uniform_work_group_size: 1
    .uses_dynamic_stack: false
    .vgpr_count:     0
    .vgpr_spill_count: 0
    .wavefront_size: 32
  - .args:
      - .address_space:  global
        .offset:         0
        .size:           8
        .value_kind:     global_buffer
    .group_segment_fixed_size: 0
    .kernarg_segment_align: 8
    .kernarg_segment_size: 8
    .language:       OpenCL C
    .language_version:
      - 2
      - 0
    .max_flat_workgroup_size: 512
    .name:           _ZN7rocprim17ROCPRIM_400000_NS6detail17trampoline_kernelINS0_14default_configENS1_35radix_sort_onesweep_config_selectorIhNS0_10empty_typeEEEZNS1_34radix_sort_onesweep_global_offsetsIS3_Lb0EPKhPS5_mNS0_19identity_decomposerEEE10hipError_tT1_T2_PT3_SF_jT4_jjP12ihipStream_tbEUlT_E0_NS1_11comp_targetILNS1_3genE4ELNS1_11target_archE910ELNS1_3gpuE8ELNS1_3repE0EEENS1_52radix_sort_onesweep_histogram_config_static_selectorELNS0_4arch9wavefront6targetE0EEEvSD_
    .private_segment_fixed_size: 0
    .sgpr_count:     0
    .sgpr_spill_count: 0
    .symbol:         _ZN7rocprim17ROCPRIM_400000_NS6detail17trampoline_kernelINS0_14default_configENS1_35radix_sort_onesweep_config_selectorIhNS0_10empty_typeEEEZNS1_34radix_sort_onesweep_global_offsetsIS3_Lb0EPKhPS5_mNS0_19identity_decomposerEEE10hipError_tT1_T2_PT3_SF_jT4_jjP12ihipStream_tbEUlT_E0_NS1_11comp_targetILNS1_3genE4ELNS1_11target_archE910ELNS1_3gpuE8ELNS1_3repE0EEENS1_52radix_sort_onesweep_histogram_config_static_selectorELNS0_4arch9wavefront6targetE0EEEvSD_.kd
    .uniform_work_group_size: 1
    .uses_dynamic_stack: false
    .vgpr_count:     0
    .vgpr_spill_count: 0
    .wavefront_size: 32
  - .args:
      - .address_space:  global
        .offset:         0
        .size:           8
        .value_kind:     global_buffer
    .group_segment_fixed_size: 0
    .kernarg_segment_align: 8
    .kernarg_segment_size: 8
    .language:       OpenCL C
    .language_version:
      - 2
      - 0
    .max_flat_workgroup_size: 1024
    .name:           _ZN7rocprim17ROCPRIM_400000_NS6detail17trampoline_kernelINS0_14default_configENS1_35radix_sort_onesweep_config_selectorIhNS0_10empty_typeEEEZNS1_34radix_sort_onesweep_global_offsetsIS3_Lb0EPKhPS5_mNS0_19identity_decomposerEEE10hipError_tT1_T2_PT3_SF_jT4_jjP12ihipStream_tbEUlT_E0_NS1_11comp_targetILNS1_3genE3ELNS1_11target_archE908ELNS1_3gpuE7ELNS1_3repE0EEENS1_52radix_sort_onesweep_histogram_config_static_selectorELNS0_4arch9wavefront6targetE0EEEvSD_
    .private_segment_fixed_size: 0
    .sgpr_count:     0
    .sgpr_spill_count: 0
    .symbol:         _ZN7rocprim17ROCPRIM_400000_NS6detail17trampoline_kernelINS0_14default_configENS1_35radix_sort_onesweep_config_selectorIhNS0_10empty_typeEEEZNS1_34radix_sort_onesweep_global_offsetsIS3_Lb0EPKhPS5_mNS0_19identity_decomposerEEE10hipError_tT1_T2_PT3_SF_jT4_jjP12ihipStream_tbEUlT_E0_NS1_11comp_targetILNS1_3genE3ELNS1_11target_archE908ELNS1_3gpuE7ELNS1_3repE0EEENS1_52radix_sort_onesweep_histogram_config_static_selectorELNS0_4arch9wavefront6targetE0EEEvSD_.kd
    .uniform_work_group_size: 1
    .uses_dynamic_stack: false
    .vgpr_count:     0
    .vgpr_spill_count: 0
    .wavefront_size: 32
  - .args:
      - .address_space:  global
        .offset:         0
        .size:           8
        .value_kind:     global_buffer
    .group_segment_fixed_size: 0
    .kernarg_segment_align: 8
    .kernarg_segment_size: 8
    .language:       OpenCL C
    .language_version:
      - 2
      - 0
    .max_flat_workgroup_size: 256
    .name:           _ZN7rocprim17ROCPRIM_400000_NS6detail17trampoline_kernelINS0_14default_configENS1_35radix_sort_onesweep_config_selectorIhNS0_10empty_typeEEEZNS1_34radix_sort_onesweep_global_offsetsIS3_Lb0EPKhPS5_mNS0_19identity_decomposerEEE10hipError_tT1_T2_PT3_SF_jT4_jjP12ihipStream_tbEUlT_E0_NS1_11comp_targetILNS1_3genE10ELNS1_11target_archE1201ELNS1_3gpuE5ELNS1_3repE0EEENS1_52radix_sort_onesweep_histogram_config_static_selectorELNS0_4arch9wavefront6targetE0EEEvSD_
    .private_segment_fixed_size: 0
    .sgpr_count:     0
    .sgpr_spill_count: 0
    .symbol:         _ZN7rocprim17ROCPRIM_400000_NS6detail17trampoline_kernelINS0_14default_configENS1_35radix_sort_onesweep_config_selectorIhNS0_10empty_typeEEEZNS1_34radix_sort_onesweep_global_offsetsIS3_Lb0EPKhPS5_mNS0_19identity_decomposerEEE10hipError_tT1_T2_PT3_SF_jT4_jjP12ihipStream_tbEUlT_E0_NS1_11comp_targetILNS1_3genE10ELNS1_11target_archE1201ELNS1_3gpuE5ELNS1_3repE0EEENS1_52radix_sort_onesweep_histogram_config_static_selectorELNS0_4arch9wavefront6targetE0EEEvSD_.kd
    .uniform_work_group_size: 1
    .uses_dynamic_stack: false
    .vgpr_count:     0
    .vgpr_spill_count: 0
    .wavefront_size: 32
  - .args:
      - .address_space:  global
        .offset:         0
        .size:           8
        .value_kind:     global_buffer
    .group_segment_fixed_size: 0
    .kernarg_segment_align: 8
    .kernarg_segment_size: 8
    .language:       OpenCL C
    .language_version:
      - 2
      - 0
    .max_flat_workgroup_size: 256
    .name:           _ZN7rocprim17ROCPRIM_400000_NS6detail17trampoline_kernelINS0_14default_configENS1_35radix_sort_onesweep_config_selectorIhNS0_10empty_typeEEEZNS1_34radix_sort_onesweep_global_offsetsIS3_Lb0EPKhPS5_mNS0_19identity_decomposerEEE10hipError_tT1_T2_PT3_SF_jT4_jjP12ihipStream_tbEUlT_E0_NS1_11comp_targetILNS1_3genE9ELNS1_11target_archE1100ELNS1_3gpuE3ELNS1_3repE0EEENS1_52radix_sort_onesweep_histogram_config_static_selectorELNS0_4arch9wavefront6targetE0EEEvSD_
    .private_segment_fixed_size: 0
    .sgpr_count:     0
    .sgpr_spill_count: 0
    .symbol:         _ZN7rocprim17ROCPRIM_400000_NS6detail17trampoline_kernelINS0_14default_configENS1_35radix_sort_onesweep_config_selectorIhNS0_10empty_typeEEEZNS1_34radix_sort_onesweep_global_offsetsIS3_Lb0EPKhPS5_mNS0_19identity_decomposerEEE10hipError_tT1_T2_PT3_SF_jT4_jjP12ihipStream_tbEUlT_E0_NS1_11comp_targetILNS1_3genE9ELNS1_11target_archE1100ELNS1_3gpuE3ELNS1_3repE0EEENS1_52radix_sort_onesweep_histogram_config_static_selectorELNS0_4arch9wavefront6targetE0EEEvSD_.kd
    .uniform_work_group_size: 1
    .uses_dynamic_stack: false
    .vgpr_count:     0
    .vgpr_spill_count: 0
    .wavefront_size: 32
  - .args:
      - .address_space:  global
        .offset:         0
        .size:           8
        .value_kind:     global_buffer
    .group_segment_fixed_size: 0
    .kernarg_segment_align: 8
    .kernarg_segment_size: 8
    .language:       OpenCL C
    .language_version:
      - 2
      - 0
    .max_flat_workgroup_size: 256
    .name:           _ZN7rocprim17ROCPRIM_400000_NS6detail17trampoline_kernelINS0_14default_configENS1_35radix_sort_onesweep_config_selectorIhNS0_10empty_typeEEEZNS1_34radix_sort_onesweep_global_offsetsIS3_Lb0EPKhPS5_mNS0_19identity_decomposerEEE10hipError_tT1_T2_PT3_SF_jT4_jjP12ihipStream_tbEUlT_E0_NS1_11comp_targetILNS1_3genE8ELNS1_11target_archE1030ELNS1_3gpuE2ELNS1_3repE0EEENS1_52radix_sort_onesweep_histogram_config_static_selectorELNS0_4arch9wavefront6targetE0EEEvSD_
    .private_segment_fixed_size: 0
    .sgpr_count:     0
    .sgpr_spill_count: 0
    .symbol:         _ZN7rocprim17ROCPRIM_400000_NS6detail17trampoline_kernelINS0_14default_configENS1_35radix_sort_onesweep_config_selectorIhNS0_10empty_typeEEEZNS1_34radix_sort_onesweep_global_offsetsIS3_Lb0EPKhPS5_mNS0_19identity_decomposerEEE10hipError_tT1_T2_PT3_SF_jT4_jjP12ihipStream_tbEUlT_E0_NS1_11comp_targetILNS1_3genE8ELNS1_11target_archE1030ELNS1_3gpuE2ELNS1_3repE0EEENS1_52radix_sort_onesweep_histogram_config_static_selectorELNS0_4arch9wavefront6targetE0EEEvSD_.kd
    .uniform_work_group_size: 1
    .uses_dynamic_stack: false
    .vgpr_count:     0
    .vgpr_spill_count: 0
    .wavefront_size: 32
  - .args:
      - .offset:         0
        .size:           88
        .value_kind:     by_value
      - .offset:         88
        .size:           4
        .value_kind:     hidden_block_count_x
      - .offset:         92
        .size:           4
        .value_kind:     hidden_block_count_y
      - .offset:         96
        .size:           4
        .value_kind:     hidden_block_count_z
      - .offset:         100
        .size:           2
        .value_kind:     hidden_group_size_x
      - .offset:         102
        .size:           2
        .value_kind:     hidden_group_size_y
      - .offset:         104
        .size:           2
        .value_kind:     hidden_group_size_z
      - .offset:         106
        .size:           2
        .value_kind:     hidden_remainder_x
      - .offset:         108
        .size:           2
        .value_kind:     hidden_remainder_y
      - .offset:         110
        .size:           2
        .value_kind:     hidden_remainder_z
      - .offset:         128
        .size:           8
        .value_kind:     hidden_global_offset_x
      - .offset:         136
        .size:           8
        .value_kind:     hidden_global_offset_y
      - .offset:         144
        .size:           8
        .value_kind:     hidden_global_offset_z
      - .offset:         152
        .size:           2
        .value_kind:     hidden_grid_dims
    .group_segment_fixed_size: 32904
    .kernarg_segment_align: 8
    .kernarg_segment_size: 344
    .language:       OpenCL C
    .language_version:
      - 2
      - 0
    .max_flat_workgroup_size: 1024
    .name:           _ZN7rocprim17ROCPRIM_400000_NS6detail17trampoline_kernelINS0_14default_configENS1_35radix_sort_onesweep_config_selectorIhNS0_10empty_typeEEEZZNS1_29radix_sort_onesweep_iterationIS3_Lb0EPKhPhPS5_SB_mNS0_19identity_decomposerENS1_16block_id_wrapperIjLb1EEEEE10hipError_tT1_PNSt15iterator_traitsISG_E10value_typeET2_T3_PNSH_ISM_E10value_typeET4_T5_PSR_SS_PNS1_23onesweep_lookback_stateEbbT6_jjT7_P12ihipStream_tbENKUlT_T0_SG_SL_E_clIS9_SA_SB_SB_EEDaSZ_S10_SG_SL_EUlSZ_E_NS1_11comp_targetILNS1_3genE0ELNS1_11target_archE4294967295ELNS1_3gpuE0ELNS1_3repE0EEENS1_47radix_sort_onesweep_sort_config_static_selectorELNS0_4arch9wavefront6targetE0EEEvSG_
    .private_segment_fixed_size: 0
    .sgpr_count:     27
    .sgpr_spill_count: 0
    .symbol:         _ZN7rocprim17ROCPRIM_400000_NS6detail17trampoline_kernelINS0_14default_configENS1_35radix_sort_onesweep_config_selectorIhNS0_10empty_typeEEEZZNS1_29radix_sort_onesweep_iterationIS3_Lb0EPKhPhPS5_SB_mNS0_19identity_decomposerENS1_16block_id_wrapperIjLb1EEEEE10hipError_tT1_PNSt15iterator_traitsISG_E10value_typeET2_T3_PNSH_ISM_E10value_typeET4_T5_PSR_SS_PNS1_23onesweep_lookback_stateEbbT6_jjT7_P12ihipStream_tbENKUlT_T0_SG_SL_E_clIS9_SA_SB_SB_EEDaSZ_S10_SG_SL_EUlSZ_E_NS1_11comp_targetILNS1_3genE0ELNS1_11target_archE4294967295ELNS1_3gpuE0ELNS1_3repE0EEENS1_47radix_sort_onesweep_sort_config_static_selectorELNS0_4arch9wavefront6targetE0EEEvSG_.kd
    .uniform_work_group_size: 1
    .uses_dynamic_stack: false
    .vgpr_count:     79
    .vgpr_spill_count: 0
    .wavefront_size: 32
  - .args:
      - .offset:         0
        .size:           88
        .value_kind:     by_value
    .group_segment_fixed_size: 0
    .kernarg_segment_align: 8
    .kernarg_segment_size: 88
    .language:       OpenCL C
    .language_version:
      - 2
      - 0
    .max_flat_workgroup_size: 1024
    .name:           _ZN7rocprim17ROCPRIM_400000_NS6detail17trampoline_kernelINS0_14default_configENS1_35radix_sort_onesweep_config_selectorIhNS0_10empty_typeEEEZZNS1_29radix_sort_onesweep_iterationIS3_Lb0EPKhPhPS5_SB_mNS0_19identity_decomposerENS1_16block_id_wrapperIjLb1EEEEE10hipError_tT1_PNSt15iterator_traitsISG_E10value_typeET2_T3_PNSH_ISM_E10value_typeET4_T5_PSR_SS_PNS1_23onesweep_lookback_stateEbbT6_jjT7_P12ihipStream_tbENKUlT_T0_SG_SL_E_clIS9_SA_SB_SB_EEDaSZ_S10_SG_SL_EUlSZ_E_NS1_11comp_targetILNS1_3genE6ELNS1_11target_archE950ELNS1_3gpuE13ELNS1_3repE0EEENS1_47radix_sort_onesweep_sort_config_static_selectorELNS0_4arch9wavefront6targetE0EEEvSG_
    .private_segment_fixed_size: 0
    .sgpr_count:     0
    .sgpr_spill_count: 0
    .symbol:         _ZN7rocprim17ROCPRIM_400000_NS6detail17trampoline_kernelINS0_14default_configENS1_35radix_sort_onesweep_config_selectorIhNS0_10empty_typeEEEZZNS1_29radix_sort_onesweep_iterationIS3_Lb0EPKhPhPS5_SB_mNS0_19identity_decomposerENS1_16block_id_wrapperIjLb1EEEEE10hipError_tT1_PNSt15iterator_traitsISG_E10value_typeET2_T3_PNSH_ISM_E10value_typeET4_T5_PSR_SS_PNS1_23onesweep_lookback_stateEbbT6_jjT7_P12ihipStream_tbENKUlT_T0_SG_SL_E_clIS9_SA_SB_SB_EEDaSZ_S10_SG_SL_EUlSZ_E_NS1_11comp_targetILNS1_3genE6ELNS1_11target_archE950ELNS1_3gpuE13ELNS1_3repE0EEENS1_47radix_sort_onesweep_sort_config_static_selectorELNS0_4arch9wavefront6targetE0EEEvSG_.kd
    .uniform_work_group_size: 1
    .uses_dynamic_stack: false
    .vgpr_count:     0
    .vgpr_spill_count: 0
    .wavefront_size: 32
  - .args:
      - .offset:         0
        .size:           88
        .value_kind:     by_value
    .group_segment_fixed_size: 0
    .kernarg_segment_align: 8
    .kernarg_segment_size: 88
    .language:       OpenCL C
    .language_version:
      - 2
      - 0
    .max_flat_workgroup_size: 1024
    .name:           _ZN7rocprim17ROCPRIM_400000_NS6detail17trampoline_kernelINS0_14default_configENS1_35radix_sort_onesweep_config_selectorIhNS0_10empty_typeEEEZZNS1_29radix_sort_onesweep_iterationIS3_Lb0EPKhPhPS5_SB_mNS0_19identity_decomposerENS1_16block_id_wrapperIjLb1EEEEE10hipError_tT1_PNSt15iterator_traitsISG_E10value_typeET2_T3_PNSH_ISM_E10value_typeET4_T5_PSR_SS_PNS1_23onesweep_lookback_stateEbbT6_jjT7_P12ihipStream_tbENKUlT_T0_SG_SL_E_clIS9_SA_SB_SB_EEDaSZ_S10_SG_SL_EUlSZ_E_NS1_11comp_targetILNS1_3genE5ELNS1_11target_archE942ELNS1_3gpuE9ELNS1_3repE0EEENS1_47radix_sort_onesweep_sort_config_static_selectorELNS0_4arch9wavefront6targetE0EEEvSG_
    .private_segment_fixed_size: 0
    .sgpr_count:     0
    .sgpr_spill_count: 0
    .symbol:         _ZN7rocprim17ROCPRIM_400000_NS6detail17trampoline_kernelINS0_14default_configENS1_35radix_sort_onesweep_config_selectorIhNS0_10empty_typeEEEZZNS1_29radix_sort_onesweep_iterationIS3_Lb0EPKhPhPS5_SB_mNS0_19identity_decomposerENS1_16block_id_wrapperIjLb1EEEEE10hipError_tT1_PNSt15iterator_traitsISG_E10value_typeET2_T3_PNSH_ISM_E10value_typeET4_T5_PSR_SS_PNS1_23onesweep_lookback_stateEbbT6_jjT7_P12ihipStream_tbENKUlT_T0_SG_SL_E_clIS9_SA_SB_SB_EEDaSZ_S10_SG_SL_EUlSZ_E_NS1_11comp_targetILNS1_3genE5ELNS1_11target_archE942ELNS1_3gpuE9ELNS1_3repE0EEENS1_47radix_sort_onesweep_sort_config_static_selectorELNS0_4arch9wavefront6targetE0EEEvSG_.kd
    .uniform_work_group_size: 1
    .uses_dynamic_stack: false
    .vgpr_count:     0
    .vgpr_spill_count: 0
    .wavefront_size: 32
  - .args:
      - .offset:         0
        .size:           88
        .value_kind:     by_value
    .group_segment_fixed_size: 0
    .kernarg_segment_align: 8
    .kernarg_segment_size: 88
    .language:       OpenCL C
    .language_version:
      - 2
      - 0
    .max_flat_workgroup_size: 512
    .name:           _ZN7rocprim17ROCPRIM_400000_NS6detail17trampoline_kernelINS0_14default_configENS1_35radix_sort_onesweep_config_selectorIhNS0_10empty_typeEEEZZNS1_29radix_sort_onesweep_iterationIS3_Lb0EPKhPhPS5_SB_mNS0_19identity_decomposerENS1_16block_id_wrapperIjLb1EEEEE10hipError_tT1_PNSt15iterator_traitsISG_E10value_typeET2_T3_PNSH_ISM_E10value_typeET4_T5_PSR_SS_PNS1_23onesweep_lookback_stateEbbT6_jjT7_P12ihipStream_tbENKUlT_T0_SG_SL_E_clIS9_SA_SB_SB_EEDaSZ_S10_SG_SL_EUlSZ_E_NS1_11comp_targetILNS1_3genE2ELNS1_11target_archE906ELNS1_3gpuE6ELNS1_3repE0EEENS1_47radix_sort_onesweep_sort_config_static_selectorELNS0_4arch9wavefront6targetE0EEEvSG_
    .private_segment_fixed_size: 0
    .sgpr_count:     0
    .sgpr_spill_count: 0
    .symbol:         _ZN7rocprim17ROCPRIM_400000_NS6detail17trampoline_kernelINS0_14default_configENS1_35radix_sort_onesweep_config_selectorIhNS0_10empty_typeEEEZZNS1_29radix_sort_onesweep_iterationIS3_Lb0EPKhPhPS5_SB_mNS0_19identity_decomposerENS1_16block_id_wrapperIjLb1EEEEE10hipError_tT1_PNSt15iterator_traitsISG_E10value_typeET2_T3_PNSH_ISM_E10value_typeET4_T5_PSR_SS_PNS1_23onesweep_lookback_stateEbbT6_jjT7_P12ihipStream_tbENKUlT_T0_SG_SL_E_clIS9_SA_SB_SB_EEDaSZ_S10_SG_SL_EUlSZ_E_NS1_11comp_targetILNS1_3genE2ELNS1_11target_archE906ELNS1_3gpuE6ELNS1_3repE0EEENS1_47radix_sort_onesweep_sort_config_static_selectorELNS0_4arch9wavefront6targetE0EEEvSG_.kd
    .uniform_work_group_size: 1
    .uses_dynamic_stack: false
    .vgpr_count:     0
    .vgpr_spill_count: 0
    .wavefront_size: 32
  - .args:
      - .offset:         0
        .size:           88
        .value_kind:     by_value
    .group_segment_fixed_size: 0
    .kernarg_segment_align: 8
    .kernarg_segment_size: 88
    .language:       OpenCL C
    .language_version:
      - 2
      - 0
    .max_flat_workgroup_size: 512
    .name:           _ZN7rocprim17ROCPRIM_400000_NS6detail17trampoline_kernelINS0_14default_configENS1_35radix_sort_onesweep_config_selectorIhNS0_10empty_typeEEEZZNS1_29radix_sort_onesweep_iterationIS3_Lb0EPKhPhPS5_SB_mNS0_19identity_decomposerENS1_16block_id_wrapperIjLb1EEEEE10hipError_tT1_PNSt15iterator_traitsISG_E10value_typeET2_T3_PNSH_ISM_E10value_typeET4_T5_PSR_SS_PNS1_23onesweep_lookback_stateEbbT6_jjT7_P12ihipStream_tbENKUlT_T0_SG_SL_E_clIS9_SA_SB_SB_EEDaSZ_S10_SG_SL_EUlSZ_E_NS1_11comp_targetILNS1_3genE4ELNS1_11target_archE910ELNS1_3gpuE8ELNS1_3repE0EEENS1_47radix_sort_onesweep_sort_config_static_selectorELNS0_4arch9wavefront6targetE0EEEvSG_
    .private_segment_fixed_size: 0
    .sgpr_count:     0
    .sgpr_spill_count: 0
    .symbol:         _ZN7rocprim17ROCPRIM_400000_NS6detail17trampoline_kernelINS0_14default_configENS1_35radix_sort_onesweep_config_selectorIhNS0_10empty_typeEEEZZNS1_29radix_sort_onesweep_iterationIS3_Lb0EPKhPhPS5_SB_mNS0_19identity_decomposerENS1_16block_id_wrapperIjLb1EEEEE10hipError_tT1_PNSt15iterator_traitsISG_E10value_typeET2_T3_PNSH_ISM_E10value_typeET4_T5_PSR_SS_PNS1_23onesweep_lookback_stateEbbT6_jjT7_P12ihipStream_tbENKUlT_T0_SG_SL_E_clIS9_SA_SB_SB_EEDaSZ_S10_SG_SL_EUlSZ_E_NS1_11comp_targetILNS1_3genE4ELNS1_11target_archE910ELNS1_3gpuE8ELNS1_3repE0EEENS1_47radix_sort_onesweep_sort_config_static_selectorELNS0_4arch9wavefront6targetE0EEEvSG_.kd
    .uniform_work_group_size: 1
    .uses_dynamic_stack: false
    .vgpr_count:     0
    .vgpr_spill_count: 0
    .wavefront_size: 32
  - .args:
      - .offset:         0
        .size:           88
        .value_kind:     by_value
    .group_segment_fixed_size: 0
    .kernarg_segment_align: 8
    .kernarg_segment_size: 88
    .language:       OpenCL C
    .language_version:
      - 2
      - 0
    .max_flat_workgroup_size: 1024
    .name:           _ZN7rocprim17ROCPRIM_400000_NS6detail17trampoline_kernelINS0_14default_configENS1_35radix_sort_onesweep_config_selectorIhNS0_10empty_typeEEEZZNS1_29radix_sort_onesweep_iterationIS3_Lb0EPKhPhPS5_SB_mNS0_19identity_decomposerENS1_16block_id_wrapperIjLb1EEEEE10hipError_tT1_PNSt15iterator_traitsISG_E10value_typeET2_T3_PNSH_ISM_E10value_typeET4_T5_PSR_SS_PNS1_23onesweep_lookback_stateEbbT6_jjT7_P12ihipStream_tbENKUlT_T0_SG_SL_E_clIS9_SA_SB_SB_EEDaSZ_S10_SG_SL_EUlSZ_E_NS1_11comp_targetILNS1_3genE3ELNS1_11target_archE908ELNS1_3gpuE7ELNS1_3repE0EEENS1_47radix_sort_onesweep_sort_config_static_selectorELNS0_4arch9wavefront6targetE0EEEvSG_
    .private_segment_fixed_size: 0
    .sgpr_count:     0
    .sgpr_spill_count: 0
    .symbol:         _ZN7rocprim17ROCPRIM_400000_NS6detail17trampoline_kernelINS0_14default_configENS1_35radix_sort_onesweep_config_selectorIhNS0_10empty_typeEEEZZNS1_29radix_sort_onesweep_iterationIS3_Lb0EPKhPhPS5_SB_mNS0_19identity_decomposerENS1_16block_id_wrapperIjLb1EEEEE10hipError_tT1_PNSt15iterator_traitsISG_E10value_typeET2_T3_PNSH_ISM_E10value_typeET4_T5_PSR_SS_PNS1_23onesweep_lookback_stateEbbT6_jjT7_P12ihipStream_tbENKUlT_T0_SG_SL_E_clIS9_SA_SB_SB_EEDaSZ_S10_SG_SL_EUlSZ_E_NS1_11comp_targetILNS1_3genE3ELNS1_11target_archE908ELNS1_3gpuE7ELNS1_3repE0EEENS1_47radix_sort_onesweep_sort_config_static_selectorELNS0_4arch9wavefront6targetE0EEEvSG_.kd
    .uniform_work_group_size: 1
    .uses_dynamic_stack: false
    .vgpr_count:     0
    .vgpr_spill_count: 0
    .wavefront_size: 32
  - .args:
      - .offset:         0
        .size:           88
        .value_kind:     by_value
    .group_segment_fixed_size: 0
    .kernarg_segment_align: 8
    .kernarg_segment_size: 88
    .language:       OpenCL C
    .language_version:
      - 2
      - 0
    .max_flat_workgroup_size: 256
    .name:           _ZN7rocprim17ROCPRIM_400000_NS6detail17trampoline_kernelINS0_14default_configENS1_35radix_sort_onesweep_config_selectorIhNS0_10empty_typeEEEZZNS1_29radix_sort_onesweep_iterationIS3_Lb0EPKhPhPS5_SB_mNS0_19identity_decomposerENS1_16block_id_wrapperIjLb1EEEEE10hipError_tT1_PNSt15iterator_traitsISG_E10value_typeET2_T3_PNSH_ISM_E10value_typeET4_T5_PSR_SS_PNS1_23onesweep_lookback_stateEbbT6_jjT7_P12ihipStream_tbENKUlT_T0_SG_SL_E_clIS9_SA_SB_SB_EEDaSZ_S10_SG_SL_EUlSZ_E_NS1_11comp_targetILNS1_3genE10ELNS1_11target_archE1201ELNS1_3gpuE5ELNS1_3repE0EEENS1_47radix_sort_onesweep_sort_config_static_selectorELNS0_4arch9wavefront6targetE0EEEvSG_
    .private_segment_fixed_size: 0
    .sgpr_count:     0
    .sgpr_spill_count: 0
    .symbol:         _ZN7rocprim17ROCPRIM_400000_NS6detail17trampoline_kernelINS0_14default_configENS1_35radix_sort_onesweep_config_selectorIhNS0_10empty_typeEEEZZNS1_29radix_sort_onesweep_iterationIS3_Lb0EPKhPhPS5_SB_mNS0_19identity_decomposerENS1_16block_id_wrapperIjLb1EEEEE10hipError_tT1_PNSt15iterator_traitsISG_E10value_typeET2_T3_PNSH_ISM_E10value_typeET4_T5_PSR_SS_PNS1_23onesweep_lookback_stateEbbT6_jjT7_P12ihipStream_tbENKUlT_T0_SG_SL_E_clIS9_SA_SB_SB_EEDaSZ_S10_SG_SL_EUlSZ_E_NS1_11comp_targetILNS1_3genE10ELNS1_11target_archE1201ELNS1_3gpuE5ELNS1_3repE0EEENS1_47radix_sort_onesweep_sort_config_static_selectorELNS0_4arch9wavefront6targetE0EEEvSG_.kd
    .uniform_work_group_size: 1
    .uses_dynamic_stack: false
    .vgpr_count:     0
    .vgpr_spill_count: 0
    .wavefront_size: 32
  - .args:
      - .offset:         0
        .size:           88
        .value_kind:     by_value
    .group_segment_fixed_size: 0
    .kernarg_segment_align: 8
    .kernarg_segment_size: 88
    .language:       OpenCL C
    .language_version:
      - 2
      - 0
    .max_flat_workgroup_size: 256
    .name:           _ZN7rocprim17ROCPRIM_400000_NS6detail17trampoline_kernelINS0_14default_configENS1_35radix_sort_onesweep_config_selectorIhNS0_10empty_typeEEEZZNS1_29radix_sort_onesweep_iterationIS3_Lb0EPKhPhPS5_SB_mNS0_19identity_decomposerENS1_16block_id_wrapperIjLb1EEEEE10hipError_tT1_PNSt15iterator_traitsISG_E10value_typeET2_T3_PNSH_ISM_E10value_typeET4_T5_PSR_SS_PNS1_23onesweep_lookback_stateEbbT6_jjT7_P12ihipStream_tbENKUlT_T0_SG_SL_E_clIS9_SA_SB_SB_EEDaSZ_S10_SG_SL_EUlSZ_E_NS1_11comp_targetILNS1_3genE9ELNS1_11target_archE1100ELNS1_3gpuE3ELNS1_3repE0EEENS1_47radix_sort_onesweep_sort_config_static_selectorELNS0_4arch9wavefront6targetE0EEEvSG_
    .private_segment_fixed_size: 0
    .sgpr_count:     0
    .sgpr_spill_count: 0
    .symbol:         _ZN7rocprim17ROCPRIM_400000_NS6detail17trampoline_kernelINS0_14default_configENS1_35radix_sort_onesweep_config_selectorIhNS0_10empty_typeEEEZZNS1_29radix_sort_onesweep_iterationIS3_Lb0EPKhPhPS5_SB_mNS0_19identity_decomposerENS1_16block_id_wrapperIjLb1EEEEE10hipError_tT1_PNSt15iterator_traitsISG_E10value_typeET2_T3_PNSH_ISM_E10value_typeET4_T5_PSR_SS_PNS1_23onesweep_lookback_stateEbbT6_jjT7_P12ihipStream_tbENKUlT_T0_SG_SL_E_clIS9_SA_SB_SB_EEDaSZ_S10_SG_SL_EUlSZ_E_NS1_11comp_targetILNS1_3genE9ELNS1_11target_archE1100ELNS1_3gpuE3ELNS1_3repE0EEENS1_47radix_sort_onesweep_sort_config_static_selectorELNS0_4arch9wavefront6targetE0EEEvSG_.kd
    .uniform_work_group_size: 1
    .uses_dynamic_stack: false
    .vgpr_count:     0
    .vgpr_spill_count: 0
    .wavefront_size: 32
  - .args:
      - .offset:         0
        .size:           88
        .value_kind:     by_value
    .group_segment_fixed_size: 0
    .kernarg_segment_align: 8
    .kernarg_segment_size: 88
    .language:       OpenCL C
    .language_version:
      - 2
      - 0
    .max_flat_workgroup_size: 256
    .name:           _ZN7rocprim17ROCPRIM_400000_NS6detail17trampoline_kernelINS0_14default_configENS1_35radix_sort_onesweep_config_selectorIhNS0_10empty_typeEEEZZNS1_29radix_sort_onesweep_iterationIS3_Lb0EPKhPhPS5_SB_mNS0_19identity_decomposerENS1_16block_id_wrapperIjLb1EEEEE10hipError_tT1_PNSt15iterator_traitsISG_E10value_typeET2_T3_PNSH_ISM_E10value_typeET4_T5_PSR_SS_PNS1_23onesweep_lookback_stateEbbT6_jjT7_P12ihipStream_tbENKUlT_T0_SG_SL_E_clIS9_SA_SB_SB_EEDaSZ_S10_SG_SL_EUlSZ_E_NS1_11comp_targetILNS1_3genE8ELNS1_11target_archE1030ELNS1_3gpuE2ELNS1_3repE0EEENS1_47radix_sort_onesweep_sort_config_static_selectorELNS0_4arch9wavefront6targetE0EEEvSG_
    .private_segment_fixed_size: 0
    .sgpr_count:     0
    .sgpr_spill_count: 0
    .symbol:         _ZN7rocprim17ROCPRIM_400000_NS6detail17trampoline_kernelINS0_14default_configENS1_35radix_sort_onesweep_config_selectorIhNS0_10empty_typeEEEZZNS1_29radix_sort_onesweep_iterationIS3_Lb0EPKhPhPS5_SB_mNS0_19identity_decomposerENS1_16block_id_wrapperIjLb1EEEEE10hipError_tT1_PNSt15iterator_traitsISG_E10value_typeET2_T3_PNSH_ISM_E10value_typeET4_T5_PSR_SS_PNS1_23onesweep_lookback_stateEbbT6_jjT7_P12ihipStream_tbENKUlT_T0_SG_SL_E_clIS9_SA_SB_SB_EEDaSZ_S10_SG_SL_EUlSZ_E_NS1_11comp_targetILNS1_3genE8ELNS1_11target_archE1030ELNS1_3gpuE2ELNS1_3repE0EEENS1_47radix_sort_onesweep_sort_config_static_selectorELNS0_4arch9wavefront6targetE0EEEvSG_.kd
    .uniform_work_group_size: 1
    .uses_dynamic_stack: false
    .vgpr_count:     0
    .vgpr_spill_count: 0
    .wavefront_size: 32
  - .args:
      - .offset:         0
        .size:           88
        .value_kind:     by_value
      - .offset:         88
        .size:           4
        .value_kind:     hidden_block_count_x
      - .offset:         92
        .size:           4
        .value_kind:     hidden_block_count_y
      - .offset:         96
        .size:           4
        .value_kind:     hidden_block_count_z
      - .offset:         100
        .size:           2
        .value_kind:     hidden_group_size_x
      - .offset:         102
        .size:           2
        .value_kind:     hidden_group_size_y
      - .offset:         104
        .size:           2
        .value_kind:     hidden_group_size_z
      - .offset:         106
        .size:           2
        .value_kind:     hidden_remainder_x
      - .offset:         108
        .size:           2
        .value_kind:     hidden_remainder_y
      - .offset:         110
        .size:           2
        .value_kind:     hidden_remainder_z
      - .offset:         128
        .size:           8
        .value_kind:     hidden_global_offset_x
      - .offset:         136
        .size:           8
        .value_kind:     hidden_global_offset_y
      - .offset:         144
        .size:           8
        .value_kind:     hidden_global_offset_z
      - .offset:         152
        .size:           2
        .value_kind:     hidden_grid_dims
    .group_segment_fixed_size: 32904
    .kernarg_segment_align: 8
    .kernarg_segment_size: 344
    .language:       OpenCL C
    .language_version:
      - 2
      - 0
    .max_flat_workgroup_size: 1024
    .name:           _ZN7rocprim17ROCPRIM_400000_NS6detail17trampoline_kernelINS0_14default_configENS1_35radix_sort_onesweep_config_selectorIhNS0_10empty_typeEEEZZNS1_29radix_sort_onesweep_iterationIS3_Lb0EPKhPhPS5_SB_mNS0_19identity_decomposerENS1_16block_id_wrapperIjLb1EEEEE10hipError_tT1_PNSt15iterator_traitsISG_E10value_typeET2_T3_PNSH_ISM_E10value_typeET4_T5_PSR_SS_PNS1_23onesweep_lookback_stateEbbT6_jjT7_P12ihipStream_tbENKUlT_T0_SG_SL_E_clISA_SA_SB_SB_EEDaSZ_S10_SG_SL_EUlSZ_E_NS1_11comp_targetILNS1_3genE0ELNS1_11target_archE4294967295ELNS1_3gpuE0ELNS1_3repE0EEENS1_47radix_sort_onesweep_sort_config_static_selectorELNS0_4arch9wavefront6targetE0EEEvSG_
    .private_segment_fixed_size: 0
    .sgpr_count:     27
    .sgpr_spill_count: 0
    .symbol:         _ZN7rocprim17ROCPRIM_400000_NS6detail17trampoline_kernelINS0_14default_configENS1_35radix_sort_onesweep_config_selectorIhNS0_10empty_typeEEEZZNS1_29radix_sort_onesweep_iterationIS3_Lb0EPKhPhPS5_SB_mNS0_19identity_decomposerENS1_16block_id_wrapperIjLb1EEEEE10hipError_tT1_PNSt15iterator_traitsISG_E10value_typeET2_T3_PNSH_ISM_E10value_typeET4_T5_PSR_SS_PNS1_23onesweep_lookback_stateEbbT6_jjT7_P12ihipStream_tbENKUlT_T0_SG_SL_E_clISA_SA_SB_SB_EEDaSZ_S10_SG_SL_EUlSZ_E_NS1_11comp_targetILNS1_3genE0ELNS1_11target_archE4294967295ELNS1_3gpuE0ELNS1_3repE0EEENS1_47radix_sort_onesweep_sort_config_static_selectorELNS0_4arch9wavefront6targetE0EEEvSG_.kd
    .uniform_work_group_size: 1
    .uses_dynamic_stack: false
    .vgpr_count:     79
    .vgpr_spill_count: 0
    .wavefront_size: 32
  - .args:
      - .offset:         0
        .size:           88
        .value_kind:     by_value
    .group_segment_fixed_size: 0
    .kernarg_segment_align: 8
    .kernarg_segment_size: 88
    .language:       OpenCL C
    .language_version:
      - 2
      - 0
    .max_flat_workgroup_size: 1024
    .name:           _ZN7rocprim17ROCPRIM_400000_NS6detail17trampoline_kernelINS0_14default_configENS1_35radix_sort_onesweep_config_selectorIhNS0_10empty_typeEEEZZNS1_29radix_sort_onesweep_iterationIS3_Lb0EPKhPhPS5_SB_mNS0_19identity_decomposerENS1_16block_id_wrapperIjLb1EEEEE10hipError_tT1_PNSt15iterator_traitsISG_E10value_typeET2_T3_PNSH_ISM_E10value_typeET4_T5_PSR_SS_PNS1_23onesweep_lookback_stateEbbT6_jjT7_P12ihipStream_tbENKUlT_T0_SG_SL_E_clISA_SA_SB_SB_EEDaSZ_S10_SG_SL_EUlSZ_E_NS1_11comp_targetILNS1_3genE6ELNS1_11target_archE950ELNS1_3gpuE13ELNS1_3repE0EEENS1_47radix_sort_onesweep_sort_config_static_selectorELNS0_4arch9wavefront6targetE0EEEvSG_
    .private_segment_fixed_size: 0
    .sgpr_count:     0
    .sgpr_spill_count: 0
    .symbol:         _ZN7rocprim17ROCPRIM_400000_NS6detail17trampoline_kernelINS0_14default_configENS1_35radix_sort_onesweep_config_selectorIhNS0_10empty_typeEEEZZNS1_29radix_sort_onesweep_iterationIS3_Lb0EPKhPhPS5_SB_mNS0_19identity_decomposerENS1_16block_id_wrapperIjLb1EEEEE10hipError_tT1_PNSt15iterator_traitsISG_E10value_typeET2_T3_PNSH_ISM_E10value_typeET4_T5_PSR_SS_PNS1_23onesweep_lookback_stateEbbT6_jjT7_P12ihipStream_tbENKUlT_T0_SG_SL_E_clISA_SA_SB_SB_EEDaSZ_S10_SG_SL_EUlSZ_E_NS1_11comp_targetILNS1_3genE6ELNS1_11target_archE950ELNS1_3gpuE13ELNS1_3repE0EEENS1_47radix_sort_onesweep_sort_config_static_selectorELNS0_4arch9wavefront6targetE0EEEvSG_.kd
    .uniform_work_group_size: 1
    .uses_dynamic_stack: false
    .vgpr_count:     0
    .vgpr_spill_count: 0
    .wavefront_size: 32
  - .args:
      - .offset:         0
        .size:           88
        .value_kind:     by_value
    .group_segment_fixed_size: 0
    .kernarg_segment_align: 8
    .kernarg_segment_size: 88
    .language:       OpenCL C
    .language_version:
      - 2
      - 0
    .max_flat_workgroup_size: 1024
    .name:           _ZN7rocprim17ROCPRIM_400000_NS6detail17trampoline_kernelINS0_14default_configENS1_35radix_sort_onesweep_config_selectorIhNS0_10empty_typeEEEZZNS1_29radix_sort_onesweep_iterationIS3_Lb0EPKhPhPS5_SB_mNS0_19identity_decomposerENS1_16block_id_wrapperIjLb1EEEEE10hipError_tT1_PNSt15iterator_traitsISG_E10value_typeET2_T3_PNSH_ISM_E10value_typeET4_T5_PSR_SS_PNS1_23onesweep_lookback_stateEbbT6_jjT7_P12ihipStream_tbENKUlT_T0_SG_SL_E_clISA_SA_SB_SB_EEDaSZ_S10_SG_SL_EUlSZ_E_NS1_11comp_targetILNS1_3genE5ELNS1_11target_archE942ELNS1_3gpuE9ELNS1_3repE0EEENS1_47radix_sort_onesweep_sort_config_static_selectorELNS0_4arch9wavefront6targetE0EEEvSG_
    .private_segment_fixed_size: 0
    .sgpr_count:     0
    .sgpr_spill_count: 0
    .symbol:         _ZN7rocprim17ROCPRIM_400000_NS6detail17trampoline_kernelINS0_14default_configENS1_35radix_sort_onesweep_config_selectorIhNS0_10empty_typeEEEZZNS1_29radix_sort_onesweep_iterationIS3_Lb0EPKhPhPS5_SB_mNS0_19identity_decomposerENS1_16block_id_wrapperIjLb1EEEEE10hipError_tT1_PNSt15iterator_traitsISG_E10value_typeET2_T3_PNSH_ISM_E10value_typeET4_T5_PSR_SS_PNS1_23onesweep_lookback_stateEbbT6_jjT7_P12ihipStream_tbENKUlT_T0_SG_SL_E_clISA_SA_SB_SB_EEDaSZ_S10_SG_SL_EUlSZ_E_NS1_11comp_targetILNS1_3genE5ELNS1_11target_archE942ELNS1_3gpuE9ELNS1_3repE0EEENS1_47radix_sort_onesweep_sort_config_static_selectorELNS0_4arch9wavefront6targetE0EEEvSG_.kd
    .uniform_work_group_size: 1
    .uses_dynamic_stack: false
    .vgpr_count:     0
    .vgpr_spill_count: 0
    .wavefront_size: 32
  - .args:
      - .offset:         0
        .size:           88
        .value_kind:     by_value
    .group_segment_fixed_size: 0
    .kernarg_segment_align: 8
    .kernarg_segment_size: 88
    .language:       OpenCL C
    .language_version:
      - 2
      - 0
    .max_flat_workgroup_size: 512
    .name:           _ZN7rocprim17ROCPRIM_400000_NS6detail17trampoline_kernelINS0_14default_configENS1_35radix_sort_onesweep_config_selectorIhNS0_10empty_typeEEEZZNS1_29radix_sort_onesweep_iterationIS3_Lb0EPKhPhPS5_SB_mNS0_19identity_decomposerENS1_16block_id_wrapperIjLb1EEEEE10hipError_tT1_PNSt15iterator_traitsISG_E10value_typeET2_T3_PNSH_ISM_E10value_typeET4_T5_PSR_SS_PNS1_23onesweep_lookback_stateEbbT6_jjT7_P12ihipStream_tbENKUlT_T0_SG_SL_E_clISA_SA_SB_SB_EEDaSZ_S10_SG_SL_EUlSZ_E_NS1_11comp_targetILNS1_3genE2ELNS1_11target_archE906ELNS1_3gpuE6ELNS1_3repE0EEENS1_47radix_sort_onesweep_sort_config_static_selectorELNS0_4arch9wavefront6targetE0EEEvSG_
    .private_segment_fixed_size: 0
    .sgpr_count:     0
    .sgpr_spill_count: 0
    .symbol:         _ZN7rocprim17ROCPRIM_400000_NS6detail17trampoline_kernelINS0_14default_configENS1_35radix_sort_onesweep_config_selectorIhNS0_10empty_typeEEEZZNS1_29radix_sort_onesweep_iterationIS3_Lb0EPKhPhPS5_SB_mNS0_19identity_decomposerENS1_16block_id_wrapperIjLb1EEEEE10hipError_tT1_PNSt15iterator_traitsISG_E10value_typeET2_T3_PNSH_ISM_E10value_typeET4_T5_PSR_SS_PNS1_23onesweep_lookback_stateEbbT6_jjT7_P12ihipStream_tbENKUlT_T0_SG_SL_E_clISA_SA_SB_SB_EEDaSZ_S10_SG_SL_EUlSZ_E_NS1_11comp_targetILNS1_3genE2ELNS1_11target_archE906ELNS1_3gpuE6ELNS1_3repE0EEENS1_47radix_sort_onesweep_sort_config_static_selectorELNS0_4arch9wavefront6targetE0EEEvSG_.kd
    .uniform_work_group_size: 1
    .uses_dynamic_stack: false
    .vgpr_count:     0
    .vgpr_spill_count: 0
    .wavefront_size: 32
  - .args:
      - .offset:         0
        .size:           88
        .value_kind:     by_value
    .group_segment_fixed_size: 0
    .kernarg_segment_align: 8
    .kernarg_segment_size: 88
    .language:       OpenCL C
    .language_version:
      - 2
      - 0
    .max_flat_workgroup_size: 512
    .name:           _ZN7rocprim17ROCPRIM_400000_NS6detail17trampoline_kernelINS0_14default_configENS1_35radix_sort_onesweep_config_selectorIhNS0_10empty_typeEEEZZNS1_29radix_sort_onesweep_iterationIS3_Lb0EPKhPhPS5_SB_mNS0_19identity_decomposerENS1_16block_id_wrapperIjLb1EEEEE10hipError_tT1_PNSt15iterator_traitsISG_E10value_typeET2_T3_PNSH_ISM_E10value_typeET4_T5_PSR_SS_PNS1_23onesweep_lookback_stateEbbT6_jjT7_P12ihipStream_tbENKUlT_T0_SG_SL_E_clISA_SA_SB_SB_EEDaSZ_S10_SG_SL_EUlSZ_E_NS1_11comp_targetILNS1_3genE4ELNS1_11target_archE910ELNS1_3gpuE8ELNS1_3repE0EEENS1_47radix_sort_onesweep_sort_config_static_selectorELNS0_4arch9wavefront6targetE0EEEvSG_
    .private_segment_fixed_size: 0
    .sgpr_count:     0
    .sgpr_spill_count: 0
    .symbol:         _ZN7rocprim17ROCPRIM_400000_NS6detail17trampoline_kernelINS0_14default_configENS1_35radix_sort_onesweep_config_selectorIhNS0_10empty_typeEEEZZNS1_29radix_sort_onesweep_iterationIS3_Lb0EPKhPhPS5_SB_mNS0_19identity_decomposerENS1_16block_id_wrapperIjLb1EEEEE10hipError_tT1_PNSt15iterator_traitsISG_E10value_typeET2_T3_PNSH_ISM_E10value_typeET4_T5_PSR_SS_PNS1_23onesweep_lookback_stateEbbT6_jjT7_P12ihipStream_tbENKUlT_T0_SG_SL_E_clISA_SA_SB_SB_EEDaSZ_S10_SG_SL_EUlSZ_E_NS1_11comp_targetILNS1_3genE4ELNS1_11target_archE910ELNS1_3gpuE8ELNS1_3repE0EEENS1_47radix_sort_onesweep_sort_config_static_selectorELNS0_4arch9wavefront6targetE0EEEvSG_.kd
    .uniform_work_group_size: 1
    .uses_dynamic_stack: false
    .vgpr_count:     0
    .vgpr_spill_count: 0
    .wavefront_size: 32
  - .args:
      - .offset:         0
        .size:           88
        .value_kind:     by_value
    .group_segment_fixed_size: 0
    .kernarg_segment_align: 8
    .kernarg_segment_size: 88
    .language:       OpenCL C
    .language_version:
      - 2
      - 0
    .max_flat_workgroup_size: 1024
    .name:           _ZN7rocprim17ROCPRIM_400000_NS6detail17trampoline_kernelINS0_14default_configENS1_35radix_sort_onesweep_config_selectorIhNS0_10empty_typeEEEZZNS1_29radix_sort_onesweep_iterationIS3_Lb0EPKhPhPS5_SB_mNS0_19identity_decomposerENS1_16block_id_wrapperIjLb1EEEEE10hipError_tT1_PNSt15iterator_traitsISG_E10value_typeET2_T3_PNSH_ISM_E10value_typeET4_T5_PSR_SS_PNS1_23onesweep_lookback_stateEbbT6_jjT7_P12ihipStream_tbENKUlT_T0_SG_SL_E_clISA_SA_SB_SB_EEDaSZ_S10_SG_SL_EUlSZ_E_NS1_11comp_targetILNS1_3genE3ELNS1_11target_archE908ELNS1_3gpuE7ELNS1_3repE0EEENS1_47radix_sort_onesweep_sort_config_static_selectorELNS0_4arch9wavefront6targetE0EEEvSG_
    .private_segment_fixed_size: 0
    .sgpr_count:     0
    .sgpr_spill_count: 0
    .symbol:         _ZN7rocprim17ROCPRIM_400000_NS6detail17trampoline_kernelINS0_14default_configENS1_35radix_sort_onesweep_config_selectorIhNS0_10empty_typeEEEZZNS1_29radix_sort_onesweep_iterationIS3_Lb0EPKhPhPS5_SB_mNS0_19identity_decomposerENS1_16block_id_wrapperIjLb1EEEEE10hipError_tT1_PNSt15iterator_traitsISG_E10value_typeET2_T3_PNSH_ISM_E10value_typeET4_T5_PSR_SS_PNS1_23onesweep_lookback_stateEbbT6_jjT7_P12ihipStream_tbENKUlT_T0_SG_SL_E_clISA_SA_SB_SB_EEDaSZ_S10_SG_SL_EUlSZ_E_NS1_11comp_targetILNS1_3genE3ELNS1_11target_archE908ELNS1_3gpuE7ELNS1_3repE0EEENS1_47radix_sort_onesweep_sort_config_static_selectorELNS0_4arch9wavefront6targetE0EEEvSG_.kd
    .uniform_work_group_size: 1
    .uses_dynamic_stack: false
    .vgpr_count:     0
    .vgpr_spill_count: 0
    .wavefront_size: 32
  - .args:
      - .offset:         0
        .size:           88
        .value_kind:     by_value
    .group_segment_fixed_size: 0
    .kernarg_segment_align: 8
    .kernarg_segment_size: 88
    .language:       OpenCL C
    .language_version:
      - 2
      - 0
    .max_flat_workgroup_size: 256
    .name:           _ZN7rocprim17ROCPRIM_400000_NS6detail17trampoline_kernelINS0_14default_configENS1_35radix_sort_onesweep_config_selectorIhNS0_10empty_typeEEEZZNS1_29radix_sort_onesweep_iterationIS3_Lb0EPKhPhPS5_SB_mNS0_19identity_decomposerENS1_16block_id_wrapperIjLb1EEEEE10hipError_tT1_PNSt15iterator_traitsISG_E10value_typeET2_T3_PNSH_ISM_E10value_typeET4_T5_PSR_SS_PNS1_23onesweep_lookback_stateEbbT6_jjT7_P12ihipStream_tbENKUlT_T0_SG_SL_E_clISA_SA_SB_SB_EEDaSZ_S10_SG_SL_EUlSZ_E_NS1_11comp_targetILNS1_3genE10ELNS1_11target_archE1201ELNS1_3gpuE5ELNS1_3repE0EEENS1_47radix_sort_onesweep_sort_config_static_selectorELNS0_4arch9wavefront6targetE0EEEvSG_
    .private_segment_fixed_size: 0
    .sgpr_count:     0
    .sgpr_spill_count: 0
    .symbol:         _ZN7rocprim17ROCPRIM_400000_NS6detail17trampoline_kernelINS0_14default_configENS1_35radix_sort_onesweep_config_selectorIhNS0_10empty_typeEEEZZNS1_29radix_sort_onesweep_iterationIS3_Lb0EPKhPhPS5_SB_mNS0_19identity_decomposerENS1_16block_id_wrapperIjLb1EEEEE10hipError_tT1_PNSt15iterator_traitsISG_E10value_typeET2_T3_PNSH_ISM_E10value_typeET4_T5_PSR_SS_PNS1_23onesweep_lookback_stateEbbT6_jjT7_P12ihipStream_tbENKUlT_T0_SG_SL_E_clISA_SA_SB_SB_EEDaSZ_S10_SG_SL_EUlSZ_E_NS1_11comp_targetILNS1_3genE10ELNS1_11target_archE1201ELNS1_3gpuE5ELNS1_3repE0EEENS1_47radix_sort_onesweep_sort_config_static_selectorELNS0_4arch9wavefront6targetE0EEEvSG_.kd
    .uniform_work_group_size: 1
    .uses_dynamic_stack: false
    .vgpr_count:     0
    .vgpr_spill_count: 0
    .wavefront_size: 32
  - .args:
      - .offset:         0
        .size:           88
        .value_kind:     by_value
    .group_segment_fixed_size: 0
    .kernarg_segment_align: 8
    .kernarg_segment_size: 88
    .language:       OpenCL C
    .language_version:
      - 2
      - 0
    .max_flat_workgroup_size: 256
    .name:           _ZN7rocprim17ROCPRIM_400000_NS6detail17trampoline_kernelINS0_14default_configENS1_35radix_sort_onesweep_config_selectorIhNS0_10empty_typeEEEZZNS1_29radix_sort_onesweep_iterationIS3_Lb0EPKhPhPS5_SB_mNS0_19identity_decomposerENS1_16block_id_wrapperIjLb1EEEEE10hipError_tT1_PNSt15iterator_traitsISG_E10value_typeET2_T3_PNSH_ISM_E10value_typeET4_T5_PSR_SS_PNS1_23onesweep_lookback_stateEbbT6_jjT7_P12ihipStream_tbENKUlT_T0_SG_SL_E_clISA_SA_SB_SB_EEDaSZ_S10_SG_SL_EUlSZ_E_NS1_11comp_targetILNS1_3genE9ELNS1_11target_archE1100ELNS1_3gpuE3ELNS1_3repE0EEENS1_47radix_sort_onesweep_sort_config_static_selectorELNS0_4arch9wavefront6targetE0EEEvSG_
    .private_segment_fixed_size: 0
    .sgpr_count:     0
    .sgpr_spill_count: 0
    .symbol:         _ZN7rocprim17ROCPRIM_400000_NS6detail17trampoline_kernelINS0_14default_configENS1_35radix_sort_onesweep_config_selectorIhNS0_10empty_typeEEEZZNS1_29radix_sort_onesweep_iterationIS3_Lb0EPKhPhPS5_SB_mNS0_19identity_decomposerENS1_16block_id_wrapperIjLb1EEEEE10hipError_tT1_PNSt15iterator_traitsISG_E10value_typeET2_T3_PNSH_ISM_E10value_typeET4_T5_PSR_SS_PNS1_23onesweep_lookback_stateEbbT6_jjT7_P12ihipStream_tbENKUlT_T0_SG_SL_E_clISA_SA_SB_SB_EEDaSZ_S10_SG_SL_EUlSZ_E_NS1_11comp_targetILNS1_3genE9ELNS1_11target_archE1100ELNS1_3gpuE3ELNS1_3repE0EEENS1_47radix_sort_onesweep_sort_config_static_selectorELNS0_4arch9wavefront6targetE0EEEvSG_.kd
    .uniform_work_group_size: 1
    .uses_dynamic_stack: false
    .vgpr_count:     0
    .vgpr_spill_count: 0
    .wavefront_size: 32
  - .args:
      - .offset:         0
        .size:           88
        .value_kind:     by_value
    .group_segment_fixed_size: 0
    .kernarg_segment_align: 8
    .kernarg_segment_size: 88
    .language:       OpenCL C
    .language_version:
      - 2
      - 0
    .max_flat_workgroup_size: 256
    .name:           _ZN7rocprim17ROCPRIM_400000_NS6detail17trampoline_kernelINS0_14default_configENS1_35radix_sort_onesweep_config_selectorIhNS0_10empty_typeEEEZZNS1_29radix_sort_onesweep_iterationIS3_Lb0EPKhPhPS5_SB_mNS0_19identity_decomposerENS1_16block_id_wrapperIjLb1EEEEE10hipError_tT1_PNSt15iterator_traitsISG_E10value_typeET2_T3_PNSH_ISM_E10value_typeET4_T5_PSR_SS_PNS1_23onesweep_lookback_stateEbbT6_jjT7_P12ihipStream_tbENKUlT_T0_SG_SL_E_clISA_SA_SB_SB_EEDaSZ_S10_SG_SL_EUlSZ_E_NS1_11comp_targetILNS1_3genE8ELNS1_11target_archE1030ELNS1_3gpuE2ELNS1_3repE0EEENS1_47radix_sort_onesweep_sort_config_static_selectorELNS0_4arch9wavefront6targetE0EEEvSG_
    .private_segment_fixed_size: 0
    .sgpr_count:     0
    .sgpr_spill_count: 0
    .symbol:         _ZN7rocprim17ROCPRIM_400000_NS6detail17trampoline_kernelINS0_14default_configENS1_35radix_sort_onesweep_config_selectorIhNS0_10empty_typeEEEZZNS1_29radix_sort_onesweep_iterationIS3_Lb0EPKhPhPS5_SB_mNS0_19identity_decomposerENS1_16block_id_wrapperIjLb1EEEEE10hipError_tT1_PNSt15iterator_traitsISG_E10value_typeET2_T3_PNSH_ISM_E10value_typeET4_T5_PSR_SS_PNS1_23onesweep_lookback_stateEbbT6_jjT7_P12ihipStream_tbENKUlT_T0_SG_SL_E_clISA_SA_SB_SB_EEDaSZ_S10_SG_SL_EUlSZ_E_NS1_11comp_targetILNS1_3genE8ELNS1_11target_archE1030ELNS1_3gpuE2ELNS1_3repE0EEENS1_47radix_sort_onesweep_sort_config_static_selectorELNS0_4arch9wavefront6targetE0EEEvSG_.kd
    .uniform_work_group_size: 1
    .uses_dynamic_stack: false
    .vgpr_count:     0
    .vgpr_spill_count: 0
    .wavefront_size: 32
  - .args:
      - .offset:         0
        .size:           88
        .value_kind:     by_value
      - .offset:         88
        .size:           4
        .value_kind:     hidden_block_count_x
      - .offset:         92
        .size:           4
        .value_kind:     hidden_block_count_y
      - .offset:         96
        .size:           4
        .value_kind:     hidden_block_count_z
      - .offset:         100
        .size:           2
        .value_kind:     hidden_group_size_x
      - .offset:         102
        .size:           2
        .value_kind:     hidden_group_size_y
      - .offset:         104
        .size:           2
        .value_kind:     hidden_group_size_z
      - .offset:         106
        .size:           2
        .value_kind:     hidden_remainder_x
      - .offset:         108
        .size:           2
        .value_kind:     hidden_remainder_y
      - .offset:         110
        .size:           2
        .value_kind:     hidden_remainder_z
      - .offset:         128
        .size:           8
        .value_kind:     hidden_global_offset_x
      - .offset:         136
        .size:           8
        .value_kind:     hidden_global_offset_y
      - .offset:         144
        .size:           8
        .value_kind:     hidden_global_offset_z
      - .offset:         152
        .size:           2
        .value_kind:     hidden_grid_dims
    .group_segment_fixed_size: 32904
    .kernarg_segment_align: 8
    .kernarg_segment_size: 344
    .language:       OpenCL C
    .language_version:
      - 2
      - 0
    .max_flat_workgroup_size: 1024
    .name:           _ZN7rocprim17ROCPRIM_400000_NS6detail17trampoline_kernelINS0_14default_configENS1_35radix_sort_onesweep_config_selectorIhNS0_10empty_typeEEEZZNS1_29radix_sort_onesweep_iterationIS3_Lb0EPKhPhPS5_SB_mNS0_19identity_decomposerENS1_16block_id_wrapperIjLb0EEEEE10hipError_tT1_PNSt15iterator_traitsISG_E10value_typeET2_T3_PNSH_ISM_E10value_typeET4_T5_PSR_SS_PNS1_23onesweep_lookback_stateEbbT6_jjT7_P12ihipStream_tbENKUlT_T0_SG_SL_E_clIS9_SA_SB_SB_EEDaSZ_S10_SG_SL_EUlSZ_E_NS1_11comp_targetILNS1_3genE0ELNS1_11target_archE4294967295ELNS1_3gpuE0ELNS1_3repE0EEENS1_47radix_sort_onesweep_sort_config_static_selectorELNS0_4arch9wavefront6targetE0EEEvSG_
    .private_segment_fixed_size: 0
    .sgpr_count:     27
    .sgpr_spill_count: 0
    .symbol:         _ZN7rocprim17ROCPRIM_400000_NS6detail17trampoline_kernelINS0_14default_configENS1_35radix_sort_onesweep_config_selectorIhNS0_10empty_typeEEEZZNS1_29radix_sort_onesweep_iterationIS3_Lb0EPKhPhPS5_SB_mNS0_19identity_decomposerENS1_16block_id_wrapperIjLb0EEEEE10hipError_tT1_PNSt15iterator_traitsISG_E10value_typeET2_T3_PNSH_ISM_E10value_typeET4_T5_PSR_SS_PNS1_23onesweep_lookback_stateEbbT6_jjT7_P12ihipStream_tbENKUlT_T0_SG_SL_E_clIS9_SA_SB_SB_EEDaSZ_S10_SG_SL_EUlSZ_E_NS1_11comp_targetILNS1_3genE0ELNS1_11target_archE4294967295ELNS1_3gpuE0ELNS1_3repE0EEENS1_47radix_sort_onesweep_sort_config_static_selectorELNS0_4arch9wavefront6targetE0EEEvSG_.kd
    .uniform_work_group_size: 1
    .uses_dynamic_stack: false
    .vgpr_count:     79
    .vgpr_spill_count: 0
    .wavefront_size: 32
  - .args:
      - .offset:         0
        .size:           88
        .value_kind:     by_value
    .group_segment_fixed_size: 0
    .kernarg_segment_align: 8
    .kernarg_segment_size: 88
    .language:       OpenCL C
    .language_version:
      - 2
      - 0
    .max_flat_workgroup_size: 1024
    .name:           _ZN7rocprim17ROCPRIM_400000_NS6detail17trampoline_kernelINS0_14default_configENS1_35radix_sort_onesweep_config_selectorIhNS0_10empty_typeEEEZZNS1_29radix_sort_onesweep_iterationIS3_Lb0EPKhPhPS5_SB_mNS0_19identity_decomposerENS1_16block_id_wrapperIjLb0EEEEE10hipError_tT1_PNSt15iterator_traitsISG_E10value_typeET2_T3_PNSH_ISM_E10value_typeET4_T5_PSR_SS_PNS1_23onesweep_lookback_stateEbbT6_jjT7_P12ihipStream_tbENKUlT_T0_SG_SL_E_clIS9_SA_SB_SB_EEDaSZ_S10_SG_SL_EUlSZ_E_NS1_11comp_targetILNS1_3genE6ELNS1_11target_archE950ELNS1_3gpuE13ELNS1_3repE0EEENS1_47radix_sort_onesweep_sort_config_static_selectorELNS0_4arch9wavefront6targetE0EEEvSG_
    .private_segment_fixed_size: 0
    .sgpr_count:     0
    .sgpr_spill_count: 0
    .symbol:         _ZN7rocprim17ROCPRIM_400000_NS6detail17trampoline_kernelINS0_14default_configENS1_35radix_sort_onesweep_config_selectorIhNS0_10empty_typeEEEZZNS1_29radix_sort_onesweep_iterationIS3_Lb0EPKhPhPS5_SB_mNS0_19identity_decomposerENS1_16block_id_wrapperIjLb0EEEEE10hipError_tT1_PNSt15iterator_traitsISG_E10value_typeET2_T3_PNSH_ISM_E10value_typeET4_T5_PSR_SS_PNS1_23onesweep_lookback_stateEbbT6_jjT7_P12ihipStream_tbENKUlT_T0_SG_SL_E_clIS9_SA_SB_SB_EEDaSZ_S10_SG_SL_EUlSZ_E_NS1_11comp_targetILNS1_3genE6ELNS1_11target_archE950ELNS1_3gpuE13ELNS1_3repE0EEENS1_47radix_sort_onesweep_sort_config_static_selectorELNS0_4arch9wavefront6targetE0EEEvSG_.kd
    .uniform_work_group_size: 1
    .uses_dynamic_stack: false
    .vgpr_count:     0
    .vgpr_spill_count: 0
    .wavefront_size: 32
  - .args:
      - .offset:         0
        .size:           88
        .value_kind:     by_value
    .group_segment_fixed_size: 0
    .kernarg_segment_align: 8
    .kernarg_segment_size: 88
    .language:       OpenCL C
    .language_version:
      - 2
      - 0
    .max_flat_workgroup_size: 1024
    .name:           _ZN7rocprim17ROCPRIM_400000_NS6detail17trampoline_kernelINS0_14default_configENS1_35radix_sort_onesweep_config_selectorIhNS0_10empty_typeEEEZZNS1_29radix_sort_onesweep_iterationIS3_Lb0EPKhPhPS5_SB_mNS0_19identity_decomposerENS1_16block_id_wrapperIjLb0EEEEE10hipError_tT1_PNSt15iterator_traitsISG_E10value_typeET2_T3_PNSH_ISM_E10value_typeET4_T5_PSR_SS_PNS1_23onesweep_lookback_stateEbbT6_jjT7_P12ihipStream_tbENKUlT_T0_SG_SL_E_clIS9_SA_SB_SB_EEDaSZ_S10_SG_SL_EUlSZ_E_NS1_11comp_targetILNS1_3genE5ELNS1_11target_archE942ELNS1_3gpuE9ELNS1_3repE0EEENS1_47radix_sort_onesweep_sort_config_static_selectorELNS0_4arch9wavefront6targetE0EEEvSG_
    .private_segment_fixed_size: 0
    .sgpr_count:     0
    .sgpr_spill_count: 0
    .symbol:         _ZN7rocprim17ROCPRIM_400000_NS6detail17trampoline_kernelINS0_14default_configENS1_35radix_sort_onesweep_config_selectorIhNS0_10empty_typeEEEZZNS1_29radix_sort_onesweep_iterationIS3_Lb0EPKhPhPS5_SB_mNS0_19identity_decomposerENS1_16block_id_wrapperIjLb0EEEEE10hipError_tT1_PNSt15iterator_traitsISG_E10value_typeET2_T3_PNSH_ISM_E10value_typeET4_T5_PSR_SS_PNS1_23onesweep_lookback_stateEbbT6_jjT7_P12ihipStream_tbENKUlT_T0_SG_SL_E_clIS9_SA_SB_SB_EEDaSZ_S10_SG_SL_EUlSZ_E_NS1_11comp_targetILNS1_3genE5ELNS1_11target_archE942ELNS1_3gpuE9ELNS1_3repE0EEENS1_47radix_sort_onesweep_sort_config_static_selectorELNS0_4arch9wavefront6targetE0EEEvSG_.kd
    .uniform_work_group_size: 1
    .uses_dynamic_stack: false
    .vgpr_count:     0
    .vgpr_spill_count: 0
    .wavefront_size: 32
  - .args:
      - .offset:         0
        .size:           88
        .value_kind:     by_value
    .group_segment_fixed_size: 0
    .kernarg_segment_align: 8
    .kernarg_segment_size: 88
    .language:       OpenCL C
    .language_version:
      - 2
      - 0
    .max_flat_workgroup_size: 512
    .name:           _ZN7rocprim17ROCPRIM_400000_NS6detail17trampoline_kernelINS0_14default_configENS1_35radix_sort_onesweep_config_selectorIhNS0_10empty_typeEEEZZNS1_29radix_sort_onesweep_iterationIS3_Lb0EPKhPhPS5_SB_mNS0_19identity_decomposerENS1_16block_id_wrapperIjLb0EEEEE10hipError_tT1_PNSt15iterator_traitsISG_E10value_typeET2_T3_PNSH_ISM_E10value_typeET4_T5_PSR_SS_PNS1_23onesweep_lookback_stateEbbT6_jjT7_P12ihipStream_tbENKUlT_T0_SG_SL_E_clIS9_SA_SB_SB_EEDaSZ_S10_SG_SL_EUlSZ_E_NS1_11comp_targetILNS1_3genE2ELNS1_11target_archE906ELNS1_3gpuE6ELNS1_3repE0EEENS1_47radix_sort_onesweep_sort_config_static_selectorELNS0_4arch9wavefront6targetE0EEEvSG_
    .private_segment_fixed_size: 0
    .sgpr_count:     0
    .sgpr_spill_count: 0
    .symbol:         _ZN7rocprim17ROCPRIM_400000_NS6detail17trampoline_kernelINS0_14default_configENS1_35radix_sort_onesweep_config_selectorIhNS0_10empty_typeEEEZZNS1_29radix_sort_onesweep_iterationIS3_Lb0EPKhPhPS5_SB_mNS0_19identity_decomposerENS1_16block_id_wrapperIjLb0EEEEE10hipError_tT1_PNSt15iterator_traitsISG_E10value_typeET2_T3_PNSH_ISM_E10value_typeET4_T5_PSR_SS_PNS1_23onesweep_lookback_stateEbbT6_jjT7_P12ihipStream_tbENKUlT_T0_SG_SL_E_clIS9_SA_SB_SB_EEDaSZ_S10_SG_SL_EUlSZ_E_NS1_11comp_targetILNS1_3genE2ELNS1_11target_archE906ELNS1_3gpuE6ELNS1_3repE0EEENS1_47radix_sort_onesweep_sort_config_static_selectorELNS0_4arch9wavefront6targetE0EEEvSG_.kd
    .uniform_work_group_size: 1
    .uses_dynamic_stack: false
    .vgpr_count:     0
    .vgpr_spill_count: 0
    .wavefront_size: 32
  - .args:
      - .offset:         0
        .size:           88
        .value_kind:     by_value
    .group_segment_fixed_size: 0
    .kernarg_segment_align: 8
    .kernarg_segment_size: 88
    .language:       OpenCL C
    .language_version:
      - 2
      - 0
    .max_flat_workgroup_size: 512
    .name:           _ZN7rocprim17ROCPRIM_400000_NS6detail17trampoline_kernelINS0_14default_configENS1_35radix_sort_onesweep_config_selectorIhNS0_10empty_typeEEEZZNS1_29radix_sort_onesweep_iterationIS3_Lb0EPKhPhPS5_SB_mNS0_19identity_decomposerENS1_16block_id_wrapperIjLb0EEEEE10hipError_tT1_PNSt15iterator_traitsISG_E10value_typeET2_T3_PNSH_ISM_E10value_typeET4_T5_PSR_SS_PNS1_23onesweep_lookback_stateEbbT6_jjT7_P12ihipStream_tbENKUlT_T0_SG_SL_E_clIS9_SA_SB_SB_EEDaSZ_S10_SG_SL_EUlSZ_E_NS1_11comp_targetILNS1_3genE4ELNS1_11target_archE910ELNS1_3gpuE8ELNS1_3repE0EEENS1_47radix_sort_onesweep_sort_config_static_selectorELNS0_4arch9wavefront6targetE0EEEvSG_
    .private_segment_fixed_size: 0
    .sgpr_count:     0
    .sgpr_spill_count: 0
    .symbol:         _ZN7rocprim17ROCPRIM_400000_NS6detail17trampoline_kernelINS0_14default_configENS1_35radix_sort_onesweep_config_selectorIhNS0_10empty_typeEEEZZNS1_29radix_sort_onesweep_iterationIS3_Lb0EPKhPhPS5_SB_mNS0_19identity_decomposerENS1_16block_id_wrapperIjLb0EEEEE10hipError_tT1_PNSt15iterator_traitsISG_E10value_typeET2_T3_PNSH_ISM_E10value_typeET4_T5_PSR_SS_PNS1_23onesweep_lookback_stateEbbT6_jjT7_P12ihipStream_tbENKUlT_T0_SG_SL_E_clIS9_SA_SB_SB_EEDaSZ_S10_SG_SL_EUlSZ_E_NS1_11comp_targetILNS1_3genE4ELNS1_11target_archE910ELNS1_3gpuE8ELNS1_3repE0EEENS1_47radix_sort_onesweep_sort_config_static_selectorELNS0_4arch9wavefront6targetE0EEEvSG_.kd
    .uniform_work_group_size: 1
    .uses_dynamic_stack: false
    .vgpr_count:     0
    .vgpr_spill_count: 0
    .wavefront_size: 32
  - .args:
      - .offset:         0
        .size:           88
        .value_kind:     by_value
    .group_segment_fixed_size: 0
    .kernarg_segment_align: 8
    .kernarg_segment_size: 88
    .language:       OpenCL C
    .language_version:
      - 2
      - 0
    .max_flat_workgroup_size: 1024
    .name:           _ZN7rocprim17ROCPRIM_400000_NS6detail17trampoline_kernelINS0_14default_configENS1_35radix_sort_onesweep_config_selectorIhNS0_10empty_typeEEEZZNS1_29radix_sort_onesweep_iterationIS3_Lb0EPKhPhPS5_SB_mNS0_19identity_decomposerENS1_16block_id_wrapperIjLb0EEEEE10hipError_tT1_PNSt15iterator_traitsISG_E10value_typeET2_T3_PNSH_ISM_E10value_typeET4_T5_PSR_SS_PNS1_23onesweep_lookback_stateEbbT6_jjT7_P12ihipStream_tbENKUlT_T0_SG_SL_E_clIS9_SA_SB_SB_EEDaSZ_S10_SG_SL_EUlSZ_E_NS1_11comp_targetILNS1_3genE3ELNS1_11target_archE908ELNS1_3gpuE7ELNS1_3repE0EEENS1_47radix_sort_onesweep_sort_config_static_selectorELNS0_4arch9wavefront6targetE0EEEvSG_
    .private_segment_fixed_size: 0
    .sgpr_count:     0
    .sgpr_spill_count: 0
    .symbol:         _ZN7rocprim17ROCPRIM_400000_NS6detail17trampoline_kernelINS0_14default_configENS1_35radix_sort_onesweep_config_selectorIhNS0_10empty_typeEEEZZNS1_29radix_sort_onesweep_iterationIS3_Lb0EPKhPhPS5_SB_mNS0_19identity_decomposerENS1_16block_id_wrapperIjLb0EEEEE10hipError_tT1_PNSt15iterator_traitsISG_E10value_typeET2_T3_PNSH_ISM_E10value_typeET4_T5_PSR_SS_PNS1_23onesweep_lookback_stateEbbT6_jjT7_P12ihipStream_tbENKUlT_T0_SG_SL_E_clIS9_SA_SB_SB_EEDaSZ_S10_SG_SL_EUlSZ_E_NS1_11comp_targetILNS1_3genE3ELNS1_11target_archE908ELNS1_3gpuE7ELNS1_3repE0EEENS1_47radix_sort_onesweep_sort_config_static_selectorELNS0_4arch9wavefront6targetE0EEEvSG_.kd
    .uniform_work_group_size: 1
    .uses_dynamic_stack: false
    .vgpr_count:     0
    .vgpr_spill_count: 0
    .wavefront_size: 32
  - .args:
      - .offset:         0
        .size:           88
        .value_kind:     by_value
    .group_segment_fixed_size: 0
    .kernarg_segment_align: 8
    .kernarg_segment_size: 88
    .language:       OpenCL C
    .language_version:
      - 2
      - 0
    .max_flat_workgroup_size: 256
    .name:           _ZN7rocprim17ROCPRIM_400000_NS6detail17trampoline_kernelINS0_14default_configENS1_35radix_sort_onesweep_config_selectorIhNS0_10empty_typeEEEZZNS1_29radix_sort_onesweep_iterationIS3_Lb0EPKhPhPS5_SB_mNS0_19identity_decomposerENS1_16block_id_wrapperIjLb0EEEEE10hipError_tT1_PNSt15iterator_traitsISG_E10value_typeET2_T3_PNSH_ISM_E10value_typeET4_T5_PSR_SS_PNS1_23onesweep_lookback_stateEbbT6_jjT7_P12ihipStream_tbENKUlT_T0_SG_SL_E_clIS9_SA_SB_SB_EEDaSZ_S10_SG_SL_EUlSZ_E_NS1_11comp_targetILNS1_3genE10ELNS1_11target_archE1201ELNS1_3gpuE5ELNS1_3repE0EEENS1_47radix_sort_onesweep_sort_config_static_selectorELNS0_4arch9wavefront6targetE0EEEvSG_
    .private_segment_fixed_size: 0
    .sgpr_count:     0
    .sgpr_spill_count: 0
    .symbol:         _ZN7rocprim17ROCPRIM_400000_NS6detail17trampoline_kernelINS0_14default_configENS1_35radix_sort_onesweep_config_selectorIhNS0_10empty_typeEEEZZNS1_29radix_sort_onesweep_iterationIS3_Lb0EPKhPhPS5_SB_mNS0_19identity_decomposerENS1_16block_id_wrapperIjLb0EEEEE10hipError_tT1_PNSt15iterator_traitsISG_E10value_typeET2_T3_PNSH_ISM_E10value_typeET4_T5_PSR_SS_PNS1_23onesweep_lookback_stateEbbT6_jjT7_P12ihipStream_tbENKUlT_T0_SG_SL_E_clIS9_SA_SB_SB_EEDaSZ_S10_SG_SL_EUlSZ_E_NS1_11comp_targetILNS1_3genE10ELNS1_11target_archE1201ELNS1_3gpuE5ELNS1_3repE0EEENS1_47radix_sort_onesweep_sort_config_static_selectorELNS0_4arch9wavefront6targetE0EEEvSG_.kd
    .uniform_work_group_size: 1
    .uses_dynamic_stack: false
    .vgpr_count:     0
    .vgpr_spill_count: 0
    .wavefront_size: 32
  - .args:
      - .offset:         0
        .size:           88
        .value_kind:     by_value
    .group_segment_fixed_size: 0
    .kernarg_segment_align: 8
    .kernarg_segment_size: 88
    .language:       OpenCL C
    .language_version:
      - 2
      - 0
    .max_flat_workgroup_size: 256
    .name:           _ZN7rocprim17ROCPRIM_400000_NS6detail17trampoline_kernelINS0_14default_configENS1_35radix_sort_onesweep_config_selectorIhNS0_10empty_typeEEEZZNS1_29radix_sort_onesweep_iterationIS3_Lb0EPKhPhPS5_SB_mNS0_19identity_decomposerENS1_16block_id_wrapperIjLb0EEEEE10hipError_tT1_PNSt15iterator_traitsISG_E10value_typeET2_T3_PNSH_ISM_E10value_typeET4_T5_PSR_SS_PNS1_23onesweep_lookback_stateEbbT6_jjT7_P12ihipStream_tbENKUlT_T0_SG_SL_E_clIS9_SA_SB_SB_EEDaSZ_S10_SG_SL_EUlSZ_E_NS1_11comp_targetILNS1_3genE9ELNS1_11target_archE1100ELNS1_3gpuE3ELNS1_3repE0EEENS1_47radix_sort_onesweep_sort_config_static_selectorELNS0_4arch9wavefront6targetE0EEEvSG_
    .private_segment_fixed_size: 0
    .sgpr_count:     0
    .sgpr_spill_count: 0
    .symbol:         _ZN7rocprim17ROCPRIM_400000_NS6detail17trampoline_kernelINS0_14default_configENS1_35radix_sort_onesweep_config_selectorIhNS0_10empty_typeEEEZZNS1_29radix_sort_onesweep_iterationIS3_Lb0EPKhPhPS5_SB_mNS0_19identity_decomposerENS1_16block_id_wrapperIjLb0EEEEE10hipError_tT1_PNSt15iterator_traitsISG_E10value_typeET2_T3_PNSH_ISM_E10value_typeET4_T5_PSR_SS_PNS1_23onesweep_lookback_stateEbbT6_jjT7_P12ihipStream_tbENKUlT_T0_SG_SL_E_clIS9_SA_SB_SB_EEDaSZ_S10_SG_SL_EUlSZ_E_NS1_11comp_targetILNS1_3genE9ELNS1_11target_archE1100ELNS1_3gpuE3ELNS1_3repE0EEENS1_47radix_sort_onesweep_sort_config_static_selectorELNS0_4arch9wavefront6targetE0EEEvSG_.kd
    .uniform_work_group_size: 1
    .uses_dynamic_stack: false
    .vgpr_count:     0
    .vgpr_spill_count: 0
    .wavefront_size: 32
  - .args:
      - .offset:         0
        .size:           88
        .value_kind:     by_value
    .group_segment_fixed_size: 0
    .kernarg_segment_align: 8
    .kernarg_segment_size: 88
    .language:       OpenCL C
    .language_version:
      - 2
      - 0
    .max_flat_workgroup_size: 256
    .name:           _ZN7rocprim17ROCPRIM_400000_NS6detail17trampoline_kernelINS0_14default_configENS1_35radix_sort_onesweep_config_selectorIhNS0_10empty_typeEEEZZNS1_29radix_sort_onesweep_iterationIS3_Lb0EPKhPhPS5_SB_mNS0_19identity_decomposerENS1_16block_id_wrapperIjLb0EEEEE10hipError_tT1_PNSt15iterator_traitsISG_E10value_typeET2_T3_PNSH_ISM_E10value_typeET4_T5_PSR_SS_PNS1_23onesweep_lookback_stateEbbT6_jjT7_P12ihipStream_tbENKUlT_T0_SG_SL_E_clIS9_SA_SB_SB_EEDaSZ_S10_SG_SL_EUlSZ_E_NS1_11comp_targetILNS1_3genE8ELNS1_11target_archE1030ELNS1_3gpuE2ELNS1_3repE0EEENS1_47radix_sort_onesweep_sort_config_static_selectorELNS0_4arch9wavefront6targetE0EEEvSG_
    .private_segment_fixed_size: 0
    .sgpr_count:     0
    .sgpr_spill_count: 0
    .symbol:         _ZN7rocprim17ROCPRIM_400000_NS6detail17trampoline_kernelINS0_14default_configENS1_35radix_sort_onesweep_config_selectorIhNS0_10empty_typeEEEZZNS1_29radix_sort_onesweep_iterationIS3_Lb0EPKhPhPS5_SB_mNS0_19identity_decomposerENS1_16block_id_wrapperIjLb0EEEEE10hipError_tT1_PNSt15iterator_traitsISG_E10value_typeET2_T3_PNSH_ISM_E10value_typeET4_T5_PSR_SS_PNS1_23onesweep_lookback_stateEbbT6_jjT7_P12ihipStream_tbENKUlT_T0_SG_SL_E_clIS9_SA_SB_SB_EEDaSZ_S10_SG_SL_EUlSZ_E_NS1_11comp_targetILNS1_3genE8ELNS1_11target_archE1030ELNS1_3gpuE2ELNS1_3repE0EEENS1_47radix_sort_onesweep_sort_config_static_selectorELNS0_4arch9wavefront6targetE0EEEvSG_.kd
    .uniform_work_group_size: 1
    .uses_dynamic_stack: false
    .vgpr_count:     0
    .vgpr_spill_count: 0
    .wavefront_size: 32
  - .args:
      - .offset:         0
        .size:           88
        .value_kind:     by_value
      - .offset:         88
        .size:           4
        .value_kind:     hidden_block_count_x
      - .offset:         92
        .size:           4
        .value_kind:     hidden_block_count_y
      - .offset:         96
        .size:           4
        .value_kind:     hidden_block_count_z
      - .offset:         100
        .size:           2
        .value_kind:     hidden_group_size_x
      - .offset:         102
        .size:           2
        .value_kind:     hidden_group_size_y
      - .offset:         104
        .size:           2
        .value_kind:     hidden_group_size_z
      - .offset:         106
        .size:           2
        .value_kind:     hidden_remainder_x
      - .offset:         108
        .size:           2
        .value_kind:     hidden_remainder_y
      - .offset:         110
        .size:           2
        .value_kind:     hidden_remainder_z
      - .offset:         128
        .size:           8
        .value_kind:     hidden_global_offset_x
      - .offset:         136
        .size:           8
        .value_kind:     hidden_global_offset_y
      - .offset:         144
        .size:           8
        .value_kind:     hidden_global_offset_z
      - .offset:         152
        .size:           2
        .value_kind:     hidden_grid_dims
    .group_segment_fixed_size: 32904
    .kernarg_segment_align: 8
    .kernarg_segment_size: 344
    .language:       OpenCL C
    .language_version:
      - 2
      - 0
    .max_flat_workgroup_size: 1024
    .name:           _ZN7rocprim17ROCPRIM_400000_NS6detail17trampoline_kernelINS0_14default_configENS1_35radix_sort_onesweep_config_selectorIhNS0_10empty_typeEEEZZNS1_29radix_sort_onesweep_iterationIS3_Lb0EPKhPhPS5_SB_mNS0_19identity_decomposerENS1_16block_id_wrapperIjLb0EEEEE10hipError_tT1_PNSt15iterator_traitsISG_E10value_typeET2_T3_PNSH_ISM_E10value_typeET4_T5_PSR_SS_PNS1_23onesweep_lookback_stateEbbT6_jjT7_P12ihipStream_tbENKUlT_T0_SG_SL_E_clISA_SA_SB_SB_EEDaSZ_S10_SG_SL_EUlSZ_E_NS1_11comp_targetILNS1_3genE0ELNS1_11target_archE4294967295ELNS1_3gpuE0ELNS1_3repE0EEENS1_47radix_sort_onesweep_sort_config_static_selectorELNS0_4arch9wavefront6targetE0EEEvSG_
    .private_segment_fixed_size: 0
    .sgpr_count:     27
    .sgpr_spill_count: 0
    .symbol:         _ZN7rocprim17ROCPRIM_400000_NS6detail17trampoline_kernelINS0_14default_configENS1_35radix_sort_onesweep_config_selectorIhNS0_10empty_typeEEEZZNS1_29radix_sort_onesweep_iterationIS3_Lb0EPKhPhPS5_SB_mNS0_19identity_decomposerENS1_16block_id_wrapperIjLb0EEEEE10hipError_tT1_PNSt15iterator_traitsISG_E10value_typeET2_T3_PNSH_ISM_E10value_typeET4_T5_PSR_SS_PNS1_23onesweep_lookback_stateEbbT6_jjT7_P12ihipStream_tbENKUlT_T0_SG_SL_E_clISA_SA_SB_SB_EEDaSZ_S10_SG_SL_EUlSZ_E_NS1_11comp_targetILNS1_3genE0ELNS1_11target_archE4294967295ELNS1_3gpuE0ELNS1_3repE0EEENS1_47radix_sort_onesweep_sort_config_static_selectorELNS0_4arch9wavefront6targetE0EEEvSG_.kd
    .uniform_work_group_size: 1
    .uses_dynamic_stack: false
    .vgpr_count:     79
    .vgpr_spill_count: 0
    .wavefront_size: 32
  - .args:
      - .offset:         0
        .size:           88
        .value_kind:     by_value
    .group_segment_fixed_size: 0
    .kernarg_segment_align: 8
    .kernarg_segment_size: 88
    .language:       OpenCL C
    .language_version:
      - 2
      - 0
    .max_flat_workgroup_size: 1024
    .name:           _ZN7rocprim17ROCPRIM_400000_NS6detail17trampoline_kernelINS0_14default_configENS1_35radix_sort_onesweep_config_selectorIhNS0_10empty_typeEEEZZNS1_29radix_sort_onesweep_iterationIS3_Lb0EPKhPhPS5_SB_mNS0_19identity_decomposerENS1_16block_id_wrapperIjLb0EEEEE10hipError_tT1_PNSt15iterator_traitsISG_E10value_typeET2_T3_PNSH_ISM_E10value_typeET4_T5_PSR_SS_PNS1_23onesweep_lookback_stateEbbT6_jjT7_P12ihipStream_tbENKUlT_T0_SG_SL_E_clISA_SA_SB_SB_EEDaSZ_S10_SG_SL_EUlSZ_E_NS1_11comp_targetILNS1_3genE6ELNS1_11target_archE950ELNS1_3gpuE13ELNS1_3repE0EEENS1_47radix_sort_onesweep_sort_config_static_selectorELNS0_4arch9wavefront6targetE0EEEvSG_
    .private_segment_fixed_size: 0
    .sgpr_count:     0
    .sgpr_spill_count: 0
    .symbol:         _ZN7rocprim17ROCPRIM_400000_NS6detail17trampoline_kernelINS0_14default_configENS1_35radix_sort_onesweep_config_selectorIhNS0_10empty_typeEEEZZNS1_29radix_sort_onesweep_iterationIS3_Lb0EPKhPhPS5_SB_mNS0_19identity_decomposerENS1_16block_id_wrapperIjLb0EEEEE10hipError_tT1_PNSt15iterator_traitsISG_E10value_typeET2_T3_PNSH_ISM_E10value_typeET4_T5_PSR_SS_PNS1_23onesweep_lookback_stateEbbT6_jjT7_P12ihipStream_tbENKUlT_T0_SG_SL_E_clISA_SA_SB_SB_EEDaSZ_S10_SG_SL_EUlSZ_E_NS1_11comp_targetILNS1_3genE6ELNS1_11target_archE950ELNS1_3gpuE13ELNS1_3repE0EEENS1_47radix_sort_onesweep_sort_config_static_selectorELNS0_4arch9wavefront6targetE0EEEvSG_.kd
    .uniform_work_group_size: 1
    .uses_dynamic_stack: false
    .vgpr_count:     0
    .vgpr_spill_count: 0
    .wavefront_size: 32
  - .args:
      - .offset:         0
        .size:           88
        .value_kind:     by_value
    .group_segment_fixed_size: 0
    .kernarg_segment_align: 8
    .kernarg_segment_size: 88
    .language:       OpenCL C
    .language_version:
      - 2
      - 0
    .max_flat_workgroup_size: 1024
    .name:           _ZN7rocprim17ROCPRIM_400000_NS6detail17trampoline_kernelINS0_14default_configENS1_35radix_sort_onesweep_config_selectorIhNS0_10empty_typeEEEZZNS1_29radix_sort_onesweep_iterationIS3_Lb0EPKhPhPS5_SB_mNS0_19identity_decomposerENS1_16block_id_wrapperIjLb0EEEEE10hipError_tT1_PNSt15iterator_traitsISG_E10value_typeET2_T3_PNSH_ISM_E10value_typeET4_T5_PSR_SS_PNS1_23onesweep_lookback_stateEbbT6_jjT7_P12ihipStream_tbENKUlT_T0_SG_SL_E_clISA_SA_SB_SB_EEDaSZ_S10_SG_SL_EUlSZ_E_NS1_11comp_targetILNS1_3genE5ELNS1_11target_archE942ELNS1_3gpuE9ELNS1_3repE0EEENS1_47radix_sort_onesweep_sort_config_static_selectorELNS0_4arch9wavefront6targetE0EEEvSG_
    .private_segment_fixed_size: 0
    .sgpr_count:     0
    .sgpr_spill_count: 0
    .symbol:         _ZN7rocprim17ROCPRIM_400000_NS6detail17trampoline_kernelINS0_14default_configENS1_35radix_sort_onesweep_config_selectorIhNS0_10empty_typeEEEZZNS1_29radix_sort_onesweep_iterationIS3_Lb0EPKhPhPS5_SB_mNS0_19identity_decomposerENS1_16block_id_wrapperIjLb0EEEEE10hipError_tT1_PNSt15iterator_traitsISG_E10value_typeET2_T3_PNSH_ISM_E10value_typeET4_T5_PSR_SS_PNS1_23onesweep_lookback_stateEbbT6_jjT7_P12ihipStream_tbENKUlT_T0_SG_SL_E_clISA_SA_SB_SB_EEDaSZ_S10_SG_SL_EUlSZ_E_NS1_11comp_targetILNS1_3genE5ELNS1_11target_archE942ELNS1_3gpuE9ELNS1_3repE0EEENS1_47radix_sort_onesweep_sort_config_static_selectorELNS0_4arch9wavefront6targetE0EEEvSG_.kd
    .uniform_work_group_size: 1
    .uses_dynamic_stack: false
    .vgpr_count:     0
    .vgpr_spill_count: 0
    .wavefront_size: 32
  - .args:
      - .offset:         0
        .size:           88
        .value_kind:     by_value
    .group_segment_fixed_size: 0
    .kernarg_segment_align: 8
    .kernarg_segment_size: 88
    .language:       OpenCL C
    .language_version:
      - 2
      - 0
    .max_flat_workgroup_size: 512
    .name:           _ZN7rocprim17ROCPRIM_400000_NS6detail17trampoline_kernelINS0_14default_configENS1_35radix_sort_onesweep_config_selectorIhNS0_10empty_typeEEEZZNS1_29radix_sort_onesweep_iterationIS3_Lb0EPKhPhPS5_SB_mNS0_19identity_decomposerENS1_16block_id_wrapperIjLb0EEEEE10hipError_tT1_PNSt15iterator_traitsISG_E10value_typeET2_T3_PNSH_ISM_E10value_typeET4_T5_PSR_SS_PNS1_23onesweep_lookback_stateEbbT6_jjT7_P12ihipStream_tbENKUlT_T0_SG_SL_E_clISA_SA_SB_SB_EEDaSZ_S10_SG_SL_EUlSZ_E_NS1_11comp_targetILNS1_3genE2ELNS1_11target_archE906ELNS1_3gpuE6ELNS1_3repE0EEENS1_47radix_sort_onesweep_sort_config_static_selectorELNS0_4arch9wavefront6targetE0EEEvSG_
    .private_segment_fixed_size: 0
    .sgpr_count:     0
    .sgpr_spill_count: 0
    .symbol:         _ZN7rocprim17ROCPRIM_400000_NS6detail17trampoline_kernelINS0_14default_configENS1_35radix_sort_onesweep_config_selectorIhNS0_10empty_typeEEEZZNS1_29radix_sort_onesweep_iterationIS3_Lb0EPKhPhPS5_SB_mNS0_19identity_decomposerENS1_16block_id_wrapperIjLb0EEEEE10hipError_tT1_PNSt15iterator_traitsISG_E10value_typeET2_T3_PNSH_ISM_E10value_typeET4_T5_PSR_SS_PNS1_23onesweep_lookback_stateEbbT6_jjT7_P12ihipStream_tbENKUlT_T0_SG_SL_E_clISA_SA_SB_SB_EEDaSZ_S10_SG_SL_EUlSZ_E_NS1_11comp_targetILNS1_3genE2ELNS1_11target_archE906ELNS1_3gpuE6ELNS1_3repE0EEENS1_47radix_sort_onesweep_sort_config_static_selectorELNS0_4arch9wavefront6targetE0EEEvSG_.kd
    .uniform_work_group_size: 1
    .uses_dynamic_stack: false
    .vgpr_count:     0
    .vgpr_spill_count: 0
    .wavefront_size: 32
  - .args:
      - .offset:         0
        .size:           88
        .value_kind:     by_value
    .group_segment_fixed_size: 0
    .kernarg_segment_align: 8
    .kernarg_segment_size: 88
    .language:       OpenCL C
    .language_version:
      - 2
      - 0
    .max_flat_workgroup_size: 512
    .name:           _ZN7rocprim17ROCPRIM_400000_NS6detail17trampoline_kernelINS0_14default_configENS1_35radix_sort_onesweep_config_selectorIhNS0_10empty_typeEEEZZNS1_29radix_sort_onesweep_iterationIS3_Lb0EPKhPhPS5_SB_mNS0_19identity_decomposerENS1_16block_id_wrapperIjLb0EEEEE10hipError_tT1_PNSt15iterator_traitsISG_E10value_typeET2_T3_PNSH_ISM_E10value_typeET4_T5_PSR_SS_PNS1_23onesweep_lookback_stateEbbT6_jjT7_P12ihipStream_tbENKUlT_T0_SG_SL_E_clISA_SA_SB_SB_EEDaSZ_S10_SG_SL_EUlSZ_E_NS1_11comp_targetILNS1_3genE4ELNS1_11target_archE910ELNS1_3gpuE8ELNS1_3repE0EEENS1_47radix_sort_onesweep_sort_config_static_selectorELNS0_4arch9wavefront6targetE0EEEvSG_
    .private_segment_fixed_size: 0
    .sgpr_count:     0
    .sgpr_spill_count: 0
    .symbol:         _ZN7rocprim17ROCPRIM_400000_NS6detail17trampoline_kernelINS0_14default_configENS1_35radix_sort_onesweep_config_selectorIhNS0_10empty_typeEEEZZNS1_29radix_sort_onesweep_iterationIS3_Lb0EPKhPhPS5_SB_mNS0_19identity_decomposerENS1_16block_id_wrapperIjLb0EEEEE10hipError_tT1_PNSt15iterator_traitsISG_E10value_typeET2_T3_PNSH_ISM_E10value_typeET4_T5_PSR_SS_PNS1_23onesweep_lookback_stateEbbT6_jjT7_P12ihipStream_tbENKUlT_T0_SG_SL_E_clISA_SA_SB_SB_EEDaSZ_S10_SG_SL_EUlSZ_E_NS1_11comp_targetILNS1_3genE4ELNS1_11target_archE910ELNS1_3gpuE8ELNS1_3repE0EEENS1_47radix_sort_onesweep_sort_config_static_selectorELNS0_4arch9wavefront6targetE0EEEvSG_.kd
    .uniform_work_group_size: 1
    .uses_dynamic_stack: false
    .vgpr_count:     0
    .vgpr_spill_count: 0
    .wavefront_size: 32
  - .args:
      - .offset:         0
        .size:           88
        .value_kind:     by_value
    .group_segment_fixed_size: 0
    .kernarg_segment_align: 8
    .kernarg_segment_size: 88
    .language:       OpenCL C
    .language_version:
      - 2
      - 0
    .max_flat_workgroup_size: 1024
    .name:           _ZN7rocprim17ROCPRIM_400000_NS6detail17trampoline_kernelINS0_14default_configENS1_35radix_sort_onesweep_config_selectorIhNS0_10empty_typeEEEZZNS1_29radix_sort_onesweep_iterationIS3_Lb0EPKhPhPS5_SB_mNS0_19identity_decomposerENS1_16block_id_wrapperIjLb0EEEEE10hipError_tT1_PNSt15iterator_traitsISG_E10value_typeET2_T3_PNSH_ISM_E10value_typeET4_T5_PSR_SS_PNS1_23onesweep_lookback_stateEbbT6_jjT7_P12ihipStream_tbENKUlT_T0_SG_SL_E_clISA_SA_SB_SB_EEDaSZ_S10_SG_SL_EUlSZ_E_NS1_11comp_targetILNS1_3genE3ELNS1_11target_archE908ELNS1_3gpuE7ELNS1_3repE0EEENS1_47radix_sort_onesweep_sort_config_static_selectorELNS0_4arch9wavefront6targetE0EEEvSG_
    .private_segment_fixed_size: 0
    .sgpr_count:     0
    .sgpr_spill_count: 0
    .symbol:         _ZN7rocprim17ROCPRIM_400000_NS6detail17trampoline_kernelINS0_14default_configENS1_35radix_sort_onesweep_config_selectorIhNS0_10empty_typeEEEZZNS1_29radix_sort_onesweep_iterationIS3_Lb0EPKhPhPS5_SB_mNS0_19identity_decomposerENS1_16block_id_wrapperIjLb0EEEEE10hipError_tT1_PNSt15iterator_traitsISG_E10value_typeET2_T3_PNSH_ISM_E10value_typeET4_T5_PSR_SS_PNS1_23onesweep_lookback_stateEbbT6_jjT7_P12ihipStream_tbENKUlT_T0_SG_SL_E_clISA_SA_SB_SB_EEDaSZ_S10_SG_SL_EUlSZ_E_NS1_11comp_targetILNS1_3genE3ELNS1_11target_archE908ELNS1_3gpuE7ELNS1_3repE0EEENS1_47radix_sort_onesweep_sort_config_static_selectorELNS0_4arch9wavefront6targetE0EEEvSG_.kd
    .uniform_work_group_size: 1
    .uses_dynamic_stack: false
    .vgpr_count:     0
    .vgpr_spill_count: 0
    .wavefront_size: 32
  - .args:
      - .offset:         0
        .size:           88
        .value_kind:     by_value
    .group_segment_fixed_size: 0
    .kernarg_segment_align: 8
    .kernarg_segment_size: 88
    .language:       OpenCL C
    .language_version:
      - 2
      - 0
    .max_flat_workgroup_size: 256
    .name:           _ZN7rocprim17ROCPRIM_400000_NS6detail17trampoline_kernelINS0_14default_configENS1_35radix_sort_onesweep_config_selectorIhNS0_10empty_typeEEEZZNS1_29radix_sort_onesweep_iterationIS3_Lb0EPKhPhPS5_SB_mNS0_19identity_decomposerENS1_16block_id_wrapperIjLb0EEEEE10hipError_tT1_PNSt15iterator_traitsISG_E10value_typeET2_T3_PNSH_ISM_E10value_typeET4_T5_PSR_SS_PNS1_23onesweep_lookback_stateEbbT6_jjT7_P12ihipStream_tbENKUlT_T0_SG_SL_E_clISA_SA_SB_SB_EEDaSZ_S10_SG_SL_EUlSZ_E_NS1_11comp_targetILNS1_3genE10ELNS1_11target_archE1201ELNS1_3gpuE5ELNS1_3repE0EEENS1_47radix_sort_onesweep_sort_config_static_selectorELNS0_4arch9wavefront6targetE0EEEvSG_
    .private_segment_fixed_size: 0
    .sgpr_count:     0
    .sgpr_spill_count: 0
    .symbol:         _ZN7rocprim17ROCPRIM_400000_NS6detail17trampoline_kernelINS0_14default_configENS1_35radix_sort_onesweep_config_selectorIhNS0_10empty_typeEEEZZNS1_29radix_sort_onesweep_iterationIS3_Lb0EPKhPhPS5_SB_mNS0_19identity_decomposerENS1_16block_id_wrapperIjLb0EEEEE10hipError_tT1_PNSt15iterator_traitsISG_E10value_typeET2_T3_PNSH_ISM_E10value_typeET4_T5_PSR_SS_PNS1_23onesweep_lookback_stateEbbT6_jjT7_P12ihipStream_tbENKUlT_T0_SG_SL_E_clISA_SA_SB_SB_EEDaSZ_S10_SG_SL_EUlSZ_E_NS1_11comp_targetILNS1_3genE10ELNS1_11target_archE1201ELNS1_3gpuE5ELNS1_3repE0EEENS1_47radix_sort_onesweep_sort_config_static_selectorELNS0_4arch9wavefront6targetE0EEEvSG_.kd
    .uniform_work_group_size: 1
    .uses_dynamic_stack: false
    .vgpr_count:     0
    .vgpr_spill_count: 0
    .wavefront_size: 32
  - .args:
      - .offset:         0
        .size:           88
        .value_kind:     by_value
    .group_segment_fixed_size: 0
    .kernarg_segment_align: 8
    .kernarg_segment_size: 88
    .language:       OpenCL C
    .language_version:
      - 2
      - 0
    .max_flat_workgroup_size: 256
    .name:           _ZN7rocprim17ROCPRIM_400000_NS6detail17trampoline_kernelINS0_14default_configENS1_35radix_sort_onesweep_config_selectorIhNS0_10empty_typeEEEZZNS1_29radix_sort_onesweep_iterationIS3_Lb0EPKhPhPS5_SB_mNS0_19identity_decomposerENS1_16block_id_wrapperIjLb0EEEEE10hipError_tT1_PNSt15iterator_traitsISG_E10value_typeET2_T3_PNSH_ISM_E10value_typeET4_T5_PSR_SS_PNS1_23onesweep_lookback_stateEbbT6_jjT7_P12ihipStream_tbENKUlT_T0_SG_SL_E_clISA_SA_SB_SB_EEDaSZ_S10_SG_SL_EUlSZ_E_NS1_11comp_targetILNS1_3genE9ELNS1_11target_archE1100ELNS1_3gpuE3ELNS1_3repE0EEENS1_47radix_sort_onesweep_sort_config_static_selectorELNS0_4arch9wavefront6targetE0EEEvSG_
    .private_segment_fixed_size: 0
    .sgpr_count:     0
    .sgpr_spill_count: 0
    .symbol:         _ZN7rocprim17ROCPRIM_400000_NS6detail17trampoline_kernelINS0_14default_configENS1_35radix_sort_onesweep_config_selectorIhNS0_10empty_typeEEEZZNS1_29radix_sort_onesweep_iterationIS3_Lb0EPKhPhPS5_SB_mNS0_19identity_decomposerENS1_16block_id_wrapperIjLb0EEEEE10hipError_tT1_PNSt15iterator_traitsISG_E10value_typeET2_T3_PNSH_ISM_E10value_typeET4_T5_PSR_SS_PNS1_23onesweep_lookback_stateEbbT6_jjT7_P12ihipStream_tbENKUlT_T0_SG_SL_E_clISA_SA_SB_SB_EEDaSZ_S10_SG_SL_EUlSZ_E_NS1_11comp_targetILNS1_3genE9ELNS1_11target_archE1100ELNS1_3gpuE3ELNS1_3repE0EEENS1_47radix_sort_onesweep_sort_config_static_selectorELNS0_4arch9wavefront6targetE0EEEvSG_.kd
    .uniform_work_group_size: 1
    .uses_dynamic_stack: false
    .vgpr_count:     0
    .vgpr_spill_count: 0
    .wavefront_size: 32
  - .args:
      - .offset:         0
        .size:           88
        .value_kind:     by_value
    .group_segment_fixed_size: 0
    .kernarg_segment_align: 8
    .kernarg_segment_size: 88
    .language:       OpenCL C
    .language_version:
      - 2
      - 0
    .max_flat_workgroup_size: 256
    .name:           _ZN7rocprim17ROCPRIM_400000_NS6detail17trampoline_kernelINS0_14default_configENS1_35radix_sort_onesweep_config_selectorIhNS0_10empty_typeEEEZZNS1_29radix_sort_onesweep_iterationIS3_Lb0EPKhPhPS5_SB_mNS0_19identity_decomposerENS1_16block_id_wrapperIjLb0EEEEE10hipError_tT1_PNSt15iterator_traitsISG_E10value_typeET2_T3_PNSH_ISM_E10value_typeET4_T5_PSR_SS_PNS1_23onesweep_lookback_stateEbbT6_jjT7_P12ihipStream_tbENKUlT_T0_SG_SL_E_clISA_SA_SB_SB_EEDaSZ_S10_SG_SL_EUlSZ_E_NS1_11comp_targetILNS1_3genE8ELNS1_11target_archE1030ELNS1_3gpuE2ELNS1_3repE0EEENS1_47radix_sort_onesweep_sort_config_static_selectorELNS0_4arch9wavefront6targetE0EEEvSG_
    .private_segment_fixed_size: 0
    .sgpr_count:     0
    .sgpr_spill_count: 0
    .symbol:         _ZN7rocprim17ROCPRIM_400000_NS6detail17trampoline_kernelINS0_14default_configENS1_35radix_sort_onesweep_config_selectorIhNS0_10empty_typeEEEZZNS1_29radix_sort_onesweep_iterationIS3_Lb0EPKhPhPS5_SB_mNS0_19identity_decomposerENS1_16block_id_wrapperIjLb0EEEEE10hipError_tT1_PNSt15iterator_traitsISG_E10value_typeET2_T3_PNSH_ISM_E10value_typeET4_T5_PSR_SS_PNS1_23onesweep_lookback_stateEbbT6_jjT7_P12ihipStream_tbENKUlT_T0_SG_SL_E_clISA_SA_SB_SB_EEDaSZ_S10_SG_SL_EUlSZ_E_NS1_11comp_targetILNS1_3genE8ELNS1_11target_archE1030ELNS1_3gpuE2ELNS1_3repE0EEENS1_47radix_sort_onesweep_sort_config_static_selectorELNS0_4arch9wavefront6targetE0EEEvSG_.kd
    .uniform_work_group_size: 1
    .uses_dynamic_stack: false
    .vgpr_count:     0
    .vgpr_spill_count: 0
    .wavefront_size: 32
  - .args:
      - .offset:         0
        .size:           48
        .value_kind:     by_value
      - .offset:         48
        .size:           4
        .value_kind:     hidden_block_count_x
      - .offset:         52
        .size:           4
        .value_kind:     hidden_block_count_y
      - .offset:         56
        .size:           4
        .value_kind:     hidden_block_count_z
      - .offset:         60
        .size:           2
        .value_kind:     hidden_group_size_x
      - .offset:         62
        .size:           2
        .value_kind:     hidden_group_size_y
      - .offset:         64
        .size:           2
        .value_kind:     hidden_group_size_z
      - .offset:         66
        .size:           2
        .value_kind:     hidden_remainder_x
      - .offset:         68
        .size:           2
        .value_kind:     hidden_remainder_y
      - .offset:         70
        .size:           2
        .value_kind:     hidden_remainder_z
      - .offset:         88
        .size:           8
        .value_kind:     hidden_global_offset_x
      - .offset:         96
        .size:           8
        .value_kind:     hidden_global_offset_y
      - .offset:         104
        .size:           8
        .value_kind:     hidden_global_offset_z
      - .offset:         112
        .size:           2
        .value_kind:     hidden_grid_dims
    .group_segment_fixed_size: 8224
    .kernarg_segment_align: 8
    .kernarg_segment_size: 304
    .language:       OpenCL C
    .language_version:
      - 2
      - 0
    .max_flat_workgroup_size: 256
    .name:           _ZN7rocprim17ROCPRIM_400000_NS6detail17trampoline_kernelINS0_13kernel_configILj256ELj4ELj4294967295EEENS1_37radix_sort_block_sort_config_selectorIaNS0_10empty_typeEEEZNS1_21radix_sort_block_sortIS4_Lb1EPKaPaPS6_SC_NS0_19identity_decomposerEEE10hipError_tT1_T2_T3_T4_jRjT5_jjP12ihipStream_tbEUlT_E_NS1_11comp_targetILNS1_3genE0ELNS1_11target_archE4294967295ELNS1_3gpuE0ELNS1_3repE0EEENS1_44radix_sort_block_sort_config_static_selectorELNS0_4arch9wavefront6targetE0EEEvSF_
    .private_segment_fixed_size: 0
    .sgpr_count:     31
    .sgpr_spill_count: 0
    .symbol:         _ZN7rocprim17ROCPRIM_400000_NS6detail17trampoline_kernelINS0_13kernel_configILj256ELj4ELj4294967295EEENS1_37radix_sort_block_sort_config_selectorIaNS0_10empty_typeEEEZNS1_21radix_sort_block_sortIS4_Lb1EPKaPaPS6_SC_NS0_19identity_decomposerEEE10hipError_tT1_T2_T3_T4_jRjT5_jjP12ihipStream_tbEUlT_E_NS1_11comp_targetILNS1_3genE0ELNS1_11target_archE4294967295ELNS1_3gpuE0ELNS1_3repE0EEENS1_44radix_sort_block_sort_config_static_selectorELNS0_4arch9wavefront6targetE0EEEvSF_.kd
    .uniform_work_group_size: 1
    .uses_dynamic_stack: false
    .vgpr_count:     36
    .vgpr_spill_count: 0
    .wavefront_size: 32
  - .args:
      - .offset:         0
        .size:           48
        .value_kind:     by_value
    .group_segment_fixed_size: 0
    .kernarg_segment_align: 8
    .kernarg_segment_size: 48
    .language:       OpenCL C
    .language_version:
      - 2
      - 0
    .max_flat_workgroup_size: 256
    .name:           _ZN7rocprim17ROCPRIM_400000_NS6detail17trampoline_kernelINS0_13kernel_configILj256ELj4ELj4294967295EEENS1_37radix_sort_block_sort_config_selectorIaNS0_10empty_typeEEEZNS1_21radix_sort_block_sortIS4_Lb1EPKaPaPS6_SC_NS0_19identity_decomposerEEE10hipError_tT1_T2_T3_T4_jRjT5_jjP12ihipStream_tbEUlT_E_NS1_11comp_targetILNS1_3genE5ELNS1_11target_archE942ELNS1_3gpuE9ELNS1_3repE0EEENS1_44radix_sort_block_sort_config_static_selectorELNS0_4arch9wavefront6targetE0EEEvSF_
    .private_segment_fixed_size: 0
    .sgpr_count:     0
    .sgpr_spill_count: 0
    .symbol:         _ZN7rocprim17ROCPRIM_400000_NS6detail17trampoline_kernelINS0_13kernel_configILj256ELj4ELj4294967295EEENS1_37radix_sort_block_sort_config_selectorIaNS0_10empty_typeEEEZNS1_21radix_sort_block_sortIS4_Lb1EPKaPaPS6_SC_NS0_19identity_decomposerEEE10hipError_tT1_T2_T3_T4_jRjT5_jjP12ihipStream_tbEUlT_E_NS1_11comp_targetILNS1_3genE5ELNS1_11target_archE942ELNS1_3gpuE9ELNS1_3repE0EEENS1_44radix_sort_block_sort_config_static_selectorELNS0_4arch9wavefront6targetE0EEEvSF_.kd
    .uniform_work_group_size: 1
    .uses_dynamic_stack: false
    .vgpr_count:     0
    .vgpr_spill_count: 0
    .wavefront_size: 32
  - .args:
      - .offset:         0
        .size:           48
        .value_kind:     by_value
    .group_segment_fixed_size: 0
    .kernarg_segment_align: 8
    .kernarg_segment_size: 48
    .language:       OpenCL C
    .language_version:
      - 2
      - 0
    .max_flat_workgroup_size: 256
    .name:           _ZN7rocprim17ROCPRIM_400000_NS6detail17trampoline_kernelINS0_13kernel_configILj256ELj4ELj4294967295EEENS1_37radix_sort_block_sort_config_selectorIaNS0_10empty_typeEEEZNS1_21radix_sort_block_sortIS4_Lb1EPKaPaPS6_SC_NS0_19identity_decomposerEEE10hipError_tT1_T2_T3_T4_jRjT5_jjP12ihipStream_tbEUlT_E_NS1_11comp_targetILNS1_3genE4ELNS1_11target_archE910ELNS1_3gpuE8ELNS1_3repE0EEENS1_44radix_sort_block_sort_config_static_selectorELNS0_4arch9wavefront6targetE0EEEvSF_
    .private_segment_fixed_size: 0
    .sgpr_count:     0
    .sgpr_spill_count: 0
    .symbol:         _ZN7rocprim17ROCPRIM_400000_NS6detail17trampoline_kernelINS0_13kernel_configILj256ELj4ELj4294967295EEENS1_37radix_sort_block_sort_config_selectorIaNS0_10empty_typeEEEZNS1_21radix_sort_block_sortIS4_Lb1EPKaPaPS6_SC_NS0_19identity_decomposerEEE10hipError_tT1_T2_T3_T4_jRjT5_jjP12ihipStream_tbEUlT_E_NS1_11comp_targetILNS1_3genE4ELNS1_11target_archE910ELNS1_3gpuE8ELNS1_3repE0EEENS1_44radix_sort_block_sort_config_static_selectorELNS0_4arch9wavefront6targetE0EEEvSF_.kd
    .uniform_work_group_size: 1
    .uses_dynamic_stack: false
    .vgpr_count:     0
    .vgpr_spill_count: 0
    .wavefront_size: 32
  - .args:
      - .offset:         0
        .size:           48
        .value_kind:     by_value
    .group_segment_fixed_size: 0
    .kernarg_segment_align: 8
    .kernarg_segment_size: 48
    .language:       OpenCL C
    .language_version:
      - 2
      - 0
    .max_flat_workgroup_size: 256
    .name:           _ZN7rocprim17ROCPRIM_400000_NS6detail17trampoline_kernelINS0_13kernel_configILj256ELj4ELj4294967295EEENS1_37radix_sort_block_sort_config_selectorIaNS0_10empty_typeEEEZNS1_21radix_sort_block_sortIS4_Lb1EPKaPaPS6_SC_NS0_19identity_decomposerEEE10hipError_tT1_T2_T3_T4_jRjT5_jjP12ihipStream_tbEUlT_E_NS1_11comp_targetILNS1_3genE3ELNS1_11target_archE908ELNS1_3gpuE7ELNS1_3repE0EEENS1_44radix_sort_block_sort_config_static_selectorELNS0_4arch9wavefront6targetE0EEEvSF_
    .private_segment_fixed_size: 0
    .sgpr_count:     0
    .sgpr_spill_count: 0
    .symbol:         _ZN7rocprim17ROCPRIM_400000_NS6detail17trampoline_kernelINS0_13kernel_configILj256ELj4ELj4294967295EEENS1_37radix_sort_block_sort_config_selectorIaNS0_10empty_typeEEEZNS1_21radix_sort_block_sortIS4_Lb1EPKaPaPS6_SC_NS0_19identity_decomposerEEE10hipError_tT1_T2_T3_T4_jRjT5_jjP12ihipStream_tbEUlT_E_NS1_11comp_targetILNS1_3genE3ELNS1_11target_archE908ELNS1_3gpuE7ELNS1_3repE0EEENS1_44radix_sort_block_sort_config_static_selectorELNS0_4arch9wavefront6targetE0EEEvSF_.kd
    .uniform_work_group_size: 1
    .uses_dynamic_stack: false
    .vgpr_count:     0
    .vgpr_spill_count: 0
    .wavefront_size: 32
  - .args:
      - .offset:         0
        .size:           48
        .value_kind:     by_value
    .group_segment_fixed_size: 0
    .kernarg_segment_align: 8
    .kernarg_segment_size: 48
    .language:       OpenCL C
    .language_version:
      - 2
      - 0
    .max_flat_workgroup_size: 256
    .name:           _ZN7rocprim17ROCPRIM_400000_NS6detail17trampoline_kernelINS0_13kernel_configILj256ELj4ELj4294967295EEENS1_37radix_sort_block_sort_config_selectorIaNS0_10empty_typeEEEZNS1_21radix_sort_block_sortIS4_Lb1EPKaPaPS6_SC_NS0_19identity_decomposerEEE10hipError_tT1_T2_T3_T4_jRjT5_jjP12ihipStream_tbEUlT_E_NS1_11comp_targetILNS1_3genE2ELNS1_11target_archE906ELNS1_3gpuE6ELNS1_3repE0EEENS1_44radix_sort_block_sort_config_static_selectorELNS0_4arch9wavefront6targetE0EEEvSF_
    .private_segment_fixed_size: 0
    .sgpr_count:     0
    .sgpr_spill_count: 0
    .symbol:         _ZN7rocprim17ROCPRIM_400000_NS6detail17trampoline_kernelINS0_13kernel_configILj256ELj4ELj4294967295EEENS1_37radix_sort_block_sort_config_selectorIaNS0_10empty_typeEEEZNS1_21radix_sort_block_sortIS4_Lb1EPKaPaPS6_SC_NS0_19identity_decomposerEEE10hipError_tT1_T2_T3_T4_jRjT5_jjP12ihipStream_tbEUlT_E_NS1_11comp_targetILNS1_3genE2ELNS1_11target_archE906ELNS1_3gpuE6ELNS1_3repE0EEENS1_44radix_sort_block_sort_config_static_selectorELNS0_4arch9wavefront6targetE0EEEvSF_.kd
    .uniform_work_group_size: 1
    .uses_dynamic_stack: false
    .vgpr_count:     0
    .vgpr_spill_count: 0
    .wavefront_size: 32
  - .args:
      - .offset:         0
        .size:           48
        .value_kind:     by_value
    .group_segment_fixed_size: 0
    .kernarg_segment_align: 8
    .kernarg_segment_size: 48
    .language:       OpenCL C
    .language_version:
      - 2
      - 0
    .max_flat_workgroup_size: 256
    .name:           _ZN7rocprim17ROCPRIM_400000_NS6detail17trampoline_kernelINS0_13kernel_configILj256ELj4ELj4294967295EEENS1_37radix_sort_block_sort_config_selectorIaNS0_10empty_typeEEEZNS1_21radix_sort_block_sortIS4_Lb1EPKaPaPS6_SC_NS0_19identity_decomposerEEE10hipError_tT1_T2_T3_T4_jRjT5_jjP12ihipStream_tbEUlT_E_NS1_11comp_targetILNS1_3genE10ELNS1_11target_archE1201ELNS1_3gpuE5ELNS1_3repE0EEENS1_44radix_sort_block_sort_config_static_selectorELNS0_4arch9wavefront6targetE0EEEvSF_
    .private_segment_fixed_size: 0
    .sgpr_count:     0
    .sgpr_spill_count: 0
    .symbol:         _ZN7rocprim17ROCPRIM_400000_NS6detail17trampoline_kernelINS0_13kernel_configILj256ELj4ELj4294967295EEENS1_37radix_sort_block_sort_config_selectorIaNS0_10empty_typeEEEZNS1_21radix_sort_block_sortIS4_Lb1EPKaPaPS6_SC_NS0_19identity_decomposerEEE10hipError_tT1_T2_T3_T4_jRjT5_jjP12ihipStream_tbEUlT_E_NS1_11comp_targetILNS1_3genE10ELNS1_11target_archE1201ELNS1_3gpuE5ELNS1_3repE0EEENS1_44radix_sort_block_sort_config_static_selectorELNS0_4arch9wavefront6targetE0EEEvSF_.kd
    .uniform_work_group_size: 1
    .uses_dynamic_stack: false
    .vgpr_count:     0
    .vgpr_spill_count: 0
    .wavefront_size: 32
  - .args:
      - .offset:         0
        .size:           48
        .value_kind:     by_value
    .group_segment_fixed_size: 0
    .kernarg_segment_align: 8
    .kernarg_segment_size: 48
    .language:       OpenCL C
    .language_version:
      - 2
      - 0
    .max_flat_workgroup_size: 256
    .name:           _ZN7rocprim17ROCPRIM_400000_NS6detail17trampoline_kernelINS0_13kernel_configILj256ELj4ELj4294967295EEENS1_37radix_sort_block_sort_config_selectorIaNS0_10empty_typeEEEZNS1_21radix_sort_block_sortIS4_Lb1EPKaPaPS6_SC_NS0_19identity_decomposerEEE10hipError_tT1_T2_T3_T4_jRjT5_jjP12ihipStream_tbEUlT_E_NS1_11comp_targetILNS1_3genE10ELNS1_11target_archE1200ELNS1_3gpuE4ELNS1_3repE0EEENS1_44radix_sort_block_sort_config_static_selectorELNS0_4arch9wavefront6targetE0EEEvSF_
    .private_segment_fixed_size: 0
    .sgpr_count:     0
    .sgpr_spill_count: 0
    .symbol:         _ZN7rocprim17ROCPRIM_400000_NS6detail17trampoline_kernelINS0_13kernel_configILj256ELj4ELj4294967295EEENS1_37radix_sort_block_sort_config_selectorIaNS0_10empty_typeEEEZNS1_21radix_sort_block_sortIS4_Lb1EPKaPaPS6_SC_NS0_19identity_decomposerEEE10hipError_tT1_T2_T3_T4_jRjT5_jjP12ihipStream_tbEUlT_E_NS1_11comp_targetILNS1_3genE10ELNS1_11target_archE1200ELNS1_3gpuE4ELNS1_3repE0EEENS1_44radix_sort_block_sort_config_static_selectorELNS0_4arch9wavefront6targetE0EEEvSF_.kd
    .uniform_work_group_size: 1
    .uses_dynamic_stack: false
    .vgpr_count:     0
    .vgpr_spill_count: 0
    .wavefront_size: 32
  - .args:
      - .offset:         0
        .size:           48
        .value_kind:     by_value
    .group_segment_fixed_size: 0
    .kernarg_segment_align: 8
    .kernarg_segment_size: 48
    .language:       OpenCL C
    .language_version:
      - 2
      - 0
    .max_flat_workgroup_size: 256
    .name:           _ZN7rocprim17ROCPRIM_400000_NS6detail17trampoline_kernelINS0_13kernel_configILj256ELj4ELj4294967295EEENS1_37radix_sort_block_sort_config_selectorIaNS0_10empty_typeEEEZNS1_21radix_sort_block_sortIS4_Lb1EPKaPaPS6_SC_NS0_19identity_decomposerEEE10hipError_tT1_T2_T3_T4_jRjT5_jjP12ihipStream_tbEUlT_E_NS1_11comp_targetILNS1_3genE9ELNS1_11target_archE1100ELNS1_3gpuE3ELNS1_3repE0EEENS1_44radix_sort_block_sort_config_static_selectorELNS0_4arch9wavefront6targetE0EEEvSF_
    .private_segment_fixed_size: 0
    .sgpr_count:     0
    .sgpr_spill_count: 0
    .symbol:         _ZN7rocprim17ROCPRIM_400000_NS6detail17trampoline_kernelINS0_13kernel_configILj256ELj4ELj4294967295EEENS1_37radix_sort_block_sort_config_selectorIaNS0_10empty_typeEEEZNS1_21radix_sort_block_sortIS4_Lb1EPKaPaPS6_SC_NS0_19identity_decomposerEEE10hipError_tT1_T2_T3_T4_jRjT5_jjP12ihipStream_tbEUlT_E_NS1_11comp_targetILNS1_3genE9ELNS1_11target_archE1100ELNS1_3gpuE3ELNS1_3repE0EEENS1_44radix_sort_block_sort_config_static_selectorELNS0_4arch9wavefront6targetE0EEEvSF_.kd
    .uniform_work_group_size: 1
    .uses_dynamic_stack: false
    .vgpr_count:     0
    .vgpr_spill_count: 0
    .wavefront_size: 32
  - .args:
      - .offset:         0
        .size:           48
        .value_kind:     by_value
    .group_segment_fixed_size: 0
    .kernarg_segment_align: 8
    .kernarg_segment_size: 48
    .language:       OpenCL C
    .language_version:
      - 2
      - 0
    .max_flat_workgroup_size: 256
    .name:           _ZN7rocprim17ROCPRIM_400000_NS6detail17trampoline_kernelINS0_13kernel_configILj256ELj4ELj4294967295EEENS1_37radix_sort_block_sort_config_selectorIaNS0_10empty_typeEEEZNS1_21radix_sort_block_sortIS4_Lb1EPKaPaPS6_SC_NS0_19identity_decomposerEEE10hipError_tT1_T2_T3_T4_jRjT5_jjP12ihipStream_tbEUlT_E_NS1_11comp_targetILNS1_3genE8ELNS1_11target_archE1030ELNS1_3gpuE2ELNS1_3repE0EEENS1_44radix_sort_block_sort_config_static_selectorELNS0_4arch9wavefront6targetE0EEEvSF_
    .private_segment_fixed_size: 0
    .sgpr_count:     0
    .sgpr_spill_count: 0
    .symbol:         _ZN7rocprim17ROCPRIM_400000_NS6detail17trampoline_kernelINS0_13kernel_configILj256ELj4ELj4294967295EEENS1_37radix_sort_block_sort_config_selectorIaNS0_10empty_typeEEEZNS1_21radix_sort_block_sortIS4_Lb1EPKaPaPS6_SC_NS0_19identity_decomposerEEE10hipError_tT1_T2_T3_T4_jRjT5_jjP12ihipStream_tbEUlT_E_NS1_11comp_targetILNS1_3genE8ELNS1_11target_archE1030ELNS1_3gpuE2ELNS1_3repE0EEENS1_44radix_sort_block_sort_config_static_selectorELNS0_4arch9wavefront6targetE0EEEvSF_.kd
    .uniform_work_group_size: 1
    .uses_dynamic_stack: false
    .vgpr_count:     0
    .vgpr_spill_count: 0
    .wavefront_size: 32
  - .args:           []
    .group_segment_fixed_size: 0
    .kernarg_segment_align: 4
    .kernarg_segment_size: 0
    .language:       OpenCL C
    .language_version:
      - 2
      - 0
    .max_flat_workgroup_size: 1024
    .name:           _ZN7rocprim17ROCPRIM_400000_NS6detail44device_merge_sort_compile_time_verifier_archINS1_11comp_targetILNS1_3genE0ELNS1_11target_archE4294967295ELNS1_3gpuE0ELNS1_3repE0EEES8_NS1_28merge_sort_block_sort_configILj256ELj4ELNS0_20block_sort_algorithmE0EEENS0_14default_configENS1_37merge_sort_block_sort_config_selectorIaNS0_10empty_typeEEENS1_38merge_sort_block_merge_config_selectorIaSE_EEEEvv
    .private_segment_fixed_size: 0
    .sgpr_count:     0
    .sgpr_spill_count: 0
    .symbol:         _ZN7rocprim17ROCPRIM_400000_NS6detail44device_merge_sort_compile_time_verifier_archINS1_11comp_targetILNS1_3genE0ELNS1_11target_archE4294967295ELNS1_3gpuE0ELNS1_3repE0EEES8_NS1_28merge_sort_block_sort_configILj256ELj4ELNS0_20block_sort_algorithmE0EEENS0_14default_configENS1_37merge_sort_block_sort_config_selectorIaNS0_10empty_typeEEENS1_38merge_sort_block_merge_config_selectorIaSE_EEEEvv.kd
    .uniform_work_group_size: 1
    .uses_dynamic_stack: false
    .vgpr_count:     0
    .vgpr_spill_count: 0
    .wavefront_size: 32
  - .args:           []
    .group_segment_fixed_size: 0
    .kernarg_segment_align: 4
    .kernarg_segment_size: 0
    .language:       OpenCL C
    .language_version:
      - 2
      - 0
    .max_flat_workgroup_size: 1024
    .name:           _ZN7rocprim17ROCPRIM_400000_NS6detail44device_merge_sort_compile_time_verifier_archINS1_11comp_targetILNS1_3genE5ELNS1_11target_archE942ELNS1_3gpuE9ELNS1_3repE0EEES8_NS1_28merge_sort_block_sort_configILj256ELj4ELNS0_20block_sort_algorithmE0EEENS0_14default_configENS1_37merge_sort_block_sort_config_selectorIaNS0_10empty_typeEEENS1_38merge_sort_block_merge_config_selectorIaSE_EEEEvv
    .private_segment_fixed_size: 0
    .sgpr_count:     0
    .sgpr_spill_count: 0
    .symbol:         _ZN7rocprim17ROCPRIM_400000_NS6detail44device_merge_sort_compile_time_verifier_archINS1_11comp_targetILNS1_3genE5ELNS1_11target_archE942ELNS1_3gpuE9ELNS1_3repE0EEES8_NS1_28merge_sort_block_sort_configILj256ELj4ELNS0_20block_sort_algorithmE0EEENS0_14default_configENS1_37merge_sort_block_sort_config_selectorIaNS0_10empty_typeEEENS1_38merge_sort_block_merge_config_selectorIaSE_EEEEvv.kd
    .uniform_work_group_size: 1
    .uses_dynamic_stack: false
    .vgpr_count:     0
    .vgpr_spill_count: 0
    .wavefront_size: 32
  - .args:           []
    .group_segment_fixed_size: 0
    .kernarg_segment_align: 4
    .kernarg_segment_size: 0
    .language:       OpenCL C
    .language_version:
      - 2
      - 0
    .max_flat_workgroup_size: 1024
    .name:           _ZN7rocprim17ROCPRIM_400000_NS6detail44device_merge_sort_compile_time_verifier_archINS1_11comp_targetILNS1_3genE4ELNS1_11target_archE910ELNS1_3gpuE8ELNS1_3repE0EEES8_NS1_28merge_sort_block_sort_configILj256ELj4ELNS0_20block_sort_algorithmE0EEENS0_14default_configENS1_37merge_sort_block_sort_config_selectorIaNS0_10empty_typeEEENS1_38merge_sort_block_merge_config_selectorIaSE_EEEEvv
    .private_segment_fixed_size: 0
    .sgpr_count:     0
    .sgpr_spill_count: 0
    .symbol:         _ZN7rocprim17ROCPRIM_400000_NS6detail44device_merge_sort_compile_time_verifier_archINS1_11comp_targetILNS1_3genE4ELNS1_11target_archE910ELNS1_3gpuE8ELNS1_3repE0EEES8_NS1_28merge_sort_block_sort_configILj256ELj4ELNS0_20block_sort_algorithmE0EEENS0_14default_configENS1_37merge_sort_block_sort_config_selectorIaNS0_10empty_typeEEENS1_38merge_sort_block_merge_config_selectorIaSE_EEEEvv.kd
    .uniform_work_group_size: 1
    .uses_dynamic_stack: false
    .vgpr_count:     0
    .vgpr_spill_count: 0
    .wavefront_size: 32
  - .args:           []
    .group_segment_fixed_size: 0
    .kernarg_segment_align: 4
    .kernarg_segment_size: 0
    .language:       OpenCL C
    .language_version:
      - 2
      - 0
    .max_flat_workgroup_size: 1024
    .name:           _ZN7rocprim17ROCPRIM_400000_NS6detail44device_merge_sort_compile_time_verifier_archINS1_11comp_targetILNS1_3genE3ELNS1_11target_archE908ELNS1_3gpuE7ELNS1_3repE0EEES8_NS1_28merge_sort_block_sort_configILj256ELj4ELNS0_20block_sort_algorithmE0EEENS0_14default_configENS1_37merge_sort_block_sort_config_selectorIaNS0_10empty_typeEEENS1_38merge_sort_block_merge_config_selectorIaSE_EEEEvv
    .private_segment_fixed_size: 0
    .sgpr_count:     0
    .sgpr_spill_count: 0
    .symbol:         _ZN7rocprim17ROCPRIM_400000_NS6detail44device_merge_sort_compile_time_verifier_archINS1_11comp_targetILNS1_3genE3ELNS1_11target_archE908ELNS1_3gpuE7ELNS1_3repE0EEES8_NS1_28merge_sort_block_sort_configILj256ELj4ELNS0_20block_sort_algorithmE0EEENS0_14default_configENS1_37merge_sort_block_sort_config_selectorIaNS0_10empty_typeEEENS1_38merge_sort_block_merge_config_selectorIaSE_EEEEvv.kd
    .uniform_work_group_size: 1
    .uses_dynamic_stack: false
    .vgpr_count:     0
    .vgpr_spill_count: 0
    .wavefront_size: 32
  - .args:           []
    .group_segment_fixed_size: 0
    .kernarg_segment_align: 4
    .kernarg_segment_size: 0
    .language:       OpenCL C
    .language_version:
      - 2
      - 0
    .max_flat_workgroup_size: 1024
    .name:           _ZN7rocprim17ROCPRIM_400000_NS6detail44device_merge_sort_compile_time_verifier_archINS1_11comp_targetILNS1_3genE2ELNS1_11target_archE906ELNS1_3gpuE6ELNS1_3repE0EEES8_NS1_28merge_sort_block_sort_configILj256ELj4ELNS0_20block_sort_algorithmE0EEENS0_14default_configENS1_37merge_sort_block_sort_config_selectorIaNS0_10empty_typeEEENS1_38merge_sort_block_merge_config_selectorIaSE_EEEEvv
    .private_segment_fixed_size: 0
    .sgpr_count:     0
    .sgpr_spill_count: 0
    .symbol:         _ZN7rocprim17ROCPRIM_400000_NS6detail44device_merge_sort_compile_time_verifier_archINS1_11comp_targetILNS1_3genE2ELNS1_11target_archE906ELNS1_3gpuE6ELNS1_3repE0EEES8_NS1_28merge_sort_block_sort_configILj256ELj4ELNS0_20block_sort_algorithmE0EEENS0_14default_configENS1_37merge_sort_block_sort_config_selectorIaNS0_10empty_typeEEENS1_38merge_sort_block_merge_config_selectorIaSE_EEEEvv.kd
    .uniform_work_group_size: 1
    .uses_dynamic_stack: false
    .vgpr_count:     0
    .vgpr_spill_count: 0
    .wavefront_size: 32
  - .args:           []
    .group_segment_fixed_size: 0
    .kernarg_segment_align: 4
    .kernarg_segment_size: 0
    .language:       OpenCL C
    .language_version:
      - 2
      - 0
    .max_flat_workgroup_size: 1024
    .name:           _ZN7rocprim17ROCPRIM_400000_NS6detail44device_merge_sort_compile_time_verifier_archINS1_11comp_targetILNS1_3genE10ELNS1_11target_archE1201ELNS1_3gpuE5ELNS1_3repE0EEES8_NS1_28merge_sort_block_sort_configILj256ELj4ELNS0_20block_sort_algorithmE0EEENS0_14default_configENS1_37merge_sort_block_sort_config_selectorIaNS0_10empty_typeEEENS1_38merge_sort_block_merge_config_selectorIaSE_EEEEvv
    .private_segment_fixed_size: 0
    .sgpr_count:     0
    .sgpr_spill_count: 0
    .symbol:         _ZN7rocprim17ROCPRIM_400000_NS6detail44device_merge_sort_compile_time_verifier_archINS1_11comp_targetILNS1_3genE10ELNS1_11target_archE1201ELNS1_3gpuE5ELNS1_3repE0EEES8_NS1_28merge_sort_block_sort_configILj256ELj4ELNS0_20block_sort_algorithmE0EEENS0_14default_configENS1_37merge_sort_block_sort_config_selectorIaNS0_10empty_typeEEENS1_38merge_sort_block_merge_config_selectorIaSE_EEEEvv.kd
    .uniform_work_group_size: 1
    .uses_dynamic_stack: false
    .vgpr_count:     0
    .vgpr_spill_count: 0
    .wavefront_size: 32
  - .args:           []
    .group_segment_fixed_size: 0
    .kernarg_segment_align: 4
    .kernarg_segment_size: 0
    .language:       OpenCL C
    .language_version:
      - 2
      - 0
    .max_flat_workgroup_size: 1024
    .name:           _ZN7rocprim17ROCPRIM_400000_NS6detail44device_merge_sort_compile_time_verifier_archINS1_11comp_targetILNS1_3genE10ELNS1_11target_archE1200ELNS1_3gpuE4ELNS1_3repE0EEENS3_ILS4_10ELS5_1201ELS6_5ELS7_0EEENS1_28merge_sort_block_sort_configILj256ELj4ELNS0_20block_sort_algorithmE0EEENS0_14default_configENS1_37merge_sort_block_sort_config_selectorIaNS0_10empty_typeEEENS1_38merge_sort_block_merge_config_selectorIaSF_EEEEvv
    .private_segment_fixed_size: 0
    .sgpr_count:     0
    .sgpr_spill_count: 0
    .symbol:         _ZN7rocprim17ROCPRIM_400000_NS6detail44device_merge_sort_compile_time_verifier_archINS1_11comp_targetILNS1_3genE10ELNS1_11target_archE1200ELNS1_3gpuE4ELNS1_3repE0EEENS3_ILS4_10ELS5_1201ELS6_5ELS7_0EEENS1_28merge_sort_block_sort_configILj256ELj4ELNS0_20block_sort_algorithmE0EEENS0_14default_configENS1_37merge_sort_block_sort_config_selectorIaNS0_10empty_typeEEENS1_38merge_sort_block_merge_config_selectorIaSF_EEEEvv.kd
    .uniform_work_group_size: 1
    .uses_dynamic_stack: false
    .vgpr_count:     0
    .vgpr_spill_count: 0
    .wavefront_size: 32
  - .args:           []
    .group_segment_fixed_size: 0
    .kernarg_segment_align: 4
    .kernarg_segment_size: 0
    .language:       OpenCL C
    .language_version:
      - 2
      - 0
    .max_flat_workgroup_size: 1024
    .name:           _ZN7rocprim17ROCPRIM_400000_NS6detail44device_merge_sort_compile_time_verifier_archINS1_11comp_targetILNS1_3genE9ELNS1_11target_archE1100ELNS1_3gpuE3ELNS1_3repE0EEES8_NS1_28merge_sort_block_sort_configILj256ELj4ELNS0_20block_sort_algorithmE0EEENS0_14default_configENS1_37merge_sort_block_sort_config_selectorIaNS0_10empty_typeEEENS1_38merge_sort_block_merge_config_selectorIaSE_EEEEvv
    .private_segment_fixed_size: 0
    .sgpr_count:     0
    .sgpr_spill_count: 0
    .symbol:         _ZN7rocprim17ROCPRIM_400000_NS6detail44device_merge_sort_compile_time_verifier_archINS1_11comp_targetILNS1_3genE9ELNS1_11target_archE1100ELNS1_3gpuE3ELNS1_3repE0EEES8_NS1_28merge_sort_block_sort_configILj256ELj4ELNS0_20block_sort_algorithmE0EEENS0_14default_configENS1_37merge_sort_block_sort_config_selectorIaNS0_10empty_typeEEENS1_38merge_sort_block_merge_config_selectorIaSE_EEEEvv.kd
    .uniform_work_group_size: 1
    .uses_dynamic_stack: false
    .vgpr_count:     0
    .vgpr_spill_count: 0
    .wavefront_size: 32
  - .args:           []
    .group_segment_fixed_size: 0
    .kernarg_segment_align: 4
    .kernarg_segment_size: 0
    .language:       OpenCL C
    .language_version:
      - 2
      - 0
    .max_flat_workgroup_size: 1024
    .name:           _ZN7rocprim17ROCPRIM_400000_NS6detail44device_merge_sort_compile_time_verifier_archINS1_11comp_targetILNS1_3genE8ELNS1_11target_archE1030ELNS1_3gpuE2ELNS1_3repE0EEES8_NS1_28merge_sort_block_sort_configILj256ELj4ELNS0_20block_sort_algorithmE0EEENS0_14default_configENS1_37merge_sort_block_sort_config_selectorIaNS0_10empty_typeEEENS1_38merge_sort_block_merge_config_selectorIaSE_EEEEvv
    .private_segment_fixed_size: 0
    .sgpr_count:     0
    .sgpr_spill_count: 0
    .symbol:         _ZN7rocprim17ROCPRIM_400000_NS6detail44device_merge_sort_compile_time_verifier_archINS1_11comp_targetILNS1_3genE8ELNS1_11target_archE1030ELNS1_3gpuE2ELNS1_3repE0EEES8_NS1_28merge_sort_block_sort_configILj256ELj4ELNS0_20block_sort_algorithmE0EEENS0_14default_configENS1_37merge_sort_block_sort_config_selectorIaNS0_10empty_typeEEENS1_38merge_sort_block_merge_config_selectorIaSE_EEEEvv.kd
    .uniform_work_group_size: 1
    .uses_dynamic_stack: false
    .vgpr_count:     0
    .vgpr_spill_count: 0
    .wavefront_size: 32
  - .args:
      - .offset:         0
        .size:           40
        .value_kind:     by_value
    .group_segment_fixed_size: 0
    .kernarg_segment_align: 8
    .kernarg_segment_size: 40
    .language:       OpenCL C
    .language_version:
      - 2
      - 0
    .max_flat_workgroup_size: 128
    .name:           _ZN7rocprim17ROCPRIM_400000_NS6detail17trampoline_kernelINS0_14default_configENS1_38merge_sort_block_merge_config_selectorIaNS0_10empty_typeEEEZZNS1_27merge_sort_block_merge_implIS3_PaPS5_jNS1_19radix_merge_compareILb1ELb0EaNS0_19identity_decomposerEEEEE10hipError_tT0_T1_T2_jT3_P12ihipStream_tbPNSt15iterator_traitsISE_E10value_typeEPNSK_ISF_E10value_typeEPSG_NS1_7vsmem_tEENKUlT_SE_SF_SG_E_clIS8_S8_S9_S9_EESD_ST_SE_SF_SG_EUlST_E_NS1_11comp_targetILNS1_3genE0ELNS1_11target_archE4294967295ELNS1_3gpuE0ELNS1_3repE0EEENS1_48merge_mergepath_partition_config_static_selectorELNS0_4arch9wavefront6targetE0EEEvSF_
    .private_segment_fixed_size: 0
    .sgpr_count:     8
    .sgpr_spill_count: 0
    .symbol:         _ZN7rocprim17ROCPRIM_400000_NS6detail17trampoline_kernelINS0_14default_configENS1_38merge_sort_block_merge_config_selectorIaNS0_10empty_typeEEEZZNS1_27merge_sort_block_merge_implIS3_PaPS5_jNS1_19radix_merge_compareILb1ELb0EaNS0_19identity_decomposerEEEEE10hipError_tT0_T1_T2_jT3_P12ihipStream_tbPNSt15iterator_traitsISE_E10value_typeEPNSK_ISF_E10value_typeEPSG_NS1_7vsmem_tEENKUlT_SE_SF_SG_E_clIS8_S8_S9_S9_EESD_ST_SE_SF_SG_EUlST_E_NS1_11comp_targetILNS1_3genE0ELNS1_11target_archE4294967295ELNS1_3gpuE0ELNS1_3repE0EEENS1_48merge_mergepath_partition_config_static_selectorELNS0_4arch9wavefront6targetE0EEEvSF_.kd
    .uniform_work_group_size: 1
    .uses_dynamic_stack: false
    .vgpr_count:     17
    .vgpr_spill_count: 0
    .wavefront_size: 32
  - .args:
      - .offset:         0
        .size:           40
        .value_kind:     by_value
    .group_segment_fixed_size: 0
    .kernarg_segment_align: 8
    .kernarg_segment_size: 40
    .language:       OpenCL C
    .language_version:
      - 2
      - 0
    .max_flat_workgroup_size: 128
    .name:           _ZN7rocprim17ROCPRIM_400000_NS6detail17trampoline_kernelINS0_14default_configENS1_38merge_sort_block_merge_config_selectorIaNS0_10empty_typeEEEZZNS1_27merge_sort_block_merge_implIS3_PaPS5_jNS1_19radix_merge_compareILb1ELb0EaNS0_19identity_decomposerEEEEE10hipError_tT0_T1_T2_jT3_P12ihipStream_tbPNSt15iterator_traitsISE_E10value_typeEPNSK_ISF_E10value_typeEPSG_NS1_7vsmem_tEENKUlT_SE_SF_SG_E_clIS8_S8_S9_S9_EESD_ST_SE_SF_SG_EUlST_E_NS1_11comp_targetILNS1_3genE10ELNS1_11target_archE1201ELNS1_3gpuE5ELNS1_3repE0EEENS1_48merge_mergepath_partition_config_static_selectorELNS0_4arch9wavefront6targetE0EEEvSF_
    .private_segment_fixed_size: 0
    .sgpr_count:     0
    .sgpr_spill_count: 0
    .symbol:         _ZN7rocprim17ROCPRIM_400000_NS6detail17trampoline_kernelINS0_14default_configENS1_38merge_sort_block_merge_config_selectorIaNS0_10empty_typeEEEZZNS1_27merge_sort_block_merge_implIS3_PaPS5_jNS1_19radix_merge_compareILb1ELb0EaNS0_19identity_decomposerEEEEE10hipError_tT0_T1_T2_jT3_P12ihipStream_tbPNSt15iterator_traitsISE_E10value_typeEPNSK_ISF_E10value_typeEPSG_NS1_7vsmem_tEENKUlT_SE_SF_SG_E_clIS8_S8_S9_S9_EESD_ST_SE_SF_SG_EUlST_E_NS1_11comp_targetILNS1_3genE10ELNS1_11target_archE1201ELNS1_3gpuE5ELNS1_3repE0EEENS1_48merge_mergepath_partition_config_static_selectorELNS0_4arch9wavefront6targetE0EEEvSF_.kd
    .uniform_work_group_size: 1
    .uses_dynamic_stack: false
    .vgpr_count:     0
    .vgpr_spill_count: 0
    .wavefront_size: 32
  - .args:
      - .offset:         0
        .size:           40
        .value_kind:     by_value
    .group_segment_fixed_size: 0
    .kernarg_segment_align: 8
    .kernarg_segment_size: 40
    .language:       OpenCL C
    .language_version:
      - 2
      - 0
    .max_flat_workgroup_size: 128
    .name:           _ZN7rocprim17ROCPRIM_400000_NS6detail17trampoline_kernelINS0_14default_configENS1_38merge_sort_block_merge_config_selectorIaNS0_10empty_typeEEEZZNS1_27merge_sort_block_merge_implIS3_PaPS5_jNS1_19radix_merge_compareILb1ELb0EaNS0_19identity_decomposerEEEEE10hipError_tT0_T1_T2_jT3_P12ihipStream_tbPNSt15iterator_traitsISE_E10value_typeEPNSK_ISF_E10value_typeEPSG_NS1_7vsmem_tEENKUlT_SE_SF_SG_E_clIS8_S8_S9_S9_EESD_ST_SE_SF_SG_EUlST_E_NS1_11comp_targetILNS1_3genE5ELNS1_11target_archE942ELNS1_3gpuE9ELNS1_3repE0EEENS1_48merge_mergepath_partition_config_static_selectorELNS0_4arch9wavefront6targetE0EEEvSF_
    .private_segment_fixed_size: 0
    .sgpr_count:     0
    .sgpr_spill_count: 0
    .symbol:         _ZN7rocprim17ROCPRIM_400000_NS6detail17trampoline_kernelINS0_14default_configENS1_38merge_sort_block_merge_config_selectorIaNS0_10empty_typeEEEZZNS1_27merge_sort_block_merge_implIS3_PaPS5_jNS1_19radix_merge_compareILb1ELb0EaNS0_19identity_decomposerEEEEE10hipError_tT0_T1_T2_jT3_P12ihipStream_tbPNSt15iterator_traitsISE_E10value_typeEPNSK_ISF_E10value_typeEPSG_NS1_7vsmem_tEENKUlT_SE_SF_SG_E_clIS8_S8_S9_S9_EESD_ST_SE_SF_SG_EUlST_E_NS1_11comp_targetILNS1_3genE5ELNS1_11target_archE942ELNS1_3gpuE9ELNS1_3repE0EEENS1_48merge_mergepath_partition_config_static_selectorELNS0_4arch9wavefront6targetE0EEEvSF_.kd
    .uniform_work_group_size: 1
    .uses_dynamic_stack: false
    .vgpr_count:     0
    .vgpr_spill_count: 0
    .wavefront_size: 32
  - .args:
      - .offset:         0
        .size:           40
        .value_kind:     by_value
    .group_segment_fixed_size: 0
    .kernarg_segment_align: 8
    .kernarg_segment_size: 40
    .language:       OpenCL C
    .language_version:
      - 2
      - 0
    .max_flat_workgroup_size: 128
    .name:           _ZN7rocprim17ROCPRIM_400000_NS6detail17trampoline_kernelINS0_14default_configENS1_38merge_sort_block_merge_config_selectorIaNS0_10empty_typeEEEZZNS1_27merge_sort_block_merge_implIS3_PaPS5_jNS1_19radix_merge_compareILb1ELb0EaNS0_19identity_decomposerEEEEE10hipError_tT0_T1_T2_jT3_P12ihipStream_tbPNSt15iterator_traitsISE_E10value_typeEPNSK_ISF_E10value_typeEPSG_NS1_7vsmem_tEENKUlT_SE_SF_SG_E_clIS8_S8_S9_S9_EESD_ST_SE_SF_SG_EUlST_E_NS1_11comp_targetILNS1_3genE4ELNS1_11target_archE910ELNS1_3gpuE8ELNS1_3repE0EEENS1_48merge_mergepath_partition_config_static_selectorELNS0_4arch9wavefront6targetE0EEEvSF_
    .private_segment_fixed_size: 0
    .sgpr_count:     0
    .sgpr_spill_count: 0
    .symbol:         _ZN7rocprim17ROCPRIM_400000_NS6detail17trampoline_kernelINS0_14default_configENS1_38merge_sort_block_merge_config_selectorIaNS0_10empty_typeEEEZZNS1_27merge_sort_block_merge_implIS3_PaPS5_jNS1_19radix_merge_compareILb1ELb0EaNS0_19identity_decomposerEEEEE10hipError_tT0_T1_T2_jT3_P12ihipStream_tbPNSt15iterator_traitsISE_E10value_typeEPNSK_ISF_E10value_typeEPSG_NS1_7vsmem_tEENKUlT_SE_SF_SG_E_clIS8_S8_S9_S9_EESD_ST_SE_SF_SG_EUlST_E_NS1_11comp_targetILNS1_3genE4ELNS1_11target_archE910ELNS1_3gpuE8ELNS1_3repE0EEENS1_48merge_mergepath_partition_config_static_selectorELNS0_4arch9wavefront6targetE0EEEvSF_.kd
    .uniform_work_group_size: 1
    .uses_dynamic_stack: false
    .vgpr_count:     0
    .vgpr_spill_count: 0
    .wavefront_size: 32
  - .args:
      - .offset:         0
        .size:           40
        .value_kind:     by_value
    .group_segment_fixed_size: 0
    .kernarg_segment_align: 8
    .kernarg_segment_size: 40
    .language:       OpenCL C
    .language_version:
      - 2
      - 0
    .max_flat_workgroup_size: 128
    .name:           _ZN7rocprim17ROCPRIM_400000_NS6detail17trampoline_kernelINS0_14default_configENS1_38merge_sort_block_merge_config_selectorIaNS0_10empty_typeEEEZZNS1_27merge_sort_block_merge_implIS3_PaPS5_jNS1_19radix_merge_compareILb1ELb0EaNS0_19identity_decomposerEEEEE10hipError_tT0_T1_T2_jT3_P12ihipStream_tbPNSt15iterator_traitsISE_E10value_typeEPNSK_ISF_E10value_typeEPSG_NS1_7vsmem_tEENKUlT_SE_SF_SG_E_clIS8_S8_S9_S9_EESD_ST_SE_SF_SG_EUlST_E_NS1_11comp_targetILNS1_3genE3ELNS1_11target_archE908ELNS1_3gpuE7ELNS1_3repE0EEENS1_48merge_mergepath_partition_config_static_selectorELNS0_4arch9wavefront6targetE0EEEvSF_
    .private_segment_fixed_size: 0
    .sgpr_count:     0
    .sgpr_spill_count: 0
    .symbol:         _ZN7rocprim17ROCPRIM_400000_NS6detail17trampoline_kernelINS0_14default_configENS1_38merge_sort_block_merge_config_selectorIaNS0_10empty_typeEEEZZNS1_27merge_sort_block_merge_implIS3_PaPS5_jNS1_19radix_merge_compareILb1ELb0EaNS0_19identity_decomposerEEEEE10hipError_tT0_T1_T2_jT3_P12ihipStream_tbPNSt15iterator_traitsISE_E10value_typeEPNSK_ISF_E10value_typeEPSG_NS1_7vsmem_tEENKUlT_SE_SF_SG_E_clIS8_S8_S9_S9_EESD_ST_SE_SF_SG_EUlST_E_NS1_11comp_targetILNS1_3genE3ELNS1_11target_archE908ELNS1_3gpuE7ELNS1_3repE0EEENS1_48merge_mergepath_partition_config_static_selectorELNS0_4arch9wavefront6targetE0EEEvSF_.kd
    .uniform_work_group_size: 1
    .uses_dynamic_stack: false
    .vgpr_count:     0
    .vgpr_spill_count: 0
    .wavefront_size: 32
  - .args:
      - .offset:         0
        .size:           40
        .value_kind:     by_value
    .group_segment_fixed_size: 0
    .kernarg_segment_align: 8
    .kernarg_segment_size: 40
    .language:       OpenCL C
    .language_version:
      - 2
      - 0
    .max_flat_workgroup_size: 128
    .name:           _ZN7rocprim17ROCPRIM_400000_NS6detail17trampoline_kernelINS0_14default_configENS1_38merge_sort_block_merge_config_selectorIaNS0_10empty_typeEEEZZNS1_27merge_sort_block_merge_implIS3_PaPS5_jNS1_19radix_merge_compareILb1ELb0EaNS0_19identity_decomposerEEEEE10hipError_tT0_T1_T2_jT3_P12ihipStream_tbPNSt15iterator_traitsISE_E10value_typeEPNSK_ISF_E10value_typeEPSG_NS1_7vsmem_tEENKUlT_SE_SF_SG_E_clIS8_S8_S9_S9_EESD_ST_SE_SF_SG_EUlST_E_NS1_11comp_targetILNS1_3genE2ELNS1_11target_archE906ELNS1_3gpuE6ELNS1_3repE0EEENS1_48merge_mergepath_partition_config_static_selectorELNS0_4arch9wavefront6targetE0EEEvSF_
    .private_segment_fixed_size: 0
    .sgpr_count:     0
    .sgpr_spill_count: 0
    .symbol:         _ZN7rocprim17ROCPRIM_400000_NS6detail17trampoline_kernelINS0_14default_configENS1_38merge_sort_block_merge_config_selectorIaNS0_10empty_typeEEEZZNS1_27merge_sort_block_merge_implIS3_PaPS5_jNS1_19radix_merge_compareILb1ELb0EaNS0_19identity_decomposerEEEEE10hipError_tT0_T1_T2_jT3_P12ihipStream_tbPNSt15iterator_traitsISE_E10value_typeEPNSK_ISF_E10value_typeEPSG_NS1_7vsmem_tEENKUlT_SE_SF_SG_E_clIS8_S8_S9_S9_EESD_ST_SE_SF_SG_EUlST_E_NS1_11comp_targetILNS1_3genE2ELNS1_11target_archE906ELNS1_3gpuE6ELNS1_3repE0EEENS1_48merge_mergepath_partition_config_static_selectorELNS0_4arch9wavefront6targetE0EEEvSF_.kd
    .uniform_work_group_size: 1
    .uses_dynamic_stack: false
    .vgpr_count:     0
    .vgpr_spill_count: 0
    .wavefront_size: 32
  - .args:
      - .offset:         0
        .size:           40
        .value_kind:     by_value
    .group_segment_fixed_size: 0
    .kernarg_segment_align: 8
    .kernarg_segment_size: 40
    .language:       OpenCL C
    .language_version:
      - 2
      - 0
    .max_flat_workgroup_size: 128
    .name:           _ZN7rocprim17ROCPRIM_400000_NS6detail17trampoline_kernelINS0_14default_configENS1_38merge_sort_block_merge_config_selectorIaNS0_10empty_typeEEEZZNS1_27merge_sort_block_merge_implIS3_PaPS5_jNS1_19radix_merge_compareILb1ELb0EaNS0_19identity_decomposerEEEEE10hipError_tT0_T1_T2_jT3_P12ihipStream_tbPNSt15iterator_traitsISE_E10value_typeEPNSK_ISF_E10value_typeEPSG_NS1_7vsmem_tEENKUlT_SE_SF_SG_E_clIS8_S8_S9_S9_EESD_ST_SE_SF_SG_EUlST_E_NS1_11comp_targetILNS1_3genE9ELNS1_11target_archE1100ELNS1_3gpuE3ELNS1_3repE0EEENS1_48merge_mergepath_partition_config_static_selectorELNS0_4arch9wavefront6targetE0EEEvSF_
    .private_segment_fixed_size: 0
    .sgpr_count:     0
    .sgpr_spill_count: 0
    .symbol:         _ZN7rocprim17ROCPRIM_400000_NS6detail17trampoline_kernelINS0_14default_configENS1_38merge_sort_block_merge_config_selectorIaNS0_10empty_typeEEEZZNS1_27merge_sort_block_merge_implIS3_PaPS5_jNS1_19radix_merge_compareILb1ELb0EaNS0_19identity_decomposerEEEEE10hipError_tT0_T1_T2_jT3_P12ihipStream_tbPNSt15iterator_traitsISE_E10value_typeEPNSK_ISF_E10value_typeEPSG_NS1_7vsmem_tEENKUlT_SE_SF_SG_E_clIS8_S8_S9_S9_EESD_ST_SE_SF_SG_EUlST_E_NS1_11comp_targetILNS1_3genE9ELNS1_11target_archE1100ELNS1_3gpuE3ELNS1_3repE0EEENS1_48merge_mergepath_partition_config_static_selectorELNS0_4arch9wavefront6targetE0EEEvSF_.kd
    .uniform_work_group_size: 1
    .uses_dynamic_stack: false
    .vgpr_count:     0
    .vgpr_spill_count: 0
    .wavefront_size: 32
  - .args:
      - .offset:         0
        .size:           40
        .value_kind:     by_value
    .group_segment_fixed_size: 0
    .kernarg_segment_align: 8
    .kernarg_segment_size: 40
    .language:       OpenCL C
    .language_version:
      - 2
      - 0
    .max_flat_workgroup_size: 128
    .name:           _ZN7rocprim17ROCPRIM_400000_NS6detail17trampoline_kernelINS0_14default_configENS1_38merge_sort_block_merge_config_selectorIaNS0_10empty_typeEEEZZNS1_27merge_sort_block_merge_implIS3_PaPS5_jNS1_19radix_merge_compareILb1ELb0EaNS0_19identity_decomposerEEEEE10hipError_tT0_T1_T2_jT3_P12ihipStream_tbPNSt15iterator_traitsISE_E10value_typeEPNSK_ISF_E10value_typeEPSG_NS1_7vsmem_tEENKUlT_SE_SF_SG_E_clIS8_S8_S9_S9_EESD_ST_SE_SF_SG_EUlST_E_NS1_11comp_targetILNS1_3genE8ELNS1_11target_archE1030ELNS1_3gpuE2ELNS1_3repE0EEENS1_48merge_mergepath_partition_config_static_selectorELNS0_4arch9wavefront6targetE0EEEvSF_
    .private_segment_fixed_size: 0
    .sgpr_count:     0
    .sgpr_spill_count: 0
    .symbol:         _ZN7rocprim17ROCPRIM_400000_NS6detail17trampoline_kernelINS0_14default_configENS1_38merge_sort_block_merge_config_selectorIaNS0_10empty_typeEEEZZNS1_27merge_sort_block_merge_implIS3_PaPS5_jNS1_19radix_merge_compareILb1ELb0EaNS0_19identity_decomposerEEEEE10hipError_tT0_T1_T2_jT3_P12ihipStream_tbPNSt15iterator_traitsISE_E10value_typeEPNSK_ISF_E10value_typeEPSG_NS1_7vsmem_tEENKUlT_SE_SF_SG_E_clIS8_S8_S9_S9_EESD_ST_SE_SF_SG_EUlST_E_NS1_11comp_targetILNS1_3genE8ELNS1_11target_archE1030ELNS1_3gpuE2ELNS1_3repE0EEENS1_48merge_mergepath_partition_config_static_selectorELNS0_4arch9wavefront6targetE0EEEvSF_.kd
    .uniform_work_group_size: 1
    .uses_dynamic_stack: false
    .vgpr_count:     0
    .vgpr_spill_count: 0
    .wavefront_size: 32
  - .args:
      - .offset:         0
        .size:           64
        .value_kind:     by_value
      - .offset:         64
        .size:           4
        .value_kind:     hidden_block_count_x
      - .offset:         68
        .size:           4
        .value_kind:     hidden_block_count_y
      - .offset:         72
        .size:           4
        .value_kind:     hidden_block_count_z
      - .offset:         76
        .size:           2
        .value_kind:     hidden_group_size_x
      - .offset:         78
        .size:           2
        .value_kind:     hidden_group_size_y
      - .offset:         80
        .size:           2
        .value_kind:     hidden_group_size_z
      - .offset:         82
        .size:           2
        .value_kind:     hidden_remainder_x
      - .offset:         84
        .size:           2
        .value_kind:     hidden_remainder_y
      - .offset:         86
        .size:           2
        .value_kind:     hidden_remainder_z
      - .offset:         104
        .size:           8
        .value_kind:     hidden_global_offset_x
      - .offset:         112
        .size:           8
        .value_kind:     hidden_global_offset_y
      - .offset:         120
        .size:           8
        .value_kind:     hidden_global_offset_z
      - .offset:         128
        .size:           2
        .value_kind:     hidden_grid_dims
    .group_segment_fixed_size: 1056
    .kernarg_segment_align: 8
    .kernarg_segment_size: 320
    .language:       OpenCL C
    .language_version:
      - 2
      - 0
    .max_flat_workgroup_size: 128
    .name:           _ZN7rocprim17ROCPRIM_400000_NS6detail17trampoline_kernelINS0_14default_configENS1_38merge_sort_block_merge_config_selectorIaNS0_10empty_typeEEEZZNS1_27merge_sort_block_merge_implIS3_PaPS5_jNS1_19radix_merge_compareILb1ELb0EaNS0_19identity_decomposerEEEEE10hipError_tT0_T1_T2_jT3_P12ihipStream_tbPNSt15iterator_traitsISE_E10value_typeEPNSK_ISF_E10value_typeEPSG_NS1_7vsmem_tEENKUlT_SE_SF_SG_E_clIS8_S8_S9_S9_EESD_ST_SE_SF_SG_EUlST_E0_NS1_11comp_targetILNS1_3genE0ELNS1_11target_archE4294967295ELNS1_3gpuE0ELNS1_3repE0EEENS1_38merge_mergepath_config_static_selectorELNS0_4arch9wavefront6targetE0EEEvSF_
    .private_segment_fixed_size: 0
    .sgpr_count:     24
    .sgpr_spill_count: 0
    .symbol:         _ZN7rocprim17ROCPRIM_400000_NS6detail17trampoline_kernelINS0_14default_configENS1_38merge_sort_block_merge_config_selectorIaNS0_10empty_typeEEEZZNS1_27merge_sort_block_merge_implIS3_PaPS5_jNS1_19radix_merge_compareILb1ELb0EaNS0_19identity_decomposerEEEEE10hipError_tT0_T1_T2_jT3_P12ihipStream_tbPNSt15iterator_traitsISE_E10value_typeEPNSK_ISF_E10value_typeEPSG_NS1_7vsmem_tEENKUlT_SE_SF_SG_E_clIS8_S8_S9_S9_EESD_ST_SE_SF_SG_EUlST_E0_NS1_11comp_targetILNS1_3genE0ELNS1_11target_archE4294967295ELNS1_3gpuE0ELNS1_3repE0EEENS1_38merge_mergepath_config_static_selectorELNS0_4arch9wavefront6targetE0EEEvSF_.kd
    .uniform_work_group_size: 1
    .uses_dynamic_stack: false
    .vgpr_count:     34
    .vgpr_spill_count: 0
    .wavefront_size: 32
  - .args:
      - .offset:         0
        .size:           64
        .value_kind:     by_value
    .group_segment_fixed_size: 0
    .kernarg_segment_align: 8
    .kernarg_segment_size: 64
    .language:       OpenCL C
    .language_version:
      - 2
      - 0
    .max_flat_workgroup_size: 128
    .name:           _ZN7rocprim17ROCPRIM_400000_NS6detail17trampoline_kernelINS0_14default_configENS1_38merge_sort_block_merge_config_selectorIaNS0_10empty_typeEEEZZNS1_27merge_sort_block_merge_implIS3_PaPS5_jNS1_19radix_merge_compareILb1ELb0EaNS0_19identity_decomposerEEEEE10hipError_tT0_T1_T2_jT3_P12ihipStream_tbPNSt15iterator_traitsISE_E10value_typeEPNSK_ISF_E10value_typeEPSG_NS1_7vsmem_tEENKUlT_SE_SF_SG_E_clIS8_S8_S9_S9_EESD_ST_SE_SF_SG_EUlST_E0_NS1_11comp_targetILNS1_3genE10ELNS1_11target_archE1201ELNS1_3gpuE5ELNS1_3repE0EEENS1_38merge_mergepath_config_static_selectorELNS0_4arch9wavefront6targetE0EEEvSF_
    .private_segment_fixed_size: 0
    .sgpr_count:     0
    .sgpr_spill_count: 0
    .symbol:         _ZN7rocprim17ROCPRIM_400000_NS6detail17trampoline_kernelINS0_14default_configENS1_38merge_sort_block_merge_config_selectorIaNS0_10empty_typeEEEZZNS1_27merge_sort_block_merge_implIS3_PaPS5_jNS1_19radix_merge_compareILb1ELb0EaNS0_19identity_decomposerEEEEE10hipError_tT0_T1_T2_jT3_P12ihipStream_tbPNSt15iterator_traitsISE_E10value_typeEPNSK_ISF_E10value_typeEPSG_NS1_7vsmem_tEENKUlT_SE_SF_SG_E_clIS8_S8_S9_S9_EESD_ST_SE_SF_SG_EUlST_E0_NS1_11comp_targetILNS1_3genE10ELNS1_11target_archE1201ELNS1_3gpuE5ELNS1_3repE0EEENS1_38merge_mergepath_config_static_selectorELNS0_4arch9wavefront6targetE0EEEvSF_.kd
    .uniform_work_group_size: 1
    .uses_dynamic_stack: false
    .vgpr_count:     0
    .vgpr_spill_count: 0
    .wavefront_size: 32
  - .args:
      - .offset:         0
        .size:           64
        .value_kind:     by_value
    .group_segment_fixed_size: 0
    .kernarg_segment_align: 8
    .kernarg_segment_size: 64
    .language:       OpenCL C
    .language_version:
      - 2
      - 0
    .max_flat_workgroup_size: 128
    .name:           _ZN7rocprim17ROCPRIM_400000_NS6detail17trampoline_kernelINS0_14default_configENS1_38merge_sort_block_merge_config_selectorIaNS0_10empty_typeEEEZZNS1_27merge_sort_block_merge_implIS3_PaPS5_jNS1_19radix_merge_compareILb1ELb0EaNS0_19identity_decomposerEEEEE10hipError_tT0_T1_T2_jT3_P12ihipStream_tbPNSt15iterator_traitsISE_E10value_typeEPNSK_ISF_E10value_typeEPSG_NS1_7vsmem_tEENKUlT_SE_SF_SG_E_clIS8_S8_S9_S9_EESD_ST_SE_SF_SG_EUlST_E0_NS1_11comp_targetILNS1_3genE5ELNS1_11target_archE942ELNS1_3gpuE9ELNS1_3repE0EEENS1_38merge_mergepath_config_static_selectorELNS0_4arch9wavefront6targetE0EEEvSF_
    .private_segment_fixed_size: 0
    .sgpr_count:     0
    .sgpr_spill_count: 0
    .symbol:         _ZN7rocprim17ROCPRIM_400000_NS6detail17trampoline_kernelINS0_14default_configENS1_38merge_sort_block_merge_config_selectorIaNS0_10empty_typeEEEZZNS1_27merge_sort_block_merge_implIS3_PaPS5_jNS1_19radix_merge_compareILb1ELb0EaNS0_19identity_decomposerEEEEE10hipError_tT0_T1_T2_jT3_P12ihipStream_tbPNSt15iterator_traitsISE_E10value_typeEPNSK_ISF_E10value_typeEPSG_NS1_7vsmem_tEENKUlT_SE_SF_SG_E_clIS8_S8_S9_S9_EESD_ST_SE_SF_SG_EUlST_E0_NS1_11comp_targetILNS1_3genE5ELNS1_11target_archE942ELNS1_3gpuE9ELNS1_3repE0EEENS1_38merge_mergepath_config_static_selectorELNS0_4arch9wavefront6targetE0EEEvSF_.kd
    .uniform_work_group_size: 1
    .uses_dynamic_stack: false
    .vgpr_count:     0
    .vgpr_spill_count: 0
    .wavefront_size: 32
  - .args:
      - .offset:         0
        .size:           64
        .value_kind:     by_value
    .group_segment_fixed_size: 0
    .kernarg_segment_align: 8
    .kernarg_segment_size: 64
    .language:       OpenCL C
    .language_version:
      - 2
      - 0
    .max_flat_workgroup_size: 128
    .name:           _ZN7rocprim17ROCPRIM_400000_NS6detail17trampoline_kernelINS0_14default_configENS1_38merge_sort_block_merge_config_selectorIaNS0_10empty_typeEEEZZNS1_27merge_sort_block_merge_implIS3_PaPS5_jNS1_19radix_merge_compareILb1ELb0EaNS0_19identity_decomposerEEEEE10hipError_tT0_T1_T2_jT3_P12ihipStream_tbPNSt15iterator_traitsISE_E10value_typeEPNSK_ISF_E10value_typeEPSG_NS1_7vsmem_tEENKUlT_SE_SF_SG_E_clIS8_S8_S9_S9_EESD_ST_SE_SF_SG_EUlST_E0_NS1_11comp_targetILNS1_3genE4ELNS1_11target_archE910ELNS1_3gpuE8ELNS1_3repE0EEENS1_38merge_mergepath_config_static_selectorELNS0_4arch9wavefront6targetE0EEEvSF_
    .private_segment_fixed_size: 0
    .sgpr_count:     0
    .sgpr_spill_count: 0
    .symbol:         _ZN7rocprim17ROCPRIM_400000_NS6detail17trampoline_kernelINS0_14default_configENS1_38merge_sort_block_merge_config_selectorIaNS0_10empty_typeEEEZZNS1_27merge_sort_block_merge_implIS3_PaPS5_jNS1_19radix_merge_compareILb1ELb0EaNS0_19identity_decomposerEEEEE10hipError_tT0_T1_T2_jT3_P12ihipStream_tbPNSt15iterator_traitsISE_E10value_typeEPNSK_ISF_E10value_typeEPSG_NS1_7vsmem_tEENKUlT_SE_SF_SG_E_clIS8_S8_S9_S9_EESD_ST_SE_SF_SG_EUlST_E0_NS1_11comp_targetILNS1_3genE4ELNS1_11target_archE910ELNS1_3gpuE8ELNS1_3repE0EEENS1_38merge_mergepath_config_static_selectorELNS0_4arch9wavefront6targetE0EEEvSF_.kd
    .uniform_work_group_size: 1
    .uses_dynamic_stack: false
    .vgpr_count:     0
    .vgpr_spill_count: 0
    .wavefront_size: 32
  - .args:
      - .offset:         0
        .size:           64
        .value_kind:     by_value
    .group_segment_fixed_size: 0
    .kernarg_segment_align: 8
    .kernarg_segment_size: 64
    .language:       OpenCL C
    .language_version:
      - 2
      - 0
    .max_flat_workgroup_size: 128
    .name:           _ZN7rocprim17ROCPRIM_400000_NS6detail17trampoline_kernelINS0_14default_configENS1_38merge_sort_block_merge_config_selectorIaNS0_10empty_typeEEEZZNS1_27merge_sort_block_merge_implIS3_PaPS5_jNS1_19radix_merge_compareILb1ELb0EaNS0_19identity_decomposerEEEEE10hipError_tT0_T1_T2_jT3_P12ihipStream_tbPNSt15iterator_traitsISE_E10value_typeEPNSK_ISF_E10value_typeEPSG_NS1_7vsmem_tEENKUlT_SE_SF_SG_E_clIS8_S8_S9_S9_EESD_ST_SE_SF_SG_EUlST_E0_NS1_11comp_targetILNS1_3genE3ELNS1_11target_archE908ELNS1_3gpuE7ELNS1_3repE0EEENS1_38merge_mergepath_config_static_selectorELNS0_4arch9wavefront6targetE0EEEvSF_
    .private_segment_fixed_size: 0
    .sgpr_count:     0
    .sgpr_spill_count: 0
    .symbol:         _ZN7rocprim17ROCPRIM_400000_NS6detail17trampoline_kernelINS0_14default_configENS1_38merge_sort_block_merge_config_selectorIaNS0_10empty_typeEEEZZNS1_27merge_sort_block_merge_implIS3_PaPS5_jNS1_19radix_merge_compareILb1ELb0EaNS0_19identity_decomposerEEEEE10hipError_tT0_T1_T2_jT3_P12ihipStream_tbPNSt15iterator_traitsISE_E10value_typeEPNSK_ISF_E10value_typeEPSG_NS1_7vsmem_tEENKUlT_SE_SF_SG_E_clIS8_S8_S9_S9_EESD_ST_SE_SF_SG_EUlST_E0_NS1_11comp_targetILNS1_3genE3ELNS1_11target_archE908ELNS1_3gpuE7ELNS1_3repE0EEENS1_38merge_mergepath_config_static_selectorELNS0_4arch9wavefront6targetE0EEEvSF_.kd
    .uniform_work_group_size: 1
    .uses_dynamic_stack: false
    .vgpr_count:     0
    .vgpr_spill_count: 0
    .wavefront_size: 32
  - .args:
      - .offset:         0
        .size:           64
        .value_kind:     by_value
    .group_segment_fixed_size: 0
    .kernarg_segment_align: 8
    .kernarg_segment_size: 64
    .language:       OpenCL C
    .language_version:
      - 2
      - 0
    .max_flat_workgroup_size: 128
    .name:           _ZN7rocprim17ROCPRIM_400000_NS6detail17trampoline_kernelINS0_14default_configENS1_38merge_sort_block_merge_config_selectorIaNS0_10empty_typeEEEZZNS1_27merge_sort_block_merge_implIS3_PaPS5_jNS1_19radix_merge_compareILb1ELb0EaNS0_19identity_decomposerEEEEE10hipError_tT0_T1_T2_jT3_P12ihipStream_tbPNSt15iterator_traitsISE_E10value_typeEPNSK_ISF_E10value_typeEPSG_NS1_7vsmem_tEENKUlT_SE_SF_SG_E_clIS8_S8_S9_S9_EESD_ST_SE_SF_SG_EUlST_E0_NS1_11comp_targetILNS1_3genE2ELNS1_11target_archE906ELNS1_3gpuE6ELNS1_3repE0EEENS1_38merge_mergepath_config_static_selectorELNS0_4arch9wavefront6targetE0EEEvSF_
    .private_segment_fixed_size: 0
    .sgpr_count:     0
    .sgpr_spill_count: 0
    .symbol:         _ZN7rocprim17ROCPRIM_400000_NS6detail17trampoline_kernelINS0_14default_configENS1_38merge_sort_block_merge_config_selectorIaNS0_10empty_typeEEEZZNS1_27merge_sort_block_merge_implIS3_PaPS5_jNS1_19radix_merge_compareILb1ELb0EaNS0_19identity_decomposerEEEEE10hipError_tT0_T1_T2_jT3_P12ihipStream_tbPNSt15iterator_traitsISE_E10value_typeEPNSK_ISF_E10value_typeEPSG_NS1_7vsmem_tEENKUlT_SE_SF_SG_E_clIS8_S8_S9_S9_EESD_ST_SE_SF_SG_EUlST_E0_NS1_11comp_targetILNS1_3genE2ELNS1_11target_archE906ELNS1_3gpuE6ELNS1_3repE0EEENS1_38merge_mergepath_config_static_selectorELNS0_4arch9wavefront6targetE0EEEvSF_.kd
    .uniform_work_group_size: 1
    .uses_dynamic_stack: false
    .vgpr_count:     0
    .vgpr_spill_count: 0
    .wavefront_size: 32
  - .args:
      - .offset:         0
        .size:           64
        .value_kind:     by_value
    .group_segment_fixed_size: 0
    .kernarg_segment_align: 8
    .kernarg_segment_size: 64
    .language:       OpenCL C
    .language_version:
      - 2
      - 0
    .max_flat_workgroup_size: 128
    .name:           _ZN7rocprim17ROCPRIM_400000_NS6detail17trampoline_kernelINS0_14default_configENS1_38merge_sort_block_merge_config_selectorIaNS0_10empty_typeEEEZZNS1_27merge_sort_block_merge_implIS3_PaPS5_jNS1_19radix_merge_compareILb1ELb0EaNS0_19identity_decomposerEEEEE10hipError_tT0_T1_T2_jT3_P12ihipStream_tbPNSt15iterator_traitsISE_E10value_typeEPNSK_ISF_E10value_typeEPSG_NS1_7vsmem_tEENKUlT_SE_SF_SG_E_clIS8_S8_S9_S9_EESD_ST_SE_SF_SG_EUlST_E0_NS1_11comp_targetILNS1_3genE9ELNS1_11target_archE1100ELNS1_3gpuE3ELNS1_3repE0EEENS1_38merge_mergepath_config_static_selectorELNS0_4arch9wavefront6targetE0EEEvSF_
    .private_segment_fixed_size: 0
    .sgpr_count:     0
    .sgpr_spill_count: 0
    .symbol:         _ZN7rocprim17ROCPRIM_400000_NS6detail17trampoline_kernelINS0_14default_configENS1_38merge_sort_block_merge_config_selectorIaNS0_10empty_typeEEEZZNS1_27merge_sort_block_merge_implIS3_PaPS5_jNS1_19radix_merge_compareILb1ELb0EaNS0_19identity_decomposerEEEEE10hipError_tT0_T1_T2_jT3_P12ihipStream_tbPNSt15iterator_traitsISE_E10value_typeEPNSK_ISF_E10value_typeEPSG_NS1_7vsmem_tEENKUlT_SE_SF_SG_E_clIS8_S8_S9_S9_EESD_ST_SE_SF_SG_EUlST_E0_NS1_11comp_targetILNS1_3genE9ELNS1_11target_archE1100ELNS1_3gpuE3ELNS1_3repE0EEENS1_38merge_mergepath_config_static_selectorELNS0_4arch9wavefront6targetE0EEEvSF_.kd
    .uniform_work_group_size: 1
    .uses_dynamic_stack: false
    .vgpr_count:     0
    .vgpr_spill_count: 0
    .wavefront_size: 32
  - .args:
      - .offset:         0
        .size:           64
        .value_kind:     by_value
    .group_segment_fixed_size: 0
    .kernarg_segment_align: 8
    .kernarg_segment_size: 64
    .language:       OpenCL C
    .language_version:
      - 2
      - 0
    .max_flat_workgroup_size: 128
    .name:           _ZN7rocprim17ROCPRIM_400000_NS6detail17trampoline_kernelINS0_14default_configENS1_38merge_sort_block_merge_config_selectorIaNS0_10empty_typeEEEZZNS1_27merge_sort_block_merge_implIS3_PaPS5_jNS1_19radix_merge_compareILb1ELb0EaNS0_19identity_decomposerEEEEE10hipError_tT0_T1_T2_jT3_P12ihipStream_tbPNSt15iterator_traitsISE_E10value_typeEPNSK_ISF_E10value_typeEPSG_NS1_7vsmem_tEENKUlT_SE_SF_SG_E_clIS8_S8_S9_S9_EESD_ST_SE_SF_SG_EUlST_E0_NS1_11comp_targetILNS1_3genE8ELNS1_11target_archE1030ELNS1_3gpuE2ELNS1_3repE0EEENS1_38merge_mergepath_config_static_selectorELNS0_4arch9wavefront6targetE0EEEvSF_
    .private_segment_fixed_size: 0
    .sgpr_count:     0
    .sgpr_spill_count: 0
    .symbol:         _ZN7rocprim17ROCPRIM_400000_NS6detail17trampoline_kernelINS0_14default_configENS1_38merge_sort_block_merge_config_selectorIaNS0_10empty_typeEEEZZNS1_27merge_sort_block_merge_implIS3_PaPS5_jNS1_19radix_merge_compareILb1ELb0EaNS0_19identity_decomposerEEEEE10hipError_tT0_T1_T2_jT3_P12ihipStream_tbPNSt15iterator_traitsISE_E10value_typeEPNSK_ISF_E10value_typeEPSG_NS1_7vsmem_tEENKUlT_SE_SF_SG_E_clIS8_S8_S9_S9_EESD_ST_SE_SF_SG_EUlST_E0_NS1_11comp_targetILNS1_3genE8ELNS1_11target_archE1030ELNS1_3gpuE2ELNS1_3repE0EEENS1_38merge_mergepath_config_static_selectorELNS0_4arch9wavefront6targetE0EEEvSF_.kd
    .uniform_work_group_size: 1
    .uses_dynamic_stack: false
    .vgpr_count:     0
    .vgpr_spill_count: 0
    .wavefront_size: 32
  - .args:
      - .offset:         0
        .size:           48
        .value_kind:     by_value
    .group_segment_fixed_size: 0
    .kernarg_segment_align: 8
    .kernarg_segment_size: 48
    .language:       OpenCL C
    .language_version:
      - 2
      - 0
    .max_flat_workgroup_size: 256
    .name:           _ZN7rocprim17ROCPRIM_400000_NS6detail17trampoline_kernelINS0_14default_configENS1_38merge_sort_block_merge_config_selectorIaNS0_10empty_typeEEEZZNS1_27merge_sort_block_merge_implIS3_PaPS5_jNS1_19radix_merge_compareILb1ELb0EaNS0_19identity_decomposerEEEEE10hipError_tT0_T1_T2_jT3_P12ihipStream_tbPNSt15iterator_traitsISE_E10value_typeEPNSK_ISF_E10value_typeEPSG_NS1_7vsmem_tEENKUlT_SE_SF_SG_E_clIS8_S8_S9_S9_EESD_ST_SE_SF_SG_EUlST_E1_NS1_11comp_targetILNS1_3genE0ELNS1_11target_archE4294967295ELNS1_3gpuE0ELNS1_3repE0EEENS1_36merge_oddeven_config_static_selectorELNS0_4arch9wavefront6targetE0EEEvSF_
    .private_segment_fixed_size: 0
    .sgpr_count:     17
    .sgpr_spill_count: 0
    .symbol:         _ZN7rocprim17ROCPRIM_400000_NS6detail17trampoline_kernelINS0_14default_configENS1_38merge_sort_block_merge_config_selectorIaNS0_10empty_typeEEEZZNS1_27merge_sort_block_merge_implIS3_PaPS5_jNS1_19radix_merge_compareILb1ELb0EaNS0_19identity_decomposerEEEEE10hipError_tT0_T1_T2_jT3_P12ihipStream_tbPNSt15iterator_traitsISE_E10value_typeEPNSK_ISF_E10value_typeEPSG_NS1_7vsmem_tEENKUlT_SE_SF_SG_E_clIS8_S8_S9_S9_EESD_ST_SE_SF_SG_EUlST_E1_NS1_11comp_targetILNS1_3genE0ELNS1_11target_archE4294967295ELNS1_3gpuE0ELNS1_3repE0EEENS1_36merge_oddeven_config_static_selectorELNS0_4arch9wavefront6targetE0EEEvSF_.kd
    .uniform_work_group_size: 1
    .uses_dynamic_stack: false
    .vgpr_count:     7
    .vgpr_spill_count: 0
    .wavefront_size: 32
  - .args:
      - .offset:         0
        .size:           48
        .value_kind:     by_value
    .group_segment_fixed_size: 0
    .kernarg_segment_align: 8
    .kernarg_segment_size: 48
    .language:       OpenCL C
    .language_version:
      - 2
      - 0
    .max_flat_workgroup_size: 256
    .name:           _ZN7rocprim17ROCPRIM_400000_NS6detail17trampoline_kernelINS0_14default_configENS1_38merge_sort_block_merge_config_selectorIaNS0_10empty_typeEEEZZNS1_27merge_sort_block_merge_implIS3_PaPS5_jNS1_19radix_merge_compareILb1ELb0EaNS0_19identity_decomposerEEEEE10hipError_tT0_T1_T2_jT3_P12ihipStream_tbPNSt15iterator_traitsISE_E10value_typeEPNSK_ISF_E10value_typeEPSG_NS1_7vsmem_tEENKUlT_SE_SF_SG_E_clIS8_S8_S9_S9_EESD_ST_SE_SF_SG_EUlST_E1_NS1_11comp_targetILNS1_3genE10ELNS1_11target_archE1201ELNS1_3gpuE5ELNS1_3repE0EEENS1_36merge_oddeven_config_static_selectorELNS0_4arch9wavefront6targetE0EEEvSF_
    .private_segment_fixed_size: 0
    .sgpr_count:     0
    .sgpr_spill_count: 0
    .symbol:         _ZN7rocprim17ROCPRIM_400000_NS6detail17trampoline_kernelINS0_14default_configENS1_38merge_sort_block_merge_config_selectorIaNS0_10empty_typeEEEZZNS1_27merge_sort_block_merge_implIS3_PaPS5_jNS1_19radix_merge_compareILb1ELb0EaNS0_19identity_decomposerEEEEE10hipError_tT0_T1_T2_jT3_P12ihipStream_tbPNSt15iterator_traitsISE_E10value_typeEPNSK_ISF_E10value_typeEPSG_NS1_7vsmem_tEENKUlT_SE_SF_SG_E_clIS8_S8_S9_S9_EESD_ST_SE_SF_SG_EUlST_E1_NS1_11comp_targetILNS1_3genE10ELNS1_11target_archE1201ELNS1_3gpuE5ELNS1_3repE0EEENS1_36merge_oddeven_config_static_selectorELNS0_4arch9wavefront6targetE0EEEvSF_.kd
    .uniform_work_group_size: 1
    .uses_dynamic_stack: false
    .vgpr_count:     0
    .vgpr_spill_count: 0
    .wavefront_size: 32
  - .args:
      - .offset:         0
        .size:           48
        .value_kind:     by_value
    .group_segment_fixed_size: 0
    .kernarg_segment_align: 8
    .kernarg_segment_size: 48
    .language:       OpenCL C
    .language_version:
      - 2
      - 0
    .max_flat_workgroup_size: 256
    .name:           _ZN7rocprim17ROCPRIM_400000_NS6detail17trampoline_kernelINS0_14default_configENS1_38merge_sort_block_merge_config_selectorIaNS0_10empty_typeEEEZZNS1_27merge_sort_block_merge_implIS3_PaPS5_jNS1_19radix_merge_compareILb1ELb0EaNS0_19identity_decomposerEEEEE10hipError_tT0_T1_T2_jT3_P12ihipStream_tbPNSt15iterator_traitsISE_E10value_typeEPNSK_ISF_E10value_typeEPSG_NS1_7vsmem_tEENKUlT_SE_SF_SG_E_clIS8_S8_S9_S9_EESD_ST_SE_SF_SG_EUlST_E1_NS1_11comp_targetILNS1_3genE5ELNS1_11target_archE942ELNS1_3gpuE9ELNS1_3repE0EEENS1_36merge_oddeven_config_static_selectorELNS0_4arch9wavefront6targetE0EEEvSF_
    .private_segment_fixed_size: 0
    .sgpr_count:     0
    .sgpr_spill_count: 0
    .symbol:         _ZN7rocprim17ROCPRIM_400000_NS6detail17trampoline_kernelINS0_14default_configENS1_38merge_sort_block_merge_config_selectorIaNS0_10empty_typeEEEZZNS1_27merge_sort_block_merge_implIS3_PaPS5_jNS1_19radix_merge_compareILb1ELb0EaNS0_19identity_decomposerEEEEE10hipError_tT0_T1_T2_jT3_P12ihipStream_tbPNSt15iterator_traitsISE_E10value_typeEPNSK_ISF_E10value_typeEPSG_NS1_7vsmem_tEENKUlT_SE_SF_SG_E_clIS8_S8_S9_S9_EESD_ST_SE_SF_SG_EUlST_E1_NS1_11comp_targetILNS1_3genE5ELNS1_11target_archE942ELNS1_3gpuE9ELNS1_3repE0EEENS1_36merge_oddeven_config_static_selectorELNS0_4arch9wavefront6targetE0EEEvSF_.kd
    .uniform_work_group_size: 1
    .uses_dynamic_stack: false
    .vgpr_count:     0
    .vgpr_spill_count: 0
    .wavefront_size: 32
  - .args:
      - .offset:         0
        .size:           48
        .value_kind:     by_value
    .group_segment_fixed_size: 0
    .kernarg_segment_align: 8
    .kernarg_segment_size: 48
    .language:       OpenCL C
    .language_version:
      - 2
      - 0
    .max_flat_workgroup_size: 256
    .name:           _ZN7rocprim17ROCPRIM_400000_NS6detail17trampoline_kernelINS0_14default_configENS1_38merge_sort_block_merge_config_selectorIaNS0_10empty_typeEEEZZNS1_27merge_sort_block_merge_implIS3_PaPS5_jNS1_19radix_merge_compareILb1ELb0EaNS0_19identity_decomposerEEEEE10hipError_tT0_T1_T2_jT3_P12ihipStream_tbPNSt15iterator_traitsISE_E10value_typeEPNSK_ISF_E10value_typeEPSG_NS1_7vsmem_tEENKUlT_SE_SF_SG_E_clIS8_S8_S9_S9_EESD_ST_SE_SF_SG_EUlST_E1_NS1_11comp_targetILNS1_3genE4ELNS1_11target_archE910ELNS1_3gpuE8ELNS1_3repE0EEENS1_36merge_oddeven_config_static_selectorELNS0_4arch9wavefront6targetE0EEEvSF_
    .private_segment_fixed_size: 0
    .sgpr_count:     0
    .sgpr_spill_count: 0
    .symbol:         _ZN7rocprim17ROCPRIM_400000_NS6detail17trampoline_kernelINS0_14default_configENS1_38merge_sort_block_merge_config_selectorIaNS0_10empty_typeEEEZZNS1_27merge_sort_block_merge_implIS3_PaPS5_jNS1_19radix_merge_compareILb1ELb0EaNS0_19identity_decomposerEEEEE10hipError_tT0_T1_T2_jT3_P12ihipStream_tbPNSt15iterator_traitsISE_E10value_typeEPNSK_ISF_E10value_typeEPSG_NS1_7vsmem_tEENKUlT_SE_SF_SG_E_clIS8_S8_S9_S9_EESD_ST_SE_SF_SG_EUlST_E1_NS1_11comp_targetILNS1_3genE4ELNS1_11target_archE910ELNS1_3gpuE8ELNS1_3repE0EEENS1_36merge_oddeven_config_static_selectorELNS0_4arch9wavefront6targetE0EEEvSF_.kd
    .uniform_work_group_size: 1
    .uses_dynamic_stack: false
    .vgpr_count:     0
    .vgpr_spill_count: 0
    .wavefront_size: 32
  - .args:
      - .offset:         0
        .size:           48
        .value_kind:     by_value
    .group_segment_fixed_size: 0
    .kernarg_segment_align: 8
    .kernarg_segment_size: 48
    .language:       OpenCL C
    .language_version:
      - 2
      - 0
    .max_flat_workgroup_size: 256
    .name:           _ZN7rocprim17ROCPRIM_400000_NS6detail17trampoline_kernelINS0_14default_configENS1_38merge_sort_block_merge_config_selectorIaNS0_10empty_typeEEEZZNS1_27merge_sort_block_merge_implIS3_PaPS5_jNS1_19radix_merge_compareILb1ELb0EaNS0_19identity_decomposerEEEEE10hipError_tT0_T1_T2_jT3_P12ihipStream_tbPNSt15iterator_traitsISE_E10value_typeEPNSK_ISF_E10value_typeEPSG_NS1_7vsmem_tEENKUlT_SE_SF_SG_E_clIS8_S8_S9_S9_EESD_ST_SE_SF_SG_EUlST_E1_NS1_11comp_targetILNS1_3genE3ELNS1_11target_archE908ELNS1_3gpuE7ELNS1_3repE0EEENS1_36merge_oddeven_config_static_selectorELNS0_4arch9wavefront6targetE0EEEvSF_
    .private_segment_fixed_size: 0
    .sgpr_count:     0
    .sgpr_spill_count: 0
    .symbol:         _ZN7rocprim17ROCPRIM_400000_NS6detail17trampoline_kernelINS0_14default_configENS1_38merge_sort_block_merge_config_selectorIaNS0_10empty_typeEEEZZNS1_27merge_sort_block_merge_implIS3_PaPS5_jNS1_19radix_merge_compareILb1ELb0EaNS0_19identity_decomposerEEEEE10hipError_tT0_T1_T2_jT3_P12ihipStream_tbPNSt15iterator_traitsISE_E10value_typeEPNSK_ISF_E10value_typeEPSG_NS1_7vsmem_tEENKUlT_SE_SF_SG_E_clIS8_S8_S9_S9_EESD_ST_SE_SF_SG_EUlST_E1_NS1_11comp_targetILNS1_3genE3ELNS1_11target_archE908ELNS1_3gpuE7ELNS1_3repE0EEENS1_36merge_oddeven_config_static_selectorELNS0_4arch9wavefront6targetE0EEEvSF_.kd
    .uniform_work_group_size: 1
    .uses_dynamic_stack: false
    .vgpr_count:     0
    .vgpr_spill_count: 0
    .wavefront_size: 32
  - .args:
      - .offset:         0
        .size:           48
        .value_kind:     by_value
    .group_segment_fixed_size: 0
    .kernarg_segment_align: 8
    .kernarg_segment_size: 48
    .language:       OpenCL C
    .language_version:
      - 2
      - 0
    .max_flat_workgroup_size: 256
    .name:           _ZN7rocprim17ROCPRIM_400000_NS6detail17trampoline_kernelINS0_14default_configENS1_38merge_sort_block_merge_config_selectorIaNS0_10empty_typeEEEZZNS1_27merge_sort_block_merge_implIS3_PaPS5_jNS1_19radix_merge_compareILb1ELb0EaNS0_19identity_decomposerEEEEE10hipError_tT0_T1_T2_jT3_P12ihipStream_tbPNSt15iterator_traitsISE_E10value_typeEPNSK_ISF_E10value_typeEPSG_NS1_7vsmem_tEENKUlT_SE_SF_SG_E_clIS8_S8_S9_S9_EESD_ST_SE_SF_SG_EUlST_E1_NS1_11comp_targetILNS1_3genE2ELNS1_11target_archE906ELNS1_3gpuE6ELNS1_3repE0EEENS1_36merge_oddeven_config_static_selectorELNS0_4arch9wavefront6targetE0EEEvSF_
    .private_segment_fixed_size: 0
    .sgpr_count:     0
    .sgpr_spill_count: 0
    .symbol:         _ZN7rocprim17ROCPRIM_400000_NS6detail17trampoline_kernelINS0_14default_configENS1_38merge_sort_block_merge_config_selectorIaNS0_10empty_typeEEEZZNS1_27merge_sort_block_merge_implIS3_PaPS5_jNS1_19radix_merge_compareILb1ELb0EaNS0_19identity_decomposerEEEEE10hipError_tT0_T1_T2_jT3_P12ihipStream_tbPNSt15iterator_traitsISE_E10value_typeEPNSK_ISF_E10value_typeEPSG_NS1_7vsmem_tEENKUlT_SE_SF_SG_E_clIS8_S8_S9_S9_EESD_ST_SE_SF_SG_EUlST_E1_NS1_11comp_targetILNS1_3genE2ELNS1_11target_archE906ELNS1_3gpuE6ELNS1_3repE0EEENS1_36merge_oddeven_config_static_selectorELNS0_4arch9wavefront6targetE0EEEvSF_.kd
    .uniform_work_group_size: 1
    .uses_dynamic_stack: false
    .vgpr_count:     0
    .vgpr_spill_count: 0
    .wavefront_size: 32
  - .args:
      - .offset:         0
        .size:           48
        .value_kind:     by_value
    .group_segment_fixed_size: 0
    .kernarg_segment_align: 8
    .kernarg_segment_size: 48
    .language:       OpenCL C
    .language_version:
      - 2
      - 0
    .max_flat_workgroup_size: 256
    .name:           _ZN7rocprim17ROCPRIM_400000_NS6detail17trampoline_kernelINS0_14default_configENS1_38merge_sort_block_merge_config_selectorIaNS0_10empty_typeEEEZZNS1_27merge_sort_block_merge_implIS3_PaPS5_jNS1_19radix_merge_compareILb1ELb0EaNS0_19identity_decomposerEEEEE10hipError_tT0_T1_T2_jT3_P12ihipStream_tbPNSt15iterator_traitsISE_E10value_typeEPNSK_ISF_E10value_typeEPSG_NS1_7vsmem_tEENKUlT_SE_SF_SG_E_clIS8_S8_S9_S9_EESD_ST_SE_SF_SG_EUlST_E1_NS1_11comp_targetILNS1_3genE9ELNS1_11target_archE1100ELNS1_3gpuE3ELNS1_3repE0EEENS1_36merge_oddeven_config_static_selectorELNS0_4arch9wavefront6targetE0EEEvSF_
    .private_segment_fixed_size: 0
    .sgpr_count:     0
    .sgpr_spill_count: 0
    .symbol:         _ZN7rocprim17ROCPRIM_400000_NS6detail17trampoline_kernelINS0_14default_configENS1_38merge_sort_block_merge_config_selectorIaNS0_10empty_typeEEEZZNS1_27merge_sort_block_merge_implIS3_PaPS5_jNS1_19radix_merge_compareILb1ELb0EaNS0_19identity_decomposerEEEEE10hipError_tT0_T1_T2_jT3_P12ihipStream_tbPNSt15iterator_traitsISE_E10value_typeEPNSK_ISF_E10value_typeEPSG_NS1_7vsmem_tEENKUlT_SE_SF_SG_E_clIS8_S8_S9_S9_EESD_ST_SE_SF_SG_EUlST_E1_NS1_11comp_targetILNS1_3genE9ELNS1_11target_archE1100ELNS1_3gpuE3ELNS1_3repE0EEENS1_36merge_oddeven_config_static_selectorELNS0_4arch9wavefront6targetE0EEEvSF_.kd
    .uniform_work_group_size: 1
    .uses_dynamic_stack: false
    .vgpr_count:     0
    .vgpr_spill_count: 0
    .wavefront_size: 32
  - .args:
      - .offset:         0
        .size:           48
        .value_kind:     by_value
    .group_segment_fixed_size: 0
    .kernarg_segment_align: 8
    .kernarg_segment_size: 48
    .language:       OpenCL C
    .language_version:
      - 2
      - 0
    .max_flat_workgroup_size: 256
    .name:           _ZN7rocprim17ROCPRIM_400000_NS6detail17trampoline_kernelINS0_14default_configENS1_38merge_sort_block_merge_config_selectorIaNS0_10empty_typeEEEZZNS1_27merge_sort_block_merge_implIS3_PaPS5_jNS1_19radix_merge_compareILb1ELb0EaNS0_19identity_decomposerEEEEE10hipError_tT0_T1_T2_jT3_P12ihipStream_tbPNSt15iterator_traitsISE_E10value_typeEPNSK_ISF_E10value_typeEPSG_NS1_7vsmem_tEENKUlT_SE_SF_SG_E_clIS8_S8_S9_S9_EESD_ST_SE_SF_SG_EUlST_E1_NS1_11comp_targetILNS1_3genE8ELNS1_11target_archE1030ELNS1_3gpuE2ELNS1_3repE0EEENS1_36merge_oddeven_config_static_selectorELNS0_4arch9wavefront6targetE0EEEvSF_
    .private_segment_fixed_size: 0
    .sgpr_count:     0
    .sgpr_spill_count: 0
    .symbol:         _ZN7rocprim17ROCPRIM_400000_NS6detail17trampoline_kernelINS0_14default_configENS1_38merge_sort_block_merge_config_selectorIaNS0_10empty_typeEEEZZNS1_27merge_sort_block_merge_implIS3_PaPS5_jNS1_19radix_merge_compareILb1ELb0EaNS0_19identity_decomposerEEEEE10hipError_tT0_T1_T2_jT3_P12ihipStream_tbPNSt15iterator_traitsISE_E10value_typeEPNSK_ISF_E10value_typeEPSG_NS1_7vsmem_tEENKUlT_SE_SF_SG_E_clIS8_S8_S9_S9_EESD_ST_SE_SF_SG_EUlST_E1_NS1_11comp_targetILNS1_3genE8ELNS1_11target_archE1030ELNS1_3gpuE2ELNS1_3repE0EEENS1_36merge_oddeven_config_static_selectorELNS0_4arch9wavefront6targetE0EEEvSF_.kd
    .uniform_work_group_size: 1
    .uses_dynamic_stack: false
    .vgpr_count:     0
    .vgpr_spill_count: 0
    .wavefront_size: 32
  - .args:
      - .offset:         0
        .size:           40
        .value_kind:     by_value
      - .offset:         40
        .size:           4
        .value_kind:     hidden_block_count_x
      - .offset:         44
        .size:           4
        .value_kind:     hidden_block_count_y
      - .offset:         48
        .size:           4
        .value_kind:     hidden_block_count_z
      - .offset:         52
        .size:           2
        .value_kind:     hidden_group_size_x
      - .offset:         54
        .size:           2
        .value_kind:     hidden_group_size_y
      - .offset:         56
        .size:           2
        .value_kind:     hidden_group_size_z
      - .offset:         58
        .size:           2
        .value_kind:     hidden_remainder_x
      - .offset:         60
        .size:           2
        .value_kind:     hidden_remainder_y
      - .offset:         62
        .size:           2
        .value_kind:     hidden_remainder_z
      - .offset:         80
        .size:           8
        .value_kind:     hidden_global_offset_x
      - .offset:         88
        .size:           8
        .value_kind:     hidden_global_offset_y
      - .offset:         96
        .size:           8
        .value_kind:     hidden_global_offset_z
      - .offset:         104
        .size:           2
        .value_kind:     hidden_grid_dims
    .group_segment_fixed_size: 0
    .kernarg_segment_align: 8
    .kernarg_segment_size: 296
    .language:       OpenCL C
    .language_version:
      - 2
      - 0
    .max_flat_workgroup_size: 128
    .name:           _ZN7rocprim17ROCPRIM_400000_NS6detail17trampoline_kernelINS0_14default_configENS1_25transform_config_selectorIaLb1EEEZNS1_14transform_implILb1ES3_S5_PaS7_NS0_8identityIaEEEE10hipError_tT2_T3_mT4_P12ihipStream_tbEUlT_E_NS1_11comp_targetILNS1_3genE0ELNS1_11target_archE4294967295ELNS1_3gpuE0ELNS1_3repE0EEENS1_30default_config_static_selectorELNS0_4arch9wavefront6targetE0EEEvT1_
    .private_segment_fixed_size: 0
    .sgpr_count:     16
    .sgpr_spill_count: 0
    .symbol:         _ZN7rocprim17ROCPRIM_400000_NS6detail17trampoline_kernelINS0_14default_configENS1_25transform_config_selectorIaLb1EEEZNS1_14transform_implILb1ES3_S5_PaS7_NS0_8identityIaEEEE10hipError_tT2_T3_mT4_P12ihipStream_tbEUlT_E_NS1_11comp_targetILNS1_3genE0ELNS1_11target_archE4294967295ELNS1_3gpuE0ELNS1_3repE0EEENS1_30default_config_static_selectorELNS0_4arch9wavefront6targetE0EEEvT1_.kd
    .uniform_work_group_size: 1
    .uses_dynamic_stack: false
    .vgpr_count:     13
    .vgpr_spill_count: 0
    .wavefront_size: 32
  - .args:
      - .offset:         0
        .size:           40
        .value_kind:     by_value
    .group_segment_fixed_size: 0
    .kernarg_segment_align: 8
    .kernarg_segment_size: 40
    .language:       OpenCL C
    .language_version:
      - 2
      - 0
    .max_flat_workgroup_size: 1024
    .name:           _ZN7rocprim17ROCPRIM_400000_NS6detail17trampoline_kernelINS0_14default_configENS1_25transform_config_selectorIaLb1EEEZNS1_14transform_implILb1ES3_S5_PaS7_NS0_8identityIaEEEE10hipError_tT2_T3_mT4_P12ihipStream_tbEUlT_E_NS1_11comp_targetILNS1_3genE10ELNS1_11target_archE1201ELNS1_3gpuE5ELNS1_3repE0EEENS1_30default_config_static_selectorELNS0_4arch9wavefront6targetE0EEEvT1_
    .private_segment_fixed_size: 0
    .sgpr_count:     0
    .sgpr_spill_count: 0
    .symbol:         _ZN7rocprim17ROCPRIM_400000_NS6detail17trampoline_kernelINS0_14default_configENS1_25transform_config_selectorIaLb1EEEZNS1_14transform_implILb1ES3_S5_PaS7_NS0_8identityIaEEEE10hipError_tT2_T3_mT4_P12ihipStream_tbEUlT_E_NS1_11comp_targetILNS1_3genE10ELNS1_11target_archE1201ELNS1_3gpuE5ELNS1_3repE0EEENS1_30default_config_static_selectorELNS0_4arch9wavefront6targetE0EEEvT1_.kd
    .uniform_work_group_size: 1
    .uses_dynamic_stack: false
    .vgpr_count:     0
    .vgpr_spill_count: 0
    .wavefront_size: 32
  - .args:
      - .offset:         0
        .size:           40
        .value_kind:     by_value
    .group_segment_fixed_size: 0
    .kernarg_segment_align: 8
    .kernarg_segment_size: 40
    .language:       OpenCL C
    .language_version:
      - 2
      - 0
    .max_flat_workgroup_size: 256
    .name:           _ZN7rocprim17ROCPRIM_400000_NS6detail17trampoline_kernelINS0_14default_configENS1_25transform_config_selectorIaLb1EEEZNS1_14transform_implILb1ES3_S5_PaS7_NS0_8identityIaEEEE10hipError_tT2_T3_mT4_P12ihipStream_tbEUlT_E_NS1_11comp_targetILNS1_3genE5ELNS1_11target_archE942ELNS1_3gpuE9ELNS1_3repE0EEENS1_30default_config_static_selectorELNS0_4arch9wavefront6targetE0EEEvT1_
    .private_segment_fixed_size: 0
    .sgpr_count:     0
    .sgpr_spill_count: 0
    .symbol:         _ZN7rocprim17ROCPRIM_400000_NS6detail17trampoline_kernelINS0_14default_configENS1_25transform_config_selectorIaLb1EEEZNS1_14transform_implILb1ES3_S5_PaS7_NS0_8identityIaEEEE10hipError_tT2_T3_mT4_P12ihipStream_tbEUlT_E_NS1_11comp_targetILNS1_3genE5ELNS1_11target_archE942ELNS1_3gpuE9ELNS1_3repE0EEENS1_30default_config_static_selectorELNS0_4arch9wavefront6targetE0EEEvT1_.kd
    .uniform_work_group_size: 1
    .uses_dynamic_stack: false
    .vgpr_count:     0
    .vgpr_spill_count: 0
    .wavefront_size: 32
  - .args:
      - .offset:         0
        .size:           40
        .value_kind:     by_value
    .group_segment_fixed_size: 0
    .kernarg_segment_align: 8
    .kernarg_segment_size: 40
    .language:       OpenCL C
    .language_version:
      - 2
      - 0
    .max_flat_workgroup_size: 1024
    .name:           _ZN7rocprim17ROCPRIM_400000_NS6detail17trampoline_kernelINS0_14default_configENS1_25transform_config_selectorIaLb1EEEZNS1_14transform_implILb1ES3_S5_PaS7_NS0_8identityIaEEEE10hipError_tT2_T3_mT4_P12ihipStream_tbEUlT_E_NS1_11comp_targetILNS1_3genE4ELNS1_11target_archE910ELNS1_3gpuE8ELNS1_3repE0EEENS1_30default_config_static_selectorELNS0_4arch9wavefront6targetE0EEEvT1_
    .private_segment_fixed_size: 0
    .sgpr_count:     0
    .sgpr_spill_count: 0
    .symbol:         _ZN7rocprim17ROCPRIM_400000_NS6detail17trampoline_kernelINS0_14default_configENS1_25transform_config_selectorIaLb1EEEZNS1_14transform_implILb1ES3_S5_PaS7_NS0_8identityIaEEEE10hipError_tT2_T3_mT4_P12ihipStream_tbEUlT_E_NS1_11comp_targetILNS1_3genE4ELNS1_11target_archE910ELNS1_3gpuE8ELNS1_3repE0EEENS1_30default_config_static_selectorELNS0_4arch9wavefront6targetE0EEEvT1_.kd
    .uniform_work_group_size: 1
    .uses_dynamic_stack: false
    .vgpr_count:     0
    .vgpr_spill_count: 0
    .wavefront_size: 32
  - .args:
      - .offset:         0
        .size:           40
        .value_kind:     by_value
    .group_segment_fixed_size: 0
    .kernarg_segment_align: 8
    .kernarg_segment_size: 40
    .language:       OpenCL C
    .language_version:
      - 2
      - 0
    .max_flat_workgroup_size: 128
    .name:           _ZN7rocprim17ROCPRIM_400000_NS6detail17trampoline_kernelINS0_14default_configENS1_25transform_config_selectorIaLb1EEEZNS1_14transform_implILb1ES3_S5_PaS7_NS0_8identityIaEEEE10hipError_tT2_T3_mT4_P12ihipStream_tbEUlT_E_NS1_11comp_targetILNS1_3genE3ELNS1_11target_archE908ELNS1_3gpuE7ELNS1_3repE0EEENS1_30default_config_static_selectorELNS0_4arch9wavefront6targetE0EEEvT1_
    .private_segment_fixed_size: 0
    .sgpr_count:     0
    .sgpr_spill_count: 0
    .symbol:         _ZN7rocprim17ROCPRIM_400000_NS6detail17trampoline_kernelINS0_14default_configENS1_25transform_config_selectorIaLb1EEEZNS1_14transform_implILb1ES3_S5_PaS7_NS0_8identityIaEEEE10hipError_tT2_T3_mT4_P12ihipStream_tbEUlT_E_NS1_11comp_targetILNS1_3genE3ELNS1_11target_archE908ELNS1_3gpuE7ELNS1_3repE0EEENS1_30default_config_static_selectorELNS0_4arch9wavefront6targetE0EEEvT1_.kd
    .uniform_work_group_size: 1
    .uses_dynamic_stack: false
    .vgpr_count:     0
    .vgpr_spill_count: 0
    .wavefront_size: 32
  - .args:
      - .offset:         0
        .size:           40
        .value_kind:     by_value
    .group_segment_fixed_size: 0
    .kernarg_segment_align: 8
    .kernarg_segment_size: 40
    .language:       OpenCL C
    .language_version:
      - 2
      - 0
    .max_flat_workgroup_size: 512
    .name:           _ZN7rocprim17ROCPRIM_400000_NS6detail17trampoline_kernelINS0_14default_configENS1_25transform_config_selectorIaLb1EEEZNS1_14transform_implILb1ES3_S5_PaS7_NS0_8identityIaEEEE10hipError_tT2_T3_mT4_P12ihipStream_tbEUlT_E_NS1_11comp_targetILNS1_3genE2ELNS1_11target_archE906ELNS1_3gpuE6ELNS1_3repE0EEENS1_30default_config_static_selectorELNS0_4arch9wavefront6targetE0EEEvT1_
    .private_segment_fixed_size: 0
    .sgpr_count:     0
    .sgpr_spill_count: 0
    .symbol:         _ZN7rocprim17ROCPRIM_400000_NS6detail17trampoline_kernelINS0_14default_configENS1_25transform_config_selectorIaLb1EEEZNS1_14transform_implILb1ES3_S5_PaS7_NS0_8identityIaEEEE10hipError_tT2_T3_mT4_P12ihipStream_tbEUlT_E_NS1_11comp_targetILNS1_3genE2ELNS1_11target_archE906ELNS1_3gpuE6ELNS1_3repE0EEENS1_30default_config_static_selectorELNS0_4arch9wavefront6targetE0EEEvT1_.kd
    .uniform_work_group_size: 1
    .uses_dynamic_stack: false
    .vgpr_count:     0
    .vgpr_spill_count: 0
    .wavefront_size: 32
  - .args:
      - .offset:         0
        .size:           40
        .value_kind:     by_value
    .group_segment_fixed_size: 0
    .kernarg_segment_align: 8
    .kernarg_segment_size: 40
    .language:       OpenCL C
    .language_version:
      - 2
      - 0
    .max_flat_workgroup_size: 1024
    .name:           _ZN7rocprim17ROCPRIM_400000_NS6detail17trampoline_kernelINS0_14default_configENS1_25transform_config_selectorIaLb1EEEZNS1_14transform_implILb1ES3_S5_PaS7_NS0_8identityIaEEEE10hipError_tT2_T3_mT4_P12ihipStream_tbEUlT_E_NS1_11comp_targetILNS1_3genE9ELNS1_11target_archE1100ELNS1_3gpuE3ELNS1_3repE0EEENS1_30default_config_static_selectorELNS0_4arch9wavefront6targetE0EEEvT1_
    .private_segment_fixed_size: 0
    .sgpr_count:     0
    .sgpr_spill_count: 0
    .symbol:         _ZN7rocprim17ROCPRIM_400000_NS6detail17trampoline_kernelINS0_14default_configENS1_25transform_config_selectorIaLb1EEEZNS1_14transform_implILb1ES3_S5_PaS7_NS0_8identityIaEEEE10hipError_tT2_T3_mT4_P12ihipStream_tbEUlT_E_NS1_11comp_targetILNS1_3genE9ELNS1_11target_archE1100ELNS1_3gpuE3ELNS1_3repE0EEENS1_30default_config_static_selectorELNS0_4arch9wavefront6targetE0EEEvT1_.kd
    .uniform_work_group_size: 1
    .uses_dynamic_stack: false
    .vgpr_count:     0
    .vgpr_spill_count: 0
    .wavefront_size: 32
  - .args:
      - .offset:         0
        .size:           40
        .value_kind:     by_value
    .group_segment_fixed_size: 0
    .kernarg_segment_align: 8
    .kernarg_segment_size: 40
    .language:       OpenCL C
    .language_version:
      - 2
      - 0
    .max_flat_workgroup_size: 1024
    .name:           _ZN7rocprim17ROCPRIM_400000_NS6detail17trampoline_kernelINS0_14default_configENS1_25transform_config_selectorIaLb1EEEZNS1_14transform_implILb1ES3_S5_PaS7_NS0_8identityIaEEEE10hipError_tT2_T3_mT4_P12ihipStream_tbEUlT_E_NS1_11comp_targetILNS1_3genE8ELNS1_11target_archE1030ELNS1_3gpuE2ELNS1_3repE0EEENS1_30default_config_static_selectorELNS0_4arch9wavefront6targetE0EEEvT1_
    .private_segment_fixed_size: 0
    .sgpr_count:     0
    .sgpr_spill_count: 0
    .symbol:         _ZN7rocprim17ROCPRIM_400000_NS6detail17trampoline_kernelINS0_14default_configENS1_25transform_config_selectorIaLb1EEEZNS1_14transform_implILb1ES3_S5_PaS7_NS0_8identityIaEEEE10hipError_tT2_T3_mT4_P12ihipStream_tbEUlT_E_NS1_11comp_targetILNS1_3genE8ELNS1_11target_archE1030ELNS1_3gpuE2ELNS1_3repE0EEENS1_30default_config_static_selectorELNS0_4arch9wavefront6targetE0EEEvT1_.kd
    .uniform_work_group_size: 1
    .uses_dynamic_stack: false
    .vgpr_count:     0
    .vgpr_spill_count: 0
    .wavefront_size: 32
  - .args:
      - .offset:         0
        .size:           40
        .value_kind:     by_value
    .group_segment_fixed_size: 0
    .kernarg_segment_align: 8
    .kernarg_segment_size: 40
    .language:       OpenCL C
    .language_version:
      - 2
      - 0
    .max_flat_workgroup_size: 128
    .name:           _ZN7rocprim17ROCPRIM_400000_NS6detail17trampoline_kernelINS0_14default_configENS1_38merge_sort_block_merge_config_selectorIaNS0_10empty_typeEEEZZNS1_27merge_sort_block_merge_implIS3_PaPS5_jNS1_19radix_merge_compareILb1ELb1EaNS0_19identity_decomposerEEEEE10hipError_tT0_T1_T2_jT3_P12ihipStream_tbPNSt15iterator_traitsISE_E10value_typeEPNSK_ISF_E10value_typeEPSG_NS1_7vsmem_tEENKUlT_SE_SF_SG_E_clIS8_S8_S9_S9_EESD_ST_SE_SF_SG_EUlST_E_NS1_11comp_targetILNS1_3genE0ELNS1_11target_archE4294967295ELNS1_3gpuE0ELNS1_3repE0EEENS1_48merge_mergepath_partition_config_static_selectorELNS0_4arch9wavefront6targetE0EEEvSF_
    .private_segment_fixed_size: 0
    .sgpr_count:     10
    .sgpr_spill_count: 0
    .symbol:         _ZN7rocprim17ROCPRIM_400000_NS6detail17trampoline_kernelINS0_14default_configENS1_38merge_sort_block_merge_config_selectorIaNS0_10empty_typeEEEZZNS1_27merge_sort_block_merge_implIS3_PaPS5_jNS1_19radix_merge_compareILb1ELb1EaNS0_19identity_decomposerEEEEE10hipError_tT0_T1_T2_jT3_P12ihipStream_tbPNSt15iterator_traitsISE_E10value_typeEPNSK_ISF_E10value_typeEPSG_NS1_7vsmem_tEENKUlT_SE_SF_SG_E_clIS8_S8_S9_S9_EESD_ST_SE_SF_SG_EUlST_E_NS1_11comp_targetILNS1_3genE0ELNS1_11target_archE4294967295ELNS1_3gpuE0ELNS1_3repE0EEENS1_48merge_mergepath_partition_config_static_selectorELNS0_4arch9wavefront6targetE0EEEvSF_.kd
    .uniform_work_group_size: 1
    .uses_dynamic_stack: false
    .vgpr_count:     17
    .vgpr_spill_count: 0
    .wavefront_size: 32
  - .args:
      - .offset:         0
        .size:           40
        .value_kind:     by_value
    .group_segment_fixed_size: 0
    .kernarg_segment_align: 8
    .kernarg_segment_size: 40
    .language:       OpenCL C
    .language_version:
      - 2
      - 0
    .max_flat_workgroup_size: 128
    .name:           _ZN7rocprim17ROCPRIM_400000_NS6detail17trampoline_kernelINS0_14default_configENS1_38merge_sort_block_merge_config_selectorIaNS0_10empty_typeEEEZZNS1_27merge_sort_block_merge_implIS3_PaPS5_jNS1_19radix_merge_compareILb1ELb1EaNS0_19identity_decomposerEEEEE10hipError_tT0_T1_T2_jT3_P12ihipStream_tbPNSt15iterator_traitsISE_E10value_typeEPNSK_ISF_E10value_typeEPSG_NS1_7vsmem_tEENKUlT_SE_SF_SG_E_clIS8_S8_S9_S9_EESD_ST_SE_SF_SG_EUlST_E_NS1_11comp_targetILNS1_3genE10ELNS1_11target_archE1201ELNS1_3gpuE5ELNS1_3repE0EEENS1_48merge_mergepath_partition_config_static_selectorELNS0_4arch9wavefront6targetE0EEEvSF_
    .private_segment_fixed_size: 0
    .sgpr_count:     0
    .sgpr_spill_count: 0
    .symbol:         _ZN7rocprim17ROCPRIM_400000_NS6detail17trampoline_kernelINS0_14default_configENS1_38merge_sort_block_merge_config_selectorIaNS0_10empty_typeEEEZZNS1_27merge_sort_block_merge_implIS3_PaPS5_jNS1_19radix_merge_compareILb1ELb1EaNS0_19identity_decomposerEEEEE10hipError_tT0_T1_T2_jT3_P12ihipStream_tbPNSt15iterator_traitsISE_E10value_typeEPNSK_ISF_E10value_typeEPSG_NS1_7vsmem_tEENKUlT_SE_SF_SG_E_clIS8_S8_S9_S9_EESD_ST_SE_SF_SG_EUlST_E_NS1_11comp_targetILNS1_3genE10ELNS1_11target_archE1201ELNS1_3gpuE5ELNS1_3repE0EEENS1_48merge_mergepath_partition_config_static_selectorELNS0_4arch9wavefront6targetE0EEEvSF_.kd
    .uniform_work_group_size: 1
    .uses_dynamic_stack: false
    .vgpr_count:     0
    .vgpr_spill_count: 0
    .wavefront_size: 32
  - .args:
      - .offset:         0
        .size:           40
        .value_kind:     by_value
    .group_segment_fixed_size: 0
    .kernarg_segment_align: 8
    .kernarg_segment_size: 40
    .language:       OpenCL C
    .language_version:
      - 2
      - 0
    .max_flat_workgroup_size: 128
    .name:           _ZN7rocprim17ROCPRIM_400000_NS6detail17trampoline_kernelINS0_14default_configENS1_38merge_sort_block_merge_config_selectorIaNS0_10empty_typeEEEZZNS1_27merge_sort_block_merge_implIS3_PaPS5_jNS1_19radix_merge_compareILb1ELb1EaNS0_19identity_decomposerEEEEE10hipError_tT0_T1_T2_jT3_P12ihipStream_tbPNSt15iterator_traitsISE_E10value_typeEPNSK_ISF_E10value_typeEPSG_NS1_7vsmem_tEENKUlT_SE_SF_SG_E_clIS8_S8_S9_S9_EESD_ST_SE_SF_SG_EUlST_E_NS1_11comp_targetILNS1_3genE5ELNS1_11target_archE942ELNS1_3gpuE9ELNS1_3repE0EEENS1_48merge_mergepath_partition_config_static_selectorELNS0_4arch9wavefront6targetE0EEEvSF_
    .private_segment_fixed_size: 0
    .sgpr_count:     0
    .sgpr_spill_count: 0
    .symbol:         _ZN7rocprim17ROCPRIM_400000_NS6detail17trampoline_kernelINS0_14default_configENS1_38merge_sort_block_merge_config_selectorIaNS0_10empty_typeEEEZZNS1_27merge_sort_block_merge_implIS3_PaPS5_jNS1_19radix_merge_compareILb1ELb1EaNS0_19identity_decomposerEEEEE10hipError_tT0_T1_T2_jT3_P12ihipStream_tbPNSt15iterator_traitsISE_E10value_typeEPNSK_ISF_E10value_typeEPSG_NS1_7vsmem_tEENKUlT_SE_SF_SG_E_clIS8_S8_S9_S9_EESD_ST_SE_SF_SG_EUlST_E_NS1_11comp_targetILNS1_3genE5ELNS1_11target_archE942ELNS1_3gpuE9ELNS1_3repE0EEENS1_48merge_mergepath_partition_config_static_selectorELNS0_4arch9wavefront6targetE0EEEvSF_.kd
    .uniform_work_group_size: 1
    .uses_dynamic_stack: false
    .vgpr_count:     0
    .vgpr_spill_count: 0
    .wavefront_size: 32
  - .args:
      - .offset:         0
        .size:           40
        .value_kind:     by_value
    .group_segment_fixed_size: 0
    .kernarg_segment_align: 8
    .kernarg_segment_size: 40
    .language:       OpenCL C
    .language_version:
      - 2
      - 0
    .max_flat_workgroup_size: 128
    .name:           _ZN7rocprim17ROCPRIM_400000_NS6detail17trampoline_kernelINS0_14default_configENS1_38merge_sort_block_merge_config_selectorIaNS0_10empty_typeEEEZZNS1_27merge_sort_block_merge_implIS3_PaPS5_jNS1_19radix_merge_compareILb1ELb1EaNS0_19identity_decomposerEEEEE10hipError_tT0_T1_T2_jT3_P12ihipStream_tbPNSt15iterator_traitsISE_E10value_typeEPNSK_ISF_E10value_typeEPSG_NS1_7vsmem_tEENKUlT_SE_SF_SG_E_clIS8_S8_S9_S9_EESD_ST_SE_SF_SG_EUlST_E_NS1_11comp_targetILNS1_3genE4ELNS1_11target_archE910ELNS1_3gpuE8ELNS1_3repE0EEENS1_48merge_mergepath_partition_config_static_selectorELNS0_4arch9wavefront6targetE0EEEvSF_
    .private_segment_fixed_size: 0
    .sgpr_count:     0
    .sgpr_spill_count: 0
    .symbol:         _ZN7rocprim17ROCPRIM_400000_NS6detail17trampoline_kernelINS0_14default_configENS1_38merge_sort_block_merge_config_selectorIaNS0_10empty_typeEEEZZNS1_27merge_sort_block_merge_implIS3_PaPS5_jNS1_19radix_merge_compareILb1ELb1EaNS0_19identity_decomposerEEEEE10hipError_tT0_T1_T2_jT3_P12ihipStream_tbPNSt15iterator_traitsISE_E10value_typeEPNSK_ISF_E10value_typeEPSG_NS1_7vsmem_tEENKUlT_SE_SF_SG_E_clIS8_S8_S9_S9_EESD_ST_SE_SF_SG_EUlST_E_NS1_11comp_targetILNS1_3genE4ELNS1_11target_archE910ELNS1_3gpuE8ELNS1_3repE0EEENS1_48merge_mergepath_partition_config_static_selectorELNS0_4arch9wavefront6targetE0EEEvSF_.kd
    .uniform_work_group_size: 1
    .uses_dynamic_stack: false
    .vgpr_count:     0
    .vgpr_spill_count: 0
    .wavefront_size: 32
  - .args:
      - .offset:         0
        .size:           40
        .value_kind:     by_value
    .group_segment_fixed_size: 0
    .kernarg_segment_align: 8
    .kernarg_segment_size: 40
    .language:       OpenCL C
    .language_version:
      - 2
      - 0
    .max_flat_workgroup_size: 128
    .name:           _ZN7rocprim17ROCPRIM_400000_NS6detail17trampoline_kernelINS0_14default_configENS1_38merge_sort_block_merge_config_selectorIaNS0_10empty_typeEEEZZNS1_27merge_sort_block_merge_implIS3_PaPS5_jNS1_19radix_merge_compareILb1ELb1EaNS0_19identity_decomposerEEEEE10hipError_tT0_T1_T2_jT3_P12ihipStream_tbPNSt15iterator_traitsISE_E10value_typeEPNSK_ISF_E10value_typeEPSG_NS1_7vsmem_tEENKUlT_SE_SF_SG_E_clIS8_S8_S9_S9_EESD_ST_SE_SF_SG_EUlST_E_NS1_11comp_targetILNS1_3genE3ELNS1_11target_archE908ELNS1_3gpuE7ELNS1_3repE0EEENS1_48merge_mergepath_partition_config_static_selectorELNS0_4arch9wavefront6targetE0EEEvSF_
    .private_segment_fixed_size: 0
    .sgpr_count:     0
    .sgpr_spill_count: 0
    .symbol:         _ZN7rocprim17ROCPRIM_400000_NS6detail17trampoline_kernelINS0_14default_configENS1_38merge_sort_block_merge_config_selectorIaNS0_10empty_typeEEEZZNS1_27merge_sort_block_merge_implIS3_PaPS5_jNS1_19radix_merge_compareILb1ELb1EaNS0_19identity_decomposerEEEEE10hipError_tT0_T1_T2_jT3_P12ihipStream_tbPNSt15iterator_traitsISE_E10value_typeEPNSK_ISF_E10value_typeEPSG_NS1_7vsmem_tEENKUlT_SE_SF_SG_E_clIS8_S8_S9_S9_EESD_ST_SE_SF_SG_EUlST_E_NS1_11comp_targetILNS1_3genE3ELNS1_11target_archE908ELNS1_3gpuE7ELNS1_3repE0EEENS1_48merge_mergepath_partition_config_static_selectorELNS0_4arch9wavefront6targetE0EEEvSF_.kd
    .uniform_work_group_size: 1
    .uses_dynamic_stack: false
    .vgpr_count:     0
    .vgpr_spill_count: 0
    .wavefront_size: 32
  - .args:
      - .offset:         0
        .size:           40
        .value_kind:     by_value
    .group_segment_fixed_size: 0
    .kernarg_segment_align: 8
    .kernarg_segment_size: 40
    .language:       OpenCL C
    .language_version:
      - 2
      - 0
    .max_flat_workgroup_size: 128
    .name:           _ZN7rocprim17ROCPRIM_400000_NS6detail17trampoline_kernelINS0_14default_configENS1_38merge_sort_block_merge_config_selectorIaNS0_10empty_typeEEEZZNS1_27merge_sort_block_merge_implIS3_PaPS5_jNS1_19radix_merge_compareILb1ELb1EaNS0_19identity_decomposerEEEEE10hipError_tT0_T1_T2_jT3_P12ihipStream_tbPNSt15iterator_traitsISE_E10value_typeEPNSK_ISF_E10value_typeEPSG_NS1_7vsmem_tEENKUlT_SE_SF_SG_E_clIS8_S8_S9_S9_EESD_ST_SE_SF_SG_EUlST_E_NS1_11comp_targetILNS1_3genE2ELNS1_11target_archE906ELNS1_3gpuE6ELNS1_3repE0EEENS1_48merge_mergepath_partition_config_static_selectorELNS0_4arch9wavefront6targetE0EEEvSF_
    .private_segment_fixed_size: 0
    .sgpr_count:     0
    .sgpr_spill_count: 0
    .symbol:         _ZN7rocprim17ROCPRIM_400000_NS6detail17trampoline_kernelINS0_14default_configENS1_38merge_sort_block_merge_config_selectorIaNS0_10empty_typeEEEZZNS1_27merge_sort_block_merge_implIS3_PaPS5_jNS1_19radix_merge_compareILb1ELb1EaNS0_19identity_decomposerEEEEE10hipError_tT0_T1_T2_jT3_P12ihipStream_tbPNSt15iterator_traitsISE_E10value_typeEPNSK_ISF_E10value_typeEPSG_NS1_7vsmem_tEENKUlT_SE_SF_SG_E_clIS8_S8_S9_S9_EESD_ST_SE_SF_SG_EUlST_E_NS1_11comp_targetILNS1_3genE2ELNS1_11target_archE906ELNS1_3gpuE6ELNS1_3repE0EEENS1_48merge_mergepath_partition_config_static_selectorELNS0_4arch9wavefront6targetE0EEEvSF_.kd
    .uniform_work_group_size: 1
    .uses_dynamic_stack: false
    .vgpr_count:     0
    .vgpr_spill_count: 0
    .wavefront_size: 32
  - .args:
      - .offset:         0
        .size:           40
        .value_kind:     by_value
    .group_segment_fixed_size: 0
    .kernarg_segment_align: 8
    .kernarg_segment_size: 40
    .language:       OpenCL C
    .language_version:
      - 2
      - 0
    .max_flat_workgroup_size: 128
    .name:           _ZN7rocprim17ROCPRIM_400000_NS6detail17trampoline_kernelINS0_14default_configENS1_38merge_sort_block_merge_config_selectorIaNS0_10empty_typeEEEZZNS1_27merge_sort_block_merge_implIS3_PaPS5_jNS1_19radix_merge_compareILb1ELb1EaNS0_19identity_decomposerEEEEE10hipError_tT0_T1_T2_jT3_P12ihipStream_tbPNSt15iterator_traitsISE_E10value_typeEPNSK_ISF_E10value_typeEPSG_NS1_7vsmem_tEENKUlT_SE_SF_SG_E_clIS8_S8_S9_S9_EESD_ST_SE_SF_SG_EUlST_E_NS1_11comp_targetILNS1_3genE9ELNS1_11target_archE1100ELNS1_3gpuE3ELNS1_3repE0EEENS1_48merge_mergepath_partition_config_static_selectorELNS0_4arch9wavefront6targetE0EEEvSF_
    .private_segment_fixed_size: 0
    .sgpr_count:     0
    .sgpr_spill_count: 0
    .symbol:         _ZN7rocprim17ROCPRIM_400000_NS6detail17trampoline_kernelINS0_14default_configENS1_38merge_sort_block_merge_config_selectorIaNS0_10empty_typeEEEZZNS1_27merge_sort_block_merge_implIS3_PaPS5_jNS1_19radix_merge_compareILb1ELb1EaNS0_19identity_decomposerEEEEE10hipError_tT0_T1_T2_jT3_P12ihipStream_tbPNSt15iterator_traitsISE_E10value_typeEPNSK_ISF_E10value_typeEPSG_NS1_7vsmem_tEENKUlT_SE_SF_SG_E_clIS8_S8_S9_S9_EESD_ST_SE_SF_SG_EUlST_E_NS1_11comp_targetILNS1_3genE9ELNS1_11target_archE1100ELNS1_3gpuE3ELNS1_3repE0EEENS1_48merge_mergepath_partition_config_static_selectorELNS0_4arch9wavefront6targetE0EEEvSF_.kd
    .uniform_work_group_size: 1
    .uses_dynamic_stack: false
    .vgpr_count:     0
    .vgpr_spill_count: 0
    .wavefront_size: 32
  - .args:
      - .offset:         0
        .size:           40
        .value_kind:     by_value
    .group_segment_fixed_size: 0
    .kernarg_segment_align: 8
    .kernarg_segment_size: 40
    .language:       OpenCL C
    .language_version:
      - 2
      - 0
    .max_flat_workgroup_size: 128
    .name:           _ZN7rocprim17ROCPRIM_400000_NS6detail17trampoline_kernelINS0_14default_configENS1_38merge_sort_block_merge_config_selectorIaNS0_10empty_typeEEEZZNS1_27merge_sort_block_merge_implIS3_PaPS5_jNS1_19radix_merge_compareILb1ELb1EaNS0_19identity_decomposerEEEEE10hipError_tT0_T1_T2_jT3_P12ihipStream_tbPNSt15iterator_traitsISE_E10value_typeEPNSK_ISF_E10value_typeEPSG_NS1_7vsmem_tEENKUlT_SE_SF_SG_E_clIS8_S8_S9_S9_EESD_ST_SE_SF_SG_EUlST_E_NS1_11comp_targetILNS1_3genE8ELNS1_11target_archE1030ELNS1_3gpuE2ELNS1_3repE0EEENS1_48merge_mergepath_partition_config_static_selectorELNS0_4arch9wavefront6targetE0EEEvSF_
    .private_segment_fixed_size: 0
    .sgpr_count:     0
    .sgpr_spill_count: 0
    .symbol:         _ZN7rocprim17ROCPRIM_400000_NS6detail17trampoline_kernelINS0_14default_configENS1_38merge_sort_block_merge_config_selectorIaNS0_10empty_typeEEEZZNS1_27merge_sort_block_merge_implIS3_PaPS5_jNS1_19radix_merge_compareILb1ELb1EaNS0_19identity_decomposerEEEEE10hipError_tT0_T1_T2_jT3_P12ihipStream_tbPNSt15iterator_traitsISE_E10value_typeEPNSK_ISF_E10value_typeEPSG_NS1_7vsmem_tEENKUlT_SE_SF_SG_E_clIS8_S8_S9_S9_EESD_ST_SE_SF_SG_EUlST_E_NS1_11comp_targetILNS1_3genE8ELNS1_11target_archE1030ELNS1_3gpuE2ELNS1_3repE0EEENS1_48merge_mergepath_partition_config_static_selectorELNS0_4arch9wavefront6targetE0EEEvSF_.kd
    .uniform_work_group_size: 1
    .uses_dynamic_stack: false
    .vgpr_count:     0
    .vgpr_spill_count: 0
    .wavefront_size: 32
  - .args:
      - .offset:         0
        .size:           64
        .value_kind:     by_value
      - .offset:         64
        .size:           4
        .value_kind:     hidden_block_count_x
      - .offset:         68
        .size:           4
        .value_kind:     hidden_block_count_y
      - .offset:         72
        .size:           4
        .value_kind:     hidden_block_count_z
      - .offset:         76
        .size:           2
        .value_kind:     hidden_group_size_x
      - .offset:         78
        .size:           2
        .value_kind:     hidden_group_size_y
      - .offset:         80
        .size:           2
        .value_kind:     hidden_group_size_z
      - .offset:         82
        .size:           2
        .value_kind:     hidden_remainder_x
      - .offset:         84
        .size:           2
        .value_kind:     hidden_remainder_y
      - .offset:         86
        .size:           2
        .value_kind:     hidden_remainder_z
      - .offset:         104
        .size:           8
        .value_kind:     hidden_global_offset_x
      - .offset:         112
        .size:           8
        .value_kind:     hidden_global_offset_y
      - .offset:         120
        .size:           8
        .value_kind:     hidden_global_offset_z
      - .offset:         128
        .size:           2
        .value_kind:     hidden_grid_dims
    .group_segment_fixed_size: 1056
    .kernarg_segment_align: 8
    .kernarg_segment_size: 320
    .language:       OpenCL C
    .language_version:
      - 2
      - 0
    .max_flat_workgroup_size: 128
    .name:           _ZN7rocprim17ROCPRIM_400000_NS6detail17trampoline_kernelINS0_14default_configENS1_38merge_sort_block_merge_config_selectorIaNS0_10empty_typeEEEZZNS1_27merge_sort_block_merge_implIS3_PaPS5_jNS1_19radix_merge_compareILb1ELb1EaNS0_19identity_decomposerEEEEE10hipError_tT0_T1_T2_jT3_P12ihipStream_tbPNSt15iterator_traitsISE_E10value_typeEPNSK_ISF_E10value_typeEPSG_NS1_7vsmem_tEENKUlT_SE_SF_SG_E_clIS8_S8_S9_S9_EESD_ST_SE_SF_SG_EUlST_E0_NS1_11comp_targetILNS1_3genE0ELNS1_11target_archE4294967295ELNS1_3gpuE0ELNS1_3repE0EEENS1_38merge_mergepath_config_static_selectorELNS0_4arch9wavefront6targetE0EEEvSF_
    .private_segment_fixed_size: 0
    .sgpr_count:     24
    .sgpr_spill_count: 0
    .symbol:         _ZN7rocprim17ROCPRIM_400000_NS6detail17trampoline_kernelINS0_14default_configENS1_38merge_sort_block_merge_config_selectorIaNS0_10empty_typeEEEZZNS1_27merge_sort_block_merge_implIS3_PaPS5_jNS1_19radix_merge_compareILb1ELb1EaNS0_19identity_decomposerEEEEE10hipError_tT0_T1_T2_jT3_P12ihipStream_tbPNSt15iterator_traitsISE_E10value_typeEPNSK_ISF_E10value_typeEPSG_NS1_7vsmem_tEENKUlT_SE_SF_SG_E_clIS8_S8_S9_S9_EESD_ST_SE_SF_SG_EUlST_E0_NS1_11comp_targetILNS1_3genE0ELNS1_11target_archE4294967295ELNS1_3gpuE0ELNS1_3repE0EEENS1_38merge_mergepath_config_static_selectorELNS0_4arch9wavefront6targetE0EEEvSF_.kd
    .uniform_work_group_size: 1
    .uses_dynamic_stack: false
    .vgpr_count:     34
    .vgpr_spill_count: 0
    .wavefront_size: 32
  - .args:
      - .offset:         0
        .size:           64
        .value_kind:     by_value
    .group_segment_fixed_size: 0
    .kernarg_segment_align: 8
    .kernarg_segment_size: 64
    .language:       OpenCL C
    .language_version:
      - 2
      - 0
    .max_flat_workgroup_size: 128
    .name:           _ZN7rocprim17ROCPRIM_400000_NS6detail17trampoline_kernelINS0_14default_configENS1_38merge_sort_block_merge_config_selectorIaNS0_10empty_typeEEEZZNS1_27merge_sort_block_merge_implIS3_PaPS5_jNS1_19radix_merge_compareILb1ELb1EaNS0_19identity_decomposerEEEEE10hipError_tT0_T1_T2_jT3_P12ihipStream_tbPNSt15iterator_traitsISE_E10value_typeEPNSK_ISF_E10value_typeEPSG_NS1_7vsmem_tEENKUlT_SE_SF_SG_E_clIS8_S8_S9_S9_EESD_ST_SE_SF_SG_EUlST_E0_NS1_11comp_targetILNS1_3genE10ELNS1_11target_archE1201ELNS1_3gpuE5ELNS1_3repE0EEENS1_38merge_mergepath_config_static_selectorELNS0_4arch9wavefront6targetE0EEEvSF_
    .private_segment_fixed_size: 0
    .sgpr_count:     0
    .sgpr_spill_count: 0
    .symbol:         _ZN7rocprim17ROCPRIM_400000_NS6detail17trampoline_kernelINS0_14default_configENS1_38merge_sort_block_merge_config_selectorIaNS0_10empty_typeEEEZZNS1_27merge_sort_block_merge_implIS3_PaPS5_jNS1_19radix_merge_compareILb1ELb1EaNS0_19identity_decomposerEEEEE10hipError_tT0_T1_T2_jT3_P12ihipStream_tbPNSt15iterator_traitsISE_E10value_typeEPNSK_ISF_E10value_typeEPSG_NS1_7vsmem_tEENKUlT_SE_SF_SG_E_clIS8_S8_S9_S9_EESD_ST_SE_SF_SG_EUlST_E0_NS1_11comp_targetILNS1_3genE10ELNS1_11target_archE1201ELNS1_3gpuE5ELNS1_3repE0EEENS1_38merge_mergepath_config_static_selectorELNS0_4arch9wavefront6targetE0EEEvSF_.kd
    .uniform_work_group_size: 1
    .uses_dynamic_stack: false
    .vgpr_count:     0
    .vgpr_spill_count: 0
    .wavefront_size: 32
  - .args:
      - .offset:         0
        .size:           64
        .value_kind:     by_value
    .group_segment_fixed_size: 0
    .kernarg_segment_align: 8
    .kernarg_segment_size: 64
    .language:       OpenCL C
    .language_version:
      - 2
      - 0
    .max_flat_workgroup_size: 128
    .name:           _ZN7rocprim17ROCPRIM_400000_NS6detail17trampoline_kernelINS0_14default_configENS1_38merge_sort_block_merge_config_selectorIaNS0_10empty_typeEEEZZNS1_27merge_sort_block_merge_implIS3_PaPS5_jNS1_19radix_merge_compareILb1ELb1EaNS0_19identity_decomposerEEEEE10hipError_tT0_T1_T2_jT3_P12ihipStream_tbPNSt15iterator_traitsISE_E10value_typeEPNSK_ISF_E10value_typeEPSG_NS1_7vsmem_tEENKUlT_SE_SF_SG_E_clIS8_S8_S9_S9_EESD_ST_SE_SF_SG_EUlST_E0_NS1_11comp_targetILNS1_3genE5ELNS1_11target_archE942ELNS1_3gpuE9ELNS1_3repE0EEENS1_38merge_mergepath_config_static_selectorELNS0_4arch9wavefront6targetE0EEEvSF_
    .private_segment_fixed_size: 0
    .sgpr_count:     0
    .sgpr_spill_count: 0
    .symbol:         _ZN7rocprim17ROCPRIM_400000_NS6detail17trampoline_kernelINS0_14default_configENS1_38merge_sort_block_merge_config_selectorIaNS0_10empty_typeEEEZZNS1_27merge_sort_block_merge_implIS3_PaPS5_jNS1_19radix_merge_compareILb1ELb1EaNS0_19identity_decomposerEEEEE10hipError_tT0_T1_T2_jT3_P12ihipStream_tbPNSt15iterator_traitsISE_E10value_typeEPNSK_ISF_E10value_typeEPSG_NS1_7vsmem_tEENKUlT_SE_SF_SG_E_clIS8_S8_S9_S9_EESD_ST_SE_SF_SG_EUlST_E0_NS1_11comp_targetILNS1_3genE5ELNS1_11target_archE942ELNS1_3gpuE9ELNS1_3repE0EEENS1_38merge_mergepath_config_static_selectorELNS0_4arch9wavefront6targetE0EEEvSF_.kd
    .uniform_work_group_size: 1
    .uses_dynamic_stack: false
    .vgpr_count:     0
    .vgpr_spill_count: 0
    .wavefront_size: 32
  - .args:
      - .offset:         0
        .size:           64
        .value_kind:     by_value
    .group_segment_fixed_size: 0
    .kernarg_segment_align: 8
    .kernarg_segment_size: 64
    .language:       OpenCL C
    .language_version:
      - 2
      - 0
    .max_flat_workgroup_size: 128
    .name:           _ZN7rocprim17ROCPRIM_400000_NS6detail17trampoline_kernelINS0_14default_configENS1_38merge_sort_block_merge_config_selectorIaNS0_10empty_typeEEEZZNS1_27merge_sort_block_merge_implIS3_PaPS5_jNS1_19radix_merge_compareILb1ELb1EaNS0_19identity_decomposerEEEEE10hipError_tT0_T1_T2_jT3_P12ihipStream_tbPNSt15iterator_traitsISE_E10value_typeEPNSK_ISF_E10value_typeEPSG_NS1_7vsmem_tEENKUlT_SE_SF_SG_E_clIS8_S8_S9_S9_EESD_ST_SE_SF_SG_EUlST_E0_NS1_11comp_targetILNS1_3genE4ELNS1_11target_archE910ELNS1_3gpuE8ELNS1_3repE0EEENS1_38merge_mergepath_config_static_selectorELNS0_4arch9wavefront6targetE0EEEvSF_
    .private_segment_fixed_size: 0
    .sgpr_count:     0
    .sgpr_spill_count: 0
    .symbol:         _ZN7rocprim17ROCPRIM_400000_NS6detail17trampoline_kernelINS0_14default_configENS1_38merge_sort_block_merge_config_selectorIaNS0_10empty_typeEEEZZNS1_27merge_sort_block_merge_implIS3_PaPS5_jNS1_19radix_merge_compareILb1ELb1EaNS0_19identity_decomposerEEEEE10hipError_tT0_T1_T2_jT3_P12ihipStream_tbPNSt15iterator_traitsISE_E10value_typeEPNSK_ISF_E10value_typeEPSG_NS1_7vsmem_tEENKUlT_SE_SF_SG_E_clIS8_S8_S9_S9_EESD_ST_SE_SF_SG_EUlST_E0_NS1_11comp_targetILNS1_3genE4ELNS1_11target_archE910ELNS1_3gpuE8ELNS1_3repE0EEENS1_38merge_mergepath_config_static_selectorELNS0_4arch9wavefront6targetE0EEEvSF_.kd
    .uniform_work_group_size: 1
    .uses_dynamic_stack: false
    .vgpr_count:     0
    .vgpr_spill_count: 0
    .wavefront_size: 32
  - .args:
      - .offset:         0
        .size:           64
        .value_kind:     by_value
    .group_segment_fixed_size: 0
    .kernarg_segment_align: 8
    .kernarg_segment_size: 64
    .language:       OpenCL C
    .language_version:
      - 2
      - 0
    .max_flat_workgroup_size: 128
    .name:           _ZN7rocprim17ROCPRIM_400000_NS6detail17trampoline_kernelINS0_14default_configENS1_38merge_sort_block_merge_config_selectorIaNS0_10empty_typeEEEZZNS1_27merge_sort_block_merge_implIS3_PaPS5_jNS1_19radix_merge_compareILb1ELb1EaNS0_19identity_decomposerEEEEE10hipError_tT0_T1_T2_jT3_P12ihipStream_tbPNSt15iterator_traitsISE_E10value_typeEPNSK_ISF_E10value_typeEPSG_NS1_7vsmem_tEENKUlT_SE_SF_SG_E_clIS8_S8_S9_S9_EESD_ST_SE_SF_SG_EUlST_E0_NS1_11comp_targetILNS1_3genE3ELNS1_11target_archE908ELNS1_3gpuE7ELNS1_3repE0EEENS1_38merge_mergepath_config_static_selectorELNS0_4arch9wavefront6targetE0EEEvSF_
    .private_segment_fixed_size: 0
    .sgpr_count:     0
    .sgpr_spill_count: 0
    .symbol:         _ZN7rocprim17ROCPRIM_400000_NS6detail17trampoline_kernelINS0_14default_configENS1_38merge_sort_block_merge_config_selectorIaNS0_10empty_typeEEEZZNS1_27merge_sort_block_merge_implIS3_PaPS5_jNS1_19radix_merge_compareILb1ELb1EaNS0_19identity_decomposerEEEEE10hipError_tT0_T1_T2_jT3_P12ihipStream_tbPNSt15iterator_traitsISE_E10value_typeEPNSK_ISF_E10value_typeEPSG_NS1_7vsmem_tEENKUlT_SE_SF_SG_E_clIS8_S8_S9_S9_EESD_ST_SE_SF_SG_EUlST_E0_NS1_11comp_targetILNS1_3genE3ELNS1_11target_archE908ELNS1_3gpuE7ELNS1_3repE0EEENS1_38merge_mergepath_config_static_selectorELNS0_4arch9wavefront6targetE0EEEvSF_.kd
    .uniform_work_group_size: 1
    .uses_dynamic_stack: false
    .vgpr_count:     0
    .vgpr_spill_count: 0
    .wavefront_size: 32
  - .args:
      - .offset:         0
        .size:           64
        .value_kind:     by_value
    .group_segment_fixed_size: 0
    .kernarg_segment_align: 8
    .kernarg_segment_size: 64
    .language:       OpenCL C
    .language_version:
      - 2
      - 0
    .max_flat_workgroup_size: 128
    .name:           _ZN7rocprim17ROCPRIM_400000_NS6detail17trampoline_kernelINS0_14default_configENS1_38merge_sort_block_merge_config_selectorIaNS0_10empty_typeEEEZZNS1_27merge_sort_block_merge_implIS3_PaPS5_jNS1_19radix_merge_compareILb1ELb1EaNS0_19identity_decomposerEEEEE10hipError_tT0_T1_T2_jT3_P12ihipStream_tbPNSt15iterator_traitsISE_E10value_typeEPNSK_ISF_E10value_typeEPSG_NS1_7vsmem_tEENKUlT_SE_SF_SG_E_clIS8_S8_S9_S9_EESD_ST_SE_SF_SG_EUlST_E0_NS1_11comp_targetILNS1_3genE2ELNS1_11target_archE906ELNS1_3gpuE6ELNS1_3repE0EEENS1_38merge_mergepath_config_static_selectorELNS0_4arch9wavefront6targetE0EEEvSF_
    .private_segment_fixed_size: 0
    .sgpr_count:     0
    .sgpr_spill_count: 0
    .symbol:         _ZN7rocprim17ROCPRIM_400000_NS6detail17trampoline_kernelINS0_14default_configENS1_38merge_sort_block_merge_config_selectorIaNS0_10empty_typeEEEZZNS1_27merge_sort_block_merge_implIS3_PaPS5_jNS1_19radix_merge_compareILb1ELb1EaNS0_19identity_decomposerEEEEE10hipError_tT0_T1_T2_jT3_P12ihipStream_tbPNSt15iterator_traitsISE_E10value_typeEPNSK_ISF_E10value_typeEPSG_NS1_7vsmem_tEENKUlT_SE_SF_SG_E_clIS8_S8_S9_S9_EESD_ST_SE_SF_SG_EUlST_E0_NS1_11comp_targetILNS1_3genE2ELNS1_11target_archE906ELNS1_3gpuE6ELNS1_3repE0EEENS1_38merge_mergepath_config_static_selectorELNS0_4arch9wavefront6targetE0EEEvSF_.kd
    .uniform_work_group_size: 1
    .uses_dynamic_stack: false
    .vgpr_count:     0
    .vgpr_spill_count: 0
    .wavefront_size: 32
  - .args:
      - .offset:         0
        .size:           64
        .value_kind:     by_value
    .group_segment_fixed_size: 0
    .kernarg_segment_align: 8
    .kernarg_segment_size: 64
    .language:       OpenCL C
    .language_version:
      - 2
      - 0
    .max_flat_workgroup_size: 128
    .name:           _ZN7rocprim17ROCPRIM_400000_NS6detail17trampoline_kernelINS0_14default_configENS1_38merge_sort_block_merge_config_selectorIaNS0_10empty_typeEEEZZNS1_27merge_sort_block_merge_implIS3_PaPS5_jNS1_19radix_merge_compareILb1ELb1EaNS0_19identity_decomposerEEEEE10hipError_tT0_T1_T2_jT3_P12ihipStream_tbPNSt15iterator_traitsISE_E10value_typeEPNSK_ISF_E10value_typeEPSG_NS1_7vsmem_tEENKUlT_SE_SF_SG_E_clIS8_S8_S9_S9_EESD_ST_SE_SF_SG_EUlST_E0_NS1_11comp_targetILNS1_3genE9ELNS1_11target_archE1100ELNS1_3gpuE3ELNS1_3repE0EEENS1_38merge_mergepath_config_static_selectorELNS0_4arch9wavefront6targetE0EEEvSF_
    .private_segment_fixed_size: 0
    .sgpr_count:     0
    .sgpr_spill_count: 0
    .symbol:         _ZN7rocprim17ROCPRIM_400000_NS6detail17trampoline_kernelINS0_14default_configENS1_38merge_sort_block_merge_config_selectorIaNS0_10empty_typeEEEZZNS1_27merge_sort_block_merge_implIS3_PaPS5_jNS1_19radix_merge_compareILb1ELb1EaNS0_19identity_decomposerEEEEE10hipError_tT0_T1_T2_jT3_P12ihipStream_tbPNSt15iterator_traitsISE_E10value_typeEPNSK_ISF_E10value_typeEPSG_NS1_7vsmem_tEENKUlT_SE_SF_SG_E_clIS8_S8_S9_S9_EESD_ST_SE_SF_SG_EUlST_E0_NS1_11comp_targetILNS1_3genE9ELNS1_11target_archE1100ELNS1_3gpuE3ELNS1_3repE0EEENS1_38merge_mergepath_config_static_selectorELNS0_4arch9wavefront6targetE0EEEvSF_.kd
    .uniform_work_group_size: 1
    .uses_dynamic_stack: false
    .vgpr_count:     0
    .vgpr_spill_count: 0
    .wavefront_size: 32
  - .args:
      - .offset:         0
        .size:           64
        .value_kind:     by_value
    .group_segment_fixed_size: 0
    .kernarg_segment_align: 8
    .kernarg_segment_size: 64
    .language:       OpenCL C
    .language_version:
      - 2
      - 0
    .max_flat_workgroup_size: 128
    .name:           _ZN7rocprim17ROCPRIM_400000_NS6detail17trampoline_kernelINS0_14default_configENS1_38merge_sort_block_merge_config_selectorIaNS0_10empty_typeEEEZZNS1_27merge_sort_block_merge_implIS3_PaPS5_jNS1_19radix_merge_compareILb1ELb1EaNS0_19identity_decomposerEEEEE10hipError_tT0_T1_T2_jT3_P12ihipStream_tbPNSt15iterator_traitsISE_E10value_typeEPNSK_ISF_E10value_typeEPSG_NS1_7vsmem_tEENKUlT_SE_SF_SG_E_clIS8_S8_S9_S9_EESD_ST_SE_SF_SG_EUlST_E0_NS1_11comp_targetILNS1_3genE8ELNS1_11target_archE1030ELNS1_3gpuE2ELNS1_3repE0EEENS1_38merge_mergepath_config_static_selectorELNS0_4arch9wavefront6targetE0EEEvSF_
    .private_segment_fixed_size: 0
    .sgpr_count:     0
    .sgpr_spill_count: 0
    .symbol:         _ZN7rocprim17ROCPRIM_400000_NS6detail17trampoline_kernelINS0_14default_configENS1_38merge_sort_block_merge_config_selectorIaNS0_10empty_typeEEEZZNS1_27merge_sort_block_merge_implIS3_PaPS5_jNS1_19radix_merge_compareILb1ELb1EaNS0_19identity_decomposerEEEEE10hipError_tT0_T1_T2_jT3_P12ihipStream_tbPNSt15iterator_traitsISE_E10value_typeEPNSK_ISF_E10value_typeEPSG_NS1_7vsmem_tEENKUlT_SE_SF_SG_E_clIS8_S8_S9_S9_EESD_ST_SE_SF_SG_EUlST_E0_NS1_11comp_targetILNS1_3genE8ELNS1_11target_archE1030ELNS1_3gpuE2ELNS1_3repE0EEENS1_38merge_mergepath_config_static_selectorELNS0_4arch9wavefront6targetE0EEEvSF_.kd
    .uniform_work_group_size: 1
    .uses_dynamic_stack: false
    .vgpr_count:     0
    .vgpr_spill_count: 0
    .wavefront_size: 32
  - .args:
      - .offset:         0
        .size:           48
        .value_kind:     by_value
    .group_segment_fixed_size: 0
    .kernarg_segment_align: 8
    .kernarg_segment_size: 48
    .language:       OpenCL C
    .language_version:
      - 2
      - 0
    .max_flat_workgroup_size: 256
    .name:           _ZN7rocprim17ROCPRIM_400000_NS6detail17trampoline_kernelINS0_14default_configENS1_38merge_sort_block_merge_config_selectorIaNS0_10empty_typeEEEZZNS1_27merge_sort_block_merge_implIS3_PaPS5_jNS1_19radix_merge_compareILb1ELb1EaNS0_19identity_decomposerEEEEE10hipError_tT0_T1_T2_jT3_P12ihipStream_tbPNSt15iterator_traitsISE_E10value_typeEPNSK_ISF_E10value_typeEPSG_NS1_7vsmem_tEENKUlT_SE_SF_SG_E_clIS8_S8_S9_S9_EESD_ST_SE_SF_SG_EUlST_E1_NS1_11comp_targetILNS1_3genE0ELNS1_11target_archE4294967295ELNS1_3gpuE0ELNS1_3repE0EEENS1_36merge_oddeven_config_static_selectorELNS0_4arch9wavefront6targetE0EEEvSF_
    .private_segment_fixed_size: 0
    .sgpr_count:     20
    .sgpr_spill_count: 0
    .symbol:         _ZN7rocprim17ROCPRIM_400000_NS6detail17trampoline_kernelINS0_14default_configENS1_38merge_sort_block_merge_config_selectorIaNS0_10empty_typeEEEZZNS1_27merge_sort_block_merge_implIS3_PaPS5_jNS1_19radix_merge_compareILb1ELb1EaNS0_19identity_decomposerEEEEE10hipError_tT0_T1_T2_jT3_P12ihipStream_tbPNSt15iterator_traitsISE_E10value_typeEPNSK_ISF_E10value_typeEPSG_NS1_7vsmem_tEENKUlT_SE_SF_SG_E_clIS8_S8_S9_S9_EESD_ST_SE_SF_SG_EUlST_E1_NS1_11comp_targetILNS1_3genE0ELNS1_11target_archE4294967295ELNS1_3gpuE0ELNS1_3repE0EEENS1_36merge_oddeven_config_static_selectorELNS0_4arch9wavefront6targetE0EEEvSF_.kd
    .uniform_work_group_size: 1
    .uses_dynamic_stack: false
    .vgpr_count:     8
    .vgpr_spill_count: 0
    .wavefront_size: 32
  - .args:
      - .offset:         0
        .size:           48
        .value_kind:     by_value
    .group_segment_fixed_size: 0
    .kernarg_segment_align: 8
    .kernarg_segment_size: 48
    .language:       OpenCL C
    .language_version:
      - 2
      - 0
    .max_flat_workgroup_size: 256
    .name:           _ZN7rocprim17ROCPRIM_400000_NS6detail17trampoline_kernelINS0_14default_configENS1_38merge_sort_block_merge_config_selectorIaNS0_10empty_typeEEEZZNS1_27merge_sort_block_merge_implIS3_PaPS5_jNS1_19radix_merge_compareILb1ELb1EaNS0_19identity_decomposerEEEEE10hipError_tT0_T1_T2_jT3_P12ihipStream_tbPNSt15iterator_traitsISE_E10value_typeEPNSK_ISF_E10value_typeEPSG_NS1_7vsmem_tEENKUlT_SE_SF_SG_E_clIS8_S8_S9_S9_EESD_ST_SE_SF_SG_EUlST_E1_NS1_11comp_targetILNS1_3genE10ELNS1_11target_archE1201ELNS1_3gpuE5ELNS1_3repE0EEENS1_36merge_oddeven_config_static_selectorELNS0_4arch9wavefront6targetE0EEEvSF_
    .private_segment_fixed_size: 0
    .sgpr_count:     0
    .sgpr_spill_count: 0
    .symbol:         _ZN7rocprim17ROCPRIM_400000_NS6detail17trampoline_kernelINS0_14default_configENS1_38merge_sort_block_merge_config_selectorIaNS0_10empty_typeEEEZZNS1_27merge_sort_block_merge_implIS3_PaPS5_jNS1_19radix_merge_compareILb1ELb1EaNS0_19identity_decomposerEEEEE10hipError_tT0_T1_T2_jT3_P12ihipStream_tbPNSt15iterator_traitsISE_E10value_typeEPNSK_ISF_E10value_typeEPSG_NS1_7vsmem_tEENKUlT_SE_SF_SG_E_clIS8_S8_S9_S9_EESD_ST_SE_SF_SG_EUlST_E1_NS1_11comp_targetILNS1_3genE10ELNS1_11target_archE1201ELNS1_3gpuE5ELNS1_3repE0EEENS1_36merge_oddeven_config_static_selectorELNS0_4arch9wavefront6targetE0EEEvSF_.kd
    .uniform_work_group_size: 1
    .uses_dynamic_stack: false
    .vgpr_count:     0
    .vgpr_spill_count: 0
    .wavefront_size: 32
  - .args:
      - .offset:         0
        .size:           48
        .value_kind:     by_value
    .group_segment_fixed_size: 0
    .kernarg_segment_align: 8
    .kernarg_segment_size: 48
    .language:       OpenCL C
    .language_version:
      - 2
      - 0
    .max_flat_workgroup_size: 256
    .name:           _ZN7rocprim17ROCPRIM_400000_NS6detail17trampoline_kernelINS0_14default_configENS1_38merge_sort_block_merge_config_selectorIaNS0_10empty_typeEEEZZNS1_27merge_sort_block_merge_implIS3_PaPS5_jNS1_19radix_merge_compareILb1ELb1EaNS0_19identity_decomposerEEEEE10hipError_tT0_T1_T2_jT3_P12ihipStream_tbPNSt15iterator_traitsISE_E10value_typeEPNSK_ISF_E10value_typeEPSG_NS1_7vsmem_tEENKUlT_SE_SF_SG_E_clIS8_S8_S9_S9_EESD_ST_SE_SF_SG_EUlST_E1_NS1_11comp_targetILNS1_3genE5ELNS1_11target_archE942ELNS1_3gpuE9ELNS1_3repE0EEENS1_36merge_oddeven_config_static_selectorELNS0_4arch9wavefront6targetE0EEEvSF_
    .private_segment_fixed_size: 0
    .sgpr_count:     0
    .sgpr_spill_count: 0
    .symbol:         _ZN7rocprim17ROCPRIM_400000_NS6detail17trampoline_kernelINS0_14default_configENS1_38merge_sort_block_merge_config_selectorIaNS0_10empty_typeEEEZZNS1_27merge_sort_block_merge_implIS3_PaPS5_jNS1_19radix_merge_compareILb1ELb1EaNS0_19identity_decomposerEEEEE10hipError_tT0_T1_T2_jT3_P12ihipStream_tbPNSt15iterator_traitsISE_E10value_typeEPNSK_ISF_E10value_typeEPSG_NS1_7vsmem_tEENKUlT_SE_SF_SG_E_clIS8_S8_S9_S9_EESD_ST_SE_SF_SG_EUlST_E1_NS1_11comp_targetILNS1_3genE5ELNS1_11target_archE942ELNS1_3gpuE9ELNS1_3repE0EEENS1_36merge_oddeven_config_static_selectorELNS0_4arch9wavefront6targetE0EEEvSF_.kd
    .uniform_work_group_size: 1
    .uses_dynamic_stack: false
    .vgpr_count:     0
    .vgpr_spill_count: 0
    .wavefront_size: 32
  - .args:
      - .offset:         0
        .size:           48
        .value_kind:     by_value
    .group_segment_fixed_size: 0
    .kernarg_segment_align: 8
    .kernarg_segment_size: 48
    .language:       OpenCL C
    .language_version:
      - 2
      - 0
    .max_flat_workgroup_size: 256
    .name:           _ZN7rocprim17ROCPRIM_400000_NS6detail17trampoline_kernelINS0_14default_configENS1_38merge_sort_block_merge_config_selectorIaNS0_10empty_typeEEEZZNS1_27merge_sort_block_merge_implIS3_PaPS5_jNS1_19radix_merge_compareILb1ELb1EaNS0_19identity_decomposerEEEEE10hipError_tT0_T1_T2_jT3_P12ihipStream_tbPNSt15iterator_traitsISE_E10value_typeEPNSK_ISF_E10value_typeEPSG_NS1_7vsmem_tEENKUlT_SE_SF_SG_E_clIS8_S8_S9_S9_EESD_ST_SE_SF_SG_EUlST_E1_NS1_11comp_targetILNS1_3genE4ELNS1_11target_archE910ELNS1_3gpuE8ELNS1_3repE0EEENS1_36merge_oddeven_config_static_selectorELNS0_4arch9wavefront6targetE0EEEvSF_
    .private_segment_fixed_size: 0
    .sgpr_count:     0
    .sgpr_spill_count: 0
    .symbol:         _ZN7rocprim17ROCPRIM_400000_NS6detail17trampoline_kernelINS0_14default_configENS1_38merge_sort_block_merge_config_selectorIaNS0_10empty_typeEEEZZNS1_27merge_sort_block_merge_implIS3_PaPS5_jNS1_19radix_merge_compareILb1ELb1EaNS0_19identity_decomposerEEEEE10hipError_tT0_T1_T2_jT3_P12ihipStream_tbPNSt15iterator_traitsISE_E10value_typeEPNSK_ISF_E10value_typeEPSG_NS1_7vsmem_tEENKUlT_SE_SF_SG_E_clIS8_S8_S9_S9_EESD_ST_SE_SF_SG_EUlST_E1_NS1_11comp_targetILNS1_3genE4ELNS1_11target_archE910ELNS1_3gpuE8ELNS1_3repE0EEENS1_36merge_oddeven_config_static_selectorELNS0_4arch9wavefront6targetE0EEEvSF_.kd
    .uniform_work_group_size: 1
    .uses_dynamic_stack: false
    .vgpr_count:     0
    .vgpr_spill_count: 0
    .wavefront_size: 32
  - .args:
      - .offset:         0
        .size:           48
        .value_kind:     by_value
    .group_segment_fixed_size: 0
    .kernarg_segment_align: 8
    .kernarg_segment_size: 48
    .language:       OpenCL C
    .language_version:
      - 2
      - 0
    .max_flat_workgroup_size: 256
    .name:           _ZN7rocprim17ROCPRIM_400000_NS6detail17trampoline_kernelINS0_14default_configENS1_38merge_sort_block_merge_config_selectorIaNS0_10empty_typeEEEZZNS1_27merge_sort_block_merge_implIS3_PaPS5_jNS1_19radix_merge_compareILb1ELb1EaNS0_19identity_decomposerEEEEE10hipError_tT0_T1_T2_jT3_P12ihipStream_tbPNSt15iterator_traitsISE_E10value_typeEPNSK_ISF_E10value_typeEPSG_NS1_7vsmem_tEENKUlT_SE_SF_SG_E_clIS8_S8_S9_S9_EESD_ST_SE_SF_SG_EUlST_E1_NS1_11comp_targetILNS1_3genE3ELNS1_11target_archE908ELNS1_3gpuE7ELNS1_3repE0EEENS1_36merge_oddeven_config_static_selectorELNS0_4arch9wavefront6targetE0EEEvSF_
    .private_segment_fixed_size: 0
    .sgpr_count:     0
    .sgpr_spill_count: 0
    .symbol:         _ZN7rocprim17ROCPRIM_400000_NS6detail17trampoline_kernelINS0_14default_configENS1_38merge_sort_block_merge_config_selectorIaNS0_10empty_typeEEEZZNS1_27merge_sort_block_merge_implIS3_PaPS5_jNS1_19radix_merge_compareILb1ELb1EaNS0_19identity_decomposerEEEEE10hipError_tT0_T1_T2_jT3_P12ihipStream_tbPNSt15iterator_traitsISE_E10value_typeEPNSK_ISF_E10value_typeEPSG_NS1_7vsmem_tEENKUlT_SE_SF_SG_E_clIS8_S8_S9_S9_EESD_ST_SE_SF_SG_EUlST_E1_NS1_11comp_targetILNS1_3genE3ELNS1_11target_archE908ELNS1_3gpuE7ELNS1_3repE0EEENS1_36merge_oddeven_config_static_selectorELNS0_4arch9wavefront6targetE0EEEvSF_.kd
    .uniform_work_group_size: 1
    .uses_dynamic_stack: false
    .vgpr_count:     0
    .vgpr_spill_count: 0
    .wavefront_size: 32
  - .args:
      - .offset:         0
        .size:           48
        .value_kind:     by_value
    .group_segment_fixed_size: 0
    .kernarg_segment_align: 8
    .kernarg_segment_size: 48
    .language:       OpenCL C
    .language_version:
      - 2
      - 0
    .max_flat_workgroup_size: 256
    .name:           _ZN7rocprim17ROCPRIM_400000_NS6detail17trampoline_kernelINS0_14default_configENS1_38merge_sort_block_merge_config_selectorIaNS0_10empty_typeEEEZZNS1_27merge_sort_block_merge_implIS3_PaPS5_jNS1_19radix_merge_compareILb1ELb1EaNS0_19identity_decomposerEEEEE10hipError_tT0_T1_T2_jT3_P12ihipStream_tbPNSt15iterator_traitsISE_E10value_typeEPNSK_ISF_E10value_typeEPSG_NS1_7vsmem_tEENKUlT_SE_SF_SG_E_clIS8_S8_S9_S9_EESD_ST_SE_SF_SG_EUlST_E1_NS1_11comp_targetILNS1_3genE2ELNS1_11target_archE906ELNS1_3gpuE6ELNS1_3repE0EEENS1_36merge_oddeven_config_static_selectorELNS0_4arch9wavefront6targetE0EEEvSF_
    .private_segment_fixed_size: 0
    .sgpr_count:     0
    .sgpr_spill_count: 0
    .symbol:         _ZN7rocprim17ROCPRIM_400000_NS6detail17trampoline_kernelINS0_14default_configENS1_38merge_sort_block_merge_config_selectorIaNS0_10empty_typeEEEZZNS1_27merge_sort_block_merge_implIS3_PaPS5_jNS1_19radix_merge_compareILb1ELb1EaNS0_19identity_decomposerEEEEE10hipError_tT0_T1_T2_jT3_P12ihipStream_tbPNSt15iterator_traitsISE_E10value_typeEPNSK_ISF_E10value_typeEPSG_NS1_7vsmem_tEENKUlT_SE_SF_SG_E_clIS8_S8_S9_S9_EESD_ST_SE_SF_SG_EUlST_E1_NS1_11comp_targetILNS1_3genE2ELNS1_11target_archE906ELNS1_3gpuE6ELNS1_3repE0EEENS1_36merge_oddeven_config_static_selectorELNS0_4arch9wavefront6targetE0EEEvSF_.kd
    .uniform_work_group_size: 1
    .uses_dynamic_stack: false
    .vgpr_count:     0
    .vgpr_spill_count: 0
    .wavefront_size: 32
  - .args:
      - .offset:         0
        .size:           48
        .value_kind:     by_value
    .group_segment_fixed_size: 0
    .kernarg_segment_align: 8
    .kernarg_segment_size: 48
    .language:       OpenCL C
    .language_version:
      - 2
      - 0
    .max_flat_workgroup_size: 256
    .name:           _ZN7rocprim17ROCPRIM_400000_NS6detail17trampoline_kernelINS0_14default_configENS1_38merge_sort_block_merge_config_selectorIaNS0_10empty_typeEEEZZNS1_27merge_sort_block_merge_implIS3_PaPS5_jNS1_19radix_merge_compareILb1ELb1EaNS0_19identity_decomposerEEEEE10hipError_tT0_T1_T2_jT3_P12ihipStream_tbPNSt15iterator_traitsISE_E10value_typeEPNSK_ISF_E10value_typeEPSG_NS1_7vsmem_tEENKUlT_SE_SF_SG_E_clIS8_S8_S9_S9_EESD_ST_SE_SF_SG_EUlST_E1_NS1_11comp_targetILNS1_3genE9ELNS1_11target_archE1100ELNS1_3gpuE3ELNS1_3repE0EEENS1_36merge_oddeven_config_static_selectorELNS0_4arch9wavefront6targetE0EEEvSF_
    .private_segment_fixed_size: 0
    .sgpr_count:     0
    .sgpr_spill_count: 0
    .symbol:         _ZN7rocprim17ROCPRIM_400000_NS6detail17trampoline_kernelINS0_14default_configENS1_38merge_sort_block_merge_config_selectorIaNS0_10empty_typeEEEZZNS1_27merge_sort_block_merge_implIS3_PaPS5_jNS1_19radix_merge_compareILb1ELb1EaNS0_19identity_decomposerEEEEE10hipError_tT0_T1_T2_jT3_P12ihipStream_tbPNSt15iterator_traitsISE_E10value_typeEPNSK_ISF_E10value_typeEPSG_NS1_7vsmem_tEENKUlT_SE_SF_SG_E_clIS8_S8_S9_S9_EESD_ST_SE_SF_SG_EUlST_E1_NS1_11comp_targetILNS1_3genE9ELNS1_11target_archE1100ELNS1_3gpuE3ELNS1_3repE0EEENS1_36merge_oddeven_config_static_selectorELNS0_4arch9wavefront6targetE0EEEvSF_.kd
    .uniform_work_group_size: 1
    .uses_dynamic_stack: false
    .vgpr_count:     0
    .vgpr_spill_count: 0
    .wavefront_size: 32
  - .args:
      - .offset:         0
        .size:           48
        .value_kind:     by_value
    .group_segment_fixed_size: 0
    .kernarg_segment_align: 8
    .kernarg_segment_size: 48
    .language:       OpenCL C
    .language_version:
      - 2
      - 0
    .max_flat_workgroup_size: 256
    .name:           _ZN7rocprim17ROCPRIM_400000_NS6detail17trampoline_kernelINS0_14default_configENS1_38merge_sort_block_merge_config_selectorIaNS0_10empty_typeEEEZZNS1_27merge_sort_block_merge_implIS3_PaPS5_jNS1_19radix_merge_compareILb1ELb1EaNS0_19identity_decomposerEEEEE10hipError_tT0_T1_T2_jT3_P12ihipStream_tbPNSt15iterator_traitsISE_E10value_typeEPNSK_ISF_E10value_typeEPSG_NS1_7vsmem_tEENKUlT_SE_SF_SG_E_clIS8_S8_S9_S9_EESD_ST_SE_SF_SG_EUlST_E1_NS1_11comp_targetILNS1_3genE8ELNS1_11target_archE1030ELNS1_3gpuE2ELNS1_3repE0EEENS1_36merge_oddeven_config_static_selectorELNS0_4arch9wavefront6targetE0EEEvSF_
    .private_segment_fixed_size: 0
    .sgpr_count:     0
    .sgpr_spill_count: 0
    .symbol:         _ZN7rocprim17ROCPRIM_400000_NS6detail17trampoline_kernelINS0_14default_configENS1_38merge_sort_block_merge_config_selectorIaNS0_10empty_typeEEEZZNS1_27merge_sort_block_merge_implIS3_PaPS5_jNS1_19radix_merge_compareILb1ELb1EaNS0_19identity_decomposerEEEEE10hipError_tT0_T1_T2_jT3_P12ihipStream_tbPNSt15iterator_traitsISE_E10value_typeEPNSK_ISF_E10value_typeEPSG_NS1_7vsmem_tEENKUlT_SE_SF_SG_E_clIS8_S8_S9_S9_EESD_ST_SE_SF_SG_EUlST_E1_NS1_11comp_targetILNS1_3genE8ELNS1_11target_archE1030ELNS1_3gpuE2ELNS1_3repE0EEENS1_36merge_oddeven_config_static_selectorELNS0_4arch9wavefront6targetE0EEEvSF_.kd
    .uniform_work_group_size: 1
    .uses_dynamic_stack: false
    .vgpr_count:     0
    .vgpr_spill_count: 0
    .wavefront_size: 32
  - .args:
      - .offset:         0
        .size:           48
        .value_kind:     by_value
    .group_segment_fixed_size: 512
    .kernarg_segment_align: 8
    .kernarg_segment_size: 48
    .language:       OpenCL C
    .language_version:
      - 2
      - 0
    .max_flat_workgroup_size: 1024
    .name:           _ZN7rocprim17ROCPRIM_400000_NS6detail17trampoline_kernelINS0_14default_configENS1_35radix_sort_onesweep_config_selectorIaNS0_10empty_typeEEEZNS1_34radix_sort_onesweep_global_offsetsIS3_Lb1EPKaPS5_mNS0_19identity_decomposerEEE10hipError_tT1_T2_PT3_SF_jT4_jjP12ihipStream_tbEUlT_E_NS1_11comp_targetILNS1_3genE0ELNS1_11target_archE4294967295ELNS1_3gpuE0ELNS1_3repE0EEENS1_52radix_sort_onesweep_histogram_config_static_selectorELNS0_4arch9wavefront6targetE0EEEvSD_
    .private_segment_fixed_size: 0
    .sgpr_count:     15
    .sgpr_spill_count: 0
    .symbol:         _ZN7rocprim17ROCPRIM_400000_NS6detail17trampoline_kernelINS0_14default_configENS1_35radix_sort_onesweep_config_selectorIaNS0_10empty_typeEEEZNS1_34radix_sort_onesweep_global_offsetsIS3_Lb1EPKaPS5_mNS0_19identity_decomposerEEE10hipError_tT1_T2_PT3_SF_jT4_jjP12ihipStream_tbEUlT_E_NS1_11comp_targetILNS1_3genE0ELNS1_11target_archE4294967295ELNS1_3gpuE0ELNS1_3repE0EEENS1_52radix_sort_onesweep_histogram_config_static_selectorELNS0_4arch9wavefront6targetE0EEEvSD_.kd
    .uniform_work_group_size: 1
    .uses_dynamic_stack: false
    .vgpr_count:     47
    .vgpr_spill_count: 0
    .wavefront_size: 32
  - .args:
      - .offset:         0
        .size:           48
        .value_kind:     by_value
    .group_segment_fixed_size: 0
    .kernarg_segment_align: 8
    .kernarg_segment_size: 48
    .language:       OpenCL C
    .language_version:
      - 2
      - 0
    .max_flat_workgroup_size: 1024
    .name:           _ZN7rocprim17ROCPRIM_400000_NS6detail17trampoline_kernelINS0_14default_configENS1_35radix_sort_onesweep_config_selectorIaNS0_10empty_typeEEEZNS1_34radix_sort_onesweep_global_offsetsIS3_Lb1EPKaPS5_mNS0_19identity_decomposerEEE10hipError_tT1_T2_PT3_SF_jT4_jjP12ihipStream_tbEUlT_E_NS1_11comp_targetILNS1_3genE6ELNS1_11target_archE950ELNS1_3gpuE13ELNS1_3repE0EEENS1_52radix_sort_onesweep_histogram_config_static_selectorELNS0_4arch9wavefront6targetE0EEEvSD_
    .private_segment_fixed_size: 0
    .sgpr_count:     0
    .sgpr_spill_count: 0
    .symbol:         _ZN7rocprim17ROCPRIM_400000_NS6detail17trampoline_kernelINS0_14default_configENS1_35radix_sort_onesweep_config_selectorIaNS0_10empty_typeEEEZNS1_34radix_sort_onesweep_global_offsetsIS3_Lb1EPKaPS5_mNS0_19identity_decomposerEEE10hipError_tT1_T2_PT3_SF_jT4_jjP12ihipStream_tbEUlT_E_NS1_11comp_targetILNS1_3genE6ELNS1_11target_archE950ELNS1_3gpuE13ELNS1_3repE0EEENS1_52radix_sort_onesweep_histogram_config_static_selectorELNS0_4arch9wavefront6targetE0EEEvSD_.kd
    .uniform_work_group_size: 1
    .uses_dynamic_stack: false
    .vgpr_count:     0
    .vgpr_spill_count: 0
    .wavefront_size: 32
  - .args:
      - .offset:         0
        .size:           48
        .value_kind:     by_value
    .group_segment_fixed_size: 0
    .kernarg_segment_align: 8
    .kernarg_segment_size: 48
    .language:       OpenCL C
    .language_version:
      - 2
      - 0
    .max_flat_workgroup_size: 1024
    .name:           _ZN7rocprim17ROCPRIM_400000_NS6detail17trampoline_kernelINS0_14default_configENS1_35radix_sort_onesweep_config_selectorIaNS0_10empty_typeEEEZNS1_34radix_sort_onesweep_global_offsetsIS3_Lb1EPKaPS5_mNS0_19identity_decomposerEEE10hipError_tT1_T2_PT3_SF_jT4_jjP12ihipStream_tbEUlT_E_NS1_11comp_targetILNS1_3genE5ELNS1_11target_archE942ELNS1_3gpuE9ELNS1_3repE0EEENS1_52radix_sort_onesweep_histogram_config_static_selectorELNS0_4arch9wavefront6targetE0EEEvSD_
    .private_segment_fixed_size: 0
    .sgpr_count:     0
    .sgpr_spill_count: 0
    .symbol:         _ZN7rocprim17ROCPRIM_400000_NS6detail17trampoline_kernelINS0_14default_configENS1_35radix_sort_onesweep_config_selectorIaNS0_10empty_typeEEEZNS1_34radix_sort_onesweep_global_offsetsIS3_Lb1EPKaPS5_mNS0_19identity_decomposerEEE10hipError_tT1_T2_PT3_SF_jT4_jjP12ihipStream_tbEUlT_E_NS1_11comp_targetILNS1_3genE5ELNS1_11target_archE942ELNS1_3gpuE9ELNS1_3repE0EEENS1_52radix_sort_onesweep_histogram_config_static_selectorELNS0_4arch9wavefront6targetE0EEEvSD_.kd
    .uniform_work_group_size: 1
    .uses_dynamic_stack: false
    .vgpr_count:     0
    .vgpr_spill_count: 0
    .wavefront_size: 32
  - .args:
      - .offset:         0
        .size:           48
        .value_kind:     by_value
    .group_segment_fixed_size: 0
    .kernarg_segment_align: 8
    .kernarg_segment_size: 48
    .language:       OpenCL C
    .language_version:
      - 2
      - 0
    .max_flat_workgroup_size: 512
    .name:           _ZN7rocprim17ROCPRIM_400000_NS6detail17trampoline_kernelINS0_14default_configENS1_35radix_sort_onesweep_config_selectorIaNS0_10empty_typeEEEZNS1_34radix_sort_onesweep_global_offsetsIS3_Lb1EPKaPS5_mNS0_19identity_decomposerEEE10hipError_tT1_T2_PT3_SF_jT4_jjP12ihipStream_tbEUlT_E_NS1_11comp_targetILNS1_3genE2ELNS1_11target_archE906ELNS1_3gpuE6ELNS1_3repE0EEENS1_52radix_sort_onesweep_histogram_config_static_selectorELNS0_4arch9wavefront6targetE0EEEvSD_
    .private_segment_fixed_size: 0
    .sgpr_count:     0
    .sgpr_spill_count: 0
    .symbol:         _ZN7rocprim17ROCPRIM_400000_NS6detail17trampoline_kernelINS0_14default_configENS1_35radix_sort_onesweep_config_selectorIaNS0_10empty_typeEEEZNS1_34radix_sort_onesweep_global_offsetsIS3_Lb1EPKaPS5_mNS0_19identity_decomposerEEE10hipError_tT1_T2_PT3_SF_jT4_jjP12ihipStream_tbEUlT_E_NS1_11comp_targetILNS1_3genE2ELNS1_11target_archE906ELNS1_3gpuE6ELNS1_3repE0EEENS1_52radix_sort_onesweep_histogram_config_static_selectorELNS0_4arch9wavefront6targetE0EEEvSD_.kd
    .uniform_work_group_size: 1
    .uses_dynamic_stack: false
    .vgpr_count:     0
    .vgpr_spill_count: 0
    .wavefront_size: 32
  - .args:
      - .offset:         0
        .size:           48
        .value_kind:     by_value
    .group_segment_fixed_size: 0
    .kernarg_segment_align: 8
    .kernarg_segment_size: 48
    .language:       OpenCL C
    .language_version:
      - 2
      - 0
    .max_flat_workgroup_size: 512
    .name:           _ZN7rocprim17ROCPRIM_400000_NS6detail17trampoline_kernelINS0_14default_configENS1_35radix_sort_onesweep_config_selectorIaNS0_10empty_typeEEEZNS1_34radix_sort_onesweep_global_offsetsIS3_Lb1EPKaPS5_mNS0_19identity_decomposerEEE10hipError_tT1_T2_PT3_SF_jT4_jjP12ihipStream_tbEUlT_E_NS1_11comp_targetILNS1_3genE4ELNS1_11target_archE910ELNS1_3gpuE8ELNS1_3repE0EEENS1_52radix_sort_onesweep_histogram_config_static_selectorELNS0_4arch9wavefront6targetE0EEEvSD_
    .private_segment_fixed_size: 0
    .sgpr_count:     0
    .sgpr_spill_count: 0
    .symbol:         _ZN7rocprim17ROCPRIM_400000_NS6detail17trampoline_kernelINS0_14default_configENS1_35radix_sort_onesweep_config_selectorIaNS0_10empty_typeEEEZNS1_34radix_sort_onesweep_global_offsetsIS3_Lb1EPKaPS5_mNS0_19identity_decomposerEEE10hipError_tT1_T2_PT3_SF_jT4_jjP12ihipStream_tbEUlT_E_NS1_11comp_targetILNS1_3genE4ELNS1_11target_archE910ELNS1_3gpuE8ELNS1_3repE0EEENS1_52radix_sort_onesweep_histogram_config_static_selectorELNS0_4arch9wavefront6targetE0EEEvSD_.kd
    .uniform_work_group_size: 1
    .uses_dynamic_stack: false
    .vgpr_count:     0
    .vgpr_spill_count: 0
    .wavefront_size: 32
  - .args:
      - .offset:         0
        .size:           48
        .value_kind:     by_value
    .group_segment_fixed_size: 0
    .kernarg_segment_align: 8
    .kernarg_segment_size: 48
    .language:       OpenCL C
    .language_version:
      - 2
      - 0
    .max_flat_workgroup_size: 1024
    .name:           _ZN7rocprim17ROCPRIM_400000_NS6detail17trampoline_kernelINS0_14default_configENS1_35radix_sort_onesweep_config_selectorIaNS0_10empty_typeEEEZNS1_34radix_sort_onesweep_global_offsetsIS3_Lb1EPKaPS5_mNS0_19identity_decomposerEEE10hipError_tT1_T2_PT3_SF_jT4_jjP12ihipStream_tbEUlT_E_NS1_11comp_targetILNS1_3genE3ELNS1_11target_archE908ELNS1_3gpuE7ELNS1_3repE0EEENS1_52radix_sort_onesweep_histogram_config_static_selectorELNS0_4arch9wavefront6targetE0EEEvSD_
    .private_segment_fixed_size: 0
    .sgpr_count:     0
    .sgpr_spill_count: 0
    .symbol:         _ZN7rocprim17ROCPRIM_400000_NS6detail17trampoline_kernelINS0_14default_configENS1_35radix_sort_onesweep_config_selectorIaNS0_10empty_typeEEEZNS1_34radix_sort_onesweep_global_offsetsIS3_Lb1EPKaPS5_mNS0_19identity_decomposerEEE10hipError_tT1_T2_PT3_SF_jT4_jjP12ihipStream_tbEUlT_E_NS1_11comp_targetILNS1_3genE3ELNS1_11target_archE908ELNS1_3gpuE7ELNS1_3repE0EEENS1_52radix_sort_onesweep_histogram_config_static_selectorELNS0_4arch9wavefront6targetE0EEEvSD_.kd
    .uniform_work_group_size: 1
    .uses_dynamic_stack: false
    .vgpr_count:     0
    .vgpr_spill_count: 0
    .wavefront_size: 32
  - .args:
      - .offset:         0
        .size:           48
        .value_kind:     by_value
    .group_segment_fixed_size: 0
    .kernarg_segment_align: 8
    .kernarg_segment_size: 48
    .language:       OpenCL C
    .language_version:
      - 2
      - 0
    .max_flat_workgroup_size: 256
    .name:           _ZN7rocprim17ROCPRIM_400000_NS6detail17trampoline_kernelINS0_14default_configENS1_35radix_sort_onesweep_config_selectorIaNS0_10empty_typeEEEZNS1_34radix_sort_onesweep_global_offsetsIS3_Lb1EPKaPS5_mNS0_19identity_decomposerEEE10hipError_tT1_T2_PT3_SF_jT4_jjP12ihipStream_tbEUlT_E_NS1_11comp_targetILNS1_3genE10ELNS1_11target_archE1201ELNS1_3gpuE5ELNS1_3repE0EEENS1_52radix_sort_onesweep_histogram_config_static_selectorELNS0_4arch9wavefront6targetE0EEEvSD_
    .private_segment_fixed_size: 0
    .sgpr_count:     0
    .sgpr_spill_count: 0
    .symbol:         _ZN7rocprim17ROCPRIM_400000_NS6detail17trampoline_kernelINS0_14default_configENS1_35radix_sort_onesweep_config_selectorIaNS0_10empty_typeEEEZNS1_34radix_sort_onesweep_global_offsetsIS3_Lb1EPKaPS5_mNS0_19identity_decomposerEEE10hipError_tT1_T2_PT3_SF_jT4_jjP12ihipStream_tbEUlT_E_NS1_11comp_targetILNS1_3genE10ELNS1_11target_archE1201ELNS1_3gpuE5ELNS1_3repE0EEENS1_52radix_sort_onesweep_histogram_config_static_selectorELNS0_4arch9wavefront6targetE0EEEvSD_.kd
    .uniform_work_group_size: 1
    .uses_dynamic_stack: false
    .vgpr_count:     0
    .vgpr_spill_count: 0
    .wavefront_size: 32
  - .args:
      - .offset:         0
        .size:           48
        .value_kind:     by_value
    .group_segment_fixed_size: 0
    .kernarg_segment_align: 8
    .kernarg_segment_size: 48
    .language:       OpenCL C
    .language_version:
      - 2
      - 0
    .max_flat_workgroup_size: 256
    .name:           _ZN7rocprim17ROCPRIM_400000_NS6detail17trampoline_kernelINS0_14default_configENS1_35radix_sort_onesweep_config_selectorIaNS0_10empty_typeEEEZNS1_34radix_sort_onesweep_global_offsetsIS3_Lb1EPKaPS5_mNS0_19identity_decomposerEEE10hipError_tT1_T2_PT3_SF_jT4_jjP12ihipStream_tbEUlT_E_NS1_11comp_targetILNS1_3genE9ELNS1_11target_archE1100ELNS1_3gpuE3ELNS1_3repE0EEENS1_52radix_sort_onesweep_histogram_config_static_selectorELNS0_4arch9wavefront6targetE0EEEvSD_
    .private_segment_fixed_size: 0
    .sgpr_count:     0
    .sgpr_spill_count: 0
    .symbol:         _ZN7rocprim17ROCPRIM_400000_NS6detail17trampoline_kernelINS0_14default_configENS1_35radix_sort_onesweep_config_selectorIaNS0_10empty_typeEEEZNS1_34radix_sort_onesweep_global_offsetsIS3_Lb1EPKaPS5_mNS0_19identity_decomposerEEE10hipError_tT1_T2_PT3_SF_jT4_jjP12ihipStream_tbEUlT_E_NS1_11comp_targetILNS1_3genE9ELNS1_11target_archE1100ELNS1_3gpuE3ELNS1_3repE0EEENS1_52radix_sort_onesweep_histogram_config_static_selectorELNS0_4arch9wavefront6targetE0EEEvSD_.kd
    .uniform_work_group_size: 1
    .uses_dynamic_stack: false
    .vgpr_count:     0
    .vgpr_spill_count: 0
    .wavefront_size: 32
  - .args:
      - .offset:         0
        .size:           48
        .value_kind:     by_value
    .group_segment_fixed_size: 0
    .kernarg_segment_align: 8
    .kernarg_segment_size: 48
    .language:       OpenCL C
    .language_version:
      - 2
      - 0
    .max_flat_workgroup_size: 256
    .name:           _ZN7rocprim17ROCPRIM_400000_NS6detail17trampoline_kernelINS0_14default_configENS1_35radix_sort_onesweep_config_selectorIaNS0_10empty_typeEEEZNS1_34radix_sort_onesweep_global_offsetsIS3_Lb1EPKaPS5_mNS0_19identity_decomposerEEE10hipError_tT1_T2_PT3_SF_jT4_jjP12ihipStream_tbEUlT_E_NS1_11comp_targetILNS1_3genE8ELNS1_11target_archE1030ELNS1_3gpuE2ELNS1_3repE0EEENS1_52radix_sort_onesweep_histogram_config_static_selectorELNS0_4arch9wavefront6targetE0EEEvSD_
    .private_segment_fixed_size: 0
    .sgpr_count:     0
    .sgpr_spill_count: 0
    .symbol:         _ZN7rocprim17ROCPRIM_400000_NS6detail17trampoline_kernelINS0_14default_configENS1_35radix_sort_onesweep_config_selectorIaNS0_10empty_typeEEEZNS1_34radix_sort_onesweep_global_offsetsIS3_Lb1EPKaPS5_mNS0_19identity_decomposerEEE10hipError_tT1_T2_PT3_SF_jT4_jjP12ihipStream_tbEUlT_E_NS1_11comp_targetILNS1_3genE8ELNS1_11target_archE1030ELNS1_3gpuE2ELNS1_3repE0EEENS1_52radix_sort_onesweep_histogram_config_static_selectorELNS0_4arch9wavefront6targetE0EEEvSD_.kd
    .uniform_work_group_size: 1
    .uses_dynamic_stack: false
    .vgpr_count:     0
    .vgpr_spill_count: 0
    .wavefront_size: 32
  - .args:
      - .address_space:  global
        .offset:         0
        .size:           8
        .value_kind:     global_buffer
    .group_segment_fixed_size: 256
    .kernarg_segment_align: 8
    .kernarg_segment_size: 8
    .language:       OpenCL C
    .language_version:
      - 2
      - 0
    .max_flat_workgroup_size: 1024
    .name:           _ZN7rocprim17ROCPRIM_400000_NS6detail17trampoline_kernelINS0_14default_configENS1_35radix_sort_onesweep_config_selectorIaNS0_10empty_typeEEEZNS1_34radix_sort_onesweep_global_offsetsIS3_Lb1EPKaPS5_mNS0_19identity_decomposerEEE10hipError_tT1_T2_PT3_SF_jT4_jjP12ihipStream_tbEUlT_E0_NS1_11comp_targetILNS1_3genE0ELNS1_11target_archE4294967295ELNS1_3gpuE0ELNS1_3repE0EEENS1_52radix_sort_onesweep_histogram_config_static_selectorELNS0_4arch9wavefront6targetE0EEEvSD_
    .private_segment_fixed_size: 0
    .sgpr_count:     12
    .sgpr_spill_count: 0
    .symbol:         _ZN7rocprim17ROCPRIM_400000_NS6detail17trampoline_kernelINS0_14default_configENS1_35radix_sort_onesweep_config_selectorIaNS0_10empty_typeEEEZNS1_34radix_sort_onesweep_global_offsetsIS3_Lb1EPKaPS5_mNS0_19identity_decomposerEEE10hipError_tT1_T2_PT3_SF_jT4_jjP12ihipStream_tbEUlT_E0_NS1_11comp_targetILNS1_3genE0ELNS1_11target_archE4294967295ELNS1_3gpuE0ELNS1_3repE0EEENS1_52radix_sort_onesweep_histogram_config_static_selectorELNS0_4arch9wavefront6targetE0EEEvSD_.kd
    .uniform_work_group_size: 1
    .uses_dynamic_stack: false
    .vgpr_count:     14
    .vgpr_spill_count: 0
    .wavefront_size: 32
  - .args:
      - .address_space:  global
        .offset:         0
        .size:           8
        .value_kind:     global_buffer
    .group_segment_fixed_size: 0
    .kernarg_segment_align: 8
    .kernarg_segment_size: 8
    .language:       OpenCL C
    .language_version:
      - 2
      - 0
    .max_flat_workgroup_size: 1024
    .name:           _ZN7rocprim17ROCPRIM_400000_NS6detail17trampoline_kernelINS0_14default_configENS1_35radix_sort_onesweep_config_selectorIaNS0_10empty_typeEEEZNS1_34radix_sort_onesweep_global_offsetsIS3_Lb1EPKaPS5_mNS0_19identity_decomposerEEE10hipError_tT1_T2_PT3_SF_jT4_jjP12ihipStream_tbEUlT_E0_NS1_11comp_targetILNS1_3genE6ELNS1_11target_archE950ELNS1_3gpuE13ELNS1_3repE0EEENS1_52radix_sort_onesweep_histogram_config_static_selectorELNS0_4arch9wavefront6targetE0EEEvSD_
    .private_segment_fixed_size: 0
    .sgpr_count:     0
    .sgpr_spill_count: 0
    .symbol:         _ZN7rocprim17ROCPRIM_400000_NS6detail17trampoline_kernelINS0_14default_configENS1_35radix_sort_onesweep_config_selectorIaNS0_10empty_typeEEEZNS1_34radix_sort_onesweep_global_offsetsIS3_Lb1EPKaPS5_mNS0_19identity_decomposerEEE10hipError_tT1_T2_PT3_SF_jT4_jjP12ihipStream_tbEUlT_E0_NS1_11comp_targetILNS1_3genE6ELNS1_11target_archE950ELNS1_3gpuE13ELNS1_3repE0EEENS1_52radix_sort_onesweep_histogram_config_static_selectorELNS0_4arch9wavefront6targetE0EEEvSD_.kd
    .uniform_work_group_size: 1
    .uses_dynamic_stack: false
    .vgpr_count:     0
    .vgpr_spill_count: 0
    .wavefront_size: 32
  - .args:
      - .address_space:  global
        .offset:         0
        .size:           8
        .value_kind:     global_buffer
    .group_segment_fixed_size: 0
    .kernarg_segment_align: 8
    .kernarg_segment_size: 8
    .language:       OpenCL C
    .language_version:
      - 2
      - 0
    .max_flat_workgroup_size: 1024
    .name:           _ZN7rocprim17ROCPRIM_400000_NS6detail17trampoline_kernelINS0_14default_configENS1_35radix_sort_onesweep_config_selectorIaNS0_10empty_typeEEEZNS1_34radix_sort_onesweep_global_offsetsIS3_Lb1EPKaPS5_mNS0_19identity_decomposerEEE10hipError_tT1_T2_PT3_SF_jT4_jjP12ihipStream_tbEUlT_E0_NS1_11comp_targetILNS1_3genE5ELNS1_11target_archE942ELNS1_3gpuE9ELNS1_3repE0EEENS1_52radix_sort_onesweep_histogram_config_static_selectorELNS0_4arch9wavefront6targetE0EEEvSD_
    .private_segment_fixed_size: 0
    .sgpr_count:     0
    .sgpr_spill_count: 0
    .symbol:         _ZN7rocprim17ROCPRIM_400000_NS6detail17trampoline_kernelINS0_14default_configENS1_35radix_sort_onesweep_config_selectorIaNS0_10empty_typeEEEZNS1_34radix_sort_onesweep_global_offsetsIS3_Lb1EPKaPS5_mNS0_19identity_decomposerEEE10hipError_tT1_T2_PT3_SF_jT4_jjP12ihipStream_tbEUlT_E0_NS1_11comp_targetILNS1_3genE5ELNS1_11target_archE942ELNS1_3gpuE9ELNS1_3repE0EEENS1_52radix_sort_onesweep_histogram_config_static_selectorELNS0_4arch9wavefront6targetE0EEEvSD_.kd
    .uniform_work_group_size: 1
    .uses_dynamic_stack: false
    .vgpr_count:     0
    .vgpr_spill_count: 0
    .wavefront_size: 32
  - .args:
      - .address_space:  global
        .offset:         0
        .size:           8
        .value_kind:     global_buffer
    .group_segment_fixed_size: 0
    .kernarg_segment_align: 8
    .kernarg_segment_size: 8
    .language:       OpenCL C
    .language_version:
      - 2
      - 0
    .max_flat_workgroup_size: 512
    .name:           _ZN7rocprim17ROCPRIM_400000_NS6detail17trampoline_kernelINS0_14default_configENS1_35radix_sort_onesweep_config_selectorIaNS0_10empty_typeEEEZNS1_34radix_sort_onesweep_global_offsetsIS3_Lb1EPKaPS5_mNS0_19identity_decomposerEEE10hipError_tT1_T2_PT3_SF_jT4_jjP12ihipStream_tbEUlT_E0_NS1_11comp_targetILNS1_3genE2ELNS1_11target_archE906ELNS1_3gpuE6ELNS1_3repE0EEENS1_52radix_sort_onesweep_histogram_config_static_selectorELNS0_4arch9wavefront6targetE0EEEvSD_
    .private_segment_fixed_size: 0
    .sgpr_count:     0
    .sgpr_spill_count: 0
    .symbol:         _ZN7rocprim17ROCPRIM_400000_NS6detail17trampoline_kernelINS0_14default_configENS1_35radix_sort_onesweep_config_selectorIaNS0_10empty_typeEEEZNS1_34radix_sort_onesweep_global_offsetsIS3_Lb1EPKaPS5_mNS0_19identity_decomposerEEE10hipError_tT1_T2_PT3_SF_jT4_jjP12ihipStream_tbEUlT_E0_NS1_11comp_targetILNS1_3genE2ELNS1_11target_archE906ELNS1_3gpuE6ELNS1_3repE0EEENS1_52radix_sort_onesweep_histogram_config_static_selectorELNS0_4arch9wavefront6targetE0EEEvSD_.kd
    .uniform_work_group_size: 1
    .uses_dynamic_stack: false
    .vgpr_count:     0
    .vgpr_spill_count: 0
    .wavefront_size: 32
  - .args:
      - .address_space:  global
        .offset:         0
        .size:           8
        .value_kind:     global_buffer
    .group_segment_fixed_size: 0
    .kernarg_segment_align: 8
    .kernarg_segment_size: 8
    .language:       OpenCL C
    .language_version:
      - 2
      - 0
    .max_flat_workgroup_size: 512
    .name:           _ZN7rocprim17ROCPRIM_400000_NS6detail17trampoline_kernelINS0_14default_configENS1_35radix_sort_onesweep_config_selectorIaNS0_10empty_typeEEEZNS1_34radix_sort_onesweep_global_offsetsIS3_Lb1EPKaPS5_mNS0_19identity_decomposerEEE10hipError_tT1_T2_PT3_SF_jT4_jjP12ihipStream_tbEUlT_E0_NS1_11comp_targetILNS1_3genE4ELNS1_11target_archE910ELNS1_3gpuE8ELNS1_3repE0EEENS1_52radix_sort_onesweep_histogram_config_static_selectorELNS0_4arch9wavefront6targetE0EEEvSD_
    .private_segment_fixed_size: 0
    .sgpr_count:     0
    .sgpr_spill_count: 0
    .symbol:         _ZN7rocprim17ROCPRIM_400000_NS6detail17trampoline_kernelINS0_14default_configENS1_35radix_sort_onesweep_config_selectorIaNS0_10empty_typeEEEZNS1_34radix_sort_onesweep_global_offsetsIS3_Lb1EPKaPS5_mNS0_19identity_decomposerEEE10hipError_tT1_T2_PT3_SF_jT4_jjP12ihipStream_tbEUlT_E0_NS1_11comp_targetILNS1_3genE4ELNS1_11target_archE910ELNS1_3gpuE8ELNS1_3repE0EEENS1_52radix_sort_onesweep_histogram_config_static_selectorELNS0_4arch9wavefront6targetE0EEEvSD_.kd
    .uniform_work_group_size: 1
    .uses_dynamic_stack: false
    .vgpr_count:     0
    .vgpr_spill_count: 0
    .wavefront_size: 32
  - .args:
      - .address_space:  global
        .offset:         0
        .size:           8
        .value_kind:     global_buffer
    .group_segment_fixed_size: 0
    .kernarg_segment_align: 8
    .kernarg_segment_size: 8
    .language:       OpenCL C
    .language_version:
      - 2
      - 0
    .max_flat_workgroup_size: 1024
    .name:           _ZN7rocprim17ROCPRIM_400000_NS6detail17trampoline_kernelINS0_14default_configENS1_35radix_sort_onesweep_config_selectorIaNS0_10empty_typeEEEZNS1_34radix_sort_onesweep_global_offsetsIS3_Lb1EPKaPS5_mNS0_19identity_decomposerEEE10hipError_tT1_T2_PT3_SF_jT4_jjP12ihipStream_tbEUlT_E0_NS1_11comp_targetILNS1_3genE3ELNS1_11target_archE908ELNS1_3gpuE7ELNS1_3repE0EEENS1_52radix_sort_onesweep_histogram_config_static_selectorELNS0_4arch9wavefront6targetE0EEEvSD_
    .private_segment_fixed_size: 0
    .sgpr_count:     0
    .sgpr_spill_count: 0
    .symbol:         _ZN7rocprim17ROCPRIM_400000_NS6detail17trampoline_kernelINS0_14default_configENS1_35radix_sort_onesweep_config_selectorIaNS0_10empty_typeEEEZNS1_34radix_sort_onesweep_global_offsetsIS3_Lb1EPKaPS5_mNS0_19identity_decomposerEEE10hipError_tT1_T2_PT3_SF_jT4_jjP12ihipStream_tbEUlT_E0_NS1_11comp_targetILNS1_3genE3ELNS1_11target_archE908ELNS1_3gpuE7ELNS1_3repE0EEENS1_52radix_sort_onesweep_histogram_config_static_selectorELNS0_4arch9wavefront6targetE0EEEvSD_.kd
    .uniform_work_group_size: 1
    .uses_dynamic_stack: false
    .vgpr_count:     0
    .vgpr_spill_count: 0
    .wavefront_size: 32
  - .args:
      - .address_space:  global
        .offset:         0
        .size:           8
        .value_kind:     global_buffer
    .group_segment_fixed_size: 0
    .kernarg_segment_align: 8
    .kernarg_segment_size: 8
    .language:       OpenCL C
    .language_version:
      - 2
      - 0
    .max_flat_workgroup_size: 256
    .name:           _ZN7rocprim17ROCPRIM_400000_NS6detail17trampoline_kernelINS0_14default_configENS1_35radix_sort_onesweep_config_selectorIaNS0_10empty_typeEEEZNS1_34radix_sort_onesweep_global_offsetsIS3_Lb1EPKaPS5_mNS0_19identity_decomposerEEE10hipError_tT1_T2_PT3_SF_jT4_jjP12ihipStream_tbEUlT_E0_NS1_11comp_targetILNS1_3genE10ELNS1_11target_archE1201ELNS1_3gpuE5ELNS1_3repE0EEENS1_52radix_sort_onesweep_histogram_config_static_selectorELNS0_4arch9wavefront6targetE0EEEvSD_
    .private_segment_fixed_size: 0
    .sgpr_count:     0
    .sgpr_spill_count: 0
    .symbol:         _ZN7rocprim17ROCPRIM_400000_NS6detail17trampoline_kernelINS0_14default_configENS1_35radix_sort_onesweep_config_selectorIaNS0_10empty_typeEEEZNS1_34radix_sort_onesweep_global_offsetsIS3_Lb1EPKaPS5_mNS0_19identity_decomposerEEE10hipError_tT1_T2_PT3_SF_jT4_jjP12ihipStream_tbEUlT_E0_NS1_11comp_targetILNS1_3genE10ELNS1_11target_archE1201ELNS1_3gpuE5ELNS1_3repE0EEENS1_52radix_sort_onesweep_histogram_config_static_selectorELNS0_4arch9wavefront6targetE0EEEvSD_.kd
    .uniform_work_group_size: 1
    .uses_dynamic_stack: false
    .vgpr_count:     0
    .vgpr_spill_count: 0
    .wavefront_size: 32
  - .args:
      - .address_space:  global
        .offset:         0
        .size:           8
        .value_kind:     global_buffer
    .group_segment_fixed_size: 0
    .kernarg_segment_align: 8
    .kernarg_segment_size: 8
    .language:       OpenCL C
    .language_version:
      - 2
      - 0
    .max_flat_workgroup_size: 256
    .name:           _ZN7rocprim17ROCPRIM_400000_NS6detail17trampoline_kernelINS0_14default_configENS1_35radix_sort_onesweep_config_selectorIaNS0_10empty_typeEEEZNS1_34radix_sort_onesweep_global_offsetsIS3_Lb1EPKaPS5_mNS0_19identity_decomposerEEE10hipError_tT1_T2_PT3_SF_jT4_jjP12ihipStream_tbEUlT_E0_NS1_11comp_targetILNS1_3genE9ELNS1_11target_archE1100ELNS1_3gpuE3ELNS1_3repE0EEENS1_52radix_sort_onesweep_histogram_config_static_selectorELNS0_4arch9wavefront6targetE0EEEvSD_
    .private_segment_fixed_size: 0
    .sgpr_count:     0
    .sgpr_spill_count: 0
    .symbol:         _ZN7rocprim17ROCPRIM_400000_NS6detail17trampoline_kernelINS0_14default_configENS1_35radix_sort_onesweep_config_selectorIaNS0_10empty_typeEEEZNS1_34radix_sort_onesweep_global_offsetsIS3_Lb1EPKaPS5_mNS0_19identity_decomposerEEE10hipError_tT1_T2_PT3_SF_jT4_jjP12ihipStream_tbEUlT_E0_NS1_11comp_targetILNS1_3genE9ELNS1_11target_archE1100ELNS1_3gpuE3ELNS1_3repE0EEENS1_52radix_sort_onesweep_histogram_config_static_selectorELNS0_4arch9wavefront6targetE0EEEvSD_.kd
    .uniform_work_group_size: 1
    .uses_dynamic_stack: false
    .vgpr_count:     0
    .vgpr_spill_count: 0
    .wavefront_size: 32
  - .args:
      - .address_space:  global
        .offset:         0
        .size:           8
        .value_kind:     global_buffer
    .group_segment_fixed_size: 0
    .kernarg_segment_align: 8
    .kernarg_segment_size: 8
    .language:       OpenCL C
    .language_version:
      - 2
      - 0
    .max_flat_workgroup_size: 256
    .name:           _ZN7rocprim17ROCPRIM_400000_NS6detail17trampoline_kernelINS0_14default_configENS1_35radix_sort_onesweep_config_selectorIaNS0_10empty_typeEEEZNS1_34radix_sort_onesweep_global_offsetsIS3_Lb1EPKaPS5_mNS0_19identity_decomposerEEE10hipError_tT1_T2_PT3_SF_jT4_jjP12ihipStream_tbEUlT_E0_NS1_11comp_targetILNS1_3genE8ELNS1_11target_archE1030ELNS1_3gpuE2ELNS1_3repE0EEENS1_52radix_sort_onesweep_histogram_config_static_selectorELNS0_4arch9wavefront6targetE0EEEvSD_
    .private_segment_fixed_size: 0
    .sgpr_count:     0
    .sgpr_spill_count: 0
    .symbol:         _ZN7rocprim17ROCPRIM_400000_NS6detail17trampoline_kernelINS0_14default_configENS1_35radix_sort_onesweep_config_selectorIaNS0_10empty_typeEEEZNS1_34radix_sort_onesweep_global_offsetsIS3_Lb1EPKaPS5_mNS0_19identity_decomposerEEE10hipError_tT1_T2_PT3_SF_jT4_jjP12ihipStream_tbEUlT_E0_NS1_11comp_targetILNS1_3genE8ELNS1_11target_archE1030ELNS1_3gpuE2ELNS1_3repE0EEENS1_52radix_sort_onesweep_histogram_config_static_selectorELNS0_4arch9wavefront6targetE0EEEvSD_.kd
    .uniform_work_group_size: 1
    .uses_dynamic_stack: false
    .vgpr_count:     0
    .vgpr_spill_count: 0
    .wavefront_size: 32
  - .args:
      - .offset:         0
        .size:           40
        .value_kind:     by_value
      - .offset:         40
        .size:           4
        .value_kind:     hidden_block_count_x
      - .offset:         44
        .size:           4
        .value_kind:     hidden_block_count_y
      - .offset:         48
        .size:           4
        .value_kind:     hidden_block_count_z
      - .offset:         52
        .size:           2
        .value_kind:     hidden_group_size_x
      - .offset:         54
        .size:           2
        .value_kind:     hidden_group_size_y
      - .offset:         56
        .size:           2
        .value_kind:     hidden_group_size_z
      - .offset:         58
        .size:           2
        .value_kind:     hidden_remainder_x
      - .offset:         60
        .size:           2
        .value_kind:     hidden_remainder_y
      - .offset:         62
        .size:           2
        .value_kind:     hidden_remainder_z
      - .offset:         80
        .size:           8
        .value_kind:     hidden_global_offset_x
      - .offset:         88
        .size:           8
        .value_kind:     hidden_global_offset_y
      - .offset:         96
        .size:           8
        .value_kind:     hidden_global_offset_z
      - .offset:         104
        .size:           2
        .value_kind:     hidden_grid_dims
    .group_segment_fixed_size: 0
    .kernarg_segment_align: 8
    .kernarg_segment_size: 296
    .language:       OpenCL C
    .language_version:
      - 2
      - 0
    .max_flat_workgroup_size: 128
    .name:           _ZN7rocprim17ROCPRIM_400000_NS6detail17trampoline_kernelINS0_14default_configENS1_25transform_config_selectorIaLb1EEEZNS1_14transform_implILb1ES3_S5_PKaPaNS0_8identityIaEEEE10hipError_tT2_T3_mT4_P12ihipStream_tbEUlT_E_NS1_11comp_targetILNS1_3genE0ELNS1_11target_archE4294967295ELNS1_3gpuE0ELNS1_3repE0EEENS1_30default_config_static_selectorELNS0_4arch9wavefront6targetE0EEEvT1_
    .private_segment_fixed_size: 0
    .sgpr_count:     16
    .sgpr_spill_count: 0
    .symbol:         _ZN7rocprim17ROCPRIM_400000_NS6detail17trampoline_kernelINS0_14default_configENS1_25transform_config_selectorIaLb1EEEZNS1_14transform_implILb1ES3_S5_PKaPaNS0_8identityIaEEEE10hipError_tT2_T3_mT4_P12ihipStream_tbEUlT_E_NS1_11comp_targetILNS1_3genE0ELNS1_11target_archE4294967295ELNS1_3gpuE0ELNS1_3repE0EEENS1_30default_config_static_selectorELNS0_4arch9wavefront6targetE0EEEvT1_.kd
    .uniform_work_group_size: 1
    .uses_dynamic_stack: false
    .vgpr_count:     13
    .vgpr_spill_count: 0
    .wavefront_size: 32
  - .args:
      - .offset:         0
        .size:           40
        .value_kind:     by_value
    .group_segment_fixed_size: 0
    .kernarg_segment_align: 8
    .kernarg_segment_size: 40
    .language:       OpenCL C
    .language_version:
      - 2
      - 0
    .max_flat_workgroup_size: 1024
    .name:           _ZN7rocprim17ROCPRIM_400000_NS6detail17trampoline_kernelINS0_14default_configENS1_25transform_config_selectorIaLb1EEEZNS1_14transform_implILb1ES3_S5_PKaPaNS0_8identityIaEEEE10hipError_tT2_T3_mT4_P12ihipStream_tbEUlT_E_NS1_11comp_targetILNS1_3genE10ELNS1_11target_archE1201ELNS1_3gpuE5ELNS1_3repE0EEENS1_30default_config_static_selectorELNS0_4arch9wavefront6targetE0EEEvT1_
    .private_segment_fixed_size: 0
    .sgpr_count:     0
    .sgpr_spill_count: 0
    .symbol:         _ZN7rocprim17ROCPRIM_400000_NS6detail17trampoline_kernelINS0_14default_configENS1_25transform_config_selectorIaLb1EEEZNS1_14transform_implILb1ES3_S5_PKaPaNS0_8identityIaEEEE10hipError_tT2_T3_mT4_P12ihipStream_tbEUlT_E_NS1_11comp_targetILNS1_3genE10ELNS1_11target_archE1201ELNS1_3gpuE5ELNS1_3repE0EEENS1_30default_config_static_selectorELNS0_4arch9wavefront6targetE0EEEvT1_.kd
    .uniform_work_group_size: 1
    .uses_dynamic_stack: false
    .vgpr_count:     0
    .vgpr_spill_count: 0
    .wavefront_size: 32
  - .args:
      - .offset:         0
        .size:           40
        .value_kind:     by_value
    .group_segment_fixed_size: 0
    .kernarg_segment_align: 8
    .kernarg_segment_size: 40
    .language:       OpenCL C
    .language_version:
      - 2
      - 0
    .max_flat_workgroup_size: 256
    .name:           _ZN7rocprim17ROCPRIM_400000_NS6detail17trampoline_kernelINS0_14default_configENS1_25transform_config_selectorIaLb1EEEZNS1_14transform_implILb1ES3_S5_PKaPaNS0_8identityIaEEEE10hipError_tT2_T3_mT4_P12ihipStream_tbEUlT_E_NS1_11comp_targetILNS1_3genE5ELNS1_11target_archE942ELNS1_3gpuE9ELNS1_3repE0EEENS1_30default_config_static_selectorELNS0_4arch9wavefront6targetE0EEEvT1_
    .private_segment_fixed_size: 0
    .sgpr_count:     0
    .sgpr_spill_count: 0
    .symbol:         _ZN7rocprim17ROCPRIM_400000_NS6detail17trampoline_kernelINS0_14default_configENS1_25transform_config_selectorIaLb1EEEZNS1_14transform_implILb1ES3_S5_PKaPaNS0_8identityIaEEEE10hipError_tT2_T3_mT4_P12ihipStream_tbEUlT_E_NS1_11comp_targetILNS1_3genE5ELNS1_11target_archE942ELNS1_3gpuE9ELNS1_3repE0EEENS1_30default_config_static_selectorELNS0_4arch9wavefront6targetE0EEEvT1_.kd
    .uniform_work_group_size: 1
    .uses_dynamic_stack: false
    .vgpr_count:     0
    .vgpr_spill_count: 0
    .wavefront_size: 32
  - .args:
      - .offset:         0
        .size:           40
        .value_kind:     by_value
    .group_segment_fixed_size: 0
    .kernarg_segment_align: 8
    .kernarg_segment_size: 40
    .language:       OpenCL C
    .language_version:
      - 2
      - 0
    .max_flat_workgroup_size: 1024
    .name:           _ZN7rocprim17ROCPRIM_400000_NS6detail17trampoline_kernelINS0_14default_configENS1_25transform_config_selectorIaLb1EEEZNS1_14transform_implILb1ES3_S5_PKaPaNS0_8identityIaEEEE10hipError_tT2_T3_mT4_P12ihipStream_tbEUlT_E_NS1_11comp_targetILNS1_3genE4ELNS1_11target_archE910ELNS1_3gpuE8ELNS1_3repE0EEENS1_30default_config_static_selectorELNS0_4arch9wavefront6targetE0EEEvT1_
    .private_segment_fixed_size: 0
    .sgpr_count:     0
    .sgpr_spill_count: 0
    .symbol:         _ZN7rocprim17ROCPRIM_400000_NS6detail17trampoline_kernelINS0_14default_configENS1_25transform_config_selectorIaLb1EEEZNS1_14transform_implILb1ES3_S5_PKaPaNS0_8identityIaEEEE10hipError_tT2_T3_mT4_P12ihipStream_tbEUlT_E_NS1_11comp_targetILNS1_3genE4ELNS1_11target_archE910ELNS1_3gpuE8ELNS1_3repE0EEENS1_30default_config_static_selectorELNS0_4arch9wavefront6targetE0EEEvT1_.kd
    .uniform_work_group_size: 1
    .uses_dynamic_stack: false
    .vgpr_count:     0
    .vgpr_spill_count: 0
    .wavefront_size: 32
  - .args:
      - .offset:         0
        .size:           40
        .value_kind:     by_value
    .group_segment_fixed_size: 0
    .kernarg_segment_align: 8
    .kernarg_segment_size: 40
    .language:       OpenCL C
    .language_version:
      - 2
      - 0
    .max_flat_workgroup_size: 128
    .name:           _ZN7rocprim17ROCPRIM_400000_NS6detail17trampoline_kernelINS0_14default_configENS1_25transform_config_selectorIaLb1EEEZNS1_14transform_implILb1ES3_S5_PKaPaNS0_8identityIaEEEE10hipError_tT2_T3_mT4_P12ihipStream_tbEUlT_E_NS1_11comp_targetILNS1_3genE3ELNS1_11target_archE908ELNS1_3gpuE7ELNS1_3repE0EEENS1_30default_config_static_selectorELNS0_4arch9wavefront6targetE0EEEvT1_
    .private_segment_fixed_size: 0
    .sgpr_count:     0
    .sgpr_spill_count: 0
    .symbol:         _ZN7rocprim17ROCPRIM_400000_NS6detail17trampoline_kernelINS0_14default_configENS1_25transform_config_selectorIaLb1EEEZNS1_14transform_implILb1ES3_S5_PKaPaNS0_8identityIaEEEE10hipError_tT2_T3_mT4_P12ihipStream_tbEUlT_E_NS1_11comp_targetILNS1_3genE3ELNS1_11target_archE908ELNS1_3gpuE7ELNS1_3repE0EEENS1_30default_config_static_selectorELNS0_4arch9wavefront6targetE0EEEvT1_.kd
    .uniform_work_group_size: 1
    .uses_dynamic_stack: false
    .vgpr_count:     0
    .vgpr_spill_count: 0
    .wavefront_size: 32
  - .args:
      - .offset:         0
        .size:           40
        .value_kind:     by_value
    .group_segment_fixed_size: 0
    .kernarg_segment_align: 8
    .kernarg_segment_size: 40
    .language:       OpenCL C
    .language_version:
      - 2
      - 0
    .max_flat_workgroup_size: 512
    .name:           _ZN7rocprim17ROCPRIM_400000_NS6detail17trampoline_kernelINS0_14default_configENS1_25transform_config_selectorIaLb1EEEZNS1_14transform_implILb1ES3_S5_PKaPaNS0_8identityIaEEEE10hipError_tT2_T3_mT4_P12ihipStream_tbEUlT_E_NS1_11comp_targetILNS1_3genE2ELNS1_11target_archE906ELNS1_3gpuE6ELNS1_3repE0EEENS1_30default_config_static_selectorELNS0_4arch9wavefront6targetE0EEEvT1_
    .private_segment_fixed_size: 0
    .sgpr_count:     0
    .sgpr_spill_count: 0
    .symbol:         _ZN7rocprim17ROCPRIM_400000_NS6detail17trampoline_kernelINS0_14default_configENS1_25transform_config_selectorIaLb1EEEZNS1_14transform_implILb1ES3_S5_PKaPaNS0_8identityIaEEEE10hipError_tT2_T3_mT4_P12ihipStream_tbEUlT_E_NS1_11comp_targetILNS1_3genE2ELNS1_11target_archE906ELNS1_3gpuE6ELNS1_3repE0EEENS1_30default_config_static_selectorELNS0_4arch9wavefront6targetE0EEEvT1_.kd
    .uniform_work_group_size: 1
    .uses_dynamic_stack: false
    .vgpr_count:     0
    .vgpr_spill_count: 0
    .wavefront_size: 32
  - .args:
      - .offset:         0
        .size:           40
        .value_kind:     by_value
    .group_segment_fixed_size: 0
    .kernarg_segment_align: 8
    .kernarg_segment_size: 40
    .language:       OpenCL C
    .language_version:
      - 2
      - 0
    .max_flat_workgroup_size: 1024
    .name:           _ZN7rocprim17ROCPRIM_400000_NS6detail17trampoline_kernelINS0_14default_configENS1_25transform_config_selectorIaLb1EEEZNS1_14transform_implILb1ES3_S5_PKaPaNS0_8identityIaEEEE10hipError_tT2_T3_mT4_P12ihipStream_tbEUlT_E_NS1_11comp_targetILNS1_3genE9ELNS1_11target_archE1100ELNS1_3gpuE3ELNS1_3repE0EEENS1_30default_config_static_selectorELNS0_4arch9wavefront6targetE0EEEvT1_
    .private_segment_fixed_size: 0
    .sgpr_count:     0
    .sgpr_spill_count: 0
    .symbol:         _ZN7rocprim17ROCPRIM_400000_NS6detail17trampoline_kernelINS0_14default_configENS1_25transform_config_selectorIaLb1EEEZNS1_14transform_implILb1ES3_S5_PKaPaNS0_8identityIaEEEE10hipError_tT2_T3_mT4_P12ihipStream_tbEUlT_E_NS1_11comp_targetILNS1_3genE9ELNS1_11target_archE1100ELNS1_3gpuE3ELNS1_3repE0EEENS1_30default_config_static_selectorELNS0_4arch9wavefront6targetE0EEEvT1_.kd
    .uniform_work_group_size: 1
    .uses_dynamic_stack: false
    .vgpr_count:     0
    .vgpr_spill_count: 0
    .wavefront_size: 32
  - .args:
      - .offset:         0
        .size:           40
        .value_kind:     by_value
    .group_segment_fixed_size: 0
    .kernarg_segment_align: 8
    .kernarg_segment_size: 40
    .language:       OpenCL C
    .language_version:
      - 2
      - 0
    .max_flat_workgroup_size: 1024
    .name:           _ZN7rocprim17ROCPRIM_400000_NS6detail17trampoline_kernelINS0_14default_configENS1_25transform_config_selectorIaLb1EEEZNS1_14transform_implILb1ES3_S5_PKaPaNS0_8identityIaEEEE10hipError_tT2_T3_mT4_P12ihipStream_tbEUlT_E_NS1_11comp_targetILNS1_3genE8ELNS1_11target_archE1030ELNS1_3gpuE2ELNS1_3repE0EEENS1_30default_config_static_selectorELNS0_4arch9wavefront6targetE0EEEvT1_
    .private_segment_fixed_size: 0
    .sgpr_count:     0
    .sgpr_spill_count: 0
    .symbol:         _ZN7rocprim17ROCPRIM_400000_NS6detail17trampoline_kernelINS0_14default_configENS1_25transform_config_selectorIaLb1EEEZNS1_14transform_implILb1ES3_S5_PKaPaNS0_8identityIaEEEE10hipError_tT2_T3_mT4_P12ihipStream_tbEUlT_E_NS1_11comp_targetILNS1_3genE8ELNS1_11target_archE1030ELNS1_3gpuE2ELNS1_3repE0EEENS1_30default_config_static_selectorELNS0_4arch9wavefront6targetE0EEEvT1_.kd
    .uniform_work_group_size: 1
    .uses_dynamic_stack: false
    .vgpr_count:     0
    .vgpr_spill_count: 0
    .wavefront_size: 32
  - .args:
      - .offset:         0
        .size:           88
        .value_kind:     by_value
      - .offset:         88
        .size:           4
        .value_kind:     hidden_block_count_x
      - .offset:         92
        .size:           4
        .value_kind:     hidden_block_count_y
      - .offset:         96
        .size:           4
        .value_kind:     hidden_block_count_z
      - .offset:         100
        .size:           2
        .value_kind:     hidden_group_size_x
      - .offset:         102
        .size:           2
        .value_kind:     hidden_group_size_y
      - .offset:         104
        .size:           2
        .value_kind:     hidden_group_size_z
      - .offset:         106
        .size:           2
        .value_kind:     hidden_remainder_x
      - .offset:         108
        .size:           2
        .value_kind:     hidden_remainder_y
      - .offset:         110
        .size:           2
        .value_kind:     hidden_remainder_z
      - .offset:         128
        .size:           8
        .value_kind:     hidden_global_offset_x
      - .offset:         136
        .size:           8
        .value_kind:     hidden_global_offset_y
      - .offset:         144
        .size:           8
        .value_kind:     hidden_global_offset_z
      - .offset:         152
        .size:           2
        .value_kind:     hidden_grid_dims
    .group_segment_fixed_size: 32904
    .kernarg_segment_align: 8
    .kernarg_segment_size: 344
    .language:       OpenCL C
    .language_version:
      - 2
      - 0
    .max_flat_workgroup_size: 1024
    .name:           _ZN7rocprim17ROCPRIM_400000_NS6detail17trampoline_kernelINS0_14default_configENS1_35radix_sort_onesweep_config_selectorIaNS0_10empty_typeEEEZZNS1_29radix_sort_onesweep_iterationIS3_Lb1EPKaPaPS5_SB_mNS0_19identity_decomposerENS1_16block_id_wrapperIjLb1EEEEE10hipError_tT1_PNSt15iterator_traitsISG_E10value_typeET2_T3_PNSH_ISM_E10value_typeET4_T5_PSR_SS_PNS1_23onesweep_lookback_stateEbbT6_jjT7_P12ihipStream_tbENKUlT_T0_SG_SL_E_clIS9_SA_SB_SB_EEDaSZ_S10_SG_SL_EUlSZ_E_NS1_11comp_targetILNS1_3genE0ELNS1_11target_archE4294967295ELNS1_3gpuE0ELNS1_3repE0EEENS1_47radix_sort_onesweep_sort_config_static_selectorELNS0_4arch9wavefront6targetE0EEEvSG_
    .private_segment_fixed_size: 0
    .sgpr_count:     27
    .sgpr_spill_count: 0
    .symbol:         _ZN7rocprim17ROCPRIM_400000_NS6detail17trampoline_kernelINS0_14default_configENS1_35radix_sort_onesweep_config_selectorIaNS0_10empty_typeEEEZZNS1_29radix_sort_onesweep_iterationIS3_Lb1EPKaPaPS5_SB_mNS0_19identity_decomposerENS1_16block_id_wrapperIjLb1EEEEE10hipError_tT1_PNSt15iterator_traitsISG_E10value_typeET2_T3_PNSH_ISM_E10value_typeET4_T5_PSR_SS_PNS1_23onesweep_lookback_stateEbbT6_jjT7_P12ihipStream_tbENKUlT_T0_SG_SL_E_clIS9_SA_SB_SB_EEDaSZ_S10_SG_SL_EUlSZ_E_NS1_11comp_targetILNS1_3genE0ELNS1_11target_archE4294967295ELNS1_3gpuE0ELNS1_3repE0EEENS1_47radix_sort_onesweep_sort_config_static_selectorELNS0_4arch9wavefront6targetE0EEEvSG_.kd
    .uniform_work_group_size: 1
    .uses_dynamic_stack: false
    .vgpr_count:     79
    .vgpr_spill_count: 0
    .wavefront_size: 32
  - .args:
      - .offset:         0
        .size:           88
        .value_kind:     by_value
    .group_segment_fixed_size: 0
    .kernarg_segment_align: 8
    .kernarg_segment_size: 88
    .language:       OpenCL C
    .language_version:
      - 2
      - 0
    .max_flat_workgroup_size: 1024
    .name:           _ZN7rocprim17ROCPRIM_400000_NS6detail17trampoline_kernelINS0_14default_configENS1_35radix_sort_onesweep_config_selectorIaNS0_10empty_typeEEEZZNS1_29radix_sort_onesweep_iterationIS3_Lb1EPKaPaPS5_SB_mNS0_19identity_decomposerENS1_16block_id_wrapperIjLb1EEEEE10hipError_tT1_PNSt15iterator_traitsISG_E10value_typeET2_T3_PNSH_ISM_E10value_typeET4_T5_PSR_SS_PNS1_23onesweep_lookback_stateEbbT6_jjT7_P12ihipStream_tbENKUlT_T0_SG_SL_E_clIS9_SA_SB_SB_EEDaSZ_S10_SG_SL_EUlSZ_E_NS1_11comp_targetILNS1_3genE6ELNS1_11target_archE950ELNS1_3gpuE13ELNS1_3repE0EEENS1_47radix_sort_onesweep_sort_config_static_selectorELNS0_4arch9wavefront6targetE0EEEvSG_
    .private_segment_fixed_size: 0
    .sgpr_count:     0
    .sgpr_spill_count: 0
    .symbol:         _ZN7rocprim17ROCPRIM_400000_NS6detail17trampoline_kernelINS0_14default_configENS1_35radix_sort_onesweep_config_selectorIaNS0_10empty_typeEEEZZNS1_29radix_sort_onesweep_iterationIS3_Lb1EPKaPaPS5_SB_mNS0_19identity_decomposerENS1_16block_id_wrapperIjLb1EEEEE10hipError_tT1_PNSt15iterator_traitsISG_E10value_typeET2_T3_PNSH_ISM_E10value_typeET4_T5_PSR_SS_PNS1_23onesweep_lookback_stateEbbT6_jjT7_P12ihipStream_tbENKUlT_T0_SG_SL_E_clIS9_SA_SB_SB_EEDaSZ_S10_SG_SL_EUlSZ_E_NS1_11comp_targetILNS1_3genE6ELNS1_11target_archE950ELNS1_3gpuE13ELNS1_3repE0EEENS1_47radix_sort_onesweep_sort_config_static_selectorELNS0_4arch9wavefront6targetE0EEEvSG_.kd
    .uniform_work_group_size: 1
    .uses_dynamic_stack: false
    .vgpr_count:     0
    .vgpr_spill_count: 0
    .wavefront_size: 32
  - .args:
      - .offset:         0
        .size:           88
        .value_kind:     by_value
    .group_segment_fixed_size: 0
    .kernarg_segment_align: 8
    .kernarg_segment_size: 88
    .language:       OpenCL C
    .language_version:
      - 2
      - 0
    .max_flat_workgroup_size: 1024
    .name:           _ZN7rocprim17ROCPRIM_400000_NS6detail17trampoline_kernelINS0_14default_configENS1_35radix_sort_onesweep_config_selectorIaNS0_10empty_typeEEEZZNS1_29radix_sort_onesweep_iterationIS3_Lb1EPKaPaPS5_SB_mNS0_19identity_decomposerENS1_16block_id_wrapperIjLb1EEEEE10hipError_tT1_PNSt15iterator_traitsISG_E10value_typeET2_T3_PNSH_ISM_E10value_typeET4_T5_PSR_SS_PNS1_23onesweep_lookback_stateEbbT6_jjT7_P12ihipStream_tbENKUlT_T0_SG_SL_E_clIS9_SA_SB_SB_EEDaSZ_S10_SG_SL_EUlSZ_E_NS1_11comp_targetILNS1_3genE5ELNS1_11target_archE942ELNS1_3gpuE9ELNS1_3repE0EEENS1_47radix_sort_onesweep_sort_config_static_selectorELNS0_4arch9wavefront6targetE0EEEvSG_
    .private_segment_fixed_size: 0
    .sgpr_count:     0
    .sgpr_spill_count: 0
    .symbol:         _ZN7rocprim17ROCPRIM_400000_NS6detail17trampoline_kernelINS0_14default_configENS1_35radix_sort_onesweep_config_selectorIaNS0_10empty_typeEEEZZNS1_29radix_sort_onesweep_iterationIS3_Lb1EPKaPaPS5_SB_mNS0_19identity_decomposerENS1_16block_id_wrapperIjLb1EEEEE10hipError_tT1_PNSt15iterator_traitsISG_E10value_typeET2_T3_PNSH_ISM_E10value_typeET4_T5_PSR_SS_PNS1_23onesweep_lookback_stateEbbT6_jjT7_P12ihipStream_tbENKUlT_T0_SG_SL_E_clIS9_SA_SB_SB_EEDaSZ_S10_SG_SL_EUlSZ_E_NS1_11comp_targetILNS1_3genE5ELNS1_11target_archE942ELNS1_3gpuE9ELNS1_3repE0EEENS1_47radix_sort_onesweep_sort_config_static_selectorELNS0_4arch9wavefront6targetE0EEEvSG_.kd
    .uniform_work_group_size: 1
    .uses_dynamic_stack: false
    .vgpr_count:     0
    .vgpr_spill_count: 0
    .wavefront_size: 32
  - .args:
      - .offset:         0
        .size:           88
        .value_kind:     by_value
    .group_segment_fixed_size: 0
    .kernarg_segment_align: 8
    .kernarg_segment_size: 88
    .language:       OpenCL C
    .language_version:
      - 2
      - 0
    .max_flat_workgroup_size: 512
    .name:           _ZN7rocprim17ROCPRIM_400000_NS6detail17trampoline_kernelINS0_14default_configENS1_35radix_sort_onesweep_config_selectorIaNS0_10empty_typeEEEZZNS1_29radix_sort_onesweep_iterationIS3_Lb1EPKaPaPS5_SB_mNS0_19identity_decomposerENS1_16block_id_wrapperIjLb1EEEEE10hipError_tT1_PNSt15iterator_traitsISG_E10value_typeET2_T3_PNSH_ISM_E10value_typeET4_T5_PSR_SS_PNS1_23onesweep_lookback_stateEbbT6_jjT7_P12ihipStream_tbENKUlT_T0_SG_SL_E_clIS9_SA_SB_SB_EEDaSZ_S10_SG_SL_EUlSZ_E_NS1_11comp_targetILNS1_3genE2ELNS1_11target_archE906ELNS1_3gpuE6ELNS1_3repE0EEENS1_47radix_sort_onesweep_sort_config_static_selectorELNS0_4arch9wavefront6targetE0EEEvSG_
    .private_segment_fixed_size: 0
    .sgpr_count:     0
    .sgpr_spill_count: 0
    .symbol:         _ZN7rocprim17ROCPRIM_400000_NS6detail17trampoline_kernelINS0_14default_configENS1_35radix_sort_onesweep_config_selectorIaNS0_10empty_typeEEEZZNS1_29radix_sort_onesweep_iterationIS3_Lb1EPKaPaPS5_SB_mNS0_19identity_decomposerENS1_16block_id_wrapperIjLb1EEEEE10hipError_tT1_PNSt15iterator_traitsISG_E10value_typeET2_T3_PNSH_ISM_E10value_typeET4_T5_PSR_SS_PNS1_23onesweep_lookback_stateEbbT6_jjT7_P12ihipStream_tbENKUlT_T0_SG_SL_E_clIS9_SA_SB_SB_EEDaSZ_S10_SG_SL_EUlSZ_E_NS1_11comp_targetILNS1_3genE2ELNS1_11target_archE906ELNS1_3gpuE6ELNS1_3repE0EEENS1_47radix_sort_onesweep_sort_config_static_selectorELNS0_4arch9wavefront6targetE0EEEvSG_.kd
    .uniform_work_group_size: 1
    .uses_dynamic_stack: false
    .vgpr_count:     0
    .vgpr_spill_count: 0
    .wavefront_size: 32
  - .args:
      - .offset:         0
        .size:           88
        .value_kind:     by_value
    .group_segment_fixed_size: 0
    .kernarg_segment_align: 8
    .kernarg_segment_size: 88
    .language:       OpenCL C
    .language_version:
      - 2
      - 0
    .max_flat_workgroup_size: 512
    .name:           _ZN7rocprim17ROCPRIM_400000_NS6detail17trampoline_kernelINS0_14default_configENS1_35radix_sort_onesweep_config_selectorIaNS0_10empty_typeEEEZZNS1_29radix_sort_onesweep_iterationIS3_Lb1EPKaPaPS5_SB_mNS0_19identity_decomposerENS1_16block_id_wrapperIjLb1EEEEE10hipError_tT1_PNSt15iterator_traitsISG_E10value_typeET2_T3_PNSH_ISM_E10value_typeET4_T5_PSR_SS_PNS1_23onesweep_lookback_stateEbbT6_jjT7_P12ihipStream_tbENKUlT_T0_SG_SL_E_clIS9_SA_SB_SB_EEDaSZ_S10_SG_SL_EUlSZ_E_NS1_11comp_targetILNS1_3genE4ELNS1_11target_archE910ELNS1_3gpuE8ELNS1_3repE0EEENS1_47radix_sort_onesweep_sort_config_static_selectorELNS0_4arch9wavefront6targetE0EEEvSG_
    .private_segment_fixed_size: 0
    .sgpr_count:     0
    .sgpr_spill_count: 0
    .symbol:         _ZN7rocprim17ROCPRIM_400000_NS6detail17trampoline_kernelINS0_14default_configENS1_35radix_sort_onesweep_config_selectorIaNS0_10empty_typeEEEZZNS1_29radix_sort_onesweep_iterationIS3_Lb1EPKaPaPS5_SB_mNS0_19identity_decomposerENS1_16block_id_wrapperIjLb1EEEEE10hipError_tT1_PNSt15iterator_traitsISG_E10value_typeET2_T3_PNSH_ISM_E10value_typeET4_T5_PSR_SS_PNS1_23onesweep_lookback_stateEbbT6_jjT7_P12ihipStream_tbENKUlT_T0_SG_SL_E_clIS9_SA_SB_SB_EEDaSZ_S10_SG_SL_EUlSZ_E_NS1_11comp_targetILNS1_3genE4ELNS1_11target_archE910ELNS1_3gpuE8ELNS1_3repE0EEENS1_47radix_sort_onesweep_sort_config_static_selectorELNS0_4arch9wavefront6targetE0EEEvSG_.kd
    .uniform_work_group_size: 1
    .uses_dynamic_stack: false
    .vgpr_count:     0
    .vgpr_spill_count: 0
    .wavefront_size: 32
  - .args:
      - .offset:         0
        .size:           88
        .value_kind:     by_value
    .group_segment_fixed_size: 0
    .kernarg_segment_align: 8
    .kernarg_segment_size: 88
    .language:       OpenCL C
    .language_version:
      - 2
      - 0
    .max_flat_workgroup_size: 1024
    .name:           _ZN7rocprim17ROCPRIM_400000_NS6detail17trampoline_kernelINS0_14default_configENS1_35radix_sort_onesweep_config_selectorIaNS0_10empty_typeEEEZZNS1_29radix_sort_onesweep_iterationIS3_Lb1EPKaPaPS5_SB_mNS0_19identity_decomposerENS1_16block_id_wrapperIjLb1EEEEE10hipError_tT1_PNSt15iterator_traitsISG_E10value_typeET2_T3_PNSH_ISM_E10value_typeET4_T5_PSR_SS_PNS1_23onesweep_lookback_stateEbbT6_jjT7_P12ihipStream_tbENKUlT_T0_SG_SL_E_clIS9_SA_SB_SB_EEDaSZ_S10_SG_SL_EUlSZ_E_NS1_11comp_targetILNS1_3genE3ELNS1_11target_archE908ELNS1_3gpuE7ELNS1_3repE0EEENS1_47radix_sort_onesweep_sort_config_static_selectorELNS0_4arch9wavefront6targetE0EEEvSG_
    .private_segment_fixed_size: 0
    .sgpr_count:     0
    .sgpr_spill_count: 0
    .symbol:         _ZN7rocprim17ROCPRIM_400000_NS6detail17trampoline_kernelINS0_14default_configENS1_35radix_sort_onesweep_config_selectorIaNS0_10empty_typeEEEZZNS1_29radix_sort_onesweep_iterationIS3_Lb1EPKaPaPS5_SB_mNS0_19identity_decomposerENS1_16block_id_wrapperIjLb1EEEEE10hipError_tT1_PNSt15iterator_traitsISG_E10value_typeET2_T3_PNSH_ISM_E10value_typeET4_T5_PSR_SS_PNS1_23onesweep_lookback_stateEbbT6_jjT7_P12ihipStream_tbENKUlT_T0_SG_SL_E_clIS9_SA_SB_SB_EEDaSZ_S10_SG_SL_EUlSZ_E_NS1_11comp_targetILNS1_3genE3ELNS1_11target_archE908ELNS1_3gpuE7ELNS1_3repE0EEENS1_47radix_sort_onesweep_sort_config_static_selectorELNS0_4arch9wavefront6targetE0EEEvSG_.kd
    .uniform_work_group_size: 1
    .uses_dynamic_stack: false
    .vgpr_count:     0
    .vgpr_spill_count: 0
    .wavefront_size: 32
  - .args:
      - .offset:         0
        .size:           88
        .value_kind:     by_value
    .group_segment_fixed_size: 0
    .kernarg_segment_align: 8
    .kernarg_segment_size: 88
    .language:       OpenCL C
    .language_version:
      - 2
      - 0
    .max_flat_workgroup_size: 256
    .name:           _ZN7rocprim17ROCPRIM_400000_NS6detail17trampoline_kernelINS0_14default_configENS1_35radix_sort_onesweep_config_selectorIaNS0_10empty_typeEEEZZNS1_29radix_sort_onesweep_iterationIS3_Lb1EPKaPaPS5_SB_mNS0_19identity_decomposerENS1_16block_id_wrapperIjLb1EEEEE10hipError_tT1_PNSt15iterator_traitsISG_E10value_typeET2_T3_PNSH_ISM_E10value_typeET4_T5_PSR_SS_PNS1_23onesweep_lookback_stateEbbT6_jjT7_P12ihipStream_tbENKUlT_T0_SG_SL_E_clIS9_SA_SB_SB_EEDaSZ_S10_SG_SL_EUlSZ_E_NS1_11comp_targetILNS1_3genE10ELNS1_11target_archE1201ELNS1_3gpuE5ELNS1_3repE0EEENS1_47radix_sort_onesweep_sort_config_static_selectorELNS0_4arch9wavefront6targetE0EEEvSG_
    .private_segment_fixed_size: 0
    .sgpr_count:     0
    .sgpr_spill_count: 0
    .symbol:         _ZN7rocprim17ROCPRIM_400000_NS6detail17trampoline_kernelINS0_14default_configENS1_35radix_sort_onesweep_config_selectorIaNS0_10empty_typeEEEZZNS1_29radix_sort_onesweep_iterationIS3_Lb1EPKaPaPS5_SB_mNS0_19identity_decomposerENS1_16block_id_wrapperIjLb1EEEEE10hipError_tT1_PNSt15iterator_traitsISG_E10value_typeET2_T3_PNSH_ISM_E10value_typeET4_T5_PSR_SS_PNS1_23onesweep_lookback_stateEbbT6_jjT7_P12ihipStream_tbENKUlT_T0_SG_SL_E_clIS9_SA_SB_SB_EEDaSZ_S10_SG_SL_EUlSZ_E_NS1_11comp_targetILNS1_3genE10ELNS1_11target_archE1201ELNS1_3gpuE5ELNS1_3repE0EEENS1_47radix_sort_onesweep_sort_config_static_selectorELNS0_4arch9wavefront6targetE0EEEvSG_.kd
    .uniform_work_group_size: 1
    .uses_dynamic_stack: false
    .vgpr_count:     0
    .vgpr_spill_count: 0
    .wavefront_size: 32
  - .args:
      - .offset:         0
        .size:           88
        .value_kind:     by_value
    .group_segment_fixed_size: 0
    .kernarg_segment_align: 8
    .kernarg_segment_size: 88
    .language:       OpenCL C
    .language_version:
      - 2
      - 0
    .max_flat_workgroup_size: 256
    .name:           _ZN7rocprim17ROCPRIM_400000_NS6detail17trampoline_kernelINS0_14default_configENS1_35radix_sort_onesweep_config_selectorIaNS0_10empty_typeEEEZZNS1_29radix_sort_onesweep_iterationIS3_Lb1EPKaPaPS5_SB_mNS0_19identity_decomposerENS1_16block_id_wrapperIjLb1EEEEE10hipError_tT1_PNSt15iterator_traitsISG_E10value_typeET2_T3_PNSH_ISM_E10value_typeET4_T5_PSR_SS_PNS1_23onesweep_lookback_stateEbbT6_jjT7_P12ihipStream_tbENKUlT_T0_SG_SL_E_clIS9_SA_SB_SB_EEDaSZ_S10_SG_SL_EUlSZ_E_NS1_11comp_targetILNS1_3genE9ELNS1_11target_archE1100ELNS1_3gpuE3ELNS1_3repE0EEENS1_47radix_sort_onesweep_sort_config_static_selectorELNS0_4arch9wavefront6targetE0EEEvSG_
    .private_segment_fixed_size: 0
    .sgpr_count:     0
    .sgpr_spill_count: 0
    .symbol:         _ZN7rocprim17ROCPRIM_400000_NS6detail17trampoline_kernelINS0_14default_configENS1_35radix_sort_onesweep_config_selectorIaNS0_10empty_typeEEEZZNS1_29radix_sort_onesweep_iterationIS3_Lb1EPKaPaPS5_SB_mNS0_19identity_decomposerENS1_16block_id_wrapperIjLb1EEEEE10hipError_tT1_PNSt15iterator_traitsISG_E10value_typeET2_T3_PNSH_ISM_E10value_typeET4_T5_PSR_SS_PNS1_23onesweep_lookback_stateEbbT6_jjT7_P12ihipStream_tbENKUlT_T0_SG_SL_E_clIS9_SA_SB_SB_EEDaSZ_S10_SG_SL_EUlSZ_E_NS1_11comp_targetILNS1_3genE9ELNS1_11target_archE1100ELNS1_3gpuE3ELNS1_3repE0EEENS1_47radix_sort_onesweep_sort_config_static_selectorELNS0_4arch9wavefront6targetE0EEEvSG_.kd
    .uniform_work_group_size: 1
    .uses_dynamic_stack: false
    .vgpr_count:     0
    .vgpr_spill_count: 0
    .wavefront_size: 32
  - .args:
      - .offset:         0
        .size:           88
        .value_kind:     by_value
    .group_segment_fixed_size: 0
    .kernarg_segment_align: 8
    .kernarg_segment_size: 88
    .language:       OpenCL C
    .language_version:
      - 2
      - 0
    .max_flat_workgroup_size: 256
    .name:           _ZN7rocprim17ROCPRIM_400000_NS6detail17trampoline_kernelINS0_14default_configENS1_35radix_sort_onesweep_config_selectorIaNS0_10empty_typeEEEZZNS1_29radix_sort_onesweep_iterationIS3_Lb1EPKaPaPS5_SB_mNS0_19identity_decomposerENS1_16block_id_wrapperIjLb1EEEEE10hipError_tT1_PNSt15iterator_traitsISG_E10value_typeET2_T3_PNSH_ISM_E10value_typeET4_T5_PSR_SS_PNS1_23onesweep_lookback_stateEbbT6_jjT7_P12ihipStream_tbENKUlT_T0_SG_SL_E_clIS9_SA_SB_SB_EEDaSZ_S10_SG_SL_EUlSZ_E_NS1_11comp_targetILNS1_3genE8ELNS1_11target_archE1030ELNS1_3gpuE2ELNS1_3repE0EEENS1_47radix_sort_onesweep_sort_config_static_selectorELNS0_4arch9wavefront6targetE0EEEvSG_
    .private_segment_fixed_size: 0
    .sgpr_count:     0
    .sgpr_spill_count: 0
    .symbol:         _ZN7rocprim17ROCPRIM_400000_NS6detail17trampoline_kernelINS0_14default_configENS1_35radix_sort_onesweep_config_selectorIaNS0_10empty_typeEEEZZNS1_29radix_sort_onesweep_iterationIS3_Lb1EPKaPaPS5_SB_mNS0_19identity_decomposerENS1_16block_id_wrapperIjLb1EEEEE10hipError_tT1_PNSt15iterator_traitsISG_E10value_typeET2_T3_PNSH_ISM_E10value_typeET4_T5_PSR_SS_PNS1_23onesweep_lookback_stateEbbT6_jjT7_P12ihipStream_tbENKUlT_T0_SG_SL_E_clIS9_SA_SB_SB_EEDaSZ_S10_SG_SL_EUlSZ_E_NS1_11comp_targetILNS1_3genE8ELNS1_11target_archE1030ELNS1_3gpuE2ELNS1_3repE0EEENS1_47radix_sort_onesweep_sort_config_static_selectorELNS0_4arch9wavefront6targetE0EEEvSG_.kd
    .uniform_work_group_size: 1
    .uses_dynamic_stack: false
    .vgpr_count:     0
    .vgpr_spill_count: 0
    .wavefront_size: 32
  - .args:
      - .offset:         0
        .size:           88
        .value_kind:     by_value
      - .offset:         88
        .size:           4
        .value_kind:     hidden_block_count_x
      - .offset:         92
        .size:           4
        .value_kind:     hidden_block_count_y
      - .offset:         96
        .size:           4
        .value_kind:     hidden_block_count_z
      - .offset:         100
        .size:           2
        .value_kind:     hidden_group_size_x
      - .offset:         102
        .size:           2
        .value_kind:     hidden_group_size_y
      - .offset:         104
        .size:           2
        .value_kind:     hidden_group_size_z
      - .offset:         106
        .size:           2
        .value_kind:     hidden_remainder_x
      - .offset:         108
        .size:           2
        .value_kind:     hidden_remainder_y
      - .offset:         110
        .size:           2
        .value_kind:     hidden_remainder_z
      - .offset:         128
        .size:           8
        .value_kind:     hidden_global_offset_x
      - .offset:         136
        .size:           8
        .value_kind:     hidden_global_offset_y
      - .offset:         144
        .size:           8
        .value_kind:     hidden_global_offset_z
      - .offset:         152
        .size:           2
        .value_kind:     hidden_grid_dims
    .group_segment_fixed_size: 32904
    .kernarg_segment_align: 8
    .kernarg_segment_size: 344
    .language:       OpenCL C
    .language_version:
      - 2
      - 0
    .max_flat_workgroup_size: 1024
    .name:           _ZN7rocprim17ROCPRIM_400000_NS6detail17trampoline_kernelINS0_14default_configENS1_35radix_sort_onesweep_config_selectorIaNS0_10empty_typeEEEZZNS1_29radix_sort_onesweep_iterationIS3_Lb1EPKaPaPS5_SB_mNS0_19identity_decomposerENS1_16block_id_wrapperIjLb1EEEEE10hipError_tT1_PNSt15iterator_traitsISG_E10value_typeET2_T3_PNSH_ISM_E10value_typeET4_T5_PSR_SS_PNS1_23onesweep_lookback_stateEbbT6_jjT7_P12ihipStream_tbENKUlT_T0_SG_SL_E_clISA_SA_SB_SB_EEDaSZ_S10_SG_SL_EUlSZ_E_NS1_11comp_targetILNS1_3genE0ELNS1_11target_archE4294967295ELNS1_3gpuE0ELNS1_3repE0EEENS1_47radix_sort_onesweep_sort_config_static_selectorELNS0_4arch9wavefront6targetE0EEEvSG_
    .private_segment_fixed_size: 0
    .sgpr_count:     27
    .sgpr_spill_count: 0
    .symbol:         _ZN7rocprim17ROCPRIM_400000_NS6detail17trampoline_kernelINS0_14default_configENS1_35radix_sort_onesweep_config_selectorIaNS0_10empty_typeEEEZZNS1_29radix_sort_onesweep_iterationIS3_Lb1EPKaPaPS5_SB_mNS0_19identity_decomposerENS1_16block_id_wrapperIjLb1EEEEE10hipError_tT1_PNSt15iterator_traitsISG_E10value_typeET2_T3_PNSH_ISM_E10value_typeET4_T5_PSR_SS_PNS1_23onesweep_lookback_stateEbbT6_jjT7_P12ihipStream_tbENKUlT_T0_SG_SL_E_clISA_SA_SB_SB_EEDaSZ_S10_SG_SL_EUlSZ_E_NS1_11comp_targetILNS1_3genE0ELNS1_11target_archE4294967295ELNS1_3gpuE0ELNS1_3repE0EEENS1_47radix_sort_onesweep_sort_config_static_selectorELNS0_4arch9wavefront6targetE0EEEvSG_.kd
    .uniform_work_group_size: 1
    .uses_dynamic_stack: false
    .vgpr_count:     79
    .vgpr_spill_count: 0
    .wavefront_size: 32
  - .args:
      - .offset:         0
        .size:           88
        .value_kind:     by_value
    .group_segment_fixed_size: 0
    .kernarg_segment_align: 8
    .kernarg_segment_size: 88
    .language:       OpenCL C
    .language_version:
      - 2
      - 0
    .max_flat_workgroup_size: 1024
    .name:           _ZN7rocprim17ROCPRIM_400000_NS6detail17trampoline_kernelINS0_14default_configENS1_35radix_sort_onesweep_config_selectorIaNS0_10empty_typeEEEZZNS1_29radix_sort_onesweep_iterationIS3_Lb1EPKaPaPS5_SB_mNS0_19identity_decomposerENS1_16block_id_wrapperIjLb1EEEEE10hipError_tT1_PNSt15iterator_traitsISG_E10value_typeET2_T3_PNSH_ISM_E10value_typeET4_T5_PSR_SS_PNS1_23onesweep_lookback_stateEbbT6_jjT7_P12ihipStream_tbENKUlT_T0_SG_SL_E_clISA_SA_SB_SB_EEDaSZ_S10_SG_SL_EUlSZ_E_NS1_11comp_targetILNS1_3genE6ELNS1_11target_archE950ELNS1_3gpuE13ELNS1_3repE0EEENS1_47radix_sort_onesweep_sort_config_static_selectorELNS0_4arch9wavefront6targetE0EEEvSG_
    .private_segment_fixed_size: 0
    .sgpr_count:     0
    .sgpr_spill_count: 0
    .symbol:         _ZN7rocprim17ROCPRIM_400000_NS6detail17trampoline_kernelINS0_14default_configENS1_35radix_sort_onesweep_config_selectorIaNS0_10empty_typeEEEZZNS1_29radix_sort_onesweep_iterationIS3_Lb1EPKaPaPS5_SB_mNS0_19identity_decomposerENS1_16block_id_wrapperIjLb1EEEEE10hipError_tT1_PNSt15iterator_traitsISG_E10value_typeET2_T3_PNSH_ISM_E10value_typeET4_T5_PSR_SS_PNS1_23onesweep_lookback_stateEbbT6_jjT7_P12ihipStream_tbENKUlT_T0_SG_SL_E_clISA_SA_SB_SB_EEDaSZ_S10_SG_SL_EUlSZ_E_NS1_11comp_targetILNS1_3genE6ELNS1_11target_archE950ELNS1_3gpuE13ELNS1_3repE0EEENS1_47radix_sort_onesweep_sort_config_static_selectorELNS0_4arch9wavefront6targetE0EEEvSG_.kd
    .uniform_work_group_size: 1
    .uses_dynamic_stack: false
    .vgpr_count:     0
    .vgpr_spill_count: 0
    .wavefront_size: 32
  - .args:
      - .offset:         0
        .size:           88
        .value_kind:     by_value
    .group_segment_fixed_size: 0
    .kernarg_segment_align: 8
    .kernarg_segment_size: 88
    .language:       OpenCL C
    .language_version:
      - 2
      - 0
    .max_flat_workgroup_size: 1024
    .name:           _ZN7rocprim17ROCPRIM_400000_NS6detail17trampoline_kernelINS0_14default_configENS1_35radix_sort_onesweep_config_selectorIaNS0_10empty_typeEEEZZNS1_29radix_sort_onesweep_iterationIS3_Lb1EPKaPaPS5_SB_mNS0_19identity_decomposerENS1_16block_id_wrapperIjLb1EEEEE10hipError_tT1_PNSt15iterator_traitsISG_E10value_typeET2_T3_PNSH_ISM_E10value_typeET4_T5_PSR_SS_PNS1_23onesweep_lookback_stateEbbT6_jjT7_P12ihipStream_tbENKUlT_T0_SG_SL_E_clISA_SA_SB_SB_EEDaSZ_S10_SG_SL_EUlSZ_E_NS1_11comp_targetILNS1_3genE5ELNS1_11target_archE942ELNS1_3gpuE9ELNS1_3repE0EEENS1_47radix_sort_onesweep_sort_config_static_selectorELNS0_4arch9wavefront6targetE0EEEvSG_
    .private_segment_fixed_size: 0
    .sgpr_count:     0
    .sgpr_spill_count: 0
    .symbol:         _ZN7rocprim17ROCPRIM_400000_NS6detail17trampoline_kernelINS0_14default_configENS1_35radix_sort_onesweep_config_selectorIaNS0_10empty_typeEEEZZNS1_29radix_sort_onesweep_iterationIS3_Lb1EPKaPaPS5_SB_mNS0_19identity_decomposerENS1_16block_id_wrapperIjLb1EEEEE10hipError_tT1_PNSt15iterator_traitsISG_E10value_typeET2_T3_PNSH_ISM_E10value_typeET4_T5_PSR_SS_PNS1_23onesweep_lookback_stateEbbT6_jjT7_P12ihipStream_tbENKUlT_T0_SG_SL_E_clISA_SA_SB_SB_EEDaSZ_S10_SG_SL_EUlSZ_E_NS1_11comp_targetILNS1_3genE5ELNS1_11target_archE942ELNS1_3gpuE9ELNS1_3repE0EEENS1_47radix_sort_onesweep_sort_config_static_selectorELNS0_4arch9wavefront6targetE0EEEvSG_.kd
    .uniform_work_group_size: 1
    .uses_dynamic_stack: false
    .vgpr_count:     0
    .vgpr_spill_count: 0
    .wavefront_size: 32
  - .args:
      - .offset:         0
        .size:           88
        .value_kind:     by_value
    .group_segment_fixed_size: 0
    .kernarg_segment_align: 8
    .kernarg_segment_size: 88
    .language:       OpenCL C
    .language_version:
      - 2
      - 0
    .max_flat_workgroup_size: 512
    .name:           _ZN7rocprim17ROCPRIM_400000_NS6detail17trampoline_kernelINS0_14default_configENS1_35radix_sort_onesweep_config_selectorIaNS0_10empty_typeEEEZZNS1_29radix_sort_onesweep_iterationIS3_Lb1EPKaPaPS5_SB_mNS0_19identity_decomposerENS1_16block_id_wrapperIjLb1EEEEE10hipError_tT1_PNSt15iterator_traitsISG_E10value_typeET2_T3_PNSH_ISM_E10value_typeET4_T5_PSR_SS_PNS1_23onesweep_lookback_stateEbbT6_jjT7_P12ihipStream_tbENKUlT_T0_SG_SL_E_clISA_SA_SB_SB_EEDaSZ_S10_SG_SL_EUlSZ_E_NS1_11comp_targetILNS1_3genE2ELNS1_11target_archE906ELNS1_3gpuE6ELNS1_3repE0EEENS1_47radix_sort_onesweep_sort_config_static_selectorELNS0_4arch9wavefront6targetE0EEEvSG_
    .private_segment_fixed_size: 0
    .sgpr_count:     0
    .sgpr_spill_count: 0
    .symbol:         _ZN7rocprim17ROCPRIM_400000_NS6detail17trampoline_kernelINS0_14default_configENS1_35radix_sort_onesweep_config_selectorIaNS0_10empty_typeEEEZZNS1_29radix_sort_onesweep_iterationIS3_Lb1EPKaPaPS5_SB_mNS0_19identity_decomposerENS1_16block_id_wrapperIjLb1EEEEE10hipError_tT1_PNSt15iterator_traitsISG_E10value_typeET2_T3_PNSH_ISM_E10value_typeET4_T5_PSR_SS_PNS1_23onesweep_lookback_stateEbbT6_jjT7_P12ihipStream_tbENKUlT_T0_SG_SL_E_clISA_SA_SB_SB_EEDaSZ_S10_SG_SL_EUlSZ_E_NS1_11comp_targetILNS1_3genE2ELNS1_11target_archE906ELNS1_3gpuE6ELNS1_3repE0EEENS1_47radix_sort_onesweep_sort_config_static_selectorELNS0_4arch9wavefront6targetE0EEEvSG_.kd
    .uniform_work_group_size: 1
    .uses_dynamic_stack: false
    .vgpr_count:     0
    .vgpr_spill_count: 0
    .wavefront_size: 32
  - .args:
      - .offset:         0
        .size:           88
        .value_kind:     by_value
    .group_segment_fixed_size: 0
    .kernarg_segment_align: 8
    .kernarg_segment_size: 88
    .language:       OpenCL C
    .language_version:
      - 2
      - 0
    .max_flat_workgroup_size: 512
    .name:           _ZN7rocprim17ROCPRIM_400000_NS6detail17trampoline_kernelINS0_14default_configENS1_35radix_sort_onesweep_config_selectorIaNS0_10empty_typeEEEZZNS1_29radix_sort_onesweep_iterationIS3_Lb1EPKaPaPS5_SB_mNS0_19identity_decomposerENS1_16block_id_wrapperIjLb1EEEEE10hipError_tT1_PNSt15iterator_traitsISG_E10value_typeET2_T3_PNSH_ISM_E10value_typeET4_T5_PSR_SS_PNS1_23onesweep_lookback_stateEbbT6_jjT7_P12ihipStream_tbENKUlT_T0_SG_SL_E_clISA_SA_SB_SB_EEDaSZ_S10_SG_SL_EUlSZ_E_NS1_11comp_targetILNS1_3genE4ELNS1_11target_archE910ELNS1_3gpuE8ELNS1_3repE0EEENS1_47radix_sort_onesweep_sort_config_static_selectorELNS0_4arch9wavefront6targetE0EEEvSG_
    .private_segment_fixed_size: 0
    .sgpr_count:     0
    .sgpr_spill_count: 0
    .symbol:         _ZN7rocprim17ROCPRIM_400000_NS6detail17trampoline_kernelINS0_14default_configENS1_35radix_sort_onesweep_config_selectorIaNS0_10empty_typeEEEZZNS1_29radix_sort_onesweep_iterationIS3_Lb1EPKaPaPS5_SB_mNS0_19identity_decomposerENS1_16block_id_wrapperIjLb1EEEEE10hipError_tT1_PNSt15iterator_traitsISG_E10value_typeET2_T3_PNSH_ISM_E10value_typeET4_T5_PSR_SS_PNS1_23onesweep_lookback_stateEbbT6_jjT7_P12ihipStream_tbENKUlT_T0_SG_SL_E_clISA_SA_SB_SB_EEDaSZ_S10_SG_SL_EUlSZ_E_NS1_11comp_targetILNS1_3genE4ELNS1_11target_archE910ELNS1_3gpuE8ELNS1_3repE0EEENS1_47radix_sort_onesweep_sort_config_static_selectorELNS0_4arch9wavefront6targetE0EEEvSG_.kd
    .uniform_work_group_size: 1
    .uses_dynamic_stack: false
    .vgpr_count:     0
    .vgpr_spill_count: 0
    .wavefront_size: 32
  - .args:
      - .offset:         0
        .size:           88
        .value_kind:     by_value
    .group_segment_fixed_size: 0
    .kernarg_segment_align: 8
    .kernarg_segment_size: 88
    .language:       OpenCL C
    .language_version:
      - 2
      - 0
    .max_flat_workgroup_size: 1024
    .name:           _ZN7rocprim17ROCPRIM_400000_NS6detail17trampoline_kernelINS0_14default_configENS1_35radix_sort_onesweep_config_selectorIaNS0_10empty_typeEEEZZNS1_29radix_sort_onesweep_iterationIS3_Lb1EPKaPaPS5_SB_mNS0_19identity_decomposerENS1_16block_id_wrapperIjLb1EEEEE10hipError_tT1_PNSt15iterator_traitsISG_E10value_typeET2_T3_PNSH_ISM_E10value_typeET4_T5_PSR_SS_PNS1_23onesweep_lookback_stateEbbT6_jjT7_P12ihipStream_tbENKUlT_T0_SG_SL_E_clISA_SA_SB_SB_EEDaSZ_S10_SG_SL_EUlSZ_E_NS1_11comp_targetILNS1_3genE3ELNS1_11target_archE908ELNS1_3gpuE7ELNS1_3repE0EEENS1_47radix_sort_onesweep_sort_config_static_selectorELNS0_4arch9wavefront6targetE0EEEvSG_
    .private_segment_fixed_size: 0
    .sgpr_count:     0
    .sgpr_spill_count: 0
    .symbol:         _ZN7rocprim17ROCPRIM_400000_NS6detail17trampoline_kernelINS0_14default_configENS1_35radix_sort_onesweep_config_selectorIaNS0_10empty_typeEEEZZNS1_29radix_sort_onesweep_iterationIS3_Lb1EPKaPaPS5_SB_mNS0_19identity_decomposerENS1_16block_id_wrapperIjLb1EEEEE10hipError_tT1_PNSt15iterator_traitsISG_E10value_typeET2_T3_PNSH_ISM_E10value_typeET4_T5_PSR_SS_PNS1_23onesweep_lookback_stateEbbT6_jjT7_P12ihipStream_tbENKUlT_T0_SG_SL_E_clISA_SA_SB_SB_EEDaSZ_S10_SG_SL_EUlSZ_E_NS1_11comp_targetILNS1_3genE3ELNS1_11target_archE908ELNS1_3gpuE7ELNS1_3repE0EEENS1_47radix_sort_onesweep_sort_config_static_selectorELNS0_4arch9wavefront6targetE0EEEvSG_.kd
    .uniform_work_group_size: 1
    .uses_dynamic_stack: false
    .vgpr_count:     0
    .vgpr_spill_count: 0
    .wavefront_size: 32
  - .args:
      - .offset:         0
        .size:           88
        .value_kind:     by_value
    .group_segment_fixed_size: 0
    .kernarg_segment_align: 8
    .kernarg_segment_size: 88
    .language:       OpenCL C
    .language_version:
      - 2
      - 0
    .max_flat_workgroup_size: 256
    .name:           _ZN7rocprim17ROCPRIM_400000_NS6detail17trampoline_kernelINS0_14default_configENS1_35radix_sort_onesweep_config_selectorIaNS0_10empty_typeEEEZZNS1_29radix_sort_onesweep_iterationIS3_Lb1EPKaPaPS5_SB_mNS0_19identity_decomposerENS1_16block_id_wrapperIjLb1EEEEE10hipError_tT1_PNSt15iterator_traitsISG_E10value_typeET2_T3_PNSH_ISM_E10value_typeET4_T5_PSR_SS_PNS1_23onesweep_lookback_stateEbbT6_jjT7_P12ihipStream_tbENKUlT_T0_SG_SL_E_clISA_SA_SB_SB_EEDaSZ_S10_SG_SL_EUlSZ_E_NS1_11comp_targetILNS1_3genE10ELNS1_11target_archE1201ELNS1_3gpuE5ELNS1_3repE0EEENS1_47radix_sort_onesweep_sort_config_static_selectorELNS0_4arch9wavefront6targetE0EEEvSG_
    .private_segment_fixed_size: 0
    .sgpr_count:     0
    .sgpr_spill_count: 0
    .symbol:         _ZN7rocprim17ROCPRIM_400000_NS6detail17trampoline_kernelINS0_14default_configENS1_35radix_sort_onesweep_config_selectorIaNS0_10empty_typeEEEZZNS1_29radix_sort_onesweep_iterationIS3_Lb1EPKaPaPS5_SB_mNS0_19identity_decomposerENS1_16block_id_wrapperIjLb1EEEEE10hipError_tT1_PNSt15iterator_traitsISG_E10value_typeET2_T3_PNSH_ISM_E10value_typeET4_T5_PSR_SS_PNS1_23onesweep_lookback_stateEbbT6_jjT7_P12ihipStream_tbENKUlT_T0_SG_SL_E_clISA_SA_SB_SB_EEDaSZ_S10_SG_SL_EUlSZ_E_NS1_11comp_targetILNS1_3genE10ELNS1_11target_archE1201ELNS1_3gpuE5ELNS1_3repE0EEENS1_47radix_sort_onesweep_sort_config_static_selectorELNS0_4arch9wavefront6targetE0EEEvSG_.kd
    .uniform_work_group_size: 1
    .uses_dynamic_stack: false
    .vgpr_count:     0
    .vgpr_spill_count: 0
    .wavefront_size: 32
  - .args:
      - .offset:         0
        .size:           88
        .value_kind:     by_value
    .group_segment_fixed_size: 0
    .kernarg_segment_align: 8
    .kernarg_segment_size: 88
    .language:       OpenCL C
    .language_version:
      - 2
      - 0
    .max_flat_workgroup_size: 256
    .name:           _ZN7rocprim17ROCPRIM_400000_NS6detail17trampoline_kernelINS0_14default_configENS1_35radix_sort_onesweep_config_selectorIaNS0_10empty_typeEEEZZNS1_29radix_sort_onesweep_iterationIS3_Lb1EPKaPaPS5_SB_mNS0_19identity_decomposerENS1_16block_id_wrapperIjLb1EEEEE10hipError_tT1_PNSt15iterator_traitsISG_E10value_typeET2_T3_PNSH_ISM_E10value_typeET4_T5_PSR_SS_PNS1_23onesweep_lookback_stateEbbT6_jjT7_P12ihipStream_tbENKUlT_T0_SG_SL_E_clISA_SA_SB_SB_EEDaSZ_S10_SG_SL_EUlSZ_E_NS1_11comp_targetILNS1_3genE9ELNS1_11target_archE1100ELNS1_3gpuE3ELNS1_3repE0EEENS1_47radix_sort_onesweep_sort_config_static_selectorELNS0_4arch9wavefront6targetE0EEEvSG_
    .private_segment_fixed_size: 0
    .sgpr_count:     0
    .sgpr_spill_count: 0
    .symbol:         _ZN7rocprim17ROCPRIM_400000_NS6detail17trampoline_kernelINS0_14default_configENS1_35radix_sort_onesweep_config_selectorIaNS0_10empty_typeEEEZZNS1_29radix_sort_onesweep_iterationIS3_Lb1EPKaPaPS5_SB_mNS0_19identity_decomposerENS1_16block_id_wrapperIjLb1EEEEE10hipError_tT1_PNSt15iterator_traitsISG_E10value_typeET2_T3_PNSH_ISM_E10value_typeET4_T5_PSR_SS_PNS1_23onesweep_lookback_stateEbbT6_jjT7_P12ihipStream_tbENKUlT_T0_SG_SL_E_clISA_SA_SB_SB_EEDaSZ_S10_SG_SL_EUlSZ_E_NS1_11comp_targetILNS1_3genE9ELNS1_11target_archE1100ELNS1_3gpuE3ELNS1_3repE0EEENS1_47radix_sort_onesweep_sort_config_static_selectorELNS0_4arch9wavefront6targetE0EEEvSG_.kd
    .uniform_work_group_size: 1
    .uses_dynamic_stack: false
    .vgpr_count:     0
    .vgpr_spill_count: 0
    .wavefront_size: 32
  - .args:
      - .offset:         0
        .size:           88
        .value_kind:     by_value
    .group_segment_fixed_size: 0
    .kernarg_segment_align: 8
    .kernarg_segment_size: 88
    .language:       OpenCL C
    .language_version:
      - 2
      - 0
    .max_flat_workgroup_size: 256
    .name:           _ZN7rocprim17ROCPRIM_400000_NS6detail17trampoline_kernelINS0_14default_configENS1_35radix_sort_onesweep_config_selectorIaNS0_10empty_typeEEEZZNS1_29radix_sort_onesweep_iterationIS3_Lb1EPKaPaPS5_SB_mNS0_19identity_decomposerENS1_16block_id_wrapperIjLb1EEEEE10hipError_tT1_PNSt15iterator_traitsISG_E10value_typeET2_T3_PNSH_ISM_E10value_typeET4_T5_PSR_SS_PNS1_23onesweep_lookback_stateEbbT6_jjT7_P12ihipStream_tbENKUlT_T0_SG_SL_E_clISA_SA_SB_SB_EEDaSZ_S10_SG_SL_EUlSZ_E_NS1_11comp_targetILNS1_3genE8ELNS1_11target_archE1030ELNS1_3gpuE2ELNS1_3repE0EEENS1_47radix_sort_onesweep_sort_config_static_selectorELNS0_4arch9wavefront6targetE0EEEvSG_
    .private_segment_fixed_size: 0
    .sgpr_count:     0
    .sgpr_spill_count: 0
    .symbol:         _ZN7rocprim17ROCPRIM_400000_NS6detail17trampoline_kernelINS0_14default_configENS1_35radix_sort_onesweep_config_selectorIaNS0_10empty_typeEEEZZNS1_29radix_sort_onesweep_iterationIS3_Lb1EPKaPaPS5_SB_mNS0_19identity_decomposerENS1_16block_id_wrapperIjLb1EEEEE10hipError_tT1_PNSt15iterator_traitsISG_E10value_typeET2_T3_PNSH_ISM_E10value_typeET4_T5_PSR_SS_PNS1_23onesweep_lookback_stateEbbT6_jjT7_P12ihipStream_tbENKUlT_T0_SG_SL_E_clISA_SA_SB_SB_EEDaSZ_S10_SG_SL_EUlSZ_E_NS1_11comp_targetILNS1_3genE8ELNS1_11target_archE1030ELNS1_3gpuE2ELNS1_3repE0EEENS1_47radix_sort_onesweep_sort_config_static_selectorELNS0_4arch9wavefront6targetE0EEEvSG_.kd
    .uniform_work_group_size: 1
    .uses_dynamic_stack: false
    .vgpr_count:     0
    .vgpr_spill_count: 0
    .wavefront_size: 32
  - .args:
      - .offset:         0
        .size:           88
        .value_kind:     by_value
      - .offset:         88
        .size:           4
        .value_kind:     hidden_block_count_x
      - .offset:         92
        .size:           4
        .value_kind:     hidden_block_count_y
      - .offset:         96
        .size:           4
        .value_kind:     hidden_block_count_z
      - .offset:         100
        .size:           2
        .value_kind:     hidden_group_size_x
      - .offset:         102
        .size:           2
        .value_kind:     hidden_group_size_y
      - .offset:         104
        .size:           2
        .value_kind:     hidden_group_size_z
      - .offset:         106
        .size:           2
        .value_kind:     hidden_remainder_x
      - .offset:         108
        .size:           2
        .value_kind:     hidden_remainder_y
      - .offset:         110
        .size:           2
        .value_kind:     hidden_remainder_z
      - .offset:         128
        .size:           8
        .value_kind:     hidden_global_offset_x
      - .offset:         136
        .size:           8
        .value_kind:     hidden_global_offset_y
      - .offset:         144
        .size:           8
        .value_kind:     hidden_global_offset_z
      - .offset:         152
        .size:           2
        .value_kind:     hidden_grid_dims
    .group_segment_fixed_size: 32904
    .kernarg_segment_align: 8
    .kernarg_segment_size: 344
    .language:       OpenCL C
    .language_version:
      - 2
      - 0
    .max_flat_workgroup_size: 1024
    .name:           _ZN7rocprim17ROCPRIM_400000_NS6detail17trampoline_kernelINS0_14default_configENS1_35radix_sort_onesweep_config_selectorIaNS0_10empty_typeEEEZZNS1_29radix_sort_onesweep_iterationIS3_Lb1EPKaPaPS5_SB_mNS0_19identity_decomposerENS1_16block_id_wrapperIjLb0EEEEE10hipError_tT1_PNSt15iterator_traitsISG_E10value_typeET2_T3_PNSH_ISM_E10value_typeET4_T5_PSR_SS_PNS1_23onesweep_lookback_stateEbbT6_jjT7_P12ihipStream_tbENKUlT_T0_SG_SL_E_clIS9_SA_SB_SB_EEDaSZ_S10_SG_SL_EUlSZ_E_NS1_11comp_targetILNS1_3genE0ELNS1_11target_archE4294967295ELNS1_3gpuE0ELNS1_3repE0EEENS1_47radix_sort_onesweep_sort_config_static_selectorELNS0_4arch9wavefront6targetE0EEEvSG_
    .private_segment_fixed_size: 0
    .sgpr_count:     27
    .sgpr_spill_count: 0
    .symbol:         _ZN7rocprim17ROCPRIM_400000_NS6detail17trampoline_kernelINS0_14default_configENS1_35radix_sort_onesweep_config_selectorIaNS0_10empty_typeEEEZZNS1_29radix_sort_onesweep_iterationIS3_Lb1EPKaPaPS5_SB_mNS0_19identity_decomposerENS1_16block_id_wrapperIjLb0EEEEE10hipError_tT1_PNSt15iterator_traitsISG_E10value_typeET2_T3_PNSH_ISM_E10value_typeET4_T5_PSR_SS_PNS1_23onesweep_lookback_stateEbbT6_jjT7_P12ihipStream_tbENKUlT_T0_SG_SL_E_clIS9_SA_SB_SB_EEDaSZ_S10_SG_SL_EUlSZ_E_NS1_11comp_targetILNS1_3genE0ELNS1_11target_archE4294967295ELNS1_3gpuE0ELNS1_3repE0EEENS1_47radix_sort_onesweep_sort_config_static_selectorELNS0_4arch9wavefront6targetE0EEEvSG_.kd
    .uniform_work_group_size: 1
    .uses_dynamic_stack: false
    .vgpr_count:     79
    .vgpr_spill_count: 0
    .wavefront_size: 32
  - .args:
      - .offset:         0
        .size:           88
        .value_kind:     by_value
    .group_segment_fixed_size: 0
    .kernarg_segment_align: 8
    .kernarg_segment_size: 88
    .language:       OpenCL C
    .language_version:
      - 2
      - 0
    .max_flat_workgroup_size: 1024
    .name:           _ZN7rocprim17ROCPRIM_400000_NS6detail17trampoline_kernelINS0_14default_configENS1_35radix_sort_onesweep_config_selectorIaNS0_10empty_typeEEEZZNS1_29radix_sort_onesweep_iterationIS3_Lb1EPKaPaPS5_SB_mNS0_19identity_decomposerENS1_16block_id_wrapperIjLb0EEEEE10hipError_tT1_PNSt15iterator_traitsISG_E10value_typeET2_T3_PNSH_ISM_E10value_typeET4_T5_PSR_SS_PNS1_23onesweep_lookback_stateEbbT6_jjT7_P12ihipStream_tbENKUlT_T0_SG_SL_E_clIS9_SA_SB_SB_EEDaSZ_S10_SG_SL_EUlSZ_E_NS1_11comp_targetILNS1_3genE6ELNS1_11target_archE950ELNS1_3gpuE13ELNS1_3repE0EEENS1_47radix_sort_onesweep_sort_config_static_selectorELNS0_4arch9wavefront6targetE0EEEvSG_
    .private_segment_fixed_size: 0
    .sgpr_count:     0
    .sgpr_spill_count: 0
    .symbol:         _ZN7rocprim17ROCPRIM_400000_NS6detail17trampoline_kernelINS0_14default_configENS1_35radix_sort_onesweep_config_selectorIaNS0_10empty_typeEEEZZNS1_29radix_sort_onesweep_iterationIS3_Lb1EPKaPaPS5_SB_mNS0_19identity_decomposerENS1_16block_id_wrapperIjLb0EEEEE10hipError_tT1_PNSt15iterator_traitsISG_E10value_typeET2_T3_PNSH_ISM_E10value_typeET4_T5_PSR_SS_PNS1_23onesweep_lookback_stateEbbT6_jjT7_P12ihipStream_tbENKUlT_T0_SG_SL_E_clIS9_SA_SB_SB_EEDaSZ_S10_SG_SL_EUlSZ_E_NS1_11comp_targetILNS1_3genE6ELNS1_11target_archE950ELNS1_3gpuE13ELNS1_3repE0EEENS1_47radix_sort_onesweep_sort_config_static_selectorELNS0_4arch9wavefront6targetE0EEEvSG_.kd
    .uniform_work_group_size: 1
    .uses_dynamic_stack: false
    .vgpr_count:     0
    .vgpr_spill_count: 0
    .wavefront_size: 32
  - .args:
      - .offset:         0
        .size:           88
        .value_kind:     by_value
    .group_segment_fixed_size: 0
    .kernarg_segment_align: 8
    .kernarg_segment_size: 88
    .language:       OpenCL C
    .language_version:
      - 2
      - 0
    .max_flat_workgroup_size: 1024
    .name:           _ZN7rocprim17ROCPRIM_400000_NS6detail17trampoline_kernelINS0_14default_configENS1_35radix_sort_onesweep_config_selectorIaNS0_10empty_typeEEEZZNS1_29radix_sort_onesweep_iterationIS3_Lb1EPKaPaPS5_SB_mNS0_19identity_decomposerENS1_16block_id_wrapperIjLb0EEEEE10hipError_tT1_PNSt15iterator_traitsISG_E10value_typeET2_T3_PNSH_ISM_E10value_typeET4_T5_PSR_SS_PNS1_23onesweep_lookback_stateEbbT6_jjT7_P12ihipStream_tbENKUlT_T0_SG_SL_E_clIS9_SA_SB_SB_EEDaSZ_S10_SG_SL_EUlSZ_E_NS1_11comp_targetILNS1_3genE5ELNS1_11target_archE942ELNS1_3gpuE9ELNS1_3repE0EEENS1_47radix_sort_onesweep_sort_config_static_selectorELNS0_4arch9wavefront6targetE0EEEvSG_
    .private_segment_fixed_size: 0
    .sgpr_count:     0
    .sgpr_spill_count: 0
    .symbol:         _ZN7rocprim17ROCPRIM_400000_NS6detail17trampoline_kernelINS0_14default_configENS1_35radix_sort_onesweep_config_selectorIaNS0_10empty_typeEEEZZNS1_29radix_sort_onesweep_iterationIS3_Lb1EPKaPaPS5_SB_mNS0_19identity_decomposerENS1_16block_id_wrapperIjLb0EEEEE10hipError_tT1_PNSt15iterator_traitsISG_E10value_typeET2_T3_PNSH_ISM_E10value_typeET4_T5_PSR_SS_PNS1_23onesweep_lookback_stateEbbT6_jjT7_P12ihipStream_tbENKUlT_T0_SG_SL_E_clIS9_SA_SB_SB_EEDaSZ_S10_SG_SL_EUlSZ_E_NS1_11comp_targetILNS1_3genE5ELNS1_11target_archE942ELNS1_3gpuE9ELNS1_3repE0EEENS1_47radix_sort_onesweep_sort_config_static_selectorELNS0_4arch9wavefront6targetE0EEEvSG_.kd
    .uniform_work_group_size: 1
    .uses_dynamic_stack: false
    .vgpr_count:     0
    .vgpr_spill_count: 0
    .wavefront_size: 32
  - .args:
      - .offset:         0
        .size:           88
        .value_kind:     by_value
    .group_segment_fixed_size: 0
    .kernarg_segment_align: 8
    .kernarg_segment_size: 88
    .language:       OpenCL C
    .language_version:
      - 2
      - 0
    .max_flat_workgroup_size: 512
    .name:           _ZN7rocprim17ROCPRIM_400000_NS6detail17trampoline_kernelINS0_14default_configENS1_35radix_sort_onesweep_config_selectorIaNS0_10empty_typeEEEZZNS1_29radix_sort_onesweep_iterationIS3_Lb1EPKaPaPS5_SB_mNS0_19identity_decomposerENS1_16block_id_wrapperIjLb0EEEEE10hipError_tT1_PNSt15iterator_traitsISG_E10value_typeET2_T3_PNSH_ISM_E10value_typeET4_T5_PSR_SS_PNS1_23onesweep_lookback_stateEbbT6_jjT7_P12ihipStream_tbENKUlT_T0_SG_SL_E_clIS9_SA_SB_SB_EEDaSZ_S10_SG_SL_EUlSZ_E_NS1_11comp_targetILNS1_3genE2ELNS1_11target_archE906ELNS1_3gpuE6ELNS1_3repE0EEENS1_47radix_sort_onesweep_sort_config_static_selectorELNS0_4arch9wavefront6targetE0EEEvSG_
    .private_segment_fixed_size: 0
    .sgpr_count:     0
    .sgpr_spill_count: 0
    .symbol:         _ZN7rocprim17ROCPRIM_400000_NS6detail17trampoline_kernelINS0_14default_configENS1_35radix_sort_onesweep_config_selectorIaNS0_10empty_typeEEEZZNS1_29radix_sort_onesweep_iterationIS3_Lb1EPKaPaPS5_SB_mNS0_19identity_decomposerENS1_16block_id_wrapperIjLb0EEEEE10hipError_tT1_PNSt15iterator_traitsISG_E10value_typeET2_T3_PNSH_ISM_E10value_typeET4_T5_PSR_SS_PNS1_23onesweep_lookback_stateEbbT6_jjT7_P12ihipStream_tbENKUlT_T0_SG_SL_E_clIS9_SA_SB_SB_EEDaSZ_S10_SG_SL_EUlSZ_E_NS1_11comp_targetILNS1_3genE2ELNS1_11target_archE906ELNS1_3gpuE6ELNS1_3repE0EEENS1_47radix_sort_onesweep_sort_config_static_selectorELNS0_4arch9wavefront6targetE0EEEvSG_.kd
    .uniform_work_group_size: 1
    .uses_dynamic_stack: false
    .vgpr_count:     0
    .vgpr_spill_count: 0
    .wavefront_size: 32
  - .args:
      - .offset:         0
        .size:           88
        .value_kind:     by_value
    .group_segment_fixed_size: 0
    .kernarg_segment_align: 8
    .kernarg_segment_size: 88
    .language:       OpenCL C
    .language_version:
      - 2
      - 0
    .max_flat_workgroup_size: 512
    .name:           _ZN7rocprim17ROCPRIM_400000_NS6detail17trampoline_kernelINS0_14default_configENS1_35radix_sort_onesweep_config_selectorIaNS0_10empty_typeEEEZZNS1_29radix_sort_onesweep_iterationIS3_Lb1EPKaPaPS5_SB_mNS0_19identity_decomposerENS1_16block_id_wrapperIjLb0EEEEE10hipError_tT1_PNSt15iterator_traitsISG_E10value_typeET2_T3_PNSH_ISM_E10value_typeET4_T5_PSR_SS_PNS1_23onesweep_lookback_stateEbbT6_jjT7_P12ihipStream_tbENKUlT_T0_SG_SL_E_clIS9_SA_SB_SB_EEDaSZ_S10_SG_SL_EUlSZ_E_NS1_11comp_targetILNS1_3genE4ELNS1_11target_archE910ELNS1_3gpuE8ELNS1_3repE0EEENS1_47radix_sort_onesweep_sort_config_static_selectorELNS0_4arch9wavefront6targetE0EEEvSG_
    .private_segment_fixed_size: 0
    .sgpr_count:     0
    .sgpr_spill_count: 0
    .symbol:         _ZN7rocprim17ROCPRIM_400000_NS6detail17trampoline_kernelINS0_14default_configENS1_35radix_sort_onesweep_config_selectorIaNS0_10empty_typeEEEZZNS1_29radix_sort_onesweep_iterationIS3_Lb1EPKaPaPS5_SB_mNS0_19identity_decomposerENS1_16block_id_wrapperIjLb0EEEEE10hipError_tT1_PNSt15iterator_traitsISG_E10value_typeET2_T3_PNSH_ISM_E10value_typeET4_T5_PSR_SS_PNS1_23onesweep_lookback_stateEbbT6_jjT7_P12ihipStream_tbENKUlT_T0_SG_SL_E_clIS9_SA_SB_SB_EEDaSZ_S10_SG_SL_EUlSZ_E_NS1_11comp_targetILNS1_3genE4ELNS1_11target_archE910ELNS1_3gpuE8ELNS1_3repE0EEENS1_47radix_sort_onesweep_sort_config_static_selectorELNS0_4arch9wavefront6targetE0EEEvSG_.kd
    .uniform_work_group_size: 1
    .uses_dynamic_stack: false
    .vgpr_count:     0
    .vgpr_spill_count: 0
    .wavefront_size: 32
  - .args:
      - .offset:         0
        .size:           88
        .value_kind:     by_value
    .group_segment_fixed_size: 0
    .kernarg_segment_align: 8
    .kernarg_segment_size: 88
    .language:       OpenCL C
    .language_version:
      - 2
      - 0
    .max_flat_workgroup_size: 1024
    .name:           _ZN7rocprim17ROCPRIM_400000_NS6detail17trampoline_kernelINS0_14default_configENS1_35radix_sort_onesweep_config_selectorIaNS0_10empty_typeEEEZZNS1_29radix_sort_onesweep_iterationIS3_Lb1EPKaPaPS5_SB_mNS0_19identity_decomposerENS1_16block_id_wrapperIjLb0EEEEE10hipError_tT1_PNSt15iterator_traitsISG_E10value_typeET2_T3_PNSH_ISM_E10value_typeET4_T5_PSR_SS_PNS1_23onesweep_lookback_stateEbbT6_jjT7_P12ihipStream_tbENKUlT_T0_SG_SL_E_clIS9_SA_SB_SB_EEDaSZ_S10_SG_SL_EUlSZ_E_NS1_11comp_targetILNS1_3genE3ELNS1_11target_archE908ELNS1_3gpuE7ELNS1_3repE0EEENS1_47radix_sort_onesweep_sort_config_static_selectorELNS0_4arch9wavefront6targetE0EEEvSG_
    .private_segment_fixed_size: 0
    .sgpr_count:     0
    .sgpr_spill_count: 0
    .symbol:         _ZN7rocprim17ROCPRIM_400000_NS6detail17trampoline_kernelINS0_14default_configENS1_35radix_sort_onesweep_config_selectorIaNS0_10empty_typeEEEZZNS1_29radix_sort_onesweep_iterationIS3_Lb1EPKaPaPS5_SB_mNS0_19identity_decomposerENS1_16block_id_wrapperIjLb0EEEEE10hipError_tT1_PNSt15iterator_traitsISG_E10value_typeET2_T3_PNSH_ISM_E10value_typeET4_T5_PSR_SS_PNS1_23onesweep_lookback_stateEbbT6_jjT7_P12ihipStream_tbENKUlT_T0_SG_SL_E_clIS9_SA_SB_SB_EEDaSZ_S10_SG_SL_EUlSZ_E_NS1_11comp_targetILNS1_3genE3ELNS1_11target_archE908ELNS1_3gpuE7ELNS1_3repE0EEENS1_47radix_sort_onesweep_sort_config_static_selectorELNS0_4arch9wavefront6targetE0EEEvSG_.kd
    .uniform_work_group_size: 1
    .uses_dynamic_stack: false
    .vgpr_count:     0
    .vgpr_spill_count: 0
    .wavefront_size: 32
  - .args:
      - .offset:         0
        .size:           88
        .value_kind:     by_value
    .group_segment_fixed_size: 0
    .kernarg_segment_align: 8
    .kernarg_segment_size: 88
    .language:       OpenCL C
    .language_version:
      - 2
      - 0
    .max_flat_workgroup_size: 256
    .name:           _ZN7rocprim17ROCPRIM_400000_NS6detail17trampoline_kernelINS0_14default_configENS1_35radix_sort_onesweep_config_selectorIaNS0_10empty_typeEEEZZNS1_29radix_sort_onesweep_iterationIS3_Lb1EPKaPaPS5_SB_mNS0_19identity_decomposerENS1_16block_id_wrapperIjLb0EEEEE10hipError_tT1_PNSt15iterator_traitsISG_E10value_typeET2_T3_PNSH_ISM_E10value_typeET4_T5_PSR_SS_PNS1_23onesweep_lookback_stateEbbT6_jjT7_P12ihipStream_tbENKUlT_T0_SG_SL_E_clIS9_SA_SB_SB_EEDaSZ_S10_SG_SL_EUlSZ_E_NS1_11comp_targetILNS1_3genE10ELNS1_11target_archE1201ELNS1_3gpuE5ELNS1_3repE0EEENS1_47radix_sort_onesweep_sort_config_static_selectorELNS0_4arch9wavefront6targetE0EEEvSG_
    .private_segment_fixed_size: 0
    .sgpr_count:     0
    .sgpr_spill_count: 0
    .symbol:         _ZN7rocprim17ROCPRIM_400000_NS6detail17trampoline_kernelINS0_14default_configENS1_35radix_sort_onesweep_config_selectorIaNS0_10empty_typeEEEZZNS1_29radix_sort_onesweep_iterationIS3_Lb1EPKaPaPS5_SB_mNS0_19identity_decomposerENS1_16block_id_wrapperIjLb0EEEEE10hipError_tT1_PNSt15iterator_traitsISG_E10value_typeET2_T3_PNSH_ISM_E10value_typeET4_T5_PSR_SS_PNS1_23onesweep_lookback_stateEbbT6_jjT7_P12ihipStream_tbENKUlT_T0_SG_SL_E_clIS9_SA_SB_SB_EEDaSZ_S10_SG_SL_EUlSZ_E_NS1_11comp_targetILNS1_3genE10ELNS1_11target_archE1201ELNS1_3gpuE5ELNS1_3repE0EEENS1_47radix_sort_onesweep_sort_config_static_selectorELNS0_4arch9wavefront6targetE0EEEvSG_.kd
    .uniform_work_group_size: 1
    .uses_dynamic_stack: false
    .vgpr_count:     0
    .vgpr_spill_count: 0
    .wavefront_size: 32
  - .args:
      - .offset:         0
        .size:           88
        .value_kind:     by_value
    .group_segment_fixed_size: 0
    .kernarg_segment_align: 8
    .kernarg_segment_size: 88
    .language:       OpenCL C
    .language_version:
      - 2
      - 0
    .max_flat_workgroup_size: 256
    .name:           _ZN7rocprim17ROCPRIM_400000_NS6detail17trampoline_kernelINS0_14default_configENS1_35radix_sort_onesweep_config_selectorIaNS0_10empty_typeEEEZZNS1_29radix_sort_onesweep_iterationIS3_Lb1EPKaPaPS5_SB_mNS0_19identity_decomposerENS1_16block_id_wrapperIjLb0EEEEE10hipError_tT1_PNSt15iterator_traitsISG_E10value_typeET2_T3_PNSH_ISM_E10value_typeET4_T5_PSR_SS_PNS1_23onesweep_lookback_stateEbbT6_jjT7_P12ihipStream_tbENKUlT_T0_SG_SL_E_clIS9_SA_SB_SB_EEDaSZ_S10_SG_SL_EUlSZ_E_NS1_11comp_targetILNS1_3genE9ELNS1_11target_archE1100ELNS1_3gpuE3ELNS1_3repE0EEENS1_47radix_sort_onesweep_sort_config_static_selectorELNS0_4arch9wavefront6targetE0EEEvSG_
    .private_segment_fixed_size: 0
    .sgpr_count:     0
    .sgpr_spill_count: 0
    .symbol:         _ZN7rocprim17ROCPRIM_400000_NS6detail17trampoline_kernelINS0_14default_configENS1_35radix_sort_onesweep_config_selectorIaNS0_10empty_typeEEEZZNS1_29radix_sort_onesweep_iterationIS3_Lb1EPKaPaPS5_SB_mNS0_19identity_decomposerENS1_16block_id_wrapperIjLb0EEEEE10hipError_tT1_PNSt15iterator_traitsISG_E10value_typeET2_T3_PNSH_ISM_E10value_typeET4_T5_PSR_SS_PNS1_23onesweep_lookback_stateEbbT6_jjT7_P12ihipStream_tbENKUlT_T0_SG_SL_E_clIS9_SA_SB_SB_EEDaSZ_S10_SG_SL_EUlSZ_E_NS1_11comp_targetILNS1_3genE9ELNS1_11target_archE1100ELNS1_3gpuE3ELNS1_3repE0EEENS1_47radix_sort_onesweep_sort_config_static_selectorELNS0_4arch9wavefront6targetE0EEEvSG_.kd
    .uniform_work_group_size: 1
    .uses_dynamic_stack: false
    .vgpr_count:     0
    .vgpr_spill_count: 0
    .wavefront_size: 32
  - .args:
      - .offset:         0
        .size:           88
        .value_kind:     by_value
    .group_segment_fixed_size: 0
    .kernarg_segment_align: 8
    .kernarg_segment_size: 88
    .language:       OpenCL C
    .language_version:
      - 2
      - 0
    .max_flat_workgroup_size: 256
    .name:           _ZN7rocprim17ROCPRIM_400000_NS6detail17trampoline_kernelINS0_14default_configENS1_35radix_sort_onesweep_config_selectorIaNS0_10empty_typeEEEZZNS1_29radix_sort_onesweep_iterationIS3_Lb1EPKaPaPS5_SB_mNS0_19identity_decomposerENS1_16block_id_wrapperIjLb0EEEEE10hipError_tT1_PNSt15iterator_traitsISG_E10value_typeET2_T3_PNSH_ISM_E10value_typeET4_T5_PSR_SS_PNS1_23onesweep_lookback_stateEbbT6_jjT7_P12ihipStream_tbENKUlT_T0_SG_SL_E_clIS9_SA_SB_SB_EEDaSZ_S10_SG_SL_EUlSZ_E_NS1_11comp_targetILNS1_3genE8ELNS1_11target_archE1030ELNS1_3gpuE2ELNS1_3repE0EEENS1_47radix_sort_onesweep_sort_config_static_selectorELNS0_4arch9wavefront6targetE0EEEvSG_
    .private_segment_fixed_size: 0
    .sgpr_count:     0
    .sgpr_spill_count: 0
    .symbol:         _ZN7rocprim17ROCPRIM_400000_NS6detail17trampoline_kernelINS0_14default_configENS1_35radix_sort_onesweep_config_selectorIaNS0_10empty_typeEEEZZNS1_29radix_sort_onesweep_iterationIS3_Lb1EPKaPaPS5_SB_mNS0_19identity_decomposerENS1_16block_id_wrapperIjLb0EEEEE10hipError_tT1_PNSt15iterator_traitsISG_E10value_typeET2_T3_PNSH_ISM_E10value_typeET4_T5_PSR_SS_PNS1_23onesweep_lookback_stateEbbT6_jjT7_P12ihipStream_tbENKUlT_T0_SG_SL_E_clIS9_SA_SB_SB_EEDaSZ_S10_SG_SL_EUlSZ_E_NS1_11comp_targetILNS1_3genE8ELNS1_11target_archE1030ELNS1_3gpuE2ELNS1_3repE0EEENS1_47radix_sort_onesweep_sort_config_static_selectorELNS0_4arch9wavefront6targetE0EEEvSG_.kd
    .uniform_work_group_size: 1
    .uses_dynamic_stack: false
    .vgpr_count:     0
    .vgpr_spill_count: 0
    .wavefront_size: 32
  - .args:
      - .offset:         0
        .size:           88
        .value_kind:     by_value
      - .offset:         88
        .size:           4
        .value_kind:     hidden_block_count_x
      - .offset:         92
        .size:           4
        .value_kind:     hidden_block_count_y
      - .offset:         96
        .size:           4
        .value_kind:     hidden_block_count_z
      - .offset:         100
        .size:           2
        .value_kind:     hidden_group_size_x
      - .offset:         102
        .size:           2
        .value_kind:     hidden_group_size_y
      - .offset:         104
        .size:           2
        .value_kind:     hidden_group_size_z
      - .offset:         106
        .size:           2
        .value_kind:     hidden_remainder_x
      - .offset:         108
        .size:           2
        .value_kind:     hidden_remainder_y
      - .offset:         110
        .size:           2
        .value_kind:     hidden_remainder_z
      - .offset:         128
        .size:           8
        .value_kind:     hidden_global_offset_x
      - .offset:         136
        .size:           8
        .value_kind:     hidden_global_offset_y
      - .offset:         144
        .size:           8
        .value_kind:     hidden_global_offset_z
      - .offset:         152
        .size:           2
        .value_kind:     hidden_grid_dims
    .group_segment_fixed_size: 32904
    .kernarg_segment_align: 8
    .kernarg_segment_size: 344
    .language:       OpenCL C
    .language_version:
      - 2
      - 0
    .max_flat_workgroup_size: 1024
    .name:           _ZN7rocprim17ROCPRIM_400000_NS6detail17trampoline_kernelINS0_14default_configENS1_35radix_sort_onesweep_config_selectorIaNS0_10empty_typeEEEZZNS1_29radix_sort_onesweep_iterationIS3_Lb1EPKaPaPS5_SB_mNS0_19identity_decomposerENS1_16block_id_wrapperIjLb0EEEEE10hipError_tT1_PNSt15iterator_traitsISG_E10value_typeET2_T3_PNSH_ISM_E10value_typeET4_T5_PSR_SS_PNS1_23onesweep_lookback_stateEbbT6_jjT7_P12ihipStream_tbENKUlT_T0_SG_SL_E_clISA_SA_SB_SB_EEDaSZ_S10_SG_SL_EUlSZ_E_NS1_11comp_targetILNS1_3genE0ELNS1_11target_archE4294967295ELNS1_3gpuE0ELNS1_3repE0EEENS1_47radix_sort_onesweep_sort_config_static_selectorELNS0_4arch9wavefront6targetE0EEEvSG_
    .private_segment_fixed_size: 0
    .sgpr_count:     27
    .sgpr_spill_count: 0
    .symbol:         _ZN7rocprim17ROCPRIM_400000_NS6detail17trampoline_kernelINS0_14default_configENS1_35radix_sort_onesweep_config_selectorIaNS0_10empty_typeEEEZZNS1_29radix_sort_onesweep_iterationIS3_Lb1EPKaPaPS5_SB_mNS0_19identity_decomposerENS1_16block_id_wrapperIjLb0EEEEE10hipError_tT1_PNSt15iterator_traitsISG_E10value_typeET2_T3_PNSH_ISM_E10value_typeET4_T5_PSR_SS_PNS1_23onesweep_lookback_stateEbbT6_jjT7_P12ihipStream_tbENKUlT_T0_SG_SL_E_clISA_SA_SB_SB_EEDaSZ_S10_SG_SL_EUlSZ_E_NS1_11comp_targetILNS1_3genE0ELNS1_11target_archE4294967295ELNS1_3gpuE0ELNS1_3repE0EEENS1_47radix_sort_onesweep_sort_config_static_selectorELNS0_4arch9wavefront6targetE0EEEvSG_.kd
    .uniform_work_group_size: 1
    .uses_dynamic_stack: false
    .vgpr_count:     79
    .vgpr_spill_count: 0
    .wavefront_size: 32
  - .args:
      - .offset:         0
        .size:           88
        .value_kind:     by_value
    .group_segment_fixed_size: 0
    .kernarg_segment_align: 8
    .kernarg_segment_size: 88
    .language:       OpenCL C
    .language_version:
      - 2
      - 0
    .max_flat_workgroup_size: 1024
    .name:           _ZN7rocprim17ROCPRIM_400000_NS6detail17trampoline_kernelINS0_14default_configENS1_35radix_sort_onesweep_config_selectorIaNS0_10empty_typeEEEZZNS1_29radix_sort_onesweep_iterationIS3_Lb1EPKaPaPS5_SB_mNS0_19identity_decomposerENS1_16block_id_wrapperIjLb0EEEEE10hipError_tT1_PNSt15iterator_traitsISG_E10value_typeET2_T3_PNSH_ISM_E10value_typeET4_T5_PSR_SS_PNS1_23onesweep_lookback_stateEbbT6_jjT7_P12ihipStream_tbENKUlT_T0_SG_SL_E_clISA_SA_SB_SB_EEDaSZ_S10_SG_SL_EUlSZ_E_NS1_11comp_targetILNS1_3genE6ELNS1_11target_archE950ELNS1_3gpuE13ELNS1_3repE0EEENS1_47radix_sort_onesweep_sort_config_static_selectorELNS0_4arch9wavefront6targetE0EEEvSG_
    .private_segment_fixed_size: 0
    .sgpr_count:     0
    .sgpr_spill_count: 0
    .symbol:         _ZN7rocprim17ROCPRIM_400000_NS6detail17trampoline_kernelINS0_14default_configENS1_35radix_sort_onesweep_config_selectorIaNS0_10empty_typeEEEZZNS1_29radix_sort_onesweep_iterationIS3_Lb1EPKaPaPS5_SB_mNS0_19identity_decomposerENS1_16block_id_wrapperIjLb0EEEEE10hipError_tT1_PNSt15iterator_traitsISG_E10value_typeET2_T3_PNSH_ISM_E10value_typeET4_T5_PSR_SS_PNS1_23onesweep_lookback_stateEbbT6_jjT7_P12ihipStream_tbENKUlT_T0_SG_SL_E_clISA_SA_SB_SB_EEDaSZ_S10_SG_SL_EUlSZ_E_NS1_11comp_targetILNS1_3genE6ELNS1_11target_archE950ELNS1_3gpuE13ELNS1_3repE0EEENS1_47radix_sort_onesweep_sort_config_static_selectorELNS0_4arch9wavefront6targetE0EEEvSG_.kd
    .uniform_work_group_size: 1
    .uses_dynamic_stack: false
    .vgpr_count:     0
    .vgpr_spill_count: 0
    .wavefront_size: 32
  - .args:
      - .offset:         0
        .size:           88
        .value_kind:     by_value
    .group_segment_fixed_size: 0
    .kernarg_segment_align: 8
    .kernarg_segment_size: 88
    .language:       OpenCL C
    .language_version:
      - 2
      - 0
    .max_flat_workgroup_size: 1024
    .name:           _ZN7rocprim17ROCPRIM_400000_NS6detail17trampoline_kernelINS0_14default_configENS1_35radix_sort_onesweep_config_selectorIaNS0_10empty_typeEEEZZNS1_29radix_sort_onesweep_iterationIS3_Lb1EPKaPaPS5_SB_mNS0_19identity_decomposerENS1_16block_id_wrapperIjLb0EEEEE10hipError_tT1_PNSt15iterator_traitsISG_E10value_typeET2_T3_PNSH_ISM_E10value_typeET4_T5_PSR_SS_PNS1_23onesweep_lookback_stateEbbT6_jjT7_P12ihipStream_tbENKUlT_T0_SG_SL_E_clISA_SA_SB_SB_EEDaSZ_S10_SG_SL_EUlSZ_E_NS1_11comp_targetILNS1_3genE5ELNS1_11target_archE942ELNS1_3gpuE9ELNS1_3repE0EEENS1_47radix_sort_onesweep_sort_config_static_selectorELNS0_4arch9wavefront6targetE0EEEvSG_
    .private_segment_fixed_size: 0
    .sgpr_count:     0
    .sgpr_spill_count: 0
    .symbol:         _ZN7rocprim17ROCPRIM_400000_NS6detail17trampoline_kernelINS0_14default_configENS1_35radix_sort_onesweep_config_selectorIaNS0_10empty_typeEEEZZNS1_29radix_sort_onesweep_iterationIS3_Lb1EPKaPaPS5_SB_mNS0_19identity_decomposerENS1_16block_id_wrapperIjLb0EEEEE10hipError_tT1_PNSt15iterator_traitsISG_E10value_typeET2_T3_PNSH_ISM_E10value_typeET4_T5_PSR_SS_PNS1_23onesweep_lookback_stateEbbT6_jjT7_P12ihipStream_tbENKUlT_T0_SG_SL_E_clISA_SA_SB_SB_EEDaSZ_S10_SG_SL_EUlSZ_E_NS1_11comp_targetILNS1_3genE5ELNS1_11target_archE942ELNS1_3gpuE9ELNS1_3repE0EEENS1_47radix_sort_onesweep_sort_config_static_selectorELNS0_4arch9wavefront6targetE0EEEvSG_.kd
    .uniform_work_group_size: 1
    .uses_dynamic_stack: false
    .vgpr_count:     0
    .vgpr_spill_count: 0
    .wavefront_size: 32
  - .args:
      - .offset:         0
        .size:           88
        .value_kind:     by_value
    .group_segment_fixed_size: 0
    .kernarg_segment_align: 8
    .kernarg_segment_size: 88
    .language:       OpenCL C
    .language_version:
      - 2
      - 0
    .max_flat_workgroup_size: 512
    .name:           _ZN7rocprim17ROCPRIM_400000_NS6detail17trampoline_kernelINS0_14default_configENS1_35radix_sort_onesweep_config_selectorIaNS0_10empty_typeEEEZZNS1_29radix_sort_onesweep_iterationIS3_Lb1EPKaPaPS5_SB_mNS0_19identity_decomposerENS1_16block_id_wrapperIjLb0EEEEE10hipError_tT1_PNSt15iterator_traitsISG_E10value_typeET2_T3_PNSH_ISM_E10value_typeET4_T5_PSR_SS_PNS1_23onesweep_lookback_stateEbbT6_jjT7_P12ihipStream_tbENKUlT_T0_SG_SL_E_clISA_SA_SB_SB_EEDaSZ_S10_SG_SL_EUlSZ_E_NS1_11comp_targetILNS1_3genE2ELNS1_11target_archE906ELNS1_3gpuE6ELNS1_3repE0EEENS1_47radix_sort_onesweep_sort_config_static_selectorELNS0_4arch9wavefront6targetE0EEEvSG_
    .private_segment_fixed_size: 0
    .sgpr_count:     0
    .sgpr_spill_count: 0
    .symbol:         _ZN7rocprim17ROCPRIM_400000_NS6detail17trampoline_kernelINS0_14default_configENS1_35radix_sort_onesweep_config_selectorIaNS0_10empty_typeEEEZZNS1_29radix_sort_onesweep_iterationIS3_Lb1EPKaPaPS5_SB_mNS0_19identity_decomposerENS1_16block_id_wrapperIjLb0EEEEE10hipError_tT1_PNSt15iterator_traitsISG_E10value_typeET2_T3_PNSH_ISM_E10value_typeET4_T5_PSR_SS_PNS1_23onesweep_lookback_stateEbbT6_jjT7_P12ihipStream_tbENKUlT_T0_SG_SL_E_clISA_SA_SB_SB_EEDaSZ_S10_SG_SL_EUlSZ_E_NS1_11comp_targetILNS1_3genE2ELNS1_11target_archE906ELNS1_3gpuE6ELNS1_3repE0EEENS1_47radix_sort_onesweep_sort_config_static_selectorELNS0_4arch9wavefront6targetE0EEEvSG_.kd
    .uniform_work_group_size: 1
    .uses_dynamic_stack: false
    .vgpr_count:     0
    .vgpr_spill_count: 0
    .wavefront_size: 32
  - .args:
      - .offset:         0
        .size:           88
        .value_kind:     by_value
    .group_segment_fixed_size: 0
    .kernarg_segment_align: 8
    .kernarg_segment_size: 88
    .language:       OpenCL C
    .language_version:
      - 2
      - 0
    .max_flat_workgroup_size: 512
    .name:           _ZN7rocprim17ROCPRIM_400000_NS6detail17trampoline_kernelINS0_14default_configENS1_35radix_sort_onesweep_config_selectorIaNS0_10empty_typeEEEZZNS1_29radix_sort_onesweep_iterationIS3_Lb1EPKaPaPS5_SB_mNS0_19identity_decomposerENS1_16block_id_wrapperIjLb0EEEEE10hipError_tT1_PNSt15iterator_traitsISG_E10value_typeET2_T3_PNSH_ISM_E10value_typeET4_T5_PSR_SS_PNS1_23onesweep_lookback_stateEbbT6_jjT7_P12ihipStream_tbENKUlT_T0_SG_SL_E_clISA_SA_SB_SB_EEDaSZ_S10_SG_SL_EUlSZ_E_NS1_11comp_targetILNS1_3genE4ELNS1_11target_archE910ELNS1_3gpuE8ELNS1_3repE0EEENS1_47radix_sort_onesweep_sort_config_static_selectorELNS0_4arch9wavefront6targetE0EEEvSG_
    .private_segment_fixed_size: 0
    .sgpr_count:     0
    .sgpr_spill_count: 0
    .symbol:         _ZN7rocprim17ROCPRIM_400000_NS6detail17trampoline_kernelINS0_14default_configENS1_35radix_sort_onesweep_config_selectorIaNS0_10empty_typeEEEZZNS1_29radix_sort_onesweep_iterationIS3_Lb1EPKaPaPS5_SB_mNS0_19identity_decomposerENS1_16block_id_wrapperIjLb0EEEEE10hipError_tT1_PNSt15iterator_traitsISG_E10value_typeET2_T3_PNSH_ISM_E10value_typeET4_T5_PSR_SS_PNS1_23onesweep_lookback_stateEbbT6_jjT7_P12ihipStream_tbENKUlT_T0_SG_SL_E_clISA_SA_SB_SB_EEDaSZ_S10_SG_SL_EUlSZ_E_NS1_11comp_targetILNS1_3genE4ELNS1_11target_archE910ELNS1_3gpuE8ELNS1_3repE0EEENS1_47radix_sort_onesweep_sort_config_static_selectorELNS0_4arch9wavefront6targetE0EEEvSG_.kd
    .uniform_work_group_size: 1
    .uses_dynamic_stack: false
    .vgpr_count:     0
    .vgpr_spill_count: 0
    .wavefront_size: 32
  - .args:
      - .offset:         0
        .size:           88
        .value_kind:     by_value
    .group_segment_fixed_size: 0
    .kernarg_segment_align: 8
    .kernarg_segment_size: 88
    .language:       OpenCL C
    .language_version:
      - 2
      - 0
    .max_flat_workgroup_size: 1024
    .name:           _ZN7rocprim17ROCPRIM_400000_NS6detail17trampoline_kernelINS0_14default_configENS1_35radix_sort_onesweep_config_selectorIaNS0_10empty_typeEEEZZNS1_29radix_sort_onesweep_iterationIS3_Lb1EPKaPaPS5_SB_mNS0_19identity_decomposerENS1_16block_id_wrapperIjLb0EEEEE10hipError_tT1_PNSt15iterator_traitsISG_E10value_typeET2_T3_PNSH_ISM_E10value_typeET4_T5_PSR_SS_PNS1_23onesweep_lookback_stateEbbT6_jjT7_P12ihipStream_tbENKUlT_T0_SG_SL_E_clISA_SA_SB_SB_EEDaSZ_S10_SG_SL_EUlSZ_E_NS1_11comp_targetILNS1_3genE3ELNS1_11target_archE908ELNS1_3gpuE7ELNS1_3repE0EEENS1_47radix_sort_onesweep_sort_config_static_selectorELNS0_4arch9wavefront6targetE0EEEvSG_
    .private_segment_fixed_size: 0
    .sgpr_count:     0
    .sgpr_spill_count: 0
    .symbol:         _ZN7rocprim17ROCPRIM_400000_NS6detail17trampoline_kernelINS0_14default_configENS1_35radix_sort_onesweep_config_selectorIaNS0_10empty_typeEEEZZNS1_29radix_sort_onesweep_iterationIS3_Lb1EPKaPaPS5_SB_mNS0_19identity_decomposerENS1_16block_id_wrapperIjLb0EEEEE10hipError_tT1_PNSt15iterator_traitsISG_E10value_typeET2_T3_PNSH_ISM_E10value_typeET4_T5_PSR_SS_PNS1_23onesweep_lookback_stateEbbT6_jjT7_P12ihipStream_tbENKUlT_T0_SG_SL_E_clISA_SA_SB_SB_EEDaSZ_S10_SG_SL_EUlSZ_E_NS1_11comp_targetILNS1_3genE3ELNS1_11target_archE908ELNS1_3gpuE7ELNS1_3repE0EEENS1_47radix_sort_onesweep_sort_config_static_selectorELNS0_4arch9wavefront6targetE0EEEvSG_.kd
    .uniform_work_group_size: 1
    .uses_dynamic_stack: false
    .vgpr_count:     0
    .vgpr_spill_count: 0
    .wavefront_size: 32
  - .args:
      - .offset:         0
        .size:           88
        .value_kind:     by_value
    .group_segment_fixed_size: 0
    .kernarg_segment_align: 8
    .kernarg_segment_size: 88
    .language:       OpenCL C
    .language_version:
      - 2
      - 0
    .max_flat_workgroup_size: 256
    .name:           _ZN7rocprim17ROCPRIM_400000_NS6detail17trampoline_kernelINS0_14default_configENS1_35radix_sort_onesweep_config_selectorIaNS0_10empty_typeEEEZZNS1_29radix_sort_onesweep_iterationIS3_Lb1EPKaPaPS5_SB_mNS0_19identity_decomposerENS1_16block_id_wrapperIjLb0EEEEE10hipError_tT1_PNSt15iterator_traitsISG_E10value_typeET2_T3_PNSH_ISM_E10value_typeET4_T5_PSR_SS_PNS1_23onesweep_lookback_stateEbbT6_jjT7_P12ihipStream_tbENKUlT_T0_SG_SL_E_clISA_SA_SB_SB_EEDaSZ_S10_SG_SL_EUlSZ_E_NS1_11comp_targetILNS1_3genE10ELNS1_11target_archE1201ELNS1_3gpuE5ELNS1_3repE0EEENS1_47radix_sort_onesweep_sort_config_static_selectorELNS0_4arch9wavefront6targetE0EEEvSG_
    .private_segment_fixed_size: 0
    .sgpr_count:     0
    .sgpr_spill_count: 0
    .symbol:         _ZN7rocprim17ROCPRIM_400000_NS6detail17trampoline_kernelINS0_14default_configENS1_35radix_sort_onesweep_config_selectorIaNS0_10empty_typeEEEZZNS1_29radix_sort_onesweep_iterationIS3_Lb1EPKaPaPS5_SB_mNS0_19identity_decomposerENS1_16block_id_wrapperIjLb0EEEEE10hipError_tT1_PNSt15iterator_traitsISG_E10value_typeET2_T3_PNSH_ISM_E10value_typeET4_T5_PSR_SS_PNS1_23onesweep_lookback_stateEbbT6_jjT7_P12ihipStream_tbENKUlT_T0_SG_SL_E_clISA_SA_SB_SB_EEDaSZ_S10_SG_SL_EUlSZ_E_NS1_11comp_targetILNS1_3genE10ELNS1_11target_archE1201ELNS1_3gpuE5ELNS1_3repE0EEENS1_47radix_sort_onesweep_sort_config_static_selectorELNS0_4arch9wavefront6targetE0EEEvSG_.kd
    .uniform_work_group_size: 1
    .uses_dynamic_stack: false
    .vgpr_count:     0
    .vgpr_spill_count: 0
    .wavefront_size: 32
  - .args:
      - .offset:         0
        .size:           88
        .value_kind:     by_value
    .group_segment_fixed_size: 0
    .kernarg_segment_align: 8
    .kernarg_segment_size: 88
    .language:       OpenCL C
    .language_version:
      - 2
      - 0
    .max_flat_workgroup_size: 256
    .name:           _ZN7rocprim17ROCPRIM_400000_NS6detail17trampoline_kernelINS0_14default_configENS1_35radix_sort_onesweep_config_selectorIaNS0_10empty_typeEEEZZNS1_29radix_sort_onesweep_iterationIS3_Lb1EPKaPaPS5_SB_mNS0_19identity_decomposerENS1_16block_id_wrapperIjLb0EEEEE10hipError_tT1_PNSt15iterator_traitsISG_E10value_typeET2_T3_PNSH_ISM_E10value_typeET4_T5_PSR_SS_PNS1_23onesweep_lookback_stateEbbT6_jjT7_P12ihipStream_tbENKUlT_T0_SG_SL_E_clISA_SA_SB_SB_EEDaSZ_S10_SG_SL_EUlSZ_E_NS1_11comp_targetILNS1_3genE9ELNS1_11target_archE1100ELNS1_3gpuE3ELNS1_3repE0EEENS1_47radix_sort_onesweep_sort_config_static_selectorELNS0_4arch9wavefront6targetE0EEEvSG_
    .private_segment_fixed_size: 0
    .sgpr_count:     0
    .sgpr_spill_count: 0
    .symbol:         _ZN7rocprim17ROCPRIM_400000_NS6detail17trampoline_kernelINS0_14default_configENS1_35radix_sort_onesweep_config_selectorIaNS0_10empty_typeEEEZZNS1_29radix_sort_onesweep_iterationIS3_Lb1EPKaPaPS5_SB_mNS0_19identity_decomposerENS1_16block_id_wrapperIjLb0EEEEE10hipError_tT1_PNSt15iterator_traitsISG_E10value_typeET2_T3_PNSH_ISM_E10value_typeET4_T5_PSR_SS_PNS1_23onesweep_lookback_stateEbbT6_jjT7_P12ihipStream_tbENKUlT_T0_SG_SL_E_clISA_SA_SB_SB_EEDaSZ_S10_SG_SL_EUlSZ_E_NS1_11comp_targetILNS1_3genE9ELNS1_11target_archE1100ELNS1_3gpuE3ELNS1_3repE0EEENS1_47radix_sort_onesweep_sort_config_static_selectorELNS0_4arch9wavefront6targetE0EEEvSG_.kd
    .uniform_work_group_size: 1
    .uses_dynamic_stack: false
    .vgpr_count:     0
    .vgpr_spill_count: 0
    .wavefront_size: 32
  - .args:
      - .offset:         0
        .size:           88
        .value_kind:     by_value
    .group_segment_fixed_size: 0
    .kernarg_segment_align: 8
    .kernarg_segment_size: 88
    .language:       OpenCL C
    .language_version:
      - 2
      - 0
    .max_flat_workgroup_size: 256
    .name:           _ZN7rocprim17ROCPRIM_400000_NS6detail17trampoline_kernelINS0_14default_configENS1_35radix_sort_onesweep_config_selectorIaNS0_10empty_typeEEEZZNS1_29radix_sort_onesweep_iterationIS3_Lb1EPKaPaPS5_SB_mNS0_19identity_decomposerENS1_16block_id_wrapperIjLb0EEEEE10hipError_tT1_PNSt15iterator_traitsISG_E10value_typeET2_T3_PNSH_ISM_E10value_typeET4_T5_PSR_SS_PNS1_23onesweep_lookback_stateEbbT6_jjT7_P12ihipStream_tbENKUlT_T0_SG_SL_E_clISA_SA_SB_SB_EEDaSZ_S10_SG_SL_EUlSZ_E_NS1_11comp_targetILNS1_3genE8ELNS1_11target_archE1030ELNS1_3gpuE2ELNS1_3repE0EEENS1_47radix_sort_onesweep_sort_config_static_selectorELNS0_4arch9wavefront6targetE0EEEvSG_
    .private_segment_fixed_size: 0
    .sgpr_count:     0
    .sgpr_spill_count: 0
    .symbol:         _ZN7rocprim17ROCPRIM_400000_NS6detail17trampoline_kernelINS0_14default_configENS1_35radix_sort_onesweep_config_selectorIaNS0_10empty_typeEEEZZNS1_29radix_sort_onesweep_iterationIS3_Lb1EPKaPaPS5_SB_mNS0_19identity_decomposerENS1_16block_id_wrapperIjLb0EEEEE10hipError_tT1_PNSt15iterator_traitsISG_E10value_typeET2_T3_PNSH_ISM_E10value_typeET4_T5_PSR_SS_PNS1_23onesweep_lookback_stateEbbT6_jjT7_P12ihipStream_tbENKUlT_T0_SG_SL_E_clISA_SA_SB_SB_EEDaSZ_S10_SG_SL_EUlSZ_E_NS1_11comp_targetILNS1_3genE8ELNS1_11target_archE1030ELNS1_3gpuE2ELNS1_3repE0EEENS1_47radix_sort_onesweep_sort_config_static_selectorELNS0_4arch9wavefront6targetE0EEEvSG_.kd
    .uniform_work_group_size: 1
    .uses_dynamic_stack: false
    .vgpr_count:     0
    .vgpr_spill_count: 0
    .wavefront_size: 32
  - .args:
      - .offset:         0
        .size:           48
        .value_kind:     by_value
      - .offset:         48
        .size:           4
        .value_kind:     hidden_block_count_x
      - .offset:         52
        .size:           4
        .value_kind:     hidden_block_count_y
      - .offset:         56
        .size:           4
        .value_kind:     hidden_block_count_z
      - .offset:         60
        .size:           2
        .value_kind:     hidden_group_size_x
      - .offset:         62
        .size:           2
        .value_kind:     hidden_group_size_y
      - .offset:         64
        .size:           2
        .value_kind:     hidden_group_size_z
      - .offset:         66
        .size:           2
        .value_kind:     hidden_remainder_x
      - .offset:         68
        .size:           2
        .value_kind:     hidden_remainder_y
      - .offset:         70
        .size:           2
        .value_kind:     hidden_remainder_z
      - .offset:         88
        .size:           8
        .value_kind:     hidden_global_offset_x
      - .offset:         96
        .size:           8
        .value_kind:     hidden_global_offset_y
      - .offset:         104
        .size:           8
        .value_kind:     hidden_global_offset_z
      - .offset:         112
        .size:           2
        .value_kind:     hidden_grid_dims
    .group_segment_fixed_size: 8224
    .kernarg_segment_align: 8
    .kernarg_segment_size: 304
    .language:       OpenCL C
    .language_version:
      - 2
      - 0
    .max_flat_workgroup_size: 256
    .name:           _ZN7rocprim17ROCPRIM_400000_NS6detail17trampoline_kernelINS0_13kernel_configILj256ELj4ELj4294967295EEENS1_37radix_sort_block_sort_config_selectorIaNS0_10empty_typeEEEZNS1_21radix_sort_block_sortIS4_Lb0EPKaPaPS6_SC_NS0_19identity_decomposerEEE10hipError_tT1_T2_T3_T4_jRjT5_jjP12ihipStream_tbEUlT_E_NS1_11comp_targetILNS1_3genE0ELNS1_11target_archE4294967295ELNS1_3gpuE0ELNS1_3repE0EEENS1_44radix_sort_block_sort_config_static_selectorELNS0_4arch9wavefront6targetE0EEEvSF_
    .private_segment_fixed_size: 0
    .sgpr_count:     31
    .sgpr_spill_count: 0
    .symbol:         _ZN7rocprim17ROCPRIM_400000_NS6detail17trampoline_kernelINS0_13kernel_configILj256ELj4ELj4294967295EEENS1_37radix_sort_block_sort_config_selectorIaNS0_10empty_typeEEEZNS1_21radix_sort_block_sortIS4_Lb0EPKaPaPS6_SC_NS0_19identity_decomposerEEE10hipError_tT1_T2_T3_T4_jRjT5_jjP12ihipStream_tbEUlT_E_NS1_11comp_targetILNS1_3genE0ELNS1_11target_archE4294967295ELNS1_3gpuE0ELNS1_3repE0EEENS1_44radix_sort_block_sort_config_static_selectorELNS0_4arch9wavefront6targetE0EEEvSF_.kd
    .uniform_work_group_size: 1
    .uses_dynamic_stack: false
    .vgpr_count:     36
    .vgpr_spill_count: 0
    .wavefront_size: 32
  - .args:
      - .offset:         0
        .size:           48
        .value_kind:     by_value
    .group_segment_fixed_size: 0
    .kernarg_segment_align: 8
    .kernarg_segment_size: 48
    .language:       OpenCL C
    .language_version:
      - 2
      - 0
    .max_flat_workgroup_size: 256
    .name:           _ZN7rocprim17ROCPRIM_400000_NS6detail17trampoline_kernelINS0_13kernel_configILj256ELj4ELj4294967295EEENS1_37radix_sort_block_sort_config_selectorIaNS0_10empty_typeEEEZNS1_21radix_sort_block_sortIS4_Lb0EPKaPaPS6_SC_NS0_19identity_decomposerEEE10hipError_tT1_T2_T3_T4_jRjT5_jjP12ihipStream_tbEUlT_E_NS1_11comp_targetILNS1_3genE5ELNS1_11target_archE942ELNS1_3gpuE9ELNS1_3repE0EEENS1_44radix_sort_block_sort_config_static_selectorELNS0_4arch9wavefront6targetE0EEEvSF_
    .private_segment_fixed_size: 0
    .sgpr_count:     0
    .sgpr_spill_count: 0
    .symbol:         _ZN7rocprim17ROCPRIM_400000_NS6detail17trampoline_kernelINS0_13kernel_configILj256ELj4ELj4294967295EEENS1_37radix_sort_block_sort_config_selectorIaNS0_10empty_typeEEEZNS1_21radix_sort_block_sortIS4_Lb0EPKaPaPS6_SC_NS0_19identity_decomposerEEE10hipError_tT1_T2_T3_T4_jRjT5_jjP12ihipStream_tbEUlT_E_NS1_11comp_targetILNS1_3genE5ELNS1_11target_archE942ELNS1_3gpuE9ELNS1_3repE0EEENS1_44radix_sort_block_sort_config_static_selectorELNS0_4arch9wavefront6targetE0EEEvSF_.kd
    .uniform_work_group_size: 1
    .uses_dynamic_stack: false
    .vgpr_count:     0
    .vgpr_spill_count: 0
    .wavefront_size: 32
  - .args:
      - .offset:         0
        .size:           48
        .value_kind:     by_value
    .group_segment_fixed_size: 0
    .kernarg_segment_align: 8
    .kernarg_segment_size: 48
    .language:       OpenCL C
    .language_version:
      - 2
      - 0
    .max_flat_workgroup_size: 256
    .name:           _ZN7rocprim17ROCPRIM_400000_NS6detail17trampoline_kernelINS0_13kernel_configILj256ELj4ELj4294967295EEENS1_37radix_sort_block_sort_config_selectorIaNS0_10empty_typeEEEZNS1_21radix_sort_block_sortIS4_Lb0EPKaPaPS6_SC_NS0_19identity_decomposerEEE10hipError_tT1_T2_T3_T4_jRjT5_jjP12ihipStream_tbEUlT_E_NS1_11comp_targetILNS1_3genE4ELNS1_11target_archE910ELNS1_3gpuE8ELNS1_3repE0EEENS1_44radix_sort_block_sort_config_static_selectorELNS0_4arch9wavefront6targetE0EEEvSF_
    .private_segment_fixed_size: 0
    .sgpr_count:     0
    .sgpr_spill_count: 0
    .symbol:         _ZN7rocprim17ROCPRIM_400000_NS6detail17trampoline_kernelINS0_13kernel_configILj256ELj4ELj4294967295EEENS1_37radix_sort_block_sort_config_selectorIaNS0_10empty_typeEEEZNS1_21radix_sort_block_sortIS4_Lb0EPKaPaPS6_SC_NS0_19identity_decomposerEEE10hipError_tT1_T2_T3_T4_jRjT5_jjP12ihipStream_tbEUlT_E_NS1_11comp_targetILNS1_3genE4ELNS1_11target_archE910ELNS1_3gpuE8ELNS1_3repE0EEENS1_44radix_sort_block_sort_config_static_selectorELNS0_4arch9wavefront6targetE0EEEvSF_.kd
    .uniform_work_group_size: 1
    .uses_dynamic_stack: false
    .vgpr_count:     0
    .vgpr_spill_count: 0
    .wavefront_size: 32
  - .args:
      - .offset:         0
        .size:           48
        .value_kind:     by_value
    .group_segment_fixed_size: 0
    .kernarg_segment_align: 8
    .kernarg_segment_size: 48
    .language:       OpenCL C
    .language_version:
      - 2
      - 0
    .max_flat_workgroup_size: 256
    .name:           _ZN7rocprim17ROCPRIM_400000_NS6detail17trampoline_kernelINS0_13kernel_configILj256ELj4ELj4294967295EEENS1_37radix_sort_block_sort_config_selectorIaNS0_10empty_typeEEEZNS1_21radix_sort_block_sortIS4_Lb0EPKaPaPS6_SC_NS0_19identity_decomposerEEE10hipError_tT1_T2_T3_T4_jRjT5_jjP12ihipStream_tbEUlT_E_NS1_11comp_targetILNS1_3genE3ELNS1_11target_archE908ELNS1_3gpuE7ELNS1_3repE0EEENS1_44radix_sort_block_sort_config_static_selectorELNS0_4arch9wavefront6targetE0EEEvSF_
    .private_segment_fixed_size: 0
    .sgpr_count:     0
    .sgpr_spill_count: 0
    .symbol:         _ZN7rocprim17ROCPRIM_400000_NS6detail17trampoline_kernelINS0_13kernel_configILj256ELj4ELj4294967295EEENS1_37radix_sort_block_sort_config_selectorIaNS0_10empty_typeEEEZNS1_21radix_sort_block_sortIS4_Lb0EPKaPaPS6_SC_NS0_19identity_decomposerEEE10hipError_tT1_T2_T3_T4_jRjT5_jjP12ihipStream_tbEUlT_E_NS1_11comp_targetILNS1_3genE3ELNS1_11target_archE908ELNS1_3gpuE7ELNS1_3repE0EEENS1_44radix_sort_block_sort_config_static_selectorELNS0_4arch9wavefront6targetE0EEEvSF_.kd
    .uniform_work_group_size: 1
    .uses_dynamic_stack: false
    .vgpr_count:     0
    .vgpr_spill_count: 0
    .wavefront_size: 32
  - .args:
      - .offset:         0
        .size:           48
        .value_kind:     by_value
    .group_segment_fixed_size: 0
    .kernarg_segment_align: 8
    .kernarg_segment_size: 48
    .language:       OpenCL C
    .language_version:
      - 2
      - 0
    .max_flat_workgroup_size: 256
    .name:           _ZN7rocprim17ROCPRIM_400000_NS6detail17trampoline_kernelINS0_13kernel_configILj256ELj4ELj4294967295EEENS1_37radix_sort_block_sort_config_selectorIaNS0_10empty_typeEEEZNS1_21radix_sort_block_sortIS4_Lb0EPKaPaPS6_SC_NS0_19identity_decomposerEEE10hipError_tT1_T2_T3_T4_jRjT5_jjP12ihipStream_tbEUlT_E_NS1_11comp_targetILNS1_3genE2ELNS1_11target_archE906ELNS1_3gpuE6ELNS1_3repE0EEENS1_44radix_sort_block_sort_config_static_selectorELNS0_4arch9wavefront6targetE0EEEvSF_
    .private_segment_fixed_size: 0
    .sgpr_count:     0
    .sgpr_spill_count: 0
    .symbol:         _ZN7rocprim17ROCPRIM_400000_NS6detail17trampoline_kernelINS0_13kernel_configILj256ELj4ELj4294967295EEENS1_37radix_sort_block_sort_config_selectorIaNS0_10empty_typeEEEZNS1_21radix_sort_block_sortIS4_Lb0EPKaPaPS6_SC_NS0_19identity_decomposerEEE10hipError_tT1_T2_T3_T4_jRjT5_jjP12ihipStream_tbEUlT_E_NS1_11comp_targetILNS1_3genE2ELNS1_11target_archE906ELNS1_3gpuE6ELNS1_3repE0EEENS1_44radix_sort_block_sort_config_static_selectorELNS0_4arch9wavefront6targetE0EEEvSF_.kd
    .uniform_work_group_size: 1
    .uses_dynamic_stack: false
    .vgpr_count:     0
    .vgpr_spill_count: 0
    .wavefront_size: 32
  - .args:
      - .offset:         0
        .size:           48
        .value_kind:     by_value
    .group_segment_fixed_size: 0
    .kernarg_segment_align: 8
    .kernarg_segment_size: 48
    .language:       OpenCL C
    .language_version:
      - 2
      - 0
    .max_flat_workgroup_size: 256
    .name:           _ZN7rocprim17ROCPRIM_400000_NS6detail17trampoline_kernelINS0_13kernel_configILj256ELj4ELj4294967295EEENS1_37radix_sort_block_sort_config_selectorIaNS0_10empty_typeEEEZNS1_21radix_sort_block_sortIS4_Lb0EPKaPaPS6_SC_NS0_19identity_decomposerEEE10hipError_tT1_T2_T3_T4_jRjT5_jjP12ihipStream_tbEUlT_E_NS1_11comp_targetILNS1_3genE10ELNS1_11target_archE1201ELNS1_3gpuE5ELNS1_3repE0EEENS1_44radix_sort_block_sort_config_static_selectorELNS0_4arch9wavefront6targetE0EEEvSF_
    .private_segment_fixed_size: 0
    .sgpr_count:     0
    .sgpr_spill_count: 0
    .symbol:         _ZN7rocprim17ROCPRIM_400000_NS6detail17trampoline_kernelINS0_13kernel_configILj256ELj4ELj4294967295EEENS1_37radix_sort_block_sort_config_selectorIaNS0_10empty_typeEEEZNS1_21radix_sort_block_sortIS4_Lb0EPKaPaPS6_SC_NS0_19identity_decomposerEEE10hipError_tT1_T2_T3_T4_jRjT5_jjP12ihipStream_tbEUlT_E_NS1_11comp_targetILNS1_3genE10ELNS1_11target_archE1201ELNS1_3gpuE5ELNS1_3repE0EEENS1_44radix_sort_block_sort_config_static_selectorELNS0_4arch9wavefront6targetE0EEEvSF_.kd
    .uniform_work_group_size: 1
    .uses_dynamic_stack: false
    .vgpr_count:     0
    .vgpr_spill_count: 0
    .wavefront_size: 32
  - .args:
      - .offset:         0
        .size:           48
        .value_kind:     by_value
    .group_segment_fixed_size: 0
    .kernarg_segment_align: 8
    .kernarg_segment_size: 48
    .language:       OpenCL C
    .language_version:
      - 2
      - 0
    .max_flat_workgroup_size: 256
    .name:           _ZN7rocprim17ROCPRIM_400000_NS6detail17trampoline_kernelINS0_13kernel_configILj256ELj4ELj4294967295EEENS1_37radix_sort_block_sort_config_selectorIaNS0_10empty_typeEEEZNS1_21radix_sort_block_sortIS4_Lb0EPKaPaPS6_SC_NS0_19identity_decomposerEEE10hipError_tT1_T2_T3_T4_jRjT5_jjP12ihipStream_tbEUlT_E_NS1_11comp_targetILNS1_3genE10ELNS1_11target_archE1200ELNS1_3gpuE4ELNS1_3repE0EEENS1_44radix_sort_block_sort_config_static_selectorELNS0_4arch9wavefront6targetE0EEEvSF_
    .private_segment_fixed_size: 0
    .sgpr_count:     0
    .sgpr_spill_count: 0
    .symbol:         _ZN7rocprim17ROCPRIM_400000_NS6detail17trampoline_kernelINS0_13kernel_configILj256ELj4ELj4294967295EEENS1_37radix_sort_block_sort_config_selectorIaNS0_10empty_typeEEEZNS1_21radix_sort_block_sortIS4_Lb0EPKaPaPS6_SC_NS0_19identity_decomposerEEE10hipError_tT1_T2_T3_T4_jRjT5_jjP12ihipStream_tbEUlT_E_NS1_11comp_targetILNS1_3genE10ELNS1_11target_archE1200ELNS1_3gpuE4ELNS1_3repE0EEENS1_44radix_sort_block_sort_config_static_selectorELNS0_4arch9wavefront6targetE0EEEvSF_.kd
    .uniform_work_group_size: 1
    .uses_dynamic_stack: false
    .vgpr_count:     0
    .vgpr_spill_count: 0
    .wavefront_size: 32
  - .args:
      - .offset:         0
        .size:           48
        .value_kind:     by_value
    .group_segment_fixed_size: 0
    .kernarg_segment_align: 8
    .kernarg_segment_size: 48
    .language:       OpenCL C
    .language_version:
      - 2
      - 0
    .max_flat_workgroup_size: 256
    .name:           _ZN7rocprim17ROCPRIM_400000_NS6detail17trampoline_kernelINS0_13kernel_configILj256ELj4ELj4294967295EEENS1_37radix_sort_block_sort_config_selectorIaNS0_10empty_typeEEEZNS1_21radix_sort_block_sortIS4_Lb0EPKaPaPS6_SC_NS0_19identity_decomposerEEE10hipError_tT1_T2_T3_T4_jRjT5_jjP12ihipStream_tbEUlT_E_NS1_11comp_targetILNS1_3genE9ELNS1_11target_archE1100ELNS1_3gpuE3ELNS1_3repE0EEENS1_44radix_sort_block_sort_config_static_selectorELNS0_4arch9wavefront6targetE0EEEvSF_
    .private_segment_fixed_size: 0
    .sgpr_count:     0
    .sgpr_spill_count: 0
    .symbol:         _ZN7rocprim17ROCPRIM_400000_NS6detail17trampoline_kernelINS0_13kernel_configILj256ELj4ELj4294967295EEENS1_37radix_sort_block_sort_config_selectorIaNS0_10empty_typeEEEZNS1_21radix_sort_block_sortIS4_Lb0EPKaPaPS6_SC_NS0_19identity_decomposerEEE10hipError_tT1_T2_T3_T4_jRjT5_jjP12ihipStream_tbEUlT_E_NS1_11comp_targetILNS1_3genE9ELNS1_11target_archE1100ELNS1_3gpuE3ELNS1_3repE0EEENS1_44radix_sort_block_sort_config_static_selectorELNS0_4arch9wavefront6targetE0EEEvSF_.kd
    .uniform_work_group_size: 1
    .uses_dynamic_stack: false
    .vgpr_count:     0
    .vgpr_spill_count: 0
    .wavefront_size: 32
  - .args:
      - .offset:         0
        .size:           48
        .value_kind:     by_value
    .group_segment_fixed_size: 0
    .kernarg_segment_align: 8
    .kernarg_segment_size: 48
    .language:       OpenCL C
    .language_version:
      - 2
      - 0
    .max_flat_workgroup_size: 256
    .name:           _ZN7rocprim17ROCPRIM_400000_NS6detail17trampoline_kernelINS0_13kernel_configILj256ELj4ELj4294967295EEENS1_37radix_sort_block_sort_config_selectorIaNS0_10empty_typeEEEZNS1_21radix_sort_block_sortIS4_Lb0EPKaPaPS6_SC_NS0_19identity_decomposerEEE10hipError_tT1_T2_T3_T4_jRjT5_jjP12ihipStream_tbEUlT_E_NS1_11comp_targetILNS1_3genE8ELNS1_11target_archE1030ELNS1_3gpuE2ELNS1_3repE0EEENS1_44radix_sort_block_sort_config_static_selectorELNS0_4arch9wavefront6targetE0EEEvSF_
    .private_segment_fixed_size: 0
    .sgpr_count:     0
    .sgpr_spill_count: 0
    .symbol:         _ZN7rocprim17ROCPRIM_400000_NS6detail17trampoline_kernelINS0_13kernel_configILj256ELj4ELj4294967295EEENS1_37radix_sort_block_sort_config_selectorIaNS0_10empty_typeEEEZNS1_21radix_sort_block_sortIS4_Lb0EPKaPaPS6_SC_NS0_19identity_decomposerEEE10hipError_tT1_T2_T3_T4_jRjT5_jjP12ihipStream_tbEUlT_E_NS1_11comp_targetILNS1_3genE8ELNS1_11target_archE1030ELNS1_3gpuE2ELNS1_3repE0EEENS1_44radix_sort_block_sort_config_static_selectorELNS0_4arch9wavefront6targetE0EEEvSF_.kd
    .uniform_work_group_size: 1
    .uses_dynamic_stack: false
    .vgpr_count:     0
    .vgpr_spill_count: 0
    .wavefront_size: 32
  - .args:
      - .offset:         0
        .size:           40
        .value_kind:     by_value
    .group_segment_fixed_size: 0
    .kernarg_segment_align: 8
    .kernarg_segment_size: 40
    .language:       OpenCL C
    .language_version:
      - 2
      - 0
    .max_flat_workgroup_size: 128
    .name:           _ZN7rocprim17ROCPRIM_400000_NS6detail17trampoline_kernelINS0_14default_configENS1_38merge_sort_block_merge_config_selectorIaNS0_10empty_typeEEEZZNS1_27merge_sort_block_merge_implIS3_PaPS5_jNS1_19radix_merge_compareILb0ELb0EaNS0_19identity_decomposerEEEEE10hipError_tT0_T1_T2_jT3_P12ihipStream_tbPNSt15iterator_traitsISE_E10value_typeEPNSK_ISF_E10value_typeEPSG_NS1_7vsmem_tEENKUlT_SE_SF_SG_E_clIS8_S8_S9_S9_EESD_ST_SE_SF_SG_EUlST_E_NS1_11comp_targetILNS1_3genE0ELNS1_11target_archE4294967295ELNS1_3gpuE0ELNS1_3repE0EEENS1_48merge_mergepath_partition_config_static_selectorELNS0_4arch9wavefront6targetE0EEEvSF_
    .private_segment_fixed_size: 0
    .sgpr_count:     8
    .sgpr_spill_count: 0
    .symbol:         _ZN7rocprim17ROCPRIM_400000_NS6detail17trampoline_kernelINS0_14default_configENS1_38merge_sort_block_merge_config_selectorIaNS0_10empty_typeEEEZZNS1_27merge_sort_block_merge_implIS3_PaPS5_jNS1_19radix_merge_compareILb0ELb0EaNS0_19identity_decomposerEEEEE10hipError_tT0_T1_T2_jT3_P12ihipStream_tbPNSt15iterator_traitsISE_E10value_typeEPNSK_ISF_E10value_typeEPSG_NS1_7vsmem_tEENKUlT_SE_SF_SG_E_clIS8_S8_S9_S9_EESD_ST_SE_SF_SG_EUlST_E_NS1_11comp_targetILNS1_3genE0ELNS1_11target_archE4294967295ELNS1_3gpuE0ELNS1_3repE0EEENS1_48merge_mergepath_partition_config_static_selectorELNS0_4arch9wavefront6targetE0EEEvSF_.kd
    .uniform_work_group_size: 1
    .uses_dynamic_stack: false
    .vgpr_count:     17
    .vgpr_spill_count: 0
    .wavefront_size: 32
  - .args:
      - .offset:         0
        .size:           40
        .value_kind:     by_value
    .group_segment_fixed_size: 0
    .kernarg_segment_align: 8
    .kernarg_segment_size: 40
    .language:       OpenCL C
    .language_version:
      - 2
      - 0
    .max_flat_workgroup_size: 128
    .name:           _ZN7rocprim17ROCPRIM_400000_NS6detail17trampoline_kernelINS0_14default_configENS1_38merge_sort_block_merge_config_selectorIaNS0_10empty_typeEEEZZNS1_27merge_sort_block_merge_implIS3_PaPS5_jNS1_19radix_merge_compareILb0ELb0EaNS0_19identity_decomposerEEEEE10hipError_tT0_T1_T2_jT3_P12ihipStream_tbPNSt15iterator_traitsISE_E10value_typeEPNSK_ISF_E10value_typeEPSG_NS1_7vsmem_tEENKUlT_SE_SF_SG_E_clIS8_S8_S9_S9_EESD_ST_SE_SF_SG_EUlST_E_NS1_11comp_targetILNS1_3genE10ELNS1_11target_archE1201ELNS1_3gpuE5ELNS1_3repE0EEENS1_48merge_mergepath_partition_config_static_selectorELNS0_4arch9wavefront6targetE0EEEvSF_
    .private_segment_fixed_size: 0
    .sgpr_count:     0
    .sgpr_spill_count: 0
    .symbol:         _ZN7rocprim17ROCPRIM_400000_NS6detail17trampoline_kernelINS0_14default_configENS1_38merge_sort_block_merge_config_selectorIaNS0_10empty_typeEEEZZNS1_27merge_sort_block_merge_implIS3_PaPS5_jNS1_19radix_merge_compareILb0ELb0EaNS0_19identity_decomposerEEEEE10hipError_tT0_T1_T2_jT3_P12ihipStream_tbPNSt15iterator_traitsISE_E10value_typeEPNSK_ISF_E10value_typeEPSG_NS1_7vsmem_tEENKUlT_SE_SF_SG_E_clIS8_S8_S9_S9_EESD_ST_SE_SF_SG_EUlST_E_NS1_11comp_targetILNS1_3genE10ELNS1_11target_archE1201ELNS1_3gpuE5ELNS1_3repE0EEENS1_48merge_mergepath_partition_config_static_selectorELNS0_4arch9wavefront6targetE0EEEvSF_.kd
    .uniform_work_group_size: 1
    .uses_dynamic_stack: false
    .vgpr_count:     0
    .vgpr_spill_count: 0
    .wavefront_size: 32
  - .args:
      - .offset:         0
        .size:           40
        .value_kind:     by_value
    .group_segment_fixed_size: 0
    .kernarg_segment_align: 8
    .kernarg_segment_size: 40
    .language:       OpenCL C
    .language_version:
      - 2
      - 0
    .max_flat_workgroup_size: 128
    .name:           _ZN7rocprim17ROCPRIM_400000_NS6detail17trampoline_kernelINS0_14default_configENS1_38merge_sort_block_merge_config_selectorIaNS0_10empty_typeEEEZZNS1_27merge_sort_block_merge_implIS3_PaPS5_jNS1_19radix_merge_compareILb0ELb0EaNS0_19identity_decomposerEEEEE10hipError_tT0_T1_T2_jT3_P12ihipStream_tbPNSt15iterator_traitsISE_E10value_typeEPNSK_ISF_E10value_typeEPSG_NS1_7vsmem_tEENKUlT_SE_SF_SG_E_clIS8_S8_S9_S9_EESD_ST_SE_SF_SG_EUlST_E_NS1_11comp_targetILNS1_3genE5ELNS1_11target_archE942ELNS1_3gpuE9ELNS1_3repE0EEENS1_48merge_mergepath_partition_config_static_selectorELNS0_4arch9wavefront6targetE0EEEvSF_
    .private_segment_fixed_size: 0
    .sgpr_count:     0
    .sgpr_spill_count: 0
    .symbol:         _ZN7rocprim17ROCPRIM_400000_NS6detail17trampoline_kernelINS0_14default_configENS1_38merge_sort_block_merge_config_selectorIaNS0_10empty_typeEEEZZNS1_27merge_sort_block_merge_implIS3_PaPS5_jNS1_19radix_merge_compareILb0ELb0EaNS0_19identity_decomposerEEEEE10hipError_tT0_T1_T2_jT3_P12ihipStream_tbPNSt15iterator_traitsISE_E10value_typeEPNSK_ISF_E10value_typeEPSG_NS1_7vsmem_tEENKUlT_SE_SF_SG_E_clIS8_S8_S9_S9_EESD_ST_SE_SF_SG_EUlST_E_NS1_11comp_targetILNS1_3genE5ELNS1_11target_archE942ELNS1_3gpuE9ELNS1_3repE0EEENS1_48merge_mergepath_partition_config_static_selectorELNS0_4arch9wavefront6targetE0EEEvSF_.kd
    .uniform_work_group_size: 1
    .uses_dynamic_stack: false
    .vgpr_count:     0
    .vgpr_spill_count: 0
    .wavefront_size: 32
  - .args:
      - .offset:         0
        .size:           40
        .value_kind:     by_value
    .group_segment_fixed_size: 0
    .kernarg_segment_align: 8
    .kernarg_segment_size: 40
    .language:       OpenCL C
    .language_version:
      - 2
      - 0
    .max_flat_workgroup_size: 128
    .name:           _ZN7rocprim17ROCPRIM_400000_NS6detail17trampoline_kernelINS0_14default_configENS1_38merge_sort_block_merge_config_selectorIaNS0_10empty_typeEEEZZNS1_27merge_sort_block_merge_implIS3_PaPS5_jNS1_19radix_merge_compareILb0ELb0EaNS0_19identity_decomposerEEEEE10hipError_tT0_T1_T2_jT3_P12ihipStream_tbPNSt15iterator_traitsISE_E10value_typeEPNSK_ISF_E10value_typeEPSG_NS1_7vsmem_tEENKUlT_SE_SF_SG_E_clIS8_S8_S9_S9_EESD_ST_SE_SF_SG_EUlST_E_NS1_11comp_targetILNS1_3genE4ELNS1_11target_archE910ELNS1_3gpuE8ELNS1_3repE0EEENS1_48merge_mergepath_partition_config_static_selectorELNS0_4arch9wavefront6targetE0EEEvSF_
    .private_segment_fixed_size: 0
    .sgpr_count:     0
    .sgpr_spill_count: 0
    .symbol:         _ZN7rocprim17ROCPRIM_400000_NS6detail17trampoline_kernelINS0_14default_configENS1_38merge_sort_block_merge_config_selectorIaNS0_10empty_typeEEEZZNS1_27merge_sort_block_merge_implIS3_PaPS5_jNS1_19radix_merge_compareILb0ELb0EaNS0_19identity_decomposerEEEEE10hipError_tT0_T1_T2_jT3_P12ihipStream_tbPNSt15iterator_traitsISE_E10value_typeEPNSK_ISF_E10value_typeEPSG_NS1_7vsmem_tEENKUlT_SE_SF_SG_E_clIS8_S8_S9_S9_EESD_ST_SE_SF_SG_EUlST_E_NS1_11comp_targetILNS1_3genE4ELNS1_11target_archE910ELNS1_3gpuE8ELNS1_3repE0EEENS1_48merge_mergepath_partition_config_static_selectorELNS0_4arch9wavefront6targetE0EEEvSF_.kd
    .uniform_work_group_size: 1
    .uses_dynamic_stack: false
    .vgpr_count:     0
    .vgpr_spill_count: 0
    .wavefront_size: 32
  - .args:
      - .offset:         0
        .size:           40
        .value_kind:     by_value
    .group_segment_fixed_size: 0
    .kernarg_segment_align: 8
    .kernarg_segment_size: 40
    .language:       OpenCL C
    .language_version:
      - 2
      - 0
    .max_flat_workgroup_size: 128
    .name:           _ZN7rocprim17ROCPRIM_400000_NS6detail17trampoline_kernelINS0_14default_configENS1_38merge_sort_block_merge_config_selectorIaNS0_10empty_typeEEEZZNS1_27merge_sort_block_merge_implIS3_PaPS5_jNS1_19radix_merge_compareILb0ELb0EaNS0_19identity_decomposerEEEEE10hipError_tT0_T1_T2_jT3_P12ihipStream_tbPNSt15iterator_traitsISE_E10value_typeEPNSK_ISF_E10value_typeEPSG_NS1_7vsmem_tEENKUlT_SE_SF_SG_E_clIS8_S8_S9_S9_EESD_ST_SE_SF_SG_EUlST_E_NS1_11comp_targetILNS1_3genE3ELNS1_11target_archE908ELNS1_3gpuE7ELNS1_3repE0EEENS1_48merge_mergepath_partition_config_static_selectorELNS0_4arch9wavefront6targetE0EEEvSF_
    .private_segment_fixed_size: 0
    .sgpr_count:     0
    .sgpr_spill_count: 0
    .symbol:         _ZN7rocprim17ROCPRIM_400000_NS6detail17trampoline_kernelINS0_14default_configENS1_38merge_sort_block_merge_config_selectorIaNS0_10empty_typeEEEZZNS1_27merge_sort_block_merge_implIS3_PaPS5_jNS1_19radix_merge_compareILb0ELb0EaNS0_19identity_decomposerEEEEE10hipError_tT0_T1_T2_jT3_P12ihipStream_tbPNSt15iterator_traitsISE_E10value_typeEPNSK_ISF_E10value_typeEPSG_NS1_7vsmem_tEENKUlT_SE_SF_SG_E_clIS8_S8_S9_S9_EESD_ST_SE_SF_SG_EUlST_E_NS1_11comp_targetILNS1_3genE3ELNS1_11target_archE908ELNS1_3gpuE7ELNS1_3repE0EEENS1_48merge_mergepath_partition_config_static_selectorELNS0_4arch9wavefront6targetE0EEEvSF_.kd
    .uniform_work_group_size: 1
    .uses_dynamic_stack: false
    .vgpr_count:     0
    .vgpr_spill_count: 0
    .wavefront_size: 32
  - .args:
      - .offset:         0
        .size:           40
        .value_kind:     by_value
    .group_segment_fixed_size: 0
    .kernarg_segment_align: 8
    .kernarg_segment_size: 40
    .language:       OpenCL C
    .language_version:
      - 2
      - 0
    .max_flat_workgroup_size: 128
    .name:           _ZN7rocprim17ROCPRIM_400000_NS6detail17trampoline_kernelINS0_14default_configENS1_38merge_sort_block_merge_config_selectorIaNS0_10empty_typeEEEZZNS1_27merge_sort_block_merge_implIS3_PaPS5_jNS1_19radix_merge_compareILb0ELb0EaNS0_19identity_decomposerEEEEE10hipError_tT0_T1_T2_jT3_P12ihipStream_tbPNSt15iterator_traitsISE_E10value_typeEPNSK_ISF_E10value_typeEPSG_NS1_7vsmem_tEENKUlT_SE_SF_SG_E_clIS8_S8_S9_S9_EESD_ST_SE_SF_SG_EUlST_E_NS1_11comp_targetILNS1_3genE2ELNS1_11target_archE906ELNS1_3gpuE6ELNS1_3repE0EEENS1_48merge_mergepath_partition_config_static_selectorELNS0_4arch9wavefront6targetE0EEEvSF_
    .private_segment_fixed_size: 0
    .sgpr_count:     0
    .sgpr_spill_count: 0
    .symbol:         _ZN7rocprim17ROCPRIM_400000_NS6detail17trampoline_kernelINS0_14default_configENS1_38merge_sort_block_merge_config_selectorIaNS0_10empty_typeEEEZZNS1_27merge_sort_block_merge_implIS3_PaPS5_jNS1_19radix_merge_compareILb0ELb0EaNS0_19identity_decomposerEEEEE10hipError_tT0_T1_T2_jT3_P12ihipStream_tbPNSt15iterator_traitsISE_E10value_typeEPNSK_ISF_E10value_typeEPSG_NS1_7vsmem_tEENKUlT_SE_SF_SG_E_clIS8_S8_S9_S9_EESD_ST_SE_SF_SG_EUlST_E_NS1_11comp_targetILNS1_3genE2ELNS1_11target_archE906ELNS1_3gpuE6ELNS1_3repE0EEENS1_48merge_mergepath_partition_config_static_selectorELNS0_4arch9wavefront6targetE0EEEvSF_.kd
    .uniform_work_group_size: 1
    .uses_dynamic_stack: false
    .vgpr_count:     0
    .vgpr_spill_count: 0
    .wavefront_size: 32
  - .args:
      - .offset:         0
        .size:           40
        .value_kind:     by_value
    .group_segment_fixed_size: 0
    .kernarg_segment_align: 8
    .kernarg_segment_size: 40
    .language:       OpenCL C
    .language_version:
      - 2
      - 0
    .max_flat_workgroup_size: 128
    .name:           _ZN7rocprim17ROCPRIM_400000_NS6detail17trampoline_kernelINS0_14default_configENS1_38merge_sort_block_merge_config_selectorIaNS0_10empty_typeEEEZZNS1_27merge_sort_block_merge_implIS3_PaPS5_jNS1_19radix_merge_compareILb0ELb0EaNS0_19identity_decomposerEEEEE10hipError_tT0_T1_T2_jT3_P12ihipStream_tbPNSt15iterator_traitsISE_E10value_typeEPNSK_ISF_E10value_typeEPSG_NS1_7vsmem_tEENKUlT_SE_SF_SG_E_clIS8_S8_S9_S9_EESD_ST_SE_SF_SG_EUlST_E_NS1_11comp_targetILNS1_3genE9ELNS1_11target_archE1100ELNS1_3gpuE3ELNS1_3repE0EEENS1_48merge_mergepath_partition_config_static_selectorELNS0_4arch9wavefront6targetE0EEEvSF_
    .private_segment_fixed_size: 0
    .sgpr_count:     0
    .sgpr_spill_count: 0
    .symbol:         _ZN7rocprim17ROCPRIM_400000_NS6detail17trampoline_kernelINS0_14default_configENS1_38merge_sort_block_merge_config_selectorIaNS0_10empty_typeEEEZZNS1_27merge_sort_block_merge_implIS3_PaPS5_jNS1_19radix_merge_compareILb0ELb0EaNS0_19identity_decomposerEEEEE10hipError_tT0_T1_T2_jT3_P12ihipStream_tbPNSt15iterator_traitsISE_E10value_typeEPNSK_ISF_E10value_typeEPSG_NS1_7vsmem_tEENKUlT_SE_SF_SG_E_clIS8_S8_S9_S9_EESD_ST_SE_SF_SG_EUlST_E_NS1_11comp_targetILNS1_3genE9ELNS1_11target_archE1100ELNS1_3gpuE3ELNS1_3repE0EEENS1_48merge_mergepath_partition_config_static_selectorELNS0_4arch9wavefront6targetE0EEEvSF_.kd
    .uniform_work_group_size: 1
    .uses_dynamic_stack: false
    .vgpr_count:     0
    .vgpr_spill_count: 0
    .wavefront_size: 32
  - .args:
      - .offset:         0
        .size:           40
        .value_kind:     by_value
    .group_segment_fixed_size: 0
    .kernarg_segment_align: 8
    .kernarg_segment_size: 40
    .language:       OpenCL C
    .language_version:
      - 2
      - 0
    .max_flat_workgroup_size: 128
    .name:           _ZN7rocprim17ROCPRIM_400000_NS6detail17trampoline_kernelINS0_14default_configENS1_38merge_sort_block_merge_config_selectorIaNS0_10empty_typeEEEZZNS1_27merge_sort_block_merge_implIS3_PaPS5_jNS1_19radix_merge_compareILb0ELb0EaNS0_19identity_decomposerEEEEE10hipError_tT0_T1_T2_jT3_P12ihipStream_tbPNSt15iterator_traitsISE_E10value_typeEPNSK_ISF_E10value_typeEPSG_NS1_7vsmem_tEENKUlT_SE_SF_SG_E_clIS8_S8_S9_S9_EESD_ST_SE_SF_SG_EUlST_E_NS1_11comp_targetILNS1_3genE8ELNS1_11target_archE1030ELNS1_3gpuE2ELNS1_3repE0EEENS1_48merge_mergepath_partition_config_static_selectorELNS0_4arch9wavefront6targetE0EEEvSF_
    .private_segment_fixed_size: 0
    .sgpr_count:     0
    .sgpr_spill_count: 0
    .symbol:         _ZN7rocprim17ROCPRIM_400000_NS6detail17trampoline_kernelINS0_14default_configENS1_38merge_sort_block_merge_config_selectorIaNS0_10empty_typeEEEZZNS1_27merge_sort_block_merge_implIS3_PaPS5_jNS1_19radix_merge_compareILb0ELb0EaNS0_19identity_decomposerEEEEE10hipError_tT0_T1_T2_jT3_P12ihipStream_tbPNSt15iterator_traitsISE_E10value_typeEPNSK_ISF_E10value_typeEPSG_NS1_7vsmem_tEENKUlT_SE_SF_SG_E_clIS8_S8_S9_S9_EESD_ST_SE_SF_SG_EUlST_E_NS1_11comp_targetILNS1_3genE8ELNS1_11target_archE1030ELNS1_3gpuE2ELNS1_3repE0EEENS1_48merge_mergepath_partition_config_static_selectorELNS0_4arch9wavefront6targetE0EEEvSF_.kd
    .uniform_work_group_size: 1
    .uses_dynamic_stack: false
    .vgpr_count:     0
    .vgpr_spill_count: 0
    .wavefront_size: 32
  - .args:
      - .offset:         0
        .size:           64
        .value_kind:     by_value
      - .offset:         64
        .size:           4
        .value_kind:     hidden_block_count_x
      - .offset:         68
        .size:           4
        .value_kind:     hidden_block_count_y
      - .offset:         72
        .size:           4
        .value_kind:     hidden_block_count_z
      - .offset:         76
        .size:           2
        .value_kind:     hidden_group_size_x
      - .offset:         78
        .size:           2
        .value_kind:     hidden_group_size_y
      - .offset:         80
        .size:           2
        .value_kind:     hidden_group_size_z
      - .offset:         82
        .size:           2
        .value_kind:     hidden_remainder_x
      - .offset:         84
        .size:           2
        .value_kind:     hidden_remainder_y
      - .offset:         86
        .size:           2
        .value_kind:     hidden_remainder_z
      - .offset:         104
        .size:           8
        .value_kind:     hidden_global_offset_x
      - .offset:         112
        .size:           8
        .value_kind:     hidden_global_offset_y
      - .offset:         120
        .size:           8
        .value_kind:     hidden_global_offset_z
      - .offset:         128
        .size:           2
        .value_kind:     hidden_grid_dims
    .group_segment_fixed_size: 1056
    .kernarg_segment_align: 8
    .kernarg_segment_size: 320
    .language:       OpenCL C
    .language_version:
      - 2
      - 0
    .max_flat_workgroup_size: 128
    .name:           _ZN7rocprim17ROCPRIM_400000_NS6detail17trampoline_kernelINS0_14default_configENS1_38merge_sort_block_merge_config_selectorIaNS0_10empty_typeEEEZZNS1_27merge_sort_block_merge_implIS3_PaPS5_jNS1_19radix_merge_compareILb0ELb0EaNS0_19identity_decomposerEEEEE10hipError_tT0_T1_T2_jT3_P12ihipStream_tbPNSt15iterator_traitsISE_E10value_typeEPNSK_ISF_E10value_typeEPSG_NS1_7vsmem_tEENKUlT_SE_SF_SG_E_clIS8_S8_S9_S9_EESD_ST_SE_SF_SG_EUlST_E0_NS1_11comp_targetILNS1_3genE0ELNS1_11target_archE4294967295ELNS1_3gpuE0ELNS1_3repE0EEENS1_38merge_mergepath_config_static_selectorELNS0_4arch9wavefront6targetE0EEEvSF_
    .private_segment_fixed_size: 0
    .sgpr_count:     24
    .sgpr_spill_count: 0
    .symbol:         _ZN7rocprim17ROCPRIM_400000_NS6detail17trampoline_kernelINS0_14default_configENS1_38merge_sort_block_merge_config_selectorIaNS0_10empty_typeEEEZZNS1_27merge_sort_block_merge_implIS3_PaPS5_jNS1_19radix_merge_compareILb0ELb0EaNS0_19identity_decomposerEEEEE10hipError_tT0_T1_T2_jT3_P12ihipStream_tbPNSt15iterator_traitsISE_E10value_typeEPNSK_ISF_E10value_typeEPSG_NS1_7vsmem_tEENKUlT_SE_SF_SG_E_clIS8_S8_S9_S9_EESD_ST_SE_SF_SG_EUlST_E0_NS1_11comp_targetILNS1_3genE0ELNS1_11target_archE4294967295ELNS1_3gpuE0ELNS1_3repE0EEENS1_38merge_mergepath_config_static_selectorELNS0_4arch9wavefront6targetE0EEEvSF_.kd
    .uniform_work_group_size: 1
    .uses_dynamic_stack: false
    .vgpr_count:     34
    .vgpr_spill_count: 0
    .wavefront_size: 32
  - .args:
      - .offset:         0
        .size:           64
        .value_kind:     by_value
    .group_segment_fixed_size: 0
    .kernarg_segment_align: 8
    .kernarg_segment_size: 64
    .language:       OpenCL C
    .language_version:
      - 2
      - 0
    .max_flat_workgroup_size: 128
    .name:           _ZN7rocprim17ROCPRIM_400000_NS6detail17trampoline_kernelINS0_14default_configENS1_38merge_sort_block_merge_config_selectorIaNS0_10empty_typeEEEZZNS1_27merge_sort_block_merge_implIS3_PaPS5_jNS1_19radix_merge_compareILb0ELb0EaNS0_19identity_decomposerEEEEE10hipError_tT0_T1_T2_jT3_P12ihipStream_tbPNSt15iterator_traitsISE_E10value_typeEPNSK_ISF_E10value_typeEPSG_NS1_7vsmem_tEENKUlT_SE_SF_SG_E_clIS8_S8_S9_S9_EESD_ST_SE_SF_SG_EUlST_E0_NS1_11comp_targetILNS1_3genE10ELNS1_11target_archE1201ELNS1_3gpuE5ELNS1_3repE0EEENS1_38merge_mergepath_config_static_selectorELNS0_4arch9wavefront6targetE0EEEvSF_
    .private_segment_fixed_size: 0
    .sgpr_count:     0
    .sgpr_spill_count: 0
    .symbol:         _ZN7rocprim17ROCPRIM_400000_NS6detail17trampoline_kernelINS0_14default_configENS1_38merge_sort_block_merge_config_selectorIaNS0_10empty_typeEEEZZNS1_27merge_sort_block_merge_implIS3_PaPS5_jNS1_19radix_merge_compareILb0ELb0EaNS0_19identity_decomposerEEEEE10hipError_tT0_T1_T2_jT3_P12ihipStream_tbPNSt15iterator_traitsISE_E10value_typeEPNSK_ISF_E10value_typeEPSG_NS1_7vsmem_tEENKUlT_SE_SF_SG_E_clIS8_S8_S9_S9_EESD_ST_SE_SF_SG_EUlST_E0_NS1_11comp_targetILNS1_3genE10ELNS1_11target_archE1201ELNS1_3gpuE5ELNS1_3repE0EEENS1_38merge_mergepath_config_static_selectorELNS0_4arch9wavefront6targetE0EEEvSF_.kd
    .uniform_work_group_size: 1
    .uses_dynamic_stack: false
    .vgpr_count:     0
    .vgpr_spill_count: 0
    .wavefront_size: 32
  - .args:
      - .offset:         0
        .size:           64
        .value_kind:     by_value
    .group_segment_fixed_size: 0
    .kernarg_segment_align: 8
    .kernarg_segment_size: 64
    .language:       OpenCL C
    .language_version:
      - 2
      - 0
    .max_flat_workgroup_size: 128
    .name:           _ZN7rocprim17ROCPRIM_400000_NS6detail17trampoline_kernelINS0_14default_configENS1_38merge_sort_block_merge_config_selectorIaNS0_10empty_typeEEEZZNS1_27merge_sort_block_merge_implIS3_PaPS5_jNS1_19radix_merge_compareILb0ELb0EaNS0_19identity_decomposerEEEEE10hipError_tT0_T1_T2_jT3_P12ihipStream_tbPNSt15iterator_traitsISE_E10value_typeEPNSK_ISF_E10value_typeEPSG_NS1_7vsmem_tEENKUlT_SE_SF_SG_E_clIS8_S8_S9_S9_EESD_ST_SE_SF_SG_EUlST_E0_NS1_11comp_targetILNS1_3genE5ELNS1_11target_archE942ELNS1_3gpuE9ELNS1_3repE0EEENS1_38merge_mergepath_config_static_selectorELNS0_4arch9wavefront6targetE0EEEvSF_
    .private_segment_fixed_size: 0
    .sgpr_count:     0
    .sgpr_spill_count: 0
    .symbol:         _ZN7rocprim17ROCPRIM_400000_NS6detail17trampoline_kernelINS0_14default_configENS1_38merge_sort_block_merge_config_selectorIaNS0_10empty_typeEEEZZNS1_27merge_sort_block_merge_implIS3_PaPS5_jNS1_19radix_merge_compareILb0ELb0EaNS0_19identity_decomposerEEEEE10hipError_tT0_T1_T2_jT3_P12ihipStream_tbPNSt15iterator_traitsISE_E10value_typeEPNSK_ISF_E10value_typeEPSG_NS1_7vsmem_tEENKUlT_SE_SF_SG_E_clIS8_S8_S9_S9_EESD_ST_SE_SF_SG_EUlST_E0_NS1_11comp_targetILNS1_3genE5ELNS1_11target_archE942ELNS1_3gpuE9ELNS1_3repE0EEENS1_38merge_mergepath_config_static_selectorELNS0_4arch9wavefront6targetE0EEEvSF_.kd
    .uniform_work_group_size: 1
    .uses_dynamic_stack: false
    .vgpr_count:     0
    .vgpr_spill_count: 0
    .wavefront_size: 32
  - .args:
      - .offset:         0
        .size:           64
        .value_kind:     by_value
    .group_segment_fixed_size: 0
    .kernarg_segment_align: 8
    .kernarg_segment_size: 64
    .language:       OpenCL C
    .language_version:
      - 2
      - 0
    .max_flat_workgroup_size: 128
    .name:           _ZN7rocprim17ROCPRIM_400000_NS6detail17trampoline_kernelINS0_14default_configENS1_38merge_sort_block_merge_config_selectorIaNS0_10empty_typeEEEZZNS1_27merge_sort_block_merge_implIS3_PaPS5_jNS1_19radix_merge_compareILb0ELb0EaNS0_19identity_decomposerEEEEE10hipError_tT0_T1_T2_jT3_P12ihipStream_tbPNSt15iterator_traitsISE_E10value_typeEPNSK_ISF_E10value_typeEPSG_NS1_7vsmem_tEENKUlT_SE_SF_SG_E_clIS8_S8_S9_S9_EESD_ST_SE_SF_SG_EUlST_E0_NS1_11comp_targetILNS1_3genE4ELNS1_11target_archE910ELNS1_3gpuE8ELNS1_3repE0EEENS1_38merge_mergepath_config_static_selectorELNS0_4arch9wavefront6targetE0EEEvSF_
    .private_segment_fixed_size: 0
    .sgpr_count:     0
    .sgpr_spill_count: 0
    .symbol:         _ZN7rocprim17ROCPRIM_400000_NS6detail17trampoline_kernelINS0_14default_configENS1_38merge_sort_block_merge_config_selectorIaNS0_10empty_typeEEEZZNS1_27merge_sort_block_merge_implIS3_PaPS5_jNS1_19radix_merge_compareILb0ELb0EaNS0_19identity_decomposerEEEEE10hipError_tT0_T1_T2_jT3_P12ihipStream_tbPNSt15iterator_traitsISE_E10value_typeEPNSK_ISF_E10value_typeEPSG_NS1_7vsmem_tEENKUlT_SE_SF_SG_E_clIS8_S8_S9_S9_EESD_ST_SE_SF_SG_EUlST_E0_NS1_11comp_targetILNS1_3genE4ELNS1_11target_archE910ELNS1_3gpuE8ELNS1_3repE0EEENS1_38merge_mergepath_config_static_selectorELNS0_4arch9wavefront6targetE0EEEvSF_.kd
    .uniform_work_group_size: 1
    .uses_dynamic_stack: false
    .vgpr_count:     0
    .vgpr_spill_count: 0
    .wavefront_size: 32
  - .args:
      - .offset:         0
        .size:           64
        .value_kind:     by_value
    .group_segment_fixed_size: 0
    .kernarg_segment_align: 8
    .kernarg_segment_size: 64
    .language:       OpenCL C
    .language_version:
      - 2
      - 0
    .max_flat_workgroup_size: 128
    .name:           _ZN7rocprim17ROCPRIM_400000_NS6detail17trampoline_kernelINS0_14default_configENS1_38merge_sort_block_merge_config_selectorIaNS0_10empty_typeEEEZZNS1_27merge_sort_block_merge_implIS3_PaPS5_jNS1_19radix_merge_compareILb0ELb0EaNS0_19identity_decomposerEEEEE10hipError_tT0_T1_T2_jT3_P12ihipStream_tbPNSt15iterator_traitsISE_E10value_typeEPNSK_ISF_E10value_typeEPSG_NS1_7vsmem_tEENKUlT_SE_SF_SG_E_clIS8_S8_S9_S9_EESD_ST_SE_SF_SG_EUlST_E0_NS1_11comp_targetILNS1_3genE3ELNS1_11target_archE908ELNS1_3gpuE7ELNS1_3repE0EEENS1_38merge_mergepath_config_static_selectorELNS0_4arch9wavefront6targetE0EEEvSF_
    .private_segment_fixed_size: 0
    .sgpr_count:     0
    .sgpr_spill_count: 0
    .symbol:         _ZN7rocprim17ROCPRIM_400000_NS6detail17trampoline_kernelINS0_14default_configENS1_38merge_sort_block_merge_config_selectorIaNS0_10empty_typeEEEZZNS1_27merge_sort_block_merge_implIS3_PaPS5_jNS1_19radix_merge_compareILb0ELb0EaNS0_19identity_decomposerEEEEE10hipError_tT0_T1_T2_jT3_P12ihipStream_tbPNSt15iterator_traitsISE_E10value_typeEPNSK_ISF_E10value_typeEPSG_NS1_7vsmem_tEENKUlT_SE_SF_SG_E_clIS8_S8_S9_S9_EESD_ST_SE_SF_SG_EUlST_E0_NS1_11comp_targetILNS1_3genE3ELNS1_11target_archE908ELNS1_3gpuE7ELNS1_3repE0EEENS1_38merge_mergepath_config_static_selectorELNS0_4arch9wavefront6targetE0EEEvSF_.kd
    .uniform_work_group_size: 1
    .uses_dynamic_stack: false
    .vgpr_count:     0
    .vgpr_spill_count: 0
    .wavefront_size: 32
  - .args:
      - .offset:         0
        .size:           64
        .value_kind:     by_value
    .group_segment_fixed_size: 0
    .kernarg_segment_align: 8
    .kernarg_segment_size: 64
    .language:       OpenCL C
    .language_version:
      - 2
      - 0
    .max_flat_workgroup_size: 128
    .name:           _ZN7rocprim17ROCPRIM_400000_NS6detail17trampoline_kernelINS0_14default_configENS1_38merge_sort_block_merge_config_selectorIaNS0_10empty_typeEEEZZNS1_27merge_sort_block_merge_implIS3_PaPS5_jNS1_19radix_merge_compareILb0ELb0EaNS0_19identity_decomposerEEEEE10hipError_tT0_T1_T2_jT3_P12ihipStream_tbPNSt15iterator_traitsISE_E10value_typeEPNSK_ISF_E10value_typeEPSG_NS1_7vsmem_tEENKUlT_SE_SF_SG_E_clIS8_S8_S9_S9_EESD_ST_SE_SF_SG_EUlST_E0_NS1_11comp_targetILNS1_3genE2ELNS1_11target_archE906ELNS1_3gpuE6ELNS1_3repE0EEENS1_38merge_mergepath_config_static_selectorELNS0_4arch9wavefront6targetE0EEEvSF_
    .private_segment_fixed_size: 0
    .sgpr_count:     0
    .sgpr_spill_count: 0
    .symbol:         _ZN7rocprim17ROCPRIM_400000_NS6detail17trampoline_kernelINS0_14default_configENS1_38merge_sort_block_merge_config_selectorIaNS0_10empty_typeEEEZZNS1_27merge_sort_block_merge_implIS3_PaPS5_jNS1_19radix_merge_compareILb0ELb0EaNS0_19identity_decomposerEEEEE10hipError_tT0_T1_T2_jT3_P12ihipStream_tbPNSt15iterator_traitsISE_E10value_typeEPNSK_ISF_E10value_typeEPSG_NS1_7vsmem_tEENKUlT_SE_SF_SG_E_clIS8_S8_S9_S9_EESD_ST_SE_SF_SG_EUlST_E0_NS1_11comp_targetILNS1_3genE2ELNS1_11target_archE906ELNS1_3gpuE6ELNS1_3repE0EEENS1_38merge_mergepath_config_static_selectorELNS0_4arch9wavefront6targetE0EEEvSF_.kd
    .uniform_work_group_size: 1
    .uses_dynamic_stack: false
    .vgpr_count:     0
    .vgpr_spill_count: 0
    .wavefront_size: 32
  - .args:
      - .offset:         0
        .size:           64
        .value_kind:     by_value
    .group_segment_fixed_size: 0
    .kernarg_segment_align: 8
    .kernarg_segment_size: 64
    .language:       OpenCL C
    .language_version:
      - 2
      - 0
    .max_flat_workgroup_size: 128
    .name:           _ZN7rocprim17ROCPRIM_400000_NS6detail17trampoline_kernelINS0_14default_configENS1_38merge_sort_block_merge_config_selectorIaNS0_10empty_typeEEEZZNS1_27merge_sort_block_merge_implIS3_PaPS5_jNS1_19radix_merge_compareILb0ELb0EaNS0_19identity_decomposerEEEEE10hipError_tT0_T1_T2_jT3_P12ihipStream_tbPNSt15iterator_traitsISE_E10value_typeEPNSK_ISF_E10value_typeEPSG_NS1_7vsmem_tEENKUlT_SE_SF_SG_E_clIS8_S8_S9_S9_EESD_ST_SE_SF_SG_EUlST_E0_NS1_11comp_targetILNS1_3genE9ELNS1_11target_archE1100ELNS1_3gpuE3ELNS1_3repE0EEENS1_38merge_mergepath_config_static_selectorELNS0_4arch9wavefront6targetE0EEEvSF_
    .private_segment_fixed_size: 0
    .sgpr_count:     0
    .sgpr_spill_count: 0
    .symbol:         _ZN7rocprim17ROCPRIM_400000_NS6detail17trampoline_kernelINS0_14default_configENS1_38merge_sort_block_merge_config_selectorIaNS0_10empty_typeEEEZZNS1_27merge_sort_block_merge_implIS3_PaPS5_jNS1_19radix_merge_compareILb0ELb0EaNS0_19identity_decomposerEEEEE10hipError_tT0_T1_T2_jT3_P12ihipStream_tbPNSt15iterator_traitsISE_E10value_typeEPNSK_ISF_E10value_typeEPSG_NS1_7vsmem_tEENKUlT_SE_SF_SG_E_clIS8_S8_S9_S9_EESD_ST_SE_SF_SG_EUlST_E0_NS1_11comp_targetILNS1_3genE9ELNS1_11target_archE1100ELNS1_3gpuE3ELNS1_3repE0EEENS1_38merge_mergepath_config_static_selectorELNS0_4arch9wavefront6targetE0EEEvSF_.kd
    .uniform_work_group_size: 1
    .uses_dynamic_stack: false
    .vgpr_count:     0
    .vgpr_spill_count: 0
    .wavefront_size: 32
  - .args:
      - .offset:         0
        .size:           64
        .value_kind:     by_value
    .group_segment_fixed_size: 0
    .kernarg_segment_align: 8
    .kernarg_segment_size: 64
    .language:       OpenCL C
    .language_version:
      - 2
      - 0
    .max_flat_workgroup_size: 128
    .name:           _ZN7rocprim17ROCPRIM_400000_NS6detail17trampoline_kernelINS0_14default_configENS1_38merge_sort_block_merge_config_selectorIaNS0_10empty_typeEEEZZNS1_27merge_sort_block_merge_implIS3_PaPS5_jNS1_19radix_merge_compareILb0ELb0EaNS0_19identity_decomposerEEEEE10hipError_tT0_T1_T2_jT3_P12ihipStream_tbPNSt15iterator_traitsISE_E10value_typeEPNSK_ISF_E10value_typeEPSG_NS1_7vsmem_tEENKUlT_SE_SF_SG_E_clIS8_S8_S9_S9_EESD_ST_SE_SF_SG_EUlST_E0_NS1_11comp_targetILNS1_3genE8ELNS1_11target_archE1030ELNS1_3gpuE2ELNS1_3repE0EEENS1_38merge_mergepath_config_static_selectorELNS0_4arch9wavefront6targetE0EEEvSF_
    .private_segment_fixed_size: 0
    .sgpr_count:     0
    .sgpr_spill_count: 0
    .symbol:         _ZN7rocprim17ROCPRIM_400000_NS6detail17trampoline_kernelINS0_14default_configENS1_38merge_sort_block_merge_config_selectorIaNS0_10empty_typeEEEZZNS1_27merge_sort_block_merge_implIS3_PaPS5_jNS1_19radix_merge_compareILb0ELb0EaNS0_19identity_decomposerEEEEE10hipError_tT0_T1_T2_jT3_P12ihipStream_tbPNSt15iterator_traitsISE_E10value_typeEPNSK_ISF_E10value_typeEPSG_NS1_7vsmem_tEENKUlT_SE_SF_SG_E_clIS8_S8_S9_S9_EESD_ST_SE_SF_SG_EUlST_E0_NS1_11comp_targetILNS1_3genE8ELNS1_11target_archE1030ELNS1_3gpuE2ELNS1_3repE0EEENS1_38merge_mergepath_config_static_selectorELNS0_4arch9wavefront6targetE0EEEvSF_.kd
    .uniform_work_group_size: 1
    .uses_dynamic_stack: false
    .vgpr_count:     0
    .vgpr_spill_count: 0
    .wavefront_size: 32
  - .args:
      - .offset:         0
        .size:           48
        .value_kind:     by_value
    .group_segment_fixed_size: 0
    .kernarg_segment_align: 8
    .kernarg_segment_size: 48
    .language:       OpenCL C
    .language_version:
      - 2
      - 0
    .max_flat_workgroup_size: 256
    .name:           _ZN7rocprim17ROCPRIM_400000_NS6detail17trampoline_kernelINS0_14default_configENS1_38merge_sort_block_merge_config_selectorIaNS0_10empty_typeEEEZZNS1_27merge_sort_block_merge_implIS3_PaPS5_jNS1_19radix_merge_compareILb0ELb0EaNS0_19identity_decomposerEEEEE10hipError_tT0_T1_T2_jT3_P12ihipStream_tbPNSt15iterator_traitsISE_E10value_typeEPNSK_ISF_E10value_typeEPSG_NS1_7vsmem_tEENKUlT_SE_SF_SG_E_clIS8_S8_S9_S9_EESD_ST_SE_SF_SG_EUlST_E1_NS1_11comp_targetILNS1_3genE0ELNS1_11target_archE4294967295ELNS1_3gpuE0ELNS1_3repE0EEENS1_36merge_oddeven_config_static_selectorELNS0_4arch9wavefront6targetE0EEEvSF_
    .private_segment_fixed_size: 0
    .sgpr_count:     17
    .sgpr_spill_count: 0
    .symbol:         _ZN7rocprim17ROCPRIM_400000_NS6detail17trampoline_kernelINS0_14default_configENS1_38merge_sort_block_merge_config_selectorIaNS0_10empty_typeEEEZZNS1_27merge_sort_block_merge_implIS3_PaPS5_jNS1_19radix_merge_compareILb0ELb0EaNS0_19identity_decomposerEEEEE10hipError_tT0_T1_T2_jT3_P12ihipStream_tbPNSt15iterator_traitsISE_E10value_typeEPNSK_ISF_E10value_typeEPSG_NS1_7vsmem_tEENKUlT_SE_SF_SG_E_clIS8_S8_S9_S9_EESD_ST_SE_SF_SG_EUlST_E1_NS1_11comp_targetILNS1_3genE0ELNS1_11target_archE4294967295ELNS1_3gpuE0ELNS1_3repE0EEENS1_36merge_oddeven_config_static_selectorELNS0_4arch9wavefront6targetE0EEEvSF_.kd
    .uniform_work_group_size: 1
    .uses_dynamic_stack: false
    .vgpr_count:     7
    .vgpr_spill_count: 0
    .wavefront_size: 32
  - .args:
      - .offset:         0
        .size:           48
        .value_kind:     by_value
    .group_segment_fixed_size: 0
    .kernarg_segment_align: 8
    .kernarg_segment_size: 48
    .language:       OpenCL C
    .language_version:
      - 2
      - 0
    .max_flat_workgroup_size: 256
    .name:           _ZN7rocprim17ROCPRIM_400000_NS6detail17trampoline_kernelINS0_14default_configENS1_38merge_sort_block_merge_config_selectorIaNS0_10empty_typeEEEZZNS1_27merge_sort_block_merge_implIS3_PaPS5_jNS1_19radix_merge_compareILb0ELb0EaNS0_19identity_decomposerEEEEE10hipError_tT0_T1_T2_jT3_P12ihipStream_tbPNSt15iterator_traitsISE_E10value_typeEPNSK_ISF_E10value_typeEPSG_NS1_7vsmem_tEENKUlT_SE_SF_SG_E_clIS8_S8_S9_S9_EESD_ST_SE_SF_SG_EUlST_E1_NS1_11comp_targetILNS1_3genE10ELNS1_11target_archE1201ELNS1_3gpuE5ELNS1_3repE0EEENS1_36merge_oddeven_config_static_selectorELNS0_4arch9wavefront6targetE0EEEvSF_
    .private_segment_fixed_size: 0
    .sgpr_count:     0
    .sgpr_spill_count: 0
    .symbol:         _ZN7rocprim17ROCPRIM_400000_NS6detail17trampoline_kernelINS0_14default_configENS1_38merge_sort_block_merge_config_selectorIaNS0_10empty_typeEEEZZNS1_27merge_sort_block_merge_implIS3_PaPS5_jNS1_19radix_merge_compareILb0ELb0EaNS0_19identity_decomposerEEEEE10hipError_tT0_T1_T2_jT3_P12ihipStream_tbPNSt15iterator_traitsISE_E10value_typeEPNSK_ISF_E10value_typeEPSG_NS1_7vsmem_tEENKUlT_SE_SF_SG_E_clIS8_S8_S9_S9_EESD_ST_SE_SF_SG_EUlST_E1_NS1_11comp_targetILNS1_3genE10ELNS1_11target_archE1201ELNS1_3gpuE5ELNS1_3repE0EEENS1_36merge_oddeven_config_static_selectorELNS0_4arch9wavefront6targetE0EEEvSF_.kd
    .uniform_work_group_size: 1
    .uses_dynamic_stack: false
    .vgpr_count:     0
    .vgpr_spill_count: 0
    .wavefront_size: 32
  - .args:
      - .offset:         0
        .size:           48
        .value_kind:     by_value
    .group_segment_fixed_size: 0
    .kernarg_segment_align: 8
    .kernarg_segment_size: 48
    .language:       OpenCL C
    .language_version:
      - 2
      - 0
    .max_flat_workgroup_size: 256
    .name:           _ZN7rocprim17ROCPRIM_400000_NS6detail17trampoline_kernelINS0_14default_configENS1_38merge_sort_block_merge_config_selectorIaNS0_10empty_typeEEEZZNS1_27merge_sort_block_merge_implIS3_PaPS5_jNS1_19radix_merge_compareILb0ELb0EaNS0_19identity_decomposerEEEEE10hipError_tT0_T1_T2_jT3_P12ihipStream_tbPNSt15iterator_traitsISE_E10value_typeEPNSK_ISF_E10value_typeEPSG_NS1_7vsmem_tEENKUlT_SE_SF_SG_E_clIS8_S8_S9_S9_EESD_ST_SE_SF_SG_EUlST_E1_NS1_11comp_targetILNS1_3genE5ELNS1_11target_archE942ELNS1_3gpuE9ELNS1_3repE0EEENS1_36merge_oddeven_config_static_selectorELNS0_4arch9wavefront6targetE0EEEvSF_
    .private_segment_fixed_size: 0
    .sgpr_count:     0
    .sgpr_spill_count: 0
    .symbol:         _ZN7rocprim17ROCPRIM_400000_NS6detail17trampoline_kernelINS0_14default_configENS1_38merge_sort_block_merge_config_selectorIaNS0_10empty_typeEEEZZNS1_27merge_sort_block_merge_implIS3_PaPS5_jNS1_19radix_merge_compareILb0ELb0EaNS0_19identity_decomposerEEEEE10hipError_tT0_T1_T2_jT3_P12ihipStream_tbPNSt15iterator_traitsISE_E10value_typeEPNSK_ISF_E10value_typeEPSG_NS1_7vsmem_tEENKUlT_SE_SF_SG_E_clIS8_S8_S9_S9_EESD_ST_SE_SF_SG_EUlST_E1_NS1_11comp_targetILNS1_3genE5ELNS1_11target_archE942ELNS1_3gpuE9ELNS1_3repE0EEENS1_36merge_oddeven_config_static_selectorELNS0_4arch9wavefront6targetE0EEEvSF_.kd
    .uniform_work_group_size: 1
    .uses_dynamic_stack: false
    .vgpr_count:     0
    .vgpr_spill_count: 0
    .wavefront_size: 32
  - .args:
      - .offset:         0
        .size:           48
        .value_kind:     by_value
    .group_segment_fixed_size: 0
    .kernarg_segment_align: 8
    .kernarg_segment_size: 48
    .language:       OpenCL C
    .language_version:
      - 2
      - 0
    .max_flat_workgroup_size: 256
    .name:           _ZN7rocprim17ROCPRIM_400000_NS6detail17trampoline_kernelINS0_14default_configENS1_38merge_sort_block_merge_config_selectorIaNS0_10empty_typeEEEZZNS1_27merge_sort_block_merge_implIS3_PaPS5_jNS1_19radix_merge_compareILb0ELb0EaNS0_19identity_decomposerEEEEE10hipError_tT0_T1_T2_jT3_P12ihipStream_tbPNSt15iterator_traitsISE_E10value_typeEPNSK_ISF_E10value_typeEPSG_NS1_7vsmem_tEENKUlT_SE_SF_SG_E_clIS8_S8_S9_S9_EESD_ST_SE_SF_SG_EUlST_E1_NS1_11comp_targetILNS1_3genE4ELNS1_11target_archE910ELNS1_3gpuE8ELNS1_3repE0EEENS1_36merge_oddeven_config_static_selectorELNS0_4arch9wavefront6targetE0EEEvSF_
    .private_segment_fixed_size: 0
    .sgpr_count:     0
    .sgpr_spill_count: 0
    .symbol:         _ZN7rocprim17ROCPRIM_400000_NS6detail17trampoline_kernelINS0_14default_configENS1_38merge_sort_block_merge_config_selectorIaNS0_10empty_typeEEEZZNS1_27merge_sort_block_merge_implIS3_PaPS5_jNS1_19radix_merge_compareILb0ELb0EaNS0_19identity_decomposerEEEEE10hipError_tT0_T1_T2_jT3_P12ihipStream_tbPNSt15iterator_traitsISE_E10value_typeEPNSK_ISF_E10value_typeEPSG_NS1_7vsmem_tEENKUlT_SE_SF_SG_E_clIS8_S8_S9_S9_EESD_ST_SE_SF_SG_EUlST_E1_NS1_11comp_targetILNS1_3genE4ELNS1_11target_archE910ELNS1_3gpuE8ELNS1_3repE0EEENS1_36merge_oddeven_config_static_selectorELNS0_4arch9wavefront6targetE0EEEvSF_.kd
    .uniform_work_group_size: 1
    .uses_dynamic_stack: false
    .vgpr_count:     0
    .vgpr_spill_count: 0
    .wavefront_size: 32
  - .args:
      - .offset:         0
        .size:           48
        .value_kind:     by_value
    .group_segment_fixed_size: 0
    .kernarg_segment_align: 8
    .kernarg_segment_size: 48
    .language:       OpenCL C
    .language_version:
      - 2
      - 0
    .max_flat_workgroup_size: 256
    .name:           _ZN7rocprim17ROCPRIM_400000_NS6detail17trampoline_kernelINS0_14default_configENS1_38merge_sort_block_merge_config_selectorIaNS0_10empty_typeEEEZZNS1_27merge_sort_block_merge_implIS3_PaPS5_jNS1_19radix_merge_compareILb0ELb0EaNS0_19identity_decomposerEEEEE10hipError_tT0_T1_T2_jT3_P12ihipStream_tbPNSt15iterator_traitsISE_E10value_typeEPNSK_ISF_E10value_typeEPSG_NS1_7vsmem_tEENKUlT_SE_SF_SG_E_clIS8_S8_S9_S9_EESD_ST_SE_SF_SG_EUlST_E1_NS1_11comp_targetILNS1_3genE3ELNS1_11target_archE908ELNS1_3gpuE7ELNS1_3repE0EEENS1_36merge_oddeven_config_static_selectorELNS0_4arch9wavefront6targetE0EEEvSF_
    .private_segment_fixed_size: 0
    .sgpr_count:     0
    .sgpr_spill_count: 0
    .symbol:         _ZN7rocprim17ROCPRIM_400000_NS6detail17trampoline_kernelINS0_14default_configENS1_38merge_sort_block_merge_config_selectorIaNS0_10empty_typeEEEZZNS1_27merge_sort_block_merge_implIS3_PaPS5_jNS1_19radix_merge_compareILb0ELb0EaNS0_19identity_decomposerEEEEE10hipError_tT0_T1_T2_jT3_P12ihipStream_tbPNSt15iterator_traitsISE_E10value_typeEPNSK_ISF_E10value_typeEPSG_NS1_7vsmem_tEENKUlT_SE_SF_SG_E_clIS8_S8_S9_S9_EESD_ST_SE_SF_SG_EUlST_E1_NS1_11comp_targetILNS1_3genE3ELNS1_11target_archE908ELNS1_3gpuE7ELNS1_3repE0EEENS1_36merge_oddeven_config_static_selectorELNS0_4arch9wavefront6targetE0EEEvSF_.kd
    .uniform_work_group_size: 1
    .uses_dynamic_stack: false
    .vgpr_count:     0
    .vgpr_spill_count: 0
    .wavefront_size: 32
  - .args:
      - .offset:         0
        .size:           48
        .value_kind:     by_value
    .group_segment_fixed_size: 0
    .kernarg_segment_align: 8
    .kernarg_segment_size: 48
    .language:       OpenCL C
    .language_version:
      - 2
      - 0
    .max_flat_workgroup_size: 256
    .name:           _ZN7rocprim17ROCPRIM_400000_NS6detail17trampoline_kernelINS0_14default_configENS1_38merge_sort_block_merge_config_selectorIaNS0_10empty_typeEEEZZNS1_27merge_sort_block_merge_implIS3_PaPS5_jNS1_19radix_merge_compareILb0ELb0EaNS0_19identity_decomposerEEEEE10hipError_tT0_T1_T2_jT3_P12ihipStream_tbPNSt15iterator_traitsISE_E10value_typeEPNSK_ISF_E10value_typeEPSG_NS1_7vsmem_tEENKUlT_SE_SF_SG_E_clIS8_S8_S9_S9_EESD_ST_SE_SF_SG_EUlST_E1_NS1_11comp_targetILNS1_3genE2ELNS1_11target_archE906ELNS1_3gpuE6ELNS1_3repE0EEENS1_36merge_oddeven_config_static_selectorELNS0_4arch9wavefront6targetE0EEEvSF_
    .private_segment_fixed_size: 0
    .sgpr_count:     0
    .sgpr_spill_count: 0
    .symbol:         _ZN7rocprim17ROCPRIM_400000_NS6detail17trampoline_kernelINS0_14default_configENS1_38merge_sort_block_merge_config_selectorIaNS0_10empty_typeEEEZZNS1_27merge_sort_block_merge_implIS3_PaPS5_jNS1_19radix_merge_compareILb0ELb0EaNS0_19identity_decomposerEEEEE10hipError_tT0_T1_T2_jT3_P12ihipStream_tbPNSt15iterator_traitsISE_E10value_typeEPNSK_ISF_E10value_typeEPSG_NS1_7vsmem_tEENKUlT_SE_SF_SG_E_clIS8_S8_S9_S9_EESD_ST_SE_SF_SG_EUlST_E1_NS1_11comp_targetILNS1_3genE2ELNS1_11target_archE906ELNS1_3gpuE6ELNS1_3repE0EEENS1_36merge_oddeven_config_static_selectorELNS0_4arch9wavefront6targetE0EEEvSF_.kd
    .uniform_work_group_size: 1
    .uses_dynamic_stack: false
    .vgpr_count:     0
    .vgpr_spill_count: 0
    .wavefront_size: 32
  - .args:
      - .offset:         0
        .size:           48
        .value_kind:     by_value
    .group_segment_fixed_size: 0
    .kernarg_segment_align: 8
    .kernarg_segment_size: 48
    .language:       OpenCL C
    .language_version:
      - 2
      - 0
    .max_flat_workgroup_size: 256
    .name:           _ZN7rocprim17ROCPRIM_400000_NS6detail17trampoline_kernelINS0_14default_configENS1_38merge_sort_block_merge_config_selectorIaNS0_10empty_typeEEEZZNS1_27merge_sort_block_merge_implIS3_PaPS5_jNS1_19radix_merge_compareILb0ELb0EaNS0_19identity_decomposerEEEEE10hipError_tT0_T1_T2_jT3_P12ihipStream_tbPNSt15iterator_traitsISE_E10value_typeEPNSK_ISF_E10value_typeEPSG_NS1_7vsmem_tEENKUlT_SE_SF_SG_E_clIS8_S8_S9_S9_EESD_ST_SE_SF_SG_EUlST_E1_NS1_11comp_targetILNS1_3genE9ELNS1_11target_archE1100ELNS1_3gpuE3ELNS1_3repE0EEENS1_36merge_oddeven_config_static_selectorELNS0_4arch9wavefront6targetE0EEEvSF_
    .private_segment_fixed_size: 0
    .sgpr_count:     0
    .sgpr_spill_count: 0
    .symbol:         _ZN7rocprim17ROCPRIM_400000_NS6detail17trampoline_kernelINS0_14default_configENS1_38merge_sort_block_merge_config_selectorIaNS0_10empty_typeEEEZZNS1_27merge_sort_block_merge_implIS3_PaPS5_jNS1_19radix_merge_compareILb0ELb0EaNS0_19identity_decomposerEEEEE10hipError_tT0_T1_T2_jT3_P12ihipStream_tbPNSt15iterator_traitsISE_E10value_typeEPNSK_ISF_E10value_typeEPSG_NS1_7vsmem_tEENKUlT_SE_SF_SG_E_clIS8_S8_S9_S9_EESD_ST_SE_SF_SG_EUlST_E1_NS1_11comp_targetILNS1_3genE9ELNS1_11target_archE1100ELNS1_3gpuE3ELNS1_3repE0EEENS1_36merge_oddeven_config_static_selectorELNS0_4arch9wavefront6targetE0EEEvSF_.kd
    .uniform_work_group_size: 1
    .uses_dynamic_stack: false
    .vgpr_count:     0
    .vgpr_spill_count: 0
    .wavefront_size: 32
  - .args:
      - .offset:         0
        .size:           48
        .value_kind:     by_value
    .group_segment_fixed_size: 0
    .kernarg_segment_align: 8
    .kernarg_segment_size: 48
    .language:       OpenCL C
    .language_version:
      - 2
      - 0
    .max_flat_workgroup_size: 256
    .name:           _ZN7rocprim17ROCPRIM_400000_NS6detail17trampoline_kernelINS0_14default_configENS1_38merge_sort_block_merge_config_selectorIaNS0_10empty_typeEEEZZNS1_27merge_sort_block_merge_implIS3_PaPS5_jNS1_19radix_merge_compareILb0ELb0EaNS0_19identity_decomposerEEEEE10hipError_tT0_T1_T2_jT3_P12ihipStream_tbPNSt15iterator_traitsISE_E10value_typeEPNSK_ISF_E10value_typeEPSG_NS1_7vsmem_tEENKUlT_SE_SF_SG_E_clIS8_S8_S9_S9_EESD_ST_SE_SF_SG_EUlST_E1_NS1_11comp_targetILNS1_3genE8ELNS1_11target_archE1030ELNS1_3gpuE2ELNS1_3repE0EEENS1_36merge_oddeven_config_static_selectorELNS0_4arch9wavefront6targetE0EEEvSF_
    .private_segment_fixed_size: 0
    .sgpr_count:     0
    .sgpr_spill_count: 0
    .symbol:         _ZN7rocprim17ROCPRIM_400000_NS6detail17trampoline_kernelINS0_14default_configENS1_38merge_sort_block_merge_config_selectorIaNS0_10empty_typeEEEZZNS1_27merge_sort_block_merge_implIS3_PaPS5_jNS1_19radix_merge_compareILb0ELb0EaNS0_19identity_decomposerEEEEE10hipError_tT0_T1_T2_jT3_P12ihipStream_tbPNSt15iterator_traitsISE_E10value_typeEPNSK_ISF_E10value_typeEPSG_NS1_7vsmem_tEENKUlT_SE_SF_SG_E_clIS8_S8_S9_S9_EESD_ST_SE_SF_SG_EUlST_E1_NS1_11comp_targetILNS1_3genE8ELNS1_11target_archE1030ELNS1_3gpuE2ELNS1_3repE0EEENS1_36merge_oddeven_config_static_selectorELNS0_4arch9wavefront6targetE0EEEvSF_.kd
    .uniform_work_group_size: 1
    .uses_dynamic_stack: false
    .vgpr_count:     0
    .vgpr_spill_count: 0
    .wavefront_size: 32
  - .args:
      - .offset:         0
        .size:           40
        .value_kind:     by_value
    .group_segment_fixed_size: 0
    .kernarg_segment_align: 8
    .kernarg_segment_size: 40
    .language:       OpenCL C
    .language_version:
      - 2
      - 0
    .max_flat_workgroup_size: 128
    .name:           _ZN7rocprim17ROCPRIM_400000_NS6detail17trampoline_kernelINS0_14default_configENS1_38merge_sort_block_merge_config_selectorIaNS0_10empty_typeEEEZZNS1_27merge_sort_block_merge_implIS3_PaPS5_jNS1_19radix_merge_compareILb0ELb1EaNS0_19identity_decomposerEEEEE10hipError_tT0_T1_T2_jT3_P12ihipStream_tbPNSt15iterator_traitsISE_E10value_typeEPNSK_ISF_E10value_typeEPSG_NS1_7vsmem_tEENKUlT_SE_SF_SG_E_clIS8_S8_S9_S9_EESD_ST_SE_SF_SG_EUlST_E_NS1_11comp_targetILNS1_3genE0ELNS1_11target_archE4294967295ELNS1_3gpuE0ELNS1_3repE0EEENS1_48merge_mergepath_partition_config_static_selectorELNS0_4arch9wavefront6targetE0EEEvSF_
    .private_segment_fixed_size: 0
    .sgpr_count:     10
    .sgpr_spill_count: 0
    .symbol:         _ZN7rocprim17ROCPRIM_400000_NS6detail17trampoline_kernelINS0_14default_configENS1_38merge_sort_block_merge_config_selectorIaNS0_10empty_typeEEEZZNS1_27merge_sort_block_merge_implIS3_PaPS5_jNS1_19radix_merge_compareILb0ELb1EaNS0_19identity_decomposerEEEEE10hipError_tT0_T1_T2_jT3_P12ihipStream_tbPNSt15iterator_traitsISE_E10value_typeEPNSK_ISF_E10value_typeEPSG_NS1_7vsmem_tEENKUlT_SE_SF_SG_E_clIS8_S8_S9_S9_EESD_ST_SE_SF_SG_EUlST_E_NS1_11comp_targetILNS1_3genE0ELNS1_11target_archE4294967295ELNS1_3gpuE0ELNS1_3repE0EEENS1_48merge_mergepath_partition_config_static_selectorELNS0_4arch9wavefront6targetE0EEEvSF_.kd
    .uniform_work_group_size: 1
    .uses_dynamic_stack: false
    .vgpr_count:     17
    .vgpr_spill_count: 0
    .wavefront_size: 32
  - .args:
      - .offset:         0
        .size:           40
        .value_kind:     by_value
    .group_segment_fixed_size: 0
    .kernarg_segment_align: 8
    .kernarg_segment_size: 40
    .language:       OpenCL C
    .language_version:
      - 2
      - 0
    .max_flat_workgroup_size: 128
    .name:           _ZN7rocprim17ROCPRIM_400000_NS6detail17trampoline_kernelINS0_14default_configENS1_38merge_sort_block_merge_config_selectorIaNS0_10empty_typeEEEZZNS1_27merge_sort_block_merge_implIS3_PaPS5_jNS1_19radix_merge_compareILb0ELb1EaNS0_19identity_decomposerEEEEE10hipError_tT0_T1_T2_jT3_P12ihipStream_tbPNSt15iterator_traitsISE_E10value_typeEPNSK_ISF_E10value_typeEPSG_NS1_7vsmem_tEENKUlT_SE_SF_SG_E_clIS8_S8_S9_S9_EESD_ST_SE_SF_SG_EUlST_E_NS1_11comp_targetILNS1_3genE10ELNS1_11target_archE1201ELNS1_3gpuE5ELNS1_3repE0EEENS1_48merge_mergepath_partition_config_static_selectorELNS0_4arch9wavefront6targetE0EEEvSF_
    .private_segment_fixed_size: 0
    .sgpr_count:     0
    .sgpr_spill_count: 0
    .symbol:         _ZN7rocprim17ROCPRIM_400000_NS6detail17trampoline_kernelINS0_14default_configENS1_38merge_sort_block_merge_config_selectorIaNS0_10empty_typeEEEZZNS1_27merge_sort_block_merge_implIS3_PaPS5_jNS1_19radix_merge_compareILb0ELb1EaNS0_19identity_decomposerEEEEE10hipError_tT0_T1_T2_jT3_P12ihipStream_tbPNSt15iterator_traitsISE_E10value_typeEPNSK_ISF_E10value_typeEPSG_NS1_7vsmem_tEENKUlT_SE_SF_SG_E_clIS8_S8_S9_S9_EESD_ST_SE_SF_SG_EUlST_E_NS1_11comp_targetILNS1_3genE10ELNS1_11target_archE1201ELNS1_3gpuE5ELNS1_3repE0EEENS1_48merge_mergepath_partition_config_static_selectorELNS0_4arch9wavefront6targetE0EEEvSF_.kd
    .uniform_work_group_size: 1
    .uses_dynamic_stack: false
    .vgpr_count:     0
    .vgpr_spill_count: 0
    .wavefront_size: 32
  - .args:
      - .offset:         0
        .size:           40
        .value_kind:     by_value
    .group_segment_fixed_size: 0
    .kernarg_segment_align: 8
    .kernarg_segment_size: 40
    .language:       OpenCL C
    .language_version:
      - 2
      - 0
    .max_flat_workgroup_size: 128
    .name:           _ZN7rocprim17ROCPRIM_400000_NS6detail17trampoline_kernelINS0_14default_configENS1_38merge_sort_block_merge_config_selectorIaNS0_10empty_typeEEEZZNS1_27merge_sort_block_merge_implIS3_PaPS5_jNS1_19radix_merge_compareILb0ELb1EaNS0_19identity_decomposerEEEEE10hipError_tT0_T1_T2_jT3_P12ihipStream_tbPNSt15iterator_traitsISE_E10value_typeEPNSK_ISF_E10value_typeEPSG_NS1_7vsmem_tEENKUlT_SE_SF_SG_E_clIS8_S8_S9_S9_EESD_ST_SE_SF_SG_EUlST_E_NS1_11comp_targetILNS1_3genE5ELNS1_11target_archE942ELNS1_3gpuE9ELNS1_3repE0EEENS1_48merge_mergepath_partition_config_static_selectorELNS0_4arch9wavefront6targetE0EEEvSF_
    .private_segment_fixed_size: 0
    .sgpr_count:     0
    .sgpr_spill_count: 0
    .symbol:         _ZN7rocprim17ROCPRIM_400000_NS6detail17trampoline_kernelINS0_14default_configENS1_38merge_sort_block_merge_config_selectorIaNS0_10empty_typeEEEZZNS1_27merge_sort_block_merge_implIS3_PaPS5_jNS1_19radix_merge_compareILb0ELb1EaNS0_19identity_decomposerEEEEE10hipError_tT0_T1_T2_jT3_P12ihipStream_tbPNSt15iterator_traitsISE_E10value_typeEPNSK_ISF_E10value_typeEPSG_NS1_7vsmem_tEENKUlT_SE_SF_SG_E_clIS8_S8_S9_S9_EESD_ST_SE_SF_SG_EUlST_E_NS1_11comp_targetILNS1_3genE5ELNS1_11target_archE942ELNS1_3gpuE9ELNS1_3repE0EEENS1_48merge_mergepath_partition_config_static_selectorELNS0_4arch9wavefront6targetE0EEEvSF_.kd
    .uniform_work_group_size: 1
    .uses_dynamic_stack: false
    .vgpr_count:     0
    .vgpr_spill_count: 0
    .wavefront_size: 32
  - .args:
      - .offset:         0
        .size:           40
        .value_kind:     by_value
    .group_segment_fixed_size: 0
    .kernarg_segment_align: 8
    .kernarg_segment_size: 40
    .language:       OpenCL C
    .language_version:
      - 2
      - 0
    .max_flat_workgroup_size: 128
    .name:           _ZN7rocprim17ROCPRIM_400000_NS6detail17trampoline_kernelINS0_14default_configENS1_38merge_sort_block_merge_config_selectorIaNS0_10empty_typeEEEZZNS1_27merge_sort_block_merge_implIS3_PaPS5_jNS1_19radix_merge_compareILb0ELb1EaNS0_19identity_decomposerEEEEE10hipError_tT0_T1_T2_jT3_P12ihipStream_tbPNSt15iterator_traitsISE_E10value_typeEPNSK_ISF_E10value_typeEPSG_NS1_7vsmem_tEENKUlT_SE_SF_SG_E_clIS8_S8_S9_S9_EESD_ST_SE_SF_SG_EUlST_E_NS1_11comp_targetILNS1_3genE4ELNS1_11target_archE910ELNS1_3gpuE8ELNS1_3repE0EEENS1_48merge_mergepath_partition_config_static_selectorELNS0_4arch9wavefront6targetE0EEEvSF_
    .private_segment_fixed_size: 0
    .sgpr_count:     0
    .sgpr_spill_count: 0
    .symbol:         _ZN7rocprim17ROCPRIM_400000_NS6detail17trampoline_kernelINS0_14default_configENS1_38merge_sort_block_merge_config_selectorIaNS0_10empty_typeEEEZZNS1_27merge_sort_block_merge_implIS3_PaPS5_jNS1_19radix_merge_compareILb0ELb1EaNS0_19identity_decomposerEEEEE10hipError_tT0_T1_T2_jT3_P12ihipStream_tbPNSt15iterator_traitsISE_E10value_typeEPNSK_ISF_E10value_typeEPSG_NS1_7vsmem_tEENKUlT_SE_SF_SG_E_clIS8_S8_S9_S9_EESD_ST_SE_SF_SG_EUlST_E_NS1_11comp_targetILNS1_3genE4ELNS1_11target_archE910ELNS1_3gpuE8ELNS1_3repE0EEENS1_48merge_mergepath_partition_config_static_selectorELNS0_4arch9wavefront6targetE0EEEvSF_.kd
    .uniform_work_group_size: 1
    .uses_dynamic_stack: false
    .vgpr_count:     0
    .vgpr_spill_count: 0
    .wavefront_size: 32
  - .args:
      - .offset:         0
        .size:           40
        .value_kind:     by_value
    .group_segment_fixed_size: 0
    .kernarg_segment_align: 8
    .kernarg_segment_size: 40
    .language:       OpenCL C
    .language_version:
      - 2
      - 0
    .max_flat_workgroup_size: 128
    .name:           _ZN7rocprim17ROCPRIM_400000_NS6detail17trampoline_kernelINS0_14default_configENS1_38merge_sort_block_merge_config_selectorIaNS0_10empty_typeEEEZZNS1_27merge_sort_block_merge_implIS3_PaPS5_jNS1_19radix_merge_compareILb0ELb1EaNS0_19identity_decomposerEEEEE10hipError_tT0_T1_T2_jT3_P12ihipStream_tbPNSt15iterator_traitsISE_E10value_typeEPNSK_ISF_E10value_typeEPSG_NS1_7vsmem_tEENKUlT_SE_SF_SG_E_clIS8_S8_S9_S9_EESD_ST_SE_SF_SG_EUlST_E_NS1_11comp_targetILNS1_3genE3ELNS1_11target_archE908ELNS1_3gpuE7ELNS1_3repE0EEENS1_48merge_mergepath_partition_config_static_selectorELNS0_4arch9wavefront6targetE0EEEvSF_
    .private_segment_fixed_size: 0
    .sgpr_count:     0
    .sgpr_spill_count: 0
    .symbol:         _ZN7rocprim17ROCPRIM_400000_NS6detail17trampoline_kernelINS0_14default_configENS1_38merge_sort_block_merge_config_selectorIaNS0_10empty_typeEEEZZNS1_27merge_sort_block_merge_implIS3_PaPS5_jNS1_19radix_merge_compareILb0ELb1EaNS0_19identity_decomposerEEEEE10hipError_tT0_T1_T2_jT3_P12ihipStream_tbPNSt15iterator_traitsISE_E10value_typeEPNSK_ISF_E10value_typeEPSG_NS1_7vsmem_tEENKUlT_SE_SF_SG_E_clIS8_S8_S9_S9_EESD_ST_SE_SF_SG_EUlST_E_NS1_11comp_targetILNS1_3genE3ELNS1_11target_archE908ELNS1_3gpuE7ELNS1_3repE0EEENS1_48merge_mergepath_partition_config_static_selectorELNS0_4arch9wavefront6targetE0EEEvSF_.kd
    .uniform_work_group_size: 1
    .uses_dynamic_stack: false
    .vgpr_count:     0
    .vgpr_spill_count: 0
    .wavefront_size: 32
  - .args:
      - .offset:         0
        .size:           40
        .value_kind:     by_value
    .group_segment_fixed_size: 0
    .kernarg_segment_align: 8
    .kernarg_segment_size: 40
    .language:       OpenCL C
    .language_version:
      - 2
      - 0
    .max_flat_workgroup_size: 128
    .name:           _ZN7rocprim17ROCPRIM_400000_NS6detail17trampoline_kernelINS0_14default_configENS1_38merge_sort_block_merge_config_selectorIaNS0_10empty_typeEEEZZNS1_27merge_sort_block_merge_implIS3_PaPS5_jNS1_19radix_merge_compareILb0ELb1EaNS0_19identity_decomposerEEEEE10hipError_tT0_T1_T2_jT3_P12ihipStream_tbPNSt15iterator_traitsISE_E10value_typeEPNSK_ISF_E10value_typeEPSG_NS1_7vsmem_tEENKUlT_SE_SF_SG_E_clIS8_S8_S9_S9_EESD_ST_SE_SF_SG_EUlST_E_NS1_11comp_targetILNS1_3genE2ELNS1_11target_archE906ELNS1_3gpuE6ELNS1_3repE0EEENS1_48merge_mergepath_partition_config_static_selectorELNS0_4arch9wavefront6targetE0EEEvSF_
    .private_segment_fixed_size: 0
    .sgpr_count:     0
    .sgpr_spill_count: 0
    .symbol:         _ZN7rocprim17ROCPRIM_400000_NS6detail17trampoline_kernelINS0_14default_configENS1_38merge_sort_block_merge_config_selectorIaNS0_10empty_typeEEEZZNS1_27merge_sort_block_merge_implIS3_PaPS5_jNS1_19radix_merge_compareILb0ELb1EaNS0_19identity_decomposerEEEEE10hipError_tT0_T1_T2_jT3_P12ihipStream_tbPNSt15iterator_traitsISE_E10value_typeEPNSK_ISF_E10value_typeEPSG_NS1_7vsmem_tEENKUlT_SE_SF_SG_E_clIS8_S8_S9_S9_EESD_ST_SE_SF_SG_EUlST_E_NS1_11comp_targetILNS1_3genE2ELNS1_11target_archE906ELNS1_3gpuE6ELNS1_3repE0EEENS1_48merge_mergepath_partition_config_static_selectorELNS0_4arch9wavefront6targetE0EEEvSF_.kd
    .uniform_work_group_size: 1
    .uses_dynamic_stack: false
    .vgpr_count:     0
    .vgpr_spill_count: 0
    .wavefront_size: 32
  - .args:
      - .offset:         0
        .size:           40
        .value_kind:     by_value
    .group_segment_fixed_size: 0
    .kernarg_segment_align: 8
    .kernarg_segment_size: 40
    .language:       OpenCL C
    .language_version:
      - 2
      - 0
    .max_flat_workgroup_size: 128
    .name:           _ZN7rocprim17ROCPRIM_400000_NS6detail17trampoline_kernelINS0_14default_configENS1_38merge_sort_block_merge_config_selectorIaNS0_10empty_typeEEEZZNS1_27merge_sort_block_merge_implIS3_PaPS5_jNS1_19radix_merge_compareILb0ELb1EaNS0_19identity_decomposerEEEEE10hipError_tT0_T1_T2_jT3_P12ihipStream_tbPNSt15iterator_traitsISE_E10value_typeEPNSK_ISF_E10value_typeEPSG_NS1_7vsmem_tEENKUlT_SE_SF_SG_E_clIS8_S8_S9_S9_EESD_ST_SE_SF_SG_EUlST_E_NS1_11comp_targetILNS1_3genE9ELNS1_11target_archE1100ELNS1_3gpuE3ELNS1_3repE0EEENS1_48merge_mergepath_partition_config_static_selectorELNS0_4arch9wavefront6targetE0EEEvSF_
    .private_segment_fixed_size: 0
    .sgpr_count:     0
    .sgpr_spill_count: 0
    .symbol:         _ZN7rocprim17ROCPRIM_400000_NS6detail17trampoline_kernelINS0_14default_configENS1_38merge_sort_block_merge_config_selectorIaNS0_10empty_typeEEEZZNS1_27merge_sort_block_merge_implIS3_PaPS5_jNS1_19radix_merge_compareILb0ELb1EaNS0_19identity_decomposerEEEEE10hipError_tT0_T1_T2_jT3_P12ihipStream_tbPNSt15iterator_traitsISE_E10value_typeEPNSK_ISF_E10value_typeEPSG_NS1_7vsmem_tEENKUlT_SE_SF_SG_E_clIS8_S8_S9_S9_EESD_ST_SE_SF_SG_EUlST_E_NS1_11comp_targetILNS1_3genE9ELNS1_11target_archE1100ELNS1_3gpuE3ELNS1_3repE0EEENS1_48merge_mergepath_partition_config_static_selectorELNS0_4arch9wavefront6targetE0EEEvSF_.kd
    .uniform_work_group_size: 1
    .uses_dynamic_stack: false
    .vgpr_count:     0
    .vgpr_spill_count: 0
    .wavefront_size: 32
  - .args:
      - .offset:         0
        .size:           40
        .value_kind:     by_value
    .group_segment_fixed_size: 0
    .kernarg_segment_align: 8
    .kernarg_segment_size: 40
    .language:       OpenCL C
    .language_version:
      - 2
      - 0
    .max_flat_workgroup_size: 128
    .name:           _ZN7rocprim17ROCPRIM_400000_NS6detail17trampoline_kernelINS0_14default_configENS1_38merge_sort_block_merge_config_selectorIaNS0_10empty_typeEEEZZNS1_27merge_sort_block_merge_implIS3_PaPS5_jNS1_19radix_merge_compareILb0ELb1EaNS0_19identity_decomposerEEEEE10hipError_tT0_T1_T2_jT3_P12ihipStream_tbPNSt15iterator_traitsISE_E10value_typeEPNSK_ISF_E10value_typeEPSG_NS1_7vsmem_tEENKUlT_SE_SF_SG_E_clIS8_S8_S9_S9_EESD_ST_SE_SF_SG_EUlST_E_NS1_11comp_targetILNS1_3genE8ELNS1_11target_archE1030ELNS1_3gpuE2ELNS1_3repE0EEENS1_48merge_mergepath_partition_config_static_selectorELNS0_4arch9wavefront6targetE0EEEvSF_
    .private_segment_fixed_size: 0
    .sgpr_count:     0
    .sgpr_spill_count: 0
    .symbol:         _ZN7rocprim17ROCPRIM_400000_NS6detail17trampoline_kernelINS0_14default_configENS1_38merge_sort_block_merge_config_selectorIaNS0_10empty_typeEEEZZNS1_27merge_sort_block_merge_implIS3_PaPS5_jNS1_19radix_merge_compareILb0ELb1EaNS0_19identity_decomposerEEEEE10hipError_tT0_T1_T2_jT3_P12ihipStream_tbPNSt15iterator_traitsISE_E10value_typeEPNSK_ISF_E10value_typeEPSG_NS1_7vsmem_tEENKUlT_SE_SF_SG_E_clIS8_S8_S9_S9_EESD_ST_SE_SF_SG_EUlST_E_NS1_11comp_targetILNS1_3genE8ELNS1_11target_archE1030ELNS1_3gpuE2ELNS1_3repE0EEENS1_48merge_mergepath_partition_config_static_selectorELNS0_4arch9wavefront6targetE0EEEvSF_.kd
    .uniform_work_group_size: 1
    .uses_dynamic_stack: false
    .vgpr_count:     0
    .vgpr_spill_count: 0
    .wavefront_size: 32
  - .args:
      - .offset:         0
        .size:           64
        .value_kind:     by_value
      - .offset:         64
        .size:           4
        .value_kind:     hidden_block_count_x
      - .offset:         68
        .size:           4
        .value_kind:     hidden_block_count_y
      - .offset:         72
        .size:           4
        .value_kind:     hidden_block_count_z
      - .offset:         76
        .size:           2
        .value_kind:     hidden_group_size_x
      - .offset:         78
        .size:           2
        .value_kind:     hidden_group_size_y
      - .offset:         80
        .size:           2
        .value_kind:     hidden_group_size_z
      - .offset:         82
        .size:           2
        .value_kind:     hidden_remainder_x
      - .offset:         84
        .size:           2
        .value_kind:     hidden_remainder_y
      - .offset:         86
        .size:           2
        .value_kind:     hidden_remainder_z
      - .offset:         104
        .size:           8
        .value_kind:     hidden_global_offset_x
      - .offset:         112
        .size:           8
        .value_kind:     hidden_global_offset_y
      - .offset:         120
        .size:           8
        .value_kind:     hidden_global_offset_z
      - .offset:         128
        .size:           2
        .value_kind:     hidden_grid_dims
    .group_segment_fixed_size: 1056
    .kernarg_segment_align: 8
    .kernarg_segment_size: 320
    .language:       OpenCL C
    .language_version:
      - 2
      - 0
    .max_flat_workgroup_size: 128
    .name:           _ZN7rocprim17ROCPRIM_400000_NS6detail17trampoline_kernelINS0_14default_configENS1_38merge_sort_block_merge_config_selectorIaNS0_10empty_typeEEEZZNS1_27merge_sort_block_merge_implIS3_PaPS5_jNS1_19radix_merge_compareILb0ELb1EaNS0_19identity_decomposerEEEEE10hipError_tT0_T1_T2_jT3_P12ihipStream_tbPNSt15iterator_traitsISE_E10value_typeEPNSK_ISF_E10value_typeEPSG_NS1_7vsmem_tEENKUlT_SE_SF_SG_E_clIS8_S8_S9_S9_EESD_ST_SE_SF_SG_EUlST_E0_NS1_11comp_targetILNS1_3genE0ELNS1_11target_archE4294967295ELNS1_3gpuE0ELNS1_3repE0EEENS1_38merge_mergepath_config_static_selectorELNS0_4arch9wavefront6targetE0EEEvSF_
    .private_segment_fixed_size: 0
    .sgpr_count:     24
    .sgpr_spill_count: 0
    .symbol:         _ZN7rocprim17ROCPRIM_400000_NS6detail17trampoline_kernelINS0_14default_configENS1_38merge_sort_block_merge_config_selectorIaNS0_10empty_typeEEEZZNS1_27merge_sort_block_merge_implIS3_PaPS5_jNS1_19radix_merge_compareILb0ELb1EaNS0_19identity_decomposerEEEEE10hipError_tT0_T1_T2_jT3_P12ihipStream_tbPNSt15iterator_traitsISE_E10value_typeEPNSK_ISF_E10value_typeEPSG_NS1_7vsmem_tEENKUlT_SE_SF_SG_E_clIS8_S8_S9_S9_EESD_ST_SE_SF_SG_EUlST_E0_NS1_11comp_targetILNS1_3genE0ELNS1_11target_archE4294967295ELNS1_3gpuE0ELNS1_3repE0EEENS1_38merge_mergepath_config_static_selectorELNS0_4arch9wavefront6targetE0EEEvSF_.kd
    .uniform_work_group_size: 1
    .uses_dynamic_stack: false
    .vgpr_count:     34
    .vgpr_spill_count: 0
    .wavefront_size: 32
  - .args:
      - .offset:         0
        .size:           64
        .value_kind:     by_value
    .group_segment_fixed_size: 0
    .kernarg_segment_align: 8
    .kernarg_segment_size: 64
    .language:       OpenCL C
    .language_version:
      - 2
      - 0
    .max_flat_workgroup_size: 128
    .name:           _ZN7rocprim17ROCPRIM_400000_NS6detail17trampoline_kernelINS0_14default_configENS1_38merge_sort_block_merge_config_selectorIaNS0_10empty_typeEEEZZNS1_27merge_sort_block_merge_implIS3_PaPS5_jNS1_19radix_merge_compareILb0ELb1EaNS0_19identity_decomposerEEEEE10hipError_tT0_T1_T2_jT3_P12ihipStream_tbPNSt15iterator_traitsISE_E10value_typeEPNSK_ISF_E10value_typeEPSG_NS1_7vsmem_tEENKUlT_SE_SF_SG_E_clIS8_S8_S9_S9_EESD_ST_SE_SF_SG_EUlST_E0_NS1_11comp_targetILNS1_3genE10ELNS1_11target_archE1201ELNS1_3gpuE5ELNS1_3repE0EEENS1_38merge_mergepath_config_static_selectorELNS0_4arch9wavefront6targetE0EEEvSF_
    .private_segment_fixed_size: 0
    .sgpr_count:     0
    .sgpr_spill_count: 0
    .symbol:         _ZN7rocprim17ROCPRIM_400000_NS6detail17trampoline_kernelINS0_14default_configENS1_38merge_sort_block_merge_config_selectorIaNS0_10empty_typeEEEZZNS1_27merge_sort_block_merge_implIS3_PaPS5_jNS1_19radix_merge_compareILb0ELb1EaNS0_19identity_decomposerEEEEE10hipError_tT0_T1_T2_jT3_P12ihipStream_tbPNSt15iterator_traitsISE_E10value_typeEPNSK_ISF_E10value_typeEPSG_NS1_7vsmem_tEENKUlT_SE_SF_SG_E_clIS8_S8_S9_S9_EESD_ST_SE_SF_SG_EUlST_E0_NS1_11comp_targetILNS1_3genE10ELNS1_11target_archE1201ELNS1_3gpuE5ELNS1_3repE0EEENS1_38merge_mergepath_config_static_selectorELNS0_4arch9wavefront6targetE0EEEvSF_.kd
    .uniform_work_group_size: 1
    .uses_dynamic_stack: false
    .vgpr_count:     0
    .vgpr_spill_count: 0
    .wavefront_size: 32
  - .args:
      - .offset:         0
        .size:           64
        .value_kind:     by_value
    .group_segment_fixed_size: 0
    .kernarg_segment_align: 8
    .kernarg_segment_size: 64
    .language:       OpenCL C
    .language_version:
      - 2
      - 0
    .max_flat_workgroup_size: 128
    .name:           _ZN7rocprim17ROCPRIM_400000_NS6detail17trampoline_kernelINS0_14default_configENS1_38merge_sort_block_merge_config_selectorIaNS0_10empty_typeEEEZZNS1_27merge_sort_block_merge_implIS3_PaPS5_jNS1_19radix_merge_compareILb0ELb1EaNS0_19identity_decomposerEEEEE10hipError_tT0_T1_T2_jT3_P12ihipStream_tbPNSt15iterator_traitsISE_E10value_typeEPNSK_ISF_E10value_typeEPSG_NS1_7vsmem_tEENKUlT_SE_SF_SG_E_clIS8_S8_S9_S9_EESD_ST_SE_SF_SG_EUlST_E0_NS1_11comp_targetILNS1_3genE5ELNS1_11target_archE942ELNS1_3gpuE9ELNS1_3repE0EEENS1_38merge_mergepath_config_static_selectorELNS0_4arch9wavefront6targetE0EEEvSF_
    .private_segment_fixed_size: 0
    .sgpr_count:     0
    .sgpr_spill_count: 0
    .symbol:         _ZN7rocprim17ROCPRIM_400000_NS6detail17trampoline_kernelINS0_14default_configENS1_38merge_sort_block_merge_config_selectorIaNS0_10empty_typeEEEZZNS1_27merge_sort_block_merge_implIS3_PaPS5_jNS1_19radix_merge_compareILb0ELb1EaNS0_19identity_decomposerEEEEE10hipError_tT0_T1_T2_jT3_P12ihipStream_tbPNSt15iterator_traitsISE_E10value_typeEPNSK_ISF_E10value_typeEPSG_NS1_7vsmem_tEENKUlT_SE_SF_SG_E_clIS8_S8_S9_S9_EESD_ST_SE_SF_SG_EUlST_E0_NS1_11comp_targetILNS1_3genE5ELNS1_11target_archE942ELNS1_3gpuE9ELNS1_3repE0EEENS1_38merge_mergepath_config_static_selectorELNS0_4arch9wavefront6targetE0EEEvSF_.kd
    .uniform_work_group_size: 1
    .uses_dynamic_stack: false
    .vgpr_count:     0
    .vgpr_spill_count: 0
    .wavefront_size: 32
  - .args:
      - .offset:         0
        .size:           64
        .value_kind:     by_value
    .group_segment_fixed_size: 0
    .kernarg_segment_align: 8
    .kernarg_segment_size: 64
    .language:       OpenCL C
    .language_version:
      - 2
      - 0
    .max_flat_workgroup_size: 128
    .name:           _ZN7rocprim17ROCPRIM_400000_NS6detail17trampoline_kernelINS0_14default_configENS1_38merge_sort_block_merge_config_selectorIaNS0_10empty_typeEEEZZNS1_27merge_sort_block_merge_implIS3_PaPS5_jNS1_19radix_merge_compareILb0ELb1EaNS0_19identity_decomposerEEEEE10hipError_tT0_T1_T2_jT3_P12ihipStream_tbPNSt15iterator_traitsISE_E10value_typeEPNSK_ISF_E10value_typeEPSG_NS1_7vsmem_tEENKUlT_SE_SF_SG_E_clIS8_S8_S9_S9_EESD_ST_SE_SF_SG_EUlST_E0_NS1_11comp_targetILNS1_3genE4ELNS1_11target_archE910ELNS1_3gpuE8ELNS1_3repE0EEENS1_38merge_mergepath_config_static_selectorELNS0_4arch9wavefront6targetE0EEEvSF_
    .private_segment_fixed_size: 0
    .sgpr_count:     0
    .sgpr_spill_count: 0
    .symbol:         _ZN7rocprim17ROCPRIM_400000_NS6detail17trampoline_kernelINS0_14default_configENS1_38merge_sort_block_merge_config_selectorIaNS0_10empty_typeEEEZZNS1_27merge_sort_block_merge_implIS3_PaPS5_jNS1_19radix_merge_compareILb0ELb1EaNS0_19identity_decomposerEEEEE10hipError_tT0_T1_T2_jT3_P12ihipStream_tbPNSt15iterator_traitsISE_E10value_typeEPNSK_ISF_E10value_typeEPSG_NS1_7vsmem_tEENKUlT_SE_SF_SG_E_clIS8_S8_S9_S9_EESD_ST_SE_SF_SG_EUlST_E0_NS1_11comp_targetILNS1_3genE4ELNS1_11target_archE910ELNS1_3gpuE8ELNS1_3repE0EEENS1_38merge_mergepath_config_static_selectorELNS0_4arch9wavefront6targetE0EEEvSF_.kd
    .uniform_work_group_size: 1
    .uses_dynamic_stack: false
    .vgpr_count:     0
    .vgpr_spill_count: 0
    .wavefront_size: 32
  - .args:
      - .offset:         0
        .size:           64
        .value_kind:     by_value
    .group_segment_fixed_size: 0
    .kernarg_segment_align: 8
    .kernarg_segment_size: 64
    .language:       OpenCL C
    .language_version:
      - 2
      - 0
    .max_flat_workgroup_size: 128
    .name:           _ZN7rocprim17ROCPRIM_400000_NS6detail17trampoline_kernelINS0_14default_configENS1_38merge_sort_block_merge_config_selectorIaNS0_10empty_typeEEEZZNS1_27merge_sort_block_merge_implIS3_PaPS5_jNS1_19radix_merge_compareILb0ELb1EaNS0_19identity_decomposerEEEEE10hipError_tT0_T1_T2_jT3_P12ihipStream_tbPNSt15iterator_traitsISE_E10value_typeEPNSK_ISF_E10value_typeEPSG_NS1_7vsmem_tEENKUlT_SE_SF_SG_E_clIS8_S8_S9_S9_EESD_ST_SE_SF_SG_EUlST_E0_NS1_11comp_targetILNS1_3genE3ELNS1_11target_archE908ELNS1_3gpuE7ELNS1_3repE0EEENS1_38merge_mergepath_config_static_selectorELNS0_4arch9wavefront6targetE0EEEvSF_
    .private_segment_fixed_size: 0
    .sgpr_count:     0
    .sgpr_spill_count: 0
    .symbol:         _ZN7rocprim17ROCPRIM_400000_NS6detail17trampoline_kernelINS0_14default_configENS1_38merge_sort_block_merge_config_selectorIaNS0_10empty_typeEEEZZNS1_27merge_sort_block_merge_implIS3_PaPS5_jNS1_19radix_merge_compareILb0ELb1EaNS0_19identity_decomposerEEEEE10hipError_tT0_T1_T2_jT3_P12ihipStream_tbPNSt15iterator_traitsISE_E10value_typeEPNSK_ISF_E10value_typeEPSG_NS1_7vsmem_tEENKUlT_SE_SF_SG_E_clIS8_S8_S9_S9_EESD_ST_SE_SF_SG_EUlST_E0_NS1_11comp_targetILNS1_3genE3ELNS1_11target_archE908ELNS1_3gpuE7ELNS1_3repE0EEENS1_38merge_mergepath_config_static_selectorELNS0_4arch9wavefront6targetE0EEEvSF_.kd
    .uniform_work_group_size: 1
    .uses_dynamic_stack: false
    .vgpr_count:     0
    .vgpr_spill_count: 0
    .wavefront_size: 32
  - .args:
      - .offset:         0
        .size:           64
        .value_kind:     by_value
    .group_segment_fixed_size: 0
    .kernarg_segment_align: 8
    .kernarg_segment_size: 64
    .language:       OpenCL C
    .language_version:
      - 2
      - 0
    .max_flat_workgroup_size: 128
    .name:           _ZN7rocprim17ROCPRIM_400000_NS6detail17trampoline_kernelINS0_14default_configENS1_38merge_sort_block_merge_config_selectorIaNS0_10empty_typeEEEZZNS1_27merge_sort_block_merge_implIS3_PaPS5_jNS1_19radix_merge_compareILb0ELb1EaNS0_19identity_decomposerEEEEE10hipError_tT0_T1_T2_jT3_P12ihipStream_tbPNSt15iterator_traitsISE_E10value_typeEPNSK_ISF_E10value_typeEPSG_NS1_7vsmem_tEENKUlT_SE_SF_SG_E_clIS8_S8_S9_S9_EESD_ST_SE_SF_SG_EUlST_E0_NS1_11comp_targetILNS1_3genE2ELNS1_11target_archE906ELNS1_3gpuE6ELNS1_3repE0EEENS1_38merge_mergepath_config_static_selectorELNS0_4arch9wavefront6targetE0EEEvSF_
    .private_segment_fixed_size: 0
    .sgpr_count:     0
    .sgpr_spill_count: 0
    .symbol:         _ZN7rocprim17ROCPRIM_400000_NS6detail17trampoline_kernelINS0_14default_configENS1_38merge_sort_block_merge_config_selectorIaNS0_10empty_typeEEEZZNS1_27merge_sort_block_merge_implIS3_PaPS5_jNS1_19radix_merge_compareILb0ELb1EaNS0_19identity_decomposerEEEEE10hipError_tT0_T1_T2_jT3_P12ihipStream_tbPNSt15iterator_traitsISE_E10value_typeEPNSK_ISF_E10value_typeEPSG_NS1_7vsmem_tEENKUlT_SE_SF_SG_E_clIS8_S8_S9_S9_EESD_ST_SE_SF_SG_EUlST_E0_NS1_11comp_targetILNS1_3genE2ELNS1_11target_archE906ELNS1_3gpuE6ELNS1_3repE0EEENS1_38merge_mergepath_config_static_selectorELNS0_4arch9wavefront6targetE0EEEvSF_.kd
    .uniform_work_group_size: 1
    .uses_dynamic_stack: false
    .vgpr_count:     0
    .vgpr_spill_count: 0
    .wavefront_size: 32
  - .args:
      - .offset:         0
        .size:           64
        .value_kind:     by_value
    .group_segment_fixed_size: 0
    .kernarg_segment_align: 8
    .kernarg_segment_size: 64
    .language:       OpenCL C
    .language_version:
      - 2
      - 0
    .max_flat_workgroup_size: 128
    .name:           _ZN7rocprim17ROCPRIM_400000_NS6detail17trampoline_kernelINS0_14default_configENS1_38merge_sort_block_merge_config_selectorIaNS0_10empty_typeEEEZZNS1_27merge_sort_block_merge_implIS3_PaPS5_jNS1_19radix_merge_compareILb0ELb1EaNS0_19identity_decomposerEEEEE10hipError_tT0_T1_T2_jT3_P12ihipStream_tbPNSt15iterator_traitsISE_E10value_typeEPNSK_ISF_E10value_typeEPSG_NS1_7vsmem_tEENKUlT_SE_SF_SG_E_clIS8_S8_S9_S9_EESD_ST_SE_SF_SG_EUlST_E0_NS1_11comp_targetILNS1_3genE9ELNS1_11target_archE1100ELNS1_3gpuE3ELNS1_3repE0EEENS1_38merge_mergepath_config_static_selectorELNS0_4arch9wavefront6targetE0EEEvSF_
    .private_segment_fixed_size: 0
    .sgpr_count:     0
    .sgpr_spill_count: 0
    .symbol:         _ZN7rocprim17ROCPRIM_400000_NS6detail17trampoline_kernelINS0_14default_configENS1_38merge_sort_block_merge_config_selectorIaNS0_10empty_typeEEEZZNS1_27merge_sort_block_merge_implIS3_PaPS5_jNS1_19radix_merge_compareILb0ELb1EaNS0_19identity_decomposerEEEEE10hipError_tT0_T1_T2_jT3_P12ihipStream_tbPNSt15iterator_traitsISE_E10value_typeEPNSK_ISF_E10value_typeEPSG_NS1_7vsmem_tEENKUlT_SE_SF_SG_E_clIS8_S8_S9_S9_EESD_ST_SE_SF_SG_EUlST_E0_NS1_11comp_targetILNS1_3genE9ELNS1_11target_archE1100ELNS1_3gpuE3ELNS1_3repE0EEENS1_38merge_mergepath_config_static_selectorELNS0_4arch9wavefront6targetE0EEEvSF_.kd
    .uniform_work_group_size: 1
    .uses_dynamic_stack: false
    .vgpr_count:     0
    .vgpr_spill_count: 0
    .wavefront_size: 32
  - .args:
      - .offset:         0
        .size:           64
        .value_kind:     by_value
    .group_segment_fixed_size: 0
    .kernarg_segment_align: 8
    .kernarg_segment_size: 64
    .language:       OpenCL C
    .language_version:
      - 2
      - 0
    .max_flat_workgroup_size: 128
    .name:           _ZN7rocprim17ROCPRIM_400000_NS6detail17trampoline_kernelINS0_14default_configENS1_38merge_sort_block_merge_config_selectorIaNS0_10empty_typeEEEZZNS1_27merge_sort_block_merge_implIS3_PaPS5_jNS1_19radix_merge_compareILb0ELb1EaNS0_19identity_decomposerEEEEE10hipError_tT0_T1_T2_jT3_P12ihipStream_tbPNSt15iterator_traitsISE_E10value_typeEPNSK_ISF_E10value_typeEPSG_NS1_7vsmem_tEENKUlT_SE_SF_SG_E_clIS8_S8_S9_S9_EESD_ST_SE_SF_SG_EUlST_E0_NS1_11comp_targetILNS1_3genE8ELNS1_11target_archE1030ELNS1_3gpuE2ELNS1_3repE0EEENS1_38merge_mergepath_config_static_selectorELNS0_4arch9wavefront6targetE0EEEvSF_
    .private_segment_fixed_size: 0
    .sgpr_count:     0
    .sgpr_spill_count: 0
    .symbol:         _ZN7rocprim17ROCPRIM_400000_NS6detail17trampoline_kernelINS0_14default_configENS1_38merge_sort_block_merge_config_selectorIaNS0_10empty_typeEEEZZNS1_27merge_sort_block_merge_implIS3_PaPS5_jNS1_19radix_merge_compareILb0ELb1EaNS0_19identity_decomposerEEEEE10hipError_tT0_T1_T2_jT3_P12ihipStream_tbPNSt15iterator_traitsISE_E10value_typeEPNSK_ISF_E10value_typeEPSG_NS1_7vsmem_tEENKUlT_SE_SF_SG_E_clIS8_S8_S9_S9_EESD_ST_SE_SF_SG_EUlST_E0_NS1_11comp_targetILNS1_3genE8ELNS1_11target_archE1030ELNS1_3gpuE2ELNS1_3repE0EEENS1_38merge_mergepath_config_static_selectorELNS0_4arch9wavefront6targetE0EEEvSF_.kd
    .uniform_work_group_size: 1
    .uses_dynamic_stack: false
    .vgpr_count:     0
    .vgpr_spill_count: 0
    .wavefront_size: 32
  - .args:
      - .offset:         0
        .size:           48
        .value_kind:     by_value
    .group_segment_fixed_size: 0
    .kernarg_segment_align: 8
    .kernarg_segment_size: 48
    .language:       OpenCL C
    .language_version:
      - 2
      - 0
    .max_flat_workgroup_size: 256
    .name:           _ZN7rocprim17ROCPRIM_400000_NS6detail17trampoline_kernelINS0_14default_configENS1_38merge_sort_block_merge_config_selectorIaNS0_10empty_typeEEEZZNS1_27merge_sort_block_merge_implIS3_PaPS5_jNS1_19radix_merge_compareILb0ELb1EaNS0_19identity_decomposerEEEEE10hipError_tT0_T1_T2_jT3_P12ihipStream_tbPNSt15iterator_traitsISE_E10value_typeEPNSK_ISF_E10value_typeEPSG_NS1_7vsmem_tEENKUlT_SE_SF_SG_E_clIS8_S8_S9_S9_EESD_ST_SE_SF_SG_EUlST_E1_NS1_11comp_targetILNS1_3genE0ELNS1_11target_archE4294967295ELNS1_3gpuE0ELNS1_3repE0EEENS1_36merge_oddeven_config_static_selectorELNS0_4arch9wavefront6targetE0EEEvSF_
    .private_segment_fixed_size: 0
    .sgpr_count:     20
    .sgpr_spill_count: 0
    .symbol:         _ZN7rocprim17ROCPRIM_400000_NS6detail17trampoline_kernelINS0_14default_configENS1_38merge_sort_block_merge_config_selectorIaNS0_10empty_typeEEEZZNS1_27merge_sort_block_merge_implIS3_PaPS5_jNS1_19radix_merge_compareILb0ELb1EaNS0_19identity_decomposerEEEEE10hipError_tT0_T1_T2_jT3_P12ihipStream_tbPNSt15iterator_traitsISE_E10value_typeEPNSK_ISF_E10value_typeEPSG_NS1_7vsmem_tEENKUlT_SE_SF_SG_E_clIS8_S8_S9_S9_EESD_ST_SE_SF_SG_EUlST_E1_NS1_11comp_targetILNS1_3genE0ELNS1_11target_archE4294967295ELNS1_3gpuE0ELNS1_3repE0EEENS1_36merge_oddeven_config_static_selectorELNS0_4arch9wavefront6targetE0EEEvSF_.kd
    .uniform_work_group_size: 1
    .uses_dynamic_stack: false
    .vgpr_count:     8
    .vgpr_spill_count: 0
    .wavefront_size: 32
  - .args:
      - .offset:         0
        .size:           48
        .value_kind:     by_value
    .group_segment_fixed_size: 0
    .kernarg_segment_align: 8
    .kernarg_segment_size: 48
    .language:       OpenCL C
    .language_version:
      - 2
      - 0
    .max_flat_workgroup_size: 256
    .name:           _ZN7rocprim17ROCPRIM_400000_NS6detail17trampoline_kernelINS0_14default_configENS1_38merge_sort_block_merge_config_selectorIaNS0_10empty_typeEEEZZNS1_27merge_sort_block_merge_implIS3_PaPS5_jNS1_19radix_merge_compareILb0ELb1EaNS0_19identity_decomposerEEEEE10hipError_tT0_T1_T2_jT3_P12ihipStream_tbPNSt15iterator_traitsISE_E10value_typeEPNSK_ISF_E10value_typeEPSG_NS1_7vsmem_tEENKUlT_SE_SF_SG_E_clIS8_S8_S9_S9_EESD_ST_SE_SF_SG_EUlST_E1_NS1_11comp_targetILNS1_3genE10ELNS1_11target_archE1201ELNS1_3gpuE5ELNS1_3repE0EEENS1_36merge_oddeven_config_static_selectorELNS0_4arch9wavefront6targetE0EEEvSF_
    .private_segment_fixed_size: 0
    .sgpr_count:     0
    .sgpr_spill_count: 0
    .symbol:         _ZN7rocprim17ROCPRIM_400000_NS6detail17trampoline_kernelINS0_14default_configENS1_38merge_sort_block_merge_config_selectorIaNS0_10empty_typeEEEZZNS1_27merge_sort_block_merge_implIS3_PaPS5_jNS1_19radix_merge_compareILb0ELb1EaNS0_19identity_decomposerEEEEE10hipError_tT0_T1_T2_jT3_P12ihipStream_tbPNSt15iterator_traitsISE_E10value_typeEPNSK_ISF_E10value_typeEPSG_NS1_7vsmem_tEENKUlT_SE_SF_SG_E_clIS8_S8_S9_S9_EESD_ST_SE_SF_SG_EUlST_E1_NS1_11comp_targetILNS1_3genE10ELNS1_11target_archE1201ELNS1_3gpuE5ELNS1_3repE0EEENS1_36merge_oddeven_config_static_selectorELNS0_4arch9wavefront6targetE0EEEvSF_.kd
    .uniform_work_group_size: 1
    .uses_dynamic_stack: false
    .vgpr_count:     0
    .vgpr_spill_count: 0
    .wavefront_size: 32
  - .args:
      - .offset:         0
        .size:           48
        .value_kind:     by_value
    .group_segment_fixed_size: 0
    .kernarg_segment_align: 8
    .kernarg_segment_size: 48
    .language:       OpenCL C
    .language_version:
      - 2
      - 0
    .max_flat_workgroup_size: 256
    .name:           _ZN7rocprim17ROCPRIM_400000_NS6detail17trampoline_kernelINS0_14default_configENS1_38merge_sort_block_merge_config_selectorIaNS0_10empty_typeEEEZZNS1_27merge_sort_block_merge_implIS3_PaPS5_jNS1_19radix_merge_compareILb0ELb1EaNS0_19identity_decomposerEEEEE10hipError_tT0_T1_T2_jT3_P12ihipStream_tbPNSt15iterator_traitsISE_E10value_typeEPNSK_ISF_E10value_typeEPSG_NS1_7vsmem_tEENKUlT_SE_SF_SG_E_clIS8_S8_S9_S9_EESD_ST_SE_SF_SG_EUlST_E1_NS1_11comp_targetILNS1_3genE5ELNS1_11target_archE942ELNS1_3gpuE9ELNS1_3repE0EEENS1_36merge_oddeven_config_static_selectorELNS0_4arch9wavefront6targetE0EEEvSF_
    .private_segment_fixed_size: 0
    .sgpr_count:     0
    .sgpr_spill_count: 0
    .symbol:         _ZN7rocprim17ROCPRIM_400000_NS6detail17trampoline_kernelINS0_14default_configENS1_38merge_sort_block_merge_config_selectorIaNS0_10empty_typeEEEZZNS1_27merge_sort_block_merge_implIS3_PaPS5_jNS1_19radix_merge_compareILb0ELb1EaNS0_19identity_decomposerEEEEE10hipError_tT0_T1_T2_jT3_P12ihipStream_tbPNSt15iterator_traitsISE_E10value_typeEPNSK_ISF_E10value_typeEPSG_NS1_7vsmem_tEENKUlT_SE_SF_SG_E_clIS8_S8_S9_S9_EESD_ST_SE_SF_SG_EUlST_E1_NS1_11comp_targetILNS1_3genE5ELNS1_11target_archE942ELNS1_3gpuE9ELNS1_3repE0EEENS1_36merge_oddeven_config_static_selectorELNS0_4arch9wavefront6targetE0EEEvSF_.kd
    .uniform_work_group_size: 1
    .uses_dynamic_stack: false
    .vgpr_count:     0
    .vgpr_spill_count: 0
    .wavefront_size: 32
  - .args:
      - .offset:         0
        .size:           48
        .value_kind:     by_value
    .group_segment_fixed_size: 0
    .kernarg_segment_align: 8
    .kernarg_segment_size: 48
    .language:       OpenCL C
    .language_version:
      - 2
      - 0
    .max_flat_workgroup_size: 256
    .name:           _ZN7rocprim17ROCPRIM_400000_NS6detail17trampoline_kernelINS0_14default_configENS1_38merge_sort_block_merge_config_selectorIaNS0_10empty_typeEEEZZNS1_27merge_sort_block_merge_implIS3_PaPS5_jNS1_19radix_merge_compareILb0ELb1EaNS0_19identity_decomposerEEEEE10hipError_tT0_T1_T2_jT3_P12ihipStream_tbPNSt15iterator_traitsISE_E10value_typeEPNSK_ISF_E10value_typeEPSG_NS1_7vsmem_tEENKUlT_SE_SF_SG_E_clIS8_S8_S9_S9_EESD_ST_SE_SF_SG_EUlST_E1_NS1_11comp_targetILNS1_3genE4ELNS1_11target_archE910ELNS1_3gpuE8ELNS1_3repE0EEENS1_36merge_oddeven_config_static_selectorELNS0_4arch9wavefront6targetE0EEEvSF_
    .private_segment_fixed_size: 0
    .sgpr_count:     0
    .sgpr_spill_count: 0
    .symbol:         _ZN7rocprim17ROCPRIM_400000_NS6detail17trampoline_kernelINS0_14default_configENS1_38merge_sort_block_merge_config_selectorIaNS0_10empty_typeEEEZZNS1_27merge_sort_block_merge_implIS3_PaPS5_jNS1_19radix_merge_compareILb0ELb1EaNS0_19identity_decomposerEEEEE10hipError_tT0_T1_T2_jT3_P12ihipStream_tbPNSt15iterator_traitsISE_E10value_typeEPNSK_ISF_E10value_typeEPSG_NS1_7vsmem_tEENKUlT_SE_SF_SG_E_clIS8_S8_S9_S9_EESD_ST_SE_SF_SG_EUlST_E1_NS1_11comp_targetILNS1_3genE4ELNS1_11target_archE910ELNS1_3gpuE8ELNS1_3repE0EEENS1_36merge_oddeven_config_static_selectorELNS0_4arch9wavefront6targetE0EEEvSF_.kd
    .uniform_work_group_size: 1
    .uses_dynamic_stack: false
    .vgpr_count:     0
    .vgpr_spill_count: 0
    .wavefront_size: 32
  - .args:
      - .offset:         0
        .size:           48
        .value_kind:     by_value
    .group_segment_fixed_size: 0
    .kernarg_segment_align: 8
    .kernarg_segment_size: 48
    .language:       OpenCL C
    .language_version:
      - 2
      - 0
    .max_flat_workgroup_size: 256
    .name:           _ZN7rocprim17ROCPRIM_400000_NS6detail17trampoline_kernelINS0_14default_configENS1_38merge_sort_block_merge_config_selectorIaNS0_10empty_typeEEEZZNS1_27merge_sort_block_merge_implIS3_PaPS5_jNS1_19radix_merge_compareILb0ELb1EaNS0_19identity_decomposerEEEEE10hipError_tT0_T1_T2_jT3_P12ihipStream_tbPNSt15iterator_traitsISE_E10value_typeEPNSK_ISF_E10value_typeEPSG_NS1_7vsmem_tEENKUlT_SE_SF_SG_E_clIS8_S8_S9_S9_EESD_ST_SE_SF_SG_EUlST_E1_NS1_11comp_targetILNS1_3genE3ELNS1_11target_archE908ELNS1_3gpuE7ELNS1_3repE0EEENS1_36merge_oddeven_config_static_selectorELNS0_4arch9wavefront6targetE0EEEvSF_
    .private_segment_fixed_size: 0
    .sgpr_count:     0
    .sgpr_spill_count: 0
    .symbol:         _ZN7rocprim17ROCPRIM_400000_NS6detail17trampoline_kernelINS0_14default_configENS1_38merge_sort_block_merge_config_selectorIaNS0_10empty_typeEEEZZNS1_27merge_sort_block_merge_implIS3_PaPS5_jNS1_19radix_merge_compareILb0ELb1EaNS0_19identity_decomposerEEEEE10hipError_tT0_T1_T2_jT3_P12ihipStream_tbPNSt15iterator_traitsISE_E10value_typeEPNSK_ISF_E10value_typeEPSG_NS1_7vsmem_tEENKUlT_SE_SF_SG_E_clIS8_S8_S9_S9_EESD_ST_SE_SF_SG_EUlST_E1_NS1_11comp_targetILNS1_3genE3ELNS1_11target_archE908ELNS1_3gpuE7ELNS1_3repE0EEENS1_36merge_oddeven_config_static_selectorELNS0_4arch9wavefront6targetE0EEEvSF_.kd
    .uniform_work_group_size: 1
    .uses_dynamic_stack: false
    .vgpr_count:     0
    .vgpr_spill_count: 0
    .wavefront_size: 32
  - .args:
      - .offset:         0
        .size:           48
        .value_kind:     by_value
    .group_segment_fixed_size: 0
    .kernarg_segment_align: 8
    .kernarg_segment_size: 48
    .language:       OpenCL C
    .language_version:
      - 2
      - 0
    .max_flat_workgroup_size: 256
    .name:           _ZN7rocprim17ROCPRIM_400000_NS6detail17trampoline_kernelINS0_14default_configENS1_38merge_sort_block_merge_config_selectorIaNS0_10empty_typeEEEZZNS1_27merge_sort_block_merge_implIS3_PaPS5_jNS1_19radix_merge_compareILb0ELb1EaNS0_19identity_decomposerEEEEE10hipError_tT0_T1_T2_jT3_P12ihipStream_tbPNSt15iterator_traitsISE_E10value_typeEPNSK_ISF_E10value_typeEPSG_NS1_7vsmem_tEENKUlT_SE_SF_SG_E_clIS8_S8_S9_S9_EESD_ST_SE_SF_SG_EUlST_E1_NS1_11comp_targetILNS1_3genE2ELNS1_11target_archE906ELNS1_3gpuE6ELNS1_3repE0EEENS1_36merge_oddeven_config_static_selectorELNS0_4arch9wavefront6targetE0EEEvSF_
    .private_segment_fixed_size: 0
    .sgpr_count:     0
    .sgpr_spill_count: 0
    .symbol:         _ZN7rocprim17ROCPRIM_400000_NS6detail17trampoline_kernelINS0_14default_configENS1_38merge_sort_block_merge_config_selectorIaNS0_10empty_typeEEEZZNS1_27merge_sort_block_merge_implIS3_PaPS5_jNS1_19radix_merge_compareILb0ELb1EaNS0_19identity_decomposerEEEEE10hipError_tT0_T1_T2_jT3_P12ihipStream_tbPNSt15iterator_traitsISE_E10value_typeEPNSK_ISF_E10value_typeEPSG_NS1_7vsmem_tEENKUlT_SE_SF_SG_E_clIS8_S8_S9_S9_EESD_ST_SE_SF_SG_EUlST_E1_NS1_11comp_targetILNS1_3genE2ELNS1_11target_archE906ELNS1_3gpuE6ELNS1_3repE0EEENS1_36merge_oddeven_config_static_selectorELNS0_4arch9wavefront6targetE0EEEvSF_.kd
    .uniform_work_group_size: 1
    .uses_dynamic_stack: false
    .vgpr_count:     0
    .vgpr_spill_count: 0
    .wavefront_size: 32
  - .args:
      - .offset:         0
        .size:           48
        .value_kind:     by_value
    .group_segment_fixed_size: 0
    .kernarg_segment_align: 8
    .kernarg_segment_size: 48
    .language:       OpenCL C
    .language_version:
      - 2
      - 0
    .max_flat_workgroup_size: 256
    .name:           _ZN7rocprim17ROCPRIM_400000_NS6detail17trampoline_kernelINS0_14default_configENS1_38merge_sort_block_merge_config_selectorIaNS0_10empty_typeEEEZZNS1_27merge_sort_block_merge_implIS3_PaPS5_jNS1_19radix_merge_compareILb0ELb1EaNS0_19identity_decomposerEEEEE10hipError_tT0_T1_T2_jT3_P12ihipStream_tbPNSt15iterator_traitsISE_E10value_typeEPNSK_ISF_E10value_typeEPSG_NS1_7vsmem_tEENKUlT_SE_SF_SG_E_clIS8_S8_S9_S9_EESD_ST_SE_SF_SG_EUlST_E1_NS1_11comp_targetILNS1_3genE9ELNS1_11target_archE1100ELNS1_3gpuE3ELNS1_3repE0EEENS1_36merge_oddeven_config_static_selectorELNS0_4arch9wavefront6targetE0EEEvSF_
    .private_segment_fixed_size: 0
    .sgpr_count:     0
    .sgpr_spill_count: 0
    .symbol:         _ZN7rocprim17ROCPRIM_400000_NS6detail17trampoline_kernelINS0_14default_configENS1_38merge_sort_block_merge_config_selectorIaNS0_10empty_typeEEEZZNS1_27merge_sort_block_merge_implIS3_PaPS5_jNS1_19radix_merge_compareILb0ELb1EaNS0_19identity_decomposerEEEEE10hipError_tT0_T1_T2_jT3_P12ihipStream_tbPNSt15iterator_traitsISE_E10value_typeEPNSK_ISF_E10value_typeEPSG_NS1_7vsmem_tEENKUlT_SE_SF_SG_E_clIS8_S8_S9_S9_EESD_ST_SE_SF_SG_EUlST_E1_NS1_11comp_targetILNS1_3genE9ELNS1_11target_archE1100ELNS1_3gpuE3ELNS1_3repE0EEENS1_36merge_oddeven_config_static_selectorELNS0_4arch9wavefront6targetE0EEEvSF_.kd
    .uniform_work_group_size: 1
    .uses_dynamic_stack: false
    .vgpr_count:     0
    .vgpr_spill_count: 0
    .wavefront_size: 32
  - .args:
      - .offset:         0
        .size:           48
        .value_kind:     by_value
    .group_segment_fixed_size: 0
    .kernarg_segment_align: 8
    .kernarg_segment_size: 48
    .language:       OpenCL C
    .language_version:
      - 2
      - 0
    .max_flat_workgroup_size: 256
    .name:           _ZN7rocprim17ROCPRIM_400000_NS6detail17trampoline_kernelINS0_14default_configENS1_38merge_sort_block_merge_config_selectorIaNS0_10empty_typeEEEZZNS1_27merge_sort_block_merge_implIS3_PaPS5_jNS1_19radix_merge_compareILb0ELb1EaNS0_19identity_decomposerEEEEE10hipError_tT0_T1_T2_jT3_P12ihipStream_tbPNSt15iterator_traitsISE_E10value_typeEPNSK_ISF_E10value_typeEPSG_NS1_7vsmem_tEENKUlT_SE_SF_SG_E_clIS8_S8_S9_S9_EESD_ST_SE_SF_SG_EUlST_E1_NS1_11comp_targetILNS1_3genE8ELNS1_11target_archE1030ELNS1_3gpuE2ELNS1_3repE0EEENS1_36merge_oddeven_config_static_selectorELNS0_4arch9wavefront6targetE0EEEvSF_
    .private_segment_fixed_size: 0
    .sgpr_count:     0
    .sgpr_spill_count: 0
    .symbol:         _ZN7rocprim17ROCPRIM_400000_NS6detail17trampoline_kernelINS0_14default_configENS1_38merge_sort_block_merge_config_selectorIaNS0_10empty_typeEEEZZNS1_27merge_sort_block_merge_implIS3_PaPS5_jNS1_19radix_merge_compareILb0ELb1EaNS0_19identity_decomposerEEEEE10hipError_tT0_T1_T2_jT3_P12ihipStream_tbPNSt15iterator_traitsISE_E10value_typeEPNSK_ISF_E10value_typeEPSG_NS1_7vsmem_tEENKUlT_SE_SF_SG_E_clIS8_S8_S9_S9_EESD_ST_SE_SF_SG_EUlST_E1_NS1_11comp_targetILNS1_3genE8ELNS1_11target_archE1030ELNS1_3gpuE2ELNS1_3repE0EEENS1_36merge_oddeven_config_static_selectorELNS0_4arch9wavefront6targetE0EEEvSF_.kd
    .uniform_work_group_size: 1
    .uses_dynamic_stack: false
    .vgpr_count:     0
    .vgpr_spill_count: 0
    .wavefront_size: 32
  - .args:
      - .offset:         0
        .size:           48
        .value_kind:     by_value
    .group_segment_fixed_size: 512
    .kernarg_segment_align: 8
    .kernarg_segment_size: 48
    .language:       OpenCL C
    .language_version:
      - 2
      - 0
    .max_flat_workgroup_size: 1024
    .name:           _ZN7rocprim17ROCPRIM_400000_NS6detail17trampoline_kernelINS0_14default_configENS1_35radix_sort_onesweep_config_selectorIaNS0_10empty_typeEEEZNS1_34radix_sort_onesweep_global_offsetsIS3_Lb0EPKaPS5_mNS0_19identity_decomposerEEE10hipError_tT1_T2_PT3_SF_jT4_jjP12ihipStream_tbEUlT_E_NS1_11comp_targetILNS1_3genE0ELNS1_11target_archE4294967295ELNS1_3gpuE0ELNS1_3repE0EEENS1_52radix_sort_onesweep_histogram_config_static_selectorELNS0_4arch9wavefront6targetE0EEEvSD_
    .private_segment_fixed_size: 0
    .sgpr_count:     15
    .sgpr_spill_count: 0
    .symbol:         _ZN7rocprim17ROCPRIM_400000_NS6detail17trampoline_kernelINS0_14default_configENS1_35radix_sort_onesweep_config_selectorIaNS0_10empty_typeEEEZNS1_34radix_sort_onesweep_global_offsetsIS3_Lb0EPKaPS5_mNS0_19identity_decomposerEEE10hipError_tT1_T2_PT3_SF_jT4_jjP12ihipStream_tbEUlT_E_NS1_11comp_targetILNS1_3genE0ELNS1_11target_archE4294967295ELNS1_3gpuE0ELNS1_3repE0EEENS1_52radix_sort_onesweep_histogram_config_static_selectorELNS0_4arch9wavefront6targetE0EEEvSD_.kd
    .uniform_work_group_size: 1
    .uses_dynamic_stack: false
    .vgpr_count:     47
    .vgpr_spill_count: 0
    .wavefront_size: 32
  - .args:
      - .offset:         0
        .size:           48
        .value_kind:     by_value
    .group_segment_fixed_size: 0
    .kernarg_segment_align: 8
    .kernarg_segment_size: 48
    .language:       OpenCL C
    .language_version:
      - 2
      - 0
    .max_flat_workgroup_size: 1024
    .name:           _ZN7rocprim17ROCPRIM_400000_NS6detail17trampoline_kernelINS0_14default_configENS1_35radix_sort_onesweep_config_selectorIaNS0_10empty_typeEEEZNS1_34radix_sort_onesweep_global_offsetsIS3_Lb0EPKaPS5_mNS0_19identity_decomposerEEE10hipError_tT1_T2_PT3_SF_jT4_jjP12ihipStream_tbEUlT_E_NS1_11comp_targetILNS1_3genE6ELNS1_11target_archE950ELNS1_3gpuE13ELNS1_3repE0EEENS1_52radix_sort_onesweep_histogram_config_static_selectorELNS0_4arch9wavefront6targetE0EEEvSD_
    .private_segment_fixed_size: 0
    .sgpr_count:     0
    .sgpr_spill_count: 0
    .symbol:         _ZN7rocprim17ROCPRIM_400000_NS6detail17trampoline_kernelINS0_14default_configENS1_35radix_sort_onesweep_config_selectorIaNS0_10empty_typeEEEZNS1_34radix_sort_onesweep_global_offsetsIS3_Lb0EPKaPS5_mNS0_19identity_decomposerEEE10hipError_tT1_T2_PT3_SF_jT4_jjP12ihipStream_tbEUlT_E_NS1_11comp_targetILNS1_3genE6ELNS1_11target_archE950ELNS1_3gpuE13ELNS1_3repE0EEENS1_52radix_sort_onesweep_histogram_config_static_selectorELNS0_4arch9wavefront6targetE0EEEvSD_.kd
    .uniform_work_group_size: 1
    .uses_dynamic_stack: false
    .vgpr_count:     0
    .vgpr_spill_count: 0
    .wavefront_size: 32
  - .args:
      - .offset:         0
        .size:           48
        .value_kind:     by_value
    .group_segment_fixed_size: 0
    .kernarg_segment_align: 8
    .kernarg_segment_size: 48
    .language:       OpenCL C
    .language_version:
      - 2
      - 0
    .max_flat_workgroup_size: 1024
    .name:           _ZN7rocprim17ROCPRIM_400000_NS6detail17trampoline_kernelINS0_14default_configENS1_35radix_sort_onesweep_config_selectorIaNS0_10empty_typeEEEZNS1_34radix_sort_onesweep_global_offsetsIS3_Lb0EPKaPS5_mNS0_19identity_decomposerEEE10hipError_tT1_T2_PT3_SF_jT4_jjP12ihipStream_tbEUlT_E_NS1_11comp_targetILNS1_3genE5ELNS1_11target_archE942ELNS1_3gpuE9ELNS1_3repE0EEENS1_52radix_sort_onesweep_histogram_config_static_selectorELNS0_4arch9wavefront6targetE0EEEvSD_
    .private_segment_fixed_size: 0
    .sgpr_count:     0
    .sgpr_spill_count: 0
    .symbol:         _ZN7rocprim17ROCPRIM_400000_NS6detail17trampoline_kernelINS0_14default_configENS1_35radix_sort_onesweep_config_selectorIaNS0_10empty_typeEEEZNS1_34radix_sort_onesweep_global_offsetsIS3_Lb0EPKaPS5_mNS0_19identity_decomposerEEE10hipError_tT1_T2_PT3_SF_jT4_jjP12ihipStream_tbEUlT_E_NS1_11comp_targetILNS1_3genE5ELNS1_11target_archE942ELNS1_3gpuE9ELNS1_3repE0EEENS1_52radix_sort_onesweep_histogram_config_static_selectorELNS0_4arch9wavefront6targetE0EEEvSD_.kd
    .uniform_work_group_size: 1
    .uses_dynamic_stack: false
    .vgpr_count:     0
    .vgpr_spill_count: 0
    .wavefront_size: 32
  - .args:
      - .offset:         0
        .size:           48
        .value_kind:     by_value
    .group_segment_fixed_size: 0
    .kernarg_segment_align: 8
    .kernarg_segment_size: 48
    .language:       OpenCL C
    .language_version:
      - 2
      - 0
    .max_flat_workgroup_size: 512
    .name:           _ZN7rocprim17ROCPRIM_400000_NS6detail17trampoline_kernelINS0_14default_configENS1_35radix_sort_onesweep_config_selectorIaNS0_10empty_typeEEEZNS1_34radix_sort_onesweep_global_offsetsIS3_Lb0EPKaPS5_mNS0_19identity_decomposerEEE10hipError_tT1_T2_PT3_SF_jT4_jjP12ihipStream_tbEUlT_E_NS1_11comp_targetILNS1_3genE2ELNS1_11target_archE906ELNS1_3gpuE6ELNS1_3repE0EEENS1_52radix_sort_onesweep_histogram_config_static_selectorELNS0_4arch9wavefront6targetE0EEEvSD_
    .private_segment_fixed_size: 0
    .sgpr_count:     0
    .sgpr_spill_count: 0
    .symbol:         _ZN7rocprim17ROCPRIM_400000_NS6detail17trampoline_kernelINS0_14default_configENS1_35radix_sort_onesweep_config_selectorIaNS0_10empty_typeEEEZNS1_34radix_sort_onesweep_global_offsetsIS3_Lb0EPKaPS5_mNS0_19identity_decomposerEEE10hipError_tT1_T2_PT3_SF_jT4_jjP12ihipStream_tbEUlT_E_NS1_11comp_targetILNS1_3genE2ELNS1_11target_archE906ELNS1_3gpuE6ELNS1_3repE0EEENS1_52radix_sort_onesweep_histogram_config_static_selectorELNS0_4arch9wavefront6targetE0EEEvSD_.kd
    .uniform_work_group_size: 1
    .uses_dynamic_stack: false
    .vgpr_count:     0
    .vgpr_spill_count: 0
    .wavefront_size: 32
  - .args:
      - .offset:         0
        .size:           48
        .value_kind:     by_value
    .group_segment_fixed_size: 0
    .kernarg_segment_align: 8
    .kernarg_segment_size: 48
    .language:       OpenCL C
    .language_version:
      - 2
      - 0
    .max_flat_workgroup_size: 512
    .name:           _ZN7rocprim17ROCPRIM_400000_NS6detail17trampoline_kernelINS0_14default_configENS1_35radix_sort_onesweep_config_selectorIaNS0_10empty_typeEEEZNS1_34radix_sort_onesweep_global_offsetsIS3_Lb0EPKaPS5_mNS0_19identity_decomposerEEE10hipError_tT1_T2_PT3_SF_jT4_jjP12ihipStream_tbEUlT_E_NS1_11comp_targetILNS1_3genE4ELNS1_11target_archE910ELNS1_3gpuE8ELNS1_3repE0EEENS1_52radix_sort_onesweep_histogram_config_static_selectorELNS0_4arch9wavefront6targetE0EEEvSD_
    .private_segment_fixed_size: 0
    .sgpr_count:     0
    .sgpr_spill_count: 0
    .symbol:         _ZN7rocprim17ROCPRIM_400000_NS6detail17trampoline_kernelINS0_14default_configENS1_35radix_sort_onesweep_config_selectorIaNS0_10empty_typeEEEZNS1_34radix_sort_onesweep_global_offsetsIS3_Lb0EPKaPS5_mNS0_19identity_decomposerEEE10hipError_tT1_T2_PT3_SF_jT4_jjP12ihipStream_tbEUlT_E_NS1_11comp_targetILNS1_3genE4ELNS1_11target_archE910ELNS1_3gpuE8ELNS1_3repE0EEENS1_52radix_sort_onesweep_histogram_config_static_selectorELNS0_4arch9wavefront6targetE0EEEvSD_.kd
    .uniform_work_group_size: 1
    .uses_dynamic_stack: false
    .vgpr_count:     0
    .vgpr_spill_count: 0
    .wavefront_size: 32
  - .args:
      - .offset:         0
        .size:           48
        .value_kind:     by_value
    .group_segment_fixed_size: 0
    .kernarg_segment_align: 8
    .kernarg_segment_size: 48
    .language:       OpenCL C
    .language_version:
      - 2
      - 0
    .max_flat_workgroup_size: 1024
    .name:           _ZN7rocprim17ROCPRIM_400000_NS6detail17trampoline_kernelINS0_14default_configENS1_35radix_sort_onesweep_config_selectorIaNS0_10empty_typeEEEZNS1_34radix_sort_onesweep_global_offsetsIS3_Lb0EPKaPS5_mNS0_19identity_decomposerEEE10hipError_tT1_T2_PT3_SF_jT4_jjP12ihipStream_tbEUlT_E_NS1_11comp_targetILNS1_3genE3ELNS1_11target_archE908ELNS1_3gpuE7ELNS1_3repE0EEENS1_52radix_sort_onesweep_histogram_config_static_selectorELNS0_4arch9wavefront6targetE0EEEvSD_
    .private_segment_fixed_size: 0
    .sgpr_count:     0
    .sgpr_spill_count: 0
    .symbol:         _ZN7rocprim17ROCPRIM_400000_NS6detail17trampoline_kernelINS0_14default_configENS1_35radix_sort_onesweep_config_selectorIaNS0_10empty_typeEEEZNS1_34radix_sort_onesweep_global_offsetsIS3_Lb0EPKaPS5_mNS0_19identity_decomposerEEE10hipError_tT1_T2_PT3_SF_jT4_jjP12ihipStream_tbEUlT_E_NS1_11comp_targetILNS1_3genE3ELNS1_11target_archE908ELNS1_3gpuE7ELNS1_3repE0EEENS1_52radix_sort_onesweep_histogram_config_static_selectorELNS0_4arch9wavefront6targetE0EEEvSD_.kd
    .uniform_work_group_size: 1
    .uses_dynamic_stack: false
    .vgpr_count:     0
    .vgpr_spill_count: 0
    .wavefront_size: 32
  - .args:
      - .offset:         0
        .size:           48
        .value_kind:     by_value
    .group_segment_fixed_size: 0
    .kernarg_segment_align: 8
    .kernarg_segment_size: 48
    .language:       OpenCL C
    .language_version:
      - 2
      - 0
    .max_flat_workgroup_size: 256
    .name:           _ZN7rocprim17ROCPRIM_400000_NS6detail17trampoline_kernelINS0_14default_configENS1_35radix_sort_onesweep_config_selectorIaNS0_10empty_typeEEEZNS1_34radix_sort_onesweep_global_offsetsIS3_Lb0EPKaPS5_mNS0_19identity_decomposerEEE10hipError_tT1_T2_PT3_SF_jT4_jjP12ihipStream_tbEUlT_E_NS1_11comp_targetILNS1_3genE10ELNS1_11target_archE1201ELNS1_3gpuE5ELNS1_3repE0EEENS1_52radix_sort_onesweep_histogram_config_static_selectorELNS0_4arch9wavefront6targetE0EEEvSD_
    .private_segment_fixed_size: 0
    .sgpr_count:     0
    .sgpr_spill_count: 0
    .symbol:         _ZN7rocprim17ROCPRIM_400000_NS6detail17trampoline_kernelINS0_14default_configENS1_35radix_sort_onesweep_config_selectorIaNS0_10empty_typeEEEZNS1_34radix_sort_onesweep_global_offsetsIS3_Lb0EPKaPS5_mNS0_19identity_decomposerEEE10hipError_tT1_T2_PT3_SF_jT4_jjP12ihipStream_tbEUlT_E_NS1_11comp_targetILNS1_3genE10ELNS1_11target_archE1201ELNS1_3gpuE5ELNS1_3repE0EEENS1_52radix_sort_onesweep_histogram_config_static_selectorELNS0_4arch9wavefront6targetE0EEEvSD_.kd
    .uniform_work_group_size: 1
    .uses_dynamic_stack: false
    .vgpr_count:     0
    .vgpr_spill_count: 0
    .wavefront_size: 32
  - .args:
      - .offset:         0
        .size:           48
        .value_kind:     by_value
    .group_segment_fixed_size: 0
    .kernarg_segment_align: 8
    .kernarg_segment_size: 48
    .language:       OpenCL C
    .language_version:
      - 2
      - 0
    .max_flat_workgroup_size: 256
    .name:           _ZN7rocprim17ROCPRIM_400000_NS6detail17trampoline_kernelINS0_14default_configENS1_35radix_sort_onesweep_config_selectorIaNS0_10empty_typeEEEZNS1_34radix_sort_onesweep_global_offsetsIS3_Lb0EPKaPS5_mNS0_19identity_decomposerEEE10hipError_tT1_T2_PT3_SF_jT4_jjP12ihipStream_tbEUlT_E_NS1_11comp_targetILNS1_3genE9ELNS1_11target_archE1100ELNS1_3gpuE3ELNS1_3repE0EEENS1_52radix_sort_onesweep_histogram_config_static_selectorELNS0_4arch9wavefront6targetE0EEEvSD_
    .private_segment_fixed_size: 0
    .sgpr_count:     0
    .sgpr_spill_count: 0
    .symbol:         _ZN7rocprim17ROCPRIM_400000_NS6detail17trampoline_kernelINS0_14default_configENS1_35radix_sort_onesweep_config_selectorIaNS0_10empty_typeEEEZNS1_34radix_sort_onesweep_global_offsetsIS3_Lb0EPKaPS5_mNS0_19identity_decomposerEEE10hipError_tT1_T2_PT3_SF_jT4_jjP12ihipStream_tbEUlT_E_NS1_11comp_targetILNS1_3genE9ELNS1_11target_archE1100ELNS1_3gpuE3ELNS1_3repE0EEENS1_52radix_sort_onesweep_histogram_config_static_selectorELNS0_4arch9wavefront6targetE0EEEvSD_.kd
    .uniform_work_group_size: 1
    .uses_dynamic_stack: false
    .vgpr_count:     0
    .vgpr_spill_count: 0
    .wavefront_size: 32
  - .args:
      - .offset:         0
        .size:           48
        .value_kind:     by_value
    .group_segment_fixed_size: 0
    .kernarg_segment_align: 8
    .kernarg_segment_size: 48
    .language:       OpenCL C
    .language_version:
      - 2
      - 0
    .max_flat_workgroup_size: 256
    .name:           _ZN7rocprim17ROCPRIM_400000_NS6detail17trampoline_kernelINS0_14default_configENS1_35radix_sort_onesweep_config_selectorIaNS0_10empty_typeEEEZNS1_34radix_sort_onesweep_global_offsetsIS3_Lb0EPKaPS5_mNS0_19identity_decomposerEEE10hipError_tT1_T2_PT3_SF_jT4_jjP12ihipStream_tbEUlT_E_NS1_11comp_targetILNS1_3genE8ELNS1_11target_archE1030ELNS1_3gpuE2ELNS1_3repE0EEENS1_52radix_sort_onesweep_histogram_config_static_selectorELNS0_4arch9wavefront6targetE0EEEvSD_
    .private_segment_fixed_size: 0
    .sgpr_count:     0
    .sgpr_spill_count: 0
    .symbol:         _ZN7rocprim17ROCPRIM_400000_NS6detail17trampoline_kernelINS0_14default_configENS1_35radix_sort_onesweep_config_selectorIaNS0_10empty_typeEEEZNS1_34radix_sort_onesweep_global_offsetsIS3_Lb0EPKaPS5_mNS0_19identity_decomposerEEE10hipError_tT1_T2_PT3_SF_jT4_jjP12ihipStream_tbEUlT_E_NS1_11comp_targetILNS1_3genE8ELNS1_11target_archE1030ELNS1_3gpuE2ELNS1_3repE0EEENS1_52radix_sort_onesweep_histogram_config_static_selectorELNS0_4arch9wavefront6targetE0EEEvSD_.kd
    .uniform_work_group_size: 1
    .uses_dynamic_stack: false
    .vgpr_count:     0
    .vgpr_spill_count: 0
    .wavefront_size: 32
  - .args:
      - .address_space:  global
        .offset:         0
        .size:           8
        .value_kind:     global_buffer
    .group_segment_fixed_size: 256
    .kernarg_segment_align: 8
    .kernarg_segment_size: 8
    .language:       OpenCL C
    .language_version:
      - 2
      - 0
    .max_flat_workgroup_size: 1024
    .name:           _ZN7rocprim17ROCPRIM_400000_NS6detail17trampoline_kernelINS0_14default_configENS1_35radix_sort_onesweep_config_selectorIaNS0_10empty_typeEEEZNS1_34radix_sort_onesweep_global_offsetsIS3_Lb0EPKaPS5_mNS0_19identity_decomposerEEE10hipError_tT1_T2_PT3_SF_jT4_jjP12ihipStream_tbEUlT_E0_NS1_11comp_targetILNS1_3genE0ELNS1_11target_archE4294967295ELNS1_3gpuE0ELNS1_3repE0EEENS1_52radix_sort_onesweep_histogram_config_static_selectorELNS0_4arch9wavefront6targetE0EEEvSD_
    .private_segment_fixed_size: 0
    .sgpr_count:     12
    .sgpr_spill_count: 0
    .symbol:         _ZN7rocprim17ROCPRIM_400000_NS6detail17trampoline_kernelINS0_14default_configENS1_35radix_sort_onesweep_config_selectorIaNS0_10empty_typeEEEZNS1_34radix_sort_onesweep_global_offsetsIS3_Lb0EPKaPS5_mNS0_19identity_decomposerEEE10hipError_tT1_T2_PT3_SF_jT4_jjP12ihipStream_tbEUlT_E0_NS1_11comp_targetILNS1_3genE0ELNS1_11target_archE4294967295ELNS1_3gpuE0ELNS1_3repE0EEENS1_52radix_sort_onesweep_histogram_config_static_selectorELNS0_4arch9wavefront6targetE0EEEvSD_.kd
    .uniform_work_group_size: 1
    .uses_dynamic_stack: false
    .vgpr_count:     14
    .vgpr_spill_count: 0
    .wavefront_size: 32
  - .args:
      - .address_space:  global
        .offset:         0
        .size:           8
        .value_kind:     global_buffer
    .group_segment_fixed_size: 0
    .kernarg_segment_align: 8
    .kernarg_segment_size: 8
    .language:       OpenCL C
    .language_version:
      - 2
      - 0
    .max_flat_workgroup_size: 1024
    .name:           _ZN7rocprim17ROCPRIM_400000_NS6detail17trampoline_kernelINS0_14default_configENS1_35radix_sort_onesweep_config_selectorIaNS0_10empty_typeEEEZNS1_34radix_sort_onesweep_global_offsetsIS3_Lb0EPKaPS5_mNS0_19identity_decomposerEEE10hipError_tT1_T2_PT3_SF_jT4_jjP12ihipStream_tbEUlT_E0_NS1_11comp_targetILNS1_3genE6ELNS1_11target_archE950ELNS1_3gpuE13ELNS1_3repE0EEENS1_52radix_sort_onesweep_histogram_config_static_selectorELNS0_4arch9wavefront6targetE0EEEvSD_
    .private_segment_fixed_size: 0
    .sgpr_count:     0
    .sgpr_spill_count: 0
    .symbol:         _ZN7rocprim17ROCPRIM_400000_NS6detail17trampoline_kernelINS0_14default_configENS1_35radix_sort_onesweep_config_selectorIaNS0_10empty_typeEEEZNS1_34radix_sort_onesweep_global_offsetsIS3_Lb0EPKaPS5_mNS0_19identity_decomposerEEE10hipError_tT1_T2_PT3_SF_jT4_jjP12ihipStream_tbEUlT_E0_NS1_11comp_targetILNS1_3genE6ELNS1_11target_archE950ELNS1_3gpuE13ELNS1_3repE0EEENS1_52radix_sort_onesweep_histogram_config_static_selectorELNS0_4arch9wavefront6targetE0EEEvSD_.kd
    .uniform_work_group_size: 1
    .uses_dynamic_stack: false
    .vgpr_count:     0
    .vgpr_spill_count: 0
    .wavefront_size: 32
  - .args:
      - .address_space:  global
        .offset:         0
        .size:           8
        .value_kind:     global_buffer
    .group_segment_fixed_size: 0
    .kernarg_segment_align: 8
    .kernarg_segment_size: 8
    .language:       OpenCL C
    .language_version:
      - 2
      - 0
    .max_flat_workgroup_size: 1024
    .name:           _ZN7rocprim17ROCPRIM_400000_NS6detail17trampoline_kernelINS0_14default_configENS1_35radix_sort_onesweep_config_selectorIaNS0_10empty_typeEEEZNS1_34radix_sort_onesweep_global_offsetsIS3_Lb0EPKaPS5_mNS0_19identity_decomposerEEE10hipError_tT1_T2_PT3_SF_jT4_jjP12ihipStream_tbEUlT_E0_NS1_11comp_targetILNS1_3genE5ELNS1_11target_archE942ELNS1_3gpuE9ELNS1_3repE0EEENS1_52radix_sort_onesweep_histogram_config_static_selectorELNS0_4arch9wavefront6targetE0EEEvSD_
    .private_segment_fixed_size: 0
    .sgpr_count:     0
    .sgpr_spill_count: 0
    .symbol:         _ZN7rocprim17ROCPRIM_400000_NS6detail17trampoline_kernelINS0_14default_configENS1_35radix_sort_onesweep_config_selectorIaNS0_10empty_typeEEEZNS1_34radix_sort_onesweep_global_offsetsIS3_Lb0EPKaPS5_mNS0_19identity_decomposerEEE10hipError_tT1_T2_PT3_SF_jT4_jjP12ihipStream_tbEUlT_E0_NS1_11comp_targetILNS1_3genE5ELNS1_11target_archE942ELNS1_3gpuE9ELNS1_3repE0EEENS1_52radix_sort_onesweep_histogram_config_static_selectorELNS0_4arch9wavefront6targetE0EEEvSD_.kd
    .uniform_work_group_size: 1
    .uses_dynamic_stack: false
    .vgpr_count:     0
    .vgpr_spill_count: 0
    .wavefront_size: 32
  - .args:
      - .address_space:  global
        .offset:         0
        .size:           8
        .value_kind:     global_buffer
    .group_segment_fixed_size: 0
    .kernarg_segment_align: 8
    .kernarg_segment_size: 8
    .language:       OpenCL C
    .language_version:
      - 2
      - 0
    .max_flat_workgroup_size: 512
    .name:           _ZN7rocprim17ROCPRIM_400000_NS6detail17trampoline_kernelINS0_14default_configENS1_35radix_sort_onesweep_config_selectorIaNS0_10empty_typeEEEZNS1_34radix_sort_onesweep_global_offsetsIS3_Lb0EPKaPS5_mNS0_19identity_decomposerEEE10hipError_tT1_T2_PT3_SF_jT4_jjP12ihipStream_tbEUlT_E0_NS1_11comp_targetILNS1_3genE2ELNS1_11target_archE906ELNS1_3gpuE6ELNS1_3repE0EEENS1_52radix_sort_onesweep_histogram_config_static_selectorELNS0_4arch9wavefront6targetE0EEEvSD_
    .private_segment_fixed_size: 0
    .sgpr_count:     0
    .sgpr_spill_count: 0
    .symbol:         _ZN7rocprim17ROCPRIM_400000_NS6detail17trampoline_kernelINS0_14default_configENS1_35radix_sort_onesweep_config_selectorIaNS0_10empty_typeEEEZNS1_34radix_sort_onesweep_global_offsetsIS3_Lb0EPKaPS5_mNS0_19identity_decomposerEEE10hipError_tT1_T2_PT3_SF_jT4_jjP12ihipStream_tbEUlT_E0_NS1_11comp_targetILNS1_3genE2ELNS1_11target_archE906ELNS1_3gpuE6ELNS1_3repE0EEENS1_52radix_sort_onesweep_histogram_config_static_selectorELNS0_4arch9wavefront6targetE0EEEvSD_.kd
    .uniform_work_group_size: 1
    .uses_dynamic_stack: false
    .vgpr_count:     0
    .vgpr_spill_count: 0
    .wavefront_size: 32
  - .args:
      - .address_space:  global
        .offset:         0
        .size:           8
        .value_kind:     global_buffer
    .group_segment_fixed_size: 0
    .kernarg_segment_align: 8
    .kernarg_segment_size: 8
    .language:       OpenCL C
    .language_version:
      - 2
      - 0
    .max_flat_workgroup_size: 512
    .name:           _ZN7rocprim17ROCPRIM_400000_NS6detail17trampoline_kernelINS0_14default_configENS1_35radix_sort_onesweep_config_selectorIaNS0_10empty_typeEEEZNS1_34radix_sort_onesweep_global_offsetsIS3_Lb0EPKaPS5_mNS0_19identity_decomposerEEE10hipError_tT1_T2_PT3_SF_jT4_jjP12ihipStream_tbEUlT_E0_NS1_11comp_targetILNS1_3genE4ELNS1_11target_archE910ELNS1_3gpuE8ELNS1_3repE0EEENS1_52radix_sort_onesweep_histogram_config_static_selectorELNS0_4arch9wavefront6targetE0EEEvSD_
    .private_segment_fixed_size: 0
    .sgpr_count:     0
    .sgpr_spill_count: 0
    .symbol:         _ZN7rocprim17ROCPRIM_400000_NS6detail17trampoline_kernelINS0_14default_configENS1_35radix_sort_onesweep_config_selectorIaNS0_10empty_typeEEEZNS1_34radix_sort_onesweep_global_offsetsIS3_Lb0EPKaPS5_mNS0_19identity_decomposerEEE10hipError_tT1_T2_PT3_SF_jT4_jjP12ihipStream_tbEUlT_E0_NS1_11comp_targetILNS1_3genE4ELNS1_11target_archE910ELNS1_3gpuE8ELNS1_3repE0EEENS1_52radix_sort_onesweep_histogram_config_static_selectorELNS0_4arch9wavefront6targetE0EEEvSD_.kd
    .uniform_work_group_size: 1
    .uses_dynamic_stack: false
    .vgpr_count:     0
    .vgpr_spill_count: 0
    .wavefront_size: 32
  - .args:
      - .address_space:  global
        .offset:         0
        .size:           8
        .value_kind:     global_buffer
    .group_segment_fixed_size: 0
    .kernarg_segment_align: 8
    .kernarg_segment_size: 8
    .language:       OpenCL C
    .language_version:
      - 2
      - 0
    .max_flat_workgroup_size: 1024
    .name:           _ZN7rocprim17ROCPRIM_400000_NS6detail17trampoline_kernelINS0_14default_configENS1_35radix_sort_onesweep_config_selectorIaNS0_10empty_typeEEEZNS1_34radix_sort_onesweep_global_offsetsIS3_Lb0EPKaPS5_mNS0_19identity_decomposerEEE10hipError_tT1_T2_PT3_SF_jT4_jjP12ihipStream_tbEUlT_E0_NS1_11comp_targetILNS1_3genE3ELNS1_11target_archE908ELNS1_3gpuE7ELNS1_3repE0EEENS1_52radix_sort_onesweep_histogram_config_static_selectorELNS0_4arch9wavefront6targetE0EEEvSD_
    .private_segment_fixed_size: 0
    .sgpr_count:     0
    .sgpr_spill_count: 0
    .symbol:         _ZN7rocprim17ROCPRIM_400000_NS6detail17trampoline_kernelINS0_14default_configENS1_35radix_sort_onesweep_config_selectorIaNS0_10empty_typeEEEZNS1_34radix_sort_onesweep_global_offsetsIS3_Lb0EPKaPS5_mNS0_19identity_decomposerEEE10hipError_tT1_T2_PT3_SF_jT4_jjP12ihipStream_tbEUlT_E0_NS1_11comp_targetILNS1_3genE3ELNS1_11target_archE908ELNS1_3gpuE7ELNS1_3repE0EEENS1_52radix_sort_onesweep_histogram_config_static_selectorELNS0_4arch9wavefront6targetE0EEEvSD_.kd
    .uniform_work_group_size: 1
    .uses_dynamic_stack: false
    .vgpr_count:     0
    .vgpr_spill_count: 0
    .wavefront_size: 32
  - .args:
      - .address_space:  global
        .offset:         0
        .size:           8
        .value_kind:     global_buffer
    .group_segment_fixed_size: 0
    .kernarg_segment_align: 8
    .kernarg_segment_size: 8
    .language:       OpenCL C
    .language_version:
      - 2
      - 0
    .max_flat_workgroup_size: 256
    .name:           _ZN7rocprim17ROCPRIM_400000_NS6detail17trampoline_kernelINS0_14default_configENS1_35radix_sort_onesweep_config_selectorIaNS0_10empty_typeEEEZNS1_34radix_sort_onesweep_global_offsetsIS3_Lb0EPKaPS5_mNS0_19identity_decomposerEEE10hipError_tT1_T2_PT3_SF_jT4_jjP12ihipStream_tbEUlT_E0_NS1_11comp_targetILNS1_3genE10ELNS1_11target_archE1201ELNS1_3gpuE5ELNS1_3repE0EEENS1_52radix_sort_onesweep_histogram_config_static_selectorELNS0_4arch9wavefront6targetE0EEEvSD_
    .private_segment_fixed_size: 0
    .sgpr_count:     0
    .sgpr_spill_count: 0
    .symbol:         _ZN7rocprim17ROCPRIM_400000_NS6detail17trampoline_kernelINS0_14default_configENS1_35radix_sort_onesweep_config_selectorIaNS0_10empty_typeEEEZNS1_34radix_sort_onesweep_global_offsetsIS3_Lb0EPKaPS5_mNS0_19identity_decomposerEEE10hipError_tT1_T2_PT3_SF_jT4_jjP12ihipStream_tbEUlT_E0_NS1_11comp_targetILNS1_3genE10ELNS1_11target_archE1201ELNS1_3gpuE5ELNS1_3repE0EEENS1_52radix_sort_onesweep_histogram_config_static_selectorELNS0_4arch9wavefront6targetE0EEEvSD_.kd
    .uniform_work_group_size: 1
    .uses_dynamic_stack: false
    .vgpr_count:     0
    .vgpr_spill_count: 0
    .wavefront_size: 32
  - .args:
      - .address_space:  global
        .offset:         0
        .size:           8
        .value_kind:     global_buffer
    .group_segment_fixed_size: 0
    .kernarg_segment_align: 8
    .kernarg_segment_size: 8
    .language:       OpenCL C
    .language_version:
      - 2
      - 0
    .max_flat_workgroup_size: 256
    .name:           _ZN7rocprim17ROCPRIM_400000_NS6detail17trampoline_kernelINS0_14default_configENS1_35radix_sort_onesweep_config_selectorIaNS0_10empty_typeEEEZNS1_34radix_sort_onesweep_global_offsetsIS3_Lb0EPKaPS5_mNS0_19identity_decomposerEEE10hipError_tT1_T2_PT3_SF_jT4_jjP12ihipStream_tbEUlT_E0_NS1_11comp_targetILNS1_3genE9ELNS1_11target_archE1100ELNS1_3gpuE3ELNS1_3repE0EEENS1_52radix_sort_onesweep_histogram_config_static_selectorELNS0_4arch9wavefront6targetE0EEEvSD_
    .private_segment_fixed_size: 0
    .sgpr_count:     0
    .sgpr_spill_count: 0
    .symbol:         _ZN7rocprim17ROCPRIM_400000_NS6detail17trampoline_kernelINS0_14default_configENS1_35radix_sort_onesweep_config_selectorIaNS0_10empty_typeEEEZNS1_34radix_sort_onesweep_global_offsetsIS3_Lb0EPKaPS5_mNS0_19identity_decomposerEEE10hipError_tT1_T2_PT3_SF_jT4_jjP12ihipStream_tbEUlT_E0_NS1_11comp_targetILNS1_3genE9ELNS1_11target_archE1100ELNS1_3gpuE3ELNS1_3repE0EEENS1_52radix_sort_onesweep_histogram_config_static_selectorELNS0_4arch9wavefront6targetE0EEEvSD_.kd
    .uniform_work_group_size: 1
    .uses_dynamic_stack: false
    .vgpr_count:     0
    .vgpr_spill_count: 0
    .wavefront_size: 32
  - .args:
      - .address_space:  global
        .offset:         0
        .size:           8
        .value_kind:     global_buffer
    .group_segment_fixed_size: 0
    .kernarg_segment_align: 8
    .kernarg_segment_size: 8
    .language:       OpenCL C
    .language_version:
      - 2
      - 0
    .max_flat_workgroup_size: 256
    .name:           _ZN7rocprim17ROCPRIM_400000_NS6detail17trampoline_kernelINS0_14default_configENS1_35radix_sort_onesweep_config_selectorIaNS0_10empty_typeEEEZNS1_34radix_sort_onesweep_global_offsetsIS3_Lb0EPKaPS5_mNS0_19identity_decomposerEEE10hipError_tT1_T2_PT3_SF_jT4_jjP12ihipStream_tbEUlT_E0_NS1_11comp_targetILNS1_3genE8ELNS1_11target_archE1030ELNS1_3gpuE2ELNS1_3repE0EEENS1_52radix_sort_onesweep_histogram_config_static_selectorELNS0_4arch9wavefront6targetE0EEEvSD_
    .private_segment_fixed_size: 0
    .sgpr_count:     0
    .sgpr_spill_count: 0
    .symbol:         _ZN7rocprim17ROCPRIM_400000_NS6detail17trampoline_kernelINS0_14default_configENS1_35radix_sort_onesweep_config_selectorIaNS0_10empty_typeEEEZNS1_34radix_sort_onesweep_global_offsetsIS3_Lb0EPKaPS5_mNS0_19identity_decomposerEEE10hipError_tT1_T2_PT3_SF_jT4_jjP12ihipStream_tbEUlT_E0_NS1_11comp_targetILNS1_3genE8ELNS1_11target_archE1030ELNS1_3gpuE2ELNS1_3repE0EEENS1_52radix_sort_onesweep_histogram_config_static_selectorELNS0_4arch9wavefront6targetE0EEEvSD_.kd
    .uniform_work_group_size: 1
    .uses_dynamic_stack: false
    .vgpr_count:     0
    .vgpr_spill_count: 0
    .wavefront_size: 32
  - .args:
      - .offset:         0
        .size:           88
        .value_kind:     by_value
      - .offset:         88
        .size:           4
        .value_kind:     hidden_block_count_x
      - .offset:         92
        .size:           4
        .value_kind:     hidden_block_count_y
      - .offset:         96
        .size:           4
        .value_kind:     hidden_block_count_z
      - .offset:         100
        .size:           2
        .value_kind:     hidden_group_size_x
      - .offset:         102
        .size:           2
        .value_kind:     hidden_group_size_y
      - .offset:         104
        .size:           2
        .value_kind:     hidden_group_size_z
      - .offset:         106
        .size:           2
        .value_kind:     hidden_remainder_x
      - .offset:         108
        .size:           2
        .value_kind:     hidden_remainder_y
      - .offset:         110
        .size:           2
        .value_kind:     hidden_remainder_z
      - .offset:         128
        .size:           8
        .value_kind:     hidden_global_offset_x
      - .offset:         136
        .size:           8
        .value_kind:     hidden_global_offset_y
      - .offset:         144
        .size:           8
        .value_kind:     hidden_global_offset_z
      - .offset:         152
        .size:           2
        .value_kind:     hidden_grid_dims
    .group_segment_fixed_size: 32904
    .kernarg_segment_align: 8
    .kernarg_segment_size: 344
    .language:       OpenCL C
    .language_version:
      - 2
      - 0
    .max_flat_workgroup_size: 1024
    .name:           _ZN7rocprim17ROCPRIM_400000_NS6detail17trampoline_kernelINS0_14default_configENS1_35radix_sort_onesweep_config_selectorIaNS0_10empty_typeEEEZZNS1_29radix_sort_onesweep_iterationIS3_Lb0EPKaPaPS5_SB_mNS0_19identity_decomposerENS1_16block_id_wrapperIjLb1EEEEE10hipError_tT1_PNSt15iterator_traitsISG_E10value_typeET2_T3_PNSH_ISM_E10value_typeET4_T5_PSR_SS_PNS1_23onesweep_lookback_stateEbbT6_jjT7_P12ihipStream_tbENKUlT_T0_SG_SL_E_clIS9_SA_SB_SB_EEDaSZ_S10_SG_SL_EUlSZ_E_NS1_11comp_targetILNS1_3genE0ELNS1_11target_archE4294967295ELNS1_3gpuE0ELNS1_3repE0EEENS1_47radix_sort_onesweep_sort_config_static_selectorELNS0_4arch9wavefront6targetE0EEEvSG_
    .private_segment_fixed_size: 0
    .sgpr_count:     27
    .sgpr_spill_count: 0
    .symbol:         _ZN7rocprim17ROCPRIM_400000_NS6detail17trampoline_kernelINS0_14default_configENS1_35radix_sort_onesweep_config_selectorIaNS0_10empty_typeEEEZZNS1_29radix_sort_onesweep_iterationIS3_Lb0EPKaPaPS5_SB_mNS0_19identity_decomposerENS1_16block_id_wrapperIjLb1EEEEE10hipError_tT1_PNSt15iterator_traitsISG_E10value_typeET2_T3_PNSH_ISM_E10value_typeET4_T5_PSR_SS_PNS1_23onesweep_lookback_stateEbbT6_jjT7_P12ihipStream_tbENKUlT_T0_SG_SL_E_clIS9_SA_SB_SB_EEDaSZ_S10_SG_SL_EUlSZ_E_NS1_11comp_targetILNS1_3genE0ELNS1_11target_archE4294967295ELNS1_3gpuE0ELNS1_3repE0EEENS1_47radix_sort_onesweep_sort_config_static_selectorELNS0_4arch9wavefront6targetE0EEEvSG_.kd
    .uniform_work_group_size: 1
    .uses_dynamic_stack: false
    .vgpr_count:     79
    .vgpr_spill_count: 0
    .wavefront_size: 32
  - .args:
      - .offset:         0
        .size:           88
        .value_kind:     by_value
    .group_segment_fixed_size: 0
    .kernarg_segment_align: 8
    .kernarg_segment_size: 88
    .language:       OpenCL C
    .language_version:
      - 2
      - 0
    .max_flat_workgroup_size: 1024
    .name:           _ZN7rocprim17ROCPRIM_400000_NS6detail17trampoline_kernelINS0_14default_configENS1_35radix_sort_onesweep_config_selectorIaNS0_10empty_typeEEEZZNS1_29radix_sort_onesweep_iterationIS3_Lb0EPKaPaPS5_SB_mNS0_19identity_decomposerENS1_16block_id_wrapperIjLb1EEEEE10hipError_tT1_PNSt15iterator_traitsISG_E10value_typeET2_T3_PNSH_ISM_E10value_typeET4_T5_PSR_SS_PNS1_23onesweep_lookback_stateEbbT6_jjT7_P12ihipStream_tbENKUlT_T0_SG_SL_E_clIS9_SA_SB_SB_EEDaSZ_S10_SG_SL_EUlSZ_E_NS1_11comp_targetILNS1_3genE6ELNS1_11target_archE950ELNS1_3gpuE13ELNS1_3repE0EEENS1_47radix_sort_onesweep_sort_config_static_selectorELNS0_4arch9wavefront6targetE0EEEvSG_
    .private_segment_fixed_size: 0
    .sgpr_count:     0
    .sgpr_spill_count: 0
    .symbol:         _ZN7rocprim17ROCPRIM_400000_NS6detail17trampoline_kernelINS0_14default_configENS1_35radix_sort_onesweep_config_selectorIaNS0_10empty_typeEEEZZNS1_29radix_sort_onesweep_iterationIS3_Lb0EPKaPaPS5_SB_mNS0_19identity_decomposerENS1_16block_id_wrapperIjLb1EEEEE10hipError_tT1_PNSt15iterator_traitsISG_E10value_typeET2_T3_PNSH_ISM_E10value_typeET4_T5_PSR_SS_PNS1_23onesweep_lookback_stateEbbT6_jjT7_P12ihipStream_tbENKUlT_T0_SG_SL_E_clIS9_SA_SB_SB_EEDaSZ_S10_SG_SL_EUlSZ_E_NS1_11comp_targetILNS1_3genE6ELNS1_11target_archE950ELNS1_3gpuE13ELNS1_3repE0EEENS1_47radix_sort_onesweep_sort_config_static_selectorELNS0_4arch9wavefront6targetE0EEEvSG_.kd
    .uniform_work_group_size: 1
    .uses_dynamic_stack: false
    .vgpr_count:     0
    .vgpr_spill_count: 0
    .wavefront_size: 32
  - .args:
      - .offset:         0
        .size:           88
        .value_kind:     by_value
    .group_segment_fixed_size: 0
    .kernarg_segment_align: 8
    .kernarg_segment_size: 88
    .language:       OpenCL C
    .language_version:
      - 2
      - 0
    .max_flat_workgroup_size: 1024
    .name:           _ZN7rocprim17ROCPRIM_400000_NS6detail17trampoline_kernelINS0_14default_configENS1_35radix_sort_onesweep_config_selectorIaNS0_10empty_typeEEEZZNS1_29radix_sort_onesweep_iterationIS3_Lb0EPKaPaPS5_SB_mNS0_19identity_decomposerENS1_16block_id_wrapperIjLb1EEEEE10hipError_tT1_PNSt15iterator_traitsISG_E10value_typeET2_T3_PNSH_ISM_E10value_typeET4_T5_PSR_SS_PNS1_23onesweep_lookback_stateEbbT6_jjT7_P12ihipStream_tbENKUlT_T0_SG_SL_E_clIS9_SA_SB_SB_EEDaSZ_S10_SG_SL_EUlSZ_E_NS1_11comp_targetILNS1_3genE5ELNS1_11target_archE942ELNS1_3gpuE9ELNS1_3repE0EEENS1_47radix_sort_onesweep_sort_config_static_selectorELNS0_4arch9wavefront6targetE0EEEvSG_
    .private_segment_fixed_size: 0
    .sgpr_count:     0
    .sgpr_spill_count: 0
    .symbol:         _ZN7rocprim17ROCPRIM_400000_NS6detail17trampoline_kernelINS0_14default_configENS1_35radix_sort_onesweep_config_selectorIaNS0_10empty_typeEEEZZNS1_29radix_sort_onesweep_iterationIS3_Lb0EPKaPaPS5_SB_mNS0_19identity_decomposerENS1_16block_id_wrapperIjLb1EEEEE10hipError_tT1_PNSt15iterator_traitsISG_E10value_typeET2_T3_PNSH_ISM_E10value_typeET4_T5_PSR_SS_PNS1_23onesweep_lookback_stateEbbT6_jjT7_P12ihipStream_tbENKUlT_T0_SG_SL_E_clIS9_SA_SB_SB_EEDaSZ_S10_SG_SL_EUlSZ_E_NS1_11comp_targetILNS1_3genE5ELNS1_11target_archE942ELNS1_3gpuE9ELNS1_3repE0EEENS1_47radix_sort_onesweep_sort_config_static_selectorELNS0_4arch9wavefront6targetE0EEEvSG_.kd
    .uniform_work_group_size: 1
    .uses_dynamic_stack: false
    .vgpr_count:     0
    .vgpr_spill_count: 0
    .wavefront_size: 32
  - .args:
      - .offset:         0
        .size:           88
        .value_kind:     by_value
    .group_segment_fixed_size: 0
    .kernarg_segment_align: 8
    .kernarg_segment_size: 88
    .language:       OpenCL C
    .language_version:
      - 2
      - 0
    .max_flat_workgroup_size: 512
    .name:           _ZN7rocprim17ROCPRIM_400000_NS6detail17trampoline_kernelINS0_14default_configENS1_35radix_sort_onesweep_config_selectorIaNS0_10empty_typeEEEZZNS1_29radix_sort_onesweep_iterationIS3_Lb0EPKaPaPS5_SB_mNS0_19identity_decomposerENS1_16block_id_wrapperIjLb1EEEEE10hipError_tT1_PNSt15iterator_traitsISG_E10value_typeET2_T3_PNSH_ISM_E10value_typeET4_T5_PSR_SS_PNS1_23onesweep_lookback_stateEbbT6_jjT7_P12ihipStream_tbENKUlT_T0_SG_SL_E_clIS9_SA_SB_SB_EEDaSZ_S10_SG_SL_EUlSZ_E_NS1_11comp_targetILNS1_3genE2ELNS1_11target_archE906ELNS1_3gpuE6ELNS1_3repE0EEENS1_47radix_sort_onesweep_sort_config_static_selectorELNS0_4arch9wavefront6targetE0EEEvSG_
    .private_segment_fixed_size: 0
    .sgpr_count:     0
    .sgpr_spill_count: 0
    .symbol:         _ZN7rocprim17ROCPRIM_400000_NS6detail17trampoline_kernelINS0_14default_configENS1_35radix_sort_onesweep_config_selectorIaNS0_10empty_typeEEEZZNS1_29radix_sort_onesweep_iterationIS3_Lb0EPKaPaPS5_SB_mNS0_19identity_decomposerENS1_16block_id_wrapperIjLb1EEEEE10hipError_tT1_PNSt15iterator_traitsISG_E10value_typeET2_T3_PNSH_ISM_E10value_typeET4_T5_PSR_SS_PNS1_23onesweep_lookback_stateEbbT6_jjT7_P12ihipStream_tbENKUlT_T0_SG_SL_E_clIS9_SA_SB_SB_EEDaSZ_S10_SG_SL_EUlSZ_E_NS1_11comp_targetILNS1_3genE2ELNS1_11target_archE906ELNS1_3gpuE6ELNS1_3repE0EEENS1_47radix_sort_onesweep_sort_config_static_selectorELNS0_4arch9wavefront6targetE0EEEvSG_.kd
    .uniform_work_group_size: 1
    .uses_dynamic_stack: false
    .vgpr_count:     0
    .vgpr_spill_count: 0
    .wavefront_size: 32
  - .args:
      - .offset:         0
        .size:           88
        .value_kind:     by_value
    .group_segment_fixed_size: 0
    .kernarg_segment_align: 8
    .kernarg_segment_size: 88
    .language:       OpenCL C
    .language_version:
      - 2
      - 0
    .max_flat_workgroup_size: 512
    .name:           _ZN7rocprim17ROCPRIM_400000_NS6detail17trampoline_kernelINS0_14default_configENS1_35radix_sort_onesweep_config_selectorIaNS0_10empty_typeEEEZZNS1_29radix_sort_onesweep_iterationIS3_Lb0EPKaPaPS5_SB_mNS0_19identity_decomposerENS1_16block_id_wrapperIjLb1EEEEE10hipError_tT1_PNSt15iterator_traitsISG_E10value_typeET2_T3_PNSH_ISM_E10value_typeET4_T5_PSR_SS_PNS1_23onesweep_lookback_stateEbbT6_jjT7_P12ihipStream_tbENKUlT_T0_SG_SL_E_clIS9_SA_SB_SB_EEDaSZ_S10_SG_SL_EUlSZ_E_NS1_11comp_targetILNS1_3genE4ELNS1_11target_archE910ELNS1_3gpuE8ELNS1_3repE0EEENS1_47radix_sort_onesweep_sort_config_static_selectorELNS0_4arch9wavefront6targetE0EEEvSG_
    .private_segment_fixed_size: 0
    .sgpr_count:     0
    .sgpr_spill_count: 0
    .symbol:         _ZN7rocprim17ROCPRIM_400000_NS6detail17trampoline_kernelINS0_14default_configENS1_35radix_sort_onesweep_config_selectorIaNS0_10empty_typeEEEZZNS1_29radix_sort_onesweep_iterationIS3_Lb0EPKaPaPS5_SB_mNS0_19identity_decomposerENS1_16block_id_wrapperIjLb1EEEEE10hipError_tT1_PNSt15iterator_traitsISG_E10value_typeET2_T3_PNSH_ISM_E10value_typeET4_T5_PSR_SS_PNS1_23onesweep_lookback_stateEbbT6_jjT7_P12ihipStream_tbENKUlT_T0_SG_SL_E_clIS9_SA_SB_SB_EEDaSZ_S10_SG_SL_EUlSZ_E_NS1_11comp_targetILNS1_3genE4ELNS1_11target_archE910ELNS1_3gpuE8ELNS1_3repE0EEENS1_47radix_sort_onesweep_sort_config_static_selectorELNS0_4arch9wavefront6targetE0EEEvSG_.kd
    .uniform_work_group_size: 1
    .uses_dynamic_stack: false
    .vgpr_count:     0
    .vgpr_spill_count: 0
    .wavefront_size: 32
  - .args:
      - .offset:         0
        .size:           88
        .value_kind:     by_value
    .group_segment_fixed_size: 0
    .kernarg_segment_align: 8
    .kernarg_segment_size: 88
    .language:       OpenCL C
    .language_version:
      - 2
      - 0
    .max_flat_workgroup_size: 1024
    .name:           _ZN7rocprim17ROCPRIM_400000_NS6detail17trampoline_kernelINS0_14default_configENS1_35radix_sort_onesweep_config_selectorIaNS0_10empty_typeEEEZZNS1_29radix_sort_onesweep_iterationIS3_Lb0EPKaPaPS5_SB_mNS0_19identity_decomposerENS1_16block_id_wrapperIjLb1EEEEE10hipError_tT1_PNSt15iterator_traitsISG_E10value_typeET2_T3_PNSH_ISM_E10value_typeET4_T5_PSR_SS_PNS1_23onesweep_lookback_stateEbbT6_jjT7_P12ihipStream_tbENKUlT_T0_SG_SL_E_clIS9_SA_SB_SB_EEDaSZ_S10_SG_SL_EUlSZ_E_NS1_11comp_targetILNS1_3genE3ELNS1_11target_archE908ELNS1_3gpuE7ELNS1_3repE0EEENS1_47radix_sort_onesweep_sort_config_static_selectorELNS0_4arch9wavefront6targetE0EEEvSG_
    .private_segment_fixed_size: 0
    .sgpr_count:     0
    .sgpr_spill_count: 0
    .symbol:         _ZN7rocprim17ROCPRIM_400000_NS6detail17trampoline_kernelINS0_14default_configENS1_35radix_sort_onesweep_config_selectorIaNS0_10empty_typeEEEZZNS1_29radix_sort_onesweep_iterationIS3_Lb0EPKaPaPS5_SB_mNS0_19identity_decomposerENS1_16block_id_wrapperIjLb1EEEEE10hipError_tT1_PNSt15iterator_traitsISG_E10value_typeET2_T3_PNSH_ISM_E10value_typeET4_T5_PSR_SS_PNS1_23onesweep_lookback_stateEbbT6_jjT7_P12ihipStream_tbENKUlT_T0_SG_SL_E_clIS9_SA_SB_SB_EEDaSZ_S10_SG_SL_EUlSZ_E_NS1_11comp_targetILNS1_3genE3ELNS1_11target_archE908ELNS1_3gpuE7ELNS1_3repE0EEENS1_47radix_sort_onesweep_sort_config_static_selectorELNS0_4arch9wavefront6targetE0EEEvSG_.kd
    .uniform_work_group_size: 1
    .uses_dynamic_stack: false
    .vgpr_count:     0
    .vgpr_spill_count: 0
    .wavefront_size: 32
  - .args:
      - .offset:         0
        .size:           88
        .value_kind:     by_value
    .group_segment_fixed_size: 0
    .kernarg_segment_align: 8
    .kernarg_segment_size: 88
    .language:       OpenCL C
    .language_version:
      - 2
      - 0
    .max_flat_workgroup_size: 256
    .name:           _ZN7rocprim17ROCPRIM_400000_NS6detail17trampoline_kernelINS0_14default_configENS1_35radix_sort_onesweep_config_selectorIaNS0_10empty_typeEEEZZNS1_29radix_sort_onesweep_iterationIS3_Lb0EPKaPaPS5_SB_mNS0_19identity_decomposerENS1_16block_id_wrapperIjLb1EEEEE10hipError_tT1_PNSt15iterator_traitsISG_E10value_typeET2_T3_PNSH_ISM_E10value_typeET4_T5_PSR_SS_PNS1_23onesweep_lookback_stateEbbT6_jjT7_P12ihipStream_tbENKUlT_T0_SG_SL_E_clIS9_SA_SB_SB_EEDaSZ_S10_SG_SL_EUlSZ_E_NS1_11comp_targetILNS1_3genE10ELNS1_11target_archE1201ELNS1_3gpuE5ELNS1_3repE0EEENS1_47radix_sort_onesweep_sort_config_static_selectorELNS0_4arch9wavefront6targetE0EEEvSG_
    .private_segment_fixed_size: 0
    .sgpr_count:     0
    .sgpr_spill_count: 0
    .symbol:         _ZN7rocprim17ROCPRIM_400000_NS6detail17trampoline_kernelINS0_14default_configENS1_35radix_sort_onesweep_config_selectorIaNS0_10empty_typeEEEZZNS1_29radix_sort_onesweep_iterationIS3_Lb0EPKaPaPS5_SB_mNS0_19identity_decomposerENS1_16block_id_wrapperIjLb1EEEEE10hipError_tT1_PNSt15iterator_traitsISG_E10value_typeET2_T3_PNSH_ISM_E10value_typeET4_T5_PSR_SS_PNS1_23onesweep_lookback_stateEbbT6_jjT7_P12ihipStream_tbENKUlT_T0_SG_SL_E_clIS9_SA_SB_SB_EEDaSZ_S10_SG_SL_EUlSZ_E_NS1_11comp_targetILNS1_3genE10ELNS1_11target_archE1201ELNS1_3gpuE5ELNS1_3repE0EEENS1_47radix_sort_onesweep_sort_config_static_selectorELNS0_4arch9wavefront6targetE0EEEvSG_.kd
    .uniform_work_group_size: 1
    .uses_dynamic_stack: false
    .vgpr_count:     0
    .vgpr_spill_count: 0
    .wavefront_size: 32
  - .args:
      - .offset:         0
        .size:           88
        .value_kind:     by_value
    .group_segment_fixed_size: 0
    .kernarg_segment_align: 8
    .kernarg_segment_size: 88
    .language:       OpenCL C
    .language_version:
      - 2
      - 0
    .max_flat_workgroup_size: 256
    .name:           _ZN7rocprim17ROCPRIM_400000_NS6detail17trampoline_kernelINS0_14default_configENS1_35radix_sort_onesweep_config_selectorIaNS0_10empty_typeEEEZZNS1_29radix_sort_onesweep_iterationIS3_Lb0EPKaPaPS5_SB_mNS0_19identity_decomposerENS1_16block_id_wrapperIjLb1EEEEE10hipError_tT1_PNSt15iterator_traitsISG_E10value_typeET2_T3_PNSH_ISM_E10value_typeET4_T5_PSR_SS_PNS1_23onesweep_lookback_stateEbbT6_jjT7_P12ihipStream_tbENKUlT_T0_SG_SL_E_clIS9_SA_SB_SB_EEDaSZ_S10_SG_SL_EUlSZ_E_NS1_11comp_targetILNS1_3genE9ELNS1_11target_archE1100ELNS1_3gpuE3ELNS1_3repE0EEENS1_47radix_sort_onesweep_sort_config_static_selectorELNS0_4arch9wavefront6targetE0EEEvSG_
    .private_segment_fixed_size: 0
    .sgpr_count:     0
    .sgpr_spill_count: 0
    .symbol:         _ZN7rocprim17ROCPRIM_400000_NS6detail17trampoline_kernelINS0_14default_configENS1_35radix_sort_onesweep_config_selectorIaNS0_10empty_typeEEEZZNS1_29radix_sort_onesweep_iterationIS3_Lb0EPKaPaPS5_SB_mNS0_19identity_decomposerENS1_16block_id_wrapperIjLb1EEEEE10hipError_tT1_PNSt15iterator_traitsISG_E10value_typeET2_T3_PNSH_ISM_E10value_typeET4_T5_PSR_SS_PNS1_23onesweep_lookback_stateEbbT6_jjT7_P12ihipStream_tbENKUlT_T0_SG_SL_E_clIS9_SA_SB_SB_EEDaSZ_S10_SG_SL_EUlSZ_E_NS1_11comp_targetILNS1_3genE9ELNS1_11target_archE1100ELNS1_3gpuE3ELNS1_3repE0EEENS1_47radix_sort_onesweep_sort_config_static_selectorELNS0_4arch9wavefront6targetE0EEEvSG_.kd
    .uniform_work_group_size: 1
    .uses_dynamic_stack: false
    .vgpr_count:     0
    .vgpr_spill_count: 0
    .wavefront_size: 32
  - .args:
      - .offset:         0
        .size:           88
        .value_kind:     by_value
    .group_segment_fixed_size: 0
    .kernarg_segment_align: 8
    .kernarg_segment_size: 88
    .language:       OpenCL C
    .language_version:
      - 2
      - 0
    .max_flat_workgroup_size: 256
    .name:           _ZN7rocprim17ROCPRIM_400000_NS6detail17trampoline_kernelINS0_14default_configENS1_35radix_sort_onesweep_config_selectorIaNS0_10empty_typeEEEZZNS1_29radix_sort_onesweep_iterationIS3_Lb0EPKaPaPS5_SB_mNS0_19identity_decomposerENS1_16block_id_wrapperIjLb1EEEEE10hipError_tT1_PNSt15iterator_traitsISG_E10value_typeET2_T3_PNSH_ISM_E10value_typeET4_T5_PSR_SS_PNS1_23onesweep_lookback_stateEbbT6_jjT7_P12ihipStream_tbENKUlT_T0_SG_SL_E_clIS9_SA_SB_SB_EEDaSZ_S10_SG_SL_EUlSZ_E_NS1_11comp_targetILNS1_3genE8ELNS1_11target_archE1030ELNS1_3gpuE2ELNS1_3repE0EEENS1_47radix_sort_onesweep_sort_config_static_selectorELNS0_4arch9wavefront6targetE0EEEvSG_
    .private_segment_fixed_size: 0
    .sgpr_count:     0
    .sgpr_spill_count: 0
    .symbol:         _ZN7rocprim17ROCPRIM_400000_NS6detail17trampoline_kernelINS0_14default_configENS1_35radix_sort_onesweep_config_selectorIaNS0_10empty_typeEEEZZNS1_29radix_sort_onesweep_iterationIS3_Lb0EPKaPaPS5_SB_mNS0_19identity_decomposerENS1_16block_id_wrapperIjLb1EEEEE10hipError_tT1_PNSt15iterator_traitsISG_E10value_typeET2_T3_PNSH_ISM_E10value_typeET4_T5_PSR_SS_PNS1_23onesweep_lookback_stateEbbT6_jjT7_P12ihipStream_tbENKUlT_T0_SG_SL_E_clIS9_SA_SB_SB_EEDaSZ_S10_SG_SL_EUlSZ_E_NS1_11comp_targetILNS1_3genE8ELNS1_11target_archE1030ELNS1_3gpuE2ELNS1_3repE0EEENS1_47radix_sort_onesweep_sort_config_static_selectorELNS0_4arch9wavefront6targetE0EEEvSG_.kd
    .uniform_work_group_size: 1
    .uses_dynamic_stack: false
    .vgpr_count:     0
    .vgpr_spill_count: 0
    .wavefront_size: 32
  - .args:
      - .offset:         0
        .size:           88
        .value_kind:     by_value
      - .offset:         88
        .size:           4
        .value_kind:     hidden_block_count_x
      - .offset:         92
        .size:           4
        .value_kind:     hidden_block_count_y
      - .offset:         96
        .size:           4
        .value_kind:     hidden_block_count_z
      - .offset:         100
        .size:           2
        .value_kind:     hidden_group_size_x
      - .offset:         102
        .size:           2
        .value_kind:     hidden_group_size_y
      - .offset:         104
        .size:           2
        .value_kind:     hidden_group_size_z
      - .offset:         106
        .size:           2
        .value_kind:     hidden_remainder_x
      - .offset:         108
        .size:           2
        .value_kind:     hidden_remainder_y
      - .offset:         110
        .size:           2
        .value_kind:     hidden_remainder_z
      - .offset:         128
        .size:           8
        .value_kind:     hidden_global_offset_x
      - .offset:         136
        .size:           8
        .value_kind:     hidden_global_offset_y
      - .offset:         144
        .size:           8
        .value_kind:     hidden_global_offset_z
      - .offset:         152
        .size:           2
        .value_kind:     hidden_grid_dims
    .group_segment_fixed_size: 32904
    .kernarg_segment_align: 8
    .kernarg_segment_size: 344
    .language:       OpenCL C
    .language_version:
      - 2
      - 0
    .max_flat_workgroup_size: 1024
    .name:           _ZN7rocprim17ROCPRIM_400000_NS6detail17trampoline_kernelINS0_14default_configENS1_35radix_sort_onesweep_config_selectorIaNS0_10empty_typeEEEZZNS1_29radix_sort_onesweep_iterationIS3_Lb0EPKaPaPS5_SB_mNS0_19identity_decomposerENS1_16block_id_wrapperIjLb1EEEEE10hipError_tT1_PNSt15iterator_traitsISG_E10value_typeET2_T3_PNSH_ISM_E10value_typeET4_T5_PSR_SS_PNS1_23onesweep_lookback_stateEbbT6_jjT7_P12ihipStream_tbENKUlT_T0_SG_SL_E_clISA_SA_SB_SB_EEDaSZ_S10_SG_SL_EUlSZ_E_NS1_11comp_targetILNS1_3genE0ELNS1_11target_archE4294967295ELNS1_3gpuE0ELNS1_3repE0EEENS1_47radix_sort_onesweep_sort_config_static_selectorELNS0_4arch9wavefront6targetE0EEEvSG_
    .private_segment_fixed_size: 0
    .sgpr_count:     27
    .sgpr_spill_count: 0
    .symbol:         _ZN7rocprim17ROCPRIM_400000_NS6detail17trampoline_kernelINS0_14default_configENS1_35radix_sort_onesweep_config_selectorIaNS0_10empty_typeEEEZZNS1_29radix_sort_onesweep_iterationIS3_Lb0EPKaPaPS5_SB_mNS0_19identity_decomposerENS1_16block_id_wrapperIjLb1EEEEE10hipError_tT1_PNSt15iterator_traitsISG_E10value_typeET2_T3_PNSH_ISM_E10value_typeET4_T5_PSR_SS_PNS1_23onesweep_lookback_stateEbbT6_jjT7_P12ihipStream_tbENKUlT_T0_SG_SL_E_clISA_SA_SB_SB_EEDaSZ_S10_SG_SL_EUlSZ_E_NS1_11comp_targetILNS1_3genE0ELNS1_11target_archE4294967295ELNS1_3gpuE0ELNS1_3repE0EEENS1_47radix_sort_onesweep_sort_config_static_selectorELNS0_4arch9wavefront6targetE0EEEvSG_.kd
    .uniform_work_group_size: 1
    .uses_dynamic_stack: false
    .vgpr_count:     79
    .vgpr_spill_count: 0
    .wavefront_size: 32
  - .args:
      - .offset:         0
        .size:           88
        .value_kind:     by_value
    .group_segment_fixed_size: 0
    .kernarg_segment_align: 8
    .kernarg_segment_size: 88
    .language:       OpenCL C
    .language_version:
      - 2
      - 0
    .max_flat_workgroup_size: 1024
    .name:           _ZN7rocprim17ROCPRIM_400000_NS6detail17trampoline_kernelINS0_14default_configENS1_35radix_sort_onesweep_config_selectorIaNS0_10empty_typeEEEZZNS1_29radix_sort_onesweep_iterationIS3_Lb0EPKaPaPS5_SB_mNS0_19identity_decomposerENS1_16block_id_wrapperIjLb1EEEEE10hipError_tT1_PNSt15iterator_traitsISG_E10value_typeET2_T3_PNSH_ISM_E10value_typeET4_T5_PSR_SS_PNS1_23onesweep_lookback_stateEbbT6_jjT7_P12ihipStream_tbENKUlT_T0_SG_SL_E_clISA_SA_SB_SB_EEDaSZ_S10_SG_SL_EUlSZ_E_NS1_11comp_targetILNS1_3genE6ELNS1_11target_archE950ELNS1_3gpuE13ELNS1_3repE0EEENS1_47radix_sort_onesweep_sort_config_static_selectorELNS0_4arch9wavefront6targetE0EEEvSG_
    .private_segment_fixed_size: 0
    .sgpr_count:     0
    .sgpr_spill_count: 0
    .symbol:         _ZN7rocprim17ROCPRIM_400000_NS6detail17trampoline_kernelINS0_14default_configENS1_35radix_sort_onesweep_config_selectorIaNS0_10empty_typeEEEZZNS1_29radix_sort_onesweep_iterationIS3_Lb0EPKaPaPS5_SB_mNS0_19identity_decomposerENS1_16block_id_wrapperIjLb1EEEEE10hipError_tT1_PNSt15iterator_traitsISG_E10value_typeET2_T3_PNSH_ISM_E10value_typeET4_T5_PSR_SS_PNS1_23onesweep_lookback_stateEbbT6_jjT7_P12ihipStream_tbENKUlT_T0_SG_SL_E_clISA_SA_SB_SB_EEDaSZ_S10_SG_SL_EUlSZ_E_NS1_11comp_targetILNS1_3genE6ELNS1_11target_archE950ELNS1_3gpuE13ELNS1_3repE0EEENS1_47radix_sort_onesweep_sort_config_static_selectorELNS0_4arch9wavefront6targetE0EEEvSG_.kd
    .uniform_work_group_size: 1
    .uses_dynamic_stack: false
    .vgpr_count:     0
    .vgpr_spill_count: 0
    .wavefront_size: 32
  - .args:
      - .offset:         0
        .size:           88
        .value_kind:     by_value
    .group_segment_fixed_size: 0
    .kernarg_segment_align: 8
    .kernarg_segment_size: 88
    .language:       OpenCL C
    .language_version:
      - 2
      - 0
    .max_flat_workgroup_size: 1024
    .name:           _ZN7rocprim17ROCPRIM_400000_NS6detail17trampoline_kernelINS0_14default_configENS1_35radix_sort_onesweep_config_selectorIaNS0_10empty_typeEEEZZNS1_29radix_sort_onesweep_iterationIS3_Lb0EPKaPaPS5_SB_mNS0_19identity_decomposerENS1_16block_id_wrapperIjLb1EEEEE10hipError_tT1_PNSt15iterator_traitsISG_E10value_typeET2_T3_PNSH_ISM_E10value_typeET4_T5_PSR_SS_PNS1_23onesweep_lookback_stateEbbT6_jjT7_P12ihipStream_tbENKUlT_T0_SG_SL_E_clISA_SA_SB_SB_EEDaSZ_S10_SG_SL_EUlSZ_E_NS1_11comp_targetILNS1_3genE5ELNS1_11target_archE942ELNS1_3gpuE9ELNS1_3repE0EEENS1_47radix_sort_onesweep_sort_config_static_selectorELNS0_4arch9wavefront6targetE0EEEvSG_
    .private_segment_fixed_size: 0
    .sgpr_count:     0
    .sgpr_spill_count: 0
    .symbol:         _ZN7rocprim17ROCPRIM_400000_NS6detail17trampoline_kernelINS0_14default_configENS1_35radix_sort_onesweep_config_selectorIaNS0_10empty_typeEEEZZNS1_29radix_sort_onesweep_iterationIS3_Lb0EPKaPaPS5_SB_mNS0_19identity_decomposerENS1_16block_id_wrapperIjLb1EEEEE10hipError_tT1_PNSt15iterator_traitsISG_E10value_typeET2_T3_PNSH_ISM_E10value_typeET4_T5_PSR_SS_PNS1_23onesweep_lookback_stateEbbT6_jjT7_P12ihipStream_tbENKUlT_T0_SG_SL_E_clISA_SA_SB_SB_EEDaSZ_S10_SG_SL_EUlSZ_E_NS1_11comp_targetILNS1_3genE5ELNS1_11target_archE942ELNS1_3gpuE9ELNS1_3repE0EEENS1_47radix_sort_onesweep_sort_config_static_selectorELNS0_4arch9wavefront6targetE0EEEvSG_.kd
    .uniform_work_group_size: 1
    .uses_dynamic_stack: false
    .vgpr_count:     0
    .vgpr_spill_count: 0
    .wavefront_size: 32
  - .args:
      - .offset:         0
        .size:           88
        .value_kind:     by_value
    .group_segment_fixed_size: 0
    .kernarg_segment_align: 8
    .kernarg_segment_size: 88
    .language:       OpenCL C
    .language_version:
      - 2
      - 0
    .max_flat_workgroup_size: 512
    .name:           _ZN7rocprim17ROCPRIM_400000_NS6detail17trampoline_kernelINS0_14default_configENS1_35radix_sort_onesweep_config_selectorIaNS0_10empty_typeEEEZZNS1_29radix_sort_onesweep_iterationIS3_Lb0EPKaPaPS5_SB_mNS0_19identity_decomposerENS1_16block_id_wrapperIjLb1EEEEE10hipError_tT1_PNSt15iterator_traitsISG_E10value_typeET2_T3_PNSH_ISM_E10value_typeET4_T5_PSR_SS_PNS1_23onesweep_lookback_stateEbbT6_jjT7_P12ihipStream_tbENKUlT_T0_SG_SL_E_clISA_SA_SB_SB_EEDaSZ_S10_SG_SL_EUlSZ_E_NS1_11comp_targetILNS1_3genE2ELNS1_11target_archE906ELNS1_3gpuE6ELNS1_3repE0EEENS1_47radix_sort_onesweep_sort_config_static_selectorELNS0_4arch9wavefront6targetE0EEEvSG_
    .private_segment_fixed_size: 0
    .sgpr_count:     0
    .sgpr_spill_count: 0
    .symbol:         _ZN7rocprim17ROCPRIM_400000_NS6detail17trampoline_kernelINS0_14default_configENS1_35radix_sort_onesweep_config_selectorIaNS0_10empty_typeEEEZZNS1_29radix_sort_onesweep_iterationIS3_Lb0EPKaPaPS5_SB_mNS0_19identity_decomposerENS1_16block_id_wrapperIjLb1EEEEE10hipError_tT1_PNSt15iterator_traitsISG_E10value_typeET2_T3_PNSH_ISM_E10value_typeET4_T5_PSR_SS_PNS1_23onesweep_lookback_stateEbbT6_jjT7_P12ihipStream_tbENKUlT_T0_SG_SL_E_clISA_SA_SB_SB_EEDaSZ_S10_SG_SL_EUlSZ_E_NS1_11comp_targetILNS1_3genE2ELNS1_11target_archE906ELNS1_3gpuE6ELNS1_3repE0EEENS1_47radix_sort_onesweep_sort_config_static_selectorELNS0_4arch9wavefront6targetE0EEEvSG_.kd
    .uniform_work_group_size: 1
    .uses_dynamic_stack: false
    .vgpr_count:     0
    .vgpr_spill_count: 0
    .wavefront_size: 32
  - .args:
      - .offset:         0
        .size:           88
        .value_kind:     by_value
    .group_segment_fixed_size: 0
    .kernarg_segment_align: 8
    .kernarg_segment_size: 88
    .language:       OpenCL C
    .language_version:
      - 2
      - 0
    .max_flat_workgroup_size: 512
    .name:           _ZN7rocprim17ROCPRIM_400000_NS6detail17trampoline_kernelINS0_14default_configENS1_35radix_sort_onesweep_config_selectorIaNS0_10empty_typeEEEZZNS1_29radix_sort_onesweep_iterationIS3_Lb0EPKaPaPS5_SB_mNS0_19identity_decomposerENS1_16block_id_wrapperIjLb1EEEEE10hipError_tT1_PNSt15iterator_traitsISG_E10value_typeET2_T3_PNSH_ISM_E10value_typeET4_T5_PSR_SS_PNS1_23onesweep_lookback_stateEbbT6_jjT7_P12ihipStream_tbENKUlT_T0_SG_SL_E_clISA_SA_SB_SB_EEDaSZ_S10_SG_SL_EUlSZ_E_NS1_11comp_targetILNS1_3genE4ELNS1_11target_archE910ELNS1_3gpuE8ELNS1_3repE0EEENS1_47radix_sort_onesweep_sort_config_static_selectorELNS0_4arch9wavefront6targetE0EEEvSG_
    .private_segment_fixed_size: 0
    .sgpr_count:     0
    .sgpr_spill_count: 0
    .symbol:         _ZN7rocprim17ROCPRIM_400000_NS6detail17trampoline_kernelINS0_14default_configENS1_35radix_sort_onesweep_config_selectorIaNS0_10empty_typeEEEZZNS1_29radix_sort_onesweep_iterationIS3_Lb0EPKaPaPS5_SB_mNS0_19identity_decomposerENS1_16block_id_wrapperIjLb1EEEEE10hipError_tT1_PNSt15iterator_traitsISG_E10value_typeET2_T3_PNSH_ISM_E10value_typeET4_T5_PSR_SS_PNS1_23onesweep_lookback_stateEbbT6_jjT7_P12ihipStream_tbENKUlT_T0_SG_SL_E_clISA_SA_SB_SB_EEDaSZ_S10_SG_SL_EUlSZ_E_NS1_11comp_targetILNS1_3genE4ELNS1_11target_archE910ELNS1_3gpuE8ELNS1_3repE0EEENS1_47radix_sort_onesweep_sort_config_static_selectorELNS0_4arch9wavefront6targetE0EEEvSG_.kd
    .uniform_work_group_size: 1
    .uses_dynamic_stack: false
    .vgpr_count:     0
    .vgpr_spill_count: 0
    .wavefront_size: 32
  - .args:
      - .offset:         0
        .size:           88
        .value_kind:     by_value
    .group_segment_fixed_size: 0
    .kernarg_segment_align: 8
    .kernarg_segment_size: 88
    .language:       OpenCL C
    .language_version:
      - 2
      - 0
    .max_flat_workgroup_size: 1024
    .name:           _ZN7rocprim17ROCPRIM_400000_NS6detail17trampoline_kernelINS0_14default_configENS1_35radix_sort_onesweep_config_selectorIaNS0_10empty_typeEEEZZNS1_29radix_sort_onesweep_iterationIS3_Lb0EPKaPaPS5_SB_mNS0_19identity_decomposerENS1_16block_id_wrapperIjLb1EEEEE10hipError_tT1_PNSt15iterator_traitsISG_E10value_typeET2_T3_PNSH_ISM_E10value_typeET4_T5_PSR_SS_PNS1_23onesweep_lookback_stateEbbT6_jjT7_P12ihipStream_tbENKUlT_T0_SG_SL_E_clISA_SA_SB_SB_EEDaSZ_S10_SG_SL_EUlSZ_E_NS1_11comp_targetILNS1_3genE3ELNS1_11target_archE908ELNS1_3gpuE7ELNS1_3repE0EEENS1_47radix_sort_onesweep_sort_config_static_selectorELNS0_4arch9wavefront6targetE0EEEvSG_
    .private_segment_fixed_size: 0
    .sgpr_count:     0
    .sgpr_spill_count: 0
    .symbol:         _ZN7rocprim17ROCPRIM_400000_NS6detail17trampoline_kernelINS0_14default_configENS1_35radix_sort_onesweep_config_selectorIaNS0_10empty_typeEEEZZNS1_29radix_sort_onesweep_iterationIS3_Lb0EPKaPaPS5_SB_mNS0_19identity_decomposerENS1_16block_id_wrapperIjLb1EEEEE10hipError_tT1_PNSt15iterator_traitsISG_E10value_typeET2_T3_PNSH_ISM_E10value_typeET4_T5_PSR_SS_PNS1_23onesweep_lookback_stateEbbT6_jjT7_P12ihipStream_tbENKUlT_T0_SG_SL_E_clISA_SA_SB_SB_EEDaSZ_S10_SG_SL_EUlSZ_E_NS1_11comp_targetILNS1_3genE3ELNS1_11target_archE908ELNS1_3gpuE7ELNS1_3repE0EEENS1_47radix_sort_onesweep_sort_config_static_selectorELNS0_4arch9wavefront6targetE0EEEvSG_.kd
    .uniform_work_group_size: 1
    .uses_dynamic_stack: false
    .vgpr_count:     0
    .vgpr_spill_count: 0
    .wavefront_size: 32
  - .args:
      - .offset:         0
        .size:           88
        .value_kind:     by_value
    .group_segment_fixed_size: 0
    .kernarg_segment_align: 8
    .kernarg_segment_size: 88
    .language:       OpenCL C
    .language_version:
      - 2
      - 0
    .max_flat_workgroup_size: 256
    .name:           _ZN7rocprim17ROCPRIM_400000_NS6detail17trampoline_kernelINS0_14default_configENS1_35radix_sort_onesweep_config_selectorIaNS0_10empty_typeEEEZZNS1_29radix_sort_onesweep_iterationIS3_Lb0EPKaPaPS5_SB_mNS0_19identity_decomposerENS1_16block_id_wrapperIjLb1EEEEE10hipError_tT1_PNSt15iterator_traitsISG_E10value_typeET2_T3_PNSH_ISM_E10value_typeET4_T5_PSR_SS_PNS1_23onesweep_lookback_stateEbbT6_jjT7_P12ihipStream_tbENKUlT_T0_SG_SL_E_clISA_SA_SB_SB_EEDaSZ_S10_SG_SL_EUlSZ_E_NS1_11comp_targetILNS1_3genE10ELNS1_11target_archE1201ELNS1_3gpuE5ELNS1_3repE0EEENS1_47radix_sort_onesweep_sort_config_static_selectorELNS0_4arch9wavefront6targetE0EEEvSG_
    .private_segment_fixed_size: 0
    .sgpr_count:     0
    .sgpr_spill_count: 0
    .symbol:         _ZN7rocprim17ROCPRIM_400000_NS6detail17trampoline_kernelINS0_14default_configENS1_35radix_sort_onesweep_config_selectorIaNS0_10empty_typeEEEZZNS1_29radix_sort_onesweep_iterationIS3_Lb0EPKaPaPS5_SB_mNS0_19identity_decomposerENS1_16block_id_wrapperIjLb1EEEEE10hipError_tT1_PNSt15iterator_traitsISG_E10value_typeET2_T3_PNSH_ISM_E10value_typeET4_T5_PSR_SS_PNS1_23onesweep_lookback_stateEbbT6_jjT7_P12ihipStream_tbENKUlT_T0_SG_SL_E_clISA_SA_SB_SB_EEDaSZ_S10_SG_SL_EUlSZ_E_NS1_11comp_targetILNS1_3genE10ELNS1_11target_archE1201ELNS1_3gpuE5ELNS1_3repE0EEENS1_47radix_sort_onesweep_sort_config_static_selectorELNS0_4arch9wavefront6targetE0EEEvSG_.kd
    .uniform_work_group_size: 1
    .uses_dynamic_stack: false
    .vgpr_count:     0
    .vgpr_spill_count: 0
    .wavefront_size: 32
  - .args:
      - .offset:         0
        .size:           88
        .value_kind:     by_value
    .group_segment_fixed_size: 0
    .kernarg_segment_align: 8
    .kernarg_segment_size: 88
    .language:       OpenCL C
    .language_version:
      - 2
      - 0
    .max_flat_workgroup_size: 256
    .name:           _ZN7rocprim17ROCPRIM_400000_NS6detail17trampoline_kernelINS0_14default_configENS1_35radix_sort_onesweep_config_selectorIaNS0_10empty_typeEEEZZNS1_29radix_sort_onesweep_iterationIS3_Lb0EPKaPaPS5_SB_mNS0_19identity_decomposerENS1_16block_id_wrapperIjLb1EEEEE10hipError_tT1_PNSt15iterator_traitsISG_E10value_typeET2_T3_PNSH_ISM_E10value_typeET4_T5_PSR_SS_PNS1_23onesweep_lookback_stateEbbT6_jjT7_P12ihipStream_tbENKUlT_T0_SG_SL_E_clISA_SA_SB_SB_EEDaSZ_S10_SG_SL_EUlSZ_E_NS1_11comp_targetILNS1_3genE9ELNS1_11target_archE1100ELNS1_3gpuE3ELNS1_3repE0EEENS1_47radix_sort_onesweep_sort_config_static_selectorELNS0_4arch9wavefront6targetE0EEEvSG_
    .private_segment_fixed_size: 0
    .sgpr_count:     0
    .sgpr_spill_count: 0
    .symbol:         _ZN7rocprim17ROCPRIM_400000_NS6detail17trampoline_kernelINS0_14default_configENS1_35radix_sort_onesweep_config_selectorIaNS0_10empty_typeEEEZZNS1_29radix_sort_onesweep_iterationIS3_Lb0EPKaPaPS5_SB_mNS0_19identity_decomposerENS1_16block_id_wrapperIjLb1EEEEE10hipError_tT1_PNSt15iterator_traitsISG_E10value_typeET2_T3_PNSH_ISM_E10value_typeET4_T5_PSR_SS_PNS1_23onesweep_lookback_stateEbbT6_jjT7_P12ihipStream_tbENKUlT_T0_SG_SL_E_clISA_SA_SB_SB_EEDaSZ_S10_SG_SL_EUlSZ_E_NS1_11comp_targetILNS1_3genE9ELNS1_11target_archE1100ELNS1_3gpuE3ELNS1_3repE0EEENS1_47radix_sort_onesweep_sort_config_static_selectorELNS0_4arch9wavefront6targetE0EEEvSG_.kd
    .uniform_work_group_size: 1
    .uses_dynamic_stack: false
    .vgpr_count:     0
    .vgpr_spill_count: 0
    .wavefront_size: 32
  - .args:
      - .offset:         0
        .size:           88
        .value_kind:     by_value
    .group_segment_fixed_size: 0
    .kernarg_segment_align: 8
    .kernarg_segment_size: 88
    .language:       OpenCL C
    .language_version:
      - 2
      - 0
    .max_flat_workgroup_size: 256
    .name:           _ZN7rocprim17ROCPRIM_400000_NS6detail17trampoline_kernelINS0_14default_configENS1_35radix_sort_onesweep_config_selectorIaNS0_10empty_typeEEEZZNS1_29radix_sort_onesweep_iterationIS3_Lb0EPKaPaPS5_SB_mNS0_19identity_decomposerENS1_16block_id_wrapperIjLb1EEEEE10hipError_tT1_PNSt15iterator_traitsISG_E10value_typeET2_T3_PNSH_ISM_E10value_typeET4_T5_PSR_SS_PNS1_23onesweep_lookback_stateEbbT6_jjT7_P12ihipStream_tbENKUlT_T0_SG_SL_E_clISA_SA_SB_SB_EEDaSZ_S10_SG_SL_EUlSZ_E_NS1_11comp_targetILNS1_3genE8ELNS1_11target_archE1030ELNS1_3gpuE2ELNS1_3repE0EEENS1_47radix_sort_onesweep_sort_config_static_selectorELNS0_4arch9wavefront6targetE0EEEvSG_
    .private_segment_fixed_size: 0
    .sgpr_count:     0
    .sgpr_spill_count: 0
    .symbol:         _ZN7rocprim17ROCPRIM_400000_NS6detail17trampoline_kernelINS0_14default_configENS1_35radix_sort_onesweep_config_selectorIaNS0_10empty_typeEEEZZNS1_29radix_sort_onesweep_iterationIS3_Lb0EPKaPaPS5_SB_mNS0_19identity_decomposerENS1_16block_id_wrapperIjLb1EEEEE10hipError_tT1_PNSt15iterator_traitsISG_E10value_typeET2_T3_PNSH_ISM_E10value_typeET4_T5_PSR_SS_PNS1_23onesweep_lookback_stateEbbT6_jjT7_P12ihipStream_tbENKUlT_T0_SG_SL_E_clISA_SA_SB_SB_EEDaSZ_S10_SG_SL_EUlSZ_E_NS1_11comp_targetILNS1_3genE8ELNS1_11target_archE1030ELNS1_3gpuE2ELNS1_3repE0EEENS1_47radix_sort_onesweep_sort_config_static_selectorELNS0_4arch9wavefront6targetE0EEEvSG_.kd
    .uniform_work_group_size: 1
    .uses_dynamic_stack: false
    .vgpr_count:     0
    .vgpr_spill_count: 0
    .wavefront_size: 32
  - .args:
      - .offset:         0
        .size:           88
        .value_kind:     by_value
      - .offset:         88
        .size:           4
        .value_kind:     hidden_block_count_x
      - .offset:         92
        .size:           4
        .value_kind:     hidden_block_count_y
      - .offset:         96
        .size:           4
        .value_kind:     hidden_block_count_z
      - .offset:         100
        .size:           2
        .value_kind:     hidden_group_size_x
      - .offset:         102
        .size:           2
        .value_kind:     hidden_group_size_y
      - .offset:         104
        .size:           2
        .value_kind:     hidden_group_size_z
      - .offset:         106
        .size:           2
        .value_kind:     hidden_remainder_x
      - .offset:         108
        .size:           2
        .value_kind:     hidden_remainder_y
      - .offset:         110
        .size:           2
        .value_kind:     hidden_remainder_z
      - .offset:         128
        .size:           8
        .value_kind:     hidden_global_offset_x
      - .offset:         136
        .size:           8
        .value_kind:     hidden_global_offset_y
      - .offset:         144
        .size:           8
        .value_kind:     hidden_global_offset_z
      - .offset:         152
        .size:           2
        .value_kind:     hidden_grid_dims
    .group_segment_fixed_size: 32904
    .kernarg_segment_align: 8
    .kernarg_segment_size: 344
    .language:       OpenCL C
    .language_version:
      - 2
      - 0
    .max_flat_workgroup_size: 1024
    .name:           _ZN7rocprim17ROCPRIM_400000_NS6detail17trampoline_kernelINS0_14default_configENS1_35radix_sort_onesweep_config_selectorIaNS0_10empty_typeEEEZZNS1_29radix_sort_onesweep_iterationIS3_Lb0EPKaPaPS5_SB_mNS0_19identity_decomposerENS1_16block_id_wrapperIjLb0EEEEE10hipError_tT1_PNSt15iterator_traitsISG_E10value_typeET2_T3_PNSH_ISM_E10value_typeET4_T5_PSR_SS_PNS1_23onesweep_lookback_stateEbbT6_jjT7_P12ihipStream_tbENKUlT_T0_SG_SL_E_clIS9_SA_SB_SB_EEDaSZ_S10_SG_SL_EUlSZ_E_NS1_11comp_targetILNS1_3genE0ELNS1_11target_archE4294967295ELNS1_3gpuE0ELNS1_3repE0EEENS1_47radix_sort_onesweep_sort_config_static_selectorELNS0_4arch9wavefront6targetE0EEEvSG_
    .private_segment_fixed_size: 0
    .sgpr_count:     27
    .sgpr_spill_count: 0
    .symbol:         _ZN7rocprim17ROCPRIM_400000_NS6detail17trampoline_kernelINS0_14default_configENS1_35radix_sort_onesweep_config_selectorIaNS0_10empty_typeEEEZZNS1_29radix_sort_onesweep_iterationIS3_Lb0EPKaPaPS5_SB_mNS0_19identity_decomposerENS1_16block_id_wrapperIjLb0EEEEE10hipError_tT1_PNSt15iterator_traitsISG_E10value_typeET2_T3_PNSH_ISM_E10value_typeET4_T5_PSR_SS_PNS1_23onesweep_lookback_stateEbbT6_jjT7_P12ihipStream_tbENKUlT_T0_SG_SL_E_clIS9_SA_SB_SB_EEDaSZ_S10_SG_SL_EUlSZ_E_NS1_11comp_targetILNS1_3genE0ELNS1_11target_archE4294967295ELNS1_3gpuE0ELNS1_3repE0EEENS1_47radix_sort_onesweep_sort_config_static_selectorELNS0_4arch9wavefront6targetE0EEEvSG_.kd
    .uniform_work_group_size: 1
    .uses_dynamic_stack: false
    .vgpr_count:     79
    .vgpr_spill_count: 0
    .wavefront_size: 32
  - .args:
      - .offset:         0
        .size:           88
        .value_kind:     by_value
    .group_segment_fixed_size: 0
    .kernarg_segment_align: 8
    .kernarg_segment_size: 88
    .language:       OpenCL C
    .language_version:
      - 2
      - 0
    .max_flat_workgroup_size: 1024
    .name:           _ZN7rocprim17ROCPRIM_400000_NS6detail17trampoline_kernelINS0_14default_configENS1_35radix_sort_onesweep_config_selectorIaNS0_10empty_typeEEEZZNS1_29radix_sort_onesweep_iterationIS3_Lb0EPKaPaPS5_SB_mNS0_19identity_decomposerENS1_16block_id_wrapperIjLb0EEEEE10hipError_tT1_PNSt15iterator_traitsISG_E10value_typeET2_T3_PNSH_ISM_E10value_typeET4_T5_PSR_SS_PNS1_23onesweep_lookback_stateEbbT6_jjT7_P12ihipStream_tbENKUlT_T0_SG_SL_E_clIS9_SA_SB_SB_EEDaSZ_S10_SG_SL_EUlSZ_E_NS1_11comp_targetILNS1_3genE6ELNS1_11target_archE950ELNS1_3gpuE13ELNS1_3repE0EEENS1_47radix_sort_onesweep_sort_config_static_selectorELNS0_4arch9wavefront6targetE0EEEvSG_
    .private_segment_fixed_size: 0
    .sgpr_count:     0
    .sgpr_spill_count: 0
    .symbol:         _ZN7rocprim17ROCPRIM_400000_NS6detail17trampoline_kernelINS0_14default_configENS1_35radix_sort_onesweep_config_selectorIaNS0_10empty_typeEEEZZNS1_29radix_sort_onesweep_iterationIS3_Lb0EPKaPaPS5_SB_mNS0_19identity_decomposerENS1_16block_id_wrapperIjLb0EEEEE10hipError_tT1_PNSt15iterator_traitsISG_E10value_typeET2_T3_PNSH_ISM_E10value_typeET4_T5_PSR_SS_PNS1_23onesweep_lookback_stateEbbT6_jjT7_P12ihipStream_tbENKUlT_T0_SG_SL_E_clIS9_SA_SB_SB_EEDaSZ_S10_SG_SL_EUlSZ_E_NS1_11comp_targetILNS1_3genE6ELNS1_11target_archE950ELNS1_3gpuE13ELNS1_3repE0EEENS1_47radix_sort_onesweep_sort_config_static_selectorELNS0_4arch9wavefront6targetE0EEEvSG_.kd
    .uniform_work_group_size: 1
    .uses_dynamic_stack: false
    .vgpr_count:     0
    .vgpr_spill_count: 0
    .wavefront_size: 32
  - .args:
      - .offset:         0
        .size:           88
        .value_kind:     by_value
    .group_segment_fixed_size: 0
    .kernarg_segment_align: 8
    .kernarg_segment_size: 88
    .language:       OpenCL C
    .language_version:
      - 2
      - 0
    .max_flat_workgroup_size: 1024
    .name:           _ZN7rocprim17ROCPRIM_400000_NS6detail17trampoline_kernelINS0_14default_configENS1_35radix_sort_onesweep_config_selectorIaNS0_10empty_typeEEEZZNS1_29radix_sort_onesweep_iterationIS3_Lb0EPKaPaPS5_SB_mNS0_19identity_decomposerENS1_16block_id_wrapperIjLb0EEEEE10hipError_tT1_PNSt15iterator_traitsISG_E10value_typeET2_T3_PNSH_ISM_E10value_typeET4_T5_PSR_SS_PNS1_23onesweep_lookback_stateEbbT6_jjT7_P12ihipStream_tbENKUlT_T0_SG_SL_E_clIS9_SA_SB_SB_EEDaSZ_S10_SG_SL_EUlSZ_E_NS1_11comp_targetILNS1_3genE5ELNS1_11target_archE942ELNS1_3gpuE9ELNS1_3repE0EEENS1_47radix_sort_onesweep_sort_config_static_selectorELNS0_4arch9wavefront6targetE0EEEvSG_
    .private_segment_fixed_size: 0
    .sgpr_count:     0
    .sgpr_spill_count: 0
    .symbol:         _ZN7rocprim17ROCPRIM_400000_NS6detail17trampoline_kernelINS0_14default_configENS1_35radix_sort_onesweep_config_selectorIaNS0_10empty_typeEEEZZNS1_29radix_sort_onesweep_iterationIS3_Lb0EPKaPaPS5_SB_mNS0_19identity_decomposerENS1_16block_id_wrapperIjLb0EEEEE10hipError_tT1_PNSt15iterator_traitsISG_E10value_typeET2_T3_PNSH_ISM_E10value_typeET4_T5_PSR_SS_PNS1_23onesweep_lookback_stateEbbT6_jjT7_P12ihipStream_tbENKUlT_T0_SG_SL_E_clIS9_SA_SB_SB_EEDaSZ_S10_SG_SL_EUlSZ_E_NS1_11comp_targetILNS1_3genE5ELNS1_11target_archE942ELNS1_3gpuE9ELNS1_3repE0EEENS1_47radix_sort_onesweep_sort_config_static_selectorELNS0_4arch9wavefront6targetE0EEEvSG_.kd
    .uniform_work_group_size: 1
    .uses_dynamic_stack: false
    .vgpr_count:     0
    .vgpr_spill_count: 0
    .wavefront_size: 32
  - .args:
      - .offset:         0
        .size:           88
        .value_kind:     by_value
    .group_segment_fixed_size: 0
    .kernarg_segment_align: 8
    .kernarg_segment_size: 88
    .language:       OpenCL C
    .language_version:
      - 2
      - 0
    .max_flat_workgroup_size: 512
    .name:           _ZN7rocprim17ROCPRIM_400000_NS6detail17trampoline_kernelINS0_14default_configENS1_35radix_sort_onesweep_config_selectorIaNS0_10empty_typeEEEZZNS1_29radix_sort_onesweep_iterationIS3_Lb0EPKaPaPS5_SB_mNS0_19identity_decomposerENS1_16block_id_wrapperIjLb0EEEEE10hipError_tT1_PNSt15iterator_traitsISG_E10value_typeET2_T3_PNSH_ISM_E10value_typeET4_T5_PSR_SS_PNS1_23onesweep_lookback_stateEbbT6_jjT7_P12ihipStream_tbENKUlT_T0_SG_SL_E_clIS9_SA_SB_SB_EEDaSZ_S10_SG_SL_EUlSZ_E_NS1_11comp_targetILNS1_3genE2ELNS1_11target_archE906ELNS1_3gpuE6ELNS1_3repE0EEENS1_47radix_sort_onesweep_sort_config_static_selectorELNS0_4arch9wavefront6targetE0EEEvSG_
    .private_segment_fixed_size: 0
    .sgpr_count:     0
    .sgpr_spill_count: 0
    .symbol:         _ZN7rocprim17ROCPRIM_400000_NS6detail17trampoline_kernelINS0_14default_configENS1_35radix_sort_onesweep_config_selectorIaNS0_10empty_typeEEEZZNS1_29radix_sort_onesweep_iterationIS3_Lb0EPKaPaPS5_SB_mNS0_19identity_decomposerENS1_16block_id_wrapperIjLb0EEEEE10hipError_tT1_PNSt15iterator_traitsISG_E10value_typeET2_T3_PNSH_ISM_E10value_typeET4_T5_PSR_SS_PNS1_23onesweep_lookback_stateEbbT6_jjT7_P12ihipStream_tbENKUlT_T0_SG_SL_E_clIS9_SA_SB_SB_EEDaSZ_S10_SG_SL_EUlSZ_E_NS1_11comp_targetILNS1_3genE2ELNS1_11target_archE906ELNS1_3gpuE6ELNS1_3repE0EEENS1_47radix_sort_onesweep_sort_config_static_selectorELNS0_4arch9wavefront6targetE0EEEvSG_.kd
    .uniform_work_group_size: 1
    .uses_dynamic_stack: false
    .vgpr_count:     0
    .vgpr_spill_count: 0
    .wavefront_size: 32
  - .args:
      - .offset:         0
        .size:           88
        .value_kind:     by_value
    .group_segment_fixed_size: 0
    .kernarg_segment_align: 8
    .kernarg_segment_size: 88
    .language:       OpenCL C
    .language_version:
      - 2
      - 0
    .max_flat_workgroup_size: 512
    .name:           _ZN7rocprim17ROCPRIM_400000_NS6detail17trampoline_kernelINS0_14default_configENS1_35radix_sort_onesweep_config_selectorIaNS0_10empty_typeEEEZZNS1_29radix_sort_onesweep_iterationIS3_Lb0EPKaPaPS5_SB_mNS0_19identity_decomposerENS1_16block_id_wrapperIjLb0EEEEE10hipError_tT1_PNSt15iterator_traitsISG_E10value_typeET2_T3_PNSH_ISM_E10value_typeET4_T5_PSR_SS_PNS1_23onesweep_lookback_stateEbbT6_jjT7_P12ihipStream_tbENKUlT_T0_SG_SL_E_clIS9_SA_SB_SB_EEDaSZ_S10_SG_SL_EUlSZ_E_NS1_11comp_targetILNS1_3genE4ELNS1_11target_archE910ELNS1_3gpuE8ELNS1_3repE0EEENS1_47radix_sort_onesweep_sort_config_static_selectorELNS0_4arch9wavefront6targetE0EEEvSG_
    .private_segment_fixed_size: 0
    .sgpr_count:     0
    .sgpr_spill_count: 0
    .symbol:         _ZN7rocprim17ROCPRIM_400000_NS6detail17trampoline_kernelINS0_14default_configENS1_35radix_sort_onesweep_config_selectorIaNS0_10empty_typeEEEZZNS1_29radix_sort_onesweep_iterationIS3_Lb0EPKaPaPS5_SB_mNS0_19identity_decomposerENS1_16block_id_wrapperIjLb0EEEEE10hipError_tT1_PNSt15iterator_traitsISG_E10value_typeET2_T3_PNSH_ISM_E10value_typeET4_T5_PSR_SS_PNS1_23onesweep_lookback_stateEbbT6_jjT7_P12ihipStream_tbENKUlT_T0_SG_SL_E_clIS9_SA_SB_SB_EEDaSZ_S10_SG_SL_EUlSZ_E_NS1_11comp_targetILNS1_3genE4ELNS1_11target_archE910ELNS1_3gpuE8ELNS1_3repE0EEENS1_47radix_sort_onesweep_sort_config_static_selectorELNS0_4arch9wavefront6targetE0EEEvSG_.kd
    .uniform_work_group_size: 1
    .uses_dynamic_stack: false
    .vgpr_count:     0
    .vgpr_spill_count: 0
    .wavefront_size: 32
  - .args:
      - .offset:         0
        .size:           88
        .value_kind:     by_value
    .group_segment_fixed_size: 0
    .kernarg_segment_align: 8
    .kernarg_segment_size: 88
    .language:       OpenCL C
    .language_version:
      - 2
      - 0
    .max_flat_workgroup_size: 1024
    .name:           _ZN7rocprim17ROCPRIM_400000_NS6detail17trampoline_kernelINS0_14default_configENS1_35radix_sort_onesweep_config_selectorIaNS0_10empty_typeEEEZZNS1_29radix_sort_onesweep_iterationIS3_Lb0EPKaPaPS5_SB_mNS0_19identity_decomposerENS1_16block_id_wrapperIjLb0EEEEE10hipError_tT1_PNSt15iterator_traitsISG_E10value_typeET2_T3_PNSH_ISM_E10value_typeET4_T5_PSR_SS_PNS1_23onesweep_lookback_stateEbbT6_jjT7_P12ihipStream_tbENKUlT_T0_SG_SL_E_clIS9_SA_SB_SB_EEDaSZ_S10_SG_SL_EUlSZ_E_NS1_11comp_targetILNS1_3genE3ELNS1_11target_archE908ELNS1_3gpuE7ELNS1_3repE0EEENS1_47radix_sort_onesweep_sort_config_static_selectorELNS0_4arch9wavefront6targetE0EEEvSG_
    .private_segment_fixed_size: 0
    .sgpr_count:     0
    .sgpr_spill_count: 0
    .symbol:         _ZN7rocprim17ROCPRIM_400000_NS6detail17trampoline_kernelINS0_14default_configENS1_35radix_sort_onesweep_config_selectorIaNS0_10empty_typeEEEZZNS1_29radix_sort_onesweep_iterationIS3_Lb0EPKaPaPS5_SB_mNS0_19identity_decomposerENS1_16block_id_wrapperIjLb0EEEEE10hipError_tT1_PNSt15iterator_traitsISG_E10value_typeET2_T3_PNSH_ISM_E10value_typeET4_T5_PSR_SS_PNS1_23onesweep_lookback_stateEbbT6_jjT7_P12ihipStream_tbENKUlT_T0_SG_SL_E_clIS9_SA_SB_SB_EEDaSZ_S10_SG_SL_EUlSZ_E_NS1_11comp_targetILNS1_3genE3ELNS1_11target_archE908ELNS1_3gpuE7ELNS1_3repE0EEENS1_47radix_sort_onesweep_sort_config_static_selectorELNS0_4arch9wavefront6targetE0EEEvSG_.kd
    .uniform_work_group_size: 1
    .uses_dynamic_stack: false
    .vgpr_count:     0
    .vgpr_spill_count: 0
    .wavefront_size: 32
  - .args:
      - .offset:         0
        .size:           88
        .value_kind:     by_value
    .group_segment_fixed_size: 0
    .kernarg_segment_align: 8
    .kernarg_segment_size: 88
    .language:       OpenCL C
    .language_version:
      - 2
      - 0
    .max_flat_workgroup_size: 256
    .name:           _ZN7rocprim17ROCPRIM_400000_NS6detail17trampoline_kernelINS0_14default_configENS1_35radix_sort_onesweep_config_selectorIaNS0_10empty_typeEEEZZNS1_29radix_sort_onesweep_iterationIS3_Lb0EPKaPaPS5_SB_mNS0_19identity_decomposerENS1_16block_id_wrapperIjLb0EEEEE10hipError_tT1_PNSt15iterator_traitsISG_E10value_typeET2_T3_PNSH_ISM_E10value_typeET4_T5_PSR_SS_PNS1_23onesweep_lookback_stateEbbT6_jjT7_P12ihipStream_tbENKUlT_T0_SG_SL_E_clIS9_SA_SB_SB_EEDaSZ_S10_SG_SL_EUlSZ_E_NS1_11comp_targetILNS1_3genE10ELNS1_11target_archE1201ELNS1_3gpuE5ELNS1_3repE0EEENS1_47radix_sort_onesweep_sort_config_static_selectorELNS0_4arch9wavefront6targetE0EEEvSG_
    .private_segment_fixed_size: 0
    .sgpr_count:     0
    .sgpr_spill_count: 0
    .symbol:         _ZN7rocprim17ROCPRIM_400000_NS6detail17trampoline_kernelINS0_14default_configENS1_35radix_sort_onesweep_config_selectorIaNS0_10empty_typeEEEZZNS1_29radix_sort_onesweep_iterationIS3_Lb0EPKaPaPS5_SB_mNS0_19identity_decomposerENS1_16block_id_wrapperIjLb0EEEEE10hipError_tT1_PNSt15iterator_traitsISG_E10value_typeET2_T3_PNSH_ISM_E10value_typeET4_T5_PSR_SS_PNS1_23onesweep_lookback_stateEbbT6_jjT7_P12ihipStream_tbENKUlT_T0_SG_SL_E_clIS9_SA_SB_SB_EEDaSZ_S10_SG_SL_EUlSZ_E_NS1_11comp_targetILNS1_3genE10ELNS1_11target_archE1201ELNS1_3gpuE5ELNS1_3repE0EEENS1_47radix_sort_onesweep_sort_config_static_selectorELNS0_4arch9wavefront6targetE0EEEvSG_.kd
    .uniform_work_group_size: 1
    .uses_dynamic_stack: false
    .vgpr_count:     0
    .vgpr_spill_count: 0
    .wavefront_size: 32
  - .args:
      - .offset:         0
        .size:           88
        .value_kind:     by_value
    .group_segment_fixed_size: 0
    .kernarg_segment_align: 8
    .kernarg_segment_size: 88
    .language:       OpenCL C
    .language_version:
      - 2
      - 0
    .max_flat_workgroup_size: 256
    .name:           _ZN7rocprim17ROCPRIM_400000_NS6detail17trampoline_kernelINS0_14default_configENS1_35radix_sort_onesweep_config_selectorIaNS0_10empty_typeEEEZZNS1_29radix_sort_onesweep_iterationIS3_Lb0EPKaPaPS5_SB_mNS0_19identity_decomposerENS1_16block_id_wrapperIjLb0EEEEE10hipError_tT1_PNSt15iterator_traitsISG_E10value_typeET2_T3_PNSH_ISM_E10value_typeET4_T5_PSR_SS_PNS1_23onesweep_lookback_stateEbbT6_jjT7_P12ihipStream_tbENKUlT_T0_SG_SL_E_clIS9_SA_SB_SB_EEDaSZ_S10_SG_SL_EUlSZ_E_NS1_11comp_targetILNS1_3genE9ELNS1_11target_archE1100ELNS1_3gpuE3ELNS1_3repE0EEENS1_47radix_sort_onesweep_sort_config_static_selectorELNS0_4arch9wavefront6targetE0EEEvSG_
    .private_segment_fixed_size: 0
    .sgpr_count:     0
    .sgpr_spill_count: 0
    .symbol:         _ZN7rocprim17ROCPRIM_400000_NS6detail17trampoline_kernelINS0_14default_configENS1_35radix_sort_onesweep_config_selectorIaNS0_10empty_typeEEEZZNS1_29radix_sort_onesweep_iterationIS3_Lb0EPKaPaPS5_SB_mNS0_19identity_decomposerENS1_16block_id_wrapperIjLb0EEEEE10hipError_tT1_PNSt15iterator_traitsISG_E10value_typeET2_T3_PNSH_ISM_E10value_typeET4_T5_PSR_SS_PNS1_23onesweep_lookback_stateEbbT6_jjT7_P12ihipStream_tbENKUlT_T0_SG_SL_E_clIS9_SA_SB_SB_EEDaSZ_S10_SG_SL_EUlSZ_E_NS1_11comp_targetILNS1_3genE9ELNS1_11target_archE1100ELNS1_3gpuE3ELNS1_3repE0EEENS1_47radix_sort_onesweep_sort_config_static_selectorELNS0_4arch9wavefront6targetE0EEEvSG_.kd
    .uniform_work_group_size: 1
    .uses_dynamic_stack: false
    .vgpr_count:     0
    .vgpr_spill_count: 0
    .wavefront_size: 32
  - .args:
      - .offset:         0
        .size:           88
        .value_kind:     by_value
    .group_segment_fixed_size: 0
    .kernarg_segment_align: 8
    .kernarg_segment_size: 88
    .language:       OpenCL C
    .language_version:
      - 2
      - 0
    .max_flat_workgroup_size: 256
    .name:           _ZN7rocprim17ROCPRIM_400000_NS6detail17trampoline_kernelINS0_14default_configENS1_35radix_sort_onesweep_config_selectorIaNS0_10empty_typeEEEZZNS1_29radix_sort_onesweep_iterationIS3_Lb0EPKaPaPS5_SB_mNS0_19identity_decomposerENS1_16block_id_wrapperIjLb0EEEEE10hipError_tT1_PNSt15iterator_traitsISG_E10value_typeET2_T3_PNSH_ISM_E10value_typeET4_T5_PSR_SS_PNS1_23onesweep_lookback_stateEbbT6_jjT7_P12ihipStream_tbENKUlT_T0_SG_SL_E_clIS9_SA_SB_SB_EEDaSZ_S10_SG_SL_EUlSZ_E_NS1_11comp_targetILNS1_3genE8ELNS1_11target_archE1030ELNS1_3gpuE2ELNS1_3repE0EEENS1_47radix_sort_onesweep_sort_config_static_selectorELNS0_4arch9wavefront6targetE0EEEvSG_
    .private_segment_fixed_size: 0
    .sgpr_count:     0
    .sgpr_spill_count: 0
    .symbol:         _ZN7rocprim17ROCPRIM_400000_NS6detail17trampoline_kernelINS0_14default_configENS1_35radix_sort_onesweep_config_selectorIaNS0_10empty_typeEEEZZNS1_29radix_sort_onesweep_iterationIS3_Lb0EPKaPaPS5_SB_mNS0_19identity_decomposerENS1_16block_id_wrapperIjLb0EEEEE10hipError_tT1_PNSt15iterator_traitsISG_E10value_typeET2_T3_PNSH_ISM_E10value_typeET4_T5_PSR_SS_PNS1_23onesweep_lookback_stateEbbT6_jjT7_P12ihipStream_tbENKUlT_T0_SG_SL_E_clIS9_SA_SB_SB_EEDaSZ_S10_SG_SL_EUlSZ_E_NS1_11comp_targetILNS1_3genE8ELNS1_11target_archE1030ELNS1_3gpuE2ELNS1_3repE0EEENS1_47radix_sort_onesweep_sort_config_static_selectorELNS0_4arch9wavefront6targetE0EEEvSG_.kd
    .uniform_work_group_size: 1
    .uses_dynamic_stack: false
    .vgpr_count:     0
    .vgpr_spill_count: 0
    .wavefront_size: 32
  - .args:
      - .offset:         0
        .size:           88
        .value_kind:     by_value
      - .offset:         88
        .size:           4
        .value_kind:     hidden_block_count_x
      - .offset:         92
        .size:           4
        .value_kind:     hidden_block_count_y
      - .offset:         96
        .size:           4
        .value_kind:     hidden_block_count_z
      - .offset:         100
        .size:           2
        .value_kind:     hidden_group_size_x
      - .offset:         102
        .size:           2
        .value_kind:     hidden_group_size_y
      - .offset:         104
        .size:           2
        .value_kind:     hidden_group_size_z
      - .offset:         106
        .size:           2
        .value_kind:     hidden_remainder_x
      - .offset:         108
        .size:           2
        .value_kind:     hidden_remainder_y
      - .offset:         110
        .size:           2
        .value_kind:     hidden_remainder_z
      - .offset:         128
        .size:           8
        .value_kind:     hidden_global_offset_x
      - .offset:         136
        .size:           8
        .value_kind:     hidden_global_offset_y
      - .offset:         144
        .size:           8
        .value_kind:     hidden_global_offset_z
      - .offset:         152
        .size:           2
        .value_kind:     hidden_grid_dims
    .group_segment_fixed_size: 32904
    .kernarg_segment_align: 8
    .kernarg_segment_size: 344
    .language:       OpenCL C
    .language_version:
      - 2
      - 0
    .max_flat_workgroup_size: 1024
    .name:           _ZN7rocprim17ROCPRIM_400000_NS6detail17trampoline_kernelINS0_14default_configENS1_35radix_sort_onesweep_config_selectorIaNS0_10empty_typeEEEZZNS1_29radix_sort_onesweep_iterationIS3_Lb0EPKaPaPS5_SB_mNS0_19identity_decomposerENS1_16block_id_wrapperIjLb0EEEEE10hipError_tT1_PNSt15iterator_traitsISG_E10value_typeET2_T3_PNSH_ISM_E10value_typeET4_T5_PSR_SS_PNS1_23onesweep_lookback_stateEbbT6_jjT7_P12ihipStream_tbENKUlT_T0_SG_SL_E_clISA_SA_SB_SB_EEDaSZ_S10_SG_SL_EUlSZ_E_NS1_11comp_targetILNS1_3genE0ELNS1_11target_archE4294967295ELNS1_3gpuE0ELNS1_3repE0EEENS1_47radix_sort_onesweep_sort_config_static_selectorELNS0_4arch9wavefront6targetE0EEEvSG_
    .private_segment_fixed_size: 0
    .sgpr_count:     27
    .sgpr_spill_count: 0
    .symbol:         _ZN7rocprim17ROCPRIM_400000_NS6detail17trampoline_kernelINS0_14default_configENS1_35radix_sort_onesweep_config_selectorIaNS0_10empty_typeEEEZZNS1_29radix_sort_onesweep_iterationIS3_Lb0EPKaPaPS5_SB_mNS0_19identity_decomposerENS1_16block_id_wrapperIjLb0EEEEE10hipError_tT1_PNSt15iterator_traitsISG_E10value_typeET2_T3_PNSH_ISM_E10value_typeET4_T5_PSR_SS_PNS1_23onesweep_lookback_stateEbbT6_jjT7_P12ihipStream_tbENKUlT_T0_SG_SL_E_clISA_SA_SB_SB_EEDaSZ_S10_SG_SL_EUlSZ_E_NS1_11comp_targetILNS1_3genE0ELNS1_11target_archE4294967295ELNS1_3gpuE0ELNS1_3repE0EEENS1_47radix_sort_onesweep_sort_config_static_selectorELNS0_4arch9wavefront6targetE0EEEvSG_.kd
    .uniform_work_group_size: 1
    .uses_dynamic_stack: false
    .vgpr_count:     79
    .vgpr_spill_count: 0
    .wavefront_size: 32
  - .args:
      - .offset:         0
        .size:           88
        .value_kind:     by_value
    .group_segment_fixed_size: 0
    .kernarg_segment_align: 8
    .kernarg_segment_size: 88
    .language:       OpenCL C
    .language_version:
      - 2
      - 0
    .max_flat_workgroup_size: 1024
    .name:           _ZN7rocprim17ROCPRIM_400000_NS6detail17trampoline_kernelINS0_14default_configENS1_35radix_sort_onesweep_config_selectorIaNS0_10empty_typeEEEZZNS1_29radix_sort_onesweep_iterationIS3_Lb0EPKaPaPS5_SB_mNS0_19identity_decomposerENS1_16block_id_wrapperIjLb0EEEEE10hipError_tT1_PNSt15iterator_traitsISG_E10value_typeET2_T3_PNSH_ISM_E10value_typeET4_T5_PSR_SS_PNS1_23onesweep_lookback_stateEbbT6_jjT7_P12ihipStream_tbENKUlT_T0_SG_SL_E_clISA_SA_SB_SB_EEDaSZ_S10_SG_SL_EUlSZ_E_NS1_11comp_targetILNS1_3genE6ELNS1_11target_archE950ELNS1_3gpuE13ELNS1_3repE0EEENS1_47radix_sort_onesweep_sort_config_static_selectorELNS0_4arch9wavefront6targetE0EEEvSG_
    .private_segment_fixed_size: 0
    .sgpr_count:     0
    .sgpr_spill_count: 0
    .symbol:         _ZN7rocprim17ROCPRIM_400000_NS6detail17trampoline_kernelINS0_14default_configENS1_35radix_sort_onesweep_config_selectorIaNS0_10empty_typeEEEZZNS1_29radix_sort_onesweep_iterationIS3_Lb0EPKaPaPS5_SB_mNS0_19identity_decomposerENS1_16block_id_wrapperIjLb0EEEEE10hipError_tT1_PNSt15iterator_traitsISG_E10value_typeET2_T3_PNSH_ISM_E10value_typeET4_T5_PSR_SS_PNS1_23onesweep_lookback_stateEbbT6_jjT7_P12ihipStream_tbENKUlT_T0_SG_SL_E_clISA_SA_SB_SB_EEDaSZ_S10_SG_SL_EUlSZ_E_NS1_11comp_targetILNS1_3genE6ELNS1_11target_archE950ELNS1_3gpuE13ELNS1_3repE0EEENS1_47radix_sort_onesweep_sort_config_static_selectorELNS0_4arch9wavefront6targetE0EEEvSG_.kd
    .uniform_work_group_size: 1
    .uses_dynamic_stack: false
    .vgpr_count:     0
    .vgpr_spill_count: 0
    .wavefront_size: 32
  - .args:
      - .offset:         0
        .size:           88
        .value_kind:     by_value
    .group_segment_fixed_size: 0
    .kernarg_segment_align: 8
    .kernarg_segment_size: 88
    .language:       OpenCL C
    .language_version:
      - 2
      - 0
    .max_flat_workgroup_size: 1024
    .name:           _ZN7rocprim17ROCPRIM_400000_NS6detail17trampoline_kernelINS0_14default_configENS1_35radix_sort_onesweep_config_selectorIaNS0_10empty_typeEEEZZNS1_29radix_sort_onesweep_iterationIS3_Lb0EPKaPaPS5_SB_mNS0_19identity_decomposerENS1_16block_id_wrapperIjLb0EEEEE10hipError_tT1_PNSt15iterator_traitsISG_E10value_typeET2_T3_PNSH_ISM_E10value_typeET4_T5_PSR_SS_PNS1_23onesweep_lookback_stateEbbT6_jjT7_P12ihipStream_tbENKUlT_T0_SG_SL_E_clISA_SA_SB_SB_EEDaSZ_S10_SG_SL_EUlSZ_E_NS1_11comp_targetILNS1_3genE5ELNS1_11target_archE942ELNS1_3gpuE9ELNS1_3repE0EEENS1_47radix_sort_onesweep_sort_config_static_selectorELNS0_4arch9wavefront6targetE0EEEvSG_
    .private_segment_fixed_size: 0
    .sgpr_count:     0
    .sgpr_spill_count: 0
    .symbol:         _ZN7rocprim17ROCPRIM_400000_NS6detail17trampoline_kernelINS0_14default_configENS1_35radix_sort_onesweep_config_selectorIaNS0_10empty_typeEEEZZNS1_29radix_sort_onesweep_iterationIS3_Lb0EPKaPaPS5_SB_mNS0_19identity_decomposerENS1_16block_id_wrapperIjLb0EEEEE10hipError_tT1_PNSt15iterator_traitsISG_E10value_typeET2_T3_PNSH_ISM_E10value_typeET4_T5_PSR_SS_PNS1_23onesweep_lookback_stateEbbT6_jjT7_P12ihipStream_tbENKUlT_T0_SG_SL_E_clISA_SA_SB_SB_EEDaSZ_S10_SG_SL_EUlSZ_E_NS1_11comp_targetILNS1_3genE5ELNS1_11target_archE942ELNS1_3gpuE9ELNS1_3repE0EEENS1_47radix_sort_onesweep_sort_config_static_selectorELNS0_4arch9wavefront6targetE0EEEvSG_.kd
    .uniform_work_group_size: 1
    .uses_dynamic_stack: false
    .vgpr_count:     0
    .vgpr_spill_count: 0
    .wavefront_size: 32
  - .args:
      - .offset:         0
        .size:           88
        .value_kind:     by_value
    .group_segment_fixed_size: 0
    .kernarg_segment_align: 8
    .kernarg_segment_size: 88
    .language:       OpenCL C
    .language_version:
      - 2
      - 0
    .max_flat_workgroup_size: 512
    .name:           _ZN7rocprim17ROCPRIM_400000_NS6detail17trampoline_kernelINS0_14default_configENS1_35radix_sort_onesweep_config_selectorIaNS0_10empty_typeEEEZZNS1_29radix_sort_onesweep_iterationIS3_Lb0EPKaPaPS5_SB_mNS0_19identity_decomposerENS1_16block_id_wrapperIjLb0EEEEE10hipError_tT1_PNSt15iterator_traitsISG_E10value_typeET2_T3_PNSH_ISM_E10value_typeET4_T5_PSR_SS_PNS1_23onesweep_lookback_stateEbbT6_jjT7_P12ihipStream_tbENKUlT_T0_SG_SL_E_clISA_SA_SB_SB_EEDaSZ_S10_SG_SL_EUlSZ_E_NS1_11comp_targetILNS1_3genE2ELNS1_11target_archE906ELNS1_3gpuE6ELNS1_3repE0EEENS1_47radix_sort_onesweep_sort_config_static_selectorELNS0_4arch9wavefront6targetE0EEEvSG_
    .private_segment_fixed_size: 0
    .sgpr_count:     0
    .sgpr_spill_count: 0
    .symbol:         _ZN7rocprim17ROCPRIM_400000_NS6detail17trampoline_kernelINS0_14default_configENS1_35radix_sort_onesweep_config_selectorIaNS0_10empty_typeEEEZZNS1_29radix_sort_onesweep_iterationIS3_Lb0EPKaPaPS5_SB_mNS0_19identity_decomposerENS1_16block_id_wrapperIjLb0EEEEE10hipError_tT1_PNSt15iterator_traitsISG_E10value_typeET2_T3_PNSH_ISM_E10value_typeET4_T5_PSR_SS_PNS1_23onesweep_lookback_stateEbbT6_jjT7_P12ihipStream_tbENKUlT_T0_SG_SL_E_clISA_SA_SB_SB_EEDaSZ_S10_SG_SL_EUlSZ_E_NS1_11comp_targetILNS1_3genE2ELNS1_11target_archE906ELNS1_3gpuE6ELNS1_3repE0EEENS1_47radix_sort_onesweep_sort_config_static_selectorELNS0_4arch9wavefront6targetE0EEEvSG_.kd
    .uniform_work_group_size: 1
    .uses_dynamic_stack: false
    .vgpr_count:     0
    .vgpr_spill_count: 0
    .wavefront_size: 32
  - .args:
      - .offset:         0
        .size:           88
        .value_kind:     by_value
    .group_segment_fixed_size: 0
    .kernarg_segment_align: 8
    .kernarg_segment_size: 88
    .language:       OpenCL C
    .language_version:
      - 2
      - 0
    .max_flat_workgroup_size: 512
    .name:           _ZN7rocprim17ROCPRIM_400000_NS6detail17trampoline_kernelINS0_14default_configENS1_35radix_sort_onesweep_config_selectorIaNS0_10empty_typeEEEZZNS1_29radix_sort_onesweep_iterationIS3_Lb0EPKaPaPS5_SB_mNS0_19identity_decomposerENS1_16block_id_wrapperIjLb0EEEEE10hipError_tT1_PNSt15iterator_traitsISG_E10value_typeET2_T3_PNSH_ISM_E10value_typeET4_T5_PSR_SS_PNS1_23onesweep_lookback_stateEbbT6_jjT7_P12ihipStream_tbENKUlT_T0_SG_SL_E_clISA_SA_SB_SB_EEDaSZ_S10_SG_SL_EUlSZ_E_NS1_11comp_targetILNS1_3genE4ELNS1_11target_archE910ELNS1_3gpuE8ELNS1_3repE0EEENS1_47radix_sort_onesweep_sort_config_static_selectorELNS0_4arch9wavefront6targetE0EEEvSG_
    .private_segment_fixed_size: 0
    .sgpr_count:     0
    .sgpr_spill_count: 0
    .symbol:         _ZN7rocprim17ROCPRIM_400000_NS6detail17trampoline_kernelINS0_14default_configENS1_35radix_sort_onesweep_config_selectorIaNS0_10empty_typeEEEZZNS1_29radix_sort_onesweep_iterationIS3_Lb0EPKaPaPS5_SB_mNS0_19identity_decomposerENS1_16block_id_wrapperIjLb0EEEEE10hipError_tT1_PNSt15iterator_traitsISG_E10value_typeET2_T3_PNSH_ISM_E10value_typeET4_T5_PSR_SS_PNS1_23onesweep_lookback_stateEbbT6_jjT7_P12ihipStream_tbENKUlT_T0_SG_SL_E_clISA_SA_SB_SB_EEDaSZ_S10_SG_SL_EUlSZ_E_NS1_11comp_targetILNS1_3genE4ELNS1_11target_archE910ELNS1_3gpuE8ELNS1_3repE0EEENS1_47radix_sort_onesweep_sort_config_static_selectorELNS0_4arch9wavefront6targetE0EEEvSG_.kd
    .uniform_work_group_size: 1
    .uses_dynamic_stack: false
    .vgpr_count:     0
    .vgpr_spill_count: 0
    .wavefront_size: 32
  - .args:
      - .offset:         0
        .size:           88
        .value_kind:     by_value
    .group_segment_fixed_size: 0
    .kernarg_segment_align: 8
    .kernarg_segment_size: 88
    .language:       OpenCL C
    .language_version:
      - 2
      - 0
    .max_flat_workgroup_size: 1024
    .name:           _ZN7rocprim17ROCPRIM_400000_NS6detail17trampoline_kernelINS0_14default_configENS1_35radix_sort_onesweep_config_selectorIaNS0_10empty_typeEEEZZNS1_29radix_sort_onesweep_iterationIS3_Lb0EPKaPaPS5_SB_mNS0_19identity_decomposerENS1_16block_id_wrapperIjLb0EEEEE10hipError_tT1_PNSt15iterator_traitsISG_E10value_typeET2_T3_PNSH_ISM_E10value_typeET4_T5_PSR_SS_PNS1_23onesweep_lookback_stateEbbT6_jjT7_P12ihipStream_tbENKUlT_T0_SG_SL_E_clISA_SA_SB_SB_EEDaSZ_S10_SG_SL_EUlSZ_E_NS1_11comp_targetILNS1_3genE3ELNS1_11target_archE908ELNS1_3gpuE7ELNS1_3repE0EEENS1_47radix_sort_onesweep_sort_config_static_selectorELNS0_4arch9wavefront6targetE0EEEvSG_
    .private_segment_fixed_size: 0
    .sgpr_count:     0
    .sgpr_spill_count: 0
    .symbol:         _ZN7rocprim17ROCPRIM_400000_NS6detail17trampoline_kernelINS0_14default_configENS1_35radix_sort_onesweep_config_selectorIaNS0_10empty_typeEEEZZNS1_29radix_sort_onesweep_iterationIS3_Lb0EPKaPaPS5_SB_mNS0_19identity_decomposerENS1_16block_id_wrapperIjLb0EEEEE10hipError_tT1_PNSt15iterator_traitsISG_E10value_typeET2_T3_PNSH_ISM_E10value_typeET4_T5_PSR_SS_PNS1_23onesweep_lookback_stateEbbT6_jjT7_P12ihipStream_tbENKUlT_T0_SG_SL_E_clISA_SA_SB_SB_EEDaSZ_S10_SG_SL_EUlSZ_E_NS1_11comp_targetILNS1_3genE3ELNS1_11target_archE908ELNS1_3gpuE7ELNS1_3repE0EEENS1_47radix_sort_onesweep_sort_config_static_selectorELNS0_4arch9wavefront6targetE0EEEvSG_.kd
    .uniform_work_group_size: 1
    .uses_dynamic_stack: false
    .vgpr_count:     0
    .vgpr_spill_count: 0
    .wavefront_size: 32
  - .args:
      - .offset:         0
        .size:           88
        .value_kind:     by_value
    .group_segment_fixed_size: 0
    .kernarg_segment_align: 8
    .kernarg_segment_size: 88
    .language:       OpenCL C
    .language_version:
      - 2
      - 0
    .max_flat_workgroup_size: 256
    .name:           _ZN7rocprim17ROCPRIM_400000_NS6detail17trampoline_kernelINS0_14default_configENS1_35radix_sort_onesweep_config_selectorIaNS0_10empty_typeEEEZZNS1_29radix_sort_onesweep_iterationIS3_Lb0EPKaPaPS5_SB_mNS0_19identity_decomposerENS1_16block_id_wrapperIjLb0EEEEE10hipError_tT1_PNSt15iterator_traitsISG_E10value_typeET2_T3_PNSH_ISM_E10value_typeET4_T5_PSR_SS_PNS1_23onesweep_lookback_stateEbbT6_jjT7_P12ihipStream_tbENKUlT_T0_SG_SL_E_clISA_SA_SB_SB_EEDaSZ_S10_SG_SL_EUlSZ_E_NS1_11comp_targetILNS1_3genE10ELNS1_11target_archE1201ELNS1_3gpuE5ELNS1_3repE0EEENS1_47radix_sort_onesweep_sort_config_static_selectorELNS0_4arch9wavefront6targetE0EEEvSG_
    .private_segment_fixed_size: 0
    .sgpr_count:     0
    .sgpr_spill_count: 0
    .symbol:         _ZN7rocprim17ROCPRIM_400000_NS6detail17trampoline_kernelINS0_14default_configENS1_35radix_sort_onesweep_config_selectorIaNS0_10empty_typeEEEZZNS1_29radix_sort_onesweep_iterationIS3_Lb0EPKaPaPS5_SB_mNS0_19identity_decomposerENS1_16block_id_wrapperIjLb0EEEEE10hipError_tT1_PNSt15iterator_traitsISG_E10value_typeET2_T3_PNSH_ISM_E10value_typeET4_T5_PSR_SS_PNS1_23onesweep_lookback_stateEbbT6_jjT7_P12ihipStream_tbENKUlT_T0_SG_SL_E_clISA_SA_SB_SB_EEDaSZ_S10_SG_SL_EUlSZ_E_NS1_11comp_targetILNS1_3genE10ELNS1_11target_archE1201ELNS1_3gpuE5ELNS1_3repE0EEENS1_47radix_sort_onesweep_sort_config_static_selectorELNS0_4arch9wavefront6targetE0EEEvSG_.kd
    .uniform_work_group_size: 1
    .uses_dynamic_stack: false
    .vgpr_count:     0
    .vgpr_spill_count: 0
    .wavefront_size: 32
  - .args:
      - .offset:         0
        .size:           88
        .value_kind:     by_value
    .group_segment_fixed_size: 0
    .kernarg_segment_align: 8
    .kernarg_segment_size: 88
    .language:       OpenCL C
    .language_version:
      - 2
      - 0
    .max_flat_workgroup_size: 256
    .name:           _ZN7rocprim17ROCPRIM_400000_NS6detail17trampoline_kernelINS0_14default_configENS1_35radix_sort_onesweep_config_selectorIaNS0_10empty_typeEEEZZNS1_29radix_sort_onesweep_iterationIS3_Lb0EPKaPaPS5_SB_mNS0_19identity_decomposerENS1_16block_id_wrapperIjLb0EEEEE10hipError_tT1_PNSt15iterator_traitsISG_E10value_typeET2_T3_PNSH_ISM_E10value_typeET4_T5_PSR_SS_PNS1_23onesweep_lookback_stateEbbT6_jjT7_P12ihipStream_tbENKUlT_T0_SG_SL_E_clISA_SA_SB_SB_EEDaSZ_S10_SG_SL_EUlSZ_E_NS1_11comp_targetILNS1_3genE9ELNS1_11target_archE1100ELNS1_3gpuE3ELNS1_3repE0EEENS1_47radix_sort_onesweep_sort_config_static_selectorELNS0_4arch9wavefront6targetE0EEEvSG_
    .private_segment_fixed_size: 0
    .sgpr_count:     0
    .sgpr_spill_count: 0
    .symbol:         _ZN7rocprim17ROCPRIM_400000_NS6detail17trampoline_kernelINS0_14default_configENS1_35radix_sort_onesweep_config_selectorIaNS0_10empty_typeEEEZZNS1_29radix_sort_onesweep_iterationIS3_Lb0EPKaPaPS5_SB_mNS0_19identity_decomposerENS1_16block_id_wrapperIjLb0EEEEE10hipError_tT1_PNSt15iterator_traitsISG_E10value_typeET2_T3_PNSH_ISM_E10value_typeET4_T5_PSR_SS_PNS1_23onesweep_lookback_stateEbbT6_jjT7_P12ihipStream_tbENKUlT_T0_SG_SL_E_clISA_SA_SB_SB_EEDaSZ_S10_SG_SL_EUlSZ_E_NS1_11comp_targetILNS1_3genE9ELNS1_11target_archE1100ELNS1_3gpuE3ELNS1_3repE0EEENS1_47radix_sort_onesweep_sort_config_static_selectorELNS0_4arch9wavefront6targetE0EEEvSG_.kd
    .uniform_work_group_size: 1
    .uses_dynamic_stack: false
    .vgpr_count:     0
    .vgpr_spill_count: 0
    .wavefront_size: 32
  - .args:
      - .offset:         0
        .size:           88
        .value_kind:     by_value
    .group_segment_fixed_size: 0
    .kernarg_segment_align: 8
    .kernarg_segment_size: 88
    .language:       OpenCL C
    .language_version:
      - 2
      - 0
    .max_flat_workgroup_size: 256
    .name:           _ZN7rocprim17ROCPRIM_400000_NS6detail17trampoline_kernelINS0_14default_configENS1_35radix_sort_onesweep_config_selectorIaNS0_10empty_typeEEEZZNS1_29radix_sort_onesweep_iterationIS3_Lb0EPKaPaPS5_SB_mNS0_19identity_decomposerENS1_16block_id_wrapperIjLb0EEEEE10hipError_tT1_PNSt15iterator_traitsISG_E10value_typeET2_T3_PNSH_ISM_E10value_typeET4_T5_PSR_SS_PNS1_23onesweep_lookback_stateEbbT6_jjT7_P12ihipStream_tbENKUlT_T0_SG_SL_E_clISA_SA_SB_SB_EEDaSZ_S10_SG_SL_EUlSZ_E_NS1_11comp_targetILNS1_3genE8ELNS1_11target_archE1030ELNS1_3gpuE2ELNS1_3repE0EEENS1_47radix_sort_onesweep_sort_config_static_selectorELNS0_4arch9wavefront6targetE0EEEvSG_
    .private_segment_fixed_size: 0
    .sgpr_count:     0
    .sgpr_spill_count: 0
    .symbol:         _ZN7rocprim17ROCPRIM_400000_NS6detail17trampoline_kernelINS0_14default_configENS1_35radix_sort_onesweep_config_selectorIaNS0_10empty_typeEEEZZNS1_29radix_sort_onesweep_iterationIS3_Lb0EPKaPaPS5_SB_mNS0_19identity_decomposerENS1_16block_id_wrapperIjLb0EEEEE10hipError_tT1_PNSt15iterator_traitsISG_E10value_typeET2_T3_PNSH_ISM_E10value_typeET4_T5_PSR_SS_PNS1_23onesweep_lookback_stateEbbT6_jjT7_P12ihipStream_tbENKUlT_T0_SG_SL_E_clISA_SA_SB_SB_EEDaSZ_S10_SG_SL_EUlSZ_E_NS1_11comp_targetILNS1_3genE8ELNS1_11target_archE1030ELNS1_3gpuE2ELNS1_3repE0EEENS1_47radix_sort_onesweep_sort_config_static_selectorELNS0_4arch9wavefront6targetE0EEEvSG_.kd
    .uniform_work_group_size: 1
    .uses_dynamic_stack: false
    .vgpr_count:     0
    .vgpr_spill_count: 0
    .wavefront_size: 32
  - .args:
      - .offset:         0
        .size:           48
        .value_kind:     by_value
      - .offset:         48
        .size:           4
        .value_kind:     hidden_block_count_x
      - .offset:         52
        .size:           4
        .value_kind:     hidden_block_count_y
      - .offset:         56
        .size:           4
        .value_kind:     hidden_block_count_z
      - .offset:         60
        .size:           2
        .value_kind:     hidden_group_size_x
      - .offset:         62
        .size:           2
        .value_kind:     hidden_group_size_y
      - .offset:         64
        .size:           2
        .value_kind:     hidden_group_size_z
      - .offset:         66
        .size:           2
        .value_kind:     hidden_remainder_x
      - .offset:         68
        .size:           2
        .value_kind:     hidden_remainder_y
      - .offset:         70
        .size:           2
        .value_kind:     hidden_remainder_z
      - .offset:         88
        .size:           8
        .value_kind:     hidden_global_offset_x
      - .offset:         96
        .size:           8
        .value_kind:     hidden_global_offset_y
      - .offset:         104
        .size:           8
        .value_kind:     hidden_global_offset_z
      - .offset:         112
        .size:           2
        .value_kind:     hidden_grid_dims
    .group_segment_fixed_size: 8224
    .kernarg_segment_align: 8
    .kernarg_segment_size: 304
    .language:       OpenCL C
    .language_version:
      - 2
      - 0
    .max_flat_workgroup_size: 256
    .name:           _ZN7rocprim17ROCPRIM_400000_NS6detail17trampoline_kernelINS0_13kernel_configILj256ELj4ELj4294967295EEENS1_37radix_sort_block_sort_config_selectorIsNS0_10empty_typeEEEZNS1_21radix_sort_block_sortIS4_Lb1EPKsPsPS6_SC_NS0_19identity_decomposerEEE10hipError_tT1_T2_T3_T4_jRjT5_jjP12ihipStream_tbEUlT_E_NS1_11comp_targetILNS1_3genE0ELNS1_11target_archE4294967295ELNS1_3gpuE0ELNS1_3repE0EEENS1_44radix_sort_block_sort_config_static_selectorELNS0_4arch9wavefront6targetE0EEEvSF_
    .private_segment_fixed_size: 0
    .sgpr_count:     31
    .sgpr_spill_count: 0
    .symbol:         _ZN7rocprim17ROCPRIM_400000_NS6detail17trampoline_kernelINS0_13kernel_configILj256ELj4ELj4294967295EEENS1_37radix_sort_block_sort_config_selectorIsNS0_10empty_typeEEEZNS1_21radix_sort_block_sortIS4_Lb1EPKsPsPS6_SC_NS0_19identity_decomposerEEE10hipError_tT1_T2_T3_T4_jRjT5_jjP12ihipStream_tbEUlT_E_NS1_11comp_targetILNS1_3genE0ELNS1_11target_archE4294967295ELNS1_3gpuE0ELNS1_3repE0EEENS1_44radix_sort_block_sort_config_static_selectorELNS0_4arch9wavefront6targetE0EEEvSF_.kd
    .uniform_work_group_size: 1
    .uses_dynamic_stack: false
    .vgpr_count:     38
    .vgpr_spill_count: 0
    .wavefront_size: 32
  - .args:
      - .offset:         0
        .size:           48
        .value_kind:     by_value
    .group_segment_fixed_size: 0
    .kernarg_segment_align: 8
    .kernarg_segment_size: 48
    .language:       OpenCL C
    .language_version:
      - 2
      - 0
    .max_flat_workgroup_size: 256
    .name:           _ZN7rocprim17ROCPRIM_400000_NS6detail17trampoline_kernelINS0_13kernel_configILj256ELj4ELj4294967295EEENS1_37radix_sort_block_sort_config_selectorIsNS0_10empty_typeEEEZNS1_21radix_sort_block_sortIS4_Lb1EPKsPsPS6_SC_NS0_19identity_decomposerEEE10hipError_tT1_T2_T3_T4_jRjT5_jjP12ihipStream_tbEUlT_E_NS1_11comp_targetILNS1_3genE5ELNS1_11target_archE942ELNS1_3gpuE9ELNS1_3repE0EEENS1_44radix_sort_block_sort_config_static_selectorELNS0_4arch9wavefront6targetE0EEEvSF_
    .private_segment_fixed_size: 0
    .sgpr_count:     0
    .sgpr_spill_count: 0
    .symbol:         _ZN7rocprim17ROCPRIM_400000_NS6detail17trampoline_kernelINS0_13kernel_configILj256ELj4ELj4294967295EEENS1_37radix_sort_block_sort_config_selectorIsNS0_10empty_typeEEEZNS1_21radix_sort_block_sortIS4_Lb1EPKsPsPS6_SC_NS0_19identity_decomposerEEE10hipError_tT1_T2_T3_T4_jRjT5_jjP12ihipStream_tbEUlT_E_NS1_11comp_targetILNS1_3genE5ELNS1_11target_archE942ELNS1_3gpuE9ELNS1_3repE0EEENS1_44radix_sort_block_sort_config_static_selectorELNS0_4arch9wavefront6targetE0EEEvSF_.kd
    .uniform_work_group_size: 1
    .uses_dynamic_stack: false
    .vgpr_count:     0
    .vgpr_spill_count: 0
    .wavefront_size: 32
  - .args:
      - .offset:         0
        .size:           48
        .value_kind:     by_value
    .group_segment_fixed_size: 0
    .kernarg_segment_align: 8
    .kernarg_segment_size: 48
    .language:       OpenCL C
    .language_version:
      - 2
      - 0
    .max_flat_workgroup_size: 256
    .name:           _ZN7rocprim17ROCPRIM_400000_NS6detail17trampoline_kernelINS0_13kernel_configILj256ELj4ELj4294967295EEENS1_37radix_sort_block_sort_config_selectorIsNS0_10empty_typeEEEZNS1_21radix_sort_block_sortIS4_Lb1EPKsPsPS6_SC_NS0_19identity_decomposerEEE10hipError_tT1_T2_T3_T4_jRjT5_jjP12ihipStream_tbEUlT_E_NS1_11comp_targetILNS1_3genE4ELNS1_11target_archE910ELNS1_3gpuE8ELNS1_3repE0EEENS1_44radix_sort_block_sort_config_static_selectorELNS0_4arch9wavefront6targetE0EEEvSF_
    .private_segment_fixed_size: 0
    .sgpr_count:     0
    .sgpr_spill_count: 0
    .symbol:         _ZN7rocprim17ROCPRIM_400000_NS6detail17trampoline_kernelINS0_13kernel_configILj256ELj4ELj4294967295EEENS1_37radix_sort_block_sort_config_selectorIsNS0_10empty_typeEEEZNS1_21radix_sort_block_sortIS4_Lb1EPKsPsPS6_SC_NS0_19identity_decomposerEEE10hipError_tT1_T2_T3_T4_jRjT5_jjP12ihipStream_tbEUlT_E_NS1_11comp_targetILNS1_3genE4ELNS1_11target_archE910ELNS1_3gpuE8ELNS1_3repE0EEENS1_44radix_sort_block_sort_config_static_selectorELNS0_4arch9wavefront6targetE0EEEvSF_.kd
    .uniform_work_group_size: 1
    .uses_dynamic_stack: false
    .vgpr_count:     0
    .vgpr_spill_count: 0
    .wavefront_size: 32
  - .args:
      - .offset:         0
        .size:           48
        .value_kind:     by_value
    .group_segment_fixed_size: 0
    .kernarg_segment_align: 8
    .kernarg_segment_size: 48
    .language:       OpenCL C
    .language_version:
      - 2
      - 0
    .max_flat_workgroup_size: 256
    .name:           _ZN7rocprim17ROCPRIM_400000_NS6detail17trampoline_kernelINS0_13kernel_configILj256ELj4ELj4294967295EEENS1_37radix_sort_block_sort_config_selectorIsNS0_10empty_typeEEEZNS1_21radix_sort_block_sortIS4_Lb1EPKsPsPS6_SC_NS0_19identity_decomposerEEE10hipError_tT1_T2_T3_T4_jRjT5_jjP12ihipStream_tbEUlT_E_NS1_11comp_targetILNS1_3genE3ELNS1_11target_archE908ELNS1_3gpuE7ELNS1_3repE0EEENS1_44radix_sort_block_sort_config_static_selectorELNS0_4arch9wavefront6targetE0EEEvSF_
    .private_segment_fixed_size: 0
    .sgpr_count:     0
    .sgpr_spill_count: 0
    .symbol:         _ZN7rocprim17ROCPRIM_400000_NS6detail17trampoline_kernelINS0_13kernel_configILj256ELj4ELj4294967295EEENS1_37radix_sort_block_sort_config_selectorIsNS0_10empty_typeEEEZNS1_21radix_sort_block_sortIS4_Lb1EPKsPsPS6_SC_NS0_19identity_decomposerEEE10hipError_tT1_T2_T3_T4_jRjT5_jjP12ihipStream_tbEUlT_E_NS1_11comp_targetILNS1_3genE3ELNS1_11target_archE908ELNS1_3gpuE7ELNS1_3repE0EEENS1_44radix_sort_block_sort_config_static_selectorELNS0_4arch9wavefront6targetE0EEEvSF_.kd
    .uniform_work_group_size: 1
    .uses_dynamic_stack: false
    .vgpr_count:     0
    .vgpr_spill_count: 0
    .wavefront_size: 32
  - .args:
      - .offset:         0
        .size:           48
        .value_kind:     by_value
    .group_segment_fixed_size: 0
    .kernarg_segment_align: 8
    .kernarg_segment_size: 48
    .language:       OpenCL C
    .language_version:
      - 2
      - 0
    .max_flat_workgroup_size: 256
    .name:           _ZN7rocprim17ROCPRIM_400000_NS6detail17trampoline_kernelINS0_13kernel_configILj256ELj4ELj4294967295EEENS1_37radix_sort_block_sort_config_selectorIsNS0_10empty_typeEEEZNS1_21radix_sort_block_sortIS4_Lb1EPKsPsPS6_SC_NS0_19identity_decomposerEEE10hipError_tT1_T2_T3_T4_jRjT5_jjP12ihipStream_tbEUlT_E_NS1_11comp_targetILNS1_3genE2ELNS1_11target_archE906ELNS1_3gpuE6ELNS1_3repE0EEENS1_44radix_sort_block_sort_config_static_selectorELNS0_4arch9wavefront6targetE0EEEvSF_
    .private_segment_fixed_size: 0
    .sgpr_count:     0
    .sgpr_spill_count: 0
    .symbol:         _ZN7rocprim17ROCPRIM_400000_NS6detail17trampoline_kernelINS0_13kernel_configILj256ELj4ELj4294967295EEENS1_37radix_sort_block_sort_config_selectorIsNS0_10empty_typeEEEZNS1_21radix_sort_block_sortIS4_Lb1EPKsPsPS6_SC_NS0_19identity_decomposerEEE10hipError_tT1_T2_T3_T4_jRjT5_jjP12ihipStream_tbEUlT_E_NS1_11comp_targetILNS1_3genE2ELNS1_11target_archE906ELNS1_3gpuE6ELNS1_3repE0EEENS1_44radix_sort_block_sort_config_static_selectorELNS0_4arch9wavefront6targetE0EEEvSF_.kd
    .uniform_work_group_size: 1
    .uses_dynamic_stack: false
    .vgpr_count:     0
    .vgpr_spill_count: 0
    .wavefront_size: 32
  - .args:
      - .offset:         0
        .size:           48
        .value_kind:     by_value
    .group_segment_fixed_size: 0
    .kernarg_segment_align: 8
    .kernarg_segment_size: 48
    .language:       OpenCL C
    .language_version:
      - 2
      - 0
    .max_flat_workgroup_size: 256
    .name:           _ZN7rocprim17ROCPRIM_400000_NS6detail17trampoline_kernelINS0_13kernel_configILj256ELj4ELj4294967295EEENS1_37radix_sort_block_sort_config_selectorIsNS0_10empty_typeEEEZNS1_21radix_sort_block_sortIS4_Lb1EPKsPsPS6_SC_NS0_19identity_decomposerEEE10hipError_tT1_T2_T3_T4_jRjT5_jjP12ihipStream_tbEUlT_E_NS1_11comp_targetILNS1_3genE10ELNS1_11target_archE1201ELNS1_3gpuE5ELNS1_3repE0EEENS1_44radix_sort_block_sort_config_static_selectorELNS0_4arch9wavefront6targetE0EEEvSF_
    .private_segment_fixed_size: 0
    .sgpr_count:     0
    .sgpr_spill_count: 0
    .symbol:         _ZN7rocprim17ROCPRIM_400000_NS6detail17trampoline_kernelINS0_13kernel_configILj256ELj4ELj4294967295EEENS1_37radix_sort_block_sort_config_selectorIsNS0_10empty_typeEEEZNS1_21radix_sort_block_sortIS4_Lb1EPKsPsPS6_SC_NS0_19identity_decomposerEEE10hipError_tT1_T2_T3_T4_jRjT5_jjP12ihipStream_tbEUlT_E_NS1_11comp_targetILNS1_3genE10ELNS1_11target_archE1201ELNS1_3gpuE5ELNS1_3repE0EEENS1_44radix_sort_block_sort_config_static_selectorELNS0_4arch9wavefront6targetE0EEEvSF_.kd
    .uniform_work_group_size: 1
    .uses_dynamic_stack: false
    .vgpr_count:     0
    .vgpr_spill_count: 0
    .wavefront_size: 32
  - .args:
      - .offset:         0
        .size:           48
        .value_kind:     by_value
    .group_segment_fixed_size: 0
    .kernarg_segment_align: 8
    .kernarg_segment_size: 48
    .language:       OpenCL C
    .language_version:
      - 2
      - 0
    .max_flat_workgroup_size: 256
    .name:           _ZN7rocprim17ROCPRIM_400000_NS6detail17trampoline_kernelINS0_13kernel_configILj256ELj4ELj4294967295EEENS1_37radix_sort_block_sort_config_selectorIsNS0_10empty_typeEEEZNS1_21radix_sort_block_sortIS4_Lb1EPKsPsPS6_SC_NS0_19identity_decomposerEEE10hipError_tT1_T2_T3_T4_jRjT5_jjP12ihipStream_tbEUlT_E_NS1_11comp_targetILNS1_3genE10ELNS1_11target_archE1200ELNS1_3gpuE4ELNS1_3repE0EEENS1_44radix_sort_block_sort_config_static_selectorELNS0_4arch9wavefront6targetE0EEEvSF_
    .private_segment_fixed_size: 0
    .sgpr_count:     0
    .sgpr_spill_count: 0
    .symbol:         _ZN7rocprim17ROCPRIM_400000_NS6detail17trampoline_kernelINS0_13kernel_configILj256ELj4ELj4294967295EEENS1_37radix_sort_block_sort_config_selectorIsNS0_10empty_typeEEEZNS1_21radix_sort_block_sortIS4_Lb1EPKsPsPS6_SC_NS0_19identity_decomposerEEE10hipError_tT1_T2_T3_T4_jRjT5_jjP12ihipStream_tbEUlT_E_NS1_11comp_targetILNS1_3genE10ELNS1_11target_archE1200ELNS1_3gpuE4ELNS1_3repE0EEENS1_44radix_sort_block_sort_config_static_selectorELNS0_4arch9wavefront6targetE0EEEvSF_.kd
    .uniform_work_group_size: 1
    .uses_dynamic_stack: false
    .vgpr_count:     0
    .vgpr_spill_count: 0
    .wavefront_size: 32
  - .args:
      - .offset:         0
        .size:           48
        .value_kind:     by_value
    .group_segment_fixed_size: 0
    .kernarg_segment_align: 8
    .kernarg_segment_size: 48
    .language:       OpenCL C
    .language_version:
      - 2
      - 0
    .max_flat_workgroup_size: 256
    .name:           _ZN7rocprim17ROCPRIM_400000_NS6detail17trampoline_kernelINS0_13kernel_configILj256ELj4ELj4294967295EEENS1_37radix_sort_block_sort_config_selectorIsNS0_10empty_typeEEEZNS1_21radix_sort_block_sortIS4_Lb1EPKsPsPS6_SC_NS0_19identity_decomposerEEE10hipError_tT1_T2_T3_T4_jRjT5_jjP12ihipStream_tbEUlT_E_NS1_11comp_targetILNS1_3genE9ELNS1_11target_archE1100ELNS1_3gpuE3ELNS1_3repE0EEENS1_44radix_sort_block_sort_config_static_selectorELNS0_4arch9wavefront6targetE0EEEvSF_
    .private_segment_fixed_size: 0
    .sgpr_count:     0
    .sgpr_spill_count: 0
    .symbol:         _ZN7rocprim17ROCPRIM_400000_NS6detail17trampoline_kernelINS0_13kernel_configILj256ELj4ELj4294967295EEENS1_37radix_sort_block_sort_config_selectorIsNS0_10empty_typeEEEZNS1_21radix_sort_block_sortIS4_Lb1EPKsPsPS6_SC_NS0_19identity_decomposerEEE10hipError_tT1_T2_T3_T4_jRjT5_jjP12ihipStream_tbEUlT_E_NS1_11comp_targetILNS1_3genE9ELNS1_11target_archE1100ELNS1_3gpuE3ELNS1_3repE0EEENS1_44radix_sort_block_sort_config_static_selectorELNS0_4arch9wavefront6targetE0EEEvSF_.kd
    .uniform_work_group_size: 1
    .uses_dynamic_stack: false
    .vgpr_count:     0
    .vgpr_spill_count: 0
    .wavefront_size: 32
  - .args:
      - .offset:         0
        .size:           48
        .value_kind:     by_value
    .group_segment_fixed_size: 0
    .kernarg_segment_align: 8
    .kernarg_segment_size: 48
    .language:       OpenCL C
    .language_version:
      - 2
      - 0
    .max_flat_workgroup_size: 256
    .name:           _ZN7rocprim17ROCPRIM_400000_NS6detail17trampoline_kernelINS0_13kernel_configILj256ELj4ELj4294967295EEENS1_37radix_sort_block_sort_config_selectorIsNS0_10empty_typeEEEZNS1_21radix_sort_block_sortIS4_Lb1EPKsPsPS6_SC_NS0_19identity_decomposerEEE10hipError_tT1_T2_T3_T4_jRjT5_jjP12ihipStream_tbEUlT_E_NS1_11comp_targetILNS1_3genE8ELNS1_11target_archE1030ELNS1_3gpuE2ELNS1_3repE0EEENS1_44radix_sort_block_sort_config_static_selectorELNS0_4arch9wavefront6targetE0EEEvSF_
    .private_segment_fixed_size: 0
    .sgpr_count:     0
    .sgpr_spill_count: 0
    .symbol:         _ZN7rocprim17ROCPRIM_400000_NS6detail17trampoline_kernelINS0_13kernel_configILj256ELj4ELj4294967295EEENS1_37radix_sort_block_sort_config_selectorIsNS0_10empty_typeEEEZNS1_21radix_sort_block_sortIS4_Lb1EPKsPsPS6_SC_NS0_19identity_decomposerEEE10hipError_tT1_T2_T3_T4_jRjT5_jjP12ihipStream_tbEUlT_E_NS1_11comp_targetILNS1_3genE8ELNS1_11target_archE1030ELNS1_3gpuE2ELNS1_3repE0EEENS1_44radix_sort_block_sort_config_static_selectorELNS0_4arch9wavefront6targetE0EEEvSF_.kd
    .uniform_work_group_size: 1
    .uses_dynamic_stack: false
    .vgpr_count:     0
    .vgpr_spill_count: 0
    .wavefront_size: 32
  - .args:           []
    .group_segment_fixed_size: 0
    .kernarg_segment_align: 4
    .kernarg_segment_size: 0
    .language:       OpenCL C
    .language_version:
      - 2
      - 0
    .max_flat_workgroup_size: 1024
    .name:           _ZN7rocprim17ROCPRIM_400000_NS6detail44device_merge_sort_compile_time_verifier_archINS1_11comp_targetILNS1_3genE0ELNS1_11target_archE4294967295ELNS1_3gpuE0ELNS1_3repE0EEES8_NS1_28merge_sort_block_sort_configILj256ELj4ELNS0_20block_sort_algorithmE0EEENS0_14default_configENS1_37merge_sort_block_sort_config_selectorIsNS0_10empty_typeEEENS1_38merge_sort_block_merge_config_selectorIsSE_EEEEvv
    .private_segment_fixed_size: 0
    .sgpr_count:     0
    .sgpr_spill_count: 0
    .symbol:         _ZN7rocprim17ROCPRIM_400000_NS6detail44device_merge_sort_compile_time_verifier_archINS1_11comp_targetILNS1_3genE0ELNS1_11target_archE4294967295ELNS1_3gpuE0ELNS1_3repE0EEES8_NS1_28merge_sort_block_sort_configILj256ELj4ELNS0_20block_sort_algorithmE0EEENS0_14default_configENS1_37merge_sort_block_sort_config_selectorIsNS0_10empty_typeEEENS1_38merge_sort_block_merge_config_selectorIsSE_EEEEvv.kd
    .uniform_work_group_size: 1
    .uses_dynamic_stack: false
    .vgpr_count:     0
    .vgpr_spill_count: 0
    .wavefront_size: 32
  - .args:           []
    .group_segment_fixed_size: 0
    .kernarg_segment_align: 4
    .kernarg_segment_size: 0
    .language:       OpenCL C
    .language_version:
      - 2
      - 0
    .max_flat_workgroup_size: 1024
    .name:           _ZN7rocprim17ROCPRIM_400000_NS6detail44device_merge_sort_compile_time_verifier_archINS1_11comp_targetILNS1_3genE5ELNS1_11target_archE942ELNS1_3gpuE9ELNS1_3repE0EEES8_NS1_28merge_sort_block_sort_configILj256ELj4ELNS0_20block_sort_algorithmE0EEENS0_14default_configENS1_37merge_sort_block_sort_config_selectorIsNS0_10empty_typeEEENS1_38merge_sort_block_merge_config_selectorIsSE_EEEEvv
    .private_segment_fixed_size: 0
    .sgpr_count:     0
    .sgpr_spill_count: 0
    .symbol:         _ZN7rocprim17ROCPRIM_400000_NS6detail44device_merge_sort_compile_time_verifier_archINS1_11comp_targetILNS1_3genE5ELNS1_11target_archE942ELNS1_3gpuE9ELNS1_3repE0EEES8_NS1_28merge_sort_block_sort_configILj256ELj4ELNS0_20block_sort_algorithmE0EEENS0_14default_configENS1_37merge_sort_block_sort_config_selectorIsNS0_10empty_typeEEENS1_38merge_sort_block_merge_config_selectorIsSE_EEEEvv.kd
    .uniform_work_group_size: 1
    .uses_dynamic_stack: false
    .vgpr_count:     0
    .vgpr_spill_count: 0
    .wavefront_size: 32
  - .args:           []
    .group_segment_fixed_size: 0
    .kernarg_segment_align: 4
    .kernarg_segment_size: 0
    .language:       OpenCL C
    .language_version:
      - 2
      - 0
    .max_flat_workgroup_size: 1024
    .name:           _ZN7rocprim17ROCPRIM_400000_NS6detail44device_merge_sort_compile_time_verifier_archINS1_11comp_targetILNS1_3genE4ELNS1_11target_archE910ELNS1_3gpuE8ELNS1_3repE0EEES8_NS1_28merge_sort_block_sort_configILj256ELj4ELNS0_20block_sort_algorithmE0EEENS0_14default_configENS1_37merge_sort_block_sort_config_selectorIsNS0_10empty_typeEEENS1_38merge_sort_block_merge_config_selectorIsSE_EEEEvv
    .private_segment_fixed_size: 0
    .sgpr_count:     0
    .sgpr_spill_count: 0
    .symbol:         _ZN7rocprim17ROCPRIM_400000_NS6detail44device_merge_sort_compile_time_verifier_archINS1_11comp_targetILNS1_3genE4ELNS1_11target_archE910ELNS1_3gpuE8ELNS1_3repE0EEES8_NS1_28merge_sort_block_sort_configILj256ELj4ELNS0_20block_sort_algorithmE0EEENS0_14default_configENS1_37merge_sort_block_sort_config_selectorIsNS0_10empty_typeEEENS1_38merge_sort_block_merge_config_selectorIsSE_EEEEvv.kd
    .uniform_work_group_size: 1
    .uses_dynamic_stack: false
    .vgpr_count:     0
    .vgpr_spill_count: 0
    .wavefront_size: 32
  - .args:           []
    .group_segment_fixed_size: 0
    .kernarg_segment_align: 4
    .kernarg_segment_size: 0
    .language:       OpenCL C
    .language_version:
      - 2
      - 0
    .max_flat_workgroup_size: 1024
    .name:           _ZN7rocprim17ROCPRIM_400000_NS6detail44device_merge_sort_compile_time_verifier_archINS1_11comp_targetILNS1_3genE3ELNS1_11target_archE908ELNS1_3gpuE7ELNS1_3repE0EEES8_NS1_28merge_sort_block_sort_configILj256ELj4ELNS0_20block_sort_algorithmE0EEENS0_14default_configENS1_37merge_sort_block_sort_config_selectorIsNS0_10empty_typeEEENS1_38merge_sort_block_merge_config_selectorIsSE_EEEEvv
    .private_segment_fixed_size: 0
    .sgpr_count:     0
    .sgpr_spill_count: 0
    .symbol:         _ZN7rocprim17ROCPRIM_400000_NS6detail44device_merge_sort_compile_time_verifier_archINS1_11comp_targetILNS1_3genE3ELNS1_11target_archE908ELNS1_3gpuE7ELNS1_3repE0EEES8_NS1_28merge_sort_block_sort_configILj256ELj4ELNS0_20block_sort_algorithmE0EEENS0_14default_configENS1_37merge_sort_block_sort_config_selectorIsNS0_10empty_typeEEENS1_38merge_sort_block_merge_config_selectorIsSE_EEEEvv.kd
    .uniform_work_group_size: 1
    .uses_dynamic_stack: false
    .vgpr_count:     0
    .vgpr_spill_count: 0
    .wavefront_size: 32
  - .args:           []
    .group_segment_fixed_size: 0
    .kernarg_segment_align: 4
    .kernarg_segment_size: 0
    .language:       OpenCL C
    .language_version:
      - 2
      - 0
    .max_flat_workgroup_size: 1024
    .name:           _ZN7rocprim17ROCPRIM_400000_NS6detail44device_merge_sort_compile_time_verifier_archINS1_11comp_targetILNS1_3genE2ELNS1_11target_archE906ELNS1_3gpuE6ELNS1_3repE0EEES8_NS1_28merge_sort_block_sort_configILj256ELj4ELNS0_20block_sort_algorithmE0EEENS0_14default_configENS1_37merge_sort_block_sort_config_selectorIsNS0_10empty_typeEEENS1_38merge_sort_block_merge_config_selectorIsSE_EEEEvv
    .private_segment_fixed_size: 0
    .sgpr_count:     0
    .sgpr_spill_count: 0
    .symbol:         _ZN7rocprim17ROCPRIM_400000_NS6detail44device_merge_sort_compile_time_verifier_archINS1_11comp_targetILNS1_3genE2ELNS1_11target_archE906ELNS1_3gpuE6ELNS1_3repE0EEES8_NS1_28merge_sort_block_sort_configILj256ELj4ELNS0_20block_sort_algorithmE0EEENS0_14default_configENS1_37merge_sort_block_sort_config_selectorIsNS0_10empty_typeEEENS1_38merge_sort_block_merge_config_selectorIsSE_EEEEvv.kd
    .uniform_work_group_size: 1
    .uses_dynamic_stack: false
    .vgpr_count:     0
    .vgpr_spill_count: 0
    .wavefront_size: 32
  - .args:           []
    .group_segment_fixed_size: 0
    .kernarg_segment_align: 4
    .kernarg_segment_size: 0
    .language:       OpenCL C
    .language_version:
      - 2
      - 0
    .max_flat_workgroup_size: 1024
    .name:           _ZN7rocprim17ROCPRIM_400000_NS6detail44device_merge_sort_compile_time_verifier_archINS1_11comp_targetILNS1_3genE10ELNS1_11target_archE1201ELNS1_3gpuE5ELNS1_3repE0EEES8_NS1_28merge_sort_block_sort_configILj256ELj4ELNS0_20block_sort_algorithmE0EEENS0_14default_configENS1_37merge_sort_block_sort_config_selectorIsNS0_10empty_typeEEENS1_38merge_sort_block_merge_config_selectorIsSE_EEEEvv
    .private_segment_fixed_size: 0
    .sgpr_count:     0
    .sgpr_spill_count: 0
    .symbol:         _ZN7rocprim17ROCPRIM_400000_NS6detail44device_merge_sort_compile_time_verifier_archINS1_11comp_targetILNS1_3genE10ELNS1_11target_archE1201ELNS1_3gpuE5ELNS1_3repE0EEES8_NS1_28merge_sort_block_sort_configILj256ELj4ELNS0_20block_sort_algorithmE0EEENS0_14default_configENS1_37merge_sort_block_sort_config_selectorIsNS0_10empty_typeEEENS1_38merge_sort_block_merge_config_selectorIsSE_EEEEvv.kd
    .uniform_work_group_size: 1
    .uses_dynamic_stack: false
    .vgpr_count:     0
    .vgpr_spill_count: 0
    .wavefront_size: 32
  - .args:           []
    .group_segment_fixed_size: 0
    .kernarg_segment_align: 4
    .kernarg_segment_size: 0
    .language:       OpenCL C
    .language_version:
      - 2
      - 0
    .max_flat_workgroup_size: 1024
    .name:           _ZN7rocprim17ROCPRIM_400000_NS6detail44device_merge_sort_compile_time_verifier_archINS1_11comp_targetILNS1_3genE10ELNS1_11target_archE1200ELNS1_3gpuE4ELNS1_3repE0EEENS3_ILS4_10ELS5_1201ELS6_5ELS7_0EEENS1_28merge_sort_block_sort_configILj256ELj4ELNS0_20block_sort_algorithmE0EEENS0_14default_configENS1_37merge_sort_block_sort_config_selectorIsNS0_10empty_typeEEENS1_38merge_sort_block_merge_config_selectorIsSF_EEEEvv
    .private_segment_fixed_size: 0
    .sgpr_count:     0
    .sgpr_spill_count: 0
    .symbol:         _ZN7rocprim17ROCPRIM_400000_NS6detail44device_merge_sort_compile_time_verifier_archINS1_11comp_targetILNS1_3genE10ELNS1_11target_archE1200ELNS1_3gpuE4ELNS1_3repE0EEENS3_ILS4_10ELS5_1201ELS6_5ELS7_0EEENS1_28merge_sort_block_sort_configILj256ELj4ELNS0_20block_sort_algorithmE0EEENS0_14default_configENS1_37merge_sort_block_sort_config_selectorIsNS0_10empty_typeEEENS1_38merge_sort_block_merge_config_selectorIsSF_EEEEvv.kd
    .uniform_work_group_size: 1
    .uses_dynamic_stack: false
    .vgpr_count:     0
    .vgpr_spill_count: 0
    .wavefront_size: 32
  - .args:           []
    .group_segment_fixed_size: 0
    .kernarg_segment_align: 4
    .kernarg_segment_size: 0
    .language:       OpenCL C
    .language_version:
      - 2
      - 0
    .max_flat_workgroup_size: 1024
    .name:           _ZN7rocprim17ROCPRIM_400000_NS6detail44device_merge_sort_compile_time_verifier_archINS1_11comp_targetILNS1_3genE9ELNS1_11target_archE1100ELNS1_3gpuE3ELNS1_3repE0EEES8_NS1_28merge_sort_block_sort_configILj256ELj4ELNS0_20block_sort_algorithmE0EEENS0_14default_configENS1_37merge_sort_block_sort_config_selectorIsNS0_10empty_typeEEENS1_38merge_sort_block_merge_config_selectorIsSE_EEEEvv
    .private_segment_fixed_size: 0
    .sgpr_count:     0
    .sgpr_spill_count: 0
    .symbol:         _ZN7rocprim17ROCPRIM_400000_NS6detail44device_merge_sort_compile_time_verifier_archINS1_11comp_targetILNS1_3genE9ELNS1_11target_archE1100ELNS1_3gpuE3ELNS1_3repE0EEES8_NS1_28merge_sort_block_sort_configILj256ELj4ELNS0_20block_sort_algorithmE0EEENS0_14default_configENS1_37merge_sort_block_sort_config_selectorIsNS0_10empty_typeEEENS1_38merge_sort_block_merge_config_selectorIsSE_EEEEvv.kd
    .uniform_work_group_size: 1
    .uses_dynamic_stack: false
    .vgpr_count:     0
    .vgpr_spill_count: 0
    .wavefront_size: 32
  - .args:           []
    .group_segment_fixed_size: 0
    .kernarg_segment_align: 4
    .kernarg_segment_size: 0
    .language:       OpenCL C
    .language_version:
      - 2
      - 0
    .max_flat_workgroup_size: 1024
    .name:           _ZN7rocprim17ROCPRIM_400000_NS6detail44device_merge_sort_compile_time_verifier_archINS1_11comp_targetILNS1_3genE8ELNS1_11target_archE1030ELNS1_3gpuE2ELNS1_3repE0EEES8_NS1_28merge_sort_block_sort_configILj256ELj4ELNS0_20block_sort_algorithmE0EEENS0_14default_configENS1_37merge_sort_block_sort_config_selectorIsNS0_10empty_typeEEENS1_38merge_sort_block_merge_config_selectorIsSE_EEEEvv
    .private_segment_fixed_size: 0
    .sgpr_count:     0
    .sgpr_spill_count: 0
    .symbol:         _ZN7rocprim17ROCPRIM_400000_NS6detail44device_merge_sort_compile_time_verifier_archINS1_11comp_targetILNS1_3genE8ELNS1_11target_archE1030ELNS1_3gpuE2ELNS1_3repE0EEES8_NS1_28merge_sort_block_sort_configILj256ELj4ELNS0_20block_sort_algorithmE0EEENS0_14default_configENS1_37merge_sort_block_sort_config_selectorIsNS0_10empty_typeEEENS1_38merge_sort_block_merge_config_selectorIsSE_EEEEvv.kd
    .uniform_work_group_size: 1
    .uses_dynamic_stack: false
    .vgpr_count:     0
    .vgpr_spill_count: 0
    .wavefront_size: 32
  - .args:
      - .offset:         0
        .size:           40
        .value_kind:     by_value
    .group_segment_fixed_size: 0
    .kernarg_segment_align: 8
    .kernarg_segment_size: 40
    .language:       OpenCL C
    .language_version:
      - 2
      - 0
    .max_flat_workgroup_size: 128
    .name:           _ZN7rocprim17ROCPRIM_400000_NS6detail17trampoline_kernelINS0_14default_configENS1_38merge_sort_block_merge_config_selectorIsNS0_10empty_typeEEEZZNS1_27merge_sort_block_merge_implIS3_PsPS5_jNS1_19radix_merge_compareILb1ELb0EsNS0_19identity_decomposerEEEEE10hipError_tT0_T1_T2_jT3_P12ihipStream_tbPNSt15iterator_traitsISE_E10value_typeEPNSK_ISF_E10value_typeEPSG_NS1_7vsmem_tEENKUlT_SE_SF_SG_E_clIS8_S8_S9_S9_EESD_ST_SE_SF_SG_EUlST_E_NS1_11comp_targetILNS1_3genE0ELNS1_11target_archE4294967295ELNS1_3gpuE0ELNS1_3repE0EEENS1_48merge_mergepath_partition_config_static_selectorELNS0_4arch9wavefront6targetE0EEEvSF_
    .private_segment_fixed_size: 0
    .sgpr_count:     8
    .sgpr_spill_count: 0
    .symbol:         _ZN7rocprim17ROCPRIM_400000_NS6detail17trampoline_kernelINS0_14default_configENS1_38merge_sort_block_merge_config_selectorIsNS0_10empty_typeEEEZZNS1_27merge_sort_block_merge_implIS3_PsPS5_jNS1_19radix_merge_compareILb1ELb0EsNS0_19identity_decomposerEEEEE10hipError_tT0_T1_T2_jT3_P12ihipStream_tbPNSt15iterator_traitsISE_E10value_typeEPNSK_ISF_E10value_typeEPSG_NS1_7vsmem_tEENKUlT_SE_SF_SG_E_clIS8_S8_S9_S9_EESD_ST_SE_SF_SG_EUlST_E_NS1_11comp_targetILNS1_3genE0ELNS1_11target_archE4294967295ELNS1_3gpuE0ELNS1_3repE0EEENS1_48merge_mergepath_partition_config_static_selectorELNS0_4arch9wavefront6targetE0EEEvSF_.kd
    .uniform_work_group_size: 1
    .uses_dynamic_stack: false
    .vgpr_count:     17
    .vgpr_spill_count: 0
    .wavefront_size: 32
  - .args:
      - .offset:         0
        .size:           40
        .value_kind:     by_value
    .group_segment_fixed_size: 0
    .kernarg_segment_align: 8
    .kernarg_segment_size: 40
    .language:       OpenCL C
    .language_version:
      - 2
      - 0
    .max_flat_workgroup_size: 128
    .name:           _ZN7rocprim17ROCPRIM_400000_NS6detail17trampoline_kernelINS0_14default_configENS1_38merge_sort_block_merge_config_selectorIsNS0_10empty_typeEEEZZNS1_27merge_sort_block_merge_implIS3_PsPS5_jNS1_19radix_merge_compareILb1ELb0EsNS0_19identity_decomposerEEEEE10hipError_tT0_T1_T2_jT3_P12ihipStream_tbPNSt15iterator_traitsISE_E10value_typeEPNSK_ISF_E10value_typeEPSG_NS1_7vsmem_tEENKUlT_SE_SF_SG_E_clIS8_S8_S9_S9_EESD_ST_SE_SF_SG_EUlST_E_NS1_11comp_targetILNS1_3genE10ELNS1_11target_archE1201ELNS1_3gpuE5ELNS1_3repE0EEENS1_48merge_mergepath_partition_config_static_selectorELNS0_4arch9wavefront6targetE0EEEvSF_
    .private_segment_fixed_size: 0
    .sgpr_count:     0
    .sgpr_spill_count: 0
    .symbol:         _ZN7rocprim17ROCPRIM_400000_NS6detail17trampoline_kernelINS0_14default_configENS1_38merge_sort_block_merge_config_selectorIsNS0_10empty_typeEEEZZNS1_27merge_sort_block_merge_implIS3_PsPS5_jNS1_19radix_merge_compareILb1ELb0EsNS0_19identity_decomposerEEEEE10hipError_tT0_T1_T2_jT3_P12ihipStream_tbPNSt15iterator_traitsISE_E10value_typeEPNSK_ISF_E10value_typeEPSG_NS1_7vsmem_tEENKUlT_SE_SF_SG_E_clIS8_S8_S9_S9_EESD_ST_SE_SF_SG_EUlST_E_NS1_11comp_targetILNS1_3genE10ELNS1_11target_archE1201ELNS1_3gpuE5ELNS1_3repE0EEENS1_48merge_mergepath_partition_config_static_selectorELNS0_4arch9wavefront6targetE0EEEvSF_.kd
    .uniform_work_group_size: 1
    .uses_dynamic_stack: false
    .vgpr_count:     0
    .vgpr_spill_count: 0
    .wavefront_size: 32
  - .args:
      - .offset:         0
        .size:           40
        .value_kind:     by_value
    .group_segment_fixed_size: 0
    .kernarg_segment_align: 8
    .kernarg_segment_size: 40
    .language:       OpenCL C
    .language_version:
      - 2
      - 0
    .max_flat_workgroup_size: 128
    .name:           _ZN7rocprim17ROCPRIM_400000_NS6detail17trampoline_kernelINS0_14default_configENS1_38merge_sort_block_merge_config_selectorIsNS0_10empty_typeEEEZZNS1_27merge_sort_block_merge_implIS3_PsPS5_jNS1_19radix_merge_compareILb1ELb0EsNS0_19identity_decomposerEEEEE10hipError_tT0_T1_T2_jT3_P12ihipStream_tbPNSt15iterator_traitsISE_E10value_typeEPNSK_ISF_E10value_typeEPSG_NS1_7vsmem_tEENKUlT_SE_SF_SG_E_clIS8_S8_S9_S9_EESD_ST_SE_SF_SG_EUlST_E_NS1_11comp_targetILNS1_3genE5ELNS1_11target_archE942ELNS1_3gpuE9ELNS1_3repE0EEENS1_48merge_mergepath_partition_config_static_selectorELNS0_4arch9wavefront6targetE0EEEvSF_
    .private_segment_fixed_size: 0
    .sgpr_count:     0
    .sgpr_spill_count: 0
    .symbol:         _ZN7rocprim17ROCPRIM_400000_NS6detail17trampoline_kernelINS0_14default_configENS1_38merge_sort_block_merge_config_selectorIsNS0_10empty_typeEEEZZNS1_27merge_sort_block_merge_implIS3_PsPS5_jNS1_19radix_merge_compareILb1ELb0EsNS0_19identity_decomposerEEEEE10hipError_tT0_T1_T2_jT3_P12ihipStream_tbPNSt15iterator_traitsISE_E10value_typeEPNSK_ISF_E10value_typeEPSG_NS1_7vsmem_tEENKUlT_SE_SF_SG_E_clIS8_S8_S9_S9_EESD_ST_SE_SF_SG_EUlST_E_NS1_11comp_targetILNS1_3genE5ELNS1_11target_archE942ELNS1_3gpuE9ELNS1_3repE0EEENS1_48merge_mergepath_partition_config_static_selectorELNS0_4arch9wavefront6targetE0EEEvSF_.kd
    .uniform_work_group_size: 1
    .uses_dynamic_stack: false
    .vgpr_count:     0
    .vgpr_spill_count: 0
    .wavefront_size: 32
  - .args:
      - .offset:         0
        .size:           40
        .value_kind:     by_value
    .group_segment_fixed_size: 0
    .kernarg_segment_align: 8
    .kernarg_segment_size: 40
    .language:       OpenCL C
    .language_version:
      - 2
      - 0
    .max_flat_workgroup_size: 128
    .name:           _ZN7rocprim17ROCPRIM_400000_NS6detail17trampoline_kernelINS0_14default_configENS1_38merge_sort_block_merge_config_selectorIsNS0_10empty_typeEEEZZNS1_27merge_sort_block_merge_implIS3_PsPS5_jNS1_19radix_merge_compareILb1ELb0EsNS0_19identity_decomposerEEEEE10hipError_tT0_T1_T2_jT3_P12ihipStream_tbPNSt15iterator_traitsISE_E10value_typeEPNSK_ISF_E10value_typeEPSG_NS1_7vsmem_tEENKUlT_SE_SF_SG_E_clIS8_S8_S9_S9_EESD_ST_SE_SF_SG_EUlST_E_NS1_11comp_targetILNS1_3genE4ELNS1_11target_archE910ELNS1_3gpuE8ELNS1_3repE0EEENS1_48merge_mergepath_partition_config_static_selectorELNS0_4arch9wavefront6targetE0EEEvSF_
    .private_segment_fixed_size: 0
    .sgpr_count:     0
    .sgpr_spill_count: 0
    .symbol:         _ZN7rocprim17ROCPRIM_400000_NS6detail17trampoline_kernelINS0_14default_configENS1_38merge_sort_block_merge_config_selectorIsNS0_10empty_typeEEEZZNS1_27merge_sort_block_merge_implIS3_PsPS5_jNS1_19radix_merge_compareILb1ELb0EsNS0_19identity_decomposerEEEEE10hipError_tT0_T1_T2_jT3_P12ihipStream_tbPNSt15iterator_traitsISE_E10value_typeEPNSK_ISF_E10value_typeEPSG_NS1_7vsmem_tEENKUlT_SE_SF_SG_E_clIS8_S8_S9_S9_EESD_ST_SE_SF_SG_EUlST_E_NS1_11comp_targetILNS1_3genE4ELNS1_11target_archE910ELNS1_3gpuE8ELNS1_3repE0EEENS1_48merge_mergepath_partition_config_static_selectorELNS0_4arch9wavefront6targetE0EEEvSF_.kd
    .uniform_work_group_size: 1
    .uses_dynamic_stack: false
    .vgpr_count:     0
    .vgpr_spill_count: 0
    .wavefront_size: 32
  - .args:
      - .offset:         0
        .size:           40
        .value_kind:     by_value
    .group_segment_fixed_size: 0
    .kernarg_segment_align: 8
    .kernarg_segment_size: 40
    .language:       OpenCL C
    .language_version:
      - 2
      - 0
    .max_flat_workgroup_size: 128
    .name:           _ZN7rocprim17ROCPRIM_400000_NS6detail17trampoline_kernelINS0_14default_configENS1_38merge_sort_block_merge_config_selectorIsNS0_10empty_typeEEEZZNS1_27merge_sort_block_merge_implIS3_PsPS5_jNS1_19radix_merge_compareILb1ELb0EsNS0_19identity_decomposerEEEEE10hipError_tT0_T1_T2_jT3_P12ihipStream_tbPNSt15iterator_traitsISE_E10value_typeEPNSK_ISF_E10value_typeEPSG_NS1_7vsmem_tEENKUlT_SE_SF_SG_E_clIS8_S8_S9_S9_EESD_ST_SE_SF_SG_EUlST_E_NS1_11comp_targetILNS1_3genE3ELNS1_11target_archE908ELNS1_3gpuE7ELNS1_3repE0EEENS1_48merge_mergepath_partition_config_static_selectorELNS0_4arch9wavefront6targetE0EEEvSF_
    .private_segment_fixed_size: 0
    .sgpr_count:     0
    .sgpr_spill_count: 0
    .symbol:         _ZN7rocprim17ROCPRIM_400000_NS6detail17trampoline_kernelINS0_14default_configENS1_38merge_sort_block_merge_config_selectorIsNS0_10empty_typeEEEZZNS1_27merge_sort_block_merge_implIS3_PsPS5_jNS1_19radix_merge_compareILb1ELb0EsNS0_19identity_decomposerEEEEE10hipError_tT0_T1_T2_jT3_P12ihipStream_tbPNSt15iterator_traitsISE_E10value_typeEPNSK_ISF_E10value_typeEPSG_NS1_7vsmem_tEENKUlT_SE_SF_SG_E_clIS8_S8_S9_S9_EESD_ST_SE_SF_SG_EUlST_E_NS1_11comp_targetILNS1_3genE3ELNS1_11target_archE908ELNS1_3gpuE7ELNS1_3repE0EEENS1_48merge_mergepath_partition_config_static_selectorELNS0_4arch9wavefront6targetE0EEEvSF_.kd
    .uniform_work_group_size: 1
    .uses_dynamic_stack: false
    .vgpr_count:     0
    .vgpr_spill_count: 0
    .wavefront_size: 32
  - .args:
      - .offset:         0
        .size:           40
        .value_kind:     by_value
    .group_segment_fixed_size: 0
    .kernarg_segment_align: 8
    .kernarg_segment_size: 40
    .language:       OpenCL C
    .language_version:
      - 2
      - 0
    .max_flat_workgroup_size: 128
    .name:           _ZN7rocprim17ROCPRIM_400000_NS6detail17trampoline_kernelINS0_14default_configENS1_38merge_sort_block_merge_config_selectorIsNS0_10empty_typeEEEZZNS1_27merge_sort_block_merge_implIS3_PsPS5_jNS1_19radix_merge_compareILb1ELb0EsNS0_19identity_decomposerEEEEE10hipError_tT0_T1_T2_jT3_P12ihipStream_tbPNSt15iterator_traitsISE_E10value_typeEPNSK_ISF_E10value_typeEPSG_NS1_7vsmem_tEENKUlT_SE_SF_SG_E_clIS8_S8_S9_S9_EESD_ST_SE_SF_SG_EUlST_E_NS1_11comp_targetILNS1_3genE2ELNS1_11target_archE906ELNS1_3gpuE6ELNS1_3repE0EEENS1_48merge_mergepath_partition_config_static_selectorELNS0_4arch9wavefront6targetE0EEEvSF_
    .private_segment_fixed_size: 0
    .sgpr_count:     0
    .sgpr_spill_count: 0
    .symbol:         _ZN7rocprim17ROCPRIM_400000_NS6detail17trampoline_kernelINS0_14default_configENS1_38merge_sort_block_merge_config_selectorIsNS0_10empty_typeEEEZZNS1_27merge_sort_block_merge_implIS3_PsPS5_jNS1_19radix_merge_compareILb1ELb0EsNS0_19identity_decomposerEEEEE10hipError_tT0_T1_T2_jT3_P12ihipStream_tbPNSt15iterator_traitsISE_E10value_typeEPNSK_ISF_E10value_typeEPSG_NS1_7vsmem_tEENKUlT_SE_SF_SG_E_clIS8_S8_S9_S9_EESD_ST_SE_SF_SG_EUlST_E_NS1_11comp_targetILNS1_3genE2ELNS1_11target_archE906ELNS1_3gpuE6ELNS1_3repE0EEENS1_48merge_mergepath_partition_config_static_selectorELNS0_4arch9wavefront6targetE0EEEvSF_.kd
    .uniform_work_group_size: 1
    .uses_dynamic_stack: false
    .vgpr_count:     0
    .vgpr_spill_count: 0
    .wavefront_size: 32
  - .args:
      - .offset:         0
        .size:           40
        .value_kind:     by_value
    .group_segment_fixed_size: 0
    .kernarg_segment_align: 8
    .kernarg_segment_size: 40
    .language:       OpenCL C
    .language_version:
      - 2
      - 0
    .max_flat_workgroup_size: 128
    .name:           _ZN7rocprim17ROCPRIM_400000_NS6detail17trampoline_kernelINS0_14default_configENS1_38merge_sort_block_merge_config_selectorIsNS0_10empty_typeEEEZZNS1_27merge_sort_block_merge_implIS3_PsPS5_jNS1_19radix_merge_compareILb1ELb0EsNS0_19identity_decomposerEEEEE10hipError_tT0_T1_T2_jT3_P12ihipStream_tbPNSt15iterator_traitsISE_E10value_typeEPNSK_ISF_E10value_typeEPSG_NS1_7vsmem_tEENKUlT_SE_SF_SG_E_clIS8_S8_S9_S9_EESD_ST_SE_SF_SG_EUlST_E_NS1_11comp_targetILNS1_3genE9ELNS1_11target_archE1100ELNS1_3gpuE3ELNS1_3repE0EEENS1_48merge_mergepath_partition_config_static_selectorELNS0_4arch9wavefront6targetE0EEEvSF_
    .private_segment_fixed_size: 0
    .sgpr_count:     0
    .sgpr_spill_count: 0
    .symbol:         _ZN7rocprim17ROCPRIM_400000_NS6detail17trampoline_kernelINS0_14default_configENS1_38merge_sort_block_merge_config_selectorIsNS0_10empty_typeEEEZZNS1_27merge_sort_block_merge_implIS3_PsPS5_jNS1_19radix_merge_compareILb1ELb0EsNS0_19identity_decomposerEEEEE10hipError_tT0_T1_T2_jT3_P12ihipStream_tbPNSt15iterator_traitsISE_E10value_typeEPNSK_ISF_E10value_typeEPSG_NS1_7vsmem_tEENKUlT_SE_SF_SG_E_clIS8_S8_S9_S9_EESD_ST_SE_SF_SG_EUlST_E_NS1_11comp_targetILNS1_3genE9ELNS1_11target_archE1100ELNS1_3gpuE3ELNS1_3repE0EEENS1_48merge_mergepath_partition_config_static_selectorELNS0_4arch9wavefront6targetE0EEEvSF_.kd
    .uniform_work_group_size: 1
    .uses_dynamic_stack: false
    .vgpr_count:     0
    .vgpr_spill_count: 0
    .wavefront_size: 32
  - .args:
      - .offset:         0
        .size:           40
        .value_kind:     by_value
    .group_segment_fixed_size: 0
    .kernarg_segment_align: 8
    .kernarg_segment_size: 40
    .language:       OpenCL C
    .language_version:
      - 2
      - 0
    .max_flat_workgroup_size: 128
    .name:           _ZN7rocprim17ROCPRIM_400000_NS6detail17trampoline_kernelINS0_14default_configENS1_38merge_sort_block_merge_config_selectorIsNS0_10empty_typeEEEZZNS1_27merge_sort_block_merge_implIS3_PsPS5_jNS1_19radix_merge_compareILb1ELb0EsNS0_19identity_decomposerEEEEE10hipError_tT0_T1_T2_jT3_P12ihipStream_tbPNSt15iterator_traitsISE_E10value_typeEPNSK_ISF_E10value_typeEPSG_NS1_7vsmem_tEENKUlT_SE_SF_SG_E_clIS8_S8_S9_S9_EESD_ST_SE_SF_SG_EUlST_E_NS1_11comp_targetILNS1_3genE8ELNS1_11target_archE1030ELNS1_3gpuE2ELNS1_3repE0EEENS1_48merge_mergepath_partition_config_static_selectorELNS0_4arch9wavefront6targetE0EEEvSF_
    .private_segment_fixed_size: 0
    .sgpr_count:     0
    .sgpr_spill_count: 0
    .symbol:         _ZN7rocprim17ROCPRIM_400000_NS6detail17trampoline_kernelINS0_14default_configENS1_38merge_sort_block_merge_config_selectorIsNS0_10empty_typeEEEZZNS1_27merge_sort_block_merge_implIS3_PsPS5_jNS1_19radix_merge_compareILb1ELb0EsNS0_19identity_decomposerEEEEE10hipError_tT0_T1_T2_jT3_P12ihipStream_tbPNSt15iterator_traitsISE_E10value_typeEPNSK_ISF_E10value_typeEPSG_NS1_7vsmem_tEENKUlT_SE_SF_SG_E_clIS8_S8_S9_S9_EESD_ST_SE_SF_SG_EUlST_E_NS1_11comp_targetILNS1_3genE8ELNS1_11target_archE1030ELNS1_3gpuE2ELNS1_3repE0EEENS1_48merge_mergepath_partition_config_static_selectorELNS0_4arch9wavefront6targetE0EEEvSF_.kd
    .uniform_work_group_size: 1
    .uses_dynamic_stack: false
    .vgpr_count:     0
    .vgpr_spill_count: 0
    .wavefront_size: 32
  - .args:
      - .offset:         0
        .size:           64
        .value_kind:     by_value
      - .offset:         64
        .size:           4
        .value_kind:     hidden_block_count_x
      - .offset:         68
        .size:           4
        .value_kind:     hidden_block_count_y
      - .offset:         72
        .size:           4
        .value_kind:     hidden_block_count_z
      - .offset:         76
        .size:           2
        .value_kind:     hidden_group_size_x
      - .offset:         78
        .size:           2
        .value_kind:     hidden_group_size_y
      - .offset:         80
        .size:           2
        .value_kind:     hidden_group_size_z
      - .offset:         82
        .size:           2
        .value_kind:     hidden_remainder_x
      - .offset:         84
        .size:           2
        .value_kind:     hidden_remainder_y
      - .offset:         86
        .size:           2
        .value_kind:     hidden_remainder_z
      - .offset:         104
        .size:           8
        .value_kind:     hidden_global_offset_x
      - .offset:         112
        .size:           8
        .value_kind:     hidden_global_offset_y
      - .offset:         120
        .size:           8
        .value_kind:     hidden_global_offset_z
      - .offset:         128
        .size:           2
        .value_kind:     hidden_grid_dims
    .group_segment_fixed_size: 2112
    .kernarg_segment_align: 8
    .kernarg_segment_size: 320
    .language:       OpenCL C
    .language_version:
      - 2
      - 0
    .max_flat_workgroup_size: 128
    .name:           _ZN7rocprim17ROCPRIM_400000_NS6detail17trampoline_kernelINS0_14default_configENS1_38merge_sort_block_merge_config_selectorIsNS0_10empty_typeEEEZZNS1_27merge_sort_block_merge_implIS3_PsPS5_jNS1_19radix_merge_compareILb1ELb0EsNS0_19identity_decomposerEEEEE10hipError_tT0_T1_T2_jT3_P12ihipStream_tbPNSt15iterator_traitsISE_E10value_typeEPNSK_ISF_E10value_typeEPSG_NS1_7vsmem_tEENKUlT_SE_SF_SG_E_clIS8_S8_S9_S9_EESD_ST_SE_SF_SG_EUlST_E0_NS1_11comp_targetILNS1_3genE0ELNS1_11target_archE4294967295ELNS1_3gpuE0ELNS1_3repE0EEENS1_38merge_mergepath_config_static_selectorELNS0_4arch9wavefront6targetE0EEEvSF_
    .private_segment_fixed_size: 0
    .sgpr_count:     25
    .sgpr_spill_count: 0
    .symbol:         _ZN7rocprim17ROCPRIM_400000_NS6detail17trampoline_kernelINS0_14default_configENS1_38merge_sort_block_merge_config_selectorIsNS0_10empty_typeEEEZZNS1_27merge_sort_block_merge_implIS3_PsPS5_jNS1_19radix_merge_compareILb1ELb0EsNS0_19identity_decomposerEEEEE10hipError_tT0_T1_T2_jT3_P12ihipStream_tbPNSt15iterator_traitsISE_E10value_typeEPNSK_ISF_E10value_typeEPSG_NS1_7vsmem_tEENKUlT_SE_SF_SG_E_clIS8_S8_S9_S9_EESD_ST_SE_SF_SG_EUlST_E0_NS1_11comp_targetILNS1_3genE0ELNS1_11target_archE4294967295ELNS1_3gpuE0ELNS1_3repE0EEENS1_38merge_mergepath_config_static_selectorELNS0_4arch9wavefront6targetE0EEEvSF_.kd
    .uniform_work_group_size: 1
    .uses_dynamic_stack: false
    .vgpr_count:     27
    .vgpr_spill_count: 0
    .wavefront_size: 32
  - .args:
      - .offset:         0
        .size:           64
        .value_kind:     by_value
    .group_segment_fixed_size: 0
    .kernarg_segment_align: 8
    .kernarg_segment_size: 64
    .language:       OpenCL C
    .language_version:
      - 2
      - 0
    .max_flat_workgroup_size: 128
    .name:           _ZN7rocprim17ROCPRIM_400000_NS6detail17trampoline_kernelINS0_14default_configENS1_38merge_sort_block_merge_config_selectorIsNS0_10empty_typeEEEZZNS1_27merge_sort_block_merge_implIS3_PsPS5_jNS1_19radix_merge_compareILb1ELb0EsNS0_19identity_decomposerEEEEE10hipError_tT0_T1_T2_jT3_P12ihipStream_tbPNSt15iterator_traitsISE_E10value_typeEPNSK_ISF_E10value_typeEPSG_NS1_7vsmem_tEENKUlT_SE_SF_SG_E_clIS8_S8_S9_S9_EESD_ST_SE_SF_SG_EUlST_E0_NS1_11comp_targetILNS1_3genE10ELNS1_11target_archE1201ELNS1_3gpuE5ELNS1_3repE0EEENS1_38merge_mergepath_config_static_selectorELNS0_4arch9wavefront6targetE0EEEvSF_
    .private_segment_fixed_size: 0
    .sgpr_count:     0
    .sgpr_spill_count: 0
    .symbol:         _ZN7rocprim17ROCPRIM_400000_NS6detail17trampoline_kernelINS0_14default_configENS1_38merge_sort_block_merge_config_selectorIsNS0_10empty_typeEEEZZNS1_27merge_sort_block_merge_implIS3_PsPS5_jNS1_19radix_merge_compareILb1ELb0EsNS0_19identity_decomposerEEEEE10hipError_tT0_T1_T2_jT3_P12ihipStream_tbPNSt15iterator_traitsISE_E10value_typeEPNSK_ISF_E10value_typeEPSG_NS1_7vsmem_tEENKUlT_SE_SF_SG_E_clIS8_S8_S9_S9_EESD_ST_SE_SF_SG_EUlST_E0_NS1_11comp_targetILNS1_3genE10ELNS1_11target_archE1201ELNS1_3gpuE5ELNS1_3repE0EEENS1_38merge_mergepath_config_static_selectorELNS0_4arch9wavefront6targetE0EEEvSF_.kd
    .uniform_work_group_size: 1
    .uses_dynamic_stack: false
    .vgpr_count:     0
    .vgpr_spill_count: 0
    .wavefront_size: 32
  - .args:
      - .offset:         0
        .size:           64
        .value_kind:     by_value
    .group_segment_fixed_size: 0
    .kernarg_segment_align: 8
    .kernarg_segment_size: 64
    .language:       OpenCL C
    .language_version:
      - 2
      - 0
    .max_flat_workgroup_size: 128
    .name:           _ZN7rocprim17ROCPRIM_400000_NS6detail17trampoline_kernelINS0_14default_configENS1_38merge_sort_block_merge_config_selectorIsNS0_10empty_typeEEEZZNS1_27merge_sort_block_merge_implIS3_PsPS5_jNS1_19radix_merge_compareILb1ELb0EsNS0_19identity_decomposerEEEEE10hipError_tT0_T1_T2_jT3_P12ihipStream_tbPNSt15iterator_traitsISE_E10value_typeEPNSK_ISF_E10value_typeEPSG_NS1_7vsmem_tEENKUlT_SE_SF_SG_E_clIS8_S8_S9_S9_EESD_ST_SE_SF_SG_EUlST_E0_NS1_11comp_targetILNS1_3genE5ELNS1_11target_archE942ELNS1_3gpuE9ELNS1_3repE0EEENS1_38merge_mergepath_config_static_selectorELNS0_4arch9wavefront6targetE0EEEvSF_
    .private_segment_fixed_size: 0
    .sgpr_count:     0
    .sgpr_spill_count: 0
    .symbol:         _ZN7rocprim17ROCPRIM_400000_NS6detail17trampoline_kernelINS0_14default_configENS1_38merge_sort_block_merge_config_selectorIsNS0_10empty_typeEEEZZNS1_27merge_sort_block_merge_implIS3_PsPS5_jNS1_19radix_merge_compareILb1ELb0EsNS0_19identity_decomposerEEEEE10hipError_tT0_T1_T2_jT3_P12ihipStream_tbPNSt15iterator_traitsISE_E10value_typeEPNSK_ISF_E10value_typeEPSG_NS1_7vsmem_tEENKUlT_SE_SF_SG_E_clIS8_S8_S9_S9_EESD_ST_SE_SF_SG_EUlST_E0_NS1_11comp_targetILNS1_3genE5ELNS1_11target_archE942ELNS1_3gpuE9ELNS1_3repE0EEENS1_38merge_mergepath_config_static_selectorELNS0_4arch9wavefront6targetE0EEEvSF_.kd
    .uniform_work_group_size: 1
    .uses_dynamic_stack: false
    .vgpr_count:     0
    .vgpr_spill_count: 0
    .wavefront_size: 32
  - .args:
      - .offset:         0
        .size:           64
        .value_kind:     by_value
    .group_segment_fixed_size: 0
    .kernarg_segment_align: 8
    .kernarg_segment_size: 64
    .language:       OpenCL C
    .language_version:
      - 2
      - 0
    .max_flat_workgroup_size: 128
    .name:           _ZN7rocprim17ROCPRIM_400000_NS6detail17trampoline_kernelINS0_14default_configENS1_38merge_sort_block_merge_config_selectorIsNS0_10empty_typeEEEZZNS1_27merge_sort_block_merge_implIS3_PsPS5_jNS1_19radix_merge_compareILb1ELb0EsNS0_19identity_decomposerEEEEE10hipError_tT0_T1_T2_jT3_P12ihipStream_tbPNSt15iterator_traitsISE_E10value_typeEPNSK_ISF_E10value_typeEPSG_NS1_7vsmem_tEENKUlT_SE_SF_SG_E_clIS8_S8_S9_S9_EESD_ST_SE_SF_SG_EUlST_E0_NS1_11comp_targetILNS1_3genE4ELNS1_11target_archE910ELNS1_3gpuE8ELNS1_3repE0EEENS1_38merge_mergepath_config_static_selectorELNS0_4arch9wavefront6targetE0EEEvSF_
    .private_segment_fixed_size: 0
    .sgpr_count:     0
    .sgpr_spill_count: 0
    .symbol:         _ZN7rocprim17ROCPRIM_400000_NS6detail17trampoline_kernelINS0_14default_configENS1_38merge_sort_block_merge_config_selectorIsNS0_10empty_typeEEEZZNS1_27merge_sort_block_merge_implIS3_PsPS5_jNS1_19radix_merge_compareILb1ELb0EsNS0_19identity_decomposerEEEEE10hipError_tT0_T1_T2_jT3_P12ihipStream_tbPNSt15iterator_traitsISE_E10value_typeEPNSK_ISF_E10value_typeEPSG_NS1_7vsmem_tEENKUlT_SE_SF_SG_E_clIS8_S8_S9_S9_EESD_ST_SE_SF_SG_EUlST_E0_NS1_11comp_targetILNS1_3genE4ELNS1_11target_archE910ELNS1_3gpuE8ELNS1_3repE0EEENS1_38merge_mergepath_config_static_selectorELNS0_4arch9wavefront6targetE0EEEvSF_.kd
    .uniform_work_group_size: 1
    .uses_dynamic_stack: false
    .vgpr_count:     0
    .vgpr_spill_count: 0
    .wavefront_size: 32
  - .args:
      - .offset:         0
        .size:           64
        .value_kind:     by_value
    .group_segment_fixed_size: 0
    .kernarg_segment_align: 8
    .kernarg_segment_size: 64
    .language:       OpenCL C
    .language_version:
      - 2
      - 0
    .max_flat_workgroup_size: 128
    .name:           _ZN7rocprim17ROCPRIM_400000_NS6detail17trampoline_kernelINS0_14default_configENS1_38merge_sort_block_merge_config_selectorIsNS0_10empty_typeEEEZZNS1_27merge_sort_block_merge_implIS3_PsPS5_jNS1_19radix_merge_compareILb1ELb0EsNS0_19identity_decomposerEEEEE10hipError_tT0_T1_T2_jT3_P12ihipStream_tbPNSt15iterator_traitsISE_E10value_typeEPNSK_ISF_E10value_typeEPSG_NS1_7vsmem_tEENKUlT_SE_SF_SG_E_clIS8_S8_S9_S9_EESD_ST_SE_SF_SG_EUlST_E0_NS1_11comp_targetILNS1_3genE3ELNS1_11target_archE908ELNS1_3gpuE7ELNS1_3repE0EEENS1_38merge_mergepath_config_static_selectorELNS0_4arch9wavefront6targetE0EEEvSF_
    .private_segment_fixed_size: 0
    .sgpr_count:     0
    .sgpr_spill_count: 0
    .symbol:         _ZN7rocprim17ROCPRIM_400000_NS6detail17trampoline_kernelINS0_14default_configENS1_38merge_sort_block_merge_config_selectorIsNS0_10empty_typeEEEZZNS1_27merge_sort_block_merge_implIS3_PsPS5_jNS1_19radix_merge_compareILb1ELb0EsNS0_19identity_decomposerEEEEE10hipError_tT0_T1_T2_jT3_P12ihipStream_tbPNSt15iterator_traitsISE_E10value_typeEPNSK_ISF_E10value_typeEPSG_NS1_7vsmem_tEENKUlT_SE_SF_SG_E_clIS8_S8_S9_S9_EESD_ST_SE_SF_SG_EUlST_E0_NS1_11comp_targetILNS1_3genE3ELNS1_11target_archE908ELNS1_3gpuE7ELNS1_3repE0EEENS1_38merge_mergepath_config_static_selectorELNS0_4arch9wavefront6targetE0EEEvSF_.kd
    .uniform_work_group_size: 1
    .uses_dynamic_stack: false
    .vgpr_count:     0
    .vgpr_spill_count: 0
    .wavefront_size: 32
  - .args:
      - .offset:         0
        .size:           64
        .value_kind:     by_value
    .group_segment_fixed_size: 0
    .kernarg_segment_align: 8
    .kernarg_segment_size: 64
    .language:       OpenCL C
    .language_version:
      - 2
      - 0
    .max_flat_workgroup_size: 128
    .name:           _ZN7rocprim17ROCPRIM_400000_NS6detail17trampoline_kernelINS0_14default_configENS1_38merge_sort_block_merge_config_selectorIsNS0_10empty_typeEEEZZNS1_27merge_sort_block_merge_implIS3_PsPS5_jNS1_19radix_merge_compareILb1ELb0EsNS0_19identity_decomposerEEEEE10hipError_tT0_T1_T2_jT3_P12ihipStream_tbPNSt15iterator_traitsISE_E10value_typeEPNSK_ISF_E10value_typeEPSG_NS1_7vsmem_tEENKUlT_SE_SF_SG_E_clIS8_S8_S9_S9_EESD_ST_SE_SF_SG_EUlST_E0_NS1_11comp_targetILNS1_3genE2ELNS1_11target_archE906ELNS1_3gpuE6ELNS1_3repE0EEENS1_38merge_mergepath_config_static_selectorELNS0_4arch9wavefront6targetE0EEEvSF_
    .private_segment_fixed_size: 0
    .sgpr_count:     0
    .sgpr_spill_count: 0
    .symbol:         _ZN7rocprim17ROCPRIM_400000_NS6detail17trampoline_kernelINS0_14default_configENS1_38merge_sort_block_merge_config_selectorIsNS0_10empty_typeEEEZZNS1_27merge_sort_block_merge_implIS3_PsPS5_jNS1_19radix_merge_compareILb1ELb0EsNS0_19identity_decomposerEEEEE10hipError_tT0_T1_T2_jT3_P12ihipStream_tbPNSt15iterator_traitsISE_E10value_typeEPNSK_ISF_E10value_typeEPSG_NS1_7vsmem_tEENKUlT_SE_SF_SG_E_clIS8_S8_S9_S9_EESD_ST_SE_SF_SG_EUlST_E0_NS1_11comp_targetILNS1_3genE2ELNS1_11target_archE906ELNS1_3gpuE6ELNS1_3repE0EEENS1_38merge_mergepath_config_static_selectorELNS0_4arch9wavefront6targetE0EEEvSF_.kd
    .uniform_work_group_size: 1
    .uses_dynamic_stack: false
    .vgpr_count:     0
    .vgpr_spill_count: 0
    .wavefront_size: 32
  - .args:
      - .offset:         0
        .size:           64
        .value_kind:     by_value
    .group_segment_fixed_size: 0
    .kernarg_segment_align: 8
    .kernarg_segment_size: 64
    .language:       OpenCL C
    .language_version:
      - 2
      - 0
    .max_flat_workgroup_size: 128
    .name:           _ZN7rocprim17ROCPRIM_400000_NS6detail17trampoline_kernelINS0_14default_configENS1_38merge_sort_block_merge_config_selectorIsNS0_10empty_typeEEEZZNS1_27merge_sort_block_merge_implIS3_PsPS5_jNS1_19radix_merge_compareILb1ELb0EsNS0_19identity_decomposerEEEEE10hipError_tT0_T1_T2_jT3_P12ihipStream_tbPNSt15iterator_traitsISE_E10value_typeEPNSK_ISF_E10value_typeEPSG_NS1_7vsmem_tEENKUlT_SE_SF_SG_E_clIS8_S8_S9_S9_EESD_ST_SE_SF_SG_EUlST_E0_NS1_11comp_targetILNS1_3genE9ELNS1_11target_archE1100ELNS1_3gpuE3ELNS1_3repE0EEENS1_38merge_mergepath_config_static_selectorELNS0_4arch9wavefront6targetE0EEEvSF_
    .private_segment_fixed_size: 0
    .sgpr_count:     0
    .sgpr_spill_count: 0
    .symbol:         _ZN7rocprim17ROCPRIM_400000_NS6detail17trampoline_kernelINS0_14default_configENS1_38merge_sort_block_merge_config_selectorIsNS0_10empty_typeEEEZZNS1_27merge_sort_block_merge_implIS3_PsPS5_jNS1_19radix_merge_compareILb1ELb0EsNS0_19identity_decomposerEEEEE10hipError_tT0_T1_T2_jT3_P12ihipStream_tbPNSt15iterator_traitsISE_E10value_typeEPNSK_ISF_E10value_typeEPSG_NS1_7vsmem_tEENKUlT_SE_SF_SG_E_clIS8_S8_S9_S9_EESD_ST_SE_SF_SG_EUlST_E0_NS1_11comp_targetILNS1_3genE9ELNS1_11target_archE1100ELNS1_3gpuE3ELNS1_3repE0EEENS1_38merge_mergepath_config_static_selectorELNS0_4arch9wavefront6targetE0EEEvSF_.kd
    .uniform_work_group_size: 1
    .uses_dynamic_stack: false
    .vgpr_count:     0
    .vgpr_spill_count: 0
    .wavefront_size: 32
  - .args:
      - .offset:         0
        .size:           64
        .value_kind:     by_value
    .group_segment_fixed_size: 0
    .kernarg_segment_align: 8
    .kernarg_segment_size: 64
    .language:       OpenCL C
    .language_version:
      - 2
      - 0
    .max_flat_workgroup_size: 128
    .name:           _ZN7rocprim17ROCPRIM_400000_NS6detail17trampoline_kernelINS0_14default_configENS1_38merge_sort_block_merge_config_selectorIsNS0_10empty_typeEEEZZNS1_27merge_sort_block_merge_implIS3_PsPS5_jNS1_19radix_merge_compareILb1ELb0EsNS0_19identity_decomposerEEEEE10hipError_tT0_T1_T2_jT3_P12ihipStream_tbPNSt15iterator_traitsISE_E10value_typeEPNSK_ISF_E10value_typeEPSG_NS1_7vsmem_tEENKUlT_SE_SF_SG_E_clIS8_S8_S9_S9_EESD_ST_SE_SF_SG_EUlST_E0_NS1_11comp_targetILNS1_3genE8ELNS1_11target_archE1030ELNS1_3gpuE2ELNS1_3repE0EEENS1_38merge_mergepath_config_static_selectorELNS0_4arch9wavefront6targetE0EEEvSF_
    .private_segment_fixed_size: 0
    .sgpr_count:     0
    .sgpr_spill_count: 0
    .symbol:         _ZN7rocprim17ROCPRIM_400000_NS6detail17trampoline_kernelINS0_14default_configENS1_38merge_sort_block_merge_config_selectorIsNS0_10empty_typeEEEZZNS1_27merge_sort_block_merge_implIS3_PsPS5_jNS1_19radix_merge_compareILb1ELb0EsNS0_19identity_decomposerEEEEE10hipError_tT0_T1_T2_jT3_P12ihipStream_tbPNSt15iterator_traitsISE_E10value_typeEPNSK_ISF_E10value_typeEPSG_NS1_7vsmem_tEENKUlT_SE_SF_SG_E_clIS8_S8_S9_S9_EESD_ST_SE_SF_SG_EUlST_E0_NS1_11comp_targetILNS1_3genE8ELNS1_11target_archE1030ELNS1_3gpuE2ELNS1_3repE0EEENS1_38merge_mergepath_config_static_selectorELNS0_4arch9wavefront6targetE0EEEvSF_.kd
    .uniform_work_group_size: 1
    .uses_dynamic_stack: false
    .vgpr_count:     0
    .vgpr_spill_count: 0
    .wavefront_size: 32
  - .args:
      - .offset:         0
        .size:           48
        .value_kind:     by_value
    .group_segment_fixed_size: 0
    .kernarg_segment_align: 8
    .kernarg_segment_size: 48
    .language:       OpenCL C
    .language_version:
      - 2
      - 0
    .max_flat_workgroup_size: 256
    .name:           _ZN7rocprim17ROCPRIM_400000_NS6detail17trampoline_kernelINS0_14default_configENS1_38merge_sort_block_merge_config_selectorIsNS0_10empty_typeEEEZZNS1_27merge_sort_block_merge_implIS3_PsPS5_jNS1_19radix_merge_compareILb1ELb0EsNS0_19identity_decomposerEEEEE10hipError_tT0_T1_T2_jT3_P12ihipStream_tbPNSt15iterator_traitsISE_E10value_typeEPNSK_ISF_E10value_typeEPSG_NS1_7vsmem_tEENKUlT_SE_SF_SG_E_clIS8_S8_S9_S9_EESD_ST_SE_SF_SG_EUlST_E1_NS1_11comp_targetILNS1_3genE0ELNS1_11target_archE4294967295ELNS1_3gpuE0ELNS1_3repE0EEENS1_36merge_oddeven_config_static_selectorELNS0_4arch9wavefront6targetE0EEEvSF_
    .private_segment_fixed_size: 0
    .sgpr_count:     18
    .sgpr_spill_count: 0
    .symbol:         _ZN7rocprim17ROCPRIM_400000_NS6detail17trampoline_kernelINS0_14default_configENS1_38merge_sort_block_merge_config_selectorIsNS0_10empty_typeEEEZZNS1_27merge_sort_block_merge_implIS3_PsPS5_jNS1_19radix_merge_compareILb1ELb0EsNS0_19identity_decomposerEEEEE10hipError_tT0_T1_T2_jT3_P12ihipStream_tbPNSt15iterator_traitsISE_E10value_typeEPNSK_ISF_E10value_typeEPSG_NS1_7vsmem_tEENKUlT_SE_SF_SG_E_clIS8_S8_S9_S9_EESD_ST_SE_SF_SG_EUlST_E1_NS1_11comp_targetILNS1_3genE0ELNS1_11target_archE4294967295ELNS1_3gpuE0ELNS1_3repE0EEENS1_36merge_oddeven_config_static_selectorELNS0_4arch9wavefront6targetE0EEEvSF_.kd
    .uniform_work_group_size: 1
    .uses_dynamic_stack: false
    .vgpr_count:     7
    .vgpr_spill_count: 0
    .wavefront_size: 32
  - .args:
      - .offset:         0
        .size:           48
        .value_kind:     by_value
    .group_segment_fixed_size: 0
    .kernarg_segment_align: 8
    .kernarg_segment_size: 48
    .language:       OpenCL C
    .language_version:
      - 2
      - 0
    .max_flat_workgroup_size: 256
    .name:           _ZN7rocprim17ROCPRIM_400000_NS6detail17trampoline_kernelINS0_14default_configENS1_38merge_sort_block_merge_config_selectorIsNS0_10empty_typeEEEZZNS1_27merge_sort_block_merge_implIS3_PsPS5_jNS1_19radix_merge_compareILb1ELb0EsNS0_19identity_decomposerEEEEE10hipError_tT0_T1_T2_jT3_P12ihipStream_tbPNSt15iterator_traitsISE_E10value_typeEPNSK_ISF_E10value_typeEPSG_NS1_7vsmem_tEENKUlT_SE_SF_SG_E_clIS8_S8_S9_S9_EESD_ST_SE_SF_SG_EUlST_E1_NS1_11comp_targetILNS1_3genE10ELNS1_11target_archE1201ELNS1_3gpuE5ELNS1_3repE0EEENS1_36merge_oddeven_config_static_selectorELNS0_4arch9wavefront6targetE0EEEvSF_
    .private_segment_fixed_size: 0
    .sgpr_count:     0
    .sgpr_spill_count: 0
    .symbol:         _ZN7rocprim17ROCPRIM_400000_NS6detail17trampoline_kernelINS0_14default_configENS1_38merge_sort_block_merge_config_selectorIsNS0_10empty_typeEEEZZNS1_27merge_sort_block_merge_implIS3_PsPS5_jNS1_19radix_merge_compareILb1ELb0EsNS0_19identity_decomposerEEEEE10hipError_tT0_T1_T2_jT3_P12ihipStream_tbPNSt15iterator_traitsISE_E10value_typeEPNSK_ISF_E10value_typeEPSG_NS1_7vsmem_tEENKUlT_SE_SF_SG_E_clIS8_S8_S9_S9_EESD_ST_SE_SF_SG_EUlST_E1_NS1_11comp_targetILNS1_3genE10ELNS1_11target_archE1201ELNS1_3gpuE5ELNS1_3repE0EEENS1_36merge_oddeven_config_static_selectorELNS0_4arch9wavefront6targetE0EEEvSF_.kd
    .uniform_work_group_size: 1
    .uses_dynamic_stack: false
    .vgpr_count:     0
    .vgpr_spill_count: 0
    .wavefront_size: 32
  - .args:
      - .offset:         0
        .size:           48
        .value_kind:     by_value
    .group_segment_fixed_size: 0
    .kernarg_segment_align: 8
    .kernarg_segment_size: 48
    .language:       OpenCL C
    .language_version:
      - 2
      - 0
    .max_flat_workgroup_size: 256
    .name:           _ZN7rocprim17ROCPRIM_400000_NS6detail17trampoline_kernelINS0_14default_configENS1_38merge_sort_block_merge_config_selectorIsNS0_10empty_typeEEEZZNS1_27merge_sort_block_merge_implIS3_PsPS5_jNS1_19radix_merge_compareILb1ELb0EsNS0_19identity_decomposerEEEEE10hipError_tT0_T1_T2_jT3_P12ihipStream_tbPNSt15iterator_traitsISE_E10value_typeEPNSK_ISF_E10value_typeEPSG_NS1_7vsmem_tEENKUlT_SE_SF_SG_E_clIS8_S8_S9_S9_EESD_ST_SE_SF_SG_EUlST_E1_NS1_11comp_targetILNS1_3genE5ELNS1_11target_archE942ELNS1_3gpuE9ELNS1_3repE0EEENS1_36merge_oddeven_config_static_selectorELNS0_4arch9wavefront6targetE0EEEvSF_
    .private_segment_fixed_size: 0
    .sgpr_count:     0
    .sgpr_spill_count: 0
    .symbol:         _ZN7rocprim17ROCPRIM_400000_NS6detail17trampoline_kernelINS0_14default_configENS1_38merge_sort_block_merge_config_selectorIsNS0_10empty_typeEEEZZNS1_27merge_sort_block_merge_implIS3_PsPS5_jNS1_19radix_merge_compareILb1ELb0EsNS0_19identity_decomposerEEEEE10hipError_tT0_T1_T2_jT3_P12ihipStream_tbPNSt15iterator_traitsISE_E10value_typeEPNSK_ISF_E10value_typeEPSG_NS1_7vsmem_tEENKUlT_SE_SF_SG_E_clIS8_S8_S9_S9_EESD_ST_SE_SF_SG_EUlST_E1_NS1_11comp_targetILNS1_3genE5ELNS1_11target_archE942ELNS1_3gpuE9ELNS1_3repE0EEENS1_36merge_oddeven_config_static_selectorELNS0_4arch9wavefront6targetE0EEEvSF_.kd
    .uniform_work_group_size: 1
    .uses_dynamic_stack: false
    .vgpr_count:     0
    .vgpr_spill_count: 0
    .wavefront_size: 32
  - .args:
      - .offset:         0
        .size:           48
        .value_kind:     by_value
    .group_segment_fixed_size: 0
    .kernarg_segment_align: 8
    .kernarg_segment_size: 48
    .language:       OpenCL C
    .language_version:
      - 2
      - 0
    .max_flat_workgroup_size: 256
    .name:           _ZN7rocprim17ROCPRIM_400000_NS6detail17trampoline_kernelINS0_14default_configENS1_38merge_sort_block_merge_config_selectorIsNS0_10empty_typeEEEZZNS1_27merge_sort_block_merge_implIS3_PsPS5_jNS1_19radix_merge_compareILb1ELb0EsNS0_19identity_decomposerEEEEE10hipError_tT0_T1_T2_jT3_P12ihipStream_tbPNSt15iterator_traitsISE_E10value_typeEPNSK_ISF_E10value_typeEPSG_NS1_7vsmem_tEENKUlT_SE_SF_SG_E_clIS8_S8_S9_S9_EESD_ST_SE_SF_SG_EUlST_E1_NS1_11comp_targetILNS1_3genE4ELNS1_11target_archE910ELNS1_3gpuE8ELNS1_3repE0EEENS1_36merge_oddeven_config_static_selectorELNS0_4arch9wavefront6targetE0EEEvSF_
    .private_segment_fixed_size: 0
    .sgpr_count:     0
    .sgpr_spill_count: 0
    .symbol:         _ZN7rocprim17ROCPRIM_400000_NS6detail17trampoline_kernelINS0_14default_configENS1_38merge_sort_block_merge_config_selectorIsNS0_10empty_typeEEEZZNS1_27merge_sort_block_merge_implIS3_PsPS5_jNS1_19radix_merge_compareILb1ELb0EsNS0_19identity_decomposerEEEEE10hipError_tT0_T1_T2_jT3_P12ihipStream_tbPNSt15iterator_traitsISE_E10value_typeEPNSK_ISF_E10value_typeEPSG_NS1_7vsmem_tEENKUlT_SE_SF_SG_E_clIS8_S8_S9_S9_EESD_ST_SE_SF_SG_EUlST_E1_NS1_11comp_targetILNS1_3genE4ELNS1_11target_archE910ELNS1_3gpuE8ELNS1_3repE0EEENS1_36merge_oddeven_config_static_selectorELNS0_4arch9wavefront6targetE0EEEvSF_.kd
    .uniform_work_group_size: 1
    .uses_dynamic_stack: false
    .vgpr_count:     0
    .vgpr_spill_count: 0
    .wavefront_size: 32
  - .args:
      - .offset:         0
        .size:           48
        .value_kind:     by_value
    .group_segment_fixed_size: 0
    .kernarg_segment_align: 8
    .kernarg_segment_size: 48
    .language:       OpenCL C
    .language_version:
      - 2
      - 0
    .max_flat_workgroup_size: 256
    .name:           _ZN7rocprim17ROCPRIM_400000_NS6detail17trampoline_kernelINS0_14default_configENS1_38merge_sort_block_merge_config_selectorIsNS0_10empty_typeEEEZZNS1_27merge_sort_block_merge_implIS3_PsPS5_jNS1_19radix_merge_compareILb1ELb0EsNS0_19identity_decomposerEEEEE10hipError_tT0_T1_T2_jT3_P12ihipStream_tbPNSt15iterator_traitsISE_E10value_typeEPNSK_ISF_E10value_typeEPSG_NS1_7vsmem_tEENKUlT_SE_SF_SG_E_clIS8_S8_S9_S9_EESD_ST_SE_SF_SG_EUlST_E1_NS1_11comp_targetILNS1_3genE3ELNS1_11target_archE908ELNS1_3gpuE7ELNS1_3repE0EEENS1_36merge_oddeven_config_static_selectorELNS0_4arch9wavefront6targetE0EEEvSF_
    .private_segment_fixed_size: 0
    .sgpr_count:     0
    .sgpr_spill_count: 0
    .symbol:         _ZN7rocprim17ROCPRIM_400000_NS6detail17trampoline_kernelINS0_14default_configENS1_38merge_sort_block_merge_config_selectorIsNS0_10empty_typeEEEZZNS1_27merge_sort_block_merge_implIS3_PsPS5_jNS1_19radix_merge_compareILb1ELb0EsNS0_19identity_decomposerEEEEE10hipError_tT0_T1_T2_jT3_P12ihipStream_tbPNSt15iterator_traitsISE_E10value_typeEPNSK_ISF_E10value_typeEPSG_NS1_7vsmem_tEENKUlT_SE_SF_SG_E_clIS8_S8_S9_S9_EESD_ST_SE_SF_SG_EUlST_E1_NS1_11comp_targetILNS1_3genE3ELNS1_11target_archE908ELNS1_3gpuE7ELNS1_3repE0EEENS1_36merge_oddeven_config_static_selectorELNS0_4arch9wavefront6targetE0EEEvSF_.kd
    .uniform_work_group_size: 1
    .uses_dynamic_stack: false
    .vgpr_count:     0
    .vgpr_spill_count: 0
    .wavefront_size: 32
  - .args:
      - .offset:         0
        .size:           48
        .value_kind:     by_value
    .group_segment_fixed_size: 0
    .kernarg_segment_align: 8
    .kernarg_segment_size: 48
    .language:       OpenCL C
    .language_version:
      - 2
      - 0
    .max_flat_workgroup_size: 256
    .name:           _ZN7rocprim17ROCPRIM_400000_NS6detail17trampoline_kernelINS0_14default_configENS1_38merge_sort_block_merge_config_selectorIsNS0_10empty_typeEEEZZNS1_27merge_sort_block_merge_implIS3_PsPS5_jNS1_19radix_merge_compareILb1ELb0EsNS0_19identity_decomposerEEEEE10hipError_tT0_T1_T2_jT3_P12ihipStream_tbPNSt15iterator_traitsISE_E10value_typeEPNSK_ISF_E10value_typeEPSG_NS1_7vsmem_tEENKUlT_SE_SF_SG_E_clIS8_S8_S9_S9_EESD_ST_SE_SF_SG_EUlST_E1_NS1_11comp_targetILNS1_3genE2ELNS1_11target_archE906ELNS1_3gpuE6ELNS1_3repE0EEENS1_36merge_oddeven_config_static_selectorELNS0_4arch9wavefront6targetE0EEEvSF_
    .private_segment_fixed_size: 0
    .sgpr_count:     0
    .sgpr_spill_count: 0
    .symbol:         _ZN7rocprim17ROCPRIM_400000_NS6detail17trampoline_kernelINS0_14default_configENS1_38merge_sort_block_merge_config_selectorIsNS0_10empty_typeEEEZZNS1_27merge_sort_block_merge_implIS3_PsPS5_jNS1_19radix_merge_compareILb1ELb0EsNS0_19identity_decomposerEEEEE10hipError_tT0_T1_T2_jT3_P12ihipStream_tbPNSt15iterator_traitsISE_E10value_typeEPNSK_ISF_E10value_typeEPSG_NS1_7vsmem_tEENKUlT_SE_SF_SG_E_clIS8_S8_S9_S9_EESD_ST_SE_SF_SG_EUlST_E1_NS1_11comp_targetILNS1_3genE2ELNS1_11target_archE906ELNS1_3gpuE6ELNS1_3repE0EEENS1_36merge_oddeven_config_static_selectorELNS0_4arch9wavefront6targetE0EEEvSF_.kd
    .uniform_work_group_size: 1
    .uses_dynamic_stack: false
    .vgpr_count:     0
    .vgpr_spill_count: 0
    .wavefront_size: 32
  - .args:
      - .offset:         0
        .size:           48
        .value_kind:     by_value
    .group_segment_fixed_size: 0
    .kernarg_segment_align: 8
    .kernarg_segment_size: 48
    .language:       OpenCL C
    .language_version:
      - 2
      - 0
    .max_flat_workgroup_size: 256
    .name:           _ZN7rocprim17ROCPRIM_400000_NS6detail17trampoline_kernelINS0_14default_configENS1_38merge_sort_block_merge_config_selectorIsNS0_10empty_typeEEEZZNS1_27merge_sort_block_merge_implIS3_PsPS5_jNS1_19radix_merge_compareILb1ELb0EsNS0_19identity_decomposerEEEEE10hipError_tT0_T1_T2_jT3_P12ihipStream_tbPNSt15iterator_traitsISE_E10value_typeEPNSK_ISF_E10value_typeEPSG_NS1_7vsmem_tEENKUlT_SE_SF_SG_E_clIS8_S8_S9_S9_EESD_ST_SE_SF_SG_EUlST_E1_NS1_11comp_targetILNS1_3genE9ELNS1_11target_archE1100ELNS1_3gpuE3ELNS1_3repE0EEENS1_36merge_oddeven_config_static_selectorELNS0_4arch9wavefront6targetE0EEEvSF_
    .private_segment_fixed_size: 0
    .sgpr_count:     0
    .sgpr_spill_count: 0
    .symbol:         _ZN7rocprim17ROCPRIM_400000_NS6detail17trampoline_kernelINS0_14default_configENS1_38merge_sort_block_merge_config_selectorIsNS0_10empty_typeEEEZZNS1_27merge_sort_block_merge_implIS3_PsPS5_jNS1_19radix_merge_compareILb1ELb0EsNS0_19identity_decomposerEEEEE10hipError_tT0_T1_T2_jT3_P12ihipStream_tbPNSt15iterator_traitsISE_E10value_typeEPNSK_ISF_E10value_typeEPSG_NS1_7vsmem_tEENKUlT_SE_SF_SG_E_clIS8_S8_S9_S9_EESD_ST_SE_SF_SG_EUlST_E1_NS1_11comp_targetILNS1_3genE9ELNS1_11target_archE1100ELNS1_3gpuE3ELNS1_3repE0EEENS1_36merge_oddeven_config_static_selectorELNS0_4arch9wavefront6targetE0EEEvSF_.kd
    .uniform_work_group_size: 1
    .uses_dynamic_stack: false
    .vgpr_count:     0
    .vgpr_spill_count: 0
    .wavefront_size: 32
  - .args:
      - .offset:         0
        .size:           48
        .value_kind:     by_value
    .group_segment_fixed_size: 0
    .kernarg_segment_align: 8
    .kernarg_segment_size: 48
    .language:       OpenCL C
    .language_version:
      - 2
      - 0
    .max_flat_workgroup_size: 256
    .name:           _ZN7rocprim17ROCPRIM_400000_NS6detail17trampoline_kernelINS0_14default_configENS1_38merge_sort_block_merge_config_selectorIsNS0_10empty_typeEEEZZNS1_27merge_sort_block_merge_implIS3_PsPS5_jNS1_19radix_merge_compareILb1ELb0EsNS0_19identity_decomposerEEEEE10hipError_tT0_T1_T2_jT3_P12ihipStream_tbPNSt15iterator_traitsISE_E10value_typeEPNSK_ISF_E10value_typeEPSG_NS1_7vsmem_tEENKUlT_SE_SF_SG_E_clIS8_S8_S9_S9_EESD_ST_SE_SF_SG_EUlST_E1_NS1_11comp_targetILNS1_3genE8ELNS1_11target_archE1030ELNS1_3gpuE2ELNS1_3repE0EEENS1_36merge_oddeven_config_static_selectorELNS0_4arch9wavefront6targetE0EEEvSF_
    .private_segment_fixed_size: 0
    .sgpr_count:     0
    .sgpr_spill_count: 0
    .symbol:         _ZN7rocprim17ROCPRIM_400000_NS6detail17trampoline_kernelINS0_14default_configENS1_38merge_sort_block_merge_config_selectorIsNS0_10empty_typeEEEZZNS1_27merge_sort_block_merge_implIS3_PsPS5_jNS1_19radix_merge_compareILb1ELb0EsNS0_19identity_decomposerEEEEE10hipError_tT0_T1_T2_jT3_P12ihipStream_tbPNSt15iterator_traitsISE_E10value_typeEPNSK_ISF_E10value_typeEPSG_NS1_7vsmem_tEENKUlT_SE_SF_SG_E_clIS8_S8_S9_S9_EESD_ST_SE_SF_SG_EUlST_E1_NS1_11comp_targetILNS1_3genE8ELNS1_11target_archE1030ELNS1_3gpuE2ELNS1_3repE0EEENS1_36merge_oddeven_config_static_selectorELNS0_4arch9wavefront6targetE0EEEvSF_.kd
    .uniform_work_group_size: 1
    .uses_dynamic_stack: false
    .vgpr_count:     0
    .vgpr_spill_count: 0
    .wavefront_size: 32
  - .args:
      - .offset:         0
        .size:           40
        .value_kind:     by_value
      - .offset:         40
        .size:           4
        .value_kind:     hidden_block_count_x
      - .offset:         44
        .size:           4
        .value_kind:     hidden_block_count_y
      - .offset:         48
        .size:           4
        .value_kind:     hidden_block_count_z
      - .offset:         52
        .size:           2
        .value_kind:     hidden_group_size_x
      - .offset:         54
        .size:           2
        .value_kind:     hidden_group_size_y
      - .offset:         56
        .size:           2
        .value_kind:     hidden_group_size_z
      - .offset:         58
        .size:           2
        .value_kind:     hidden_remainder_x
      - .offset:         60
        .size:           2
        .value_kind:     hidden_remainder_y
      - .offset:         62
        .size:           2
        .value_kind:     hidden_remainder_z
      - .offset:         80
        .size:           8
        .value_kind:     hidden_global_offset_x
      - .offset:         88
        .size:           8
        .value_kind:     hidden_global_offset_y
      - .offset:         96
        .size:           8
        .value_kind:     hidden_global_offset_z
      - .offset:         104
        .size:           2
        .value_kind:     hidden_grid_dims
    .group_segment_fixed_size: 0
    .kernarg_segment_align: 8
    .kernarg_segment_size: 296
    .language:       OpenCL C
    .language_version:
      - 2
      - 0
    .max_flat_workgroup_size: 128
    .name:           _ZN7rocprim17ROCPRIM_400000_NS6detail17trampoline_kernelINS0_14default_configENS1_25transform_config_selectorIsLb1EEEZNS1_14transform_implILb1ES3_S5_PsS7_NS0_8identityIsEEEE10hipError_tT2_T3_mT4_P12ihipStream_tbEUlT_E_NS1_11comp_targetILNS1_3genE0ELNS1_11target_archE4294967295ELNS1_3gpuE0ELNS1_3repE0EEENS1_30default_config_static_selectorELNS0_4arch9wavefront6targetE0EEEvT1_
    .private_segment_fixed_size: 0
    .sgpr_count:     17
    .sgpr_spill_count: 0
    .symbol:         _ZN7rocprim17ROCPRIM_400000_NS6detail17trampoline_kernelINS0_14default_configENS1_25transform_config_selectorIsLb1EEEZNS1_14transform_implILb1ES3_S5_PsS7_NS0_8identityIsEEEE10hipError_tT2_T3_mT4_P12ihipStream_tbEUlT_E_NS1_11comp_targetILNS1_3genE0ELNS1_11target_archE4294967295ELNS1_3gpuE0ELNS1_3repE0EEENS1_30default_config_static_selectorELNS0_4arch9wavefront6targetE0EEEvT1_.kd
    .uniform_work_group_size: 1
    .uses_dynamic_stack: false
    .vgpr_count:     6
    .vgpr_spill_count: 0
    .wavefront_size: 32
  - .args:
      - .offset:         0
        .size:           40
        .value_kind:     by_value
    .group_segment_fixed_size: 0
    .kernarg_segment_align: 8
    .kernarg_segment_size: 40
    .language:       OpenCL C
    .language_version:
      - 2
      - 0
    .max_flat_workgroup_size: 64
    .name:           _ZN7rocprim17ROCPRIM_400000_NS6detail17trampoline_kernelINS0_14default_configENS1_25transform_config_selectorIsLb1EEEZNS1_14transform_implILb1ES3_S5_PsS7_NS0_8identityIsEEEE10hipError_tT2_T3_mT4_P12ihipStream_tbEUlT_E_NS1_11comp_targetILNS1_3genE10ELNS1_11target_archE1201ELNS1_3gpuE5ELNS1_3repE0EEENS1_30default_config_static_selectorELNS0_4arch9wavefront6targetE0EEEvT1_
    .private_segment_fixed_size: 0
    .sgpr_count:     0
    .sgpr_spill_count: 0
    .symbol:         _ZN7rocprim17ROCPRIM_400000_NS6detail17trampoline_kernelINS0_14default_configENS1_25transform_config_selectorIsLb1EEEZNS1_14transform_implILb1ES3_S5_PsS7_NS0_8identityIsEEEE10hipError_tT2_T3_mT4_P12ihipStream_tbEUlT_E_NS1_11comp_targetILNS1_3genE10ELNS1_11target_archE1201ELNS1_3gpuE5ELNS1_3repE0EEENS1_30default_config_static_selectorELNS0_4arch9wavefront6targetE0EEEvT1_.kd
    .uniform_work_group_size: 1
    .uses_dynamic_stack: false
    .vgpr_count:     0
    .vgpr_spill_count: 0
    .wavefront_size: 32
  - .args:
      - .offset:         0
        .size:           40
        .value_kind:     by_value
    .group_segment_fixed_size: 0
    .kernarg_segment_align: 8
    .kernarg_segment_size: 40
    .language:       OpenCL C
    .language_version:
      - 2
      - 0
    .max_flat_workgroup_size: 256
    .name:           _ZN7rocprim17ROCPRIM_400000_NS6detail17trampoline_kernelINS0_14default_configENS1_25transform_config_selectorIsLb1EEEZNS1_14transform_implILb1ES3_S5_PsS7_NS0_8identityIsEEEE10hipError_tT2_T3_mT4_P12ihipStream_tbEUlT_E_NS1_11comp_targetILNS1_3genE5ELNS1_11target_archE942ELNS1_3gpuE9ELNS1_3repE0EEENS1_30default_config_static_selectorELNS0_4arch9wavefront6targetE0EEEvT1_
    .private_segment_fixed_size: 0
    .sgpr_count:     0
    .sgpr_spill_count: 0
    .symbol:         _ZN7rocprim17ROCPRIM_400000_NS6detail17trampoline_kernelINS0_14default_configENS1_25transform_config_selectorIsLb1EEEZNS1_14transform_implILb1ES3_S5_PsS7_NS0_8identityIsEEEE10hipError_tT2_T3_mT4_P12ihipStream_tbEUlT_E_NS1_11comp_targetILNS1_3genE5ELNS1_11target_archE942ELNS1_3gpuE9ELNS1_3repE0EEENS1_30default_config_static_selectorELNS0_4arch9wavefront6targetE0EEEvT1_.kd
    .uniform_work_group_size: 1
    .uses_dynamic_stack: false
    .vgpr_count:     0
    .vgpr_spill_count: 0
    .wavefront_size: 32
  - .args:
      - .offset:         0
        .size:           40
        .value_kind:     by_value
    .group_segment_fixed_size: 0
    .kernarg_segment_align: 8
    .kernarg_segment_size: 40
    .language:       OpenCL C
    .language_version:
      - 2
      - 0
    .max_flat_workgroup_size: 1024
    .name:           _ZN7rocprim17ROCPRIM_400000_NS6detail17trampoline_kernelINS0_14default_configENS1_25transform_config_selectorIsLb1EEEZNS1_14transform_implILb1ES3_S5_PsS7_NS0_8identityIsEEEE10hipError_tT2_T3_mT4_P12ihipStream_tbEUlT_E_NS1_11comp_targetILNS1_3genE4ELNS1_11target_archE910ELNS1_3gpuE8ELNS1_3repE0EEENS1_30default_config_static_selectorELNS0_4arch9wavefront6targetE0EEEvT1_
    .private_segment_fixed_size: 0
    .sgpr_count:     0
    .sgpr_spill_count: 0
    .symbol:         _ZN7rocprim17ROCPRIM_400000_NS6detail17trampoline_kernelINS0_14default_configENS1_25transform_config_selectorIsLb1EEEZNS1_14transform_implILb1ES3_S5_PsS7_NS0_8identityIsEEEE10hipError_tT2_T3_mT4_P12ihipStream_tbEUlT_E_NS1_11comp_targetILNS1_3genE4ELNS1_11target_archE910ELNS1_3gpuE8ELNS1_3repE0EEENS1_30default_config_static_selectorELNS0_4arch9wavefront6targetE0EEEvT1_.kd
    .uniform_work_group_size: 1
    .uses_dynamic_stack: false
    .vgpr_count:     0
    .vgpr_spill_count: 0
    .wavefront_size: 32
  - .args:
      - .offset:         0
        .size:           40
        .value_kind:     by_value
    .group_segment_fixed_size: 0
    .kernarg_segment_align: 8
    .kernarg_segment_size: 40
    .language:       OpenCL C
    .language_version:
      - 2
      - 0
    .max_flat_workgroup_size: 128
    .name:           _ZN7rocprim17ROCPRIM_400000_NS6detail17trampoline_kernelINS0_14default_configENS1_25transform_config_selectorIsLb1EEEZNS1_14transform_implILb1ES3_S5_PsS7_NS0_8identityIsEEEE10hipError_tT2_T3_mT4_P12ihipStream_tbEUlT_E_NS1_11comp_targetILNS1_3genE3ELNS1_11target_archE908ELNS1_3gpuE7ELNS1_3repE0EEENS1_30default_config_static_selectorELNS0_4arch9wavefront6targetE0EEEvT1_
    .private_segment_fixed_size: 0
    .sgpr_count:     0
    .sgpr_spill_count: 0
    .symbol:         _ZN7rocprim17ROCPRIM_400000_NS6detail17trampoline_kernelINS0_14default_configENS1_25transform_config_selectorIsLb1EEEZNS1_14transform_implILb1ES3_S5_PsS7_NS0_8identityIsEEEE10hipError_tT2_T3_mT4_P12ihipStream_tbEUlT_E_NS1_11comp_targetILNS1_3genE3ELNS1_11target_archE908ELNS1_3gpuE7ELNS1_3repE0EEENS1_30default_config_static_selectorELNS0_4arch9wavefront6targetE0EEEvT1_.kd
    .uniform_work_group_size: 1
    .uses_dynamic_stack: false
    .vgpr_count:     0
    .vgpr_spill_count: 0
    .wavefront_size: 32
  - .args:
      - .offset:         0
        .size:           40
        .value_kind:     by_value
    .group_segment_fixed_size: 0
    .kernarg_segment_align: 8
    .kernarg_segment_size: 40
    .language:       OpenCL C
    .language_version:
      - 2
      - 0
    .max_flat_workgroup_size: 1024
    .name:           _ZN7rocprim17ROCPRIM_400000_NS6detail17trampoline_kernelINS0_14default_configENS1_25transform_config_selectorIsLb1EEEZNS1_14transform_implILb1ES3_S5_PsS7_NS0_8identityIsEEEE10hipError_tT2_T3_mT4_P12ihipStream_tbEUlT_E_NS1_11comp_targetILNS1_3genE2ELNS1_11target_archE906ELNS1_3gpuE6ELNS1_3repE0EEENS1_30default_config_static_selectorELNS0_4arch9wavefront6targetE0EEEvT1_
    .private_segment_fixed_size: 0
    .sgpr_count:     0
    .sgpr_spill_count: 0
    .symbol:         _ZN7rocprim17ROCPRIM_400000_NS6detail17trampoline_kernelINS0_14default_configENS1_25transform_config_selectorIsLb1EEEZNS1_14transform_implILb1ES3_S5_PsS7_NS0_8identityIsEEEE10hipError_tT2_T3_mT4_P12ihipStream_tbEUlT_E_NS1_11comp_targetILNS1_3genE2ELNS1_11target_archE906ELNS1_3gpuE6ELNS1_3repE0EEENS1_30default_config_static_selectorELNS0_4arch9wavefront6targetE0EEEvT1_.kd
    .uniform_work_group_size: 1
    .uses_dynamic_stack: false
    .vgpr_count:     0
    .vgpr_spill_count: 0
    .wavefront_size: 32
  - .args:
      - .offset:         0
        .size:           40
        .value_kind:     by_value
    .group_segment_fixed_size: 0
    .kernarg_segment_align: 8
    .kernarg_segment_size: 40
    .language:       OpenCL C
    .language_version:
      - 2
      - 0
    .max_flat_workgroup_size: 1024
    .name:           _ZN7rocprim17ROCPRIM_400000_NS6detail17trampoline_kernelINS0_14default_configENS1_25transform_config_selectorIsLb1EEEZNS1_14transform_implILb1ES3_S5_PsS7_NS0_8identityIsEEEE10hipError_tT2_T3_mT4_P12ihipStream_tbEUlT_E_NS1_11comp_targetILNS1_3genE9ELNS1_11target_archE1100ELNS1_3gpuE3ELNS1_3repE0EEENS1_30default_config_static_selectorELNS0_4arch9wavefront6targetE0EEEvT1_
    .private_segment_fixed_size: 0
    .sgpr_count:     0
    .sgpr_spill_count: 0
    .symbol:         _ZN7rocprim17ROCPRIM_400000_NS6detail17trampoline_kernelINS0_14default_configENS1_25transform_config_selectorIsLb1EEEZNS1_14transform_implILb1ES3_S5_PsS7_NS0_8identityIsEEEE10hipError_tT2_T3_mT4_P12ihipStream_tbEUlT_E_NS1_11comp_targetILNS1_3genE9ELNS1_11target_archE1100ELNS1_3gpuE3ELNS1_3repE0EEENS1_30default_config_static_selectorELNS0_4arch9wavefront6targetE0EEEvT1_.kd
    .uniform_work_group_size: 1
    .uses_dynamic_stack: false
    .vgpr_count:     0
    .vgpr_spill_count: 0
    .wavefront_size: 32
  - .args:
      - .offset:         0
        .size:           40
        .value_kind:     by_value
    .group_segment_fixed_size: 0
    .kernarg_segment_align: 8
    .kernarg_segment_size: 40
    .language:       OpenCL C
    .language_version:
      - 2
      - 0
    .max_flat_workgroup_size: 1024
    .name:           _ZN7rocprim17ROCPRIM_400000_NS6detail17trampoline_kernelINS0_14default_configENS1_25transform_config_selectorIsLb1EEEZNS1_14transform_implILb1ES3_S5_PsS7_NS0_8identityIsEEEE10hipError_tT2_T3_mT4_P12ihipStream_tbEUlT_E_NS1_11comp_targetILNS1_3genE8ELNS1_11target_archE1030ELNS1_3gpuE2ELNS1_3repE0EEENS1_30default_config_static_selectorELNS0_4arch9wavefront6targetE0EEEvT1_
    .private_segment_fixed_size: 0
    .sgpr_count:     0
    .sgpr_spill_count: 0
    .symbol:         _ZN7rocprim17ROCPRIM_400000_NS6detail17trampoline_kernelINS0_14default_configENS1_25transform_config_selectorIsLb1EEEZNS1_14transform_implILb1ES3_S5_PsS7_NS0_8identityIsEEEE10hipError_tT2_T3_mT4_P12ihipStream_tbEUlT_E_NS1_11comp_targetILNS1_3genE8ELNS1_11target_archE1030ELNS1_3gpuE2ELNS1_3repE0EEENS1_30default_config_static_selectorELNS0_4arch9wavefront6targetE0EEEvT1_.kd
    .uniform_work_group_size: 1
    .uses_dynamic_stack: false
    .vgpr_count:     0
    .vgpr_spill_count: 0
    .wavefront_size: 32
  - .args:
      - .offset:         0
        .size:           40
        .value_kind:     by_value
    .group_segment_fixed_size: 0
    .kernarg_segment_align: 8
    .kernarg_segment_size: 40
    .language:       OpenCL C
    .language_version:
      - 2
      - 0
    .max_flat_workgroup_size: 128
    .name:           _ZN7rocprim17ROCPRIM_400000_NS6detail17trampoline_kernelINS0_14default_configENS1_38merge_sort_block_merge_config_selectorIsNS0_10empty_typeEEEZZNS1_27merge_sort_block_merge_implIS3_PsPS5_jNS1_19radix_merge_compareILb1ELb1EsNS0_19identity_decomposerEEEEE10hipError_tT0_T1_T2_jT3_P12ihipStream_tbPNSt15iterator_traitsISE_E10value_typeEPNSK_ISF_E10value_typeEPSG_NS1_7vsmem_tEENKUlT_SE_SF_SG_E_clIS8_S8_S9_S9_EESD_ST_SE_SF_SG_EUlST_E_NS1_11comp_targetILNS1_3genE0ELNS1_11target_archE4294967295ELNS1_3gpuE0ELNS1_3repE0EEENS1_48merge_mergepath_partition_config_static_selectorELNS0_4arch9wavefront6targetE0EEEvSF_
    .private_segment_fixed_size: 0
    .sgpr_count:     10
    .sgpr_spill_count: 0
    .symbol:         _ZN7rocprim17ROCPRIM_400000_NS6detail17trampoline_kernelINS0_14default_configENS1_38merge_sort_block_merge_config_selectorIsNS0_10empty_typeEEEZZNS1_27merge_sort_block_merge_implIS3_PsPS5_jNS1_19radix_merge_compareILb1ELb1EsNS0_19identity_decomposerEEEEE10hipError_tT0_T1_T2_jT3_P12ihipStream_tbPNSt15iterator_traitsISE_E10value_typeEPNSK_ISF_E10value_typeEPSG_NS1_7vsmem_tEENKUlT_SE_SF_SG_E_clIS8_S8_S9_S9_EESD_ST_SE_SF_SG_EUlST_E_NS1_11comp_targetILNS1_3genE0ELNS1_11target_archE4294967295ELNS1_3gpuE0ELNS1_3repE0EEENS1_48merge_mergepath_partition_config_static_selectorELNS0_4arch9wavefront6targetE0EEEvSF_.kd
    .uniform_work_group_size: 1
    .uses_dynamic_stack: false
    .vgpr_count:     17
    .vgpr_spill_count: 0
    .wavefront_size: 32
  - .args:
      - .offset:         0
        .size:           40
        .value_kind:     by_value
    .group_segment_fixed_size: 0
    .kernarg_segment_align: 8
    .kernarg_segment_size: 40
    .language:       OpenCL C
    .language_version:
      - 2
      - 0
    .max_flat_workgroup_size: 128
    .name:           _ZN7rocprim17ROCPRIM_400000_NS6detail17trampoline_kernelINS0_14default_configENS1_38merge_sort_block_merge_config_selectorIsNS0_10empty_typeEEEZZNS1_27merge_sort_block_merge_implIS3_PsPS5_jNS1_19radix_merge_compareILb1ELb1EsNS0_19identity_decomposerEEEEE10hipError_tT0_T1_T2_jT3_P12ihipStream_tbPNSt15iterator_traitsISE_E10value_typeEPNSK_ISF_E10value_typeEPSG_NS1_7vsmem_tEENKUlT_SE_SF_SG_E_clIS8_S8_S9_S9_EESD_ST_SE_SF_SG_EUlST_E_NS1_11comp_targetILNS1_3genE10ELNS1_11target_archE1201ELNS1_3gpuE5ELNS1_3repE0EEENS1_48merge_mergepath_partition_config_static_selectorELNS0_4arch9wavefront6targetE0EEEvSF_
    .private_segment_fixed_size: 0
    .sgpr_count:     0
    .sgpr_spill_count: 0
    .symbol:         _ZN7rocprim17ROCPRIM_400000_NS6detail17trampoline_kernelINS0_14default_configENS1_38merge_sort_block_merge_config_selectorIsNS0_10empty_typeEEEZZNS1_27merge_sort_block_merge_implIS3_PsPS5_jNS1_19radix_merge_compareILb1ELb1EsNS0_19identity_decomposerEEEEE10hipError_tT0_T1_T2_jT3_P12ihipStream_tbPNSt15iterator_traitsISE_E10value_typeEPNSK_ISF_E10value_typeEPSG_NS1_7vsmem_tEENKUlT_SE_SF_SG_E_clIS8_S8_S9_S9_EESD_ST_SE_SF_SG_EUlST_E_NS1_11comp_targetILNS1_3genE10ELNS1_11target_archE1201ELNS1_3gpuE5ELNS1_3repE0EEENS1_48merge_mergepath_partition_config_static_selectorELNS0_4arch9wavefront6targetE0EEEvSF_.kd
    .uniform_work_group_size: 1
    .uses_dynamic_stack: false
    .vgpr_count:     0
    .vgpr_spill_count: 0
    .wavefront_size: 32
  - .args:
      - .offset:         0
        .size:           40
        .value_kind:     by_value
    .group_segment_fixed_size: 0
    .kernarg_segment_align: 8
    .kernarg_segment_size: 40
    .language:       OpenCL C
    .language_version:
      - 2
      - 0
    .max_flat_workgroup_size: 128
    .name:           _ZN7rocprim17ROCPRIM_400000_NS6detail17trampoline_kernelINS0_14default_configENS1_38merge_sort_block_merge_config_selectorIsNS0_10empty_typeEEEZZNS1_27merge_sort_block_merge_implIS3_PsPS5_jNS1_19radix_merge_compareILb1ELb1EsNS0_19identity_decomposerEEEEE10hipError_tT0_T1_T2_jT3_P12ihipStream_tbPNSt15iterator_traitsISE_E10value_typeEPNSK_ISF_E10value_typeEPSG_NS1_7vsmem_tEENKUlT_SE_SF_SG_E_clIS8_S8_S9_S9_EESD_ST_SE_SF_SG_EUlST_E_NS1_11comp_targetILNS1_3genE5ELNS1_11target_archE942ELNS1_3gpuE9ELNS1_3repE0EEENS1_48merge_mergepath_partition_config_static_selectorELNS0_4arch9wavefront6targetE0EEEvSF_
    .private_segment_fixed_size: 0
    .sgpr_count:     0
    .sgpr_spill_count: 0
    .symbol:         _ZN7rocprim17ROCPRIM_400000_NS6detail17trampoline_kernelINS0_14default_configENS1_38merge_sort_block_merge_config_selectorIsNS0_10empty_typeEEEZZNS1_27merge_sort_block_merge_implIS3_PsPS5_jNS1_19radix_merge_compareILb1ELb1EsNS0_19identity_decomposerEEEEE10hipError_tT0_T1_T2_jT3_P12ihipStream_tbPNSt15iterator_traitsISE_E10value_typeEPNSK_ISF_E10value_typeEPSG_NS1_7vsmem_tEENKUlT_SE_SF_SG_E_clIS8_S8_S9_S9_EESD_ST_SE_SF_SG_EUlST_E_NS1_11comp_targetILNS1_3genE5ELNS1_11target_archE942ELNS1_3gpuE9ELNS1_3repE0EEENS1_48merge_mergepath_partition_config_static_selectorELNS0_4arch9wavefront6targetE0EEEvSF_.kd
    .uniform_work_group_size: 1
    .uses_dynamic_stack: false
    .vgpr_count:     0
    .vgpr_spill_count: 0
    .wavefront_size: 32
  - .args:
      - .offset:         0
        .size:           40
        .value_kind:     by_value
    .group_segment_fixed_size: 0
    .kernarg_segment_align: 8
    .kernarg_segment_size: 40
    .language:       OpenCL C
    .language_version:
      - 2
      - 0
    .max_flat_workgroup_size: 128
    .name:           _ZN7rocprim17ROCPRIM_400000_NS6detail17trampoline_kernelINS0_14default_configENS1_38merge_sort_block_merge_config_selectorIsNS0_10empty_typeEEEZZNS1_27merge_sort_block_merge_implIS3_PsPS5_jNS1_19radix_merge_compareILb1ELb1EsNS0_19identity_decomposerEEEEE10hipError_tT0_T1_T2_jT3_P12ihipStream_tbPNSt15iterator_traitsISE_E10value_typeEPNSK_ISF_E10value_typeEPSG_NS1_7vsmem_tEENKUlT_SE_SF_SG_E_clIS8_S8_S9_S9_EESD_ST_SE_SF_SG_EUlST_E_NS1_11comp_targetILNS1_3genE4ELNS1_11target_archE910ELNS1_3gpuE8ELNS1_3repE0EEENS1_48merge_mergepath_partition_config_static_selectorELNS0_4arch9wavefront6targetE0EEEvSF_
    .private_segment_fixed_size: 0
    .sgpr_count:     0
    .sgpr_spill_count: 0
    .symbol:         _ZN7rocprim17ROCPRIM_400000_NS6detail17trampoline_kernelINS0_14default_configENS1_38merge_sort_block_merge_config_selectorIsNS0_10empty_typeEEEZZNS1_27merge_sort_block_merge_implIS3_PsPS5_jNS1_19radix_merge_compareILb1ELb1EsNS0_19identity_decomposerEEEEE10hipError_tT0_T1_T2_jT3_P12ihipStream_tbPNSt15iterator_traitsISE_E10value_typeEPNSK_ISF_E10value_typeEPSG_NS1_7vsmem_tEENKUlT_SE_SF_SG_E_clIS8_S8_S9_S9_EESD_ST_SE_SF_SG_EUlST_E_NS1_11comp_targetILNS1_3genE4ELNS1_11target_archE910ELNS1_3gpuE8ELNS1_3repE0EEENS1_48merge_mergepath_partition_config_static_selectorELNS0_4arch9wavefront6targetE0EEEvSF_.kd
    .uniform_work_group_size: 1
    .uses_dynamic_stack: false
    .vgpr_count:     0
    .vgpr_spill_count: 0
    .wavefront_size: 32
  - .args:
      - .offset:         0
        .size:           40
        .value_kind:     by_value
    .group_segment_fixed_size: 0
    .kernarg_segment_align: 8
    .kernarg_segment_size: 40
    .language:       OpenCL C
    .language_version:
      - 2
      - 0
    .max_flat_workgroup_size: 128
    .name:           _ZN7rocprim17ROCPRIM_400000_NS6detail17trampoline_kernelINS0_14default_configENS1_38merge_sort_block_merge_config_selectorIsNS0_10empty_typeEEEZZNS1_27merge_sort_block_merge_implIS3_PsPS5_jNS1_19radix_merge_compareILb1ELb1EsNS0_19identity_decomposerEEEEE10hipError_tT0_T1_T2_jT3_P12ihipStream_tbPNSt15iterator_traitsISE_E10value_typeEPNSK_ISF_E10value_typeEPSG_NS1_7vsmem_tEENKUlT_SE_SF_SG_E_clIS8_S8_S9_S9_EESD_ST_SE_SF_SG_EUlST_E_NS1_11comp_targetILNS1_3genE3ELNS1_11target_archE908ELNS1_3gpuE7ELNS1_3repE0EEENS1_48merge_mergepath_partition_config_static_selectorELNS0_4arch9wavefront6targetE0EEEvSF_
    .private_segment_fixed_size: 0
    .sgpr_count:     0
    .sgpr_spill_count: 0
    .symbol:         _ZN7rocprim17ROCPRIM_400000_NS6detail17trampoline_kernelINS0_14default_configENS1_38merge_sort_block_merge_config_selectorIsNS0_10empty_typeEEEZZNS1_27merge_sort_block_merge_implIS3_PsPS5_jNS1_19radix_merge_compareILb1ELb1EsNS0_19identity_decomposerEEEEE10hipError_tT0_T1_T2_jT3_P12ihipStream_tbPNSt15iterator_traitsISE_E10value_typeEPNSK_ISF_E10value_typeEPSG_NS1_7vsmem_tEENKUlT_SE_SF_SG_E_clIS8_S8_S9_S9_EESD_ST_SE_SF_SG_EUlST_E_NS1_11comp_targetILNS1_3genE3ELNS1_11target_archE908ELNS1_3gpuE7ELNS1_3repE0EEENS1_48merge_mergepath_partition_config_static_selectorELNS0_4arch9wavefront6targetE0EEEvSF_.kd
    .uniform_work_group_size: 1
    .uses_dynamic_stack: false
    .vgpr_count:     0
    .vgpr_spill_count: 0
    .wavefront_size: 32
  - .args:
      - .offset:         0
        .size:           40
        .value_kind:     by_value
    .group_segment_fixed_size: 0
    .kernarg_segment_align: 8
    .kernarg_segment_size: 40
    .language:       OpenCL C
    .language_version:
      - 2
      - 0
    .max_flat_workgroup_size: 128
    .name:           _ZN7rocprim17ROCPRIM_400000_NS6detail17trampoline_kernelINS0_14default_configENS1_38merge_sort_block_merge_config_selectorIsNS0_10empty_typeEEEZZNS1_27merge_sort_block_merge_implIS3_PsPS5_jNS1_19radix_merge_compareILb1ELb1EsNS0_19identity_decomposerEEEEE10hipError_tT0_T1_T2_jT3_P12ihipStream_tbPNSt15iterator_traitsISE_E10value_typeEPNSK_ISF_E10value_typeEPSG_NS1_7vsmem_tEENKUlT_SE_SF_SG_E_clIS8_S8_S9_S9_EESD_ST_SE_SF_SG_EUlST_E_NS1_11comp_targetILNS1_3genE2ELNS1_11target_archE906ELNS1_3gpuE6ELNS1_3repE0EEENS1_48merge_mergepath_partition_config_static_selectorELNS0_4arch9wavefront6targetE0EEEvSF_
    .private_segment_fixed_size: 0
    .sgpr_count:     0
    .sgpr_spill_count: 0
    .symbol:         _ZN7rocprim17ROCPRIM_400000_NS6detail17trampoline_kernelINS0_14default_configENS1_38merge_sort_block_merge_config_selectorIsNS0_10empty_typeEEEZZNS1_27merge_sort_block_merge_implIS3_PsPS5_jNS1_19radix_merge_compareILb1ELb1EsNS0_19identity_decomposerEEEEE10hipError_tT0_T1_T2_jT3_P12ihipStream_tbPNSt15iterator_traitsISE_E10value_typeEPNSK_ISF_E10value_typeEPSG_NS1_7vsmem_tEENKUlT_SE_SF_SG_E_clIS8_S8_S9_S9_EESD_ST_SE_SF_SG_EUlST_E_NS1_11comp_targetILNS1_3genE2ELNS1_11target_archE906ELNS1_3gpuE6ELNS1_3repE0EEENS1_48merge_mergepath_partition_config_static_selectorELNS0_4arch9wavefront6targetE0EEEvSF_.kd
    .uniform_work_group_size: 1
    .uses_dynamic_stack: false
    .vgpr_count:     0
    .vgpr_spill_count: 0
    .wavefront_size: 32
  - .args:
      - .offset:         0
        .size:           40
        .value_kind:     by_value
    .group_segment_fixed_size: 0
    .kernarg_segment_align: 8
    .kernarg_segment_size: 40
    .language:       OpenCL C
    .language_version:
      - 2
      - 0
    .max_flat_workgroup_size: 128
    .name:           _ZN7rocprim17ROCPRIM_400000_NS6detail17trampoline_kernelINS0_14default_configENS1_38merge_sort_block_merge_config_selectorIsNS0_10empty_typeEEEZZNS1_27merge_sort_block_merge_implIS3_PsPS5_jNS1_19radix_merge_compareILb1ELb1EsNS0_19identity_decomposerEEEEE10hipError_tT0_T1_T2_jT3_P12ihipStream_tbPNSt15iterator_traitsISE_E10value_typeEPNSK_ISF_E10value_typeEPSG_NS1_7vsmem_tEENKUlT_SE_SF_SG_E_clIS8_S8_S9_S9_EESD_ST_SE_SF_SG_EUlST_E_NS1_11comp_targetILNS1_3genE9ELNS1_11target_archE1100ELNS1_3gpuE3ELNS1_3repE0EEENS1_48merge_mergepath_partition_config_static_selectorELNS0_4arch9wavefront6targetE0EEEvSF_
    .private_segment_fixed_size: 0
    .sgpr_count:     0
    .sgpr_spill_count: 0
    .symbol:         _ZN7rocprim17ROCPRIM_400000_NS6detail17trampoline_kernelINS0_14default_configENS1_38merge_sort_block_merge_config_selectorIsNS0_10empty_typeEEEZZNS1_27merge_sort_block_merge_implIS3_PsPS5_jNS1_19radix_merge_compareILb1ELb1EsNS0_19identity_decomposerEEEEE10hipError_tT0_T1_T2_jT3_P12ihipStream_tbPNSt15iterator_traitsISE_E10value_typeEPNSK_ISF_E10value_typeEPSG_NS1_7vsmem_tEENKUlT_SE_SF_SG_E_clIS8_S8_S9_S9_EESD_ST_SE_SF_SG_EUlST_E_NS1_11comp_targetILNS1_3genE9ELNS1_11target_archE1100ELNS1_3gpuE3ELNS1_3repE0EEENS1_48merge_mergepath_partition_config_static_selectorELNS0_4arch9wavefront6targetE0EEEvSF_.kd
    .uniform_work_group_size: 1
    .uses_dynamic_stack: false
    .vgpr_count:     0
    .vgpr_spill_count: 0
    .wavefront_size: 32
  - .args:
      - .offset:         0
        .size:           40
        .value_kind:     by_value
    .group_segment_fixed_size: 0
    .kernarg_segment_align: 8
    .kernarg_segment_size: 40
    .language:       OpenCL C
    .language_version:
      - 2
      - 0
    .max_flat_workgroup_size: 128
    .name:           _ZN7rocprim17ROCPRIM_400000_NS6detail17trampoline_kernelINS0_14default_configENS1_38merge_sort_block_merge_config_selectorIsNS0_10empty_typeEEEZZNS1_27merge_sort_block_merge_implIS3_PsPS5_jNS1_19radix_merge_compareILb1ELb1EsNS0_19identity_decomposerEEEEE10hipError_tT0_T1_T2_jT3_P12ihipStream_tbPNSt15iterator_traitsISE_E10value_typeEPNSK_ISF_E10value_typeEPSG_NS1_7vsmem_tEENKUlT_SE_SF_SG_E_clIS8_S8_S9_S9_EESD_ST_SE_SF_SG_EUlST_E_NS1_11comp_targetILNS1_3genE8ELNS1_11target_archE1030ELNS1_3gpuE2ELNS1_3repE0EEENS1_48merge_mergepath_partition_config_static_selectorELNS0_4arch9wavefront6targetE0EEEvSF_
    .private_segment_fixed_size: 0
    .sgpr_count:     0
    .sgpr_spill_count: 0
    .symbol:         _ZN7rocprim17ROCPRIM_400000_NS6detail17trampoline_kernelINS0_14default_configENS1_38merge_sort_block_merge_config_selectorIsNS0_10empty_typeEEEZZNS1_27merge_sort_block_merge_implIS3_PsPS5_jNS1_19radix_merge_compareILb1ELb1EsNS0_19identity_decomposerEEEEE10hipError_tT0_T1_T2_jT3_P12ihipStream_tbPNSt15iterator_traitsISE_E10value_typeEPNSK_ISF_E10value_typeEPSG_NS1_7vsmem_tEENKUlT_SE_SF_SG_E_clIS8_S8_S9_S9_EESD_ST_SE_SF_SG_EUlST_E_NS1_11comp_targetILNS1_3genE8ELNS1_11target_archE1030ELNS1_3gpuE2ELNS1_3repE0EEENS1_48merge_mergepath_partition_config_static_selectorELNS0_4arch9wavefront6targetE0EEEvSF_.kd
    .uniform_work_group_size: 1
    .uses_dynamic_stack: false
    .vgpr_count:     0
    .vgpr_spill_count: 0
    .wavefront_size: 32
  - .args:
      - .offset:         0
        .size:           64
        .value_kind:     by_value
      - .offset:         64
        .size:           4
        .value_kind:     hidden_block_count_x
      - .offset:         68
        .size:           4
        .value_kind:     hidden_block_count_y
      - .offset:         72
        .size:           4
        .value_kind:     hidden_block_count_z
      - .offset:         76
        .size:           2
        .value_kind:     hidden_group_size_x
      - .offset:         78
        .size:           2
        .value_kind:     hidden_group_size_y
      - .offset:         80
        .size:           2
        .value_kind:     hidden_group_size_z
      - .offset:         82
        .size:           2
        .value_kind:     hidden_remainder_x
      - .offset:         84
        .size:           2
        .value_kind:     hidden_remainder_y
      - .offset:         86
        .size:           2
        .value_kind:     hidden_remainder_z
      - .offset:         104
        .size:           8
        .value_kind:     hidden_global_offset_x
      - .offset:         112
        .size:           8
        .value_kind:     hidden_global_offset_y
      - .offset:         120
        .size:           8
        .value_kind:     hidden_global_offset_z
      - .offset:         128
        .size:           2
        .value_kind:     hidden_grid_dims
    .group_segment_fixed_size: 2112
    .kernarg_segment_align: 8
    .kernarg_segment_size: 320
    .language:       OpenCL C
    .language_version:
      - 2
      - 0
    .max_flat_workgroup_size: 128
    .name:           _ZN7rocprim17ROCPRIM_400000_NS6detail17trampoline_kernelINS0_14default_configENS1_38merge_sort_block_merge_config_selectorIsNS0_10empty_typeEEEZZNS1_27merge_sort_block_merge_implIS3_PsPS5_jNS1_19radix_merge_compareILb1ELb1EsNS0_19identity_decomposerEEEEE10hipError_tT0_T1_T2_jT3_P12ihipStream_tbPNSt15iterator_traitsISE_E10value_typeEPNSK_ISF_E10value_typeEPSG_NS1_7vsmem_tEENKUlT_SE_SF_SG_E_clIS8_S8_S9_S9_EESD_ST_SE_SF_SG_EUlST_E0_NS1_11comp_targetILNS1_3genE0ELNS1_11target_archE4294967295ELNS1_3gpuE0ELNS1_3repE0EEENS1_38merge_mergepath_config_static_selectorELNS0_4arch9wavefront6targetE0EEEvSF_
    .private_segment_fixed_size: 0
    .sgpr_count:     25
    .sgpr_spill_count: 0
    .symbol:         _ZN7rocprim17ROCPRIM_400000_NS6detail17trampoline_kernelINS0_14default_configENS1_38merge_sort_block_merge_config_selectorIsNS0_10empty_typeEEEZZNS1_27merge_sort_block_merge_implIS3_PsPS5_jNS1_19radix_merge_compareILb1ELb1EsNS0_19identity_decomposerEEEEE10hipError_tT0_T1_T2_jT3_P12ihipStream_tbPNSt15iterator_traitsISE_E10value_typeEPNSK_ISF_E10value_typeEPSG_NS1_7vsmem_tEENKUlT_SE_SF_SG_E_clIS8_S8_S9_S9_EESD_ST_SE_SF_SG_EUlST_E0_NS1_11comp_targetILNS1_3genE0ELNS1_11target_archE4294967295ELNS1_3gpuE0ELNS1_3repE0EEENS1_38merge_mergepath_config_static_selectorELNS0_4arch9wavefront6targetE0EEEvSF_.kd
    .uniform_work_group_size: 1
    .uses_dynamic_stack: false
    .vgpr_count:     27
    .vgpr_spill_count: 0
    .wavefront_size: 32
  - .args:
      - .offset:         0
        .size:           64
        .value_kind:     by_value
    .group_segment_fixed_size: 0
    .kernarg_segment_align: 8
    .kernarg_segment_size: 64
    .language:       OpenCL C
    .language_version:
      - 2
      - 0
    .max_flat_workgroup_size: 128
    .name:           _ZN7rocprim17ROCPRIM_400000_NS6detail17trampoline_kernelINS0_14default_configENS1_38merge_sort_block_merge_config_selectorIsNS0_10empty_typeEEEZZNS1_27merge_sort_block_merge_implIS3_PsPS5_jNS1_19radix_merge_compareILb1ELb1EsNS0_19identity_decomposerEEEEE10hipError_tT0_T1_T2_jT3_P12ihipStream_tbPNSt15iterator_traitsISE_E10value_typeEPNSK_ISF_E10value_typeEPSG_NS1_7vsmem_tEENKUlT_SE_SF_SG_E_clIS8_S8_S9_S9_EESD_ST_SE_SF_SG_EUlST_E0_NS1_11comp_targetILNS1_3genE10ELNS1_11target_archE1201ELNS1_3gpuE5ELNS1_3repE0EEENS1_38merge_mergepath_config_static_selectorELNS0_4arch9wavefront6targetE0EEEvSF_
    .private_segment_fixed_size: 0
    .sgpr_count:     0
    .sgpr_spill_count: 0
    .symbol:         _ZN7rocprim17ROCPRIM_400000_NS6detail17trampoline_kernelINS0_14default_configENS1_38merge_sort_block_merge_config_selectorIsNS0_10empty_typeEEEZZNS1_27merge_sort_block_merge_implIS3_PsPS5_jNS1_19radix_merge_compareILb1ELb1EsNS0_19identity_decomposerEEEEE10hipError_tT0_T1_T2_jT3_P12ihipStream_tbPNSt15iterator_traitsISE_E10value_typeEPNSK_ISF_E10value_typeEPSG_NS1_7vsmem_tEENKUlT_SE_SF_SG_E_clIS8_S8_S9_S9_EESD_ST_SE_SF_SG_EUlST_E0_NS1_11comp_targetILNS1_3genE10ELNS1_11target_archE1201ELNS1_3gpuE5ELNS1_3repE0EEENS1_38merge_mergepath_config_static_selectorELNS0_4arch9wavefront6targetE0EEEvSF_.kd
    .uniform_work_group_size: 1
    .uses_dynamic_stack: false
    .vgpr_count:     0
    .vgpr_spill_count: 0
    .wavefront_size: 32
  - .args:
      - .offset:         0
        .size:           64
        .value_kind:     by_value
    .group_segment_fixed_size: 0
    .kernarg_segment_align: 8
    .kernarg_segment_size: 64
    .language:       OpenCL C
    .language_version:
      - 2
      - 0
    .max_flat_workgroup_size: 128
    .name:           _ZN7rocprim17ROCPRIM_400000_NS6detail17trampoline_kernelINS0_14default_configENS1_38merge_sort_block_merge_config_selectorIsNS0_10empty_typeEEEZZNS1_27merge_sort_block_merge_implIS3_PsPS5_jNS1_19radix_merge_compareILb1ELb1EsNS0_19identity_decomposerEEEEE10hipError_tT0_T1_T2_jT3_P12ihipStream_tbPNSt15iterator_traitsISE_E10value_typeEPNSK_ISF_E10value_typeEPSG_NS1_7vsmem_tEENKUlT_SE_SF_SG_E_clIS8_S8_S9_S9_EESD_ST_SE_SF_SG_EUlST_E0_NS1_11comp_targetILNS1_3genE5ELNS1_11target_archE942ELNS1_3gpuE9ELNS1_3repE0EEENS1_38merge_mergepath_config_static_selectorELNS0_4arch9wavefront6targetE0EEEvSF_
    .private_segment_fixed_size: 0
    .sgpr_count:     0
    .sgpr_spill_count: 0
    .symbol:         _ZN7rocprim17ROCPRIM_400000_NS6detail17trampoline_kernelINS0_14default_configENS1_38merge_sort_block_merge_config_selectorIsNS0_10empty_typeEEEZZNS1_27merge_sort_block_merge_implIS3_PsPS5_jNS1_19radix_merge_compareILb1ELb1EsNS0_19identity_decomposerEEEEE10hipError_tT0_T1_T2_jT3_P12ihipStream_tbPNSt15iterator_traitsISE_E10value_typeEPNSK_ISF_E10value_typeEPSG_NS1_7vsmem_tEENKUlT_SE_SF_SG_E_clIS8_S8_S9_S9_EESD_ST_SE_SF_SG_EUlST_E0_NS1_11comp_targetILNS1_3genE5ELNS1_11target_archE942ELNS1_3gpuE9ELNS1_3repE0EEENS1_38merge_mergepath_config_static_selectorELNS0_4arch9wavefront6targetE0EEEvSF_.kd
    .uniform_work_group_size: 1
    .uses_dynamic_stack: false
    .vgpr_count:     0
    .vgpr_spill_count: 0
    .wavefront_size: 32
  - .args:
      - .offset:         0
        .size:           64
        .value_kind:     by_value
    .group_segment_fixed_size: 0
    .kernarg_segment_align: 8
    .kernarg_segment_size: 64
    .language:       OpenCL C
    .language_version:
      - 2
      - 0
    .max_flat_workgroup_size: 128
    .name:           _ZN7rocprim17ROCPRIM_400000_NS6detail17trampoline_kernelINS0_14default_configENS1_38merge_sort_block_merge_config_selectorIsNS0_10empty_typeEEEZZNS1_27merge_sort_block_merge_implIS3_PsPS5_jNS1_19radix_merge_compareILb1ELb1EsNS0_19identity_decomposerEEEEE10hipError_tT0_T1_T2_jT3_P12ihipStream_tbPNSt15iterator_traitsISE_E10value_typeEPNSK_ISF_E10value_typeEPSG_NS1_7vsmem_tEENKUlT_SE_SF_SG_E_clIS8_S8_S9_S9_EESD_ST_SE_SF_SG_EUlST_E0_NS1_11comp_targetILNS1_3genE4ELNS1_11target_archE910ELNS1_3gpuE8ELNS1_3repE0EEENS1_38merge_mergepath_config_static_selectorELNS0_4arch9wavefront6targetE0EEEvSF_
    .private_segment_fixed_size: 0
    .sgpr_count:     0
    .sgpr_spill_count: 0
    .symbol:         _ZN7rocprim17ROCPRIM_400000_NS6detail17trampoline_kernelINS0_14default_configENS1_38merge_sort_block_merge_config_selectorIsNS0_10empty_typeEEEZZNS1_27merge_sort_block_merge_implIS3_PsPS5_jNS1_19radix_merge_compareILb1ELb1EsNS0_19identity_decomposerEEEEE10hipError_tT0_T1_T2_jT3_P12ihipStream_tbPNSt15iterator_traitsISE_E10value_typeEPNSK_ISF_E10value_typeEPSG_NS1_7vsmem_tEENKUlT_SE_SF_SG_E_clIS8_S8_S9_S9_EESD_ST_SE_SF_SG_EUlST_E0_NS1_11comp_targetILNS1_3genE4ELNS1_11target_archE910ELNS1_3gpuE8ELNS1_3repE0EEENS1_38merge_mergepath_config_static_selectorELNS0_4arch9wavefront6targetE0EEEvSF_.kd
    .uniform_work_group_size: 1
    .uses_dynamic_stack: false
    .vgpr_count:     0
    .vgpr_spill_count: 0
    .wavefront_size: 32
  - .args:
      - .offset:         0
        .size:           64
        .value_kind:     by_value
    .group_segment_fixed_size: 0
    .kernarg_segment_align: 8
    .kernarg_segment_size: 64
    .language:       OpenCL C
    .language_version:
      - 2
      - 0
    .max_flat_workgroup_size: 128
    .name:           _ZN7rocprim17ROCPRIM_400000_NS6detail17trampoline_kernelINS0_14default_configENS1_38merge_sort_block_merge_config_selectorIsNS0_10empty_typeEEEZZNS1_27merge_sort_block_merge_implIS3_PsPS5_jNS1_19radix_merge_compareILb1ELb1EsNS0_19identity_decomposerEEEEE10hipError_tT0_T1_T2_jT3_P12ihipStream_tbPNSt15iterator_traitsISE_E10value_typeEPNSK_ISF_E10value_typeEPSG_NS1_7vsmem_tEENKUlT_SE_SF_SG_E_clIS8_S8_S9_S9_EESD_ST_SE_SF_SG_EUlST_E0_NS1_11comp_targetILNS1_3genE3ELNS1_11target_archE908ELNS1_3gpuE7ELNS1_3repE0EEENS1_38merge_mergepath_config_static_selectorELNS0_4arch9wavefront6targetE0EEEvSF_
    .private_segment_fixed_size: 0
    .sgpr_count:     0
    .sgpr_spill_count: 0
    .symbol:         _ZN7rocprim17ROCPRIM_400000_NS6detail17trampoline_kernelINS0_14default_configENS1_38merge_sort_block_merge_config_selectorIsNS0_10empty_typeEEEZZNS1_27merge_sort_block_merge_implIS3_PsPS5_jNS1_19radix_merge_compareILb1ELb1EsNS0_19identity_decomposerEEEEE10hipError_tT0_T1_T2_jT3_P12ihipStream_tbPNSt15iterator_traitsISE_E10value_typeEPNSK_ISF_E10value_typeEPSG_NS1_7vsmem_tEENKUlT_SE_SF_SG_E_clIS8_S8_S9_S9_EESD_ST_SE_SF_SG_EUlST_E0_NS1_11comp_targetILNS1_3genE3ELNS1_11target_archE908ELNS1_3gpuE7ELNS1_3repE0EEENS1_38merge_mergepath_config_static_selectorELNS0_4arch9wavefront6targetE0EEEvSF_.kd
    .uniform_work_group_size: 1
    .uses_dynamic_stack: false
    .vgpr_count:     0
    .vgpr_spill_count: 0
    .wavefront_size: 32
  - .args:
      - .offset:         0
        .size:           64
        .value_kind:     by_value
    .group_segment_fixed_size: 0
    .kernarg_segment_align: 8
    .kernarg_segment_size: 64
    .language:       OpenCL C
    .language_version:
      - 2
      - 0
    .max_flat_workgroup_size: 128
    .name:           _ZN7rocprim17ROCPRIM_400000_NS6detail17trampoline_kernelINS0_14default_configENS1_38merge_sort_block_merge_config_selectorIsNS0_10empty_typeEEEZZNS1_27merge_sort_block_merge_implIS3_PsPS5_jNS1_19radix_merge_compareILb1ELb1EsNS0_19identity_decomposerEEEEE10hipError_tT0_T1_T2_jT3_P12ihipStream_tbPNSt15iterator_traitsISE_E10value_typeEPNSK_ISF_E10value_typeEPSG_NS1_7vsmem_tEENKUlT_SE_SF_SG_E_clIS8_S8_S9_S9_EESD_ST_SE_SF_SG_EUlST_E0_NS1_11comp_targetILNS1_3genE2ELNS1_11target_archE906ELNS1_3gpuE6ELNS1_3repE0EEENS1_38merge_mergepath_config_static_selectorELNS0_4arch9wavefront6targetE0EEEvSF_
    .private_segment_fixed_size: 0
    .sgpr_count:     0
    .sgpr_spill_count: 0
    .symbol:         _ZN7rocprim17ROCPRIM_400000_NS6detail17trampoline_kernelINS0_14default_configENS1_38merge_sort_block_merge_config_selectorIsNS0_10empty_typeEEEZZNS1_27merge_sort_block_merge_implIS3_PsPS5_jNS1_19radix_merge_compareILb1ELb1EsNS0_19identity_decomposerEEEEE10hipError_tT0_T1_T2_jT3_P12ihipStream_tbPNSt15iterator_traitsISE_E10value_typeEPNSK_ISF_E10value_typeEPSG_NS1_7vsmem_tEENKUlT_SE_SF_SG_E_clIS8_S8_S9_S9_EESD_ST_SE_SF_SG_EUlST_E0_NS1_11comp_targetILNS1_3genE2ELNS1_11target_archE906ELNS1_3gpuE6ELNS1_3repE0EEENS1_38merge_mergepath_config_static_selectorELNS0_4arch9wavefront6targetE0EEEvSF_.kd
    .uniform_work_group_size: 1
    .uses_dynamic_stack: false
    .vgpr_count:     0
    .vgpr_spill_count: 0
    .wavefront_size: 32
  - .args:
      - .offset:         0
        .size:           64
        .value_kind:     by_value
    .group_segment_fixed_size: 0
    .kernarg_segment_align: 8
    .kernarg_segment_size: 64
    .language:       OpenCL C
    .language_version:
      - 2
      - 0
    .max_flat_workgroup_size: 128
    .name:           _ZN7rocprim17ROCPRIM_400000_NS6detail17trampoline_kernelINS0_14default_configENS1_38merge_sort_block_merge_config_selectorIsNS0_10empty_typeEEEZZNS1_27merge_sort_block_merge_implIS3_PsPS5_jNS1_19radix_merge_compareILb1ELb1EsNS0_19identity_decomposerEEEEE10hipError_tT0_T1_T2_jT3_P12ihipStream_tbPNSt15iterator_traitsISE_E10value_typeEPNSK_ISF_E10value_typeEPSG_NS1_7vsmem_tEENKUlT_SE_SF_SG_E_clIS8_S8_S9_S9_EESD_ST_SE_SF_SG_EUlST_E0_NS1_11comp_targetILNS1_3genE9ELNS1_11target_archE1100ELNS1_3gpuE3ELNS1_3repE0EEENS1_38merge_mergepath_config_static_selectorELNS0_4arch9wavefront6targetE0EEEvSF_
    .private_segment_fixed_size: 0
    .sgpr_count:     0
    .sgpr_spill_count: 0
    .symbol:         _ZN7rocprim17ROCPRIM_400000_NS6detail17trampoline_kernelINS0_14default_configENS1_38merge_sort_block_merge_config_selectorIsNS0_10empty_typeEEEZZNS1_27merge_sort_block_merge_implIS3_PsPS5_jNS1_19radix_merge_compareILb1ELb1EsNS0_19identity_decomposerEEEEE10hipError_tT0_T1_T2_jT3_P12ihipStream_tbPNSt15iterator_traitsISE_E10value_typeEPNSK_ISF_E10value_typeEPSG_NS1_7vsmem_tEENKUlT_SE_SF_SG_E_clIS8_S8_S9_S9_EESD_ST_SE_SF_SG_EUlST_E0_NS1_11comp_targetILNS1_3genE9ELNS1_11target_archE1100ELNS1_3gpuE3ELNS1_3repE0EEENS1_38merge_mergepath_config_static_selectorELNS0_4arch9wavefront6targetE0EEEvSF_.kd
    .uniform_work_group_size: 1
    .uses_dynamic_stack: false
    .vgpr_count:     0
    .vgpr_spill_count: 0
    .wavefront_size: 32
  - .args:
      - .offset:         0
        .size:           64
        .value_kind:     by_value
    .group_segment_fixed_size: 0
    .kernarg_segment_align: 8
    .kernarg_segment_size: 64
    .language:       OpenCL C
    .language_version:
      - 2
      - 0
    .max_flat_workgroup_size: 128
    .name:           _ZN7rocprim17ROCPRIM_400000_NS6detail17trampoline_kernelINS0_14default_configENS1_38merge_sort_block_merge_config_selectorIsNS0_10empty_typeEEEZZNS1_27merge_sort_block_merge_implIS3_PsPS5_jNS1_19radix_merge_compareILb1ELb1EsNS0_19identity_decomposerEEEEE10hipError_tT0_T1_T2_jT3_P12ihipStream_tbPNSt15iterator_traitsISE_E10value_typeEPNSK_ISF_E10value_typeEPSG_NS1_7vsmem_tEENKUlT_SE_SF_SG_E_clIS8_S8_S9_S9_EESD_ST_SE_SF_SG_EUlST_E0_NS1_11comp_targetILNS1_3genE8ELNS1_11target_archE1030ELNS1_3gpuE2ELNS1_3repE0EEENS1_38merge_mergepath_config_static_selectorELNS0_4arch9wavefront6targetE0EEEvSF_
    .private_segment_fixed_size: 0
    .sgpr_count:     0
    .sgpr_spill_count: 0
    .symbol:         _ZN7rocprim17ROCPRIM_400000_NS6detail17trampoline_kernelINS0_14default_configENS1_38merge_sort_block_merge_config_selectorIsNS0_10empty_typeEEEZZNS1_27merge_sort_block_merge_implIS3_PsPS5_jNS1_19radix_merge_compareILb1ELb1EsNS0_19identity_decomposerEEEEE10hipError_tT0_T1_T2_jT3_P12ihipStream_tbPNSt15iterator_traitsISE_E10value_typeEPNSK_ISF_E10value_typeEPSG_NS1_7vsmem_tEENKUlT_SE_SF_SG_E_clIS8_S8_S9_S9_EESD_ST_SE_SF_SG_EUlST_E0_NS1_11comp_targetILNS1_3genE8ELNS1_11target_archE1030ELNS1_3gpuE2ELNS1_3repE0EEENS1_38merge_mergepath_config_static_selectorELNS0_4arch9wavefront6targetE0EEEvSF_.kd
    .uniform_work_group_size: 1
    .uses_dynamic_stack: false
    .vgpr_count:     0
    .vgpr_spill_count: 0
    .wavefront_size: 32
  - .args:
      - .offset:         0
        .size:           48
        .value_kind:     by_value
    .group_segment_fixed_size: 0
    .kernarg_segment_align: 8
    .kernarg_segment_size: 48
    .language:       OpenCL C
    .language_version:
      - 2
      - 0
    .max_flat_workgroup_size: 256
    .name:           _ZN7rocprim17ROCPRIM_400000_NS6detail17trampoline_kernelINS0_14default_configENS1_38merge_sort_block_merge_config_selectorIsNS0_10empty_typeEEEZZNS1_27merge_sort_block_merge_implIS3_PsPS5_jNS1_19radix_merge_compareILb1ELb1EsNS0_19identity_decomposerEEEEE10hipError_tT0_T1_T2_jT3_P12ihipStream_tbPNSt15iterator_traitsISE_E10value_typeEPNSK_ISF_E10value_typeEPSG_NS1_7vsmem_tEENKUlT_SE_SF_SG_E_clIS8_S8_S9_S9_EESD_ST_SE_SF_SG_EUlST_E1_NS1_11comp_targetILNS1_3genE0ELNS1_11target_archE4294967295ELNS1_3gpuE0ELNS1_3repE0EEENS1_36merge_oddeven_config_static_selectorELNS0_4arch9wavefront6targetE0EEEvSF_
    .private_segment_fixed_size: 0
    .sgpr_count:     20
    .sgpr_spill_count: 0
    .symbol:         _ZN7rocprim17ROCPRIM_400000_NS6detail17trampoline_kernelINS0_14default_configENS1_38merge_sort_block_merge_config_selectorIsNS0_10empty_typeEEEZZNS1_27merge_sort_block_merge_implIS3_PsPS5_jNS1_19radix_merge_compareILb1ELb1EsNS0_19identity_decomposerEEEEE10hipError_tT0_T1_T2_jT3_P12ihipStream_tbPNSt15iterator_traitsISE_E10value_typeEPNSK_ISF_E10value_typeEPSG_NS1_7vsmem_tEENKUlT_SE_SF_SG_E_clIS8_S8_S9_S9_EESD_ST_SE_SF_SG_EUlST_E1_NS1_11comp_targetILNS1_3genE0ELNS1_11target_archE4294967295ELNS1_3gpuE0ELNS1_3repE0EEENS1_36merge_oddeven_config_static_selectorELNS0_4arch9wavefront6targetE0EEEvSF_.kd
    .uniform_work_group_size: 1
    .uses_dynamic_stack: false
    .vgpr_count:     8
    .vgpr_spill_count: 0
    .wavefront_size: 32
  - .args:
      - .offset:         0
        .size:           48
        .value_kind:     by_value
    .group_segment_fixed_size: 0
    .kernarg_segment_align: 8
    .kernarg_segment_size: 48
    .language:       OpenCL C
    .language_version:
      - 2
      - 0
    .max_flat_workgroup_size: 256
    .name:           _ZN7rocprim17ROCPRIM_400000_NS6detail17trampoline_kernelINS0_14default_configENS1_38merge_sort_block_merge_config_selectorIsNS0_10empty_typeEEEZZNS1_27merge_sort_block_merge_implIS3_PsPS5_jNS1_19radix_merge_compareILb1ELb1EsNS0_19identity_decomposerEEEEE10hipError_tT0_T1_T2_jT3_P12ihipStream_tbPNSt15iterator_traitsISE_E10value_typeEPNSK_ISF_E10value_typeEPSG_NS1_7vsmem_tEENKUlT_SE_SF_SG_E_clIS8_S8_S9_S9_EESD_ST_SE_SF_SG_EUlST_E1_NS1_11comp_targetILNS1_3genE10ELNS1_11target_archE1201ELNS1_3gpuE5ELNS1_3repE0EEENS1_36merge_oddeven_config_static_selectorELNS0_4arch9wavefront6targetE0EEEvSF_
    .private_segment_fixed_size: 0
    .sgpr_count:     0
    .sgpr_spill_count: 0
    .symbol:         _ZN7rocprim17ROCPRIM_400000_NS6detail17trampoline_kernelINS0_14default_configENS1_38merge_sort_block_merge_config_selectorIsNS0_10empty_typeEEEZZNS1_27merge_sort_block_merge_implIS3_PsPS5_jNS1_19radix_merge_compareILb1ELb1EsNS0_19identity_decomposerEEEEE10hipError_tT0_T1_T2_jT3_P12ihipStream_tbPNSt15iterator_traitsISE_E10value_typeEPNSK_ISF_E10value_typeEPSG_NS1_7vsmem_tEENKUlT_SE_SF_SG_E_clIS8_S8_S9_S9_EESD_ST_SE_SF_SG_EUlST_E1_NS1_11comp_targetILNS1_3genE10ELNS1_11target_archE1201ELNS1_3gpuE5ELNS1_3repE0EEENS1_36merge_oddeven_config_static_selectorELNS0_4arch9wavefront6targetE0EEEvSF_.kd
    .uniform_work_group_size: 1
    .uses_dynamic_stack: false
    .vgpr_count:     0
    .vgpr_spill_count: 0
    .wavefront_size: 32
  - .args:
      - .offset:         0
        .size:           48
        .value_kind:     by_value
    .group_segment_fixed_size: 0
    .kernarg_segment_align: 8
    .kernarg_segment_size: 48
    .language:       OpenCL C
    .language_version:
      - 2
      - 0
    .max_flat_workgroup_size: 256
    .name:           _ZN7rocprim17ROCPRIM_400000_NS6detail17trampoline_kernelINS0_14default_configENS1_38merge_sort_block_merge_config_selectorIsNS0_10empty_typeEEEZZNS1_27merge_sort_block_merge_implIS3_PsPS5_jNS1_19radix_merge_compareILb1ELb1EsNS0_19identity_decomposerEEEEE10hipError_tT0_T1_T2_jT3_P12ihipStream_tbPNSt15iterator_traitsISE_E10value_typeEPNSK_ISF_E10value_typeEPSG_NS1_7vsmem_tEENKUlT_SE_SF_SG_E_clIS8_S8_S9_S9_EESD_ST_SE_SF_SG_EUlST_E1_NS1_11comp_targetILNS1_3genE5ELNS1_11target_archE942ELNS1_3gpuE9ELNS1_3repE0EEENS1_36merge_oddeven_config_static_selectorELNS0_4arch9wavefront6targetE0EEEvSF_
    .private_segment_fixed_size: 0
    .sgpr_count:     0
    .sgpr_spill_count: 0
    .symbol:         _ZN7rocprim17ROCPRIM_400000_NS6detail17trampoline_kernelINS0_14default_configENS1_38merge_sort_block_merge_config_selectorIsNS0_10empty_typeEEEZZNS1_27merge_sort_block_merge_implIS3_PsPS5_jNS1_19radix_merge_compareILb1ELb1EsNS0_19identity_decomposerEEEEE10hipError_tT0_T1_T2_jT3_P12ihipStream_tbPNSt15iterator_traitsISE_E10value_typeEPNSK_ISF_E10value_typeEPSG_NS1_7vsmem_tEENKUlT_SE_SF_SG_E_clIS8_S8_S9_S9_EESD_ST_SE_SF_SG_EUlST_E1_NS1_11comp_targetILNS1_3genE5ELNS1_11target_archE942ELNS1_3gpuE9ELNS1_3repE0EEENS1_36merge_oddeven_config_static_selectorELNS0_4arch9wavefront6targetE0EEEvSF_.kd
    .uniform_work_group_size: 1
    .uses_dynamic_stack: false
    .vgpr_count:     0
    .vgpr_spill_count: 0
    .wavefront_size: 32
  - .args:
      - .offset:         0
        .size:           48
        .value_kind:     by_value
    .group_segment_fixed_size: 0
    .kernarg_segment_align: 8
    .kernarg_segment_size: 48
    .language:       OpenCL C
    .language_version:
      - 2
      - 0
    .max_flat_workgroup_size: 256
    .name:           _ZN7rocprim17ROCPRIM_400000_NS6detail17trampoline_kernelINS0_14default_configENS1_38merge_sort_block_merge_config_selectorIsNS0_10empty_typeEEEZZNS1_27merge_sort_block_merge_implIS3_PsPS5_jNS1_19radix_merge_compareILb1ELb1EsNS0_19identity_decomposerEEEEE10hipError_tT0_T1_T2_jT3_P12ihipStream_tbPNSt15iterator_traitsISE_E10value_typeEPNSK_ISF_E10value_typeEPSG_NS1_7vsmem_tEENKUlT_SE_SF_SG_E_clIS8_S8_S9_S9_EESD_ST_SE_SF_SG_EUlST_E1_NS1_11comp_targetILNS1_3genE4ELNS1_11target_archE910ELNS1_3gpuE8ELNS1_3repE0EEENS1_36merge_oddeven_config_static_selectorELNS0_4arch9wavefront6targetE0EEEvSF_
    .private_segment_fixed_size: 0
    .sgpr_count:     0
    .sgpr_spill_count: 0
    .symbol:         _ZN7rocprim17ROCPRIM_400000_NS6detail17trampoline_kernelINS0_14default_configENS1_38merge_sort_block_merge_config_selectorIsNS0_10empty_typeEEEZZNS1_27merge_sort_block_merge_implIS3_PsPS5_jNS1_19radix_merge_compareILb1ELb1EsNS0_19identity_decomposerEEEEE10hipError_tT0_T1_T2_jT3_P12ihipStream_tbPNSt15iterator_traitsISE_E10value_typeEPNSK_ISF_E10value_typeEPSG_NS1_7vsmem_tEENKUlT_SE_SF_SG_E_clIS8_S8_S9_S9_EESD_ST_SE_SF_SG_EUlST_E1_NS1_11comp_targetILNS1_3genE4ELNS1_11target_archE910ELNS1_3gpuE8ELNS1_3repE0EEENS1_36merge_oddeven_config_static_selectorELNS0_4arch9wavefront6targetE0EEEvSF_.kd
    .uniform_work_group_size: 1
    .uses_dynamic_stack: false
    .vgpr_count:     0
    .vgpr_spill_count: 0
    .wavefront_size: 32
  - .args:
      - .offset:         0
        .size:           48
        .value_kind:     by_value
    .group_segment_fixed_size: 0
    .kernarg_segment_align: 8
    .kernarg_segment_size: 48
    .language:       OpenCL C
    .language_version:
      - 2
      - 0
    .max_flat_workgroup_size: 256
    .name:           _ZN7rocprim17ROCPRIM_400000_NS6detail17trampoline_kernelINS0_14default_configENS1_38merge_sort_block_merge_config_selectorIsNS0_10empty_typeEEEZZNS1_27merge_sort_block_merge_implIS3_PsPS5_jNS1_19radix_merge_compareILb1ELb1EsNS0_19identity_decomposerEEEEE10hipError_tT0_T1_T2_jT3_P12ihipStream_tbPNSt15iterator_traitsISE_E10value_typeEPNSK_ISF_E10value_typeEPSG_NS1_7vsmem_tEENKUlT_SE_SF_SG_E_clIS8_S8_S9_S9_EESD_ST_SE_SF_SG_EUlST_E1_NS1_11comp_targetILNS1_3genE3ELNS1_11target_archE908ELNS1_3gpuE7ELNS1_3repE0EEENS1_36merge_oddeven_config_static_selectorELNS0_4arch9wavefront6targetE0EEEvSF_
    .private_segment_fixed_size: 0
    .sgpr_count:     0
    .sgpr_spill_count: 0
    .symbol:         _ZN7rocprim17ROCPRIM_400000_NS6detail17trampoline_kernelINS0_14default_configENS1_38merge_sort_block_merge_config_selectorIsNS0_10empty_typeEEEZZNS1_27merge_sort_block_merge_implIS3_PsPS5_jNS1_19radix_merge_compareILb1ELb1EsNS0_19identity_decomposerEEEEE10hipError_tT0_T1_T2_jT3_P12ihipStream_tbPNSt15iterator_traitsISE_E10value_typeEPNSK_ISF_E10value_typeEPSG_NS1_7vsmem_tEENKUlT_SE_SF_SG_E_clIS8_S8_S9_S9_EESD_ST_SE_SF_SG_EUlST_E1_NS1_11comp_targetILNS1_3genE3ELNS1_11target_archE908ELNS1_3gpuE7ELNS1_3repE0EEENS1_36merge_oddeven_config_static_selectorELNS0_4arch9wavefront6targetE0EEEvSF_.kd
    .uniform_work_group_size: 1
    .uses_dynamic_stack: false
    .vgpr_count:     0
    .vgpr_spill_count: 0
    .wavefront_size: 32
  - .args:
      - .offset:         0
        .size:           48
        .value_kind:     by_value
    .group_segment_fixed_size: 0
    .kernarg_segment_align: 8
    .kernarg_segment_size: 48
    .language:       OpenCL C
    .language_version:
      - 2
      - 0
    .max_flat_workgroup_size: 256
    .name:           _ZN7rocprim17ROCPRIM_400000_NS6detail17trampoline_kernelINS0_14default_configENS1_38merge_sort_block_merge_config_selectorIsNS0_10empty_typeEEEZZNS1_27merge_sort_block_merge_implIS3_PsPS5_jNS1_19radix_merge_compareILb1ELb1EsNS0_19identity_decomposerEEEEE10hipError_tT0_T1_T2_jT3_P12ihipStream_tbPNSt15iterator_traitsISE_E10value_typeEPNSK_ISF_E10value_typeEPSG_NS1_7vsmem_tEENKUlT_SE_SF_SG_E_clIS8_S8_S9_S9_EESD_ST_SE_SF_SG_EUlST_E1_NS1_11comp_targetILNS1_3genE2ELNS1_11target_archE906ELNS1_3gpuE6ELNS1_3repE0EEENS1_36merge_oddeven_config_static_selectorELNS0_4arch9wavefront6targetE0EEEvSF_
    .private_segment_fixed_size: 0
    .sgpr_count:     0
    .sgpr_spill_count: 0
    .symbol:         _ZN7rocprim17ROCPRIM_400000_NS6detail17trampoline_kernelINS0_14default_configENS1_38merge_sort_block_merge_config_selectorIsNS0_10empty_typeEEEZZNS1_27merge_sort_block_merge_implIS3_PsPS5_jNS1_19radix_merge_compareILb1ELb1EsNS0_19identity_decomposerEEEEE10hipError_tT0_T1_T2_jT3_P12ihipStream_tbPNSt15iterator_traitsISE_E10value_typeEPNSK_ISF_E10value_typeEPSG_NS1_7vsmem_tEENKUlT_SE_SF_SG_E_clIS8_S8_S9_S9_EESD_ST_SE_SF_SG_EUlST_E1_NS1_11comp_targetILNS1_3genE2ELNS1_11target_archE906ELNS1_3gpuE6ELNS1_3repE0EEENS1_36merge_oddeven_config_static_selectorELNS0_4arch9wavefront6targetE0EEEvSF_.kd
    .uniform_work_group_size: 1
    .uses_dynamic_stack: false
    .vgpr_count:     0
    .vgpr_spill_count: 0
    .wavefront_size: 32
  - .args:
      - .offset:         0
        .size:           48
        .value_kind:     by_value
    .group_segment_fixed_size: 0
    .kernarg_segment_align: 8
    .kernarg_segment_size: 48
    .language:       OpenCL C
    .language_version:
      - 2
      - 0
    .max_flat_workgroup_size: 256
    .name:           _ZN7rocprim17ROCPRIM_400000_NS6detail17trampoline_kernelINS0_14default_configENS1_38merge_sort_block_merge_config_selectorIsNS0_10empty_typeEEEZZNS1_27merge_sort_block_merge_implIS3_PsPS5_jNS1_19radix_merge_compareILb1ELb1EsNS0_19identity_decomposerEEEEE10hipError_tT0_T1_T2_jT3_P12ihipStream_tbPNSt15iterator_traitsISE_E10value_typeEPNSK_ISF_E10value_typeEPSG_NS1_7vsmem_tEENKUlT_SE_SF_SG_E_clIS8_S8_S9_S9_EESD_ST_SE_SF_SG_EUlST_E1_NS1_11comp_targetILNS1_3genE9ELNS1_11target_archE1100ELNS1_3gpuE3ELNS1_3repE0EEENS1_36merge_oddeven_config_static_selectorELNS0_4arch9wavefront6targetE0EEEvSF_
    .private_segment_fixed_size: 0
    .sgpr_count:     0
    .sgpr_spill_count: 0
    .symbol:         _ZN7rocprim17ROCPRIM_400000_NS6detail17trampoline_kernelINS0_14default_configENS1_38merge_sort_block_merge_config_selectorIsNS0_10empty_typeEEEZZNS1_27merge_sort_block_merge_implIS3_PsPS5_jNS1_19radix_merge_compareILb1ELb1EsNS0_19identity_decomposerEEEEE10hipError_tT0_T1_T2_jT3_P12ihipStream_tbPNSt15iterator_traitsISE_E10value_typeEPNSK_ISF_E10value_typeEPSG_NS1_7vsmem_tEENKUlT_SE_SF_SG_E_clIS8_S8_S9_S9_EESD_ST_SE_SF_SG_EUlST_E1_NS1_11comp_targetILNS1_3genE9ELNS1_11target_archE1100ELNS1_3gpuE3ELNS1_3repE0EEENS1_36merge_oddeven_config_static_selectorELNS0_4arch9wavefront6targetE0EEEvSF_.kd
    .uniform_work_group_size: 1
    .uses_dynamic_stack: false
    .vgpr_count:     0
    .vgpr_spill_count: 0
    .wavefront_size: 32
  - .args:
      - .offset:         0
        .size:           48
        .value_kind:     by_value
    .group_segment_fixed_size: 0
    .kernarg_segment_align: 8
    .kernarg_segment_size: 48
    .language:       OpenCL C
    .language_version:
      - 2
      - 0
    .max_flat_workgroup_size: 256
    .name:           _ZN7rocprim17ROCPRIM_400000_NS6detail17trampoline_kernelINS0_14default_configENS1_38merge_sort_block_merge_config_selectorIsNS0_10empty_typeEEEZZNS1_27merge_sort_block_merge_implIS3_PsPS5_jNS1_19radix_merge_compareILb1ELb1EsNS0_19identity_decomposerEEEEE10hipError_tT0_T1_T2_jT3_P12ihipStream_tbPNSt15iterator_traitsISE_E10value_typeEPNSK_ISF_E10value_typeEPSG_NS1_7vsmem_tEENKUlT_SE_SF_SG_E_clIS8_S8_S9_S9_EESD_ST_SE_SF_SG_EUlST_E1_NS1_11comp_targetILNS1_3genE8ELNS1_11target_archE1030ELNS1_3gpuE2ELNS1_3repE0EEENS1_36merge_oddeven_config_static_selectorELNS0_4arch9wavefront6targetE0EEEvSF_
    .private_segment_fixed_size: 0
    .sgpr_count:     0
    .sgpr_spill_count: 0
    .symbol:         _ZN7rocprim17ROCPRIM_400000_NS6detail17trampoline_kernelINS0_14default_configENS1_38merge_sort_block_merge_config_selectorIsNS0_10empty_typeEEEZZNS1_27merge_sort_block_merge_implIS3_PsPS5_jNS1_19radix_merge_compareILb1ELb1EsNS0_19identity_decomposerEEEEE10hipError_tT0_T1_T2_jT3_P12ihipStream_tbPNSt15iterator_traitsISE_E10value_typeEPNSK_ISF_E10value_typeEPSG_NS1_7vsmem_tEENKUlT_SE_SF_SG_E_clIS8_S8_S9_S9_EESD_ST_SE_SF_SG_EUlST_E1_NS1_11comp_targetILNS1_3genE8ELNS1_11target_archE1030ELNS1_3gpuE2ELNS1_3repE0EEENS1_36merge_oddeven_config_static_selectorELNS0_4arch9wavefront6targetE0EEEvSF_.kd
    .uniform_work_group_size: 1
    .uses_dynamic_stack: false
    .vgpr_count:     0
    .vgpr_spill_count: 0
    .wavefront_size: 32
  - .args:
      - .offset:         0
        .size:           48
        .value_kind:     by_value
    .group_segment_fixed_size: 8192
    .kernarg_segment_align: 8
    .kernarg_segment_size: 48
    .language:       OpenCL C
    .language_version:
      - 2
      - 0
    .max_flat_workgroup_size: 512
    .name:           _ZN7rocprim17ROCPRIM_400000_NS6detail17trampoline_kernelINS0_14default_configENS1_35radix_sort_onesweep_config_selectorIsNS0_10empty_typeEEEZNS1_34radix_sort_onesweep_global_offsetsIS3_Lb1EPKsPS5_mNS0_19identity_decomposerEEE10hipError_tT1_T2_PT3_SF_jT4_jjP12ihipStream_tbEUlT_E_NS1_11comp_targetILNS1_3genE0ELNS1_11target_archE4294967295ELNS1_3gpuE0ELNS1_3repE0EEENS1_52radix_sort_onesweep_histogram_config_static_selectorELNS0_4arch9wavefront6targetE0EEEvSD_
    .private_segment_fixed_size: 0
    .sgpr_count:     15
    .sgpr_spill_count: 0
    .symbol:         _ZN7rocprim17ROCPRIM_400000_NS6detail17trampoline_kernelINS0_14default_configENS1_35radix_sort_onesweep_config_selectorIsNS0_10empty_typeEEEZNS1_34radix_sort_onesweep_global_offsetsIS3_Lb1EPKsPS5_mNS0_19identity_decomposerEEE10hipError_tT1_T2_PT3_SF_jT4_jjP12ihipStream_tbEUlT_E_NS1_11comp_targetILNS1_3genE0ELNS1_11target_archE4294967295ELNS1_3gpuE0ELNS1_3repE0EEENS1_52radix_sort_onesweep_histogram_config_static_selectorELNS0_4arch9wavefront6targetE0EEEvSD_.kd
    .uniform_work_group_size: 1
    .uses_dynamic_stack: false
    .vgpr_count:     23
    .vgpr_spill_count: 0
    .wavefront_size: 32
  - .args:
      - .offset:         0
        .size:           48
        .value_kind:     by_value
    .group_segment_fixed_size: 0
    .kernarg_segment_align: 8
    .kernarg_segment_size: 48
    .language:       OpenCL C
    .language_version:
      - 2
      - 0
    .max_flat_workgroup_size: 1024
    .name:           _ZN7rocprim17ROCPRIM_400000_NS6detail17trampoline_kernelINS0_14default_configENS1_35radix_sort_onesweep_config_selectorIsNS0_10empty_typeEEEZNS1_34radix_sort_onesweep_global_offsetsIS3_Lb1EPKsPS5_mNS0_19identity_decomposerEEE10hipError_tT1_T2_PT3_SF_jT4_jjP12ihipStream_tbEUlT_E_NS1_11comp_targetILNS1_3genE6ELNS1_11target_archE950ELNS1_3gpuE13ELNS1_3repE0EEENS1_52radix_sort_onesweep_histogram_config_static_selectorELNS0_4arch9wavefront6targetE0EEEvSD_
    .private_segment_fixed_size: 0
    .sgpr_count:     0
    .sgpr_spill_count: 0
    .symbol:         _ZN7rocprim17ROCPRIM_400000_NS6detail17trampoline_kernelINS0_14default_configENS1_35radix_sort_onesweep_config_selectorIsNS0_10empty_typeEEEZNS1_34radix_sort_onesweep_global_offsetsIS3_Lb1EPKsPS5_mNS0_19identity_decomposerEEE10hipError_tT1_T2_PT3_SF_jT4_jjP12ihipStream_tbEUlT_E_NS1_11comp_targetILNS1_3genE6ELNS1_11target_archE950ELNS1_3gpuE13ELNS1_3repE0EEENS1_52radix_sort_onesweep_histogram_config_static_selectorELNS0_4arch9wavefront6targetE0EEEvSD_.kd
    .uniform_work_group_size: 1
    .uses_dynamic_stack: false
    .vgpr_count:     0
    .vgpr_spill_count: 0
    .wavefront_size: 32
  - .args:
      - .offset:         0
        .size:           48
        .value_kind:     by_value
    .group_segment_fixed_size: 0
    .kernarg_segment_align: 8
    .kernarg_segment_size: 48
    .language:       OpenCL C
    .language_version:
      - 2
      - 0
    .max_flat_workgroup_size: 1024
    .name:           _ZN7rocprim17ROCPRIM_400000_NS6detail17trampoline_kernelINS0_14default_configENS1_35radix_sort_onesweep_config_selectorIsNS0_10empty_typeEEEZNS1_34radix_sort_onesweep_global_offsetsIS3_Lb1EPKsPS5_mNS0_19identity_decomposerEEE10hipError_tT1_T2_PT3_SF_jT4_jjP12ihipStream_tbEUlT_E_NS1_11comp_targetILNS1_3genE5ELNS1_11target_archE942ELNS1_3gpuE9ELNS1_3repE0EEENS1_52radix_sort_onesweep_histogram_config_static_selectorELNS0_4arch9wavefront6targetE0EEEvSD_
    .private_segment_fixed_size: 0
    .sgpr_count:     0
    .sgpr_spill_count: 0
    .symbol:         _ZN7rocprim17ROCPRIM_400000_NS6detail17trampoline_kernelINS0_14default_configENS1_35radix_sort_onesweep_config_selectorIsNS0_10empty_typeEEEZNS1_34radix_sort_onesweep_global_offsetsIS3_Lb1EPKsPS5_mNS0_19identity_decomposerEEE10hipError_tT1_T2_PT3_SF_jT4_jjP12ihipStream_tbEUlT_E_NS1_11comp_targetILNS1_3genE5ELNS1_11target_archE942ELNS1_3gpuE9ELNS1_3repE0EEENS1_52radix_sort_onesweep_histogram_config_static_selectorELNS0_4arch9wavefront6targetE0EEEvSD_.kd
    .uniform_work_group_size: 1
    .uses_dynamic_stack: false
    .vgpr_count:     0
    .vgpr_spill_count: 0
    .wavefront_size: 32
  - .args:
      - .offset:         0
        .size:           48
        .value_kind:     by_value
    .group_segment_fixed_size: 0
    .kernarg_segment_align: 8
    .kernarg_segment_size: 48
    .language:       OpenCL C
    .language_version:
      - 2
      - 0
    .max_flat_workgroup_size: 512
    .name:           _ZN7rocprim17ROCPRIM_400000_NS6detail17trampoline_kernelINS0_14default_configENS1_35radix_sort_onesweep_config_selectorIsNS0_10empty_typeEEEZNS1_34radix_sort_onesweep_global_offsetsIS3_Lb1EPKsPS5_mNS0_19identity_decomposerEEE10hipError_tT1_T2_PT3_SF_jT4_jjP12ihipStream_tbEUlT_E_NS1_11comp_targetILNS1_3genE2ELNS1_11target_archE906ELNS1_3gpuE6ELNS1_3repE0EEENS1_52radix_sort_onesweep_histogram_config_static_selectorELNS0_4arch9wavefront6targetE0EEEvSD_
    .private_segment_fixed_size: 0
    .sgpr_count:     0
    .sgpr_spill_count: 0
    .symbol:         _ZN7rocprim17ROCPRIM_400000_NS6detail17trampoline_kernelINS0_14default_configENS1_35radix_sort_onesweep_config_selectorIsNS0_10empty_typeEEEZNS1_34radix_sort_onesweep_global_offsetsIS3_Lb1EPKsPS5_mNS0_19identity_decomposerEEE10hipError_tT1_T2_PT3_SF_jT4_jjP12ihipStream_tbEUlT_E_NS1_11comp_targetILNS1_3genE2ELNS1_11target_archE906ELNS1_3gpuE6ELNS1_3repE0EEENS1_52radix_sort_onesweep_histogram_config_static_selectorELNS0_4arch9wavefront6targetE0EEEvSD_.kd
    .uniform_work_group_size: 1
    .uses_dynamic_stack: false
    .vgpr_count:     0
    .vgpr_spill_count: 0
    .wavefront_size: 32
  - .args:
      - .offset:         0
        .size:           48
        .value_kind:     by_value
    .group_segment_fixed_size: 0
    .kernarg_segment_align: 8
    .kernarg_segment_size: 48
    .language:       OpenCL C
    .language_version:
      - 2
      - 0
    .max_flat_workgroup_size: 1024
    .name:           _ZN7rocprim17ROCPRIM_400000_NS6detail17trampoline_kernelINS0_14default_configENS1_35radix_sort_onesweep_config_selectorIsNS0_10empty_typeEEEZNS1_34radix_sort_onesweep_global_offsetsIS3_Lb1EPKsPS5_mNS0_19identity_decomposerEEE10hipError_tT1_T2_PT3_SF_jT4_jjP12ihipStream_tbEUlT_E_NS1_11comp_targetILNS1_3genE4ELNS1_11target_archE910ELNS1_3gpuE8ELNS1_3repE0EEENS1_52radix_sort_onesweep_histogram_config_static_selectorELNS0_4arch9wavefront6targetE0EEEvSD_
    .private_segment_fixed_size: 0
    .sgpr_count:     0
    .sgpr_spill_count: 0
    .symbol:         _ZN7rocprim17ROCPRIM_400000_NS6detail17trampoline_kernelINS0_14default_configENS1_35radix_sort_onesweep_config_selectorIsNS0_10empty_typeEEEZNS1_34radix_sort_onesweep_global_offsetsIS3_Lb1EPKsPS5_mNS0_19identity_decomposerEEE10hipError_tT1_T2_PT3_SF_jT4_jjP12ihipStream_tbEUlT_E_NS1_11comp_targetILNS1_3genE4ELNS1_11target_archE910ELNS1_3gpuE8ELNS1_3repE0EEENS1_52radix_sort_onesweep_histogram_config_static_selectorELNS0_4arch9wavefront6targetE0EEEvSD_.kd
    .uniform_work_group_size: 1
    .uses_dynamic_stack: false
    .vgpr_count:     0
    .vgpr_spill_count: 0
    .wavefront_size: 32
  - .args:
      - .offset:         0
        .size:           48
        .value_kind:     by_value
    .group_segment_fixed_size: 0
    .kernarg_segment_align: 8
    .kernarg_segment_size: 48
    .language:       OpenCL C
    .language_version:
      - 2
      - 0
    .max_flat_workgroup_size: 512
    .name:           _ZN7rocprim17ROCPRIM_400000_NS6detail17trampoline_kernelINS0_14default_configENS1_35radix_sort_onesweep_config_selectorIsNS0_10empty_typeEEEZNS1_34radix_sort_onesweep_global_offsetsIS3_Lb1EPKsPS5_mNS0_19identity_decomposerEEE10hipError_tT1_T2_PT3_SF_jT4_jjP12ihipStream_tbEUlT_E_NS1_11comp_targetILNS1_3genE3ELNS1_11target_archE908ELNS1_3gpuE7ELNS1_3repE0EEENS1_52radix_sort_onesweep_histogram_config_static_selectorELNS0_4arch9wavefront6targetE0EEEvSD_
    .private_segment_fixed_size: 0
    .sgpr_count:     0
    .sgpr_spill_count: 0
    .symbol:         _ZN7rocprim17ROCPRIM_400000_NS6detail17trampoline_kernelINS0_14default_configENS1_35radix_sort_onesweep_config_selectorIsNS0_10empty_typeEEEZNS1_34radix_sort_onesweep_global_offsetsIS3_Lb1EPKsPS5_mNS0_19identity_decomposerEEE10hipError_tT1_T2_PT3_SF_jT4_jjP12ihipStream_tbEUlT_E_NS1_11comp_targetILNS1_3genE3ELNS1_11target_archE908ELNS1_3gpuE7ELNS1_3repE0EEENS1_52radix_sort_onesweep_histogram_config_static_selectorELNS0_4arch9wavefront6targetE0EEEvSD_.kd
    .uniform_work_group_size: 1
    .uses_dynamic_stack: false
    .vgpr_count:     0
    .vgpr_spill_count: 0
    .wavefront_size: 32
  - .args:
      - .offset:         0
        .size:           48
        .value_kind:     by_value
    .group_segment_fixed_size: 0
    .kernarg_segment_align: 8
    .kernarg_segment_size: 48
    .language:       OpenCL C
    .language_version:
      - 2
      - 0
    .max_flat_workgroup_size: 256
    .name:           _ZN7rocprim17ROCPRIM_400000_NS6detail17trampoline_kernelINS0_14default_configENS1_35radix_sort_onesweep_config_selectorIsNS0_10empty_typeEEEZNS1_34radix_sort_onesweep_global_offsetsIS3_Lb1EPKsPS5_mNS0_19identity_decomposerEEE10hipError_tT1_T2_PT3_SF_jT4_jjP12ihipStream_tbEUlT_E_NS1_11comp_targetILNS1_3genE10ELNS1_11target_archE1201ELNS1_3gpuE5ELNS1_3repE0EEENS1_52radix_sort_onesweep_histogram_config_static_selectorELNS0_4arch9wavefront6targetE0EEEvSD_
    .private_segment_fixed_size: 0
    .sgpr_count:     0
    .sgpr_spill_count: 0
    .symbol:         _ZN7rocprim17ROCPRIM_400000_NS6detail17trampoline_kernelINS0_14default_configENS1_35radix_sort_onesweep_config_selectorIsNS0_10empty_typeEEEZNS1_34radix_sort_onesweep_global_offsetsIS3_Lb1EPKsPS5_mNS0_19identity_decomposerEEE10hipError_tT1_T2_PT3_SF_jT4_jjP12ihipStream_tbEUlT_E_NS1_11comp_targetILNS1_3genE10ELNS1_11target_archE1201ELNS1_3gpuE5ELNS1_3repE0EEENS1_52radix_sort_onesweep_histogram_config_static_selectorELNS0_4arch9wavefront6targetE0EEEvSD_.kd
    .uniform_work_group_size: 1
    .uses_dynamic_stack: false
    .vgpr_count:     0
    .vgpr_spill_count: 0
    .wavefront_size: 32
  - .args:
      - .offset:         0
        .size:           48
        .value_kind:     by_value
    .group_segment_fixed_size: 0
    .kernarg_segment_align: 8
    .kernarg_segment_size: 48
    .language:       OpenCL C
    .language_version:
      - 2
      - 0
    .max_flat_workgroup_size: 256
    .name:           _ZN7rocprim17ROCPRIM_400000_NS6detail17trampoline_kernelINS0_14default_configENS1_35radix_sort_onesweep_config_selectorIsNS0_10empty_typeEEEZNS1_34radix_sort_onesweep_global_offsetsIS3_Lb1EPKsPS5_mNS0_19identity_decomposerEEE10hipError_tT1_T2_PT3_SF_jT4_jjP12ihipStream_tbEUlT_E_NS1_11comp_targetILNS1_3genE9ELNS1_11target_archE1100ELNS1_3gpuE3ELNS1_3repE0EEENS1_52radix_sort_onesweep_histogram_config_static_selectorELNS0_4arch9wavefront6targetE0EEEvSD_
    .private_segment_fixed_size: 0
    .sgpr_count:     0
    .sgpr_spill_count: 0
    .symbol:         _ZN7rocprim17ROCPRIM_400000_NS6detail17trampoline_kernelINS0_14default_configENS1_35radix_sort_onesweep_config_selectorIsNS0_10empty_typeEEEZNS1_34radix_sort_onesweep_global_offsetsIS3_Lb1EPKsPS5_mNS0_19identity_decomposerEEE10hipError_tT1_T2_PT3_SF_jT4_jjP12ihipStream_tbEUlT_E_NS1_11comp_targetILNS1_3genE9ELNS1_11target_archE1100ELNS1_3gpuE3ELNS1_3repE0EEENS1_52radix_sort_onesweep_histogram_config_static_selectorELNS0_4arch9wavefront6targetE0EEEvSD_.kd
    .uniform_work_group_size: 1
    .uses_dynamic_stack: false
    .vgpr_count:     0
    .vgpr_spill_count: 0
    .wavefront_size: 32
  - .args:
      - .offset:         0
        .size:           48
        .value_kind:     by_value
    .group_segment_fixed_size: 0
    .kernarg_segment_align: 8
    .kernarg_segment_size: 48
    .language:       OpenCL C
    .language_version:
      - 2
      - 0
    .max_flat_workgroup_size: 256
    .name:           _ZN7rocprim17ROCPRIM_400000_NS6detail17trampoline_kernelINS0_14default_configENS1_35radix_sort_onesweep_config_selectorIsNS0_10empty_typeEEEZNS1_34radix_sort_onesweep_global_offsetsIS3_Lb1EPKsPS5_mNS0_19identity_decomposerEEE10hipError_tT1_T2_PT3_SF_jT4_jjP12ihipStream_tbEUlT_E_NS1_11comp_targetILNS1_3genE8ELNS1_11target_archE1030ELNS1_3gpuE2ELNS1_3repE0EEENS1_52radix_sort_onesweep_histogram_config_static_selectorELNS0_4arch9wavefront6targetE0EEEvSD_
    .private_segment_fixed_size: 0
    .sgpr_count:     0
    .sgpr_spill_count: 0
    .symbol:         _ZN7rocprim17ROCPRIM_400000_NS6detail17trampoline_kernelINS0_14default_configENS1_35radix_sort_onesweep_config_selectorIsNS0_10empty_typeEEEZNS1_34radix_sort_onesweep_global_offsetsIS3_Lb1EPKsPS5_mNS0_19identity_decomposerEEE10hipError_tT1_T2_PT3_SF_jT4_jjP12ihipStream_tbEUlT_E_NS1_11comp_targetILNS1_3genE8ELNS1_11target_archE1030ELNS1_3gpuE2ELNS1_3repE0EEENS1_52radix_sort_onesweep_histogram_config_static_selectorELNS0_4arch9wavefront6targetE0EEEvSD_.kd
    .uniform_work_group_size: 1
    .uses_dynamic_stack: false
    .vgpr_count:     0
    .vgpr_spill_count: 0
    .wavefront_size: 32
  - .args:
      - .address_space:  global
        .offset:         0
        .size:           8
        .value_kind:     global_buffer
    .group_segment_fixed_size: 128
    .kernarg_segment_align: 8
    .kernarg_segment_size: 8
    .language:       OpenCL C
    .language_version:
      - 2
      - 0
    .max_flat_workgroup_size: 512
    .name:           _ZN7rocprim17ROCPRIM_400000_NS6detail17trampoline_kernelINS0_14default_configENS1_35radix_sort_onesweep_config_selectorIsNS0_10empty_typeEEEZNS1_34radix_sort_onesweep_global_offsetsIS3_Lb1EPKsPS5_mNS0_19identity_decomposerEEE10hipError_tT1_T2_PT3_SF_jT4_jjP12ihipStream_tbEUlT_E0_NS1_11comp_targetILNS1_3genE0ELNS1_11target_archE4294967295ELNS1_3gpuE0ELNS1_3repE0EEENS1_52radix_sort_onesweep_histogram_config_static_selectorELNS0_4arch9wavefront6targetE0EEEvSD_
    .private_segment_fixed_size: 0
    .sgpr_count:     10
    .sgpr_spill_count: 0
    .symbol:         _ZN7rocprim17ROCPRIM_400000_NS6detail17trampoline_kernelINS0_14default_configENS1_35radix_sort_onesweep_config_selectorIsNS0_10empty_typeEEEZNS1_34radix_sort_onesweep_global_offsetsIS3_Lb1EPKsPS5_mNS0_19identity_decomposerEEE10hipError_tT1_T2_PT3_SF_jT4_jjP12ihipStream_tbEUlT_E0_NS1_11comp_targetILNS1_3genE0ELNS1_11target_archE4294967295ELNS1_3gpuE0ELNS1_3repE0EEENS1_52radix_sort_onesweep_histogram_config_static_selectorELNS0_4arch9wavefront6targetE0EEEvSD_.kd
    .uniform_work_group_size: 1
    .uses_dynamic_stack: false
    .vgpr_count:     14
    .vgpr_spill_count: 0
    .wavefront_size: 32
  - .args:
      - .address_space:  global
        .offset:         0
        .size:           8
        .value_kind:     global_buffer
    .group_segment_fixed_size: 0
    .kernarg_segment_align: 8
    .kernarg_segment_size: 8
    .language:       OpenCL C
    .language_version:
      - 2
      - 0
    .max_flat_workgroup_size: 1024
    .name:           _ZN7rocprim17ROCPRIM_400000_NS6detail17trampoline_kernelINS0_14default_configENS1_35radix_sort_onesweep_config_selectorIsNS0_10empty_typeEEEZNS1_34radix_sort_onesweep_global_offsetsIS3_Lb1EPKsPS5_mNS0_19identity_decomposerEEE10hipError_tT1_T2_PT3_SF_jT4_jjP12ihipStream_tbEUlT_E0_NS1_11comp_targetILNS1_3genE6ELNS1_11target_archE950ELNS1_3gpuE13ELNS1_3repE0EEENS1_52radix_sort_onesweep_histogram_config_static_selectorELNS0_4arch9wavefront6targetE0EEEvSD_
    .private_segment_fixed_size: 0
    .sgpr_count:     0
    .sgpr_spill_count: 0
    .symbol:         _ZN7rocprim17ROCPRIM_400000_NS6detail17trampoline_kernelINS0_14default_configENS1_35radix_sort_onesweep_config_selectorIsNS0_10empty_typeEEEZNS1_34radix_sort_onesweep_global_offsetsIS3_Lb1EPKsPS5_mNS0_19identity_decomposerEEE10hipError_tT1_T2_PT3_SF_jT4_jjP12ihipStream_tbEUlT_E0_NS1_11comp_targetILNS1_3genE6ELNS1_11target_archE950ELNS1_3gpuE13ELNS1_3repE0EEENS1_52radix_sort_onesweep_histogram_config_static_selectorELNS0_4arch9wavefront6targetE0EEEvSD_.kd
    .uniform_work_group_size: 1
    .uses_dynamic_stack: false
    .vgpr_count:     0
    .vgpr_spill_count: 0
    .wavefront_size: 32
  - .args:
      - .address_space:  global
        .offset:         0
        .size:           8
        .value_kind:     global_buffer
    .group_segment_fixed_size: 0
    .kernarg_segment_align: 8
    .kernarg_segment_size: 8
    .language:       OpenCL C
    .language_version:
      - 2
      - 0
    .max_flat_workgroup_size: 1024
    .name:           _ZN7rocprim17ROCPRIM_400000_NS6detail17trampoline_kernelINS0_14default_configENS1_35radix_sort_onesweep_config_selectorIsNS0_10empty_typeEEEZNS1_34radix_sort_onesweep_global_offsetsIS3_Lb1EPKsPS5_mNS0_19identity_decomposerEEE10hipError_tT1_T2_PT3_SF_jT4_jjP12ihipStream_tbEUlT_E0_NS1_11comp_targetILNS1_3genE5ELNS1_11target_archE942ELNS1_3gpuE9ELNS1_3repE0EEENS1_52radix_sort_onesweep_histogram_config_static_selectorELNS0_4arch9wavefront6targetE0EEEvSD_
    .private_segment_fixed_size: 0
    .sgpr_count:     0
    .sgpr_spill_count: 0
    .symbol:         _ZN7rocprim17ROCPRIM_400000_NS6detail17trampoline_kernelINS0_14default_configENS1_35radix_sort_onesweep_config_selectorIsNS0_10empty_typeEEEZNS1_34radix_sort_onesweep_global_offsetsIS3_Lb1EPKsPS5_mNS0_19identity_decomposerEEE10hipError_tT1_T2_PT3_SF_jT4_jjP12ihipStream_tbEUlT_E0_NS1_11comp_targetILNS1_3genE5ELNS1_11target_archE942ELNS1_3gpuE9ELNS1_3repE0EEENS1_52radix_sort_onesweep_histogram_config_static_selectorELNS0_4arch9wavefront6targetE0EEEvSD_.kd
    .uniform_work_group_size: 1
    .uses_dynamic_stack: false
    .vgpr_count:     0
    .vgpr_spill_count: 0
    .wavefront_size: 32
  - .args:
      - .address_space:  global
        .offset:         0
        .size:           8
        .value_kind:     global_buffer
    .group_segment_fixed_size: 0
    .kernarg_segment_align: 8
    .kernarg_segment_size: 8
    .language:       OpenCL C
    .language_version:
      - 2
      - 0
    .max_flat_workgroup_size: 512
    .name:           _ZN7rocprim17ROCPRIM_400000_NS6detail17trampoline_kernelINS0_14default_configENS1_35radix_sort_onesweep_config_selectorIsNS0_10empty_typeEEEZNS1_34radix_sort_onesweep_global_offsetsIS3_Lb1EPKsPS5_mNS0_19identity_decomposerEEE10hipError_tT1_T2_PT3_SF_jT4_jjP12ihipStream_tbEUlT_E0_NS1_11comp_targetILNS1_3genE2ELNS1_11target_archE906ELNS1_3gpuE6ELNS1_3repE0EEENS1_52radix_sort_onesweep_histogram_config_static_selectorELNS0_4arch9wavefront6targetE0EEEvSD_
    .private_segment_fixed_size: 0
    .sgpr_count:     0
    .sgpr_spill_count: 0
    .symbol:         _ZN7rocprim17ROCPRIM_400000_NS6detail17trampoline_kernelINS0_14default_configENS1_35radix_sort_onesweep_config_selectorIsNS0_10empty_typeEEEZNS1_34radix_sort_onesweep_global_offsetsIS3_Lb1EPKsPS5_mNS0_19identity_decomposerEEE10hipError_tT1_T2_PT3_SF_jT4_jjP12ihipStream_tbEUlT_E0_NS1_11comp_targetILNS1_3genE2ELNS1_11target_archE906ELNS1_3gpuE6ELNS1_3repE0EEENS1_52radix_sort_onesweep_histogram_config_static_selectorELNS0_4arch9wavefront6targetE0EEEvSD_.kd
    .uniform_work_group_size: 1
    .uses_dynamic_stack: false
    .vgpr_count:     0
    .vgpr_spill_count: 0
    .wavefront_size: 32
  - .args:
      - .address_space:  global
        .offset:         0
        .size:           8
        .value_kind:     global_buffer
    .group_segment_fixed_size: 0
    .kernarg_segment_align: 8
    .kernarg_segment_size: 8
    .language:       OpenCL C
    .language_version:
      - 2
      - 0
    .max_flat_workgroup_size: 1024
    .name:           _ZN7rocprim17ROCPRIM_400000_NS6detail17trampoline_kernelINS0_14default_configENS1_35radix_sort_onesweep_config_selectorIsNS0_10empty_typeEEEZNS1_34radix_sort_onesweep_global_offsetsIS3_Lb1EPKsPS5_mNS0_19identity_decomposerEEE10hipError_tT1_T2_PT3_SF_jT4_jjP12ihipStream_tbEUlT_E0_NS1_11comp_targetILNS1_3genE4ELNS1_11target_archE910ELNS1_3gpuE8ELNS1_3repE0EEENS1_52radix_sort_onesweep_histogram_config_static_selectorELNS0_4arch9wavefront6targetE0EEEvSD_
    .private_segment_fixed_size: 0
    .sgpr_count:     0
    .sgpr_spill_count: 0
    .symbol:         _ZN7rocprim17ROCPRIM_400000_NS6detail17trampoline_kernelINS0_14default_configENS1_35radix_sort_onesweep_config_selectorIsNS0_10empty_typeEEEZNS1_34radix_sort_onesweep_global_offsetsIS3_Lb1EPKsPS5_mNS0_19identity_decomposerEEE10hipError_tT1_T2_PT3_SF_jT4_jjP12ihipStream_tbEUlT_E0_NS1_11comp_targetILNS1_3genE4ELNS1_11target_archE910ELNS1_3gpuE8ELNS1_3repE0EEENS1_52radix_sort_onesweep_histogram_config_static_selectorELNS0_4arch9wavefront6targetE0EEEvSD_.kd
    .uniform_work_group_size: 1
    .uses_dynamic_stack: false
    .vgpr_count:     0
    .vgpr_spill_count: 0
    .wavefront_size: 32
  - .args:
      - .address_space:  global
        .offset:         0
        .size:           8
        .value_kind:     global_buffer
    .group_segment_fixed_size: 0
    .kernarg_segment_align: 8
    .kernarg_segment_size: 8
    .language:       OpenCL C
    .language_version:
      - 2
      - 0
    .max_flat_workgroup_size: 512
    .name:           _ZN7rocprim17ROCPRIM_400000_NS6detail17trampoline_kernelINS0_14default_configENS1_35radix_sort_onesweep_config_selectorIsNS0_10empty_typeEEEZNS1_34radix_sort_onesweep_global_offsetsIS3_Lb1EPKsPS5_mNS0_19identity_decomposerEEE10hipError_tT1_T2_PT3_SF_jT4_jjP12ihipStream_tbEUlT_E0_NS1_11comp_targetILNS1_3genE3ELNS1_11target_archE908ELNS1_3gpuE7ELNS1_3repE0EEENS1_52radix_sort_onesweep_histogram_config_static_selectorELNS0_4arch9wavefront6targetE0EEEvSD_
    .private_segment_fixed_size: 0
    .sgpr_count:     0
    .sgpr_spill_count: 0
    .symbol:         _ZN7rocprim17ROCPRIM_400000_NS6detail17trampoline_kernelINS0_14default_configENS1_35radix_sort_onesweep_config_selectorIsNS0_10empty_typeEEEZNS1_34radix_sort_onesweep_global_offsetsIS3_Lb1EPKsPS5_mNS0_19identity_decomposerEEE10hipError_tT1_T2_PT3_SF_jT4_jjP12ihipStream_tbEUlT_E0_NS1_11comp_targetILNS1_3genE3ELNS1_11target_archE908ELNS1_3gpuE7ELNS1_3repE0EEENS1_52radix_sort_onesweep_histogram_config_static_selectorELNS0_4arch9wavefront6targetE0EEEvSD_.kd
    .uniform_work_group_size: 1
    .uses_dynamic_stack: false
    .vgpr_count:     0
    .vgpr_spill_count: 0
    .wavefront_size: 32
  - .args:
      - .address_space:  global
        .offset:         0
        .size:           8
        .value_kind:     global_buffer
    .group_segment_fixed_size: 0
    .kernarg_segment_align: 8
    .kernarg_segment_size: 8
    .language:       OpenCL C
    .language_version:
      - 2
      - 0
    .max_flat_workgroup_size: 256
    .name:           _ZN7rocprim17ROCPRIM_400000_NS6detail17trampoline_kernelINS0_14default_configENS1_35radix_sort_onesweep_config_selectorIsNS0_10empty_typeEEEZNS1_34radix_sort_onesweep_global_offsetsIS3_Lb1EPKsPS5_mNS0_19identity_decomposerEEE10hipError_tT1_T2_PT3_SF_jT4_jjP12ihipStream_tbEUlT_E0_NS1_11comp_targetILNS1_3genE10ELNS1_11target_archE1201ELNS1_3gpuE5ELNS1_3repE0EEENS1_52radix_sort_onesweep_histogram_config_static_selectorELNS0_4arch9wavefront6targetE0EEEvSD_
    .private_segment_fixed_size: 0
    .sgpr_count:     0
    .sgpr_spill_count: 0
    .symbol:         _ZN7rocprim17ROCPRIM_400000_NS6detail17trampoline_kernelINS0_14default_configENS1_35radix_sort_onesweep_config_selectorIsNS0_10empty_typeEEEZNS1_34radix_sort_onesweep_global_offsetsIS3_Lb1EPKsPS5_mNS0_19identity_decomposerEEE10hipError_tT1_T2_PT3_SF_jT4_jjP12ihipStream_tbEUlT_E0_NS1_11comp_targetILNS1_3genE10ELNS1_11target_archE1201ELNS1_3gpuE5ELNS1_3repE0EEENS1_52radix_sort_onesweep_histogram_config_static_selectorELNS0_4arch9wavefront6targetE0EEEvSD_.kd
    .uniform_work_group_size: 1
    .uses_dynamic_stack: false
    .vgpr_count:     0
    .vgpr_spill_count: 0
    .wavefront_size: 32
  - .args:
      - .address_space:  global
        .offset:         0
        .size:           8
        .value_kind:     global_buffer
    .group_segment_fixed_size: 0
    .kernarg_segment_align: 8
    .kernarg_segment_size: 8
    .language:       OpenCL C
    .language_version:
      - 2
      - 0
    .max_flat_workgroup_size: 256
    .name:           _ZN7rocprim17ROCPRIM_400000_NS6detail17trampoline_kernelINS0_14default_configENS1_35radix_sort_onesweep_config_selectorIsNS0_10empty_typeEEEZNS1_34radix_sort_onesweep_global_offsetsIS3_Lb1EPKsPS5_mNS0_19identity_decomposerEEE10hipError_tT1_T2_PT3_SF_jT4_jjP12ihipStream_tbEUlT_E0_NS1_11comp_targetILNS1_3genE9ELNS1_11target_archE1100ELNS1_3gpuE3ELNS1_3repE0EEENS1_52radix_sort_onesweep_histogram_config_static_selectorELNS0_4arch9wavefront6targetE0EEEvSD_
    .private_segment_fixed_size: 0
    .sgpr_count:     0
    .sgpr_spill_count: 0
    .symbol:         _ZN7rocprim17ROCPRIM_400000_NS6detail17trampoline_kernelINS0_14default_configENS1_35radix_sort_onesweep_config_selectorIsNS0_10empty_typeEEEZNS1_34radix_sort_onesweep_global_offsetsIS3_Lb1EPKsPS5_mNS0_19identity_decomposerEEE10hipError_tT1_T2_PT3_SF_jT4_jjP12ihipStream_tbEUlT_E0_NS1_11comp_targetILNS1_3genE9ELNS1_11target_archE1100ELNS1_3gpuE3ELNS1_3repE0EEENS1_52radix_sort_onesweep_histogram_config_static_selectorELNS0_4arch9wavefront6targetE0EEEvSD_.kd
    .uniform_work_group_size: 1
    .uses_dynamic_stack: false
    .vgpr_count:     0
    .vgpr_spill_count: 0
    .wavefront_size: 32
  - .args:
      - .address_space:  global
        .offset:         0
        .size:           8
        .value_kind:     global_buffer
    .group_segment_fixed_size: 0
    .kernarg_segment_align: 8
    .kernarg_segment_size: 8
    .language:       OpenCL C
    .language_version:
      - 2
      - 0
    .max_flat_workgroup_size: 256
    .name:           _ZN7rocprim17ROCPRIM_400000_NS6detail17trampoline_kernelINS0_14default_configENS1_35radix_sort_onesweep_config_selectorIsNS0_10empty_typeEEEZNS1_34radix_sort_onesweep_global_offsetsIS3_Lb1EPKsPS5_mNS0_19identity_decomposerEEE10hipError_tT1_T2_PT3_SF_jT4_jjP12ihipStream_tbEUlT_E0_NS1_11comp_targetILNS1_3genE8ELNS1_11target_archE1030ELNS1_3gpuE2ELNS1_3repE0EEENS1_52radix_sort_onesweep_histogram_config_static_selectorELNS0_4arch9wavefront6targetE0EEEvSD_
    .private_segment_fixed_size: 0
    .sgpr_count:     0
    .sgpr_spill_count: 0
    .symbol:         _ZN7rocprim17ROCPRIM_400000_NS6detail17trampoline_kernelINS0_14default_configENS1_35radix_sort_onesweep_config_selectorIsNS0_10empty_typeEEEZNS1_34radix_sort_onesweep_global_offsetsIS3_Lb1EPKsPS5_mNS0_19identity_decomposerEEE10hipError_tT1_T2_PT3_SF_jT4_jjP12ihipStream_tbEUlT_E0_NS1_11comp_targetILNS1_3genE8ELNS1_11target_archE1030ELNS1_3gpuE2ELNS1_3repE0EEENS1_52radix_sort_onesweep_histogram_config_static_selectorELNS0_4arch9wavefront6targetE0EEEvSD_.kd
    .uniform_work_group_size: 1
    .uses_dynamic_stack: false
    .vgpr_count:     0
    .vgpr_spill_count: 0
    .wavefront_size: 32
  - .args:
      - .offset:         0
        .size:           40
        .value_kind:     by_value
      - .offset:         40
        .size:           4
        .value_kind:     hidden_block_count_x
      - .offset:         44
        .size:           4
        .value_kind:     hidden_block_count_y
      - .offset:         48
        .size:           4
        .value_kind:     hidden_block_count_z
      - .offset:         52
        .size:           2
        .value_kind:     hidden_group_size_x
      - .offset:         54
        .size:           2
        .value_kind:     hidden_group_size_y
      - .offset:         56
        .size:           2
        .value_kind:     hidden_group_size_z
      - .offset:         58
        .size:           2
        .value_kind:     hidden_remainder_x
      - .offset:         60
        .size:           2
        .value_kind:     hidden_remainder_y
      - .offset:         62
        .size:           2
        .value_kind:     hidden_remainder_z
      - .offset:         80
        .size:           8
        .value_kind:     hidden_global_offset_x
      - .offset:         88
        .size:           8
        .value_kind:     hidden_global_offset_y
      - .offset:         96
        .size:           8
        .value_kind:     hidden_global_offset_z
      - .offset:         104
        .size:           2
        .value_kind:     hidden_grid_dims
    .group_segment_fixed_size: 0
    .kernarg_segment_align: 8
    .kernarg_segment_size: 296
    .language:       OpenCL C
    .language_version:
      - 2
      - 0
    .max_flat_workgroup_size: 128
    .name:           _ZN7rocprim17ROCPRIM_400000_NS6detail17trampoline_kernelINS0_14default_configENS1_25transform_config_selectorIsLb1EEEZNS1_14transform_implILb1ES3_S5_PKsPsNS0_8identityIsEEEE10hipError_tT2_T3_mT4_P12ihipStream_tbEUlT_E_NS1_11comp_targetILNS1_3genE0ELNS1_11target_archE4294967295ELNS1_3gpuE0ELNS1_3repE0EEENS1_30default_config_static_selectorELNS0_4arch9wavefront6targetE0EEEvT1_
    .private_segment_fixed_size: 0
    .sgpr_count:     17
    .sgpr_spill_count: 0
    .symbol:         _ZN7rocprim17ROCPRIM_400000_NS6detail17trampoline_kernelINS0_14default_configENS1_25transform_config_selectorIsLb1EEEZNS1_14transform_implILb1ES3_S5_PKsPsNS0_8identityIsEEEE10hipError_tT2_T3_mT4_P12ihipStream_tbEUlT_E_NS1_11comp_targetILNS1_3genE0ELNS1_11target_archE4294967295ELNS1_3gpuE0ELNS1_3repE0EEENS1_30default_config_static_selectorELNS0_4arch9wavefront6targetE0EEEvT1_.kd
    .uniform_work_group_size: 1
    .uses_dynamic_stack: false
    .vgpr_count:     6
    .vgpr_spill_count: 0
    .wavefront_size: 32
  - .args:
      - .offset:         0
        .size:           40
        .value_kind:     by_value
    .group_segment_fixed_size: 0
    .kernarg_segment_align: 8
    .kernarg_segment_size: 40
    .language:       OpenCL C
    .language_version:
      - 2
      - 0
    .max_flat_workgroup_size: 64
    .name:           _ZN7rocprim17ROCPRIM_400000_NS6detail17trampoline_kernelINS0_14default_configENS1_25transform_config_selectorIsLb1EEEZNS1_14transform_implILb1ES3_S5_PKsPsNS0_8identityIsEEEE10hipError_tT2_T3_mT4_P12ihipStream_tbEUlT_E_NS1_11comp_targetILNS1_3genE10ELNS1_11target_archE1201ELNS1_3gpuE5ELNS1_3repE0EEENS1_30default_config_static_selectorELNS0_4arch9wavefront6targetE0EEEvT1_
    .private_segment_fixed_size: 0
    .sgpr_count:     0
    .sgpr_spill_count: 0
    .symbol:         _ZN7rocprim17ROCPRIM_400000_NS6detail17trampoline_kernelINS0_14default_configENS1_25transform_config_selectorIsLb1EEEZNS1_14transform_implILb1ES3_S5_PKsPsNS0_8identityIsEEEE10hipError_tT2_T3_mT4_P12ihipStream_tbEUlT_E_NS1_11comp_targetILNS1_3genE10ELNS1_11target_archE1201ELNS1_3gpuE5ELNS1_3repE0EEENS1_30default_config_static_selectorELNS0_4arch9wavefront6targetE0EEEvT1_.kd
    .uniform_work_group_size: 1
    .uses_dynamic_stack: false
    .vgpr_count:     0
    .vgpr_spill_count: 0
    .wavefront_size: 32
  - .args:
      - .offset:         0
        .size:           40
        .value_kind:     by_value
    .group_segment_fixed_size: 0
    .kernarg_segment_align: 8
    .kernarg_segment_size: 40
    .language:       OpenCL C
    .language_version:
      - 2
      - 0
    .max_flat_workgroup_size: 256
    .name:           _ZN7rocprim17ROCPRIM_400000_NS6detail17trampoline_kernelINS0_14default_configENS1_25transform_config_selectorIsLb1EEEZNS1_14transform_implILb1ES3_S5_PKsPsNS0_8identityIsEEEE10hipError_tT2_T3_mT4_P12ihipStream_tbEUlT_E_NS1_11comp_targetILNS1_3genE5ELNS1_11target_archE942ELNS1_3gpuE9ELNS1_3repE0EEENS1_30default_config_static_selectorELNS0_4arch9wavefront6targetE0EEEvT1_
    .private_segment_fixed_size: 0
    .sgpr_count:     0
    .sgpr_spill_count: 0
    .symbol:         _ZN7rocprim17ROCPRIM_400000_NS6detail17trampoline_kernelINS0_14default_configENS1_25transform_config_selectorIsLb1EEEZNS1_14transform_implILb1ES3_S5_PKsPsNS0_8identityIsEEEE10hipError_tT2_T3_mT4_P12ihipStream_tbEUlT_E_NS1_11comp_targetILNS1_3genE5ELNS1_11target_archE942ELNS1_3gpuE9ELNS1_3repE0EEENS1_30default_config_static_selectorELNS0_4arch9wavefront6targetE0EEEvT1_.kd
    .uniform_work_group_size: 1
    .uses_dynamic_stack: false
    .vgpr_count:     0
    .vgpr_spill_count: 0
    .wavefront_size: 32
  - .args:
      - .offset:         0
        .size:           40
        .value_kind:     by_value
    .group_segment_fixed_size: 0
    .kernarg_segment_align: 8
    .kernarg_segment_size: 40
    .language:       OpenCL C
    .language_version:
      - 2
      - 0
    .max_flat_workgroup_size: 1024
    .name:           _ZN7rocprim17ROCPRIM_400000_NS6detail17trampoline_kernelINS0_14default_configENS1_25transform_config_selectorIsLb1EEEZNS1_14transform_implILb1ES3_S5_PKsPsNS0_8identityIsEEEE10hipError_tT2_T3_mT4_P12ihipStream_tbEUlT_E_NS1_11comp_targetILNS1_3genE4ELNS1_11target_archE910ELNS1_3gpuE8ELNS1_3repE0EEENS1_30default_config_static_selectorELNS0_4arch9wavefront6targetE0EEEvT1_
    .private_segment_fixed_size: 0
    .sgpr_count:     0
    .sgpr_spill_count: 0
    .symbol:         _ZN7rocprim17ROCPRIM_400000_NS6detail17trampoline_kernelINS0_14default_configENS1_25transform_config_selectorIsLb1EEEZNS1_14transform_implILb1ES3_S5_PKsPsNS0_8identityIsEEEE10hipError_tT2_T3_mT4_P12ihipStream_tbEUlT_E_NS1_11comp_targetILNS1_3genE4ELNS1_11target_archE910ELNS1_3gpuE8ELNS1_3repE0EEENS1_30default_config_static_selectorELNS0_4arch9wavefront6targetE0EEEvT1_.kd
    .uniform_work_group_size: 1
    .uses_dynamic_stack: false
    .vgpr_count:     0
    .vgpr_spill_count: 0
    .wavefront_size: 32
  - .args:
      - .offset:         0
        .size:           40
        .value_kind:     by_value
    .group_segment_fixed_size: 0
    .kernarg_segment_align: 8
    .kernarg_segment_size: 40
    .language:       OpenCL C
    .language_version:
      - 2
      - 0
    .max_flat_workgroup_size: 128
    .name:           _ZN7rocprim17ROCPRIM_400000_NS6detail17trampoline_kernelINS0_14default_configENS1_25transform_config_selectorIsLb1EEEZNS1_14transform_implILb1ES3_S5_PKsPsNS0_8identityIsEEEE10hipError_tT2_T3_mT4_P12ihipStream_tbEUlT_E_NS1_11comp_targetILNS1_3genE3ELNS1_11target_archE908ELNS1_3gpuE7ELNS1_3repE0EEENS1_30default_config_static_selectorELNS0_4arch9wavefront6targetE0EEEvT1_
    .private_segment_fixed_size: 0
    .sgpr_count:     0
    .sgpr_spill_count: 0
    .symbol:         _ZN7rocprim17ROCPRIM_400000_NS6detail17trampoline_kernelINS0_14default_configENS1_25transform_config_selectorIsLb1EEEZNS1_14transform_implILb1ES3_S5_PKsPsNS0_8identityIsEEEE10hipError_tT2_T3_mT4_P12ihipStream_tbEUlT_E_NS1_11comp_targetILNS1_3genE3ELNS1_11target_archE908ELNS1_3gpuE7ELNS1_3repE0EEENS1_30default_config_static_selectorELNS0_4arch9wavefront6targetE0EEEvT1_.kd
    .uniform_work_group_size: 1
    .uses_dynamic_stack: false
    .vgpr_count:     0
    .vgpr_spill_count: 0
    .wavefront_size: 32
  - .args:
      - .offset:         0
        .size:           40
        .value_kind:     by_value
    .group_segment_fixed_size: 0
    .kernarg_segment_align: 8
    .kernarg_segment_size: 40
    .language:       OpenCL C
    .language_version:
      - 2
      - 0
    .max_flat_workgroup_size: 1024
    .name:           _ZN7rocprim17ROCPRIM_400000_NS6detail17trampoline_kernelINS0_14default_configENS1_25transform_config_selectorIsLb1EEEZNS1_14transform_implILb1ES3_S5_PKsPsNS0_8identityIsEEEE10hipError_tT2_T3_mT4_P12ihipStream_tbEUlT_E_NS1_11comp_targetILNS1_3genE2ELNS1_11target_archE906ELNS1_3gpuE6ELNS1_3repE0EEENS1_30default_config_static_selectorELNS0_4arch9wavefront6targetE0EEEvT1_
    .private_segment_fixed_size: 0
    .sgpr_count:     0
    .sgpr_spill_count: 0
    .symbol:         _ZN7rocprim17ROCPRIM_400000_NS6detail17trampoline_kernelINS0_14default_configENS1_25transform_config_selectorIsLb1EEEZNS1_14transform_implILb1ES3_S5_PKsPsNS0_8identityIsEEEE10hipError_tT2_T3_mT4_P12ihipStream_tbEUlT_E_NS1_11comp_targetILNS1_3genE2ELNS1_11target_archE906ELNS1_3gpuE6ELNS1_3repE0EEENS1_30default_config_static_selectorELNS0_4arch9wavefront6targetE0EEEvT1_.kd
    .uniform_work_group_size: 1
    .uses_dynamic_stack: false
    .vgpr_count:     0
    .vgpr_spill_count: 0
    .wavefront_size: 32
  - .args:
      - .offset:         0
        .size:           40
        .value_kind:     by_value
    .group_segment_fixed_size: 0
    .kernarg_segment_align: 8
    .kernarg_segment_size: 40
    .language:       OpenCL C
    .language_version:
      - 2
      - 0
    .max_flat_workgroup_size: 1024
    .name:           _ZN7rocprim17ROCPRIM_400000_NS6detail17trampoline_kernelINS0_14default_configENS1_25transform_config_selectorIsLb1EEEZNS1_14transform_implILb1ES3_S5_PKsPsNS0_8identityIsEEEE10hipError_tT2_T3_mT4_P12ihipStream_tbEUlT_E_NS1_11comp_targetILNS1_3genE9ELNS1_11target_archE1100ELNS1_3gpuE3ELNS1_3repE0EEENS1_30default_config_static_selectorELNS0_4arch9wavefront6targetE0EEEvT1_
    .private_segment_fixed_size: 0
    .sgpr_count:     0
    .sgpr_spill_count: 0
    .symbol:         _ZN7rocprim17ROCPRIM_400000_NS6detail17trampoline_kernelINS0_14default_configENS1_25transform_config_selectorIsLb1EEEZNS1_14transform_implILb1ES3_S5_PKsPsNS0_8identityIsEEEE10hipError_tT2_T3_mT4_P12ihipStream_tbEUlT_E_NS1_11comp_targetILNS1_3genE9ELNS1_11target_archE1100ELNS1_3gpuE3ELNS1_3repE0EEENS1_30default_config_static_selectorELNS0_4arch9wavefront6targetE0EEEvT1_.kd
    .uniform_work_group_size: 1
    .uses_dynamic_stack: false
    .vgpr_count:     0
    .vgpr_spill_count: 0
    .wavefront_size: 32
  - .args:
      - .offset:         0
        .size:           40
        .value_kind:     by_value
    .group_segment_fixed_size: 0
    .kernarg_segment_align: 8
    .kernarg_segment_size: 40
    .language:       OpenCL C
    .language_version:
      - 2
      - 0
    .max_flat_workgroup_size: 1024
    .name:           _ZN7rocprim17ROCPRIM_400000_NS6detail17trampoline_kernelINS0_14default_configENS1_25transform_config_selectorIsLb1EEEZNS1_14transform_implILb1ES3_S5_PKsPsNS0_8identityIsEEEE10hipError_tT2_T3_mT4_P12ihipStream_tbEUlT_E_NS1_11comp_targetILNS1_3genE8ELNS1_11target_archE1030ELNS1_3gpuE2ELNS1_3repE0EEENS1_30default_config_static_selectorELNS0_4arch9wavefront6targetE0EEEvT1_
    .private_segment_fixed_size: 0
    .sgpr_count:     0
    .sgpr_spill_count: 0
    .symbol:         _ZN7rocprim17ROCPRIM_400000_NS6detail17trampoline_kernelINS0_14default_configENS1_25transform_config_selectorIsLb1EEEZNS1_14transform_implILb1ES3_S5_PKsPsNS0_8identityIsEEEE10hipError_tT2_T3_mT4_P12ihipStream_tbEUlT_E_NS1_11comp_targetILNS1_3genE8ELNS1_11target_archE1030ELNS1_3gpuE2ELNS1_3repE0EEENS1_30default_config_static_selectorELNS0_4arch9wavefront6targetE0EEEvT1_.kd
    .uniform_work_group_size: 1
    .uses_dynamic_stack: false
    .vgpr_count:     0
    .vgpr_spill_count: 0
    .wavefront_size: 32
  - .args:
      - .offset:         0
        .size:           88
        .value_kind:     by_value
      - .offset:         88
        .size:           4
        .value_kind:     hidden_block_count_x
      - .offset:         92
        .size:           4
        .value_kind:     hidden_block_count_y
      - .offset:         96
        .size:           4
        .value_kind:     hidden_block_count_z
      - .offset:         100
        .size:           2
        .value_kind:     hidden_group_size_x
      - .offset:         102
        .size:           2
        .value_kind:     hidden_group_size_y
      - .offset:         104
        .size:           2
        .value_kind:     hidden_group_size_z
      - .offset:         106
        .size:           2
        .value_kind:     hidden_remainder_x
      - .offset:         108
        .size:           2
        .value_kind:     hidden_remainder_y
      - .offset:         110
        .size:           2
        .value_kind:     hidden_remainder_z
      - .offset:         128
        .size:           8
        .value_kind:     hidden_global_offset_x
      - .offset:         136
        .size:           8
        .value_kind:     hidden_global_offset_y
      - .offset:         144
        .size:           8
        .value_kind:     hidden_global_offset_z
      - .offset:         152
        .size:           2
        .value_kind:     hidden_grid_dims
    .group_segment_fixed_size: 18504
    .kernarg_segment_align: 8
    .kernarg_segment_size: 344
    .language:       OpenCL C
    .language_version:
      - 2
      - 0
    .max_flat_workgroup_size: 512
    .name:           _ZN7rocprim17ROCPRIM_400000_NS6detail17trampoline_kernelINS0_14default_configENS1_35radix_sort_onesweep_config_selectorIsNS0_10empty_typeEEEZZNS1_29radix_sort_onesweep_iterationIS3_Lb1EPKsPsPS5_SB_mNS0_19identity_decomposerENS1_16block_id_wrapperIjLb1EEEEE10hipError_tT1_PNSt15iterator_traitsISG_E10value_typeET2_T3_PNSH_ISM_E10value_typeET4_T5_PSR_SS_PNS1_23onesweep_lookback_stateEbbT6_jjT7_P12ihipStream_tbENKUlT_T0_SG_SL_E_clIS9_SA_SB_SB_EEDaSZ_S10_SG_SL_EUlSZ_E_NS1_11comp_targetILNS1_3genE0ELNS1_11target_archE4294967295ELNS1_3gpuE0ELNS1_3repE0EEENS1_47radix_sort_onesweep_sort_config_static_selectorELNS0_4arch9wavefront6targetE0EEEvSG_
    .private_segment_fixed_size: 0
    .sgpr_count:     32
    .sgpr_spill_count: 0
    .symbol:         _ZN7rocprim17ROCPRIM_400000_NS6detail17trampoline_kernelINS0_14default_configENS1_35radix_sort_onesweep_config_selectorIsNS0_10empty_typeEEEZZNS1_29radix_sort_onesweep_iterationIS3_Lb1EPKsPsPS5_SB_mNS0_19identity_decomposerENS1_16block_id_wrapperIjLb1EEEEE10hipError_tT1_PNSt15iterator_traitsISG_E10value_typeET2_T3_PNSH_ISM_E10value_typeET4_T5_PSR_SS_PNS1_23onesweep_lookback_stateEbbT6_jjT7_P12ihipStream_tbENKUlT_T0_SG_SL_E_clIS9_SA_SB_SB_EEDaSZ_S10_SG_SL_EUlSZ_E_NS1_11comp_targetILNS1_3genE0ELNS1_11target_archE4294967295ELNS1_3gpuE0ELNS1_3repE0EEENS1_47radix_sort_onesweep_sort_config_static_selectorELNS0_4arch9wavefront6targetE0EEEvSG_.kd
    .uniform_work_group_size: 1
    .uses_dynamic_stack: false
    .vgpr_count:     65
    .vgpr_spill_count: 0
    .wavefront_size: 32
  - .args:
      - .offset:         0
        .size:           88
        .value_kind:     by_value
    .group_segment_fixed_size: 0
    .kernarg_segment_align: 8
    .kernarg_segment_size: 88
    .language:       OpenCL C
    .language_version:
      - 2
      - 0
    .max_flat_workgroup_size: 1024
    .name:           _ZN7rocprim17ROCPRIM_400000_NS6detail17trampoline_kernelINS0_14default_configENS1_35radix_sort_onesweep_config_selectorIsNS0_10empty_typeEEEZZNS1_29radix_sort_onesweep_iterationIS3_Lb1EPKsPsPS5_SB_mNS0_19identity_decomposerENS1_16block_id_wrapperIjLb1EEEEE10hipError_tT1_PNSt15iterator_traitsISG_E10value_typeET2_T3_PNSH_ISM_E10value_typeET4_T5_PSR_SS_PNS1_23onesweep_lookback_stateEbbT6_jjT7_P12ihipStream_tbENKUlT_T0_SG_SL_E_clIS9_SA_SB_SB_EEDaSZ_S10_SG_SL_EUlSZ_E_NS1_11comp_targetILNS1_3genE6ELNS1_11target_archE950ELNS1_3gpuE13ELNS1_3repE0EEENS1_47radix_sort_onesweep_sort_config_static_selectorELNS0_4arch9wavefront6targetE0EEEvSG_
    .private_segment_fixed_size: 0
    .sgpr_count:     0
    .sgpr_spill_count: 0
    .symbol:         _ZN7rocprim17ROCPRIM_400000_NS6detail17trampoline_kernelINS0_14default_configENS1_35radix_sort_onesweep_config_selectorIsNS0_10empty_typeEEEZZNS1_29radix_sort_onesweep_iterationIS3_Lb1EPKsPsPS5_SB_mNS0_19identity_decomposerENS1_16block_id_wrapperIjLb1EEEEE10hipError_tT1_PNSt15iterator_traitsISG_E10value_typeET2_T3_PNSH_ISM_E10value_typeET4_T5_PSR_SS_PNS1_23onesweep_lookback_stateEbbT6_jjT7_P12ihipStream_tbENKUlT_T0_SG_SL_E_clIS9_SA_SB_SB_EEDaSZ_S10_SG_SL_EUlSZ_E_NS1_11comp_targetILNS1_3genE6ELNS1_11target_archE950ELNS1_3gpuE13ELNS1_3repE0EEENS1_47radix_sort_onesweep_sort_config_static_selectorELNS0_4arch9wavefront6targetE0EEEvSG_.kd
    .uniform_work_group_size: 1
    .uses_dynamic_stack: false
    .vgpr_count:     0
    .vgpr_spill_count: 0
    .wavefront_size: 32
  - .args:
      - .offset:         0
        .size:           88
        .value_kind:     by_value
    .group_segment_fixed_size: 0
    .kernarg_segment_align: 8
    .kernarg_segment_size: 88
    .language:       OpenCL C
    .language_version:
      - 2
      - 0
    .max_flat_workgroup_size: 1024
    .name:           _ZN7rocprim17ROCPRIM_400000_NS6detail17trampoline_kernelINS0_14default_configENS1_35radix_sort_onesweep_config_selectorIsNS0_10empty_typeEEEZZNS1_29radix_sort_onesweep_iterationIS3_Lb1EPKsPsPS5_SB_mNS0_19identity_decomposerENS1_16block_id_wrapperIjLb1EEEEE10hipError_tT1_PNSt15iterator_traitsISG_E10value_typeET2_T3_PNSH_ISM_E10value_typeET4_T5_PSR_SS_PNS1_23onesweep_lookback_stateEbbT6_jjT7_P12ihipStream_tbENKUlT_T0_SG_SL_E_clIS9_SA_SB_SB_EEDaSZ_S10_SG_SL_EUlSZ_E_NS1_11comp_targetILNS1_3genE5ELNS1_11target_archE942ELNS1_3gpuE9ELNS1_3repE0EEENS1_47radix_sort_onesweep_sort_config_static_selectorELNS0_4arch9wavefront6targetE0EEEvSG_
    .private_segment_fixed_size: 0
    .sgpr_count:     0
    .sgpr_spill_count: 0
    .symbol:         _ZN7rocprim17ROCPRIM_400000_NS6detail17trampoline_kernelINS0_14default_configENS1_35radix_sort_onesweep_config_selectorIsNS0_10empty_typeEEEZZNS1_29radix_sort_onesweep_iterationIS3_Lb1EPKsPsPS5_SB_mNS0_19identity_decomposerENS1_16block_id_wrapperIjLb1EEEEE10hipError_tT1_PNSt15iterator_traitsISG_E10value_typeET2_T3_PNSH_ISM_E10value_typeET4_T5_PSR_SS_PNS1_23onesweep_lookback_stateEbbT6_jjT7_P12ihipStream_tbENKUlT_T0_SG_SL_E_clIS9_SA_SB_SB_EEDaSZ_S10_SG_SL_EUlSZ_E_NS1_11comp_targetILNS1_3genE5ELNS1_11target_archE942ELNS1_3gpuE9ELNS1_3repE0EEENS1_47radix_sort_onesweep_sort_config_static_selectorELNS0_4arch9wavefront6targetE0EEEvSG_.kd
    .uniform_work_group_size: 1
    .uses_dynamic_stack: false
    .vgpr_count:     0
    .vgpr_spill_count: 0
    .wavefront_size: 32
  - .args:
      - .offset:         0
        .size:           88
        .value_kind:     by_value
    .group_segment_fixed_size: 0
    .kernarg_segment_align: 8
    .kernarg_segment_size: 88
    .language:       OpenCL C
    .language_version:
      - 2
      - 0
    .max_flat_workgroup_size: 512
    .name:           _ZN7rocprim17ROCPRIM_400000_NS6detail17trampoline_kernelINS0_14default_configENS1_35radix_sort_onesweep_config_selectorIsNS0_10empty_typeEEEZZNS1_29radix_sort_onesweep_iterationIS3_Lb1EPKsPsPS5_SB_mNS0_19identity_decomposerENS1_16block_id_wrapperIjLb1EEEEE10hipError_tT1_PNSt15iterator_traitsISG_E10value_typeET2_T3_PNSH_ISM_E10value_typeET4_T5_PSR_SS_PNS1_23onesweep_lookback_stateEbbT6_jjT7_P12ihipStream_tbENKUlT_T0_SG_SL_E_clIS9_SA_SB_SB_EEDaSZ_S10_SG_SL_EUlSZ_E_NS1_11comp_targetILNS1_3genE2ELNS1_11target_archE906ELNS1_3gpuE6ELNS1_3repE0EEENS1_47radix_sort_onesweep_sort_config_static_selectorELNS0_4arch9wavefront6targetE0EEEvSG_
    .private_segment_fixed_size: 0
    .sgpr_count:     0
    .sgpr_spill_count: 0
    .symbol:         _ZN7rocprim17ROCPRIM_400000_NS6detail17trampoline_kernelINS0_14default_configENS1_35radix_sort_onesweep_config_selectorIsNS0_10empty_typeEEEZZNS1_29radix_sort_onesweep_iterationIS3_Lb1EPKsPsPS5_SB_mNS0_19identity_decomposerENS1_16block_id_wrapperIjLb1EEEEE10hipError_tT1_PNSt15iterator_traitsISG_E10value_typeET2_T3_PNSH_ISM_E10value_typeET4_T5_PSR_SS_PNS1_23onesweep_lookback_stateEbbT6_jjT7_P12ihipStream_tbENKUlT_T0_SG_SL_E_clIS9_SA_SB_SB_EEDaSZ_S10_SG_SL_EUlSZ_E_NS1_11comp_targetILNS1_3genE2ELNS1_11target_archE906ELNS1_3gpuE6ELNS1_3repE0EEENS1_47radix_sort_onesweep_sort_config_static_selectorELNS0_4arch9wavefront6targetE0EEEvSG_.kd
    .uniform_work_group_size: 1
    .uses_dynamic_stack: false
    .vgpr_count:     0
    .vgpr_spill_count: 0
    .wavefront_size: 32
  - .args:
      - .offset:         0
        .size:           88
        .value_kind:     by_value
    .group_segment_fixed_size: 0
    .kernarg_segment_align: 8
    .kernarg_segment_size: 88
    .language:       OpenCL C
    .language_version:
      - 2
      - 0
    .max_flat_workgroup_size: 1024
    .name:           _ZN7rocprim17ROCPRIM_400000_NS6detail17trampoline_kernelINS0_14default_configENS1_35radix_sort_onesweep_config_selectorIsNS0_10empty_typeEEEZZNS1_29radix_sort_onesweep_iterationIS3_Lb1EPKsPsPS5_SB_mNS0_19identity_decomposerENS1_16block_id_wrapperIjLb1EEEEE10hipError_tT1_PNSt15iterator_traitsISG_E10value_typeET2_T3_PNSH_ISM_E10value_typeET4_T5_PSR_SS_PNS1_23onesweep_lookback_stateEbbT6_jjT7_P12ihipStream_tbENKUlT_T0_SG_SL_E_clIS9_SA_SB_SB_EEDaSZ_S10_SG_SL_EUlSZ_E_NS1_11comp_targetILNS1_3genE4ELNS1_11target_archE910ELNS1_3gpuE8ELNS1_3repE0EEENS1_47radix_sort_onesweep_sort_config_static_selectorELNS0_4arch9wavefront6targetE0EEEvSG_
    .private_segment_fixed_size: 0
    .sgpr_count:     0
    .sgpr_spill_count: 0
    .symbol:         _ZN7rocprim17ROCPRIM_400000_NS6detail17trampoline_kernelINS0_14default_configENS1_35radix_sort_onesweep_config_selectorIsNS0_10empty_typeEEEZZNS1_29radix_sort_onesweep_iterationIS3_Lb1EPKsPsPS5_SB_mNS0_19identity_decomposerENS1_16block_id_wrapperIjLb1EEEEE10hipError_tT1_PNSt15iterator_traitsISG_E10value_typeET2_T3_PNSH_ISM_E10value_typeET4_T5_PSR_SS_PNS1_23onesweep_lookback_stateEbbT6_jjT7_P12ihipStream_tbENKUlT_T0_SG_SL_E_clIS9_SA_SB_SB_EEDaSZ_S10_SG_SL_EUlSZ_E_NS1_11comp_targetILNS1_3genE4ELNS1_11target_archE910ELNS1_3gpuE8ELNS1_3repE0EEENS1_47radix_sort_onesweep_sort_config_static_selectorELNS0_4arch9wavefront6targetE0EEEvSG_.kd
    .uniform_work_group_size: 1
    .uses_dynamic_stack: false
    .vgpr_count:     0
    .vgpr_spill_count: 0
    .wavefront_size: 32
  - .args:
      - .offset:         0
        .size:           88
        .value_kind:     by_value
    .group_segment_fixed_size: 0
    .kernarg_segment_align: 8
    .kernarg_segment_size: 88
    .language:       OpenCL C
    .language_version:
      - 2
      - 0
    .max_flat_workgroup_size: 512
    .name:           _ZN7rocprim17ROCPRIM_400000_NS6detail17trampoline_kernelINS0_14default_configENS1_35radix_sort_onesweep_config_selectorIsNS0_10empty_typeEEEZZNS1_29radix_sort_onesweep_iterationIS3_Lb1EPKsPsPS5_SB_mNS0_19identity_decomposerENS1_16block_id_wrapperIjLb1EEEEE10hipError_tT1_PNSt15iterator_traitsISG_E10value_typeET2_T3_PNSH_ISM_E10value_typeET4_T5_PSR_SS_PNS1_23onesweep_lookback_stateEbbT6_jjT7_P12ihipStream_tbENKUlT_T0_SG_SL_E_clIS9_SA_SB_SB_EEDaSZ_S10_SG_SL_EUlSZ_E_NS1_11comp_targetILNS1_3genE3ELNS1_11target_archE908ELNS1_3gpuE7ELNS1_3repE0EEENS1_47radix_sort_onesweep_sort_config_static_selectorELNS0_4arch9wavefront6targetE0EEEvSG_
    .private_segment_fixed_size: 0
    .sgpr_count:     0
    .sgpr_spill_count: 0
    .symbol:         _ZN7rocprim17ROCPRIM_400000_NS6detail17trampoline_kernelINS0_14default_configENS1_35radix_sort_onesweep_config_selectorIsNS0_10empty_typeEEEZZNS1_29radix_sort_onesweep_iterationIS3_Lb1EPKsPsPS5_SB_mNS0_19identity_decomposerENS1_16block_id_wrapperIjLb1EEEEE10hipError_tT1_PNSt15iterator_traitsISG_E10value_typeET2_T3_PNSH_ISM_E10value_typeET4_T5_PSR_SS_PNS1_23onesweep_lookback_stateEbbT6_jjT7_P12ihipStream_tbENKUlT_T0_SG_SL_E_clIS9_SA_SB_SB_EEDaSZ_S10_SG_SL_EUlSZ_E_NS1_11comp_targetILNS1_3genE3ELNS1_11target_archE908ELNS1_3gpuE7ELNS1_3repE0EEENS1_47radix_sort_onesweep_sort_config_static_selectorELNS0_4arch9wavefront6targetE0EEEvSG_.kd
    .uniform_work_group_size: 1
    .uses_dynamic_stack: false
    .vgpr_count:     0
    .vgpr_spill_count: 0
    .wavefront_size: 32
  - .args:
      - .offset:         0
        .size:           88
        .value_kind:     by_value
    .group_segment_fixed_size: 0
    .kernarg_segment_align: 8
    .kernarg_segment_size: 88
    .language:       OpenCL C
    .language_version:
      - 2
      - 0
    .max_flat_workgroup_size: 256
    .name:           _ZN7rocprim17ROCPRIM_400000_NS6detail17trampoline_kernelINS0_14default_configENS1_35radix_sort_onesweep_config_selectorIsNS0_10empty_typeEEEZZNS1_29radix_sort_onesweep_iterationIS3_Lb1EPKsPsPS5_SB_mNS0_19identity_decomposerENS1_16block_id_wrapperIjLb1EEEEE10hipError_tT1_PNSt15iterator_traitsISG_E10value_typeET2_T3_PNSH_ISM_E10value_typeET4_T5_PSR_SS_PNS1_23onesweep_lookback_stateEbbT6_jjT7_P12ihipStream_tbENKUlT_T0_SG_SL_E_clIS9_SA_SB_SB_EEDaSZ_S10_SG_SL_EUlSZ_E_NS1_11comp_targetILNS1_3genE10ELNS1_11target_archE1201ELNS1_3gpuE5ELNS1_3repE0EEENS1_47radix_sort_onesweep_sort_config_static_selectorELNS0_4arch9wavefront6targetE0EEEvSG_
    .private_segment_fixed_size: 0
    .sgpr_count:     0
    .sgpr_spill_count: 0
    .symbol:         _ZN7rocprim17ROCPRIM_400000_NS6detail17trampoline_kernelINS0_14default_configENS1_35radix_sort_onesweep_config_selectorIsNS0_10empty_typeEEEZZNS1_29radix_sort_onesweep_iterationIS3_Lb1EPKsPsPS5_SB_mNS0_19identity_decomposerENS1_16block_id_wrapperIjLb1EEEEE10hipError_tT1_PNSt15iterator_traitsISG_E10value_typeET2_T3_PNSH_ISM_E10value_typeET4_T5_PSR_SS_PNS1_23onesweep_lookback_stateEbbT6_jjT7_P12ihipStream_tbENKUlT_T0_SG_SL_E_clIS9_SA_SB_SB_EEDaSZ_S10_SG_SL_EUlSZ_E_NS1_11comp_targetILNS1_3genE10ELNS1_11target_archE1201ELNS1_3gpuE5ELNS1_3repE0EEENS1_47radix_sort_onesweep_sort_config_static_selectorELNS0_4arch9wavefront6targetE0EEEvSG_.kd
    .uniform_work_group_size: 1
    .uses_dynamic_stack: false
    .vgpr_count:     0
    .vgpr_spill_count: 0
    .wavefront_size: 32
  - .args:
      - .offset:         0
        .size:           88
        .value_kind:     by_value
    .group_segment_fixed_size: 0
    .kernarg_segment_align: 8
    .kernarg_segment_size: 88
    .language:       OpenCL C
    .language_version:
      - 2
      - 0
    .max_flat_workgroup_size: 256
    .name:           _ZN7rocprim17ROCPRIM_400000_NS6detail17trampoline_kernelINS0_14default_configENS1_35radix_sort_onesweep_config_selectorIsNS0_10empty_typeEEEZZNS1_29radix_sort_onesweep_iterationIS3_Lb1EPKsPsPS5_SB_mNS0_19identity_decomposerENS1_16block_id_wrapperIjLb1EEEEE10hipError_tT1_PNSt15iterator_traitsISG_E10value_typeET2_T3_PNSH_ISM_E10value_typeET4_T5_PSR_SS_PNS1_23onesweep_lookback_stateEbbT6_jjT7_P12ihipStream_tbENKUlT_T0_SG_SL_E_clIS9_SA_SB_SB_EEDaSZ_S10_SG_SL_EUlSZ_E_NS1_11comp_targetILNS1_3genE9ELNS1_11target_archE1100ELNS1_3gpuE3ELNS1_3repE0EEENS1_47radix_sort_onesweep_sort_config_static_selectorELNS0_4arch9wavefront6targetE0EEEvSG_
    .private_segment_fixed_size: 0
    .sgpr_count:     0
    .sgpr_spill_count: 0
    .symbol:         _ZN7rocprim17ROCPRIM_400000_NS6detail17trampoline_kernelINS0_14default_configENS1_35radix_sort_onesweep_config_selectorIsNS0_10empty_typeEEEZZNS1_29radix_sort_onesweep_iterationIS3_Lb1EPKsPsPS5_SB_mNS0_19identity_decomposerENS1_16block_id_wrapperIjLb1EEEEE10hipError_tT1_PNSt15iterator_traitsISG_E10value_typeET2_T3_PNSH_ISM_E10value_typeET4_T5_PSR_SS_PNS1_23onesweep_lookback_stateEbbT6_jjT7_P12ihipStream_tbENKUlT_T0_SG_SL_E_clIS9_SA_SB_SB_EEDaSZ_S10_SG_SL_EUlSZ_E_NS1_11comp_targetILNS1_3genE9ELNS1_11target_archE1100ELNS1_3gpuE3ELNS1_3repE0EEENS1_47radix_sort_onesweep_sort_config_static_selectorELNS0_4arch9wavefront6targetE0EEEvSG_.kd
    .uniform_work_group_size: 1
    .uses_dynamic_stack: false
    .vgpr_count:     0
    .vgpr_spill_count: 0
    .wavefront_size: 32
  - .args:
      - .offset:         0
        .size:           88
        .value_kind:     by_value
    .group_segment_fixed_size: 0
    .kernarg_segment_align: 8
    .kernarg_segment_size: 88
    .language:       OpenCL C
    .language_version:
      - 2
      - 0
    .max_flat_workgroup_size: 256
    .name:           _ZN7rocprim17ROCPRIM_400000_NS6detail17trampoline_kernelINS0_14default_configENS1_35radix_sort_onesweep_config_selectorIsNS0_10empty_typeEEEZZNS1_29radix_sort_onesweep_iterationIS3_Lb1EPKsPsPS5_SB_mNS0_19identity_decomposerENS1_16block_id_wrapperIjLb1EEEEE10hipError_tT1_PNSt15iterator_traitsISG_E10value_typeET2_T3_PNSH_ISM_E10value_typeET4_T5_PSR_SS_PNS1_23onesweep_lookback_stateEbbT6_jjT7_P12ihipStream_tbENKUlT_T0_SG_SL_E_clIS9_SA_SB_SB_EEDaSZ_S10_SG_SL_EUlSZ_E_NS1_11comp_targetILNS1_3genE8ELNS1_11target_archE1030ELNS1_3gpuE2ELNS1_3repE0EEENS1_47radix_sort_onesweep_sort_config_static_selectorELNS0_4arch9wavefront6targetE0EEEvSG_
    .private_segment_fixed_size: 0
    .sgpr_count:     0
    .sgpr_spill_count: 0
    .symbol:         _ZN7rocprim17ROCPRIM_400000_NS6detail17trampoline_kernelINS0_14default_configENS1_35radix_sort_onesweep_config_selectorIsNS0_10empty_typeEEEZZNS1_29radix_sort_onesweep_iterationIS3_Lb1EPKsPsPS5_SB_mNS0_19identity_decomposerENS1_16block_id_wrapperIjLb1EEEEE10hipError_tT1_PNSt15iterator_traitsISG_E10value_typeET2_T3_PNSH_ISM_E10value_typeET4_T5_PSR_SS_PNS1_23onesweep_lookback_stateEbbT6_jjT7_P12ihipStream_tbENKUlT_T0_SG_SL_E_clIS9_SA_SB_SB_EEDaSZ_S10_SG_SL_EUlSZ_E_NS1_11comp_targetILNS1_3genE8ELNS1_11target_archE1030ELNS1_3gpuE2ELNS1_3repE0EEENS1_47radix_sort_onesweep_sort_config_static_selectorELNS0_4arch9wavefront6targetE0EEEvSG_.kd
    .uniform_work_group_size: 1
    .uses_dynamic_stack: false
    .vgpr_count:     0
    .vgpr_spill_count: 0
    .wavefront_size: 32
  - .args:
      - .offset:         0
        .size:           88
        .value_kind:     by_value
      - .offset:         88
        .size:           4
        .value_kind:     hidden_block_count_x
      - .offset:         92
        .size:           4
        .value_kind:     hidden_block_count_y
      - .offset:         96
        .size:           4
        .value_kind:     hidden_block_count_z
      - .offset:         100
        .size:           2
        .value_kind:     hidden_group_size_x
      - .offset:         102
        .size:           2
        .value_kind:     hidden_group_size_y
      - .offset:         104
        .size:           2
        .value_kind:     hidden_group_size_z
      - .offset:         106
        .size:           2
        .value_kind:     hidden_remainder_x
      - .offset:         108
        .size:           2
        .value_kind:     hidden_remainder_y
      - .offset:         110
        .size:           2
        .value_kind:     hidden_remainder_z
      - .offset:         128
        .size:           8
        .value_kind:     hidden_global_offset_x
      - .offset:         136
        .size:           8
        .value_kind:     hidden_global_offset_y
      - .offset:         144
        .size:           8
        .value_kind:     hidden_global_offset_z
      - .offset:         152
        .size:           2
        .value_kind:     hidden_grid_dims
    .group_segment_fixed_size: 18504
    .kernarg_segment_align: 8
    .kernarg_segment_size: 344
    .language:       OpenCL C
    .language_version:
      - 2
      - 0
    .max_flat_workgroup_size: 512
    .name:           _ZN7rocprim17ROCPRIM_400000_NS6detail17trampoline_kernelINS0_14default_configENS1_35radix_sort_onesweep_config_selectorIsNS0_10empty_typeEEEZZNS1_29radix_sort_onesweep_iterationIS3_Lb1EPKsPsPS5_SB_mNS0_19identity_decomposerENS1_16block_id_wrapperIjLb1EEEEE10hipError_tT1_PNSt15iterator_traitsISG_E10value_typeET2_T3_PNSH_ISM_E10value_typeET4_T5_PSR_SS_PNS1_23onesweep_lookback_stateEbbT6_jjT7_P12ihipStream_tbENKUlT_T0_SG_SL_E_clISA_SA_SB_SB_EEDaSZ_S10_SG_SL_EUlSZ_E_NS1_11comp_targetILNS1_3genE0ELNS1_11target_archE4294967295ELNS1_3gpuE0ELNS1_3repE0EEENS1_47radix_sort_onesweep_sort_config_static_selectorELNS0_4arch9wavefront6targetE0EEEvSG_
    .private_segment_fixed_size: 0
    .sgpr_count:     32
    .sgpr_spill_count: 0
    .symbol:         _ZN7rocprim17ROCPRIM_400000_NS6detail17trampoline_kernelINS0_14default_configENS1_35radix_sort_onesweep_config_selectorIsNS0_10empty_typeEEEZZNS1_29radix_sort_onesweep_iterationIS3_Lb1EPKsPsPS5_SB_mNS0_19identity_decomposerENS1_16block_id_wrapperIjLb1EEEEE10hipError_tT1_PNSt15iterator_traitsISG_E10value_typeET2_T3_PNSH_ISM_E10value_typeET4_T5_PSR_SS_PNS1_23onesweep_lookback_stateEbbT6_jjT7_P12ihipStream_tbENKUlT_T0_SG_SL_E_clISA_SA_SB_SB_EEDaSZ_S10_SG_SL_EUlSZ_E_NS1_11comp_targetILNS1_3genE0ELNS1_11target_archE4294967295ELNS1_3gpuE0ELNS1_3repE0EEENS1_47radix_sort_onesweep_sort_config_static_selectorELNS0_4arch9wavefront6targetE0EEEvSG_.kd
    .uniform_work_group_size: 1
    .uses_dynamic_stack: false
    .vgpr_count:     65
    .vgpr_spill_count: 0
    .wavefront_size: 32
  - .args:
      - .offset:         0
        .size:           88
        .value_kind:     by_value
    .group_segment_fixed_size: 0
    .kernarg_segment_align: 8
    .kernarg_segment_size: 88
    .language:       OpenCL C
    .language_version:
      - 2
      - 0
    .max_flat_workgroup_size: 1024
    .name:           _ZN7rocprim17ROCPRIM_400000_NS6detail17trampoline_kernelINS0_14default_configENS1_35radix_sort_onesweep_config_selectorIsNS0_10empty_typeEEEZZNS1_29radix_sort_onesweep_iterationIS3_Lb1EPKsPsPS5_SB_mNS0_19identity_decomposerENS1_16block_id_wrapperIjLb1EEEEE10hipError_tT1_PNSt15iterator_traitsISG_E10value_typeET2_T3_PNSH_ISM_E10value_typeET4_T5_PSR_SS_PNS1_23onesweep_lookback_stateEbbT6_jjT7_P12ihipStream_tbENKUlT_T0_SG_SL_E_clISA_SA_SB_SB_EEDaSZ_S10_SG_SL_EUlSZ_E_NS1_11comp_targetILNS1_3genE6ELNS1_11target_archE950ELNS1_3gpuE13ELNS1_3repE0EEENS1_47radix_sort_onesweep_sort_config_static_selectorELNS0_4arch9wavefront6targetE0EEEvSG_
    .private_segment_fixed_size: 0
    .sgpr_count:     0
    .sgpr_spill_count: 0
    .symbol:         _ZN7rocprim17ROCPRIM_400000_NS6detail17trampoline_kernelINS0_14default_configENS1_35radix_sort_onesweep_config_selectorIsNS0_10empty_typeEEEZZNS1_29radix_sort_onesweep_iterationIS3_Lb1EPKsPsPS5_SB_mNS0_19identity_decomposerENS1_16block_id_wrapperIjLb1EEEEE10hipError_tT1_PNSt15iterator_traitsISG_E10value_typeET2_T3_PNSH_ISM_E10value_typeET4_T5_PSR_SS_PNS1_23onesweep_lookback_stateEbbT6_jjT7_P12ihipStream_tbENKUlT_T0_SG_SL_E_clISA_SA_SB_SB_EEDaSZ_S10_SG_SL_EUlSZ_E_NS1_11comp_targetILNS1_3genE6ELNS1_11target_archE950ELNS1_3gpuE13ELNS1_3repE0EEENS1_47radix_sort_onesweep_sort_config_static_selectorELNS0_4arch9wavefront6targetE0EEEvSG_.kd
    .uniform_work_group_size: 1
    .uses_dynamic_stack: false
    .vgpr_count:     0
    .vgpr_spill_count: 0
    .wavefront_size: 32
  - .args:
      - .offset:         0
        .size:           88
        .value_kind:     by_value
    .group_segment_fixed_size: 0
    .kernarg_segment_align: 8
    .kernarg_segment_size: 88
    .language:       OpenCL C
    .language_version:
      - 2
      - 0
    .max_flat_workgroup_size: 1024
    .name:           _ZN7rocprim17ROCPRIM_400000_NS6detail17trampoline_kernelINS0_14default_configENS1_35radix_sort_onesweep_config_selectorIsNS0_10empty_typeEEEZZNS1_29radix_sort_onesweep_iterationIS3_Lb1EPKsPsPS5_SB_mNS0_19identity_decomposerENS1_16block_id_wrapperIjLb1EEEEE10hipError_tT1_PNSt15iterator_traitsISG_E10value_typeET2_T3_PNSH_ISM_E10value_typeET4_T5_PSR_SS_PNS1_23onesweep_lookback_stateEbbT6_jjT7_P12ihipStream_tbENKUlT_T0_SG_SL_E_clISA_SA_SB_SB_EEDaSZ_S10_SG_SL_EUlSZ_E_NS1_11comp_targetILNS1_3genE5ELNS1_11target_archE942ELNS1_3gpuE9ELNS1_3repE0EEENS1_47radix_sort_onesweep_sort_config_static_selectorELNS0_4arch9wavefront6targetE0EEEvSG_
    .private_segment_fixed_size: 0
    .sgpr_count:     0
    .sgpr_spill_count: 0
    .symbol:         _ZN7rocprim17ROCPRIM_400000_NS6detail17trampoline_kernelINS0_14default_configENS1_35radix_sort_onesweep_config_selectorIsNS0_10empty_typeEEEZZNS1_29radix_sort_onesweep_iterationIS3_Lb1EPKsPsPS5_SB_mNS0_19identity_decomposerENS1_16block_id_wrapperIjLb1EEEEE10hipError_tT1_PNSt15iterator_traitsISG_E10value_typeET2_T3_PNSH_ISM_E10value_typeET4_T5_PSR_SS_PNS1_23onesweep_lookback_stateEbbT6_jjT7_P12ihipStream_tbENKUlT_T0_SG_SL_E_clISA_SA_SB_SB_EEDaSZ_S10_SG_SL_EUlSZ_E_NS1_11comp_targetILNS1_3genE5ELNS1_11target_archE942ELNS1_3gpuE9ELNS1_3repE0EEENS1_47radix_sort_onesweep_sort_config_static_selectorELNS0_4arch9wavefront6targetE0EEEvSG_.kd
    .uniform_work_group_size: 1
    .uses_dynamic_stack: false
    .vgpr_count:     0
    .vgpr_spill_count: 0
    .wavefront_size: 32
  - .args:
      - .offset:         0
        .size:           88
        .value_kind:     by_value
    .group_segment_fixed_size: 0
    .kernarg_segment_align: 8
    .kernarg_segment_size: 88
    .language:       OpenCL C
    .language_version:
      - 2
      - 0
    .max_flat_workgroup_size: 512
    .name:           _ZN7rocprim17ROCPRIM_400000_NS6detail17trampoline_kernelINS0_14default_configENS1_35radix_sort_onesweep_config_selectorIsNS0_10empty_typeEEEZZNS1_29radix_sort_onesweep_iterationIS3_Lb1EPKsPsPS5_SB_mNS0_19identity_decomposerENS1_16block_id_wrapperIjLb1EEEEE10hipError_tT1_PNSt15iterator_traitsISG_E10value_typeET2_T3_PNSH_ISM_E10value_typeET4_T5_PSR_SS_PNS1_23onesweep_lookback_stateEbbT6_jjT7_P12ihipStream_tbENKUlT_T0_SG_SL_E_clISA_SA_SB_SB_EEDaSZ_S10_SG_SL_EUlSZ_E_NS1_11comp_targetILNS1_3genE2ELNS1_11target_archE906ELNS1_3gpuE6ELNS1_3repE0EEENS1_47radix_sort_onesweep_sort_config_static_selectorELNS0_4arch9wavefront6targetE0EEEvSG_
    .private_segment_fixed_size: 0
    .sgpr_count:     0
    .sgpr_spill_count: 0
    .symbol:         _ZN7rocprim17ROCPRIM_400000_NS6detail17trampoline_kernelINS0_14default_configENS1_35radix_sort_onesweep_config_selectorIsNS0_10empty_typeEEEZZNS1_29radix_sort_onesweep_iterationIS3_Lb1EPKsPsPS5_SB_mNS0_19identity_decomposerENS1_16block_id_wrapperIjLb1EEEEE10hipError_tT1_PNSt15iterator_traitsISG_E10value_typeET2_T3_PNSH_ISM_E10value_typeET4_T5_PSR_SS_PNS1_23onesweep_lookback_stateEbbT6_jjT7_P12ihipStream_tbENKUlT_T0_SG_SL_E_clISA_SA_SB_SB_EEDaSZ_S10_SG_SL_EUlSZ_E_NS1_11comp_targetILNS1_3genE2ELNS1_11target_archE906ELNS1_3gpuE6ELNS1_3repE0EEENS1_47radix_sort_onesweep_sort_config_static_selectorELNS0_4arch9wavefront6targetE0EEEvSG_.kd
    .uniform_work_group_size: 1
    .uses_dynamic_stack: false
    .vgpr_count:     0
    .vgpr_spill_count: 0
    .wavefront_size: 32
  - .args:
      - .offset:         0
        .size:           88
        .value_kind:     by_value
    .group_segment_fixed_size: 0
    .kernarg_segment_align: 8
    .kernarg_segment_size: 88
    .language:       OpenCL C
    .language_version:
      - 2
      - 0
    .max_flat_workgroup_size: 1024
    .name:           _ZN7rocprim17ROCPRIM_400000_NS6detail17trampoline_kernelINS0_14default_configENS1_35radix_sort_onesweep_config_selectorIsNS0_10empty_typeEEEZZNS1_29radix_sort_onesweep_iterationIS3_Lb1EPKsPsPS5_SB_mNS0_19identity_decomposerENS1_16block_id_wrapperIjLb1EEEEE10hipError_tT1_PNSt15iterator_traitsISG_E10value_typeET2_T3_PNSH_ISM_E10value_typeET4_T5_PSR_SS_PNS1_23onesweep_lookback_stateEbbT6_jjT7_P12ihipStream_tbENKUlT_T0_SG_SL_E_clISA_SA_SB_SB_EEDaSZ_S10_SG_SL_EUlSZ_E_NS1_11comp_targetILNS1_3genE4ELNS1_11target_archE910ELNS1_3gpuE8ELNS1_3repE0EEENS1_47radix_sort_onesweep_sort_config_static_selectorELNS0_4arch9wavefront6targetE0EEEvSG_
    .private_segment_fixed_size: 0
    .sgpr_count:     0
    .sgpr_spill_count: 0
    .symbol:         _ZN7rocprim17ROCPRIM_400000_NS6detail17trampoline_kernelINS0_14default_configENS1_35radix_sort_onesweep_config_selectorIsNS0_10empty_typeEEEZZNS1_29radix_sort_onesweep_iterationIS3_Lb1EPKsPsPS5_SB_mNS0_19identity_decomposerENS1_16block_id_wrapperIjLb1EEEEE10hipError_tT1_PNSt15iterator_traitsISG_E10value_typeET2_T3_PNSH_ISM_E10value_typeET4_T5_PSR_SS_PNS1_23onesweep_lookback_stateEbbT6_jjT7_P12ihipStream_tbENKUlT_T0_SG_SL_E_clISA_SA_SB_SB_EEDaSZ_S10_SG_SL_EUlSZ_E_NS1_11comp_targetILNS1_3genE4ELNS1_11target_archE910ELNS1_3gpuE8ELNS1_3repE0EEENS1_47radix_sort_onesweep_sort_config_static_selectorELNS0_4arch9wavefront6targetE0EEEvSG_.kd
    .uniform_work_group_size: 1
    .uses_dynamic_stack: false
    .vgpr_count:     0
    .vgpr_spill_count: 0
    .wavefront_size: 32
  - .args:
      - .offset:         0
        .size:           88
        .value_kind:     by_value
    .group_segment_fixed_size: 0
    .kernarg_segment_align: 8
    .kernarg_segment_size: 88
    .language:       OpenCL C
    .language_version:
      - 2
      - 0
    .max_flat_workgroup_size: 512
    .name:           _ZN7rocprim17ROCPRIM_400000_NS6detail17trampoline_kernelINS0_14default_configENS1_35radix_sort_onesweep_config_selectorIsNS0_10empty_typeEEEZZNS1_29radix_sort_onesweep_iterationIS3_Lb1EPKsPsPS5_SB_mNS0_19identity_decomposerENS1_16block_id_wrapperIjLb1EEEEE10hipError_tT1_PNSt15iterator_traitsISG_E10value_typeET2_T3_PNSH_ISM_E10value_typeET4_T5_PSR_SS_PNS1_23onesweep_lookback_stateEbbT6_jjT7_P12ihipStream_tbENKUlT_T0_SG_SL_E_clISA_SA_SB_SB_EEDaSZ_S10_SG_SL_EUlSZ_E_NS1_11comp_targetILNS1_3genE3ELNS1_11target_archE908ELNS1_3gpuE7ELNS1_3repE0EEENS1_47radix_sort_onesweep_sort_config_static_selectorELNS0_4arch9wavefront6targetE0EEEvSG_
    .private_segment_fixed_size: 0
    .sgpr_count:     0
    .sgpr_spill_count: 0
    .symbol:         _ZN7rocprim17ROCPRIM_400000_NS6detail17trampoline_kernelINS0_14default_configENS1_35radix_sort_onesweep_config_selectorIsNS0_10empty_typeEEEZZNS1_29radix_sort_onesweep_iterationIS3_Lb1EPKsPsPS5_SB_mNS0_19identity_decomposerENS1_16block_id_wrapperIjLb1EEEEE10hipError_tT1_PNSt15iterator_traitsISG_E10value_typeET2_T3_PNSH_ISM_E10value_typeET4_T5_PSR_SS_PNS1_23onesweep_lookback_stateEbbT6_jjT7_P12ihipStream_tbENKUlT_T0_SG_SL_E_clISA_SA_SB_SB_EEDaSZ_S10_SG_SL_EUlSZ_E_NS1_11comp_targetILNS1_3genE3ELNS1_11target_archE908ELNS1_3gpuE7ELNS1_3repE0EEENS1_47radix_sort_onesweep_sort_config_static_selectorELNS0_4arch9wavefront6targetE0EEEvSG_.kd
    .uniform_work_group_size: 1
    .uses_dynamic_stack: false
    .vgpr_count:     0
    .vgpr_spill_count: 0
    .wavefront_size: 32
  - .args:
      - .offset:         0
        .size:           88
        .value_kind:     by_value
    .group_segment_fixed_size: 0
    .kernarg_segment_align: 8
    .kernarg_segment_size: 88
    .language:       OpenCL C
    .language_version:
      - 2
      - 0
    .max_flat_workgroup_size: 256
    .name:           _ZN7rocprim17ROCPRIM_400000_NS6detail17trampoline_kernelINS0_14default_configENS1_35radix_sort_onesweep_config_selectorIsNS0_10empty_typeEEEZZNS1_29radix_sort_onesweep_iterationIS3_Lb1EPKsPsPS5_SB_mNS0_19identity_decomposerENS1_16block_id_wrapperIjLb1EEEEE10hipError_tT1_PNSt15iterator_traitsISG_E10value_typeET2_T3_PNSH_ISM_E10value_typeET4_T5_PSR_SS_PNS1_23onesweep_lookback_stateEbbT6_jjT7_P12ihipStream_tbENKUlT_T0_SG_SL_E_clISA_SA_SB_SB_EEDaSZ_S10_SG_SL_EUlSZ_E_NS1_11comp_targetILNS1_3genE10ELNS1_11target_archE1201ELNS1_3gpuE5ELNS1_3repE0EEENS1_47radix_sort_onesweep_sort_config_static_selectorELNS0_4arch9wavefront6targetE0EEEvSG_
    .private_segment_fixed_size: 0
    .sgpr_count:     0
    .sgpr_spill_count: 0
    .symbol:         _ZN7rocprim17ROCPRIM_400000_NS6detail17trampoline_kernelINS0_14default_configENS1_35radix_sort_onesweep_config_selectorIsNS0_10empty_typeEEEZZNS1_29radix_sort_onesweep_iterationIS3_Lb1EPKsPsPS5_SB_mNS0_19identity_decomposerENS1_16block_id_wrapperIjLb1EEEEE10hipError_tT1_PNSt15iterator_traitsISG_E10value_typeET2_T3_PNSH_ISM_E10value_typeET4_T5_PSR_SS_PNS1_23onesweep_lookback_stateEbbT6_jjT7_P12ihipStream_tbENKUlT_T0_SG_SL_E_clISA_SA_SB_SB_EEDaSZ_S10_SG_SL_EUlSZ_E_NS1_11comp_targetILNS1_3genE10ELNS1_11target_archE1201ELNS1_3gpuE5ELNS1_3repE0EEENS1_47radix_sort_onesweep_sort_config_static_selectorELNS0_4arch9wavefront6targetE0EEEvSG_.kd
    .uniform_work_group_size: 1
    .uses_dynamic_stack: false
    .vgpr_count:     0
    .vgpr_spill_count: 0
    .wavefront_size: 32
  - .args:
      - .offset:         0
        .size:           88
        .value_kind:     by_value
    .group_segment_fixed_size: 0
    .kernarg_segment_align: 8
    .kernarg_segment_size: 88
    .language:       OpenCL C
    .language_version:
      - 2
      - 0
    .max_flat_workgroup_size: 256
    .name:           _ZN7rocprim17ROCPRIM_400000_NS6detail17trampoline_kernelINS0_14default_configENS1_35radix_sort_onesweep_config_selectorIsNS0_10empty_typeEEEZZNS1_29radix_sort_onesweep_iterationIS3_Lb1EPKsPsPS5_SB_mNS0_19identity_decomposerENS1_16block_id_wrapperIjLb1EEEEE10hipError_tT1_PNSt15iterator_traitsISG_E10value_typeET2_T3_PNSH_ISM_E10value_typeET4_T5_PSR_SS_PNS1_23onesweep_lookback_stateEbbT6_jjT7_P12ihipStream_tbENKUlT_T0_SG_SL_E_clISA_SA_SB_SB_EEDaSZ_S10_SG_SL_EUlSZ_E_NS1_11comp_targetILNS1_3genE9ELNS1_11target_archE1100ELNS1_3gpuE3ELNS1_3repE0EEENS1_47radix_sort_onesweep_sort_config_static_selectorELNS0_4arch9wavefront6targetE0EEEvSG_
    .private_segment_fixed_size: 0
    .sgpr_count:     0
    .sgpr_spill_count: 0
    .symbol:         _ZN7rocprim17ROCPRIM_400000_NS6detail17trampoline_kernelINS0_14default_configENS1_35radix_sort_onesweep_config_selectorIsNS0_10empty_typeEEEZZNS1_29radix_sort_onesweep_iterationIS3_Lb1EPKsPsPS5_SB_mNS0_19identity_decomposerENS1_16block_id_wrapperIjLb1EEEEE10hipError_tT1_PNSt15iterator_traitsISG_E10value_typeET2_T3_PNSH_ISM_E10value_typeET4_T5_PSR_SS_PNS1_23onesweep_lookback_stateEbbT6_jjT7_P12ihipStream_tbENKUlT_T0_SG_SL_E_clISA_SA_SB_SB_EEDaSZ_S10_SG_SL_EUlSZ_E_NS1_11comp_targetILNS1_3genE9ELNS1_11target_archE1100ELNS1_3gpuE3ELNS1_3repE0EEENS1_47radix_sort_onesweep_sort_config_static_selectorELNS0_4arch9wavefront6targetE0EEEvSG_.kd
    .uniform_work_group_size: 1
    .uses_dynamic_stack: false
    .vgpr_count:     0
    .vgpr_spill_count: 0
    .wavefront_size: 32
  - .args:
      - .offset:         0
        .size:           88
        .value_kind:     by_value
    .group_segment_fixed_size: 0
    .kernarg_segment_align: 8
    .kernarg_segment_size: 88
    .language:       OpenCL C
    .language_version:
      - 2
      - 0
    .max_flat_workgroup_size: 256
    .name:           _ZN7rocprim17ROCPRIM_400000_NS6detail17trampoline_kernelINS0_14default_configENS1_35radix_sort_onesweep_config_selectorIsNS0_10empty_typeEEEZZNS1_29radix_sort_onesweep_iterationIS3_Lb1EPKsPsPS5_SB_mNS0_19identity_decomposerENS1_16block_id_wrapperIjLb1EEEEE10hipError_tT1_PNSt15iterator_traitsISG_E10value_typeET2_T3_PNSH_ISM_E10value_typeET4_T5_PSR_SS_PNS1_23onesweep_lookback_stateEbbT6_jjT7_P12ihipStream_tbENKUlT_T0_SG_SL_E_clISA_SA_SB_SB_EEDaSZ_S10_SG_SL_EUlSZ_E_NS1_11comp_targetILNS1_3genE8ELNS1_11target_archE1030ELNS1_3gpuE2ELNS1_3repE0EEENS1_47radix_sort_onesweep_sort_config_static_selectorELNS0_4arch9wavefront6targetE0EEEvSG_
    .private_segment_fixed_size: 0
    .sgpr_count:     0
    .sgpr_spill_count: 0
    .symbol:         _ZN7rocprim17ROCPRIM_400000_NS6detail17trampoline_kernelINS0_14default_configENS1_35radix_sort_onesweep_config_selectorIsNS0_10empty_typeEEEZZNS1_29radix_sort_onesweep_iterationIS3_Lb1EPKsPsPS5_SB_mNS0_19identity_decomposerENS1_16block_id_wrapperIjLb1EEEEE10hipError_tT1_PNSt15iterator_traitsISG_E10value_typeET2_T3_PNSH_ISM_E10value_typeET4_T5_PSR_SS_PNS1_23onesweep_lookback_stateEbbT6_jjT7_P12ihipStream_tbENKUlT_T0_SG_SL_E_clISA_SA_SB_SB_EEDaSZ_S10_SG_SL_EUlSZ_E_NS1_11comp_targetILNS1_3genE8ELNS1_11target_archE1030ELNS1_3gpuE2ELNS1_3repE0EEENS1_47radix_sort_onesweep_sort_config_static_selectorELNS0_4arch9wavefront6targetE0EEEvSG_.kd
    .uniform_work_group_size: 1
    .uses_dynamic_stack: false
    .vgpr_count:     0
    .vgpr_spill_count: 0
    .wavefront_size: 32
  - .args:
      - .offset:         0
        .size:           88
        .value_kind:     by_value
      - .offset:         88
        .size:           4
        .value_kind:     hidden_block_count_x
      - .offset:         92
        .size:           4
        .value_kind:     hidden_block_count_y
      - .offset:         96
        .size:           4
        .value_kind:     hidden_block_count_z
      - .offset:         100
        .size:           2
        .value_kind:     hidden_group_size_x
      - .offset:         102
        .size:           2
        .value_kind:     hidden_group_size_y
      - .offset:         104
        .size:           2
        .value_kind:     hidden_group_size_z
      - .offset:         106
        .size:           2
        .value_kind:     hidden_remainder_x
      - .offset:         108
        .size:           2
        .value_kind:     hidden_remainder_y
      - .offset:         110
        .size:           2
        .value_kind:     hidden_remainder_z
      - .offset:         128
        .size:           8
        .value_kind:     hidden_global_offset_x
      - .offset:         136
        .size:           8
        .value_kind:     hidden_global_offset_y
      - .offset:         144
        .size:           8
        .value_kind:     hidden_global_offset_z
      - .offset:         152
        .size:           2
        .value_kind:     hidden_grid_dims
    .group_segment_fixed_size: 18504
    .kernarg_segment_align: 8
    .kernarg_segment_size: 344
    .language:       OpenCL C
    .language_version:
      - 2
      - 0
    .max_flat_workgroup_size: 512
    .name:           _ZN7rocprim17ROCPRIM_400000_NS6detail17trampoline_kernelINS0_14default_configENS1_35radix_sort_onesweep_config_selectorIsNS0_10empty_typeEEEZZNS1_29radix_sort_onesweep_iterationIS3_Lb1EPKsPsPS5_SB_mNS0_19identity_decomposerENS1_16block_id_wrapperIjLb0EEEEE10hipError_tT1_PNSt15iterator_traitsISG_E10value_typeET2_T3_PNSH_ISM_E10value_typeET4_T5_PSR_SS_PNS1_23onesweep_lookback_stateEbbT6_jjT7_P12ihipStream_tbENKUlT_T0_SG_SL_E_clIS9_SA_SB_SB_EEDaSZ_S10_SG_SL_EUlSZ_E_NS1_11comp_targetILNS1_3genE0ELNS1_11target_archE4294967295ELNS1_3gpuE0ELNS1_3repE0EEENS1_47radix_sort_onesweep_sort_config_static_selectorELNS0_4arch9wavefront6targetE0EEEvSG_
    .private_segment_fixed_size: 0
    .sgpr_count:     31
    .sgpr_spill_count: 0
    .symbol:         _ZN7rocprim17ROCPRIM_400000_NS6detail17trampoline_kernelINS0_14default_configENS1_35radix_sort_onesweep_config_selectorIsNS0_10empty_typeEEEZZNS1_29radix_sort_onesweep_iterationIS3_Lb1EPKsPsPS5_SB_mNS0_19identity_decomposerENS1_16block_id_wrapperIjLb0EEEEE10hipError_tT1_PNSt15iterator_traitsISG_E10value_typeET2_T3_PNSH_ISM_E10value_typeET4_T5_PSR_SS_PNS1_23onesweep_lookback_stateEbbT6_jjT7_P12ihipStream_tbENKUlT_T0_SG_SL_E_clIS9_SA_SB_SB_EEDaSZ_S10_SG_SL_EUlSZ_E_NS1_11comp_targetILNS1_3genE0ELNS1_11target_archE4294967295ELNS1_3gpuE0ELNS1_3repE0EEENS1_47radix_sort_onesweep_sort_config_static_selectorELNS0_4arch9wavefront6targetE0EEEvSG_.kd
    .uniform_work_group_size: 1
    .uses_dynamic_stack: false
    .vgpr_count:     65
    .vgpr_spill_count: 0
    .wavefront_size: 32
  - .args:
      - .offset:         0
        .size:           88
        .value_kind:     by_value
    .group_segment_fixed_size: 0
    .kernarg_segment_align: 8
    .kernarg_segment_size: 88
    .language:       OpenCL C
    .language_version:
      - 2
      - 0
    .max_flat_workgroup_size: 1024
    .name:           _ZN7rocprim17ROCPRIM_400000_NS6detail17trampoline_kernelINS0_14default_configENS1_35radix_sort_onesweep_config_selectorIsNS0_10empty_typeEEEZZNS1_29radix_sort_onesweep_iterationIS3_Lb1EPKsPsPS5_SB_mNS0_19identity_decomposerENS1_16block_id_wrapperIjLb0EEEEE10hipError_tT1_PNSt15iterator_traitsISG_E10value_typeET2_T3_PNSH_ISM_E10value_typeET4_T5_PSR_SS_PNS1_23onesweep_lookback_stateEbbT6_jjT7_P12ihipStream_tbENKUlT_T0_SG_SL_E_clIS9_SA_SB_SB_EEDaSZ_S10_SG_SL_EUlSZ_E_NS1_11comp_targetILNS1_3genE6ELNS1_11target_archE950ELNS1_3gpuE13ELNS1_3repE0EEENS1_47radix_sort_onesweep_sort_config_static_selectorELNS0_4arch9wavefront6targetE0EEEvSG_
    .private_segment_fixed_size: 0
    .sgpr_count:     0
    .sgpr_spill_count: 0
    .symbol:         _ZN7rocprim17ROCPRIM_400000_NS6detail17trampoline_kernelINS0_14default_configENS1_35radix_sort_onesweep_config_selectorIsNS0_10empty_typeEEEZZNS1_29radix_sort_onesweep_iterationIS3_Lb1EPKsPsPS5_SB_mNS0_19identity_decomposerENS1_16block_id_wrapperIjLb0EEEEE10hipError_tT1_PNSt15iterator_traitsISG_E10value_typeET2_T3_PNSH_ISM_E10value_typeET4_T5_PSR_SS_PNS1_23onesweep_lookback_stateEbbT6_jjT7_P12ihipStream_tbENKUlT_T0_SG_SL_E_clIS9_SA_SB_SB_EEDaSZ_S10_SG_SL_EUlSZ_E_NS1_11comp_targetILNS1_3genE6ELNS1_11target_archE950ELNS1_3gpuE13ELNS1_3repE0EEENS1_47radix_sort_onesweep_sort_config_static_selectorELNS0_4arch9wavefront6targetE0EEEvSG_.kd
    .uniform_work_group_size: 1
    .uses_dynamic_stack: false
    .vgpr_count:     0
    .vgpr_spill_count: 0
    .wavefront_size: 32
  - .args:
      - .offset:         0
        .size:           88
        .value_kind:     by_value
    .group_segment_fixed_size: 0
    .kernarg_segment_align: 8
    .kernarg_segment_size: 88
    .language:       OpenCL C
    .language_version:
      - 2
      - 0
    .max_flat_workgroup_size: 1024
    .name:           _ZN7rocprim17ROCPRIM_400000_NS6detail17trampoline_kernelINS0_14default_configENS1_35radix_sort_onesweep_config_selectorIsNS0_10empty_typeEEEZZNS1_29radix_sort_onesweep_iterationIS3_Lb1EPKsPsPS5_SB_mNS0_19identity_decomposerENS1_16block_id_wrapperIjLb0EEEEE10hipError_tT1_PNSt15iterator_traitsISG_E10value_typeET2_T3_PNSH_ISM_E10value_typeET4_T5_PSR_SS_PNS1_23onesweep_lookback_stateEbbT6_jjT7_P12ihipStream_tbENKUlT_T0_SG_SL_E_clIS9_SA_SB_SB_EEDaSZ_S10_SG_SL_EUlSZ_E_NS1_11comp_targetILNS1_3genE5ELNS1_11target_archE942ELNS1_3gpuE9ELNS1_3repE0EEENS1_47radix_sort_onesweep_sort_config_static_selectorELNS0_4arch9wavefront6targetE0EEEvSG_
    .private_segment_fixed_size: 0
    .sgpr_count:     0
    .sgpr_spill_count: 0
    .symbol:         _ZN7rocprim17ROCPRIM_400000_NS6detail17trampoline_kernelINS0_14default_configENS1_35radix_sort_onesweep_config_selectorIsNS0_10empty_typeEEEZZNS1_29radix_sort_onesweep_iterationIS3_Lb1EPKsPsPS5_SB_mNS0_19identity_decomposerENS1_16block_id_wrapperIjLb0EEEEE10hipError_tT1_PNSt15iterator_traitsISG_E10value_typeET2_T3_PNSH_ISM_E10value_typeET4_T5_PSR_SS_PNS1_23onesweep_lookback_stateEbbT6_jjT7_P12ihipStream_tbENKUlT_T0_SG_SL_E_clIS9_SA_SB_SB_EEDaSZ_S10_SG_SL_EUlSZ_E_NS1_11comp_targetILNS1_3genE5ELNS1_11target_archE942ELNS1_3gpuE9ELNS1_3repE0EEENS1_47radix_sort_onesweep_sort_config_static_selectorELNS0_4arch9wavefront6targetE0EEEvSG_.kd
    .uniform_work_group_size: 1
    .uses_dynamic_stack: false
    .vgpr_count:     0
    .vgpr_spill_count: 0
    .wavefront_size: 32
  - .args:
      - .offset:         0
        .size:           88
        .value_kind:     by_value
    .group_segment_fixed_size: 0
    .kernarg_segment_align: 8
    .kernarg_segment_size: 88
    .language:       OpenCL C
    .language_version:
      - 2
      - 0
    .max_flat_workgroup_size: 512
    .name:           _ZN7rocprim17ROCPRIM_400000_NS6detail17trampoline_kernelINS0_14default_configENS1_35radix_sort_onesweep_config_selectorIsNS0_10empty_typeEEEZZNS1_29radix_sort_onesweep_iterationIS3_Lb1EPKsPsPS5_SB_mNS0_19identity_decomposerENS1_16block_id_wrapperIjLb0EEEEE10hipError_tT1_PNSt15iterator_traitsISG_E10value_typeET2_T3_PNSH_ISM_E10value_typeET4_T5_PSR_SS_PNS1_23onesweep_lookback_stateEbbT6_jjT7_P12ihipStream_tbENKUlT_T0_SG_SL_E_clIS9_SA_SB_SB_EEDaSZ_S10_SG_SL_EUlSZ_E_NS1_11comp_targetILNS1_3genE2ELNS1_11target_archE906ELNS1_3gpuE6ELNS1_3repE0EEENS1_47radix_sort_onesweep_sort_config_static_selectorELNS0_4arch9wavefront6targetE0EEEvSG_
    .private_segment_fixed_size: 0
    .sgpr_count:     0
    .sgpr_spill_count: 0
    .symbol:         _ZN7rocprim17ROCPRIM_400000_NS6detail17trampoline_kernelINS0_14default_configENS1_35radix_sort_onesweep_config_selectorIsNS0_10empty_typeEEEZZNS1_29radix_sort_onesweep_iterationIS3_Lb1EPKsPsPS5_SB_mNS0_19identity_decomposerENS1_16block_id_wrapperIjLb0EEEEE10hipError_tT1_PNSt15iterator_traitsISG_E10value_typeET2_T3_PNSH_ISM_E10value_typeET4_T5_PSR_SS_PNS1_23onesweep_lookback_stateEbbT6_jjT7_P12ihipStream_tbENKUlT_T0_SG_SL_E_clIS9_SA_SB_SB_EEDaSZ_S10_SG_SL_EUlSZ_E_NS1_11comp_targetILNS1_3genE2ELNS1_11target_archE906ELNS1_3gpuE6ELNS1_3repE0EEENS1_47radix_sort_onesweep_sort_config_static_selectorELNS0_4arch9wavefront6targetE0EEEvSG_.kd
    .uniform_work_group_size: 1
    .uses_dynamic_stack: false
    .vgpr_count:     0
    .vgpr_spill_count: 0
    .wavefront_size: 32
  - .args:
      - .offset:         0
        .size:           88
        .value_kind:     by_value
    .group_segment_fixed_size: 0
    .kernarg_segment_align: 8
    .kernarg_segment_size: 88
    .language:       OpenCL C
    .language_version:
      - 2
      - 0
    .max_flat_workgroup_size: 1024
    .name:           _ZN7rocprim17ROCPRIM_400000_NS6detail17trampoline_kernelINS0_14default_configENS1_35radix_sort_onesweep_config_selectorIsNS0_10empty_typeEEEZZNS1_29radix_sort_onesweep_iterationIS3_Lb1EPKsPsPS5_SB_mNS0_19identity_decomposerENS1_16block_id_wrapperIjLb0EEEEE10hipError_tT1_PNSt15iterator_traitsISG_E10value_typeET2_T3_PNSH_ISM_E10value_typeET4_T5_PSR_SS_PNS1_23onesweep_lookback_stateEbbT6_jjT7_P12ihipStream_tbENKUlT_T0_SG_SL_E_clIS9_SA_SB_SB_EEDaSZ_S10_SG_SL_EUlSZ_E_NS1_11comp_targetILNS1_3genE4ELNS1_11target_archE910ELNS1_3gpuE8ELNS1_3repE0EEENS1_47radix_sort_onesweep_sort_config_static_selectorELNS0_4arch9wavefront6targetE0EEEvSG_
    .private_segment_fixed_size: 0
    .sgpr_count:     0
    .sgpr_spill_count: 0
    .symbol:         _ZN7rocprim17ROCPRIM_400000_NS6detail17trampoline_kernelINS0_14default_configENS1_35radix_sort_onesweep_config_selectorIsNS0_10empty_typeEEEZZNS1_29radix_sort_onesweep_iterationIS3_Lb1EPKsPsPS5_SB_mNS0_19identity_decomposerENS1_16block_id_wrapperIjLb0EEEEE10hipError_tT1_PNSt15iterator_traitsISG_E10value_typeET2_T3_PNSH_ISM_E10value_typeET4_T5_PSR_SS_PNS1_23onesweep_lookback_stateEbbT6_jjT7_P12ihipStream_tbENKUlT_T0_SG_SL_E_clIS9_SA_SB_SB_EEDaSZ_S10_SG_SL_EUlSZ_E_NS1_11comp_targetILNS1_3genE4ELNS1_11target_archE910ELNS1_3gpuE8ELNS1_3repE0EEENS1_47radix_sort_onesweep_sort_config_static_selectorELNS0_4arch9wavefront6targetE0EEEvSG_.kd
    .uniform_work_group_size: 1
    .uses_dynamic_stack: false
    .vgpr_count:     0
    .vgpr_spill_count: 0
    .wavefront_size: 32
  - .args:
      - .offset:         0
        .size:           88
        .value_kind:     by_value
    .group_segment_fixed_size: 0
    .kernarg_segment_align: 8
    .kernarg_segment_size: 88
    .language:       OpenCL C
    .language_version:
      - 2
      - 0
    .max_flat_workgroup_size: 512
    .name:           _ZN7rocprim17ROCPRIM_400000_NS6detail17trampoline_kernelINS0_14default_configENS1_35radix_sort_onesweep_config_selectorIsNS0_10empty_typeEEEZZNS1_29radix_sort_onesweep_iterationIS3_Lb1EPKsPsPS5_SB_mNS0_19identity_decomposerENS1_16block_id_wrapperIjLb0EEEEE10hipError_tT1_PNSt15iterator_traitsISG_E10value_typeET2_T3_PNSH_ISM_E10value_typeET4_T5_PSR_SS_PNS1_23onesweep_lookback_stateEbbT6_jjT7_P12ihipStream_tbENKUlT_T0_SG_SL_E_clIS9_SA_SB_SB_EEDaSZ_S10_SG_SL_EUlSZ_E_NS1_11comp_targetILNS1_3genE3ELNS1_11target_archE908ELNS1_3gpuE7ELNS1_3repE0EEENS1_47radix_sort_onesweep_sort_config_static_selectorELNS0_4arch9wavefront6targetE0EEEvSG_
    .private_segment_fixed_size: 0
    .sgpr_count:     0
    .sgpr_spill_count: 0
    .symbol:         _ZN7rocprim17ROCPRIM_400000_NS6detail17trampoline_kernelINS0_14default_configENS1_35radix_sort_onesweep_config_selectorIsNS0_10empty_typeEEEZZNS1_29radix_sort_onesweep_iterationIS3_Lb1EPKsPsPS5_SB_mNS0_19identity_decomposerENS1_16block_id_wrapperIjLb0EEEEE10hipError_tT1_PNSt15iterator_traitsISG_E10value_typeET2_T3_PNSH_ISM_E10value_typeET4_T5_PSR_SS_PNS1_23onesweep_lookback_stateEbbT6_jjT7_P12ihipStream_tbENKUlT_T0_SG_SL_E_clIS9_SA_SB_SB_EEDaSZ_S10_SG_SL_EUlSZ_E_NS1_11comp_targetILNS1_3genE3ELNS1_11target_archE908ELNS1_3gpuE7ELNS1_3repE0EEENS1_47radix_sort_onesweep_sort_config_static_selectorELNS0_4arch9wavefront6targetE0EEEvSG_.kd
    .uniform_work_group_size: 1
    .uses_dynamic_stack: false
    .vgpr_count:     0
    .vgpr_spill_count: 0
    .wavefront_size: 32
  - .args:
      - .offset:         0
        .size:           88
        .value_kind:     by_value
    .group_segment_fixed_size: 0
    .kernarg_segment_align: 8
    .kernarg_segment_size: 88
    .language:       OpenCL C
    .language_version:
      - 2
      - 0
    .max_flat_workgroup_size: 256
    .name:           _ZN7rocprim17ROCPRIM_400000_NS6detail17trampoline_kernelINS0_14default_configENS1_35radix_sort_onesweep_config_selectorIsNS0_10empty_typeEEEZZNS1_29radix_sort_onesweep_iterationIS3_Lb1EPKsPsPS5_SB_mNS0_19identity_decomposerENS1_16block_id_wrapperIjLb0EEEEE10hipError_tT1_PNSt15iterator_traitsISG_E10value_typeET2_T3_PNSH_ISM_E10value_typeET4_T5_PSR_SS_PNS1_23onesweep_lookback_stateEbbT6_jjT7_P12ihipStream_tbENKUlT_T0_SG_SL_E_clIS9_SA_SB_SB_EEDaSZ_S10_SG_SL_EUlSZ_E_NS1_11comp_targetILNS1_3genE10ELNS1_11target_archE1201ELNS1_3gpuE5ELNS1_3repE0EEENS1_47radix_sort_onesweep_sort_config_static_selectorELNS0_4arch9wavefront6targetE0EEEvSG_
    .private_segment_fixed_size: 0
    .sgpr_count:     0
    .sgpr_spill_count: 0
    .symbol:         _ZN7rocprim17ROCPRIM_400000_NS6detail17trampoline_kernelINS0_14default_configENS1_35radix_sort_onesweep_config_selectorIsNS0_10empty_typeEEEZZNS1_29radix_sort_onesweep_iterationIS3_Lb1EPKsPsPS5_SB_mNS0_19identity_decomposerENS1_16block_id_wrapperIjLb0EEEEE10hipError_tT1_PNSt15iterator_traitsISG_E10value_typeET2_T3_PNSH_ISM_E10value_typeET4_T5_PSR_SS_PNS1_23onesweep_lookback_stateEbbT6_jjT7_P12ihipStream_tbENKUlT_T0_SG_SL_E_clIS9_SA_SB_SB_EEDaSZ_S10_SG_SL_EUlSZ_E_NS1_11comp_targetILNS1_3genE10ELNS1_11target_archE1201ELNS1_3gpuE5ELNS1_3repE0EEENS1_47radix_sort_onesweep_sort_config_static_selectorELNS0_4arch9wavefront6targetE0EEEvSG_.kd
    .uniform_work_group_size: 1
    .uses_dynamic_stack: false
    .vgpr_count:     0
    .vgpr_spill_count: 0
    .wavefront_size: 32
  - .args:
      - .offset:         0
        .size:           88
        .value_kind:     by_value
    .group_segment_fixed_size: 0
    .kernarg_segment_align: 8
    .kernarg_segment_size: 88
    .language:       OpenCL C
    .language_version:
      - 2
      - 0
    .max_flat_workgroup_size: 256
    .name:           _ZN7rocprim17ROCPRIM_400000_NS6detail17trampoline_kernelINS0_14default_configENS1_35radix_sort_onesweep_config_selectorIsNS0_10empty_typeEEEZZNS1_29radix_sort_onesweep_iterationIS3_Lb1EPKsPsPS5_SB_mNS0_19identity_decomposerENS1_16block_id_wrapperIjLb0EEEEE10hipError_tT1_PNSt15iterator_traitsISG_E10value_typeET2_T3_PNSH_ISM_E10value_typeET4_T5_PSR_SS_PNS1_23onesweep_lookback_stateEbbT6_jjT7_P12ihipStream_tbENKUlT_T0_SG_SL_E_clIS9_SA_SB_SB_EEDaSZ_S10_SG_SL_EUlSZ_E_NS1_11comp_targetILNS1_3genE9ELNS1_11target_archE1100ELNS1_3gpuE3ELNS1_3repE0EEENS1_47radix_sort_onesweep_sort_config_static_selectorELNS0_4arch9wavefront6targetE0EEEvSG_
    .private_segment_fixed_size: 0
    .sgpr_count:     0
    .sgpr_spill_count: 0
    .symbol:         _ZN7rocprim17ROCPRIM_400000_NS6detail17trampoline_kernelINS0_14default_configENS1_35radix_sort_onesweep_config_selectorIsNS0_10empty_typeEEEZZNS1_29radix_sort_onesweep_iterationIS3_Lb1EPKsPsPS5_SB_mNS0_19identity_decomposerENS1_16block_id_wrapperIjLb0EEEEE10hipError_tT1_PNSt15iterator_traitsISG_E10value_typeET2_T3_PNSH_ISM_E10value_typeET4_T5_PSR_SS_PNS1_23onesweep_lookback_stateEbbT6_jjT7_P12ihipStream_tbENKUlT_T0_SG_SL_E_clIS9_SA_SB_SB_EEDaSZ_S10_SG_SL_EUlSZ_E_NS1_11comp_targetILNS1_3genE9ELNS1_11target_archE1100ELNS1_3gpuE3ELNS1_3repE0EEENS1_47radix_sort_onesweep_sort_config_static_selectorELNS0_4arch9wavefront6targetE0EEEvSG_.kd
    .uniform_work_group_size: 1
    .uses_dynamic_stack: false
    .vgpr_count:     0
    .vgpr_spill_count: 0
    .wavefront_size: 32
  - .args:
      - .offset:         0
        .size:           88
        .value_kind:     by_value
    .group_segment_fixed_size: 0
    .kernarg_segment_align: 8
    .kernarg_segment_size: 88
    .language:       OpenCL C
    .language_version:
      - 2
      - 0
    .max_flat_workgroup_size: 256
    .name:           _ZN7rocprim17ROCPRIM_400000_NS6detail17trampoline_kernelINS0_14default_configENS1_35radix_sort_onesweep_config_selectorIsNS0_10empty_typeEEEZZNS1_29radix_sort_onesweep_iterationIS3_Lb1EPKsPsPS5_SB_mNS0_19identity_decomposerENS1_16block_id_wrapperIjLb0EEEEE10hipError_tT1_PNSt15iterator_traitsISG_E10value_typeET2_T3_PNSH_ISM_E10value_typeET4_T5_PSR_SS_PNS1_23onesweep_lookback_stateEbbT6_jjT7_P12ihipStream_tbENKUlT_T0_SG_SL_E_clIS9_SA_SB_SB_EEDaSZ_S10_SG_SL_EUlSZ_E_NS1_11comp_targetILNS1_3genE8ELNS1_11target_archE1030ELNS1_3gpuE2ELNS1_3repE0EEENS1_47radix_sort_onesweep_sort_config_static_selectorELNS0_4arch9wavefront6targetE0EEEvSG_
    .private_segment_fixed_size: 0
    .sgpr_count:     0
    .sgpr_spill_count: 0
    .symbol:         _ZN7rocprim17ROCPRIM_400000_NS6detail17trampoline_kernelINS0_14default_configENS1_35radix_sort_onesweep_config_selectorIsNS0_10empty_typeEEEZZNS1_29radix_sort_onesweep_iterationIS3_Lb1EPKsPsPS5_SB_mNS0_19identity_decomposerENS1_16block_id_wrapperIjLb0EEEEE10hipError_tT1_PNSt15iterator_traitsISG_E10value_typeET2_T3_PNSH_ISM_E10value_typeET4_T5_PSR_SS_PNS1_23onesweep_lookback_stateEbbT6_jjT7_P12ihipStream_tbENKUlT_T0_SG_SL_E_clIS9_SA_SB_SB_EEDaSZ_S10_SG_SL_EUlSZ_E_NS1_11comp_targetILNS1_3genE8ELNS1_11target_archE1030ELNS1_3gpuE2ELNS1_3repE0EEENS1_47radix_sort_onesweep_sort_config_static_selectorELNS0_4arch9wavefront6targetE0EEEvSG_.kd
    .uniform_work_group_size: 1
    .uses_dynamic_stack: false
    .vgpr_count:     0
    .vgpr_spill_count: 0
    .wavefront_size: 32
  - .args:
      - .offset:         0
        .size:           88
        .value_kind:     by_value
      - .offset:         88
        .size:           4
        .value_kind:     hidden_block_count_x
      - .offset:         92
        .size:           4
        .value_kind:     hidden_block_count_y
      - .offset:         96
        .size:           4
        .value_kind:     hidden_block_count_z
      - .offset:         100
        .size:           2
        .value_kind:     hidden_group_size_x
      - .offset:         102
        .size:           2
        .value_kind:     hidden_group_size_y
      - .offset:         104
        .size:           2
        .value_kind:     hidden_group_size_z
      - .offset:         106
        .size:           2
        .value_kind:     hidden_remainder_x
      - .offset:         108
        .size:           2
        .value_kind:     hidden_remainder_y
      - .offset:         110
        .size:           2
        .value_kind:     hidden_remainder_z
      - .offset:         128
        .size:           8
        .value_kind:     hidden_global_offset_x
      - .offset:         136
        .size:           8
        .value_kind:     hidden_global_offset_y
      - .offset:         144
        .size:           8
        .value_kind:     hidden_global_offset_z
      - .offset:         152
        .size:           2
        .value_kind:     hidden_grid_dims
    .group_segment_fixed_size: 18504
    .kernarg_segment_align: 8
    .kernarg_segment_size: 344
    .language:       OpenCL C
    .language_version:
      - 2
      - 0
    .max_flat_workgroup_size: 512
    .name:           _ZN7rocprim17ROCPRIM_400000_NS6detail17trampoline_kernelINS0_14default_configENS1_35radix_sort_onesweep_config_selectorIsNS0_10empty_typeEEEZZNS1_29radix_sort_onesweep_iterationIS3_Lb1EPKsPsPS5_SB_mNS0_19identity_decomposerENS1_16block_id_wrapperIjLb0EEEEE10hipError_tT1_PNSt15iterator_traitsISG_E10value_typeET2_T3_PNSH_ISM_E10value_typeET4_T5_PSR_SS_PNS1_23onesweep_lookback_stateEbbT6_jjT7_P12ihipStream_tbENKUlT_T0_SG_SL_E_clISA_SA_SB_SB_EEDaSZ_S10_SG_SL_EUlSZ_E_NS1_11comp_targetILNS1_3genE0ELNS1_11target_archE4294967295ELNS1_3gpuE0ELNS1_3repE0EEENS1_47radix_sort_onesweep_sort_config_static_selectorELNS0_4arch9wavefront6targetE0EEEvSG_
    .private_segment_fixed_size: 0
    .sgpr_count:     31
    .sgpr_spill_count: 0
    .symbol:         _ZN7rocprim17ROCPRIM_400000_NS6detail17trampoline_kernelINS0_14default_configENS1_35radix_sort_onesweep_config_selectorIsNS0_10empty_typeEEEZZNS1_29radix_sort_onesweep_iterationIS3_Lb1EPKsPsPS5_SB_mNS0_19identity_decomposerENS1_16block_id_wrapperIjLb0EEEEE10hipError_tT1_PNSt15iterator_traitsISG_E10value_typeET2_T3_PNSH_ISM_E10value_typeET4_T5_PSR_SS_PNS1_23onesweep_lookback_stateEbbT6_jjT7_P12ihipStream_tbENKUlT_T0_SG_SL_E_clISA_SA_SB_SB_EEDaSZ_S10_SG_SL_EUlSZ_E_NS1_11comp_targetILNS1_3genE0ELNS1_11target_archE4294967295ELNS1_3gpuE0ELNS1_3repE0EEENS1_47radix_sort_onesweep_sort_config_static_selectorELNS0_4arch9wavefront6targetE0EEEvSG_.kd
    .uniform_work_group_size: 1
    .uses_dynamic_stack: false
    .vgpr_count:     65
    .vgpr_spill_count: 0
    .wavefront_size: 32
  - .args:
      - .offset:         0
        .size:           88
        .value_kind:     by_value
    .group_segment_fixed_size: 0
    .kernarg_segment_align: 8
    .kernarg_segment_size: 88
    .language:       OpenCL C
    .language_version:
      - 2
      - 0
    .max_flat_workgroup_size: 1024
    .name:           _ZN7rocprim17ROCPRIM_400000_NS6detail17trampoline_kernelINS0_14default_configENS1_35radix_sort_onesweep_config_selectorIsNS0_10empty_typeEEEZZNS1_29radix_sort_onesweep_iterationIS3_Lb1EPKsPsPS5_SB_mNS0_19identity_decomposerENS1_16block_id_wrapperIjLb0EEEEE10hipError_tT1_PNSt15iterator_traitsISG_E10value_typeET2_T3_PNSH_ISM_E10value_typeET4_T5_PSR_SS_PNS1_23onesweep_lookback_stateEbbT6_jjT7_P12ihipStream_tbENKUlT_T0_SG_SL_E_clISA_SA_SB_SB_EEDaSZ_S10_SG_SL_EUlSZ_E_NS1_11comp_targetILNS1_3genE6ELNS1_11target_archE950ELNS1_3gpuE13ELNS1_3repE0EEENS1_47radix_sort_onesweep_sort_config_static_selectorELNS0_4arch9wavefront6targetE0EEEvSG_
    .private_segment_fixed_size: 0
    .sgpr_count:     0
    .sgpr_spill_count: 0
    .symbol:         _ZN7rocprim17ROCPRIM_400000_NS6detail17trampoline_kernelINS0_14default_configENS1_35radix_sort_onesweep_config_selectorIsNS0_10empty_typeEEEZZNS1_29radix_sort_onesweep_iterationIS3_Lb1EPKsPsPS5_SB_mNS0_19identity_decomposerENS1_16block_id_wrapperIjLb0EEEEE10hipError_tT1_PNSt15iterator_traitsISG_E10value_typeET2_T3_PNSH_ISM_E10value_typeET4_T5_PSR_SS_PNS1_23onesweep_lookback_stateEbbT6_jjT7_P12ihipStream_tbENKUlT_T0_SG_SL_E_clISA_SA_SB_SB_EEDaSZ_S10_SG_SL_EUlSZ_E_NS1_11comp_targetILNS1_3genE6ELNS1_11target_archE950ELNS1_3gpuE13ELNS1_3repE0EEENS1_47radix_sort_onesweep_sort_config_static_selectorELNS0_4arch9wavefront6targetE0EEEvSG_.kd
    .uniform_work_group_size: 1
    .uses_dynamic_stack: false
    .vgpr_count:     0
    .vgpr_spill_count: 0
    .wavefront_size: 32
  - .args:
      - .offset:         0
        .size:           88
        .value_kind:     by_value
    .group_segment_fixed_size: 0
    .kernarg_segment_align: 8
    .kernarg_segment_size: 88
    .language:       OpenCL C
    .language_version:
      - 2
      - 0
    .max_flat_workgroup_size: 1024
    .name:           _ZN7rocprim17ROCPRIM_400000_NS6detail17trampoline_kernelINS0_14default_configENS1_35radix_sort_onesweep_config_selectorIsNS0_10empty_typeEEEZZNS1_29radix_sort_onesweep_iterationIS3_Lb1EPKsPsPS5_SB_mNS0_19identity_decomposerENS1_16block_id_wrapperIjLb0EEEEE10hipError_tT1_PNSt15iterator_traitsISG_E10value_typeET2_T3_PNSH_ISM_E10value_typeET4_T5_PSR_SS_PNS1_23onesweep_lookback_stateEbbT6_jjT7_P12ihipStream_tbENKUlT_T0_SG_SL_E_clISA_SA_SB_SB_EEDaSZ_S10_SG_SL_EUlSZ_E_NS1_11comp_targetILNS1_3genE5ELNS1_11target_archE942ELNS1_3gpuE9ELNS1_3repE0EEENS1_47radix_sort_onesweep_sort_config_static_selectorELNS0_4arch9wavefront6targetE0EEEvSG_
    .private_segment_fixed_size: 0
    .sgpr_count:     0
    .sgpr_spill_count: 0
    .symbol:         _ZN7rocprim17ROCPRIM_400000_NS6detail17trampoline_kernelINS0_14default_configENS1_35radix_sort_onesweep_config_selectorIsNS0_10empty_typeEEEZZNS1_29radix_sort_onesweep_iterationIS3_Lb1EPKsPsPS5_SB_mNS0_19identity_decomposerENS1_16block_id_wrapperIjLb0EEEEE10hipError_tT1_PNSt15iterator_traitsISG_E10value_typeET2_T3_PNSH_ISM_E10value_typeET4_T5_PSR_SS_PNS1_23onesweep_lookback_stateEbbT6_jjT7_P12ihipStream_tbENKUlT_T0_SG_SL_E_clISA_SA_SB_SB_EEDaSZ_S10_SG_SL_EUlSZ_E_NS1_11comp_targetILNS1_3genE5ELNS1_11target_archE942ELNS1_3gpuE9ELNS1_3repE0EEENS1_47radix_sort_onesweep_sort_config_static_selectorELNS0_4arch9wavefront6targetE0EEEvSG_.kd
    .uniform_work_group_size: 1
    .uses_dynamic_stack: false
    .vgpr_count:     0
    .vgpr_spill_count: 0
    .wavefront_size: 32
  - .args:
      - .offset:         0
        .size:           88
        .value_kind:     by_value
    .group_segment_fixed_size: 0
    .kernarg_segment_align: 8
    .kernarg_segment_size: 88
    .language:       OpenCL C
    .language_version:
      - 2
      - 0
    .max_flat_workgroup_size: 512
    .name:           _ZN7rocprim17ROCPRIM_400000_NS6detail17trampoline_kernelINS0_14default_configENS1_35radix_sort_onesweep_config_selectorIsNS0_10empty_typeEEEZZNS1_29radix_sort_onesweep_iterationIS3_Lb1EPKsPsPS5_SB_mNS0_19identity_decomposerENS1_16block_id_wrapperIjLb0EEEEE10hipError_tT1_PNSt15iterator_traitsISG_E10value_typeET2_T3_PNSH_ISM_E10value_typeET4_T5_PSR_SS_PNS1_23onesweep_lookback_stateEbbT6_jjT7_P12ihipStream_tbENKUlT_T0_SG_SL_E_clISA_SA_SB_SB_EEDaSZ_S10_SG_SL_EUlSZ_E_NS1_11comp_targetILNS1_3genE2ELNS1_11target_archE906ELNS1_3gpuE6ELNS1_3repE0EEENS1_47radix_sort_onesweep_sort_config_static_selectorELNS0_4arch9wavefront6targetE0EEEvSG_
    .private_segment_fixed_size: 0
    .sgpr_count:     0
    .sgpr_spill_count: 0
    .symbol:         _ZN7rocprim17ROCPRIM_400000_NS6detail17trampoline_kernelINS0_14default_configENS1_35radix_sort_onesweep_config_selectorIsNS0_10empty_typeEEEZZNS1_29radix_sort_onesweep_iterationIS3_Lb1EPKsPsPS5_SB_mNS0_19identity_decomposerENS1_16block_id_wrapperIjLb0EEEEE10hipError_tT1_PNSt15iterator_traitsISG_E10value_typeET2_T3_PNSH_ISM_E10value_typeET4_T5_PSR_SS_PNS1_23onesweep_lookback_stateEbbT6_jjT7_P12ihipStream_tbENKUlT_T0_SG_SL_E_clISA_SA_SB_SB_EEDaSZ_S10_SG_SL_EUlSZ_E_NS1_11comp_targetILNS1_3genE2ELNS1_11target_archE906ELNS1_3gpuE6ELNS1_3repE0EEENS1_47radix_sort_onesweep_sort_config_static_selectorELNS0_4arch9wavefront6targetE0EEEvSG_.kd
    .uniform_work_group_size: 1
    .uses_dynamic_stack: false
    .vgpr_count:     0
    .vgpr_spill_count: 0
    .wavefront_size: 32
  - .args:
      - .offset:         0
        .size:           88
        .value_kind:     by_value
    .group_segment_fixed_size: 0
    .kernarg_segment_align: 8
    .kernarg_segment_size: 88
    .language:       OpenCL C
    .language_version:
      - 2
      - 0
    .max_flat_workgroup_size: 1024
    .name:           _ZN7rocprim17ROCPRIM_400000_NS6detail17trampoline_kernelINS0_14default_configENS1_35radix_sort_onesweep_config_selectorIsNS0_10empty_typeEEEZZNS1_29radix_sort_onesweep_iterationIS3_Lb1EPKsPsPS5_SB_mNS0_19identity_decomposerENS1_16block_id_wrapperIjLb0EEEEE10hipError_tT1_PNSt15iterator_traitsISG_E10value_typeET2_T3_PNSH_ISM_E10value_typeET4_T5_PSR_SS_PNS1_23onesweep_lookback_stateEbbT6_jjT7_P12ihipStream_tbENKUlT_T0_SG_SL_E_clISA_SA_SB_SB_EEDaSZ_S10_SG_SL_EUlSZ_E_NS1_11comp_targetILNS1_3genE4ELNS1_11target_archE910ELNS1_3gpuE8ELNS1_3repE0EEENS1_47radix_sort_onesweep_sort_config_static_selectorELNS0_4arch9wavefront6targetE0EEEvSG_
    .private_segment_fixed_size: 0
    .sgpr_count:     0
    .sgpr_spill_count: 0
    .symbol:         _ZN7rocprim17ROCPRIM_400000_NS6detail17trampoline_kernelINS0_14default_configENS1_35radix_sort_onesweep_config_selectorIsNS0_10empty_typeEEEZZNS1_29radix_sort_onesweep_iterationIS3_Lb1EPKsPsPS5_SB_mNS0_19identity_decomposerENS1_16block_id_wrapperIjLb0EEEEE10hipError_tT1_PNSt15iterator_traitsISG_E10value_typeET2_T3_PNSH_ISM_E10value_typeET4_T5_PSR_SS_PNS1_23onesweep_lookback_stateEbbT6_jjT7_P12ihipStream_tbENKUlT_T0_SG_SL_E_clISA_SA_SB_SB_EEDaSZ_S10_SG_SL_EUlSZ_E_NS1_11comp_targetILNS1_3genE4ELNS1_11target_archE910ELNS1_3gpuE8ELNS1_3repE0EEENS1_47radix_sort_onesweep_sort_config_static_selectorELNS0_4arch9wavefront6targetE0EEEvSG_.kd
    .uniform_work_group_size: 1
    .uses_dynamic_stack: false
    .vgpr_count:     0
    .vgpr_spill_count: 0
    .wavefront_size: 32
  - .args:
      - .offset:         0
        .size:           88
        .value_kind:     by_value
    .group_segment_fixed_size: 0
    .kernarg_segment_align: 8
    .kernarg_segment_size: 88
    .language:       OpenCL C
    .language_version:
      - 2
      - 0
    .max_flat_workgroup_size: 512
    .name:           _ZN7rocprim17ROCPRIM_400000_NS6detail17trampoline_kernelINS0_14default_configENS1_35radix_sort_onesweep_config_selectorIsNS0_10empty_typeEEEZZNS1_29radix_sort_onesweep_iterationIS3_Lb1EPKsPsPS5_SB_mNS0_19identity_decomposerENS1_16block_id_wrapperIjLb0EEEEE10hipError_tT1_PNSt15iterator_traitsISG_E10value_typeET2_T3_PNSH_ISM_E10value_typeET4_T5_PSR_SS_PNS1_23onesweep_lookback_stateEbbT6_jjT7_P12ihipStream_tbENKUlT_T0_SG_SL_E_clISA_SA_SB_SB_EEDaSZ_S10_SG_SL_EUlSZ_E_NS1_11comp_targetILNS1_3genE3ELNS1_11target_archE908ELNS1_3gpuE7ELNS1_3repE0EEENS1_47radix_sort_onesweep_sort_config_static_selectorELNS0_4arch9wavefront6targetE0EEEvSG_
    .private_segment_fixed_size: 0
    .sgpr_count:     0
    .sgpr_spill_count: 0
    .symbol:         _ZN7rocprim17ROCPRIM_400000_NS6detail17trampoline_kernelINS0_14default_configENS1_35radix_sort_onesweep_config_selectorIsNS0_10empty_typeEEEZZNS1_29radix_sort_onesweep_iterationIS3_Lb1EPKsPsPS5_SB_mNS0_19identity_decomposerENS1_16block_id_wrapperIjLb0EEEEE10hipError_tT1_PNSt15iterator_traitsISG_E10value_typeET2_T3_PNSH_ISM_E10value_typeET4_T5_PSR_SS_PNS1_23onesweep_lookback_stateEbbT6_jjT7_P12ihipStream_tbENKUlT_T0_SG_SL_E_clISA_SA_SB_SB_EEDaSZ_S10_SG_SL_EUlSZ_E_NS1_11comp_targetILNS1_3genE3ELNS1_11target_archE908ELNS1_3gpuE7ELNS1_3repE0EEENS1_47radix_sort_onesweep_sort_config_static_selectorELNS0_4arch9wavefront6targetE0EEEvSG_.kd
    .uniform_work_group_size: 1
    .uses_dynamic_stack: false
    .vgpr_count:     0
    .vgpr_spill_count: 0
    .wavefront_size: 32
  - .args:
      - .offset:         0
        .size:           88
        .value_kind:     by_value
    .group_segment_fixed_size: 0
    .kernarg_segment_align: 8
    .kernarg_segment_size: 88
    .language:       OpenCL C
    .language_version:
      - 2
      - 0
    .max_flat_workgroup_size: 256
    .name:           _ZN7rocprim17ROCPRIM_400000_NS6detail17trampoline_kernelINS0_14default_configENS1_35radix_sort_onesweep_config_selectorIsNS0_10empty_typeEEEZZNS1_29radix_sort_onesweep_iterationIS3_Lb1EPKsPsPS5_SB_mNS0_19identity_decomposerENS1_16block_id_wrapperIjLb0EEEEE10hipError_tT1_PNSt15iterator_traitsISG_E10value_typeET2_T3_PNSH_ISM_E10value_typeET4_T5_PSR_SS_PNS1_23onesweep_lookback_stateEbbT6_jjT7_P12ihipStream_tbENKUlT_T0_SG_SL_E_clISA_SA_SB_SB_EEDaSZ_S10_SG_SL_EUlSZ_E_NS1_11comp_targetILNS1_3genE10ELNS1_11target_archE1201ELNS1_3gpuE5ELNS1_3repE0EEENS1_47radix_sort_onesweep_sort_config_static_selectorELNS0_4arch9wavefront6targetE0EEEvSG_
    .private_segment_fixed_size: 0
    .sgpr_count:     0
    .sgpr_spill_count: 0
    .symbol:         _ZN7rocprim17ROCPRIM_400000_NS6detail17trampoline_kernelINS0_14default_configENS1_35radix_sort_onesweep_config_selectorIsNS0_10empty_typeEEEZZNS1_29radix_sort_onesweep_iterationIS3_Lb1EPKsPsPS5_SB_mNS0_19identity_decomposerENS1_16block_id_wrapperIjLb0EEEEE10hipError_tT1_PNSt15iterator_traitsISG_E10value_typeET2_T3_PNSH_ISM_E10value_typeET4_T5_PSR_SS_PNS1_23onesweep_lookback_stateEbbT6_jjT7_P12ihipStream_tbENKUlT_T0_SG_SL_E_clISA_SA_SB_SB_EEDaSZ_S10_SG_SL_EUlSZ_E_NS1_11comp_targetILNS1_3genE10ELNS1_11target_archE1201ELNS1_3gpuE5ELNS1_3repE0EEENS1_47radix_sort_onesweep_sort_config_static_selectorELNS0_4arch9wavefront6targetE0EEEvSG_.kd
    .uniform_work_group_size: 1
    .uses_dynamic_stack: false
    .vgpr_count:     0
    .vgpr_spill_count: 0
    .wavefront_size: 32
  - .args:
      - .offset:         0
        .size:           88
        .value_kind:     by_value
    .group_segment_fixed_size: 0
    .kernarg_segment_align: 8
    .kernarg_segment_size: 88
    .language:       OpenCL C
    .language_version:
      - 2
      - 0
    .max_flat_workgroup_size: 256
    .name:           _ZN7rocprim17ROCPRIM_400000_NS6detail17trampoline_kernelINS0_14default_configENS1_35radix_sort_onesweep_config_selectorIsNS0_10empty_typeEEEZZNS1_29radix_sort_onesweep_iterationIS3_Lb1EPKsPsPS5_SB_mNS0_19identity_decomposerENS1_16block_id_wrapperIjLb0EEEEE10hipError_tT1_PNSt15iterator_traitsISG_E10value_typeET2_T3_PNSH_ISM_E10value_typeET4_T5_PSR_SS_PNS1_23onesweep_lookback_stateEbbT6_jjT7_P12ihipStream_tbENKUlT_T0_SG_SL_E_clISA_SA_SB_SB_EEDaSZ_S10_SG_SL_EUlSZ_E_NS1_11comp_targetILNS1_3genE9ELNS1_11target_archE1100ELNS1_3gpuE3ELNS1_3repE0EEENS1_47radix_sort_onesweep_sort_config_static_selectorELNS0_4arch9wavefront6targetE0EEEvSG_
    .private_segment_fixed_size: 0
    .sgpr_count:     0
    .sgpr_spill_count: 0
    .symbol:         _ZN7rocprim17ROCPRIM_400000_NS6detail17trampoline_kernelINS0_14default_configENS1_35radix_sort_onesweep_config_selectorIsNS0_10empty_typeEEEZZNS1_29radix_sort_onesweep_iterationIS3_Lb1EPKsPsPS5_SB_mNS0_19identity_decomposerENS1_16block_id_wrapperIjLb0EEEEE10hipError_tT1_PNSt15iterator_traitsISG_E10value_typeET2_T3_PNSH_ISM_E10value_typeET4_T5_PSR_SS_PNS1_23onesweep_lookback_stateEbbT6_jjT7_P12ihipStream_tbENKUlT_T0_SG_SL_E_clISA_SA_SB_SB_EEDaSZ_S10_SG_SL_EUlSZ_E_NS1_11comp_targetILNS1_3genE9ELNS1_11target_archE1100ELNS1_3gpuE3ELNS1_3repE0EEENS1_47radix_sort_onesweep_sort_config_static_selectorELNS0_4arch9wavefront6targetE0EEEvSG_.kd
    .uniform_work_group_size: 1
    .uses_dynamic_stack: false
    .vgpr_count:     0
    .vgpr_spill_count: 0
    .wavefront_size: 32
  - .args:
      - .offset:         0
        .size:           88
        .value_kind:     by_value
    .group_segment_fixed_size: 0
    .kernarg_segment_align: 8
    .kernarg_segment_size: 88
    .language:       OpenCL C
    .language_version:
      - 2
      - 0
    .max_flat_workgroup_size: 256
    .name:           _ZN7rocprim17ROCPRIM_400000_NS6detail17trampoline_kernelINS0_14default_configENS1_35radix_sort_onesweep_config_selectorIsNS0_10empty_typeEEEZZNS1_29radix_sort_onesweep_iterationIS3_Lb1EPKsPsPS5_SB_mNS0_19identity_decomposerENS1_16block_id_wrapperIjLb0EEEEE10hipError_tT1_PNSt15iterator_traitsISG_E10value_typeET2_T3_PNSH_ISM_E10value_typeET4_T5_PSR_SS_PNS1_23onesweep_lookback_stateEbbT6_jjT7_P12ihipStream_tbENKUlT_T0_SG_SL_E_clISA_SA_SB_SB_EEDaSZ_S10_SG_SL_EUlSZ_E_NS1_11comp_targetILNS1_3genE8ELNS1_11target_archE1030ELNS1_3gpuE2ELNS1_3repE0EEENS1_47radix_sort_onesweep_sort_config_static_selectorELNS0_4arch9wavefront6targetE0EEEvSG_
    .private_segment_fixed_size: 0
    .sgpr_count:     0
    .sgpr_spill_count: 0
    .symbol:         _ZN7rocprim17ROCPRIM_400000_NS6detail17trampoline_kernelINS0_14default_configENS1_35radix_sort_onesweep_config_selectorIsNS0_10empty_typeEEEZZNS1_29radix_sort_onesweep_iterationIS3_Lb1EPKsPsPS5_SB_mNS0_19identity_decomposerENS1_16block_id_wrapperIjLb0EEEEE10hipError_tT1_PNSt15iterator_traitsISG_E10value_typeET2_T3_PNSH_ISM_E10value_typeET4_T5_PSR_SS_PNS1_23onesweep_lookback_stateEbbT6_jjT7_P12ihipStream_tbENKUlT_T0_SG_SL_E_clISA_SA_SB_SB_EEDaSZ_S10_SG_SL_EUlSZ_E_NS1_11comp_targetILNS1_3genE8ELNS1_11target_archE1030ELNS1_3gpuE2ELNS1_3repE0EEENS1_47radix_sort_onesweep_sort_config_static_selectorELNS0_4arch9wavefront6targetE0EEEvSG_.kd
    .uniform_work_group_size: 1
    .uses_dynamic_stack: false
    .vgpr_count:     0
    .vgpr_spill_count: 0
    .wavefront_size: 32
  - .args:
      - .offset:         0
        .size:           48
        .value_kind:     by_value
      - .offset:         48
        .size:           4
        .value_kind:     hidden_block_count_x
      - .offset:         52
        .size:           4
        .value_kind:     hidden_block_count_y
      - .offset:         56
        .size:           4
        .value_kind:     hidden_block_count_z
      - .offset:         60
        .size:           2
        .value_kind:     hidden_group_size_x
      - .offset:         62
        .size:           2
        .value_kind:     hidden_group_size_y
      - .offset:         64
        .size:           2
        .value_kind:     hidden_group_size_z
      - .offset:         66
        .size:           2
        .value_kind:     hidden_remainder_x
      - .offset:         68
        .size:           2
        .value_kind:     hidden_remainder_y
      - .offset:         70
        .size:           2
        .value_kind:     hidden_remainder_z
      - .offset:         88
        .size:           8
        .value_kind:     hidden_global_offset_x
      - .offset:         96
        .size:           8
        .value_kind:     hidden_global_offset_y
      - .offset:         104
        .size:           8
        .value_kind:     hidden_global_offset_z
      - .offset:         112
        .size:           2
        .value_kind:     hidden_grid_dims
    .group_segment_fixed_size: 8224
    .kernarg_segment_align: 8
    .kernarg_segment_size: 304
    .language:       OpenCL C
    .language_version:
      - 2
      - 0
    .max_flat_workgroup_size: 256
    .name:           _ZN7rocprim17ROCPRIM_400000_NS6detail17trampoline_kernelINS0_13kernel_configILj256ELj4ELj4294967295EEENS1_37radix_sort_block_sort_config_selectorIsNS0_10empty_typeEEEZNS1_21radix_sort_block_sortIS4_Lb0EPKsPsPS6_SC_NS0_19identity_decomposerEEE10hipError_tT1_T2_T3_T4_jRjT5_jjP12ihipStream_tbEUlT_E_NS1_11comp_targetILNS1_3genE0ELNS1_11target_archE4294967295ELNS1_3gpuE0ELNS1_3repE0EEENS1_44radix_sort_block_sort_config_static_selectorELNS0_4arch9wavefront6targetE0EEEvSF_
    .private_segment_fixed_size: 0
    .sgpr_count:     31
    .sgpr_spill_count: 0
    .symbol:         _ZN7rocprim17ROCPRIM_400000_NS6detail17trampoline_kernelINS0_13kernel_configILj256ELj4ELj4294967295EEENS1_37radix_sort_block_sort_config_selectorIsNS0_10empty_typeEEEZNS1_21radix_sort_block_sortIS4_Lb0EPKsPsPS6_SC_NS0_19identity_decomposerEEE10hipError_tT1_T2_T3_T4_jRjT5_jjP12ihipStream_tbEUlT_E_NS1_11comp_targetILNS1_3genE0ELNS1_11target_archE4294967295ELNS1_3gpuE0ELNS1_3repE0EEENS1_44radix_sort_block_sort_config_static_selectorELNS0_4arch9wavefront6targetE0EEEvSF_.kd
    .uniform_work_group_size: 1
    .uses_dynamic_stack: false
    .vgpr_count:     38
    .vgpr_spill_count: 0
    .wavefront_size: 32
  - .args:
      - .offset:         0
        .size:           48
        .value_kind:     by_value
    .group_segment_fixed_size: 0
    .kernarg_segment_align: 8
    .kernarg_segment_size: 48
    .language:       OpenCL C
    .language_version:
      - 2
      - 0
    .max_flat_workgroup_size: 256
    .name:           _ZN7rocprim17ROCPRIM_400000_NS6detail17trampoline_kernelINS0_13kernel_configILj256ELj4ELj4294967295EEENS1_37radix_sort_block_sort_config_selectorIsNS0_10empty_typeEEEZNS1_21radix_sort_block_sortIS4_Lb0EPKsPsPS6_SC_NS0_19identity_decomposerEEE10hipError_tT1_T2_T3_T4_jRjT5_jjP12ihipStream_tbEUlT_E_NS1_11comp_targetILNS1_3genE5ELNS1_11target_archE942ELNS1_3gpuE9ELNS1_3repE0EEENS1_44radix_sort_block_sort_config_static_selectorELNS0_4arch9wavefront6targetE0EEEvSF_
    .private_segment_fixed_size: 0
    .sgpr_count:     0
    .sgpr_spill_count: 0
    .symbol:         _ZN7rocprim17ROCPRIM_400000_NS6detail17trampoline_kernelINS0_13kernel_configILj256ELj4ELj4294967295EEENS1_37radix_sort_block_sort_config_selectorIsNS0_10empty_typeEEEZNS1_21radix_sort_block_sortIS4_Lb0EPKsPsPS6_SC_NS0_19identity_decomposerEEE10hipError_tT1_T2_T3_T4_jRjT5_jjP12ihipStream_tbEUlT_E_NS1_11comp_targetILNS1_3genE5ELNS1_11target_archE942ELNS1_3gpuE9ELNS1_3repE0EEENS1_44radix_sort_block_sort_config_static_selectorELNS0_4arch9wavefront6targetE0EEEvSF_.kd
    .uniform_work_group_size: 1
    .uses_dynamic_stack: false
    .vgpr_count:     0
    .vgpr_spill_count: 0
    .wavefront_size: 32
  - .args:
      - .offset:         0
        .size:           48
        .value_kind:     by_value
    .group_segment_fixed_size: 0
    .kernarg_segment_align: 8
    .kernarg_segment_size: 48
    .language:       OpenCL C
    .language_version:
      - 2
      - 0
    .max_flat_workgroup_size: 256
    .name:           _ZN7rocprim17ROCPRIM_400000_NS6detail17trampoline_kernelINS0_13kernel_configILj256ELj4ELj4294967295EEENS1_37radix_sort_block_sort_config_selectorIsNS0_10empty_typeEEEZNS1_21radix_sort_block_sortIS4_Lb0EPKsPsPS6_SC_NS0_19identity_decomposerEEE10hipError_tT1_T2_T3_T4_jRjT5_jjP12ihipStream_tbEUlT_E_NS1_11comp_targetILNS1_3genE4ELNS1_11target_archE910ELNS1_3gpuE8ELNS1_3repE0EEENS1_44radix_sort_block_sort_config_static_selectorELNS0_4arch9wavefront6targetE0EEEvSF_
    .private_segment_fixed_size: 0
    .sgpr_count:     0
    .sgpr_spill_count: 0
    .symbol:         _ZN7rocprim17ROCPRIM_400000_NS6detail17trampoline_kernelINS0_13kernel_configILj256ELj4ELj4294967295EEENS1_37radix_sort_block_sort_config_selectorIsNS0_10empty_typeEEEZNS1_21radix_sort_block_sortIS4_Lb0EPKsPsPS6_SC_NS0_19identity_decomposerEEE10hipError_tT1_T2_T3_T4_jRjT5_jjP12ihipStream_tbEUlT_E_NS1_11comp_targetILNS1_3genE4ELNS1_11target_archE910ELNS1_3gpuE8ELNS1_3repE0EEENS1_44radix_sort_block_sort_config_static_selectorELNS0_4arch9wavefront6targetE0EEEvSF_.kd
    .uniform_work_group_size: 1
    .uses_dynamic_stack: false
    .vgpr_count:     0
    .vgpr_spill_count: 0
    .wavefront_size: 32
  - .args:
      - .offset:         0
        .size:           48
        .value_kind:     by_value
    .group_segment_fixed_size: 0
    .kernarg_segment_align: 8
    .kernarg_segment_size: 48
    .language:       OpenCL C
    .language_version:
      - 2
      - 0
    .max_flat_workgroup_size: 256
    .name:           _ZN7rocprim17ROCPRIM_400000_NS6detail17trampoline_kernelINS0_13kernel_configILj256ELj4ELj4294967295EEENS1_37radix_sort_block_sort_config_selectorIsNS0_10empty_typeEEEZNS1_21radix_sort_block_sortIS4_Lb0EPKsPsPS6_SC_NS0_19identity_decomposerEEE10hipError_tT1_T2_T3_T4_jRjT5_jjP12ihipStream_tbEUlT_E_NS1_11comp_targetILNS1_3genE3ELNS1_11target_archE908ELNS1_3gpuE7ELNS1_3repE0EEENS1_44radix_sort_block_sort_config_static_selectorELNS0_4arch9wavefront6targetE0EEEvSF_
    .private_segment_fixed_size: 0
    .sgpr_count:     0
    .sgpr_spill_count: 0
    .symbol:         _ZN7rocprim17ROCPRIM_400000_NS6detail17trampoline_kernelINS0_13kernel_configILj256ELj4ELj4294967295EEENS1_37radix_sort_block_sort_config_selectorIsNS0_10empty_typeEEEZNS1_21radix_sort_block_sortIS4_Lb0EPKsPsPS6_SC_NS0_19identity_decomposerEEE10hipError_tT1_T2_T3_T4_jRjT5_jjP12ihipStream_tbEUlT_E_NS1_11comp_targetILNS1_3genE3ELNS1_11target_archE908ELNS1_3gpuE7ELNS1_3repE0EEENS1_44radix_sort_block_sort_config_static_selectorELNS0_4arch9wavefront6targetE0EEEvSF_.kd
    .uniform_work_group_size: 1
    .uses_dynamic_stack: false
    .vgpr_count:     0
    .vgpr_spill_count: 0
    .wavefront_size: 32
  - .args:
      - .offset:         0
        .size:           48
        .value_kind:     by_value
    .group_segment_fixed_size: 0
    .kernarg_segment_align: 8
    .kernarg_segment_size: 48
    .language:       OpenCL C
    .language_version:
      - 2
      - 0
    .max_flat_workgroup_size: 256
    .name:           _ZN7rocprim17ROCPRIM_400000_NS6detail17trampoline_kernelINS0_13kernel_configILj256ELj4ELj4294967295EEENS1_37radix_sort_block_sort_config_selectorIsNS0_10empty_typeEEEZNS1_21radix_sort_block_sortIS4_Lb0EPKsPsPS6_SC_NS0_19identity_decomposerEEE10hipError_tT1_T2_T3_T4_jRjT5_jjP12ihipStream_tbEUlT_E_NS1_11comp_targetILNS1_3genE2ELNS1_11target_archE906ELNS1_3gpuE6ELNS1_3repE0EEENS1_44radix_sort_block_sort_config_static_selectorELNS0_4arch9wavefront6targetE0EEEvSF_
    .private_segment_fixed_size: 0
    .sgpr_count:     0
    .sgpr_spill_count: 0
    .symbol:         _ZN7rocprim17ROCPRIM_400000_NS6detail17trampoline_kernelINS0_13kernel_configILj256ELj4ELj4294967295EEENS1_37radix_sort_block_sort_config_selectorIsNS0_10empty_typeEEEZNS1_21radix_sort_block_sortIS4_Lb0EPKsPsPS6_SC_NS0_19identity_decomposerEEE10hipError_tT1_T2_T3_T4_jRjT5_jjP12ihipStream_tbEUlT_E_NS1_11comp_targetILNS1_3genE2ELNS1_11target_archE906ELNS1_3gpuE6ELNS1_3repE0EEENS1_44radix_sort_block_sort_config_static_selectorELNS0_4arch9wavefront6targetE0EEEvSF_.kd
    .uniform_work_group_size: 1
    .uses_dynamic_stack: false
    .vgpr_count:     0
    .vgpr_spill_count: 0
    .wavefront_size: 32
  - .args:
      - .offset:         0
        .size:           48
        .value_kind:     by_value
    .group_segment_fixed_size: 0
    .kernarg_segment_align: 8
    .kernarg_segment_size: 48
    .language:       OpenCL C
    .language_version:
      - 2
      - 0
    .max_flat_workgroup_size: 256
    .name:           _ZN7rocprim17ROCPRIM_400000_NS6detail17trampoline_kernelINS0_13kernel_configILj256ELj4ELj4294967295EEENS1_37radix_sort_block_sort_config_selectorIsNS0_10empty_typeEEEZNS1_21radix_sort_block_sortIS4_Lb0EPKsPsPS6_SC_NS0_19identity_decomposerEEE10hipError_tT1_T2_T3_T4_jRjT5_jjP12ihipStream_tbEUlT_E_NS1_11comp_targetILNS1_3genE10ELNS1_11target_archE1201ELNS1_3gpuE5ELNS1_3repE0EEENS1_44radix_sort_block_sort_config_static_selectorELNS0_4arch9wavefront6targetE0EEEvSF_
    .private_segment_fixed_size: 0
    .sgpr_count:     0
    .sgpr_spill_count: 0
    .symbol:         _ZN7rocprim17ROCPRIM_400000_NS6detail17trampoline_kernelINS0_13kernel_configILj256ELj4ELj4294967295EEENS1_37radix_sort_block_sort_config_selectorIsNS0_10empty_typeEEEZNS1_21radix_sort_block_sortIS4_Lb0EPKsPsPS6_SC_NS0_19identity_decomposerEEE10hipError_tT1_T2_T3_T4_jRjT5_jjP12ihipStream_tbEUlT_E_NS1_11comp_targetILNS1_3genE10ELNS1_11target_archE1201ELNS1_3gpuE5ELNS1_3repE0EEENS1_44radix_sort_block_sort_config_static_selectorELNS0_4arch9wavefront6targetE0EEEvSF_.kd
    .uniform_work_group_size: 1
    .uses_dynamic_stack: false
    .vgpr_count:     0
    .vgpr_spill_count: 0
    .wavefront_size: 32
  - .args:
      - .offset:         0
        .size:           48
        .value_kind:     by_value
    .group_segment_fixed_size: 0
    .kernarg_segment_align: 8
    .kernarg_segment_size: 48
    .language:       OpenCL C
    .language_version:
      - 2
      - 0
    .max_flat_workgroup_size: 256
    .name:           _ZN7rocprim17ROCPRIM_400000_NS6detail17trampoline_kernelINS0_13kernel_configILj256ELj4ELj4294967295EEENS1_37radix_sort_block_sort_config_selectorIsNS0_10empty_typeEEEZNS1_21radix_sort_block_sortIS4_Lb0EPKsPsPS6_SC_NS0_19identity_decomposerEEE10hipError_tT1_T2_T3_T4_jRjT5_jjP12ihipStream_tbEUlT_E_NS1_11comp_targetILNS1_3genE10ELNS1_11target_archE1200ELNS1_3gpuE4ELNS1_3repE0EEENS1_44radix_sort_block_sort_config_static_selectorELNS0_4arch9wavefront6targetE0EEEvSF_
    .private_segment_fixed_size: 0
    .sgpr_count:     0
    .sgpr_spill_count: 0
    .symbol:         _ZN7rocprim17ROCPRIM_400000_NS6detail17trampoline_kernelINS0_13kernel_configILj256ELj4ELj4294967295EEENS1_37radix_sort_block_sort_config_selectorIsNS0_10empty_typeEEEZNS1_21radix_sort_block_sortIS4_Lb0EPKsPsPS6_SC_NS0_19identity_decomposerEEE10hipError_tT1_T2_T3_T4_jRjT5_jjP12ihipStream_tbEUlT_E_NS1_11comp_targetILNS1_3genE10ELNS1_11target_archE1200ELNS1_3gpuE4ELNS1_3repE0EEENS1_44radix_sort_block_sort_config_static_selectorELNS0_4arch9wavefront6targetE0EEEvSF_.kd
    .uniform_work_group_size: 1
    .uses_dynamic_stack: false
    .vgpr_count:     0
    .vgpr_spill_count: 0
    .wavefront_size: 32
  - .args:
      - .offset:         0
        .size:           48
        .value_kind:     by_value
    .group_segment_fixed_size: 0
    .kernarg_segment_align: 8
    .kernarg_segment_size: 48
    .language:       OpenCL C
    .language_version:
      - 2
      - 0
    .max_flat_workgroup_size: 256
    .name:           _ZN7rocprim17ROCPRIM_400000_NS6detail17trampoline_kernelINS0_13kernel_configILj256ELj4ELj4294967295EEENS1_37radix_sort_block_sort_config_selectorIsNS0_10empty_typeEEEZNS1_21radix_sort_block_sortIS4_Lb0EPKsPsPS6_SC_NS0_19identity_decomposerEEE10hipError_tT1_T2_T3_T4_jRjT5_jjP12ihipStream_tbEUlT_E_NS1_11comp_targetILNS1_3genE9ELNS1_11target_archE1100ELNS1_3gpuE3ELNS1_3repE0EEENS1_44radix_sort_block_sort_config_static_selectorELNS0_4arch9wavefront6targetE0EEEvSF_
    .private_segment_fixed_size: 0
    .sgpr_count:     0
    .sgpr_spill_count: 0
    .symbol:         _ZN7rocprim17ROCPRIM_400000_NS6detail17trampoline_kernelINS0_13kernel_configILj256ELj4ELj4294967295EEENS1_37radix_sort_block_sort_config_selectorIsNS0_10empty_typeEEEZNS1_21radix_sort_block_sortIS4_Lb0EPKsPsPS6_SC_NS0_19identity_decomposerEEE10hipError_tT1_T2_T3_T4_jRjT5_jjP12ihipStream_tbEUlT_E_NS1_11comp_targetILNS1_3genE9ELNS1_11target_archE1100ELNS1_3gpuE3ELNS1_3repE0EEENS1_44radix_sort_block_sort_config_static_selectorELNS0_4arch9wavefront6targetE0EEEvSF_.kd
    .uniform_work_group_size: 1
    .uses_dynamic_stack: false
    .vgpr_count:     0
    .vgpr_spill_count: 0
    .wavefront_size: 32
  - .args:
      - .offset:         0
        .size:           48
        .value_kind:     by_value
    .group_segment_fixed_size: 0
    .kernarg_segment_align: 8
    .kernarg_segment_size: 48
    .language:       OpenCL C
    .language_version:
      - 2
      - 0
    .max_flat_workgroup_size: 256
    .name:           _ZN7rocprim17ROCPRIM_400000_NS6detail17trampoline_kernelINS0_13kernel_configILj256ELj4ELj4294967295EEENS1_37radix_sort_block_sort_config_selectorIsNS0_10empty_typeEEEZNS1_21radix_sort_block_sortIS4_Lb0EPKsPsPS6_SC_NS0_19identity_decomposerEEE10hipError_tT1_T2_T3_T4_jRjT5_jjP12ihipStream_tbEUlT_E_NS1_11comp_targetILNS1_3genE8ELNS1_11target_archE1030ELNS1_3gpuE2ELNS1_3repE0EEENS1_44radix_sort_block_sort_config_static_selectorELNS0_4arch9wavefront6targetE0EEEvSF_
    .private_segment_fixed_size: 0
    .sgpr_count:     0
    .sgpr_spill_count: 0
    .symbol:         _ZN7rocprim17ROCPRIM_400000_NS6detail17trampoline_kernelINS0_13kernel_configILj256ELj4ELj4294967295EEENS1_37radix_sort_block_sort_config_selectorIsNS0_10empty_typeEEEZNS1_21radix_sort_block_sortIS4_Lb0EPKsPsPS6_SC_NS0_19identity_decomposerEEE10hipError_tT1_T2_T3_T4_jRjT5_jjP12ihipStream_tbEUlT_E_NS1_11comp_targetILNS1_3genE8ELNS1_11target_archE1030ELNS1_3gpuE2ELNS1_3repE0EEENS1_44radix_sort_block_sort_config_static_selectorELNS0_4arch9wavefront6targetE0EEEvSF_.kd
    .uniform_work_group_size: 1
    .uses_dynamic_stack: false
    .vgpr_count:     0
    .vgpr_spill_count: 0
    .wavefront_size: 32
  - .args:
      - .offset:         0
        .size:           40
        .value_kind:     by_value
    .group_segment_fixed_size: 0
    .kernarg_segment_align: 8
    .kernarg_segment_size: 40
    .language:       OpenCL C
    .language_version:
      - 2
      - 0
    .max_flat_workgroup_size: 128
    .name:           _ZN7rocprim17ROCPRIM_400000_NS6detail17trampoline_kernelINS0_14default_configENS1_38merge_sort_block_merge_config_selectorIsNS0_10empty_typeEEEZZNS1_27merge_sort_block_merge_implIS3_PsPS5_jNS1_19radix_merge_compareILb0ELb0EsNS0_19identity_decomposerEEEEE10hipError_tT0_T1_T2_jT3_P12ihipStream_tbPNSt15iterator_traitsISE_E10value_typeEPNSK_ISF_E10value_typeEPSG_NS1_7vsmem_tEENKUlT_SE_SF_SG_E_clIS8_S8_S9_S9_EESD_ST_SE_SF_SG_EUlST_E_NS1_11comp_targetILNS1_3genE0ELNS1_11target_archE4294967295ELNS1_3gpuE0ELNS1_3repE0EEENS1_48merge_mergepath_partition_config_static_selectorELNS0_4arch9wavefront6targetE0EEEvSF_
    .private_segment_fixed_size: 0
    .sgpr_count:     8
    .sgpr_spill_count: 0
    .symbol:         _ZN7rocprim17ROCPRIM_400000_NS6detail17trampoline_kernelINS0_14default_configENS1_38merge_sort_block_merge_config_selectorIsNS0_10empty_typeEEEZZNS1_27merge_sort_block_merge_implIS3_PsPS5_jNS1_19radix_merge_compareILb0ELb0EsNS0_19identity_decomposerEEEEE10hipError_tT0_T1_T2_jT3_P12ihipStream_tbPNSt15iterator_traitsISE_E10value_typeEPNSK_ISF_E10value_typeEPSG_NS1_7vsmem_tEENKUlT_SE_SF_SG_E_clIS8_S8_S9_S9_EESD_ST_SE_SF_SG_EUlST_E_NS1_11comp_targetILNS1_3genE0ELNS1_11target_archE4294967295ELNS1_3gpuE0ELNS1_3repE0EEENS1_48merge_mergepath_partition_config_static_selectorELNS0_4arch9wavefront6targetE0EEEvSF_.kd
    .uniform_work_group_size: 1
    .uses_dynamic_stack: false
    .vgpr_count:     17
    .vgpr_spill_count: 0
    .wavefront_size: 32
  - .args:
      - .offset:         0
        .size:           40
        .value_kind:     by_value
    .group_segment_fixed_size: 0
    .kernarg_segment_align: 8
    .kernarg_segment_size: 40
    .language:       OpenCL C
    .language_version:
      - 2
      - 0
    .max_flat_workgroup_size: 128
    .name:           _ZN7rocprim17ROCPRIM_400000_NS6detail17trampoline_kernelINS0_14default_configENS1_38merge_sort_block_merge_config_selectorIsNS0_10empty_typeEEEZZNS1_27merge_sort_block_merge_implIS3_PsPS5_jNS1_19radix_merge_compareILb0ELb0EsNS0_19identity_decomposerEEEEE10hipError_tT0_T1_T2_jT3_P12ihipStream_tbPNSt15iterator_traitsISE_E10value_typeEPNSK_ISF_E10value_typeEPSG_NS1_7vsmem_tEENKUlT_SE_SF_SG_E_clIS8_S8_S9_S9_EESD_ST_SE_SF_SG_EUlST_E_NS1_11comp_targetILNS1_3genE10ELNS1_11target_archE1201ELNS1_3gpuE5ELNS1_3repE0EEENS1_48merge_mergepath_partition_config_static_selectorELNS0_4arch9wavefront6targetE0EEEvSF_
    .private_segment_fixed_size: 0
    .sgpr_count:     0
    .sgpr_spill_count: 0
    .symbol:         _ZN7rocprim17ROCPRIM_400000_NS6detail17trampoline_kernelINS0_14default_configENS1_38merge_sort_block_merge_config_selectorIsNS0_10empty_typeEEEZZNS1_27merge_sort_block_merge_implIS3_PsPS5_jNS1_19radix_merge_compareILb0ELb0EsNS0_19identity_decomposerEEEEE10hipError_tT0_T1_T2_jT3_P12ihipStream_tbPNSt15iterator_traitsISE_E10value_typeEPNSK_ISF_E10value_typeEPSG_NS1_7vsmem_tEENKUlT_SE_SF_SG_E_clIS8_S8_S9_S9_EESD_ST_SE_SF_SG_EUlST_E_NS1_11comp_targetILNS1_3genE10ELNS1_11target_archE1201ELNS1_3gpuE5ELNS1_3repE0EEENS1_48merge_mergepath_partition_config_static_selectorELNS0_4arch9wavefront6targetE0EEEvSF_.kd
    .uniform_work_group_size: 1
    .uses_dynamic_stack: false
    .vgpr_count:     0
    .vgpr_spill_count: 0
    .wavefront_size: 32
  - .args:
      - .offset:         0
        .size:           40
        .value_kind:     by_value
    .group_segment_fixed_size: 0
    .kernarg_segment_align: 8
    .kernarg_segment_size: 40
    .language:       OpenCL C
    .language_version:
      - 2
      - 0
    .max_flat_workgroup_size: 128
    .name:           _ZN7rocprim17ROCPRIM_400000_NS6detail17trampoline_kernelINS0_14default_configENS1_38merge_sort_block_merge_config_selectorIsNS0_10empty_typeEEEZZNS1_27merge_sort_block_merge_implIS3_PsPS5_jNS1_19radix_merge_compareILb0ELb0EsNS0_19identity_decomposerEEEEE10hipError_tT0_T1_T2_jT3_P12ihipStream_tbPNSt15iterator_traitsISE_E10value_typeEPNSK_ISF_E10value_typeEPSG_NS1_7vsmem_tEENKUlT_SE_SF_SG_E_clIS8_S8_S9_S9_EESD_ST_SE_SF_SG_EUlST_E_NS1_11comp_targetILNS1_3genE5ELNS1_11target_archE942ELNS1_3gpuE9ELNS1_3repE0EEENS1_48merge_mergepath_partition_config_static_selectorELNS0_4arch9wavefront6targetE0EEEvSF_
    .private_segment_fixed_size: 0
    .sgpr_count:     0
    .sgpr_spill_count: 0
    .symbol:         _ZN7rocprim17ROCPRIM_400000_NS6detail17trampoline_kernelINS0_14default_configENS1_38merge_sort_block_merge_config_selectorIsNS0_10empty_typeEEEZZNS1_27merge_sort_block_merge_implIS3_PsPS5_jNS1_19radix_merge_compareILb0ELb0EsNS0_19identity_decomposerEEEEE10hipError_tT0_T1_T2_jT3_P12ihipStream_tbPNSt15iterator_traitsISE_E10value_typeEPNSK_ISF_E10value_typeEPSG_NS1_7vsmem_tEENKUlT_SE_SF_SG_E_clIS8_S8_S9_S9_EESD_ST_SE_SF_SG_EUlST_E_NS1_11comp_targetILNS1_3genE5ELNS1_11target_archE942ELNS1_3gpuE9ELNS1_3repE0EEENS1_48merge_mergepath_partition_config_static_selectorELNS0_4arch9wavefront6targetE0EEEvSF_.kd
    .uniform_work_group_size: 1
    .uses_dynamic_stack: false
    .vgpr_count:     0
    .vgpr_spill_count: 0
    .wavefront_size: 32
  - .args:
      - .offset:         0
        .size:           40
        .value_kind:     by_value
    .group_segment_fixed_size: 0
    .kernarg_segment_align: 8
    .kernarg_segment_size: 40
    .language:       OpenCL C
    .language_version:
      - 2
      - 0
    .max_flat_workgroup_size: 128
    .name:           _ZN7rocprim17ROCPRIM_400000_NS6detail17trampoline_kernelINS0_14default_configENS1_38merge_sort_block_merge_config_selectorIsNS0_10empty_typeEEEZZNS1_27merge_sort_block_merge_implIS3_PsPS5_jNS1_19radix_merge_compareILb0ELb0EsNS0_19identity_decomposerEEEEE10hipError_tT0_T1_T2_jT3_P12ihipStream_tbPNSt15iterator_traitsISE_E10value_typeEPNSK_ISF_E10value_typeEPSG_NS1_7vsmem_tEENKUlT_SE_SF_SG_E_clIS8_S8_S9_S9_EESD_ST_SE_SF_SG_EUlST_E_NS1_11comp_targetILNS1_3genE4ELNS1_11target_archE910ELNS1_3gpuE8ELNS1_3repE0EEENS1_48merge_mergepath_partition_config_static_selectorELNS0_4arch9wavefront6targetE0EEEvSF_
    .private_segment_fixed_size: 0
    .sgpr_count:     0
    .sgpr_spill_count: 0
    .symbol:         _ZN7rocprim17ROCPRIM_400000_NS6detail17trampoline_kernelINS0_14default_configENS1_38merge_sort_block_merge_config_selectorIsNS0_10empty_typeEEEZZNS1_27merge_sort_block_merge_implIS3_PsPS5_jNS1_19radix_merge_compareILb0ELb0EsNS0_19identity_decomposerEEEEE10hipError_tT0_T1_T2_jT3_P12ihipStream_tbPNSt15iterator_traitsISE_E10value_typeEPNSK_ISF_E10value_typeEPSG_NS1_7vsmem_tEENKUlT_SE_SF_SG_E_clIS8_S8_S9_S9_EESD_ST_SE_SF_SG_EUlST_E_NS1_11comp_targetILNS1_3genE4ELNS1_11target_archE910ELNS1_3gpuE8ELNS1_3repE0EEENS1_48merge_mergepath_partition_config_static_selectorELNS0_4arch9wavefront6targetE0EEEvSF_.kd
    .uniform_work_group_size: 1
    .uses_dynamic_stack: false
    .vgpr_count:     0
    .vgpr_spill_count: 0
    .wavefront_size: 32
  - .args:
      - .offset:         0
        .size:           40
        .value_kind:     by_value
    .group_segment_fixed_size: 0
    .kernarg_segment_align: 8
    .kernarg_segment_size: 40
    .language:       OpenCL C
    .language_version:
      - 2
      - 0
    .max_flat_workgroup_size: 128
    .name:           _ZN7rocprim17ROCPRIM_400000_NS6detail17trampoline_kernelINS0_14default_configENS1_38merge_sort_block_merge_config_selectorIsNS0_10empty_typeEEEZZNS1_27merge_sort_block_merge_implIS3_PsPS5_jNS1_19radix_merge_compareILb0ELb0EsNS0_19identity_decomposerEEEEE10hipError_tT0_T1_T2_jT3_P12ihipStream_tbPNSt15iterator_traitsISE_E10value_typeEPNSK_ISF_E10value_typeEPSG_NS1_7vsmem_tEENKUlT_SE_SF_SG_E_clIS8_S8_S9_S9_EESD_ST_SE_SF_SG_EUlST_E_NS1_11comp_targetILNS1_3genE3ELNS1_11target_archE908ELNS1_3gpuE7ELNS1_3repE0EEENS1_48merge_mergepath_partition_config_static_selectorELNS0_4arch9wavefront6targetE0EEEvSF_
    .private_segment_fixed_size: 0
    .sgpr_count:     0
    .sgpr_spill_count: 0
    .symbol:         _ZN7rocprim17ROCPRIM_400000_NS6detail17trampoline_kernelINS0_14default_configENS1_38merge_sort_block_merge_config_selectorIsNS0_10empty_typeEEEZZNS1_27merge_sort_block_merge_implIS3_PsPS5_jNS1_19radix_merge_compareILb0ELb0EsNS0_19identity_decomposerEEEEE10hipError_tT0_T1_T2_jT3_P12ihipStream_tbPNSt15iterator_traitsISE_E10value_typeEPNSK_ISF_E10value_typeEPSG_NS1_7vsmem_tEENKUlT_SE_SF_SG_E_clIS8_S8_S9_S9_EESD_ST_SE_SF_SG_EUlST_E_NS1_11comp_targetILNS1_3genE3ELNS1_11target_archE908ELNS1_3gpuE7ELNS1_3repE0EEENS1_48merge_mergepath_partition_config_static_selectorELNS0_4arch9wavefront6targetE0EEEvSF_.kd
    .uniform_work_group_size: 1
    .uses_dynamic_stack: false
    .vgpr_count:     0
    .vgpr_spill_count: 0
    .wavefront_size: 32
  - .args:
      - .offset:         0
        .size:           40
        .value_kind:     by_value
    .group_segment_fixed_size: 0
    .kernarg_segment_align: 8
    .kernarg_segment_size: 40
    .language:       OpenCL C
    .language_version:
      - 2
      - 0
    .max_flat_workgroup_size: 128
    .name:           _ZN7rocprim17ROCPRIM_400000_NS6detail17trampoline_kernelINS0_14default_configENS1_38merge_sort_block_merge_config_selectorIsNS0_10empty_typeEEEZZNS1_27merge_sort_block_merge_implIS3_PsPS5_jNS1_19radix_merge_compareILb0ELb0EsNS0_19identity_decomposerEEEEE10hipError_tT0_T1_T2_jT3_P12ihipStream_tbPNSt15iterator_traitsISE_E10value_typeEPNSK_ISF_E10value_typeEPSG_NS1_7vsmem_tEENKUlT_SE_SF_SG_E_clIS8_S8_S9_S9_EESD_ST_SE_SF_SG_EUlST_E_NS1_11comp_targetILNS1_3genE2ELNS1_11target_archE906ELNS1_3gpuE6ELNS1_3repE0EEENS1_48merge_mergepath_partition_config_static_selectorELNS0_4arch9wavefront6targetE0EEEvSF_
    .private_segment_fixed_size: 0
    .sgpr_count:     0
    .sgpr_spill_count: 0
    .symbol:         _ZN7rocprim17ROCPRIM_400000_NS6detail17trampoline_kernelINS0_14default_configENS1_38merge_sort_block_merge_config_selectorIsNS0_10empty_typeEEEZZNS1_27merge_sort_block_merge_implIS3_PsPS5_jNS1_19radix_merge_compareILb0ELb0EsNS0_19identity_decomposerEEEEE10hipError_tT0_T1_T2_jT3_P12ihipStream_tbPNSt15iterator_traitsISE_E10value_typeEPNSK_ISF_E10value_typeEPSG_NS1_7vsmem_tEENKUlT_SE_SF_SG_E_clIS8_S8_S9_S9_EESD_ST_SE_SF_SG_EUlST_E_NS1_11comp_targetILNS1_3genE2ELNS1_11target_archE906ELNS1_3gpuE6ELNS1_3repE0EEENS1_48merge_mergepath_partition_config_static_selectorELNS0_4arch9wavefront6targetE0EEEvSF_.kd
    .uniform_work_group_size: 1
    .uses_dynamic_stack: false
    .vgpr_count:     0
    .vgpr_spill_count: 0
    .wavefront_size: 32
  - .args:
      - .offset:         0
        .size:           40
        .value_kind:     by_value
    .group_segment_fixed_size: 0
    .kernarg_segment_align: 8
    .kernarg_segment_size: 40
    .language:       OpenCL C
    .language_version:
      - 2
      - 0
    .max_flat_workgroup_size: 128
    .name:           _ZN7rocprim17ROCPRIM_400000_NS6detail17trampoline_kernelINS0_14default_configENS1_38merge_sort_block_merge_config_selectorIsNS0_10empty_typeEEEZZNS1_27merge_sort_block_merge_implIS3_PsPS5_jNS1_19radix_merge_compareILb0ELb0EsNS0_19identity_decomposerEEEEE10hipError_tT0_T1_T2_jT3_P12ihipStream_tbPNSt15iterator_traitsISE_E10value_typeEPNSK_ISF_E10value_typeEPSG_NS1_7vsmem_tEENKUlT_SE_SF_SG_E_clIS8_S8_S9_S9_EESD_ST_SE_SF_SG_EUlST_E_NS1_11comp_targetILNS1_3genE9ELNS1_11target_archE1100ELNS1_3gpuE3ELNS1_3repE0EEENS1_48merge_mergepath_partition_config_static_selectorELNS0_4arch9wavefront6targetE0EEEvSF_
    .private_segment_fixed_size: 0
    .sgpr_count:     0
    .sgpr_spill_count: 0
    .symbol:         _ZN7rocprim17ROCPRIM_400000_NS6detail17trampoline_kernelINS0_14default_configENS1_38merge_sort_block_merge_config_selectorIsNS0_10empty_typeEEEZZNS1_27merge_sort_block_merge_implIS3_PsPS5_jNS1_19radix_merge_compareILb0ELb0EsNS0_19identity_decomposerEEEEE10hipError_tT0_T1_T2_jT3_P12ihipStream_tbPNSt15iterator_traitsISE_E10value_typeEPNSK_ISF_E10value_typeEPSG_NS1_7vsmem_tEENKUlT_SE_SF_SG_E_clIS8_S8_S9_S9_EESD_ST_SE_SF_SG_EUlST_E_NS1_11comp_targetILNS1_3genE9ELNS1_11target_archE1100ELNS1_3gpuE3ELNS1_3repE0EEENS1_48merge_mergepath_partition_config_static_selectorELNS0_4arch9wavefront6targetE0EEEvSF_.kd
    .uniform_work_group_size: 1
    .uses_dynamic_stack: false
    .vgpr_count:     0
    .vgpr_spill_count: 0
    .wavefront_size: 32
  - .args:
      - .offset:         0
        .size:           40
        .value_kind:     by_value
    .group_segment_fixed_size: 0
    .kernarg_segment_align: 8
    .kernarg_segment_size: 40
    .language:       OpenCL C
    .language_version:
      - 2
      - 0
    .max_flat_workgroup_size: 128
    .name:           _ZN7rocprim17ROCPRIM_400000_NS6detail17trampoline_kernelINS0_14default_configENS1_38merge_sort_block_merge_config_selectorIsNS0_10empty_typeEEEZZNS1_27merge_sort_block_merge_implIS3_PsPS5_jNS1_19radix_merge_compareILb0ELb0EsNS0_19identity_decomposerEEEEE10hipError_tT0_T1_T2_jT3_P12ihipStream_tbPNSt15iterator_traitsISE_E10value_typeEPNSK_ISF_E10value_typeEPSG_NS1_7vsmem_tEENKUlT_SE_SF_SG_E_clIS8_S8_S9_S9_EESD_ST_SE_SF_SG_EUlST_E_NS1_11comp_targetILNS1_3genE8ELNS1_11target_archE1030ELNS1_3gpuE2ELNS1_3repE0EEENS1_48merge_mergepath_partition_config_static_selectorELNS0_4arch9wavefront6targetE0EEEvSF_
    .private_segment_fixed_size: 0
    .sgpr_count:     0
    .sgpr_spill_count: 0
    .symbol:         _ZN7rocprim17ROCPRIM_400000_NS6detail17trampoline_kernelINS0_14default_configENS1_38merge_sort_block_merge_config_selectorIsNS0_10empty_typeEEEZZNS1_27merge_sort_block_merge_implIS3_PsPS5_jNS1_19radix_merge_compareILb0ELb0EsNS0_19identity_decomposerEEEEE10hipError_tT0_T1_T2_jT3_P12ihipStream_tbPNSt15iterator_traitsISE_E10value_typeEPNSK_ISF_E10value_typeEPSG_NS1_7vsmem_tEENKUlT_SE_SF_SG_E_clIS8_S8_S9_S9_EESD_ST_SE_SF_SG_EUlST_E_NS1_11comp_targetILNS1_3genE8ELNS1_11target_archE1030ELNS1_3gpuE2ELNS1_3repE0EEENS1_48merge_mergepath_partition_config_static_selectorELNS0_4arch9wavefront6targetE0EEEvSF_.kd
    .uniform_work_group_size: 1
    .uses_dynamic_stack: false
    .vgpr_count:     0
    .vgpr_spill_count: 0
    .wavefront_size: 32
  - .args:
      - .offset:         0
        .size:           64
        .value_kind:     by_value
      - .offset:         64
        .size:           4
        .value_kind:     hidden_block_count_x
      - .offset:         68
        .size:           4
        .value_kind:     hidden_block_count_y
      - .offset:         72
        .size:           4
        .value_kind:     hidden_block_count_z
      - .offset:         76
        .size:           2
        .value_kind:     hidden_group_size_x
      - .offset:         78
        .size:           2
        .value_kind:     hidden_group_size_y
      - .offset:         80
        .size:           2
        .value_kind:     hidden_group_size_z
      - .offset:         82
        .size:           2
        .value_kind:     hidden_remainder_x
      - .offset:         84
        .size:           2
        .value_kind:     hidden_remainder_y
      - .offset:         86
        .size:           2
        .value_kind:     hidden_remainder_z
      - .offset:         104
        .size:           8
        .value_kind:     hidden_global_offset_x
      - .offset:         112
        .size:           8
        .value_kind:     hidden_global_offset_y
      - .offset:         120
        .size:           8
        .value_kind:     hidden_global_offset_z
      - .offset:         128
        .size:           2
        .value_kind:     hidden_grid_dims
    .group_segment_fixed_size: 2112
    .kernarg_segment_align: 8
    .kernarg_segment_size: 320
    .language:       OpenCL C
    .language_version:
      - 2
      - 0
    .max_flat_workgroup_size: 128
    .name:           _ZN7rocprim17ROCPRIM_400000_NS6detail17trampoline_kernelINS0_14default_configENS1_38merge_sort_block_merge_config_selectorIsNS0_10empty_typeEEEZZNS1_27merge_sort_block_merge_implIS3_PsPS5_jNS1_19radix_merge_compareILb0ELb0EsNS0_19identity_decomposerEEEEE10hipError_tT0_T1_T2_jT3_P12ihipStream_tbPNSt15iterator_traitsISE_E10value_typeEPNSK_ISF_E10value_typeEPSG_NS1_7vsmem_tEENKUlT_SE_SF_SG_E_clIS8_S8_S9_S9_EESD_ST_SE_SF_SG_EUlST_E0_NS1_11comp_targetILNS1_3genE0ELNS1_11target_archE4294967295ELNS1_3gpuE0ELNS1_3repE0EEENS1_38merge_mergepath_config_static_selectorELNS0_4arch9wavefront6targetE0EEEvSF_
    .private_segment_fixed_size: 0
    .sgpr_count:     25
    .sgpr_spill_count: 0
    .symbol:         _ZN7rocprim17ROCPRIM_400000_NS6detail17trampoline_kernelINS0_14default_configENS1_38merge_sort_block_merge_config_selectorIsNS0_10empty_typeEEEZZNS1_27merge_sort_block_merge_implIS3_PsPS5_jNS1_19radix_merge_compareILb0ELb0EsNS0_19identity_decomposerEEEEE10hipError_tT0_T1_T2_jT3_P12ihipStream_tbPNSt15iterator_traitsISE_E10value_typeEPNSK_ISF_E10value_typeEPSG_NS1_7vsmem_tEENKUlT_SE_SF_SG_E_clIS8_S8_S9_S9_EESD_ST_SE_SF_SG_EUlST_E0_NS1_11comp_targetILNS1_3genE0ELNS1_11target_archE4294967295ELNS1_3gpuE0ELNS1_3repE0EEENS1_38merge_mergepath_config_static_selectorELNS0_4arch9wavefront6targetE0EEEvSF_.kd
    .uniform_work_group_size: 1
    .uses_dynamic_stack: false
    .vgpr_count:     27
    .vgpr_spill_count: 0
    .wavefront_size: 32
  - .args:
      - .offset:         0
        .size:           64
        .value_kind:     by_value
    .group_segment_fixed_size: 0
    .kernarg_segment_align: 8
    .kernarg_segment_size: 64
    .language:       OpenCL C
    .language_version:
      - 2
      - 0
    .max_flat_workgroup_size: 128
    .name:           _ZN7rocprim17ROCPRIM_400000_NS6detail17trampoline_kernelINS0_14default_configENS1_38merge_sort_block_merge_config_selectorIsNS0_10empty_typeEEEZZNS1_27merge_sort_block_merge_implIS3_PsPS5_jNS1_19radix_merge_compareILb0ELb0EsNS0_19identity_decomposerEEEEE10hipError_tT0_T1_T2_jT3_P12ihipStream_tbPNSt15iterator_traitsISE_E10value_typeEPNSK_ISF_E10value_typeEPSG_NS1_7vsmem_tEENKUlT_SE_SF_SG_E_clIS8_S8_S9_S9_EESD_ST_SE_SF_SG_EUlST_E0_NS1_11comp_targetILNS1_3genE10ELNS1_11target_archE1201ELNS1_3gpuE5ELNS1_3repE0EEENS1_38merge_mergepath_config_static_selectorELNS0_4arch9wavefront6targetE0EEEvSF_
    .private_segment_fixed_size: 0
    .sgpr_count:     0
    .sgpr_spill_count: 0
    .symbol:         _ZN7rocprim17ROCPRIM_400000_NS6detail17trampoline_kernelINS0_14default_configENS1_38merge_sort_block_merge_config_selectorIsNS0_10empty_typeEEEZZNS1_27merge_sort_block_merge_implIS3_PsPS5_jNS1_19radix_merge_compareILb0ELb0EsNS0_19identity_decomposerEEEEE10hipError_tT0_T1_T2_jT3_P12ihipStream_tbPNSt15iterator_traitsISE_E10value_typeEPNSK_ISF_E10value_typeEPSG_NS1_7vsmem_tEENKUlT_SE_SF_SG_E_clIS8_S8_S9_S9_EESD_ST_SE_SF_SG_EUlST_E0_NS1_11comp_targetILNS1_3genE10ELNS1_11target_archE1201ELNS1_3gpuE5ELNS1_3repE0EEENS1_38merge_mergepath_config_static_selectorELNS0_4arch9wavefront6targetE0EEEvSF_.kd
    .uniform_work_group_size: 1
    .uses_dynamic_stack: false
    .vgpr_count:     0
    .vgpr_spill_count: 0
    .wavefront_size: 32
  - .args:
      - .offset:         0
        .size:           64
        .value_kind:     by_value
    .group_segment_fixed_size: 0
    .kernarg_segment_align: 8
    .kernarg_segment_size: 64
    .language:       OpenCL C
    .language_version:
      - 2
      - 0
    .max_flat_workgroup_size: 128
    .name:           _ZN7rocprim17ROCPRIM_400000_NS6detail17trampoline_kernelINS0_14default_configENS1_38merge_sort_block_merge_config_selectorIsNS0_10empty_typeEEEZZNS1_27merge_sort_block_merge_implIS3_PsPS5_jNS1_19radix_merge_compareILb0ELb0EsNS0_19identity_decomposerEEEEE10hipError_tT0_T1_T2_jT3_P12ihipStream_tbPNSt15iterator_traitsISE_E10value_typeEPNSK_ISF_E10value_typeEPSG_NS1_7vsmem_tEENKUlT_SE_SF_SG_E_clIS8_S8_S9_S9_EESD_ST_SE_SF_SG_EUlST_E0_NS1_11comp_targetILNS1_3genE5ELNS1_11target_archE942ELNS1_3gpuE9ELNS1_3repE0EEENS1_38merge_mergepath_config_static_selectorELNS0_4arch9wavefront6targetE0EEEvSF_
    .private_segment_fixed_size: 0
    .sgpr_count:     0
    .sgpr_spill_count: 0
    .symbol:         _ZN7rocprim17ROCPRIM_400000_NS6detail17trampoline_kernelINS0_14default_configENS1_38merge_sort_block_merge_config_selectorIsNS0_10empty_typeEEEZZNS1_27merge_sort_block_merge_implIS3_PsPS5_jNS1_19radix_merge_compareILb0ELb0EsNS0_19identity_decomposerEEEEE10hipError_tT0_T1_T2_jT3_P12ihipStream_tbPNSt15iterator_traitsISE_E10value_typeEPNSK_ISF_E10value_typeEPSG_NS1_7vsmem_tEENKUlT_SE_SF_SG_E_clIS8_S8_S9_S9_EESD_ST_SE_SF_SG_EUlST_E0_NS1_11comp_targetILNS1_3genE5ELNS1_11target_archE942ELNS1_3gpuE9ELNS1_3repE0EEENS1_38merge_mergepath_config_static_selectorELNS0_4arch9wavefront6targetE0EEEvSF_.kd
    .uniform_work_group_size: 1
    .uses_dynamic_stack: false
    .vgpr_count:     0
    .vgpr_spill_count: 0
    .wavefront_size: 32
  - .args:
      - .offset:         0
        .size:           64
        .value_kind:     by_value
    .group_segment_fixed_size: 0
    .kernarg_segment_align: 8
    .kernarg_segment_size: 64
    .language:       OpenCL C
    .language_version:
      - 2
      - 0
    .max_flat_workgroup_size: 128
    .name:           _ZN7rocprim17ROCPRIM_400000_NS6detail17trampoline_kernelINS0_14default_configENS1_38merge_sort_block_merge_config_selectorIsNS0_10empty_typeEEEZZNS1_27merge_sort_block_merge_implIS3_PsPS5_jNS1_19radix_merge_compareILb0ELb0EsNS0_19identity_decomposerEEEEE10hipError_tT0_T1_T2_jT3_P12ihipStream_tbPNSt15iterator_traitsISE_E10value_typeEPNSK_ISF_E10value_typeEPSG_NS1_7vsmem_tEENKUlT_SE_SF_SG_E_clIS8_S8_S9_S9_EESD_ST_SE_SF_SG_EUlST_E0_NS1_11comp_targetILNS1_3genE4ELNS1_11target_archE910ELNS1_3gpuE8ELNS1_3repE0EEENS1_38merge_mergepath_config_static_selectorELNS0_4arch9wavefront6targetE0EEEvSF_
    .private_segment_fixed_size: 0
    .sgpr_count:     0
    .sgpr_spill_count: 0
    .symbol:         _ZN7rocprim17ROCPRIM_400000_NS6detail17trampoline_kernelINS0_14default_configENS1_38merge_sort_block_merge_config_selectorIsNS0_10empty_typeEEEZZNS1_27merge_sort_block_merge_implIS3_PsPS5_jNS1_19radix_merge_compareILb0ELb0EsNS0_19identity_decomposerEEEEE10hipError_tT0_T1_T2_jT3_P12ihipStream_tbPNSt15iterator_traitsISE_E10value_typeEPNSK_ISF_E10value_typeEPSG_NS1_7vsmem_tEENKUlT_SE_SF_SG_E_clIS8_S8_S9_S9_EESD_ST_SE_SF_SG_EUlST_E0_NS1_11comp_targetILNS1_3genE4ELNS1_11target_archE910ELNS1_3gpuE8ELNS1_3repE0EEENS1_38merge_mergepath_config_static_selectorELNS0_4arch9wavefront6targetE0EEEvSF_.kd
    .uniform_work_group_size: 1
    .uses_dynamic_stack: false
    .vgpr_count:     0
    .vgpr_spill_count: 0
    .wavefront_size: 32
  - .args:
      - .offset:         0
        .size:           64
        .value_kind:     by_value
    .group_segment_fixed_size: 0
    .kernarg_segment_align: 8
    .kernarg_segment_size: 64
    .language:       OpenCL C
    .language_version:
      - 2
      - 0
    .max_flat_workgroup_size: 128
    .name:           _ZN7rocprim17ROCPRIM_400000_NS6detail17trampoline_kernelINS0_14default_configENS1_38merge_sort_block_merge_config_selectorIsNS0_10empty_typeEEEZZNS1_27merge_sort_block_merge_implIS3_PsPS5_jNS1_19radix_merge_compareILb0ELb0EsNS0_19identity_decomposerEEEEE10hipError_tT0_T1_T2_jT3_P12ihipStream_tbPNSt15iterator_traitsISE_E10value_typeEPNSK_ISF_E10value_typeEPSG_NS1_7vsmem_tEENKUlT_SE_SF_SG_E_clIS8_S8_S9_S9_EESD_ST_SE_SF_SG_EUlST_E0_NS1_11comp_targetILNS1_3genE3ELNS1_11target_archE908ELNS1_3gpuE7ELNS1_3repE0EEENS1_38merge_mergepath_config_static_selectorELNS0_4arch9wavefront6targetE0EEEvSF_
    .private_segment_fixed_size: 0
    .sgpr_count:     0
    .sgpr_spill_count: 0
    .symbol:         _ZN7rocprim17ROCPRIM_400000_NS6detail17trampoline_kernelINS0_14default_configENS1_38merge_sort_block_merge_config_selectorIsNS0_10empty_typeEEEZZNS1_27merge_sort_block_merge_implIS3_PsPS5_jNS1_19radix_merge_compareILb0ELb0EsNS0_19identity_decomposerEEEEE10hipError_tT0_T1_T2_jT3_P12ihipStream_tbPNSt15iterator_traitsISE_E10value_typeEPNSK_ISF_E10value_typeEPSG_NS1_7vsmem_tEENKUlT_SE_SF_SG_E_clIS8_S8_S9_S9_EESD_ST_SE_SF_SG_EUlST_E0_NS1_11comp_targetILNS1_3genE3ELNS1_11target_archE908ELNS1_3gpuE7ELNS1_3repE0EEENS1_38merge_mergepath_config_static_selectorELNS0_4arch9wavefront6targetE0EEEvSF_.kd
    .uniform_work_group_size: 1
    .uses_dynamic_stack: false
    .vgpr_count:     0
    .vgpr_spill_count: 0
    .wavefront_size: 32
  - .args:
      - .offset:         0
        .size:           64
        .value_kind:     by_value
    .group_segment_fixed_size: 0
    .kernarg_segment_align: 8
    .kernarg_segment_size: 64
    .language:       OpenCL C
    .language_version:
      - 2
      - 0
    .max_flat_workgroup_size: 128
    .name:           _ZN7rocprim17ROCPRIM_400000_NS6detail17trampoline_kernelINS0_14default_configENS1_38merge_sort_block_merge_config_selectorIsNS0_10empty_typeEEEZZNS1_27merge_sort_block_merge_implIS3_PsPS5_jNS1_19radix_merge_compareILb0ELb0EsNS0_19identity_decomposerEEEEE10hipError_tT0_T1_T2_jT3_P12ihipStream_tbPNSt15iterator_traitsISE_E10value_typeEPNSK_ISF_E10value_typeEPSG_NS1_7vsmem_tEENKUlT_SE_SF_SG_E_clIS8_S8_S9_S9_EESD_ST_SE_SF_SG_EUlST_E0_NS1_11comp_targetILNS1_3genE2ELNS1_11target_archE906ELNS1_3gpuE6ELNS1_3repE0EEENS1_38merge_mergepath_config_static_selectorELNS0_4arch9wavefront6targetE0EEEvSF_
    .private_segment_fixed_size: 0
    .sgpr_count:     0
    .sgpr_spill_count: 0
    .symbol:         _ZN7rocprim17ROCPRIM_400000_NS6detail17trampoline_kernelINS0_14default_configENS1_38merge_sort_block_merge_config_selectorIsNS0_10empty_typeEEEZZNS1_27merge_sort_block_merge_implIS3_PsPS5_jNS1_19radix_merge_compareILb0ELb0EsNS0_19identity_decomposerEEEEE10hipError_tT0_T1_T2_jT3_P12ihipStream_tbPNSt15iterator_traitsISE_E10value_typeEPNSK_ISF_E10value_typeEPSG_NS1_7vsmem_tEENKUlT_SE_SF_SG_E_clIS8_S8_S9_S9_EESD_ST_SE_SF_SG_EUlST_E0_NS1_11comp_targetILNS1_3genE2ELNS1_11target_archE906ELNS1_3gpuE6ELNS1_3repE0EEENS1_38merge_mergepath_config_static_selectorELNS0_4arch9wavefront6targetE0EEEvSF_.kd
    .uniform_work_group_size: 1
    .uses_dynamic_stack: false
    .vgpr_count:     0
    .vgpr_spill_count: 0
    .wavefront_size: 32
  - .args:
      - .offset:         0
        .size:           64
        .value_kind:     by_value
    .group_segment_fixed_size: 0
    .kernarg_segment_align: 8
    .kernarg_segment_size: 64
    .language:       OpenCL C
    .language_version:
      - 2
      - 0
    .max_flat_workgroup_size: 128
    .name:           _ZN7rocprim17ROCPRIM_400000_NS6detail17trampoline_kernelINS0_14default_configENS1_38merge_sort_block_merge_config_selectorIsNS0_10empty_typeEEEZZNS1_27merge_sort_block_merge_implIS3_PsPS5_jNS1_19radix_merge_compareILb0ELb0EsNS0_19identity_decomposerEEEEE10hipError_tT0_T1_T2_jT3_P12ihipStream_tbPNSt15iterator_traitsISE_E10value_typeEPNSK_ISF_E10value_typeEPSG_NS1_7vsmem_tEENKUlT_SE_SF_SG_E_clIS8_S8_S9_S9_EESD_ST_SE_SF_SG_EUlST_E0_NS1_11comp_targetILNS1_3genE9ELNS1_11target_archE1100ELNS1_3gpuE3ELNS1_3repE0EEENS1_38merge_mergepath_config_static_selectorELNS0_4arch9wavefront6targetE0EEEvSF_
    .private_segment_fixed_size: 0
    .sgpr_count:     0
    .sgpr_spill_count: 0
    .symbol:         _ZN7rocprim17ROCPRIM_400000_NS6detail17trampoline_kernelINS0_14default_configENS1_38merge_sort_block_merge_config_selectorIsNS0_10empty_typeEEEZZNS1_27merge_sort_block_merge_implIS3_PsPS5_jNS1_19radix_merge_compareILb0ELb0EsNS0_19identity_decomposerEEEEE10hipError_tT0_T1_T2_jT3_P12ihipStream_tbPNSt15iterator_traitsISE_E10value_typeEPNSK_ISF_E10value_typeEPSG_NS1_7vsmem_tEENKUlT_SE_SF_SG_E_clIS8_S8_S9_S9_EESD_ST_SE_SF_SG_EUlST_E0_NS1_11comp_targetILNS1_3genE9ELNS1_11target_archE1100ELNS1_3gpuE3ELNS1_3repE0EEENS1_38merge_mergepath_config_static_selectorELNS0_4arch9wavefront6targetE0EEEvSF_.kd
    .uniform_work_group_size: 1
    .uses_dynamic_stack: false
    .vgpr_count:     0
    .vgpr_spill_count: 0
    .wavefront_size: 32
  - .args:
      - .offset:         0
        .size:           64
        .value_kind:     by_value
    .group_segment_fixed_size: 0
    .kernarg_segment_align: 8
    .kernarg_segment_size: 64
    .language:       OpenCL C
    .language_version:
      - 2
      - 0
    .max_flat_workgroup_size: 128
    .name:           _ZN7rocprim17ROCPRIM_400000_NS6detail17trampoline_kernelINS0_14default_configENS1_38merge_sort_block_merge_config_selectorIsNS0_10empty_typeEEEZZNS1_27merge_sort_block_merge_implIS3_PsPS5_jNS1_19radix_merge_compareILb0ELb0EsNS0_19identity_decomposerEEEEE10hipError_tT0_T1_T2_jT3_P12ihipStream_tbPNSt15iterator_traitsISE_E10value_typeEPNSK_ISF_E10value_typeEPSG_NS1_7vsmem_tEENKUlT_SE_SF_SG_E_clIS8_S8_S9_S9_EESD_ST_SE_SF_SG_EUlST_E0_NS1_11comp_targetILNS1_3genE8ELNS1_11target_archE1030ELNS1_3gpuE2ELNS1_3repE0EEENS1_38merge_mergepath_config_static_selectorELNS0_4arch9wavefront6targetE0EEEvSF_
    .private_segment_fixed_size: 0
    .sgpr_count:     0
    .sgpr_spill_count: 0
    .symbol:         _ZN7rocprim17ROCPRIM_400000_NS6detail17trampoline_kernelINS0_14default_configENS1_38merge_sort_block_merge_config_selectorIsNS0_10empty_typeEEEZZNS1_27merge_sort_block_merge_implIS3_PsPS5_jNS1_19radix_merge_compareILb0ELb0EsNS0_19identity_decomposerEEEEE10hipError_tT0_T1_T2_jT3_P12ihipStream_tbPNSt15iterator_traitsISE_E10value_typeEPNSK_ISF_E10value_typeEPSG_NS1_7vsmem_tEENKUlT_SE_SF_SG_E_clIS8_S8_S9_S9_EESD_ST_SE_SF_SG_EUlST_E0_NS1_11comp_targetILNS1_3genE8ELNS1_11target_archE1030ELNS1_3gpuE2ELNS1_3repE0EEENS1_38merge_mergepath_config_static_selectorELNS0_4arch9wavefront6targetE0EEEvSF_.kd
    .uniform_work_group_size: 1
    .uses_dynamic_stack: false
    .vgpr_count:     0
    .vgpr_spill_count: 0
    .wavefront_size: 32
  - .args:
      - .offset:         0
        .size:           48
        .value_kind:     by_value
    .group_segment_fixed_size: 0
    .kernarg_segment_align: 8
    .kernarg_segment_size: 48
    .language:       OpenCL C
    .language_version:
      - 2
      - 0
    .max_flat_workgroup_size: 256
    .name:           _ZN7rocprim17ROCPRIM_400000_NS6detail17trampoline_kernelINS0_14default_configENS1_38merge_sort_block_merge_config_selectorIsNS0_10empty_typeEEEZZNS1_27merge_sort_block_merge_implIS3_PsPS5_jNS1_19radix_merge_compareILb0ELb0EsNS0_19identity_decomposerEEEEE10hipError_tT0_T1_T2_jT3_P12ihipStream_tbPNSt15iterator_traitsISE_E10value_typeEPNSK_ISF_E10value_typeEPSG_NS1_7vsmem_tEENKUlT_SE_SF_SG_E_clIS8_S8_S9_S9_EESD_ST_SE_SF_SG_EUlST_E1_NS1_11comp_targetILNS1_3genE0ELNS1_11target_archE4294967295ELNS1_3gpuE0ELNS1_3repE0EEENS1_36merge_oddeven_config_static_selectorELNS0_4arch9wavefront6targetE0EEEvSF_
    .private_segment_fixed_size: 0
    .sgpr_count:     18
    .sgpr_spill_count: 0
    .symbol:         _ZN7rocprim17ROCPRIM_400000_NS6detail17trampoline_kernelINS0_14default_configENS1_38merge_sort_block_merge_config_selectorIsNS0_10empty_typeEEEZZNS1_27merge_sort_block_merge_implIS3_PsPS5_jNS1_19radix_merge_compareILb0ELb0EsNS0_19identity_decomposerEEEEE10hipError_tT0_T1_T2_jT3_P12ihipStream_tbPNSt15iterator_traitsISE_E10value_typeEPNSK_ISF_E10value_typeEPSG_NS1_7vsmem_tEENKUlT_SE_SF_SG_E_clIS8_S8_S9_S9_EESD_ST_SE_SF_SG_EUlST_E1_NS1_11comp_targetILNS1_3genE0ELNS1_11target_archE4294967295ELNS1_3gpuE0ELNS1_3repE0EEENS1_36merge_oddeven_config_static_selectorELNS0_4arch9wavefront6targetE0EEEvSF_.kd
    .uniform_work_group_size: 1
    .uses_dynamic_stack: false
    .vgpr_count:     7
    .vgpr_spill_count: 0
    .wavefront_size: 32
  - .args:
      - .offset:         0
        .size:           48
        .value_kind:     by_value
    .group_segment_fixed_size: 0
    .kernarg_segment_align: 8
    .kernarg_segment_size: 48
    .language:       OpenCL C
    .language_version:
      - 2
      - 0
    .max_flat_workgroup_size: 256
    .name:           _ZN7rocprim17ROCPRIM_400000_NS6detail17trampoline_kernelINS0_14default_configENS1_38merge_sort_block_merge_config_selectorIsNS0_10empty_typeEEEZZNS1_27merge_sort_block_merge_implIS3_PsPS5_jNS1_19radix_merge_compareILb0ELb0EsNS0_19identity_decomposerEEEEE10hipError_tT0_T1_T2_jT3_P12ihipStream_tbPNSt15iterator_traitsISE_E10value_typeEPNSK_ISF_E10value_typeEPSG_NS1_7vsmem_tEENKUlT_SE_SF_SG_E_clIS8_S8_S9_S9_EESD_ST_SE_SF_SG_EUlST_E1_NS1_11comp_targetILNS1_3genE10ELNS1_11target_archE1201ELNS1_3gpuE5ELNS1_3repE0EEENS1_36merge_oddeven_config_static_selectorELNS0_4arch9wavefront6targetE0EEEvSF_
    .private_segment_fixed_size: 0
    .sgpr_count:     0
    .sgpr_spill_count: 0
    .symbol:         _ZN7rocprim17ROCPRIM_400000_NS6detail17trampoline_kernelINS0_14default_configENS1_38merge_sort_block_merge_config_selectorIsNS0_10empty_typeEEEZZNS1_27merge_sort_block_merge_implIS3_PsPS5_jNS1_19radix_merge_compareILb0ELb0EsNS0_19identity_decomposerEEEEE10hipError_tT0_T1_T2_jT3_P12ihipStream_tbPNSt15iterator_traitsISE_E10value_typeEPNSK_ISF_E10value_typeEPSG_NS1_7vsmem_tEENKUlT_SE_SF_SG_E_clIS8_S8_S9_S9_EESD_ST_SE_SF_SG_EUlST_E1_NS1_11comp_targetILNS1_3genE10ELNS1_11target_archE1201ELNS1_3gpuE5ELNS1_3repE0EEENS1_36merge_oddeven_config_static_selectorELNS0_4arch9wavefront6targetE0EEEvSF_.kd
    .uniform_work_group_size: 1
    .uses_dynamic_stack: false
    .vgpr_count:     0
    .vgpr_spill_count: 0
    .wavefront_size: 32
  - .args:
      - .offset:         0
        .size:           48
        .value_kind:     by_value
    .group_segment_fixed_size: 0
    .kernarg_segment_align: 8
    .kernarg_segment_size: 48
    .language:       OpenCL C
    .language_version:
      - 2
      - 0
    .max_flat_workgroup_size: 256
    .name:           _ZN7rocprim17ROCPRIM_400000_NS6detail17trampoline_kernelINS0_14default_configENS1_38merge_sort_block_merge_config_selectorIsNS0_10empty_typeEEEZZNS1_27merge_sort_block_merge_implIS3_PsPS5_jNS1_19radix_merge_compareILb0ELb0EsNS0_19identity_decomposerEEEEE10hipError_tT0_T1_T2_jT3_P12ihipStream_tbPNSt15iterator_traitsISE_E10value_typeEPNSK_ISF_E10value_typeEPSG_NS1_7vsmem_tEENKUlT_SE_SF_SG_E_clIS8_S8_S9_S9_EESD_ST_SE_SF_SG_EUlST_E1_NS1_11comp_targetILNS1_3genE5ELNS1_11target_archE942ELNS1_3gpuE9ELNS1_3repE0EEENS1_36merge_oddeven_config_static_selectorELNS0_4arch9wavefront6targetE0EEEvSF_
    .private_segment_fixed_size: 0
    .sgpr_count:     0
    .sgpr_spill_count: 0
    .symbol:         _ZN7rocprim17ROCPRIM_400000_NS6detail17trampoline_kernelINS0_14default_configENS1_38merge_sort_block_merge_config_selectorIsNS0_10empty_typeEEEZZNS1_27merge_sort_block_merge_implIS3_PsPS5_jNS1_19radix_merge_compareILb0ELb0EsNS0_19identity_decomposerEEEEE10hipError_tT0_T1_T2_jT3_P12ihipStream_tbPNSt15iterator_traitsISE_E10value_typeEPNSK_ISF_E10value_typeEPSG_NS1_7vsmem_tEENKUlT_SE_SF_SG_E_clIS8_S8_S9_S9_EESD_ST_SE_SF_SG_EUlST_E1_NS1_11comp_targetILNS1_3genE5ELNS1_11target_archE942ELNS1_3gpuE9ELNS1_3repE0EEENS1_36merge_oddeven_config_static_selectorELNS0_4arch9wavefront6targetE0EEEvSF_.kd
    .uniform_work_group_size: 1
    .uses_dynamic_stack: false
    .vgpr_count:     0
    .vgpr_spill_count: 0
    .wavefront_size: 32
  - .args:
      - .offset:         0
        .size:           48
        .value_kind:     by_value
    .group_segment_fixed_size: 0
    .kernarg_segment_align: 8
    .kernarg_segment_size: 48
    .language:       OpenCL C
    .language_version:
      - 2
      - 0
    .max_flat_workgroup_size: 256
    .name:           _ZN7rocprim17ROCPRIM_400000_NS6detail17trampoline_kernelINS0_14default_configENS1_38merge_sort_block_merge_config_selectorIsNS0_10empty_typeEEEZZNS1_27merge_sort_block_merge_implIS3_PsPS5_jNS1_19radix_merge_compareILb0ELb0EsNS0_19identity_decomposerEEEEE10hipError_tT0_T1_T2_jT3_P12ihipStream_tbPNSt15iterator_traitsISE_E10value_typeEPNSK_ISF_E10value_typeEPSG_NS1_7vsmem_tEENKUlT_SE_SF_SG_E_clIS8_S8_S9_S9_EESD_ST_SE_SF_SG_EUlST_E1_NS1_11comp_targetILNS1_3genE4ELNS1_11target_archE910ELNS1_3gpuE8ELNS1_3repE0EEENS1_36merge_oddeven_config_static_selectorELNS0_4arch9wavefront6targetE0EEEvSF_
    .private_segment_fixed_size: 0
    .sgpr_count:     0
    .sgpr_spill_count: 0
    .symbol:         _ZN7rocprim17ROCPRIM_400000_NS6detail17trampoline_kernelINS0_14default_configENS1_38merge_sort_block_merge_config_selectorIsNS0_10empty_typeEEEZZNS1_27merge_sort_block_merge_implIS3_PsPS5_jNS1_19radix_merge_compareILb0ELb0EsNS0_19identity_decomposerEEEEE10hipError_tT0_T1_T2_jT3_P12ihipStream_tbPNSt15iterator_traitsISE_E10value_typeEPNSK_ISF_E10value_typeEPSG_NS1_7vsmem_tEENKUlT_SE_SF_SG_E_clIS8_S8_S9_S9_EESD_ST_SE_SF_SG_EUlST_E1_NS1_11comp_targetILNS1_3genE4ELNS1_11target_archE910ELNS1_3gpuE8ELNS1_3repE0EEENS1_36merge_oddeven_config_static_selectorELNS0_4arch9wavefront6targetE0EEEvSF_.kd
    .uniform_work_group_size: 1
    .uses_dynamic_stack: false
    .vgpr_count:     0
    .vgpr_spill_count: 0
    .wavefront_size: 32
  - .args:
      - .offset:         0
        .size:           48
        .value_kind:     by_value
    .group_segment_fixed_size: 0
    .kernarg_segment_align: 8
    .kernarg_segment_size: 48
    .language:       OpenCL C
    .language_version:
      - 2
      - 0
    .max_flat_workgroup_size: 256
    .name:           _ZN7rocprim17ROCPRIM_400000_NS6detail17trampoline_kernelINS0_14default_configENS1_38merge_sort_block_merge_config_selectorIsNS0_10empty_typeEEEZZNS1_27merge_sort_block_merge_implIS3_PsPS5_jNS1_19radix_merge_compareILb0ELb0EsNS0_19identity_decomposerEEEEE10hipError_tT0_T1_T2_jT3_P12ihipStream_tbPNSt15iterator_traitsISE_E10value_typeEPNSK_ISF_E10value_typeEPSG_NS1_7vsmem_tEENKUlT_SE_SF_SG_E_clIS8_S8_S9_S9_EESD_ST_SE_SF_SG_EUlST_E1_NS1_11comp_targetILNS1_3genE3ELNS1_11target_archE908ELNS1_3gpuE7ELNS1_3repE0EEENS1_36merge_oddeven_config_static_selectorELNS0_4arch9wavefront6targetE0EEEvSF_
    .private_segment_fixed_size: 0
    .sgpr_count:     0
    .sgpr_spill_count: 0
    .symbol:         _ZN7rocprim17ROCPRIM_400000_NS6detail17trampoline_kernelINS0_14default_configENS1_38merge_sort_block_merge_config_selectorIsNS0_10empty_typeEEEZZNS1_27merge_sort_block_merge_implIS3_PsPS5_jNS1_19radix_merge_compareILb0ELb0EsNS0_19identity_decomposerEEEEE10hipError_tT0_T1_T2_jT3_P12ihipStream_tbPNSt15iterator_traitsISE_E10value_typeEPNSK_ISF_E10value_typeEPSG_NS1_7vsmem_tEENKUlT_SE_SF_SG_E_clIS8_S8_S9_S9_EESD_ST_SE_SF_SG_EUlST_E1_NS1_11comp_targetILNS1_3genE3ELNS1_11target_archE908ELNS1_3gpuE7ELNS1_3repE0EEENS1_36merge_oddeven_config_static_selectorELNS0_4arch9wavefront6targetE0EEEvSF_.kd
    .uniform_work_group_size: 1
    .uses_dynamic_stack: false
    .vgpr_count:     0
    .vgpr_spill_count: 0
    .wavefront_size: 32
  - .args:
      - .offset:         0
        .size:           48
        .value_kind:     by_value
    .group_segment_fixed_size: 0
    .kernarg_segment_align: 8
    .kernarg_segment_size: 48
    .language:       OpenCL C
    .language_version:
      - 2
      - 0
    .max_flat_workgroup_size: 256
    .name:           _ZN7rocprim17ROCPRIM_400000_NS6detail17trampoline_kernelINS0_14default_configENS1_38merge_sort_block_merge_config_selectorIsNS0_10empty_typeEEEZZNS1_27merge_sort_block_merge_implIS3_PsPS5_jNS1_19radix_merge_compareILb0ELb0EsNS0_19identity_decomposerEEEEE10hipError_tT0_T1_T2_jT3_P12ihipStream_tbPNSt15iterator_traitsISE_E10value_typeEPNSK_ISF_E10value_typeEPSG_NS1_7vsmem_tEENKUlT_SE_SF_SG_E_clIS8_S8_S9_S9_EESD_ST_SE_SF_SG_EUlST_E1_NS1_11comp_targetILNS1_3genE2ELNS1_11target_archE906ELNS1_3gpuE6ELNS1_3repE0EEENS1_36merge_oddeven_config_static_selectorELNS0_4arch9wavefront6targetE0EEEvSF_
    .private_segment_fixed_size: 0
    .sgpr_count:     0
    .sgpr_spill_count: 0
    .symbol:         _ZN7rocprim17ROCPRIM_400000_NS6detail17trampoline_kernelINS0_14default_configENS1_38merge_sort_block_merge_config_selectorIsNS0_10empty_typeEEEZZNS1_27merge_sort_block_merge_implIS3_PsPS5_jNS1_19radix_merge_compareILb0ELb0EsNS0_19identity_decomposerEEEEE10hipError_tT0_T1_T2_jT3_P12ihipStream_tbPNSt15iterator_traitsISE_E10value_typeEPNSK_ISF_E10value_typeEPSG_NS1_7vsmem_tEENKUlT_SE_SF_SG_E_clIS8_S8_S9_S9_EESD_ST_SE_SF_SG_EUlST_E1_NS1_11comp_targetILNS1_3genE2ELNS1_11target_archE906ELNS1_3gpuE6ELNS1_3repE0EEENS1_36merge_oddeven_config_static_selectorELNS0_4arch9wavefront6targetE0EEEvSF_.kd
    .uniform_work_group_size: 1
    .uses_dynamic_stack: false
    .vgpr_count:     0
    .vgpr_spill_count: 0
    .wavefront_size: 32
  - .args:
      - .offset:         0
        .size:           48
        .value_kind:     by_value
    .group_segment_fixed_size: 0
    .kernarg_segment_align: 8
    .kernarg_segment_size: 48
    .language:       OpenCL C
    .language_version:
      - 2
      - 0
    .max_flat_workgroup_size: 256
    .name:           _ZN7rocprim17ROCPRIM_400000_NS6detail17trampoline_kernelINS0_14default_configENS1_38merge_sort_block_merge_config_selectorIsNS0_10empty_typeEEEZZNS1_27merge_sort_block_merge_implIS3_PsPS5_jNS1_19radix_merge_compareILb0ELb0EsNS0_19identity_decomposerEEEEE10hipError_tT0_T1_T2_jT3_P12ihipStream_tbPNSt15iterator_traitsISE_E10value_typeEPNSK_ISF_E10value_typeEPSG_NS1_7vsmem_tEENKUlT_SE_SF_SG_E_clIS8_S8_S9_S9_EESD_ST_SE_SF_SG_EUlST_E1_NS1_11comp_targetILNS1_3genE9ELNS1_11target_archE1100ELNS1_3gpuE3ELNS1_3repE0EEENS1_36merge_oddeven_config_static_selectorELNS0_4arch9wavefront6targetE0EEEvSF_
    .private_segment_fixed_size: 0
    .sgpr_count:     0
    .sgpr_spill_count: 0
    .symbol:         _ZN7rocprim17ROCPRIM_400000_NS6detail17trampoline_kernelINS0_14default_configENS1_38merge_sort_block_merge_config_selectorIsNS0_10empty_typeEEEZZNS1_27merge_sort_block_merge_implIS3_PsPS5_jNS1_19radix_merge_compareILb0ELb0EsNS0_19identity_decomposerEEEEE10hipError_tT0_T1_T2_jT3_P12ihipStream_tbPNSt15iterator_traitsISE_E10value_typeEPNSK_ISF_E10value_typeEPSG_NS1_7vsmem_tEENKUlT_SE_SF_SG_E_clIS8_S8_S9_S9_EESD_ST_SE_SF_SG_EUlST_E1_NS1_11comp_targetILNS1_3genE9ELNS1_11target_archE1100ELNS1_3gpuE3ELNS1_3repE0EEENS1_36merge_oddeven_config_static_selectorELNS0_4arch9wavefront6targetE0EEEvSF_.kd
    .uniform_work_group_size: 1
    .uses_dynamic_stack: false
    .vgpr_count:     0
    .vgpr_spill_count: 0
    .wavefront_size: 32
  - .args:
      - .offset:         0
        .size:           48
        .value_kind:     by_value
    .group_segment_fixed_size: 0
    .kernarg_segment_align: 8
    .kernarg_segment_size: 48
    .language:       OpenCL C
    .language_version:
      - 2
      - 0
    .max_flat_workgroup_size: 256
    .name:           _ZN7rocprim17ROCPRIM_400000_NS6detail17trampoline_kernelINS0_14default_configENS1_38merge_sort_block_merge_config_selectorIsNS0_10empty_typeEEEZZNS1_27merge_sort_block_merge_implIS3_PsPS5_jNS1_19radix_merge_compareILb0ELb0EsNS0_19identity_decomposerEEEEE10hipError_tT0_T1_T2_jT3_P12ihipStream_tbPNSt15iterator_traitsISE_E10value_typeEPNSK_ISF_E10value_typeEPSG_NS1_7vsmem_tEENKUlT_SE_SF_SG_E_clIS8_S8_S9_S9_EESD_ST_SE_SF_SG_EUlST_E1_NS1_11comp_targetILNS1_3genE8ELNS1_11target_archE1030ELNS1_3gpuE2ELNS1_3repE0EEENS1_36merge_oddeven_config_static_selectorELNS0_4arch9wavefront6targetE0EEEvSF_
    .private_segment_fixed_size: 0
    .sgpr_count:     0
    .sgpr_spill_count: 0
    .symbol:         _ZN7rocprim17ROCPRIM_400000_NS6detail17trampoline_kernelINS0_14default_configENS1_38merge_sort_block_merge_config_selectorIsNS0_10empty_typeEEEZZNS1_27merge_sort_block_merge_implIS3_PsPS5_jNS1_19radix_merge_compareILb0ELb0EsNS0_19identity_decomposerEEEEE10hipError_tT0_T1_T2_jT3_P12ihipStream_tbPNSt15iterator_traitsISE_E10value_typeEPNSK_ISF_E10value_typeEPSG_NS1_7vsmem_tEENKUlT_SE_SF_SG_E_clIS8_S8_S9_S9_EESD_ST_SE_SF_SG_EUlST_E1_NS1_11comp_targetILNS1_3genE8ELNS1_11target_archE1030ELNS1_3gpuE2ELNS1_3repE0EEENS1_36merge_oddeven_config_static_selectorELNS0_4arch9wavefront6targetE0EEEvSF_.kd
    .uniform_work_group_size: 1
    .uses_dynamic_stack: false
    .vgpr_count:     0
    .vgpr_spill_count: 0
    .wavefront_size: 32
  - .args:
      - .offset:         0
        .size:           40
        .value_kind:     by_value
    .group_segment_fixed_size: 0
    .kernarg_segment_align: 8
    .kernarg_segment_size: 40
    .language:       OpenCL C
    .language_version:
      - 2
      - 0
    .max_flat_workgroup_size: 128
    .name:           _ZN7rocprim17ROCPRIM_400000_NS6detail17trampoline_kernelINS0_14default_configENS1_38merge_sort_block_merge_config_selectorIsNS0_10empty_typeEEEZZNS1_27merge_sort_block_merge_implIS3_PsPS5_jNS1_19radix_merge_compareILb0ELb1EsNS0_19identity_decomposerEEEEE10hipError_tT0_T1_T2_jT3_P12ihipStream_tbPNSt15iterator_traitsISE_E10value_typeEPNSK_ISF_E10value_typeEPSG_NS1_7vsmem_tEENKUlT_SE_SF_SG_E_clIS8_S8_S9_S9_EESD_ST_SE_SF_SG_EUlST_E_NS1_11comp_targetILNS1_3genE0ELNS1_11target_archE4294967295ELNS1_3gpuE0ELNS1_3repE0EEENS1_48merge_mergepath_partition_config_static_selectorELNS0_4arch9wavefront6targetE0EEEvSF_
    .private_segment_fixed_size: 0
    .sgpr_count:     10
    .sgpr_spill_count: 0
    .symbol:         _ZN7rocprim17ROCPRIM_400000_NS6detail17trampoline_kernelINS0_14default_configENS1_38merge_sort_block_merge_config_selectorIsNS0_10empty_typeEEEZZNS1_27merge_sort_block_merge_implIS3_PsPS5_jNS1_19radix_merge_compareILb0ELb1EsNS0_19identity_decomposerEEEEE10hipError_tT0_T1_T2_jT3_P12ihipStream_tbPNSt15iterator_traitsISE_E10value_typeEPNSK_ISF_E10value_typeEPSG_NS1_7vsmem_tEENKUlT_SE_SF_SG_E_clIS8_S8_S9_S9_EESD_ST_SE_SF_SG_EUlST_E_NS1_11comp_targetILNS1_3genE0ELNS1_11target_archE4294967295ELNS1_3gpuE0ELNS1_3repE0EEENS1_48merge_mergepath_partition_config_static_selectorELNS0_4arch9wavefront6targetE0EEEvSF_.kd
    .uniform_work_group_size: 1
    .uses_dynamic_stack: false
    .vgpr_count:     17
    .vgpr_spill_count: 0
    .wavefront_size: 32
  - .args:
      - .offset:         0
        .size:           40
        .value_kind:     by_value
    .group_segment_fixed_size: 0
    .kernarg_segment_align: 8
    .kernarg_segment_size: 40
    .language:       OpenCL C
    .language_version:
      - 2
      - 0
    .max_flat_workgroup_size: 128
    .name:           _ZN7rocprim17ROCPRIM_400000_NS6detail17trampoline_kernelINS0_14default_configENS1_38merge_sort_block_merge_config_selectorIsNS0_10empty_typeEEEZZNS1_27merge_sort_block_merge_implIS3_PsPS5_jNS1_19radix_merge_compareILb0ELb1EsNS0_19identity_decomposerEEEEE10hipError_tT0_T1_T2_jT3_P12ihipStream_tbPNSt15iterator_traitsISE_E10value_typeEPNSK_ISF_E10value_typeEPSG_NS1_7vsmem_tEENKUlT_SE_SF_SG_E_clIS8_S8_S9_S9_EESD_ST_SE_SF_SG_EUlST_E_NS1_11comp_targetILNS1_3genE10ELNS1_11target_archE1201ELNS1_3gpuE5ELNS1_3repE0EEENS1_48merge_mergepath_partition_config_static_selectorELNS0_4arch9wavefront6targetE0EEEvSF_
    .private_segment_fixed_size: 0
    .sgpr_count:     0
    .sgpr_spill_count: 0
    .symbol:         _ZN7rocprim17ROCPRIM_400000_NS6detail17trampoline_kernelINS0_14default_configENS1_38merge_sort_block_merge_config_selectorIsNS0_10empty_typeEEEZZNS1_27merge_sort_block_merge_implIS3_PsPS5_jNS1_19radix_merge_compareILb0ELb1EsNS0_19identity_decomposerEEEEE10hipError_tT0_T1_T2_jT3_P12ihipStream_tbPNSt15iterator_traitsISE_E10value_typeEPNSK_ISF_E10value_typeEPSG_NS1_7vsmem_tEENKUlT_SE_SF_SG_E_clIS8_S8_S9_S9_EESD_ST_SE_SF_SG_EUlST_E_NS1_11comp_targetILNS1_3genE10ELNS1_11target_archE1201ELNS1_3gpuE5ELNS1_3repE0EEENS1_48merge_mergepath_partition_config_static_selectorELNS0_4arch9wavefront6targetE0EEEvSF_.kd
    .uniform_work_group_size: 1
    .uses_dynamic_stack: false
    .vgpr_count:     0
    .vgpr_spill_count: 0
    .wavefront_size: 32
  - .args:
      - .offset:         0
        .size:           40
        .value_kind:     by_value
    .group_segment_fixed_size: 0
    .kernarg_segment_align: 8
    .kernarg_segment_size: 40
    .language:       OpenCL C
    .language_version:
      - 2
      - 0
    .max_flat_workgroup_size: 128
    .name:           _ZN7rocprim17ROCPRIM_400000_NS6detail17trampoline_kernelINS0_14default_configENS1_38merge_sort_block_merge_config_selectorIsNS0_10empty_typeEEEZZNS1_27merge_sort_block_merge_implIS3_PsPS5_jNS1_19radix_merge_compareILb0ELb1EsNS0_19identity_decomposerEEEEE10hipError_tT0_T1_T2_jT3_P12ihipStream_tbPNSt15iterator_traitsISE_E10value_typeEPNSK_ISF_E10value_typeEPSG_NS1_7vsmem_tEENKUlT_SE_SF_SG_E_clIS8_S8_S9_S9_EESD_ST_SE_SF_SG_EUlST_E_NS1_11comp_targetILNS1_3genE5ELNS1_11target_archE942ELNS1_3gpuE9ELNS1_3repE0EEENS1_48merge_mergepath_partition_config_static_selectorELNS0_4arch9wavefront6targetE0EEEvSF_
    .private_segment_fixed_size: 0
    .sgpr_count:     0
    .sgpr_spill_count: 0
    .symbol:         _ZN7rocprim17ROCPRIM_400000_NS6detail17trampoline_kernelINS0_14default_configENS1_38merge_sort_block_merge_config_selectorIsNS0_10empty_typeEEEZZNS1_27merge_sort_block_merge_implIS3_PsPS5_jNS1_19radix_merge_compareILb0ELb1EsNS0_19identity_decomposerEEEEE10hipError_tT0_T1_T2_jT3_P12ihipStream_tbPNSt15iterator_traitsISE_E10value_typeEPNSK_ISF_E10value_typeEPSG_NS1_7vsmem_tEENKUlT_SE_SF_SG_E_clIS8_S8_S9_S9_EESD_ST_SE_SF_SG_EUlST_E_NS1_11comp_targetILNS1_3genE5ELNS1_11target_archE942ELNS1_3gpuE9ELNS1_3repE0EEENS1_48merge_mergepath_partition_config_static_selectorELNS0_4arch9wavefront6targetE0EEEvSF_.kd
    .uniform_work_group_size: 1
    .uses_dynamic_stack: false
    .vgpr_count:     0
    .vgpr_spill_count: 0
    .wavefront_size: 32
  - .args:
      - .offset:         0
        .size:           40
        .value_kind:     by_value
    .group_segment_fixed_size: 0
    .kernarg_segment_align: 8
    .kernarg_segment_size: 40
    .language:       OpenCL C
    .language_version:
      - 2
      - 0
    .max_flat_workgroup_size: 128
    .name:           _ZN7rocprim17ROCPRIM_400000_NS6detail17trampoline_kernelINS0_14default_configENS1_38merge_sort_block_merge_config_selectorIsNS0_10empty_typeEEEZZNS1_27merge_sort_block_merge_implIS3_PsPS5_jNS1_19radix_merge_compareILb0ELb1EsNS0_19identity_decomposerEEEEE10hipError_tT0_T1_T2_jT3_P12ihipStream_tbPNSt15iterator_traitsISE_E10value_typeEPNSK_ISF_E10value_typeEPSG_NS1_7vsmem_tEENKUlT_SE_SF_SG_E_clIS8_S8_S9_S9_EESD_ST_SE_SF_SG_EUlST_E_NS1_11comp_targetILNS1_3genE4ELNS1_11target_archE910ELNS1_3gpuE8ELNS1_3repE0EEENS1_48merge_mergepath_partition_config_static_selectorELNS0_4arch9wavefront6targetE0EEEvSF_
    .private_segment_fixed_size: 0
    .sgpr_count:     0
    .sgpr_spill_count: 0
    .symbol:         _ZN7rocprim17ROCPRIM_400000_NS6detail17trampoline_kernelINS0_14default_configENS1_38merge_sort_block_merge_config_selectorIsNS0_10empty_typeEEEZZNS1_27merge_sort_block_merge_implIS3_PsPS5_jNS1_19radix_merge_compareILb0ELb1EsNS0_19identity_decomposerEEEEE10hipError_tT0_T1_T2_jT3_P12ihipStream_tbPNSt15iterator_traitsISE_E10value_typeEPNSK_ISF_E10value_typeEPSG_NS1_7vsmem_tEENKUlT_SE_SF_SG_E_clIS8_S8_S9_S9_EESD_ST_SE_SF_SG_EUlST_E_NS1_11comp_targetILNS1_3genE4ELNS1_11target_archE910ELNS1_3gpuE8ELNS1_3repE0EEENS1_48merge_mergepath_partition_config_static_selectorELNS0_4arch9wavefront6targetE0EEEvSF_.kd
    .uniform_work_group_size: 1
    .uses_dynamic_stack: false
    .vgpr_count:     0
    .vgpr_spill_count: 0
    .wavefront_size: 32
  - .args:
      - .offset:         0
        .size:           40
        .value_kind:     by_value
    .group_segment_fixed_size: 0
    .kernarg_segment_align: 8
    .kernarg_segment_size: 40
    .language:       OpenCL C
    .language_version:
      - 2
      - 0
    .max_flat_workgroup_size: 128
    .name:           _ZN7rocprim17ROCPRIM_400000_NS6detail17trampoline_kernelINS0_14default_configENS1_38merge_sort_block_merge_config_selectorIsNS0_10empty_typeEEEZZNS1_27merge_sort_block_merge_implIS3_PsPS5_jNS1_19radix_merge_compareILb0ELb1EsNS0_19identity_decomposerEEEEE10hipError_tT0_T1_T2_jT3_P12ihipStream_tbPNSt15iterator_traitsISE_E10value_typeEPNSK_ISF_E10value_typeEPSG_NS1_7vsmem_tEENKUlT_SE_SF_SG_E_clIS8_S8_S9_S9_EESD_ST_SE_SF_SG_EUlST_E_NS1_11comp_targetILNS1_3genE3ELNS1_11target_archE908ELNS1_3gpuE7ELNS1_3repE0EEENS1_48merge_mergepath_partition_config_static_selectorELNS0_4arch9wavefront6targetE0EEEvSF_
    .private_segment_fixed_size: 0
    .sgpr_count:     0
    .sgpr_spill_count: 0
    .symbol:         _ZN7rocprim17ROCPRIM_400000_NS6detail17trampoline_kernelINS0_14default_configENS1_38merge_sort_block_merge_config_selectorIsNS0_10empty_typeEEEZZNS1_27merge_sort_block_merge_implIS3_PsPS5_jNS1_19radix_merge_compareILb0ELb1EsNS0_19identity_decomposerEEEEE10hipError_tT0_T1_T2_jT3_P12ihipStream_tbPNSt15iterator_traitsISE_E10value_typeEPNSK_ISF_E10value_typeEPSG_NS1_7vsmem_tEENKUlT_SE_SF_SG_E_clIS8_S8_S9_S9_EESD_ST_SE_SF_SG_EUlST_E_NS1_11comp_targetILNS1_3genE3ELNS1_11target_archE908ELNS1_3gpuE7ELNS1_3repE0EEENS1_48merge_mergepath_partition_config_static_selectorELNS0_4arch9wavefront6targetE0EEEvSF_.kd
    .uniform_work_group_size: 1
    .uses_dynamic_stack: false
    .vgpr_count:     0
    .vgpr_spill_count: 0
    .wavefront_size: 32
  - .args:
      - .offset:         0
        .size:           40
        .value_kind:     by_value
    .group_segment_fixed_size: 0
    .kernarg_segment_align: 8
    .kernarg_segment_size: 40
    .language:       OpenCL C
    .language_version:
      - 2
      - 0
    .max_flat_workgroup_size: 128
    .name:           _ZN7rocprim17ROCPRIM_400000_NS6detail17trampoline_kernelINS0_14default_configENS1_38merge_sort_block_merge_config_selectorIsNS0_10empty_typeEEEZZNS1_27merge_sort_block_merge_implIS3_PsPS5_jNS1_19radix_merge_compareILb0ELb1EsNS0_19identity_decomposerEEEEE10hipError_tT0_T1_T2_jT3_P12ihipStream_tbPNSt15iterator_traitsISE_E10value_typeEPNSK_ISF_E10value_typeEPSG_NS1_7vsmem_tEENKUlT_SE_SF_SG_E_clIS8_S8_S9_S9_EESD_ST_SE_SF_SG_EUlST_E_NS1_11comp_targetILNS1_3genE2ELNS1_11target_archE906ELNS1_3gpuE6ELNS1_3repE0EEENS1_48merge_mergepath_partition_config_static_selectorELNS0_4arch9wavefront6targetE0EEEvSF_
    .private_segment_fixed_size: 0
    .sgpr_count:     0
    .sgpr_spill_count: 0
    .symbol:         _ZN7rocprim17ROCPRIM_400000_NS6detail17trampoline_kernelINS0_14default_configENS1_38merge_sort_block_merge_config_selectorIsNS0_10empty_typeEEEZZNS1_27merge_sort_block_merge_implIS3_PsPS5_jNS1_19radix_merge_compareILb0ELb1EsNS0_19identity_decomposerEEEEE10hipError_tT0_T1_T2_jT3_P12ihipStream_tbPNSt15iterator_traitsISE_E10value_typeEPNSK_ISF_E10value_typeEPSG_NS1_7vsmem_tEENKUlT_SE_SF_SG_E_clIS8_S8_S9_S9_EESD_ST_SE_SF_SG_EUlST_E_NS1_11comp_targetILNS1_3genE2ELNS1_11target_archE906ELNS1_3gpuE6ELNS1_3repE0EEENS1_48merge_mergepath_partition_config_static_selectorELNS0_4arch9wavefront6targetE0EEEvSF_.kd
    .uniform_work_group_size: 1
    .uses_dynamic_stack: false
    .vgpr_count:     0
    .vgpr_spill_count: 0
    .wavefront_size: 32
  - .args:
      - .offset:         0
        .size:           40
        .value_kind:     by_value
    .group_segment_fixed_size: 0
    .kernarg_segment_align: 8
    .kernarg_segment_size: 40
    .language:       OpenCL C
    .language_version:
      - 2
      - 0
    .max_flat_workgroup_size: 128
    .name:           _ZN7rocprim17ROCPRIM_400000_NS6detail17trampoline_kernelINS0_14default_configENS1_38merge_sort_block_merge_config_selectorIsNS0_10empty_typeEEEZZNS1_27merge_sort_block_merge_implIS3_PsPS5_jNS1_19radix_merge_compareILb0ELb1EsNS0_19identity_decomposerEEEEE10hipError_tT0_T1_T2_jT3_P12ihipStream_tbPNSt15iterator_traitsISE_E10value_typeEPNSK_ISF_E10value_typeEPSG_NS1_7vsmem_tEENKUlT_SE_SF_SG_E_clIS8_S8_S9_S9_EESD_ST_SE_SF_SG_EUlST_E_NS1_11comp_targetILNS1_3genE9ELNS1_11target_archE1100ELNS1_3gpuE3ELNS1_3repE0EEENS1_48merge_mergepath_partition_config_static_selectorELNS0_4arch9wavefront6targetE0EEEvSF_
    .private_segment_fixed_size: 0
    .sgpr_count:     0
    .sgpr_spill_count: 0
    .symbol:         _ZN7rocprim17ROCPRIM_400000_NS6detail17trampoline_kernelINS0_14default_configENS1_38merge_sort_block_merge_config_selectorIsNS0_10empty_typeEEEZZNS1_27merge_sort_block_merge_implIS3_PsPS5_jNS1_19radix_merge_compareILb0ELb1EsNS0_19identity_decomposerEEEEE10hipError_tT0_T1_T2_jT3_P12ihipStream_tbPNSt15iterator_traitsISE_E10value_typeEPNSK_ISF_E10value_typeEPSG_NS1_7vsmem_tEENKUlT_SE_SF_SG_E_clIS8_S8_S9_S9_EESD_ST_SE_SF_SG_EUlST_E_NS1_11comp_targetILNS1_3genE9ELNS1_11target_archE1100ELNS1_3gpuE3ELNS1_3repE0EEENS1_48merge_mergepath_partition_config_static_selectorELNS0_4arch9wavefront6targetE0EEEvSF_.kd
    .uniform_work_group_size: 1
    .uses_dynamic_stack: false
    .vgpr_count:     0
    .vgpr_spill_count: 0
    .wavefront_size: 32
  - .args:
      - .offset:         0
        .size:           40
        .value_kind:     by_value
    .group_segment_fixed_size: 0
    .kernarg_segment_align: 8
    .kernarg_segment_size: 40
    .language:       OpenCL C
    .language_version:
      - 2
      - 0
    .max_flat_workgroup_size: 128
    .name:           _ZN7rocprim17ROCPRIM_400000_NS6detail17trampoline_kernelINS0_14default_configENS1_38merge_sort_block_merge_config_selectorIsNS0_10empty_typeEEEZZNS1_27merge_sort_block_merge_implIS3_PsPS5_jNS1_19radix_merge_compareILb0ELb1EsNS0_19identity_decomposerEEEEE10hipError_tT0_T1_T2_jT3_P12ihipStream_tbPNSt15iterator_traitsISE_E10value_typeEPNSK_ISF_E10value_typeEPSG_NS1_7vsmem_tEENKUlT_SE_SF_SG_E_clIS8_S8_S9_S9_EESD_ST_SE_SF_SG_EUlST_E_NS1_11comp_targetILNS1_3genE8ELNS1_11target_archE1030ELNS1_3gpuE2ELNS1_3repE0EEENS1_48merge_mergepath_partition_config_static_selectorELNS0_4arch9wavefront6targetE0EEEvSF_
    .private_segment_fixed_size: 0
    .sgpr_count:     0
    .sgpr_spill_count: 0
    .symbol:         _ZN7rocprim17ROCPRIM_400000_NS6detail17trampoline_kernelINS0_14default_configENS1_38merge_sort_block_merge_config_selectorIsNS0_10empty_typeEEEZZNS1_27merge_sort_block_merge_implIS3_PsPS5_jNS1_19radix_merge_compareILb0ELb1EsNS0_19identity_decomposerEEEEE10hipError_tT0_T1_T2_jT3_P12ihipStream_tbPNSt15iterator_traitsISE_E10value_typeEPNSK_ISF_E10value_typeEPSG_NS1_7vsmem_tEENKUlT_SE_SF_SG_E_clIS8_S8_S9_S9_EESD_ST_SE_SF_SG_EUlST_E_NS1_11comp_targetILNS1_3genE8ELNS1_11target_archE1030ELNS1_3gpuE2ELNS1_3repE0EEENS1_48merge_mergepath_partition_config_static_selectorELNS0_4arch9wavefront6targetE0EEEvSF_.kd
    .uniform_work_group_size: 1
    .uses_dynamic_stack: false
    .vgpr_count:     0
    .vgpr_spill_count: 0
    .wavefront_size: 32
  - .args:
      - .offset:         0
        .size:           64
        .value_kind:     by_value
      - .offset:         64
        .size:           4
        .value_kind:     hidden_block_count_x
      - .offset:         68
        .size:           4
        .value_kind:     hidden_block_count_y
      - .offset:         72
        .size:           4
        .value_kind:     hidden_block_count_z
      - .offset:         76
        .size:           2
        .value_kind:     hidden_group_size_x
      - .offset:         78
        .size:           2
        .value_kind:     hidden_group_size_y
      - .offset:         80
        .size:           2
        .value_kind:     hidden_group_size_z
      - .offset:         82
        .size:           2
        .value_kind:     hidden_remainder_x
      - .offset:         84
        .size:           2
        .value_kind:     hidden_remainder_y
      - .offset:         86
        .size:           2
        .value_kind:     hidden_remainder_z
      - .offset:         104
        .size:           8
        .value_kind:     hidden_global_offset_x
      - .offset:         112
        .size:           8
        .value_kind:     hidden_global_offset_y
      - .offset:         120
        .size:           8
        .value_kind:     hidden_global_offset_z
      - .offset:         128
        .size:           2
        .value_kind:     hidden_grid_dims
    .group_segment_fixed_size: 2112
    .kernarg_segment_align: 8
    .kernarg_segment_size: 320
    .language:       OpenCL C
    .language_version:
      - 2
      - 0
    .max_flat_workgroup_size: 128
    .name:           _ZN7rocprim17ROCPRIM_400000_NS6detail17trampoline_kernelINS0_14default_configENS1_38merge_sort_block_merge_config_selectorIsNS0_10empty_typeEEEZZNS1_27merge_sort_block_merge_implIS3_PsPS5_jNS1_19radix_merge_compareILb0ELb1EsNS0_19identity_decomposerEEEEE10hipError_tT0_T1_T2_jT3_P12ihipStream_tbPNSt15iterator_traitsISE_E10value_typeEPNSK_ISF_E10value_typeEPSG_NS1_7vsmem_tEENKUlT_SE_SF_SG_E_clIS8_S8_S9_S9_EESD_ST_SE_SF_SG_EUlST_E0_NS1_11comp_targetILNS1_3genE0ELNS1_11target_archE4294967295ELNS1_3gpuE0ELNS1_3repE0EEENS1_38merge_mergepath_config_static_selectorELNS0_4arch9wavefront6targetE0EEEvSF_
    .private_segment_fixed_size: 0
    .sgpr_count:     25
    .sgpr_spill_count: 0
    .symbol:         _ZN7rocprim17ROCPRIM_400000_NS6detail17trampoline_kernelINS0_14default_configENS1_38merge_sort_block_merge_config_selectorIsNS0_10empty_typeEEEZZNS1_27merge_sort_block_merge_implIS3_PsPS5_jNS1_19radix_merge_compareILb0ELb1EsNS0_19identity_decomposerEEEEE10hipError_tT0_T1_T2_jT3_P12ihipStream_tbPNSt15iterator_traitsISE_E10value_typeEPNSK_ISF_E10value_typeEPSG_NS1_7vsmem_tEENKUlT_SE_SF_SG_E_clIS8_S8_S9_S9_EESD_ST_SE_SF_SG_EUlST_E0_NS1_11comp_targetILNS1_3genE0ELNS1_11target_archE4294967295ELNS1_3gpuE0ELNS1_3repE0EEENS1_38merge_mergepath_config_static_selectorELNS0_4arch9wavefront6targetE0EEEvSF_.kd
    .uniform_work_group_size: 1
    .uses_dynamic_stack: false
    .vgpr_count:     27
    .vgpr_spill_count: 0
    .wavefront_size: 32
  - .args:
      - .offset:         0
        .size:           64
        .value_kind:     by_value
    .group_segment_fixed_size: 0
    .kernarg_segment_align: 8
    .kernarg_segment_size: 64
    .language:       OpenCL C
    .language_version:
      - 2
      - 0
    .max_flat_workgroup_size: 128
    .name:           _ZN7rocprim17ROCPRIM_400000_NS6detail17trampoline_kernelINS0_14default_configENS1_38merge_sort_block_merge_config_selectorIsNS0_10empty_typeEEEZZNS1_27merge_sort_block_merge_implIS3_PsPS5_jNS1_19radix_merge_compareILb0ELb1EsNS0_19identity_decomposerEEEEE10hipError_tT0_T1_T2_jT3_P12ihipStream_tbPNSt15iterator_traitsISE_E10value_typeEPNSK_ISF_E10value_typeEPSG_NS1_7vsmem_tEENKUlT_SE_SF_SG_E_clIS8_S8_S9_S9_EESD_ST_SE_SF_SG_EUlST_E0_NS1_11comp_targetILNS1_3genE10ELNS1_11target_archE1201ELNS1_3gpuE5ELNS1_3repE0EEENS1_38merge_mergepath_config_static_selectorELNS0_4arch9wavefront6targetE0EEEvSF_
    .private_segment_fixed_size: 0
    .sgpr_count:     0
    .sgpr_spill_count: 0
    .symbol:         _ZN7rocprim17ROCPRIM_400000_NS6detail17trampoline_kernelINS0_14default_configENS1_38merge_sort_block_merge_config_selectorIsNS0_10empty_typeEEEZZNS1_27merge_sort_block_merge_implIS3_PsPS5_jNS1_19radix_merge_compareILb0ELb1EsNS0_19identity_decomposerEEEEE10hipError_tT0_T1_T2_jT3_P12ihipStream_tbPNSt15iterator_traitsISE_E10value_typeEPNSK_ISF_E10value_typeEPSG_NS1_7vsmem_tEENKUlT_SE_SF_SG_E_clIS8_S8_S9_S9_EESD_ST_SE_SF_SG_EUlST_E0_NS1_11comp_targetILNS1_3genE10ELNS1_11target_archE1201ELNS1_3gpuE5ELNS1_3repE0EEENS1_38merge_mergepath_config_static_selectorELNS0_4arch9wavefront6targetE0EEEvSF_.kd
    .uniform_work_group_size: 1
    .uses_dynamic_stack: false
    .vgpr_count:     0
    .vgpr_spill_count: 0
    .wavefront_size: 32
  - .args:
      - .offset:         0
        .size:           64
        .value_kind:     by_value
    .group_segment_fixed_size: 0
    .kernarg_segment_align: 8
    .kernarg_segment_size: 64
    .language:       OpenCL C
    .language_version:
      - 2
      - 0
    .max_flat_workgroup_size: 128
    .name:           _ZN7rocprim17ROCPRIM_400000_NS6detail17trampoline_kernelINS0_14default_configENS1_38merge_sort_block_merge_config_selectorIsNS0_10empty_typeEEEZZNS1_27merge_sort_block_merge_implIS3_PsPS5_jNS1_19radix_merge_compareILb0ELb1EsNS0_19identity_decomposerEEEEE10hipError_tT0_T1_T2_jT3_P12ihipStream_tbPNSt15iterator_traitsISE_E10value_typeEPNSK_ISF_E10value_typeEPSG_NS1_7vsmem_tEENKUlT_SE_SF_SG_E_clIS8_S8_S9_S9_EESD_ST_SE_SF_SG_EUlST_E0_NS1_11comp_targetILNS1_3genE5ELNS1_11target_archE942ELNS1_3gpuE9ELNS1_3repE0EEENS1_38merge_mergepath_config_static_selectorELNS0_4arch9wavefront6targetE0EEEvSF_
    .private_segment_fixed_size: 0
    .sgpr_count:     0
    .sgpr_spill_count: 0
    .symbol:         _ZN7rocprim17ROCPRIM_400000_NS6detail17trampoline_kernelINS0_14default_configENS1_38merge_sort_block_merge_config_selectorIsNS0_10empty_typeEEEZZNS1_27merge_sort_block_merge_implIS3_PsPS5_jNS1_19radix_merge_compareILb0ELb1EsNS0_19identity_decomposerEEEEE10hipError_tT0_T1_T2_jT3_P12ihipStream_tbPNSt15iterator_traitsISE_E10value_typeEPNSK_ISF_E10value_typeEPSG_NS1_7vsmem_tEENKUlT_SE_SF_SG_E_clIS8_S8_S9_S9_EESD_ST_SE_SF_SG_EUlST_E0_NS1_11comp_targetILNS1_3genE5ELNS1_11target_archE942ELNS1_3gpuE9ELNS1_3repE0EEENS1_38merge_mergepath_config_static_selectorELNS0_4arch9wavefront6targetE0EEEvSF_.kd
    .uniform_work_group_size: 1
    .uses_dynamic_stack: false
    .vgpr_count:     0
    .vgpr_spill_count: 0
    .wavefront_size: 32
  - .args:
      - .offset:         0
        .size:           64
        .value_kind:     by_value
    .group_segment_fixed_size: 0
    .kernarg_segment_align: 8
    .kernarg_segment_size: 64
    .language:       OpenCL C
    .language_version:
      - 2
      - 0
    .max_flat_workgroup_size: 128
    .name:           _ZN7rocprim17ROCPRIM_400000_NS6detail17trampoline_kernelINS0_14default_configENS1_38merge_sort_block_merge_config_selectorIsNS0_10empty_typeEEEZZNS1_27merge_sort_block_merge_implIS3_PsPS5_jNS1_19radix_merge_compareILb0ELb1EsNS0_19identity_decomposerEEEEE10hipError_tT0_T1_T2_jT3_P12ihipStream_tbPNSt15iterator_traitsISE_E10value_typeEPNSK_ISF_E10value_typeEPSG_NS1_7vsmem_tEENKUlT_SE_SF_SG_E_clIS8_S8_S9_S9_EESD_ST_SE_SF_SG_EUlST_E0_NS1_11comp_targetILNS1_3genE4ELNS1_11target_archE910ELNS1_3gpuE8ELNS1_3repE0EEENS1_38merge_mergepath_config_static_selectorELNS0_4arch9wavefront6targetE0EEEvSF_
    .private_segment_fixed_size: 0
    .sgpr_count:     0
    .sgpr_spill_count: 0
    .symbol:         _ZN7rocprim17ROCPRIM_400000_NS6detail17trampoline_kernelINS0_14default_configENS1_38merge_sort_block_merge_config_selectorIsNS0_10empty_typeEEEZZNS1_27merge_sort_block_merge_implIS3_PsPS5_jNS1_19radix_merge_compareILb0ELb1EsNS0_19identity_decomposerEEEEE10hipError_tT0_T1_T2_jT3_P12ihipStream_tbPNSt15iterator_traitsISE_E10value_typeEPNSK_ISF_E10value_typeEPSG_NS1_7vsmem_tEENKUlT_SE_SF_SG_E_clIS8_S8_S9_S9_EESD_ST_SE_SF_SG_EUlST_E0_NS1_11comp_targetILNS1_3genE4ELNS1_11target_archE910ELNS1_3gpuE8ELNS1_3repE0EEENS1_38merge_mergepath_config_static_selectorELNS0_4arch9wavefront6targetE0EEEvSF_.kd
    .uniform_work_group_size: 1
    .uses_dynamic_stack: false
    .vgpr_count:     0
    .vgpr_spill_count: 0
    .wavefront_size: 32
  - .args:
      - .offset:         0
        .size:           64
        .value_kind:     by_value
    .group_segment_fixed_size: 0
    .kernarg_segment_align: 8
    .kernarg_segment_size: 64
    .language:       OpenCL C
    .language_version:
      - 2
      - 0
    .max_flat_workgroup_size: 128
    .name:           _ZN7rocprim17ROCPRIM_400000_NS6detail17trampoline_kernelINS0_14default_configENS1_38merge_sort_block_merge_config_selectorIsNS0_10empty_typeEEEZZNS1_27merge_sort_block_merge_implIS3_PsPS5_jNS1_19radix_merge_compareILb0ELb1EsNS0_19identity_decomposerEEEEE10hipError_tT0_T1_T2_jT3_P12ihipStream_tbPNSt15iterator_traitsISE_E10value_typeEPNSK_ISF_E10value_typeEPSG_NS1_7vsmem_tEENKUlT_SE_SF_SG_E_clIS8_S8_S9_S9_EESD_ST_SE_SF_SG_EUlST_E0_NS1_11comp_targetILNS1_3genE3ELNS1_11target_archE908ELNS1_3gpuE7ELNS1_3repE0EEENS1_38merge_mergepath_config_static_selectorELNS0_4arch9wavefront6targetE0EEEvSF_
    .private_segment_fixed_size: 0
    .sgpr_count:     0
    .sgpr_spill_count: 0
    .symbol:         _ZN7rocprim17ROCPRIM_400000_NS6detail17trampoline_kernelINS0_14default_configENS1_38merge_sort_block_merge_config_selectorIsNS0_10empty_typeEEEZZNS1_27merge_sort_block_merge_implIS3_PsPS5_jNS1_19radix_merge_compareILb0ELb1EsNS0_19identity_decomposerEEEEE10hipError_tT0_T1_T2_jT3_P12ihipStream_tbPNSt15iterator_traitsISE_E10value_typeEPNSK_ISF_E10value_typeEPSG_NS1_7vsmem_tEENKUlT_SE_SF_SG_E_clIS8_S8_S9_S9_EESD_ST_SE_SF_SG_EUlST_E0_NS1_11comp_targetILNS1_3genE3ELNS1_11target_archE908ELNS1_3gpuE7ELNS1_3repE0EEENS1_38merge_mergepath_config_static_selectorELNS0_4arch9wavefront6targetE0EEEvSF_.kd
    .uniform_work_group_size: 1
    .uses_dynamic_stack: false
    .vgpr_count:     0
    .vgpr_spill_count: 0
    .wavefront_size: 32
  - .args:
      - .offset:         0
        .size:           64
        .value_kind:     by_value
    .group_segment_fixed_size: 0
    .kernarg_segment_align: 8
    .kernarg_segment_size: 64
    .language:       OpenCL C
    .language_version:
      - 2
      - 0
    .max_flat_workgroup_size: 128
    .name:           _ZN7rocprim17ROCPRIM_400000_NS6detail17trampoline_kernelINS0_14default_configENS1_38merge_sort_block_merge_config_selectorIsNS0_10empty_typeEEEZZNS1_27merge_sort_block_merge_implIS3_PsPS5_jNS1_19radix_merge_compareILb0ELb1EsNS0_19identity_decomposerEEEEE10hipError_tT0_T1_T2_jT3_P12ihipStream_tbPNSt15iterator_traitsISE_E10value_typeEPNSK_ISF_E10value_typeEPSG_NS1_7vsmem_tEENKUlT_SE_SF_SG_E_clIS8_S8_S9_S9_EESD_ST_SE_SF_SG_EUlST_E0_NS1_11comp_targetILNS1_3genE2ELNS1_11target_archE906ELNS1_3gpuE6ELNS1_3repE0EEENS1_38merge_mergepath_config_static_selectorELNS0_4arch9wavefront6targetE0EEEvSF_
    .private_segment_fixed_size: 0
    .sgpr_count:     0
    .sgpr_spill_count: 0
    .symbol:         _ZN7rocprim17ROCPRIM_400000_NS6detail17trampoline_kernelINS0_14default_configENS1_38merge_sort_block_merge_config_selectorIsNS0_10empty_typeEEEZZNS1_27merge_sort_block_merge_implIS3_PsPS5_jNS1_19radix_merge_compareILb0ELb1EsNS0_19identity_decomposerEEEEE10hipError_tT0_T1_T2_jT3_P12ihipStream_tbPNSt15iterator_traitsISE_E10value_typeEPNSK_ISF_E10value_typeEPSG_NS1_7vsmem_tEENKUlT_SE_SF_SG_E_clIS8_S8_S9_S9_EESD_ST_SE_SF_SG_EUlST_E0_NS1_11comp_targetILNS1_3genE2ELNS1_11target_archE906ELNS1_3gpuE6ELNS1_3repE0EEENS1_38merge_mergepath_config_static_selectorELNS0_4arch9wavefront6targetE0EEEvSF_.kd
    .uniform_work_group_size: 1
    .uses_dynamic_stack: false
    .vgpr_count:     0
    .vgpr_spill_count: 0
    .wavefront_size: 32
  - .args:
      - .offset:         0
        .size:           64
        .value_kind:     by_value
    .group_segment_fixed_size: 0
    .kernarg_segment_align: 8
    .kernarg_segment_size: 64
    .language:       OpenCL C
    .language_version:
      - 2
      - 0
    .max_flat_workgroup_size: 128
    .name:           _ZN7rocprim17ROCPRIM_400000_NS6detail17trampoline_kernelINS0_14default_configENS1_38merge_sort_block_merge_config_selectorIsNS0_10empty_typeEEEZZNS1_27merge_sort_block_merge_implIS3_PsPS5_jNS1_19radix_merge_compareILb0ELb1EsNS0_19identity_decomposerEEEEE10hipError_tT0_T1_T2_jT3_P12ihipStream_tbPNSt15iterator_traitsISE_E10value_typeEPNSK_ISF_E10value_typeEPSG_NS1_7vsmem_tEENKUlT_SE_SF_SG_E_clIS8_S8_S9_S9_EESD_ST_SE_SF_SG_EUlST_E0_NS1_11comp_targetILNS1_3genE9ELNS1_11target_archE1100ELNS1_3gpuE3ELNS1_3repE0EEENS1_38merge_mergepath_config_static_selectorELNS0_4arch9wavefront6targetE0EEEvSF_
    .private_segment_fixed_size: 0
    .sgpr_count:     0
    .sgpr_spill_count: 0
    .symbol:         _ZN7rocprim17ROCPRIM_400000_NS6detail17trampoline_kernelINS0_14default_configENS1_38merge_sort_block_merge_config_selectorIsNS0_10empty_typeEEEZZNS1_27merge_sort_block_merge_implIS3_PsPS5_jNS1_19radix_merge_compareILb0ELb1EsNS0_19identity_decomposerEEEEE10hipError_tT0_T1_T2_jT3_P12ihipStream_tbPNSt15iterator_traitsISE_E10value_typeEPNSK_ISF_E10value_typeEPSG_NS1_7vsmem_tEENKUlT_SE_SF_SG_E_clIS8_S8_S9_S9_EESD_ST_SE_SF_SG_EUlST_E0_NS1_11comp_targetILNS1_3genE9ELNS1_11target_archE1100ELNS1_3gpuE3ELNS1_3repE0EEENS1_38merge_mergepath_config_static_selectorELNS0_4arch9wavefront6targetE0EEEvSF_.kd
    .uniform_work_group_size: 1
    .uses_dynamic_stack: false
    .vgpr_count:     0
    .vgpr_spill_count: 0
    .wavefront_size: 32
  - .args:
      - .offset:         0
        .size:           64
        .value_kind:     by_value
    .group_segment_fixed_size: 0
    .kernarg_segment_align: 8
    .kernarg_segment_size: 64
    .language:       OpenCL C
    .language_version:
      - 2
      - 0
    .max_flat_workgroup_size: 128
    .name:           _ZN7rocprim17ROCPRIM_400000_NS6detail17trampoline_kernelINS0_14default_configENS1_38merge_sort_block_merge_config_selectorIsNS0_10empty_typeEEEZZNS1_27merge_sort_block_merge_implIS3_PsPS5_jNS1_19radix_merge_compareILb0ELb1EsNS0_19identity_decomposerEEEEE10hipError_tT0_T1_T2_jT3_P12ihipStream_tbPNSt15iterator_traitsISE_E10value_typeEPNSK_ISF_E10value_typeEPSG_NS1_7vsmem_tEENKUlT_SE_SF_SG_E_clIS8_S8_S9_S9_EESD_ST_SE_SF_SG_EUlST_E0_NS1_11comp_targetILNS1_3genE8ELNS1_11target_archE1030ELNS1_3gpuE2ELNS1_3repE0EEENS1_38merge_mergepath_config_static_selectorELNS0_4arch9wavefront6targetE0EEEvSF_
    .private_segment_fixed_size: 0
    .sgpr_count:     0
    .sgpr_spill_count: 0
    .symbol:         _ZN7rocprim17ROCPRIM_400000_NS6detail17trampoline_kernelINS0_14default_configENS1_38merge_sort_block_merge_config_selectorIsNS0_10empty_typeEEEZZNS1_27merge_sort_block_merge_implIS3_PsPS5_jNS1_19radix_merge_compareILb0ELb1EsNS0_19identity_decomposerEEEEE10hipError_tT0_T1_T2_jT3_P12ihipStream_tbPNSt15iterator_traitsISE_E10value_typeEPNSK_ISF_E10value_typeEPSG_NS1_7vsmem_tEENKUlT_SE_SF_SG_E_clIS8_S8_S9_S9_EESD_ST_SE_SF_SG_EUlST_E0_NS1_11comp_targetILNS1_3genE8ELNS1_11target_archE1030ELNS1_3gpuE2ELNS1_3repE0EEENS1_38merge_mergepath_config_static_selectorELNS0_4arch9wavefront6targetE0EEEvSF_.kd
    .uniform_work_group_size: 1
    .uses_dynamic_stack: false
    .vgpr_count:     0
    .vgpr_spill_count: 0
    .wavefront_size: 32
  - .args:
      - .offset:         0
        .size:           48
        .value_kind:     by_value
    .group_segment_fixed_size: 0
    .kernarg_segment_align: 8
    .kernarg_segment_size: 48
    .language:       OpenCL C
    .language_version:
      - 2
      - 0
    .max_flat_workgroup_size: 256
    .name:           _ZN7rocprim17ROCPRIM_400000_NS6detail17trampoline_kernelINS0_14default_configENS1_38merge_sort_block_merge_config_selectorIsNS0_10empty_typeEEEZZNS1_27merge_sort_block_merge_implIS3_PsPS5_jNS1_19radix_merge_compareILb0ELb1EsNS0_19identity_decomposerEEEEE10hipError_tT0_T1_T2_jT3_P12ihipStream_tbPNSt15iterator_traitsISE_E10value_typeEPNSK_ISF_E10value_typeEPSG_NS1_7vsmem_tEENKUlT_SE_SF_SG_E_clIS8_S8_S9_S9_EESD_ST_SE_SF_SG_EUlST_E1_NS1_11comp_targetILNS1_3genE0ELNS1_11target_archE4294967295ELNS1_3gpuE0ELNS1_3repE0EEENS1_36merge_oddeven_config_static_selectorELNS0_4arch9wavefront6targetE0EEEvSF_
    .private_segment_fixed_size: 0
    .sgpr_count:     20
    .sgpr_spill_count: 0
    .symbol:         _ZN7rocprim17ROCPRIM_400000_NS6detail17trampoline_kernelINS0_14default_configENS1_38merge_sort_block_merge_config_selectorIsNS0_10empty_typeEEEZZNS1_27merge_sort_block_merge_implIS3_PsPS5_jNS1_19radix_merge_compareILb0ELb1EsNS0_19identity_decomposerEEEEE10hipError_tT0_T1_T2_jT3_P12ihipStream_tbPNSt15iterator_traitsISE_E10value_typeEPNSK_ISF_E10value_typeEPSG_NS1_7vsmem_tEENKUlT_SE_SF_SG_E_clIS8_S8_S9_S9_EESD_ST_SE_SF_SG_EUlST_E1_NS1_11comp_targetILNS1_3genE0ELNS1_11target_archE4294967295ELNS1_3gpuE0ELNS1_3repE0EEENS1_36merge_oddeven_config_static_selectorELNS0_4arch9wavefront6targetE0EEEvSF_.kd
    .uniform_work_group_size: 1
    .uses_dynamic_stack: false
    .vgpr_count:     8
    .vgpr_spill_count: 0
    .wavefront_size: 32
  - .args:
      - .offset:         0
        .size:           48
        .value_kind:     by_value
    .group_segment_fixed_size: 0
    .kernarg_segment_align: 8
    .kernarg_segment_size: 48
    .language:       OpenCL C
    .language_version:
      - 2
      - 0
    .max_flat_workgroup_size: 256
    .name:           _ZN7rocprim17ROCPRIM_400000_NS6detail17trampoline_kernelINS0_14default_configENS1_38merge_sort_block_merge_config_selectorIsNS0_10empty_typeEEEZZNS1_27merge_sort_block_merge_implIS3_PsPS5_jNS1_19radix_merge_compareILb0ELb1EsNS0_19identity_decomposerEEEEE10hipError_tT0_T1_T2_jT3_P12ihipStream_tbPNSt15iterator_traitsISE_E10value_typeEPNSK_ISF_E10value_typeEPSG_NS1_7vsmem_tEENKUlT_SE_SF_SG_E_clIS8_S8_S9_S9_EESD_ST_SE_SF_SG_EUlST_E1_NS1_11comp_targetILNS1_3genE10ELNS1_11target_archE1201ELNS1_3gpuE5ELNS1_3repE0EEENS1_36merge_oddeven_config_static_selectorELNS0_4arch9wavefront6targetE0EEEvSF_
    .private_segment_fixed_size: 0
    .sgpr_count:     0
    .sgpr_spill_count: 0
    .symbol:         _ZN7rocprim17ROCPRIM_400000_NS6detail17trampoline_kernelINS0_14default_configENS1_38merge_sort_block_merge_config_selectorIsNS0_10empty_typeEEEZZNS1_27merge_sort_block_merge_implIS3_PsPS5_jNS1_19radix_merge_compareILb0ELb1EsNS0_19identity_decomposerEEEEE10hipError_tT0_T1_T2_jT3_P12ihipStream_tbPNSt15iterator_traitsISE_E10value_typeEPNSK_ISF_E10value_typeEPSG_NS1_7vsmem_tEENKUlT_SE_SF_SG_E_clIS8_S8_S9_S9_EESD_ST_SE_SF_SG_EUlST_E1_NS1_11comp_targetILNS1_3genE10ELNS1_11target_archE1201ELNS1_3gpuE5ELNS1_3repE0EEENS1_36merge_oddeven_config_static_selectorELNS0_4arch9wavefront6targetE0EEEvSF_.kd
    .uniform_work_group_size: 1
    .uses_dynamic_stack: false
    .vgpr_count:     0
    .vgpr_spill_count: 0
    .wavefront_size: 32
  - .args:
      - .offset:         0
        .size:           48
        .value_kind:     by_value
    .group_segment_fixed_size: 0
    .kernarg_segment_align: 8
    .kernarg_segment_size: 48
    .language:       OpenCL C
    .language_version:
      - 2
      - 0
    .max_flat_workgroup_size: 256
    .name:           _ZN7rocprim17ROCPRIM_400000_NS6detail17trampoline_kernelINS0_14default_configENS1_38merge_sort_block_merge_config_selectorIsNS0_10empty_typeEEEZZNS1_27merge_sort_block_merge_implIS3_PsPS5_jNS1_19radix_merge_compareILb0ELb1EsNS0_19identity_decomposerEEEEE10hipError_tT0_T1_T2_jT3_P12ihipStream_tbPNSt15iterator_traitsISE_E10value_typeEPNSK_ISF_E10value_typeEPSG_NS1_7vsmem_tEENKUlT_SE_SF_SG_E_clIS8_S8_S9_S9_EESD_ST_SE_SF_SG_EUlST_E1_NS1_11comp_targetILNS1_3genE5ELNS1_11target_archE942ELNS1_3gpuE9ELNS1_3repE0EEENS1_36merge_oddeven_config_static_selectorELNS0_4arch9wavefront6targetE0EEEvSF_
    .private_segment_fixed_size: 0
    .sgpr_count:     0
    .sgpr_spill_count: 0
    .symbol:         _ZN7rocprim17ROCPRIM_400000_NS6detail17trampoline_kernelINS0_14default_configENS1_38merge_sort_block_merge_config_selectorIsNS0_10empty_typeEEEZZNS1_27merge_sort_block_merge_implIS3_PsPS5_jNS1_19radix_merge_compareILb0ELb1EsNS0_19identity_decomposerEEEEE10hipError_tT0_T1_T2_jT3_P12ihipStream_tbPNSt15iterator_traitsISE_E10value_typeEPNSK_ISF_E10value_typeEPSG_NS1_7vsmem_tEENKUlT_SE_SF_SG_E_clIS8_S8_S9_S9_EESD_ST_SE_SF_SG_EUlST_E1_NS1_11comp_targetILNS1_3genE5ELNS1_11target_archE942ELNS1_3gpuE9ELNS1_3repE0EEENS1_36merge_oddeven_config_static_selectorELNS0_4arch9wavefront6targetE0EEEvSF_.kd
    .uniform_work_group_size: 1
    .uses_dynamic_stack: false
    .vgpr_count:     0
    .vgpr_spill_count: 0
    .wavefront_size: 32
  - .args:
      - .offset:         0
        .size:           48
        .value_kind:     by_value
    .group_segment_fixed_size: 0
    .kernarg_segment_align: 8
    .kernarg_segment_size: 48
    .language:       OpenCL C
    .language_version:
      - 2
      - 0
    .max_flat_workgroup_size: 256
    .name:           _ZN7rocprim17ROCPRIM_400000_NS6detail17trampoline_kernelINS0_14default_configENS1_38merge_sort_block_merge_config_selectorIsNS0_10empty_typeEEEZZNS1_27merge_sort_block_merge_implIS3_PsPS5_jNS1_19radix_merge_compareILb0ELb1EsNS0_19identity_decomposerEEEEE10hipError_tT0_T1_T2_jT3_P12ihipStream_tbPNSt15iterator_traitsISE_E10value_typeEPNSK_ISF_E10value_typeEPSG_NS1_7vsmem_tEENKUlT_SE_SF_SG_E_clIS8_S8_S9_S9_EESD_ST_SE_SF_SG_EUlST_E1_NS1_11comp_targetILNS1_3genE4ELNS1_11target_archE910ELNS1_3gpuE8ELNS1_3repE0EEENS1_36merge_oddeven_config_static_selectorELNS0_4arch9wavefront6targetE0EEEvSF_
    .private_segment_fixed_size: 0
    .sgpr_count:     0
    .sgpr_spill_count: 0
    .symbol:         _ZN7rocprim17ROCPRIM_400000_NS6detail17trampoline_kernelINS0_14default_configENS1_38merge_sort_block_merge_config_selectorIsNS0_10empty_typeEEEZZNS1_27merge_sort_block_merge_implIS3_PsPS5_jNS1_19radix_merge_compareILb0ELb1EsNS0_19identity_decomposerEEEEE10hipError_tT0_T1_T2_jT3_P12ihipStream_tbPNSt15iterator_traitsISE_E10value_typeEPNSK_ISF_E10value_typeEPSG_NS1_7vsmem_tEENKUlT_SE_SF_SG_E_clIS8_S8_S9_S9_EESD_ST_SE_SF_SG_EUlST_E1_NS1_11comp_targetILNS1_3genE4ELNS1_11target_archE910ELNS1_3gpuE8ELNS1_3repE0EEENS1_36merge_oddeven_config_static_selectorELNS0_4arch9wavefront6targetE0EEEvSF_.kd
    .uniform_work_group_size: 1
    .uses_dynamic_stack: false
    .vgpr_count:     0
    .vgpr_spill_count: 0
    .wavefront_size: 32
  - .args:
      - .offset:         0
        .size:           48
        .value_kind:     by_value
    .group_segment_fixed_size: 0
    .kernarg_segment_align: 8
    .kernarg_segment_size: 48
    .language:       OpenCL C
    .language_version:
      - 2
      - 0
    .max_flat_workgroup_size: 256
    .name:           _ZN7rocprim17ROCPRIM_400000_NS6detail17trampoline_kernelINS0_14default_configENS1_38merge_sort_block_merge_config_selectorIsNS0_10empty_typeEEEZZNS1_27merge_sort_block_merge_implIS3_PsPS5_jNS1_19radix_merge_compareILb0ELb1EsNS0_19identity_decomposerEEEEE10hipError_tT0_T1_T2_jT3_P12ihipStream_tbPNSt15iterator_traitsISE_E10value_typeEPNSK_ISF_E10value_typeEPSG_NS1_7vsmem_tEENKUlT_SE_SF_SG_E_clIS8_S8_S9_S9_EESD_ST_SE_SF_SG_EUlST_E1_NS1_11comp_targetILNS1_3genE3ELNS1_11target_archE908ELNS1_3gpuE7ELNS1_3repE0EEENS1_36merge_oddeven_config_static_selectorELNS0_4arch9wavefront6targetE0EEEvSF_
    .private_segment_fixed_size: 0
    .sgpr_count:     0
    .sgpr_spill_count: 0
    .symbol:         _ZN7rocprim17ROCPRIM_400000_NS6detail17trampoline_kernelINS0_14default_configENS1_38merge_sort_block_merge_config_selectorIsNS0_10empty_typeEEEZZNS1_27merge_sort_block_merge_implIS3_PsPS5_jNS1_19radix_merge_compareILb0ELb1EsNS0_19identity_decomposerEEEEE10hipError_tT0_T1_T2_jT3_P12ihipStream_tbPNSt15iterator_traitsISE_E10value_typeEPNSK_ISF_E10value_typeEPSG_NS1_7vsmem_tEENKUlT_SE_SF_SG_E_clIS8_S8_S9_S9_EESD_ST_SE_SF_SG_EUlST_E1_NS1_11comp_targetILNS1_3genE3ELNS1_11target_archE908ELNS1_3gpuE7ELNS1_3repE0EEENS1_36merge_oddeven_config_static_selectorELNS0_4arch9wavefront6targetE0EEEvSF_.kd
    .uniform_work_group_size: 1
    .uses_dynamic_stack: false
    .vgpr_count:     0
    .vgpr_spill_count: 0
    .wavefront_size: 32
  - .args:
      - .offset:         0
        .size:           48
        .value_kind:     by_value
    .group_segment_fixed_size: 0
    .kernarg_segment_align: 8
    .kernarg_segment_size: 48
    .language:       OpenCL C
    .language_version:
      - 2
      - 0
    .max_flat_workgroup_size: 256
    .name:           _ZN7rocprim17ROCPRIM_400000_NS6detail17trampoline_kernelINS0_14default_configENS1_38merge_sort_block_merge_config_selectorIsNS0_10empty_typeEEEZZNS1_27merge_sort_block_merge_implIS3_PsPS5_jNS1_19radix_merge_compareILb0ELb1EsNS0_19identity_decomposerEEEEE10hipError_tT0_T1_T2_jT3_P12ihipStream_tbPNSt15iterator_traitsISE_E10value_typeEPNSK_ISF_E10value_typeEPSG_NS1_7vsmem_tEENKUlT_SE_SF_SG_E_clIS8_S8_S9_S9_EESD_ST_SE_SF_SG_EUlST_E1_NS1_11comp_targetILNS1_3genE2ELNS1_11target_archE906ELNS1_3gpuE6ELNS1_3repE0EEENS1_36merge_oddeven_config_static_selectorELNS0_4arch9wavefront6targetE0EEEvSF_
    .private_segment_fixed_size: 0
    .sgpr_count:     0
    .sgpr_spill_count: 0
    .symbol:         _ZN7rocprim17ROCPRIM_400000_NS6detail17trampoline_kernelINS0_14default_configENS1_38merge_sort_block_merge_config_selectorIsNS0_10empty_typeEEEZZNS1_27merge_sort_block_merge_implIS3_PsPS5_jNS1_19radix_merge_compareILb0ELb1EsNS0_19identity_decomposerEEEEE10hipError_tT0_T1_T2_jT3_P12ihipStream_tbPNSt15iterator_traitsISE_E10value_typeEPNSK_ISF_E10value_typeEPSG_NS1_7vsmem_tEENKUlT_SE_SF_SG_E_clIS8_S8_S9_S9_EESD_ST_SE_SF_SG_EUlST_E1_NS1_11comp_targetILNS1_3genE2ELNS1_11target_archE906ELNS1_3gpuE6ELNS1_3repE0EEENS1_36merge_oddeven_config_static_selectorELNS0_4arch9wavefront6targetE0EEEvSF_.kd
    .uniform_work_group_size: 1
    .uses_dynamic_stack: false
    .vgpr_count:     0
    .vgpr_spill_count: 0
    .wavefront_size: 32
  - .args:
      - .offset:         0
        .size:           48
        .value_kind:     by_value
    .group_segment_fixed_size: 0
    .kernarg_segment_align: 8
    .kernarg_segment_size: 48
    .language:       OpenCL C
    .language_version:
      - 2
      - 0
    .max_flat_workgroup_size: 256
    .name:           _ZN7rocprim17ROCPRIM_400000_NS6detail17trampoline_kernelINS0_14default_configENS1_38merge_sort_block_merge_config_selectorIsNS0_10empty_typeEEEZZNS1_27merge_sort_block_merge_implIS3_PsPS5_jNS1_19radix_merge_compareILb0ELb1EsNS0_19identity_decomposerEEEEE10hipError_tT0_T1_T2_jT3_P12ihipStream_tbPNSt15iterator_traitsISE_E10value_typeEPNSK_ISF_E10value_typeEPSG_NS1_7vsmem_tEENKUlT_SE_SF_SG_E_clIS8_S8_S9_S9_EESD_ST_SE_SF_SG_EUlST_E1_NS1_11comp_targetILNS1_3genE9ELNS1_11target_archE1100ELNS1_3gpuE3ELNS1_3repE0EEENS1_36merge_oddeven_config_static_selectorELNS0_4arch9wavefront6targetE0EEEvSF_
    .private_segment_fixed_size: 0
    .sgpr_count:     0
    .sgpr_spill_count: 0
    .symbol:         _ZN7rocprim17ROCPRIM_400000_NS6detail17trampoline_kernelINS0_14default_configENS1_38merge_sort_block_merge_config_selectorIsNS0_10empty_typeEEEZZNS1_27merge_sort_block_merge_implIS3_PsPS5_jNS1_19radix_merge_compareILb0ELb1EsNS0_19identity_decomposerEEEEE10hipError_tT0_T1_T2_jT3_P12ihipStream_tbPNSt15iterator_traitsISE_E10value_typeEPNSK_ISF_E10value_typeEPSG_NS1_7vsmem_tEENKUlT_SE_SF_SG_E_clIS8_S8_S9_S9_EESD_ST_SE_SF_SG_EUlST_E1_NS1_11comp_targetILNS1_3genE9ELNS1_11target_archE1100ELNS1_3gpuE3ELNS1_3repE0EEENS1_36merge_oddeven_config_static_selectorELNS0_4arch9wavefront6targetE0EEEvSF_.kd
    .uniform_work_group_size: 1
    .uses_dynamic_stack: false
    .vgpr_count:     0
    .vgpr_spill_count: 0
    .wavefront_size: 32
  - .args:
      - .offset:         0
        .size:           48
        .value_kind:     by_value
    .group_segment_fixed_size: 0
    .kernarg_segment_align: 8
    .kernarg_segment_size: 48
    .language:       OpenCL C
    .language_version:
      - 2
      - 0
    .max_flat_workgroup_size: 256
    .name:           _ZN7rocprim17ROCPRIM_400000_NS6detail17trampoline_kernelINS0_14default_configENS1_38merge_sort_block_merge_config_selectorIsNS0_10empty_typeEEEZZNS1_27merge_sort_block_merge_implIS3_PsPS5_jNS1_19radix_merge_compareILb0ELb1EsNS0_19identity_decomposerEEEEE10hipError_tT0_T1_T2_jT3_P12ihipStream_tbPNSt15iterator_traitsISE_E10value_typeEPNSK_ISF_E10value_typeEPSG_NS1_7vsmem_tEENKUlT_SE_SF_SG_E_clIS8_S8_S9_S9_EESD_ST_SE_SF_SG_EUlST_E1_NS1_11comp_targetILNS1_3genE8ELNS1_11target_archE1030ELNS1_3gpuE2ELNS1_3repE0EEENS1_36merge_oddeven_config_static_selectorELNS0_4arch9wavefront6targetE0EEEvSF_
    .private_segment_fixed_size: 0
    .sgpr_count:     0
    .sgpr_spill_count: 0
    .symbol:         _ZN7rocprim17ROCPRIM_400000_NS6detail17trampoline_kernelINS0_14default_configENS1_38merge_sort_block_merge_config_selectorIsNS0_10empty_typeEEEZZNS1_27merge_sort_block_merge_implIS3_PsPS5_jNS1_19radix_merge_compareILb0ELb1EsNS0_19identity_decomposerEEEEE10hipError_tT0_T1_T2_jT3_P12ihipStream_tbPNSt15iterator_traitsISE_E10value_typeEPNSK_ISF_E10value_typeEPSG_NS1_7vsmem_tEENKUlT_SE_SF_SG_E_clIS8_S8_S9_S9_EESD_ST_SE_SF_SG_EUlST_E1_NS1_11comp_targetILNS1_3genE8ELNS1_11target_archE1030ELNS1_3gpuE2ELNS1_3repE0EEENS1_36merge_oddeven_config_static_selectorELNS0_4arch9wavefront6targetE0EEEvSF_.kd
    .uniform_work_group_size: 1
    .uses_dynamic_stack: false
    .vgpr_count:     0
    .vgpr_spill_count: 0
    .wavefront_size: 32
  - .args:
      - .offset:         0
        .size:           48
        .value_kind:     by_value
    .group_segment_fixed_size: 8192
    .kernarg_segment_align: 8
    .kernarg_segment_size: 48
    .language:       OpenCL C
    .language_version:
      - 2
      - 0
    .max_flat_workgroup_size: 512
    .name:           _ZN7rocprim17ROCPRIM_400000_NS6detail17trampoline_kernelINS0_14default_configENS1_35radix_sort_onesweep_config_selectorIsNS0_10empty_typeEEEZNS1_34radix_sort_onesweep_global_offsetsIS3_Lb0EPKsPS5_mNS0_19identity_decomposerEEE10hipError_tT1_T2_PT3_SF_jT4_jjP12ihipStream_tbEUlT_E_NS1_11comp_targetILNS1_3genE0ELNS1_11target_archE4294967295ELNS1_3gpuE0ELNS1_3repE0EEENS1_52radix_sort_onesweep_histogram_config_static_selectorELNS0_4arch9wavefront6targetE0EEEvSD_
    .private_segment_fixed_size: 0
    .sgpr_count:     15
    .sgpr_spill_count: 0
    .symbol:         _ZN7rocprim17ROCPRIM_400000_NS6detail17trampoline_kernelINS0_14default_configENS1_35radix_sort_onesweep_config_selectorIsNS0_10empty_typeEEEZNS1_34radix_sort_onesweep_global_offsetsIS3_Lb0EPKsPS5_mNS0_19identity_decomposerEEE10hipError_tT1_T2_PT3_SF_jT4_jjP12ihipStream_tbEUlT_E_NS1_11comp_targetILNS1_3genE0ELNS1_11target_archE4294967295ELNS1_3gpuE0ELNS1_3repE0EEENS1_52radix_sort_onesweep_histogram_config_static_selectorELNS0_4arch9wavefront6targetE0EEEvSD_.kd
    .uniform_work_group_size: 1
    .uses_dynamic_stack: false
    .vgpr_count:     23
    .vgpr_spill_count: 0
    .wavefront_size: 32
  - .args:
      - .offset:         0
        .size:           48
        .value_kind:     by_value
    .group_segment_fixed_size: 0
    .kernarg_segment_align: 8
    .kernarg_segment_size: 48
    .language:       OpenCL C
    .language_version:
      - 2
      - 0
    .max_flat_workgroup_size: 1024
    .name:           _ZN7rocprim17ROCPRIM_400000_NS6detail17trampoline_kernelINS0_14default_configENS1_35radix_sort_onesweep_config_selectorIsNS0_10empty_typeEEEZNS1_34radix_sort_onesweep_global_offsetsIS3_Lb0EPKsPS5_mNS0_19identity_decomposerEEE10hipError_tT1_T2_PT3_SF_jT4_jjP12ihipStream_tbEUlT_E_NS1_11comp_targetILNS1_3genE6ELNS1_11target_archE950ELNS1_3gpuE13ELNS1_3repE0EEENS1_52radix_sort_onesweep_histogram_config_static_selectorELNS0_4arch9wavefront6targetE0EEEvSD_
    .private_segment_fixed_size: 0
    .sgpr_count:     0
    .sgpr_spill_count: 0
    .symbol:         _ZN7rocprim17ROCPRIM_400000_NS6detail17trampoline_kernelINS0_14default_configENS1_35radix_sort_onesweep_config_selectorIsNS0_10empty_typeEEEZNS1_34radix_sort_onesweep_global_offsetsIS3_Lb0EPKsPS5_mNS0_19identity_decomposerEEE10hipError_tT1_T2_PT3_SF_jT4_jjP12ihipStream_tbEUlT_E_NS1_11comp_targetILNS1_3genE6ELNS1_11target_archE950ELNS1_3gpuE13ELNS1_3repE0EEENS1_52radix_sort_onesweep_histogram_config_static_selectorELNS0_4arch9wavefront6targetE0EEEvSD_.kd
    .uniform_work_group_size: 1
    .uses_dynamic_stack: false
    .vgpr_count:     0
    .vgpr_spill_count: 0
    .wavefront_size: 32
  - .args:
      - .offset:         0
        .size:           48
        .value_kind:     by_value
    .group_segment_fixed_size: 0
    .kernarg_segment_align: 8
    .kernarg_segment_size: 48
    .language:       OpenCL C
    .language_version:
      - 2
      - 0
    .max_flat_workgroup_size: 1024
    .name:           _ZN7rocprim17ROCPRIM_400000_NS6detail17trampoline_kernelINS0_14default_configENS1_35radix_sort_onesweep_config_selectorIsNS0_10empty_typeEEEZNS1_34radix_sort_onesweep_global_offsetsIS3_Lb0EPKsPS5_mNS0_19identity_decomposerEEE10hipError_tT1_T2_PT3_SF_jT4_jjP12ihipStream_tbEUlT_E_NS1_11comp_targetILNS1_3genE5ELNS1_11target_archE942ELNS1_3gpuE9ELNS1_3repE0EEENS1_52radix_sort_onesweep_histogram_config_static_selectorELNS0_4arch9wavefront6targetE0EEEvSD_
    .private_segment_fixed_size: 0
    .sgpr_count:     0
    .sgpr_spill_count: 0
    .symbol:         _ZN7rocprim17ROCPRIM_400000_NS6detail17trampoline_kernelINS0_14default_configENS1_35radix_sort_onesweep_config_selectorIsNS0_10empty_typeEEEZNS1_34radix_sort_onesweep_global_offsetsIS3_Lb0EPKsPS5_mNS0_19identity_decomposerEEE10hipError_tT1_T2_PT3_SF_jT4_jjP12ihipStream_tbEUlT_E_NS1_11comp_targetILNS1_3genE5ELNS1_11target_archE942ELNS1_3gpuE9ELNS1_3repE0EEENS1_52radix_sort_onesweep_histogram_config_static_selectorELNS0_4arch9wavefront6targetE0EEEvSD_.kd
    .uniform_work_group_size: 1
    .uses_dynamic_stack: false
    .vgpr_count:     0
    .vgpr_spill_count: 0
    .wavefront_size: 32
  - .args:
      - .offset:         0
        .size:           48
        .value_kind:     by_value
    .group_segment_fixed_size: 0
    .kernarg_segment_align: 8
    .kernarg_segment_size: 48
    .language:       OpenCL C
    .language_version:
      - 2
      - 0
    .max_flat_workgroup_size: 512
    .name:           _ZN7rocprim17ROCPRIM_400000_NS6detail17trampoline_kernelINS0_14default_configENS1_35radix_sort_onesweep_config_selectorIsNS0_10empty_typeEEEZNS1_34radix_sort_onesweep_global_offsetsIS3_Lb0EPKsPS5_mNS0_19identity_decomposerEEE10hipError_tT1_T2_PT3_SF_jT4_jjP12ihipStream_tbEUlT_E_NS1_11comp_targetILNS1_3genE2ELNS1_11target_archE906ELNS1_3gpuE6ELNS1_3repE0EEENS1_52radix_sort_onesweep_histogram_config_static_selectorELNS0_4arch9wavefront6targetE0EEEvSD_
    .private_segment_fixed_size: 0
    .sgpr_count:     0
    .sgpr_spill_count: 0
    .symbol:         _ZN7rocprim17ROCPRIM_400000_NS6detail17trampoline_kernelINS0_14default_configENS1_35radix_sort_onesweep_config_selectorIsNS0_10empty_typeEEEZNS1_34radix_sort_onesweep_global_offsetsIS3_Lb0EPKsPS5_mNS0_19identity_decomposerEEE10hipError_tT1_T2_PT3_SF_jT4_jjP12ihipStream_tbEUlT_E_NS1_11comp_targetILNS1_3genE2ELNS1_11target_archE906ELNS1_3gpuE6ELNS1_3repE0EEENS1_52radix_sort_onesweep_histogram_config_static_selectorELNS0_4arch9wavefront6targetE0EEEvSD_.kd
    .uniform_work_group_size: 1
    .uses_dynamic_stack: false
    .vgpr_count:     0
    .vgpr_spill_count: 0
    .wavefront_size: 32
  - .args:
      - .offset:         0
        .size:           48
        .value_kind:     by_value
    .group_segment_fixed_size: 0
    .kernarg_segment_align: 8
    .kernarg_segment_size: 48
    .language:       OpenCL C
    .language_version:
      - 2
      - 0
    .max_flat_workgroup_size: 1024
    .name:           _ZN7rocprim17ROCPRIM_400000_NS6detail17trampoline_kernelINS0_14default_configENS1_35radix_sort_onesweep_config_selectorIsNS0_10empty_typeEEEZNS1_34radix_sort_onesweep_global_offsetsIS3_Lb0EPKsPS5_mNS0_19identity_decomposerEEE10hipError_tT1_T2_PT3_SF_jT4_jjP12ihipStream_tbEUlT_E_NS1_11comp_targetILNS1_3genE4ELNS1_11target_archE910ELNS1_3gpuE8ELNS1_3repE0EEENS1_52radix_sort_onesweep_histogram_config_static_selectorELNS0_4arch9wavefront6targetE0EEEvSD_
    .private_segment_fixed_size: 0
    .sgpr_count:     0
    .sgpr_spill_count: 0
    .symbol:         _ZN7rocprim17ROCPRIM_400000_NS6detail17trampoline_kernelINS0_14default_configENS1_35radix_sort_onesweep_config_selectorIsNS0_10empty_typeEEEZNS1_34radix_sort_onesweep_global_offsetsIS3_Lb0EPKsPS5_mNS0_19identity_decomposerEEE10hipError_tT1_T2_PT3_SF_jT4_jjP12ihipStream_tbEUlT_E_NS1_11comp_targetILNS1_3genE4ELNS1_11target_archE910ELNS1_3gpuE8ELNS1_3repE0EEENS1_52radix_sort_onesweep_histogram_config_static_selectorELNS0_4arch9wavefront6targetE0EEEvSD_.kd
    .uniform_work_group_size: 1
    .uses_dynamic_stack: false
    .vgpr_count:     0
    .vgpr_spill_count: 0
    .wavefront_size: 32
  - .args:
      - .offset:         0
        .size:           48
        .value_kind:     by_value
    .group_segment_fixed_size: 0
    .kernarg_segment_align: 8
    .kernarg_segment_size: 48
    .language:       OpenCL C
    .language_version:
      - 2
      - 0
    .max_flat_workgroup_size: 512
    .name:           _ZN7rocprim17ROCPRIM_400000_NS6detail17trampoline_kernelINS0_14default_configENS1_35radix_sort_onesweep_config_selectorIsNS0_10empty_typeEEEZNS1_34radix_sort_onesweep_global_offsetsIS3_Lb0EPKsPS5_mNS0_19identity_decomposerEEE10hipError_tT1_T2_PT3_SF_jT4_jjP12ihipStream_tbEUlT_E_NS1_11comp_targetILNS1_3genE3ELNS1_11target_archE908ELNS1_3gpuE7ELNS1_3repE0EEENS1_52radix_sort_onesweep_histogram_config_static_selectorELNS0_4arch9wavefront6targetE0EEEvSD_
    .private_segment_fixed_size: 0
    .sgpr_count:     0
    .sgpr_spill_count: 0
    .symbol:         _ZN7rocprim17ROCPRIM_400000_NS6detail17trampoline_kernelINS0_14default_configENS1_35radix_sort_onesweep_config_selectorIsNS0_10empty_typeEEEZNS1_34radix_sort_onesweep_global_offsetsIS3_Lb0EPKsPS5_mNS0_19identity_decomposerEEE10hipError_tT1_T2_PT3_SF_jT4_jjP12ihipStream_tbEUlT_E_NS1_11comp_targetILNS1_3genE3ELNS1_11target_archE908ELNS1_3gpuE7ELNS1_3repE0EEENS1_52radix_sort_onesweep_histogram_config_static_selectorELNS0_4arch9wavefront6targetE0EEEvSD_.kd
    .uniform_work_group_size: 1
    .uses_dynamic_stack: false
    .vgpr_count:     0
    .vgpr_spill_count: 0
    .wavefront_size: 32
  - .args:
      - .offset:         0
        .size:           48
        .value_kind:     by_value
    .group_segment_fixed_size: 0
    .kernarg_segment_align: 8
    .kernarg_segment_size: 48
    .language:       OpenCL C
    .language_version:
      - 2
      - 0
    .max_flat_workgroup_size: 256
    .name:           _ZN7rocprim17ROCPRIM_400000_NS6detail17trampoline_kernelINS0_14default_configENS1_35radix_sort_onesweep_config_selectorIsNS0_10empty_typeEEEZNS1_34radix_sort_onesweep_global_offsetsIS3_Lb0EPKsPS5_mNS0_19identity_decomposerEEE10hipError_tT1_T2_PT3_SF_jT4_jjP12ihipStream_tbEUlT_E_NS1_11comp_targetILNS1_3genE10ELNS1_11target_archE1201ELNS1_3gpuE5ELNS1_3repE0EEENS1_52radix_sort_onesweep_histogram_config_static_selectorELNS0_4arch9wavefront6targetE0EEEvSD_
    .private_segment_fixed_size: 0
    .sgpr_count:     0
    .sgpr_spill_count: 0
    .symbol:         _ZN7rocprim17ROCPRIM_400000_NS6detail17trampoline_kernelINS0_14default_configENS1_35radix_sort_onesweep_config_selectorIsNS0_10empty_typeEEEZNS1_34radix_sort_onesweep_global_offsetsIS3_Lb0EPKsPS5_mNS0_19identity_decomposerEEE10hipError_tT1_T2_PT3_SF_jT4_jjP12ihipStream_tbEUlT_E_NS1_11comp_targetILNS1_3genE10ELNS1_11target_archE1201ELNS1_3gpuE5ELNS1_3repE0EEENS1_52radix_sort_onesweep_histogram_config_static_selectorELNS0_4arch9wavefront6targetE0EEEvSD_.kd
    .uniform_work_group_size: 1
    .uses_dynamic_stack: false
    .vgpr_count:     0
    .vgpr_spill_count: 0
    .wavefront_size: 32
  - .args:
      - .offset:         0
        .size:           48
        .value_kind:     by_value
    .group_segment_fixed_size: 0
    .kernarg_segment_align: 8
    .kernarg_segment_size: 48
    .language:       OpenCL C
    .language_version:
      - 2
      - 0
    .max_flat_workgroup_size: 256
    .name:           _ZN7rocprim17ROCPRIM_400000_NS6detail17trampoline_kernelINS0_14default_configENS1_35radix_sort_onesweep_config_selectorIsNS0_10empty_typeEEEZNS1_34radix_sort_onesweep_global_offsetsIS3_Lb0EPKsPS5_mNS0_19identity_decomposerEEE10hipError_tT1_T2_PT3_SF_jT4_jjP12ihipStream_tbEUlT_E_NS1_11comp_targetILNS1_3genE9ELNS1_11target_archE1100ELNS1_3gpuE3ELNS1_3repE0EEENS1_52radix_sort_onesweep_histogram_config_static_selectorELNS0_4arch9wavefront6targetE0EEEvSD_
    .private_segment_fixed_size: 0
    .sgpr_count:     0
    .sgpr_spill_count: 0
    .symbol:         _ZN7rocprim17ROCPRIM_400000_NS6detail17trampoline_kernelINS0_14default_configENS1_35radix_sort_onesweep_config_selectorIsNS0_10empty_typeEEEZNS1_34radix_sort_onesweep_global_offsetsIS3_Lb0EPKsPS5_mNS0_19identity_decomposerEEE10hipError_tT1_T2_PT3_SF_jT4_jjP12ihipStream_tbEUlT_E_NS1_11comp_targetILNS1_3genE9ELNS1_11target_archE1100ELNS1_3gpuE3ELNS1_3repE0EEENS1_52radix_sort_onesweep_histogram_config_static_selectorELNS0_4arch9wavefront6targetE0EEEvSD_.kd
    .uniform_work_group_size: 1
    .uses_dynamic_stack: false
    .vgpr_count:     0
    .vgpr_spill_count: 0
    .wavefront_size: 32
  - .args:
      - .offset:         0
        .size:           48
        .value_kind:     by_value
    .group_segment_fixed_size: 0
    .kernarg_segment_align: 8
    .kernarg_segment_size: 48
    .language:       OpenCL C
    .language_version:
      - 2
      - 0
    .max_flat_workgroup_size: 256
    .name:           _ZN7rocprim17ROCPRIM_400000_NS6detail17trampoline_kernelINS0_14default_configENS1_35radix_sort_onesweep_config_selectorIsNS0_10empty_typeEEEZNS1_34radix_sort_onesweep_global_offsetsIS3_Lb0EPKsPS5_mNS0_19identity_decomposerEEE10hipError_tT1_T2_PT3_SF_jT4_jjP12ihipStream_tbEUlT_E_NS1_11comp_targetILNS1_3genE8ELNS1_11target_archE1030ELNS1_3gpuE2ELNS1_3repE0EEENS1_52radix_sort_onesweep_histogram_config_static_selectorELNS0_4arch9wavefront6targetE0EEEvSD_
    .private_segment_fixed_size: 0
    .sgpr_count:     0
    .sgpr_spill_count: 0
    .symbol:         _ZN7rocprim17ROCPRIM_400000_NS6detail17trampoline_kernelINS0_14default_configENS1_35radix_sort_onesweep_config_selectorIsNS0_10empty_typeEEEZNS1_34radix_sort_onesweep_global_offsetsIS3_Lb0EPKsPS5_mNS0_19identity_decomposerEEE10hipError_tT1_T2_PT3_SF_jT4_jjP12ihipStream_tbEUlT_E_NS1_11comp_targetILNS1_3genE8ELNS1_11target_archE1030ELNS1_3gpuE2ELNS1_3repE0EEENS1_52radix_sort_onesweep_histogram_config_static_selectorELNS0_4arch9wavefront6targetE0EEEvSD_.kd
    .uniform_work_group_size: 1
    .uses_dynamic_stack: false
    .vgpr_count:     0
    .vgpr_spill_count: 0
    .wavefront_size: 32
  - .args:
      - .address_space:  global
        .offset:         0
        .size:           8
        .value_kind:     global_buffer
    .group_segment_fixed_size: 128
    .kernarg_segment_align: 8
    .kernarg_segment_size: 8
    .language:       OpenCL C
    .language_version:
      - 2
      - 0
    .max_flat_workgroup_size: 512
    .name:           _ZN7rocprim17ROCPRIM_400000_NS6detail17trampoline_kernelINS0_14default_configENS1_35radix_sort_onesweep_config_selectorIsNS0_10empty_typeEEEZNS1_34radix_sort_onesweep_global_offsetsIS3_Lb0EPKsPS5_mNS0_19identity_decomposerEEE10hipError_tT1_T2_PT3_SF_jT4_jjP12ihipStream_tbEUlT_E0_NS1_11comp_targetILNS1_3genE0ELNS1_11target_archE4294967295ELNS1_3gpuE0ELNS1_3repE0EEENS1_52radix_sort_onesweep_histogram_config_static_selectorELNS0_4arch9wavefront6targetE0EEEvSD_
    .private_segment_fixed_size: 0
    .sgpr_count:     10
    .sgpr_spill_count: 0
    .symbol:         _ZN7rocprim17ROCPRIM_400000_NS6detail17trampoline_kernelINS0_14default_configENS1_35radix_sort_onesweep_config_selectorIsNS0_10empty_typeEEEZNS1_34radix_sort_onesweep_global_offsetsIS3_Lb0EPKsPS5_mNS0_19identity_decomposerEEE10hipError_tT1_T2_PT3_SF_jT4_jjP12ihipStream_tbEUlT_E0_NS1_11comp_targetILNS1_3genE0ELNS1_11target_archE4294967295ELNS1_3gpuE0ELNS1_3repE0EEENS1_52radix_sort_onesweep_histogram_config_static_selectorELNS0_4arch9wavefront6targetE0EEEvSD_.kd
    .uniform_work_group_size: 1
    .uses_dynamic_stack: false
    .vgpr_count:     14
    .vgpr_spill_count: 0
    .wavefront_size: 32
  - .args:
      - .address_space:  global
        .offset:         0
        .size:           8
        .value_kind:     global_buffer
    .group_segment_fixed_size: 0
    .kernarg_segment_align: 8
    .kernarg_segment_size: 8
    .language:       OpenCL C
    .language_version:
      - 2
      - 0
    .max_flat_workgroup_size: 1024
    .name:           _ZN7rocprim17ROCPRIM_400000_NS6detail17trampoline_kernelINS0_14default_configENS1_35radix_sort_onesweep_config_selectorIsNS0_10empty_typeEEEZNS1_34radix_sort_onesweep_global_offsetsIS3_Lb0EPKsPS5_mNS0_19identity_decomposerEEE10hipError_tT1_T2_PT3_SF_jT4_jjP12ihipStream_tbEUlT_E0_NS1_11comp_targetILNS1_3genE6ELNS1_11target_archE950ELNS1_3gpuE13ELNS1_3repE0EEENS1_52radix_sort_onesweep_histogram_config_static_selectorELNS0_4arch9wavefront6targetE0EEEvSD_
    .private_segment_fixed_size: 0
    .sgpr_count:     0
    .sgpr_spill_count: 0
    .symbol:         _ZN7rocprim17ROCPRIM_400000_NS6detail17trampoline_kernelINS0_14default_configENS1_35radix_sort_onesweep_config_selectorIsNS0_10empty_typeEEEZNS1_34radix_sort_onesweep_global_offsetsIS3_Lb0EPKsPS5_mNS0_19identity_decomposerEEE10hipError_tT1_T2_PT3_SF_jT4_jjP12ihipStream_tbEUlT_E0_NS1_11comp_targetILNS1_3genE6ELNS1_11target_archE950ELNS1_3gpuE13ELNS1_3repE0EEENS1_52radix_sort_onesweep_histogram_config_static_selectorELNS0_4arch9wavefront6targetE0EEEvSD_.kd
    .uniform_work_group_size: 1
    .uses_dynamic_stack: false
    .vgpr_count:     0
    .vgpr_spill_count: 0
    .wavefront_size: 32
  - .args:
      - .address_space:  global
        .offset:         0
        .size:           8
        .value_kind:     global_buffer
    .group_segment_fixed_size: 0
    .kernarg_segment_align: 8
    .kernarg_segment_size: 8
    .language:       OpenCL C
    .language_version:
      - 2
      - 0
    .max_flat_workgroup_size: 1024
    .name:           _ZN7rocprim17ROCPRIM_400000_NS6detail17trampoline_kernelINS0_14default_configENS1_35radix_sort_onesweep_config_selectorIsNS0_10empty_typeEEEZNS1_34radix_sort_onesweep_global_offsetsIS3_Lb0EPKsPS5_mNS0_19identity_decomposerEEE10hipError_tT1_T2_PT3_SF_jT4_jjP12ihipStream_tbEUlT_E0_NS1_11comp_targetILNS1_3genE5ELNS1_11target_archE942ELNS1_3gpuE9ELNS1_3repE0EEENS1_52radix_sort_onesweep_histogram_config_static_selectorELNS0_4arch9wavefront6targetE0EEEvSD_
    .private_segment_fixed_size: 0
    .sgpr_count:     0
    .sgpr_spill_count: 0
    .symbol:         _ZN7rocprim17ROCPRIM_400000_NS6detail17trampoline_kernelINS0_14default_configENS1_35radix_sort_onesweep_config_selectorIsNS0_10empty_typeEEEZNS1_34radix_sort_onesweep_global_offsetsIS3_Lb0EPKsPS5_mNS0_19identity_decomposerEEE10hipError_tT1_T2_PT3_SF_jT4_jjP12ihipStream_tbEUlT_E0_NS1_11comp_targetILNS1_3genE5ELNS1_11target_archE942ELNS1_3gpuE9ELNS1_3repE0EEENS1_52radix_sort_onesweep_histogram_config_static_selectorELNS0_4arch9wavefront6targetE0EEEvSD_.kd
    .uniform_work_group_size: 1
    .uses_dynamic_stack: false
    .vgpr_count:     0
    .vgpr_spill_count: 0
    .wavefront_size: 32
  - .args:
      - .address_space:  global
        .offset:         0
        .size:           8
        .value_kind:     global_buffer
    .group_segment_fixed_size: 0
    .kernarg_segment_align: 8
    .kernarg_segment_size: 8
    .language:       OpenCL C
    .language_version:
      - 2
      - 0
    .max_flat_workgroup_size: 512
    .name:           _ZN7rocprim17ROCPRIM_400000_NS6detail17trampoline_kernelINS0_14default_configENS1_35radix_sort_onesweep_config_selectorIsNS0_10empty_typeEEEZNS1_34radix_sort_onesweep_global_offsetsIS3_Lb0EPKsPS5_mNS0_19identity_decomposerEEE10hipError_tT1_T2_PT3_SF_jT4_jjP12ihipStream_tbEUlT_E0_NS1_11comp_targetILNS1_3genE2ELNS1_11target_archE906ELNS1_3gpuE6ELNS1_3repE0EEENS1_52radix_sort_onesweep_histogram_config_static_selectorELNS0_4arch9wavefront6targetE0EEEvSD_
    .private_segment_fixed_size: 0
    .sgpr_count:     0
    .sgpr_spill_count: 0
    .symbol:         _ZN7rocprim17ROCPRIM_400000_NS6detail17trampoline_kernelINS0_14default_configENS1_35radix_sort_onesweep_config_selectorIsNS0_10empty_typeEEEZNS1_34radix_sort_onesweep_global_offsetsIS3_Lb0EPKsPS5_mNS0_19identity_decomposerEEE10hipError_tT1_T2_PT3_SF_jT4_jjP12ihipStream_tbEUlT_E0_NS1_11comp_targetILNS1_3genE2ELNS1_11target_archE906ELNS1_3gpuE6ELNS1_3repE0EEENS1_52radix_sort_onesweep_histogram_config_static_selectorELNS0_4arch9wavefront6targetE0EEEvSD_.kd
    .uniform_work_group_size: 1
    .uses_dynamic_stack: false
    .vgpr_count:     0
    .vgpr_spill_count: 0
    .wavefront_size: 32
  - .args:
      - .address_space:  global
        .offset:         0
        .size:           8
        .value_kind:     global_buffer
    .group_segment_fixed_size: 0
    .kernarg_segment_align: 8
    .kernarg_segment_size: 8
    .language:       OpenCL C
    .language_version:
      - 2
      - 0
    .max_flat_workgroup_size: 1024
    .name:           _ZN7rocprim17ROCPRIM_400000_NS6detail17trampoline_kernelINS0_14default_configENS1_35radix_sort_onesweep_config_selectorIsNS0_10empty_typeEEEZNS1_34radix_sort_onesweep_global_offsetsIS3_Lb0EPKsPS5_mNS0_19identity_decomposerEEE10hipError_tT1_T2_PT3_SF_jT4_jjP12ihipStream_tbEUlT_E0_NS1_11comp_targetILNS1_3genE4ELNS1_11target_archE910ELNS1_3gpuE8ELNS1_3repE0EEENS1_52radix_sort_onesweep_histogram_config_static_selectorELNS0_4arch9wavefront6targetE0EEEvSD_
    .private_segment_fixed_size: 0
    .sgpr_count:     0
    .sgpr_spill_count: 0
    .symbol:         _ZN7rocprim17ROCPRIM_400000_NS6detail17trampoline_kernelINS0_14default_configENS1_35radix_sort_onesweep_config_selectorIsNS0_10empty_typeEEEZNS1_34radix_sort_onesweep_global_offsetsIS3_Lb0EPKsPS5_mNS0_19identity_decomposerEEE10hipError_tT1_T2_PT3_SF_jT4_jjP12ihipStream_tbEUlT_E0_NS1_11comp_targetILNS1_3genE4ELNS1_11target_archE910ELNS1_3gpuE8ELNS1_3repE0EEENS1_52radix_sort_onesweep_histogram_config_static_selectorELNS0_4arch9wavefront6targetE0EEEvSD_.kd
    .uniform_work_group_size: 1
    .uses_dynamic_stack: false
    .vgpr_count:     0
    .vgpr_spill_count: 0
    .wavefront_size: 32
  - .args:
      - .address_space:  global
        .offset:         0
        .size:           8
        .value_kind:     global_buffer
    .group_segment_fixed_size: 0
    .kernarg_segment_align: 8
    .kernarg_segment_size: 8
    .language:       OpenCL C
    .language_version:
      - 2
      - 0
    .max_flat_workgroup_size: 512
    .name:           _ZN7rocprim17ROCPRIM_400000_NS6detail17trampoline_kernelINS0_14default_configENS1_35radix_sort_onesweep_config_selectorIsNS0_10empty_typeEEEZNS1_34radix_sort_onesweep_global_offsetsIS3_Lb0EPKsPS5_mNS0_19identity_decomposerEEE10hipError_tT1_T2_PT3_SF_jT4_jjP12ihipStream_tbEUlT_E0_NS1_11comp_targetILNS1_3genE3ELNS1_11target_archE908ELNS1_3gpuE7ELNS1_3repE0EEENS1_52radix_sort_onesweep_histogram_config_static_selectorELNS0_4arch9wavefront6targetE0EEEvSD_
    .private_segment_fixed_size: 0
    .sgpr_count:     0
    .sgpr_spill_count: 0
    .symbol:         _ZN7rocprim17ROCPRIM_400000_NS6detail17trampoline_kernelINS0_14default_configENS1_35radix_sort_onesweep_config_selectorIsNS0_10empty_typeEEEZNS1_34radix_sort_onesweep_global_offsetsIS3_Lb0EPKsPS5_mNS0_19identity_decomposerEEE10hipError_tT1_T2_PT3_SF_jT4_jjP12ihipStream_tbEUlT_E0_NS1_11comp_targetILNS1_3genE3ELNS1_11target_archE908ELNS1_3gpuE7ELNS1_3repE0EEENS1_52radix_sort_onesweep_histogram_config_static_selectorELNS0_4arch9wavefront6targetE0EEEvSD_.kd
    .uniform_work_group_size: 1
    .uses_dynamic_stack: false
    .vgpr_count:     0
    .vgpr_spill_count: 0
    .wavefront_size: 32
  - .args:
      - .address_space:  global
        .offset:         0
        .size:           8
        .value_kind:     global_buffer
    .group_segment_fixed_size: 0
    .kernarg_segment_align: 8
    .kernarg_segment_size: 8
    .language:       OpenCL C
    .language_version:
      - 2
      - 0
    .max_flat_workgroup_size: 256
    .name:           _ZN7rocprim17ROCPRIM_400000_NS6detail17trampoline_kernelINS0_14default_configENS1_35radix_sort_onesweep_config_selectorIsNS0_10empty_typeEEEZNS1_34radix_sort_onesweep_global_offsetsIS3_Lb0EPKsPS5_mNS0_19identity_decomposerEEE10hipError_tT1_T2_PT3_SF_jT4_jjP12ihipStream_tbEUlT_E0_NS1_11comp_targetILNS1_3genE10ELNS1_11target_archE1201ELNS1_3gpuE5ELNS1_3repE0EEENS1_52radix_sort_onesweep_histogram_config_static_selectorELNS0_4arch9wavefront6targetE0EEEvSD_
    .private_segment_fixed_size: 0
    .sgpr_count:     0
    .sgpr_spill_count: 0
    .symbol:         _ZN7rocprim17ROCPRIM_400000_NS6detail17trampoline_kernelINS0_14default_configENS1_35radix_sort_onesweep_config_selectorIsNS0_10empty_typeEEEZNS1_34radix_sort_onesweep_global_offsetsIS3_Lb0EPKsPS5_mNS0_19identity_decomposerEEE10hipError_tT1_T2_PT3_SF_jT4_jjP12ihipStream_tbEUlT_E0_NS1_11comp_targetILNS1_3genE10ELNS1_11target_archE1201ELNS1_3gpuE5ELNS1_3repE0EEENS1_52radix_sort_onesweep_histogram_config_static_selectorELNS0_4arch9wavefront6targetE0EEEvSD_.kd
    .uniform_work_group_size: 1
    .uses_dynamic_stack: false
    .vgpr_count:     0
    .vgpr_spill_count: 0
    .wavefront_size: 32
  - .args:
      - .address_space:  global
        .offset:         0
        .size:           8
        .value_kind:     global_buffer
    .group_segment_fixed_size: 0
    .kernarg_segment_align: 8
    .kernarg_segment_size: 8
    .language:       OpenCL C
    .language_version:
      - 2
      - 0
    .max_flat_workgroup_size: 256
    .name:           _ZN7rocprim17ROCPRIM_400000_NS6detail17trampoline_kernelINS0_14default_configENS1_35radix_sort_onesweep_config_selectorIsNS0_10empty_typeEEEZNS1_34radix_sort_onesweep_global_offsetsIS3_Lb0EPKsPS5_mNS0_19identity_decomposerEEE10hipError_tT1_T2_PT3_SF_jT4_jjP12ihipStream_tbEUlT_E0_NS1_11comp_targetILNS1_3genE9ELNS1_11target_archE1100ELNS1_3gpuE3ELNS1_3repE0EEENS1_52radix_sort_onesweep_histogram_config_static_selectorELNS0_4arch9wavefront6targetE0EEEvSD_
    .private_segment_fixed_size: 0
    .sgpr_count:     0
    .sgpr_spill_count: 0
    .symbol:         _ZN7rocprim17ROCPRIM_400000_NS6detail17trampoline_kernelINS0_14default_configENS1_35radix_sort_onesweep_config_selectorIsNS0_10empty_typeEEEZNS1_34radix_sort_onesweep_global_offsetsIS3_Lb0EPKsPS5_mNS0_19identity_decomposerEEE10hipError_tT1_T2_PT3_SF_jT4_jjP12ihipStream_tbEUlT_E0_NS1_11comp_targetILNS1_3genE9ELNS1_11target_archE1100ELNS1_3gpuE3ELNS1_3repE0EEENS1_52radix_sort_onesweep_histogram_config_static_selectorELNS0_4arch9wavefront6targetE0EEEvSD_.kd
    .uniform_work_group_size: 1
    .uses_dynamic_stack: false
    .vgpr_count:     0
    .vgpr_spill_count: 0
    .wavefront_size: 32
  - .args:
      - .address_space:  global
        .offset:         0
        .size:           8
        .value_kind:     global_buffer
    .group_segment_fixed_size: 0
    .kernarg_segment_align: 8
    .kernarg_segment_size: 8
    .language:       OpenCL C
    .language_version:
      - 2
      - 0
    .max_flat_workgroup_size: 256
    .name:           _ZN7rocprim17ROCPRIM_400000_NS6detail17trampoline_kernelINS0_14default_configENS1_35radix_sort_onesweep_config_selectorIsNS0_10empty_typeEEEZNS1_34radix_sort_onesweep_global_offsetsIS3_Lb0EPKsPS5_mNS0_19identity_decomposerEEE10hipError_tT1_T2_PT3_SF_jT4_jjP12ihipStream_tbEUlT_E0_NS1_11comp_targetILNS1_3genE8ELNS1_11target_archE1030ELNS1_3gpuE2ELNS1_3repE0EEENS1_52radix_sort_onesweep_histogram_config_static_selectorELNS0_4arch9wavefront6targetE0EEEvSD_
    .private_segment_fixed_size: 0
    .sgpr_count:     0
    .sgpr_spill_count: 0
    .symbol:         _ZN7rocprim17ROCPRIM_400000_NS6detail17trampoline_kernelINS0_14default_configENS1_35radix_sort_onesweep_config_selectorIsNS0_10empty_typeEEEZNS1_34radix_sort_onesweep_global_offsetsIS3_Lb0EPKsPS5_mNS0_19identity_decomposerEEE10hipError_tT1_T2_PT3_SF_jT4_jjP12ihipStream_tbEUlT_E0_NS1_11comp_targetILNS1_3genE8ELNS1_11target_archE1030ELNS1_3gpuE2ELNS1_3repE0EEENS1_52radix_sort_onesweep_histogram_config_static_selectorELNS0_4arch9wavefront6targetE0EEEvSD_.kd
    .uniform_work_group_size: 1
    .uses_dynamic_stack: false
    .vgpr_count:     0
    .vgpr_spill_count: 0
    .wavefront_size: 32
  - .args:
      - .offset:         0
        .size:           88
        .value_kind:     by_value
      - .offset:         88
        .size:           4
        .value_kind:     hidden_block_count_x
      - .offset:         92
        .size:           4
        .value_kind:     hidden_block_count_y
      - .offset:         96
        .size:           4
        .value_kind:     hidden_block_count_z
      - .offset:         100
        .size:           2
        .value_kind:     hidden_group_size_x
      - .offset:         102
        .size:           2
        .value_kind:     hidden_group_size_y
      - .offset:         104
        .size:           2
        .value_kind:     hidden_group_size_z
      - .offset:         106
        .size:           2
        .value_kind:     hidden_remainder_x
      - .offset:         108
        .size:           2
        .value_kind:     hidden_remainder_y
      - .offset:         110
        .size:           2
        .value_kind:     hidden_remainder_z
      - .offset:         128
        .size:           8
        .value_kind:     hidden_global_offset_x
      - .offset:         136
        .size:           8
        .value_kind:     hidden_global_offset_y
      - .offset:         144
        .size:           8
        .value_kind:     hidden_global_offset_z
      - .offset:         152
        .size:           2
        .value_kind:     hidden_grid_dims
    .group_segment_fixed_size: 18504
    .kernarg_segment_align: 8
    .kernarg_segment_size: 344
    .language:       OpenCL C
    .language_version:
      - 2
      - 0
    .max_flat_workgroup_size: 512
    .name:           _ZN7rocprim17ROCPRIM_400000_NS6detail17trampoline_kernelINS0_14default_configENS1_35radix_sort_onesweep_config_selectorIsNS0_10empty_typeEEEZZNS1_29radix_sort_onesweep_iterationIS3_Lb0EPKsPsPS5_SB_mNS0_19identity_decomposerENS1_16block_id_wrapperIjLb1EEEEE10hipError_tT1_PNSt15iterator_traitsISG_E10value_typeET2_T3_PNSH_ISM_E10value_typeET4_T5_PSR_SS_PNS1_23onesweep_lookback_stateEbbT6_jjT7_P12ihipStream_tbENKUlT_T0_SG_SL_E_clIS9_SA_SB_SB_EEDaSZ_S10_SG_SL_EUlSZ_E_NS1_11comp_targetILNS1_3genE0ELNS1_11target_archE4294967295ELNS1_3gpuE0ELNS1_3repE0EEENS1_47radix_sort_onesweep_sort_config_static_selectorELNS0_4arch9wavefront6targetE0EEEvSG_
    .private_segment_fixed_size: 0
    .sgpr_count:     32
    .sgpr_spill_count: 0
    .symbol:         _ZN7rocprim17ROCPRIM_400000_NS6detail17trampoline_kernelINS0_14default_configENS1_35radix_sort_onesweep_config_selectorIsNS0_10empty_typeEEEZZNS1_29radix_sort_onesweep_iterationIS3_Lb0EPKsPsPS5_SB_mNS0_19identity_decomposerENS1_16block_id_wrapperIjLb1EEEEE10hipError_tT1_PNSt15iterator_traitsISG_E10value_typeET2_T3_PNSH_ISM_E10value_typeET4_T5_PSR_SS_PNS1_23onesweep_lookback_stateEbbT6_jjT7_P12ihipStream_tbENKUlT_T0_SG_SL_E_clIS9_SA_SB_SB_EEDaSZ_S10_SG_SL_EUlSZ_E_NS1_11comp_targetILNS1_3genE0ELNS1_11target_archE4294967295ELNS1_3gpuE0ELNS1_3repE0EEENS1_47radix_sort_onesweep_sort_config_static_selectorELNS0_4arch9wavefront6targetE0EEEvSG_.kd
    .uniform_work_group_size: 1
    .uses_dynamic_stack: false
    .vgpr_count:     65
    .vgpr_spill_count: 0
    .wavefront_size: 32
  - .args:
      - .offset:         0
        .size:           88
        .value_kind:     by_value
    .group_segment_fixed_size: 0
    .kernarg_segment_align: 8
    .kernarg_segment_size: 88
    .language:       OpenCL C
    .language_version:
      - 2
      - 0
    .max_flat_workgroup_size: 1024
    .name:           _ZN7rocprim17ROCPRIM_400000_NS6detail17trampoline_kernelINS0_14default_configENS1_35radix_sort_onesweep_config_selectorIsNS0_10empty_typeEEEZZNS1_29radix_sort_onesweep_iterationIS3_Lb0EPKsPsPS5_SB_mNS0_19identity_decomposerENS1_16block_id_wrapperIjLb1EEEEE10hipError_tT1_PNSt15iterator_traitsISG_E10value_typeET2_T3_PNSH_ISM_E10value_typeET4_T5_PSR_SS_PNS1_23onesweep_lookback_stateEbbT6_jjT7_P12ihipStream_tbENKUlT_T0_SG_SL_E_clIS9_SA_SB_SB_EEDaSZ_S10_SG_SL_EUlSZ_E_NS1_11comp_targetILNS1_3genE6ELNS1_11target_archE950ELNS1_3gpuE13ELNS1_3repE0EEENS1_47radix_sort_onesweep_sort_config_static_selectorELNS0_4arch9wavefront6targetE0EEEvSG_
    .private_segment_fixed_size: 0
    .sgpr_count:     0
    .sgpr_spill_count: 0
    .symbol:         _ZN7rocprim17ROCPRIM_400000_NS6detail17trampoline_kernelINS0_14default_configENS1_35radix_sort_onesweep_config_selectorIsNS0_10empty_typeEEEZZNS1_29radix_sort_onesweep_iterationIS3_Lb0EPKsPsPS5_SB_mNS0_19identity_decomposerENS1_16block_id_wrapperIjLb1EEEEE10hipError_tT1_PNSt15iterator_traitsISG_E10value_typeET2_T3_PNSH_ISM_E10value_typeET4_T5_PSR_SS_PNS1_23onesweep_lookback_stateEbbT6_jjT7_P12ihipStream_tbENKUlT_T0_SG_SL_E_clIS9_SA_SB_SB_EEDaSZ_S10_SG_SL_EUlSZ_E_NS1_11comp_targetILNS1_3genE6ELNS1_11target_archE950ELNS1_3gpuE13ELNS1_3repE0EEENS1_47radix_sort_onesweep_sort_config_static_selectorELNS0_4arch9wavefront6targetE0EEEvSG_.kd
    .uniform_work_group_size: 1
    .uses_dynamic_stack: false
    .vgpr_count:     0
    .vgpr_spill_count: 0
    .wavefront_size: 32
  - .args:
      - .offset:         0
        .size:           88
        .value_kind:     by_value
    .group_segment_fixed_size: 0
    .kernarg_segment_align: 8
    .kernarg_segment_size: 88
    .language:       OpenCL C
    .language_version:
      - 2
      - 0
    .max_flat_workgroup_size: 1024
    .name:           _ZN7rocprim17ROCPRIM_400000_NS6detail17trampoline_kernelINS0_14default_configENS1_35radix_sort_onesweep_config_selectorIsNS0_10empty_typeEEEZZNS1_29radix_sort_onesweep_iterationIS3_Lb0EPKsPsPS5_SB_mNS0_19identity_decomposerENS1_16block_id_wrapperIjLb1EEEEE10hipError_tT1_PNSt15iterator_traitsISG_E10value_typeET2_T3_PNSH_ISM_E10value_typeET4_T5_PSR_SS_PNS1_23onesweep_lookback_stateEbbT6_jjT7_P12ihipStream_tbENKUlT_T0_SG_SL_E_clIS9_SA_SB_SB_EEDaSZ_S10_SG_SL_EUlSZ_E_NS1_11comp_targetILNS1_3genE5ELNS1_11target_archE942ELNS1_3gpuE9ELNS1_3repE0EEENS1_47radix_sort_onesweep_sort_config_static_selectorELNS0_4arch9wavefront6targetE0EEEvSG_
    .private_segment_fixed_size: 0
    .sgpr_count:     0
    .sgpr_spill_count: 0
    .symbol:         _ZN7rocprim17ROCPRIM_400000_NS6detail17trampoline_kernelINS0_14default_configENS1_35radix_sort_onesweep_config_selectorIsNS0_10empty_typeEEEZZNS1_29radix_sort_onesweep_iterationIS3_Lb0EPKsPsPS5_SB_mNS0_19identity_decomposerENS1_16block_id_wrapperIjLb1EEEEE10hipError_tT1_PNSt15iterator_traitsISG_E10value_typeET2_T3_PNSH_ISM_E10value_typeET4_T5_PSR_SS_PNS1_23onesweep_lookback_stateEbbT6_jjT7_P12ihipStream_tbENKUlT_T0_SG_SL_E_clIS9_SA_SB_SB_EEDaSZ_S10_SG_SL_EUlSZ_E_NS1_11comp_targetILNS1_3genE5ELNS1_11target_archE942ELNS1_3gpuE9ELNS1_3repE0EEENS1_47radix_sort_onesweep_sort_config_static_selectorELNS0_4arch9wavefront6targetE0EEEvSG_.kd
    .uniform_work_group_size: 1
    .uses_dynamic_stack: false
    .vgpr_count:     0
    .vgpr_spill_count: 0
    .wavefront_size: 32
  - .args:
      - .offset:         0
        .size:           88
        .value_kind:     by_value
    .group_segment_fixed_size: 0
    .kernarg_segment_align: 8
    .kernarg_segment_size: 88
    .language:       OpenCL C
    .language_version:
      - 2
      - 0
    .max_flat_workgroup_size: 512
    .name:           _ZN7rocprim17ROCPRIM_400000_NS6detail17trampoline_kernelINS0_14default_configENS1_35radix_sort_onesweep_config_selectorIsNS0_10empty_typeEEEZZNS1_29radix_sort_onesweep_iterationIS3_Lb0EPKsPsPS5_SB_mNS0_19identity_decomposerENS1_16block_id_wrapperIjLb1EEEEE10hipError_tT1_PNSt15iterator_traitsISG_E10value_typeET2_T3_PNSH_ISM_E10value_typeET4_T5_PSR_SS_PNS1_23onesweep_lookback_stateEbbT6_jjT7_P12ihipStream_tbENKUlT_T0_SG_SL_E_clIS9_SA_SB_SB_EEDaSZ_S10_SG_SL_EUlSZ_E_NS1_11comp_targetILNS1_3genE2ELNS1_11target_archE906ELNS1_3gpuE6ELNS1_3repE0EEENS1_47radix_sort_onesweep_sort_config_static_selectorELNS0_4arch9wavefront6targetE0EEEvSG_
    .private_segment_fixed_size: 0
    .sgpr_count:     0
    .sgpr_spill_count: 0
    .symbol:         _ZN7rocprim17ROCPRIM_400000_NS6detail17trampoline_kernelINS0_14default_configENS1_35radix_sort_onesweep_config_selectorIsNS0_10empty_typeEEEZZNS1_29radix_sort_onesweep_iterationIS3_Lb0EPKsPsPS5_SB_mNS0_19identity_decomposerENS1_16block_id_wrapperIjLb1EEEEE10hipError_tT1_PNSt15iterator_traitsISG_E10value_typeET2_T3_PNSH_ISM_E10value_typeET4_T5_PSR_SS_PNS1_23onesweep_lookback_stateEbbT6_jjT7_P12ihipStream_tbENKUlT_T0_SG_SL_E_clIS9_SA_SB_SB_EEDaSZ_S10_SG_SL_EUlSZ_E_NS1_11comp_targetILNS1_3genE2ELNS1_11target_archE906ELNS1_3gpuE6ELNS1_3repE0EEENS1_47radix_sort_onesweep_sort_config_static_selectorELNS0_4arch9wavefront6targetE0EEEvSG_.kd
    .uniform_work_group_size: 1
    .uses_dynamic_stack: false
    .vgpr_count:     0
    .vgpr_spill_count: 0
    .wavefront_size: 32
  - .args:
      - .offset:         0
        .size:           88
        .value_kind:     by_value
    .group_segment_fixed_size: 0
    .kernarg_segment_align: 8
    .kernarg_segment_size: 88
    .language:       OpenCL C
    .language_version:
      - 2
      - 0
    .max_flat_workgroup_size: 1024
    .name:           _ZN7rocprim17ROCPRIM_400000_NS6detail17trampoline_kernelINS0_14default_configENS1_35radix_sort_onesweep_config_selectorIsNS0_10empty_typeEEEZZNS1_29radix_sort_onesweep_iterationIS3_Lb0EPKsPsPS5_SB_mNS0_19identity_decomposerENS1_16block_id_wrapperIjLb1EEEEE10hipError_tT1_PNSt15iterator_traitsISG_E10value_typeET2_T3_PNSH_ISM_E10value_typeET4_T5_PSR_SS_PNS1_23onesweep_lookback_stateEbbT6_jjT7_P12ihipStream_tbENKUlT_T0_SG_SL_E_clIS9_SA_SB_SB_EEDaSZ_S10_SG_SL_EUlSZ_E_NS1_11comp_targetILNS1_3genE4ELNS1_11target_archE910ELNS1_3gpuE8ELNS1_3repE0EEENS1_47radix_sort_onesweep_sort_config_static_selectorELNS0_4arch9wavefront6targetE0EEEvSG_
    .private_segment_fixed_size: 0
    .sgpr_count:     0
    .sgpr_spill_count: 0
    .symbol:         _ZN7rocprim17ROCPRIM_400000_NS6detail17trampoline_kernelINS0_14default_configENS1_35radix_sort_onesweep_config_selectorIsNS0_10empty_typeEEEZZNS1_29radix_sort_onesweep_iterationIS3_Lb0EPKsPsPS5_SB_mNS0_19identity_decomposerENS1_16block_id_wrapperIjLb1EEEEE10hipError_tT1_PNSt15iterator_traitsISG_E10value_typeET2_T3_PNSH_ISM_E10value_typeET4_T5_PSR_SS_PNS1_23onesweep_lookback_stateEbbT6_jjT7_P12ihipStream_tbENKUlT_T0_SG_SL_E_clIS9_SA_SB_SB_EEDaSZ_S10_SG_SL_EUlSZ_E_NS1_11comp_targetILNS1_3genE4ELNS1_11target_archE910ELNS1_3gpuE8ELNS1_3repE0EEENS1_47radix_sort_onesweep_sort_config_static_selectorELNS0_4arch9wavefront6targetE0EEEvSG_.kd
    .uniform_work_group_size: 1
    .uses_dynamic_stack: false
    .vgpr_count:     0
    .vgpr_spill_count: 0
    .wavefront_size: 32
  - .args:
      - .offset:         0
        .size:           88
        .value_kind:     by_value
    .group_segment_fixed_size: 0
    .kernarg_segment_align: 8
    .kernarg_segment_size: 88
    .language:       OpenCL C
    .language_version:
      - 2
      - 0
    .max_flat_workgroup_size: 512
    .name:           _ZN7rocprim17ROCPRIM_400000_NS6detail17trampoline_kernelINS0_14default_configENS1_35radix_sort_onesweep_config_selectorIsNS0_10empty_typeEEEZZNS1_29radix_sort_onesweep_iterationIS3_Lb0EPKsPsPS5_SB_mNS0_19identity_decomposerENS1_16block_id_wrapperIjLb1EEEEE10hipError_tT1_PNSt15iterator_traitsISG_E10value_typeET2_T3_PNSH_ISM_E10value_typeET4_T5_PSR_SS_PNS1_23onesweep_lookback_stateEbbT6_jjT7_P12ihipStream_tbENKUlT_T0_SG_SL_E_clIS9_SA_SB_SB_EEDaSZ_S10_SG_SL_EUlSZ_E_NS1_11comp_targetILNS1_3genE3ELNS1_11target_archE908ELNS1_3gpuE7ELNS1_3repE0EEENS1_47radix_sort_onesweep_sort_config_static_selectorELNS0_4arch9wavefront6targetE0EEEvSG_
    .private_segment_fixed_size: 0
    .sgpr_count:     0
    .sgpr_spill_count: 0
    .symbol:         _ZN7rocprim17ROCPRIM_400000_NS6detail17trampoline_kernelINS0_14default_configENS1_35radix_sort_onesweep_config_selectorIsNS0_10empty_typeEEEZZNS1_29radix_sort_onesweep_iterationIS3_Lb0EPKsPsPS5_SB_mNS0_19identity_decomposerENS1_16block_id_wrapperIjLb1EEEEE10hipError_tT1_PNSt15iterator_traitsISG_E10value_typeET2_T3_PNSH_ISM_E10value_typeET4_T5_PSR_SS_PNS1_23onesweep_lookback_stateEbbT6_jjT7_P12ihipStream_tbENKUlT_T0_SG_SL_E_clIS9_SA_SB_SB_EEDaSZ_S10_SG_SL_EUlSZ_E_NS1_11comp_targetILNS1_3genE3ELNS1_11target_archE908ELNS1_3gpuE7ELNS1_3repE0EEENS1_47radix_sort_onesweep_sort_config_static_selectorELNS0_4arch9wavefront6targetE0EEEvSG_.kd
    .uniform_work_group_size: 1
    .uses_dynamic_stack: false
    .vgpr_count:     0
    .vgpr_spill_count: 0
    .wavefront_size: 32
  - .args:
      - .offset:         0
        .size:           88
        .value_kind:     by_value
    .group_segment_fixed_size: 0
    .kernarg_segment_align: 8
    .kernarg_segment_size: 88
    .language:       OpenCL C
    .language_version:
      - 2
      - 0
    .max_flat_workgroup_size: 256
    .name:           _ZN7rocprim17ROCPRIM_400000_NS6detail17trampoline_kernelINS0_14default_configENS1_35radix_sort_onesweep_config_selectorIsNS0_10empty_typeEEEZZNS1_29radix_sort_onesweep_iterationIS3_Lb0EPKsPsPS5_SB_mNS0_19identity_decomposerENS1_16block_id_wrapperIjLb1EEEEE10hipError_tT1_PNSt15iterator_traitsISG_E10value_typeET2_T3_PNSH_ISM_E10value_typeET4_T5_PSR_SS_PNS1_23onesweep_lookback_stateEbbT6_jjT7_P12ihipStream_tbENKUlT_T0_SG_SL_E_clIS9_SA_SB_SB_EEDaSZ_S10_SG_SL_EUlSZ_E_NS1_11comp_targetILNS1_3genE10ELNS1_11target_archE1201ELNS1_3gpuE5ELNS1_3repE0EEENS1_47radix_sort_onesweep_sort_config_static_selectorELNS0_4arch9wavefront6targetE0EEEvSG_
    .private_segment_fixed_size: 0
    .sgpr_count:     0
    .sgpr_spill_count: 0
    .symbol:         _ZN7rocprim17ROCPRIM_400000_NS6detail17trampoline_kernelINS0_14default_configENS1_35radix_sort_onesweep_config_selectorIsNS0_10empty_typeEEEZZNS1_29radix_sort_onesweep_iterationIS3_Lb0EPKsPsPS5_SB_mNS0_19identity_decomposerENS1_16block_id_wrapperIjLb1EEEEE10hipError_tT1_PNSt15iterator_traitsISG_E10value_typeET2_T3_PNSH_ISM_E10value_typeET4_T5_PSR_SS_PNS1_23onesweep_lookback_stateEbbT6_jjT7_P12ihipStream_tbENKUlT_T0_SG_SL_E_clIS9_SA_SB_SB_EEDaSZ_S10_SG_SL_EUlSZ_E_NS1_11comp_targetILNS1_3genE10ELNS1_11target_archE1201ELNS1_3gpuE5ELNS1_3repE0EEENS1_47radix_sort_onesweep_sort_config_static_selectorELNS0_4arch9wavefront6targetE0EEEvSG_.kd
    .uniform_work_group_size: 1
    .uses_dynamic_stack: false
    .vgpr_count:     0
    .vgpr_spill_count: 0
    .wavefront_size: 32
  - .args:
      - .offset:         0
        .size:           88
        .value_kind:     by_value
    .group_segment_fixed_size: 0
    .kernarg_segment_align: 8
    .kernarg_segment_size: 88
    .language:       OpenCL C
    .language_version:
      - 2
      - 0
    .max_flat_workgroup_size: 256
    .name:           _ZN7rocprim17ROCPRIM_400000_NS6detail17trampoline_kernelINS0_14default_configENS1_35radix_sort_onesweep_config_selectorIsNS0_10empty_typeEEEZZNS1_29radix_sort_onesweep_iterationIS3_Lb0EPKsPsPS5_SB_mNS0_19identity_decomposerENS1_16block_id_wrapperIjLb1EEEEE10hipError_tT1_PNSt15iterator_traitsISG_E10value_typeET2_T3_PNSH_ISM_E10value_typeET4_T5_PSR_SS_PNS1_23onesweep_lookback_stateEbbT6_jjT7_P12ihipStream_tbENKUlT_T0_SG_SL_E_clIS9_SA_SB_SB_EEDaSZ_S10_SG_SL_EUlSZ_E_NS1_11comp_targetILNS1_3genE9ELNS1_11target_archE1100ELNS1_3gpuE3ELNS1_3repE0EEENS1_47radix_sort_onesweep_sort_config_static_selectorELNS0_4arch9wavefront6targetE0EEEvSG_
    .private_segment_fixed_size: 0
    .sgpr_count:     0
    .sgpr_spill_count: 0
    .symbol:         _ZN7rocprim17ROCPRIM_400000_NS6detail17trampoline_kernelINS0_14default_configENS1_35radix_sort_onesweep_config_selectorIsNS0_10empty_typeEEEZZNS1_29radix_sort_onesweep_iterationIS3_Lb0EPKsPsPS5_SB_mNS0_19identity_decomposerENS1_16block_id_wrapperIjLb1EEEEE10hipError_tT1_PNSt15iterator_traitsISG_E10value_typeET2_T3_PNSH_ISM_E10value_typeET4_T5_PSR_SS_PNS1_23onesweep_lookback_stateEbbT6_jjT7_P12ihipStream_tbENKUlT_T0_SG_SL_E_clIS9_SA_SB_SB_EEDaSZ_S10_SG_SL_EUlSZ_E_NS1_11comp_targetILNS1_3genE9ELNS1_11target_archE1100ELNS1_3gpuE3ELNS1_3repE0EEENS1_47radix_sort_onesweep_sort_config_static_selectorELNS0_4arch9wavefront6targetE0EEEvSG_.kd
    .uniform_work_group_size: 1
    .uses_dynamic_stack: false
    .vgpr_count:     0
    .vgpr_spill_count: 0
    .wavefront_size: 32
  - .args:
      - .offset:         0
        .size:           88
        .value_kind:     by_value
    .group_segment_fixed_size: 0
    .kernarg_segment_align: 8
    .kernarg_segment_size: 88
    .language:       OpenCL C
    .language_version:
      - 2
      - 0
    .max_flat_workgroup_size: 256
    .name:           _ZN7rocprim17ROCPRIM_400000_NS6detail17trampoline_kernelINS0_14default_configENS1_35radix_sort_onesweep_config_selectorIsNS0_10empty_typeEEEZZNS1_29radix_sort_onesweep_iterationIS3_Lb0EPKsPsPS5_SB_mNS0_19identity_decomposerENS1_16block_id_wrapperIjLb1EEEEE10hipError_tT1_PNSt15iterator_traitsISG_E10value_typeET2_T3_PNSH_ISM_E10value_typeET4_T5_PSR_SS_PNS1_23onesweep_lookback_stateEbbT6_jjT7_P12ihipStream_tbENKUlT_T0_SG_SL_E_clIS9_SA_SB_SB_EEDaSZ_S10_SG_SL_EUlSZ_E_NS1_11comp_targetILNS1_3genE8ELNS1_11target_archE1030ELNS1_3gpuE2ELNS1_3repE0EEENS1_47radix_sort_onesweep_sort_config_static_selectorELNS0_4arch9wavefront6targetE0EEEvSG_
    .private_segment_fixed_size: 0
    .sgpr_count:     0
    .sgpr_spill_count: 0
    .symbol:         _ZN7rocprim17ROCPRIM_400000_NS6detail17trampoline_kernelINS0_14default_configENS1_35radix_sort_onesweep_config_selectorIsNS0_10empty_typeEEEZZNS1_29radix_sort_onesweep_iterationIS3_Lb0EPKsPsPS5_SB_mNS0_19identity_decomposerENS1_16block_id_wrapperIjLb1EEEEE10hipError_tT1_PNSt15iterator_traitsISG_E10value_typeET2_T3_PNSH_ISM_E10value_typeET4_T5_PSR_SS_PNS1_23onesweep_lookback_stateEbbT6_jjT7_P12ihipStream_tbENKUlT_T0_SG_SL_E_clIS9_SA_SB_SB_EEDaSZ_S10_SG_SL_EUlSZ_E_NS1_11comp_targetILNS1_3genE8ELNS1_11target_archE1030ELNS1_3gpuE2ELNS1_3repE0EEENS1_47radix_sort_onesweep_sort_config_static_selectorELNS0_4arch9wavefront6targetE0EEEvSG_.kd
    .uniform_work_group_size: 1
    .uses_dynamic_stack: false
    .vgpr_count:     0
    .vgpr_spill_count: 0
    .wavefront_size: 32
  - .args:
      - .offset:         0
        .size:           88
        .value_kind:     by_value
      - .offset:         88
        .size:           4
        .value_kind:     hidden_block_count_x
      - .offset:         92
        .size:           4
        .value_kind:     hidden_block_count_y
      - .offset:         96
        .size:           4
        .value_kind:     hidden_block_count_z
      - .offset:         100
        .size:           2
        .value_kind:     hidden_group_size_x
      - .offset:         102
        .size:           2
        .value_kind:     hidden_group_size_y
      - .offset:         104
        .size:           2
        .value_kind:     hidden_group_size_z
      - .offset:         106
        .size:           2
        .value_kind:     hidden_remainder_x
      - .offset:         108
        .size:           2
        .value_kind:     hidden_remainder_y
      - .offset:         110
        .size:           2
        .value_kind:     hidden_remainder_z
      - .offset:         128
        .size:           8
        .value_kind:     hidden_global_offset_x
      - .offset:         136
        .size:           8
        .value_kind:     hidden_global_offset_y
      - .offset:         144
        .size:           8
        .value_kind:     hidden_global_offset_z
      - .offset:         152
        .size:           2
        .value_kind:     hidden_grid_dims
    .group_segment_fixed_size: 18504
    .kernarg_segment_align: 8
    .kernarg_segment_size: 344
    .language:       OpenCL C
    .language_version:
      - 2
      - 0
    .max_flat_workgroup_size: 512
    .name:           _ZN7rocprim17ROCPRIM_400000_NS6detail17trampoline_kernelINS0_14default_configENS1_35radix_sort_onesweep_config_selectorIsNS0_10empty_typeEEEZZNS1_29radix_sort_onesweep_iterationIS3_Lb0EPKsPsPS5_SB_mNS0_19identity_decomposerENS1_16block_id_wrapperIjLb1EEEEE10hipError_tT1_PNSt15iterator_traitsISG_E10value_typeET2_T3_PNSH_ISM_E10value_typeET4_T5_PSR_SS_PNS1_23onesweep_lookback_stateEbbT6_jjT7_P12ihipStream_tbENKUlT_T0_SG_SL_E_clISA_SA_SB_SB_EEDaSZ_S10_SG_SL_EUlSZ_E_NS1_11comp_targetILNS1_3genE0ELNS1_11target_archE4294967295ELNS1_3gpuE0ELNS1_3repE0EEENS1_47radix_sort_onesweep_sort_config_static_selectorELNS0_4arch9wavefront6targetE0EEEvSG_
    .private_segment_fixed_size: 0
    .sgpr_count:     32
    .sgpr_spill_count: 0
    .symbol:         _ZN7rocprim17ROCPRIM_400000_NS6detail17trampoline_kernelINS0_14default_configENS1_35radix_sort_onesweep_config_selectorIsNS0_10empty_typeEEEZZNS1_29radix_sort_onesweep_iterationIS3_Lb0EPKsPsPS5_SB_mNS0_19identity_decomposerENS1_16block_id_wrapperIjLb1EEEEE10hipError_tT1_PNSt15iterator_traitsISG_E10value_typeET2_T3_PNSH_ISM_E10value_typeET4_T5_PSR_SS_PNS1_23onesweep_lookback_stateEbbT6_jjT7_P12ihipStream_tbENKUlT_T0_SG_SL_E_clISA_SA_SB_SB_EEDaSZ_S10_SG_SL_EUlSZ_E_NS1_11comp_targetILNS1_3genE0ELNS1_11target_archE4294967295ELNS1_3gpuE0ELNS1_3repE0EEENS1_47radix_sort_onesweep_sort_config_static_selectorELNS0_4arch9wavefront6targetE0EEEvSG_.kd
    .uniform_work_group_size: 1
    .uses_dynamic_stack: false
    .vgpr_count:     65
    .vgpr_spill_count: 0
    .wavefront_size: 32
  - .args:
      - .offset:         0
        .size:           88
        .value_kind:     by_value
    .group_segment_fixed_size: 0
    .kernarg_segment_align: 8
    .kernarg_segment_size: 88
    .language:       OpenCL C
    .language_version:
      - 2
      - 0
    .max_flat_workgroup_size: 1024
    .name:           _ZN7rocprim17ROCPRIM_400000_NS6detail17trampoline_kernelINS0_14default_configENS1_35radix_sort_onesweep_config_selectorIsNS0_10empty_typeEEEZZNS1_29radix_sort_onesweep_iterationIS3_Lb0EPKsPsPS5_SB_mNS0_19identity_decomposerENS1_16block_id_wrapperIjLb1EEEEE10hipError_tT1_PNSt15iterator_traitsISG_E10value_typeET2_T3_PNSH_ISM_E10value_typeET4_T5_PSR_SS_PNS1_23onesweep_lookback_stateEbbT6_jjT7_P12ihipStream_tbENKUlT_T0_SG_SL_E_clISA_SA_SB_SB_EEDaSZ_S10_SG_SL_EUlSZ_E_NS1_11comp_targetILNS1_3genE6ELNS1_11target_archE950ELNS1_3gpuE13ELNS1_3repE0EEENS1_47radix_sort_onesweep_sort_config_static_selectorELNS0_4arch9wavefront6targetE0EEEvSG_
    .private_segment_fixed_size: 0
    .sgpr_count:     0
    .sgpr_spill_count: 0
    .symbol:         _ZN7rocprim17ROCPRIM_400000_NS6detail17trampoline_kernelINS0_14default_configENS1_35radix_sort_onesweep_config_selectorIsNS0_10empty_typeEEEZZNS1_29radix_sort_onesweep_iterationIS3_Lb0EPKsPsPS5_SB_mNS0_19identity_decomposerENS1_16block_id_wrapperIjLb1EEEEE10hipError_tT1_PNSt15iterator_traitsISG_E10value_typeET2_T3_PNSH_ISM_E10value_typeET4_T5_PSR_SS_PNS1_23onesweep_lookback_stateEbbT6_jjT7_P12ihipStream_tbENKUlT_T0_SG_SL_E_clISA_SA_SB_SB_EEDaSZ_S10_SG_SL_EUlSZ_E_NS1_11comp_targetILNS1_3genE6ELNS1_11target_archE950ELNS1_3gpuE13ELNS1_3repE0EEENS1_47radix_sort_onesweep_sort_config_static_selectorELNS0_4arch9wavefront6targetE0EEEvSG_.kd
    .uniform_work_group_size: 1
    .uses_dynamic_stack: false
    .vgpr_count:     0
    .vgpr_spill_count: 0
    .wavefront_size: 32
  - .args:
      - .offset:         0
        .size:           88
        .value_kind:     by_value
    .group_segment_fixed_size: 0
    .kernarg_segment_align: 8
    .kernarg_segment_size: 88
    .language:       OpenCL C
    .language_version:
      - 2
      - 0
    .max_flat_workgroup_size: 1024
    .name:           _ZN7rocprim17ROCPRIM_400000_NS6detail17trampoline_kernelINS0_14default_configENS1_35radix_sort_onesweep_config_selectorIsNS0_10empty_typeEEEZZNS1_29radix_sort_onesweep_iterationIS3_Lb0EPKsPsPS5_SB_mNS0_19identity_decomposerENS1_16block_id_wrapperIjLb1EEEEE10hipError_tT1_PNSt15iterator_traitsISG_E10value_typeET2_T3_PNSH_ISM_E10value_typeET4_T5_PSR_SS_PNS1_23onesweep_lookback_stateEbbT6_jjT7_P12ihipStream_tbENKUlT_T0_SG_SL_E_clISA_SA_SB_SB_EEDaSZ_S10_SG_SL_EUlSZ_E_NS1_11comp_targetILNS1_3genE5ELNS1_11target_archE942ELNS1_3gpuE9ELNS1_3repE0EEENS1_47radix_sort_onesweep_sort_config_static_selectorELNS0_4arch9wavefront6targetE0EEEvSG_
    .private_segment_fixed_size: 0
    .sgpr_count:     0
    .sgpr_spill_count: 0
    .symbol:         _ZN7rocprim17ROCPRIM_400000_NS6detail17trampoline_kernelINS0_14default_configENS1_35radix_sort_onesweep_config_selectorIsNS0_10empty_typeEEEZZNS1_29radix_sort_onesweep_iterationIS3_Lb0EPKsPsPS5_SB_mNS0_19identity_decomposerENS1_16block_id_wrapperIjLb1EEEEE10hipError_tT1_PNSt15iterator_traitsISG_E10value_typeET2_T3_PNSH_ISM_E10value_typeET4_T5_PSR_SS_PNS1_23onesweep_lookback_stateEbbT6_jjT7_P12ihipStream_tbENKUlT_T0_SG_SL_E_clISA_SA_SB_SB_EEDaSZ_S10_SG_SL_EUlSZ_E_NS1_11comp_targetILNS1_3genE5ELNS1_11target_archE942ELNS1_3gpuE9ELNS1_3repE0EEENS1_47radix_sort_onesweep_sort_config_static_selectorELNS0_4arch9wavefront6targetE0EEEvSG_.kd
    .uniform_work_group_size: 1
    .uses_dynamic_stack: false
    .vgpr_count:     0
    .vgpr_spill_count: 0
    .wavefront_size: 32
  - .args:
      - .offset:         0
        .size:           88
        .value_kind:     by_value
    .group_segment_fixed_size: 0
    .kernarg_segment_align: 8
    .kernarg_segment_size: 88
    .language:       OpenCL C
    .language_version:
      - 2
      - 0
    .max_flat_workgroup_size: 512
    .name:           _ZN7rocprim17ROCPRIM_400000_NS6detail17trampoline_kernelINS0_14default_configENS1_35radix_sort_onesweep_config_selectorIsNS0_10empty_typeEEEZZNS1_29radix_sort_onesweep_iterationIS3_Lb0EPKsPsPS5_SB_mNS0_19identity_decomposerENS1_16block_id_wrapperIjLb1EEEEE10hipError_tT1_PNSt15iterator_traitsISG_E10value_typeET2_T3_PNSH_ISM_E10value_typeET4_T5_PSR_SS_PNS1_23onesweep_lookback_stateEbbT6_jjT7_P12ihipStream_tbENKUlT_T0_SG_SL_E_clISA_SA_SB_SB_EEDaSZ_S10_SG_SL_EUlSZ_E_NS1_11comp_targetILNS1_3genE2ELNS1_11target_archE906ELNS1_3gpuE6ELNS1_3repE0EEENS1_47radix_sort_onesweep_sort_config_static_selectorELNS0_4arch9wavefront6targetE0EEEvSG_
    .private_segment_fixed_size: 0
    .sgpr_count:     0
    .sgpr_spill_count: 0
    .symbol:         _ZN7rocprim17ROCPRIM_400000_NS6detail17trampoline_kernelINS0_14default_configENS1_35radix_sort_onesweep_config_selectorIsNS0_10empty_typeEEEZZNS1_29radix_sort_onesweep_iterationIS3_Lb0EPKsPsPS5_SB_mNS0_19identity_decomposerENS1_16block_id_wrapperIjLb1EEEEE10hipError_tT1_PNSt15iterator_traitsISG_E10value_typeET2_T3_PNSH_ISM_E10value_typeET4_T5_PSR_SS_PNS1_23onesweep_lookback_stateEbbT6_jjT7_P12ihipStream_tbENKUlT_T0_SG_SL_E_clISA_SA_SB_SB_EEDaSZ_S10_SG_SL_EUlSZ_E_NS1_11comp_targetILNS1_3genE2ELNS1_11target_archE906ELNS1_3gpuE6ELNS1_3repE0EEENS1_47radix_sort_onesweep_sort_config_static_selectorELNS0_4arch9wavefront6targetE0EEEvSG_.kd
    .uniform_work_group_size: 1
    .uses_dynamic_stack: false
    .vgpr_count:     0
    .vgpr_spill_count: 0
    .wavefront_size: 32
  - .args:
      - .offset:         0
        .size:           88
        .value_kind:     by_value
    .group_segment_fixed_size: 0
    .kernarg_segment_align: 8
    .kernarg_segment_size: 88
    .language:       OpenCL C
    .language_version:
      - 2
      - 0
    .max_flat_workgroup_size: 1024
    .name:           _ZN7rocprim17ROCPRIM_400000_NS6detail17trampoline_kernelINS0_14default_configENS1_35radix_sort_onesweep_config_selectorIsNS0_10empty_typeEEEZZNS1_29radix_sort_onesweep_iterationIS3_Lb0EPKsPsPS5_SB_mNS0_19identity_decomposerENS1_16block_id_wrapperIjLb1EEEEE10hipError_tT1_PNSt15iterator_traitsISG_E10value_typeET2_T3_PNSH_ISM_E10value_typeET4_T5_PSR_SS_PNS1_23onesweep_lookback_stateEbbT6_jjT7_P12ihipStream_tbENKUlT_T0_SG_SL_E_clISA_SA_SB_SB_EEDaSZ_S10_SG_SL_EUlSZ_E_NS1_11comp_targetILNS1_3genE4ELNS1_11target_archE910ELNS1_3gpuE8ELNS1_3repE0EEENS1_47radix_sort_onesweep_sort_config_static_selectorELNS0_4arch9wavefront6targetE0EEEvSG_
    .private_segment_fixed_size: 0
    .sgpr_count:     0
    .sgpr_spill_count: 0
    .symbol:         _ZN7rocprim17ROCPRIM_400000_NS6detail17trampoline_kernelINS0_14default_configENS1_35radix_sort_onesweep_config_selectorIsNS0_10empty_typeEEEZZNS1_29radix_sort_onesweep_iterationIS3_Lb0EPKsPsPS5_SB_mNS0_19identity_decomposerENS1_16block_id_wrapperIjLb1EEEEE10hipError_tT1_PNSt15iterator_traitsISG_E10value_typeET2_T3_PNSH_ISM_E10value_typeET4_T5_PSR_SS_PNS1_23onesweep_lookback_stateEbbT6_jjT7_P12ihipStream_tbENKUlT_T0_SG_SL_E_clISA_SA_SB_SB_EEDaSZ_S10_SG_SL_EUlSZ_E_NS1_11comp_targetILNS1_3genE4ELNS1_11target_archE910ELNS1_3gpuE8ELNS1_3repE0EEENS1_47radix_sort_onesweep_sort_config_static_selectorELNS0_4arch9wavefront6targetE0EEEvSG_.kd
    .uniform_work_group_size: 1
    .uses_dynamic_stack: false
    .vgpr_count:     0
    .vgpr_spill_count: 0
    .wavefront_size: 32
  - .args:
      - .offset:         0
        .size:           88
        .value_kind:     by_value
    .group_segment_fixed_size: 0
    .kernarg_segment_align: 8
    .kernarg_segment_size: 88
    .language:       OpenCL C
    .language_version:
      - 2
      - 0
    .max_flat_workgroup_size: 512
    .name:           _ZN7rocprim17ROCPRIM_400000_NS6detail17trampoline_kernelINS0_14default_configENS1_35radix_sort_onesweep_config_selectorIsNS0_10empty_typeEEEZZNS1_29radix_sort_onesweep_iterationIS3_Lb0EPKsPsPS5_SB_mNS0_19identity_decomposerENS1_16block_id_wrapperIjLb1EEEEE10hipError_tT1_PNSt15iterator_traitsISG_E10value_typeET2_T3_PNSH_ISM_E10value_typeET4_T5_PSR_SS_PNS1_23onesweep_lookback_stateEbbT6_jjT7_P12ihipStream_tbENKUlT_T0_SG_SL_E_clISA_SA_SB_SB_EEDaSZ_S10_SG_SL_EUlSZ_E_NS1_11comp_targetILNS1_3genE3ELNS1_11target_archE908ELNS1_3gpuE7ELNS1_3repE0EEENS1_47radix_sort_onesweep_sort_config_static_selectorELNS0_4arch9wavefront6targetE0EEEvSG_
    .private_segment_fixed_size: 0
    .sgpr_count:     0
    .sgpr_spill_count: 0
    .symbol:         _ZN7rocprim17ROCPRIM_400000_NS6detail17trampoline_kernelINS0_14default_configENS1_35radix_sort_onesweep_config_selectorIsNS0_10empty_typeEEEZZNS1_29radix_sort_onesweep_iterationIS3_Lb0EPKsPsPS5_SB_mNS0_19identity_decomposerENS1_16block_id_wrapperIjLb1EEEEE10hipError_tT1_PNSt15iterator_traitsISG_E10value_typeET2_T3_PNSH_ISM_E10value_typeET4_T5_PSR_SS_PNS1_23onesweep_lookback_stateEbbT6_jjT7_P12ihipStream_tbENKUlT_T0_SG_SL_E_clISA_SA_SB_SB_EEDaSZ_S10_SG_SL_EUlSZ_E_NS1_11comp_targetILNS1_3genE3ELNS1_11target_archE908ELNS1_3gpuE7ELNS1_3repE0EEENS1_47radix_sort_onesweep_sort_config_static_selectorELNS0_4arch9wavefront6targetE0EEEvSG_.kd
    .uniform_work_group_size: 1
    .uses_dynamic_stack: false
    .vgpr_count:     0
    .vgpr_spill_count: 0
    .wavefront_size: 32
  - .args:
      - .offset:         0
        .size:           88
        .value_kind:     by_value
    .group_segment_fixed_size: 0
    .kernarg_segment_align: 8
    .kernarg_segment_size: 88
    .language:       OpenCL C
    .language_version:
      - 2
      - 0
    .max_flat_workgroup_size: 256
    .name:           _ZN7rocprim17ROCPRIM_400000_NS6detail17trampoline_kernelINS0_14default_configENS1_35radix_sort_onesweep_config_selectorIsNS0_10empty_typeEEEZZNS1_29radix_sort_onesweep_iterationIS3_Lb0EPKsPsPS5_SB_mNS0_19identity_decomposerENS1_16block_id_wrapperIjLb1EEEEE10hipError_tT1_PNSt15iterator_traitsISG_E10value_typeET2_T3_PNSH_ISM_E10value_typeET4_T5_PSR_SS_PNS1_23onesweep_lookback_stateEbbT6_jjT7_P12ihipStream_tbENKUlT_T0_SG_SL_E_clISA_SA_SB_SB_EEDaSZ_S10_SG_SL_EUlSZ_E_NS1_11comp_targetILNS1_3genE10ELNS1_11target_archE1201ELNS1_3gpuE5ELNS1_3repE0EEENS1_47radix_sort_onesweep_sort_config_static_selectorELNS0_4arch9wavefront6targetE0EEEvSG_
    .private_segment_fixed_size: 0
    .sgpr_count:     0
    .sgpr_spill_count: 0
    .symbol:         _ZN7rocprim17ROCPRIM_400000_NS6detail17trampoline_kernelINS0_14default_configENS1_35radix_sort_onesweep_config_selectorIsNS0_10empty_typeEEEZZNS1_29radix_sort_onesweep_iterationIS3_Lb0EPKsPsPS5_SB_mNS0_19identity_decomposerENS1_16block_id_wrapperIjLb1EEEEE10hipError_tT1_PNSt15iterator_traitsISG_E10value_typeET2_T3_PNSH_ISM_E10value_typeET4_T5_PSR_SS_PNS1_23onesweep_lookback_stateEbbT6_jjT7_P12ihipStream_tbENKUlT_T0_SG_SL_E_clISA_SA_SB_SB_EEDaSZ_S10_SG_SL_EUlSZ_E_NS1_11comp_targetILNS1_3genE10ELNS1_11target_archE1201ELNS1_3gpuE5ELNS1_3repE0EEENS1_47radix_sort_onesweep_sort_config_static_selectorELNS0_4arch9wavefront6targetE0EEEvSG_.kd
    .uniform_work_group_size: 1
    .uses_dynamic_stack: false
    .vgpr_count:     0
    .vgpr_spill_count: 0
    .wavefront_size: 32
  - .args:
      - .offset:         0
        .size:           88
        .value_kind:     by_value
    .group_segment_fixed_size: 0
    .kernarg_segment_align: 8
    .kernarg_segment_size: 88
    .language:       OpenCL C
    .language_version:
      - 2
      - 0
    .max_flat_workgroup_size: 256
    .name:           _ZN7rocprim17ROCPRIM_400000_NS6detail17trampoline_kernelINS0_14default_configENS1_35radix_sort_onesweep_config_selectorIsNS0_10empty_typeEEEZZNS1_29radix_sort_onesweep_iterationIS3_Lb0EPKsPsPS5_SB_mNS0_19identity_decomposerENS1_16block_id_wrapperIjLb1EEEEE10hipError_tT1_PNSt15iterator_traitsISG_E10value_typeET2_T3_PNSH_ISM_E10value_typeET4_T5_PSR_SS_PNS1_23onesweep_lookback_stateEbbT6_jjT7_P12ihipStream_tbENKUlT_T0_SG_SL_E_clISA_SA_SB_SB_EEDaSZ_S10_SG_SL_EUlSZ_E_NS1_11comp_targetILNS1_3genE9ELNS1_11target_archE1100ELNS1_3gpuE3ELNS1_3repE0EEENS1_47radix_sort_onesweep_sort_config_static_selectorELNS0_4arch9wavefront6targetE0EEEvSG_
    .private_segment_fixed_size: 0
    .sgpr_count:     0
    .sgpr_spill_count: 0
    .symbol:         _ZN7rocprim17ROCPRIM_400000_NS6detail17trampoline_kernelINS0_14default_configENS1_35radix_sort_onesweep_config_selectorIsNS0_10empty_typeEEEZZNS1_29radix_sort_onesweep_iterationIS3_Lb0EPKsPsPS5_SB_mNS0_19identity_decomposerENS1_16block_id_wrapperIjLb1EEEEE10hipError_tT1_PNSt15iterator_traitsISG_E10value_typeET2_T3_PNSH_ISM_E10value_typeET4_T5_PSR_SS_PNS1_23onesweep_lookback_stateEbbT6_jjT7_P12ihipStream_tbENKUlT_T0_SG_SL_E_clISA_SA_SB_SB_EEDaSZ_S10_SG_SL_EUlSZ_E_NS1_11comp_targetILNS1_3genE9ELNS1_11target_archE1100ELNS1_3gpuE3ELNS1_3repE0EEENS1_47radix_sort_onesweep_sort_config_static_selectorELNS0_4arch9wavefront6targetE0EEEvSG_.kd
    .uniform_work_group_size: 1
    .uses_dynamic_stack: false
    .vgpr_count:     0
    .vgpr_spill_count: 0
    .wavefront_size: 32
  - .args:
      - .offset:         0
        .size:           88
        .value_kind:     by_value
    .group_segment_fixed_size: 0
    .kernarg_segment_align: 8
    .kernarg_segment_size: 88
    .language:       OpenCL C
    .language_version:
      - 2
      - 0
    .max_flat_workgroup_size: 256
    .name:           _ZN7rocprim17ROCPRIM_400000_NS6detail17trampoline_kernelINS0_14default_configENS1_35radix_sort_onesweep_config_selectorIsNS0_10empty_typeEEEZZNS1_29radix_sort_onesweep_iterationIS3_Lb0EPKsPsPS5_SB_mNS0_19identity_decomposerENS1_16block_id_wrapperIjLb1EEEEE10hipError_tT1_PNSt15iterator_traitsISG_E10value_typeET2_T3_PNSH_ISM_E10value_typeET4_T5_PSR_SS_PNS1_23onesweep_lookback_stateEbbT6_jjT7_P12ihipStream_tbENKUlT_T0_SG_SL_E_clISA_SA_SB_SB_EEDaSZ_S10_SG_SL_EUlSZ_E_NS1_11comp_targetILNS1_3genE8ELNS1_11target_archE1030ELNS1_3gpuE2ELNS1_3repE0EEENS1_47radix_sort_onesweep_sort_config_static_selectorELNS0_4arch9wavefront6targetE0EEEvSG_
    .private_segment_fixed_size: 0
    .sgpr_count:     0
    .sgpr_spill_count: 0
    .symbol:         _ZN7rocprim17ROCPRIM_400000_NS6detail17trampoline_kernelINS0_14default_configENS1_35radix_sort_onesweep_config_selectorIsNS0_10empty_typeEEEZZNS1_29radix_sort_onesweep_iterationIS3_Lb0EPKsPsPS5_SB_mNS0_19identity_decomposerENS1_16block_id_wrapperIjLb1EEEEE10hipError_tT1_PNSt15iterator_traitsISG_E10value_typeET2_T3_PNSH_ISM_E10value_typeET4_T5_PSR_SS_PNS1_23onesweep_lookback_stateEbbT6_jjT7_P12ihipStream_tbENKUlT_T0_SG_SL_E_clISA_SA_SB_SB_EEDaSZ_S10_SG_SL_EUlSZ_E_NS1_11comp_targetILNS1_3genE8ELNS1_11target_archE1030ELNS1_3gpuE2ELNS1_3repE0EEENS1_47radix_sort_onesweep_sort_config_static_selectorELNS0_4arch9wavefront6targetE0EEEvSG_.kd
    .uniform_work_group_size: 1
    .uses_dynamic_stack: false
    .vgpr_count:     0
    .vgpr_spill_count: 0
    .wavefront_size: 32
  - .args:
      - .offset:         0
        .size:           88
        .value_kind:     by_value
      - .offset:         88
        .size:           4
        .value_kind:     hidden_block_count_x
      - .offset:         92
        .size:           4
        .value_kind:     hidden_block_count_y
      - .offset:         96
        .size:           4
        .value_kind:     hidden_block_count_z
      - .offset:         100
        .size:           2
        .value_kind:     hidden_group_size_x
      - .offset:         102
        .size:           2
        .value_kind:     hidden_group_size_y
      - .offset:         104
        .size:           2
        .value_kind:     hidden_group_size_z
      - .offset:         106
        .size:           2
        .value_kind:     hidden_remainder_x
      - .offset:         108
        .size:           2
        .value_kind:     hidden_remainder_y
      - .offset:         110
        .size:           2
        .value_kind:     hidden_remainder_z
      - .offset:         128
        .size:           8
        .value_kind:     hidden_global_offset_x
      - .offset:         136
        .size:           8
        .value_kind:     hidden_global_offset_y
      - .offset:         144
        .size:           8
        .value_kind:     hidden_global_offset_z
      - .offset:         152
        .size:           2
        .value_kind:     hidden_grid_dims
    .group_segment_fixed_size: 18504
    .kernarg_segment_align: 8
    .kernarg_segment_size: 344
    .language:       OpenCL C
    .language_version:
      - 2
      - 0
    .max_flat_workgroup_size: 512
    .name:           _ZN7rocprim17ROCPRIM_400000_NS6detail17trampoline_kernelINS0_14default_configENS1_35radix_sort_onesweep_config_selectorIsNS0_10empty_typeEEEZZNS1_29radix_sort_onesweep_iterationIS3_Lb0EPKsPsPS5_SB_mNS0_19identity_decomposerENS1_16block_id_wrapperIjLb0EEEEE10hipError_tT1_PNSt15iterator_traitsISG_E10value_typeET2_T3_PNSH_ISM_E10value_typeET4_T5_PSR_SS_PNS1_23onesweep_lookback_stateEbbT6_jjT7_P12ihipStream_tbENKUlT_T0_SG_SL_E_clIS9_SA_SB_SB_EEDaSZ_S10_SG_SL_EUlSZ_E_NS1_11comp_targetILNS1_3genE0ELNS1_11target_archE4294967295ELNS1_3gpuE0ELNS1_3repE0EEENS1_47radix_sort_onesweep_sort_config_static_selectorELNS0_4arch9wavefront6targetE0EEEvSG_
    .private_segment_fixed_size: 0
    .sgpr_count:     31
    .sgpr_spill_count: 0
    .symbol:         _ZN7rocprim17ROCPRIM_400000_NS6detail17trampoline_kernelINS0_14default_configENS1_35radix_sort_onesweep_config_selectorIsNS0_10empty_typeEEEZZNS1_29radix_sort_onesweep_iterationIS3_Lb0EPKsPsPS5_SB_mNS0_19identity_decomposerENS1_16block_id_wrapperIjLb0EEEEE10hipError_tT1_PNSt15iterator_traitsISG_E10value_typeET2_T3_PNSH_ISM_E10value_typeET4_T5_PSR_SS_PNS1_23onesweep_lookback_stateEbbT6_jjT7_P12ihipStream_tbENKUlT_T0_SG_SL_E_clIS9_SA_SB_SB_EEDaSZ_S10_SG_SL_EUlSZ_E_NS1_11comp_targetILNS1_3genE0ELNS1_11target_archE4294967295ELNS1_3gpuE0ELNS1_3repE0EEENS1_47radix_sort_onesweep_sort_config_static_selectorELNS0_4arch9wavefront6targetE0EEEvSG_.kd
    .uniform_work_group_size: 1
    .uses_dynamic_stack: false
    .vgpr_count:     65
    .vgpr_spill_count: 0
    .wavefront_size: 32
  - .args:
      - .offset:         0
        .size:           88
        .value_kind:     by_value
    .group_segment_fixed_size: 0
    .kernarg_segment_align: 8
    .kernarg_segment_size: 88
    .language:       OpenCL C
    .language_version:
      - 2
      - 0
    .max_flat_workgroup_size: 1024
    .name:           _ZN7rocprim17ROCPRIM_400000_NS6detail17trampoline_kernelINS0_14default_configENS1_35radix_sort_onesweep_config_selectorIsNS0_10empty_typeEEEZZNS1_29radix_sort_onesweep_iterationIS3_Lb0EPKsPsPS5_SB_mNS0_19identity_decomposerENS1_16block_id_wrapperIjLb0EEEEE10hipError_tT1_PNSt15iterator_traitsISG_E10value_typeET2_T3_PNSH_ISM_E10value_typeET4_T5_PSR_SS_PNS1_23onesweep_lookback_stateEbbT6_jjT7_P12ihipStream_tbENKUlT_T0_SG_SL_E_clIS9_SA_SB_SB_EEDaSZ_S10_SG_SL_EUlSZ_E_NS1_11comp_targetILNS1_3genE6ELNS1_11target_archE950ELNS1_3gpuE13ELNS1_3repE0EEENS1_47radix_sort_onesweep_sort_config_static_selectorELNS0_4arch9wavefront6targetE0EEEvSG_
    .private_segment_fixed_size: 0
    .sgpr_count:     0
    .sgpr_spill_count: 0
    .symbol:         _ZN7rocprim17ROCPRIM_400000_NS6detail17trampoline_kernelINS0_14default_configENS1_35radix_sort_onesweep_config_selectorIsNS0_10empty_typeEEEZZNS1_29radix_sort_onesweep_iterationIS3_Lb0EPKsPsPS5_SB_mNS0_19identity_decomposerENS1_16block_id_wrapperIjLb0EEEEE10hipError_tT1_PNSt15iterator_traitsISG_E10value_typeET2_T3_PNSH_ISM_E10value_typeET4_T5_PSR_SS_PNS1_23onesweep_lookback_stateEbbT6_jjT7_P12ihipStream_tbENKUlT_T0_SG_SL_E_clIS9_SA_SB_SB_EEDaSZ_S10_SG_SL_EUlSZ_E_NS1_11comp_targetILNS1_3genE6ELNS1_11target_archE950ELNS1_3gpuE13ELNS1_3repE0EEENS1_47radix_sort_onesweep_sort_config_static_selectorELNS0_4arch9wavefront6targetE0EEEvSG_.kd
    .uniform_work_group_size: 1
    .uses_dynamic_stack: false
    .vgpr_count:     0
    .vgpr_spill_count: 0
    .wavefront_size: 32
  - .args:
      - .offset:         0
        .size:           88
        .value_kind:     by_value
    .group_segment_fixed_size: 0
    .kernarg_segment_align: 8
    .kernarg_segment_size: 88
    .language:       OpenCL C
    .language_version:
      - 2
      - 0
    .max_flat_workgroup_size: 1024
    .name:           _ZN7rocprim17ROCPRIM_400000_NS6detail17trampoline_kernelINS0_14default_configENS1_35radix_sort_onesweep_config_selectorIsNS0_10empty_typeEEEZZNS1_29radix_sort_onesweep_iterationIS3_Lb0EPKsPsPS5_SB_mNS0_19identity_decomposerENS1_16block_id_wrapperIjLb0EEEEE10hipError_tT1_PNSt15iterator_traitsISG_E10value_typeET2_T3_PNSH_ISM_E10value_typeET4_T5_PSR_SS_PNS1_23onesweep_lookback_stateEbbT6_jjT7_P12ihipStream_tbENKUlT_T0_SG_SL_E_clIS9_SA_SB_SB_EEDaSZ_S10_SG_SL_EUlSZ_E_NS1_11comp_targetILNS1_3genE5ELNS1_11target_archE942ELNS1_3gpuE9ELNS1_3repE0EEENS1_47radix_sort_onesweep_sort_config_static_selectorELNS0_4arch9wavefront6targetE0EEEvSG_
    .private_segment_fixed_size: 0
    .sgpr_count:     0
    .sgpr_spill_count: 0
    .symbol:         _ZN7rocprim17ROCPRIM_400000_NS6detail17trampoline_kernelINS0_14default_configENS1_35radix_sort_onesweep_config_selectorIsNS0_10empty_typeEEEZZNS1_29radix_sort_onesweep_iterationIS3_Lb0EPKsPsPS5_SB_mNS0_19identity_decomposerENS1_16block_id_wrapperIjLb0EEEEE10hipError_tT1_PNSt15iterator_traitsISG_E10value_typeET2_T3_PNSH_ISM_E10value_typeET4_T5_PSR_SS_PNS1_23onesweep_lookback_stateEbbT6_jjT7_P12ihipStream_tbENKUlT_T0_SG_SL_E_clIS9_SA_SB_SB_EEDaSZ_S10_SG_SL_EUlSZ_E_NS1_11comp_targetILNS1_3genE5ELNS1_11target_archE942ELNS1_3gpuE9ELNS1_3repE0EEENS1_47radix_sort_onesweep_sort_config_static_selectorELNS0_4arch9wavefront6targetE0EEEvSG_.kd
    .uniform_work_group_size: 1
    .uses_dynamic_stack: false
    .vgpr_count:     0
    .vgpr_spill_count: 0
    .wavefront_size: 32
  - .args:
      - .offset:         0
        .size:           88
        .value_kind:     by_value
    .group_segment_fixed_size: 0
    .kernarg_segment_align: 8
    .kernarg_segment_size: 88
    .language:       OpenCL C
    .language_version:
      - 2
      - 0
    .max_flat_workgroup_size: 512
    .name:           _ZN7rocprim17ROCPRIM_400000_NS6detail17trampoline_kernelINS0_14default_configENS1_35radix_sort_onesweep_config_selectorIsNS0_10empty_typeEEEZZNS1_29radix_sort_onesweep_iterationIS3_Lb0EPKsPsPS5_SB_mNS0_19identity_decomposerENS1_16block_id_wrapperIjLb0EEEEE10hipError_tT1_PNSt15iterator_traitsISG_E10value_typeET2_T3_PNSH_ISM_E10value_typeET4_T5_PSR_SS_PNS1_23onesweep_lookback_stateEbbT6_jjT7_P12ihipStream_tbENKUlT_T0_SG_SL_E_clIS9_SA_SB_SB_EEDaSZ_S10_SG_SL_EUlSZ_E_NS1_11comp_targetILNS1_3genE2ELNS1_11target_archE906ELNS1_3gpuE6ELNS1_3repE0EEENS1_47radix_sort_onesweep_sort_config_static_selectorELNS0_4arch9wavefront6targetE0EEEvSG_
    .private_segment_fixed_size: 0
    .sgpr_count:     0
    .sgpr_spill_count: 0
    .symbol:         _ZN7rocprim17ROCPRIM_400000_NS6detail17trampoline_kernelINS0_14default_configENS1_35radix_sort_onesweep_config_selectorIsNS0_10empty_typeEEEZZNS1_29radix_sort_onesweep_iterationIS3_Lb0EPKsPsPS5_SB_mNS0_19identity_decomposerENS1_16block_id_wrapperIjLb0EEEEE10hipError_tT1_PNSt15iterator_traitsISG_E10value_typeET2_T3_PNSH_ISM_E10value_typeET4_T5_PSR_SS_PNS1_23onesweep_lookback_stateEbbT6_jjT7_P12ihipStream_tbENKUlT_T0_SG_SL_E_clIS9_SA_SB_SB_EEDaSZ_S10_SG_SL_EUlSZ_E_NS1_11comp_targetILNS1_3genE2ELNS1_11target_archE906ELNS1_3gpuE6ELNS1_3repE0EEENS1_47radix_sort_onesweep_sort_config_static_selectorELNS0_4arch9wavefront6targetE0EEEvSG_.kd
    .uniform_work_group_size: 1
    .uses_dynamic_stack: false
    .vgpr_count:     0
    .vgpr_spill_count: 0
    .wavefront_size: 32
  - .args:
      - .offset:         0
        .size:           88
        .value_kind:     by_value
    .group_segment_fixed_size: 0
    .kernarg_segment_align: 8
    .kernarg_segment_size: 88
    .language:       OpenCL C
    .language_version:
      - 2
      - 0
    .max_flat_workgroup_size: 1024
    .name:           _ZN7rocprim17ROCPRIM_400000_NS6detail17trampoline_kernelINS0_14default_configENS1_35radix_sort_onesweep_config_selectorIsNS0_10empty_typeEEEZZNS1_29radix_sort_onesweep_iterationIS3_Lb0EPKsPsPS5_SB_mNS0_19identity_decomposerENS1_16block_id_wrapperIjLb0EEEEE10hipError_tT1_PNSt15iterator_traitsISG_E10value_typeET2_T3_PNSH_ISM_E10value_typeET4_T5_PSR_SS_PNS1_23onesweep_lookback_stateEbbT6_jjT7_P12ihipStream_tbENKUlT_T0_SG_SL_E_clIS9_SA_SB_SB_EEDaSZ_S10_SG_SL_EUlSZ_E_NS1_11comp_targetILNS1_3genE4ELNS1_11target_archE910ELNS1_3gpuE8ELNS1_3repE0EEENS1_47radix_sort_onesweep_sort_config_static_selectorELNS0_4arch9wavefront6targetE0EEEvSG_
    .private_segment_fixed_size: 0
    .sgpr_count:     0
    .sgpr_spill_count: 0
    .symbol:         _ZN7rocprim17ROCPRIM_400000_NS6detail17trampoline_kernelINS0_14default_configENS1_35radix_sort_onesweep_config_selectorIsNS0_10empty_typeEEEZZNS1_29radix_sort_onesweep_iterationIS3_Lb0EPKsPsPS5_SB_mNS0_19identity_decomposerENS1_16block_id_wrapperIjLb0EEEEE10hipError_tT1_PNSt15iterator_traitsISG_E10value_typeET2_T3_PNSH_ISM_E10value_typeET4_T5_PSR_SS_PNS1_23onesweep_lookback_stateEbbT6_jjT7_P12ihipStream_tbENKUlT_T0_SG_SL_E_clIS9_SA_SB_SB_EEDaSZ_S10_SG_SL_EUlSZ_E_NS1_11comp_targetILNS1_3genE4ELNS1_11target_archE910ELNS1_3gpuE8ELNS1_3repE0EEENS1_47radix_sort_onesweep_sort_config_static_selectorELNS0_4arch9wavefront6targetE0EEEvSG_.kd
    .uniform_work_group_size: 1
    .uses_dynamic_stack: false
    .vgpr_count:     0
    .vgpr_spill_count: 0
    .wavefront_size: 32
  - .args:
      - .offset:         0
        .size:           88
        .value_kind:     by_value
    .group_segment_fixed_size: 0
    .kernarg_segment_align: 8
    .kernarg_segment_size: 88
    .language:       OpenCL C
    .language_version:
      - 2
      - 0
    .max_flat_workgroup_size: 512
    .name:           _ZN7rocprim17ROCPRIM_400000_NS6detail17trampoline_kernelINS0_14default_configENS1_35radix_sort_onesweep_config_selectorIsNS0_10empty_typeEEEZZNS1_29radix_sort_onesweep_iterationIS3_Lb0EPKsPsPS5_SB_mNS0_19identity_decomposerENS1_16block_id_wrapperIjLb0EEEEE10hipError_tT1_PNSt15iterator_traitsISG_E10value_typeET2_T3_PNSH_ISM_E10value_typeET4_T5_PSR_SS_PNS1_23onesweep_lookback_stateEbbT6_jjT7_P12ihipStream_tbENKUlT_T0_SG_SL_E_clIS9_SA_SB_SB_EEDaSZ_S10_SG_SL_EUlSZ_E_NS1_11comp_targetILNS1_3genE3ELNS1_11target_archE908ELNS1_3gpuE7ELNS1_3repE0EEENS1_47radix_sort_onesweep_sort_config_static_selectorELNS0_4arch9wavefront6targetE0EEEvSG_
    .private_segment_fixed_size: 0
    .sgpr_count:     0
    .sgpr_spill_count: 0
    .symbol:         _ZN7rocprim17ROCPRIM_400000_NS6detail17trampoline_kernelINS0_14default_configENS1_35radix_sort_onesweep_config_selectorIsNS0_10empty_typeEEEZZNS1_29radix_sort_onesweep_iterationIS3_Lb0EPKsPsPS5_SB_mNS0_19identity_decomposerENS1_16block_id_wrapperIjLb0EEEEE10hipError_tT1_PNSt15iterator_traitsISG_E10value_typeET2_T3_PNSH_ISM_E10value_typeET4_T5_PSR_SS_PNS1_23onesweep_lookback_stateEbbT6_jjT7_P12ihipStream_tbENKUlT_T0_SG_SL_E_clIS9_SA_SB_SB_EEDaSZ_S10_SG_SL_EUlSZ_E_NS1_11comp_targetILNS1_3genE3ELNS1_11target_archE908ELNS1_3gpuE7ELNS1_3repE0EEENS1_47radix_sort_onesweep_sort_config_static_selectorELNS0_4arch9wavefront6targetE0EEEvSG_.kd
    .uniform_work_group_size: 1
    .uses_dynamic_stack: false
    .vgpr_count:     0
    .vgpr_spill_count: 0
    .wavefront_size: 32
  - .args:
      - .offset:         0
        .size:           88
        .value_kind:     by_value
    .group_segment_fixed_size: 0
    .kernarg_segment_align: 8
    .kernarg_segment_size: 88
    .language:       OpenCL C
    .language_version:
      - 2
      - 0
    .max_flat_workgroup_size: 256
    .name:           _ZN7rocprim17ROCPRIM_400000_NS6detail17trampoline_kernelINS0_14default_configENS1_35radix_sort_onesweep_config_selectorIsNS0_10empty_typeEEEZZNS1_29radix_sort_onesweep_iterationIS3_Lb0EPKsPsPS5_SB_mNS0_19identity_decomposerENS1_16block_id_wrapperIjLb0EEEEE10hipError_tT1_PNSt15iterator_traitsISG_E10value_typeET2_T3_PNSH_ISM_E10value_typeET4_T5_PSR_SS_PNS1_23onesweep_lookback_stateEbbT6_jjT7_P12ihipStream_tbENKUlT_T0_SG_SL_E_clIS9_SA_SB_SB_EEDaSZ_S10_SG_SL_EUlSZ_E_NS1_11comp_targetILNS1_3genE10ELNS1_11target_archE1201ELNS1_3gpuE5ELNS1_3repE0EEENS1_47radix_sort_onesweep_sort_config_static_selectorELNS0_4arch9wavefront6targetE0EEEvSG_
    .private_segment_fixed_size: 0
    .sgpr_count:     0
    .sgpr_spill_count: 0
    .symbol:         _ZN7rocprim17ROCPRIM_400000_NS6detail17trampoline_kernelINS0_14default_configENS1_35radix_sort_onesweep_config_selectorIsNS0_10empty_typeEEEZZNS1_29radix_sort_onesweep_iterationIS3_Lb0EPKsPsPS5_SB_mNS0_19identity_decomposerENS1_16block_id_wrapperIjLb0EEEEE10hipError_tT1_PNSt15iterator_traitsISG_E10value_typeET2_T3_PNSH_ISM_E10value_typeET4_T5_PSR_SS_PNS1_23onesweep_lookback_stateEbbT6_jjT7_P12ihipStream_tbENKUlT_T0_SG_SL_E_clIS9_SA_SB_SB_EEDaSZ_S10_SG_SL_EUlSZ_E_NS1_11comp_targetILNS1_3genE10ELNS1_11target_archE1201ELNS1_3gpuE5ELNS1_3repE0EEENS1_47radix_sort_onesweep_sort_config_static_selectorELNS0_4arch9wavefront6targetE0EEEvSG_.kd
    .uniform_work_group_size: 1
    .uses_dynamic_stack: false
    .vgpr_count:     0
    .vgpr_spill_count: 0
    .wavefront_size: 32
  - .args:
      - .offset:         0
        .size:           88
        .value_kind:     by_value
    .group_segment_fixed_size: 0
    .kernarg_segment_align: 8
    .kernarg_segment_size: 88
    .language:       OpenCL C
    .language_version:
      - 2
      - 0
    .max_flat_workgroup_size: 256
    .name:           _ZN7rocprim17ROCPRIM_400000_NS6detail17trampoline_kernelINS0_14default_configENS1_35radix_sort_onesweep_config_selectorIsNS0_10empty_typeEEEZZNS1_29radix_sort_onesweep_iterationIS3_Lb0EPKsPsPS5_SB_mNS0_19identity_decomposerENS1_16block_id_wrapperIjLb0EEEEE10hipError_tT1_PNSt15iterator_traitsISG_E10value_typeET2_T3_PNSH_ISM_E10value_typeET4_T5_PSR_SS_PNS1_23onesweep_lookback_stateEbbT6_jjT7_P12ihipStream_tbENKUlT_T0_SG_SL_E_clIS9_SA_SB_SB_EEDaSZ_S10_SG_SL_EUlSZ_E_NS1_11comp_targetILNS1_3genE9ELNS1_11target_archE1100ELNS1_3gpuE3ELNS1_3repE0EEENS1_47radix_sort_onesweep_sort_config_static_selectorELNS0_4arch9wavefront6targetE0EEEvSG_
    .private_segment_fixed_size: 0
    .sgpr_count:     0
    .sgpr_spill_count: 0
    .symbol:         _ZN7rocprim17ROCPRIM_400000_NS6detail17trampoline_kernelINS0_14default_configENS1_35radix_sort_onesweep_config_selectorIsNS0_10empty_typeEEEZZNS1_29radix_sort_onesweep_iterationIS3_Lb0EPKsPsPS5_SB_mNS0_19identity_decomposerENS1_16block_id_wrapperIjLb0EEEEE10hipError_tT1_PNSt15iterator_traitsISG_E10value_typeET2_T3_PNSH_ISM_E10value_typeET4_T5_PSR_SS_PNS1_23onesweep_lookback_stateEbbT6_jjT7_P12ihipStream_tbENKUlT_T0_SG_SL_E_clIS9_SA_SB_SB_EEDaSZ_S10_SG_SL_EUlSZ_E_NS1_11comp_targetILNS1_3genE9ELNS1_11target_archE1100ELNS1_3gpuE3ELNS1_3repE0EEENS1_47radix_sort_onesweep_sort_config_static_selectorELNS0_4arch9wavefront6targetE0EEEvSG_.kd
    .uniform_work_group_size: 1
    .uses_dynamic_stack: false
    .vgpr_count:     0
    .vgpr_spill_count: 0
    .wavefront_size: 32
  - .args:
      - .offset:         0
        .size:           88
        .value_kind:     by_value
    .group_segment_fixed_size: 0
    .kernarg_segment_align: 8
    .kernarg_segment_size: 88
    .language:       OpenCL C
    .language_version:
      - 2
      - 0
    .max_flat_workgroup_size: 256
    .name:           _ZN7rocprim17ROCPRIM_400000_NS6detail17trampoline_kernelINS0_14default_configENS1_35radix_sort_onesweep_config_selectorIsNS0_10empty_typeEEEZZNS1_29radix_sort_onesweep_iterationIS3_Lb0EPKsPsPS5_SB_mNS0_19identity_decomposerENS1_16block_id_wrapperIjLb0EEEEE10hipError_tT1_PNSt15iterator_traitsISG_E10value_typeET2_T3_PNSH_ISM_E10value_typeET4_T5_PSR_SS_PNS1_23onesweep_lookback_stateEbbT6_jjT7_P12ihipStream_tbENKUlT_T0_SG_SL_E_clIS9_SA_SB_SB_EEDaSZ_S10_SG_SL_EUlSZ_E_NS1_11comp_targetILNS1_3genE8ELNS1_11target_archE1030ELNS1_3gpuE2ELNS1_3repE0EEENS1_47radix_sort_onesweep_sort_config_static_selectorELNS0_4arch9wavefront6targetE0EEEvSG_
    .private_segment_fixed_size: 0
    .sgpr_count:     0
    .sgpr_spill_count: 0
    .symbol:         _ZN7rocprim17ROCPRIM_400000_NS6detail17trampoline_kernelINS0_14default_configENS1_35radix_sort_onesweep_config_selectorIsNS0_10empty_typeEEEZZNS1_29radix_sort_onesweep_iterationIS3_Lb0EPKsPsPS5_SB_mNS0_19identity_decomposerENS1_16block_id_wrapperIjLb0EEEEE10hipError_tT1_PNSt15iterator_traitsISG_E10value_typeET2_T3_PNSH_ISM_E10value_typeET4_T5_PSR_SS_PNS1_23onesweep_lookback_stateEbbT6_jjT7_P12ihipStream_tbENKUlT_T0_SG_SL_E_clIS9_SA_SB_SB_EEDaSZ_S10_SG_SL_EUlSZ_E_NS1_11comp_targetILNS1_3genE8ELNS1_11target_archE1030ELNS1_3gpuE2ELNS1_3repE0EEENS1_47radix_sort_onesweep_sort_config_static_selectorELNS0_4arch9wavefront6targetE0EEEvSG_.kd
    .uniform_work_group_size: 1
    .uses_dynamic_stack: false
    .vgpr_count:     0
    .vgpr_spill_count: 0
    .wavefront_size: 32
  - .args:
      - .offset:         0
        .size:           88
        .value_kind:     by_value
      - .offset:         88
        .size:           4
        .value_kind:     hidden_block_count_x
      - .offset:         92
        .size:           4
        .value_kind:     hidden_block_count_y
      - .offset:         96
        .size:           4
        .value_kind:     hidden_block_count_z
      - .offset:         100
        .size:           2
        .value_kind:     hidden_group_size_x
      - .offset:         102
        .size:           2
        .value_kind:     hidden_group_size_y
      - .offset:         104
        .size:           2
        .value_kind:     hidden_group_size_z
      - .offset:         106
        .size:           2
        .value_kind:     hidden_remainder_x
      - .offset:         108
        .size:           2
        .value_kind:     hidden_remainder_y
      - .offset:         110
        .size:           2
        .value_kind:     hidden_remainder_z
      - .offset:         128
        .size:           8
        .value_kind:     hidden_global_offset_x
      - .offset:         136
        .size:           8
        .value_kind:     hidden_global_offset_y
      - .offset:         144
        .size:           8
        .value_kind:     hidden_global_offset_z
      - .offset:         152
        .size:           2
        .value_kind:     hidden_grid_dims
    .group_segment_fixed_size: 18504
    .kernarg_segment_align: 8
    .kernarg_segment_size: 344
    .language:       OpenCL C
    .language_version:
      - 2
      - 0
    .max_flat_workgroup_size: 512
    .name:           _ZN7rocprim17ROCPRIM_400000_NS6detail17trampoline_kernelINS0_14default_configENS1_35radix_sort_onesweep_config_selectorIsNS0_10empty_typeEEEZZNS1_29radix_sort_onesweep_iterationIS3_Lb0EPKsPsPS5_SB_mNS0_19identity_decomposerENS1_16block_id_wrapperIjLb0EEEEE10hipError_tT1_PNSt15iterator_traitsISG_E10value_typeET2_T3_PNSH_ISM_E10value_typeET4_T5_PSR_SS_PNS1_23onesweep_lookback_stateEbbT6_jjT7_P12ihipStream_tbENKUlT_T0_SG_SL_E_clISA_SA_SB_SB_EEDaSZ_S10_SG_SL_EUlSZ_E_NS1_11comp_targetILNS1_3genE0ELNS1_11target_archE4294967295ELNS1_3gpuE0ELNS1_3repE0EEENS1_47radix_sort_onesweep_sort_config_static_selectorELNS0_4arch9wavefront6targetE0EEEvSG_
    .private_segment_fixed_size: 0
    .sgpr_count:     31
    .sgpr_spill_count: 0
    .symbol:         _ZN7rocprim17ROCPRIM_400000_NS6detail17trampoline_kernelINS0_14default_configENS1_35radix_sort_onesweep_config_selectorIsNS0_10empty_typeEEEZZNS1_29radix_sort_onesweep_iterationIS3_Lb0EPKsPsPS5_SB_mNS0_19identity_decomposerENS1_16block_id_wrapperIjLb0EEEEE10hipError_tT1_PNSt15iterator_traitsISG_E10value_typeET2_T3_PNSH_ISM_E10value_typeET4_T5_PSR_SS_PNS1_23onesweep_lookback_stateEbbT6_jjT7_P12ihipStream_tbENKUlT_T0_SG_SL_E_clISA_SA_SB_SB_EEDaSZ_S10_SG_SL_EUlSZ_E_NS1_11comp_targetILNS1_3genE0ELNS1_11target_archE4294967295ELNS1_3gpuE0ELNS1_3repE0EEENS1_47radix_sort_onesweep_sort_config_static_selectorELNS0_4arch9wavefront6targetE0EEEvSG_.kd
    .uniform_work_group_size: 1
    .uses_dynamic_stack: false
    .vgpr_count:     65
    .vgpr_spill_count: 0
    .wavefront_size: 32
  - .args:
      - .offset:         0
        .size:           88
        .value_kind:     by_value
    .group_segment_fixed_size: 0
    .kernarg_segment_align: 8
    .kernarg_segment_size: 88
    .language:       OpenCL C
    .language_version:
      - 2
      - 0
    .max_flat_workgroup_size: 1024
    .name:           _ZN7rocprim17ROCPRIM_400000_NS6detail17trampoline_kernelINS0_14default_configENS1_35radix_sort_onesweep_config_selectorIsNS0_10empty_typeEEEZZNS1_29radix_sort_onesweep_iterationIS3_Lb0EPKsPsPS5_SB_mNS0_19identity_decomposerENS1_16block_id_wrapperIjLb0EEEEE10hipError_tT1_PNSt15iterator_traitsISG_E10value_typeET2_T3_PNSH_ISM_E10value_typeET4_T5_PSR_SS_PNS1_23onesweep_lookback_stateEbbT6_jjT7_P12ihipStream_tbENKUlT_T0_SG_SL_E_clISA_SA_SB_SB_EEDaSZ_S10_SG_SL_EUlSZ_E_NS1_11comp_targetILNS1_3genE6ELNS1_11target_archE950ELNS1_3gpuE13ELNS1_3repE0EEENS1_47radix_sort_onesweep_sort_config_static_selectorELNS0_4arch9wavefront6targetE0EEEvSG_
    .private_segment_fixed_size: 0
    .sgpr_count:     0
    .sgpr_spill_count: 0
    .symbol:         _ZN7rocprim17ROCPRIM_400000_NS6detail17trampoline_kernelINS0_14default_configENS1_35radix_sort_onesweep_config_selectorIsNS0_10empty_typeEEEZZNS1_29radix_sort_onesweep_iterationIS3_Lb0EPKsPsPS5_SB_mNS0_19identity_decomposerENS1_16block_id_wrapperIjLb0EEEEE10hipError_tT1_PNSt15iterator_traitsISG_E10value_typeET2_T3_PNSH_ISM_E10value_typeET4_T5_PSR_SS_PNS1_23onesweep_lookback_stateEbbT6_jjT7_P12ihipStream_tbENKUlT_T0_SG_SL_E_clISA_SA_SB_SB_EEDaSZ_S10_SG_SL_EUlSZ_E_NS1_11comp_targetILNS1_3genE6ELNS1_11target_archE950ELNS1_3gpuE13ELNS1_3repE0EEENS1_47radix_sort_onesweep_sort_config_static_selectorELNS0_4arch9wavefront6targetE0EEEvSG_.kd
    .uniform_work_group_size: 1
    .uses_dynamic_stack: false
    .vgpr_count:     0
    .vgpr_spill_count: 0
    .wavefront_size: 32
  - .args:
      - .offset:         0
        .size:           88
        .value_kind:     by_value
    .group_segment_fixed_size: 0
    .kernarg_segment_align: 8
    .kernarg_segment_size: 88
    .language:       OpenCL C
    .language_version:
      - 2
      - 0
    .max_flat_workgroup_size: 1024
    .name:           _ZN7rocprim17ROCPRIM_400000_NS6detail17trampoline_kernelINS0_14default_configENS1_35radix_sort_onesweep_config_selectorIsNS0_10empty_typeEEEZZNS1_29radix_sort_onesweep_iterationIS3_Lb0EPKsPsPS5_SB_mNS0_19identity_decomposerENS1_16block_id_wrapperIjLb0EEEEE10hipError_tT1_PNSt15iterator_traitsISG_E10value_typeET2_T3_PNSH_ISM_E10value_typeET4_T5_PSR_SS_PNS1_23onesweep_lookback_stateEbbT6_jjT7_P12ihipStream_tbENKUlT_T0_SG_SL_E_clISA_SA_SB_SB_EEDaSZ_S10_SG_SL_EUlSZ_E_NS1_11comp_targetILNS1_3genE5ELNS1_11target_archE942ELNS1_3gpuE9ELNS1_3repE0EEENS1_47radix_sort_onesweep_sort_config_static_selectorELNS0_4arch9wavefront6targetE0EEEvSG_
    .private_segment_fixed_size: 0
    .sgpr_count:     0
    .sgpr_spill_count: 0
    .symbol:         _ZN7rocprim17ROCPRIM_400000_NS6detail17trampoline_kernelINS0_14default_configENS1_35radix_sort_onesweep_config_selectorIsNS0_10empty_typeEEEZZNS1_29radix_sort_onesweep_iterationIS3_Lb0EPKsPsPS5_SB_mNS0_19identity_decomposerENS1_16block_id_wrapperIjLb0EEEEE10hipError_tT1_PNSt15iterator_traitsISG_E10value_typeET2_T3_PNSH_ISM_E10value_typeET4_T5_PSR_SS_PNS1_23onesweep_lookback_stateEbbT6_jjT7_P12ihipStream_tbENKUlT_T0_SG_SL_E_clISA_SA_SB_SB_EEDaSZ_S10_SG_SL_EUlSZ_E_NS1_11comp_targetILNS1_3genE5ELNS1_11target_archE942ELNS1_3gpuE9ELNS1_3repE0EEENS1_47radix_sort_onesweep_sort_config_static_selectorELNS0_4arch9wavefront6targetE0EEEvSG_.kd
    .uniform_work_group_size: 1
    .uses_dynamic_stack: false
    .vgpr_count:     0
    .vgpr_spill_count: 0
    .wavefront_size: 32
  - .args:
      - .offset:         0
        .size:           88
        .value_kind:     by_value
    .group_segment_fixed_size: 0
    .kernarg_segment_align: 8
    .kernarg_segment_size: 88
    .language:       OpenCL C
    .language_version:
      - 2
      - 0
    .max_flat_workgroup_size: 512
    .name:           _ZN7rocprim17ROCPRIM_400000_NS6detail17trampoline_kernelINS0_14default_configENS1_35radix_sort_onesweep_config_selectorIsNS0_10empty_typeEEEZZNS1_29radix_sort_onesweep_iterationIS3_Lb0EPKsPsPS5_SB_mNS0_19identity_decomposerENS1_16block_id_wrapperIjLb0EEEEE10hipError_tT1_PNSt15iterator_traitsISG_E10value_typeET2_T3_PNSH_ISM_E10value_typeET4_T5_PSR_SS_PNS1_23onesweep_lookback_stateEbbT6_jjT7_P12ihipStream_tbENKUlT_T0_SG_SL_E_clISA_SA_SB_SB_EEDaSZ_S10_SG_SL_EUlSZ_E_NS1_11comp_targetILNS1_3genE2ELNS1_11target_archE906ELNS1_3gpuE6ELNS1_3repE0EEENS1_47radix_sort_onesweep_sort_config_static_selectorELNS0_4arch9wavefront6targetE0EEEvSG_
    .private_segment_fixed_size: 0
    .sgpr_count:     0
    .sgpr_spill_count: 0
    .symbol:         _ZN7rocprim17ROCPRIM_400000_NS6detail17trampoline_kernelINS0_14default_configENS1_35radix_sort_onesweep_config_selectorIsNS0_10empty_typeEEEZZNS1_29radix_sort_onesweep_iterationIS3_Lb0EPKsPsPS5_SB_mNS0_19identity_decomposerENS1_16block_id_wrapperIjLb0EEEEE10hipError_tT1_PNSt15iterator_traitsISG_E10value_typeET2_T3_PNSH_ISM_E10value_typeET4_T5_PSR_SS_PNS1_23onesweep_lookback_stateEbbT6_jjT7_P12ihipStream_tbENKUlT_T0_SG_SL_E_clISA_SA_SB_SB_EEDaSZ_S10_SG_SL_EUlSZ_E_NS1_11comp_targetILNS1_3genE2ELNS1_11target_archE906ELNS1_3gpuE6ELNS1_3repE0EEENS1_47radix_sort_onesweep_sort_config_static_selectorELNS0_4arch9wavefront6targetE0EEEvSG_.kd
    .uniform_work_group_size: 1
    .uses_dynamic_stack: false
    .vgpr_count:     0
    .vgpr_spill_count: 0
    .wavefront_size: 32
  - .args:
      - .offset:         0
        .size:           88
        .value_kind:     by_value
    .group_segment_fixed_size: 0
    .kernarg_segment_align: 8
    .kernarg_segment_size: 88
    .language:       OpenCL C
    .language_version:
      - 2
      - 0
    .max_flat_workgroup_size: 1024
    .name:           _ZN7rocprim17ROCPRIM_400000_NS6detail17trampoline_kernelINS0_14default_configENS1_35radix_sort_onesweep_config_selectorIsNS0_10empty_typeEEEZZNS1_29radix_sort_onesweep_iterationIS3_Lb0EPKsPsPS5_SB_mNS0_19identity_decomposerENS1_16block_id_wrapperIjLb0EEEEE10hipError_tT1_PNSt15iterator_traitsISG_E10value_typeET2_T3_PNSH_ISM_E10value_typeET4_T5_PSR_SS_PNS1_23onesweep_lookback_stateEbbT6_jjT7_P12ihipStream_tbENKUlT_T0_SG_SL_E_clISA_SA_SB_SB_EEDaSZ_S10_SG_SL_EUlSZ_E_NS1_11comp_targetILNS1_3genE4ELNS1_11target_archE910ELNS1_3gpuE8ELNS1_3repE0EEENS1_47radix_sort_onesweep_sort_config_static_selectorELNS0_4arch9wavefront6targetE0EEEvSG_
    .private_segment_fixed_size: 0
    .sgpr_count:     0
    .sgpr_spill_count: 0
    .symbol:         _ZN7rocprim17ROCPRIM_400000_NS6detail17trampoline_kernelINS0_14default_configENS1_35radix_sort_onesweep_config_selectorIsNS0_10empty_typeEEEZZNS1_29radix_sort_onesweep_iterationIS3_Lb0EPKsPsPS5_SB_mNS0_19identity_decomposerENS1_16block_id_wrapperIjLb0EEEEE10hipError_tT1_PNSt15iterator_traitsISG_E10value_typeET2_T3_PNSH_ISM_E10value_typeET4_T5_PSR_SS_PNS1_23onesweep_lookback_stateEbbT6_jjT7_P12ihipStream_tbENKUlT_T0_SG_SL_E_clISA_SA_SB_SB_EEDaSZ_S10_SG_SL_EUlSZ_E_NS1_11comp_targetILNS1_3genE4ELNS1_11target_archE910ELNS1_3gpuE8ELNS1_3repE0EEENS1_47radix_sort_onesweep_sort_config_static_selectorELNS0_4arch9wavefront6targetE0EEEvSG_.kd
    .uniform_work_group_size: 1
    .uses_dynamic_stack: false
    .vgpr_count:     0
    .vgpr_spill_count: 0
    .wavefront_size: 32
  - .args:
      - .offset:         0
        .size:           88
        .value_kind:     by_value
    .group_segment_fixed_size: 0
    .kernarg_segment_align: 8
    .kernarg_segment_size: 88
    .language:       OpenCL C
    .language_version:
      - 2
      - 0
    .max_flat_workgroup_size: 512
    .name:           _ZN7rocprim17ROCPRIM_400000_NS6detail17trampoline_kernelINS0_14default_configENS1_35radix_sort_onesweep_config_selectorIsNS0_10empty_typeEEEZZNS1_29radix_sort_onesweep_iterationIS3_Lb0EPKsPsPS5_SB_mNS0_19identity_decomposerENS1_16block_id_wrapperIjLb0EEEEE10hipError_tT1_PNSt15iterator_traitsISG_E10value_typeET2_T3_PNSH_ISM_E10value_typeET4_T5_PSR_SS_PNS1_23onesweep_lookback_stateEbbT6_jjT7_P12ihipStream_tbENKUlT_T0_SG_SL_E_clISA_SA_SB_SB_EEDaSZ_S10_SG_SL_EUlSZ_E_NS1_11comp_targetILNS1_3genE3ELNS1_11target_archE908ELNS1_3gpuE7ELNS1_3repE0EEENS1_47radix_sort_onesweep_sort_config_static_selectorELNS0_4arch9wavefront6targetE0EEEvSG_
    .private_segment_fixed_size: 0
    .sgpr_count:     0
    .sgpr_spill_count: 0
    .symbol:         _ZN7rocprim17ROCPRIM_400000_NS6detail17trampoline_kernelINS0_14default_configENS1_35radix_sort_onesweep_config_selectorIsNS0_10empty_typeEEEZZNS1_29radix_sort_onesweep_iterationIS3_Lb0EPKsPsPS5_SB_mNS0_19identity_decomposerENS1_16block_id_wrapperIjLb0EEEEE10hipError_tT1_PNSt15iterator_traitsISG_E10value_typeET2_T3_PNSH_ISM_E10value_typeET4_T5_PSR_SS_PNS1_23onesweep_lookback_stateEbbT6_jjT7_P12ihipStream_tbENKUlT_T0_SG_SL_E_clISA_SA_SB_SB_EEDaSZ_S10_SG_SL_EUlSZ_E_NS1_11comp_targetILNS1_3genE3ELNS1_11target_archE908ELNS1_3gpuE7ELNS1_3repE0EEENS1_47radix_sort_onesweep_sort_config_static_selectorELNS0_4arch9wavefront6targetE0EEEvSG_.kd
    .uniform_work_group_size: 1
    .uses_dynamic_stack: false
    .vgpr_count:     0
    .vgpr_spill_count: 0
    .wavefront_size: 32
  - .args:
      - .offset:         0
        .size:           88
        .value_kind:     by_value
    .group_segment_fixed_size: 0
    .kernarg_segment_align: 8
    .kernarg_segment_size: 88
    .language:       OpenCL C
    .language_version:
      - 2
      - 0
    .max_flat_workgroup_size: 256
    .name:           _ZN7rocprim17ROCPRIM_400000_NS6detail17trampoline_kernelINS0_14default_configENS1_35radix_sort_onesweep_config_selectorIsNS0_10empty_typeEEEZZNS1_29radix_sort_onesweep_iterationIS3_Lb0EPKsPsPS5_SB_mNS0_19identity_decomposerENS1_16block_id_wrapperIjLb0EEEEE10hipError_tT1_PNSt15iterator_traitsISG_E10value_typeET2_T3_PNSH_ISM_E10value_typeET4_T5_PSR_SS_PNS1_23onesweep_lookback_stateEbbT6_jjT7_P12ihipStream_tbENKUlT_T0_SG_SL_E_clISA_SA_SB_SB_EEDaSZ_S10_SG_SL_EUlSZ_E_NS1_11comp_targetILNS1_3genE10ELNS1_11target_archE1201ELNS1_3gpuE5ELNS1_3repE0EEENS1_47radix_sort_onesweep_sort_config_static_selectorELNS0_4arch9wavefront6targetE0EEEvSG_
    .private_segment_fixed_size: 0
    .sgpr_count:     0
    .sgpr_spill_count: 0
    .symbol:         _ZN7rocprim17ROCPRIM_400000_NS6detail17trampoline_kernelINS0_14default_configENS1_35radix_sort_onesweep_config_selectorIsNS0_10empty_typeEEEZZNS1_29radix_sort_onesweep_iterationIS3_Lb0EPKsPsPS5_SB_mNS0_19identity_decomposerENS1_16block_id_wrapperIjLb0EEEEE10hipError_tT1_PNSt15iterator_traitsISG_E10value_typeET2_T3_PNSH_ISM_E10value_typeET4_T5_PSR_SS_PNS1_23onesweep_lookback_stateEbbT6_jjT7_P12ihipStream_tbENKUlT_T0_SG_SL_E_clISA_SA_SB_SB_EEDaSZ_S10_SG_SL_EUlSZ_E_NS1_11comp_targetILNS1_3genE10ELNS1_11target_archE1201ELNS1_3gpuE5ELNS1_3repE0EEENS1_47radix_sort_onesweep_sort_config_static_selectorELNS0_4arch9wavefront6targetE0EEEvSG_.kd
    .uniform_work_group_size: 1
    .uses_dynamic_stack: false
    .vgpr_count:     0
    .vgpr_spill_count: 0
    .wavefront_size: 32
  - .args:
      - .offset:         0
        .size:           88
        .value_kind:     by_value
    .group_segment_fixed_size: 0
    .kernarg_segment_align: 8
    .kernarg_segment_size: 88
    .language:       OpenCL C
    .language_version:
      - 2
      - 0
    .max_flat_workgroup_size: 256
    .name:           _ZN7rocprim17ROCPRIM_400000_NS6detail17trampoline_kernelINS0_14default_configENS1_35radix_sort_onesweep_config_selectorIsNS0_10empty_typeEEEZZNS1_29radix_sort_onesweep_iterationIS3_Lb0EPKsPsPS5_SB_mNS0_19identity_decomposerENS1_16block_id_wrapperIjLb0EEEEE10hipError_tT1_PNSt15iterator_traitsISG_E10value_typeET2_T3_PNSH_ISM_E10value_typeET4_T5_PSR_SS_PNS1_23onesweep_lookback_stateEbbT6_jjT7_P12ihipStream_tbENKUlT_T0_SG_SL_E_clISA_SA_SB_SB_EEDaSZ_S10_SG_SL_EUlSZ_E_NS1_11comp_targetILNS1_3genE9ELNS1_11target_archE1100ELNS1_3gpuE3ELNS1_3repE0EEENS1_47radix_sort_onesweep_sort_config_static_selectorELNS0_4arch9wavefront6targetE0EEEvSG_
    .private_segment_fixed_size: 0
    .sgpr_count:     0
    .sgpr_spill_count: 0
    .symbol:         _ZN7rocprim17ROCPRIM_400000_NS6detail17trampoline_kernelINS0_14default_configENS1_35radix_sort_onesweep_config_selectorIsNS0_10empty_typeEEEZZNS1_29radix_sort_onesweep_iterationIS3_Lb0EPKsPsPS5_SB_mNS0_19identity_decomposerENS1_16block_id_wrapperIjLb0EEEEE10hipError_tT1_PNSt15iterator_traitsISG_E10value_typeET2_T3_PNSH_ISM_E10value_typeET4_T5_PSR_SS_PNS1_23onesweep_lookback_stateEbbT6_jjT7_P12ihipStream_tbENKUlT_T0_SG_SL_E_clISA_SA_SB_SB_EEDaSZ_S10_SG_SL_EUlSZ_E_NS1_11comp_targetILNS1_3genE9ELNS1_11target_archE1100ELNS1_3gpuE3ELNS1_3repE0EEENS1_47radix_sort_onesweep_sort_config_static_selectorELNS0_4arch9wavefront6targetE0EEEvSG_.kd
    .uniform_work_group_size: 1
    .uses_dynamic_stack: false
    .vgpr_count:     0
    .vgpr_spill_count: 0
    .wavefront_size: 32
  - .args:
      - .offset:         0
        .size:           88
        .value_kind:     by_value
    .group_segment_fixed_size: 0
    .kernarg_segment_align: 8
    .kernarg_segment_size: 88
    .language:       OpenCL C
    .language_version:
      - 2
      - 0
    .max_flat_workgroup_size: 256
    .name:           _ZN7rocprim17ROCPRIM_400000_NS6detail17trampoline_kernelINS0_14default_configENS1_35radix_sort_onesweep_config_selectorIsNS0_10empty_typeEEEZZNS1_29radix_sort_onesweep_iterationIS3_Lb0EPKsPsPS5_SB_mNS0_19identity_decomposerENS1_16block_id_wrapperIjLb0EEEEE10hipError_tT1_PNSt15iterator_traitsISG_E10value_typeET2_T3_PNSH_ISM_E10value_typeET4_T5_PSR_SS_PNS1_23onesweep_lookback_stateEbbT6_jjT7_P12ihipStream_tbENKUlT_T0_SG_SL_E_clISA_SA_SB_SB_EEDaSZ_S10_SG_SL_EUlSZ_E_NS1_11comp_targetILNS1_3genE8ELNS1_11target_archE1030ELNS1_3gpuE2ELNS1_3repE0EEENS1_47radix_sort_onesweep_sort_config_static_selectorELNS0_4arch9wavefront6targetE0EEEvSG_
    .private_segment_fixed_size: 0
    .sgpr_count:     0
    .sgpr_spill_count: 0
    .symbol:         _ZN7rocprim17ROCPRIM_400000_NS6detail17trampoline_kernelINS0_14default_configENS1_35radix_sort_onesweep_config_selectorIsNS0_10empty_typeEEEZZNS1_29radix_sort_onesweep_iterationIS3_Lb0EPKsPsPS5_SB_mNS0_19identity_decomposerENS1_16block_id_wrapperIjLb0EEEEE10hipError_tT1_PNSt15iterator_traitsISG_E10value_typeET2_T3_PNSH_ISM_E10value_typeET4_T5_PSR_SS_PNS1_23onesweep_lookback_stateEbbT6_jjT7_P12ihipStream_tbENKUlT_T0_SG_SL_E_clISA_SA_SB_SB_EEDaSZ_S10_SG_SL_EUlSZ_E_NS1_11comp_targetILNS1_3genE8ELNS1_11target_archE1030ELNS1_3gpuE2ELNS1_3repE0EEENS1_47radix_sort_onesweep_sort_config_static_selectorELNS0_4arch9wavefront6targetE0EEEvSG_.kd
    .uniform_work_group_size: 1
    .uses_dynamic_stack: false
    .vgpr_count:     0
    .vgpr_spill_count: 0
    .wavefront_size: 32
  - .args:
      - .offset:         0
        .size:           48
        .value_kind:     by_value
      - .offset:         48
        .size:           4
        .value_kind:     hidden_block_count_x
      - .offset:         52
        .size:           4
        .value_kind:     hidden_block_count_y
      - .offset:         56
        .size:           4
        .value_kind:     hidden_block_count_z
      - .offset:         60
        .size:           2
        .value_kind:     hidden_group_size_x
      - .offset:         62
        .size:           2
        .value_kind:     hidden_group_size_y
      - .offset:         64
        .size:           2
        .value_kind:     hidden_group_size_z
      - .offset:         66
        .size:           2
        .value_kind:     hidden_remainder_x
      - .offset:         68
        .size:           2
        .value_kind:     hidden_remainder_y
      - .offset:         70
        .size:           2
        .value_kind:     hidden_remainder_z
      - .offset:         88
        .size:           8
        .value_kind:     hidden_global_offset_x
      - .offset:         96
        .size:           8
        .value_kind:     hidden_global_offset_y
      - .offset:         104
        .size:           8
        .value_kind:     hidden_global_offset_z
      - .offset:         112
        .size:           2
        .value_kind:     hidden_grid_dims
    .group_segment_fixed_size: 8224
    .kernarg_segment_align: 8
    .kernarg_segment_size: 304
    .language:       OpenCL C
    .language_version:
      - 2
      - 0
    .max_flat_workgroup_size: 256
    .name:           _ZN7rocprim17ROCPRIM_400000_NS6detail17trampoline_kernelINS0_13kernel_configILj256ELj4ELj4294967295EEENS1_37radix_sort_block_sort_config_selectorIiNS0_10empty_typeEEEZNS1_21radix_sort_block_sortIS4_Lb1EPKiPiPS6_SC_NS0_19identity_decomposerEEE10hipError_tT1_T2_T3_T4_jRjT5_jjP12ihipStream_tbEUlT_E_NS1_11comp_targetILNS1_3genE0ELNS1_11target_archE4294967295ELNS1_3gpuE0ELNS1_3repE0EEENS1_44radix_sort_block_sort_config_static_selectorELNS0_4arch9wavefront6targetE0EEEvSF_
    .private_segment_fixed_size: 0
    .sgpr_count:     31
    .sgpr_spill_count: 0
    .symbol:         _ZN7rocprim17ROCPRIM_400000_NS6detail17trampoline_kernelINS0_13kernel_configILj256ELj4ELj4294967295EEENS1_37radix_sort_block_sort_config_selectorIiNS0_10empty_typeEEEZNS1_21radix_sort_block_sortIS4_Lb1EPKiPiPS6_SC_NS0_19identity_decomposerEEE10hipError_tT1_T2_T3_T4_jRjT5_jjP12ihipStream_tbEUlT_E_NS1_11comp_targetILNS1_3genE0ELNS1_11target_archE4294967295ELNS1_3gpuE0ELNS1_3repE0EEENS1_44radix_sort_block_sort_config_static_selectorELNS0_4arch9wavefront6targetE0EEEvSF_.kd
    .uniform_work_group_size: 1
    .uses_dynamic_stack: false
    .vgpr_count:     38
    .vgpr_spill_count: 0
    .wavefront_size: 32
  - .args:
      - .offset:         0
        .size:           48
        .value_kind:     by_value
    .group_segment_fixed_size: 0
    .kernarg_segment_align: 8
    .kernarg_segment_size: 48
    .language:       OpenCL C
    .language_version:
      - 2
      - 0
    .max_flat_workgroup_size: 256
    .name:           _ZN7rocprim17ROCPRIM_400000_NS6detail17trampoline_kernelINS0_13kernel_configILj256ELj4ELj4294967295EEENS1_37radix_sort_block_sort_config_selectorIiNS0_10empty_typeEEEZNS1_21radix_sort_block_sortIS4_Lb1EPKiPiPS6_SC_NS0_19identity_decomposerEEE10hipError_tT1_T2_T3_T4_jRjT5_jjP12ihipStream_tbEUlT_E_NS1_11comp_targetILNS1_3genE5ELNS1_11target_archE942ELNS1_3gpuE9ELNS1_3repE0EEENS1_44radix_sort_block_sort_config_static_selectorELNS0_4arch9wavefront6targetE0EEEvSF_
    .private_segment_fixed_size: 0
    .sgpr_count:     0
    .sgpr_spill_count: 0
    .symbol:         _ZN7rocprim17ROCPRIM_400000_NS6detail17trampoline_kernelINS0_13kernel_configILj256ELj4ELj4294967295EEENS1_37radix_sort_block_sort_config_selectorIiNS0_10empty_typeEEEZNS1_21radix_sort_block_sortIS4_Lb1EPKiPiPS6_SC_NS0_19identity_decomposerEEE10hipError_tT1_T2_T3_T4_jRjT5_jjP12ihipStream_tbEUlT_E_NS1_11comp_targetILNS1_3genE5ELNS1_11target_archE942ELNS1_3gpuE9ELNS1_3repE0EEENS1_44radix_sort_block_sort_config_static_selectorELNS0_4arch9wavefront6targetE0EEEvSF_.kd
    .uniform_work_group_size: 1
    .uses_dynamic_stack: false
    .vgpr_count:     0
    .vgpr_spill_count: 0
    .wavefront_size: 32
  - .args:
      - .offset:         0
        .size:           48
        .value_kind:     by_value
    .group_segment_fixed_size: 0
    .kernarg_segment_align: 8
    .kernarg_segment_size: 48
    .language:       OpenCL C
    .language_version:
      - 2
      - 0
    .max_flat_workgroup_size: 256
    .name:           _ZN7rocprim17ROCPRIM_400000_NS6detail17trampoline_kernelINS0_13kernel_configILj256ELj4ELj4294967295EEENS1_37radix_sort_block_sort_config_selectorIiNS0_10empty_typeEEEZNS1_21radix_sort_block_sortIS4_Lb1EPKiPiPS6_SC_NS0_19identity_decomposerEEE10hipError_tT1_T2_T3_T4_jRjT5_jjP12ihipStream_tbEUlT_E_NS1_11comp_targetILNS1_3genE4ELNS1_11target_archE910ELNS1_3gpuE8ELNS1_3repE0EEENS1_44radix_sort_block_sort_config_static_selectorELNS0_4arch9wavefront6targetE0EEEvSF_
    .private_segment_fixed_size: 0
    .sgpr_count:     0
    .sgpr_spill_count: 0
    .symbol:         _ZN7rocprim17ROCPRIM_400000_NS6detail17trampoline_kernelINS0_13kernel_configILj256ELj4ELj4294967295EEENS1_37radix_sort_block_sort_config_selectorIiNS0_10empty_typeEEEZNS1_21radix_sort_block_sortIS4_Lb1EPKiPiPS6_SC_NS0_19identity_decomposerEEE10hipError_tT1_T2_T3_T4_jRjT5_jjP12ihipStream_tbEUlT_E_NS1_11comp_targetILNS1_3genE4ELNS1_11target_archE910ELNS1_3gpuE8ELNS1_3repE0EEENS1_44radix_sort_block_sort_config_static_selectorELNS0_4arch9wavefront6targetE0EEEvSF_.kd
    .uniform_work_group_size: 1
    .uses_dynamic_stack: false
    .vgpr_count:     0
    .vgpr_spill_count: 0
    .wavefront_size: 32
  - .args:
      - .offset:         0
        .size:           48
        .value_kind:     by_value
    .group_segment_fixed_size: 0
    .kernarg_segment_align: 8
    .kernarg_segment_size: 48
    .language:       OpenCL C
    .language_version:
      - 2
      - 0
    .max_flat_workgroup_size: 256
    .name:           _ZN7rocprim17ROCPRIM_400000_NS6detail17trampoline_kernelINS0_13kernel_configILj256ELj4ELj4294967295EEENS1_37radix_sort_block_sort_config_selectorIiNS0_10empty_typeEEEZNS1_21radix_sort_block_sortIS4_Lb1EPKiPiPS6_SC_NS0_19identity_decomposerEEE10hipError_tT1_T2_T3_T4_jRjT5_jjP12ihipStream_tbEUlT_E_NS1_11comp_targetILNS1_3genE3ELNS1_11target_archE908ELNS1_3gpuE7ELNS1_3repE0EEENS1_44radix_sort_block_sort_config_static_selectorELNS0_4arch9wavefront6targetE0EEEvSF_
    .private_segment_fixed_size: 0
    .sgpr_count:     0
    .sgpr_spill_count: 0
    .symbol:         _ZN7rocprim17ROCPRIM_400000_NS6detail17trampoline_kernelINS0_13kernel_configILj256ELj4ELj4294967295EEENS1_37radix_sort_block_sort_config_selectorIiNS0_10empty_typeEEEZNS1_21radix_sort_block_sortIS4_Lb1EPKiPiPS6_SC_NS0_19identity_decomposerEEE10hipError_tT1_T2_T3_T4_jRjT5_jjP12ihipStream_tbEUlT_E_NS1_11comp_targetILNS1_3genE3ELNS1_11target_archE908ELNS1_3gpuE7ELNS1_3repE0EEENS1_44radix_sort_block_sort_config_static_selectorELNS0_4arch9wavefront6targetE0EEEvSF_.kd
    .uniform_work_group_size: 1
    .uses_dynamic_stack: false
    .vgpr_count:     0
    .vgpr_spill_count: 0
    .wavefront_size: 32
  - .args:
      - .offset:         0
        .size:           48
        .value_kind:     by_value
    .group_segment_fixed_size: 0
    .kernarg_segment_align: 8
    .kernarg_segment_size: 48
    .language:       OpenCL C
    .language_version:
      - 2
      - 0
    .max_flat_workgroup_size: 256
    .name:           _ZN7rocprim17ROCPRIM_400000_NS6detail17trampoline_kernelINS0_13kernel_configILj256ELj4ELj4294967295EEENS1_37radix_sort_block_sort_config_selectorIiNS0_10empty_typeEEEZNS1_21radix_sort_block_sortIS4_Lb1EPKiPiPS6_SC_NS0_19identity_decomposerEEE10hipError_tT1_T2_T3_T4_jRjT5_jjP12ihipStream_tbEUlT_E_NS1_11comp_targetILNS1_3genE2ELNS1_11target_archE906ELNS1_3gpuE6ELNS1_3repE0EEENS1_44radix_sort_block_sort_config_static_selectorELNS0_4arch9wavefront6targetE0EEEvSF_
    .private_segment_fixed_size: 0
    .sgpr_count:     0
    .sgpr_spill_count: 0
    .symbol:         _ZN7rocprim17ROCPRIM_400000_NS6detail17trampoline_kernelINS0_13kernel_configILj256ELj4ELj4294967295EEENS1_37radix_sort_block_sort_config_selectorIiNS0_10empty_typeEEEZNS1_21radix_sort_block_sortIS4_Lb1EPKiPiPS6_SC_NS0_19identity_decomposerEEE10hipError_tT1_T2_T3_T4_jRjT5_jjP12ihipStream_tbEUlT_E_NS1_11comp_targetILNS1_3genE2ELNS1_11target_archE906ELNS1_3gpuE6ELNS1_3repE0EEENS1_44radix_sort_block_sort_config_static_selectorELNS0_4arch9wavefront6targetE0EEEvSF_.kd
    .uniform_work_group_size: 1
    .uses_dynamic_stack: false
    .vgpr_count:     0
    .vgpr_spill_count: 0
    .wavefront_size: 32
  - .args:
      - .offset:         0
        .size:           48
        .value_kind:     by_value
    .group_segment_fixed_size: 0
    .kernarg_segment_align: 8
    .kernarg_segment_size: 48
    .language:       OpenCL C
    .language_version:
      - 2
      - 0
    .max_flat_workgroup_size: 256
    .name:           _ZN7rocprim17ROCPRIM_400000_NS6detail17trampoline_kernelINS0_13kernel_configILj256ELj4ELj4294967295EEENS1_37radix_sort_block_sort_config_selectorIiNS0_10empty_typeEEEZNS1_21radix_sort_block_sortIS4_Lb1EPKiPiPS6_SC_NS0_19identity_decomposerEEE10hipError_tT1_T2_T3_T4_jRjT5_jjP12ihipStream_tbEUlT_E_NS1_11comp_targetILNS1_3genE10ELNS1_11target_archE1201ELNS1_3gpuE5ELNS1_3repE0EEENS1_44radix_sort_block_sort_config_static_selectorELNS0_4arch9wavefront6targetE0EEEvSF_
    .private_segment_fixed_size: 0
    .sgpr_count:     0
    .sgpr_spill_count: 0
    .symbol:         _ZN7rocprim17ROCPRIM_400000_NS6detail17trampoline_kernelINS0_13kernel_configILj256ELj4ELj4294967295EEENS1_37radix_sort_block_sort_config_selectorIiNS0_10empty_typeEEEZNS1_21radix_sort_block_sortIS4_Lb1EPKiPiPS6_SC_NS0_19identity_decomposerEEE10hipError_tT1_T2_T3_T4_jRjT5_jjP12ihipStream_tbEUlT_E_NS1_11comp_targetILNS1_3genE10ELNS1_11target_archE1201ELNS1_3gpuE5ELNS1_3repE0EEENS1_44radix_sort_block_sort_config_static_selectorELNS0_4arch9wavefront6targetE0EEEvSF_.kd
    .uniform_work_group_size: 1
    .uses_dynamic_stack: false
    .vgpr_count:     0
    .vgpr_spill_count: 0
    .wavefront_size: 32
  - .args:
      - .offset:         0
        .size:           48
        .value_kind:     by_value
    .group_segment_fixed_size: 0
    .kernarg_segment_align: 8
    .kernarg_segment_size: 48
    .language:       OpenCL C
    .language_version:
      - 2
      - 0
    .max_flat_workgroup_size: 256
    .name:           _ZN7rocprim17ROCPRIM_400000_NS6detail17trampoline_kernelINS0_13kernel_configILj256ELj4ELj4294967295EEENS1_37radix_sort_block_sort_config_selectorIiNS0_10empty_typeEEEZNS1_21radix_sort_block_sortIS4_Lb1EPKiPiPS6_SC_NS0_19identity_decomposerEEE10hipError_tT1_T2_T3_T4_jRjT5_jjP12ihipStream_tbEUlT_E_NS1_11comp_targetILNS1_3genE10ELNS1_11target_archE1200ELNS1_3gpuE4ELNS1_3repE0EEENS1_44radix_sort_block_sort_config_static_selectorELNS0_4arch9wavefront6targetE0EEEvSF_
    .private_segment_fixed_size: 0
    .sgpr_count:     0
    .sgpr_spill_count: 0
    .symbol:         _ZN7rocprim17ROCPRIM_400000_NS6detail17trampoline_kernelINS0_13kernel_configILj256ELj4ELj4294967295EEENS1_37radix_sort_block_sort_config_selectorIiNS0_10empty_typeEEEZNS1_21radix_sort_block_sortIS4_Lb1EPKiPiPS6_SC_NS0_19identity_decomposerEEE10hipError_tT1_T2_T3_T4_jRjT5_jjP12ihipStream_tbEUlT_E_NS1_11comp_targetILNS1_3genE10ELNS1_11target_archE1200ELNS1_3gpuE4ELNS1_3repE0EEENS1_44radix_sort_block_sort_config_static_selectorELNS0_4arch9wavefront6targetE0EEEvSF_.kd
    .uniform_work_group_size: 1
    .uses_dynamic_stack: false
    .vgpr_count:     0
    .vgpr_spill_count: 0
    .wavefront_size: 32
  - .args:
      - .offset:         0
        .size:           48
        .value_kind:     by_value
    .group_segment_fixed_size: 0
    .kernarg_segment_align: 8
    .kernarg_segment_size: 48
    .language:       OpenCL C
    .language_version:
      - 2
      - 0
    .max_flat_workgroup_size: 256
    .name:           _ZN7rocprim17ROCPRIM_400000_NS6detail17trampoline_kernelINS0_13kernel_configILj256ELj4ELj4294967295EEENS1_37radix_sort_block_sort_config_selectorIiNS0_10empty_typeEEEZNS1_21radix_sort_block_sortIS4_Lb1EPKiPiPS6_SC_NS0_19identity_decomposerEEE10hipError_tT1_T2_T3_T4_jRjT5_jjP12ihipStream_tbEUlT_E_NS1_11comp_targetILNS1_3genE9ELNS1_11target_archE1100ELNS1_3gpuE3ELNS1_3repE0EEENS1_44radix_sort_block_sort_config_static_selectorELNS0_4arch9wavefront6targetE0EEEvSF_
    .private_segment_fixed_size: 0
    .sgpr_count:     0
    .sgpr_spill_count: 0
    .symbol:         _ZN7rocprim17ROCPRIM_400000_NS6detail17trampoline_kernelINS0_13kernel_configILj256ELj4ELj4294967295EEENS1_37radix_sort_block_sort_config_selectorIiNS0_10empty_typeEEEZNS1_21radix_sort_block_sortIS4_Lb1EPKiPiPS6_SC_NS0_19identity_decomposerEEE10hipError_tT1_T2_T3_T4_jRjT5_jjP12ihipStream_tbEUlT_E_NS1_11comp_targetILNS1_3genE9ELNS1_11target_archE1100ELNS1_3gpuE3ELNS1_3repE0EEENS1_44radix_sort_block_sort_config_static_selectorELNS0_4arch9wavefront6targetE0EEEvSF_.kd
    .uniform_work_group_size: 1
    .uses_dynamic_stack: false
    .vgpr_count:     0
    .vgpr_spill_count: 0
    .wavefront_size: 32
  - .args:
      - .offset:         0
        .size:           48
        .value_kind:     by_value
    .group_segment_fixed_size: 0
    .kernarg_segment_align: 8
    .kernarg_segment_size: 48
    .language:       OpenCL C
    .language_version:
      - 2
      - 0
    .max_flat_workgroup_size: 256
    .name:           _ZN7rocprim17ROCPRIM_400000_NS6detail17trampoline_kernelINS0_13kernel_configILj256ELj4ELj4294967295EEENS1_37radix_sort_block_sort_config_selectorIiNS0_10empty_typeEEEZNS1_21radix_sort_block_sortIS4_Lb1EPKiPiPS6_SC_NS0_19identity_decomposerEEE10hipError_tT1_T2_T3_T4_jRjT5_jjP12ihipStream_tbEUlT_E_NS1_11comp_targetILNS1_3genE8ELNS1_11target_archE1030ELNS1_3gpuE2ELNS1_3repE0EEENS1_44radix_sort_block_sort_config_static_selectorELNS0_4arch9wavefront6targetE0EEEvSF_
    .private_segment_fixed_size: 0
    .sgpr_count:     0
    .sgpr_spill_count: 0
    .symbol:         _ZN7rocprim17ROCPRIM_400000_NS6detail17trampoline_kernelINS0_13kernel_configILj256ELj4ELj4294967295EEENS1_37radix_sort_block_sort_config_selectorIiNS0_10empty_typeEEEZNS1_21radix_sort_block_sortIS4_Lb1EPKiPiPS6_SC_NS0_19identity_decomposerEEE10hipError_tT1_T2_T3_T4_jRjT5_jjP12ihipStream_tbEUlT_E_NS1_11comp_targetILNS1_3genE8ELNS1_11target_archE1030ELNS1_3gpuE2ELNS1_3repE0EEENS1_44radix_sort_block_sort_config_static_selectorELNS0_4arch9wavefront6targetE0EEEvSF_.kd
    .uniform_work_group_size: 1
    .uses_dynamic_stack: false
    .vgpr_count:     0
    .vgpr_spill_count: 0
    .wavefront_size: 32
  - .args:           []
    .group_segment_fixed_size: 0
    .kernarg_segment_align: 4
    .kernarg_segment_size: 0
    .language:       OpenCL C
    .language_version:
      - 2
      - 0
    .max_flat_workgroup_size: 1024
    .name:           _ZN7rocprim17ROCPRIM_400000_NS6detail44device_merge_sort_compile_time_verifier_archINS1_11comp_targetILNS1_3genE0ELNS1_11target_archE4294967295ELNS1_3gpuE0ELNS1_3repE0EEES8_NS1_28merge_sort_block_sort_configILj256ELj4ELNS0_20block_sort_algorithmE0EEENS0_14default_configENS1_37merge_sort_block_sort_config_selectorIiNS0_10empty_typeEEENS1_38merge_sort_block_merge_config_selectorIiSE_EEEEvv
    .private_segment_fixed_size: 0
    .sgpr_count:     0
    .sgpr_spill_count: 0
    .symbol:         _ZN7rocprim17ROCPRIM_400000_NS6detail44device_merge_sort_compile_time_verifier_archINS1_11comp_targetILNS1_3genE0ELNS1_11target_archE4294967295ELNS1_3gpuE0ELNS1_3repE0EEES8_NS1_28merge_sort_block_sort_configILj256ELj4ELNS0_20block_sort_algorithmE0EEENS0_14default_configENS1_37merge_sort_block_sort_config_selectorIiNS0_10empty_typeEEENS1_38merge_sort_block_merge_config_selectorIiSE_EEEEvv.kd
    .uniform_work_group_size: 1
    .uses_dynamic_stack: false
    .vgpr_count:     0
    .vgpr_spill_count: 0
    .wavefront_size: 32
  - .args:           []
    .group_segment_fixed_size: 0
    .kernarg_segment_align: 4
    .kernarg_segment_size: 0
    .language:       OpenCL C
    .language_version:
      - 2
      - 0
    .max_flat_workgroup_size: 1024
    .name:           _ZN7rocprim17ROCPRIM_400000_NS6detail44device_merge_sort_compile_time_verifier_archINS1_11comp_targetILNS1_3genE5ELNS1_11target_archE942ELNS1_3gpuE9ELNS1_3repE0EEES8_NS1_28merge_sort_block_sort_configILj256ELj4ELNS0_20block_sort_algorithmE0EEENS0_14default_configENS1_37merge_sort_block_sort_config_selectorIiNS0_10empty_typeEEENS1_38merge_sort_block_merge_config_selectorIiSE_EEEEvv
    .private_segment_fixed_size: 0
    .sgpr_count:     0
    .sgpr_spill_count: 0
    .symbol:         _ZN7rocprim17ROCPRIM_400000_NS6detail44device_merge_sort_compile_time_verifier_archINS1_11comp_targetILNS1_3genE5ELNS1_11target_archE942ELNS1_3gpuE9ELNS1_3repE0EEES8_NS1_28merge_sort_block_sort_configILj256ELj4ELNS0_20block_sort_algorithmE0EEENS0_14default_configENS1_37merge_sort_block_sort_config_selectorIiNS0_10empty_typeEEENS1_38merge_sort_block_merge_config_selectorIiSE_EEEEvv.kd
    .uniform_work_group_size: 1
    .uses_dynamic_stack: false
    .vgpr_count:     0
    .vgpr_spill_count: 0
    .wavefront_size: 32
  - .args:           []
    .group_segment_fixed_size: 0
    .kernarg_segment_align: 4
    .kernarg_segment_size: 0
    .language:       OpenCL C
    .language_version:
      - 2
      - 0
    .max_flat_workgroup_size: 1024
    .name:           _ZN7rocprim17ROCPRIM_400000_NS6detail44device_merge_sort_compile_time_verifier_archINS1_11comp_targetILNS1_3genE4ELNS1_11target_archE910ELNS1_3gpuE8ELNS1_3repE0EEES8_NS1_28merge_sort_block_sort_configILj256ELj4ELNS0_20block_sort_algorithmE0EEENS0_14default_configENS1_37merge_sort_block_sort_config_selectorIiNS0_10empty_typeEEENS1_38merge_sort_block_merge_config_selectorIiSE_EEEEvv
    .private_segment_fixed_size: 0
    .sgpr_count:     0
    .sgpr_spill_count: 0
    .symbol:         _ZN7rocprim17ROCPRIM_400000_NS6detail44device_merge_sort_compile_time_verifier_archINS1_11comp_targetILNS1_3genE4ELNS1_11target_archE910ELNS1_3gpuE8ELNS1_3repE0EEES8_NS1_28merge_sort_block_sort_configILj256ELj4ELNS0_20block_sort_algorithmE0EEENS0_14default_configENS1_37merge_sort_block_sort_config_selectorIiNS0_10empty_typeEEENS1_38merge_sort_block_merge_config_selectorIiSE_EEEEvv.kd
    .uniform_work_group_size: 1
    .uses_dynamic_stack: false
    .vgpr_count:     0
    .vgpr_spill_count: 0
    .wavefront_size: 32
  - .args:           []
    .group_segment_fixed_size: 0
    .kernarg_segment_align: 4
    .kernarg_segment_size: 0
    .language:       OpenCL C
    .language_version:
      - 2
      - 0
    .max_flat_workgroup_size: 1024
    .name:           _ZN7rocprim17ROCPRIM_400000_NS6detail44device_merge_sort_compile_time_verifier_archINS1_11comp_targetILNS1_3genE3ELNS1_11target_archE908ELNS1_3gpuE7ELNS1_3repE0EEES8_NS1_28merge_sort_block_sort_configILj256ELj4ELNS0_20block_sort_algorithmE0EEENS0_14default_configENS1_37merge_sort_block_sort_config_selectorIiNS0_10empty_typeEEENS1_38merge_sort_block_merge_config_selectorIiSE_EEEEvv
    .private_segment_fixed_size: 0
    .sgpr_count:     0
    .sgpr_spill_count: 0
    .symbol:         _ZN7rocprim17ROCPRIM_400000_NS6detail44device_merge_sort_compile_time_verifier_archINS1_11comp_targetILNS1_3genE3ELNS1_11target_archE908ELNS1_3gpuE7ELNS1_3repE0EEES8_NS1_28merge_sort_block_sort_configILj256ELj4ELNS0_20block_sort_algorithmE0EEENS0_14default_configENS1_37merge_sort_block_sort_config_selectorIiNS0_10empty_typeEEENS1_38merge_sort_block_merge_config_selectorIiSE_EEEEvv.kd
    .uniform_work_group_size: 1
    .uses_dynamic_stack: false
    .vgpr_count:     0
    .vgpr_spill_count: 0
    .wavefront_size: 32
  - .args:           []
    .group_segment_fixed_size: 0
    .kernarg_segment_align: 4
    .kernarg_segment_size: 0
    .language:       OpenCL C
    .language_version:
      - 2
      - 0
    .max_flat_workgroup_size: 1024
    .name:           _ZN7rocprim17ROCPRIM_400000_NS6detail44device_merge_sort_compile_time_verifier_archINS1_11comp_targetILNS1_3genE2ELNS1_11target_archE906ELNS1_3gpuE6ELNS1_3repE0EEES8_NS1_28merge_sort_block_sort_configILj256ELj4ELNS0_20block_sort_algorithmE0EEENS0_14default_configENS1_37merge_sort_block_sort_config_selectorIiNS0_10empty_typeEEENS1_38merge_sort_block_merge_config_selectorIiSE_EEEEvv
    .private_segment_fixed_size: 0
    .sgpr_count:     0
    .sgpr_spill_count: 0
    .symbol:         _ZN7rocprim17ROCPRIM_400000_NS6detail44device_merge_sort_compile_time_verifier_archINS1_11comp_targetILNS1_3genE2ELNS1_11target_archE906ELNS1_3gpuE6ELNS1_3repE0EEES8_NS1_28merge_sort_block_sort_configILj256ELj4ELNS0_20block_sort_algorithmE0EEENS0_14default_configENS1_37merge_sort_block_sort_config_selectorIiNS0_10empty_typeEEENS1_38merge_sort_block_merge_config_selectorIiSE_EEEEvv.kd
    .uniform_work_group_size: 1
    .uses_dynamic_stack: false
    .vgpr_count:     0
    .vgpr_spill_count: 0
    .wavefront_size: 32
  - .args:           []
    .group_segment_fixed_size: 0
    .kernarg_segment_align: 4
    .kernarg_segment_size: 0
    .language:       OpenCL C
    .language_version:
      - 2
      - 0
    .max_flat_workgroup_size: 1024
    .name:           _ZN7rocprim17ROCPRIM_400000_NS6detail44device_merge_sort_compile_time_verifier_archINS1_11comp_targetILNS1_3genE10ELNS1_11target_archE1201ELNS1_3gpuE5ELNS1_3repE0EEES8_NS1_28merge_sort_block_sort_configILj256ELj4ELNS0_20block_sort_algorithmE0EEENS0_14default_configENS1_37merge_sort_block_sort_config_selectorIiNS0_10empty_typeEEENS1_38merge_sort_block_merge_config_selectorIiSE_EEEEvv
    .private_segment_fixed_size: 0
    .sgpr_count:     0
    .sgpr_spill_count: 0
    .symbol:         _ZN7rocprim17ROCPRIM_400000_NS6detail44device_merge_sort_compile_time_verifier_archINS1_11comp_targetILNS1_3genE10ELNS1_11target_archE1201ELNS1_3gpuE5ELNS1_3repE0EEES8_NS1_28merge_sort_block_sort_configILj256ELj4ELNS0_20block_sort_algorithmE0EEENS0_14default_configENS1_37merge_sort_block_sort_config_selectorIiNS0_10empty_typeEEENS1_38merge_sort_block_merge_config_selectorIiSE_EEEEvv.kd
    .uniform_work_group_size: 1
    .uses_dynamic_stack: false
    .vgpr_count:     0
    .vgpr_spill_count: 0
    .wavefront_size: 32
  - .args:           []
    .group_segment_fixed_size: 0
    .kernarg_segment_align: 4
    .kernarg_segment_size: 0
    .language:       OpenCL C
    .language_version:
      - 2
      - 0
    .max_flat_workgroup_size: 1024
    .name:           _ZN7rocprim17ROCPRIM_400000_NS6detail44device_merge_sort_compile_time_verifier_archINS1_11comp_targetILNS1_3genE10ELNS1_11target_archE1200ELNS1_3gpuE4ELNS1_3repE0EEENS3_ILS4_10ELS5_1201ELS6_5ELS7_0EEENS1_28merge_sort_block_sort_configILj256ELj4ELNS0_20block_sort_algorithmE0EEENS0_14default_configENS1_37merge_sort_block_sort_config_selectorIiNS0_10empty_typeEEENS1_38merge_sort_block_merge_config_selectorIiSF_EEEEvv
    .private_segment_fixed_size: 0
    .sgpr_count:     0
    .sgpr_spill_count: 0
    .symbol:         _ZN7rocprim17ROCPRIM_400000_NS6detail44device_merge_sort_compile_time_verifier_archINS1_11comp_targetILNS1_3genE10ELNS1_11target_archE1200ELNS1_3gpuE4ELNS1_3repE0EEENS3_ILS4_10ELS5_1201ELS6_5ELS7_0EEENS1_28merge_sort_block_sort_configILj256ELj4ELNS0_20block_sort_algorithmE0EEENS0_14default_configENS1_37merge_sort_block_sort_config_selectorIiNS0_10empty_typeEEENS1_38merge_sort_block_merge_config_selectorIiSF_EEEEvv.kd
    .uniform_work_group_size: 1
    .uses_dynamic_stack: false
    .vgpr_count:     0
    .vgpr_spill_count: 0
    .wavefront_size: 32
  - .args:           []
    .group_segment_fixed_size: 0
    .kernarg_segment_align: 4
    .kernarg_segment_size: 0
    .language:       OpenCL C
    .language_version:
      - 2
      - 0
    .max_flat_workgroup_size: 1024
    .name:           _ZN7rocprim17ROCPRIM_400000_NS6detail44device_merge_sort_compile_time_verifier_archINS1_11comp_targetILNS1_3genE9ELNS1_11target_archE1100ELNS1_3gpuE3ELNS1_3repE0EEES8_NS1_28merge_sort_block_sort_configILj256ELj4ELNS0_20block_sort_algorithmE0EEENS0_14default_configENS1_37merge_sort_block_sort_config_selectorIiNS0_10empty_typeEEENS1_38merge_sort_block_merge_config_selectorIiSE_EEEEvv
    .private_segment_fixed_size: 0
    .sgpr_count:     0
    .sgpr_spill_count: 0
    .symbol:         _ZN7rocprim17ROCPRIM_400000_NS6detail44device_merge_sort_compile_time_verifier_archINS1_11comp_targetILNS1_3genE9ELNS1_11target_archE1100ELNS1_3gpuE3ELNS1_3repE0EEES8_NS1_28merge_sort_block_sort_configILj256ELj4ELNS0_20block_sort_algorithmE0EEENS0_14default_configENS1_37merge_sort_block_sort_config_selectorIiNS0_10empty_typeEEENS1_38merge_sort_block_merge_config_selectorIiSE_EEEEvv.kd
    .uniform_work_group_size: 1
    .uses_dynamic_stack: false
    .vgpr_count:     0
    .vgpr_spill_count: 0
    .wavefront_size: 32
  - .args:           []
    .group_segment_fixed_size: 0
    .kernarg_segment_align: 4
    .kernarg_segment_size: 0
    .language:       OpenCL C
    .language_version:
      - 2
      - 0
    .max_flat_workgroup_size: 1024
    .name:           _ZN7rocprim17ROCPRIM_400000_NS6detail44device_merge_sort_compile_time_verifier_archINS1_11comp_targetILNS1_3genE8ELNS1_11target_archE1030ELNS1_3gpuE2ELNS1_3repE0EEES8_NS1_28merge_sort_block_sort_configILj256ELj4ELNS0_20block_sort_algorithmE0EEENS0_14default_configENS1_37merge_sort_block_sort_config_selectorIiNS0_10empty_typeEEENS1_38merge_sort_block_merge_config_selectorIiSE_EEEEvv
    .private_segment_fixed_size: 0
    .sgpr_count:     0
    .sgpr_spill_count: 0
    .symbol:         _ZN7rocprim17ROCPRIM_400000_NS6detail44device_merge_sort_compile_time_verifier_archINS1_11comp_targetILNS1_3genE8ELNS1_11target_archE1030ELNS1_3gpuE2ELNS1_3repE0EEES8_NS1_28merge_sort_block_sort_configILj256ELj4ELNS0_20block_sort_algorithmE0EEENS0_14default_configENS1_37merge_sort_block_sort_config_selectorIiNS0_10empty_typeEEENS1_38merge_sort_block_merge_config_selectorIiSE_EEEEvv.kd
    .uniform_work_group_size: 1
    .uses_dynamic_stack: false
    .vgpr_count:     0
    .vgpr_spill_count: 0
    .wavefront_size: 32
  - .args:
      - .offset:         0
        .size:           40
        .value_kind:     by_value
    .group_segment_fixed_size: 0
    .kernarg_segment_align: 8
    .kernarg_segment_size: 40
    .language:       OpenCL C
    .language_version:
      - 2
      - 0
    .max_flat_workgroup_size: 128
    .name:           _ZN7rocprim17ROCPRIM_400000_NS6detail17trampoline_kernelINS0_14default_configENS1_38merge_sort_block_merge_config_selectorIiNS0_10empty_typeEEEZZNS1_27merge_sort_block_merge_implIS3_PiPS5_jNS1_19radix_merge_compareILb1ELb0EiNS0_19identity_decomposerEEEEE10hipError_tT0_T1_T2_jT3_P12ihipStream_tbPNSt15iterator_traitsISE_E10value_typeEPNSK_ISF_E10value_typeEPSG_NS1_7vsmem_tEENKUlT_SE_SF_SG_E_clIS8_S8_S9_S9_EESD_ST_SE_SF_SG_EUlST_E_NS1_11comp_targetILNS1_3genE0ELNS1_11target_archE4294967295ELNS1_3gpuE0ELNS1_3repE0EEENS1_48merge_mergepath_partition_config_static_selectorELNS0_4arch9wavefront6targetE0EEEvSF_
    .private_segment_fixed_size: 0
    .sgpr_count:     8
    .sgpr_spill_count: 0
    .symbol:         _ZN7rocprim17ROCPRIM_400000_NS6detail17trampoline_kernelINS0_14default_configENS1_38merge_sort_block_merge_config_selectorIiNS0_10empty_typeEEEZZNS1_27merge_sort_block_merge_implIS3_PiPS5_jNS1_19radix_merge_compareILb1ELb0EiNS0_19identity_decomposerEEEEE10hipError_tT0_T1_T2_jT3_P12ihipStream_tbPNSt15iterator_traitsISE_E10value_typeEPNSK_ISF_E10value_typeEPSG_NS1_7vsmem_tEENKUlT_SE_SF_SG_E_clIS8_S8_S9_S9_EESD_ST_SE_SF_SG_EUlST_E_NS1_11comp_targetILNS1_3genE0ELNS1_11target_archE4294967295ELNS1_3gpuE0ELNS1_3repE0EEENS1_48merge_mergepath_partition_config_static_selectorELNS0_4arch9wavefront6targetE0EEEvSF_.kd
    .uniform_work_group_size: 1
    .uses_dynamic_stack: false
    .vgpr_count:     17
    .vgpr_spill_count: 0
    .wavefront_size: 32
  - .args:
      - .offset:         0
        .size:           40
        .value_kind:     by_value
    .group_segment_fixed_size: 0
    .kernarg_segment_align: 8
    .kernarg_segment_size: 40
    .language:       OpenCL C
    .language_version:
      - 2
      - 0
    .max_flat_workgroup_size: 128
    .name:           _ZN7rocprim17ROCPRIM_400000_NS6detail17trampoline_kernelINS0_14default_configENS1_38merge_sort_block_merge_config_selectorIiNS0_10empty_typeEEEZZNS1_27merge_sort_block_merge_implIS3_PiPS5_jNS1_19radix_merge_compareILb1ELb0EiNS0_19identity_decomposerEEEEE10hipError_tT0_T1_T2_jT3_P12ihipStream_tbPNSt15iterator_traitsISE_E10value_typeEPNSK_ISF_E10value_typeEPSG_NS1_7vsmem_tEENKUlT_SE_SF_SG_E_clIS8_S8_S9_S9_EESD_ST_SE_SF_SG_EUlST_E_NS1_11comp_targetILNS1_3genE10ELNS1_11target_archE1201ELNS1_3gpuE5ELNS1_3repE0EEENS1_48merge_mergepath_partition_config_static_selectorELNS0_4arch9wavefront6targetE0EEEvSF_
    .private_segment_fixed_size: 0
    .sgpr_count:     0
    .sgpr_spill_count: 0
    .symbol:         _ZN7rocprim17ROCPRIM_400000_NS6detail17trampoline_kernelINS0_14default_configENS1_38merge_sort_block_merge_config_selectorIiNS0_10empty_typeEEEZZNS1_27merge_sort_block_merge_implIS3_PiPS5_jNS1_19radix_merge_compareILb1ELb0EiNS0_19identity_decomposerEEEEE10hipError_tT0_T1_T2_jT3_P12ihipStream_tbPNSt15iterator_traitsISE_E10value_typeEPNSK_ISF_E10value_typeEPSG_NS1_7vsmem_tEENKUlT_SE_SF_SG_E_clIS8_S8_S9_S9_EESD_ST_SE_SF_SG_EUlST_E_NS1_11comp_targetILNS1_3genE10ELNS1_11target_archE1201ELNS1_3gpuE5ELNS1_3repE0EEENS1_48merge_mergepath_partition_config_static_selectorELNS0_4arch9wavefront6targetE0EEEvSF_.kd
    .uniform_work_group_size: 1
    .uses_dynamic_stack: false
    .vgpr_count:     0
    .vgpr_spill_count: 0
    .wavefront_size: 32
  - .args:
      - .offset:         0
        .size:           40
        .value_kind:     by_value
    .group_segment_fixed_size: 0
    .kernarg_segment_align: 8
    .kernarg_segment_size: 40
    .language:       OpenCL C
    .language_version:
      - 2
      - 0
    .max_flat_workgroup_size: 128
    .name:           _ZN7rocprim17ROCPRIM_400000_NS6detail17trampoline_kernelINS0_14default_configENS1_38merge_sort_block_merge_config_selectorIiNS0_10empty_typeEEEZZNS1_27merge_sort_block_merge_implIS3_PiPS5_jNS1_19radix_merge_compareILb1ELb0EiNS0_19identity_decomposerEEEEE10hipError_tT0_T1_T2_jT3_P12ihipStream_tbPNSt15iterator_traitsISE_E10value_typeEPNSK_ISF_E10value_typeEPSG_NS1_7vsmem_tEENKUlT_SE_SF_SG_E_clIS8_S8_S9_S9_EESD_ST_SE_SF_SG_EUlST_E_NS1_11comp_targetILNS1_3genE5ELNS1_11target_archE942ELNS1_3gpuE9ELNS1_3repE0EEENS1_48merge_mergepath_partition_config_static_selectorELNS0_4arch9wavefront6targetE0EEEvSF_
    .private_segment_fixed_size: 0
    .sgpr_count:     0
    .sgpr_spill_count: 0
    .symbol:         _ZN7rocprim17ROCPRIM_400000_NS6detail17trampoline_kernelINS0_14default_configENS1_38merge_sort_block_merge_config_selectorIiNS0_10empty_typeEEEZZNS1_27merge_sort_block_merge_implIS3_PiPS5_jNS1_19radix_merge_compareILb1ELb0EiNS0_19identity_decomposerEEEEE10hipError_tT0_T1_T2_jT3_P12ihipStream_tbPNSt15iterator_traitsISE_E10value_typeEPNSK_ISF_E10value_typeEPSG_NS1_7vsmem_tEENKUlT_SE_SF_SG_E_clIS8_S8_S9_S9_EESD_ST_SE_SF_SG_EUlST_E_NS1_11comp_targetILNS1_3genE5ELNS1_11target_archE942ELNS1_3gpuE9ELNS1_3repE0EEENS1_48merge_mergepath_partition_config_static_selectorELNS0_4arch9wavefront6targetE0EEEvSF_.kd
    .uniform_work_group_size: 1
    .uses_dynamic_stack: false
    .vgpr_count:     0
    .vgpr_spill_count: 0
    .wavefront_size: 32
  - .args:
      - .offset:         0
        .size:           40
        .value_kind:     by_value
    .group_segment_fixed_size: 0
    .kernarg_segment_align: 8
    .kernarg_segment_size: 40
    .language:       OpenCL C
    .language_version:
      - 2
      - 0
    .max_flat_workgroup_size: 128
    .name:           _ZN7rocprim17ROCPRIM_400000_NS6detail17trampoline_kernelINS0_14default_configENS1_38merge_sort_block_merge_config_selectorIiNS0_10empty_typeEEEZZNS1_27merge_sort_block_merge_implIS3_PiPS5_jNS1_19radix_merge_compareILb1ELb0EiNS0_19identity_decomposerEEEEE10hipError_tT0_T1_T2_jT3_P12ihipStream_tbPNSt15iterator_traitsISE_E10value_typeEPNSK_ISF_E10value_typeEPSG_NS1_7vsmem_tEENKUlT_SE_SF_SG_E_clIS8_S8_S9_S9_EESD_ST_SE_SF_SG_EUlST_E_NS1_11comp_targetILNS1_3genE4ELNS1_11target_archE910ELNS1_3gpuE8ELNS1_3repE0EEENS1_48merge_mergepath_partition_config_static_selectorELNS0_4arch9wavefront6targetE0EEEvSF_
    .private_segment_fixed_size: 0
    .sgpr_count:     0
    .sgpr_spill_count: 0
    .symbol:         _ZN7rocprim17ROCPRIM_400000_NS6detail17trampoline_kernelINS0_14default_configENS1_38merge_sort_block_merge_config_selectorIiNS0_10empty_typeEEEZZNS1_27merge_sort_block_merge_implIS3_PiPS5_jNS1_19radix_merge_compareILb1ELb0EiNS0_19identity_decomposerEEEEE10hipError_tT0_T1_T2_jT3_P12ihipStream_tbPNSt15iterator_traitsISE_E10value_typeEPNSK_ISF_E10value_typeEPSG_NS1_7vsmem_tEENKUlT_SE_SF_SG_E_clIS8_S8_S9_S9_EESD_ST_SE_SF_SG_EUlST_E_NS1_11comp_targetILNS1_3genE4ELNS1_11target_archE910ELNS1_3gpuE8ELNS1_3repE0EEENS1_48merge_mergepath_partition_config_static_selectorELNS0_4arch9wavefront6targetE0EEEvSF_.kd
    .uniform_work_group_size: 1
    .uses_dynamic_stack: false
    .vgpr_count:     0
    .vgpr_spill_count: 0
    .wavefront_size: 32
  - .args:
      - .offset:         0
        .size:           40
        .value_kind:     by_value
    .group_segment_fixed_size: 0
    .kernarg_segment_align: 8
    .kernarg_segment_size: 40
    .language:       OpenCL C
    .language_version:
      - 2
      - 0
    .max_flat_workgroup_size: 128
    .name:           _ZN7rocprim17ROCPRIM_400000_NS6detail17trampoline_kernelINS0_14default_configENS1_38merge_sort_block_merge_config_selectorIiNS0_10empty_typeEEEZZNS1_27merge_sort_block_merge_implIS3_PiPS5_jNS1_19radix_merge_compareILb1ELb0EiNS0_19identity_decomposerEEEEE10hipError_tT0_T1_T2_jT3_P12ihipStream_tbPNSt15iterator_traitsISE_E10value_typeEPNSK_ISF_E10value_typeEPSG_NS1_7vsmem_tEENKUlT_SE_SF_SG_E_clIS8_S8_S9_S9_EESD_ST_SE_SF_SG_EUlST_E_NS1_11comp_targetILNS1_3genE3ELNS1_11target_archE908ELNS1_3gpuE7ELNS1_3repE0EEENS1_48merge_mergepath_partition_config_static_selectorELNS0_4arch9wavefront6targetE0EEEvSF_
    .private_segment_fixed_size: 0
    .sgpr_count:     0
    .sgpr_spill_count: 0
    .symbol:         _ZN7rocprim17ROCPRIM_400000_NS6detail17trampoline_kernelINS0_14default_configENS1_38merge_sort_block_merge_config_selectorIiNS0_10empty_typeEEEZZNS1_27merge_sort_block_merge_implIS3_PiPS5_jNS1_19radix_merge_compareILb1ELb0EiNS0_19identity_decomposerEEEEE10hipError_tT0_T1_T2_jT3_P12ihipStream_tbPNSt15iterator_traitsISE_E10value_typeEPNSK_ISF_E10value_typeEPSG_NS1_7vsmem_tEENKUlT_SE_SF_SG_E_clIS8_S8_S9_S9_EESD_ST_SE_SF_SG_EUlST_E_NS1_11comp_targetILNS1_3genE3ELNS1_11target_archE908ELNS1_3gpuE7ELNS1_3repE0EEENS1_48merge_mergepath_partition_config_static_selectorELNS0_4arch9wavefront6targetE0EEEvSF_.kd
    .uniform_work_group_size: 1
    .uses_dynamic_stack: false
    .vgpr_count:     0
    .vgpr_spill_count: 0
    .wavefront_size: 32
  - .args:
      - .offset:         0
        .size:           40
        .value_kind:     by_value
    .group_segment_fixed_size: 0
    .kernarg_segment_align: 8
    .kernarg_segment_size: 40
    .language:       OpenCL C
    .language_version:
      - 2
      - 0
    .max_flat_workgroup_size: 128
    .name:           _ZN7rocprim17ROCPRIM_400000_NS6detail17trampoline_kernelINS0_14default_configENS1_38merge_sort_block_merge_config_selectorIiNS0_10empty_typeEEEZZNS1_27merge_sort_block_merge_implIS3_PiPS5_jNS1_19radix_merge_compareILb1ELb0EiNS0_19identity_decomposerEEEEE10hipError_tT0_T1_T2_jT3_P12ihipStream_tbPNSt15iterator_traitsISE_E10value_typeEPNSK_ISF_E10value_typeEPSG_NS1_7vsmem_tEENKUlT_SE_SF_SG_E_clIS8_S8_S9_S9_EESD_ST_SE_SF_SG_EUlST_E_NS1_11comp_targetILNS1_3genE2ELNS1_11target_archE906ELNS1_3gpuE6ELNS1_3repE0EEENS1_48merge_mergepath_partition_config_static_selectorELNS0_4arch9wavefront6targetE0EEEvSF_
    .private_segment_fixed_size: 0
    .sgpr_count:     0
    .sgpr_spill_count: 0
    .symbol:         _ZN7rocprim17ROCPRIM_400000_NS6detail17trampoline_kernelINS0_14default_configENS1_38merge_sort_block_merge_config_selectorIiNS0_10empty_typeEEEZZNS1_27merge_sort_block_merge_implIS3_PiPS5_jNS1_19radix_merge_compareILb1ELb0EiNS0_19identity_decomposerEEEEE10hipError_tT0_T1_T2_jT3_P12ihipStream_tbPNSt15iterator_traitsISE_E10value_typeEPNSK_ISF_E10value_typeEPSG_NS1_7vsmem_tEENKUlT_SE_SF_SG_E_clIS8_S8_S9_S9_EESD_ST_SE_SF_SG_EUlST_E_NS1_11comp_targetILNS1_3genE2ELNS1_11target_archE906ELNS1_3gpuE6ELNS1_3repE0EEENS1_48merge_mergepath_partition_config_static_selectorELNS0_4arch9wavefront6targetE0EEEvSF_.kd
    .uniform_work_group_size: 1
    .uses_dynamic_stack: false
    .vgpr_count:     0
    .vgpr_spill_count: 0
    .wavefront_size: 32
  - .args:
      - .offset:         0
        .size:           40
        .value_kind:     by_value
    .group_segment_fixed_size: 0
    .kernarg_segment_align: 8
    .kernarg_segment_size: 40
    .language:       OpenCL C
    .language_version:
      - 2
      - 0
    .max_flat_workgroup_size: 128
    .name:           _ZN7rocprim17ROCPRIM_400000_NS6detail17trampoline_kernelINS0_14default_configENS1_38merge_sort_block_merge_config_selectorIiNS0_10empty_typeEEEZZNS1_27merge_sort_block_merge_implIS3_PiPS5_jNS1_19radix_merge_compareILb1ELb0EiNS0_19identity_decomposerEEEEE10hipError_tT0_T1_T2_jT3_P12ihipStream_tbPNSt15iterator_traitsISE_E10value_typeEPNSK_ISF_E10value_typeEPSG_NS1_7vsmem_tEENKUlT_SE_SF_SG_E_clIS8_S8_S9_S9_EESD_ST_SE_SF_SG_EUlST_E_NS1_11comp_targetILNS1_3genE9ELNS1_11target_archE1100ELNS1_3gpuE3ELNS1_3repE0EEENS1_48merge_mergepath_partition_config_static_selectorELNS0_4arch9wavefront6targetE0EEEvSF_
    .private_segment_fixed_size: 0
    .sgpr_count:     0
    .sgpr_spill_count: 0
    .symbol:         _ZN7rocprim17ROCPRIM_400000_NS6detail17trampoline_kernelINS0_14default_configENS1_38merge_sort_block_merge_config_selectorIiNS0_10empty_typeEEEZZNS1_27merge_sort_block_merge_implIS3_PiPS5_jNS1_19radix_merge_compareILb1ELb0EiNS0_19identity_decomposerEEEEE10hipError_tT0_T1_T2_jT3_P12ihipStream_tbPNSt15iterator_traitsISE_E10value_typeEPNSK_ISF_E10value_typeEPSG_NS1_7vsmem_tEENKUlT_SE_SF_SG_E_clIS8_S8_S9_S9_EESD_ST_SE_SF_SG_EUlST_E_NS1_11comp_targetILNS1_3genE9ELNS1_11target_archE1100ELNS1_3gpuE3ELNS1_3repE0EEENS1_48merge_mergepath_partition_config_static_selectorELNS0_4arch9wavefront6targetE0EEEvSF_.kd
    .uniform_work_group_size: 1
    .uses_dynamic_stack: false
    .vgpr_count:     0
    .vgpr_spill_count: 0
    .wavefront_size: 32
  - .args:
      - .offset:         0
        .size:           40
        .value_kind:     by_value
    .group_segment_fixed_size: 0
    .kernarg_segment_align: 8
    .kernarg_segment_size: 40
    .language:       OpenCL C
    .language_version:
      - 2
      - 0
    .max_flat_workgroup_size: 128
    .name:           _ZN7rocprim17ROCPRIM_400000_NS6detail17trampoline_kernelINS0_14default_configENS1_38merge_sort_block_merge_config_selectorIiNS0_10empty_typeEEEZZNS1_27merge_sort_block_merge_implIS3_PiPS5_jNS1_19radix_merge_compareILb1ELb0EiNS0_19identity_decomposerEEEEE10hipError_tT0_T1_T2_jT3_P12ihipStream_tbPNSt15iterator_traitsISE_E10value_typeEPNSK_ISF_E10value_typeEPSG_NS1_7vsmem_tEENKUlT_SE_SF_SG_E_clIS8_S8_S9_S9_EESD_ST_SE_SF_SG_EUlST_E_NS1_11comp_targetILNS1_3genE8ELNS1_11target_archE1030ELNS1_3gpuE2ELNS1_3repE0EEENS1_48merge_mergepath_partition_config_static_selectorELNS0_4arch9wavefront6targetE0EEEvSF_
    .private_segment_fixed_size: 0
    .sgpr_count:     0
    .sgpr_spill_count: 0
    .symbol:         _ZN7rocprim17ROCPRIM_400000_NS6detail17trampoline_kernelINS0_14default_configENS1_38merge_sort_block_merge_config_selectorIiNS0_10empty_typeEEEZZNS1_27merge_sort_block_merge_implIS3_PiPS5_jNS1_19radix_merge_compareILb1ELb0EiNS0_19identity_decomposerEEEEE10hipError_tT0_T1_T2_jT3_P12ihipStream_tbPNSt15iterator_traitsISE_E10value_typeEPNSK_ISF_E10value_typeEPSG_NS1_7vsmem_tEENKUlT_SE_SF_SG_E_clIS8_S8_S9_S9_EESD_ST_SE_SF_SG_EUlST_E_NS1_11comp_targetILNS1_3genE8ELNS1_11target_archE1030ELNS1_3gpuE2ELNS1_3repE0EEENS1_48merge_mergepath_partition_config_static_selectorELNS0_4arch9wavefront6targetE0EEEvSF_.kd
    .uniform_work_group_size: 1
    .uses_dynamic_stack: false
    .vgpr_count:     0
    .vgpr_spill_count: 0
    .wavefront_size: 32
  - .args:
      - .offset:         0
        .size:           64
        .value_kind:     by_value
      - .offset:         64
        .size:           4
        .value_kind:     hidden_block_count_x
      - .offset:         68
        .size:           4
        .value_kind:     hidden_block_count_y
      - .offset:         72
        .size:           4
        .value_kind:     hidden_block_count_z
      - .offset:         76
        .size:           2
        .value_kind:     hidden_group_size_x
      - .offset:         78
        .size:           2
        .value_kind:     hidden_group_size_y
      - .offset:         80
        .size:           2
        .value_kind:     hidden_group_size_z
      - .offset:         82
        .size:           2
        .value_kind:     hidden_remainder_x
      - .offset:         84
        .size:           2
        .value_kind:     hidden_remainder_y
      - .offset:         86
        .size:           2
        .value_kind:     hidden_remainder_z
      - .offset:         104
        .size:           8
        .value_kind:     hidden_global_offset_x
      - .offset:         112
        .size:           8
        .value_kind:     hidden_global_offset_y
      - .offset:         120
        .size:           8
        .value_kind:     hidden_global_offset_z
      - .offset:         128
        .size:           2
        .value_kind:     hidden_grid_dims
    .group_segment_fixed_size: 4224
    .kernarg_segment_align: 8
    .kernarg_segment_size: 320
    .language:       OpenCL C
    .language_version:
      - 2
      - 0
    .max_flat_workgroup_size: 128
    .name:           _ZN7rocprim17ROCPRIM_400000_NS6detail17trampoline_kernelINS0_14default_configENS1_38merge_sort_block_merge_config_selectorIiNS0_10empty_typeEEEZZNS1_27merge_sort_block_merge_implIS3_PiPS5_jNS1_19radix_merge_compareILb1ELb0EiNS0_19identity_decomposerEEEEE10hipError_tT0_T1_T2_jT3_P12ihipStream_tbPNSt15iterator_traitsISE_E10value_typeEPNSK_ISF_E10value_typeEPSG_NS1_7vsmem_tEENKUlT_SE_SF_SG_E_clIS8_S8_S9_S9_EESD_ST_SE_SF_SG_EUlST_E0_NS1_11comp_targetILNS1_3genE0ELNS1_11target_archE4294967295ELNS1_3gpuE0ELNS1_3repE0EEENS1_38merge_mergepath_config_static_selectorELNS0_4arch9wavefront6targetE0EEEvSF_
    .private_segment_fixed_size: 0
    .sgpr_count:     25
    .sgpr_spill_count: 0
    .symbol:         _ZN7rocprim17ROCPRIM_400000_NS6detail17trampoline_kernelINS0_14default_configENS1_38merge_sort_block_merge_config_selectorIiNS0_10empty_typeEEEZZNS1_27merge_sort_block_merge_implIS3_PiPS5_jNS1_19radix_merge_compareILb1ELb0EiNS0_19identity_decomposerEEEEE10hipError_tT0_T1_T2_jT3_P12ihipStream_tbPNSt15iterator_traitsISE_E10value_typeEPNSK_ISF_E10value_typeEPSG_NS1_7vsmem_tEENKUlT_SE_SF_SG_E_clIS8_S8_S9_S9_EESD_ST_SE_SF_SG_EUlST_E0_NS1_11comp_targetILNS1_3genE0ELNS1_11target_archE4294967295ELNS1_3gpuE0ELNS1_3repE0EEENS1_38merge_mergepath_config_static_selectorELNS0_4arch9wavefront6targetE0EEEvSF_.kd
    .uniform_work_group_size: 1
    .uses_dynamic_stack: false
    .vgpr_count:     32
    .vgpr_spill_count: 0
    .wavefront_size: 32
  - .args:
      - .offset:         0
        .size:           64
        .value_kind:     by_value
    .group_segment_fixed_size: 0
    .kernarg_segment_align: 8
    .kernarg_segment_size: 64
    .language:       OpenCL C
    .language_version:
      - 2
      - 0
    .max_flat_workgroup_size: 256
    .name:           _ZN7rocprim17ROCPRIM_400000_NS6detail17trampoline_kernelINS0_14default_configENS1_38merge_sort_block_merge_config_selectorIiNS0_10empty_typeEEEZZNS1_27merge_sort_block_merge_implIS3_PiPS5_jNS1_19radix_merge_compareILb1ELb0EiNS0_19identity_decomposerEEEEE10hipError_tT0_T1_T2_jT3_P12ihipStream_tbPNSt15iterator_traitsISE_E10value_typeEPNSK_ISF_E10value_typeEPSG_NS1_7vsmem_tEENKUlT_SE_SF_SG_E_clIS8_S8_S9_S9_EESD_ST_SE_SF_SG_EUlST_E0_NS1_11comp_targetILNS1_3genE10ELNS1_11target_archE1201ELNS1_3gpuE5ELNS1_3repE0EEENS1_38merge_mergepath_config_static_selectorELNS0_4arch9wavefront6targetE0EEEvSF_
    .private_segment_fixed_size: 0
    .sgpr_count:     0
    .sgpr_spill_count: 0
    .symbol:         _ZN7rocprim17ROCPRIM_400000_NS6detail17trampoline_kernelINS0_14default_configENS1_38merge_sort_block_merge_config_selectorIiNS0_10empty_typeEEEZZNS1_27merge_sort_block_merge_implIS3_PiPS5_jNS1_19radix_merge_compareILb1ELb0EiNS0_19identity_decomposerEEEEE10hipError_tT0_T1_T2_jT3_P12ihipStream_tbPNSt15iterator_traitsISE_E10value_typeEPNSK_ISF_E10value_typeEPSG_NS1_7vsmem_tEENKUlT_SE_SF_SG_E_clIS8_S8_S9_S9_EESD_ST_SE_SF_SG_EUlST_E0_NS1_11comp_targetILNS1_3genE10ELNS1_11target_archE1201ELNS1_3gpuE5ELNS1_3repE0EEENS1_38merge_mergepath_config_static_selectorELNS0_4arch9wavefront6targetE0EEEvSF_.kd
    .uniform_work_group_size: 1
    .uses_dynamic_stack: false
    .vgpr_count:     0
    .vgpr_spill_count: 0
    .wavefront_size: 32
  - .args:
      - .offset:         0
        .size:           64
        .value_kind:     by_value
    .group_segment_fixed_size: 0
    .kernarg_segment_align: 8
    .kernarg_segment_size: 64
    .language:       OpenCL C
    .language_version:
      - 2
      - 0
    .max_flat_workgroup_size: 128
    .name:           _ZN7rocprim17ROCPRIM_400000_NS6detail17trampoline_kernelINS0_14default_configENS1_38merge_sort_block_merge_config_selectorIiNS0_10empty_typeEEEZZNS1_27merge_sort_block_merge_implIS3_PiPS5_jNS1_19radix_merge_compareILb1ELb0EiNS0_19identity_decomposerEEEEE10hipError_tT0_T1_T2_jT3_P12ihipStream_tbPNSt15iterator_traitsISE_E10value_typeEPNSK_ISF_E10value_typeEPSG_NS1_7vsmem_tEENKUlT_SE_SF_SG_E_clIS8_S8_S9_S9_EESD_ST_SE_SF_SG_EUlST_E0_NS1_11comp_targetILNS1_3genE5ELNS1_11target_archE942ELNS1_3gpuE9ELNS1_3repE0EEENS1_38merge_mergepath_config_static_selectorELNS0_4arch9wavefront6targetE0EEEvSF_
    .private_segment_fixed_size: 0
    .sgpr_count:     0
    .sgpr_spill_count: 0
    .symbol:         _ZN7rocprim17ROCPRIM_400000_NS6detail17trampoline_kernelINS0_14default_configENS1_38merge_sort_block_merge_config_selectorIiNS0_10empty_typeEEEZZNS1_27merge_sort_block_merge_implIS3_PiPS5_jNS1_19radix_merge_compareILb1ELb0EiNS0_19identity_decomposerEEEEE10hipError_tT0_T1_T2_jT3_P12ihipStream_tbPNSt15iterator_traitsISE_E10value_typeEPNSK_ISF_E10value_typeEPSG_NS1_7vsmem_tEENKUlT_SE_SF_SG_E_clIS8_S8_S9_S9_EESD_ST_SE_SF_SG_EUlST_E0_NS1_11comp_targetILNS1_3genE5ELNS1_11target_archE942ELNS1_3gpuE9ELNS1_3repE0EEENS1_38merge_mergepath_config_static_selectorELNS0_4arch9wavefront6targetE0EEEvSF_.kd
    .uniform_work_group_size: 1
    .uses_dynamic_stack: false
    .vgpr_count:     0
    .vgpr_spill_count: 0
    .wavefront_size: 32
  - .args:
      - .offset:         0
        .size:           64
        .value_kind:     by_value
    .group_segment_fixed_size: 0
    .kernarg_segment_align: 8
    .kernarg_segment_size: 64
    .language:       OpenCL C
    .language_version:
      - 2
      - 0
    .max_flat_workgroup_size: 128
    .name:           _ZN7rocprim17ROCPRIM_400000_NS6detail17trampoline_kernelINS0_14default_configENS1_38merge_sort_block_merge_config_selectorIiNS0_10empty_typeEEEZZNS1_27merge_sort_block_merge_implIS3_PiPS5_jNS1_19radix_merge_compareILb1ELb0EiNS0_19identity_decomposerEEEEE10hipError_tT0_T1_T2_jT3_P12ihipStream_tbPNSt15iterator_traitsISE_E10value_typeEPNSK_ISF_E10value_typeEPSG_NS1_7vsmem_tEENKUlT_SE_SF_SG_E_clIS8_S8_S9_S9_EESD_ST_SE_SF_SG_EUlST_E0_NS1_11comp_targetILNS1_3genE4ELNS1_11target_archE910ELNS1_3gpuE8ELNS1_3repE0EEENS1_38merge_mergepath_config_static_selectorELNS0_4arch9wavefront6targetE0EEEvSF_
    .private_segment_fixed_size: 0
    .sgpr_count:     0
    .sgpr_spill_count: 0
    .symbol:         _ZN7rocprim17ROCPRIM_400000_NS6detail17trampoline_kernelINS0_14default_configENS1_38merge_sort_block_merge_config_selectorIiNS0_10empty_typeEEEZZNS1_27merge_sort_block_merge_implIS3_PiPS5_jNS1_19radix_merge_compareILb1ELb0EiNS0_19identity_decomposerEEEEE10hipError_tT0_T1_T2_jT3_P12ihipStream_tbPNSt15iterator_traitsISE_E10value_typeEPNSK_ISF_E10value_typeEPSG_NS1_7vsmem_tEENKUlT_SE_SF_SG_E_clIS8_S8_S9_S9_EESD_ST_SE_SF_SG_EUlST_E0_NS1_11comp_targetILNS1_3genE4ELNS1_11target_archE910ELNS1_3gpuE8ELNS1_3repE0EEENS1_38merge_mergepath_config_static_selectorELNS0_4arch9wavefront6targetE0EEEvSF_.kd
    .uniform_work_group_size: 1
    .uses_dynamic_stack: false
    .vgpr_count:     0
    .vgpr_spill_count: 0
    .wavefront_size: 32
  - .args:
      - .offset:         0
        .size:           64
        .value_kind:     by_value
    .group_segment_fixed_size: 0
    .kernarg_segment_align: 8
    .kernarg_segment_size: 64
    .language:       OpenCL C
    .language_version:
      - 2
      - 0
    .max_flat_workgroup_size: 128
    .name:           _ZN7rocprim17ROCPRIM_400000_NS6detail17trampoline_kernelINS0_14default_configENS1_38merge_sort_block_merge_config_selectorIiNS0_10empty_typeEEEZZNS1_27merge_sort_block_merge_implIS3_PiPS5_jNS1_19radix_merge_compareILb1ELb0EiNS0_19identity_decomposerEEEEE10hipError_tT0_T1_T2_jT3_P12ihipStream_tbPNSt15iterator_traitsISE_E10value_typeEPNSK_ISF_E10value_typeEPSG_NS1_7vsmem_tEENKUlT_SE_SF_SG_E_clIS8_S8_S9_S9_EESD_ST_SE_SF_SG_EUlST_E0_NS1_11comp_targetILNS1_3genE3ELNS1_11target_archE908ELNS1_3gpuE7ELNS1_3repE0EEENS1_38merge_mergepath_config_static_selectorELNS0_4arch9wavefront6targetE0EEEvSF_
    .private_segment_fixed_size: 0
    .sgpr_count:     0
    .sgpr_spill_count: 0
    .symbol:         _ZN7rocprim17ROCPRIM_400000_NS6detail17trampoline_kernelINS0_14default_configENS1_38merge_sort_block_merge_config_selectorIiNS0_10empty_typeEEEZZNS1_27merge_sort_block_merge_implIS3_PiPS5_jNS1_19radix_merge_compareILb1ELb0EiNS0_19identity_decomposerEEEEE10hipError_tT0_T1_T2_jT3_P12ihipStream_tbPNSt15iterator_traitsISE_E10value_typeEPNSK_ISF_E10value_typeEPSG_NS1_7vsmem_tEENKUlT_SE_SF_SG_E_clIS8_S8_S9_S9_EESD_ST_SE_SF_SG_EUlST_E0_NS1_11comp_targetILNS1_3genE3ELNS1_11target_archE908ELNS1_3gpuE7ELNS1_3repE0EEENS1_38merge_mergepath_config_static_selectorELNS0_4arch9wavefront6targetE0EEEvSF_.kd
    .uniform_work_group_size: 1
    .uses_dynamic_stack: false
    .vgpr_count:     0
    .vgpr_spill_count: 0
    .wavefront_size: 32
  - .args:
      - .offset:         0
        .size:           64
        .value_kind:     by_value
    .group_segment_fixed_size: 0
    .kernarg_segment_align: 8
    .kernarg_segment_size: 64
    .language:       OpenCL C
    .language_version:
      - 2
      - 0
    .max_flat_workgroup_size: 128
    .name:           _ZN7rocprim17ROCPRIM_400000_NS6detail17trampoline_kernelINS0_14default_configENS1_38merge_sort_block_merge_config_selectorIiNS0_10empty_typeEEEZZNS1_27merge_sort_block_merge_implIS3_PiPS5_jNS1_19radix_merge_compareILb1ELb0EiNS0_19identity_decomposerEEEEE10hipError_tT0_T1_T2_jT3_P12ihipStream_tbPNSt15iterator_traitsISE_E10value_typeEPNSK_ISF_E10value_typeEPSG_NS1_7vsmem_tEENKUlT_SE_SF_SG_E_clIS8_S8_S9_S9_EESD_ST_SE_SF_SG_EUlST_E0_NS1_11comp_targetILNS1_3genE2ELNS1_11target_archE906ELNS1_3gpuE6ELNS1_3repE0EEENS1_38merge_mergepath_config_static_selectorELNS0_4arch9wavefront6targetE0EEEvSF_
    .private_segment_fixed_size: 0
    .sgpr_count:     0
    .sgpr_spill_count: 0
    .symbol:         _ZN7rocprim17ROCPRIM_400000_NS6detail17trampoline_kernelINS0_14default_configENS1_38merge_sort_block_merge_config_selectorIiNS0_10empty_typeEEEZZNS1_27merge_sort_block_merge_implIS3_PiPS5_jNS1_19radix_merge_compareILb1ELb0EiNS0_19identity_decomposerEEEEE10hipError_tT0_T1_T2_jT3_P12ihipStream_tbPNSt15iterator_traitsISE_E10value_typeEPNSK_ISF_E10value_typeEPSG_NS1_7vsmem_tEENKUlT_SE_SF_SG_E_clIS8_S8_S9_S9_EESD_ST_SE_SF_SG_EUlST_E0_NS1_11comp_targetILNS1_3genE2ELNS1_11target_archE906ELNS1_3gpuE6ELNS1_3repE0EEENS1_38merge_mergepath_config_static_selectorELNS0_4arch9wavefront6targetE0EEEvSF_.kd
    .uniform_work_group_size: 1
    .uses_dynamic_stack: false
    .vgpr_count:     0
    .vgpr_spill_count: 0
    .wavefront_size: 32
  - .args:
      - .offset:         0
        .size:           64
        .value_kind:     by_value
    .group_segment_fixed_size: 0
    .kernarg_segment_align: 8
    .kernarg_segment_size: 64
    .language:       OpenCL C
    .language_version:
      - 2
      - 0
    .max_flat_workgroup_size: 256
    .name:           _ZN7rocprim17ROCPRIM_400000_NS6detail17trampoline_kernelINS0_14default_configENS1_38merge_sort_block_merge_config_selectorIiNS0_10empty_typeEEEZZNS1_27merge_sort_block_merge_implIS3_PiPS5_jNS1_19radix_merge_compareILb1ELb0EiNS0_19identity_decomposerEEEEE10hipError_tT0_T1_T2_jT3_P12ihipStream_tbPNSt15iterator_traitsISE_E10value_typeEPNSK_ISF_E10value_typeEPSG_NS1_7vsmem_tEENKUlT_SE_SF_SG_E_clIS8_S8_S9_S9_EESD_ST_SE_SF_SG_EUlST_E0_NS1_11comp_targetILNS1_3genE9ELNS1_11target_archE1100ELNS1_3gpuE3ELNS1_3repE0EEENS1_38merge_mergepath_config_static_selectorELNS0_4arch9wavefront6targetE0EEEvSF_
    .private_segment_fixed_size: 0
    .sgpr_count:     0
    .sgpr_spill_count: 0
    .symbol:         _ZN7rocprim17ROCPRIM_400000_NS6detail17trampoline_kernelINS0_14default_configENS1_38merge_sort_block_merge_config_selectorIiNS0_10empty_typeEEEZZNS1_27merge_sort_block_merge_implIS3_PiPS5_jNS1_19radix_merge_compareILb1ELb0EiNS0_19identity_decomposerEEEEE10hipError_tT0_T1_T2_jT3_P12ihipStream_tbPNSt15iterator_traitsISE_E10value_typeEPNSK_ISF_E10value_typeEPSG_NS1_7vsmem_tEENKUlT_SE_SF_SG_E_clIS8_S8_S9_S9_EESD_ST_SE_SF_SG_EUlST_E0_NS1_11comp_targetILNS1_3genE9ELNS1_11target_archE1100ELNS1_3gpuE3ELNS1_3repE0EEENS1_38merge_mergepath_config_static_selectorELNS0_4arch9wavefront6targetE0EEEvSF_.kd
    .uniform_work_group_size: 1
    .uses_dynamic_stack: false
    .vgpr_count:     0
    .vgpr_spill_count: 0
    .wavefront_size: 32
  - .args:
      - .offset:         0
        .size:           64
        .value_kind:     by_value
    .group_segment_fixed_size: 0
    .kernarg_segment_align: 8
    .kernarg_segment_size: 64
    .language:       OpenCL C
    .language_version:
      - 2
      - 0
    .max_flat_workgroup_size: 512
    .name:           _ZN7rocprim17ROCPRIM_400000_NS6detail17trampoline_kernelINS0_14default_configENS1_38merge_sort_block_merge_config_selectorIiNS0_10empty_typeEEEZZNS1_27merge_sort_block_merge_implIS3_PiPS5_jNS1_19radix_merge_compareILb1ELb0EiNS0_19identity_decomposerEEEEE10hipError_tT0_T1_T2_jT3_P12ihipStream_tbPNSt15iterator_traitsISE_E10value_typeEPNSK_ISF_E10value_typeEPSG_NS1_7vsmem_tEENKUlT_SE_SF_SG_E_clIS8_S8_S9_S9_EESD_ST_SE_SF_SG_EUlST_E0_NS1_11comp_targetILNS1_3genE8ELNS1_11target_archE1030ELNS1_3gpuE2ELNS1_3repE0EEENS1_38merge_mergepath_config_static_selectorELNS0_4arch9wavefront6targetE0EEEvSF_
    .private_segment_fixed_size: 0
    .sgpr_count:     0
    .sgpr_spill_count: 0
    .symbol:         _ZN7rocprim17ROCPRIM_400000_NS6detail17trampoline_kernelINS0_14default_configENS1_38merge_sort_block_merge_config_selectorIiNS0_10empty_typeEEEZZNS1_27merge_sort_block_merge_implIS3_PiPS5_jNS1_19radix_merge_compareILb1ELb0EiNS0_19identity_decomposerEEEEE10hipError_tT0_T1_T2_jT3_P12ihipStream_tbPNSt15iterator_traitsISE_E10value_typeEPNSK_ISF_E10value_typeEPSG_NS1_7vsmem_tEENKUlT_SE_SF_SG_E_clIS8_S8_S9_S9_EESD_ST_SE_SF_SG_EUlST_E0_NS1_11comp_targetILNS1_3genE8ELNS1_11target_archE1030ELNS1_3gpuE2ELNS1_3repE0EEENS1_38merge_mergepath_config_static_selectorELNS0_4arch9wavefront6targetE0EEEvSF_.kd
    .uniform_work_group_size: 1
    .uses_dynamic_stack: false
    .vgpr_count:     0
    .vgpr_spill_count: 0
    .wavefront_size: 32
  - .args:
      - .offset:         0
        .size:           48
        .value_kind:     by_value
    .group_segment_fixed_size: 0
    .kernarg_segment_align: 8
    .kernarg_segment_size: 48
    .language:       OpenCL C
    .language_version:
      - 2
      - 0
    .max_flat_workgroup_size: 256
    .name:           _ZN7rocprim17ROCPRIM_400000_NS6detail17trampoline_kernelINS0_14default_configENS1_38merge_sort_block_merge_config_selectorIiNS0_10empty_typeEEEZZNS1_27merge_sort_block_merge_implIS3_PiPS5_jNS1_19radix_merge_compareILb1ELb0EiNS0_19identity_decomposerEEEEE10hipError_tT0_T1_T2_jT3_P12ihipStream_tbPNSt15iterator_traitsISE_E10value_typeEPNSK_ISF_E10value_typeEPSG_NS1_7vsmem_tEENKUlT_SE_SF_SG_E_clIS8_S8_S9_S9_EESD_ST_SE_SF_SG_EUlST_E1_NS1_11comp_targetILNS1_3genE0ELNS1_11target_archE4294967295ELNS1_3gpuE0ELNS1_3repE0EEENS1_36merge_oddeven_config_static_selectorELNS0_4arch9wavefront6targetE0EEEvSF_
    .private_segment_fixed_size: 0
    .sgpr_count:     18
    .sgpr_spill_count: 0
    .symbol:         _ZN7rocprim17ROCPRIM_400000_NS6detail17trampoline_kernelINS0_14default_configENS1_38merge_sort_block_merge_config_selectorIiNS0_10empty_typeEEEZZNS1_27merge_sort_block_merge_implIS3_PiPS5_jNS1_19radix_merge_compareILb1ELb0EiNS0_19identity_decomposerEEEEE10hipError_tT0_T1_T2_jT3_P12ihipStream_tbPNSt15iterator_traitsISE_E10value_typeEPNSK_ISF_E10value_typeEPSG_NS1_7vsmem_tEENKUlT_SE_SF_SG_E_clIS8_S8_S9_S9_EESD_ST_SE_SF_SG_EUlST_E1_NS1_11comp_targetILNS1_3genE0ELNS1_11target_archE4294967295ELNS1_3gpuE0ELNS1_3repE0EEENS1_36merge_oddeven_config_static_selectorELNS0_4arch9wavefront6targetE0EEEvSF_.kd
    .uniform_work_group_size: 1
    .uses_dynamic_stack: false
    .vgpr_count:     7
    .vgpr_spill_count: 0
    .wavefront_size: 32
  - .args:
      - .offset:         0
        .size:           48
        .value_kind:     by_value
    .group_segment_fixed_size: 0
    .kernarg_segment_align: 8
    .kernarg_segment_size: 48
    .language:       OpenCL C
    .language_version:
      - 2
      - 0
    .max_flat_workgroup_size: 256
    .name:           _ZN7rocprim17ROCPRIM_400000_NS6detail17trampoline_kernelINS0_14default_configENS1_38merge_sort_block_merge_config_selectorIiNS0_10empty_typeEEEZZNS1_27merge_sort_block_merge_implIS3_PiPS5_jNS1_19radix_merge_compareILb1ELb0EiNS0_19identity_decomposerEEEEE10hipError_tT0_T1_T2_jT3_P12ihipStream_tbPNSt15iterator_traitsISE_E10value_typeEPNSK_ISF_E10value_typeEPSG_NS1_7vsmem_tEENKUlT_SE_SF_SG_E_clIS8_S8_S9_S9_EESD_ST_SE_SF_SG_EUlST_E1_NS1_11comp_targetILNS1_3genE10ELNS1_11target_archE1201ELNS1_3gpuE5ELNS1_3repE0EEENS1_36merge_oddeven_config_static_selectorELNS0_4arch9wavefront6targetE0EEEvSF_
    .private_segment_fixed_size: 0
    .sgpr_count:     0
    .sgpr_spill_count: 0
    .symbol:         _ZN7rocprim17ROCPRIM_400000_NS6detail17trampoline_kernelINS0_14default_configENS1_38merge_sort_block_merge_config_selectorIiNS0_10empty_typeEEEZZNS1_27merge_sort_block_merge_implIS3_PiPS5_jNS1_19radix_merge_compareILb1ELb0EiNS0_19identity_decomposerEEEEE10hipError_tT0_T1_T2_jT3_P12ihipStream_tbPNSt15iterator_traitsISE_E10value_typeEPNSK_ISF_E10value_typeEPSG_NS1_7vsmem_tEENKUlT_SE_SF_SG_E_clIS8_S8_S9_S9_EESD_ST_SE_SF_SG_EUlST_E1_NS1_11comp_targetILNS1_3genE10ELNS1_11target_archE1201ELNS1_3gpuE5ELNS1_3repE0EEENS1_36merge_oddeven_config_static_selectorELNS0_4arch9wavefront6targetE0EEEvSF_.kd
    .uniform_work_group_size: 1
    .uses_dynamic_stack: false
    .vgpr_count:     0
    .vgpr_spill_count: 0
    .wavefront_size: 32
  - .args:
      - .offset:         0
        .size:           48
        .value_kind:     by_value
    .group_segment_fixed_size: 0
    .kernarg_segment_align: 8
    .kernarg_segment_size: 48
    .language:       OpenCL C
    .language_version:
      - 2
      - 0
    .max_flat_workgroup_size: 256
    .name:           _ZN7rocprim17ROCPRIM_400000_NS6detail17trampoline_kernelINS0_14default_configENS1_38merge_sort_block_merge_config_selectorIiNS0_10empty_typeEEEZZNS1_27merge_sort_block_merge_implIS3_PiPS5_jNS1_19radix_merge_compareILb1ELb0EiNS0_19identity_decomposerEEEEE10hipError_tT0_T1_T2_jT3_P12ihipStream_tbPNSt15iterator_traitsISE_E10value_typeEPNSK_ISF_E10value_typeEPSG_NS1_7vsmem_tEENKUlT_SE_SF_SG_E_clIS8_S8_S9_S9_EESD_ST_SE_SF_SG_EUlST_E1_NS1_11comp_targetILNS1_3genE5ELNS1_11target_archE942ELNS1_3gpuE9ELNS1_3repE0EEENS1_36merge_oddeven_config_static_selectorELNS0_4arch9wavefront6targetE0EEEvSF_
    .private_segment_fixed_size: 0
    .sgpr_count:     0
    .sgpr_spill_count: 0
    .symbol:         _ZN7rocprim17ROCPRIM_400000_NS6detail17trampoline_kernelINS0_14default_configENS1_38merge_sort_block_merge_config_selectorIiNS0_10empty_typeEEEZZNS1_27merge_sort_block_merge_implIS3_PiPS5_jNS1_19radix_merge_compareILb1ELb0EiNS0_19identity_decomposerEEEEE10hipError_tT0_T1_T2_jT3_P12ihipStream_tbPNSt15iterator_traitsISE_E10value_typeEPNSK_ISF_E10value_typeEPSG_NS1_7vsmem_tEENKUlT_SE_SF_SG_E_clIS8_S8_S9_S9_EESD_ST_SE_SF_SG_EUlST_E1_NS1_11comp_targetILNS1_3genE5ELNS1_11target_archE942ELNS1_3gpuE9ELNS1_3repE0EEENS1_36merge_oddeven_config_static_selectorELNS0_4arch9wavefront6targetE0EEEvSF_.kd
    .uniform_work_group_size: 1
    .uses_dynamic_stack: false
    .vgpr_count:     0
    .vgpr_spill_count: 0
    .wavefront_size: 32
  - .args:
      - .offset:         0
        .size:           48
        .value_kind:     by_value
    .group_segment_fixed_size: 0
    .kernarg_segment_align: 8
    .kernarg_segment_size: 48
    .language:       OpenCL C
    .language_version:
      - 2
      - 0
    .max_flat_workgroup_size: 256
    .name:           _ZN7rocprim17ROCPRIM_400000_NS6detail17trampoline_kernelINS0_14default_configENS1_38merge_sort_block_merge_config_selectorIiNS0_10empty_typeEEEZZNS1_27merge_sort_block_merge_implIS3_PiPS5_jNS1_19radix_merge_compareILb1ELb0EiNS0_19identity_decomposerEEEEE10hipError_tT0_T1_T2_jT3_P12ihipStream_tbPNSt15iterator_traitsISE_E10value_typeEPNSK_ISF_E10value_typeEPSG_NS1_7vsmem_tEENKUlT_SE_SF_SG_E_clIS8_S8_S9_S9_EESD_ST_SE_SF_SG_EUlST_E1_NS1_11comp_targetILNS1_3genE4ELNS1_11target_archE910ELNS1_3gpuE8ELNS1_3repE0EEENS1_36merge_oddeven_config_static_selectorELNS0_4arch9wavefront6targetE0EEEvSF_
    .private_segment_fixed_size: 0
    .sgpr_count:     0
    .sgpr_spill_count: 0
    .symbol:         _ZN7rocprim17ROCPRIM_400000_NS6detail17trampoline_kernelINS0_14default_configENS1_38merge_sort_block_merge_config_selectorIiNS0_10empty_typeEEEZZNS1_27merge_sort_block_merge_implIS3_PiPS5_jNS1_19radix_merge_compareILb1ELb0EiNS0_19identity_decomposerEEEEE10hipError_tT0_T1_T2_jT3_P12ihipStream_tbPNSt15iterator_traitsISE_E10value_typeEPNSK_ISF_E10value_typeEPSG_NS1_7vsmem_tEENKUlT_SE_SF_SG_E_clIS8_S8_S9_S9_EESD_ST_SE_SF_SG_EUlST_E1_NS1_11comp_targetILNS1_3genE4ELNS1_11target_archE910ELNS1_3gpuE8ELNS1_3repE0EEENS1_36merge_oddeven_config_static_selectorELNS0_4arch9wavefront6targetE0EEEvSF_.kd
    .uniform_work_group_size: 1
    .uses_dynamic_stack: false
    .vgpr_count:     0
    .vgpr_spill_count: 0
    .wavefront_size: 32
  - .args:
      - .offset:         0
        .size:           48
        .value_kind:     by_value
    .group_segment_fixed_size: 0
    .kernarg_segment_align: 8
    .kernarg_segment_size: 48
    .language:       OpenCL C
    .language_version:
      - 2
      - 0
    .max_flat_workgroup_size: 256
    .name:           _ZN7rocprim17ROCPRIM_400000_NS6detail17trampoline_kernelINS0_14default_configENS1_38merge_sort_block_merge_config_selectorIiNS0_10empty_typeEEEZZNS1_27merge_sort_block_merge_implIS3_PiPS5_jNS1_19radix_merge_compareILb1ELb0EiNS0_19identity_decomposerEEEEE10hipError_tT0_T1_T2_jT3_P12ihipStream_tbPNSt15iterator_traitsISE_E10value_typeEPNSK_ISF_E10value_typeEPSG_NS1_7vsmem_tEENKUlT_SE_SF_SG_E_clIS8_S8_S9_S9_EESD_ST_SE_SF_SG_EUlST_E1_NS1_11comp_targetILNS1_3genE3ELNS1_11target_archE908ELNS1_3gpuE7ELNS1_3repE0EEENS1_36merge_oddeven_config_static_selectorELNS0_4arch9wavefront6targetE0EEEvSF_
    .private_segment_fixed_size: 0
    .sgpr_count:     0
    .sgpr_spill_count: 0
    .symbol:         _ZN7rocprim17ROCPRIM_400000_NS6detail17trampoline_kernelINS0_14default_configENS1_38merge_sort_block_merge_config_selectorIiNS0_10empty_typeEEEZZNS1_27merge_sort_block_merge_implIS3_PiPS5_jNS1_19radix_merge_compareILb1ELb0EiNS0_19identity_decomposerEEEEE10hipError_tT0_T1_T2_jT3_P12ihipStream_tbPNSt15iterator_traitsISE_E10value_typeEPNSK_ISF_E10value_typeEPSG_NS1_7vsmem_tEENKUlT_SE_SF_SG_E_clIS8_S8_S9_S9_EESD_ST_SE_SF_SG_EUlST_E1_NS1_11comp_targetILNS1_3genE3ELNS1_11target_archE908ELNS1_3gpuE7ELNS1_3repE0EEENS1_36merge_oddeven_config_static_selectorELNS0_4arch9wavefront6targetE0EEEvSF_.kd
    .uniform_work_group_size: 1
    .uses_dynamic_stack: false
    .vgpr_count:     0
    .vgpr_spill_count: 0
    .wavefront_size: 32
  - .args:
      - .offset:         0
        .size:           48
        .value_kind:     by_value
    .group_segment_fixed_size: 0
    .kernarg_segment_align: 8
    .kernarg_segment_size: 48
    .language:       OpenCL C
    .language_version:
      - 2
      - 0
    .max_flat_workgroup_size: 256
    .name:           _ZN7rocprim17ROCPRIM_400000_NS6detail17trampoline_kernelINS0_14default_configENS1_38merge_sort_block_merge_config_selectorIiNS0_10empty_typeEEEZZNS1_27merge_sort_block_merge_implIS3_PiPS5_jNS1_19radix_merge_compareILb1ELb0EiNS0_19identity_decomposerEEEEE10hipError_tT0_T1_T2_jT3_P12ihipStream_tbPNSt15iterator_traitsISE_E10value_typeEPNSK_ISF_E10value_typeEPSG_NS1_7vsmem_tEENKUlT_SE_SF_SG_E_clIS8_S8_S9_S9_EESD_ST_SE_SF_SG_EUlST_E1_NS1_11comp_targetILNS1_3genE2ELNS1_11target_archE906ELNS1_3gpuE6ELNS1_3repE0EEENS1_36merge_oddeven_config_static_selectorELNS0_4arch9wavefront6targetE0EEEvSF_
    .private_segment_fixed_size: 0
    .sgpr_count:     0
    .sgpr_spill_count: 0
    .symbol:         _ZN7rocprim17ROCPRIM_400000_NS6detail17trampoline_kernelINS0_14default_configENS1_38merge_sort_block_merge_config_selectorIiNS0_10empty_typeEEEZZNS1_27merge_sort_block_merge_implIS3_PiPS5_jNS1_19radix_merge_compareILb1ELb0EiNS0_19identity_decomposerEEEEE10hipError_tT0_T1_T2_jT3_P12ihipStream_tbPNSt15iterator_traitsISE_E10value_typeEPNSK_ISF_E10value_typeEPSG_NS1_7vsmem_tEENKUlT_SE_SF_SG_E_clIS8_S8_S9_S9_EESD_ST_SE_SF_SG_EUlST_E1_NS1_11comp_targetILNS1_3genE2ELNS1_11target_archE906ELNS1_3gpuE6ELNS1_3repE0EEENS1_36merge_oddeven_config_static_selectorELNS0_4arch9wavefront6targetE0EEEvSF_.kd
    .uniform_work_group_size: 1
    .uses_dynamic_stack: false
    .vgpr_count:     0
    .vgpr_spill_count: 0
    .wavefront_size: 32
  - .args:
      - .offset:         0
        .size:           48
        .value_kind:     by_value
    .group_segment_fixed_size: 0
    .kernarg_segment_align: 8
    .kernarg_segment_size: 48
    .language:       OpenCL C
    .language_version:
      - 2
      - 0
    .max_flat_workgroup_size: 256
    .name:           _ZN7rocprim17ROCPRIM_400000_NS6detail17trampoline_kernelINS0_14default_configENS1_38merge_sort_block_merge_config_selectorIiNS0_10empty_typeEEEZZNS1_27merge_sort_block_merge_implIS3_PiPS5_jNS1_19radix_merge_compareILb1ELb0EiNS0_19identity_decomposerEEEEE10hipError_tT0_T1_T2_jT3_P12ihipStream_tbPNSt15iterator_traitsISE_E10value_typeEPNSK_ISF_E10value_typeEPSG_NS1_7vsmem_tEENKUlT_SE_SF_SG_E_clIS8_S8_S9_S9_EESD_ST_SE_SF_SG_EUlST_E1_NS1_11comp_targetILNS1_3genE9ELNS1_11target_archE1100ELNS1_3gpuE3ELNS1_3repE0EEENS1_36merge_oddeven_config_static_selectorELNS0_4arch9wavefront6targetE0EEEvSF_
    .private_segment_fixed_size: 0
    .sgpr_count:     0
    .sgpr_spill_count: 0
    .symbol:         _ZN7rocprim17ROCPRIM_400000_NS6detail17trampoline_kernelINS0_14default_configENS1_38merge_sort_block_merge_config_selectorIiNS0_10empty_typeEEEZZNS1_27merge_sort_block_merge_implIS3_PiPS5_jNS1_19radix_merge_compareILb1ELb0EiNS0_19identity_decomposerEEEEE10hipError_tT0_T1_T2_jT3_P12ihipStream_tbPNSt15iterator_traitsISE_E10value_typeEPNSK_ISF_E10value_typeEPSG_NS1_7vsmem_tEENKUlT_SE_SF_SG_E_clIS8_S8_S9_S9_EESD_ST_SE_SF_SG_EUlST_E1_NS1_11comp_targetILNS1_3genE9ELNS1_11target_archE1100ELNS1_3gpuE3ELNS1_3repE0EEENS1_36merge_oddeven_config_static_selectorELNS0_4arch9wavefront6targetE0EEEvSF_.kd
    .uniform_work_group_size: 1
    .uses_dynamic_stack: false
    .vgpr_count:     0
    .vgpr_spill_count: 0
    .wavefront_size: 32
  - .args:
      - .offset:         0
        .size:           48
        .value_kind:     by_value
    .group_segment_fixed_size: 0
    .kernarg_segment_align: 8
    .kernarg_segment_size: 48
    .language:       OpenCL C
    .language_version:
      - 2
      - 0
    .max_flat_workgroup_size: 256
    .name:           _ZN7rocprim17ROCPRIM_400000_NS6detail17trampoline_kernelINS0_14default_configENS1_38merge_sort_block_merge_config_selectorIiNS0_10empty_typeEEEZZNS1_27merge_sort_block_merge_implIS3_PiPS5_jNS1_19radix_merge_compareILb1ELb0EiNS0_19identity_decomposerEEEEE10hipError_tT0_T1_T2_jT3_P12ihipStream_tbPNSt15iterator_traitsISE_E10value_typeEPNSK_ISF_E10value_typeEPSG_NS1_7vsmem_tEENKUlT_SE_SF_SG_E_clIS8_S8_S9_S9_EESD_ST_SE_SF_SG_EUlST_E1_NS1_11comp_targetILNS1_3genE8ELNS1_11target_archE1030ELNS1_3gpuE2ELNS1_3repE0EEENS1_36merge_oddeven_config_static_selectorELNS0_4arch9wavefront6targetE0EEEvSF_
    .private_segment_fixed_size: 0
    .sgpr_count:     0
    .sgpr_spill_count: 0
    .symbol:         _ZN7rocprim17ROCPRIM_400000_NS6detail17trampoline_kernelINS0_14default_configENS1_38merge_sort_block_merge_config_selectorIiNS0_10empty_typeEEEZZNS1_27merge_sort_block_merge_implIS3_PiPS5_jNS1_19radix_merge_compareILb1ELb0EiNS0_19identity_decomposerEEEEE10hipError_tT0_T1_T2_jT3_P12ihipStream_tbPNSt15iterator_traitsISE_E10value_typeEPNSK_ISF_E10value_typeEPSG_NS1_7vsmem_tEENKUlT_SE_SF_SG_E_clIS8_S8_S9_S9_EESD_ST_SE_SF_SG_EUlST_E1_NS1_11comp_targetILNS1_3genE8ELNS1_11target_archE1030ELNS1_3gpuE2ELNS1_3repE0EEENS1_36merge_oddeven_config_static_selectorELNS0_4arch9wavefront6targetE0EEEvSF_.kd
    .uniform_work_group_size: 1
    .uses_dynamic_stack: false
    .vgpr_count:     0
    .vgpr_spill_count: 0
    .wavefront_size: 32
  - .args:
      - .offset:         0
        .size:           40
        .value_kind:     by_value
      - .offset:         40
        .size:           4
        .value_kind:     hidden_block_count_x
      - .offset:         44
        .size:           4
        .value_kind:     hidden_block_count_y
      - .offset:         48
        .size:           4
        .value_kind:     hidden_block_count_z
      - .offset:         52
        .size:           2
        .value_kind:     hidden_group_size_x
      - .offset:         54
        .size:           2
        .value_kind:     hidden_group_size_y
      - .offset:         56
        .size:           2
        .value_kind:     hidden_group_size_z
      - .offset:         58
        .size:           2
        .value_kind:     hidden_remainder_x
      - .offset:         60
        .size:           2
        .value_kind:     hidden_remainder_y
      - .offset:         62
        .size:           2
        .value_kind:     hidden_remainder_z
      - .offset:         80
        .size:           8
        .value_kind:     hidden_global_offset_x
      - .offset:         88
        .size:           8
        .value_kind:     hidden_global_offset_y
      - .offset:         96
        .size:           8
        .value_kind:     hidden_global_offset_z
      - .offset:         104
        .size:           2
        .value_kind:     hidden_grid_dims
    .group_segment_fixed_size: 0
    .kernarg_segment_align: 8
    .kernarg_segment_size: 296
    .language:       OpenCL C
    .language_version:
      - 2
      - 0
    .max_flat_workgroup_size: 128
    .name:           _ZN7rocprim17ROCPRIM_400000_NS6detail17trampoline_kernelINS0_14default_configENS1_25transform_config_selectorIiLb1EEEZNS1_14transform_implILb1ES3_S5_PiS7_NS0_8identityIiEEEE10hipError_tT2_T3_mT4_P12ihipStream_tbEUlT_E_NS1_11comp_targetILNS1_3genE0ELNS1_11target_archE4294967295ELNS1_3gpuE0ELNS1_3repE0EEENS1_30default_config_static_selectorELNS0_4arch9wavefront6targetE0EEEvT1_
    .private_segment_fixed_size: 0
    .sgpr_count:     16
    .sgpr_spill_count: 0
    .symbol:         _ZN7rocprim17ROCPRIM_400000_NS6detail17trampoline_kernelINS0_14default_configENS1_25transform_config_selectorIiLb1EEEZNS1_14transform_implILb1ES3_S5_PiS7_NS0_8identityIiEEEE10hipError_tT2_T3_mT4_P12ihipStream_tbEUlT_E_NS1_11comp_targetILNS1_3genE0ELNS1_11target_archE4294967295ELNS1_3gpuE0ELNS1_3repE0EEENS1_30default_config_static_selectorELNS0_4arch9wavefront6targetE0EEEvT1_.kd
    .uniform_work_group_size: 1
    .uses_dynamic_stack: false
    .vgpr_count:     4
    .vgpr_spill_count: 0
    .wavefront_size: 32
  - .args:
      - .offset:         0
        .size:           40
        .value_kind:     by_value
    .group_segment_fixed_size: 0
    .kernarg_segment_align: 8
    .kernarg_segment_size: 40
    .language:       OpenCL C
    .language_version:
      - 2
      - 0
    .max_flat_workgroup_size: 1024
    .name:           _ZN7rocprim17ROCPRIM_400000_NS6detail17trampoline_kernelINS0_14default_configENS1_25transform_config_selectorIiLb1EEEZNS1_14transform_implILb1ES3_S5_PiS7_NS0_8identityIiEEEE10hipError_tT2_T3_mT4_P12ihipStream_tbEUlT_E_NS1_11comp_targetILNS1_3genE10ELNS1_11target_archE1201ELNS1_3gpuE5ELNS1_3repE0EEENS1_30default_config_static_selectorELNS0_4arch9wavefront6targetE0EEEvT1_
    .private_segment_fixed_size: 0
    .sgpr_count:     0
    .sgpr_spill_count: 0
    .symbol:         _ZN7rocprim17ROCPRIM_400000_NS6detail17trampoline_kernelINS0_14default_configENS1_25transform_config_selectorIiLb1EEEZNS1_14transform_implILb1ES3_S5_PiS7_NS0_8identityIiEEEE10hipError_tT2_T3_mT4_P12ihipStream_tbEUlT_E_NS1_11comp_targetILNS1_3genE10ELNS1_11target_archE1201ELNS1_3gpuE5ELNS1_3repE0EEENS1_30default_config_static_selectorELNS0_4arch9wavefront6targetE0EEEvT1_.kd
    .uniform_work_group_size: 1
    .uses_dynamic_stack: false
    .vgpr_count:     0
    .vgpr_spill_count: 0
    .wavefront_size: 32
  - .args:
      - .offset:         0
        .size:           40
        .value_kind:     by_value
    .group_segment_fixed_size: 0
    .kernarg_segment_align: 8
    .kernarg_segment_size: 40
    .language:       OpenCL C
    .language_version:
      - 2
      - 0
    .max_flat_workgroup_size: 256
    .name:           _ZN7rocprim17ROCPRIM_400000_NS6detail17trampoline_kernelINS0_14default_configENS1_25transform_config_selectorIiLb1EEEZNS1_14transform_implILb1ES3_S5_PiS7_NS0_8identityIiEEEE10hipError_tT2_T3_mT4_P12ihipStream_tbEUlT_E_NS1_11comp_targetILNS1_3genE5ELNS1_11target_archE942ELNS1_3gpuE9ELNS1_3repE0EEENS1_30default_config_static_selectorELNS0_4arch9wavefront6targetE0EEEvT1_
    .private_segment_fixed_size: 0
    .sgpr_count:     0
    .sgpr_spill_count: 0
    .symbol:         _ZN7rocprim17ROCPRIM_400000_NS6detail17trampoline_kernelINS0_14default_configENS1_25transform_config_selectorIiLb1EEEZNS1_14transform_implILb1ES3_S5_PiS7_NS0_8identityIiEEEE10hipError_tT2_T3_mT4_P12ihipStream_tbEUlT_E_NS1_11comp_targetILNS1_3genE5ELNS1_11target_archE942ELNS1_3gpuE9ELNS1_3repE0EEENS1_30default_config_static_selectorELNS0_4arch9wavefront6targetE0EEEvT1_.kd
    .uniform_work_group_size: 1
    .uses_dynamic_stack: false
    .vgpr_count:     0
    .vgpr_spill_count: 0
    .wavefront_size: 32
  - .args:
      - .offset:         0
        .size:           40
        .value_kind:     by_value
    .group_segment_fixed_size: 0
    .kernarg_segment_align: 8
    .kernarg_segment_size: 40
    .language:       OpenCL C
    .language_version:
      - 2
      - 0
    .max_flat_workgroup_size: 1024
    .name:           _ZN7rocprim17ROCPRIM_400000_NS6detail17trampoline_kernelINS0_14default_configENS1_25transform_config_selectorIiLb1EEEZNS1_14transform_implILb1ES3_S5_PiS7_NS0_8identityIiEEEE10hipError_tT2_T3_mT4_P12ihipStream_tbEUlT_E_NS1_11comp_targetILNS1_3genE4ELNS1_11target_archE910ELNS1_3gpuE8ELNS1_3repE0EEENS1_30default_config_static_selectorELNS0_4arch9wavefront6targetE0EEEvT1_
    .private_segment_fixed_size: 0
    .sgpr_count:     0
    .sgpr_spill_count: 0
    .symbol:         _ZN7rocprim17ROCPRIM_400000_NS6detail17trampoline_kernelINS0_14default_configENS1_25transform_config_selectorIiLb1EEEZNS1_14transform_implILb1ES3_S5_PiS7_NS0_8identityIiEEEE10hipError_tT2_T3_mT4_P12ihipStream_tbEUlT_E_NS1_11comp_targetILNS1_3genE4ELNS1_11target_archE910ELNS1_3gpuE8ELNS1_3repE0EEENS1_30default_config_static_selectorELNS0_4arch9wavefront6targetE0EEEvT1_.kd
    .uniform_work_group_size: 1
    .uses_dynamic_stack: false
    .vgpr_count:     0
    .vgpr_spill_count: 0
    .wavefront_size: 32
  - .args:
      - .offset:         0
        .size:           40
        .value_kind:     by_value
    .group_segment_fixed_size: 0
    .kernarg_segment_align: 8
    .kernarg_segment_size: 40
    .language:       OpenCL C
    .language_version:
      - 2
      - 0
    .max_flat_workgroup_size: 128
    .name:           _ZN7rocprim17ROCPRIM_400000_NS6detail17trampoline_kernelINS0_14default_configENS1_25transform_config_selectorIiLb1EEEZNS1_14transform_implILb1ES3_S5_PiS7_NS0_8identityIiEEEE10hipError_tT2_T3_mT4_P12ihipStream_tbEUlT_E_NS1_11comp_targetILNS1_3genE3ELNS1_11target_archE908ELNS1_3gpuE7ELNS1_3repE0EEENS1_30default_config_static_selectorELNS0_4arch9wavefront6targetE0EEEvT1_
    .private_segment_fixed_size: 0
    .sgpr_count:     0
    .sgpr_spill_count: 0
    .symbol:         _ZN7rocprim17ROCPRIM_400000_NS6detail17trampoline_kernelINS0_14default_configENS1_25transform_config_selectorIiLb1EEEZNS1_14transform_implILb1ES3_S5_PiS7_NS0_8identityIiEEEE10hipError_tT2_T3_mT4_P12ihipStream_tbEUlT_E_NS1_11comp_targetILNS1_3genE3ELNS1_11target_archE908ELNS1_3gpuE7ELNS1_3repE0EEENS1_30default_config_static_selectorELNS0_4arch9wavefront6targetE0EEEvT1_.kd
    .uniform_work_group_size: 1
    .uses_dynamic_stack: false
    .vgpr_count:     0
    .vgpr_spill_count: 0
    .wavefront_size: 32
  - .args:
      - .offset:         0
        .size:           40
        .value_kind:     by_value
    .group_segment_fixed_size: 0
    .kernarg_segment_align: 8
    .kernarg_segment_size: 40
    .language:       OpenCL C
    .language_version:
      - 2
      - 0
    .max_flat_workgroup_size: 1024
    .name:           _ZN7rocprim17ROCPRIM_400000_NS6detail17trampoline_kernelINS0_14default_configENS1_25transform_config_selectorIiLb1EEEZNS1_14transform_implILb1ES3_S5_PiS7_NS0_8identityIiEEEE10hipError_tT2_T3_mT4_P12ihipStream_tbEUlT_E_NS1_11comp_targetILNS1_3genE2ELNS1_11target_archE906ELNS1_3gpuE6ELNS1_3repE0EEENS1_30default_config_static_selectorELNS0_4arch9wavefront6targetE0EEEvT1_
    .private_segment_fixed_size: 0
    .sgpr_count:     0
    .sgpr_spill_count: 0
    .symbol:         _ZN7rocprim17ROCPRIM_400000_NS6detail17trampoline_kernelINS0_14default_configENS1_25transform_config_selectorIiLb1EEEZNS1_14transform_implILb1ES3_S5_PiS7_NS0_8identityIiEEEE10hipError_tT2_T3_mT4_P12ihipStream_tbEUlT_E_NS1_11comp_targetILNS1_3genE2ELNS1_11target_archE906ELNS1_3gpuE6ELNS1_3repE0EEENS1_30default_config_static_selectorELNS0_4arch9wavefront6targetE0EEEvT1_.kd
    .uniform_work_group_size: 1
    .uses_dynamic_stack: false
    .vgpr_count:     0
    .vgpr_spill_count: 0
    .wavefront_size: 32
  - .args:
      - .offset:         0
        .size:           40
        .value_kind:     by_value
    .group_segment_fixed_size: 0
    .kernarg_segment_align: 8
    .kernarg_segment_size: 40
    .language:       OpenCL C
    .language_version:
      - 2
      - 0
    .max_flat_workgroup_size: 1024
    .name:           _ZN7rocprim17ROCPRIM_400000_NS6detail17trampoline_kernelINS0_14default_configENS1_25transform_config_selectorIiLb1EEEZNS1_14transform_implILb1ES3_S5_PiS7_NS0_8identityIiEEEE10hipError_tT2_T3_mT4_P12ihipStream_tbEUlT_E_NS1_11comp_targetILNS1_3genE9ELNS1_11target_archE1100ELNS1_3gpuE3ELNS1_3repE0EEENS1_30default_config_static_selectorELNS0_4arch9wavefront6targetE0EEEvT1_
    .private_segment_fixed_size: 0
    .sgpr_count:     0
    .sgpr_spill_count: 0
    .symbol:         _ZN7rocprim17ROCPRIM_400000_NS6detail17trampoline_kernelINS0_14default_configENS1_25transform_config_selectorIiLb1EEEZNS1_14transform_implILb1ES3_S5_PiS7_NS0_8identityIiEEEE10hipError_tT2_T3_mT4_P12ihipStream_tbEUlT_E_NS1_11comp_targetILNS1_3genE9ELNS1_11target_archE1100ELNS1_3gpuE3ELNS1_3repE0EEENS1_30default_config_static_selectorELNS0_4arch9wavefront6targetE0EEEvT1_.kd
    .uniform_work_group_size: 1
    .uses_dynamic_stack: false
    .vgpr_count:     0
    .vgpr_spill_count: 0
    .wavefront_size: 32
  - .args:
      - .offset:         0
        .size:           40
        .value_kind:     by_value
    .group_segment_fixed_size: 0
    .kernarg_segment_align: 8
    .kernarg_segment_size: 40
    .language:       OpenCL C
    .language_version:
      - 2
      - 0
    .max_flat_workgroup_size: 1024
    .name:           _ZN7rocprim17ROCPRIM_400000_NS6detail17trampoline_kernelINS0_14default_configENS1_25transform_config_selectorIiLb1EEEZNS1_14transform_implILb1ES3_S5_PiS7_NS0_8identityIiEEEE10hipError_tT2_T3_mT4_P12ihipStream_tbEUlT_E_NS1_11comp_targetILNS1_3genE8ELNS1_11target_archE1030ELNS1_3gpuE2ELNS1_3repE0EEENS1_30default_config_static_selectorELNS0_4arch9wavefront6targetE0EEEvT1_
    .private_segment_fixed_size: 0
    .sgpr_count:     0
    .sgpr_spill_count: 0
    .symbol:         _ZN7rocprim17ROCPRIM_400000_NS6detail17trampoline_kernelINS0_14default_configENS1_25transform_config_selectorIiLb1EEEZNS1_14transform_implILb1ES3_S5_PiS7_NS0_8identityIiEEEE10hipError_tT2_T3_mT4_P12ihipStream_tbEUlT_E_NS1_11comp_targetILNS1_3genE8ELNS1_11target_archE1030ELNS1_3gpuE2ELNS1_3repE0EEENS1_30default_config_static_selectorELNS0_4arch9wavefront6targetE0EEEvT1_.kd
    .uniform_work_group_size: 1
    .uses_dynamic_stack: false
    .vgpr_count:     0
    .vgpr_spill_count: 0
    .wavefront_size: 32
  - .args:
      - .offset:         0
        .size:           40
        .value_kind:     by_value
    .group_segment_fixed_size: 0
    .kernarg_segment_align: 8
    .kernarg_segment_size: 40
    .language:       OpenCL C
    .language_version:
      - 2
      - 0
    .max_flat_workgroup_size: 128
    .name:           _ZN7rocprim17ROCPRIM_400000_NS6detail17trampoline_kernelINS0_14default_configENS1_38merge_sort_block_merge_config_selectorIiNS0_10empty_typeEEEZZNS1_27merge_sort_block_merge_implIS3_PiPS5_jNS1_19radix_merge_compareILb1ELb1EiNS0_19identity_decomposerEEEEE10hipError_tT0_T1_T2_jT3_P12ihipStream_tbPNSt15iterator_traitsISE_E10value_typeEPNSK_ISF_E10value_typeEPSG_NS1_7vsmem_tEENKUlT_SE_SF_SG_E_clIS8_S8_S9_S9_EESD_ST_SE_SF_SG_EUlST_E_NS1_11comp_targetILNS1_3genE0ELNS1_11target_archE4294967295ELNS1_3gpuE0ELNS1_3repE0EEENS1_48merge_mergepath_partition_config_static_selectorELNS0_4arch9wavefront6targetE0EEEvSF_
    .private_segment_fixed_size: 0
    .sgpr_count:     10
    .sgpr_spill_count: 0
    .symbol:         _ZN7rocprim17ROCPRIM_400000_NS6detail17trampoline_kernelINS0_14default_configENS1_38merge_sort_block_merge_config_selectorIiNS0_10empty_typeEEEZZNS1_27merge_sort_block_merge_implIS3_PiPS5_jNS1_19radix_merge_compareILb1ELb1EiNS0_19identity_decomposerEEEEE10hipError_tT0_T1_T2_jT3_P12ihipStream_tbPNSt15iterator_traitsISE_E10value_typeEPNSK_ISF_E10value_typeEPSG_NS1_7vsmem_tEENKUlT_SE_SF_SG_E_clIS8_S8_S9_S9_EESD_ST_SE_SF_SG_EUlST_E_NS1_11comp_targetILNS1_3genE0ELNS1_11target_archE4294967295ELNS1_3gpuE0ELNS1_3repE0EEENS1_48merge_mergepath_partition_config_static_selectorELNS0_4arch9wavefront6targetE0EEEvSF_.kd
    .uniform_work_group_size: 1
    .uses_dynamic_stack: false
    .vgpr_count:     17
    .vgpr_spill_count: 0
    .wavefront_size: 32
  - .args:
      - .offset:         0
        .size:           40
        .value_kind:     by_value
    .group_segment_fixed_size: 0
    .kernarg_segment_align: 8
    .kernarg_segment_size: 40
    .language:       OpenCL C
    .language_version:
      - 2
      - 0
    .max_flat_workgroup_size: 128
    .name:           _ZN7rocprim17ROCPRIM_400000_NS6detail17trampoline_kernelINS0_14default_configENS1_38merge_sort_block_merge_config_selectorIiNS0_10empty_typeEEEZZNS1_27merge_sort_block_merge_implIS3_PiPS5_jNS1_19radix_merge_compareILb1ELb1EiNS0_19identity_decomposerEEEEE10hipError_tT0_T1_T2_jT3_P12ihipStream_tbPNSt15iterator_traitsISE_E10value_typeEPNSK_ISF_E10value_typeEPSG_NS1_7vsmem_tEENKUlT_SE_SF_SG_E_clIS8_S8_S9_S9_EESD_ST_SE_SF_SG_EUlST_E_NS1_11comp_targetILNS1_3genE10ELNS1_11target_archE1201ELNS1_3gpuE5ELNS1_3repE0EEENS1_48merge_mergepath_partition_config_static_selectorELNS0_4arch9wavefront6targetE0EEEvSF_
    .private_segment_fixed_size: 0
    .sgpr_count:     0
    .sgpr_spill_count: 0
    .symbol:         _ZN7rocprim17ROCPRIM_400000_NS6detail17trampoline_kernelINS0_14default_configENS1_38merge_sort_block_merge_config_selectorIiNS0_10empty_typeEEEZZNS1_27merge_sort_block_merge_implIS3_PiPS5_jNS1_19radix_merge_compareILb1ELb1EiNS0_19identity_decomposerEEEEE10hipError_tT0_T1_T2_jT3_P12ihipStream_tbPNSt15iterator_traitsISE_E10value_typeEPNSK_ISF_E10value_typeEPSG_NS1_7vsmem_tEENKUlT_SE_SF_SG_E_clIS8_S8_S9_S9_EESD_ST_SE_SF_SG_EUlST_E_NS1_11comp_targetILNS1_3genE10ELNS1_11target_archE1201ELNS1_3gpuE5ELNS1_3repE0EEENS1_48merge_mergepath_partition_config_static_selectorELNS0_4arch9wavefront6targetE0EEEvSF_.kd
    .uniform_work_group_size: 1
    .uses_dynamic_stack: false
    .vgpr_count:     0
    .vgpr_spill_count: 0
    .wavefront_size: 32
  - .args:
      - .offset:         0
        .size:           40
        .value_kind:     by_value
    .group_segment_fixed_size: 0
    .kernarg_segment_align: 8
    .kernarg_segment_size: 40
    .language:       OpenCL C
    .language_version:
      - 2
      - 0
    .max_flat_workgroup_size: 128
    .name:           _ZN7rocprim17ROCPRIM_400000_NS6detail17trampoline_kernelINS0_14default_configENS1_38merge_sort_block_merge_config_selectorIiNS0_10empty_typeEEEZZNS1_27merge_sort_block_merge_implIS3_PiPS5_jNS1_19radix_merge_compareILb1ELb1EiNS0_19identity_decomposerEEEEE10hipError_tT0_T1_T2_jT3_P12ihipStream_tbPNSt15iterator_traitsISE_E10value_typeEPNSK_ISF_E10value_typeEPSG_NS1_7vsmem_tEENKUlT_SE_SF_SG_E_clIS8_S8_S9_S9_EESD_ST_SE_SF_SG_EUlST_E_NS1_11comp_targetILNS1_3genE5ELNS1_11target_archE942ELNS1_3gpuE9ELNS1_3repE0EEENS1_48merge_mergepath_partition_config_static_selectorELNS0_4arch9wavefront6targetE0EEEvSF_
    .private_segment_fixed_size: 0
    .sgpr_count:     0
    .sgpr_spill_count: 0
    .symbol:         _ZN7rocprim17ROCPRIM_400000_NS6detail17trampoline_kernelINS0_14default_configENS1_38merge_sort_block_merge_config_selectorIiNS0_10empty_typeEEEZZNS1_27merge_sort_block_merge_implIS3_PiPS5_jNS1_19radix_merge_compareILb1ELb1EiNS0_19identity_decomposerEEEEE10hipError_tT0_T1_T2_jT3_P12ihipStream_tbPNSt15iterator_traitsISE_E10value_typeEPNSK_ISF_E10value_typeEPSG_NS1_7vsmem_tEENKUlT_SE_SF_SG_E_clIS8_S8_S9_S9_EESD_ST_SE_SF_SG_EUlST_E_NS1_11comp_targetILNS1_3genE5ELNS1_11target_archE942ELNS1_3gpuE9ELNS1_3repE0EEENS1_48merge_mergepath_partition_config_static_selectorELNS0_4arch9wavefront6targetE0EEEvSF_.kd
    .uniform_work_group_size: 1
    .uses_dynamic_stack: false
    .vgpr_count:     0
    .vgpr_spill_count: 0
    .wavefront_size: 32
  - .args:
      - .offset:         0
        .size:           40
        .value_kind:     by_value
    .group_segment_fixed_size: 0
    .kernarg_segment_align: 8
    .kernarg_segment_size: 40
    .language:       OpenCL C
    .language_version:
      - 2
      - 0
    .max_flat_workgroup_size: 128
    .name:           _ZN7rocprim17ROCPRIM_400000_NS6detail17trampoline_kernelINS0_14default_configENS1_38merge_sort_block_merge_config_selectorIiNS0_10empty_typeEEEZZNS1_27merge_sort_block_merge_implIS3_PiPS5_jNS1_19radix_merge_compareILb1ELb1EiNS0_19identity_decomposerEEEEE10hipError_tT0_T1_T2_jT3_P12ihipStream_tbPNSt15iterator_traitsISE_E10value_typeEPNSK_ISF_E10value_typeEPSG_NS1_7vsmem_tEENKUlT_SE_SF_SG_E_clIS8_S8_S9_S9_EESD_ST_SE_SF_SG_EUlST_E_NS1_11comp_targetILNS1_3genE4ELNS1_11target_archE910ELNS1_3gpuE8ELNS1_3repE0EEENS1_48merge_mergepath_partition_config_static_selectorELNS0_4arch9wavefront6targetE0EEEvSF_
    .private_segment_fixed_size: 0
    .sgpr_count:     0
    .sgpr_spill_count: 0
    .symbol:         _ZN7rocprim17ROCPRIM_400000_NS6detail17trampoline_kernelINS0_14default_configENS1_38merge_sort_block_merge_config_selectorIiNS0_10empty_typeEEEZZNS1_27merge_sort_block_merge_implIS3_PiPS5_jNS1_19radix_merge_compareILb1ELb1EiNS0_19identity_decomposerEEEEE10hipError_tT0_T1_T2_jT3_P12ihipStream_tbPNSt15iterator_traitsISE_E10value_typeEPNSK_ISF_E10value_typeEPSG_NS1_7vsmem_tEENKUlT_SE_SF_SG_E_clIS8_S8_S9_S9_EESD_ST_SE_SF_SG_EUlST_E_NS1_11comp_targetILNS1_3genE4ELNS1_11target_archE910ELNS1_3gpuE8ELNS1_3repE0EEENS1_48merge_mergepath_partition_config_static_selectorELNS0_4arch9wavefront6targetE0EEEvSF_.kd
    .uniform_work_group_size: 1
    .uses_dynamic_stack: false
    .vgpr_count:     0
    .vgpr_spill_count: 0
    .wavefront_size: 32
  - .args:
      - .offset:         0
        .size:           40
        .value_kind:     by_value
    .group_segment_fixed_size: 0
    .kernarg_segment_align: 8
    .kernarg_segment_size: 40
    .language:       OpenCL C
    .language_version:
      - 2
      - 0
    .max_flat_workgroup_size: 128
    .name:           _ZN7rocprim17ROCPRIM_400000_NS6detail17trampoline_kernelINS0_14default_configENS1_38merge_sort_block_merge_config_selectorIiNS0_10empty_typeEEEZZNS1_27merge_sort_block_merge_implIS3_PiPS5_jNS1_19radix_merge_compareILb1ELb1EiNS0_19identity_decomposerEEEEE10hipError_tT0_T1_T2_jT3_P12ihipStream_tbPNSt15iterator_traitsISE_E10value_typeEPNSK_ISF_E10value_typeEPSG_NS1_7vsmem_tEENKUlT_SE_SF_SG_E_clIS8_S8_S9_S9_EESD_ST_SE_SF_SG_EUlST_E_NS1_11comp_targetILNS1_3genE3ELNS1_11target_archE908ELNS1_3gpuE7ELNS1_3repE0EEENS1_48merge_mergepath_partition_config_static_selectorELNS0_4arch9wavefront6targetE0EEEvSF_
    .private_segment_fixed_size: 0
    .sgpr_count:     0
    .sgpr_spill_count: 0
    .symbol:         _ZN7rocprim17ROCPRIM_400000_NS6detail17trampoline_kernelINS0_14default_configENS1_38merge_sort_block_merge_config_selectorIiNS0_10empty_typeEEEZZNS1_27merge_sort_block_merge_implIS3_PiPS5_jNS1_19radix_merge_compareILb1ELb1EiNS0_19identity_decomposerEEEEE10hipError_tT0_T1_T2_jT3_P12ihipStream_tbPNSt15iterator_traitsISE_E10value_typeEPNSK_ISF_E10value_typeEPSG_NS1_7vsmem_tEENKUlT_SE_SF_SG_E_clIS8_S8_S9_S9_EESD_ST_SE_SF_SG_EUlST_E_NS1_11comp_targetILNS1_3genE3ELNS1_11target_archE908ELNS1_3gpuE7ELNS1_3repE0EEENS1_48merge_mergepath_partition_config_static_selectorELNS0_4arch9wavefront6targetE0EEEvSF_.kd
    .uniform_work_group_size: 1
    .uses_dynamic_stack: false
    .vgpr_count:     0
    .vgpr_spill_count: 0
    .wavefront_size: 32
  - .args:
      - .offset:         0
        .size:           40
        .value_kind:     by_value
    .group_segment_fixed_size: 0
    .kernarg_segment_align: 8
    .kernarg_segment_size: 40
    .language:       OpenCL C
    .language_version:
      - 2
      - 0
    .max_flat_workgroup_size: 128
    .name:           _ZN7rocprim17ROCPRIM_400000_NS6detail17trampoline_kernelINS0_14default_configENS1_38merge_sort_block_merge_config_selectorIiNS0_10empty_typeEEEZZNS1_27merge_sort_block_merge_implIS3_PiPS5_jNS1_19radix_merge_compareILb1ELb1EiNS0_19identity_decomposerEEEEE10hipError_tT0_T1_T2_jT3_P12ihipStream_tbPNSt15iterator_traitsISE_E10value_typeEPNSK_ISF_E10value_typeEPSG_NS1_7vsmem_tEENKUlT_SE_SF_SG_E_clIS8_S8_S9_S9_EESD_ST_SE_SF_SG_EUlST_E_NS1_11comp_targetILNS1_3genE2ELNS1_11target_archE906ELNS1_3gpuE6ELNS1_3repE0EEENS1_48merge_mergepath_partition_config_static_selectorELNS0_4arch9wavefront6targetE0EEEvSF_
    .private_segment_fixed_size: 0
    .sgpr_count:     0
    .sgpr_spill_count: 0
    .symbol:         _ZN7rocprim17ROCPRIM_400000_NS6detail17trampoline_kernelINS0_14default_configENS1_38merge_sort_block_merge_config_selectorIiNS0_10empty_typeEEEZZNS1_27merge_sort_block_merge_implIS3_PiPS5_jNS1_19radix_merge_compareILb1ELb1EiNS0_19identity_decomposerEEEEE10hipError_tT0_T1_T2_jT3_P12ihipStream_tbPNSt15iterator_traitsISE_E10value_typeEPNSK_ISF_E10value_typeEPSG_NS1_7vsmem_tEENKUlT_SE_SF_SG_E_clIS8_S8_S9_S9_EESD_ST_SE_SF_SG_EUlST_E_NS1_11comp_targetILNS1_3genE2ELNS1_11target_archE906ELNS1_3gpuE6ELNS1_3repE0EEENS1_48merge_mergepath_partition_config_static_selectorELNS0_4arch9wavefront6targetE0EEEvSF_.kd
    .uniform_work_group_size: 1
    .uses_dynamic_stack: false
    .vgpr_count:     0
    .vgpr_spill_count: 0
    .wavefront_size: 32
  - .args:
      - .offset:         0
        .size:           40
        .value_kind:     by_value
    .group_segment_fixed_size: 0
    .kernarg_segment_align: 8
    .kernarg_segment_size: 40
    .language:       OpenCL C
    .language_version:
      - 2
      - 0
    .max_flat_workgroup_size: 128
    .name:           _ZN7rocprim17ROCPRIM_400000_NS6detail17trampoline_kernelINS0_14default_configENS1_38merge_sort_block_merge_config_selectorIiNS0_10empty_typeEEEZZNS1_27merge_sort_block_merge_implIS3_PiPS5_jNS1_19radix_merge_compareILb1ELb1EiNS0_19identity_decomposerEEEEE10hipError_tT0_T1_T2_jT3_P12ihipStream_tbPNSt15iterator_traitsISE_E10value_typeEPNSK_ISF_E10value_typeEPSG_NS1_7vsmem_tEENKUlT_SE_SF_SG_E_clIS8_S8_S9_S9_EESD_ST_SE_SF_SG_EUlST_E_NS1_11comp_targetILNS1_3genE9ELNS1_11target_archE1100ELNS1_3gpuE3ELNS1_3repE0EEENS1_48merge_mergepath_partition_config_static_selectorELNS0_4arch9wavefront6targetE0EEEvSF_
    .private_segment_fixed_size: 0
    .sgpr_count:     0
    .sgpr_spill_count: 0
    .symbol:         _ZN7rocprim17ROCPRIM_400000_NS6detail17trampoline_kernelINS0_14default_configENS1_38merge_sort_block_merge_config_selectorIiNS0_10empty_typeEEEZZNS1_27merge_sort_block_merge_implIS3_PiPS5_jNS1_19radix_merge_compareILb1ELb1EiNS0_19identity_decomposerEEEEE10hipError_tT0_T1_T2_jT3_P12ihipStream_tbPNSt15iterator_traitsISE_E10value_typeEPNSK_ISF_E10value_typeEPSG_NS1_7vsmem_tEENKUlT_SE_SF_SG_E_clIS8_S8_S9_S9_EESD_ST_SE_SF_SG_EUlST_E_NS1_11comp_targetILNS1_3genE9ELNS1_11target_archE1100ELNS1_3gpuE3ELNS1_3repE0EEENS1_48merge_mergepath_partition_config_static_selectorELNS0_4arch9wavefront6targetE0EEEvSF_.kd
    .uniform_work_group_size: 1
    .uses_dynamic_stack: false
    .vgpr_count:     0
    .vgpr_spill_count: 0
    .wavefront_size: 32
  - .args:
      - .offset:         0
        .size:           40
        .value_kind:     by_value
    .group_segment_fixed_size: 0
    .kernarg_segment_align: 8
    .kernarg_segment_size: 40
    .language:       OpenCL C
    .language_version:
      - 2
      - 0
    .max_flat_workgroup_size: 128
    .name:           _ZN7rocprim17ROCPRIM_400000_NS6detail17trampoline_kernelINS0_14default_configENS1_38merge_sort_block_merge_config_selectorIiNS0_10empty_typeEEEZZNS1_27merge_sort_block_merge_implIS3_PiPS5_jNS1_19radix_merge_compareILb1ELb1EiNS0_19identity_decomposerEEEEE10hipError_tT0_T1_T2_jT3_P12ihipStream_tbPNSt15iterator_traitsISE_E10value_typeEPNSK_ISF_E10value_typeEPSG_NS1_7vsmem_tEENKUlT_SE_SF_SG_E_clIS8_S8_S9_S9_EESD_ST_SE_SF_SG_EUlST_E_NS1_11comp_targetILNS1_3genE8ELNS1_11target_archE1030ELNS1_3gpuE2ELNS1_3repE0EEENS1_48merge_mergepath_partition_config_static_selectorELNS0_4arch9wavefront6targetE0EEEvSF_
    .private_segment_fixed_size: 0
    .sgpr_count:     0
    .sgpr_spill_count: 0
    .symbol:         _ZN7rocprim17ROCPRIM_400000_NS6detail17trampoline_kernelINS0_14default_configENS1_38merge_sort_block_merge_config_selectorIiNS0_10empty_typeEEEZZNS1_27merge_sort_block_merge_implIS3_PiPS5_jNS1_19radix_merge_compareILb1ELb1EiNS0_19identity_decomposerEEEEE10hipError_tT0_T1_T2_jT3_P12ihipStream_tbPNSt15iterator_traitsISE_E10value_typeEPNSK_ISF_E10value_typeEPSG_NS1_7vsmem_tEENKUlT_SE_SF_SG_E_clIS8_S8_S9_S9_EESD_ST_SE_SF_SG_EUlST_E_NS1_11comp_targetILNS1_3genE8ELNS1_11target_archE1030ELNS1_3gpuE2ELNS1_3repE0EEENS1_48merge_mergepath_partition_config_static_selectorELNS0_4arch9wavefront6targetE0EEEvSF_.kd
    .uniform_work_group_size: 1
    .uses_dynamic_stack: false
    .vgpr_count:     0
    .vgpr_spill_count: 0
    .wavefront_size: 32
  - .args:
      - .offset:         0
        .size:           64
        .value_kind:     by_value
      - .offset:         64
        .size:           4
        .value_kind:     hidden_block_count_x
      - .offset:         68
        .size:           4
        .value_kind:     hidden_block_count_y
      - .offset:         72
        .size:           4
        .value_kind:     hidden_block_count_z
      - .offset:         76
        .size:           2
        .value_kind:     hidden_group_size_x
      - .offset:         78
        .size:           2
        .value_kind:     hidden_group_size_y
      - .offset:         80
        .size:           2
        .value_kind:     hidden_group_size_z
      - .offset:         82
        .size:           2
        .value_kind:     hidden_remainder_x
      - .offset:         84
        .size:           2
        .value_kind:     hidden_remainder_y
      - .offset:         86
        .size:           2
        .value_kind:     hidden_remainder_z
      - .offset:         104
        .size:           8
        .value_kind:     hidden_global_offset_x
      - .offset:         112
        .size:           8
        .value_kind:     hidden_global_offset_y
      - .offset:         120
        .size:           8
        .value_kind:     hidden_global_offset_z
      - .offset:         128
        .size:           2
        .value_kind:     hidden_grid_dims
    .group_segment_fixed_size: 4224
    .kernarg_segment_align: 8
    .kernarg_segment_size: 320
    .language:       OpenCL C
    .language_version:
      - 2
      - 0
    .max_flat_workgroup_size: 128
    .name:           _ZN7rocprim17ROCPRIM_400000_NS6detail17trampoline_kernelINS0_14default_configENS1_38merge_sort_block_merge_config_selectorIiNS0_10empty_typeEEEZZNS1_27merge_sort_block_merge_implIS3_PiPS5_jNS1_19radix_merge_compareILb1ELb1EiNS0_19identity_decomposerEEEEE10hipError_tT0_T1_T2_jT3_P12ihipStream_tbPNSt15iterator_traitsISE_E10value_typeEPNSK_ISF_E10value_typeEPSG_NS1_7vsmem_tEENKUlT_SE_SF_SG_E_clIS8_S8_S9_S9_EESD_ST_SE_SF_SG_EUlST_E0_NS1_11comp_targetILNS1_3genE0ELNS1_11target_archE4294967295ELNS1_3gpuE0ELNS1_3repE0EEENS1_38merge_mergepath_config_static_selectorELNS0_4arch9wavefront6targetE0EEEvSF_
    .private_segment_fixed_size: 0
    .sgpr_count:     26
    .sgpr_spill_count: 0
    .symbol:         _ZN7rocprim17ROCPRIM_400000_NS6detail17trampoline_kernelINS0_14default_configENS1_38merge_sort_block_merge_config_selectorIiNS0_10empty_typeEEEZZNS1_27merge_sort_block_merge_implIS3_PiPS5_jNS1_19radix_merge_compareILb1ELb1EiNS0_19identity_decomposerEEEEE10hipError_tT0_T1_T2_jT3_P12ihipStream_tbPNSt15iterator_traitsISE_E10value_typeEPNSK_ISF_E10value_typeEPSG_NS1_7vsmem_tEENKUlT_SE_SF_SG_E_clIS8_S8_S9_S9_EESD_ST_SE_SF_SG_EUlST_E0_NS1_11comp_targetILNS1_3genE0ELNS1_11target_archE4294967295ELNS1_3gpuE0ELNS1_3repE0EEENS1_38merge_mergepath_config_static_selectorELNS0_4arch9wavefront6targetE0EEEvSF_.kd
    .uniform_work_group_size: 1
    .uses_dynamic_stack: false
    .vgpr_count:     32
    .vgpr_spill_count: 0
    .wavefront_size: 32
  - .args:
      - .offset:         0
        .size:           64
        .value_kind:     by_value
    .group_segment_fixed_size: 0
    .kernarg_segment_align: 8
    .kernarg_segment_size: 64
    .language:       OpenCL C
    .language_version:
      - 2
      - 0
    .max_flat_workgroup_size: 256
    .name:           _ZN7rocprim17ROCPRIM_400000_NS6detail17trampoline_kernelINS0_14default_configENS1_38merge_sort_block_merge_config_selectorIiNS0_10empty_typeEEEZZNS1_27merge_sort_block_merge_implIS3_PiPS5_jNS1_19radix_merge_compareILb1ELb1EiNS0_19identity_decomposerEEEEE10hipError_tT0_T1_T2_jT3_P12ihipStream_tbPNSt15iterator_traitsISE_E10value_typeEPNSK_ISF_E10value_typeEPSG_NS1_7vsmem_tEENKUlT_SE_SF_SG_E_clIS8_S8_S9_S9_EESD_ST_SE_SF_SG_EUlST_E0_NS1_11comp_targetILNS1_3genE10ELNS1_11target_archE1201ELNS1_3gpuE5ELNS1_3repE0EEENS1_38merge_mergepath_config_static_selectorELNS0_4arch9wavefront6targetE0EEEvSF_
    .private_segment_fixed_size: 0
    .sgpr_count:     0
    .sgpr_spill_count: 0
    .symbol:         _ZN7rocprim17ROCPRIM_400000_NS6detail17trampoline_kernelINS0_14default_configENS1_38merge_sort_block_merge_config_selectorIiNS0_10empty_typeEEEZZNS1_27merge_sort_block_merge_implIS3_PiPS5_jNS1_19radix_merge_compareILb1ELb1EiNS0_19identity_decomposerEEEEE10hipError_tT0_T1_T2_jT3_P12ihipStream_tbPNSt15iterator_traitsISE_E10value_typeEPNSK_ISF_E10value_typeEPSG_NS1_7vsmem_tEENKUlT_SE_SF_SG_E_clIS8_S8_S9_S9_EESD_ST_SE_SF_SG_EUlST_E0_NS1_11comp_targetILNS1_3genE10ELNS1_11target_archE1201ELNS1_3gpuE5ELNS1_3repE0EEENS1_38merge_mergepath_config_static_selectorELNS0_4arch9wavefront6targetE0EEEvSF_.kd
    .uniform_work_group_size: 1
    .uses_dynamic_stack: false
    .vgpr_count:     0
    .vgpr_spill_count: 0
    .wavefront_size: 32
  - .args:
      - .offset:         0
        .size:           64
        .value_kind:     by_value
    .group_segment_fixed_size: 0
    .kernarg_segment_align: 8
    .kernarg_segment_size: 64
    .language:       OpenCL C
    .language_version:
      - 2
      - 0
    .max_flat_workgroup_size: 128
    .name:           _ZN7rocprim17ROCPRIM_400000_NS6detail17trampoline_kernelINS0_14default_configENS1_38merge_sort_block_merge_config_selectorIiNS0_10empty_typeEEEZZNS1_27merge_sort_block_merge_implIS3_PiPS5_jNS1_19radix_merge_compareILb1ELb1EiNS0_19identity_decomposerEEEEE10hipError_tT0_T1_T2_jT3_P12ihipStream_tbPNSt15iterator_traitsISE_E10value_typeEPNSK_ISF_E10value_typeEPSG_NS1_7vsmem_tEENKUlT_SE_SF_SG_E_clIS8_S8_S9_S9_EESD_ST_SE_SF_SG_EUlST_E0_NS1_11comp_targetILNS1_3genE5ELNS1_11target_archE942ELNS1_3gpuE9ELNS1_3repE0EEENS1_38merge_mergepath_config_static_selectorELNS0_4arch9wavefront6targetE0EEEvSF_
    .private_segment_fixed_size: 0
    .sgpr_count:     0
    .sgpr_spill_count: 0
    .symbol:         _ZN7rocprim17ROCPRIM_400000_NS6detail17trampoline_kernelINS0_14default_configENS1_38merge_sort_block_merge_config_selectorIiNS0_10empty_typeEEEZZNS1_27merge_sort_block_merge_implIS3_PiPS5_jNS1_19radix_merge_compareILb1ELb1EiNS0_19identity_decomposerEEEEE10hipError_tT0_T1_T2_jT3_P12ihipStream_tbPNSt15iterator_traitsISE_E10value_typeEPNSK_ISF_E10value_typeEPSG_NS1_7vsmem_tEENKUlT_SE_SF_SG_E_clIS8_S8_S9_S9_EESD_ST_SE_SF_SG_EUlST_E0_NS1_11comp_targetILNS1_3genE5ELNS1_11target_archE942ELNS1_3gpuE9ELNS1_3repE0EEENS1_38merge_mergepath_config_static_selectorELNS0_4arch9wavefront6targetE0EEEvSF_.kd
    .uniform_work_group_size: 1
    .uses_dynamic_stack: false
    .vgpr_count:     0
    .vgpr_spill_count: 0
    .wavefront_size: 32
  - .args:
      - .offset:         0
        .size:           64
        .value_kind:     by_value
    .group_segment_fixed_size: 0
    .kernarg_segment_align: 8
    .kernarg_segment_size: 64
    .language:       OpenCL C
    .language_version:
      - 2
      - 0
    .max_flat_workgroup_size: 128
    .name:           _ZN7rocprim17ROCPRIM_400000_NS6detail17trampoline_kernelINS0_14default_configENS1_38merge_sort_block_merge_config_selectorIiNS0_10empty_typeEEEZZNS1_27merge_sort_block_merge_implIS3_PiPS5_jNS1_19radix_merge_compareILb1ELb1EiNS0_19identity_decomposerEEEEE10hipError_tT0_T1_T2_jT3_P12ihipStream_tbPNSt15iterator_traitsISE_E10value_typeEPNSK_ISF_E10value_typeEPSG_NS1_7vsmem_tEENKUlT_SE_SF_SG_E_clIS8_S8_S9_S9_EESD_ST_SE_SF_SG_EUlST_E0_NS1_11comp_targetILNS1_3genE4ELNS1_11target_archE910ELNS1_3gpuE8ELNS1_3repE0EEENS1_38merge_mergepath_config_static_selectorELNS0_4arch9wavefront6targetE0EEEvSF_
    .private_segment_fixed_size: 0
    .sgpr_count:     0
    .sgpr_spill_count: 0
    .symbol:         _ZN7rocprim17ROCPRIM_400000_NS6detail17trampoline_kernelINS0_14default_configENS1_38merge_sort_block_merge_config_selectorIiNS0_10empty_typeEEEZZNS1_27merge_sort_block_merge_implIS3_PiPS5_jNS1_19radix_merge_compareILb1ELb1EiNS0_19identity_decomposerEEEEE10hipError_tT0_T1_T2_jT3_P12ihipStream_tbPNSt15iterator_traitsISE_E10value_typeEPNSK_ISF_E10value_typeEPSG_NS1_7vsmem_tEENKUlT_SE_SF_SG_E_clIS8_S8_S9_S9_EESD_ST_SE_SF_SG_EUlST_E0_NS1_11comp_targetILNS1_3genE4ELNS1_11target_archE910ELNS1_3gpuE8ELNS1_3repE0EEENS1_38merge_mergepath_config_static_selectorELNS0_4arch9wavefront6targetE0EEEvSF_.kd
    .uniform_work_group_size: 1
    .uses_dynamic_stack: false
    .vgpr_count:     0
    .vgpr_spill_count: 0
    .wavefront_size: 32
  - .args:
      - .offset:         0
        .size:           64
        .value_kind:     by_value
    .group_segment_fixed_size: 0
    .kernarg_segment_align: 8
    .kernarg_segment_size: 64
    .language:       OpenCL C
    .language_version:
      - 2
      - 0
    .max_flat_workgroup_size: 128
    .name:           _ZN7rocprim17ROCPRIM_400000_NS6detail17trampoline_kernelINS0_14default_configENS1_38merge_sort_block_merge_config_selectorIiNS0_10empty_typeEEEZZNS1_27merge_sort_block_merge_implIS3_PiPS5_jNS1_19radix_merge_compareILb1ELb1EiNS0_19identity_decomposerEEEEE10hipError_tT0_T1_T2_jT3_P12ihipStream_tbPNSt15iterator_traitsISE_E10value_typeEPNSK_ISF_E10value_typeEPSG_NS1_7vsmem_tEENKUlT_SE_SF_SG_E_clIS8_S8_S9_S9_EESD_ST_SE_SF_SG_EUlST_E0_NS1_11comp_targetILNS1_3genE3ELNS1_11target_archE908ELNS1_3gpuE7ELNS1_3repE0EEENS1_38merge_mergepath_config_static_selectorELNS0_4arch9wavefront6targetE0EEEvSF_
    .private_segment_fixed_size: 0
    .sgpr_count:     0
    .sgpr_spill_count: 0
    .symbol:         _ZN7rocprim17ROCPRIM_400000_NS6detail17trampoline_kernelINS0_14default_configENS1_38merge_sort_block_merge_config_selectorIiNS0_10empty_typeEEEZZNS1_27merge_sort_block_merge_implIS3_PiPS5_jNS1_19radix_merge_compareILb1ELb1EiNS0_19identity_decomposerEEEEE10hipError_tT0_T1_T2_jT3_P12ihipStream_tbPNSt15iterator_traitsISE_E10value_typeEPNSK_ISF_E10value_typeEPSG_NS1_7vsmem_tEENKUlT_SE_SF_SG_E_clIS8_S8_S9_S9_EESD_ST_SE_SF_SG_EUlST_E0_NS1_11comp_targetILNS1_3genE3ELNS1_11target_archE908ELNS1_3gpuE7ELNS1_3repE0EEENS1_38merge_mergepath_config_static_selectorELNS0_4arch9wavefront6targetE0EEEvSF_.kd
    .uniform_work_group_size: 1
    .uses_dynamic_stack: false
    .vgpr_count:     0
    .vgpr_spill_count: 0
    .wavefront_size: 32
  - .args:
      - .offset:         0
        .size:           64
        .value_kind:     by_value
    .group_segment_fixed_size: 0
    .kernarg_segment_align: 8
    .kernarg_segment_size: 64
    .language:       OpenCL C
    .language_version:
      - 2
      - 0
    .max_flat_workgroup_size: 128
    .name:           _ZN7rocprim17ROCPRIM_400000_NS6detail17trampoline_kernelINS0_14default_configENS1_38merge_sort_block_merge_config_selectorIiNS0_10empty_typeEEEZZNS1_27merge_sort_block_merge_implIS3_PiPS5_jNS1_19radix_merge_compareILb1ELb1EiNS0_19identity_decomposerEEEEE10hipError_tT0_T1_T2_jT3_P12ihipStream_tbPNSt15iterator_traitsISE_E10value_typeEPNSK_ISF_E10value_typeEPSG_NS1_7vsmem_tEENKUlT_SE_SF_SG_E_clIS8_S8_S9_S9_EESD_ST_SE_SF_SG_EUlST_E0_NS1_11comp_targetILNS1_3genE2ELNS1_11target_archE906ELNS1_3gpuE6ELNS1_3repE0EEENS1_38merge_mergepath_config_static_selectorELNS0_4arch9wavefront6targetE0EEEvSF_
    .private_segment_fixed_size: 0
    .sgpr_count:     0
    .sgpr_spill_count: 0
    .symbol:         _ZN7rocprim17ROCPRIM_400000_NS6detail17trampoline_kernelINS0_14default_configENS1_38merge_sort_block_merge_config_selectorIiNS0_10empty_typeEEEZZNS1_27merge_sort_block_merge_implIS3_PiPS5_jNS1_19radix_merge_compareILb1ELb1EiNS0_19identity_decomposerEEEEE10hipError_tT0_T1_T2_jT3_P12ihipStream_tbPNSt15iterator_traitsISE_E10value_typeEPNSK_ISF_E10value_typeEPSG_NS1_7vsmem_tEENKUlT_SE_SF_SG_E_clIS8_S8_S9_S9_EESD_ST_SE_SF_SG_EUlST_E0_NS1_11comp_targetILNS1_3genE2ELNS1_11target_archE906ELNS1_3gpuE6ELNS1_3repE0EEENS1_38merge_mergepath_config_static_selectorELNS0_4arch9wavefront6targetE0EEEvSF_.kd
    .uniform_work_group_size: 1
    .uses_dynamic_stack: false
    .vgpr_count:     0
    .vgpr_spill_count: 0
    .wavefront_size: 32
  - .args:
      - .offset:         0
        .size:           64
        .value_kind:     by_value
    .group_segment_fixed_size: 0
    .kernarg_segment_align: 8
    .kernarg_segment_size: 64
    .language:       OpenCL C
    .language_version:
      - 2
      - 0
    .max_flat_workgroup_size: 256
    .name:           _ZN7rocprim17ROCPRIM_400000_NS6detail17trampoline_kernelINS0_14default_configENS1_38merge_sort_block_merge_config_selectorIiNS0_10empty_typeEEEZZNS1_27merge_sort_block_merge_implIS3_PiPS5_jNS1_19radix_merge_compareILb1ELb1EiNS0_19identity_decomposerEEEEE10hipError_tT0_T1_T2_jT3_P12ihipStream_tbPNSt15iterator_traitsISE_E10value_typeEPNSK_ISF_E10value_typeEPSG_NS1_7vsmem_tEENKUlT_SE_SF_SG_E_clIS8_S8_S9_S9_EESD_ST_SE_SF_SG_EUlST_E0_NS1_11comp_targetILNS1_3genE9ELNS1_11target_archE1100ELNS1_3gpuE3ELNS1_3repE0EEENS1_38merge_mergepath_config_static_selectorELNS0_4arch9wavefront6targetE0EEEvSF_
    .private_segment_fixed_size: 0
    .sgpr_count:     0
    .sgpr_spill_count: 0
    .symbol:         _ZN7rocprim17ROCPRIM_400000_NS6detail17trampoline_kernelINS0_14default_configENS1_38merge_sort_block_merge_config_selectorIiNS0_10empty_typeEEEZZNS1_27merge_sort_block_merge_implIS3_PiPS5_jNS1_19radix_merge_compareILb1ELb1EiNS0_19identity_decomposerEEEEE10hipError_tT0_T1_T2_jT3_P12ihipStream_tbPNSt15iterator_traitsISE_E10value_typeEPNSK_ISF_E10value_typeEPSG_NS1_7vsmem_tEENKUlT_SE_SF_SG_E_clIS8_S8_S9_S9_EESD_ST_SE_SF_SG_EUlST_E0_NS1_11comp_targetILNS1_3genE9ELNS1_11target_archE1100ELNS1_3gpuE3ELNS1_3repE0EEENS1_38merge_mergepath_config_static_selectorELNS0_4arch9wavefront6targetE0EEEvSF_.kd
    .uniform_work_group_size: 1
    .uses_dynamic_stack: false
    .vgpr_count:     0
    .vgpr_spill_count: 0
    .wavefront_size: 32
  - .args:
      - .offset:         0
        .size:           64
        .value_kind:     by_value
    .group_segment_fixed_size: 0
    .kernarg_segment_align: 8
    .kernarg_segment_size: 64
    .language:       OpenCL C
    .language_version:
      - 2
      - 0
    .max_flat_workgroup_size: 512
    .name:           _ZN7rocprim17ROCPRIM_400000_NS6detail17trampoline_kernelINS0_14default_configENS1_38merge_sort_block_merge_config_selectorIiNS0_10empty_typeEEEZZNS1_27merge_sort_block_merge_implIS3_PiPS5_jNS1_19radix_merge_compareILb1ELb1EiNS0_19identity_decomposerEEEEE10hipError_tT0_T1_T2_jT3_P12ihipStream_tbPNSt15iterator_traitsISE_E10value_typeEPNSK_ISF_E10value_typeEPSG_NS1_7vsmem_tEENKUlT_SE_SF_SG_E_clIS8_S8_S9_S9_EESD_ST_SE_SF_SG_EUlST_E0_NS1_11comp_targetILNS1_3genE8ELNS1_11target_archE1030ELNS1_3gpuE2ELNS1_3repE0EEENS1_38merge_mergepath_config_static_selectorELNS0_4arch9wavefront6targetE0EEEvSF_
    .private_segment_fixed_size: 0
    .sgpr_count:     0
    .sgpr_spill_count: 0
    .symbol:         _ZN7rocprim17ROCPRIM_400000_NS6detail17trampoline_kernelINS0_14default_configENS1_38merge_sort_block_merge_config_selectorIiNS0_10empty_typeEEEZZNS1_27merge_sort_block_merge_implIS3_PiPS5_jNS1_19radix_merge_compareILb1ELb1EiNS0_19identity_decomposerEEEEE10hipError_tT0_T1_T2_jT3_P12ihipStream_tbPNSt15iterator_traitsISE_E10value_typeEPNSK_ISF_E10value_typeEPSG_NS1_7vsmem_tEENKUlT_SE_SF_SG_E_clIS8_S8_S9_S9_EESD_ST_SE_SF_SG_EUlST_E0_NS1_11comp_targetILNS1_3genE8ELNS1_11target_archE1030ELNS1_3gpuE2ELNS1_3repE0EEENS1_38merge_mergepath_config_static_selectorELNS0_4arch9wavefront6targetE0EEEvSF_.kd
    .uniform_work_group_size: 1
    .uses_dynamic_stack: false
    .vgpr_count:     0
    .vgpr_spill_count: 0
    .wavefront_size: 32
  - .args:
      - .offset:         0
        .size:           48
        .value_kind:     by_value
    .group_segment_fixed_size: 0
    .kernarg_segment_align: 8
    .kernarg_segment_size: 48
    .language:       OpenCL C
    .language_version:
      - 2
      - 0
    .max_flat_workgroup_size: 256
    .name:           _ZN7rocprim17ROCPRIM_400000_NS6detail17trampoline_kernelINS0_14default_configENS1_38merge_sort_block_merge_config_selectorIiNS0_10empty_typeEEEZZNS1_27merge_sort_block_merge_implIS3_PiPS5_jNS1_19radix_merge_compareILb1ELb1EiNS0_19identity_decomposerEEEEE10hipError_tT0_T1_T2_jT3_P12ihipStream_tbPNSt15iterator_traitsISE_E10value_typeEPNSK_ISF_E10value_typeEPSG_NS1_7vsmem_tEENKUlT_SE_SF_SG_E_clIS8_S8_S9_S9_EESD_ST_SE_SF_SG_EUlST_E1_NS1_11comp_targetILNS1_3genE0ELNS1_11target_archE4294967295ELNS1_3gpuE0ELNS1_3repE0EEENS1_36merge_oddeven_config_static_selectorELNS0_4arch9wavefront6targetE0EEEvSF_
    .private_segment_fixed_size: 0
    .sgpr_count:     20
    .sgpr_spill_count: 0
    .symbol:         _ZN7rocprim17ROCPRIM_400000_NS6detail17trampoline_kernelINS0_14default_configENS1_38merge_sort_block_merge_config_selectorIiNS0_10empty_typeEEEZZNS1_27merge_sort_block_merge_implIS3_PiPS5_jNS1_19radix_merge_compareILb1ELb1EiNS0_19identity_decomposerEEEEE10hipError_tT0_T1_T2_jT3_P12ihipStream_tbPNSt15iterator_traitsISE_E10value_typeEPNSK_ISF_E10value_typeEPSG_NS1_7vsmem_tEENKUlT_SE_SF_SG_E_clIS8_S8_S9_S9_EESD_ST_SE_SF_SG_EUlST_E1_NS1_11comp_targetILNS1_3genE0ELNS1_11target_archE4294967295ELNS1_3gpuE0ELNS1_3repE0EEENS1_36merge_oddeven_config_static_selectorELNS0_4arch9wavefront6targetE0EEEvSF_.kd
    .uniform_work_group_size: 1
    .uses_dynamic_stack: false
    .vgpr_count:     8
    .vgpr_spill_count: 0
    .wavefront_size: 32
  - .args:
      - .offset:         0
        .size:           48
        .value_kind:     by_value
    .group_segment_fixed_size: 0
    .kernarg_segment_align: 8
    .kernarg_segment_size: 48
    .language:       OpenCL C
    .language_version:
      - 2
      - 0
    .max_flat_workgroup_size: 256
    .name:           _ZN7rocprim17ROCPRIM_400000_NS6detail17trampoline_kernelINS0_14default_configENS1_38merge_sort_block_merge_config_selectorIiNS0_10empty_typeEEEZZNS1_27merge_sort_block_merge_implIS3_PiPS5_jNS1_19radix_merge_compareILb1ELb1EiNS0_19identity_decomposerEEEEE10hipError_tT0_T1_T2_jT3_P12ihipStream_tbPNSt15iterator_traitsISE_E10value_typeEPNSK_ISF_E10value_typeEPSG_NS1_7vsmem_tEENKUlT_SE_SF_SG_E_clIS8_S8_S9_S9_EESD_ST_SE_SF_SG_EUlST_E1_NS1_11comp_targetILNS1_3genE10ELNS1_11target_archE1201ELNS1_3gpuE5ELNS1_3repE0EEENS1_36merge_oddeven_config_static_selectorELNS0_4arch9wavefront6targetE0EEEvSF_
    .private_segment_fixed_size: 0
    .sgpr_count:     0
    .sgpr_spill_count: 0
    .symbol:         _ZN7rocprim17ROCPRIM_400000_NS6detail17trampoline_kernelINS0_14default_configENS1_38merge_sort_block_merge_config_selectorIiNS0_10empty_typeEEEZZNS1_27merge_sort_block_merge_implIS3_PiPS5_jNS1_19radix_merge_compareILb1ELb1EiNS0_19identity_decomposerEEEEE10hipError_tT0_T1_T2_jT3_P12ihipStream_tbPNSt15iterator_traitsISE_E10value_typeEPNSK_ISF_E10value_typeEPSG_NS1_7vsmem_tEENKUlT_SE_SF_SG_E_clIS8_S8_S9_S9_EESD_ST_SE_SF_SG_EUlST_E1_NS1_11comp_targetILNS1_3genE10ELNS1_11target_archE1201ELNS1_3gpuE5ELNS1_3repE0EEENS1_36merge_oddeven_config_static_selectorELNS0_4arch9wavefront6targetE0EEEvSF_.kd
    .uniform_work_group_size: 1
    .uses_dynamic_stack: false
    .vgpr_count:     0
    .vgpr_spill_count: 0
    .wavefront_size: 32
  - .args:
      - .offset:         0
        .size:           48
        .value_kind:     by_value
    .group_segment_fixed_size: 0
    .kernarg_segment_align: 8
    .kernarg_segment_size: 48
    .language:       OpenCL C
    .language_version:
      - 2
      - 0
    .max_flat_workgroup_size: 256
    .name:           _ZN7rocprim17ROCPRIM_400000_NS6detail17trampoline_kernelINS0_14default_configENS1_38merge_sort_block_merge_config_selectorIiNS0_10empty_typeEEEZZNS1_27merge_sort_block_merge_implIS3_PiPS5_jNS1_19radix_merge_compareILb1ELb1EiNS0_19identity_decomposerEEEEE10hipError_tT0_T1_T2_jT3_P12ihipStream_tbPNSt15iterator_traitsISE_E10value_typeEPNSK_ISF_E10value_typeEPSG_NS1_7vsmem_tEENKUlT_SE_SF_SG_E_clIS8_S8_S9_S9_EESD_ST_SE_SF_SG_EUlST_E1_NS1_11comp_targetILNS1_3genE5ELNS1_11target_archE942ELNS1_3gpuE9ELNS1_3repE0EEENS1_36merge_oddeven_config_static_selectorELNS0_4arch9wavefront6targetE0EEEvSF_
    .private_segment_fixed_size: 0
    .sgpr_count:     0
    .sgpr_spill_count: 0
    .symbol:         _ZN7rocprim17ROCPRIM_400000_NS6detail17trampoline_kernelINS0_14default_configENS1_38merge_sort_block_merge_config_selectorIiNS0_10empty_typeEEEZZNS1_27merge_sort_block_merge_implIS3_PiPS5_jNS1_19radix_merge_compareILb1ELb1EiNS0_19identity_decomposerEEEEE10hipError_tT0_T1_T2_jT3_P12ihipStream_tbPNSt15iterator_traitsISE_E10value_typeEPNSK_ISF_E10value_typeEPSG_NS1_7vsmem_tEENKUlT_SE_SF_SG_E_clIS8_S8_S9_S9_EESD_ST_SE_SF_SG_EUlST_E1_NS1_11comp_targetILNS1_3genE5ELNS1_11target_archE942ELNS1_3gpuE9ELNS1_3repE0EEENS1_36merge_oddeven_config_static_selectorELNS0_4arch9wavefront6targetE0EEEvSF_.kd
    .uniform_work_group_size: 1
    .uses_dynamic_stack: false
    .vgpr_count:     0
    .vgpr_spill_count: 0
    .wavefront_size: 32
  - .args:
      - .offset:         0
        .size:           48
        .value_kind:     by_value
    .group_segment_fixed_size: 0
    .kernarg_segment_align: 8
    .kernarg_segment_size: 48
    .language:       OpenCL C
    .language_version:
      - 2
      - 0
    .max_flat_workgroup_size: 256
    .name:           _ZN7rocprim17ROCPRIM_400000_NS6detail17trampoline_kernelINS0_14default_configENS1_38merge_sort_block_merge_config_selectorIiNS0_10empty_typeEEEZZNS1_27merge_sort_block_merge_implIS3_PiPS5_jNS1_19radix_merge_compareILb1ELb1EiNS0_19identity_decomposerEEEEE10hipError_tT0_T1_T2_jT3_P12ihipStream_tbPNSt15iterator_traitsISE_E10value_typeEPNSK_ISF_E10value_typeEPSG_NS1_7vsmem_tEENKUlT_SE_SF_SG_E_clIS8_S8_S9_S9_EESD_ST_SE_SF_SG_EUlST_E1_NS1_11comp_targetILNS1_3genE4ELNS1_11target_archE910ELNS1_3gpuE8ELNS1_3repE0EEENS1_36merge_oddeven_config_static_selectorELNS0_4arch9wavefront6targetE0EEEvSF_
    .private_segment_fixed_size: 0
    .sgpr_count:     0
    .sgpr_spill_count: 0
    .symbol:         _ZN7rocprim17ROCPRIM_400000_NS6detail17trampoline_kernelINS0_14default_configENS1_38merge_sort_block_merge_config_selectorIiNS0_10empty_typeEEEZZNS1_27merge_sort_block_merge_implIS3_PiPS5_jNS1_19radix_merge_compareILb1ELb1EiNS0_19identity_decomposerEEEEE10hipError_tT0_T1_T2_jT3_P12ihipStream_tbPNSt15iterator_traitsISE_E10value_typeEPNSK_ISF_E10value_typeEPSG_NS1_7vsmem_tEENKUlT_SE_SF_SG_E_clIS8_S8_S9_S9_EESD_ST_SE_SF_SG_EUlST_E1_NS1_11comp_targetILNS1_3genE4ELNS1_11target_archE910ELNS1_3gpuE8ELNS1_3repE0EEENS1_36merge_oddeven_config_static_selectorELNS0_4arch9wavefront6targetE0EEEvSF_.kd
    .uniform_work_group_size: 1
    .uses_dynamic_stack: false
    .vgpr_count:     0
    .vgpr_spill_count: 0
    .wavefront_size: 32
  - .args:
      - .offset:         0
        .size:           48
        .value_kind:     by_value
    .group_segment_fixed_size: 0
    .kernarg_segment_align: 8
    .kernarg_segment_size: 48
    .language:       OpenCL C
    .language_version:
      - 2
      - 0
    .max_flat_workgroup_size: 256
    .name:           _ZN7rocprim17ROCPRIM_400000_NS6detail17trampoline_kernelINS0_14default_configENS1_38merge_sort_block_merge_config_selectorIiNS0_10empty_typeEEEZZNS1_27merge_sort_block_merge_implIS3_PiPS5_jNS1_19radix_merge_compareILb1ELb1EiNS0_19identity_decomposerEEEEE10hipError_tT0_T1_T2_jT3_P12ihipStream_tbPNSt15iterator_traitsISE_E10value_typeEPNSK_ISF_E10value_typeEPSG_NS1_7vsmem_tEENKUlT_SE_SF_SG_E_clIS8_S8_S9_S9_EESD_ST_SE_SF_SG_EUlST_E1_NS1_11comp_targetILNS1_3genE3ELNS1_11target_archE908ELNS1_3gpuE7ELNS1_3repE0EEENS1_36merge_oddeven_config_static_selectorELNS0_4arch9wavefront6targetE0EEEvSF_
    .private_segment_fixed_size: 0
    .sgpr_count:     0
    .sgpr_spill_count: 0
    .symbol:         _ZN7rocprim17ROCPRIM_400000_NS6detail17trampoline_kernelINS0_14default_configENS1_38merge_sort_block_merge_config_selectorIiNS0_10empty_typeEEEZZNS1_27merge_sort_block_merge_implIS3_PiPS5_jNS1_19radix_merge_compareILb1ELb1EiNS0_19identity_decomposerEEEEE10hipError_tT0_T1_T2_jT3_P12ihipStream_tbPNSt15iterator_traitsISE_E10value_typeEPNSK_ISF_E10value_typeEPSG_NS1_7vsmem_tEENKUlT_SE_SF_SG_E_clIS8_S8_S9_S9_EESD_ST_SE_SF_SG_EUlST_E1_NS1_11comp_targetILNS1_3genE3ELNS1_11target_archE908ELNS1_3gpuE7ELNS1_3repE0EEENS1_36merge_oddeven_config_static_selectorELNS0_4arch9wavefront6targetE0EEEvSF_.kd
    .uniform_work_group_size: 1
    .uses_dynamic_stack: false
    .vgpr_count:     0
    .vgpr_spill_count: 0
    .wavefront_size: 32
  - .args:
      - .offset:         0
        .size:           48
        .value_kind:     by_value
    .group_segment_fixed_size: 0
    .kernarg_segment_align: 8
    .kernarg_segment_size: 48
    .language:       OpenCL C
    .language_version:
      - 2
      - 0
    .max_flat_workgroup_size: 256
    .name:           _ZN7rocprim17ROCPRIM_400000_NS6detail17trampoline_kernelINS0_14default_configENS1_38merge_sort_block_merge_config_selectorIiNS0_10empty_typeEEEZZNS1_27merge_sort_block_merge_implIS3_PiPS5_jNS1_19radix_merge_compareILb1ELb1EiNS0_19identity_decomposerEEEEE10hipError_tT0_T1_T2_jT3_P12ihipStream_tbPNSt15iterator_traitsISE_E10value_typeEPNSK_ISF_E10value_typeEPSG_NS1_7vsmem_tEENKUlT_SE_SF_SG_E_clIS8_S8_S9_S9_EESD_ST_SE_SF_SG_EUlST_E1_NS1_11comp_targetILNS1_3genE2ELNS1_11target_archE906ELNS1_3gpuE6ELNS1_3repE0EEENS1_36merge_oddeven_config_static_selectorELNS0_4arch9wavefront6targetE0EEEvSF_
    .private_segment_fixed_size: 0
    .sgpr_count:     0
    .sgpr_spill_count: 0
    .symbol:         _ZN7rocprim17ROCPRIM_400000_NS6detail17trampoline_kernelINS0_14default_configENS1_38merge_sort_block_merge_config_selectorIiNS0_10empty_typeEEEZZNS1_27merge_sort_block_merge_implIS3_PiPS5_jNS1_19radix_merge_compareILb1ELb1EiNS0_19identity_decomposerEEEEE10hipError_tT0_T1_T2_jT3_P12ihipStream_tbPNSt15iterator_traitsISE_E10value_typeEPNSK_ISF_E10value_typeEPSG_NS1_7vsmem_tEENKUlT_SE_SF_SG_E_clIS8_S8_S9_S9_EESD_ST_SE_SF_SG_EUlST_E1_NS1_11comp_targetILNS1_3genE2ELNS1_11target_archE906ELNS1_3gpuE6ELNS1_3repE0EEENS1_36merge_oddeven_config_static_selectorELNS0_4arch9wavefront6targetE0EEEvSF_.kd
    .uniform_work_group_size: 1
    .uses_dynamic_stack: false
    .vgpr_count:     0
    .vgpr_spill_count: 0
    .wavefront_size: 32
  - .args:
      - .offset:         0
        .size:           48
        .value_kind:     by_value
    .group_segment_fixed_size: 0
    .kernarg_segment_align: 8
    .kernarg_segment_size: 48
    .language:       OpenCL C
    .language_version:
      - 2
      - 0
    .max_flat_workgroup_size: 256
    .name:           _ZN7rocprim17ROCPRIM_400000_NS6detail17trampoline_kernelINS0_14default_configENS1_38merge_sort_block_merge_config_selectorIiNS0_10empty_typeEEEZZNS1_27merge_sort_block_merge_implIS3_PiPS5_jNS1_19radix_merge_compareILb1ELb1EiNS0_19identity_decomposerEEEEE10hipError_tT0_T1_T2_jT3_P12ihipStream_tbPNSt15iterator_traitsISE_E10value_typeEPNSK_ISF_E10value_typeEPSG_NS1_7vsmem_tEENKUlT_SE_SF_SG_E_clIS8_S8_S9_S9_EESD_ST_SE_SF_SG_EUlST_E1_NS1_11comp_targetILNS1_3genE9ELNS1_11target_archE1100ELNS1_3gpuE3ELNS1_3repE0EEENS1_36merge_oddeven_config_static_selectorELNS0_4arch9wavefront6targetE0EEEvSF_
    .private_segment_fixed_size: 0
    .sgpr_count:     0
    .sgpr_spill_count: 0
    .symbol:         _ZN7rocprim17ROCPRIM_400000_NS6detail17trampoline_kernelINS0_14default_configENS1_38merge_sort_block_merge_config_selectorIiNS0_10empty_typeEEEZZNS1_27merge_sort_block_merge_implIS3_PiPS5_jNS1_19radix_merge_compareILb1ELb1EiNS0_19identity_decomposerEEEEE10hipError_tT0_T1_T2_jT3_P12ihipStream_tbPNSt15iterator_traitsISE_E10value_typeEPNSK_ISF_E10value_typeEPSG_NS1_7vsmem_tEENKUlT_SE_SF_SG_E_clIS8_S8_S9_S9_EESD_ST_SE_SF_SG_EUlST_E1_NS1_11comp_targetILNS1_3genE9ELNS1_11target_archE1100ELNS1_3gpuE3ELNS1_3repE0EEENS1_36merge_oddeven_config_static_selectorELNS0_4arch9wavefront6targetE0EEEvSF_.kd
    .uniform_work_group_size: 1
    .uses_dynamic_stack: false
    .vgpr_count:     0
    .vgpr_spill_count: 0
    .wavefront_size: 32
  - .args:
      - .offset:         0
        .size:           48
        .value_kind:     by_value
    .group_segment_fixed_size: 0
    .kernarg_segment_align: 8
    .kernarg_segment_size: 48
    .language:       OpenCL C
    .language_version:
      - 2
      - 0
    .max_flat_workgroup_size: 256
    .name:           _ZN7rocprim17ROCPRIM_400000_NS6detail17trampoline_kernelINS0_14default_configENS1_38merge_sort_block_merge_config_selectorIiNS0_10empty_typeEEEZZNS1_27merge_sort_block_merge_implIS3_PiPS5_jNS1_19radix_merge_compareILb1ELb1EiNS0_19identity_decomposerEEEEE10hipError_tT0_T1_T2_jT3_P12ihipStream_tbPNSt15iterator_traitsISE_E10value_typeEPNSK_ISF_E10value_typeEPSG_NS1_7vsmem_tEENKUlT_SE_SF_SG_E_clIS8_S8_S9_S9_EESD_ST_SE_SF_SG_EUlST_E1_NS1_11comp_targetILNS1_3genE8ELNS1_11target_archE1030ELNS1_3gpuE2ELNS1_3repE0EEENS1_36merge_oddeven_config_static_selectorELNS0_4arch9wavefront6targetE0EEEvSF_
    .private_segment_fixed_size: 0
    .sgpr_count:     0
    .sgpr_spill_count: 0
    .symbol:         _ZN7rocprim17ROCPRIM_400000_NS6detail17trampoline_kernelINS0_14default_configENS1_38merge_sort_block_merge_config_selectorIiNS0_10empty_typeEEEZZNS1_27merge_sort_block_merge_implIS3_PiPS5_jNS1_19radix_merge_compareILb1ELb1EiNS0_19identity_decomposerEEEEE10hipError_tT0_T1_T2_jT3_P12ihipStream_tbPNSt15iterator_traitsISE_E10value_typeEPNSK_ISF_E10value_typeEPSG_NS1_7vsmem_tEENKUlT_SE_SF_SG_E_clIS8_S8_S9_S9_EESD_ST_SE_SF_SG_EUlST_E1_NS1_11comp_targetILNS1_3genE8ELNS1_11target_archE1030ELNS1_3gpuE2ELNS1_3repE0EEENS1_36merge_oddeven_config_static_selectorELNS0_4arch9wavefront6targetE0EEEvSF_.kd
    .uniform_work_group_size: 1
    .uses_dynamic_stack: false
    .vgpr_count:     0
    .vgpr_spill_count: 0
    .wavefront_size: 32
  - .args:
      - .offset:         0
        .size:           48
        .value_kind:     by_value
    .group_segment_fixed_size: 16384
    .kernarg_segment_align: 8
    .kernarg_segment_size: 48
    .language:       OpenCL C
    .language_version:
      - 2
      - 0
    .max_flat_workgroup_size: 512
    .name:           _ZN7rocprim17ROCPRIM_400000_NS6detail17trampoline_kernelINS0_14default_configENS1_35radix_sort_onesweep_config_selectorIiNS0_10empty_typeEEEZNS1_34radix_sort_onesweep_global_offsetsIS3_Lb1EPKiPS5_mNS0_19identity_decomposerEEE10hipError_tT1_T2_PT3_SF_jT4_jjP12ihipStream_tbEUlT_E_NS1_11comp_targetILNS1_3genE0ELNS1_11target_archE4294967295ELNS1_3gpuE0ELNS1_3repE0EEENS1_52radix_sort_onesweep_histogram_config_static_selectorELNS0_4arch9wavefront6targetE0EEEvSD_
    .private_segment_fixed_size: 0
    .sgpr_count:     15
    .sgpr_spill_count: 0
    .symbol:         _ZN7rocprim17ROCPRIM_400000_NS6detail17trampoline_kernelINS0_14default_configENS1_35radix_sort_onesweep_config_selectorIiNS0_10empty_typeEEEZNS1_34radix_sort_onesweep_global_offsetsIS3_Lb1EPKiPS5_mNS0_19identity_decomposerEEE10hipError_tT1_T2_PT3_SF_jT4_jjP12ihipStream_tbEUlT_E_NS1_11comp_targetILNS1_3genE0ELNS1_11target_archE4294967295ELNS1_3gpuE0ELNS1_3repE0EEENS1_52radix_sort_onesweep_histogram_config_static_selectorELNS0_4arch9wavefront6targetE0EEEvSD_.kd
    .uniform_work_group_size: 1
    .uses_dynamic_stack: false
    .vgpr_count:     28
    .vgpr_spill_count: 0
    .wavefront_size: 32
  - .args:
      - .offset:         0
        .size:           48
        .value_kind:     by_value
    .group_segment_fixed_size: 0
    .kernarg_segment_align: 8
    .kernarg_segment_size: 48
    .language:       OpenCL C
    .language_version:
      - 2
      - 0
    .max_flat_workgroup_size: 1024
    .name:           _ZN7rocprim17ROCPRIM_400000_NS6detail17trampoline_kernelINS0_14default_configENS1_35radix_sort_onesweep_config_selectorIiNS0_10empty_typeEEEZNS1_34radix_sort_onesweep_global_offsetsIS3_Lb1EPKiPS5_mNS0_19identity_decomposerEEE10hipError_tT1_T2_PT3_SF_jT4_jjP12ihipStream_tbEUlT_E_NS1_11comp_targetILNS1_3genE6ELNS1_11target_archE950ELNS1_3gpuE13ELNS1_3repE0EEENS1_52radix_sort_onesweep_histogram_config_static_selectorELNS0_4arch9wavefront6targetE0EEEvSD_
    .private_segment_fixed_size: 0
    .sgpr_count:     0
    .sgpr_spill_count: 0
    .symbol:         _ZN7rocprim17ROCPRIM_400000_NS6detail17trampoline_kernelINS0_14default_configENS1_35radix_sort_onesweep_config_selectorIiNS0_10empty_typeEEEZNS1_34radix_sort_onesweep_global_offsetsIS3_Lb1EPKiPS5_mNS0_19identity_decomposerEEE10hipError_tT1_T2_PT3_SF_jT4_jjP12ihipStream_tbEUlT_E_NS1_11comp_targetILNS1_3genE6ELNS1_11target_archE950ELNS1_3gpuE13ELNS1_3repE0EEENS1_52radix_sort_onesweep_histogram_config_static_selectorELNS0_4arch9wavefront6targetE0EEEvSD_.kd
    .uniform_work_group_size: 1
    .uses_dynamic_stack: false
    .vgpr_count:     0
    .vgpr_spill_count: 0
    .wavefront_size: 32
  - .args:
      - .offset:         0
        .size:           48
        .value_kind:     by_value
    .group_segment_fixed_size: 0
    .kernarg_segment_align: 8
    .kernarg_segment_size: 48
    .language:       OpenCL C
    .language_version:
      - 2
      - 0
    .max_flat_workgroup_size: 1024
    .name:           _ZN7rocprim17ROCPRIM_400000_NS6detail17trampoline_kernelINS0_14default_configENS1_35radix_sort_onesweep_config_selectorIiNS0_10empty_typeEEEZNS1_34radix_sort_onesweep_global_offsetsIS3_Lb1EPKiPS5_mNS0_19identity_decomposerEEE10hipError_tT1_T2_PT3_SF_jT4_jjP12ihipStream_tbEUlT_E_NS1_11comp_targetILNS1_3genE5ELNS1_11target_archE942ELNS1_3gpuE9ELNS1_3repE0EEENS1_52radix_sort_onesweep_histogram_config_static_selectorELNS0_4arch9wavefront6targetE0EEEvSD_
    .private_segment_fixed_size: 0
    .sgpr_count:     0
    .sgpr_spill_count: 0
    .symbol:         _ZN7rocprim17ROCPRIM_400000_NS6detail17trampoline_kernelINS0_14default_configENS1_35radix_sort_onesweep_config_selectorIiNS0_10empty_typeEEEZNS1_34radix_sort_onesweep_global_offsetsIS3_Lb1EPKiPS5_mNS0_19identity_decomposerEEE10hipError_tT1_T2_PT3_SF_jT4_jjP12ihipStream_tbEUlT_E_NS1_11comp_targetILNS1_3genE5ELNS1_11target_archE942ELNS1_3gpuE9ELNS1_3repE0EEENS1_52radix_sort_onesweep_histogram_config_static_selectorELNS0_4arch9wavefront6targetE0EEEvSD_.kd
    .uniform_work_group_size: 1
    .uses_dynamic_stack: false
    .vgpr_count:     0
    .vgpr_spill_count: 0
    .wavefront_size: 32
  - .args:
      - .offset:         0
        .size:           48
        .value_kind:     by_value
    .group_segment_fixed_size: 0
    .kernarg_segment_align: 8
    .kernarg_segment_size: 48
    .language:       OpenCL C
    .language_version:
      - 2
      - 0
    .max_flat_workgroup_size: 1024
    .name:           _ZN7rocprim17ROCPRIM_400000_NS6detail17trampoline_kernelINS0_14default_configENS1_35radix_sort_onesweep_config_selectorIiNS0_10empty_typeEEEZNS1_34radix_sort_onesweep_global_offsetsIS3_Lb1EPKiPS5_mNS0_19identity_decomposerEEE10hipError_tT1_T2_PT3_SF_jT4_jjP12ihipStream_tbEUlT_E_NS1_11comp_targetILNS1_3genE2ELNS1_11target_archE906ELNS1_3gpuE6ELNS1_3repE0EEENS1_52radix_sort_onesweep_histogram_config_static_selectorELNS0_4arch9wavefront6targetE0EEEvSD_
    .private_segment_fixed_size: 0
    .sgpr_count:     0
    .sgpr_spill_count: 0
    .symbol:         _ZN7rocprim17ROCPRIM_400000_NS6detail17trampoline_kernelINS0_14default_configENS1_35radix_sort_onesweep_config_selectorIiNS0_10empty_typeEEEZNS1_34radix_sort_onesweep_global_offsetsIS3_Lb1EPKiPS5_mNS0_19identity_decomposerEEE10hipError_tT1_T2_PT3_SF_jT4_jjP12ihipStream_tbEUlT_E_NS1_11comp_targetILNS1_3genE2ELNS1_11target_archE906ELNS1_3gpuE6ELNS1_3repE0EEENS1_52radix_sort_onesweep_histogram_config_static_selectorELNS0_4arch9wavefront6targetE0EEEvSD_.kd
    .uniform_work_group_size: 1
    .uses_dynamic_stack: false
    .vgpr_count:     0
    .vgpr_spill_count: 0
    .wavefront_size: 32
  - .args:
      - .offset:         0
        .size:           48
        .value_kind:     by_value
    .group_segment_fixed_size: 0
    .kernarg_segment_align: 8
    .kernarg_segment_size: 48
    .language:       OpenCL C
    .language_version:
      - 2
      - 0
    .max_flat_workgroup_size: 1024
    .name:           _ZN7rocprim17ROCPRIM_400000_NS6detail17trampoline_kernelINS0_14default_configENS1_35radix_sort_onesweep_config_selectorIiNS0_10empty_typeEEEZNS1_34radix_sort_onesweep_global_offsetsIS3_Lb1EPKiPS5_mNS0_19identity_decomposerEEE10hipError_tT1_T2_PT3_SF_jT4_jjP12ihipStream_tbEUlT_E_NS1_11comp_targetILNS1_3genE4ELNS1_11target_archE910ELNS1_3gpuE8ELNS1_3repE0EEENS1_52radix_sort_onesweep_histogram_config_static_selectorELNS0_4arch9wavefront6targetE0EEEvSD_
    .private_segment_fixed_size: 0
    .sgpr_count:     0
    .sgpr_spill_count: 0
    .symbol:         _ZN7rocprim17ROCPRIM_400000_NS6detail17trampoline_kernelINS0_14default_configENS1_35radix_sort_onesweep_config_selectorIiNS0_10empty_typeEEEZNS1_34radix_sort_onesweep_global_offsetsIS3_Lb1EPKiPS5_mNS0_19identity_decomposerEEE10hipError_tT1_T2_PT3_SF_jT4_jjP12ihipStream_tbEUlT_E_NS1_11comp_targetILNS1_3genE4ELNS1_11target_archE910ELNS1_3gpuE8ELNS1_3repE0EEENS1_52radix_sort_onesweep_histogram_config_static_selectorELNS0_4arch9wavefront6targetE0EEEvSD_.kd
    .uniform_work_group_size: 1
    .uses_dynamic_stack: false
    .vgpr_count:     0
    .vgpr_spill_count: 0
    .wavefront_size: 32
  - .args:
      - .offset:         0
        .size:           48
        .value_kind:     by_value
    .group_segment_fixed_size: 0
    .kernarg_segment_align: 8
    .kernarg_segment_size: 48
    .language:       OpenCL C
    .language_version:
      - 2
      - 0
    .max_flat_workgroup_size: 512
    .name:           _ZN7rocprim17ROCPRIM_400000_NS6detail17trampoline_kernelINS0_14default_configENS1_35radix_sort_onesweep_config_selectorIiNS0_10empty_typeEEEZNS1_34radix_sort_onesweep_global_offsetsIS3_Lb1EPKiPS5_mNS0_19identity_decomposerEEE10hipError_tT1_T2_PT3_SF_jT4_jjP12ihipStream_tbEUlT_E_NS1_11comp_targetILNS1_3genE3ELNS1_11target_archE908ELNS1_3gpuE7ELNS1_3repE0EEENS1_52radix_sort_onesweep_histogram_config_static_selectorELNS0_4arch9wavefront6targetE0EEEvSD_
    .private_segment_fixed_size: 0
    .sgpr_count:     0
    .sgpr_spill_count: 0
    .symbol:         _ZN7rocprim17ROCPRIM_400000_NS6detail17trampoline_kernelINS0_14default_configENS1_35radix_sort_onesweep_config_selectorIiNS0_10empty_typeEEEZNS1_34radix_sort_onesweep_global_offsetsIS3_Lb1EPKiPS5_mNS0_19identity_decomposerEEE10hipError_tT1_T2_PT3_SF_jT4_jjP12ihipStream_tbEUlT_E_NS1_11comp_targetILNS1_3genE3ELNS1_11target_archE908ELNS1_3gpuE7ELNS1_3repE0EEENS1_52radix_sort_onesweep_histogram_config_static_selectorELNS0_4arch9wavefront6targetE0EEEvSD_.kd
    .uniform_work_group_size: 1
    .uses_dynamic_stack: false
    .vgpr_count:     0
    .vgpr_spill_count: 0
    .wavefront_size: 32
  - .args:
      - .offset:         0
        .size:           48
        .value_kind:     by_value
    .group_segment_fixed_size: 0
    .kernarg_segment_align: 8
    .kernarg_segment_size: 48
    .language:       OpenCL C
    .language_version:
      - 2
      - 0
    .max_flat_workgroup_size: 1024
    .name:           _ZN7rocprim17ROCPRIM_400000_NS6detail17trampoline_kernelINS0_14default_configENS1_35radix_sort_onesweep_config_selectorIiNS0_10empty_typeEEEZNS1_34radix_sort_onesweep_global_offsetsIS3_Lb1EPKiPS5_mNS0_19identity_decomposerEEE10hipError_tT1_T2_PT3_SF_jT4_jjP12ihipStream_tbEUlT_E_NS1_11comp_targetILNS1_3genE10ELNS1_11target_archE1201ELNS1_3gpuE5ELNS1_3repE0EEENS1_52radix_sort_onesweep_histogram_config_static_selectorELNS0_4arch9wavefront6targetE0EEEvSD_
    .private_segment_fixed_size: 0
    .sgpr_count:     0
    .sgpr_spill_count: 0
    .symbol:         _ZN7rocprim17ROCPRIM_400000_NS6detail17trampoline_kernelINS0_14default_configENS1_35radix_sort_onesweep_config_selectorIiNS0_10empty_typeEEEZNS1_34radix_sort_onesweep_global_offsetsIS3_Lb1EPKiPS5_mNS0_19identity_decomposerEEE10hipError_tT1_T2_PT3_SF_jT4_jjP12ihipStream_tbEUlT_E_NS1_11comp_targetILNS1_3genE10ELNS1_11target_archE1201ELNS1_3gpuE5ELNS1_3repE0EEENS1_52radix_sort_onesweep_histogram_config_static_selectorELNS0_4arch9wavefront6targetE0EEEvSD_.kd
    .uniform_work_group_size: 1
    .uses_dynamic_stack: false
    .vgpr_count:     0
    .vgpr_spill_count: 0
    .wavefront_size: 32
  - .args:
      - .offset:         0
        .size:           48
        .value_kind:     by_value
    .group_segment_fixed_size: 0
    .kernarg_segment_align: 8
    .kernarg_segment_size: 48
    .language:       OpenCL C
    .language_version:
      - 2
      - 0
    .max_flat_workgroup_size: 1024
    .name:           _ZN7rocprim17ROCPRIM_400000_NS6detail17trampoline_kernelINS0_14default_configENS1_35radix_sort_onesweep_config_selectorIiNS0_10empty_typeEEEZNS1_34radix_sort_onesweep_global_offsetsIS3_Lb1EPKiPS5_mNS0_19identity_decomposerEEE10hipError_tT1_T2_PT3_SF_jT4_jjP12ihipStream_tbEUlT_E_NS1_11comp_targetILNS1_3genE9ELNS1_11target_archE1100ELNS1_3gpuE3ELNS1_3repE0EEENS1_52radix_sort_onesweep_histogram_config_static_selectorELNS0_4arch9wavefront6targetE0EEEvSD_
    .private_segment_fixed_size: 0
    .sgpr_count:     0
    .sgpr_spill_count: 0
    .symbol:         _ZN7rocprim17ROCPRIM_400000_NS6detail17trampoline_kernelINS0_14default_configENS1_35radix_sort_onesweep_config_selectorIiNS0_10empty_typeEEEZNS1_34radix_sort_onesweep_global_offsetsIS3_Lb1EPKiPS5_mNS0_19identity_decomposerEEE10hipError_tT1_T2_PT3_SF_jT4_jjP12ihipStream_tbEUlT_E_NS1_11comp_targetILNS1_3genE9ELNS1_11target_archE1100ELNS1_3gpuE3ELNS1_3repE0EEENS1_52radix_sort_onesweep_histogram_config_static_selectorELNS0_4arch9wavefront6targetE0EEEvSD_.kd
    .uniform_work_group_size: 1
    .uses_dynamic_stack: false
    .vgpr_count:     0
    .vgpr_spill_count: 0
    .wavefront_size: 32
  - .args:
      - .offset:         0
        .size:           48
        .value_kind:     by_value
    .group_segment_fixed_size: 0
    .kernarg_segment_align: 8
    .kernarg_segment_size: 48
    .language:       OpenCL C
    .language_version:
      - 2
      - 0
    .max_flat_workgroup_size: 1024
    .name:           _ZN7rocprim17ROCPRIM_400000_NS6detail17trampoline_kernelINS0_14default_configENS1_35radix_sort_onesweep_config_selectorIiNS0_10empty_typeEEEZNS1_34radix_sort_onesweep_global_offsetsIS3_Lb1EPKiPS5_mNS0_19identity_decomposerEEE10hipError_tT1_T2_PT3_SF_jT4_jjP12ihipStream_tbEUlT_E_NS1_11comp_targetILNS1_3genE8ELNS1_11target_archE1030ELNS1_3gpuE2ELNS1_3repE0EEENS1_52radix_sort_onesweep_histogram_config_static_selectorELNS0_4arch9wavefront6targetE0EEEvSD_
    .private_segment_fixed_size: 0
    .sgpr_count:     0
    .sgpr_spill_count: 0
    .symbol:         _ZN7rocprim17ROCPRIM_400000_NS6detail17trampoline_kernelINS0_14default_configENS1_35radix_sort_onesweep_config_selectorIiNS0_10empty_typeEEEZNS1_34radix_sort_onesweep_global_offsetsIS3_Lb1EPKiPS5_mNS0_19identity_decomposerEEE10hipError_tT1_T2_PT3_SF_jT4_jjP12ihipStream_tbEUlT_E_NS1_11comp_targetILNS1_3genE8ELNS1_11target_archE1030ELNS1_3gpuE2ELNS1_3repE0EEENS1_52radix_sort_onesweep_histogram_config_static_selectorELNS0_4arch9wavefront6targetE0EEEvSD_.kd
    .uniform_work_group_size: 1
    .uses_dynamic_stack: false
    .vgpr_count:     0
    .vgpr_spill_count: 0
    .wavefront_size: 32
  - .args:
      - .address_space:  global
        .offset:         0
        .size:           8
        .value_kind:     global_buffer
    .group_segment_fixed_size: 128
    .kernarg_segment_align: 8
    .kernarg_segment_size: 8
    .language:       OpenCL C
    .language_version:
      - 2
      - 0
    .max_flat_workgroup_size: 512
    .name:           _ZN7rocprim17ROCPRIM_400000_NS6detail17trampoline_kernelINS0_14default_configENS1_35radix_sort_onesweep_config_selectorIiNS0_10empty_typeEEEZNS1_34radix_sort_onesweep_global_offsetsIS3_Lb1EPKiPS5_mNS0_19identity_decomposerEEE10hipError_tT1_T2_PT3_SF_jT4_jjP12ihipStream_tbEUlT_E0_NS1_11comp_targetILNS1_3genE0ELNS1_11target_archE4294967295ELNS1_3gpuE0ELNS1_3repE0EEENS1_52radix_sort_onesweep_histogram_config_static_selectorELNS0_4arch9wavefront6targetE0EEEvSD_
    .private_segment_fixed_size: 0
    .sgpr_count:     10
    .sgpr_spill_count: 0
    .symbol:         _ZN7rocprim17ROCPRIM_400000_NS6detail17trampoline_kernelINS0_14default_configENS1_35radix_sort_onesweep_config_selectorIiNS0_10empty_typeEEEZNS1_34radix_sort_onesweep_global_offsetsIS3_Lb1EPKiPS5_mNS0_19identity_decomposerEEE10hipError_tT1_T2_PT3_SF_jT4_jjP12ihipStream_tbEUlT_E0_NS1_11comp_targetILNS1_3genE0ELNS1_11target_archE4294967295ELNS1_3gpuE0ELNS1_3repE0EEENS1_52radix_sort_onesweep_histogram_config_static_selectorELNS0_4arch9wavefront6targetE0EEEvSD_.kd
    .uniform_work_group_size: 1
    .uses_dynamic_stack: false
    .vgpr_count:     14
    .vgpr_spill_count: 0
    .wavefront_size: 32
  - .args:
      - .address_space:  global
        .offset:         0
        .size:           8
        .value_kind:     global_buffer
    .group_segment_fixed_size: 0
    .kernarg_segment_align: 8
    .kernarg_segment_size: 8
    .language:       OpenCL C
    .language_version:
      - 2
      - 0
    .max_flat_workgroup_size: 1024
    .name:           _ZN7rocprim17ROCPRIM_400000_NS6detail17trampoline_kernelINS0_14default_configENS1_35radix_sort_onesweep_config_selectorIiNS0_10empty_typeEEEZNS1_34radix_sort_onesweep_global_offsetsIS3_Lb1EPKiPS5_mNS0_19identity_decomposerEEE10hipError_tT1_T2_PT3_SF_jT4_jjP12ihipStream_tbEUlT_E0_NS1_11comp_targetILNS1_3genE6ELNS1_11target_archE950ELNS1_3gpuE13ELNS1_3repE0EEENS1_52radix_sort_onesweep_histogram_config_static_selectorELNS0_4arch9wavefront6targetE0EEEvSD_
    .private_segment_fixed_size: 0
    .sgpr_count:     0
    .sgpr_spill_count: 0
    .symbol:         _ZN7rocprim17ROCPRIM_400000_NS6detail17trampoline_kernelINS0_14default_configENS1_35radix_sort_onesweep_config_selectorIiNS0_10empty_typeEEEZNS1_34radix_sort_onesweep_global_offsetsIS3_Lb1EPKiPS5_mNS0_19identity_decomposerEEE10hipError_tT1_T2_PT3_SF_jT4_jjP12ihipStream_tbEUlT_E0_NS1_11comp_targetILNS1_3genE6ELNS1_11target_archE950ELNS1_3gpuE13ELNS1_3repE0EEENS1_52radix_sort_onesweep_histogram_config_static_selectorELNS0_4arch9wavefront6targetE0EEEvSD_.kd
    .uniform_work_group_size: 1
    .uses_dynamic_stack: false
    .vgpr_count:     0
    .vgpr_spill_count: 0
    .wavefront_size: 32
  - .args:
      - .address_space:  global
        .offset:         0
        .size:           8
        .value_kind:     global_buffer
    .group_segment_fixed_size: 0
    .kernarg_segment_align: 8
    .kernarg_segment_size: 8
    .language:       OpenCL C
    .language_version:
      - 2
      - 0
    .max_flat_workgroup_size: 1024
    .name:           _ZN7rocprim17ROCPRIM_400000_NS6detail17trampoline_kernelINS0_14default_configENS1_35radix_sort_onesweep_config_selectorIiNS0_10empty_typeEEEZNS1_34radix_sort_onesweep_global_offsetsIS3_Lb1EPKiPS5_mNS0_19identity_decomposerEEE10hipError_tT1_T2_PT3_SF_jT4_jjP12ihipStream_tbEUlT_E0_NS1_11comp_targetILNS1_3genE5ELNS1_11target_archE942ELNS1_3gpuE9ELNS1_3repE0EEENS1_52radix_sort_onesweep_histogram_config_static_selectorELNS0_4arch9wavefront6targetE0EEEvSD_
    .private_segment_fixed_size: 0
    .sgpr_count:     0
    .sgpr_spill_count: 0
    .symbol:         _ZN7rocprim17ROCPRIM_400000_NS6detail17trampoline_kernelINS0_14default_configENS1_35radix_sort_onesweep_config_selectorIiNS0_10empty_typeEEEZNS1_34radix_sort_onesweep_global_offsetsIS3_Lb1EPKiPS5_mNS0_19identity_decomposerEEE10hipError_tT1_T2_PT3_SF_jT4_jjP12ihipStream_tbEUlT_E0_NS1_11comp_targetILNS1_3genE5ELNS1_11target_archE942ELNS1_3gpuE9ELNS1_3repE0EEENS1_52radix_sort_onesweep_histogram_config_static_selectorELNS0_4arch9wavefront6targetE0EEEvSD_.kd
    .uniform_work_group_size: 1
    .uses_dynamic_stack: false
    .vgpr_count:     0
    .vgpr_spill_count: 0
    .wavefront_size: 32
  - .args:
      - .address_space:  global
        .offset:         0
        .size:           8
        .value_kind:     global_buffer
    .group_segment_fixed_size: 0
    .kernarg_segment_align: 8
    .kernarg_segment_size: 8
    .language:       OpenCL C
    .language_version:
      - 2
      - 0
    .max_flat_workgroup_size: 1024
    .name:           _ZN7rocprim17ROCPRIM_400000_NS6detail17trampoline_kernelINS0_14default_configENS1_35radix_sort_onesweep_config_selectorIiNS0_10empty_typeEEEZNS1_34radix_sort_onesweep_global_offsetsIS3_Lb1EPKiPS5_mNS0_19identity_decomposerEEE10hipError_tT1_T2_PT3_SF_jT4_jjP12ihipStream_tbEUlT_E0_NS1_11comp_targetILNS1_3genE2ELNS1_11target_archE906ELNS1_3gpuE6ELNS1_3repE0EEENS1_52radix_sort_onesweep_histogram_config_static_selectorELNS0_4arch9wavefront6targetE0EEEvSD_
    .private_segment_fixed_size: 0
    .sgpr_count:     0
    .sgpr_spill_count: 0
    .symbol:         _ZN7rocprim17ROCPRIM_400000_NS6detail17trampoline_kernelINS0_14default_configENS1_35radix_sort_onesweep_config_selectorIiNS0_10empty_typeEEEZNS1_34radix_sort_onesweep_global_offsetsIS3_Lb1EPKiPS5_mNS0_19identity_decomposerEEE10hipError_tT1_T2_PT3_SF_jT4_jjP12ihipStream_tbEUlT_E0_NS1_11comp_targetILNS1_3genE2ELNS1_11target_archE906ELNS1_3gpuE6ELNS1_3repE0EEENS1_52radix_sort_onesweep_histogram_config_static_selectorELNS0_4arch9wavefront6targetE0EEEvSD_.kd
    .uniform_work_group_size: 1
    .uses_dynamic_stack: false
    .vgpr_count:     0
    .vgpr_spill_count: 0
    .wavefront_size: 32
  - .args:
      - .address_space:  global
        .offset:         0
        .size:           8
        .value_kind:     global_buffer
    .group_segment_fixed_size: 0
    .kernarg_segment_align: 8
    .kernarg_segment_size: 8
    .language:       OpenCL C
    .language_version:
      - 2
      - 0
    .max_flat_workgroup_size: 1024
    .name:           _ZN7rocprim17ROCPRIM_400000_NS6detail17trampoline_kernelINS0_14default_configENS1_35radix_sort_onesweep_config_selectorIiNS0_10empty_typeEEEZNS1_34radix_sort_onesweep_global_offsetsIS3_Lb1EPKiPS5_mNS0_19identity_decomposerEEE10hipError_tT1_T2_PT3_SF_jT4_jjP12ihipStream_tbEUlT_E0_NS1_11comp_targetILNS1_3genE4ELNS1_11target_archE910ELNS1_3gpuE8ELNS1_3repE0EEENS1_52radix_sort_onesweep_histogram_config_static_selectorELNS0_4arch9wavefront6targetE0EEEvSD_
    .private_segment_fixed_size: 0
    .sgpr_count:     0
    .sgpr_spill_count: 0
    .symbol:         _ZN7rocprim17ROCPRIM_400000_NS6detail17trampoline_kernelINS0_14default_configENS1_35radix_sort_onesweep_config_selectorIiNS0_10empty_typeEEEZNS1_34radix_sort_onesweep_global_offsetsIS3_Lb1EPKiPS5_mNS0_19identity_decomposerEEE10hipError_tT1_T2_PT3_SF_jT4_jjP12ihipStream_tbEUlT_E0_NS1_11comp_targetILNS1_3genE4ELNS1_11target_archE910ELNS1_3gpuE8ELNS1_3repE0EEENS1_52radix_sort_onesweep_histogram_config_static_selectorELNS0_4arch9wavefront6targetE0EEEvSD_.kd
    .uniform_work_group_size: 1
    .uses_dynamic_stack: false
    .vgpr_count:     0
    .vgpr_spill_count: 0
    .wavefront_size: 32
  - .args:
      - .address_space:  global
        .offset:         0
        .size:           8
        .value_kind:     global_buffer
    .group_segment_fixed_size: 0
    .kernarg_segment_align: 8
    .kernarg_segment_size: 8
    .language:       OpenCL C
    .language_version:
      - 2
      - 0
    .max_flat_workgroup_size: 512
    .name:           _ZN7rocprim17ROCPRIM_400000_NS6detail17trampoline_kernelINS0_14default_configENS1_35radix_sort_onesweep_config_selectorIiNS0_10empty_typeEEEZNS1_34radix_sort_onesweep_global_offsetsIS3_Lb1EPKiPS5_mNS0_19identity_decomposerEEE10hipError_tT1_T2_PT3_SF_jT4_jjP12ihipStream_tbEUlT_E0_NS1_11comp_targetILNS1_3genE3ELNS1_11target_archE908ELNS1_3gpuE7ELNS1_3repE0EEENS1_52radix_sort_onesweep_histogram_config_static_selectorELNS0_4arch9wavefront6targetE0EEEvSD_
    .private_segment_fixed_size: 0
    .sgpr_count:     0
    .sgpr_spill_count: 0
    .symbol:         _ZN7rocprim17ROCPRIM_400000_NS6detail17trampoline_kernelINS0_14default_configENS1_35radix_sort_onesweep_config_selectorIiNS0_10empty_typeEEEZNS1_34radix_sort_onesweep_global_offsetsIS3_Lb1EPKiPS5_mNS0_19identity_decomposerEEE10hipError_tT1_T2_PT3_SF_jT4_jjP12ihipStream_tbEUlT_E0_NS1_11comp_targetILNS1_3genE3ELNS1_11target_archE908ELNS1_3gpuE7ELNS1_3repE0EEENS1_52radix_sort_onesweep_histogram_config_static_selectorELNS0_4arch9wavefront6targetE0EEEvSD_.kd
    .uniform_work_group_size: 1
    .uses_dynamic_stack: false
    .vgpr_count:     0
    .vgpr_spill_count: 0
    .wavefront_size: 32
  - .args:
      - .address_space:  global
        .offset:         0
        .size:           8
        .value_kind:     global_buffer
    .group_segment_fixed_size: 0
    .kernarg_segment_align: 8
    .kernarg_segment_size: 8
    .language:       OpenCL C
    .language_version:
      - 2
      - 0
    .max_flat_workgroup_size: 1024
    .name:           _ZN7rocprim17ROCPRIM_400000_NS6detail17trampoline_kernelINS0_14default_configENS1_35radix_sort_onesweep_config_selectorIiNS0_10empty_typeEEEZNS1_34radix_sort_onesweep_global_offsetsIS3_Lb1EPKiPS5_mNS0_19identity_decomposerEEE10hipError_tT1_T2_PT3_SF_jT4_jjP12ihipStream_tbEUlT_E0_NS1_11comp_targetILNS1_3genE10ELNS1_11target_archE1201ELNS1_3gpuE5ELNS1_3repE0EEENS1_52radix_sort_onesweep_histogram_config_static_selectorELNS0_4arch9wavefront6targetE0EEEvSD_
    .private_segment_fixed_size: 0
    .sgpr_count:     0
    .sgpr_spill_count: 0
    .symbol:         _ZN7rocprim17ROCPRIM_400000_NS6detail17trampoline_kernelINS0_14default_configENS1_35radix_sort_onesweep_config_selectorIiNS0_10empty_typeEEEZNS1_34radix_sort_onesweep_global_offsetsIS3_Lb1EPKiPS5_mNS0_19identity_decomposerEEE10hipError_tT1_T2_PT3_SF_jT4_jjP12ihipStream_tbEUlT_E0_NS1_11comp_targetILNS1_3genE10ELNS1_11target_archE1201ELNS1_3gpuE5ELNS1_3repE0EEENS1_52radix_sort_onesweep_histogram_config_static_selectorELNS0_4arch9wavefront6targetE0EEEvSD_.kd
    .uniform_work_group_size: 1
    .uses_dynamic_stack: false
    .vgpr_count:     0
    .vgpr_spill_count: 0
    .wavefront_size: 32
  - .args:
      - .address_space:  global
        .offset:         0
        .size:           8
        .value_kind:     global_buffer
    .group_segment_fixed_size: 0
    .kernarg_segment_align: 8
    .kernarg_segment_size: 8
    .language:       OpenCL C
    .language_version:
      - 2
      - 0
    .max_flat_workgroup_size: 1024
    .name:           _ZN7rocprim17ROCPRIM_400000_NS6detail17trampoline_kernelINS0_14default_configENS1_35radix_sort_onesweep_config_selectorIiNS0_10empty_typeEEEZNS1_34radix_sort_onesweep_global_offsetsIS3_Lb1EPKiPS5_mNS0_19identity_decomposerEEE10hipError_tT1_T2_PT3_SF_jT4_jjP12ihipStream_tbEUlT_E0_NS1_11comp_targetILNS1_3genE9ELNS1_11target_archE1100ELNS1_3gpuE3ELNS1_3repE0EEENS1_52radix_sort_onesweep_histogram_config_static_selectorELNS0_4arch9wavefront6targetE0EEEvSD_
    .private_segment_fixed_size: 0
    .sgpr_count:     0
    .sgpr_spill_count: 0
    .symbol:         _ZN7rocprim17ROCPRIM_400000_NS6detail17trampoline_kernelINS0_14default_configENS1_35radix_sort_onesweep_config_selectorIiNS0_10empty_typeEEEZNS1_34radix_sort_onesweep_global_offsetsIS3_Lb1EPKiPS5_mNS0_19identity_decomposerEEE10hipError_tT1_T2_PT3_SF_jT4_jjP12ihipStream_tbEUlT_E0_NS1_11comp_targetILNS1_3genE9ELNS1_11target_archE1100ELNS1_3gpuE3ELNS1_3repE0EEENS1_52radix_sort_onesweep_histogram_config_static_selectorELNS0_4arch9wavefront6targetE0EEEvSD_.kd
    .uniform_work_group_size: 1
    .uses_dynamic_stack: false
    .vgpr_count:     0
    .vgpr_spill_count: 0
    .wavefront_size: 32
  - .args:
      - .address_space:  global
        .offset:         0
        .size:           8
        .value_kind:     global_buffer
    .group_segment_fixed_size: 0
    .kernarg_segment_align: 8
    .kernarg_segment_size: 8
    .language:       OpenCL C
    .language_version:
      - 2
      - 0
    .max_flat_workgroup_size: 1024
    .name:           _ZN7rocprim17ROCPRIM_400000_NS6detail17trampoline_kernelINS0_14default_configENS1_35radix_sort_onesweep_config_selectorIiNS0_10empty_typeEEEZNS1_34radix_sort_onesweep_global_offsetsIS3_Lb1EPKiPS5_mNS0_19identity_decomposerEEE10hipError_tT1_T2_PT3_SF_jT4_jjP12ihipStream_tbEUlT_E0_NS1_11comp_targetILNS1_3genE8ELNS1_11target_archE1030ELNS1_3gpuE2ELNS1_3repE0EEENS1_52radix_sort_onesweep_histogram_config_static_selectorELNS0_4arch9wavefront6targetE0EEEvSD_
    .private_segment_fixed_size: 0
    .sgpr_count:     0
    .sgpr_spill_count: 0
    .symbol:         _ZN7rocprim17ROCPRIM_400000_NS6detail17trampoline_kernelINS0_14default_configENS1_35radix_sort_onesweep_config_selectorIiNS0_10empty_typeEEEZNS1_34radix_sort_onesweep_global_offsetsIS3_Lb1EPKiPS5_mNS0_19identity_decomposerEEE10hipError_tT1_T2_PT3_SF_jT4_jjP12ihipStream_tbEUlT_E0_NS1_11comp_targetILNS1_3genE8ELNS1_11target_archE1030ELNS1_3gpuE2ELNS1_3repE0EEENS1_52radix_sort_onesweep_histogram_config_static_selectorELNS0_4arch9wavefront6targetE0EEEvSD_.kd
    .uniform_work_group_size: 1
    .uses_dynamic_stack: false
    .vgpr_count:     0
    .vgpr_spill_count: 0
    .wavefront_size: 32
  - .args:
      - .offset:         0
        .size:           40
        .value_kind:     by_value
      - .offset:         40
        .size:           4
        .value_kind:     hidden_block_count_x
      - .offset:         44
        .size:           4
        .value_kind:     hidden_block_count_y
      - .offset:         48
        .size:           4
        .value_kind:     hidden_block_count_z
      - .offset:         52
        .size:           2
        .value_kind:     hidden_group_size_x
      - .offset:         54
        .size:           2
        .value_kind:     hidden_group_size_y
      - .offset:         56
        .size:           2
        .value_kind:     hidden_group_size_z
      - .offset:         58
        .size:           2
        .value_kind:     hidden_remainder_x
      - .offset:         60
        .size:           2
        .value_kind:     hidden_remainder_y
      - .offset:         62
        .size:           2
        .value_kind:     hidden_remainder_z
      - .offset:         80
        .size:           8
        .value_kind:     hidden_global_offset_x
      - .offset:         88
        .size:           8
        .value_kind:     hidden_global_offset_y
      - .offset:         96
        .size:           8
        .value_kind:     hidden_global_offset_z
      - .offset:         104
        .size:           2
        .value_kind:     hidden_grid_dims
    .group_segment_fixed_size: 0
    .kernarg_segment_align: 8
    .kernarg_segment_size: 296
    .language:       OpenCL C
    .language_version:
      - 2
      - 0
    .max_flat_workgroup_size: 128
    .name:           _ZN7rocprim17ROCPRIM_400000_NS6detail17trampoline_kernelINS0_14default_configENS1_25transform_config_selectorIiLb1EEEZNS1_14transform_implILb1ES3_S5_PKiPiNS0_8identityIiEEEE10hipError_tT2_T3_mT4_P12ihipStream_tbEUlT_E_NS1_11comp_targetILNS1_3genE0ELNS1_11target_archE4294967295ELNS1_3gpuE0ELNS1_3repE0EEENS1_30default_config_static_selectorELNS0_4arch9wavefront6targetE0EEEvT1_
    .private_segment_fixed_size: 0
    .sgpr_count:     16
    .sgpr_spill_count: 0
    .symbol:         _ZN7rocprim17ROCPRIM_400000_NS6detail17trampoline_kernelINS0_14default_configENS1_25transform_config_selectorIiLb1EEEZNS1_14transform_implILb1ES3_S5_PKiPiNS0_8identityIiEEEE10hipError_tT2_T3_mT4_P12ihipStream_tbEUlT_E_NS1_11comp_targetILNS1_3genE0ELNS1_11target_archE4294967295ELNS1_3gpuE0ELNS1_3repE0EEENS1_30default_config_static_selectorELNS0_4arch9wavefront6targetE0EEEvT1_.kd
    .uniform_work_group_size: 1
    .uses_dynamic_stack: false
    .vgpr_count:     4
    .vgpr_spill_count: 0
    .wavefront_size: 32
  - .args:
      - .offset:         0
        .size:           40
        .value_kind:     by_value
    .group_segment_fixed_size: 0
    .kernarg_segment_align: 8
    .kernarg_segment_size: 40
    .language:       OpenCL C
    .language_version:
      - 2
      - 0
    .max_flat_workgroup_size: 1024
    .name:           _ZN7rocprim17ROCPRIM_400000_NS6detail17trampoline_kernelINS0_14default_configENS1_25transform_config_selectorIiLb1EEEZNS1_14transform_implILb1ES3_S5_PKiPiNS0_8identityIiEEEE10hipError_tT2_T3_mT4_P12ihipStream_tbEUlT_E_NS1_11comp_targetILNS1_3genE10ELNS1_11target_archE1201ELNS1_3gpuE5ELNS1_3repE0EEENS1_30default_config_static_selectorELNS0_4arch9wavefront6targetE0EEEvT1_
    .private_segment_fixed_size: 0
    .sgpr_count:     0
    .sgpr_spill_count: 0
    .symbol:         _ZN7rocprim17ROCPRIM_400000_NS6detail17trampoline_kernelINS0_14default_configENS1_25transform_config_selectorIiLb1EEEZNS1_14transform_implILb1ES3_S5_PKiPiNS0_8identityIiEEEE10hipError_tT2_T3_mT4_P12ihipStream_tbEUlT_E_NS1_11comp_targetILNS1_3genE10ELNS1_11target_archE1201ELNS1_3gpuE5ELNS1_3repE0EEENS1_30default_config_static_selectorELNS0_4arch9wavefront6targetE0EEEvT1_.kd
    .uniform_work_group_size: 1
    .uses_dynamic_stack: false
    .vgpr_count:     0
    .vgpr_spill_count: 0
    .wavefront_size: 32
  - .args:
      - .offset:         0
        .size:           40
        .value_kind:     by_value
    .group_segment_fixed_size: 0
    .kernarg_segment_align: 8
    .kernarg_segment_size: 40
    .language:       OpenCL C
    .language_version:
      - 2
      - 0
    .max_flat_workgroup_size: 256
    .name:           _ZN7rocprim17ROCPRIM_400000_NS6detail17trampoline_kernelINS0_14default_configENS1_25transform_config_selectorIiLb1EEEZNS1_14transform_implILb1ES3_S5_PKiPiNS0_8identityIiEEEE10hipError_tT2_T3_mT4_P12ihipStream_tbEUlT_E_NS1_11comp_targetILNS1_3genE5ELNS1_11target_archE942ELNS1_3gpuE9ELNS1_3repE0EEENS1_30default_config_static_selectorELNS0_4arch9wavefront6targetE0EEEvT1_
    .private_segment_fixed_size: 0
    .sgpr_count:     0
    .sgpr_spill_count: 0
    .symbol:         _ZN7rocprim17ROCPRIM_400000_NS6detail17trampoline_kernelINS0_14default_configENS1_25transform_config_selectorIiLb1EEEZNS1_14transform_implILb1ES3_S5_PKiPiNS0_8identityIiEEEE10hipError_tT2_T3_mT4_P12ihipStream_tbEUlT_E_NS1_11comp_targetILNS1_3genE5ELNS1_11target_archE942ELNS1_3gpuE9ELNS1_3repE0EEENS1_30default_config_static_selectorELNS0_4arch9wavefront6targetE0EEEvT1_.kd
    .uniform_work_group_size: 1
    .uses_dynamic_stack: false
    .vgpr_count:     0
    .vgpr_spill_count: 0
    .wavefront_size: 32
  - .args:
      - .offset:         0
        .size:           40
        .value_kind:     by_value
    .group_segment_fixed_size: 0
    .kernarg_segment_align: 8
    .kernarg_segment_size: 40
    .language:       OpenCL C
    .language_version:
      - 2
      - 0
    .max_flat_workgroup_size: 1024
    .name:           _ZN7rocprim17ROCPRIM_400000_NS6detail17trampoline_kernelINS0_14default_configENS1_25transform_config_selectorIiLb1EEEZNS1_14transform_implILb1ES3_S5_PKiPiNS0_8identityIiEEEE10hipError_tT2_T3_mT4_P12ihipStream_tbEUlT_E_NS1_11comp_targetILNS1_3genE4ELNS1_11target_archE910ELNS1_3gpuE8ELNS1_3repE0EEENS1_30default_config_static_selectorELNS0_4arch9wavefront6targetE0EEEvT1_
    .private_segment_fixed_size: 0
    .sgpr_count:     0
    .sgpr_spill_count: 0
    .symbol:         _ZN7rocprim17ROCPRIM_400000_NS6detail17trampoline_kernelINS0_14default_configENS1_25transform_config_selectorIiLb1EEEZNS1_14transform_implILb1ES3_S5_PKiPiNS0_8identityIiEEEE10hipError_tT2_T3_mT4_P12ihipStream_tbEUlT_E_NS1_11comp_targetILNS1_3genE4ELNS1_11target_archE910ELNS1_3gpuE8ELNS1_3repE0EEENS1_30default_config_static_selectorELNS0_4arch9wavefront6targetE0EEEvT1_.kd
    .uniform_work_group_size: 1
    .uses_dynamic_stack: false
    .vgpr_count:     0
    .vgpr_spill_count: 0
    .wavefront_size: 32
  - .args:
      - .offset:         0
        .size:           40
        .value_kind:     by_value
    .group_segment_fixed_size: 0
    .kernarg_segment_align: 8
    .kernarg_segment_size: 40
    .language:       OpenCL C
    .language_version:
      - 2
      - 0
    .max_flat_workgroup_size: 128
    .name:           _ZN7rocprim17ROCPRIM_400000_NS6detail17trampoline_kernelINS0_14default_configENS1_25transform_config_selectorIiLb1EEEZNS1_14transform_implILb1ES3_S5_PKiPiNS0_8identityIiEEEE10hipError_tT2_T3_mT4_P12ihipStream_tbEUlT_E_NS1_11comp_targetILNS1_3genE3ELNS1_11target_archE908ELNS1_3gpuE7ELNS1_3repE0EEENS1_30default_config_static_selectorELNS0_4arch9wavefront6targetE0EEEvT1_
    .private_segment_fixed_size: 0
    .sgpr_count:     0
    .sgpr_spill_count: 0
    .symbol:         _ZN7rocprim17ROCPRIM_400000_NS6detail17trampoline_kernelINS0_14default_configENS1_25transform_config_selectorIiLb1EEEZNS1_14transform_implILb1ES3_S5_PKiPiNS0_8identityIiEEEE10hipError_tT2_T3_mT4_P12ihipStream_tbEUlT_E_NS1_11comp_targetILNS1_3genE3ELNS1_11target_archE908ELNS1_3gpuE7ELNS1_3repE0EEENS1_30default_config_static_selectorELNS0_4arch9wavefront6targetE0EEEvT1_.kd
    .uniform_work_group_size: 1
    .uses_dynamic_stack: false
    .vgpr_count:     0
    .vgpr_spill_count: 0
    .wavefront_size: 32
  - .args:
      - .offset:         0
        .size:           40
        .value_kind:     by_value
    .group_segment_fixed_size: 0
    .kernarg_segment_align: 8
    .kernarg_segment_size: 40
    .language:       OpenCL C
    .language_version:
      - 2
      - 0
    .max_flat_workgroup_size: 1024
    .name:           _ZN7rocprim17ROCPRIM_400000_NS6detail17trampoline_kernelINS0_14default_configENS1_25transform_config_selectorIiLb1EEEZNS1_14transform_implILb1ES3_S5_PKiPiNS0_8identityIiEEEE10hipError_tT2_T3_mT4_P12ihipStream_tbEUlT_E_NS1_11comp_targetILNS1_3genE2ELNS1_11target_archE906ELNS1_3gpuE6ELNS1_3repE0EEENS1_30default_config_static_selectorELNS0_4arch9wavefront6targetE0EEEvT1_
    .private_segment_fixed_size: 0
    .sgpr_count:     0
    .sgpr_spill_count: 0
    .symbol:         _ZN7rocprim17ROCPRIM_400000_NS6detail17trampoline_kernelINS0_14default_configENS1_25transform_config_selectorIiLb1EEEZNS1_14transform_implILb1ES3_S5_PKiPiNS0_8identityIiEEEE10hipError_tT2_T3_mT4_P12ihipStream_tbEUlT_E_NS1_11comp_targetILNS1_3genE2ELNS1_11target_archE906ELNS1_3gpuE6ELNS1_3repE0EEENS1_30default_config_static_selectorELNS0_4arch9wavefront6targetE0EEEvT1_.kd
    .uniform_work_group_size: 1
    .uses_dynamic_stack: false
    .vgpr_count:     0
    .vgpr_spill_count: 0
    .wavefront_size: 32
  - .args:
      - .offset:         0
        .size:           40
        .value_kind:     by_value
    .group_segment_fixed_size: 0
    .kernarg_segment_align: 8
    .kernarg_segment_size: 40
    .language:       OpenCL C
    .language_version:
      - 2
      - 0
    .max_flat_workgroup_size: 1024
    .name:           _ZN7rocprim17ROCPRIM_400000_NS6detail17trampoline_kernelINS0_14default_configENS1_25transform_config_selectorIiLb1EEEZNS1_14transform_implILb1ES3_S5_PKiPiNS0_8identityIiEEEE10hipError_tT2_T3_mT4_P12ihipStream_tbEUlT_E_NS1_11comp_targetILNS1_3genE9ELNS1_11target_archE1100ELNS1_3gpuE3ELNS1_3repE0EEENS1_30default_config_static_selectorELNS0_4arch9wavefront6targetE0EEEvT1_
    .private_segment_fixed_size: 0
    .sgpr_count:     0
    .sgpr_spill_count: 0
    .symbol:         _ZN7rocprim17ROCPRIM_400000_NS6detail17trampoline_kernelINS0_14default_configENS1_25transform_config_selectorIiLb1EEEZNS1_14transform_implILb1ES3_S5_PKiPiNS0_8identityIiEEEE10hipError_tT2_T3_mT4_P12ihipStream_tbEUlT_E_NS1_11comp_targetILNS1_3genE9ELNS1_11target_archE1100ELNS1_3gpuE3ELNS1_3repE0EEENS1_30default_config_static_selectorELNS0_4arch9wavefront6targetE0EEEvT1_.kd
    .uniform_work_group_size: 1
    .uses_dynamic_stack: false
    .vgpr_count:     0
    .vgpr_spill_count: 0
    .wavefront_size: 32
  - .args:
      - .offset:         0
        .size:           40
        .value_kind:     by_value
    .group_segment_fixed_size: 0
    .kernarg_segment_align: 8
    .kernarg_segment_size: 40
    .language:       OpenCL C
    .language_version:
      - 2
      - 0
    .max_flat_workgroup_size: 1024
    .name:           _ZN7rocprim17ROCPRIM_400000_NS6detail17trampoline_kernelINS0_14default_configENS1_25transform_config_selectorIiLb1EEEZNS1_14transform_implILb1ES3_S5_PKiPiNS0_8identityIiEEEE10hipError_tT2_T3_mT4_P12ihipStream_tbEUlT_E_NS1_11comp_targetILNS1_3genE8ELNS1_11target_archE1030ELNS1_3gpuE2ELNS1_3repE0EEENS1_30default_config_static_selectorELNS0_4arch9wavefront6targetE0EEEvT1_
    .private_segment_fixed_size: 0
    .sgpr_count:     0
    .sgpr_spill_count: 0
    .symbol:         _ZN7rocprim17ROCPRIM_400000_NS6detail17trampoline_kernelINS0_14default_configENS1_25transform_config_selectorIiLb1EEEZNS1_14transform_implILb1ES3_S5_PKiPiNS0_8identityIiEEEE10hipError_tT2_T3_mT4_P12ihipStream_tbEUlT_E_NS1_11comp_targetILNS1_3genE8ELNS1_11target_archE1030ELNS1_3gpuE2ELNS1_3repE0EEENS1_30default_config_static_selectorELNS0_4arch9wavefront6targetE0EEEvT1_.kd
    .uniform_work_group_size: 1
    .uses_dynamic_stack: false
    .vgpr_count:     0
    .vgpr_spill_count: 0
    .wavefront_size: 32
  - .args:
      - .offset:         0
        .size:           88
        .value_kind:     by_value
      - .offset:         88
        .size:           4
        .value_kind:     hidden_block_count_x
      - .offset:         92
        .size:           4
        .value_kind:     hidden_block_count_y
      - .offset:         96
        .size:           4
        .value_kind:     hidden_block_count_z
      - .offset:         100
        .size:           2
        .value_kind:     hidden_group_size_x
      - .offset:         102
        .size:           2
        .value_kind:     hidden_group_size_y
      - .offset:         104
        .size:           2
        .value_kind:     hidden_group_size_z
      - .offset:         106
        .size:           2
        .value_kind:     hidden_remainder_x
      - .offset:         108
        .size:           2
        .value_kind:     hidden_remainder_y
      - .offset:         110
        .size:           2
        .value_kind:     hidden_remainder_z
      - .offset:         128
        .size:           8
        .value_kind:     hidden_global_offset_x
      - .offset:         136
        .size:           8
        .value_kind:     hidden_global_offset_y
      - .offset:         144
        .size:           8
        .value_kind:     hidden_global_offset_z
      - .offset:         152
        .size:           2
        .value_kind:     hidden_grid_dims
    .group_segment_fixed_size: 18504
    .kernarg_segment_align: 8
    .kernarg_segment_size: 344
    .language:       OpenCL C
    .language_version:
      - 2
      - 0
    .max_flat_workgroup_size: 512
    .name:           _ZN7rocprim17ROCPRIM_400000_NS6detail17trampoline_kernelINS0_14default_configENS1_35radix_sort_onesweep_config_selectorIiNS0_10empty_typeEEEZZNS1_29radix_sort_onesweep_iterationIS3_Lb1EPKiPiPS5_SB_mNS0_19identity_decomposerENS1_16block_id_wrapperIjLb1EEEEE10hipError_tT1_PNSt15iterator_traitsISG_E10value_typeET2_T3_PNSH_ISM_E10value_typeET4_T5_PSR_SS_PNS1_23onesweep_lookback_stateEbbT6_jjT7_P12ihipStream_tbENKUlT_T0_SG_SL_E_clIS9_SA_SB_SB_EEDaSZ_S10_SG_SL_EUlSZ_E_NS1_11comp_targetILNS1_3genE0ELNS1_11target_archE4294967295ELNS1_3gpuE0ELNS1_3repE0EEENS1_47radix_sort_onesweep_sort_config_static_selectorELNS0_4arch9wavefront6targetE0EEEvSG_
    .private_segment_fixed_size: 0
    .sgpr_count:     31
    .sgpr_spill_count: 0
    .symbol:         _ZN7rocprim17ROCPRIM_400000_NS6detail17trampoline_kernelINS0_14default_configENS1_35radix_sort_onesweep_config_selectorIiNS0_10empty_typeEEEZZNS1_29radix_sort_onesweep_iterationIS3_Lb1EPKiPiPS5_SB_mNS0_19identity_decomposerENS1_16block_id_wrapperIjLb1EEEEE10hipError_tT1_PNSt15iterator_traitsISG_E10value_typeET2_T3_PNSH_ISM_E10value_typeET4_T5_PSR_SS_PNS1_23onesweep_lookback_stateEbbT6_jjT7_P12ihipStream_tbENKUlT_T0_SG_SL_E_clIS9_SA_SB_SB_EEDaSZ_S10_SG_SL_EUlSZ_E_NS1_11comp_targetILNS1_3genE0ELNS1_11target_archE4294967295ELNS1_3gpuE0ELNS1_3repE0EEENS1_47radix_sort_onesweep_sort_config_static_selectorELNS0_4arch9wavefront6targetE0EEEvSG_.kd
    .uniform_work_group_size: 1
    .uses_dynamic_stack: false
    .vgpr_count:     65
    .vgpr_spill_count: 0
    .wavefront_size: 32
  - .args:
      - .offset:         0
        .size:           88
        .value_kind:     by_value
    .group_segment_fixed_size: 0
    .kernarg_segment_align: 8
    .kernarg_segment_size: 88
    .language:       OpenCL C
    .language_version:
      - 2
      - 0
    .max_flat_workgroup_size: 1024
    .name:           _ZN7rocprim17ROCPRIM_400000_NS6detail17trampoline_kernelINS0_14default_configENS1_35radix_sort_onesweep_config_selectorIiNS0_10empty_typeEEEZZNS1_29radix_sort_onesweep_iterationIS3_Lb1EPKiPiPS5_SB_mNS0_19identity_decomposerENS1_16block_id_wrapperIjLb1EEEEE10hipError_tT1_PNSt15iterator_traitsISG_E10value_typeET2_T3_PNSH_ISM_E10value_typeET4_T5_PSR_SS_PNS1_23onesweep_lookback_stateEbbT6_jjT7_P12ihipStream_tbENKUlT_T0_SG_SL_E_clIS9_SA_SB_SB_EEDaSZ_S10_SG_SL_EUlSZ_E_NS1_11comp_targetILNS1_3genE6ELNS1_11target_archE950ELNS1_3gpuE13ELNS1_3repE0EEENS1_47radix_sort_onesweep_sort_config_static_selectorELNS0_4arch9wavefront6targetE0EEEvSG_
    .private_segment_fixed_size: 0
    .sgpr_count:     0
    .sgpr_spill_count: 0
    .symbol:         _ZN7rocprim17ROCPRIM_400000_NS6detail17trampoline_kernelINS0_14default_configENS1_35radix_sort_onesweep_config_selectorIiNS0_10empty_typeEEEZZNS1_29radix_sort_onesweep_iterationIS3_Lb1EPKiPiPS5_SB_mNS0_19identity_decomposerENS1_16block_id_wrapperIjLb1EEEEE10hipError_tT1_PNSt15iterator_traitsISG_E10value_typeET2_T3_PNSH_ISM_E10value_typeET4_T5_PSR_SS_PNS1_23onesweep_lookback_stateEbbT6_jjT7_P12ihipStream_tbENKUlT_T0_SG_SL_E_clIS9_SA_SB_SB_EEDaSZ_S10_SG_SL_EUlSZ_E_NS1_11comp_targetILNS1_3genE6ELNS1_11target_archE950ELNS1_3gpuE13ELNS1_3repE0EEENS1_47radix_sort_onesweep_sort_config_static_selectorELNS0_4arch9wavefront6targetE0EEEvSG_.kd
    .uniform_work_group_size: 1
    .uses_dynamic_stack: false
    .vgpr_count:     0
    .vgpr_spill_count: 0
    .wavefront_size: 32
  - .args:
      - .offset:         0
        .size:           88
        .value_kind:     by_value
    .group_segment_fixed_size: 0
    .kernarg_segment_align: 8
    .kernarg_segment_size: 88
    .language:       OpenCL C
    .language_version:
      - 2
      - 0
    .max_flat_workgroup_size: 1024
    .name:           _ZN7rocprim17ROCPRIM_400000_NS6detail17trampoline_kernelINS0_14default_configENS1_35radix_sort_onesweep_config_selectorIiNS0_10empty_typeEEEZZNS1_29radix_sort_onesweep_iterationIS3_Lb1EPKiPiPS5_SB_mNS0_19identity_decomposerENS1_16block_id_wrapperIjLb1EEEEE10hipError_tT1_PNSt15iterator_traitsISG_E10value_typeET2_T3_PNSH_ISM_E10value_typeET4_T5_PSR_SS_PNS1_23onesweep_lookback_stateEbbT6_jjT7_P12ihipStream_tbENKUlT_T0_SG_SL_E_clIS9_SA_SB_SB_EEDaSZ_S10_SG_SL_EUlSZ_E_NS1_11comp_targetILNS1_3genE5ELNS1_11target_archE942ELNS1_3gpuE9ELNS1_3repE0EEENS1_47radix_sort_onesweep_sort_config_static_selectorELNS0_4arch9wavefront6targetE0EEEvSG_
    .private_segment_fixed_size: 0
    .sgpr_count:     0
    .sgpr_spill_count: 0
    .symbol:         _ZN7rocprim17ROCPRIM_400000_NS6detail17trampoline_kernelINS0_14default_configENS1_35radix_sort_onesweep_config_selectorIiNS0_10empty_typeEEEZZNS1_29radix_sort_onesweep_iterationIS3_Lb1EPKiPiPS5_SB_mNS0_19identity_decomposerENS1_16block_id_wrapperIjLb1EEEEE10hipError_tT1_PNSt15iterator_traitsISG_E10value_typeET2_T3_PNSH_ISM_E10value_typeET4_T5_PSR_SS_PNS1_23onesweep_lookback_stateEbbT6_jjT7_P12ihipStream_tbENKUlT_T0_SG_SL_E_clIS9_SA_SB_SB_EEDaSZ_S10_SG_SL_EUlSZ_E_NS1_11comp_targetILNS1_3genE5ELNS1_11target_archE942ELNS1_3gpuE9ELNS1_3repE0EEENS1_47radix_sort_onesweep_sort_config_static_selectorELNS0_4arch9wavefront6targetE0EEEvSG_.kd
    .uniform_work_group_size: 1
    .uses_dynamic_stack: false
    .vgpr_count:     0
    .vgpr_spill_count: 0
    .wavefront_size: 32
  - .args:
      - .offset:         0
        .size:           88
        .value_kind:     by_value
    .group_segment_fixed_size: 0
    .kernarg_segment_align: 8
    .kernarg_segment_size: 88
    .language:       OpenCL C
    .language_version:
      - 2
      - 0
    .max_flat_workgroup_size: 1024
    .name:           _ZN7rocprim17ROCPRIM_400000_NS6detail17trampoline_kernelINS0_14default_configENS1_35radix_sort_onesweep_config_selectorIiNS0_10empty_typeEEEZZNS1_29radix_sort_onesweep_iterationIS3_Lb1EPKiPiPS5_SB_mNS0_19identity_decomposerENS1_16block_id_wrapperIjLb1EEEEE10hipError_tT1_PNSt15iterator_traitsISG_E10value_typeET2_T3_PNSH_ISM_E10value_typeET4_T5_PSR_SS_PNS1_23onesweep_lookback_stateEbbT6_jjT7_P12ihipStream_tbENKUlT_T0_SG_SL_E_clIS9_SA_SB_SB_EEDaSZ_S10_SG_SL_EUlSZ_E_NS1_11comp_targetILNS1_3genE2ELNS1_11target_archE906ELNS1_3gpuE6ELNS1_3repE0EEENS1_47radix_sort_onesweep_sort_config_static_selectorELNS0_4arch9wavefront6targetE0EEEvSG_
    .private_segment_fixed_size: 0
    .sgpr_count:     0
    .sgpr_spill_count: 0
    .symbol:         _ZN7rocprim17ROCPRIM_400000_NS6detail17trampoline_kernelINS0_14default_configENS1_35radix_sort_onesweep_config_selectorIiNS0_10empty_typeEEEZZNS1_29radix_sort_onesweep_iterationIS3_Lb1EPKiPiPS5_SB_mNS0_19identity_decomposerENS1_16block_id_wrapperIjLb1EEEEE10hipError_tT1_PNSt15iterator_traitsISG_E10value_typeET2_T3_PNSH_ISM_E10value_typeET4_T5_PSR_SS_PNS1_23onesweep_lookback_stateEbbT6_jjT7_P12ihipStream_tbENKUlT_T0_SG_SL_E_clIS9_SA_SB_SB_EEDaSZ_S10_SG_SL_EUlSZ_E_NS1_11comp_targetILNS1_3genE2ELNS1_11target_archE906ELNS1_3gpuE6ELNS1_3repE0EEENS1_47radix_sort_onesweep_sort_config_static_selectorELNS0_4arch9wavefront6targetE0EEEvSG_.kd
    .uniform_work_group_size: 1
    .uses_dynamic_stack: false
    .vgpr_count:     0
    .vgpr_spill_count: 0
    .wavefront_size: 32
  - .args:
      - .offset:         0
        .size:           88
        .value_kind:     by_value
    .group_segment_fixed_size: 0
    .kernarg_segment_align: 8
    .kernarg_segment_size: 88
    .language:       OpenCL C
    .language_version:
      - 2
      - 0
    .max_flat_workgroup_size: 1024
    .name:           _ZN7rocprim17ROCPRIM_400000_NS6detail17trampoline_kernelINS0_14default_configENS1_35radix_sort_onesweep_config_selectorIiNS0_10empty_typeEEEZZNS1_29radix_sort_onesweep_iterationIS3_Lb1EPKiPiPS5_SB_mNS0_19identity_decomposerENS1_16block_id_wrapperIjLb1EEEEE10hipError_tT1_PNSt15iterator_traitsISG_E10value_typeET2_T3_PNSH_ISM_E10value_typeET4_T5_PSR_SS_PNS1_23onesweep_lookback_stateEbbT6_jjT7_P12ihipStream_tbENKUlT_T0_SG_SL_E_clIS9_SA_SB_SB_EEDaSZ_S10_SG_SL_EUlSZ_E_NS1_11comp_targetILNS1_3genE4ELNS1_11target_archE910ELNS1_3gpuE8ELNS1_3repE0EEENS1_47radix_sort_onesweep_sort_config_static_selectorELNS0_4arch9wavefront6targetE0EEEvSG_
    .private_segment_fixed_size: 0
    .sgpr_count:     0
    .sgpr_spill_count: 0
    .symbol:         _ZN7rocprim17ROCPRIM_400000_NS6detail17trampoline_kernelINS0_14default_configENS1_35radix_sort_onesweep_config_selectorIiNS0_10empty_typeEEEZZNS1_29radix_sort_onesweep_iterationIS3_Lb1EPKiPiPS5_SB_mNS0_19identity_decomposerENS1_16block_id_wrapperIjLb1EEEEE10hipError_tT1_PNSt15iterator_traitsISG_E10value_typeET2_T3_PNSH_ISM_E10value_typeET4_T5_PSR_SS_PNS1_23onesweep_lookback_stateEbbT6_jjT7_P12ihipStream_tbENKUlT_T0_SG_SL_E_clIS9_SA_SB_SB_EEDaSZ_S10_SG_SL_EUlSZ_E_NS1_11comp_targetILNS1_3genE4ELNS1_11target_archE910ELNS1_3gpuE8ELNS1_3repE0EEENS1_47radix_sort_onesweep_sort_config_static_selectorELNS0_4arch9wavefront6targetE0EEEvSG_.kd
    .uniform_work_group_size: 1
    .uses_dynamic_stack: false
    .vgpr_count:     0
    .vgpr_spill_count: 0
    .wavefront_size: 32
  - .args:
      - .offset:         0
        .size:           88
        .value_kind:     by_value
    .group_segment_fixed_size: 0
    .kernarg_segment_align: 8
    .kernarg_segment_size: 88
    .language:       OpenCL C
    .language_version:
      - 2
      - 0
    .max_flat_workgroup_size: 512
    .name:           _ZN7rocprim17ROCPRIM_400000_NS6detail17trampoline_kernelINS0_14default_configENS1_35radix_sort_onesweep_config_selectorIiNS0_10empty_typeEEEZZNS1_29radix_sort_onesweep_iterationIS3_Lb1EPKiPiPS5_SB_mNS0_19identity_decomposerENS1_16block_id_wrapperIjLb1EEEEE10hipError_tT1_PNSt15iterator_traitsISG_E10value_typeET2_T3_PNSH_ISM_E10value_typeET4_T5_PSR_SS_PNS1_23onesweep_lookback_stateEbbT6_jjT7_P12ihipStream_tbENKUlT_T0_SG_SL_E_clIS9_SA_SB_SB_EEDaSZ_S10_SG_SL_EUlSZ_E_NS1_11comp_targetILNS1_3genE3ELNS1_11target_archE908ELNS1_3gpuE7ELNS1_3repE0EEENS1_47radix_sort_onesweep_sort_config_static_selectorELNS0_4arch9wavefront6targetE0EEEvSG_
    .private_segment_fixed_size: 0
    .sgpr_count:     0
    .sgpr_spill_count: 0
    .symbol:         _ZN7rocprim17ROCPRIM_400000_NS6detail17trampoline_kernelINS0_14default_configENS1_35radix_sort_onesweep_config_selectorIiNS0_10empty_typeEEEZZNS1_29radix_sort_onesweep_iterationIS3_Lb1EPKiPiPS5_SB_mNS0_19identity_decomposerENS1_16block_id_wrapperIjLb1EEEEE10hipError_tT1_PNSt15iterator_traitsISG_E10value_typeET2_T3_PNSH_ISM_E10value_typeET4_T5_PSR_SS_PNS1_23onesweep_lookback_stateEbbT6_jjT7_P12ihipStream_tbENKUlT_T0_SG_SL_E_clIS9_SA_SB_SB_EEDaSZ_S10_SG_SL_EUlSZ_E_NS1_11comp_targetILNS1_3genE3ELNS1_11target_archE908ELNS1_3gpuE7ELNS1_3repE0EEENS1_47radix_sort_onesweep_sort_config_static_selectorELNS0_4arch9wavefront6targetE0EEEvSG_.kd
    .uniform_work_group_size: 1
    .uses_dynamic_stack: false
    .vgpr_count:     0
    .vgpr_spill_count: 0
    .wavefront_size: 32
  - .args:
      - .offset:         0
        .size:           88
        .value_kind:     by_value
    .group_segment_fixed_size: 0
    .kernarg_segment_align: 8
    .kernarg_segment_size: 88
    .language:       OpenCL C
    .language_version:
      - 2
      - 0
    .max_flat_workgroup_size: 1024
    .name:           _ZN7rocprim17ROCPRIM_400000_NS6detail17trampoline_kernelINS0_14default_configENS1_35radix_sort_onesweep_config_selectorIiNS0_10empty_typeEEEZZNS1_29radix_sort_onesweep_iterationIS3_Lb1EPKiPiPS5_SB_mNS0_19identity_decomposerENS1_16block_id_wrapperIjLb1EEEEE10hipError_tT1_PNSt15iterator_traitsISG_E10value_typeET2_T3_PNSH_ISM_E10value_typeET4_T5_PSR_SS_PNS1_23onesweep_lookback_stateEbbT6_jjT7_P12ihipStream_tbENKUlT_T0_SG_SL_E_clIS9_SA_SB_SB_EEDaSZ_S10_SG_SL_EUlSZ_E_NS1_11comp_targetILNS1_3genE10ELNS1_11target_archE1201ELNS1_3gpuE5ELNS1_3repE0EEENS1_47radix_sort_onesweep_sort_config_static_selectorELNS0_4arch9wavefront6targetE0EEEvSG_
    .private_segment_fixed_size: 0
    .sgpr_count:     0
    .sgpr_spill_count: 0
    .symbol:         _ZN7rocprim17ROCPRIM_400000_NS6detail17trampoline_kernelINS0_14default_configENS1_35radix_sort_onesweep_config_selectorIiNS0_10empty_typeEEEZZNS1_29radix_sort_onesweep_iterationIS3_Lb1EPKiPiPS5_SB_mNS0_19identity_decomposerENS1_16block_id_wrapperIjLb1EEEEE10hipError_tT1_PNSt15iterator_traitsISG_E10value_typeET2_T3_PNSH_ISM_E10value_typeET4_T5_PSR_SS_PNS1_23onesweep_lookback_stateEbbT6_jjT7_P12ihipStream_tbENKUlT_T0_SG_SL_E_clIS9_SA_SB_SB_EEDaSZ_S10_SG_SL_EUlSZ_E_NS1_11comp_targetILNS1_3genE10ELNS1_11target_archE1201ELNS1_3gpuE5ELNS1_3repE0EEENS1_47radix_sort_onesweep_sort_config_static_selectorELNS0_4arch9wavefront6targetE0EEEvSG_.kd
    .uniform_work_group_size: 1
    .uses_dynamic_stack: false
    .vgpr_count:     0
    .vgpr_spill_count: 0
    .wavefront_size: 32
  - .args:
      - .offset:         0
        .size:           88
        .value_kind:     by_value
    .group_segment_fixed_size: 0
    .kernarg_segment_align: 8
    .kernarg_segment_size: 88
    .language:       OpenCL C
    .language_version:
      - 2
      - 0
    .max_flat_workgroup_size: 1024
    .name:           _ZN7rocprim17ROCPRIM_400000_NS6detail17trampoline_kernelINS0_14default_configENS1_35radix_sort_onesweep_config_selectorIiNS0_10empty_typeEEEZZNS1_29radix_sort_onesweep_iterationIS3_Lb1EPKiPiPS5_SB_mNS0_19identity_decomposerENS1_16block_id_wrapperIjLb1EEEEE10hipError_tT1_PNSt15iterator_traitsISG_E10value_typeET2_T3_PNSH_ISM_E10value_typeET4_T5_PSR_SS_PNS1_23onesweep_lookback_stateEbbT6_jjT7_P12ihipStream_tbENKUlT_T0_SG_SL_E_clIS9_SA_SB_SB_EEDaSZ_S10_SG_SL_EUlSZ_E_NS1_11comp_targetILNS1_3genE9ELNS1_11target_archE1100ELNS1_3gpuE3ELNS1_3repE0EEENS1_47radix_sort_onesweep_sort_config_static_selectorELNS0_4arch9wavefront6targetE0EEEvSG_
    .private_segment_fixed_size: 0
    .sgpr_count:     0
    .sgpr_spill_count: 0
    .symbol:         _ZN7rocprim17ROCPRIM_400000_NS6detail17trampoline_kernelINS0_14default_configENS1_35radix_sort_onesweep_config_selectorIiNS0_10empty_typeEEEZZNS1_29radix_sort_onesweep_iterationIS3_Lb1EPKiPiPS5_SB_mNS0_19identity_decomposerENS1_16block_id_wrapperIjLb1EEEEE10hipError_tT1_PNSt15iterator_traitsISG_E10value_typeET2_T3_PNSH_ISM_E10value_typeET4_T5_PSR_SS_PNS1_23onesweep_lookback_stateEbbT6_jjT7_P12ihipStream_tbENKUlT_T0_SG_SL_E_clIS9_SA_SB_SB_EEDaSZ_S10_SG_SL_EUlSZ_E_NS1_11comp_targetILNS1_3genE9ELNS1_11target_archE1100ELNS1_3gpuE3ELNS1_3repE0EEENS1_47radix_sort_onesweep_sort_config_static_selectorELNS0_4arch9wavefront6targetE0EEEvSG_.kd
    .uniform_work_group_size: 1
    .uses_dynamic_stack: false
    .vgpr_count:     0
    .vgpr_spill_count: 0
    .wavefront_size: 32
  - .args:
      - .offset:         0
        .size:           88
        .value_kind:     by_value
    .group_segment_fixed_size: 0
    .kernarg_segment_align: 8
    .kernarg_segment_size: 88
    .language:       OpenCL C
    .language_version:
      - 2
      - 0
    .max_flat_workgroup_size: 1024
    .name:           _ZN7rocprim17ROCPRIM_400000_NS6detail17trampoline_kernelINS0_14default_configENS1_35radix_sort_onesweep_config_selectorIiNS0_10empty_typeEEEZZNS1_29radix_sort_onesweep_iterationIS3_Lb1EPKiPiPS5_SB_mNS0_19identity_decomposerENS1_16block_id_wrapperIjLb1EEEEE10hipError_tT1_PNSt15iterator_traitsISG_E10value_typeET2_T3_PNSH_ISM_E10value_typeET4_T5_PSR_SS_PNS1_23onesweep_lookback_stateEbbT6_jjT7_P12ihipStream_tbENKUlT_T0_SG_SL_E_clIS9_SA_SB_SB_EEDaSZ_S10_SG_SL_EUlSZ_E_NS1_11comp_targetILNS1_3genE8ELNS1_11target_archE1030ELNS1_3gpuE2ELNS1_3repE0EEENS1_47radix_sort_onesweep_sort_config_static_selectorELNS0_4arch9wavefront6targetE0EEEvSG_
    .private_segment_fixed_size: 0
    .sgpr_count:     0
    .sgpr_spill_count: 0
    .symbol:         _ZN7rocprim17ROCPRIM_400000_NS6detail17trampoline_kernelINS0_14default_configENS1_35radix_sort_onesweep_config_selectorIiNS0_10empty_typeEEEZZNS1_29radix_sort_onesweep_iterationIS3_Lb1EPKiPiPS5_SB_mNS0_19identity_decomposerENS1_16block_id_wrapperIjLb1EEEEE10hipError_tT1_PNSt15iterator_traitsISG_E10value_typeET2_T3_PNSH_ISM_E10value_typeET4_T5_PSR_SS_PNS1_23onesweep_lookback_stateEbbT6_jjT7_P12ihipStream_tbENKUlT_T0_SG_SL_E_clIS9_SA_SB_SB_EEDaSZ_S10_SG_SL_EUlSZ_E_NS1_11comp_targetILNS1_3genE8ELNS1_11target_archE1030ELNS1_3gpuE2ELNS1_3repE0EEENS1_47radix_sort_onesweep_sort_config_static_selectorELNS0_4arch9wavefront6targetE0EEEvSG_.kd
    .uniform_work_group_size: 1
    .uses_dynamic_stack: false
    .vgpr_count:     0
    .vgpr_spill_count: 0
    .wavefront_size: 32
  - .args:
      - .offset:         0
        .size:           88
        .value_kind:     by_value
      - .offset:         88
        .size:           4
        .value_kind:     hidden_block_count_x
      - .offset:         92
        .size:           4
        .value_kind:     hidden_block_count_y
      - .offset:         96
        .size:           4
        .value_kind:     hidden_block_count_z
      - .offset:         100
        .size:           2
        .value_kind:     hidden_group_size_x
      - .offset:         102
        .size:           2
        .value_kind:     hidden_group_size_y
      - .offset:         104
        .size:           2
        .value_kind:     hidden_group_size_z
      - .offset:         106
        .size:           2
        .value_kind:     hidden_remainder_x
      - .offset:         108
        .size:           2
        .value_kind:     hidden_remainder_y
      - .offset:         110
        .size:           2
        .value_kind:     hidden_remainder_z
      - .offset:         128
        .size:           8
        .value_kind:     hidden_global_offset_x
      - .offset:         136
        .size:           8
        .value_kind:     hidden_global_offset_y
      - .offset:         144
        .size:           8
        .value_kind:     hidden_global_offset_z
      - .offset:         152
        .size:           2
        .value_kind:     hidden_grid_dims
    .group_segment_fixed_size: 18504
    .kernarg_segment_align: 8
    .kernarg_segment_size: 344
    .language:       OpenCL C
    .language_version:
      - 2
      - 0
    .max_flat_workgroup_size: 512
    .name:           _ZN7rocprim17ROCPRIM_400000_NS6detail17trampoline_kernelINS0_14default_configENS1_35radix_sort_onesweep_config_selectorIiNS0_10empty_typeEEEZZNS1_29radix_sort_onesweep_iterationIS3_Lb1EPKiPiPS5_SB_mNS0_19identity_decomposerENS1_16block_id_wrapperIjLb1EEEEE10hipError_tT1_PNSt15iterator_traitsISG_E10value_typeET2_T3_PNSH_ISM_E10value_typeET4_T5_PSR_SS_PNS1_23onesweep_lookback_stateEbbT6_jjT7_P12ihipStream_tbENKUlT_T0_SG_SL_E_clISA_SA_SB_SB_EEDaSZ_S10_SG_SL_EUlSZ_E_NS1_11comp_targetILNS1_3genE0ELNS1_11target_archE4294967295ELNS1_3gpuE0ELNS1_3repE0EEENS1_47radix_sort_onesweep_sort_config_static_selectorELNS0_4arch9wavefront6targetE0EEEvSG_
    .private_segment_fixed_size: 0
    .sgpr_count:     31
    .sgpr_spill_count: 0
    .symbol:         _ZN7rocprim17ROCPRIM_400000_NS6detail17trampoline_kernelINS0_14default_configENS1_35radix_sort_onesweep_config_selectorIiNS0_10empty_typeEEEZZNS1_29radix_sort_onesweep_iterationIS3_Lb1EPKiPiPS5_SB_mNS0_19identity_decomposerENS1_16block_id_wrapperIjLb1EEEEE10hipError_tT1_PNSt15iterator_traitsISG_E10value_typeET2_T3_PNSH_ISM_E10value_typeET4_T5_PSR_SS_PNS1_23onesweep_lookback_stateEbbT6_jjT7_P12ihipStream_tbENKUlT_T0_SG_SL_E_clISA_SA_SB_SB_EEDaSZ_S10_SG_SL_EUlSZ_E_NS1_11comp_targetILNS1_3genE0ELNS1_11target_archE4294967295ELNS1_3gpuE0ELNS1_3repE0EEENS1_47radix_sort_onesweep_sort_config_static_selectorELNS0_4arch9wavefront6targetE0EEEvSG_.kd
    .uniform_work_group_size: 1
    .uses_dynamic_stack: false
    .vgpr_count:     65
    .vgpr_spill_count: 0
    .wavefront_size: 32
  - .args:
      - .offset:         0
        .size:           88
        .value_kind:     by_value
    .group_segment_fixed_size: 0
    .kernarg_segment_align: 8
    .kernarg_segment_size: 88
    .language:       OpenCL C
    .language_version:
      - 2
      - 0
    .max_flat_workgroup_size: 1024
    .name:           _ZN7rocprim17ROCPRIM_400000_NS6detail17trampoline_kernelINS0_14default_configENS1_35radix_sort_onesweep_config_selectorIiNS0_10empty_typeEEEZZNS1_29radix_sort_onesweep_iterationIS3_Lb1EPKiPiPS5_SB_mNS0_19identity_decomposerENS1_16block_id_wrapperIjLb1EEEEE10hipError_tT1_PNSt15iterator_traitsISG_E10value_typeET2_T3_PNSH_ISM_E10value_typeET4_T5_PSR_SS_PNS1_23onesweep_lookback_stateEbbT6_jjT7_P12ihipStream_tbENKUlT_T0_SG_SL_E_clISA_SA_SB_SB_EEDaSZ_S10_SG_SL_EUlSZ_E_NS1_11comp_targetILNS1_3genE6ELNS1_11target_archE950ELNS1_3gpuE13ELNS1_3repE0EEENS1_47radix_sort_onesweep_sort_config_static_selectorELNS0_4arch9wavefront6targetE0EEEvSG_
    .private_segment_fixed_size: 0
    .sgpr_count:     0
    .sgpr_spill_count: 0
    .symbol:         _ZN7rocprim17ROCPRIM_400000_NS6detail17trampoline_kernelINS0_14default_configENS1_35radix_sort_onesweep_config_selectorIiNS0_10empty_typeEEEZZNS1_29radix_sort_onesweep_iterationIS3_Lb1EPKiPiPS5_SB_mNS0_19identity_decomposerENS1_16block_id_wrapperIjLb1EEEEE10hipError_tT1_PNSt15iterator_traitsISG_E10value_typeET2_T3_PNSH_ISM_E10value_typeET4_T5_PSR_SS_PNS1_23onesweep_lookback_stateEbbT6_jjT7_P12ihipStream_tbENKUlT_T0_SG_SL_E_clISA_SA_SB_SB_EEDaSZ_S10_SG_SL_EUlSZ_E_NS1_11comp_targetILNS1_3genE6ELNS1_11target_archE950ELNS1_3gpuE13ELNS1_3repE0EEENS1_47radix_sort_onesweep_sort_config_static_selectorELNS0_4arch9wavefront6targetE0EEEvSG_.kd
    .uniform_work_group_size: 1
    .uses_dynamic_stack: false
    .vgpr_count:     0
    .vgpr_spill_count: 0
    .wavefront_size: 32
  - .args:
      - .offset:         0
        .size:           88
        .value_kind:     by_value
    .group_segment_fixed_size: 0
    .kernarg_segment_align: 8
    .kernarg_segment_size: 88
    .language:       OpenCL C
    .language_version:
      - 2
      - 0
    .max_flat_workgroup_size: 1024
    .name:           _ZN7rocprim17ROCPRIM_400000_NS6detail17trampoline_kernelINS0_14default_configENS1_35radix_sort_onesweep_config_selectorIiNS0_10empty_typeEEEZZNS1_29radix_sort_onesweep_iterationIS3_Lb1EPKiPiPS5_SB_mNS0_19identity_decomposerENS1_16block_id_wrapperIjLb1EEEEE10hipError_tT1_PNSt15iterator_traitsISG_E10value_typeET2_T3_PNSH_ISM_E10value_typeET4_T5_PSR_SS_PNS1_23onesweep_lookback_stateEbbT6_jjT7_P12ihipStream_tbENKUlT_T0_SG_SL_E_clISA_SA_SB_SB_EEDaSZ_S10_SG_SL_EUlSZ_E_NS1_11comp_targetILNS1_3genE5ELNS1_11target_archE942ELNS1_3gpuE9ELNS1_3repE0EEENS1_47radix_sort_onesweep_sort_config_static_selectorELNS0_4arch9wavefront6targetE0EEEvSG_
    .private_segment_fixed_size: 0
    .sgpr_count:     0
    .sgpr_spill_count: 0
    .symbol:         _ZN7rocprim17ROCPRIM_400000_NS6detail17trampoline_kernelINS0_14default_configENS1_35radix_sort_onesweep_config_selectorIiNS0_10empty_typeEEEZZNS1_29radix_sort_onesweep_iterationIS3_Lb1EPKiPiPS5_SB_mNS0_19identity_decomposerENS1_16block_id_wrapperIjLb1EEEEE10hipError_tT1_PNSt15iterator_traitsISG_E10value_typeET2_T3_PNSH_ISM_E10value_typeET4_T5_PSR_SS_PNS1_23onesweep_lookback_stateEbbT6_jjT7_P12ihipStream_tbENKUlT_T0_SG_SL_E_clISA_SA_SB_SB_EEDaSZ_S10_SG_SL_EUlSZ_E_NS1_11comp_targetILNS1_3genE5ELNS1_11target_archE942ELNS1_3gpuE9ELNS1_3repE0EEENS1_47radix_sort_onesweep_sort_config_static_selectorELNS0_4arch9wavefront6targetE0EEEvSG_.kd
    .uniform_work_group_size: 1
    .uses_dynamic_stack: false
    .vgpr_count:     0
    .vgpr_spill_count: 0
    .wavefront_size: 32
  - .args:
      - .offset:         0
        .size:           88
        .value_kind:     by_value
    .group_segment_fixed_size: 0
    .kernarg_segment_align: 8
    .kernarg_segment_size: 88
    .language:       OpenCL C
    .language_version:
      - 2
      - 0
    .max_flat_workgroup_size: 1024
    .name:           _ZN7rocprim17ROCPRIM_400000_NS6detail17trampoline_kernelINS0_14default_configENS1_35radix_sort_onesweep_config_selectorIiNS0_10empty_typeEEEZZNS1_29radix_sort_onesweep_iterationIS3_Lb1EPKiPiPS5_SB_mNS0_19identity_decomposerENS1_16block_id_wrapperIjLb1EEEEE10hipError_tT1_PNSt15iterator_traitsISG_E10value_typeET2_T3_PNSH_ISM_E10value_typeET4_T5_PSR_SS_PNS1_23onesweep_lookback_stateEbbT6_jjT7_P12ihipStream_tbENKUlT_T0_SG_SL_E_clISA_SA_SB_SB_EEDaSZ_S10_SG_SL_EUlSZ_E_NS1_11comp_targetILNS1_3genE2ELNS1_11target_archE906ELNS1_3gpuE6ELNS1_3repE0EEENS1_47radix_sort_onesweep_sort_config_static_selectorELNS0_4arch9wavefront6targetE0EEEvSG_
    .private_segment_fixed_size: 0
    .sgpr_count:     0
    .sgpr_spill_count: 0
    .symbol:         _ZN7rocprim17ROCPRIM_400000_NS6detail17trampoline_kernelINS0_14default_configENS1_35radix_sort_onesweep_config_selectorIiNS0_10empty_typeEEEZZNS1_29radix_sort_onesweep_iterationIS3_Lb1EPKiPiPS5_SB_mNS0_19identity_decomposerENS1_16block_id_wrapperIjLb1EEEEE10hipError_tT1_PNSt15iterator_traitsISG_E10value_typeET2_T3_PNSH_ISM_E10value_typeET4_T5_PSR_SS_PNS1_23onesweep_lookback_stateEbbT6_jjT7_P12ihipStream_tbENKUlT_T0_SG_SL_E_clISA_SA_SB_SB_EEDaSZ_S10_SG_SL_EUlSZ_E_NS1_11comp_targetILNS1_3genE2ELNS1_11target_archE906ELNS1_3gpuE6ELNS1_3repE0EEENS1_47radix_sort_onesweep_sort_config_static_selectorELNS0_4arch9wavefront6targetE0EEEvSG_.kd
    .uniform_work_group_size: 1
    .uses_dynamic_stack: false
    .vgpr_count:     0
    .vgpr_spill_count: 0
    .wavefront_size: 32
  - .args:
      - .offset:         0
        .size:           88
        .value_kind:     by_value
    .group_segment_fixed_size: 0
    .kernarg_segment_align: 8
    .kernarg_segment_size: 88
    .language:       OpenCL C
    .language_version:
      - 2
      - 0
    .max_flat_workgroup_size: 1024
    .name:           _ZN7rocprim17ROCPRIM_400000_NS6detail17trampoline_kernelINS0_14default_configENS1_35radix_sort_onesweep_config_selectorIiNS0_10empty_typeEEEZZNS1_29radix_sort_onesweep_iterationIS3_Lb1EPKiPiPS5_SB_mNS0_19identity_decomposerENS1_16block_id_wrapperIjLb1EEEEE10hipError_tT1_PNSt15iterator_traitsISG_E10value_typeET2_T3_PNSH_ISM_E10value_typeET4_T5_PSR_SS_PNS1_23onesweep_lookback_stateEbbT6_jjT7_P12ihipStream_tbENKUlT_T0_SG_SL_E_clISA_SA_SB_SB_EEDaSZ_S10_SG_SL_EUlSZ_E_NS1_11comp_targetILNS1_3genE4ELNS1_11target_archE910ELNS1_3gpuE8ELNS1_3repE0EEENS1_47radix_sort_onesweep_sort_config_static_selectorELNS0_4arch9wavefront6targetE0EEEvSG_
    .private_segment_fixed_size: 0
    .sgpr_count:     0
    .sgpr_spill_count: 0
    .symbol:         _ZN7rocprim17ROCPRIM_400000_NS6detail17trampoline_kernelINS0_14default_configENS1_35radix_sort_onesweep_config_selectorIiNS0_10empty_typeEEEZZNS1_29radix_sort_onesweep_iterationIS3_Lb1EPKiPiPS5_SB_mNS0_19identity_decomposerENS1_16block_id_wrapperIjLb1EEEEE10hipError_tT1_PNSt15iterator_traitsISG_E10value_typeET2_T3_PNSH_ISM_E10value_typeET4_T5_PSR_SS_PNS1_23onesweep_lookback_stateEbbT6_jjT7_P12ihipStream_tbENKUlT_T0_SG_SL_E_clISA_SA_SB_SB_EEDaSZ_S10_SG_SL_EUlSZ_E_NS1_11comp_targetILNS1_3genE4ELNS1_11target_archE910ELNS1_3gpuE8ELNS1_3repE0EEENS1_47radix_sort_onesweep_sort_config_static_selectorELNS0_4arch9wavefront6targetE0EEEvSG_.kd
    .uniform_work_group_size: 1
    .uses_dynamic_stack: false
    .vgpr_count:     0
    .vgpr_spill_count: 0
    .wavefront_size: 32
  - .args:
      - .offset:         0
        .size:           88
        .value_kind:     by_value
    .group_segment_fixed_size: 0
    .kernarg_segment_align: 8
    .kernarg_segment_size: 88
    .language:       OpenCL C
    .language_version:
      - 2
      - 0
    .max_flat_workgroup_size: 512
    .name:           _ZN7rocprim17ROCPRIM_400000_NS6detail17trampoline_kernelINS0_14default_configENS1_35radix_sort_onesweep_config_selectorIiNS0_10empty_typeEEEZZNS1_29radix_sort_onesweep_iterationIS3_Lb1EPKiPiPS5_SB_mNS0_19identity_decomposerENS1_16block_id_wrapperIjLb1EEEEE10hipError_tT1_PNSt15iterator_traitsISG_E10value_typeET2_T3_PNSH_ISM_E10value_typeET4_T5_PSR_SS_PNS1_23onesweep_lookback_stateEbbT6_jjT7_P12ihipStream_tbENKUlT_T0_SG_SL_E_clISA_SA_SB_SB_EEDaSZ_S10_SG_SL_EUlSZ_E_NS1_11comp_targetILNS1_3genE3ELNS1_11target_archE908ELNS1_3gpuE7ELNS1_3repE0EEENS1_47radix_sort_onesweep_sort_config_static_selectorELNS0_4arch9wavefront6targetE0EEEvSG_
    .private_segment_fixed_size: 0
    .sgpr_count:     0
    .sgpr_spill_count: 0
    .symbol:         _ZN7rocprim17ROCPRIM_400000_NS6detail17trampoline_kernelINS0_14default_configENS1_35radix_sort_onesweep_config_selectorIiNS0_10empty_typeEEEZZNS1_29radix_sort_onesweep_iterationIS3_Lb1EPKiPiPS5_SB_mNS0_19identity_decomposerENS1_16block_id_wrapperIjLb1EEEEE10hipError_tT1_PNSt15iterator_traitsISG_E10value_typeET2_T3_PNSH_ISM_E10value_typeET4_T5_PSR_SS_PNS1_23onesweep_lookback_stateEbbT6_jjT7_P12ihipStream_tbENKUlT_T0_SG_SL_E_clISA_SA_SB_SB_EEDaSZ_S10_SG_SL_EUlSZ_E_NS1_11comp_targetILNS1_3genE3ELNS1_11target_archE908ELNS1_3gpuE7ELNS1_3repE0EEENS1_47radix_sort_onesweep_sort_config_static_selectorELNS0_4arch9wavefront6targetE0EEEvSG_.kd
    .uniform_work_group_size: 1
    .uses_dynamic_stack: false
    .vgpr_count:     0
    .vgpr_spill_count: 0
    .wavefront_size: 32
  - .args:
      - .offset:         0
        .size:           88
        .value_kind:     by_value
    .group_segment_fixed_size: 0
    .kernarg_segment_align: 8
    .kernarg_segment_size: 88
    .language:       OpenCL C
    .language_version:
      - 2
      - 0
    .max_flat_workgroup_size: 1024
    .name:           _ZN7rocprim17ROCPRIM_400000_NS6detail17trampoline_kernelINS0_14default_configENS1_35radix_sort_onesweep_config_selectorIiNS0_10empty_typeEEEZZNS1_29radix_sort_onesweep_iterationIS3_Lb1EPKiPiPS5_SB_mNS0_19identity_decomposerENS1_16block_id_wrapperIjLb1EEEEE10hipError_tT1_PNSt15iterator_traitsISG_E10value_typeET2_T3_PNSH_ISM_E10value_typeET4_T5_PSR_SS_PNS1_23onesweep_lookback_stateEbbT6_jjT7_P12ihipStream_tbENKUlT_T0_SG_SL_E_clISA_SA_SB_SB_EEDaSZ_S10_SG_SL_EUlSZ_E_NS1_11comp_targetILNS1_3genE10ELNS1_11target_archE1201ELNS1_3gpuE5ELNS1_3repE0EEENS1_47radix_sort_onesweep_sort_config_static_selectorELNS0_4arch9wavefront6targetE0EEEvSG_
    .private_segment_fixed_size: 0
    .sgpr_count:     0
    .sgpr_spill_count: 0
    .symbol:         _ZN7rocprim17ROCPRIM_400000_NS6detail17trampoline_kernelINS0_14default_configENS1_35radix_sort_onesweep_config_selectorIiNS0_10empty_typeEEEZZNS1_29radix_sort_onesweep_iterationIS3_Lb1EPKiPiPS5_SB_mNS0_19identity_decomposerENS1_16block_id_wrapperIjLb1EEEEE10hipError_tT1_PNSt15iterator_traitsISG_E10value_typeET2_T3_PNSH_ISM_E10value_typeET4_T5_PSR_SS_PNS1_23onesweep_lookback_stateEbbT6_jjT7_P12ihipStream_tbENKUlT_T0_SG_SL_E_clISA_SA_SB_SB_EEDaSZ_S10_SG_SL_EUlSZ_E_NS1_11comp_targetILNS1_3genE10ELNS1_11target_archE1201ELNS1_3gpuE5ELNS1_3repE0EEENS1_47radix_sort_onesweep_sort_config_static_selectorELNS0_4arch9wavefront6targetE0EEEvSG_.kd
    .uniform_work_group_size: 1
    .uses_dynamic_stack: false
    .vgpr_count:     0
    .vgpr_spill_count: 0
    .wavefront_size: 32
  - .args:
      - .offset:         0
        .size:           88
        .value_kind:     by_value
    .group_segment_fixed_size: 0
    .kernarg_segment_align: 8
    .kernarg_segment_size: 88
    .language:       OpenCL C
    .language_version:
      - 2
      - 0
    .max_flat_workgroup_size: 1024
    .name:           _ZN7rocprim17ROCPRIM_400000_NS6detail17trampoline_kernelINS0_14default_configENS1_35radix_sort_onesweep_config_selectorIiNS0_10empty_typeEEEZZNS1_29radix_sort_onesweep_iterationIS3_Lb1EPKiPiPS5_SB_mNS0_19identity_decomposerENS1_16block_id_wrapperIjLb1EEEEE10hipError_tT1_PNSt15iterator_traitsISG_E10value_typeET2_T3_PNSH_ISM_E10value_typeET4_T5_PSR_SS_PNS1_23onesweep_lookback_stateEbbT6_jjT7_P12ihipStream_tbENKUlT_T0_SG_SL_E_clISA_SA_SB_SB_EEDaSZ_S10_SG_SL_EUlSZ_E_NS1_11comp_targetILNS1_3genE9ELNS1_11target_archE1100ELNS1_3gpuE3ELNS1_3repE0EEENS1_47radix_sort_onesweep_sort_config_static_selectorELNS0_4arch9wavefront6targetE0EEEvSG_
    .private_segment_fixed_size: 0
    .sgpr_count:     0
    .sgpr_spill_count: 0
    .symbol:         _ZN7rocprim17ROCPRIM_400000_NS6detail17trampoline_kernelINS0_14default_configENS1_35radix_sort_onesweep_config_selectorIiNS0_10empty_typeEEEZZNS1_29radix_sort_onesweep_iterationIS3_Lb1EPKiPiPS5_SB_mNS0_19identity_decomposerENS1_16block_id_wrapperIjLb1EEEEE10hipError_tT1_PNSt15iterator_traitsISG_E10value_typeET2_T3_PNSH_ISM_E10value_typeET4_T5_PSR_SS_PNS1_23onesweep_lookback_stateEbbT6_jjT7_P12ihipStream_tbENKUlT_T0_SG_SL_E_clISA_SA_SB_SB_EEDaSZ_S10_SG_SL_EUlSZ_E_NS1_11comp_targetILNS1_3genE9ELNS1_11target_archE1100ELNS1_3gpuE3ELNS1_3repE0EEENS1_47radix_sort_onesweep_sort_config_static_selectorELNS0_4arch9wavefront6targetE0EEEvSG_.kd
    .uniform_work_group_size: 1
    .uses_dynamic_stack: false
    .vgpr_count:     0
    .vgpr_spill_count: 0
    .wavefront_size: 32
  - .args:
      - .offset:         0
        .size:           88
        .value_kind:     by_value
    .group_segment_fixed_size: 0
    .kernarg_segment_align: 8
    .kernarg_segment_size: 88
    .language:       OpenCL C
    .language_version:
      - 2
      - 0
    .max_flat_workgroup_size: 1024
    .name:           _ZN7rocprim17ROCPRIM_400000_NS6detail17trampoline_kernelINS0_14default_configENS1_35radix_sort_onesweep_config_selectorIiNS0_10empty_typeEEEZZNS1_29radix_sort_onesweep_iterationIS3_Lb1EPKiPiPS5_SB_mNS0_19identity_decomposerENS1_16block_id_wrapperIjLb1EEEEE10hipError_tT1_PNSt15iterator_traitsISG_E10value_typeET2_T3_PNSH_ISM_E10value_typeET4_T5_PSR_SS_PNS1_23onesweep_lookback_stateEbbT6_jjT7_P12ihipStream_tbENKUlT_T0_SG_SL_E_clISA_SA_SB_SB_EEDaSZ_S10_SG_SL_EUlSZ_E_NS1_11comp_targetILNS1_3genE8ELNS1_11target_archE1030ELNS1_3gpuE2ELNS1_3repE0EEENS1_47radix_sort_onesweep_sort_config_static_selectorELNS0_4arch9wavefront6targetE0EEEvSG_
    .private_segment_fixed_size: 0
    .sgpr_count:     0
    .sgpr_spill_count: 0
    .symbol:         _ZN7rocprim17ROCPRIM_400000_NS6detail17trampoline_kernelINS0_14default_configENS1_35radix_sort_onesweep_config_selectorIiNS0_10empty_typeEEEZZNS1_29radix_sort_onesweep_iterationIS3_Lb1EPKiPiPS5_SB_mNS0_19identity_decomposerENS1_16block_id_wrapperIjLb1EEEEE10hipError_tT1_PNSt15iterator_traitsISG_E10value_typeET2_T3_PNSH_ISM_E10value_typeET4_T5_PSR_SS_PNS1_23onesweep_lookback_stateEbbT6_jjT7_P12ihipStream_tbENKUlT_T0_SG_SL_E_clISA_SA_SB_SB_EEDaSZ_S10_SG_SL_EUlSZ_E_NS1_11comp_targetILNS1_3genE8ELNS1_11target_archE1030ELNS1_3gpuE2ELNS1_3repE0EEENS1_47radix_sort_onesweep_sort_config_static_selectorELNS0_4arch9wavefront6targetE0EEEvSG_.kd
    .uniform_work_group_size: 1
    .uses_dynamic_stack: false
    .vgpr_count:     0
    .vgpr_spill_count: 0
    .wavefront_size: 32
  - .args:
      - .offset:         0
        .size:           88
        .value_kind:     by_value
      - .offset:         88
        .size:           4
        .value_kind:     hidden_block_count_x
      - .offset:         92
        .size:           4
        .value_kind:     hidden_block_count_y
      - .offset:         96
        .size:           4
        .value_kind:     hidden_block_count_z
      - .offset:         100
        .size:           2
        .value_kind:     hidden_group_size_x
      - .offset:         102
        .size:           2
        .value_kind:     hidden_group_size_y
      - .offset:         104
        .size:           2
        .value_kind:     hidden_group_size_z
      - .offset:         106
        .size:           2
        .value_kind:     hidden_remainder_x
      - .offset:         108
        .size:           2
        .value_kind:     hidden_remainder_y
      - .offset:         110
        .size:           2
        .value_kind:     hidden_remainder_z
      - .offset:         128
        .size:           8
        .value_kind:     hidden_global_offset_x
      - .offset:         136
        .size:           8
        .value_kind:     hidden_global_offset_y
      - .offset:         144
        .size:           8
        .value_kind:     hidden_global_offset_z
      - .offset:         152
        .size:           2
        .value_kind:     hidden_grid_dims
    .group_segment_fixed_size: 18504
    .kernarg_segment_align: 8
    .kernarg_segment_size: 344
    .language:       OpenCL C
    .language_version:
      - 2
      - 0
    .max_flat_workgroup_size: 512
    .name:           _ZN7rocprim17ROCPRIM_400000_NS6detail17trampoline_kernelINS0_14default_configENS1_35radix_sort_onesweep_config_selectorIiNS0_10empty_typeEEEZZNS1_29radix_sort_onesweep_iterationIS3_Lb1EPKiPiPS5_SB_mNS0_19identity_decomposerENS1_16block_id_wrapperIjLb0EEEEE10hipError_tT1_PNSt15iterator_traitsISG_E10value_typeET2_T3_PNSH_ISM_E10value_typeET4_T5_PSR_SS_PNS1_23onesweep_lookback_stateEbbT6_jjT7_P12ihipStream_tbENKUlT_T0_SG_SL_E_clIS9_SA_SB_SB_EEDaSZ_S10_SG_SL_EUlSZ_E_NS1_11comp_targetILNS1_3genE0ELNS1_11target_archE4294967295ELNS1_3gpuE0ELNS1_3repE0EEENS1_47radix_sort_onesweep_sort_config_static_selectorELNS0_4arch9wavefront6targetE0EEEvSG_
    .private_segment_fixed_size: 0
    .sgpr_count:     31
    .sgpr_spill_count: 0
    .symbol:         _ZN7rocprim17ROCPRIM_400000_NS6detail17trampoline_kernelINS0_14default_configENS1_35radix_sort_onesweep_config_selectorIiNS0_10empty_typeEEEZZNS1_29radix_sort_onesweep_iterationIS3_Lb1EPKiPiPS5_SB_mNS0_19identity_decomposerENS1_16block_id_wrapperIjLb0EEEEE10hipError_tT1_PNSt15iterator_traitsISG_E10value_typeET2_T3_PNSH_ISM_E10value_typeET4_T5_PSR_SS_PNS1_23onesweep_lookback_stateEbbT6_jjT7_P12ihipStream_tbENKUlT_T0_SG_SL_E_clIS9_SA_SB_SB_EEDaSZ_S10_SG_SL_EUlSZ_E_NS1_11comp_targetILNS1_3genE0ELNS1_11target_archE4294967295ELNS1_3gpuE0ELNS1_3repE0EEENS1_47radix_sort_onesweep_sort_config_static_selectorELNS0_4arch9wavefront6targetE0EEEvSG_.kd
    .uniform_work_group_size: 1
    .uses_dynamic_stack: false
    .vgpr_count:     65
    .vgpr_spill_count: 0
    .wavefront_size: 32
  - .args:
      - .offset:         0
        .size:           88
        .value_kind:     by_value
    .group_segment_fixed_size: 0
    .kernarg_segment_align: 8
    .kernarg_segment_size: 88
    .language:       OpenCL C
    .language_version:
      - 2
      - 0
    .max_flat_workgroup_size: 1024
    .name:           _ZN7rocprim17ROCPRIM_400000_NS6detail17trampoline_kernelINS0_14default_configENS1_35radix_sort_onesweep_config_selectorIiNS0_10empty_typeEEEZZNS1_29radix_sort_onesweep_iterationIS3_Lb1EPKiPiPS5_SB_mNS0_19identity_decomposerENS1_16block_id_wrapperIjLb0EEEEE10hipError_tT1_PNSt15iterator_traitsISG_E10value_typeET2_T3_PNSH_ISM_E10value_typeET4_T5_PSR_SS_PNS1_23onesweep_lookback_stateEbbT6_jjT7_P12ihipStream_tbENKUlT_T0_SG_SL_E_clIS9_SA_SB_SB_EEDaSZ_S10_SG_SL_EUlSZ_E_NS1_11comp_targetILNS1_3genE6ELNS1_11target_archE950ELNS1_3gpuE13ELNS1_3repE0EEENS1_47radix_sort_onesweep_sort_config_static_selectorELNS0_4arch9wavefront6targetE0EEEvSG_
    .private_segment_fixed_size: 0
    .sgpr_count:     0
    .sgpr_spill_count: 0
    .symbol:         _ZN7rocprim17ROCPRIM_400000_NS6detail17trampoline_kernelINS0_14default_configENS1_35radix_sort_onesweep_config_selectorIiNS0_10empty_typeEEEZZNS1_29radix_sort_onesweep_iterationIS3_Lb1EPKiPiPS5_SB_mNS0_19identity_decomposerENS1_16block_id_wrapperIjLb0EEEEE10hipError_tT1_PNSt15iterator_traitsISG_E10value_typeET2_T3_PNSH_ISM_E10value_typeET4_T5_PSR_SS_PNS1_23onesweep_lookback_stateEbbT6_jjT7_P12ihipStream_tbENKUlT_T0_SG_SL_E_clIS9_SA_SB_SB_EEDaSZ_S10_SG_SL_EUlSZ_E_NS1_11comp_targetILNS1_3genE6ELNS1_11target_archE950ELNS1_3gpuE13ELNS1_3repE0EEENS1_47radix_sort_onesweep_sort_config_static_selectorELNS0_4arch9wavefront6targetE0EEEvSG_.kd
    .uniform_work_group_size: 1
    .uses_dynamic_stack: false
    .vgpr_count:     0
    .vgpr_spill_count: 0
    .wavefront_size: 32
  - .args:
      - .offset:         0
        .size:           88
        .value_kind:     by_value
    .group_segment_fixed_size: 0
    .kernarg_segment_align: 8
    .kernarg_segment_size: 88
    .language:       OpenCL C
    .language_version:
      - 2
      - 0
    .max_flat_workgroup_size: 1024
    .name:           _ZN7rocprim17ROCPRIM_400000_NS6detail17trampoline_kernelINS0_14default_configENS1_35radix_sort_onesweep_config_selectorIiNS0_10empty_typeEEEZZNS1_29radix_sort_onesweep_iterationIS3_Lb1EPKiPiPS5_SB_mNS0_19identity_decomposerENS1_16block_id_wrapperIjLb0EEEEE10hipError_tT1_PNSt15iterator_traitsISG_E10value_typeET2_T3_PNSH_ISM_E10value_typeET4_T5_PSR_SS_PNS1_23onesweep_lookback_stateEbbT6_jjT7_P12ihipStream_tbENKUlT_T0_SG_SL_E_clIS9_SA_SB_SB_EEDaSZ_S10_SG_SL_EUlSZ_E_NS1_11comp_targetILNS1_3genE5ELNS1_11target_archE942ELNS1_3gpuE9ELNS1_3repE0EEENS1_47radix_sort_onesweep_sort_config_static_selectorELNS0_4arch9wavefront6targetE0EEEvSG_
    .private_segment_fixed_size: 0
    .sgpr_count:     0
    .sgpr_spill_count: 0
    .symbol:         _ZN7rocprim17ROCPRIM_400000_NS6detail17trampoline_kernelINS0_14default_configENS1_35radix_sort_onesweep_config_selectorIiNS0_10empty_typeEEEZZNS1_29radix_sort_onesweep_iterationIS3_Lb1EPKiPiPS5_SB_mNS0_19identity_decomposerENS1_16block_id_wrapperIjLb0EEEEE10hipError_tT1_PNSt15iterator_traitsISG_E10value_typeET2_T3_PNSH_ISM_E10value_typeET4_T5_PSR_SS_PNS1_23onesweep_lookback_stateEbbT6_jjT7_P12ihipStream_tbENKUlT_T0_SG_SL_E_clIS9_SA_SB_SB_EEDaSZ_S10_SG_SL_EUlSZ_E_NS1_11comp_targetILNS1_3genE5ELNS1_11target_archE942ELNS1_3gpuE9ELNS1_3repE0EEENS1_47radix_sort_onesweep_sort_config_static_selectorELNS0_4arch9wavefront6targetE0EEEvSG_.kd
    .uniform_work_group_size: 1
    .uses_dynamic_stack: false
    .vgpr_count:     0
    .vgpr_spill_count: 0
    .wavefront_size: 32
  - .args:
      - .offset:         0
        .size:           88
        .value_kind:     by_value
    .group_segment_fixed_size: 0
    .kernarg_segment_align: 8
    .kernarg_segment_size: 88
    .language:       OpenCL C
    .language_version:
      - 2
      - 0
    .max_flat_workgroup_size: 1024
    .name:           _ZN7rocprim17ROCPRIM_400000_NS6detail17trampoline_kernelINS0_14default_configENS1_35radix_sort_onesweep_config_selectorIiNS0_10empty_typeEEEZZNS1_29radix_sort_onesweep_iterationIS3_Lb1EPKiPiPS5_SB_mNS0_19identity_decomposerENS1_16block_id_wrapperIjLb0EEEEE10hipError_tT1_PNSt15iterator_traitsISG_E10value_typeET2_T3_PNSH_ISM_E10value_typeET4_T5_PSR_SS_PNS1_23onesweep_lookback_stateEbbT6_jjT7_P12ihipStream_tbENKUlT_T0_SG_SL_E_clIS9_SA_SB_SB_EEDaSZ_S10_SG_SL_EUlSZ_E_NS1_11comp_targetILNS1_3genE2ELNS1_11target_archE906ELNS1_3gpuE6ELNS1_3repE0EEENS1_47radix_sort_onesweep_sort_config_static_selectorELNS0_4arch9wavefront6targetE0EEEvSG_
    .private_segment_fixed_size: 0
    .sgpr_count:     0
    .sgpr_spill_count: 0
    .symbol:         _ZN7rocprim17ROCPRIM_400000_NS6detail17trampoline_kernelINS0_14default_configENS1_35radix_sort_onesweep_config_selectorIiNS0_10empty_typeEEEZZNS1_29radix_sort_onesweep_iterationIS3_Lb1EPKiPiPS5_SB_mNS0_19identity_decomposerENS1_16block_id_wrapperIjLb0EEEEE10hipError_tT1_PNSt15iterator_traitsISG_E10value_typeET2_T3_PNSH_ISM_E10value_typeET4_T5_PSR_SS_PNS1_23onesweep_lookback_stateEbbT6_jjT7_P12ihipStream_tbENKUlT_T0_SG_SL_E_clIS9_SA_SB_SB_EEDaSZ_S10_SG_SL_EUlSZ_E_NS1_11comp_targetILNS1_3genE2ELNS1_11target_archE906ELNS1_3gpuE6ELNS1_3repE0EEENS1_47radix_sort_onesweep_sort_config_static_selectorELNS0_4arch9wavefront6targetE0EEEvSG_.kd
    .uniform_work_group_size: 1
    .uses_dynamic_stack: false
    .vgpr_count:     0
    .vgpr_spill_count: 0
    .wavefront_size: 32
  - .args:
      - .offset:         0
        .size:           88
        .value_kind:     by_value
    .group_segment_fixed_size: 0
    .kernarg_segment_align: 8
    .kernarg_segment_size: 88
    .language:       OpenCL C
    .language_version:
      - 2
      - 0
    .max_flat_workgroup_size: 1024
    .name:           _ZN7rocprim17ROCPRIM_400000_NS6detail17trampoline_kernelINS0_14default_configENS1_35radix_sort_onesweep_config_selectorIiNS0_10empty_typeEEEZZNS1_29radix_sort_onesweep_iterationIS3_Lb1EPKiPiPS5_SB_mNS0_19identity_decomposerENS1_16block_id_wrapperIjLb0EEEEE10hipError_tT1_PNSt15iterator_traitsISG_E10value_typeET2_T3_PNSH_ISM_E10value_typeET4_T5_PSR_SS_PNS1_23onesweep_lookback_stateEbbT6_jjT7_P12ihipStream_tbENKUlT_T0_SG_SL_E_clIS9_SA_SB_SB_EEDaSZ_S10_SG_SL_EUlSZ_E_NS1_11comp_targetILNS1_3genE4ELNS1_11target_archE910ELNS1_3gpuE8ELNS1_3repE0EEENS1_47radix_sort_onesweep_sort_config_static_selectorELNS0_4arch9wavefront6targetE0EEEvSG_
    .private_segment_fixed_size: 0
    .sgpr_count:     0
    .sgpr_spill_count: 0
    .symbol:         _ZN7rocprim17ROCPRIM_400000_NS6detail17trampoline_kernelINS0_14default_configENS1_35radix_sort_onesweep_config_selectorIiNS0_10empty_typeEEEZZNS1_29radix_sort_onesweep_iterationIS3_Lb1EPKiPiPS5_SB_mNS0_19identity_decomposerENS1_16block_id_wrapperIjLb0EEEEE10hipError_tT1_PNSt15iterator_traitsISG_E10value_typeET2_T3_PNSH_ISM_E10value_typeET4_T5_PSR_SS_PNS1_23onesweep_lookback_stateEbbT6_jjT7_P12ihipStream_tbENKUlT_T0_SG_SL_E_clIS9_SA_SB_SB_EEDaSZ_S10_SG_SL_EUlSZ_E_NS1_11comp_targetILNS1_3genE4ELNS1_11target_archE910ELNS1_3gpuE8ELNS1_3repE0EEENS1_47radix_sort_onesweep_sort_config_static_selectorELNS0_4arch9wavefront6targetE0EEEvSG_.kd
    .uniform_work_group_size: 1
    .uses_dynamic_stack: false
    .vgpr_count:     0
    .vgpr_spill_count: 0
    .wavefront_size: 32
  - .args:
      - .offset:         0
        .size:           88
        .value_kind:     by_value
    .group_segment_fixed_size: 0
    .kernarg_segment_align: 8
    .kernarg_segment_size: 88
    .language:       OpenCL C
    .language_version:
      - 2
      - 0
    .max_flat_workgroup_size: 512
    .name:           _ZN7rocprim17ROCPRIM_400000_NS6detail17trampoline_kernelINS0_14default_configENS1_35radix_sort_onesweep_config_selectorIiNS0_10empty_typeEEEZZNS1_29radix_sort_onesweep_iterationIS3_Lb1EPKiPiPS5_SB_mNS0_19identity_decomposerENS1_16block_id_wrapperIjLb0EEEEE10hipError_tT1_PNSt15iterator_traitsISG_E10value_typeET2_T3_PNSH_ISM_E10value_typeET4_T5_PSR_SS_PNS1_23onesweep_lookback_stateEbbT6_jjT7_P12ihipStream_tbENKUlT_T0_SG_SL_E_clIS9_SA_SB_SB_EEDaSZ_S10_SG_SL_EUlSZ_E_NS1_11comp_targetILNS1_3genE3ELNS1_11target_archE908ELNS1_3gpuE7ELNS1_3repE0EEENS1_47radix_sort_onesweep_sort_config_static_selectorELNS0_4arch9wavefront6targetE0EEEvSG_
    .private_segment_fixed_size: 0
    .sgpr_count:     0
    .sgpr_spill_count: 0
    .symbol:         _ZN7rocprim17ROCPRIM_400000_NS6detail17trampoline_kernelINS0_14default_configENS1_35radix_sort_onesweep_config_selectorIiNS0_10empty_typeEEEZZNS1_29radix_sort_onesweep_iterationIS3_Lb1EPKiPiPS5_SB_mNS0_19identity_decomposerENS1_16block_id_wrapperIjLb0EEEEE10hipError_tT1_PNSt15iterator_traitsISG_E10value_typeET2_T3_PNSH_ISM_E10value_typeET4_T5_PSR_SS_PNS1_23onesweep_lookback_stateEbbT6_jjT7_P12ihipStream_tbENKUlT_T0_SG_SL_E_clIS9_SA_SB_SB_EEDaSZ_S10_SG_SL_EUlSZ_E_NS1_11comp_targetILNS1_3genE3ELNS1_11target_archE908ELNS1_3gpuE7ELNS1_3repE0EEENS1_47radix_sort_onesweep_sort_config_static_selectorELNS0_4arch9wavefront6targetE0EEEvSG_.kd
    .uniform_work_group_size: 1
    .uses_dynamic_stack: false
    .vgpr_count:     0
    .vgpr_spill_count: 0
    .wavefront_size: 32
  - .args:
      - .offset:         0
        .size:           88
        .value_kind:     by_value
    .group_segment_fixed_size: 0
    .kernarg_segment_align: 8
    .kernarg_segment_size: 88
    .language:       OpenCL C
    .language_version:
      - 2
      - 0
    .max_flat_workgroup_size: 1024
    .name:           _ZN7rocprim17ROCPRIM_400000_NS6detail17trampoline_kernelINS0_14default_configENS1_35radix_sort_onesweep_config_selectorIiNS0_10empty_typeEEEZZNS1_29radix_sort_onesweep_iterationIS3_Lb1EPKiPiPS5_SB_mNS0_19identity_decomposerENS1_16block_id_wrapperIjLb0EEEEE10hipError_tT1_PNSt15iterator_traitsISG_E10value_typeET2_T3_PNSH_ISM_E10value_typeET4_T5_PSR_SS_PNS1_23onesweep_lookback_stateEbbT6_jjT7_P12ihipStream_tbENKUlT_T0_SG_SL_E_clIS9_SA_SB_SB_EEDaSZ_S10_SG_SL_EUlSZ_E_NS1_11comp_targetILNS1_3genE10ELNS1_11target_archE1201ELNS1_3gpuE5ELNS1_3repE0EEENS1_47radix_sort_onesweep_sort_config_static_selectorELNS0_4arch9wavefront6targetE0EEEvSG_
    .private_segment_fixed_size: 0
    .sgpr_count:     0
    .sgpr_spill_count: 0
    .symbol:         _ZN7rocprim17ROCPRIM_400000_NS6detail17trampoline_kernelINS0_14default_configENS1_35radix_sort_onesweep_config_selectorIiNS0_10empty_typeEEEZZNS1_29radix_sort_onesweep_iterationIS3_Lb1EPKiPiPS5_SB_mNS0_19identity_decomposerENS1_16block_id_wrapperIjLb0EEEEE10hipError_tT1_PNSt15iterator_traitsISG_E10value_typeET2_T3_PNSH_ISM_E10value_typeET4_T5_PSR_SS_PNS1_23onesweep_lookback_stateEbbT6_jjT7_P12ihipStream_tbENKUlT_T0_SG_SL_E_clIS9_SA_SB_SB_EEDaSZ_S10_SG_SL_EUlSZ_E_NS1_11comp_targetILNS1_3genE10ELNS1_11target_archE1201ELNS1_3gpuE5ELNS1_3repE0EEENS1_47radix_sort_onesweep_sort_config_static_selectorELNS0_4arch9wavefront6targetE0EEEvSG_.kd
    .uniform_work_group_size: 1
    .uses_dynamic_stack: false
    .vgpr_count:     0
    .vgpr_spill_count: 0
    .wavefront_size: 32
  - .args:
      - .offset:         0
        .size:           88
        .value_kind:     by_value
    .group_segment_fixed_size: 0
    .kernarg_segment_align: 8
    .kernarg_segment_size: 88
    .language:       OpenCL C
    .language_version:
      - 2
      - 0
    .max_flat_workgroup_size: 1024
    .name:           _ZN7rocprim17ROCPRIM_400000_NS6detail17trampoline_kernelINS0_14default_configENS1_35radix_sort_onesweep_config_selectorIiNS0_10empty_typeEEEZZNS1_29radix_sort_onesweep_iterationIS3_Lb1EPKiPiPS5_SB_mNS0_19identity_decomposerENS1_16block_id_wrapperIjLb0EEEEE10hipError_tT1_PNSt15iterator_traitsISG_E10value_typeET2_T3_PNSH_ISM_E10value_typeET4_T5_PSR_SS_PNS1_23onesweep_lookback_stateEbbT6_jjT7_P12ihipStream_tbENKUlT_T0_SG_SL_E_clIS9_SA_SB_SB_EEDaSZ_S10_SG_SL_EUlSZ_E_NS1_11comp_targetILNS1_3genE9ELNS1_11target_archE1100ELNS1_3gpuE3ELNS1_3repE0EEENS1_47radix_sort_onesweep_sort_config_static_selectorELNS0_4arch9wavefront6targetE0EEEvSG_
    .private_segment_fixed_size: 0
    .sgpr_count:     0
    .sgpr_spill_count: 0
    .symbol:         _ZN7rocprim17ROCPRIM_400000_NS6detail17trampoline_kernelINS0_14default_configENS1_35radix_sort_onesweep_config_selectorIiNS0_10empty_typeEEEZZNS1_29radix_sort_onesweep_iterationIS3_Lb1EPKiPiPS5_SB_mNS0_19identity_decomposerENS1_16block_id_wrapperIjLb0EEEEE10hipError_tT1_PNSt15iterator_traitsISG_E10value_typeET2_T3_PNSH_ISM_E10value_typeET4_T5_PSR_SS_PNS1_23onesweep_lookback_stateEbbT6_jjT7_P12ihipStream_tbENKUlT_T0_SG_SL_E_clIS9_SA_SB_SB_EEDaSZ_S10_SG_SL_EUlSZ_E_NS1_11comp_targetILNS1_3genE9ELNS1_11target_archE1100ELNS1_3gpuE3ELNS1_3repE0EEENS1_47radix_sort_onesweep_sort_config_static_selectorELNS0_4arch9wavefront6targetE0EEEvSG_.kd
    .uniform_work_group_size: 1
    .uses_dynamic_stack: false
    .vgpr_count:     0
    .vgpr_spill_count: 0
    .wavefront_size: 32
  - .args:
      - .offset:         0
        .size:           88
        .value_kind:     by_value
    .group_segment_fixed_size: 0
    .kernarg_segment_align: 8
    .kernarg_segment_size: 88
    .language:       OpenCL C
    .language_version:
      - 2
      - 0
    .max_flat_workgroup_size: 1024
    .name:           _ZN7rocprim17ROCPRIM_400000_NS6detail17trampoline_kernelINS0_14default_configENS1_35radix_sort_onesweep_config_selectorIiNS0_10empty_typeEEEZZNS1_29radix_sort_onesweep_iterationIS3_Lb1EPKiPiPS5_SB_mNS0_19identity_decomposerENS1_16block_id_wrapperIjLb0EEEEE10hipError_tT1_PNSt15iterator_traitsISG_E10value_typeET2_T3_PNSH_ISM_E10value_typeET4_T5_PSR_SS_PNS1_23onesweep_lookback_stateEbbT6_jjT7_P12ihipStream_tbENKUlT_T0_SG_SL_E_clIS9_SA_SB_SB_EEDaSZ_S10_SG_SL_EUlSZ_E_NS1_11comp_targetILNS1_3genE8ELNS1_11target_archE1030ELNS1_3gpuE2ELNS1_3repE0EEENS1_47radix_sort_onesweep_sort_config_static_selectorELNS0_4arch9wavefront6targetE0EEEvSG_
    .private_segment_fixed_size: 0
    .sgpr_count:     0
    .sgpr_spill_count: 0
    .symbol:         _ZN7rocprim17ROCPRIM_400000_NS6detail17trampoline_kernelINS0_14default_configENS1_35radix_sort_onesweep_config_selectorIiNS0_10empty_typeEEEZZNS1_29radix_sort_onesweep_iterationIS3_Lb1EPKiPiPS5_SB_mNS0_19identity_decomposerENS1_16block_id_wrapperIjLb0EEEEE10hipError_tT1_PNSt15iterator_traitsISG_E10value_typeET2_T3_PNSH_ISM_E10value_typeET4_T5_PSR_SS_PNS1_23onesweep_lookback_stateEbbT6_jjT7_P12ihipStream_tbENKUlT_T0_SG_SL_E_clIS9_SA_SB_SB_EEDaSZ_S10_SG_SL_EUlSZ_E_NS1_11comp_targetILNS1_3genE8ELNS1_11target_archE1030ELNS1_3gpuE2ELNS1_3repE0EEENS1_47radix_sort_onesweep_sort_config_static_selectorELNS0_4arch9wavefront6targetE0EEEvSG_.kd
    .uniform_work_group_size: 1
    .uses_dynamic_stack: false
    .vgpr_count:     0
    .vgpr_spill_count: 0
    .wavefront_size: 32
  - .args:
      - .offset:         0
        .size:           88
        .value_kind:     by_value
      - .offset:         88
        .size:           4
        .value_kind:     hidden_block_count_x
      - .offset:         92
        .size:           4
        .value_kind:     hidden_block_count_y
      - .offset:         96
        .size:           4
        .value_kind:     hidden_block_count_z
      - .offset:         100
        .size:           2
        .value_kind:     hidden_group_size_x
      - .offset:         102
        .size:           2
        .value_kind:     hidden_group_size_y
      - .offset:         104
        .size:           2
        .value_kind:     hidden_group_size_z
      - .offset:         106
        .size:           2
        .value_kind:     hidden_remainder_x
      - .offset:         108
        .size:           2
        .value_kind:     hidden_remainder_y
      - .offset:         110
        .size:           2
        .value_kind:     hidden_remainder_z
      - .offset:         128
        .size:           8
        .value_kind:     hidden_global_offset_x
      - .offset:         136
        .size:           8
        .value_kind:     hidden_global_offset_y
      - .offset:         144
        .size:           8
        .value_kind:     hidden_global_offset_z
      - .offset:         152
        .size:           2
        .value_kind:     hidden_grid_dims
    .group_segment_fixed_size: 18504
    .kernarg_segment_align: 8
    .kernarg_segment_size: 344
    .language:       OpenCL C
    .language_version:
      - 2
      - 0
    .max_flat_workgroup_size: 512
    .name:           _ZN7rocprim17ROCPRIM_400000_NS6detail17trampoline_kernelINS0_14default_configENS1_35radix_sort_onesweep_config_selectorIiNS0_10empty_typeEEEZZNS1_29radix_sort_onesweep_iterationIS3_Lb1EPKiPiPS5_SB_mNS0_19identity_decomposerENS1_16block_id_wrapperIjLb0EEEEE10hipError_tT1_PNSt15iterator_traitsISG_E10value_typeET2_T3_PNSH_ISM_E10value_typeET4_T5_PSR_SS_PNS1_23onesweep_lookback_stateEbbT6_jjT7_P12ihipStream_tbENKUlT_T0_SG_SL_E_clISA_SA_SB_SB_EEDaSZ_S10_SG_SL_EUlSZ_E_NS1_11comp_targetILNS1_3genE0ELNS1_11target_archE4294967295ELNS1_3gpuE0ELNS1_3repE0EEENS1_47radix_sort_onesweep_sort_config_static_selectorELNS0_4arch9wavefront6targetE0EEEvSG_
    .private_segment_fixed_size: 0
    .sgpr_count:     31
    .sgpr_spill_count: 0
    .symbol:         _ZN7rocprim17ROCPRIM_400000_NS6detail17trampoline_kernelINS0_14default_configENS1_35radix_sort_onesweep_config_selectorIiNS0_10empty_typeEEEZZNS1_29radix_sort_onesweep_iterationIS3_Lb1EPKiPiPS5_SB_mNS0_19identity_decomposerENS1_16block_id_wrapperIjLb0EEEEE10hipError_tT1_PNSt15iterator_traitsISG_E10value_typeET2_T3_PNSH_ISM_E10value_typeET4_T5_PSR_SS_PNS1_23onesweep_lookback_stateEbbT6_jjT7_P12ihipStream_tbENKUlT_T0_SG_SL_E_clISA_SA_SB_SB_EEDaSZ_S10_SG_SL_EUlSZ_E_NS1_11comp_targetILNS1_3genE0ELNS1_11target_archE4294967295ELNS1_3gpuE0ELNS1_3repE0EEENS1_47radix_sort_onesweep_sort_config_static_selectorELNS0_4arch9wavefront6targetE0EEEvSG_.kd
    .uniform_work_group_size: 1
    .uses_dynamic_stack: false
    .vgpr_count:     65
    .vgpr_spill_count: 0
    .wavefront_size: 32
  - .args:
      - .offset:         0
        .size:           88
        .value_kind:     by_value
    .group_segment_fixed_size: 0
    .kernarg_segment_align: 8
    .kernarg_segment_size: 88
    .language:       OpenCL C
    .language_version:
      - 2
      - 0
    .max_flat_workgroup_size: 1024
    .name:           _ZN7rocprim17ROCPRIM_400000_NS6detail17trampoline_kernelINS0_14default_configENS1_35radix_sort_onesweep_config_selectorIiNS0_10empty_typeEEEZZNS1_29radix_sort_onesweep_iterationIS3_Lb1EPKiPiPS5_SB_mNS0_19identity_decomposerENS1_16block_id_wrapperIjLb0EEEEE10hipError_tT1_PNSt15iterator_traitsISG_E10value_typeET2_T3_PNSH_ISM_E10value_typeET4_T5_PSR_SS_PNS1_23onesweep_lookback_stateEbbT6_jjT7_P12ihipStream_tbENKUlT_T0_SG_SL_E_clISA_SA_SB_SB_EEDaSZ_S10_SG_SL_EUlSZ_E_NS1_11comp_targetILNS1_3genE6ELNS1_11target_archE950ELNS1_3gpuE13ELNS1_3repE0EEENS1_47radix_sort_onesweep_sort_config_static_selectorELNS0_4arch9wavefront6targetE0EEEvSG_
    .private_segment_fixed_size: 0
    .sgpr_count:     0
    .sgpr_spill_count: 0
    .symbol:         _ZN7rocprim17ROCPRIM_400000_NS6detail17trampoline_kernelINS0_14default_configENS1_35radix_sort_onesweep_config_selectorIiNS0_10empty_typeEEEZZNS1_29radix_sort_onesweep_iterationIS3_Lb1EPKiPiPS5_SB_mNS0_19identity_decomposerENS1_16block_id_wrapperIjLb0EEEEE10hipError_tT1_PNSt15iterator_traitsISG_E10value_typeET2_T3_PNSH_ISM_E10value_typeET4_T5_PSR_SS_PNS1_23onesweep_lookback_stateEbbT6_jjT7_P12ihipStream_tbENKUlT_T0_SG_SL_E_clISA_SA_SB_SB_EEDaSZ_S10_SG_SL_EUlSZ_E_NS1_11comp_targetILNS1_3genE6ELNS1_11target_archE950ELNS1_3gpuE13ELNS1_3repE0EEENS1_47radix_sort_onesweep_sort_config_static_selectorELNS0_4arch9wavefront6targetE0EEEvSG_.kd
    .uniform_work_group_size: 1
    .uses_dynamic_stack: false
    .vgpr_count:     0
    .vgpr_spill_count: 0
    .wavefront_size: 32
  - .args:
      - .offset:         0
        .size:           88
        .value_kind:     by_value
    .group_segment_fixed_size: 0
    .kernarg_segment_align: 8
    .kernarg_segment_size: 88
    .language:       OpenCL C
    .language_version:
      - 2
      - 0
    .max_flat_workgroup_size: 1024
    .name:           _ZN7rocprim17ROCPRIM_400000_NS6detail17trampoline_kernelINS0_14default_configENS1_35radix_sort_onesweep_config_selectorIiNS0_10empty_typeEEEZZNS1_29radix_sort_onesweep_iterationIS3_Lb1EPKiPiPS5_SB_mNS0_19identity_decomposerENS1_16block_id_wrapperIjLb0EEEEE10hipError_tT1_PNSt15iterator_traitsISG_E10value_typeET2_T3_PNSH_ISM_E10value_typeET4_T5_PSR_SS_PNS1_23onesweep_lookback_stateEbbT6_jjT7_P12ihipStream_tbENKUlT_T0_SG_SL_E_clISA_SA_SB_SB_EEDaSZ_S10_SG_SL_EUlSZ_E_NS1_11comp_targetILNS1_3genE5ELNS1_11target_archE942ELNS1_3gpuE9ELNS1_3repE0EEENS1_47radix_sort_onesweep_sort_config_static_selectorELNS0_4arch9wavefront6targetE0EEEvSG_
    .private_segment_fixed_size: 0
    .sgpr_count:     0
    .sgpr_spill_count: 0
    .symbol:         _ZN7rocprim17ROCPRIM_400000_NS6detail17trampoline_kernelINS0_14default_configENS1_35radix_sort_onesweep_config_selectorIiNS0_10empty_typeEEEZZNS1_29radix_sort_onesweep_iterationIS3_Lb1EPKiPiPS5_SB_mNS0_19identity_decomposerENS1_16block_id_wrapperIjLb0EEEEE10hipError_tT1_PNSt15iterator_traitsISG_E10value_typeET2_T3_PNSH_ISM_E10value_typeET4_T5_PSR_SS_PNS1_23onesweep_lookback_stateEbbT6_jjT7_P12ihipStream_tbENKUlT_T0_SG_SL_E_clISA_SA_SB_SB_EEDaSZ_S10_SG_SL_EUlSZ_E_NS1_11comp_targetILNS1_3genE5ELNS1_11target_archE942ELNS1_3gpuE9ELNS1_3repE0EEENS1_47radix_sort_onesweep_sort_config_static_selectorELNS0_4arch9wavefront6targetE0EEEvSG_.kd
    .uniform_work_group_size: 1
    .uses_dynamic_stack: false
    .vgpr_count:     0
    .vgpr_spill_count: 0
    .wavefront_size: 32
  - .args:
      - .offset:         0
        .size:           88
        .value_kind:     by_value
    .group_segment_fixed_size: 0
    .kernarg_segment_align: 8
    .kernarg_segment_size: 88
    .language:       OpenCL C
    .language_version:
      - 2
      - 0
    .max_flat_workgroup_size: 1024
    .name:           _ZN7rocprim17ROCPRIM_400000_NS6detail17trampoline_kernelINS0_14default_configENS1_35radix_sort_onesweep_config_selectorIiNS0_10empty_typeEEEZZNS1_29radix_sort_onesweep_iterationIS3_Lb1EPKiPiPS5_SB_mNS0_19identity_decomposerENS1_16block_id_wrapperIjLb0EEEEE10hipError_tT1_PNSt15iterator_traitsISG_E10value_typeET2_T3_PNSH_ISM_E10value_typeET4_T5_PSR_SS_PNS1_23onesweep_lookback_stateEbbT6_jjT7_P12ihipStream_tbENKUlT_T0_SG_SL_E_clISA_SA_SB_SB_EEDaSZ_S10_SG_SL_EUlSZ_E_NS1_11comp_targetILNS1_3genE2ELNS1_11target_archE906ELNS1_3gpuE6ELNS1_3repE0EEENS1_47radix_sort_onesweep_sort_config_static_selectorELNS0_4arch9wavefront6targetE0EEEvSG_
    .private_segment_fixed_size: 0
    .sgpr_count:     0
    .sgpr_spill_count: 0
    .symbol:         _ZN7rocprim17ROCPRIM_400000_NS6detail17trampoline_kernelINS0_14default_configENS1_35radix_sort_onesweep_config_selectorIiNS0_10empty_typeEEEZZNS1_29radix_sort_onesweep_iterationIS3_Lb1EPKiPiPS5_SB_mNS0_19identity_decomposerENS1_16block_id_wrapperIjLb0EEEEE10hipError_tT1_PNSt15iterator_traitsISG_E10value_typeET2_T3_PNSH_ISM_E10value_typeET4_T5_PSR_SS_PNS1_23onesweep_lookback_stateEbbT6_jjT7_P12ihipStream_tbENKUlT_T0_SG_SL_E_clISA_SA_SB_SB_EEDaSZ_S10_SG_SL_EUlSZ_E_NS1_11comp_targetILNS1_3genE2ELNS1_11target_archE906ELNS1_3gpuE6ELNS1_3repE0EEENS1_47radix_sort_onesweep_sort_config_static_selectorELNS0_4arch9wavefront6targetE0EEEvSG_.kd
    .uniform_work_group_size: 1
    .uses_dynamic_stack: false
    .vgpr_count:     0
    .vgpr_spill_count: 0
    .wavefront_size: 32
  - .args:
      - .offset:         0
        .size:           88
        .value_kind:     by_value
    .group_segment_fixed_size: 0
    .kernarg_segment_align: 8
    .kernarg_segment_size: 88
    .language:       OpenCL C
    .language_version:
      - 2
      - 0
    .max_flat_workgroup_size: 1024
    .name:           _ZN7rocprim17ROCPRIM_400000_NS6detail17trampoline_kernelINS0_14default_configENS1_35radix_sort_onesweep_config_selectorIiNS0_10empty_typeEEEZZNS1_29radix_sort_onesweep_iterationIS3_Lb1EPKiPiPS5_SB_mNS0_19identity_decomposerENS1_16block_id_wrapperIjLb0EEEEE10hipError_tT1_PNSt15iterator_traitsISG_E10value_typeET2_T3_PNSH_ISM_E10value_typeET4_T5_PSR_SS_PNS1_23onesweep_lookback_stateEbbT6_jjT7_P12ihipStream_tbENKUlT_T0_SG_SL_E_clISA_SA_SB_SB_EEDaSZ_S10_SG_SL_EUlSZ_E_NS1_11comp_targetILNS1_3genE4ELNS1_11target_archE910ELNS1_3gpuE8ELNS1_3repE0EEENS1_47radix_sort_onesweep_sort_config_static_selectorELNS0_4arch9wavefront6targetE0EEEvSG_
    .private_segment_fixed_size: 0
    .sgpr_count:     0
    .sgpr_spill_count: 0
    .symbol:         _ZN7rocprim17ROCPRIM_400000_NS6detail17trampoline_kernelINS0_14default_configENS1_35radix_sort_onesweep_config_selectorIiNS0_10empty_typeEEEZZNS1_29radix_sort_onesweep_iterationIS3_Lb1EPKiPiPS5_SB_mNS0_19identity_decomposerENS1_16block_id_wrapperIjLb0EEEEE10hipError_tT1_PNSt15iterator_traitsISG_E10value_typeET2_T3_PNSH_ISM_E10value_typeET4_T5_PSR_SS_PNS1_23onesweep_lookback_stateEbbT6_jjT7_P12ihipStream_tbENKUlT_T0_SG_SL_E_clISA_SA_SB_SB_EEDaSZ_S10_SG_SL_EUlSZ_E_NS1_11comp_targetILNS1_3genE4ELNS1_11target_archE910ELNS1_3gpuE8ELNS1_3repE0EEENS1_47radix_sort_onesweep_sort_config_static_selectorELNS0_4arch9wavefront6targetE0EEEvSG_.kd
    .uniform_work_group_size: 1
    .uses_dynamic_stack: false
    .vgpr_count:     0
    .vgpr_spill_count: 0
    .wavefront_size: 32
  - .args:
      - .offset:         0
        .size:           88
        .value_kind:     by_value
    .group_segment_fixed_size: 0
    .kernarg_segment_align: 8
    .kernarg_segment_size: 88
    .language:       OpenCL C
    .language_version:
      - 2
      - 0
    .max_flat_workgroup_size: 512
    .name:           _ZN7rocprim17ROCPRIM_400000_NS6detail17trampoline_kernelINS0_14default_configENS1_35radix_sort_onesweep_config_selectorIiNS0_10empty_typeEEEZZNS1_29radix_sort_onesweep_iterationIS3_Lb1EPKiPiPS5_SB_mNS0_19identity_decomposerENS1_16block_id_wrapperIjLb0EEEEE10hipError_tT1_PNSt15iterator_traitsISG_E10value_typeET2_T3_PNSH_ISM_E10value_typeET4_T5_PSR_SS_PNS1_23onesweep_lookback_stateEbbT6_jjT7_P12ihipStream_tbENKUlT_T0_SG_SL_E_clISA_SA_SB_SB_EEDaSZ_S10_SG_SL_EUlSZ_E_NS1_11comp_targetILNS1_3genE3ELNS1_11target_archE908ELNS1_3gpuE7ELNS1_3repE0EEENS1_47radix_sort_onesweep_sort_config_static_selectorELNS0_4arch9wavefront6targetE0EEEvSG_
    .private_segment_fixed_size: 0
    .sgpr_count:     0
    .sgpr_spill_count: 0
    .symbol:         _ZN7rocprim17ROCPRIM_400000_NS6detail17trampoline_kernelINS0_14default_configENS1_35radix_sort_onesweep_config_selectorIiNS0_10empty_typeEEEZZNS1_29radix_sort_onesweep_iterationIS3_Lb1EPKiPiPS5_SB_mNS0_19identity_decomposerENS1_16block_id_wrapperIjLb0EEEEE10hipError_tT1_PNSt15iterator_traitsISG_E10value_typeET2_T3_PNSH_ISM_E10value_typeET4_T5_PSR_SS_PNS1_23onesweep_lookback_stateEbbT6_jjT7_P12ihipStream_tbENKUlT_T0_SG_SL_E_clISA_SA_SB_SB_EEDaSZ_S10_SG_SL_EUlSZ_E_NS1_11comp_targetILNS1_3genE3ELNS1_11target_archE908ELNS1_3gpuE7ELNS1_3repE0EEENS1_47radix_sort_onesweep_sort_config_static_selectorELNS0_4arch9wavefront6targetE0EEEvSG_.kd
    .uniform_work_group_size: 1
    .uses_dynamic_stack: false
    .vgpr_count:     0
    .vgpr_spill_count: 0
    .wavefront_size: 32
  - .args:
      - .offset:         0
        .size:           88
        .value_kind:     by_value
    .group_segment_fixed_size: 0
    .kernarg_segment_align: 8
    .kernarg_segment_size: 88
    .language:       OpenCL C
    .language_version:
      - 2
      - 0
    .max_flat_workgroup_size: 1024
    .name:           _ZN7rocprim17ROCPRIM_400000_NS6detail17trampoline_kernelINS0_14default_configENS1_35radix_sort_onesweep_config_selectorIiNS0_10empty_typeEEEZZNS1_29radix_sort_onesweep_iterationIS3_Lb1EPKiPiPS5_SB_mNS0_19identity_decomposerENS1_16block_id_wrapperIjLb0EEEEE10hipError_tT1_PNSt15iterator_traitsISG_E10value_typeET2_T3_PNSH_ISM_E10value_typeET4_T5_PSR_SS_PNS1_23onesweep_lookback_stateEbbT6_jjT7_P12ihipStream_tbENKUlT_T0_SG_SL_E_clISA_SA_SB_SB_EEDaSZ_S10_SG_SL_EUlSZ_E_NS1_11comp_targetILNS1_3genE10ELNS1_11target_archE1201ELNS1_3gpuE5ELNS1_3repE0EEENS1_47radix_sort_onesweep_sort_config_static_selectorELNS0_4arch9wavefront6targetE0EEEvSG_
    .private_segment_fixed_size: 0
    .sgpr_count:     0
    .sgpr_spill_count: 0
    .symbol:         _ZN7rocprim17ROCPRIM_400000_NS6detail17trampoline_kernelINS0_14default_configENS1_35radix_sort_onesweep_config_selectorIiNS0_10empty_typeEEEZZNS1_29radix_sort_onesweep_iterationIS3_Lb1EPKiPiPS5_SB_mNS0_19identity_decomposerENS1_16block_id_wrapperIjLb0EEEEE10hipError_tT1_PNSt15iterator_traitsISG_E10value_typeET2_T3_PNSH_ISM_E10value_typeET4_T5_PSR_SS_PNS1_23onesweep_lookback_stateEbbT6_jjT7_P12ihipStream_tbENKUlT_T0_SG_SL_E_clISA_SA_SB_SB_EEDaSZ_S10_SG_SL_EUlSZ_E_NS1_11comp_targetILNS1_3genE10ELNS1_11target_archE1201ELNS1_3gpuE5ELNS1_3repE0EEENS1_47radix_sort_onesweep_sort_config_static_selectorELNS0_4arch9wavefront6targetE0EEEvSG_.kd
    .uniform_work_group_size: 1
    .uses_dynamic_stack: false
    .vgpr_count:     0
    .vgpr_spill_count: 0
    .wavefront_size: 32
  - .args:
      - .offset:         0
        .size:           88
        .value_kind:     by_value
    .group_segment_fixed_size: 0
    .kernarg_segment_align: 8
    .kernarg_segment_size: 88
    .language:       OpenCL C
    .language_version:
      - 2
      - 0
    .max_flat_workgroup_size: 1024
    .name:           _ZN7rocprim17ROCPRIM_400000_NS6detail17trampoline_kernelINS0_14default_configENS1_35radix_sort_onesweep_config_selectorIiNS0_10empty_typeEEEZZNS1_29radix_sort_onesweep_iterationIS3_Lb1EPKiPiPS5_SB_mNS0_19identity_decomposerENS1_16block_id_wrapperIjLb0EEEEE10hipError_tT1_PNSt15iterator_traitsISG_E10value_typeET2_T3_PNSH_ISM_E10value_typeET4_T5_PSR_SS_PNS1_23onesweep_lookback_stateEbbT6_jjT7_P12ihipStream_tbENKUlT_T0_SG_SL_E_clISA_SA_SB_SB_EEDaSZ_S10_SG_SL_EUlSZ_E_NS1_11comp_targetILNS1_3genE9ELNS1_11target_archE1100ELNS1_3gpuE3ELNS1_3repE0EEENS1_47radix_sort_onesweep_sort_config_static_selectorELNS0_4arch9wavefront6targetE0EEEvSG_
    .private_segment_fixed_size: 0
    .sgpr_count:     0
    .sgpr_spill_count: 0
    .symbol:         _ZN7rocprim17ROCPRIM_400000_NS6detail17trampoline_kernelINS0_14default_configENS1_35radix_sort_onesweep_config_selectorIiNS0_10empty_typeEEEZZNS1_29radix_sort_onesweep_iterationIS3_Lb1EPKiPiPS5_SB_mNS0_19identity_decomposerENS1_16block_id_wrapperIjLb0EEEEE10hipError_tT1_PNSt15iterator_traitsISG_E10value_typeET2_T3_PNSH_ISM_E10value_typeET4_T5_PSR_SS_PNS1_23onesweep_lookback_stateEbbT6_jjT7_P12ihipStream_tbENKUlT_T0_SG_SL_E_clISA_SA_SB_SB_EEDaSZ_S10_SG_SL_EUlSZ_E_NS1_11comp_targetILNS1_3genE9ELNS1_11target_archE1100ELNS1_3gpuE3ELNS1_3repE0EEENS1_47radix_sort_onesweep_sort_config_static_selectorELNS0_4arch9wavefront6targetE0EEEvSG_.kd
    .uniform_work_group_size: 1
    .uses_dynamic_stack: false
    .vgpr_count:     0
    .vgpr_spill_count: 0
    .wavefront_size: 32
  - .args:
      - .offset:         0
        .size:           88
        .value_kind:     by_value
    .group_segment_fixed_size: 0
    .kernarg_segment_align: 8
    .kernarg_segment_size: 88
    .language:       OpenCL C
    .language_version:
      - 2
      - 0
    .max_flat_workgroup_size: 1024
    .name:           _ZN7rocprim17ROCPRIM_400000_NS6detail17trampoline_kernelINS0_14default_configENS1_35radix_sort_onesweep_config_selectorIiNS0_10empty_typeEEEZZNS1_29radix_sort_onesweep_iterationIS3_Lb1EPKiPiPS5_SB_mNS0_19identity_decomposerENS1_16block_id_wrapperIjLb0EEEEE10hipError_tT1_PNSt15iterator_traitsISG_E10value_typeET2_T3_PNSH_ISM_E10value_typeET4_T5_PSR_SS_PNS1_23onesweep_lookback_stateEbbT6_jjT7_P12ihipStream_tbENKUlT_T0_SG_SL_E_clISA_SA_SB_SB_EEDaSZ_S10_SG_SL_EUlSZ_E_NS1_11comp_targetILNS1_3genE8ELNS1_11target_archE1030ELNS1_3gpuE2ELNS1_3repE0EEENS1_47radix_sort_onesweep_sort_config_static_selectorELNS0_4arch9wavefront6targetE0EEEvSG_
    .private_segment_fixed_size: 0
    .sgpr_count:     0
    .sgpr_spill_count: 0
    .symbol:         _ZN7rocprim17ROCPRIM_400000_NS6detail17trampoline_kernelINS0_14default_configENS1_35radix_sort_onesweep_config_selectorIiNS0_10empty_typeEEEZZNS1_29radix_sort_onesweep_iterationIS3_Lb1EPKiPiPS5_SB_mNS0_19identity_decomposerENS1_16block_id_wrapperIjLb0EEEEE10hipError_tT1_PNSt15iterator_traitsISG_E10value_typeET2_T3_PNSH_ISM_E10value_typeET4_T5_PSR_SS_PNS1_23onesweep_lookback_stateEbbT6_jjT7_P12ihipStream_tbENKUlT_T0_SG_SL_E_clISA_SA_SB_SB_EEDaSZ_S10_SG_SL_EUlSZ_E_NS1_11comp_targetILNS1_3genE8ELNS1_11target_archE1030ELNS1_3gpuE2ELNS1_3repE0EEENS1_47radix_sort_onesweep_sort_config_static_selectorELNS0_4arch9wavefront6targetE0EEEvSG_.kd
    .uniform_work_group_size: 1
    .uses_dynamic_stack: false
    .vgpr_count:     0
    .vgpr_spill_count: 0
    .wavefront_size: 32
  - .args:
      - .offset:         0
        .size:           48
        .value_kind:     by_value
      - .offset:         48
        .size:           4
        .value_kind:     hidden_block_count_x
      - .offset:         52
        .size:           4
        .value_kind:     hidden_block_count_y
      - .offset:         56
        .size:           4
        .value_kind:     hidden_block_count_z
      - .offset:         60
        .size:           2
        .value_kind:     hidden_group_size_x
      - .offset:         62
        .size:           2
        .value_kind:     hidden_group_size_y
      - .offset:         64
        .size:           2
        .value_kind:     hidden_group_size_z
      - .offset:         66
        .size:           2
        .value_kind:     hidden_remainder_x
      - .offset:         68
        .size:           2
        .value_kind:     hidden_remainder_y
      - .offset:         70
        .size:           2
        .value_kind:     hidden_remainder_z
      - .offset:         88
        .size:           8
        .value_kind:     hidden_global_offset_x
      - .offset:         96
        .size:           8
        .value_kind:     hidden_global_offset_y
      - .offset:         104
        .size:           8
        .value_kind:     hidden_global_offset_z
      - .offset:         112
        .size:           2
        .value_kind:     hidden_grid_dims
    .group_segment_fixed_size: 8224
    .kernarg_segment_align: 8
    .kernarg_segment_size: 304
    .language:       OpenCL C
    .language_version:
      - 2
      - 0
    .max_flat_workgroup_size: 256
    .name:           _ZN7rocprim17ROCPRIM_400000_NS6detail17trampoline_kernelINS0_13kernel_configILj256ELj4ELj4294967295EEENS1_37radix_sort_block_sort_config_selectorIiNS0_10empty_typeEEEZNS1_21radix_sort_block_sortIS4_Lb0EPKiPiPS6_SC_NS0_19identity_decomposerEEE10hipError_tT1_T2_T3_T4_jRjT5_jjP12ihipStream_tbEUlT_E_NS1_11comp_targetILNS1_3genE0ELNS1_11target_archE4294967295ELNS1_3gpuE0ELNS1_3repE0EEENS1_44radix_sort_block_sort_config_static_selectorELNS0_4arch9wavefront6targetE0EEEvSF_
    .private_segment_fixed_size: 0
    .sgpr_count:     31
    .sgpr_spill_count: 0
    .symbol:         _ZN7rocprim17ROCPRIM_400000_NS6detail17trampoline_kernelINS0_13kernel_configILj256ELj4ELj4294967295EEENS1_37radix_sort_block_sort_config_selectorIiNS0_10empty_typeEEEZNS1_21radix_sort_block_sortIS4_Lb0EPKiPiPS6_SC_NS0_19identity_decomposerEEE10hipError_tT1_T2_T3_T4_jRjT5_jjP12ihipStream_tbEUlT_E_NS1_11comp_targetILNS1_3genE0ELNS1_11target_archE4294967295ELNS1_3gpuE0ELNS1_3repE0EEENS1_44radix_sort_block_sort_config_static_selectorELNS0_4arch9wavefront6targetE0EEEvSF_.kd
    .uniform_work_group_size: 1
    .uses_dynamic_stack: false
    .vgpr_count:     38
    .vgpr_spill_count: 0
    .wavefront_size: 32
  - .args:
      - .offset:         0
        .size:           48
        .value_kind:     by_value
    .group_segment_fixed_size: 0
    .kernarg_segment_align: 8
    .kernarg_segment_size: 48
    .language:       OpenCL C
    .language_version:
      - 2
      - 0
    .max_flat_workgroup_size: 256
    .name:           _ZN7rocprim17ROCPRIM_400000_NS6detail17trampoline_kernelINS0_13kernel_configILj256ELj4ELj4294967295EEENS1_37radix_sort_block_sort_config_selectorIiNS0_10empty_typeEEEZNS1_21radix_sort_block_sortIS4_Lb0EPKiPiPS6_SC_NS0_19identity_decomposerEEE10hipError_tT1_T2_T3_T4_jRjT5_jjP12ihipStream_tbEUlT_E_NS1_11comp_targetILNS1_3genE5ELNS1_11target_archE942ELNS1_3gpuE9ELNS1_3repE0EEENS1_44radix_sort_block_sort_config_static_selectorELNS0_4arch9wavefront6targetE0EEEvSF_
    .private_segment_fixed_size: 0
    .sgpr_count:     0
    .sgpr_spill_count: 0
    .symbol:         _ZN7rocprim17ROCPRIM_400000_NS6detail17trampoline_kernelINS0_13kernel_configILj256ELj4ELj4294967295EEENS1_37radix_sort_block_sort_config_selectorIiNS0_10empty_typeEEEZNS1_21radix_sort_block_sortIS4_Lb0EPKiPiPS6_SC_NS0_19identity_decomposerEEE10hipError_tT1_T2_T3_T4_jRjT5_jjP12ihipStream_tbEUlT_E_NS1_11comp_targetILNS1_3genE5ELNS1_11target_archE942ELNS1_3gpuE9ELNS1_3repE0EEENS1_44radix_sort_block_sort_config_static_selectorELNS0_4arch9wavefront6targetE0EEEvSF_.kd
    .uniform_work_group_size: 1
    .uses_dynamic_stack: false
    .vgpr_count:     0
    .vgpr_spill_count: 0
    .wavefront_size: 32
  - .args:
      - .offset:         0
        .size:           48
        .value_kind:     by_value
    .group_segment_fixed_size: 0
    .kernarg_segment_align: 8
    .kernarg_segment_size: 48
    .language:       OpenCL C
    .language_version:
      - 2
      - 0
    .max_flat_workgroup_size: 256
    .name:           _ZN7rocprim17ROCPRIM_400000_NS6detail17trampoline_kernelINS0_13kernel_configILj256ELj4ELj4294967295EEENS1_37radix_sort_block_sort_config_selectorIiNS0_10empty_typeEEEZNS1_21radix_sort_block_sortIS4_Lb0EPKiPiPS6_SC_NS0_19identity_decomposerEEE10hipError_tT1_T2_T3_T4_jRjT5_jjP12ihipStream_tbEUlT_E_NS1_11comp_targetILNS1_3genE4ELNS1_11target_archE910ELNS1_3gpuE8ELNS1_3repE0EEENS1_44radix_sort_block_sort_config_static_selectorELNS0_4arch9wavefront6targetE0EEEvSF_
    .private_segment_fixed_size: 0
    .sgpr_count:     0
    .sgpr_spill_count: 0
    .symbol:         _ZN7rocprim17ROCPRIM_400000_NS6detail17trampoline_kernelINS0_13kernel_configILj256ELj4ELj4294967295EEENS1_37radix_sort_block_sort_config_selectorIiNS0_10empty_typeEEEZNS1_21radix_sort_block_sortIS4_Lb0EPKiPiPS6_SC_NS0_19identity_decomposerEEE10hipError_tT1_T2_T3_T4_jRjT5_jjP12ihipStream_tbEUlT_E_NS1_11comp_targetILNS1_3genE4ELNS1_11target_archE910ELNS1_3gpuE8ELNS1_3repE0EEENS1_44radix_sort_block_sort_config_static_selectorELNS0_4arch9wavefront6targetE0EEEvSF_.kd
    .uniform_work_group_size: 1
    .uses_dynamic_stack: false
    .vgpr_count:     0
    .vgpr_spill_count: 0
    .wavefront_size: 32
  - .args:
      - .offset:         0
        .size:           48
        .value_kind:     by_value
    .group_segment_fixed_size: 0
    .kernarg_segment_align: 8
    .kernarg_segment_size: 48
    .language:       OpenCL C
    .language_version:
      - 2
      - 0
    .max_flat_workgroup_size: 256
    .name:           _ZN7rocprim17ROCPRIM_400000_NS6detail17trampoline_kernelINS0_13kernel_configILj256ELj4ELj4294967295EEENS1_37radix_sort_block_sort_config_selectorIiNS0_10empty_typeEEEZNS1_21radix_sort_block_sortIS4_Lb0EPKiPiPS6_SC_NS0_19identity_decomposerEEE10hipError_tT1_T2_T3_T4_jRjT5_jjP12ihipStream_tbEUlT_E_NS1_11comp_targetILNS1_3genE3ELNS1_11target_archE908ELNS1_3gpuE7ELNS1_3repE0EEENS1_44radix_sort_block_sort_config_static_selectorELNS0_4arch9wavefront6targetE0EEEvSF_
    .private_segment_fixed_size: 0
    .sgpr_count:     0
    .sgpr_spill_count: 0
    .symbol:         _ZN7rocprim17ROCPRIM_400000_NS6detail17trampoline_kernelINS0_13kernel_configILj256ELj4ELj4294967295EEENS1_37radix_sort_block_sort_config_selectorIiNS0_10empty_typeEEEZNS1_21radix_sort_block_sortIS4_Lb0EPKiPiPS6_SC_NS0_19identity_decomposerEEE10hipError_tT1_T2_T3_T4_jRjT5_jjP12ihipStream_tbEUlT_E_NS1_11comp_targetILNS1_3genE3ELNS1_11target_archE908ELNS1_3gpuE7ELNS1_3repE0EEENS1_44radix_sort_block_sort_config_static_selectorELNS0_4arch9wavefront6targetE0EEEvSF_.kd
    .uniform_work_group_size: 1
    .uses_dynamic_stack: false
    .vgpr_count:     0
    .vgpr_spill_count: 0
    .wavefront_size: 32
  - .args:
      - .offset:         0
        .size:           48
        .value_kind:     by_value
    .group_segment_fixed_size: 0
    .kernarg_segment_align: 8
    .kernarg_segment_size: 48
    .language:       OpenCL C
    .language_version:
      - 2
      - 0
    .max_flat_workgroup_size: 256
    .name:           _ZN7rocprim17ROCPRIM_400000_NS6detail17trampoline_kernelINS0_13kernel_configILj256ELj4ELj4294967295EEENS1_37radix_sort_block_sort_config_selectorIiNS0_10empty_typeEEEZNS1_21radix_sort_block_sortIS4_Lb0EPKiPiPS6_SC_NS0_19identity_decomposerEEE10hipError_tT1_T2_T3_T4_jRjT5_jjP12ihipStream_tbEUlT_E_NS1_11comp_targetILNS1_3genE2ELNS1_11target_archE906ELNS1_3gpuE6ELNS1_3repE0EEENS1_44radix_sort_block_sort_config_static_selectorELNS0_4arch9wavefront6targetE0EEEvSF_
    .private_segment_fixed_size: 0
    .sgpr_count:     0
    .sgpr_spill_count: 0
    .symbol:         _ZN7rocprim17ROCPRIM_400000_NS6detail17trampoline_kernelINS0_13kernel_configILj256ELj4ELj4294967295EEENS1_37radix_sort_block_sort_config_selectorIiNS0_10empty_typeEEEZNS1_21radix_sort_block_sortIS4_Lb0EPKiPiPS6_SC_NS0_19identity_decomposerEEE10hipError_tT1_T2_T3_T4_jRjT5_jjP12ihipStream_tbEUlT_E_NS1_11comp_targetILNS1_3genE2ELNS1_11target_archE906ELNS1_3gpuE6ELNS1_3repE0EEENS1_44radix_sort_block_sort_config_static_selectorELNS0_4arch9wavefront6targetE0EEEvSF_.kd
    .uniform_work_group_size: 1
    .uses_dynamic_stack: false
    .vgpr_count:     0
    .vgpr_spill_count: 0
    .wavefront_size: 32
  - .args:
      - .offset:         0
        .size:           48
        .value_kind:     by_value
    .group_segment_fixed_size: 0
    .kernarg_segment_align: 8
    .kernarg_segment_size: 48
    .language:       OpenCL C
    .language_version:
      - 2
      - 0
    .max_flat_workgroup_size: 256
    .name:           _ZN7rocprim17ROCPRIM_400000_NS6detail17trampoline_kernelINS0_13kernel_configILj256ELj4ELj4294967295EEENS1_37radix_sort_block_sort_config_selectorIiNS0_10empty_typeEEEZNS1_21radix_sort_block_sortIS4_Lb0EPKiPiPS6_SC_NS0_19identity_decomposerEEE10hipError_tT1_T2_T3_T4_jRjT5_jjP12ihipStream_tbEUlT_E_NS1_11comp_targetILNS1_3genE10ELNS1_11target_archE1201ELNS1_3gpuE5ELNS1_3repE0EEENS1_44radix_sort_block_sort_config_static_selectorELNS0_4arch9wavefront6targetE0EEEvSF_
    .private_segment_fixed_size: 0
    .sgpr_count:     0
    .sgpr_spill_count: 0
    .symbol:         _ZN7rocprim17ROCPRIM_400000_NS6detail17trampoline_kernelINS0_13kernel_configILj256ELj4ELj4294967295EEENS1_37radix_sort_block_sort_config_selectorIiNS0_10empty_typeEEEZNS1_21radix_sort_block_sortIS4_Lb0EPKiPiPS6_SC_NS0_19identity_decomposerEEE10hipError_tT1_T2_T3_T4_jRjT5_jjP12ihipStream_tbEUlT_E_NS1_11comp_targetILNS1_3genE10ELNS1_11target_archE1201ELNS1_3gpuE5ELNS1_3repE0EEENS1_44radix_sort_block_sort_config_static_selectorELNS0_4arch9wavefront6targetE0EEEvSF_.kd
    .uniform_work_group_size: 1
    .uses_dynamic_stack: false
    .vgpr_count:     0
    .vgpr_spill_count: 0
    .wavefront_size: 32
  - .args:
      - .offset:         0
        .size:           48
        .value_kind:     by_value
    .group_segment_fixed_size: 0
    .kernarg_segment_align: 8
    .kernarg_segment_size: 48
    .language:       OpenCL C
    .language_version:
      - 2
      - 0
    .max_flat_workgroup_size: 256
    .name:           _ZN7rocprim17ROCPRIM_400000_NS6detail17trampoline_kernelINS0_13kernel_configILj256ELj4ELj4294967295EEENS1_37radix_sort_block_sort_config_selectorIiNS0_10empty_typeEEEZNS1_21radix_sort_block_sortIS4_Lb0EPKiPiPS6_SC_NS0_19identity_decomposerEEE10hipError_tT1_T2_T3_T4_jRjT5_jjP12ihipStream_tbEUlT_E_NS1_11comp_targetILNS1_3genE10ELNS1_11target_archE1200ELNS1_3gpuE4ELNS1_3repE0EEENS1_44radix_sort_block_sort_config_static_selectorELNS0_4arch9wavefront6targetE0EEEvSF_
    .private_segment_fixed_size: 0
    .sgpr_count:     0
    .sgpr_spill_count: 0
    .symbol:         _ZN7rocprim17ROCPRIM_400000_NS6detail17trampoline_kernelINS0_13kernel_configILj256ELj4ELj4294967295EEENS1_37radix_sort_block_sort_config_selectorIiNS0_10empty_typeEEEZNS1_21radix_sort_block_sortIS4_Lb0EPKiPiPS6_SC_NS0_19identity_decomposerEEE10hipError_tT1_T2_T3_T4_jRjT5_jjP12ihipStream_tbEUlT_E_NS1_11comp_targetILNS1_3genE10ELNS1_11target_archE1200ELNS1_3gpuE4ELNS1_3repE0EEENS1_44radix_sort_block_sort_config_static_selectorELNS0_4arch9wavefront6targetE0EEEvSF_.kd
    .uniform_work_group_size: 1
    .uses_dynamic_stack: false
    .vgpr_count:     0
    .vgpr_spill_count: 0
    .wavefront_size: 32
  - .args:
      - .offset:         0
        .size:           48
        .value_kind:     by_value
    .group_segment_fixed_size: 0
    .kernarg_segment_align: 8
    .kernarg_segment_size: 48
    .language:       OpenCL C
    .language_version:
      - 2
      - 0
    .max_flat_workgroup_size: 256
    .name:           _ZN7rocprim17ROCPRIM_400000_NS6detail17trampoline_kernelINS0_13kernel_configILj256ELj4ELj4294967295EEENS1_37radix_sort_block_sort_config_selectorIiNS0_10empty_typeEEEZNS1_21radix_sort_block_sortIS4_Lb0EPKiPiPS6_SC_NS0_19identity_decomposerEEE10hipError_tT1_T2_T3_T4_jRjT5_jjP12ihipStream_tbEUlT_E_NS1_11comp_targetILNS1_3genE9ELNS1_11target_archE1100ELNS1_3gpuE3ELNS1_3repE0EEENS1_44radix_sort_block_sort_config_static_selectorELNS0_4arch9wavefront6targetE0EEEvSF_
    .private_segment_fixed_size: 0
    .sgpr_count:     0
    .sgpr_spill_count: 0
    .symbol:         _ZN7rocprim17ROCPRIM_400000_NS6detail17trampoline_kernelINS0_13kernel_configILj256ELj4ELj4294967295EEENS1_37radix_sort_block_sort_config_selectorIiNS0_10empty_typeEEEZNS1_21radix_sort_block_sortIS4_Lb0EPKiPiPS6_SC_NS0_19identity_decomposerEEE10hipError_tT1_T2_T3_T4_jRjT5_jjP12ihipStream_tbEUlT_E_NS1_11comp_targetILNS1_3genE9ELNS1_11target_archE1100ELNS1_3gpuE3ELNS1_3repE0EEENS1_44radix_sort_block_sort_config_static_selectorELNS0_4arch9wavefront6targetE0EEEvSF_.kd
    .uniform_work_group_size: 1
    .uses_dynamic_stack: false
    .vgpr_count:     0
    .vgpr_spill_count: 0
    .wavefront_size: 32
  - .args:
      - .offset:         0
        .size:           48
        .value_kind:     by_value
    .group_segment_fixed_size: 0
    .kernarg_segment_align: 8
    .kernarg_segment_size: 48
    .language:       OpenCL C
    .language_version:
      - 2
      - 0
    .max_flat_workgroup_size: 256
    .name:           _ZN7rocprim17ROCPRIM_400000_NS6detail17trampoline_kernelINS0_13kernel_configILj256ELj4ELj4294967295EEENS1_37radix_sort_block_sort_config_selectorIiNS0_10empty_typeEEEZNS1_21radix_sort_block_sortIS4_Lb0EPKiPiPS6_SC_NS0_19identity_decomposerEEE10hipError_tT1_T2_T3_T4_jRjT5_jjP12ihipStream_tbEUlT_E_NS1_11comp_targetILNS1_3genE8ELNS1_11target_archE1030ELNS1_3gpuE2ELNS1_3repE0EEENS1_44radix_sort_block_sort_config_static_selectorELNS0_4arch9wavefront6targetE0EEEvSF_
    .private_segment_fixed_size: 0
    .sgpr_count:     0
    .sgpr_spill_count: 0
    .symbol:         _ZN7rocprim17ROCPRIM_400000_NS6detail17trampoline_kernelINS0_13kernel_configILj256ELj4ELj4294967295EEENS1_37radix_sort_block_sort_config_selectorIiNS0_10empty_typeEEEZNS1_21radix_sort_block_sortIS4_Lb0EPKiPiPS6_SC_NS0_19identity_decomposerEEE10hipError_tT1_T2_T3_T4_jRjT5_jjP12ihipStream_tbEUlT_E_NS1_11comp_targetILNS1_3genE8ELNS1_11target_archE1030ELNS1_3gpuE2ELNS1_3repE0EEENS1_44radix_sort_block_sort_config_static_selectorELNS0_4arch9wavefront6targetE0EEEvSF_.kd
    .uniform_work_group_size: 1
    .uses_dynamic_stack: false
    .vgpr_count:     0
    .vgpr_spill_count: 0
    .wavefront_size: 32
  - .args:
      - .offset:         0
        .size:           40
        .value_kind:     by_value
    .group_segment_fixed_size: 0
    .kernarg_segment_align: 8
    .kernarg_segment_size: 40
    .language:       OpenCL C
    .language_version:
      - 2
      - 0
    .max_flat_workgroup_size: 128
    .name:           _ZN7rocprim17ROCPRIM_400000_NS6detail17trampoline_kernelINS0_14default_configENS1_38merge_sort_block_merge_config_selectorIiNS0_10empty_typeEEEZZNS1_27merge_sort_block_merge_implIS3_PiPS5_jNS1_19radix_merge_compareILb0ELb0EiNS0_19identity_decomposerEEEEE10hipError_tT0_T1_T2_jT3_P12ihipStream_tbPNSt15iterator_traitsISE_E10value_typeEPNSK_ISF_E10value_typeEPSG_NS1_7vsmem_tEENKUlT_SE_SF_SG_E_clIS8_S8_S9_S9_EESD_ST_SE_SF_SG_EUlST_E_NS1_11comp_targetILNS1_3genE0ELNS1_11target_archE4294967295ELNS1_3gpuE0ELNS1_3repE0EEENS1_48merge_mergepath_partition_config_static_selectorELNS0_4arch9wavefront6targetE0EEEvSF_
    .private_segment_fixed_size: 0
    .sgpr_count:     8
    .sgpr_spill_count: 0
    .symbol:         _ZN7rocprim17ROCPRIM_400000_NS6detail17trampoline_kernelINS0_14default_configENS1_38merge_sort_block_merge_config_selectorIiNS0_10empty_typeEEEZZNS1_27merge_sort_block_merge_implIS3_PiPS5_jNS1_19radix_merge_compareILb0ELb0EiNS0_19identity_decomposerEEEEE10hipError_tT0_T1_T2_jT3_P12ihipStream_tbPNSt15iterator_traitsISE_E10value_typeEPNSK_ISF_E10value_typeEPSG_NS1_7vsmem_tEENKUlT_SE_SF_SG_E_clIS8_S8_S9_S9_EESD_ST_SE_SF_SG_EUlST_E_NS1_11comp_targetILNS1_3genE0ELNS1_11target_archE4294967295ELNS1_3gpuE0ELNS1_3repE0EEENS1_48merge_mergepath_partition_config_static_selectorELNS0_4arch9wavefront6targetE0EEEvSF_.kd
    .uniform_work_group_size: 1
    .uses_dynamic_stack: false
    .vgpr_count:     17
    .vgpr_spill_count: 0
    .wavefront_size: 32
  - .args:
      - .offset:         0
        .size:           40
        .value_kind:     by_value
    .group_segment_fixed_size: 0
    .kernarg_segment_align: 8
    .kernarg_segment_size: 40
    .language:       OpenCL C
    .language_version:
      - 2
      - 0
    .max_flat_workgroup_size: 128
    .name:           _ZN7rocprim17ROCPRIM_400000_NS6detail17trampoline_kernelINS0_14default_configENS1_38merge_sort_block_merge_config_selectorIiNS0_10empty_typeEEEZZNS1_27merge_sort_block_merge_implIS3_PiPS5_jNS1_19radix_merge_compareILb0ELb0EiNS0_19identity_decomposerEEEEE10hipError_tT0_T1_T2_jT3_P12ihipStream_tbPNSt15iterator_traitsISE_E10value_typeEPNSK_ISF_E10value_typeEPSG_NS1_7vsmem_tEENKUlT_SE_SF_SG_E_clIS8_S8_S9_S9_EESD_ST_SE_SF_SG_EUlST_E_NS1_11comp_targetILNS1_3genE10ELNS1_11target_archE1201ELNS1_3gpuE5ELNS1_3repE0EEENS1_48merge_mergepath_partition_config_static_selectorELNS0_4arch9wavefront6targetE0EEEvSF_
    .private_segment_fixed_size: 0
    .sgpr_count:     0
    .sgpr_spill_count: 0
    .symbol:         _ZN7rocprim17ROCPRIM_400000_NS6detail17trampoline_kernelINS0_14default_configENS1_38merge_sort_block_merge_config_selectorIiNS0_10empty_typeEEEZZNS1_27merge_sort_block_merge_implIS3_PiPS5_jNS1_19radix_merge_compareILb0ELb0EiNS0_19identity_decomposerEEEEE10hipError_tT0_T1_T2_jT3_P12ihipStream_tbPNSt15iterator_traitsISE_E10value_typeEPNSK_ISF_E10value_typeEPSG_NS1_7vsmem_tEENKUlT_SE_SF_SG_E_clIS8_S8_S9_S9_EESD_ST_SE_SF_SG_EUlST_E_NS1_11comp_targetILNS1_3genE10ELNS1_11target_archE1201ELNS1_3gpuE5ELNS1_3repE0EEENS1_48merge_mergepath_partition_config_static_selectorELNS0_4arch9wavefront6targetE0EEEvSF_.kd
    .uniform_work_group_size: 1
    .uses_dynamic_stack: false
    .vgpr_count:     0
    .vgpr_spill_count: 0
    .wavefront_size: 32
  - .args:
      - .offset:         0
        .size:           40
        .value_kind:     by_value
    .group_segment_fixed_size: 0
    .kernarg_segment_align: 8
    .kernarg_segment_size: 40
    .language:       OpenCL C
    .language_version:
      - 2
      - 0
    .max_flat_workgroup_size: 128
    .name:           _ZN7rocprim17ROCPRIM_400000_NS6detail17trampoline_kernelINS0_14default_configENS1_38merge_sort_block_merge_config_selectorIiNS0_10empty_typeEEEZZNS1_27merge_sort_block_merge_implIS3_PiPS5_jNS1_19radix_merge_compareILb0ELb0EiNS0_19identity_decomposerEEEEE10hipError_tT0_T1_T2_jT3_P12ihipStream_tbPNSt15iterator_traitsISE_E10value_typeEPNSK_ISF_E10value_typeEPSG_NS1_7vsmem_tEENKUlT_SE_SF_SG_E_clIS8_S8_S9_S9_EESD_ST_SE_SF_SG_EUlST_E_NS1_11comp_targetILNS1_3genE5ELNS1_11target_archE942ELNS1_3gpuE9ELNS1_3repE0EEENS1_48merge_mergepath_partition_config_static_selectorELNS0_4arch9wavefront6targetE0EEEvSF_
    .private_segment_fixed_size: 0
    .sgpr_count:     0
    .sgpr_spill_count: 0
    .symbol:         _ZN7rocprim17ROCPRIM_400000_NS6detail17trampoline_kernelINS0_14default_configENS1_38merge_sort_block_merge_config_selectorIiNS0_10empty_typeEEEZZNS1_27merge_sort_block_merge_implIS3_PiPS5_jNS1_19radix_merge_compareILb0ELb0EiNS0_19identity_decomposerEEEEE10hipError_tT0_T1_T2_jT3_P12ihipStream_tbPNSt15iterator_traitsISE_E10value_typeEPNSK_ISF_E10value_typeEPSG_NS1_7vsmem_tEENKUlT_SE_SF_SG_E_clIS8_S8_S9_S9_EESD_ST_SE_SF_SG_EUlST_E_NS1_11comp_targetILNS1_3genE5ELNS1_11target_archE942ELNS1_3gpuE9ELNS1_3repE0EEENS1_48merge_mergepath_partition_config_static_selectorELNS0_4arch9wavefront6targetE0EEEvSF_.kd
    .uniform_work_group_size: 1
    .uses_dynamic_stack: false
    .vgpr_count:     0
    .vgpr_spill_count: 0
    .wavefront_size: 32
  - .args:
      - .offset:         0
        .size:           40
        .value_kind:     by_value
    .group_segment_fixed_size: 0
    .kernarg_segment_align: 8
    .kernarg_segment_size: 40
    .language:       OpenCL C
    .language_version:
      - 2
      - 0
    .max_flat_workgroup_size: 128
    .name:           _ZN7rocprim17ROCPRIM_400000_NS6detail17trampoline_kernelINS0_14default_configENS1_38merge_sort_block_merge_config_selectorIiNS0_10empty_typeEEEZZNS1_27merge_sort_block_merge_implIS3_PiPS5_jNS1_19radix_merge_compareILb0ELb0EiNS0_19identity_decomposerEEEEE10hipError_tT0_T1_T2_jT3_P12ihipStream_tbPNSt15iterator_traitsISE_E10value_typeEPNSK_ISF_E10value_typeEPSG_NS1_7vsmem_tEENKUlT_SE_SF_SG_E_clIS8_S8_S9_S9_EESD_ST_SE_SF_SG_EUlST_E_NS1_11comp_targetILNS1_3genE4ELNS1_11target_archE910ELNS1_3gpuE8ELNS1_3repE0EEENS1_48merge_mergepath_partition_config_static_selectorELNS0_4arch9wavefront6targetE0EEEvSF_
    .private_segment_fixed_size: 0
    .sgpr_count:     0
    .sgpr_spill_count: 0
    .symbol:         _ZN7rocprim17ROCPRIM_400000_NS6detail17trampoline_kernelINS0_14default_configENS1_38merge_sort_block_merge_config_selectorIiNS0_10empty_typeEEEZZNS1_27merge_sort_block_merge_implIS3_PiPS5_jNS1_19radix_merge_compareILb0ELb0EiNS0_19identity_decomposerEEEEE10hipError_tT0_T1_T2_jT3_P12ihipStream_tbPNSt15iterator_traitsISE_E10value_typeEPNSK_ISF_E10value_typeEPSG_NS1_7vsmem_tEENKUlT_SE_SF_SG_E_clIS8_S8_S9_S9_EESD_ST_SE_SF_SG_EUlST_E_NS1_11comp_targetILNS1_3genE4ELNS1_11target_archE910ELNS1_3gpuE8ELNS1_3repE0EEENS1_48merge_mergepath_partition_config_static_selectorELNS0_4arch9wavefront6targetE0EEEvSF_.kd
    .uniform_work_group_size: 1
    .uses_dynamic_stack: false
    .vgpr_count:     0
    .vgpr_spill_count: 0
    .wavefront_size: 32
  - .args:
      - .offset:         0
        .size:           40
        .value_kind:     by_value
    .group_segment_fixed_size: 0
    .kernarg_segment_align: 8
    .kernarg_segment_size: 40
    .language:       OpenCL C
    .language_version:
      - 2
      - 0
    .max_flat_workgroup_size: 128
    .name:           _ZN7rocprim17ROCPRIM_400000_NS6detail17trampoline_kernelINS0_14default_configENS1_38merge_sort_block_merge_config_selectorIiNS0_10empty_typeEEEZZNS1_27merge_sort_block_merge_implIS3_PiPS5_jNS1_19radix_merge_compareILb0ELb0EiNS0_19identity_decomposerEEEEE10hipError_tT0_T1_T2_jT3_P12ihipStream_tbPNSt15iterator_traitsISE_E10value_typeEPNSK_ISF_E10value_typeEPSG_NS1_7vsmem_tEENKUlT_SE_SF_SG_E_clIS8_S8_S9_S9_EESD_ST_SE_SF_SG_EUlST_E_NS1_11comp_targetILNS1_3genE3ELNS1_11target_archE908ELNS1_3gpuE7ELNS1_3repE0EEENS1_48merge_mergepath_partition_config_static_selectorELNS0_4arch9wavefront6targetE0EEEvSF_
    .private_segment_fixed_size: 0
    .sgpr_count:     0
    .sgpr_spill_count: 0
    .symbol:         _ZN7rocprim17ROCPRIM_400000_NS6detail17trampoline_kernelINS0_14default_configENS1_38merge_sort_block_merge_config_selectorIiNS0_10empty_typeEEEZZNS1_27merge_sort_block_merge_implIS3_PiPS5_jNS1_19radix_merge_compareILb0ELb0EiNS0_19identity_decomposerEEEEE10hipError_tT0_T1_T2_jT3_P12ihipStream_tbPNSt15iterator_traitsISE_E10value_typeEPNSK_ISF_E10value_typeEPSG_NS1_7vsmem_tEENKUlT_SE_SF_SG_E_clIS8_S8_S9_S9_EESD_ST_SE_SF_SG_EUlST_E_NS1_11comp_targetILNS1_3genE3ELNS1_11target_archE908ELNS1_3gpuE7ELNS1_3repE0EEENS1_48merge_mergepath_partition_config_static_selectorELNS0_4arch9wavefront6targetE0EEEvSF_.kd
    .uniform_work_group_size: 1
    .uses_dynamic_stack: false
    .vgpr_count:     0
    .vgpr_spill_count: 0
    .wavefront_size: 32
  - .args:
      - .offset:         0
        .size:           40
        .value_kind:     by_value
    .group_segment_fixed_size: 0
    .kernarg_segment_align: 8
    .kernarg_segment_size: 40
    .language:       OpenCL C
    .language_version:
      - 2
      - 0
    .max_flat_workgroup_size: 128
    .name:           _ZN7rocprim17ROCPRIM_400000_NS6detail17trampoline_kernelINS0_14default_configENS1_38merge_sort_block_merge_config_selectorIiNS0_10empty_typeEEEZZNS1_27merge_sort_block_merge_implIS3_PiPS5_jNS1_19radix_merge_compareILb0ELb0EiNS0_19identity_decomposerEEEEE10hipError_tT0_T1_T2_jT3_P12ihipStream_tbPNSt15iterator_traitsISE_E10value_typeEPNSK_ISF_E10value_typeEPSG_NS1_7vsmem_tEENKUlT_SE_SF_SG_E_clIS8_S8_S9_S9_EESD_ST_SE_SF_SG_EUlST_E_NS1_11comp_targetILNS1_3genE2ELNS1_11target_archE906ELNS1_3gpuE6ELNS1_3repE0EEENS1_48merge_mergepath_partition_config_static_selectorELNS0_4arch9wavefront6targetE0EEEvSF_
    .private_segment_fixed_size: 0
    .sgpr_count:     0
    .sgpr_spill_count: 0
    .symbol:         _ZN7rocprim17ROCPRIM_400000_NS6detail17trampoline_kernelINS0_14default_configENS1_38merge_sort_block_merge_config_selectorIiNS0_10empty_typeEEEZZNS1_27merge_sort_block_merge_implIS3_PiPS5_jNS1_19radix_merge_compareILb0ELb0EiNS0_19identity_decomposerEEEEE10hipError_tT0_T1_T2_jT3_P12ihipStream_tbPNSt15iterator_traitsISE_E10value_typeEPNSK_ISF_E10value_typeEPSG_NS1_7vsmem_tEENKUlT_SE_SF_SG_E_clIS8_S8_S9_S9_EESD_ST_SE_SF_SG_EUlST_E_NS1_11comp_targetILNS1_3genE2ELNS1_11target_archE906ELNS1_3gpuE6ELNS1_3repE0EEENS1_48merge_mergepath_partition_config_static_selectorELNS0_4arch9wavefront6targetE0EEEvSF_.kd
    .uniform_work_group_size: 1
    .uses_dynamic_stack: false
    .vgpr_count:     0
    .vgpr_spill_count: 0
    .wavefront_size: 32
  - .args:
      - .offset:         0
        .size:           40
        .value_kind:     by_value
    .group_segment_fixed_size: 0
    .kernarg_segment_align: 8
    .kernarg_segment_size: 40
    .language:       OpenCL C
    .language_version:
      - 2
      - 0
    .max_flat_workgroup_size: 128
    .name:           _ZN7rocprim17ROCPRIM_400000_NS6detail17trampoline_kernelINS0_14default_configENS1_38merge_sort_block_merge_config_selectorIiNS0_10empty_typeEEEZZNS1_27merge_sort_block_merge_implIS3_PiPS5_jNS1_19radix_merge_compareILb0ELb0EiNS0_19identity_decomposerEEEEE10hipError_tT0_T1_T2_jT3_P12ihipStream_tbPNSt15iterator_traitsISE_E10value_typeEPNSK_ISF_E10value_typeEPSG_NS1_7vsmem_tEENKUlT_SE_SF_SG_E_clIS8_S8_S9_S9_EESD_ST_SE_SF_SG_EUlST_E_NS1_11comp_targetILNS1_3genE9ELNS1_11target_archE1100ELNS1_3gpuE3ELNS1_3repE0EEENS1_48merge_mergepath_partition_config_static_selectorELNS0_4arch9wavefront6targetE0EEEvSF_
    .private_segment_fixed_size: 0
    .sgpr_count:     0
    .sgpr_spill_count: 0
    .symbol:         _ZN7rocprim17ROCPRIM_400000_NS6detail17trampoline_kernelINS0_14default_configENS1_38merge_sort_block_merge_config_selectorIiNS0_10empty_typeEEEZZNS1_27merge_sort_block_merge_implIS3_PiPS5_jNS1_19radix_merge_compareILb0ELb0EiNS0_19identity_decomposerEEEEE10hipError_tT0_T1_T2_jT3_P12ihipStream_tbPNSt15iterator_traitsISE_E10value_typeEPNSK_ISF_E10value_typeEPSG_NS1_7vsmem_tEENKUlT_SE_SF_SG_E_clIS8_S8_S9_S9_EESD_ST_SE_SF_SG_EUlST_E_NS1_11comp_targetILNS1_3genE9ELNS1_11target_archE1100ELNS1_3gpuE3ELNS1_3repE0EEENS1_48merge_mergepath_partition_config_static_selectorELNS0_4arch9wavefront6targetE0EEEvSF_.kd
    .uniform_work_group_size: 1
    .uses_dynamic_stack: false
    .vgpr_count:     0
    .vgpr_spill_count: 0
    .wavefront_size: 32
  - .args:
      - .offset:         0
        .size:           40
        .value_kind:     by_value
    .group_segment_fixed_size: 0
    .kernarg_segment_align: 8
    .kernarg_segment_size: 40
    .language:       OpenCL C
    .language_version:
      - 2
      - 0
    .max_flat_workgroup_size: 128
    .name:           _ZN7rocprim17ROCPRIM_400000_NS6detail17trampoline_kernelINS0_14default_configENS1_38merge_sort_block_merge_config_selectorIiNS0_10empty_typeEEEZZNS1_27merge_sort_block_merge_implIS3_PiPS5_jNS1_19radix_merge_compareILb0ELb0EiNS0_19identity_decomposerEEEEE10hipError_tT0_T1_T2_jT3_P12ihipStream_tbPNSt15iterator_traitsISE_E10value_typeEPNSK_ISF_E10value_typeEPSG_NS1_7vsmem_tEENKUlT_SE_SF_SG_E_clIS8_S8_S9_S9_EESD_ST_SE_SF_SG_EUlST_E_NS1_11comp_targetILNS1_3genE8ELNS1_11target_archE1030ELNS1_3gpuE2ELNS1_3repE0EEENS1_48merge_mergepath_partition_config_static_selectorELNS0_4arch9wavefront6targetE0EEEvSF_
    .private_segment_fixed_size: 0
    .sgpr_count:     0
    .sgpr_spill_count: 0
    .symbol:         _ZN7rocprim17ROCPRIM_400000_NS6detail17trampoline_kernelINS0_14default_configENS1_38merge_sort_block_merge_config_selectorIiNS0_10empty_typeEEEZZNS1_27merge_sort_block_merge_implIS3_PiPS5_jNS1_19radix_merge_compareILb0ELb0EiNS0_19identity_decomposerEEEEE10hipError_tT0_T1_T2_jT3_P12ihipStream_tbPNSt15iterator_traitsISE_E10value_typeEPNSK_ISF_E10value_typeEPSG_NS1_7vsmem_tEENKUlT_SE_SF_SG_E_clIS8_S8_S9_S9_EESD_ST_SE_SF_SG_EUlST_E_NS1_11comp_targetILNS1_3genE8ELNS1_11target_archE1030ELNS1_3gpuE2ELNS1_3repE0EEENS1_48merge_mergepath_partition_config_static_selectorELNS0_4arch9wavefront6targetE0EEEvSF_.kd
    .uniform_work_group_size: 1
    .uses_dynamic_stack: false
    .vgpr_count:     0
    .vgpr_spill_count: 0
    .wavefront_size: 32
  - .args:
      - .offset:         0
        .size:           64
        .value_kind:     by_value
      - .offset:         64
        .size:           4
        .value_kind:     hidden_block_count_x
      - .offset:         68
        .size:           4
        .value_kind:     hidden_block_count_y
      - .offset:         72
        .size:           4
        .value_kind:     hidden_block_count_z
      - .offset:         76
        .size:           2
        .value_kind:     hidden_group_size_x
      - .offset:         78
        .size:           2
        .value_kind:     hidden_group_size_y
      - .offset:         80
        .size:           2
        .value_kind:     hidden_group_size_z
      - .offset:         82
        .size:           2
        .value_kind:     hidden_remainder_x
      - .offset:         84
        .size:           2
        .value_kind:     hidden_remainder_y
      - .offset:         86
        .size:           2
        .value_kind:     hidden_remainder_z
      - .offset:         104
        .size:           8
        .value_kind:     hidden_global_offset_x
      - .offset:         112
        .size:           8
        .value_kind:     hidden_global_offset_y
      - .offset:         120
        .size:           8
        .value_kind:     hidden_global_offset_z
      - .offset:         128
        .size:           2
        .value_kind:     hidden_grid_dims
    .group_segment_fixed_size: 4224
    .kernarg_segment_align: 8
    .kernarg_segment_size: 320
    .language:       OpenCL C
    .language_version:
      - 2
      - 0
    .max_flat_workgroup_size: 128
    .name:           _ZN7rocprim17ROCPRIM_400000_NS6detail17trampoline_kernelINS0_14default_configENS1_38merge_sort_block_merge_config_selectorIiNS0_10empty_typeEEEZZNS1_27merge_sort_block_merge_implIS3_PiPS5_jNS1_19radix_merge_compareILb0ELb0EiNS0_19identity_decomposerEEEEE10hipError_tT0_T1_T2_jT3_P12ihipStream_tbPNSt15iterator_traitsISE_E10value_typeEPNSK_ISF_E10value_typeEPSG_NS1_7vsmem_tEENKUlT_SE_SF_SG_E_clIS8_S8_S9_S9_EESD_ST_SE_SF_SG_EUlST_E0_NS1_11comp_targetILNS1_3genE0ELNS1_11target_archE4294967295ELNS1_3gpuE0ELNS1_3repE0EEENS1_38merge_mergepath_config_static_selectorELNS0_4arch9wavefront6targetE0EEEvSF_
    .private_segment_fixed_size: 0
    .sgpr_count:     25
    .sgpr_spill_count: 0
    .symbol:         _ZN7rocprim17ROCPRIM_400000_NS6detail17trampoline_kernelINS0_14default_configENS1_38merge_sort_block_merge_config_selectorIiNS0_10empty_typeEEEZZNS1_27merge_sort_block_merge_implIS3_PiPS5_jNS1_19radix_merge_compareILb0ELb0EiNS0_19identity_decomposerEEEEE10hipError_tT0_T1_T2_jT3_P12ihipStream_tbPNSt15iterator_traitsISE_E10value_typeEPNSK_ISF_E10value_typeEPSG_NS1_7vsmem_tEENKUlT_SE_SF_SG_E_clIS8_S8_S9_S9_EESD_ST_SE_SF_SG_EUlST_E0_NS1_11comp_targetILNS1_3genE0ELNS1_11target_archE4294967295ELNS1_3gpuE0ELNS1_3repE0EEENS1_38merge_mergepath_config_static_selectorELNS0_4arch9wavefront6targetE0EEEvSF_.kd
    .uniform_work_group_size: 1
    .uses_dynamic_stack: false
    .vgpr_count:     32
    .vgpr_spill_count: 0
    .wavefront_size: 32
  - .args:
      - .offset:         0
        .size:           64
        .value_kind:     by_value
    .group_segment_fixed_size: 0
    .kernarg_segment_align: 8
    .kernarg_segment_size: 64
    .language:       OpenCL C
    .language_version:
      - 2
      - 0
    .max_flat_workgroup_size: 256
    .name:           _ZN7rocprim17ROCPRIM_400000_NS6detail17trampoline_kernelINS0_14default_configENS1_38merge_sort_block_merge_config_selectorIiNS0_10empty_typeEEEZZNS1_27merge_sort_block_merge_implIS3_PiPS5_jNS1_19radix_merge_compareILb0ELb0EiNS0_19identity_decomposerEEEEE10hipError_tT0_T1_T2_jT3_P12ihipStream_tbPNSt15iterator_traitsISE_E10value_typeEPNSK_ISF_E10value_typeEPSG_NS1_7vsmem_tEENKUlT_SE_SF_SG_E_clIS8_S8_S9_S9_EESD_ST_SE_SF_SG_EUlST_E0_NS1_11comp_targetILNS1_3genE10ELNS1_11target_archE1201ELNS1_3gpuE5ELNS1_3repE0EEENS1_38merge_mergepath_config_static_selectorELNS0_4arch9wavefront6targetE0EEEvSF_
    .private_segment_fixed_size: 0
    .sgpr_count:     0
    .sgpr_spill_count: 0
    .symbol:         _ZN7rocprim17ROCPRIM_400000_NS6detail17trampoline_kernelINS0_14default_configENS1_38merge_sort_block_merge_config_selectorIiNS0_10empty_typeEEEZZNS1_27merge_sort_block_merge_implIS3_PiPS5_jNS1_19radix_merge_compareILb0ELb0EiNS0_19identity_decomposerEEEEE10hipError_tT0_T1_T2_jT3_P12ihipStream_tbPNSt15iterator_traitsISE_E10value_typeEPNSK_ISF_E10value_typeEPSG_NS1_7vsmem_tEENKUlT_SE_SF_SG_E_clIS8_S8_S9_S9_EESD_ST_SE_SF_SG_EUlST_E0_NS1_11comp_targetILNS1_3genE10ELNS1_11target_archE1201ELNS1_3gpuE5ELNS1_3repE0EEENS1_38merge_mergepath_config_static_selectorELNS0_4arch9wavefront6targetE0EEEvSF_.kd
    .uniform_work_group_size: 1
    .uses_dynamic_stack: false
    .vgpr_count:     0
    .vgpr_spill_count: 0
    .wavefront_size: 32
  - .args:
      - .offset:         0
        .size:           64
        .value_kind:     by_value
    .group_segment_fixed_size: 0
    .kernarg_segment_align: 8
    .kernarg_segment_size: 64
    .language:       OpenCL C
    .language_version:
      - 2
      - 0
    .max_flat_workgroup_size: 128
    .name:           _ZN7rocprim17ROCPRIM_400000_NS6detail17trampoline_kernelINS0_14default_configENS1_38merge_sort_block_merge_config_selectorIiNS0_10empty_typeEEEZZNS1_27merge_sort_block_merge_implIS3_PiPS5_jNS1_19radix_merge_compareILb0ELb0EiNS0_19identity_decomposerEEEEE10hipError_tT0_T1_T2_jT3_P12ihipStream_tbPNSt15iterator_traitsISE_E10value_typeEPNSK_ISF_E10value_typeEPSG_NS1_7vsmem_tEENKUlT_SE_SF_SG_E_clIS8_S8_S9_S9_EESD_ST_SE_SF_SG_EUlST_E0_NS1_11comp_targetILNS1_3genE5ELNS1_11target_archE942ELNS1_3gpuE9ELNS1_3repE0EEENS1_38merge_mergepath_config_static_selectorELNS0_4arch9wavefront6targetE0EEEvSF_
    .private_segment_fixed_size: 0
    .sgpr_count:     0
    .sgpr_spill_count: 0
    .symbol:         _ZN7rocprim17ROCPRIM_400000_NS6detail17trampoline_kernelINS0_14default_configENS1_38merge_sort_block_merge_config_selectorIiNS0_10empty_typeEEEZZNS1_27merge_sort_block_merge_implIS3_PiPS5_jNS1_19radix_merge_compareILb0ELb0EiNS0_19identity_decomposerEEEEE10hipError_tT0_T1_T2_jT3_P12ihipStream_tbPNSt15iterator_traitsISE_E10value_typeEPNSK_ISF_E10value_typeEPSG_NS1_7vsmem_tEENKUlT_SE_SF_SG_E_clIS8_S8_S9_S9_EESD_ST_SE_SF_SG_EUlST_E0_NS1_11comp_targetILNS1_3genE5ELNS1_11target_archE942ELNS1_3gpuE9ELNS1_3repE0EEENS1_38merge_mergepath_config_static_selectorELNS0_4arch9wavefront6targetE0EEEvSF_.kd
    .uniform_work_group_size: 1
    .uses_dynamic_stack: false
    .vgpr_count:     0
    .vgpr_spill_count: 0
    .wavefront_size: 32
  - .args:
      - .offset:         0
        .size:           64
        .value_kind:     by_value
    .group_segment_fixed_size: 0
    .kernarg_segment_align: 8
    .kernarg_segment_size: 64
    .language:       OpenCL C
    .language_version:
      - 2
      - 0
    .max_flat_workgroup_size: 128
    .name:           _ZN7rocprim17ROCPRIM_400000_NS6detail17trampoline_kernelINS0_14default_configENS1_38merge_sort_block_merge_config_selectorIiNS0_10empty_typeEEEZZNS1_27merge_sort_block_merge_implIS3_PiPS5_jNS1_19radix_merge_compareILb0ELb0EiNS0_19identity_decomposerEEEEE10hipError_tT0_T1_T2_jT3_P12ihipStream_tbPNSt15iterator_traitsISE_E10value_typeEPNSK_ISF_E10value_typeEPSG_NS1_7vsmem_tEENKUlT_SE_SF_SG_E_clIS8_S8_S9_S9_EESD_ST_SE_SF_SG_EUlST_E0_NS1_11comp_targetILNS1_3genE4ELNS1_11target_archE910ELNS1_3gpuE8ELNS1_3repE0EEENS1_38merge_mergepath_config_static_selectorELNS0_4arch9wavefront6targetE0EEEvSF_
    .private_segment_fixed_size: 0
    .sgpr_count:     0
    .sgpr_spill_count: 0
    .symbol:         _ZN7rocprim17ROCPRIM_400000_NS6detail17trampoline_kernelINS0_14default_configENS1_38merge_sort_block_merge_config_selectorIiNS0_10empty_typeEEEZZNS1_27merge_sort_block_merge_implIS3_PiPS5_jNS1_19radix_merge_compareILb0ELb0EiNS0_19identity_decomposerEEEEE10hipError_tT0_T1_T2_jT3_P12ihipStream_tbPNSt15iterator_traitsISE_E10value_typeEPNSK_ISF_E10value_typeEPSG_NS1_7vsmem_tEENKUlT_SE_SF_SG_E_clIS8_S8_S9_S9_EESD_ST_SE_SF_SG_EUlST_E0_NS1_11comp_targetILNS1_3genE4ELNS1_11target_archE910ELNS1_3gpuE8ELNS1_3repE0EEENS1_38merge_mergepath_config_static_selectorELNS0_4arch9wavefront6targetE0EEEvSF_.kd
    .uniform_work_group_size: 1
    .uses_dynamic_stack: false
    .vgpr_count:     0
    .vgpr_spill_count: 0
    .wavefront_size: 32
  - .args:
      - .offset:         0
        .size:           64
        .value_kind:     by_value
    .group_segment_fixed_size: 0
    .kernarg_segment_align: 8
    .kernarg_segment_size: 64
    .language:       OpenCL C
    .language_version:
      - 2
      - 0
    .max_flat_workgroup_size: 128
    .name:           _ZN7rocprim17ROCPRIM_400000_NS6detail17trampoline_kernelINS0_14default_configENS1_38merge_sort_block_merge_config_selectorIiNS0_10empty_typeEEEZZNS1_27merge_sort_block_merge_implIS3_PiPS5_jNS1_19radix_merge_compareILb0ELb0EiNS0_19identity_decomposerEEEEE10hipError_tT0_T1_T2_jT3_P12ihipStream_tbPNSt15iterator_traitsISE_E10value_typeEPNSK_ISF_E10value_typeEPSG_NS1_7vsmem_tEENKUlT_SE_SF_SG_E_clIS8_S8_S9_S9_EESD_ST_SE_SF_SG_EUlST_E0_NS1_11comp_targetILNS1_3genE3ELNS1_11target_archE908ELNS1_3gpuE7ELNS1_3repE0EEENS1_38merge_mergepath_config_static_selectorELNS0_4arch9wavefront6targetE0EEEvSF_
    .private_segment_fixed_size: 0
    .sgpr_count:     0
    .sgpr_spill_count: 0
    .symbol:         _ZN7rocprim17ROCPRIM_400000_NS6detail17trampoline_kernelINS0_14default_configENS1_38merge_sort_block_merge_config_selectorIiNS0_10empty_typeEEEZZNS1_27merge_sort_block_merge_implIS3_PiPS5_jNS1_19radix_merge_compareILb0ELb0EiNS0_19identity_decomposerEEEEE10hipError_tT0_T1_T2_jT3_P12ihipStream_tbPNSt15iterator_traitsISE_E10value_typeEPNSK_ISF_E10value_typeEPSG_NS1_7vsmem_tEENKUlT_SE_SF_SG_E_clIS8_S8_S9_S9_EESD_ST_SE_SF_SG_EUlST_E0_NS1_11comp_targetILNS1_3genE3ELNS1_11target_archE908ELNS1_3gpuE7ELNS1_3repE0EEENS1_38merge_mergepath_config_static_selectorELNS0_4arch9wavefront6targetE0EEEvSF_.kd
    .uniform_work_group_size: 1
    .uses_dynamic_stack: false
    .vgpr_count:     0
    .vgpr_spill_count: 0
    .wavefront_size: 32
  - .args:
      - .offset:         0
        .size:           64
        .value_kind:     by_value
    .group_segment_fixed_size: 0
    .kernarg_segment_align: 8
    .kernarg_segment_size: 64
    .language:       OpenCL C
    .language_version:
      - 2
      - 0
    .max_flat_workgroup_size: 128
    .name:           _ZN7rocprim17ROCPRIM_400000_NS6detail17trampoline_kernelINS0_14default_configENS1_38merge_sort_block_merge_config_selectorIiNS0_10empty_typeEEEZZNS1_27merge_sort_block_merge_implIS3_PiPS5_jNS1_19radix_merge_compareILb0ELb0EiNS0_19identity_decomposerEEEEE10hipError_tT0_T1_T2_jT3_P12ihipStream_tbPNSt15iterator_traitsISE_E10value_typeEPNSK_ISF_E10value_typeEPSG_NS1_7vsmem_tEENKUlT_SE_SF_SG_E_clIS8_S8_S9_S9_EESD_ST_SE_SF_SG_EUlST_E0_NS1_11comp_targetILNS1_3genE2ELNS1_11target_archE906ELNS1_3gpuE6ELNS1_3repE0EEENS1_38merge_mergepath_config_static_selectorELNS0_4arch9wavefront6targetE0EEEvSF_
    .private_segment_fixed_size: 0
    .sgpr_count:     0
    .sgpr_spill_count: 0
    .symbol:         _ZN7rocprim17ROCPRIM_400000_NS6detail17trampoline_kernelINS0_14default_configENS1_38merge_sort_block_merge_config_selectorIiNS0_10empty_typeEEEZZNS1_27merge_sort_block_merge_implIS3_PiPS5_jNS1_19radix_merge_compareILb0ELb0EiNS0_19identity_decomposerEEEEE10hipError_tT0_T1_T2_jT3_P12ihipStream_tbPNSt15iterator_traitsISE_E10value_typeEPNSK_ISF_E10value_typeEPSG_NS1_7vsmem_tEENKUlT_SE_SF_SG_E_clIS8_S8_S9_S9_EESD_ST_SE_SF_SG_EUlST_E0_NS1_11comp_targetILNS1_3genE2ELNS1_11target_archE906ELNS1_3gpuE6ELNS1_3repE0EEENS1_38merge_mergepath_config_static_selectorELNS0_4arch9wavefront6targetE0EEEvSF_.kd
    .uniform_work_group_size: 1
    .uses_dynamic_stack: false
    .vgpr_count:     0
    .vgpr_spill_count: 0
    .wavefront_size: 32
  - .args:
      - .offset:         0
        .size:           64
        .value_kind:     by_value
    .group_segment_fixed_size: 0
    .kernarg_segment_align: 8
    .kernarg_segment_size: 64
    .language:       OpenCL C
    .language_version:
      - 2
      - 0
    .max_flat_workgroup_size: 256
    .name:           _ZN7rocprim17ROCPRIM_400000_NS6detail17trampoline_kernelINS0_14default_configENS1_38merge_sort_block_merge_config_selectorIiNS0_10empty_typeEEEZZNS1_27merge_sort_block_merge_implIS3_PiPS5_jNS1_19radix_merge_compareILb0ELb0EiNS0_19identity_decomposerEEEEE10hipError_tT0_T1_T2_jT3_P12ihipStream_tbPNSt15iterator_traitsISE_E10value_typeEPNSK_ISF_E10value_typeEPSG_NS1_7vsmem_tEENKUlT_SE_SF_SG_E_clIS8_S8_S9_S9_EESD_ST_SE_SF_SG_EUlST_E0_NS1_11comp_targetILNS1_3genE9ELNS1_11target_archE1100ELNS1_3gpuE3ELNS1_3repE0EEENS1_38merge_mergepath_config_static_selectorELNS0_4arch9wavefront6targetE0EEEvSF_
    .private_segment_fixed_size: 0
    .sgpr_count:     0
    .sgpr_spill_count: 0
    .symbol:         _ZN7rocprim17ROCPRIM_400000_NS6detail17trampoline_kernelINS0_14default_configENS1_38merge_sort_block_merge_config_selectorIiNS0_10empty_typeEEEZZNS1_27merge_sort_block_merge_implIS3_PiPS5_jNS1_19radix_merge_compareILb0ELb0EiNS0_19identity_decomposerEEEEE10hipError_tT0_T1_T2_jT3_P12ihipStream_tbPNSt15iterator_traitsISE_E10value_typeEPNSK_ISF_E10value_typeEPSG_NS1_7vsmem_tEENKUlT_SE_SF_SG_E_clIS8_S8_S9_S9_EESD_ST_SE_SF_SG_EUlST_E0_NS1_11comp_targetILNS1_3genE9ELNS1_11target_archE1100ELNS1_3gpuE3ELNS1_3repE0EEENS1_38merge_mergepath_config_static_selectorELNS0_4arch9wavefront6targetE0EEEvSF_.kd
    .uniform_work_group_size: 1
    .uses_dynamic_stack: false
    .vgpr_count:     0
    .vgpr_spill_count: 0
    .wavefront_size: 32
  - .args:
      - .offset:         0
        .size:           64
        .value_kind:     by_value
    .group_segment_fixed_size: 0
    .kernarg_segment_align: 8
    .kernarg_segment_size: 64
    .language:       OpenCL C
    .language_version:
      - 2
      - 0
    .max_flat_workgroup_size: 512
    .name:           _ZN7rocprim17ROCPRIM_400000_NS6detail17trampoline_kernelINS0_14default_configENS1_38merge_sort_block_merge_config_selectorIiNS0_10empty_typeEEEZZNS1_27merge_sort_block_merge_implIS3_PiPS5_jNS1_19radix_merge_compareILb0ELb0EiNS0_19identity_decomposerEEEEE10hipError_tT0_T1_T2_jT3_P12ihipStream_tbPNSt15iterator_traitsISE_E10value_typeEPNSK_ISF_E10value_typeEPSG_NS1_7vsmem_tEENKUlT_SE_SF_SG_E_clIS8_S8_S9_S9_EESD_ST_SE_SF_SG_EUlST_E0_NS1_11comp_targetILNS1_3genE8ELNS1_11target_archE1030ELNS1_3gpuE2ELNS1_3repE0EEENS1_38merge_mergepath_config_static_selectorELNS0_4arch9wavefront6targetE0EEEvSF_
    .private_segment_fixed_size: 0
    .sgpr_count:     0
    .sgpr_spill_count: 0
    .symbol:         _ZN7rocprim17ROCPRIM_400000_NS6detail17trampoline_kernelINS0_14default_configENS1_38merge_sort_block_merge_config_selectorIiNS0_10empty_typeEEEZZNS1_27merge_sort_block_merge_implIS3_PiPS5_jNS1_19radix_merge_compareILb0ELb0EiNS0_19identity_decomposerEEEEE10hipError_tT0_T1_T2_jT3_P12ihipStream_tbPNSt15iterator_traitsISE_E10value_typeEPNSK_ISF_E10value_typeEPSG_NS1_7vsmem_tEENKUlT_SE_SF_SG_E_clIS8_S8_S9_S9_EESD_ST_SE_SF_SG_EUlST_E0_NS1_11comp_targetILNS1_3genE8ELNS1_11target_archE1030ELNS1_3gpuE2ELNS1_3repE0EEENS1_38merge_mergepath_config_static_selectorELNS0_4arch9wavefront6targetE0EEEvSF_.kd
    .uniform_work_group_size: 1
    .uses_dynamic_stack: false
    .vgpr_count:     0
    .vgpr_spill_count: 0
    .wavefront_size: 32
  - .args:
      - .offset:         0
        .size:           48
        .value_kind:     by_value
    .group_segment_fixed_size: 0
    .kernarg_segment_align: 8
    .kernarg_segment_size: 48
    .language:       OpenCL C
    .language_version:
      - 2
      - 0
    .max_flat_workgroup_size: 256
    .name:           _ZN7rocprim17ROCPRIM_400000_NS6detail17trampoline_kernelINS0_14default_configENS1_38merge_sort_block_merge_config_selectorIiNS0_10empty_typeEEEZZNS1_27merge_sort_block_merge_implIS3_PiPS5_jNS1_19radix_merge_compareILb0ELb0EiNS0_19identity_decomposerEEEEE10hipError_tT0_T1_T2_jT3_P12ihipStream_tbPNSt15iterator_traitsISE_E10value_typeEPNSK_ISF_E10value_typeEPSG_NS1_7vsmem_tEENKUlT_SE_SF_SG_E_clIS8_S8_S9_S9_EESD_ST_SE_SF_SG_EUlST_E1_NS1_11comp_targetILNS1_3genE0ELNS1_11target_archE4294967295ELNS1_3gpuE0ELNS1_3repE0EEENS1_36merge_oddeven_config_static_selectorELNS0_4arch9wavefront6targetE0EEEvSF_
    .private_segment_fixed_size: 0
    .sgpr_count:     18
    .sgpr_spill_count: 0
    .symbol:         _ZN7rocprim17ROCPRIM_400000_NS6detail17trampoline_kernelINS0_14default_configENS1_38merge_sort_block_merge_config_selectorIiNS0_10empty_typeEEEZZNS1_27merge_sort_block_merge_implIS3_PiPS5_jNS1_19radix_merge_compareILb0ELb0EiNS0_19identity_decomposerEEEEE10hipError_tT0_T1_T2_jT3_P12ihipStream_tbPNSt15iterator_traitsISE_E10value_typeEPNSK_ISF_E10value_typeEPSG_NS1_7vsmem_tEENKUlT_SE_SF_SG_E_clIS8_S8_S9_S9_EESD_ST_SE_SF_SG_EUlST_E1_NS1_11comp_targetILNS1_3genE0ELNS1_11target_archE4294967295ELNS1_3gpuE0ELNS1_3repE0EEENS1_36merge_oddeven_config_static_selectorELNS0_4arch9wavefront6targetE0EEEvSF_.kd
    .uniform_work_group_size: 1
    .uses_dynamic_stack: false
    .vgpr_count:     7
    .vgpr_spill_count: 0
    .wavefront_size: 32
  - .args:
      - .offset:         0
        .size:           48
        .value_kind:     by_value
    .group_segment_fixed_size: 0
    .kernarg_segment_align: 8
    .kernarg_segment_size: 48
    .language:       OpenCL C
    .language_version:
      - 2
      - 0
    .max_flat_workgroup_size: 256
    .name:           _ZN7rocprim17ROCPRIM_400000_NS6detail17trampoline_kernelINS0_14default_configENS1_38merge_sort_block_merge_config_selectorIiNS0_10empty_typeEEEZZNS1_27merge_sort_block_merge_implIS3_PiPS5_jNS1_19radix_merge_compareILb0ELb0EiNS0_19identity_decomposerEEEEE10hipError_tT0_T1_T2_jT3_P12ihipStream_tbPNSt15iterator_traitsISE_E10value_typeEPNSK_ISF_E10value_typeEPSG_NS1_7vsmem_tEENKUlT_SE_SF_SG_E_clIS8_S8_S9_S9_EESD_ST_SE_SF_SG_EUlST_E1_NS1_11comp_targetILNS1_3genE10ELNS1_11target_archE1201ELNS1_3gpuE5ELNS1_3repE0EEENS1_36merge_oddeven_config_static_selectorELNS0_4arch9wavefront6targetE0EEEvSF_
    .private_segment_fixed_size: 0
    .sgpr_count:     0
    .sgpr_spill_count: 0
    .symbol:         _ZN7rocprim17ROCPRIM_400000_NS6detail17trampoline_kernelINS0_14default_configENS1_38merge_sort_block_merge_config_selectorIiNS0_10empty_typeEEEZZNS1_27merge_sort_block_merge_implIS3_PiPS5_jNS1_19radix_merge_compareILb0ELb0EiNS0_19identity_decomposerEEEEE10hipError_tT0_T1_T2_jT3_P12ihipStream_tbPNSt15iterator_traitsISE_E10value_typeEPNSK_ISF_E10value_typeEPSG_NS1_7vsmem_tEENKUlT_SE_SF_SG_E_clIS8_S8_S9_S9_EESD_ST_SE_SF_SG_EUlST_E1_NS1_11comp_targetILNS1_3genE10ELNS1_11target_archE1201ELNS1_3gpuE5ELNS1_3repE0EEENS1_36merge_oddeven_config_static_selectorELNS0_4arch9wavefront6targetE0EEEvSF_.kd
    .uniform_work_group_size: 1
    .uses_dynamic_stack: false
    .vgpr_count:     0
    .vgpr_spill_count: 0
    .wavefront_size: 32
  - .args:
      - .offset:         0
        .size:           48
        .value_kind:     by_value
    .group_segment_fixed_size: 0
    .kernarg_segment_align: 8
    .kernarg_segment_size: 48
    .language:       OpenCL C
    .language_version:
      - 2
      - 0
    .max_flat_workgroup_size: 256
    .name:           _ZN7rocprim17ROCPRIM_400000_NS6detail17trampoline_kernelINS0_14default_configENS1_38merge_sort_block_merge_config_selectorIiNS0_10empty_typeEEEZZNS1_27merge_sort_block_merge_implIS3_PiPS5_jNS1_19radix_merge_compareILb0ELb0EiNS0_19identity_decomposerEEEEE10hipError_tT0_T1_T2_jT3_P12ihipStream_tbPNSt15iterator_traitsISE_E10value_typeEPNSK_ISF_E10value_typeEPSG_NS1_7vsmem_tEENKUlT_SE_SF_SG_E_clIS8_S8_S9_S9_EESD_ST_SE_SF_SG_EUlST_E1_NS1_11comp_targetILNS1_3genE5ELNS1_11target_archE942ELNS1_3gpuE9ELNS1_3repE0EEENS1_36merge_oddeven_config_static_selectorELNS0_4arch9wavefront6targetE0EEEvSF_
    .private_segment_fixed_size: 0
    .sgpr_count:     0
    .sgpr_spill_count: 0
    .symbol:         _ZN7rocprim17ROCPRIM_400000_NS6detail17trampoline_kernelINS0_14default_configENS1_38merge_sort_block_merge_config_selectorIiNS0_10empty_typeEEEZZNS1_27merge_sort_block_merge_implIS3_PiPS5_jNS1_19radix_merge_compareILb0ELb0EiNS0_19identity_decomposerEEEEE10hipError_tT0_T1_T2_jT3_P12ihipStream_tbPNSt15iterator_traitsISE_E10value_typeEPNSK_ISF_E10value_typeEPSG_NS1_7vsmem_tEENKUlT_SE_SF_SG_E_clIS8_S8_S9_S9_EESD_ST_SE_SF_SG_EUlST_E1_NS1_11comp_targetILNS1_3genE5ELNS1_11target_archE942ELNS1_3gpuE9ELNS1_3repE0EEENS1_36merge_oddeven_config_static_selectorELNS0_4arch9wavefront6targetE0EEEvSF_.kd
    .uniform_work_group_size: 1
    .uses_dynamic_stack: false
    .vgpr_count:     0
    .vgpr_spill_count: 0
    .wavefront_size: 32
  - .args:
      - .offset:         0
        .size:           48
        .value_kind:     by_value
    .group_segment_fixed_size: 0
    .kernarg_segment_align: 8
    .kernarg_segment_size: 48
    .language:       OpenCL C
    .language_version:
      - 2
      - 0
    .max_flat_workgroup_size: 256
    .name:           _ZN7rocprim17ROCPRIM_400000_NS6detail17trampoline_kernelINS0_14default_configENS1_38merge_sort_block_merge_config_selectorIiNS0_10empty_typeEEEZZNS1_27merge_sort_block_merge_implIS3_PiPS5_jNS1_19radix_merge_compareILb0ELb0EiNS0_19identity_decomposerEEEEE10hipError_tT0_T1_T2_jT3_P12ihipStream_tbPNSt15iterator_traitsISE_E10value_typeEPNSK_ISF_E10value_typeEPSG_NS1_7vsmem_tEENKUlT_SE_SF_SG_E_clIS8_S8_S9_S9_EESD_ST_SE_SF_SG_EUlST_E1_NS1_11comp_targetILNS1_3genE4ELNS1_11target_archE910ELNS1_3gpuE8ELNS1_3repE0EEENS1_36merge_oddeven_config_static_selectorELNS0_4arch9wavefront6targetE0EEEvSF_
    .private_segment_fixed_size: 0
    .sgpr_count:     0
    .sgpr_spill_count: 0
    .symbol:         _ZN7rocprim17ROCPRIM_400000_NS6detail17trampoline_kernelINS0_14default_configENS1_38merge_sort_block_merge_config_selectorIiNS0_10empty_typeEEEZZNS1_27merge_sort_block_merge_implIS3_PiPS5_jNS1_19radix_merge_compareILb0ELb0EiNS0_19identity_decomposerEEEEE10hipError_tT0_T1_T2_jT3_P12ihipStream_tbPNSt15iterator_traitsISE_E10value_typeEPNSK_ISF_E10value_typeEPSG_NS1_7vsmem_tEENKUlT_SE_SF_SG_E_clIS8_S8_S9_S9_EESD_ST_SE_SF_SG_EUlST_E1_NS1_11comp_targetILNS1_3genE4ELNS1_11target_archE910ELNS1_3gpuE8ELNS1_3repE0EEENS1_36merge_oddeven_config_static_selectorELNS0_4arch9wavefront6targetE0EEEvSF_.kd
    .uniform_work_group_size: 1
    .uses_dynamic_stack: false
    .vgpr_count:     0
    .vgpr_spill_count: 0
    .wavefront_size: 32
  - .args:
      - .offset:         0
        .size:           48
        .value_kind:     by_value
    .group_segment_fixed_size: 0
    .kernarg_segment_align: 8
    .kernarg_segment_size: 48
    .language:       OpenCL C
    .language_version:
      - 2
      - 0
    .max_flat_workgroup_size: 256
    .name:           _ZN7rocprim17ROCPRIM_400000_NS6detail17trampoline_kernelINS0_14default_configENS1_38merge_sort_block_merge_config_selectorIiNS0_10empty_typeEEEZZNS1_27merge_sort_block_merge_implIS3_PiPS5_jNS1_19radix_merge_compareILb0ELb0EiNS0_19identity_decomposerEEEEE10hipError_tT0_T1_T2_jT3_P12ihipStream_tbPNSt15iterator_traitsISE_E10value_typeEPNSK_ISF_E10value_typeEPSG_NS1_7vsmem_tEENKUlT_SE_SF_SG_E_clIS8_S8_S9_S9_EESD_ST_SE_SF_SG_EUlST_E1_NS1_11comp_targetILNS1_3genE3ELNS1_11target_archE908ELNS1_3gpuE7ELNS1_3repE0EEENS1_36merge_oddeven_config_static_selectorELNS0_4arch9wavefront6targetE0EEEvSF_
    .private_segment_fixed_size: 0
    .sgpr_count:     0
    .sgpr_spill_count: 0
    .symbol:         _ZN7rocprim17ROCPRIM_400000_NS6detail17trampoline_kernelINS0_14default_configENS1_38merge_sort_block_merge_config_selectorIiNS0_10empty_typeEEEZZNS1_27merge_sort_block_merge_implIS3_PiPS5_jNS1_19radix_merge_compareILb0ELb0EiNS0_19identity_decomposerEEEEE10hipError_tT0_T1_T2_jT3_P12ihipStream_tbPNSt15iterator_traitsISE_E10value_typeEPNSK_ISF_E10value_typeEPSG_NS1_7vsmem_tEENKUlT_SE_SF_SG_E_clIS8_S8_S9_S9_EESD_ST_SE_SF_SG_EUlST_E1_NS1_11comp_targetILNS1_3genE3ELNS1_11target_archE908ELNS1_3gpuE7ELNS1_3repE0EEENS1_36merge_oddeven_config_static_selectorELNS0_4arch9wavefront6targetE0EEEvSF_.kd
    .uniform_work_group_size: 1
    .uses_dynamic_stack: false
    .vgpr_count:     0
    .vgpr_spill_count: 0
    .wavefront_size: 32
  - .args:
      - .offset:         0
        .size:           48
        .value_kind:     by_value
    .group_segment_fixed_size: 0
    .kernarg_segment_align: 8
    .kernarg_segment_size: 48
    .language:       OpenCL C
    .language_version:
      - 2
      - 0
    .max_flat_workgroup_size: 256
    .name:           _ZN7rocprim17ROCPRIM_400000_NS6detail17trampoline_kernelINS0_14default_configENS1_38merge_sort_block_merge_config_selectorIiNS0_10empty_typeEEEZZNS1_27merge_sort_block_merge_implIS3_PiPS5_jNS1_19radix_merge_compareILb0ELb0EiNS0_19identity_decomposerEEEEE10hipError_tT0_T1_T2_jT3_P12ihipStream_tbPNSt15iterator_traitsISE_E10value_typeEPNSK_ISF_E10value_typeEPSG_NS1_7vsmem_tEENKUlT_SE_SF_SG_E_clIS8_S8_S9_S9_EESD_ST_SE_SF_SG_EUlST_E1_NS1_11comp_targetILNS1_3genE2ELNS1_11target_archE906ELNS1_3gpuE6ELNS1_3repE0EEENS1_36merge_oddeven_config_static_selectorELNS0_4arch9wavefront6targetE0EEEvSF_
    .private_segment_fixed_size: 0
    .sgpr_count:     0
    .sgpr_spill_count: 0
    .symbol:         _ZN7rocprim17ROCPRIM_400000_NS6detail17trampoline_kernelINS0_14default_configENS1_38merge_sort_block_merge_config_selectorIiNS0_10empty_typeEEEZZNS1_27merge_sort_block_merge_implIS3_PiPS5_jNS1_19radix_merge_compareILb0ELb0EiNS0_19identity_decomposerEEEEE10hipError_tT0_T1_T2_jT3_P12ihipStream_tbPNSt15iterator_traitsISE_E10value_typeEPNSK_ISF_E10value_typeEPSG_NS1_7vsmem_tEENKUlT_SE_SF_SG_E_clIS8_S8_S9_S9_EESD_ST_SE_SF_SG_EUlST_E1_NS1_11comp_targetILNS1_3genE2ELNS1_11target_archE906ELNS1_3gpuE6ELNS1_3repE0EEENS1_36merge_oddeven_config_static_selectorELNS0_4arch9wavefront6targetE0EEEvSF_.kd
    .uniform_work_group_size: 1
    .uses_dynamic_stack: false
    .vgpr_count:     0
    .vgpr_spill_count: 0
    .wavefront_size: 32
  - .args:
      - .offset:         0
        .size:           48
        .value_kind:     by_value
    .group_segment_fixed_size: 0
    .kernarg_segment_align: 8
    .kernarg_segment_size: 48
    .language:       OpenCL C
    .language_version:
      - 2
      - 0
    .max_flat_workgroup_size: 256
    .name:           _ZN7rocprim17ROCPRIM_400000_NS6detail17trampoline_kernelINS0_14default_configENS1_38merge_sort_block_merge_config_selectorIiNS0_10empty_typeEEEZZNS1_27merge_sort_block_merge_implIS3_PiPS5_jNS1_19radix_merge_compareILb0ELb0EiNS0_19identity_decomposerEEEEE10hipError_tT0_T1_T2_jT3_P12ihipStream_tbPNSt15iterator_traitsISE_E10value_typeEPNSK_ISF_E10value_typeEPSG_NS1_7vsmem_tEENKUlT_SE_SF_SG_E_clIS8_S8_S9_S9_EESD_ST_SE_SF_SG_EUlST_E1_NS1_11comp_targetILNS1_3genE9ELNS1_11target_archE1100ELNS1_3gpuE3ELNS1_3repE0EEENS1_36merge_oddeven_config_static_selectorELNS0_4arch9wavefront6targetE0EEEvSF_
    .private_segment_fixed_size: 0
    .sgpr_count:     0
    .sgpr_spill_count: 0
    .symbol:         _ZN7rocprim17ROCPRIM_400000_NS6detail17trampoline_kernelINS0_14default_configENS1_38merge_sort_block_merge_config_selectorIiNS0_10empty_typeEEEZZNS1_27merge_sort_block_merge_implIS3_PiPS5_jNS1_19radix_merge_compareILb0ELb0EiNS0_19identity_decomposerEEEEE10hipError_tT0_T1_T2_jT3_P12ihipStream_tbPNSt15iterator_traitsISE_E10value_typeEPNSK_ISF_E10value_typeEPSG_NS1_7vsmem_tEENKUlT_SE_SF_SG_E_clIS8_S8_S9_S9_EESD_ST_SE_SF_SG_EUlST_E1_NS1_11comp_targetILNS1_3genE9ELNS1_11target_archE1100ELNS1_3gpuE3ELNS1_3repE0EEENS1_36merge_oddeven_config_static_selectorELNS0_4arch9wavefront6targetE0EEEvSF_.kd
    .uniform_work_group_size: 1
    .uses_dynamic_stack: false
    .vgpr_count:     0
    .vgpr_spill_count: 0
    .wavefront_size: 32
  - .args:
      - .offset:         0
        .size:           48
        .value_kind:     by_value
    .group_segment_fixed_size: 0
    .kernarg_segment_align: 8
    .kernarg_segment_size: 48
    .language:       OpenCL C
    .language_version:
      - 2
      - 0
    .max_flat_workgroup_size: 256
    .name:           _ZN7rocprim17ROCPRIM_400000_NS6detail17trampoline_kernelINS0_14default_configENS1_38merge_sort_block_merge_config_selectorIiNS0_10empty_typeEEEZZNS1_27merge_sort_block_merge_implIS3_PiPS5_jNS1_19radix_merge_compareILb0ELb0EiNS0_19identity_decomposerEEEEE10hipError_tT0_T1_T2_jT3_P12ihipStream_tbPNSt15iterator_traitsISE_E10value_typeEPNSK_ISF_E10value_typeEPSG_NS1_7vsmem_tEENKUlT_SE_SF_SG_E_clIS8_S8_S9_S9_EESD_ST_SE_SF_SG_EUlST_E1_NS1_11comp_targetILNS1_3genE8ELNS1_11target_archE1030ELNS1_3gpuE2ELNS1_3repE0EEENS1_36merge_oddeven_config_static_selectorELNS0_4arch9wavefront6targetE0EEEvSF_
    .private_segment_fixed_size: 0
    .sgpr_count:     0
    .sgpr_spill_count: 0
    .symbol:         _ZN7rocprim17ROCPRIM_400000_NS6detail17trampoline_kernelINS0_14default_configENS1_38merge_sort_block_merge_config_selectorIiNS0_10empty_typeEEEZZNS1_27merge_sort_block_merge_implIS3_PiPS5_jNS1_19radix_merge_compareILb0ELb0EiNS0_19identity_decomposerEEEEE10hipError_tT0_T1_T2_jT3_P12ihipStream_tbPNSt15iterator_traitsISE_E10value_typeEPNSK_ISF_E10value_typeEPSG_NS1_7vsmem_tEENKUlT_SE_SF_SG_E_clIS8_S8_S9_S9_EESD_ST_SE_SF_SG_EUlST_E1_NS1_11comp_targetILNS1_3genE8ELNS1_11target_archE1030ELNS1_3gpuE2ELNS1_3repE0EEENS1_36merge_oddeven_config_static_selectorELNS0_4arch9wavefront6targetE0EEEvSF_.kd
    .uniform_work_group_size: 1
    .uses_dynamic_stack: false
    .vgpr_count:     0
    .vgpr_spill_count: 0
    .wavefront_size: 32
  - .args:
      - .offset:         0
        .size:           40
        .value_kind:     by_value
    .group_segment_fixed_size: 0
    .kernarg_segment_align: 8
    .kernarg_segment_size: 40
    .language:       OpenCL C
    .language_version:
      - 2
      - 0
    .max_flat_workgroup_size: 128
    .name:           _ZN7rocprim17ROCPRIM_400000_NS6detail17trampoline_kernelINS0_14default_configENS1_38merge_sort_block_merge_config_selectorIiNS0_10empty_typeEEEZZNS1_27merge_sort_block_merge_implIS3_PiPS5_jNS1_19radix_merge_compareILb0ELb1EiNS0_19identity_decomposerEEEEE10hipError_tT0_T1_T2_jT3_P12ihipStream_tbPNSt15iterator_traitsISE_E10value_typeEPNSK_ISF_E10value_typeEPSG_NS1_7vsmem_tEENKUlT_SE_SF_SG_E_clIS8_S8_S9_S9_EESD_ST_SE_SF_SG_EUlST_E_NS1_11comp_targetILNS1_3genE0ELNS1_11target_archE4294967295ELNS1_3gpuE0ELNS1_3repE0EEENS1_48merge_mergepath_partition_config_static_selectorELNS0_4arch9wavefront6targetE0EEEvSF_
    .private_segment_fixed_size: 0
    .sgpr_count:     10
    .sgpr_spill_count: 0
    .symbol:         _ZN7rocprim17ROCPRIM_400000_NS6detail17trampoline_kernelINS0_14default_configENS1_38merge_sort_block_merge_config_selectorIiNS0_10empty_typeEEEZZNS1_27merge_sort_block_merge_implIS3_PiPS5_jNS1_19radix_merge_compareILb0ELb1EiNS0_19identity_decomposerEEEEE10hipError_tT0_T1_T2_jT3_P12ihipStream_tbPNSt15iterator_traitsISE_E10value_typeEPNSK_ISF_E10value_typeEPSG_NS1_7vsmem_tEENKUlT_SE_SF_SG_E_clIS8_S8_S9_S9_EESD_ST_SE_SF_SG_EUlST_E_NS1_11comp_targetILNS1_3genE0ELNS1_11target_archE4294967295ELNS1_3gpuE0ELNS1_3repE0EEENS1_48merge_mergepath_partition_config_static_selectorELNS0_4arch9wavefront6targetE0EEEvSF_.kd
    .uniform_work_group_size: 1
    .uses_dynamic_stack: false
    .vgpr_count:     17
    .vgpr_spill_count: 0
    .wavefront_size: 32
  - .args:
      - .offset:         0
        .size:           40
        .value_kind:     by_value
    .group_segment_fixed_size: 0
    .kernarg_segment_align: 8
    .kernarg_segment_size: 40
    .language:       OpenCL C
    .language_version:
      - 2
      - 0
    .max_flat_workgroup_size: 128
    .name:           _ZN7rocprim17ROCPRIM_400000_NS6detail17trampoline_kernelINS0_14default_configENS1_38merge_sort_block_merge_config_selectorIiNS0_10empty_typeEEEZZNS1_27merge_sort_block_merge_implIS3_PiPS5_jNS1_19radix_merge_compareILb0ELb1EiNS0_19identity_decomposerEEEEE10hipError_tT0_T1_T2_jT3_P12ihipStream_tbPNSt15iterator_traitsISE_E10value_typeEPNSK_ISF_E10value_typeEPSG_NS1_7vsmem_tEENKUlT_SE_SF_SG_E_clIS8_S8_S9_S9_EESD_ST_SE_SF_SG_EUlST_E_NS1_11comp_targetILNS1_3genE10ELNS1_11target_archE1201ELNS1_3gpuE5ELNS1_3repE0EEENS1_48merge_mergepath_partition_config_static_selectorELNS0_4arch9wavefront6targetE0EEEvSF_
    .private_segment_fixed_size: 0
    .sgpr_count:     0
    .sgpr_spill_count: 0
    .symbol:         _ZN7rocprim17ROCPRIM_400000_NS6detail17trampoline_kernelINS0_14default_configENS1_38merge_sort_block_merge_config_selectorIiNS0_10empty_typeEEEZZNS1_27merge_sort_block_merge_implIS3_PiPS5_jNS1_19radix_merge_compareILb0ELb1EiNS0_19identity_decomposerEEEEE10hipError_tT0_T1_T2_jT3_P12ihipStream_tbPNSt15iterator_traitsISE_E10value_typeEPNSK_ISF_E10value_typeEPSG_NS1_7vsmem_tEENKUlT_SE_SF_SG_E_clIS8_S8_S9_S9_EESD_ST_SE_SF_SG_EUlST_E_NS1_11comp_targetILNS1_3genE10ELNS1_11target_archE1201ELNS1_3gpuE5ELNS1_3repE0EEENS1_48merge_mergepath_partition_config_static_selectorELNS0_4arch9wavefront6targetE0EEEvSF_.kd
    .uniform_work_group_size: 1
    .uses_dynamic_stack: false
    .vgpr_count:     0
    .vgpr_spill_count: 0
    .wavefront_size: 32
  - .args:
      - .offset:         0
        .size:           40
        .value_kind:     by_value
    .group_segment_fixed_size: 0
    .kernarg_segment_align: 8
    .kernarg_segment_size: 40
    .language:       OpenCL C
    .language_version:
      - 2
      - 0
    .max_flat_workgroup_size: 128
    .name:           _ZN7rocprim17ROCPRIM_400000_NS6detail17trampoline_kernelINS0_14default_configENS1_38merge_sort_block_merge_config_selectorIiNS0_10empty_typeEEEZZNS1_27merge_sort_block_merge_implIS3_PiPS5_jNS1_19radix_merge_compareILb0ELb1EiNS0_19identity_decomposerEEEEE10hipError_tT0_T1_T2_jT3_P12ihipStream_tbPNSt15iterator_traitsISE_E10value_typeEPNSK_ISF_E10value_typeEPSG_NS1_7vsmem_tEENKUlT_SE_SF_SG_E_clIS8_S8_S9_S9_EESD_ST_SE_SF_SG_EUlST_E_NS1_11comp_targetILNS1_3genE5ELNS1_11target_archE942ELNS1_3gpuE9ELNS1_3repE0EEENS1_48merge_mergepath_partition_config_static_selectorELNS0_4arch9wavefront6targetE0EEEvSF_
    .private_segment_fixed_size: 0
    .sgpr_count:     0
    .sgpr_spill_count: 0
    .symbol:         _ZN7rocprim17ROCPRIM_400000_NS6detail17trampoline_kernelINS0_14default_configENS1_38merge_sort_block_merge_config_selectorIiNS0_10empty_typeEEEZZNS1_27merge_sort_block_merge_implIS3_PiPS5_jNS1_19radix_merge_compareILb0ELb1EiNS0_19identity_decomposerEEEEE10hipError_tT0_T1_T2_jT3_P12ihipStream_tbPNSt15iterator_traitsISE_E10value_typeEPNSK_ISF_E10value_typeEPSG_NS1_7vsmem_tEENKUlT_SE_SF_SG_E_clIS8_S8_S9_S9_EESD_ST_SE_SF_SG_EUlST_E_NS1_11comp_targetILNS1_3genE5ELNS1_11target_archE942ELNS1_3gpuE9ELNS1_3repE0EEENS1_48merge_mergepath_partition_config_static_selectorELNS0_4arch9wavefront6targetE0EEEvSF_.kd
    .uniform_work_group_size: 1
    .uses_dynamic_stack: false
    .vgpr_count:     0
    .vgpr_spill_count: 0
    .wavefront_size: 32
  - .args:
      - .offset:         0
        .size:           40
        .value_kind:     by_value
    .group_segment_fixed_size: 0
    .kernarg_segment_align: 8
    .kernarg_segment_size: 40
    .language:       OpenCL C
    .language_version:
      - 2
      - 0
    .max_flat_workgroup_size: 128
    .name:           _ZN7rocprim17ROCPRIM_400000_NS6detail17trampoline_kernelINS0_14default_configENS1_38merge_sort_block_merge_config_selectorIiNS0_10empty_typeEEEZZNS1_27merge_sort_block_merge_implIS3_PiPS5_jNS1_19radix_merge_compareILb0ELb1EiNS0_19identity_decomposerEEEEE10hipError_tT0_T1_T2_jT3_P12ihipStream_tbPNSt15iterator_traitsISE_E10value_typeEPNSK_ISF_E10value_typeEPSG_NS1_7vsmem_tEENKUlT_SE_SF_SG_E_clIS8_S8_S9_S9_EESD_ST_SE_SF_SG_EUlST_E_NS1_11comp_targetILNS1_3genE4ELNS1_11target_archE910ELNS1_3gpuE8ELNS1_3repE0EEENS1_48merge_mergepath_partition_config_static_selectorELNS0_4arch9wavefront6targetE0EEEvSF_
    .private_segment_fixed_size: 0
    .sgpr_count:     0
    .sgpr_spill_count: 0
    .symbol:         _ZN7rocprim17ROCPRIM_400000_NS6detail17trampoline_kernelINS0_14default_configENS1_38merge_sort_block_merge_config_selectorIiNS0_10empty_typeEEEZZNS1_27merge_sort_block_merge_implIS3_PiPS5_jNS1_19radix_merge_compareILb0ELb1EiNS0_19identity_decomposerEEEEE10hipError_tT0_T1_T2_jT3_P12ihipStream_tbPNSt15iterator_traitsISE_E10value_typeEPNSK_ISF_E10value_typeEPSG_NS1_7vsmem_tEENKUlT_SE_SF_SG_E_clIS8_S8_S9_S9_EESD_ST_SE_SF_SG_EUlST_E_NS1_11comp_targetILNS1_3genE4ELNS1_11target_archE910ELNS1_3gpuE8ELNS1_3repE0EEENS1_48merge_mergepath_partition_config_static_selectorELNS0_4arch9wavefront6targetE0EEEvSF_.kd
    .uniform_work_group_size: 1
    .uses_dynamic_stack: false
    .vgpr_count:     0
    .vgpr_spill_count: 0
    .wavefront_size: 32
  - .args:
      - .offset:         0
        .size:           40
        .value_kind:     by_value
    .group_segment_fixed_size: 0
    .kernarg_segment_align: 8
    .kernarg_segment_size: 40
    .language:       OpenCL C
    .language_version:
      - 2
      - 0
    .max_flat_workgroup_size: 128
    .name:           _ZN7rocprim17ROCPRIM_400000_NS6detail17trampoline_kernelINS0_14default_configENS1_38merge_sort_block_merge_config_selectorIiNS0_10empty_typeEEEZZNS1_27merge_sort_block_merge_implIS3_PiPS5_jNS1_19radix_merge_compareILb0ELb1EiNS0_19identity_decomposerEEEEE10hipError_tT0_T1_T2_jT3_P12ihipStream_tbPNSt15iterator_traitsISE_E10value_typeEPNSK_ISF_E10value_typeEPSG_NS1_7vsmem_tEENKUlT_SE_SF_SG_E_clIS8_S8_S9_S9_EESD_ST_SE_SF_SG_EUlST_E_NS1_11comp_targetILNS1_3genE3ELNS1_11target_archE908ELNS1_3gpuE7ELNS1_3repE0EEENS1_48merge_mergepath_partition_config_static_selectorELNS0_4arch9wavefront6targetE0EEEvSF_
    .private_segment_fixed_size: 0
    .sgpr_count:     0
    .sgpr_spill_count: 0
    .symbol:         _ZN7rocprim17ROCPRIM_400000_NS6detail17trampoline_kernelINS0_14default_configENS1_38merge_sort_block_merge_config_selectorIiNS0_10empty_typeEEEZZNS1_27merge_sort_block_merge_implIS3_PiPS5_jNS1_19radix_merge_compareILb0ELb1EiNS0_19identity_decomposerEEEEE10hipError_tT0_T1_T2_jT3_P12ihipStream_tbPNSt15iterator_traitsISE_E10value_typeEPNSK_ISF_E10value_typeEPSG_NS1_7vsmem_tEENKUlT_SE_SF_SG_E_clIS8_S8_S9_S9_EESD_ST_SE_SF_SG_EUlST_E_NS1_11comp_targetILNS1_3genE3ELNS1_11target_archE908ELNS1_3gpuE7ELNS1_3repE0EEENS1_48merge_mergepath_partition_config_static_selectorELNS0_4arch9wavefront6targetE0EEEvSF_.kd
    .uniform_work_group_size: 1
    .uses_dynamic_stack: false
    .vgpr_count:     0
    .vgpr_spill_count: 0
    .wavefront_size: 32
  - .args:
      - .offset:         0
        .size:           40
        .value_kind:     by_value
    .group_segment_fixed_size: 0
    .kernarg_segment_align: 8
    .kernarg_segment_size: 40
    .language:       OpenCL C
    .language_version:
      - 2
      - 0
    .max_flat_workgroup_size: 128
    .name:           _ZN7rocprim17ROCPRIM_400000_NS6detail17trampoline_kernelINS0_14default_configENS1_38merge_sort_block_merge_config_selectorIiNS0_10empty_typeEEEZZNS1_27merge_sort_block_merge_implIS3_PiPS5_jNS1_19radix_merge_compareILb0ELb1EiNS0_19identity_decomposerEEEEE10hipError_tT0_T1_T2_jT3_P12ihipStream_tbPNSt15iterator_traitsISE_E10value_typeEPNSK_ISF_E10value_typeEPSG_NS1_7vsmem_tEENKUlT_SE_SF_SG_E_clIS8_S8_S9_S9_EESD_ST_SE_SF_SG_EUlST_E_NS1_11comp_targetILNS1_3genE2ELNS1_11target_archE906ELNS1_3gpuE6ELNS1_3repE0EEENS1_48merge_mergepath_partition_config_static_selectorELNS0_4arch9wavefront6targetE0EEEvSF_
    .private_segment_fixed_size: 0
    .sgpr_count:     0
    .sgpr_spill_count: 0
    .symbol:         _ZN7rocprim17ROCPRIM_400000_NS6detail17trampoline_kernelINS0_14default_configENS1_38merge_sort_block_merge_config_selectorIiNS0_10empty_typeEEEZZNS1_27merge_sort_block_merge_implIS3_PiPS5_jNS1_19radix_merge_compareILb0ELb1EiNS0_19identity_decomposerEEEEE10hipError_tT0_T1_T2_jT3_P12ihipStream_tbPNSt15iterator_traitsISE_E10value_typeEPNSK_ISF_E10value_typeEPSG_NS1_7vsmem_tEENKUlT_SE_SF_SG_E_clIS8_S8_S9_S9_EESD_ST_SE_SF_SG_EUlST_E_NS1_11comp_targetILNS1_3genE2ELNS1_11target_archE906ELNS1_3gpuE6ELNS1_3repE0EEENS1_48merge_mergepath_partition_config_static_selectorELNS0_4arch9wavefront6targetE0EEEvSF_.kd
    .uniform_work_group_size: 1
    .uses_dynamic_stack: false
    .vgpr_count:     0
    .vgpr_spill_count: 0
    .wavefront_size: 32
  - .args:
      - .offset:         0
        .size:           40
        .value_kind:     by_value
    .group_segment_fixed_size: 0
    .kernarg_segment_align: 8
    .kernarg_segment_size: 40
    .language:       OpenCL C
    .language_version:
      - 2
      - 0
    .max_flat_workgroup_size: 128
    .name:           _ZN7rocprim17ROCPRIM_400000_NS6detail17trampoline_kernelINS0_14default_configENS1_38merge_sort_block_merge_config_selectorIiNS0_10empty_typeEEEZZNS1_27merge_sort_block_merge_implIS3_PiPS5_jNS1_19radix_merge_compareILb0ELb1EiNS0_19identity_decomposerEEEEE10hipError_tT0_T1_T2_jT3_P12ihipStream_tbPNSt15iterator_traitsISE_E10value_typeEPNSK_ISF_E10value_typeEPSG_NS1_7vsmem_tEENKUlT_SE_SF_SG_E_clIS8_S8_S9_S9_EESD_ST_SE_SF_SG_EUlST_E_NS1_11comp_targetILNS1_3genE9ELNS1_11target_archE1100ELNS1_3gpuE3ELNS1_3repE0EEENS1_48merge_mergepath_partition_config_static_selectorELNS0_4arch9wavefront6targetE0EEEvSF_
    .private_segment_fixed_size: 0
    .sgpr_count:     0
    .sgpr_spill_count: 0
    .symbol:         _ZN7rocprim17ROCPRIM_400000_NS6detail17trampoline_kernelINS0_14default_configENS1_38merge_sort_block_merge_config_selectorIiNS0_10empty_typeEEEZZNS1_27merge_sort_block_merge_implIS3_PiPS5_jNS1_19radix_merge_compareILb0ELb1EiNS0_19identity_decomposerEEEEE10hipError_tT0_T1_T2_jT3_P12ihipStream_tbPNSt15iterator_traitsISE_E10value_typeEPNSK_ISF_E10value_typeEPSG_NS1_7vsmem_tEENKUlT_SE_SF_SG_E_clIS8_S8_S9_S9_EESD_ST_SE_SF_SG_EUlST_E_NS1_11comp_targetILNS1_3genE9ELNS1_11target_archE1100ELNS1_3gpuE3ELNS1_3repE0EEENS1_48merge_mergepath_partition_config_static_selectorELNS0_4arch9wavefront6targetE0EEEvSF_.kd
    .uniform_work_group_size: 1
    .uses_dynamic_stack: false
    .vgpr_count:     0
    .vgpr_spill_count: 0
    .wavefront_size: 32
  - .args:
      - .offset:         0
        .size:           40
        .value_kind:     by_value
    .group_segment_fixed_size: 0
    .kernarg_segment_align: 8
    .kernarg_segment_size: 40
    .language:       OpenCL C
    .language_version:
      - 2
      - 0
    .max_flat_workgroup_size: 128
    .name:           _ZN7rocprim17ROCPRIM_400000_NS6detail17trampoline_kernelINS0_14default_configENS1_38merge_sort_block_merge_config_selectorIiNS0_10empty_typeEEEZZNS1_27merge_sort_block_merge_implIS3_PiPS5_jNS1_19radix_merge_compareILb0ELb1EiNS0_19identity_decomposerEEEEE10hipError_tT0_T1_T2_jT3_P12ihipStream_tbPNSt15iterator_traitsISE_E10value_typeEPNSK_ISF_E10value_typeEPSG_NS1_7vsmem_tEENKUlT_SE_SF_SG_E_clIS8_S8_S9_S9_EESD_ST_SE_SF_SG_EUlST_E_NS1_11comp_targetILNS1_3genE8ELNS1_11target_archE1030ELNS1_3gpuE2ELNS1_3repE0EEENS1_48merge_mergepath_partition_config_static_selectorELNS0_4arch9wavefront6targetE0EEEvSF_
    .private_segment_fixed_size: 0
    .sgpr_count:     0
    .sgpr_spill_count: 0
    .symbol:         _ZN7rocprim17ROCPRIM_400000_NS6detail17trampoline_kernelINS0_14default_configENS1_38merge_sort_block_merge_config_selectorIiNS0_10empty_typeEEEZZNS1_27merge_sort_block_merge_implIS3_PiPS5_jNS1_19radix_merge_compareILb0ELb1EiNS0_19identity_decomposerEEEEE10hipError_tT0_T1_T2_jT3_P12ihipStream_tbPNSt15iterator_traitsISE_E10value_typeEPNSK_ISF_E10value_typeEPSG_NS1_7vsmem_tEENKUlT_SE_SF_SG_E_clIS8_S8_S9_S9_EESD_ST_SE_SF_SG_EUlST_E_NS1_11comp_targetILNS1_3genE8ELNS1_11target_archE1030ELNS1_3gpuE2ELNS1_3repE0EEENS1_48merge_mergepath_partition_config_static_selectorELNS0_4arch9wavefront6targetE0EEEvSF_.kd
    .uniform_work_group_size: 1
    .uses_dynamic_stack: false
    .vgpr_count:     0
    .vgpr_spill_count: 0
    .wavefront_size: 32
  - .args:
      - .offset:         0
        .size:           64
        .value_kind:     by_value
      - .offset:         64
        .size:           4
        .value_kind:     hidden_block_count_x
      - .offset:         68
        .size:           4
        .value_kind:     hidden_block_count_y
      - .offset:         72
        .size:           4
        .value_kind:     hidden_block_count_z
      - .offset:         76
        .size:           2
        .value_kind:     hidden_group_size_x
      - .offset:         78
        .size:           2
        .value_kind:     hidden_group_size_y
      - .offset:         80
        .size:           2
        .value_kind:     hidden_group_size_z
      - .offset:         82
        .size:           2
        .value_kind:     hidden_remainder_x
      - .offset:         84
        .size:           2
        .value_kind:     hidden_remainder_y
      - .offset:         86
        .size:           2
        .value_kind:     hidden_remainder_z
      - .offset:         104
        .size:           8
        .value_kind:     hidden_global_offset_x
      - .offset:         112
        .size:           8
        .value_kind:     hidden_global_offset_y
      - .offset:         120
        .size:           8
        .value_kind:     hidden_global_offset_z
      - .offset:         128
        .size:           2
        .value_kind:     hidden_grid_dims
    .group_segment_fixed_size: 4224
    .kernarg_segment_align: 8
    .kernarg_segment_size: 320
    .language:       OpenCL C
    .language_version:
      - 2
      - 0
    .max_flat_workgroup_size: 128
    .name:           _ZN7rocprim17ROCPRIM_400000_NS6detail17trampoline_kernelINS0_14default_configENS1_38merge_sort_block_merge_config_selectorIiNS0_10empty_typeEEEZZNS1_27merge_sort_block_merge_implIS3_PiPS5_jNS1_19radix_merge_compareILb0ELb1EiNS0_19identity_decomposerEEEEE10hipError_tT0_T1_T2_jT3_P12ihipStream_tbPNSt15iterator_traitsISE_E10value_typeEPNSK_ISF_E10value_typeEPSG_NS1_7vsmem_tEENKUlT_SE_SF_SG_E_clIS8_S8_S9_S9_EESD_ST_SE_SF_SG_EUlST_E0_NS1_11comp_targetILNS1_3genE0ELNS1_11target_archE4294967295ELNS1_3gpuE0ELNS1_3repE0EEENS1_38merge_mergepath_config_static_selectorELNS0_4arch9wavefront6targetE0EEEvSF_
    .private_segment_fixed_size: 0
    .sgpr_count:     26
    .sgpr_spill_count: 0
    .symbol:         _ZN7rocprim17ROCPRIM_400000_NS6detail17trampoline_kernelINS0_14default_configENS1_38merge_sort_block_merge_config_selectorIiNS0_10empty_typeEEEZZNS1_27merge_sort_block_merge_implIS3_PiPS5_jNS1_19radix_merge_compareILb0ELb1EiNS0_19identity_decomposerEEEEE10hipError_tT0_T1_T2_jT3_P12ihipStream_tbPNSt15iterator_traitsISE_E10value_typeEPNSK_ISF_E10value_typeEPSG_NS1_7vsmem_tEENKUlT_SE_SF_SG_E_clIS8_S8_S9_S9_EESD_ST_SE_SF_SG_EUlST_E0_NS1_11comp_targetILNS1_3genE0ELNS1_11target_archE4294967295ELNS1_3gpuE0ELNS1_3repE0EEENS1_38merge_mergepath_config_static_selectorELNS0_4arch9wavefront6targetE0EEEvSF_.kd
    .uniform_work_group_size: 1
    .uses_dynamic_stack: false
    .vgpr_count:     32
    .vgpr_spill_count: 0
    .wavefront_size: 32
  - .args:
      - .offset:         0
        .size:           64
        .value_kind:     by_value
    .group_segment_fixed_size: 0
    .kernarg_segment_align: 8
    .kernarg_segment_size: 64
    .language:       OpenCL C
    .language_version:
      - 2
      - 0
    .max_flat_workgroup_size: 256
    .name:           _ZN7rocprim17ROCPRIM_400000_NS6detail17trampoline_kernelINS0_14default_configENS1_38merge_sort_block_merge_config_selectorIiNS0_10empty_typeEEEZZNS1_27merge_sort_block_merge_implIS3_PiPS5_jNS1_19radix_merge_compareILb0ELb1EiNS0_19identity_decomposerEEEEE10hipError_tT0_T1_T2_jT3_P12ihipStream_tbPNSt15iterator_traitsISE_E10value_typeEPNSK_ISF_E10value_typeEPSG_NS1_7vsmem_tEENKUlT_SE_SF_SG_E_clIS8_S8_S9_S9_EESD_ST_SE_SF_SG_EUlST_E0_NS1_11comp_targetILNS1_3genE10ELNS1_11target_archE1201ELNS1_3gpuE5ELNS1_3repE0EEENS1_38merge_mergepath_config_static_selectorELNS0_4arch9wavefront6targetE0EEEvSF_
    .private_segment_fixed_size: 0
    .sgpr_count:     0
    .sgpr_spill_count: 0
    .symbol:         _ZN7rocprim17ROCPRIM_400000_NS6detail17trampoline_kernelINS0_14default_configENS1_38merge_sort_block_merge_config_selectorIiNS0_10empty_typeEEEZZNS1_27merge_sort_block_merge_implIS3_PiPS5_jNS1_19radix_merge_compareILb0ELb1EiNS0_19identity_decomposerEEEEE10hipError_tT0_T1_T2_jT3_P12ihipStream_tbPNSt15iterator_traitsISE_E10value_typeEPNSK_ISF_E10value_typeEPSG_NS1_7vsmem_tEENKUlT_SE_SF_SG_E_clIS8_S8_S9_S9_EESD_ST_SE_SF_SG_EUlST_E0_NS1_11comp_targetILNS1_3genE10ELNS1_11target_archE1201ELNS1_3gpuE5ELNS1_3repE0EEENS1_38merge_mergepath_config_static_selectorELNS0_4arch9wavefront6targetE0EEEvSF_.kd
    .uniform_work_group_size: 1
    .uses_dynamic_stack: false
    .vgpr_count:     0
    .vgpr_spill_count: 0
    .wavefront_size: 32
  - .args:
      - .offset:         0
        .size:           64
        .value_kind:     by_value
    .group_segment_fixed_size: 0
    .kernarg_segment_align: 8
    .kernarg_segment_size: 64
    .language:       OpenCL C
    .language_version:
      - 2
      - 0
    .max_flat_workgroup_size: 128
    .name:           _ZN7rocprim17ROCPRIM_400000_NS6detail17trampoline_kernelINS0_14default_configENS1_38merge_sort_block_merge_config_selectorIiNS0_10empty_typeEEEZZNS1_27merge_sort_block_merge_implIS3_PiPS5_jNS1_19radix_merge_compareILb0ELb1EiNS0_19identity_decomposerEEEEE10hipError_tT0_T1_T2_jT3_P12ihipStream_tbPNSt15iterator_traitsISE_E10value_typeEPNSK_ISF_E10value_typeEPSG_NS1_7vsmem_tEENKUlT_SE_SF_SG_E_clIS8_S8_S9_S9_EESD_ST_SE_SF_SG_EUlST_E0_NS1_11comp_targetILNS1_3genE5ELNS1_11target_archE942ELNS1_3gpuE9ELNS1_3repE0EEENS1_38merge_mergepath_config_static_selectorELNS0_4arch9wavefront6targetE0EEEvSF_
    .private_segment_fixed_size: 0
    .sgpr_count:     0
    .sgpr_spill_count: 0
    .symbol:         _ZN7rocprim17ROCPRIM_400000_NS6detail17trampoline_kernelINS0_14default_configENS1_38merge_sort_block_merge_config_selectorIiNS0_10empty_typeEEEZZNS1_27merge_sort_block_merge_implIS3_PiPS5_jNS1_19radix_merge_compareILb0ELb1EiNS0_19identity_decomposerEEEEE10hipError_tT0_T1_T2_jT3_P12ihipStream_tbPNSt15iterator_traitsISE_E10value_typeEPNSK_ISF_E10value_typeEPSG_NS1_7vsmem_tEENKUlT_SE_SF_SG_E_clIS8_S8_S9_S9_EESD_ST_SE_SF_SG_EUlST_E0_NS1_11comp_targetILNS1_3genE5ELNS1_11target_archE942ELNS1_3gpuE9ELNS1_3repE0EEENS1_38merge_mergepath_config_static_selectorELNS0_4arch9wavefront6targetE0EEEvSF_.kd
    .uniform_work_group_size: 1
    .uses_dynamic_stack: false
    .vgpr_count:     0
    .vgpr_spill_count: 0
    .wavefront_size: 32
  - .args:
      - .offset:         0
        .size:           64
        .value_kind:     by_value
    .group_segment_fixed_size: 0
    .kernarg_segment_align: 8
    .kernarg_segment_size: 64
    .language:       OpenCL C
    .language_version:
      - 2
      - 0
    .max_flat_workgroup_size: 128
    .name:           _ZN7rocprim17ROCPRIM_400000_NS6detail17trampoline_kernelINS0_14default_configENS1_38merge_sort_block_merge_config_selectorIiNS0_10empty_typeEEEZZNS1_27merge_sort_block_merge_implIS3_PiPS5_jNS1_19radix_merge_compareILb0ELb1EiNS0_19identity_decomposerEEEEE10hipError_tT0_T1_T2_jT3_P12ihipStream_tbPNSt15iterator_traitsISE_E10value_typeEPNSK_ISF_E10value_typeEPSG_NS1_7vsmem_tEENKUlT_SE_SF_SG_E_clIS8_S8_S9_S9_EESD_ST_SE_SF_SG_EUlST_E0_NS1_11comp_targetILNS1_3genE4ELNS1_11target_archE910ELNS1_3gpuE8ELNS1_3repE0EEENS1_38merge_mergepath_config_static_selectorELNS0_4arch9wavefront6targetE0EEEvSF_
    .private_segment_fixed_size: 0
    .sgpr_count:     0
    .sgpr_spill_count: 0
    .symbol:         _ZN7rocprim17ROCPRIM_400000_NS6detail17trampoline_kernelINS0_14default_configENS1_38merge_sort_block_merge_config_selectorIiNS0_10empty_typeEEEZZNS1_27merge_sort_block_merge_implIS3_PiPS5_jNS1_19radix_merge_compareILb0ELb1EiNS0_19identity_decomposerEEEEE10hipError_tT0_T1_T2_jT3_P12ihipStream_tbPNSt15iterator_traitsISE_E10value_typeEPNSK_ISF_E10value_typeEPSG_NS1_7vsmem_tEENKUlT_SE_SF_SG_E_clIS8_S8_S9_S9_EESD_ST_SE_SF_SG_EUlST_E0_NS1_11comp_targetILNS1_3genE4ELNS1_11target_archE910ELNS1_3gpuE8ELNS1_3repE0EEENS1_38merge_mergepath_config_static_selectorELNS0_4arch9wavefront6targetE0EEEvSF_.kd
    .uniform_work_group_size: 1
    .uses_dynamic_stack: false
    .vgpr_count:     0
    .vgpr_spill_count: 0
    .wavefront_size: 32
  - .args:
      - .offset:         0
        .size:           64
        .value_kind:     by_value
    .group_segment_fixed_size: 0
    .kernarg_segment_align: 8
    .kernarg_segment_size: 64
    .language:       OpenCL C
    .language_version:
      - 2
      - 0
    .max_flat_workgroup_size: 128
    .name:           _ZN7rocprim17ROCPRIM_400000_NS6detail17trampoline_kernelINS0_14default_configENS1_38merge_sort_block_merge_config_selectorIiNS0_10empty_typeEEEZZNS1_27merge_sort_block_merge_implIS3_PiPS5_jNS1_19radix_merge_compareILb0ELb1EiNS0_19identity_decomposerEEEEE10hipError_tT0_T1_T2_jT3_P12ihipStream_tbPNSt15iterator_traitsISE_E10value_typeEPNSK_ISF_E10value_typeEPSG_NS1_7vsmem_tEENKUlT_SE_SF_SG_E_clIS8_S8_S9_S9_EESD_ST_SE_SF_SG_EUlST_E0_NS1_11comp_targetILNS1_3genE3ELNS1_11target_archE908ELNS1_3gpuE7ELNS1_3repE0EEENS1_38merge_mergepath_config_static_selectorELNS0_4arch9wavefront6targetE0EEEvSF_
    .private_segment_fixed_size: 0
    .sgpr_count:     0
    .sgpr_spill_count: 0
    .symbol:         _ZN7rocprim17ROCPRIM_400000_NS6detail17trampoline_kernelINS0_14default_configENS1_38merge_sort_block_merge_config_selectorIiNS0_10empty_typeEEEZZNS1_27merge_sort_block_merge_implIS3_PiPS5_jNS1_19radix_merge_compareILb0ELb1EiNS0_19identity_decomposerEEEEE10hipError_tT0_T1_T2_jT3_P12ihipStream_tbPNSt15iterator_traitsISE_E10value_typeEPNSK_ISF_E10value_typeEPSG_NS1_7vsmem_tEENKUlT_SE_SF_SG_E_clIS8_S8_S9_S9_EESD_ST_SE_SF_SG_EUlST_E0_NS1_11comp_targetILNS1_3genE3ELNS1_11target_archE908ELNS1_3gpuE7ELNS1_3repE0EEENS1_38merge_mergepath_config_static_selectorELNS0_4arch9wavefront6targetE0EEEvSF_.kd
    .uniform_work_group_size: 1
    .uses_dynamic_stack: false
    .vgpr_count:     0
    .vgpr_spill_count: 0
    .wavefront_size: 32
  - .args:
      - .offset:         0
        .size:           64
        .value_kind:     by_value
    .group_segment_fixed_size: 0
    .kernarg_segment_align: 8
    .kernarg_segment_size: 64
    .language:       OpenCL C
    .language_version:
      - 2
      - 0
    .max_flat_workgroup_size: 128
    .name:           _ZN7rocprim17ROCPRIM_400000_NS6detail17trampoline_kernelINS0_14default_configENS1_38merge_sort_block_merge_config_selectorIiNS0_10empty_typeEEEZZNS1_27merge_sort_block_merge_implIS3_PiPS5_jNS1_19radix_merge_compareILb0ELb1EiNS0_19identity_decomposerEEEEE10hipError_tT0_T1_T2_jT3_P12ihipStream_tbPNSt15iterator_traitsISE_E10value_typeEPNSK_ISF_E10value_typeEPSG_NS1_7vsmem_tEENKUlT_SE_SF_SG_E_clIS8_S8_S9_S9_EESD_ST_SE_SF_SG_EUlST_E0_NS1_11comp_targetILNS1_3genE2ELNS1_11target_archE906ELNS1_3gpuE6ELNS1_3repE0EEENS1_38merge_mergepath_config_static_selectorELNS0_4arch9wavefront6targetE0EEEvSF_
    .private_segment_fixed_size: 0
    .sgpr_count:     0
    .sgpr_spill_count: 0
    .symbol:         _ZN7rocprim17ROCPRIM_400000_NS6detail17trampoline_kernelINS0_14default_configENS1_38merge_sort_block_merge_config_selectorIiNS0_10empty_typeEEEZZNS1_27merge_sort_block_merge_implIS3_PiPS5_jNS1_19radix_merge_compareILb0ELb1EiNS0_19identity_decomposerEEEEE10hipError_tT0_T1_T2_jT3_P12ihipStream_tbPNSt15iterator_traitsISE_E10value_typeEPNSK_ISF_E10value_typeEPSG_NS1_7vsmem_tEENKUlT_SE_SF_SG_E_clIS8_S8_S9_S9_EESD_ST_SE_SF_SG_EUlST_E0_NS1_11comp_targetILNS1_3genE2ELNS1_11target_archE906ELNS1_3gpuE6ELNS1_3repE0EEENS1_38merge_mergepath_config_static_selectorELNS0_4arch9wavefront6targetE0EEEvSF_.kd
    .uniform_work_group_size: 1
    .uses_dynamic_stack: false
    .vgpr_count:     0
    .vgpr_spill_count: 0
    .wavefront_size: 32
  - .args:
      - .offset:         0
        .size:           64
        .value_kind:     by_value
    .group_segment_fixed_size: 0
    .kernarg_segment_align: 8
    .kernarg_segment_size: 64
    .language:       OpenCL C
    .language_version:
      - 2
      - 0
    .max_flat_workgroup_size: 256
    .name:           _ZN7rocprim17ROCPRIM_400000_NS6detail17trampoline_kernelINS0_14default_configENS1_38merge_sort_block_merge_config_selectorIiNS0_10empty_typeEEEZZNS1_27merge_sort_block_merge_implIS3_PiPS5_jNS1_19radix_merge_compareILb0ELb1EiNS0_19identity_decomposerEEEEE10hipError_tT0_T1_T2_jT3_P12ihipStream_tbPNSt15iterator_traitsISE_E10value_typeEPNSK_ISF_E10value_typeEPSG_NS1_7vsmem_tEENKUlT_SE_SF_SG_E_clIS8_S8_S9_S9_EESD_ST_SE_SF_SG_EUlST_E0_NS1_11comp_targetILNS1_3genE9ELNS1_11target_archE1100ELNS1_3gpuE3ELNS1_3repE0EEENS1_38merge_mergepath_config_static_selectorELNS0_4arch9wavefront6targetE0EEEvSF_
    .private_segment_fixed_size: 0
    .sgpr_count:     0
    .sgpr_spill_count: 0
    .symbol:         _ZN7rocprim17ROCPRIM_400000_NS6detail17trampoline_kernelINS0_14default_configENS1_38merge_sort_block_merge_config_selectorIiNS0_10empty_typeEEEZZNS1_27merge_sort_block_merge_implIS3_PiPS5_jNS1_19radix_merge_compareILb0ELb1EiNS0_19identity_decomposerEEEEE10hipError_tT0_T1_T2_jT3_P12ihipStream_tbPNSt15iterator_traitsISE_E10value_typeEPNSK_ISF_E10value_typeEPSG_NS1_7vsmem_tEENKUlT_SE_SF_SG_E_clIS8_S8_S9_S9_EESD_ST_SE_SF_SG_EUlST_E0_NS1_11comp_targetILNS1_3genE9ELNS1_11target_archE1100ELNS1_3gpuE3ELNS1_3repE0EEENS1_38merge_mergepath_config_static_selectorELNS0_4arch9wavefront6targetE0EEEvSF_.kd
    .uniform_work_group_size: 1
    .uses_dynamic_stack: false
    .vgpr_count:     0
    .vgpr_spill_count: 0
    .wavefront_size: 32
  - .args:
      - .offset:         0
        .size:           64
        .value_kind:     by_value
    .group_segment_fixed_size: 0
    .kernarg_segment_align: 8
    .kernarg_segment_size: 64
    .language:       OpenCL C
    .language_version:
      - 2
      - 0
    .max_flat_workgroup_size: 512
    .name:           _ZN7rocprim17ROCPRIM_400000_NS6detail17trampoline_kernelINS0_14default_configENS1_38merge_sort_block_merge_config_selectorIiNS0_10empty_typeEEEZZNS1_27merge_sort_block_merge_implIS3_PiPS5_jNS1_19radix_merge_compareILb0ELb1EiNS0_19identity_decomposerEEEEE10hipError_tT0_T1_T2_jT3_P12ihipStream_tbPNSt15iterator_traitsISE_E10value_typeEPNSK_ISF_E10value_typeEPSG_NS1_7vsmem_tEENKUlT_SE_SF_SG_E_clIS8_S8_S9_S9_EESD_ST_SE_SF_SG_EUlST_E0_NS1_11comp_targetILNS1_3genE8ELNS1_11target_archE1030ELNS1_3gpuE2ELNS1_3repE0EEENS1_38merge_mergepath_config_static_selectorELNS0_4arch9wavefront6targetE0EEEvSF_
    .private_segment_fixed_size: 0
    .sgpr_count:     0
    .sgpr_spill_count: 0
    .symbol:         _ZN7rocprim17ROCPRIM_400000_NS6detail17trampoline_kernelINS0_14default_configENS1_38merge_sort_block_merge_config_selectorIiNS0_10empty_typeEEEZZNS1_27merge_sort_block_merge_implIS3_PiPS5_jNS1_19radix_merge_compareILb0ELb1EiNS0_19identity_decomposerEEEEE10hipError_tT0_T1_T2_jT3_P12ihipStream_tbPNSt15iterator_traitsISE_E10value_typeEPNSK_ISF_E10value_typeEPSG_NS1_7vsmem_tEENKUlT_SE_SF_SG_E_clIS8_S8_S9_S9_EESD_ST_SE_SF_SG_EUlST_E0_NS1_11comp_targetILNS1_3genE8ELNS1_11target_archE1030ELNS1_3gpuE2ELNS1_3repE0EEENS1_38merge_mergepath_config_static_selectorELNS0_4arch9wavefront6targetE0EEEvSF_.kd
    .uniform_work_group_size: 1
    .uses_dynamic_stack: false
    .vgpr_count:     0
    .vgpr_spill_count: 0
    .wavefront_size: 32
  - .args:
      - .offset:         0
        .size:           48
        .value_kind:     by_value
    .group_segment_fixed_size: 0
    .kernarg_segment_align: 8
    .kernarg_segment_size: 48
    .language:       OpenCL C
    .language_version:
      - 2
      - 0
    .max_flat_workgroup_size: 256
    .name:           _ZN7rocprim17ROCPRIM_400000_NS6detail17trampoline_kernelINS0_14default_configENS1_38merge_sort_block_merge_config_selectorIiNS0_10empty_typeEEEZZNS1_27merge_sort_block_merge_implIS3_PiPS5_jNS1_19radix_merge_compareILb0ELb1EiNS0_19identity_decomposerEEEEE10hipError_tT0_T1_T2_jT3_P12ihipStream_tbPNSt15iterator_traitsISE_E10value_typeEPNSK_ISF_E10value_typeEPSG_NS1_7vsmem_tEENKUlT_SE_SF_SG_E_clIS8_S8_S9_S9_EESD_ST_SE_SF_SG_EUlST_E1_NS1_11comp_targetILNS1_3genE0ELNS1_11target_archE4294967295ELNS1_3gpuE0ELNS1_3repE0EEENS1_36merge_oddeven_config_static_selectorELNS0_4arch9wavefront6targetE0EEEvSF_
    .private_segment_fixed_size: 0
    .sgpr_count:     20
    .sgpr_spill_count: 0
    .symbol:         _ZN7rocprim17ROCPRIM_400000_NS6detail17trampoline_kernelINS0_14default_configENS1_38merge_sort_block_merge_config_selectorIiNS0_10empty_typeEEEZZNS1_27merge_sort_block_merge_implIS3_PiPS5_jNS1_19radix_merge_compareILb0ELb1EiNS0_19identity_decomposerEEEEE10hipError_tT0_T1_T2_jT3_P12ihipStream_tbPNSt15iterator_traitsISE_E10value_typeEPNSK_ISF_E10value_typeEPSG_NS1_7vsmem_tEENKUlT_SE_SF_SG_E_clIS8_S8_S9_S9_EESD_ST_SE_SF_SG_EUlST_E1_NS1_11comp_targetILNS1_3genE0ELNS1_11target_archE4294967295ELNS1_3gpuE0ELNS1_3repE0EEENS1_36merge_oddeven_config_static_selectorELNS0_4arch9wavefront6targetE0EEEvSF_.kd
    .uniform_work_group_size: 1
    .uses_dynamic_stack: false
    .vgpr_count:     8
    .vgpr_spill_count: 0
    .wavefront_size: 32
  - .args:
      - .offset:         0
        .size:           48
        .value_kind:     by_value
    .group_segment_fixed_size: 0
    .kernarg_segment_align: 8
    .kernarg_segment_size: 48
    .language:       OpenCL C
    .language_version:
      - 2
      - 0
    .max_flat_workgroup_size: 256
    .name:           _ZN7rocprim17ROCPRIM_400000_NS6detail17trampoline_kernelINS0_14default_configENS1_38merge_sort_block_merge_config_selectorIiNS0_10empty_typeEEEZZNS1_27merge_sort_block_merge_implIS3_PiPS5_jNS1_19radix_merge_compareILb0ELb1EiNS0_19identity_decomposerEEEEE10hipError_tT0_T1_T2_jT3_P12ihipStream_tbPNSt15iterator_traitsISE_E10value_typeEPNSK_ISF_E10value_typeEPSG_NS1_7vsmem_tEENKUlT_SE_SF_SG_E_clIS8_S8_S9_S9_EESD_ST_SE_SF_SG_EUlST_E1_NS1_11comp_targetILNS1_3genE10ELNS1_11target_archE1201ELNS1_3gpuE5ELNS1_3repE0EEENS1_36merge_oddeven_config_static_selectorELNS0_4arch9wavefront6targetE0EEEvSF_
    .private_segment_fixed_size: 0
    .sgpr_count:     0
    .sgpr_spill_count: 0
    .symbol:         _ZN7rocprim17ROCPRIM_400000_NS6detail17trampoline_kernelINS0_14default_configENS1_38merge_sort_block_merge_config_selectorIiNS0_10empty_typeEEEZZNS1_27merge_sort_block_merge_implIS3_PiPS5_jNS1_19radix_merge_compareILb0ELb1EiNS0_19identity_decomposerEEEEE10hipError_tT0_T1_T2_jT3_P12ihipStream_tbPNSt15iterator_traitsISE_E10value_typeEPNSK_ISF_E10value_typeEPSG_NS1_7vsmem_tEENKUlT_SE_SF_SG_E_clIS8_S8_S9_S9_EESD_ST_SE_SF_SG_EUlST_E1_NS1_11comp_targetILNS1_3genE10ELNS1_11target_archE1201ELNS1_3gpuE5ELNS1_3repE0EEENS1_36merge_oddeven_config_static_selectorELNS0_4arch9wavefront6targetE0EEEvSF_.kd
    .uniform_work_group_size: 1
    .uses_dynamic_stack: false
    .vgpr_count:     0
    .vgpr_spill_count: 0
    .wavefront_size: 32
  - .args:
      - .offset:         0
        .size:           48
        .value_kind:     by_value
    .group_segment_fixed_size: 0
    .kernarg_segment_align: 8
    .kernarg_segment_size: 48
    .language:       OpenCL C
    .language_version:
      - 2
      - 0
    .max_flat_workgroup_size: 256
    .name:           _ZN7rocprim17ROCPRIM_400000_NS6detail17trampoline_kernelINS0_14default_configENS1_38merge_sort_block_merge_config_selectorIiNS0_10empty_typeEEEZZNS1_27merge_sort_block_merge_implIS3_PiPS5_jNS1_19radix_merge_compareILb0ELb1EiNS0_19identity_decomposerEEEEE10hipError_tT0_T1_T2_jT3_P12ihipStream_tbPNSt15iterator_traitsISE_E10value_typeEPNSK_ISF_E10value_typeEPSG_NS1_7vsmem_tEENKUlT_SE_SF_SG_E_clIS8_S8_S9_S9_EESD_ST_SE_SF_SG_EUlST_E1_NS1_11comp_targetILNS1_3genE5ELNS1_11target_archE942ELNS1_3gpuE9ELNS1_3repE0EEENS1_36merge_oddeven_config_static_selectorELNS0_4arch9wavefront6targetE0EEEvSF_
    .private_segment_fixed_size: 0
    .sgpr_count:     0
    .sgpr_spill_count: 0
    .symbol:         _ZN7rocprim17ROCPRIM_400000_NS6detail17trampoline_kernelINS0_14default_configENS1_38merge_sort_block_merge_config_selectorIiNS0_10empty_typeEEEZZNS1_27merge_sort_block_merge_implIS3_PiPS5_jNS1_19radix_merge_compareILb0ELb1EiNS0_19identity_decomposerEEEEE10hipError_tT0_T1_T2_jT3_P12ihipStream_tbPNSt15iterator_traitsISE_E10value_typeEPNSK_ISF_E10value_typeEPSG_NS1_7vsmem_tEENKUlT_SE_SF_SG_E_clIS8_S8_S9_S9_EESD_ST_SE_SF_SG_EUlST_E1_NS1_11comp_targetILNS1_3genE5ELNS1_11target_archE942ELNS1_3gpuE9ELNS1_3repE0EEENS1_36merge_oddeven_config_static_selectorELNS0_4arch9wavefront6targetE0EEEvSF_.kd
    .uniform_work_group_size: 1
    .uses_dynamic_stack: false
    .vgpr_count:     0
    .vgpr_spill_count: 0
    .wavefront_size: 32
  - .args:
      - .offset:         0
        .size:           48
        .value_kind:     by_value
    .group_segment_fixed_size: 0
    .kernarg_segment_align: 8
    .kernarg_segment_size: 48
    .language:       OpenCL C
    .language_version:
      - 2
      - 0
    .max_flat_workgroup_size: 256
    .name:           _ZN7rocprim17ROCPRIM_400000_NS6detail17trampoline_kernelINS0_14default_configENS1_38merge_sort_block_merge_config_selectorIiNS0_10empty_typeEEEZZNS1_27merge_sort_block_merge_implIS3_PiPS5_jNS1_19radix_merge_compareILb0ELb1EiNS0_19identity_decomposerEEEEE10hipError_tT0_T1_T2_jT3_P12ihipStream_tbPNSt15iterator_traitsISE_E10value_typeEPNSK_ISF_E10value_typeEPSG_NS1_7vsmem_tEENKUlT_SE_SF_SG_E_clIS8_S8_S9_S9_EESD_ST_SE_SF_SG_EUlST_E1_NS1_11comp_targetILNS1_3genE4ELNS1_11target_archE910ELNS1_3gpuE8ELNS1_3repE0EEENS1_36merge_oddeven_config_static_selectorELNS0_4arch9wavefront6targetE0EEEvSF_
    .private_segment_fixed_size: 0
    .sgpr_count:     0
    .sgpr_spill_count: 0
    .symbol:         _ZN7rocprim17ROCPRIM_400000_NS6detail17trampoline_kernelINS0_14default_configENS1_38merge_sort_block_merge_config_selectorIiNS0_10empty_typeEEEZZNS1_27merge_sort_block_merge_implIS3_PiPS5_jNS1_19radix_merge_compareILb0ELb1EiNS0_19identity_decomposerEEEEE10hipError_tT0_T1_T2_jT3_P12ihipStream_tbPNSt15iterator_traitsISE_E10value_typeEPNSK_ISF_E10value_typeEPSG_NS1_7vsmem_tEENKUlT_SE_SF_SG_E_clIS8_S8_S9_S9_EESD_ST_SE_SF_SG_EUlST_E1_NS1_11comp_targetILNS1_3genE4ELNS1_11target_archE910ELNS1_3gpuE8ELNS1_3repE0EEENS1_36merge_oddeven_config_static_selectorELNS0_4arch9wavefront6targetE0EEEvSF_.kd
    .uniform_work_group_size: 1
    .uses_dynamic_stack: false
    .vgpr_count:     0
    .vgpr_spill_count: 0
    .wavefront_size: 32
  - .args:
      - .offset:         0
        .size:           48
        .value_kind:     by_value
    .group_segment_fixed_size: 0
    .kernarg_segment_align: 8
    .kernarg_segment_size: 48
    .language:       OpenCL C
    .language_version:
      - 2
      - 0
    .max_flat_workgroup_size: 256
    .name:           _ZN7rocprim17ROCPRIM_400000_NS6detail17trampoline_kernelINS0_14default_configENS1_38merge_sort_block_merge_config_selectorIiNS0_10empty_typeEEEZZNS1_27merge_sort_block_merge_implIS3_PiPS5_jNS1_19radix_merge_compareILb0ELb1EiNS0_19identity_decomposerEEEEE10hipError_tT0_T1_T2_jT3_P12ihipStream_tbPNSt15iterator_traitsISE_E10value_typeEPNSK_ISF_E10value_typeEPSG_NS1_7vsmem_tEENKUlT_SE_SF_SG_E_clIS8_S8_S9_S9_EESD_ST_SE_SF_SG_EUlST_E1_NS1_11comp_targetILNS1_3genE3ELNS1_11target_archE908ELNS1_3gpuE7ELNS1_3repE0EEENS1_36merge_oddeven_config_static_selectorELNS0_4arch9wavefront6targetE0EEEvSF_
    .private_segment_fixed_size: 0
    .sgpr_count:     0
    .sgpr_spill_count: 0
    .symbol:         _ZN7rocprim17ROCPRIM_400000_NS6detail17trampoline_kernelINS0_14default_configENS1_38merge_sort_block_merge_config_selectorIiNS0_10empty_typeEEEZZNS1_27merge_sort_block_merge_implIS3_PiPS5_jNS1_19radix_merge_compareILb0ELb1EiNS0_19identity_decomposerEEEEE10hipError_tT0_T1_T2_jT3_P12ihipStream_tbPNSt15iterator_traitsISE_E10value_typeEPNSK_ISF_E10value_typeEPSG_NS1_7vsmem_tEENKUlT_SE_SF_SG_E_clIS8_S8_S9_S9_EESD_ST_SE_SF_SG_EUlST_E1_NS1_11comp_targetILNS1_3genE3ELNS1_11target_archE908ELNS1_3gpuE7ELNS1_3repE0EEENS1_36merge_oddeven_config_static_selectorELNS0_4arch9wavefront6targetE0EEEvSF_.kd
    .uniform_work_group_size: 1
    .uses_dynamic_stack: false
    .vgpr_count:     0
    .vgpr_spill_count: 0
    .wavefront_size: 32
  - .args:
      - .offset:         0
        .size:           48
        .value_kind:     by_value
    .group_segment_fixed_size: 0
    .kernarg_segment_align: 8
    .kernarg_segment_size: 48
    .language:       OpenCL C
    .language_version:
      - 2
      - 0
    .max_flat_workgroup_size: 256
    .name:           _ZN7rocprim17ROCPRIM_400000_NS6detail17trampoline_kernelINS0_14default_configENS1_38merge_sort_block_merge_config_selectorIiNS0_10empty_typeEEEZZNS1_27merge_sort_block_merge_implIS3_PiPS5_jNS1_19radix_merge_compareILb0ELb1EiNS0_19identity_decomposerEEEEE10hipError_tT0_T1_T2_jT3_P12ihipStream_tbPNSt15iterator_traitsISE_E10value_typeEPNSK_ISF_E10value_typeEPSG_NS1_7vsmem_tEENKUlT_SE_SF_SG_E_clIS8_S8_S9_S9_EESD_ST_SE_SF_SG_EUlST_E1_NS1_11comp_targetILNS1_3genE2ELNS1_11target_archE906ELNS1_3gpuE6ELNS1_3repE0EEENS1_36merge_oddeven_config_static_selectorELNS0_4arch9wavefront6targetE0EEEvSF_
    .private_segment_fixed_size: 0
    .sgpr_count:     0
    .sgpr_spill_count: 0
    .symbol:         _ZN7rocprim17ROCPRIM_400000_NS6detail17trampoline_kernelINS0_14default_configENS1_38merge_sort_block_merge_config_selectorIiNS0_10empty_typeEEEZZNS1_27merge_sort_block_merge_implIS3_PiPS5_jNS1_19radix_merge_compareILb0ELb1EiNS0_19identity_decomposerEEEEE10hipError_tT0_T1_T2_jT3_P12ihipStream_tbPNSt15iterator_traitsISE_E10value_typeEPNSK_ISF_E10value_typeEPSG_NS1_7vsmem_tEENKUlT_SE_SF_SG_E_clIS8_S8_S9_S9_EESD_ST_SE_SF_SG_EUlST_E1_NS1_11comp_targetILNS1_3genE2ELNS1_11target_archE906ELNS1_3gpuE6ELNS1_3repE0EEENS1_36merge_oddeven_config_static_selectorELNS0_4arch9wavefront6targetE0EEEvSF_.kd
    .uniform_work_group_size: 1
    .uses_dynamic_stack: false
    .vgpr_count:     0
    .vgpr_spill_count: 0
    .wavefront_size: 32
  - .args:
      - .offset:         0
        .size:           48
        .value_kind:     by_value
    .group_segment_fixed_size: 0
    .kernarg_segment_align: 8
    .kernarg_segment_size: 48
    .language:       OpenCL C
    .language_version:
      - 2
      - 0
    .max_flat_workgroup_size: 256
    .name:           _ZN7rocprim17ROCPRIM_400000_NS6detail17trampoline_kernelINS0_14default_configENS1_38merge_sort_block_merge_config_selectorIiNS0_10empty_typeEEEZZNS1_27merge_sort_block_merge_implIS3_PiPS5_jNS1_19radix_merge_compareILb0ELb1EiNS0_19identity_decomposerEEEEE10hipError_tT0_T1_T2_jT3_P12ihipStream_tbPNSt15iterator_traitsISE_E10value_typeEPNSK_ISF_E10value_typeEPSG_NS1_7vsmem_tEENKUlT_SE_SF_SG_E_clIS8_S8_S9_S9_EESD_ST_SE_SF_SG_EUlST_E1_NS1_11comp_targetILNS1_3genE9ELNS1_11target_archE1100ELNS1_3gpuE3ELNS1_3repE0EEENS1_36merge_oddeven_config_static_selectorELNS0_4arch9wavefront6targetE0EEEvSF_
    .private_segment_fixed_size: 0
    .sgpr_count:     0
    .sgpr_spill_count: 0
    .symbol:         _ZN7rocprim17ROCPRIM_400000_NS6detail17trampoline_kernelINS0_14default_configENS1_38merge_sort_block_merge_config_selectorIiNS0_10empty_typeEEEZZNS1_27merge_sort_block_merge_implIS3_PiPS5_jNS1_19radix_merge_compareILb0ELb1EiNS0_19identity_decomposerEEEEE10hipError_tT0_T1_T2_jT3_P12ihipStream_tbPNSt15iterator_traitsISE_E10value_typeEPNSK_ISF_E10value_typeEPSG_NS1_7vsmem_tEENKUlT_SE_SF_SG_E_clIS8_S8_S9_S9_EESD_ST_SE_SF_SG_EUlST_E1_NS1_11comp_targetILNS1_3genE9ELNS1_11target_archE1100ELNS1_3gpuE3ELNS1_3repE0EEENS1_36merge_oddeven_config_static_selectorELNS0_4arch9wavefront6targetE0EEEvSF_.kd
    .uniform_work_group_size: 1
    .uses_dynamic_stack: false
    .vgpr_count:     0
    .vgpr_spill_count: 0
    .wavefront_size: 32
  - .args:
      - .offset:         0
        .size:           48
        .value_kind:     by_value
    .group_segment_fixed_size: 0
    .kernarg_segment_align: 8
    .kernarg_segment_size: 48
    .language:       OpenCL C
    .language_version:
      - 2
      - 0
    .max_flat_workgroup_size: 256
    .name:           _ZN7rocprim17ROCPRIM_400000_NS6detail17trampoline_kernelINS0_14default_configENS1_38merge_sort_block_merge_config_selectorIiNS0_10empty_typeEEEZZNS1_27merge_sort_block_merge_implIS3_PiPS5_jNS1_19radix_merge_compareILb0ELb1EiNS0_19identity_decomposerEEEEE10hipError_tT0_T1_T2_jT3_P12ihipStream_tbPNSt15iterator_traitsISE_E10value_typeEPNSK_ISF_E10value_typeEPSG_NS1_7vsmem_tEENKUlT_SE_SF_SG_E_clIS8_S8_S9_S9_EESD_ST_SE_SF_SG_EUlST_E1_NS1_11comp_targetILNS1_3genE8ELNS1_11target_archE1030ELNS1_3gpuE2ELNS1_3repE0EEENS1_36merge_oddeven_config_static_selectorELNS0_4arch9wavefront6targetE0EEEvSF_
    .private_segment_fixed_size: 0
    .sgpr_count:     0
    .sgpr_spill_count: 0
    .symbol:         _ZN7rocprim17ROCPRIM_400000_NS6detail17trampoline_kernelINS0_14default_configENS1_38merge_sort_block_merge_config_selectorIiNS0_10empty_typeEEEZZNS1_27merge_sort_block_merge_implIS3_PiPS5_jNS1_19radix_merge_compareILb0ELb1EiNS0_19identity_decomposerEEEEE10hipError_tT0_T1_T2_jT3_P12ihipStream_tbPNSt15iterator_traitsISE_E10value_typeEPNSK_ISF_E10value_typeEPSG_NS1_7vsmem_tEENKUlT_SE_SF_SG_E_clIS8_S8_S9_S9_EESD_ST_SE_SF_SG_EUlST_E1_NS1_11comp_targetILNS1_3genE8ELNS1_11target_archE1030ELNS1_3gpuE2ELNS1_3repE0EEENS1_36merge_oddeven_config_static_selectorELNS0_4arch9wavefront6targetE0EEEvSF_.kd
    .uniform_work_group_size: 1
    .uses_dynamic_stack: false
    .vgpr_count:     0
    .vgpr_spill_count: 0
    .wavefront_size: 32
  - .args:
      - .offset:         0
        .size:           48
        .value_kind:     by_value
    .group_segment_fixed_size: 16384
    .kernarg_segment_align: 8
    .kernarg_segment_size: 48
    .language:       OpenCL C
    .language_version:
      - 2
      - 0
    .max_flat_workgroup_size: 512
    .name:           _ZN7rocprim17ROCPRIM_400000_NS6detail17trampoline_kernelINS0_14default_configENS1_35radix_sort_onesweep_config_selectorIiNS0_10empty_typeEEEZNS1_34radix_sort_onesweep_global_offsetsIS3_Lb0EPKiPS5_mNS0_19identity_decomposerEEE10hipError_tT1_T2_PT3_SF_jT4_jjP12ihipStream_tbEUlT_E_NS1_11comp_targetILNS1_3genE0ELNS1_11target_archE4294967295ELNS1_3gpuE0ELNS1_3repE0EEENS1_52radix_sort_onesweep_histogram_config_static_selectorELNS0_4arch9wavefront6targetE0EEEvSD_
    .private_segment_fixed_size: 0
    .sgpr_count:     15
    .sgpr_spill_count: 0
    .symbol:         _ZN7rocprim17ROCPRIM_400000_NS6detail17trampoline_kernelINS0_14default_configENS1_35radix_sort_onesweep_config_selectorIiNS0_10empty_typeEEEZNS1_34radix_sort_onesweep_global_offsetsIS3_Lb0EPKiPS5_mNS0_19identity_decomposerEEE10hipError_tT1_T2_PT3_SF_jT4_jjP12ihipStream_tbEUlT_E_NS1_11comp_targetILNS1_3genE0ELNS1_11target_archE4294967295ELNS1_3gpuE0ELNS1_3repE0EEENS1_52radix_sort_onesweep_histogram_config_static_selectorELNS0_4arch9wavefront6targetE0EEEvSD_.kd
    .uniform_work_group_size: 1
    .uses_dynamic_stack: false
    .vgpr_count:     28
    .vgpr_spill_count: 0
    .wavefront_size: 32
  - .args:
      - .offset:         0
        .size:           48
        .value_kind:     by_value
    .group_segment_fixed_size: 0
    .kernarg_segment_align: 8
    .kernarg_segment_size: 48
    .language:       OpenCL C
    .language_version:
      - 2
      - 0
    .max_flat_workgroup_size: 1024
    .name:           _ZN7rocprim17ROCPRIM_400000_NS6detail17trampoline_kernelINS0_14default_configENS1_35radix_sort_onesweep_config_selectorIiNS0_10empty_typeEEEZNS1_34radix_sort_onesweep_global_offsetsIS3_Lb0EPKiPS5_mNS0_19identity_decomposerEEE10hipError_tT1_T2_PT3_SF_jT4_jjP12ihipStream_tbEUlT_E_NS1_11comp_targetILNS1_3genE6ELNS1_11target_archE950ELNS1_3gpuE13ELNS1_3repE0EEENS1_52radix_sort_onesweep_histogram_config_static_selectorELNS0_4arch9wavefront6targetE0EEEvSD_
    .private_segment_fixed_size: 0
    .sgpr_count:     0
    .sgpr_spill_count: 0
    .symbol:         _ZN7rocprim17ROCPRIM_400000_NS6detail17trampoline_kernelINS0_14default_configENS1_35radix_sort_onesweep_config_selectorIiNS0_10empty_typeEEEZNS1_34radix_sort_onesweep_global_offsetsIS3_Lb0EPKiPS5_mNS0_19identity_decomposerEEE10hipError_tT1_T2_PT3_SF_jT4_jjP12ihipStream_tbEUlT_E_NS1_11comp_targetILNS1_3genE6ELNS1_11target_archE950ELNS1_3gpuE13ELNS1_3repE0EEENS1_52radix_sort_onesweep_histogram_config_static_selectorELNS0_4arch9wavefront6targetE0EEEvSD_.kd
    .uniform_work_group_size: 1
    .uses_dynamic_stack: false
    .vgpr_count:     0
    .vgpr_spill_count: 0
    .wavefront_size: 32
  - .args:
      - .offset:         0
        .size:           48
        .value_kind:     by_value
    .group_segment_fixed_size: 0
    .kernarg_segment_align: 8
    .kernarg_segment_size: 48
    .language:       OpenCL C
    .language_version:
      - 2
      - 0
    .max_flat_workgroup_size: 1024
    .name:           _ZN7rocprim17ROCPRIM_400000_NS6detail17trampoline_kernelINS0_14default_configENS1_35radix_sort_onesweep_config_selectorIiNS0_10empty_typeEEEZNS1_34radix_sort_onesweep_global_offsetsIS3_Lb0EPKiPS5_mNS0_19identity_decomposerEEE10hipError_tT1_T2_PT3_SF_jT4_jjP12ihipStream_tbEUlT_E_NS1_11comp_targetILNS1_3genE5ELNS1_11target_archE942ELNS1_3gpuE9ELNS1_3repE0EEENS1_52radix_sort_onesweep_histogram_config_static_selectorELNS0_4arch9wavefront6targetE0EEEvSD_
    .private_segment_fixed_size: 0
    .sgpr_count:     0
    .sgpr_spill_count: 0
    .symbol:         _ZN7rocprim17ROCPRIM_400000_NS6detail17trampoline_kernelINS0_14default_configENS1_35radix_sort_onesweep_config_selectorIiNS0_10empty_typeEEEZNS1_34radix_sort_onesweep_global_offsetsIS3_Lb0EPKiPS5_mNS0_19identity_decomposerEEE10hipError_tT1_T2_PT3_SF_jT4_jjP12ihipStream_tbEUlT_E_NS1_11comp_targetILNS1_3genE5ELNS1_11target_archE942ELNS1_3gpuE9ELNS1_3repE0EEENS1_52radix_sort_onesweep_histogram_config_static_selectorELNS0_4arch9wavefront6targetE0EEEvSD_.kd
    .uniform_work_group_size: 1
    .uses_dynamic_stack: false
    .vgpr_count:     0
    .vgpr_spill_count: 0
    .wavefront_size: 32
  - .args:
      - .offset:         0
        .size:           48
        .value_kind:     by_value
    .group_segment_fixed_size: 0
    .kernarg_segment_align: 8
    .kernarg_segment_size: 48
    .language:       OpenCL C
    .language_version:
      - 2
      - 0
    .max_flat_workgroup_size: 1024
    .name:           _ZN7rocprim17ROCPRIM_400000_NS6detail17trampoline_kernelINS0_14default_configENS1_35radix_sort_onesweep_config_selectorIiNS0_10empty_typeEEEZNS1_34radix_sort_onesweep_global_offsetsIS3_Lb0EPKiPS5_mNS0_19identity_decomposerEEE10hipError_tT1_T2_PT3_SF_jT4_jjP12ihipStream_tbEUlT_E_NS1_11comp_targetILNS1_3genE2ELNS1_11target_archE906ELNS1_3gpuE6ELNS1_3repE0EEENS1_52radix_sort_onesweep_histogram_config_static_selectorELNS0_4arch9wavefront6targetE0EEEvSD_
    .private_segment_fixed_size: 0
    .sgpr_count:     0
    .sgpr_spill_count: 0
    .symbol:         _ZN7rocprim17ROCPRIM_400000_NS6detail17trampoline_kernelINS0_14default_configENS1_35radix_sort_onesweep_config_selectorIiNS0_10empty_typeEEEZNS1_34radix_sort_onesweep_global_offsetsIS3_Lb0EPKiPS5_mNS0_19identity_decomposerEEE10hipError_tT1_T2_PT3_SF_jT4_jjP12ihipStream_tbEUlT_E_NS1_11comp_targetILNS1_3genE2ELNS1_11target_archE906ELNS1_3gpuE6ELNS1_3repE0EEENS1_52radix_sort_onesweep_histogram_config_static_selectorELNS0_4arch9wavefront6targetE0EEEvSD_.kd
    .uniform_work_group_size: 1
    .uses_dynamic_stack: false
    .vgpr_count:     0
    .vgpr_spill_count: 0
    .wavefront_size: 32
  - .args:
      - .offset:         0
        .size:           48
        .value_kind:     by_value
    .group_segment_fixed_size: 0
    .kernarg_segment_align: 8
    .kernarg_segment_size: 48
    .language:       OpenCL C
    .language_version:
      - 2
      - 0
    .max_flat_workgroup_size: 1024
    .name:           _ZN7rocprim17ROCPRIM_400000_NS6detail17trampoline_kernelINS0_14default_configENS1_35radix_sort_onesweep_config_selectorIiNS0_10empty_typeEEEZNS1_34radix_sort_onesweep_global_offsetsIS3_Lb0EPKiPS5_mNS0_19identity_decomposerEEE10hipError_tT1_T2_PT3_SF_jT4_jjP12ihipStream_tbEUlT_E_NS1_11comp_targetILNS1_3genE4ELNS1_11target_archE910ELNS1_3gpuE8ELNS1_3repE0EEENS1_52radix_sort_onesweep_histogram_config_static_selectorELNS0_4arch9wavefront6targetE0EEEvSD_
    .private_segment_fixed_size: 0
    .sgpr_count:     0
    .sgpr_spill_count: 0
    .symbol:         _ZN7rocprim17ROCPRIM_400000_NS6detail17trampoline_kernelINS0_14default_configENS1_35radix_sort_onesweep_config_selectorIiNS0_10empty_typeEEEZNS1_34radix_sort_onesweep_global_offsetsIS3_Lb0EPKiPS5_mNS0_19identity_decomposerEEE10hipError_tT1_T2_PT3_SF_jT4_jjP12ihipStream_tbEUlT_E_NS1_11comp_targetILNS1_3genE4ELNS1_11target_archE910ELNS1_3gpuE8ELNS1_3repE0EEENS1_52radix_sort_onesweep_histogram_config_static_selectorELNS0_4arch9wavefront6targetE0EEEvSD_.kd
    .uniform_work_group_size: 1
    .uses_dynamic_stack: false
    .vgpr_count:     0
    .vgpr_spill_count: 0
    .wavefront_size: 32
  - .args:
      - .offset:         0
        .size:           48
        .value_kind:     by_value
    .group_segment_fixed_size: 0
    .kernarg_segment_align: 8
    .kernarg_segment_size: 48
    .language:       OpenCL C
    .language_version:
      - 2
      - 0
    .max_flat_workgroup_size: 512
    .name:           _ZN7rocprim17ROCPRIM_400000_NS6detail17trampoline_kernelINS0_14default_configENS1_35radix_sort_onesweep_config_selectorIiNS0_10empty_typeEEEZNS1_34radix_sort_onesweep_global_offsetsIS3_Lb0EPKiPS5_mNS0_19identity_decomposerEEE10hipError_tT1_T2_PT3_SF_jT4_jjP12ihipStream_tbEUlT_E_NS1_11comp_targetILNS1_3genE3ELNS1_11target_archE908ELNS1_3gpuE7ELNS1_3repE0EEENS1_52radix_sort_onesweep_histogram_config_static_selectorELNS0_4arch9wavefront6targetE0EEEvSD_
    .private_segment_fixed_size: 0
    .sgpr_count:     0
    .sgpr_spill_count: 0
    .symbol:         _ZN7rocprim17ROCPRIM_400000_NS6detail17trampoline_kernelINS0_14default_configENS1_35radix_sort_onesweep_config_selectorIiNS0_10empty_typeEEEZNS1_34radix_sort_onesweep_global_offsetsIS3_Lb0EPKiPS5_mNS0_19identity_decomposerEEE10hipError_tT1_T2_PT3_SF_jT4_jjP12ihipStream_tbEUlT_E_NS1_11comp_targetILNS1_3genE3ELNS1_11target_archE908ELNS1_3gpuE7ELNS1_3repE0EEENS1_52radix_sort_onesweep_histogram_config_static_selectorELNS0_4arch9wavefront6targetE0EEEvSD_.kd
    .uniform_work_group_size: 1
    .uses_dynamic_stack: false
    .vgpr_count:     0
    .vgpr_spill_count: 0
    .wavefront_size: 32
  - .args:
      - .offset:         0
        .size:           48
        .value_kind:     by_value
    .group_segment_fixed_size: 0
    .kernarg_segment_align: 8
    .kernarg_segment_size: 48
    .language:       OpenCL C
    .language_version:
      - 2
      - 0
    .max_flat_workgroup_size: 1024
    .name:           _ZN7rocprim17ROCPRIM_400000_NS6detail17trampoline_kernelINS0_14default_configENS1_35radix_sort_onesweep_config_selectorIiNS0_10empty_typeEEEZNS1_34radix_sort_onesweep_global_offsetsIS3_Lb0EPKiPS5_mNS0_19identity_decomposerEEE10hipError_tT1_T2_PT3_SF_jT4_jjP12ihipStream_tbEUlT_E_NS1_11comp_targetILNS1_3genE10ELNS1_11target_archE1201ELNS1_3gpuE5ELNS1_3repE0EEENS1_52radix_sort_onesweep_histogram_config_static_selectorELNS0_4arch9wavefront6targetE0EEEvSD_
    .private_segment_fixed_size: 0
    .sgpr_count:     0
    .sgpr_spill_count: 0
    .symbol:         _ZN7rocprim17ROCPRIM_400000_NS6detail17trampoline_kernelINS0_14default_configENS1_35radix_sort_onesweep_config_selectorIiNS0_10empty_typeEEEZNS1_34radix_sort_onesweep_global_offsetsIS3_Lb0EPKiPS5_mNS0_19identity_decomposerEEE10hipError_tT1_T2_PT3_SF_jT4_jjP12ihipStream_tbEUlT_E_NS1_11comp_targetILNS1_3genE10ELNS1_11target_archE1201ELNS1_3gpuE5ELNS1_3repE0EEENS1_52radix_sort_onesweep_histogram_config_static_selectorELNS0_4arch9wavefront6targetE0EEEvSD_.kd
    .uniform_work_group_size: 1
    .uses_dynamic_stack: false
    .vgpr_count:     0
    .vgpr_spill_count: 0
    .wavefront_size: 32
  - .args:
      - .offset:         0
        .size:           48
        .value_kind:     by_value
    .group_segment_fixed_size: 0
    .kernarg_segment_align: 8
    .kernarg_segment_size: 48
    .language:       OpenCL C
    .language_version:
      - 2
      - 0
    .max_flat_workgroup_size: 1024
    .name:           _ZN7rocprim17ROCPRIM_400000_NS6detail17trampoline_kernelINS0_14default_configENS1_35radix_sort_onesweep_config_selectorIiNS0_10empty_typeEEEZNS1_34radix_sort_onesweep_global_offsetsIS3_Lb0EPKiPS5_mNS0_19identity_decomposerEEE10hipError_tT1_T2_PT3_SF_jT4_jjP12ihipStream_tbEUlT_E_NS1_11comp_targetILNS1_3genE9ELNS1_11target_archE1100ELNS1_3gpuE3ELNS1_3repE0EEENS1_52radix_sort_onesweep_histogram_config_static_selectorELNS0_4arch9wavefront6targetE0EEEvSD_
    .private_segment_fixed_size: 0
    .sgpr_count:     0
    .sgpr_spill_count: 0
    .symbol:         _ZN7rocprim17ROCPRIM_400000_NS6detail17trampoline_kernelINS0_14default_configENS1_35radix_sort_onesweep_config_selectorIiNS0_10empty_typeEEEZNS1_34radix_sort_onesweep_global_offsetsIS3_Lb0EPKiPS5_mNS0_19identity_decomposerEEE10hipError_tT1_T2_PT3_SF_jT4_jjP12ihipStream_tbEUlT_E_NS1_11comp_targetILNS1_3genE9ELNS1_11target_archE1100ELNS1_3gpuE3ELNS1_3repE0EEENS1_52radix_sort_onesweep_histogram_config_static_selectorELNS0_4arch9wavefront6targetE0EEEvSD_.kd
    .uniform_work_group_size: 1
    .uses_dynamic_stack: false
    .vgpr_count:     0
    .vgpr_spill_count: 0
    .wavefront_size: 32
  - .args:
      - .offset:         0
        .size:           48
        .value_kind:     by_value
    .group_segment_fixed_size: 0
    .kernarg_segment_align: 8
    .kernarg_segment_size: 48
    .language:       OpenCL C
    .language_version:
      - 2
      - 0
    .max_flat_workgroup_size: 1024
    .name:           _ZN7rocprim17ROCPRIM_400000_NS6detail17trampoline_kernelINS0_14default_configENS1_35radix_sort_onesweep_config_selectorIiNS0_10empty_typeEEEZNS1_34radix_sort_onesweep_global_offsetsIS3_Lb0EPKiPS5_mNS0_19identity_decomposerEEE10hipError_tT1_T2_PT3_SF_jT4_jjP12ihipStream_tbEUlT_E_NS1_11comp_targetILNS1_3genE8ELNS1_11target_archE1030ELNS1_3gpuE2ELNS1_3repE0EEENS1_52radix_sort_onesweep_histogram_config_static_selectorELNS0_4arch9wavefront6targetE0EEEvSD_
    .private_segment_fixed_size: 0
    .sgpr_count:     0
    .sgpr_spill_count: 0
    .symbol:         _ZN7rocprim17ROCPRIM_400000_NS6detail17trampoline_kernelINS0_14default_configENS1_35radix_sort_onesweep_config_selectorIiNS0_10empty_typeEEEZNS1_34radix_sort_onesweep_global_offsetsIS3_Lb0EPKiPS5_mNS0_19identity_decomposerEEE10hipError_tT1_T2_PT3_SF_jT4_jjP12ihipStream_tbEUlT_E_NS1_11comp_targetILNS1_3genE8ELNS1_11target_archE1030ELNS1_3gpuE2ELNS1_3repE0EEENS1_52radix_sort_onesweep_histogram_config_static_selectorELNS0_4arch9wavefront6targetE0EEEvSD_.kd
    .uniform_work_group_size: 1
    .uses_dynamic_stack: false
    .vgpr_count:     0
    .vgpr_spill_count: 0
    .wavefront_size: 32
  - .args:
      - .address_space:  global
        .offset:         0
        .size:           8
        .value_kind:     global_buffer
    .group_segment_fixed_size: 128
    .kernarg_segment_align: 8
    .kernarg_segment_size: 8
    .language:       OpenCL C
    .language_version:
      - 2
      - 0
    .max_flat_workgroup_size: 512
    .name:           _ZN7rocprim17ROCPRIM_400000_NS6detail17trampoline_kernelINS0_14default_configENS1_35radix_sort_onesweep_config_selectorIiNS0_10empty_typeEEEZNS1_34radix_sort_onesweep_global_offsetsIS3_Lb0EPKiPS5_mNS0_19identity_decomposerEEE10hipError_tT1_T2_PT3_SF_jT4_jjP12ihipStream_tbEUlT_E0_NS1_11comp_targetILNS1_3genE0ELNS1_11target_archE4294967295ELNS1_3gpuE0ELNS1_3repE0EEENS1_52radix_sort_onesweep_histogram_config_static_selectorELNS0_4arch9wavefront6targetE0EEEvSD_
    .private_segment_fixed_size: 0
    .sgpr_count:     10
    .sgpr_spill_count: 0
    .symbol:         _ZN7rocprim17ROCPRIM_400000_NS6detail17trampoline_kernelINS0_14default_configENS1_35radix_sort_onesweep_config_selectorIiNS0_10empty_typeEEEZNS1_34radix_sort_onesweep_global_offsetsIS3_Lb0EPKiPS5_mNS0_19identity_decomposerEEE10hipError_tT1_T2_PT3_SF_jT4_jjP12ihipStream_tbEUlT_E0_NS1_11comp_targetILNS1_3genE0ELNS1_11target_archE4294967295ELNS1_3gpuE0ELNS1_3repE0EEENS1_52radix_sort_onesweep_histogram_config_static_selectorELNS0_4arch9wavefront6targetE0EEEvSD_.kd
    .uniform_work_group_size: 1
    .uses_dynamic_stack: false
    .vgpr_count:     14
    .vgpr_spill_count: 0
    .wavefront_size: 32
  - .args:
      - .address_space:  global
        .offset:         0
        .size:           8
        .value_kind:     global_buffer
    .group_segment_fixed_size: 0
    .kernarg_segment_align: 8
    .kernarg_segment_size: 8
    .language:       OpenCL C
    .language_version:
      - 2
      - 0
    .max_flat_workgroup_size: 1024
    .name:           _ZN7rocprim17ROCPRIM_400000_NS6detail17trampoline_kernelINS0_14default_configENS1_35radix_sort_onesweep_config_selectorIiNS0_10empty_typeEEEZNS1_34radix_sort_onesweep_global_offsetsIS3_Lb0EPKiPS5_mNS0_19identity_decomposerEEE10hipError_tT1_T2_PT3_SF_jT4_jjP12ihipStream_tbEUlT_E0_NS1_11comp_targetILNS1_3genE6ELNS1_11target_archE950ELNS1_3gpuE13ELNS1_3repE0EEENS1_52radix_sort_onesweep_histogram_config_static_selectorELNS0_4arch9wavefront6targetE0EEEvSD_
    .private_segment_fixed_size: 0
    .sgpr_count:     0
    .sgpr_spill_count: 0
    .symbol:         _ZN7rocprim17ROCPRIM_400000_NS6detail17trampoline_kernelINS0_14default_configENS1_35radix_sort_onesweep_config_selectorIiNS0_10empty_typeEEEZNS1_34radix_sort_onesweep_global_offsetsIS3_Lb0EPKiPS5_mNS0_19identity_decomposerEEE10hipError_tT1_T2_PT3_SF_jT4_jjP12ihipStream_tbEUlT_E0_NS1_11comp_targetILNS1_3genE6ELNS1_11target_archE950ELNS1_3gpuE13ELNS1_3repE0EEENS1_52radix_sort_onesweep_histogram_config_static_selectorELNS0_4arch9wavefront6targetE0EEEvSD_.kd
    .uniform_work_group_size: 1
    .uses_dynamic_stack: false
    .vgpr_count:     0
    .vgpr_spill_count: 0
    .wavefront_size: 32
  - .args:
      - .address_space:  global
        .offset:         0
        .size:           8
        .value_kind:     global_buffer
    .group_segment_fixed_size: 0
    .kernarg_segment_align: 8
    .kernarg_segment_size: 8
    .language:       OpenCL C
    .language_version:
      - 2
      - 0
    .max_flat_workgroup_size: 1024
    .name:           _ZN7rocprim17ROCPRIM_400000_NS6detail17trampoline_kernelINS0_14default_configENS1_35radix_sort_onesweep_config_selectorIiNS0_10empty_typeEEEZNS1_34radix_sort_onesweep_global_offsetsIS3_Lb0EPKiPS5_mNS0_19identity_decomposerEEE10hipError_tT1_T2_PT3_SF_jT4_jjP12ihipStream_tbEUlT_E0_NS1_11comp_targetILNS1_3genE5ELNS1_11target_archE942ELNS1_3gpuE9ELNS1_3repE0EEENS1_52radix_sort_onesweep_histogram_config_static_selectorELNS0_4arch9wavefront6targetE0EEEvSD_
    .private_segment_fixed_size: 0
    .sgpr_count:     0
    .sgpr_spill_count: 0
    .symbol:         _ZN7rocprim17ROCPRIM_400000_NS6detail17trampoline_kernelINS0_14default_configENS1_35radix_sort_onesweep_config_selectorIiNS0_10empty_typeEEEZNS1_34radix_sort_onesweep_global_offsetsIS3_Lb0EPKiPS5_mNS0_19identity_decomposerEEE10hipError_tT1_T2_PT3_SF_jT4_jjP12ihipStream_tbEUlT_E0_NS1_11comp_targetILNS1_3genE5ELNS1_11target_archE942ELNS1_3gpuE9ELNS1_3repE0EEENS1_52radix_sort_onesweep_histogram_config_static_selectorELNS0_4arch9wavefront6targetE0EEEvSD_.kd
    .uniform_work_group_size: 1
    .uses_dynamic_stack: false
    .vgpr_count:     0
    .vgpr_spill_count: 0
    .wavefront_size: 32
  - .args:
      - .address_space:  global
        .offset:         0
        .size:           8
        .value_kind:     global_buffer
    .group_segment_fixed_size: 0
    .kernarg_segment_align: 8
    .kernarg_segment_size: 8
    .language:       OpenCL C
    .language_version:
      - 2
      - 0
    .max_flat_workgroup_size: 1024
    .name:           _ZN7rocprim17ROCPRIM_400000_NS6detail17trampoline_kernelINS0_14default_configENS1_35radix_sort_onesweep_config_selectorIiNS0_10empty_typeEEEZNS1_34radix_sort_onesweep_global_offsetsIS3_Lb0EPKiPS5_mNS0_19identity_decomposerEEE10hipError_tT1_T2_PT3_SF_jT4_jjP12ihipStream_tbEUlT_E0_NS1_11comp_targetILNS1_3genE2ELNS1_11target_archE906ELNS1_3gpuE6ELNS1_3repE0EEENS1_52radix_sort_onesweep_histogram_config_static_selectorELNS0_4arch9wavefront6targetE0EEEvSD_
    .private_segment_fixed_size: 0
    .sgpr_count:     0
    .sgpr_spill_count: 0
    .symbol:         _ZN7rocprim17ROCPRIM_400000_NS6detail17trampoline_kernelINS0_14default_configENS1_35radix_sort_onesweep_config_selectorIiNS0_10empty_typeEEEZNS1_34radix_sort_onesweep_global_offsetsIS3_Lb0EPKiPS5_mNS0_19identity_decomposerEEE10hipError_tT1_T2_PT3_SF_jT4_jjP12ihipStream_tbEUlT_E0_NS1_11comp_targetILNS1_3genE2ELNS1_11target_archE906ELNS1_3gpuE6ELNS1_3repE0EEENS1_52radix_sort_onesweep_histogram_config_static_selectorELNS0_4arch9wavefront6targetE0EEEvSD_.kd
    .uniform_work_group_size: 1
    .uses_dynamic_stack: false
    .vgpr_count:     0
    .vgpr_spill_count: 0
    .wavefront_size: 32
  - .args:
      - .address_space:  global
        .offset:         0
        .size:           8
        .value_kind:     global_buffer
    .group_segment_fixed_size: 0
    .kernarg_segment_align: 8
    .kernarg_segment_size: 8
    .language:       OpenCL C
    .language_version:
      - 2
      - 0
    .max_flat_workgroup_size: 1024
    .name:           _ZN7rocprim17ROCPRIM_400000_NS6detail17trampoline_kernelINS0_14default_configENS1_35radix_sort_onesweep_config_selectorIiNS0_10empty_typeEEEZNS1_34radix_sort_onesweep_global_offsetsIS3_Lb0EPKiPS5_mNS0_19identity_decomposerEEE10hipError_tT1_T2_PT3_SF_jT4_jjP12ihipStream_tbEUlT_E0_NS1_11comp_targetILNS1_3genE4ELNS1_11target_archE910ELNS1_3gpuE8ELNS1_3repE0EEENS1_52radix_sort_onesweep_histogram_config_static_selectorELNS0_4arch9wavefront6targetE0EEEvSD_
    .private_segment_fixed_size: 0
    .sgpr_count:     0
    .sgpr_spill_count: 0
    .symbol:         _ZN7rocprim17ROCPRIM_400000_NS6detail17trampoline_kernelINS0_14default_configENS1_35radix_sort_onesweep_config_selectorIiNS0_10empty_typeEEEZNS1_34radix_sort_onesweep_global_offsetsIS3_Lb0EPKiPS5_mNS0_19identity_decomposerEEE10hipError_tT1_T2_PT3_SF_jT4_jjP12ihipStream_tbEUlT_E0_NS1_11comp_targetILNS1_3genE4ELNS1_11target_archE910ELNS1_3gpuE8ELNS1_3repE0EEENS1_52radix_sort_onesweep_histogram_config_static_selectorELNS0_4arch9wavefront6targetE0EEEvSD_.kd
    .uniform_work_group_size: 1
    .uses_dynamic_stack: false
    .vgpr_count:     0
    .vgpr_spill_count: 0
    .wavefront_size: 32
  - .args:
      - .address_space:  global
        .offset:         0
        .size:           8
        .value_kind:     global_buffer
    .group_segment_fixed_size: 0
    .kernarg_segment_align: 8
    .kernarg_segment_size: 8
    .language:       OpenCL C
    .language_version:
      - 2
      - 0
    .max_flat_workgroup_size: 512
    .name:           _ZN7rocprim17ROCPRIM_400000_NS6detail17trampoline_kernelINS0_14default_configENS1_35radix_sort_onesweep_config_selectorIiNS0_10empty_typeEEEZNS1_34radix_sort_onesweep_global_offsetsIS3_Lb0EPKiPS5_mNS0_19identity_decomposerEEE10hipError_tT1_T2_PT3_SF_jT4_jjP12ihipStream_tbEUlT_E0_NS1_11comp_targetILNS1_3genE3ELNS1_11target_archE908ELNS1_3gpuE7ELNS1_3repE0EEENS1_52radix_sort_onesweep_histogram_config_static_selectorELNS0_4arch9wavefront6targetE0EEEvSD_
    .private_segment_fixed_size: 0
    .sgpr_count:     0
    .sgpr_spill_count: 0
    .symbol:         _ZN7rocprim17ROCPRIM_400000_NS6detail17trampoline_kernelINS0_14default_configENS1_35radix_sort_onesweep_config_selectorIiNS0_10empty_typeEEEZNS1_34radix_sort_onesweep_global_offsetsIS3_Lb0EPKiPS5_mNS0_19identity_decomposerEEE10hipError_tT1_T2_PT3_SF_jT4_jjP12ihipStream_tbEUlT_E0_NS1_11comp_targetILNS1_3genE3ELNS1_11target_archE908ELNS1_3gpuE7ELNS1_3repE0EEENS1_52radix_sort_onesweep_histogram_config_static_selectorELNS0_4arch9wavefront6targetE0EEEvSD_.kd
    .uniform_work_group_size: 1
    .uses_dynamic_stack: false
    .vgpr_count:     0
    .vgpr_spill_count: 0
    .wavefront_size: 32
  - .args:
      - .address_space:  global
        .offset:         0
        .size:           8
        .value_kind:     global_buffer
    .group_segment_fixed_size: 0
    .kernarg_segment_align: 8
    .kernarg_segment_size: 8
    .language:       OpenCL C
    .language_version:
      - 2
      - 0
    .max_flat_workgroup_size: 1024
    .name:           _ZN7rocprim17ROCPRIM_400000_NS6detail17trampoline_kernelINS0_14default_configENS1_35radix_sort_onesweep_config_selectorIiNS0_10empty_typeEEEZNS1_34radix_sort_onesweep_global_offsetsIS3_Lb0EPKiPS5_mNS0_19identity_decomposerEEE10hipError_tT1_T2_PT3_SF_jT4_jjP12ihipStream_tbEUlT_E0_NS1_11comp_targetILNS1_3genE10ELNS1_11target_archE1201ELNS1_3gpuE5ELNS1_3repE0EEENS1_52radix_sort_onesweep_histogram_config_static_selectorELNS0_4arch9wavefront6targetE0EEEvSD_
    .private_segment_fixed_size: 0
    .sgpr_count:     0
    .sgpr_spill_count: 0
    .symbol:         _ZN7rocprim17ROCPRIM_400000_NS6detail17trampoline_kernelINS0_14default_configENS1_35radix_sort_onesweep_config_selectorIiNS0_10empty_typeEEEZNS1_34radix_sort_onesweep_global_offsetsIS3_Lb0EPKiPS5_mNS0_19identity_decomposerEEE10hipError_tT1_T2_PT3_SF_jT4_jjP12ihipStream_tbEUlT_E0_NS1_11comp_targetILNS1_3genE10ELNS1_11target_archE1201ELNS1_3gpuE5ELNS1_3repE0EEENS1_52radix_sort_onesweep_histogram_config_static_selectorELNS0_4arch9wavefront6targetE0EEEvSD_.kd
    .uniform_work_group_size: 1
    .uses_dynamic_stack: false
    .vgpr_count:     0
    .vgpr_spill_count: 0
    .wavefront_size: 32
  - .args:
      - .address_space:  global
        .offset:         0
        .size:           8
        .value_kind:     global_buffer
    .group_segment_fixed_size: 0
    .kernarg_segment_align: 8
    .kernarg_segment_size: 8
    .language:       OpenCL C
    .language_version:
      - 2
      - 0
    .max_flat_workgroup_size: 1024
    .name:           _ZN7rocprim17ROCPRIM_400000_NS6detail17trampoline_kernelINS0_14default_configENS1_35radix_sort_onesweep_config_selectorIiNS0_10empty_typeEEEZNS1_34radix_sort_onesweep_global_offsetsIS3_Lb0EPKiPS5_mNS0_19identity_decomposerEEE10hipError_tT1_T2_PT3_SF_jT4_jjP12ihipStream_tbEUlT_E0_NS1_11comp_targetILNS1_3genE9ELNS1_11target_archE1100ELNS1_3gpuE3ELNS1_3repE0EEENS1_52radix_sort_onesweep_histogram_config_static_selectorELNS0_4arch9wavefront6targetE0EEEvSD_
    .private_segment_fixed_size: 0
    .sgpr_count:     0
    .sgpr_spill_count: 0
    .symbol:         _ZN7rocprim17ROCPRIM_400000_NS6detail17trampoline_kernelINS0_14default_configENS1_35radix_sort_onesweep_config_selectorIiNS0_10empty_typeEEEZNS1_34radix_sort_onesweep_global_offsetsIS3_Lb0EPKiPS5_mNS0_19identity_decomposerEEE10hipError_tT1_T2_PT3_SF_jT4_jjP12ihipStream_tbEUlT_E0_NS1_11comp_targetILNS1_3genE9ELNS1_11target_archE1100ELNS1_3gpuE3ELNS1_3repE0EEENS1_52radix_sort_onesweep_histogram_config_static_selectorELNS0_4arch9wavefront6targetE0EEEvSD_.kd
    .uniform_work_group_size: 1
    .uses_dynamic_stack: false
    .vgpr_count:     0
    .vgpr_spill_count: 0
    .wavefront_size: 32
  - .args:
      - .address_space:  global
        .offset:         0
        .size:           8
        .value_kind:     global_buffer
    .group_segment_fixed_size: 0
    .kernarg_segment_align: 8
    .kernarg_segment_size: 8
    .language:       OpenCL C
    .language_version:
      - 2
      - 0
    .max_flat_workgroup_size: 1024
    .name:           _ZN7rocprim17ROCPRIM_400000_NS6detail17trampoline_kernelINS0_14default_configENS1_35radix_sort_onesweep_config_selectorIiNS0_10empty_typeEEEZNS1_34radix_sort_onesweep_global_offsetsIS3_Lb0EPKiPS5_mNS0_19identity_decomposerEEE10hipError_tT1_T2_PT3_SF_jT4_jjP12ihipStream_tbEUlT_E0_NS1_11comp_targetILNS1_3genE8ELNS1_11target_archE1030ELNS1_3gpuE2ELNS1_3repE0EEENS1_52radix_sort_onesweep_histogram_config_static_selectorELNS0_4arch9wavefront6targetE0EEEvSD_
    .private_segment_fixed_size: 0
    .sgpr_count:     0
    .sgpr_spill_count: 0
    .symbol:         _ZN7rocprim17ROCPRIM_400000_NS6detail17trampoline_kernelINS0_14default_configENS1_35radix_sort_onesweep_config_selectorIiNS0_10empty_typeEEEZNS1_34radix_sort_onesweep_global_offsetsIS3_Lb0EPKiPS5_mNS0_19identity_decomposerEEE10hipError_tT1_T2_PT3_SF_jT4_jjP12ihipStream_tbEUlT_E0_NS1_11comp_targetILNS1_3genE8ELNS1_11target_archE1030ELNS1_3gpuE2ELNS1_3repE0EEENS1_52radix_sort_onesweep_histogram_config_static_selectorELNS0_4arch9wavefront6targetE0EEEvSD_.kd
    .uniform_work_group_size: 1
    .uses_dynamic_stack: false
    .vgpr_count:     0
    .vgpr_spill_count: 0
    .wavefront_size: 32
  - .args:
      - .offset:         0
        .size:           88
        .value_kind:     by_value
      - .offset:         88
        .size:           4
        .value_kind:     hidden_block_count_x
      - .offset:         92
        .size:           4
        .value_kind:     hidden_block_count_y
      - .offset:         96
        .size:           4
        .value_kind:     hidden_block_count_z
      - .offset:         100
        .size:           2
        .value_kind:     hidden_group_size_x
      - .offset:         102
        .size:           2
        .value_kind:     hidden_group_size_y
      - .offset:         104
        .size:           2
        .value_kind:     hidden_group_size_z
      - .offset:         106
        .size:           2
        .value_kind:     hidden_remainder_x
      - .offset:         108
        .size:           2
        .value_kind:     hidden_remainder_y
      - .offset:         110
        .size:           2
        .value_kind:     hidden_remainder_z
      - .offset:         128
        .size:           8
        .value_kind:     hidden_global_offset_x
      - .offset:         136
        .size:           8
        .value_kind:     hidden_global_offset_y
      - .offset:         144
        .size:           8
        .value_kind:     hidden_global_offset_z
      - .offset:         152
        .size:           2
        .value_kind:     hidden_grid_dims
    .group_segment_fixed_size: 18504
    .kernarg_segment_align: 8
    .kernarg_segment_size: 344
    .language:       OpenCL C
    .language_version:
      - 2
      - 0
    .max_flat_workgroup_size: 512
    .name:           _ZN7rocprim17ROCPRIM_400000_NS6detail17trampoline_kernelINS0_14default_configENS1_35radix_sort_onesweep_config_selectorIiNS0_10empty_typeEEEZZNS1_29radix_sort_onesweep_iterationIS3_Lb0EPKiPiPS5_SB_mNS0_19identity_decomposerENS1_16block_id_wrapperIjLb1EEEEE10hipError_tT1_PNSt15iterator_traitsISG_E10value_typeET2_T3_PNSH_ISM_E10value_typeET4_T5_PSR_SS_PNS1_23onesweep_lookback_stateEbbT6_jjT7_P12ihipStream_tbENKUlT_T0_SG_SL_E_clIS9_SA_SB_SB_EEDaSZ_S10_SG_SL_EUlSZ_E_NS1_11comp_targetILNS1_3genE0ELNS1_11target_archE4294967295ELNS1_3gpuE0ELNS1_3repE0EEENS1_47radix_sort_onesweep_sort_config_static_selectorELNS0_4arch9wavefront6targetE0EEEvSG_
    .private_segment_fixed_size: 0
    .sgpr_count:     31
    .sgpr_spill_count: 0
    .symbol:         _ZN7rocprim17ROCPRIM_400000_NS6detail17trampoline_kernelINS0_14default_configENS1_35radix_sort_onesweep_config_selectorIiNS0_10empty_typeEEEZZNS1_29radix_sort_onesweep_iterationIS3_Lb0EPKiPiPS5_SB_mNS0_19identity_decomposerENS1_16block_id_wrapperIjLb1EEEEE10hipError_tT1_PNSt15iterator_traitsISG_E10value_typeET2_T3_PNSH_ISM_E10value_typeET4_T5_PSR_SS_PNS1_23onesweep_lookback_stateEbbT6_jjT7_P12ihipStream_tbENKUlT_T0_SG_SL_E_clIS9_SA_SB_SB_EEDaSZ_S10_SG_SL_EUlSZ_E_NS1_11comp_targetILNS1_3genE0ELNS1_11target_archE4294967295ELNS1_3gpuE0ELNS1_3repE0EEENS1_47radix_sort_onesweep_sort_config_static_selectorELNS0_4arch9wavefront6targetE0EEEvSG_.kd
    .uniform_work_group_size: 1
    .uses_dynamic_stack: false
    .vgpr_count:     65
    .vgpr_spill_count: 0
    .wavefront_size: 32
  - .args:
      - .offset:         0
        .size:           88
        .value_kind:     by_value
    .group_segment_fixed_size: 0
    .kernarg_segment_align: 8
    .kernarg_segment_size: 88
    .language:       OpenCL C
    .language_version:
      - 2
      - 0
    .max_flat_workgroup_size: 1024
    .name:           _ZN7rocprim17ROCPRIM_400000_NS6detail17trampoline_kernelINS0_14default_configENS1_35radix_sort_onesweep_config_selectorIiNS0_10empty_typeEEEZZNS1_29radix_sort_onesweep_iterationIS3_Lb0EPKiPiPS5_SB_mNS0_19identity_decomposerENS1_16block_id_wrapperIjLb1EEEEE10hipError_tT1_PNSt15iterator_traitsISG_E10value_typeET2_T3_PNSH_ISM_E10value_typeET4_T5_PSR_SS_PNS1_23onesweep_lookback_stateEbbT6_jjT7_P12ihipStream_tbENKUlT_T0_SG_SL_E_clIS9_SA_SB_SB_EEDaSZ_S10_SG_SL_EUlSZ_E_NS1_11comp_targetILNS1_3genE6ELNS1_11target_archE950ELNS1_3gpuE13ELNS1_3repE0EEENS1_47radix_sort_onesweep_sort_config_static_selectorELNS0_4arch9wavefront6targetE0EEEvSG_
    .private_segment_fixed_size: 0
    .sgpr_count:     0
    .sgpr_spill_count: 0
    .symbol:         _ZN7rocprim17ROCPRIM_400000_NS6detail17trampoline_kernelINS0_14default_configENS1_35radix_sort_onesweep_config_selectorIiNS0_10empty_typeEEEZZNS1_29radix_sort_onesweep_iterationIS3_Lb0EPKiPiPS5_SB_mNS0_19identity_decomposerENS1_16block_id_wrapperIjLb1EEEEE10hipError_tT1_PNSt15iterator_traitsISG_E10value_typeET2_T3_PNSH_ISM_E10value_typeET4_T5_PSR_SS_PNS1_23onesweep_lookback_stateEbbT6_jjT7_P12ihipStream_tbENKUlT_T0_SG_SL_E_clIS9_SA_SB_SB_EEDaSZ_S10_SG_SL_EUlSZ_E_NS1_11comp_targetILNS1_3genE6ELNS1_11target_archE950ELNS1_3gpuE13ELNS1_3repE0EEENS1_47radix_sort_onesweep_sort_config_static_selectorELNS0_4arch9wavefront6targetE0EEEvSG_.kd
    .uniform_work_group_size: 1
    .uses_dynamic_stack: false
    .vgpr_count:     0
    .vgpr_spill_count: 0
    .wavefront_size: 32
  - .args:
      - .offset:         0
        .size:           88
        .value_kind:     by_value
    .group_segment_fixed_size: 0
    .kernarg_segment_align: 8
    .kernarg_segment_size: 88
    .language:       OpenCL C
    .language_version:
      - 2
      - 0
    .max_flat_workgroup_size: 1024
    .name:           _ZN7rocprim17ROCPRIM_400000_NS6detail17trampoline_kernelINS0_14default_configENS1_35radix_sort_onesweep_config_selectorIiNS0_10empty_typeEEEZZNS1_29radix_sort_onesweep_iterationIS3_Lb0EPKiPiPS5_SB_mNS0_19identity_decomposerENS1_16block_id_wrapperIjLb1EEEEE10hipError_tT1_PNSt15iterator_traitsISG_E10value_typeET2_T3_PNSH_ISM_E10value_typeET4_T5_PSR_SS_PNS1_23onesweep_lookback_stateEbbT6_jjT7_P12ihipStream_tbENKUlT_T0_SG_SL_E_clIS9_SA_SB_SB_EEDaSZ_S10_SG_SL_EUlSZ_E_NS1_11comp_targetILNS1_3genE5ELNS1_11target_archE942ELNS1_3gpuE9ELNS1_3repE0EEENS1_47radix_sort_onesweep_sort_config_static_selectorELNS0_4arch9wavefront6targetE0EEEvSG_
    .private_segment_fixed_size: 0
    .sgpr_count:     0
    .sgpr_spill_count: 0
    .symbol:         _ZN7rocprim17ROCPRIM_400000_NS6detail17trampoline_kernelINS0_14default_configENS1_35radix_sort_onesweep_config_selectorIiNS0_10empty_typeEEEZZNS1_29radix_sort_onesweep_iterationIS3_Lb0EPKiPiPS5_SB_mNS0_19identity_decomposerENS1_16block_id_wrapperIjLb1EEEEE10hipError_tT1_PNSt15iterator_traitsISG_E10value_typeET2_T3_PNSH_ISM_E10value_typeET4_T5_PSR_SS_PNS1_23onesweep_lookback_stateEbbT6_jjT7_P12ihipStream_tbENKUlT_T0_SG_SL_E_clIS9_SA_SB_SB_EEDaSZ_S10_SG_SL_EUlSZ_E_NS1_11comp_targetILNS1_3genE5ELNS1_11target_archE942ELNS1_3gpuE9ELNS1_3repE0EEENS1_47radix_sort_onesweep_sort_config_static_selectorELNS0_4arch9wavefront6targetE0EEEvSG_.kd
    .uniform_work_group_size: 1
    .uses_dynamic_stack: false
    .vgpr_count:     0
    .vgpr_spill_count: 0
    .wavefront_size: 32
  - .args:
      - .offset:         0
        .size:           88
        .value_kind:     by_value
    .group_segment_fixed_size: 0
    .kernarg_segment_align: 8
    .kernarg_segment_size: 88
    .language:       OpenCL C
    .language_version:
      - 2
      - 0
    .max_flat_workgroup_size: 1024
    .name:           _ZN7rocprim17ROCPRIM_400000_NS6detail17trampoline_kernelINS0_14default_configENS1_35radix_sort_onesweep_config_selectorIiNS0_10empty_typeEEEZZNS1_29radix_sort_onesweep_iterationIS3_Lb0EPKiPiPS5_SB_mNS0_19identity_decomposerENS1_16block_id_wrapperIjLb1EEEEE10hipError_tT1_PNSt15iterator_traitsISG_E10value_typeET2_T3_PNSH_ISM_E10value_typeET4_T5_PSR_SS_PNS1_23onesweep_lookback_stateEbbT6_jjT7_P12ihipStream_tbENKUlT_T0_SG_SL_E_clIS9_SA_SB_SB_EEDaSZ_S10_SG_SL_EUlSZ_E_NS1_11comp_targetILNS1_3genE2ELNS1_11target_archE906ELNS1_3gpuE6ELNS1_3repE0EEENS1_47radix_sort_onesweep_sort_config_static_selectorELNS0_4arch9wavefront6targetE0EEEvSG_
    .private_segment_fixed_size: 0
    .sgpr_count:     0
    .sgpr_spill_count: 0
    .symbol:         _ZN7rocprim17ROCPRIM_400000_NS6detail17trampoline_kernelINS0_14default_configENS1_35radix_sort_onesweep_config_selectorIiNS0_10empty_typeEEEZZNS1_29radix_sort_onesweep_iterationIS3_Lb0EPKiPiPS5_SB_mNS0_19identity_decomposerENS1_16block_id_wrapperIjLb1EEEEE10hipError_tT1_PNSt15iterator_traitsISG_E10value_typeET2_T3_PNSH_ISM_E10value_typeET4_T5_PSR_SS_PNS1_23onesweep_lookback_stateEbbT6_jjT7_P12ihipStream_tbENKUlT_T0_SG_SL_E_clIS9_SA_SB_SB_EEDaSZ_S10_SG_SL_EUlSZ_E_NS1_11comp_targetILNS1_3genE2ELNS1_11target_archE906ELNS1_3gpuE6ELNS1_3repE0EEENS1_47radix_sort_onesweep_sort_config_static_selectorELNS0_4arch9wavefront6targetE0EEEvSG_.kd
    .uniform_work_group_size: 1
    .uses_dynamic_stack: false
    .vgpr_count:     0
    .vgpr_spill_count: 0
    .wavefront_size: 32
  - .args:
      - .offset:         0
        .size:           88
        .value_kind:     by_value
    .group_segment_fixed_size: 0
    .kernarg_segment_align: 8
    .kernarg_segment_size: 88
    .language:       OpenCL C
    .language_version:
      - 2
      - 0
    .max_flat_workgroup_size: 1024
    .name:           _ZN7rocprim17ROCPRIM_400000_NS6detail17trampoline_kernelINS0_14default_configENS1_35radix_sort_onesweep_config_selectorIiNS0_10empty_typeEEEZZNS1_29radix_sort_onesweep_iterationIS3_Lb0EPKiPiPS5_SB_mNS0_19identity_decomposerENS1_16block_id_wrapperIjLb1EEEEE10hipError_tT1_PNSt15iterator_traitsISG_E10value_typeET2_T3_PNSH_ISM_E10value_typeET4_T5_PSR_SS_PNS1_23onesweep_lookback_stateEbbT6_jjT7_P12ihipStream_tbENKUlT_T0_SG_SL_E_clIS9_SA_SB_SB_EEDaSZ_S10_SG_SL_EUlSZ_E_NS1_11comp_targetILNS1_3genE4ELNS1_11target_archE910ELNS1_3gpuE8ELNS1_3repE0EEENS1_47radix_sort_onesweep_sort_config_static_selectorELNS0_4arch9wavefront6targetE0EEEvSG_
    .private_segment_fixed_size: 0
    .sgpr_count:     0
    .sgpr_spill_count: 0
    .symbol:         _ZN7rocprim17ROCPRIM_400000_NS6detail17trampoline_kernelINS0_14default_configENS1_35radix_sort_onesweep_config_selectorIiNS0_10empty_typeEEEZZNS1_29radix_sort_onesweep_iterationIS3_Lb0EPKiPiPS5_SB_mNS0_19identity_decomposerENS1_16block_id_wrapperIjLb1EEEEE10hipError_tT1_PNSt15iterator_traitsISG_E10value_typeET2_T3_PNSH_ISM_E10value_typeET4_T5_PSR_SS_PNS1_23onesweep_lookback_stateEbbT6_jjT7_P12ihipStream_tbENKUlT_T0_SG_SL_E_clIS9_SA_SB_SB_EEDaSZ_S10_SG_SL_EUlSZ_E_NS1_11comp_targetILNS1_3genE4ELNS1_11target_archE910ELNS1_3gpuE8ELNS1_3repE0EEENS1_47radix_sort_onesweep_sort_config_static_selectorELNS0_4arch9wavefront6targetE0EEEvSG_.kd
    .uniform_work_group_size: 1
    .uses_dynamic_stack: false
    .vgpr_count:     0
    .vgpr_spill_count: 0
    .wavefront_size: 32
  - .args:
      - .offset:         0
        .size:           88
        .value_kind:     by_value
    .group_segment_fixed_size: 0
    .kernarg_segment_align: 8
    .kernarg_segment_size: 88
    .language:       OpenCL C
    .language_version:
      - 2
      - 0
    .max_flat_workgroup_size: 512
    .name:           _ZN7rocprim17ROCPRIM_400000_NS6detail17trampoline_kernelINS0_14default_configENS1_35radix_sort_onesweep_config_selectorIiNS0_10empty_typeEEEZZNS1_29radix_sort_onesweep_iterationIS3_Lb0EPKiPiPS5_SB_mNS0_19identity_decomposerENS1_16block_id_wrapperIjLb1EEEEE10hipError_tT1_PNSt15iterator_traitsISG_E10value_typeET2_T3_PNSH_ISM_E10value_typeET4_T5_PSR_SS_PNS1_23onesweep_lookback_stateEbbT6_jjT7_P12ihipStream_tbENKUlT_T0_SG_SL_E_clIS9_SA_SB_SB_EEDaSZ_S10_SG_SL_EUlSZ_E_NS1_11comp_targetILNS1_3genE3ELNS1_11target_archE908ELNS1_3gpuE7ELNS1_3repE0EEENS1_47radix_sort_onesweep_sort_config_static_selectorELNS0_4arch9wavefront6targetE0EEEvSG_
    .private_segment_fixed_size: 0
    .sgpr_count:     0
    .sgpr_spill_count: 0
    .symbol:         _ZN7rocprim17ROCPRIM_400000_NS6detail17trampoline_kernelINS0_14default_configENS1_35radix_sort_onesweep_config_selectorIiNS0_10empty_typeEEEZZNS1_29radix_sort_onesweep_iterationIS3_Lb0EPKiPiPS5_SB_mNS0_19identity_decomposerENS1_16block_id_wrapperIjLb1EEEEE10hipError_tT1_PNSt15iterator_traitsISG_E10value_typeET2_T3_PNSH_ISM_E10value_typeET4_T5_PSR_SS_PNS1_23onesweep_lookback_stateEbbT6_jjT7_P12ihipStream_tbENKUlT_T0_SG_SL_E_clIS9_SA_SB_SB_EEDaSZ_S10_SG_SL_EUlSZ_E_NS1_11comp_targetILNS1_3genE3ELNS1_11target_archE908ELNS1_3gpuE7ELNS1_3repE0EEENS1_47radix_sort_onesweep_sort_config_static_selectorELNS0_4arch9wavefront6targetE0EEEvSG_.kd
    .uniform_work_group_size: 1
    .uses_dynamic_stack: false
    .vgpr_count:     0
    .vgpr_spill_count: 0
    .wavefront_size: 32
  - .args:
      - .offset:         0
        .size:           88
        .value_kind:     by_value
    .group_segment_fixed_size: 0
    .kernarg_segment_align: 8
    .kernarg_segment_size: 88
    .language:       OpenCL C
    .language_version:
      - 2
      - 0
    .max_flat_workgroup_size: 1024
    .name:           _ZN7rocprim17ROCPRIM_400000_NS6detail17trampoline_kernelINS0_14default_configENS1_35radix_sort_onesweep_config_selectorIiNS0_10empty_typeEEEZZNS1_29radix_sort_onesweep_iterationIS3_Lb0EPKiPiPS5_SB_mNS0_19identity_decomposerENS1_16block_id_wrapperIjLb1EEEEE10hipError_tT1_PNSt15iterator_traitsISG_E10value_typeET2_T3_PNSH_ISM_E10value_typeET4_T5_PSR_SS_PNS1_23onesweep_lookback_stateEbbT6_jjT7_P12ihipStream_tbENKUlT_T0_SG_SL_E_clIS9_SA_SB_SB_EEDaSZ_S10_SG_SL_EUlSZ_E_NS1_11comp_targetILNS1_3genE10ELNS1_11target_archE1201ELNS1_3gpuE5ELNS1_3repE0EEENS1_47radix_sort_onesweep_sort_config_static_selectorELNS0_4arch9wavefront6targetE0EEEvSG_
    .private_segment_fixed_size: 0
    .sgpr_count:     0
    .sgpr_spill_count: 0
    .symbol:         _ZN7rocprim17ROCPRIM_400000_NS6detail17trampoline_kernelINS0_14default_configENS1_35radix_sort_onesweep_config_selectorIiNS0_10empty_typeEEEZZNS1_29radix_sort_onesweep_iterationIS3_Lb0EPKiPiPS5_SB_mNS0_19identity_decomposerENS1_16block_id_wrapperIjLb1EEEEE10hipError_tT1_PNSt15iterator_traitsISG_E10value_typeET2_T3_PNSH_ISM_E10value_typeET4_T5_PSR_SS_PNS1_23onesweep_lookback_stateEbbT6_jjT7_P12ihipStream_tbENKUlT_T0_SG_SL_E_clIS9_SA_SB_SB_EEDaSZ_S10_SG_SL_EUlSZ_E_NS1_11comp_targetILNS1_3genE10ELNS1_11target_archE1201ELNS1_3gpuE5ELNS1_3repE0EEENS1_47radix_sort_onesweep_sort_config_static_selectorELNS0_4arch9wavefront6targetE0EEEvSG_.kd
    .uniform_work_group_size: 1
    .uses_dynamic_stack: false
    .vgpr_count:     0
    .vgpr_spill_count: 0
    .wavefront_size: 32
  - .args:
      - .offset:         0
        .size:           88
        .value_kind:     by_value
    .group_segment_fixed_size: 0
    .kernarg_segment_align: 8
    .kernarg_segment_size: 88
    .language:       OpenCL C
    .language_version:
      - 2
      - 0
    .max_flat_workgroup_size: 1024
    .name:           _ZN7rocprim17ROCPRIM_400000_NS6detail17trampoline_kernelINS0_14default_configENS1_35radix_sort_onesweep_config_selectorIiNS0_10empty_typeEEEZZNS1_29radix_sort_onesweep_iterationIS3_Lb0EPKiPiPS5_SB_mNS0_19identity_decomposerENS1_16block_id_wrapperIjLb1EEEEE10hipError_tT1_PNSt15iterator_traitsISG_E10value_typeET2_T3_PNSH_ISM_E10value_typeET4_T5_PSR_SS_PNS1_23onesweep_lookback_stateEbbT6_jjT7_P12ihipStream_tbENKUlT_T0_SG_SL_E_clIS9_SA_SB_SB_EEDaSZ_S10_SG_SL_EUlSZ_E_NS1_11comp_targetILNS1_3genE9ELNS1_11target_archE1100ELNS1_3gpuE3ELNS1_3repE0EEENS1_47radix_sort_onesweep_sort_config_static_selectorELNS0_4arch9wavefront6targetE0EEEvSG_
    .private_segment_fixed_size: 0
    .sgpr_count:     0
    .sgpr_spill_count: 0
    .symbol:         _ZN7rocprim17ROCPRIM_400000_NS6detail17trampoline_kernelINS0_14default_configENS1_35radix_sort_onesweep_config_selectorIiNS0_10empty_typeEEEZZNS1_29radix_sort_onesweep_iterationIS3_Lb0EPKiPiPS5_SB_mNS0_19identity_decomposerENS1_16block_id_wrapperIjLb1EEEEE10hipError_tT1_PNSt15iterator_traitsISG_E10value_typeET2_T3_PNSH_ISM_E10value_typeET4_T5_PSR_SS_PNS1_23onesweep_lookback_stateEbbT6_jjT7_P12ihipStream_tbENKUlT_T0_SG_SL_E_clIS9_SA_SB_SB_EEDaSZ_S10_SG_SL_EUlSZ_E_NS1_11comp_targetILNS1_3genE9ELNS1_11target_archE1100ELNS1_3gpuE3ELNS1_3repE0EEENS1_47radix_sort_onesweep_sort_config_static_selectorELNS0_4arch9wavefront6targetE0EEEvSG_.kd
    .uniform_work_group_size: 1
    .uses_dynamic_stack: false
    .vgpr_count:     0
    .vgpr_spill_count: 0
    .wavefront_size: 32
  - .args:
      - .offset:         0
        .size:           88
        .value_kind:     by_value
    .group_segment_fixed_size: 0
    .kernarg_segment_align: 8
    .kernarg_segment_size: 88
    .language:       OpenCL C
    .language_version:
      - 2
      - 0
    .max_flat_workgroup_size: 1024
    .name:           _ZN7rocprim17ROCPRIM_400000_NS6detail17trampoline_kernelINS0_14default_configENS1_35radix_sort_onesweep_config_selectorIiNS0_10empty_typeEEEZZNS1_29radix_sort_onesweep_iterationIS3_Lb0EPKiPiPS5_SB_mNS0_19identity_decomposerENS1_16block_id_wrapperIjLb1EEEEE10hipError_tT1_PNSt15iterator_traitsISG_E10value_typeET2_T3_PNSH_ISM_E10value_typeET4_T5_PSR_SS_PNS1_23onesweep_lookback_stateEbbT6_jjT7_P12ihipStream_tbENKUlT_T0_SG_SL_E_clIS9_SA_SB_SB_EEDaSZ_S10_SG_SL_EUlSZ_E_NS1_11comp_targetILNS1_3genE8ELNS1_11target_archE1030ELNS1_3gpuE2ELNS1_3repE0EEENS1_47radix_sort_onesweep_sort_config_static_selectorELNS0_4arch9wavefront6targetE0EEEvSG_
    .private_segment_fixed_size: 0
    .sgpr_count:     0
    .sgpr_spill_count: 0
    .symbol:         _ZN7rocprim17ROCPRIM_400000_NS6detail17trampoline_kernelINS0_14default_configENS1_35radix_sort_onesweep_config_selectorIiNS0_10empty_typeEEEZZNS1_29radix_sort_onesweep_iterationIS3_Lb0EPKiPiPS5_SB_mNS0_19identity_decomposerENS1_16block_id_wrapperIjLb1EEEEE10hipError_tT1_PNSt15iterator_traitsISG_E10value_typeET2_T3_PNSH_ISM_E10value_typeET4_T5_PSR_SS_PNS1_23onesweep_lookback_stateEbbT6_jjT7_P12ihipStream_tbENKUlT_T0_SG_SL_E_clIS9_SA_SB_SB_EEDaSZ_S10_SG_SL_EUlSZ_E_NS1_11comp_targetILNS1_3genE8ELNS1_11target_archE1030ELNS1_3gpuE2ELNS1_3repE0EEENS1_47radix_sort_onesweep_sort_config_static_selectorELNS0_4arch9wavefront6targetE0EEEvSG_.kd
    .uniform_work_group_size: 1
    .uses_dynamic_stack: false
    .vgpr_count:     0
    .vgpr_spill_count: 0
    .wavefront_size: 32
  - .args:
      - .offset:         0
        .size:           88
        .value_kind:     by_value
      - .offset:         88
        .size:           4
        .value_kind:     hidden_block_count_x
      - .offset:         92
        .size:           4
        .value_kind:     hidden_block_count_y
      - .offset:         96
        .size:           4
        .value_kind:     hidden_block_count_z
      - .offset:         100
        .size:           2
        .value_kind:     hidden_group_size_x
      - .offset:         102
        .size:           2
        .value_kind:     hidden_group_size_y
      - .offset:         104
        .size:           2
        .value_kind:     hidden_group_size_z
      - .offset:         106
        .size:           2
        .value_kind:     hidden_remainder_x
      - .offset:         108
        .size:           2
        .value_kind:     hidden_remainder_y
      - .offset:         110
        .size:           2
        .value_kind:     hidden_remainder_z
      - .offset:         128
        .size:           8
        .value_kind:     hidden_global_offset_x
      - .offset:         136
        .size:           8
        .value_kind:     hidden_global_offset_y
      - .offset:         144
        .size:           8
        .value_kind:     hidden_global_offset_z
      - .offset:         152
        .size:           2
        .value_kind:     hidden_grid_dims
    .group_segment_fixed_size: 18504
    .kernarg_segment_align: 8
    .kernarg_segment_size: 344
    .language:       OpenCL C
    .language_version:
      - 2
      - 0
    .max_flat_workgroup_size: 512
    .name:           _ZN7rocprim17ROCPRIM_400000_NS6detail17trampoline_kernelINS0_14default_configENS1_35radix_sort_onesweep_config_selectorIiNS0_10empty_typeEEEZZNS1_29radix_sort_onesweep_iterationIS3_Lb0EPKiPiPS5_SB_mNS0_19identity_decomposerENS1_16block_id_wrapperIjLb1EEEEE10hipError_tT1_PNSt15iterator_traitsISG_E10value_typeET2_T3_PNSH_ISM_E10value_typeET4_T5_PSR_SS_PNS1_23onesweep_lookback_stateEbbT6_jjT7_P12ihipStream_tbENKUlT_T0_SG_SL_E_clISA_SA_SB_SB_EEDaSZ_S10_SG_SL_EUlSZ_E_NS1_11comp_targetILNS1_3genE0ELNS1_11target_archE4294967295ELNS1_3gpuE0ELNS1_3repE0EEENS1_47radix_sort_onesweep_sort_config_static_selectorELNS0_4arch9wavefront6targetE0EEEvSG_
    .private_segment_fixed_size: 0
    .sgpr_count:     31
    .sgpr_spill_count: 0
    .symbol:         _ZN7rocprim17ROCPRIM_400000_NS6detail17trampoline_kernelINS0_14default_configENS1_35radix_sort_onesweep_config_selectorIiNS0_10empty_typeEEEZZNS1_29radix_sort_onesweep_iterationIS3_Lb0EPKiPiPS5_SB_mNS0_19identity_decomposerENS1_16block_id_wrapperIjLb1EEEEE10hipError_tT1_PNSt15iterator_traitsISG_E10value_typeET2_T3_PNSH_ISM_E10value_typeET4_T5_PSR_SS_PNS1_23onesweep_lookback_stateEbbT6_jjT7_P12ihipStream_tbENKUlT_T0_SG_SL_E_clISA_SA_SB_SB_EEDaSZ_S10_SG_SL_EUlSZ_E_NS1_11comp_targetILNS1_3genE0ELNS1_11target_archE4294967295ELNS1_3gpuE0ELNS1_3repE0EEENS1_47radix_sort_onesweep_sort_config_static_selectorELNS0_4arch9wavefront6targetE0EEEvSG_.kd
    .uniform_work_group_size: 1
    .uses_dynamic_stack: false
    .vgpr_count:     65
    .vgpr_spill_count: 0
    .wavefront_size: 32
  - .args:
      - .offset:         0
        .size:           88
        .value_kind:     by_value
    .group_segment_fixed_size: 0
    .kernarg_segment_align: 8
    .kernarg_segment_size: 88
    .language:       OpenCL C
    .language_version:
      - 2
      - 0
    .max_flat_workgroup_size: 1024
    .name:           _ZN7rocprim17ROCPRIM_400000_NS6detail17trampoline_kernelINS0_14default_configENS1_35radix_sort_onesweep_config_selectorIiNS0_10empty_typeEEEZZNS1_29radix_sort_onesweep_iterationIS3_Lb0EPKiPiPS5_SB_mNS0_19identity_decomposerENS1_16block_id_wrapperIjLb1EEEEE10hipError_tT1_PNSt15iterator_traitsISG_E10value_typeET2_T3_PNSH_ISM_E10value_typeET4_T5_PSR_SS_PNS1_23onesweep_lookback_stateEbbT6_jjT7_P12ihipStream_tbENKUlT_T0_SG_SL_E_clISA_SA_SB_SB_EEDaSZ_S10_SG_SL_EUlSZ_E_NS1_11comp_targetILNS1_3genE6ELNS1_11target_archE950ELNS1_3gpuE13ELNS1_3repE0EEENS1_47radix_sort_onesweep_sort_config_static_selectorELNS0_4arch9wavefront6targetE0EEEvSG_
    .private_segment_fixed_size: 0
    .sgpr_count:     0
    .sgpr_spill_count: 0
    .symbol:         _ZN7rocprim17ROCPRIM_400000_NS6detail17trampoline_kernelINS0_14default_configENS1_35radix_sort_onesweep_config_selectorIiNS0_10empty_typeEEEZZNS1_29radix_sort_onesweep_iterationIS3_Lb0EPKiPiPS5_SB_mNS0_19identity_decomposerENS1_16block_id_wrapperIjLb1EEEEE10hipError_tT1_PNSt15iterator_traitsISG_E10value_typeET2_T3_PNSH_ISM_E10value_typeET4_T5_PSR_SS_PNS1_23onesweep_lookback_stateEbbT6_jjT7_P12ihipStream_tbENKUlT_T0_SG_SL_E_clISA_SA_SB_SB_EEDaSZ_S10_SG_SL_EUlSZ_E_NS1_11comp_targetILNS1_3genE6ELNS1_11target_archE950ELNS1_3gpuE13ELNS1_3repE0EEENS1_47radix_sort_onesweep_sort_config_static_selectorELNS0_4arch9wavefront6targetE0EEEvSG_.kd
    .uniform_work_group_size: 1
    .uses_dynamic_stack: false
    .vgpr_count:     0
    .vgpr_spill_count: 0
    .wavefront_size: 32
  - .args:
      - .offset:         0
        .size:           88
        .value_kind:     by_value
    .group_segment_fixed_size: 0
    .kernarg_segment_align: 8
    .kernarg_segment_size: 88
    .language:       OpenCL C
    .language_version:
      - 2
      - 0
    .max_flat_workgroup_size: 1024
    .name:           _ZN7rocprim17ROCPRIM_400000_NS6detail17trampoline_kernelINS0_14default_configENS1_35radix_sort_onesweep_config_selectorIiNS0_10empty_typeEEEZZNS1_29radix_sort_onesweep_iterationIS3_Lb0EPKiPiPS5_SB_mNS0_19identity_decomposerENS1_16block_id_wrapperIjLb1EEEEE10hipError_tT1_PNSt15iterator_traitsISG_E10value_typeET2_T3_PNSH_ISM_E10value_typeET4_T5_PSR_SS_PNS1_23onesweep_lookback_stateEbbT6_jjT7_P12ihipStream_tbENKUlT_T0_SG_SL_E_clISA_SA_SB_SB_EEDaSZ_S10_SG_SL_EUlSZ_E_NS1_11comp_targetILNS1_3genE5ELNS1_11target_archE942ELNS1_3gpuE9ELNS1_3repE0EEENS1_47radix_sort_onesweep_sort_config_static_selectorELNS0_4arch9wavefront6targetE0EEEvSG_
    .private_segment_fixed_size: 0
    .sgpr_count:     0
    .sgpr_spill_count: 0
    .symbol:         _ZN7rocprim17ROCPRIM_400000_NS6detail17trampoline_kernelINS0_14default_configENS1_35radix_sort_onesweep_config_selectorIiNS0_10empty_typeEEEZZNS1_29radix_sort_onesweep_iterationIS3_Lb0EPKiPiPS5_SB_mNS0_19identity_decomposerENS1_16block_id_wrapperIjLb1EEEEE10hipError_tT1_PNSt15iterator_traitsISG_E10value_typeET2_T3_PNSH_ISM_E10value_typeET4_T5_PSR_SS_PNS1_23onesweep_lookback_stateEbbT6_jjT7_P12ihipStream_tbENKUlT_T0_SG_SL_E_clISA_SA_SB_SB_EEDaSZ_S10_SG_SL_EUlSZ_E_NS1_11comp_targetILNS1_3genE5ELNS1_11target_archE942ELNS1_3gpuE9ELNS1_3repE0EEENS1_47radix_sort_onesweep_sort_config_static_selectorELNS0_4arch9wavefront6targetE0EEEvSG_.kd
    .uniform_work_group_size: 1
    .uses_dynamic_stack: false
    .vgpr_count:     0
    .vgpr_spill_count: 0
    .wavefront_size: 32
  - .args:
      - .offset:         0
        .size:           88
        .value_kind:     by_value
    .group_segment_fixed_size: 0
    .kernarg_segment_align: 8
    .kernarg_segment_size: 88
    .language:       OpenCL C
    .language_version:
      - 2
      - 0
    .max_flat_workgroup_size: 1024
    .name:           _ZN7rocprim17ROCPRIM_400000_NS6detail17trampoline_kernelINS0_14default_configENS1_35radix_sort_onesweep_config_selectorIiNS0_10empty_typeEEEZZNS1_29radix_sort_onesweep_iterationIS3_Lb0EPKiPiPS5_SB_mNS0_19identity_decomposerENS1_16block_id_wrapperIjLb1EEEEE10hipError_tT1_PNSt15iterator_traitsISG_E10value_typeET2_T3_PNSH_ISM_E10value_typeET4_T5_PSR_SS_PNS1_23onesweep_lookback_stateEbbT6_jjT7_P12ihipStream_tbENKUlT_T0_SG_SL_E_clISA_SA_SB_SB_EEDaSZ_S10_SG_SL_EUlSZ_E_NS1_11comp_targetILNS1_3genE2ELNS1_11target_archE906ELNS1_3gpuE6ELNS1_3repE0EEENS1_47radix_sort_onesweep_sort_config_static_selectorELNS0_4arch9wavefront6targetE0EEEvSG_
    .private_segment_fixed_size: 0
    .sgpr_count:     0
    .sgpr_spill_count: 0
    .symbol:         _ZN7rocprim17ROCPRIM_400000_NS6detail17trampoline_kernelINS0_14default_configENS1_35radix_sort_onesweep_config_selectorIiNS0_10empty_typeEEEZZNS1_29radix_sort_onesweep_iterationIS3_Lb0EPKiPiPS5_SB_mNS0_19identity_decomposerENS1_16block_id_wrapperIjLb1EEEEE10hipError_tT1_PNSt15iterator_traitsISG_E10value_typeET2_T3_PNSH_ISM_E10value_typeET4_T5_PSR_SS_PNS1_23onesweep_lookback_stateEbbT6_jjT7_P12ihipStream_tbENKUlT_T0_SG_SL_E_clISA_SA_SB_SB_EEDaSZ_S10_SG_SL_EUlSZ_E_NS1_11comp_targetILNS1_3genE2ELNS1_11target_archE906ELNS1_3gpuE6ELNS1_3repE0EEENS1_47radix_sort_onesweep_sort_config_static_selectorELNS0_4arch9wavefront6targetE0EEEvSG_.kd
    .uniform_work_group_size: 1
    .uses_dynamic_stack: false
    .vgpr_count:     0
    .vgpr_spill_count: 0
    .wavefront_size: 32
  - .args:
      - .offset:         0
        .size:           88
        .value_kind:     by_value
    .group_segment_fixed_size: 0
    .kernarg_segment_align: 8
    .kernarg_segment_size: 88
    .language:       OpenCL C
    .language_version:
      - 2
      - 0
    .max_flat_workgroup_size: 1024
    .name:           _ZN7rocprim17ROCPRIM_400000_NS6detail17trampoline_kernelINS0_14default_configENS1_35radix_sort_onesweep_config_selectorIiNS0_10empty_typeEEEZZNS1_29radix_sort_onesweep_iterationIS3_Lb0EPKiPiPS5_SB_mNS0_19identity_decomposerENS1_16block_id_wrapperIjLb1EEEEE10hipError_tT1_PNSt15iterator_traitsISG_E10value_typeET2_T3_PNSH_ISM_E10value_typeET4_T5_PSR_SS_PNS1_23onesweep_lookback_stateEbbT6_jjT7_P12ihipStream_tbENKUlT_T0_SG_SL_E_clISA_SA_SB_SB_EEDaSZ_S10_SG_SL_EUlSZ_E_NS1_11comp_targetILNS1_3genE4ELNS1_11target_archE910ELNS1_3gpuE8ELNS1_3repE0EEENS1_47radix_sort_onesweep_sort_config_static_selectorELNS0_4arch9wavefront6targetE0EEEvSG_
    .private_segment_fixed_size: 0
    .sgpr_count:     0
    .sgpr_spill_count: 0
    .symbol:         _ZN7rocprim17ROCPRIM_400000_NS6detail17trampoline_kernelINS0_14default_configENS1_35radix_sort_onesweep_config_selectorIiNS0_10empty_typeEEEZZNS1_29radix_sort_onesweep_iterationIS3_Lb0EPKiPiPS5_SB_mNS0_19identity_decomposerENS1_16block_id_wrapperIjLb1EEEEE10hipError_tT1_PNSt15iterator_traitsISG_E10value_typeET2_T3_PNSH_ISM_E10value_typeET4_T5_PSR_SS_PNS1_23onesweep_lookback_stateEbbT6_jjT7_P12ihipStream_tbENKUlT_T0_SG_SL_E_clISA_SA_SB_SB_EEDaSZ_S10_SG_SL_EUlSZ_E_NS1_11comp_targetILNS1_3genE4ELNS1_11target_archE910ELNS1_3gpuE8ELNS1_3repE0EEENS1_47radix_sort_onesweep_sort_config_static_selectorELNS0_4arch9wavefront6targetE0EEEvSG_.kd
    .uniform_work_group_size: 1
    .uses_dynamic_stack: false
    .vgpr_count:     0
    .vgpr_spill_count: 0
    .wavefront_size: 32
  - .args:
      - .offset:         0
        .size:           88
        .value_kind:     by_value
    .group_segment_fixed_size: 0
    .kernarg_segment_align: 8
    .kernarg_segment_size: 88
    .language:       OpenCL C
    .language_version:
      - 2
      - 0
    .max_flat_workgroup_size: 512
    .name:           _ZN7rocprim17ROCPRIM_400000_NS6detail17trampoline_kernelINS0_14default_configENS1_35radix_sort_onesweep_config_selectorIiNS0_10empty_typeEEEZZNS1_29radix_sort_onesweep_iterationIS3_Lb0EPKiPiPS5_SB_mNS0_19identity_decomposerENS1_16block_id_wrapperIjLb1EEEEE10hipError_tT1_PNSt15iterator_traitsISG_E10value_typeET2_T3_PNSH_ISM_E10value_typeET4_T5_PSR_SS_PNS1_23onesweep_lookback_stateEbbT6_jjT7_P12ihipStream_tbENKUlT_T0_SG_SL_E_clISA_SA_SB_SB_EEDaSZ_S10_SG_SL_EUlSZ_E_NS1_11comp_targetILNS1_3genE3ELNS1_11target_archE908ELNS1_3gpuE7ELNS1_3repE0EEENS1_47radix_sort_onesweep_sort_config_static_selectorELNS0_4arch9wavefront6targetE0EEEvSG_
    .private_segment_fixed_size: 0
    .sgpr_count:     0
    .sgpr_spill_count: 0
    .symbol:         _ZN7rocprim17ROCPRIM_400000_NS6detail17trampoline_kernelINS0_14default_configENS1_35radix_sort_onesweep_config_selectorIiNS0_10empty_typeEEEZZNS1_29radix_sort_onesweep_iterationIS3_Lb0EPKiPiPS5_SB_mNS0_19identity_decomposerENS1_16block_id_wrapperIjLb1EEEEE10hipError_tT1_PNSt15iterator_traitsISG_E10value_typeET2_T3_PNSH_ISM_E10value_typeET4_T5_PSR_SS_PNS1_23onesweep_lookback_stateEbbT6_jjT7_P12ihipStream_tbENKUlT_T0_SG_SL_E_clISA_SA_SB_SB_EEDaSZ_S10_SG_SL_EUlSZ_E_NS1_11comp_targetILNS1_3genE3ELNS1_11target_archE908ELNS1_3gpuE7ELNS1_3repE0EEENS1_47radix_sort_onesweep_sort_config_static_selectorELNS0_4arch9wavefront6targetE0EEEvSG_.kd
    .uniform_work_group_size: 1
    .uses_dynamic_stack: false
    .vgpr_count:     0
    .vgpr_spill_count: 0
    .wavefront_size: 32
  - .args:
      - .offset:         0
        .size:           88
        .value_kind:     by_value
    .group_segment_fixed_size: 0
    .kernarg_segment_align: 8
    .kernarg_segment_size: 88
    .language:       OpenCL C
    .language_version:
      - 2
      - 0
    .max_flat_workgroup_size: 1024
    .name:           _ZN7rocprim17ROCPRIM_400000_NS6detail17trampoline_kernelINS0_14default_configENS1_35radix_sort_onesweep_config_selectorIiNS0_10empty_typeEEEZZNS1_29radix_sort_onesweep_iterationIS3_Lb0EPKiPiPS5_SB_mNS0_19identity_decomposerENS1_16block_id_wrapperIjLb1EEEEE10hipError_tT1_PNSt15iterator_traitsISG_E10value_typeET2_T3_PNSH_ISM_E10value_typeET4_T5_PSR_SS_PNS1_23onesweep_lookback_stateEbbT6_jjT7_P12ihipStream_tbENKUlT_T0_SG_SL_E_clISA_SA_SB_SB_EEDaSZ_S10_SG_SL_EUlSZ_E_NS1_11comp_targetILNS1_3genE10ELNS1_11target_archE1201ELNS1_3gpuE5ELNS1_3repE0EEENS1_47radix_sort_onesweep_sort_config_static_selectorELNS0_4arch9wavefront6targetE0EEEvSG_
    .private_segment_fixed_size: 0
    .sgpr_count:     0
    .sgpr_spill_count: 0
    .symbol:         _ZN7rocprim17ROCPRIM_400000_NS6detail17trampoline_kernelINS0_14default_configENS1_35radix_sort_onesweep_config_selectorIiNS0_10empty_typeEEEZZNS1_29radix_sort_onesweep_iterationIS3_Lb0EPKiPiPS5_SB_mNS0_19identity_decomposerENS1_16block_id_wrapperIjLb1EEEEE10hipError_tT1_PNSt15iterator_traitsISG_E10value_typeET2_T3_PNSH_ISM_E10value_typeET4_T5_PSR_SS_PNS1_23onesweep_lookback_stateEbbT6_jjT7_P12ihipStream_tbENKUlT_T0_SG_SL_E_clISA_SA_SB_SB_EEDaSZ_S10_SG_SL_EUlSZ_E_NS1_11comp_targetILNS1_3genE10ELNS1_11target_archE1201ELNS1_3gpuE5ELNS1_3repE0EEENS1_47radix_sort_onesweep_sort_config_static_selectorELNS0_4arch9wavefront6targetE0EEEvSG_.kd
    .uniform_work_group_size: 1
    .uses_dynamic_stack: false
    .vgpr_count:     0
    .vgpr_spill_count: 0
    .wavefront_size: 32
  - .args:
      - .offset:         0
        .size:           88
        .value_kind:     by_value
    .group_segment_fixed_size: 0
    .kernarg_segment_align: 8
    .kernarg_segment_size: 88
    .language:       OpenCL C
    .language_version:
      - 2
      - 0
    .max_flat_workgroup_size: 1024
    .name:           _ZN7rocprim17ROCPRIM_400000_NS6detail17trampoline_kernelINS0_14default_configENS1_35radix_sort_onesweep_config_selectorIiNS0_10empty_typeEEEZZNS1_29radix_sort_onesweep_iterationIS3_Lb0EPKiPiPS5_SB_mNS0_19identity_decomposerENS1_16block_id_wrapperIjLb1EEEEE10hipError_tT1_PNSt15iterator_traitsISG_E10value_typeET2_T3_PNSH_ISM_E10value_typeET4_T5_PSR_SS_PNS1_23onesweep_lookback_stateEbbT6_jjT7_P12ihipStream_tbENKUlT_T0_SG_SL_E_clISA_SA_SB_SB_EEDaSZ_S10_SG_SL_EUlSZ_E_NS1_11comp_targetILNS1_3genE9ELNS1_11target_archE1100ELNS1_3gpuE3ELNS1_3repE0EEENS1_47radix_sort_onesweep_sort_config_static_selectorELNS0_4arch9wavefront6targetE0EEEvSG_
    .private_segment_fixed_size: 0
    .sgpr_count:     0
    .sgpr_spill_count: 0
    .symbol:         _ZN7rocprim17ROCPRIM_400000_NS6detail17trampoline_kernelINS0_14default_configENS1_35radix_sort_onesweep_config_selectorIiNS0_10empty_typeEEEZZNS1_29radix_sort_onesweep_iterationIS3_Lb0EPKiPiPS5_SB_mNS0_19identity_decomposerENS1_16block_id_wrapperIjLb1EEEEE10hipError_tT1_PNSt15iterator_traitsISG_E10value_typeET2_T3_PNSH_ISM_E10value_typeET4_T5_PSR_SS_PNS1_23onesweep_lookback_stateEbbT6_jjT7_P12ihipStream_tbENKUlT_T0_SG_SL_E_clISA_SA_SB_SB_EEDaSZ_S10_SG_SL_EUlSZ_E_NS1_11comp_targetILNS1_3genE9ELNS1_11target_archE1100ELNS1_3gpuE3ELNS1_3repE0EEENS1_47radix_sort_onesweep_sort_config_static_selectorELNS0_4arch9wavefront6targetE0EEEvSG_.kd
    .uniform_work_group_size: 1
    .uses_dynamic_stack: false
    .vgpr_count:     0
    .vgpr_spill_count: 0
    .wavefront_size: 32
  - .args:
      - .offset:         0
        .size:           88
        .value_kind:     by_value
    .group_segment_fixed_size: 0
    .kernarg_segment_align: 8
    .kernarg_segment_size: 88
    .language:       OpenCL C
    .language_version:
      - 2
      - 0
    .max_flat_workgroup_size: 1024
    .name:           _ZN7rocprim17ROCPRIM_400000_NS6detail17trampoline_kernelINS0_14default_configENS1_35radix_sort_onesweep_config_selectorIiNS0_10empty_typeEEEZZNS1_29radix_sort_onesweep_iterationIS3_Lb0EPKiPiPS5_SB_mNS0_19identity_decomposerENS1_16block_id_wrapperIjLb1EEEEE10hipError_tT1_PNSt15iterator_traitsISG_E10value_typeET2_T3_PNSH_ISM_E10value_typeET4_T5_PSR_SS_PNS1_23onesweep_lookback_stateEbbT6_jjT7_P12ihipStream_tbENKUlT_T0_SG_SL_E_clISA_SA_SB_SB_EEDaSZ_S10_SG_SL_EUlSZ_E_NS1_11comp_targetILNS1_3genE8ELNS1_11target_archE1030ELNS1_3gpuE2ELNS1_3repE0EEENS1_47radix_sort_onesweep_sort_config_static_selectorELNS0_4arch9wavefront6targetE0EEEvSG_
    .private_segment_fixed_size: 0
    .sgpr_count:     0
    .sgpr_spill_count: 0
    .symbol:         _ZN7rocprim17ROCPRIM_400000_NS6detail17trampoline_kernelINS0_14default_configENS1_35radix_sort_onesweep_config_selectorIiNS0_10empty_typeEEEZZNS1_29radix_sort_onesweep_iterationIS3_Lb0EPKiPiPS5_SB_mNS0_19identity_decomposerENS1_16block_id_wrapperIjLb1EEEEE10hipError_tT1_PNSt15iterator_traitsISG_E10value_typeET2_T3_PNSH_ISM_E10value_typeET4_T5_PSR_SS_PNS1_23onesweep_lookback_stateEbbT6_jjT7_P12ihipStream_tbENKUlT_T0_SG_SL_E_clISA_SA_SB_SB_EEDaSZ_S10_SG_SL_EUlSZ_E_NS1_11comp_targetILNS1_3genE8ELNS1_11target_archE1030ELNS1_3gpuE2ELNS1_3repE0EEENS1_47radix_sort_onesweep_sort_config_static_selectorELNS0_4arch9wavefront6targetE0EEEvSG_.kd
    .uniform_work_group_size: 1
    .uses_dynamic_stack: false
    .vgpr_count:     0
    .vgpr_spill_count: 0
    .wavefront_size: 32
  - .args:
      - .offset:         0
        .size:           88
        .value_kind:     by_value
      - .offset:         88
        .size:           4
        .value_kind:     hidden_block_count_x
      - .offset:         92
        .size:           4
        .value_kind:     hidden_block_count_y
      - .offset:         96
        .size:           4
        .value_kind:     hidden_block_count_z
      - .offset:         100
        .size:           2
        .value_kind:     hidden_group_size_x
      - .offset:         102
        .size:           2
        .value_kind:     hidden_group_size_y
      - .offset:         104
        .size:           2
        .value_kind:     hidden_group_size_z
      - .offset:         106
        .size:           2
        .value_kind:     hidden_remainder_x
      - .offset:         108
        .size:           2
        .value_kind:     hidden_remainder_y
      - .offset:         110
        .size:           2
        .value_kind:     hidden_remainder_z
      - .offset:         128
        .size:           8
        .value_kind:     hidden_global_offset_x
      - .offset:         136
        .size:           8
        .value_kind:     hidden_global_offset_y
      - .offset:         144
        .size:           8
        .value_kind:     hidden_global_offset_z
      - .offset:         152
        .size:           2
        .value_kind:     hidden_grid_dims
    .group_segment_fixed_size: 18504
    .kernarg_segment_align: 8
    .kernarg_segment_size: 344
    .language:       OpenCL C
    .language_version:
      - 2
      - 0
    .max_flat_workgroup_size: 512
    .name:           _ZN7rocprim17ROCPRIM_400000_NS6detail17trampoline_kernelINS0_14default_configENS1_35radix_sort_onesweep_config_selectorIiNS0_10empty_typeEEEZZNS1_29radix_sort_onesweep_iterationIS3_Lb0EPKiPiPS5_SB_mNS0_19identity_decomposerENS1_16block_id_wrapperIjLb0EEEEE10hipError_tT1_PNSt15iterator_traitsISG_E10value_typeET2_T3_PNSH_ISM_E10value_typeET4_T5_PSR_SS_PNS1_23onesweep_lookback_stateEbbT6_jjT7_P12ihipStream_tbENKUlT_T0_SG_SL_E_clIS9_SA_SB_SB_EEDaSZ_S10_SG_SL_EUlSZ_E_NS1_11comp_targetILNS1_3genE0ELNS1_11target_archE4294967295ELNS1_3gpuE0ELNS1_3repE0EEENS1_47radix_sort_onesweep_sort_config_static_selectorELNS0_4arch9wavefront6targetE0EEEvSG_
    .private_segment_fixed_size: 0
    .sgpr_count:     31
    .sgpr_spill_count: 0
    .symbol:         _ZN7rocprim17ROCPRIM_400000_NS6detail17trampoline_kernelINS0_14default_configENS1_35radix_sort_onesweep_config_selectorIiNS0_10empty_typeEEEZZNS1_29radix_sort_onesweep_iterationIS3_Lb0EPKiPiPS5_SB_mNS0_19identity_decomposerENS1_16block_id_wrapperIjLb0EEEEE10hipError_tT1_PNSt15iterator_traitsISG_E10value_typeET2_T3_PNSH_ISM_E10value_typeET4_T5_PSR_SS_PNS1_23onesweep_lookback_stateEbbT6_jjT7_P12ihipStream_tbENKUlT_T0_SG_SL_E_clIS9_SA_SB_SB_EEDaSZ_S10_SG_SL_EUlSZ_E_NS1_11comp_targetILNS1_3genE0ELNS1_11target_archE4294967295ELNS1_3gpuE0ELNS1_3repE0EEENS1_47radix_sort_onesweep_sort_config_static_selectorELNS0_4arch9wavefront6targetE0EEEvSG_.kd
    .uniform_work_group_size: 1
    .uses_dynamic_stack: false
    .vgpr_count:     65
    .vgpr_spill_count: 0
    .wavefront_size: 32
  - .args:
      - .offset:         0
        .size:           88
        .value_kind:     by_value
    .group_segment_fixed_size: 0
    .kernarg_segment_align: 8
    .kernarg_segment_size: 88
    .language:       OpenCL C
    .language_version:
      - 2
      - 0
    .max_flat_workgroup_size: 1024
    .name:           _ZN7rocprim17ROCPRIM_400000_NS6detail17trampoline_kernelINS0_14default_configENS1_35radix_sort_onesweep_config_selectorIiNS0_10empty_typeEEEZZNS1_29radix_sort_onesweep_iterationIS3_Lb0EPKiPiPS5_SB_mNS0_19identity_decomposerENS1_16block_id_wrapperIjLb0EEEEE10hipError_tT1_PNSt15iterator_traitsISG_E10value_typeET2_T3_PNSH_ISM_E10value_typeET4_T5_PSR_SS_PNS1_23onesweep_lookback_stateEbbT6_jjT7_P12ihipStream_tbENKUlT_T0_SG_SL_E_clIS9_SA_SB_SB_EEDaSZ_S10_SG_SL_EUlSZ_E_NS1_11comp_targetILNS1_3genE6ELNS1_11target_archE950ELNS1_3gpuE13ELNS1_3repE0EEENS1_47radix_sort_onesweep_sort_config_static_selectorELNS0_4arch9wavefront6targetE0EEEvSG_
    .private_segment_fixed_size: 0
    .sgpr_count:     0
    .sgpr_spill_count: 0
    .symbol:         _ZN7rocprim17ROCPRIM_400000_NS6detail17trampoline_kernelINS0_14default_configENS1_35radix_sort_onesweep_config_selectorIiNS0_10empty_typeEEEZZNS1_29radix_sort_onesweep_iterationIS3_Lb0EPKiPiPS5_SB_mNS0_19identity_decomposerENS1_16block_id_wrapperIjLb0EEEEE10hipError_tT1_PNSt15iterator_traitsISG_E10value_typeET2_T3_PNSH_ISM_E10value_typeET4_T5_PSR_SS_PNS1_23onesweep_lookback_stateEbbT6_jjT7_P12ihipStream_tbENKUlT_T0_SG_SL_E_clIS9_SA_SB_SB_EEDaSZ_S10_SG_SL_EUlSZ_E_NS1_11comp_targetILNS1_3genE6ELNS1_11target_archE950ELNS1_3gpuE13ELNS1_3repE0EEENS1_47radix_sort_onesweep_sort_config_static_selectorELNS0_4arch9wavefront6targetE0EEEvSG_.kd
    .uniform_work_group_size: 1
    .uses_dynamic_stack: false
    .vgpr_count:     0
    .vgpr_spill_count: 0
    .wavefront_size: 32
  - .args:
      - .offset:         0
        .size:           88
        .value_kind:     by_value
    .group_segment_fixed_size: 0
    .kernarg_segment_align: 8
    .kernarg_segment_size: 88
    .language:       OpenCL C
    .language_version:
      - 2
      - 0
    .max_flat_workgroup_size: 1024
    .name:           _ZN7rocprim17ROCPRIM_400000_NS6detail17trampoline_kernelINS0_14default_configENS1_35radix_sort_onesweep_config_selectorIiNS0_10empty_typeEEEZZNS1_29radix_sort_onesweep_iterationIS3_Lb0EPKiPiPS5_SB_mNS0_19identity_decomposerENS1_16block_id_wrapperIjLb0EEEEE10hipError_tT1_PNSt15iterator_traitsISG_E10value_typeET2_T3_PNSH_ISM_E10value_typeET4_T5_PSR_SS_PNS1_23onesweep_lookback_stateEbbT6_jjT7_P12ihipStream_tbENKUlT_T0_SG_SL_E_clIS9_SA_SB_SB_EEDaSZ_S10_SG_SL_EUlSZ_E_NS1_11comp_targetILNS1_3genE5ELNS1_11target_archE942ELNS1_3gpuE9ELNS1_3repE0EEENS1_47radix_sort_onesweep_sort_config_static_selectorELNS0_4arch9wavefront6targetE0EEEvSG_
    .private_segment_fixed_size: 0
    .sgpr_count:     0
    .sgpr_spill_count: 0
    .symbol:         _ZN7rocprim17ROCPRIM_400000_NS6detail17trampoline_kernelINS0_14default_configENS1_35radix_sort_onesweep_config_selectorIiNS0_10empty_typeEEEZZNS1_29radix_sort_onesweep_iterationIS3_Lb0EPKiPiPS5_SB_mNS0_19identity_decomposerENS1_16block_id_wrapperIjLb0EEEEE10hipError_tT1_PNSt15iterator_traitsISG_E10value_typeET2_T3_PNSH_ISM_E10value_typeET4_T5_PSR_SS_PNS1_23onesweep_lookback_stateEbbT6_jjT7_P12ihipStream_tbENKUlT_T0_SG_SL_E_clIS9_SA_SB_SB_EEDaSZ_S10_SG_SL_EUlSZ_E_NS1_11comp_targetILNS1_3genE5ELNS1_11target_archE942ELNS1_3gpuE9ELNS1_3repE0EEENS1_47radix_sort_onesweep_sort_config_static_selectorELNS0_4arch9wavefront6targetE0EEEvSG_.kd
    .uniform_work_group_size: 1
    .uses_dynamic_stack: false
    .vgpr_count:     0
    .vgpr_spill_count: 0
    .wavefront_size: 32
  - .args:
      - .offset:         0
        .size:           88
        .value_kind:     by_value
    .group_segment_fixed_size: 0
    .kernarg_segment_align: 8
    .kernarg_segment_size: 88
    .language:       OpenCL C
    .language_version:
      - 2
      - 0
    .max_flat_workgroup_size: 1024
    .name:           _ZN7rocprim17ROCPRIM_400000_NS6detail17trampoline_kernelINS0_14default_configENS1_35radix_sort_onesweep_config_selectorIiNS0_10empty_typeEEEZZNS1_29radix_sort_onesweep_iterationIS3_Lb0EPKiPiPS5_SB_mNS0_19identity_decomposerENS1_16block_id_wrapperIjLb0EEEEE10hipError_tT1_PNSt15iterator_traitsISG_E10value_typeET2_T3_PNSH_ISM_E10value_typeET4_T5_PSR_SS_PNS1_23onesweep_lookback_stateEbbT6_jjT7_P12ihipStream_tbENKUlT_T0_SG_SL_E_clIS9_SA_SB_SB_EEDaSZ_S10_SG_SL_EUlSZ_E_NS1_11comp_targetILNS1_3genE2ELNS1_11target_archE906ELNS1_3gpuE6ELNS1_3repE0EEENS1_47radix_sort_onesweep_sort_config_static_selectorELNS0_4arch9wavefront6targetE0EEEvSG_
    .private_segment_fixed_size: 0
    .sgpr_count:     0
    .sgpr_spill_count: 0
    .symbol:         _ZN7rocprim17ROCPRIM_400000_NS6detail17trampoline_kernelINS0_14default_configENS1_35radix_sort_onesweep_config_selectorIiNS0_10empty_typeEEEZZNS1_29radix_sort_onesweep_iterationIS3_Lb0EPKiPiPS5_SB_mNS0_19identity_decomposerENS1_16block_id_wrapperIjLb0EEEEE10hipError_tT1_PNSt15iterator_traitsISG_E10value_typeET2_T3_PNSH_ISM_E10value_typeET4_T5_PSR_SS_PNS1_23onesweep_lookback_stateEbbT6_jjT7_P12ihipStream_tbENKUlT_T0_SG_SL_E_clIS9_SA_SB_SB_EEDaSZ_S10_SG_SL_EUlSZ_E_NS1_11comp_targetILNS1_3genE2ELNS1_11target_archE906ELNS1_3gpuE6ELNS1_3repE0EEENS1_47radix_sort_onesweep_sort_config_static_selectorELNS0_4arch9wavefront6targetE0EEEvSG_.kd
    .uniform_work_group_size: 1
    .uses_dynamic_stack: false
    .vgpr_count:     0
    .vgpr_spill_count: 0
    .wavefront_size: 32
  - .args:
      - .offset:         0
        .size:           88
        .value_kind:     by_value
    .group_segment_fixed_size: 0
    .kernarg_segment_align: 8
    .kernarg_segment_size: 88
    .language:       OpenCL C
    .language_version:
      - 2
      - 0
    .max_flat_workgroup_size: 1024
    .name:           _ZN7rocprim17ROCPRIM_400000_NS6detail17trampoline_kernelINS0_14default_configENS1_35radix_sort_onesweep_config_selectorIiNS0_10empty_typeEEEZZNS1_29radix_sort_onesweep_iterationIS3_Lb0EPKiPiPS5_SB_mNS0_19identity_decomposerENS1_16block_id_wrapperIjLb0EEEEE10hipError_tT1_PNSt15iterator_traitsISG_E10value_typeET2_T3_PNSH_ISM_E10value_typeET4_T5_PSR_SS_PNS1_23onesweep_lookback_stateEbbT6_jjT7_P12ihipStream_tbENKUlT_T0_SG_SL_E_clIS9_SA_SB_SB_EEDaSZ_S10_SG_SL_EUlSZ_E_NS1_11comp_targetILNS1_3genE4ELNS1_11target_archE910ELNS1_3gpuE8ELNS1_3repE0EEENS1_47radix_sort_onesweep_sort_config_static_selectorELNS0_4arch9wavefront6targetE0EEEvSG_
    .private_segment_fixed_size: 0
    .sgpr_count:     0
    .sgpr_spill_count: 0
    .symbol:         _ZN7rocprim17ROCPRIM_400000_NS6detail17trampoline_kernelINS0_14default_configENS1_35radix_sort_onesweep_config_selectorIiNS0_10empty_typeEEEZZNS1_29radix_sort_onesweep_iterationIS3_Lb0EPKiPiPS5_SB_mNS0_19identity_decomposerENS1_16block_id_wrapperIjLb0EEEEE10hipError_tT1_PNSt15iterator_traitsISG_E10value_typeET2_T3_PNSH_ISM_E10value_typeET4_T5_PSR_SS_PNS1_23onesweep_lookback_stateEbbT6_jjT7_P12ihipStream_tbENKUlT_T0_SG_SL_E_clIS9_SA_SB_SB_EEDaSZ_S10_SG_SL_EUlSZ_E_NS1_11comp_targetILNS1_3genE4ELNS1_11target_archE910ELNS1_3gpuE8ELNS1_3repE0EEENS1_47radix_sort_onesweep_sort_config_static_selectorELNS0_4arch9wavefront6targetE0EEEvSG_.kd
    .uniform_work_group_size: 1
    .uses_dynamic_stack: false
    .vgpr_count:     0
    .vgpr_spill_count: 0
    .wavefront_size: 32
  - .args:
      - .offset:         0
        .size:           88
        .value_kind:     by_value
    .group_segment_fixed_size: 0
    .kernarg_segment_align: 8
    .kernarg_segment_size: 88
    .language:       OpenCL C
    .language_version:
      - 2
      - 0
    .max_flat_workgroup_size: 512
    .name:           _ZN7rocprim17ROCPRIM_400000_NS6detail17trampoline_kernelINS0_14default_configENS1_35radix_sort_onesweep_config_selectorIiNS0_10empty_typeEEEZZNS1_29radix_sort_onesweep_iterationIS3_Lb0EPKiPiPS5_SB_mNS0_19identity_decomposerENS1_16block_id_wrapperIjLb0EEEEE10hipError_tT1_PNSt15iterator_traitsISG_E10value_typeET2_T3_PNSH_ISM_E10value_typeET4_T5_PSR_SS_PNS1_23onesweep_lookback_stateEbbT6_jjT7_P12ihipStream_tbENKUlT_T0_SG_SL_E_clIS9_SA_SB_SB_EEDaSZ_S10_SG_SL_EUlSZ_E_NS1_11comp_targetILNS1_3genE3ELNS1_11target_archE908ELNS1_3gpuE7ELNS1_3repE0EEENS1_47radix_sort_onesweep_sort_config_static_selectorELNS0_4arch9wavefront6targetE0EEEvSG_
    .private_segment_fixed_size: 0
    .sgpr_count:     0
    .sgpr_spill_count: 0
    .symbol:         _ZN7rocprim17ROCPRIM_400000_NS6detail17trampoline_kernelINS0_14default_configENS1_35radix_sort_onesweep_config_selectorIiNS0_10empty_typeEEEZZNS1_29radix_sort_onesweep_iterationIS3_Lb0EPKiPiPS5_SB_mNS0_19identity_decomposerENS1_16block_id_wrapperIjLb0EEEEE10hipError_tT1_PNSt15iterator_traitsISG_E10value_typeET2_T3_PNSH_ISM_E10value_typeET4_T5_PSR_SS_PNS1_23onesweep_lookback_stateEbbT6_jjT7_P12ihipStream_tbENKUlT_T0_SG_SL_E_clIS9_SA_SB_SB_EEDaSZ_S10_SG_SL_EUlSZ_E_NS1_11comp_targetILNS1_3genE3ELNS1_11target_archE908ELNS1_3gpuE7ELNS1_3repE0EEENS1_47radix_sort_onesweep_sort_config_static_selectorELNS0_4arch9wavefront6targetE0EEEvSG_.kd
    .uniform_work_group_size: 1
    .uses_dynamic_stack: false
    .vgpr_count:     0
    .vgpr_spill_count: 0
    .wavefront_size: 32
  - .args:
      - .offset:         0
        .size:           88
        .value_kind:     by_value
    .group_segment_fixed_size: 0
    .kernarg_segment_align: 8
    .kernarg_segment_size: 88
    .language:       OpenCL C
    .language_version:
      - 2
      - 0
    .max_flat_workgroup_size: 1024
    .name:           _ZN7rocprim17ROCPRIM_400000_NS6detail17trampoline_kernelINS0_14default_configENS1_35radix_sort_onesweep_config_selectorIiNS0_10empty_typeEEEZZNS1_29radix_sort_onesweep_iterationIS3_Lb0EPKiPiPS5_SB_mNS0_19identity_decomposerENS1_16block_id_wrapperIjLb0EEEEE10hipError_tT1_PNSt15iterator_traitsISG_E10value_typeET2_T3_PNSH_ISM_E10value_typeET4_T5_PSR_SS_PNS1_23onesweep_lookback_stateEbbT6_jjT7_P12ihipStream_tbENKUlT_T0_SG_SL_E_clIS9_SA_SB_SB_EEDaSZ_S10_SG_SL_EUlSZ_E_NS1_11comp_targetILNS1_3genE10ELNS1_11target_archE1201ELNS1_3gpuE5ELNS1_3repE0EEENS1_47radix_sort_onesweep_sort_config_static_selectorELNS0_4arch9wavefront6targetE0EEEvSG_
    .private_segment_fixed_size: 0
    .sgpr_count:     0
    .sgpr_spill_count: 0
    .symbol:         _ZN7rocprim17ROCPRIM_400000_NS6detail17trampoline_kernelINS0_14default_configENS1_35radix_sort_onesweep_config_selectorIiNS0_10empty_typeEEEZZNS1_29radix_sort_onesweep_iterationIS3_Lb0EPKiPiPS5_SB_mNS0_19identity_decomposerENS1_16block_id_wrapperIjLb0EEEEE10hipError_tT1_PNSt15iterator_traitsISG_E10value_typeET2_T3_PNSH_ISM_E10value_typeET4_T5_PSR_SS_PNS1_23onesweep_lookback_stateEbbT6_jjT7_P12ihipStream_tbENKUlT_T0_SG_SL_E_clIS9_SA_SB_SB_EEDaSZ_S10_SG_SL_EUlSZ_E_NS1_11comp_targetILNS1_3genE10ELNS1_11target_archE1201ELNS1_3gpuE5ELNS1_3repE0EEENS1_47radix_sort_onesweep_sort_config_static_selectorELNS0_4arch9wavefront6targetE0EEEvSG_.kd
    .uniform_work_group_size: 1
    .uses_dynamic_stack: false
    .vgpr_count:     0
    .vgpr_spill_count: 0
    .wavefront_size: 32
  - .args:
      - .offset:         0
        .size:           88
        .value_kind:     by_value
    .group_segment_fixed_size: 0
    .kernarg_segment_align: 8
    .kernarg_segment_size: 88
    .language:       OpenCL C
    .language_version:
      - 2
      - 0
    .max_flat_workgroup_size: 1024
    .name:           _ZN7rocprim17ROCPRIM_400000_NS6detail17trampoline_kernelINS0_14default_configENS1_35radix_sort_onesweep_config_selectorIiNS0_10empty_typeEEEZZNS1_29radix_sort_onesweep_iterationIS3_Lb0EPKiPiPS5_SB_mNS0_19identity_decomposerENS1_16block_id_wrapperIjLb0EEEEE10hipError_tT1_PNSt15iterator_traitsISG_E10value_typeET2_T3_PNSH_ISM_E10value_typeET4_T5_PSR_SS_PNS1_23onesweep_lookback_stateEbbT6_jjT7_P12ihipStream_tbENKUlT_T0_SG_SL_E_clIS9_SA_SB_SB_EEDaSZ_S10_SG_SL_EUlSZ_E_NS1_11comp_targetILNS1_3genE9ELNS1_11target_archE1100ELNS1_3gpuE3ELNS1_3repE0EEENS1_47radix_sort_onesweep_sort_config_static_selectorELNS0_4arch9wavefront6targetE0EEEvSG_
    .private_segment_fixed_size: 0
    .sgpr_count:     0
    .sgpr_spill_count: 0
    .symbol:         _ZN7rocprim17ROCPRIM_400000_NS6detail17trampoline_kernelINS0_14default_configENS1_35radix_sort_onesweep_config_selectorIiNS0_10empty_typeEEEZZNS1_29radix_sort_onesweep_iterationIS3_Lb0EPKiPiPS5_SB_mNS0_19identity_decomposerENS1_16block_id_wrapperIjLb0EEEEE10hipError_tT1_PNSt15iterator_traitsISG_E10value_typeET2_T3_PNSH_ISM_E10value_typeET4_T5_PSR_SS_PNS1_23onesweep_lookback_stateEbbT6_jjT7_P12ihipStream_tbENKUlT_T0_SG_SL_E_clIS9_SA_SB_SB_EEDaSZ_S10_SG_SL_EUlSZ_E_NS1_11comp_targetILNS1_3genE9ELNS1_11target_archE1100ELNS1_3gpuE3ELNS1_3repE0EEENS1_47radix_sort_onesweep_sort_config_static_selectorELNS0_4arch9wavefront6targetE0EEEvSG_.kd
    .uniform_work_group_size: 1
    .uses_dynamic_stack: false
    .vgpr_count:     0
    .vgpr_spill_count: 0
    .wavefront_size: 32
  - .args:
      - .offset:         0
        .size:           88
        .value_kind:     by_value
    .group_segment_fixed_size: 0
    .kernarg_segment_align: 8
    .kernarg_segment_size: 88
    .language:       OpenCL C
    .language_version:
      - 2
      - 0
    .max_flat_workgroup_size: 1024
    .name:           _ZN7rocprim17ROCPRIM_400000_NS6detail17trampoline_kernelINS0_14default_configENS1_35radix_sort_onesweep_config_selectorIiNS0_10empty_typeEEEZZNS1_29radix_sort_onesweep_iterationIS3_Lb0EPKiPiPS5_SB_mNS0_19identity_decomposerENS1_16block_id_wrapperIjLb0EEEEE10hipError_tT1_PNSt15iterator_traitsISG_E10value_typeET2_T3_PNSH_ISM_E10value_typeET4_T5_PSR_SS_PNS1_23onesweep_lookback_stateEbbT6_jjT7_P12ihipStream_tbENKUlT_T0_SG_SL_E_clIS9_SA_SB_SB_EEDaSZ_S10_SG_SL_EUlSZ_E_NS1_11comp_targetILNS1_3genE8ELNS1_11target_archE1030ELNS1_3gpuE2ELNS1_3repE0EEENS1_47radix_sort_onesweep_sort_config_static_selectorELNS0_4arch9wavefront6targetE0EEEvSG_
    .private_segment_fixed_size: 0
    .sgpr_count:     0
    .sgpr_spill_count: 0
    .symbol:         _ZN7rocprim17ROCPRIM_400000_NS6detail17trampoline_kernelINS0_14default_configENS1_35radix_sort_onesweep_config_selectorIiNS0_10empty_typeEEEZZNS1_29radix_sort_onesweep_iterationIS3_Lb0EPKiPiPS5_SB_mNS0_19identity_decomposerENS1_16block_id_wrapperIjLb0EEEEE10hipError_tT1_PNSt15iterator_traitsISG_E10value_typeET2_T3_PNSH_ISM_E10value_typeET4_T5_PSR_SS_PNS1_23onesweep_lookback_stateEbbT6_jjT7_P12ihipStream_tbENKUlT_T0_SG_SL_E_clIS9_SA_SB_SB_EEDaSZ_S10_SG_SL_EUlSZ_E_NS1_11comp_targetILNS1_3genE8ELNS1_11target_archE1030ELNS1_3gpuE2ELNS1_3repE0EEENS1_47radix_sort_onesweep_sort_config_static_selectorELNS0_4arch9wavefront6targetE0EEEvSG_.kd
    .uniform_work_group_size: 1
    .uses_dynamic_stack: false
    .vgpr_count:     0
    .vgpr_spill_count: 0
    .wavefront_size: 32
  - .args:
      - .offset:         0
        .size:           88
        .value_kind:     by_value
      - .offset:         88
        .size:           4
        .value_kind:     hidden_block_count_x
      - .offset:         92
        .size:           4
        .value_kind:     hidden_block_count_y
      - .offset:         96
        .size:           4
        .value_kind:     hidden_block_count_z
      - .offset:         100
        .size:           2
        .value_kind:     hidden_group_size_x
      - .offset:         102
        .size:           2
        .value_kind:     hidden_group_size_y
      - .offset:         104
        .size:           2
        .value_kind:     hidden_group_size_z
      - .offset:         106
        .size:           2
        .value_kind:     hidden_remainder_x
      - .offset:         108
        .size:           2
        .value_kind:     hidden_remainder_y
      - .offset:         110
        .size:           2
        .value_kind:     hidden_remainder_z
      - .offset:         128
        .size:           8
        .value_kind:     hidden_global_offset_x
      - .offset:         136
        .size:           8
        .value_kind:     hidden_global_offset_y
      - .offset:         144
        .size:           8
        .value_kind:     hidden_global_offset_z
      - .offset:         152
        .size:           2
        .value_kind:     hidden_grid_dims
    .group_segment_fixed_size: 18504
    .kernarg_segment_align: 8
    .kernarg_segment_size: 344
    .language:       OpenCL C
    .language_version:
      - 2
      - 0
    .max_flat_workgroup_size: 512
    .name:           _ZN7rocprim17ROCPRIM_400000_NS6detail17trampoline_kernelINS0_14default_configENS1_35radix_sort_onesweep_config_selectorIiNS0_10empty_typeEEEZZNS1_29radix_sort_onesweep_iterationIS3_Lb0EPKiPiPS5_SB_mNS0_19identity_decomposerENS1_16block_id_wrapperIjLb0EEEEE10hipError_tT1_PNSt15iterator_traitsISG_E10value_typeET2_T3_PNSH_ISM_E10value_typeET4_T5_PSR_SS_PNS1_23onesweep_lookback_stateEbbT6_jjT7_P12ihipStream_tbENKUlT_T0_SG_SL_E_clISA_SA_SB_SB_EEDaSZ_S10_SG_SL_EUlSZ_E_NS1_11comp_targetILNS1_3genE0ELNS1_11target_archE4294967295ELNS1_3gpuE0ELNS1_3repE0EEENS1_47radix_sort_onesweep_sort_config_static_selectorELNS0_4arch9wavefront6targetE0EEEvSG_
    .private_segment_fixed_size: 0
    .sgpr_count:     31
    .sgpr_spill_count: 0
    .symbol:         _ZN7rocprim17ROCPRIM_400000_NS6detail17trampoline_kernelINS0_14default_configENS1_35radix_sort_onesweep_config_selectorIiNS0_10empty_typeEEEZZNS1_29radix_sort_onesweep_iterationIS3_Lb0EPKiPiPS5_SB_mNS0_19identity_decomposerENS1_16block_id_wrapperIjLb0EEEEE10hipError_tT1_PNSt15iterator_traitsISG_E10value_typeET2_T3_PNSH_ISM_E10value_typeET4_T5_PSR_SS_PNS1_23onesweep_lookback_stateEbbT6_jjT7_P12ihipStream_tbENKUlT_T0_SG_SL_E_clISA_SA_SB_SB_EEDaSZ_S10_SG_SL_EUlSZ_E_NS1_11comp_targetILNS1_3genE0ELNS1_11target_archE4294967295ELNS1_3gpuE0ELNS1_3repE0EEENS1_47radix_sort_onesweep_sort_config_static_selectorELNS0_4arch9wavefront6targetE0EEEvSG_.kd
    .uniform_work_group_size: 1
    .uses_dynamic_stack: false
    .vgpr_count:     65
    .vgpr_spill_count: 0
    .wavefront_size: 32
  - .args:
      - .offset:         0
        .size:           88
        .value_kind:     by_value
    .group_segment_fixed_size: 0
    .kernarg_segment_align: 8
    .kernarg_segment_size: 88
    .language:       OpenCL C
    .language_version:
      - 2
      - 0
    .max_flat_workgroup_size: 1024
    .name:           _ZN7rocprim17ROCPRIM_400000_NS6detail17trampoline_kernelINS0_14default_configENS1_35radix_sort_onesweep_config_selectorIiNS0_10empty_typeEEEZZNS1_29radix_sort_onesweep_iterationIS3_Lb0EPKiPiPS5_SB_mNS0_19identity_decomposerENS1_16block_id_wrapperIjLb0EEEEE10hipError_tT1_PNSt15iterator_traitsISG_E10value_typeET2_T3_PNSH_ISM_E10value_typeET4_T5_PSR_SS_PNS1_23onesweep_lookback_stateEbbT6_jjT7_P12ihipStream_tbENKUlT_T0_SG_SL_E_clISA_SA_SB_SB_EEDaSZ_S10_SG_SL_EUlSZ_E_NS1_11comp_targetILNS1_3genE6ELNS1_11target_archE950ELNS1_3gpuE13ELNS1_3repE0EEENS1_47radix_sort_onesweep_sort_config_static_selectorELNS0_4arch9wavefront6targetE0EEEvSG_
    .private_segment_fixed_size: 0
    .sgpr_count:     0
    .sgpr_spill_count: 0
    .symbol:         _ZN7rocprim17ROCPRIM_400000_NS6detail17trampoline_kernelINS0_14default_configENS1_35radix_sort_onesweep_config_selectorIiNS0_10empty_typeEEEZZNS1_29radix_sort_onesweep_iterationIS3_Lb0EPKiPiPS5_SB_mNS0_19identity_decomposerENS1_16block_id_wrapperIjLb0EEEEE10hipError_tT1_PNSt15iterator_traitsISG_E10value_typeET2_T3_PNSH_ISM_E10value_typeET4_T5_PSR_SS_PNS1_23onesweep_lookback_stateEbbT6_jjT7_P12ihipStream_tbENKUlT_T0_SG_SL_E_clISA_SA_SB_SB_EEDaSZ_S10_SG_SL_EUlSZ_E_NS1_11comp_targetILNS1_3genE6ELNS1_11target_archE950ELNS1_3gpuE13ELNS1_3repE0EEENS1_47radix_sort_onesweep_sort_config_static_selectorELNS0_4arch9wavefront6targetE0EEEvSG_.kd
    .uniform_work_group_size: 1
    .uses_dynamic_stack: false
    .vgpr_count:     0
    .vgpr_spill_count: 0
    .wavefront_size: 32
  - .args:
      - .offset:         0
        .size:           88
        .value_kind:     by_value
    .group_segment_fixed_size: 0
    .kernarg_segment_align: 8
    .kernarg_segment_size: 88
    .language:       OpenCL C
    .language_version:
      - 2
      - 0
    .max_flat_workgroup_size: 1024
    .name:           _ZN7rocprim17ROCPRIM_400000_NS6detail17trampoline_kernelINS0_14default_configENS1_35radix_sort_onesweep_config_selectorIiNS0_10empty_typeEEEZZNS1_29radix_sort_onesweep_iterationIS3_Lb0EPKiPiPS5_SB_mNS0_19identity_decomposerENS1_16block_id_wrapperIjLb0EEEEE10hipError_tT1_PNSt15iterator_traitsISG_E10value_typeET2_T3_PNSH_ISM_E10value_typeET4_T5_PSR_SS_PNS1_23onesweep_lookback_stateEbbT6_jjT7_P12ihipStream_tbENKUlT_T0_SG_SL_E_clISA_SA_SB_SB_EEDaSZ_S10_SG_SL_EUlSZ_E_NS1_11comp_targetILNS1_3genE5ELNS1_11target_archE942ELNS1_3gpuE9ELNS1_3repE0EEENS1_47radix_sort_onesweep_sort_config_static_selectorELNS0_4arch9wavefront6targetE0EEEvSG_
    .private_segment_fixed_size: 0
    .sgpr_count:     0
    .sgpr_spill_count: 0
    .symbol:         _ZN7rocprim17ROCPRIM_400000_NS6detail17trampoline_kernelINS0_14default_configENS1_35radix_sort_onesweep_config_selectorIiNS0_10empty_typeEEEZZNS1_29radix_sort_onesweep_iterationIS3_Lb0EPKiPiPS5_SB_mNS0_19identity_decomposerENS1_16block_id_wrapperIjLb0EEEEE10hipError_tT1_PNSt15iterator_traitsISG_E10value_typeET2_T3_PNSH_ISM_E10value_typeET4_T5_PSR_SS_PNS1_23onesweep_lookback_stateEbbT6_jjT7_P12ihipStream_tbENKUlT_T0_SG_SL_E_clISA_SA_SB_SB_EEDaSZ_S10_SG_SL_EUlSZ_E_NS1_11comp_targetILNS1_3genE5ELNS1_11target_archE942ELNS1_3gpuE9ELNS1_3repE0EEENS1_47radix_sort_onesweep_sort_config_static_selectorELNS0_4arch9wavefront6targetE0EEEvSG_.kd
    .uniform_work_group_size: 1
    .uses_dynamic_stack: false
    .vgpr_count:     0
    .vgpr_spill_count: 0
    .wavefront_size: 32
  - .args:
      - .offset:         0
        .size:           88
        .value_kind:     by_value
    .group_segment_fixed_size: 0
    .kernarg_segment_align: 8
    .kernarg_segment_size: 88
    .language:       OpenCL C
    .language_version:
      - 2
      - 0
    .max_flat_workgroup_size: 1024
    .name:           _ZN7rocprim17ROCPRIM_400000_NS6detail17trampoline_kernelINS0_14default_configENS1_35radix_sort_onesweep_config_selectorIiNS0_10empty_typeEEEZZNS1_29radix_sort_onesweep_iterationIS3_Lb0EPKiPiPS5_SB_mNS0_19identity_decomposerENS1_16block_id_wrapperIjLb0EEEEE10hipError_tT1_PNSt15iterator_traitsISG_E10value_typeET2_T3_PNSH_ISM_E10value_typeET4_T5_PSR_SS_PNS1_23onesweep_lookback_stateEbbT6_jjT7_P12ihipStream_tbENKUlT_T0_SG_SL_E_clISA_SA_SB_SB_EEDaSZ_S10_SG_SL_EUlSZ_E_NS1_11comp_targetILNS1_3genE2ELNS1_11target_archE906ELNS1_3gpuE6ELNS1_3repE0EEENS1_47radix_sort_onesweep_sort_config_static_selectorELNS0_4arch9wavefront6targetE0EEEvSG_
    .private_segment_fixed_size: 0
    .sgpr_count:     0
    .sgpr_spill_count: 0
    .symbol:         _ZN7rocprim17ROCPRIM_400000_NS6detail17trampoline_kernelINS0_14default_configENS1_35radix_sort_onesweep_config_selectorIiNS0_10empty_typeEEEZZNS1_29radix_sort_onesweep_iterationIS3_Lb0EPKiPiPS5_SB_mNS0_19identity_decomposerENS1_16block_id_wrapperIjLb0EEEEE10hipError_tT1_PNSt15iterator_traitsISG_E10value_typeET2_T3_PNSH_ISM_E10value_typeET4_T5_PSR_SS_PNS1_23onesweep_lookback_stateEbbT6_jjT7_P12ihipStream_tbENKUlT_T0_SG_SL_E_clISA_SA_SB_SB_EEDaSZ_S10_SG_SL_EUlSZ_E_NS1_11comp_targetILNS1_3genE2ELNS1_11target_archE906ELNS1_3gpuE6ELNS1_3repE0EEENS1_47radix_sort_onesweep_sort_config_static_selectorELNS0_4arch9wavefront6targetE0EEEvSG_.kd
    .uniform_work_group_size: 1
    .uses_dynamic_stack: false
    .vgpr_count:     0
    .vgpr_spill_count: 0
    .wavefront_size: 32
  - .args:
      - .offset:         0
        .size:           88
        .value_kind:     by_value
    .group_segment_fixed_size: 0
    .kernarg_segment_align: 8
    .kernarg_segment_size: 88
    .language:       OpenCL C
    .language_version:
      - 2
      - 0
    .max_flat_workgroup_size: 1024
    .name:           _ZN7rocprim17ROCPRIM_400000_NS6detail17trampoline_kernelINS0_14default_configENS1_35radix_sort_onesweep_config_selectorIiNS0_10empty_typeEEEZZNS1_29radix_sort_onesweep_iterationIS3_Lb0EPKiPiPS5_SB_mNS0_19identity_decomposerENS1_16block_id_wrapperIjLb0EEEEE10hipError_tT1_PNSt15iterator_traitsISG_E10value_typeET2_T3_PNSH_ISM_E10value_typeET4_T5_PSR_SS_PNS1_23onesweep_lookback_stateEbbT6_jjT7_P12ihipStream_tbENKUlT_T0_SG_SL_E_clISA_SA_SB_SB_EEDaSZ_S10_SG_SL_EUlSZ_E_NS1_11comp_targetILNS1_3genE4ELNS1_11target_archE910ELNS1_3gpuE8ELNS1_3repE0EEENS1_47radix_sort_onesweep_sort_config_static_selectorELNS0_4arch9wavefront6targetE0EEEvSG_
    .private_segment_fixed_size: 0
    .sgpr_count:     0
    .sgpr_spill_count: 0
    .symbol:         _ZN7rocprim17ROCPRIM_400000_NS6detail17trampoline_kernelINS0_14default_configENS1_35radix_sort_onesweep_config_selectorIiNS0_10empty_typeEEEZZNS1_29radix_sort_onesweep_iterationIS3_Lb0EPKiPiPS5_SB_mNS0_19identity_decomposerENS1_16block_id_wrapperIjLb0EEEEE10hipError_tT1_PNSt15iterator_traitsISG_E10value_typeET2_T3_PNSH_ISM_E10value_typeET4_T5_PSR_SS_PNS1_23onesweep_lookback_stateEbbT6_jjT7_P12ihipStream_tbENKUlT_T0_SG_SL_E_clISA_SA_SB_SB_EEDaSZ_S10_SG_SL_EUlSZ_E_NS1_11comp_targetILNS1_3genE4ELNS1_11target_archE910ELNS1_3gpuE8ELNS1_3repE0EEENS1_47radix_sort_onesweep_sort_config_static_selectorELNS0_4arch9wavefront6targetE0EEEvSG_.kd
    .uniform_work_group_size: 1
    .uses_dynamic_stack: false
    .vgpr_count:     0
    .vgpr_spill_count: 0
    .wavefront_size: 32
  - .args:
      - .offset:         0
        .size:           88
        .value_kind:     by_value
    .group_segment_fixed_size: 0
    .kernarg_segment_align: 8
    .kernarg_segment_size: 88
    .language:       OpenCL C
    .language_version:
      - 2
      - 0
    .max_flat_workgroup_size: 512
    .name:           _ZN7rocprim17ROCPRIM_400000_NS6detail17trampoline_kernelINS0_14default_configENS1_35radix_sort_onesweep_config_selectorIiNS0_10empty_typeEEEZZNS1_29radix_sort_onesweep_iterationIS3_Lb0EPKiPiPS5_SB_mNS0_19identity_decomposerENS1_16block_id_wrapperIjLb0EEEEE10hipError_tT1_PNSt15iterator_traitsISG_E10value_typeET2_T3_PNSH_ISM_E10value_typeET4_T5_PSR_SS_PNS1_23onesweep_lookback_stateEbbT6_jjT7_P12ihipStream_tbENKUlT_T0_SG_SL_E_clISA_SA_SB_SB_EEDaSZ_S10_SG_SL_EUlSZ_E_NS1_11comp_targetILNS1_3genE3ELNS1_11target_archE908ELNS1_3gpuE7ELNS1_3repE0EEENS1_47radix_sort_onesweep_sort_config_static_selectorELNS0_4arch9wavefront6targetE0EEEvSG_
    .private_segment_fixed_size: 0
    .sgpr_count:     0
    .sgpr_spill_count: 0
    .symbol:         _ZN7rocprim17ROCPRIM_400000_NS6detail17trampoline_kernelINS0_14default_configENS1_35radix_sort_onesweep_config_selectorIiNS0_10empty_typeEEEZZNS1_29radix_sort_onesweep_iterationIS3_Lb0EPKiPiPS5_SB_mNS0_19identity_decomposerENS1_16block_id_wrapperIjLb0EEEEE10hipError_tT1_PNSt15iterator_traitsISG_E10value_typeET2_T3_PNSH_ISM_E10value_typeET4_T5_PSR_SS_PNS1_23onesweep_lookback_stateEbbT6_jjT7_P12ihipStream_tbENKUlT_T0_SG_SL_E_clISA_SA_SB_SB_EEDaSZ_S10_SG_SL_EUlSZ_E_NS1_11comp_targetILNS1_3genE3ELNS1_11target_archE908ELNS1_3gpuE7ELNS1_3repE0EEENS1_47radix_sort_onesweep_sort_config_static_selectorELNS0_4arch9wavefront6targetE0EEEvSG_.kd
    .uniform_work_group_size: 1
    .uses_dynamic_stack: false
    .vgpr_count:     0
    .vgpr_spill_count: 0
    .wavefront_size: 32
  - .args:
      - .offset:         0
        .size:           88
        .value_kind:     by_value
    .group_segment_fixed_size: 0
    .kernarg_segment_align: 8
    .kernarg_segment_size: 88
    .language:       OpenCL C
    .language_version:
      - 2
      - 0
    .max_flat_workgroup_size: 1024
    .name:           _ZN7rocprim17ROCPRIM_400000_NS6detail17trampoline_kernelINS0_14default_configENS1_35radix_sort_onesweep_config_selectorIiNS0_10empty_typeEEEZZNS1_29radix_sort_onesweep_iterationIS3_Lb0EPKiPiPS5_SB_mNS0_19identity_decomposerENS1_16block_id_wrapperIjLb0EEEEE10hipError_tT1_PNSt15iterator_traitsISG_E10value_typeET2_T3_PNSH_ISM_E10value_typeET4_T5_PSR_SS_PNS1_23onesweep_lookback_stateEbbT6_jjT7_P12ihipStream_tbENKUlT_T0_SG_SL_E_clISA_SA_SB_SB_EEDaSZ_S10_SG_SL_EUlSZ_E_NS1_11comp_targetILNS1_3genE10ELNS1_11target_archE1201ELNS1_3gpuE5ELNS1_3repE0EEENS1_47radix_sort_onesweep_sort_config_static_selectorELNS0_4arch9wavefront6targetE0EEEvSG_
    .private_segment_fixed_size: 0
    .sgpr_count:     0
    .sgpr_spill_count: 0
    .symbol:         _ZN7rocprim17ROCPRIM_400000_NS6detail17trampoline_kernelINS0_14default_configENS1_35radix_sort_onesweep_config_selectorIiNS0_10empty_typeEEEZZNS1_29radix_sort_onesweep_iterationIS3_Lb0EPKiPiPS5_SB_mNS0_19identity_decomposerENS1_16block_id_wrapperIjLb0EEEEE10hipError_tT1_PNSt15iterator_traitsISG_E10value_typeET2_T3_PNSH_ISM_E10value_typeET4_T5_PSR_SS_PNS1_23onesweep_lookback_stateEbbT6_jjT7_P12ihipStream_tbENKUlT_T0_SG_SL_E_clISA_SA_SB_SB_EEDaSZ_S10_SG_SL_EUlSZ_E_NS1_11comp_targetILNS1_3genE10ELNS1_11target_archE1201ELNS1_3gpuE5ELNS1_3repE0EEENS1_47radix_sort_onesweep_sort_config_static_selectorELNS0_4arch9wavefront6targetE0EEEvSG_.kd
    .uniform_work_group_size: 1
    .uses_dynamic_stack: false
    .vgpr_count:     0
    .vgpr_spill_count: 0
    .wavefront_size: 32
  - .args:
      - .offset:         0
        .size:           88
        .value_kind:     by_value
    .group_segment_fixed_size: 0
    .kernarg_segment_align: 8
    .kernarg_segment_size: 88
    .language:       OpenCL C
    .language_version:
      - 2
      - 0
    .max_flat_workgroup_size: 1024
    .name:           _ZN7rocprim17ROCPRIM_400000_NS6detail17trampoline_kernelINS0_14default_configENS1_35radix_sort_onesweep_config_selectorIiNS0_10empty_typeEEEZZNS1_29radix_sort_onesweep_iterationIS3_Lb0EPKiPiPS5_SB_mNS0_19identity_decomposerENS1_16block_id_wrapperIjLb0EEEEE10hipError_tT1_PNSt15iterator_traitsISG_E10value_typeET2_T3_PNSH_ISM_E10value_typeET4_T5_PSR_SS_PNS1_23onesweep_lookback_stateEbbT6_jjT7_P12ihipStream_tbENKUlT_T0_SG_SL_E_clISA_SA_SB_SB_EEDaSZ_S10_SG_SL_EUlSZ_E_NS1_11comp_targetILNS1_3genE9ELNS1_11target_archE1100ELNS1_3gpuE3ELNS1_3repE0EEENS1_47radix_sort_onesweep_sort_config_static_selectorELNS0_4arch9wavefront6targetE0EEEvSG_
    .private_segment_fixed_size: 0
    .sgpr_count:     0
    .sgpr_spill_count: 0
    .symbol:         _ZN7rocprim17ROCPRIM_400000_NS6detail17trampoline_kernelINS0_14default_configENS1_35radix_sort_onesweep_config_selectorIiNS0_10empty_typeEEEZZNS1_29radix_sort_onesweep_iterationIS3_Lb0EPKiPiPS5_SB_mNS0_19identity_decomposerENS1_16block_id_wrapperIjLb0EEEEE10hipError_tT1_PNSt15iterator_traitsISG_E10value_typeET2_T3_PNSH_ISM_E10value_typeET4_T5_PSR_SS_PNS1_23onesweep_lookback_stateEbbT6_jjT7_P12ihipStream_tbENKUlT_T0_SG_SL_E_clISA_SA_SB_SB_EEDaSZ_S10_SG_SL_EUlSZ_E_NS1_11comp_targetILNS1_3genE9ELNS1_11target_archE1100ELNS1_3gpuE3ELNS1_3repE0EEENS1_47radix_sort_onesweep_sort_config_static_selectorELNS0_4arch9wavefront6targetE0EEEvSG_.kd
    .uniform_work_group_size: 1
    .uses_dynamic_stack: false
    .vgpr_count:     0
    .vgpr_spill_count: 0
    .wavefront_size: 32
  - .args:
      - .offset:         0
        .size:           88
        .value_kind:     by_value
    .group_segment_fixed_size: 0
    .kernarg_segment_align: 8
    .kernarg_segment_size: 88
    .language:       OpenCL C
    .language_version:
      - 2
      - 0
    .max_flat_workgroup_size: 1024
    .name:           _ZN7rocprim17ROCPRIM_400000_NS6detail17trampoline_kernelINS0_14default_configENS1_35radix_sort_onesweep_config_selectorIiNS0_10empty_typeEEEZZNS1_29radix_sort_onesweep_iterationIS3_Lb0EPKiPiPS5_SB_mNS0_19identity_decomposerENS1_16block_id_wrapperIjLb0EEEEE10hipError_tT1_PNSt15iterator_traitsISG_E10value_typeET2_T3_PNSH_ISM_E10value_typeET4_T5_PSR_SS_PNS1_23onesweep_lookback_stateEbbT6_jjT7_P12ihipStream_tbENKUlT_T0_SG_SL_E_clISA_SA_SB_SB_EEDaSZ_S10_SG_SL_EUlSZ_E_NS1_11comp_targetILNS1_3genE8ELNS1_11target_archE1030ELNS1_3gpuE2ELNS1_3repE0EEENS1_47radix_sort_onesweep_sort_config_static_selectorELNS0_4arch9wavefront6targetE0EEEvSG_
    .private_segment_fixed_size: 0
    .sgpr_count:     0
    .sgpr_spill_count: 0
    .symbol:         _ZN7rocprim17ROCPRIM_400000_NS6detail17trampoline_kernelINS0_14default_configENS1_35radix_sort_onesweep_config_selectorIiNS0_10empty_typeEEEZZNS1_29radix_sort_onesweep_iterationIS3_Lb0EPKiPiPS5_SB_mNS0_19identity_decomposerENS1_16block_id_wrapperIjLb0EEEEE10hipError_tT1_PNSt15iterator_traitsISG_E10value_typeET2_T3_PNSH_ISM_E10value_typeET4_T5_PSR_SS_PNS1_23onesweep_lookback_stateEbbT6_jjT7_P12ihipStream_tbENKUlT_T0_SG_SL_E_clISA_SA_SB_SB_EEDaSZ_S10_SG_SL_EUlSZ_E_NS1_11comp_targetILNS1_3genE8ELNS1_11target_archE1030ELNS1_3gpuE2ELNS1_3repE0EEENS1_47radix_sort_onesweep_sort_config_static_selectorELNS0_4arch9wavefront6targetE0EEEvSG_.kd
    .uniform_work_group_size: 1
    .uses_dynamic_stack: false
    .vgpr_count:     0
    .vgpr_spill_count: 0
    .wavefront_size: 32
  - .args:
      - .offset:         0
        .size:           48
        .value_kind:     by_value
      - .offset:         48
        .size:           4
        .value_kind:     hidden_block_count_x
      - .offset:         52
        .size:           4
        .value_kind:     hidden_block_count_y
      - .offset:         56
        .size:           4
        .value_kind:     hidden_block_count_z
      - .offset:         60
        .size:           2
        .value_kind:     hidden_group_size_x
      - .offset:         62
        .size:           2
        .value_kind:     hidden_group_size_y
      - .offset:         64
        .size:           2
        .value_kind:     hidden_group_size_z
      - .offset:         66
        .size:           2
        .value_kind:     hidden_remainder_x
      - .offset:         68
        .size:           2
        .value_kind:     hidden_remainder_y
      - .offset:         70
        .size:           2
        .value_kind:     hidden_remainder_z
      - .offset:         88
        .size:           8
        .value_kind:     hidden_global_offset_x
      - .offset:         96
        .size:           8
        .value_kind:     hidden_global_offset_y
      - .offset:         104
        .size:           8
        .value_kind:     hidden_global_offset_z
      - .offset:         112
        .size:           2
        .value_kind:     hidden_grid_dims
    .group_segment_fixed_size: 8224
    .kernarg_segment_align: 8
    .kernarg_segment_size: 304
    .language:       OpenCL C
    .language_version:
      - 2
      - 0
    .max_flat_workgroup_size: 256
    .name:           _ZN7rocprim17ROCPRIM_400000_NS6detail17trampoline_kernelINS0_13kernel_configILj256ELj4ELj4294967295EEENS1_37radix_sort_block_sort_config_selectorIlNS0_10empty_typeEEEZNS1_21radix_sort_block_sortIS4_Lb1EPKlPlPS6_SC_NS0_19identity_decomposerEEE10hipError_tT1_T2_T3_T4_jRjT5_jjP12ihipStream_tbEUlT_E_NS1_11comp_targetILNS1_3genE0ELNS1_11target_archE4294967295ELNS1_3gpuE0ELNS1_3repE0EEENS1_44radix_sort_block_sort_config_static_selectorELNS0_4arch9wavefront6targetE0EEEvSF_
    .private_segment_fixed_size: 0
    .sgpr_count:     32
    .sgpr_spill_count: 0
    .symbol:         _ZN7rocprim17ROCPRIM_400000_NS6detail17trampoline_kernelINS0_13kernel_configILj256ELj4ELj4294967295EEENS1_37radix_sort_block_sort_config_selectorIlNS0_10empty_typeEEEZNS1_21radix_sort_block_sortIS4_Lb1EPKlPlPS6_SC_NS0_19identity_decomposerEEE10hipError_tT1_T2_T3_T4_jRjT5_jjP12ihipStream_tbEUlT_E_NS1_11comp_targetILNS1_3genE0ELNS1_11target_archE4294967295ELNS1_3gpuE0ELNS1_3repE0EEENS1_44radix_sort_block_sort_config_static_selectorELNS0_4arch9wavefront6targetE0EEEvSF_.kd
    .uniform_work_group_size: 1
    .uses_dynamic_stack: false
    .vgpr_count:     42
    .vgpr_spill_count: 0
    .wavefront_size: 32
  - .args:
      - .offset:         0
        .size:           48
        .value_kind:     by_value
    .group_segment_fixed_size: 0
    .kernarg_segment_align: 8
    .kernarg_segment_size: 48
    .language:       OpenCL C
    .language_version:
      - 2
      - 0
    .max_flat_workgroup_size: 256
    .name:           _ZN7rocprim17ROCPRIM_400000_NS6detail17trampoline_kernelINS0_13kernel_configILj256ELj4ELj4294967295EEENS1_37radix_sort_block_sort_config_selectorIlNS0_10empty_typeEEEZNS1_21radix_sort_block_sortIS4_Lb1EPKlPlPS6_SC_NS0_19identity_decomposerEEE10hipError_tT1_T2_T3_T4_jRjT5_jjP12ihipStream_tbEUlT_E_NS1_11comp_targetILNS1_3genE5ELNS1_11target_archE942ELNS1_3gpuE9ELNS1_3repE0EEENS1_44radix_sort_block_sort_config_static_selectorELNS0_4arch9wavefront6targetE0EEEvSF_
    .private_segment_fixed_size: 0
    .sgpr_count:     0
    .sgpr_spill_count: 0
    .symbol:         _ZN7rocprim17ROCPRIM_400000_NS6detail17trampoline_kernelINS0_13kernel_configILj256ELj4ELj4294967295EEENS1_37radix_sort_block_sort_config_selectorIlNS0_10empty_typeEEEZNS1_21radix_sort_block_sortIS4_Lb1EPKlPlPS6_SC_NS0_19identity_decomposerEEE10hipError_tT1_T2_T3_T4_jRjT5_jjP12ihipStream_tbEUlT_E_NS1_11comp_targetILNS1_3genE5ELNS1_11target_archE942ELNS1_3gpuE9ELNS1_3repE0EEENS1_44radix_sort_block_sort_config_static_selectorELNS0_4arch9wavefront6targetE0EEEvSF_.kd
    .uniform_work_group_size: 1
    .uses_dynamic_stack: false
    .vgpr_count:     0
    .vgpr_spill_count: 0
    .wavefront_size: 32
  - .args:
      - .offset:         0
        .size:           48
        .value_kind:     by_value
    .group_segment_fixed_size: 0
    .kernarg_segment_align: 8
    .kernarg_segment_size: 48
    .language:       OpenCL C
    .language_version:
      - 2
      - 0
    .max_flat_workgroup_size: 256
    .name:           _ZN7rocprim17ROCPRIM_400000_NS6detail17trampoline_kernelINS0_13kernel_configILj256ELj4ELj4294967295EEENS1_37radix_sort_block_sort_config_selectorIlNS0_10empty_typeEEEZNS1_21radix_sort_block_sortIS4_Lb1EPKlPlPS6_SC_NS0_19identity_decomposerEEE10hipError_tT1_T2_T3_T4_jRjT5_jjP12ihipStream_tbEUlT_E_NS1_11comp_targetILNS1_3genE4ELNS1_11target_archE910ELNS1_3gpuE8ELNS1_3repE0EEENS1_44radix_sort_block_sort_config_static_selectorELNS0_4arch9wavefront6targetE0EEEvSF_
    .private_segment_fixed_size: 0
    .sgpr_count:     0
    .sgpr_spill_count: 0
    .symbol:         _ZN7rocprim17ROCPRIM_400000_NS6detail17trampoline_kernelINS0_13kernel_configILj256ELj4ELj4294967295EEENS1_37radix_sort_block_sort_config_selectorIlNS0_10empty_typeEEEZNS1_21radix_sort_block_sortIS4_Lb1EPKlPlPS6_SC_NS0_19identity_decomposerEEE10hipError_tT1_T2_T3_T4_jRjT5_jjP12ihipStream_tbEUlT_E_NS1_11comp_targetILNS1_3genE4ELNS1_11target_archE910ELNS1_3gpuE8ELNS1_3repE0EEENS1_44radix_sort_block_sort_config_static_selectorELNS0_4arch9wavefront6targetE0EEEvSF_.kd
    .uniform_work_group_size: 1
    .uses_dynamic_stack: false
    .vgpr_count:     0
    .vgpr_spill_count: 0
    .wavefront_size: 32
  - .args:
      - .offset:         0
        .size:           48
        .value_kind:     by_value
    .group_segment_fixed_size: 0
    .kernarg_segment_align: 8
    .kernarg_segment_size: 48
    .language:       OpenCL C
    .language_version:
      - 2
      - 0
    .max_flat_workgroup_size: 256
    .name:           _ZN7rocprim17ROCPRIM_400000_NS6detail17trampoline_kernelINS0_13kernel_configILj256ELj4ELj4294967295EEENS1_37radix_sort_block_sort_config_selectorIlNS0_10empty_typeEEEZNS1_21radix_sort_block_sortIS4_Lb1EPKlPlPS6_SC_NS0_19identity_decomposerEEE10hipError_tT1_T2_T3_T4_jRjT5_jjP12ihipStream_tbEUlT_E_NS1_11comp_targetILNS1_3genE3ELNS1_11target_archE908ELNS1_3gpuE7ELNS1_3repE0EEENS1_44radix_sort_block_sort_config_static_selectorELNS0_4arch9wavefront6targetE0EEEvSF_
    .private_segment_fixed_size: 0
    .sgpr_count:     0
    .sgpr_spill_count: 0
    .symbol:         _ZN7rocprim17ROCPRIM_400000_NS6detail17trampoline_kernelINS0_13kernel_configILj256ELj4ELj4294967295EEENS1_37radix_sort_block_sort_config_selectorIlNS0_10empty_typeEEEZNS1_21radix_sort_block_sortIS4_Lb1EPKlPlPS6_SC_NS0_19identity_decomposerEEE10hipError_tT1_T2_T3_T4_jRjT5_jjP12ihipStream_tbEUlT_E_NS1_11comp_targetILNS1_3genE3ELNS1_11target_archE908ELNS1_3gpuE7ELNS1_3repE0EEENS1_44radix_sort_block_sort_config_static_selectorELNS0_4arch9wavefront6targetE0EEEvSF_.kd
    .uniform_work_group_size: 1
    .uses_dynamic_stack: false
    .vgpr_count:     0
    .vgpr_spill_count: 0
    .wavefront_size: 32
  - .args:
      - .offset:         0
        .size:           48
        .value_kind:     by_value
    .group_segment_fixed_size: 0
    .kernarg_segment_align: 8
    .kernarg_segment_size: 48
    .language:       OpenCL C
    .language_version:
      - 2
      - 0
    .max_flat_workgroup_size: 256
    .name:           _ZN7rocprim17ROCPRIM_400000_NS6detail17trampoline_kernelINS0_13kernel_configILj256ELj4ELj4294967295EEENS1_37radix_sort_block_sort_config_selectorIlNS0_10empty_typeEEEZNS1_21radix_sort_block_sortIS4_Lb1EPKlPlPS6_SC_NS0_19identity_decomposerEEE10hipError_tT1_T2_T3_T4_jRjT5_jjP12ihipStream_tbEUlT_E_NS1_11comp_targetILNS1_3genE2ELNS1_11target_archE906ELNS1_3gpuE6ELNS1_3repE0EEENS1_44radix_sort_block_sort_config_static_selectorELNS0_4arch9wavefront6targetE0EEEvSF_
    .private_segment_fixed_size: 0
    .sgpr_count:     0
    .sgpr_spill_count: 0
    .symbol:         _ZN7rocprim17ROCPRIM_400000_NS6detail17trampoline_kernelINS0_13kernel_configILj256ELj4ELj4294967295EEENS1_37radix_sort_block_sort_config_selectorIlNS0_10empty_typeEEEZNS1_21radix_sort_block_sortIS4_Lb1EPKlPlPS6_SC_NS0_19identity_decomposerEEE10hipError_tT1_T2_T3_T4_jRjT5_jjP12ihipStream_tbEUlT_E_NS1_11comp_targetILNS1_3genE2ELNS1_11target_archE906ELNS1_3gpuE6ELNS1_3repE0EEENS1_44radix_sort_block_sort_config_static_selectorELNS0_4arch9wavefront6targetE0EEEvSF_.kd
    .uniform_work_group_size: 1
    .uses_dynamic_stack: false
    .vgpr_count:     0
    .vgpr_spill_count: 0
    .wavefront_size: 32
  - .args:
      - .offset:         0
        .size:           48
        .value_kind:     by_value
    .group_segment_fixed_size: 0
    .kernarg_segment_align: 8
    .kernarg_segment_size: 48
    .language:       OpenCL C
    .language_version:
      - 2
      - 0
    .max_flat_workgroup_size: 256
    .name:           _ZN7rocprim17ROCPRIM_400000_NS6detail17trampoline_kernelINS0_13kernel_configILj256ELj4ELj4294967295EEENS1_37radix_sort_block_sort_config_selectorIlNS0_10empty_typeEEEZNS1_21radix_sort_block_sortIS4_Lb1EPKlPlPS6_SC_NS0_19identity_decomposerEEE10hipError_tT1_T2_T3_T4_jRjT5_jjP12ihipStream_tbEUlT_E_NS1_11comp_targetILNS1_3genE10ELNS1_11target_archE1201ELNS1_3gpuE5ELNS1_3repE0EEENS1_44radix_sort_block_sort_config_static_selectorELNS0_4arch9wavefront6targetE0EEEvSF_
    .private_segment_fixed_size: 0
    .sgpr_count:     0
    .sgpr_spill_count: 0
    .symbol:         _ZN7rocprim17ROCPRIM_400000_NS6detail17trampoline_kernelINS0_13kernel_configILj256ELj4ELj4294967295EEENS1_37radix_sort_block_sort_config_selectorIlNS0_10empty_typeEEEZNS1_21radix_sort_block_sortIS4_Lb1EPKlPlPS6_SC_NS0_19identity_decomposerEEE10hipError_tT1_T2_T3_T4_jRjT5_jjP12ihipStream_tbEUlT_E_NS1_11comp_targetILNS1_3genE10ELNS1_11target_archE1201ELNS1_3gpuE5ELNS1_3repE0EEENS1_44radix_sort_block_sort_config_static_selectorELNS0_4arch9wavefront6targetE0EEEvSF_.kd
    .uniform_work_group_size: 1
    .uses_dynamic_stack: false
    .vgpr_count:     0
    .vgpr_spill_count: 0
    .wavefront_size: 32
  - .args:
      - .offset:         0
        .size:           48
        .value_kind:     by_value
    .group_segment_fixed_size: 0
    .kernarg_segment_align: 8
    .kernarg_segment_size: 48
    .language:       OpenCL C
    .language_version:
      - 2
      - 0
    .max_flat_workgroup_size: 256
    .name:           _ZN7rocprim17ROCPRIM_400000_NS6detail17trampoline_kernelINS0_13kernel_configILj256ELj4ELj4294967295EEENS1_37radix_sort_block_sort_config_selectorIlNS0_10empty_typeEEEZNS1_21radix_sort_block_sortIS4_Lb1EPKlPlPS6_SC_NS0_19identity_decomposerEEE10hipError_tT1_T2_T3_T4_jRjT5_jjP12ihipStream_tbEUlT_E_NS1_11comp_targetILNS1_3genE10ELNS1_11target_archE1200ELNS1_3gpuE4ELNS1_3repE0EEENS1_44radix_sort_block_sort_config_static_selectorELNS0_4arch9wavefront6targetE0EEEvSF_
    .private_segment_fixed_size: 0
    .sgpr_count:     0
    .sgpr_spill_count: 0
    .symbol:         _ZN7rocprim17ROCPRIM_400000_NS6detail17trampoline_kernelINS0_13kernel_configILj256ELj4ELj4294967295EEENS1_37radix_sort_block_sort_config_selectorIlNS0_10empty_typeEEEZNS1_21radix_sort_block_sortIS4_Lb1EPKlPlPS6_SC_NS0_19identity_decomposerEEE10hipError_tT1_T2_T3_T4_jRjT5_jjP12ihipStream_tbEUlT_E_NS1_11comp_targetILNS1_3genE10ELNS1_11target_archE1200ELNS1_3gpuE4ELNS1_3repE0EEENS1_44radix_sort_block_sort_config_static_selectorELNS0_4arch9wavefront6targetE0EEEvSF_.kd
    .uniform_work_group_size: 1
    .uses_dynamic_stack: false
    .vgpr_count:     0
    .vgpr_spill_count: 0
    .wavefront_size: 32
  - .args:
      - .offset:         0
        .size:           48
        .value_kind:     by_value
    .group_segment_fixed_size: 0
    .kernarg_segment_align: 8
    .kernarg_segment_size: 48
    .language:       OpenCL C
    .language_version:
      - 2
      - 0
    .max_flat_workgroup_size: 256
    .name:           _ZN7rocprim17ROCPRIM_400000_NS6detail17trampoline_kernelINS0_13kernel_configILj256ELj4ELj4294967295EEENS1_37radix_sort_block_sort_config_selectorIlNS0_10empty_typeEEEZNS1_21radix_sort_block_sortIS4_Lb1EPKlPlPS6_SC_NS0_19identity_decomposerEEE10hipError_tT1_T2_T3_T4_jRjT5_jjP12ihipStream_tbEUlT_E_NS1_11comp_targetILNS1_3genE9ELNS1_11target_archE1100ELNS1_3gpuE3ELNS1_3repE0EEENS1_44radix_sort_block_sort_config_static_selectorELNS0_4arch9wavefront6targetE0EEEvSF_
    .private_segment_fixed_size: 0
    .sgpr_count:     0
    .sgpr_spill_count: 0
    .symbol:         _ZN7rocprim17ROCPRIM_400000_NS6detail17trampoline_kernelINS0_13kernel_configILj256ELj4ELj4294967295EEENS1_37radix_sort_block_sort_config_selectorIlNS0_10empty_typeEEEZNS1_21radix_sort_block_sortIS4_Lb1EPKlPlPS6_SC_NS0_19identity_decomposerEEE10hipError_tT1_T2_T3_T4_jRjT5_jjP12ihipStream_tbEUlT_E_NS1_11comp_targetILNS1_3genE9ELNS1_11target_archE1100ELNS1_3gpuE3ELNS1_3repE0EEENS1_44radix_sort_block_sort_config_static_selectorELNS0_4arch9wavefront6targetE0EEEvSF_.kd
    .uniform_work_group_size: 1
    .uses_dynamic_stack: false
    .vgpr_count:     0
    .vgpr_spill_count: 0
    .wavefront_size: 32
  - .args:
      - .offset:         0
        .size:           48
        .value_kind:     by_value
    .group_segment_fixed_size: 0
    .kernarg_segment_align: 8
    .kernarg_segment_size: 48
    .language:       OpenCL C
    .language_version:
      - 2
      - 0
    .max_flat_workgroup_size: 256
    .name:           _ZN7rocprim17ROCPRIM_400000_NS6detail17trampoline_kernelINS0_13kernel_configILj256ELj4ELj4294967295EEENS1_37radix_sort_block_sort_config_selectorIlNS0_10empty_typeEEEZNS1_21radix_sort_block_sortIS4_Lb1EPKlPlPS6_SC_NS0_19identity_decomposerEEE10hipError_tT1_T2_T3_T4_jRjT5_jjP12ihipStream_tbEUlT_E_NS1_11comp_targetILNS1_3genE8ELNS1_11target_archE1030ELNS1_3gpuE2ELNS1_3repE0EEENS1_44radix_sort_block_sort_config_static_selectorELNS0_4arch9wavefront6targetE0EEEvSF_
    .private_segment_fixed_size: 0
    .sgpr_count:     0
    .sgpr_spill_count: 0
    .symbol:         _ZN7rocprim17ROCPRIM_400000_NS6detail17trampoline_kernelINS0_13kernel_configILj256ELj4ELj4294967295EEENS1_37radix_sort_block_sort_config_selectorIlNS0_10empty_typeEEEZNS1_21radix_sort_block_sortIS4_Lb1EPKlPlPS6_SC_NS0_19identity_decomposerEEE10hipError_tT1_T2_T3_T4_jRjT5_jjP12ihipStream_tbEUlT_E_NS1_11comp_targetILNS1_3genE8ELNS1_11target_archE1030ELNS1_3gpuE2ELNS1_3repE0EEENS1_44radix_sort_block_sort_config_static_selectorELNS0_4arch9wavefront6targetE0EEEvSF_.kd
    .uniform_work_group_size: 1
    .uses_dynamic_stack: false
    .vgpr_count:     0
    .vgpr_spill_count: 0
    .wavefront_size: 32
  - .args:           []
    .group_segment_fixed_size: 0
    .kernarg_segment_align: 4
    .kernarg_segment_size: 0
    .language:       OpenCL C
    .language_version:
      - 2
      - 0
    .max_flat_workgroup_size: 1024
    .name:           _ZN7rocprim17ROCPRIM_400000_NS6detail44device_merge_sort_compile_time_verifier_archINS1_11comp_targetILNS1_3genE0ELNS1_11target_archE4294967295ELNS1_3gpuE0ELNS1_3repE0EEES8_NS1_28merge_sort_block_sort_configILj256ELj4ELNS0_20block_sort_algorithmE0EEENS0_14default_configENS1_37merge_sort_block_sort_config_selectorIlNS0_10empty_typeEEENS1_38merge_sort_block_merge_config_selectorIlSE_EEEEvv
    .private_segment_fixed_size: 0
    .sgpr_count:     0
    .sgpr_spill_count: 0
    .symbol:         _ZN7rocprim17ROCPRIM_400000_NS6detail44device_merge_sort_compile_time_verifier_archINS1_11comp_targetILNS1_3genE0ELNS1_11target_archE4294967295ELNS1_3gpuE0ELNS1_3repE0EEES8_NS1_28merge_sort_block_sort_configILj256ELj4ELNS0_20block_sort_algorithmE0EEENS0_14default_configENS1_37merge_sort_block_sort_config_selectorIlNS0_10empty_typeEEENS1_38merge_sort_block_merge_config_selectorIlSE_EEEEvv.kd
    .uniform_work_group_size: 1
    .uses_dynamic_stack: false
    .vgpr_count:     0
    .vgpr_spill_count: 0
    .wavefront_size: 32
  - .args:           []
    .group_segment_fixed_size: 0
    .kernarg_segment_align: 4
    .kernarg_segment_size: 0
    .language:       OpenCL C
    .language_version:
      - 2
      - 0
    .max_flat_workgroup_size: 1024
    .name:           _ZN7rocprim17ROCPRIM_400000_NS6detail44device_merge_sort_compile_time_verifier_archINS1_11comp_targetILNS1_3genE5ELNS1_11target_archE942ELNS1_3gpuE9ELNS1_3repE0EEES8_NS1_28merge_sort_block_sort_configILj256ELj4ELNS0_20block_sort_algorithmE0EEENS0_14default_configENS1_37merge_sort_block_sort_config_selectorIlNS0_10empty_typeEEENS1_38merge_sort_block_merge_config_selectorIlSE_EEEEvv
    .private_segment_fixed_size: 0
    .sgpr_count:     0
    .sgpr_spill_count: 0
    .symbol:         _ZN7rocprim17ROCPRIM_400000_NS6detail44device_merge_sort_compile_time_verifier_archINS1_11comp_targetILNS1_3genE5ELNS1_11target_archE942ELNS1_3gpuE9ELNS1_3repE0EEES8_NS1_28merge_sort_block_sort_configILj256ELj4ELNS0_20block_sort_algorithmE0EEENS0_14default_configENS1_37merge_sort_block_sort_config_selectorIlNS0_10empty_typeEEENS1_38merge_sort_block_merge_config_selectorIlSE_EEEEvv.kd
    .uniform_work_group_size: 1
    .uses_dynamic_stack: false
    .vgpr_count:     0
    .vgpr_spill_count: 0
    .wavefront_size: 32
  - .args:           []
    .group_segment_fixed_size: 0
    .kernarg_segment_align: 4
    .kernarg_segment_size: 0
    .language:       OpenCL C
    .language_version:
      - 2
      - 0
    .max_flat_workgroup_size: 1024
    .name:           _ZN7rocprim17ROCPRIM_400000_NS6detail44device_merge_sort_compile_time_verifier_archINS1_11comp_targetILNS1_3genE4ELNS1_11target_archE910ELNS1_3gpuE8ELNS1_3repE0EEES8_NS1_28merge_sort_block_sort_configILj256ELj4ELNS0_20block_sort_algorithmE0EEENS0_14default_configENS1_37merge_sort_block_sort_config_selectorIlNS0_10empty_typeEEENS1_38merge_sort_block_merge_config_selectorIlSE_EEEEvv
    .private_segment_fixed_size: 0
    .sgpr_count:     0
    .sgpr_spill_count: 0
    .symbol:         _ZN7rocprim17ROCPRIM_400000_NS6detail44device_merge_sort_compile_time_verifier_archINS1_11comp_targetILNS1_3genE4ELNS1_11target_archE910ELNS1_3gpuE8ELNS1_3repE0EEES8_NS1_28merge_sort_block_sort_configILj256ELj4ELNS0_20block_sort_algorithmE0EEENS0_14default_configENS1_37merge_sort_block_sort_config_selectorIlNS0_10empty_typeEEENS1_38merge_sort_block_merge_config_selectorIlSE_EEEEvv.kd
    .uniform_work_group_size: 1
    .uses_dynamic_stack: false
    .vgpr_count:     0
    .vgpr_spill_count: 0
    .wavefront_size: 32
  - .args:           []
    .group_segment_fixed_size: 0
    .kernarg_segment_align: 4
    .kernarg_segment_size: 0
    .language:       OpenCL C
    .language_version:
      - 2
      - 0
    .max_flat_workgroup_size: 1024
    .name:           _ZN7rocprim17ROCPRIM_400000_NS6detail44device_merge_sort_compile_time_verifier_archINS1_11comp_targetILNS1_3genE3ELNS1_11target_archE908ELNS1_3gpuE7ELNS1_3repE0EEES8_NS1_28merge_sort_block_sort_configILj256ELj4ELNS0_20block_sort_algorithmE0EEENS0_14default_configENS1_37merge_sort_block_sort_config_selectorIlNS0_10empty_typeEEENS1_38merge_sort_block_merge_config_selectorIlSE_EEEEvv
    .private_segment_fixed_size: 0
    .sgpr_count:     0
    .sgpr_spill_count: 0
    .symbol:         _ZN7rocprim17ROCPRIM_400000_NS6detail44device_merge_sort_compile_time_verifier_archINS1_11comp_targetILNS1_3genE3ELNS1_11target_archE908ELNS1_3gpuE7ELNS1_3repE0EEES8_NS1_28merge_sort_block_sort_configILj256ELj4ELNS0_20block_sort_algorithmE0EEENS0_14default_configENS1_37merge_sort_block_sort_config_selectorIlNS0_10empty_typeEEENS1_38merge_sort_block_merge_config_selectorIlSE_EEEEvv.kd
    .uniform_work_group_size: 1
    .uses_dynamic_stack: false
    .vgpr_count:     0
    .vgpr_spill_count: 0
    .wavefront_size: 32
  - .args:           []
    .group_segment_fixed_size: 0
    .kernarg_segment_align: 4
    .kernarg_segment_size: 0
    .language:       OpenCL C
    .language_version:
      - 2
      - 0
    .max_flat_workgroup_size: 1024
    .name:           _ZN7rocprim17ROCPRIM_400000_NS6detail44device_merge_sort_compile_time_verifier_archINS1_11comp_targetILNS1_3genE2ELNS1_11target_archE906ELNS1_3gpuE6ELNS1_3repE0EEES8_NS1_28merge_sort_block_sort_configILj256ELj4ELNS0_20block_sort_algorithmE0EEENS0_14default_configENS1_37merge_sort_block_sort_config_selectorIlNS0_10empty_typeEEENS1_38merge_sort_block_merge_config_selectorIlSE_EEEEvv
    .private_segment_fixed_size: 0
    .sgpr_count:     0
    .sgpr_spill_count: 0
    .symbol:         _ZN7rocprim17ROCPRIM_400000_NS6detail44device_merge_sort_compile_time_verifier_archINS1_11comp_targetILNS1_3genE2ELNS1_11target_archE906ELNS1_3gpuE6ELNS1_3repE0EEES8_NS1_28merge_sort_block_sort_configILj256ELj4ELNS0_20block_sort_algorithmE0EEENS0_14default_configENS1_37merge_sort_block_sort_config_selectorIlNS0_10empty_typeEEENS1_38merge_sort_block_merge_config_selectorIlSE_EEEEvv.kd
    .uniform_work_group_size: 1
    .uses_dynamic_stack: false
    .vgpr_count:     0
    .vgpr_spill_count: 0
    .wavefront_size: 32
  - .args:           []
    .group_segment_fixed_size: 0
    .kernarg_segment_align: 4
    .kernarg_segment_size: 0
    .language:       OpenCL C
    .language_version:
      - 2
      - 0
    .max_flat_workgroup_size: 1024
    .name:           _ZN7rocprim17ROCPRIM_400000_NS6detail44device_merge_sort_compile_time_verifier_archINS1_11comp_targetILNS1_3genE10ELNS1_11target_archE1201ELNS1_3gpuE5ELNS1_3repE0EEES8_NS1_28merge_sort_block_sort_configILj256ELj4ELNS0_20block_sort_algorithmE0EEENS0_14default_configENS1_37merge_sort_block_sort_config_selectorIlNS0_10empty_typeEEENS1_38merge_sort_block_merge_config_selectorIlSE_EEEEvv
    .private_segment_fixed_size: 0
    .sgpr_count:     0
    .sgpr_spill_count: 0
    .symbol:         _ZN7rocprim17ROCPRIM_400000_NS6detail44device_merge_sort_compile_time_verifier_archINS1_11comp_targetILNS1_3genE10ELNS1_11target_archE1201ELNS1_3gpuE5ELNS1_3repE0EEES8_NS1_28merge_sort_block_sort_configILj256ELj4ELNS0_20block_sort_algorithmE0EEENS0_14default_configENS1_37merge_sort_block_sort_config_selectorIlNS0_10empty_typeEEENS1_38merge_sort_block_merge_config_selectorIlSE_EEEEvv.kd
    .uniform_work_group_size: 1
    .uses_dynamic_stack: false
    .vgpr_count:     0
    .vgpr_spill_count: 0
    .wavefront_size: 32
  - .args:           []
    .group_segment_fixed_size: 0
    .kernarg_segment_align: 4
    .kernarg_segment_size: 0
    .language:       OpenCL C
    .language_version:
      - 2
      - 0
    .max_flat_workgroup_size: 1024
    .name:           _ZN7rocprim17ROCPRIM_400000_NS6detail44device_merge_sort_compile_time_verifier_archINS1_11comp_targetILNS1_3genE10ELNS1_11target_archE1200ELNS1_3gpuE4ELNS1_3repE0EEENS3_ILS4_10ELS5_1201ELS6_5ELS7_0EEENS1_28merge_sort_block_sort_configILj256ELj4ELNS0_20block_sort_algorithmE0EEENS0_14default_configENS1_37merge_sort_block_sort_config_selectorIlNS0_10empty_typeEEENS1_38merge_sort_block_merge_config_selectorIlSF_EEEEvv
    .private_segment_fixed_size: 0
    .sgpr_count:     0
    .sgpr_spill_count: 0
    .symbol:         _ZN7rocprim17ROCPRIM_400000_NS6detail44device_merge_sort_compile_time_verifier_archINS1_11comp_targetILNS1_3genE10ELNS1_11target_archE1200ELNS1_3gpuE4ELNS1_3repE0EEENS3_ILS4_10ELS5_1201ELS6_5ELS7_0EEENS1_28merge_sort_block_sort_configILj256ELj4ELNS0_20block_sort_algorithmE0EEENS0_14default_configENS1_37merge_sort_block_sort_config_selectorIlNS0_10empty_typeEEENS1_38merge_sort_block_merge_config_selectorIlSF_EEEEvv.kd
    .uniform_work_group_size: 1
    .uses_dynamic_stack: false
    .vgpr_count:     0
    .vgpr_spill_count: 0
    .wavefront_size: 32
  - .args:           []
    .group_segment_fixed_size: 0
    .kernarg_segment_align: 4
    .kernarg_segment_size: 0
    .language:       OpenCL C
    .language_version:
      - 2
      - 0
    .max_flat_workgroup_size: 1024
    .name:           _ZN7rocprim17ROCPRIM_400000_NS6detail44device_merge_sort_compile_time_verifier_archINS1_11comp_targetILNS1_3genE9ELNS1_11target_archE1100ELNS1_3gpuE3ELNS1_3repE0EEES8_NS1_28merge_sort_block_sort_configILj256ELj4ELNS0_20block_sort_algorithmE0EEENS0_14default_configENS1_37merge_sort_block_sort_config_selectorIlNS0_10empty_typeEEENS1_38merge_sort_block_merge_config_selectorIlSE_EEEEvv
    .private_segment_fixed_size: 0
    .sgpr_count:     0
    .sgpr_spill_count: 0
    .symbol:         _ZN7rocprim17ROCPRIM_400000_NS6detail44device_merge_sort_compile_time_verifier_archINS1_11comp_targetILNS1_3genE9ELNS1_11target_archE1100ELNS1_3gpuE3ELNS1_3repE0EEES8_NS1_28merge_sort_block_sort_configILj256ELj4ELNS0_20block_sort_algorithmE0EEENS0_14default_configENS1_37merge_sort_block_sort_config_selectorIlNS0_10empty_typeEEENS1_38merge_sort_block_merge_config_selectorIlSE_EEEEvv.kd
    .uniform_work_group_size: 1
    .uses_dynamic_stack: false
    .vgpr_count:     0
    .vgpr_spill_count: 0
    .wavefront_size: 32
  - .args:           []
    .group_segment_fixed_size: 0
    .kernarg_segment_align: 4
    .kernarg_segment_size: 0
    .language:       OpenCL C
    .language_version:
      - 2
      - 0
    .max_flat_workgroup_size: 1024
    .name:           _ZN7rocprim17ROCPRIM_400000_NS6detail44device_merge_sort_compile_time_verifier_archINS1_11comp_targetILNS1_3genE8ELNS1_11target_archE1030ELNS1_3gpuE2ELNS1_3repE0EEES8_NS1_28merge_sort_block_sort_configILj256ELj4ELNS0_20block_sort_algorithmE0EEENS0_14default_configENS1_37merge_sort_block_sort_config_selectorIlNS0_10empty_typeEEENS1_38merge_sort_block_merge_config_selectorIlSE_EEEEvv
    .private_segment_fixed_size: 0
    .sgpr_count:     0
    .sgpr_spill_count: 0
    .symbol:         _ZN7rocprim17ROCPRIM_400000_NS6detail44device_merge_sort_compile_time_verifier_archINS1_11comp_targetILNS1_3genE8ELNS1_11target_archE1030ELNS1_3gpuE2ELNS1_3repE0EEES8_NS1_28merge_sort_block_sort_configILj256ELj4ELNS0_20block_sort_algorithmE0EEENS0_14default_configENS1_37merge_sort_block_sort_config_selectorIlNS0_10empty_typeEEENS1_38merge_sort_block_merge_config_selectorIlSE_EEEEvv.kd
    .uniform_work_group_size: 1
    .uses_dynamic_stack: false
    .vgpr_count:     0
    .vgpr_spill_count: 0
    .wavefront_size: 32
  - .args:
      - .offset:         0
        .size:           40
        .value_kind:     by_value
    .group_segment_fixed_size: 0
    .kernarg_segment_align: 8
    .kernarg_segment_size: 40
    .language:       OpenCL C
    .language_version:
      - 2
      - 0
    .max_flat_workgroup_size: 128
    .name:           _ZN7rocprim17ROCPRIM_400000_NS6detail17trampoline_kernelINS0_14default_configENS1_38merge_sort_block_merge_config_selectorIlNS0_10empty_typeEEEZZNS1_27merge_sort_block_merge_implIS3_PlPS5_jNS1_19radix_merge_compareILb1ELb0ElNS0_19identity_decomposerEEEEE10hipError_tT0_T1_T2_jT3_P12ihipStream_tbPNSt15iterator_traitsISE_E10value_typeEPNSK_ISF_E10value_typeEPSG_NS1_7vsmem_tEENKUlT_SE_SF_SG_E_clIS8_S8_S9_S9_EESD_ST_SE_SF_SG_EUlST_E_NS1_11comp_targetILNS1_3genE0ELNS1_11target_archE4294967295ELNS1_3gpuE0ELNS1_3repE0EEENS1_48merge_mergepath_partition_config_static_selectorELNS0_4arch9wavefront6targetE0EEEvSF_
    .private_segment_fixed_size: 0
    .sgpr_count:     8
    .sgpr_spill_count: 0
    .symbol:         _ZN7rocprim17ROCPRIM_400000_NS6detail17trampoline_kernelINS0_14default_configENS1_38merge_sort_block_merge_config_selectorIlNS0_10empty_typeEEEZZNS1_27merge_sort_block_merge_implIS3_PlPS5_jNS1_19radix_merge_compareILb1ELb0ElNS0_19identity_decomposerEEEEE10hipError_tT0_T1_T2_jT3_P12ihipStream_tbPNSt15iterator_traitsISE_E10value_typeEPNSK_ISF_E10value_typeEPSG_NS1_7vsmem_tEENKUlT_SE_SF_SG_E_clIS8_S8_S9_S9_EESD_ST_SE_SF_SG_EUlST_E_NS1_11comp_targetILNS1_3genE0ELNS1_11target_archE4294967295ELNS1_3gpuE0ELNS1_3repE0EEENS1_48merge_mergepath_partition_config_static_selectorELNS0_4arch9wavefront6targetE0EEEvSF_.kd
    .uniform_work_group_size: 1
    .uses_dynamic_stack: false
    .vgpr_count:     20
    .vgpr_spill_count: 0
    .wavefront_size: 32
  - .args:
      - .offset:         0
        .size:           40
        .value_kind:     by_value
    .group_segment_fixed_size: 0
    .kernarg_segment_align: 8
    .kernarg_segment_size: 40
    .language:       OpenCL C
    .language_version:
      - 2
      - 0
    .max_flat_workgroup_size: 128
    .name:           _ZN7rocprim17ROCPRIM_400000_NS6detail17trampoline_kernelINS0_14default_configENS1_38merge_sort_block_merge_config_selectorIlNS0_10empty_typeEEEZZNS1_27merge_sort_block_merge_implIS3_PlPS5_jNS1_19radix_merge_compareILb1ELb0ElNS0_19identity_decomposerEEEEE10hipError_tT0_T1_T2_jT3_P12ihipStream_tbPNSt15iterator_traitsISE_E10value_typeEPNSK_ISF_E10value_typeEPSG_NS1_7vsmem_tEENKUlT_SE_SF_SG_E_clIS8_S8_S9_S9_EESD_ST_SE_SF_SG_EUlST_E_NS1_11comp_targetILNS1_3genE10ELNS1_11target_archE1201ELNS1_3gpuE5ELNS1_3repE0EEENS1_48merge_mergepath_partition_config_static_selectorELNS0_4arch9wavefront6targetE0EEEvSF_
    .private_segment_fixed_size: 0
    .sgpr_count:     0
    .sgpr_spill_count: 0
    .symbol:         _ZN7rocprim17ROCPRIM_400000_NS6detail17trampoline_kernelINS0_14default_configENS1_38merge_sort_block_merge_config_selectorIlNS0_10empty_typeEEEZZNS1_27merge_sort_block_merge_implIS3_PlPS5_jNS1_19radix_merge_compareILb1ELb0ElNS0_19identity_decomposerEEEEE10hipError_tT0_T1_T2_jT3_P12ihipStream_tbPNSt15iterator_traitsISE_E10value_typeEPNSK_ISF_E10value_typeEPSG_NS1_7vsmem_tEENKUlT_SE_SF_SG_E_clIS8_S8_S9_S9_EESD_ST_SE_SF_SG_EUlST_E_NS1_11comp_targetILNS1_3genE10ELNS1_11target_archE1201ELNS1_3gpuE5ELNS1_3repE0EEENS1_48merge_mergepath_partition_config_static_selectorELNS0_4arch9wavefront6targetE0EEEvSF_.kd
    .uniform_work_group_size: 1
    .uses_dynamic_stack: false
    .vgpr_count:     0
    .vgpr_spill_count: 0
    .wavefront_size: 32
  - .args:
      - .offset:         0
        .size:           40
        .value_kind:     by_value
    .group_segment_fixed_size: 0
    .kernarg_segment_align: 8
    .kernarg_segment_size: 40
    .language:       OpenCL C
    .language_version:
      - 2
      - 0
    .max_flat_workgroup_size: 128
    .name:           _ZN7rocprim17ROCPRIM_400000_NS6detail17trampoline_kernelINS0_14default_configENS1_38merge_sort_block_merge_config_selectorIlNS0_10empty_typeEEEZZNS1_27merge_sort_block_merge_implIS3_PlPS5_jNS1_19radix_merge_compareILb1ELb0ElNS0_19identity_decomposerEEEEE10hipError_tT0_T1_T2_jT3_P12ihipStream_tbPNSt15iterator_traitsISE_E10value_typeEPNSK_ISF_E10value_typeEPSG_NS1_7vsmem_tEENKUlT_SE_SF_SG_E_clIS8_S8_S9_S9_EESD_ST_SE_SF_SG_EUlST_E_NS1_11comp_targetILNS1_3genE5ELNS1_11target_archE942ELNS1_3gpuE9ELNS1_3repE0EEENS1_48merge_mergepath_partition_config_static_selectorELNS0_4arch9wavefront6targetE0EEEvSF_
    .private_segment_fixed_size: 0
    .sgpr_count:     0
    .sgpr_spill_count: 0
    .symbol:         _ZN7rocprim17ROCPRIM_400000_NS6detail17trampoline_kernelINS0_14default_configENS1_38merge_sort_block_merge_config_selectorIlNS0_10empty_typeEEEZZNS1_27merge_sort_block_merge_implIS3_PlPS5_jNS1_19radix_merge_compareILb1ELb0ElNS0_19identity_decomposerEEEEE10hipError_tT0_T1_T2_jT3_P12ihipStream_tbPNSt15iterator_traitsISE_E10value_typeEPNSK_ISF_E10value_typeEPSG_NS1_7vsmem_tEENKUlT_SE_SF_SG_E_clIS8_S8_S9_S9_EESD_ST_SE_SF_SG_EUlST_E_NS1_11comp_targetILNS1_3genE5ELNS1_11target_archE942ELNS1_3gpuE9ELNS1_3repE0EEENS1_48merge_mergepath_partition_config_static_selectorELNS0_4arch9wavefront6targetE0EEEvSF_.kd
    .uniform_work_group_size: 1
    .uses_dynamic_stack: false
    .vgpr_count:     0
    .vgpr_spill_count: 0
    .wavefront_size: 32
  - .args:
      - .offset:         0
        .size:           40
        .value_kind:     by_value
    .group_segment_fixed_size: 0
    .kernarg_segment_align: 8
    .kernarg_segment_size: 40
    .language:       OpenCL C
    .language_version:
      - 2
      - 0
    .max_flat_workgroup_size: 128
    .name:           _ZN7rocprim17ROCPRIM_400000_NS6detail17trampoline_kernelINS0_14default_configENS1_38merge_sort_block_merge_config_selectorIlNS0_10empty_typeEEEZZNS1_27merge_sort_block_merge_implIS3_PlPS5_jNS1_19radix_merge_compareILb1ELb0ElNS0_19identity_decomposerEEEEE10hipError_tT0_T1_T2_jT3_P12ihipStream_tbPNSt15iterator_traitsISE_E10value_typeEPNSK_ISF_E10value_typeEPSG_NS1_7vsmem_tEENKUlT_SE_SF_SG_E_clIS8_S8_S9_S9_EESD_ST_SE_SF_SG_EUlST_E_NS1_11comp_targetILNS1_3genE4ELNS1_11target_archE910ELNS1_3gpuE8ELNS1_3repE0EEENS1_48merge_mergepath_partition_config_static_selectorELNS0_4arch9wavefront6targetE0EEEvSF_
    .private_segment_fixed_size: 0
    .sgpr_count:     0
    .sgpr_spill_count: 0
    .symbol:         _ZN7rocprim17ROCPRIM_400000_NS6detail17trampoline_kernelINS0_14default_configENS1_38merge_sort_block_merge_config_selectorIlNS0_10empty_typeEEEZZNS1_27merge_sort_block_merge_implIS3_PlPS5_jNS1_19radix_merge_compareILb1ELb0ElNS0_19identity_decomposerEEEEE10hipError_tT0_T1_T2_jT3_P12ihipStream_tbPNSt15iterator_traitsISE_E10value_typeEPNSK_ISF_E10value_typeEPSG_NS1_7vsmem_tEENKUlT_SE_SF_SG_E_clIS8_S8_S9_S9_EESD_ST_SE_SF_SG_EUlST_E_NS1_11comp_targetILNS1_3genE4ELNS1_11target_archE910ELNS1_3gpuE8ELNS1_3repE0EEENS1_48merge_mergepath_partition_config_static_selectorELNS0_4arch9wavefront6targetE0EEEvSF_.kd
    .uniform_work_group_size: 1
    .uses_dynamic_stack: false
    .vgpr_count:     0
    .vgpr_spill_count: 0
    .wavefront_size: 32
  - .args:
      - .offset:         0
        .size:           40
        .value_kind:     by_value
    .group_segment_fixed_size: 0
    .kernarg_segment_align: 8
    .kernarg_segment_size: 40
    .language:       OpenCL C
    .language_version:
      - 2
      - 0
    .max_flat_workgroup_size: 128
    .name:           _ZN7rocprim17ROCPRIM_400000_NS6detail17trampoline_kernelINS0_14default_configENS1_38merge_sort_block_merge_config_selectorIlNS0_10empty_typeEEEZZNS1_27merge_sort_block_merge_implIS3_PlPS5_jNS1_19radix_merge_compareILb1ELb0ElNS0_19identity_decomposerEEEEE10hipError_tT0_T1_T2_jT3_P12ihipStream_tbPNSt15iterator_traitsISE_E10value_typeEPNSK_ISF_E10value_typeEPSG_NS1_7vsmem_tEENKUlT_SE_SF_SG_E_clIS8_S8_S9_S9_EESD_ST_SE_SF_SG_EUlST_E_NS1_11comp_targetILNS1_3genE3ELNS1_11target_archE908ELNS1_3gpuE7ELNS1_3repE0EEENS1_48merge_mergepath_partition_config_static_selectorELNS0_4arch9wavefront6targetE0EEEvSF_
    .private_segment_fixed_size: 0
    .sgpr_count:     0
    .sgpr_spill_count: 0
    .symbol:         _ZN7rocprim17ROCPRIM_400000_NS6detail17trampoline_kernelINS0_14default_configENS1_38merge_sort_block_merge_config_selectorIlNS0_10empty_typeEEEZZNS1_27merge_sort_block_merge_implIS3_PlPS5_jNS1_19radix_merge_compareILb1ELb0ElNS0_19identity_decomposerEEEEE10hipError_tT0_T1_T2_jT3_P12ihipStream_tbPNSt15iterator_traitsISE_E10value_typeEPNSK_ISF_E10value_typeEPSG_NS1_7vsmem_tEENKUlT_SE_SF_SG_E_clIS8_S8_S9_S9_EESD_ST_SE_SF_SG_EUlST_E_NS1_11comp_targetILNS1_3genE3ELNS1_11target_archE908ELNS1_3gpuE7ELNS1_3repE0EEENS1_48merge_mergepath_partition_config_static_selectorELNS0_4arch9wavefront6targetE0EEEvSF_.kd
    .uniform_work_group_size: 1
    .uses_dynamic_stack: false
    .vgpr_count:     0
    .vgpr_spill_count: 0
    .wavefront_size: 32
  - .args:
      - .offset:         0
        .size:           40
        .value_kind:     by_value
    .group_segment_fixed_size: 0
    .kernarg_segment_align: 8
    .kernarg_segment_size: 40
    .language:       OpenCL C
    .language_version:
      - 2
      - 0
    .max_flat_workgroup_size: 128
    .name:           _ZN7rocprim17ROCPRIM_400000_NS6detail17trampoline_kernelINS0_14default_configENS1_38merge_sort_block_merge_config_selectorIlNS0_10empty_typeEEEZZNS1_27merge_sort_block_merge_implIS3_PlPS5_jNS1_19radix_merge_compareILb1ELb0ElNS0_19identity_decomposerEEEEE10hipError_tT0_T1_T2_jT3_P12ihipStream_tbPNSt15iterator_traitsISE_E10value_typeEPNSK_ISF_E10value_typeEPSG_NS1_7vsmem_tEENKUlT_SE_SF_SG_E_clIS8_S8_S9_S9_EESD_ST_SE_SF_SG_EUlST_E_NS1_11comp_targetILNS1_3genE2ELNS1_11target_archE906ELNS1_3gpuE6ELNS1_3repE0EEENS1_48merge_mergepath_partition_config_static_selectorELNS0_4arch9wavefront6targetE0EEEvSF_
    .private_segment_fixed_size: 0
    .sgpr_count:     0
    .sgpr_spill_count: 0
    .symbol:         _ZN7rocprim17ROCPRIM_400000_NS6detail17trampoline_kernelINS0_14default_configENS1_38merge_sort_block_merge_config_selectorIlNS0_10empty_typeEEEZZNS1_27merge_sort_block_merge_implIS3_PlPS5_jNS1_19radix_merge_compareILb1ELb0ElNS0_19identity_decomposerEEEEE10hipError_tT0_T1_T2_jT3_P12ihipStream_tbPNSt15iterator_traitsISE_E10value_typeEPNSK_ISF_E10value_typeEPSG_NS1_7vsmem_tEENKUlT_SE_SF_SG_E_clIS8_S8_S9_S9_EESD_ST_SE_SF_SG_EUlST_E_NS1_11comp_targetILNS1_3genE2ELNS1_11target_archE906ELNS1_3gpuE6ELNS1_3repE0EEENS1_48merge_mergepath_partition_config_static_selectorELNS0_4arch9wavefront6targetE0EEEvSF_.kd
    .uniform_work_group_size: 1
    .uses_dynamic_stack: false
    .vgpr_count:     0
    .vgpr_spill_count: 0
    .wavefront_size: 32
  - .args:
      - .offset:         0
        .size:           40
        .value_kind:     by_value
    .group_segment_fixed_size: 0
    .kernarg_segment_align: 8
    .kernarg_segment_size: 40
    .language:       OpenCL C
    .language_version:
      - 2
      - 0
    .max_flat_workgroup_size: 128
    .name:           _ZN7rocprim17ROCPRIM_400000_NS6detail17trampoline_kernelINS0_14default_configENS1_38merge_sort_block_merge_config_selectorIlNS0_10empty_typeEEEZZNS1_27merge_sort_block_merge_implIS3_PlPS5_jNS1_19radix_merge_compareILb1ELb0ElNS0_19identity_decomposerEEEEE10hipError_tT0_T1_T2_jT3_P12ihipStream_tbPNSt15iterator_traitsISE_E10value_typeEPNSK_ISF_E10value_typeEPSG_NS1_7vsmem_tEENKUlT_SE_SF_SG_E_clIS8_S8_S9_S9_EESD_ST_SE_SF_SG_EUlST_E_NS1_11comp_targetILNS1_3genE9ELNS1_11target_archE1100ELNS1_3gpuE3ELNS1_3repE0EEENS1_48merge_mergepath_partition_config_static_selectorELNS0_4arch9wavefront6targetE0EEEvSF_
    .private_segment_fixed_size: 0
    .sgpr_count:     0
    .sgpr_spill_count: 0
    .symbol:         _ZN7rocprim17ROCPRIM_400000_NS6detail17trampoline_kernelINS0_14default_configENS1_38merge_sort_block_merge_config_selectorIlNS0_10empty_typeEEEZZNS1_27merge_sort_block_merge_implIS3_PlPS5_jNS1_19radix_merge_compareILb1ELb0ElNS0_19identity_decomposerEEEEE10hipError_tT0_T1_T2_jT3_P12ihipStream_tbPNSt15iterator_traitsISE_E10value_typeEPNSK_ISF_E10value_typeEPSG_NS1_7vsmem_tEENKUlT_SE_SF_SG_E_clIS8_S8_S9_S9_EESD_ST_SE_SF_SG_EUlST_E_NS1_11comp_targetILNS1_3genE9ELNS1_11target_archE1100ELNS1_3gpuE3ELNS1_3repE0EEENS1_48merge_mergepath_partition_config_static_selectorELNS0_4arch9wavefront6targetE0EEEvSF_.kd
    .uniform_work_group_size: 1
    .uses_dynamic_stack: false
    .vgpr_count:     0
    .vgpr_spill_count: 0
    .wavefront_size: 32
  - .args:
      - .offset:         0
        .size:           40
        .value_kind:     by_value
    .group_segment_fixed_size: 0
    .kernarg_segment_align: 8
    .kernarg_segment_size: 40
    .language:       OpenCL C
    .language_version:
      - 2
      - 0
    .max_flat_workgroup_size: 128
    .name:           _ZN7rocprim17ROCPRIM_400000_NS6detail17trampoline_kernelINS0_14default_configENS1_38merge_sort_block_merge_config_selectorIlNS0_10empty_typeEEEZZNS1_27merge_sort_block_merge_implIS3_PlPS5_jNS1_19radix_merge_compareILb1ELb0ElNS0_19identity_decomposerEEEEE10hipError_tT0_T1_T2_jT3_P12ihipStream_tbPNSt15iterator_traitsISE_E10value_typeEPNSK_ISF_E10value_typeEPSG_NS1_7vsmem_tEENKUlT_SE_SF_SG_E_clIS8_S8_S9_S9_EESD_ST_SE_SF_SG_EUlST_E_NS1_11comp_targetILNS1_3genE8ELNS1_11target_archE1030ELNS1_3gpuE2ELNS1_3repE0EEENS1_48merge_mergepath_partition_config_static_selectorELNS0_4arch9wavefront6targetE0EEEvSF_
    .private_segment_fixed_size: 0
    .sgpr_count:     0
    .sgpr_spill_count: 0
    .symbol:         _ZN7rocprim17ROCPRIM_400000_NS6detail17trampoline_kernelINS0_14default_configENS1_38merge_sort_block_merge_config_selectorIlNS0_10empty_typeEEEZZNS1_27merge_sort_block_merge_implIS3_PlPS5_jNS1_19radix_merge_compareILb1ELb0ElNS0_19identity_decomposerEEEEE10hipError_tT0_T1_T2_jT3_P12ihipStream_tbPNSt15iterator_traitsISE_E10value_typeEPNSK_ISF_E10value_typeEPSG_NS1_7vsmem_tEENKUlT_SE_SF_SG_E_clIS8_S8_S9_S9_EESD_ST_SE_SF_SG_EUlST_E_NS1_11comp_targetILNS1_3genE8ELNS1_11target_archE1030ELNS1_3gpuE2ELNS1_3repE0EEENS1_48merge_mergepath_partition_config_static_selectorELNS0_4arch9wavefront6targetE0EEEvSF_.kd
    .uniform_work_group_size: 1
    .uses_dynamic_stack: false
    .vgpr_count:     0
    .vgpr_spill_count: 0
    .wavefront_size: 32
  - .args:
      - .offset:         0
        .size:           64
        .value_kind:     by_value
      - .offset:         64
        .size:           4
        .value_kind:     hidden_block_count_x
      - .offset:         68
        .size:           4
        .value_kind:     hidden_block_count_y
      - .offset:         72
        .size:           4
        .value_kind:     hidden_block_count_z
      - .offset:         76
        .size:           2
        .value_kind:     hidden_group_size_x
      - .offset:         78
        .size:           2
        .value_kind:     hidden_group_size_y
      - .offset:         80
        .size:           2
        .value_kind:     hidden_group_size_z
      - .offset:         82
        .size:           2
        .value_kind:     hidden_remainder_x
      - .offset:         84
        .size:           2
        .value_kind:     hidden_remainder_y
      - .offset:         86
        .size:           2
        .value_kind:     hidden_remainder_z
      - .offset:         104
        .size:           8
        .value_kind:     hidden_global_offset_x
      - .offset:         112
        .size:           8
        .value_kind:     hidden_global_offset_y
      - .offset:         120
        .size:           8
        .value_kind:     hidden_global_offset_z
      - .offset:         128
        .size:           2
        .value_kind:     hidden_grid_dims
    .group_segment_fixed_size: 8448
    .kernarg_segment_align: 8
    .kernarg_segment_size: 320
    .language:       OpenCL C
    .language_version:
      - 2
      - 0
    .max_flat_workgroup_size: 128
    .name:           _ZN7rocprim17ROCPRIM_400000_NS6detail17trampoline_kernelINS0_14default_configENS1_38merge_sort_block_merge_config_selectorIlNS0_10empty_typeEEEZZNS1_27merge_sort_block_merge_implIS3_PlPS5_jNS1_19radix_merge_compareILb1ELb0ElNS0_19identity_decomposerEEEEE10hipError_tT0_T1_T2_jT3_P12ihipStream_tbPNSt15iterator_traitsISE_E10value_typeEPNSK_ISF_E10value_typeEPSG_NS1_7vsmem_tEENKUlT_SE_SF_SG_E_clIS8_S8_S9_S9_EESD_ST_SE_SF_SG_EUlST_E0_NS1_11comp_targetILNS1_3genE0ELNS1_11target_archE4294967295ELNS1_3gpuE0ELNS1_3repE0EEENS1_38merge_mergepath_config_static_selectorELNS0_4arch9wavefront6targetE0EEEvSF_
    .private_segment_fixed_size: 0
    .sgpr_count:     25
    .sgpr_spill_count: 0
    .symbol:         _ZN7rocprim17ROCPRIM_400000_NS6detail17trampoline_kernelINS0_14default_configENS1_38merge_sort_block_merge_config_selectorIlNS0_10empty_typeEEEZZNS1_27merge_sort_block_merge_implIS3_PlPS5_jNS1_19radix_merge_compareILb1ELb0ElNS0_19identity_decomposerEEEEE10hipError_tT0_T1_T2_jT3_P12ihipStream_tbPNSt15iterator_traitsISE_E10value_typeEPNSK_ISF_E10value_typeEPSG_NS1_7vsmem_tEENKUlT_SE_SF_SG_E_clIS8_S8_S9_S9_EESD_ST_SE_SF_SG_EUlST_E0_NS1_11comp_targetILNS1_3genE0ELNS1_11target_archE4294967295ELNS1_3gpuE0ELNS1_3repE0EEENS1_38merge_mergepath_config_static_selectorELNS0_4arch9wavefront6targetE0EEEvSF_.kd
    .uniform_work_group_size: 1
    .uses_dynamic_stack: false
    .vgpr_count:     38
    .vgpr_spill_count: 0
    .wavefront_size: 32
  - .args:
      - .offset:         0
        .size:           64
        .value_kind:     by_value
    .group_segment_fixed_size: 0
    .kernarg_segment_align: 8
    .kernarg_segment_size: 64
    .language:       OpenCL C
    .language_version:
      - 2
      - 0
    .max_flat_workgroup_size: 512
    .name:           _ZN7rocprim17ROCPRIM_400000_NS6detail17trampoline_kernelINS0_14default_configENS1_38merge_sort_block_merge_config_selectorIlNS0_10empty_typeEEEZZNS1_27merge_sort_block_merge_implIS3_PlPS5_jNS1_19radix_merge_compareILb1ELb0ElNS0_19identity_decomposerEEEEE10hipError_tT0_T1_T2_jT3_P12ihipStream_tbPNSt15iterator_traitsISE_E10value_typeEPNSK_ISF_E10value_typeEPSG_NS1_7vsmem_tEENKUlT_SE_SF_SG_E_clIS8_S8_S9_S9_EESD_ST_SE_SF_SG_EUlST_E0_NS1_11comp_targetILNS1_3genE10ELNS1_11target_archE1201ELNS1_3gpuE5ELNS1_3repE0EEENS1_38merge_mergepath_config_static_selectorELNS0_4arch9wavefront6targetE0EEEvSF_
    .private_segment_fixed_size: 0
    .sgpr_count:     0
    .sgpr_spill_count: 0
    .symbol:         _ZN7rocprim17ROCPRIM_400000_NS6detail17trampoline_kernelINS0_14default_configENS1_38merge_sort_block_merge_config_selectorIlNS0_10empty_typeEEEZZNS1_27merge_sort_block_merge_implIS3_PlPS5_jNS1_19radix_merge_compareILb1ELb0ElNS0_19identity_decomposerEEEEE10hipError_tT0_T1_T2_jT3_P12ihipStream_tbPNSt15iterator_traitsISE_E10value_typeEPNSK_ISF_E10value_typeEPSG_NS1_7vsmem_tEENKUlT_SE_SF_SG_E_clIS8_S8_S9_S9_EESD_ST_SE_SF_SG_EUlST_E0_NS1_11comp_targetILNS1_3genE10ELNS1_11target_archE1201ELNS1_3gpuE5ELNS1_3repE0EEENS1_38merge_mergepath_config_static_selectorELNS0_4arch9wavefront6targetE0EEEvSF_.kd
    .uniform_work_group_size: 1
    .uses_dynamic_stack: false
    .vgpr_count:     0
    .vgpr_spill_count: 0
    .wavefront_size: 32
  - .args:
      - .offset:         0
        .size:           64
        .value_kind:     by_value
    .group_segment_fixed_size: 0
    .kernarg_segment_align: 8
    .kernarg_segment_size: 64
    .language:       OpenCL C
    .language_version:
      - 2
      - 0
    .max_flat_workgroup_size: 128
    .name:           _ZN7rocprim17ROCPRIM_400000_NS6detail17trampoline_kernelINS0_14default_configENS1_38merge_sort_block_merge_config_selectorIlNS0_10empty_typeEEEZZNS1_27merge_sort_block_merge_implIS3_PlPS5_jNS1_19radix_merge_compareILb1ELb0ElNS0_19identity_decomposerEEEEE10hipError_tT0_T1_T2_jT3_P12ihipStream_tbPNSt15iterator_traitsISE_E10value_typeEPNSK_ISF_E10value_typeEPSG_NS1_7vsmem_tEENKUlT_SE_SF_SG_E_clIS8_S8_S9_S9_EESD_ST_SE_SF_SG_EUlST_E0_NS1_11comp_targetILNS1_3genE5ELNS1_11target_archE942ELNS1_3gpuE9ELNS1_3repE0EEENS1_38merge_mergepath_config_static_selectorELNS0_4arch9wavefront6targetE0EEEvSF_
    .private_segment_fixed_size: 0
    .sgpr_count:     0
    .sgpr_spill_count: 0
    .symbol:         _ZN7rocprim17ROCPRIM_400000_NS6detail17trampoline_kernelINS0_14default_configENS1_38merge_sort_block_merge_config_selectorIlNS0_10empty_typeEEEZZNS1_27merge_sort_block_merge_implIS3_PlPS5_jNS1_19radix_merge_compareILb1ELb0ElNS0_19identity_decomposerEEEEE10hipError_tT0_T1_T2_jT3_P12ihipStream_tbPNSt15iterator_traitsISE_E10value_typeEPNSK_ISF_E10value_typeEPSG_NS1_7vsmem_tEENKUlT_SE_SF_SG_E_clIS8_S8_S9_S9_EESD_ST_SE_SF_SG_EUlST_E0_NS1_11comp_targetILNS1_3genE5ELNS1_11target_archE942ELNS1_3gpuE9ELNS1_3repE0EEENS1_38merge_mergepath_config_static_selectorELNS0_4arch9wavefront6targetE0EEEvSF_.kd
    .uniform_work_group_size: 1
    .uses_dynamic_stack: false
    .vgpr_count:     0
    .vgpr_spill_count: 0
    .wavefront_size: 32
  - .args:
      - .offset:         0
        .size:           64
        .value_kind:     by_value
    .group_segment_fixed_size: 0
    .kernarg_segment_align: 8
    .kernarg_segment_size: 64
    .language:       OpenCL C
    .language_version:
      - 2
      - 0
    .max_flat_workgroup_size: 256
    .name:           _ZN7rocprim17ROCPRIM_400000_NS6detail17trampoline_kernelINS0_14default_configENS1_38merge_sort_block_merge_config_selectorIlNS0_10empty_typeEEEZZNS1_27merge_sort_block_merge_implIS3_PlPS5_jNS1_19radix_merge_compareILb1ELb0ElNS0_19identity_decomposerEEEEE10hipError_tT0_T1_T2_jT3_P12ihipStream_tbPNSt15iterator_traitsISE_E10value_typeEPNSK_ISF_E10value_typeEPSG_NS1_7vsmem_tEENKUlT_SE_SF_SG_E_clIS8_S8_S9_S9_EESD_ST_SE_SF_SG_EUlST_E0_NS1_11comp_targetILNS1_3genE4ELNS1_11target_archE910ELNS1_3gpuE8ELNS1_3repE0EEENS1_38merge_mergepath_config_static_selectorELNS0_4arch9wavefront6targetE0EEEvSF_
    .private_segment_fixed_size: 0
    .sgpr_count:     0
    .sgpr_spill_count: 0
    .symbol:         _ZN7rocprim17ROCPRIM_400000_NS6detail17trampoline_kernelINS0_14default_configENS1_38merge_sort_block_merge_config_selectorIlNS0_10empty_typeEEEZZNS1_27merge_sort_block_merge_implIS3_PlPS5_jNS1_19radix_merge_compareILb1ELb0ElNS0_19identity_decomposerEEEEE10hipError_tT0_T1_T2_jT3_P12ihipStream_tbPNSt15iterator_traitsISE_E10value_typeEPNSK_ISF_E10value_typeEPSG_NS1_7vsmem_tEENKUlT_SE_SF_SG_E_clIS8_S8_S9_S9_EESD_ST_SE_SF_SG_EUlST_E0_NS1_11comp_targetILNS1_3genE4ELNS1_11target_archE910ELNS1_3gpuE8ELNS1_3repE0EEENS1_38merge_mergepath_config_static_selectorELNS0_4arch9wavefront6targetE0EEEvSF_.kd
    .uniform_work_group_size: 1
    .uses_dynamic_stack: false
    .vgpr_count:     0
    .vgpr_spill_count: 0
    .wavefront_size: 32
  - .args:
      - .offset:         0
        .size:           64
        .value_kind:     by_value
    .group_segment_fixed_size: 0
    .kernarg_segment_align: 8
    .kernarg_segment_size: 64
    .language:       OpenCL C
    .language_version:
      - 2
      - 0
    .max_flat_workgroup_size: 128
    .name:           _ZN7rocprim17ROCPRIM_400000_NS6detail17trampoline_kernelINS0_14default_configENS1_38merge_sort_block_merge_config_selectorIlNS0_10empty_typeEEEZZNS1_27merge_sort_block_merge_implIS3_PlPS5_jNS1_19radix_merge_compareILb1ELb0ElNS0_19identity_decomposerEEEEE10hipError_tT0_T1_T2_jT3_P12ihipStream_tbPNSt15iterator_traitsISE_E10value_typeEPNSK_ISF_E10value_typeEPSG_NS1_7vsmem_tEENKUlT_SE_SF_SG_E_clIS8_S8_S9_S9_EESD_ST_SE_SF_SG_EUlST_E0_NS1_11comp_targetILNS1_3genE3ELNS1_11target_archE908ELNS1_3gpuE7ELNS1_3repE0EEENS1_38merge_mergepath_config_static_selectorELNS0_4arch9wavefront6targetE0EEEvSF_
    .private_segment_fixed_size: 0
    .sgpr_count:     0
    .sgpr_spill_count: 0
    .symbol:         _ZN7rocprim17ROCPRIM_400000_NS6detail17trampoline_kernelINS0_14default_configENS1_38merge_sort_block_merge_config_selectorIlNS0_10empty_typeEEEZZNS1_27merge_sort_block_merge_implIS3_PlPS5_jNS1_19radix_merge_compareILb1ELb0ElNS0_19identity_decomposerEEEEE10hipError_tT0_T1_T2_jT3_P12ihipStream_tbPNSt15iterator_traitsISE_E10value_typeEPNSK_ISF_E10value_typeEPSG_NS1_7vsmem_tEENKUlT_SE_SF_SG_E_clIS8_S8_S9_S9_EESD_ST_SE_SF_SG_EUlST_E0_NS1_11comp_targetILNS1_3genE3ELNS1_11target_archE908ELNS1_3gpuE7ELNS1_3repE0EEENS1_38merge_mergepath_config_static_selectorELNS0_4arch9wavefront6targetE0EEEvSF_.kd
    .uniform_work_group_size: 1
    .uses_dynamic_stack: false
    .vgpr_count:     0
    .vgpr_spill_count: 0
    .wavefront_size: 32
  - .args:
      - .offset:         0
        .size:           64
        .value_kind:     by_value
    .group_segment_fixed_size: 0
    .kernarg_segment_align: 8
    .kernarg_segment_size: 64
    .language:       OpenCL C
    .language_version:
      - 2
      - 0
    .max_flat_workgroup_size: 256
    .name:           _ZN7rocprim17ROCPRIM_400000_NS6detail17trampoline_kernelINS0_14default_configENS1_38merge_sort_block_merge_config_selectorIlNS0_10empty_typeEEEZZNS1_27merge_sort_block_merge_implIS3_PlPS5_jNS1_19radix_merge_compareILb1ELb0ElNS0_19identity_decomposerEEEEE10hipError_tT0_T1_T2_jT3_P12ihipStream_tbPNSt15iterator_traitsISE_E10value_typeEPNSK_ISF_E10value_typeEPSG_NS1_7vsmem_tEENKUlT_SE_SF_SG_E_clIS8_S8_S9_S9_EESD_ST_SE_SF_SG_EUlST_E0_NS1_11comp_targetILNS1_3genE2ELNS1_11target_archE906ELNS1_3gpuE6ELNS1_3repE0EEENS1_38merge_mergepath_config_static_selectorELNS0_4arch9wavefront6targetE0EEEvSF_
    .private_segment_fixed_size: 0
    .sgpr_count:     0
    .sgpr_spill_count: 0
    .symbol:         _ZN7rocprim17ROCPRIM_400000_NS6detail17trampoline_kernelINS0_14default_configENS1_38merge_sort_block_merge_config_selectorIlNS0_10empty_typeEEEZZNS1_27merge_sort_block_merge_implIS3_PlPS5_jNS1_19radix_merge_compareILb1ELb0ElNS0_19identity_decomposerEEEEE10hipError_tT0_T1_T2_jT3_P12ihipStream_tbPNSt15iterator_traitsISE_E10value_typeEPNSK_ISF_E10value_typeEPSG_NS1_7vsmem_tEENKUlT_SE_SF_SG_E_clIS8_S8_S9_S9_EESD_ST_SE_SF_SG_EUlST_E0_NS1_11comp_targetILNS1_3genE2ELNS1_11target_archE906ELNS1_3gpuE6ELNS1_3repE0EEENS1_38merge_mergepath_config_static_selectorELNS0_4arch9wavefront6targetE0EEEvSF_.kd
    .uniform_work_group_size: 1
    .uses_dynamic_stack: false
    .vgpr_count:     0
    .vgpr_spill_count: 0
    .wavefront_size: 32
  - .args:
      - .offset:         0
        .size:           64
        .value_kind:     by_value
    .group_segment_fixed_size: 0
    .kernarg_segment_align: 8
    .kernarg_segment_size: 64
    .language:       OpenCL C
    .language_version:
      - 2
      - 0
    .max_flat_workgroup_size: 512
    .name:           _ZN7rocprim17ROCPRIM_400000_NS6detail17trampoline_kernelINS0_14default_configENS1_38merge_sort_block_merge_config_selectorIlNS0_10empty_typeEEEZZNS1_27merge_sort_block_merge_implIS3_PlPS5_jNS1_19radix_merge_compareILb1ELb0ElNS0_19identity_decomposerEEEEE10hipError_tT0_T1_T2_jT3_P12ihipStream_tbPNSt15iterator_traitsISE_E10value_typeEPNSK_ISF_E10value_typeEPSG_NS1_7vsmem_tEENKUlT_SE_SF_SG_E_clIS8_S8_S9_S9_EESD_ST_SE_SF_SG_EUlST_E0_NS1_11comp_targetILNS1_3genE9ELNS1_11target_archE1100ELNS1_3gpuE3ELNS1_3repE0EEENS1_38merge_mergepath_config_static_selectorELNS0_4arch9wavefront6targetE0EEEvSF_
    .private_segment_fixed_size: 0
    .sgpr_count:     0
    .sgpr_spill_count: 0
    .symbol:         _ZN7rocprim17ROCPRIM_400000_NS6detail17trampoline_kernelINS0_14default_configENS1_38merge_sort_block_merge_config_selectorIlNS0_10empty_typeEEEZZNS1_27merge_sort_block_merge_implIS3_PlPS5_jNS1_19radix_merge_compareILb1ELb0ElNS0_19identity_decomposerEEEEE10hipError_tT0_T1_T2_jT3_P12ihipStream_tbPNSt15iterator_traitsISE_E10value_typeEPNSK_ISF_E10value_typeEPSG_NS1_7vsmem_tEENKUlT_SE_SF_SG_E_clIS8_S8_S9_S9_EESD_ST_SE_SF_SG_EUlST_E0_NS1_11comp_targetILNS1_3genE9ELNS1_11target_archE1100ELNS1_3gpuE3ELNS1_3repE0EEENS1_38merge_mergepath_config_static_selectorELNS0_4arch9wavefront6targetE0EEEvSF_.kd
    .uniform_work_group_size: 1
    .uses_dynamic_stack: false
    .vgpr_count:     0
    .vgpr_spill_count: 0
    .wavefront_size: 32
  - .args:
      - .offset:         0
        .size:           64
        .value_kind:     by_value
    .group_segment_fixed_size: 0
    .kernarg_segment_align: 8
    .kernarg_segment_size: 64
    .language:       OpenCL C
    .language_version:
      - 2
      - 0
    .max_flat_workgroup_size: 1024
    .name:           _ZN7rocprim17ROCPRIM_400000_NS6detail17trampoline_kernelINS0_14default_configENS1_38merge_sort_block_merge_config_selectorIlNS0_10empty_typeEEEZZNS1_27merge_sort_block_merge_implIS3_PlPS5_jNS1_19radix_merge_compareILb1ELb0ElNS0_19identity_decomposerEEEEE10hipError_tT0_T1_T2_jT3_P12ihipStream_tbPNSt15iterator_traitsISE_E10value_typeEPNSK_ISF_E10value_typeEPSG_NS1_7vsmem_tEENKUlT_SE_SF_SG_E_clIS8_S8_S9_S9_EESD_ST_SE_SF_SG_EUlST_E0_NS1_11comp_targetILNS1_3genE8ELNS1_11target_archE1030ELNS1_3gpuE2ELNS1_3repE0EEENS1_38merge_mergepath_config_static_selectorELNS0_4arch9wavefront6targetE0EEEvSF_
    .private_segment_fixed_size: 0
    .sgpr_count:     0
    .sgpr_spill_count: 0
    .symbol:         _ZN7rocprim17ROCPRIM_400000_NS6detail17trampoline_kernelINS0_14default_configENS1_38merge_sort_block_merge_config_selectorIlNS0_10empty_typeEEEZZNS1_27merge_sort_block_merge_implIS3_PlPS5_jNS1_19radix_merge_compareILb1ELb0ElNS0_19identity_decomposerEEEEE10hipError_tT0_T1_T2_jT3_P12ihipStream_tbPNSt15iterator_traitsISE_E10value_typeEPNSK_ISF_E10value_typeEPSG_NS1_7vsmem_tEENKUlT_SE_SF_SG_E_clIS8_S8_S9_S9_EESD_ST_SE_SF_SG_EUlST_E0_NS1_11comp_targetILNS1_3genE8ELNS1_11target_archE1030ELNS1_3gpuE2ELNS1_3repE0EEENS1_38merge_mergepath_config_static_selectorELNS0_4arch9wavefront6targetE0EEEvSF_.kd
    .uniform_work_group_size: 1
    .uses_dynamic_stack: false
    .vgpr_count:     0
    .vgpr_spill_count: 0
    .wavefront_size: 32
  - .args:
      - .offset:         0
        .size:           48
        .value_kind:     by_value
    .group_segment_fixed_size: 0
    .kernarg_segment_align: 8
    .kernarg_segment_size: 48
    .language:       OpenCL C
    .language_version:
      - 2
      - 0
    .max_flat_workgroup_size: 256
    .name:           _ZN7rocprim17ROCPRIM_400000_NS6detail17trampoline_kernelINS0_14default_configENS1_38merge_sort_block_merge_config_selectorIlNS0_10empty_typeEEEZZNS1_27merge_sort_block_merge_implIS3_PlPS5_jNS1_19radix_merge_compareILb1ELb0ElNS0_19identity_decomposerEEEEE10hipError_tT0_T1_T2_jT3_P12ihipStream_tbPNSt15iterator_traitsISE_E10value_typeEPNSK_ISF_E10value_typeEPSG_NS1_7vsmem_tEENKUlT_SE_SF_SG_E_clIS8_S8_S9_S9_EESD_ST_SE_SF_SG_EUlST_E1_NS1_11comp_targetILNS1_3genE0ELNS1_11target_archE4294967295ELNS1_3gpuE0ELNS1_3repE0EEENS1_36merge_oddeven_config_static_selectorELNS0_4arch9wavefront6targetE0EEEvSF_
    .private_segment_fixed_size: 0
    .sgpr_count:     18
    .sgpr_spill_count: 0
    .symbol:         _ZN7rocprim17ROCPRIM_400000_NS6detail17trampoline_kernelINS0_14default_configENS1_38merge_sort_block_merge_config_selectorIlNS0_10empty_typeEEEZZNS1_27merge_sort_block_merge_implIS3_PlPS5_jNS1_19radix_merge_compareILb1ELb0ElNS0_19identity_decomposerEEEEE10hipError_tT0_T1_T2_jT3_P12ihipStream_tbPNSt15iterator_traitsISE_E10value_typeEPNSK_ISF_E10value_typeEPSG_NS1_7vsmem_tEENKUlT_SE_SF_SG_E_clIS8_S8_S9_S9_EESD_ST_SE_SF_SG_EUlST_E1_NS1_11comp_targetILNS1_3genE0ELNS1_11target_archE4294967295ELNS1_3gpuE0ELNS1_3repE0EEENS1_36merge_oddeven_config_static_selectorELNS0_4arch9wavefront6targetE0EEEvSF_.kd
    .uniform_work_group_size: 1
    .uses_dynamic_stack: false
    .vgpr_count:     9
    .vgpr_spill_count: 0
    .wavefront_size: 32
  - .args:
      - .offset:         0
        .size:           48
        .value_kind:     by_value
    .group_segment_fixed_size: 0
    .kernarg_segment_align: 8
    .kernarg_segment_size: 48
    .language:       OpenCL C
    .language_version:
      - 2
      - 0
    .max_flat_workgroup_size: 256
    .name:           _ZN7rocprim17ROCPRIM_400000_NS6detail17trampoline_kernelINS0_14default_configENS1_38merge_sort_block_merge_config_selectorIlNS0_10empty_typeEEEZZNS1_27merge_sort_block_merge_implIS3_PlPS5_jNS1_19radix_merge_compareILb1ELb0ElNS0_19identity_decomposerEEEEE10hipError_tT0_T1_T2_jT3_P12ihipStream_tbPNSt15iterator_traitsISE_E10value_typeEPNSK_ISF_E10value_typeEPSG_NS1_7vsmem_tEENKUlT_SE_SF_SG_E_clIS8_S8_S9_S9_EESD_ST_SE_SF_SG_EUlST_E1_NS1_11comp_targetILNS1_3genE10ELNS1_11target_archE1201ELNS1_3gpuE5ELNS1_3repE0EEENS1_36merge_oddeven_config_static_selectorELNS0_4arch9wavefront6targetE0EEEvSF_
    .private_segment_fixed_size: 0
    .sgpr_count:     0
    .sgpr_spill_count: 0
    .symbol:         _ZN7rocprim17ROCPRIM_400000_NS6detail17trampoline_kernelINS0_14default_configENS1_38merge_sort_block_merge_config_selectorIlNS0_10empty_typeEEEZZNS1_27merge_sort_block_merge_implIS3_PlPS5_jNS1_19radix_merge_compareILb1ELb0ElNS0_19identity_decomposerEEEEE10hipError_tT0_T1_T2_jT3_P12ihipStream_tbPNSt15iterator_traitsISE_E10value_typeEPNSK_ISF_E10value_typeEPSG_NS1_7vsmem_tEENKUlT_SE_SF_SG_E_clIS8_S8_S9_S9_EESD_ST_SE_SF_SG_EUlST_E1_NS1_11comp_targetILNS1_3genE10ELNS1_11target_archE1201ELNS1_3gpuE5ELNS1_3repE0EEENS1_36merge_oddeven_config_static_selectorELNS0_4arch9wavefront6targetE0EEEvSF_.kd
    .uniform_work_group_size: 1
    .uses_dynamic_stack: false
    .vgpr_count:     0
    .vgpr_spill_count: 0
    .wavefront_size: 32
  - .args:
      - .offset:         0
        .size:           48
        .value_kind:     by_value
    .group_segment_fixed_size: 0
    .kernarg_segment_align: 8
    .kernarg_segment_size: 48
    .language:       OpenCL C
    .language_version:
      - 2
      - 0
    .max_flat_workgroup_size: 256
    .name:           _ZN7rocprim17ROCPRIM_400000_NS6detail17trampoline_kernelINS0_14default_configENS1_38merge_sort_block_merge_config_selectorIlNS0_10empty_typeEEEZZNS1_27merge_sort_block_merge_implIS3_PlPS5_jNS1_19radix_merge_compareILb1ELb0ElNS0_19identity_decomposerEEEEE10hipError_tT0_T1_T2_jT3_P12ihipStream_tbPNSt15iterator_traitsISE_E10value_typeEPNSK_ISF_E10value_typeEPSG_NS1_7vsmem_tEENKUlT_SE_SF_SG_E_clIS8_S8_S9_S9_EESD_ST_SE_SF_SG_EUlST_E1_NS1_11comp_targetILNS1_3genE5ELNS1_11target_archE942ELNS1_3gpuE9ELNS1_3repE0EEENS1_36merge_oddeven_config_static_selectorELNS0_4arch9wavefront6targetE0EEEvSF_
    .private_segment_fixed_size: 0
    .sgpr_count:     0
    .sgpr_spill_count: 0
    .symbol:         _ZN7rocprim17ROCPRIM_400000_NS6detail17trampoline_kernelINS0_14default_configENS1_38merge_sort_block_merge_config_selectorIlNS0_10empty_typeEEEZZNS1_27merge_sort_block_merge_implIS3_PlPS5_jNS1_19radix_merge_compareILb1ELb0ElNS0_19identity_decomposerEEEEE10hipError_tT0_T1_T2_jT3_P12ihipStream_tbPNSt15iterator_traitsISE_E10value_typeEPNSK_ISF_E10value_typeEPSG_NS1_7vsmem_tEENKUlT_SE_SF_SG_E_clIS8_S8_S9_S9_EESD_ST_SE_SF_SG_EUlST_E1_NS1_11comp_targetILNS1_3genE5ELNS1_11target_archE942ELNS1_3gpuE9ELNS1_3repE0EEENS1_36merge_oddeven_config_static_selectorELNS0_4arch9wavefront6targetE0EEEvSF_.kd
    .uniform_work_group_size: 1
    .uses_dynamic_stack: false
    .vgpr_count:     0
    .vgpr_spill_count: 0
    .wavefront_size: 32
  - .args:
      - .offset:         0
        .size:           48
        .value_kind:     by_value
    .group_segment_fixed_size: 0
    .kernarg_segment_align: 8
    .kernarg_segment_size: 48
    .language:       OpenCL C
    .language_version:
      - 2
      - 0
    .max_flat_workgroup_size: 256
    .name:           _ZN7rocprim17ROCPRIM_400000_NS6detail17trampoline_kernelINS0_14default_configENS1_38merge_sort_block_merge_config_selectorIlNS0_10empty_typeEEEZZNS1_27merge_sort_block_merge_implIS3_PlPS5_jNS1_19radix_merge_compareILb1ELb0ElNS0_19identity_decomposerEEEEE10hipError_tT0_T1_T2_jT3_P12ihipStream_tbPNSt15iterator_traitsISE_E10value_typeEPNSK_ISF_E10value_typeEPSG_NS1_7vsmem_tEENKUlT_SE_SF_SG_E_clIS8_S8_S9_S9_EESD_ST_SE_SF_SG_EUlST_E1_NS1_11comp_targetILNS1_3genE4ELNS1_11target_archE910ELNS1_3gpuE8ELNS1_3repE0EEENS1_36merge_oddeven_config_static_selectorELNS0_4arch9wavefront6targetE0EEEvSF_
    .private_segment_fixed_size: 0
    .sgpr_count:     0
    .sgpr_spill_count: 0
    .symbol:         _ZN7rocprim17ROCPRIM_400000_NS6detail17trampoline_kernelINS0_14default_configENS1_38merge_sort_block_merge_config_selectorIlNS0_10empty_typeEEEZZNS1_27merge_sort_block_merge_implIS3_PlPS5_jNS1_19radix_merge_compareILb1ELb0ElNS0_19identity_decomposerEEEEE10hipError_tT0_T1_T2_jT3_P12ihipStream_tbPNSt15iterator_traitsISE_E10value_typeEPNSK_ISF_E10value_typeEPSG_NS1_7vsmem_tEENKUlT_SE_SF_SG_E_clIS8_S8_S9_S9_EESD_ST_SE_SF_SG_EUlST_E1_NS1_11comp_targetILNS1_3genE4ELNS1_11target_archE910ELNS1_3gpuE8ELNS1_3repE0EEENS1_36merge_oddeven_config_static_selectorELNS0_4arch9wavefront6targetE0EEEvSF_.kd
    .uniform_work_group_size: 1
    .uses_dynamic_stack: false
    .vgpr_count:     0
    .vgpr_spill_count: 0
    .wavefront_size: 32
  - .args:
      - .offset:         0
        .size:           48
        .value_kind:     by_value
    .group_segment_fixed_size: 0
    .kernarg_segment_align: 8
    .kernarg_segment_size: 48
    .language:       OpenCL C
    .language_version:
      - 2
      - 0
    .max_flat_workgroup_size: 256
    .name:           _ZN7rocprim17ROCPRIM_400000_NS6detail17trampoline_kernelINS0_14default_configENS1_38merge_sort_block_merge_config_selectorIlNS0_10empty_typeEEEZZNS1_27merge_sort_block_merge_implIS3_PlPS5_jNS1_19radix_merge_compareILb1ELb0ElNS0_19identity_decomposerEEEEE10hipError_tT0_T1_T2_jT3_P12ihipStream_tbPNSt15iterator_traitsISE_E10value_typeEPNSK_ISF_E10value_typeEPSG_NS1_7vsmem_tEENKUlT_SE_SF_SG_E_clIS8_S8_S9_S9_EESD_ST_SE_SF_SG_EUlST_E1_NS1_11comp_targetILNS1_3genE3ELNS1_11target_archE908ELNS1_3gpuE7ELNS1_3repE0EEENS1_36merge_oddeven_config_static_selectorELNS0_4arch9wavefront6targetE0EEEvSF_
    .private_segment_fixed_size: 0
    .sgpr_count:     0
    .sgpr_spill_count: 0
    .symbol:         _ZN7rocprim17ROCPRIM_400000_NS6detail17trampoline_kernelINS0_14default_configENS1_38merge_sort_block_merge_config_selectorIlNS0_10empty_typeEEEZZNS1_27merge_sort_block_merge_implIS3_PlPS5_jNS1_19radix_merge_compareILb1ELb0ElNS0_19identity_decomposerEEEEE10hipError_tT0_T1_T2_jT3_P12ihipStream_tbPNSt15iterator_traitsISE_E10value_typeEPNSK_ISF_E10value_typeEPSG_NS1_7vsmem_tEENKUlT_SE_SF_SG_E_clIS8_S8_S9_S9_EESD_ST_SE_SF_SG_EUlST_E1_NS1_11comp_targetILNS1_3genE3ELNS1_11target_archE908ELNS1_3gpuE7ELNS1_3repE0EEENS1_36merge_oddeven_config_static_selectorELNS0_4arch9wavefront6targetE0EEEvSF_.kd
    .uniform_work_group_size: 1
    .uses_dynamic_stack: false
    .vgpr_count:     0
    .vgpr_spill_count: 0
    .wavefront_size: 32
  - .args:
      - .offset:         0
        .size:           48
        .value_kind:     by_value
    .group_segment_fixed_size: 0
    .kernarg_segment_align: 8
    .kernarg_segment_size: 48
    .language:       OpenCL C
    .language_version:
      - 2
      - 0
    .max_flat_workgroup_size: 256
    .name:           _ZN7rocprim17ROCPRIM_400000_NS6detail17trampoline_kernelINS0_14default_configENS1_38merge_sort_block_merge_config_selectorIlNS0_10empty_typeEEEZZNS1_27merge_sort_block_merge_implIS3_PlPS5_jNS1_19radix_merge_compareILb1ELb0ElNS0_19identity_decomposerEEEEE10hipError_tT0_T1_T2_jT3_P12ihipStream_tbPNSt15iterator_traitsISE_E10value_typeEPNSK_ISF_E10value_typeEPSG_NS1_7vsmem_tEENKUlT_SE_SF_SG_E_clIS8_S8_S9_S9_EESD_ST_SE_SF_SG_EUlST_E1_NS1_11comp_targetILNS1_3genE2ELNS1_11target_archE906ELNS1_3gpuE6ELNS1_3repE0EEENS1_36merge_oddeven_config_static_selectorELNS0_4arch9wavefront6targetE0EEEvSF_
    .private_segment_fixed_size: 0
    .sgpr_count:     0
    .sgpr_spill_count: 0
    .symbol:         _ZN7rocprim17ROCPRIM_400000_NS6detail17trampoline_kernelINS0_14default_configENS1_38merge_sort_block_merge_config_selectorIlNS0_10empty_typeEEEZZNS1_27merge_sort_block_merge_implIS3_PlPS5_jNS1_19radix_merge_compareILb1ELb0ElNS0_19identity_decomposerEEEEE10hipError_tT0_T1_T2_jT3_P12ihipStream_tbPNSt15iterator_traitsISE_E10value_typeEPNSK_ISF_E10value_typeEPSG_NS1_7vsmem_tEENKUlT_SE_SF_SG_E_clIS8_S8_S9_S9_EESD_ST_SE_SF_SG_EUlST_E1_NS1_11comp_targetILNS1_3genE2ELNS1_11target_archE906ELNS1_3gpuE6ELNS1_3repE0EEENS1_36merge_oddeven_config_static_selectorELNS0_4arch9wavefront6targetE0EEEvSF_.kd
    .uniform_work_group_size: 1
    .uses_dynamic_stack: false
    .vgpr_count:     0
    .vgpr_spill_count: 0
    .wavefront_size: 32
  - .args:
      - .offset:         0
        .size:           48
        .value_kind:     by_value
    .group_segment_fixed_size: 0
    .kernarg_segment_align: 8
    .kernarg_segment_size: 48
    .language:       OpenCL C
    .language_version:
      - 2
      - 0
    .max_flat_workgroup_size: 256
    .name:           _ZN7rocprim17ROCPRIM_400000_NS6detail17trampoline_kernelINS0_14default_configENS1_38merge_sort_block_merge_config_selectorIlNS0_10empty_typeEEEZZNS1_27merge_sort_block_merge_implIS3_PlPS5_jNS1_19radix_merge_compareILb1ELb0ElNS0_19identity_decomposerEEEEE10hipError_tT0_T1_T2_jT3_P12ihipStream_tbPNSt15iterator_traitsISE_E10value_typeEPNSK_ISF_E10value_typeEPSG_NS1_7vsmem_tEENKUlT_SE_SF_SG_E_clIS8_S8_S9_S9_EESD_ST_SE_SF_SG_EUlST_E1_NS1_11comp_targetILNS1_3genE9ELNS1_11target_archE1100ELNS1_3gpuE3ELNS1_3repE0EEENS1_36merge_oddeven_config_static_selectorELNS0_4arch9wavefront6targetE0EEEvSF_
    .private_segment_fixed_size: 0
    .sgpr_count:     0
    .sgpr_spill_count: 0
    .symbol:         _ZN7rocprim17ROCPRIM_400000_NS6detail17trampoline_kernelINS0_14default_configENS1_38merge_sort_block_merge_config_selectorIlNS0_10empty_typeEEEZZNS1_27merge_sort_block_merge_implIS3_PlPS5_jNS1_19radix_merge_compareILb1ELb0ElNS0_19identity_decomposerEEEEE10hipError_tT0_T1_T2_jT3_P12ihipStream_tbPNSt15iterator_traitsISE_E10value_typeEPNSK_ISF_E10value_typeEPSG_NS1_7vsmem_tEENKUlT_SE_SF_SG_E_clIS8_S8_S9_S9_EESD_ST_SE_SF_SG_EUlST_E1_NS1_11comp_targetILNS1_3genE9ELNS1_11target_archE1100ELNS1_3gpuE3ELNS1_3repE0EEENS1_36merge_oddeven_config_static_selectorELNS0_4arch9wavefront6targetE0EEEvSF_.kd
    .uniform_work_group_size: 1
    .uses_dynamic_stack: false
    .vgpr_count:     0
    .vgpr_spill_count: 0
    .wavefront_size: 32
  - .args:
      - .offset:         0
        .size:           48
        .value_kind:     by_value
    .group_segment_fixed_size: 0
    .kernarg_segment_align: 8
    .kernarg_segment_size: 48
    .language:       OpenCL C
    .language_version:
      - 2
      - 0
    .max_flat_workgroup_size: 256
    .name:           _ZN7rocprim17ROCPRIM_400000_NS6detail17trampoline_kernelINS0_14default_configENS1_38merge_sort_block_merge_config_selectorIlNS0_10empty_typeEEEZZNS1_27merge_sort_block_merge_implIS3_PlPS5_jNS1_19radix_merge_compareILb1ELb0ElNS0_19identity_decomposerEEEEE10hipError_tT0_T1_T2_jT3_P12ihipStream_tbPNSt15iterator_traitsISE_E10value_typeEPNSK_ISF_E10value_typeEPSG_NS1_7vsmem_tEENKUlT_SE_SF_SG_E_clIS8_S8_S9_S9_EESD_ST_SE_SF_SG_EUlST_E1_NS1_11comp_targetILNS1_3genE8ELNS1_11target_archE1030ELNS1_3gpuE2ELNS1_3repE0EEENS1_36merge_oddeven_config_static_selectorELNS0_4arch9wavefront6targetE0EEEvSF_
    .private_segment_fixed_size: 0
    .sgpr_count:     0
    .sgpr_spill_count: 0
    .symbol:         _ZN7rocprim17ROCPRIM_400000_NS6detail17trampoline_kernelINS0_14default_configENS1_38merge_sort_block_merge_config_selectorIlNS0_10empty_typeEEEZZNS1_27merge_sort_block_merge_implIS3_PlPS5_jNS1_19radix_merge_compareILb1ELb0ElNS0_19identity_decomposerEEEEE10hipError_tT0_T1_T2_jT3_P12ihipStream_tbPNSt15iterator_traitsISE_E10value_typeEPNSK_ISF_E10value_typeEPSG_NS1_7vsmem_tEENKUlT_SE_SF_SG_E_clIS8_S8_S9_S9_EESD_ST_SE_SF_SG_EUlST_E1_NS1_11comp_targetILNS1_3genE8ELNS1_11target_archE1030ELNS1_3gpuE2ELNS1_3repE0EEENS1_36merge_oddeven_config_static_selectorELNS0_4arch9wavefront6targetE0EEEvSF_.kd
    .uniform_work_group_size: 1
    .uses_dynamic_stack: false
    .vgpr_count:     0
    .vgpr_spill_count: 0
    .wavefront_size: 32
  - .args:
      - .offset:         0
        .size:           40
        .value_kind:     by_value
      - .offset:         40
        .size:           4
        .value_kind:     hidden_block_count_x
      - .offset:         44
        .size:           4
        .value_kind:     hidden_block_count_y
      - .offset:         48
        .size:           4
        .value_kind:     hidden_block_count_z
      - .offset:         52
        .size:           2
        .value_kind:     hidden_group_size_x
      - .offset:         54
        .size:           2
        .value_kind:     hidden_group_size_y
      - .offset:         56
        .size:           2
        .value_kind:     hidden_group_size_z
      - .offset:         58
        .size:           2
        .value_kind:     hidden_remainder_x
      - .offset:         60
        .size:           2
        .value_kind:     hidden_remainder_y
      - .offset:         62
        .size:           2
        .value_kind:     hidden_remainder_z
      - .offset:         80
        .size:           8
        .value_kind:     hidden_global_offset_x
      - .offset:         88
        .size:           8
        .value_kind:     hidden_global_offset_y
      - .offset:         96
        .size:           8
        .value_kind:     hidden_global_offset_z
      - .offset:         104
        .size:           2
        .value_kind:     hidden_grid_dims
    .group_segment_fixed_size: 0
    .kernarg_segment_align: 8
    .kernarg_segment_size: 296
    .language:       OpenCL C
    .language_version:
      - 2
      - 0
    .max_flat_workgroup_size: 128
    .name:           _ZN7rocprim17ROCPRIM_400000_NS6detail17trampoline_kernelINS0_14default_configENS1_25transform_config_selectorIlLb1EEEZNS1_14transform_implILb1ES3_S5_PlS7_NS0_8identityIlEEEE10hipError_tT2_T3_mT4_P12ihipStream_tbEUlT_E_NS1_11comp_targetILNS1_3genE0ELNS1_11target_archE4294967295ELNS1_3gpuE0ELNS1_3repE0EEENS1_30default_config_static_selectorELNS0_4arch9wavefront6targetE0EEEvT1_
    .private_segment_fixed_size: 0
    .sgpr_count:     12
    .sgpr_spill_count: 0
    .symbol:         _ZN7rocprim17ROCPRIM_400000_NS6detail17trampoline_kernelINS0_14default_configENS1_25transform_config_selectorIlLb1EEEZNS1_14transform_implILb1ES3_S5_PlS7_NS0_8identityIlEEEE10hipError_tT2_T3_mT4_P12ihipStream_tbEUlT_E_NS1_11comp_targetILNS1_3genE0ELNS1_11target_archE4294967295ELNS1_3gpuE0ELNS1_3repE0EEENS1_30default_config_static_selectorELNS0_4arch9wavefront6targetE0EEEvT1_.kd
    .uniform_work_group_size: 1
    .uses_dynamic_stack: false
    .vgpr_count:     4
    .vgpr_spill_count: 0
    .wavefront_size: 32
  - .args:
      - .offset:         0
        .size:           40
        .value_kind:     by_value
    .group_segment_fixed_size: 0
    .kernarg_segment_align: 8
    .kernarg_segment_size: 40
    .language:       OpenCL C
    .language_version:
      - 2
      - 0
    .max_flat_workgroup_size: 1024
    .name:           _ZN7rocprim17ROCPRIM_400000_NS6detail17trampoline_kernelINS0_14default_configENS1_25transform_config_selectorIlLb1EEEZNS1_14transform_implILb1ES3_S5_PlS7_NS0_8identityIlEEEE10hipError_tT2_T3_mT4_P12ihipStream_tbEUlT_E_NS1_11comp_targetILNS1_3genE10ELNS1_11target_archE1201ELNS1_3gpuE5ELNS1_3repE0EEENS1_30default_config_static_selectorELNS0_4arch9wavefront6targetE0EEEvT1_
    .private_segment_fixed_size: 0
    .sgpr_count:     0
    .sgpr_spill_count: 0
    .symbol:         _ZN7rocprim17ROCPRIM_400000_NS6detail17trampoline_kernelINS0_14default_configENS1_25transform_config_selectorIlLb1EEEZNS1_14transform_implILb1ES3_S5_PlS7_NS0_8identityIlEEEE10hipError_tT2_T3_mT4_P12ihipStream_tbEUlT_E_NS1_11comp_targetILNS1_3genE10ELNS1_11target_archE1201ELNS1_3gpuE5ELNS1_3repE0EEENS1_30default_config_static_selectorELNS0_4arch9wavefront6targetE0EEEvT1_.kd
    .uniform_work_group_size: 1
    .uses_dynamic_stack: false
    .vgpr_count:     0
    .vgpr_spill_count: 0
    .wavefront_size: 32
  - .args:
      - .offset:         0
        .size:           40
        .value_kind:     by_value
    .group_segment_fixed_size: 0
    .kernarg_segment_align: 8
    .kernarg_segment_size: 40
    .language:       OpenCL C
    .language_version:
      - 2
      - 0
    .max_flat_workgroup_size: 512
    .name:           _ZN7rocprim17ROCPRIM_400000_NS6detail17trampoline_kernelINS0_14default_configENS1_25transform_config_selectorIlLb1EEEZNS1_14transform_implILb1ES3_S5_PlS7_NS0_8identityIlEEEE10hipError_tT2_T3_mT4_P12ihipStream_tbEUlT_E_NS1_11comp_targetILNS1_3genE5ELNS1_11target_archE942ELNS1_3gpuE9ELNS1_3repE0EEENS1_30default_config_static_selectorELNS0_4arch9wavefront6targetE0EEEvT1_
    .private_segment_fixed_size: 0
    .sgpr_count:     0
    .sgpr_spill_count: 0
    .symbol:         _ZN7rocprim17ROCPRIM_400000_NS6detail17trampoline_kernelINS0_14default_configENS1_25transform_config_selectorIlLb1EEEZNS1_14transform_implILb1ES3_S5_PlS7_NS0_8identityIlEEEE10hipError_tT2_T3_mT4_P12ihipStream_tbEUlT_E_NS1_11comp_targetILNS1_3genE5ELNS1_11target_archE942ELNS1_3gpuE9ELNS1_3repE0EEENS1_30default_config_static_selectorELNS0_4arch9wavefront6targetE0EEEvT1_.kd
    .uniform_work_group_size: 1
    .uses_dynamic_stack: false
    .vgpr_count:     0
    .vgpr_spill_count: 0
    .wavefront_size: 32
  - .args:
      - .offset:         0
        .size:           40
        .value_kind:     by_value
    .group_segment_fixed_size: 0
    .kernarg_segment_align: 8
    .kernarg_segment_size: 40
    .language:       OpenCL C
    .language_version:
      - 2
      - 0
    .max_flat_workgroup_size: 1024
    .name:           _ZN7rocprim17ROCPRIM_400000_NS6detail17trampoline_kernelINS0_14default_configENS1_25transform_config_selectorIlLb1EEEZNS1_14transform_implILb1ES3_S5_PlS7_NS0_8identityIlEEEE10hipError_tT2_T3_mT4_P12ihipStream_tbEUlT_E_NS1_11comp_targetILNS1_3genE4ELNS1_11target_archE910ELNS1_3gpuE8ELNS1_3repE0EEENS1_30default_config_static_selectorELNS0_4arch9wavefront6targetE0EEEvT1_
    .private_segment_fixed_size: 0
    .sgpr_count:     0
    .sgpr_spill_count: 0
    .symbol:         _ZN7rocprim17ROCPRIM_400000_NS6detail17trampoline_kernelINS0_14default_configENS1_25transform_config_selectorIlLb1EEEZNS1_14transform_implILb1ES3_S5_PlS7_NS0_8identityIlEEEE10hipError_tT2_T3_mT4_P12ihipStream_tbEUlT_E_NS1_11comp_targetILNS1_3genE4ELNS1_11target_archE910ELNS1_3gpuE8ELNS1_3repE0EEENS1_30default_config_static_selectorELNS0_4arch9wavefront6targetE0EEEvT1_.kd
    .uniform_work_group_size: 1
    .uses_dynamic_stack: false
    .vgpr_count:     0
    .vgpr_spill_count: 0
    .wavefront_size: 32
  - .args:
      - .offset:         0
        .size:           40
        .value_kind:     by_value
    .group_segment_fixed_size: 0
    .kernarg_segment_align: 8
    .kernarg_segment_size: 40
    .language:       OpenCL C
    .language_version:
      - 2
      - 0
    .max_flat_workgroup_size: 128
    .name:           _ZN7rocprim17ROCPRIM_400000_NS6detail17trampoline_kernelINS0_14default_configENS1_25transform_config_selectorIlLb1EEEZNS1_14transform_implILb1ES3_S5_PlS7_NS0_8identityIlEEEE10hipError_tT2_T3_mT4_P12ihipStream_tbEUlT_E_NS1_11comp_targetILNS1_3genE3ELNS1_11target_archE908ELNS1_3gpuE7ELNS1_3repE0EEENS1_30default_config_static_selectorELNS0_4arch9wavefront6targetE0EEEvT1_
    .private_segment_fixed_size: 0
    .sgpr_count:     0
    .sgpr_spill_count: 0
    .symbol:         _ZN7rocprim17ROCPRIM_400000_NS6detail17trampoline_kernelINS0_14default_configENS1_25transform_config_selectorIlLb1EEEZNS1_14transform_implILb1ES3_S5_PlS7_NS0_8identityIlEEEE10hipError_tT2_T3_mT4_P12ihipStream_tbEUlT_E_NS1_11comp_targetILNS1_3genE3ELNS1_11target_archE908ELNS1_3gpuE7ELNS1_3repE0EEENS1_30default_config_static_selectorELNS0_4arch9wavefront6targetE0EEEvT1_.kd
    .uniform_work_group_size: 1
    .uses_dynamic_stack: false
    .vgpr_count:     0
    .vgpr_spill_count: 0
    .wavefront_size: 32
  - .args:
      - .offset:         0
        .size:           40
        .value_kind:     by_value
    .group_segment_fixed_size: 0
    .kernarg_segment_align: 8
    .kernarg_segment_size: 40
    .language:       OpenCL C
    .language_version:
      - 2
      - 0
    .max_flat_workgroup_size: 512
    .name:           _ZN7rocprim17ROCPRIM_400000_NS6detail17trampoline_kernelINS0_14default_configENS1_25transform_config_selectorIlLb1EEEZNS1_14transform_implILb1ES3_S5_PlS7_NS0_8identityIlEEEE10hipError_tT2_T3_mT4_P12ihipStream_tbEUlT_E_NS1_11comp_targetILNS1_3genE2ELNS1_11target_archE906ELNS1_3gpuE6ELNS1_3repE0EEENS1_30default_config_static_selectorELNS0_4arch9wavefront6targetE0EEEvT1_
    .private_segment_fixed_size: 0
    .sgpr_count:     0
    .sgpr_spill_count: 0
    .symbol:         _ZN7rocprim17ROCPRIM_400000_NS6detail17trampoline_kernelINS0_14default_configENS1_25transform_config_selectorIlLb1EEEZNS1_14transform_implILb1ES3_S5_PlS7_NS0_8identityIlEEEE10hipError_tT2_T3_mT4_P12ihipStream_tbEUlT_E_NS1_11comp_targetILNS1_3genE2ELNS1_11target_archE906ELNS1_3gpuE6ELNS1_3repE0EEENS1_30default_config_static_selectorELNS0_4arch9wavefront6targetE0EEEvT1_.kd
    .uniform_work_group_size: 1
    .uses_dynamic_stack: false
    .vgpr_count:     0
    .vgpr_spill_count: 0
    .wavefront_size: 32
  - .args:
      - .offset:         0
        .size:           40
        .value_kind:     by_value
    .group_segment_fixed_size: 0
    .kernarg_segment_align: 8
    .kernarg_segment_size: 40
    .language:       OpenCL C
    .language_version:
      - 2
      - 0
    .max_flat_workgroup_size: 1024
    .name:           _ZN7rocprim17ROCPRIM_400000_NS6detail17trampoline_kernelINS0_14default_configENS1_25transform_config_selectorIlLb1EEEZNS1_14transform_implILb1ES3_S5_PlS7_NS0_8identityIlEEEE10hipError_tT2_T3_mT4_P12ihipStream_tbEUlT_E_NS1_11comp_targetILNS1_3genE9ELNS1_11target_archE1100ELNS1_3gpuE3ELNS1_3repE0EEENS1_30default_config_static_selectorELNS0_4arch9wavefront6targetE0EEEvT1_
    .private_segment_fixed_size: 0
    .sgpr_count:     0
    .sgpr_spill_count: 0
    .symbol:         _ZN7rocprim17ROCPRIM_400000_NS6detail17trampoline_kernelINS0_14default_configENS1_25transform_config_selectorIlLb1EEEZNS1_14transform_implILb1ES3_S5_PlS7_NS0_8identityIlEEEE10hipError_tT2_T3_mT4_P12ihipStream_tbEUlT_E_NS1_11comp_targetILNS1_3genE9ELNS1_11target_archE1100ELNS1_3gpuE3ELNS1_3repE0EEENS1_30default_config_static_selectorELNS0_4arch9wavefront6targetE0EEEvT1_.kd
    .uniform_work_group_size: 1
    .uses_dynamic_stack: false
    .vgpr_count:     0
    .vgpr_spill_count: 0
    .wavefront_size: 32
  - .args:
      - .offset:         0
        .size:           40
        .value_kind:     by_value
    .group_segment_fixed_size: 0
    .kernarg_segment_align: 8
    .kernarg_segment_size: 40
    .language:       OpenCL C
    .language_version:
      - 2
      - 0
    .max_flat_workgroup_size: 1024
    .name:           _ZN7rocprim17ROCPRIM_400000_NS6detail17trampoline_kernelINS0_14default_configENS1_25transform_config_selectorIlLb1EEEZNS1_14transform_implILb1ES3_S5_PlS7_NS0_8identityIlEEEE10hipError_tT2_T3_mT4_P12ihipStream_tbEUlT_E_NS1_11comp_targetILNS1_3genE8ELNS1_11target_archE1030ELNS1_3gpuE2ELNS1_3repE0EEENS1_30default_config_static_selectorELNS0_4arch9wavefront6targetE0EEEvT1_
    .private_segment_fixed_size: 0
    .sgpr_count:     0
    .sgpr_spill_count: 0
    .symbol:         _ZN7rocprim17ROCPRIM_400000_NS6detail17trampoline_kernelINS0_14default_configENS1_25transform_config_selectorIlLb1EEEZNS1_14transform_implILb1ES3_S5_PlS7_NS0_8identityIlEEEE10hipError_tT2_T3_mT4_P12ihipStream_tbEUlT_E_NS1_11comp_targetILNS1_3genE8ELNS1_11target_archE1030ELNS1_3gpuE2ELNS1_3repE0EEENS1_30default_config_static_selectorELNS0_4arch9wavefront6targetE0EEEvT1_.kd
    .uniform_work_group_size: 1
    .uses_dynamic_stack: false
    .vgpr_count:     0
    .vgpr_spill_count: 0
    .wavefront_size: 32
  - .args:
      - .offset:         0
        .size:           40
        .value_kind:     by_value
    .group_segment_fixed_size: 0
    .kernarg_segment_align: 8
    .kernarg_segment_size: 40
    .language:       OpenCL C
    .language_version:
      - 2
      - 0
    .max_flat_workgroup_size: 128
    .name:           _ZN7rocprim17ROCPRIM_400000_NS6detail17trampoline_kernelINS0_14default_configENS1_38merge_sort_block_merge_config_selectorIlNS0_10empty_typeEEEZZNS1_27merge_sort_block_merge_implIS3_PlPS5_jNS1_19radix_merge_compareILb1ELb1ElNS0_19identity_decomposerEEEEE10hipError_tT0_T1_T2_jT3_P12ihipStream_tbPNSt15iterator_traitsISE_E10value_typeEPNSK_ISF_E10value_typeEPSG_NS1_7vsmem_tEENKUlT_SE_SF_SG_E_clIS8_S8_S9_S9_EESD_ST_SE_SF_SG_EUlST_E_NS1_11comp_targetILNS1_3genE0ELNS1_11target_archE4294967295ELNS1_3gpuE0ELNS1_3repE0EEENS1_48merge_mergepath_partition_config_static_selectorELNS0_4arch9wavefront6targetE0EEEvSF_
    .private_segment_fixed_size: 0
    .sgpr_count:     10
    .sgpr_spill_count: 0
    .symbol:         _ZN7rocprim17ROCPRIM_400000_NS6detail17trampoline_kernelINS0_14default_configENS1_38merge_sort_block_merge_config_selectorIlNS0_10empty_typeEEEZZNS1_27merge_sort_block_merge_implIS3_PlPS5_jNS1_19radix_merge_compareILb1ELb1ElNS0_19identity_decomposerEEEEE10hipError_tT0_T1_T2_jT3_P12ihipStream_tbPNSt15iterator_traitsISE_E10value_typeEPNSK_ISF_E10value_typeEPSG_NS1_7vsmem_tEENKUlT_SE_SF_SG_E_clIS8_S8_S9_S9_EESD_ST_SE_SF_SG_EUlST_E_NS1_11comp_targetILNS1_3genE0ELNS1_11target_archE4294967295ELNS1_3gpuE0ELNS1_3repE0EEENS1_48merge_mergepath_partition_config_static_selectorELNS0_4arch9wavefront6targetE0EEEvSF_.kd
    .uniform_work_group_size: 1
    .uses_dynamic_stack: false
    .vgpr_count:     20
    .vgpr_spill_count: 0
    .wavefront_size: 32
  - .args:
      - .offset:         0
        .size:           40
        .value_kind:     by_value
    .group_segment_fixed_size: 0
    .kernarg_segment_align: 8
    .kernarg_segment_size: 40
    .language:       OpenCL C
    .language_version:
      - 2
      - 0
    .max_flat_workgroup_size: 128
    .name:           _ZN7rocprim17ROCPRIM_400000_NS6detail17trampoline_kernelINS0_14default_configENS1_38merge_sort_block_merge_config_selectorIlNS0_10empty_typeEEEZZNS1_27merge_sort_block_merge_implIS3_PlPS5_jNS1_19radix_merge_compareILb1ELb1ElNS0_19identity_decomposerEEEEE10hipError_tT0_T1_T2_jT3_P12ihipStream_tbPNSt15iterator_traitsISE_E10value_typeEPNSK_ISF_E10value_typeEPSG_NS1_7vsmem_tEENKUlT_SE_SF_SG_E_clIS8_S8_S9_S9_EESD_ST_SE_SF_SG_EUlST_E_NS1_11comp_targetILNS1_3genE10ELNS1_11target_archE1201ELNS1_3gpuE5ELNS1_3repE0EEENS1_48merge_mergepath_partition_config_static_selectorELNS0_4arch9wavefront6targetE0EEEvSF_
    .private_segment_fixed_size: 0
    .sgpr_count:     0
    .sgpr_spill_count: 0
    .symbol:         _ZN7rocprim17ROCPRIM_400000_NS6detail17trampoline_kernelINS0_14default_configENS1_38merge_sort_block_merge_config_selectorIlNS0_10empty_typeEEEZZNS1_27merge_sort_block_merge_implIS3_PlPS5_jNS1_19radix_merge_compareILb1ELb1ElNS0_19identity_decomposerEEEEE10hipError_tT0_T1_T2_jT3_P12ihipStream_tbPNSt15iterator_traitsISE_E10value_typeEPNSK_ISF_E10value_typeEPSG_NS1_7vsmem_tEENKUlT_SE_SF_SG_E_clIS8_S8_S9_S9_EESD_ST_SE_SF_SG_EUlST_E_NS1_11comp_targetILNS1_3genE10ELNS1_11target_archE1201ELNS1_3gpuE5ELNS1_3repE0EEENS1_48merge_mergepath_partition_config_static_selectorELNS0_4arch9wavefront6targetE0EEEvSF_.kd
    .uniform_work_group_size: 1
    .uses_dynamic_stack: false
    .vgpr_count:     0
    .vgpr_spill_count: 0
    .wavefront_size: 32
  - .args:
      - .offset:         0
        .size:           40
        .value_kind:     by_value
    .group_segment_fixed_size: 0
    .kernarg_segment_align: 8
    .kernarg_segment_size: 40
    .language:       OpenCL C
    .language_version:
      - 2
      - 0
    .max_flat_workgroup_size: 128
    .name:           _ZN7rocprim17ROCPRIM_400000_NS6detail17trampoline_kernelINS0_14default_configENS1_38merge_sort_block_merge_config_selectorIlNS0_10empty_typeEEEZZNS1_27merge_sort_block_merge_implIS3_PlPS5_jNS1_19radix_merge_compareILb1ELb1ElNS0_19identity_decomposerEEEEE10hipError_tT0_T1_T2_jT3_P12ihipStream_tbPNSt15iterator_traitsISE_E10value_typeEPNSK_ISF_E10value_typeEPSG_NS1_7vsmem_tEENKUlT_SE_SF_SG_E_clIS8_S8_S9_S9_EESD_ST_SE_SF_SG_EUlST_E_NS1_11comp_targetILNS1_3genE5ELNS1_11target_archE942ELNS1_3gpuE9ELNS1_3repE0EEENS1_48merge_mergepath_partition_config_static_selectorELNS0_4arch9wavefront6targetE0EEEvSF_
    .private_segment_fixed_size: 0
    .sgpr_count:     0
    .sgpr_spill_count: 0
    .symbol:         _ZN7rocprim17ROCPRIM_400000_NS6detail17trampoline_kernelINS0_14default_configENS1_38merge_sort_block_merge_config_selectorIlNS0_10empty_typeEEEZZNS1_27merge_sort_block_merge_implIS3_PlPS5_jNS1_19radix_merge_compareILb1ELb1ElNS0_19identity_decomposerEEEEE10hipError_tT0_T1_T2_jT3_P12ihipStream_tbPNSt15iterator_traitsISE_E10value_typeEPNSK_ISF_E10value_typeEPSG_NS1_7vsmem_tEENKUlT_SE_SF_SG_E_clIS8_S8_S9_S9_EESD_ST_SE_SF_SG_EUlST_E_NS1_11comp_targetILNS1_3genE5ELNS1_11target_archE942ELNS1_3gpuE9ELNS1_3repE0EEENS1_48merge_mergepath_partition_config_static_selectorELNS0_4arch9wavefront6targetE0EEEvSF_.kd
    .uniform_work_group_size: 1
    .uses_dynamic_stack: false
    .vgpr_count:     0
    .vgpr_spill_count: 0
    .wavefront_size: 32
  - .args:
      - .offset:         0
        .size:           40
        .value_kind:     by_value
    .group_segment_fixed_size: 0
    .kernarg_segment_align: 8
    .kernarg_segment_size: 40
    .language:       OpenCL C
    .language_version:
      - 2
      - 0
    .max_flat_workgroup_size: 128
    .name:           _ZN7rocprim17ROCPRIM_400000_NS6detail17trampoline_kernelINS0_14default_configENS1_38merge_sort_block_merge_config_selectorIlNS0_10empty_typeEEEZZNS1_27merge_sort_block_merge_implIS3_PlPS5_jNS1_19radix_merge_compareILb1ELb1ElNS0_19identity_decomposerEEEEE10hipError_tT0_T1_T2_jT3_P12ihipStream_tbPNSt15iterator_traitsISE_E10value_typeEPNSK_ISF_E10value_typeEPSG_NS1_7vsmem_tEENKUlT_SE_SF_SG_E_clIS8_S8_S9_S9_EESD_ST_SE_SF_SG_EUlST_E_NS1_11comp_targetILNS1_3genE4ELNS1_11target_archE910ELNS1_3gpuE8ELNS1_3repE0EEENS1_48merge_mergepath_partition_config_static_selectorELNS0_4arch9wavefront6targetE0EEEvSF_
    .private_segment_fixed_size: 0
    .sgpr_count:     0
    .sgpr_spill_count: 0
    .symbol:         _ZN7rocprim17ROCPRIM_400000_NS6detail17trampoline_kernelINS0_14default_configENS1_38merge_sort_block_merge_config_selectorIlNS0_10empty_typeEEEZZNS1_27merge_sort_block_merge_implIS3_PlPS5_jNS1_19radix_merge_compareILb1ELb1ElNS0_19identity_decomposerEEEEE10hipError_tT0_T1_T2_jT3_P12ihipStream_tbPNSt15iterator_traitsISE_E10value_typeEPNSK_ISF_E10value_typeEPSG_NS1_7vsmem_tEENKUlT_SE_SF_SG_E_clIS8_S8_S9_S9_EESD_ST_SE_SF_SG_EUlST_E_NS1_11comp_targetILNS1_3genE4ELNS1_11target_archE910ELNS1_3gpuE8ELNS1_3repE0EEENS1_48merge_mergepath_partition_config_static_selectorELNS0_4arch9wavefront6targetE0EEEvSF_.kd
    .uniform_work_group_size: 1
    .uses_dynamic_stack: false
    .vgpr_count:     0
    .vgpr_spill_count: 0
    .wavefront_size: 32
  - .args:
      - .offset:         0
        .size:           40
        .value_kind:     by_value
    .group_segment_fixed_size: 0
    .kernarg_segment_align: 8
    .kernarg_segment_size: 40
    .language:       OpenCL C
    .language_version:
      - 2
      - 0
    .max_flat_workgroup_size: 128
    .name:           _ZN7rocprim17ROCPRIM_400000_NS6detail17trampoline_kernelINS0_14default_configENS1_38merge_sort_block_merge_config_selectorIlNS0_10empty_typeEEEZZNS1_27merge_sort_block_merge_implIS3_PlPS5_jNS1_19radix_merge_compareILb1ELb1ElNS0_19identity_decomposerEEEEE10hipError_tT0_T1_T2_jT3_P12ihipStream_tbPNSt15iterator_traitsISE_E10value_typeEPNSK_ISF_E10value_typeEPSG_NS1_7vsmem_tEENKUlT_SE_SF_SG_E_clIS8_S8_S9_S9_EESD_ST_SE_SF_SG_EUlST_E_NS1_11comp_targetILNS1_3genE3ELNS1_11target_archE908ELNS1_3gpuE7ELNS1_3repE0EEENS1_48merge_mergepath_partition_config_static_selectorELNS0_4arch9wavefront6targetE0EEEvSF_
    .private_segment_fixed_size: 0
    .sgpr_count:     0
    .sgpr_spill_count: 0
    .symbol:         _ZN7rocprim17ROCPRIM_400000_NS6detail17trampoline_kernelINS0_14default_configENS1_38merge_sort_block_merge_config_selectorIlNS0_10empty_typeEEEZZNS1_27merge_sort_block_merge_implIS3_PlPS5_jNS1_19radix_merge_compareILb1ELb1ElNS0_19identity_decomposerEEEEE10hipError_tT0_T1_T2_jT3_P12ihipStream_tbPNSt15iterator_traitsISE_E10value_typeEPNSK_ISF_E10value_typeEPSG_NS1_7vsmem_tEENKUlT_SE_SF_SG_E_clIS8_S8_S9_S9_EESD_ST_SE_SF_SG_EUlST_E_NS1_11comp_targetILNS1_3genE3ELNS1_11target_archE908ELNS1_3gpuE7ELNS1_3repE0EEENS1_48merge_mergepath_partition_config_static_selectorELNS0_4arch9wavefront6targetE0EEEvSF_.kd
    .uniform_work_group_size: 1
    .uses_dynamic_stack: false
    .vgpr_count:     0
    .vgpr_spill_count: 0
    .wavefront_size: 32
  - .args:
      - .offset:         0
        .size:           40
        .value_kind:     by_value
    .group_segment_fixed_size: 0
    .kernarg_segment_align: 8
    .kernarg_segment_size: 40
    .language:       OpenCL C
    .language_version:
      - 2
      - 0
    .max_flat_workgroup_size: 128
    .name:           _ZN7rocprim17ROCPRIM_400000_NS6detail17trampoline_kernelINS0_14default_configENS1_38merge_sort_block_merge_config_selectorIlNS0_10empty_typeEEEZZNS1_27merge_sort_block_merge_implIS3_PlPS5_jNS1_19radix_merge_compareILb1ELb1ElNS0_19identity_decomposerEEEEE10hipError_tT0_T1_T2_jT3_P12ihipStream_tbPNSt15iterator_traitsISE_E10value_typeEPNSK_ISF_E10value_typeEPSG_NS1_7vsmem_tEENKUlT_SE_SF_SG_E_clIS8_S8_S9_S9_EESD_ST_SE_SF_SG_EUlST_E_NS1_11comp_targetILNS1_3genE2ELNS1_11target_archE906ELNS1_3gpuE6ELNS1_3repE0EEENS1_48merge_mergepath_partition_config_static_selectorELNS0_4arch9wavefront6targetE0EEEvSF_
    .private_segment_fixed_size: 0
    .sgpr_count:     0
    .sgpr_spill_count: 0
    .symbol:         _ZN7rocprim17ROCPRIM_400000_NS6detail17trampoline_kernelINS0_14default_configENS1_38merge_sort_block_merge_config_selectorIlNS0_10empty_typeEEEZZNS1_27merge_sort_block_merge_implIS3_PlPS5_jNS1_19radix_merge_compareILb1ELb1ElNS0_19identity_decomposerEEEEE10hipError_tT0_T1_T2_jT3_P12ihipStream_tbPNSt15iterator_traitsISE_E10value_typeEPNSK_ISF_E10value_typeEPSG_NS1_7vsmem_tEENKUlT_SE_SF_SG_E_clIS8_S8_S9_S9_EESD_ST_SE_SF_SG_EUlST_E_NS1_11comp_targetILNS1_3genE2ELNS1_11target_archE906ELNS1_3gpuE6ELNS1_3repE0EEENS1_48merge_mergepath_partition_config_static_selectorELNS0_4arch9wavefront6targetE0EEEvSF_.kd
    .uniform_work_group_size: 1
    .uses_dynamic_stack: false
    .vgpr_count:     0
    .vgpr_spill_count: 0
    .wavefront_size: 32
  - .args:
      - .offset:         0
        .size:           40
        .value_kind:     by_value
    .group_segment_fixed_size: 0
    .kernarg_segment_align: 8
    .kernarg_segment_size: 40
    .language:       OpenCL C
    .language_version:
      - 2
      - 0
    .max_flat_workgroup_size: 128
    .name:           _ZN7rocprim17ROCPRIM_400000_NS6detail17trampoline_kernelINS0_14default_configENS1_38merge_sort_block_merge_config_selectorIlNS0_10empty_typeEEEZZNS1_27merge_sort_block_merge_implIS3_PlPS5_jNS1_19radix_merge_compareILb1ELb1ElNS0_19identity_decomposerEEEEE10hipError_tT0_T1_T2_jT3_P12ihipStream_tbPNSt15iterator_traitsISE_E10value_typeEPNSK_ISF_E10value_typeEPSG_NS1_7vsmem_tEENKUlT_SE_SF_SG_E_clIS8_S8_S9_S9_EESD_ST_SE_SF_SG_EUlST_E_NS1_11comp_targetILNS1_3genE9ELNS1_11target_archE1100ELNS1_3gpuE3ELNS1_3repE0EEENS1_48merge_mergepath_partition_config_static_selectorELNS0_4arch9wavefront6targetE0EEEvSF_
    .private_segment_fixed_size: 0
    .sgpr_count:     0
    .sgpr_spill_count: 0
    .symbol:         _ZN7rocprim17ROCPRIM_400000_NS6detail17trampoline_kernelINS0_14default_configENS1_38merge_sort_block_merge_config_selectorIlNS0_10empty_typeEEEZZNS1_27merge_sort_block_merge_implIS3_PlPS5_jNS1_19radix_merge_compareILb1ELb1ElNS0_19identity_decomposerEEEEE10hipError_tT0_T1_T2_jT3_P12ihipStream_tbPNSt15iterator_traitsISE_E10value_typeEPNSK_ISF_E10value_typeEPSG_NS1_7vsmem_tEENKUlT_SE_SF_SG_E_clIS8_S8_S9_S9_EESD_ST_SE_SF_SG_EUlST_E_NS1_11comp_targetILNS1_3genE9ELNS1_11target_archE1100ELNS1_3gpuE3ELNS1_3repE0EEENS1_48merge_mergepath_partition_config_static_selectorELNS0_4arch9wavefront6targetE0EEEvSF_.kd
    .uniform_work_group_size: 1
    .uses_dynamic_stack: false
    .vgpr_count:     0
    .vgpr_spill_count: 0
    .wavefront_size: 32
  - .args:
      - .offset:         0
        .size:           40
        .value_kind:     by_value
    .group_segment_fixed_size: 0
    .kernarg_segment_align: 8
    .kernarg_segment_size: 40
    .language:       OpenCL C
    .language_version:
      - 2
      - 0
    .max_flat_workgroup_size: 128
    .name:           _ZN7rocprim17ROCPRIM_400000_NS6detail17trampoline_kernelINS0_14default_configENS1_38merge_sort_block_merge_config_selectorIlNS0_10empty_typeEEEZZNS1_27merge_sort_block_merge_implIS3_PlPS5_jNS1_19radix_merge_compareILb1ELb1ElNS0_19identity_decomposerEEEEE10hipError_tT0_T1_T2_jT3_P12ihipStream_tbPNSt15iterator_traitsISE_E10value_typeEPNSK_ISF_E10value_typeEPSG_NS1_7vsmem_tEENKUlT_SE_SF_SG_E_clIS8_S8_S9_S9_EESD_ST_SE_SF_SG_EUlST_E_NS1_11comp_targetILNS1_3genE8ELNS1_11target_archE1030ELNS1_3gpuE2ELNS1_3repE0EEENS1_48merge_mergepath_partition_config_static_selectorELNS0_4arch9wavefront6targetE0EEEvSF_
    .private_segment_fixed_size: 0
    .sgpr_count:     0
    .sgpr_spill_count: 0
    .symbol:         _ZN7rocprim17ROCPRIM_400000_NS6detail17trampoline_kernelINS0_14default_configENS1_38merge_sort_block_merge_config_selectorIlNS0_10empty_typeEEEZZNS1_27merge_sort_block_merge_implIS3_PlPS5_jNS1_19radix_merge_compareILb1ELb1ElNS0_19identity_decomposerEEEEE10hipError_tT0_T1_T2_jT3_P12ihipStream_tbPNSt15iterator_traitsISE_E10value_typeEPNSK_ISF_E10value_typeEPSG_NS1_7vsmem_tEENKUlT_SE_SF_SG_E_clIS8_S8_S9_S9_EESD_ST_SE_SF_SG_EUlST_E_NS1_11comp_targetILNS1_3genE8ELNS1_11target_archE1030ELNS1_3gpuE2ELNS1_3repE0EEENS1_48merge_mergepath_partition_config_static_selectorELNS0_4arch9wavefront6targetE0EEEvSF_.kd
    .uniform_work_group_size: 1
    .uses_dynamic_stack: false
    .vgpr_count:     0
    .vgpr_spill_count: 0
    .wavefront_size: 32
  - .args:
      - .offset:         0
        .size:           72
        .value_kind:     by_value
      - .offset:         72
        .size:           4
        .value_kind:     hidden_block_count_x
      - .offset:         76
        .size:           4
        .value_kind:     hidden_block_count_y
      - .offset:         80
        .size:           4
        .value_kind:     hidden_block_count_z
      - .offset:         84
        .size:           2
        .value_kind:     hidden_group_size_x
      - .offset:         86
        .size:           2
        .value_kind:     hidden_group_size_y
      - .offset:         88
        .size:           2
        .value_kind:     hidden_group_size_z
      - .offset:         90
        .size:           2
        .value_kind:     hidden_remainder_x
      - .offset:         92
        .size:           2
        .value_kind:     hidden_remainder_y
      - .offset:         94
        .size:           2
        .value_kind:     hidden_remainder_z
      - .offset:         112
        .size:           8
        .value_kind:     hidden_global_offset_x
      - .offset:         120
        .size:           8
        .value_kind:     hidden_global_offset_y
      - .offset:         128
        .size:           8
        .value_kind:     hidden_global_offset_z
      - .offset:         136
        .size:           2
        .value_kind:     hidden_grid_dims
    .group_segment_fixed_size: 8448
    .kernarg_segment_align: 8
    .kernarg_segment_size: 328
    .language:       OpenCL C
    .language_version:
      - 2
      - 0
    .max_flat_workgroup_size: 128
    .name:           _ZN7rocprim17ROCPRIM_400000_NS6detail17trampoline_kernelINS0_14default_configENS1_38merge_sort_block_merge_config_selectorIlNS0_10empty_typeEEEZZNS1_27merge_sort_block_merge_implIS3_PlPS5_jNS1_19radix_merge_compareILb1ELb1ElNS0_19identity_decomposerEEEEE10hipError_tT0_T1_T2_jT3_P12ihipStream_tbPNSt15iterator_traitsISE_E10value_typeEPNSK_ISF_E10value_typeEPSG_NS1_7vsmem_tEENKUlT_SE_SF_SG_E_clIS8_S8_S9_S9_EESD_ST_SE_SF_SG_EUlST_E0_NS1_11comp_targetILNS1_3genE0ELNS1_11target_archE4294967295ELNS1_3gpuE0ELNS1_3repE0EEENS1_38merge_mergepath_config_static_selectorELNS0_4arch9wavefront6targetE0EEEvSF_
    .private_segment_fixed_size: 0
    .sgpr_count:     25
    .sgpr_spill_count: 0
    .symbol:         _ZN7rocprim17ROCPRIM_400000_NS6detail17trampoline_kernelINS0_14default_configENS1_38merge_sort_block_merge_config_selectorIlNS0_10empty_typeEEEZZNS1_27merge_sort_block_merge_implIS3_PlPS5_jNS1_19radix_merge_compareILb1ELb1ElNS0_19identity_decomposerEEEEE10hipError_tT0_T1_T2_jT3_P12ihipStream_tbPNSt15iterator_traitsISE_E10value_typeEPNSK_ISF_E10value_typeEPSG_NS1_7vsmem_tEENKUlT_SE_SF_SG_E_clIS8_S8_S9_S9_EESD_ST_SE_SF_SG_EUlST_E0_NS1_11comp_targetILNS1_3genE0ELNS1_11target_archE4294967295ELNS1_3gpuE0ELNS1_3repE0EEENS1_38merge_mergepath_config_static_selectorELNS0_4arch9wavefront6targetE0EEEvSF_.kd
    .uniform_work_group_size: 1
    .uses_dynamic_stack: false
    .vgpr_count:     38
    .vgpr_spill_count: 0
    .wavefront_size: 32
  - .args:
      - .offset:         0
        .size:           72
        .value_kind:     by_value
    .group_segment_fixed_size: 0
    .kernarg_segment_align: 8
    .kernarg_segment_size: 72
    .language:       OpenCL C
    .language_version:
      - 2
      - 0
    .max_flat_workgroup_size: 512
    .name:           _ZN7rocprim17ROCPRIM_400000_NS6detail17trampoline_kernelINS0_14default_configENS1_38merge_sort_block_merge_config_selectorIlNS0_10empty_typeEEEZZNS1_27merge_sort_block_merge_implIS3_PlPS5_jNS1_19radix_merge_compareILb1ELb1ElNS0_19identity_decomposerEEEEE10hipError_tT0_T1_T2_jT3_P12ihipStream_tbPNSt15iterator_traitsISE_E10value_typeEPNSK_ISF_E10value_typeEPSG_NS1_7vsmem_tEENKUlT_SE_SF_SG_E_clIS8_S8_S9_S9_EESD_ST_SE_SF_SG_EUlST_E0_NS1_11comp_targetILNS1_3genE10ELNS1_11target_archE1201ELNS1_3gpuE5ELNS1_3repE0EEENS1_38merge_mergepath_config_static_selectorELNS0_4arch9wavefront6targetE0EEEvSF_
    .private_segment_fixed_size: 0
    .sgpr_count:     0
    .sgpr_spill_count: 0
    .symbol:         _ZN7rocprim17ROCPRIM_400000_NS6detail17trampoline_kernelINS0_14default_configENS1_38merge_sort_block_merge_config_selectorIlNS0_10empty_typeEEEZZNS1_27merge_sort_block_merge_implIS3_PlPS5_jNS1_19radix_merge_compareILb1ELb1ElNS0_19identity_decomposerEEEEE10hipError_tT0_T1_T2_jT3_P12ihipStream_tbPNSt15iterator_traitsISE_E10value_typeEPNSK_ISF_E10value_typeEPSG_NS1_7vsmem_tEENKUlT_SE_SF_SG_E_clIS8_S8_S9_S9_EESD_ST_SE_SF_SG_EUlST_E0_NS1_11comp_targetILNS1_3genE10ELNS1_11target_archE1201ELNS1_3gpuE5ELNS1_3repE0EEENS1_38merge_mergepath_config_static_selectorELNS0_4arch9wavefront6targetE0EEEvSF_.kd
    .uniform_work_group_size: 1
    .uses_dynamic_stack: false
    .vgpr_count:     0
    .vgpr_spill_count: 0
    .wavefront_size: 32
  - .args:
      - .offset:         0
        .size:           72
        .value_kind:     by_value
    .group_segment_fixed_size: 0
    .kernarg_segment_align: 8
    .kernarg_segment_size: 72
    .language:       OpenCL C
    .language_version:
      - 2
      - 0
    .max_flat_workgroup_size: 128
    .name:           _ZN7rocprim17ROCPRIM_400000_NS6detail17trampoline_kernelINS0_14default_configENS1_38merge_sort_block_merge_config_selectorIlNS0_10empty_typeEEEZZNS1_27merge_sort_block_merge_implIS3_PlPS5_jNS1_19radix_merge_compareILb1ELb1ElNS0_19identity_decomposerEEEEE10hipError_tT0_T1_T2_jT3_P12ihipStream_tbPNSt15iterator_traitsISE_E10value_typeEPNSK_ISF_E10value_typeEPSG_NS1_7vsmem_tEENKUlT_SE_SF_SG_E_clIS8_S8_S9_S9_EESD_ST_SE_SF_SG_EUlST_E0_NS1_11comp_targetILNS1_3genE5ELNS1_11target_archE942ELNS1_3gpuE9ELNS1_3repE0EEENS1_38merge_mergepath_config_static_selectorELNS0_4arch9wavefront6targetE0EEEvSF_
    .private_segment_fixed_size: 0
    .sgpr_count:     0
    .sgpr_spill_count: 0
    .symbol:         _ZN7rocprim17ROCPRIM_400000_NS6detail17trampoline_kernelINS0_14default_configENS1_38merge_sort_block_merge_config_selectorIlNS0_10empty_typeEEEZZNS1_27merge_sort_block_merge_implIS3_PlPS5_jNS1_19radix_merge_compareILb1ELb1ElNS0_19identity_decomposerEEEEE10hipError_tT0_T1_T2_jT3_P12ihipStream_tbPNSt15iterator_traitsISE_E10value_typeEPNSK_ISF_E10value_typeEPSG_NS1_7vsmem_tEENKUlT_SE_SF_SG_E_clIS8_S8_S9_S9_EESD_ST_SE_SF_SG_EUlST_E0_NS1_11comp_targetILNS1_3genE5ELNS1_11target_archE942ELNS1_3gpuE9ELNS1_3repE0EEENS1_38merge_mergepath_config_static_selectorELNS0_4arch9wavefront6targetE0EEEvSF_.kd
    .uniform_work_group_size: 1
    .uses_dynamic_stack: false
    .vgpr_count:     0
    .vgpr_spill_count: 0
    .wavefront_size: 32
  - .args:
      - .offset:         0
        .size:           72
        .value_kind:     by_value
    .group_segment_fixed_size: 0
    .kernarg_segment_align: 8
    .kernarg_segment_size: 72
    .language:       OpenCL C
    .language_version:
      - 2
      - 0
    .max_flat_workgroup_size: 256
    .name:           _ZN7rocprim17ROCPRIM_400000_NS6detail17trampoline_kernelINS0_14default_configENS1_38merge_sort_block_merge_config_selectorIlNS0_10empty_typeEEEZZNS1_27merge_sort_block_merge_implIS3_PlPS5_jNS1_19radix_merge_compareILb1ELb1ElNS0_19identity_decomposerEEEEE10hipError_tT0_T1_T2_jT3_P12ihipStream_tbPNSt15iterator_traitsISE_E10value_typeEPNSK_ISF_E10value_typeEPSG_NS1_7vsmem_tEENKUlT_SE_SF_SG_E_clIS8_S8_S9_S9_EESD_ST_SE_SF_SG_EUlST_E0_NS1_11comp_targetILNS1_3genE4ELNS1_11target_archE910ELNS1_3gpuE8ELNS1_3repE0EEENS1_38merge_mergepath_config_static_selectorELNS0_4arch9wavefront6targetE0EEEvSF_
    .private_segment_fixed_size: 0
    .sgpr_count:     0
    .sgpr_spill_count: 0
    .symbol:         _ZN7rocprim17ROCPRIM_400000_NS6detail17trampoline_kernelINS0_14default_configENS1_38merge_sort_block_merge_config_selectorIlNS0_10empty_typeEEEZZNS1_27merge_sort_block_merge_implIS3_PlPS5_jNS1_19radix_merge_compareILb1ELb1ElNS0_19identity_decomposerEEEEE10hipError_tT0_T1_T2_jT3_P12ihipStream_tbPNSt15iterator_traitsISE_E10value_typeEPNSK_ISF_E10value_typeEPSG_NS1_7vsmem_tEENKUlT_SE_SF_SG_E_clIS8_S8_S9_S9_EESD_ST_SE_SF_SG_EUlST_E0_NS1_11comp_targetILNS1_3genE4ELNS1_11target_archE910ELNS1_3gpuE8ELNS1_3repE0EEENS1_38merge_mergepath_config_static_selectorELNS0_4arch9wavefront6targetE0EEEvSF_.kd
    .uniform_work_group_size: 1
    .uses_dynamic_stack: false
    .vgpr_count:     0
    .vgpr_spill_count: 0
    .wavefront_size: 32
  - .args:
      - .offset:         0
        .size:           72
        .value_kind:     by_value
    .group_segment_fixed_size: 0
    .kernarg_segment_align: 8
    .kernarg_segment_size: 72
    .language:       OpenCL C
    .language_version:
      - 2
      - 0
    .max_flat_workgroup_size: 128
    .name:           _ZN7rocprim17ROCPRIM_400000_NS6detail17trampoline_kernelINS0_14default_configENS1_38merge_sort_block_merge_config_selectorIlNS0_10empty_typeEEEZZNS1_27merge_sort_block_merge_implIS3_PlPS5_jNS1_19radix_merge_compareILb1ELb1ElNS0_19identity_decomposerEEEEE10hipError_tT0_T1_T2_jT3_P12ihipStream_tbPNSt15iterator_traitsISE_E10value_typeEPNSK_ISF_E10value_typeEPSG_NS1_7vsmem_tEENKUlT_SE_SF_SG_E_clIS8_S8_S9_S9_EESD_ST_SE_SF_SG_EUlST_E0_NS1_11comp_targetILNS1_3genE3ELNS1_11target_archE908ELNS1_3gpuE7ELNS1_3repE0EEENS1_38merge_mergepath_config_static_selectorELNS0_4arch9wavefront6targetE0EEEvSF_
    .private_segment_fixed_size: 0
    .sgpr_count:     0
    .sgpr_spill_count: 0
    .symbol:         _ZN7rocprim17ROCPRIM_400000_NS6detail17trampoline_kernelINS0_14default_configENS1_38merge_sort_block_merge_config_selectorIlNS0_10empty_typeEEEZZNS1_27merge_sort_block_merge_implIS3_PlPS5_jNS1_19radix_merge_compareILb1ELb1ElNS0_19identity_decomposerEEEEE10hipError_tT0_T1_T2_jT3_P12ihipStream_tbPNSt15iterator_traitsISE_E10value_typeEPNSK_ISF_E10value_typeEPSG_NS1_7vsmem_tEENKUlT_SE_SF_SG_E_clIS8_S8_S9_S9_EESD_ST_SE_SF_SG_EUlST_E0_NS1_11comp_targetILNS1_3genE3ELNS1_11target_archE908ELNS1_3gpuE7ELNS1_3repE0EEENS1_38merge_mergepath_config_static_selectorELNS0_4arch9wavefront6targetE0EEEvSF_.kd
    .uniform_work_group_size: 1
    .uses_dynamic_stack: false
    .vgpr_count:     0
    .vgpr_spill_count: 0
    .wavefront_size: 32
  - .args:
      - .offset:         0
        .size:           72
        .value_kind:     by_value
    .group_segment_fixed_size: 0
    .kernarg_segment_align: 8
    .kernarg_segment_size: 72
    .language:       OpenCL C
    .language_version:
      - 2
      - 0
    .max_flat_workgroup_size: 256
    .name:           _ZN7rocprim17ROCPRIM_400000_NS6detail17trampoline_kernelINS0_14default_configENS1_38merge_sort_block_merge_config_selectorIlNS0_10empty_typeEEEZZNS1_27merge_sort_block_merge_implIS3_PlPS5_jNS1_19radix_merge_compareILb1ELb1ElNS0_19identity_decomposerEEEEE10hipError_tT0_T1_T2_jT3_P12ihipStream_tbPNSt15iterator_traitsISE_E10value_typeEPNSK_ISF_E10value_typeEPSG_NS1_7vsmem_tEENKUlT_SE_SF_SG_E_clIS8_S8_S9_S9_EESD_ST_SE_SF_SG_EUlST_E0_NS1_11comp_targetILNS1_3genE2ELNS1_11target_archE906ELNS1_3gpuE6ELNS1_3repE0EEENS1_38merge_mergepath_config_static_selectorELNS0_4arch9wavefront6targetE0EEEvSF_
    .private_segment_fixed_size: 0
    .sgpr_count:     0
    .sgpr_spill_count: 0
    .symbol:         _ZN7rocprim17ROCPRIM_400000_NS6detail17trampoline_kernelINS0_14default_configENS1_38merge_sort_block_merge_config_selectorIlNS0_10empty_typeEEEZZNS1_27merge_sort_block_merge_implIS3_PlPS5_jNS1_19radix_merge_compareILb1ELb1ElNS0_19identity_decomposerEEEEE10hipError_tT0_T1_T2_jT3_P12ihipStream_tbPNSt15iterator_traitsISE_E10value_typeEPNSK_ISF_E10value_typeEPSG_NS1_7vsmem_tEENKUlT_SE_SF_SG_E_clIS8_S8_S9_S9_EESD_ST_SE_SF_SG_EUlST_E0_NS1_11comp_targetILNS1_3genE2ELNS1_11target_archE906ELNS1_3gpuE6ELNS1_3repE0EEENS1_38merge_mergepath_config_static_selectorELNS0_4arch9wavefront6targetE0EEEvSF_.kd
    .uniform_work_group_size: 1
    .uses_dynamic_stack: false
    .vgpr_count:     0
    .vgpr_spill_count: 0
    .wavefront_size: 32
  - .args:
      - .offset:         0
        .size:           72
        .value_kind:     by_value
    .group_segment_fixed_size: 0
    .kernarg_segment_align: 8
    .kernarg_segment_size: 72
    .language:       OpenCL C
    .language_version:
      - 2
      - 0
    .max_flat_workgroup_size: 512
    .name:           _ZN7rocprim17ROCPRIM_400000_NS6detail17trampoline_kernelINS0_14default_configENS1_38merge_sort_block_merge_config_selectorIlNS0_10empty_typeEEEZZNS1_27merge_sort_block_merge_implIS3_PlPS5_jNS1_19radix_merge_compareILb1ELb1ElNS0_19identity_decomposerEEEEE10hipError_tT0_T1_T2_jT3_P12ihipStream_tbPNSt15iterator_traitsISE_E10value_typeEPNSK_ISF_E10value_typeEPSG_NS1_7vsmem_tEENKUlT_SE_SF_SG_E_clIS8_S8_S9_S9_EESD_ST_SE_SF_SG_EUlST_E0_NS1_11comp_targetILNS1_3genE9ELNS1_11target_archE1100ELNS1_3gpuE3ELNS1_3repE0EEENS1_38merge_mergepath_config_static_selectorELNS0_4arch9wavefront6targetE0EEEvSF_
    .private_segment_fixed_size: 0
    .sgpr_count:     0
    .sgpr_spill_count: 0
    .symbol:         _ZN7rocprim17ROCPRIM_400000_NS6detail17trampoline_kernelINS0_14default_configENS1_38merge_sort_block_merge_config_selectorIlNS0_10empty_typeEEEZZNS1_27merge_sort_block_merge_implIS3_PlPS5_jNS1_19radix_merge_compareILb1ELb1ElNS0_19identity_decomposerEEEEE10hipError_tT0_T1_T2_jT3_P12ihipStream_tbPNSt15iterator_traitsISE_E10value_typeEPNSK_ISF_E10value_typeEPSG_NS1_7vsmem_tEENKUlT_SE_SF_SG_E_clIS8_S8_S9_S9_EESD_ST_SE_SF_SG_EUlST_E0_NS1_11comp_targetILNS1_3genE9ELNS1_11target_archE1100ELNS1_3gpuE3ELNS1_3repE0EEENS1_38merge_mergepath_config_static_selectorELNS0_4arch9wavefront6targetE0EEEvSF_.kd
    .uniform_work_group_size: 1
    .uses_dynamic_stack: false
    .vgpr_count:     0
    .vgpr_spill_count: 0
    .wavefront_size: 32
  - .args:
      - .offset:         0
        .size:           72
        .value_kind:     by_value
    .group_segment_fixed_size: 0
    .kernarg_segment_align: 8
    .kernarg_segment_size: 72
    .language:       OpenCL C
    .language_version:
      - 2
      - 0
    .max_flat_workgroup_size: 1024
    .name:           _ZN7rocprim17ROCPRIM_400000_NS6detail17trampoline_kernelINS0_14default_configENS1_38merge_sort_block_merge_config_selectorIlNS0_10empty_typeEEEZZNS1_27merge_sort_block_merge_implIS3_PlPS5_jNS1_19radix_merge_compareILb1ELb1ElNS0_19identity_decomposerEEEEE10hipError_tT0_T1_T2_jT3_P12ihipStream_tbPNSt15iterator_traitsISE_E10value_typeEPNSK_ISF_E10value_typeEPSG_NS1_7vsmem_tEENKUlT_SE_SF_SG_E_clIS8_S8_S9_S9_EESD_ST_SE_SF_SG_EUlST_E0_NS1_11comp_targetILNS1_3genE8ELNS1_11target_archE1030ELNS1_3gpuE2ELNS1_3repE0EEENS1_38merge_mergepath_config_static_selectorELNS0_4arch9wavefront6targetE0EEEvSF_
    .private_segment_fixed_size: 0
    .sgpr_count:     0
    .sgpr_spill_count: 0
    .symbol:         _ZN7rocprim17ROCPRIM_400000_NS6detail17trampoline_kernelINS0_14default_configENS1_38merge_sort_block_merge_config_selectorIlNS0_10empty_typeEEEZZNS1_27merge_sort_block_merge_implIS3_PlPS5_jNS1_19radix_merge_compareILb1ELb1ElNS0_19identity_decomposerEEEEE10hipError_tT0_T1_T2_jT3_P12ihipStream_tbPNSt15iterator_traitsISE_E10value_typeEPNSK_ISF_E10value_typeEPSG_NS1_7vsmem_tEENKUlT_SE_SF_SG_E_clIS8_S8_S9_S9_EESD_ST_SE_SF_SG_EUlST_E0_NS1_11comp_targetILNS1_3genE8ELNS1_11target_archE1030ELNS1_3gpuE2ELNS1_3repE0EEENS1_38merge_mergepath_config_static_selectorELNS0_4arch9wavefront6targetE0EEEvSF_.kd
    .uniform_work_group_size: 1
    .uses_dynamic_stack: false
    .vgpr_count:     0
    .vgpr_spill_count: 0
    .wavefront_size: 32
  - .args:
      - .offset:         0
        .size:           48
        .value_kind:     by_value
    .group_segment_fixed_size: 0
    .kernarg_segment_align: 8
    .kernarg_segment_size: 48
    .language:       OpenCL C
    .language_version:
      - 2
      - 0
    .max_flat_workgroup_size: 256
    .name:           _ZN7rocprim17ROCPRIM_400000_NS6detail17trampoline_kernelINS0_14default_configENS1_38merge_sort_block_merge_config_selectorIlNS0_10empty_typeEEEZZNS1_27merge_sort_block_merge_implIS3_PlPS5_jNS1_19radix_merge_compareILb1ELb1ElNS0_19identity_decomposerEEEEE10hipError_tT0_T1_T2_jT3_P12ihipStream_tbPNSt15iterator_traitsISE_E10value_typeEPNSK_ISF_E10value_typeEPSG_NS1_7vsmem_tEENKUlT_SE_SF_SG_E_clIS8_S8_S9_S9_EESD_ST_SE_SF_SG_EUlST_E1_NS1_11comp_targetILNS1_3genE0ELNS1_11target_archE4294967295ELNS1_3gpuE0ELNS1_3repE0EEENS1_36merge_oddeven_config_static_selectorELNS0_4arch9wavefront6targetE0EEEvSF_
    .private_segment_fixed_size: 0
    .sgpr_count:     20
    .sgpr_spill_count: 0
    .symbol:         _ZN7rocprim17ROCPRIM_400000_NS6detail17trampoline_kernelINS0_14default_configENS1_38merge_sort_block_merge_config_selectorIlNS0_10empty_typeEEEZZNS1_27merge_sort_block_merge_implIS3_PlPS5_jNS1_19radix_merge_compareILb1ELb1ElNS0_19identity_decomposerEEEEE10hipError_tT0_T1_T2_jT3_P12ihipStream_tbPNSt15iterator_traitsISE_E10value_typeEPNSK_ISF_E10value_typeEPSG_NS1_7vsmem_tEENKUlT_SE_SF_SG_E_clIS8_S8_S9_S9_EESD_ST_SE_SF_SG_EUlST_E1_NS1_11comp_targetILNS1_3genE0ELNS1_11target_archE4294967295ELNS1_3gpuE0ELNS1_3repE0EEENS1_36merge_oddeven_config_static_selectorELNS0_4arch9wavefront6targetE0EEEvSF_.kd
    .uniform_work_group_size: 1
    .uses_dynamic_stack: false
    .vgpr_count:     11
    .vgpr_spill_count: 0
    .wavefront_size: 32
  - .args:
      - .offset:         0
        .size:           48
        .value_kind:     by_value
    .group_segment_fixed_size: 0
    .kernarg_segment_align: 8
    .kernarg_segment_size: 48
    .language:       OpenCL C
    .language_version:
      - 2
      - 0
    .max_flat_workgroup_size: 256
    .name:           _ZN7rocprim17ROCPRIM_400000_NS6detail17trampoline_kernelINS0_14default_configENS1_38merge_sort_block_merge_config_selectorIlNS0_10empty_typeEEEZZNS1_27merge_sort_block_merge_implIS3_PlPS5_jNS1_19radix_merge_compareILb1ELb1ElNS0_19identity_decomposerEEEEE10hipError_tT0_T1_T2_jT3_P12ihipStream_tbPNSt15iterator_traitsISE_E10value_typeEPNSK_ISF_E10value_typeEPSG_NS1_7vsmem_tEENKUlT_SE_SF_SG_E_clIS8_S8_S9_S9_EESD_ST_SE_SF_SG_EUlST_E1_NS1_11comp_targetILNS1_3genE10ELNS1_11target_archE1201ELNS1_3gpuE5ELNS1_3repE0EEENS1_36merge_oddeven_config_static_selectorELNS0_4arch9wavefront6targetE0EEEvSF_
    .private_segment_fixed_size: 0
    .sgpr_count:     0
    .sgpr_spill_count: 0
    .symbol:         _ZN7rocprim17ROCPRIM_400000_NS6detail17trampoline_kernelINS0_14default_configENS1_38merge_sort_block_merge_config_selectorIlNS0_10empty_typeEEEZZNS1_27merge_sort_block_merge_implIS3_PlPS5_jNS1_19radix_merge_compareILb1ELb1ElNS0_19identity_decomposerEEEEE10hipError_tT0_T1_T2_jT3_P12ihipStream_tbPNSt15iterator_traitsISE_E10value_typeEPNSK_ISF_E10value_typeEPSG_NS1_7vsmem_tEENKUlT_SE_SF_SG_E_clIS8_S8_S9_S9_EESD_ST_SE_SF_SG_EUlST_E1_NS1_11comp_targetILNS1_3genE10ELNS1_11target_archE1201ELNS1_3gpuE5ELNS1_3repE0EEENS1_36merge_oddeven_config_static_selectorELNS0_4arch9wavefront6targetE0EEEvSF_.kd
    .uniform_work_group_size: 1
    .uses_dynamic_stack: false
    .vgpr_count:     0
    .vgpr_spill_count: 0
    .wavefront_size: 32
  - .args:
      - .offset:         0
        .size:           48
        .value_kind:     by_value
    .group_segment_fixed_size: 0
    .kernarg_segment_align: 8
    .kernarg_segment_size: 48
    .language:       OpenCL C
    .language_version:
      - 2
      - 0
    .max_flat_workgroup_size: 256
    .name:           _ZN7rocprim17ROCPRIM_400000_NS6detail17trampoline_kernelINS0_14default_configENS1_38merge_sort_block_merge_config_selectorIlNS0_10empty_typeEEEZZNS1_27merge_sort_block_merge_implIS3_PlPS5_jNS1_19radix_merge_compareILb1ELb1ElNS0_19identity_decomposerEEEEE10hipError_tT0_T1_T2_jT3_P12ihipStream_tbPNSt15iterator_traitsISE_E10value_typeEPNSK_ISF_E10value_typeEPSG_NS1_7vsmem_tEENKUlT_SE_SF_SG_E_clIS8_S8_S9_S9_EESD_ST_SE_SF_SG_EUlST_E1_NS1_11comp_targetILNS1_3genE5ELNS1_11target_archE942ELNS1_3gpuE9ELNS1_3repE0EEENS1_36merge_oddeven_config_static_selectorELNS0_4arch9wavefront6targetE0EEEvSF_
    .private_segment_fixed_size: 0
    .sgpr_count:     0
    .sgpr_spill_count: 0
    .symbol:         _ZN7rocprim17ROCPRIM_400000_NS6detail17trampoline_kernelINS0_14default_configENS1_38merge_sort_block_merge_config_selectorIlNS0_10empty_typeEEEZZNS1_27merge_sort_block_merge_implIS3_PlPS5_jNS1_19radix_merge_compareILb1ELb1ElNS0_19identity_decomposerEEEEE10hipError_tT0_T1_T2_jT3_P12ihipStream_tbPNSt15iterator_traitsISE_E10value_typeEPNSK_ISF_E10value_typeEPSG_NS1_7vsmem_tEENKUlT_SE_SF_SG_E_clIS8_S8_S9_S9_EESD_ST_SE_SF_SG_EUlST_E1_NS1_11comp_targetILNS1_3genE5ELNS1_11target_archE942ELNS1_3gpuE9ELNS1_3repE0EEENS1_36merge_oddeven_config_static_selectorELNS0_4arch9wavefront6targetE0EEEvSF_.kd
    .uniform_work_group_size: 1
    .uses_dynamic_stack: false
    .vgpr_count:     0
    .vgpr_spill_count: 0
    .wavefront_size: 32
  - .args:
      - .offset:         0
        .size:           48
        .value_kind:     by_value
    .group_segment_fixed_size: 0
    .kernarg_segment_align: 8
    .kernarg_segment_size: 48
    .language:       OpenCL C
    .language_version:
      - 2
      - 0
    .max_flat_workgroup_size: 256
    .name:           _ZN7rocprim17ROCPRIM_400000_NS6detail17trampoline_kernelINS0_14default_configENS1_38merge_sort_block_merge_config_selectorIlNS0_10empty_typeEEEZZNS1_27merge_sort_block_merge_implIS3_PlPS5_jNS1_19radix_merge_compareILb1ELb1ElNS0_19identity_decomposerEEEEE10hipError_tT0_T1_T2_jT3_P12ihipStream_tbPNSt15iterator_traitsISE_E10value_typeEPNSK_ISF_E10value_typeEPSG_NS1_7vsmem_tEENKUlT_SE_SF_SG_E_clIS8_S8_S9_S9_EESD_ST_SE_SF_SG_EUlST_E1_NS1_11comp_targetILNS1_3genE4ELNS1_11target_archE910ELNS1_3gpuE8ELNS1_3repE0EEENS1_36merge_oddeven_config_static_selectorELNS0_4arch9wavefront6targetE0EEEvSF_
    .private_segment_fixed_size: 0
    .sgpr_count:     0
    .sgpr_spill_count: 0
    .symbol:         _ZN7rocprim17ROCPRIM_400000_NS6detail17trampoline_kernelINS0_14default_configENS1_38merge_sort_block_merge_config_selectorIlNS0_10empty_typeEEEZZNS1_27merge_sort_block_merge_implIS3_PlPS5_jNS1_19radix_merge_compareILb1ELb1ElNS0_19identity_decomposerEEEEE10hipError_tT0_T1_T2_jT3_P12ihipStream_tbPNSt15iterator_traitsISE_E10value_typeEPNSK_ISF_E10value_typeEPSG_NS1_7vsmem_tEENKUlT_SE_SF_SG_E_clIS8_S8_S9_S9_EESD_ST_SE_SF_SG_EUlST_E1_NS1_11comp_targetILNS1_3genE4ELNS1_11target_archE910ELNS1_3gpuE8ELNS1_3repE0EEENS1_36merge_oddeven_config_static_selectorELNS0_4arch9wavefront6targetE0EEEvSF_.kd
    .uniform_work_group_size: 1
    .uses_dynamic_stack: false
    .vgpr_count:     0
    .vgpr_spill_count: 0
    .wavefront_size: 32
  - .args:
      - .offset:         0
        .size:           48
        .value_kind:     by_value
    .group_segment_fixed_size: 0
    .kernarg_segment_align: 8
    .kernarg_segment_size: 48
    .language:       OpenCL C
    .language_version:
      - 2
      - 0
    .max_flat_workgroup_size: 256
    .name:           _ZN7rocprim17ROCPRIM_400000_NS6detail17trampoline_kernelINS0_14default_configENS1_38merge_sort_block_merge_config_selectorIlNS0_10empty_typeEEEZZNS1_27merge_sort_block_merge_implIS3_PlPS5_jNS1_19radix_merge_compareILb1ELb1ElNS0_19identity_decomposerEEEEE10hipError_tT0_T1_T2_jT3_P12ihipStream_tbPNSt15iterator_traitsISE_E10value_typeEPNSK_ISF_E10value_typeEPSG_NS1_7vsmem_tEENKUlT_SE_SF_SG_E_clIS8_S8_S9_S9_EESD_ST_SE_SF_SG_EUlST_E1_NS1_11comp_targetILNS1_3genE3ELNS1_11target_archE908ELNS1_3gpuE7ELNS1_3repE0EEENS1_36merge_oddeven_config_static_selectorELNS0_4arch9wavefront6targetE0EEEvSF_
    .private_segment_fixed_size: 0
    .sgpr_count:     0
    .sgpr_spill_count: 0
    .symbol:         _ZN7rocprim17ROCPRIM_400000_NS6detail17trampoline_kernelINS0_14default_configENS1_38merge_sort_block_merge_config_selectorIlNS0_10empty_typeEEEZZNS1_27merge_sort_block_merge_implIS3_PlPS5_jNS1_19radix_merge_compareILb1ELb1ElNS0_19identity_decomposerEEEEE10hipError_tT0_T1_T2_jT3_P12ihipStream_tbPNSt15iterator_traitsISE_E10value_typeEPNSK_ISF_E10value_typeEPSG_NS1_7vsmem_tEENKUlT_SE_SF_SG_E_clIS8_S8_S9_S9_EESD_ST_SE_SF_SG_EUlST_E1_NS1_11comp_targetILNS1_3genE3ELNS1_11target_archE908ELNS1_3gpuE7ELNS1_3repE0EEENS1_36merge_oddeven_config_static_selectorELNS0_4arch9wavefront6targetE0EEEvSF_.kd
    .uniform_work_group_size: 1
    .uses_dynamic_stack: false
    .vgpr_count:     0
    .vgpr_spill_count: 0
    .wavefront_size: 32
  - .args:
      - .offset:         0
        .size:           48
        .value_kind:     by_value
    .group_segment_fixed_size: 0
    .kernarg_segment_align: 8
    .kernarg_segment_size: 48
    .language:       OpenCL C
    .language_version:
      - 2
      - 0
    .max_flat_workgroup_size: 256
    .name:           _ZN7rocprim17ROCPRIM_400000_NS6detail17trampoline_kernelINS0_14default_configENS1_38merge_sort_block_merge_config_selectorIlNS0_10empty_typeEEEZZNS1_27merge_sort_block_merge_implIS3_PlPS5_jNS1_19radix_merge_compareILb1ELb1ElNS0_19identity_decomposerEEEEE10hipError_tT0_T1_T2_jT3_P12ihipStream_tbPNSt15iterator_traitsISE_E10value_typeEPNSK_ISF_E10value_typeEPSG_NS1_7vsmem_tEENKUlT_SE_SF_SG_E_clIS8_S8_S9_S9_EESD_ST_SE_SF_SG_EUlST_E1_NS1_11comp_targetILNS1_3genE2ELNS1_11target_archE906ELNS1_3gpuE6ELNS1_3repE0EEENS1_36merge_oddeven_config_static_selectorELNS0_4arch9wavefront6targetE0EEEvSF_
    .private_segment_fixed_size: 0
    .sgpr_count:     0
    .sgpr_spill_count: 0
    .symbol:         _ZN7rocprim17ROCPRIM_400000_NS6detail17trampoline_kernelINS0_14default_configENS1_38merge_sort_block_merge_config_selectorIlNS0_10empty_typeEEEZZNS1_27merge_sort_block_merge_implIS3_PlPS5_jNS1_19radix_merge_compareILb1ELb1ElNS0_19identity_decomposerEEEEE10hipError_tT0_T1_T2_jT3_P12ihipStream_tbPNSt15iterator_traitsISE_E10value_typeEPNSK_ISF_E10value_typeEPSG_NS1_7vsmem_tEENKUlT_SE_SF_SG_E_clIS8_S8_S9_S9_EESD_ST_SE_SF_SG_EUlST_E1_NS1_11comp_targetILNS1_3genE2ELNS1_11target_archE906ELNS1_3gpuE6ELNS1_3repE0EEENS1_36merge_oddeven_config_static_selectorELNS0_4arch9wavefront6targetE0EEEvSF_.kd
    .uniform_work_group_size: 1
    .uses_dynamic_stack: false
    .vgpr_count:     0
    .vgpr_spill_count: 0
    .wavefront_size: 32
  - .args:
      - .offset:         0
        .size:           48
        .value_kind:     by_value
    .group_segment_fixed_size: 0
    .kernarg_segment_align: 8
    .kernarg_segment_size: 48
    .language:       OpenCL C
    .language_version:
      - 2
      - 0
    .max_flat_workgroup_size: 256
    .name:           _ZN7rocprim17ROCPRIM_400000_NS6detail17trampoline_kernelINS0_14default_configENS1_38merge_sort_block_merge_config_selectorIlNS0_10empty_typeEEEZZNS1_27merge_sort_block_merge_implIS3_PlPS5_jNS1_19radix_merge_compareILb1ELb1ElNS0_19identity_decomposerEEEEE10hipError_tT0_T1_T2_jT3_P12ihipStream_tbPNSt15iterator_traitsISE_E10value_typeEPNSK_ISF_E10value_typeEPSG_NS1_7vsmem_tEENKUlT_SE_SF_SG_E_clIS8_S8_S9_S9_EESD_ST_SE_SF_SG_EUlST_E1_NS1_11comp_targetILNS1_3genE9ELNS1_11target_archE1100ELNS1_3gpuE3ELNS1_3repE0EEENS1_36merge_oddeven_config_static_selectorELNS0_4arch9wavefront6targetE0EEEvSF_
    .private_segment_fixed_size: 0
    .sgpr_count:     0
    .sgpr_spill_count: 0
    .symbol:         _ZN7rocprim17ROCPRIM_400000_NS6detail17trampoline_kernelINS0_14default_configENS1_38merge_sort_block_merge_config_selectorIlNS0_10empty_typeEEEZZNS1_27merge_sort_block_merge_implIS3_PlPS5_jNS1_19radix_merge_compareILb1ELb1ElNS0_19identity_decomposerEEEEE10hipError_tT0_T1_T2_jT3_P12ihipStream_tbPNSt15iterator_traitsISE_E10value_typeEPNSK_ISF_E10value_typeEPSG_NS1_7vsmem_tEENKUlT_SE_SF_SG_E_clIS8_S8_S9_S9_EESD_ST_SE_SF_SG_EUlST_E1_NS1_11comp_targetILNS1_3genE9ELNS1_11target_archE1100ELNS1_3gpuE3ELNS1_3repE0EEENS1_36merge_oddeven_config_static_selectorELNS0_4arch9wavefront6targetE0EEEvSF_.kd
    .uniform_work_group_size: 1
    .uses_dynamic_stack: false
    .vgpr_count:     0
    .vgpr_spill_count: 0
    .wavefront_size: 32
  - .args:
      - .offset:         0
        .size:           48
        .value_kind:     by_value
    .group_segment_fixed_size: 0
    .kernarg_segment_align: 8
    .kernarg_segment_size: 48
    .language:       OpenCL C
    .language_version:
      - 2
      - 0
    .max_flat_workgroup_size: 256
    .name:           _ZN7rocprim17ROCPRIM_400000_NS6detail17trampoline_kernelINS0_14default_configENS1_38merge_sort_block_merge_config_selectorIlNS0_10empty_typeEEEZZNS1_27merge_sort_block_merge_implIS3_PlPS5_jNS1_19radix_merge_compareILb1ELb1ElNS0_19identity_decomposerEEEEE10hipError_tT0_T1_T2_jT3_P12ihipStream_tbPNSt15iterator_traitsISE_E10value_typeEPNSK_ISF_E10value_typeEPSG_NS1_7vsmem_tEENKUlT_SE_SF_SG_E_clIS8_S8_S9_S9_EESD_ST_SE_SF_SG_EUlST_E1_NS1_11comp_targetILNS1_3genE8ELNS1_11target_archE1030ELNS1_3gpuE2ELNS1_3repE0EEENS1_36merge_oddeven_config_static_selectorELNS0_4arch9wavefront6targetE0EEEvSF_
    .private_segment_fixed_size: 0
    .sgpr_count:     0
    .sgpr_spill_count: 0
    .symbol:         _ZN7rocprim17ROCPRIM_400000_NS6detail17trampoline_kernelINS0_14default_configENS1_38merge_sort_block_merge_config_selectorIlNS0_10empty_typeEEEZZNS1_27merge_sort_block_merge_implIS3_PlPS5_jNS1_19radix_merge_compareILb1ELb1ElNS0_19identity_decomposerEEEEE10hipError_tT0_T1_T2_jT3_P12ihipStream_tbPNSt15iterator_traitsISE_E10value_typeEPNSK_ISF_E10value_typeEPSG_NS1_7vsmem_tEENKUlT_SE_SF_SG_E_clIS8_S8_S9_S9_EESD_ST_SE_SF_SG_EUlST_E1_NS1_11comp_targetILNS1_3genE8ELNS1_11target_archE1030ELNS1_3gpuE2ELNS1_3repE0EEENS1_36merge_oddeven_config_static_selectorELNS0_4arch9wavefront6targetE0EEEvSF_.kd
    .uniform_work_group_size: 1
    .uses_dynamic_stack: false
    .vgpr_count:     0
    .vgpr_spill_count: 0
    .wavefront_size: 32
  - .args:
      - .offset:         0
        .size:           48
        .value_kind:     by_value
    .group_segment_fixed_size: 32768
    .kernarg_segment_align: 8
    .kernarg_segment_size: 48
    .language:       OpenCL C
    .language_version:
      - 2
      - 0
    .max_flat_workgroup_size: 512
    .name:           _ZN7rocprim17ROCPRIM_400000_NS6detail17trampoline_kernelINS0_14default_configENS1_35radix_sort_onesweep_config_selectorIlNS0_10empty_typeEEEZNS1_34radix_sort_onesweep_global_offsetsIS3_Lb1EPKlPS5_mNS0_19identity_decomposerEEE10hipError_tT1_T2_PT3_SF_jT4_jjP12ihipStream_tbEUlT_E_NS1_11comp_targetILNS1_3genE0ELNS1_11target_archE4294967295ELNS1_3gpuE0ELNS1_3repE0EEENS1_52radix_sort_onesweep_histogram_config_static_selectorELNS0_4arch9wavefront6targetE0EEEvSD_
    .private_segment_fixed_size: 0
    .sgpr_count:     15
    .sgpr_spill_count: 0
    .symbol:         _ZN7rocprim17ROCPRIM_400000_NS6detail17trampoline_kernelINS0_14default_configENS1_35radix_sort_onesweep_config_selectorIlNS0_10empty_typeEEEZNS1_34radix_sort_onesweep_global_offsetsIS3_Lb1EPKlPS5_mNS0_19identity_decomposerEEE10hipError_tT1_T2_PT3_SF_jT4_jjP12ihipStream_tbEUlT_E_NS1_11comp_targetILNS1_3genE0ELNS1_11target_archE4294967295ELNS1_3gpuE0ELNS1_3repE0EEENS1_52radix_sort_onesweep_histogram_config_static_selectorELNS0_4arch9wavefront6targetE0EEEvSD_.kd
    .uniform_work_group_size: 1
    .uses_dynamic_stack: false
    .vgpr_count:     30
    .vgpr_spill_count: 0
    .wavefront_size: 32
  - .args:
      - .offset:         0
        .size:           48
        .value_kind:     by_value
    .group_segment_fixed_size: 0
    .kernarg_segment_align: 8
    .kernarg_segment_size: 48
    .language:       OpenCL C
    .language_version:
      - 2
      - 0
    .max_flat_workgroup_size: 512
    .name:           _ZN7rocprim17ROCPRIM_400000_NS6detail17trampoline_kernelINS0_14default_configENS1_35radix_sort_onesweep_config_selectorIlNS0_10empty_typeEEEZNS1_34radix_sort_onesweep_global_offsetsIS3_Lb1EPKlPS5_mNS0_19identity_decomposerEEE10hipError_tT1_T2_PT3_SF_jT4_jjP12ihipStream_tbEUlT_E_NS1_11comp_targetILNS1_3genE6ELNS1_11target_archE950ELNS1_3gpuE13ELNS1_3repE0EEENS1_52radix_sort_onesweep_histogram_config_static_selectorELNS0_4arch9wavefront6targetE0EEEvSD_
    .private_segment_fixed_size: 0
    .sgpr_count:     0
    .sgpr_spill_count: 0
    .symbol:         _ZN7rocprim17ROCPRIM_400000_NS6detail17trampoline_kernelINS0_14default_configENS1_35radix_sort_onesweep_config_selectorIlNS0_10empty_typeEEEZNS1_34radix_sort_onesweep_global_offsetsIS3_Lb1EPKlPS5_mNS0_19identity_decomposerEEE10hipError_tT1_T2_PT3_SF_jT4_jjP12ihipStream_tbEUlT_E_NS1_11comp_targetILNS1_3genE6ELNS1_11target_archE950ELNS1_3gpuE13ELNS1_3repE0EEENS1_52radix_sort_onesweep_histogram_config_static_selectorELNS0_4arch9wavefront6targetE0EEEvSD_.kd
    .uniform_work_group_size: 1
    .uses_dynamic_stack: false
    .vgpr_count:     0
    .vgpr_spill_count: 0
    .wavefront_size: 32
  - .args:
      - .offset:         0
        .size:           48
        .value_kind:     by_value
    .group_segment_fixed_size: 0
    .kernarg_segment_align: 8
    .kernarg_segment_size: 48
    .language:       OpenCL C
    .language_version:
      - 2
      - 0
    .max_flat_workgroup_size: 512
    .name:           _ZN7rocprim17ROCPRIM_400000_NS6detail17trampoline_kernelINS0_14default_configENS1_35radix_sort_onesweep_config_selectorIlNS0_10empty_typeEEEZNS1_34radix_sort_onesweep_global_offsetsIS3_Lb1EPKlPS5_mNS0_19identity_decomposerEEE10hipError_tT1_T2_PT3_SF_jT4_jjP12ihipStream_tbEUlT_E_NS1_11comp_targetILNS1_3genE5ELNS1_11target_archE942ELNS1_3gpuE9ELNS1_3repE0EEENS1_52radix_sort_onesweep_histogram_config_static_selectorELNS0_4arch9wavefront6targetE0EEEvSD_
    .private_segment_fixed_size: 0
    .sgpr_count:     0
    .sgpr_spill_count: 0
    .symbol:         _ZN7rocprim17ROCPRIM_400000_NS6detail17trampoline_kernelINS0_14default_configENS1_35radix_sort_onesweep_config_selectorIlNS0_10empty_typeEEEZNS1_34radix_sort_onesweep_global_offsetsIS3_Lb1EPKlPS5_mNS0_19identity_decomposerEEE10hipError_tT1_T2_PT3_SF_jT4_jjP12ihipStream_tbEUlT_E_NS1_11comp_targetILNS1_3genE5ELNS1_11target_archE942ELNS1_3gpuE9ELNS1_3repE0EEENS1_52radix_sort_onesweep_histogram_config_static_selectorELNS0_4arch9wavefront6targetE0EEEvSD_.kd
    .uniform_work_group_size: 1
    .uses_dynamic_stack: false
    .vgpr_count:     0
    .vgpr_spill_count: 0
    .wavefront_size: 32
  - .args:
      - .offset:         0
        .size:           48
        .value_kind:     by_value
    .group_segment_fixed_size: 0
    .kernarg_segment_align: 8
    .kernarg_segment_size: 48
    .language:       OpenCL C
    .language_version:
      - 2
      - 0
    .max_flat_workgroup_size: 512
    .name:           _ZN7rocprim17ROCPRIM_400000_NS6detail17trampoline_kernelINS0_14default_configENS1_35radix_sort_onesweep_config_selectorIlNS0_10empty_typeEEEZNS1_34radix_sort_onesweep_global_offsetsIS3_Lb1EPKlPS5_mNS0_19identity_decomposerEEE10hipError_tT1_T2_PT3_SF_jT4_jjP12ihipStream_tbEUlT_E_NS1_11comp_targetILNS1_3genE2ELNS1_11target_archE906ELNS1_3gpuE6ELNS1_3repE0EEENS1_52radix_sort_onesweep_histogram_config_static_selectorELNS0_4arch9wavefront6targetE0EEEvSD_
    .private_segment_fixed_size: 0
    .sgpr_count:     0
    .sgpr_spill_count: 0
    .symbol:         _ZN7rocprim17ROCPRIM_400000_NS6detail17trampoline_kernelINS0_14default_configENS1_35radix_sort_onesweep_config_selectorIlNS0_10empty_typeEEEZNS1_34radix_sort_onesweep_global_offsetsIS3_Lb1EPKlPS5_mNS0_19identity_decomposerEEE10hipError_tT1_T2_PT3_SF_jT4_jjP12ihipStream_tbEUlT_E_NS1_11comp_targetILNS1_3genE2ELNS1_11target_archE906ELNS1_3gpuE6ELNS1_3repE0EEENS1_52radix_sort_onesweep_histogram_config_static_selectorELNS0_4arch9wavefront6targetE0EEEvSD_.kd
    .uniform_work_group_size: 1
    .uses_dynamic_stack: false
    .vgpr_count:     0
    .vgpr_spill_count: 0
    .wavefront_size: 32
  - .args:
      - .offset:         0
        .size:           48
        .value_kind:     by_value
    .group_segment_fixed_size: 0
    .kernarg_segment_align: 8
    .kernarg_segment_size: 48
    .language:       OpenCL C
    .language_version:
      - 2
      - 0
    .max_flat_workgroup_size: 1024
    .name:           _ZN7rocprim17ROCPRIM_400000_NS6detail17trampoline_kernelINS0_14default_configENS1_35radix_sort_onesweep_config_selectorIlNS0_10empty_typeEEEZNS1_34radix_sort_onesweep_global_offsetsIS3_Lb1EPKlPS5_mNS0_19identity_decomposerEEE10hipError_tT1_T2_PT3_SF_jT4_jjP12ihipStream_tbEUlT_E_NS1_11comp_targetILNS1_3genE4ELNS1_11target_archE910ELNS1_3gpuE8ELNS1_3repE0EEENS1_52radix_sort_onesweep_histogram_config_static_selectorELNS0_4arch9wavefront6targetE0EEEvSD_
    .private_segment_fixed_size: 0
    .sgpr_count:     0
    .sgpr_spill_count: 0
    .symbol:         _ZN7rocprim17ROCPRIM_400000_NS6detail17trampoline_kernelINS0_14default_configENS1_35radix_sort_onesweep_config_selectorIlNS0_10empty_typeEEEZNS1_34radix_sort_onesweep_global_offsetsIS3_Lb1EPKlPS5_mNS0_19identity_decomposerEEE10hipError_tT1_T2_PT3_SF_jT4_jjP12ihipStream_tbEUlT_E_NS1_11comp_targetILNS1_3genE4ELNS1_11target_archE910ELNS1_3gpuE8ELNS1_3repE0EEENS1_52radix_sort_onesweep_histogram_config_static_selectorELNS0_4arch9wavefront6targetE0EEEvSD_.kd
    .uniform_work_group_size: 1
    .uses_dynamic_stack: false
    .vgpr_count:     0
    .vgpr_spill_count: 0
    .wavefront_size: 32
  - .args:
      - .offset:         0
        .size:           48
        .value_kind:     by_value
    .group_segment_fixed_size: 0
    .kernarg_segment_align: 8
    .kernarg_segment_size: 48
    .language:       OpenCL C
    .language_version:
      - 2
      - 0
    .max_flat_workgroup_size: 512
    .name:           _ZN7rocprim17ROCPRIM_400000_NS6detail17trampoline_kernelINS0_14default_configENS1_35radix_sort_onesweep_config_selectorIlNS0_10empty_typeEEEZNS1_34radix_sort_onesweep_global_offsetsIS3_Lb1EPKlPS5_mNS0_19identity_decomposerEEE10hipError_tT1_T2_PT3_SF_jT4_jjP12ihipStream_tbEUlT_E_NS1_11comp_targetILNS1_3genE3ELNS1_11target_archE908ELNS1_3gpuE7ELNS1_3repE0EEENS1_52radix_sort_onesweep_histogram_config_static_selectorELNS0_4arch9wavefront6targetE0EEEvSD_
    .private_segment_fixed_size: 0
    .sgpr_count:     0
    .sgpr_spill_count: 0
    .symbol:         _ZN7rocprim17ROCPRIM_400000_NS6detail17trampoline_kernelINS0_14default_configENS1_35radix_sort_onesweep_config_selectorIlNS0_10empty_typeEEEZNS1_34radix_sort_onesweep_global_offsetsIS3_Lb1EPKlPS5_mNS0_19identity_decomposerEEE10hipError_tT1_T2_PT3_SF_jT4_jjP12ihipStream_tbEUlT_E_NS1_11comp_targetILNS1_3genE3ELNS1_11target_archE908ELNS1_3gpuE7ELNS1_3repE0EEENS1_52radix_sort_onesweep_histogram_config_static_selectorELNS0_4arch9wavefront6targetE0EEEvSD_.kd
    .uniform_work_group_size: 1
    .uses_dynamic_stack: false
    .vgpr_count:     0
    .vgpr_spill_count: 0
    .wavefront_size: 32
  - .args:
      - .offset:         0
        .size:           48
        .value_kind:     by_value
    .group_segment_fixed_size: 0
    .kernarg_segment_align: 8
    .kernarg_segment_size: 48
    .language:       OpenCL C
    .language_version:
      - 2
      - 0
    .max_flat_workgroup_size: 512
    .name:           _ZN7rocprim17ROCPRIM_400000_NS6detail17trampoline_kernelINS0_14default_configENS1_35radix_sort_onesweep_config_selectorIlNS0_10empty_typeEEEZNS1_34radix_sort_onesweep_global_offsetsIS3_Lb1EPKlPS5_mNS0_19identity_decomposerEEE10hipError_tT1_T2_PT3_SF_jT4_jjP12ihipStream_tbEUlT_E_NS1_11comp_targetILNS1_3genE10ELNS1_11target_archE1201ELNS1_3gpuE5ELNS1_3repE0EEENS1_52radix_sort_onesweep_histogram_config_static_selectorELNS0_4arch9wavefront6targetE0EEEvSD_
    .private_segment_fixed_size: 0
    .sgpr_count:     0
    .sgpr_spill_count: 0
    .symbol:         _ZN7rocprim17ROCPRIM_400000_NS6detail17trampoline_kernelINS0_14default_configENS1_35radix_sort_onesweep_config_selectorIlNS0_10empty_typeEEEZNS1_34radix_sort_onesweep_global_offsetsIS3_Lb1EPKlPS5_mNS0_19identity_decomposerEEE10hipError_tT1_T2_PT3_SF_jT4_jjP12ihipStream_tbEUlT_E_NS1_11comp_targetILNS1_3genE10ELNS1_11target_archE1201ELNS1_3gpuE5ELNS1_3repE0EEENS1_52radix_sort_onesweep_histogram_config_static_selectorELNS0_4arch9wavefront6targetE0EEEvSD_.kd
    .uniform_work_group_size: 1
    .uses_dynamic_stack: false
    .vgpr_count:     0
    .vgpr_spill_count: 0
    .wavefront_size: 32
  - .args:
      - .offset:         0
        .size:           48
        .value_kind:     by_value
    .group_segment_fixed_size: 0
    .kernarg_segment_align: 8
    .kernarg_segment_size: 48
    .language:       OpenCL C
    .language_version:
      - 2
      - 0
    .max_flat_workgroup_size: 1024
    .name:           _ZN7rocprim17ROCPRIM_400000_NS6detail17trampoline_kernelINS0_14default_configENS1_35radix_sort_onesweep_config_selectorIlNS0_10empty_typeEEEZNS1_34radix_sort_onesweep_global_offsetsIS3_Lb1EPKlPS5_mNS0_19identity_decomposerEEE10hipError_tT1_T2_PT3_SF_jT4_jjP12ihipStream_tbEUlT_E_NS1_11comp_targetILNS1_3genE9ELNS1_11target_archE1100ELNS1_3gpuE3ELNS1_3repE0EEENS1_52radix_sort_onesweep_histogram_config_static_selectorELNS0_4arch9wavefront6targetE0EEEvSD_
    .private_segment_fixed_size: 0
    .sgpr_count:     0
    .sgpr_spill_count: 0
    .symbol:         _ZN7rocprim17ROCPRIM_400000_NS6detail17trampoline_kernelINS0_14default_configENS1_35radix_sort_onesweep_config_selectorIlNS0_10empty_typeEEEZNS1_34radix_sort_onesweep_global_offsetsIS3_Lb1EPKlPS5_mNS0_19identity_decomposerEEE10hipError_tT1_T2_PT3_SF_jT4_jjP12ihipStream_tbEUlT_E_NS1_11comp_targetILNS1_3genE9ELNS1_11target_archE1100ELNS1_3gpuE3ELNS1_3repE0EEENS1_52radix_sort_onesweep_histogram_config_static_selectorELNS0_4arch9wavefront6targetE0EEEvSD_.kd
    .uniform_work_group_size: 1
    .uses_dynamic_stack: false
    .vgpr_count:     0
    .vgpr_spill_count: 0
    .wavefront_size: 32
  - .args:
      - .offset:         0
        .size:           48
        .value_kind:     by_value
    .group_segment_fixed_size: 0
    .kernarg_segment_align: 8
    .kernarg_segment_size: 48
    .language:       OpenCL C
    .language_version:
      - 2
      - 0
    .max_flat_workgroup_size: 1024
    .name:           _ZN7rocprim17ROCPRIM_400000_NS6detail17trampoline_kernelINS0_14default_configENS1_35radix_sort_onesweep_config_selectorIlNS0_10empty_typeEEEZNS1_34radix_sort_onesweep_global_offsetsIS3_Lb1EPKlPS5_mNS0_19identity_decomposerEEE10hipError_tT1_T2_PT3_SF_jT4_jjP12ihipStream_tbEUlT_E_NS1_11comp_targetILNS1_3genE8ELNS1_11target_archE1030ELNS1_3gpuE2ELNS1_3repE0EEENS1_52radix_sort_onesweep_histogram_config_static_selectorELNS0_4arch9wavefront6targetE0EEEvSD_
    .private_segment_fixed_size: 0
    .sgpr_count:     0
    .sgpr_spill_count: 0
    .symbol:         _ZN7rocprim17ROCPRIM_400000_NS6detail17trampoline_kernelINS0_14default_configENS1_35radix_sort_onesweep_config_selectorIlNS0_10empty_typeEEEZNS1_34radix_sort_onesweep_global_offsetsIS3_Lb1EPKlPS5_mNS0_19identity_decomposerEEE10hipError_tT1_T2_PT3_SF_jT4_jjP12ihipStream_tbEUlT_E_NS1_11comp_targetILNS1_3genE8ELNS1_11target_archE1030ELNS1_3gpuE2ELNS1_3repE0EEENS1_52radix_sort_onesweep_histogram_config_static_selectorELNS0_4arch9wavefront6targetE0EEEvSD_.kd
    .uniform_work_group_size: 1
    .uses_dynamic_stack: false
    .vgpr_count:     0
    .vgpr_spill_count: 0
    .wavefront_size: 32
  - .args:
      - .address_space:  global
        .offset:         0
        .size:           8
        .value_kind:     global_buffer
    .group_segment_fixed_size: 128
    .kernarg_segment_align: 8
    .kernarg_segment_size: 8
    .language:       OpenCL C
    .language_version:
      - 2
      - 0
    .max_flat_workgroup_size: 512
    .name:           _ZN7rocprim17ROCPRIM_400000_NS6detail17trampoline_kernelINS0_14default_configENS1_35radix_sort_onesweep_config_selectorIlNS0_10empty_typeEEEZNS1_34radix_sort_onesweep_global_offsetsIS3_Lb1EPKlPS5_mNS0_19identity_decomposerEEE10hipError_tT1_T2_PT3_SF_jT4_jjP12ihipStream_tbEUlT_E0_NS1_11comp_targetILNS1_3genE0ELNS1_11target_archE4294967295ELNS1_3gpuE0ELNS1_3repE0EEENS1_52radix_sort_onesweep_histogram_config_static_selectorELNS0_4arch9wavefront6targetE0EEEvSD_
    .private_segment_fixed_size: 0
    .sgpr_count:     10
    .sgpr_spill_count: 0
    .symbol:         _ZN7rocprim17ROCPRIM_400000_NS6detail17trampoline_kernelINS0_14default_configENS1_35radix_sort_onesweep_config_selectorIlNS0_10empty_typeEEEZNS1_34radix_sort_onesweep_global_offsetsIS3_Lb1EPKlPS5_mNS0_19identity_decomposerEEE10hipError_tT1_T2_PT3_SF_jT4_jjP12ihipStream_tbEUlT_E0_NS1_11comp_targetILNS1_3genE0ELNS1_11target_archE4294967295ELNS1_3gpuE0ELNS1_3repE0EEENS1_52radix_sort_onesweep_histogram_config_static_selectorELNS0_4arch9wavefront6targetE0EEEvSD_.kd
    .uniform_work_group_size: 1
    .uses_dynamic_stack: false
    .vgpr_count:     14
    .vgpr_spill_count: 0
    .wavefront_size: 32
  - .args:
      - .address_space:  global
        .offset:         0
        .size:           8
        .value_kind:     global_buffer
    .group_segment_fixed_size: 0
    .kernarg_segment_align: 8
    .kernarg_segment_size: 8
    .language:       OpenCL C
    .language_version:
      - 2
      - 0
    .max_flat_workgroup_size: 512
    .name:           _ZN7rocprim17ROCPRIM_400000_NS6detail17trampoline_kernelINS0_14default_configENS1_35radix_sort_onesweep_config_selectorIlNS0_10empty_typeEEEZNS1_34radix_sort_onesweep_global_offsetsIS3_Lb1EPKlPS5_mNS0_19identity_decomposerEEE10hipError_tT1_T2_PT3_SF_jT4_jjP12ihipStream_tbEUlT_E0_NS1_11comp_targetILNS1_3genE6ELNS1_11target_archE950ELNS1_3gpuE13ELNS1_3repE0EEENS1_52radix_sort_onesweep_histogram_config_static_selectorELNS0_4arch9wavefront6targetE0EEEvSD_
    .private_segment_fixed_size: 0
    .sgpr_count:     0
    .sgpr_spill_count: 0
    .symbol:         _ZN7rocprim17ROCPRIM_400000_NS6detail17trampoline_kernelINS0_14default_configENS1_35radix_sort_onesweep_config_selectorIlNS0_10empty_typeEEEZNS1_34radix_sort_onesweep_global_offsetsIS3_Lb1EPKlPS5_mNS0_19identity_decomposerEEE10hipError_tT1_T2_PT3_SF_jT4_jjP12ihipStream_tbEUlT_E0_NS1_11comp_targetILNS1_3genE6ELNS1_11target_archE950ELNS1_3gpuE13ELNS1_3repE0EEENS1_52radix_sort_onesweep_histogram_config_static_selectorELNS0_4arch9wavefront6targetE0EEEvSD_.kd
    .uniform_work_group_size: 1
    .uses_dynamic_stack: false
    .vgpr_count:     0
    .vgpr_spill_count: 0
    .wavefront_size: 32
  - .args:
      - .address_space:  global
        .offset:         0
        .size:           8
        .value_kind:     global_buffer
    .group_segment_fixed_size: 0
    .kernarg_segment_align: 8
    .kernarg_segment_size: 8
    .language:       OpenCL C
    .language_version:
      - 2
      - 0
    .max_flat_workgroup_size: 512
    .name:           _ZN7rocprim17ROCPRIM_400000_NS6detail17trampoline_kernelINS0_14default_configENS1_35radix_sort_onesweep_config_selectorIlNS0_10empty_typeEEEZNS1_34radix_sort_onesweep_global_offsetsIS3_Lb1EPKlPS5_mNS0_19identity_decomposerEEE10hipError_tT1_T2_PT3_SF_jT4_jjP12ihipStream_tbEUlT_E0_NS1_11comp_targetILNS1_3genE5ELNS1_11target_archE942ELNS1_3gpuE9ELNS1_3repE0EEENS1_52radix_sort_onesweep_histogram_config_static_selectorELNS0_4arch9wavefront6targetE0EEEvSD_
    .private_segment_fixed_size: 0
    .sgpr_count:     0
    .sgpr_spill_count: 0
    .symbol:         _ZN7rocprim17ROCPRIM_400000_NS6detail17trampoline_kernelINS0_14default_configENS1_35radix_sort_onesweep_config_selectorIlNS0_10empty_typeEEEZNS1_34radix_sort_onesweep_global_offsetsIS3_Lb1EPKlPS5_mNS0_19identity_decomposerEEE10hipError_tT1_T2_PT3_SF_jT4_jjP12ihipStream_tbEUlT_E0_NS1_11comp_targetILNS1_3genE5ELNS1_11target_archE942ELNS1_3gpuE9ELNS1_3repE0EEENS1_52radix_sort_onesweep_histogram_config_static_selectorELNS0_4arch9wavefront6targetE0EEEvSD_.kd
    .uniform_work_group_size: 1
    .uses_dynamic_stack: false
    .vgpr_count:     0
    .vgpr_spill_count: 0
    .wavefront_size: 32
  - .args:
      - .address_space:  global
        .offset:         0
        .size:           8
        .value_kind:     global_buffer
    .group_segment_fixed_size: 0
    .kernarg_segment_align: 8
    .kernarg_segment_size: 8
    .language:       OpenCL C
    .language_version:
      - 2
      - 0
    .max_flat_workgroup_size: 512
    .name:           _ZN7rocprim17ROCPRIM_400000_NS6detail17trampoline_kernelINS0_14default_configENS1_35radix_sort_onesweep_config_selectorIlNS0_10empty_typeEEEZNS1_34radix_sort_onesweep_global_offsetsIS3_Lb1EPKlPS5_mNS0_19identity_decomposerEEE10hipError_tT1_T2_PT3_SF_jT4_jjP12ihipStream_tbEUlT_E0_NS1_11comp_targetILNS1_3genE2ELNS1_11target_archE906ELNS1_3gpuE6ELNS1_3repE0EEENS1_52radix_sort_onesweep_histogram_config_static_selectorELNS0_4arch9wavefront6targetE0EEEvSD_
    .private_segment_fixed_size: 0
    .sgpr_count:     0
    .sgpr_spill_count: 0
    .symbol:         _ZN7rocprim17ROCPRIM_400000_NS6detail17trampoline_kernelINS0_14default_configENS1_35radix_sort_onesweep_config_selectorIlNS0_10empty_typeEEEZNS1_34radix_sort_onesweep_global_offsetsIS3_Lb1EPKlPS5_mNS0_19identity_decomposerEEE10hipError_tT1_T2_PT3_SF_jT4_jjP12ihipStream_tbEUlT_E0_NS1_11comp_targetILNS1_3genE2ELNS1_11target_archE906ELNS1_3gpuE6ELNS1_3repE0EEENS1_52radix_sort_onesweep_histogram_config_static_selectorELNS0_4arch9wavefront6targetE0EEEvSD_.kd
    .uniform_work_group_size: 1
    .uses_dynamic_stack: false
    .vgpr_count:     0
    .vgpr_spill_count: 0
    .wavefront_size: 32
  - .args:
      - .address_space:  global
        .offset:         0
        .size:           8
        .value_kind:     global_buffer
    .group_segment_fixed_size: 0
    .kernarg_segment_align: 8
    .kernarg_segment_size: 8
    .language:       OpenCL C
    .language_version:
      - 2
      - 0
    .max_flat_workgroup_size: 1024
    .name:           _ZN7rocprim17ROCPRIM_400000_NS6detail17trampoline_kernelINS0_14default_configENS1_35radix_sort_onesweep_config_selectorIlNS0_10empty_typeEEEZNS1_34radix_sort_onesweep_global_offsetsIS3_Lb1EPKlPS5_mNS0_19identity_decomposerEEE10hipError_tT1_T2_PT3_SF_jT4_jjP12ihipStream_tbEUlT_E0_NS1_11comp_targetILNS1_3genE4ELNS1_11target_archE910ELNS1_3gpuE8ELNS1_3repE0EEENS1_52radix_sort_onesweep_histogram_config_static_selectorELNS0_4arch9wavefront6targetE0EEEvSD_
    .private_segment_fixed_size: 0
    .sgpr_count:     0
    .sgpr_spill_count: 0
    .symbol:         _ZN7rocprim17ROCPRIM_400000_NS6detail17trampoline_kernelINS0_14default_configENS1_35radix_sort_onesweep_config_selectorIlNS0_10empty_typeEEEZNS1_34radix_sort_onesweep_global_offsetsIS3_Lb1EPKlPS5_mNS0_19identity_decomposerEEE10hipError_tT1_T2_PT3_SF_jT4_jjP12ihipStream_tbEUlT_E0_NS1_11comp_targetILNS1_3genE4ELNS1_11target_archE910ELNS1_3gpuE8ELNS1_3repE0EEENS1_52radix_sort_onesweep_histogram_config_static_selectorELNS0_4arch9wavefront6targetE0EEEvSD_.kd
    .uniform_work_group_size: 1
    .uses_dynamic_stack: false
    .vgpr_count:     0
    .vgpr_spill_count: 0
    .wavefront_size: 32
  - .args:
      - .address_space:  global
        .offset:         0
        .size:           8
        .value_kind:     global_buffer
    .group_segment_fixed_size: 0
    .kernarg_segment_align: 8
    .kernarg_segment_size: 8
    .language:       OpenCL C
    .language_version:
      - 2
      - 0
    .max_flat_workgroup_size: 512
    .name:           _ZN7rocprim17ROCPRIM_400000_NS6detail17trampoline_kernelINS0_14default_configENS1_35radix_sort_onesweep_config_selectorIlNS0_10empty_typeEEEZNS1_34radix_sort_onesweep_global_offsetsIS3_Lb1EPKlPS5_mNS0_19identity_decomposerEEE10hipError_tT1_T2_PT3_SF_jT4_jjP12ihipStream_tbEUlT_E0_NS1_11comp_targetILNS1_3genE3ELNS1_11target_archE908ELNS1_3gpuE7ELNS1_3repE0EEENS1_52radix_sort_onesweep_histogram_config_static_selectorELNS0_4arch9wavefront6targetE0EEEvSD_
    .private_segment_fixed_size: 0
    .sgpr_count:     0
    .sgpr_spill_count: 0
    .symbol:         _ZN7rocprim17ROCPRIM_400000_NS6detail17trampoline_kernelINS0_14default_configENS1_35radix_sort_onesweep_config_selectorIlNS0_10empty_typeEEEZNS1_34radix_sort_onesweep_global_offsetsIS3_Lb1EPKlPS5_mNS0_19identity_decomposerEEE10hipError_tT1_T2_PT3_SF_jT4_jjP12ihipStream_tbEUlT_E0_NS1_11comp_targetILNS1_3genE3ELNS1_11target_archE908ELNS1_3gpuE7ELNS1_3repE0EEENS1_52radix_sort_onesweep_histogram_config_static_selectorELNS0_4arch9wavefront6targetE0EEEvSD_.kd
    .uniform_work_group_size: 1
    .uses_dynamic_stack: false
    .vgpr_count:     0
    .vgpr_spill_count: 0
    .wavefront_size: 32
  - .args:
      - .address_space:  global
        .offset:         0
        .size:           8
        .value_kind:     global_buffer
    .group_segment_fixed_size: 0
    .kernarg_segment_align: 8
    .kernarg_segment_size: 8
    .language:       OpenCL C
    .language_version:
      - 2
      - 0
    .max_flat_workgroup_size: 512
    .name:           _ZN7rocprim17ROCPRIM_400000_NS6detail17trampoline_kernelINS0_14default_configENS1_35radix_sort_onesweep_config_selectorIlNS0_10empty_typeEEEZNS1_34radix_sort_onesweep_global_offsetsIS3_Lb1EPKlPS5_mNS0_19identity_decomposerEEE10hipError_tT1_T2_PT3_SF_jT4_jjP12ihipStream_tbEUlT_E0_NS1_11comp_targetILNS1_3genE10ELNS1_11target_archE1201ELNS1_3gpuE5ELNS1_3repE0EEENS1_52radix_sort_onesweep_histogram_config_static_selectorELNS0_4arch9wavefront6targetE0EEEvSD_
    .private_segment_fixed_size: 0
    .sgpr_count:     0
    .sgpr_spill_count: 0
    .symbol:         _ZN7rocprim17ROCPRIM_400000_NS6detail17trampoline_kernelINS0_14default_configENS1_35radix_sort_onesweep_config_selectorIlNS0_10empty_typeEEEZNS1_34radix_sort_onesweep_global_offsetsIS3_Lb1EPKlPS5_mNS0_19identity_decomposerEEE10hipError_tT1_T2_PT3_SF_jT4_jjP12ihipStream_tbEUlT_E0_NS1_11comp_targetILNS1_3genE10ELNS1_11target_archE1201ELNS1_3gpuE5ELNS1_3repE0EEENS1_52radix_sort_onesweep_histogram_config_static_selectorELNS0_4arch9wavefront6targetE0EEEvSD_.kd
    .uniform_work_group_size: 1
    .uses_dynamic_stack: false
    .vgpr_count:     0
    .vgpr_spill_count: 0
    .wavefront_size: 32
  - .args:
      - .address_space:  global
        .offset:         0
        .size:           8
        .value_kind:     global_buffer
    .group_segment_fixed_size: 0
    .kernarg_segment_align: 8
    .kernarg_segment_size: 8
    .language:       OpenCL C
    .language_version:
      - 2
      - 0
    .max_flat_workgroup_size: 1024
    .name:           _ZN7rocprim17ROCPRIM_400000_NS6detail17trampoline_kernelINS0_14default_configENS1_35radix_sort_onesweep_config_selectorIlNS0_10empty_typeEEEZNS1_34radix_sort_onesweep_global_offsetsIS3_Lb1EPKlPS5_mNS0_19identity_decomposerEEE10hipError_tT1_T2_PT3_SF_jT4_jjP12ihipStream_tbEUlT_E0_NS1_11comp_targetILNS1_3genE9ELNS1_11target_archE1100ELNS1_3gpuE3ELNS1_3repE0EEENS1_52radix_sort_onesweep_histogram_config_static_selectorELNS0_4arch9wavefront6targetE0EEEvSD_
    .private_segment_fixed_size: 0
    .sgpr_count:     0
    .sgpr_spill_count: 0
    .symbol:         _ZN7rocprim17ROCPRIM_400000_NS6detail17trampoline_kernelINS0_14default_configENS1_35radix_sort_onesweep_config_selectorIlNS0_10empty_typeEEEZNS1_34radix_sort_onesweep_global_offsetsIS3_Lb1EPKlPS5_mNS0_19identity_decomposerEEE10hipError_tT1_T2_PT3_SF_jT4_jjP12ihipStream_tbEUlT_E0_NS1_11comp_targetILNS1_3genE9ELNS1_11target_archE1100ELNS1_3gpuE3ELNS1_3repE0EEENS1_52radix_sort_onesweep_histogram_config_static_selectorELNS0_4arch9wavefront6targetE0EEEvSD_.kd
    .uniform_work_group_size: 1
    .uses_dynamic_stack: false
    .vgpr_count:     0
    .vgpr_spill_count: 0
    .wavefront_size: 32
  - .args:
      - .address_space:  global
        .offset:         0
        .size:           8
        .value_kind:     global_buffer
    .group_segment_fixed_size: 0
    .kernarg_segment_align: 8
    .kernarg_segment_size: 8
    .language:       OpenCL C
    .language_version:
      - 2
      - 0
    .max_flat_workgroup_size: 1024
    .name:           _ZN7rocprim17ROCPRIM_400000_NS6detail17trampoline_kernelINS0_14default_configENS1_35radix_sort_onesweep_config_selectorIlNS0_10empty_typeEEEZNS1_34radix_sort_onesweep_global_offsetsIS3_Lb1EPKlPS5_mNS0_19identity_decomposerEEE10hipError_tT1_T2_PT3_SF_jT4_jjP12ihipStream_tbEUlT_E0_NS1_11comp_targetILNS1_3genE8ELNS1_11target_archE1030ELNS1_3gpuE2ELNS1_3repE0EEENS1_52radix_sort_onesweep_histogram_config_static_selectorELNS0_4arch9wavefront6targetE0EEEvSD_
    .private_segment_fixed_size: 0
    .sgpr_count:     0
    .sgpr_spill_count: 0
    .symbol:         _ZN7rocprim17ROCPRIM_400000_NS6detail17trampoline_kernelINS0_14default_configENS1_35radix_sort_onesweep_config_selectorIlNS0_10empty_typeEEEZNS1_34radix_sort_onesweep_global_offsetsIS3_Lb1EPKlPS5_mNS0_19identity_decomposerEEE10hipError_tT1_T2_PT3_SF_jT4_jjP12ihipStream_tbEUlT_E0_NS1_11comp_targetILNS1_3genE8ELNS1_11target_archE1030ELNS1_3gpuE2ELNS1_3repE0EEENS1_52radix_sort_onesweep_histogram_config_static_selectorELNS0_4arch9wavefront6targetE0EEEvSD_.kd
    .uniform_work_group_size: 1
    .uses_dynamic_stack: false
    .vgpr_count:     0
    .vgpr_spill_count: 0
    .wavefront_size: 32
  - .args:
      - .offset:         0
        .size:           40
        .value_kind:     by_value
      - .offset:         40
        .size:           4
        .value_kind:     hidden_block_count_x
      - .offset:         44
        .size:           4
        .value_kind:     hidden_block_count_y
      - .offset:         48
        .size:           4
        .value_kind:     hidden_block_count_z
      - .offset:         52
        .size:           2
        .value_kind:     hidden_group_size_x
      - .offset:         54
        .size:           2
        .value_kind:     hidden_group_size_y
      - .offset:         56
        .size:           2
        .value_kind:     hidden_group_size_z
      - .offset:         58
        .size:           2
        .value_kind:     hidden_remainder_x
      - .offset:         60
        .size:           2
        .value_kind:     hidden_remainder_y
      - .offset:         62
        .size:           2
        .value_kind:     hidden_remainder_z
      - .offset:         80
        .size:           8
        .value_kind:     hidden_global_offset_x
      - .offset:         88
        .size:           8
        .value_kind:     hidden_global_offset_y
      - .offset:         96
        .size:           8
        .value_kind:     hidden_global_offset_z
      - .offset:         104
        .size:           2
        .value_kind:     hidden_grid_dims
    .group_segment_fixed_size: 0
    .kernarg_segment_align: 8
    .kernarg_segment_size: 296
    .language:       OpenCL C
    .language_version:
      - 2
      - 0
    .max_flat_workgroup_size: 128
    .name:           _ZN7rocprim17ROCPRIM_400000_NS6detail17trampoline_kernelINS0_14default_configENS1_25transform_config_selectorIlLb1EEEZNS1_14transform_implILb1ES3_S5_PKlPlNS0_8identityIlEEEE10hipError_tT2_T3_mT4_P12ihipStream_tbEUlT_E_NS1_11comp_targetILNS1_3genE0ELNS1_11target_archE4294967295ELNS1_3gpuE0ELNS1_3repE0EEENS1_30default_config_static_selectorELNS0_4arch9wavefront6targetE0EEEvT1_
    .private_segment_fixed_size: 0
    .sgpr_count:     12
    .sgpr_spill_count: 0
    .symbol:         _ZN7rocprim17ROCPRIM_400000_NS6detail17trampoline_kernelINS0_14default_configENS1_25transform_config_selectorIlLb1EEEZNS1_14transform_implILb1ES3_S5_PKlPlNS0_8identityIlEEEE10hipError_tT2_T3_mT4_P12ihipStream_tbEUlT_E_NS1_11comp_targetILNS1_3genE0ELNS1_11target_archE4294967295ELNS1_3gpuE0ELNS1_3repE0EEENS1_30default_config_static_selectorELNS0_4arch9wavefront6targetE0EEEvT1_.kd
    .uniform_work_group_size: 1
    .uses_dynamic_stack: false
    .vgpr_count:     4
    .vgpr_spill_count: 0
    .wavefront_size: 32
  - .args:
      - .offset:         0
        .size:           40
        .value_kind:     by_value
    .group_segment_fixed_size: 0
    .kernarg_segment_align: 8
    .kernarg_segment_size: 40
    .language:       OpenCL C
    .language_version:
      - 2
      - 0
    .max_flat_workgroup_size: 1024
    .name:           _ZN7rocprim17ROCPRIM_400000_NS6detail17trampoline_kernelINS0_14default_configENS1_25transform_config_selectorIlLb1EEEZNS1_14transform_implILb1ES3_S5_PKlPlNS0_8identityIlEEEE10hipError_tT2_T3_mT4_P12ihipStream_tbEUlT_E_NS1_11comp_targetILNS1_3genE10ELNS1_11target_archE1201ELNS1_3gpuE5ELNS1_3repE0EEENS1_30default_config_static_selectorELNS0_4arch9wavefront6targetE0EEEvT1_
    .private_segment_fixed_size: 0
    .sgpr_count:     0
    .sgpr_spill_count: 0
    .symbol:         _ZN7rocprim17ROCPRIM_400000_NS6detail17trampoline_kernelINS0_14default_configENS1_25transform_config_selectorIlLb1EEEZNS1_14transform_implILb1ES3_S5_PKlPlNS0_8identityIlEEEE10hipError_tT2_T3_mT4_P12ihipStream_tbEUlT_E_NS1_11comp_targetILNS1_3genE10ELNS1_11target_archE1201ELNS1_3gpuE5ELNS1_3repE0EEENS1_30default_config_static_selectorELNS0_4arch9wavefront6targetE0EEEvT1_.kd
    .uniform_work_group_size: 1
    .uses_dynamic_stack: false
    .vgpr_count:     0
    .vgpr_spill_count: 0
    .wavefront_size: 32
  - .args:
      - .offset:         0
        .size:           40
        .value_kind:     by_value
    .group_segment_fixed_size: 0
    .kernarg_segment_align: 8
    .kernarg_segment_size: 40
    .language:       OpenCL C
    .language_version:
      - 2
      - 0
    .max_flat_workgroup_size: 512
    .name:           _ZN7rocprim17ROCPRIM_400000_NS6detail17trampoline_kernelINS0_14default_configENS1_25transform_config_selectorIlLb1EEEZNS1_14transform_implILb1ES3_S5_PKlPlNS0_8identityIlEEEE10hipError_tT2_T3_mT4_P12ihipStream_tbEUlT_E_NS1_11comp_targetILNS1_3genE5ELNS1_11target_archE942ELNS1_3gpuE9ELNS1_3repE0EEENS1_30default_config_static_selectorELNS0_4arch9wavefront6targetE0EEEvT1_
    .private_segment_fixed_size: 0
    .sgpr_count:     0
    .sgpr_spill_count: 0
    .symbol:         _ZN7rocprim17ROCPRIM_400000_NS6detail17trampoline_kernelINS0_14default_configENS1_25transform_config_selectorIlLb1EEEZNS1_14transform_implILb1ES3_S5_PKlPlNS0_8identityIlEEEE10hipError_tT2_T3_mT4_P12ihipStream_tbEUlT_E_NS1_11comp_targetILNS1_3genE5ELNS1_11target_archE942ELNS1_3gpuE9ELNS1_3repE0EEENS1_30default_config_static_selectorELNS0_4arch9wavefront6targetE0EEEvT1_.kd
    .uniform_work_group_size: 1
    .uses_dynamic_stack: false
    .vgpr_count:     0
    .vgpr_spill_count: 0
    .wavefront_size: 32
  - .args:
      - .offset:         0
        .size:           40
        .value_kind:     by_value
    .group_segment_fixed_size: 0
    .kernarg_segment_align: 8
    .kernarg_segment_size: 40
    .language:       OpenCL C
    .language_version:
      - 2
      - 0
    .max_flat_workgroup_size: 1024
    .name:           _ZN7rocprim17ROCPRIM_400000_NS6detail17trampoline_kernelINS0_14default_configENS1_25transform_config_selectorIlLb1EEEZNS1_14transform_implILb1ES3_S5_PKlPlNS0_8identityIlEEEE10hipError_tT2_T3_mT4_P12ihipStream_tbEUlT_E_NS1_11comp_targetILNS1_3genE4ELNS1_11target_archE910ELNS1_3gpuE8ELNS1_3repE0EEENS1_30default_config_static_selectorELNS0_4arch9wavefront6targetE0EEEvT1_
    .private_segment_fixed_size: 0
    .sgpr_count:     0
    .sgpr_spill_count: 0
    .symbol:         _ZN7rocprim17ROCPRIM_400000_NS6detail17trampoline_kernelINS0_14default_configENS1_25transform_config_selectorIlLb1EEEZNS1_14transform_implILb1ES3_S5_PKlPlNS0_8identityIlEEEE10hipError_tT2_T3_mT4_P12ihipStream_tbEUlT_E_NS1_11comp_targetILNS1_3genE4ELNS1_11target_archE910ELNS1_3gpuE8ELNS1_3repE0EEENS1_30default_config_static_selectorELNS0_4arch9wavefront6targetE0EEEvT1_.kd
    .uniform_work_group_size: 1
    .uses_dynamic_stack: false
    .vgpr_count:     0
    .vgpr_spill_count: 0
    .wavefront_size: 32
  - .args:
      - .offset:         0
        .size:           40
        .value_kind:     by_value
    .group_segment_fixed_size: 0
    .kernarg_segment_align: 8
    .kernarg_segment_size: 40
    .language:       OpenCL C
    .language_version:
      - 2
      - 0
    .max_flat_workgroup_size: 128
    .name:           _ZN7rocprim17ROCPRIM_400000_NS6detail17trampoline_kernelINS0_14default_configENS1_25transform_config_selectorIlLb1EEEZNS1_14transform_implILb1ES3_S5_PKlPlNS0_8identityIlEEEE10hipError_tT2_T3_mT4_P12ihipStream_tbEUlT_E_NS1_11comp_targetILNS1_3genE3ELNS1_11target_archE908ELNS1_3gpuE7ELNS1_3repE0EEENS1_30default_config_static_selectorELNS0_4arch9wavefront6targetE0EEEvT1_
    .private_segment_fixed_size: 0
    .sgpr_count:     0
    .sgpr_spill_count: 0
    .symbol:         _ZN7rocprim17ROCPRIM_400000_NS6detail17trampoline_kernelINS0_14default_configENS1_25transform_config_selectorIlLb1EEEZNS1_14transform_implILb1ES3_S5_PKlPlNS0_8identityIlEEEE10hipError_tT2_T3_mT4_P12ihipStream_tbEUlT_E_NS1_11comp_targetILNS1_3genE3ELNS1_11target_archE908ELNS1_3gpuE7ELNS1_3repE0EEENS1_30default_config_static_selectorELNS0_4arch9wavefront6targetE0EEEvT1_.kd
    .uniform_work_group_size: 1
    .uses_dynamic_stack: false
    .vgpr_count:     0
    .vgpr_spill_count: 0
    .wavefront_size: 32
  - .args:
      - .offset:         0
        .size:           40
        .value_kind:     by_value
    .group_segment_fixed_size: 0
    .kernarg_segment_align: 8
    .kernarg_segment_size: 40
    .language:       OpenCL C
    .language_version:
      - 2
      - 0
    .max_flat_workgroup_size: 512
    .name:           _ZN7rocprim17ROCPRIM_400000_NS6detail17trampoline_kernelINS0_14default_configENS1_25transform_config_selectorIlLb1EEEZNS1_14transform_implILb1ES3_S5_PKlPlNS0_8identityIlEEEE10hipError_tT2_T3_mT4_P12ihipStream_tbEUlT_E_NS1_11comp_targetILNS1_3genE2ELNS1_11target_archE906ELNS1_3gpuE6ELNS1_3repE0EEENS1_30default_config_static_selectorELNS0_4arch9wavefront6targetE0EEEvT1_
    .private_segment_fixed_size: 0
    .sgpr_count:     0
    .sgpr_spill_count: 0
    .symbol:         _ZN7rocprim17ROCPRIM_400000_NS6detail17trampoline_kernelINS0_14default_configENS1_25transform_config_selectorIlLb1EEEZNS1_14transform_implILb1ES3_S5_PKlPlNS0_8identityIlEEEE10hipError_tT2_T3_mT4_P12ihipStream_tbEUlT_E_NS1_11comp_targetILNS1_3genE2ELNS1_11target_archE906ELNS1_3gpuE6ELNS1_3repE0EEENS1_30default_config_static_selectorELNS0_4arch9wavefront6targetE0EEEvT1_.kd
    .uniform_work_group_size: 1
    .uses_dynamic_stack: false
    .vgpr_count:     0
    .vgpr_spill_count: 0
    .wavefront_size: 32
  - .args:
      - .offset:         0
        .size:           40
        .value_kind:     by_value
    .group_segment_fixed_size: 0
    .kernarg_segment_align: 8
    .kernarg_segment_size: 40
    .language:       OpenCL C
    .language_version:
      - 2
      - 0
    .max_flat_workgroup_size: 1024
    .name:           _ZN7rocprim17ROCPRIM_400000_NS6detail17trampoline_kernelINS0_14default_configENS1_25transform_config_selectorIlLb1EEEZNS1_14transform_implILb1ES3_S5_PKlPlNS0_8identityIlEEEE10hipError_tT2_T3_mT4_P12ihipStream_tbEUlT_E_NS1_11comp_targetILNS1_3genE9ELNS1_11target_archE1100ELNS1_3gpuE3ELNS1_3repE0EEENS1_30default_config_static_selectorELNS0_4arch9wavefront6targetE0EEEvT1_
    .private_segment_fixed_size: 0
    .sgpr_count:     0
    .sgpr_spill_count: 0
    .symbol:         _ZN7rocprim17ROCPRIM_400000_NS6detail17trampoline_kernelINS0_14default_configENS1_25transform_config_selectorIlLb1EEEZNS1_14transform_implILb1ES3_S5_PKlPlNS0_8identityIlEEEE10hipError_tT2_T3_mT4_P12ihipStream_tbEUlT_E_NS1_11comp_targetILNS1_3genE9ELNS1_11target_archE1100ELNS1_3gpuE3ELNS1_3repE0EEENS1_30default_config_static_selectorELNS0_4arch9wavefront6targetE0EEEvT1_.kd
    .uniform_work_group_size: 1
    .uses_dynamic_stack: false
    .vgpr_count:     0
    .vgpr_spill_count: 0
    .wavefront_size: 32
  - .args:
      - .offset:         0
        .size:           40
        .value_kind:     by_value
    .group_segment_fixed_size: 0
    .kernarg_segment_align: 8
    .kernarg_segment_size: 40
    .language:       OpenCL C
    .language_version:
      - 2
      - 0
    .max_flat_workgroup_size: 1024
    .name:           _ZN7rocprim17ROCPRIM_400000_NS6detail17trampoline_kernelINS0_14default_configENS1_25transform_config_selectorIlLb1EEEZNS1_14transform_implILb1ES3_S5_PKlPlNS0_8identityIlEEEE10hipError_tT2_T3_mT4_P12ihipStream_tbEUlT_E_NS1_11comp_targetILNS1_3genE8ELNS1_11target_archE1030ELNS1_3gpuE2ELNS1_3repE0EEENS1_30default_config_static_selectorELNS0_4arch9wavefront6targetE0EEEvT1_
    .private_segment_fixed_size: 0
    .sgpr_count:     0
    .sgpr_spill_count: 0
    .symbol:         _ZN7rocprim17ROCPRIM_400000_NS6detail17trampoline_kernelINS0_14default_configENS1_25transform_config_selectorIlLb1EEEZNS1_14transform_implILb1ES3_S5_PKlPlNS0_8identityIlEEEE10hipError_tT2_T3_mT4_P12ihipStream_tbEUlT_E_NS1_11comp_targetILNS1_3genE8ELNS1_11target_archE1030ELNS1_3gpuE2ELNS1_3repE0EEENS1_30default_config_static_selectorELNS0_4arch9wavefront6targetE0EEEvT1_.kd
    .uniform_work_group_size: 1
    .uses_dynamic_stack: false
    .vgpr_count:     0
    .vgpr_spill_count: 0
    .wavefront_size: 32
  - .args:
      - .offset:         0
        .size:           88
        .value_kind:     by_value
      - .offset:         88
        .size:           4
        .value_kind:     hidden_block_count_x
      - .offset:         92
        .size:           4
        .value_kind:     hidden_block_count_y
      - .offset:         96
        .size:           4
        .value_kind:     hidden_block_count_z
      - .offset:         100
        .size:           2
        .value_kind:     hidden_group_size_x
      - .offset:         102
        .size:           2
        .value_kind:     hidden_group_size_y
      - .offset:         104
        .size:           2
        .value_kind:     hidden_group_size_z
      - .offset:         106
        .size:           2
        .value_kind:     hidden_remainder_x
      - .offset:         108
        .size:           2
        .value_kind:     hidden_remainder_y
      - .offset:         110
        .size:           2
        .value_kind:     hidden_remainder_z
      - .offset:         128
        .size:           8
        .value_kind:     hidden_global_offset_x
      - .offset:         136
        .size:           8
        .value_kind:     hidden_global_offset_y
      - .offset:         144
        .size:           8
        .value_kind:     hidden_global_offset_z
      - .offset:         152
        .size:           2
        .value_kind:     hidden_grid_dims
    .group_segment_fixed_size: 18504
    .kernarg_segment_align: 8
    .kernarg_segment_size: 344
    .language:       OpenCL C
    .language_version:
      - 2
      - 0
    .max_flat_workgroup_size: 512
    .name:           _ZN7rocprim17ROCPRIM_400000_NS6detail17trampoline_kernelINS0_14default_configENS1_35radix_sort_onesweep_config_selectorIlNS0_10empty_typeEEEZZNS1_29radix_sort_onesweep_iterationIS3_Lb1EPKlPlPS5_SB_mNS0_19identity_decomposerENS1_16block_id_wrapperIjLb1EEEEE10hipError_tT1_PNSt15iterator_traitsISG_E10value_typeET2_T3_PNSH_ISM_E10value_typeET4_T5_PSR_SS_PNS1_23onesweep_lookback_stateEbbT6_jjT7_P12ihipStream_tbENKUlT_T0_SG_SL_E_clIS9_SA_SB_SB_EEDaSZ_S10_SG_SL_EUlSZ_E_NS1_11comp_targetILNS1_3genE0ELNS1_11target_archE4294967295ELNS1_3gpuE0ELNS1_3repE0EEENS1_47radix_sort_onesweep_sort_config_static_selectorELNS0_4arch9wavefront6targetE0EEEvSG_
    .private_segment_fixed_size: 0
    .sgpr_count:     30
    .sgpr_spill_count: 0
    .symbol:         _ZN7rocprim17ROCPRIM_400000_NS6detail17trampoline_kernelINS0_14default_configENS1_35radix_sort_onesweep_config_selectorIlNS0_10empty_typeEEEZZNS1_29radix_sort_onesweep_iterationIS3_Lb1EPKlPlPS5_SB_mNS0_19identity_decomposerENS1_16block_id_wrapperIjLb1EEEEE10hipError_tT1_PNSt15iterator_traitsISG_E10value_typeET2_T3_PNSH_ISM_E10value_typeET4_T5_PSR_SS_PNS1_23onesweep_lookback_stateEbbT6_jjT7_P12ihipStream_tbENKUlT_T0_SG_SL_E_clIS9_SA_SB_SB_EEDaSZ_S10_SG_SL_EUlSZ_E_NS1_11comp_targetILNS1_3genE0ELNS1_11target_archE4294967295ELNS1_3gpuE0ELNS1_3repE0EEENS1_47radix_sort_onesweep_sort_config_static_selectorELNS0_4arch9wavefront6targetE0EEEvSG_.kd
    .uniform_work_group_size: 1
    .uses_dynamic_stack: false
    .vgpr_count:     57
    .vgpr_spill_count: 0
    .wavefront_size: 32
  - .args:
      - .offset:         0
        .size:           88
        .value_kind:     by_value
    .group_segment_fixed_size: 0
    .kernarg_segment_align: 8
    .kernarg_segment_size: 88
    .language:       OpenCL C
    .language_version:
      - 2
      - 0
    .max_flat_workgroup_size: 512
    .name:           _ZN7rocprim17ROCPRIM_400000_NS6detail17trampoline_kernelINS0_14default_configENS1_35radix_sort_onesweep_config_selectorIlNS0_10empty_typeEEEZZNS1_29radix_sort_onesweep_iterationIS3_Lb1EPKlPlPS5_SB_mNS0_19identity_decomposerENS1_16block_id_wrapperIjLb1EEEEE10hipError_tT1_PNSt15iterator_traitsISG_E10value_typeET2_T3_PNSH_ISM_E10value_typeET4_T5_PSR_SS_PNS1_23onesweep_lookback_stateEbbT6_jjT7_P12ihipStream_tbENKUlT_T0_SG_SL_E_clIS9_SA_SB_SB_EEDaSZ_S10_SG_SL_EUlSZ_E_NS1_11comp_targetILNS1_3genE6ELNS1_11target_archE950ELNS1_3gpuE13ELNS1_3repE0EEENS1_47radix_sort_onesweep_sort_config_static_selectorELNS0_4arch9wavefront6targetE0EEEvSG_
    .private_segment_fixed_size: 0
    .sgpr_count:     0
    .sgpr_spill_count: 0
    .symbol:         _ZN7rocprim17ROCPRIM_400000_NS6detail17trampoline_kernelINS0_14default_configENS1_35radix_sort_onesweep_config_selectorIlNS0_10empty_typeEEEZZNS1_29radix_sort_onesweep_iterationIS3_Lb1EPKlPlPS5_SB_mNS0_19identity_decomposerENS1_16block_id_wrapperIjLb1EEEEE10hipError_tT1_PNSt15iterator_traitsISG_E10value_typeET2_T3_PNSH_ISM_E10value_typeET4_T5_PSR_SS_PNS1_23onesweep_lookback_stateEbbT6_jjT7_P12ihipStream_tbENKUlT_T0_SG_SL_E_clIS9_SA_SB_SB_EEDaSZ_S10_SG_SL_EUlSZ_E_NS1_11comp_targetILNS1_3genE6ELNS1_11target_archE950ELNS1_3gpuE13ELNS1_3repE0EEENS1_47radix_sort_onesweep_sort_config_static_selectorELNS0_4arch9wavefront6targetE0EEEvSG_.kd
    .uniform_work_group_size: 1
    .uses_dynamic_stack: false
    .vgpr_count:     0
    .vgpr_spill_count: 0
    .wavefront_size: 32
  - .args:
      - .offset:         0
        .size:           88
        .value_kind:     by_value
    .group_segment_fixed_size: 0
    .kernarg_segment_align: 8
    .kernarg_segment_size: 88
    .language:       OpenCL C
    .language_version:
      - 2
      - 0
    .max_flat_workgroup_size: 512
    .name:           _ZN7rocprim17ROCPRIM_400000_NS6detail17trampoline_kernelINS0_14default_configENS1_35radix_sort_onesweep_config_selectorIlNS0_10empty_typeEEEZZNS1_29radix_sort_onesweep_iterationIS3_Lb1EPKlPlPS5_SB_mNS0_19identity_decomposerENS1_16block_id_wrapperIjLb1EEEEE10hipError_tT1_PNSt15iterator_traitsISG_E10value_typeET2_T3_PNSH_ISM_E10value_typeET4_T5_PSR_SS_PNS1_23onesweep_lookback_stateEbbT6_jjT7_P12ihipStream_tbENKUlT_T0_SG_SL_E_clIS9_SA_SB_SB_EEDaSZ_S10_SG_SL_EUlSZ_E_NS1_11comp_targetILNS1_3genE5ELNS1_11target_archE942ELNS1_3gpuE9ELNS1_3repE0EEENS1_47radix_sort_onesweep_sort_config_static_selectorELNS0_4arch9wavefront6targetE0EEEvSG_
    .private_segment_fixed_size: 0
    .sgpr_count:     0
    .sgpr_spill_count: 0
    .symbol:         _ZN7rocprim17ROCPRIM_400000_NS6detail17trampoline_kernelINS0_14default_configENS1_35radix_sort_onesweep_config_selectorIlNS0_10empty_typeEEEZZNS1_29radix_sort_onesweep_iterationIS3_Lb1EPKlPlPS5_SB_mNS0_19identity_decomposerENS1_16block_id_wrapperIjLb1EEEEE10hipError_tT1_PNSt15iterator_traitsISG_E10value_typeET2_T3_PNSH_ISM_E10value_typeET4_T5_PSR_SS_PNS1_23onesweep_lookback_stateEbbT6_jjT7_P12ihipStream_tbENKUlT_T0_SG_SL_E_clIS9_SA_SB_SB_EEDaSZ_S10_SG_SL_EUlSZ_E_NS1_11comp_targetILNS1_3genE5ELNS1_11target_archE942ELNS1_3gpuE9ELNS1_3repE0EEENS1_47radix_sort_onesweep_sort_config_static_selectorELNS0_4arch9wavefront6targetE0EEEvSG_.kd
    .uniform_work_group_size: 1
    .uses_dynamic_stack: false
    .vgpr_count:     0
    .vgpr_spill_count: 0
    .wavefront_size: 32
  - .args:
      - .offset:         0
        .size:           88
        .value_kind:     by_value
    .group_segment_fixed_size: 0
    .kernarg_segment_align: 8
    .kernarg_segment_size: 88
    .language:       OpenCL C
    .language_version:
      - 2
      - 0
    .max_flat_workgroup_size: 512
    .name:           _ZN7rocprim17ROCPRIM_400000_NS6detail17trampoline_kernelINS0_14default_configENS1_35radix_sort_onesweep_config_selectorIlNS0_10empty_typeEEEZZNS1_29radix_sort_onesweep_iterationIS3_Lb1EPKlPlPS5_SB_mNS0_19identity_decomposerENS1_16block_id_wrapperIjLb1EEEEE10hipError_tT1_PNSt15iterator_traitsISG_E10value_typeET2_T3_PNSH_ISM_E10value_typeET4_T5_PSR_SS_PNS1_23onesweep_lookback_stateEbbT6_jjT7_P12ihipStream_tbENKUlT_T0_SG_SL_E_clIS9_SA_SB_SB_EEDaSZ_S10_SG_SL_EUlSZ_E_NS1_11comp_targetILNS1_3genE2ELNS1_11target_archE906ELNS1_3gpuE6ELNS1_3repE0EEENS1_47radix_sort_onesweep_sort_config_static_selectorELNS0_4arch9wavefront6targetE0EEEvSG_
    .private_segment_fixed_size: 0
    .sgpr_count:     0
    .sgpr_spill_count: 0
    .symbol:         _ZN7rocprim17ROCPRIM_400000_NS6detail17trampoline_kernelINS0_14default_configENS1_35radix_sort_onesweep_config_selectorIlNS0_10empty_typeEEEZZNS1_29radix_sort_onesweep_iterationIS3_Lb1EPKlPlPS5_SB_mNS0_19identity_decomposerENS1_16block_id_wrapperIjLb1EEEEE10hipError_tT1_PNSt15iterator_traitsISG_E10value_typeET2_T3_PNSH_ISM_E10value_typeET4_T5_PSR_SS_PNS1_23onesweep_lookback_stateEbbT6_jjT7_P12ihipStream_tbENKUlT_T0_SG_SL_E_clIS9_SA_SB_SB_EEDaSZ_S10_SG_SL_EUlSZ_E_NS1_11comp_targetILNS1_3genE2ELNS1_11target_archE906ELNS1_3gpuE6ELNS1_3repE0EEENS1_47radix_sort_onesweep_sort_config_static_selectorELNS0_4arch9wavefront6targetE0EEEvSG_.kd
    .uniform_work_group_size: 1
    .uses_dynamic_stack: false
    .vgpr_count:     0
    .vgpr_spill_count: 0
    .wavefront_size: 32
  - .args:
      - .offset:         0
        .size:           88
        .value_kind:     by_value
    .group_segment_fixed_size: 0
    .kernarg_segment_align: 8
    .kernarg_segment_size: 88
    .language:       OpenCL C
    .language_version:
      - 2
      - 0
    .max_flat_workgroup_size: 1024
    .name:           _ZN7rocprim17ROCPRIM_400000_NS6detail17trampoline_kernelINS0_14default_configENS1_35radix_sort_onesweep_config_selectorIlNS0_10empty_typeEEEZZNS1_29radix_sort_onesweep_iterationIS3_Lb1EPKlPlPS5_SB_mNS0_19identity_decomposerENS1_16block_id_wrapperIjLb1EEEEE10hipError_tT1_PNSt15iterator_traitsISG_E10value_typeET2_T3_PNSH_ISM_E10value_typeET4_T5_PSR_SS_PNS1_23onesweep_lookback_stateEbbT6_jjT7_P12ihipStream_tbENKUlT_T0_SG_SL_E_clIS9_SA_SB_SB_EEDaSZ_S10_SG_SL_EUlSZ_E_NS1_11comp_targetILNS1_3genE4ELNS1_11target_archE910ELNS1_3gpuE8ELNS1_3repE0EEENS1_47radix_sort_onesweep_sort_config_static_selectorELNS0_4arch9wavefront6targetE0EEEvSG_
    .private_segment_fixed_size: 0
    .sgpr_count:     0
    .sgpr_spill_count: 0
    .symbol:         _ZN7rocprim17ROCPRIM_400000_NS6detail17trampoline_kernelINS0_14default_configENS1_35radix_sort_onesweep_config_selectorIlNS0_10empty_typeEEEZZNS1_29radix_sort_onesweep_iterationIS3_Lb1EPKlPlPS5_SB_mNS0_19identity_decomposerENS1_16block_id_wrapperIjLb1EEEEE10hipError_tT1_PNSt15iterator_traitsISG_E10value_typeET2_T3_PNSH_ISM_E10value_typeET4_T5_PSR_SS_PNS1_23onesweep_lookback_stateEbbT6_jjT7_P12ihipStream_tbENKUlT_T0_SG_SL_E_clIS9_SA_SB_SB_EEDaSZ_S10_SG_SL_EUlSZ_E_NS1_11comp_targetILNS1_3genE4ELNS1_11target_archE910ELNS1_3gpuE8ELNS1_3repE0EEENS1_47radix_sort_onesweep_sort_config_static_selectorELNS0_4arch9wavefront6targetE0EEEvSG_.kd
    .uniform_work_group_size: 1
    .uses_dynamic_stack: false
    .vgpr_count:     0
    .vgpr_spill_count: 0
    .wavefront_size: 32
  - .args:
      - .offset:         0
        .size:           88
        .value_kind:     by_value
    .group_segment_fixed_size: 0
    .kernarg_segment_align: 8
    .kernarg_segment_size: 88
    .language:       OpenCL C
    .language_version:
      - 2
      - 0
    .max_flat_workgroup_size: 512
    .name:           _ZN7rocprim17ROCPRIM_400000_NS6detail17trampoline_kernelINS0_14default_configENS1_35radix_sort_onesweep_config_selectorIlNS0_10empty_typeEEEZZNS1_29radix_sort_onesweep_iterationIS3_Lb1EPKlPlPS5_SB_mNS0_19identity_decomposerENS1_16block_id_wrapperIjLb1EEEEE10hipError_tT1_PNSt15iterator_traitsISG_E10value_typeET2_T3_PNSH_ISM_E10value_typeET4_T5_PSR_SS_PNS1_23onesweep_lookback_stateEbbT6_jjT7_P12ihipStream_tbENKUlT_T0_SG_SL_E_clIS9_SA_SB_SB_EEDaSZ_S10_SG_SL_EUlSZ_E_NS1_11comp_targetILNS1_3genE3ELNS1_11target_archE908ELNS1_3gpuE7ELNS1_3repE0EEENS1_47radix_sort_onesweep_sort_config_static_selectorELNS0_4arch9wavefront6targetE0EEEvSG_
    .private_segment_fixed_size: 0
    .sgpr_count:     0
    .sgpr_spill_count: 0
    .symbol:         _ZN7rocprim17ROCPRIM_400000_NS6detail17trampoline_kernelINS0_14default_configENS1_35radix_sort_onesweep_config_selectorIlNS0_10empty_typeEEEZZNS1_29radix_sort_onesweep_iterationIS3_Lb1EPKlPlPS5_SB_mNS0_19identity_decomposerENS1_16block_id_wrapperIjLb1EEEEE10hipError_tT1_PNSt15iterator_traitsISG_E10value_typeET2_T3_PNSH_ISM_E10value_typeET4_T5_PSR_SS_PNS1_23onesweep_lookback_stateEbbT6_jjT7_P12ihipStream_tbENKUlT_T0_SG_SL_E_clIS9_SA_SB_SB_EEDaSZ_S10_SG_SL_EUlSZ_E_NS1_11comp_targetILNS1_3genE3ELNS1_11target_archE908ELNS1_3gpuE7ELNS1_3repE0EEENS1_47radix_sort_onesweep_sort_config_static_selectorELNS0_4arch9wavefront6targetE0EEEvSG_.kd
    .uniform_work_group_size: 1
    .uses_dynamic_stack: false
    .vgpr_count:     0
    .vgpr_spill_count: 0
    .wavefront_size: 32
  - .args:
      - .offset:         0
        .size:           88
        .value_kind:     by_value
    .group_segment_fixed_size: 0
    .kernarg_segment_align: 8
    .kernarg_segment_size: 88
    .language:       OpenCL C
    .language_version:
      - 2
      - 0
    .max_flat_workgroup_size: 512
    .name:           _ZN7rocprim17ROCPRIM_400000_NS6detail17trampoline_kernelINS0_14default_configENS1_35radix_sort_onesweep_config_selectorIlNS0_10empty_typeEEEZZNS1_29radix_sort_onesweep_iterationIS3_Lb1EPKlPlPS5_SB_mNS0_19identity_decomposerENS1_16block_id_wrapperIjLb1EEEEE10hipError_tT1_PNSt15iterator_traitsISG_E10value_typeET2_T3_PNSH_ISM_E10value_typeET4_T5_PSR_SS_PNS1_23onesweep_lookback_stateEbbT6_jjT7_P12ihipStream_tbENKUlT_T0_SG_SL_E_clIS9_SA_SB_SB_EEDaSZ_S10_SG_SL_EUlSZ_E_NS1_11comp_targetILNS1_3genE10ELNS1_11target_archE1201ELNS1_3gpuE5ELNS1_3repE0EEENS1_47radix_sort_onesweep_sort_config_static_selectorELNS0_4arch9wavefront6targetE0EEEvSG_
    .private_segment_fixed_size: 0
    .sgpr_count:     0
    .sgpr_spill_count: 0
    .symbol:         _ZN7rocprim17ROCPRIM_400000_NS6detail17trampoline_kernelINS0_14default_configENS1_35radix_sort_onesweep_config_selectorIlNS0_10empty_typeEEEZZNS1_29radix_sort_onesweep_iterationIS3_Lb1EPKlPlPS5_SB_mNS0_19identity_decomposerENS1_16block_id_wrapperIjLb1EEEEE10hipError_tT1_PNSt15iterator_traitsISG_E10value_typeET2_T3_PNSH_ISM_E10value_typeET4_T5_PSR_SS_PNS1_23onesweep_lookback_stateEbbT6_jjT7_P12ihipStream_tbENKUlT_T0_SG_SL_E_clIS9_SA_SB_SB_EEDaSZ_S10_SG_SL_EUlSZ_E_NS1_11comp_targetILNS1_3genE10ELNS1_11target_archE1201ELNS1_3gpuE5ELNS1_3repE0EEENS1_47radix_sort_onesweep_sort_config_static_selectorELNS0_4arch9wavefront6targetE0EEEvSG_.kd
    .uniform_work_group_size: 1
    .uses_dynamic_stack: false
    .vgpr_count:     0
    .vgpr_spill_count: 0
    .wavefront_size: 32
  - .args:
      - .offset:         0
        .size:           88
        .value_kind:     by_value
    .group_segment_fixed_size: 0
    .kernarg_segment_align: 8
    .kernarg_segment_size: 88
    .language:       OpenCL C
    .language_version:
      - 2
      - 0
    .max_flat_workgroup_size: 1024
    .name:           _ZN7rocprim17ROCPRIM_400000_NS6detail17trampoline_kernelINS0_14default_configENS1_35radix_sort_onesweep_config_selectorIlNS0_10empty_typeEEEZZNS1_29radix_sort_onesweep_iterationIS3_Lb1EPKlPlPS5_SB_mNS0_19identity_decomposerENS1_16block_id_wrapperIjLb1EEEEE10hipError_tT1_PNSt15iterator_traitsISG_E10value_typeET2_T3_PNSH_ISM_E10value_typeET4_T5_PSR_SS_PNS1_23onesweep_lookback_stateEbbT6_jjT7_P12ihipStream_tbENKUlT_T0_SG_SL_E_clIS9_SA_SB_SB_EEDaSZ_S10_SG_SL_EUlSZ_E_NS1_11comp_targetILNS1_3genE9ELNS1_11target_archE1100ELNS1_3gpuE3ELNS1_3repE0EEENS1_47radix_sort_onesweep_sort_config_static_selectorELNS0_4arch9wavefront6targetE0EEEvSG_
    .private_segment_fixed_size: 0
    .sgpr_count:     0
    .sgpr_spill_count: 0
    .symbol:         _ZN7rocprim17ROCPRIM_400000_NS6detail17trampoline_kernelINS0_14default_configENS1_35radix_sort_onesweep_config_selectorIlNS0_10empty_typeEEEZZNS1_29radix_sort_onesweep_iterationIS3_Lb1EPKlPlPS5_SB_mNS0_19identity_decomposerENS1_16block_id_wrapperIjLb1EEEEE10hipError_tT1_PNSt15iterator_traitsISG_E10value_typeET2_T3_PNSH_ISM_E10value_typeET4_T5_PSR_SS_PNS1_23onesweep_lookback_stateEbbT6_jjT7_P12ihipStream_tbENKUlT_T0_SG_SL_E_clIS9_SA_SB_SB_EEDaSZ_S10_SG_SL_EUlSZ_E_NS1_11comp_targetILNS1_3genE9ELNS1_11target_archE1100ELNS1_3gpuE3ELNS1_3repE0EEENS1_47radix_sort_onesweep_sort_config_static_selectorELNS0_4arch9wavefront6targetE0EEEvSG_.kd
    .uniform_work_group_size: 1
    .uses_dynamic_stack: false
    .vgpr_count:     0
    .vgpr_spill_count: 0
    .wavefront_size: 32
  - .args:
      - .offset:         0
        .size:           88
        .value_kind:     by_value
    .group_segment_fixed_size: 0
    .kernarg_segment_align: 8
    .kernarg_segment_size: 88
    .language:       OpenCL C
    .language_version:
      - 2
      - 0
    .max_flat_workgroup_size: 1024
    .name:           _ZN7rocprim17ROCPRIM_400000_NS6detail17trampoline_kernelINS0_14default_configENS1_35radix_sort_onesweep_config_selectorIlNS0_10empty_typeEEEZZNS1_29radix_sort_onesweep_iterationIS3_Lb1EPKlPlPS5_SB_mNS0_19identity_decomposerENS1_16block_id_wrapperIjLb1EEEEE10hipError_tT1_PNSt15iterator_traitsISG_E10value_typeET2_T3_PNSH_ISM_E10value_typeET4_T5_PSR_SS_PNS1_23onesweep_lookback_stateEbbT6_jjT7_P12ihipStream_tbENKUlT_T0_SG_SL_E_clIS9_SA_SB_SB_EEDaSZ_S10_SG_SL_EUlSZ_E_NS1_11comp_targetILNS1_3genE8ELNS1_11target_archE1030ELNS1_3gpuE2ELNS1_3repE0EEENS1_47radix_sort_onesweep_sort_config_static_selectorELNS0_4arch9wavefront6targetE0EEEvSG_
    .private_segment_fixed_size: 0
    .sgpr_count:     0
    .sgpr_spill_count: 0
    .symbol:         _ZN7rocprim17ROCPRIM_400000_NS6detail17trampoline_kernelINS0_14default_configENS1_35radix_sort_onesweep_config_selectorIlNS0_10empty_typeEEEZZNS1_29radix_sort_onesweep_iterationIS3_Lb1EPKlPlPS5_SB_mNS0_19identity_decomposerENS1_16block_id_wrapperIjLb1EEEEE10hipError_tT1_PNSt15iterator_traitsISG_E10value_typeET2_T3_PNSH_ISM_E10value_typeET4_T5_PSR_SS_PNS1_23onesweep_lookback_stateEbbT6_jjT7_P12ihipStream_tbENKUlT_T0_SG_SL_E_clIS9_SA_SB_SB_EEDaSZ_S10_SG_SL_EUlSZ_E_NS1_11comp_targetILNS1_3genE8ELNS1_11target_archE1030ELNS1_3gpuE2ELNS1_3repE0EEENS1_47radix_sort_onesweep_sort_config_static_selectorELNS0_4arch9wavefront6targetE0EEEvSG_.kd
    .uniform_work_group_size: 1
    .uses_dynamic_stack: false
    .vgpr_count:     0
    .vgpr_spill_count: 0
    .wavefront_size: 32
  - .args:
      - .offset:         0
        .size:           88
        .value_kind:     by_value
      - .offset:         88
        .size:           4
        .value_kind:     hidden_block_count_x
      - .offset:         92
        .size:           4
        .value_kind:     hidden_block_count_y
      - .offset:         96
        .size:           4
        .value_kind:     hidden_block_count_z
      - .offset:         100
        .size:           2
        .value_kind:     hidden_group_size_x
      - .offset:         102
        .size:           2
        .value_kind:     hidden_group_size_y
      - .offset:         104
        .size:           2
        .value_kind:     hidden_group_size_z
      - .offset:         106
        .size:           2
        .value_kind:     hidden_remainder_x
      - .offset:         108
        .size:           2
        .value_kind:     hidden_remainder_y
      - .offset:         110
        .size:           2
        .value_kind:     hidden_remainder_z
      - .offset:         128
        .size:           8
        .value_kind:     hidden_global_offset_x
      - .offset:         136
        .size:           8
        .value_kind:     hidden_global_offset_y
      - .offset:         144
        .size:           8
        .value_kind:     hidden_global_offset_z
      - .offset:         152
        .size:           2
        .value_kind:     hidden_grid_dims
    .group_segment_fixed_size: 18504
    .kernarg_segment_align: 8
    .kernarg_segment_size: 344
    .language:       OpenCL C
    .language_version:
      - 2
      - 0
    .max_flat_workgroup_size: 512
    .name:           _ZN7rocprim17ROCPRIM_400000_NS6detail17trampoline_kernelINS0_14default_configENS1_35radix_sort_onesweep_config_selectorIlNS0_10empty_typeEEEZZNS1_29radix_sort_onesweep_iterationIS3_Lb1EPKlPlPS5_SB_mNS0_19identity_decomposerENS1_16block_id_wrapperIjLb1EEEEE10hipError_tT1_PNSt15iterator_traitsISG_E10value_typeET2_T3_PNSH_ISM_E10value_typeET4_T5_PSR_SS_PNS1_23onesweep_lookback_stateEbbT6_jjT7_P12ihipStream_tbENKUlT_T0_SG_SL_E_clISA_SA_SB_SB_EEDaSZ_S10_SG_SL_EUlSZ_E_NS1_11comp_targetILNS1_3genE0ELNS1_11target_archE4294967295ELNS1_3gpuE0ELNS1_3repE0EEENS1_47radix_sort_onesweep_sort_config_static_selectorELNS0_4arch9wavefront6targetE0EEEvSG_
    .private_segment_fixed_size: 0
    .sgpr_count:     30
    .sgpr_spill_count: 0
    .symbol:         _ZN7rocprim17ROCPRIM_400000_NS6detail17trampoline_kernelINS0_14default_configENS1_35radix_sort_onesweep_config_selectorIlNS0_10empty_typeEEEZZNS1_29radix_sort_onesweep_iterationIS3_Lb1EPKlPlPS5_SB_mNS0_19identity_decomposerENS1_16block_id_wrapperIjLb1EEEEE10hipError_tT1_PNSt15iterator_traitsISG_E10value_typeET2_T3_PNSH_ISM_E10value_typeET4_T5_PSR_SS_PNS1_23onesweep_lookback_stateEbbT6_jjT7_P12ihipStream_tbENKUlT_T0_SG_SL_E_clISA_SA_SB_SB_EEDaSZ_S10_SG_SL_EUlSZ_E_NS1_11comp_targetILNS1_3genE0ELNS1_11target_archE4294967295ELNS1_3gpuE0ELNS1_3repE0EEENS1_47radix_sort_onesweep_sort_config_static_selectorELNS0_4arch9wavefront6targetE0EEEvSG_.kd
    .uniform_work_group_size: 1
    .uses_dynamic_stack: false
    .vgpr_count:     57
    .vgpr_spill_count: 0
    .wavefront_size: 32
  - .args:
      - .offset:         0
        .size:           88
        .value_kind:     by_value
    .group_segment_fixed_size: 0
    .kernarg_segment_align: 8
    .kernarg_segment_size: 88
    .language:       OpenCL C
    .language_version:
      - 2
      - 0
    .max_flat_workgroup_size: 512
    .name:           _ZN7rocprim17ROCPRIM_400000_NS6detail17trampoline_kernelINS0_14default_configENS1_35radix_sort_onesweep_config_selectorIlNS0_10empty_typeEEEZZNS1_29radix_sort_onesweep_iterationIS3_Lb1EPKlPlPS5_SB_mNS0_19identity_decomposerENS1_16block_id_wrapperIjLb1EEEEE10hipError_tT1_PNSt15iterator_traitsISG_E10value_typeET2_T3_PNSH_ISM_E10value_typeET4_T5_PSR_SS_PNS1_23onesweep_lookback_stateEbbT6_jjT7_P12ihipStream_tbENKUlT_T0_SG_SL_E_clISA_SA_SB_SB_EEDaSZ_S10_SG_SL_EUlSZ_E_NS1_11comp_targetILNS1_3genE6ELNS1_11target_archE950ELNS1_3gpuE13ELNS1_3repE0EEENS1_47radix_sort_onesweep_sort_config_static_selectorELNS0_4arch9wavefront6targetE0EEEvSG_
    .private_segment_fixed_size: 0
    .sgpr_count:     0
    .sgpr_spill_count: 0
    .symbol:         _ZN7rocprim17ROCPRIM_400000_NS6detail17trampoline_kernelINS0_14default_configENS1_35radix_sort_onesweep_config_selectorIlNS0_10empty_typeEEEZZNS1_29radix_sort_onesweep_iterationIS3_Lb1EPKlPlPS5_SB_mNS0_19identity_decomposerENS1_16block_id_wrapperIjLb1EEEEE10hipError_tT1_PNSt15iterator_traitsISG_E10value_typeET2_T3_PNSH_ISM_E10value_typeET4_T5_PSR_SS_PNS1_23onesweep_lookback_stateEbbT6_jjT7_P12ihipStream_tbENKUlT_T0_SG_SL_E_clISA_SA_SB_SB_EEDaSZ_S10_SG_SL_EUlSZ_E_NS1_11comp_targetILNS1_3genE6ELNS1_11target_archE950ELNS1_3gpuE13ELNS1_3repE0EEENS1_47radix_sort_onesweep_sort_config_static_selectorELNS0_4arch9wavefront6targetE0EEEvSG_.kd
    .uniform_work_group_size: 1
    .uses_dynamic_stack: false
    .vgpr_count:     0
    .vgpr_spill_count: 0
    .wavefront_size: 32
  - .args:
      - .offset:         0
        .size:           88
        .value_kind:     by_value
    .group_segment_fixed_size: 0
    .kernarg_segment_align: 8
    .kernarg_segment_size: 88
    .language:       OpenCL C
    .language_version:
      - 2
      - 0
    .max_flat_workgroup_size: 512
    .name:           _ZN7rocprim17ROCPRIM_400000_NS6detail17trampoline_kernelINS0_14default_configENS1_35radix_sort_onesweep_config_selectorIlNS0_10empty_typeEEEZZNS1_29radix_sort_onesweep_iterationIS3_Lb1EPKlPlPS5_SB_mNS0_19identity_decomposerENS1_16block_id_wrapperIjLb1EEEEE10hipError_tT1_PNSt15iterator_traitsISG_E10value_typeET2_T3_PNSH_ISM_E10value_typeET4_T5_PSR_SS_PNS1_23onesweep_lookback_stateEbbT6_jjT7_P12ihipStream_tbENKUlT_T0_SG_SL_E_clISA_SA_SB_SB_EEDaSZ_S10_SG_SL_EUlSZ_E_NS1_11comp_targetILNS1_3genE5ELNS1_11target_archE942ELNS1_3gpuE9ELNS1_3repE0EEENS1_47radix_sort_onesweep_sort_config_static_selectorELNS0_4arch9wavefront6targetE0EEEvSG_
    .private_segment_fixed_size: 0
    .sgpr_count:     0
    .sgpr_spill_count: 0
    .symbol:         _ZN7rocprim17ROCPRIM_400000_NS6detail17trampoline_kernelINS0_14default_configENS1_35radix_sort_onesweep_config_selectorIlNS0_10empty_typeEEEZZNS1_29radix_sort_onesweep_iterationIS3_Lb1EPKlPlPS5_SB_mNS0_19identity_decomposerENS1_16block_id_wrapperIjLb1EEEEE10hipError_tT1_PNSt15iterator_traitsISG_E10value_typeET2_T3_PNSH_ISM_E10value_typeET4_T5_PSR_SS_PNS1_23onesweep_lookback_stateEbbT6_jjT7_P12ihipStream_tbENKUlT_T0_SG_SL_E_clISA_SA_SB_SB_EEDaSZ_S10_SG_SL_EUlSZ_E_NS1_11comp_targetILNS1_3genE5ELNS1_11target_archE942ELNS1_3gpuE9ELNS1_3repE0EEENS1_47radix_sort_onesweep_sort_config_static_selectorELNS0_4arch9wavefront6targetE0EEEvSG_.kd
    .uniform_work_group_size: 1
    .uses_dynamic_stack: false
    .vgpr_count:     0
    .vgpr_spill_count: 0
    .wavefront_size: 32
  - .args:
      - .offset:         0
        .size:           88
        .value_kind:     by_value
    .group_segment_fixed_size: 0
    .kernarg_segment_align: 8
    .kernarg_segment_size: 88
    .language:       OpenCL C
    .language_version:
      - 2
      - 0
    .max_flat_workgroup_size: 512
    .name:           _ZN7rocprim17ROCPRIM_400000_NS6detail17trampoline_kernelINS0_14default_configENS1_35radix_sort_onesweep_config_selectorIlNS0_10empty_typeEEEZZNS1_29radix_sort_onesweep_iterationIS3_Lb1EPKlPlPS5_SB_mNS0_19identity_decomposerENS1_16block_id_wrapperIjLb1EEEEE10hipError_tT1_PNSt15iterator_traitsISG_E10value_typeET2_T3_PNSH_ISM_E10value_typeET4_T5_PSR_SS_PNS1_23onesweep_lookback_stateEbbT6_jjT7_P12ihipStream_tbENKUlT_T0_SG_SL_E_clISA_SA_SB_SB_EEDaSZ_S10_SG_SL_EUlSZ_E_NS1_11comp_targetILNS1_3genE2ELNS1_11target_archE906ELNS1_3gpuE6ELNS1_3repE0EEENS1_47radix_sort_onesweep_sort_config_static_selectorELNS0_4arch9wavefront6targetE0EEEvSG_
    .private_segment_fixed_size: 0
    .sgpr_count:     0
    .sgpr_spill_count: 0
    .symbol:         _ZN7rocprim17ROCPRIM_400000_NS6detail17trampoline_kernelINS0_14default_configENS1_35radix_sort_onesweep_config_selectorIlNS0_10empty_typeEEEZZNS1_29radix_sort_onesweep_iterationIS3_Lb1EPKlPlPS5_SB_mNS0_19identity_decomposerENS1_16block_id_wrapperIjLb1EEEEE10hipError_tT1_PNSt15iterator_traitsISG_E10value_typeET2_T3_PNSH_ISM_E10value_typeET4_T5_PSR_SS_PNS1_23onesweep_lookback_stateEbbT6_jjT7_P12ihipStream_tbENKUlT_T0_SG_SL_E_clISA_SA_SB_SB_EEDaSZ_S10_SG_SL_EUlSZ_E_NS1_11comp_targetILNS1_3genE2ELNS1_11target_archE906ELNS1_3gpuE6ELNS1_3repE0EEENS1_47radix_sort_onesweep_sort_config_static_selectorELNS0_4arch9wavefront6targetE0EEEvSG_.kd
    .uniform_work_group_size: 1
    .uses_dynamic_stack: false
    .vgpr_count:     0
    .vgpr_spill_count: 0
    .wavefront_size: 32
  - .args:
      - .offset:         0
        .size:           88
        .value_kind:     by_value
    .group_segment_fixed_size: 0
    .kernarg_segment_align: 8
    .kernarg_segment_size: 88
    .language:       OpenCL C
    .language_version:
      - 2
      - 0
    .max_flat_workgroup_size: 1024
    .name:           _ZN7rocprim17ROCPRIM_400000_NS6detail17trampoline_kernelINS0_14default_configENS1_35radix_sort_onesweep_config_selectorIlNS0_10empty_typeEEEZZNS1_29radix_sort_onesweep_iterationIS3_Lb1EPKlPlPS5_SB_mNS0_19identity_decomposerENS1_16block_id_wrapperIjLb1EEEEE10hipError_tT1_PNSt15iterator_traitsISG_E10value_typeET2_T3_PNSH_ISM_E10value_typeET4_T5_PSR_SS_PNS1_23onesweep_lookback_stateEbbT6_jjT7_P12ihipStream_tbENKUlT_T0_SG_SL_E_clISA_SA_SB_SB_EEDaSZ_S10_SG_SL_EUlSZ_E_NS1_11comp_targetILNS1_3genE4ELNS1_11target_archE910ELNS1_3gpuE8ELNS1_3repE0EEENS1_47radix_sort_onesweep_sort_config_static_selectorELNS0_4arch9wavefront6targetE0EEEvSG_
    .private_segment_fixed_size: 0
    .sgpr_count:     0
    .sgpr_spill_count: 0
    .symbol:         _ZN7rocprim17ROCPRIM_400000_NS6detail17trampoline_kernelINS0_14default_configENS1_35radix_sort_onesweep_config_selectorIlNS0_10empty_typeEEEZZNS1_29radix_sort_onesweep_iterationIS3_Lb1EPKlPlPS5_SB_mNS0_19identity_decomposerENS1_16block_id_wrapperIjLb1EEEEE10hipError_tT1_PNSt15iterator_traitsISG_E10value_typeET2_T3_PNSH_ISM_E10value_typeET4_T5_PSR_SS_PNS1_23onesweep_lookback_stateEbbT6_jjT7_P12ihipStream_tbENKUlT_T0_SG_SL_E_clISA_SA_SB_SB_EEDaSZ_S10_SG_SL_EUlSZ_E_NS1_11comp_targetILNS1_3genE4ELNS1_11target_archE910ELNS1_3gpuE8ELNS1_3repE0EEENS1_47radix_sort_onesweep_sort_config_static_selectorELNS0_4arch9wavefront6targetE0EEEvSG_.kd
    .uniform_work_group_size: 1
    .uses_dynamic_stack: false
    .vgpr_count:     0
    .vgpr_spill_count: 0
    .wavefront_size: 32
  - .args:
      - .offset:         0
        .size:           88
        .value_kind:     by_value
    .group_segment_fixed_size: 0
    .kernarg_segment_align: 8
    .kernarg_segment_size: 88
    .language:       OpenCL C
    .language_version:
      - 2
      - 0
    .max_flat_workgroup_size: 512
    .name:           _ZN7rocprim17ROCPRIM_400000_NS6detail17trampoline_kernelINS0_14default_configENS1_35radix_sort_onesweep_config_selectorIlNS0_10empty_typeEEEZZNS1_29radix_sort_onesweep_iterationIS3_Lb1EPKlPlPS5_SB_mNS0_19identity_decomposerENS1_16block_id_wrapperIjLb1EEEEE10hipError_tT1_PNSt15iterator_traitsISG_E10value_typeET2_T3_PNSH_ISM_E10value_typeET4_T5_PSR_SS_PNS1_23onesweep_lookback_stateEbbT6_jjT7_P12ihipStream_tbENKUlT_T0_SG_SL_E_clISA_SA_SB_SB_EEDaSZ_S10_SG_SL_EUlSZ_E_NS1_11comp_targetILNS1_3genE3ELNS1_11target_archE908ELNS1_3gpuE7ELNS1_3repE0EEENS1_47radix_sort_onesweep_sort_config_static_selectorELNS0_4arch9wavefront6targetE0EEEvSG_
    .private_segment_fixed_size: 0
    .sgpr_count:     0
    .sgpr_spill_count: 0
    .symbol:         _ZN7rocprim17ROCPRIM_400000_NS6detail17trampoline_kernelINS0_14default_configENS1_35radix_sort_onesweep_config_selectorIlNS0_10empty_typeEEEZZNS1_29radix_sort_onesweep_iterationIS3_Lb1EPKlPlPS5_SB_mNS0_19identity_decomposerENS1_16block_id_wrapperIjLb1EEEEE10hipError_tT1_PNSt15iterator_traitsISG_E10value_typeET2_T3_PNSH_ISM_E10value_typeET4_T5_PSR_SS_PNS1_23onesweep_lookback_stateEbbT6_jjT7_P12ihipStream_tbENKUlT_T0_SG_SL_E_clISA_SA_SB_SB_EEDaSZ_S10_SG_SL_EUlSZ_E_NS1_11comp_targetILNS1_3genE3ELNS1_11target_archE908ELNS1_3gpuE7ELNS1_3repE0EEENS1_47radix_sort_onesweep_sort_config_static_selectorELNS0_4arch9wavefront6targetE0EEEvSG_.kd
    .uniform_work_group_size: 1
    .uses_dynamic_stack: false
    .vgpr_count:     0
    .vgpr_spill_count: 0
    .wavefront_size: 32
  - .args:
      - .offset:         0
        .size:           88
        .value_kind:     by_value
    .group_segment_fixed_size: 0
    .kernarg_segment_align: 8
    .kernarg_segment_size: 88
    .language:       OpenCL C
    .language_version:
      - 2
      - 0
    .max_flat_workgroup_size: 512
    .name:           _ZN7rocprim17ROCPRIM_400000_NS6detail17trampoline_kernelINS0_14default_configENS1_35radix_sort_onesweep_config_selectorIlNS0_10empty_typeEEEZZNS1_29radix_sort_onesweep_iterationIS3_Lb1EPKlPlPS5_SB_mNS0_19identity_decomposerENS1_16block_id_wrapperIjLb1EEEEE10hipError_tT1_PNSt15iterator_traitsISG_E10value_typeET2_T3_PNSH_ISM_E10value_typeET4_T5_PSR_SS_PNS1_23onesweep_lookback_stateEbbT6_jjT7_P12ihipStream_tbENKUlT_T0_SG_SL_E_clISA_SA_SB_SB_EEDaSZ_S10_SG_SL_EUlSZ_E_NS1_11comp_targetILNS1_3genE10ELNS1_11target_archE1201ELNS1_3gpuE5ELNS1_3repE0EEENS1_47radix_sort_onesweep_sort_config_static_selectorELNS0_4arch9wavefront6targetE0EEEvSG_
    .private_segment_fixed_size: 0
    .sgpr_count:     0
    .sgpr_spill_count: 0
    .symbol:         _ZN7rocprim17ROCPRIM_400000_NS6detail17trampoline_kernelINS0_14default_configENS1_35radix_sort_onesweep_config_selectorIlNS0_10empty_typeEEEZZNS1_29radix_sort_onesweep_iterationIS3_Lb1EPKlPlPS5_SB_mNS0_19identity_decomposerENS1_16block_id_wrapperIjLb1EEEEE10hipError_tT1_PNSt15iterator_traitsISG_E10value_typeET2_T3_PNSH_ISM_E10value_typeET4_T5_PSR_SS_PNS1_23onesweep_lookback_stateEbbT6_jjT7_P12ihipStream_tbENKUlT_T0_SG_SL_E_clISA_SA_SB_SB_EEDaSZ_S10_SG_SL_EUlSZ_E_NS1_11comp_targetILNS1_3genE10ELNS1_11target_archE1201ELNS1_3gpuE5ELNS1_3repE0EEENS1_47radix_sort_onesweep_sort_config_static_selectorELNS0_4arch9wavefront6targetE0EEEvSG_.kd
    .uniform_work_group_size: 1
    .uses_dynamic_stack: false
    .vgpr_count:     0
    .vgpr_spill_count: 0
    .wavefront_size: 32
  - .args:
      - .offset:         0
        .size:           88
        .value_kind:     by_value
    .group_segment_fixed_size: 0
    .kernarg_segment_align: 8
    .kernarg_segment_size: 88
    .language:       OpenCL C
    .language_version:
      - 2
      - 0
    .max_flat_workgroup_size: 1024
    .name:           _ZN7rocprim17ROCPRIM_400000_NS6detail17trampoline_kernelINS0_14default_configENS1_35radix_sort_onesweep_config_selectorIlNS0_10empty_typeEEEZZNS1_29radix_sort_onesweep_iterationIS3_Lb1EPKlPlPS5_SB_mNS0_19identity_decomposerENS1_16block_id_wrapperIjLb1EEEEE10hipError_tT1_PNSt15iterator_traitsISG_E10value_typeET2_T3_PNSH_ISM_E10value_typeET4_T5_PSR_SS_PNS1_23onesweep_lookback_stateEbbT6_jjT7_P12ihipStream_tbENKUlT_T0_SG_SL_E_clISA_SA_SB_SB_EEDaSZ_S10_SG_SL_EUlSZ_E_NS1_11comp_targetILNS1_3genE9ELNS1_11target_archE1100ELNS1_3gpuE3ELNS1_3repE0EEENS1_47radix_sort_onesweep_sort_config_static_selectorELNS0_4arch9wavefront6targetE0EEEvSG_
    .private_segment_fixed_size: 0
    .sgpr_count:     0
    .sgpr_spill_count: 0
    .symbol:         _ZN7rocprim17ROCPRIM_400000_NS6detail17trampoline_kernelINS0_14default_configENS1_35radix_sort_onesweep_config_selectorIlNS0_10empty_typeEEEZZNS1_29radix_sort_onesweep_iterationIS3_Lb1EPKlPlPS5_SB_mNS0_19identity_decomposerENS1_16block_id_wrapperIjLb1EEEEE10hipError_tT1_PNSt15iterator_traitsISG_E10value_typeET2_T3_PNSH_ISM_E10value_typeET4_T5_PSR_SS_PNS1_23onesweep_lookback_stateEbbT6_jjT7_P12ihipStream_tbENKUlT_T0_SG_SL_E_clISA_SA_SB_SB_EEDaSZ_S10_SG_SL_EUlSZ_E_NS1_11comp_targetILNS1_3genE9ELNS1_11target_archE1100ELNS1_3gpuE3ELNS1_3repE0EEENS1_47radix_sort_onesweep_sort_config_static_selectorELNS0_4arch9wavefront6targetE0EEEvSG_.kd
    .uniform_work_group_size: 1
    .uses_dynamic_stack: false
    .vgpr_count:     0
    .vgpr_spill_count: 0
    .wavefront_size: 32
  - .args:
      - .offset:         0
        .size:           88
        .value_kind:     by_value
    .group_segment_fixed_size: 0
    .kernarg_segment_align: 8
    .kernarg_segment_size: 88
    .language:       OpenCL C
    .language_version:
      - 2
      - 0
    .max_flat_workgroup_size: 1024
    .name:           _ZN7rocprim17ROCPRIM_400000_NS6detail17trampoline_kernelINS0_14default_configENS1_35radix_sort_onesweep_config_selectorIlNS0_10empty_typeEEEZZNS1_29radix_sort_onesweep_iterationIS3_Lb1EPKlPlPS5_SB_mNS0_19identity_decomposerENS1_16block_id_wrapperIjLb1EEEEE10hipError_tT1_PNSt15iterator_traitsISG_E10value_typeET2_T3_PNSH_ISM_E10value_typeET4_T5_PSR_SS_PNS1_23onesweep_lookback_stateEbbT6_jjT7_P12ihipStream_tbENKUlT_T0_SG_SL_E_clISA_SA_SB_SB_EEDaSZ_S10_SG_SL_EUlSZ_E_NS1_11comp_targetILNS1_3genE8ELNS1_11target_archE1030ELNS1_3gpuE2ELNS1_3repE0EEENS1_47radix_sort_onesweep_sort_config_static_selectorELNS0_4arch9wavefront6targetE0EEEvSG_
    .private_segment_fixed_size: 0
    .sgpr_count:     0
    .sgpr_spill_count: 0
    .symbol:         _ZN7rocprim17ROCPRIM_400000_NS6detail17trampoline_kernelINS0_14default_configENS1_35radix_sort_onesweep_config_selectorIlNS0_10empty_typeEEEZZNS1_29radix_sort_onesweep_iterationIS3_Lb1EPKlPlPS5_SB_mNS0_19identity_decomposerENS1_16block_id_wrapperIjLb1EEEEE10hipError_tT1_PNSt15iterator_traitsISG_E10value_typeET2_T3_PNSH_ISM_E10value_typeET4_T5_PSR_SS_PNS1_23onesweep_lookback_stateEbbT6_jjT7_P12ihipStream_tbENKUlT_T0_SG_SL_E_clISA_SA_SB_SB_EEDaSZ_S10_SG_SL_EUlSZ_E_NS1_11comp_targetILNS1_3genE8ELNS1_11target_archE1030ELNS1_3gpuE2ELNS1_3repE0EEENS1_47radix_sort_onesweep_sort_config_static_selectorELNS0_4arch9wavefront6targetE0EEEvSG_.kd
    .uniform_work_group_size: 1
    .uses_dynamic_stack: false
    .vgpr_count:     0
    .vgpr_spill_count: 0
    .wavefront_size: 32
  - .args:
      - .offset:         0
        .size:           88
        .value_kind:     by_value
      - .offset:         88
        .size:           4
        .value_kind:     hidden_block_count_x
      - .offset:         92
        .size:           4
        .value_kind:     hidden_block_count_y
      - .offset:         96
        .size:           4
        .value_kind:     hidden_block_count_z
      - .offset:         100
        .size:           2
        .value_kind:     hidden_group_size_x
      - .offset:         102
        .size:           2
        .value_kind:     hidden_group_size_y
      - .offset:         104
        .size:           2
        .value_kind:     hidden_group_size_z
      - .offset:         106
        .size:           2
        .value_kind:     hidden_remainder_x
      - .offset:         108
        .size:           2
        .value_kind:     hidden_remainder_y
      - .offset:         110
        .size:           2
        .value_kind:     hidden_remainder_z
      - .offset:         128
        .size:           8
        .value_kind:     hidden_global_offset_x
      - .offset:         136
        .size:           8
        .value_kind:     hidden_global_offset_y
      - .offset:         144
        .size:           8
        .value_kind:     hidden_global_offset_z
      - .offset:         152
        .size:           2
        .value_kind:     hidden_grid_dims
    .group_segment_fixed_size: 18504
    .kernarg_segment_align: 8
    .kernarg_segment_size: 344
    .language:       OpenCL C
    .language_version:
      - 2
      - 0
    .max_flat_workgroup_size: 512
    .name:           _ZN7rocprim17ROCPRIM_400000_NS6detail17trampoline_kernelINS0_14default_configENS1_35radix_sort_onesweep_config_selectorIlNS0_10empty_typeEEEZZNS1_29radix_sort_onesweep_iterationIS3_Lb1EPKlPlPS5_SB_mNS0_19identity_decomposerENS1_16block_id_wrapperIjLb0EEEEE10hipError_tT1_PNSt15iterator_traitsISG_E10value_typeET2_T3_PNSH_ISM_E10value_typeET4_T5_PSR_SS_PNS1_23onesweep_lookback_stateEbbT6_jjT7_P12ihipStream_tbENKUlT_T0_SG_SL_E_clIS9_SA_SB_SB_EEDaSZ_S10_SG_SL_EUlSZ_E_NS1_11comp_targetILNS1_3genE0ELNS1_11target_archE4294967295ELNS1_3gpuE0ELNS1_3repE0EEENS1_47radix_sort_onesweep_sort_config_static_selectorELNS0_4arch9wavefront6targetE0EEEvSG_
    .private_segment_fixed_size: 0
    .sgpr_count:     30
    .sgpr_spill_count: 0
    .symbol:         _ZN7rocprim17ROCPRIM_400000_NS6detail17trampoline_kernelINS0_14default_configENS1_35radix_sort_onesweep_config_selectorIlNS0_10empty_typeEEEZZNS1_29radix_sort_onesweep_iterationIS3_Lb1EPKlPlPS5_SB_mNS0_19identity_decomposerENS1_16block_id_wrapperIjLb0EEEEE10hipError_tT1_PNSt15iterator_traitsISG_E10value_typeET2_T3_PNSH_ISM_E10value_typeET4_T5_PSR_SS_PNS1_23onesweep_lookback_stateEbbT6_jjT7_P12ihipStream_tbENKUlT_T0_SG_SL_E_clIS9_SA_SB_SB_EEDaSZ_S10_SG_SL_EUlSZ_E_NS1_11comp_targetILNS1_3genE0ELNS1_11target_archE4294967295ELNS1_3gpuE0ELNS1_3repE0EEENS1_47radix_sort_onesweep_sort_config_static_selectorELNS0_4arch9wavefront6targetE0EEEvSG_.kd
    .uniform_work_group_size: 1
    .uses_dynamic_stack: false
    .vgpr_count:     57
    .vgpr_spill_count: 0
    .wavefront_size: 32
  - .args:
      - .offset:         0
        .size:           88
        .value_kind:     by_value
    .group_segment_fixed_size: 0
    .kernarg_segment_align: 8
    .kernarg_segment_size: 88
    .language:       OpenCL C
    .language_version:
      - 2
      - 0
    .max_flat_workgroup_size: 512
    .name:           _ZN7rocprim17ROCPRIM_400000_NS6detail17trampoline_kernelINS0_14default_configENS1_35radix_sort_onesweep_config_selectorIlNS0_10empty_typeEEEZZNS1_29radix_sort_onesweep_iterationIS3_Lb1EPKlPlPS5_SB_mNS0_19identity_decomposerENS1_16block_id_wrapperIjLb0EEEEE10hipError_tT1_PNSt15iterator_traitsISG_E10value_typeET2_T3_PNSH_ISM_E10value_typeET4_T5_PSR_SS_PNS1_23onesweep_lookback_stateEbbT6_jjT7_P12ihipStream_tbENKUlT_T0_SG_SL_E_clIS9_SA_SB_SB_EEDaSZ_S10_SG_SL_EUlSZ_E_NS1_11comp_targetILNS1_3genE6ELNS1_11target_archE950ELNS1_3gpuE13ELNS1_3repE0EEENS1_47radix_sort_onesweep_sort_config_static_selectorELNS0_4arch9wavefront6targetE0EEEvSG_
    .private_segment_fixed_size: 0
    .sgpr_count:     0
    .sgpr_spill_count: 0
    .symbol:         _ZN7rocprim17ROCPRIM_400000_NS6detail17trampoline_kernelINS0_14default_configENS1_35radix_sort_onesweep_config_selectorIlNS0_10empty_typeEEEZZNS1_29radix_sort_onesweep_iterationIS3_Lb1EPKlPlPS5_SB_mNS0_19identity_decomposerENS1_16block_id_wrapperIjLb0EEEEE10hipError_tT1_PNSt15iterator_traitsISG_E10value_typeET2_T3_PNSH_ISM_E10value_typeET4_T5_PSR_SS_PNS1_23onesweep_lookback_stateEbbT6_jjT7_P12ihipStream_tbENKUlT_T0_SG_SL_E_clIS9_SA_SB_SB_EEDaSZ_S10_SG_SL_EUlSZ_E_NS1_11comp_targetILNS1_3genE6ELNS1_11target_archE950ELNS1_3gpuE13ELNS1_3repE0EEENS1_47radix_sort_onesweep_sort_config_static_selectorELNS0_4arch9wavefront6targetE0EEEvSG_.kd
    .uniform_work_group_size: 1
    .uses_dynamic_stack: false
    .vgpr_count:     0
    .vgpr_spill_count: 0
    .wavefront_size: 32
  - .args:
      - .offset:         0
        .size:           88
        .value_kind:     by_value
    .group_segment_fixed_size: 0
    .kernarg_segment_align: 8
    .kernarg_segment_size: 88
    .language:       OpenCL C
    .language_version:
      - 2
      - 0
    .max_flat_workgroup_size: 512
    .name:           _ZN7rocprim17ROCPRIM_400000_NS6detail17trampoline_kernelINS0_14default_configENS1_35radix_sort_onesweep_config_selectorIlNS0_10empty_typeEEEZZNS1_29radix_sort_onesweep_iterationIS3_Lb1EPKlPlPS5_SB_mNS0_19identity_decomposerENS1_16block_id_wrapperIjLb0EEEEE10hipError_tT1_PNSt15iterator_traitsISG_E10value_typeET2_T3_PNSH_ISM_E10value_typeET4_T5_PSR_SS_PNS1_23onesweep_lookback_stateEbbT6_jjT7_P12ihipStream_tbENKUlT_T0_SG_SL_E_clIS9_SA_SB_SB_EEDaSZ_S10_SG_SL_EUlSZ_E_NS1_11comp_targetILNS1_3genE5ELNS1_11target_archE942ELNS1_3gpuE9ELNS1_3repE0EEENS1_47radix_sort_onesweep_sort_config_static_selectorELNS0_4arch9wavefront6targetE0EEEvSG_
    .private_segment_fixed_size: 0
    .sgpr_count:     0
    .sgpr_spill_count: 0
    .symbol:         _ZN7rocprim17ROCPRIM_400000_NS6detail17trampoline_kernelINS0_14default_configENS1_35radix_sort_onesweep_config_selectorIlNS0_10empty_typeEEEZZNS1_29radix_sort_onesweep_iterationIS3_Lb1EPKlPlPS5_SB_mNS0_19identity_decomposerENS1_16block_id_wrapperIjLb0EEEEE10hipError_tT1_PNSt15iterator_traitsISG_E10value_typeET2_T3_PNSH_ISM_E10value_typeET4_T5_PSR_SS_PNS1_23onesweep_lookback_stateEbbT6_jjT7_P12ihipStream_tbENKUlT_T0_SG_SL_E_clIS9_SA_SB_SB_EEDaSZ_S10_SG_SL_EUlSZ_E_NS1_11comp_targetILNS1_3genE5ELNS1_11target_archE942ELNS1_3gpuE9ELNS1_3repE0EEENS1_47radix_sort_onesweep_sort_config_static_selectorELNS0_4arch9wavefront6targetE0EEEvSG_.kd
    .uniform_work_group_size: 1
    .uses_dynamic_stack: false
    .vgpr_count:     0
    .vgpr_spill_count: 0
    .wavefront_size: 32
  - .args:
      - .offset:         0
        .size:           88
        .value_kind:     by_value
    .group_segment_fixed_size: 0
    .kernarg_segment_align: 8
    .kernarg_segment_size: 88
    .language:       OpenCL C
    .language_version:
      - 2
      - 0
    .max_flat_workgroup_size: 512
    .name:           _ZN7rocprim17ROCPRIM_400000_NS6detail17trampoline_kernelINS0_14default_configENS1_35radix_sort_onesweep_config_selectorIlNS0_10empty_typeEEEZZNS1_29radix_sort_onesweep_iterationIS3_Lb1EPKlPlPS5_SB_mNS0_19identity_decomposerENS1_16block_id_wrapperIjLb0EEEEE10hipError_tT1_PNSt15iterator_traitsISG_E10value_typeET2_T3_PNSH_ISM_E10value_typeET4_T5_PSR_SS_PNS1_23onesweep_lookback_stateEbbT6_jjT7_P12ihipStream_tbENKUlT_T0_SG_SL_E_clIS9_SA_SB_SB_EEDaSZ_S10_SG_SL_EUlSZ_E_NS1_11comp_targetILNS1_3genE2ELNS1_11target_archE906ELNS1_3gpuE6ELNS1_3repE0EEENS1_47radix_sort_onesweep_sort_config_static_selectorELNS0_4arch9wavefront6targetE0EEEvSG_
    .private_segment_fixed_size: 0
    .sgpr_count:     0
    .sgpr_spill_count: 0
    .symbol:         _ZN7rocprim17ROCPRIM_400000_NS6detail17trampoline_kernelINS0_14default_configENS1_35radix_sort_onesweep_config_selectorIlNS0_10empty_typeEEEZZNS1_29radix_sort_onesweep_iterationIS3_Lb1EPKlPlPS5_SB_mNS0_19identity_decomposerENS1_16block_id_wrapperIjLb0EEEEE10hipError_tT1_PNSt15iterator_traitsISG_E10value_typeET2_T3_PNSH_ISM_E10value_typeET4_T5_PSR_SS_PNS1_23onesweep_lookback_stateEbbT6_jjT7_P12ihipStream_tbENKUlT_T0_SG_SL_E_clIS9_SA_SB_SB_EEDaSZ_S10_SG_SL_EUlSZ_E_NS1_11comp_targetILNS1_3genE2ELNS1_11target_archE906ELNS1_3gpuE6ELNS1_3repE0EEENS1_47radix_sort_onesweep_sort_config_static_selectorELNS0_4arch9wavefront6targetE0EEEvSG_.kd
    .uniform_work_group_size: 1
    .uses_dynamic_stack: false
    .vgpr_count:     0
    .vgpr_spill_count: 0
    .wavefront_size: 32
  - .args:
      - .offset:         0
        .size:           88
        .value_kind:     by_value
    .group_segment_fixed_size: 0
    .kernarg_segment_align: 8
    .kernarg_segment_size: 88
    .language:       OpenCL C
    .language_version:
      - 2
      - 0
    .max_flat_workgroup_size: 1024
    .name:           _ZN7rocprim17ROCPRIM_400000_NS6detail17trampoline_kernelINS0_14default_configENS1_35radix_sort_onesweep_config_selectorIlNS0_10empty_typeEEEZZNS1_29radix_sort_onesweep_iterationIS3_Lb1EPKlPlPS5_SB_mNS0_19identity_decomposerENS1_16block_id_wrapperIjLb0EEEEE10hipError_tT1_PNSt15iterator_traitsISG_E10value_typeET2_T3_PNSH_ISM_E10value_typeET4_T5_PSR_SS_PNS1_23onesweep_lookback_stateEbbT6_jjT7_P12ihipStream_tbENKUlT_T0_SG_SL_E_clIS9_SA_SB_SB_EEDaSZ_S10_SG_SL_EUlSZ_E_NS1_11comp_targetILNS1_3genE4ELNS1_11target_archE910ELNS1_3gpuE8ELNS1_3repE0EEENS1_47radix_sort_onesweep_sort_config_static_selectorELNS0_4arch9wavefront6targetE0EEEvSG_
    .private_segment_fixed_size: 0
    .sgpr_count:     0
    .sgpr_spill_count: 0
    .symbol:         _ZN7rocprim17ROCPRIM_400000_NS6detail17trampoline_kernelINS0_14default_configENS1_35radix_sort_onesweep_config_selectorIlNS0_10empty_typeEEEZZNS1_29radix_sort_onesweep_iterationIS3_Lb1EPKlPlPS5_SB_mNS0_19identity_decomposerENS1_16block_id_wrapperIjLb0EEEEE10hipError_tT1_PNSt15iterator_traitsISG_E10value_typeET2_T3_PNSH_ISM_E10value_typeET4_T5_PSR_SS_PNS1_23onesweep_lookback_stateEbbT6_jjT7_P12ihipStream_tbENKUlT_T0_SG_SL_E_clIS9_SA_SB_SB_EEDaSZ_S10_SG_SL_EUlSZ_E_NS1_11comp_targetILNS1_3genE4ELNS1_11target_archE910ELNS1_3gpuE8ELNS1_3repE0EEENS1_47radix_sort_onesweep_sort_config_static_selectorELNS0_4arch9wavefront6targetE0EEEvSG_.kd
    .uniform_work_group_size: 1
    .uses_dynamic_stack: false
    .vgpr_count:     0
    .vgpr_spill_count: 0
    .wavefront_size: 32
  - .args:
      - .offset:         0
        .size:           88
        .value_kind:     by_value
    .group_segment_fixed_size: 0
    .kernarg_segment_align: 8
    .kernarg_segment_size: 88
    .language:       OpenCL C
    .language_version:
      - 2
      - 0
    .max_flat_workgroup_size: 512
    .name:           _ZN7rocprim17ROCPRIM_400000_NS6detail17trampoline_kernelINS0_14default_configENS1_35radix_sort_onesweep_config_selectorIlNS0_10empty_typeEEEZZNS1_29radix_sort_onesweep_iterationIS3_Lb1EPKlPlPS5_SB_mNS0_19identity_decomposerENS1_16block_id_wrapperIjLb0EEEEE10hipError_tT1_PNSt15iterator_traitsISG_E10value_typeET2_T3_PNSH_ISM_E10value_typeET4_T5_PSR_SS_PNS1_23onesweep_lookback_stateEbbT6_jjT7_P12ihipStream_tbENKUlT_T0_SG_SL_E_clIS9_SA_SB_SB_EEDaSZ_S10_SG_SL_EUlSZ_E_NS1_11comp_targetILNS1_3genE3ELNS1_11target_archE908ELNS1_3gpuE7ELNS1_3repE0EEENS1_47radix_sort_onesweep_sort_config_static_selectorELNS0_4arch9wavefront6targetE0EEEvSG_
    .private_segment_fixed_size: 0
    .sgpr_count:     0
    .sgpr_spill_count: 0
    .symbol:         _ZN7rocprim17ROCPRIM_400000_NS6detail17trampoline_kernelINS0_14default_configENS1_35radix_sort_onesweep_config_selectorIlNS0_10empty_typeEEEZZNS1_29radix_sort_onesweep_iterationIS3_Lb1EPKlPlPS5_SB_mNS0_19identity_decomposerENS1_16block_id_wrapperIjLb0EEEEE10hipError_tT1_PNSt15iterator_traitsISG_E10value_typeET2_T3_PNSH_ISM_E10value_typeET4_T5_PSR_SS_PNS1_23onesweep_lookback_stateEbbT6_jjT7_P12ihipStream_tbENKUlT_T0_SG_SL_E_clIS9_SA_SB_SB_EEDaSZ_S10_SG_SL_EUlSZ_E_NS1_11comp_targetILNS1_3genE3ELNS1_11target_archE908ELNS1_3gpuE7ELNS1_3repE0EEENS1_47radix_sort_onesweep_sort_config_static_selectorELNS0_4arch9wavefront6targetE0EEEvSG_.kd
    .uniform_work_group_size: 1
    .uses_dynamic_stack: false
    .vgpr_count:     0
    .vgpr_spill_count: 0
    .wavefront_size: 32
  - .args:
      - .offset:         0
        .size:           88
        .value_kind:     by_value
    .group_segment_fixed_size: 0
    .kernarg_segment_align: 8
    .kernarg_segment_size: 88
    .language:       OpenCL C
    .language_version:
      - 2
      - 0
    .max_flat_workgroup_size: 512
    .name:           _ZN7rocprim17ROCPRIM_400000_NS6detail17trampoline_kernelINS0_14default_configENS1_35radix_sort_onesweep_config_selectorIlNS0_10empty_typeEEEZZNS1_29radix_sort_onesweep_iterationIS3_Lb1EPKlPlPS5_SB_mNS0_19identity_decomposerENS1_16block_id_wrapperIjLb0EEEEE10hipError_tT1_PNSt15iterator_traitsISG_E10value_typeET2_T3_PNSH_ISM_E10value_typeET4_T5_PSR_SS_PNS1_23onesweep_lookback_stateEbbT6_jjT7_P12ihipStream_tbENKUlT_T0_SG_SL_E_clIS9_SA_SB_SB_EEDaSZ_S10_SG_SL_EUlSZ_E_NS1_11comp_targetILNS1_3genE10ELNS1_11target_archE1201ELNS1_3gpuE5ELNS1_3repE0EEENS1_47radix_sort_onesweep_sort_config_static_selectorELNS0_4arch9wavefront6targetE0EEEvSG_
    .private_segment_fixed_size: 0
    .sgpr_count:     0
    .sgpr_spill_count: 0
    .symbol:         _ZN7rocprim17ROCPRIM_400000_NS6detail17trampoline_kernelINS0_14default_configENS1_35radix_sort_onesweep_config_selectorIlNS0_10empty_typeEEEZZNS1_29radix_sort_onesweep_iterationIS3_Lb1EPKlPlPS5_SB_mNS0_19identity_decomposerENS1_16block_id_wrapperIjLb0EEEEE10hipError_tT1_PNSt15iterator_traitsISG_E10value_typeET2_T3_PNSH_ISM_E10value_typeET4_T5_PSR_SS_PNS1_23onesweep_lookback_stateEbbT6_jjT7_P12ihipStream_tbENKUlT_T0_SG_SL_E_clIS9_SA_SB_SB_EEDaSZ_S10_SG_SL_EUlSZ_E_NS1_11comp_targetILNS1_3genE10ELNS1_11target_archE1201ELNS1_3gpuE5ELNS1_3repE0EEENS1_47radix_sort_onesweep_sort_config_static_selectorELNS0_4arch9wavefront6targetE0EEEvSG_.kd
    .uniform_work_group_size: 1
    .uses_dynamic_stack: false
    .vgpr_count:     0
    .vgpr_spill_count: 0
    .wavefront_size: 32
  - .args:
      - .offset:         0
        .size:           88
        .value_kind:     by_value
    .group_segment_fixed_size: 0
    .kernarg_segment_align: 8
    .kernarg_segment_size: 88
    .language:       OpenCL C
    .language_version:
      - 2
      - 0
    .max_flat_workgroup_size: 1024
    .name:           _ZN7rocprim17ROCPRIM_400000_NS6detail17trampoline_kernelINS0_14default_configENS1_35radix_sort_onesweep_config_selectorIlNS0_10empty_typeEEEZZNS1_29radix_sort_onesweep_iterationIS3_Lb1EPKlPlPS5_SB_mNS0_19identity_decomposerENS1_16block_id_wrapperIjLb0EEEEE10hipError_tT1_PNSt15iterator_traitsISG_E10value_typeET2_T3_PNSH_ISM_E10value_typeET4_T5_PSR_SS_PNS1_23onesweep_lookback_stateEbbT6_jjT7_P12ihipStream_tbENKUlT_T0_SG_SL_E_clIS9_SA_SB_SB_EEDaSZ_S10_SG_SL_EUlSZ_E_NS1_11comp_targetILNS1_3genE9ELNS1_11target_archE1100ELNS1_3gpuE3ELNS1_3repE0EEENS1_47radix_sort_onesweep_sort_config_static_selectorELNS0_4arch9wavefront6targetE0EEEvSG_
    .private_segment_fixed_size: 0
    .sgpr_count:     0
    .sgpr_spill_count: 0
    .symbol:         _ZN7rocprim17ROCPRIM_400000_NS6detail17trampoline_kernelINS0_14default_configENS1_35radix_sort_onesweep_config_selectorIlNS0_10empty_typeEEEZZNS1_29radix_sort_onesweep_iterationIS3_Lb1EPKlPlPS5_SB_mNS0_19identity_decomposerENS1_16block_id_wrapperIjLb0EEEEE10hipError_tT1_PNSt15iterator_traitsISG_E10value_typeET2_T3_PNSH_ISM_E10value_typeET4_T5_PSR_SS_PNS1_23onesweep_lookback_stateEbbT6_jjT7_P12ihipStream_tbENKUlT_T0_SG_SL_E_clIS9_SA_SB_SB_EEDaSZ_S10_SG_SL_EUlSZ_E_NS1_11comp_targetILNS1_3genE9ELNS1_11target_archE1100ELNS1_3gpuE3ELNS1_3repE0EEENS1_47radix_sort_onesweep_sort_config_static_selectorELNS0_4arch9wavefront6targetE0EEEvSG_.kd
    .uniform_work_group_size: 1
    .uses_dynamic_stack: false
    .vgpr_count:     0
    .vgpr_spill_count: 0
    .wavefront_size: 32
  - .args:
      - .offset:         0
        .size:           88
        .value_kind:     by_value
    .group_segment_fixed_size: 0
    .kernarg_segment_align: 8
    .kernarg_segment_size: 88
    .language:       OpenCL C
    .language_version:
      - 2
      - 0
    .max_flat_workgroup_size: 1024
    .name:           _ZN7rocprim17ROCPRIM_400000_NS6detail17trampoline_kernelINS0_14default_configENS1_35radix_sort_onesweep_config_selectorIlNS0_10empty_typeEEEZZNS1_29radix_sort_onesweep_iterationIS3_Lb1EPKlPlPS5_SB_mNS0_19identity_decomposerENS1_16block_id_wrapperIjLb0EEEEE10hipError_tT1_PNSt15iterator_traitsISG_E10value_typeET2_T3_PNSH_ISM_E10value_typeET4_T5_PSR_SS_PNS1_23onesweep_lookback_stateEbbT6_jjT7_P12ihipStream_tbENKUlT_T0_SG_SL_E_clIS9_SA_SB_SB_EEDaSZ_S10_SG_SL_EUlSZ_E_NS1_11comp_targetILNS1_3genE8ELNS1_11target_archE1030ELNS1_3gpuE2ELNS1_3repE0EEENS1_47radix_sort_onesweep_sort_config_static_selectorELNS0_4arch9wavefront6targetE0EEEvSG_
    .private_segment_fixed_size: 0
    .sgpr_count:     0
    .sgpr_spill_count: 0
    .symbol:         _ZN7rocprim17ROCPRIM_400000_NS6detail17trampoline_kernelINS0_14default_configENS1_35radix_sort_onesweep_config_selectorIlNS0_10empty_typeEEEZZNS1_29radix_sort_onesweep_iterationIS3_Lb1EPKlPlPS5_SB_mNS0_19identity_decomposerENS1_16block_id_wrapperIjLb0EEEEE10hipError_tT1_PNSt15iterator_traitsISG_E10value_typeET2_T3_PNSH_ISM_E10value_typeET4_T5_PSR_SS_PNS1_23onesweep_lookback_stateEbbT6_jjT7_P12ihipStream_tbENKUlT_T0_SG_SL_E_clIS9_SA_SB_SB_EEDaSZ_S10_SG_SL_EUlSZ_E_NS1_11comp_targetILNS1_3genE8ELNS1_11target_archE1030ELNS1_3gpuE2ELNS1_3repE0EEENS1_47radix_sort_onesweep_sort_config_static_selectorELNS0_4arch9wavefront6targetE0EEEvSG_.kd
    .uniform_work_group_size: 1
    .uses_dynamic_stack: false
    .vgpr_count:     0
    .vgpr_spill_count: 0
    .wavefront_size: 32
  - .args:
      - .offset:         0
        .size:           88
        .value_kind:     by_value
      - .offset:         88
        .size:           4
        .value_kind:     hidden_block_count_x
      - .offset:         92
        .size:           4
        .value_kind:     hidden_block_count_y
      - .offset:         96
        .size:           4
        .value_kind:     hidden_block_count_z
      - .offset:         100
        .size:           2
        .value_kind:     hidden_group_size_x
      - .offset:         102
        .size:           2
        .value_kind:     hidden_group_size_y
      - .offset:         104
        .size:           2
        .value_kind:     hidden_group_size_z
      - .offset:         106
        .size:           2
        .value_kind:     hidden_remainder_x
      - .offset:         108
        .size:           2
        .value_kind:     hidden_remainder_y
      - .offset:         110
        .size:           2
        .value_kind:     hidden_remainder_z
      - .offset:         128
        .size:           8
        .value_kind:     hidden_global_offset_x
      - .offset:         136
        .size:           8
        .value_kind:     hidden_global_offset_y
      - .offset:         144
        .size:           8
        .value_kind:     hidden_global_offset_z
      - .offset:         152
        .size:           2
        .value_kind:     hidden_grid_dims
    .group_segment_fixed_size: 18504
    .kernarg_segment_align: 8
    .kernarg_segment_size: 344
    .language:       OpenCL C
    .language_version:
      - 2
      - 0
    .max_flat_workgroup_size: 512
    .name:           _ZN7rocprim17ROCPRIM_400000_NS6detail17trampoline_kernelINS0_14default_configENS1_35radix_sort_onesweep_config_selectorIlNS0_10empty_typeEEEZZNS1_29radix_sort_onesweep_iterationIS3_Lb1EPKlPlPS5_SB_mNS0_19identity_decomposerENS1_16block_id_wrapperIjLb0EEEEE10hipError_tT1_PNSt15iterator_traitsISG_E10value_typeET2_T3_PNSH_ISM_E10value_typeET4_T5_PSR_SS_PNS1_23onesweep_lookback_stateEbbT6_jjT7_P12ihipStream_tbENKUlT_T0_SG_SL_E_clISA_SA_SB_SB_EEDaSZ_S10_SG_SL_EUlSZ_E_NS1_11comp_targetILNS1_3genE0ELNS1_11target_archE4294967295ELNS1_3gpuE0ELNS1_3repE0EEENS1_47radix_sort_onesweep_sort_config_static_selectorELNS0_4arch9wavefront6targetE0EEEvSG_
    .private_segment_fixed_size: 0
    .sgpr_count:     30
    .sgpr_spill_count: 0
    .symbol:         _ZN7rocprim17ROCPRIM_400000_NS6detail17trampoline_kernelINS0_14default_configENS1_35radix_sort_onesweep_config_selectorIlNS0_10empty_typeEEEZZNS1_29radix_sort_onesweep_iterationIS3_Lb1EPKlPlPS5_SB_mNS0_19identity_decomposerENS1_16block_id_wrapperIjLb0EEEEE10hipError_tT1_PNSt15iterator_traitsISG_E10value_typeET2_T3_PNSH_ISM_E10value_typeET4_T5_PSR_SS_PNS1_23onesweep_lookback_stateEbbT6_jjT7_P12ihipStream_tbENKUlT_T0_SG_SL_E_clISA_SA_SB_SB_EEDaSZ_S10_SG_SL_EUlSZ_E_NS1_11comp_targetILNS1_3genE0ELNS1_11target_archE4294967295ELNS1_3gpuE0ELNS1_3repE0EEENS1_47radix_sort_onesweep_sort_config_static_selectorELNS0_4arch9wavefront6targetE0EEEvSG_.kd
    .uniform_work_group_size: 1
    .uses_dynamic_stack: false
    .vgpr_count:     57
    .vgpr_spill_count: 0
    .wavefront_size: 32
  - .args:
      - .offset:         0
        .size:           88
        .value_kind:     by_value
    .group_segment_fixed_size: 0
    .kernarg_segment_align: 8
    .kernarg_segment_size: 88
    .language:       OpenCL C
    .language_version:
      - 2
      - 0
    .max_flat_workgroup_size: 512
    .name:           _ZN7rocprim17ROCPRIM_400000_NS6detail17trampoline_kernelINS0_14default_configENS1_35radix_sort_onesweep_config_selectorIlNS0_10empty_typeEEEZZNS1_29radix_sort_onesweep_iterationIS3_Lb1EPKlPlPS5_SB_mNS0_19identity_decomposerENS1_16block_id_wrapperIjLb0EEEEE10hipError_tT1_PNSt15iterator_traitsISG_E10value_typeET2_T3_PNSH_ISM_E10value_typeET4_T5_PSR_SS_PNS1_23onesweep_lookback_stateEbbT6_jjT7_P12ihipStream_tbENKUlT_T0_SG_SL_E_clISA_SA_SB_SB_EEDaSZ_S10_SG_SL_EUlSZ_E_NS1_11comp_targetILNS1_3genE6ELNS1_11target_archE950ELNS1_3gpuE13ELNS1_3repE0EEENS1_47radix_sort_onesweep_sort_config_static_selectorELNS0_4arch9wavefront6targetE0EEEvSG_
    .private_segment_fixed_size: 0
    .sgpr_count:     0
    .sgpr_spill_count: 0
    .symbol:         _ZN7rocprim17ROCPRIM_400000_NS6detail17trampoline_kernelINS0_14default_configENS1_35radix_sort_onesweep_config_selectorIlNS0_10empty_typeEEEZZNS1_29radix_sort_onesweep_iterationIS3_Lb1EPKlPlPS5_SB_mNS0_19identity_decomposerENS1_16block_id_wrapperIjLb0EEEEE10hipError_tT1_PNSt15iterator_traitsISG_E10value_typeET2_T3_PNSH_ISM_E10value_typeET4_T5_PSR_SS_PNS1_23onesweep_lookback_stateEbbT6_jjT7_P12ihipStream_tbENKUlT_T0_SG_SL_E_clISA_SA_SB_SB_EEDaSZ_S10_SG_SL_EUlSZ_E_NS1_11comp_targetILNS1_3genE6ELNS1_11target_archE950ELNS1_3gpuE13ELNS1_3repE0EEENS1_47radix_sort_onesweep_sort_config_static_selectorELNS0_4arch9wavefront6targetE0EEEvSG_.kd
    .uniform_work_group_size: 1
    .uses_dynamic_stack: false
    .vgpr_count:     0
    .vgpr_spill_count: 0
    .wavefront_size: 32
  - .args:
      - .offset:         0
        .size:           88
        .value_kind:     by_value
    .group_segment_fixed_size: 0
    .kernarg_segment_align: 8
    .kernarg_segment_size: 88
    .language:       OpenCL C
    .language_version:
      - 2
      - 0
    .max_flat_workgroup_size: 512
    .name:           _ZN7rocprim17ROCPRIM_400000_NS6detail17trampoline_kernelINS0_14default_configENS1_35radix_sort_onesweep_config_selectorIlNS0_10empty_typeEEEZZNS1_29radix_sort_onesweep_iterationIS3_Lb1EPKlPlPS5_SB_mNS0_19identity_decomposerENS1_16block_id_wrapperIjLb0EEEEE10hipError_tT1_PNSt15iterator_traitsISG_E10value_typeET2_T3_PNSH_ISM_E10value_typeET4_T5_PSR_SS_PNS1_23onesweep_lookback_stateEbbT6_jjT7_P12ihipStream_tbENKUlT_T0_SG_SL_E_clISA_SA_SB_SB_EEDaSZ_S10_SG_SL_EUlSZ_E_NS1_11comp_targetILNS1_3genE5ELNS1_11target_archE942ELNS1_3gpuE9ELNS1_3repE0EEENS1_47radix_sort_onesweep_sort_config_static_selectorELNS0_4arch9wavefront6targetE0EEEvSG_
    .private_segment_fixed_size: 0
    .sgpr_count:     0
    .sgpr_spill_count: 0
    .symbol:         _ZN7rocprim17ROCPRIM_400000_NS6detail17trampoline_kernelINS0_14default_configENS1_35radix_sort_onesweep_config_selectorIlNS0_10empty_typeEEEZZNS1_29radix_sort_onesweep_iterationIS3_Lb1EPKlPlPS5_SB_mNS0_19identity_decomposerENS1_16block_id_wrapperIjLb0EEEEE10hipError_tT1_PNSt15iterator_traitsISG_E10value_typeET2_T3_PNSH_ISM_E10value_typeET4_T5_PSR_SS_PNS1_23onesweep_lookback_stateEbbT6_jjT7_P12ihipStream_tbENKUlT_T0_SG_SL_E_clISA_SA_SB_SB_EEDaSZ_S10_SG_SL_EUlSZ_E_NS1_11comp_targetILNS1_3genE5ELNS1_11target_archE942ELNS1_3gpuE9ELNS1_3repE0EEENS1_47radix_sort_onesweep_sort_config_static_selectorELNS0_4arch9wavefront6targetE0EEEvSG_.kd
    .uniform_work_group_size: 1
    .uses_dynamic_stack: false
    .vgpr_count:     0
    .vgpr_spill_count: 0
    .wavefront_size: 32
  - .args:
      - .offset:         0
        .size:           88
        .value_kind:     by_value
    .group_segment_fixed_size: 0
    .kernarg_segment_align: 8
    .kernarg_segment_size: 88
    .language:       OpenCL C
    .language_version:
      - 2
      - 0
    .max_flat_workgroup_size: 512
    .name:           _ZN7rocprim17ROCPRIM_400000_NS6detail17trampoline_kernelINS0_14default_configENS1_35radix_sort_onesweep_config_selectorIlNS0_10empty_typeEEEZZNS1_29radix_sort_onesweep_iterationIS3_Lb1EPKlPlPS5_SB_mNS0_19identity_decomposerENS1_16block_id_wrapperIjLb0EEEEE10hipError_tT1_PNSt15iterator_traitsISG_E10value_typeET2_T3_PNSH_ISM_E10value_typeET4_T5_PSR_SS_PNS1_23onesweep_lookback_stateEbbT6_jjT7_P12ihipStream_tbENKUlT_T0_SG_SL_E_clISA_SA_SB_SB_EEDaSZ_S10_SG_SL_EUlSZ_E_NS1_11comp_targetILNS1_3genE2ELNS1_11target_archE906ELNS1_3gpuE6ELNS1_3repE0EEENS1_47radix_sort_onesweep_sort_config_static_selectorELNS0_4arch9wavefront6targetE0EEEvSG_
    .private_segment_fixed_size: 0
    .sgpr_count:     0
    .sgpr_spill_count: 0
    .symbol:         _ZN7rocprim17ROCPRIM_400000_NS6detail17trampoline_kernelINS0_14default_configENS1_35radix_sort_onesweep_config_selectorIlNS0_10empty_typeEEEZZNS1_29radix_sort_onesweep_iterationIS3_Lb1EPKlPlPS5_SB_mNS0_19identity_decomposerENS1_16block_id_wrapperIjLb0EEEEE10hipError_tT1_PNSt15iterator_traitsISG_E10value_typeET2_T3_PNSH_ISM_E10value_typeET4_T5_PSR_SS_PNS1_23onesweep_lookback_stateEbbT6_jjT7_P12ihipStream_tbENKUlT_T0_SG_SL_E_clISA_SA_SB_SB_EEDaSZ_S10_SG_SL_EUlSZ_E_NS1_11comp_targetILNS1_3genE2ELNS1_11target_archE906ELNS1_3gpuE6ELNS1_3repE0EEENS1_47radix_sort_onesweep_sort_config_static_selectorELNS0_4arch9wavefront6targetE0EEEvSG_.kd
    .uniform_work_group_size: 1
    .uses_dynamic_stack: false
    .vgpr_count:     0
    .vgpr_spill_count: 0
    .wavefront_size: 32
  - .args:
      - .offset:         0
        .size:           88
        .value_kind:     by_value
    .group_segment_fixed_size: 0
    .kernarg_segment_align: 8
    .kernarg_segment_size: 88
    .language:       OpenCL C
    .language_version:
      - 2
      - 0
    .max_flat_workgroup_size: 1024
    .name:           _ZN7rocprim17ROCPRIM_400000_NS6detail17trampoline_kernelINS0_14default_configENS1_35radix_sort_onesweep_config_selectorIlNS0_10empty_typeEEEZZNS1_29radix_sort_onesweep_iterationIS3_Lb1EPKlPlPS5_SB_mNS0_19identity_decomposerENS1_16block_id_wrapperIjLb0EEEEE10hipError_tT1_PNSt15iterator_traitsISG_E10value_typeET2_T3_PNSH_ISM_E10value_typeET4_T5_PSR_SS_PNS1_23onesweep_lookback_stateEbbT6_jjT7_P12ihipStream_tbENKUlT_T0_SG_SL_E_clISA_SA_SB_SB_EEDaSZ_S10_SG_SL_EUlSZ_E_NS1_11comp_targetILNS1_3genE4ELNS1_11target_archE910ELNS1_3gpuE8ELNS1_3repE0EEENS1_47radix_sort_onesweep_sort_config_static_selectorELNS0_4arch9wavefront6targetE0EEEvSG_
    .private_segment_fixed_size: 0
    .sgpr_count:     0
    .sgpr_spill_count: 0
    .symbol:         _ZN7rocprim17ROCPRIM_400000_NS6detail17trampoline_kernelINS0_14default_configENS1_35radix_sort_onesweep_config_selectorIlNS0_10empty_typeEEEZZNS1_29radix_sort_onesweep_iterationIS3_Lb1EPKlPlPS5_SB_mNS0_19identity_decomposerENS1_16block_id_wrapperIjLb0EEEEE10hipError_tT1_PNSt15iterator_traitsISG_E10value_typeET2_T3_PNSH_ISM_E10value_typeET4_T5_PSR_SS_PNS1_23onesweep_lookback_stateEbbT6_jjT7_P12ihipStream_tbENKUlT_T0_SG_SL_E_clISA_SA_SB_SB_EEDaSZ_S10_SG_SL_EUlSZ_E_NS1_11comp_targetILNS1_3genE4ELNS1_11target_archE910ELNS1_3gpuE8ELNS1_3repE0EEENS1_47radix_sort_onesweep_sort_config_static_selectorELNS0_4arch9wavefront6targetE0EEEvSG_.kd
    .uniform_work_group_size: 1
    .uses_dynamic_stack: false
    .vgpr_count:     0
    .vgpr_spill_count: 0
    .wavefront_size: 32
  - .args:
      - .offset:         0
        .size:           88
        .value_kind:     by_value
    .group_segment_fixed_size: 0
    .kernarg_segment_align: 8
    .kernarg_segment_size: 88
    .language:       OpenCL C
    .language_version:
      - 2
      - 0
    .max_flat_workgroup_size: 512
    .name:           _ZN7rocprim17ROCPRIM_400000_NS6detail17trampoline_kernelINS0_14default_configENS1_35radix_sort_onesweep_config_selectorIlNS0_10empty_typeEEEZZNS1_29radix_sort_onesweep_iterationIS3_Lb1EPKlPlPS5_SB_mNS0_19identity_decomposerENS1_16block_id_wrapperIjLb0EEEEE10hipError_tT1_PNSt15iterator_traitsISG_E10value_typeET2_T3_PNSH_ISM_E10value_typeET4_T5_PSR_SS_PNS1_23onesweep_lookback_stateEbbT6_jjT7_P12ihipStream_tbENKUlT_T0_SG_SL_E_clISA_SA_SB_SB_EEDaSZ_S10_SG_SL_EUlSZ_E_NS1_11comp_targetILNS1_3genE3ELNS1_11target_archE908ELNS1_3gpuE7ELNS1_3repE0EEENS1_47radix_sort_onesweep_sort_config_static_selectorELNS0_4arch9wavefront6targetE0EEEvSG_
    .private_segment_fixed_size: 0
    .sgpr_count:     0
    .sgpr_spill_count: 0
    .symbol:         _ZN7rocprim17ROCPRIM_400000_NS6detail17trampoline_kernelINS0_14default_configENS1_35radix_sort_onesweep_config_selectorIlNS0_10empty_typeEEEZZNS1_29radix_sort_onesweep_iterationIS3_Lb1EPKlPlPS5_SB_mNS0_19identity_decomposerENS1_16block_id_wrapperIjLb0EEEEE10hipError_tT1_PNSt15iterator_traitsISG_E10value_typeET2_T3_PNSH_ISM_E10value_typeET4_T5_PSR_SS_PNS1_23onesweep_lookback_stateEbbT6_jjT7_P12ihipStream_tbENKUlT_T0_SG_SL_E_clISA_SA_SB_SB_EEDaSZ_S10_SG_SL_EUlSZ_E_NS1_11comp_targetILNS1_3genE3ELNS1_11target_archE908ELNS1_3gpuE7ELNS1_3repE0EEENS1_47radix_sort_onesweep_sort_config_static_selectorELNS0_4arch9wavefront6targetE0EEEvSG_.kd
    .uniform_work_group_size: 1
    .uses_dynamic_stack: false
    .vgpr_count:     0
    .vgpr_spill_count: 0
    .wavefront_size: 32
  - .args:
      - .offset:         0
        .size:           88
        .value_kind:     by_value
    .group_segment_fixed_size: 0
    .kernarg_segment_align: 8
    .kernarg_segment_size: 88
    .language:       OpenCL C
    .language_version:
      - 2
      - 0
    .max_flat_workgroup_size: 512
    .name:           _ZN7rocprim17ROCPRIM_400000_NS6detail17trampoline_kernelINS0_14default_configENS1_35radix_sort_onesweep_config_selectorIlNS0_10empty_typeEEEZZNS1_29radix_sort_onesweep_iterationIS3_Lb1EPKlPlPS5_SB_mNS0_19identity_decomposerENS1_16block_id_wrapperIjLb0EEEEE10hipError_tT1_PNSt15iterator_traitsISG_E10value_typeET2_T3_PNSH_ISM_E10value_typeET4_T5_PSR_SS_PNS1_23onesweep_lookback_stateEbbT6_jjT7_P12ihipStream_tbENKUlT_T0_SG_SL_E_clISA_SA_SB_SB_EEDaSZ_S10_SG_SL_EUlSZ_E_NS1_11comp_targetILNS1_3genE10ELNS1_11target_archE1201ELNS1_3gpuE5ELNS1_3repE0EEENS1_47radix_sort_onesweep_sort_config_static_selectorELNS0_4arch9wavefront6targetE0EEEvSG_
    .private_segment_fixed_size: 0
    .sgpr_count:     0
    .sgpr_spill_count: 0
    .symbol:         _ZN7rocprim17ROCPRIM_400000_NS6detail17trampoline_kernelINS0_14default_configENS1_35radix_sort_onesweep_config_selectorIlNS0_10empty_typeEEEZZNS1_29radix_sort_onesweep_iterationIS3_Lb1EPKlPlPS5_SB_mNS0_19identity_decomposerENS1_16block_id_wrapperIjLb0EEEEE10hipError_tT1_PNSt15iterator_traitsISG_E10value_typeET2_T3_PNSH_ISM_E10value_typeET4_T5_PSR_SS_PNS1_23onesweep_lookback_stateEbbT6_jjT7_P12ihipStream_tbENKUlT_T0_SG_SL_E_clISA_SA_SB_SB_EEDaSZ_S10_SG_SL_EUlSZ_E_NS1_11comp_targetILNS1_3genE10ELNS1_11target_archE1201ELNS1_3gpuE5ELNS1_3repE0EEENS1_47radix_sort_onesweep_sort_config_static_selectorELNS0_4arch9wavefront6targetE0EEEvSG_.kd
    .uniform_work_group_size: 1
    .uses_dynamic_stack: false
    .vgpr_count:     0
    .vgpr_spill_count: 0
    .wavefront_size: 32
  - .args:
      - .offset:         0
        .size:           88
        .value_kind:     by_value
    .group_segment_fixed_size: 0
    .kernarg_segment_align: 8
    .kernarg_segment_size: 88
    .language:       OpenCL C
    .language_version:
      - 2
      - 0
    .max_flat_workgroup_size: 1024
    .name:           _ZN7rocprim17ROCPRIM_400000_NS6detail17trampoline_kernelINS0_14default_configENS1_35radix_sort_onesweep_config_selectorIlNS0_10empty_typeEEEZZNS1_29radix_sort_onesweep_iterationIS3_Lb1EPKlPlPS5_SB_mNS0_19identity_decomposerENS1_16block_id_wrapperIjLb0EEEEE10hipError_tT1_PNSt15iterator_traitsISG_E10value_typeET2_T3_PNSH_ISM_E10value_typeET4_T5_PSR_SS_PNS1_23onesweep_lookback_stateEbbT6_jjT7_P12ihipStream_tbENKUlT_T0_SG_SL_E_clISA_SA_SB_SB_EEDaSZ_S10_SG_SL_EUlSZ_E_NS1_11comp_targetILNS1_3genE9ELNS1_11target_archE1100ELNS1_3gpuE3ELNS1_3repE0EEENS1_47radix_sort_onesweep_sort_config_static_selectorELNS0_4arch9wavefront6targetE0EEEvSG_
    .private_segment_fixed_size: 0
    .sgpr_count:     0
    .sgpr_spill_count: 0
    .symbol:         _ZN7rocprim17ROCPRIM_400000_NS6detail17trampoline_kernelINS0_14default_configENS1_35radix_sort_onesweep_config_selectorIlNS0_10empty_typeEEEZZNS1_29radix_sort_onesweep_iterationIS3_Lb1EPKlPlPS5_SB_mNS0_19identity_decomposerENS1_16block_id_wrapperIjLb0EEEEE10hipError_tT1_PNSt15iterator_traitsISG_E10value_typeET2_T3_PNSH_ISM_E10value_typeET4_T5_PSR_SS_PNS1_23onesweep_lookback_stateEbbT6_jjT7_P12ihipStream_tbENKUlT_T0_SG_SL_E_clISA_SA_SB_SB_EEDaSZ_S10_SG_SL_EUlSZ_E_NS1_11comp_targetILNS1_3genE9ELNS1_11target_archE1100ELNS1_3gpuE3ELNS1_3repE0EEENS1_47radix_sort_onesweep_sort_config_static_selectorELNS0_4arch9wavefront6targetE0EEEvSG_.kd
    .uniform_work_group_size: 1
    .uses_dynamic_stack: false
    .vgpr_count:     0
    .vgpr_spill_count: 0
    .wavefront_size: 32
  - .args:
      - .offset:         0
        .size:           88
        .value_kind:     by_value
    .group_segment_fixed_size: 0
    .kernarg_segment_align: 8
    .kernarg_segment_size: 88
    .language:       OpenCL C
    .language_version:
      - 2
      - 0
    .max_flat_workgroup_size: 1024
    .name:           _ZN7rocprim17ROCPRIM_400000_NS6detail17trampoline_kernelINS0_14default_configENS1_35radix_sort_onesweep_config_selectorIlNS0_10empty_typeEEEZZNS1_29radix_sort_onesweep_iterationIS3_Lb1EPKlPlPS5_SB_mNS0_19identity_decomposerENS1_16block_id_wrapperIjLb0EEEEE10hipError_tT1_PNSt15iterator_traitsISG_E10value_typeET2_T3_PNSH_ISM_E10value_typeET4_T5_PSR_SS_PNS1_23onesweep_lookback_stateEbbT6_jjT7_P12ihipStream_tbENKUlT_T0_SG_SL_E_clISA_SA_SB_SB_EEDaSZ_S10_SG_SL_EUlSZ_E_NS1_11comp_targetILNS1_3genE8ELNS1_11target_archE1030ELNS1_3gpuE2ELNS1_3repE0EEENS1_47radix_sort_onesweep_sort_config_static_selectorELNS0_4arch9wavefront6targetE0EEEvSG_
    .private_segment_fixed_size: 0
    .sgpr_count:     0
    .sgpr_spill_count: 0
    .symbol:         _ZN7rocprim17ROCPRIM_400000_NS6detail17trampoline_kernelINS0_14default_configENS1_35radix_sort_onesweep_config_selectorIlNS0_10empty_typeEEEZZNS1_29radix_sort_onesweep_iterationIS3_Lb1EPKlPlPS5_SB_mNS0_19identity_decomposerENS1_16block_id_wrapperIjLb0EEEEE10hipError_tT1_PNSt15iterator_traitsISG_E10value_typeET2_T3_PNSH_ISM_E10value_typeET4_T5_PSR_SS_PNS1_23onesweep_lookback_stateEbbT6_jjT7_P12ihipStream_tbENKUlT_T0_SG_SL_E_clISA_SA_SB_SB_EEDaSZ_S10_SG_SL_EUlSZ_E_NS1_11comp_targetILNS1_3genE8ELNS1_11target_archE1030ELNS1_3gpuE2ELNS1_3repE0EEENS1_47radix_sort_onesweep_sort_config_static_selectorELNS0_4arch9wavefront6targetE0EEEvSG_.kd
    .uniform_work_group_size: 1
    .uses_dynamic_stack: false
    .vgpr_count:     0
    .vgpr_spill_count: 0
    .wavefront_size: 32
  - .args:
      - .offset:         0
        .size:           48
        .value_kind:     by_value
      - .offset:         48
        .size:           4
        .value_kind:     hidden_block_count_x
      - .offset:         52
        .size:           4
        .value_kind:     hidden_block_count_y
      - .offset:         56
        .size:           4
        .value_kind:     hidden_block_count_z
      - .offset:         60
        .size:           2
        .value_kind:     hidden_group_size_x
      - .offset:         62
        .size:           2
        .value_kind:     hidden_group_size_y
      - .offset:         64
        .size:           2
        .value_kind:     hidden_group_size_z
      - .offset:         66
        .size:           2
        .value_kind:     hidden_remainder_x
      - .offset:         68
        .size:           2
        .value_kind:     hidden_remainder_y
      - .offset:         70
        .size:           2
        .value_kind:     hidden_remainder_z
      - .offset:         88
        .size:           8
        .value_kind:     hidden_global_offset_x
      - .offset:         96
        .size:           8
        .value_kind:     hidden_global_offset_y
      - .offset:         104
        .size:           8
        .value_kind:     hidden_global_offset_z
      - .offset:         112
        .size:           2
        .value_kind:     hidden_grid_dims
    .group_segment_fixed_size: 8224
    .kernarg_segment_align: 8
    .kernarg_segment_size: 304
    .language:       OpenCL C
    .language_version:
      - 2
      - 0
    .max_flat_workgroup_size: 256
    .name:           _ZN7rocprim17ROCPRIM_400000_NS6detail17trampoline_kernelINS0_13kernel_configILj256ELj4ELj4294967295EEENS1_37radix_sort_block_sort_config_selectorIlNS0_10empty_typeEEEZNS1_21radix_sort_block_sortIS4_Lb0EPKlPlPS6_SC_NS0_19identity_decomposerEEE10hipError_tT1_T2_T3_T4_jRjT5_jjP12ihipStream_tbEUlT_E_NS1_11comp_targetILNS1_3genE0ELNS1_11target_archE4294967295ELNS1_3gpuE0ELNS1_3repE0EEENS1_44radix_sort_block_sort_config_static_selectorELNS0_4arch9wavefront6targetE0EEEvSF_
    .private_segment_fixed_size: 0
    .sgpr_count:     32
    .sgpr_spill_count: 0
    .symbol:         _ZN7rocprim17ROCPRIM_400000_NS6detail17trampoline_kernelINS0_13kernel_configILj256ELj4ELj4294967295EEENS1_37radix_sort_block_sort_config_selectorIlNS0_10empty_typeEEEZNS1_21radix_sort_block_sortIS4_Lb0EPKlPlPS6_SC_NS0_19identity_decomposerEEE10hipError_tT1_T2_T3_T4_jRjT5_jjP12ihipStream_tbEUlT_E_NS1_11comp_targetILNS1_3genE0ELNS1_11target_archE4294967295ELNS1_3gpuE0ELNS1_3repE0EEENS1_44radix_sort_block_sort_config_static_selectorELNS0_4arch9wavefront6targetE0EEEvSF_.kd
    .uniform_work_group_size: 1
    .uses_dynamic_stack: false
    .vgpr_count:     42
    .vgpr_spill_count: 0
    .wavefront_size: 32
  - .args:
      - .offset:         0
        .size:           48
        .value_kind:     by_value
    .group_segment_fixed_size: 0
    .kernarg_segment_align: 8
    .kernarg_segment_size: 48
    .language:       OpenCL C
    .language_version:
      - 2
      - 0
    .max_flat_workgroup_size: 256
    .name:           _ZN7rocprim17ROCPRIM_400000_NS6detail17trampoline_kernelINS0_13kernel_configILj256ELj4ELj4294967295EEENS1_37radix_sort_block_sort_config_selectorIlNS0_10empty_typeEEEZNS1_21radix_sort_block_sortIS4_Lb0EPKlPlPS6_SC_NS0_19identity_decomposerEEE10hipError_tT1_T2_T3_T4_jRjT5_jjP12ihipStream_tbEUlT_E_NS1_11comp_targetILNS1_3genE5ELNS1_11target_archE942ELNS1_3gpuE9ELNS1_3repE0EEENS1_44radix_sort_block_sort_config_static_selectorELNS0_4arch9wavefront6targetE0EEEvSF_
    .private_segment_fixed_size: 0
    .sgpr_count:     0
    .sgpr_spill_count: 0
    .symbol:         _ZN7rocprim17ROCPRIM_400000_NS6detail17trampoline_kernelINS0_13kernel_configILj256ELj4ELj4294967295EEENS1_37radix_sort_block_sort_config_selectorIlNS0_10empty_typeEEEZNS1_21radix_sort_block_sortIS4_Lb0EPKlPlPS6_SC_NS0_19identity_decomposerEEE10hipError_tT1_T2_T3_T4_jRjT5_jjP12ihipStream_tbEUlT_E_NS1_11comp_targetILNS1_3genE5ELNS1_11target_archE942ELNS1_3gpuE9ELNS1_3repE0EEENS1_44radix_sort_block_sort_config_static_selectorELNS0_4arch9wavefront6targetE0EEEvSF_.kd
    .uniform_work_group_size: 1
    .uses_dynamic_stack: false
    .vgpr_count:     0
    .vgpr_spill_count: 0
    .wavefront_size: 32
  - .args:
      - .offset:         0
        .size:           48
        .value_kind:     by_value
    .group_segment_fixed_size: 0
    .kernarg_segment_align: 8
    .kernarg_segment_size: 48
    .language:       OpenCL C
    .language_version:
      - 2
      - 0
    .max_flat_workgroup_size: 256
    .name:           _ZN7rocprim17ROCPRIM_400000_NS6detail17trampoline_kernelINS0_13kernel_configILj256ELj4ELj4294967295EEENS1_37radix_sort_block_sort_config_selectorIlNS0_10empty_typeEEEZNS1_21radix_sort_block_sortIS4_Lb0EPKlPlPS6_SC_NS0_19identity_decomposerEEE10hipError_tT1_T2_T3_T4_jRjT5_jjP12ihipStream_tbEUlT_E_NS1_11comp_targetILNS1_3genE4ELNS1_11target_archE910ELNS1_3gpuE8ELNS1_3repE0EEENS1_44radix_sort_block_sort_config_static_selectorELNS0_4arch9wavefront6targetE0EEEvSF_
    .private_segment_fixed_size: 0
    .sgpr_count:     0
    .sgpr_spill_count: 0
    .symbol:         _ZN7rocprim17ROCPRIM_400000_NS6detail17trampoline_kernelINS0_13kernel_configILj256ELj4ELj4294967295EEENS1_37radix_sort_block_sort_config_selectorIlNS0_10empty_typeEEEZNS1_21radix_sort_block_sortIS4_Lb0EPKlPlPS6_SC_NS0_19identity_decomposerEEE10hipError_tT1_T2_T3_T4_jRjT5_jjP12ihipStream_tbEUlT_E_NS1_11comp_targetILNS1_3genE4ELNS1_11target_archE910ELNS1_3gpuE8ELNS1_3repE0EEENS1_44radix_sort_block_sort_config_static_selectorELNS0_4arch9wavefront6targetE0EEEvSF_.kd
    .uniform_work_group_size: 1
    .uses_dynamic_stack: false
    .vgpr_count:     0
    .vgpr_spill_count: 0
    .wavefront_size: 32
  - .args:
      - .offset:         0
        .size:           48
        .value_kind:     by_value
    .group_segment_fixed_size: 0
    .kernarg_segment_align: 8
    .kernarg_segment_size: 48
    .language:       OpenCL C
    .language_version:
      - 2
      - 0
    .max_flat_workgroup_size: 256
    .name:           _ZN7rocprim17ROCPRIM_400000_NS6detail17trampoline_kernelINS0_13kernel_configILj256ELj4ELj4294967295EEENS1_37radix_sort_block_sort_config_selectorIlNS0_10empty_typeEEEZNS1_21radix_sort_block_sortIS4_Lb0EPKlPlPS6_SC_NS0_19identity_decomposerEEE10hipError_tT1_T2_T3_T4_jRjT5_jjP12ihipStream_tbEUlT_E_NS1_11comp_targetILNS1_3genE3ELNS1_11target_archE908ELNS1_3gpuE7ELNS1_3repE0EEENS1_44radix_sort_block_sort_config_static_selectorELNS0_4arch9wavefront6targetE0EEEvSF_
    .private_segment_fixed_size: 0
    .sgpr_count:     0
    .sgpr_spill_count: 0
    .symbol:         _ZN7rocprim17ROCPRIM_400000_NS6detail17trampoline_kernelINS0_13kernel_configILj256ELj4ELj4294967295EEENS1_37radix_sort_block_sort_config_selectorIlNS0_10empty_typeEEEZNS1_21radix_sort_block_sortIS4_Lb0EPKlPlPS6_SC_NS0_19identity_decomposerEEE10hipError_tT1_T2_T3_T4_jRjT5_jjP12ihipStream_tbEUlT_E_NS1_11comp_targetILNS1_3genE3ELNS1_11target_archE908ELNS1_3gpuE7ELNS1_3repE0EEENS1_44radix_sort_block_sort_config_static_selectorELNS0_4arch9wavefront6targetE0EEEvSF_.kd
    .uniform_work_group_size: 1
    .uses_dynamic_stack: false
    .vgpr_count:     0
    .vgpr_spill_count: 0
    .wavefront_size: 32
  - .args:
      - .offset:         0
        .size:           48
        .value_kind:     by_value
    .group_segment_fixed_size: 0
    .kernarg_segment_align: 8
    .kernarg_segment_size: 48
    .language:       OpenCL C
    .language_version:
      - 2
      - 0
    .max_flat_workgroup_size: 256
    .name:           _ZN7rocprim17ROCPRIM_400000_NS6detail17trampoline_kernelINS0_13kernel_configILj256ELj4ELj4294967295EEENS1_37radix_sort_block_sort_config_selectorIlNS0_10empty_typeEEEZNS1_21radix_sort_block_sortIS4_Lb0EPKlPlPS6_SC_NS0_19identity_decomposerEEE10hipError_tT1_T2_T3_T4_jRjT5_jjP12ihipStream_tbEUlT_E_NS1_11comp_targetILNS1_3genE2ELNS1_11target_archE906ELNS1_3gpuE6ELNS1_3repE0EEENS1_44radix_sort_block_sort_config_static_selectorELNS0_4arch9wavefront6targetE0EEEvSF_
    .private_segment_fixed_size: 0
    .sgpr_count:     0
    .sgpr_spill_count: 0
    .symbol:         _ZN7rocprim17ROCPRIM_400000_NS6detail17trampoline_kernelINS0_13kernel_configILj256ELj4ELj4294967295EEENS1_37radix_sort_block_sort_config_selectorIlNS0_10empty_typeEEEZNS1_21radix_sort_block_sortIS4_Lb0EPKlPlPS6_SC_NS0_19identity_decomposerEEE10hipError_tT1_T2_T3_T4_jRjT5_jjP12ihipStream_tbEUlT_E_NS1_11comp_targetILNS1_3genE2ELNS1_11target_archE906ELNS1_3gpuE6ELNS1_3repE0EEENS1_44radix_sort_block_sort_config_static_selectorELNS0_4arch9wavefront6targetE0EEEvSF_.kd
    .uniform_work_group_size: 1
    .uses_dynamic_stack: false
    .vgpr_count:     0
    .vgpr_spill_count: 0
    .wavefront_size: 32
  - .args:
      - .offset:         0
        .size:           48
        .value_kind:     by_value
    .group_segment_fixed_size: 0
    .kernarg_segment_align: 8
    .kernarg_segment_size: 48
    .language:       OpenCL C
    .language_version:
      - 2
      - 0
    .max_flat_workgroup_size: 256
    .name:           _ZN7rocprim17ROCPRIM_400000_NS6detail17trampoline_kernelINS0_13kernel_configILj256ELj4ELj4294967295EEENS1_37radix_sort_block_sort_config_selectorIlNS0_10empty_typeEEEZNS1_21radix_sort_block_sortIS4_Lb0EPKlPlPS6_SC_NS0_19identity_decomposerEEE10hipError_tT1_T2_T3_T4_jRjT5_jjP12ihipStream_tbEUlT_E_NS1_11comp_targetILNS1_3genE10ELNS1_11target_archE1201ELNS1_3gpuE5ELNS1_3repE0EEENS1_44radix_sort_block_sort_config_static_selectorELNS0_4arch9wavefront6targetE0EEEvSF_
    .private_segment_fixed_size: 0
    .sgpr_count:     0
    .sgpr_spill_count: 0
    .symbol:         _ZN7rocprim17ROCPRIM_400000_NS6detail17trampoline_kernelINS0_13kernel_configILj256ELj4ELj4294967295EEENS1_37radix_sort_block_sort_config_selectorIlNS0_10empty_typeEEEZNS1_21radix_sort_block_sortIS4_Lb0EPKlPlPS6_SC_NS0_19identity_decomposerEEE10hipError_tT1_T2_T3_T4_jRjT5_jjP12ihipStream_tbEUlT_E_NS1_11comp_targetILNS1_3genE10ELNS1_11target_archE1201ELNS1_3gpuE5ELNS1_3repE0EEENS1_44radix_sort_block_sort_config_static_selectorELNS0_4arch9wavefront6targetE0EEEvSF_.kd
    .uniform_work_group_size: 1
    .uses_dynamic_stack: false
    .vgpr_count:     0
    .vgpr_spill_count: 0
    .wavefront_size: 32
  - .args:
      - .offset:         0
        .size:           48
        .value_kind:     by_value
    .group_segment_fixed_size: 0
    .kernarg_segment_align: 8
    .kernarg_segment_size: 48
    .language:       OpenCL C
    .language_version:
      - 2
      - 0
    .max_flat_workgroup_size: 256
    .name:           _ZN7rocprim17ROCPRIM_400000_NS6detail17trampoline_kernelINS0_13kernel_configILj256ELj4ELj4294967295EEENS1_37radix_sort_block_sort_config_selectorIlNS0_10empty_typeEEEZNS1_21radix_sort_block_sortIS4_Lb0EPKlPlPS6_SC_NS0_19identity_decomposerEEE10hipError_tT1_T2_T3_T4_jRjT5_jjP12ihipStream_tbEUlT_E_NS1_11comp_targetILNS1_3genE10ELNS1_11target_archE1200ELNS1_3gpuE4ELNS1_3repE0EEENS1_44radix_sort_block_sort_config_static_selectorELNS0_4arch9wavefront6targetE0EEEvSF_
    .private_segment_fixed_size: 0
    .sgpr_count:     0
    .sgpr_spill_count: 0
    .symbol:         _ZN7rocprim17ROCPRIM_400000_NS6detail17trampoline_kernelINS0_13kernel_configILj256ELj4ELj4294967295EEENS1_37radix_sort_block_sort_config_selectorIlNS0_10empty_typeEEEZNS1_21radix_sort_block_sortIS4_Lb0EPKlPlPS6_SC_NS0_19identity_decomposerEEE10hipError_tT1_T2_T3_T4_jRjT5_jjP12ihipStream_tbEUlT_E_NS1_11comp_targetILNS1_3genE10ELNS1_11target_archE1200ELNS1_3gpuE4ELNS1_3repE0EEENS1_44radix_sort_block_sort_config_static_selectorELNS0_4arch9wavefront6targetE0EEEvSF_.kd
    .uniform_work_group_size: 1
    .uses_dynamic_stack: false
    .vgpr_count:     0
    .vgpr_spill_count: 0
    .wavefront_size: 32
  - .args:
      - .offset:         0
        .size:           48
        .value_kind:     by_value
    .group_segment_fixed_size: 0
    .kernarg_segment_align: 8
    .kernarg_segment_size: 48
    .language:       OpenCL C
    .language_version:
      - 2
      - 0
    .max_flat_workgroup_size: 256
    .name:           _ZN7rocprim17ROCPRIM_400000_NS6detail17trampoline_kernelINS0_13kernel_configILj256ELj4ELj4294967295EEENS1_37radix_sort_block_sort_config_selectorIlNS0_10empty_typeEEEZNS1_21radix_sort_block_sortIS4_Lb0EPKlPlPS6_SC_NS0_19identity_decomposerEEE10hipError_tT1_T2_T3_T4_jRjT5_jjP12ihipStream_tbEUlT_E_NS1_11comp_targetILNS1_3genE9ELNS1_11target_archE1100ELNS1_3gpuE3ELNS1_3repE0EEENS1_44radix_sort_block_sort_config_static_selectorELNS0_4arch9wavefront6targetE0EEEvSF_
    .private_segment_fixed_size: 0
    .sgpr_count:     0
    .sgpr_spill_count: 0
    .symbol:         _ZN7rocprim17ROCPRIM_400000_NS6detail17trampoline_kernelINS0_13kernel_configILj256ELj4ELj4294967295EEENS1_37radix_sort_block_sort_config_selectorIlNS0_10empty_typeEEEZNS1_21radix_sort_block_sortIS4_Lb0EPKlPlPS6_SC_NS0_19identity_decomposerEEE10hipError_tT1_T2_T3_T4_jRjT5_jjP12ihipStream_tbEUlT_E_NS1_11comp_targetILNS1_3genE9ELNS1_11target_archE1100ELNS1_3gpuE3ELNS1_3repE0EEENS1_44radix_sort_block_sort_config_static_selectorELNS0_4arch9wavefront6targetE0EEEvSF_.kd
    .uniform_work_group_size: 1
    .uses_dynamic_stack: false
    .vgpr_count:     0
    .vgpr_spill_count: 0
    .wavefront_size: 32
  - .args:
      - .offset:         0
        .size:           48
        .value_kind:     by_value
    .group_segment_fixed_size: 0
    .kernarg_segment_align: 8
    .kernarg_segment_size: 48
    .language:       OpenCL C
    .language_version:
      - 2
      - 0
    .max_flat_workgroup_size: 256
    .name:           _ZN7rocprim17ROCPRIM_400000_NS6detail17trampoline_kernelINS0_13kernel_configILj256ELj4ELj4294967295EEENS1_37radix_sort_block_sort_config_selectorIlNS0_10empty_typeEEEZNS1_21radix_sort_block_sortIS4_Lb0EPKlPlPS6_SC_NS0_19identity_decomposerEEE10hipError_tT1_T2_T3_T4_jRjT5_jjP12ihipStream_tbEUlT_E_NS1_11comp_targetILNS1_3genE8ELNS1_11target_archE1030ELNS1_3gpuE2ELNS1_3repE0EEENS1_44radix_sort_block_sort_config_static_selectorELNS0_4arch9wavefront6targetE0EEEvSF_
    .private_segment_fixed_size: 0
    .sgpr_count:     0
    .sgpr_spill_count: 0
    .symbol:         _ZN7rocprim17ROCPRIM_400000_NS6detail17trampoline_kernelINS0_13kernel_configILj256ELj4ELj4294967295EEENS1_37radix_sort_block_sort_config_selectorIlNS0_10empty_typeEEEZNS1_21radix_sort_block_sortIS4_Lb0EPKlPlPS6_SC_NS0_19identity_decomposerEEE10hipError_tT1_T2_T3_T4_jRjT5_jjP12ihipStream_tbEUlT_E_NS1_11comp_targetILNS1_3genE8ELNS1_11target_archE1030ELNS1_3gpuE2ELNS1_3repE0EEENS1_44radix_sort_block_sort_config_static_selectorELNS0_4arch9wavefront6targetE0EEEvSF_.kd
    .uniform_work_group_size: 1
    .uses_dynamic_stack: false
    .vgpr_count:     0
    .vgpr_spill_count: 0
    .wavefront_size: 32
  - .args:
      - .offset:         0
        .size:           40
        .value_kind:     by_value
    .group_segment_fixed_size: 0
    .kernarg_segment_align: 8
    .kernarg_segment_size: 40
    .language:       OpenCL C
    .language_version:
      - 2
      - 0
    .max_flat_workgroup_size: 128
    .name:           _ZN7rocprim17ROCPRIM_400000_NS6detail17trampoline_kernelINS0_14default_configENS1_38merge_sort_block_merge_config_selectorIlNS0_10empty_typeEEEZZNS1_27merge_sort_block_merge_implIS3_PlPS5_jNS1_19radix_merge_compareILb0ELb0ElNS0_19identity_decomposerEEEEE10hipError_tT0_T1_T2_jT3_P12ihipStream_tbPNSt15iterator_traitsISE_E10value_typeEPNSK_ISF_E10value_typeEPSG_NS1_7vsmem_tEENKUlT_SE_SF_SG_E_clIS8_S8_S9_S9_EESD_ST_SE_SF_SG_EUlST_E_NS1_11comp_targetILNS1_3genE0ELNS1_11target_archE4294967295ELNS1_3gpuE0ELNS1_3repE0EEENS1_48merge_mergepath_partition_config_static_selectorELNS0_4arch9wavefront6targetE0EEEvSF_
    .private_segment_fixed_size: 0
    .sgpr_count:     8
    .sgpr_spill_count: 0
    .symbol:         _ZN7rocprim17ROCPRIM_400000_NS6detail17trampoline_kernelINS0_14default_configENS1_38merge_sort_block_merge_config_selectorIlNS0_10empty_typeEEEZZNS1_27merge_sort_block_merge_implIS3_PlPS5_jNS1_19radix_merge_compareILb0ELb0ElNS0_19identity_decomposerEEEEE10hipError_tT0_T1_T2_jT3_P12ihipStream_tbPNSt15iterator_traitsISE_E10value_typeEPNSK_ISF_E10value_typeEPSG_NS1_7vsmem_tEENKUlT_SE_SF_SG_E_clIS8_S8_S9_S9_EESD_ST_SE_SF_SG_EUlST_E_NS1_11comp_targetILNS1_3genE0ELNS1_11target_archE4294967295ELNS1_3gpuE0ELNS1_3repE0EEENS1_48merge_mergepath_partition_config_static_selectorELNS0_4arch9wavefront6targetE0EEEvSF_.kd
    .uniform_work_group_size: 1
    .uses_dynamic_stack: false
    .vgpr_count:     20
    .vgpr_spill_count: 0
    .wavefront_size: 32
  - .args:
      - .offset:         0
        .size:           40
        .value_kind:     by_value
    .group_segment_fixed_size: 0
    .kernarg_segment_align: 8
    .kernarg_segment_size: 40
    .language:       OpenCL C
    .language_version:
      - 2
      - 0
    .max_flat_workgroup_size: 128
    .name:           _ZN7rocprim17ROCPRIM_400000_NS6detail17trampoline_kernelINS0_14default_configENS1_38merge_sort_block_merge_config_selectorIlNS0_10empty_typeEEEZZNS1_27merge_sort_block_merge_implIS3_PlPS5_jNS1_19radix_merge_compareILb0ELb0ElNS0_19identity_decomposerEEEEE10hipError_tT0_T1_T2_jT3_P12ihipStream_tbPNSt15iterator_traitsISE_E10value_typeEPNSK_ISF_E10value_typeEPSG_NS1_7vsmem_tEENKUlT_SE_SF_SG_E_clIS8_S8_S9_S9_EESD_ST_SE_SF_SG_EUlST_E_NS1_11comp_targetILNS1_3genE10ELNS1_11target_archE1201ELNS1_3gpuE5ELNS1_3repE0EEENS1_48merge_mergepath_partition_config_static_selectorELNS0_4arch9wavefront6targetE0EEEvSF_
    .private_segment_fixed_size: 0
    .sgpr_count:     0
    .sgpr_spill_count: 0
    .symbol:         _ZN7rocprim17ROCPRIM_400000_NS6detail17trampoline_kernelINS0_14default_configENS1_38merge_sort_block_merge_config_selectorIlNS0_10empty_typeEEEZZNS1_27merge_sort_block_merge_implIS3_PlPS5_jNS1_19radix_merge_compareILb0ELb0ElNS0_19identity_decomposerEEEEE10hipError_tT0_T1_T2_jT3_P12ihipStream_tbPNSt15iterator_traitsISE_E10value_typeEPNSK_ISF_E10value_typeEPSG_NS1_7vsmem_tEENKUlT_SE_SF_SG_E_clIS8_S8_S9_S9_EESD_ST_SE_SF_SG_EUlST_E_NS1_11comp_targetILNS1_3genE10ELNS1_11target_archE1201ELNS1_3gpuE5ELNS1_3repE0EEENS1_48merge_mergepath_partition_config_static_selectorELNS0_4arch9wavefront6targetE0EEEvSF_.kd
    .uniform_work_group_size: 1
    .uses_dynamic_stack: false
    .vgpr_count:     0
    .vgpr_spill_count: 0
    .wavefront_size: 32
  - .args:
      - .offset:         0
        .size:           40
        .value_kind:     by_value
    .group_segment_fixed_size: 0
    .kernarg_segment_align: 8
    .kernarg_segment_size: 40
    .language:       OpenCL C
    .language_version:
      - 2
      - 0
    .max_flat_workgroup_size: 128
    .name:           _ZN7rocprim17ROCPRIM_400000_NS6detail17trampoline_kernelINS0_14default_configENS1_38merge_sort_block_merge_config_selectorIlNS0_10empty_typeEEEZZNS1_27merge_sort_block_merge_implIS3_PlPS5_jNS1_19radix_merge_compareILb0ELb0ElNS0_19identity_decomposerEEEEE10hipError_tT0_T1_T2_jT3_P12ihipStream_tbPNSt15iterator_traitsISE_E10value_typeEPNSK_ISF_E10value_typeEPSG_NS1_7vsmem_tEENKUlT_SE_SF_SG_E_clIS8_S8_S9_S9_EESD_ST_SE_SF_SG_EUlST_E_NS1_11comp_targetILNS1_3genE5ELNS1_11target_archE942ELNS1_3gpuE9ELNS1_3repE0EEENS1_48merge_mergepath_partition_config_static_selectorELNS0_4arch9wavefront6targetE0EEEvSF_
    .private_segment_fixed_size: 0
    .sgpr_count:     0
    .sgpr_spill_count: 0
    .symbol:         _ZN7rocprim17ROCPRIM_400000_NS6detail17trampoline_kernelINS0_14default_configENS1_38merge_sort_block_merge_config_selectorIlNS0_10empty_typeEEEZZNS1_27merge_sort_block_merge_implIS3_PlPS5_jNS1_19radix_merge_compareILb0ELb0ElNS0_19identity_decomposerEEEEE10hipError_tT0_T1_T2_jT3_P12ihipStream_tbPNSt15iterator_traitsISE_E10value_typeEPNSK_ISF_E10value_typeEPSG_NS1_7vsmem_tEENKUlT_SE_SF_SG_E_clIS8_S8_S9_S9_EESD_ST_SE_SF_SG_EUlST_E_NS1_11comp_targetILNS1_3genE5ELNS1_11target_archE942ELNS1_3gpuE9ELNS1_3repE0EEENS1_48merge_mergepath_partition_config_static_selectorELNS0_4arch9wavefront6targetE0EEEvSF_.kd
    .uniform_work_group_size: 1
    .uses_dynamic_stack: false
    .vgpr_count:     0
    .vgpr_spill_count: 0
    .wavefront_size: 32
  - .args:
      - .offset:         0
        .size:           40
        .value_kind:     by_value
    .group_segment_fixed_size: 0
    .kernarg_segment_align: 8
    .kernarg_segment_size: 40
    .language:       OpenCL C
    .language_version:
      - 2
      - 0
    .max_flat_workgroup_size: 128
    .name:           _ZN7rocprim17ROCPRIM_400000_NS6detail17trampoline_kernelINS0_14default_configENS1_38merge_sort_block_merge_config_selectorIlNS0_10empty_typeEEEZZNS1_27merge_sort_block_merge_implIS3_PlPS5_jNS1_19radix_merge_compareILb0ELb0ElNS0_19identity_decomposerEEEEE10hipError_tT0_T1_T2_jT3_P12ihipStream_tbPNSt15iterator_traitsISE_E10value_typeEPNSK_ISF_E10value_typeEPSG_NS1_7vsmem_tEENKUlT_SE_SF_SG_E_clIS8_S8_S9_S9_EESD_ST_SE_SF_SG_EUlST_E_NS1_11comp_targetILNS1_3genE4ELNS1_11target_archE910ELNS1_3gpuE8ELNS1_3repE0EEENS1_48merge_mergepath_partition_config_static_selectorELNS0_4arch9wavefront6targetE0EEEvSF_
    .private_segment_fixed_size: 0
    .sgpr_count:     0
    .sgpr_spill_count: 0
    .symbol:         _ZN7rocprim17ROCPRIM_400000_NS6detail17trampoline_kernelINS0_14default_configENS1_38merge_sort_block_merge_config_selectorIlNS0_10empty_typeEEEZZNS1_27merge_sort_block_merge_implIS3_PlPS5_jNS1_19radix_merge_compareILb0ELb0ElNS0_19identity_decomposerEEEEE10hipError_tT0_T1_T2_jT3_P12ihipStream_tbPNSt15iterator_traitsISE_E10value_typeEPNSK_ISF_E10value_typeEPSG_NS1_7vsmem_tEENKUlT_SE_SF_SG_E_clIS8_S8_S9_S9_EESD_ST_SE_SF_SG_EUlST_E_NS1_11comp_targetILNS1_3genE4ELNS1_11target_archE910ELNS1_3gpuE8ELNS1_3repE0EEENS1_48merge_mergepath_partition_config_static_selectorELNS0_4arch9wavefront6targetE0EEEvSF_.kd
    .uniform_work_group_size: 1
    .uses_dynamic_stack: false
    .vgpr_count:     0
    .vgpr_spill_count: 0
    .wavefront_size: 32
  - .args:
      - .offset:         0
        .size:           40
        .value_kind:     by_value
    .group_segment_fixed_size: 0
    .kernarg_segment_align: 8
    .kernarg_segment_size: 40
    .language:       OpenCL C
    .language_version:
      - 2
      - 0
    .max_flat_workgroup_size: 128
    .name:           _ZN7rocprim17ROCPRIM_400000_NS6detail17trampoline_kernelINS0_14default_configENS1_38merge_sort_block_merge_config_selectorIlNS0_10empty_typeEEEZZNS1_27merge_sort_block_merge_implIS3_PlPS5_jNS1_19radix_merge_compareILb0ELb0ElNS0_19identity_decomposerEEEEE10hipError_tT0_T1_T2_jT3_P12ihipStream_tbPNSt15iterator_traitsISE_E10value_typeEPNSK_ISF_E10value_typeEPSG_NS1_7vsmem_tEENKUlT_SE_SF_SG_E_clIS8_S8_S9_S9_EESD_ST_SE_SF_SG_EUlST_E_NS1_11comp_targetILNS1_3genE3ELNS1_11target_archE908ELNS1_3gpuE7ELNS1_3repE0EEENS1_48merge_mergepath_partition_config_static_selectorELNS0_4arch9wavefront6targetE0EEEvSF_
    .private_segment_fixed_size: 0
    .sgpr_count:     0
    .sgpr_spill_count: 0
    .symbol:         _ZN7rocprim17ROCPRIM_400000_NS6detail17trampoline_kernelINS0_14default_configENS1_38merge_sort_block_merge_config_selectorIlNS0_10empty_typeEEEZZNS1_27merge_sort_block_merge_implIS3_PlPS5_jNS1_19radix_merge_compareILb0ELb0ElNS0_19identity_decomposerEEEEE10hipError_tT0_T1_T2_jT3_P12ihipStream_tbPNSt15iterator_traitsISE_E10value_typeEPNSK_ISF_E10value_typeEPSG_NS1_7vsmem_tEENKUlT_SE_SF_SG_E_clIS8_S8_S9_S9_EESD_ST_SE_SF_SG_EUlST_E_NS1_11comp_targetILNS1_3genE3ELNS1_11target_archE908ELNS1_3gpuE7ELNS1_3repE0EEENS1_48merge_mergepath_partition_config_static_selectorELNS0_4arch9wavefront6targetE0EEEvSF_.kd
    .uniform_work_group_size: 1
    .uses_dynamic_stack: false
    .vgpr_count:     0
    .vgpr_spill_count: 0
    .wavefront_size: 32
  - .args:
      - .offset:         0
        .size:           40
        .value_kind:     by_value
    .group_segment_fixed_size: 0
    .kernarg_segment_align: 8
    .kernarg_segment_size: 40
    .language:       OpenCL C
    .language_version:
      - 2
      - 0
    .max_flat_workgroup_size: 128
    .name:           _ZN7rocprim17ROCPRIM_400000_NS6detail17trampoline_kernelINS0_14default_configENS1_38merge_sort_block_merge_config_selectorIlNS0_10empty_typeEEEZZNS1_27merge_sort_block_merge_implIS3_PlPS5_jNS1_19radix_merge_compareILb0ELb0ElNS0_19identity_decomposerEEEEE10hipError_tT0_T1_T2_jT3_P12ihipStream_tbPNSt15iterator_traitsISE_E10value_typeEPNSK_ISF_E10value_typeEPSG_NS1_7vsmem_tEENKUlT_SE_SF_SG_E_clIS8_S8_S9_S9_EESD_ST_SE_SF_SG_EUlST_E_NS1_11comp_targetILNS1_3genE2ELNS1_11target_archE906ELNS1_3gpuE6ELNS1_3repE0EEENS1_48merge_mergepath_partition_config_static_selectorELNS0_4arch9wavefront6targetE0EEEvSF_
    .private_segment_fixed_size: 0
    .sgpr_count:     0
    .sgpr_spill_count: 0
    .symbol:         _ZN7rocprim17ROCPRIM_400000_NS6detail17trampoline_kernelINS0_14default_configENS1_38merge_sort_block_merge_config_selectorIlNS0_10empty_typeEEEZZNS1_27merge_sort_block_merge_implIS3_PlPS5_jNS1_19radix_merge_compareILb0ELb0ElNS0_19identity_decomposerEEEEE10hipError_tT0_T1_T2_jT3_P12ihipStream_tbPNSt15iterator_traitsISE_E10value_typeEPNSK_ISF_E10value_typeEPSG_NS1_7vsmem_tEENKUlT_SE_SF_SG_E_clIS8_S8_S9_S9_EESD_ST_SE_SF_SG_EUlST_E_NS1_11comp_targetILNS1_3genE2ELNS1_11target_archE906ELNS1_3gpuE6ELNS1_3repE0EEENS1_48merge_mergepath_partition_config_static_selectorELNS0_4arch9wavefront6targetE0EEEvSF_.kd
    .uniform_work_group_size: 1
    .uses_dynamic_stack: false
    .vgpr_count:     0
    .vgpr_spill_count: 0
    .wavefront_size: 32
  - .args:
      - .offset:         0
        .size:           40
        .value_kind:     by_value
    .group_segment_fixed_size: 0
    .kernarg_segment_align: 8
    .kernarg_segment_size: 40
    .language:       OpenCL C
    .language_version:
      - 2
      - 0
    .max_flat_workgroup_size: 128
    .name:           _ZN7rocprim17ROCPRIM_400000_NS6detail17trampoline_kernelINS0_14default_configENS1_38merge_sort_block_merge_config_selectorIlNS0_10empty_typeEEEZZNS1_27merge_sort_block_merge_implIS3_PlPS5_jNS1_19radix_merge_compareILb0ELb0ElNS0_19identity_decomposerEEEEE10hipError_tT0_T1_T2_jT3_P12ihipStream_tbPNSt15iterator_traitsISE_E10value_typeEPNSK_ISF_E10value_typeEPSG_NS1_7vsmem_tEENKUlT_SE_SF_SG_E_clIS8_S8_S9_S9_EESD_ST_SE_SF_SG_EUlST_E_NS1_11comp_targetILNS1_3genE9ELNS1_11target_archE1100ELNS1_3gpuE3ELNS1_3repE0EEENS1_48merge_mergepath_partition_config_static_selectorELNS0_4arch9wavefront6targetE0EEEvSF_
    .private_segment_fixed_size: 0
    .sgpr_count:     0
    .sgpr_spill_count: 0
    .symbol:         _ZN7rocprim17ROCPRIM_400000_NS6detail17trampoline_kernelINS0_14default_configENS1_38merge_sort_block_merge_config_selectorIlNS0_10empty_typeEEEZZNS1_27merge_sort_block_merge_implIS3_PlPS5_jNS1_19radix_merge_compareILb0ELb0ElNS0_19identity_decomposerEEEEE10hipError_tT0_T1_T2_jT3_P12ihipStream_tbPNSt15iterator_traitsISE_E10value_typeEPNSK_ISF_E10value_typeEPSG_NS1_7vsmem_tEENKUlT_SE_SF_SG_E_clIS8_S8_S9_S9_EESD_ST_SE_SF_SG_EUlST_E_NS1_11comp_targetILNS1_3genE9ELNS1_11target_archE1100ELNS1_3gpuE3ELNS1_3repE0EEENS1_48merge_mergepath_partition_config_static_selectorELNS0_4arch9wavefront6targetE0EEEvSF_.kd
    .uniform_work_group_size: 1
    .uses_dynamic_stack: false
    .vgpr_count:     0
    .vgpr_spill_count: 0
    .wavefront_size: 32
  - .args:
      - .offset:         0
        .size:           40
        .value_kind:     by_value
    .group_segment_fixed_size: 0
    .kernarg_segment_align: 8
    .kernarg_segment_size: 40
    .language:       OpenCL C
    .language_version:
      - 2
      - 0
    .max_flat_workgroup_size: 128
    .name:           _ZN7rocprim17ROCPRIM_400000_NS6detail17trampoline_kernelINS0_14default_configENS1_38merge_sort_block_merge_config_selectorIlNS0_10empty_typeEEEZZNS1_27merge_sort_block_merge_implIS3_PlPS5_jNS1_19radix_merge_compareILb0ELb0ElNS0_19identity_decomposerEEEEE10hipError_tT0_T1_T2_jT3_P12ihipStream_tbPNSt15iterator_traitsISE_E10value_typeEPNSK_ISF_E10value_typeEPSG_NS1_7vsmem_tEENKUlT_SE_SF_SG_E_clIS8_S8_S9_S9_EESD_ST_SE_SF_SG_EUlST_E_NS1_11comp_targetILNS1_3genE8ELNS1_11target_archE1030ELNS1_3gpuE2ELNS1_3repE0EEENS1_48merge_mergepath_partition_config_static_selectorELNS0_4arch9wavefront6targetE0EEEvSF_
    .private_segment_fixed_size: 0
    .sgpr_count:     0
    .sgpr_spill_count: 0
    .symbol:         _ZN7rocprim17ROCPRIM_400000_NS6detail17trampoline_kernelINS0_14default_configENS1_38merge_sort_block_merge_config_selectorIlNS0_10empty_typeEEEZZNS1_27merge_sort_block_merge_implIS3_PlPS5_jNS1_19radix_merge_compareILb0ELb0ElNS0_19identity_decomposerEEEEE10hipError_tT0_T1_T2_jT3_P12ihipStream_tbPNSt15iterator_traitsISE_E10value_typeEPNSK_ISF_E10value_typeEPSG_NS1_7vsmem_tEENKUlT_SE_SF_SG_E_clIS8_S8_S9_S9_EESD_ST_SE_SF_SG_EUlST_E_NS1_11comp_targetILNS1_3genE8ELNS1_11target_archE1030ELNS1_3gpuE2ELNS1_3repE0EEENS1_48merge_mergepath_partition_config_static_selectorELNS0_4arch9wavefront6targetE0EEEvSF_.kd
    .uniform_work_group_size: 1
    .uses_dynamic_stack: false
    .vgpr_count:     0
    .vgpr_spill_count: 0
    .wavefront_size: 32
  - .args:
      - .offset:         0
        .size:           64
        .value_kind:     by_value
      - .offset:         64
        .size:           4
        .value_kind:     hidden_block_count_x
      - .offset:         68
        .size:           4
        .value_kind:     hidden_block_count_y
      - .offset:         72
        .size:           4
        .value_kind:     hidden_block_count_z
      - .offset:         76
        .size:           2
        .value_kind:     hidden_group_size_x
      - .offset:         78
        .size:           2
        .value_kind:     hidden_group_size_y
      - .offset:         80
        .size:           2
        .value_kind:     hidden_group_size_z
      - .offset:         82
        .size:           2
        .value_kind:     hidden_remainder_x
      - .offset:         84
        .size:           2
        .value_kind:     hidden_remainder_y
      - .offset:         86
        .size:           2
        .value_kind:     hidden_remainder_z
      - .offset:         104
        .size:           8
        .value_kind:     hidden_global_offset_x
      - .offset:         112
        .size:           8
        .value_kind:     hidden_global_offset_y
      - .offset:         120
        .size:           8
        .value_kind:     hidden_global_offset_z
      - .offset:         128
        .size:           2
        .value_kind:     hidden_grid_dims
    .group_segment_fixed_size: 8448
    .kernarg_segment_align: 8
    .kernarg_segment_size: 320
    .language:       OpenCL C
    .language_version:
      - 2
      - 0
    .max_flat_workgroup_size: 128
    .name:           _ZN7rocprim17ROCPRIM_400000_NS6detail17trampoline_kernelINS0_14default_configENS1_38merge_sort_block_merge_config_selectorIlNS0_10empty_typeEEEZZNS1_27merge_sort_block_merge_implIS3_PlPS5_jNS1_19radix_merge_compareILb0ELb0ElNS0_19identity_decomposerEEEEE10hipError_tT0_T1_T2_jT3_P12ihipStream_tbPNSt15iterator_traitsISE_E10value_typeEPNSK_ISF_E10value_typeEPSG_NS1_7vsmem_tEENKUlT_SE_SF_SG_E_clIS8_S8_S9_S9_EESD_ST_SE_SF_SG_EUlST_E0_NS1_11comp_targetILNS1_3genE0ELNS1_11target_archE4294967295ELNS1_3gpuE0ELNS1_3repE0EEENS1_38merge_mergepath_config_static_selectorELNS0_4arch9wavefront6targetE0EEEvSF_
    .private_segment_fixed_size: 0
    .sgpr_count:     25
    .sgpr_spill_count: 0
    .symbol:         _ZN7rocprim17ROCPRIM_400000_NS6detail17trampoline_kernelINS0_14default_configENS1_38merge_sort_block_merge_config_selectorIlNS0_10empty_typeEEEZZNS1_27merge_sort_block_merge_implIS3_PlPS5_jNS1_19radix_merge_compareILb0ELb0ElNS0_19identity_decomposerEEEEE10hipError_tT0_T1_T2_jT3_P12ihipStream_tbPNSt15iterator_traitsISE_E10value_typeEPNSK_ISF_E10value_typeEPSG_NS1_7vsmem_tEENKUlT_SE_SF_SG_E_clIS8_S8_S9_S9_EESD_ST_SE_SF_SG_EUlST_E0_NS1_11comp_targetILNS1_3genE0ELNS1_11target_archE4294967295ELNS1_3gpuE0ELNS1_3repE0EEENS1_38merge_mergepath_config_static_selectorELNS0_4arch9wavefront6targetE0EEEvSF_.kd
    .uniform_work_group_size: 1
    .uses_dynamic_stack: false
    .vgpr_count:     38
    .vgpr_spill_count: 0
    .wavefront_size: 32
  - .args:
      - .offset:         0
        .size:           64
        .value_kind:     by_value
    .group_segment_fixed_size: 0
    .kernarg_segment_align: 8
    .kernarg_segment_size: 64
    .language:       OpenCL C
    .language_version:
      - 2
      - 0
    .max_flat_workgroup_size: 512
    .name:           _ZN7rocprim17ROCPRIM_400000_NS6detail17trampoline_kernelINS0_14default_configENS1_38merge_sort_block_merge_config_selectorIlNS0_10empty_typeEEEZZNS1_27merge_sort_block_merge_implIS3_PlPS5_jNS1_19radix_merge_compareILb0ELb0ElNS0_19identity_decomposerEEEEE10hipError_tT0_T1_T2_jT3_P12ihipStream_tbPNSt15iterator_traitsISE_E10value_typeEPNSK_ISF_E10value_typeEPSG_NS1_7vsmem_tEENKUlT_SE_SF_SG_E_clIS8_S8_S9_S9_EESD_ST_SE_SF_SG_EUlST_E0_NS1_11comp_targetILNS1_3genE10ELNS1_11target_archE1201ELNS1_3gpuE5ELNS1_3repE0EEENS1_38merge_mergepath_config_static_selectorELNS0_4arch9wavefront6targetE0EEEvSF_
    .private_segment_fixed_size: 0
    .sgpr_count:     0
    .sgpr_spill_count: 0
    .symbol:         _ZN7rocprim17ROCPRIM_400000_NS6detail17trampoline_kernelINS0_14default_configENS1_38merge_sort_block_merge_config_selectorIlNS0_10empty_typeEEEZZNS1_27merge_sort_block_merge_implIS3_PlPS5_jNS1_19radix_merge_compareILb0ELb0ElNS0_19identity_decomposerEEEEE10hipError_tT0_T1_T2_jT3_P12ihipStream_tbPNSt15iterator_traitsISE_E10value_typeEPNSK_ISF_E10value_typeEPSG_NS1_7vsmem_tEENKUlT_SE_SF_SG_E_clIS8_S8_S9_S9_EESD_ST_SE_SF_SG_EUlST_E0_NS1_11comp_targetILNS1_3genE10ELNS1_11target_archE1201ELNS1_3gpuE5ELNS1_3repE0EEENS1_38merge_mergepath_config_static_selectorELNS0_4arch9wavefront6targetE0EEEvSF_.kd
    .uniform_work_group_size: 1
    .uses_dynamic_stack: false
    .vgpr_count:     0
    .vgpr_spill_count: 0
    .wavefront_size: 32
  - .args:
      - .offset:         0
        .size:           64
        .value_kind:     by_value
    .group_segment_fixed_size: 0
    .kernarg_segment_align: 8
    .kernarg_segment_size: 64
    .language:       OpenCL C
    .language_version:
      - 2
      - 0
    .max_flat_workgroup_size: 128
    .name:           _ZN7rocprim17ROCPRIM_400000_NS6detail17trampoline_kernelINS0_14default_configENS1_38merge_sort_block_merge_config_selectorIlNS0_10empty_typeEEEZZNS1_27merge_sort_block_merge_implIS3_PlPS5_jNS1_19radix_merge_compareILb0ELb0ElNS0_19identity_decomposerEEEEE10hipError_tT0_T1_T2_jT3_P12ihipStream_tbPNSt15iterator_traitsISE_E10value_typeEPNSK_ISF_E10value_typeEPSG_NS1_7vsmem_tEENKUlT_SE_SF_SG_E_clIS8_S8_S9_S9_EESD_ST_SE_SF_SG_EUlST_E0_NS1_11comp_targetILNS1_3genE5ELNS1_11target_archE942ELNS1_3gpuE9ELNS1_3repE0EEENS1_38merge_mergepath_config_static_selectorELNS0_4arch9wavefront6targetE0EEEvSF_
    .private_segment_fixed_size: 0
    .sgpr_count:     0
    .sgpr_spill_count: 0
    .symbol:         _ZN7rocprim17ROCPRIM_400000_NS6detail17trampoline_kernelINS0_14default_configENS1_38merge_sort_block_merge_config_selectorIlNS0_10empty_typeEEEZZNS1_27merge_sort_block_merge_implIS3_PlPS5_jNS1_19radix_merge_compareILb0ELb0ElNS0_19identity_decomposerEEEEE10hipError_tT0_T1_T2_jT3_P12ihipStream_tbPNSt15iterator_traitsISE_E10value_typeEPNSK_ISF_E10value_typeEPSG_NS1_7vsmem_tEENKUlT_SE_SF_SG_E_clIS8_S8_S9_S9_EESD_ST_SE_SF_SG_EUlST_E0_NS1_11comp_targetILNS1_3genE5ELNS1_11target_archE942ELNS1_3gpuE9ELNS1_3repE0EEENS1_38merge_mergepath_config_static_selectorELNS0_4arch9wavefront6targetE0EEEvSF_.kd
    .uniform_work_group_size: 1
    .uses_dynamic_stack: false
    .vgpr_count:     0
    .vgpr_spill_count: 0
    .wavefront_size: 32
  - .args:
      - .offset:         0
        .size:           64
        .value_kind:     by_value
    .group_segment_fixed_size: 0
    .kernarg_segment_align: 8
    .kernarg_segment_size: 64
    .language:       OpenCL C
    .language_version:
      - 2
      - 0
    .max_flat_workgroup_size: 256
    .name:           _ZN7rocprim17ROCPRIM_400000_NS6detail17trampoline_kernelINS0_14default_configENS1_38merge_sort_block_merge_config_selectorIlNS0_10empty_typeEEEZZNS1_27merge_sort_block_merge_implIS3_PlPS5_jNS1_19radix_merge_compareILb0ELb0ElNS0_19identity_decomposerEEEEE10hipError_tT0_T1_T2_jT3_P12ihipStream_tbPNSt15iterator_traitsISE_E10value_typeEPNSK_ISF_E10value_typeEPSG_NS1_7vsmem_tEENKUlT_SE_SF_SG_E_clIS8_S8_S9_S9_EESD_ST_SE_SF_SG_EUlST_E0_NS1_11comp_targetILNS1_3genE4ELNS1_11target_archE910ELNS1_3gpuE8ELNS1_3repE0EEENS1_38merge_mergepath_config_static_selectorELNS0_4arch9wavefront6targetE0EEEvSF_
    .private_segment_fixed_size: 0
    .sgpr_count:     0
    .sgpr_spill_count: 0
    .symbol:         _ZN7rocprim17ROCPRIM_400000_NS6detail17trampoline_kernelINS0_14default_configENS1_38merge_sort_block_merge_config_selectorIlNS0_10empty_typeEEEZZNS1_27merge_sort_block_merge_implIS3_PlPS5_jNS1_19radix_merge_compareILb0ELb0ElNS0_19identity_decomposerEEEEE10hipError_tT0_T1_T2_jT3_P12ihipStream_tbPNSt15iterator_traitsISE_E10value_typeEPNSK_ISF_E10value_typeEPSG_NS1_7vsmem_tEENKUlT_SE_SF_SG_E_clIS8_S8_S9_S9_EESD_ST_SE_SF_SG_EUlST_E0_NS1_11comp_targetILNS1_3genE4ELNS1_11target_archE910ELNS1_3gpuE8ELNS1_3repE0EEENS1_38merge_mergepath_config_static_selectorELNS0_4arch9wavefront6targetE0EEEvSF_.kd
    .uniform_work_group_size: 1
    .uses_dynamic_stack: false
    .vgpr_count:     0
    .vgpr_spill_count: 0
    .wavefront_size: 32
  - .args:
      - .offset:         0
        .size:           64
        .value_kind:     by_value
    .group_segment_fixed_size: 0
    .kernarg_segment_align: 8
    .kernarg_segment_size: 64
    .language:       OpenCL C
    .language_version:
      - 2
      - 0
    .max_flat_workgroup_size: 128
    .name:           _ZN7rocprim17ROCPRIM_400000_NS6detail17trampoline_kernelINS0_14default_configENS1_38merge_sort_block_merge_config_selectorIlNS0_10empty_typeEEEZZNS1_27merge_sort_block_merge_implIS3_PlPS5_jNS1_19radix_merge_compareILb0ELb0ElNS0_19identity_decomposerEEEEE10hipError_tT0_T1_T2_jT3_P12ihipStream_tbPNSt15iterator_traitsISE_E10value_typeEPNSK_ISF_E10value_typeEPSG_NS1_7vsmem_tEENKUlT_SE_SF_SG_E_clIS8_S8_S9_S9_EESD_ST_SE_SF_SG_EUlST_E0_NS1_11comp_targetILNS1_3genE3ELNS1_11target_archE908ELNS1_3gpuE7ELNS1_3repE0EEENS1_38merge_mergepath_config_static_selectorELNS0_4arch9wavefront6targetE0EEEvSF_
    .private_segment_fixed_size: 0
    .sgpr_count:     0
    .sgpr_spill_count: 0
    .symbol:         _ZN7rocprim17ROCPRIM_400000_NS6detail17trampoline_kernelINS0_14default_configENS1_38merge_sort_block_merge_config_selectorIlNS0_10empty_typeEEEZZNS1_27merge_sort_block_merge_implIS3_PlPS5_jNS1_19radix_merge_compareILb0ELb0ElNS0_19identity_decomposerEEEEE10hipError_tT0_T1_T2_jT3_P12ihipStream_tbPNSt15iterator_traitsISE_E10value_typeEPNSK_ISF_E10value_typeEPSG_NS1_7vsmem_tEENKUlT_SE_SF_SG_E_clIS8_S8_S9_S9_EESD_ST_SE_SF_SG_EUlST_E0_NS1_11comp_targetILNS1_3genE3ELNS1_11target_archE908ELNS1_3gpuE7ELNS1_3repE0EEENS1_38merge_mergepath_config_static_selectorELNS0_4arch9wavefront6targetE0EEEvSF_.kd
    .uniform_work_group_size: 1
    .uses_dynamic_stack: false
    .vgpr_count:     0
    .vgpr_spill_count: 0
    .wavefront_size: 32
  - .args:
      - .offset:         0
        .size:           64
        .value_kind:     by_value
    .group_segment_fixed_size: 0
    .kernarg_segment_align: 8
    .kernarg_segment_size: 64
    .language:       OpenCL C
    .language_version:
      - 2
      - 0
    .max_flat_workgroup_size: 256
    .name:           _ZN7rocprim17ROCPRIM_400000_NS6detail17trampoline_kernelINS0_14default_configENS1_38merge_sort_block_merge_config_selectorIlNS0_10empty_typeEEEZZNS1_27merge_sort_block_merge_implIS3_PlPS5_jNS1_19radix_merge_compareILb0ELb0ElNS0_19identity_decomposerEEEEE10hipError_tT0_T1_T2_jT3_P12ihipStream_tbPNSt15iterator_traitsISE_E10value_typeEPNSK_ISF_E10value_typeEPSG_NS1_7vsmem_tEENKUlT_SE_SF_SG_E_clIS8_S8_S9_S9_EESD_ST_SE_SF_SG_EUlST_E0_NS1_11comp_targetILNS1_3genE2ELNS1_11target_archE906ELNS1_3gpuE6ELNS1_3repE0EEENS1_38merge_mergepath_config_static_selectorELNS0_4arch9wavefront6targetE0EEEvSF_
    .private_segment_fixed_size: 0
    .sgpr_count:     0
    .sgpr_spill_count: 0
    .symbol:         _ZN7rocprim17ROCPRIM_400000_NS6detail17trampoline_kernelINS0_14default_configENS1_38merge_sort_block_merge_config_selectorIlNS0_10empty_typeEEEZZNS1_27merge_sort_block_merge_implIS3_PlPS5_jNS1_19radix_merge_compareILb0ELb0ElNS0_19identity_decomposerEEEEE10hipError_tT0_T1_T2_jT3_P12ihipStream_tbPNSt15iterator_traitsISE_E10value_typeEPNSK_ISF_E10value_typeEPSG_NS1_7vsmem_tEENKUlT_SE_SF_SG_E_clIS8_S8_S9_S9_EESD_ST_SE_SF_SG_EUlST_E0_NS1_11comp_targetILNS1_3genE2ELNS1_11target_archE906ELNS1_3gpuE6ELNS1_3repE0EEENS1_38merge_mergepath_config_static_selectorELNS0_4arch9wavefront6targetE0EEEvSF_.kd
    .uniform_work_group_size: 1
    .uses_dynamic_stack: false
    .vgpr_count:     0
    .vgpr_spill_count: 0
    .wavefront_size: 32
  - .args:
      - .offset:         0
        .size:           64
        .value_kind:     by_value
    .group_segment_fixed_size: 0
    .kernarg_segment_align: 8
    .kernarg_segment_size: 64
    .language:       OpenCL C
    .language_version:
      - 2
      - 0
    .max_flat_workgroup_size: 512
    .name:           _ZN7rocprim17ROCPRIM_400000_NS6detail17trampoline_kernelINS0_14default_configENS1_38merge_sort_block_merge_config_selectorIlNS0_10empty_typeEEEZZNS1_27merge_sort_block_merge_implIS3_PlPS5_jNS1_19radix_merge_compareILb0ELb0ElNS0_19identity_decomposerEEEEE10hipError_tT0_T1_T2_jT3_P12ihipStream_tbPNSt15iterator_traitsISE_E10value_typeEPNSK_ISF_E10value_typeEPSG_NS1_7vsmem_tEENKUlT_SE_SF_SG_E_clIS8_S8_S9_S9_EESD_ST_SE_SF_SG_EUlST_E0_NS1_11comp_targetILNS1_3genE9ELNS1_11target_archE1100ELNS1_3gpuE3ELNS1_3repE0EEENS1_38merge_mergepath_config_static_selectorELNS0_4arch9wavefront6targetE0EEEvSF_
    .private_segment_fixed_size: 0
    .sgpr_count:     0
    .sgpr_spill_count: 0
    .symbol:         _ZN7rocprim17ROCPRIM_400000_NS6detail17trampoline_kernelINS0_14default_configENS1_38merge_sort_block_merge_config_selectorIlNS0_10empty_typeEEEZZNS1_27merge_sort_block_merge_implIS3_PlPS5_jNS1_19radix_merge_compareILb0ELb0ElNS0_19identity_decomposerEEEEE10hipError_tT0_T1_T2_jT3_P12ihipStream_tbPNSt15iterator_traitsISE_E10value_typeEPNSK_ISF_E10value_typeEPSG_NS1_7vsmem_tEENKUlT_SE_SF_SG_E_clIS8_S8_S9_S9_EESD_ST_SE_SF_SG_EUlST_E0_NS1_11comp_targetILNS1_3genE9ELNS1_11target_archE1100ELNS1_3gpuE3ELNS1_3repE0EEENS1_38merge_mergepath_config_static_selectorELNS0_4arch9wavefront6targetE0EEEvSF_.kd
    .uniform_work_group_size: 1
    .uses_dynamic_stack: false
    .vgpr_count:     0
    .vgpr_spill_count: 0
    .wavefront_size: 32
  - .args:
      - .offset:         0
        .size:           64
        .value_kind:     by_value
    .group_segment_fixed_size: 0
    .kernarg_segment_align: 8
    .kernarg_segment_size: 64
    .language:       OpenCL C
    .language_version:
      - 2
      - 0
    .max_flat_workgroup_size: 1024
    .name:           _ZN7rocprim17ROCPRIM_400000_NS6detail17trampoline_kernelINS0_14default_configENS1_38merge_sort_block_merge_config_selectorIlNS0_10empty_typeEEEZZNS1_27merge_sort_block_merge_implIS3_PlPS5_jNS1_19radix_merge_compareILb0ELb0ElNS0_19identity_decomposerEEEEE10hipError_tT0_T1_T2_jT3_P12ihipStream_tbPNSt15iterator_traitsISE_E10value_typeEPNSK_ISF_E10value_typeEPSG_NS1_7vsmem_tEENKUlT_SE_SF_SG_E_clIS8_S8_S9_S9_EESD_ST_SE_SF_SG_EUlST_E0_NS1_11comp_targetILNS1_3genE8ELNS1_11target_archE1030ELNS1_3gpuE2ELNS1_3repE0EEENS1_38merge_mergepath_config_static_selectorELNS0_4arch9wavefront6targetE0EEEvSF_
    .private_segment_fixed_size: 0
    .sgpr_count:     0
    .sgpr_spill_count: 0
    .symbol:         _ZN7rocprim17ROCPRIM_400000_NS6detail17trampoline_kernelINS0_14default_configENS1_38merge_sort_block_merge_config_selectorIlNS0_10empty_typeEEEZZNS1_27merge_sort_block_merge_implIS3_PlPS5_jNS1_19radix_merge_compareILb0ELb0ElNS0_19identity_decomposerEEEEE10hipError_tT0_T1_T2_jT3_P12ihipStream_tbPNSt15iterator_traitsISE_E10value_typeEPNSK_ISF_E10value_typeEPSG_NS1_7vsmem_tEENKUlT_SE_SF_SG_E_clIS8_S8_S9_S9_EESD_ST_SE_SF_SG_EUlST_E0_NS1_11comp_targetILNS1_3genE8ELNS1_11target_archE1030ELNS1_3gpuE2ELNS1_3repE0EEENS1_38merge_mergepath_config_static_selectorELNS0_4arch9wavefront6targetE0EEEvSF_.kd
    .uniform_work_group_size: 1
    .uses_dynamic_stack: false
    .vgpr_count:     0
    .vgpr_spill_count: 0
    .wavefront_size: 32
  - .args:
      - .offset:         0
        .size:           48
        .value_kind:     by_value
    .group_segment_fixed_size: 0
    .kernarg_segment_align: 8
    .kernarg_segment_size: 48
    .language:       OpenCL C
    .language_version:
      - 2
      - 0
    .max_flat_workgroup_size: 256
    .name:           _ZN7rocprim17ROCPRIM_400000_NS6detail17trampoline_kernelINS0_14default_configENS1_38merge_sort_block_merge_config_selectorIlNS0_10empty_typeEEEZZNS1_27merge_sort_block_merge_implIS3_PlPS5_jNS1_19radix_merge_compareILb0ELb0ElNS0_19identity_decomposerEEEEE10hipError_tT0_T1_T2_jT3_P12ihipStream_tbPNSt15iterator_traitsISE_E10value_typeEPNSK_ISF_E10value_typeEPSG_NS1_7vsmem_tEENKUlT_SE_SF_SG_E_clIS8_S8_S9_S9_EESD_ST_SE_SF_SG_EUlST_E1_NS1_11comp_targetILNS1_3genE0ELNS1_11target_archE4294967295ELNS1_3gpuE0ELNS1_3repE0EEENS1_36merge_oddeven_config_static_selectorELNS0_4arch9wavefront6targetE0EEEvSF_
    .private_segment_fixed_size: 0
    .sgpr_count:     18
    .sgpr_spill_count: 0
    .symbol:         _ZN7rocprim17ROCPRIM_400000_NS6detail17trampoline_kernelINS0_14default_configENS1_38merge_sort_block_merge_config_selectorIlNS0_10empty_typeEEEZZNS1_27merge_sort_block_merge_implIS3_PlPS5_jNS1_19radix_merge_compareILb0ELb0ElNS0_19identity_decomposerEEEEE10hipError_tT0_T1_T2_jT3_P12ihipStream_tbPNSt15iterator_traitsISE_E10value_typeEPNSK_ISF_E10value_typeEPSG_NS1_7vsmem_tEENKUlT_SE_SF_SG_E_clIS8_S8_S9_S9_EESD_ST_SE_SF_SG_EUlST_E1_NS1_11comp_targetILNS1_3genE0ELNS1_11target_archE4294967295ELNS1_3gpuE0ELNS1_3repE0EEENS1_36merge_oddeven_config_static_selectorELNS0_4arch9wavefront6targetE0EEEvSF_.kd
    .uniform_work_group_size: 1
    .uses_dynamic_stack: false
    .vgpr_count:     9
    .vgpr_spill_count: 0
    .wavefront_size: 32
  - .args:
      - .offset:         0
        .size:           48
        .value_kind:     by_value
    .group_segment_fixed_size: 0
    .kernarg_segment_align: 8
    .kernarg_segment_size: 48
    .language:       OpenCL C
    .language_version:
      - 2
      - 0
    .max_flat_workgroup_size: 256
    .name:           _ZN7rocprim17ROCPRIM_400000_NS6detail17trampoline_kernelINS0_14default_configENS1_38merge_sort_block_merge_config_selectorIlNS0_10empty_typeEEEZZNS1_27merge_sort_block_merge_implIS3_PlPS5_jNS1_19radix_merge_compareILb0ELb0ElNS0_19identity_decomposerEEEEE10hipError_tT0_T1_T2_jT3_P12ihipStream_tbPNSt15iterator_traitsISE_E10value_typeEPNSK_ISF_E10value_typeEPSG_NS1_7vsmem_tEENKUlT_SE_SF_SG_E_clIS8_S8_S9_S9_EESD_ST_SE_SF_SG_EUlST_E1_NS1_11comp_targetILNS1_3genE10ELNS1_11target_archE1201ELNS1_3gpuE5ELNS1_3repE0EEENS1_36merge_oddeven_config_static_selectorELNS0_4arch9wavefront6targetE0EEEvSF_
    .private_segment_fixed_size: 0
    .sgpr_count:     0
    .sgpr_spill_count: 0
    .symbol:         _ZN7rocprim17ROCPRIM_400000_NS6detail17trampoline_kernelINS0_14default_configENS1_38merge_sort_block_merge_config_selectorIlNS0_10empty_typeEEEZZNS1_27merge_sort_block_merge_implIS3_PlPS5_jNS1_19radix_merge_compareILb0ELb0ElNS0_19identity_decomposerEEEEE10hipError_tT0_T1_T2_jT3_P12ihipStream_tbPNSt15iterator_traitsISE_E10value_typeEPNSK_ISF_E10value_typeEPSG_NS1_7vsmem_tEENKUlT_SE_SF_SG_E_clIS8_S8_S9_S9_EESD_ST_SE_SF_SG_EUlST_E1_NS1_11comp_targetILNS1_3genE10ELNS1_11target_archE1201ELNS1_3gpuE5ELNS1_3repE0EEENS1_36merge_oddeven_config_static_selectorELNS0_4arch9wavefront6targetE0EEEvSF_.kd
    .uniform_work_group_size: 1
    .uses_dynamic_stack: false
    .vgpr_count:     0
    .vgpr_spill_count: 0
    .wavefront_size: 32
  - .args:
      - .offset:         0
        .size:           48
        .value_kind:     by_value
    .group_segment_fixed_size: 0
    .kernarg_segment_align: 8
    .kernarg_segment_size: 48
    .language:       OpenCL C
    .language_version:
      - 2
      - 0
    .max_flat_workgroup_size: 256
    .name:           _ZN7rocprim17ROCPRIM_400000_NS6detail17trampoline_kernelINS0_14default_configENS1_38merge_sort_block_merge_config_selectorIlNS0_10empty_typeEEEZZNS1_27merge_sort_block_merge_implIS3_PlPS5_jNS1_19radix_merge_compareILb0ELb0ElNS0_19identity_decomposerEEEEE10hipError_tT0_T1_T2_jT3_P12ihipStream_tbPNSt15iterator_traitsISE_E10value_typeEPNSK_ISF_E10value_typeEPSG_NS1_7vsmem_tEENKUlT_SE_SF_SG_E_clIS8_S8_S9_S9_EESD_ST_SE_SF_SG_EUlST_E1_NS1_11comp_targetILNS1_3genE5ELNS1_11target_archE942ELNS1_3gpuE9ELNS1_3repE0EEENS1_36merge_oddeven_config_static_selectorELNS0_4arch9wavefront6targetE0EEEvSF_
    .private_segment_fixed_size: 0
    .sgpr_count:     0
    .sgpr_spill_count: 0
    .symbol:         _ZN7rocprim17ROCPRIM_400000_NS6detail17trampoline_kernelINS0_14default_configENS1_38merge_sort_block_merge_config_selectorIlNS0_10empty_typeEEEZZNS1_27merge_sort_block_merge_implIS3_PlPS5_jNS1_19radix_merge_compareILb0ELb0ElNS0_19identity_decomposerEEEEE10hipError_tT0_T1_T2_jT3_P12ihipStream_tbPNSt15iterator_traitsISE_E10value_typeEPNSK_ISF_E10value_typeEPSG_NS1_7vsmem_tEENKUlT_SE_SF_SG_E_clIS8_S8_S9_S9_EESD_ST_SE_SF_SG_EUlST_E1_NS1_11comp_targetILNS1_3genE5ELNS1_11target_archE942ELNS1_3gpuE9ELNS1_3repE0EEENS1_36merge_oddeven_config_static_selectorELNS0_4arch9wavefront6targetE0EEEvSF_.kd
    .uniform_work_group_size: 1
    .uses_dynamic_stack: false
    .vgpr_count:     0
    .vgpr_spill_count: 0
    .wavefront_size: 32
  - .args:
      - .offset:         0
        .size:           48
        .value_kind:     by_value
    .group_segment_fixed_size: 0
    .kernarg_segment_align: 8
    .kernarg_segment_size: 48
    .language:       OpenCL C
    .language_version:
      - 2
      - 0
    .max_flat_workgroup_size: 256
    .name:           _ZN7rocprim17ROCPRIM_400000_NS6detail17trampoline_kernelINS0_14default_configENS1_38merge_sort_block_merge_config_selectorIlNS0_10empty_typeEEEZZNS1_27merge_sort_block_merge_implIS3_PlPS5_jNS1_19radix_merge_compareILb0ELb0ElNS0_19identity_decomposerEEEEE10hipError_tT0_T1_T2_jT3_P12ihipStream_tbPNSt15iterator_traitsISE_E10value_typeEPNSK_ISF_E10value_typeEPSG_NS1_7vsmem_tEENKUlT_SE_SF_SG_E_clIS8_S8_S9_S9_EESD_ST_SE_SF_SG_EUlST_E1_NS1_11comp_targetILNS1_3genE4ELNS1_11target_archE910ELNS1_3gpuE8ELNS1_3repE0EEENS1_36merge_oddeven_config_static_selectorELNS0_4arch9wavefront6targetE0EEEvSF_
    .private_segment_fixed_size: 0
    .sgpr_count:     0
    .sgpr_spill_count: 0
    .symbol:         _ZN7rocprim17ROCPRIM_400000_NS6detail17trampoline_kernelINS0_14default_configENS1_38merge_sort_block_merge_config_selectorIlNS0_10empty_typeEEEZZNS1_27merge_sort_block_merge_implIS3_PlPS5_jNS1_19radix_merge_compareILb0ELb0ElNS0_19identity_decomposerEEEEE10hipError_tT0_T1_T2_jT3_P12ihipStream_tbPNSt15iterator_traitsISE_E10value_typeEPNSK_ISF_E10value_typeEPSG_NS1_7vsmem_tEENKUlT_SE_SF_SG_E_clIS8_S8_S9_S9_EESD_ST_SE_SF_SG_EUlST_E1_NS1_11comp_targetILNS1_3genE4ELNS1_11target_archE910ELNS1_3gpuE8ELNS1_3repE0EEENS1_36merge_oddeven_config_static_selectorELNS0_4arch9wavefront6targetE0EEEvSF_.kd
    .uniform_work_group_size: 1
    .uses_dynamic_stack: false
    .vgpr_count:     0
    .vgpr_spill_count: 0
    .wavefront_size: 32
  - .args:
      - .offset:         0
        .size:           48
        .value_kind:     by_value
    .group_segment_fixed_size: 0
    .kernarg_segment_align: 8
    .kernarg_segment_size: 48
    .language:       OpenCL C
    .language_version:
      - 2
      - 0
    .max_flat_workgroup_size: 256
    .name:           _ZN7rocprim17ROCPRIM_400000_NS6detail17trampoline_kernelINS0_14default_configENS1_38merge_sort_block_merge_config_selectorIlNS0_10empty_typeEEEZZNS1_27merge_sort_block_merge_implIS3_PlPS5_jNS1_19radix_merge_compareILb0ELb0ElNS0_19identity_decomposerEEEEE10hipError_tT0_T1_T2_jT3_P12ihipStream_tbPNSt15iterator_traitsISE_E10value_typeEPNSK_ISF_E10value_typeEPSG_NS1_7vsmem_tEENKUlT_SE_SF_SG_E_clIS8_S8_S9_S9_EESD_ST_SE_SF_SG_EUlST_E1_NS1_11comp_targetILNS1_3genE3ELNS1_11target_archE908ELNS1_3gpuE7ELNS1_3repE0EEENS1_36merge_oddeven_config_static_selectorELNS0_4arch9wavefront6targetE0EEEvSF_
    .private_segment_fixed_size: 0
    .sgpr_count:     0
    .sgpr_spill_count: 0
    .symbol:         _ZN7rocprim17ROCPRIM_400000_NS6detail17trampoline_kernelINS0_14default_configENS1_38merge_sort_block_merge_config_selectorIlNS0_10empty_typeEEEZZNS1_27merge_sort_block_merge_implIS3_PlPS5_jNS1_19radix_merge_compareILb0ELb0ElNS0_19identity_decomposerEEEEE10hipError_tT0_T1_T2_jT3_P12ihipStream_tbPNSt15iterator_traitsISE_E10value_typeEPNSK_ISF_E10value_typeEPSG_NS1_7vsmem_tEENKUlT_SE_SF_SG_E_clIS8_S8_S9_S9_EESD_ST_SE_SF_SG_EUlST_E1_NS1_11comp_targetILNS1_3genE3ELNS1_11target_archE908ELNS1_3gpuE7ELNS1_3repE0EEENS1_36merge_oddeven_config_static_selectorELNS0_4arch9wavefront6targetE0EEEvSF_.kd
    .uniform_work_group_size: 1
    .uses_dynamic_stack: false
    .vgpr_count:     0
    .vgpr_spill_count: 0
    .wavefront_size: 32
  - .args:
      - .offset:         0
        .size:           48
        .value_kind:     by_value
    .group_segment_fixed_size: 0
    .kernarg_segment_align: 8
    .kernarg_segment_size: 48
    .language:       OpenCL C
    .language_version:
      - 2
      - 0
    .max_flat_workgroup_size: 256
    .name:           _ZN7rocprim17ROCPRIM_400000_NS6detail17trampoline_kernelINS0_14default_configENS1_38merge_sort_block_merge_config_selectorIlNS0_10empty_typeEEEZZNS1_27merge_sort_block_merge_implIS3_PlPS5_jNS1_19radix_merge_compareILb0ELb0ElNS0_19identity_decomposerEEEEE10hipError_tT0_T1_T2_jT3_P12ihipStream_tbPNSt15iterator_traitsISE_E10value_typeEPNSK_ISF_E10value_typeEPSG_NS1_7vsmem_tEENKUlT_SE_SF_SG_E_clIS8_S8_S9_S9_EESD_ST_SE_SF_SG_EUlST_E1_NS1_11comp_targetILNS1_3genE2ELNS1_11target_archE906ELNS1_3gpuE6ELNS1_3repE0EEENS1_36merge_oddeven_config_static_selectorELNS0_4arch9wavefront6targetE0EEEvSF_
    .private_segment_fixed_size: 0
    .sgpr_count:     0
    .sgpr_spill_count: 0
    .symbol:         _ZN7rocprim17ROCPRIM_400000_NS6detail17trampoline_kernelINS0_14default_configENS1_38merge_sort_block_merge_config_selectorIlNS0_10empty_typeEEEZZNS1_27merge_sort_block_merge_implIS3_PlPS5_jNS1_19radix_merge_compareILb0ELb0ElNS0_19identity_decomposerEEEEE10hipError_tT0_T1_T2_jT3_P12ihipStream_tbPNSt15iterator_traitsISE_E10value_typeEPNSK_ISF_E10value_typeEPSG_NS1_7vsmem_tEENKUlT_SE_SF_SG_E_clIS8_S8_S9_S9_EESD_ST_SE_SF_SG_EUlST_E1_NS1_11comp_targetILNS1_3genE2ELNS1_11target_archE906ELNS1_3gpuE6ELNS1_3repE0EEENS1_36merge_oddeven_config_static_selectorELNS0_4arch9wavefront6targetE0EEEvSF_.kd
    .uniform_work_group_size: 1
    .uses_dynamic_stack: false
    .vgpr_count:     0
    .vgpr_spill_count: 0
    .wavefront_size: 32
  - .args:
      - .offset:         0
        .size:           48
        .value_kind:     by_value
    .group_segment_fixed_size: 0
    .kernarg_segment_align: 8
    .kernarg_segment_size: 48
    .language:       OpenCL C
    .language_version:
      - 2
      - 0
    .max_flat_workgroup_size: 256
    .name:           _ZN7rocprim17ROCPRIM_400000_NS6detail17trampoline_kernelINS0_14default_configENS1_38merge_sort_block_merge_config_selectorIlNS0_10empty_typeEEEZZNS1_27merge_sort_block_merge_implIS3_PlPS5_jNS1_19radix_merge_compareILb0ELb0ElNS0_19identity_decomposerEEEEE10hipError_tT0_T1_T2_jT3_P12ihipStream_tbPNSt15iterator_traitsISE_E10value_typeEPNSK_ISF_E10value_typeEPSG_NS1_7vsmem_tEENKUlT_SE_SF_SG_E_clIS8_S8_S9_S9_EESD_ST_SE_SF_SG_EUlST_E1_NS1_11comp_targetILNS1_3genE9ELNS1_11target_archE1100ELNS1_3gpuE3ELNS1_3repE0EEENS1_36merge_oddeven_config_static_selectorELNS0_4arch9wavefront6targetE0EEEvSF_
    .private_segment_fixed_size: 0
    .sgpr_count:     0
    .sgpr_spill_count: 0
    .symbol:         _ZN7rocprim17ROCPRIM_400000_NS6detail17trampoline_kernelINS0_14default_configENS1_38merge_sort_block_merge_config_selectorIlNS0_10empty_typeEEEZZNS1_27merge_sort_block_merge_implIS3_PlPS5_jNS1_19radix_merge_compareILb0ELb0ElNS0_19identity_decomposerEEEEE10hipError_tT0_T1_T2_jT3_P12ihipStream_tbPNSt15iterator_traitsISE_E10value_typeEPNSK_ISF_E10value_typeEPSG_NS1_7vsmem_tEENKUlT_SE_SF_SG_E_clIS8_S8_S9_S9_EESD_ST_SE_SF_SG_EUlST_E1_NS1_11comp_targetILNS1_3genE9ELNS1_11target_archE1100ELNS1_3gpuE3ELNS1_3repE0EEENS1_36merge_oddeven_config_static_selectorELNS0_4arch9wavefront6targetE0EEEvSF_.kd
    .uniform_work_group_size: 1
    .uses_dynamic_stack: false
    .vgpr_count:     0
    .vgpr_spill_count: 0
    .wavefront_size: 32
  - .args:
      - .offset:         0
        .size:           48
        .value_kind:     by_value
    .group_segment_fixed_size: 0
    .kernarg_segment_align: 8
    .kernarg_segment_size: 48
    .language:       OpenCL C
    .language_version:
      - 2
      - 0
    .max_flat_workgroup_size: 256
    .name:           _ZN7rocprim17ROCPRIM_400000_NS6detail17trampoline_kernelINS0_14default_configENS1_38merge_sort_block_merge_config_selectorIlNS0_10empty_typeEEEZZNS1_27merge_sort_block_merge_implIS3_PlPS5_jNS1_19radix_merge_compareILb0ELb0ElNS0_19identity_decomposerEEEEE10hipError_tT0_T1_T2_jT3_P12ihipStream_tbPNSt15iterator_traitsISE_E10value_typeEPNSK_ISF_E10value_typeEPSG_NS1_7vsmem_tEENKUlT_SE_SF_SG_E_clIS8_S8_S9_S9_EESD_ST_SE_SF_SG_EUlST_E1_NS1_11comp_targetILNS1_3genE8ELNS1_11target_archE1030ELNS1_3gpuE2ELNS1_3repE0EEENS1_36merge_oddeven_config_static_selectorELNS0_4arch9wavefront6targetE0EEEvSF_
    .private_segment_fixed_size: 0
    .sgpr_count:     0
    .sgpr_spill_count: 0
    .symbol:         _ZN7rocprim17ROCPRIM_400000_NS6detail17trampoline_kernelINS0_14default_configENS1_38merge_sort_block_merge_config_selectorIlNS0_10empty_typeEEEZZNS1_27merge_sort_block_merge_implIS3_PlPS5_jNS1_19radix_merge_compareILb0ELb0ElNS0_19identity_decomposerEEEEE10hipError_tT0_T1_T2_jT3_P12ihipStream_tbPNSt15iterator_traitsISE_E10value_typeEPNSK_ISF_E10value_typeEPSG_NS1_7vsmem_tEENKUlT_SE_SF_SG_E_clIS8_S8_S9_S9_EESD_ST_SE_SF_SG_EUlST_E1_NS1_11comp_targetILNS1_3genE8ELNS1_11target_archE1030ELNS1_3gpuE2ELNS1_3repE0EEENS1_36merge_oddeven_config_static_selectorELNS0_4arch9wavefront6targetE0EEEvSF_.kd
    .uniform_work_group_size: 1
    .uses_dynamic_stack: false
    .vgpr_count:     0
    .vgpr_spill_count: 0
    .wavefront_size: 32
  - .args:
      - .offset:         0
        .size:           40
        .value_kind:     by_value
    .group_segment_fixed_size: 0
    .kernarg_segment_align: 8
    .kernarg_segment_size: 40
    .language:       OpenCL C
    .language_version:
      - 2
      - 0
    .max_flat_workgroup_size: 128
    .name:           _ZN7rocprim17ROCPRIM_400000_NS6detail17trampoline_kernelINS0_14default_configENS1_38merge_sort_block_merge_config_selectorIlNS0_10empty_typeEEEZZNS1_27merge_sort_block_merge_implIS3_PlPS5_jNS1_19radix_merge_compareILb0ELb1ElNS0_19identity_decomposerEEEEE10hipError_tT0_T1_T2_jT3_P12ihipStream_tbPNSt15iterator_traitsISE_E10value_typeEPNSK_ISF_E10value_typeEPSG_NS1_7vsmem_tEENKUlT_SE_SF_SG_E_clIS8_S8_S9_S9_EESD_ST_SE_SF_SG_EUlST_E_NS1_11comp_targetILNS1_3genE0ELNS1_11target_archE4294967295ELNS1_3gpuE0ELNS1_3repE0EEENS1_48merge_mergepath_partition_config_static_selectorELNS0_4arch9wavefront6targetE0EEEvSF_
    .private_segment_fixed_size: 0
    .sgpr_count:     10
    .sgpr_spill_count: 0
    .symbol:         _ZN7rocprim17ROCPRIM_400000_NS6detail17trampoline_kernelINS0_14default_configENS1_38merge_sort_block_merge_config_selectorIlNS0_10empty_typeEEEZZNS1_27merge_sort_block_merge_implIS3_PlPS5_jNS1_19radix_merge_compareILb0ELb1ElNS0_19identity_decomposerEEEEE10hipError_tT0_T1_T2_jT3_P12ihipStream_tbPNSt15iterator_traitsISE_E10value_typeEPNSK_ISF_E10value_typeEPSG_NS1_7vsmem_tEENKUlT_SE_SF_SG_E_clIS8_S8_S9_S9_EESD_ST_SE_SF_SG_EUlST_E_NS1_11comp_targetILNS1_3genE0ELNS1_11target_archE4294967295ELNS1_3gpuE0ELNS1_3repE0EEENS1_48merge_mergepath_partition_config_static_selectorELNS0_4arch9wavefront6targetE0EEEvSF_.kd
    .uniform_work_group_size: 1
    .uses_dynamic_stack: false
    .vgpr_count:     20
    .vgpr_spill_count: 0
    .wavefront_size: 32
  - .args:
      - .offset:         0
        .size:           40
        .value_kind:     by_value
    .group_segment_fixed_size: 0
    .kernarg_segment_align: 8
    .kernarg_segment_size: 40
    .language:       OpenCL C
    .language_version:
      - 2
      - 0
    .max_flat_workgroup_size: 128
    .name:           _ZN7rocprim17ROCPRIM_400000_NS6detail17trampoline_kernelINS0_14default_configENS1_38merge_sort_block_merge_config_selectorIlNS0_10empty_typeEEEZZNS1_27merge_sort_block_merge_implIS3_PlPS5_jNS1_19radix_merge_compareILb0ELb1ElNS0_19identity_decomposerEEEEE10hipError_tT0_T1_T2_jT3_P12ihipStream_tbPNSt15iterator_traitsISE_E10value_typeEPNSK_ISF_E10value_typeEPSG_NS1_7vsmem_tEENKUlT_SE_SF_SG_E_clIS8_S8_S9_S9_EESD_ST_SE_SF_SG_EUlST_E_NS1_11comp_targetILNS1_3genE10ELNS1_11target_archE1201ELNS1_3gpuE5ELNS1_3repE0EEENS1_48merge_mergepath_partition_config_static_selectorELNS0_4arch9wavefront6targetE0EEEvSF_
    .private_segment_fixed_size: 0
    .sgpr_count:     0
    .sgpr_spill_count: 0
    .symbol:         _ZN7rocprim17ROCPRIM_400000_NS6detail17trampoline_kernelINS0_14default_configENS1_38merge_sort_block_merge_config_selectorIlNS0_10empty_typeEEEZZNS1_27merge_sort_block_merge_implIS3_PlPS5_jNS1_19radix_merge_compareILb0ELb1ElNS0_19identity_decomposerEEEEE10hipError_tT0_T1_T2_jT3_P12ihipStream_tbPNSt15iterator_traitsISE_E10value_typeEPNSK_ISF_E10value_typeEPSG_NS1_7vsmem_tEENKUlT_SE_SF_SG_E_clIS8_S8_S9_S9_EESD_ST_SE_SF_SG_EUlST_E_NS1_11comp_targetILNS1_3genE10ELNS1_11target_archE1201ELNS1_3gpuE5ELNS1_3repE0EEENS1_48merge_mergepath_partition_config_static_selectorELNS0_4arch9wavefront6targetE0EEEvSF_.kd
    .uniform_work_group_size: 1
    .uses_dynamic_stack: false
    .vgpr_count:     0
    .vgpr_spill_count: 0
    .wavefront_size: 32
  - .args:
      - .offset:         0
        .size:           40
        .value_kind:     by_value
    .group_segment_fixed_size: 0
    .kernarg_segment_align: 8
    .kernarg_segment_size: 40
    .language:       OpenCL C
    .language_version:
      - 2
      - 0
    .max_flat_workgroup_size: 128
    .name:           _ZN7rocprim17ROCPRIM_400000_NS6detail17trampoline_kernelINS0_14default_configENS1_38merge_sort_block_merge_config_selectorIlNS0_10empty_typeEEEZZNS1_27merge_sort_block_merge_implIS3_PlPS5_jNS1_19radix_merge_compareILb0ELb1ElNS0_19identity_decomposerEEEEE10hipError_tT0_T1_T2_jT3_P12ihipStream_tbPNSt15iterator_traitsISE_E10value_typeEPNSK_ISF_E10value_typeEPSG_NS1_7vsmem_tEENKUlT_SE_SF_SG_E_clIS8_S8_S9_S9_EESD_ST_SE_SF_SG_EUlST_E_NS1_11comp_targetILNS1_3genE5ELNS1_11target_archE942ELNS1_3gpuE9ELNS1_3repE0EEENS1_48merge_mergepath_partition_config_static_selectorELNS0_4arch9wavefront6targetE0EEEvSF_
    .private_segment_fixed_size: 0
    .sgpr_count:     0
    .sgpr_spill_count: 0
    .symbol:         _ZN7rocprim17ROCPRIM_400000_NS6detail17trampoline_kernelINS0_14default_configENS1_38merge_sort_block_merge_config_selectorIlNS0_10empty_typeEEEZZNS1_27merge_sort_block_merge_implIS3_PlPS5_jNS1_19radix_merge_compareILb0ELb1ElNS0_19identity_decomposerEEEEE10hipError_tT0_T1_T2_jT3_P12ihipStream_tbPNSt15iterator_traitsISE_E10value_typeEPNSK_ISF_E10value_typeEPSG_NS1_7vsmem_tEENKUlT_SE_SF_SG_E_clIS8_S8_S9_S9_EESD_ST_SE_SF_SG_EUlST_E_NS1_11comp_targetILNS1_3genE5ELNS1_11target_archE942ELNS1_3gpuE9ELNS1_3repE0EEENS1_48merge_mergepath_partition_config_static_selectorELNS0_4arch9wavefront6targetE0EEEvSF_.kd
    .uniform_work_group_size: 1
    .uses_dynamic_stack: false
    .vgpr_count:     0
    .vgpr_spill_count: 0
    .wavefront_size: 32
  - .args:
      - .offset:         0
        .size:           40
        .value_kind:     by_value
    .group_segment_fixed_size: 0
    .kernarg_segment_align: 8
    .kernarg_segment_size: 40
    .language:       OpenCL C
    .language_version:
      - 2
      - 0
    .max_flat_workgroup_size: 128
    .name:           _ZN7rocprim17ROCPRIM_400000_NS6detail17trampoline_kernelINS0_14default_configENS1_38merge_sort_block_merge_config_selectorIlNS0_10empty_typeEEEZZNS1_27merge_sort_block_merge_implIS3_PlPS5_jNS1_19radix_merge_compareILb0ELb1ElNS0_19identity_decomposerEEEEE10hipError_tT0_T1_T2_jT3_P12ihipStream_tbPNSt15iterator_traitsISE_E10value_typeEPNSK_ISF_E10value_typeEPSG_NS1_7vsmem_tEENKUlT_SE_SF_SG_E_clIS8_S8_S9_S9_EESD_ST_SE_SF_SG_EUlST_E_NS1_11comp_targetILNS1_3genE4ELNS1_11target_archE910ELNS1_3gpuE8ELNS1_3repE0EEENS1_48merge_mergepath_partition_config_static_selectorELNS0_4arch9wavefront6targetE0EEEvSF_
    .private_segment_fixed_size: 0
    .sgpr_count:     0
    .sgpr_spill_count: 0
    .symbol:         _ZN7rocprim17ROCPRIM_400000_NS6detail17trampoline_kernelINS0_14default_configENS1_38merge_sort_block_merge_config_selectorIlNS0_10empty_typeEEEZZNS1_27merge_sort_block_merge_implIS3_PlPS5_jNS1_19radix_merge_compareILb0ELb1ElNS0_19identity_decomposerEEEEE10hipError_tT0_T1_T2_jT3_P12ihipStream_tbPNSt15iterator_traitsISE_E10value_typeEPNSK_ISF_E10value_typeEPSG_NS1_7vsmem_tEENKUlT_SE_SF_SG_E_clIS8_S8_S9_S9_EESD_ST_SE_SF_SG_EUlST_E_NS1_11comp_targetILNS1_3genE4ELNS1_11target_archE910ELNS1_3gpuE8ELNS1_3repE0EEENS1_48merge_mergepath_partition_config_static_selectorELNS0_4arch9wavefront6targetE0EEEvSF_.kd
    .uniform_work_group_size: 1
    .uses_dynamic_stack: false
    .vgpr_count:     0
    .vgpr_spill_count: 0
    .wavefront_size: 32
  - .args:
      - .offset:         0
        .size:           40
        .value_kind:     by_value
    .group_segment_fixed_size: 0
    .kernarg_segment_align: 8
    .kernarg_segment_size: 40
    .language:       OpenCL C
    .language_version:
      - 2
      - 0
    .max_flat_workgroup_size: 128
    .name:           _ZN7rocprim17ROCPRIM_400000_NS6detail17trampoline_kernelINS0_14default_configENS1_38merge_sort_block_merge_config_selectorIlNS0_10empty_typeEEEZZNS1_27merge_sort_block_merge_implIS3_PlPS5_jNS1_19radix_merge_compareILb0ELb1ElNS0_19identity_decomposerEEEEE10hipError_tT0_T1_T2_jT3_P12ihipStream_tbPNSt15iterator_traitsISE_E10value_typeEPNSK_ISF_E10value_typeEPSG_NS1_7vsmem_tEENKUlT_SE_SF_SG_E_clIS8_S8_S9_S9_EESD_ST_SE_SF_SG_EUlST_E_NS1_11comp_targetILNS1_3genE3ELNS1_11target_archE908ELNS1_3gpuE7ELNS1_3repE0EEENS1_48merge_mergepath_partition_config_static_selectorELNS0_4arch9wavefront6targetE0EEEvSF_
    .private_segment_fixed_size: 0
    .sgpr_count:     0
    .sgpr_spill_count: 0
    .symbol:         _ZN7rocprim17ROCPRIM_400000_NS6detail17trampoline_kernelINS0_14default_configENS1_38merge_sort_block_merge_config_selectorIlNS0_10empty_typeEEEZZNS1_27merge_sort_block_merge_implIS3_PlPS5_jNS1_19radix_merge_compareILb0ELb1ElNS0_19identity_decomposerEEEEE10hipError_tT0_T1_T2_jT3_P12ihipStream_tbPNSt15iterator_traitsISE_E10value_typeEPNSK_ISF_E10value_typeEPSG_NS1_7vsmem_tEENKUlT_SE_SF_SG_E_clIS8_S8_S9_S9_EESD_ST_SE_SF_SG_EUlST_E_NS1_11comp_targetILNS1_3genE3ELNS1_11target_archE908ELNS1_3gpuE7ELNS1_3repE0EEENS1_48merge_mergepath_partition_config_static_selectorELNS0_4arch9wavefront6targetE0EEEvSF_.kd
    .uniform_work_group_size: 1
    .uses_dynamic_stack: false
    .vgpr_count:     0
    .vgpr_spill_count: 0
    .wavefront_size: 32
  - .args:
      - .offset:         0
        .size:           40
        .value_kind:     by_value
    .group_segment_fixed_size: 0
    .kernarg_segment_align: 8
    .kernarg_segment_size: 40
    .language:       OpenCL C
    .language_version:
      - 2
      - 0
    .max_flat_workgroup_size: 128
    .name:           _ZN7rocprim17ROCPRIM_400000_NS6detail17trampoline_kernelINS0_14default_configENS1_38merge_sort_block_merge_config_selectorIlNS0_10empty_typeEEEZZNS1_27merge_sort_block_merge_implIS3_PlPS5_jNS1_19radix_merge_compareILb0ELb1ElNS0_19identity_decomposerEEEEE10hipError_tT0_T1_T2_jT3_P12ihipStream_tbPNSt15iterator_traitsISE_E10value_typeEPNSK_ISF_E10value_typeEPSG_NS1_7vsmem_tEENKUlT_SE_SF_SG_E_clIS8_S8_S9_S9_EESD_ST_SE_SF_SG_EUlST_E_NS1_11comp_targetILNS1_3genE2ELNS1_11target_archE906ELNS1_3gpuE6ELNS1_3repE0EEENS1_48merge_mergepath_partition_config_static_selectorELNS0_4arch9wavefront6targetE0EEEvSF_
    .private_segment_fixed_size: 0
    .sgpr_count:     0
    .sgpr_spill_count: 0
    .symbol:         _ZN7rocprim17ROCPRIM_400000_NS6detail17trampoline_kernelINS0_14default_configENS1_38merge_sort_block_merge_config_selectorIlNS0_10empty_typeEEEZZNS1_27merge_sort_block_merge_implIS3_PlPS5_jNS1_19radix_merge_compareILb0ELb1ElNS0_19identity_decomposerEEEEE10hipError_tT0_T1_T2_jT3_P12ihipStream_tbPNSt15iterator_traitsISE_E10value_typeEPNSK_ISF_E10value_typeEPSG_NS1_7vsmem_tEENKUlT_SE_SF_SG_E_clIS8_S8_S9_S9_EESD_ST_SE_SF_SG_EUlST_E_NS1_11comp_targetILNS1_3genE2ELNS1_11target_archE906ELNS1_3gpuE6ELNS1_3repE0EEENS1_48merge_mergepath_partition_config_static_selectorELNS0_4arch9wavefront6targetE0EEEvSF_.kd
    .uniform_work_group_size: 1
    .uses_dynamic_stack: false
    .vgpr_count:     0
    .vgpr_spill_count: 0
    .wavefront_size: 32
  - .args:
      - .offset:         0
        .size:           40
        .value_kind:     by_value
    .group_segment_fixed_size: 0
    .kernarg_segment_align: 8
    .kernarg_segment_size: 40
    .language:       OpenCL C
    .language_version:
      - 2
      - 0
    .max_flat_workgroup_size: 128
    .name:           _ZN7rocprim17ROCPRIM_400000_NS6detail17trampoline_kernelINS0_14default_configENS1_38merge_sort_block_merge_config_selectorIlNS0_10empty_typeEEEZZNS1_27merge_sort_block_merge_implIS3_PlPS5_jNS1_19radix_merge_compareILb0ELb1ElNS0_19identity_decomposerEEEEE10hipError_tT0_T1_T2_jT3_P12ihipStream_tbPNSt15iterator_traitsISE_E10value_typeEPNSK_ISF_E10value_typeEPSG_NS1_7vsmem_tEENKUlT_SE_SF_SG_E_clIS8_S8_S9_S9_EESD_ST_SE_SF_SG_EUlST_E_NS1_11comp_targetILNS1_3genE9ELNS1_11target_archE1100ELNS1_3gpuE3ELNS1_3repE0EEENS1_48merge_mergepath_partition_config_static_selectorELNS0_4arch9wavefront6targetE0EEEvSF_
    .private_segment_fixed_size: 0
    .sgpr_count:     0
    .sgpr_spill_count: 0
    .symbol:         _ZN7rocprim17ROCPRIM_400000_NS6detail17trampoline_kernelINS0_14default_configENS1_38merge_sort_block_merge_config_selectorIlNS0_10empty_typeEEEZZNS1_27merge_sort_block_merge_implIS3_PlPS5_jNS1_19radix_merge_compareILb0ELb1ElNS0_19identity_decomposerEEEEE10hipError_tT0_T1_T2_jT3_P12ihipStream_tbPNSt15iterator_traitsISE_E10value_typeEPNSK_ISF_E10value_typeEPSG_NS1_7vsmem_tEENKUlT_SE_SF_SG_E_clIS8_S8_S9_S9_EESD_ST_SE_SF_SG_EUlST_E_NS1_11comp_targetILNS1_3genE9ELNS1_11target_archE1100ELNS1_3gpuE3ELNS1_3repE0EEENS1_48merge_mergepath_partition_config_static_selectorELNS0_4arch9wavefront6targetE0EEEvSF_.kd
    .uniform_work_group_size: 1
    .uses_dynamic_stack: false
    .vgpr_count:     0
    .vgpr_spill_count: 0
    .wavefront_size: 32
  - .args:
      - .offset:         0
        .size:           40
        .value_kind:     by_value
    .group_segment_fixed_size: 0
    .kernarg_segment_align: 8
    .kernarg_segment_size: 40
    .language:       OpenCL C
    .language_version:
      - 2
      - 0
    .max_flat_workgroup_size: 128
    .name:           _ZN7rocprim17ROCPRIM_400000_NS6detail17trampoline_kernelINS0_14default_configENS1_38merge_sort_block_merge_config_selectorIlNS0_10empty_typeEEEZZNS1_27merge_sort_block_merge_implIS3_PlPS5_jNS1_19radix_merge_compareILb0ELb1ElNS0_19identity_decomposerEEEEE10hipError_tT0_T1_T2_jT3_P12ihipStream_tbPNSt15iterator_traitsISE_E10value_typeEPNSK_ISF_E10value_typeEPSG_NS1_7vsmem_tEENKUlT_SE_SF_SG_E_clIS8_S8_S9_S9_EESD_ST_SE_SF_SG_EUlST_E_NS1_11comp_targetILNS1_3genE8ELNS1_11target_archE1030ELNS1_3gpuE2ELNS1_3repE0EEENS1_48merge_mergepath_partition_config_static_selectorELNS0_4arch9wavefront6targetE0EEEvSF_
    .private_segment_fixed_size: 0
    .sgpr_count:     0
    .sgpr_spill_count: 0
    .symbol:         _ZN7rocprim17ROCPRIM_400000_NS6detail17trampoline_kernelINS0_14default_configENS1_38merge_sort_block_merge_config_selectorIlNS0_10empty_typeEEEZZNS1_27merge_sort_block_merge_implIS3_PlPS5_jNS1_19radix_merge_compareILb0ELb1ElNS0_19identity_decomposerEEEEE10hipError_tT0_T1_T2_jT3_P12ihipStream_tbPNSt15iterator_traitsISE_E10value_typeEPNSK_ISF_E10value_typeEPSG_NS1_7vsmem_tEENKUlT_SE_SF_SG_E_clIS8_S8_S9_S9_EESD_ST_SE_SF_SG_EUlST_E_NS1_11comp_targetILNS1_3genE8ELNS1_11target_archE1030ELNS1_3gpuE2ELNS1_3repE0EEENS1_48merge_mergepath_partition_config_static_selectorELNS0_4arch9wavefront6targetE0EEEvSF_.kd
    .uniform_work_group_size: 1
    .uses_dynamic_stack: false
    .vgpr_count:     0
    .vgpr_spill_count: 0
    .wavefront_size: 32
  - .args:
      - .offset:         0
        .size:           72
        .value_kind:     by_value
      - .offset:         72
        .size:           4
        .value_kind:     hidden_block_count_x
      - .offset:         76
        .size:           4
        .value_kind:     hidden_block_count_y
      - .offset:         80
        .size:           4
        .value_kind:     hidden_block_count_z
      - .offset:         84
        .size:           2
        .value_kind:     hidden_group_size_x
      - .offset:         86
        .size:           2
        .value_kind:     hidden_group_size_y
      - .offset:         88
        .size:           2
        .value_kind:     hidden_group_size_z
      - .offset:         90
        .size:           2
        .value_kind:     hidden_remainder_x
      - .offset:         92
        .size:           2
        .value_kind:     hidden_remainder_y
      - .offset:         94
        .size:           2
        .value_kind:     hidden_remainder_z
      - .offset:         112
        .size:           8
        .value_kind:     hidden_global_offset_x
      - .offset:         120
        .size:           8
        .value_kind:     hidden_global_offset_y
      - .offset:         128
        .size:           8
        .value_kind:     hidden_global_offset_z
      - .offset:         136
        .size:           2
        .value_kind:     hidden_grid_dims
    .group_segment_fixed_size: 8448
    .kernarg_segment_align: 8
    .kernarg_segment_size: 328
    .language:       OpenCL C
    .language_version:
      - 2
      - 0
    .max_flat_workgroup_size: 128
    .name:           _ZN7rocprim17ROCPRIM_400000_NS6detail17trampoline_kernelINS0_14default_configENS1_38merge_sort_block_merge_config_selectorIlNS0_10empty_typeEEEZZNS1_27merge_sort_block_merge_implIS3_PlPS5_jNS1_19radix_merge_compareILb0ELb1ElNS0_19identity_decomposerEEEEE10hipError_tT0_T1_T2_jT3_P12ihipStream_tbPNSt15iterator_traitsISE_E10value_typeEPNSK_ISF_E10value_typeEPSG_NS1_7vsmem_tEENKUlT_SE_SF_SG_E_clIS8_S8_S9_S9_EESD_ST_SE_SF_SG_EUlST_E0_NS1_11comp_targetILNS1_3genE0ELNS1_11target_archE4294967295ELNS1_3gpuE0ELNS1_3repE0EEENS1_38merge_mergepath_config_static_selectorELNS0_4arch9wavefront6targetE0EEEvSF_
    .private_segment_fixed_size: 0
    .sgpr_count:     25
    .sgpr_spill_count: 0
    .symbol:         _ZN7rocprim17ROCPRIM_400000_NS6detail17trampoline_kernelINS0_14default_configENS1_38merge_sort_block_merge_config_selectorIlNS0_10empty_typeEEEZZNS1_27merge_sort_block_merge_implIS3_PlPS5_jNS1_19radix_merge_compareILb0ELb1ElNS0_19identity_decomposerEEEEE10hipError_tT0_T1_T2_jT3_P12ihipStream_tbPNSt15iterator_traitsISE_E10value_typeEPNSK_ISF_E10value_typeEPSG_NS1_7vsmem_tEENKUlT_SE_SF_SG_E_clIS8_S8_S9_S9_EESD_ST_SE_SF_SG_EUlST_E0_NS1_11comp_targetILNS1_3genE0ELNS1_11target_archE4294967295ELNS1_3gpuE0ELNS1_3repE0EEENS1_38merge_mergepath_config_static_selectorELNS0_4arch9wavefront6targetE0EEEvSF_.kd
    .uniform_work_group_size: 1
    .uses_dynamic_stack: false
    .vgpr_count:     38
    .vgpr_spill_count: 0
    .wavefront_size: 32
  - .args:
      - .offset:         0
        .size:           72
        .value_kind:     by_value
    .group_segment_fixed_size: 0
    .kernarg_segment_align: 8
    .kernarg_segment_size: 72
    .language:       OpenCL C
    .language_version:
      - 2
      - 0
    .max_flat_workgroup_size: 512
    .name:           _ZN7rocprim17ROCPRIM_400000_NS6detail17trampoline_kernelINS0_14default_configENS1_38merge_sort_block_merge_config_selectorIlNS0_10empty_typeEEEZZNS1_27merge_sort_block_merge_implIS3_PlPS5_jNS1_19radix_merge_compareILb0ELb1ElNS0_19identity_decomposerEEEEE10hipError_tT0_T1_T2_jT3_P12ihipStream_tbPNSt15iterator_traitsISE_E10value_typeEPNSK_ISF_E10value_typeEPSG_NS1_7vsmem_tEENKUlT_SE_SF_SG_E_clIS8_S8_S9_S9_EESD_ST_SE_SF_SG_EUlST_E0_NS1_11comp_targetILNS1_3genE10ELNS1_11target_archE1201ELNS1_3gpuE5ELNS1_3repE0EEENS1_38merge_mergepath_config_static_selectorELNS0_4arch9wavefront6targetE0EEEvSF_
    .private_segment_fixed_size: 0
    .sgpr_count:     0
    .sgpr_spill_count: 0
    .symbol:         _ZN7rocprim17ROCPRIM_400000_NS6detail17trampoline_kernelINS0_14default_configENS1_38merge_sort_block_merge_config_selectorIlNS0_10empty_typeEEEZZNS1_27merge_sort_block_merge_implIS3_PlPS5_jNS1_19radix_merge_compareILb0ELb1ElNS0_19identity_decomposerEEEEE10hipError_tT0_T1_T2_jT3_P12ihipStream_tbPNSt15iterator_traitsISE_E10value_typeEPNSK_ISF_E10value_typeEPSG_NS1_7vsmem_tEENKUlT_SE_SF_SG_E_clIS8_S8_S9_S9_EESD_ST_SE_SF_SG_EUlST_E0_NS1_11comp_targetILNS1_3genE10ELNS1_11target_archE1201ELNS1_3gpuE5ELNS1_3repE0EEENS1_38merge_mergepath_config_static_selectorELNS0_4arch9wavefront6targetE0EEEvSF_.kd
    .uniform_work_group_size: 1
    .uses_dynamic_stack: false
    .vgpr_count:     0
    .vgpr_spill_count: 0
    .wavefront_size: 32
  - .args:
      - .offset:         0
        .size:           72
        .value_kind:     by_value
    .group_segment_fixed_size: 0
    .kernarg_segment_align: 8
    .kernarg_segment_size: 72
    .language:       OpenCL C
    .language_version:
      - 2
      - 0
    .max_flat_workgroup_size: 128
    .name:           _ZN7rocprim17ROCPRIM_400000_NS6detail17trampoline_kernelINS0_14default_configENS1_38merge_sort_block_merge_config_selectorIlNS0_10empty_typeEEEZZNS1_27merge_sort_block_merge_implIS3_PlPS5_jNS1_19radix_merge_compareILb0ELb1ElNS0_19identity_decomposerEEEEE10hipError_tT0_T1_T2_jT3_P12ihipStream_tbPNSt15iterator_traitsISE_E10value_typeEPNSK_ISF_E10value_typeEPSG_NS1_7vsmem_tEENKUlT_SE_SF_SG_E_clIS8_S8_S9_S9_EESD_ST_SE_SF_SG_EUlST_E0_NS1_11comp_targetILNS1_3genE5ELNS1_11target_archE942ELNS1_3gpuE9ELNS1_3repE0EEENS1_38merge_mergepath_config_static_selectorELNS0_4arch9wavefront6targetE0EEEvSF_
    .private_segment_fixed_size: 0
    .sgpr_count:     0
    .sgpr_spill_count: 0
    .symbol:         _ZN7rocprim17ROCPRIM_400000_NS6detail17trampoline_kernelINS0_14default_configENS1_38merge_sort_block_merge_config_selectorIlNS0_10empty_typeEEEZZNS1_27merge_sort_block_merge_implIS3_PlPS5_jNS1_19radix_merge_compareILb0ELb1ElNS0_19identity_decomposerEEEEE10hipError_tT0_T1_T2_jT3_P12ihipStream_tbPNSt15iterator_traitsISE_E10value_typeEPNSK_ISF_E10value_typeEPSG_NS1_7vsmem_tEENKUlT_SE_SF_SG_E_clIS8_S8_S9_S9_EESD_ST_SE_SF_SG_EUlST_E0_NS1_11comp_targetILNS1_3genE5ELNS1_11target_archE942ELNS1_3gpuE9ELNS1_3repE0EEENS1_38merge_mergepath_config_static_selectorELNS0_4arch9wavefront6targetE0EEEvSF_.kd
    .uniform_work_group_size: 1
    .uses_dynamic_stack: false
    .vgpr_count:     0
    .vgpr_spill_count: 0
    .wavefront_size: 32
  - .args:
      - .offset:         0
        .size:           72
        .value_kind:     by_value
    .group_segment_fixed_size: 0
    .kernarg_segment_align: 8
    .kernarg_segment_size: 72
    .language:       OpenCL C
    .language_version:
      - 2
      - 0
    .max_flat_workgroup_size: 256
    .name:           _ZN7rocprim17ROCPRIM_400000_NS6detail17trampoline_kernelINS0_14default_configENS1_38merge_sort_block_merge_config_selectorIlNS0_10empty_typeEEEZZNS1_27merge_sort_block_merge_implIS3_PlPS5_jNS1_19radix_merge_compareILb0ELb1ElNS0_19identity_decomposerEEEEE10hipError_tT0_T1_T2_jT3_P12ihipStream_tbPNSt15iterator_traitsISE_E10value_typeEPNSK_ISF_E10value_typeEPSG_NS1_7vsmem_tEENKUlT_SE_SF_SG_E_clIS8_S8_S9_S9_EESD_ST_SE_SF_SG_EUlST_E0_NS1_11comp_targetILNS1_3genE4ELNS1_11target_archE910ELNS1_3gpuE8ELNS1_3repE0EEENS1_38merge_mergepath_config_static_selectorELNS0_4arch9wavefront6targetE0EEEvSF_
    .private_segment_fixed_size: 0
    .sgpr_count:     0
    .sgpr_spill_count: 0
    .symbol:         _ZN7rocprim17ROCPRIM_400000_NS6detail17trampoline_kernelINS0_14default_configENS1_38merge_sort_block_merge_config_selectorIlNS0_10empty_typeEEEZZNS1_27merge_sort_block_merge_implIS3_PlPS5_jNS1_19radix_merge_compareILb0ELb1ElNS0_19identity_decomposerEEEEE10hipError_tT0_T1_T2_jT3_P12ihipStream_tbPNSt15iterator_traitsISE_E10value_typeEPNSK_ISF_E10value_typeEPSG_NS1_7vsmem_tEENKUlT_SE_SF_SG_E_clIS8_S8_S9_S9_EESD_ST_SE_SF_SG_EUlST_E0_NS1_11comp_targetILNS1_3genE4ELNS1_11target_archE910ELNS1_3gpuE8ELNS1_3repE0EEENS1_38merge_mergepath_config_static_selectorELNS0_4arch9wavefront6targetE0EEEvSF_.kd
    .uniform_work_group_size: 1
    .uses_dynamic_stack: false
    .vgpr_count:     0
    .vgpr_spill_count: 0
    .wavefront_size: 32
  - .args:
      - .offset:         0
        .size:           72
        .value_kind:     by_value
    .group_segment_fixed_size: 0
    .kernarg_segment_align: 8
    .kernarg_segment_size: 72
    .language:       OpenCL C
    .language_version:
      - 2
      - 0
    .max_flat_workgroup_size: 128
    .name:           _ZN7rocprim17ROCPRIM_400000_NS6detail17trampoline_kernelINS0_14default_configENS1_38merge_sort_block_merge_config_selectorIlNS0_10empty_typeEEEZZNS1_27merge_sort_block_merge_implIS3_PlPS5_jNS1_19radix_merge_compareILb0ELb1ElNS0_19identity_decomposerEEEEE10hipError_tT0_T1_T2_jT3_P12ihipStream_tbPNSt15iterator_traitsISE_E10value_typeEPNSK_ISF_E10value_typeEPSG_NS1_7vsmem_tEENKUlT_SE_SF_SG_E_clIS8_S8_S9_S9_EESD_ST_SE_SF_SG_EUlST_E0_NS1_11comp_targetILNS1_3genE3ELNS1_11target_archE908ELNS1_3gpuE7ELNS1_3repE0EEENS1_38merge_mergepath_config_static_selectorELNS0_4arch9wavefront6targetE0EEEvSF_
    .private_segment_fixed_size: 0
    .sgpr_count:     0
    .sgpr_spill_count: 0
    .symbol:         _ZN7rocprim17ROCPRIM_400000_NS6detail17trampoline_kernelINS0_14default_configENS1_38merge_sort_block_merge_config_selectorIlNS0_10empty_typeEEEZZNS1_27merge_sort_block_merge_implIS3_PlPS5_jNS1_19radix_merge_compareILb0ELb1ElNS0_19identity_decomposerEEEEE10hipError_tT0_T1_T2_jT3_P12ihipStream_tbPNSt15iterator_traitsISE_E10value_typeEPNSK_ISF_E10value_typeEPSG_NS1_7vsmem_tEENKUlT_SE_SF_SG_E_clIS8_S8_S9_S9_EESD_ST_SE_SF_SG_EUlST_E0_NS1_11comp_targetILNS1_3genE3ELNS1_11target_archE908ELNS1_3gpuE7ELNS1_3repE0EEENS1_38merge_mergepath_config_static_selectorELNS0_4arch9wavefront6targetE0EEEvSF_.kd
    .uniform_work_group_size: 1
    .uses_dynamic_stack: false
    .vgpr_count:     0
    .vgpr_spill_count: 0
    .wavefront_size: 32
  - .args:
      - .offset:         0
        .size:           72
        .value_kind:     by_value
    .group_segment_fixed_size: 0
    .kernarg_segment_align: 8
    .kernarg_segment_size: 72
    .language:       OpenCL C
    .language_version:
      - 2
      - 0
    .max_flat_workgroup_size: 256
    .name:           _ZN7rocprim17ROCPRIM_400000_NS6detail17trampoline_kernelINS0_14default_configENS1_38merge_sort_block_merge_config_selectorIlNS0_10empty_typeEEEZZNS1_27merge_sort_block_merge_implIS3_PlPS5_jNS1_19radix_merge_compareILb0ELb1ElNS0_19identity_decomposerEEEEE10hipError_tT0_T1_T2_jT3_P12ihipStream_tbPNSt15iterator_traitsISE_E10value_typeEPNSK_ISF_E10value_typeEPSG_NS1_7vsmem_tEENKUlT_SE_SF_SG_E_clIS8_S8_S9_S9_EESD_ST_SE_SF_SG_EUlST_E0_NS1_11comp_targetILNS1_3genE2ELNS1_11target_archE906ELNS1_3gpuE6ELNS1_3repE0EEENS1_38merge_mergepath_config_static_selectorELNS0_4arch9wavefront6targetE0EEEvSF_
    .private_segment_fixed_size: 0
    .sgpr_count:     0
    .sgpr_spill_count: 0
    .symbol:         _ZN7rocprim17ROCPRIM_400000_NS6detail17trampoline_kernelINS0_14default_configENS1_38merge_sort_block_merge_config_selectorIlNS0_10empty_typeEEEZZNS1_27merge_sort_block_merge_implIS3_PlPS5_jNS1_19radix_merge_compareILb0ELb1ElNS0_19identity_decomposerEEEEE10hipError_tT0_T1_T2_jT3_P12ihipStream_tbPNSt15iterator_traitsISE_E10value_typeEPNSK_ISF_E10value_typeEPSG_NS1_7vsmem_tEENKUlT_SE_SF_SG_E_clIS8_S8_S9_S9_EESD_ST_SE_SF_SG_EUlST_E0_NS1_11comp_targetILNS1_3genE2ELNS1_11target_archE906ELNS1_3gpuE6ELNS1_3repE0EEENS1_38merge_mergepath_config_static_selectorELNS0_4arch9wavefront6targetE0EEEvSF_.kd
    .uniform_work_group_size: 1
    .uses_dynamic_stack: false
    .vgpr_count:     0
    .vgpr_spill_count: 0
    .wavefront_size: 32
  - .args:
      - .offset:         0
        .size:           72
        .value_kind:     by_value
    .group_segment_fixed_size: 0
    .kernarg_segment_align: 8
    .kernarg_segment_size: 72
    .language:       OpenCL C
    .language_version:
      - 2
      - 0
    .max_flat_workgroup_size: 512
    .name:           _ZN7rocprim17ROCPRIM_400000_NS6detail17trampoline_kernelINS0_14default_configENS1_38merge_sort_block_merge_config_selectorIlNS0_10empty_typeEEEZZNS1_27merge_sort_block_merge_implIS3_PlPS5_jNS1_19radix_merge_compareILb0ELb1ElNS0_19identity_decomposerEEEEE10hipError_tT0_T1_T2_jT3_P12ihipStream_tbPNSt15iterator_traitsISE_E10value_typeEPNSK_ISF_E10value_typeEPSG_NS1_7vsmem_tEENKUlT_SE_SF_SG_E_clIS8_S8_S9_S9_EESD_ST_SE_SF_SG_EUlST_E0_NS1_11comp_targetILNS1_3genE9ELNS1_11target_archE1100ELNS1_3gpuE3ELNS1_3repE0EEENS1_38merge_mergepath_config_static_selectorELNS0_4arch9wavefront6targetE0EEEvSF_
    .private_segment_fixed_size: 0
    .sgpr_count:     0
    .sgpr_spill_count: 0
    .symbol:         _ZN7rocprim17ROCPRIM_400000_NS6detail17trampoline_kernelINS0_14default_configENS1_38merge_sort_block_merge_config_selectorIlNS0_10empty_typeEEEZZNS1_27merge_sort_block_merge_implIS3_PlPS5_jNS1_19radix_merge_compareILb0ELb1ElNS0_19identity_decomposerEEEEE10hipError_tT0_T1_T2_jT3_P12ihipStream_tbPNSt15iterator_traitsISE_E10value_typeEPNSK_ISF_E10value_typeEPSG_NS1_7vsmem_tEENKUlT_SE_SF_SG_E_clIS8_S8_S9_S9_EESD_ST_SE_SF_SG_EUlST_E0_NS1_11comp_targetILNS1_3genE9ELNS1_11target_archE1100ELNS1_3gpuE3ELNS1_3repE0EEENS1_38merge_mergepath_config_static_selectorELNS0_4arch9wavefront6targetE0EEEvSF_.kd
    .uniform_work_group_size: 1
    .uses_dynamic_stack: false
    .vgpr_count:     0
    .vgpr_spill_count: 0
    .wavefront_size: 32
  - .args:
      - .offset:         0
        .size:           72
        .value_kind:     by_value
    .group_segment_fixed_size: 0
    .kernarg_segment_align: 8
    .kernarg_segment_size: 72
    .language:       OpenCL C
    .language_version:
      - 2
      - 0
    .max_flat_workgroup_size: 1024
    .name:           _ZN7rocprim17ROCPRIM_400000_NS6detail17trampoline_kernelINS0_14default_configENS1_38merge_sort_block_merge_config_selectorIlNS0_10empty_typeEEEZZNS1_27merge_sort_block_merge_implIS3_PlPS5_jNS1_19radix_merge_compareILb0ELb1ElNS0_19identity_decomposerEEEEE10hipError_tT0_T1_T2_jT3_P12ihipStream_tbPNSt15iterator_traitsISE_E10value_typeEPNSK_ISF_E10value_typeEPSG_NS1_7vsmem_tEENKUlT_SE_SF_SG_E_clIS8_S8_S9_S9_EESD_ST_SE_SF_SG_EUlST_E0_NS1_11comp_targetILNS1_3genE8ELNS1_11target_archE1030ELNS1_3gpuE2ELNS1_3repE0EEENS1_38merge_mergepath_config_static_selectorELNS0_4arch9wavefront6targetE0EEEvSF_
    .private_segment_fixed_size: 0
    .sgpr_count:     0
    .sgpr_spill_count: 0
    .symbol:         _ZN7rocprim17ROCPRIM_400000_NS6detail17trampoline_kernelINS0_14default_configENS1_38merge_sort_block_merge_config_selectorIlNS0_10empty_typeEEEZZNS1_27merge_sort_block_merge_implIS3_PlPS5_jNS1_19radix_merge_compareILb0ELb1ElNS0_19identity_decomposerEEEEE10hipError_tT0_T1_T2_jT3_P12ihipStream_tbPNSt15iterator_traitsISE_E10value_typeEPNSK_ISF_E10value_typeEPSG_NS1_7vsmem_tEENKUlT_SE_SF_SG_E_clIS8_S8_S9_S9_EESD_ST_SE_SF_SG_EUlST_E0_NS1_11comp_targetILNS1_3genE8ELNS1_11target_archE1030ELNS1_3gpuE2ELNS1_3repE0EEENS1_38merge_mergepath_config_static_selectorELNS0_4arch9wavefront6targetE0EEEvSF_.kd
    .uniform_work_group_size: 1
    .uses_dynamic_stack: false
    .vgpr_count:     0
    .vgpr_spill_count: 0
    .wavefront_size: 32
  - .args:
      - .offset:         0
        .size:           48
        .value_kind:     by_value
    .group_segment_fixed_size: 0
    .kernarg_segment_align: 8
    .kernarg_segment_size: 48
    .language:       OpenCL C
    .language_version:
      - 2
      - 0
    .max_flat_workgroup_size: 256
    .name:           _ZN7rocprim17ROCPRIM_400000_NS6detail17trampoline_kernelINS0_14default_configENS1_38merge_sort_block_merge_config_selectorIlNS0_10empty_typeEEEZZNS1_27merge_sort_block_merge_implIS3_PlPS5_jNS1_19radix_merge_compareILb0ELb1ElNS0_19identity_decomposerEEEEE10hipError_tT0_T1_T2_jT3_P12ihipStream_tbPNSt15iterator_traitsISE_E10value_typeEPNSK_ISF_E10value_typeEPSG_NS1_7vsmem_tEENKUlT_SE_SF_SG_E_clIS8_S8_S9_S9_EESD_ST_SE_SF_SG_EUlST_E1_NS1_11comp_targetILNS1_3genE0ELNS1_11target_archE4294967295ELNS1_3gpuE0ELNS1_3repE0EEENS1_36merge_oddeven_config_static_selectorELNS0_4arch9wavefront6targetE0EEEvSF_
    .private_segment_fixed_size: 0
    .sgpr_count:     20
    .sgpr_spill_count: 0
    .symbol:         _ZN7rocprim17ROCPRIM_400000_NS6detail17trampoline_kernelINS0_14default_configENS1_38merge_sort_block_merge_config_selectorIlNS0_10empty_typeEEEZZNS1_27merge_sort_block_merge_implIS3_PlPS5_jNS1_19radix_merge_compareILb0ELb1ElNS0_19identity_decomposerEEEEE10hipError_tT0_T1_T2_jT3_P12ihipStream_tbPNSt15iterator_traitsISE_E10value_typeEPNSK_ISF_E10value_typeEPSG_NS1_7vsmem_tEENKUlT_SE_SF_SG_E_clIS8_S8_S9_S9_EESD_ST_SE_SF_SG_EUlST_E1_NS1_11comp_targetILNS1_3genE0ELNS1_11target_archE4294967295ELNS1_3gpuE0ELNS1_3repE0EEENS1_36merge_oddeven_config_static_selectorELNS0_4arch9wavefront6targetE0EEEvSF_.kd
    .uniform_work_group_size: 1
    .uses_dynamic_stack: false
    .vgpr_count:     11
    .vgpr_spill_count: 0
    .wavefront_size: 32
  - .args:
      - .offset:         0
        .size:           48
        .value_kind:     by_value
    .group_segment_fixed_size: 0
    .kernarg_segment_align: 8
    .kernarg_segment_size: 48
    .language:       OpenCL C
    .language_version:
      - 2
      - 0
    .max_flat_workgroup_size: 256
    .name:           _ZN7rocprim17ROCPRIM_400000_NS6detail17trampoline_kernelINS0_14default_configENS1_38merge_sort_block_merge_config_selectorIlNS0_10empty_typeEEEZZNS1_27merge_sort_block_merge_implIS3_PlPS5_jNS1_19radix_merge_compareILb0ELb1ElNS0_19identity_decomposerEEEEE10hipError_tT0_T1_T2_jT3_P12ihipStream_tbPNSt15iterator_traitsISE_E10value_typeEPNSK_ISF_E10value_typeEPSG_NS1_7vsmem_tEENKUlT_SE_SF_SG_E_clIS8_S8_S9_S9_EESD_ST_SE_SF_SG_EUlST_E1_NS1_11comp_targetILNS1_3genE10ELNS1_11target_archE1201ELNS1_3gpuE5ELNS1_3repE0EEENS1_36merge_oddeven_config_static_selectorELNS0_4arch9wavefront6targetE0EEEvSF_
    .private_segment_fixed_size: 0
    .sgpr_count:     0
    .sgpr_spill_count: 0
    .symbol:         _ZN7rocprim17ROCPRIM_400000_NS6detail17trampoline_kernelINS0_14default_configENS1_38merge_sort_block_merge_config_selectorIlNS0_10empty_typeEEEZZNS1_27merge_sort_block_merge_implIS3_PlPS5_jNS1_19radix_merge_compareILb0ELb1ElNS0_19identity_decomposerEEEEE10hipError_tT0_T1_T2_jT3_P12ihipStream_tbPNSt15iterator_traitsISE_E10value_typeEPNSK_ISF_E10value_typeEPSG_NS1_7vsmem_tEENKUlT_SE_SF_SG_E_clIS8_S8_S9_S9_EESD_ST_SE_SF_SG_EUlST_E1_NS1_11comp_targetILNS1_3genE10ELNS1_11target_archE1201ELNS1_3gpuE5ELNS1_3repE0EEENS1_36merge_oddeven_config_static_selectorELNS0_4arch9wavefront6targetE0EEEvSF_.kd
    .uniform_work_group_size: 1
    .uses_dynamic_stack: false
    .vgpr_count:     0
    .vgpr_spill_count: 0
    .wavefront_size: 32
  - .args:
      - .offset:         0
        .size:           48
        .value_kind:     by_value
    .group_segment_fixed_size: 0
    .kernarg_segment_align: 8
    .kernarg_segment_size: 48
    .language:       OpenCL C
    .language_version:
      - 2
      - 0
    .max_flat_workgroup_size: 256
    .name:           _ZN7rocprim17ROCPRIM_400000_NS6detail17trampoline_kernelINS0_14default_configENS1_38merge_sort_block_merge_config_selectorIlNS0_10empty_typeEEEZZNS1_27merge_sort_block_merge_implIS3_PlPS5_jNS1_19radix_merge_compareILb0ELb1ElNS0_19identity_decomposerEEEEE10hipError_tT0_T1_T2_jT3_P12ihipStream_tbPNSt15iterator_traitsISE_E10value_typeEPNSK_ISF_E10value_typeEPSG_NS1_7vsmem_tEENKUlT_SE_SF_SG_E_clIS8_S8_S9_S9_EESD_ST_SE_SF_SG_EUlST_E1_NS1_11comp_targetILNS1_3genE5ELNS1_11target_archE942ELNS1_3gpuE9ELNS1_3repE0EEENS1_36merge_oddeven_config_static_selectorELNS0_4arch9wavefront6targetE0EEEvSF_
    .private_segment_fixed_size: 0
    .sgpr_count:     0
    .sgpr_spill_count: 0
    .symbol:         _ZN7rocprim17ROCPRIM_400000_NS6detail17trampoline_kernelINS0_14default_configENS1_38merge_sort_block_merge_config_selectorIlNS0_10empty_typeEEEZZNS1_27merge_sort_block_merge_implIS3_PlPS5_jNS1_19radix_merge_compareILb0ELb1ElNS0_19identity_decomposerEEEEE10hipError_tT0_T1_T2_jT3_P12ihipStream_tbPNSt15iterator_traitsISE_E10value_typeEPNSK_ISF_E10value_typeEPSG_NS1_7vsmem_tEENKUlT_SE_SF_SG_E_clIS8_S8_S9_S9_EESD_ST_SE_SF_SG_EUlST_E1_NS1_11comp_targetILNS1_3genE5ELNS1_11target_archE942ELNS1_3gpuE9ELNS1_3repE0EEENS1_36merge_oddeven_config_static_selectorELNS0_4arch9wavefront6targetE0EEEvSF_.kd
    .uniform_work_group_size: 1
    .uses_dynamic_stack: false
    .vgpr_count:     0
    .vgpr_spill_count: 0
    .wavefront_size: 32
  - .args:
      - .offset:         0
        .size:           48
        .value_kind:     by_value
    .group_segment_fixed_size: 0
    .kernarg_segment_align: 8
    .kernarg_segment_size: 48
    .language:       OpenCL C
    .language_version:
      - 2
      - 0
    .max_flat_workgroup_size: 256
    .name:           _ZN7rocprim17ROCPRIM_400000_NS6detail17trampoline_kernelINS0_14default_configENS1_38merge_sort_block_merge_config_selectorIlNS0_10empty_typeEEEZZNS1_27merge_sort_block_merge_implIS3_PlPS5_jNS1_19radix_merge_compareILb0ELb1ElNS0_19identity_decomposerEEEEE10hipError_tT0_T1_T2_jT3_P12ihipStream_tbPNSt15iterator_traitsISE_E10value_typeEPNSK_ISF_E10value_typeEPSG_NS1_7vsmem_tEENKUlT_SE_SF_SG_E_clIS8_S8_S9_S9_EESD_ST_SE_SF_SG_EUlST_E1_NS1_11comp_targetILNS1_3genE4ELNS1_11target_archE910ELNS1_3gpuE8ELNS1_3repE0EEENS1_36merge_oddeven_config_static_selectorELNS0_4arch9wavefront6targetE0EEEvSF_
    .private_segment_fixed_size: 0
    .sgpr_count:     0
    .sgpr_spill_count: 0
    .symbol:         _ZN7rocprim17ROCPRIM_400000_NS6detail17trampoline_kernelINS0_14default_configENS1_38merge_sort_block_merge_config_selectorIlNS0_10empty_typeEEEZZNS1_27merge_sort_block_merge_implIS3_PlPS5_jNS1_19radix_merge_compareILb0ELb1ElNS0_19identity_decomposerEEEEE10hipError_tT0_T1_T2_jT3_P12ihipStream_tbPNSt15iterator_traitsISE_E10value_typeEPNSK_ISF_E10value_typeEPSG_NS1_7vsmem_tEENKUlT_SE_SF_SG_E_clIS8_S8_S9_S9_EESD_ST_SE_SF_SG_EUlST_E1_NS1_11comp_targetILNS1_3genE4ELNS1_11target_archE910ELNS1_3gpuE8ELNS1_3repE0EEENS1_36merge_oddeven_config_static_selectorELNS0_4arch9wavefront6targetE0EEEvSF_.kd
    .uniform_work_group_size: 1
    .uses_dynamic_stack: false
    .vgpr_count:     0
    .vgpr_spill_count: 0
    .wavefront_size: 32
  - .args:
      - .offset:         0
        .size:           48
        .value_kind:     by_value
    .group_segment_fixed_size: 0
    .kernarg_segment_align: 8
    .kernarg_segment_size: 48
    .language:       OpenCL C
    .language_version:
      - 2
      - 0
    .max_flat_workgroup_size: 256
    .name:           _ZN7rocprim17ROCPRIM_400000_NS6detail17trampoline_kernelINS0_14default_configENS1_38merge_sort_block_merge_config_selectorIlNS0_10empty_typeEEEZZNS1_27merge_sort_block_merge_implIS3_PlPS5_jNS1_19radix_merge_compareILb0ELb1ElNS0_19identity_decomposerEEEEE10hipError_tT0_T1_T2_jT3_P12ihipStream_tbPNSt15iterator_traitsISE_E10value_typeEPNSK_ISF_E10value_typeEPSG_NS1_7vsmem_tEENKUlT_SE_SF_SG_E_clIS8_S8_S9_S9_EESD_ST_SE_SF_SG_EUlST_E1_NS1_11comp_targetILNS1_3genE3ELNS1_11target_archE908ELNS1_3gpuE7ELNS1_3repE0EEENS1_36merge_oddeven_config_static_selectorELNS0_4arch9wavefront6targetE0EEEvSF_
    .private_segment_fixed_size: 0
    .sgpr_count:     0
    .sgpr_spill_count: 0
    .symbol:         _ZN7rocprim17ROCPRIM_400000_NS6detail17trampoline_kernelINS0_14default_configENS1_38merge_sort_block_merge_config_selectorIlNS0_10empty_typeEEEZZNS1_27merge_sort_block_merge_implIS3_PlPS5_jNS1_19radix_merge_compareILb0ELb1ElNS0_19identity_decomposerEEEEE10hipError_tT0_T1_T2_jT3_P12ihipStream_tbPNSt15iterator_traitsISE_E10value_typeEPNSK_ISF_E10value_typeEPSG_NS1_7vsmem_tEENKUlT_SE_SF_SG_E_clIS8_S8_S9_S9_EESD_ST_SE_SF_SG_EUlST_E1_NS1_11comp_targetILNS1_3genE3ELNS1_11target_archE908ELNS1_3gpuE7ELNS1_3repE0EEENS1_36merge_oddeven_config_static_selectorELNS0_4arch9wavefront6targetE0EEEvSF_.kd
    .uniform_work_group_size: 1
    .uses_dynamic_stack: false
    .vgpr_count:     0
    .vgpr_spill_count: 0
    .wavefront_size: 32
  - .args:
      - .offset:         0
        .size:           48
        .value_kind:     by_value
    .group_segment_fixed_size: 0
    .kernarg_segment_align: 8
    .kernarg_segment_size: 48
    .language:       OpenCL C
    .language_version:
      - 2
      - 0
    .max_flat_workgroup_size: 256
    .name:           _ZN7rocprim17ROCPRIM_400000_NS6detail17trampoline_kernelINS0_14default_configENS1_38merge_sort_block_merge_config_selectorIlNS0_10empty_typeEEEZZNS1_27merge_sort_block_merge_implIS3_PlPS5_jNS1_19radix_merge_compareILb0ELb1ElNS0_19identity_decomposerEEEEE10hipError_tT0_T1_T2_jT3_P12ihipStream_tbPNSt15iterator_traitsISE_E10value_typeEPNSK_ISF_E10value_typeEPSG_NS1_7vsmem_tEENKUlT_SE_SF_SG_E_clIS8_S8_S9_S9_EESD_ST_SE_SF_SG_EUlST_E1_NS1_11comp_targetILNS1_3genE2ELNS1_11target_archE906ELNS1_3gpuE6ELNS1_3repE0EEENS1_36merge_oddeven_config_static_selectorELNS0_4arch9wavefront6targetE0EEEvSF_
    .private_segment_fixed_size: 0
    .sgpr_count:     0
    .sgpr_spill_count: 0
    .symbol:         _ZN7rocprim17ROCPRIM_400000_NS6detail17trampoline_kernelINS0_14default_configENS1_38merge_sort_block_merge_config_selectorIlNS0_10empty_typeEEEZZNS1_27merge_sort_block_merge_implIS3_PlPS5_jNS1_19radix_merge_compareILb0ELb1ElNS0_19identity_decomposerEEEEE10hipError_tT0_T1_T2_jT3_P12ihipStream_tbPNSt15iterator_traitsISE_E10value_typeEPNSK_ISF_E10value_typeEPSG_NS1_7vsmem_tEENKUlT_SE_SF_SG_E_clIS8_S8_S9_S9_EESD_ST_SE_SF_SG_EUlST_E1_NS1_11comp_targetILNS1_3genE2ELNS1_11target_archE906ELNS1_3gpuE6ELNS1_3repE0EEENS1_36merge_oddeven_config_static_selectorELNS0_4arch9wavefront6targetE0EEEvSF_.kd
    .uniform_work_group_size: 1
    .uses_dynamic_stack: false
    .vgpr_count:     0
    .vgpr_spill_count: 0
    .wavefront_size: 32
  - .args:
      - .offset:         0
        .size:           48
        .value_kind:     by_value
    .group_segment_fixed_size: 0
    .kernarg_segment_align: 8
    .kernarg_segment_size: 48
    .language:       OpenCL C
    .language_version:
      - 2
      - 0
    .max_flat_workgroup_size: 256
    .name:           _ZN7rocprim17ROCPRIM_400000_NS6detail17trampoline_kernelINS0_14default_configENS1_38merge_sort_block_merge_config_selectorIlNS0_10empty_typeEEEZZNS1_27merge_sort_block_merge_implIS3_PlPS5_jNS1_19radix_merge_compareILb0ELb1ElNS0_19identity_decomposerEEEEE10hipError_tT0_T1_T2_jT3_P12ihipStream_tbPNSt15iterator_traitsISE_E10value_typeEPNSK_ISF_E10value_typeEPSG_NS1_7vsmem_tEENKUlT_SE_SF_SG_E_clIS8_S8_S9_S9_EESD_ST_SE_SF_SG_EUlST_E1_NS1_11comp_targetILNS1_3genE9ELNS1_11target_archE1100ELNS1_3gpuE3ELNS1_3repE0EEENS1_36merge_oddeven_config_static_selectorELNS0_4arch9wavefront6targetE0EEEvSF_
    .private_segment_fixed_size: 0
    .sgpr_count:     0
    .sgpr_spill_count: 0
    .symbol:         _ZN7rocprim17ROCPRIM_400000_NS6detail17trampoline_kernelINS0_14default_configENS1_38merge_sort_block_merge_config_selectorIlNS0_10empty_typeEEEZZNS1_27merge_sort_block_merge_implIS3_PlPS5_jNS1_19radix_merge_compareILb0ELb1ElNS0_19identity_decomposerEEEEE10hipError_tT0_T1_T2_jT3_P12ihipStream_tbPNSt15iterator_traitsISE_E10value_typeEPNSK_ISF_E10value_typeEPSG_NS1_7vsmem_tEENKUlT_SE_SF_SG_E_clIS8_S8_S9_S9_EESD_ST_SE_SF_SG_EUlST_E1_NS1_11comp_targetILNS1_3genE9ELNS1_11target_archE1100ELNS1_3gpuE3ELNS1_3repE0EEENS1_36merge_oddeven_config_static_selectorELNS0_4arch9wavefront6targetE0EEEvSF_.kd
    .uniform_work_group_size: 1
    .uses_dynamic_stack: false
    .vgpr_count:     0
    .vgpr_spill_count: 0
    .wavefront_size: 32
  - .args:
      - .offset:         0
        .size:           48
        .value_kind:     by_value
    .group_segment_fixed_size: 0
    .kernarg_segment_align: 8
    .kernarg_segment_size: 48
    .language:       OpenCL C
    .language_version:
      - 2
      - 0
    .max_flat_workgroup_size: 256
    .name:           _ZN7rocprim17ROCPRIM_400000_NS6detail17trampoline_kernelINS0_14default_configENS1_38merge_sort_block_merge_config_selectorIlNS0_10empty_typeEEEZZNS1_27merge_sort_block_merge_implIS3_PlPS5_jNS1_19radix_merge_compareILb0ELb1ElNS0_19identity_decomposerEEEEE10hipError_tT0_T1_T2_jT3_P12ihipStream_tbPNSt15iterator_traitsISE_E10value_typeEPNSK_ISF_E10value_typeEPSG_NS1_7vsmem_tEENKUlT_SE_SF_SG_E_clIS8_S8_S9_S9_EESD_ST_SE_SF_SG_EUlST_E1_NS1_11comp_targetILNS1_3genE8ELNS1_11target_archE1030ELNS1_3gpuE2ELNS1_3repE0EEENS1_36merge_oddeven_config_static_selectorELNS0_4arch9wavefront6targetE0EEEvSF_
    .private_segment_fixed_size: 0
    .sgpr_count:     0
    .sgpr_spill_count: 0
    .symbol:         _ZN7rocprim17ROCPRIM_400000_NS6detail17trampoline_kernelINS0_14default_configENS1_38merge_sort_block_merge_config_selectorIlNS0_10empty_typeEEEZZNS1_27merge_sort_block_merge_implIS3_PlPS5_jNS1_19radix_merge_compareILb0ELb1ElNS0_19identity_decomposerEEEEE10hipError_tT0_T1_T2_jT3_P12ihipStream_tbPNSt15iterator_traitsISE_E10value_typeEPNSK_ISF_E10value_typeEPSG_NS1_7vsmem_tEENKUlT_SE_SF_SG_E_clIS8_S8_S9_S9_EESD_ST_SE_SF_SG_EUlST_E1_NS1_11comp_targetILNS1_3genE8ELNS1_11target_archE1030ELNS1_3gpuE2ELNS1_3repE0EEENS1_36merge_oddeven_config_static_selectorELNS0_4arch9wavefront6targetE0EEEvSF_.kd
    .uniform_work_group_size: 1
    .uses_dynamic_stack: false
    .vgpr_count:     0
    .vgpr_spill_count: 0
    .wavefront_size: 32
  - .args:
      - .offset:         0
        .size:           48
        .value_kind:     by_value
    .group_segment_fixed_size: 32768
    .kernarg_segment_align: 8
    .kernarg_segment_size: 48
    .language:       OpenCL C
    .language_version:
      - 2
      - 0
    .max_flat_workgroup_size: 512
    .name:           _ZN7rocprim17ROCPRIM_400000_NS6detail17trampoline_kernelINS0_14default_configENS1_35radix_sort_onesweep_config_selectorIlNS0_10empty_typeEEEZNS1_34radix_sort_onesweep_global_offsetsIS3_Lb0EPKlPS5_mNS0_19identity_decomposerEEE10hipError_tT1_T2_PT3_SF_jT4_jjP12ihipStream_tbEUlT_E_NS1_11comp_targetILNS1_3genE0ELNS1_11target_archE4294967295ELNS1_3gpuE0ELNS1_3repE0EEENS1_52radix_sort_onesweep_histogram_config_static_selectorELNS0_4arch9wavefront6targetE0EEEvSD_
    .private_segment_fixed_size: 0
    .sgpr_count:     15
    .sgpr_spill_count: 0
    .symbol:         _ZN7rocprim17ROCPRIM_400000_NS6detail17trampoline_kernelINS0_14default_configENS1_35radix_sort_onesweep_config_selectorIlNS0_10empty_typeEEEZNS1_34radix_sort_onesweep_global_offsetsIS3_Lb0EPKlPS5_mNS0_19identity_decomposerEEE10hipError_tT1_T2_PT3_SF_jT4_jjP12ihipStream_tbEUlT_E_NS1_11comp_targetILNS1_3genE0ELNS1_11target_archE4294967295ELNS1_3gpuE0ELNS1_3repE0EEENS1_52radix_sort_onesweep_histogram_config_static_selectorELNS0_4arch9wavefront6targetE0EEEvSD_.kd
    .uniform_work_group_size: 1
    .uses_dynamic_stack: false
    .vgpr_count:     30
    .vgpr_spill_count: 0
    .wavefront_size: 32
  - .args:
      - .offset:         0
        .size:           48
        .value_kind:     by_value
    .group_segment_fixed_size: 0
    .kernarg_segment_align: 8
    .kernarg_segment_size: 48
    .language:       OpenCL C
    .language_version:
      - 2
      - 0
    .max_flat_workgroup_size: 512
    .name:           _ZN7rocprim17ROCPRIM_400000_NS6detail17trampoline_kernelINS0_14default_configENS1_35radix_sort_onesweep_config_selectorIlNS0_10empty_typeEEEZNS1_34radix_sort_onesweep_global_offsetsIS3_Lb0EPKlPS5_mNS0_19identity_decomposerEEE10hipError_tT1_T2_PT3_SF_jT4_jjP12ihipStream_tbEUlT_E_NS1_11comp_targetILNS1_3genE6ELNS1_11target_archE950ELNS1_3gpuE13ELNS1_3repE0EEENS1_52radix_sort_onesweep_histogram_config_static_selectorELNS0_4arch9wavefront6targetE0EEEvSD_
    .private_segment_fixed_size: 0
    .sgpr_count:     0
    .sgpr_spill_count: 0
    .symbol:         _ZN7rocprim17ROCPRIM_400000_NS6detail17trampoline_kernelINS0_14default_configENS1_35radix_sort_onesweep_config_selectorIlNS0_10empty_typeEEEZNS1_34radix_sort_onesweep_global_offsetsIS3_Lb0EPKlPS5_mNS0_19identity_decomposerEEE10hipError_tT1_T2_PT3_SF_jT4_jjP12ihipStream_tbEUlT_E_NS1_11comp_targetILNS1_3genE6ELNS1_11target_archE950ELNS1_3gpuE13ELNS1_3repE0EEENS1_52radix_sort_onesweep_histogram_config_static_selectorELNS0_4arch9wavefront6targetE0EEEvSD_.kd
    .uniform_work_group_size: 1
    .uses_dynamic_stack: false
    .vgpr_count:     0
    .vgpr_spill_count: 0
    .wavefront_size: 32
  - .args:
      - .offset:         0
        .size:           48
        .value_kind:     by_value
    .group_segment_fixed_size: 0
    .kernarg_segment_align: 8
    .kernarg_segment_size: 48
    .language:       OpenCL C
    .language_version:
      - 2
      - 0
    .max_flat_workgroup_size: 512
    .name:           _ZN7rocprim17ROCPRIM_400000_NS6detail17trampoline_kernelINS0_14default_configENS1_35radix_sort_onesweep_config_selectorIlNS0_10empty_typeEEEZNS1_34radix_sort_onesweep_global_offsetsIS3_Lb0EPKlPS5_mNS0_19identity_decomposerEEE10hipError_tT1_T2_PT3_SF_jT4_jjP12ihipStream_tbEUlT_E_NS1_11comp_targetILNS1_3genE5ELNS1_11target_archE942ELNS1_3gpuE9ELNS1_3repE0EEENS1_52radix_sort_onesweep_histogram_config_static_selectorELNS0_4arch9wavefront6targetE0EEEvSD_
    .private_segment_fixed_size: 0
    .sgpr_count:     0
    .sgpr_spill_count: 0
    .symbol:         _ZN7rocprim17ROCPRIM_400000_NS6detail17trampoline_kernelINS0_14default_configENS1_35radix_sort_onesweep_config_selectorIlNS0_10empty_typeEEEZNS1_34radix_sort_onesweep_global_offsetsIS3_Lb0EPKlPS5_mNS0_19identity_decomposerEEE10hipError_tT1_T2_PT3_SF_jT4_jjP12ihipStream_tbEUlT_E_NS1_11comp_targetILNS1_3genE5ELNS1_11target_archE942ELNS1_3gpuE9ELNS1_3repE0EEENS1_52radix_sort_onesweep_histogram_config_static_selectorELNS0_4arch9wavefront6targetE0EEEvSD_.kd
    .uniform_work_group_size: 1
    .uses_dynamic_stack: false
    .vgpr_count:     0
    .vgpr_spill_count: 0
    .wavefront_size: 32
  - .args:
      - .offset:         0
        .size:           48
        .value_kind:     by_value
    .group_segment_fixed_size: 0
    .kernarg_segment_align: 8
    .kernarg_segment_size: 48
    .language:       OpenCL C
    .language_version:
      - 2
      - 0
    .max_flat_workgroup_size: 512
    .name:           _ZN7rocprim17ROCPRIM_400000_NS6detail17trampoline_kernelINS0_14default_configENS1_35radix_sort_onesweep_config_selectorIlNS0_10empty_typeEEEZNS1_34radix_sort_onesweep_global_offsetsIS3_Lb0EPKlPS5_mNS0_19identity_decomposerEEE10hipError_tT1_T2_PT3_SF_jT4_jjP12ihipStream_tbEUlT_E_NS1_11comp_targetILNS1_3genE2ELNS1_11target_archE906ELNS1_3gpuE6ELNS1_3repE0EEENS1_52radix_sort_onesweep_histogram_config_static_selectorELNS0_4arch9wavefront6targetE0EEEvSD_
    .private_segment_fixed_size: 0
    .sgpr_count:     0
    .sgpr_spill_count: 0
    .symbol:         _ZN7rocprim17ROCPRIM_400000_NS6detail17trampoline_kernelINS0_14default_configENS1_35radix_sort_onesweep_config_selectorIlNS0_10empty_typeEEEZNS1_34radix_sort_onesweep_global_offsetsIS3_Lb0EPKlPS5_mNS0_19identity_decomposerEEE10hipError_tT1_T2_PT3_SF_jT4_jjP12ihipStream_tbEUlT_E_NS1_11comp_targetILNS1_3genE2ELNS1_11target_archE906ELNS1_3gpuE6ELNS1_3repE0EEENS1_52radix_sort_onesweep_histogram_config_static_selectorELNS0_4arch9wavefront6targetE0EEEvSD_.kd
    .uniform_work_group_size: 1
    .uses_dynamic_stack: false
    .vgpr_count:     0
    .vgpr_spill_count: 0
    .wavefront_size: 32
  - .args:
      - .offset:         0
        .size:           48
        .value_kind:     by_value
    .group_segment_fixed_size: 0
    .kernarg_segment_align: 8
    .kernarg_segment_size: 48
    .language:       OpenCL C
    .language_version:
      - 2
      - 0
    .max_flat_workgroup_size: 1024
    .name:           _ZN7rocprim17ROCPRIM_400000_NS6detail17trampoline_kernelINS0_14default_configENS1_35radix_sort_onesweep_config_selectorIlNS0_10empty_typeEEEZNS1_34radix_sort_onesweep_global_offsetsIS3_Lb0EPKlPS5_mNS0_19identity_decomposerEEE10hipError_tT1_T2_PT3_SF_jT4_jjP12ihipStream_tbEUlT_E_NS1_11comp_targetILNS1_3genE4ELNS1_11target_archE910ELNS1_3gpuE8ELNS1_3repE0EEENS1_52radix_sort_onesweep_histogram_config_static_selectorELNS0_4arch9wavefront6targetE0EEEvSD_
    .private_segment_fixed_size: 0
    .sgpr_count:     0
    .sgpr_spill_count: 0
    .symbol:         _ZN7rocprim17ROCPRIM_400000_NS6detail17trampoline_kernelINS0_14default_configENS1_35radix_sort_onesweep_config_selectorIlNS0_10empty_typeEEEZNS1_34radix_sort_onesweep_global_offsetsIS3_Lb0EPKlPS5_mNS0_19identity_decomposerEEE10hipError_tT1_T2_PT3_SF_jT4_jjP12ihipStream_tbEUlT_E_NS1_11comp_targetILNS1_3genE4ELNS1_11target_archE910ELNS1_3gpuE8ELNS1_3repE0EEENS1_52radix_sort_onesweep_histogram_config_static_selectorELNS0_4arch9wavefront6targetE0EEEvSD_.kd
    .uniform_work_group_size: 1
    .uses_dynamic_stack: false
    .vgpr_count:     0
    .vgpr_spill_count: 0
    .wavefront_size: 32
  - .args:
      - .offset:         0
        .size:           48
        .value_kind:     by_value
    .group_segment_fixed_size: 0
    .kernarg_segment_align: 8
    .kernarg_segment_size: 48
    .language:       OpenCL C
    .language_version:
      - 2
      - 0
    .max_flat_workgroup_size: 512
    .name:           _ZN7rocprim17ROCPRIM_400000_NS6detail17trampoline_kernelINS0_14default_configENS1_35radix_sort_onesweep_config_selectorIlNS0_10empty_typeEEEZNS1_34radix_sort_onesweep_global_offsetsIS3_Lb0EPKlPS5_mNS0_19identity_decomposerEEE10hipError_tT1_T2_PT3_SF_jT4_jjP12ihipStream_tbEUlT_E_NS1_11comp_targetILNS1_3genE3ELNS1_11target_archE908ELNS1_3gpuE7ELNS1_3repE0EEENS1_52radix_sort_onesweep_histogram_config_static_selectorELNS0_4arch9wavefront6targetE0EEEvSD_
    .private_segment_fixed_size: 0
    .sgpr_count:     0
    .sgpr_spill_count: 0
    .symbol:         _ZN7rocprim17ROCPRIM_400000_NS6detail17trampoline_kernelINS0_14default_configENS1_35radix_sort_onesweep_config_selectorIlNS0_10empty_typeEEEZNS1_34radix_sort_onesweep_global_offsetsIS3_Lb0EPKlPS5_mNS0_19identity_decomposerEEE10hipError_tT1_T2_PT3_SF_jT4_jjP12ihipStream_tbEUlT_E_NS1_11comp_targetILNS1_3genE3ELNS1_11target_archE908ELNS1_3gpuE7ELNS1_3repE0EEENS1_52radix_sort_onesweep_histogram_config_static_selectorELNS0_4arch9wavefront6targetE0EEEvSD_.kd
    .uniform_work_group_size: 1
    .uses_dynamic_stack: false
    .vgpr_count:     0
    .vgpr_spill_count: 0
    .wavefront_size: 32
  - .args:
      - .offset:         0
        .size:           48
        .value_kind:     by_value
    .group_segment_fixed_size: 0
    .kernarg_segment_align: 8
    .kernarg_segment_size: 48
    .language:       OpenCL C
    .language_version:
      - 2
      - 0
    .max_flat_workgroup_size: 512
    .name:           _ZN7rocprim17ROCPRIM_400000_NS6detail17trampoline_kernelINS0_14default_configENS1_35radix_sort_onesweep_config_selectorIlNS0_10empty_typeEEEZNS1_34radix_sort_onesweep_global_offsetsIS3_Lb0EPKlPS5_mNS0_19identity_decomposerEEE10hipError_tT1_T2_PT3_SF_jT4_jjP12ihipStream_tbEUlT_E_NS1_11comp_targetILNS1_3genE10ELNS1_11target_archE1201ELNS1_3gpuE5ELNS1_3repE0EEENS1_52radix_sort_onesweep_histogram_config_static_selectorELNS0_4arch9wavefront6targetE0EEEvSD_
    .private_segment_fixed_size: 0
    .sgpr_count:     0
    .sgpr_spill_count: 0
    .symbol:         _ZN7rocprim17ROCPRIM_400000_NS6detail17trampoline_kernelINS0_14default_configENS1_35radix_sort_onesweep_config_selectorIlNS0_10empty_typeEEEZNS1_34radix_sort_onesweep_global_offsetsIS3_Lb0EPKlPS5_mNS0_19identity_decomposerEEE10hipError_tT1_T2_PT3_SF_jT4_jjP12ihipStream_tbEUlT_E_NS1_11comp_targetILNS1_3genE10ELNS1_11target_archE1201ELNS1_3gpuE5ELNS1_3repE0EEENS1_52radix_sort_onesweep_histogram_config_static_selectorELNS0_4arch9wavefront6targetE0EEEvSD_.kd
    .uniform_work_group_size: 1
    .uses_dynamic_stack: false
    .vgpr_count:     0
    .vgpr_spill_count: 0
    .wavefront_size: 32
  - .args:
      - .offset:         0
        .size:           48
        .value_kind:     by_value
    .group_segment_fixed_size: 0
    .kernarg_segment_align: 8
    .kernarg_segment_size: 48
    .language:       OpenCL C
    .language_version:
      - 2
      - 0
    .max_flat_workgroup_size: 1024
    .name:           _ZN7rocprim17ROCPRIM_400000_NS6detail17trampoline_kernelINS0_14default_configENS1_35radix_sort_onesweep_config_selectorIlNS0_10empty_typeEEEZNS1_34radix_sort_onesweep_global_offsetsIS3_Lb0EPKlPS5_mNS0_19identity_decomposerEEE10hipError_tT1_T2_PT3_SF_jT4_jjP12ihipStream_tbEUlT_E_NS1_11comp_targetILNS1_3genE9ELNS1_11target_archE1100ELNS1_3gpuE3ELNS1_3repE0EEENS1_52radix_sort_onesweep_histogram_config_static_selectorELNS0_4arch9wavefront6targetE0EEEvSD_
    .private_segment_fixed_size: 0
    .sgpr_count:     0
    .sgpr_spill_count: 0
    .symbol:         _ZN7rocprim17ROCPRIM_400000_NS6detail17trampoline_kernelINS0_14default_configENS1_35radix_sort_onesweep_config_selectorIlNS0_10empty_typeEEEZNS1_34radix_sort_onesweep_global_offsetsIS3_Lb0EPKlPS5_mNS0_19identity_decomposerEEE10hipError_tT1_T2_PT3_SF_jT4_jjP12ihipStream_tbEUlT_E_NS1_11comp_targetILNS1_3genE9ELNS1_11target_archE1100ELNS1_3gpuE3ELNS1_3repE0EEENS1_52radix_sort_onesweep_histogram_config_static_selectorELNS0_4arch9wavefront6targetE0EEEvSD_.kd
    .uniform_work_group_size: 1
    .uses_dynamic_stack: false
    .vgpr_count:     0
    .vgpr_spill_count: 0
    .wavefront_size: 32
  - .args:
      - .offset:         0
        .size:           48
        .value_kind:     by_value
    .group_segment_fixed_size: 0
    .kernarg_segment_align: 8
    .kernarg_segment_size: 48
    .language:       OpenCL C
    .language_version:
      - 2
      - 0
    .max_flat_workgroup_size: 1024
    .name:           _ZN7rocprim17ROCPRIM_400000_NS6detail17trampoline_kernelINS0_14default_configENS1_35radix_sort_onesweep_config_selectorIlNS0_10empty_typeEEEZNS1_34radix_sort_onesweep_global_offsetsIS3_Lb0EPKlPS5_mNS0_19identity_decomposerEEE10hipError_tT1_T2_PT3_SF_jT4_jjP12ihipStream_tbEUlT_E_NS1_11comp_targetILNS1_3genE8ELNS1_11target_archE1030ELNS1_3gpuE2ELNS1_3repE0EEENS1_52radix_sort_onesweep_histogram_config_static_selectorELNS0_4arch9wavefront6targetE0EEEvSD_
    .private_segment_fixed_size: 0
    .sgpr_count:     0
    .sgpr_spill_count: 0
    .symbol:         _ZN7rocprim17ROCPRIM_400000_NS6detail17trampoline_kernelINS0_14default_configENS1_35radix_sort_onesweep_config_selectorIlNS0_10empty_typeEEEZNS1_34radix_sort_onesweep_global_offsetsIS3_Lb0EPKlPS5_mNS0_19identity_decomposerEEE10hipError_tT1_T2_PT3_SF_jT4_jjP12ihipStream_tbEUlT_E_NS1_11comp_targetILNS1_3genE8ELNS1_11target_archE1030ELNS1_3gpuE2ELNS1_3repE0EEENS1_52radix_sort_onesweep_histogram_config_static_selectorELNS0_4arch9wavefront6targetE0EEEvSD_.kd
    .uniform_work_group_size: 1
    .uses_dynamic_stack: false
    .vgpr_count:     0
    .vgpr_spill_count: 0
    .wavefront_size: 32
  - .args:
      - .address_space:  global
        .offset:         0
        .size:           8
        .value_kind:     global_buffer
    .group_segment_fixed_size: 128
    .kernarg_segment_align: 8
    .kernarg_segment_size: 8
    .language:       OpenCL C
    .language_version:
      - 2
      - 0
    .max_flat_workgroup_size: 512
    .name:           _ZN7rocprim17ROCPRIM_400000_NS6detail17trampoline_kernelINS0_14default_configENS1_35radix_sort_onesweep_config_selectorIlNS0_10empty_typeEEEZNS1_34radix_sort_onesweep_global_offsetsIS3_Lb0EPKlPS5_mNS0_19identity_decomposerEEE10hipError_tT1_T2_PT3_SF_jT4_jjP12ihipStream_tbEUlT_E0_NS1_11comp_targetILNS1_3genE0ELNS1_11target_archE4294967295ELNS1_3gpuE0ELNS1_3repE0EEENS1_52radix_sort_onesweep_histogram_config_static_selectorELNS0_4arch9wavefront6targetE0EEEvSD_
    .private_segment_fixed_size: 0
    .sgpr_count:     10
    .sgpr_spill_count: 0
    .symbol:         _ZN7rocprim17ROCPRIM_400000_NS6detail17trampoline_kernelINS0_14default_configENS1_35radix_sort_onesweep_config_selectorIlNS0_10empty_typeEEEZNS1_34radix_sort_onesweep_global_offsetsIS3_Lb0EPKlPS5_mNS0_19identity_decomposerEEE10hipError_tT1_T2_PT3_SF_jT4_jjP12ihipStream_tbEUlT_E0_NS1_11comp_targetILNS1_3genE0ELNS1_11target_archE4294967295ELNS1_3gpuE0ELNS1_3repE0EEENS1_52radix_sort_onesweep_histogram_config_static_selectorELNS0_4arch9wavefront6targetE0EEEvSD_.kd
    .uniform_work_group_size: 1
    .uses_dynamic_stack: false
    .vgpr_count:     14
    .vgpr_spill_count: 0
    .wavefront_size: 32
  - .args:
      - .address_space:  global
        .offset:         0
        .size:           8
        .value_kind:     global_buffer
    .group_segment_fixed_size: 0
    .kernarg_segment_align: 8
    .kernarg_segment_size: 8
    .language:       OpenCL C
    .language_version:
      - 2
      - 0
    .max_flat_workgroup_size: 512
    .name:           _ZN7rocprim17ROCPRIM_400000_NS6detail17trampoline_kernelINS0_14default_configENS1_35radix_sort_onesweep_config_selectorIlNS0_10empty_typeEEEZNS1_34radix_sort_onesweep_global_offsetsIS3_Lb0EPKlPS5_mNS0_19identity_decomposerEEE10hipError_tT1_T2_PT3_SF_jT4_jjP12ihipStream_tbEUlT_E0_NS1_11comp_targetILNS1_3genE6ELNS1_11target_archE950ELNS1_3gpuE13ELNS1_3repE0EEENS1_52radix_sort_onesweep_histogram_config_static_selectorELNS0_4arch9wavefront6targetE0EEEvSD_
    .private_segment_fixed_size: 0
    .sgpr_count:     0
    .sgpr_spill_count: 0
    .symbol:         _ZN7rocprim17ROCPRIM_400000_NS6detail17trampoline_kernelINS0_14default_configENS1_35radix_sort_onesweep_config_selectorIlNS0_10empty_typeEEEZNS1_34radix_sort_onesweep_global_offsetsIS3_Lb0EPKlPS5_mNS0_19identity_decomposerEEE10hipError_tT1_T2_PT3_SF_jT4_jjP12ihipStream_tbEUlT_E0_NS1_11comp_targetILNS1_3genE6ELNS1_11target_archE950ELNS1_3gpuE13ELNS1_3repE0EEENS1_52radix_sort_onesweep_histogram_config_static_selectorELNS0_4arch9wavefront6targetE0EEEvSD_.kd
    .uniform_work_group_size: 1
    .uses_dynamic_stack: false
    .vgpr_count:     0
    .vgpr_spill_count: 0
    .wavefront_size: 32
  - .args:
      - .address_space:  global
        .offset:         0
        .size:           8
        .value_kind:     global_buffer
    .group_segment_fixed_size: 0
    .kernarg_segment_align: 8
    .kernarg_segment_size: 8
    .language:       OpenCL C
    .language_version:
      - 2
      - 0
    .max_flat_workgroup_size: 512
    .name:           _ZN7rocprim17ROCPRIM_400000_NS6detail17trampoline_kernelINS0_14default_configENS1_35radix_sort_onesweep_config_selectorIlNS0_10empty_typeEEEZNS1_34radix_sort_onesweep_global_offsetsIS3_Lb0EPKlPS5_mNS0_19identity_decomposerEEE10hipError_tT1_T2_PT3_SF_jT4_jjP12ihipStream_tbEUlT_E0_NS1_11comp_targetILNS1_3genE5ELNS1_11target_archE942ELNS1_3gpuE9ELNS1_3repE0EEENS1_52radix_sort_onesweep_histogram_config_static_selectorELNS0_4arch9wavefront6targetE0EEEvSD_
    .private_segment_fixed_size: 0
    .sgpr_count:     0
    .sgpr_spill_count: 0
    .symbol:         _ZN7rocprim17ROCPRIM_400000_NS6detail17trampoline_kernelINS0_14default_configENS1_35radix_sort_onesweep_config_selectorIlNS0_10empty_typeEEEZNS1_34radix_sort_onesweep_global_offsetsIS3_Lb0EPKlPS5_mNS0_19identity_decomposerEEE10hipError_tT1_T2_PT3_SF_jT4_jjP12ihipStream_tbEUlT_E0_NS1_11comp_targetILNS1_3genE5ELNS1_11target_archE942ELNS1_3gpuE9ELNS1_3repE0EEENS1_52radix_sort_onesweep_histogram_config_static_selectorELNS0_4arch9wavefront6targetE0EEEvSD_.kd
    .uniform_work_group_size: 1
    .uses_dynamic_stack: false
    .vgpr_count:     0
    .vgpr_spill_count: 0
    .wavefront_size: 32
  - .args:
      - .address_space:  global
        .offset:         0
        .size:           8
        .value_kind:     global_buffer
    .group_segment_fixed_size: 0
    .kernarg_segment_align: 8
    .kernarg_segment_size: 8
    .language:       OpenCL C
    .language_version:
      - 2
      - 0
    .max_flat_workgroup_size: 512
    .name:           _ZN7rocprim17ROCPRIM_400000_NS6detail17trampoline_kernelINS0_14default_configENS1_35radix_sort_onesweep_config_selectorIlNS0_10empty_typeEEEZNS1_34radix_sort_onesweep_global_offsetsIS3_Lb0EPKlPS5_mNS0_19identity_decomposerEEE10hipError_tT1_T2_PT3_SF_jT4_jjP12ihipStream_tbEUlT_E0_NS1_11comp_targetILNS1_3genE2ELNS1_11target_archE906ELNS1_3gpuE6ELNS1_3repE0EEENS1_52radix_sort_onesweep_histogram_config_static_selectorELNS0_4arch9wavefront6targetE0EEEvSD_
    .private_segment_fixed_size: 0
    .sgpr_count:     0
    .sgpr_spill_count: 0
    .symbol:         _ZN7rocprim17ROCPRIM_400000_NS6detail17trampoline_kernelINS0_14default_configENS1_35radix_sort_onesweep_config_selectorIlNS0_10empty_typeEEEZNS1_34radix_sort_onesweep_global_offsetsIS3_Lb0EPKlPS5_mNS0_19identity_decomposerEEE10hipError_tT1_T2_PT3_SF_jT4_jjP12ihipStream_tbEUlT_E0_NS1_11comp_targetILNS1_3genE2ELNS1_11target_archE906ELNS1_3gpuE6ELNS1_3repE0EEENS1_52radix_sort_onesweep_histogram_config_static_selectorELNS0_4arch9wavefront6targetE0EEEvSD_.kd
    .uniform_work_group_size: 1
    .uses_dynamic_stack: false
    .vgpr_count:     0
    .vgpr_spill_count: 0
    .wavefront_size: 32
  - .args:
      - .address_space:  global
        .offset:         0
        .size:           8
        .value_kind:     global_buffer
    .group_segment_fixed_size: 0
    .kernarg_segment_align: 8
    .kernarg_segment_size: 8
    .language:       OpenCL C
    .language_version:
      - 2
      - 0
    .max_flat_workgroup_size: 1024
    .name:           _ZN7rocprim17ROCPRIM_400000_NS6detail17trampoline_kernelINS0_14default_configENS1_35radix_sort_onesweep_config_selectorIlNS0_10empty_typeEEEZNS1_34radix_sort_onesweep_global_offsetsIS3_Lb0EPKlPS5_mNS0_19identity_decomposerEEE10hipError_tT1_T2_PT3_SF_jT4_jjP12ihipStream_tbEUlT_E0_NS1_11comp_targetILNS1_3genE4ELNS1_11target_archE910ELNS1_3gpuE8ELNS1_3repE0EEENS1_52radix_sort_onesweep_histogram_config_static_selectorELNS0_4arch9wavefront6targetE0EEEvSD_
    .private_segment_fixed_size: 0
    .sgpr_count:     0
    .sgpr_spill_count: 0
    .symbol:         _ZN7rocprim17ROCPRIM_400000_NS6detail17trampoline_kernelINS0_14default_configENS1_35radix_sort_onesweep_config_selectorIlNS0_10empty_typeEEEZNS1_34radix_sort_onesweep_global_offsetsIS3_Lb0EPKlPS5_mNS0_19identity_decomposerEEE10hipError_tT1_T2_PT3_SF_jT4_jjP12ihipStream_tbEUlT_E0_NS1_11comp_targetILNS1_3genE4ELNS1_11target_archE910ELNS1_3gpuE8ELNS1_3repE0EEENS1_52radix_sort_onesweep_histogram_config_static_selectorELNS0_4arch9wavefront6targetE0EEEvSD_.kd
    .uniform_work_group_size: 1
    .uses_dynamic_stack: false
    .vgpr_count:     0
    .vgpr_spill_count: 0
    .wavefront_size: 32
  - .args:
      - .address_space:  global
        .offset:         0
        .size:           8
        .value_kind:     global_buffer
    .group_segment_fixed_size: 0
    .kernarg_segment_align: 8
    .kernarg_segment_size: 8
    .language:       OpenCL C
    .language_version:
      - 2
      - 0
    .max_flat_workgroup_size: 512
    .name:           _ZN7rocprim17ROCPRIM_400000_NS6detail17trampoline_kernelINS0_14default_configENS1_35radix_sort_onesweep_config_selectorIlNS0_10empty_typeEEEZNS1_34radix_sort_onesweep_global_offsetsIS3_Lb0EPKlPS5_mNS0_19identity_decomposerEEE10hipError_tT1_T2_PT3_SF_jT4_jjP12ihipStream_tbEUlT_E0_NS1_11comp_targetILNS1_3genE3ELNS1_11target_archE908ELNS1_3gpuE7ELNS1_3repE0EEENS1_52radix_sort_onesweep_histogram_config_static_selectorELNS0_4arch9wavefront6targetE0EEEvSD_
    .private_segment_fixed_size: 0
    .sgpr_count:     0
    .sgpr_spill_count: 0
    .symbol:         _ZN7rocprim17ROCPRIM_400000_NS6detail17trampoline_kernelINS0_14default_configENS1_35radix_sort_onesweep_config_selectorIlNS0_10empty_typeEEEZNS1_34radix_sort_onesweep_global_offsetsIS3_Lb0EPKlPS5_mNS0_19identity_decomposerEEE10hipError_tT1_T2_PT3_SF_jT4_jjP12ihipStream_tbEUlT_E0_NS1_11comp_targetILNS1_3genE3ELNS1_11target_archE908ELNS1_3gpuE7ELNS1_3repE0EEENS1_52radix_sort_onesweep_histogram_config_static_selectorELNS0_4arch9wavefront6targetE0EEEvSD_.kd
    .uniform_work_group_size: 1
    .uses_dynamic_stack: false
    .vgpr_count:     0
    .vgpr_spill_count: 0
    .wavefront_size: 32
  - .args:
      - .address_space:  global
        .offset:         0
        .size:           8
        .value_kind:     global_buffer
    .group_segment_fixed_size: 0
    .kernarg_segment_align: 8
    .kernarg_segment_size: 8
    .language:       OpenCL C
    .language_version:
      - 2
      - 0
    .max_flat_workgroup_size: 512
    .name:           _ZN7rocprim17ROCPRIM_400000_NS6detail17trampoline_kernelINS0_14default_configENS1_35radix_sort_onesweep_config_selectorIlNS0_10empty_typeEEEZNS1_34radix_sort_onesweep_global_offsetsIS3_Lb0EPKlPS5_mNS0_19identity_decomposerEEE10hipError_tT1_T2_PT3_SF_jT4_jjP12ihipStream_tbEUlT_E0_NS1_11comp_targetILNS1_3genE10ELNS1_11target_archE1201ELNS1_3gpuE5ELNS1_3repE0EEENS1_52radix_sort_onesweep_histogram_config_static_selectorELNS0_4arch9wavefront6targetE0EEEvSD_
    .private_segment_fixed_size: 0
    .sgpr_count:     0
    .sgpr_spill_count: 0
    .symbol:         _ZN7rocprim17ROCPRIM_400000_NS6detail17trampoline_kernelINS0_14default_configENS1_35radix_sort_onesweep_config_selectorIlNS0_10empty_typeEEEZNS1_34radix_sort_onesweep_global_offsetsIS3_Lb0EPKlPS5_mNS0_19identity_decomposerEEE10hipError_tT1_T2_PT3_SF_jT4_jjP12ihipStream_tbEUlT_E0_NS1_11comp_targetILNS1_3genE10ELNS1_11target_archE1201ELNS1_3gpuE5ELNS1_3repE0EEENS1_52radix_sort_onesweep_histogram_config_static_selectorELNS0_4arch9wavefront6targetE0EEEvSD_.kd
    .uniform_work_group_size: 1
    .uses_dynamic_stack: false
    .vgpr_count:     0
    .vgpr_spill_count: 0
    .wavefront_size: 32
  - .args:
      - .address_space:  global
        .offset:         0
        .size:           8
        .value_kind:     global_buffer
    .group_segment_fixed_size: 0
    .kernarg_segment_align: 8
    .kernarg_segment_size: 8
    .language:       OpenCL C
    .language_version:
      - 2
      - 0
    .max_flat_workgroup_size: 1024
    .name:           _ZN7rocprim17ROCPRIM_400000_NS6detail17trampoline_kernelINS0_14default_configENS1_35radix_sort_onesweep_config_selectorIlNS0_10empty_typeEEEZNS1_34radix_sort_onesweep_global_offsetsIS3_Lb0EPKlPS5_mNS0_19identity_decomposerEEE10hipError_tT1_T2_PT3_SF_jT4_jjP12ihipStream_tbEUlT_E0_NS1_11comp_targetILNS1_3genE9ELNS1_11target_archE1100ELNS1_3gpuE3ELNS1_3repE0EEENS1_52radix_sort_onesweep_histogram_config_static_selectorELNS0_4arch9wavefront6targetE0EEEvSD_
    .private_segment_fixed_size: 0
    .sgpr_count:     0
    .sgpr_spill_count: 0
    .symbol:         _ZN7rocprim17ROCPRIM_400000_NS6detail17trampoline_kernelINS0_14default_configENS1_35radix_sort_onesweep_config_selectorIlNS0_10empty_typeEEEZNS1_34radix_sort_onesweep_global_offsetsIS3_Lb0EPKlPS5_mNS0_19identity_decomposerEEE10hipError_tT1_T2_PT3_SF_jT4_jjP12ihipStream_tbEUlT_E0_NS1_11comp_targetILNS1_3genE9ELNS1_11target_archE1100ELNS1_3gpuE3ELNS1_3repE0EEENS1_52radix_sort_onesweep_histogram_config_static_selectorELNS0_4arch9wavefront6targetE0EEEvSD_.kd
    .uniform_work_group_size: 1
    .uses_dynamic_stack: false
    .vgpr_count:     0
    .vgpr_spill_count: 0
    .wavefront_size: 32
  - .args:
      - .address_space:  global
        .offset:         0
        .size:           8
        .value_kind:     global_buffer
    .group_segment_fixed_size: 0
    .kernarg_segment_align: 8
    .kernarg_segment_size: 8
    .language:       OpenCL C
    .language_version:
      - 2
      - 0
    .max_flat_workgroup_size: 1024
    .name:           _ZN7rocprim17ROCPRIM_400000_NS6detail17trampoline_kernelINS0_14default_configENS1_35radix_sort_onesweep_config_selectorIlNS0_10empty_typeEEEZNS1_34radix_sort_onesweep_global_offsetsIS3_Lb0EPKlPS5_mNS0_19identity_decomposerEEE10hipError_tT1_T2_PT3_SF_jT4_jjP12ihipStream_tbEUlT_E0_NS1_11comp_targetILNS1_3genE8ELNS1_11target_archE1030ELNS1_3gpuE2ELNS1_3repE0EEENS1_52radix_sort_onesweep_histogram_config_static_selectorELNS0_4arch9wavefront6targetE0EEEvSD_
    .private_segment_fixed_size: 0
    .sgpr_count:     0
    .sgpr_spill_count: 0
    .symbol:         _ZN7rocprim17ROCPRIM_400000_NS6detail17trampoline_kernelINS0_14default_configENS1_35radix_sort_onesweep_config_selectorIlNS0_10empty_typeEEEZNS1_34radix_sort_onesweep_global_offsetsIS3_Lb0EPKlPS5_mNS0_19identity_decomposerEEE10hipError_tT1_T2_PT3_SF_jT4_jjP12ihipStream_tbEUlT_E0_NS1_11comp_targetILNS1_3genE8ELNS1_11target_archE1030ELNS1_3gpuE2ELNS1_3repE0EEENS1_52radix_sort_onesweep_histogram_config_static_selectorELNS0_4arch9wavefront6targetE0EEEvSD_.kd
    .uniform_work_group_size: 1
    .uses_dynamic_stack: false
    .vgpr_count:     0
    .vgpr_spill_count: 0
    .wavefront_size: 32
  - .args:
      - .offset:         0
        .size:           88
        .value_kind:     by_value
      - .offset:         88
        .size:           4
        .value_kind:     hidden_block_count_x
      - .offset:         92
        .size:           4
        .value_kind:     hidden_block_count_y
      - .offset:         96
        .size:           4
        .value_kind:     hidden_block_count_z
      - .offset:         100
        .size:           2
        .value_kind:     hidden_group_size_x
      - .offset:         102
        .size:           2
        .value_kind:     hidden_group_size_y
      - .offset:         104
        .size:           2
        .value_kind:     hidden_group_size_z
      - .offset:         106
        .size:           2
        .value_kind:     hidden_remainder_x
      - .offset:         108
        .size:           2
        .value_kind:     hidden_remainder_y
      - .offset:         110
        .size:           2
        .value_kind:     hidden_remainder_z
      - .offset:         128
        .size:           8
        .value_kind:     hidden_global_offset_x
      - .offset:         136
        .size:           8
        .value_kind:     hidden_global_offset_y
      - .offset:         144
        .size:           8
        .value_kind:     hidden_global_offset_z
      - .offset:         152
        .size:           2
        .value_kind:     hidden_grid_dims
    .group_segment_fixed_size: 18504
    .kernarg_segment_align: 8
    .kernarg_segment_size: 344
    .language:       OpenCL C
    .language_version:
      - 2
      - 0
    .max_flat_workgroup_size: 512
    .name:           _ZN7rocprim17ROCPRIM_400000_NS6detail17trampoline_kernelINS0_14default_configENS1_35radix_sort_onesweep_config_selectorIlNS0_10empty_typeEEEZZNS1_29radix_sort_onesweep_iterationIS3_Lb0EPKlPlPS5_SB_mNS0_19identity_decomposerENS1_16block_id_wrapperIjLb1EEEEE10hipError_tT1_PNSt15iterator_traitsISG_E10value_typeET2_T3_PNSH_ISM_E10value_typeET4_T5_PSR_SS_PNS1_23onesweep_lookback_stateEbbT6_jjT7_P12ihipStream_tbENKUlT_T0_SG_SL_E_clIS9_SA_SB_SB_EEDaSZ_S10_SG_SL_EUlSZ_E_NS1_11comp_targetILNS1_3genE0ELNS1_11target_archE4294967295ELNS1_3gpuE0ELNS1_3repE0EEENS1_47radix_sort_onesweep_sort_config_static_selectorELNS0_4arch9wavefront6targetE0EEEvSG_
    .private_segment_fixed_size: 0
    .sgpr_count:     30
    .sgpr_spill_count: 0
    .symbol:         _ZN7rocprim17ROCPRIM_400000_NS6detail17trampoline_kernelINS0_14default_configENS1_35radix_sort_onesweep_config_selectorIlNS0_10empty_typeEEEZZNS1_29radix_sort_onesweep_iterationIS3_Lb0EPKlPlPS5_SB_mNS0_19identity_decomposerENS1_16block_id_wrapperIjLb1EEEEE10hipError_tT1_PNSt15iterator_traitsISG_E10value_typeET2_T3_PNSH_ISM_E10value_typeET4_T5_PSR_SS_PNS1_23onesweep_lookback_stateEbbT6_jjT7_P12ihipStream_tbENKUlT_T0_SG_SL_E_clIS9_SA_SB_SB_EEDaSZ_S10_SG_SL_EUlSZ_E_NS1_11comp_targetILNS1_3genE0ELNS1_11target_archE4294967295ELNS1_3gpuE0ELNS1_3repE0EEENS1_47radix_sort_onesweep_sort_config_static_selectorELNS0_4arch9wavefront6targetE0EEEvSG_.kd
    .uniform_work_group_size: 1
    .uses_dynamic_stack: false
    .vgpr_count:     57
    .vgpr_spill_count: 0
    .wavefront_size: 32
  - .args:
      - .offset:         0
        .size:           88
        .value_kind:     by_value
    .group_segment_fixed_size: 0
    .kernarg_segment_align: 8
    .kernarg_segment_size: 88
    .language:       OpenCL C
    .language_version:
      - 2
      - 0
    .max_flat_workgroup_size: 512
    .name:           _ZN7rocprim17ROCPRIM_400000_NS6detail17trampoline_kernelINS0_14default_configENS1_35radix_sort_onesweep_config_selectorIlNS0_10empty_typeEEEZZNS1_29radix_sort_onesweep_iterationIS3_Lb0EPKlPlPS5_SB_mNS0_19identity_decomposerENS1_16block_id_wrapperIjLb1EEEEE10hipError_tT1_PNSt15iterator_traitsISG_E10value_typeET2_T3_PNSH_ISM_E10value_typeET4_T5_PSR_SS_PNS1_23onesweep_lookback_stateEbbT6_jjT7_P12ihipStream_tbENKUlT_T0_SG_SL_E_clIS9_SA_SB_SB_EEDaSZ_S10_SG_SL_EUlSZ_E_NS1_11comp_targetILNS1_3genE6ELNS1_11target_archE950ELNS1_3gpuE13ELNS1_3repE0EEENS1_47radix_sort_onesweep_sort_config_static_selectorELNS0_4arch9wavefront6targetE0EEEvSG_
    .private_segment_fixed_size: 0
    .sgpr_count:     0
    .sgpr_spill_count: 0
    .symbol:         _ZN7rocprim17ROCPRIM_400000_NS6detail17trampoline_kernelINS0_14default_configENS1_35radix_sort_onesweep_config_selectorIlNS0_10empty_typeEEEZZNS1_29radix_sort_onesweep_iterationIS3_Lb0EPKlPlPS5_SB_mNS0_19identity_decomposerENS1_16block_id_wrapperIjLb1EEEEE10hipError_tT1_PNSt15iterator_traitsISG_E10value_typeET2_T3_PNSH_ISM_E10value_typeET4_T5_PSR_SS_PNS1_23onesweep_lookback_stateEbbT6_jjT7_P12ihipStream_tbENKUlT_T0_SG_SL_E_clIS9_SA_SB_SB_EEDaSZ_S10_SG_SL_EUlSZ_E_NS1_11comp_targetILNS1_3genE6ELNS1_11target_archE950ELNS1_3gpuE13ELNS1_3repE0EEENS1_47radix_sort_onesweep_sort_config_static_selectorELNS0_4arch9wavefront6targetE0EEEvSG_.kd
    .uniform_work_group_size: 1
    .uses_dynamic_stack: false
    .vgpr_count:     0
    .vgpr_spill_count: 0
    .wavefront_size: 32
  - .args:
      - .offset:         0
        .size:           88
        .value_kind:     by_value
    .group_segment_fixed_size: 0
    .kernarg_segment_align: 8
    .kernarg_segment_size: 88
    .language:       OpenCL C
    .language_version:
      - 2
      - 0
    .max_flat_workgroup_size: 512
    .name:           _ZN7rocprim17ROCPRIM_400000_NS6detail17trampoline_kernelINS0_14default_configENS1_35radix_sort_onesweep_config_selectorIlNS0_10empty_typeEEEZZNS1_29radix_sort_onesweep_iterationIS3_Lb0EPKlPlPS5_SB_mNS0_19identity_decomposerENS1_16block_id_wrapperIjLb1EEEEE10hipError_tT1_PNSt15iterator_traitsISG_E10value_typeET2_T3_PNSH_ISM_E10value_typeET4_T5_PSR_SS_PNS1_23onesweep_lookback_stateEbbT6_jjT7_P12ihipStream_tbENKUlT_T0_SG_SL_E_clIS9_SA_SB_SB_EEDaSZ_S10_SG_SL_EUlSZ_E_NS1_11comp_targetILNS1_3genE5ELNS1_11target_archE942ELNS1_3gpuE9ELNS1_3repE0EEENS1_47radix_sort_onesweep_sort_config_static_selectorELNS0_4arch9wavefront6targetE0EEEvSG_
    .private_segment_fixed_size: 0
    .sgpr_count:     0
    .sgpr_spill_count: 0
    .symbol:         _ZN7rocprim17ROCPRIM_400000_NS6detail17trampoline_kernelINS0_14default_configENS1_35radix_sort_onesweep_config_selectorIlNS0_10empty_typeEEEZZNS1_29radix_sort_onesweep_iterationIS3_Lb0EPKlPlPS5_SB_mNS0_19identity_decomposerENS1_16block_id_wrapperIjLb1EEEEE10hipError_tT1_PNSt15iterator_traitsISG_E10value_typeET2_T3_PNSH_ISM_E10value_typeET4_T5_PSR_SS_PNS1_23onesweep_lookback_stateEbbT6_jjT7_P12ihipStream_tbENKUlT_T0_SG_SL_E_clIS9_SA_SB_SB_EEDaSZ_S10_SG_SL_EUlSZ_E_NS1_11comp_targetILNS1_3genE5ELNS1_11target_archE942ELNS1_3gpuE9ELNS1_3repE0EEENS1_47radix_sort_onesweep_sort_config_static_selectorELNS0_4arch9wavefront6targetE0EEEvSG_.kd
    .uniform_work_group_size: 1
    .uses_dynamic_stack: false
    .vgpr_count:     0
    .vgpr_spill_count: 0
    .wavefront_size: 32
  - .args:
      - .offset:         0
        .size:           88
        .value_kind:     by_value
    .group_segment_fixed_size: 0
    .kernarg_segment_align: 8
    .kernarg_segment_size: 88
    .language:       OpenCL C
    .language_version:
      - 2
      - 0
    .max_flat_workgroup_size: 512
    .name:           _ZN7rocprim17ROCPRIM_400000_NS6detail17trampoline_kernelINS0_14default_configENS1_35radix_sort_onesweep_config_selectorIlNS0_10empty_typeEEEZZNS1_29radix_sort_onesweep_iterationIS3_Lb0EPKlPlPS5_SB_mNS0_19identity_decomposerENS1_16block_id_wrapperIjLb1EEEEE10hipError_tT1_PNSt15iterator_traitsISG_E10value_typeET2_T3_PNSH_ISM_E10value_typeET4_T5_PSR_SS_PNS1_23onesweep_lookback_stateEbbT6_jjT7_P12ihipStream_tbENKUlT_T0_SG_SL_E_clIS9_SA_SB_SB_EEDaSZ_S10_SG_SL_EUlSZ_E_NS1_11comp_targetILNS1_3genE2ELNS1_11target_archE906ELNS1_3gpuE6ELNS1_3repE0EEENS1_47radix_sort_onesweep_sort_config_static_selectorELNS0_4arch9wavefront6targetE0EEEvSG_
    .private_segment_fixed_size: 0
    .sgpr_count:     0
    .sgpr_spill_count: 0
    .symbol:         _ZN7rocprim17ROCPRIM_400000_NS6detail17trampoline_kernelINS0_14default_configENS1_35radix_sort_onesweep_config_selectorIlNS0_10empty_typeEEEZZNS1_29radix_sort_onesweep_iterationIS3_Lb0EPKlPlPS5_SB_mNS0_19identity_decomposerENS1_16block_id_wrapperIjLb1EEEEE10hipError_tT1_PNSt15iterator_traitsISG_E10value_typeET2_T3_PNSH_ISM_E10value_typeET4_T5_PSR_SS_PNS1_23onesweep_lookback_stateEbbT6_jjT7_P12ihipStream_tbENKUlT_T0_SG_SL_E_clIS9_SA_SB_SB_EEDaSZ_S10_SG_SL_EUlSZ_E_NS1_11comp_targetILNS1_3genE2ELNS1_11target_archE906ELNS1_3gpuE6ELNS1_3repE0EEENS1_47radix_sort_onesweep_sort_config_static_selectorELNS0_4arch9wavefront6targetE0EEEvSG_.kd
    .uniform_work_group_size: 1
    .uses_dynamic_stack: false
    .vgpr_count:     0
    .vgpr_spill_count: 0
    .wavefront_size: 32
  - .args:
      - .offset:         0
        .size:           88
        .value_kind:     by_value
    .group_segment_fixed_size: 0
    .kernarg_segment_align: 8
    .kernarg_segment_size: 88
    .language:       OpenCL C
    .language_version:
      - 2
      - 0
    .max_flat_workgroup_size: 1024
    .name:           _ZN7rocprim17ROCPRIM_400000_NS6detail17trampoline_kernelINS0_14default_configENS1_35radix_sort_onesweep_config_selectorIlNS0_10empty_typeEEEZZNS1_29radix_sort_onesweep_iterationIS3_Lb0EPKlPlPS5_SB_mNS0_19identity_decomposerENS1_16block_id_wrapperIjLb1EEEEE10hipError_tT1_PNSt15iterator_traitsISG_E10value_typeET2_T3_PNSH_ISM_E10value_typeET4_T5_PSR_SS_PNS1_23onesweep_lookback_stateEbbT6_jjT7_P12ihipStream_tbENKUlT_T0_SG_SL_E_clIS9_SA_SB_SB_EEDaSZ_S10_SG_SL_EUlSZ_E_NS1_11comp_targetILNS1_3genE4ELNS1_11target_archE910ELNS1_3gpuE8ELNS1_3repE0EEENS1_47radix_sort_onesweep_sort_config_static_selectorELNS0_4arch9wavefront6targetE0EEEvSG_
    .private_segment_fixed_size: 0
    .sgpr_count:     0
    .sgpr_spill_count: 0
    .symbol:         _ZN7rocprim17ROCPRIM_400000_NS6detail17trampoline_kernelINS0_14default_configENS1_35radix_sort_onesweep_config_selectorIlNS0_10empty_typeEEEZZNS1_29radix_sort_onesweep_iterationIS3_Lb0EPKlPlPS5_SB_mNS0_19identity_decomposerENS1_16block_id_wrapperIjLb1EEEEE10hipError_tT1_PNSt15iterator_traitsISG_E10value_typeET2_T3_PNSH_ISM_E10value_typeET4_T5_PSR_SS_PNS1_23onesweep_lookback_stateEbbT6_jjT7_P12ihipStream_tbENKUlT_T0_SG_SL_E_clIS9_SA_SB_SB_EEDaSZ_S10_SG_SL_EUlSZ_E_NS1_11comp_targetILNS1_3genE4ELNS1_11target_archE910ELNS1_3gpuE8ELNS1_3repE0EEENS1_47radix_sort_onesweep_sort_config_static_selectorELNS0_4arch9wavefront6targetE0EEEvSG_.kd
    .uniform_work_group_size: 1
    .uses_dynamic_stack: false
    .vgpr_count:     0
    .vgpr_spill_count: 0
    .wavefront_size: 32
  - .args:
      - .offset:         0
        .size:           88
        .value_kind:     by_value
    .group_segment_fixed_size: 0
    .kernarg_segment_align: 8
    .kernarg_segment_size: 88
    .language:       OpenCL C
    .language_version:
      - 2
      - 0
    .max_flat_workgroup_size: 512
    .name:           _ZN7rocprim17ROCPRIM_400000_NS6detail17trampoline_kernelINS0_14default_configENS1_35radix_sort_onesweep_config_selectorIlNS0_10empty_typeEEEZZNS1_29radix_sort_onesweep_iterationIS3_Lb0EPKlPlPS5_SB_mNS0_19identity_decomposerENS1_16block_id_wrapperIjLb1EEEEE10hipError_tT1_PNSt15iterator_traitsISG_E10value_typeET2_T3_PNSH_ISM_E10value_typeET4_T5_PSR_SS_PNS1_23onesweep_lookback_stateEbbT6_jjT7_P12ihipStream_tbENKUlT_T0_SG_SL_E_clIS9_SA_SB_SB_EEDaSZ_S10_SG_SL_EUlSZ_E_NS1_11comp_targetILNS1_3genE3ELNS1_11target_archE908ELNS1_3gpuE7ELNS1_3repE0EEENS1_47radix_sort_onesweep_sort_config_static_selectorELNS0_4arch9wavefront6targetE0EEEvSG_
    .private_segment_fixed_size: 0
    .sgpr_count:     0
    .sgpr_spill_count: 0
    .symbol:         _ZN7rocprim17ROCPRIM_400000_NS6detail17trampoline_kernelINS0_14default_configENS1_35radix_sort_onesweep_config_selectorIlNS0_10empty_typeEEEZZNS1_29radix_sort_onesweep_iterationIS3_Lb0EPKlPlPS5_SB_mNS0_19identity_decomposerENS1_16block_id_wrapperIjLb1EEEEE10hipError_tT1_PNSt15iterator_traitsISG_E10value_typeET2_T3_PNSH_ISM_E10value_typeET4_T5_PSR_SS_PNS1_23onesweep_lookback_stateEbbT6_jjT7_P12ihipStream_tbENKUlT_T0_SG_SL_E_clIS9_SA_SB_SB_EEDaSZ_S10_SG_SL_EUlSZ_E_NS1_11comp_targetILNS1_3genE3ELNS1_11target_archE908ELNS1_3gpuE7ELNS1_3repE0EEENS1_47radix_sort_onesweep_sort_config_static_selectorELNS0_4arch9wavefront6targetE0EEEvSG_.kd
    .uniform_work_group_size: 1
    .uses_dynamic_stack: false
    .vgpr_count:     0
    .vgpr_spill_count: 0
    .wavefront_size: 32
  - .args:
      - .offset:         0
        .size:           88
        .value_kind:     by_value
    .group_segment_fixed_size: 0
    .kernarg_segment_align: 8
    .kernarg_segment_size: 88
    .language:       OpenCL C
    .language_version:
      - 2
      - 0
    .max_flat_workgroup_size: 512
    .name:           _ZN7rocprim17ROCPRIM_400000_NS6detail17trampoline_kernelINS0_14default_configENS1_35radix_sort_onesweep_config_selectorIlNS0_10empty_typeEEEZZNS1_29radix_sort_onesweep_iterationIS3_Lb0EPKlPlPS5_SB_mNS0_19identity_decomposerENS1_16block_id_wrapperIjLb1EEEEE10hipError_tT1_PNSt15iterator_traitsISG_E10value_typeET2_T3_PNSH_ISM_E10value_typeET4_T5_PSR_SS_PNS1_23onesweep_lookback_stateEbbT6_jjT7_P12ihipStream_tbENKUlT_T0_SG_SL_E_clIS9_SA_SB_SB_EEDaSZ_S10_SG_SL_EUlSZ_E_NS1_11comp_targetILNS1_3genE10ELNS1_11target_archE1201ELNS1_3gpuE5ELNS1_3repE0EEENS1_47radix_sort_onesweep_sort_config_static_selectorELNS0_4arch9wavefront6targetE0EEEvSG_
    .private_segment_fixed_size: 0
    .sgpr_count:     0
    .sgpr_spill_count: 0
    .symbol:         _ZN7rocprim17ROCPRIM_400000_NS6detail17trampoline_kernelINS0_14default_configENS1_35radix_sort_onesweep_config_selectorIlNS0_10empty_typeEEEZZNS1_29radix_sort_onesweep_iterationIS3_Lb0EPKlPlPS5_SB_mNS0_19identity_decomposerENS1_16block_id_wrapperIjLb1EEEEE10hipError_tT1_PNSt15iterator_traitsISG_E10value_typeET2_T3_PNSH_ISM_E10value_typeET4_T5_PSR_SS_PNS1_23onesweep_lookback_stateEbbT6_jjT7_P12ihipStream_tbENKUlT_T0_SG_SL_E_clIS9_SA_SB_SB_EEDaSZ_S10_SG_SL_EUlSZ_E_NS1_11comp_targetILNS1_3genE10ELNS1_11target_archE1201ELNS1_3gpuE5ELNS1_3repE0EEENS1_47radix_sort_onesweep_sort_config_static_selectorELNS0_4arch9wavefront6targetE0EEEvSG_.kd
    .uniform_work_group_size: 1
    .uses_dynamic_stack: false
    .vgpr_count:     0
    .vgpr_spill_count: 0
    .wavefront_size: 32
  - .args:
      - .offset:         0
        .size:           88
        .value_kind:     by_value
    .group_segment_fixed_size: 0
    .kernarg_segment_align: 8
    .kernarg_segment_size: 88
    .language:       OpenCL C
    .language_version:
      - 2
      - 0
    .max_flat_workgroup_size: 1024
    .name:           _ZN7rocprim17ROCPRIM_400000_NS6detail17trampoline_kernelINS0_14default_configENS1_35radix_sort_onesweep_config_selectorIlNS0_10empty_typeEEEZZNS1_29radix_sort_onesweep_iterationIS3_Lb0EPKlPlPS5_SB_mNS0_19identity_decomposerENS1_16block_id_wrapperIjLb1EEEEE10hipError_tT1_PNSt15iterator_traitsISG_E10value_typeET2_T3_PNSH_ISM_E10value_typeET4_T5_PSR_SS_PNS1_23onesweep_lookback_stateEbbT6_jjT7_P12ihipStream_tbENKUlT_T0_SG_SL_E_clIS9_SA_SB_SB_EEDaSZ_S10_SG_SL_EUlSZ_E_NS1_11comp_targetILNS1_3genE9ELNS1_11target_archE1100ELNS1_3gpuE3ELNS1_3repE0EEENS1_47radix_sort_onesweep_sort_config_static_selectorELNS0_4arch9wavefront6targetE0EEEvSG_
    .private_segment_fixed_size: 0
    .sgpr_count:     0
    .sgpr_spill_count: 0
    .symbol:         _ZN7rocprim17ROCPRIM_400000_NS6detail17trampoline_kernelINS0_14default_configENS1_35radix_sort_onesweep_config_selectorIlNS0_10empty_typeEEEZZNS1_29radix_sort_onesweep_iterationIS3_Lb0EPKlPlPS5_SB_mNS0_19identity_decomposerENS1_16block_id_wrapperIjLb1EEEEE10hipError_tT1_PNSt15iterator_traitsISG_E10value_typeET2_T3_PNSH_ISM_E10value_typeET4_T5_PSR_SS_PNS1_23onesweep_lookback_stateEbbT6_jjT7_P12ihipStream_tbENKUlT_T0_SG_SL_E_clIS9_SA_SB_SB_EEDaSZ_S10_SG_SL_EUlSZ_E_NS1_11comp_targetILNS1_3genE9ELNS1_11target_archE1100ELNS1_3gpuE3ELNS1_3repE0EEENS1_47radix_sort_onesweep_sort_config_static_selectorELNS0_4arch9wavefront6targetE0EEEvSG_.kd
    .uniform_work_group_size: 1
    .uses_dynamic_stack: false
    .vgpr_count:     0
    .vgpr_spill_count: 0
    .wavefront_size: 32
  - .args:
      - .offset:         0
        .size:           88
        .value_kind:     by_value
    .group_segment_fixed_size: 0
    .kernarg_segment_align: 8
    .kernarg_segment_size: 88
    .language:       OpenCL C
    .language_version:
      - 2
      - 0
    .max_flat_workgroup_size: 1024
    .name:           _ZN7rocprim17ROCPRIM_400000_NS6detail17trampoline_kernelINS0_14default_configENS1_35radix_sort_onesweep_config_selectorIlNS0_10empty_typeEEEZZNS1_29radix_sort_onesweep_iterationIS3_Lb0EPKlPlPS5_SB_mNS0_19identity_decomposerENS1_16block_id_wrapperIjLb1EEEEE10hipError_tT1_PNSt15iterator_traitsISG_E10value_typeET2_T3_PNSH_ISM_E10value_typeET4_T5_PSR_SS_PNS1_23onesweep_lookback_stateEbbT6_jjT7_P12ihipStream_tbENKUlT_T0_SG_SL_E_clIS9_SA_SB_SB_EEDaSZ_S10_SG_SL_EUlSZ_E_NS1_11comp_targetILNS1_3genE8ELNS1_11target_archE1030ELNS1_3gpuE2ELNS1_3repE0EEENS1_47radix_sort_onesweep_sort_config_static_selectorELNS0_4arch9wavefront6targetE0EEEvSG_
    .private_segment_fixed_size: 0
    .sgpr_count:     0
    .sgpr_spill_count: 0
    .symbol:         _ZN7rocprim17ROCPRIM_400000_NS6detail17trampoline_kernelINS0_14default_configENS1_35radix_sort_onesweep_config_selectorIlNS0_10empty_typeEEEZZNS1_29radix_sort_onesweep_iterationIS3_Lb0EPKlPlPS5_SB_mNS0_19identity_decomposerENS1_16block_id_wrapperIjLb1EEEEE10hipError_tT1_PNSt15iterator_traitsISG_E10value_typeET2_T3_PNSH_ISM_E10value_typeET4_T5_PSR_SS_PNS1_23onesweep_lookback_stateEbbT6_jjT7_P12ihipStream_tbENKUlT_T0_SG_SL_E_clIS9_SA_SB_SB_EEDaSZ_S10_SG_SL_EUlSZ_E_NS1_11comp_targetILNS1_3genE8ELNS1_11target_archE1030ELNS1_3gpuE2ELNS1_3repE0EEENS1_47radix_sort_onesweep_sort_config_static_selectorELNS0_4arch9wavefront6targetE0EEEvSG_.kd
    .uniform_work_group_size: 1
    .uses_dynamic_stack: false
    .vgpr_count:     0
    .vgpr_spill_count: 0
    .wavefront_size: 32
  - .args:
      - .offset:         0
        .size:           88
        .value_kind:     by_value
      - .offset:         88
        .size:           4
        .value_kind:     hidden_block_count_x
      - .offset:         92
        .size:           4
        .value_kind:     hidden_block_count_y
      - .offset:         96
        .size:           4
        .value_kind:     hidden_block_count_z
      - .offset:         100
        .size:           2
        .value_kind:     hidden_group_size_x
      - .offset:         102
        .size:           2
        .value_kind:     hidden_group_size_y
      - .offset:         104
        .size:           2
        .value_kind:     hidden_group_size_z
      - .offset:         106
        .size:           2
        .value_kind:     hidden_remainder_x
      - .offset:         108
        .size:           2
        .value_kind:     hidden_remainder_y
      - .offset:         110
        .size:           2
        .value_kind:     hidden_remainder_z
      - .offset:         128
        .size:           8
        .value_kind:     hidden_global_offset_x
      - .offset:         136
        .size:           8
        .value_kind:     hidden_global_offset_y
      - .offset:         144
        .size:           8
        .value_kind:     hidden_global_offset_z
      - .offset:         152
        .size:           2
        .value_kind:     hidden_grid_dims
    .group_segment_fixed_size: 18504
    .kernarg_segment_align: 8
    .kernarg_segment_size: 344
    .language:       OpenCL C
    .language_version:
      - 2
      - 0
    .max_flat_workgroup_size: 512
    .name:           _ZN7rocprim17ROCPRIM_400000_NS6detail17trampoline_kernelINS0_14default_configENS1_35radix_sort_onesweep_config_selectorIlNS0_10empty_typeEEEZZNS1_29radix_sort_onesweep_iterationIS3_Lb0EPKlPlPS5_SB_mNS0_19identity_decomposerENS1_16block_id_wrapperIjLb1EEEEE10hipError_tT1_PNSt15iterator_traitsISG_E10value_typeET2_T3_PNSH_ISM_E10value_typeET4_T5_PSR_SS_PNS1_23onesweep_lookback_stateEbbT6_jjT7_P12ihipStream_tbENKUlT_T0_SG_SL_E_clISA_SA_SB_SB_EEDaSZ_S10_SG_SL_EUlSZ_E_NS1_11comp_targetILNS1_3genE0ELNS1_11target_archE4294967295ELNS1_3gpuE0ELNS1_3repE0EEENS1_47radix_sort_onesweep_sort_config_static_selectorELNS0_4arch9wavefront6targetE0EEEvSG_
    .private_segment_fixed_size: 0
    .sgpr_count:     30
    .sgpr_spill_count: 0
    .symbol:         _ZN7rocprim17ROCPRIM_400000_NS6detail17trampoline_kernelINS0_14default_configENS1_35radix_sort_onesweep_config_selectorIlNS0_10empty_typeEEEZZNS1_29radix_sort_onesweep_iterationIS3_Lb0EPKlPlPS5_SB_mNS0_19identity_decomposerENS1_16block_id_wrapperIjLb1EEEEE10hipError_tT1_PNSt15iterator_traitsISG_E10value_typeET2_T3_PNSH_ISM_E10value_typeET4_T5_PSR_SS_PNS1_23onesweep_lookback_stateEbbT6_jjT7_P12ihipStream_tbENKUlT_T0_SG_SL_E_clISA_SA_SB_SB_EEDaSZ_S10_SG_SL_EUlSZ_E_NS1_11comp_targetILNS1_3genE0ELNS1_11target_archE4294967295ELNS1_3gpuE0ELNS1_3repE0EEENS1_47radix_sort_onesweep_sort_config_static_selectorELNS0_4arch9wavefront6targetE0EEEvSG_.kd
    .uniform_work_group_size: 1
    .uses_dynamic_stack: false
    .vgpr_count:     57
    .vgpr_spill_count: 0
    .wavefront_size: 32
  - .args:
      - .offset:         0
        .size:           88
        .value_kind:     by_value
    .group_segment_fixed_size: 0
    .kernarg_segment_align: 8
    .kernarg_segment_size: 88
    .language:       OpenCL C
    .language_version:
      - 2
      - 0
    .max_flat_workgroup_size: 512
    .name:           _ZN7rocprim17ROCPRIM_400000_NS6detail17trampoline_kernelINS0_14default_configENS1_35radix_sort_onesweep_config_selectorIlNS0_10empty_typeEEEZZNS1_29radix_sort_onesweep_iterationIS3_Lb0EPKlPlPS5_SB_mNS0_19identity_decomposerENS1_16block_id_wrapperIjLb1EEEEE10hipError_tT1_PNSt15iterator_traitsISG_E10value_typeET2_T3_PNSH_ISM_E10value_typeET4_T5_PSR_SS_PNS1_23onesweep_lookback_stateEbbT6_jjT7_P12ihipStream_tbENKUlT_T0_SG_SL_E_clISA_SA_SB_SB_EEDaSZ_S10_SG_SL_EUlSZ_E_NS1_11comp_targetILNS1_3genE6ELNS1_11target_archE950ELNS1_3gpuE13ELNS1_3repE0EEENS1_47radix_sort_onesweep_sort_config_static_selectorELNS0_4arch9wavefront6targetE0EEEvSG_
    .private_segment_fixed_size: 0
    .sgpr_count:     0
    .sgpr_spill_count: 0
    .symbol:         _ZN7rocprim17ROCPRIM_400000_NS6detail17trampoline_kernelINS0_14default_configENS1_35radix_sort_onesweep_config_selectorIlNS0_10empty_typeEEEZZNS1_29radix_sort_onesweep_iterationIS3_Lb0EPKlPlPS5_SB_mNS0_19identity_decomposerENS1_16block_id_wrapperIjLb1EEEEE10hipError_tT1_PNSt15iterator_traitsISG_E10value_typeET2_T3_PNSH_ISM_E10value_typeET4_T5_PSR_SS_PNS1_23onesweep_lookback_stateEbbT6_jjT7_P12ihipStream_tbENKUlT_T0_SG_SL_E_clISA_SA_SB_SB_EEDaSZ_S10_SG_SL_EUlSZ_E_NS1_11comp_targetILNS1_3genE6ELNS1_11target_archE950ELNS1_3gpuE13ELNS1_3repE0EEENS1_47radix_sort_onesweep_sort_config_static_selectorELNS0_4arch9wavefront6targetE0EEEvSG_.kd
    .uniform_work_group_size: 1
    .uses_dynamic_stack: false
    .vgpr_count:     0
    .vgpr_spill_count: 0
    .wavefront_size: 32
  - .args:
      - .offset:         0
        .size:           88
        .value_kind:     by_value
    .group_segment_fixed_size: 0
    .kernarg_segment_align: 8
    .kernarg_segment_size: 88
    .language:       OpenCL C
    .language_version:
      - 2
      - 0
    .max_flat_workgroup_size: 512
    .name:           _ZN7rocprim17ROCPRIM_400000_NS6detail17trampoline_kernelINS0_14default_configENS1_35radix_sort_onesweep_config_selectorIlNS0_10empty_typeEEEZZNS1_29radix_sort_onesweep_iterationIS3_Lb0EPKlPlPS5_SB_mNS0_19identity_decomposerENS1_16block_id_wrapperIjLb1EEEEE10hipError_tT1_PNSt15iterator_traitsISG_E10value_typeET2_T3_PNSH_ISM_E10value_typeET4_T5_PSR_SS_PNS1_23onesweep_lookback_stateEbbT6_jjT7_P12ihipStream_tbENKUlT_T0_SG_SL_E_clISA_SA_SB_SB_EEDaSZ_S10_SG_SL_EUlSZ_E_NS1_11comp_targetILNS1_3genE5ELNS1_11target_archE942ELNS1_3gpuE9ELNS1_3repE0EEENS1_47radix_sort_onesweep_sort_config_static_selectorELNS0_4arch9wavefront6targetE0EEEvSG_
    .private_segment_fixed_size: 0
    .sgpr_count:     0
    .sgpr_spill_count: 0
    .symbol:         _ZN7rocprim17ROCPRIM_400000_NS6detail17trampoline_kernelINS0_14default_configENS1_35radix_sort_onesweep_config_selectorIlNS0_10empty_typeEEEZZNS1_29radix_sort_onesweep_iterationIS3_Lb0EPKlPlPS5_SB_mNS0_19identity_decomposerENS1_16block_id_wrapperIjLb1EEEEE10hipError_tT1_PNSt15iterator_traitsISG_E10value_typeET2_T3_PNSH_ISM_E10value_typeET4_T5_PSR_SS_PNS1_23onesweep_lookback_stateEbbT6_jjT7_P12ihipStream_tbENKUlT_T0_SG_SL_E_clISA_SA_SB_SB_EEDaSZ_S10_SG_SL_EUlSZ_E_NS1_11comp_targetILNS1_3genE5ELNS1_11target_archE942ELNS1_3gpuE9ELNS1_3repE0EEENS1_47radix_sort_onesweep_sort_config_static_selectorELNS0_4arch9wavefront6targetE0EEEvSG_.kd
    .uniform_work_group_size: 1
    .uses_dynamic_stack: false
    .vgpr_count:     0
    .vgpr_spill_count: 0
    .wavefront_size: 32
  - .args:
      - .offset:         0
        .size:           88
        .value_kind:     by_value
    .group_segment_fixed_size: 0
    .kernarg_segment_align: 8
    .kernarg_segment_size: 88
    .language:       OpenCL C
    .language_version:
      - 2
      - 0
    .max_flat_workgroup_size: 512
    .name:           _ZN7rocprim17ROCPRIM_400000_NS6detail17trampoline_kernelINS0_14default_configENS1_35radix_sort_onesweep_config_selectorIlNS0_10empty_typeEEEZZNS1_29radix_sort_onesweep_iterationIS3_Lb0EPKlPlPS5_SB_mNS0_19identity_decomposerENS1_16block_id_wrapperIjLb1EEEEE10hipError_tT1_PNSt15iterator_traitsISG_E10value_typeET2_T3_PNSH_ISM_E10value_typeET4_T5_PSR_SS_PNS1_23onesweep_lookback_stateEbbT6_jjT7_P12ihipStream_tbENKUlT_T0_SG_SL_E_clISA_SA_SB_SB_EEDaSZ_S10_SG_SL_EUlSZ_E_NS1_11comp_targetILNS1_3genE2ELNS1_11target_archE906ELNS1_3gpuE6ELNS1_3repE0EEENS1_47radix_sort_onesweep_sort_config_static_selectorELNS0_4arch9wavefront6targetE0EEEvSG_
    .private_segment_fixed_size: 0
    .sgpr_count:     0
    .sgpr_spill_count: 0
    .symbol:         _ZN7rocprim17ROCPRIM_400000_NS6detail17trampoline_kernelINS0_14default_configENS1_35radix_sort_onesweep_config_selectorIlNS0_10empty_typeEEEZZNS1_29radix_sort_onesweep_iterationIS3_Lb0EPKlPlPS5_SB_mNS0_19identity_decomposerENS1_16block_id_wrapperIjLb1EEEEE10hipError_tT1_PNSt15iterator_traitsISG_E10value_typeET2_T3_PNSH_ISM_E10value_typeET4_T5_PSR_SS_PNS1_23onesweep_lookback_stateEbbT6_jjT7_P12ihipStream_tbENKUlT_T0_SG_SL_E_clISA_SA_SB_SB_EEDaSZ_S10_SG_SL_EUlSZ_E_NS1_11comp_targetILNS1_3genE2ELNS1_11target_archE906ELNS1_3gpuE6ELNS1_3repE0EEENS1_47radix_sort_onesweep_sort_config_static_selectorELNS0_4arch9wavefront6targetE0EEEvSG_.kd
    .uniform_work_group_size: 1
    .uses_dynamic_stack: false
    .vgpr_count:     0
    .vgpr_spill_count: 0
    .wavefront_size: 32
  - .args:
      - .offset:         0
        .size:           88
        .value_kind:     by_value
    .group_segment_fixed_size: 0
    .kernarg_segment_align: 8
    .kernarg_segment_size: 88
    .language:       OpenCL C
    .language_version:
      - 2
      - 0
    .max_flat_workgroup_size: 1024
    .name:           _ZN7rocprim17ROCPRIM_400000_NS6detail17trampoline_kernelINS0_14default_configENS1_35radix_sort_onesweep_config_selectorIlNS0_10empty_typeEEEZZNS1_29radix_sort_onesweep_iterationIS3_Lb0EPKlPlPS5_SB_mNS0_19identity_decomposerENS1_16block_id_wrapperIjLb1EEEEE10hipError_tT1_PNSt15iterator_traitsISG_E10value_typeET2_T3_PNSH_ISM_E10value_typeET4_T5_PSR_SS_PNS1_23onesweep_lookback_stateEbbT6_jjT7_P12ihipStream_tbENKUlT_T0_SG_SL_E_clISA_SA_SB_SB_EEDaSZ_S10_SG_SL_EUlSZ_E_NS1_11comp_targetILNS1_3genE4ELNS1_11target_archE910ELNS1_3gpuE8ELNS1_3repE0EEENS1_47radix_sort_onesweep_sort_config_static_selectorELNS0_4arch9wavefront6targetE0EEEvSG_
    .private_segment_fixed_size: 0
    .sgpr_count:     0
    .sgpr_spill_count: 0
    .symbol:         _ZN7rocprim17ROCPRIM_400000_NS6detail17trampoline_kernelINS0_14default_configENS1_35radix_sort_onesweep_config_selectorIlNS0_10empty_typeEEEZZNS1_29radix_sort_onesweep_iterationIS3_Lb0EPKlPlPS5_SB_mNS0_19identity_decomposerENS1_16block_id_wrapperIjLb1EEEEE10hipError_tT1_PNSt15iterator_traitsISG_E10value_typeET2_T3_PNSH_ISM_E10value_typeET4_T5_PSR_SS_PNS1_23onesweep_lookback_stateEbbT6_jjT7_P12ihipStream_tbENKUlT_T0_SG_SL_E_clISA_SA_SB_SB_EEDaSZ_S10_SG_SL_EUlSZ_E_NS1_11comp_targetILNS1_3genE4ELNS1_11target_archE910ELNS1_3gpuE8ELNS1_3repE0EEENS1_47radix_sort_onesweep_sort_config_static_selectorELNS0_4arch9wavefront6targetE0EEEvSG_.kd
    .uniform_work_group_size: 1
    .uses_dynamic_stack: false
    .vgpr_count:     0
    .vgpr_spill_count: 0
    .wavefront_size: 32
  - .args:
      - .offset:         0
        .size:           88
        .value_kind:     by_value
    .group_segment_fixed_size: 0
    .kernarg_segment_align: 8
    .kernarg_segment_size: 88
    .language:       OpenCL C
    .language_version:
      - 2
      - 0
    .max_flat_workgroup_size: 512
    .name:           _ZN7rocprim17ROCPRIM_400000_NS6detail17trampoline_kernelINS0_14default_configENS1_35radix_sort_onesweep_config_selectorIlNS0_10empty_typeEEEZZNS1_29radix_sort_onesweep_iterationIS3_Lb0EPKlPlPS5_SB_mNS0_19identity_decomposerENS1_16block_id_wrapperIjLb1EEEEE10hipError_tT1_PNSt15iterator_traitsISG_E10value_typeET2_T3_PNSH_ISM_E10value_typeET4_T5_PSR_SS_PNS1_23onesweep_lookback_stateEbbT6_jjT7_P12ihipStream_tbENKUlT_T0_SG_SL_E_clISA_SA_SB_SB_EEDaSZ_S10_SG_SL_EUlSZ_E_NS1_11comp_targetILNS1_3genE3ELNS1_11target_archE908ELNS1_3gpuE7ELNS1_3repE0EEENS1_47radix_sort_onesweep_sort_config_static_selectorELNS0_4arch9wavefront6targetE0EEEvSG_
    .private_segment_fixed_size: 0
    .sgpr_count:     0
    .sgpr_spill_count: 0
    .symbol:         _ZN7rocprim17ROCPRIM_400000_NS6detail17trampoline_kernelINS0_14default_configENS1_35radix_sort_onesweep_config_selectorIlNS0_10empty_typeEEEZZNS1_29radix_sort_onesweep_iterationIS3_Lb0EPKlPlPS5_SB_mNS0_19identity_decomposerENS1_16block_id_wrapperIjLb1EEEEE10hipError_tT1_PNSt15iterator_traitsISG_E10value_typeET2_T3_PNSH_ISM_E10value_typeET4_T5_PSR_SS_PNS1_23onesweep_lookback_stateEbbT6_jjT7_P12ihipStream_tbENKUlT_T0_SG_SL_E_clISA_SA_SB_SB_EEDaSZ_S10_SG_SL_EUlSZ_E_NS1_11comp_targetILNS1_3genE3ELNS1_11target_archE908ELNS1_3gpuE7ELNS1_3repE0EEENS1_47radix_sort_onesweep_sort_config_static_selectorELNS0_4arch9wavefront6targetE0EEEvSG_.kd
    .uniform_work_group_size: 1
    .uses_dynamic_stack: false
    .vgpr_count:     0
    .vgpr_spill_count: 0
    .wavefront_size: 32
  - .args:
      - .offset:         0
        .size:           88
        .value_kind:     by_value
    .group_segment_fixed_size: 0
    .kernarg_segment_align: 8
    .kernarg_segment_size: 88
    .language:       OpenCL C
    .language_version:
      - 2
      - 0
    .max_flat_workgroup_size: 512
    .name:           _ZN7rocprim17ROCPRIM_400000_NS6detail17trampoline_kernelINS0_14default_configENS1_35radix_sort_onesweep_config_selectorIlNS0_10empty_typeEEEZZNS1_29radix_sort_onesweep_iterationIS3_Lb0EPKlPlPS5_SB_mNS0_19identity_decomposerENS1_16block_id_wrapperIjLb1EEEEE10hipError_tT1_PNSt15iterator_traitsISG_E10value_typeET2_T3_PNSH_ISM_E10value_typeET4_T5_PSR_SS_PNS1_23onesweep_lookback_stateEbbT6_jjT7_P12ihipStream_tbENKUlT_T0_SG_SL_E_clISA_SA_SB_SB_EEDaSZ_S10_SG_SL_EUlSZ_E_NS1_11comp_targetILNS1_3genE10ELNS1_11target_archE1201ELNS1_3gpuE5ELNS1_3repE0EEENS1_47radix_sort_onesweep_sort_config_static_selectorELNS0_4arch9wavefront6targetE0EEEvSG_
    .private_segment_fixed_size: 0
    .sgpr_count:     0
    .sgpr_spill_count: 0
    .symbol:         _ZN7rocprim17ROCPRIM_400000_NS6detail17trampoline_kernelINS0_14default_configENS1_35radix_sort_onesweep_config_selectorIlNS0_10empty_typeEEEZZNS1_29radix_sort_onesweep_iterationIS3_Lb0EPKlPlPS5_SB_mNS0_19identity_decomposerENS1_16block_id_wrapperIjLb1EEEEE10hipError_tT1_PNSt15iterator_traitsISG_E10value_typeET2_T3_PNSH_ISM_E10value_typeET4_T5_PSR_SS_PNS1_23onesweep_lookback_stateEbbT6_jjT7_P12ihipStream_tbENKUlT_T0_SG_SL_E_clISA_SA_SB_SB_EEDaSZ_S10_SG_SL_EUlSZ_E_NS1_11comp_targetILNS1_3genE10ELNS1_11target_archE1201ELNS1_3gpuE5ELNS1_3repE0EEENS1_47radix_sort_onesweep_sort_config_static_selectorELNS0_4arch9wavefront6targetE0EEEvSG_.kd
    .uniform_work_group_size: 1
    .uses_dynamic_stack: false
    .vgpr_count:     0
    .vgpr_spill_count: 0
    .wavefront_size: 32
  - .args:
      - .offset:         0
        .size:           88
        .value_kind:     by_value
    .group_segment_fixed_size: 0
    .kernarg_segment_align: 8
    .kernarg_segment_size: 88
    .language:       OpenCL C
    .language_version:
      - 2
      - 0
    .max_flat_workgroup_size: 1024
    .name:           _ZN7rocprim17ROCPRIM_400000_NS6detail17trampoline_kernelINS0_14default_configENS1_35radix_sort_onesweep_config_selectorIlNS0_10empty_typeEEEZZNS1_29radix_sort_onesweep_iterationIS3_Lb0EPKlPlPS5_SB_mNS0_19identity_decomposerENS1_16block_id_wrapperIjLb1EEEEE10hipError_tT1_PNSt15iterator_traitsISG_E10value_typeET2_T3_PNSH_ISM_E10value_typeET4_T5_PSR_SS_PNS1_23onesweep_lookback_stateEbbT6_jjT7_P12ihipStream_tbENKUlT_T0_SG_SL_E_clISA_SA_SB_SB_EEDaSZ_S10_SG_SL_EUlSZ_E_NS1_11comp_targetILNS1_3genE9ELNS1_11target_archE1100ELNS1_3gpuE3ELNS1_3repE0EEENS1_47radix_sort_onesweep_sort_config_static_selectorELNS0_4arch9wavefront6targetE0EEEvSG_
    .private_segment_fixed_size: 0
    .sgpr_count:     0
    .sgpr_spill_count: 0
    .symbol:         _ZN7rocprim17ROCPRIM_400000_NS6detail17trampoline_kernelINS0_14default_configENS1_35radix_sort_onesweep_config_selectorIlNS0_10empty_typeEEEZZNS1_29radix_sort_onesweep_iterationIS3_Lb0EPKlPlPS5_SB_mNS0_19identity_decomposerENS1_16block_id_wrapperIjLb1EEEEE10hipError_tT1_PNSt15iterator_traitsISG_E10value_typeET2_T3_PNSH_ISM_E10value_typeET4_T5_PSR_SS_PNS1_23onesweep_lookback_stateEbbT6_jjT7_P12ihipStream_tbENKUlT_T0_SG_SL_E_clISA_SA_SB_SB_EEDaSZ_S10_SG_SL_EUlSZ_E_NS1_11comp_targetILNS1_3genE9ELNS1_11target_archE1100ELNS1_3gpuE3ELNS1_3repE0EEENS1_47radix_sort_onesweep_sort_config_static_selectorELNS0_4arch9wavefront6targetE0EEEvSG_.kd
    .uniform_work_group_size: 1
    .uses_dynamic_stack: false
    .vgpr_count:     0
    .vgpr_spill_count: 0
    .wavefront_size: 32
  - .args:
      - .offset:         0
        .size:           88
        .value_kind:     by_value
    .group_segment_fixed_size: 0
    .kernarg_segment_align: 8
    .kernarg_segment_size: 88
    .language:       OpenCL C
    .language_version:
      - 2
      - 0
    .max_flat_workgroup_size: 1024
    .name:           _ZN7rocprim17ROCPRIM_400000_NS6detail17trampoline_kernelINS0_14default_configENS1_35radix_sort_onesweep_config_selectorIlNS0_10empty_typeEEEZZNS1_29radix_sort_onesweep_iterationIS3_Lb0EPKlPlPS5_SB_mNS0_19identity_decomposerENS1_16block_id_wrapperIjLb1EEEEE10hipError_tT1_PNSt15iterator_traitsISG_E10value_typeET2_T3_PNSH_ISM_E10value_typeET4_T5_PSR_SS_PNS1_23onesweep_lookback_stateEbbT6_jjT7_P12ihipStream_tbENKUlT_T0_SG_SL_E_clISA_SA_SB_SB_EEDaSZ_S10_SG_SL_EUlSZ_E_NS1_11comp_targetILNS1_3genE8ELNS1_11target_archE1030ELNS1_3gpuE2ELNS1_3repE0EEENS1_47radix_sort_onesweep_sort_config_static_selectorELNS0_4arch9wavefront6targetE0EEEvSG_
    .private_segment_fixed_size: 0
    .sgpr_count:     0
    .sgpr_spill_count: 0
    .symbol:         _ZN7rocprim17ROCPRIM_400000_NS6detail17trampoline_kernelINS0_14default_configENS1_35radix_sort_onesweep_config_selectorIlNS0_10empty_typeEEEZZNS1_29radix_sort_onesweep_iterationIS3_Lb0EPKlPlPS5_SB_mNS0_19identity_decomposerENS1_16block_id_wrapperIjLb1EEEEE10hipError_tT1_PNSt15iterator_traitsISG_E10value_typeET2_T3_PNSH_ISM_E10value_typeET4_T5_PSR_SS_PNS1_23onesweep_lookback_stateEbbT6_jjT7_P12ihipStream_tbENKUlT_T0_SG_SL_E_clISA_SA_SB_SB_EEDaSZ_S10_SG_SL_EUlSZ_E_NS1_11comp_targetILNS1_3genE8ELNS1_11target_archE1030ELNS1_3gpuE2ELNS1_3repE0EEENS1_47radix_sort_onesweep_sort_config_static_selectorELNS0_4arch9wavefront6targetE0EEEvSG_.kd
    .uniform_work_group_size: 1
    .uses_dynamic_stack: false
    .vgpr_count:     0
    .vgpr_spill_count: 0
    .wavefront_size: 32
  - .args:
      - .offset:         0
        .size:           88
        .value_kind:     by_value
      - .offset:         88
        .size:           4
        .value_kind:     hidden_block_count_x
      - .offset:         92
        .size:           4
        .value_kind:     hidden_block_count_y
      - .offset:         96
        .size:           4
        .value_kind:     hidden_block_count_z
      - .offset:         100
        .size:           2
        .value_kind:     hidden_group_size_x
      - .offset:         102
        .size:           2
        .value_kind:     hidden_group_size_y
      - .offset:         104
        .size:           2
        .value_kind:     hidden_group_size_z
      - .offset:         106
        .size:           2
        .value_kind:     hidden_remainder_x
      - .offset:         108
        .size:           2
        .value_kind:     hidden_remainder_y
      - .offset:         110
        .size:           2
        .value_kind:     hidden_remainder_z
      - .offset:         128
        .size:           8
        .value_kind:     hidden_global_offset_x
      - .offset:         136
        .size:           8
        .value_kind:     hidden_global_offset_y
      - .offset:         144
        .size:           8
        .value_kind:     hidden_global_offset_z
      - .offset:         152
        .size:           2
        .value_kind:     hidden_grid_dims
    .group_segment_fixed_size: 18504
    .kernarg_segment_align: 8
    .kernarg_segment_size: 344
    .language:       OpenCL C
    .language_version:
      - 2
      - 0
    .max_flat_workgroup_size: 512
    .name:           _ZN7rocprim17ROCPRIM_400000_NS6detail17trampoline_kernelINS0_14default_configENS1_35radix_sort_onesweep_config_selectorIlNS0_10empty_typeEEEZZNS1_29radix_sort_onesweep_iterationIS3_Lb0EPKlPlPS5_SB_mNS0_19identity_decomposerENS1_16block_id_wrapperIjLb0EEEEE10hipError_tT1_PNSt15iterator_traitsISG_E10value_typeET2_T3_PNSH_ISM_E10value_typeET4_T5_PSR_SS_PNS1_23onesweep_lookback_stateEbbT6_jjT7_P12ihipStream_tbENKUlT_T0_SG_SL_E_clIS9_SA_SB_SB_EEDaSZ_S10_SG_SL_EUlSZ_E_NS1_11comp_targetILNS1_3genE0ELNS1_11target_archE4294967295ELNS1_3gpuE0ELNS1_3repE0EEENS1_47radix_sort_onesweep_sort_config_static_selectorELNS0_4arch9wavefront6targetE0EEEvSG_
    .private_segment_fixed_size: 0
    .sgpr_count:     30
    .sgpr_spill_count: 0
    .symbol:         _ZN7rocprim17ROCPRIM_400000_NS6detail17trampoline_kernelINS0_14default_configENS1_35radix_sort_onesweep_config_selectorIlNS0_10empty_typeEEEZZNS1_29radix_sort_onesweep_iterationIS3_Lb0EPKlPlPS5_SB_mNS0_19identity_decomposerENS1_16block_id_wrapperIjLb0EEEEE10hipError_tT1_PNSt15iterator_traitsISG_E10value_typeET2_T3_PNSH_ISM_E10value_typeET4_T5_PSR_SS_PNS1_23onesweep_lookback_stateEbbT6_jjT7_P12ihipStream_tbENKUlT_T0_SG_SL_E_clIS9_SA_SB_SB_EEDaSZ_S10_SG_SL_EUlSZ_E_NS1_11comp_targetILNS1_3genE0ELNS1_11target_archE4294967295ELNS1_3gpuE0ELNS1_3repE0EEENS1_47radix_sort_onesweep_sort_config_static_selectorELNS0_4arch9wavefront6targetE0EEEvSG_.kd
    .uniform_work_group_size: 1
    .uses_dynamic_stack: false
    .vgpr_count:     57
    .vgpr_spill_count: 0
    .wavefront_size: 32
  - .args:
      - .offset:         0
        .size:           88
        .value_kind:     by_value
    .group_segment_fixed_size: 0
    .kernarg_segment_align: 8
    .kernarg_segment_size: 88
    .language:       OpenCL C
    .language_version:
      - 2
      - 0
    .max_flat_workgroup_size: 512
    .name:           _ZN7rocprim17ROCPRIM_400000_NS6detail17trampoline_kernelINS0_14default_configENS1_35radix_sort_onesweep_config_selectorIlNS0_10empty_typeEEEZZNS1_29radix_sort_onesweep_iterationIS3_Lb0EPKlPlPS5_SB_mNS0_19identity_decomposerENS1_16block_id_wrapperIjLb0EEEEE10hipError_tT1_PNSt15iterator_traitsISG_E10value_typeET2_T3_PNSH_ISM_E10value_typeET4_T5_PSR_SS_PNS1_23onesweep_lookback_stateEbbT6_jjT7_P12ihipStream_tbENKUlT_T0_SG_SL_E_clIS9_SA_SB_SB_EEDaSZ_S10_SG_SL_EUlSZ_E_NS1_11comp_targetILNS1_3genE6ELNS1_11target_archE950ELNS1_3gpuE13ELNS1_3repE0EEENS1_47radix_sort_onesweep_sort_config_static_selectorELNS0_4arch9wavefront6targetE0EEEvSG_
    .private_segment_fixed_size: 0
    .sgpr_count:     0
    .sgpr_spill_count: 0
    .symbol:         _ZN7rocprim17ROCPRIM_400000_NS6detail17trampoline_kernelINS0_14default_configENS1_35radix_sort_onesweep_config_selectorIlNS0_10empty_typeEEEZZNS1_29radix_sort_onesweep_iterationIS3_Lb0EPKlPlPS5_SB_mNS0_19identity_decomposerENS1_16block_id_wrapperIjLb0EEEEE10hipError_tT1_PNSt15iterator_traitsISG_E10value_typeET2_T3_PNSH_ISM_E10value_typeET4_T5_PSR_SS_PNS1_23onesweep_lookback_stateEbbT6_jjT7_P12ihipStream_tbENKUlT_T0_SG_SL_E_clIS9_SA_SB_SB_EEDaSZ_S10_SG_SL_EUlSZ_E_NS1_11comp_targetILNS1_3genE6ELNS1_11target_archE950ELNS1_3gpuE13ELNS1_3repE0EEENS1_47radix_sort_onesweep_sort_config_static_selectorELNS0_4arch9wavefront6targetE0EEEvSG_.kd
    .uniform_work_group_size: 1
    .uses_dynamic_stack: false
    .vgpr_count:     0
    .vgpr_spill_count: 0
    .wavefront_size: 32
  - .args:
      - .offset:         0
        .size:           88
        .value_kind:     by_value
    .group_segment_fixed_size: 0
    .kernarg_segment_align: 8
    .kernarg_segment_size: 88
    .language:       OpenCL C
    .language_version:
      - 2
      - 0
    .max_flat_workgroup_size: 512
    .name:           _ZN7rocprim17ROCPRIM_400000_NS6detail17trampoline_kernelINS0_14default_configENS1_35radix_sort_onesweep_config_selectorIlNS0_10empty_typeEEEZZNS1_29radix_sort_onesweep_iterationIS3_Lb0EPKlPlPS5_SB_mNS0_19identity_decomposerENS1_16block_id_wrapperIjLb0EEEEE10hipError_tT1_PNSt15iterator_traitsISG_E10value_typeET2_T3_PNSH_ISM_E10value_typeET4_T5_PSR_SS_PNS1_23onesweep_lookback_stateEbbT6_jjT7_P12ihipStream_tbENKUlT_T0_SG_SL_E_clIS9_SA_SB_SB_EEDaSZ_S10_SG_SL_EUlSZ_E_NS1_11comp_targetILNS1_3genE5ELNS1_11target_archE942ELNS1_3gpuE9ELNS1_3repE0EEENS1_47radix_sort_onesweep_sort_config_static_selectorELNS0_4arch9wavefront6targetE0EEEvSG_
    .private_segment_fixed_size: 0
    .sgpr_count:     0
    .sgpr_spill_count: 0
    .symbol:         _ZN7rocprim17ROCPRIM_400000_NS6detail17trampoline_kernelINS0_14default_configENS1_35radix_sort_onesweep_config_selectorIlNS0_10empty_typeEEEZZNS1_29radix_sort_onesweep_iterationIS3_Lb0EPKlPlPS5_SB_mNS0_19identity_decomposerENS1_16block_id_wrapperIjLb0EEEEE10hipError_tT1_PNSt15iterator_traitsISG_E10value_typeET2_T3_PNSH_ISM_E10value_typeET4_T5_PSR_SS_PNS1_23onesweep_lookback_stateEbbT6_jjT7_P12ihipStream_tbENKUlT_T0_SG_SL_E_clIS9_SA_SB_SB_EEDaSZ_S10_SG_SL_EUlSZ_E_NS1_11comp_targetILNS1_3genE5ELNS1_11target_archE942ELNS1_3gpuE9ELNS1_3repE0EEENS1_47radix_sort_onesweep_sort_config_static_selectorELNS0_4arch9wavefront6targetE0EEEvSG_.kd
    .uniform_work_group_size: 1
    .uses_dynamic_stack: false
    .vgpr_count:     0
    .vgpr_spill_count: 0
    .wavefront_size: 32
  - .args:
      - .offset:         0
        .size:           88
        .value_kind:     by_value
    .group_segment_fixed_size: 0
    .kernarg_segment_align: 8
    .kernarg_segment_size: 88
    .language:       OpenCL C
    .language_version:
      - 2
      - 0
    .max_flat_workgroup_size: 512
    .name:           _ZN7rocprim17ROCPRIM_400000_NS6detail17trampoline_kernelINS0_14default_configENS1_35radix_sort_onesweep_config_selectorIlNS0_10empty_typeEEEZZNS1_29radix_sort_onesweep_iterationIS3_Lb0EPKlPlPS5_SB_mNS0_19identity_decomposerENS1_16block_id_wrapperIjLb0EEEEE10hipError_tT1_PNSt15iterator_traitsISG_E10value_typeET2_T3_PNSH_ISM_E10value_typeET4_T5_PSR_SS_PNS1_23onesweep_lookback_stateEbbT6_jjT7_P12ihipStream_tbENKUlT_T0_SG_SL_E_clIS9_SA_SB_SB_EEDaSZ_S10_SG_SL_EUlSZ_E_NS1_11comp_targetILNS1_3genE2ELNS1_11target_archE906ELNS1_3gpuE6ELNS1_3repE0EEENS1_47radix_sort_onesweep_sort_config_static_selectorELNS0_4arch9wavefront6targetE0EEEvSG_
    .private_segment_fixed_size: 0
    .sgpr_count:     0
    .sgpr_spill_count: 0
    .symbol:         _ZN7rocprim17ROCPRIM_400000_NS6detail17trampoline_kernelINS0_14default_configENS1_35radix_sort_onesweep_config_selectorIlNS0_10empty_typeEEEZZNS1_29radix_sort_onesweep_iterationIS3_Lb0EPKlPlPS5_SB_mNS0_19identity_decomposerENS1_16block_id_wrapperIjLb0EEEEE10hipError_tT1_PNSt15iterator_traitsISG_E10value_typeET2_T3_PNSH_ISM_E10value_typeET4_T5_PSR_SS_PNS1_23onesweep_lookback_stateEbbT6_jjT7_P12ihipStream_tbENKUlT_T0_SG_SL_E_clIS9_SA_SB_SB_EEDaSZ_S10_SG_SL_EUlSZ_E_NS1_11comp_targetILNS1_3genE2ELNS1_11target_archE906ELNS1_3gpuE6ELNS1_3repE0EEENS1_47radix_sort_onesweep_sort_config_static_selectorELNS0_4arch9wavefront6targetE0EEEvSG_.kd
    .uniform_work_group_size: 1
    .uses_dynamic_stack: false
    .vgpr_count:     0
    .vgpr_spill_count: 0
    .wavefront_size: 32
  - .args:
      - .offset:         0
        .size:           88
        .value_kind:     by_value
    .group_segment_fixed_size: 0
    .kernarg_segment_align: 8
    .kernarg_segment_size: 88
    .language:       OpenCL C
    .language_version:
      - 2
      - 0
    .max_flat_workgroup_size: 1024
    .name:           _ZN7rocprim17ROCPRIM_400000_NS6detail17trampoline_kernelINS0_14default_configENS1_35radix_sort_onesweep_config_selectorIlNS0_10empty_typeEEEZZNS1_29radix_sort_onesweep_iterationIS3_Lb0EPKlPlPS5_SB_mNS0_19identity_decomposerENS1_16block_id_wrapperIjLb0EEEEE10hipError_tT1_PNSt15iterator_traitsISG_E10value_typeET2_T3_PNSH_ISM_E10value_typeET4_T5_PSR_SS_PNS1_23onesweep_lookback_stateEbbT6_jjT7_P12ihipStream_tbENKUlT_T0_SG_SL_E_clIS9_SA_SB_SB_EEDaSZ_S10_SG_SL_EUlSZ_E_NS1_11comp_targetILNS1_3genE4ELNS1_11target_archE910ELNS1_3gpuE8ELNS1_3repE0EEENS1_47radix_sort_onesweep_sort_config_static_selectorELNS0_4arch9wavefront6targetE0EEEvSG_
    .private_segment_fixed_size: 0
    .sgpr_count:     0
    .sgpr_spill_count: 0
    .symbol:         _ZN7rocprim17ROCPRIM_400000_NS6detail17trampoline_kernelINS0_14default_configENS1_35radix_sort_onesweep_config_selectorIlNS0_10empty_typeEEEZZNS1_29radix_sort_onesweep_iterationIS3_Lb0EPKlPlPS5_SB_mNS0_19identity_decomposerENS1_16block_id_wrapperIjLb0EEEEE10hipError_tT1_PNSt15iterator_traitsISG_E10value_typeET2_T3_PNSH_ISM_E10value_typeET4_T5_PSR_SS_PNS1_23onesweep_lookback_stateEbbT6_jjT7_P12ihipStream_tbENKUlT_T0_SG_SL_E_clIS9_SA_SB_SB_EEDaSZ_S10_SG_SL_EUlSZ_E_NS1_11comp_targetILNS1_3genE4ELNS1_11target_archE910ELNS1_3gpuE8ELNS1_3repE0EEENS1_47radix_sort_onesweep_sort_config_static_selectorELNS0_4arch9wavefront6targetE0EEEvSG_.kd
    .uniform_work_group_size: 1
    .uses_dynamic_stack: false
    .vgpr_count:     0
    .vgpr_spill_count: 0
    .wavefront_size: 32
  - .args:
      - .offset:         0
        .size:           88
        .value_kind:     by_value
    .group_segment_fixed_size: 0
    .kernarg_segment_align: 8
    .kernarg_segment_size: 88
    .language:       OpenCL C
    .language_version:
      - 2
      - 0
    .max_flat_workgroup_size: 512
    .name:           _ZN7rocprim17ROCPRIM_400000_NS6detail17trampoline_kernelINS0_14default_configENS1_35radix_sort_onesweep_config_selectorIlNS0_10empty_typeEEEZZNS1_29radix_sort_onesweep_iterationIS3_Lb0EPKlPlPS5_SB_mNS0_19identity_decomposerENS1_16block_id_wrapperIjLb0EEEEE10hipError_tT1_PNSt15iterator_traitsISG_E10value_typeET2_T3_PNSH_ISM_E10value_typeET4_T5_PSR_SS_PNS1_23onesweep_lookback_stateEbbT6_jjT7_P12ihipStream_tbENKUlT_T0_SG_SL_E_clIS9_SA_SB_SB_EEDaSZ_S10_SG_SL_EUlSZ_E_NS1_11comp_targetILNS1_3genE3ELNS1_11target_archE908ELNS1_3gpuE7ELNS1_3repE0EEENS1_47radix_sort_onesweep_sort_config_static_selectorELNS0_4arch9wavefront6targetE0EEEvSG_
    .private_segment_fixed_size: 0
    .sgpr_count:     0
    .sgpr_spill_count: 0
    .symbol:         _ZN7rocprim17ROCPRIM_400000_NS6detail17trampoline_kernelINS0_14default_configENS1_35radix_sort_onesweep_config_selectorIlNS0_10empty_typeEEEZZNS1_29radix_sort_onesweep_iterationIS3_Lb0EPKlPlPS5_SB_mNS0_19identity_decomposerENS1_16block_id_wrapperIjLb0EEEEE10hipError_tT1_PNSt15iterator_traitsISG_E10value_typeET2_T3_PNSH_ISM_E10value_typeET4_T5_PSR_SS_PNS1_23onesweep_lookback_stateEbbT6_jjT7_P12ihipStream_tbENKUlT_T0_SG_SL_E_clIS9_SA_SB_SB_EEDaSZ_S10_SG_SL_EUlSZ_E_NS1_11comp_targetILNS1_3genE3ELNS1_11target_archE908ELNS1_3gpuE7ELNS1_3repE0EEENS1_47radix_sort_onesweep_sort_config_static_selectorELNS0_4arch9wavefront6targetE0EEEvSG_.kd
    .uniform_work_group_size: 1
    .uses_dynamic_stack: false
    .vgpr_count:     0
    .vgpr_spill_count: 0
    .wavefront_size: 32
  - .args:
      - .offset:         0
        .size:           88
        .value_kind:     by_value
    .group_segment_fixed_size: 0
    .kernarg_segment_align: 8
    .kernarg_segment_size: 88
    .language:       OpenCL C
    .language_version:
      - 2
      - 0
    .max_flat_workgroup_size: 512
    .name:           _ZN7rocprim17ROCPRIM_400000_NS6detail17trampoline_kernelINS0_14default_configENS1_35radix_sort_onesweep_config_selectorIlNS0_10empty_typeEEEZZNS1_29radix_sort_onesweep_iterationIS3_Lb0EPKlPlPS5_SB_mNS0_19identity_decomposerENS1_16block_id_wrapperIjLb0EEEEE10hipError_tT1_PNSt15iterator_traitsISG_E10value_typeET2_T3_PNSH_ISM_E10value_typeET4_T5_PSR_SS_PNS1_23onesweep_lookback_stateEbbT6_jjT7_P12ihipStream_tbENKUlT_T0_SG_SL_E_clIS9_SA_SB_SB_EEDaSZ_S10_SG_SL_EUlSZ_E_NS1_11comp_targetILNS1_3genE10ELNS1_11target_archE1201ELNS1_3gpuE5ELNS1_3repE0EEENS1_47radix_sort_onesweep_sort_config_static_selectorELNS0_4arch9wavefront6targetE0EEEvSG_
    .private_segment_fixed_size: 0
    .sgpr_count:     0
    .sgpr_spill_count: 0
    .symbol:         _ZN7rocprim17ROCPRIM_400000_NS6detail17trampoline_kernelINS0_14default_configENS1_35radix_sort_onesweep_config_selectorIlNS0_10empty_typeEEEZZNS1_29radix_sort_onesweep_iterationIS3_Lb0EPKlPlPS5_SB_mNS0_19identity_decomposerENS1_16block_id_wrapperIjLb0EEEEE10hipError_tT1_PNSt15iterator_traitsISG_E10value_typeET2_T3_PNSH_ISM_E10value_typeET4_T5_PSR_SS_PNS1_23onesweep_lookback_stateEbbT6_jjT7_P12ihipStream_tbENKUlT_T0_SG_SL_E_clIS9_SA_SB_SB_EEDaSZ_S10_SG_SL_EUlSZ_E_NS1_11comp_targetILNS1_3genE10ELNS1_11target_archE1201ELNS1_3gpuE5ELNS1_3repE0EEENS1_47radix_sort_onesweep_sort_config_static_selectorELNS0_4arch9wavefront6targetE0EEEvSG_.kd
    .uniform_work_group_size: 1
    .uses_dynamic_stack: false
    .vgpr_count:     0
    .vgpr_spill_count: 0
    .wavefront_size: 32
  - .args:
      - .offset:         0
        .size:           88
        .value_kind:     by_value
    .group_segment_fixed_size: 0
    .kernarg_segment_align: 8
    .kernarg_segment_size: 88
    .language:       OpenCL C
    .language_version:
      - 2
      - 0
    .max_flat_workgroup_size: 1024
    .name:           _ZN7rocprim17ROCPRIM_400000_NS6detail17trampoline_kernelINS0_14default_configENS1_35radix_sort_onesweep_config_selectorIlNS0_10empty_typeEEEZZNS1_29radix_sort_onesweep_iterationIS3_Lb0EPKlPlPS5_SB_mNS0_19identity_decomposerENS1_16block_id_wrapperIjLb0EEEEE10hipError_tT1_PNSt15iterator_traitsISG_E10value_typeET2_T3_PNSH_ISM_E10value_typeET4_T5_PSR_SS_PNS1_23onesweep_lookback_stateEbbT6_jjT7_P12ihipStream_tbENKUlT_T0_SG_SL_E_clIS9_SA_SB_SB_EEDaSZ_S10_SG_SL_EUlSZ_E_NS1_11comp_targetILNS1_3genE9ELNS1_11target_archE1100ELNS1_3gpuE3ELNS1_3repE0EEENS1_47radix_sort_onesweep_sort_config_static_selectorELNS0_4arch9wavefront6targetE0EEEvSG_
    .private_segment_fixed_size: 0
    .sgpr_count:     0
    .sgpr_spill_count: 0
    .symbol:         _ZN7rocprim17ROCPRIM_400000_NS6detail17trampoline_kernelINS0_14default_configENS1_35radix_sort_onesweep_config_selectorIlNS0_10empty_typeEEEZZNS1_29radix_sort_onesweep_iterationIS3_Lb0EPKlPlPS5_SB_mNS0_19identity_decomposerENS1_16block_id_wrapperIjLb0EEEEE10hipError_tT1_PNSt15iterator_traitsISG_E10value_typeET2_T3_PNSH_ISM_E10value_typeET4_T5_PSR_SS_PNS1_23onesweep_lookback_stateEbbT6_jjT7_P12ihipStream_tbENKUlT_T0_SG_SL_E_clIS9_SA_SB_SB_EEDaSZ_S10_SG_SL_EUlSZ_E_NS1_11comp_targetILNS1_3genE9ELNS1_11target_archE1100ELNS1_3gpuE3ELNS1_3repE0EEENS1_47radix_sort_onesweep_sort_config_static_selectorELNS0_4arch9wavefront6targetE0EEEvSG_.kd
    .uniform_work_group_size: 1
    .uses_dynamic_stack: false
    .vgpr_count:     0
    .vgpr_spill_count: 0
    .wavefront_size: 32
  - .args:
      - .offset:         0
        .size:           88
        .value_kind:     by_value
    .group_segment_fixed_size: 0
    .kernarg_segment_align: 8
    .kernarg_segment_size: 88
    .language:       OpenCL C
    .language_version:
      - 2
      - 0
    .max_flat_workgroup_size: 1024
    .name:           _ZN7rocprim17ROCPRIM_400000_NS6detail17trampoline_kernelINS0_14default_configENS1_35radix_sort_onesweep_config_selectorIlNS0_10empty_typeEEEZZNS1_29radix_sort_onesweep_iterationIS3_Lb0EPKlPlPS5_SB_mNS0_19identity_decomposerENS1_16block_id_wrapperIjLb0EEEEE10hipError_tT1_PNSt15iterator_traitsISG_E10value_typeET2_T3_PNSH_ISM_E10value_typeET4_T5_PSR_SS_PNS1_23onesweep_lookback_stateEbbT6_jjT7_P12ihipStream_tbENKUlT_T0_SG_SL_E_clIS9_SA_SB_SB_EEDaSZ_S10_SG_SL_EUlSZ_E_NS1_11comp_targetILNS1_3genE8ELNS1_11target_archE1030ELNS1_3gpuE2ELNS1_3repE0EEENS1_47radix_sort_onesweep_sort_config_static_selectorELNS0_4arch9wavefront6targetE0EEEvSG_
    .private_segment_fixed_size: 0
    .sgpr_count:     0
    .sgpr_spill_count: 0
    .symbol:         _ZN7rocprim17ROCPRIM_400000_NS6detail17trampoline_kernelINS0_14default_configENS1_35radix_sort_onesweep_config_selectorIlNS0_10empty_typeEEEZZNS1_29radix_sort_onesweep_iterationIS3_Lb0EPKlPlPS5_SB_mNS0_19identity_decomposerENS1_16block_id_wrapperIjLb0EEEEE10hipError_tT1_PNSt15iterator_traitsISG_E10value_typeET2_T3_PNSH_ISM_E10value_typeET4_T5_PSR_SS_PNS1_23onesweep_lookback_stateEbbT6_jjT7_P12ihipStream_tbENKUlT_T0_SG_SL_E_clIS9_SA_SB_SB_EEDaSZ_S10_SG_SL_EUlSZ_E_NS1_11comp_targetILNS1_3genE8ELNS1_11target_archE1030ELNS1_3gpuE2ELNS1_3repE0EEENS1_47radix_sort_onesweep_sort_config_static_selectorELNS0_4arch9wavefront6targetE0EEEvSG_.kd
    .uniform_work_group_size: 1
    .uses_dynamic_stack: false
    .vgpr_count:     0
    .vgpr_spill_count: 0
    .wavefront_size: 32
  - .args:
      - .offset:         0
        .size:           88
        .value_kind:     by_value
      - .offset:         88
        .size:           4
        .value_kind:     hidden_block_count_x
      - .offset:         92
        .size:           4
        .value_kind:     hidden_block_count_y
      - .offset:         96
        .size:           4
        .value_kind:     hidden_block_count_z
      - .offset:         100
        .size:           2
        .value_kind:     hidden_group_size_x
      - .offset:         102
        .size:           2
        .value_kind:     hidden_group_size_y
      - .offset:         104
        .size:           2
        .value_kind:     hidden_group_size_z
      - .offset:         106
        .size:           2
        .value_kind:     hidden_remainder_x
      - .offset:         108
        .size:           2
        .value_kind:     hidden_remainder_y
      - .offset:         110
        .size:           2
        .value_kind:     hidden_remainder_z
      - .offset:         128
        .size:           8
        .value_kind:     hidden_global_offset_x
      - .offset:         136
        .size:           8
        .value_kind:     hidden_global_offset_y
      - .offset:         144
        .size:           8
        .value_kind:     hidden_global_offset_z
      - .offset:         152
        .size:           2
        .value_kind:     hidden_grid_dims
    .group_segment_fixed_size: 18504
    .kernarg_segment_align: 8
    .kernarg_segment_size: 344
    .language:       OpenCL C
    .language_version:
      - 2
      - 0
    .max_flat_workgroup_size: 512
    .name:           _ZN7rocprim17ROCPRIM_400000_NS6detail17trampoline_kernelINS0_14default_configENS1_35radix_sort_onesweep_config_selectorIlNS0_10empty_typeEEEZZNS1_29radix_sort_onesweep_iterationIS3_Lb0EPKlPlPS5_SB_mNS0_19identity_decomposerENS1_16block_id_wrapperIjLb0EEEEE10hipError_tT1_PNSt15iterator_traitsISG_E10value_typeET2_T3_PNSH_ISM_E10value_typeET4_T5_PSR_SS_PNS1_23onesweep_lookback_stateEbbT6_jjT7_P12ihipStream_tbENKUlT_T0_SG_SL_E_clISA_SA_SB_SB_EEDaSZ_S10_SG_SL_EUlSZ_E_NS1_11comp_targetILNS1_3genE0ELNS1_11target_archE4294967295ELNS1_3gpuE0ELNS1_3repE0EEENS1_47radix_sort_onesweep_sort_config_static_selectorELNS0_4arch9wavefront6targetE0EEEvSG_
    .private_segment_fixed_size: 0
    .sgpr_count:     30
    .sgpr_spill_count: 0
    .symbol:         _ZN7rocprim17ROCPRIM_400000_NS6detail17trampoline_kernelINS0_14default_configENS1_35radix_sort_onesweep_config_selectorIlNS0_10empty_typeEEEZZNS1_29radix_sort_onesweep_iterationIS3_Lb0EPKlPlPS5_SB_mNS0_19identity_decomposerENS1_16block_id_wrapperIjLb0EEEEE10hipError_tT1_PNSt15iterator_traitsISG_E10value_typeET2_T3_PNSH_ISM_E10value_typeET4_T5_PSR_SS_PNS1_23onesweep_lookback_stateEbbT6_jjT7_P12ihipStream_tbENKUlT_T0_SG_SL_E_clISA_SA_SB_SB_EEDaSZ_S10_SG_SL_EUlSZ_E_NS1_11comp_targetILNS1_3genE0ELNS1_11target_archE4294967295ELNS1_3gpuE0ELNS1_3repE0EEENS1_47radix_sort_onesweep_sort_config_static_selectorELNS0_4arch9wavefront6targetE0EEEvSG_.kd
    .uniform_work_group_size: 1
    .uses_dynamic_stack: false
    .vgpr_count:     57
    .vgpr_spill_count: 0
    .wavefront_size: 32
  - .args:
      - .offset:         0
        .size:           88
        .value_kind:     by_value
    .group_segment_fixed_size: 0
    .kernarg_segment_align: 8
    .kernarg_segment_size: 88
    .language:       OpenCL C
    .language_version:
      - 2
      - 0
    .max_flat_workgroup_size: 512
    .name:           _ZN7rocprim17ROCPRIM_400000_NS6detail17trampoline_kernelINS0_14default_configENS1_35radix_sort_onesweep_config_selectorIlNS0_10empty_typeEEEZZNS1_29radix_sort_onesweep_iterationIS3_Lb0EPKlPlPS5_SB_mNS0_19identity_decomposerENS1_16block_id_wrapperIjLb0EEEEE10hipError_tT1_PNSt15iterator_traitsISG_E10value_typeET2_T3_PNSH_ISM_E10value_typeET4_T5_PSR_SS_PNS1_23onesweep_lookback_stateEbbT6_jjT7_P12ihipStream_tbENKUlT_T0_SG_SL_E_clISA_SA_SB_SB_EEDaSZ_S10_SG_SL_EUlSZ_E_NS1_11comp_targetILNS1_3genE6ELNS1_11target_archE950ELNS1_3gpuE13ELNS1_3repE0EEENS1_47radix_sort_onesweep_sort_config_static_selectorELNS0_4arch9wavefront6targetE0EEEvSG_
    .private_segment_fixed_size: 0
    .sgpr_count:     0
    .sgpr_spill_count: 0
    .symbol:         _ZN7rocprim17ROCPRIM_400000_NS6detail17trampoline_kernelINS0_14default_configENS1_35radix_sort_onesweep_config_selectorIlNS0_10empty_typeEEEZZNS1_29radix_sort_onesweep_iterationIS3_Lb0EPKlPlPS5_SB_mNS0_19identity_decomposerENS1_16block_id_wrapperIjLb0EEEEE10hipError_tT1_PNSt15iterator_traitsISG_E10value_typeET2_T3_PNSH_ISM_E10value_typeET4_T5_PSR_SS_PNS1_23onesweep_lookback_stateEbbT6_jjT7_P12ihipStream_tbENKUlT_T0_SG_SL_E_clISA_SA_SB_SB_EEDaSZ_S10_SG_SL_EUlSZ_E_NS1_11comp_targetILNS1_3genE6ELNS1_11target_archE950ELNS1_3gpuE13ELNS1_3repE0EEENS1_47radix_sort_onesweep_sort_config_static_selectorELNS0_4arch9wavefront6targetE0EEEvSG_.kd
    .uniform_work_group_size: 1
    .uses_dynamic_stack: false
    .vgpr_count:     0
    .vgpr_spill_count: 0
    .wavefront_size: 32
  - .args:
      - .offset:         0
        .size:           88
        .value_kind:     by_value
    .group_segment_fixed_size: 0
    .kernarg_segment_align: 8
    .kernarg_segment_size: 88
    .language:       OpenCL C
    .language_version:
      - 2
      - 0
    .max_flat_workgroup_size: 512
    .name:           _ZN7rocprim17ROCPRIM_400000_NS6detail17trampoline_kernelINS0_14default_configENS1_35radix_sort_onesweep_config_selectorIlNS0_10empty_typeEEEZZNS1_29radix_sort_onesweep_iterationIS3_Lb0EPKlPlPS5_SB_mNS0_19identity_decomposerENS1_16block_id_wrapperIjLb0EEEEE10hipError_tT1_PNSt15iterator_traitsISG_E10value_typeET2_T3_PNSH_ISM_E10value_typeET4_T5_PSR_SS_PNS1_23onesweep_lookback_stateEbbT6_jjT7_P12ihipStream_tbENKUlT_T0_SG_SL_E_clISA_SA_SB_SB_EEDaSZ_S10_SG_SL_EUlSZ_E_NS1_11comp_targetILNS1_3genE5ELNS1_11target_archE942ELNS1_3gpuE9ELNS1_3repE0EEENS1_47radix_sort_onesweep_sort_config_static_selectorELNS0_4arch9wavefront6targetE0EEEvSG_
    .private_segment_fixed_size: 0
    .sgpr_count:     0
    .sgpr_spill_count: 0
    .symbol:         _ZN7rocprim17ROCPRIM_400000_NS6detail17trampoline_kernelINS0_14default_configENS1_35radix_sort_onesweep_config_selectorIlNS0_10empty_typeEEEZZNS1_29radix_sort_onesweep_iterationIS3_Lb0EPKlPlPS5_SB_mNS0_19identity_decomposerENS1_16block_id_wrapperIjLb0EEEEE10hipError_tT1_PNSt15iterator_traitsISG_E10value_typeET2_T3_PNSH_ISM_E10value_typeET4_T5_PSR_SS_PNS1_23onesweep_lookback_stateEbbT6_jjT7_P12ihipStream_tbENKUlT_T0_SG_SL_E_clISA_SA_SB_SB_EEDaSZ_S10_SG_SL_EUlSZ_E_NS1_11comp_targetILNS1_3genE5ELNS1_11target_archE942ELNS1_3gpuE9ELNS1_3repE0EEENS1_47radix_sort_onesweep_sort_config_static_selectorELNS0_4arch9wavefront6targetE0EEEvSG_.kd
    .uniform_work_group_size: 1
    .uses_dynamic_stack: false
    .vgpr_count:     0
    .vgpr_spill_count: 0
    .wavefront_size: 32
  - .args:
      - .offset:         0
        .size:           88
        .value_kind:     by_value
    .group_segment_fixed_size: 0
    .kernarg_segment_align: 8
    .kernarg_segment_size: 88
    .language:       OpenCL C
    .language_version:
      - 2
      - 0
    .max_flat_workgroup_size: 512
    .name:           _ZN7rocprim17ROCPRIM_400000_NS6detail17trampoline_kernelINS0_14default_configENS1_35radix_sort_onesweep_config_selectorIlNS0_10empty_typeEEEZZNS1_29radix_sort_onesweep_iterationIS3_Lb0EPKlPlPS5_SB_mNS0_19identity_decomposerENS1_16block_id_wrapperIjLb0EEEEE10hipError_tT1_PNSt15iterator_traitsISG_E10value_typeET2_T3_PNSH_ISM_E10value_typeET4_T5_PSR_SS_PNS1_23onesweep_lookback_stateEbbT6_jjT7_P12ihipStream_tbENKUlT_T0_SG_SL_E_clISA_SA_SB_SB_EEDaSZ_S10_SG_SL_EUlSZ_E_NS1_11comp_targetILNS1_3genE2ELNS1_11target_archE906ELNS1_3gpuE6ELNS1_3repE0EEENS1_47radix_sort_onesweep_sort_config_static_selectorELNS0_4arch9wavefront6targetE0EEEvSG_
    .private_segment_fixed_size: 0
    .sgpr_count:     0
    .sgpr_spill_count: 0
    .symbol:         _ZN7rocprim17ROCPRIM_400000_NS6detail17trampoline_kernelINS0_14default_configENS1_35radix_sort_onesweep_config_selectorIlNS0_10empty_typeEEEZZNS1_29radix_sort_onesweep_iterationIS3_Lb0EPKlPlPS5_SB_mNS0_19identity_decomposerENS1_16block_id_wrapperIjLb0EEEEE10hipError_tT1_PNSt15iterator_traitsISG_E10value_typeET2_T3_PNSH_ISM_E10value_typeET4_T5_PSR_SS_PNS1_23onesweep_lookback_stateEbbT6_jjT7_P12ihipStream_tbENKUlT_T0_SG_SL_E_clISA_SA_SB_SB_EEDaSZ_S10_SG_SL_EUlSZ_E_NS1_11comp_targetILNS1_3genE2ELNS1_11target_archE906ELNS1_3gpuE6ELNS1_3repE0EEENS1_47radix_sort_onesweep_sort_config_static_selectorELNS0_4arch9wavefront6targetE0EEEvSG_.kd
    .uniform_work_group_size: 1
    .uses_dynamic_stack: false
    .vgpr_count:     0
    .vgpr_spill_count: 0
    .wavefront_size: 32
  - .args:
      - .offset:         0
        .size:           88
        .value_kind:     by_value
    .group_segment_fixed_size: 0
    .kernarg_segment_align: 8
    .kernarg_segment_size: 88
    .language:       OpenCL C
    .language_version:
      - 2
      - 0
    .max_flat_workgroup_size: 1024
    .name:           _ZN7rocprim17ROCPRIM_400000_NS6detail17trampoline_kernelINS0_14default_configENS1_35radix_sort_onesweep_config_selectorIlNS0_10empty_typeEEEZZNS1_29radix_sort_onesweep_iterationIS3_Lb0EPKlPlPS5_SB_mNS0_19identity_decomposerENS1_16block_id_wrapperIjLb0EEEEE10hipError_tT1_PNSt15iterator_traitsISG_E10value_typeET2_T3_PNSH_ISM_E10value_typeET4_T5_PSR_SS_PNS1_23onesweep_lookback_stateEbbT6_jjT7_P12ihipStream_tbENKUlT_T0_SG_SL_E_clISA_SA_SB_SB_EEDaSZ_S10_SG_SL_EUlSZ_E_NS1_11comp_targetILNS1_3genE4ELNS1_11target_archE910ELNS1_3gpuE8ELNS1_3repE0EEENS1_47radix_sort_onesweep_sort_config_static_selectorELNS0_4arch9wavefront6targetE0EEEvSG_
    .private_segment_fixed_size: 0
    .sgpr_count:     0
    .sgpr_spill_count: 0
    .symbol:         _ZN7rocprim17ROCPRIM_400000_NS6detail17trampoline_kernelINS0_14default_configENS1_35radix_sort_onesweep_config_selectorIlNS0_10empty_typeEEEZZNS1_29radix_sort_onesweep_iterationIS3_Lb0EPKlPlPS5_SB_mNS0_19identity_decomposerENS1_16block_id_wrapperIjLb0EEEEE10hipError_tT1_PNSt15iterator_traitsISG_E10value_typeET2_T3_PNSH_ISM_E10value_typeET4_T5_PSR_SS_PNS1_23onesweep_lookback_stateEbbT6_jjT7_P12ihipStream_tbENKUlT_T0_SG_SL_E_clISA_SA_SB_SB_EEDaSZ_S10_SG_SL_EUlSZ_E_NS1_11comp_targetILNS1_3genE4ELNS1_11target_archE910ELNS1_3gpuE8ELNS1_3repE0EEENS1_47radix_sort_onesweep_sort_config_static_selectorELNS0_4arch9wavefront6targetE0EEEvSG_.kd
    .uniform_work_group_size: 1
    .uses_dynamic_stack: false
    .vgpr_count:     0
    .vgpr_spill_count: 0
    .wavefront_size: 32
  - .args:
      - .offset:         0
        .size:           88
        .value_kind:     by_value
    .group_segment_fixed_size: 0
    .kernarg_segment_align: 8
    .kernarg_segment_size: 88
    .language:       OpenCL C
    .language_version:
      - 2
      - 0
    .max_flat_workgroup_size: 512
    .name:           _ZN7rocprim17ROCPRIM_400000_NS6detail17trampoline_kernelINS0_14default_configENS1_35radix_sort_onesweep_config_selectorIlNS0_10empty_typeEEEZZNS1_29radix_sort_onesweep_iterationIS3_Lb0EPKlPlPS5_SB_mNS0_19identity_decomposerENS1_16block_id_wrapperIjLb0EEEEE10hipError_tT1_PNSt15iterator_traitsISG_E10value_typeET2_T3_PNSH_ISM_E10value_typeET4_T5_PSR_SS_PNS1_23onesweep_lookback_stateEbbT6_jjT7_P12ihipStream_tbENKUlT_T0_SG_SL_E_clISA_SA_SB_SB_EEDaSZ_S10_SG_SL_EUlSZ_E_NS1_11comp_targetILNS1_3genE3ELNS1_11target_archE908ELNS1_3gpuE7ELNS1_3repE0EEENS1_47radix_sort_onesweep_sort_config_static_selectorELNS0_4arch9wavefront6targetE0EEEvSG_
    .private_segment_fixed_size: 0
    .sgpr_count:     0
    .sgpr_spill_count: 0
    .symbol:         _ZN7rocprim17ROCPRIM_400000_NS6detail17trampoline_kernelINS0_14default_configENS1_35radix_sort_onesweep_config_selectorIlNS0_10empty_typeEEEZZNS1_29radix_sort_onesweep_iterationIS3_Lb0EPKlPlPS5_SB_mNS0_19identity_decomposerENS1_16block_id_wrapperIjLb0EEEEE10hipError_tT1_PNSt15iterator_traitsISG_E10value_typeET2_T3_PNSH_ISM_E10value_typeET4_T5_PSR_SS_PNS1_23onesweep_lookback_stateEbbT6_jjT7_P12ihipStream_tbENKUlT_T0_SG_SL_E_clISA_SA_SB_SB_EEDaSZ_S10_SG_SL_EUlSZ_E_NS1_11comp_targetILNS1_3genE3ELNS1_11target_archE908ELNS1_3gpuE7ELNS1_3repE0EEENS1_47radix_sort_onesweep_sort_config_static_selectorELNS0_4arch9wavefront6targetE0EEEvSG_.kd
    .uniform_work_group_size: 1
    .uses_dynamic_stack: false
    .vgpr_count:     0
    .vgpr_spill_count: 0
    .wavefront_size: 32
  - .args:
      - .offset:         0
        .size:           88
        .value_kind:     by_value
    .group_segment_fixed_size: 0
    .kernarg_segment_align: 8
    .kernarg_segment_size: 88
    .language:       OpenCL C
    .language_version:
      - 2
      - 0
    .max_flat_workgroup_size: 512
    .name:           _ZN7rocprim17ROCPRIM_400000_NS6detail17trampoline_kernelINS0_14default_configENS1_35radix_sort_onesweep_config_selectorIlNS0_10empty_typeEEEZZNS1_29radix_sort_onesweep_iterationIS3_Lb0EPKlPlPS5_SB_mNS0_19identity_decomposerENS1_16block_id_wrapperIjLb0EEEEE10hipError_tT1_PNSt15iterator_traitsISG_E10value_typeET2_T3_PNSH_ISM_E10value_typeET4_T5_PSR_SS_PNS1_23onesweep_lookback_stateEbbT6_jjT7_P12ihipStream_tbENKUlT_T0_SG_SL_E_clISA_SA_SB_SB_EEDaSZ_S10_SG_SL_EUlSZ_E_NS1_11comp_targetILNS1_3genE10ELNS1_11target_archE1201ELNS1_3gpuE5ELNS1_3repE0EEENS1_47radix_sort_onesweep_sort_config_static_selectorELNS0_4arch9wavefront6targetE0EEEvSG_
    .private_segment_fixed_size: 0
    .sgpr_count:     0
    .sgpr_spill_count: 0
    .symbol:         _ZN7rocprim17ROCPRIM_400000_NS6detail17trampoline_kernelINS0_14default_configENS1_35radix_sort_onesweep_config_selectorIlNS0_10empty_typeEEEZZNS1_29radix_sort_onesweep_iterationIS3_Lb0EPKlPlPS5_SB_mNS0_19identity_decomposerENS1_16block_id_wrapperIjLb0EEEEE10hipError_tT1_PNSt15iterator_traitsISG_E10value_typeET2_T3_PNSH_ISM_E10value_typeET4_T5_PSR_SS_PNS1_23onesweep_lookback_stateEbbT6_jjT7_P12ihipStream_tbENKUlT_T0_SG_SL_E_clISA_SA_SB_SB_EEDaSZ_S10_SG_SL_EUlSZ_E_NS1_11comp_targetILNS1_3genE10ELNS1_11target_archE1201ELNS1_3gpuE5ELNS1_3repE0EEENS1_47radix_sort_onesweep_sort_config_static_selectorELNS0_4arch9wavefront6targetE0EEEvSG_.kd
    .uniform_work_group_size: 1
    .uses_dynamic_stack: false
    .vgpr_count:     0
    .vgpr_spill_count: 0
    .wavefront_size: 32
  - .args:
      - .offset:         0
        .size:           88
        .value_kind:     by_value
    .group_segment_fixed_size: 0
    .kernarg_segment_align: 8
    .kernarg_segment_size: 88
    .language:       OpenCL C
    .language_version:
      - 2
      - 0
    .max_flat_workgroup_size: 1024
    .name:           _ZN7rocprim17ROCPRIM_400000_NS6detail17trampoline_kernelINS0_14default_configENS1_35radix_sort_onesweep_config_selectorIlNS0_10empty_typeEEEZZNS1_29radix_sort_onesweep_iterationIS3_Lb0EPKlPlPS5_SB_mNS0_19identity_decomposerENS1_16block_id_wrapperIjLb0EEEEE10hipError_tT1_PNSt15iterator_traitsISG_E10value_typeET2_T3_PNSH_ISM_E10value_typeET4_T5_PSR_SS_PNS1_23onesweep_lookback_stateEbbT6_jjT7_P12ihipStream_tbENKUlT_T0_SG_SL_E_clISA_SA_SB_SB_EEDaSZ_S10_SG_SL_EUlSZ_E_NS1_11comp_targetILNS1_3genE9ELNS1_11target_archE1100ELNS1_3gpuE3ELNS1_3repE0EEENS1_47radix_sort_onesweep_sort_config_static_selectorELNS0_4arch9wavefront6targetE0EEEvSG_
    .private_segment_fixed_size: 0
    .sgpr_count:     0
    .sgpr_spill_count: 0
    .symbol:         _ZN7rocprim17ROCPRIM_400000_NS6detail17trampoline_kernelINS0_14default_configENS1_35radix_sort_onesweep_config_selectorIlNS0_10empty_typeEEEZZNS1_29radix_sort_onesweep_iterationIS3_Lb0EPKlPlPS5_SB_mNS0_19identity_decomposerENS1_16block_id_wrapperIjLb0EEEEE10hipError_tT1_PNSt15iterator_traitsISG_E10value_typeET2_T3_PNSH_ISM_E10value_typeET4_T5_PSR_SS_PNS1_23onesweep_lookback_stateEbbT6_jjT7_P12ihipStream_tbENKUlT_T0_SG_SL_E_clISA_SA_SB_SB_EEDaSZ_S10_SG_SL_EUlSZ_E_NS1_11comp_targetILNS1_3genE9ELNS1_11target_archE1100ELNS1_3gpuE3ELNS1_3repE0EEENS1_47radix_sort_onesweep_sort_config_static_selectorELNS0_4arch9wavefront6targetE0EEEvSG_.kd
    .uniform_work_group_size: 1
    .uses_dynamic_stack: false
    .vgpr_count:     0
    .vgpr_spill_count: 0
    .wavefront_size: 32
  - .args:
      - .offset:         0
        .size:           88
        .value_kind:     by_value
    .group_segment_fixed_size: 0
    .kernarg_segment_align: 8
    .kernarg_segment_size: 88
    .language:       OpenCL C
    .language_version:
      - 2
      - 0
    .max_flat_workgroup_size: 1024
    .name:           _ZN7rocprim17ROCPRIM_400000_NS6detail17trampoline_kernelINS0_14default_configENS1_35radix_sort_onesweep_config_selectorIlNS0_10empty_typeEEEZZNS1_29radix_sort_onesweep_iterationIS3_Lb0EPKlPlPS5_SB_mNS0_19identity_decomposerENS1_16block_id_wrapperIjLb0EEEEE10hipError_tT1_PNSt15iterator_traitsISG_E10value_typeET2_T3_PNSH_ISM_E10value_typeET4_T5_PSR_SS_PNS1_23onesweep_lookback_stateEbbT6_jjT7_P12ihipStream_tbENKUlT_T0_SG_SL_E_clISA_SA_SB_SB_EEDaSZ_S10_SG_SL_EUlSZ_E_NS1_11comp_targetILNS1_3genE8ELNS1_11target_archE1030ELNS1_3gpuE2ELNS1_3repE0EEENS1_47radix_sort_onesweep_sort_config_static_selectorELNS0_4arch9wavefront6targetE0EEEvSG_
    .private_segment_fixed_size: 0
    .sgpr_count:     0
    .sgpr_spill_count: 0
    .symbol:         _ZN7rocprim17ROCPRIM_400000_NS6detail17trampoline_kernelINS0_14default_configENS1_35radix_sort_onesweep_config_selectorIlNS0_10empty_typeEEEZZNS1_29radix_sort_onesweep_iterationIS3_Lb0EPKlPlPS5_SB_mNS0_19identity_decomposerENS1_16block_id_wrapperIjLb0EEEEE10hipError_tT1_PNSt15iterator_traitsISG_E10value_typeET2_T3_PNSH_ISM_E10value_typeET4_T5_PSR_SS_PNS1_23onesweep_lookback_stateEbbT6_jjT7_P12ihipStream_tbENKUlT_T0_SG_SL_E_clISA_SA_SB_SB_EEDaSZ_S10_SG_SL_EUlSZ_E_NS1_11comp_targetILNS1_3genE8ELNS1_11target_archE1030ELNS1_3gpuE2ELNS1_3repE0EEENS1_47radix_sort_onesweep_sort_config_static_selectorELNS0_4arch9wavefront6targetE0EEEvSG_.kd
    .uniform_work_group_size: 1
    .uses_dynamic_stack: false
    .vgpr_count:     0
    .vgpr_spill_count: 0
    .wavefront_size: 32
  - .args:
      - .offset:         0
        .size:           48
        .value_kind:     by_value
      - .offset:         48
        .size:           4
        .value_kind:     hidden_block_count_x
      - .offset:         52
        .size:           4
        .value_kind:     hidden_block_count_y
      - .offset:         56
        .size:           4
        .value_kind:     hidden_block_count_z
      - .offset:         60
        .size:           2
        .value_kind:     hidden_group_size_x
      - .offset:         62
        .size:           2
        .value_kind:     hidden_group_size_y
      - .offset:         64
        .size:           2
        .value_kind:     hidden_group_size_z
      - .offset:         66
        .size:           2
        .value_kind:     hidden_remainder_x
      - .offset:         68
        .size:           2
        .value_kind:     hidden_remainder_y
      - .offset:         70
        .size:           2
        .value_kind:     hidden_remainder_z
      - .offset:         88
        .size:           8
        .value_kind:     hidden_global_offset_x
      - .offset:         96
        .size:           8
        .value_kind:     hidden_global_offset_y
      - .offset:         104
        .size:           8
        .value_kind:     hidden_global_offset_z
      - .offset:         112
        .size:           2
        .value_kind:     hidden_grid_dims
    .group_segment_fixed_size: 8224
    .kernarg_segment_align: 8
    .kernarg_segment_size: 304
    .language:       OpenCL C
    .language_version:
      - 2
      - 0
    .max_flat_workgroup_size: 256
    .name:           _ZN7rocprim17ROCPRIM_400000_NS6detail17trampoline_kernelINS0_13kernel_configILj256ELj4ELj4294967295EEENS1_37radix_sort_block_sort_config_selectorIfNS0_10empty_typeEEEZNS1_21radix_sort_block_sortIS4_Lb1EPKfPfPS6_SC_NS0_19identity_decomposerEEE10hipError_tT1_T2_T3_T4_jRjT5_jjP12ihipStream_tbEUlT_E_NS1_11comp_targetILNS1_3genE0ELNS1_11target_archE4294967295ELNS1_3gpuE0ELNS1_3repE0EEENS1_44radix_sort_block_sort_config_static_selectorELNS0_4arch9wavefront6targetE0EEEvSF_
    .private_segment_fixed_size: 0
    .sgpr_count:     31
    .sgpr_spill_count: 0
    .symbol:         _ZN7rocprim17ROCPRIM_400000_NS6detail17trampoline_kernelINS0_13kernel_configILj256ELj4ELj4294967295EEENS1_37radix_sort_block_sort_config_selectorIfNS0_10empty_typeEEEZNS1_21radix_sort_block_sortIS4_Lb1EPKfPfPS6_SC_NS0_19identity_decomposerEEE10hipError_tT1_T2_T3_T4_jRjT5_jjP12ihipStream_tbEUlT_E_NS1_11comp_targetILNS1_3genE0ELNS1_11target_archE4294967295ELNS1_3gpuE0ELNS1_3repE0EEENS1_44radix_sort_block_sort_config_static_selectorELNS0_4arch9wavefront6targetE0EEEvSF_.kd
    .uniform_work_group_size: 1
    .uses_dynamic_stack: false
    .vgpr_count:     38
    .vgpr_spill_count: 0
    .wavefront_size: 32
  - .args:
      - .offset:         0
        .size:           48
        .value_kind:     by_value
    .group_segment_fixed_size: 0
    .kernarg_segment_align: 8
    .kernarg_segment_size: 48
    .language:       OpenCL C
    .language_version:
      - 2
      - 0
    .max_flat_workgroup_size: 256
    .name:           _ZN7rocprim17ROCPRIM_400000_NS6detail17trampoline_kernelINS0_13kernel_configILj256ELj4ELj4294967295EEENS1_37radix_sort_block_sort_config_selectorIfNS0_10empty_typeEEEZNS1_21radix_sort_block_sortIS4_Lb1EPKfPfPS6_SC_NS0_19identity_decomposerEEE10hipError_tT1_T2_T3_T4_jRjT5_jjP12ihipStream_tbEUlT_E_NS1_11comp_targetILNS1_3genE5ELNS1_11target_archE942ELNS1_3gpuE9ELNS1_3repE0EEENS1_44radix_sort_block_sort_config_static_selectorELNS0_4arch9wavefront6targetE0EEEvSF_
    .private_segment_fixed_size: 0
    .sgpr_count:     0
    .sgpr_spill_count: 0
    .symbol:         _ZN7rocprim17ROCPRIM_400000_NS6detail17trampoline_kernelINS0_13kernel_configILj256ELj4ELj4294967295EEENS1_37radix_sort_block_sort_config_selectorIfNS0_10empty_typeEEEZNS1_21radix_sort_block_sortIS4_Lb1EPKfPfPS6_SC_NS0_19identity_decomposerEEE10hipError_tT1_T2_T3_T4_jRjT5_jjP12ihipStream_tbEUlT_E_NS1_11comp_targetILNS1_3genE5ELNS1_11target_archE942ELNS1_3gpuE9ELNS1_3repE0EEENS1_44radix_sort_block_sort_config_static_selectorELNS0_4arch9wavefront6targetE0EEEvSF_.kd
    .uniform_work_group_size: 1
    .uses_dynamic_stack: false
    .vgpr_count:     0
    .vgpr_spill_count: 0
    .wavefront_size: 32
  - .args:
      - .offset:         0
        .size:           48
        .value_kind:     by_value
    .group_segment_fixed_size: 0
    .kernarg_segment_align: 8
    .kernarg_segment_size: 48
    .language:       OpenCL C
    .language_version:
      - 2
      - 0
    .max_flat_workgroup_size: 256
    .name:           _ZN7rocprim17ROCPRIM_400000_NS6detail17trampoline_kernelINS0_13kernel_configILj256ELj4ELj4294967295EEENS1_37radix_sort_block_sort_config_selectorIfNS0_10empty_typeEEEZNS1_21radix_sort_block_sortIS4_Lb1EPKfPfPS6_SC_NS0_19identity_decomposerEEE10hipError_tT1_T2_T3_T4_jRjT5_jjP12ihipStream_tbEUlT_E_NS1_11comp_targetILNS1_3genE4ELNS1_11target_archE910ELNS1_3gpuE8ELNS1_3repE0EEENS1_44radix_sort_block_sort_config_static_selectorELNS0_4arch9wavefront6targetE0EEEvSF_
    .private_segment_fixed_size: 0
    .sgpr_count:     0
    .sgpr_spill_count: 0
    .symbol:         _ZN7rocprim17ROCPRIM_400000_NS6detail17trampoline_kernelINS0_13kernel_configILj256ELj4ELj4294967295EEENS1_37radix_sort_block_sort_config_selectorIfNS0_10empty_typeEEEZNS1_21radix_sort_block_sortIS4_Lb1EPKfPfPS6_SC_NS0_19identity_decomposerEEE10hipError_tT1_T2_T3_T4_jRjT5_jjP12ihipStream_tbEUlT_E_NS1_11comp_targetILNS1_3genE4ELNS1_11target_archE910ELNS1_3gpuE8ELNS1_3repE0EEENS1_44radix_sort_block_sort_config_static_selectorELNS0_4arch9wavefront6targetE0EEEvSF_.kd
    .uniform_work_group_size: 1
    .uses_dynamic_stack: false
    .vgpr_count:     0
    .vgpr_spill_count: 0
    .wavefront_size: 32
  - .args:
      - .offset:         0
        .size:           48
        .value_kind:     by_value
    .group_segment_fixed_size: 0
    .kernarg_segment_align: 8
    .kernarg_segment_size: 48
    .language:       OpenCL C
    .language_version:
      - 2
      - 0
    .max_flat_workgroup_size: 256
    .name:           _ZN7rocprim17ROCPRIM_400000_NS6detail17trampoline_kernelINS0_13kernel_configILj256ELj4ELj4294967295EEENS1_37radix_sort_block_sort_config_selectorIfNS0_10empty_typeEEEZNS1_21radix_sort_block_sortIS4_Lb1EPKfPfPS6_SC_NS0_19identity_decomposerEEE10hipError_tT1_T2_T3_T4_jRjT5_jjP12ihipStream_tbEUlT_E_NS1_11comp_targetILNS1_3genE3ELNS1_11target_archE908ELNS1_3gpuE7ELNS1_3repE0EEENS1_44radix_sort_block_sort_config_static_selectorELNS0_4arch9wavefront6targetE0EEEvSF_
    .private_segment_fixed_size: 0
    .sgpr_count:     0
    .sgpr_spill_count: 0
    .symbol:         _ZN7rocprim17ROCPRIM_400000_NS6detail17trampoline_kernelINS0_13kernel_configILj256ELj4ELj4294967295EEENS1_37radix_sort_block_sort_config_selectorIfNS0_10empty_typeEEEZNS1_21radix_sort_block_sortIS4_Lb1EPKfPfPS6_SC_NS0_19identity_decomposerEEE10hipError_tT1_T2_T3_T4_jRjT5_jjP12ihipStream_tbEUlT_E_NS1_11comp_targetILNS1_3genE3ELNS1_11target_archE908ELNS1_3gpuE7ELNS1_3repE0EEENS1_44radix_sort_block_sort_config_static_selectorELNS0_4arch9wavefront6targetE0EEEvSF_.kd
    .uniform_work_group_size: 1
    .uses_dynamic_stack: false
    .vgpr_count:     0
    .vgpr_spill_count: 0
    .wavefront_size: 32
  - .args:
      - .offset:         0
        .size:           48
        .value_kind:     by_value
    .group_segment_fixed_size: 0
    .kernarg_segment_align: 8
    .kernarg_segment_size: 48
    .language:       OpenCL C
    .language_version:
      - 2
      - 0
    .max_flat_workgroup_size: 256
    .name:           _ZN7rocprim17ROCPRIM_400000_NS6detail17trampoline_kernelINS0_13kernel_configILj256ELj4ELj4294967295EEENS1_37radix_sort_block_sort_config_selectorIfNS0_10empty_typeEEEZNS1_21radix_sort_block_sortIS4_Lb1EPKfPfPS6_SC_NS0_19identity_decomposerEEE10hipError_tT1_T2_T3_T4_jRjT5_jjP12ihipStream_tbEUlT_E_NS1_11comp_targetILNS1_3genE2ELNS1_11target_archE906ELNS1_3gpuE6ELNS1_3repE0EEENS1_44radix_sort_block_sort_config_static_selectorELNS0_4arch9wavefront6targetE0EEEvSF_
    .private_segment_fixed_size: 0
    .sgpr_count:     0
    .sgpr_spill_count: 0
    .symbol:         _ZN7rocprim17ROCPRIM_400000_NS6detail17trampoline_kernelINS0_13kernel_configILj256ELj4ELj4294967295EEENS1_37radix_sort_block_sort_config_selectorIfNS0_10empty_typeEEEZNS1_21radix_sort_block_sortIS4_Lb1EPKfPfPS6_SC_NS0_19identity_decomposerEEE10hipError_tT1_T2_T3_T4_jRjT5_jjP12ihipStream_tbEUlT_E_NS1_11comp_targetILNS1_3genE2ELNS1_11target_archE906ELNS1_3gpuE6ELNS1_3repE0EEENS1_44radix_sort_block_sort_config_static_selectorELNS0_4arch9wavefront6targetE0EEEvSF_.kd
    .uniform_work_group_size: 1
    .uses_dynamic_stack: false
    .vgpr_count:     0
    .vgpr_spill_count: 0
    .wavefront_size: 32
  - .args:
      - .offset:         0
        .size:           48
        .value_kind:     by_value
    .group_segment_fixed_size: 0
    .kernarg_segment_align: 8
    .kernarg_segment_size: 48
    .language:       OpenCL C
    .language_version:
      - 2
      - 0
    .max_flat_workgroup_size: 256
    .name:           _ZN7rocprim17ROCPRIM_400000_NS6detail17trampoline_kernelINS0_13kernel_configILj256ELj4ELj4294967295EEENS1_37radix_sort_block_sort_config_selectorIfNS0_10empty_typeEEEZNS1_21radix_sort_block_sortIS4_Lb1EPKfPfPS6_SC_NS0_19identity_decomposerEEE10hipError_tT1_T2_T3_T4_jRjT5_jjP12ihipStream_tbEUlT_E_NS1_11comp_targetILNS1_3genE10ELNS1_11target_archE1201ELNS1_3gpuE5ELNS1_3repE0EEENS1_44radix_sort_block_sort_config_static_selectorELNS0_4arch9wavefront6targetE0EEEvSF_
    .private_segment_fixed_size: 0
    .sgpr_count:     0
    .sgpr_spill_count: 0
    .symbol:         _ZN7rocprim17ROCPRIM_400000_NS6detail17trampoline_kernelINS0_13kernel_configILj256ELj4ELj4294967295EEENS1_37radix_sort_block_sort_config_selectorIfNS0_10empty_typeEEEZNS1_21radix_sort_block_sortIS4_Lb1EPKfPfPS6_SC_NS0_19identity_decomposerEEE10hipError_tT1_T2_T3_T4_jRjT5_jjP12ihipStream_tbEUlT_E_NS1_11comp_targetILNS1_3genE10ELNS1_11target_archE1201ELNS1_3gpuE5ELNS1_3repE0EEENS1_44radix_sort_block_sort_config_static_selectorELNS0_4arch9wavefront6targetE0EEEvSF_.kd
    .uniform_work_group_size: 1
    .uses_dynamic_stack: false
    .vgpr_count:     0
    .vgpr_spill_count: 0
    .wavefront_size: 32
  - .args:
      - .offset:         0
        .size:           48
        .value_kind:     by_value
    .group_segment_fixed_size: 0
    .kernarg_segment_align: 8
    .kernarg_segment_size: 48
    .language:       OpenCL C
    .language_version:
      - 2
      - 0
    .max_flat_workgroup_size: 256
    .name:           _ZN7rocprim17ROCPRIM_400000_NS6detail17trampoline_kernelINS0_13kernel_configILj256ELj4ELj4294967295EEENS1_37radix_sort_block_sort_config_selectorIfNS0_10empty_typeEEEZNS1_21radix_sort_block_sortIS4_Lb1EPKfPfPS6_SC_NS0_19identity_decomposerEEE10hipError_tT1_T2_T3_T4_jRjT5_jjP12ihipStream_tbEUlT_E_NS1_11comp_targetILNS1_3genE10ELNS1_11target_archE1200ELNS1_3gpuE4ELNS1_3repE0EEENS1_44radix_sort_block_sort_config_static_selectorELNS0_4arch9wavefront6targetE0EEEvSF_
    .private_segment_fixed_size: 0
    .sgpr_count:     0
    .sgpr_spill_count: 0
    .symbol:         _ZN7rocprim17ROCPRIM_400000_NS6detail17trampoline_kernelINS0_13kernel_configILj256ELj4ELj4294967295EEENS1_37radix_sort_block_sort_config_selectorIfNS0_10empty_typeEEEZNS1_21radix_sort_block_sortIS4_Lb1EPKfPfPS6_SC_NS0_19identity_decomposerEEE10hipError_tT1_T2_T3_T4_jRjT5_jjP12ihipStream_tbEUlT_E_NS1_11comp_targetILNS1_3genE10ELNS1_11target_archE1200ELNS1_3gpuE4ELNS1_3repE0EEENS1_44radix_sort_block_sort_config_static_selectorELNS0_4arch9wavefront6targetE0EEEvSF_.kd
    .uniform_work_group_size: 1
    .uses_dynamic_stack: false
    .vgpr_count:     0
    .vgpr_spill_count: 0
    .wavefront_size: 32
  - .args:
      - .offset:         0
        .size:           48
        .value_kind:     by_value
    .group_segment_fixed_size: 0
    .kernarg_segment_align: 8
    .kernarg_segment_size: 48
    .language:       OpenCL C
    .language_version:
      - 2
      - 0
    .max_flat_workgroup_size: 256
    .name:           _ZN7rocprim17ROCPRIM_400000_NS6detail17trampoline_kernelINS0_13kernel_configILj256ELj4ELj4294967295EEENS1_37radix_sort_block_sort_config_selectorIfNS0_10empty_typeEEEZNS1_21radix_sort_block_sortIS4_Lb1EPKfPfPS6_SC_NS0_19identity_decomposerEEE10hipError_tT1_T2_T3_T4_jRjT5_jjP12ihipStream_tbEUlT_E_NS1_11comp_targetILNS1_3genE9ELNS1_11target_archE1100ELNS1_3gpuE3ELNS1_3repE0EEENS1_44radix_sort_block_sort_config_static_selectorELNS0_4arch9wavefront6targetE0EEEvSF_
    .private_segment_fixed_size: 0
    .sgpr_count:     0
    .sgpr_spill_count: 0
    .symbol:         _ZN7rocprim17ROCPRIM_400000_NS6detail17trampoline_kernelINS0_13kernel_configILj256ELj4ELj4294967295EEENS1_37radix_sort_block_sort_config_selectorIfNS0_10empty_typeEEEZNS1_21radix_sort_block_sortIS4_Lb1EPKfPfPS6_SC_NS0_19identity_decomposerEEE10hipError_tT1_T2_T3_T4_jRjT5_jjP12ihipStream_tbEUlT_E_NS1_11comp_targetILNS1_3genE9ELNS1_11target_archE1100ELNS1_3gpuE3ELNS1_3repE0EEENS1_44radix_sort_block_sort_config_static_selectorELNS0_4arch9wavefront6targetE0EEEvSF_.kd
    .uniform_work_group_size: 1
    .uses_dynamic_stack: false
    .vgpr_count:     0
    .vgpr_spill_count: 0
    .wavefront_size: 32
  - .args:
      - .offset:         0
        .size:           48
        .value_kind:     by_value
    .group_segment_fixed_size: 0
    .kernarg_segment_align: 8
    .kernarg_segment_size: 48
    .language:       OpenCL C
    .language_version:
      - 2
      - 0
    .max_flat_workgroup_size: 256
    .name:           _ZN7rocprim17ROCPRIM_400000_NS6detail17trampoline_kernelINS0_13kernel_configILj256ELj4ELj4294967295EEENS1_37radix_sort_block_sort_config_selectorIfNS0_10empty_typeEEEZNS1_21radix_sort_block_sortIS4_Lb1EPKfPfPS6_SC_NS0_19identity_decomposerEEE10hipError_tT1_T2_T3_T4_jRjT5_jjP12ihipStream_tbEUlT_E_NS1_11comp_targetILNS1_3genE8ELNS1_11target_archE1030ELNS1_3gpuE2ELNS1_3repE0EEENS1_44radix_sort_block_sort_config_static_selectorELNS0_4arch9wavefront6targetE0EEEvSF_
    .private_segment_fixed_size: 0
    .sgpr_count:     0
    .sgpr_spill_count: 0
    .symbol:         _ZN7rocprim17ROCPRIM_400000_NS6detail17trampoline_kernelINS0_13kernel_configILj256ELj4ELj4294967295EEENS1_37radix_sort_block_sort_config_selectorIfNS0_10empty_typeEEEZNS1_21radix_sort_block_sortIS4_Lb1EPKfPfPS6_SC_NS0_19identity_decomposerEEE10hipError_tT1_T2_T3_T4_jRjT5_jjP12ihipStream_tbEUlT_E_NS1_11comp_targetILNS1_3genE8ELNS1_11target_archE1030ELNS1_3gpuE2ELNS1_3repE0EEENS1_44radix_sort_block_sort_config_static_selectorELNS0_4arch9wavefront6targetE0EEEvSF_.kd
    .uniform_work_group_size: 1
    .uses_dynamic_stack: false
    .vgpr_count:     0
    .vgpr_spill_count: 0
    .wavefront_size: 32
  - .args:           []
    .group_segment_fixed_size: 0
    .kernarg_segment_align: 4
    .kernarg_segment_size: 0
    .language:       OpenCL C
    .language_version:
      - 2
      - 0
    .max_flat_workgroup_size: 1024
    .name:           _ZN7rocprim17ROCPRIM_400000_NS6detail44device_merge_sort_compile_time_verifier_archINS1_11comp_targetILNS1_3genE0ELNS1_11target_archE4294967295ELNS1_3gpuE0ELNS1_3repE0EEES8_NS1_28merge_sort_block_sort_configILj256ELj4ELNS0_20block_sort_algorithmE0EEENS0_14default_configENS1_37merge_sort_block_sort_config_selectorIfNS0_10empty_typeEEENS1_38merge_sort_block_merge_config_selectorIfSE_EEEEvv
    .private_segment_fixed_size: 0
    .sgpr_count:     0
    .sgpr_spill_count: 0
    .symbol:         _ZN7rocprim17ROCPRIM_400000_NS6detail44device_merge_sort_compile_time_verifier_archINS1_11comp_targetILNS1_3genE0ELNS1_11target_archE4294967295ELNS1_3gpuE0ELNS1_3repE0EEES8_NS1_28merge_sort_block_sort_configILj256ELj4ELNS0_20block_sort_algorithmE0EEENS0_14default_configENS1_37merge_sort_block_sort_config_selectorIfNS0_10empty_typeEEENS1_38merge_sort_block_merge_config_selectorIfSE_EEEEvv.kd
    .uniform_work_group_size: 1
    .uses_dynamic_stack: false
    .vgpr_count:     0
    .vgpr_spill_count: 0
    .wavefront_size: 32
  - .args:           []
    .group_segment_fixed_size: 0
    .kernarg_segment_align: 4
    .kernarg_segment_size: 0
    .language:       OpenCL C
    .language_version:
      - 2
      - 0
    .max_flat_workgroup_size: 1024
    .name:           _ZN7rocprim17ROCPRIM_400000_NS6detail44device_merge_sort_compile_time_verifier_archINS1_11comp_targetILNS1_3genE5ELNS1_11target_archE942ELNS1_3gpuE9ELNS1_3repE0EEES8_NS1_28merge_sort_block_sort_configILj256ELj4ELNS0_20block_sort_algorithmE0EEENS0_14default_configENS1_37merge_sort_block_sort_config_selectorIfNS0_10empty_typeEEENS1_38merge_sort_block_merge_config_selectorIfSE_EEEEvv
    .private_segment_fixed_size: 0
    .sgpr_count:     0
    .sgpr_spill_count: 0
    .symbol:         _ZN7rocprim17ROCPRIM_400000_NS6detail44device_merge_sort_compile_time_verifier_archINS1_11comp_targetILNS1_3genE5ELNS1_11target_archE942ELNS1_3gpuE9ELNS1_3repE0EEES8_NS1_28merge_sort_block_sort_configILj256ELj4ELNS0_20block_sort_algorithmE0EEENS0_14default_configENS1_37merge_sort_block_sort_config_selectorIfNS0_10empty_typeEEENS1_38merge_sort_block_merge_config_selectorIfSE_EEEEvv.kd
    .uniform_work_group_size: 1
    .uses_dynamic_stack: false
    .vgpr_count:     0
    .vgpr_spill_count: 0
    .wavefront_size: 32
  - .args:           []
    .group_segment_fixed_size: 0
    .kernarg_segment_align: 4
    .kernarg_segment_size: 0
    .language:       OpenCL C
    .language_version:
      - 2
      - 0
    .max_flat_workgroup_size: 1024
    .name:           _ZN7rocprim17ROCPRIM_400000_NS6detail44device_merge_sort_compile_time_verifier_archINS1_11comp_targetILNS1_3genE4ELNS1_11target_archE910ELNS1_3gpuE8ELNS1_3repE0EEES8_NS1_28merge_sort_block_sort_configILj256ELj4ELNS0_20block_sort_algorithmE0EEENS0_14default_configENS1_37merge_sort_block_sort_config_selectorIfNS0_10empty_typeEEENS1_38merge_sort_block_merge_config_selectorIfSE_EEEEvv
    .private_segment_fixed_size: 0
    .sgpr_count:     0
    .sgpr_spill_count: 0
    .symbol:         _ZN7rocprim17ROCPRIM_400000_NS6detail44device_merge_sort_compile_time_verifier_archINS1_11comp_targetILNS1_3genE4ELNS1_11target_archE910ELNS1_3gpuE8ELNS1_3repE0EEES8_NS1_28merge_sort_block_sort_configILj256ELj4ELNS0_20block_sort_algorithmE0EEENS0_14default_configENS1_37merge_sort_block_sort_config_selectorIfNS0_10empty_typeEEENS1_38merge_sort_block_merge_config_selectorIfSE_EEEEvv.kd
    .uniform_work_group_size: 1
    .uses_dynamic_stack: false
    .vgpr_count:     0
    .vgpr_spill_count: 0
    .wavefront_size: 32
  - .args:           []
    .group_segment_fixed_size: 0
    .kernarg_segment_align: 4
    .kernarg_segment_size: 0
    .language:       OpenCL C
    .language_version:
      - 2
      - 0
    .max_flat_workgroup_size: 1024
    .name:           _ZN7rocprim17ROCPRIM_400000_NS6detail44device_merge_sort_compile_time_verifier_archINS1_11comp_targetILNS1_3genE3ELNS1_11target_archE908ELNS1_3gpuE7ELNS1_3repE0EEES8_NS1_28merge_sort_block_sort_configILj256ELj4ELNS0_20block_sort_algorithmE0EEENS0_14default_configENS1_37merge_sort_block_sort_config_selectorIfNS0_10empty_typeEEENS1_38merge_sort_block_merge_config_selectorIfSE_EEEEvv
    .private_segment_fixed_size: 0
    .sgpr_count:     0
    .sgpr_spill_count: 0
    .symbol:         _ZN7rocprim17ROCPRIM_400000_NS6detail44device_merge_sort_compile_time_verifier_archINS1_11comp_targetILNS1_3genE3ELNS1_11target_archE908ELNS1_3gpuE7ELNS1_3repE0EEES8_NS1_28merge_sort_block_sort_configILj256ELj4ELNS0_20block_sort_algorithmE0EEENS0_14default_configENS1_37merge_sort_block_sort_config_selectorIfNS0_10empty_typeEEENS1_38merge_sort_block_merge_config_selectorIfSE_EEEEvv.kd
    .uniform_work_group_size: 1
    .uses_dynamic_stack: false
    .vgpr_count:     0
    .vgpr_spill_count: 0
    .wavefront_size: 32
  - .args:           []
    .group_segment_fixed_size: 0
    .kernarg_segment_align: 4
    .kernarg_segment_size: 0
    .language:       OpenCL C
    .language_version:
      - 2
      - 0
    .max_flat_workgroup_size: 1024
    .name:           _ZN7rocprim17ROCPRIM_400000_NS6detail44device_merge_sort_compile_time_verifier_archINS1_11comp_targetILNS1_3genE2ELNS1_11target_archE906ELNS1_3gpuE6ELNS1_3repE0EEES8_NS1_28merge_sort_block_sort_configILj256ELj4ELNS0_20block_sort_algorithmE0EEENS0_14default_configENS1_37merge_sort_block_sort_config_selectorIfNS0_10empty_typeEEENS1_38merge_sort_block_merge_config_selectorIfSE_EEEEvv
    .private_segment_fixed_size: 0
    .sgpr_count:     0
    .sgpr_spill_count: 0
    .symbol:         _ZN7rocprim17ROCPRIM_400000_NS6detail44device_merge_sort_compile_time_verifier_archINS1_11comp_targetILNS1_3genE2ELNS1_11target_archE906ELNS1_3gpuE6ELNS1_3repE0EEES8_NS1_28merge_sort_block_sort_configILj256ELj4ELNS0_20block_sort_algorithmE0EEENS0_14default_configENS1_37merge_sort_block_sort_config_selectorIfNS0_10empty_typeEEENS1_38merge_sort_block_merge_config_selectorIfSE_EEEEvv.kd
    .uniform_work_group_size: 1
    .uses_dynamic_stack: false
    .vgpr_count:     0
    .vgpr_spill_count: 0
    .wavefront_size: 32
  - .args:           []
    .group_segment_fixed_size: 0
    .kernarg_segment_align: 4
    .kernarg_segment_size: 0
    .language:       OpenCL C
    .language_version:
      - 2
      - 0
    .max_flat_workgroup_size: 1024
    .name:           _ZN7rocprim17ROCPRIM_400000_NS6detail44device_merge_sort_compile_time_verifier_archINS1_11comp_targetILNS1_3genE10ELNS1_11target_archE1201ELNS1_3gpuE5ELNS1_3repE0EEES8_NS1_28merge_sort_block_sort_configILj256ELj4ELNS0_20block_sort_algorithmE0EEENS0_14default_configENS1_37merge_sort_block_sort_config_selectorIfNS0_10empty_typeEEENS1_38merge_sort_block_merge_config_selectorIfSE_EEEEvv
    .private_segment_fixed_size: 0
    .sgpr_count:     0
    .sgpr_spill_count: 0
    .symbol:         _ZN7rocprim17ROCPRIM_400000_NS6detail44device_merge_sort_compile_time_verifier_archINS1_11comp_targetILNS1_3genE10ELNS1_11target_archE1201ELNS1_3gpuE5ELNS1_3repE0EEES8_NS1_28merge_sort_block_sort_configILj256ELj4ELNS0_20block_sort_algorithmE0EEENS0_14default_configENS1_37merge_sort_block_sort_config_selectorIfNS0_10empty_typeEEENS1_38merge_sort_block_merge_config_selectorIfSE_EEEEvv.kd
    .uniform_work_group_size: 1
    .uses_dynamic_stack: false
    .vgpr_count:     0
    .vgpr_spill_count: 0
    .wavefront_size: 32
  - .args:           []
    .group_segment_fixed_size: 0
    .kernarg_segment_align: 4
    .kernarg_segment_size: 0
    .language:       OpenCL C
    .language_version:
      - 2
      - 0
    .max_flat_workgroup_size: 1024
    .name:           _ZN7rocprim17ROCPRIM_400000_NS6detail44device_merge_sort_compile_time_verifier_archINS1_11comp_targetILNS1_3genE10ELNS1_11target_archE1200ELNS1_3gpuE4ELNS1_3repE0EEENS3_ILS4_10ELS5_1201ELS6_5ELS7_0EEENS1_28merge_sort_block_sort_configILj256ELj4ELNS0_20block_sort_algorithmE0EEENS0_14default_configENS1_37merge_sort_block_sort_config_selectorIfNS0_10empty_typeEEENS1_38merge_sort_block_merge_config_selectorIfSF_EEEEvv
    .private_segment_fixed_size: 0
    .sgpr_count:     0
    .sgpr_spill_count: 0
    .symbol:         _ZN7rocprim17ROCPRIM_400000_NS6detail44device_merge_sort_compile_time_verifier_archINS1_11comp_targetILNS1_3genE10ELNS1_11target_archE1200ELNS1_3gpuE4ELNS1_3repE0EEENS3_ILS4_10ELS5_1201ELS6_5ELS7_0EEENS1_28merge_sort_block_sort_configILj256ELj4ELNS0_20block_sort_algorithmE0EEENS0_14default_configENS1_37merge_sort_block_sort_config_selectorIfNS0_10empty_typeEEENS1_38merge_sort_block_merge_config_selectorIfSF_EEEEvv.kd
    .uniform_work_group_size: 1
    .uses_dynamic_stack: false
    .vgpr_count:     0
    .vgpr_spill_count: 0
    .wavefront_size: 32
  - .args:           []
    .group_segment_fixed_size: 0
    .kernarg_segment_align: 4
    .kernarg_segment_size: 0
    .language:       OpenCL C
    .language_version:
      - 2
      - 0
    .max_flat_workgroup_size: 1024
    .name:           _ZN7rocprim17ROCPRIM_400000_NS6detail44device_merge_sort_compile_time_verifier_archINS1_11comp_targetILNS1_3genE9ELNS1_11target_archE1100ELNS1_3gpuE3ELNS1_3repE0EEES8_NS1_28merge_sort_block_sort_configILj256ELj4ELNS0_20block_sort_algorithmE0EEENS0_14default_configENS1_37merge_sort_block_sort_config_selectorIfNS0_10empty_typeEEENS1_38merge_sort_block_merge_config_selectorIfSE_EEEEvv
    .private_segment_fixed_size: 0
    .sgpr_count:     0
    .sgpr_spill_count: 0
    .symbol:         _ZN7rocprim17ROCPRIM_400000_NS6detail44device_merge_sort_compile_time_verifier_archINS1_11comp_targetILNS1_3genE9ELNS1_11target_archE1100ELNS1_3gpuE3ELNS1_3repE0EEES8_NS1_28merge_sort_block_sort_configILj256ELj4ELNS0_20block_sort_algorithmE0EEENS0_14default_configENS1_37merge_sort_block_sort_config_selectorIfNS0_10empty_typeEEENS1_38merge_sort_block_merge_config_selectorIfSE_EEEEvv.kd
    .uniform_work_group_size: 1
    .uses_dynamic_stack: false
    .vgpr_count:     0
    .vgpr_spill_count: 0
    .wavefront_size: 32
  - .args:           []
    .group_segment_fixed_size: 0
    .kernarg_segment_align: 4
    .kernarg_segment_size: 0
    .language:       OpenCL C
    .language_version:
      - 2
      - 0
    .max_flat_workgroup_size: 1024
    .name:           _ZN7rocprim17ROCPRIM_400000_NS6detail44device_merge_sort_compile_time_verifier_archINS1_11comp_targetILNS1_3genE8ELNS1_11target_archE1030ELNS1_3gpuE2ELNS1_3repE0EEES8_NS1_28merge_sort_block_sort_configILj256ELj4ELNS0_20block_sort_algorithmE0EEENS0_14default_configENS1_37merge_sort_block_sort_config_selectorIfNS0_10empty_typeEEENS1_38merge_sort_block_merge_config_selectorIfSE_EEEEvv
    .private_segment_fixed_size: 0
    .sgpr_count:     0
    .sgpr_spill_count: 0
    .symbol:         _ZN7rocprim17ROCPRIM_400000_NS6detail44device_merge_sort_compile_time_verifier_archINS1_11comp_targetILNS1_3genE8ELNS1_11target_archE1030ELNS1_3gpuE2ELNS1_3repE0EEES8_NS1_28merge_sort_block_sort_configILj256ELj4ELNS0_20block_sort_algorithmE0EEENS0_14default_configENS1_37merge_sort_block_sort_config_selectorIfNS0_10empty_typeEEENS1_38merge_sort_block_merge_config_selectorIfSE_EEEEvv.kd
    .uniform_work_group_size: 1
    .uses_dynamic_stack: false
    .vgpr_count:     0
    .vgpr_spill_count: 0
    .wavefront_size: 32
  - .args:
      - .offset:         0
        .size:           40
        .value_kind:     by_value
    .group_segment_fixed_size: 0
    .kernarg_segment_align: 8
    .kernarg_segment_size: 40
    .language:       OpenCL C
    .language_version:
      - 2
      - 0
    .max_flat_workgroup_size: 128
    .name:           _ZN7rocprim17ROCPRIM_400000_NS6detail17trampoline_kernelINS0_14default_configENS1_38merge_sort_block_merge_config_selectorIfNS0_10empty_typeEEEZZNS1_27merge_sort_block_merge_implIS3_PfPS5_jNS1_19radix_merge_compareILb1ELb0EfNS0_19identity_decomposerEEEEE10hipError_tT0_T1_T2_jT3_P12ihipStream_tbPNSt15iterator_traitsISE_E10value_typeEPNSK_ISF_E10value_typeEPSG_NS1_7vsmem_tEENKUlT_SE_SF_SG_E_clIS8_S8_S9_S9_EESD_ST_SE_SF_SG_EUlST_E_NS1_11comp_targetILNS1_3genE0ELNS1_11target_archE4294967295ELNS1_3gpuE0ELNS1_3repE0EEENS1_48merge_mergepath_partition_config_static_selectorELNS0_4arch9wavefront6targetE0EEEvSF_
    .private_segment_fixed_size: 0
    .sgpr_count:     8
    .sgpr_spill_count: 0
    .symbol:         _ZN7rocprim17ROCPRIM_400000_NS6detail17trampoline_kernelINS0_14default_configENS1_38merge_sort_block_merge_config_selectorIfNS0_10empty_typeEEEZZNS1_27merge_sort_block_merge_implIS3_PfPS5_jNS1_19radix_merge_compareILb1ELb0EfNS0_19identity_decomposerEEEEE10hipError_tT0_T1_T2_jT3_P12ihipStream_tbPNSt15iterator_traitsISE_E10value_typeEPNSK_ISF_E10value_typeEPSG_NS1_7vsmem_tEENKUlT_SE_SF_SG_E_clIS8_S8_S9_S9_EESD_ST_SE_SF_SG_EUlST_E_NS1_11comp_targetILNS1_3genE0ELNS1_11target_archE4294967295ELNS1_3gpuE0ELNS1_3repE0EEENS1_48merge_mergepath_partition_config_static_selectorELNS0_4arch9wavefront6targetE0EEEvSF_.kd
    .uniform_work_group_size: 1
    .uses_dynamic_stack: false
    .vgpr_count:     18
    .vgpr_spill_count: 0
    .wavefront_size: 32
  - .args:
      - .offset:         0
        .size:           40
        .value_kind:     by_value
    .group_segment_fixed_size: 0
    .kernarg_segment_align: 8
    .kernarg_segment_size: 40
    .language:       OpenCL C
    .language_version:
      - 2
      - 0
    .max_flat_workgroup_size: 128
    .name:           _ZN7rocprim17ROCPRIM_400000_NS6detail17trampoline_kernelINS0_14default_configENS1_38merge_sort_block_merge_config_selectorIfNS0_10empty_typeEEEZZNS1_27merge_sort_block_merge_implIS3_PfPS5_jNS1_19radix_merge_compareILb1ELb0EfNS0_19identity_decomposerEEEEE10hipError_tT0_T1_T2_jT3_P12ihipStream_tbPNSt15iterator_traitsISE_E10value_typeEPNSK_ISF_E10value_typeEPSG_NS1_7vsmem_tEENKUlT_SE_SF_SG_E_clIS8_S8_S9_S9_EESD_ST_SE_SF_SG_EUlST_E_NS1_11comp_targetILNS1_3genE10ELNS1_11target_archE1201ELNS1_3gpuE5ELNS1_3repE0EEENS1_48merge_mergepath_partition_config_static_selectorELNS0_4arch9wavefront6targetE0EEEvSF_
    .private_segment_fixed_size: 0
    .sgpr_count:     0
    .sgpr_spill_count: 0
    .symbol:         _ZN7rocprim17ROCPRIM_400000_NS6detail17trampoline_kernelINS0_14default_configENS1_38merge_sort_block_merge_config_selectorIfNS0_10empty_typeEEEZZNS1_27merge_sort_block_merge_implIS3_PfPS5_jNS1_19radix_merge_compareILb1ELb0EfNS0_19identity_decomposerEEEEE10hipError_tT0_T1_T2_jT3_P12ihipStream_tbPNSt15iterator_traitsISE_E10value_typeEPNSK_ISF_E10value_typeEPSG_NS1_7vsmem_tEENKUlT_SE_SF_SG_E_clIS8_S8_S9_S9_EESD_ST_SE_SF_SG_EUlST_E_NS1_11comp_targetILNS1_3genE10ELNS1_11target_archE1201ELNS1_3gpuE5ELNS1_3repE0EEENS1_48merge_mergepath_partition_config_static_selectorELNS0_4arch9wavefront6targetE0EEEvSF_.kd
    .uniform_work_group_size: 1
    .uses_dynamic_stack: false
    .vgpr_count:     0
    .vgpr_spill_count: 0
    .wavefront_size: 32
  - .args:
      - .offset:         0
        .size:           40
        .value_kind:     by_value
    .group_segment_fixed_size: 0
    .kernarg_segment_align: 8
    .kernarg_segment_size: 40
    .language:       OpenCL C
    .language_version:
      - 2
      - 0
    .max_flat_workgroup_size: 128
    .name:           _ZN7rocprim17ROCPRIM_400000_NS6detail17trampoline_kernelINS0_14default_configENS1_38merge_sort_block_merge_config_selectorIfNS0_10empty_typeEEEZZNS1_27merge_sort_block_merge_implIS3_PfPS5_jNS1_19radix_merge_compareILb1ELb0EfNS0_19identity_decomposerEEEEE10hipError_tT0_T1_T2_jT3_P12ihipStream_tbPNSt15iterator_traitsISE_E10value_typeEPNSK_ISF_E10value_typeEPSG_NS1_7vsmem_tEENKUlT_SE_SF_SG_E_clIS8_S8_S9_S9_EESD_ST_SE_SF_SG_EUlST_E_NS1_11comp_targetILNS1_3genE5ELNS1_11target_archE942ELNS1_3gpuE9ELNS1_3repE0EEENS1_48merge_mergepath_partition_config_static_selectorELNS0_4arch9wavefront6targetE0EEEvSF_
    .private_segment_fixed_size: 0
    .sgpr_count:     0
    .sgpr_spill_count: 0
    .symbol:         _ZN7rocprim17ROCPRIM_400000_NS6detail17trampoline_kernelINS0_14default_configENS1_38merge_sort_block_merge_config_selectorIfNS0_10empty_typeEEEZZNS1_27merge_sort_block_merge_implIS3_PfPS5_jNS1_19radix_merge_compareILb1ELb0EfNS0_19identity_decomposerEEEEE10hipError_tT0_T1_T2_jT3_P12ihipStream_tbPNSt15iterator_traitsISE_E10value_typeEPNSK_ISF_E10value_typeEPSG_NS1_7vsmem_tEENKUlT_SE_SF_SG_E_clIS8_S8_S9_S9_EESD_ST_SE_SF_SG_EUlST_E_NS1_11comp_targetILNS1_3genE5ELNS1_11target_archE942ELNS1_3gpuE9ELNS1_3repE0EEENS1_48merge_mergepath_partition_config_static_selectorELNS0_4arch9wavefront6targetE0EEEvSF_.kd
    .uniform_work_group_size: 1
    .uses_dynamic_stack: false
    .vgpr_count:     0
    .vgpr_spill_count: 0
    .wavefront_size: 32
  - .args:
      - .offset:         0
        .size:           40
        .value_kind:     by_value
    .group_segment_fixed_size: 0
    .kernarg_segment_align: 8
    .kernarg_segment_size: 40
    .language:       OpenCL C
    .language_version:
      - 2
      - 0
    .max_flat_workgroup_size: 128
    .name:           _ZN7rocprim17ROCPRIM_400000_NS6detail17trampoline_kernelINS0_14default_configENS1_38merge_sort_block_merge_config_selectorIfNS0_10empty_typeEEEZZNS1_27merge_sort_block_merge_implIS3_PfPS5_jNS1_19radix_merge_compareILb1ELb0EfNS0_19identity_decomposerEEEEE10hipError_tT0_T1_T2_jT3_P12ihipStream_tbPNSt15iterator_traitsISE_E10value_typeEPNSK_ISF_E10value_typeEPSG_NS1_7vsmem_tEENKUlT_SE_SF_SG_E_clIS8_S8_S9_S9_EESD_ST_SE_SF_SG_EUlST_E_NS1_11comp_targetILNS1_3genE4ELNS1_11target_archE910ELNS1_3gpuE8ELNS1_3repE0EEENS1_48merge_mergepath_partition_config_static_selectorELNS0_4arch9wavefront6targetE0EEEvSF_
    .private_segment_fixed_size: 0
    .sgpr_count:     0
    .sgpr_spill_count: 0
    .symbol:         _ZN7rocprim17ROCPRIM_400000_NS6detail17trampoline_kernelINS0_14default_configENS1_38merge_sort_block_merge_config_selectorIfNS0_10empty_typeEEEZZNS1_27merge_sort_block_merge_implIS3_PfPS5_jNS1_19radix_merge_compareILb1ELb0EfNS0_19identity_decomposerEEEEE10hipError_tT0_T1_T2_jT3_P12ihipStream_tbPNSt15iterator_traitsISE_E10value_typeEPNSK_ISF_E10value_typeEPSG_NS1_7vsmem_tEENKUlT_SE_SF_SG_E_clIS8_S8_S9_S9_EESD_ST_SE_SF_SG_EUlST_E_NS1_11comp_targetILNS1_3genE4ELNS1_11target_archE910ELNS1_3gpuE8ELNS1_3repE0EEENS1_48merge_mergepath_partition_config_static_selectorELNS0_4arch9wavefront6targetE0EEEvSF_.kd
    .uniform_work_group_size: 1
    .uses_dynamic_stack: false
    .vgpr_count:     0
    .vgpr_spill_count: 0
    .wavefront_size: 32
  - .args:
      - .offset:         0
        .size:           40
        .value_kind:     by_value
    .group_segment_fixed_size: 0
    .kernarg_segment_align: 8
    .kernarg_segment_size: 40
    .language:       OpenCL C
    .language_version:
      - 2
      - 0
    .max_flat_workgroup_size: 128
    .name:           _ZN7rocprim17ROCPRIM_400000_NS6detail17trampoline_kernelINS0_14default_configENS1_38merge_sort_block_merge_config_selectorIfNS0_10empty_typeEEEZZNS1_27merge_sort_block_merge_implIS3_PfPS5_jNS1_19radix_merge_compareILb1ELb0EfNS0_19identity_decomposerEEEEE10hipError_tT0_T1_T2_jT3_P12ihipStream_tbPNSt15iterator_traitsISE_E10value_typeEPNSK_ISF_E10value_typeEPSG_NS1_7vsmem_tEENKUlT_SE_SF_SG_E_clIS8_S8_S9_S9_EESD_ST_SE_SF_SG_EUlST_E_NS1_11comp_targetILNS1_3genE3ELNS1_11target_archE908ELNS1_3gpuE7ELNS1_3repE0EEENS1_48merge_mergepath_partition_config_static_selectorELNS0_4arch9wavefront6targetE0EEEvSF_
    .private_segment_fixed_size: 0
    .sgpr_count:     0
    .sgpr_spill_count: 0
    .symbol:         _ZN7rocprim17ROCPRIM_400000_NS6detail17trampoline_kernelINS0_14default_configENS1_38merge_sort_block_merge_config_selectorIfNS0_10empty_typeEEEZZNS1_27merge_sort_block_merge_implIS3_PfPS5_jNS1_19radix_merge_compareILb1ELb0EfNS0_19identity_decomposerEEEEE10hipError_tT0_T1_T2_jT3_P12ihipStream_tbPNSt15iterator_traitsISE_E10value_typeEPNSK_ISF_E10value_typeEPSG_NS1_7vsmem_tEENKUlT_SE_SF_SG_E_clIS8_S8_S9_S9_EESD_ST_SE_SF_SG_EUlST_E_NS1_11comp_targetILNS1_3genE3ELNS1_11target_archE908ELNS1_3gpuE7ELNS1_3repE0EEENS1_48merge_mergepath_partition_config_static_selectorELNS0_4arch9wavefront6targetE0EEEvSF_.kd
    .uniform_work_group_size: 1
    .uses_dynamic_stack: false
    .vgpr_count:     0
    .vgpr_spill_count: 0
    .wavefront_size: 32
  - .args:
      - .offset:         0
        .size:           40
        .value_kind:     by_value
    .group_segment_fixed_size: 0
    .kernarg_segment_align: 8
    .kernarg_segment_size: 40
    .language:       OpenCL C
    .language_version:
      - 2
      - 0
    .max_flat_workgroup_size: 128
    .name:           _ZN7rocprim17ROCPRIM_400000_NS6detail17trampoline_kernelINS0_14default_configENS1_38merge_sort_block_merge_config_selectorIfNS0_10empty_typeEEEZZNS1_27merge_sort_block_merge_implIS3_PfPS5_jNS1_19radix_merge_compareILb1ELb0EfNS0_19identity_decomposerEEEEE10hipError_tT0_T1_T2_jT3_P12ihipStream_tbPNSt15iterator_traitsISE_E10value_typeEPNSK_ISF_E10value_typeEPSG_NS1_7vsmem_tEENKUlT_SE_SF_SG_E_clIS8_S8_S9_S9_EESD_ST_SE_SF_SG_EUlST_E_NS1_11comp_targetILNS1_3genE2ELNS1_11target_archE906ELNS1_3gpuE6ELNS1_3repE0EEENS1_48merge_mergepath_partition_config_static_selectorELNS0_4arch9wavefront6targetE0EEEvSF_
    .private_segment_fixed_size: 0
    .sgpr_count:     0
    .sgpr_spill_count: 0
    .symbol:         _ZN7rocprim17ROCPRIM_400000_NS6detail17trampoline_kernelINS0_14default_configENS1_38merge_sort_block_merge_config_selectorIfNS0_10empty_typeEEEZZNS1_27merge_sort_block_merge_implIS3_PfPS5_jNS1_19radix_merge_compareILb1ELb0EfNS0_19identity_decomposerEEEEE10hipError_tT0_T1_T2_jT3_P12ihipStream_tbPNSt15iterator_traitsISE_E10value_typeEPNSK_ISF_E10value_typeEPSG_NS1_7vsmem_tEENKUlT_SE_SF_SG_E_clIS8_S8_S9_S9_EESD_ST_SE_SF_SG_EUlST_E_NS1_11comp_targetILNS1_3genE2ELNS1_11target_archE906ELNS1_3gpuE6ELNS1_3repE0EEENS1_48merge_mergepath_partition_config_static_selectorELNS0_4arch9wavefront6targetE0EEEvSF_.kd
    .uniform_work_group_size: 1
    .uses_dynamic_stack: false
    .vgpr_count:     0
    .vgpr_spill_count: 0
    .wavefront_size: 32
  - .args:
      - .offset:         0
        .size:           40
        .value_kind:     by_value
    .group_segment_fixed_size: 0
    .kernarg_segment_align: 8
    .kernarg_segment_size: 40
    .language:       OpenCL C
    .language_version:
      - 2
      - 0
    .max_flat_workgroup_size: 128
    .name:           _ZN7rocprim17ROCPRIM_400000_NS6detail17trampoline_kernelINS0_14default_configENS1_38merge_sort_block_merge_config_selectorIfNS0_10empty_typeEEEZZNS1_27merge_sort_block_merge_implIS3_PfPS5_jNS1_19radix_merge_compareILb1ELb0EfNS0_19identity_decomposerEEEEE10hipError_tT0_T1_T2_jT3_P12ihipStream_tbPNSt15iterator_traitsISE_E10value_typeEPNSK_ISF_E10value_typeEPSG_NS1_7vsmem_tEENKUlT_SE_SF_SG_E_clIS8_S8_S9_S9_EESD_ST_SE_SF_SG_EUlST_E_NS1_11comp_targetILNS1_3genE9ELNS1_11target_archE1100ELNS1_3gpuE3ELNS1_3repE0EEENS1_48merge_mergepath_partition_config_static_selectorELNS0_4arch9wavefront6targetE0EEEvSF_
    .private_segment_fixed_size: 0
    .sgpr_count:     0
    .sgpr_spill_count: 0
    .symbol:         _ZN7rocprim17ROCPRIM_400000_NS6detail17trampoline_kernelINS0_14default_configENS1_38merge_sort_block_merge_config_selectorIfNS0_10empty_typeEEEZZNS1_27merge_sort_block_merge_implIS3_PfPS5_jNS1_19radix_merge_compareILb1ELb0EfNS0_19identity_decomposerEEEEE10hipError_tT0_T1_T2_jT3_P12ihipStream_tbPNSt15iterator_traitsISE_E10value_typeEPNSK_ISF_E10value_typeEPSG_NS1_7vsmem_tEENKUlT_SE_SF_SG_E_clIS8_S8_S9_S9_EESD_ST_SE_SF_SG_EUlST_E_NS1_11comp_targetILNS1_3genE9ELNS1_11target_archE1100ELNS1_3gpuE3ELNS1_3repE0EEENS1_48merge_mergepath_partition_config_static_selectorELNS0_4arch9wavefront6targetE0EEEvSF_.kd
    .uniform_work_group_size: 1
    .uses_dynamic_stack: false
    .vgpr_count:     0
    .vgpr_spill_count: 0
    .wavefront_size: 32
  - .args:
      - .offset:         0
        .size:           40
        .value_kind:     by_value
    .group_segment_fixed_size: 0
    .kernarg_segment_align: 8
    .kernarg_segment_size: 40
    .language:       OpenCL C
    .language_version:
      - 2
      - 0
    .max_flat_workgroup_size: 128
    .name:           _ZN7rocprim17ROCPRIM_400000_NS6detail17trampoline_kernelINS0_14default_configENS1_38merge_sort_block_merge_config_selectorIfNS0_10empty_typeEEEZZNS1_27merge_sort_block_merge_implIS3_PfPS5_jNS1_19radix_merge_compareILb1ELb0EfNS0_19identity_decomposerEEEEE10hipError_tT0_T1_T2_jT3_P12ihipStream_tbPNSt15iterator_traitsISE_E10value_typeEPNSK_ISF_E10value_typeEPSG_NS1_7vsmem_tEENKUlT_SE_SF_SG_E_clIS8_S8_S9_S9_EESD_ST_SE_SF_SG_EUlST_E_NS1_11comp_targetILNS1_3genE8ELNS1_11target_archE1030ELNS1_3gpuE2ELNS1_3repE0EEENS1_48merge_mergepath_partition_config_static_selectorELNS0_4arch9wavefront6targetE0EEEvSF_
    .private_segment_fixed_size: 0
    .sgpr_count:     0
    .sgpr_spill_count: 0
    .symbol:         _ZN7rocprim17ROCPRIM_400000_NS6detail17trampoline_kernelINS0_14default_configENS1_38merge_sort_block_merge_config_selectorIfNS0_10empty_typeEEEZZNS1_27merge_sort_block_merge_implIS3_PfPS5_jNS1_19radix_merge_compareILb1ELb0EfNS0_19identity_decomposerEEEEE10hipError_tT0_T1_T2_jT3_P12ihipStream_tbPNSt15iterator_traitsISE_E10value_typeEPNSK_ISF_E10value_typeEPSG_NS1_7vsmem_tEENKUlT_SE_SF_SG_E_clIS8_S8_S9_S9_EESD_ST_SE_SF_SG_EUlST_E_NS1_11comp_targetILNS1_3genE8ELNS1_11target_archE1030ELNS1_3gpuE2ELNS1_3repE0EEENS1_48merge_mergepath_partition_config_static_selectorELNS0_4arch9wavefront6targetE0EEEvSF_.kd
    .uniform_work_group_size: 1
    .uses_dynamic_stack: false
    .vgpr_count:     0
    .vgpr_spill_count: 0
    .wavefront_size: 32
  - .args:
      - .offset:         0
        .size:           64
        .value_kind:     by_value
      - .offset:         64
        .size:           4
        .value_kind:     hidden_block_count_x
      - .offset:         68
        .size:           4
        .value_kind:     hidden_block_count_y
      - .offset:         72
        .size:           4
        .value_kind:     hidden_block_count_z
      - .offset:         76
        .size:           2
        .value_kind:     hidden_group_size_x
      - .offset:         78
        .size:           2
        .value_kind:     hidden_group_size_y
      - .offset:         80
        .size:           2
        .value_kind:     hidden_group_size_z
      - .offset:         82
        .size:           2
        .value_kind:     hidden_remainder_x
      - .offset:         84
        .size:           2
        .value_kind:     hidden_remainder_y
      - .offset:         86
        .size:           2
        .value_kind:     hidden_remainder_z
      - .offset:         104
        .size:           8
        .value_kind:     hidden_global_offset_x
      - .offset:         112
        .size:           8
        .value_kind:     hidden_global_offset_y
      - .offset:         120
        .size:           8
        .value_kind:     hidden_global_offset_z
      - .offset:         128
        .size:           2
        .value_kind:     hidden_grid_dims
    .group_segment_fixed_size: 4224
    .kernarg_segment_align: 8
    .kernarg_segment_size: 320
    .language:       OpenCL C
    .language_version:
      - 2
      - 0
    .max_flat_workgroup_size: 128
    .name:           _ZN7rocprim17ROCPRIM_400000_NS6detail17trampoline_kernelINS0_14default_configENS1_38merge_sort_block_merge_config_selectorIfNS0_10empty_typeEEEZZNS1_27merge_sort_block_merge_implIS3_PfPS5_jNS1_19radix_merge_compareILb1ELb0EfNS0_19identity_decomposerEEEEE10hipError_tT0_T1_T2_jT3_P12ihipStream_tbPNSt15iterator_traitsISE_E10value_typeEPNSK_ISF_E10value_typeEPSG_NS1_7vsmem_tEENKUlT_SE_SF_SG_E_clIS8_S8_S9_S9_EESD_ST_SE_SF_SG_EUlST_E0_NS1_11comp_targetILNS1_3genE0ELNS1_11target_archE4294967295ELNS1_3gpuE0ELNS1_3repE0EEENS1_38merge_mergepath_config_static_selectorELNS0_4arch9wavefront6targetE0EEEvSF_
    .private_segment_fixed_size: 0
    .sgpr_count:     24
    .sgpr_spill_count: 0
    .symbol:         _ZN7rocprim17ROCPRIM_400000_NS6detail17trampoline_kernelINS0_14default_configENS1_38merge_sort_block_merge_config_selectorIfNS0_10empty_typeEEEZZNS1_27merge_sort_block_merge_implIS3_PfPS5_jNS1_19radix_merge_compareILb1ELb0EfNS0_19identity_decomposerEEEEE10hipError_tT0_T1_T2_jT3_P12ihipStream_tbPNSt15iterator_traitsISE_E10value_typeEPNSK_ISF_E10value_typeEPSG_NS1_7vsmem_tEENKUlT_SE_SF_SG_E_clIS8_S8_S9_S9_EESD_ST_SE_SF_SG_EUlST_E0_NS1_11comp_targetILNS1_3genE0ELNS1_11target_archE4294967295ELNS1_3gpuE0ELNS1_3repE0EEENS1_38merge_mergepath_config_static_selectorELNS0_4arch9wavefront6targetE0EEEvSF_.kd
    .uniform_work_group_size: 1
    .uses_dynamic_stack: false
    .vgpr_count:     32
    .vgpr_spill_count: 0
    .wavefront_size: 32
  - .args:
      - .offset:         0
        .size:           64
        .value_kind:     by_value
    .group_segment_fixed_size: 0
    .kernarg_segment_align: 8
    .kernarg_segment_size: 64
    .language:       OpenCL C
    .language_version:
      - 2
      - 0
    .max_flat_workgroup_size: 256
    .name:           _ZN7rocprim17ROCPRIM_400000_NS6detail17trampoline_kernelINS0_14default_configENS1_38merge_sort_block_merge_config_selectorIfNS0_10empty_typeEEEZZNS1_27merge_sort_block_merge_implIS3_PfPS5_jNS1_19radix_merge_compareILb1ELb0EfNS0_19identity_decomposerEEEEE10hipError_tT0_T1_T2_jT3_P12ihipStream_tbPNSt15iterator_traitsISE_E10value_typeEPNSK_ISF_E10value_typeEPSG_NS1_7vsmem_tEENKUlT_SE_SF_SG_E_clIS8_S8_S9_S9_EESD_ST_SE_SF_SG_EUlST_E0_NS1_11comp_targetILNS1_3genE10ELNS1_11target_archE1201ELNS1_3gpuE5ELNS1_3repE0EEENS1_38merge_mergepath_config_static_selectorELNS0_4arch9wavefront6targetE0EEEvSF_
    .private_segment_fixed_size: 0
    .sgpr_count:     0
    .sgpr_spill_count: 0
    .symbol:         _ZN7rocprim17ROCPRIM_400000_NS6detail17trampoline_kernelINS0_14default_configENS1_38merge_sort_block_merge_config_selectorIfNS0_10empty_typeEEEZZNS1_27merge_sort_block_merge_implIS3_PfPS5_jNS1_19radix_merge_compareILb1ELb0EfNS0_19identity_decomposerEEEEE10hipError_tT0_T1_T2_jT3_P12ihipStream_tbPNSt15iterator_traitsISE_E10value_typeEPNSK_ISF_E10value_typeEPSG_NS1_7vsmem_tEENKUlT_SE_SF_SG_E_clIS8_S8_S9_S9_EESD_ST_SE_SF_SG_EUlST_E0_NS1_11comp_targetILNS1_3genE10ELNS1_11target_archE1201ELNS1_3gpuE5ELNS1_3repE0EEENS1_38merge_mergepath_config_static_selectorELNS0_4arch9wavefront6targetE0EEEvSF_.kd
    .uniform_work_group_size: 1
    .uses_dynamic_stack: false
    .vgpr_count:     0
    .vgpr_spill_count: 0
    .wavefront_size: 32
  - .args:
      - .offset:         0
        .size:           64
        .value_kind:     by_value
    .group_segment_fixed_size: 0
    .kernarg_segment_align: 8
    .kernarg_segment_size: 64
    .language:       OpenCL C
    .language_version:
      - 2
      - 0
    .max_flat_workgroup_size: 128
    .name:           _ZN7rocprim17ROCPRIM_400000_NS6detail17trampoline_kernelINS0_14default_configENS1_38merge_sort_block_merge_config_selectorIfNS0_10empty_typeEEEZZNS1_27merge_sort_block_merge_implIS3_PfPS5_jNS1_19radix_merge_compareILb1ELb0EfNS0_19identity_decomposerEEEEE10hipError_tT0_T1_T2_jT3_P12ihipStream_tbPNSt15iterator_traitsISE_E10value_typeEPNSK_ISF_E10value_typeEPSG_NS1_7vsmem_tEENKUlT_SE_SF_SG_E_clIS8_S8_S9_S9_EESD_ST_SE_SF_SG_EUlST_E0_NS1_11comp_targetILNS1_3genE5ELNS1_11target_archE942ELNS1_3gpuE9ELNS1_3repE0EEENS1_38merge_mergepath_config_static_selectorELNS0_4arch9wavefront6targetE0EEEvSF_
    .private_segment_fixed_size: 0
    .sgpr_count:     0
    .sgpr_spill_count: 0
    .symbol:         _ZN7rocprim17ROCPRIM_400000_NS6detail17trampoline_kernelINS0_14default_configENS1_38merge_sort_block_merge_config_selectorIfNS0_10empty_typeEEEZZNS1_27merge_sort_block_merge_implIS3_PfPS5_jNS1_19radix_merge_compareILb1ELb0EfNS0_19identity_decomposerEEEEE10hipError_tT0_T1_T2_jT3_P12ihipStream_tbPNSt15iterator_traitsISE_E10value_typeEPNSK_ISF_E10value_typeEPSG_NS1_7vsmem_tEENKUlT_SE_SF_SG_E_clIS8_S8_S9_S9_EESD_ST_SE_SF_SG_EUlST_E0_NS1_11comp_targetILNS1_3genE5ELNS1_11target_archE942ELNS1_3gpuE9ELNS1_3repE0EEENS1_38merge_mergepath_config_static_selectorELNS0_4arch9wavefront6targetE0EEEvSF_.kd
    .uniform_work_group_size: 1
    .uses_dynamic_stack: false
    .vgpr_count:     0
    .vgpr_spill_count: 0
    .wavefront_size: 32
  - .args:
      - .offset:         0
        .size:           64
        .value_kind:     by_value
    .group_segment_fixed_size: 0
    .kernarg_segment_align: 8
    .kernarg_segment_size: 64
    .language:       OpenCL C
    .language_version:
      - 2
      - 0
    .max_flat_workgroup_size: 128
    .name:           _ZN7rocprim17ROCPRIM_400000_NS6detail17trampoline_kernelINS0_14default_configENS1_38merge_sort_block_merge_config_selectorIfNS0_10empty_typeEEEZZNS1_27merge_sort_block_merge_implIS3_PfPS5_jNS1_19radix_merge_compareILb1ELb0EfNS0_19identity_decomposerEEEEE10hipError_tT0_T1_T2_jT3_P12ihipStream_tbPNSt15iterator_traitsISE_E10value_typeEPNSK_ISF_E10value_typeEPSG_NS1_7vsmem_tEENKUlT_SE_SF_SG_E_clIS8_S8_S9_S9_EESD_ST_SE_SF_SG_EUlST_E0_NS1_11comp_targetILNS1_3genE4ELNS1_11target_archE910ELNS1_3gpuE8ELNS1_3repE0EEENS1_38merge_mergepath_config_static_selectorELNS0_4arch9wavefront6targetE0EEEvSF_
    .private_segment_fixed_size: 0
    .sgpr_count:     0
    .sgpr_spill_count: 0
    .symbol:         _ZN7rocprim17ROCPRIM_400000_NS6detail17trampoline_kernelINS0_14default_configENS1_38merge_sort_block_merge_config_selectorIfNS0_10empty_typeEEEZZNS1_27merge_sort_block_merge_implIS3_PfPS5_jNS1_19radix_merge_compareILb1ELb0EfNS0_19identity_decomposerEEEEE10hipError_tT0_T1_T2_jT3_P12ihipStream_tbPNSt15iterator_traitsISE_E10value_typeEPNSK_ISF_E10value_typeEPSG_NS1_7vsmem_tEENKUlT_SE_SF_SG_E_clIS8_S8_S9_S9_EESD_ST_SE_SF_SG_EUlST_E0_NS1_11comp_targetILNS1_3genE4ELNS1_11target_archE910ELNS1_3gpuE8ELNS1_3repE0EEENS1_38merge_mergepath_config_static_selectorELNS0_4arch9wavefront6targetE0EEEvSF_.kd
    .uniform_work_group_size: 1
    .uses_dynamic_stack: false
    .vgpr_count:     0
    .vgpr_spill_count: 0
    .wavefront_size: 32
  - .args:
      - .offset:         0
        .size:           64
        .value_kind:     by_value
    .group_segment_fixed_size: 0
    .kernarg_segment_align: 8
    .kernarg_segment_size: 64
    .language:       OpenCL C
    .language_version:
      - 2
      - 0
    .max_flat_workgroup_size: 128
    .name:           _ZN7rocprim17ROCPRIM_400000_NS6detail17trampoline_kernelINS0_14default_configENS1_38merge_sort_block_merge_config_selectorIfNS0_10empty_typeEEEZZNS1_27merge_sort_block_merge_implIS3_PfPS5_jNS1_19radix_merge_compareILb1ELb0EfNS0_19identity_decomposerEEEEE10hipError_tT0_T1_T2_jT3_P12ihipStream_tbPNSt15iterator_traitsISE_E10value_typeEPNSK_ISF_E10value_typeEPSG_NS1_7vsmem_tEENKUlT_SE_SF_SG_E_clIS8_S8_S9_S9_EESD_ST_SE_SF_SG_EUlST_E0_NS1_11comp_targetILNS1_3genE3ELNS1_11target_archE908ELNS1_3gpuE7ELNS1_3repE0EEENS1_38merge_mergepath_config_static_selectorELNS0_4arch9wavefront6targetE0EEEvSF_
    .private_segment_fixed_size: 0
    .sgpr_count:     0
    .sgpr_spill_count: 0
    .symbol:         _ZN7rocprim17ROCPRIM_400000_NS6detail17trampoline_kernelINS0_14default_configENS1_38merge_sort_block_merge_config_selectorIfNS0_10empty_typeEEEZZNS1_27merge_sort_block_merge_implIS3_PfPS5_jNS1_19radix_merge_compareILb1ELb0EfNS0_19identity_decomposerEEEEE10hipError_tT0_T1_T2_jT3_P12ihipStream_tbPNSt15iterator_traitsISE_E10value_typeEPNSK_ISF_E10value_typeEPSG_NS1_7vsmem_tEENKUlT_SE_SF_SG_E_clIS8_S8_S9_S9_EESD_ST_SE_SF_SG_EUlST_E0_NS1_11comp_targetILNS1_3genE3ELNS1_11target_archE908ELNS1_3gpuE7ELNS1_3repE0EEENS1_38merge_mergepath_config_static_selectorELNS0_4arch9wavefront6targetE0EEEvSF_.kd
    .uniform_work_group_size: 1
    .uses_dynamic_stack: false
    .vgpr_count:     0
    .vgpr_spill_count: 0
    .wavefront_size: 32
  - .args:
      - .offset:         0
        .size:           64
        .value_kind:     by_value
    .group_segment_fixed_size: 0
    .kernarg_segment_align: 8
    .kernarg_segment_size: 64
    .language:       OpenCL C
    .language_version:
      - 2
      - 0
    .max_flat_workgroup_size: 128
    .name:           _ZN7rocprim17ROCPRIM_400000_NS6detail17trampoline_kernelINS0_14default_configENS1_38merge_sort_block_merge_config_selectorIfNS0_10empty_typeEEEZZNS1_27merge_sort_block_merge_implIS3_PfPS5_jNS1_19radix_merge_compareILb1ELb0EfNS0_19identity_decomposerEEEEE10hipError_tT0_T1_T2_jT3_P12ihipStream_tbPNSt15iterator_traitsISE_E10value_typeEPNSK_ISF_E10value_typeEPSG_NS1_7vsmem_tEENKUlT_SE_SF_SG_E_clIS8_S8_S9_S9_EESD_ST_SE_SF_SG_EUlST_E0_NS1_11comp_targetILNS1_3genE2ELNS1_11target_archE906ELNS1_3gpuE6ELNS1_3repE0EEENS1_38merge_mergepath_config_static_selectorELNS0_4arch9wavefront6targetE0EEEvSF_
    .private_segment_fixed_size: 0
    .sgpr_count:     0
    .sgpr_spill_count: 0
    .symbol:         _ZN7rocprim17ROCPRIM_400000_NS6detail17trampoline_kernelINS0_14default_configENS1_38merge_sort_block_merge_config_selectorIfNS0_10empty_typeEEEZZNS1_27merge_sort_block_merge_implIS3_PfPS5_jNS1_19radix_merge_compareILb1ELb0EfNS0_19identity_decomposerEEEEE10hipError_tT0_T1_T2_jT3_P12ihipStream_tbPNSt15iterator_traitsISE_E10value_typeEPNSK_ISF_E10value_typeEPSG_NS1_7vsmem_tEENKUlT_SE_SF_SG_E_clIS8_S8_S9_S9_EESD_ST_SE_SF_SG_EUlST_E0_NS1_11comp_targetILNS1_3genE2ELNS1_11target_archE906ELNS1_3gpuE6ELNS1_3repE0EEENS1_38merge_mergepath_config_static_selectorELNS0_4arch9wavefront6targetE0EEEvSF_.kd
    .uniform_work_group_size: 1
    .uses_dynamic_stack: false
    .vgpr_count:     0
    .vgpr_spill_count: 0
    .wavefront_size: 32
  - .args:
      - .offset:         0
        .size:           64
        .value_kind:     by_value
    .group_segment_fixed_size: 0
    .kernarg_segment_align: 8
    .kernarg_segment_size: 64
    .language:       OpenCL C
    .language_version:
      - 2
      - 0
    .max_flat_workgroup_size: 256
    .name:           _ZN7rocprim17ROCPRIM_400000_NS6detail17trampoline_kernelINS0_14default_configENS1_38merge_sort_block_merge_config_selectorIfNS0_10empty_typeEEEZZNS1_27merge_sort_block_merge_implIS3_PfPS5_jNS1_19radix_merge_compareILb1ELb0EfNS0_19identity_decomposerEEEEE10hipError_tT0_T1_T2_jT3_P12ihipStream_tbPNSt15iterator_traitsISE_E10value_typeEPNSK_ISF_E10value_typeEPSG_NS1_7vsmem_tEENKUlT_SE_SF_SG_E_clIS8_S8_S9_S9_EESD_ST_SE_SF_SG_EUlST_E0_NS1_11comp_targetILNS1_3genE9ELNS1_11target_archE1100ELNS1_3gpuE3ELNS1_3repE0EEENS1_38merge_mergepath_config_static_selectorELNS0_4arch9wavefront6targetE0EEEvSF_
    .private_segment_fixed_size: 0
    .sgpr_count:     0
    .sgpr_spill_count: 0
    .symbol:         _ZN7rocprim17ROCPRIM_400000_NS6detail17trampoline_kernelINS0_14default_configENS1_38merge_sort_block_merge_config_selectorIfNS0_10empty_typeEEEZZNS1_27merge_sort_block_merge_implIS3_PfPS5_jNS1_19radix_merge_compareILb1ELb0EfNS0_19identity_decomposerEEEEE10hipError_tT0_T1_T2_jT3_P12ihipStream_tbPNSt15iterator_traitsISE_E10value_typeEPNSK_ISF_E10value_typeEPSG_NS1_7vsmem_tEENKUlT_SE_SF_SG_E_clIS8_S8_S9_S9_EESD_ST_SE_SF_SG_EUlST_E0_NS1_11comp_targetILNS1_3genE9ELNS1_11target_archE1100ELNS1_3gpuE3ELNS1_3repE0EEENS1_38merge_mergepath_config_static_selectorELNS0_4arch9wavefront6targetE0EEEvSF_.kd
    .uniform_work_group_size: 1
    .uses_dynamic_stack: false
    .vgpr_count:     0
    .vgpr_spill_count: 0
    .wavefront_size: 32
  - .args:
      - .offset:         0
        .size:           64
        .value_kind:     by_value
    .group_segment_fixed_size: 0
    .kernarg_segment_align: 8
    .kernarg_segment_size: 64
    .language:       OpenCL C
    .language_version:
      - 2
      - 0
    .max_flat_workgroup_size: 512
    .name:           _ZN7rocprim17ROCPRIM_400000_NS6detail17trampoline_kernelINS0_14default_configENS1_38merge_sort_block_merge_config_selectorIfNS0_10empty_typeEEEZZNS1_27merge_sort_block_merge_implIS3_PfPS5_jNS1_19radix_merge_compareILb1ELb0EfNS0_19identity_decomposerEEEEE10hipError_tT0_T1_T2_jT3_P12ihipStream_tbPNSt15iterator_traitsISE_E10value_typeEPNSK_ISF_E10value_typeEPSG_NS1_7vsmem_tEENKUlT_SE_SF_SG_E_clIS8_S8_S9_S9_EESD_ST_SE_SF_SG_EUlST_E0_NS1_11comp_targetILNS1_3genE8ELNS1_11target_archE1030ELNS1_3gpuE2ELNS1_3repE0EEENS1_38merge_mergepath_config_static_selectorELNS0_4arch9wavefront6targetE0EEEvSF_
    .private_segment_fixed_size: 0
    .sgpr_count:     0
    .sgpr_spill_count: 0
    .symbol:         _ZN7rocprim17ROCPRIM_400000_NS6detail17trampoline_kernelINS0_14default_configENS1_38merge_sort_block_merge_config_selectorIfNS0_10empty_typeEEEZZNS1_27merge_sort_block_merge_implIS3_PfPS5_jNS1_19radix_merge_compareILb1ELb0EfNS0_19identity_decomposerEEEEE10hipError_tT0_T1_T2_jT3_P12ihipStream_tbPNSt15iterator_traitsISE_E10value_typeEPNSK_ISF_E10value_typeEPSG_NS1_7vsmem_tEENKUlT_SE_SF_SG_E_clIS8_S8_S9_S9_EESD_ST_SE_SF_SG_EUlST_E0_NS1_11comp_targetILNS1_3genE8ELNS1_11target_archE1030ELNS1_3gpuE2ELNS1_3repE0EEENS1_38merge_mergepath_config_static_selectorELNS0_4arch9wavefront6targetE0EEEvSF_.kd
    .uniform_work_group_size: 1
    .uses_dynamic_stack: false
    .vgpr_count:     0
    .vgpr_spill_count: 0
    .wavefront_size: 32
  - .args:
      - .offset:         0
        .size:           48
        .value_kind:     by_value
    .group_segment_fixed_size: 0
    .kernarg_segment_align: 8
    .kernarg_segment_size: 48
    .language:       OpenCL C
    .language_version:
      - 2
      - 0
    .max_flat_workgroup_size: 256
    .name:           _ZN7rocprim17ROCPRIM_400000_NS6detail17trampoline_kernelINS0_14default_configENS1_38merge_sort_block_merge_config_selectorIfNS0_10empty_typeEEEZZNS1_27merge_sort_block_merge_implIS3_PfPS5_jNS1_19radix_merge_compareILb1ELb0EfNS0_19identity_decomposerEEEEE10hipError_tT0_T1_T2_jT3_P12ihipStream_tbPNSt15iterator_traitsISE_E10value_typeEPNSK_ISF_E10value_typeEPSG_NS1_7vsmem_tEENKUlT_SE_SF_SG_E_clIS8_S8_S9_S9_EESD_ST_SE_SF_SG_EUlST_E1_NS1_11comp_targetILNS1_3genE0ELNS1_11target_archE4294967295ELNS1_3gpuE0ELNS1_3repE0EEENS1_36merge_oddeven_config_static_selectorELNS0_4arch9wavefront6targetE0EEEvSF_
    .private_segment_fixed_size: 0
    .sgpr_count:     18
    .sgpr_spill_count: 0
    .symbol:         _ZN7rocprim17ROCPRIM_400000_NS6detail17trampoline_kernelINS0_14default_configENS1_38merge_sort_block_merge_config_selectorIfNS0_10empty_typeEEEZZNS1_27merge_sort_block_merge_implIS3_PfPS5_jNS1_19radix_merge_compareILb1ELb0EfNS0_19identity_decomposerEEEEE10hipError_tT0_T1_T2_jT3_P12ihipStream_tbPNSt15iterator_traitsISE_E10value_typeEPNSK_ISF_E10value_typeEPSG_NS1_7vsmem_tEENKUlT_SE_SF_SG_E_clIS8_S8_S9_S9_EESD_ST_SE_SF_SG_EUlST_E1_NS1_11comp_targetILNS1_3genE0ELNS1_11target_archE4294967295ELNS1_3gpuE0ELNS1_3repE0EEENS1_36merge_oddeven_config_static_selectorELNS0_4arch9wavefront6targetE0EEEvSF_.kd
    .uniform_work_group_size: 1
    .uses_dynamic_stack: false
    .vgpr_count:     8
    .vgpr_spill_count: 0
    .wavefront_size: 32
  - .args:
      - .offset:         0
        .size:           48
        .value_kind:     by_value
    .group_segment_fixed_size: 0
    .kernarg_segment_align: 8
    .kernarg_segment_size: 48
    .language:       OpenCL C
    .language_version:
      - 2
      - 0
    .max_flat_workgroup_size: 256
    .name:           _ZN7rocprim17ROCPRIM_400000_NS6detail17trampoline_kernelINS0_14default_configENS1_38merge_sort_block_merge_config_selectorIfNS0_10empty_typeEEEZZNS1_27merge_sort_block_merge_implIS3_PfPS5_jNS1_19radix_merge_compareILb1ELb0EfNS0_19identity_decomposerEEEEE10hipError_tT0_T1_T2_jT3_P12ihipStream_tbPNSt15iterator_traitsISE_E10value_typeEPNSK_ISF_E10value_typeEPSG_NS1_7vsmem_tEENKUlT_SE_SF_SG_E_clIS8_S8_S9_S9_EESD_ST_SE_SF_SG_EUlST_E1_NS1_11comp_targetILNS1_3genE10ELNS1_11target_archE1201ELNS1_3gpuE5ELNS1_3repE0EEENS1_36merge_oddeven_config_static_selectorELNS0_4arch9wavefront6targetE0EEEvSF_
    .private_segment_fixed_size: 0
    .sgpr_count:     0
    .sgpr_spill_count: 0
    .symbol:         _ZN7rocprim17ROCPRIM_400000_NS6detail17trampoline_kernelINS0_14default_configENS1_38merge_sort_block_merge_config_selectorIfNS0_10empty_typeEEEZZNS1_27merge_sort_block_merge_implIS3_PfPS5_jNS1_19radix_merge_compareILb1ELb0EfNS0_19identity_decomposerEEEEE10hipError_tT0_T1_T2_jT3_P12ihipStream_tbPNSt15iterator_traitsISE_E10value_typeEPNSK_ISF_E10value_typeEPSG_NS1_7vsmem_tEENKUlT_SE_SF_SG_E_clIS8_S8_S9_S9_EESD_ST_SE_SF_SG_EUlST_E1_NS1_11comp_targetILNS1_3genE10ELNS1_11target_archE1201ELNS1_3gpuE5ELNS1_3repE0EEENS1_36merge_oddeven_config_static_selectorELNS0_4arch9wavefront6targetE0EEEvSF_.kd
    .uniform_work_group_size: 1
    .uses_dynamic_stack: false
    .vgpr_count:     0
    .vgpr_spill_count: 0
    .wavefront_size: 32
  - .args:
      - .offset:         0
        .size:           48
        .value_kind:     by_value
    .group_segment_fixed_size: 0
    .kernarg_segment_align: 8
    .kernarg_segment_size: 48
    .language:       OpenCL C
    .language_version:
      - 2
      - 0
    .max_flat_workgroup_size: 256
    .name:           _ZN7rocprim17ROCPRIM_400000_NS6detail17trampoline_kernelINS0_14default_configENS1_38merge_sort_block_merge_config_selectorIfNS0_10empty_typeEEEZZNS1_27merge_sort_block_merge_implIS3_PfPS5_jNS1_19radix_merge_compareILb1ELb0EfNS0_19identity_decomposerEEEEE10hipError_tT0_T1_T2_jT3_P12ihipStream_tbPNSt15iterator_traitsISE_E10value_typeEPNSK_ISF_E10value_typeEPSG_NS1_7vsmem_tEENKUlT_SE_SF_SG_E_clIS8_S8_S9_S9_EESD_ST_SE_SF_SG_EUlST_E1_NS1_11comp_targetILNS1_3genE5ELNS1_11target_archE942ELNS1_3gpuE9ELNS1_3repE0EEENS1_36merge_oddeven_config_static_selectorELNS0_4arch9wavefront6targetE0EEEvSF_
    .private_segment_fixed_size: 0
    .sgpr_count:     0
    .sgpr_spill_count: 0
    .symbol:         _ZN7rocprim17ROCPRIM_400000_NS6detail17trampoline_kernelINS0_14default_configENS1_38merge_sort_block_merge_config_selectorIfNS0_10empty_typeEEEZZNS1_27merge_sort_block_merge_implIS3_PfPS5_jNS1_19radix_merge_compareILb1ELb0EfNS0_19identity_decomposerEEEEE10hipError_tT0_T1_T2_jT3_P12ihipStream_tbPNSt15iterator_traitsISE_E10value_typeEPNSK_ISF_E10value_typeEPSG_NS1_7vsmem_tEENKUlT_SE_SF_SG_E_clIS8_S8_S9_S9_EESD_ST_SE_SF_SG_EUlST_E1_NS1_11comp_targetILNS1_3genE5ELNS1_11target_archE942ELNS1_3gpuE9ELNS1_3repE0EEENS1_36merge_oddeven_config_static_selectorELNS0_4arch9wavefront6targetE0EEEvSF_.kd
    .uniform_work_group_size: 1
    .uses_dynamic_stack: false
    .vgpr_count:     0
    .vgpr_spill_count: 0
    .wavefront_size: 32
  - .args:
      - .offset:         0
        .size:           48
        .value_kind:     by_value
    .group_segment_fixed_size: 0
    .kernarg_segment_align: 8
    .kernarg_segment_size: 48
    .language:       OpenCL C
    .language_version:
      - 2
      - 0
    .max_flat_workgroup_size: 256
    .name:           _ZN7rocprim17ROCPRIM_400000_NS6detail17trampoline_kernelINS0_14default_configENS1_38merge_sort_block_merge_config_selectorIfNS0_10empty_typeEEEZZNS1_27merge_sort_block_merge_implIS3_PfPS5_jNS1_19radix_merge_compareILb1ELb0EfNS0_19identity_decomposerEEEEE10hipError_tT0_T1_T2_jT3_P12ihipStream_tbPNSt15iterator_traitsISE_E10value_typeEPNSK_ISF_E10value_typeEPSG_NS1_7vsmem_tEENKUlT_SE_SF_SG_E_clIS8_S8_S9_S9_EESD_ST_SE_SF_SG_EUlST_E1_NS1_11comp_targetILNS1_3genE4ELNS1_11target_archE910ELNS1_3gpuE8ELNS1_3repE0EEENS1_36merge_oddeven_config_static_selectorELNS0_4arch9wavefront6targetE0EEEvSF_
    .private_segment_fixed_size: 0
    .sgpr_count:     0
    .sgpr_spill_count: 0
    .symbol:         _ZN7rocprim17ROCPRIM_400000_NS6detail17trampoline_kernelINS0_14default_configENS1_38merge_sort_block_merge_config_selectorIfNS0_10empty_typeEEEZZNS1_27merge_sort_block_merge_implIS3_PfPS5_jNS1_19radix_merge_compareILb1ELb0EfNS0_19identity_decomposerEEEEE10hipError_tT0_T1_T2_jT3_P12ihipStream_tbPNSt15iterator_traitsISE_E10value_typeEPNSK_ISF_E10value_typeEPSG_NS1_7vsmem_tEENKUlT_SE_SF_SG_E_clIS8_S8_S9_S9_EESD_ST_SE_SF_SG_EUlST_E1_NS1_11comp_targetILNS1_3genE4ELNS1_11target_archE910ELNS1_3gpuE8ELNS1_3repE0EEENS1_36merge_oddeven_config_static_selectorELNS0_4arch9wavefront6targetE0EEEvSF_.kd
    .uniform_work_group_size: 1
    .uses_dynamic_stack: false
    .vgpr_count:     0
    .vgpr_spill_count: 0
    .wavefront_size: 32
  - .args:
      - .offset:         0
        .size:           48
        .value_kind:     by_value
    .group_segment_fixed_size: 0
    .kernarg_segment_align: 8
    .kernarg_segment_size: 48
    .language:       OpenCL C
    .language_version:
      - 2
      - 0
    .max_flat_workgroup_size: 256
    .name:           _ZN7rocprim17ROCPRIM_400000_NS6detail17trampoline_kernelINS0_14default_configENS1_38merge_sort_block_merge_config_selectorIfNS0_10empty_typeEEEZZNS1_27merge_sort_block_merge_implIS3_PfPS5_jNS1_19radix_merge_compareILb1ELb0EfNS0_19identity_decomposerEEEEE10hipError_tT0_T1_T2_jT3_P12ihipStream_tbPNSt15iterator_traitsISE_E10value_typeEPNSK_ISF_E10value_typeEPSG_NS1_7vsmem_tEENKUlT_SE_SF_SG_E_clIS8_S8_S9_S9_EESD_ST_SE_SF_SG_EUlST_E1_NS1_11comp_targetILNS1_3genE3ELNS1_11target_archE908ELNS1_3gpuE7ELNS1_3repE0EEENS1_36merge_oddeven_config_static_selectorELNS0_4arch9wavefront6targetE0EEEvSF_
    .private_segment_fixed_size: 0
    .sgpr_count:     0
    .sgpr_spill_count: 0
    .symbol:         _ZN7rocprim17ROCPRIM_400000_NS6detail17trampoline_kernelINS0_14default_configENS1_38merge_sort_block_merge_config_selectorIfNS0_10empty_typeEEEZZNS1_27merge_sort_block_merge_implIS3_PfPS5_jNS1_19radix_merge_compareILb1ELb0EfNS0_19identity_decomposerEEEEE10hipError_tT0_T1_T2_jT3_P12ihipStream_tbPNSt15iterator_traitsISE_E10value_typeEPNSK_ISF_E10value_typeEPSG_NS1_7vsmem_tEENKUlT_SE_SF_SG_E_clIS8_S8_S9_S9_EESD_ST_SE_SF_SG_EUlST_E1_NS1_11comp_targetILNS1_3genE3ELNS1_11target_archE908ELNS1_3gpuE7ELNS1_3repE0EEENS1_36merge_oddeven_config_static_selectorELNS0_4arch9wavefront6targetE0EEEvSF_.kd
    .uniform_work_group_size: 1
    .uses_dynamic_stack: false
    .vgpr_count:     0
    .vgpr_spill_count: 0
    .wavefront_size: 32
  - .args:
      - .offset:         0
        .size:           48
        .value_kind:     by_value
    .group_segment_fixed_size: 0
    .kernarg_segment_align: 8
    .kernarg_segment_size: 48
    .language:       OpenCL C
    .language_version:
      - 2
      - 0
    .max_flat_workgroup_size: 256
    .name:           _ZN7rocprim17ROCPRIM_400000_NS6detail17trampoline_kernelINS0_14default_configENS1_38merge_sort_block_merge_config_selectorIfNS0_10empty_typeEEEZZNS1_27merge_sort_block_merge_implIS3_PfPS5_jNS1_19radix_merge_compareILb1ELb0EfNS0_19identity_decomposerEEEEE10hipError_tT0_T1_T2_jT3_P12ihipStream_tbPNSt15iterator_traitsISE_E10value_typeEPNSK_ISF_E10value_typeEPSG_NS1_7vsmem_tEENKUlT_SE_SF_SG_E_clIS8_S8_S9_S9_EESD_ST_SE_SF_SG_EUlST_E1_NS1_11comp_targetILNS1_3genE2ELNS1_11target_archE906ELNS1_3gpuE6ELNS1_3repE0EEENS1_36merge_oddeven_config_static_selectorELNS0_4arch9wavefront6targetE0EEEvSF_
    .private_segment_fixed_size: 0
    .sgpr_count:     0
    .sgpr_spill_count: 0
    .symbol:         _ZN7rocprim17ROCPRIM_400000_NS6detail17trampoline_kernelINS0_14default_configENS1_38merge_sort_block_merge_config_selectorIfNS0_10empty_typeEEEZZNS1_27merge_sort_block_merge_implIS3_PfPS5_jNS1_19radix_merge_compareILb1ELb0EfNS0_19identity_decomposerEEEEE10hipError_tT0_T1_T2_jT3_P12ihipStream_tbPNSt15iterator_traitsISE_E10value_typeEPNSK_ISF_E10value_typeEPSG_NS1_7vsmem_tEENKUlT_SE_SF_SG_E_clIS8_S8_S9_S9_EESD_ST_SE_SF_SG_EUlST_E1_NS1_11comp_targetILNS1_3genE2ELNS1_11target_archE906ELNS1_3gpuE6ELNS1_3repE0EEENS1_36merge_oddeven_config_static_selectorELNS0_4arch9wavefront6targetE0EEEvSF_.kd
    .uniform_work_group_size: 1
    .uses_dynamic_stack: false
    .vgpr_count:     0
    .vgpr_spill_count: 0
    .wavefront_size: 32
  - .args:
      - .offset:         0
        .size:           48
        .value_kind:     by_value
    .group_segment_fixed_size: 0
    .kernarg_segment_align: 8
    .kernarg_segment_size: 48
    .language:       OpenCL C
    .language_version:
      - 2
      - 0
    .max_flat_workgroup_size: 256
    .name:           _ZN7rocprim17ROCPRIM_400000_NS6detail17trampoline_kernelINS0_14default_configENS1_38merge_sort_block_merge_config_selectorIfNS0_10empty_typeEEEZZNS1_27merge_sort_block_merge_implIS3_PfPS5_jNS1_19radix_merge_compareILb1ELb0EfNS0_19identity_decomposerEEEEE10hipError_tT0_T1_T2_jT3_P12ihipStream_tbPNSt15iterator_traitsISE_E10value_typeEPNSK_ISF_E10value_typeEPSG_NS1_7vsmem_tEENKUlT_SE_SF_SG_E_clIS8_S8_S9_S9_EESD_ST_SE_SF_SG_EUlST_E1_NS1_11comp_targetILNS1_3genE9ELNS1_11target_archE1100ELNS1_3gpuE3ELNS1_3repE0EEENS1_36merge_oddeven_config_static_selectorELNS0_4arch9wavefront6targetE0EEEvSF_
    .private_segment_fixed_size: 0
    .sgpr_count:     0
    .sgpr_spill_count: 0
    .symbol:         _ZN7rocprim17ROCPRIM_400000_NS6detail17trampoline_kernelINS0_14default_configENS1_38merge_sort_block_merge_config_selectorIfNS0_10empty_typeEEEZZNS1_27merge_sort_block_merge_implIS3_PfPS5_jNS1_19radix_merge_compareILb1ELb0EfNS0_19identity_decomposerEEEEE10hipError_tT0_T1_T2_jT3_P12ihipStream_tbPNSt15iterator_traitsISE_E10value_typeEPNSK_ISF_E10value_typeEPSG_NS1_7vsmem_tEENKUlT_SE_SF_SG_E_clIS8_S8_S9_S9_EESD_ST_SE_SF_SG_EUlST_E1_NS1_11comp_targetILNS1_3genE9ELNS1_11target_archE1100ELNS1_3gpuE3ELNS1_3repE0EEENS1_36merge_oddeven_config_static_selectorELNS0_4arch9wavefront6targetE0EEEvSF_.kd
    .uniform_work_group_size: 1
    .uses_dynamic_stack: false
    .vgpr_count:     0
    .vgpr_spill_count: 0
    .wavefront_size: 32
  - .args:
      - .offset:         0
        .size:           48
        .value_kind:     by_value
    .group_segment_fixed_size: 0
    .kernarg_segment_align: 8
    .kernarg_segment_size: 48
    .language:       OpenCL C
    .language_version:
      - 2
      - 0
    .max_flat_workgroup_size: 256
    .name:           _ZN7rocprim17ROCPRIM_400000_NS6detail17trampoline_kernelINS0_14default_configENS1_38merge_sort_block_merge_config_selectorIfNS0_10empty_typeEEEZZNS1_27merge_sort_block_merge_implIS3_PfPS5_jNS1_19radix_merge_compareILb1ELb0EfNS0_19identity_decomposerEEEEE10hipError_tT0_T1_T2_jT3_P12ihipStream_tbPNSt15iterator_traitsISE_E10value_typeEPNSK_ISF_E10value_typeEPSG_NS1_7vsmem_tEENKUlT_SE_SF_SG_E_clIS8_S8_S9_S9_EESD_ST_SE_SF_SG_EUlST_E1_NS1_11comp_targetILNS1_3genE8ELNS1_11target_archE1030ELNS1_3gpuE2ELNS1_3repE0EEENS1_36merge_oddeven_config_static_selectorELNS0_4arch9wavefront6targetE0EEEvSF_
    .private_segment_fixed_size: 0
    .sgpr_count:     0
    .sgpr_spill_count: 0
    .symbol:         _ZN7rocprim17ROCPRIM_400000_NS6detail17trampoline_kernelINS0_14default_configENS1_38merge_sort_block_merge_config_selectorIfNS0_10empty_typeEEEZZNS1_27merge_sort_block_merge_implIS3_PfPS5_jNS1_19radix_merge_compareILb1ELb0EfNS0_19identity_decomposerEEEEE10hipError_tT0_T1_T2_jT3_P12ihipStream_tbPNSt15iterator_traitsISE_E10value_typeEPNSK_ISF_E10value_typeEPSG_NS1_7vsmem_tEENKUlT_SE_SF_SG_E_clIS8_S8_S9_S9_EESD_ST_SE_SF_SG_EUlST_E1_NS1_11comp_targetILNS1_3genE8ELNS1_11target_archE1030ELNS1_3gpuE2ELNS1_3repE0EEENS1_36merge_oddeven_config_static_selectorELNS0_4arch9wavefront6targetE0EEEvSF_.kd
    .uniform_work_group_size: 1
    .uses_dynamic_stack: false
    .vgpr_count:     0
    .vgpr_spill_count: 0
    .wavefront_size: 32
  - .args:
      - .offset:         0
        .size:           40
        .value_kind:     by_value
      - .offset:         40
        .size:           4
        .value_kind:     hidden_block_count_x
      - .offset:         44
        .size:           4
        .value_kind:     hidden_block_count_y
      - .offset:         48
        .size:           4
        .value_kind:     hidden_block_count_z
      - .offset:         52
        .size:           2
        .value_kind:     hidden_group_size_x
      - .offset:         54
        .size:           2
        .value_kind:     hidden_group_size_y
      - .offset:         56
        .size:           2
        .value_kind:     hidden_group_size_z
      - .offset:         58
        .size:           2
        .value_kind:     hidden_remainder_x
      - .offset:         60
        .size:           2
        .value_kind:     hidden_remainder_y
      - .offset:         62
        .size:           2
        .value_kind:     hidden_remainder_z
      - .offset:         80
        .size:           8
        .value_kind:     hidden_global_offset_x
      - .offset:         88
        .size:           8
        .value_kind:     hidden_global_offset_y
      - .offset:         96
        .size:           8
        .value_kind:     hidden_global_offset_z
      - .offset:         104
        .size:           2
        .value_kind:     hidden_grid_dims
    .group_segment_fixed_size: 0
    .kernarg_segment_align: 8
    .kernarg_segment_size: 296
    .language:       OpenCL C
    .language_version:
      - 2
      - 0
    .max_flat_workgroup_size: 128
    .name:           _ZN7rocprim17ROCPRIM_400000_NS6detail17trampoline_kernelINS0_14default_configENS1_25transform_config_selectorIfLb1EEEZNS1_14transform_implILb1ES3_S5_PfS7_NS0_8identityIfEEEE10hipError_tT2_T3_mT4_P12ihipStream_tbEUlT_E_NS1_11comp_targetILNS1_3genE0ELNS1_11target_archE4294967295ELNS1_3gpuE0ELNS1_3repE0EEENS1_30default_config_static_selectorELNS0_4arch9wavefront6targetE0EEEvT1_
    .private_segment_fixed_size: 0
    .sgpr_count:     16
    .sgpr_spill_count: 0
    .symbol:         _ZN7rocprim17ROCPRIM_400000_NS6detail17trampoline_kernelINS0_14default_configENS1_25transform_config_selectorIfLb1EEEZNS1_14transform_implILb1ES3_S5_PfS7_NS0_8identityIfEEEE10hipError_tT2_T3_mT4_P12ihipStream_tbEUlT_E_NS1_11comp_targetILNS1_3genE0ELNS1_11target_archE4294967295ELNS1_3gpuE0ELNS1_3repE0EEENS1_30default_config_static_selectorELNS0_4arch9wavefront6targetE0EEEvT1_.kd
    .uniform_work_group_size: 1
    .uses_dynamic_stack: false
    .vgpr_count:     4
    .vgpr_spill_count: 0
    .wavefront_size: 32
  - .args:
      - .offset:         0
        .size:           40
        .value_kind:     by_value
    .group_segment_fixed_size: 0
    .kernarg_segment_align: 8
    .kernarg_segment_size: 40
    .language:       OpenCL C
    .language_version:
      - 2
      - 0
    .max_flat_workgroup_size: 1024
    .name:           _ZN7rocprim17ROCPRIM_400000_NS6detail17trampoline_kernelINS0_14default_configENS1_25transform_config_selectorIfLb1EEEZNS1_14transform_implILb1ES3_S5_PfS7_NS0_8identityIfEEEE10hipError_tT2_T3_mT4_P12ihipStream_tbEUlT_E_NS1_11comp_targetILNS1_3genE10ELNS1_11target_archE1201ELNS1_3gpuE5ELNS1_3repE0EEENS1_30default_config_static_selectorELNS0_4arch9wavefront6targetE0EEEvT1_
    .private_segment_fixed_size: 0
    .sgpr_count:     0
    .sgpr_spill_count: 0
    .symbol:         _ZN7rocprim17ROCPRIM_400000_NS6detail17trampoline_kernelINS0_14default_configENS1_25transform_config_selectorIfLb1EEEZNS1_14transform_implILb1ES3_S5_PfS7_NS0_8identityIfEEEE10hipError_tT2_T3_mT4_P12ihipStream_tbEUlT_E_NS1_11comp_targetILNS1_3genE10ELNS1_11target_archE1201ELNS1_3gpuE5ELNS1_3repE0EEENS1_30default_config_static_selectorELNS0_4arch9wavefront6targetE0EEEvT1_.kd
    .uniform_work_group_size: 1
    .uses_dynamic_stack: false
    .vgpr_count:     0
    .vgpr_spill_count: 0
    .wavefront_size: 32
  - .args:
      - .offset:         0
        .size:           40
        .value_kind:     by_value
    .group_segment_fixed_size: 0
    .kernarg_segment_align: 8
    .kernarg_segment_size: 40
    .language:       OpenCL C
    .language_version:
      - 2
      - 0
    .max_flat_workgroup_size: 256
    .name:           _ZN7rocprim17ROCPRIM_400000_NS6detail17trampoline_kernelINS0_14default_configENS1_25transform_config_selectorIfLb1EEEZNS1_14transform_implILb1ES3_S5_PfS7_NS0_8identityIfEEEE10hipError_tT2_T3_mT4_P12ihipStream_tbEUlT_E_NS1_11comp_targetILNS1_3genE5ELNS1_11target_archE942ELNS1_3gpuE9ELNS1_3repE0EEENS1_30default_config_static_selectorELNS0_4arch9wavefront6targetE0EEEvT1_
    .private_segment_fixed_size: 0
    .sgpr_count:     0
    .sgpr_spill_count: 0
    .symbol:         _ZN7rocprim17ROCPRIM_400000_NS6detail17trampoline_kernelINS0_14default_configENS1_25transform_config_selectorIfLb1EEEZNS1_14transform_implILb1ES3_S5_PfS7_NS0_8identityIfEEEE10hipError_tT2_T3_mT4_P12ihipStream_tbEUlT_E_NS1_11comp_targetILNS1_3genE5ELNS1_11target_archE942ELNS1_3gpuE9ELNS1_3repE0EEENS1_30default_config_static_selectorELNS0_4arch9wavefront6targetE0EEEvT1_.kd
    .uniform_work_group_size: 1
    .uses_dynamic_stack: false
    .vgpr_count:     0
    .vgpr_spill_count: 0
    .wavefront_size: 32
  - .args:
      - .offset:         0
        .size:           40
        .value_kind:     by_value
    .group_segment_fixed_size: 0
    .kernarg_segment_align: 8
    .kernarg_segment_size: 40
    .language:       OpenCL C
    .language_version:
      - 2
      - 0
    .max_flat_workgroup_size: 1024
    .name:           _ZN7rocprim17ROCPRIM_400000_NS6detail17trampoline_kernelINS0_14default_configENS1_25transform_config_selectorIfLb1EEEZNS1_14transform_implILb1ES3_S5_PfS7_NS0_8identityIfEEEE10hipError_tT2_T3_mT4_P12ihipStream_tbEUlT_E_NS1_11comp_targetILNS1_3genE4ELNS1_11target_archE910ELNS1_3gpuE8ELNS1_3repE0EEENS1_30default_config_static_selectorELNS0_4arch9wavefront6targetE0EEEvT1_
    .private_segment_fixed_size: 0
    .sgpr_count:     0
    .sgpr_spill_count: 0
    .symbol:         _ZN7rocprim17ROCPRIM_400000_NS6detail17trampoline_kernelINS0_14default_configENS1_25transform_config_selectorIfLb1EEEZNS1_14transform_implILb1ES3_S5_PfS7_NS0_8identityIfEEEE10hipError_tT2_T3_mT4_P12ihipStream_tbEUlT_E_NS1_11comp_targetILNS1_3genE4ELNS1_11target_archE910ELNS1_3gpuE8ELNS1_3repE0EEENS1_30default_config_static_selectorELNS0_4arch9wavefront6targetE0EEEvT1_.kd
    .uniform_work_group_size: 1
    .uses_dynamic_stack: false
    .vgpr_count:     0
    .vgpr_spill_count: 0
    .wavefront_size: 32
  - .args:
      - .offset:         0
        .size:           40
        .value_kind:     by_value
    .group_segment_fixed_size: 0
    .kernarg_segment_align: 8
    .kernarg_segment_size: 40
    .language:       OpenCL C
    .language_version:
      - 2
      - 0
    .max_flat_workgroup_size: 128
    .name:           _ZN7rocprim17ROCPRIM_400000_NS6detail17trampoline_kernelINS0_14default_configENS1_25transform_config_selectorIfLb1EEEZNS1_14transform_implILb1ES3_S5_PfS7_NS0_8identityIfEEEE10hipError_tT2_T3_mT4_P12ihipStream_tbEUlT_E_NS1_11comp_targetILNS1_3genE3ELNS1_11target_archE908ELNS1_3gpuE7ELNS1_3repE0EEENS1_30default_config_static_selectorELNS0_4arch9wavefront6targetE0EEEvT1_
    .private_segment_fixed_size: 0
    .sgpr_count:     0
    .sgpr_spill_count: 0
    .symbol:         _ZN7rocprim17ROCPRIM_400000_NS6detail17trampoline_kernelINS0_14default_configENS1_25transform_config_selectorIfLb1EEEZNS1_14transform_implILb1ES3_S5_PfS7_NS0_8identityIfEEEE10hipError_tT2_T3_mT4_P12ihipStream_tbEUlT_E_NS1_11comp_targetILNS1_3genE3ELNS1_11target_archE908ELNS1_3gpuE7ELNS1_3repE0EEENS1_30default_config_static_selectorELNS0_4arch9wavefront6targetE0EEEvT1_.kd
    .uniform_work_group_size: 1
    .uses_dynamic_stack: false
    .vgpr_count:     0
    .vgpr_spill_count: 0
    .wavefront_size: 32
  - .args:
      - .offset:         0
        .size:           40
        .value_kind:     by_value
    .group_segment_fixed_size: 0
    .kernarg_segment_align: 8
    .kernarg_segment_size: 40
    .language:       OpenCL C
    .language_version:
      - 2
      - 0
    .max_flat_workgroup_size: 1024
    .name:           _ZN7rocprim17ROCPRIM_400000_NS6detail17trampoline_kernelINS0_14default_configENS1_25transform_config_selectorIfLb1EEEZNS1_14transform_implILb1ES3_S5_PfS7_NS0_8identityIfEEEE10hipError_tT2_T3_mT4_P12ihipStream_tbEUlT_E_NS1_11comp_targetILNS1_3genE2ELNS1_11target_archE906ELNS1_3gpuE6ELNS1_3repE0EEENS1_30default_config_static_selectorELNS0_4arch9wavefront6targetE0EEEvT1_
    .private_segment_fixed_size: 0
    .sgpr_count:     0
    .sgpr_spill_count: 0
    .symbol:         _ZN7rocprim17ROCPRIM_400000_NS6detail17trampoline_kernelINS0_14default_configENS1_25transform_config_selectorIfLb1EEEZNS1_14transform_implILb1ES3_S5_PfS7_NS0_8identityIfEEEE10hipError_tT2_T3_mT4_P12ihipStream_tbEUlT_E_NS1_11comp_targetILNS1_3genE2ELNS1_11target_archE906ELNS1_3gpuE6ELNS1_3repE0EEENS1_30default_config_static_selectorELNS0_4arch9wavefront6targetE0EEEvT1_.kd
    .uniform_work_group_size: 1
    .uses_dynamic_stack: false
    .vgpr_count:     0
    .vgpr_spill_count: 0
    .wavefront_size: 32
  - .args:
      - .offset:         0
        .size:           40
        .value_kind:     by_value
    .group_segment_fixed_size: 0
    .kernarg_segment_align: 8
    .kernarg_segment_size: 40
    .language:       OpenCL C
    .language_version:
      - 2
      - 0
    .max_flat_workgroup_size: 1024
    .name:           _ZN7rocprim17ROCPRIM_400000_NS6detail17trampoline_kernelINS0_14default_configENS1_25transform_config_selectorIfLb1EEEZNS1_14transform_implILb1ES3_S5_PfS7_NS0_8identityIfEEEE10hipError_tT2_T3_mT4_P12ihipStream_tbEUlT_E_NS1_11comp_targetILNS1_3genE9ELNS1_11target_archE1100ELNS1_3gpuE3ELNS1_3repE0EEENS1_30default_config_static_selectorELNS0_4arch9wavefront6targetE0EEEvT1_
    .private_segment_fixed_size: 0
    .sgpr_count:     0
    .sgpr_spill_count: 0
    .symbol:         _ZN7rocprim17ROCPRIM_400000_NS6detail17trampoline_kernelINS0_14default_configENS1_25transform_config_selectorIfLb1EEEZNS1_14transform_implILb1ES3_S5_PfS7_NS0_8identityIfEEEE10hipError_tT2_T3_mT4_P12ihipStream_tbEUlT_E_NS1_11comp_targetILNS1_3genE9ELNS1_11target_archE1100ELNS1_3gpuE3ELNS1_3repE0EEENS1_30default_config_static_selectorELNS0_4arch9wavefront6targetE0EEEvT1_.kd
    .uniform_work_group_size: 1
    .uses_dynamic_stack: false
    .vgpr_count:     0
    .vgpr_spill_count: 0
    .wavefront_size: 32
  - .args:
      - .offset:         0
        .size:           40
        .value_kind:     by_value
    .group_segment_fixed_size: 0
    .kernarg_segment_align: 8
    .kernarg_segment_size: 40
    .language:       OpenCL C
    .language_version:
      - 2
      - 0
    .max_flat_workgroup_size: 1024
    .name:           _ZN7rocprim17ROCPRIM_400000_NS6detail17trampoline_kernelINS0_14default_configENS1_25transform_config_selectorIfLb1EEEZNS1_14transform_implILb1ES3_S5_PfS7_NS0_8identityIfEEEE10hipError_tT2_T3_mT4_P12ihipStream_tbEUlT_E_NS1_11comp_targetILNS1_3genE8ELNS1_11target_archE1030ELNS1_3gpuE2ELNS1_3repE0EEENS1_30default_config_static_selectorELNS0_4arch9wavefront6targetE0EEEvT1_
    .private_segment_fixed_size: 0
    .sgpr_count:     0
    .sgpr_spill_count: 0
    .symbol:         _ZN7rocprim17ROCPRIM_400000_NS6detail17trampoline_kernelINS0_14default_configENS1_25transform_config_selectorIfLb1EEEZNS1_14transform_implILb1ES3_S5_PfS7_NS0_8identityIfEEEE10hipError_tT2_T3_mT4_P12ihipStream_tbEUlT_E_NS1_11comp_targetILNS1_3genE8ELNS1_11target_archE1030ELNS1_3gpuE2ELNS1_3repE0EEENS1_30default_config_static_selectorELNS0_4arch9wavefront6targetE0EEEvT1_.kd
    .uniform_work_group_size: 1
    .uses_dynamic_stack: false
    .vgpr_count:     0
    .vgpr_spill_count: 0
    .wavefront_size: 32
  - .args:
      - .offset:         0
        .size:           48
        .value_kind:     by_value
    .group_segment_fixed_size: 16384
    .kernarg_segment_align: 8
    .kernarg_segment_size: 48
    .language:       OpenCL C
    .language_version:
      - 2
      - 0
    .max_flat_workgroup_size: 512
    .name:           _ZN7rocprim17ROCPRIM_400000_NS6detail17trampoline_kernelINS0_14default_configENS1_35radix_sort_onesweep_config_selectorIfNS0_10empty_typeEEEZNS1_34radix_sort_onesweep_global_offsetsIS3_Lb1EPKfPS5_mNS0_19identity_decomposerEEE10hipError_tT1_T2_PT3_SF_jT4_jjP12ihipStream_tbEUlT_E_NS1_11comp_targetILNS1_3genE0ELNS1_11target_archE4294967295ELNS1_3gpuE0ELNS1_3repE0EEENS1_52radix_sort_onesweep_histogram_config_static_selectorELNS0_4arch9wavefront6targetE0EEEvSD_
    .private_segment_fixed_size: 0
    .sgpr_count:     15
    .sgpr_spill_count: 0
    .symbol:         _ZN7rocprim17ROCPRIM_400000_NS6detail17trampoline_kernelINS0_14default_configENS1_35radix_sort_onesweep_config_selectorIfNS0_10empty_typeEEEZNS1_34radix_sort_onesweep_global_offsetsIS3_Lb1EPKfPS5_mNS0_19identity_decomposerEEE10hipError_tT1_T2_PT3_SF_jT4_jjP12ihipStream_tbEUlT_E_NS1_11comp_targetILNS1_3genE0ELNS1_11target_archE4294967295ELNS1_3gpuE0ELNS1_3repE0EEENS1_52radix_sort_onesweep_histogram_config_static_selectorELNS0_4arch9wavefront6targetE0EEEvSD_.kd
    .uniform_work_group_size: 1
    .uses_dynamic_stack: false
    .vgpr_count:     28
    .vgpr_spill_count: 0
    .wavefront_size: 32
  - .args:
      - .offset:         0
        .size:           48
        .value_kind:     by_value
    .group_segment_fixed_size: 0
    .kernarg_segment_align: 8
    .kernarg_segment_size: 48
    .language:       OpenCL C
    .language_version:
      - 2
      - 0
    .max_flat_workgroup_size: 1024
    .name:           _ZN7rocprim17ROCPRIM_400000_NS6detail17trampoline_kernelINS0_14default_configENS1_35radix_sort_onesweep_config_selectorIfNS0_10empty_typeEEEZNS1_34radix_sort_onesweep_global_offsetsIS3_Lb1EPKfPS5_mNS0_19identity_decomposerEEE10hipError_tT1_T2_PT3_SF_jT4_jjP12ihipStream_tbEUlT_E_NS1_11comp_targetILNS1_3genE6ELNS1_11target_archE950ELNS1_3gpuE13ELNS1_3repE0EEENS1_52radix_sort_onesweep_histogram_config_static_selectorELNS0_4arch9wavefront6targetE0EEEvSD_
    .private_segment_fixed_size: 0
    .sgpr_count:     0
    .sgpr_spill_count: 0
    .symbol:         _ZN7rocprim17ROCPRIM_400000_NS6detail17trampoline_kernelINS0_14default_configENS1_35radix_sort_onesweep_config_selectorIfNS0_10empty_typeEEEZNS1_34radix_sort_onesweep_global_offsetsIS3_Lb1EPKfPS5_mNS0_19identity_decomposerEEE10hipError_tT1_T2_PT3_SF_jT4_jjP12ihipStream_tbEUlT_E_NS1_11comp_targetILNS1_3genE6ELNS1_11target_archE950ELNS1_3gpuE13ELNS1_3repE0EEENS1_52radix_sort_onesweep_histogram_config_static_selectorELNS0_4arch9wavefront6targetE0EEEvSD_.kd
    .uniform_work_group_size: 1
    .uses_dynamic_stack: false
    .vgpr_count:     0
    .vgpr_spill_count: 0
    .wavefront_size: 32
  - .args:
      - .offset:         0
        .size:           48
        .value_kind:     by_value
    .group_segment_fixed_size: 0
    .kernarg_segment_align: 8
    .kernarg_segment_size: 48
    .language:       OpenCL C
    .language_version:
      - 2
      - 0
    .max_flat_workgroup_size: 1024
    .name:           _ZN7rocprim17ROCPRIM_400000_NS6detail17trampoline_kernelINS0_14default_configENS1_35radix_sort_onesweep_config_selectorIfNS0_10empty_typeEEEZNS1_34radix_sort_onesweep_global_offsetsIS3_Lb1EPKfPS5_mNS0_19identity_decomposerEEE10hipError_tT1_T2_PT3_SF_jT4_jjP12ihipStream_tbEUlT_E_NS1_11comp_targetILNS1_3genE5ELNS1_11target_archE942ELNS1_3gpuE9ELNS1_3repE0EEENS1_52radix_sort_onesweep_histogram_config_static_selectorELNS0_4arch9wavefront6targetE0EEEvSD_
    .private_segment_fixed_size: 0
    .sgpr_count:     0
    .sgpr_spill_count: 0
    .symbol:         _ZN7rocprim17ROCPRIM_400000_NS6detail17trampoline_kernelINS0_14default_configENS1_35radix_sort_onesweep_config_selectorIfNS0_10empty_typeEEEZNS1_34radix_sort_onesweep_global_offsetsIS3_Lb1EPKfPS5_mNS0_19identity_decomposerEEE10hipError_tT1_T2_PT3_SF_jT4_jjP12ihipStream_tbEUlT_E_NS1_11comp_targetILNS1_3genE5ELNS1_11target_archE942ELNS1_3gpuE9ELNS1_3repE0EEENS1_52radix_sort_onesweep_histogram_config_static_selectorELNS0_4arch9wavefront6targetE0EEEvSD_.kd
    .uniform_work_group_size: 1
    .uses_dynamic_stack: false
    .vgpr_count:     0
    .vgpr_spill_count: 0
    .wavefront_size: 32
  - .args:
      - .offset:         0
        .size:           48
        .value_kind:     by_value
    .group_segment_fixed_size: 0
    .kernarg_segment_align: 8
    .kernarg_segment_size: 48
    .language:       OpenCL C
    .language_version:
      - 2
      - 0
    .max_flat_workgroup_size: 512
    .name:           _ZN7rocprim17ROCPRIM_400000_NS6detail17trampoline_kernelINS0_14default_configENS1_35radix_sort_onesweep_config_selectorIfNS0_10empty_typeEEEZNS1_34radix_sort_onesweep_global_offsetsIS3_Lb1EPKfPS5_mNS0_19identity_decomposerEEE10hipError_tT1_T2_PT3_SF_jT4_jjP12ihipStream_tbEUlT_E_NS1_11comp_targetILNS1_3genE2ELNS1_11target_archE906ELNS1_3gpuE6ELNS1_3repE0EEENS1_52radix_sort_onesweep_histogram_config_static_selectorELNS0_4arch9wavefront6targetE0EEEvSD_
    .private_segment_fixed_size: 0
    .sgpr_count:     0
    .sgpr_spill_count: 0
    .symbol:         _ZN7rocprim17ROCPRIM_400000_NS6detail17trampoline_kernelINS0_14default_configENS1_35radix_sort_onesweep_config_selectorIfNS0_10empty_typeEEEZNS1_34radix_sort_onesweep_global_offsetsIS3_Lb1EPKfPS5_mNS0_19identity_decomposerEEE10hipError_tT1_T2_PT3_SF_jT4_jjP12ihipStream_tbEUlT_E_NS1_11comp_targetILNS1_3genE2ELNS1_11target_archE906ELNS1_3gpuE6ELNS1_3repE0EEENS1_52radix_sort_onesweep_histogram_config_static_selectorELNS0_4arch9wavefront6targetE0EEEvSD_.kd
    .uniform_work_group_size: 1
    .uses_dynamic_stack: false
    .vgpr_count:     0
    .vgpr_spill_count: 0
    .wavefront_size: 32
  - .args:
      - .offset:         0
        .size:           48
        .value_kind:     by_value
    .group_segment_fixed_size: 0
    .kernarg_segment_align: 8
    .kernarg_segment_size: 48
    .language:       OpenCL C
    .language_version:
      - 2
      - 0
    .max_flat_workgroup_size: 1024
    .name:           _ZN7rocprim17ROCPRIM_400000_NS6detail17trampoline_kernelINS0_14default_configENS1_35radix_sort_onesweep_config_selectorIfNS0_10empty_typeEEEZNS1_34radix_sort_onesweep_global_offsetsIS3_Lb1EPKfPS5_mNS0_19identity_decomposerEEE10hipError_tT1_T2_PT3_SF_jT4_jjP12ihipStream_tbEUlT_E_NS1_11comp_targetILNS1_3genE4ELNS1_11target_archE910ELNS1_3gpuE8ELNS1_3repE0EEENS1_52radix_sort_onesweep_histogram_config_static_selectorELNS0_4arch9wavefront6targetE0EEEvSD_
    .private_segment_fixed_size: 0
    .sgpr_count:     0
    .sgpr_spill_count: 0
    .symbol:         _ZN7rocprim17ROCPRIM_400000_NS6detail17trampoline_kernelINS0_14default_configENS1_35radix_sort_onesweep_config_selectorIfNS0_10empty_typeEEEZNS1_34radix_sort_onesweep_global_offsetsIS3_Lb1EPKfPS5_mNS0_19identity_decomposerEEE10hipError_tT1_T2_PT3_SF_jT4_jjP12ihipStream_tbEUlT_E_NS1_11comp_targetILNS1_3genE4ELNS1_11target_archE910ELNS1_3gpuE8ELNS1_3repE0EEENS1_52radix_sort_onesweep_histogram_config_static_selectorELNS0_4arch9wavefront6targetE0EEEvSD_.kd
    .uniform_work_group_size: 1
    .uses_dynamic_stack: false
    .vgpr_count:     0
    .vgpr_spill_count: 0
    .wavefront_size: 32
  - .args:
      - .offset:         0
        .size:           48
        .value_kind:     by_value
    .group_segment_fixed_size: 0
    .kernarg_segment_align: 8
    .kernarg_segment_size: 48
    .language:       OpenCL C
    .language_version:
      - 2
      - 0
    .max_flat_workgroup_size: 512
    .name:           _ZN7rocprim17ROCPRIM_400000_NS6detail17trampoline_kernelINS0_14default_configENS1_35radix_sort_onesweep_config_selectorIfNS0_10empty_typeEEEZNS1_34radix_sort_onesweep_global_offsetsIS3_Lb1EPKfPS5_mNS0_19identity_decomposerEEE10hipError_tT1_T2_PT3_SF_jT4_jjP12ihipStream_tbEUlT_E_NS1_11comp_targetILNS1_3genE3ELNS1_11target_archE908ELNS1_3gpuE7ELNS1_3repE0EEENS1_52radix_sort_onesweep_histogram_config_static_selectorELNS0_4arch9wavefront6targetE0EEEvSD_
    .private_segment_fixed_size: 0
    .sgpr_count:     0
    .sgpr_spill_count: 0
    .symbol:         _ZN7rocprim17ROCPRIM_400000_NS6detail17trampoline_kernelINS0_14default_configENS1_35radix_sort_onesweep_config_selectorIfNS0_10empty_typeEEEZNS1_34radix_sort_onesweep_global_offsetsIS3_Lb1EPKfPS5_mNS0_19identity_decomposerEEE10hipError_tT1_T2_PT3_SF_jT4_jjP12ihipStream_tbEUlT_E_NS1_11comp_targetILNS1_3genE3ELNS1_11target_archE908ELNS1_3gpuE7ELNS1_3repE0EEENS1_52radix_sort_onesweep_histogram_config_static_selectorELNS0_4arch9wavefront6targetE0EEEvSD_.kd
    .uniform_work_group_size: 1
    .uses_dynamic_stack: false
    .vgpr_count:     0
    .vgpr_spill_count: 0
    .wavefront_size: 32
  - .args:
      - .offset:         0
        .size:           48
        .value_kind:     by_value
    .group_segment_fixed_size: 0
    .kernarg_segment_align: 8
    .kernarg_segment_size: 48
    .language:       OpenCL C
    .language_version:
      - 2
      - 0
    .max_flat_workgroup_size: 512
    .name:           _ZN7rocprim17ROCPRIM_400000_NS6detail17trampoline_kernelINS0_14default_configENS1_35radix_sort_onesweep_config_selectorIfNS0_10empty_typeEEEZNS1_34radix_sort_onesweep_global_offsetsIS3_Lb1EPKfPS5_mNS0_19identity_decomposerEEE10hipError_tT1_T2_PT3_SF_jT4_jjP12ihipStream_tbEUlT_E_NS1_11comp_targetILNS1_3genE10ELNS1_11target_archE1201ELNS1_3gpuE5ELNS1_3repE0EEENS1_52radix_sort_onesweep_histogram_config_static_selectorELNS0_4arch9wavefront6targetE0EEEvSD_
    .private_segment_fixed_size: 0
    .sgpr_count:     0
    .sgpr_spill_count: 0
    .symbol:         _ZN7rocprim17ROCPRIM_400000_NS6detail17trampoline_kernelINS0_14default_configENS1_35radix_sort_onesweep_config_selectorIfNS0_10empty_typeEEEZNS1_34radix_sort_onesweep_global_offsetsIS3_Lb1EPKfPS5_mNS0_19identity_decomposerEEE10hipError_tT1_T2_PT3_SF_jT4_jjP12ihipStream_tbEUlT_E_NS1_11comp_targetILNS1_3genE10ELNS1_11target_archE1201ELNS1_3gpuE5ELNS1_3repE0EEENS1_52radix_sort_onesweep_histogram_config_static_selectorELNS0_4arch9wavefront6targetE0EEEvSD_.kd
    .uniform_work_group_size: 1
    .uses_dynamic_stack: false
    .vgpr_count:     0
    .vgpr_spill_count: 0
    .wavefront_size: 32
  - .args:
      - .offset:         0
        .size:           48
        .value_kind:     by_value
    .group_segment_fixed_size: 0
    .kernarg_segment_align: 8
    .kernarg_segment_size: 48
    .language:       OpenCL C
    .language_version:
      - 2
      - 0
    .max_flat_workgroup_size: 1024
    .name:           _ZN7rocprim17ROCPRIM_400000_NS6detail17trampoline_kernelINS0_14default_configENS1_35radix_sort_onesweep_config_selectorIfNS0_10empty_typeEEEZNS1_34radix_sort_onesweep_global_offsetsIS3_Lb1EPKfPS5_mNS0_19identity_decomposerEEE10hipError_tT1_T2_PT3_SF_jT4_jjP12ihipStream_tbEUlT_E_NS1_11comp_targetILNS1_3genE9ELNS1_11target_archE1100ELNS1_3gpuE3ELNS1_3repE0EEENS1_52radix_sort_onesweep_histogram_config_static_selectorELNS0_4arch9wavefront6targetE0EEEvSD_
    .private_segment_fixed_size: 0
    .sgpr_count:     0
    .sgpr_spill_count: 0
    .symbol:         _ZN7rocprim17ROCPRIM_400000_NS6detail17trampoline_kernelINS0_14default_configENS1_35radix_sort_onesweep_config_selectorIfNS0_10empty_typeEEEZNS1_34radix_sort_onesweep_global_offsetsIS3_Lb1EPKfPS5_mNS0_19identity_decomposerEEE10hipError_tT1_T2_PT3_SF_jT4_jjP12ihipStream_tbEUlT_E_NS1_11comp_targetILNS1_3genE9ELNS1_11target_archE1100ELNS1_3gpuE3ELNS1_3repE0EEENS1_52radix_sort_onesweep_histogram_config_static_selectorELNS0_4arch9wavefront6targetE0EEEvSD_.kd
    .uniform_work_group_size: 1
    .uses_dynamic_stack: false
    .vgpr_count:     0
    .vgpr_spill_count: 0
    .wavefront_size: 32
  - .args:
      - .offset:         0
        .size:           48
        .value_kind:     by_value
    .group_segment_fixed_size: 0
    .kernarg_segment_align: 8
    .kernarg_segment_size: 48
    .language:       OpenCL C
    .language_version:
      - 2
      - 0
    .max_flat_workgroup_size: 1024
    .name:           _ZN7rocprim17ROCPRIM_400000_NS6detail17trampoline_kernelINS0_14default_configENS1_35radix_sort_onesweep_config_selectorIfNS0_10empty_typeEEEZNS1_34radix_sort_onesweep_global_offsetsIS3_Lb1EPKfPS5_mNS0_19identity_decomposerEEE10hipError_tT1_T2_PT3_SF_jT4_jjP12ihipStream_tbEUlT_E_NS1_11comp_targetILNS1_3genE8ELNS1_11target_archE1030ELNS1_3gpuE2ELNS1_3repE0EEENS1_52radix_sort_onesweep_histogram_config_static_selectorELNS0_4arch9wavefront6targetE0EEEvSD_
    .private_segment_fixed_size: 0
    .sgpr_count:     0
    .sgpr_spill_count: 0
    .symbol:         _ZN7rocprim17ROCPRIM_400000_NS6detail17trampoline_kernelINS0_14default_configENS1_35radix_sort_onesweep_config_selectorIfNS0_10empty_typeEEEZNS1_34radix_sort_onesweep_global_offsetsIS3_Lb1EPKfPS5_mNS0_19identity_decomposerEEE10hipError_tT1_T2_PT3_SF_jT4_jjP12ihipStream_tbEUlT_E_NS1_11comp_targetILNS1_3genE8ELNS1_11target_archE1030ELNS1_3gpuE2ELNS1_3repE0EEENS1_52radix_sort_onesweep_histogram_config_static_selectorELNS0_4arch9wavefront6targetE0EEEvSD_.kd
    .uniform_work_group_size: 1
    .uses_dynamic_stack: false
    .vgpr_count:     0
    .vgpr_spill_count: 0
    .wavefront_size: 32
  - .args:
      - .address_space:  global
        .offset:         0
        .size:           8
        .value_kind:     global_buffer
    .group_segment_fixed_size: 128
    .kernarg_segment_align: 8
    .kernarg_segment_size: 8
    .language:       OpenCL C
    .language_version:
      - 2
      - 0
    .max_flat_workgroup_size: 512
    .name:           _ZN7rocprim17ROCPRIM_400000_NS6detail17trampoline_kernelINS0_14default_configENS1_35radix_sort_onesweep_config_selectorIfNS0_10empty_typeEEEZNS1_34radix_sort_onesweep_global_offsetsIS3_Lb1EPKfPS5_mNS0_19identity_decomposerEEE10hipError_tT1_T2_PT3_SF_jT4_jjP12ihipStream_tbEUlT_E0_NS1_11comp_targetILNS1_3genE0ELNS1_11target_archE4294967295ELNS1_3gpuE0ELNS1_3repE0EEENS1_52radix_sort_onesweep_histogram_config_static_selectorELNS0_4arch9wavefront6targetE0EEEvSD_
    .private_segment_fixed_size: 0
    .sgpr_count:     10
    .sgpr_spill_count: 0
    .symbol:         _ZN7rocprim17ROCPRIM_400000_NS6detail17trampoline_kernelINS0_14default_configENS1_35radix_sort_onesweep_config_selectorIfNS0_10empty_typeEEEZNS1_34radix_sort_onesweep_global_offsetsIS3_Lb1EPKfPS5_mNS0_19identity_decomposerEEE10hipError_tT1_T2_PT3_SF_jT4_jjP12ihipStream_tbEUlT_E0_NS1_11comp_targetILNS1_3genE0ELNS1_11target_archE4294967295ELNS1_3gpuE0ELNS1_3repE0EEENS1_52radix_sort_onesweep_histogram_config_static_selectorELNS0_4arch9wavefront6targetE0EEEvSD_.kd
    .uniform_work_group_size: 1
    .uses_dynamic_stack: false
    .vgpr_count:     14
    .vgpr_spill_count: 0
    .wavefront_size: 32
  - .args:
      - .address_space:  global
        .offset:         0
        .size:           8
        .value_kind:     global_buffer
    .group_segment_fixed_size: 0
    .kernarg_segment_align: 8
    .kernarg_segment_size: 8
    .language:       OpenCL C
    .language_version:
      - 2
      - 0
    .max_flat_workgroup_size: 1024
    .name:           _ZN7rocprim17ROCPRIM_400000_NS6detail17trampoline_kernelINS0_14default_configENS1_35radix_sort_onesweep_config_selectorIfNS0_10empty_typeEEEZNS1_34radix_sort_onesweep_global_offsetsIS3_Lb1EPKfPS5_mNS0_19identity_decomposerEEE10hipError_tT1_T2_PT3_SF_jT4_jjP12ihipStream_tbEUlT_E0_NS1_11comp_targetILNS1_3genE6ELNS1_11target_archE950ELNS1_3gpuE13ELNS1_3repE0EEENS1_52radix_sort_onesweep_histogram_config_static_selectorELNS0_4arch9wavefront6targetE0EEEvSD_
    .private_segment_fixed_size: 0
    .sgpr_count:     0
    .sgpr_spill_count: 0
    .symbol:         _ZN7rocprim17ROCPRIM_400000_NS6detail17trampoline_kernelINS0_14default_configENS1_35radix_sort_onesweep_config_selectorIfNS0_10empty_typeEEEZNS1_34radix_sort_onesweep_global_offsetsIS3_Lb1EPKfPS5_mNS0_19identity_decomposerEEE10hipError_tT1_T2_PT3_SF_jT4_jjP12ihipStream_tbEUlT_E0_NS1_11comp_targetILNS1_3genE6ELNS1_11target_archE950ELNS1_3gpuE13ELNS1_3repE0EEENS1_52radix_sort_onesweep_histogram_config_static_selectorELNS0_4arch9wavefront6targetE0EEEvSD_.kd
    .uniform_work_group_size: 1
    .uses_dynamic_stack: false
    .vgpr_count:     0
    .vgpr_spill_count: 0
    .wavefront_size: 32
  - .args:
      - .address_space:  global
        .offset:         0
        .size:           8
        .value_kind:     global_buffer
    .group_segment_fixed_size: 0
    .kernarg_segment_align: 8
    .kernarg_segment_size: 8
    .language:       OpenCL C
    .language_version:
      - 2
      - 0
    .max_flat_workgroup_size: 1024
    .name:           _ZN7rocprim17ROCPRIM_400000_NS6detail17trampoline_kernelINS0_14default_configENS1_35radix_sort_onesweep_config_selectorIfNS0_10empty_typeEEEZNS1_34radix_sort_onesweep_global_offsetsIS3_Lb1EPKfPS5_mNS0_19identity_decomposerEEE10hipError_tT1_T2_PT3_SF_jT4_jjP12ihipStream_tbEUlT_E0_NS1_11comp_targetILNS1_3genE5ELNS1_11target_archE942ELNS1_3gpuE9ELNS1_3repE0EEENS1_52radix_sort_onesweep_histogram_config_static_selectorELNS0_4arch9wavefront6targetE0EEEvSD_
    .private_segment_fixed_size: 0
    .sgpr_count:     0
    .sgpr_spill_count: 0
    .symbol:         _ZN7rocprim17ROCPRIM_400000_NS6detail17trampoline_kernelINS0_14default_configENS1_35radix_sort_onesweep_config_selectorIfNS0_10empty_typeEEEZNS1_34radix_sort_onesweep_global_offsetsIS3_Lb1EPKfPS5_mNS0_19identity_decomposerEEE10hipError_tT1_T2_PT3_SF_jT4_jjP12ihipStream_tbEUlT_E0_NS1_11comp_targetILNS1_3genE5ELNS1_11target_archE942ELNS1_3gpuE9ELNS1_3repE0EEENS1_52radix_sort_onesweep_histogram_config_static_selectorELNS0_4arch9wavefront6targetE0EEEvSD_.kd
    .uniform_work_group_size: 1
    .uses_dynamic_stack: false
    .vgpr_count:     0
    .vgpr_spill_count: 0
    .wavefront_size: 32
  - .args:
      - .address_space:  global
        .offset:         0
        .size:           8
        .value_kind:     global_buffer
    .group_segment_fixed_size: 0
    .kernarg_segment_align: 8
    .kernarg_segment_size: 8
    .language:       OpenCL C
    .language_version:
      - 2
      - 0
    .max_flat_workgroup_size: 512
    .name:           _ZN7rocprim17ROCPRIM_400000_NS6detail17trampoline_kernelINS0_14default_configENS1_35radix_sort_onesweep_config_selectorIfNS0_10empty_typeEEEZNS1_34radix_sort_onesweep_global_offsetsIS3_Lb1EPKfPS5_mNS0_19identity_decomposerEEE10hipError_tT1_T2_PT3_SF_jT4_jjP12ihipStream_tbEUlT_E0_NS1_11comp_targetILNS1_3genE2ELNS1_11target_archE906ELNS1_3gpuE6ELNS1_3repE0EEENS1_52radix_sort_onesweep_histogram_config_static_selectorELNS0_4arch9wavefront6targetE0EEEvSD_
    .private_segment_fixed_size: 0
    .sgpr_count:     0
    .sgpr_spill_count: 0
    .symbol:         _ZN7rocprim17ROCPRIM_400000_NS6detail17trampoline_kernelINS0_14default_configENS1_35radix_sort_onesweep_config_selectorIfNS0_10empty_typeEEEZNS1_34radix_sort_onesweep_global_offsetsIS3_Lb1EPKfPS5_mNS0_19identity_decomposerEEE10hipError_tT1_T2_PT3_SF_jT4_jjP12ihipStream_tbEUlT_E0_NS1_11comp_targetILNS1_3genE2ELNS1_11target_archE906ELNS1_3gpuE6ELNS1_3repE0EEENS1_52radix_sort_onesweep_histogram_config_static_selectorELNS0_4arch9wavefront6targetE0EEEvSD_.kd
    .uniform_work_group_size: 1
    .uses_dynamic_stack: false
    .vgpr_count:     0
    .vgpr_spill_count: 0
    .wavefront_size: 32
  - .args:
      - .address_space:  global
        .offset:         0
        .size:           8
        .value_kind:     global_buffer
    .group_segment_fixed_size: 0
    .kernarg_segment_align: 8
    .kernarg_segment_size: 8
    .language:       OpenCL C
    .language_version:
      - 2
      - 0
    .max_flat_workgroup_size: 1024
    .name:           _ZN7rocprim17ROCPRIM_400000_NS6detail17trampoline_kernelINS0_14default_configENS1_35radix_sort_onesweep_config_selectorIfNS0_10empty_typeEEEZNS1_34radix_sort_onesweep_global_offsetsIS3_Lb1EPKfPS5_mNS0_19identity_decomposerEEE10hipError_tT1_T2_PT3_SF_jT4_jjP12ihipStream_tbEUlT_E0_NS1_11comp_targetILNS1_3genE4ELNS1_11target_archE910ELNS1_3gpuE8ELNS1_3repE0EEENS1_52radix_sort_onesweep_histogram_config_static_selectorELNS0_4arch9wavefront6targetE0EEEvSD_
    .private_segment_fixed_size: 0
    .sgpr_count:     0
    .sgpr_spill_count: 0
    .symbol:         _ZN7rocprim17ROCPRIM_400000_NS6detail17trampoline_kernelINS0_14default_configENS1_35radix_sort_onesweep_config_selectorIfNS0_10empty_typeEEEZNS1_34radix_sort_onesweep_global_offsetsIS3_Lb1EPKfPS5_mNS0_19identity_decomposerEEE10hipError_tT1_T2_PT3_SF_jT4_jjP12ihipStream_tbEUlT_E0_NS1_11comp_targetILNS1_3genE4ELNS1_11target_archE910ELNS1_3gpuE8ELNS1_3repE0EEENS1_52radix_sort_onesweep_histogram_config_static_selectorELNS0_4arch9wavefront6targetE0EEEvSD_.kd
    .uniform_work_group_size: 1
    .uses_dynamic_stack: false
    .vgpr_count:     0
    .vgpr_spill_count: 0
    .wavefront_size: 32
  - .args:
      - .address_space:  global
        .offset:         0
        .size:           8
        .value_kind:     global_buffer
    .group_segment_fixed_size: 0
    .kernarg_segment_align: 8
    .kernarg_segment_size: 8
    .language:       OpenCL C
    .language_version:
      - 2
      - 0
    .max_flat_workgroup_size: 512
    .name:           _ZN7rocprim17ROCPRIM_400000_NS6detail17trampoline_kernelINS0_14default_configENS1_35radix_sort_onesweep_config_selectorIfNS0_10empty_typeEEEZNS1_34radix_sort_onesweep_global_offsetsIS3_Lb1EPKfPS5_mNS0_19identity_decomposerEEE10hipError_tT1_T2_PT3_SF_jT4_jjP12ihipStream_tbEUlT_E0_NS1_11comp_targetILNS1_3genE3ELNS1_11target_archE908ELNS1_3gpuE7ELNS1_3repE0EEENS1_52radix_sort_onesweep_histogram_config_static_selectorELNS0_4arch9wavefront6targetE0EEEvSD_
    .private_segment_fixed_size: 0
    .sgpr_count:     0
    .sgpr_spill_count: 0
    .symbol:         _ZN7rocprim17ROCPRIM_400000_NS6detail17trampoline_kernelINS0_14default_configENS1_35radix_sort_onesweep_config_selectorIfNS0_10empty_typeEEEZNS1_34radix_sort_onesweep_global_offsetsIS3_Lb1EPKfPS5_mNS0_19identity_decomposerEEE10hipError_tT1_T2_PT3_SF_jT4_jjP12ihipStream_tbEUlT_E0_NS1_11comp_targetILNS1_3genE3ELNS1_11target_archE908ELNS1_3gpuE7ELNS1_3repE0EEENS1_52radix_sort_onesweep_histogram_config_static_selectorELNS0_4arch9wavefront6targetE0EEEvSD_.kd
    .uniform_work_group_size: 1
    .uses_dynamic_stack: false
    .vgpr_count:     0
    .vgpr_spill_count: 0
    .wavefront_size: 32
  - .args:
      - .address_space:  global
        .offset:         0
        .size:           8
        .value_kind:     global_buffer
    .group_segment_fixed_size: 0
    .kernarg_segment_align: 8
    .kernarg_segment_size: 8
    .language:       OpenCL C
    .language_version:
      - 2
      - 0
    .max_flat_workgroup_size: 512
    .name:           _ZN7rocprim17ROCPRIM_400000_NS6detail17trampoline_kernelINS0_14default_configENS1_35radix_sort_onesweep_config_selectorIfNS0_10empty_typeEEEZNS1_34radix_sort_onesweep_global_offsetsIS3_Lb1EPKfPS5_mNS0_19identity_decomposerEEE10hipError_tT1_T2_PT3_SF_jT4_jjP12ihipStream_tbEUlT_E0_NS1_11comp_targetILNS1_3genE10ELNS1_11target_archE1201ELNS1_3gpuE5ELNS1_3repE0EEENS1_52radix_sort_onesweep_histogram_config_static_selectorELNS0_4arch9wavefront6targetE0EEEvSD_
    .private_segment_fixed_size: 0
    .sgpr_count:     0
    .sgpr_spill_count: 0
    .symbol:         _ZN7rocprim17ROCPRIM_400000_NS6detail17trampoline_kernelINS0_14default_configENS1_35radix_sort_onesweep_config_selectorIfNS0_10empty_typeEEEZNS1_34radix_sort_onesweep_global_offsetsIS3_Lb1EPKfPS5_mNS0_19identity_decomposerEEE10hipError_tT1_T2_PT3_SF_jT4_jjP12ihipStream_tbEUlT_E0_NS1_11comp_targetILNS1_3genE10ELNS1_11target_archE1201ELNS1_3gpuE5ELNS1_3repE0EEENS1_52radix_sort_onesweep_histogram_config_static_selectorELNS0_4arch9wavefront6targetE0EEEvSD_.kd
    .uniform_work_group_size: 1
    .uses_dynamic_stack: false
    .vgpr_count:     0
    .vgpr_spill_count: 0
    .wavefront_size: 32
  - .args:
      - .address_space:  global
        .offset:         0
        .size:           8
        .value_kind:     global_buffer
    .group_segment_fixed_size: 0
    .kernarg_segment_align: 8
    .kernarg_segment_size: 8
    .language:       OpenCL C
    .language_version:
      - 2
      - 0
    .max_flat_workgroup_size: 1024
    .name:           _ZN7rocprim17ROCPRIM_400000_NS6detail17trampoline_kernelINS0_14default_configENS1_35radix_sort_onesweep_config_selectorIfNS0_10empty_typeEEEZNS1_34radix_sort_onesweep_global_offsetsIS3_Lb1EPKfPS5_mNS0_19identity_decomposerEEE10hipError_tT1_T2_PT3_SF_jT4_jjP12ihipStream_tbEUlT_E0_NS1_11comp_targetILNS1_3genE9ELNS1_11target_archE1100ELNS1_3gpuE3ELNS1_3repE0EEENS1_52radix_sort_onesweep_histogram_config_static_selectorELNS0_4arch9wavefront6targetE0EEEvSD_
    .private_segment_fixed_size: 0
    .sgpr_count:     0
    .sgpr_spill_count: 0
    .symbol:         _ZN7rocprim17ROCPRIM_400000_NS6detail17trampoline_kernelINS0_14default_configENS1_35radix_sort_onesweep_config_selectorIfNS0_10empty_typeEEEZNS1_34radix_sort_onesweep_global_offsetsIS3_Lb1EPKfPS5_mNS0_19identity_decomposerEEE10hipError_tT1_T2_PT3_SF_jT4_jjP12ihipStream_tbEUlT_E0_NS1_11comp_targetILNS1_3genE9ELNS1_11target_archE1100ELNS1_3gpuE3ELNS1_3repE0EEENS1_52radix_sort_onesweep_histogram_config_static_selectorELNS0_4arch9wavefront6targetE0EEEvSD_.kd
    .uniform_work_group_size: 1
    .uses_dynamic_stack: false
    .vgpr_count:     0
    .vgpr_spill_count: 0
    .wavefront_size: 32
  - .args:
      - .address_space:  global
        .offset:         0
        .size:           8
        .value_kind:     global_buffer
    .group_segment_fixed_size: 0
    .kernarg_segment_align: 8
    .kernarg_segment_size: 8
    .language:       OpenCL C
    .language_version:
      - 2
      - 0
    .max_flat_workgroup_size: 1024
    .name:           _ZN7rocprim17ROCPRIM_400000_NS6detail17trampoline_kernelINS0_14default_configENS1_35radix_sort_onesweep_config_selectorIfNS0_10empty_typeEEEZNS1_34radix_sort_onesweep_global_offsetsIS3_Lb1EPKfPS5_mNS0_19identity_decomposerEEE10hipError_tT1_T2_PT3_SF_jT4_jjP12ihipStream_tbEUlT_E0_NS1_11comp_targetILNS1_3genE8ELNS1_11target_archE1030ELNS1_3gpuE2ELNS1_3repE0EEENS1_52radix_sort_onesweep_histogram_config_static_selectorELNS0_4arch9wavefront6targetE0EEEvSD_
    .private_segment_fixed_size: 0
    .sgpr_count:     0
    .sgpr_spill_count: 0
    .symbol:         _ZN7rocprim17ROCPRIM_400000_NS6detail17trampoline_kernelINS0_14default_configENS1_35radix_sort_onesweep_config_selectorIfNS0_10empty_typeEEEZNS1_34radix_sort_onesweep_global_offsetsIS3_Lb1EPKfPS5_mNS0_19identity_decomposerEEE10hipError_tT1_T2_PT3_SF_jT4_jjP12ihipStream_tbEUlT_E0_NS1_11comp_targetILNS1_3genE8ELNS1_11target_archE1030ELNS1_3gpuE2ELNS1_3repE0EEENS1_52radix_sort_onesweep_histogram_config_static_selectorELNS0_4arch9wavefront6targetE0EEEvSD_.kd
    .uniform_work_group_size: 1
    .uses_dynamic_stack: false
    .vgpr_count:     0
    .vgpr_spill_count: 0
    .wavefront_size: 32
  - .args:
      - .offset:         0
        .size:           40
        .value_kind:     by_value
      - .offset:         40
        .size:           4
        .value_kind:     hidden_block_count_x
      - .offset:         44
        .size:           4
        .value_kind:     hidden_block_count_y
      - .offset:         48
        .size:           4
        .value_kind:     hidden_block_count_z
      - .offset:         52
        .size:           2
        .value_kind:     hidden_group_size_x
      - .offset:         54
        .size:           2
        .value_kind:     hidden_group_size_y
      - .offset:         56
        .size:           2
        .value_kind:     hidden_group_size_z
      - .offset:         58
        .size:           2
        .value_kind:     hidden_remainder_x
      - .offset:         60
        .size:           2
        .value_kind:     hidden_remainder_y
      - .offset:         62
        .size:           2
        .value_kind:     hidden_remainder_z
      - .offset:         80
        .size:           8
        .value_kind:     hidden_global_offset_x
      - .offset:         88
        .size:           8
        .value_kind:     hidden_global_offset_y
      - .offset:         96
        .size:           8
        .value_kind:     hidden_global_offset_z
      - .offset:         104
        .size:           2
        .value_kind:     hidden_grid_dims
    .group_segment_fixed_size: 0
    .kernarg_segment_align: 8
    .kernarg_segment_size: 296
    .language:       OpenCL C
    .language_version:
      - 2
      - 0
    .max_flat_workgroup_size: 128
    .name:           _ZN7rocprim17ROCPRIM_400000_NS6detail17trampoline_kernelINS0_14default_configENS1_25transform_config_selectorIfLb1EEEZNS1_14transform_implILb1ES3_S5_PKfPfNS0_8identityIfEEEE10hipError_tT2_T3_mT4_P12ihipStream_tbEUlT_E_NS1_11comp_targetILNS1_3genE0ELNS1_11target_archE4294967295ELNS1_3gpuE0ELNS1_3repE0EEENS1_30default_config_static_selectorELNS0_4arch9wavefront6targetE0EEEvT1_
    .private_segment_fixed_size: 0
    .sgpr_count:     16
    .sgpr_spill_count: 0
    .symbol:         _ZN7rocprim17ROCPRIM_400000_NS6detail17trampoline_kernelINS0_14default_configENS1_25transform_config_selectorIfLb1EEEZNS1_14transform_implILb1ES3_S5_PKfPfNS0_8identityIfEEEE10hipError_tT2_T3_mT4_P12ihipStream_tbEUlT_E_NS1_11comp_targetILNS1_3genE0ELNS1_11target_archE4294967295ELNS1_3gpuE0ELNS1_3repE0EEENS1_30default_config_static_selectorELNS0_4arch9wavefront6targetE0EEEvT1_.kd
    .uniform_work_group_size: 1
    .uses_dynamic_stack: false
    .vgpr_count:     4
    .vgpr_spill_count: 0
    .wavefront_size: 32
  - .args:
      - .offset:         0
        .size:           40
        .value_kind:     by_value
    .group_segment_fixed_size: 0
    .kernarg_segment_align: 8
    .kernarg_segment_size: 40
    .language:       OpenCL C
    .language_version:
      - 2
      - 0
    .max_flat_workgroup_size: 1024
    .name:           _ZN7rocprim17ROCPRIM_400000_NS6detail17trampoline_kernelINS0_14default_configENS1_25transform_config_selectorIfLb1EEEZNS1_14transform_implILb1ES3_S5_PKfPfNS0_8identityIfEEEE10hipError_tT2_T3_mT4_P12ihipStream_tbEUlT_E_NS1_11comp_targetILNS1_3genE10ELNS1_11target_archE1201ELNS1_3gpuE5ELNS1_3repE0EEENS1_30default_config_static_selectorELNS0_4arch9wavefront6targetE0EEEvT1_
    .private_segment_fixed_size: 0
    .sgpr_count:     0
    .sgpr_spill_count: 0
    .symbol:         _ZN7rocprim17ROCPRIM_400000_NS6detail17trampoline_kernelINS0_14default_configENS1_25transform_config_selectorIfLb1EEEZNS1_14transform_implILb1ES3_S5_PKfPfNS0_8identityIfEEEE10hipError_tT2_T3_mT4_P12ihipStream_tbEUlT_E_NS1_11comp_targetILNS1_3genE10ELNS1_11target_archE1201ELNS1_3gpuE5ELNS1_3repE0EEENS1_30default_config_static_selectorELNS0_4arch9wavefront6targetE0EEEvT1_.kd
    .uniform_work_group_size: 1
    .uses_dynamic_stack: false
    .vgpr_count:     0
    .vgpr_spill_count: 0
    .wavefront_size: 32
  - .args:
      - .offset:         0
        .size:           40
        .value_kind:     by_value
    .group_segment_fixed_size: 0
    .kernarg_segment_align: 8
    .kernarg_segment_size: 40
    .language:       OpenCL C
    .language_version:
      - 2
      - 0
    .max_flat_workgroup_size: 256
    .name:           _ZN7rocprim17ROCPRIM_400000_NS6detail17trampoline_kernelINS0_14default_configENS1_25transform_config_selectorIfLb1EEEZNS1_14transform_implILb1ES3_S5_PKfPfNS0_8identityIfEEEE10hipError_tT2_T3_mT4_P12ihipStream_tbEUlT_E_NS1_11comp_targetILNS1_3genE5ELNS1_11target_archE942ELNS1_3gpuE9ELNS1_3repE0EEENS1_30default_config_static_selectorELNS0_4arch9wavefront6targetE0EEEvT1_
    .private_segment_fixed_size: 0
    .sgpr_count:     0
    .sgpr_spill_count: 0
    .symbol:         _ZN7rocprim17ROCPRIM_400000_NS6detail17trampoline_kernelINS0_14default_configENS1_25transform_config_selectorIfLb1EEEZNS1_14transform_implILb1ES3_S5_PKfPfNS0_8identityIfEEEE10hipError_tT2_T3_mT4_P12ihipStream_tbEUlT_E_NS1_11comp_targetILNS1_3genE5ELNS1_11target_archE942ELNS1_3gpuE9ELNS1_3repE0EEENS1_30default_config_static_selectorELNS0_4arch9wavefront6targetE0EEEvT1_.kd
    .uniform_work_group_size: 1
    .uses_dynamic_stack: false
    .vgpr_count:     0
    .vgpr_spill_count: 0
    .wavefront_size: 32
  - .args:
      - .offset:         0
        .size:           40
        .value_kind:     by_value
    .group_segment_fixed_size: 0
    .kernarg_segment_align: 8
    .kernarg_segment_size: 40
    .language:       OpenCL C
    .language_version:
      - 2
      - 0
    .max_flat_workgroup_size: 1024
    .name:           _ZN7rocprim17ROCPRIM_400000_NS6detail17trampoline_kernelINS0_14default_configENS1_25transform_config_selectorIfLb1EEEZNS1_14transform_implILb1ES3_S5_PKfPfNS0_8identityIfEEEE10hipError_tT2_T3_mT4_P12ihipStream_tbEUlT_E_NS1_11comp_targetILNS1_3genE4ELNS1_11target_archE910ELNS1_3gpuE8ELNS1_3repE0EEENS1_30default_config_static_selectorELNS0_4arch9wavefront6targetE0EEEvT1_
    .private_segment_fixed_size: 0
    .sgpr_count:     0
    .sgpr_spill_count: 0
    .symbol:         _ZN7rocprim17ROCPRIM_400000_NS6detail17trampoline_kernelINS0_14default_configENS1_25transform_config_selectorIfLb1EEEZNS1_14transform_implILb1ES3_S5_PKfPfNS0_8identityIfEEEE10hipError_tT2_T3_mT4_P12ihipStream_tbEUlT_E_NS1_11comp_targetILNS1_3genE4ELNS1_11target_archE910ELNS1_3gpuE8ELNS1_3repE0EEENS1_30default_config_static_selectorELNS0_4arch9wavefront6targetE0EEEvT1_.kd
    .uniform_work_group_size: 1
    .uses_dynamic_stack: false
    .vgpr_count:     0
    .vgpr_spill_count: 0
    .wavefront_size: 32
  - .args:
      - .offset:         0
        .size:           40
        .value_kind:     by_value
    .group_segment_fixed_size: 0
    .kernarg_segment_align: 8
    .kernarg_segment_size: 40
    .language:       OpenCL C
    .language_version:
      - 2
      - 0
    .max_flat_workgroup_size: 128
    .name:           _ZN7rocprim17ROCPRIM_400000_NS6detail17trampoline_kernelINS0_14default_configENS1_25transform_config_selectorIfLb1EEEZNS1_14transform_implILb1ES3_S5_PKfPfNS0_8identityIfEEEE10hipError_tT2_T3_mT4_P12ihipStream_tbEUlT_E_NS1_11comp_targetILNS1_3genE3ELNS1_11target_archE908ELNS1_3gpuE7ELNS1_3repE0EEENS1_30default_config_static_selectorELNS0_4arch9wavefront6targetE0EEEvT1_
    .private_segment_fixed_size: 0
    .sgpr_count:     0
    .sgpr_spill_count: 0
    .symbol:         _ZN7rocprim17ROCPRIM_400000_NS6detail17trampoline_kernelINS0_14default_configENS1_25transform_config_selectorIfLb1EEEZNS1_14transform_implILb1ES3_S5_PKfPfNS0_8identityIfEEEE10hipError_tT2_T3_mT4_P12ihipStream_tbEUlT_E_NS1_11comp_targetILNS1_3genE3ELNS1_11target_archE908ELNS1_3gpuE7ELNS1_3repE0EEENS1_30default_config_static_selectorELNS0_4arch9wavefront6targetE0EEEvT1_.kd
    .uniform_work_group_size: 1
    .uses_dynamic_stack: false
    .vgpr_count:     0
    .vgpr_spill_count: 0
    .wavefront_size: 32
  - .args:
      - .offset:         0
        .size:           40
        .value_kind:     by_value
    .group_segment_fixed_size: 0
    .kernarg_segment_align: 8
    .kernarg_segment_size: 40
    .language:       OpenCL C
    .language_version:
      - 2
      - 0
    .max_flat_workgroup_size: 1024
    .name:           _ZN7rocprim17ROCPRIM_400000_NS6detail17trampoline_kernelINS0_14default_configENS1_25transform_config_selectorIfLb1EEEZNS1_14transform_implILb1ES3_S5_PKfPfNS0_8identityIfEEEE10hipError_tT2_T3_mT4_P12ihipStream_tbEUlT_E_NS1_11comp_targetILNS1_3genE2ELNS1_11target_archE906ELNS1_3gpuE6ELNS1_3repE0EEENS1_30default_config_static_selectorELNS0_4arch9wavefront6targetE0EEEvT1_
    .private_segment_fixed_size: 0
    .sgpr_count:     0
    .sgpr_spill_count: 0
    .symbol:         _ZN7rocprim17ROCPRIM_400000_NS6detail17trampoline_kernelINS0_14default_configENS1_25transform_config_selectorIfLb1EEEZNS1_14transform_implILb1ES3_S5_PKfPfNS0_8identityIfEEEE10hipError_tT2_T3_mT4_P12ihipStream_tbEUlT_E_NS1_11comp_targetILNS1_3genE2ELNS1_11target_archE906ELNS1_3gpuE6ELNS1_3repE0EEENS1_30default_config_static_selectorELNS0_4arch9wavefront6targetE0EEEvT1_.kd
    .uniform_work_group_size: 1
    .uses_dynamic_stack: false
    .vgpr_count:     0
    .vgpr_spill_count: 0
    .wavefront_size: 32
  - .args:
      - .offset:         0
        .size:           40
        .value_kind:     by_value
    .group_segment_fixed_size: 0
    .kernarg_segment_align: 8
    .kernarg_segment_size: 40
    .language:       OpenCL C
    .language_version:
      - 2
      - 0
    .max_flat_workgroup_size: 1024
    .name:           _ZN7rocprim17ROCPRIM_400000_NS6detail17trampoline_kernelINS0_14default_configENS1_25transform_config_selectorIfLb1EEEZNS1_14transform_implILb1ES3_S5_PKfPfNS0_8identityIfEEEE10hipError_tT2_T3_mT4_P12ihipStream_tbEUlT_E_NS1_11comp_targetILNS1_3genE9ELNS1_11target_archE1100ELNS1_3gpuE3ELNS1_3repE0EEENS1_30default_config_static_selectorELNS0_4arch9wavefront6targetE0EEEvT1_
    .private_segment_fixed_size: 0
    .sgpr_count:     0
    .sgpr_spill_count: 0
    .symbol:         _ZN7rocprim17ROCPRIM_400000_NS6detail17trampoline_kernelINS0_14default_configENS1_25transform_config_selectorIfLb1EEEZNS1_14transform_implILb1ES3_S5_PKfPfNS0_8identityIfEEEE10hipError_tT2_T3_mT4_P12ihipStream_tbEUlT_E_NS1_11comp_targetILNS1_3genE9ELNS1_11target_archE1100ELNS1_3gpuE3ELNS1_3repE0EEENS1_30default_config_static_selectorELNS0_4arch9wavefront6targetE0EEEvT1_.kd
    .uniform_work_group_size: 1
    .uses_dynamic_stack: false
    .vgpr_count:     0
    .vgpr_spill_count: 0
    .wavefront_size: 32
  - .args:
      - .offset:         0
        .size:           40
        .value_kind:     by_value
    .group_segment_fixed_size: 0
    .kernarg_segment_align: 8
    .kernarg_segment_size: 40
    .language:       OpenCL C
    .language_version:
      - 2
      - 0
    .max_flat_workgroup_size: 1024
    .name:           _ZN7rocprim17ROCPRIM_400000_NS6detail17trampoline_kernelINS0_14default_configENS1_25transform_config_selectorIfLb1EEEZNS1_14transform_implILb1ES3_S5_PKfPfNS0_8identityIfEEEE10hipError_tT2_T3_mT4_P12ihipStream_tbEUlT_E_NS1_11comp_targetILNS1_3genE8ELNS1_11target_archE1030ELNS1_3gpuE2ELNS1_3repE0EEENS1_30default_config_static_selectorELNS0_4arch9wavefront6targetE0EEEvT1_
    .private_segment_fixed_size: 0
    .sgpr_count:     0
    .sgpr_spill_count: 0
    .symbol:         _ZN7rocprim17ROCPRIM_400000_NS6detail17trampoline_kernelINS0_14default_configENS1_25transform_config_selectorIfLb1EEEZNS1_14transform_implILb1ES3_S5_PKfPfNS0_8identityIfEEEE10hipError_tT2_T3_mT4_P12ihipStream_tbEUlT_E_NS1_11comp_targetILNS1_3genE8ELNS1_11target_archE1030ELNS1_3gpuE2ELNS1_3repE0EEENS1_30default_config_static_selectorELNS0_4arch9wavefront6targetE0EEEvT1_.kd
    .uniform_work_group_size: 1
    .uses_dynamic_stack: false
    .vgpr_count:     0
    .vgpr_spill_count: 0
    .wavefront_size: 32
  - .args:
      - .offset:         0
        .size:           88
        .value_kind:     by_value
      - .offset:         88
        .size:           4
        .value_kind:     hidden_block_count_x
      - .offset:         92
        .size:           4
        .value_kind:     hidden_block_count_y
      - .offset:         96
        .size:           4
        .value_kind:     hidden_block_count_z
      - .offset:         100
        .size:           2
        .value_kind:     hidden_group_size_x
      - .offset:         102
        .size:           2
        .value_kind:     hidden_group_size_y
      - .offset:         104
        .size:           2
        .value_kind:     hidden_group_size_z
      - .offset:         106
        .size:           2
        .value_kind:     hidden_remainder_x
      - .offset:         108
        .size:           2
        .value_kind:     hidden_remainder_y
      - .offset:         110
        .size:           2
        .value_kind:     hidden_remainder_z
      - .offset:         128
        .size:           8
        .value_kind:     hidden_global_offset_x
      - .offset:         136
        .size:           8
        .value_kind:     hidden_global_offset_y
      - .offset:         144
        .size:           8
        .value_kind:     hidden_global_offset_z
      - .offset:         152
        .size:           2
        .value_kind:     hidden_grid_dims
    .group_segment_fixed_size: 18504
    .kernarg_segment_align: 8
    .kernarg_segment_size: 344
    .language:       OpenCL C
    .language_version:
      - 2
      - 0
    .max_flat_workgroup_size: 512
    .name:           _ZN7rocprim17ROCPRIM_400000_NS6detail17trampoline_kernelINS0_14default_configENS1_35radix_sort_onesweep_config_selectorIfNS0_10empty_typeEEEZZNS1_29radix_sort_onesweep_iterationIS3_Lb1EPKfPfPS5_SB_mNS0_19identity_decomposerENS1_16block_id_wrapperIjLb1EEEEE10hipError_tT1_PNSt15iterator_traitsISG_E10value_typeET2_T3_PNSH_ISM_E10value_typeET4_T5_PSR_SS_PNS1_23onesweep_lookback_stateEbbT6_jjT7_P12ihipStream_tbENKUlT_T0_SG_SL_E_clIS9_SA_SB_SB_EEDaSZ_S10_SG_SL_EUlSZ_E_NS1_11comp_targetILNS1_3genE0ELNS1_11target_archE4294967295ELNS1_3gpuE0ELNS1_3repE0EEENS1_47radix_sort_onesweep_sort_config_static_selectorELNS0_4arch9wavefront6targetE0EEEvSG_
    .private_segment_fixed_size: 0
    .sgpr_count:     32
    .sgpr_spill_count: 0
    .symbol:         _ZN7rocprim17ROCPRIM_400000_NS6detail17trampoline_kernelINS0_14default_configENS1_35radix_sort_onesweep_config_selectorIfNS0_10empty_typeEEEZZNS1_29radix_sort_onesweep_iterationIS3_Lb1EPKfPfPS5_SB_mNS0_19identity_decomposerENS1_16block_id_wrapperIjLb1EEEEE10hipError_tT1_PNSt15iterator_traitsISG_E10value_typeET2_T3_PNSH_ISM_E10value_typeET4_T5_PSR_SS_PNS1_23onesweep_lookback_stateEbbT6_jjT7_P12ihipStream_tbENKUlT_T0_SG_SL_E_clIS9_SA_SB_SB_EEDaSZ_S10_SG_SL_EUlSZ_E_NS1_11comp_targetILNS1_3genE0ELNS1_11target_archE4294967295ELNS1_3gpuE0ELNS1_3repE0EEENS1_47radix_sort_onesweep_sort_config_static_selectorELNS0_4arch9wavefront6targetE0EEEvSG_.kd
    .uniform_work_group_size: 1
    .uses_dynamic_stack: false
    .vgpr_count:     65
    .vgpr_spill_count: 0
    .wavefront_size: 32
  - .args:
      - .offset:         0
        .size:           88
        .value_kind:     by_value
    .group_segment_fixed_size: 0
    .kernarg_segment_align: 8
    .kernarg_segment_size: 88
    .language:       OpenCL C
    .language_version:
      - 2
      - 0
    .max_flat_workgroup_size: 1024
    .name:           _ZN7rocprim17ROCPRIM_400000_NS6detail17trampoline_kernelINS0_14default_configENS1_35radix_sort_onesweep_config_selectorIfNS0_10empty_typeEEEZZNS1_29radix_sort_onesweep_iterationIS3_Lb1EPKfPfPS5_SB_mNS0_19identity_decomposerENS1_16block_id_wrapperIjLb1EEEEE10hipError_tT1_PNSt15iterator_traitsISG_E10value_typeET2_T3_PNSH_ISM_E10value_typeET4_T5_PSR_SS_PNS1_23onesweep_lookback_stateEbbT6_jjT7_P12ihipStream_tbENKUlT_T0_SG_SL_E_clIS9_SA_SB_SB_EEDaSZ_S10_SG_SL_EUlSZ_E_NS1_11comp_targetILNS1_3genE6ELNS1_11target_archE950ELNS1_3gpuE13ELNS1_3repE0EEENS1_47radix_sort_onesweep_sort_config_static_selectorELNS0_4arch9wavefront6targetE0EEEvSG_
    .private_segment_fixed_size: 0
    .sgpr_count:     0
    .sgpr_spill_count: 0
    .symbol:         _ZN7rocprim17ROCPRIM_400000_NS6detail17trampoline_kernelINS0_14default_configENS1_35radix_sort_onesweep_config_selectorIfNS0_10empty_typeEEEZZNS1_29radix_sort_onesweep_iterationIS3_Lb1EPKfPfPS5_SB_mNS0_19identity_decomposerENS1_16block_id_wrapperIjLb1EEEEE10hipError_tT1_PNSt15iterator_traitsISG_E10value_typeET2_T3_PNSH_ISM_E10value_typeET4_T5_PSR_SS_PNS1_23onesweep_lookback_stateEbbT6_jjT7_P12ihipStream_tbENKUlT_T0_SG_SL_E_clIS9_SA_SB_SB_EEDaSZ_S10_SG_SL_EUlSZ_E_NS1_11comp_targetILNS1_3genE6ELNS1_11target_archE950ELNS1_3gpuE13ELNS1_3repE0EEENS1_47radix_sort_onesweep_sort_config_static_selectorELNS0_4arch9wavefront6targetE0EEEvSG_.kd
    .uniform_work_group_size: 1
    .uses_dynamic_stack: false
    .vgpr_count:     0
    .vgpr_spill_count: 0
    .wavefront_size: 32
  - .args:
      - .offset:         0
        .size:           88
        .value_kind:     by_value
    .group_segment_fixed_size: 0
    .kernarg_segment_align: 8
    .kernarg_segment_size: 88
    .language:       OpenCL C
    .language_version:
      - 2
      - 0
    .max_flat_workgroup_size: 1024
    .name:           _ZN7rocprim17ROCPRIM_400000_NS6detail17trampoline_kernelINS0_14default_configENS1_35radix_sort_onesweep_config_selectorIfNS0_10empty_typeEEEZZNS1_29radix_sort_onesweep_iterationIS3_Lb1EPKfPfPS5_SB_mNS0_19identity_decomposerENS1_16block_id_wrapperIjLb1EEEEE10hipError_tT1_PNSt15iterator_traitsISG_E10value_typeET2_T3_PNSH_ISM_E10value_typeET4_T5_PSR_SS_PNS1_23onesweep_lookback_stateEbbT6_jjT7_P12ihipStream_tbENKUlT_T0_SG_SL_E_clIS9_SA_SB_SB_EEDaSZ_S10_SG_SL_EUlSZ_E_NS1_11comp_targetILNS1_3genE5ELNS1_11target_archE942ELNS1_3gpuE9ELNS1_3repE0EEENS1_47radix_sort_onesweep_sort_config_static_selectorELNS0_4arch9wavefront6targetE0EEEvSG_
    .private_segment_fixed_size: 0
    .sgpr_count:     0
    .sgpr_spill_count: 0
    .symbol:         _ZN7rocprim17ROCPRIM_400000_NS6detail17trampoline_kernelINS0_14default_configENS1_35radix_sort_onesweep_config_selectorIfNS0_10empty_typeEEEZZNS1_29radix_sort_onesweep_iterationIS3_Lb1EPKfPfPS5_SB_mNS0_19identity_decomposerENS1_16block_id_wrapperIjLb1EEEEE10hipError_tT1_PNSt15iterator_traitsISG_E10value_typeET2_T3_PNSH_ISM_E10value_typeET4_T5_PSR_SS_PNS1_23onesweep_lookback_stateEbbT6_jjT7_P12ihipStream_tbENKUlT_T0_SG_SL_E_clIS9_SA_SB_SB_EEDaSZ_S10_SG_SL_EUlSZ_E_NS1_11comp_targetILNS1_3genE5ELNS1_11target_archE942ELNS1_3gpuE9ELNS1_3repE0EEENS1_47radix_sort_onesweep_sort_config_static_selectorELNS0_4arch9wavefront6targetE0EEEvSG_.kd
    .uniform_work_group_size: 1
    .uses_dynamic_stack: false
    .vgpr_count:     0
    .vgpr_spill_count: 0
    .wavefront_size: 32
  - .args:
      - .offset:         0
        .size:           88
        .value_kind:     by_value
    .group_segment_fixed_size: 0
    .kernarg_segment_align: 8
    .kernarg_segment_size: 88
    .language:       OpenCL C
    .language_version:
      - 2
      - 0
    .max_flat_workgroup_size: 512
    .name:           _ZN7rocprim17ROCPRIM_400000_NS6detail17trampoline_kernelINS0_14default_configENS1_35radix_sort_onesweep_config_selectorIfNS0_10empty_typeEEEZZNS1_29radix_sort_onesweep_iterationIS3_Lb1EPKfPfPS5_SB_mNS0_19identity_decomposerENS1_16block_id_wrapperIjLb1EEEEE10hipError_tT1_PNSt15iterator_traitsISG_E10value_typeET2_T3_PNSH_ISM_E10value_typeET4_T5_PSR_SS_PNS1_23onesweep_lookback_stateEbbT6_jjT7_P12ihipStream_tbENKUlT_T0_SG_SL_E_clIS9_SA_SB_SB_EEDaSZ_S10_SG_SL_EUlSZ_E_NS1_11comp_targetILNS1_3genE2ELNS1_11target_archE906ELNS1_3gpuE6ELNS1_3repE0EEENS1_47radix_sort_onesweep_sort_config_static_selectorELNS0_4arch9wavefront6targetE0EEEvSG_
    .private_segment_fixed_size: 0
    .sgpr_count:     0
    .sgpr_spill_count: 0
    .symbol:         _ZN7rocprim17ROCPRIM_400000_NS6detail17trampoline_kernelINS0_14default_configENS1_35radix_sort_onesweep_config_selectorIfNS0_10empty_typeEEEZZNS1_29radix_sort_onesweep_iterationIS3_Lb1EPKfPfPS5_SB_mNS0_19identity_decomposerENS1_16block_id_wrapperIjLb1EEEEE10hipError_tT1_PNSt15iterator_traitsISG_E10value_typeET2_T3_PNSH_ISM_E10value_typeET4_T5_PSR_SS_PNS1_23onesweep_lookback_stateEbbT6_jjT7_P12ihipStream_tbENKUlT_T0_SG_SL_E_clIS9_SA_SB_SB_EEDaSZ_S10_SG_SL_EUlSZ_E_NS1_11comp_targetILNS1_3genE2ELNS1_11target_archE906ELNS1_3gpuE6ELNS1_3repE0EEENS1_47radix_sort_onesweep_sort_config_static_selectorELNS0_4arch9wavefront6targetE0EEEvSG_.kd
    .uniform_work_group_size: 1
    .uses_dynamic_stack: false
    .vgpr_count:     0
    .vgpr_spill_count: 0
    .wavefront_size: 32
  - .args:
      - .offset:         0
        .size:           88
        .value_kind:     by_value
    .group_segment_fixed_size: 0
    .kernarg_segment_align: 8
    .kernarg_segment_size: 88
    .language:       OpenCL C
    .language_version:
      - 2
      - 0
    .max_flat_workgroup_size: 1024
    .name:           _ZN7rocprim17ROCPRIM_400000_NS6detail17trampoline_kernelINS0_14default_configENS1_35radix_sort_onesweep_config_selectorIfNS0_10empty_typeEEEZZNS1_29radix_sort_onesweep_iterationIS3_Lb1EPKfPfPS5_SB_mNS0_19identity_decomposerENS1_16block_id_wrapperIjLb1EEEEE10hipError_tT1_PNSt15iterator_traitsISG_E10value_typeET2_T3_PNSH_ISM_E10value_typeET4_T5_PSR_SS_PNS1_23onesweep_lookback_stateEbbT6_jjT7_P12ihipStream_tbENKUlT_T0_SG_SL_E_clIS9_SA_SB_SB_EEDaSZ_S10_SG_SL_EUlSZ_E_NS1_11comp_targetILNS1_3genE4ELNS1_11target_archE910ELNS1_3gpuE8ELNS1_3repE0EEENS1_47radix_sort_onesweep_sort_config_static_selectorELNS0_4arch9wavefront6targetE0EEEvSG_
    .private_segment_fixed_size: 0
    .sgpr_count:     0
    .sgpr_spill_count: 0
    .symbol:         _ZN7rocprim17ROCPRIM_400000_NS6detail17trampoline_kernelINS0_14default_configENS1_35radix_sort_onesweep_config_selectorIfNS0_10empty_typeEEEZZNS1_29radix_sort_onesweep_iterationIS3_Lb1EPKfPfPS5_SB_mNS0_19identity_decomposerENS1_16block_id_wrapperIjLb1EEEEE10hipError_tT1_PNSt15iterator_traitsISG_E10value_typeET2_T3_PNSH_ISM_E10value_typeET4_T5_PSR_SS_PNS1_23onesweep_lookback_stateEbbT6_jjT7_P12ihipStream_tbENKUlT_T0_SG_SL_E_clIS9_SA_SB_SB_EEDaSZ_S10_SG_SL_EUlSZ_E_NS1_11comp_targetILNS1_3genE4ELNS1_11target_archE910ELNS1_3gpuE8ELNS1_3repE0EEENS1_47radix_sort_onesweep_sort_config_static_selectorELNS0_4arch9wavefront6targetE0EEEvSG_.kd
    .uniform_work_group_size: 1
    .uses_dynamic_stack: false
    .vgpr_count:     0
    .vgpr_spill_count: 0
    .wavefront_size: 32
  - .args:
      - .offset:         0
        .size:           88
        .value_kind:     by_value
    .group_segment_fixed_size: 0
    .kernarg_segment_align: 8
    .kernarg_segment_size: 88
    .language:       OpenCL C
    .language_version:
      - 2
      - 0
    .max_flat_workgroup_size: 512
    .name:           _ZN7rocprim17ROCPRIM_400000_NS6detail17trampoline_kernelINS0_14default_configENS1_35radix_sort_onesweep_config_selectorIfNS0_10empty_typeEEEZZNS1_29radix_sort_onesweep_iterationIS3_Lb1EPKfPfPS5_SB_mNS0_19identity_decomposerENS1_16block_id_wrapperIjLb1EEEEE10hipError_tT1_PNSt15iterator_traitsISG_E10value_typeET2_T3_PNSH_ISM_E10value_typeET4_T5_PSR_SS_PNS1_23onesweep_lookback_stateEbbT6_jjT7_P12ihipStream_tbENKUlT_T0_SG_SL_E_clIS9_SA_SB_SB_EEDaSZ_S10_SG_SL_EUlSZ_E_NS1_11comp_targetILNS1_3genE3ELNS1_11target_archE908ELNS1_3gpuE7ELNS1_3repE0EEENS1_47radix_sort_onesweep_sort_config_static_selectorELNS0_4arch9wavefront6targetE0EEEvSG_
    .private_segment_fixed_size: 0
    .sgpr_count:     0
    .sgpr_spill_count: 0
    .symbol:         _ZN7rocprim17ROCPRIM_400000_NS6detail17trampoline_kernelINS0_14default_configENS1_35radix_sort_onesweep_config_selectorIfNS0_10empty_typeEEEZZNS1_29radix_sort_onesweep_iterationIS3_Lb1EPKfPfPS5_SB_mNS0_19identity_decomposerENS1_16block_id_wrapperIjLb1EEEEE10hipError_tT1_PNSt15iterator_traitsISG_E10value_typeET2_T3_PNSH_ISM_E10value_typeET4_T5_PSR_SS_PNS1_23onesweep_lookback_stateEbbT6_jjT7_P12ihipStream_tbENKUlT_T0_SG_SL_E_clIS9_SA_SB_SB_EEDaSZ_S10_SG_SL_EUlSZ_E_NS1_11comp_targetILNS1_3genE3ELNS1_11target_archE908ELNS1_3gpuE7ELNS1_3repE0EEENS1_47radix_sort_onesweep_sort_config_static_selectorELNS0_4arch9wavefront6targetE0EEEvSG_.kd
    .uniform_work_group_size: 1
    .uses_dynamic_stack: false
    .vgpr_count:     0
    .vgpr_spill_count: 0
    .wavefront_size: 32
  - .args:
      - .offset:         0
        .size:           88
        .value_kind:     by_value
    .group_segment_fixed_size: 0
    .kernarg_segment_align: 8
    .kernarg_segment_size: 88
    .language:       OpenCL C
    .language_version:
      - 2
      - 0
    .max_flat_workgroup_size: 512
    .name:           _ZN7rocprim17ROCPRIM_400000_NS6detail17trampoline_kernelINS0_14default_configENS1_35radix_sort_onesweep_config_selectorIfNS0_10empty_typeEEEZZNS1_29radix_sort_onesweep_iterationIS3_Lb1EPKfPfPS5_SB_mNS0_19identity_decomposerENS1_16block_id_wrapperIjLb1EEEEE10hipError_tT1_PNSt15iterator_traitsISG_E10value_typeET2_T3_PNSH_ISM_E10value_typeET4_T5_PSR_SS_PNS1_23onesweep_lookback_stateEbbT6_jjT7_P12ihipStream_tbENKUlT_T0_SG_SL_E_clIS9_SA_SB_SB_EEDaSZ_S10_SG_SL_EUlSZ_E_NS1_11comp_targetILNS1_3genE10ELNS1_11target_archE1201ELNS1_3gpuE5ELNS1_3repE0EEENS1_47radix_sort_onesweep_sort_config_static_selectorELNS0_4arch9wavefront6targetE0EEEvSG_
    .private_segment_fixed_size: 0
    .sgpr_count:     0
    .sgpr_spill_count: 0
    .symbol:         _ZN7rocprim17ROCPRIM_400000_NS6detail17trampoline_kernelINS0_14default_configENS1_35radix_sort_onesweep_config_selectorIfNS0_10empty_typeEEEZZNS1_29radix_sort_onesweep_iterationIS3_Lb1EPKfPfPS5_SB_mNS0_19identity_decomposerENS1_16block_id_wrapperIjLb1EEEEE10hipError_tT1_PNSt15iterator_traitsISG_E10value_typeET2_T3_PNSH_ISM_E10value_typeET4_T5_PSR_SS_PNS1_23onesweep_lookback_stateEbbT6_jjT7_P12ihipStream_tbENKUlT_T0_SG_SL_E_clIS9_SA_SB_SB_EEDaSZ_S10_SG_SL_EUlSZ_E_NS1_11comp_targetILNS1_3genE10ELNS1_11target_archE1201ELNS1_3gpuE5ELNS1_3repE0EEENS1_47radix_sort_onesweep_sort_config_static_selectorELNS0_4arch9wavefront6targetE0EEEvSG_.kd
    .uniform_work_group_size: 1
    .uses_dynamic_stack: false
    .vgpr_count:     0
    .vgpr_spill_count: 0
    .wavefront_size: 32
  - .args:
      - .offset:         0
        .size:           88
        .value_kind:     by_value
    .group_segment_fixed_size: 0
    .kernarg_segment_align: 8
    .kernarg_segment_size: 88
    .language:       OpenCL C
    .language_version:
      - 2
      - 0
    .max_flat_workgroup_size: 1024
    .name:           _ZN7rocprim17ROCPRIM_400000_NS6detail17trampoline_kernelINS0_14default_configENS1_35radix_sort_onesweep_config_selectorIfNS0_10empty_typeEEEZZNS1_29radix_sort_onesweep_iterationIS3_Lb1EPKfPfPS5_SB_mNS0_19identity_decomposerENS1_16block_id_wrapperIjLb1EEEEE10hipError_tT1_PNSt15iterator_traitsISG_E10value_typeET2_T3_PNSH_ISM_E10value_typeET4_T5_PSR_SS_PNS1_23onesweep_lookback_stateEbbT6_jjT7_P12ihipStream_tbENKUlT_T0_SG_SL_E_clIS9_SA_SB_SB_EEDaSZ_S10_SG_SL_EUlSZ_E_NS1_11comp_targetILNS1_3genE9ELNS1_11target_archE1100ELNS1_3gpuE3ELNS1_3repE0EEENS1_47radix_sort_onesweep_sort_config_static_selectorELNS0_4arch9wavefront6targetE0EEEvSG_
    .private_segment_fixed_size: 0
    .sgpr_count:     0
    .sgpr_spill_count: 0
    .symbol:         _ZN7rocprim17ROCPRIM_400000_NS6detail17trampoline_kernelINS0_14default_configENS1_35radix_sort_onesweep_config_selectorIfNS0_10empty_typeEEEZZNS1_29radix_sort_onesweep_iterationIS3_Lb1EPKfPfPS5_SB_mNS0_19identity_decomposerENS1_16block_id_wrapperIjLb1EEEEE10hipError_tT1_PNSt15iterator_traitsISG_E10value_typeET2_T3_PNSH_ISM_E10value_typeET4_T5_PSR_SS_PNS1_23onesweep_lookback_stateEbbT6_jjT7_P12ihipStream_tbENKUlT_T0_SG_SL_E_clIS9_SA_SB_SB_EEDaSZ_S10_SG_SL_EUlSZ_E_NS1_11comp_targetILNS1_3genE9ELNS1_11target_archE1100ELNS1_3gpuE3ELNS1_3repE0EEENS1_47radix_sort_onesweep_sort_config_static_selectorELNS0_4arch9wavefront6targetE0EEEvSG_.kd
    .uniform_work_group_size: 1
    .uses_dynamic_stack: false
    .vgpr_count:     0
    .vgpr_spill_count: 0
    .wavefront_size: 32
  - .args:
      - .offset:         0
        .size:           88
        .value_kind:     by_value
    .group_segment_fixed_size: 0
    .kernarg_segment_align: 8
    .kernarg_segment_size: 88
    .language:       OpenCL C
    .language_version:
      - 2
      - 0
    .max_flat_workgroup_size: 1024
    .name:           _ZN7rocprim17ROCPRIM_400000_NS6detail17trampoline_kernelINS0_14default_configENS1_35radix_sort_onesweep_config_selectorIfNS0_10empty_typeEEEZZNS1_29radix_sort_onesweep_iterationIS3_Lb1EPKfPfPS5_SB_mNS0_19identity_decomposerENS1_16block_id_wrapperIjLb1EEEEE10hipError_tT1_PNSt15iterator_traitsISG_E10value_typeET2_T3_PNSH_ISM_E10value_typeET4_T5_PSR_SS_PNS1_23onesweep_lookback_stateEbbT6_jjT7_P12ihipStream_tbENKUlT_T0_SG_SL_E_clIS9_SA_SB_SB_EEDaSZ_S10_SG_SL_EUlSZ_E_NS1_11comp_targetILNS1_3genE8ELNS1_11target_archE1030ELNS1_3gpuE2ELNS1_3repE0EEENS1_47radix_sort_onesweep_sort_config_static_selectorELNS0_4arch9wavefront6targetE0EEEvSG_
    .private_segment_fixed_size: 0
    .sgpr_count:     0
    .sgpr_spill_count: 0
    .symbol:         _ZN7rocprim17ROCPRIM_400000_NS6detail17trampoline_kernelINS0_14default_configENS1_35radix_sort_onesweep_config_selectorIfNS0_10empty_typeEEEZZNS1_29radix_sort_onesweep_iterationIS3_Lb1EPKfPfPS5_SB_mNS0_19identity_decomposerENS1_16block_id_wrapperIjLb1EEEEE10hipError_tT1_PNSt15iterator_traitsISG_E10value_typeET2_T3_PNSH_ISM_E10value_typeET4_T5_PSR_SS_PNS1_23onesweep_lookback_stateEbbT6_jjT7_P12ihipStream_tbENKUlT_T0_SG_SL_E_clIS9_SA_SB_SB_EEDaSZ_S10_SG_SL_EUlSZ_E_NS1_11comp_targetILNS1_3genE8ELNS1_11target_archE1030ELNS1_3gpuE2ELNS1_3repE0EEENS1_47radix_sort_onesweep_sort_config_static_selectorELNS0_4arch9wavefront6targetE0EEEvSG_.kd
    .uniform_work_group_size: 1
    .uses_dynamic_stack: false
    .vgpr_count:     0
    .vgpr_spill_count: 0
    .wavefront_size: 32
  - .args:
      - .offset:         0
        .size:           88
        .value_kind:     by_value
      - .offset:         88
        .size:           4
        .value_kind:     hidden_block_count_x
      - .offset:         92
        .size:           4
        .value_kind:     hidden_block_count_y
      - .offset:         96
        .size:           4
        .value_kind:     hidden_block_count_z
      - .offset:         100
        .size:           2
        .value_kind:     hidden_group_size_x
      - .offset:         102
        .size:           2
        .value_kind:     hidden_group_size_y
      - .offset:         104
        .size:           2
        .value_kind:     hidden_group_size_z
      - .offset:         106
        .size:           2
        .value_kind:     hidden_remainder_x
      - .offset:         108
        .size:           2
        .value_kind:     hidden_remainder_y
      - .offset:         110
        .size:           2
        .value_kind:     hidden_remainder_z
      - .offset:         128
        .size:           8
        .value_kind:     hidden_global_offset_x
      - .offset:         136
        .size:           8
        .value_kind:     hidden_global_offset_y
      - .offset:         144
        .size:           8
        .value_kind:     hidden_global_offset_z
      - .offset:         152
        .size:           2
        .value_kind:     hidden_grid_dims
    .group_segment_fixed_size: 18504
    .kernarg_segment_align: 8
    .kernarg_segment_size: 344
    .language:       OpenCL C
    .language_version:
      - 2
      - 0
    .max_flat_workgroup_size: 512
    .name:           _ZN7rocprim17ROCPRIM_400000_NS6detail17trampoline_kernelINS0_14default_configENS1_35radix_sort_onesweep_config_selectorIfNS0_10empty_typeEEEZZNS1_29radix_sort_onesweep_iterationIS3_Lb1EPKfPfPS5_SB_mNS0_19identity_decomposerENS1_16block_id_wrapperIjLb1EEEEE10hipError_tT1_PNSt15iterator_traitsISG_E10value_typeET2_T3_PNSH_ISM_E10value_typeET4_T5_PSR_SS_PNS1_23onesweep_lookback_stateEbbT6_jjT7_P12ihipStream_tbENKUlT_T0_SG_SL_E_clISA_SA_SB_SB_EEDaSZ_S10_SG_SL_EUlSZ_E_NS1_11comp_targetILNS1_3genE0ELNS1_11target_archE4294967295ELNS1_3gpuE0ELNS1_3repE0EEENS1_47radix_sort_onesweep_sort_config_static_selectorELNS0_4arch9wavefront6targetE0EEEvSG_
    .private_segment_fixed_size: 0
    .sgpr_count:     32
    .sgpr_spill_count: 0
    .symbol:         _ZN7rocprim17ROCPRIM_400000_NS6detail17trampoline_kernelINS0_14default_configENS1_35radix_sort_onesweep_config_selectorIfNS0_10empty_typeEEEZZNS1_29radix_sort_onesweep_iterationIS3_Lb1EPKfPfPS5_SB_mNS0_19identity_decomposerENS1_16block_id_wrapperIjLb1EEEEE10hipError_tT1_PNSt15iterator_traitsISG_E10value_typeET2_T3_PNSH_ISM_E10value_typeET4_T5_PSR_SS_PNS1_23onesweep_lookback_stateEbbT6_jjT7_P12ihipStream_tbENKUlT_T0_SG_SL_E_clISA_SA_SB_SB_EEDaSZ_S10_SG_SL_EUlSZ_E_NS1_11comp_targetILNS1_3genE0ELNS1_11target_archE4294967295ELNS1_3gpuE0ELNS1_3repE0EEENS1_47radix_sort_onesweep_sort_config_static_selectorELNS0_4arch9wavefront6targetE0EEEvSG_.kd
    .uniform_work_group_size: 1
    .uses_dynamic_stack: false
    .vgpr_count:     65
    .vgpr_spill_count: 0
    .wavefront_size: 32
  - .args:
      - .offset:         0
        .size:           88
        .value_kind:     by_value
    .group_segment_fixed_size: 0
    .kernarg_segment_align: 8
    .kernarg_segment_size: 88
    .language:       OpenCL C
    .language_version:
      - 2
      - 0
    .max_flat_workgroup_size: 1024
    .name:           _ZN7rocprim17ROCPRIM_400000_NS6detail17trampoline_kernelINS0_14default_configENS1_35radix_sort_onesweep_config_selectorIfNS0_10empty_typeEEEZZNS1_29radix_sort_onesweep_iterationIS3_Lb1EPKfPfPS5_SB_mNS0_19identity_decomposerENS1_16block_id_wrapperIjLb1EEEEE10hipError_tT1_PNSt15iterator_traitsISG_E10value_typeET2_T3_PNSH_ISM_E10value_typeET4_T5_PSR_SS_PNS1_23onesweep_lookback_stateEbbT6_jjT7_P12ihipStream_tbENKUlT_T0_SG_SL_E_clISA_SA_SB_SB_EEDaSZ_S10_SG_SL_EUlSZ_E_NS1_11comp_targetILNS1_3genE6ELNS1_11target_archE950ELNS1_3gpuE13ELNS1_3repE0EEENS1_47radix_sort_onesweep_sort_config_static_selectorELNS0_4arch9wavefront6targetE0EEEvSG_
    .private_segment_fixed_size: 0
    .sgpr_count:     0
    .sgpr_spill_count: 0
    .symbol:         _ZN7rocprim17ROCPRIM_400000_NS6detail17trampoline_kernelINS0_14default_configENS1_35radix_sort_onesweep_config_selectorIfNS0_10empty_typeEEEZZNS1_29radix_sort_onesweep_iterationIS3_Lb1EPKfPfPS5_SB_mNS0_19identity_decomposerENS1_16block_id_wrapperIjLb1EEEEE10hipError_tT1_PNSt15iterator_traitsISG_E10value_typeET2_T3_PNSH_ISM_E10value_typeET4_T5_PSR_SS_PNS1_23onesweep_lookback_stateEbbT6_jjT7_P12ihipStream_tbENKUlT_T0_SG_SL_E_clISA_SA_SB_SB_EEDaSZ_S10_SG_SL_EUlSZ_E_NS1_11comp_targetILNS1_3genE6ELNS1_11target_archE950ELNS1_3gpuE13ELNS1_3repE0EEENS1_47radix_sort_onesweep_sort_config_static_selectorELNS0_4arch9wavefront6targetE0EEEvSG_.kd
    .uniform_work_group_size: 1
    .uses_dynamic_stack: false
    .vgpr_count:     0
    .vgpr_spill_count: 0
    .wavefront_size: 32
  - .args:
      - .offset:         0
        .size:           88
        .value_kind:     by_value
    .group_segment_fixed_size: 0
    .kernarg_segment_align: 8
    .kernarg_segment_size: 88
    .language:       OpenCL C
    .language_version:
      - 2
      - 0
    .max_flat_workgroup_size: 1024
    .name:           _ZN7rocprim17ROCPRIM_400000_NS6detail17trampoline_kernelINS0_14default_configENS1_35radix_sort_onesweep_config_selectorIfNS0_10empty_typeEEEZZNS1_29radix_sort_onesweep_iterationIS3_Lb1EPKfPfPS5_SB_mNS0_19identity_decomposerENS1_16block_id_wrapperIjLb1EEEEE10hipError_tT1_PNSt15iterator_traitsISG_E10value_typeET2_T3_PNSH_ISM_E10value_typeET4_T5_PSR_SS_PNS1_23onesweep_lookback_stateEbbT6_jjT7_P12ihipStream_tbENKUlT_T0_SG_SL_E_clISA_SA_SB_SB_EEDaSZ_S10_SG_SL_EUlSZ_E_NS1_11comp_targetILNS1_3genE5ELNS1_11target_archE942ELNS1_3gpuE9ELNS1_3repE0EEENS1_47radix_sort_onesweep_sort_config_static_selectorELNS0_4arch9wavefront6targetE0EEEvSG_
    .private_segment_fixed_size: 0
    .sgpr_count:     0
    .sgpr_spill_count: 0
    .symbol:         _ZN7rocprim17ROCPRIM_400000_NS6detail17trampoline_kernelINS0_14default_configENS1_35radix_sort_onesweep_config_selectorIfNS0_10empty_typeEEEZZNS1_29radix_sort_onesweep_iterationIS3_Lb1EPKfPfPS5_SB_mNS0_19identity_decomposerENS1_16block_id_wrapperIjLb1EEEEE10hipError_tT1_PNSt15iterator_traitsISG_E10value_typeET2_T3_PNSH_ISM_E10value_typeET4_T5_PSR_SS_PNS1_23onesweep_lookback_stateEbbT6_jjT7_P12ihipStream_tbENKUlT_T0_SG_SL_E_clISA_SA_SB_SB_EEDaSZ_S10_SG_SL_EUlSZ_E_NS1_11comp_targetILNS1_3genE5ELNS1_11target_archE942ELNS1_3gpuE9ELNS1_3repE0EEENS1_47radix_sort_onesweep_sort_config_static_selectorELNS0_4arch9wavefront6targetE0EEEvSG_.kd
    .uniform_work_group_size: 1
    .uses_dynamic_stack: false
    .vgpr_count:     0
    .vgpr_spill_count: 0
    .wavefront_size: 32
  - .args:
      - .offset:         0
        .size:           88
        .value_kind:     by_value
    .group_segment_fixed_size: 0
    .kernarg_segment_align: 8
    .kernarg_segment_size: 88
    .language:       OpenCL C
    .language_version:
      - 2
      - 0
    .max_flat_workgroup_size: 512
    .name:           _ZN7rocprim17ROCPRIM_400000_NS6detail17trampoline_kernelINS0_14default_configENS1_35radix_sort_onesweep_config_selectorIfNS0_10empty_typeEEEZZNS1_29radix_sort_onesweep_iterationIS3_Lb1EPKfPfPS5_SB_mNS0_19identity_decomposerENS1_16block_id_wrapperIjLb1EEEEE10hipError_tT1_PNSt15iterator_traitsISG_E10value_typeET2_T3_PNSH_ISM_E10value_typeET4_T5_PSR_SS_PNS1_23onesweep_lookback_stateEbbT6_jjT7_P12ihipStream_tbENKUlT_T0_SG_SL_E_clISA_SA_SB_SB_EEDaSZ_S10_SG_SL_EUlSZ_E_NS1_11comp_targetILNS1_3genE2ELNS1_11target_archE906ELNS1_3gpuE6ELNS1_3repE0EEENS1_47radix_sort_onesweep_sort_config_static_selectorELNS0_4arch9wavefront6targetE0EEEvSG_
    .private_segment_fixed_size: 0
    .sgpr_count:     0
    .sgpr_spill_count: 0
    .symbol:         _ZN7rocprim17ROCPRIM_400000_NS6detail17trampoline_kernelINS0_14default_configENS1_35radix_sort_onesweep_config_selectorIfNS0_10empty_typeEEEZZNS1_29radix_sort_onesweep_iterationIS3_Lb1EPKfPfPS5_SB_mNS0_19identity_decomposerENS1_16block_id_wrapperIjLb1EEEEE10hipError_tT1_PNSt15iterator_traitsISG_E10value_typeET2_T3_PNSH_ISM_E10value_typeET4_T5_PSR_SS_PNS1_23onesweep_lookback_stateEbbT6_jjT7_P12ihipStream_tbENKUlT_T0_SG_SL_E_clISA_SA_SB_SB_EEDaSZ_S10_SG_SL_EUlSZ_E_NS1_11comp_targetILNS1_3genE2ELNS1_11target_archE906ELNS1_3gpuE6ELNS1_3repE0EEENS1_47radix_sort_onesweep_sort_config_static_selectorELNS0_4arch9wavefront6targetE0EEEvSG_.kd
    .uniform_work_group_size: 1
    .uses_dynamic_stack: false
    .vgpr_count:     0
    .vgpr_spill_count: 0
    .wavefront_size: 32
  - .args:
      - .offset:         0
        .size:           88
        .value_kind:     by_value
    .group_segment_fixed_size: 0
    .kernarg_segment_align: 8
    .kernarg_segment_size: 88
    .language:       OpenCL C
    .language_version:
      - 2
      - 0
    .max_flat_workgroup_size: 1024
    .name:           _ZN7rocprim17ROCPRIM_400000_NS6detail17trampoline_kernelINS0_14default_configENS1_35radix_sort_onesweep_config_selectorIfNS0_10empty_typeEEEZZNS1_29radix_sort_onesweep_iterationIS3_Lb1EPKfPfPS5_SB_mNS0_19identity_decomposerENS1_16block_id_wrapperIjLb1EEEEE10hipError_tT1_PNSt15iterator_traitsISG_E10value_typeET2_T3_PNSH_ISM_E10value_typeET4_T5_PSR_SS_PNS1_23onesweep_lookback_stateEbbT6_jjT7_P12ihipStream_tbENKUlT_T0_SG_SL_E_clISA_SA_SB_SB_EEDaSZ_S10_SG_SL_EUlSZ_E_NS1_11comp_targetILNS1_3genE4ELNS1_11target_archE910ELNS1_3gpuE8ELNS1_3repE0EEENS1_47radix_sort_onesweep_sort_config_static_selectorELNS0_4arch9wavefront6targetE0EEEvSG_
    .private_segment_fixed_size: 0
    .sgpr_count:     0
    .sgpr_spill_count: 0
    .symbol:         _ZN7rocprim17ROCPRIM_400000_NS6detail17trampoline_kernelINS0_14default_configENS1_35radix_sort_onesweep_config_selectorIfNS0_10empty_typeEEEZZNS1_29radix_sort_onesweep_iterationIS3_Lb1EPKfPfPS5_SB_mNS0_19identity_decomposerENS1_16block_id_wrapperIjLb1EEEEE10hipError_tT1_PNSt15iterator_traitsISG_E10value_typeET2_T3_PNSH_ISM_E10value_typeET4_T5_PSR_SS_PNS1_23onesweep_lookback_stateEbbT6_jjT7_P12ihipStream_tbENKUlT_T0_SG_SL_E_clISA_SA_SB_SB_EEDaSZ_S10_SG_SL_EUlSZ_E_NS1_11comp_targetILNS1_3genE4ELNS1_11target_archE910ELNS1_3gpuE8ELNS1_3repE0EEENS1_47radix_sort_onesweep_sort_config_static_selectorELNS0_4arch9wavefront6targetE0EEEvSG_.kd
    .uniform_work_group_size: 1
    .uses_dynamic_stack: false
    .vgpr_count:     0
    .vgpr_spill_count: 0
    .wavefront_size: 32
  - .args:
      - .offset:         0
        .size:           88
        .value_kind:     by_value
    .group_segment_fixed_size: 0
    .kernarg_segment_align: 8
    .kernarg_segment_size: 88
    .language:       OpenCL C
    .language_version:
      - 2
      - 0
    .max_flat_workgroup_size: 512
    .name:           _ZN7rocprim17ROCPRIM_400000_NS6detail17trampoline_kernelINS0_14default_configENS1_35radix_sort_onesweep_config_selectorIfNS0_10empty_typeEEEZZNS1_29radix_sort_onesweep_iterationIS3_Lb1EPKfPfPS5_SB_mNS0_19identity_decomposerENS1_16block_id_wrapperIjLb1EEEEE10hipError_tT1_PNSt15iterator_traitsISG_E10value_typeET2_T3_PNSH_ISM_E10value_typeET4_T5_PSR_SS_PNS1_23onesweep_lookback_stateEbbT6_jjT7_P12ihipStream_tbENKUlT_T0_SG_SL_E_clISA_SA_SB_SB_EEDaSZ_S10_SG_SL_EUlSZ_E_NS1_11comp_targetILNS1_3genE3ELNS1_11target_archE908ELNS1_3gpuE7ELNS1_3repE0EEENS1_47radix_sort_onesweep_sort_config_static_selectorELNS0_4arch9wavefront6targetE0EEEvSG_
    .private_segment_fixed_size: 0
    .sgpr_count:     0
    .sgpr_spill_count: 0
    .symbol:         _ZN7rocprim17ROCPRIM_400000_NS6detail17trampoline_kernelINS0_14default_configENS1_35radix_sort_onesweep_config_selectorIfNS0_10empty_typeEEEZZNS1_29radix_sort_onesweep_iterationIS3_Lb1EPKfPfPS5_SB_mNS0_19identity_decomposerENS1_16block_id_wrapperIjLb1EEEEE10hipError_tT1_PNSt15iterator_traitsISG_E10value_typeET2_T3_PNSH_ISM_E10value_typeET4_T5_PSR_SS_PNS1_23onesweep_lookback_stateEbbT6_jjT7_P12ihipStream_tbENKUlT_T0_SG_SL_E_clISA_SA_SB_SB_EEDaSZ_S10_SG_SL_EUlSZ_E_NS1_11comp_targetILNS1_3genE3ELNS1_11target_archE908ELNS1_3gpuE7ELNS1_3repE0EEENS1_47radix_sort_onesweep_sort_config_static_selectorELNS0_4arch9wavefront6targetE0EEEvSG_.kd
    .uniform_work_group_size: 1
    .uses_dynamic_stack: false
    .vgpr_count:     0
    .vgpr_spill_count: 0
    .wavefront_size: 32
  - .args:
      - .offset:         0
        .size:           88
        .value_kind:     by_value
    .group_segment_fixed_size: 0
    .kernarg_segment_align: 8
    .kernarg_segment_size: 88
    .language:       OpenCL C
    .language_version:
      - 2
      - 0
    .max_flat_workgroup_size: 512
    .name:           _ZN7rocprim17ROCPRIM_400000_NS6detail17trampoline_kernelINS0_14default_configENS1_35radix_sort_onesweep_config_selectorIfNS0_10empty_typeEEEZZNS1_29radix_sort_onesweep_iterationIS3_Lb1EPKfPfPS5_SB_mNS0_19identity_decomposerENS1_16block_id_wrapperIjLb1EEEEE10hipError_tT1_PNSt15iterator_traitsISG_E10value_typeET2_T3_PNSH_ISM_E10value_typeET4_T5_PSR_SS_PNS1_23onesweep_lookback_stateEbbT6_jjT7_P12ihipStream_tbENKUlT_T0_SG_SL_E_clISA_SA_SB_SB_EEDaSZ_S10_SG_SL_EUlSZ_E_NS1_11comp_targetILNS1_3genE10ELNS1_11target_archE1201ELNS1_3gpuE5ELNS1_3repE0EEENS1_47radix_sort_onesweep_sort_config_static_selectorELNS0_4arch9wavefront6targetE0EEEvSG_
    .private_segment_fixed_size: 0
    .sgpr_count:     0
    .sgpr_spill_count: 0
    .symbol:         _ZN7rocprim17ROCPRIM_400000_NS6detail17trampoline_kernelINS0_14default_configENS1_35radix_sort_onesweep_config_selectorIfNS0_10empty_typeEEEZZNS1_29radix_sort_onesweep_iterationIS3_Lb1EPKfPfPS5_SB_mNS0_19identity_decomposerENS1_16block_id_wrapperIjLb1EEEEE10hipError_tT1_PNSt15iterator_traitsISG_E10value_typeET2_T3_PNSH_ISM_E10value_typeET4_T5_PSR_SS_PNS1_23onesweep_lookback_stateEbbT6_jjT7_P12ihipStream_tbENKUlT_T0_SG_SL_E_clISA_SA_SB_SB_EEDaSZ_S10_SG_SL_EUlSZ_E_NS1_11comp_targetILNS1_3genE10ELNS1_11target_archE1201ELNS1_3gpuE5ELNS1_3repE0EEENS1_47radix_sort_onesweep_sort_config_static_selectorELNS0_4arch9wavefront6targetE0EEEvSG_.kd
    .uniform_work_group_size: 1
    .uses_dynamic_stack: false
    .vgpr_count:     0
    .vgpr_spill_count: 0
    .wavefront_size: 32
  - .args:
      - .offset:         0
        .size:           88
        .value_kind:     by_value
    .group_segment_fixed_size: 0
    .kernarg_segment_align: 8
    .kernarg_segment_size: 88
    .language:       OpenCL C
    .language_version:
      - 2
      - 0
    .max_flat_workgroup_size: 1024
    .name:           _ZN7rocprim17ROCPRIM_400000_NS6detail17trampoline_kernelINS0_14default_configENS1_35radix_sort_onesweep_config_selectorIfNS0_10empty_typeEEEZZNS1_29radix_sort_onesweep_iterationIS3_Lb1EPKfPfPS5_SB_mNS0_19identity_decomposerENS1_16block_id_wrapperIjLb1EEEEE10hipError_tT1_PNSt15iterator_traitsISG_E10value_typeET2_T3_PNSH_ISM_E10value_typeET4_T5_PSR_SS_PNS1_23onesweep_lookback_stateEbbT6_jjT7_P12ihipStream_tbENKUlT_T0_SG_SL_E_clISA_SA_SB_SB_EEDaSZ_S10_SG_SL_EUlSZ_E_NS1_11comp_targetILNS1_3genE9ELNS1_11target_archE1100ELNS1_3gpuE3ELNS1_3repE0EEENS1_47radix_sort_onesweep_sort_config_static_selectorELNS0_4arch9wavefront6targetE0EEEvSG_
    .private_segment_fixed_size: 0
    .sgpr_count:     0
    .sgpr_spill_count: 0
    .symbol:         _ZN7rocprim17ROCPRIM_400000_NS6detail17trampoline_kernelINS0_14default_configENS1_35radix_sort_onesweep_config_selectorIfNS0_10empty_typeEEEZZNS1_29radix_sort_onesweep_iterationIS3_Lb1EPKfPfPS5_SB_mNS0_19identity_decomposerENS1_16block_id_wrapperIjLb1EEEEE10hipError_tT1_PNSt15iterator_traitsISG_E10value_typeET2_T3_PNSH_ISM_E10value_typeET4_T5_PSR_SS_PNS1_23onesweep_lookback_stateEbbT6_jjT7_P12ihipStream_tbENKUlT_T0_SG_SL_E_clISA_SA_SB_SB_EEDaSZ_S10_SG_SL_EUlSZ_E_NS1_11comp_targetILNS1_3genE9ELNS1_11target_archE1100ELNS1_3gpuE3ELNS1_3repE0EEENS1_47radix_sort_onesweep_sort_config_static_selectorELNS0_4arch9wavefront6targetE0EEEvSG_.kd
    .uniform_work_group_size: 1
    .uses_dynamic_stack: false
    .vgpr_count:     0
    .vgpr_spill_count: 0
    .wavefront_size: 32
  - .args:
      - .offset:         0
        .size:           88
        .value_kind:     by_value
    .group_segment_fixed_size: 0
    .kernarg_segment_align: 8
    .kernarg_segment_size: 88
    .language:       OpenCL C
    .language_version:
      - 2
      - 0
    .max_flat_workgroup_size: 1024
    .name:           _ZN7rocprim17ROCPRIM_400000_NS6detail17trampoline_kernelINS0_14default_configENS1_35radix_sort_onesweep_config_selectorIfNS0_10empty_typeEEEZZNS1_29radix_sort_onesweep_iterationIS3_Lb1EPKfPfPS5_SB_mNS0_19identity_decomposerENS1_16block_id_wrapperIjLb1EEEEE10hipError_tT1_PNSt15iterator_traitsISG_E10value_typeET2_T3_PNSH_ISM_E10value_typeET4_T5_PSR_SS_PNS1_23onesweep_lookback_stateEbbT6_jjT7_P12ihipStream_tbENKUlT_T0_SG_SL_E_clISA_SA_SB_SB_EEDaSZ_S10_SG_SL_EUlSZ_E_NS1_11comp_targetILNS1_3genE8ELNS1_11target_archE1030ELNS1_3gpuE2ELNS1_3repE0EEENS1_47radix_sort_onesweep_sort_config_static_selectorELNS0_4arch9wavefront6targetE0EEEvSG_
    .private_segment_fixed_size: 0
    .sgpr_count:     0
    .sgpr_spill_count: 0
    .symbol:         _ZN7rocprim17ROCPRIM_400000_NS6detail17trampoline_kernelINS0_14default_configENS1_35radix_sort_onesweep_config_selectorIfNS0_10empty_typeEEEZZNS1_29radix_sort_onesweep_iterationIS3_Lb1EPKfPfPS5_SB_mNS0_19identity_decomposerENS1_16block_id_wrapperIjLb1EEEEE10hipError_tT1_PNSt15iterator_traitsISG_E10value_typeET2_T3_PNSH_ISM_E10value_typeET4_T5_PSR_SS_PNS1_23onesweep_lookback_stateEbbT6_jjT7_P12ihipStream_tbENKUlT_T0_SG_SL_E_clISA_SA_SB_SB_EEDaSZ_S10_SG_SL_EUlSZ_E_NS1_11comp_targetILNS1_3genE8ELNS1_11target_archE1030ELNS1_3gpuE2ELNS1_3repE0EEENS1_47radix_sort_onesweep_sort_config_static_selectorELNS0_4arch9wavefront6targetE0EEEvSG_.kd
    .uniform_work_group_size: 1
    .uses_dynamic_stack: false
    .vgpr_count:     0
    .vgpr_spill_count: 0
    .wavefront_size: 32
  - .args:
      - .offset:         0
        .size:           88
        .value_kind:     by_value
      - .offset:         88
        .size:           4
        .value_kind:     hidden_block_count_x
      - .offset:         92
        .size:           4
        .value_kind:     hidden_block_count_y
      - .offset:         96
        .size:           4
        .value_kind:     hidden_block_count_z
      - .offset:         100
        .size:           2
        .value_kind:     hidden_group_size_x
      - .offset:         102
        .size:           2
        .value_kind:     hidden_group_size_y
      - .offset:         104
        .size:           2
        .value_kind:     hidden_group_size_z
      - .offset:         106
        .size:           2
        .value_kind:     hidden_remainder_x
      - .offset:         108
        .size:           2
        .value_kind:     hidden_remainder_y
      - .offset:         110
        .size:           2
        .value_kind:     hidden_remainder_z
      - .offset:         128
        .size:           8
        .value_kind:     hidden_global_offset_x
      - .offset:         136
        .size:           8
        .value_kind:     hidden_global_offset_y
      - .offset:         144
        .size:           8
        .value_kind:     hidden_global_offset_z
      - .offset:         152
        .size:           2
        .value_kind:     hidden_grid_dims
    .group_segment_fixed_size: 18504
    .kernarg_segment_align: 8
    .kernarg_segment_size: 344
    .language:       OpenCL C
    .language_version:
      - 2
      - 0
    .max_flat_workgroup_size: 512
    .name:           _ZN7rocprim17ROCPRIM_400000_NS6detail17trampoline_kernelINS0_14default_configENS1_35radix_sort_onesweep_config_selectorIfNS0_10empty_typeEEEZZNS1_29radix_sort_onesweep_iterationIS3_Lb1EPKfPfPS5_SB_mNS0_19identity_decomposerENS1_16block_id_wrapperIjLb0EEEEE10hipError_tT1_PNSt15iterator_traitsISG_E10value_typeET2_T3_PNSH_ISM_E10value_typeET4_T5_PSR_SS_PNS1_23onesweep_lookback_stateEbbT6_jjT7_P12ihipStream_tbENKUlT_T0_SG_SL_E_clIS9_SA_SB_SB_EEDaSZ_S10_SG_SL_EUlSZ_E_NS1_11comp_targetILNS1_3genE0ELNS1_11target_archE4294967295ELNS1_3gpuE0ELNS1_3repE0EEENS1_47radix_sort_onesweep_sort_config_static_selectorELNS0_4arch9wavefront6targetE0EEEvSG_
    .private_segment_fixed_size: 0
    .sgpr_count:     30
    .sgpr_spill_count: 0
    .symbol:         _ZN7rocprim17ROCPRIM_400000_NS6detail17trampoline_kernelINS0_14default_configENS1_35radix_sort_onesweep_config_selectorIfNS0_10empty_typeEEEZZNS1_29radix_sort_onesweep_iterationIS3_Lb1EPKfPfPS5_SB_mNS0_19identity_decomposerENS1_16block_id_wrapperIjLb0EEEEE10hipError_tT1_PNSt15iterator_traitsISG_E10value_typeET2_T3_PNSH_ISM_E10value_typeET4_T5_PSR_SS_PNS1_23onesweep_lookback_stateEbbT6_jjT7_P12ihipStream_tbENKUlT_T0_SG_SL_E_clIS9_SA_SB_SB_EEDaSZ_S10_SG_SL_EUlSZ_E_NS1_11comp_targetILNS1_3genE0ELNS1_11target_archE4294967295ELNS1_3gpuE0ELNS1_3repE0EEENS1_47radix_sort_onesweep_sort_config_static_selectorELNS0_4arch9wavefront6targetE0EEEvSG_.kd
    .uniform_work_group_size: 1
    .uses_dynamic_stack: false
    .vgpr_count:     65
    .vgpr_spill_count: 0
    .wavefront_size: 32
  - .args:
      - .offset:         0
        .size:           88
        .value_kind:     by_value
    .group_segment_fixed_size: 0
    .kernarg_segment_align: 8
    .kernarg_segment_size: 88
    .language:       OpenCL C
    .language_version:
      - 2
      - 0
    .max_flat_workgroup_size: 1024
    .name:           _ZN7rocprim17ROCPRIM_400000_NS6detail17trampoline_kernelINS0_14default_configENS1_35radix_sort_onesweep_config_selectorIfNS0_10empty_typeEEEZZNS1_29radix_sort_onesweep_iterationIS3_Lb1EPKfPfPS5_SB_mNS0_19identity_decomposerENS1_16block_id_wrapperIjLb0EEEEE10hipError_tT1_PNSt15iterator_traitsISG_E10value_typeET2_T3_PNSH_ISM_E10value_typeET4_T5_PSR_SS_PNS1_23onesweep_lookback_stateEbbT6_jjT7_P12ihipStream_tbENKUlT_T0_SG_SL_E_clIS9_SA_SB_SB_EEDaSZ_S10_SG_SL_EUlSZ_E_NS1_11comp_targetILNS1_3genE6ELNS1_11target_archE950ELNS1_3gpuE13ELNS1_3repE0EEENS1_47radix_sort_onesweep_sort_config_static_selectorELNS0_4arch9wavefront6targetE0EEEvSG_
    .private_segment_fixed_size: 0
    .sgpr_count:     0
    .sgpr_spill_count: 0
    .symbol:         _ZN7rocprim17ROCPRIM_400000_NS6detail17trampoline_kernelINS0_14default_configENS1_35radix_sort_onesweep_config_selectorIfNS0_10empty_typeEEEZZNS1_29radix_sort_onesweep_iterationIS3_Lb1EPKfPfPS5_SB_mNS0_19identity_decomposerENS1_16block_id_wrapperIjLb0EEEEE10hipError_tT1_PNSt15iterator_traitsISG_E10value_typeET2_T3_PNSH_ISM_E10value_typeET4_T5_PSR_SS_PNS1_23onesweep_lookback_stateEbbT6_jjT7_P12ihipStream_tbENKUlT_T0_SG_SL_E_clIS9_SA_SB_SB_EEDaSZ_S10_SG_SL_EUlSZ_E_NS1_11comp_targetILNS1_3genE6ELNS1_11target_archE950ELNS1_3gpuE13ELNS1_3repE0EEENS1_47radix_sort_onesweep_sort_config_static_selectorELNS0_4arch9wavefront6targetE0EEEvSG_.kd
    .uniform_work_group_size: 1
    .uses_dynamic_stack: false
    .vgpr_count:     0
    .vgpr_spill_count: 0
    .wavefront_size: 32
  - .args:
      - .offset:         0
        .size:           88
        .value_kind:     by_value
    .group_segment_fixed_size: 0
    .kernarg_segment_align: 8
    .kernarg_segment_size: 88
    .language:       OpenCL C
    .language_version:
      - 2
      - 0
    .max_flat_workgroup_size: 1024
    .name:           _ZN7rocprim17ROCPRIM_400000_NS6detail17trampoline_kernelINS0_14default_configENS1_35radix_sort_onesweep_config_selectorIfNS0_10empty_typeEEEZZNS1_29radix_sort_onesweep_iterationIS3_Lb1EPKfPfPS5_SB_mNS0_19identity_decomposerENS1_16block_id_wrapperIjLb0EEEEE10hipError_tT1_PNSt15iterator_traitsISG_E10value_typeET2_T3_PNSH_ISM_E10value_typeET4_T5_PSR_SS_PNS1_23onesweep_lookback_stateEbbT6_jjT7_P12ihipStream_tbENKUlT_T0_SG_SL_E_clIS9_SA_SB_SB_EEDaSZ_S10_SG_SL_EUlSZ_E_NS1_11comp_targetILNS1_3genE5ELNS1_11target_archE942ELNS1_3gpuE9ELNS1_3repE0EEENS1_47radix_sort_onesweep_sort_config_static_selectorELNS0_4arch9wavefront6targetE0EEEvSG_
    .private_segment_fixed_size: 0
    .sgpr_count:     0
    .sgpr_spill_count: 0
    .symbol:         _ZN7rocprim17ROCPRIM_400000_NS6detail17trampoline_kernelINS0_14default_configENS1_35radix_sort_onesweep_config_selectorIfNS0_10empty_typeEEEZZNS1_29radix_sort_onesweep_iterationIS3_Lb1EPKfPfPS5_SB_mNS0_19identity_decomposerENS1_16block_id_wrapperIjLb0EEEEE10hipError_tT1_PNSt15iterator_traitsISG_E10value_typeET2_T3_PNSH_ISM_E10value_typeET4_T5_PSR_SS_PNS1_23onesweep_lookback_stateEbbT6_jjT7_P12ihipStream_tbENKUlT_T0_SG_SL_E_clIS9_SA_SB_SB_EEDaSZ_S10_SG_SL_EUlSZ_E_NS1_11comp_targetILNS1_3genE5ELNS1_11target_archE942ELNS1_3gpuE9ELNS1_3repE0EEENS1_47radix_sort_onesweep_sort_config_static_selectorELNS0_4arch9wavefront6targetE0EEEvSG_.kd
    .uniform_work_group_size: 1
    .uses_dynamic_stack: false
    .vgpr_count:     0
    .vgpr_spill_count: 0
    .wavefront_size: 32
  - .args:
      - .offset:         0
        .size:           88
        .value_kind:     by_value
    .group_segment_fixed_size: 0
    .kernarg_segment_align: 8
    .kernarg_segment_size: 88
    .language:       OpenCL C
    .language_version:
      - 2
      - 0
    .max_flat_workgroup_size: 512
    .name:           _ZN7rocprim17ROCPRIM_400000_NS6detail17trampoline_kernelINS0_14default_configENS1_35radix_sort_onesweep_config_selectorIfNS0_10empty_typeEEEZZNS1_29radix_sort_onesweep_iterationIS3_Lb1EPKfPfPS5_SB_mNS0_19identity_decomposerENS1_16block_id_wrapperIjLb0EEEEE10hipError_tT1_PNSt15iterator_traitsISG_E10value_typeET2_T3_PNSH_ISM_E10value_typeET4_T5_PSR_SS_PNS1_23onesweep_lookback_stateEbbT6_jjT7_P12ihipStream_tbENKUlT_T0_SG_SL_E_clIS9_SA_SB_SB_EEDaSZ_S10_SG_SL_EUlSZ_E_NS1_11comp_targetILNS1_3genE2ELNS1_11target_archE906ELNS1_3gpuE6ELNS1_3repE0EEENS1_47radix_sort_onesweep_sort_config_static_selectorELNS0_4arch9wavefront6targetE0EEEvSG_
    .private_segment_fixed_size: 0
    .sgpr_count:     0
    .sgpr_spill_count: 0
    .symbol:         _ZN7rocprim17ROCPRIM_400000_NS6detail17trampoline_kernelINS0_14default_configENS1_35radix_sort_onesweep_config_selectorIfNS0_10empty_typeEEEZZNS1_29radix_sort_onesweep_iterationIS3_Lb1EPKfPfPS5_SB_mNS0_19identity_decomposerENS1_16block_id_wrapperIjLb0EEEEE10hipError_tT1_PNSt15iterator_traitsISG_E10value_typeET2_T3_PNSH_ISM_E10value_typeET4_T5_PSR_SS_PNS1_23onesweep_lookback_stateEbbT6_jjT7_P12ihipStream_tbENKUlT_T0_SG_SL_E_clIS9_SA_SB_SB_EEDaSZ_S10_SG_SL_EUlSZ_E_NS1_11comp_targetILNS1_3genE2ELNS1_11target_archE906ELNS1_3gpuE6ELNS1_3repE0EEENS1_47radix_sort_onesweep_sort_config_static_selectorELNS0_4arch9wavefront6targetE0EEEvSG_.kd
    .uniform_work_group_size: 1
    .uses_dynamic_stack: false
    .vgpr_count:     0
    .vgpr_spill_count: 0
    .wavefront_size: 32
  - .args:
      - .offset:         0
        .size:           88
        .value_kind:     by_value
    .group_segment_fixed_size: 0
    .kernarg_segment_align: 8
    .kernarg_segment_size: 88
    .language:       OpenCL C
    .language_version:
      - 2
      - 0
    .max_flat_workgroup_size: 1024
    .name:           _ZN7rocprim17ROCPRIM_400000_NS6detail17trampoline_kernelINS0_14default_configENS1_35radix_sort_onesweep_config_selectorIfNS0_10empty_typeEEEZZNS1_29radix_sort_onesweep_iterationIS3_Lb1EPKfPfPS5_SB_mNS0_19identity_decomposerENS1_16block_id_wrapperIjLb0EEEEE10hipError_tT1_PNSt15iterator_traitsISG_E10value_typeET2_T3_PNSH_ISM_E10value_typeET4_T5_PSR_SS_PNS1_23onesweep_lookback_stateEbbT6_jjT7_P12ihipStream_tbENKUlT_T0_SG_SL_E_clIS9_SA_SB_SB_EEDaSZ_S10_SG_SL_EUlSZ_E_NS1_11comp_targetILNS1_3genE4ELNS1_11target_archE910ELNS1_3gpuE8ELNS1_3repE0EEENS1_47radix_sort_onesweep_sort_config_static_selectorELNS0_4arch9wavefront6targetE0EEEvSG_
    .private_segment_fixed_size: 0
    .sgpr_count:     0
    .sgpr_spill_count: 0
    .symbol:         _ZN7rocprim17ROCPRIM_400000_NS6detail17trampoline_kernelINS0_14default_configENS1_35radix_sort_onesweep_config_selectorIfNS0_10empty_typeEEEZZNS1_29radix_sort_onesweep_iterationIS3_Lb1EPKfPfPS5_SB_mNS0_19identity_decomposerENS1_16block_id_wrapperIjLb0EEEEE10hipError_tT1_PNSt15iterator_traitsISG_E10value_typeET2_T3_PNSH_ISM_E10value_typeET4_T5_PSR_SS_PNS1_23onesweep_lookback_stateEbbT6_jjT7_P12ihipStream_tbENKUlT_T0_SG_SL_E_clIS9_SA_SB_SB_EEDaSZ_S10_SG_SL_EUlSZ_E_NS1_11comp_targetILNS1_3genE4ELNS1_11target_archE910ELNS1_3gpuE8ELNS1_3repE0EEENS1_47radix_sort_onesweep_sort_config_static_selectorELNS0_4arch9wavefront6targetE0EEEvSG_.kd
    .uniform_work_group_size: 1
    .uses_dynamic_stack: false
    .vgpr_count:     0
    .vgpr_spill_count: 0
    .wavefront_size: 32
  - .args:
      - .offset:         0
        .size:           88
        .value_kind:     by_value
    .group_segment_fixed_size: 0
    .kernarg_segment_align: 8
    .kernarg_segment_size: 88
    .language:       OpenCL C
    .language_version:
      - 2
      - 0
    .max_flat_workgroup_size: 512
    .name:           _ZN7rocprim17ROCPRIM_400000_NS6detail17trampoline_kernelINS0_14default_configENS1_35radix_sort_onesweep_config_selectorIfNS0_10empty_typeEEEZZNS1_29radix_sort_onesweep_iterationIS3_Lb1EPKfPfPS5_SB_mNS0_19identity_decomposerENS1_16block_id_wrapperIjLb0EEEEE10hipError_tT1_PNSt15iterator_traitsISG_E10value_typeET2_T3_PNSH_ISM_E10value_typeET4_T5_PSR_SS_PNS1_23onesweep_lookback_stateEbbT6_jjT7_P12ihipStream_tbENKUlT_T0_SG_SL_E_clIS9_SA_SB_SB_EEDaSZ_S10_SG_SL_EUlSZ_E_NS1_11comp_targetILNS1_3genE3ELNS1_11target_archE908ELNS1_3gpuE7ELNS1_3repE0EEENS1_47radix_sort_onesweep_sort_config_static_selectorELNS0_4arch9wavefront6targetE0EEEvSG_
    .private_segment_fixed_size: 0
    .sgpr_count:     0
    .sgpr_spill_count: 0
    .symbol:         _ZN7rocprim17ROCPRIM_400000_NS6detail17trampoline_kernelINS0_14default_configENS1_35radix_sort_onesweep_config_selectorIfNS0_10empty_typeEEEZZNS1_29radix_sort_onesweep_iterationIS3_Lb1EPKfPfPS5_SB_mNS0_19identity_decomposerENS1_16block_id_wrapperIjLb0EEEEE10hipError_tT1_PNSt15iterator_traitsISG_E10value_typeET2_T3_PNSH_ISM_E10value_typeET4_T5_PSR_SS_PNS1_23onesweep_lookback_stateEbbT6_jjT7_P12ihipStream_tbENKUlT_T0_SG_SL_E_clIS9_SA_SB_SB_EEDaSZ_S10_SG_SL_EUlSZ_E_NS1_11comp_targetILNS1_3genE3ELNS1_11target_archE908ELNS1_3gpuE7ELNS1_3repE0EEENS1_47radix_sort_onesweep_sort_config_static_selectorELNS0_4arch9wavefront6targetE0EEEvSG_.kd
    .uniform_work_group_size: 1
    .uses_dynamic_stack: false
    .vgpr_count:     0
    .vgpr_spill_count: 0
    .wavefront_size: 32
  - .args:
      - .offset:         0
        .size:           88
        .value_kind:     by_value
    .group_segment_fixed_size: 0
    .kernarg_segment_align: 8
    .kernarg_segment_size: 88
    .language:       OpenCL C
    .language_version:
      - 2
      - 0
    .max_flat_workgroup_size: 512
    .name:           _ZN7rocprim17ROCPRIM_400000_NS6detail17trampoline_kernelINS0_14default_configENS1_35radix_sort_onesweep_config_selectorIfNS0_10empty_typeEEEZZNS1_29radix_sort_onesweep_iterationIS3_Lb1EPKfPfPS5_SB_mNS0_19identity_decomposerENS1_16block_id_wrapperIjLb0EEEEE10hipError_tT1_PNSt15iterator_traitsISG_E10value_typeET2_T3_PNSH_ISM_E10value_typeET4_T5_PSR_SS_PNS1_23onesweep_lookback_stateEbbT6_jjT7_P12ihipStream_tbENKUlT_T0_SG_SL_E_clIS9_SA_SB_SB_EEDaSZ_S10_SG_SL_EUlSZ_E_NS1_11comp_targetILNS1_3genE10ELNS1_11target_archE1201ELNS1_3gpuE5ELNS1_3repE0EEENS1_47radix_sort_onesweep_sort_config_static_selectorELNS0_4arch9wavefront6targetE0EEEvSG_
    .private_segment_fixed_size: 0
    .sgpr_count:     0
    .sgpr_spill_count: 0
    .symbol:         _ZN7rocprim17ROCPRIM_400000_NS6detail17trampoline_kernelINS0_14default_configENS1_35radix_sort_onesweep_config_selectorIfNS0_10empty_typeEEEZZNS1_29radix_sort_onesweep_iterationIS3_Lb1EPKfPfPS5_SB_mNS0_19identity_decomposerENS1_16block_id_wrapperIjLb0EEEEE10hipError_tT1_PNSt15iterator_traitsISG_E10value_typeET2_T3_PNSH_ISM_E10value_typeET4_T5_PSR_SS_PNS1_23onesweep_lookback_stateEbbT6_jjT7_P12ihipStream_tbENKUlT_T0_SG_SL_E_clIS9_SA_SB_SB_EEDaSZ_S10_SG_SL_EUlSZ_E_NS1_11comp_targetILNS1_3genE10ELNS1_11target_archE1201ELNS1_3gpuE5ELNS1_3repE0EEENS1_47radix_sort_onesweep_sort_config_static_selectorELNS0_4arch9wavefront6targetE0EEEvSG_.kd
    .uniform_work_group_size: 1
    .uses_dynamic_stack: false
    .vgpr_count:     0
    .vgpr_spill_count: 0
    .wavefront_size: 32
  - .args:
      - .offset:         0
        .size:           88
        .value_kind:     by_value
    .group_segment_fixed_size: 0
    .kernarg_segment_align: 8
    .kernarg_segment_size: 88
    .language:       OpenCL C
    .language_version:
      - 2
      - 0
    .max_flat_workgroup_size: 1024
    .name:           _ZN7rocprim17ROCPRIM_400000_NS6detail17trampoline_kernelINS0_14default_configENS1_35radix_sort_onesweep_config_selectorIfNS0_10empty_typeEEEZZNS1_29radix_sort_onesweep_iterationIS3_Lb1EPKfPfPS5_SB_mNS0_19identity_decomposerENS1_16block_id_wrapperIjLb0EEEEE10hipError_tT1_PNSt15iterator_traitsISG_E10value_typeET2_T3_PNSH_ISM_E10value_typeET4_T5_PSR_SS_PNS1_23onesweep_lookback_stateEbbT6_jjT7_P12ihipStream_tbENKUlT_T0_SG_SL_E_clIS9_SA_SB_SB_EEDaSZ_S10_SG_SL_EUlSZ_E_NS1_11comp_targetILNS1_3genE9ELNS1_11target_archE1100ELNS1_3gpuE3ELNS1_3repE0EEENS1_47radix_sort_onesweep_sort_config_static_selectorELNS0_4arch9wavefront6targetE0EEEvSG_
    .private_segment_fixed_size: 0
    .sgpr_count:     0
    .sgpr_spill_count: 0
    .symbol:         _ZN7rocprim17ROCPRIM_400000_NS6detail17trampoline_kernelINS0_14default_configENS1_35radix_sort_onesweep_config_selectorIfNS0_10empty_typeEEEZZNS1_29radix_sort_onesweep_iterationIS3_Lb1EPKfPfPS5_SB_mNS0_19identity_decomposerENS1_16block_id_wrapperIjLb0EEEEE10hipError_tT1_PNSt15iterator_traitsISG_E10value_typeET2_T3_PNSH_ISM_E10value_typeET4_T5_PSR_SS_PNS1_23onesweep_lookback_stateEbbT6_jjT7_P12ihipStream_tbENKUlT_T0_SG_SL_E_clIS9_SA_SB_SB_EEDaSZ_S10_SG_SL_EUlSZ_E_NS1_11comp_targetILNS1_3genE9ELNS1_11target_archE1100ELNS1_3gpuE3ELNS1_3repE0EEENS1_47radix_sort_onesweep_sort_config_static_selectorELNS0_4arch9wavefront6targetE0EEEvSG_.kd
    .uniform_work_group_size: 1
    .uses_dynamic_stack: false
    .vgpr_count:     0
    .vgpr_spill_count: 0
    .wavefront_size: 32
  - .args:
      - .offset:         0
        .size:           88
        .value_kind:     by_value
    .group_segment_fixed_size: 0
    .kernarg_segment_align: 8
    .kernarg_segment_size: 88
    .language:       OpenCL C
    .language_version:
      - 2
      - 0
    .max_flat_workgroup_size: 1024
    .name:           _ZN7rocprim17ROCPRIM_400000_NS6detail17trampoline_kernelINS0_14default_configENS1_35radix_sort_onesweep_config_selectorIfNS0_10empty_typeEEEZZNS1_29radix_sort_onesweep_iterationIS3_Lb1EPKfPfPS5_SB_mNS0_19identity_decomposerENS1_16block_id_wrapperIjLb0EEEEE10hipError_tT1_PNSt15iterator_traitsISG_E10value_typeET2_T3_PNSH_ISM_E10value_typeET4_T5_PSR_SS_PNS1_23onesweep_lookback_stateEbbT6_jjT7_P12ihipStream_tbENKUlT_T0_SG_SL_E_clIS9_SA_SB_SB_EEDaSZ_S10_SG_SL_EUlSZ_E_NS1_11comp_targetILNS1_3genE8ELNS1_11target_archE1030ELNS1_3gpuE2ELNS1_3repE0EEENS1_47radix_sort_onesweep_sort_config_static_selectorELNS0_4arch9wavefront6targetE0EEEvSG_
    .private_segment_fixed_size: 0
    .sgpr_count:     0
    .sgpr_spill_count: 0
    .symbol:         _ZN7rocprim17ROCPRIM_400000_NS6detail17trampoline_kernelINS0_14default_configENS1_35radix_sort_onesweep_config_selectorIfNS0_10empty_typeEEEZZNS1_29radix_sort_onesweep_iterationIS3_Lb1EPKfPfPS5_SB_mNS0_19identity_decomposerENS1_16block_id_wrapperIjLb0EEEEE10hipError_tT1_PNSt15iterator_traitsISG_E10value_typeET2_T3_PNSH_ISM_E10value_typeET4_T5_PSR_SS_PNS1_23onesweep_lookback_stateEbbT6_jjT7_P12ihipStream_tbENKUlT_T0_SG_SL_E_clIS9_SA_SB_SB_EEDaSZ_S10_SG_SL_EUlSZ_E_NS1_11comp_targetILNS1_3genE8ELNS1_11target_archE1030ELNS1_3gpuE2ELNS1_3repE0EEENS1_47radix_sort_onesweep_sort_config_static_selectorELNS0_4arch9wavefront6targetE0EEEvSG_.kd
    .uniform_work_group_size: 1
    .uses_dynamic_stack: false
    .vgpr_count:     0
    .vgpr_spill_count: 0
    .wavefront_size: 32
  - .args:
      - .offset:         0
        .size:           88
        .value_kind:     by_value
      - .offset:         88
        .size:           4
        .value_kind:     hidden_block_count_x
      - .offset:         92
        .size:           4
        .value_kind:     hidden_block_count_y
      - .offset:         96
        .size:           4
        .value_kind:     hidden_block_count_z
      - .offset:         100
        .size:           2
        .value_kind:     hidden_group_size_x
      - .offset:         102
        .size:           2
        .value_kind:     hidden_group_size_y
      - .offset:         104
        .size:           2
        .value_kind:     hidden_group_size_z
      - .offset:         106
        .size:           2
        .value_kind:     hidden_remainder_x
      - .offset:         108
        .size:           2
        .value_kind:     hidden_remainder_y
      - .offset:         110
        .size:           2
        .value_kind:     hidden_remainder_z
      - .offset:         128
        .size:           8
        .value_kind:     hidden_global_offset_x
      - .offset:         136
        .size:           8
        .value_kind:     hidden_global_offset_y
      - .offset:         144
        .size:           8
        .value_kind:     hidden_global_offset_z
      - .offset:         152
        .size:           2
        .value_kind:     hidden_grid_dims
    .group_segment_fixed_size: 18504
    .kernarg_segment_align: 8
    .kernarg_segment_size: 344
    .language:       OpenCL C
    .language_version:
      - 2
      - 0
    .max_flat_workgroup_size: 512
    .name:           _ZN7rocprim17ROCPRIM_400000_NS6detail17trampoline_kernelINS0_14default_configENS1_35radix_sort_onesweep_config_selectorIfNS0_10empty_typeEEEZZNS1_29radix_sort_onesweep_iterationIS3_Lb1EPKfPfPS5_SB_mNS0_19identity_decomposerENS1_16block_id_wrapperIjLb0EEEEE10hipError_tT1_PNSt15iterator_traitsISG_E10value_typeET2_T3_PNSH_ISM_E10value_typeET4_T5_PSR_SS_PNS1_23onesweep_lookback_stateEbbT6_jjT7_P12ihipStream_tbENKUlT_T0_SG_SL_E_clISA_SA_SB_SB_EEDaSZ_S10_SG_SL_EUlSZ_E_NS1_11comp_targetILNS1_3genE0ELNS1_11target_archE4294967295ELNS1_3gpuE0ELNS1_3repE0EEENS1_47radix_sort_onesweep_sort_config_static_selectorELNS0_4arch9wavefront6targetE0EEEvSG_
    .private_segment_fixed_size: 0
    .sgpr_count:     30
    .sgpr_spill_count: 0
    .symbol:         _ZN7rocprim17ROCPRIM_400000_NS6detail17trampoline_kernelINS0_14default_configENS1_35radix_sort_onesweep_config_selectorIfNS0_10empty_typeEEEZZNS1_29radix_sort_onesweep_iterationIS3_Lb1EPKfPfPS5_SB_mNS0_19identity_decomposerENS1_16block_id_wrapperIjLb0EEEEE10hipError_tT1_PNSt15iterator_traitsISG_E10value_typeET2_T3_PNSH_ISM_E10value_typeET4_T5_PSR_SS_PNS1_23onesweep_lookback_stateEbbT6_jjT7_P12ihipStream_tbENKUlT_T0_SG_SL_E_clISA_SA_SB_SB_EEDaSZ_S10_SG_SL_EUlSZ_E_NS1_11comp_targetILNS1_3genE0ELNS1_11target_archE4294967295ELNS1_3gpuE0ELNS1_3repE0EEENS1_47radix_sort_onesweep_sort_config_static_selectorELNS0_4arch9wavefront6targetE0EEEvSG_.kd
    .uniform_work_group_size: 1
    .uses_dynamic_stack: false
    .vgpr_count:     65
    .vgpr_spill_count: 0
    .wavefront_size: 32
  - .args:
      - .offset:         0
        .size:           88
        .value_kind:     by_value
    .group_segment_fixed_size: 0
    .kernarg_segment_align: 8
    .kernarg_segment_size: 88
    .language:       OpenCL C
    .language_version:
      - 2
      - 0
    .max_flat_workgroup_size: 1024
    .name:           _ZN7rocprim17ROCPRIM_400000_NS6detail17trampoline_kernelINS0_14default_configENS1_35radix_sort_onesweep_config_selectorIfNS0_10empty_typeEEEZZNS1_29radix_sort_onesweep_iterationIS3_Lb1EPKfPfPS5_SB_mNS0_19identity_decomposerENS1_16block_id_wrapperIjLb0EEEEE10hipError_tT1_PNSt15iterator_traitsISG_E10value_typeET2_T3_PNSH_ISM_E10value_typeET4_T5_PSR_SS_PNS1_23onesweep_lookback_stateEbbT6_jjT7_P12ihipStream_tbENKUlT_T0_SG_SL_E_clISA_SA_SB_SB_EEDaSZ_S10_SG_SL_EUlSZ_E_NS1_11comp_targetILNS1_3genE6ELNS1_11target_archE950ELNS1_3gpuE13ELNS1_3repE0EEENS1_47radix_sort_onesweep_sort_config_static_selectorELNS0_4arch9wavefront6targetE0EEEvSG_
    .private_segment_fixed_size: 0
    .sgpr_count:     0
    .sgpr_spill_count: 0
    .symbol:         _ZN7rocprim17ROCPRIM_400000_NS6detail17trampoline_kernelINS0_14default_configENS1_35radix_sort_onesweep_config_selectorIfNS0_10empty_typeEEEZZNS1_29radix_sort_onesweep_iterationIS3_Lb1EPKfPfPS5_SB_mNS0_19identity_decomposerENS1_16block_id_wrapperIjLb0EEEEE10hipError_tT1_PNSt15iterator_traitsISG_E10value_typeET2_T3_PNSH_ISM_E10value_typeET4_T5_PSR_SS_PNS1_23onesweep_lookback_stateEbbT6_jjT7_P12ihipStream_tbENKUlT_T0_SG_SL_E_clISA_SA_SB_SB_EEDaSZ_S10_SG_SL_EUlSZ_E_NS1_11comp_targetILNS1_3genE6ELNS1_11target_archE950ELNS1_3gpuE13ELNS1_3repE0EEENS1_47radix_sort_onesweep_sort_config_static_selectorELNS0_4arch9wavefront6targetE0EEEvSG_.kd
    .uniform_work_group_size: 1
    .uses_dynamic_stack: false
    .vgpr_count:     0
    .vgpr_spill_count: 0
    .wavefront_size: 32
  - .args:
      - .offset:         0
        .size:           88
        .value_kind:     by_value
    .group_segment_fixed_size: 0
    .kernarg_segment_align: 8
    .kernarg_segment_size: 88
    .language:       OpenCL C
    .language_version:
      - 2
      - 0
    .max_flat_workgroup_size: 1024
    .name:           _ZN7rocprim17ROCPRIM_400000_NS6detail17trampoline_kernelINS0_14default_configENS1_35radix_sort_onesweep_config_selectorIfNS0_10empty_typeEEEZZNS1_29radix_sort_onesweep_iterationIS3_Lb1EPKfPfPS5_SB_mNS0_19identity_decomposerENS1_16block_id_wrapperIjLb0EEEEE10hipError_tT1_PNSt15iterator_traitsISG_E10value_typeET2_T3_PNSH_ISM_E10value_typeET4_T5_PSR_SS_PNS1_23onesweep_lookback_stateEbbT6_jjT7_P12ihipStream_tbENKUlT_T0_SG_SL_E_clISA_SA_SB_SB_EEDaSZ_S10_SG_SL_EUlSZ_E_NS1_11comp_targetILNS1_3genE5ELNS1_11target_archE942ELNS1_3gpuE9ELNS1_3repE0EEENS1_47radix_sort_onesweep_sort_config_static_selectorELNS0_4arch9wavefront6targetE0EEEvSG_
    .private_segment_fixed_size: 0
    .sgpr_count:     0
    .sgpr_spill_count: 0
    .symbol:         _ZN7rocprim17ROCPRIM_400000_NS6detail17trampoline_kernelINS0_14default_configENS1_35radix_sort_onesweep_config_selectorIfNS0_10empty_typeEEEZZNS1_29radix_sort_onesweep_iterationIS3_Lb1EPKfPfPS5_SB_mNS0_19identity_decomposerENS1_16block_id_wrapperIjLb0EEEEE10hipError_tT1_PNSt15iterator_traitsISG_E10value_typeET2_T3_PNSH_ISM_E10value_typeET4_T5_PSR_SS_PNS1_23onesweep_lookback_stateEbbT6_jjT7_P12ihipStream_tbENKUlT_T0_SG_SL_E_clISA_SA_SB_SB_EEDaSZ_S10_SG_SL_EUlSZ_E_NS1_11comp_targetILNS1_3genE5ELNS1_11target_archE942ELNS1_3gpuE9ELNS1_3repE0EEENS1_47radix_sort_onesweep_sort_config_static_selectorELNS0_4arch9wavefront6targetE0EEEvSG_.kd
    .uniform_work_group_size: 1
    .uses_dynamic_stack: false
    .vgpr_count:     0
    .vgpr_spill_count: 0
    .wavefront_size: 32
  - .args:
      - .offset:         0
        .size:           88
        .value_kind:     by_value
    .group_segment_fixed_size: 0
    .kernarg_segment_align: 8
    .kernarg_segment_size: 88
    .language:       OpenCL C
    .language_version:
      - 2
      - 0
    .max_flat_workgroup_size: 512
    .name:           _ZN7rocprim17ROCPRIM_400000_NS6detail17trampoline_kernelINS0_14default_configENS1_35radix_sort_onesweep_config_selectorIfNS0_10empty_typeEEEZZNS1_29radix_sort_onesweep_iterationIS3_Lb1EPKfPfPS5_SB_mNS0_19identity_decomposerENS1_16block_id_wrapperIjLb0EEEEE10hipError_tT1_PNSt15iterator_traitsISG_E10value_typeET2_T3_PNSH_ISM_E10value_typeET4_T5_PSR_SS_PNS1_23onesweep_lookback_stateEbbT6_jjT7_P12ihipStream_tbENKUlT_T0_SG_SL_E_clISA_SA_SB_SB_EEDaSZ_S10_SG_SL_EUlSZ_E_NS1_11comp_targetILNS1_3genE2ELNS1_11target_archE906ELNS1_3gpuE6ELNS1_3repE0EEENS1_47radix_sort_onesweep_sort_config_static_selectorELNS0_4arch9wavefront6targetE0EEEvSG_
    .private_segment_fixed_size: 0
    .sgpr_count:     0
    .sgpr_spill_count: 0
    .symbol:         _ZN7rocprim17ROCPRIM_400000_NS6detail17trampoline_kernelINS0_14default_configENS1_35radix_sort_onesweep_config_selectorIfNS0_10empty_typeEEEZZNS1_29radix_sort_onesweep_iterationIS3_Lb1EPKfPfPS5_SB_mNS0_19identity_decomposerENS1_16block_id_wrapperIjLb0EEEEE10hipError_tT1_PNSt15iterator_traitsISG_E10value_typeET2_T3_PNSH_ISM_E10value_typeET4_T5_PSR_SS_PNS1_23onesweep_lookback_stateEbbT6_jjT7_P12ihipStream_tbENKUlT_T0_SG_SL_E_clISA_SA_SB_SB_EEDaSZ_S10_SG_SL_EUlSZ_E_NS1_11comp_targetILNS1_3genE2ELNS1_11target_archE906ELNS1_3gpuE6ELNS1_3repE0EEENS1_47radix_sort_onesweep_sort_config_static_selectorELNS0_4arch9wavefront6targetE0EEEvSG_.kd
    .uniform_work_group_size: 1
    .uses_dynamic_stack: false
    .vgpr_count:     0
    .vgpr_spill_count: 0
    .wavefront_size: 32
  - .args:
      - .offset:         0
        .size:           88
        .value_kind:     by_value
    .group_segment_fixed_size: 0
    .kernarg_segment_align: 8
    .kernarg_segment_size: 88
    .language:       OpenCL C
    .language_version:
      - 2
      - 0
    .max_flat_workgroup_size: 1024
    .name:           _ZN7rocprim17ROCPRIM_400000_NS6detail17trampoline_kernelINS0_14default_configENS1_35radix_sort_onesweep_config_selectorIfNS0_10empty_typeEEEZZNS1_29radix_sort_onesweep_iterationIS3_Lb1EPKfPfPS5_SB_mNS0_19identity_decomposerENS1_16block_id_wrapperIjLb0EEEEE10hipError_tT1_PNSt15iterator_traitsISG_E10value_typeET2_T3_PNSH_ISM_E10value_typeET4_T5_PSR_SS_PNS1_23onesweep_lookback_stateEbbT6_jjT7_P12ihipStream_tbENKUlT_T0_SG_SL_E_clISA_SA_SB_SB_EEDaSZ_S10_SG_SL_EUlSZ_E_NS1_11comp_targetILNS1_3genE4ELNS1_11target_archE910ELNS1_3gpuE8ELNS1_3repE0EEENS1_47radix_sort_onesweep_sort_config_static_selectorELNS0_4arch9wavefront6targetE0EEEvSG_
    .private_segment_fixed_size: 0
    .sgpr_count:     0
    .sgpr_spill_count: 0
    .symbol:         _ZN7rocprim17ROCPRIM_400000_NS6detail17trampoline_kernelINS0_14default_configENS1_35radix_sort_onesweep_config_selectorIfNS0_10empty_typeEEEZZNS1_29radix_sort_onesweep_iterationIS3_Lb1EPKfPfPS5_SB_mNS0_19identity_decomposerENS1_16block_id_wrapperIjLb0EEEEE10hipError_tT1_PNSt15iterator_traitsISG_E10value_typeET2_T3_PNSH_ISM_E10value_typeET4_T5_PSR_SS_PNS1_23onesweep_lookback_stateEbbT6_jjT7_P12ihipStream_tbENKUlT_T0_SG_SL_E_clISA_SA_SB_SB_EEDaSZ_S10_SG_SL_EUlSZ_E_NS1_11comp_targetILNS1_3genE4ELNS1_11target_archE910ELNS1_3gpuE8ELNS1_3repE0EEENS1_47radix_sort_onesweep_sort_config_static_selectorELNS0_4arch9wavefront6targetE0EEEvSG_.kd
    .uniform_work_group_size: 1
    .uses_dynamic_stack: false
    .vgpr_count:     0
    .vgpr_spill_count: 0
    .wavefront_size: 32
  - .args:
      - .offset:         0
        .size:           88
        .value_kind:     by_value
    .group_segment_fixed_size: 0
    .kernarg_segment_align: 8
    .kernarg_segment_size: 88
    .language:       OpenCL C
    .language_version:
      - 2
      - 0
    .max_flat_workgroup_size: 512
    .name:           _ZN7rocprim17ROCPRIM_400000_NS6detail17trampoline_kernelINS0_14default_configENS1_35radix_sort_onesweep_config_selectorIfNS0_10empty_typeEEEZZNS1_29radix_sort_onesweep_iterationIS3_Lb1EPKfPfPS5_SB_mNS0_19identity_decomposerENS1_16block_id_wrapperIjLb0EEEEE10hipError_tT1_PNSt15iterator_traitsISG_E10value_typeET2_T3_PNSH_ISM_E10value_typeET4_T5_PSR_SS_PNS1_23onesweep_lookback_stateEbbT6_jjT7_P12ihipStream_tbENKUlT_T0_SG_SL_E_clISA_SA_SB_SB_EEDaSZ_S10_SG_SL_EUlSZ_E_NS1_11comp_targetILNS1_3genE3ELNS1_11target_archE908ELNS1_3gpuE7ELNS1_3repE0EEENS1_47radix_sort_onesweep_sort_config_static_selectorELNS0_4arch9wavefront6targetE0EEEvSG_
    .private_segment_fixed_size: 0
    .sgpr_count:     0
    .sgpr_spill_count: 0
    .symbol:         _ZN7rocprim17ROCPRIM_400000_NS6detail17trampoline_kernelINS0_14default_configENS1_35radix_sort_onesweep_config_selectorIfNS0_10empty_typeEEEZZNS1_29radix_sort_onesweep_iterationIS3_Lb1EPKfPfPS5_SB_mNS0_19identity_decomposerENS1_16block_id_wrapperIjLb0EEEEE10hipError_tT1_PNSt15iterator_traitsISG_E10value_typeET2_T3_PNSH_ISM_E10value_typeET4_T5_PSR_SS_PNS1_23onesweep_lookback_stateEbbT6_jjT7_P12ihipStream_tbENKUlT_T0_SG_SL_E_clISA_SA_SB_SB_EEDaSZ_S10_SG_SL_EUlSZ_E_NS1_11comp_targetILNS1_3genE3ELNS1_11target_archE908ELNS1_3gpuE7ELNS1_3repE0EEENS1_47radix_sort_onesweep_sort_config_static_selectorELNS0_4arch9wavefront6targetE0EEEvSG_.kd
    .uniform_work_group_size: 1
    .uses_dynamic_stack: false
    .vgpr_count:     0
    .vgpr_spill_count: 0
    .wavefront_size: 32
  - .args:
      - .offset:         0
        .size:           88
        .value_kind:     by_value
    .group_segment_fixed_size: 0
    .kernarg_segment_align: 8
    .kernarg_segment_size: 88
    .language:       OpenCL C
    .language_version:
      - 2
      - 0
    .max_flat_workgroup_size: 512
    .name:           _ZN7rocprim17ROCPRIM_400000_NS6detail17trampoline_kernelINS0_14default_configENS1_35radix_sort_onesweep_config_selectorIfNS0_10empty_typeEEEZZNS1_29radix_sort_onesweep_iterationIS3_Lb1EPKfPfPS5_SB_mNS0_19identity_decomposerENS1_16block_id_wrapperIjLb0EEEEE10hipError_tT1_PNSt15iterator_traitsISG_E10value_typeET2_T3_PNSH_ISM_E10value_typeET4_T5_PSR_SS_PNS1_23onesweep_lookback_stateEbbT6_jjT7_P12ihipStream_tbENKUlT_T0_SG_SL_E_clISA_SA_SB_SB_EEDaSZ_S10_SG_SL_EUlSZ_E_NS1_11comp_targetILNS1_3genE10ELNS1_11target_archE1201ELNS1_3gpuE5ELNS1_3repE0EEENS1_47radix_sort_onesweep_sort_config_static_selectorELNS0_4arch9wavefront6targetE0EEEvSG_
    .private_segment_fixed_size: 0
    .sgpr_count:     0
    .sgpr_spill_count: 0
    .symbol:         _ZN7rocprim17ROCPRIM_400000_NS6detail17trampoline_kernelINS0_14default_configENS1_35radix_sort_onesweep_config_selectorIfNS0_10empty_typeEEEZZNS1_29radix_sort_onesweep_iterationIS3_Lb1EPKfPfPS5_SB_mNS0_19identity_decomposerENS1_16block_id_wrapperIjLb0EEEEE10hipError_tT1_PNSt15iterator_traitsISG_E10value_typeET2_T3_PNSH_ISM_E10value_typeET4_T5_PSR_SS_PNS1_23onesweep_lookback_stateEbbT6_jjT7_P12ihipStream_tbENKUlT_T0_SG_SL_E_clISA_SA_SB_SB_EEDaSZ_S10_SG_SL_EUlSZ_E_NS1_11comp_targetILNS1_3genE10ELNS1_11target_archE1201ELNS1_3gpuE5ELNS1_3repE0EEENS1_47radix_sort_onesweep_sort_config_static_selectorELNS0_4arch9wavefront6targetE0EEEvSG_.kd
    .uniform_work_group_size: 1
    .uses_dynamic_stack: false
    .vgpr_count:     0
    .vgpr_spill_count: 0
    .wavefront_size: 32
  - .args:
      - .offset:         0
        .size:           88
        .value_kind:     by_value
    .group_segment_fixed_size: 0
    .kernarg_segment_align: 8
    .kernarg_segment_size: 88
    .language:       OpenCL C
    .language_version:
      - 2
      - 0
    .max_flat_workgroup_size: 1024
    .name:           _ZN7rocprim17ROCPRIM_400000_NS6detail17trampoline_kernelINS0_14default_configENS1_35radix_sort_onesweep_config_selectorIfNS0_10empty_typeEEEZZNS1_29radix_sort_onesweep_iterationIS3_Lb1EPKfPfPS5_SB_mNS0_19identity_decomposerENS1_16block_id_wrapperIjLb0EEEEE10hipError_tT1_PNSt15iterator_traitsISG_E10value_typeET2_T3_PNSH_ISM_E10value_typeET4_T5_PSR_SS_PNS1_23onesweep_lookback_stateEbbT6_jjT7_P12ihipStream_tbENKUlT_T0_SG_SL_E_clISA_SA_SB_SB_EEDaSZ_S10_SG_SL_EUlSZ_E_NS1_11comp_targetILNS1_3genE9ELNS1_11target_archE1100ELNS1_3gpuE3ELNS1_3repE0EEENS1_47radix_sort_onesweep_sort_config_static_selectorELNS0_4arch9wavefront6targetE0EEEvSG_
    .private_segment_fixed_size: 0
    .sgpr_count:     0
    .sgpr_spill_count: 0
    .symbol:         _ZN7rocprim17ROCPRIM_400000_NS6detail17trampoline_kernelINS0_14default_configENS1_35radix_sort_onesweep_config_selectorIfNS0_10empty_typeEEEZZNS1_29radix_sort_onesweep_iterationIS3_Lb1EPKfPfPS5_SB_mNS0_19identity_decomposerENS1_16block_id_wrapperIjLb0EEEEE10hipError_tT1_PNSt15iterator_traitsISG_E10value_typeET2_T3_PNSH_ISM_E10value_typeET4_T5_PSR_SS_PNS1_23onesweep_lookback_stateEbbT6_jjT7_P12ihipStream_tbENKUlT_T0_SG_SL_E_clISA_SA_SB_SB_EEDaSZ_S10_SG_SL_EUlSZ_E_NS1_11comp_targetILNS1_3genE9ELNS1_11target_archE1100ELNS1_3gpuE3ELNS1_3repE0EEENS1_47radix_sort_onesweep_sort_config_static_selectorELNS0_4arch9wavefront6targetE0EEEvSG_.kd
    .uniform_work_group_size: 1
    .uses_dynamic_stack: false
    .vgpr_count:     0
    .vgpr_spill_count: 0
    .wavefront_size: 32
  - .args:
      - .offset:         0
        .size:           88
        .value_kind:     by_value
    .group_segment_fixed_size: 0
    .kernarg_segment_align: 8
    .kernarg_segment_size: 88
    .language:       OpenCL C
    .language_version:
      - 2
      - 0
    .max_flat_workgroup_size: 1024
    .name:           _ZN7rocprim17ROCPRIM_400000_NS6detail17trampoline_kernelINS0_14default_configENS1_35radix_sort_onesweep_config_selectorIfNS0_10empty_typeEEEZZNS1_29radix_sort_onesweep_iterationIS3_Lb1EPKfPfPS5_SB_mNS0_19identity_decomposerENS1_16block_id_wrapperIjLb0EEEEE10hipError_tT1_PNSt15iterator_traitsISG_E10value_typeET2_T3_PNSH_ISM_E10value_typeET4_T5_PSR_SS_PNS1_23onesweep_lookback_stateEbbT6_jjT7_P12ihipStream_tbENKUlT_T0_SG_SL_E_clISA_SA_SB_SB_EEDaSZ_S10_SG_SL_EUlSZ_E_NS1_11comp_targetILNS1_3genE8ELNS1_11target_archE1030ELNS1_3gpuE2ELNS1_3repE0EEENS1_47radix_sort_onesweep_sort_config_static_selectorELNS0_4arch9wavefront6targetE0EEEvSG_
    .private_segment_fixed_size: 0
    .sgpr_count:     0
    .sgpr_spill_count: 0
    .symbol:         _ZN7rocprim17ROCPRIM_400000_NS6detail17trampoline_kernelINS0_14default_configENS1_35radix_sort_onesweep_config_selectorIfNS0_10empty_typeEEEZZNS1_29radix_sort_onesweep_iterationIS3_Lb1EPKfPfPS5_SB_mNS0_19identity_decomposerENS1_16block_id_wrapperIjLb0EEEEE10hipError_tT1_PNSt15iterator_traitsISG_E10value_typeET2_T3_PNSH_ISM_E10value_typeET4_T5_PSR_SS_PNS1_23onesweep_lookback_stateEbbT6_jjT7_P12ihipStream_tbENKUlT_T0_SG_SL_E_clISA_SA_SB_SB_EEDaSZ_S10_SG_SL_EUlSZ_E_NS1_11comp_targetILNS1_3genE8ELNS1_11target_archE1030ELNS1_3gpuE2ELNS1_3repE0EEENS1_47radix_sort_onesweep_sort_config_static_selectorELNS0_4arch9wavefront6targetE0EEEvSG_.kd
    .uniform_work_group_size: 1
    .uses_dynamic_stack: false
    .vgpr_count:     0
    .vgpr_spill_count: 0
    .wavefront_size: 32
  - .args:
      - .offset:         0
        .size:           48
        .value_kind:     by_value
      - .offset:         48
        .size:           4
        .value_kind:     hidden_block_count_x
      - .offset:         52
        .size:           4
        .value_kind:     hidden_block_count_y
      - .offset:         56
        .size:           4
        .value_kind:     hidden_block_count_z
      - .offset:         60
        .size:           2
        .value_kind:     hidden_group_size_x
      - .offset:         62
        .size:           2
        .value_kind:     hidden_group_size_y
      - .offset:         64
        .size:           2
        .value_kind:     hidden_group_size_z
      - .offset:         66
        .size:           2
        .value_kind:     hidden_remainder_x
      - .offset:         68
        .size:           2
        .value_kind:     hidden_remainder_y
      - .offset:         70
        .size:           2
        .value_kind:     hidden_remainder_z
      - .offset:         88
        .size:           8
        .value_kind:     hidden_global_offset_x
      - .offset:         96
        .size:           8
        .value_kind:     hidden_global_offset_y
      - .offset:         104
        .size:           8
        .value_kind:     hidden_global_offset_z
      - .offset:         112
        .size:           2
        .value_kind:     hidden_grid_dims
    .group_segment_fixed_size: 8224
    .kernarg_segment_align: 8
    .kernarg_segment_size: 304
    .language:       OpenCL C
    .language_version:
      - 2
      - 0
    .max_flat_workgroup_size: 256
    .name:           _ZN7rocprim17ROCPRIM_400000_NS6detail17trampoline_kernelINS0_13kernel_configILj256ELj4ELj4294967295EEENS1_37radix_sort_block_sort_config_selectorIfNS0_10empty_typeEEEZNS1_21radix_sort_block_sortIS4_Lb0EPKfPfPS6_SC_NS0_19identity_decomposerEEE10hipError_tT1_T2_T3_T4_jRjT5_jjP12ihipStream_tbEUlT_E_NS1_11comp_targetILNS1_3genE0ELNS1_11target_archE4294967295ELNS1_3gpuE0ELNS1_3repE0EEENS1_44radix_sort_block_sort_config_static_selectorELNS0_4arch9wavefront6targetE0EEEvSF_
    .private_segment_fixed_size: 0
    .sgpr_count:     31
    .sgpr_spill_count: 0
    .symbol:         _ZN7rocprim17ROCPRIM_400000_NS6detail17trampoline_kernelINS0_13kernel_configILj256ELj4ELj4294967295EEENS1_37radix_sort_block_sort_config_selectorIfNS0_10empty_typeEEEZNS1_21radix_sort_block_sortIS4_Lb0EPKfPfPS6_SC_NS0_19identity_decomposerEEE10hipError_tT1_T2_T3_T4_jRjT5_jjP12ihipStream_tbEUlT_E_NS1_11comp_targetILNS1_3genE0ELNS1_11target_archE4294967295ELNS1_3gpuE0ELNS1_3repE0EEENS1_44radix_sort_block_sort_config_static_selectorELNS0_4arch9wavefront6targetE0EEEvSF_.kd
    .uniform_work_group_size: 1
    .uses_dynamic_stack: false
    .vgpr_count:     38
    .vgpr_spill_count: 0
    .wavefront_size: 32
  - .args:
      - .offset:         0
        .size:           48
        .value_kind:     by_value
    .group_segment_fixed_size: 0
    .kernarg_segment_align: 8
    .kernarg_segment_size: 48
    .language:       OpenCL C
    .language_version:
      - 2
      - 0
    .max_flat_workgroup_size: 256
    .name:           _ZN7rocprim17ROCPRIM_400000_NS6detail17trampoline_kernelINS0_13kernel_configILj256ELj4ELj4294967295EEENS1_37radix_sort_block_sort_config_selectorIfNS0_10empty_typeEEEZNS1_21radix_sort_block_sortIS4_Lb0EPKfPfPS6_SC_NS0_19identity_decomposerEEE10hipError_tT1_T2_T3_T4_jRjT5_jjP12ihipStream_tbEUlT_E_NS1_11comp_targetILNS1_3genE5ELNS1_11target_archE942ELNS1_3gpuE9ELNS1_3repE0EEENS1_44radix_sort_block_sort_config_static_selectorELNS0_4arch9wavefront6targetE0EEEvSF_
    .private_segment_fixed_size: 0
    .sgpr_count:     0
    .sgpr_spill_count: 0
    .symbol:         _ZN7rocprim17ROCPRIM_400000_NS6detail17trampoline_kernelINS0_13kernel_configILj256ELj4ELj4294967295EEENS1_37radix_sort_block_sort_config_selectorIfNS0_10empty_typeEEEZNS1_21radix_sort_block_sortIS4_Lb0EPKfPfPS6_SC_NS0_19identity_decomposerEEE10hipError_tT1_T2_T3_T4_jRjT5_jjP12ihipStream_tbEUlT_E_NS1_11comp_targetILNS1_3genE5ELNS1_11target_archE942ELNS1_3gpuE9ELNS1_3repE0EEENS1_44radix_sort_block_sort_config_static_selectorELNS0_4arch9wavefront6targetE0EEEvSF_.kd
    .uniform_work_group_size: 1
    .uses_dynamic_stack: false
    .vgpr_count:     0
    .vgpr_spill_count: 0
    .wavefront_size: 32
  - .args:
      - .offset:         0
        .size:           48
        .value_kind:     by_value
    .group_segment_fixed_size: 0
    .kernarg_segment_align: 8
    .kernarg_segment_size: 48
    .language:       OpenCL C
    .language_version:
      - 2
      - 0
    .max_flat_workgroup_size: 256
    .name:           _ZN7rocprim17ROCPRIM_400000_NS6detail17trampoline_kernelINS0_13kernel_configILj256ELj4ELj4294967295EEENS1_37radix_sort_block_sort_config_selectorIfNS0_10empty_typeEEEZNS1_21radix_sort_block_sortIS4_Lb0EPKfPfPS6_SC_NS0_19identity_decomposerEEE10hipError_tT1_T2_T3_T4_jRjT5_jjP12ihipStream_tbEUlT_E_NS1_11comp_targetILNS1_3genE4ELNS1_11target_archE910ELNS1_3gpuE8ELNS1_3repE0EEENS1_44radix_sort_block_sort_config_static_selectorELNS0_4arch9wavefront6targetE0EEEvSF_
    .private_segment_fixed_size: 0
    .sgpr_count:     0
    .sgpr_spill_count: 0
    .symbol:         _ZN7rocprim17ROCPRIM_400000_NS6detail17trampoline_kernelINS0_13kernel_configILj256ELj4ELj4294967295EEENS1_37radix_sort_block_sort_config_selectorIfNS0_10empty_typeEEEZNS1_21radix_sort_block_sortIS4_Lb0EPKfPfPS6_SC_NS0_19identity_decomposerEEE10hipError_tT1_T2_T3_T4_jRjT5_jjP12ihipStream_tbEUlT_E_NS1_11comp_targetILNS1_3genE4ELNS1_11target_archE910ELNS1_3gpuE8ELNS1_3repE0EEENS1_44radix_sort_block_sort_config_static_selectorELNS0_4arch9wavefront6targetE0EEEvSF_.kd
    .uniform_work_group_size: 1
    .uses_dynamic_stack: false
    .vgpr_count:     0
    .vgpr_spill_count: 0
    .wavefront_size: 32
  - .args:
      - .offset:         0
        .size:           48
        .value_kind:     by_value
    .group_segment_fixed_size: 0
    .kernarg_segment_align: 8
    .kernarg_segment_size: 48
    .language:       OpenCL C
    .language_version:
      - 2
      - 0
    .max_flat_workgroup_size: 256
    .name:           _ZN7rocprim17ROCPRIM_400000_NS6detail17trampoline_kernelINS0_13kernel_configILj256ELj4ELj4294967295EEENS1_37radix_sort_block_sort_config_selectorIfNS0_10empty_typeEEEZNS1_21radix_sort_block_sortIS4_Lb0EPKfPfPS6_SC_NS0_19identity_decomposerEEE10hipError_tT1_T2_T3_T4_jRjT5_jjP12ihipStream_tbEUlT_E_NS1_11comp_targetILNS1_3genE3ELNS1_11target_archE908ELNS1_3gpuE7ELNS1_3repE0EEENS1_44radix_sort_block_sort_config_static_selectorELNS0_4arch9wavefront6targetE0EEEvSF_
    .private_segment_fixed_size: 0
    .sgpr_count:     0
    .sgpr_spill_count: 0
    .symbol:         _ZN7rocprim17ROCPRIM_400000_NS6detail17trampoline_kernelINS0_13kernel_configILj256ELj4ELj4294967295EEENS1_37radix_sort_block_sort_config_selectorIfNS0_10empty_typeEEEZNS1_21radix_sort_block_sortIS4_Lb0EPKfPfPS6_SC_NS0_19identity_decomposerEEE10hipError_tT1_T2_T3_T4_jRjT5_jjP12ihipStream_tbEUlT_E_NS1_11comp_targetILNS1_3genE3ELNS1_11target_archE908ELNS1_3gpuE7ELNS1_3repE0EEENS1_44radix_sort_block_sort_config_static_selectorELNS0_4arch9wavefront6targetE0EEEvSF_.kd
    .uniform_work_group_size: 1
    .uses_dynamic_stack: false
    .vgpr_count:     0
    .vgpr_spill_count: 0
    .wavefront_size: 32
  - .args:
      - .offset:         0
        .size:           48
        .value_kind:     by_value
    .group_segment_fixed_size: 0
    .kernarg_segment_align: 8
    .kernarg_segment_size: 48
    .language:       OpenCL C
    .language_version:
      - 2
      - 0
    .max_flat_workgroup_size: 256
    .name:           _ZN7rocprim17ROCPRIM_400000_NS6detail17trampoline_kernelINS0_13kernel_configILj256ELj4ELj4294967295EEENS1_37radix_sort_block_sort_config_selectorIfNS0_10empty_typeEEEZNS1_21radix_sort_block_sortIS4_Lb0EPKfPfPS6_SC_NS0_19identity_decomposerEEE10hipError_tT1_T2_T3_T4_jRjT5_jjP12ihipStream_tbEUlT_E_NS1_11comp_targetILNS1_3genE2ELNS1_11target_archE906ELNS1_3gpuE6ELNS1_3repE0EEENS1_44radix_sort_block_sort_config_static_selectorELNS0_4arch9wavefront6targetE0EEEvSF_
    .private_segment_fixed_size: 0
    .sgpr_count:     0
    .sgpr_spill_count: 0
    .symbol:         _ZN7rocprim17ROCPRIM_400000_NS6detail17trampoline_kernelINS0_13kernel_configILj256ELj4ELj4294967295EEENS1_37radix_sort_block_sort_config_selectorIfNS0_10empty_typeEEEZNS1_21radix_sort_block_sortIS4_Lb0EPKfPfPS6_SC_NS0_19identity_decomposerEEE10hipError_tT1_T2_T3_T4_jRjT5_jjP12ihipStream_tbEUlT_E_NS1_11comp_targetILNS1_3genE2ELNS1_11target_archE906ELNS1_3gpuE6ELNS1_3repE0EEENS1_44radix_sort_block_sort_config_static_selectorELNS0_4arch9wavefront6targetE0EEEvSF_.kd
    .uniform_work_group_size: 1
    .uses_dynamic_stack: false
    .vgpr_count:     0
    .vgpr_spill_count: 0
    .wavefront_size: 32
  - .args:
      - .offset:         0
        .size:           48
        .value_kind:     by_value
    .group_segment_fixed_size: 0
    .kernarg_segment_align: 8
    .kernarg_segment_size: 48
    .language:       OpenCL C
    .language_version:
      - 2
      - 0
    .max_flat_workgroup_size: 256
    .name:           _ZN7rocprim17ROCPRIM_400000_NS6detail17trampoline_kernelINS0_13kernel_configILj256ELj4ELj4294967295EEENS1_37radix_sort_block_sort_config_selectorIfNS0_10empty_typeEEEZNS1_21radix_sort_block_sortIS4_Lb0EPKfPfPS6_SC_NS0_19identity_decomposerEEE10hipError_tT1_T2_T3_T4_jRjT5_jjP12ihipStream_tbEUlT_E_NS1_11comp_targetILNS1_3genE10ELNS1_11target_archE1201ELNS1_3gpuE5ELNS1_3repE0EEENS1_44radix_sort_block_sort_config_static_selectorELNS0_4arch9wavefront6targetE0EEEvSF_
    .private_segment_fixed_size: 0
    .sgpr_count:     0
    .sgpr_spill_count: 0
    .symbol:         _ZN7rocprim17ROCPRIM_400000_NS6detail17trampoline_kernelINS0_13kernel_configILj256ELj4ELj4294967295EEENS1_37radix_sort_block_sort_config_selectorIfNS0_10empty_typeEEEZNS1_21radix_sort_block_sortIS4_Lb0EPKfPfPS6_SC_NS0_19identity_decomposerEEE10hipError_tT1_T2_T3_T4_jRjT5_jjP12ihipStream_tbEUlT_E_NS1_11comp_targetILNS1_3genE10ELNS1_11target_archE1201ELNS1_3gpuE5ELNS1_3repE0EEENS1_44radix_sort_block_sort_config_static_selectorELNS0_4arch9wavefront6targetE0EEEvSF_.kd
    .uniform_work_group_size: 1
    .uses_dynamic_stack: false
    .vgpr_count:     0
    .vgpr_spill_count: 0
    .wavefront_size: 32
  - .args:
      - .offset:         0
        .size:           48
        .value_kind:     by_value
    .group_segment_fixed_size: 0
    .kernarg_segment_align: 8
    .kernarg_segment_size: 48
    .language:       OpenCL C
    .language_version:
      - 2
      - 0
    .max_flat_workgroup_size: 256
    .name:           _ZN7rocprim17ROCPRIM_400000_NS6detail17trampoline_kernelINS0_13kernel_configILj256ELj4ELj4294967295EEENS1_37radix_sort_block_sort_config_selectorIfNS0_10empty_typeEEEZNS1_21radix_sort_block_sortIS4_Lb0EPKfPfPS6_SC_NS0_19identity_decomposerEEE10hipError_tT1_T2_T3_T4_jRjT5_jjP12ihipStream_tbEUlT_E_NS1_11comp_targetILNS1_3genE10ELNS1_11target_archE1200ELNS1_3gpuE4ELNS1_3repE0EEENS1_44radix_sort_block_sort_config_static_selectorELNS0_4arch9wavefront6targetE0EEEvSF_
    .private_segment_fixed_size: 0
    .sgpr_count:     0
    .sgpr_spill_count: 0
    .symbol:         _ZN7rocprim17ROCPRIM_400000_NS6detail17trampoline_kernelINS0_13kernel_configILj256ELj4ELj4294967295EEENS1_37radix_sort_block_sort_config_selectorIfNS0_10empty_typeEEEZNS1_21radix_sort_block_sortIS4_Lb0EPKfPfPS6_SC_NS0_19identity_decomposerEEE10hipError_tT1_T2_T3_T4_jRjT5_jjP12ihipStream_tbEUlT_E_NS1_11comp_targetILNS1_3genE10ELNS1_11target_archE1200ELNS1_3gpuE4ELNS1_3repE0EEENS1_44radix_sort_block_sort_config_static_selectorELNS0_4arch9wavefront6targetE0EEEvSF_.kd
    .uniform_work_group_size: 1
    .uses_dynamic_stack: false
    .vgpr_count:     0
    .vgpr_spill_count: 0
    .wavefront_size: 32
  - .args:
      - .offset:         0
        .size:           48
        .value_kind:     by_value
    .group_segment_fixed_size: 0
    .kernarg_segment_align: 8
    .kernarg_segment_size: 48
    .language:       OpenCL C
    .language_version:
      - 2
      - 0
    .max_flat_workgroup_size: 256
    .name:           _ZN7rocprim17ROCPRIM_400000_NS6detail17trampoline_kernelINS0_13kernel_configILj256ELj4ELj4294967295EEENS1_37radix_sort_block_sort_config_selectorIfNS0_10empty_typeEEEZNS1_21radix_sort_block_sortIS4_Lb0EPKfPfPS6_SC_NS0_19identity_decomposerEEE10hipError_tT1_T2_T3_T4_jRjT5_jjP12ihipStream_tbEUlT_E_NS1_11comp_targetILNS1_3genE9ELNS1_11target_archE1100ELNS1_3gpuE3ELNS1_3repE0EEENS1_44radix_sort_block_sort_config_static_selectorELNS0_4arch9wavefront6targetE0EEEvSF_
    .private_segment_fixed_size: 0
    .sgpr_count:     0
    .sgpr_spill_count: 0
    .symbol:         _ZN7rocprim17ROCPRIM_400000_NS6detail17trampoline_kernelINS0_13kernel_configILj256ELj4ELj4294967295EEENS1_37radix_sort_block_sort_config_selectorIfNS0_10empty_typeEEEZNS1_21radix_sort_block_sortIS4_Lb0EPKfPfPS6_SC_NS0_19identity_decomposerEEE10hipError_tT1_T2_T3_T4_jRjT5_jjP12ihipStream_tbEUlT_E_NS1_11comp_targetILNS1_3genE9ELNS1_11target_archE1100ELNS1_3gpuE3ELNS1_3repE0EEENS1_44radix_sort_block_sort_config_static_selectorELNS0_4arch9wavefront6targetE0EEEvSF_.kd
    .uniform_work_group_size: 1
    .uses_dynamic_stack: false
    .vgpr_count:     0
    .vgpr_spill_count: 0
    .wavefront_size: 32
  - .args:
      - .offset:         0
        .size:           48
        .value_kind:     by_value
    .group_segment_fixed_size: 0
    .kernarg_segment_align: 8
    .kernarg_segment_size: 48
    .language:       OpenCL C
    .language_version:
      - 2
      - 0
    .max_flat_workgroup_size: 256
    .name:           _ZN7rocprim17ROCPRIM_400000_NS6detail17trampoline_kernelINS0_13kernel_configILj256ELj4ELj4294967295EEENS1_37radix_sort_block_sort_config_selectorIfNS0_10empty_typeEEEZNS1_21radix_sort_block_sortIS4_Lb0EPKfPfPS6_SC_NS0_19identity_decomposerEEE10hipError_tT1_T2_T3_T4_jRjT5_jjP12ihipStream_tbEUlT_E_NS1_11comp_targetILNS1_3genE8ELNS1_11target_archE1030ELNS1_3gpuE2ELNS1_3repE0EEENS1_44radix_sort_block_sort_config_static_selectorELNS0_4arch9wavefront6targetE0EEEvSF_
    .private_segment_fixed_size: 0
    .sgpr_count:     0
    .sgpr_spill_count: 0
    .symbol:         _ZN7rocprim17ROCPRIM_400000_NS6detail17trampoline_kernelINS0_13kernel_configILj256ELj4ELj4294967295EEENS1_37radix_sort_block_sort_config_selectorIfNS0_10empty_typeEEEZNS1_21radix_sort_block_sortIS4_Lb0EPKfPfPS6_SC_NS0_19identity_decomposerEEE10hipError_tT1_T2_T3_T4_jRjT5_jjP12ihipStream_tbEUlT_E_NS1_11comp_targetILNS1_3genE8ELNS1_11target_archE1030ELNS1_3gpuE2ELNS1_3repE0EEENS1_44radix_sort_block_sort_config_static_selectorELNS0_4arch9wavefront6targetE0EEEvSF_.kd
    .uniform_work_group_size: 1
    .uses_dynamic_stack: false
    .vgpr_count:     0
    .vgpr_spill_count: 0
    .wavefront_size: 32
  - .args:
      - .offset:         0
        .size:           40
        .value_kind:     by_value
    .group_segment_fixed_size: 0
    .kernarg_segment_align: 8
    .kernarg_segment_size: 40
    .language:       OpenCL C
    .language_version:
      - 2
      - 0
    .max_flat_workgroup_size: 128
    .name:           _ZN7rocprim17ROCPRIM_400000_NS6detail17trampoline_kernelINS0_14default_configENS1_38merge_sort_block_merge_config_selectorIfNS0_10empty_typeEEEZZNS1_27merge_sort_block_merge_implIS3_PfPS5_jNS1_19radix_merge_compareILb0ELb0EfNS0_19identity_decomposerEEEEE10hipError_tT0_T1_T2_jT3_P12ihipStream_tbPNSt15iterator_traitsISE_E10value_typeEPNSK_ISF_E10value_typeEPSG_NS1_7vsmem_tEENKUlT_SE_SF_SG_E_clIS8_S8_S9_S9_EESD_ST_SE_SF_SG_EUlST_E_NS1_11comp_targetILNS1_3genE0ELNS1_11target_archE4294967295ELNS1_3gpuE0ELNS1_3repE0EEENS1_48merge_mergepath_partition_config_static_selectorELNS0_4arch9wavefront6targetE0EEEvSF_
    .private_segment_fixed_size: 0
    .sgpr_count:     8
    .sgpr_spill_count: 0
    .symbol:         _ZN7rocprim17ROCPRIM_400000_NS6detail17trampoline_kernelINS0_14default_configENS1_38merge_sort_block_merge_config_selectorIfNS0_10empty_typeEEEZZNS1_27merge_sort_block_merge_implIS3_PfPS5_jNS1_19radix_merge_compareILb0ELb0EfNS0_19identity_decomposerEEEEE10hipError_tT0_T1_T2_jT3_P12ihipStream_tbPNSt15iterator_traitsISE_E10value_typeEPNSK_ISF_E10value_typeEPSG_NS1_7vsmem_tEENKUlT_SE_SF_SG_E_clIS8_S8_S9_S9_EESD_ST_SE_SF_SG_EUlST_E_NS1_11comp_targetILNS1_3genE0ELNS1_11target_archE4294967295ELNS1_3gpuE0ELNS1_3repE0EEENS1_48merge_mergepath_partition_config_static_selectorELNS0_4arch9wavefront6targetE0EEEvSF_.kd
    .uniform_work_group_size: 1
    .uses_dynamic_stack: false
    .vgpr_count:     18
    .vgpr_spill_count: 0
    .wavefront_size: 32
  - .args:
      - .offset:         0
        .size:           40
        .value_kind:     by_value
    .group_segment_fixed_size: 0
    .kernarg_segment_align: 8
    .kernarg_segment_size: 40
    .language:       OpenCL C
    .language_version:
      - 2
      - 0
    .max_flat_workgroup_size: 128
    .name:           _ZN7rocprim17ROCPRIM_400000_NS6detail17trampoline_kernelINS0_14default_configENS1_38merge_sort_block_merge_config_selectorIfNS0_10empty_typeEEEZZNS1_27merge_sort_block_merge_implIS3_PfPS5_jNS1_19radix_merge_compareILb0ELb0EfNS0_19identity_decomposerEEEEE10hipError_tT0_T1_T2_jT3_P12ihipStream_tbPNSt15iterator_traitsISE_E10value_typeEPNSK_ISF_E10value_typeEPSG_NS1_7vsmem_tEENKUlT_SE_SF_SG_E_clIS8_S8_S9_S9_EESD_ST_SE_SF_SG_EUlST_E_NS1_11comp_targetILNS1_3genE10ELNS1_11target_archE1201ELNS1_3gpuE5ELNS1_3repE0EEENS1_48merge_mergepath_partition_config_static_selectorELNS0_4arch9wavefront6targetE0EEEvSF_
    .private_segment_fixed_size: 0
    .sgpr_count:     0
    .sgpr_spill_count: 0
    .symbol:         _ZN7rocprim17ROCPRIM_400000_NS6detail17trampoline_kernelINS0_14default_configENS1_38merge_sort_block_merge_config_selectorIfNS0_10empty_typeEEEZZNS1_27merge_sort_block_merge_implIS3_PfPS5_jNS1_19radix_merge_compareILb0ELb0EfNS0_19identity_decomposerEEEEE10hipError_tT0_T1_T2_jT3_P12ihipStream_tbPNSt15iterator_traitsISE_E10value_typeEPNSK_ISF_E10value_typeEPSG_NS1_7vsmem_tEENKUlT_SE_SF_SG_E_clIS8_S8_S9_S9_EESD_ST_SE_SF_SG_EUlST_E_NS1_11comp_targetILNS1_3genE10ELNS1_11target_archE1201ELNS1_3gpuE5ELNS1_3repE0EEENS1_48merge_mergepath_partition_config_static_selectorELNS0_4arch9wavefront6targetE0EEEvSF_.kd
    .uniform_work_group_size: 1
    .uses_dynamic_stack: false
    .vgpr_count:     0
    .vgpr_spill_count: 0
    .wavefront_size: 32
  - .args:
      - .offset:         0
        .size:           40
        .value_kind:     by_value
    .group_segment_fixed_size: 0
    .kernarg_segment_align: 8
    .kernarg_segment_size: 40
    .language:       OpenCL C
    .language_version:
      - 2
      - 0
    .max_flat_workgroup_size: 128
    .name:           _ZN7rocprim17ROCPRIM_400000_NS6detail17trampoline_kernelINS0_14default_configENS1_38merge_sort_block_merge_config_selectorIfNS0_10empty_typeEEEZZNS1_27merge_sort_block_merge_implIS3_PfPS5_jNS1_19radix_merge_compareILb0ELb0EfNS0_19identity_decomposerEEEEE10hipError_tT0_T1_T2_jT3_P12ihipStream_tbPNSt15iterator_traitsISE_E10value_typeEPNSK_ISF_E10value_typeEPSG_NS1_7vsmem_tEENKUlT_SE_SF_SG_E_clIS8_S8_S9_S9_EESD_ST_SE_SF_SG_EUlST_E_NS1_11comp_targetILNS1_3genE5ELNS1_11target_archE942ELNS1_3gpuE9ELNS1_3repE0EEENS1_48merge_mergepath_partition_config_static_selectorELNS0_4arch9wavefront6targetE0EEEvSF_
    .private_segment_fixed_size: 0
    .sgpr_count:     0
    .sgpr_spill_count: 0
    .symbol:         _ZN7rocprim17ROCPRIM_400000_NS6detail17trampoline_kernelINS0_14default_configENS1_38merge_sort_block_merge_config_selectorIfNS0_10empty_typeEEEZZNS1_27merge_sort_block_merge_implIS3_PfPS5_jNS1_19radix_merge_compareILb0ELb0EfNS0_19identity_decomposerEEEEE10hipError_tT0_T1_T2_jT3_P12ihipStream_tbPNSt15iterator_traitsISE_E10value_typeEPNSK_ISF_E10value_typeEPSG_NS1_7vsmem_tEENKUlT_SE_SF_SG_E_clIS8_S8_S9_S9_EESD_ST_SE_SF_SG_EUlST_E_NS1_11comp_targetILNS1_3genE5ELNS1_11target_archE942ELNS1_3gpuE9ELNS1_3repE0EEENS1_48merge_mergepath_partition_config_static_selectorELNS0_4arch9wavefront6targetE0EEEvSF_.kd
    .uniform_work_group_size: 1
    .uses_dynamic_stack: false
    .vgpr_count:     0
    .vgpr_spill_count: 0
    .wavefront_size: 32
  - .args:
      - .offset:         0
        .size:           40
        .value_kind:     by_value
    .group_segment_fixed_size: 0
    .kernarg_segment_align: 8
    .kernarg_segment_size: 40
    .language:       OpenCL C
    .language_version:
      - 2
      - 0
    .max_flat_workgroup_size: 128
    .name:           _ZN7rocprim17ROCPRIM_400000_NS6detail17trampoline_kernelINS0_14default_configENS1_38merge_sort_block_merge_config_selectorIfNS0_10empty_typeEEEZZNS1_27merge_sort_block_merge_implIS3_PfPS5_jNS1_19radix_merge_compareILb0ELb0EfNS0_19identity_decomposerEEEEE10hipError_tT0_T1_T2_jT3_P12ihipStream_tbPNSt15iterator_traitsISE_E10value_typeEPNSK_ISF_E10value_typeEPSG_NS1_7vsmem_tEENKUlT_SE_SF_SG_E_clIS8_S8_S9_S9_EESD_ST_SE_SF_SG_EUlST_E_NS1_11comp_targetILNS1_3genE4ELNS1_11target_archE910ELNS1_3gpuE8ELNS1_3repE0EEENS1_48merge_mergepath_partition_config_static_selectorELNS0_4arch9wavefront6targetE0EEEvSF_
    .private_segment_fixed_size: 0
    .sgpr_count:     0
    .sgpr_spill_count: 0
    .symbol:         _ZN7rocprim17ROCPRIM_400000_NS6detail17trampoline_kernelINS0_14default_configENS1_38merge_sort_block_merge_config_selectorIfNS0_10empty_typeEEEZZNS1_27merge_sort_block_merge_implIS3_PfPS5_jNS1_19radix_merge_compareILb0ELb0EfNS0_19identity_decomposerEEEEE10hipError_tT0_T1_T2_jT3_P12ihipStream_tbPNSt15iterator_traitsISE_E10value_typeEPNSK_ISF_E10value_typeEPSG_NS1_7vsmem_tEENKUlT_SE_SF_SG_E_clIS8_S8_S9_S9_EESD_ST_SE_SF_SG_EUlST_E_NS1_11comp_targetILNS1_3genE4ELNS1_11target_archE910ELNS1_3gpuE8ELNS1_3repE0EEENS1_48merge_mergepath_partition_config_static_selectorELNS0_4arch9wavefront6targetE0EEEvSF_.kd
    .uniform_work_group_size: 1
    .uses_dynamic_stack: false
    .vgpr_count:     0
    .vgpr_spill_count: 0
    .wavefront_size: 32
  - .args:
      - .offset:         0
        .size:           40
        .value_kind:     by_value
    .group_segment_fixed_size: 0
    .kernarg_segment_align: 8
    .kernarg_segment_size: 40
    .language:       OpenCL C
    .language_version:
      - 2
      - 0
    .max_flat_workgroup_size: 128
    .name:           _ZN7rocprim17ROCPRIM_400000_NS6detail17trampoline_kernelINS0_14default_configENS1_38merge_sort_block_merge_config_selectorIfNS0_10empty_typeEEEZZNS1_27merge_sort_block_merge_implIS3_PfPS5_jNS1_19radix_merge_compareILb0ELb0EfNS0_19identity_decomposerEEEEE10hipError_tT0_T1_T2_jT3_P12ihipStream_tbPNSt15iterator_traitsISE_E10value_typeEPNSK_ISF_E10value_typeEPSG_NS1_7vsmem_tEENKUlT_SE_SF_SG_E_clIS8_S8_S9_S9_EESD_ST_SE_SF_SG_EUlST_E_NS1_11comp_targetILNS1_3genE3ELNS1_11target_archE908ELNS1_3gpuE7ELNS1_3repE0EEENS1_48merge_mergepath_partition_config_static_selectorELNS0_4arch9wavefront6targetE0EEEvSF_
    .private_segment_fixed_size: 0
    .sgpr_count:     0
    .sgpr_spill_count: 0
    .symbol:         _ZN7rocprim17ROCPRIM_400000_NS6detail17trampoline_kernelINS0_14default_configENS1_38merge_sort_block_merge_config_selectorIfNS0_10empty_typeEEEZZNS1_27merge_sort_block_merge_implIS3_PfPS5_jNS1_19radix_merge_compareILb0ELb0EfNS0_19identity_decomposerEEEEE10hipError_tT0_T1_T2_jT3_P12ihipStream_tbPNSt15iterator_traitsISE_E10value_typeEPNSK_ISF_E10value_typeEPSG_NS1_7vsmem_tEENKUlT_SE_SF_SG_E_clIS8_S8_S9_S9_EESD_ST_SE_SF_SG_EUlST_E_NS1_11comp_targetILNS1_3genE3ELNS1_11target_archE908ELNS1_3gpuE7ELNS1_3repE0EEENS1_48merge_mergepath_partition_config_static_selectorELNS0_4arch9wavefront6targetE0EEEvSF_.kd
    .uniform_work_group_size: 1
    .uses_dynamic_stack: false
    .vgpr_count:     0
    .vgpr_spill_count: 0
    .wavefront_size: 32
  - .args:
      - .offset:         0
        .size:           40
        .value_kind:     by_value
    .group_segment_fixed_size: 0
    .kernarg_segment_align: 8
    .kernarg_segment_size: 40
    .language:       OpenCL C
    .language_version:
      - 2
      - 0
    .max_flat_workgroup_size: 128
    .name:           _ZN7rocprim17ROCPRIM_400000_NS6detail17trampoline_kernelINS0_14default_configENS1_38merge_sort_block_merge_config_selectorIfNS0_10empty_typeEEEZZNS1_27merge_sort_block_merge_implIS3_PfPS5_jNS1_19radix_merge_compareILb0ELb0EfNS0_19identity_decomposerEEEEE10hipError_tT0_T1_T2_jT3_P12ihipStream_tbPNSt15iterator_traitsISE_E10value_typeEPNSK_ISF_E10value_typeEPSG_NS1_7vsmem_tEENKUlT_SE_SF_SG_E_clIS8_S8_S9_S9_EESD_ST_SE_SF_SG_EUlST_E_NS1_11comp_targetILNS1_3genE2ELNS1_11target_archE906ELNS1_3gpuE6ELNS1_3repE0EEENS1_48merge_mergepath_partition_config_static_selectorELNS0_4arch9wavefront6targetE0EEEvSF_
    .private_segment_fixed_size: 0
    .sgpr_count:     0
    .sgpr_spill_count: 0
    .symbol:         _ZN7rocprim17ROCPRIM_400000_NS6detail17trampoline_kernelINS0_14default_configENS1_38merge_sort_block_merge_config_selectorIfNS0_10empty_typeEEEZZNS1_27merge_sort_block_merge_implIS3_PfPS5_jNS1_19radix_merge_compareILb0ELb0EfNS0_19identity_decomposerEEEEE10hipError_tT0_T1_T2_jT3_P12ihipStream_tbPNSt15iterator_traitsISE_E10value_typeEPNSK_ISF_E10value_typeEPSG_NS1_7vsmem_tEENKUlT_SE_SF_SG_E_clIS8_S8_S9_S9_EESD_ST_SE_SF_SG_EUlST_E_NS1_11comp_targetILNS1_3genE2ELNS1_11target_archE906ELNS1_3gpuE6ELNS1_3repE0EEENS1_48merge_mergepath_partition_config_static_selectorELNS0_4arch9wavefront6targetE0EEEvSF_.kd
    .uniform_work_group_size: 1
    .uses_dynamic_stack: false
    .vgpr_count:     0
    .vgpr_spill_count: 0
    .wavefront_size: 32
  - .args:
      - .offset:         0
        .size:           40
        .value_kind:     by_value
    .group_segment_fixed_size: 0
    .kernarg_segment_align: 8
    .kernarg_segment_size: 40
    .language:       OpenCL C
    .language_version:
      - 2
      - 0
    .max_flat_workgroup_size: 128
    .name:           _ZN7rocprim17ROCPRIM_400000_NS6detail17trampoline_kernelINS0_14default_configENS1_38merge_sort_block_merge_config_selectorIfNS0_10empty_typeEEEZZNS1_27merge_sort_block_merge_implIS3_PfPS5_jNS1_19radix_merge_compareILb0ELb0EfNS0_19identity_decomposerEEEEE10hipError_tT0_T1_T2_jT3_P12ihipStream_tbPNSt15iterator_traitsISE_E10value_typeEPNSK_ISF_E10value_typeEPSG_NS1_7vsmem_tEENKUlT_SE_SF_SG_E_clIS8_S8_S9_S9_EESD_ST_SE_SF_SG_EUlST_E_NS1_11comp_targetILNS1_3genE9ELNS1_11target_archE1100ELNS1_3gpuE3ELNS1_3repE0EEENS1_48merge_mergepath_partition_config_static_selectorELNS0_4arch9wavefront6targetE0EEEvSF_
    .private_segment_fixed_size: 0
    .sgpr_count:     0
    .sgpr_spill_count: 0
    .symbol:         _ZN7rocprim17ROCPRIM_400000_NS6detail17trampoline_kernelINS0_14default_configENS1_38merge_sort_block_merge_config_selectorIfNS0_10empty_typeEEEZZNS1_27merge_sort_block_merge_implIS3_PfPS5_jNS1_19radix_merge_compareILb0ELb0EfNS0_19identity_decomposerEEEEE10hipError_tT0_T1_T2_jT3_P12ihipStream_tbPNSt15iterator_traitsISE_E10value_typeEPNSK_ISF_E10value_typeEPSG_NS1_7vsmem_tEENKUlT_SE_SF_SG_E_clIS8_S8_S9_S9_EESD_ST_SE_SF_SG_EUlST_E_NS1_11comp_targetILNS1_3genE9ELNS1_11target_archE1100ELNS1_3gpuE3ELNS1_3repE0EEENS1_48merge_mergepath_partition_config_static_selectorELNS0_4arch9wavefront6targetE0EEEvSF_.kd
    .uniform_work_group_size: 1
    .uses_dynamic_stack: false
    .vgpr_count:     0
    .vgpr_spill_count: 0
    .wavefront_size: 32
  - .args:
      - .offset:         0
        .size:           40
        .value_kind:     by_value
    .group_segment_fixed_size: 0
    .kernarg_segment_align: 8
    .kernarg_segment_size: 40
    .language:       OpenCL C
    .language_version:
      - 2
      - 0
    .max_flat_workgroup_size: 128
    .name:           _ZN7rocprim17ROCPRIM_400000_NS6detail17trampoline_kernelINS0_14default_configENS1_38merge_sort_block_merge_config_selectorIfNS0_10empty_typeEEEZZNS1_27merge_sort_block_merge_implIS3_PfPS5_jNS1_19radix_merge_compareILb0ELb0EfNS0_19identity_decomposerEEEEE10hipError_tT0_T1_T2_jT3_P12ihipStream_tbPNSt15iterator_traitsISE_E10value_typeEPNSK_ISF_E10value_typeEPSG_NS1_7vsmem_tEENKUlT_SE_SF_SG_E_clIS8_S8_S9_S9_EESD_ST_SE_SF_SG_EUlST_E_NS1_11comp_targetILNS1_3genE8ELNS1_11target_archE1030ELNS1_3gpuE2ELNS1_3repE0EEENS1_48merge_mergepath_partition_config_static_selectorELNS0_4arch9wavefront6targetE0EEEvSF_
    .private_segment_fixed_size: 0
    .sgpr_count:     0
    .sgpr_spill_count: 0
    .symbol:         _ZN7rocprim17ROCPRIM_400000_NS6detail17trampoline_kernelINS0_14default_configENS1_38merge_sort_block_merge_config_selectorIfNS0_10empty_typeEEEZZNS1_27merge_sort_block_merge_implIS3_PfPS5_jNS1_19radix_merge_compareILb0ELb0EfNS0_19identity_decomposerEEEEE10hipError_tT0_T1_T2_jT3_P12ihipStream_tbPNSt15iterator_traitsISE_E10value_typeEPNSK_ISF_E10value_typeEPSG_NS1_7vsmem_tEENKUlT_SE_SF_SG_E_clIS8_S8_S9_S9_EESD_ST_SE_SF_SG_EUlST_E_NS1_11comp_targetILNS1_3genE8ELNS1_11target_archE1030ELNS1_3gpuE2ELNS1_3repE0EEENS1_48merge_mergepath_partition_config_static_selectorELNS0_4arch9wavefront6targetE0EEEvSF_.kd
    .uniform_work_group_size: 1
    .uses_dynamic_stack: false
    .vgpr_count:     0
    .vgpr_spill_count: 0
    .wavefront_size: 32
  - .args:
      - .offset:         0
        .size:           64
        .value_kind:     by_value
      - .offset:         64
        .size:           4
        .value_kind:     hidden_block_count_x
      - .offset:         68
        .size:           4
        .value_kind:     hidden_block_count_y
      - .offset:         72
        .size:           4
        .value_kind:     hidden_block_count_z
      - .offset:         76
        .size:           2
        .value_kind:     hidden_group_size_x
      - .offset:         78
        .size:           2
        .value_kind:     hidden_group_size_y
      - .offset:         80
        .size:           2
        .value_kind:     hidden_group_size_z
      - .offset:         82
        .size:           2
        .value_kind:     hidden_remainder_x
      - .offset:         84
        .size:           2
        .value_kind:     hidden_remainder_y
      - .offset:         86
        .size:           2
        .value_kind:     hidden_remainder_z
      - .offset:         104
        .size:           8
        .value_kind:     hidden_global_offset_x
      - .offset:         112
        .size:           8
        .value_kind:     hidden_global_offset_y
      - .offset:         120
        .size:           8
        .value_kind:     hidden_global_offset_z
      - .offset:         128
        .size:           2
        .value_kind:     hidden_grid_dims
    .group_segment_fixed_size: 4224
    .kernarg_segment_align: 8
    .kernarg_segment_size: 320
    .language:       OpenCL C
    .language_version:
      - 2
      - 0
    .max_flat_workgroup_size: 128
    .name:           _ZN7rocprim17ROCPRIM_400000_NS6detail17trampoline_kernelINS0_14default_configENS1_38merge_sort_block_merge_config_selectorIfNS0_10empty_typeEEEZZNS1_27merge_sort_block_merge_implIS3_PfPS5_jNS1_19radix_merge_compareILb0ELb0EfNS0_19identity_decomposerEEEEE10hipError_tT0_T1_T2_jT3_P12ihipStream_tbPNSt15iterator_traitsISE_E10value_typeEPNSK_ISF_E10value_typeEPSG_NS1_7vsmem_tEENKUlT_SE_SF_SG_E_clIS8_S8_S9_S9_EESD_ST_SE_SF_SG_EUlST_E0_NS1_11comp_targetILNS1_3genE0ELNS1_11target_archE4294967295ELNS1_3gpuE0ELNS1_3repE0EEENS1_38merge_mergepath_config_static_selectorELNS0_4arch9wavefront6targetE0EEEvSF_
    .private_segment_fixed_size: 0
    .sgpr_count:     24
    .sgpr_spill_count: 0
    .symbol:         _ZN7rocprim17ROCPRIM_400000_NS6detail17trampoline_kernelINS0_14default_configENS1_38merge_sort_block_merge_config_selectorIfNS0_10empty_typeEEEZZNS1_27merge_sort_block_merge_implIS3_PfPS5_jNS1_19radix_merge_compareILb0ELb0EfNS0_19identity_decomposerEEEEE10hipError_tT0_T1_T2_jT3_P12ihipStream_tbPNSt15iterator_traitsISE_E10value_typeEPNSK_ISF_E10value_typeEPSG_NS1_7vsmem_tEENKUlT_SE_SF_SG_E_clIS8_S8_S9_S9_EESD_ST_SE_SF_SG_EUlST_E0_NS1_11comp_targetILNS1_3genE0ELNS1_11target_archE4294967295ELNS1_3gpuE0ELNS1_3repE0EEENS1_38merge_mergepath_config_static_selectorELNS0_4arch9wavefront6targetE0EEEvSF_.kd
    .uniform_work_group_size: 1
    .uses_dynamic_stack: false
    .vgpr_count:     32
    .vgpr_spill_count: 0
    .wavefront_size: 32
  - .args:
      - .offset:         0
        .size:           64
        .value_kind:     by_value
    .group_segment_fixed_size: 0
    .kernarg_segment_align: 8
    .kernarg_segment_size: 64
    .language:       OpenCL C
    .language_version:
      - 2
      - 0
    .max_flat_workgroup_size: 256
    .name:           _ZN7rocprim17ROCPRIM_400000_NS6detail17trampoline_kernelINS0_14default_configENS1_38merge_sort_block_merge_config_selectorIfNS0_10empty_typeEEEZZNS1_27merge_sort_block_merge_implIS3_PfPS5_jNS1_19radix_merge_compareILb0ELb0EfNS0_19identity_decomposerEEEEE10hipError_tT0_T1_T2_jT3_P12ihipStream_tbPNSt15iterator_traitsISE_E10value_typeEPNSK_ISF_E10value_typeEPSG_NS1_7vsmem_tEENKUlT_SE_SF_SG_E_clIS8_S8_S9_S9_EESD_ST_SE_SF_SG_EUlST_E0_NS1_11comp_targetILNS1_3genE10ELNS1_11target_archE1201ELNS1_3gpuE5ELNS1_3repE0EEENS1_38merge_mergepath_config_static_selectorELNS0_4arch9wavefront6targetE0EEEvSF_
    .private_segment_fixed_size: 0
    .sgpr_count:     0
    .sgpr_spill_count: 0
    .symbol:         _ZN7rocprim17ROCPRIM_400000_NS6detail17trampoline_kernelINS0_14default_configENS1_38merge_sort_block_merge_config_selectorIfNS0_10empty_typeEEEZZNS1_27merge_sort_block_merge_implIS3_PfPS5_jNS1_19radix_merge_compareILb0ELb0EfNS0_19identity_decomposerEEEEE10hipError_tT0_T1_T2_jT3_P12ihipStream_tbPNSt15iterator_traitsISE_E10value_typeEPNSK_ISF_E10value_typeEPSG_NS1_7vsmem_tEENKUlT_SE_SF_SG_E_clIS8_S8_S9_S9_EESD_ST_SE_SF_SG_EUlST_E0_NS1_11comp_targetILNS1_3genE10ELNS1_11target_archE1201ELNS1_3gpuE5ELNS1_3repE0EEENS1_38merge_mergepath_config_static_selectorELNS0_4arch9wavefront6targetE0EEEvSF_.kd
    .uniform_work_group_size: 1
    .uses_dynamic_stack: false
    .vgpr_count:     0
    .vgpr_spill_count: 0
    .wavefront_size: 32
  - .args:
      - .offset:         0
        .size:           64
        .value_kind:     by_value
    .group_segment_fixed_size: 0
    .kernarg_segment_align: 8
    .kernarg_segment_size: 64
    .language:       OpenCL C
    .language_version:
      - 2
      - 0
    .max_flat_workgroup_size: 128
    .name:           _ZN7rocprim17ROCPRIM_400000_NS6detail17trampoline_kernelINS0_14default_configENS1_38merge_sort_block_merge_config_selectorIfNS0_10empty_typeEEEZZNS1_27merge_sort_block_merge_implIS3_PfPS5_jNS1_19radix_merge_compareILb0ELb0EfNS0_19identity_decomposerEEEEE10hipError_tT0_T1_T2_jT3_P12ihipStream_tbPNSt15iterator_traitsISE_E10value_typeEPNSK_ISF_E10value_typeEPSG_NS1_7vsmem_tEENKUlT_SE_SF_SG_E_clIS8_S8_S9_S9_EESD_ST_SE_SF_SG_EUlST_E0_NS1_11comp_targetILNS1_3genE5ELNS1_11target_archE942ELNS1_3gpuE9ELNS1_3repE0EEENS1_38merge_mergepath_config_static_selectorELNS0_4arch9wavefront6targetE0EEEvSF_
    .private_segment_fixed_size: 0
    .sgpr_count:     0
    .sgpr_spill_count: 0
    .symbol:         _ZN7rocprim17ROCPRIM_400000_NS6detail17trampoline_kernelINS0_14default_configENS1_38merge_sort_block_merge_config_selectorIfNS0_10empty_typeEEEZZNS1_27merge_sort_block_merge_implIS3_PfPS5_jNS1_19radix_merge_compareILb0ELb0EfNS0_19identity_decomposerEEEEE10hipError_tT0_T1_T2_jT3_P12ihipStream_tbPNSt15iterator_traitsISE_E10value_typeEPNSK_ISF_E10value_typeEPSG_NS1_7vsmem_tEENKUlT_SE_SF_SG_E_clIS8_S8_S9_S9_EESD_ST_SE_SF_SG_EUlST_E0_NS1_11comp_targetILNS1_3genE5ELNS1_11target_archE942ELNS1_3gpuE9ELNS1_3repE0EEENS1_38merge_mergepath_config_static_selectorELNS0_4arch9wavefront6targetE0EEEvSF_.kd
    .uniform_work_group_size: 1
    .uses_dynamic_stack: false
    .vgpr_count:     0
    .vgpr_spill_count: 0
    .wavefront_size: 32
  - .args:
      - .offset:         0
        .size:           64
        .value_kind:     by_value
    .group_segment_fixed_size: 0
    .kernarg_segment_align: 8
    .kernarg_segment_size: 64
    .language:       OpenCL C
    .language_version:
      - 2
      - 0
    .max_flat_workgroup_size: 128
    .name:           _ZN7rocprim17ROCPRIM_400000_NS6detail17trampoline_kernelINS0_14default_configENS1_38merge_sort_block_merge_config_selectorIfNS0_10empty_typeEEEZZNS1_27merge_sort_block_merge_implIS3_PfPS5_jNS1_19radix_merge_compareILb0ELb0EfNS0_19identity_decomposerEEEEE10hipError_tT0_T1_T2_jT3_P12ihipStream_tbPNSt15iterator_traitsISE_E10value_typeEPNSK_ISF_E10value_typeEPSG_NS1_7vsmem_tEENKUlT_SE_SF_SG_E_clIS8_S8_S9_S9_EESD_ST_SE_SF_SG_EUlST_E0_NS1_11comp_targetILNS1_3genE4ELNS1_11target_archE910ELNS1_3gpuE8ELNS1_3repE0EEENS1_38merge_mergepath_config_static_selectorELNS0_4arch9wavefront6targetE0EEEvSF_
    .private_segment_fixed_size: 0
    .sgpr_count:     0
    .sgpr_spill_count: 0
    .symbol:         _ZN7rocprim17ROCPRIM_400000_NS6detail17trampoline_kernelINS0_14default_configENS1_38merge_sort_block_merge_config_selectorIfNS0_10empty_typeEEEZZNS1_27merge_sort_block_merge_implIS3_PfPS5_jNS1_19radix_merge_compareILb0ELb0EfNS0_19identity_decomposerEEEEE10hipError_tT0_T1_T2_jT3_P12ihipStream_tbPNSt15iterator_traitsISE_E10value_typeEPNSK_ISF_E10value_typeEPSG_NS1_7vsmem_tEENKUlT_SE_SF_SG_E_clIS8_S8_S9_S9_EESD_ST_SE_SF_SG_EUlST_E0_NS1_11comp_targetILNS1_3genE4ELNS1_11target_archE910ELNS1_3gpuE8ELNS1_3repE0EEENS1_38merge_mergepath_config_static_selectorELNS0_4arch9wavefront6targetE0EEEvSF_.kd
    .uniform_work_group_size: 1
    .uses_dynamic_stack: false
    .vgpr_count:     0
    .vgpr_spill_count: 0
    .wavefront_size: 32
  - .args:
      - .offset:         0
        .size:           64
        .value_kind:     by_value
    .group_segment_fixed_size: 0
    .kernarg_segment_align: 8
    .kernarg_segment_size: 64
    .language:       OpenCL C
    .language_version:
      - 2
      - 0
    .max_flat_workgroup_size: 128
    .name:           _ZN7rocprim17ROCPRIM_400000_NS6detail17trampoline_kernelINS0_14default_configENS1_38merge_sort_block_merge_config_selectorIfNS0_10empty_typeEEEZZNS1_27merge_sort_block_merge_implIS3_PfPS5_jNS1_19radix_merge_compareILb0ELb0EfNS0_19identity_decomposerEEEEE10hipError_tT0_T1_T2_jT3_P12ihipStream_tbPNSt15iterator_traitsISE_E10value_typeEPNSK_ISF_E10value_typeEPSG_NS1_7vsmem_tEENKUlT_SE_SF_SG_E_clIS8_S8_S9_S9_EESD_ST_SE_SF_SG_EUlST_E0_NS1_11comp_targetILNS1_3genE3ELNS1_11target_archE908ELNS1_3gpuE7ELNS1_3repE0EEENS1_38merge_mergepath_config_static_selectorELNS0_4arch9wavefront6targetE0EEEvSF_
    .private_segment_fixed_size: 0
    .sgpr_count:     0
    .sgpr_spill_count: 0
    .symbol:         _ZN7rocprim17ROCPRIM_400000_NS6detail17trampoline_kernelINS0_14default_configENS1_38merge_sort_block_merge_config_selectorIfNS0_10empty_typeEEEZZNS1_27merge_sort_block_merge_implIS3_PfPS5_jNS1_19radix_merge_compareILb0ELb0EfNS0_19identity_decomposerEEEEE10hipError_tT0_T1_T2_jT3_P12ihipStream_tbPNSt15iterator_traitsISE_E10value_typeEPNSK_ISF_E10value_typeEPSG_NS1_7vsmem_tEENKUlT_SE_SF_SG_E_clIS8_S8_S9_S9_EESD_ST_SE_SF_SG_EUlST_E0_NS1_11comp_targetILNS1_3genE3ELNS1_11target_archE908ELNS1_3gpuE7ELNS1_3repE0EEENS1_38merge_mergepath_config_static_selectorELNS0_4arch9wavefront6targetE0EEEvSF_.kd
    .uniform_work_group_size: 1
    .uses_dynamic_stack: false
    .vgpr_count:     0
    .vgpr_spill_count: 0
    .wavefront_size: 32
  - .args:
      - .offset:         0
        .size:           64
        .value_kind:     by_value
    .group_segment_fixed_size: 0
    .kernarg_segment_align: 8
    .kernarg_segment_size: 64
    .language:       OpenCL C
    .language_version:
      - 2
      - 0
    .max_flat_workgroup_size: 128
    .name:           _ZN7rocprim17ROCPRIM_400000_NS6detail17trampoline_kernelINS0_14default_configENS1_38merge_sort_block_merge_config_selectorIfNS0_10empty_typeEEEZZNS1_27merge_sort_block_merge_implIS3_PfPS5_jNS1_19radix_merge_compareILb0ELb0EfNS0_19identity_decomposerEEEEE10hipError_tT0_T1_T2_jT3_P12ihipStream_tbPNSt15iterator_traitsISE_E10value_typeEPNSK_ISF_E10value_typeEPSG_NS1_7vsmem_tEENKUlT_SE_SF_SG_E_clIS8_S8_S9_S9_EESD_ST_SE_SF_SG_EUlST_E0_NS1_11comp_targetILNS1_3genE2ELNS1_11target_archE906ELNS1_3gpuE6ELNS1_3repE0EEENS1_38merge_mergepath_config_static_selectorELNS0_4arch9wavefront6targetE0EEEvSF_
    .private_segment_fixed_size: 0
    .sgpr_count:     0
    .sgpr_spill_count: 0
    .symbol:         _ZN7rocprim17ROCPRIM_400000_NS6detail17trampoline_kernelINS0_14default_configENS1_38merge_sort_block_merge_config_selectorIfNS0_10empty_typeEEEZZNS1_27merge_sort_block_merge_implIS3_PfPS5_jNS1_19radix_merge_compareILb0ELb0EfNS0_19identity_decomposerEEEEE10hipError_tT0_T1_T2_jT3_P12ihipStream_tbPNSt15iterator_traitsISE_E10value_typeEPNSK_ISF_E10value_typeEPSG_NS1_7vsmem_tEENKUlT_SE_SF_SG_E_clIS8_S8_S9_S9_EESD_ST_SE_SF_SG_EUlST_E0_NS1_11comp_targetILNS1_3genE2ELNS1_11target_archE906ELNS1_3gpuE6ELNS1_3repE0EEENS1_38merge_mergepath_config_static_selectorELNS0_4arch9wavefront6targetE0EEEvSF_.kd
    .uniform_work_group_size: 1
    .uses_dynamic_stack: false
    .vgpr_count:     0
    .vgpr_spill_count: 0
    .wavefront_size: 32
  - .args:
      - .offset:         0
        .size:           64
        .value_kind:     by_value
    .group_segment_fixed_size: 0
    .kernarg_segment_align: 8
    .kernarg_segment_size: 64
    .language:       OpenCL C
    .language_version:
      - 2
      - 0
    .max_flat_workgroup_size: 256
    .name:           _ZN7rocprim17ROCPRIM_400000_NS6detail17trampoline_kernelINS0_14default_configENS1_38merge_sort_block_merge_config_selectorIfNS0_10empty_typeEEEZZNS1_27merge_sort_block_merge_implIS3_PfPS5_jNS1_19radix_merge_compareILb0ELb0EfNS0_19identity_decomposerEEEEE10hipError_tT0_T1_T2_jT3_P12ihipStream_tbPNSt15iterator_traitsISE_E10value_typeEPNSK_ISF_E10value_typeEPSG_NS1_7vsmem_tEENKUlT_SE_SF_SG_E_clIS8_S8_S9_S9_EESD_ST_SE_SF_SG_EUlST_E0_NS1_11comp_targetILNS1_3genE9ELNS1_11target_archE1100ELNS1_3gpuE3ELNS1_3repE0EEENS1_38merge_mergepath_config_static_selectorELNS0_4arch9wavefront6targetE0EEEvSF_
    .private_segment_fixed_size: 0
    .sgpr_count:     0
    .sgpr_spill_count: 0
    .symbol:         _ZN7rocprim17ROCPRIM_400000_NS6detail17trampoline_kernelINS0_14default_configENS1_38merge_sort_block_merge_config_selectorIfNS0_10empty_typeEEEZZNS1_27merge_sort_block_merge_implIS3_PfPS5_jNS1_19radix_merge_compareILb0ELb0EfNS0_19identity_decomposerEEEEE10hipError_tT0_T1_T2_jT3_P12ihipStream_tbPNSt15iterator_traitsISE_E10value_typeEPNSK_ISF_E10value_typeEPSG_NS1_7vsmem_tEENKUlT_SE_SF_SG_E_clIS8_S8_S9_S9_EESD_ST_SE_SF_SG_EUlST_E0_NS1_11comp_targetILNS1_3genE9ELNS1_11target_archE1100ELNS1_3gpuE3ELNS1_3repE0EEENS1_38merge_mergepath_config_static_selectorELNS0_4arch9wavefront6targetE0EEEvSF_.kd
    .uniform_work_group_size: 1
    .uses_dynamic_stack: false
    .vgpr_count:     0
    .vgpr_spill_count: 0
    .wavefront_size: 32
  - .args:
      - .offset:         0
        .size:           64
        .value_kind:     by_value
    .group_segment_fixed_size: 0
    .kernarg_segment_align: 8
    .kernarg_segment_size: 64
    .language:       OpenCL C
    .language_version:
      - 2
      - 0
    .max_flat_workgroup_size: 512
    .name:           _ZN7rocprim17ROCPRIM_400000_NS6detail17trampoline_kernelINS0_14default_configENS1_38merge_sort_block_merge_config_selectorIfNS0_10empty_typeEEEZZNS1_27merge_sort_block_merge_implIS3_PfPS5_jNS1_19radix_merge_compareILb0ELb0EfNS0_19identity_decomposerEEEEE10hipError_tT0_T1_T2_jT3_P12ihipStream_tbPNSt15iterator_traitsISE_E10value_typeEPNSK_ISF_E10value_typeEPSG_NS1_7vsmem_tEENKUlT_SE_SF_SG_E_clIS8_S8_S9_S9_EESD_ST_SE_SF_SG_EUlST_E0_NS1_11comp_targetILNS1_3genE8ELNS1_11target_archE1030ELNS1_3gpuE2ELNS1_3repE0EEENS1_38merge_mergepath_config_static_selectorELNS0_4arch9wavefront6targetE0EEEvSF_
    .private_segment_fixed_size: 0
    .sgpr_count:     0
    .sgpr_spill_count: 0
    .symbol:         _ZN7rocprim17ROCPRIM_400000_NS6detail17trampoline_kernelINS0_14default_configENS1_38merge_sort_block_merge_config_selectorIfNS0_10empty_typeEEEZZNS1_27merge_sort_block_merge_implIS3_PfPS5_jNS1_19radix_merge_compareILb0ELb0EfNS0_19identity_decomposerEEEEE10hipError_tT0_T1_T2_jT3_P12ihipStream_tbPNSt15iterator_traitsISE_E10value_typeEPNSK_ISF_E10value_typeEPSG_NS1_7vsmem_tEENKUlT_SE_SF_SG_E_clIS8_S8_S9_S9_EESD_ST_SE_SF_SG_EUlST_E0_NS1_11comp_targetILNS1_3genE8ELNS1_11target_archE1030ELNS1_3gpuE2ELNS1_3repE0EEENS1_38merge_mergepath_config_static_selectorELNS0_4arch9wavefront6targetE0EEEvSF_.kd
    .uniform_work_group_size: 1
    .uses_dynamic_stack: false
    .vgpr_count:     0
    .vgpr_spill_count: 0
    .wavefront_size: 32
  - .args:
      - .offset:         0
        .size:           48
        .value_kind:     by_value
    .group_segment_fixed_size: 0
    .kernarg_segment_align: 8
    .kernarg_segment_size: 48
    .language:       OpenCL C
    .language_version:
      - 2
      - 0
    .max_flat_workgroup_size: 256
    .name:           _ZN7rocprim17ROCPRIM_400000_NS6detail17trampoline_kernelINS0_14default_configENS1_38merge_sort_block_merge_config_selectorIfNS0_10empty_typeEEEZZNS1_27merge_sort_block_merge_implIS3_PfPS5_jNS1_19radix_merge_compareILb0ELb0EfNS0_19identity_decomposerEEEEE10hipError_tT0_T1_T2_jT3_P12ihipStream_tbPNSt15iterator_traitsISE_E10value_typeEPNSK_ISF_E10value_typeEPSG_NS1_7vsmem_tEENKUlT_SE_SF_SG_E_clIS8_S8_S9_S9_EESD_ST_SE_SF_SG_EUlST_E1_NS1_11comp_targetILNS1_3genE0ELNS1_11target_archE4294967295ELNS1_3gpuE0ELNS1_3repE0EEENS1_36merge_oddeven_config_static_selectorELNS0_4arch9wavefront6targetE0EEEvSF_
    .private_segment_fixed_size: 0
    .sgpr_count:     18
    .sgpr_spill_count: 0
    .symbol:         _ZN7rocprim17ROCPRIM_400000_NS6detail17trampoline_kernelINS0_14default_configENS1_38merge_sort_block_merge_config_selectorIfNS0_10empty_typeEEEZZNS1_27merge_sort_block_merge_implIS3_PfPS5_jNS1_19radix_merge_compareILb0ELb0EfNS0_19identity_decomposerEEEEE10hipError_tT0_T1_T2_jT3_P12ihipStream_tbPNSt15iterator_traitsISE_E10value_typeEPNSK_ISF_E10value_typeEPSG_NS1_7vsmem_tEENKUlT_SE_SF_SG_E_clIS8_S8_S9_S9_EESD_ST_SE_SF_SG_EUlST_E1_NS1_11comp_targetILNS1_3genE0ELNS1_11target_archE4294967295ELNS1_3gpuE0ELNS1_3repE0EEENS1_36merge_oddeven_config_static_selectorELNS0_4arch9wavefront6targetE0EEEvSF_.kd
    .uniform_work_group_size: 1
    .uses_dynamic_stack: false
    .vgpr_count:     8
    .vgpr_spill_count: 0
    .wavefront_size: 32
  - .args:
      - .offset:         0
        .size:           48
        .value_kind:     by_value
    .group_segment_fixed_size: 0
    .kernarg_segment_align: 8
    .kernarg_segment_size: 48
    .language:       OpenCL C
    .language_version:
      - 2
      - 0
    .max_flat_workgroup_size: 256
    .name:           _ZN7rocprim17ROCPRIM_400000_NS6detail17trampoline_kernelINS0_14default_configENS1_38merge_sort_block_merge_config_selectorIfNS0_10empty_typeEEEZZNS1_27merge_sort_block_merge_implIS3_PfPS5_jNS1_19radix_merge_compareILb0ELb0EfNS0_19identity_decomposerEEEEE10hipError_tT0_T1_T2_jT3_P12ihipStream_tbPNSt15iterator_traitsISE_E10value_typeEPNSK_ISF_E10value_typeEPSG_NS1_7vsmem_tEENKUlT_SE_SF_SG_E_clIS8_S8_S9_S9_EESD_ST_SE_SF_SG_EUlST_E1_NS1_11comp_targetILNS1_3genE10ELNS1_11target_archE1201ELNS1_3gpuE5ELNS1_3repE0EEENS1_36merge_oddeven_config_static_selectorELNS0_4arch9wavefront6targetE0EEEvSF_
    .private_segment_fixed_size: 0
    .sgpr_count:     0
    .sgpr_spill_count: 0
    .symbol:         _ZN7rocprim17ROCPRIM_400000_NS6detail17trampoline_kernelINS0_14default_configENS1_38merge_sort_block_merge_config_selectorIfNS0_10empty_typeEEEZZNS1_27merge_sort_block_merge_implIS3_PfPS5_jNS1_19radix_merge_compareILb0ELb0EfNS0_19identity_decomposerEEEEE10hipError_tT0_T1_T2_jT3_P12ihipStream_tbPNSt15iterator_traitsISE_E10value_typeEPNSK_ISF_E10value_typeEPSG_NS1_7vsmem_tEENKUlT_SE_SF_SG_E_clIS8_S8_S9_S9_EESD_ST_SE_SF_SG_EUlST_E1_NS1_11comp_targetILNS1_3genE10ELNS1_11target_archE1201ELNS1_3gpuE5ELNS1_3repE0EEENS1_36merge_oddeven_config_static_selectorELNS0_4arch9wavefront6targetE0EEEvSF_.kd
    .uniform_work_group_size: 1
    .uses_dynamic_stack: false
    .vgpr_count:     0
    .vgpr_spill_count: 0
    .wavefront_size: 32
  - .args:
      - .offset:         0
        .size:           48
        .value_kind:     by_value
    .group_segment_fixed_size: 0
    .kernarg_segment_align: 8
    .kernarg_segment_size: 48
    .language:       OpenCL C
    .language_version:
      - 2
      - 0
    .max_flat_workgroup_size: 256
    .name:           _ZN7rocprim17ROCPRIM_400000_NS6detail17trampoline_kernelINS0_14default_configENS1_38merge_sort_block_merge_config_selectorIfNS0_10empty_typeEEEZZNS1_27merge_sort_block_merge_implIS3_PfPS5_jNS1_19radix_merge_compareILb0ELb0EfNS0_19identity_decomposerEEEEE10hipError_tT0_T1_T2_jT3_P12ihipStream_tbPNSt15iterator_traitsISE_E10value_typeEPNSK_ISF_E10value_typeEPSG_NS1_7vsmem_tEENKUlT_SE_SF_SG_E_clIS8_S8_S9_S9_EESD_ST_SE_SF_SG_EUlST_E1_NS1_11comp_targetILNS1_3genE5ELNS1_11target_archE942ELNS1_3gpuE9ELNS1_3repE0EEENS1_36merge_oddeven_config_static_selectorELNS0_4arch9wavefront6targetE0EEEvSF_
    .private_segment_fixed_size: 0
    .sgpr_count:     0
    .sgpr_spill_count: 0
    .symbol:         _ZN7rocprim17ROCPRIM_400000_NS6detail17trampoline_kernelINS0_14default_configENS1_38merge_sort_block_merge_config_selectorIfNS0_10empty_typeEEEZZNS1_27merge_sort_block_merge_implIS3_PfPS5_jNS1_19radix_merge_compareILb0ELb0EfNS0_19identity_decomposerEEEEE10hipError_tT0_T1_T2_jT3_P12ihipStream_tbPNSt15iterator_traitsISE_E10value_typeEPNSK_ISF_E10value_typeEPSG_NS1_7vsmem_tEENKUlT_SE_SF_SG_E_clIS8_S8_S9_S9_EESD_ST_SE_SF_SG_EUlST_E1_NS1_11comp_targetILNS1_3genE5ELNS1_11target_archE942ELNS1_3gpuE9ELNS1_3repE0EEENS1_36merge_oddeven_config_static_selectorELNS0_4arch9wavefront6targetE0EEEvSF_.kd
    .uniform_work_group_size: 1
    .uses_dynamic_stack: false
    .vgpr_count:     0
    .vgpr_spill_count: 0
    .wavefront_size: 32
  - .args:
      - .offset:         0
        .size:           48
        .value_kind:     by_value
    .group_segment_fixed_size: 0
    .kernarg_segment_align: 8
    .kernarg_segment_size: 48
    .language:       OpenCL C
    .language_version:
      - 2
      - 0
    .max_flat_workgroup_size: 256
    .name:           _ZN7rocprim17ROCPRIM_400000_NS6detail17trampoline_kernelINS0_14default_configENS1_38merge_sort_block_merge_config_selectorIfNS0_10empty_typeEEEZZNS1_27merge_sort_block_merge_implIS3_PfPS5_jNS1_19radix_merge_compareILb0ELb0EfNS0_19identity_decomposerEEEEE10hipError_tT0_T1_T2_jT3_P12ihipStream_tbPNSt15iterator_traitsISE_E10value_typeEPNSK_ISF_E10value_typeEPSG_NS1_7vsmem_tEENKUlT_SE_SF_SG_E_clIS8_S8_S9_S9_EESD_ST_SE_SF_SG_EUlST_E1_NS1_11comp_targetILNS1_3genE4ELNS1_11target_archE910ELNS1_3gpuE8ELNS1_3repE0EEENS1_36merge_oddeven_config_static_selectorELNS0_4arch9wavefront6targetE0EEEvSF_
    .private_segment_fixed_size: 0
    .sgpr_count:     0
    .sgpr_spill_count: 0
    .symbol:         _ZN7rocprim17ROCPRIM_400000_NS6detail17trampoline_kernelINS0_14default_configENS1_38merge_sort_block_merge_config_selectorIfNS0_10empty_typeEEEZZNS1_27merge_sort_block_merge_implIS3_PfPS5_jNS1_19radix_merge_compareILb0ELb0EfNS0_19identity_decomposerEEEEE10hipError_tT0_T1_T2_jT3_P12ihipStream_tbPNSt15iterator_traitsISE_E10value_typeEPNSK_ISF_E10value_typeEPSG_NS1_7vsmem_tEENKUlT_SE_SF_SG_E_clIS8_S8_S9_S9_EESD_ST_SE_SF_SG_EUlST_E1_NS1_11comp_targetILNS1_3genE4ELNS1_11target_archE910ELNS1_3gpuE8ELNS1_3repE0EEENS1_36merge_oddeven_config_static_selectorELNS0_4arch9wavefront6targetE0EEEvSF_.kd
    .uniform_work_group_size: 1
    .uses_dynamic_stack: false
    .vgpr_count:     0
    .vgpr_spill_count: 0
    .wavefront_size: 32
  - .args:
      - .offset:         0
        .size:           48
        .value_kind:     by_value
    .group_segment_fixed_size: 0
    .kernarg_segment_align: 8
    .kernarg_segment_size: 48
    .language:       OpenCL C
    .language_version:
      - 2
      - 0
    .max_flat_workgroup_size: 256
    .name:           _ZN7rocprim17ROCPRIM_400000_NS6detail17trampoline_kernelINS0_14default_configENS1_38merge_sort_block_merge_config_selectorIfNS0_10empty_typeEEEZZNS1_27merge_sort_block_merge_implIS3_PfPS5_jNS1_19radix_merge_compareILb0ELb0EfNS0_19identity_decomposerEEEEE10hipError_tT0_T1_T2_jT3_P12ihipStream_tbPNSt15iterator_traitsISE_E10value_typeEPNSK_ISF_E10value_typeEPSG_NS1_7vsmem_tEENKUlT_SE_SF_SG_E_clIS8_S8_S9_S9_EESD_ST_SE_SF_SG_EUlST_E1_NS1_11comp_targetILNS1_3genE3ELNS1_11target_archE908ELNS1_3gpuE7ELNS1_3repE0EEENS1_36merge_oddeven_config_static_selectorELNS0_4arch9wavefront6targetE0EEEvSF_
    .private_segment_fixed_size: 0
    .sgpr_count:     0
    .sgpr_spill_count: 0
    .symbol:         _ZN7rocprim17ROCPRIM_400000_NS6detail17trampoline_kernelINS0_14default_configENS1_38merge_sort_block_merge_config_selectorIfNS0_10empty_typeEEEZZNS1_27merge_sort_block_merge_implIS3_PfPS5_jNS1_19radix_merge_compareILb0ELb0EfNS0_19identity_decomposerEEEEE10hipError_tT0_T1_T2_jT3_P12ihipStream_tbPNSt15iterator_traitsISE_E10value_typeEPNSK_ISF_E10value_typeEPSG_NS1_7vsmem_tEENKUlT_SE_SF_SG_E_clIS8_S8_S9_S9_EESD_ST_SE_SF_SG_EUlST_E1_NS1_11comp_targetILNS1_3genE3ELNS1_11target_archE908ELNS1_3gpuE7ELNS1_3repE0EEENS1_36merge_oddeven_config_static_selectorELNS0_4arch9wavefront6targetE0EEEvSF_.kd
    .uniform_work_group_size: 1
    .uses_dynamic_stack: false
    .vgpr_count:     0
    .vgpr_spill_count: 0
    .wavefront_size: 32
  - .args:
      - .offset:         0
        .size:           48
        .value_kind:     by_value
    .group_segment_fixed_size: 0
    .kernarg_segment_align: 8
    .kernarg_segment_size: 48
    .language:       OpenCL C
    .language_version:
      - 2
      - 0
    .max_flat_workgroup_size: 256
    .name:           _ZN7rocprim17ROCPRIM_400000_NS6detail17trampoline_kernelINS0_14default_configENS1_38merge_sort_block_merge_config_selectorIfNS0_10empty_typeEEEZZNS1_27merge_sort_block_merge_implIS3_PfPS5_jNS1_19radix_merge_compareILb0ELb0EfNS0_19identity_decomposerEEEEE10hipError_tT0_T1_T2_jT3_P12ihipStream_tbPNSt15iterator_traitsISE_E10value_typeEPNSK_ISF_E10value_typeEPSG_NS1_7vsmem_tEENKUlT_SE_SF_SG_E_clIS8_S8_S9_S9_EESD_ST_SE_SF_SG_EUlST_E1_NS1_11comp_targetILNS1_3genE2ELNS1_11target_archE906ELNS1_3gpuE6ELNS1_3repE0EEENS1_36merge_oddeven_config_static_selectorELNS0_4arch9wavefront6targetE0EEEvSF_
    .private_segment_fixed_size: 0
    .sgpr_count:     0
    .sgpr_spill_count: 0
    .symbol:         _ZN7rocprim17ROCPRIM_400000_NS6detail17trampoline_kernelINS0_14default_configENS1_38merge_sort_block_merge_config_selectorIfNS0_10empty_typeEEEZZNS1_27merge_sort_block_merge_implIS3_PfPS5_jNS1_19radix_merge_compareILb0ELb0EfNS0_19identity_decomposerEEEEE10hipError_tT0_T1_T2_jT3_P12ihipStream_tbPNSt15iterator_traitsISE_E10value_typeEPNSK_ISF_E10value_typeEPSG_NS1_7vsmem_tEENKUlT_SE_SF_SG_E_clIS8_S8_S9_S9_EESD_ST_SE_SF_SG_EUlST_E1_NS1_11comp_targetILNS1_3genE2ELNS1_11target_archE906ELNS1_3gpuE6ELNS1_3repE0EEENS1_36merge_oddeven_config_static_selectorELNS0_4arch9wavefront6targetE0EEEvSF_.kd
    .uniform_work_group_size: 1
    .uses_dynamic_stack: false
    .vgpr_count:     0
    .vgpr_spill_count: 0
    .wavefront_size: 32
  - .args:
      - .offset:         0
        .size:           48
        .value_kind:     by_value
    .group_segment_fixed_size: 0
    .kernarg_segment_align: 8
    .kernarg_segment_size: 48
    .language:       OpenCL C
    .language_version:
      - 2
      - 0
    .max_flat_workgroup_size: 256
    .name:           _ZN7rocprim17ROCPRIM_400000_NS6detail17trampoline_kernelINS0_14default_configENS1_38merge_sort_block_merge_config_selectorIfNS0_10empty_typeEEEZZNS1_27merge_sort_block_merge_implIS3_PfPS5_jNS1_19radix_merge_compareILb0ELb0EfNS0_19identity_decomposerEEEEE10hipError_tT0_T1_T2_jT3_P12ihipStream_tbPNSt15iterator_traitsISE_E10value_typeEPNSK_ISF_E10value_typeEPSG_NS1_7vsmem_tEENKUlT_SE_SF_SG_E_clIS8_S8_S9_S9_EESD_ST_SE_SF_SG_EUlST_E1_NS1_11comp_targetILNS1_3genE9ELNS1_11target_archE1100ELNS1_3gpuE3ELNS1_3repE0EEENS1_36merge_oddeven_config_static_selectorELNS0_4arch9wavefront6targetE0EEEvSF_
    .private_segment_fixed_size: 0
    .sgpr_count:     0
    .sgpr_spill_count: 0
    .symbol:         _ZN7rocprim17ROCPRIM_400000_NS6detail17trampoline_kernelINS0_14default_configENS1_38merge_sort_block_merge_config_selectorIfNS0_10empty_typeEEEZZNS1_27merge_sort_block_merge_implIS3_PfPS5_jNS1_19radix_merge_compareILb0ELb0EfNS0_19identity_decomposerEEEEE10hipError_tT0_T1_T2_jT3_P12ihipStream_tbPNSt15iterator_traitsISE_E10value_typeEPNSK_ISF_E10value_typeEPSG_NS1_7vsmem_tEENKUlT_SE_SF_SG_E_clIS8_S8_S9_S9_EESD_ST_SE_SF_SG_EUlST_E1_NS1_11comp_targetILNS1_3genE9ELNS1_11target_archE1100ELNS1_3gpuE3ELNS1_3repE0EEENS1_36merge_oddeven_config_static_selectorELNS0_4arch9wavefront6targetE0EEEvSF_.kd
    .uniform_work_group_size: 1
    .uses_dynamic_stack: false
    .vgpr_count:     0
    .vgpr_spill_count: 0
    .wavefront_size: 32
  - .args:
      - .offset:         0
        .size:           48
        .value_kind:     by_value
    .group_segment_fixed_size: 0
    .kernarg_segment_align: 8
    .kernarg_segment_size: 48
    .language:       OpenCL C
    .language_version:
      - 2
      - 0
    .max_flat_workgroup_size: 256
    .name:           _ZN7rocprim17ROCPRIM_400000_NS6detail17trampoline_kernelINS0_14default_configENS1_38merge_sort_block_merge_config_selectorIfNS0_10empty_typeEEEZZNS1_27merge_sort_block_merge_implIS3_PfPS5_jNS1_19radix_merge_compareILb0ELb0EfNS0_19identity_decomposerEEEEE10hipError_tT0_T1_T2_jT3_P12ihipStream_tbPNSt15iterator_traitsISE_E10value_typeEPNSK_ISF_E10value_typeEPSG_NS1_7vsmem_tEENKUlT_SE_SF_SG_E_clIS8_S8_S9_S9_EESD_ST_SE_SF_SG_EUlST_E1_NS1_11comp_targetILNS1_3genE8ELNS1_11target_archE1030ELNS1_3gpuE2ELNS1_3repE0EEENS1_36merge_oddeven_config_static_selectorELNS0_4arch9wavefront6targetE0EEEvSF_
    .private_segment_fixed_size: 0
    .sgpr_count:     0
    .sgpr_spill_count: 0
    .symbol:         _ZN7rocprim17ROCPRIM_400000_NS6detail17trampoline_kernelINS0_14default_configENS1_38merge_sort_block_merge_config_selectorIfNS0_10empty_typeEEEZZNS1_27merge_sort_block_merge_implIS3_PfPS5_jNS1_19radix_merge_compareILb0ELb0EfNS0_19identity_decomposerEEEEE10hipError_tT0_T1_T2_jT3_P12ihipStream_tbPNSt15iterator_traitsISE_E10value_typeEPNSK_ISF_E10value_typeEPSG_NS1_7vsmem_tEENKUlT_SE_SF_SG_E_clIS8_S8_S9_S9_EESD_ST_SE_SF_SG_EUlST_E1_NS1_11comp_targetILNS1_3genE8ELNS1_11target_archE1030ELNS1_3gpuE2ELNS1_3repE0EEENS1_36merge_oddeven_config_static_selectorELNS0_4arch9wavefront6targetE0EEEvSF_.kd
    .uniform_work_group_size: 1
    .uses_dynamic_stack: false
    .vgpr_count:     0
    .vgpr_spill_count: 0
    .wavefront_size: 32
  - .args:
      - .offset:         0
        .size:           48
        .value_kind:     by_value
    .group_segment_fixed_size: 16384
    .kernarg_segment_align: 8
    .kernarg_segment_size: 48
    .language:       OpenCL C
    .language_version:
      - 2
      - 0
    .max_flat_workgroup_size: 512
    .name:           _ZN7rocprim17ROCPRIM_400000_NS6detail17trampoline_kernelINS0_14default_configENS1_35radix_sort_onesweep_config_selectorIfNS0_10empty_typeEEEZNS1_34radix_sort_onesweep_global_offsetsIS3_Lb0EPKfPS5_mNS0_19identity_decomposerEEE10hipError_tT1_T2_PT3_SF_jT4_jjP12ihipStream_tbEUlT_E_NS1_11comp_targetILNS1_3genE0ELNS1_11target_archE4294967295ELNS1_3gpuE0ELNS1_3repE0EEENS1_52radix_sort_onesweep_histogram_config_static_selectorELNS0_4arch9wavefront6targetE0EEEvSD_
    .private_segment_fixed_size: 0
    .sgpr_count:     15
    .sgpr_spill_count: 0
    .symbol:         _ZN7rocprim17ROCPRIM_400000_NS6detail17trampoline_kernelINS0_14default_configENS1_35radix_sort_onesweep_config_selectorIfNS0_10empty_typeEEEZNS1_34radix_sort_onesweep_global_offsetsIS3_Lb0EPKfPS5_mNS0_19identity_decomposerEEE10hipError_tT1_T2_PT3_SF_jT4_jjP12ihipStream_tbEUlT_E_NS1_11comp_targetILNS1_3genE0ELNS1_11target_archE4294967295ELNS1_3gpuE0ELNS1_3repE0EEENS1_52radix_sort_onesweep_histogram_config_static_selectorELNS0_4arch9wavefront6targetE0EEEvSD_.kd
    .uniform_work_group_size: 1
    .uses_dynamic_stack: false
    .vgpr_count:     28
    .vgpr_spill_count: 0
    .wavefront_size: 32
  - .args:
      - .offset:         0
        .size:           48
        .value_kind:     by_value
    .group_segment_fixed_size: 0
    .kernarg_segment_align: 8
    .kernarg_segment_size: 48
    .language:       OpenCL C
    .language_version:
      - 2
      - 0
    .max_flat_workgroup_size: 1024
    .name:           _ZN7rocprim17ROCPRIM_400000_NS6detail17trampoline_kernelINS0_14default_configENS1_35radix_sort_onesweep_config_selectorIfNS0_10empty_typeEEEZNS1_34radix_sort_onesweep_global_offsetsIS3_Lb0EPKfPS5_mNS0_19identity_decomposerEEE10hipError_tT1_T2_PT3_SF_jT4_jjP12ihipStream_tbEUlT_E_NS1_11comp_targetILNS1_3genE6ELNS1_11target_archE950ELNS1_3gpuE13ELNS1_3repE0EEENS1_52radix_sort_onesweep_histogram_config_static_selectorELNS0_4arch9wavefront6targetE0EEEvSD_
    .private_segment_fixed_size: 0
    .sgpr_count:     0
    .sgpr_spill_count: 0
    .symbol:         _ZN7rocprim17ROCPRIM_400000_NS6detail17trampoline_kernelINS0_14default_configENS1_35radix_sort_onesweep_config_selectorIfNS0_10empty_typeEEEZNS1_34radix_sort_onesweep_global_offsetsIS3_Lb0EPKfPS5_mNS0_19identity_decomposerEEE10hipError_tT1_T2_PT3_SF_jT4_jjP12ihipStream_tbEUlT_E_NS1_11comp_targetILNS1_3genE6ELNS1_11target_archE950ELNS1_3gpuE13ELNS1_3repE0EEENS1_52radix_sort_onesweep_histogram_config_static_selectorELNS0_4arch9wavefront6targetE0EEEvSD_.kd
    .uniform_work_group_size: 1
    .uses_dynamic_stack: false
    .vgpr_count:     0
    .vgpr_spill_count: 0
    .wavefront_size: 32
  - .args:
      - .offset:         0
        .size:           48
        .value_kind:     by_value
    .group_segment_fixed_size: 0
    .kernarg_segment_align: 8
    .kernarg_segment_size: 48
    .language:       OpenCL C
    .language_version:
      - 2
      - 0
    .max_flat_workgroup_size: 1024
    .name:           _ZN7rocprim17ROCPRIM_400000_NS6detail17trampoline_kernelINS0_14default_configENS1_35radix_sort_onesweep_config_selectorIfNS0_10empty_typeEEEZNS1_34radix_sort_onesweep_global_offsetsIS3_Lb0EPKfPS5_mNS0_19identity_decomposerEEE10hipError_tT1_T2_PT3_SF_jT4_jjP12ihipStream_tbEUlT_E_NS1_11comp_targetILNS1_3genE5ELNS1_11target_archE942ELNS1_3gpuE9ELNS1_3repE0EEENS1_52radix_sort_onesweep_histogram_config_static_selectorELNS0_4arch9wavefront6targetE0EEEvSD_
    .private_segment_fixed_size: 0
    .sgpr_count:     0
    .sgpr_spill_count: 0
    .symbol:         _ZN7rocprim17ROCPRIM_400000_NS6detail17trampoline_kernelINS0_14default_configENS1_35radix_sort_onesweep_config_selectorIfNS0_10empty_typeEEEZNS1_34radix_sort_onesweep_global_offsetsIS3_Lb0EPKfPS5_mNS0_19identity_decomposerEEE10hipError_tT1_T2_PT3_SF_jT4_jjP12ihipStream_tbEUlT_E_NS1_11comp_targetILNS1_3genE5ELNS1_11target_archE942ELNS1_3gpuE9ELNS1_3repE0EEENS1_52radix_sort_onesweep_histogram_config_static_selectorELNS0_4arch9wavefront6targetE0EEEvSD_.kd
    .uniform_work_group_size: 1
    .uses_dynamic_stack: false
    .vgpr_count:     0
    .vgpr_spill_count: 0
    .wavefront_size: 32
  - .args:
      - .offset:         0
        .size:           48
        .value_kind:     by_value
    .group_segment_fixed_size: 0
    .kernarg_segment_align: 8
    .kernarg_segment_size: 48
    .language:       OpenCL C
    .language_version:
      - 2
      - 0
    .max_flat_workgroup_size: 512
    .name:           _ZN7rocprim17ROCPRIM_400000_NS6detail17trampoline_kernelINS0_14default_configENS1_35radix_sort_onesweep_config_selectorIfNS0_10empty_typeEEEZNS1_34radix_sort_onesweep_global_offsetsIS3_Lb0EPKfPS5_mNS0_19identity_decomposerEEE10hipError_tT1_T2_PT3_SF_jT4_jjP12ihipStream_tbEUlT_E_NS1_11comp_targetILNS1_3genE2ELNS1_11target_archE906ELNS1_3gpuE6ELNS1_3repE0EEENS1_52radix_sort_onesweep_histogram_config_static_selectorELNS0_4arch9wavefront6targetE0EEEvSD_
    .private_segment_fixed_size: 0
    .sgpr_count:     0
    .sgpr_spill_count: 0
    .symbol:         _ZN7rocprim17ROCPRIM_400000_NS6detail17trampoline_kernelINS0_14default_configENS1_35radix_sort_onesweep_config_selectorIfNS0_10empty_typeEEEZNS1_34radix_sort_onesweep_global_offsetsIS3_Lb0EPKfPS5_mNS0_19identity_decomposerEEE10hipError_tT1_T2_PT3_SF_jT4_jjP12ihipStream_tbEUlT_E_NS1_11comp_targetILNS1_3genE2ELNS1_11target_archE906ELNS1_3gpuE6ELNS1_3repE0EEENS1_52radix_sort_onesweep_histogram_config_static_selectorELNS0_4arch9wavefront6targetE0EEEvSD_.kd
    .uniform_work_group_size: 1
    .uses_dynamic_stack: false
    .vgpr_count:     0
    .vgpr_spill_count: 0
    .wavefront_size: 32
  - .args:
      - .offset:         0
        .size:           48
        .value_kind:     by_value
    .group_segment_fixed_size: 0
    .kernarg_segment_align: 8
    .kernarg_segment_size: 48
    .language:       OpenCL C
    .language_version:
      - 2
      - 0
    .max_flat_workgroup_size: 1024
    .name:           _ZN7rocprim17ROCPRIM_400000_NS6detail17trampoline_kernelINS0_14default_configENS1_35radix_sort_onesweep_config_selectorIfNS0_10empty_typeEEEZNS1_34radix_sort_onesweep_global_offsetsIS3_Lb0EPKfPS5_mNS0_19identity_decomposerEEE10hipError_tT1_T2_PT3_SF_jT4_jjP12ihipStream_tbEUlT_E_NS1_11comp_targetILNS1_3genE4ELNS1_11target_archE910ELNS1_3gpuE8ELNS1_3repE0EEENS1_52radix_sort_onesweep_histogram_config_static_selectorELNS0_4arch9wavefront6targetE0EEEvSD_
    .private_segment_fixed_size: 0
    .sgpr_count:     0
    .sgpr_spill_count: 0
    .symbol:         _ZN7rocprim17ROCPRIM_400000_NS6detail17trampoline_kernelINS0_14default_configENS1_35radix_sort_onesweep_config_selectorIfNS0_10empty_typeEEEZNS1_34radix_sort_onesweep_global_offsetsIS3_Lb0EPKfPS5_mNS0_19identity_decomposerEEE10hipError_tT1_T2_PT3_SF_jT4_jjP12ihipStream_tbEUlT_E_NS1_11comp_targetILNS1_3genE4ELNS1_11target_archE910ELNS1_3gpuE8ELNS1_3repE0EEENS1_52radix_sort_onesweep_histogram_config_static_selectorELNS0_4arch9wavefront6targetE0EEEvSD_.kd
    .uniform_work_group_size: 1
    .uses_dynamic_stack: false
    .vgpr_count:     0
    .vgpr_spill_count: 0
    .wavefront_size: 32
  - .args:
      - .offset:         0
        .size:           48
        .value_kind:     by_value
    .group_segment_fixed_size: 0
    .kernarg_segment_align: 8
    .kernarg_segment_size: 48
    .language:       OpenCL C
    .language_version:
      - 2
      - 0
    .max_flat_workgroup_size: 512
    .name:           _ZN7rocprim17ROCPRIM_400000_NS6detail17trampoline_kernelINS0_14default_configENS1_35radix_sort_onesweep_config_selectorIfNS0_10empty_typeEEEZNS1_34radix_sort_onesweep_global_offsetsIS3_Lb0EPKfPS5_mNS0_19identity_decomposerEEE10hipError_tT1_T2_PT3_SF_jT4_jjP12ihipStream_tbEUlT_E_NS1_11comp_targetILNS1_3genE3ELNS1_11target_archE908ELNS1_3gpuE7ELNS1_3repE0EEENS1_52radix_sort_onesweep_histogram_config_static_selectorELNS0_4arch9wavefront6targetE0EEEvSD_
    .private_segment_fixed_size: 0
    .sgpr_count:     0
    .sgpr_spill_count: 0
    .symbol:         _ZN7rocprim17ROCPRIM_400000_NS6detail17trampoline_kernelINS0_14default_configENS1_35radix_sort_onesweep_config_selectorIfNS0_10empty_typeEEEZNS1_34radix_sort_onesweep_global_offsetsIS3_Lb0EPKfPS5_mNS0_19identity_decomposerEEE10hipError_tT1_T2_PT3_SF_jT4_jjP12ihipStream_tbEUlT_E_NS1_11comp_targetILNS1_3genE3ELNS1_11target_archE908ELNS1_3gpuE7ELNS1_3repE0EEENS1_52radix_sort_onesweep_histogram_config_static_selectorELNS0_4arch9wavefront6targetE0EEEvSD_.kd
    .uniform_work_group_size: 1
    .uses_dynamic_stack: false
    .vgpr_count:     0
    .vgpr_spill_count: 0
    .wavefront_size: 32
  - .args:
      - .offset:         0
        .size:           48
        .value_kind:     by_value
    .group_segment_fixed_size: 0
    .kernarg_segment_align: 8
    .kernarg_segment_size: 48
    .language:       OpenCL C
    .language_version:
      - 2
      - 0
    .max_flat_workgroup_size: 512
    .name:           _ZN7rocprim17ROCPRIM_400000_NS6detail17trampoline_kernelINS0_14default_configENS1_35radix_sort_onesweep_config_selectorIfNS0_10empty_typeEEEZNS1_34radix_sort_onesweep_global_offsetsIS3_Lb0EPKfPS5_mNS0_19identity_decomposerEEE10hipError_tT1_T2_PT3_SF_jT4_jjP12ihipStream_tbEUlT_E_NS1_11comp_targetILNS1_3genE10ELNS1_11target_archE1201ELNS1_3gpuE5ELNS1_3repE0EEENS1_52radix_sort_onesweep_histogram_config_static_selectorELNS0_4arch9wavefront6targetE0EEEvSD_
    .private_segment_fixed_size: 0
    .sgpr_count:     0
    .sgpr_spill_count: 0
    .symbol:         _ZN7rocprim17ROCPRIM_400000_NS6detail17trampoline_kernelINS0_14default_configENS1_35radix_sort_onesweep_config_selectorIfNS0_10empty_typeEEEZNS1_34radix_sort_onesweep_global_offsetsIS3_Lb0EPKfPS5_mNS0_19identity_decomposerEEE10hipError_tT1_T2_PT3_SF_jT4_jjP12ihipStream_tbEUlT_E_NS1_11comp_targetILNS1_3genE10ELNS1_11target_archE1201ELNS1_3gpuE5ELNS1_3repE0EEENS1_52radix_sort_onesweep_histogram_config_static_selectorELNS0_4arch9wavefront6targetE0EEEvSD_.kd
    .uniform_work_group_size: 1
    .uses_dynamic_stack: false
    .vgpr_count:     0
    .vgpr_spill_count: 0
    .wavefront_size: 32
  - .args:
      - .offset:         0
        .size:           48
        .value_kind:     by_value
    .group_segment_fixed_size: 0
    .kernarg_segment_align: 8
    .kernarg_segment_size: 48
    .language:       OpenCL C
    .language_version:
      - 2
      - 0
    .max_flat_workgroup_size: 1024
    .name:           _ZN7rocprim17ROCPRIM_400000_NS6detail17trampoline_kernelINS0_14default_configENS1_35radix_sort_onesweep_config_selectorIfNS0_10empty_typeEEEZNS1_34radix_sort_onesweep_global_offsetsIS3_Lb0EPKfPS5_mNS0_19identity_decomposerEEE10hipError_tT1_T2_PT3_SF_jT4_jjP12ihipStream_tbEUlT_E_NS1_11comp_targetILNS1_3genE9ELNS1_11target_archE1100ELNS1_3gpuE3ELNS1_3repE0EEENS1_52radix_sort_onesweep_histogram_config_static_selectorELNS0_4arch9wavefront6targetE0EEEvSD_
    .private_segment_fixed_size: 0
    .sgpr_count:     0
    .sgpr_spill_count: 0
    .symbol:         _ZN7rocprim17ROCPRIM_400000_NS6detail17trampoline_kernelINS0_14default_configENS1_35radix_sort_onesweep_config_selectorIfNS0_10empty_typeEEEZNS1_34radix_sort_onesweep_global_offsetsIS3_Lb0EPKfPS5_mNS0_19identity_decomposerEEE10hipError_tT1_T2_PT3_SF_jT4_jjP12ihipStream_tbEUlT_E_NS1_11comp_targetILNS1_3genE9ELNS1_11target_archE1100ELNS1_3gpuE3ELNS1_3repE0EEENS1_52radix_sort_onesweep_histogram_config_static_selectorELNS0_4arch9wavefront6targetE0EEEvSD_.kd
    .uniform_work_group_size: 1
    .uses_dynamic_stack: false
    .vgpr_count:     0
    .vgpr_spill_count: 0
    .wavefront_size: 32
  - .args:
      - .offset:         0
        .size:           48
        .value_kind:     by_value
    .group_segment_fixed_size: 0
    .kernarg_segment_align: 8
    .kernarg_segment_size: 48
    .language:       OpenCL C
    .language_version:
      - 2
      - 0
    .max_flat_workgroup_size: 1024
    .name:           _ZN7rocprim17ROCPRIM_400000_NS6detail17trampoline_kernelINS0_14default_configENS1_35radix_sort_onesweep_config_selectorIfNS0_10empty_typeEEEZNS1_34radix_sort_onesweep_global_offsetsIS3_Lb0EPKfPS5_mNS0_19identity_decomposerEEE10hipError_tT1_T2_PT3_SF_jT4_jjP12ihipStream_tbEUlT_E_NS1_11comp_targetILNS1_3genE8ELNS1_11target_archE1030ELNS1_3gpuE2ELNS1_3repE0EEENS1_52radix_sort_onesweep_histogram_config_static_selectorELNS0_4arch9wavefront6targetE0EEEvSD_
    .private_segment_fixed_size: 0
    .sgpr_count:     0
    .sgpr_spill_count: 0
    .symbol:         _ZN7rocprim17ROCPRIM_400000_NS6detail17trampoline_kernelINS0_14default_configENS1_35radix_sort_onesweep_config_selectorIfNS0_10empty_typeEEEZNS1_34radix_sort_onesweep_global_offsetsIS3_Lb0EPKfPS5_mNS0_19identity_decomposerEEE10hipError_tT1_T2_PT3_SF_jT4_jjP12ihipStream_tbEUlT_E_NS1_11comp_targetILNS1_3genE8ELNS1_11target_archE1030ELNS1_3gpuE2ELNS1_3repE0EEENS1_52radix_sort_onesweep_histogram_config_static_selectorELNS0_4arch9wavefront6targetE0EEEvSD_.kd
    .uniform_work_group_size: 1
    .uses_dynamic_stack: false
    .vgpr_count:     0
    .vgpr_spill_count: 0
    .wavefront_size: 32
  - .args:
      - .address_space:  global
        .offset:         0
        .size:           8
        .value_kind:     global_buffer
    .group_segment_fixed_size: 128
    .kernarg_segment_align: 8
    .kernarg_segment_size: 8
    .language:       OpenCL C
    .language_version:
      - 2
      - 0
    .max_flat_workgroup_size: 512
    .name:           _ZN7rocprim17ROCPRIM_400000_NS6detail17trampoline_kernelINS0_14default_configENS1_35radix_sort_onesweep_config_selectorIfNS0_10empty_typeEEEZNS1_34radix_sort_onesweep_global_offsetsIS3_Lb0EPKfPS5_mNS0_19identity_decomposerEEE10hipError_tT1_T2_PT3_SF_jT4_jjP12ihipStream_tbEUlT_E0_NS1_11comp_targetILNS1_3genE0ELNS1_11target_archE4294967295ELNS1_3gpuE0ELNS1_3repE0EEENS1_52radix_sort_onesweep_histogram_config_static_selectorELNS0_4arch9wavefront6targetE0EEEvSD_
    .private_segment_fixed_size: 0
    .sgpr_count:     10
    .sgpr_spill_count: 0
    .symbol:         _ZN7rocprim17ROCPRIM_400000_NS6detail17trampoline_kernelINS0_14default_configENS1_35radix_sort_onesweep_config_selectorIfNS0_10empty_typeEEEZNS1_34radix_sort_onesweep_global_offsetsIS3_Lb0EPKfPS5_mNS0_19identity_decomposerEEE10hipError_tT1_T2_PT3_SF_jT4_jjP12ihipStream_tbEUlT_E0_NS1_11comp_targetILNS1_3genE0ELNS1_11target_archE4294967295ELNS1_3gpuE0ELNS1_3repE0EEENS1_52radix_sort_onesweep_histogram_config_static_selectorELNS0_4arch9wavefront6targetE0EEEvSD_.kd
    .uniform_work_group_size: 1
    .uses_dynamic_stack: false
    .vgpr_count:     14
    .vgpr_spill_count: 0
    .wavefront_size: 32
  - .args:
      - .address_space:  global
        .offset:         0
        .size:           8
        .value_kind:     global_buffer
    .group_segment_fixed_size: 0
    .kernarg_segment_align: 8
    .kernarg_segment_size: 8
    .language:       OpenCL C
    .language_version:
      - 2
      - 0
    .max_flat_workgroup_size: 1024
    .name:           _ZN7rocprim17ROCPRIM_400000_NS6detail17trampoline_kernelINS0_14default_configENS1_35radix_sort_onesweep_config_selectorIfNS0_10empty_typeEEEZNS1_34radix_sort_onesweep_global_offsetsIS3_Lb0EPKfPS5_mNS0_19identity_decomposerEEE10hipError_tT1_T2_PT3_SF_jT4_jjP12ihipStream_tbEUlT_E0_NS1_11comp_targetILNS1_3genE6ELNS1_11target_archE950ELNS1_3gpuE13ELNS1_3repE0EEENS1_52radix_sort_onesweep_histogram_config_static_selectorELNS0_4arch9wavefront6targetE0EEEvSD_
    .private_segment_fixed_size: 0
    .sgpr_count:     0
    .sgpr_spill_count: 0
    .symbol:         _ZN7rocprim17ROCPRIM_400000_NS6detail17trampoline_kernelINS0_14default_configENS1_35radix_sort_onesweep_config_selectorIfNS0_10empty_typeEEEZNS1_34radix_sort_onesweep_global_offsetsIS3_Lb0EPKfPS5_mNS0_19identity_decomposerEEE10hipError_tT1_T2_PT3_SF_jT4_jjP12ihipStream_tbEUlT_E0_NS1_11comp_targetILNS1_3genE6ELNS1_11target_archE950ELNS1_3gpuE13ELNS1_3repE0EEENS1_52radix_sort_onesweep_histogram_config_static_selectorELNS0_4arch9wavefront6targetE0EEEvSD_.kd
    .uniform_work_group_size: 1
    .uses_dynamic_stack: false
    .vgpr_count:     0
    .vgpr_spill_count: 0
    .wavefront_size: 32
  - .args:
      - .address_space:  global
        .offset:         0
        .size:           8
        .value_kind:     global_buffer
    .group_segment_fixed_size: 0
    .kernarg_segment_align: 8
    .kernarg_segment_size: 8
    .language:       OpenCL C
    .language_version:
      - 2
      - 0
    .max_flat_workgroup_size: 1024
    .name:           _ZN7rocprim17ROCPRIM_400000_NS6detail17trampoline_kernelINS0_14default_configENS1_35radix_sort_onesweep_config_selectorIfNS0_10empty_typeEEEZNS1_34radix_sort_onesweep_global_offsetsIS3_Lb0EPKfPS5_mNS0_19identity_decomposerEEE10hipError_tT1_T2_PT3_SF_jT4_jjP12ihipStream_tbEUlT_E0_NS1_11comp_targetILNS1_3genE5ELNS1_11target_archE942ELNS1_3gpuE9ELNS1_3repE0EEENS1_52radix_sort_onesweep_histogram_config_static_selectorELNS0_4arch9wavefront6targetE0EEEvSD_
    .private_segment_fixed_size: 0
    .sgpr_count:     0
    .sgpr_spill_count: 0
    .symbol:         _ZN7rocprim17ROCPRIM_400000_NS6detail17trampoline_kernelINS0_14default_configENS1_35radix_sort_onesweep_config_selectorIfNS0_10empty_typeEEEZNS1_34radix_sort_onesweep_global_offsetsIS3_Lb0EPKfPS5_mNS0_19identity_decomposerEEE10hipError_tT1_T2_PT3_SF_jT4_jjP12ihipStream_tbEUlT_E0_NS1_11comp_targetILNS1_3genE5ELNS1_11target_archE942ELNS1_3gpuE9ELNS1_3repE0EEENS1_52radix_sort_onesweep_histogram_config_static_selectorELNS0_4arch9wavefront6targetE0EEEvSD_.kd
    .uniform_work_group_size: 1
    .uses_dynamic_stack: false
    .vgpr_count:     0
    .vgpr_spill_count: 0
    .wavefront_size: 32
  - .args:
      - .address_space:  global
        .offset:         0
        .size:           8
        .value_kind:     global_buffer
    .group_segment_fixed_size: 0
    .kernarg_segment_align: 8
    .kernarg_segment_size: 8
    .language:       OpenCL C
    .language_version:
      - 2
      - 0
    .max_flat_workgroup_size: 512
    .name:           _ZN7rocprim17ROCPRIM_400000_NS6detail17trampoline_kernelINS0_14default_configENS1_35radix_sort_onesweep_config_selectorIfNS0_10empty_typeEEEZNS1_34radix_sort_onesweep_global_offsetsIS3_Lb0EPKfPS5_mNS0_19identity_decomposerEEE10hipError_tT1_T2_PT3_SF_jT4_jjP12ihipStream_tbEUlT_E0_NS1_11comp_targetILNS1_3genE2ELNS1_11target_archE906ELNS1_3gpuE6ELNS1_3repE0EEENS1_52radix_sort_onesweep_histogram_config_static_selectorELNS0_4arch9wavefront6targetE0EEEvSD_
    .private_segment_fixed_size: 0
    .sgpr_count:     0
    .sgpr_spill_count: 0
    .symbol:         _ZN7rocprim17ROCPRIM_400000_NS6detail17trampoline_kernelINS0_14default_configENS1_35radix_sort_onesweep_config_selectorIfNS0_10empty_typeEEEZNS1_34radix_sort_onesweep_global_offsetsIS3_Lb0EPKfPS5_mNS0_19identity_decomposerEEE10hipError_tT1_T2_PT3_SF_jT4_jjP12ihipStream_tbEUlT_E0_NS1_11comp_targetILNS1_3genE2ELNS1_11target_archE906ELNS1_3gpuE6ELNS1_3repE0EEENS1_52radix_sort_onesweep_histogram_config_static_selectorELNS0_4arch9wavefront6targetE0EEEvSD_.kd
    .uniform_work_group_size: 1
    .uses_dynamic_stack: false
    .vgpr_count:     0
    .vgpr_spill_count: 0
    .wavefront_size: 32
  - .args:
      - .address_space:  global
        .offset:         0
        .size:           8
        .value_kind:     global_buffer
    .group_segment_fixed_size: 0
    .kernarg_segment_align: 8
    .kernarg_segment_size: 8
    .language:       OpenCL C
    .language_version:
      - 2
      - 0
    .max_flat_workgroup_size: 1024
    .name:           _ZN7rocprim17ROCPRIM_400000_NS6detail17trampoline_kernelINS0_14default_configENS1_35radix_sort_onesweep_config_selectorIfNS0_10empty_typeEEEZNS1_34radix_sort_onesweep_global_offsetsIS3_Lb0EPKfPS5_mNS0_19identity_decomposerEEE10hipError_tT1_T2_PT3_SF_jT4_jjP12ihipStream_tbEUlT_E0_NS1_11comp_targetILNS1_3genE4ELNS1_11target_archE910ELNS1_3gpuE8ELNS1_3repE0EEENS1_52radix_sort_onesweep_histogram_config_static_selectorELNS0_4arch9wavefront6targetE0EEEvSD_
    .private_segment_fixed_size: 0
    .sgpr_count:     0
    .sgpr_spill_count: 0
    .symbol:         _ZN7rocprim17ROCPRIM_400000_NS6detail17trampoline_kernelINS0_14default_configENS1_35radix_sort_onesweep_config_selectorIfNS0_10empty_typeEEEZNS1_34radix_sort_onesweep_global_offsetsIS3_Lb0EPKfPS5_mNS0_19identity_decomposerEEE10hipError_tT1_T2_PT3_SF_jT4_jjP12ihipStream_tbEUlT_E0_NS1_11comp_targetILNS1_3genE4ELNS1_11target_archE910ELNS1_3gpuE8ELNS1_3repE0EEENS1_52radix_sort_onesweep_histogram_config_static_selectorELNS0_4arch9wavefront6targetE0EEEvSD_.kd
    .uniform_work_group_size: 1
    .uses_dynamic_stack: false
    .vgpr_count:     0
    .vgpr_spill_count: 0
    .wavefront_size: 32
  - .args:
      - .address_space:  global
        .offset:         0
        .size:           8
        .value_kind:     global_buffer
    .group_segment_fixed_size: 0
    .kernarg_segment_align: 8
    .kernarg_segment_size: 8
    .language:       OpenCL C
    .language_version:
      - 2
      - 0
    .max_flat_workgroup_size: 512
    .name:           _ZN7rocprim17ROCPRIM_400000_NS6detail17trampoline_kernelINS0_14default_configENS1_35radix_sort_onesweep_config_selectorIfNS0_10empty_typeEEEZNS1_34radix_sort_onesweep_global_offsetsIS3_Lb0EPKfPS5_mNS0_19identity_decomposerEEE10hipError_tT1_T2_PT3_SF_jT4_jjP12ihipStream_tbEUlT_E0_NS1_11comp_targetILNS1_3genE3ELNS1_11target_archE908ELNS1_3gpuE7ELNS1_3repE0EEENS1_52radix_sort_onesweep_histogram_config_static_selectorELNS0_4arch9wavefront6targetE0EEEvSD_
    .private_segment_fixed_size: 0
    .sgpr_count:     0
    .sgpr_spill_count: 0
    .symbol:         _ZN7rocprim17ROCPRIM_400000_NS6detail17trampoline_kernelINS0_14default_configENS1_35radix_sort_onesweep_config_selectorIfNS0_10empty_typeEEEZNS1_34radix_sort_onesweep_global_offsetsIS3_Lb0EPKfPS5_mNS0_19identity_decomposerEEE10hipError_tT1_T2_PT3_SF_jT4_jjP12ihipStream_tbEUlT_E0_NS1_11comp_targetILNS1_3genE3ELNS1_11target_archE908ELNS1_3gpuE7ELNS1_3repE0EEENS1_52radix_sort_onesweep_histogram_config_static_selectorELNS0_4arch9wavefront6targetE0EEEvSD_.kd
    .uniform_work_group_size: 1
    .uses_dynamic_stack: false
    .vgpr_count:     0
    .vgpr_spill_count: 0
    .wavefront_size: 32
  - .args:
      - .address_space:  global
        .offset:         0
        .size:           8
        .value_kind:     global_buffer
    .group_segment_fixed_size: 0
    .kernarg_segment_align: 8
    .kernarg_segment_size: 8
    .language:       OpenCL C
    .language_version:
      - 2
      - 0
    .max_flat_workgroup_size: 512
    .name:           _ZN7rocprim17ROCPRIM_400000_NS6detail17trampoline_kernelINS0_14default_configENS1_35radix_sort_onesweep_config_selectorIfNS0_10empty_typeEEEZNS1_34radix_sort_onesweep_global_offsetsIS3_Lb0EPKfPS5_mNS0_19identity_decomposerEEE10hipError_tT1_T2_PT3_SF_jT4_jjP12ihipStream_tbEUlT_E0_NS1_11comp_targetILNS1_3genE10ELNS1_11target_archE1201ELNS1_3gpuE5ELNS1_3repE0EEENS1_52radix_sort_onesweep_histogram_config_static_selectorELNS0_4arch9wavefront6targetE0EEEvSD_
    .private_segment_fixed_size: 0
    .sgpr_count:     0
    .sgpr_spill_count: 0
    .symbol:         _ZN7rocprim17ROCPRIM_400000_NS6detail17trampoline_kernelINS0_14default_configENS1_35radix_sort_onesweep_config_selectorIfNS0_10empty_typeEEEZNS1_34radix_sort_onesweep_global_offsetsIS3_Lb0EPKfPS5_mNS0_19identity_decomposerEEE10hipError_tT1_T2_PT3_SF_jT4_jjP12ihipStream_tbEUlT_E0_NS1_11comp_targetILNS1_3genE10ELNS1_11target_archE1201ELNS1_3gpuE5ELNS1_3repE0EEENS1_52radix_sort_onesweep_histogram_config_static_selectorELNS0_4arch9wavefront6targetE0EEEvSD_.kd
    .uniform_work_group_size: 1
    .uses_dynamic_stack: false
    .vgpr_count:     0
    .vgpr_spill_count: 0
    .wavefront_size: 32
  - .args:
      - .address_space:  global
        .offset:         0
        .size:           8
        .value_kind:     global_buffer
    .group_segment_fixed_size: 0
    .kernarg_segment_align: 8
    .kernarg_segment_size: 8
    .language:       OpenCL C
    .language_version:
      - 2
      - 0
    .max_flat_workgroup_size: 1024
    .name:           _ZN7rocprim17ROCPRIM_400000_NS6detail17trampoline_kernelINS0_14default_configENS1_35radix_sort_onesweep_config_selectorIfNS0_10empty_typeEEEZNS1_34radix_sort_onesweep_global_offsetsIS3_Lb0EPKfPS5_mNS0_19identity_decomposerEEE10hipError_tT1_T2_PT3_SF_jT4_jjP12ihipStream_tbEUlT_E0_NS1_11comp_targetILNS1_3genE9ELNS1_11target_archE1100ELNS1_3gpuE3ELNS1_3repE0EEENS1_52radix_sort_onesweep_histogram_config_static_selectorELNS0_4arch9wavefront6targetE0EEEvSD_
    .private_segment_fixed_size: 0
    .sgpr_count:     0
    .sgpr_spill_count: 0
    .symbol:         _ZN7rocprim17ROCPRIM_400000_NS6detail17trampoline_kernelINS0_14default_configENS1_35radix_sort_onesweep_config_selectorIfNS0_10empty_typeEEEZNS1_34radix_sort_onesweep_global_offsetsIS3_Lb0EPKfPS5_mNS0_19identity_decomposerEEE10hipError_tT1_T2_PT3_SF_jT4_jjP12ihipStream_tbEUlT_E0_NS1_11comp_targetILNS1_3genE9ELNS1_11target_archE1100ELNS1_3gpuE3ELNS1_3repE0EEENS1_52radix_sort_onesweep_histogram_config_static_selectorELNS0_4arch9wavefront6targetE0EEEvSD_.kd
    .uniform_work_group_size: 1
    .uses_dynamic_stack: false
    .vgpr_count:     0
    .vgpr_spill_count: 0
    .wavefront_size: 32
  - .args:
      - .address_space:  global
        .offset:         0
        .size:           8
        .value_kind:     global_buffer
    .group_segment_fixed_size: 0
    .kernarg_segment_align: 8
    .kernarg_segment_size: 8
    .language:       OpenCL C
    .language_version:
      - 2
      - 0
    .max_flat_workgroup_size: 1024
    .name:           _ZN7rocprim17ROCPRIM_400000_NS6detail17trampoline_kernelINS0_14default_configENS1_35radix_sort_onesweep_config_selectorIfNS0_10empty_typeEEEZNS1_34radix_sort_onesweep_global_offsetsIS3_Lb0EPKfPS5_mNS0_19identity_decomposerEEE10hipError_tT1_T2_PT3_SF_jT4_jjP12ihipStream_tbEUlT_E0_NS1_11comp_targetILNS1_3genE8ELNS1_11target_archE1030ELNS1_3gpuE2ELNS1_3repE0EEENS1_52radix_sort_onesweep_histogram_config_static_selectorELNS0_4arch9wavefront6targetE0EEEvSD_
    .private_segment_fixed_size: 0
    .sgpr_count:     0
    .sgpr_spill_count: 0
    .symbol:         _ZN7rocprim17ROCPRIM_400000_NS6detail17trampoline_kernelINS0_14default_configENS1_35radix_sort_onesweep_config_selectorIfNS0_10empty_typeEEEZNS1_34radix_sort_onesweep_global_offsetsIS3_Lb0EPKfPS5_mNS0_19identity_decomposerEEE10hipError_tT1_T2_PT3_SF_jT4_jjP12ihipStream_tbEUlT_E0_NS1_11comp_targetILNS1_3genE8ELNS1_11target_archE1030ELNS1_3gpuE2ELNS1_3repE0EEENS1_52radix_sort_onesweep_histogram_config_static_selectorELNS0_4arch9wavefront6targetE0EEEvSD_.kd
    .uniform_work_group_size: 1
    .uses_dynamic_stack: false
    .vgpr_count:     0
    .vgpr_spill_count: 0
    .wavefront_size: 32
  - .args:
      - .offset:         0
        .size:           88
        .value_kind:     by_value
      - .offset:         88
        .size:           4
        .value_kind:     hidden_block_count_x
      - .offset:         92
        .size:           4
        .value_kind:     hidden_block_count_y
      - .offset:         96
        .size:           4
        .value_kind:     hidden_block_count_z
      - .offset:         100
        .size:           2
        .value_kind:     hidden_group_size_x
      - .offset:         102
        .size:           2
        .value_kind:     hidden_group_size_y
      - .offset:         104
        .size:           2
        .value_kind:     hidden_group_size_z
      - .offset:         106
        .size:           2
        .value_kind:     hidden_remainder_x
      - .offset:         108
        .size:           2
        .value_kind:     hidden_remainder_y
      - .offset:         110
        .size:           2
        .value_kind:     hidden_remainder_z
      - .offset:         128
        .size:           8
        .value_kind:     hidden_global_offset_x
      - .offset:         136
        .size:           8
        .value_kind:     hidden_global_offset_y
      - .offset:         144
        .size:           8
        .value_kind:     hidden_global_offset_z
      - .offset:         152
        .size:           2
        .value_kind:     hidden_grid_dims
    .group_segment_fixed_size: 18504
    .kernarg_segment_align: 8
    .kernarg_segment_size: 344
    .language:       OpenCL C
    .language_version:
      - 2
      - 0
    .max_flat_workgroup_size: 512
    .name:           _ZN7rocprim17ROCPRIM_400000_NS6detail17trampoline_kernelINS0_14default_configENS1_35radix_sort_onesweep_config_selectorIfNS0_10empty_typeEEEZZNS1_29radix_sort_onesweep_iterationIS3_Lb0EPKfPfPS5_SB_mNS0_19identity_decomposerENS1_16block_id_wrapperIjLb1EEEEE10hipError_tT1_PNSt15iterator_traitsISG_E10value_typeET2_T3_PNSH_ISM_E10value_typeET4_T5_PSR_SS_PNS1_23onesweep_lookback_stateEbbT6_jjT7_P12ihipStream_tbENKUlT_T0_SG_SL_E_clIS9_SA_SB_SB_EEDaSZ_S10_SG_SL_EUlSZ_E_NS1_11comp_targetILNS1_3genE0ELNS1_11target_archE4294967295ELNS1_3gpuE0ELNS1_3repE0EEENS1_47radix_sort_onesweep_sort_config_static_selectorELNS0_4arch9wavefront6targetE0EEEvSG_
    .private_segment_fixed_size: 0
    .sgpr_count:     32
    .sgpr_spill_count: 0
    .symbol:         _ZN7rocprim17ROCPRIM_400000_NS6detail17trampoline_kernelINS0_14default_configENS1_35radix_sort_onesweep_config_selectorIfNS0_10empty_typeEEEZZNS1_29radix_sort_onesweep_iterationIS3_Lb0EPKfPfPS5_SB_mNS0_19identity_decomposerENS1_16block_id_wrapperIjLb1EEEEE10hipError_tT1_PNSt15iterator_traitsISG_E10value_typeET2_T3_PNSH_ISM_E10value_typeET4_T5_PSR_SS_PNS1_23onesweep_lookback_stateEbbT6_jjT7_P12ihipStream_tbENKUlT_T0_SG_SL_E_clIS9_SA_SB_SB_EEDaSZ_S10_SG_SL_EUlSZ_E_NS1_11comp_targetILNS1_3genE0ELNS1_11target_archE4294967295ELNS1_3gpuE0ELNS1_3repE0EEENS1_47radix_sort_onesweep_sort_config_static_selectorELNS0_4arch9wavefront6targetE0EEEvSG_.kd
    .uniform_work_group_size: 1
    .uses_dynamic_stack: false
    .vgpr_count:     65
    .vgpr_spill_count: 0
    .wavefront_size: 32
  - .args:
      - .offset:         0
        .size:           88
        .value_kind:     by_value
    .group_segment_fixed_size: 0
    .kernarg_segment_align: 8
    .kernarg_segment_size: 88
    .language:       OpenCL C
    .language_version:
      - 2
      - 0
    .max_flat_workgroup_size: 1024
    .name:           _ZN7rocprim17ROCPRIM_400000_NS6detail17trampoline_kernelINS0_14default_configENS1_35radix_sort_onesweep_config_selectorIfNS0_10empty_typeEEEZZNS1_29radix_sort_onesweep_iterationIS3_Lb0EPKfPfPS5_SB_mNS0_19identity_decomposerENS1_16block_id_wrapperIjLb1EEEEE10hipError_tT1_PNSt15iterator_traitsISG_E10value_typeET2_T3_PNSH_ISM_E10value_typeET4_T5_PSR_SS_PNS1_23onesweep_lookback_stateEbbT6_jjT7_P12ihipStream_tbENKUlT_T0_SG_SL_E_clIS9_SA_SB_SB_EEDaSZ_S10_SG_SL_EUlSZ_E_NS1_11comp_targetILNS1_3genE6ELNS1_11target_archE950ELNS1_3gpuE13ELNS1_3repE0EEENS1_47radix_sort_onesweep_sort_config_static_selectorELNS0_4arch9wavefront6targetE0EEEvSG_
    .private_segment_fixed_size: 0
    .sgpr_count:     0
    .sgpr_spill_count: 0
    .symbol:         _ZN7rocprim17ROCPRIM_400000_NS6detail17trampoline_kernelINS0_14default_configENS1_35radix_sort_onesweep_config_selectorIfNS0_10empty_typeEEEZZNS1_29radix_sort_onesweep_iterationIS3_Lb0EPKfPfPS5_SB_mNS0_19identity_decomposerENS1_16block_id_wrapperIjLb1EEEEE10hipError_tT1_PNSt15iterator_traitsISG_E10value_typeET2_T3_PNSH_ISM_E10value_typeET4_T5_PSR_SS_PNS1_23onesweep_lookback_stateEbbT6_jjT7_P12ihipStream_tbENKUlT_T0_SG_SL_E_clIS9_SA_SB_SB_EEDaSZ_S10_SG_SL_EUlSZ_E_NS1_11comp_targetILNS1_3genE6ELNS1_11target_archE950ELNS1_3gpuE13ELNS1_3repE0EEENS1_47radix_sort_onesweep_sort_config_static_selectorELNS0_4arch9wavefront6targetE0EEEvSG_.kd
    .uniform_work_group_size: 1
    .uses_dynamic_stack: false
    .vgpr_count:     0
    .vgpr_spill_count: 0
    .wavefront_size: 32
  - .args:
      - .offset:         0
        .size:           88
        .value_kind:     by_value
    .group_segment_fixed_size: 0
    .kernarg_segment_align: 8
    .kernarg_segment_size: 88
    .language:       OpenCL C
    .language_version:
      - 2
      - 0
    .max_flat_workgroup_size: 1024
    .name:           _ZN7rocprim17ROCPRIM_400000_NS6detail17trampoline_kernelINS0_14default_configENS1_35radix_sort_onesweep_config_selectorIfNS0_10empty_typeEEEZZNS1_29radix_sort_onesweep_iterationIS3_Lb0EPKfPfPS5_SB_mNS0_19identity_decomposerENS1_16block_id_wrapperIjLb1EEEEE10hipError_tT1_PNSt15iterator_traitsISG_E10value_typeET2_T3_PNSH_ISM_E10value_typeET4_T5_PSR_SS_PNS1_23onesweep_lookback_stateEbbT6_jjT7_P12ihipStream_tbENKUlT_T0_SG_SL_E_clIS9_SA_SB_SB_EEDaSZ_S10_SG_SL_EUlSZ_E_NS1_11comp_targetILNS1_3genE5ELNS1_11target_archE942ELNS1_3gpuE9ELNS1_3repE0EEENS1_47radix_sort_onesweep_sort_config_static_selectorELNS0_4arch9wavefront6targetE0EEEvSG_
    .private_segment_fixed_size: 0
    .sgpr_count:     0
    .sgpr_spill_count: 0
    .symbol:         _ZN7rocprim17ROCPRIM_400000_NS6detail17trampoline_kernelINS0_14default_configENS1_35radix_sort_onesweep_config_selectorIfNS0_10empty_typeEEEZZNS1_29radix_sort_onesweep_iterationIS3_Lb0EPKfPfPS5_SB_mNS0_19identity_decomposerENS1_16block_id_wrapperIjLb1EEEEE10hipError_tT1_PNSt15iterator_traitsISG_E10value_typeET2_T3_PNSH_ISM_E10value_typeET4_T5_PSR_SS_PNS1_23onesweep_lookback_stateEbbT6_jjT7_P12ihipStream_tbENKUlT_T0_SG_SL_E_clIS9_SA_SB_SB_EEDaSZ_S10_SG_SL_EUlSZ_E_NS1_11comp_targetILNS1_3genE5ELNS1_11target_archE942ELNS1_3gpuE9ELNS1_3repE0EEENS1_47radix_sort_onesweep_sort_config_static_selectorELNS0_4arch9wavefront6targetE0EEEvSG_.kd
    .uniform_work_group_size: 1
    .uses_dynamic_stack: false
    .vgpr_count:     0
    .vgpr_spill_count: 0
    .wavefront_size: 32
  - .args:
      - .offset:         0
        .size:           88
        .value_kind:     by_value
    .group_segment_fixed_size: 0
    .kernarg_segment_align: 8
    .kernarg_segment_size: 88
    .language:       OpenCL C
    .language_version:
      - 2
      - 0
    .max_flat_workgroup_size: 512
    .name:           _ZN7rocprim17ROCPRIM_400000_NS6detail17trampoline_kernelINS0_14default_configENS1_35radix_sort_onesweep_config_selectorIfNS0_10empty_typeEEEZZNS1_29radix_sort_onesweep_iterationIS3_Lb0EPKfPfPS5_SB_mNS0_19identity_decomposerENS1_16block_id_wrapperIjLb1EEEEE10hipError_tT1_PNSt15iterator_traitsISG_E10value_typeET2_T3_PNSH_ISM_E10value_typeET4_T5_PSR_SS_PNS1_23onesweep_lookback_stateEbbT6_jjT7_P12ihipStream_tbENKUlT_T0_SG_SL_E_clIS9_SA_SB_SB_EEDaSZ_S10_SG_SL_EUlSZ_E_NS1_11comp_targetILNS1_3genE2ELNS1_11target_archE906ELNS1_3gpuE6ELNS1_3repE0EEENS1_47radix_sort_onesweep_sort_config_static_selectorELNS0_4arch9wavefront6targetE0EEEvSG_
    .private_segment_fixed_size: 0
    .sgpr_count:     0
    .sgpr_spill_count: 0
    .symbol:         _ZN7rocprim17ROCPRIM_400000_NS6detail17trampoline_kernelINS0_14default_configENS1_35radix_sort_onesweep_config_selectorIfNS0_10empty_typeEEEZZNS1_29radix_sort_onesweep_iterationIS3_Lb0EPKfPfPS5_SB_mNS0_19identity_decomposerENS1_16block_id_wrapperIjLb1EEEEE10hipError_tT1_PNSt15iterator_traitsISG_E10value_typeET2_T3_PNSH_ISM_E10value_typeET4_T5_PSR_SS_PNS1_23onesweep_lookback_stateEbbT6_jjT7_P12ihipStream_tbENKUlT_T0_SG_SL_E_clIS9_SA_SB_SB_EEDaSZ_S10_SG_SL_EUlSZ_E_NS1_11comp_targetILNS1_3genE2ELNS1_11target_archE906ELNS1_3gpuE6ELNS1_3repE0EEENS1_47radix_sort_onesweep_sort_config_static_selectorELNS0_4arch9wavefront6targetE0EEEvSG_.kd
    .uniform_work_group_size: 1
    .uses_dynamic_stack: false
    .vgpr_count:     0
    .vgpr_spill_count: 0
    .wavefront_size: 32
  - .args:
      - .offset:         0
        .size:           88
        .value_kind:     by_value
    .group_segment_fixed_size: 0
    .kernarg_segment_align: 8
    .kernarg_segment_size: 88
    .language:       OpenCL C
    .language_version:
      - 2
      - 0
    .max_flat_workgroup_size: 1024
    .name:           _ZN7rocprim17ROCPRIM_400000_NS6detail17trampoline_kernelINS0_14default_configENS1_35radix_sort_onesweep_config_selectorIfNS0_10empty_typeEEEZZNS1_29radix_sort_onesweep_iterationIS3_Lb0EPKfPfPS5_SB_mNS0_19identity_decomposerENS1_16block_id_wrapperIjLb1EEEEE10hipError_tT1_PNSt15iterator_traitsISG_E10value_typeET2_T3_PNSH_ISM_E10value_typeET4_T5_PSR_SS_PNS1_23onesweep_lookback_stateEbbT6_jjT7_P12ihipStream_tbENKUlT_T0_SG_SL_E_clIS9_SA_SB_SB_EEDaSZ_S10_SG_SL_EUlSZ_E_NS1_11comp_targetILNS1_3genE4ELNS1_11target_archE910ELNS1_3gpuE8ELNS1_3repE0EEENS1_47radix_sort_onesweep_sort_config_static_selectorELNS0_4arch9wavefront6targetE0EEEvSG_
    .private_segment_fixed_size: 0
    .sgpr_count:     0
    .sgpr_spill_count: 0
    .symbol:         _ZN7rocprim17ROCPRIM_400000_NS6detail17trampoline_kernelINS0_14default_configENS1_35radix_sort_onesweep_config_selectorIfNS0_10empty_typeEEEZZNS1_29radix_sort_onesweep_iterationIS3_Lb0EPKfPfPS5_SB_mNS0_19identity_decomposerENS1_16block_id_wrapperIjLb1EEEEE10hipError_tT1_PNSt15iterator_traitsISG_E10value_typeET2_T3_PNSH_ISM_E10value_typeET4_T5_PSR_SS_PNS1_23onesweep_lookback_stateEbbT6_jjT7_P12ihipStream_tbENKUlT_T0_SG_SL_E_clIS9_SA_SB_SB_EEDaSZ_S10_SG_SL_EUlSZ_E_NS1_11comp_targetILNS1_3genE4ELNS1_11target_archE910ELNS1_3gpuE8ELNS1_3repE0EEENS1_47radix_sort_onesweep_sort_config_static_selectorELNS0_4arch9wavefront6targetE0EEEvSG_.kd
    .uniform_work_group_size: 1
    .uses_dynamic_stack: false
    .vgpr_count:     0
    .vgpr_spill_count: 0
    .wavefront_size: 32
  - .args:
      - .offset:         0
        .size:           88
        .value_kind:     by_value
    .group_segment_fixed_size: 0
    .kernarg_segment_align: 8
    .kernarg_segment_size: 88
    .language:       OpenCL C
    .language_version:
      - 2
      - 0
    .max_flat_workgroup_size: 512
    .name:           _ZN7rocprim17ROCPRIM_400000_NS6detail17trampoline_kernelINS0_14default_configENS1_35radix_sort_onesweep_config_selectorIfNS0_10empty_typeEEEZZNS1_29radix_sort_onesweep_iterationIS3_Lb0EPKfPfPS5_SB_mNS0_19identity_decomposerENS1_16block_id_wrapperIjLb1EEEEE10hipError_tT1_PNSt15iterator_traitsISG_E10value_typeET2_T3_PNSH_ISM_E10value_typeET4_T5_PSR_SS_PNS1_23onesweep_lookback_stateEbbT6_jjT7_P12ihipStream_tbENKUlT_T0_SG_SL_E_clIS9_SA_SB_SB_EEDaSZ_S10_SG_SL_EUlSZ_E_NS1_11comp_targetILNS1_3genE3ELNS1_11target_archE908ELNS1_3gpuE7ELNS1_3repE0EEENS1_47radix_sort_onesweep_sort_config_static_selectorELNS0_4arch9wavefront6targetE0EEEvSG_
    .private_segment_fixed_size: 0
    .sgpr_count:     0
    .sgpr_spill_count: 0
    .symbol:         _ZN7rocprim17ROCPRIM_400000_NS6detail17trampoline_kernelINS0_14default_configENS1_35radix_sort_onesweep_config_selectorIfNS0_10empty_typeEEEZZNS1_29radix_sort_onesweep_iterationIS3_Lb0EPKfPfPS5_SB_mNS0_19identity_decomposerENS1_16block_id_wrapperIjLb1EEEEE10hipError_tT1_PNSt15iterator_traitsISG_E10value_typeET2_T3_PNSH_ISM_E10value_typeET4_T5_PSR_SS_PNS1_23onesweep_lookback_stateEbbT6_jjT7_P12ihipStream_tbENKUlT_T0_SG_SL_E_clIS9_SA_SB_SB_EEDaSZ_S10_SG_SL_EUlSZ_E_NS1_11comp_targetILNS1_3genE3ELNS1_11target_archE908ELNS1_3gpuE7ELNS1_3repE0EEENS1_47radix_sort_onesweep_sort_config_static_selectorELNS0_4arch9wavefront6targetE0EEEvSG_.kd
    .uniform_work_group_size: 1
    .uses_dynamic_stack: false
    .vgpr_count:     0
    .vgpr_spill_count: 0
    .wavefront_size: 32
  - .args:
      - .offset:         0
        .size:           88
        .value_kind:     by_value
    .group_segment_fixed_size: 0
    .kernarg_segment_align: 8
    .kernarg_segment_size: 88
    .language:       OpenCL C
    .language_version:
      - 2
      - 0
    .max_flat_workgroup_size: 512
    .name:           _ZN7rocprim17ROCPRIM_400000_NS6detail17trampoline_kernelINS0_14default_configENS1_35radix_sort_onesweep_config_selectorIfNS0_10empty_typeEEEZZNS1_29radix_sort_onesweep_iterationIS3_Lb0EPKfPfPS5_SB_mNS0_19identity_decomposerENS1_16block_id_wrapperIjLb1EEEEE10hipError_tT1_PNSt15iterator_traitsISG_E10value_typeET2_T3_PNSH_ISM_E10value_typeET4_T5_PSR_SS_PNS1_23onesweep_lookback_stateEbbT6_jjT7_P12ihipStream_tbENKUlT_T0_SG_SL_E_clIS9_SA_SB_SB_EEDaSZ_S10_SG_SL_EUlSZ_E_NS1_11comp_targetILNS1_3genE10ELNS1_11target_archE1201ELNS1_3gpuE5ELNS1_3repE0EEENS1_47radix_sort_onesweep_sort_config_static_selectorELNS0_4arch9wavefront6targetE0EEEvSG_
    .private_segment_fixed_size: 0
    .sgpr_count:     0
    .sgpr_spill_count: 0
    .symbol:         _ZN7rocprim17ROCPRIM_400000_NS6detail17trampoline_kernelINS0_14default_configENS1_35radix_sort_onesweep_config_selectorIfNS0_10empty_typeEEEZZNS1_29radix_sort_onesweep_iterationIS3_Lb0EPKfPfPS5_SB_mNS0_19identity_decomposerENS1_16block_id_wrapperIjLb1EEEEE10hipError_tT1_PNSt15iterator_traitsISG_E10value_typeET2_T3_PNSH_ISM_E10value_typeET4_T5_PSR_SS_PNS1_23onesweep_lookback_stateEbbT6_jjT7_P12ihipStream_tbENKUlT_T0_SG_SL_E_clIS9_SA_SB_SB_EEDaSZ_S10_SG_SL_EUlSZ_E_NS1_11comp_targetILNS1_3genE10ELNS1_11target_archE1201ELNS1_3gpuE5ELNS1_3repE0EEENS1_47radix_sort_onesweep_sort_config_static_selectorELNS0_4arch9wavefront6targetE0EEEvSG_.kd
    .uniform_work_group_size: 1
    .uses_dynamic_stack: false
    .vgpr_count:     0
    .vgpr_spill_count: 0
    .wavefront_size: 32
  - .args:
      - .offset:         0
        .size:           88
        .value_kind:     by_value
    .group_segment_fixed_size: 0
    .kernarg_segment_align: 8
    .kernarg_segment_size: 88
    .language:       OpenCL C
    .language_version:
      - 2
      - 0
    .max_flat_workgroup_size: 1024
    .name:           _ZN7rocprim17ROCPRIM_400000_NS6detail17trampoline_kernelINS0_14default_configENS1_35radix_sort_onesweep_config_selectorIfNS0_10empty_typeEEEZZNS1_29radix_sort_onesweep_iterationIS3_Lb0EPKfPfPS5_SB_mNS0_19identity_decomposerENS1_16block_id_wrapperIjLb1EEEEE10hipError_tT1_PNSt15iterator_traitsISG_E10value_typeET2_T3_PNSH_ISM_E10value_typeET4_T5_PSR_SS_PNS1_23onesweep_lookback_stateEbbT6_jjT7_P12ihipStream_tbENKUlT_T0_SG_SL_E_clIS9_SA_SB_SB_EEDaSZ_S10_SG_SL_EUlSZ_E_NS1_11comp_targetILNS1_3genE9ELNS1_11target_archE1100ELNS1_3gpuE3ELNS1_3repE0EEENS1_47radix_sort_onesweep_sort_config_static_selectorELNS0_4arch9wavefront6targetE0EEEvSG_
    .private_segment_fixed_size: 0
    .sgpr_count:     0
    .sgpr_spill_count: 0
    .symbol:         _ZN7rocprim17ROCPRIM_400000_NS6detail17trampoline_kernelINS0_14default_configENS1_35radix_sort_onesweep_config_selectorIfNS0_10empty_typeEEEZZNS1_29radix_sort_onesweep_iterationIS3_Lb0EPKfPfPS5_SB_mNS0_19identity_decomposerENS1_16block_id_wrapperIjLb1EEEEE10hipError_tT1_PNSt15iterator_traitsISG_E10value_typeET2_T3_PNSH_ISM_E10value_typeET4_T5_PSR_SS_PNS1_23onesweep_lookback_stateEbbT6_jjT7_P12ihipStream_tbENKUlT_T0_SG_SL_E_clIS9_SA_SB_SB_EEDaSZ_S10_SG_SL_EUlSZ_E_NS1_11comp_targetILNS1_3genE9ELNS1_11target_archE1100ELNS1_3gpuE3ELNS1_3repE0EEENS1_47radix_sort_onesweep_sort_config_static_selectorELNS0_4arch9wavefront6targetE0EEEvSG_.kd
    .uniform_work_group_size: 1
    .uses_dynamic_stack: false
    .vgpr_count:     0
    .vgpr_spill_count: 0
    .wavefront_size: 32
  - .args:
      - .offset:         0
        .size:           88
        .value_kind:     by_value
    .group_segment_fixed_size: 0
    .kernarg_segment_align: 8
    .kernarg_segment_size: 88
    .language:       OpenCL C
    .language_version:
      - 2
      - 0
    .max_flat_workgroup_size: 1024
    .name:           _ZN7rocprim17ROCPRIM_400000_NS6detail17trampoline_kernelINS0_14default_configENS1_35radix_sort_onesweep_config_selectorIfNS0_10empty_typeEEEZZNS1_29radix_sort_onesweep_iterationIS3_Lb0EPKfPfPS5_SB_mNS0_19identity_decomposerENS1_16block_id_wrapperIjLb1EEEEE10hipError_tT1_PNSt15iterator_traitsISG_E10value_typeET2_T3_PNSH_ISM_E10value_typeET4_T5_PSR_SS_PNS1_23onesweep_lookback_stateEbbT6_jjT7_P12ihipStream_tbENKUlT_T0_SG_SL_E_clIS9_SA_SB_SB_EEDaSZ_S10_SG_SL_EUlSZ_E_NS1_11comp_targetILNS1_3genE8ELNS1_11target_archE1030ELNS1_3gpuE2ELNS1_3repE0EEENS1_47radix_sort_onesweep_sort_config_static_selectorELNS0_4arch9wavefront6targetE0EEEvSG_
    .private_segment_fixed_size: 0
    .sgpr_count:     0
    .sgpr_spill_count: 0
    .symbol:         _ZN7rocprim17ROCPRIM_400000_NS6detail17trampoline_kernelINS0_14default_configENS1_35radix_sort_onesweep_config_selectorIfNS0_10empty_typeEEEZZNS1_29radix_sort_onesweep_iterationIS3_Lb0EPKfPfPS5_SB_mNS0_19identity_decomposerENS1_16block_id_wrapperIjLb1EEEEE10hipError_tT1_PNSt15iterator_traitsISG_E10value_typeET2_T3_PNSH_ISM_E10value_typeET4_T5_PSR_SS_PNS1_23onesweep_lookback_stateEbbT6_jjT7_P12ihipStream_tbENKUlT_T0_SG_SL_E_clIS9_SA_SB_SB_EEDaSZ_S10_SG_SL_EUlSZ_E_NS1_11comp_targetILNS1_3genE8ELNS1_11target_archE1030ELNS1_3gpuE2ELNS1_3repE0EEENS1_47radix_sort_onesweep_sort_config_static_selectorELNS0_4arch9wavefront6targetE0EEEvSG_.kd
    .uniform_work_group_size: 1
    .uses_dynamic_stack: false
    .vgpr_count:     0
    .vgpr_spill_count: 0
    .wavefront_size: 32
  - .args:
      - .offset:         0
        .size:           88
        .value_kind:     by_value
      - .offset:         88
        .size:           4
        .value_kind:     hidden_block_count_x
      - .offset:         92
        .size:           4
        .value_kind:     hidden_block_count_y
      - .offset:         96
        .size:           4
        .value_kind:     hidden_block_count_z
      - .offset:         100
        .size:           2
        .value_kind:     hidden_group_size_x
      - .offset:         102
        .size:           2
        .value_kind:     hidden_group_size_y
      - .offset:         104
        .size:           2
        .value_kind:     hidden_group_size_z
      - .offset:         106
        .size:           2
        .value_kind:     hidden_remainder_x
      - .offset:         108
        .size:           2
        .value_kind:     hidden_remainder_y
      - .offset:         110
        .size:           2
        .value_kind:     hidden_remainder_z
      - .offset:         128
        .size:           8
        .value_kind:     hidden_global_offset_x
      - .offset:         136
        .size:           8
        .value_kind:     hidden_global_offset_y
      - .offset:         144
        .size:           8
        .value_kind:     hidden_global_offset_z
      - .offset:         152
        .size:           2
        .value_kind:     hidden_grid_dims
    .group_segment_fixed_size: 18504
    .kernarg_segment_align: 8
    .kernarg_segment_size: 344
    .language:       OpenCL C
    .language_version:
      - 2
      - 0
    .max_flat_workgroup_size: 512
    .name:           _ZN7rocprim17ROCPRIM_400000_NS6detail17trampoline_kernelINS0_14default_configENS1_35radix_sort_onesweep_config_selectorIfNS0_10empty_typeEEEZZNS1_29radix_sort_onesweep_iterationIS3_Lb0EPKfPfPS5_SB_mNS0_19identity_decomposerENS1_16block_id_wrapperIjLb1EEEEE10hipError_tT1_PNSt15iterator_traitsISG_E10value_typeET2_T3_PNSH_ISM_E10value_typeET4_T5_PSR_SS_PNS1_23onesweep_lookback_stateEbbT6_jjT7_P12ihipStream_tbENKUlT_T0_SG_SL_E_clISA_SA_SB_SB_EEDaSZ_S10_SG_SL_EUlSZ_E_NS1_11comp_targetILNS1_3genE0ELNS1_11target_archE4294967295ELNS1_3gpuE0ELNS1_3repE0EEENS1_47radix_sort_onesweep_sort_config_static_selectorELNS0_4arch9wavefront6targetE0EEEvSG_
    .private_segment_fixed_size: 0
    .sgpr_count:     32
    .sgpr_spill_count: 0
    .symbol:         _ZN7rocprim17ROCPRIM_400000_NS6detail17trampoline_kernelINS0_14default_configENS1_35radix_sort_onesweep_config_selectorIfNS0_10empty_typeEEEZZNS1_29radix_sort_onesweep_iterationIS3_Lb0EPKfPfPS5_SB_mNS0_19identity_decomposerENS1_16block_id_wrapperIjLb1EEEEE10hipError_tT1_PNSt15iterator_traitsISG_E10value_typeET2_T3_PNSH_ISM_E10value_typeET4_T5_PSR_SS_PNS1_23onesweep_lookback_stateEbbT6_jjT7_P12ihipStream_tbENKUlT_T0_SG_SL_E_clISA_SA_SB_SB_EEDaSZ_S10_SG_SL_EUlSZ_E_NS1_11comp_targetILNS1_3genE0ELNS1_11target_archE4294967295ELNS1_3gpuE0ELNS1_3repE0EEENS1_47radix_sort_onesweep_sort_config_static_selectorELNS0_4arch9wavefront6targetE0EEEvSG_.kd
    .uniform_work_group_size: 1
    .uses_dynamic_stack: false
    .vgpr_count:     65
    .vgpr_spill_count: 0
    .wavefront_size: 32
  - .args:
      - .offset:         0
        .size:           88
        .value_kind:     by_value
    .group_segment_fixed_size: 0
    .kernarg_segment_align: 8
    .kernarg_segment_size: 88
    .language:       OpenCL C
    .language_version:
      - 2
      - 0
    .max_flat_workgroup_size: 1024
    .name:           _ZN7rocprim17ROCPRIM_400000_NS6detail17trampoline_kernelINS0_14default_configENS1_35radix_sort_onesweep_config_selectorIfNS0_10empty_typeEEEZZNS1_29radix_sort_onesweep_iterationIS3_Lb0EPKfPfPS5_SB_mNS0_19identity_decomposerENS1_16block_id_wrapperIjLb1EEEEE10hipError_tT1_PNSt15iterator_traitsISG_E10value_typeET2_T3_PNSH_ISM_E10value_typeET4_T5_PSR_SS_PNS1_23onesweep_lookback_stateEbbT6_jjT7_P12ihipStream_tbENKUlT_T0_SG_SL_E_clISA_SA_SB_SB_EEDaSZ_S10_SG_SL_EUlSZ_E_NS1_11comp_targetILNS1_3genE6ELNS1_11target_archE950ELNS1_3gpuE13ELNS1_3repE0EEENS1_47radix_sort_onesweep_sort_config_static_selectorELNS0_4arch9wavefront6targetE0EEEvSG_
    .private_segment_fixed_size: 0
    .sgpr_count:     0
    .sgpr_spill_count: 0
    .symbol:         _ZN7rocprim17ROCPRIM_400000_NS6detail17trampoline_kernelINS0_14default_configENS1_35radix_sort_onesweep_config_selectorIfNS0_10empty_typeEEEZZNS1_29radix_sort_onesweep_iterationIS3_Lb0EPKfPfPS5_SB_mNS0_19identity_decomposerENS1_16block_id_wrapperIjLb1EEEEE10hipError_tT1_PNSt15iterator_traitsISG_E10value_typeET2_T3_PNSH_ISM_E10value_typeET4_T5_PSR_SS_PNS1_23onesweep_lookback_stateEbbT6_jjT7_P12ihipStream_tbENKUlT_T0_SG_SL_E_clISA_SA_SB_SB_EEDaSZ_S10_SG_SL_EUlSZ_E_NS1_11comp_targetILNS1_3genE6ELNS1_11target_archE950ELNS1_3gpuE13ELNS1_3repE0EEENS1_47radix_sort_onesweep_sort_config_static_selectorELNS0_4arch9wavefront6targetE0EEEvSG_.kd
    .uniform_work_group_size: 1
    .uses_dynamic_stack: false
    .vgpr_count:     0
    .vgpr_spill_count: 0
    .wavefront_size: 32
  - .args:
      - .offset:         0
        .size:           88
        .value_kind:     by_value
    .group_segment_fixed_size: 0
    .kernarg_segment_align: 8
    .kernarg_segment_size: 88
    .language:       OpenCL C
    .language_version:
      - 2
      - 0
    .max_flat_workgroup_size: 1024
    .name:           _ZN7rocprim17ROCPRIM_400000_NS6detail17trampoline_kernelINS0_14default_configENS1_35radix_sort_onesweep_config_selectorIfNS0_10empty_typeEEEZZNS1_29radix_sort_onesweep_iterationIS3_Lb0EPKfPfPS5_SB_mNS0_19identity_decomposerENS1_16block_id_wrapperIjLb1EEEEE10hipError_tT1_PNSt15iterator_traitsISG_E10value_typeET2_T3_PNSH_ISM_E10value_typeET4_T5_PSR_SS_PNS1_23onesweep_lookback_stateEbbT6_jjT7_P12ihipStream_tbENKUlT_T0_SG_SL_E_clISA_SA_SB_SB_EEDaSZ_S10_SG_SL_EUlSZ_E_NS1_11comp_targetILNS1_3genE5ELNS1_11target_archE942ELNS1_3gpuE9ELNS1_3repE0EEENS1_47radix_sort_onesweep_sort_config_static_selectorELNS0_4arch9wavefront6targetE0EEEvSG_
    .private_segment_fixed_size: 0
    .sgpr_count:     0
    .sgpr_spill_count: 0
    .symbol:         _ZN7rocprim17ROCPRIM_400000_NS6detail17trampoline_kernelINS0_14default_configENS1_35radix_sort_onesweep_config_selectorIfNS0_10empty_typeEEEZZNS1_29radix_sort_onesweep_iterationIS3_Lb0EPKfPfPS5_SB_mNS0_19identity_decomposerENS1_16block_id_wrapperIjLb1EEEEE10hipError_tT1_PNSt15iterator_traitsISG_E10value_typeET2_T3_PNSH_ISM_E10value_typeET4_T5_PSR_SS_PNS1_23onesweep_lookback_stateEbbT6_jjT7_P12ihipStream_tbENKUlT_T0_SG_SL_E_clISA_SA_SB_SB_EEDaSZ_S10_SG_SL_EUlSZ_E_NS1_11comp_targetILNS1_3genE5ELNS1_11target_archE942ELNS1_3gpuE9ELNS1_3repE0EEENS1_47radix_sort_onesweep_sort_config_static_selectorELNS0_4arch9wavefront6targetE0EEEvSG_.kd
    .uniform_work_group_size: 1
    .uses_dynamic_stack: false
    .vgpr_count:     0
    .vgpr_spill_count: 0
    .wavefront_size: 32
  - .args:
      - .offset:         0
        .size:           88
        .value_kind:     by_value
    .group_segment_fixed_size: 0
    .kernarg_segment_align: 8
    .kernarg_segment_size: 88
    .language:       OpenCL C
    .language_version:
      - 2
      - 0
    .max_flat_workgroup_size: 512
    .name:           _ZN7rocprim17ROCPRIM_400000_NS6detail17trampoline_kernelINS0_14default_configENS1_35radix_sort_onesweep_config_selectorIfNS0_10empty_typeEEEZZNS1_29radix_sort_onesweep_iterationIS3_Lb0EPKfPfPS5_SB_mNS0_19identity_decomposerENS1_16block_id_wrapperIjLb1EEEEE10hipError_tT1_PNSt15iterator_traitsISG_E10value_typeET2_T3_PNSH_ISM_E10value_typeET4_T5_PSR_SS_PNS1_23onesweep_lookback_stateEbbT6_jjT7_P12ihipStream_tbENKUlT_T0_SG_SL_E_clISA_SA_SB_SB_EEDaSZ_S10_SG_SL_EUlSZ_E_NS1_11comp_targetILNS1_3genE2ELNS1_11target_archE906ELNS1_3gpuE6ELNS1_3repE0EEENS1_47radix_sort_onesweep_sort_config_static_selectorELNS0_4arch9wavefront6targetE0EEEvSG_
    .private_segment_fixed_size: 0
    .sgpr_count:     0
    .sgpr_spill_count: 0
    .symbol:         _ZN7rocprim17ROCPRIM_400000_NS6detail17trampoline_kernelINS0_14default_configENS1_35radix_sort_onesweep_config_selectorIfNS0_10empty_typeEEEZZNS1_29radix_sort_onesweep_iterationIS3_Lb0EPKfPfPS5_SB_mNS0_19identity_decomposerENS1_16block_id_wrapperIjLb1EEEEE10hipError_tT1_PNSt15iterator_traitsISG_E10value_typeET2_T3_PNSH_ISM_E10value_typeET4_T5_PSR_SS_PNS1_23onesweep_lookback_stateEbbT6_jjT7_P12ihipStream_tbENKUlT_T0_SG_SL_E_clISA_SA_SB_SB_EEDaSZ_S10_SG_SL_EUlSZ_E_NS1_11comp_targetILNS1_3genE2ELNS1_11target_archE906ELNS1_3gpuE6ELNS1_3repE0EEENS1_47radix_sort_onesweep_sort_config_static_selectorELNS0_4arch9wavefront6targetE0EEEvSG_.kd
    .uniform_work_group_size: 1
    .uses_dynamic_stack: false
    .vgpr_count:     0
    .vgpr_spill_count: 0
    .wavefront_size: 32
  - .args:
      - .offset:         0
        .size:           88
        .value_kind:     by_value
    .group_segment_fixed_size: 0
    .kernarg_segment_align: 8
    .kernarg_segment_size: 88
    .language:       OpenCL C
    .language_version:
      - 2
      - 0
    .max_flat_workgroup_size: 1024
    .name:           _ZN7rocprim17ROCPRIM_400000_NS6detail17trampoline_kernelINS0_14default_configENS1_35radix_sort_onesweep_config_selectorIfNS0_10empty_typeEEEZZNS1_29radix_sort_onesweep_iterationIS3_Lb0EPKfPfPS5_SB_mNS0_19identity_decomposerENS1_16block_id_wrapperIjLb1EEEEE10hipError_tT1_PNSt15iterator_traitsISG_E10value_typeET2_T3_PNSH_ISM_E10value_typeET4_T5_PSR_SS_PNS1_23onesweep_lookback_stateEbbT6_jjT7_P12ihipStream_tbENKUlT_T0_SG_SL_E_clISA_SA_SB_SB_EEDaSZ_S10_SG_SL_EUlSZ_E_NS1_11comp_targetILNS1_3genE4ELNS1_11target_archE910ELNS1_3gpuE8ELNS1_3repE0EEENS1_47radix_sort_onesweep_sort_config_static_selectorELNS0_4arch9wavefront6targetE0EEEvSG_
    .private_segment_fixed_size: 0
    .sgpr_count:     0
    .sgpr_spill_count: 0
    .symbol:         _ZN7rocprim17ROCPRIM_400000_NS6detail17trampoline_kernelINS0_14default_configENS1_35radix_sort_onesweep_config_selectorIfNS0_10empty_typeEEEZZNS1_29radix_sort_onesweep_iterationIS3_Lb0EPKfPfPS5_SB_mNS0_19identity_decomposerENS1_16block_id_wrapperIjLb1EEEEE10hipError_tT1_PNSt15iterator_traitsISG_E10value_typeET2_T3_PNSH_ISM_E10value_typeET4_T5_PSR_SS_PNS1_23onesweep_lookback_stateEbbT6_jjT7_P12ihipStream_tbENKUlT_T0_SG_SL_E_clISA_SA_SB_SB_EEDaSZ_S10_SG_SL_EUlSZ_E_NS1_11comp_targetILNS1_3genE4ELNS1_11target_archE910ELNS1_3gpuE8ELNS1_3repE0EEENS1_47radix_sort_onesweep_sort_config_static_selectorELNS0_4arch9wavefront6targetE0EEEvSG_.kd
    .uniform_work_group_size: 1
    .uses_dynamic_stack: false
    .vgpr_count:     0
    .vgpr_spill_count: 0
    .wavefront_size: 32
  - .args:
      - .offset:         0
        .size:           88
        .value_kind:     by_value
    .group_segment_fixed_size: 0
    .kernarg_segment_align: 8
    .kernarg_segment_size: 88
    .language:       OpenCL C
    .language_version:
      - 2
      - 0
    .max_flat_workgroup_size: 512
    .name:           _ZN7rocprim17ROCPRIM_400000_NS6detail17trampoline_kernelINS0_14default_configENS1_35radix_sort_onesweep_config_selectorIfNS0_10empty_typeEEEZZNS1_29radix_sort_onesweep_iterationIS3_Lb0EPKfPfPS5_SB_mNS0_19identity_decomposerENS1_16block_id_wrapperIjLb1EEEEE10hipError_tT1_PNSt15iterator_traitsISG_E10value_typeET2_T3_PNSH_ISM_E10value_typeET4_T5_PSR_SS_PNS1_23onesweep_lookback_stateEbbT6_jjT7_P12ihipStream_tbENKUlT_T0_SG_SL_E_clISA_SA_SB_SB_EEDaSZ_S10_SG_SL_EUlSZ_E_NS1_11comp_targetILNS1_3genE3ELNS1_11target_archE908ELNS1_3gpuE7ELNS1_3repE0EEENS1_47radix_sort_onesweep_sort_config_static_selectorELNS0_4arch9wavefront6targetE0EEEvSG_
    .private_segment_fixed_size: 0
    .sgpr_count:     0
    .sgpr_spill_count: 0
    .symbol:         _ZN7rocprim17ROCPRIM_400000_NS6detail17trampoline_kernelINS0_14default_configENS1_35radix_sort_onesweep_config_selectorIfNS0_10empty_typeEEEZZNS1_29radix_sort_onesweep_iterationIS3_Lb0EPKfPfPS5_SB_mNS0_19identity_decomposerENS1_16block_id_wrapperIjLb1EEEEE10hipError_tT1_PNSt15iterator_traitsISG_E10value_typeET2_T3_PNSH_ISM_E10value_typeET4_T5_PSR_SS_PNS1_23onesweep_lookback_stateEbbT6_jjT7_P12ihipStream_tbENKUlT_T0_SG_SL_E_clISA_SA_SB_SB_EEDaSZ_S10_SG_SL_EUlSZ_E_NS1_11comp_targetILNS1_3genE3ELNS1_11target_archE908ELNS1_3gpuE7ELNS1_3repE0EEENS1_47radix_sort_onesweep_sort_config_static_selectorELNS0_4arch9wavefront6targetE0EEEvSG_.kd
    .uniform_work_group_size: 1
    .uses_dynamic_stack: false
    .vgpr_count:     0
    .vgpr_spill_count: 0
    .wavefront_size: 32
  - .args:
      - .offset:         0
        .size:           88
        .value_kind:     by_value
    .group_segment_fixed_size: 0
    .kernarg_segment_align: 8
    .kernarg_segment_size: 88
    .language:       OpenCL C
    .language_version:
      - 2
      - 0
    .max_flat_workgroup_size: 512
    .name:           _ZN7rocprim17ROCPRIM_400000_NS6detail17trampoline_kernelINS0_14default_configENS1_35radix_sort_onesweep_config_selectorIfNS0_10empty_typeEEEZZNS1_29radix_sort_onesweep_iterationIS3_Lb0EPKfPfPS5_SB_mNS0_19identity_decomposerENS1_16block_id_wrapperIjLb1EEEEE10hipError_tT1_PNSt15iterator_traitsISG_E10value_typeET2_T3_PNSH_ISM_E10value_typeET4_T5_PSR_SS_PNS1_23onesweep_lookback_stateEbbT6_jjT7_P12ihipStream_tbENKUlT_T0_SG_SL_E_clISA_SA_SB_SB_EEDaSZ_S10_SG_SL_EUlSZ_E_NS1_11comp_targetILNS1_3genE10ELNS1_11target_archE1201ELNS1_3gpuE5ELNS1_3repE0EEENS1_47radix_sort_onesweep_sort_config_static_selectorELNS0_4arch9wavefront6targetE0EEEvSG_
    .private_segment_fixed_size: 0
    .sgpr_count:     0
    .sgpr_spill_count: 0
    .symbol:         _ZN7rocprim17ROCPRIM_400000_NS6detail17trampoline_kernelINS0_14default_configENS1_35radix_sort_onesweep_config_selectorIfNS0_10empty_typeEEEZZNS1_29radix_sort_onesweep_iterationIS3_Lb0EPKfPfPS5_SB_mNS0_19identity_decomposerENS1_16block_id_wrapperIjLb1EEEEE10hipError_tT1_PNSt15iterator_traitsISG_E10value_typeET2_T3_PNSH_ISM_E10value_typeET4_T5_PSR_SS_PNS1_23onesweep_lookback_stateEbbT6_jjT7_P12ihipStream_tbENKUlT_T0_SG_SL_E_clISA_SA_SB_SB_EEDaSZ_S10_SG_SL_EUlSZ_E_NS1_11comp_targetILNS1_3genE10ELNS1_11target_archE1201ELNS1_3gpuE5ELNS1_3repE0EEENS1_47radix_sort_onesweep_sort_config_static_selectorELNS0_4arch9wavefront6targetE0EEEvSG_.kd
    .uniform_work_group_size: 1
    .uses_dynamic_stack: false
    .vgpr_count:     0
    .vgpr_spill_count: 0
    .wavefront_size: 32
  - .args:
      - .offset:         0
        .size:           88
        .value_kind:     by_value
    .group_segment_fixed_size: 0
    .kernarg_segment_align: 8
    .kernarg_segment_size: 88
    .language:       OpenCL C
    .language_version:
      - 2
      - 0
    .max_flat_workgroup_size: 1024
    .name:           _ZN7rocprim17ROCPRIM_400000_NS6detail17trampoline_kernelINS0_14default_configENS1_35radix_sort_onesweep_config_selectorIfNS0_10empty_typeEEEZZNS1_29radix_sort_onesweep_iterationIS3_Lb0EPKfPfPS5_SB_mNS0_19identity_decomposerENS1_16block_id_wrapperIjLb1EEEEE10hipError_tT1_PNSt15iterator_traitsISG_E10value_typeET2_T3_PNSH_ISM_E10value_typeET4_T5_PSR_SS_PNS1_23onesweep_lookback_stateEbbT6_jjT7_P12ihipStream_tbENKUlT_T0_SG_SL_E_clISA_SA_SB_SB_EEDaSZ_S10_SG_SL_EUlSZ_E_NS1_11comp_targetILNS1_3genE9ELNS1_11target_archE1100ELNS1_3gpuE3ELNS1_3repE0EEENS1_47radix_sort_onesweep_sort_config_static_selectorELNS0_4arch9wavefront6targetE0EEEvSG_
    .private_segment_fixed_size: 0
    .sgpr_count:     0
    .sgpr_spill_count: 0
    .symbol:         _ZN7rocprim17ROCPRIM_400000_NS6detail17trampoline_kernelINS0_14default_configENS1_35radix_sort_onesweep_config_selectorIfNS0_10empty_typeEEEZZNS1_29radix_sort_onesweep_iterationIS3_Lb0EPKfPfPS5_SB_mNS0_19identity_decomposerENS1_16block_id_wrapperIjLb1EEEEE10hipError_tT1_PNSt15iterator_traitsISG_E10value_typeET2_T3_PNSH_ISM_E10value_typeET4_T5_PSR_SS_PNS1_23onesweep_lookback_stateEbbT6_jjT7_P12ihipStream_tbENKUlT_T0_SG_SL_E_clISA_SA_SB_SB_EEDaSZ_S10_SG_SL_EUlSZ_E_NS1_11comp_targetILNS1_3genE9ELNS1_11target_archE1100ELNS1_3gpuE3ELNS1_3repE0EEENS1_47radix_sort_onesweep_sort_config_static_selectorELNS0_4arch9wavefront6targetE0EEEvSG_.kd
    .uniform_work_group_size: 1
    .uses_dynamic_stack: false
    .vgpr_count:     0
    .vgpr_spill_count: 0
    .wavefront_size: 32
  - .args:
      - .offset:         0
        .size:           88
        .value_kind:     by_value
    .group_segment_fixed_size: 0
    .kernarg_segment_align: 8
    .kernarg_segment_size: 88
    .language:       OpenCL C
    .language_version:
      - 2
      - 0
    .max_flat_workgroup_size: 1024
    .name:           _ZN7rocprim17ROCPRIM_400000_NS6detail17trampoline_kernelINS0_14default_configENS1_35radix_sort_onesweep_config_selectorIfNS0_10empty_typeEEEZZNS1_29radix_sort_onesweep_iterationIS3_Lb0EPKfPfPS5_SB_mNS0_19identity_decomposerENS1_16block_id_wrapperIjLb1EEEEE10hipError_tT1_PNSt15iterator_traitsISG_E10value_typeET2_T3_PNSH_ISM_E10value_typeET4_T5_PSR_SS_PNS1_23onesweep_lookback_stateEbbT6_jjT7_P12ihipStream_tbENKUlT_T0_SG_SL_E_clISA_SA_SB_SB_EEDaSZ_S10_SG_SL_EUlSZ_E_NS1_11comp_targetILNS1_3genE8ELNS1_11target_archE1030ELNS1_3gpuE2ELNS1_3repE0EEENS1_47radix_sort_onesweep_sort_config_static_selectorELNS0_4arch9wavefront6targetE0EEEvSG_
    .private_segment_fixed_size: 0
    .sgpr_count:     0
    .sgpr_spill_count: 0
    .symbol:         _ZN7rocprim17ROCPRIM_400000_NS6detail17trampoline_kernelINS0_14default_configENS1_35radix_sort_onesweep_config_selectorIfNS0_10empty_typeEEEZZNS1_29radix_sort_onesweep_iterationIS3_Lb0EPKfPfPS5_SB_mNS0_19identity_decomposerENS1_16block_id_wrapperIjLb1EEEEE10hipError_tT1_PNSt15iterator_traitsISG_E10value_typeET2_T3_PNSH_ISM_E10value_typeET4_T5_PSR_SS_PNS1_23onesweep_lookback_stateEbbT6_jjT7_P12ihipStream_tbENKUlT_T0_SG_SL_E_clISA_SA_SB_SB_EEDaSZ_S10_SG_SL_EUlSZ_E_NS1_11comp_targetILNS1_3genE8ELNS1_11target_archE1030ELNS1_3gpuE2ELNS1_3repE0EEENS1_47radix_sort_onesweep_sort_config_static_selectorELNS0_4arch9wavefront6targetE0EEEvSG_.kd
    .uniform_work_group_size: 1
    .uses_dynamic_stack: false
    .vgpr_count:     0
    .vgpr_spill_count: 0
    .wavefront_size: 32
  - .args:
      - .offset:         0
        .size:           88
        .value_kind:     by_value
      - .offset:         88
        .size:           4
        .value_kind:     hidden_block_count_x
      - .offset:         92
        .size:           4
        .value_kind:     hidden_block_count_y
      - .offset:         96
        .size:           4
        .value_kind:     hidden_block_count_z
      - .offset:         100
        .size:           2
        .value_kind:     hidden_group_size_x
      - .offset:         102
        .size:           2
        .value_kind:     hidden_group_size_y
      - .offset:         104
        .size:           2
        .value_kind:     hidden_group_size_z
      - .offset:         106
        .size:           2
        .value_kind:     hidden_remainder_x
      - .offset:         108
        .size:           2
        .value_kind:     hidden_remainder_y
      - .offset:         110
        .size:           2
        .value_kind:     hidden_remainder_z
      - .offset:         128
        .size:           8
        .value_kind:     hidden_global_offset_x
      - .offset:         136
        .size:           8
        .value_kind:     hidden_global_offset_y
      - .offset:         144
        .size:           8
        .value_kind:     hidden_global_offset_z
      - .offset:         152
        .size:           2
        .value_kind:     hidden_grid_dims
    .group_segment_fixed_size: 18504
    .kernarg_segment_align: 8
    .kernarg_segment_size: 344
    .language:       OpenCL C
    .language_version:
      - 2
      - 0
    .max_flat_workgroup_size: 512
    .name:           _ZN7rocprim17ROCPRIM_400000_NS6detail17trampoline_kernelINS0_14default_configENS1_35radix_sort_onesweep_config_selectorIfNS0_10empty_typeEEEZZNS1_29radix_sort_onesweep_iterationIS3_Lb0EPKfPfPS5_SB_mNS0_19identity_decomposerENS1_16block_id_wrapperIjLb0EEEEE10hipError_tT1_PNSt15iterator_traitsISG_E10value_typeET2_T3_PNSH_ISM_E10value_typeET4_T5_PSR_SS_PNS1_23onesweep_lookback_stateEbbT6_jjT7_P12ihipStream_tbENKUlT_T0_SG_SL_E_clIS9_SA_SB_SB_EEDaSZ_S10_SG_SL_EUlSZ_E_NS1_11comp_targetILNS1_3genE0ELNS1_11target_archE4294967295ELNS1_3gpuE0ELNS1_3repE0EEENS1_47radix_sort_onesweep_sort_config_static_selectorELNS0_4arch9wavefront6targetE0EEEvSG_
    .private_segment_fixed_size: 0
    .sgpr_count:     30
    .sgpr_spill_count: 0
    .symbol:         _ZN7rocprim17ROCPRIM_400000_NS6detail17trampoline_kernelINS0_14default_configENS1_35radix_sort_onesweep_config_selectorIfNS0_10empty_typeEEEZZNS1_29radix_sort_onesweep_iterationIS3_Lb0EPKfPfPS5_SB_mNS0_19identity_decomposerENS1_16block_id_wrapperIjLb0EEEEE10hipError_tT1_PNSt15iterator_traitsISG_E10value_typeET2_T3_PNSH_ISM_E10value_typeET4_T5_PSR_SS_PNS1_23onesweep_lookback_stateEbbT6_jjT7_P12ihipStream_tbENKUlT_T0_SG_SL_E_clIS9_SA_SB_SB_EEDaSZ_S10_SG_SL_EUlSZ_E_NS1_11comp_targetILNS1_3genE0ELNS1_11target_archE4294967295ELNS1_3gpuE0ELNS1_3repE0EEENS1_47radix_sort_onesweep_sort_config_static_selectorELNS0_4arch9wavefront6targetE0EEEvSG_.kd
    .uniform_work_group_size: 1
    .uses_dynamic_stack: false
    .vgpr_count:     65
    .vgpr_spill_count: 0
    .wavefront_size: 32
  - .args:
      - .offset:         0
        .size:           88
        .value_kind:     by_value
    .group_segment_fixed_size: 0
    .kernarg_segment_align: 8
    .kernarg_segment_size: 88
    .language:       OpenCL C
    .language_version:
      - 2
      - 0
    .max_flat_workgroup_size: 1024
    .name:           _ZN7rocprim17ROCPRIM_400000_NS6detail17trampoline_kernelINS0_14default_configENS1_35radix_sort_onesweep_config_selectorIfNS0_10empty_typeEEEZZNS1_29radix_sort_onesweep_iterationIS3_Lb0EPKfPfPS5_SB_mNS0_19identity_decomposerENS1_16block_id_wrapperIjLb0EEEEE10hipError_tT1_PNSt15iterator_traitsISG_E10value_typeET2_T3_PNSH_ISM_E10value_typeET4_T5_PSR_SS_PNS1_23onesweep_lookback_stateEbbT6_jjT7_P12ihipStream_tbENKUlT_T0_SG_SL_E_clIS9_SA_SB_SB_EEDaSZ_S10_SG_SL_EUlSZ_E_NS1_11comp_targetILNS1_3genE6ELNS1_11target_archE950ELNS1_3gpuE13ELNS1_3repE0EEENS1_47radix_sort_onesweep_sort_config_static_selectorELNS0_4arch9wavefront6targetE0EEEvSG_
    .private_segment_fixed_size: 0
    .sgpr_count:     0
    .sgpr_spill_count: 0
    .symbol:         _ZN7rocprim17ROCPRIM_400000_NS6detail17trampoline_kernelINS0_14default_configENS1_35radix_sort_onesweep_config_selectorIfNS0_10empty_typeEEEZZNS1_29radix_sort_onesweep_iterationIS3_Lb0EPKfPfPS5_SB_mNS0_19identity_decomposerENS1_16block_id_wrapperIjLb0EEEEE10hipError_tT1_PNSt15iterator_traitsISG_E10value_typeET2_T3_PNSH_ISM_E10value_typeET4_T5_PSR_SS_PNS1_23onesweep_lookback_stateEbbT6_jjT7_P12ihipStream_tbENKUlT_T0_SG_SL_E_clIS9_SA_SB_SB_EEDaSZ_S10_SG_SL_EUlSZ_E_NS1_11comp_targetILNS1_3genE6ELNS1_11target_archE950ELNS1_3gpuE13ELNS1_3repE0EEENS1_47radix_sort_onesweep_sort_config_static_selectorELNS0_4arch9wavefront6targetE0EEEvSG_.kd
    .uniform_work_group_size: 1
    .uses_dynamic_stack: false
    .vgpr_count:     0
    .vgpr_spill_count: 0
    .wavefront_size: 32
  - .args:
      - .offset:         0
        .size:           88
        .value_kind:     by_value
    .group_segment_fixed_size: 0
    .kernarg_segment_align: 8
    .kernarg_segment_size: 88
    .language:       OpenCL C
    .language_version:
      - 2
      - 0
    .max_flat_workgroup_size: 1024
    .name:           _ZN7rocprim17ROCPRIM_400000_NS6detail17trampoline_kernelINS0_14default_configENS1_35radix_sort_onesweep_config_selectorIfNS0_10empty_typeEEEZZNS1_29radix_sort_onesweep_iterationIS3_Lb0EPKfPfPS5_SB_mNS0_19identity_decomposerENS1_16block_id_wrapperIjLb0EEEEE10hipError_tT1_PNSt15iterator_traitsISG_E10value_typeET2_T3_PNSH_ISM_E10value_typeET4_T5_PSR_SS_PNS1_23onesweep_lookback_stateEbbT6_jjT7_P12ihipStream_tbENKUlT_T0_SG_SL_E_clIS9_SA_SB_SB_EEDaSZ_S10_SG_SL_EUlSZ_E_NS1_11comp_targetILNS1_3genE5ELNS1_11target_archE942ELNS1_3gpuE9ELNS1_3repE0EEENS1_47radix_sort_onesweep_sort_config_static_selectorELNS0_4arch9wavefront6targetE0EEEvSG_
    .private_segment_fixed_size: 0
    .sgpr_count:     0
    .sgpr_spill_count: 0
    .symbol:         _ZN7rocprim17ROCPRIM_400000_NS6detail17trampoline_kernelINS0_14default_configENS1_35radix_sort_onesweep_config_selectorIfNS0_10empty_typeEEEZZNS1_29radix_sort_onesweep_iterationIS3_Lb0EPKfPfPS5_SB_mNS0_19identity_decomposerENS1_16block_id_wrapperIjLb0EEEEE10hipError_tT1_PNSt15iterator_traitsISG_E10value_typeET2_T3_PNSH_ISM_E10value_typeET4_T5_PSR_SS_PNS1_23onesweep_lookback_stateEbbT6_jjT7_P12ihipStream_tbENKUlT_T0_SG_SL_E_clIS9_SA_SB_SB_EEDaSZ_S10_SG_SL_EUlSZ_E_NS1_11comp_targetILNS1_3genE5ELNS1_11target_archE942ELNS1_3gpuE9ELNS1_3repE0EEENS1_47radix_sort_onesweep_sort_config_static_selectorELNS0_4arch9wavefront6targetE0EEEvSG_.kd
    .uniform_work_group_size: 1
    .uses_dynamic_stack: false
    .vgpr_count:     0
    .vgpr_spill_count: 0
    .wavefront_size: 32
  - .args:
      - .offset:         0
        .size:           88
        .value_kind:     by_value
    .group_segment_fixed_size: 0
    .kernarg_segment_align: 8
    .kernarg_segment_size: 88
    .language:       OpenCL C
    .language_version:
      - 2
      - 0
    .max_flat_workgroup_size: 512
    .name:           _ZN7rocprim17ROCPRIM_400000_NS6detail17trampoline_kernelINS0_14default_configENS1_35radix_sort_onesweep_config_selectorIfNS0_10empty_typeEEEZZNS1_29radix_sort_onesweep_iterationIS3_Lb0EPKfPfPS5_SB_mNS0_19identity_decomposerENS1_16block_id_wrapperIjLb0EEEEE10hipError_tT1_PNSt15iterator_traitsISG_E10value_typeET2_T3_PNSH_ISM_E10value_typeET4_T5_PSR_SS_PNS1_23onesweep_lookback_stateEbbT6_jjT7_P12ihipStream_tbENKUlT_T0_SG_SL_E_clIS9_SA_SB_SB_EEDaSZ_S10_SG_SL_EUlSZ_E_NS1_11comp_targetILNS1_3genE2ELNS1_11target_archE906ELNS1_3gpuE6ELNS1_3repE0EEENS1_47radix_sort_onesweep_sort_config_static_selectorELNS0_4arch9wavefront6targetE0EEEvSG_
    .private_segment_fixed_size: 0
    .sgpr_count:     0
    .sgpr_spill_count: 0
    .symbol:         _ZN7rocprim17ROCPRIM_400000_NS6detail17trampoline_kernelINS0_14default_configENS1_35radix_sort_onesweep_config_selectorIfNS0_10empty_typeEEEZZNS1_29radix_sort_onesweep_iterationIS3_Lb0EPKfPfPS5_SB_mNS0_19identity_decomposerENS1_16block_id_wrapperIjLb0EEEEE10hipError_tT1_PNSt15iterator_traitsISG_E10value_typeET2_T3_PNSH_ISM_E10value_typeET4_T5_PSR_SS_PNS1_23onesweep_lookback_stateEbbT6_jjT7_P12ihipStream_tbENKUlT_T0_SG_SL_E_clIS9_SA_SB_SB_EEDaSZ_S10_SG_SL_EUlSZ_E_NS1_11comp_targetILNS1_3genE2ELNS1_11target_archE906ELNS1_3gpuE6ELNS1_3repE0EEENS1_47radix_sort_onesweep_sort_config_static_selectorELNS0_4arch9wavefront6targetE0EEEvSG_.kd
    .uniform_work_group_size: 1
    .uses_dynamic_stack: false
    .vgpr_count:     0
    .vgpr_spill_count: 0
    .wavefront_size: 32
  - .args:
      - .offset:         0
        .size:           88
        .value_kind:     by_value
    .group_segment_fixed_size: 0
    .kernarg_segment_align: 8
    .kernarg_segment_size: 88
    .language:       OpenCL C
    .language_version:
      - 2
      - 0
    .max_flat_workgroup_size: 1024
    .name:           _ZN7rocprim17ROCPRIM_400000_NS6detail17trampoline_kernelINS0_14default_configENS1_35radix_sort_onesweep_config_selectorIfNS0_10empty_typeEEEZZNS1_29radix_sort_onesweep_iterationIS3_Lb0EPKfPfPS5_SB_mNS0_19identity_decomposerENS1_16block_id_wrapperIjLb0EEEEE10hipError_tT1_PNSt15iterator_traitsISG_E10value_typeET2_T3_PNSH_ISM_E10value_typeET4_T5_PSR_SS_PNS1_23onesweep_lookback_stateEbbT6_jjT7_P12ihipStream_tbENKUlT_T0_SG_SL_E_clIS9_SA_SB_SB_EEDaSZ_S10_SG_SL_EUlSZ_E_NS1_11comp_targetILNS1_3genE4ELNS1_11target_archE910ELNS1_3gpuE8ELNS1_3repE0EEENS1_47radix_sort_onesweep_sort_config_static_selectorELNS0_4arch9wavefront6targetE0EEEvSG_
    .private_segment_fixed_size: 0
    .sgpr_count:     0
    .sgpr_spill_count: 0
    .symbol:         _ZN7rocprim17ROCPRIM_400000_NS6detail17trampoline_kernelINS0_14default_configENS1_35radix_sort_onesweep_config_selectorIfNS0_10empty_typeEEEZZNS1_29radix_sort_onesweep_iterationIS3_Lb0EPKfPfPS5_SB_mNS0_19identity_decomposerENS1_16block_id_wrapperIjLb0EEEEE10hipError_tT1_PNSt15iterator_traitsISG_E10value_typeET2_T3_PNSH_ISM_E10value_typeET4_T5_PSR_SS_PNS1_23onesweep_lookback_stateEbbT6_jjT7_P12ihipStream_tbENKUlT_T0_SG_SL_E_clIS9_SA_SB_SB_EEDaSZ_S10_SG_SL_EUlSZ_E_NS1_11comp_targetILNS1_3genE4ELNS1_11target_archE910ELNS1_3gpuE8ELNS1_3repE0EEENS1_47radix_sort_onesweep_sort_config_static_selectorELNS0_4arch9wavefront6targetE0EEEvSG_.kd
    .uniform_work_group_size: 1
    .uses_dynamic_stack: false
    .vgpr_count:     0
    .vgpr_spill_count: 0
    .wavefront_size: 32
  - .args:
      - .offset:         0
        .size:           88
        .value_kind:     by_value
    .group_segment_fixed_size: 0
    .kernarg_segment_align: 8
    .kernarg_segment_size: 88
    .language:       OpenCL C
    .language_version:
      - 2
      - 0
    .max_flat_workgroup_size: 512
    .name:           _ZN7rocprim17ROCPRIM_400000_NS6detail17trampoline_kernelINS0_14default_configENS1_35radix_sort_onesweep_config_selectorIfNS0_10empty_typeEEEZZNS1_29radix_sort_onesweep_iterationIS3_Lb0EPKfPfPS5_SB_mNS0_19identity_decomposerENS1_16block_id_wrapperIjLb0EEEEE10hipError_tT1_PNSt15iterator_traitsISG_E10value_typeET2_T3_PNSH_ISM_E10value_typeET4_T5_PSR_SS_PNS1_23onesweep_lookback_stateEbbT6_jjT7_P12ihipStream_tbENKUlT_T0_SG_SL_E_clIS9_SA_SB_SB_EEDaSZ_S10_SG_SL_EUlSZ_E_NS1_11comp_targetILNS1_3genE3ELNS1_11target_archE908ELNS1_3gpuE7ELNS1_3repE0EEENS1_47radix_sort_onesweep_sort_config_static_selectorELNS0_4arch9wavefront6targetE0EEEvSG_
    .private_segment_fixed_size: 0
    .sgpr_count:     0
    .sgpr_spill_count: 0
    .symbol:         _ZN7rocprim17ROCPRIM_400000_NS6detail17trampoline_kernelINS0_14default_configENS1_35radix_sort_onesweep_config_selectorIfNS0_10empty_typeEEEZZNS1_29radix_sort_onesweep_iterationIS3_Lb0EPKfPfPS5_SB_mNS0_19identity_decomposerENS1_16block_id_wrapperIjLb0EEEEE10hipError_tT1_PNSt15iterator_traitsISG_E10value_typeET2_T3_PNSH_ISM_E10value_typeET4_T5_PSR_SS_PNS1_23onesweep_lookback_stateEbbT6_jjT7_P12ihipStream_tbENKUlT_T0_SG_SL_E_clIS9_SA_SB_SB_EEDaSZ_S10_SG_SL_EUlSZ_E_NS1_11comp_targetILNS1_3genE3ELNS1_11target_archE908ELNS1_3gpuE7ELNS1_3repE0EEENS1_47radix_sort_onesweep_sort_config_static_selectorELNS0_4arch9wavefront6targetE0EEEvSG_.kd
    .uniform_work_group_size: 1
    .uses_dynamic_stack: false
    .vgpr_count:     0
    .vgpr_spill_count: 0
    .wavefront_size: 32
  - .args:
      - .offset:         0
        .size:           88
        .value_kind:     by_value
    .group_segment_fixed_size: 0
    .kernarg_segment_align: 8
    .kernarg_segment_size: 88
    .language:       OpenCL C
    .language_version:
      - 2
      - 0
    .max_flat_workgroup_size: 512
    .name:           _ZN7rocprim17ROCPRIM_400000_NS6detail17trampoline_kernelINS0_14default_configENS1_35radix_sort_onesweep_config_selectorIfNS0_10empty_typeEEEZZNS1_29radix_sort_onesweep_iterationIS3_Lb0EPKfPfPS5_SB_mNS0_19identity_decomposerENS1_16block_id_wrapperIjLb0EEEEE10hipError_tT1_PNSt15iterator_traitsISG_E10value_typeET2_T3_PNSH_ISM_E10value_typeET4_T5_PSR_SS_PNS1_23onesweep_lookback_stateEbbT6_jjT7_P12ihipStream_tbENKUlT_T0_SG_SL_E_clIS9_SA_SB_SB_EEDaSZ_S10_SG_SL_EUlSZ_E_NS1_11comp_targetILNS1_3genE10ELNS1_11target_archE1201ELNS1_3gpuE5ELNS1_3repE0EEENS1_47radix_sort_onesweep_sort_config_static_selectorELNS0_4arch9wavefront6targetE0EEEvSG_
    .private_segment_fixed_size: 0
    .sgpr_count:     0
    .sgpr_spill_count: 0
    .symbol:         _ZN7rocprim17ROCPRIM_400000_NS6detail17trampoline_kernelINS0_14default_configENS1_35radix_sort_onesweep_config_selectorIfNS0_10empty_typeEEEZZNS1_29radix_sort_onesweep_iterationIS3_Lb0EPKfPfPS5_SB_mNS0_19identity_decomposerENS1_16block_id_wrapperIjLb0EEEEE10hipError_tT1_PNSt15iterator_traitsISG_E10value_typeET2_T3_PNSH_ISM_E10value_typeET4_T5_PSR_SS_PNS1_23onesweep_lookback_stateEbbT6_jjT7_P12ihipStream_tbENKUlT_T0_SG_SL_E_clIS9_SA_SB_SB_EEDaSZ_S10_SG_SL_EUlSZ_E_NS1_11comp_targetILNS1_3genE10ELNS1_11target_archE1201ELNS1_3gpuE5ELNS1_3repE0EEENS1_47radix_sort_onesweep_sort_config_static_selectorELNS0_4arch9wavefront6targetE0EEEvSG_.kd
    .uniform_work_group_size: 1
    .uses_dynamic_stack: false
    .vgpr_count:     0
    .vgpr_spill_count: 0
    .wavefront_size: 32
  - .args:
      - .offset:         0
        .size:           88
        .value_kind:     by_value
    .group_segment_fixed_size: 0
    .kernarg_segment_align: 8
    .kernarg_segment_size: 88
    .language:       OpenCL C
    .language_version:
      - 2
      - 0
    .max_flat_workgroup_size: 1024
    .name:           _ZN7rocprim17ROCPRIM_400000_NS6detail17trampoline_kernelINS0_14default_configENS1_35radix_sort_onesweep_config_selectorIfNS0_10empty_typeEEEZZNS1_29radix_sort_onesweep_iterationIS3_Lb0EPKfPfPS5_SB_mNS0_19identity_decomposerENS1_16block_id_wrapperIjLb0EEEEE10hipError_tT1_PNSt15iterator_traitsISG_E10value_typeET2_T3_PNSH_ISM_E10value_typeET4_T5_PSR_SS_PNS1_23onesweep_lookback_stateEbbT6_jjT7_P12ihipStream_tbENKUlT_T0_SG_SL_E_clIS9_SA_SB_SB_EEDaSZ_S10_SG_SL_EUlSZ_E_NS1_11comp_targetILNS1_3genE9ELNS1_11target_archE1100ELNS1_3gpuE3ELNS1_3repE0EEENS1_47radix_sort_onesweep_sort_config_static_selectorELNS0_4arch9wavefront6targetE0EEEvSG_
    .private_segment_fixed_size: 0
    .sgpr_count:     0
    .sgpr_spill_count: 0
    .symbol:         _ZN7rocprim17ROCPRIM_400000_NS6detail17trampoline_kernelINS0_14default_configENS1_35radix_sort_onesweep_config_selectorIfNS0_10empty_typeEEEZZNS1_29radix_sort_onesweep_iterationIS3_Lb0EPKfPfPS5_SB_mNS0_19identity_decomposerENS1_16block_id_wrapperIjLb0EEEEE10hipError_tT1_PNSt15iterator_traitsISG_E10value_typeET2_T3_PNSH_ISM_E10value_typeET4_T5_PSR_SS_PNS1_23onesweep_lookback_stateEbbT6_jjT7_P12ihipStream_tbENKUlT_T0_SG_SL_E_clIS9_SA_SB_SB_EEDaSZ_S10_SG_SL_EUlSZ_E_NS1_11comp_targetILNS1_3genE9ELNS1_11target_archE1100ELNS1_3gpuE3ELNS1_3repE0EEENS1_47radix_sort_onesweep_sort_config_static_selectorELNS0_4arch9wavefront6targetE0EEEvSG_.kd
    .uniform_work_group_size: 1
    .uses_dynamic_stack: false
    .vgpr_count:     0
    .vgpr_spill_count: 0
    .wavefront_size: 32
  - .args:
      - .offset:         0
        .size:           88
        .value_kind:     by_value
    .group_segment_fixed_size: 0
    .kernarg_segment_align: 8
    .kernarg_segment_size: 88
    .language:       OpenCL C
    .language_version:
      - 2
      - 0
    .max_flat_workgroup_size: 1024
    .name:           _ZN7rocprim17ROCPRIM_400000_NS6detail17trampoline_kernelINS0_14default_configENS1_35radix_sort_onesweep_config_selectorIfNS0_10empty_typeEEEZZNS1_29radix_sort_onesweep_iterationIS3_Lb0EPKfPfPS5_SB_mNS0_19identity_decomposerENS1_16block_id_wrapperIjLb0EEEEE10hipError_tT1_PNSt15iterator_traitsISG_E10value_typeET2_T3_PNSH_ISM_E10value_typeET4_T5_PSR_SS_PNS1_23onesweep_lookback_stateEbbT6_jjT7_P12ihipStream_tbENKUlT_T0_SG_SL_E_clIS9_SA_SB_SB_EEDaSZ_S10_SG_SL_EUlSZ_E_NS1_11comp_targetILNS1_3genE8ELNS1_11target_archE1030ELNS1_3gpuE2ELNS1_3repE0EEENS1_47radix_sort_onesweep_sort_config_static_selectorELNS0_4arch9wavefront6targetE0EEEvSG_
    .private_segment_fixed_size: 0
    .sgpr_count:     0
    .sgpr_spill_count: 0
    .symbol:         _ZN7rocprim17ROCPRIM_400000_NS6detail17trampoline_kernelINS0_14default_configENS1_35radix_sort_onesweep_config_selectorIfNS0_10empty_typeEEEZZNS1_29radix_sort_onesweep_iterationIS3_Lb0EPKfPfPS5_SB_mNS0_19identity_decomposerENS1_16block_id_wrapperIjLb0EEEEE10hipError_tT1_PNSt15iterator_traitsISG_E10value_typeET2_T3_PNSH_ISM_E10value_typeET4_T5_PSR_SS_PNS1_23onesweep_lookback_stateEbbT6_jjT7_P12ihipStream_tbENKUlT_T0_SG_SL_E_clIS9_SA_SB_SB_EEDaSZ_S10_SG_SL_EUlSZ_E_NS1_11comp_targetILNS1_3genE8ELNS1_11target_archE1030ELNS1_3gpuE2ELNS1_3repE0EEENS1_47radix_sort_onesweep_sort_config_static_selectorELNS0_4arch9wavefront6targetE0EEEvSG_.kd
    .uniform_work_group_size: 1
    .uses_dynamic_stack: false
    .vgpr_count:     0
    .vgpr_spill_count: 0
    .wavefront_size: 32
  - .args:
      - .offset:         0
        .size:           88
        .value_kind:     by_value
      - .offset:         88
        .size:           4
        .value_kind:     hidden_block_count_x
      - .offset:         92
        .size:           4
        .value_kind:     hidden_block_count_y
      - .offset:         96
        .size:           4
        .value_kind:     hidden_block_count_z
      - .offset:         100
        .size:           2
        .value_kind:     hidden_group_size_x
      - .offset:         102
        .size:           2
        .value_kind:     hidden_group_size_y
      - .offset:         104
        .size:           2
        .value_kind:     hidden_group_size_z
      - .offset:         106
        .size:           2
        .value_kind:     hidden_remainder_x
      - .offset:         108
        .size:           2
        .value_kind:     hidden_remainder_y
      - .offset:         110
        .size:           2
        .value_kind:     hidden_remainder_z
      - .offset:         128
        .size:           8
        .value_kind:     hidden_global_offset_x
      - .offset:         136
        .size:           8
        .value_kind:     hidden_global_offset_y
      - .offset:         144
        .size:           8
        .value_kind:     hidden_global_offset_z
      - .offset:         152
        .size:           2
        .value_kind:     hidden_grid_dims
    .group_segment_fixed_size: 18504
    .kernarg_segment_align: 8
    .kernarg_segment_size: 344
    .language:       OpenCL C
    .language_version:
      - 2
      - 0
    .max_flat_workgroup_size: 512
    .name:           _ZN7rocprim17ROCPRIM_400000_NS6detail17trampoline_kernelINS0_14default_configENS1_35radix_sort_onesweep_config_selectorIfNS0_10empty_typeEEEZZNS1_29radix_sort_onesweep_iterationIS3_Lb0EPKfPfPS5_SB_mNS0_19identity_decomposerENS1_16block_id_wrapperIjLb0EEEEE10hipError_tT1_PNSt15iterator_traitsISG_E10value_typeET2_T3_PNSH_ISM_E10value_typeET4_T5_PSR_SS_PNS1_23onesweep_lookback_stateEbbT6_jjT7_P12ihipStream_tbENKUlT_T0_SG_SL_E_clISA_SA_SB_SB_EEDaSZ_S10_SG_SL_EUlSZ_E_NS1_11comp_targetILNS1_3genE0ELNS1_11target_archE4294967295ELNS1_3gpuE0ELNS1_3repE0EEENS1_47radix_sort_onesweep_sort_config_static_selectorELNS0_4arch9wavefront6targetE0EEEvSG_
    .private_segment_fixed_size: 0
    .sgpr_count:     30
    .sgpr_spill_count: 0
    .symbol:         _ZN7rocprim17ROCPRIM_400000_NS6detail17trampoline_kernelINS0_14default_configENS1_35radix_sort_onesweep_config_selectorIfNS0_10empty_typeEEEZZNS1_29radix_sort_onesweep_iterationIS3_Lb0EPKfPfPS5_SB_mNS0_19identity_decomposerENS1_16block_id_wrapperIjLb0EEEEE10hipError_tT1_PNSt15iterator_traitsISG_E10value_typeET2_T3_PNSH_ISM_E10value_typeET4_T5_PSR_SS_PNS1_23onesweep_lookback_stateEbbT6_jjT7_P12ihipStream_tbENKUlT_T0_SG_SL_E_clISA_SA_SB_SB_EEDaSZ_S10_SG_SL_EUlSZ_E_NS1_11comp_targetILNS1_3genE0ELNS1_11target_archE4294967295ELNS1_3gpuE0ELNS1_3repE0EEENS1_47radix_sort_onesweep_sort_config_static_selectorELNS0_4arch9wavefront6targetE0EEEvSG_.kd
    .uniform_work_group_size: 1
    .uses_dynamic_stack: false
    .vgpr_count:     65
    .vgpr_spill_count: 0
    .wavefront_size: 32
  - .args:
      - .offset:         0
        .size:           88
        .value_kind:     by_value
    .group_segment_fixed_size: 0
    .kernarg_segment_align: 8
    .kernarg_segment_size: 88
    .language:       OpenCL C
    .language_version:
      - 2
      - 0
    .max_flat_workgroup_size: 1024
    .name:           _ZN7rocprim17ROCPRIM_400000_NS6detail17trampoline_kernelINS0_14default_configENS1_35radix_sort_onesweep_config_selectorIfNS0_10empty_typeEEEZZNS1_29radix_sort_onesweep_iterationIS3_Lb0EPKfPfPS5_SB_mNS0_19identity_decomposerENS1_16block_id_wrapperIjLb0EEEEE10hipError_tT1_PNSt15iterator_traitsISG_E10value_typeET2_T3_PNSH_ISM_E10value_typeET4_T5_PSR_SS_PNS1_23onesweep_lookback_stateEbbT6_jjT7_P12ihipStream_tbENKUlT_T0_SG_SL_E_clISA_SA_SB_SB_EEDaSZ_S10_SG_SL_EUlSZ_E_NS1_11comp_targetILNS1_3genE6ELNS1_11target_archE950ELNS1_3gpuE13ELNS1_3repE0EEENS1_47radix_sort_onesweep_sort_config_static_selectorELNS0_4arch9wavefront6targetE0EEEvSG_
    .private_segment_fixed_size: 0
    .sgpr_count:     0
    .sgpr_spill_count: 0
    .symbol:         _ZN7rocprim17ROCPRIM_400000_NS6detail17trampoline_kernelINS0_14default_configENS1_35radix_sort_onesweep_config_selectorIfNS0_10empty_typeEEEZZNS1_29radix_sort_onesweep_iterationIS3_Lb0EPKfPfPS5_SB_mNS0_19identity_decomposerENS1_16block_id_wrapperIjLb0EEEEE10hipError_tT1_PNSt15iterator_traitsISG_E10value_typeET2_T3_PNSH_ISM_E10value_typeET4_T5_PSR_SS_PNS1_23onesweep_lookback_stateEbbT6_jjT7_P12ihipStream_tbENKUlT_T0_SG_SL_E_clISA_SA_SB_SB_EEDaSZ_S10_SG_SL_EUlSZ_E_NS1_11comp_targetILNS1_3genE6ELNS1_11target_archE950ELNS1_3gpuE13ELNS1_3repE0EEENS1_47radix_sort_onesweep_sort_config_static_selectorELNS0_4arch9wavefront6targetE0EEEvSG_.kd
    .uniform_work_group_size: 1
    .uses_dynamic_stack: false
    .vgpr_count:     0
    .vgpr_spill_count: 0
    .wavefront_size: 32
  - .args:
      - .offset:         0
        .size:           88
        .value_kind:     by_value
    .group_segment_fixed_size: 0
    .kernarg_segment_align: 8
    .kernarg_segment_size: 88
    .language:       OpenCL C
    .language_version:
      - 2
      - 0
    .max_flat_workgroup_size: 1024
    .name:           _ZN7rocprim17ROCPRIM_400000_NS6detail17trampoline_kernelINS0_14default_configENS1_35radix_sort_onesweep_config_selectorIfNS0_10empty_typeEEEZZNS1_29radix_sort_onesweep_iterationIS3_Lb0EPKfPfPS5_SB_mNS0_19identity_decomposerENS1_16block_id_wrapperIjLb0EEEEE10hipError_tT1_PNSt15iterator_traitsISG_E10value_typeET2_T3_PNSH_ISM_E10value_typeET4_T5_PSR_SS_PNS1_23onesweep_lookback_stateEbbT6_jjT7_P12ihipStream_tbENKUlT_T0_SG_SL_E_clISA_SA_SB_SB_EEDaSZ_S10_SG_SL_EUlSZ_E_NS1_11comp_targetILNS1_3genE5ELNS1_11target_archE942ELNS1_3gpuE9ELNS1_3repE0EEENS1_47radix_sort_onesweep_sort_config_static_selectorELNS0_4arch9wavefront6targetE0EEEvSG_
    .private_segment_fixed_size: 0
    .sgpr_count:     0
    .sgpr_spill_count: 0
    .symbol:         _ZN7rocprim17ROCPRIM_400000_NS6detail17trampoline_kernelINS0_14default_configENS1_35radix_sort_onesweep_config_selectorIfNS0_10empty_typeEEEZZNS1_29radix_sort_onesweep_iterationIS3_Lb0EPKfPfPS5_SB_mNS0_19identity_decomposerENS1_16block_id_wrapperIjLb0EEEEE10hipError_tT1_PNSt15iterator_traitsISG_E10value_typeET2_T3_PNSH_ISM_E10value_typeET4_T5_PSR_SS_PNS1_23onesweep_lookback_stateEbbT6_jjT7_P12ihipStream_tbENKUlT_T0_SG_SL_E_clISA_SA_SB_SB_EEDaSZ_S10_SG_SL_EUlSZ_E_NS1_11comp_targetILNS1_3genE5ELNS1_11target_archE942ELNS1_3gpuE9ELNS1_3repE0EEENS1_47radix_sort_onesweep_sort_config_static_selectorELNS0_4arch9wavefront6targetE0EEEvSG_.kd
    .uniform_work_group_size: 1
    .uses_dynamic_stack: false
    .vgpr_count:     0
    .vgpr_spill_count: 0
    .wavefront_size: 32
  - .args:
      - .offset:         0
        .size:           88
        .value_kind:     by_value
    .group_segment_fixed_size: 0
    .kernarg_segment_align: 8
    .kernarg_segment_size: 88
    .language:       OpenCL C
    .language_version:
      - 2
      - 0
    .max_flat_workgroup_size: 512
    .name:           _ZN7rocprim17ROCPRIM_400000_NS6detail17trampoline_kernelINS0_14default_configENS1_35radix_sort_onesweep_config_selectorIfNS0_10empty_typeEEEZZNS1_29radix_sort_onesweep_iterationIS3_Lb0EPKfPfPS5_SB_mNS0_19identity_decomposerENS1_16block_id_wrapperIjLb0EEEEE10hipError_tT1_PNSt15iterator_traitsISG_E10value_typeET2_T3_PNSH_ISM_E10value_typeET4_T5_PSR_SS_PNS1_23onesweep_lookback_stateEbbT6_jjT7_P12ihipStream_tbENKUlT_T0_SG_SL_E_clISA_SA_SB_SB_EEDaSZ_S10_SG_SL_EUlSZ_E_NS1_11comp_targetILNS1_3genE2ELNS1_11target_archE906ELNS1_3gpuE6ELNS1_3repE0EEENS1_47radix_sort_onesweep_sort_config_static_selectorELNS0_4arch9wavefront6targetE0EEEvSG_
    .private_segment_fixed_size: 0
    .sgpr_count:     0
    .sgpr_spill_count: 0
    .symbol:         _ZN7rocprim17ROCPRIM_400000_NS6detail17trampoline_kernelINS0_14default_configENS1_35radix_sort_onesweep_config_selectorIfNS0_10empty_typeEEEZZNS1_29radix_sort_onesweep_iterationIS3_Lb0EPKfPfPS5_SB_mNS0_19identity_decomposerENS1_16block_id_wrapperIjLb0EEEEE10hipError_tT1_PNSt15iterator_traitsISG_E10value_typeET2_T3_PNSH_ISM_E10value_typeET4_T5_PSR_SS_PNS1_23onesweep_lookback_stateEbbT6_jjT7_P12ihipStream_tbENKUlT_T0_SG_SL_E_clISA_SA_SB_SB_EEDaSZ_S10_SG_SL_EUlSZ_E_NS1_11comp_targetILNS1_3genE2ELNS1_11target_archE906ELNS1_3gpuE6ELNS1_3repE0EEENS1_47radix_sort_onesweep_sort_config_static_selectorELNS0_4arch9wavefront6targetE0EEEvSG_.kd
    .uniform_work_group_size: 1
    .uses_dynamic_stack: false
    .vgpr_count:     0
    .vgpr_spill_count: 0
    .wavefront_size: 32
  - .args:
      - .offset:         0
        .size:           88
        .value_kind:     by_value
    .group_segment_fixed_size: 0
    .kernarg_segment_align: 8
    .kernarg_segment_size: 88
    .language:       OpenCL C
    .language_version:
      - 2
      - 0
    .max_flat_workgroup_size: 1024
    .name:           _ZN7rocprim17ROCPRIM_400000_NS6detail17trampoline_kernelINS0_14default_configENS1_35radix_sort_onesweep_config_selectorIfNS0_10empty_typeEEEZZNS1_29radix_sort_onesweep_iterationIS3_Lb0EPKfPfPS5_SB_mNS0_19identity_decomposerENS1_16block_id_wrapperIjLb0EEEEE10hipError_tT1_PNSt15iterator_traitsISG_E10value_typeET2_T3_PNSH_ISM_E10value_typeET4_T5_PSR_SS_PNS1_23onesweep_lookback_stateEbbT6_jjT7_P12ihipStream_tbENKUlT_T0_SG_SL_E_clISA_SA_SB_SB_EEDaSZ_S10_SG_SL_EUlSZ_E_NS1_11comp_targetILNS1_3genE4ELNS1_11target_archE910ELNS1_3gpuE8ELNS1_3repE0EEENS1_47radix_sort_onesweep_sort_config_static_selectorELNS0_4arch9wavefront6targetE0EEEvSG_
    .private_segment_fixed_size: 0
    .sgpr_count:     0
    .sgpr_spill_count: 0
    .symbol:         _ZN7rocprim17ROCPRIM_400000_NS6detail17trampoline_kernelINS0_14default_configENS1_35radix_sort_onesweep_config_selectorIfNS0_10empty_typeEEEZZNS1_29radix_sort_onesweep_iterationIS3_Lb0EPKfPfPS5_SB_mNS0_19identity_decomposerENS1_16block_id_wrapperIjLb0EEEEE10hipError_tT1_PNSt15iterator_traitsISG_E10value_typeET2_T3_PNSH_ISM_E10value_typeET4_T5_PSR_SS_PNS1_23onesweep_lookback_stateEbbT6_jjT7_P12ihipStream_tbENKUlT_T0_SG_SL_E_clISA_SA_SB_SB_EEDaSZ_S10_SG_SL_EUlSZ_E_NS1_11comp_targetILNS1_3genE4ELNS1_11target_archE910ELNS1_3gpuE8ELNS1_3repE0EEENS1_47radix_sort_onesweep_sort_config_static_selectorELNS0_4arch9wavefront6targetE0EEEvSG_.kd
    .uniform_work_group_size: 1
    .uses_dynamic_stack: false
    .vgpr_count:     0
    .vgpr_spill_count: 0
    .wavefront_size: 32
  - .args:
      - .offset:         0
        .size:           88
        .value_kind:     by_value
    .group_segment_fixed_size: 0
    .kernarg_segment_align: 8
    .kernarg_segment_size: 88
    .language:       OpenCL C
    .language_version:
      - 2
      - 0
    .max_flat_workgroup_size: 512
    .name:           _ZN7rocprim17ROCPRIM_400000_NS6detail17trampoline_kernelINS0_14default_configENS1_35radix_sort_onesweep_config_selectorIfNS0_10empty_typeEEEZZNS1_29radix_sort_onesweep_iterationIS3_Lb0EPKfPfPS5_SB_mNS0_19identity_decomposerENS1_16block_id_wrapperIjLb0EEEEE10hipError_tT1_PNSt15iterator_traitsISG_E10value_typeET2_T3_PNSH_ISM_E10value_typeET4_T5_PSR_SS_PNS1_23onesweep_lookback_stateEbbT6_jjT7_P12ihipStream_tbENKUlT_T0_SG_SL_E_clISA_SA_SB_SB_EEDaSZ_S10_SG_SL_EUlSZ_E_NS1_11comp_targetILNS1_3genE3ELNS1_11target_archE908ELNS1_3gpuE7ELNS1_3repE0EEENS1_47radix_sort_onesweep_sort_config_static_selectorELNS0_4arch9wavefront6targetE0EEEvSG_
    .private_segment_fixed_size: 0
    .sgpr_count:     0
    .sgpr_spill_count: 0
    .symbol:         _ZN7rocprim17ROCPRIM_400000_NS6detail17trampoline_kernelINS0_14default_configENS1_35radix_sort_onesweep_config_selectorIfNS0_10empty_typeEEEZZNS1_29radix_sort_onesweep_iterationIS3_Lb0EPKfPfPS5_SB_mNS0_19identity_decomposerENS1_16block_id_wrapperIjLb0EEEEE10hipError_tT1_PNSt15iterator_traitsISG_E10value_typeET2_T3_PNSH_ISM_E10value_typeET4_T5_PSR_SS_PNS1_23onesweep_lookback_stateEbbT6_jjT7_P12ihipStream_tbENKUlT_T0_SG_SL_E_clISA_SA_SB_SB_EEDaSZ_S10_SG_SL_EUlSZ_E_NS1_11comp_targetILNS1_3genE3ELNS1_11target_archE908ELNS1_3gpuE7ELNS1_3repE0EEENS1_47radix_sort_onesweep_sort_config_static_selectorELNS0_4arch9wavefront6targetE0EEEvSG_.kd
    .uniform_work_group_size: 1
    .uses_dynamic_stack: false
    .vgpr_count:     0
    .vgpr_spill_count: 0
    .wavefront_size: 32
  - .args:
      - .offset:         0
        .size:           88
        .value_kind:     by_value
    .group_segment_fixed_size: 0
    .kernarg_segment_align: 8
    .kernarg_segment_size: 88
    .language:       OpenCL C
    .language_version:
      - 2
      - 0
    .max_flat_workgroup_size: 512
    .name:           _ZN7rocprim17ROCPRIM_400000_NS6detail17trampoline_kernelINS0_14default_configENS1_35radix_sort_onesweep_config_selectorIfNS0_10empty_typeEEEZZNS1_29radix_sort_onesweep_iterationIS3_Lb0EPKfPfPS5_SB_mNS0_19identity_decomposerENS1_16block_id_wrapperIjLb0EEEEE10hipError_tT1_PNSt15iterator_traitsISG_E10value_typeET2_T3_PNSH_ISM_E10value_typeET4_T5_PSR_SS_PNS1_23onesweep_lookback_stateEbbT6_jjT7_P12ihipStream_tbENKUlT_T0_SG_SL_E_clISA_SA_SB_SB_EEDaSZ_S10_SG_SL_EUlSZ_E_NS1_11comp_targetILNS1_3genE10ELNS1_11target_archE1201ELNS1_3gpuE5ELNS1_3repE0EEENS1_47radix_sort_onesweep_sort_config_static_selectorELNS0_4arch9wavefront6targetE0EEEvSG_
    .private_segment_fixed_size: 0
    .sgpr_count:     0
    .sgpr_spill_count: 0
    .symbol:         _ZN7rocprim17ROCPRIM_400000_NS6detail17trampoline_kernelINS0_14default_configENS1_35radix_sort_onesweep_config_selectorIfNS0_10empty_typeEEEZZNS1_29radix_sort_onesweep_iterationIS3_Lb0EPKfPfPS5_SB_mNS0_19identity_decomposerENS1_16block_id_wrapperIjLb0EEEEE10hipError_tT1_PNSt15iterator_traitsISG_E10value_typeET2_T3_PNSH_ISM_E10value_typeET4_T5_PSR_SS_PNS1_23onesweep_lookback_stateEbbT6_jjT7_P12ihipStream_tbENKUlT_T0_SG_SL_E_clISA_SA_SB_SB_EEDaSZ_S10_SG_SL_EUlSZ_E_NS1_11comp_targetILNS1_3genE10ELNS1_11target_archE1201ELNS1_3gpuE5ELNS1_3repE0EEENS1_47radix_sort_onesweep_sort_config_static_selectorELNS0_4arch9wavefront6targetE0EEEvSG_.kd
    .uniform_work_group_size: 1
    .uses_dynamic_stack: false
    .vgpr_count:     0
    .vgpr_spill_count: 0
    .wavefront_size: 32
  - .args:
      - .offset:         0
        .size:           88
        .value_kind:     by_value
    .group_segment_fixed_size: 0
    .kernarg_segment_align: 8
    .kernarg_segment_size: 88
    .language:       OpenCL C
    .language_version:
      - 2
      - 0
    .max_flat_workgroup_size: 1024
    .name:           _ZN7rocprim17ROCPRIM_400000_NS6detail17trampoline_kernelINS0_14default_configENS1_35radix_sort_onesweep_config_selectorIfNS0_10empty_typeEEEZZNS1_29radix_sort_onesweep_iterationIS3_Lb0EPKfPfPS5_SB_mNS0_19identity_decomposerENS1_16block_id_wrapperIjLb0EEEEE10hipError_tT1_PNSt15iterator_traitsISG_E10value_typeET2_T3_PNSH_ISM_E10value_typeET4_T5_PSR_SS_PNS1_23onesweep_lookback_stateEbbT6_jjT7_P12ihipStream_tbENKUlT_T0_SG_SL_E_clISA_SA_SB_SB_EEDaSZ_S10_SG_SL_EUlSZ_E_NS1_11comp_targetILNS1_3genE9ELNS1_11target_archE1100ELNS1_3gpuE3ELNS1_3repE0EEENS1_47radix_sort_onesweep_sort_config_static_selectorELNS0_4arch9wavefront6targetE0EEEvSG_
    .private_segment_fixed_size: 0
    .sgpr_count:     0
    .sgpr_spill_count: 0
    .symbol:         _ZN7rocprim17ROCPRIM_400000_NS6detail17trampoline_kernelINS0_14default_configENS1_35radix_sort_onesweep_config_selectorIfNS0_10empty_typeEEEZZNS1_29radix_sort_onesweep_iterationIS3_Lb0EPKfPfPS5_SB_mNS0_19identity_decomposerENS1_16block_id_wrapperIjLb0EEEEE10hipError_tT1_PNSt15iterator_traitsISG_E10value_typeET2_T3_PNSH_ISM_E10value_typeET4_T5_PSR_SS_PNS1_23onesweep_lookback_stateEbbT6_jjT7_P12ihipStream_tbENKUlT_T0_SG_SL_E_clISA_SA_SB_SB_EEDaSZ_S10_SG_SL_EUlSZ_E_NS1_11comp_targetILNS1_3genE9ELNS1_11target_archE1100ELNS1_3gpuE3ELNS1_3repE0EEENS1_47radix_sort_onesweep_sort_config_static_selectorELNS0_4arch9wavefront6targetE0EEEvSG_.kd
    .uniform_work_group_size: 1
    .uses_dynamic_stack: false
    .vgpr_count:     0
    .vgpr_spill_count: 0
    .wavefront_size: 32
  - .args:
      - .offset:         0
        .size:           88
        .value_kind:     by_value
    .group_segment_fixed_size: 0
    .kernarg_segment_align: 8
    .kernarg_segment_size: 88
    .language:       OpenCL C
    .language_version:
      - 2
      - 0
    .max_flat_workgroup_size: 1024
    .name:           _ZN7rocprim17ROCPRIM_400000_NS6detail17trampoline_kernelINS0_14default_configENS1_35radix_sort_onesweep_config_selectorIfNS0_10empty_typeEEEZZNS1_29radix_sort_onesweep_iterationIS3_Lb0EPKfPfPS5_SB_mNS0_19identity_decomposerENS1_16block_id_wrapperIjLb0EEEEE10hipError_tT1_PNSt15iterator_traitsISG_E10value_typeET2_T3_PNSH_ISM_E10value_typeET4_T5_PSR_SS_PNS1_23onesweep_lookback_stateEbbT6_jjT7_P12ihipStream_tbENKUlT_T0_SG_SL_E_clISA_SA_SB_SB_EEDaSZ_S10_SG_SL_EUlSZ_E_NS1_11comp_targetILNS1_3genE8ELNS1_11target_archE1030ELNS1_3gpuE2ELNS1_3repE0EEENS1_47radix_sort_onesweep_sort_config_static_selectorELNS0_4arch9wavefront6targetE0EEEvSG_
    .private_segment_fixed_size: 0
    .sgpr_count:     0
    .sgpr_spill_count: 0
    .symbol:         _ZN7rocprim17ROCPRIM_400000_NS6detail17trampoline_kernelINS0_14default_configENS1_35radix_sort_onesweep_config_selectorIfNS0_10empty_typeEEEZZNS1_29radix_sort_onesweep_iterationIS3_Lb0EPKfPfPS5_SB_mNS0_19identity_decomposerENS1_16block_id_wrapperIjLb0EEEEE10hipError_tT1_PNSt15iterator_traitsISG_E10value_typeET2_T3_PNSH_ISM_E10value_typeET4_T5_PSR_SS_PNS1_23onesweep_lookback_stateEbbT6_jjT7_P12ihipStream_tbENKUlT_T0_SG_SL_E_clISA_SA_SB_SB_EEDaSZ_S10_SG_SL_EUlSZ_E_NS1_11comp_targetILNS1_3genE8ELNS1_11target_archE1030ELNS1_3gpuE2ELNS1_3repE0EEENS1_47radix_sort_onesweep_sort_config_static_selectorELNS0_4arch9wavefront6targetE0EEEvSG_.kd
    .uniform_work_group_size: 1
    .uses_dynamic_stack: false
    .vgpr_count:     0
    .vgpr_spill_count: 0
    .wavefront_size: 32
  - .args:
      - .offset:         0
        .size:           48
        .value_kind:     by_value
      - .offset:         48
        .size:           4
        .value_kind:     hidden_block_count_x
      - .offset:         52
        .size:           4
        .value_kind:     hidden_block_count_y
      - .offset:         56
        .size:           4
        .value_kind:     hidden_block_count_z
      - .offset:         60
        .size:           2
        .value_kind:     hidden_group_size_x
      - .offset:         62
        .size:           2
        .value_kind:     hidden_group_size_y
      - .offset:         64
        .size:           2
        .value_kind:     hidden_group_size_z
      - .offset:         66
        .size:           2
        .value_kind:     hidden_remainder_x
      - .offset:         68
        .size:           2
        .value_kind:     hidden_remainder_y
      - .offset:         70
        .size:           2
        .value_kind:     hidden_remainder_z
      - .offset:         88
        .size:           8
        .value_kind:     hidden_global_offset_x
      - .offset:         96
        .size:           8
        .value_kind:     hidden_global_offset_y
      - .offset:         104
        .size:           8
        .value_kind:     hidden_global_offset_z
      - .offset:         112
        .size:           2
        .value_kind:     hidden_grid_dims
    .group_segment_fixed_size: 8224
    .kernarg_segment_align: 8
    .kernarg_segment_size: 304
    .language:       OpenCL C
    .language_version:
      - 2
      - 0
    .max_flat_workgroup_size: 256
    .name:           _ZN7rocprim17ROCPRIM_400000_NS6detail17trampoline_kernelINS0_13kernel_configILj256ELj4ELj4294967295EEENS1_37radix_sort_block_sort_config_selectorIdNS0_10empty_typeEEEZNS1_21radix_sort_block_sortIS4_Lb1EPKdPdPS6_SC_NS0_19identity_decomposerEEE10hipError_tT1_T2_T3_T4_jRjT5_jjP12ihipStream_tbEUlT_E_NS1_11comp_targetILNS1_3genE0ELNS1_11target_archE4294967295ELNS1_3gpuE0ELNS1_3repE0EEENS1_44radix_sort_block_sort_config_static_selectorELNS0_4arch9wavefront6targetE0EEEvSF_
    .private_segment_fixed_size: 0
    .sgpr_count:     36
    .sgpr_spill_count: 0
    .symbol:         _ZN7rocprim17ROCPRIM_400000_NS6detail17trampoline_kernelINS0_13kernel_configILj256ELj4ELj4294967295EEENS1_37radix_sort_block_sort_config_selectorIdNS0_10empty_typeEEEZNS1_21radix_sort_block_sortIS4_Lb1EPKdPdPS6_SC_NS0_19identity_decomposerEEE10hipError_tT1_T2_T3_T4_jRjT5_jjP12ihipStream_tbEUlT_E_NS1_11comp_targetILNS1_3genE0ELNS1_11target_archE4294967295ELNS1_3gpuE0ELNS1_3repE0EEENS1_44radix_sort_block_sort_config_static_selectorELNS0_4arch9wavefront6targetE0EEEvSF_.kd
    .uniform_work_group_size: 1
    .uses_dynamic_stack: false
    .vgpr_count:     42
    .vgpr_spill_count: 0
    .wavefront_size: 32
  - .args:
      - .offset:         0
        .size:           48
        .value_kind:     by_value
    .group_segment_fixed_size: 0
    .kernarg_segment_align: 8
    .kernarg_segment_size: 48
    .language:       OpenCL C
    .language_version:
      - 2
      - 0
    .max_flat_workgroup_size: 256
    .name:           _ZN7rocprim17ROCPRIM_400000_NS6detail17trampoline_kernelINS0_13kernel_configILj256ELj4ELj4294967295EEENS1_37radix_sort_block_sort_config_selectorIdNS0_10empty_typeEEEZNS1_21radix_sort_block_sortIS4_Lb1EPKdPdPS6_SC_NS0_19identity_decomposerEEE10hipError_tT1_T2_T3_T4_jRjT5_jjP12ihipStream_tbEUlT_E_NS1_11comp_targetILNS1_3genE5ELNS1_11target_archE942ELNS1_3gpuE9ELNS1_3repE0EEENS1_44radix_sort_block_sort_config_static_selectorELNS0_4arch9wavefront6targetE0EEEvSF_
    .private_segment_fixed_size: 0
    .sgpr_count:     0
    .sgpr_spill_count: 0
    .symbol:         _ZN7rocprim17ROCPRIM_400000_NS6detail17trampoline_kernelINS0_13kernel_configILj256ELj4ELj4294967295EEENS1_37radix_sort_block_sort_config_selectorIdNS0_10empty_typeEEEZNS1_21radix_sort_block_sortIS4_Lb1EPKdPdPS6_SC_NS0_19identity_decomposerEEE10hipError_tT1_T2_T3_T4_jRjT5_jjP12ihipStream_tbEUlT_E_NS1_11comp_targetILNS1_3genE5ELNS1_11target_archE942ELNS1_3gpuE9ELNS1_3repE0EEENS1_44radix_sort_block_sort_config_static_selectorELNS0_4arch9wavefront6targetE0EEEvSF_.kd
    .uniform_work_group_size: 1
    .uses_dynamic_stack: false
    .vgpr_count:     0
    .vgpr_spill_count: 0
    .wavefront_size: 32
  - .args:
      - .offset:         0
        .size:           48
        .value_kind:     by_value
    .group_segment_fixed_size: 0
    .kernarg_segment_align: 8
    .kernarg_segment_size: 48
    .language:       OpenCL C
    .language_version:
      - 2
      - 0
    .max_flat_workgroup_size: 256
    .name:           _ZN7rocprim17ROCPRIM_400000_NS6detail17trampoline_kernelINS0_13kernel_configILj256ELj4ELj4294967295EEENS1_37radix_sort_block_sort_config_selectorIdNS0_10empty_typeEEEZNS1_21radix_sort_block_sortIS4_Lb1EPKdPdPS6_SC_NS0_19identity_decomposerEEE10hipError_tT1_T2_T3_T4_jRjT5_jjP12ihipStream_tbEUlT_E_NS1_11comp_targetILNS1_3genE4ELNS1_11target_archE910ELNS1_3gpuE8ELNS1_3repE0EEENS1_44radix_sort_block_sort_config_static_selectorELNS0_4arch9wavefront6targetE0EEEvSF_
    .private_segment_fixed_size: 0
    .sgpr_count:     0
    .sgpr_spill_count: 0
    .symbol:         _ZN7rocprim17ROCPRIM_400000_NS6detail17trampoline_kernelINS0_13kernel_configILj256ELj4ELj4294967295EEENS1_37radix_sort_block_sort_config_selectorIdNS0_10empty_typeEEEZNS1_21radix_sort_block_sortIS4_Lb1EPKdPdPS6_SC_NS0_19identity_decomposerEEE10hipError_tT1_T2_T3_T4_jRjT5_jjP12ihipStream_tbEUlT_E_NS1_11comp_targetILNS1_3genE4ELNS1_11target_archE910ELNS1_3gpuE8ELNS1_3repE0EEENS1_44radix_sort_block_sort_config_static_selectorELNS0_4arch9wavefront6targetE0EEEvSF_.kd
    .uniform_work_group_size: 1
    .uses_dynamic_stack: false
    .vgpr_count:     0
    .vgpr_spill_count: 0
    .wavefront_size: 32
  - .args:
      - .offset:         0
        .size:           48
        .value_kind:     by_value
    .group_segment_fixed_size: 0
    .kernarg_segment_align: 8
    .kernarg_segment_size: 48
    .language:       OpenCL C
    .language_version:
      - 2
      - 0
    .max_flat_workgroup_size: 256
    .name:           _ZN7rocprim17ROCPRIM_400000_NS6detail17trampoline_kernelINS0_13kernel_configILj256ELj4ELj4294967295EEENS1_37radix_sort_block_sort_config_selectorIdNS0_10empty_typeEEEZNS1_21radix_sort_block_sortIS4_Lb1EPKdPdPS6_SC_NS0_19identity_decomposerEEE10hipError_tT1_T2_T3_T4_jRjT5_jjP12ihipStream_tbEUlT_E_NS1_11comp_targetILNS1_3genE3ELNS1_11target_archE908ELNS1_3gpuE7ELNS1_3repE0EEENS1_44radix_sort_block_sort_config_static_selectorELNS0_4arch9wavefront6targetE0EEEvSF_
    .private_segment_fixed_size: 0
    .sgpr_count:     0
    .sgpr_spill_count: 0
    .symbol:         _ZN7rocprim17ROCPRIM_400000_NS6detail17trampoline_kernelINS0_13kernel_configILj256ELj4ELj4294967295EEENS1_37radix_sort_block_sort_config_selectorIdNS0_10empty_typeEEEZNS1_21radix_sort_block_sortIS4_Lb1EPKdPdPS6_SC_NS0_19identity_decomposerEEE10hipError_tT1_T2_T3_T4_jRjT5_jjP12ihipStream_tbEUlT_E_NS1_11comp_targetILNS1_3genE3ELNS1_11target_archE908ELNS1_3gpuE7ELNS1_3repE0EEENS1_44radix_sort_block_sort_config_static_selectorELNS0_4arch9wavefront6targetE0EEEvSF_.kd
    .uniform_work_group_size: 1
    .uses_dynamic_stack: false
    .vgpr_count:     0
    .vgpr_spill_count: 0
    .wavefront_size: 32
  - .args:
      - .offset:         0
        .size:           48
        .value_kind:     by_value
    .group_segment_fixed_size: 0
    .kernarg_segment_align: 8
    .kernarg_segment_size: 48
    .language:       OpenCL C
    .language_version:
      - 2
      - 0
    .max_flat_workgroup_size: 256
    .name:           _ZN7rocprim17ROCPRIM_400000_NS6detail17trampoline_kernelINS0_13kernel_configILj256ELj4ELj4294967295EEENS1_37radix_sort_block_sort_config_selectorIdNS0_10empty_typeEEEZNS1_21radix_sort_block_sortIS4_Lb1EPKdPdPS6_SC_NS0_19identity_decomposerEEE10hipError_tT1_T2_T3_T4_jRjT5_jjP12ihipStream_tbEUlT_E_NS1_11comp_targetILNS1_3genE2ELNS1_11target_archE906ELNS1_3gpuE6ELNS1_3repE0EEENS1_44radix_sort_block_sort_config_static_selectorELNS0_4arch9wavefront6targetE0EEEvSF_
    .private_segment_fixed_size: 0
    .sgpr_count:     0
    .sgpr_spill_count: 0
    .symbol:         _ZN7rocprim17ROCPRIM_400000_NS6detail17trampoline_kernelINS0_13kernel_configILj256ELj4ELj4294967295EEENS1_37radix_sort_block_sort_config_selectorIdNS0_10empty_typeEEEZNS1_21radix_sort_block_sortIS4_Lb1EPKdPdPS6_SC_NS0_19identity_decomposerEEE10hipError_tT1_T2_T3_T4_jRjT5_jjP12ihipStream_tbEUlT_E_NS1_11comp_targetILNS1_3genE2ELNS1_11target_archE906ELNS1_3gpuE6ELNS1_3repE0EEENS1_44radix_sort_block_sort_config_static_selectorELNS0_4arch9wavefront6targetE0EEEvSF_.kd
    .uniform_work_group_size: 1
    .uses_dynamic_stack: false
    .vgpr_count:     0
    .vgpr_spill_count: 0
    .wavefront_size: 32
  - .args:
      - .offset:         0
        .size:           48
        .value_kind:     by_value
    .group_segment_fixed_size: 0
    .kernarg_segment_align: 8
    .kernarg_segment_size: 48
    .language:       OpenCL C
    .language_version:
      - 2
      - 0
    .max_flat_workgroup_size: 256
    .name:           _ZN7rocprim17ROCPRIM_400000_NS6detail17trampoline_kernelINS0_13kernel_configILj256ELj4ELj4294967295EEENS1_37radix_sort_block_sort_config_selectorIdNS0_10empty_typeEEEZNS1_21radix_sort_block_sortIS4_Lb1EPKdPdPS6_SC_NS0_19identity_decomposerEEE10hipError_tT1_T2_T3_T4_jRjT5_jjP12ihipStream_tbEUlT_E_NS1_11comp_targetILNS1_3genE10ELNS1_11target_archE1201ELNS1_3gpuE5ELNS1_3repE0EEENS1_44radix_sort_block_sort_config_static_selectorELNS0_4arch9wavefront6targetE0EEEvSF_
    .private_segment_fixed_size: 0
    .sgpr_count:     0
    .sgpr_spill_count: 0
    .symbol:         _ZN7rocprim17ROCPRIM_400000_NS6detail17trampoline_kernelINS0_13kernel_configILj256ELj4ELj4294967295EEENS1_37radix_sort_block_sort_config_selectorIdNS0_10empty_typeEEEZNS1_21radix_sort_block_sortIS4_Lb1EPKdPdPS6_SC_NS0_19identity_decomposerEEE10hipError_tT1_T2_T3_T4_jRjT5_jjP12ihipStream_tbEUlT_E_NS1_11comp_targetILNS1_3genE10ELNS1_11target_archE1201ELNS1_3gpuE5ELNS1_3repE0EEENS1_44radix_sort_block_sort_config_static_selectorELNS0_4arch9wavefront6targetE0EEEvSF_.kd
    .uniform_work_group_size: 1
    .uses_dynamic_stack: false
    .vgpr_count:     0
    .vgpr_spill_count: 0
    .wavefront_size: 32
  - .args:
      - .offset:         0
        .size:           48
        .value_kind:     by_value
    .group_segment_fixed_size: 0
    .kernarg_segment_align: 8
    .kernarg_segment_size: 48
    .language:       OpenCL C
    .language_version:
      - 2
      - 0
    .max_flat_workgroup_size: 256
    .name:           _ZN7rocprim17ROCPRIM_400000_NS6detail17trampoline_kernelINS0_13kernel_configILj256ELj4ELj4294967295EEENS1_37radix_sort_block_sort_config_selectorIdNS0_10empty_typeEEEZNS1_21radix_sort_block_sortIS4_Lb1EPKdPdPS6_SC_NS0_19identity_decomposerEEE10hipError_tT1_T2_T3_T4_jRjT5_jjP12ihipStream_tbEUlT_E_NS1_11comp_targetILNS1_3genE10ELNS1_11target_archE1200ELNS1_3gpuE4ELNS1_3repE0EEENS1_44radix_sort_block_sort_config_static_selectorELNS0_4arch9wavefront6targetE0EEEvSF_
    .private_segment_fixed_size: 0
    .sgpr_count:     0
    .sgpr_spill_count: 0
    .symbol:         _ZN7rocprim17ROCPRIM_400000_NS6detail17trampoline_kernelINS0_13kernel_configILj256ELj4ELj4294967295EEENS1_37radix_sort_block_sort_config_selectorIdNS0_10empty_typeEEEZNS1_21radix_sort_block_sortIS4_Lb1EPKdPdPS6_SC_NS0_19identity_decomposerEEE10hipError_tT1_T2_T3_T4_jRjT5_jjP12ihipStream_tbEUlT_E_NS1_11comp_targetILNS1_3genE10ELNS1_11target_archE1200ELNS1_3gpuE4ELNS1_3repE0EEENS1_44radix_sort_block_sort_config_static_selectorELNS0_4arch9wavefront6targetE0EEEvSF_.kd
    .uniform_work_group_size: 1
    .uses_dynamic_stack: false
    .vgpr_count:     0
    .vgpr_spill_count: 0
    .wavefront_size: 32
  - .args:
      - .offset:         0
        .size:           48
        .value_kind:     by_value
    .group_segment_fixed_size: 0
    .kernarg_segment_align: 8
    .kernarg_segment_size: 48
    .language:       OpenCL C
    .language_version:
      - 2
      - 0
    .max_flat_workgroup_size: 256
    .name:           _ZN7rocprim17ROCPRIM_400000_NS6detail17trampoline_kernelINS0_13kernel_configILj256ELj4ELj4294967295EEENS1_37radix_sort_block_sort_config_selectorIdNS0_10empty_typeEEEZNS1_21radix_sort_block_sortIS4_Lb1EPKdPdPS6_SC_NS0_19identity_decomposerEEE10hipError_tT1_T2_T3_T4_jRjT5_jjP12ihipStream_tbEUlT_E_NS1_11comp_targetILNS1_3genE9ELNS1_11target_archE1100ELNS1_3gpuE3ELNS1_3repE0EEENS1_44radix_sort_block_sort_config_static_selectorELNS0_4arch9wavefront6targetE0EEEvSF_
    .private_segment_fixed_size: 0
    .sgpr_count:     0
    .sgpr_spill_count: 0
    .symbol:         _ZN7rocprim17ROCPRIM_400000_NS6detail17trampoline_kernelINS0_13kernel_configILj256ELj4ELj4294967295EEENS1_37radix_sort_block_sort_config_selectorIdNS0_10empty_typeEEEZNS1_21radix_sort_block_sortIS4_Lb1EPKdPdPS6_SC_NS0_19identity_decomposerEEE10hipError_tT1_T2_T3_T4_jRjT5_jjP12ihipStream_tbEUlT_E_NS1_11comp_targetILNS1_3genE9ELNS1_11target_archE1100ELNS1_3gpuE3ELNS1_3repE0EEENS1_44radix_sort_block_sort_config_static_selectorELNS0_4arch9wavefront6targetE0EEEvSF_.kd
    .uniform_work_group_size: 1
    .uses_dynamic_stack: false
    .vgpr_count:     0
    .vgpr_spill_count: 0
    .wavefront_size: 32
  - .args:
      - .offset:         0
        .size:           48
        .value_kind:     by_value
    .group_segment_fixed_size: 0
    .kernarg_segment_align: 8
    .kernarg_segment_size: 48
    .language:       OpenCL C
    .language_version:
      - 2
      - 0
    .max_flat_workgroup_size: 256
    .name:           _ZN7rocprim17ROCPRIM_400000_NS6detail17trampoline_kernelINS0_13kernel_configILj256ELj4ELj4294967295EEENS1_37radix_sort_block_sort_config_selectorIdNS0_10empty_typeEEEZNS1_21radix_sort_block_sortIS4_Lb1EPKdPdPS6_SC_NS0_19identity_decomposerEEE10hipError_tT1_T2_T3_T4_jRjT5_jjP12ihipStream_tbEUlT_E_NS1_11comp_targetILNS1_3genE8ELNS1_11target_archE1030ELNS1_3gpuE2ELNS1_3repE0EEENS1_44radix_sort_block_sort_config_static_selectorELNS0_4arch9wavefront6targetE0EEEvSF_
    .private_segment_fixed_size: 0
    .sgpr_count:     0
    .sgpr_spill_count: 0
    .symbol:         _ZN7rocprim17ROCPRIM_400000_NS6detail17trampoline_kernelINS0_13kernel_configILj256ELj4ELj4294967295EEENS1_37radix_sort_block_sort_config_selectorIdNS0_10empty_typeEEEZNS1_21radix_sort_block_sortIS4_Lb1EPKdPdPS6_SC_NS0_19identity_decomposerEEE10hipError_tT1_T2_T3_T4_jRjT5_jjP12ihipStream_tbEUlT_E_NS1_11comp_targetILNS1_3genE8ELNS1_11target_archE1030ELNS1_3gpuE2ELNS1_3repE0EEENS1_44radix_sort_block_sort_config_static_selectorELNS0_4arch9wavefront6targetE0EEEvSF_.kd
    .uniform_work_group_size: 1
    .uses_dynamic_stack: false
    .vgpr_count:     0
    .vgpr_spill_count: 0
    .wavefront_size: 32
  - .args:           []
    .group_segment_fixed_size: 0
    .kernarg_segment_align: 4
    .kernarg_segment_size: 0
    .language:       OpenCL C
    .language_version:
      - 2
      - 0
    .max_flat_workgroup_size: 1024
    .name:           _ZN7rocprim17ROCPRIM_400000_NS6detail44device_merge_sort_compile_time_verifier_archINS1_11comp_targetILNS1_3genE0ELNS1_11target_archE4294967295ELNS1_3gpuE0ELNS1_3repE0EEES8_NS1_28merge_sort_block_sort_configILj256ELj4ELNS0_20block_sort_algorithmE0EEENS0_14default_configENS1_37merge_sort_block_sort_config_selectorIdNS0_10empty_typeEEENS1_38merge_sort_block_merge_config_selectorIdSE_EEEEvv
    .private_segment_fixed_size: 0
    .sgpr_count:     0
    .sgpr_spill_count: 0
    .symbol:         _ZN7rocprim17ROCPRIM_400000_NS6detail44device_merge_sort_compile_time_verifier_archINS1_11comp_targetILNS1_3genE0ELNS1_11target_archE4294967295ELNS1_3gpuE0ELNS1_3repE0EEES8_NS1_28merge_sort_block_sort_configILj256ELj4ELNS0_20block_sort_algorithmE0EEENS0_14default_configENS1_37merge_sort_block_sort_config_selectorIdNS0_10empty_typeEEENS1_38merge_sort_block_merge_config_selectorIdSE_EEEEvv.kd
    .uniform_work_group_size: 1
    .uses_dynamic_stack: false
    .vgpr_count:     0
    .vgpr_spill_count: 0
    .wavefront_size: 32
  - .args:           []
    .group_segment_fixed_size: 0
    .kernarg_segment_align: 4
    .kernarg_segment_size: 0
    .language:       OpenCL C
    .language_version:
      - 2
      - 0
    .max_flat_workgroup_size: 1024
    .name:           _ZN7rocprim17ROCPRIM_400000_NS6detail44device_merge_sort_compile_time_verifier_archINS1_11comp_targetILNS1_3genE5ELNS1_11target_archE942ELNS1_3gpuE9ELNS1_3repE0EEES8_NS1_28merge_sort_block_sort_configILj256ELj4ELNS0_20block_sort_algorithmE0EEENS0_14default_configENS1_37merge_sort_block_sort_config_selectorIdNS0_10empty_typeEEENS1_38merge_sort_block_merge_config_selectorIdSE_EEEEvv
    .private_segment_fixed_size: 0
    .sgpr_count:     0
    .sgpr_spill_count: 0
    .symbol:         _ZN7rocprim17ROCPRIM_400000_NS6detail44device_merge_sort_compile_time_verifier_archINS1_11comp_targetILNS1_3genE5ELNS1_11target_archE942ELNS1_3gpuE9ELNS1_3repE0EEES8_NS1_28merge_sort_block_sort_configILj256ELj4ELNS0_20block_sort_algorithmE0EEENS0_14default_configENS1_37merge_sort_block_sort_config_selectorIdNS0_10empty_typeEEENS1_38merge_sort_block_merge_config_selectorIdSE_EEEEvv.kd
    .uniform_work_group_size: 1
    .uses_dynamic_stack: false
    .vgpr_count:     0
    .vgpr_spill_count: 0
    .wavefront_size: 32
  - .args:           []
    .group_segment_fixed_size: 0
    .kernarg_segment_align: 4
    .kernarg_segment_size: 0
    .language:       OpenCL C
    .language_version:
      - 2
      - 0
    .max_flat_workgroup_size: 1024
    .name:           _ZN7rocprim17ROCPRIM_400000_NS6detail44device_merge_sort_compile_time_verifier_archINS1_11comp_targetILNS1_3genE4ELNS1_11target_archE910ELNS1_3gpuE8ELNS1_3repE0EEES8_NS1_28merge_sort_block_sort_configILj256ELj4ELNS0_20block_sort_algorithmE0EEENS0_14default_configENS1_37merge_sort_block_sort_config_selectorIdNS0_10empty_typeEEENS1_38merge_sort_block_merge_config_selectorIdSE_EEEEvv
    .private_segment_fixed_size: 0
    .sgpr_count:     0
    .sgpr_spill_count: 0
    .symbol:         _ZN7rocprim17ROCPRIM_400000_NS6detail44device_merge_sort_compile_time_verifier_archINS1_11comp_targetILNS1_3genE4ELNS1_11target_archE910ELNS1_3gpuE8ELNS1_3repE0EEES8_NS1_28merge_sort_block_sort_configILj256ELj4ELNS0_20block_sort_algorithmE0EEENS0_14default_configENS1_37merge_sort_block_sort_config_selectorIdNS0_10empty_typeEEENS1_38merge_sort_block_merge_config_selectorIdSE_EEEEvv.kd
    .uniform_work_group_size: 1
    .uses_dynamic_stack: false
    .vgpr_count:     0
    .vgpr_spill_count: 0
    .wavefront_size: 32
  - .args:           []
    .group_segment_fixed_size: 0
    .kernarg_segment_align: 4
    .kernarg_segment_size: 0
    .language:       OpenCL C
    .language_version:
      - 2
      - 0
    .max_flat_workgroup_size: 1024
    .name:           _ZN7rocprim17ROCPRIM_400000_NS6detail44device_merge_sort_compile_time_verifier_archINS1_11comp_targetILNS1_3genE3ELNS1_11target_archE908ELNS1_3gpuE7ELNS1_3repE0EEES8_NS1_28merge_sort_block_sort_configILj256ELj4ELNS0_20block_sort_algorithmE0EEENS0_14default_configENS1_37merge_sort_block_sort_config_selectorIdNS0_10empty_typeEEENS1_38merge_sort_block_merge_config_selectorIdSE_EEEEvv
    .private_segment_fixed_size: 0
    .sgpr_count:     0
    .sgpr_spill_count: 0
    .symbol:         _ZN7rocprim17ROCPRIM_400000_NS6detail44device_merge_sort_compile_time_verifier_archINS1_11comp_targetILNS1_3genE3ELNS1_11target_archE908ELNS1_3gpuE7ELNS1_3repE0EEES8_NS1_28merge_sort_block_sort_configILj256ELj4ELNS0_20block_sort_algorithmE0EEENS0_14default_configENS1_37merge_sort_block_sort_config_selectorIdNS0_10empty_typeEEENS1_38merge_sort_block_merge_config_selectorIdSE_EEEEvv.kd
    .uniform_work_group_size: 1
    .uses_dynamic_stack: false
    .vgpr_count:     0
    .vgpr_spill_count: 0
    .wavefront_size: 32
  - .args:           []
    .group_segment_fixed_size: 0
    .kernarg_segment_align: 4
    .kernarg_segment_size: 0
    .language:       OpenCL C
    .language_version:
      - 2
      - 0
    .max_flat_workgroup_size: 1024
    .name:           _ZN7rocprim17ROCPRIM_400000_NS6detail44device_merge_sort_compile_time_verifier_archINS1_11comp_targetILNS1_3genE2ELNS1_11target_archE906ELNS1_3gpuE6ELNS1_3repE0EEES8_NS1_28merge_sort_block_sort_configILj256ELj4ELNS0_20block_sort_algorithmE0EEENS0_14default_configENS1_37merge_sort_block_sort_config_selectorIdNS0_10empty_typeEEENS1_38merge_sort_block_merge_config_selectorIdSE_EEEEvv
    .private_segment_fixed_size: 0
    .sgpr_count:     0
    .sgpr_spill_count: 0
    .symbol:         _ZN7rocprim17ROCPRIM_400000_NS6detail44device_merge_sort_compile_time_verifier_archINS1_11comp_targetILNS1_3genE2ELNS1_11target_archE906ELNS1_3gpuE6ELNS1_3repE0EEES8_NS1_28merge_sort_block_sort_configILj256ELj4ELNS0_20block_sort_algorithmE0EEENS0_14default_configENS1_37merge_sort_block_sort_config_selectorIdNS0_10empty_typeEEENS1_38merge_sort_block_merge_config_selectorIdSE_EEEEvv.kd
    .uniform_work_group_size: 1
    .uses_dynamic_stack: false
    .vgpr_count:     0
    .vgpr_spill_count: 0
    .wavefront_size: 32
  - .args:           []
    .group_segment_fixed_size: 0
    .kernarg_segment_align: 4
    .kernarg_segment_size: 0
    .language:       OpenCL C
    .language_version:
      - 2
      - 0
    .max_flat_workgroup_size: 1024
    .name:           _ZN7rocprim17ROCPRIM_400000_NS6detail44device_merge_sort_compile_time_verifier_archINS1_11comp_targetILNS1_3genE10ELNS1_11target_archE1201ELNS1_3gpuE5ELNS1_3repE0EEES8_NS1_28merge_sort_block_sort_configILj256ELj4ELNS0_20block_sort_algorithmE0EEENS0_14default_configENS1_37merge_sort_block_sort_config_selectorIdNS0_10empty_typeEEENS1_38merge_sort_block_merge_config_selectorIdSE_EEEEvv
    .private_segment_fixed_size: 0
    .sgpr_count:     0
    .sgpr_spill_count: 0
    .symbol:         _ZN7rocprim17ROCPRIM_400000_NS6detail44device_merge_sort_compile_time_verifier_archINS1_11comp_targetILNS1_3genE10ELNS1_11target_archE1201ELNS1_3gpuE5ELNS1_3repE0EEES8_NS1_28merge_sort_block_sort_configILj256ELj4ELNS0_20block_sort_algorithmE0EEENS0_14default_configENS1_37merge_sort_block_sort_config_selectorIdNS0_10empty_typeEEENS1_38merge_sort_block_merge_config_selectorIdSE_EEEEvv.kd
    .uniform_work_group_size: 1
    .uses_dynamic_stack: false
    .vgpr_count:     0
    .vgpr_spill_count: 0
    .wavefront_size: 32
  - .args:           []
    .group_segment_fixed_size: 0
    .kernarg_segment_align: 4
    .kernarg_segment_size: 0
    .language:       OpenCL C
    .language_version:
      - 2
      - 0
    .max_flat_workgroup_size: 1024
    .name:           _ZN7rocprim17ROCPRIM_400000_NS6detail44device_merge_sort_compile_time_verifier_archINS1_11comp_targetILNS1_3genE10ELNS1_11target_archE1200ELNS1_3gpuE4ELNS1_3repE0EEENS3_ILS4_10ELS5_1201ELS6_5ELS7_0EEENS1_28merge_sort_block_sort_configILj256ELj4ELNS0_20block_sort_algorithmE0EEENS0_14default_configENS1_37merge_sort_block_sort_config_selectorIdNS0_10empty_typeEEENS1_38merge_sort_block_merge_config_selectorIdSF_EEEEvv
    .private_segment_fixed_size: 0
    .sgpr_count:     0
    .sgpr_spill_count: 0
    .symbol:         _ZN7rocprim17ROCPRIM_400000_NS6detail44device_merge_sort_compile_time_verifier_archINS1_11comp_targetILNS1_3genE10ELNS1_11target_archE1200ELNS1_3gpuE4ELNS1_3repE0EEENS3_ILS4_10ELS5_1201ELS6_5ELS7_0EEENS1_28merge_sort_block_sort_configILj256ELj4ELNS0_20block_sort_algorithmE0EEENS0_14default_configENS1_37merge_sort_block_sort_config_selectorIdNS0_10empty_typeEEENS1_38merge_sort_block_merge_config_selectorIdSF_EEEEvv.kd
    .uniform_work_group_size: 1
    .uses_dynamic_stack: false
    .vgpr_count:     0
    .vgpr_spill_count: 0
    .wavefront_size: 32
  - .args:           []
    .group_segment_fixed_size: 0
    .kernarg_segment_align: 4
    .kernarg_segment_size: 0
    .language:       OpenCL C
    .language_version:
      - 2
      - 0
    .max_flat_workgroup_size: 1024
    .name:           _ZN7rocprim17ROCPRIM_400000_NS6detail44device_merge_sort_compile_time_verifier_archINS1_11comp_targetILNS1_3genE9ELNS1_11target_archE1100ELNS1_3gpuE3ELNS1_3repE0EEES8_NS1_28merge_sort_block_sort_configILj256ELj4ELNS0_20block_sort_algorithmE0EEENS0_14default_configENS1_37merge_sort_block_sort_config_selectorIdNS0_10empty_typeEEENS1_38merge_sort_block_merge_config_selectorIdSE_EEEEvv
    .private_segment_fixed_size: 0
    .sgpr_count:     0
    .sgpr_spill_count: 0
    .symbol:         _ZN7rocprim17ROCPRIM_400000_NS6detail44device_merge_sort_compile_time_verifier_archINS1_11comp_targetILNS1_3genE9ELNS1_11target_archE1100ELNS1_3gpuE3ELNS1_3repE0EEES8_NS1_28merge_sort_block_sort_configILj256ELj4ELNS0_20block_sort_algorithmE0EEENS0_14default_configENS1_37merge_sort_block_sort_config_selectorIdNS0_10empty_typeEEENS1_38merge_sort_block_merge_config_selectorIdSE_EEEEvv.kd
    .uniform_work_group_size: 1
    .uses_dynamic_stack: false
    .vgpr_count:     0
    .vgpr_spill_count: 0
    .wavefront_size: 32
  - .args:           []
    .group_segment_fixed_size: 0
    .kernarg_segment_align: 4
    .kernarg_segment_size: 0
    .language:       OpenCL C
    .language_version:
      - 2
      - 0
    .max_flat_workgroup_size: 1024
    .name:           _ZN7rocprim17ROCPRIM_400000_NS6detail44device_merge_sort_compile_time_verifier_archINS1_11comp_targetILNS1_3genE8ELNS1_11target_archE1030ELNS1_3gpuE2ELNS1_3repE0EEES8_NS1_28merge_sort_block_sort_configILj256ELj4ELNS0_20block_sort_algorithmE0EEENS0_14default_configENS1_37merge_sort_block_sort_config_selectorIdNS0_10empty_typeEEENS1_38merge_sort_block_merge_config_selectorIdSE_EEEEvv
    .private_segment_fixed_size: 0
    .sgpr_count:     0
    .sgpr_spill_count: 0
    .symbol:         _ZN7rocprim17ROCPRIM_400000_NS6detail44device_merge_sort_compile_time_verifier_archINS1_11comp_targetILNS1_3genE8ELNS1_11target_archE1030ELNS1_3gpuE2ELNS1_3repE0EEES8_NS1_28merge_sort_block_sort_configILj256ELj4ELNS0_20block_sort_algorithmE0EEENS0_14default_configENS1_37merge_sort_block_sort_config_selectorIdNS0_10empty_typeEEENS1_38merge_sort_block_merge_config_selectorIdSE_EEEEvv.kd
    .uniform_work_group_size: 1
    .uses_dynamic_stack: false
    .vgpr_count:     0
    .vgpr_spill_count: 0
    .wavefront_size: 32
  - .args:
      - .offset:         0
        .size:           40
        .value_kind:     by_value
    .group_segment_fixed_size: 0
    .kernarg_segment_align: 8
    .kernarg_segment_size: 40
    .language:       OpenCL C
    .language_version:
      - 2
      - 0
    .max_flat_workgroup_size: 128
    .name:           _ZN7rocprim17ROCPRIM_400000_NS6detail17trampoline_kernelINS0_14default_configENS1_38merge_sort_block_merge_config_selectorIdNS0_10empty_typeEEEZZNS1_27merge_sort_block_merge_implIS3_PdPS5_jNS1_19radix_merge_compareILb1ELb0EdNS0_19identity_decomposerEEEEE10hipError_tT0_T1_T2_jT3_P12ihipStream_tbPNSt15iterator_traitsISE_E10value_typeEPNSK_ISF_E10value_typeEPSG_NS1_7vsmem_tEENKUlT_SE_SF_SG_E_clIS8_S8_S9_S9_EESD_ST_SE_SF_SG_EUlST_E_NS1_11comp_targetILNS1_3genE0ELNS1_11target_archE4294967295ELNS1_3gpuE0ELNS1_3repE0EEENS1_48merge_mergepath_partition_config_static_selectorELNS0_4arch9wavefront6targetE0EEEvSF_
    .private_segment_fixed_size: 0
    .sgpr_count:     8
    .sgpr_spill_count: 0
    .symbol:         _ZN7rocprim17ROCPRIM_400000_NS6detail17trampoline_kernelINS0_14default_configENS1_38merge_sort_block_merge_config_selectorIdNS0_10empty_typeEEEZZNS1_27merge_sort_block_merge_implIS3_PdPS5_jNS1_19radix_merge_compareILb1ELb0EdNS0_19identity_decomposerEEEEE10hipError_tT0_T1_T2_jT3_P12ihipStream_tbPNSt15iterator_traitsISE_E10value_typeEPNSK_ISF_E10value_typeEPSG_NS1_7vsmem_tEENKUlT_SE_SF_SG_E_clIS8_S8_S9_S9_EESD_ST_SE_SF_SG_EUlST_E_NS1_11comp_targetILNS1_3genE0ELNS1_11target_archE4294967295ELNS1_3gpuE0ELNS1_3repE0EEENS1_48merge_mergepath_partition_config_static_selectorELNS0_4arch9wavefront6targetE0EEEvSF_.kd
    .uniform_work_group_size: 1
    .uses_dynamic_stack: false
    .vgpr_count:     20
    .vgpr_spill_count: 0
    .wavefront_size: 32
  - .args:
      - .offset:         0
        .size:           40
        .value_kind:     by_value
    .group_segment_fixed_size: 0
    .kernarg_segment_align: 8
    .kernarg_segment_size: 40
    .language:       OpenCL C
    .language_version:
      - 2
      - 0
    .max_flat_workgroup_size: 128
    .name:           _ZN7rocprim17ROCPRIM_400000_NS6detail17trampoline_kernelINS0_14default_configENS1_38merge_sort_block_merge_config_selectorIdNS0_10empty_typeEEEZZNS1_27merge_sort_block_merge_implIS3_PdPS5_jNS1_19radix_merge_compareILb1ELb0EdNS0_19identity_decomposerEEEEE10hipError_tT0_T1_T2_jT3_P12ihipStream_tbPNSt15iterator_traitsISE_E10value_typeEPNSK_ISF_E10value_typeEPSG_NS1_7vsmem_tEENKUlT_SE_SF_SG_E_clIS8_S8_S9_S9_EESD_ST_SE_SF_SG_EUlST_E_NS1_11comp_targetILNS1_3genE10ELNS1_11target_archE1201ELNS1_3gpuE5ELNS1_3repE0EEENS1_48merge_mergepath_partition_config_static_selectorELNS0_4arch9wavefront6targetE0EEEvSF_
    .private_segment_fixed_size: 0
    .sgpr_count:     0
    .sgpr_spill_count: 0
    .symbol:         _ZN7rocprim17ROCPRIM_400000_NS6detail17trampoline_kernelINS0_14default_configENS1_38merge_sort_block_merge_config_selectorIdNS0_10empty_typeEEEZZNS1_27merge_sort_block_merge_implIS3_PdPS5_jNS1_19radix_merge_compareILb1ELb0EdNS0_19identity_decomposerEEEEE10hipError_tT0_T1_T2_jT3_P12ihipStream_tbPNSt15iterator_traitsISE_E10value_typeEPNSK_ISF_E10value_typeEPSG_NS1_7vsmem_tEENKUlT_SE_SF_SG_E_clIS8_S8_S9_S9_EESD_ST_SE_SF_SG_EUlST_E_NS1_11comp_targetILNS1_3genE10ELNS1_11target_archE1201ELNS1_3gpuE5ELNS1_3repE0EEENS1_48merge_mergepath_partition_config_static_selectorELNS0_4arch9wavefront6targetE0EEEvSF_.kd
    .uniform_work_group_size: 1
    .uses_dynamic_stack: false
    .vgpr_count:     0
    .vgpr_spill_count: 0
    .wavefront_size: 32
  - .args:
      - .offset:         0
        .size:           40
        .value_kind:     by_value
    .group_segment_fixed_size: 0
    .kernarg_segment_align: 8
    .kernarg_segment_size: 40
    .language:       OpenCL C
    .language_version:
      - 2
      - 0
    .max_flat_workgroup_size: 128
    .name:           _ZN7rocprim17ROCPRIM_400000_NS6detail17trampoline_kernelINS0_14default_configENS1_38merge_sort_block_merge_config_selectorIdNS0_10empty_typeEEEZZNS1_27merge_sort_block_merge_implIS3_PdPS5_jNS1_19radix_merge_compareILb1ELb0EdNS0_19identity_decomposerEEEEE10hipError_tT0_T1_T2_jT3_P12ihipStream_tbPNSt15iterator_traitsISE_E10value_typeEPNSK_ISF_E10value_typeEPSG_NS1_7vsmem_tEENKUlT_SE_SF_SG_E_clIS8_S8_S9_S9_EESD_ST_SE_SF_SG_EUlST_E_NS1_11comp_targetILNS1_3genE5ELNS1_11target_archE942ELNS1_3gpuE9ELNS1_3repE0EEENS1_48merge_mergepath_partition_config_static_selectorELNS0_4arch9wavefront6targetE0EEEvSF_
    .private_segment_fixed_size: 0
    .sgpr_count:     0
    .sgpr_spill_count: 0
    .symbol:         _ZN7rocprim17ROCPRIM_400000_NS6detail17trampoline_kernelINS0_14default_configENS1_38merge_sort_block_merge_config_selectorIdNS0_10empty_typeEEEZZNS1_27merge_sort_block_merge_implIS3_PdPS5_jNS1_19radix_merge_compareILb1ELb0EdNS0_19identity_decomposerEEEEE10hipError_tT0_T1_T2_jT3_P12ihipStream_tbPNSt15iterator_traitsISE_E10value_typeEPNSK_ISF_E10value_typeEPSG_NS1_7vsmem_tEENKUlT_SE_SF_SG_E_clIS8_S8_S9_S9_EESD_ST_SE_SF_SG_EUlST_E_NS1_11comp_targetILNS1_3genE5ELNS1_11target_archE942ELNS1_3gpuE9ELNS1_3repE0EEENS1_48merge_mergepath_partition_config_static_selectorELNS0_4arch9wavefront6targetE0EEEvSF_.kd
    .uniform_work_group_size: 1
    .uses_dynamic_stack: false
    .vgpr_count:     0
    .vgpr_spill_count: 0
    .wavefront_size: 32
  - .args:
      - .offset:         0
        .size:           40
        .value_kind:     by_value
    .group_segment_fixed_size: 0
    .kernarg_segment_align: 8
    .kernarg_segment_size: 40
    .language:       OpenCL C
    .language_version:
      - 2
      - 0
    .max_flat_workgroup_size: 128
    .name:           _ZN7rocprim17ROCPRIM_400000_NS6detail17trampoline_kernelINS0_14default_configENS1_38merge_sort_block_merge_config_selectorIdNS0_10empty_typeEEEZZNS1_27merge_sort_block_merge_implIS3_PdPS5_jNS1_19radix_merge_compareILb1ELb0EdNS0_19identity_decomposerEEEEE10hipError_tT0_T1_T2_jT3_P12ihipStream_tbPNSt15iterator_traitsISE_E10value_typeEPNSK_ISF_E10value_typeEPSG_NS1_7vsmem_tEENKUlT_SE_SF_SG_E_clIS8_S8_S9_S9_EESD_ST_SE_SF_SG_EUlST_E_NS1_11comp_targetILNS1_3genE4ELNS1_11target_archE910ELNS1_3gpuE8ELNS1_3repE0EEENS1_48merge_mergepath_partition_config_static_selectorELNS0_4arch9wavefront6targetE0EEEvSF_
    .private_segment_fixed_size: 0
    .sgpr_count:     0
    .sgpr_spill_count: 0
    .symbol:         _ZN7rocprim17ROCPRIM_400000_NS6detail17trampoline_kernelINS0_14default_configENS1_38merge_sort_block_merge_config_selectorIdNS0_10empty_typeEEEZZNS1_27merge_sort_block_merge_implIS3_PdPS5_jNS1_19radix_merge_compareILb1ELb0EdNS0_19identity_decomposerEEEEE10hipError_tT0_T1_T2_jT3_P12ihipStream_tbPNSt15iterator_traitsISE_E10value_typeEPNSK_ISF_E10value_typeEPSG_NS1_7vsmem_tEENKUlT_SE_SF_SG_E_clIS8_S8_S9_S9_EESD_ST_SE_SF_SG_EUlST_E_NS1_11comp_targetILNS1_3genE4ELNS1_11target_archE910ELNS1_3gpuE8ELNS1_3repE0EEENS1_48merge_mergepath_partition_config_static_selectorELNS0_4arch9wavefront6targetE0EEEvSF_.kd
    .uniform_work_group_size: 1
    .uses_dynamic_stack: false
    .vgpr_count:     0
    .vgpr_spill_count: 0
    .wavefront_size: 32
  - .args:
      - .offset:         0
        .size:           40
        .value_kind:     by_value
    .group_segment_fixed_size: 0
    .kernarg_segment_align: 8
    .kernarg_segment_size: 40
    .language:       OpenCL C
    .language_version:
      - 2
      - 0
    .max_flat_workgroup_size: 128
    .name:           _ZN7rocprim17ROCPRIM_400000_NS6detail17trampoline_kernelINS0_14default_configENS1_38merge_sort_block_merge_config_selectorIdNS0_10empty_typeEEEZZNS1_27merge_sort_block_merge_implIS3_PdPS5_jNS1_19radix_merge_compareILb1ELb0EdNS0_19identity_decomposerEEEEE10hipError_tT0_T1_T2_jT3_P12ihipStream_tbPNSt15iterator_traitsISE_E10value_typeEPNSK_ISF_E10value_typeEPSG_NS1_7vsmem_tEENKUlT_SE_SF_SG_E_clIS8_S8_S9_S9_EESD_ST_SE_SF_SG_EUlST_E_NS1_11comp_targetILNS1_3genE3ELNS1_11target_archE908ELNS1_3gpuE7ELNS1_3repE0EEENS1_48merge_mergepath_partition_config_static_selectorELNS0_4arch9wavefront6targetE0EEEvSF_
    .private_segment_fixed_size: 0
    .sgpr_count:     0
    .sgpr_spill_count: 0
    .symbol:         _ZN7rocprim17ROCPRIM_400000_NS6detail17trampoline_kernelINS0_14default_configENS1_38merge_sort_block_merge_config_selectorIdNS0_10empty_typeEEEZZNS1_27merge_sort_block_merge_implIS3_PdPS5_jNS1_19radix_merge_compareILb1ELb0EdNS0_19identity_decomposerEEEEE10hipError_tT0_T1_T2_jT3_P12ihipStream_tbPNSt15iterator_traitsISE_E10value_typeEPNSK_ISF_E10value_typeEPSG_NS1_7vsmem_tEENKUlT_SE_SF_SG_E_clIS8_S8_S9_S9_EESD_ST_SE_SF_SG_EUlST_E_NS1_11comp_targetILNS1_3genE3ELNS1_11target_archE908ELNS1_3gpuE7ELNS1_3repE0EEENS1_48merge_mergepath_partition_config_static_selectorELNS0_4arch9wavefront6targetE0EEEvSF_.kd
    .uniform_work_group_size: 1
    .uses_dynamic_stack: false
    .vgpr_count:     0
    .vgpr_spill_count: 0
    .wavefront_size: 32
  - .args:
      - .offset:         0
        .size:           40
        .value_kind:     by_value
    .group_segment_fixed_size: 0
    .kernarg_segment_align: 8
    .kernarg_segment_size: 40
    .language:       OpenCL C
    .language_version:
      - 2
      - 0
    .max_flat_workgroup_size: 128
    .name:           _ZN7rocprim17ROCPRIM_400000_NS6detail17trampoline_kernelINS0_14default_configENS1_38merge_sort_block_merge_config_selectorIdNS0_10empty_typeEEEZZNS1_27merge_sort_block_merge_implIS3_PdPS5_jNS1_19radix_merge_compareILb1ELb0EdNS0_19identity_decomposerEEEEE10hipError_tT0_T1_T2_jT3_P12ihipStream_tbPNSt15iterator_traitsISE_E10value_typeEPNSK_ISF_E10value_typeEPSG_NS1_7vsmem_tEENKUlT_SE_SF_SG_E_clIS8_S8_S9_S9_EESD_ST_SE_SF_SG_EUlST_E_NS1_11comp_targetILNS1_3genE2ELNS1_11target_archE906ELNS1_3gpuE6ELNS1_3repE0EEENS1_48merge_mergepath_partition_config_static_selectorELNS0_4arch9wavefront6targetE0EEEvSF_
    .private_segment_fixed_size: 0
    .sgpr_count:     0
    .sgpr_spill_count: 0
    .symbol:         _ZN7rocprim17ROCPRIM_400000_NS6detail17trampoline_kernelINS0_14default_configENS1_38merge_sort_block_merge_config_selectorIdNS0_10empty_typeEEEZZNS1_27merge_sort_block_merge_implIS3_PdPS5_jNS1_19radix_merge_compareILb1ELb0EdNS0_19identity_decomposerEEEEE10hipError_tT0_T1_T2_jT3_P12ihipStream_tbPNSt15iterator_traitsISE_E10value_typeEPNSK_ISF_E10value_typeEPSG_NS1_7vsmem_tEENKUlT_SE_SF_SG_E_clIS8_S8_S9_S9_EESD_ST_SE_SF_SG_EUlST_E_NS1_11comp_targetILNS1_3genE2ELNS1_11target_archE906ELNS1_3gpuE6ELNS1_3repE0EEENS1_48merge_mergepath_partition_config_static_selectorELNS0_4arch9wavefront6targetE0EEEvSF_.kd
    .uniform_work_group_size: 1
    .uses_dynamic_stack: false
    .vgpr_count:     0
    .vgpr_spill_count: 0
    .wavefront_size: 32
  - .args:
      - .offset:         0
        .size:           40
        .value_kind:     by_value
    .group_segment_fixed_size: 0
    .kernarg_segment_align: 8
    .kernarg_segment_size: 40
    .language:       OpenCL C
    .language_version:
      - 2
      - 0
    .max_flat_workgroup_size: 128
    .name:           _ZN7rocprim17ROCPRIM_400000_NS6detail17trampoline_kernelINS0_14default_configENS1_38merge_sort_block_merge_config_selectorIdNS0_10empty_typeEEEZZNS1_27merge_sort_block_merge_implIS3_PdPS5_jNS1_19radix_merge_compareILb1ELb0EdNS0_19identity_decomposerEEEEE10hipError_tT0_T1_T2_jT3_P12ihipStream_tbPNSt15iterator_traitsISE_E10value_typeEPNSK_ISF_E10value_typeEPSG_NS1_7vsmem_tEENKUlT_SE_SF_SG_E_clIS8_S8_S9_S9_EESD_ST_SE_SF_SG_EUlST_E_NS1_11comp_targetILNS1_3genE9ELNS1_11target_archE1100ELNS1_3gpuE3ELNS1_3repE0EEENS1_48merge_mergepath_partition_config_static_selectorELNS0_4arch9wavefront6targetE0EEEvSF_
    .private_segment_fixed_size: 0
    .sgpr_count:     0
    .sgpr_spill_count: 0
    .symbol:         _ZN7rocprim17ROCPRIM_400000_NS6detail17trampoline_kernelINS0_14default_configENS1_38merge_sort_block_merge_config_selectorIdNS0_10empty_typeEEEZZNS1_27merge_sort_block_merge_implIS3_PdPS5_jNS1_19radix_merge_compareILb1ELb0EdNS0_19identity_decomposerEEEEE10hipError_tT0_T1_T2_jT3_P12ihipStream_tbPNSt15iterator_traitsISE_E10value_typeEPNSK_ISF_E10value_typeEPSG_NS1_7vsmem_tEENKUlT_SE_SF_SG_E_clIS8_S8_S9_S9_EESD_ST_SE_SF_SG_EUlST_E_NS1_11comp_targetILNS1_3genE9ELNS1_11target_archE1100ELNS1_3gpuE3ELNS1_3repE0EEENS1_48merge_mergepath_partition_config_static_selectorELNS0_4arch9wavefront6targetE0EEEvSF_.kd
    .uniform_work_group_size: 1
    .uses_dynamic_stack: false
    .vgpr_count:     0
    .vgpr_spill_count: 0
    .wavefront_size: 32
  - .args:
      - .offset:         0
        .size:           40
        .value_kind:     by_value
    .group_segment_fixed_size: 0
    .kernarg_segment_align: 8
    .kernarg_segment_size: 40
    .language:       OpenCL C
    .language_version:
      - 2
      - 0
    .max_flat_workgroup_size: 128
    .name:           _ZN7rocprim17ROCPRIM_400000_NS6detail17trampoline_kernelINS0_14default_configENS1_38merge_sort_block_merge_config_selectorIdNS0_10empty_typeEEEZZNS1_27merge_sort_block_merge_implIS3_PdPS5_jNS1_19radix_merge_compareILb1ELb0EdNS0_19identity_decomposerEEEEE10hipError_tT0_T1_T2_jT3_P12ihipStream_tbPNSt15iterator_traitsISE_E10value_typeEPNSK_ISF_E10value_typeEPSG_NS1_7vsmem_tEENKUlT_SE_SF_SG_E_clIS8_S8_S9_S9_EESD_ST_SE_SF_SG_EUlST_E_NS1_11comp_targetILNS1_3genE8ELNS1_11target_archE1030ELNS1_3gpuE2ELNS1_3repE0EEENS1_48merge_mergepath_partition_config_static_selectorELNS0_4arch9wavefront6targetE0EEEvSF_
    .private_segment_fixed_size: 0
    .sgpr_count:     0
    .sgpr_spill_count: 0
    .symbol:         _ZN7rocprim17ROCPRIM_400000_NS6detail17trampoline_kernelINS0_14default_configENS1_38merge_sort_block_merge_config_selectorIdNS0_10empty_typeEEEZZNS1_27merge_sort_block_merge_implIS3_PdPS5_jNS1_19radix_merge_compareILb1ELb0EdNS0_19identity_decomposerEEEEE10hipError_tT0_T1_T2_jT3_P12ihipStream_tbPNSt15iterator_traitsISE_E10value_typeEPNSK_ISF_E10value_typeEPSG_NS1_7vsmem_tEENKUlT_SE_SF_SG_E_clIS8_S8_S9_S9_EESD_ST_SE_SF_SG_EUlST_E_NS1_11comp_targetILNS1_3genE8ELNS1_11target_archE1030ELNS1_3gpuE2ELNS1_3repE0EEENS1_48merge_mergepath_partition_config_static_selectorELNS0_4arch9wavefront6targetE0EEEvSF_.kd
    .uniform_work_group_size: 1
    .uses_dynamic_stack: false
    .vgpr_count:     0
    .vgpr_spill_count: 0
    .wavefront_size: 32
  - .args:
      - .offset:         0
        .size:           64
        .value_kind:     by_value
      - .offset:         64
        .size:           4
        .value_kind:     hidden_block_count_x
      - .offset:         68
        .size:           4
        .value_kind:     hidden_block_count_y
      - .offset:         72
        .size:           4
        .value_kind:     hidden_block_count_z
      - .offset:         76
        .size:           2
        .value_kind:     hidden_group_size_x
      - .offset:         78
        .size:           2
        .value_kind:     hidden_group_size_y
      - .offset:         80
        .size:           2
        .value_kind:     hidden_group_size_z
      - .offset:         82
        .size:           2
        .value_kind:     hidden_remainder_x
      - .offset:         84
        .size:           2
        .value_kind:     hidden_remainder_y
      - .offset:         86
        .size:           2
        .value_kind:     hidden_remainder_z
      - .offset:         104
        .size:           8
        .value_kind:     hidden_global_offset_x
      - .offset:         112
        .size:           8
        .value_kind:     hidden_global_offset_y
      - .offset:         120
        .size:           8
        .value_kind:     hidden_global_offset_z
      - .offset:         128
        .size:           2
        .value_kind:     hidden_grid_dims
    .group_segment_fixed_size: 8448
    .kernarg_segment_align: 8
    .kernarg_segment_size: 320
    .language:       OpenCL C
    .language_version:
      - 2
      - 0
    .max_flat_workgroup_size: 256
    .name:           _ZN7rocprim17ROCPRIM_400000_NS6detail17trampoline_kernelINS0_14default_configENS1_38merge_sort_block_merge_config_selectorIdNS0_10empty_typeEEEZZNS1_27merge_sort_block_merge_implIS3_PdPS5_jNS1_19radix_merge_compareILb1ELb0EdNS0_19identity_decomposerEEEEE10hipError_tT0_T1_T2_jT3_P12ihipStream_tbPNSt15iterator_traitsISE_E10value_typeEPNSK_ISF_E10value_typeEPSG_NS1_7vsmem_tEENKUlT_SE_SF_SG_E_clIS8_S8_S9_S9_EESD_ST_SE_SF_SG_EUlST_E0_NS1_11comp_targetILNS1_3genE0ELNS1_11target_archE4294967295ELNS1_3gpuE0ELNS1_3repE0EEENS1_38merge_mergepath_config_static_selectorELNS0_4arch9wavefront6targetE0EEEvSF_
    .private_segment_fixed_size: 0
    .sgpr_count:     24
    .sgpr_spill_count: 0
    .symbol:         _ZN7rocprim17ROCPRIM_400000_NS6detail17trampoline_kernelINS0_14default_configENS1_38merge_sort_block_merge_config_selectorIdNS0_10empty_typeEEEZZNS1_27merge_sort_block_merge_implIS3_PdPS5_jNS1_19radix_merge_compareILb1ELb0EdNS0_19identity_decomposerEEEEE10hipError_tT0_T1_T2_jT3_P12ihipStream_tbPNSt15iterator_traitsISE_E10value_typeEPNSK_ISF_E10value_typeEPSG_NS1_7vsmem_tEENKUlT_SE_SF_SG_E_clIS8_S8_S9_S9_EESD_ST_SE_SF_SG_EUlST_E0_NS1_11comp_targetILNS1_3genE0ELNS1_11target_archE4294967295ELNS1_3gpuE0ELNS1_3repE0EEENS1_38merge_mergepath_config_static_selectorELNS0_4arch9wavefront6targetE0EEEvSF_.kd
    .uniform_work_group_size: 1
    .uses_dynamic_stack: false
    .vgpr_count:     26
    .vgpr_spill_count: 0
    .wavefront_size: 32
  - .args:
      - .offset:         0
        .size:           64
        .value_kind:     by_value
    .group_segment_fixed_size: 0
    .kernarg_segment_align: 8
    .kernarg_segment_size: 64
    .language:       OpenCL C
    .language_version:
      - 2
      - 0
    .max_flat_workgroup_size: 512
    .name:           _ZN7rocprim17ROCPRIM_400000_NS6detail17trampoline_kernelINS0_14default_configENS1_38merge_sort_block_merge_config_selectorIdNS0_10empty_typeEEEZZNS1_27merge_sort_block_merge_implIS3_PdPS5_jNS1_19radix_merge_compareILb1ELb0EdNS0_19identity_decomposerEEEEE10hipError_tT0_T1_T2_jT3_P12ihipStream_tbPNSt15iterator_traitsISE_E10value_typeEPNSK_ISF_E10value_typeEPSG_NS1_7vsmem_tEENKUlT_SE_SF_SG_E_clIS8_S8_S9_S9_EESD_ST_SE_SF_SG_EUlST_E0_NS1_11comp_targetILNS1_3genE10ELNS1_11target_archE1201ELNS1_3gpuE5ELNS1_3repE0EEENS1_38merge_mergepath_config_static_selectorELNS0_4arch9wavefront6targetE0EEEvSF_
    .private_segment_fixed_size: 0
    .sgpr_count:     0
    .sgpr_spill_count: 0
    .symbol:         _ZN7rocprim17ROCPRIM_400000_NS6detail17trampoline_kernelINS0_14default_configENS1_38merge_sort_block_merge_config_selectorIdNS0_10empty_typeEEEZZNS1_27merge_sort_block_merge_implIS3_PdPS5_jNS1_19radix_merge_compareILb1ELb0EdNS0_19identity_decomposerEEEEE10hipError_tT0_T1_T2_jT3_P12ihipStream_tbPNSt15iterator_traitsISE_E10value_typeEPNSK_ISF_E10value_typeEPSG_NS1_7vsmem_tEENKUlT_SE_SF_SG_E_clIS8_S8_S9_S9_EESD_ST_SE_SF_SG_EUlST_E0_NS1_11comp_targetILNS1_3genE10ELNS1_11target_archE1201ELNS1_3gpuE5ELNS1_3repE0EEENS1_38merge_mergepath_config_static_selectorELNS0_4arch9wavefront6targetE0EEEvSF_.kd
    .uniform_work_group_size: 1
    .uses_dynamic_stack: false
    .vgpr_count:     0
    .vgpr_spill_count: 0
    .wavefront_size: 32
  - .args:
      - .offset:         0
        .size:           64
        .value_kind:     by_value
    .group_segment_fixed_size: 0
    .kernarg_segment_align: 8
    .kernarg_segment_size: 64
    .language:       OpenCL C
    .language_version:
      - 2
      - 0
    .max_flat_workgroup_size: 256
    .name:           _ZN7rocprim17ROCPRIM_400000_NS6detail17trampoline_kernelINS0_14default_configENS1_38merge_sort_block_merge_config_selectorIdNS0_10empty_typeEEEZZNS1_27merge_sort_block_merge_implIS3_PdPS5_jNS1_19radix_merge_compareILb1ELb0EdNS0_19identity_decomposerEEEEE10hipError_tT0_T1_T2_jT3_P12ihipStream_tbPNSt15iterator_traitsISE_E10value_typeEPNSK_ISF_E10value_typeEPSG_NS1_7vsmem_tEENKUlT_SE_SF_SG_E_clIS8_S8_S9_S9_EESD_ST_SE_SF_SG_EUlST_E0_NS1_11comp_targetILNS1_3genE5ELNS1_11target_archE942ELNS1_3gpuE9ELNS1_3repE0EEENS1_38merge_mergepath_config_static_selectorELNS0_4arch9wavefront6targetE0EEEvSF_
    .private_segment_fixed_size: 0
    .sgpr_count:     0
    .sgpr_spill_count: 0
    .symbol:         _ZN7rocprim17ROCPRIM_400000_NS6detail17trampoline_kernelINS0_14default_configENS1_38merge_sort_block_merge_config_selectorIdNS0_10empty_typeEEEZZNS1_27merge_sort_block_merge_implIS3_PdPS5_jNS1_19radix_merge_compareILb1ELb0EdNS0_19identity_decomposerEEEEE10hipError_tT0_T1_T2_jT3_P12ihipStream_tbPNSt15iterator_traitsISE_E10value_typeEPNSK_ISF_E10value_typeEPSG_NS1_7vsmem_tEENKUlT_SE_SF_SG_E_clIS8_S8_S9_S9_EESD_ST_SE_SF_SG_EUlST_E0_NS1_11comp_targetILNS1_3genE5ELNS1_11target_archE942ELNS1_3gpuE9ELNS1_3repE0EEENS1_38merge_mergepath_config_static_selectorELNS0_4arch9wavefront6targetE0EEEvSF_.kd
    .uniform_work_group_size: 1
    .uses_dynamic_stack: false
    .vgpr_count:     0
    .vgpr_spill_count: 0
    .wavefront_size: 32
  - .args:
      - .offset:         0
        .size:           64
        .value_kind:     by_value
    .group_segment_fixed_size: 0
    .kernarg_segment_align: 8
    .kernarg_segment_size: 64
    .language:       OpenCL C
    .language_version:
      - 2
      - 0
    .max_flat_workgroup_size: 256
    .name:           _ZN7rocprim17ROCPRIM_400000_NS6detail17trampoline_kernelINS0_14default_configENS1_38merge_sort_block_merge_config_selectorIdNS0_10empty_typeEEEZZNS1_27merge_sort_block_merge_implIS3_PdPS5_jNS1_19radix_merge_compareILb1ELb0EdNS0_19identity_decomposerEEEEE10hipError_tT0_T1_T2_jT3_P12ihipStream_tbPNSt15iterator_traitsISE_E10value_typeEPNSK_ISF_E10value_typeEPSG_NS1_7vsmem_tEENKUlT_SE_SF_SG_E_clIS8_S8_S9_S9_EESD_ST_SE_SF_SG_EUlST_E0_NS1_11comp_targetILNS1_3genE4ELNS1_11target_archE910ELNS1_3gpuE8ELNS1_3repE0EEENS1_38merge_mergepath_config_static_selectorELNS0_4arch9wavefront6targetE0EEEvSF_
    .private_segment_fixed_size: 0
    .sgpr_count:     0
    .sgpr_spill_count: 0
    .symbol:         _ZN7rocprim17ROCPRIM_400000_NS6detail17trampoline_kernelINS0_14default_configENS1_38merge_sort_block_merge_config_selectorIdNS0_10empty_typeEEEZZNS1_27merge_sort_block_merge_implIS3_PdPS5_jNS1_19radix_merge_compareILb1ELb0EdNS0_19identity_decomposerEEEEE10hipError_tT0_T1_T2_jT3_P12ihipStream_tbPNSt15iterator_traitsISE_E10value_typeEPNSK_ISF_E10value_typeEPSG_NS1_7vsmem_tEENKUlT_SE_SF_SG_E_clIS8_S8_S9_S9_EESD_ST_SE_SF_SG_EUlST_E0_NS1_11comp_targetILNS1_3genE4ELNS1_11target_archE910ELNS1_3gpuE8ELNS1_3repE0EEENS1_38merge_mergepath_config_static_selectorELNS0_4arch9wavefront6targetE0EEEvSF_.kd
    .uniform_work_group_size: 1
    .uses_dynamic_stack: false
    .vgpr_count:     0
    .vgpr_spill_count: 0
    .wavefront_size: 32
  - .args:
      - .offset:         0
        .size:           64
        .value_kind:     by_value
    .group_segment_fixed_size: 0
    .kernarg_segment_align: 8
    .kernarg_segment_size: 64
    .language:       OpenCL C
    .language_version:
      - 2
      - 0
    .max_flat_workgroup_size: 256
    .name:           _ZN7rocprim17ROCPRIM_400000_NS6detail17trampoline_kernelINS0_14default_configENS1_38merge_sort_block_merge_config_selectorIdNS0_10empty_typeEEEZZNS1_27merge_sort_block_merge_implIS3_PdPS5_jNS1_19radix_merge_compareILb1ELb0EdNS0_19identity_decomposerEEEEE10hipError_tT0_T1_T2_jT3_P12ihipStream_tbPNSt15iterator_traitsISE_E10value_typeEPNSK_ISF_E10value_typeEPSG_NS1_7vsmem_tEENKUlT_SE_SF_SG_E_clIS8_S8_S9_S9_EESD_ST_SE_SF_SG_EUlST_E0_NS1_11comp_targetILNS1_3genE3ELNS1_11target_archE908ELNS1_3gpuE7ELNS1_3repE0EEENS1_38merge_mergepath_config_static_selectorELNS0_4arch9wavefront6targetE0EEEvSF_
    .private_segment_fixed_size: 0
    .sgpr_count:     0
    .sgpr_spill_count: 0
    .symbol:         _ZN7rocprim17ROCPRIM_400000_NS6detail17trampoline_kernelINS0_14default_configENS1_38merge_sort_block_merge_config_selectorIdNS0_10empty_typeEEEZZNS1_27merge_sort_block_merge_implIS3_PdPS5_jNS1_19radix_merge_compareILb1ELb0EdNS0_19identity_decomposerEEEEE10hipError_tT0_T1_T2_jT3_P12ihipStream_tbPNSt15iterator_traitsISE_E10value_typeEPNSK_ISF_E10value_typeEPSG_NS1_7vsmem_tEENKUlT_SE_SF_SG_E_clIS8_S8_S9_S9_EESD_ST_SE_SF_SG_EUlST_E0_NS1_11comp_targetILNS1_3genE3ELNS1_11target_archE908ELNS1_3gpuE7ELNS1_3repE0EEENS1_38merge_mergepath_config_static_selectorELNS0_4arch9wavefront6targetE0EEEvSF_.kd
    .uniform_work_group_size: 1
    .uses_dynamic_stack: false
    .vgpr_count:     0
    .vgpr_spill_count: 0
    .wavefront_size: 32
  - .args:
      - .offset:         0
        .size:           64
        .value_kind:     by_value
    .group_segment_fixed_size: 0
    .kernarg_segment_align: 8
    .kernarg_segment_size: 64
    .language:       OpenCL C
    .language_version:
      - 2
      - 0
    .max_flat_workgroup_size: 256
    .name:           _ZN7rocprim17ROCPRIM_400000_NS6detail17trampoline_kernelINS0_14default_configENS1_38merge_sort_block_merge_config_selectorIdNS0_10empty_typeEEEZZNS1_27merge_sort_block_merge_implIS3_PdPS5_jNS1_19radix_merge_compareILb1ELb0EdNS0_19identity_decomposerEEEEE10hipError_tT0_T1_T2_jT3_P12ihipStream_tbPNSt15iterator_traitsISE_E10value_typeEPNSK_ISF_E10value_typeEPSG_NS1_7vsmem_tEENKUlT_SE_SF_SG_E_clIS8_S8_S9_S9_EESD_ST_SE_SF_SG_EUlST_E0_NS1_11comp_targetILNS1_3genE2ELNS1_11target_archE906ELNS1_3gpuE6ELNS1_3repE0EEENS1_38merge_mergepath_config_static_selectorELNS0_4arch9wavefront6targetE0EEEvSF_
    .private_segment_fixed_size: 0
    .sgpr_count:     0
    .sgpr_spill_count: 0
    .symbol:         _ZN7rocprim17ROCPRIM_400000_NS6detail17trampoline_kernelINS0_14default_configENS1_38merge_sort_block_merge_config_selectorIdNS0_10empty_typeEEEZZNS1_27merge_sort_block_merge_implIS3_PdPS5_jNS1_19radix_merge_compareILb1ELb0EdNS0_19identity_decomposerEEEEE10hipError_tT0_T1_T2_jT3_P12ihipStream_tbPNSt15iterator_traitsISE_E10value_typeEPNSK_ISF_E10value_typeEPSG_NS1_7vsmem_tEENKUlT_SE_SF_SG_E_clIS8_S8_S9_S9_EESD_ST_SE_SF_SG_EUlST_E0_NS1_11comp_targetILNS1_3genE2ELNS1_11target_archE906ELNS1_3gpuE6ELNS1_3repE0EEENS1_38merge_mergepath_config_static_selectorELNS0_4arch9wavefront6targetE0EEEvSF_.kd
    .uniform_work_group_size: 1
    .uses_dynamic_stack: false
    .vgpr_count:     0
    .vgpr_spill_count: 0
    .wavefront_size: 32
  - .args:
      - .offset:         0
        .size:           64
        .value_kind:     by_value
    .group_segment_fixed_size: 0
    .kernarg_segment_align: 8
    .kernarg_segment_size: 64
    .language:       OpenCL C
    .language_version:
      - 2
      - 0
    .max_flat_workgroup_size: 512
    .name:           _ZN7rocprim17ROCPRIM_400000_NS6detail17trampoline_kernelINS0_14default_configENS1_38merge_sort_block_merge_config_selectorIdNS0_10empty_typeEEEZZNS1_27merge_sort_block_merge_implIS3_PdPS5_jNS1_19radix_merge_compareILb1ELb0EdNS0_19identity_decomposerEEEEE10hipError_tT0_T1_T2_jT3_P12ihipStream_tbPNSt15iterator_traitsISE_E10value_typeEPNSK_ISF_E10value_typeEPSG_NS1_7vsmem_tEENKUlT_SE_SF_SG_E_clIS8_S8_S9_S9_EESD_ST_SE_SF_SG_EUlST_E0_NS1_11comp_targetILNS1_3genE9ELNS1_11target_archE1100ELNS1_3gpuE3ELNS1_3repE0EEENS1_38merge_mergepath_config_static_selectorELNS0_4arch9wavefront6targetE0EEEvSF_
    .private_segment_fixed_size: 0
    .sgpr_count:     0
    .sgpr_spill_count: 0
    .symbol:         _ZN7rocprim17ROCPRIM_400000_NS6detail17trampoline_kernelINS0_14default_configENS1_38merge_sort_block_merge_config_selectorIdNS0_10empty_typeEEEZZNS1_27merge_sort_block_merge_implIS3_PdPS5_jNS1_19radix_merge_compareILb1ELb0EdNS0_19identity_decomposerEEEEE10hipError_tT0_T1_T2_jT3_P12ihipStream_tbPNSt15iterator_traitsISE_E10value_typeEPNSK_ISF_E10value_typeEPSG_NS1_7vsmem_tEENKUlT_SE_SF_SG_E_clIS8_S8_S9_S9_EESD_ST_SE_SF_SG_EUlST_E0_NS1_11comp_targetILNS1_3genE9ELNS1_11target_archE1100ELNS1_3gpuE3ELNS1_3repE0EEENS1_38merge_mergepath_config_static_selectorELNS0_4arch9wavefront6targetE0EEEvSF_.kd
    .uniform_work_group_size: 1
    .uses_dynamic_stack: false
    .vgpr_count:     0
    .vgpr_spill_count: 0
    .wavefront_size: 32
  - .args:
      - .offset:         0
        .size:           64
        .value_kind:     by_value
    .group_segment_fixed_size: 0
    .kernarg_segment_align: 8
    .kernarg_segment_size: 64
    .language:       OpenCL C
    .language_version:
      - 2
      - 0
    .max_flat_workgroup_size: 1024
    .name:           _ZN7rocprim17ROCPRIM_400000_NS6detail17trampoline_kernelINS0_14default_configENS1_38merge_sort_block_merge_config_selectorIdNS0_10empty_typeEEEZZNS1_27merge_sort_block_merge_implIS3_PdPS5_jNS1_19radix_merge_compareILb1ELb0EdNS0_19identity_decomposerEEEEE10hipError_tT0_T1_T2_jT3_P12ihipStream_tbPNSt15iterator_traitsISE_E10value_typeEPNSK_ISF_E10value_typeEPSG_NS1_7vsmem_tEENKUlT_SE_SF_SG_E_clIS8_S8_S9_S9_EESD_ST_SE_SF_SG_EUlST_E0_NS1_11comp_targetILNS1_3genE8ELNS1_11target_archE1030ELNS1_3gpuE2ELNS1_3repE0EEENS1_38merge_mergepath_config_static_selectorELNS0_4arch9wavefront6targetE0EEEvSF_
    .private_segment_fixed_size: 0
    .sgpr_count:     0
    .sgpr_spill_count: 0
    .symbol:         _ZN7rocprim17ROCPRIM_400000_NS6detail17trampoline_kernelINS0_14default_configENS1_38merge_sort_block_merge_config_selectorIdNS0_10empty_typeEEEZZNS1_27merge_sort_block_merge_implIS3_PdPS5_jNS1_19radix_merge_compareILb1ELb0EdNS0_19identity_decomposerEEEEE10hipError_tT0_T1_T2_jT3_P12ihipStream_tbPNSt15iterator_traitsISE_E10value_typeEPNSK_ISF_E10value_typeEPSG_NS1_7vsmem_tEENKUlT_SE_SF_SG_E_clIS8_S8_S9_S9_EESD_ST_SE_SF_SG_EUlST_E0_NS1_11comp_targetILNS1_3genE8ELNS1_11target_archE1030ELNS1_3gpuE2ELNS1_3repE0EEENS1_38merge_mergepath_config_static_selectorELNS0_4arch9wavefront6targetE0EEEvSF_.kd
    .uniform_work_group_size: 1
    .uses_dynamic_stack: false
    .vgpr_count:     0
    .vgpr_spill_count: 0
    .wavefront_size: 32
  - .args:
      - .offset:         0
        .size:           48
        .value_kind:     by_value
    .group_segment_fixed_size: 0
    .kernarg_segment_align: 8
    .kernarg_segment_size: 48
    .language:       OpenCL C
    .language_version:
      - 2
      - 0
    .max_flat_workgroup_size: 256
    .name:           _ZN7rocprim17ROCPRIM_400000_NS6detail17trampoline_kernelINS0_14default_configENS1_38merge_sort_block_merge_config_selectorIdNS0_10empty_typeEEEZZNS1_27merge_sort_block_merge_implIS3_PdPS5_jNS1_19radix_merge_compareILb1ELb0EdNS0_19identity_decomposerEEEEE10hipError_tT0_T1_T2_jT3_P12ihipStream_tbPNSt15iterator_traitsISE_E10value_typeEPNSK_ISF_E10value_typeEPSG_NS1_7vsmem_tEENKUlT_SE_SF_SG_E_clIS8_S8_S9_S9_EESD_ST_SE_SF_SG_EUlST_E1_NS1_11comp_targetILNS1_3genE0ELNS1_11target_archE4294967295ELNS1_3gpuE0ELNS1_3repE0EEENS1_36merge_oddeven_config_static_selectorELNS0_4arch9wavefront6targetE0EEEvSF_
    .private_segment_fixed_size: 0
    .sgpr_count:     18
    .sgpr_spill_count: 0
    .symbol:         _ZN7rocprim17ROCPRIM_400000_NS6detail17trampoline_kernelINS0_14default_configENS1_38merge_sort_block_merge_config_selectorIdNS0_10empty_typeEEEZZNS1_27merge_sort_block_merge_implIS3_PdPS5_jNS1_19radix_merge_compareILb1ELb0EdNS0_19identity_decomposerEEEEE10hipError_tT0_T1_T2_jT3_P12ihipStream_tbPNSt15iterator_traitsISE_E10value_typeEPNSK_ISF_E10value_typeEPSG_NS1_7vsmem_tEENKUlT_SE_SF_SG_E_clIS8_S8_S9_S9_EESD_ST_SE_SF_SG_EUlST_E1_NS1_11comp_targetILNS1_3genE0ELNS1_11target_archE4294967295ELNS1_3gpuE0ELNS1_3repE0EEENS1_36merge_oddeven_config_static_selectorELNS0_4arch9wavefront6targetE0EEEvSF_.kd
    .uniform_work_group_size: 1
    .uses_dynamic_stack: false
    .vgpr_count:     12
    .vgpr_spill_count: 0
    .wavefront_size: 32
  - .args:
      - .offset:         0
        .size:           48
        .value_kind:     by_value
    .group_segment_fixed_size: 0
    .kernarg_segment_align: 8
    .kernarg_segment_size: 48
    .language:       OpenCL C
    .language_version:
      - 2
      - 0
    .max_flat_workgroup_size: 256
    .name:           _ZN7rocprim17ROCPRIM_400000_NS6detail17trampoline_kernelINS0_14default_configENS1_38merge_sort_block_merge_config_selectorIdNS0_10empty_typeEEEZZNS1_27merge_sort_block_merge_implIS3_PdPS5_jNS1_19radix_merge_compareILb1ELb0EdNS0_19identity_decomposerEEEEE10hipError_tT0_T1_T2_jT3_P12ihipStream_tbPNSt15iterator_traitsISE_E10value_typeEPNSK_ISF_E10value_typeEPSG_NS1_7vsmem_tEENKUlT_SE_SF_SG_E_clIS8_S8_S9_S9_EESD_ST_SE_SF_SG_EUlST_E1_NS1_11comp_targetILNS1_3genE10ELNS1_11target_archE1201ELNS1_3gpuE5ELNS1_3repE0EEENS1_36merge_oddeven_config_static_selectorELNS0_4arch9wavefront6targetE0EEEvSF_
    .private_segment_fixed_size: 0
    .sgpr_count:     0
    .sgpr_spill_count: 0
    .symbol:         _ZN7rocprim17ROCPRIM_400000_NS6detail17trampoline_kernelINS0_14default_configENS1_38merge_sort_block_merge_config_selectorIdNS0_10empty_typeEEEZZNS1_27merge_sort_block_merge_implIS3_PdPS5_jNS1_19radix_merge_compareILb1ELb0EdNS0_19identity_decomposerEEEEE10hipError_tT0_T1_T2_jT3_P12ihipStream_tbPNSt15iterator_traitsISE_E10value_typeEPNSK_ISF_E10value_typeEPSG_NS1_7vsmem_tEENKUlT_SE_SF_SG_E_clIS8_S8_S9_S9_EESD_ST_SE_SF_SG_EUlST_E1_NS1_11comp_targetILNS1_3genE10ELNS1_11target_archE1201ELNS1_3gpuE5ELNS1_3repE0EEENS1_36merge_oddeven_config_static_selectorELNS0_4arch9wavefront6targetE0EEEvSF_.kd
    .uniform_work_group_size: 1
    .uses_dynamic_stack: false
    .vgpr_count:     0
    .vgpr_spill_count: 0
    .wavefront_size: 32
  - .args:
      - .offset:         0
        .size:           48
        .value_kind:     by_value
    .group_segment_fixed_size: 0
    .kernarg_segment_align: 8
    .kernarg_segment_size: 48
    .language:       OpenCL C
    .language_version:
      - 2
      - 0
    .max_flat_workgroup_size: 256
    .name:           _ZN7rocprim17ROCPRIM_400000_NS6detail17trampoline_kernelINS0_14default_configENS1_38merge_sort_block_merge_config_selectorIdNS0_10empty_typeEEEZZNS1_27merge_sort_block_merge_implIS3_PdPS5_jNS1_19radix_merge_compareILb1ELb0EdNS0_19identity_decomposerEEEEE10hipError_tT0_T1_T2_jT3_P12ihipStream_tbPNSt15iterator_traitsISE_E10value_typeEPNSK_ISF_E10value_typeEPSG_NS1_7vsmem_tEENKUlT_SE_SF_SG_E_clIS8_S8_S9_S9_EESD_ST_SE_SF_SG_EUlST_E1_NS1_11comp_targetILNS1_3genE5ELNS1_11target_archE942ELNS1_3gpuE9ELNS1_3repE0EEENS1_36merge_oddeven_config_static_selectorELNS0_4arch9wavefront6targetE0EEEvSF_
    .private_segment_fixed_size: 0
    .sgpr_count:     0
    .sgpr_spill_count: 0
    .symbol:         _ZN7rocprim17ROCPRIM_400000_NS6detail17trampoline_kernelINS0_14default_configENS1_38merge_sort_block_merge_config_selectorIdNS0_10empty_typeEEEZZNS1_27merge_sort_block_merge_implIS3_PdPS5_jNS1_19radix_merge_compareILb1ELb0EdNS0_19identity_decomposerEEEEE10hipError_tT0_T1_T2_jT3_P12ihipStream_tbPNSt15iterator_traitsISE_E10value_typeEPNSK_ISF_E10value_typeEPSG_NS1_7vsmem_tEENKUlT_SE_SF_SG_E_clIS8_S8_S9_S9_EESD_ST_SE_SF_SG_EUlST_E1_NS1_11comp_targetILNS1_3genE5ELNS1_11target_archE942ELNS1_3gpuE9ELNS1_3repE0EEENS1_36merge_oddeven_config_static_selectorELNS0_4arch9wavefront6targetE0EEEvSF_.kd
    .uniform_work_group_size: 1
    .uses_dynamic_stack: false
    .vgpr_count:     0
    .vgpr_spill_count: 0
    .wavefront_size: 32
  - .args:
      - .offset:         0
        .size:           48
        .value_kind:     by_value
    .group_segment_fixed_size: 0
    .kernarg_segment_align: 8
    .kernarg_segment_size: 48
    .language:       OpenCL C
    .language_version:
      - 2
      - 0
    .max_flat_workgroup_size: 256
    .name:           _ZN7rocprim17ROCPRIM_400000_NS6detail17trampoline_kernelINS0_14default_configENS1_38merge_sort_block_merge_config_selectorIdNS0_10empty_typeEEEZZNS1_27merge_sort_block_merge_implIS3_PdPS5_jNS1_19radix_merge_compareILb1ELb0EdNS0_19identity_decomposerEEEEE10hipError_tT0_T1_T2_jT3_P12ihipStream_tbPNSt15iterator_traitsISE_E10value_typeEPNSK_ISF_E10value_typeEPSG_NS1_7vsmem_tEENKUlT_SE_SF_SG_E_clIS8_S8_S9_S9_EESD_ST_SE_SF_SG_EUlST_E1_NS1_11comp_targetILNS1_3genE4ELNS1_11target_archE910ELNS1_3gpuE8ELNS1_3repE0EEENS1_36merge_oddeven_config_static_selectorELNS0_4arch9wavefront6targetE0EEEvSF_
    .private_segment_fixed_size: 0
    .sgpr_count:     0
    .sgpr_spill_count: 0
    .symbol:         _ZN7rocprim17ROCPRIM_400000_NS6detail17trampoline_kernelINS0_14default_configENS1_38merge_sort_block_merge_config_selectorIdNS0_10empty_typeEEEZZNS1_27merge_sort_block_merge_implIS3_PdPS5_jNS1_19radix_merge_compareILb1ELb0EdNS0_19identity_decomposerEEEEE10hipError_tT0_T1_T2_jT3_P12ihipStream_tbPNSt15iterator_traitsISE_E10value_typeEPNSK_ISF_E10value_typeEPSG_NS1_7vsmem_tEENKUlT_SE_SF_SG_E_clIS8_S8_S9_S9_EESD_ST_SE_SF_SG_EUlST_E1_NS1_11comp_targetILNS1_3genE4ELNS1_11target_archE910ELNS1_3gpuE8ELNS1_3repE0EEENS1_36merge_oddeven_config_static_selectorELNS0_4arch9wavefront6targetE0EEEvSF_.kd
    .uniform_work_group_size: 1
    .uses_dynamic_stack: false
    .vgpr_count:     0
    .vgpr_spill_count: 0
    .wavefront_size: 32
  - .args:
      - .offset:         0
        .size:           48
        .value_kind:     by_value
    .group_segment_fixed_size: 0
    .kernarg_segment_align: 8
    .kernarg_segment_size: 48
    .language:       OpenCL C
    .language_version:
      - 2
      - 0
    .max_flat_workgroup_size: 256
    .name:           _ZN7rocprim17ROCPRIM_400000_NS6detail17trampoline_kernelINS0_14default_configENS1_38merge_sort_block_merge_config_selectorIdNS0_10empty_typeEEEZZNS1_27merge_sort_block_merge_implIS3_PdPS5_jNS1_19radix_merge_compareILb1ELb0EdNS0_19identity_decomposerEEEEE10hipError_tT0_T1_T2_jT3_P12ihipStream_tbPNSt15iterator_traitsISE_E10value_typeEPNSK_ISF_E10value_typeEPSG_NS1_7vsmem_tEENKUlT_SE_SF_SG_E_clIS8_S8_S9_S9_EESD_ST_SE_SF_SG_EUlST_E1_NS1_11comp_targetILNS1_3genE3ELNS1_11target_archE908ELNS1_3gpuE7ELNS1_3repE0EEENS1_36merge_oddeven_config_static_selectorELNS0_4arch9wavefront6targetE0EEEvSF_
    .private_segment_fixed_size: 0
    .sgpr_count:     0
    .sgpr_spill_count: 0
    .symbol:         _ZN7rocprim17ROCPRIM_400000_NS6detail17trampoline_kernelINS0_14default_configENS1_38merge_sort_block_merge_config_selectorIdNS0_10empty_typeEEEZZNS1_27merge_sort_block_merge_implIS3_PdPS5_jNS1_19radix_merge_compareILb1ELb0EdNS0_19identity_decomposerEEEEE10hipError_tT0_T1_T2_jT3_P12ihipStream_tbPNSt15iterator_traitsISE_E10value_typeEPNSK_ISF_E10value_typeEPSG_NS1_7vsmem_tEENKUlT_SE_SF_SG_E_clIS8_S8_S9_S9_EESD_ST_SE_SF_SG_EUlST_E1_NS1_11comp_targetILNS1_3genE3ELNS1_11target_archE908ELNS1_3gpuE7ELNS1_3repE0EEENS1_36merge_oddeven_config_static_selectorELNS0_4arch9wavefront6targetE0EEEvSF_.kd
    .uniform_work_group_size: 1
    .uses_dynamic_stack: false
    .vgpr_count:     0
    .vgpr_spill_count: 0
    .wavefront_size: 32
  - .args:
      - .offset:         0
        .size:           48
        .value_kind:     by_value
    .group_segment_fixed_size: 0
    .kernarg_segment_align: 8
    .kernarg_segment_size: 48
    .language:       OpenCL C
    .language_version:
      - 2
      - 0
    .max_flat_workgroup_size: 256
    .name:           _ZN7rocprim17ROCPRIM_400000_NS6detail17trampoline_kernelINS0_14default_configENS1_38merge_sort_block_merge_config_selectorIdNS0_10empty_typeEEEZZNS1_27merge_sort_block_merge_implIS3_PdPS5_jNS1_19radix_merge_compareILb1ELb0EdNS0_19identity_decomposerEEEEE10hipError_tT0_T1_T2_jT3_P12ihipStream_tbPNSt15iterator_traitsISE_E10value_typeEPNSK_ISF_E10value_typeEPSG_NS1_7vsmem_tEENKUlT_SE_SF_SG_E_clIS8_S8_S9_S9_EESD_ST_SE_SF_SG_EUlST_E1_NS1_11comp_targetILNS1_3genE2ELNS1_11target_archE906ELNS1_3gpuE6ELNS1_3repE0EEENS1_36merge_oddeven_config_static_selectorELNS0_4arch9wavefront6targetE0EEEvSF_
    .private_segment_fixed_size: 0
    .sgpr_count:     0
    .sgpr_spill_count: 0
    .symbol:         _ZN7rocprim17ROCPRIM_400000_NS6detail17trampoline_kernelINS0_14default_configENS1_38merge_sort_block_merge_config_selectorIdNS0_10empty_typeEEEZZNS1_27merge_sort_block_merge_implIS3_PdPS5_jNS1_19radix_merge_compareILb1ELb0EdNS0_19identity_decomposerEEEEE10hipError_tT0_T1_T2_jT3_P12ihipStream_tbPNSt15iterator_traitsISE_E10value_typeEPNSK_ISF_E10value_typeEPSG_NS1_7vsmem_tEENKUlT_SE_SF_SG_E_clIS8_S8_S9_S9_EESD_ST_SE_SF_SG_EUlST_E1_NS1_11comp_targetILNS1_3genE2ELNS1_11target_archE906ELNS1_3gpuE6ELNS1_3repE0EEENS1_36merge_oddeven_config_static_selectorELNS0_4arch9wavefront6targetE0EEEvSF_.kd
    .uniform_work_group_size: 1
    .uses_dynamic_stack: false
    .vgpr_count:     0
    .vgpr_spill_count: 0
    .wavefront_size: 32
  - .args:
      - .offset:         0
        .size:           48
        .value_kind:     by_value
    .group_segment_fixed_size: 0
    .kernarg_segment_align: 8
    .kernarg_segment_size: 48
    .language:       OpenCL C
    .language_version:
      - 2
      - 0
    .max_flat_workgroup_size: 256
    .name:           _ZN7rocprim17ROCPRIM_400000_NS6detail17trampoline_kernelINS0_14default_configENS1_38merge_sort_block_merge_config_selectorIdNS0_10empty_typeEEEZZNS1_27merge_sort_block_merge_implIS3_PdPS5_jNS1_19radix_merge_compareILb1ELb0EdNS0_19identity_decomposerEEEEE10hipError_tT0_T1_T2_jT3_P12ihipStream_tbPNSt15iterator_traitsISE_E10value_typeEPNSK_ISF_E10value_typeEPSG_NS1_7vsmem_tEENKUlT_SE_SF_SG_E_clIS8_S8_S9_S9_EESD_ST_SE_SF_SG_EUlST_E1_NS1_11comp_targetILNS1_3genE9ELNS1_11target_archE1100ELNS1_3gpuE3ELNS1_3repE0EEENS1_36merge_oddeven_config_static_selectorELNS0_4arch9wavefront6targetE0EEEvSF_
    .private_segment_fixed_size: 0
    .sgpr_count:     0
    .sgpr_spill_count: 0
    .symbol:         _ZN7rocprim17ROCPRIM_400000_NS6detail17trampoline_kernelINS0_14default_configENS1_38merge_sort_block_merge_config_selectorIdNS0_10empty_typeEEEZZNS1_27merge_sort_block_merge_implIS3_PdPS5_jNS1_19radix_merge_compareILb1ELb0EdNS0_19identity_decomposerEEEEE10hipError_tT0_T1_T2_jT3_P12ihipStream_tbPNSt15iterator_traitsISE_E10value_typeEPNSK_ISF_E10value_typeEPSG_NS1_7vsmem_tEENKUlT_SE_SF_SG_E_clIS8_S8_S9_S9_EESD_ST_SE_SF_SG_EUlST_E1_NS1_11comp_targetILNS1_3genE9ELNS1_11target_archE1100ELNS1_3gpuE3ELNS1_3repE0EEENS1_36merge_oddeven_config_static_selectorELNS0_4arch9wavefront6targetE0EEEvSF_.kd
    .uniform_work_group_size: 1
    .uses_dynamic_stack: false
    .vgpr_count:     0
    .vgpr_spill_count: 0
    .wavefront_size: 32
  - .args:
      - .offset:         0
        .size:           48
        .value_kind:     by_value
    .group_segment_fixed_size: 0
    .kernarg_segment_align: 8
    .kernarg_segment_size: 48
    .language:       OpenCL C
    .language_version:
      - 2
      - 0
    .max_flat_workgroup_size: 256
    .name:           _ZN7rocprim17ROCPRIM_400000_NS6detail17trampoline_kernelINS0_14default_configENS1_38merge_sort_block_merge_config_selectorIdNS0_10empty_typeEEEZZNS1_27merge_sort_block_merge_implIS3_PdPS5_jNS1_19radix_merge_compareILb1ELb0EdNS0_19identity_decomposerEEEEE10hipError_tT0_T1_T2_jT3_P12ihipStream_tbPNSt15iterator_traitsISE_E10value_typeEPNSK_ISF_E10value_typeEPSG_NS1_7vsmem_tEENKUlT_SE_SF_SG_E_clIS8_S8_S9_S9_EESD_ST_SE_SF_SG_EUlST_E1_NS1_11comp_targetILNS1_3genE8ELNS1_11target_archE1030ELNS1_3gpuE2ELNS1_3repE0EEENS1_36merge_oddeven_config_static_selectorELNS0_4arch9wavefront6targetE0EEEvSF_
    .private_segment_fixed_size: 0
    .sgpr_count:     0
    .sgpr_spill_count: 0
    .symbol:         _ZN7rocprim17ROCPRIM_400000_NS6detail17trampoline_kernelINS0_14default_configENS1_38merge_sort_block_merge_config_selectorIdNS0_10empty_typeEEEZZNS1_27merge_sort_block_merge_implIS3_PdPS5_jNS1_19radix_merge_compareILb1ELb0EdNS0_19identity_decomposerEEEEE10hipError_tT0_T1_T2_jT3_P12ihipStream_tbPNSt15iterator_traitsISE_E10value_typeEPNSK_ISF_E10value_typeEPSG_NS1_7vsmem_tEENKUlT_SE_SF_SG_E_clIS8_S8_S9_S9_EESD_ST_SE_SF_SG_EUlST_E1_NS1_11comp_targetILNS1_3genE8ELNS1_11target_archE1030ELNS1_3gpuE2ELNS1_3repE0EEENS1_36merge_oddeven_config_static_selectorELNS0_4arch9wavefront6targetE0EEEvSF_.kd
    .uniform_work_group_size: 1
    .uses_dynamic_stack: false
    .vgpr_count:     0
    .vgpr_spill_count: 0
    .wavefront_size: 32
  - .args:
      - .offset:         0
        .size:           40
        .value_kind:     by_value
      - .offset:         40
        .size:           4
        .value_kind:     hidden_block_count_x
      - .offset:         44
        .size:           4
        .value_kind:     hidden_block_count_y
      - .offset:         48
        .size:           4
        .value_kind:     hidden_block_count_z
      - .offset:         52
        .size:           2
        .value_kind:     hidden_group_size_x
      - .offset:         54
        .size:           2
        .value_kind:     hidden_group_size_y
      - .offset:         56
        .size:           2
        .value_kind:     hidden_group_size_z
      - .offset:         58
        .size:           2
        .value_kind:     hidden_remainder_x
      - .offset:         60
        .size:           2
        .value_kind:     hidden_remainder_y
      - .offset:         62
        .size:           2
        .value_kind:     hidden_remainder_z
      - .offset:         80
        .size:           8
        .value_kind:     hidden_global_offset_x
      - .offset:         88
        .size:           8
        .value_kind:     hidden_global_offset_y
      - .offset:         96
        .size:           8
        .value_kind:     hidden_global_offset_z
      - .offset:         104
        .size:           2
        .value_kind:     hidden_grid_dims
    .group_segment_fixed_size: 0
    .kernarg_segment_align: 8
    .kernarg_segment_size: 296
    .language:       OpenCL C
    .language_version:
      - 2
      - 0
    .max_flat_workgroup_size: 128
    .name:           _ZN7rocprim17ROCPRIM_400000_NS6detail17trampoline_kernelINS0_14default_configENS1_25transform_config_selectorIdLb1EEEZNS1_14transform_implILb1ES3_S5_PdS7_NS0_8identityIdEEEE10hipError_tT2_T3_mT4_P12ihipStream_tbEUlT_E_NS1_11comp_targetILNS1_3genE0ELNS1_11target_archE4294967295ELNS1_3gpuE0ELNS1_3repE0EEENS1_30default_config_static_selectorELNS0_4arch9wavefront6targetE0EEEvT1_
    .private_segment_fixed_size: 0
    .sgpr_count:     12
    .sgpr_spill_count: 0
    .symbol:         _ZN7rocprim17ROCPRIM_400000_NS6detail17trampoline_kernelINS0_14default_configENS1_25transform_config_selectorIdLb1EEEZNS1_14transform_implILb1ES3_S5_PdS7_NS0_8identityIdEEEE10hipError_tT2_T3_mT4_P12ihipStream_tbEUlT_E_NS1_11comp_targetILNS1_3genE0ELNS1_11target_archE4294967295ELNS1_3gpuE0ELNS1_3repE0EEENS1_30default_config_static_selectorELNS0_4arch9wavefront6targetE0EEEvT1_.kd
    .uniform_work_group_size: 1
    .uses_dynamic_stack: false
    .vgpr_count:     4
    .vgpr_spill_count: 0
    .wavefront_size: 32
  - .args:
      - .offset:         0
        .size:           40
        .value_kind:     by_value
    .group_segment_fixed_size: 0
    .kernarg_segment_align: 8
    .kernarg_segment_size: 40
    .language:       OpenCL C
    .language_version:
      - 2
      - 0
    .max_flat_workgroup_size: 1024
    .name:           _ZN7rocprim17ROCPRIM_400000_NS6detail17trampoline_kernelINS0_14default_configENS1_25transform_config_selectorIdLb1EEEZNS1_14transform_implILb1ES3_S5_PdS7_NS0_8identityIdEEEE10hipError_tT2_T3_mT4_P12ihipStream_tbEUlT_E_NS1_11comp_targetILNS1_3genE10ELNS1_11target_archE1201ELNS1_3gpuE5ELNS1_3repE0EEENS1_30default_config_static_selectorELNS0_4arch9wavefront6targetE0EEEvT1_
    .private_segment_fixed_size: 0
    .sgpr_count:     0
    .sgpr_spill_count: 0
    .symbol:         _ZN7rocprim17ROCPRIM_400000_NS6detail17trampoline_kernelINS0_14default_configENS1_25transform_config_selectorIdLb1EEEZNS1_14transform_implILb1ES3_S5_PdS7_NS0_8identityIdEEEE10hipError_tT2_T3_mT4_P12ihipStream_tbEUlT_E_NS1_11comp_targetILNS1_3genE10ELNS1_11target_archE1201ELNS1_3gpuE5ELNS1_3repE0EEENS1_30default_config_static_selectorELNS0_4arch9wavefront6targetE0EEEvT1_.kd
    .uniform_work_group_size: 1
    .uses_dynamic_stack: false
    .vgpr_count:     0
    .vgpr_spill_count: 0
    .wavefront_size: 32
  - .args:
      - .offset:         0
        .size:           40
        .value_kind:     by_value
    .group_segment_fixed_size: 0
    .kernarg_segment_align: 8
    .kernarg_segment_size: 40
    .language:       OpenCL C
    .language_version:
      - 2
      - 0
    .max_flat_workgroup_size: 1024
    .name:           _ZN7rocprim17ROCPRIM_400000_NS6detail17trampoline_kernelINS0_14default_configENS1_25transform_config_selectorIdLb1EEEZNS1_14transform_implILb1ES3_S5_PdS7_NS0_8identityIdEEEE10hipError_tT2_T3_mT4_P12ihipStream_tbEUlT_E_NS1_11comp_targetILNS1_3genE5ELNS1_11target_archE942ELNS1_3gpuE9ELNS1_3repE0EEENS1_30default_config_static_selectorELNS0_4arch9wavefront6targetE0EEEvT1_
    .private_segment_fixed_size: 0
    .sgpr_count:     0
    .sgpr_spill_count: 0
    .symbol:         _ZN7rocprim17ROCPRIM_400000_NS6detail17trampoline_kernelINS0_14default_configENS1_25transform_config_selectorIdLb1EEEZNS1_14transform_implILb1ES3_S5_PdS7_NS0_8identityIdEEEE10hipError_tT2_T3_mT4_P12ihipStream_tbEUlT_E_NS1_11comp_targetILNS1_3genE5ELNS1_11target_archE942ELNS1_3gpuE9ELNS1_3repE0EEENS1_30default_config_static_selectorELNS0_4arch9wavefront6targetE0EEEvT1_.kd
    .uniform_work_group_size: 1
    .uses_dynamic_stack: false
    .vgpr_count:     0
    .vgpr_spill_count: 0
    .wavefront_size: 32
  - .args:
      - .offset:         0
        .size:           40
        .value_kind:     by_value
    .group_segment_fixed_size: 0
    .kernarg_segment_align: 8
    .kernarg_segment_size: 40
    .language:       OpenCL C
    .language_version:
      - 2
      - 0
    .max_flat_workgroup_size: 1024
    .name:           _ZN7rocprim17ROCPRIM_400000_NS6detail17trampoline_kernelINS0_14default_configENS1_25transform_config_selectorIdLb1EEEZNS1_14transform_implILb1ES3_S5_PdS7_NS0_8identityIdEEEE10hipError_tT2_T3_mT4_P12ihipStream_tbEUlT_E_NS1_11comp_targetILNS1_3genE4ELNS1_11target_archE910ELNS1_3gpuE8ELNS1_3repE0EEENS1_30default_config_static_selectorELNS0_4arch9wavefront6targetE0EEEvT1_
    .private_segment_fixed_size: 0
    .sgpr_count:     0
    .sgpr_spill_count: 0
    .symbol:         _ZN7rocprim17ROCPRIM_400000_NS6detail17trampoline_kernelINS0_14default_configENS1_25transform_config_selectorIdLb1EEEZNS1_14transform_implILb1ES3_S5_PdS7_NS0_8identityIdEEEE10hipError_tT2_T3_mT4_P12ihipStream_tbEUlT_E_NS1_11comp_targetILNS1_3genE4ELNS1_11target_archE910ELNS1_3gpuE8ELNS1_3repE0EEENS1_30default_config_static_selectorELNS0_4arch9wavefront6targetE0EEEvT1_.kd
    .uniform_work_group_size: 1
    .uses_dynamic_stack: false
    .vgpr_count:     0
    .vgpr_spill_count: 0
    .wavefront_size: 32
  - .args:
      - .offset:         0
        .size:           40
        .value_kind:     by_value
    .group_segment_fixed_size: 0
    .kernarg_segment_align: 8
    .kernarg_segment_size: 40
    .language:       OpenCL C
    .language_version:
      - 2
      - 0
    .max_flat_workgroup_size: 128
    .name:           _ZN7rocprim17ROCPRIM_400000_NS6detail17trampoline_kernelINS0_14default_configENS1_25transform_config_selectorIdLb1EEEZNS1_14transform_implILb1ES3_S5_PdS7_NS0_8identityIdEEEE10hipError_tT2_T3_mT4_P12ihipStream_tbEUlT_E_NS1_11comp_targetILNS1_3genE3ELNS1_11target_archE908ELNS1_3gpuE7ELNS1_3repE0EEENS1_30default_config_static_selectorELNS0_4arch9wavefront6targetE0EEEvT1_
    .private_segment_fixed_size: 0
    .sgpr_count:     0
    .sgpr_spill_count: 0
    .symbol:         _ZN7rocprim17ROCPRIM_400000_NS6detail17trampoline_kernelINS0_14default_configENS1_25transform_config_selectorIdLb1EEEZNS1_14transform_implILb1ES3_S5_PdS7_NS0_8identityIdEEEE10hipError_tT2_T3_mT4_P12ihipStream_tbEUlT_E_NS1_11comp_targetILNS1_3genE3ELNS1_11target_archE908ELNS1_3gpuE7ELNS1_3repE0EEENS1_30default_config_static_selectorELNS0_4arch9wavefront6targetE0EEEvT1_.kd
    .uniform_work_group_size: 1
    .uses_dynamic_stack: false
    .vgpr_count:     0
    .vgpr_spill_count: 0
    .wavefront_size: 32
  - .args:
      - .offset:         0
        .size:           40
        .value_kind:     by_value
    .group_segment_fixed_size: 0
    .kernarg_segment_align: 8
    .kernarg_segment_size: 40
    .language:       OpenCL C
    .language_version:
      - 2
      - 0
    .max_flat_workgroup_size: 1024
    .name:           _ZN7rocprim17ROCPRIM_400000_NS6detail17trampoline_kernelINS0_14default_configENS1_25transform_config_selectorIdLb1EEEZNS1_14transform_implILb1ES3_S5_PdS7_NS0_8identityIdEEEE10hipError_tT2_T3_mT4_P12ihipStream_tbEUlT_E_NS1_11comp_targetILNS1_3genE2ELNS1_11target_archE906ELNS1_3gpuE6ELNS1_3repE0EEENS1_30default_config_static_selectorELNS0_4arch9wavefront6targetE0EEEvT1_
    .private_segment_fixed_size: 0
    .sgpr_count:     0
    .sgpr_spill_count: 0
    .symbol:         _ZN7rocprim17ROCPRIM_400000_NS6detail17trampoline_kernelINS0_14default_configENS1_25transform_config_selectorIdLb1EEEZNS1_14transform_implILb1ES3_S5_PdS7_NS0_8identityIdEEEE10hipError_tT2_T3_mT4_P12ihipStream_tbEUlT_E_NS1_11comp_targetILNS1_3genE2ELNS1_11target_archE906ELNS1_3gpuE6ELNS1_3repE0EEENS1_30default_config_static_selectorELNS0_4arch9wavefront6targetE0EEEvT1_.kd
    .uniform_work_group_size: 1
    .uses_dynamic_stack: false
    .vgpr_count:     0
    .vgpr_spill_count: 0
    .wavefront_size: 32
  - .args:
      - .offset:         0
        .size:           40
        .value_kind:     by_value
    .group_segment_fixed_size: 0
    .kernarg_segment_align: 8
    .kernarg_segment_size: 40
    .language:       OpenCL C
    .language_version:
      - 2
      - 0
    .max_flat_workgroup_size: 1024
    .name:           _ZN7rocprim17ROCPRIM_400000_NS6detail17trampoline_kernelINS0_14default_configENS1_25transform_config_selectorIdLb1EEEZNS1_14transform_implILb1ES3_S5_PdS7_NS0_8identityIdEEEE10hipError_tT2_T3_mT4_P12ihipStream_tbEUlT_E_NS1_11comp_targetILNS1_3genE9ELNS1_11target_archE1100ELNS1_3gpuE3ELNS1_3repE0EEENS1_30default_config_static_selectorELNS0_4arch9wavefront6targetE0EEEvT1_
    .private_segment_fixed_size: 0
    .sgpr_count:     0
    .sgpr_spill_count: 0
    .symbol:         _ZN7rocprim17ROCPRIM_400000_NS6detail17trampoline_kernelINS0_14default_configENS1_25transform_config_selectorIdLb1EEEZNS1_14transform_implILb1ES3_S5_PdS7_NS0_8identityIdEEEE10hipError_tT2_T3_mT4_P12ihipStream_tbEUlT_E_NS1_11comp_targetILNS1_3genE9ELNS1_11target_archE1100ELNS1_3gpuE3ELNS1_3repE0EEENS1_30default_config_static_selectorELNS0_4arch9wavefront6targetE0EEEvT1_.kd
    .uniform_work_group_size: 1
    .uses_dynamic_stack: false
    .vgpr_count:     0
    .vgpr_spill_count: 0
    .wavefront_size: 32
  - .args:
      - .offset:         0
        .size:           40
        .value_kind:     by_value
    .group_segment_fixed_size: 0
    .kernarg_segment_align: 8
    .kernarg_segment_size: 40
    .language:       OpenCL C
    .language_version:
      - 2
      - 0
    .max_flat_workgroup_size: 1024
    .name:           _ZN7rocprim17ROCPRIM_400000_NS6detail17trampoline_kernelINS0_14default_configENS1_25transform_config_selectorIdLb1EEEZNS1_14transform_implILb1ES3_S5_PdS7_NS0_8identityIdEEEE10hipError_tT2_T3_mT4_P12ihipStream_tbEUlT_E_NS1_11comp_targetILNS1_3genE8ELNS1_11target_archE1030ELNS1_3gpuE2ELNS1_3repE0EEENS1_30default_config_static_selectorELNS0_4arch9wavefront6targetE0EEEvT1_
    .private_segment_fixed_size: 0
    .sgpr_count:     0
    .sgpr_spill_count: 0
    .symbol:         _ZN7rocprim17ROCPRIM_400000_NS6detail17trampoline_kernelINS0_14default_configENS1_25transform_config_selectorIdLb1EEEZNS1_14transform_implILb1ES3_S5_PdS7_NS0_8identityIdEEEE10hipError_tT2_T3_mT4_P12ihipStream_tbEUlT_E_NS1_11comp_targetILNS1_3genE8ELNS1_11target_archE1030ELNS1_3gpuE2ELNS1_3repE0EEENS1_30default_config_static_selectorELNS0_4arch9wavefront6targetE0EEEvT1_.kd
    .uniform_work_group_size: 1
    .uses_dynamic_stack: false
    .vgpr_count:     0
    .vgpr_spill_count: 0
    .wavefront_size: 32
  - .args:
      - .offset:         0
        .size:           48
        .value_kind:     by_value
    .group_segment_fixed_size: 32768
    .kernarg_segment_align: 8
    .kernarg_segment_size: 48
    .language:       OpenCL C
    .language_version:
      - 2
      - 0
    .max_flat_workgroup_size: 512
    .name:           _ZN7rocprim17ROCPRIM_400000_NS6detail17trampoline_kernelINS0_14default_configENS1_35radix_sort_onesweep_config_selectorIdNS0_10empty_typeEEEZNS1_34radix_sort_onesweep_global_offsetsIS3_Lb1EPKdPS5_mNS0_19identity_decomposerEEE10hipError_tT1_T2_PT3_SF_jT4_jjP12ihipStream_tbEUlT_E_NS1_11comp_targetILNS1_3genE0ELNS1_11target_archE4294967295ELNS1_3gpuE0ELNS1_3repE0EEENS1_52radix_sort_onesweep_histogram_config_static_selectorELNS0_4arch9wavefront6targetE0EEEvSD_
    .private_segment_fixed_size: 0
    .sgpr_count:     18
    .sgpr_spill_count: 0
    .symbol:         _ZN7rocprim17ROCPRIM_400000_NS6detail17trampoline_kernelINS0_14default_configENS1_35radix_sort_onesweep_config_selectorIdNS0_10empty_typeEEEZNS1_34radix_sort_onesweep_global_offsetsIS3_Lb1EPKdPS5_mNS0_19identity_decomposerEEE10hipError_tT1_T2_PT3_SF_jT4_jjP12ihipStream_tbEUlT_E_NS1_11comp_targetILNS1_3genE0ELNS1_11target_archE4294967295ELNS1_3gpuE0ELNS1_3repE0EEENS1_52radix_sort_onesweep_histogram_config_static_selectorELNS0_4arch9wavefront6targetE0EEEvSD_.kd
    .uniform_work_group_size: 1
    .uses_dynamic_stack: false
    .vgpr_count:     30
    .vgpr_spill_count: 0
    .wavefront_size: 32
  - .args:
      - .offset:         0
        .size:           48
        .value_kind:     by_value
    .group_segment_fixed_size: 0
    .kernarg_segment_align: 8
    .kernarg_segment_size: 48
    .language:       OpenCL C
    .language_version:
      - 2
      - 0
    .max_flat_workgroup_size: 512
    .name:           _ZN7rocprim17ROCPRIM_400000_NS6detail17trampoline_kernelINS0_14default_configENS1_35radix_sort_onesweep_config_selectorIdNS0_10empty_typeEEEZNS1_34radix_sort_onesweep_global_offsetsIS3_Lb1EPKdPS5_mNS0_19identity_decomposerEEE10hipError_tT1_T2_PT3_SF_jT4_jjP12ihipStream_tbEUlT_E_NS1_11comp_targetILNS1_3genE6ELNS1_11target_archE950ELNS1_3gpuE13ELNS1_3repE0EEENS1_52radix_sort_onesweep_histogram_config_static_selectorELNS0_4arch9wavefront6targetE0EEEvSD_
    .private_segment_fixed_size: 0
    .sgpr_count:     0
    .sgpr_spill_count: 0
    .symbol:         _ZN7rocprim17ROCPRIM_400000_NS6detail17trampoline_kernelINS0_14default_configENS1_35radix_sort_onesweep_config_selectorIdNS0_10empty_typeEEEZNS1_34radix_sort_onesweep_global_offsetsIS3_Lb1EPKdPS5_mNS0_19identity_decomposerEEE10hipError_tT1_T2_PT3_SF_jT4_jjP12ihipStream_tbEUlT_E_NS1_11comp_targetILNS1_3genE6ELNS1_11target_archE950ELNS1_3gpuE13ELNS1_3repE0EEENS1_52radix_sort_onesweep_histogram_config_static_selectorELNS0_4arch9wavefront6targetE0EEEvSD_.kd
    .uniform_work_group_size: 1
    .uses_dynamic_stack: false
    .vgpr_count:     0
    .vgpr_spill_count: 0
    .wavefront_size: 32
  - .args:
      - .offset:         0
        .size:           48
        .value_kind:     by_value
    .group_segment_fixed_size: 0
    .kernarg_segment_align: 8
    .kernarg_segment_size: 48
    .language:       OpenCL C
    .language_version:
      - 2
      - 0
    .max_flat_workgroup_size: 512
    .name:           _ZN7rocprim17ROCPRIM_400000_NS6detail17trampoline_kernelINS0_14default_configENS1_35radix_sort_onesweep_config_selectorIdNS0_10empty_typeEEEZNS1_34radix_sort_onesweep_global_offsetsIS3_Lb1EPKdPS5_mNS0_19identity_decomposerEEE10hipError_tT1_T2_PT3_SF_jT4_jjP12ihipStream_tbEUlT_E_NS1_11comp_targetILNS1_3genE5ELNS1_11target_archE942ELNS1_3gpuE9ELNS1_3repE0EEENS1_52radix_sort_onesweep_histogram_config_static_selectorELNS0_4arch9wavefront6targetE0EEEvSD_
    .private_segment_fixed_size: 0
    .sgpr_count:     0
    .sgpr_spill_count: 0
    .symbol:         _ZN7rocprim17ROCPRIM_400000_NS6detail17trampoline_kernelINS0_14default_configENS1_35radix_sort_onesweep_config_selectorIdNS0_10empty_typeEEEZNS1_34radix_sort_onesweep_global_offsetsIS3_Lb1EPKdPS5_mNS0_19identity_decomposerEEE10hipError_tT1_T2_PT3_SF_jT4_jjP12ihipStream_tbEUlT_E_NS1_11comp_targetILNS1_3genE5ELNS1_11target_archE942ELNS1_3gpuE9ELNS1_3repE0EEENS1_52radix_sort_onesweep_histogram_config_static_selectorELNS0_4arch9wavefront6targetE0EEEvSD_.kd
    .uniform_work_group_size: 1
    .uses_dynamic_stack: false
    .vgpr_count:     0
    .vgpr_spill_count: 0
    .wavefront_size: 32
  - .args:
      - .offset:         0
        .size:           48
        .value_kind:     by_value
    .group_segment_fixed_size: 0
    .kernarg_segment_align: 8
    .kernarg_segment_size: 48
    .language:       OpenCL C
    .language_version:
      - 2
      - 0
    .max_flat_workgroup_size: 512
    .name:           _ZN7rocprim17ROCPRIM_400000_NS6detail17trampoline_kernelINS0_14default_configENS1_35radix_sort_onesweep_config_selectorIdNS0_10empty_typeEEEZNS1_34radix_sort_onesweep_global_offsetsIS3_Lb1EPKdPS5_mNS0_19identity_decomposerEEE10hipError_tT1_T2_PT3_SF_jT4_jjP12ihipStream_tbEUlT_E_NS1_11comp_targetILNS1_3genE2ELNS1_11target_archE906ELNS1_3gpuE6ELNS1_3repE0EEENS1_52radix_sort_onesweep_histogram_config_static_selectorELNS0_4arch9wavefront6targetE0EEEvSD_
    .private_segment_fixed_size: 0
    .sgpr_count:     0
    .sgpr_spill_count: 0
    .symbol:         _ZN7rocprim17ROCPRIM_400000_NS6detail17trampoline_kernelINS0_14default_configENS1_35radix_sort_onesweep_config_selectorIdNS0_10empty_typeEEEZNS1_34radix_sort_onesweep_global_offsetsIS3_Lb1EPKdPS5_mNS0_19identity_decomposerEEE10hipError_tT1_T2_PT3_SF_jT4_jjP12ihipStream_tbEUlT_E_NS1_11comp_targetILNS1_3genE2ELNS1_11target_archE906ELNS1_3gpuE6ELNS1_3repE0EEENS1_52radix_sort_onesweep_histogram_config_static_selectorELNS0_4arch9wavefront6targetE0EEEvSD_.kd
    .uniform_work_group_size: 1
    .uses_dynamic_stack: false
    .vgpr_count:     0
    .vgpr_spill_count: 0
    .wavefront_size: 32
  - .args:
      - .offset:         0
        .size:           48
        .value_kind:     by_value
    .group_segment_fixed_size: 0
    .kernarg_segment_align: 8
    .kernarg_segment_size: 48
    .language:       OpenCL C
    .language_version:
      - 2
      - 0
    .max_flat_workgroup_size: 1024
    .name:           _ZN7rocprim17ROCPRIM_400000_NS6detail17trampoline_kernelINS0_14default_configENS1_35radix_sort_onesweep_config_selectorIdNS0_10empty_typeEEEZNS1_34radix_sort_onesweep_global_offsetsIS3_Lb1EPKdPS5_mNS0_19identity_decomposerEEE10hipError_tT1_T2_PT3_SF_jT4_jjP12ihipStream_tbEUlT_E_NS1_11comp_targetILNS1_3genE4ELNS1_11target_archE910ELNS1_3gpuE8ELNS1_3repE0EEENS1_52radix_sort_onesweep_histogram_config_static_selectorELNS0_4arch9wavefront6targetE0EEEvSD_
    .private_segment_fixed_size: 0
    .sgpr_count:     0
    .sgpr_spill_count: 0
    .symbol:         _ZN7rocprim17ROCPRIM_400000_NS6detail17trampoline_kernelINS0_14default_configENS1_35radix_sort_onesweep_config_selectorIdNS0_10empty_typeEEEZNS1_34radix_sort_onesweep_global_offsetsIS3_Lb1EPKdPS5_mNS0_19identity_decomposerEEE10hipError_tT1_T2_PT3_SF_jT4_jjP12ihipStream_tbEUlT_E_NS1_11comp_targetILNS1_3genE4ELNS1_11target_archE910ELNS1_3gpuE8ELNS1_3repE0EEENS1_52radix_sort_onesweep_histogram_config_static_selectorELNS0_4arch9wavefront6targetE0EEEvSD_.kd
    .uniform_work_group_size: 1
    .uses_dynamic_stack: false
    .vgpr_count:     0
    .vgpr_spill_count: 0
    .wavefront_size: 32
  - .args:
      - .offset:         0
        .size:           48
        .value_kind:     by_value
    .group_segment_fixed_size: 0
    .kernarg_segment_align: 8
    .kernarg_segment_size: 48
    .language:       OpenCL C
    .language_version:
      - 2
      - 0
    .max_flat_workgroup_size: 512
    .name:           _ZN7rocprim17ROCPRIM_400000_NS6detail17trampoline_kernelINS0_14default_configENS1_35radix_sort_onesweep_config_selectorIdNS0_10empty_typeEEEZNS1_34radix_sort_onesweep_global_offsetsIS3_Lb1EPKdPS5_mNS0_19identity_decomposerEEE10hipError_tT1_T2_PT3_SF_jT4_jjP12ihipStream_tbEUlT_E_NS1_11comp_targetILNS1_3genE3ELNS1_11target_archE908ELNS1_3gpuE7ELNS1_3repE0EEENS1_52radix_sort_onesweep_histogram_config_static_selectorELNS0_4arch9wavefront6targetE0EEEvSD_
    .private_segment_fixed_size: 0
    .sgpr_count:     0
    .sgpr_spill_count: 0
    .symbol:         _ZN7rocprim17ROCPRIM_400000_NS6detail17trampoline_kernelINS0_14default_configENS1_35radix_sort_onesweep_config_selectorIdNS0_10empty_typeEEEZNS1_34radix_sort_onesweep_global_offsetsIS3_Lb1EPKdPS5_mNS0_19identity_decomposerEEE10hipError_tT1_T2_PT3_SF_jT4_jjP12ihipStream_tbEUlT_E_NS1_11comp_targetILNS1_3genE3ELNS1_11target_archE908ELNS1_3gpuE7ELNS1_3repE0EEENS1_52radix_sort_onesweep_histogram_config_static_selectorELNS0_4arch9wavefront6targetE0EEEvSD_.kd
    .uniform_work_group_size: 1
    .uses_dynamic_stack: false
    .vgpr_count:     0
    .vgpr_spill_count: 0
    .wavefront_size: 32
  - .args:
      - .offset:         0
        .size:           48
        .value_kind:     by_value
    .group_segment_fixed_size: 0
    .kernarg_segment_align: 8
    .kernarg_segment_size: 48
    .language:       OpenCL C
    .language_version:
      - 2
      - 0
    .max_flat_workgroup_size: 512
    .name:           _ZN7rocprim17ROCPRIM_400000_NS6detail17trampoline_kernelINS0_14default_configENS1_35radix_sort_onesweep_config_selectorIdNS0_10empty_typeEEEZNS1_34radix_sort_onesweep_global_offsetsIS3_Lb1EPKdPS5_mNS0_19identity_decomposerEEE10hipError_tT1_T2_PT3_SF_jT4_jjP12ihipStream_tbEUlT_E_NS1_11comp_targetILNS1_3genE10ELNS1_11target_archE1201ELNS1_3gpuE5ELNS1_3repE0EEENS1_52radix_sort_onesweep_histogram_config_static_selectorELNS0_4arch9wavefront6targetE0EEEvSD_
    .private_segment_fixed_size: 0
    .sgpr_count:     0
    .sgpr_spill_count: 0
    .symbol:         _ZN7rocprim17ROCPRIM_400000_NS6detail17trampoline_kernelINS0_14default_configENS1_35radix_sort_onesweep_config_selectorIdNS0_10empty_typeEEEZNS1_34radix_sort_onesweep_global_offsetsIS3_Lb1EPKdPS5_mNS0_19identity_decomposerEEE10hipError_tT1_T2_PT3_SF_jT4_jjP12ihipStream_tbEUlT_E_NS1_11comp_targetILNS1_3genE10ELNS1_11target_archE1201ELNS1_3gpuE5ELNS1_3repE0EEENS1_52radix_sort_onesweep_histogram_config_static_selectorELNS0_4arch9wavefront6targetE0EEEvSD_.kd
    .uniform_work_group_size: 1
    .uses_dynamic_stack: false
    .vgpr_count:     0
    .vgpr_spill_count: 0
    .wavefront_size: 32
  - .args:
      - .offset:         0
        .size:           48
        .value_kind:     by_value
    .group_segment_fixed_size: 0
    .kernarg_segment_align: 8
    .kernarg_segment_size: 48
    .language:       OpenCL C
    .language_version:
      - 2
      - 0
    .max_flat_workgroup_size: 1024
    .name:           _ZN7rocprim17ROCPRIM_400000_NS6detail17trampoline_kernelINS0_14default_configENS1_35radix_sort_onesweep_config_selectorIdNS0_10empty_typeEEEZNS1_34radix_sort_onesweep_global_offsetsIS3_Lb1EPKdPS5_mNS0_19identity_decomposerEEE10hipError_tT1_T2_PT3_SF_jT4_jjP12ihipStream_tbEUlT_E_NS1_11comp_targetILNS1_3genE9ELNS1_11target_archE1100ELNS1_3gpuE3ELNS1_3repE0EEENS1_52radix_sort_onesweep_histogram_config_static_selectorELNS0_4arch9wavefront6targetE0EEEvSD_
    .private_segment_fixed_size: 0
    .sgpr_count:     0
    .sgpr_spill_count: 0
    .symbol:         _ZN7rocprim17ROCPRIM_400000_NS6detail17trampoline_kernelINS0_14default_configENS1_35radix_sort_onesweep_config_selectorIdNS0_10empty_typeEEEZNS1_34radix_sort_onesweep_global_offsetsIS3_Lb1EPKdPS5_mNS0_19identity_decomposerEEE10hipError_tT1_T2_PT3_SF_jT4_jjP12ihipStream_tbEUlT_E_NS1_11comp_targetILNS1_3genE9ELNS1_11target_archE1100ELNS1_3gpuE3ELNS1_3repE0EEENS1_52radix_sort_onesweep_histogram_config_static_selectorELNS0_4arch9wavefront6targetE0EEEvSD_.kd
    .uniform_work_group_size: 1
    .uses_dynamic_stack: false
    .vgpr_count:     0
    .vgpr_spill_count: 0
    .wavefront_size: 32
  - .args:
      - .offset:         0
        .size:           48
        .value_kind:     by_value
    .group_segment_fixed_size: 0
    .kernarg_segment_align: 8
    .kernarg_segment_size: 48
    .language:       OpenCL C
    .language_version:
      - 2
      - 0
    .max_flat_workgroup_size: 1024
    .name:           _ZN7rocprim17ROCPRIM_400000_NS6detail17trampoline_kernelINS0_14default_configENS1_35radix_sort_onesweep_config_selectorIdNS0_10empty_typeEEEZNS1_34radix_sort_onesweep_global_offsetsIS3_Lb1EPKdPS5_mNS0_19identity_decomposerEEE10hipError_tT1_T2_PT3_SF_jT4_jjP12ihipStream_tbEUlT_E_NS1_11comp_targetILNS1_3genE8ELNS1_11target_archE1030ELNS1_3gpuE2ELNS1_3repE0EEENS1_52radix_sort_onesweep_histogram_config_static_selectorELNS0_4arch9wavefront6targetE0EEEvSD_
    .private_segment_fixed_size: 0
    .sgpr_count:     0
    .sgpr_spill_count: 0
    .symbol:         _ZN7rocprim17ROCPRIM_400000_NS6detail17trampoline_kernelINS0_14default_configENS1_35radix_sort_onesweep_config_selectorIdNS0_10empty_typeEEEZNS1_34radix_sort_onesweep_global_offsetsIS3_Lb1EPKdPS5_mNS0_19identity_decomposerEEE10hipError_tT1_T2_PT3_SF_jT4_jjP12ihipStream_tbEUlT_E_NS1_11comp_targetILNS1_3genE8ELNS1_11target_archE1030ELNS1_3gpuE2ELNS1_3repE0EEENS1_52radix_sort_onesweep_histogram_config_static_selectorELNS0_4arch9wavefront6targetE0EEEvSD_.kd
    .uniform_work_group_size: 1
    .uses_dynamic_stack: false
    .vgpr_count:     0
    .vgpr_spill_count: 0
    .wavefront_size: 32
  - .args:
      - .address_space:  global
        .offset:         0
        .size:           8
        .value_kind:     global_buffer
    .group_segment_fixed_size: 128
    .kernarg_segment_align: 8
    .kernarg_segment_size: 8
    .language:       OpenCL C
    .language_version:
      - 2
      - 0
    .max_flat_workgroup_size: 512
    .name:           _ZN7rocprim17ROCPRIM_400000_NS6detail17trampoline_kernelINS0_14default_configENS1_35radix_sort_onesweep_config_selectorIdNS0_10empty_typeEEEZNS1_34radix_sort_onesweep_global_offsetsIS3_Lb1EPKdPS5_mNS0_19identity_decomposerEEE10hipError_tT1_T2_PT3_SF_jT4_jjP12ihipStream_tbEUlT_E0_NS1_11comp_targetILNS1_3genE0ELNS1_11target_archE4294967295ELNS1_3gpuE0ELNS1_3repE0EEENS1_52radix_sort_onesweep_histogram_config_static_selectorELNS0_4arch9wavefront6targetE0EEEvSD_
    .private_segment_fixed_size: 0
    .sgpr_count:     10
    .sgpr_spill_count: 0
    .symbol:         _ZN7rocprim17ROCPRIM_400000_NS6detail17trampoline_kernelINS0_14default_configENS1_35radix_sort_onesweep_config_selectorIdNS0_10empty_typeEEEZNS1_34radix_sort_onesweep_global_offsetsIS3_Lb1EPKdPS5_mNS0_19identity_decomposerEEE10hipError_tT1_T2_PT3_SF_jT4_jjP12ihipStream_tbEUlT_E0_NS1_11comp_targetILNS1_3genE0ELNS1_11target_archE4294967295ELNS1_3gpuE0ELNS1_3repE0EEENS1_52radix_sort_onesweep_histogram_config_static_selectorELNS0_4arch9wavefront6targetE0EEEvSD_.kd
    .uniform_work_group_size: 1
    .uses_dynamic_stack: false
    .vgpr_count:     14
    .vgpr_spill_count: 0
    .wavefront_size: 32
  - .args:
      - .address_space:  global
        .offset:         0
        .size:           8
        .value_kind:     global_buffer
    .group_segment_fixed_size: 0
    .kernarg_segment_align: 8
    .kernarg_segment_size: 8
    .language:       OpenCL C
    .language_version:
      - 2
      - 0
    .max_flat_workgroup_size: 512
    .name:           _ZN7rocprim17ROCPRIM_400000_NS6detail17trampoline_kernelINS0_14default_configENS1_35radix_sort_onesweep_config_selectorIdNS0_10empty_typeEEEZNS1_34radix_sort_onesweep_global_offsetsIS3_Lb1EPKdPS5_mNS0_19identity_decomposerEEE10hipError_tT1_T2_PT3_SF_jT4_jjP12ihipStream_tbEUlT_E0_NS1_11comp_targetILNS1_3genE6ELNS1_11target_archE950ELNS1_3gpuE13ELNS1_3repE0EEENS1_52radix_sort_onesweep_histogram_config_static_selectorELNS0_4arch9wavefront6targetE0EEEvSD_
    .private_segment_fixed_size: 0
    .sgpr_count:     0
    .sgpr_spill_count: 0
    .symbol:         _ZN7rocprim17ROCPRIM_400000_NS6detail17trampoline_kernelINS0_14default_configENS1_35radix_sort_onesweep_config_selectorIdNS0_10empty_typeEEEZNS1_34radix_sort_onesweep_global_offsetsIS3_Lb1EPKdPS5_mNS0_19identity_decomposerEEE10hipError_tT1_T2_PT3_SF_jT4_jjP12ihipStream_tbEUlT_E0_NS1_11comp_targetILNS1_3genE6ELNS1_11target_archE950ELNS1_3gpuE13ELNS1_3repE0EEENS1_52radix_sort_onesweep_histogram_config_static_selectorELNS0_4arch9wavefront6targetE0EEEvSD_.kd
    .uniform_work_group_size: 1
    .uses_dynamic_stack: false
    .vgpr_count:     0
    .vgpr_spill_count: 0
    .wavefront_size: 32
  - .args:
      - .address_space:  global
        .offset:         0
        .size:           8
        .value_kind:     global_buffer
    .group_segment_fixed_size: 0
    .kernarg_segment_align: 8
    .kernarg_segment_size: 8
    .language:       OpenCL C
    .language_version:
      - 2
      - 0
    .max_flat_workgroup_size: 512
    .name:           _ZN7rocprim17ROCPRIM_400000_NS6detail17trampoline_kernelINS0_14default_configENS1_35radix_sort_onesweep_config_selectorIdNS0_10empty_typeEEEZNS1_34radix_sort_onesweep_global_offsetsIS3_Lb1EPKdPS5_mNS0_19identity_decomposerEEE10hipError_tT1_T2_PT3_SF_jT4_jjP12ihipStream_tbEUlT_E0_NS1_11comp_targetILNS1_3genE5ELNS1_11target_archE942ELNS1_3gpuE9ELNS1_3repE0EEENS1_52radix_sort_onesweep_histogram_config_static_selectorELNS0_4arch9wavefront6targetE0EEEvSD_
    .private_segment_fixed_size: 0
    .sgpr_count:     0
    .sgpr_spill_count: 0
    .symbol:         _ZN7rocprim17ROCPRIM_400000_NS6detail17trampoline_kernelINS0_14default_configENS1_35radix_sort_onesweep_config_selectorIdNS0_10empty_typeEEEZNS1_34radix_sort_onesweep_global_offsetsIS3_Lb1EPKdPS5_mNS0_19identity_decomposerEEE10hipError_tT1_T2_PT3_SF_jT4_jjP12ihipStream_tbEUlT_E0_NS1_11comp_targetILNS1_3genE5ELNS1_11target_archE942ELNS1_3gpuE9ELNS1_3repE0EEENS1_52radix_sort_onesweep_histogram_config_static_selectorELNS0_4arch9wavefront6targetE0EEEvSD_.kd
    .uniform_work_group_size: 1
    .uses_dynamic_stack: false
    .vgpr_count:     0
    .vgpr_spill_count: 0
    .wavefront_size: 32
  - .args:
      - .address_space:  global
        .offset:         0
        .size:           8
        .value_kind:     global_buffer
    .group_segment_fixed_size: 0
    .kernarg_segment_align: 8
    .kernarg_segment_size: 8
    .language:       OpenCL C
    .language_version:
      - 2
      - 0
    .max_flat_workgroup_size: 512
    .name:           _ZN7rocprim17ROCPRIM_400000_NS6detail17trampoline_kernelINS0_14default_configENS1_35radix_sort_onesweep_config_selectorIdNS0_10empty_typeEEEZNS1_34radix_sort_onesweep_global_offsetsIS3_Lb1EPKdPS5_mNS0_19identity_decomposerEEE10hipError_tT1_T2_PT3_SF_jT4_jjP12ihipStream_tbEUlT_E0_NS1_11comp_targetILNS1_3genE2ELNS1_11target_archE906ELNS1_3gpuE6ELNS1_3repE0EEENS1_52radix_sort_onesweep_histogram_config_static_selectorELNS0_4arch9wavefront6targetE0EEEvSD_
    .private_segment_fixed_size: 0
    .sgpr_count:     0
    .sgpr_spill_count: 0
    .symbol:         _ZN7rocprim17ROCPRIM_400000_NS6detail17trampoline_kernelINS0_14default_configENS1_35radix_sort_onesweep_config_selectorIdNS0_10empty_typeEEEZNS1_34radix_sort_onesweep_global_offsetsIS3_Lb1EPKdPS5_mNS0_19identity_decomposerEEE10hipError_tT1_T2_PT3_SF_jT4_jjP12ihipStream_tbEUlT_E0_NS1_11comp_targetILNS1_3genE2ELNS1_11target_archE906ELNS1_3gpuE6ELNS1_3repE0EEENS1_52radix_sort_onesweep_histogram_config_static_selectorELNS0_4arch9wavefront6targetE0EEEvSD_.kd
    .uniform_work_group_size: 1
    .uses_dynamic_stack: false
    .vgpr_count:     0
    .vgpr_spill_count: 0
    .wavefront_size: 32
  - .args:
      - .address_space:  global
        .offset:         0
        .size:           8
        .value_kind:     global_buffer
    .group_segment_fixed_size: 0
    .kernarg_segment_align: 8
    .kernarg_segment_size: 8
    .language:       OpenCL C
    .language_version:
      - 2
      - 0
    .max_flat_workgroup_size: 1024
    .name:           _ZN7rocprim17ROCPRIM_400000_NS6detail17trampoline_kernelINS0_14default_configENS1_35radix_sort_onesweep_config_selectorIdNS0_10empty_typeEEEZNS1_34radix_sort_onesweep_global_offsetsIS3_Lb1EPKdPS5_mNS0_19identity_decomposerEEE10hipError_tT1_T2_PT3_SF_jT4_jjP12ihipStream_tbEUlT_E0_NS1_11comp_targetILNS1_3genE4ELNS1_11target_archE910ELNS1_3gpuE8ELNS1_3repE0EEENS1_52radix_sort_onesweep_histogram_config_static_selectorELNS0_4arch9wavefront6targetE0EEEvSD_
    .private_segment_fixed_size: 0
    .sgpr_count:     0
    .sgpr_spill_count: 0
    .symbol:         _ZN7rocprim17ROCPRIM_400000_NS6detail17trampoline_kernelINS0_14default_configENS1_35radix_sort_onesweep_config_selectorIdNS0_10empty_typeEEEZNS1_34radix_sort_onesweep_global_offsetsIS3_Lb1EPKdPS5_mNS0_19identity_decomposerEEE10hipError_tT1_T2_PT3_SF_jT4_jjP12ihipStream_tbEUlT_E0_NS1_11comp_targetILNS1_3genE4ELNS1_11target_archE910ELNS1_3gpuE8ELNS1_3repE0EEENS1_52radix_sort_onesweep_histogram_config_static_selectorELNS0_4arch9wavefront6targetE0EEEvSD_.kd
    .uniform_work_group_size: 1
    .uses_dynamic_stack: false
    .vgpr_count:     0
    .vgpr_spill_count: 0
    .wavefront_size: 32
  - .args:
      - .address_space:  global
        .offset:         0
        .size:           8
        .value_kind:     global_buffer
    .group_segment_fixed_size: 0
    .kernarg_segment_align: 8
    .kernarg_segment_size: 8
    .language:       OpenCL C
    .language_version:
      - 2
      - 0
    .max_flat_workgroup_size: 512
    .name:           _ZN7rocprim17ROCPRIM_400000_NS6detail17trampoline_kernelINS0_14default_configENS1_35radix_sort_onesweep_config_selectorIdNS0_10empty_typeEEEZNS1_34radix_sort_onesweep_global_offsetsIS3_Lb1EPKdPS5_mNS0_19identity_decomposerEEE10hipError_tT1_T2_PT3_SF_jT4_jjP12ihipStream_tbEUlT_E0_NS1_11comp_targetILNS1_3genE3ELNS1_11target_archE908ELNS1_3gpuE7ELNS1_3repE0EEENS1_52radix_sort_onesweep_histogram_config_static_selectorELNS0_4arch9wavefront6targetE0EEEvSD_
    .private_segment_fixed_size: 0
    .sgpr_count:     0
    .sgpr_spill_count: 0
    .symbol:         _ZN7rocprim17ROCPRIM_400000_NS6detail17trampoline_kernelINS0_14default_configENS1_35radix_sort_onesweep_config_selectorIdNS0_10empty_typeEEEZNS1_34radix_sort_onesweep_global_offsetsIS3_Lb1EPKdPS5_mNS0_19identity_decomposerEEE10hipError_tT1_T2_PT3_SF_jT4_jjP12ihipStream_tbEUlT_E0_NS1_11comp_targetILNS1_3genE3ELNS1_11target_archE908ELNS1_3gpuE7ELNS1_3repE0EEENS1_52radix_sort_onesweep_histogram_config_static_selectorELNS0_4arch9wavefront6targetE0EEEvSD_.kd
    .uniform_work_group_size: 1
    .uses_dynamic_stack: false
    .vgpr_count:     0
    .vgpr_spill_count: 0
    .wavefront_size: 32
  - .args:
      - .address_space:  global
        .offset:         0
        .size:           8
        .value_kind:     global_buffer
    .group_segment_fixed_size: 0
    .kernarg_segment_align: 8
    .kernarg_segment_size: 8
    .language:       OpenCL C
    .language_version:
      - 2
      - 0
    .max_flat_workgroup_size: 512
    .name:           _ZN7rocprim17ROCPRIM_400000_NS6detail17trampoline_kernelINS0_14default_configENS1_35radix_sort_onesweep_config_selectorIdNS0_10empty_typeEEEZNS1_34radix_sort_onesweep_global_offsetsIS3_Lb1EPKdPS5_mNS0_19identity_decomposerEEE10hipError_tT1_T2_PT3_SF_jT4_jjP12ihipStream_tbEUlT_E0_NS1_11comp_targetILNS1_3genE10ELNS1_11target_archE1201ELNS1_3gpuE5ELNS1_3repE0EEENS1_52radix_sort_onesweep_histogram_config_static_selectorELNS0_4arch9wavefront6targetE0EEEvSD_
    .private_segment_fixed_size: 0
    .sgpr_count:     0
    .sgpr_spill_count: 0
    .symbol:         _ZN7rocprim17ROCPRIM_400000_NS6detail17trampoline_kernelINS0_14default_configENS1_35radix_sort_onesweep_config_selectorIdNS0_10empty_typeEEEZNS1_34radix_sort_onesweep_global_offsetsIS3_Lb1EPKdPS5_mNS0_19identity_decomposerEEE10hipError_tT1_T2_PT3_SF_jT4_jjP12ihipStream_tbEUlT_E0_NS1_11comp_targetILNS1_3genE10ELNS1_11target_archE1201ELNS1_3gpuE5ELNS1_3repE0EEENS1_52radix_sort_onesweep_histogram_config_static_selectorELNS0_4arch9wavefront6targetE0EEEvSD_.kd
    .uniform_work_group_size: 1
    .uses_dynamic_stack: false
    .vgpr_count:     0
    .vgpr_spill_count: 0
    .wavefront_size: 32
  - .args:
      - .address_space:  global
        .offset:         0
        .size:           8
        .value_kind:     global_buffer
    .group_segment_fixed_size: 0
    .kernarg_segment_align: 8
    .kernarg_segment_size: 8
    .language:       OpenCL C
    .language_version:
      - 2
      - 0
    .max_flat_workgroup_size: 1024
    .name:           _ZN7rocprim17ROCPRIM_400000_NS6detail17trampoline_kernelINS0_14default_configENS1_35radix_sort_onesweep_config_selectorIdNS0_10empty_typeEEEZNS1_34radix_sort_onesweep_global_offsetsIS3_Lb1EPKdPS5_mNS0_19identity_decomposerEEE10hipError_tT1_T2_PT3_SF_jT4_jjP12ihipStream_tbEUlT_E0_NS1_11comp_targetILNS1_3genE9ELNS1_11target_archE1100ELNS1_3gpuE3ELNS1_3repE0EEENS1_52radix_sort_onesweep_histogram_config_static_selectorELNS0_4arch9wavefront6targetE0EEEvSD_
    .private_segment_fixed_size: 0
    .sgpr_count:     0
    .sgpr_spill_count: 0
    .symbol:         _ZN7rocprim17ROCPRIM_400000_NS6detail17trampoline_kernelINS0_14default_configENS1_35radix_sort_onesweep_config_selectorIdNS0_10empty_typeEEEZNS1_34radix_sort_onesweep_global_offsetsIS3_Lb1EPKdPS5_mNS0_19identity_decomposerEEE10hipError_tT1_T2_PT3_SF_jT4_jjP12ihipStream_tbEUlT_E0_NS1_11comp_targetILNS1_3genE9ELNS1_11target_archE1100ELNS1_3gpuE3ELNS1_3repE0EEENS1_52radix_sort_onesweep_histogram_config_static_selectorELNS0_4arch9wavefront6targetE0EEEvSD_.kd
    .uniform_work_group_size: 1
    .uses_dynamic_stack: false
    .vgpr_count:     0
    .vgpr_spill_count: 0
    .wavefront_size: 32
  - .args:
      - .address_space:  global
        .offset:         0
        .size:           8
        .value_kind:     global_buffer
    .group_segment_fixed_size: 0
    .kernarg_segment_align: 8
    .kernarg_segment_size: 8
    .language:       OpenCL C
    .language_version:
      - 2
      - 0
    .max_flat_workgroup_size: 1024
    .name:           _ZN7rocprim17ROCPRIM_400000_NS6detail17trampoline_kernelINS0_14default_configENS1_35radix_sort_onesweep_config_selectorIdNS0_10empty_typeEEEZNS1_34radix_sort_onesweep_global_offsetsIS3_Lb1EPKdPS5_mNS0_19identity_decomposerEEE10hipError_tT1_T2_PT3_SF_jT4_jjP12ihipStream_tbEUlT_E0_NS1_11comp_targetILNS1_3genE8ELNS1_11target_archE1030ELNS1_3gpuE2ELNS1_3repE0EEENS1_52radix_sort_onesweep_histogram_config_static_selectorELNS0_4arch9wavefront6targetE0EEEvSD_
    .private_segment_fixed_size: 0
    .sgpr_count:     0
    .sgpr_spill_count: 0
    .symbol:         _ZN7rocprim17ROCPRIM_400000_NS6detail17trampoline_kernelINS0_14default_configENS1_35radix_sort_onesweep_config_selectorIdNS0_10empty_typeEEEZNS1_34radix_sort_onesweep_global_offsetsIS3_Lb1EPKdPS5_mNS0_19identity_decomposerEEE10hipError_tT1_T2_PT3_SF_jT4_jjP12ihipStream_tbEUlT_E0_NS1_11comp_targetILNS1_3genE8ELNS1_11target_archE1030ELNS1_3gpuE2ELNS1_3repE0EEENS1_52radix_sort_onesweep_histogram_config_static_selectorELNS0_4arch9wavefront6targetE0EEEvSD_.kd
    .uniform_work_group_size: 1
    .uses_dynamic_stack: false
    .vgpr_count:     0
    .vgpr_spill_count: 0
    .wavefront_size: 32
  - .args:
      - .offset:         0
        .size:           40
        .value_kind:     by_value
      - .offset:         40
        .size:           4
        .value_kind:     hidden_block_count_x
      - .offset:         44
        .size:           4
        .value_kind:     hidden_block_count_y
      - .offset:         48
        .size:           4
        .value_kind:     hidden_block_count_z
      - .offset:         52
        .size:           2
        .value_kind:     hidden_group_size_x
      - .offset:         54
        .size:           2
        .value_kind:     hidden_group_size_y
      - .offset:         56
        .size:           2
        .value_kind:     hidden_group_size_z
      - .offset:         58
        .size:           2
        .value_kind:     hidden_remainder_x
      - .offset:         60
        .size:           2
        .value_kind:     hidden_remainder_y
      - .offset:         62
        .size:           2
        .value_kind:     hidden_remainder_z
      - .offset:         80
        .size:           8
        .value_kind:     hidden_global_offset_x
      - .offset:         88
        .size:           8
        .value_kind:     hidden_global_offset_y
      - .offset:         96
        .size:           8
        .value_kind:     hidden_global_offset_z
      - .offset:         104
        .size:           2
        .value_kind:     hidden_grid_dims
    .group_segment_fixed_size: 0
    .kernarg_segment_align: 8
    .kernarg_segment_size: 296
    .language:       OpenCL C
    .language_version:
      - 2
      - 0
    .max_flat_workgroup_size: 128
    .name:           _ZN7rocprim17ROCPRIM_400000_NS6detail17trampoline_kernelINS0_14default_configENS1_25transform_config_selectorIdLb1EEEZNS1_14transform_implILb1ES3_S5_PKdPdNS0_8identityIdEEEE10hipError_tT2_T3_mT4_P12ihipStream_tbEUlT_E_NS1_11comp_targetILNS1_3genE0ELNS1_11target_archE4294967295ELNS1_3gpuE0ELNS1_3repE0EEENS1_30default_config_static_selectorELNS0_4arch9wavefront6targetE0EEEvT1_
    .private_segment_fixed_size: 0
    .sgpr_count:     12
    .sgpr_spill_count: 0
    .symbol:         _ZN7rocprim17ROCPRIM_400000_NS6detail17trampoline_kernelINS0_14default_configENS1_25transform_config_selectorIdLb1EEEZNS1_14transform_implILb1ES3_S5_PKdPdNS0_8identityIdEEEE10hipError_tT2_T3_mT4_P12ihipStream_tbEUlT_E_NS1_11comp_targetILNS1_3genE0ELNS1_11target_archE4294967295ELNS1_3gpuE0ELNS1_3repE0EEENS1_30default_config_static_selectorELNS0_4arch9wavefront6targetE0EEEvT1_.kd
    .uniform_work_group_size: 1
    .uses_dynamic_stack: false
    .vgpr_count:     4
    .vgpr_spill_count: 0
    .wavefront_size: 32
  - .args:
      - .offset:         0
        .size:           40
        .value_kind:     by_value
    .group_segment_fixed_size: 0
    .kernarg_segment_align: 8
    .kernarg_segment_size: 40
    .language:       OpenCL C
    .language_version:
      - 2
      - 0
    .max_flat_workgroup_size: 1024
    .name:           _ZN7rocprim17ROCPRIM_400000_NS6detail17trampoline_kernelINS0_14default_configENS1_25transform_config_selectorIdLb1EEEZNS1_14transform_implILb1ES3_S5_PKdPdNS0_8identityIdEEEE10hipError_tT2_T3_mT4_P12ihipStream_tbEUlT_E_NS1_11comp_targetILNS1_3genE10ELNS1_11target_archE1201ELNS1_3gpuE5ELNS1_3repE0EEENS1_30default_config_static_selectorELNS0_4arch9wavefront6targetE0EEEvT1_
    .private_segment_fixed_size: 0
    .sgpr_count:     0
    .sgpr_spill_count: 0
    .symbol:         _ZN7rocprim17ROCPRIM_400000_NS6detail17trampoline_kernelINS0_14default_configENS1_25transform_config_selectorIdLb1EEEZNS1_14transform_implILb1ES3_S5_PKdPdNS0_8identityIdEEEE10hipError_tT2_T3_mT4_P12ihipStream_tbEUlT_E_NS1_11comp_targetILNS1_3genE10ELNS1_11target_archE1201ELNS1_3gpuE5ELNS1_3repE0EEENS1_30default_config_static_selectorELNS0_4arch9wavefront6targetE0EEEvT1_.kd
    .uniform_work_group_size: 1
    .uses_dynamic_stack: false
    .vgpr_count:     0
    .vgpr_spill_count: 0
    .wavefront_size: 32
  - .args:
      - .offset:         0
        .size:           40
        .value_kind:     by_value
    .group_segment_fixed_size: 0
    .kernarg_segment_align: 8
    .kernarg_segment_size: 40
    .language:       OpenCL C
    .language_version:
      - 2
      - 0
    .max_flat_workgroup_size: 1024
    .name:           _ZN7rocprim17ROCPRIM_400000_NS6detail17trampoline_kernelINS0_14default_configENS1_25transform_config_selectorIdLb1EEEZNS1_14transform_implILb1ES3_S5_PKdPdNS0_8identityIdEEEE10hipError_tT2_T3_mT4_P12ihipStream_tbEUlT_E_NS1_11comp_targetILNS1_3genE5ELNS1_11target_archE942ELNS1_3gpuE9ELNS1_3repE0EEENS1_30default_config_static_selectorELNS0_4arch9wavefront6targetE0EEEvT1_
    .private_segment_fixed_size: 0
    .sgpr_count:     0
    .sgpr_spill_count: 0
    .symbol:         _ZN7rocprim17ROCPRIM_400000_NS6detail17trampoline_kernelINS0_14default_configENS1_25transform_config_selectorIdLb1EEEZNS1_14transform_implILb1ES3_S5_PKdPdNS0_8identityIdEEEE10hipError_tT2_T3_mT4_P12ihipStream_tbEUlT_E_NS1_11comp_targetILNS1_3genE5ELNS1_11target_archE942ELNS1_3gpuE9ELNS1_3repE0EEENS1_30default_config_static_selectorELNS0_4arch9wavefront6targetE0EEEvT1_.kd
    .uniform_work_group_size: 1
    .uses_dynamic_stack: false
    .vgpr_count:     0
    .vgpr_spill_count: 0
    .wavefront_size: 32
  - .args:
      - .offset:         0
        .size:           40
        .value_kind:     by_value
    .group_segment_fixed_size: 0
    .kernarg_segment_align: 8
    .kernarg_segment_size: 40
    .language:       OpenCL C
    .language_version:
      - 2
      - 0
    .max_flat_workgroup_size: 1024
    .name:           _ZN7rocprim17ROCPRIM_400000_NS6detail17trampoline_kernelINS0_14default_configENS1_25transform_config_selectorIdLb1EEEZNS1_14transform_implILb1ES3_S5_PKdPdNS0_8identityIdEEEE10hipError_tT2_T3_mT4_P12ihipStream_tbEUlT_E_NS1_11comp_targetILNS1_3genE4ELNS1_11target_archE910ELNS1_3gpuE8ELNS1_3repE0EEENS1_30default_config_static_selectorELNS0_4arch9wavefront6targetE0EEEvT1_
    .private_segment_fixed_size: 0
    .sgpr_count:     0
    .sgpr_spill_count: 0
    .symbol:         _ZN7rocprim17ROCPRIM_400000_NS6detail17trampoline_kernelINS0_14default_configENS1_25transform_config_selectorIdLb1EEEZNS1_14transform_implILb1ES3_S5_PKdPdNS0_8identityIdEEEE10hipError_tT2_T3_mT4_P12ihipStream_tbEUlT_E_NS1_11comp_targetILNS1_3genE4ELNS1_11target_archE910ELNS1_3gpuE8ELNS1_3repE0EEENS1_30default_config_static_selectorELNS0_4arch9wavefront6targetE0EEEvT1_.kd
    .uniform_work_group_size: 1
    .uses_dynamic_stack: false
    .vgpr_count:     0
    .vgpr_spill_count: 0
    .wavefront_size: 32
  - .args:
      - .offset:         0
        .size:           40
        .value_kind:     by_value
    .group_segment_fixed_size: 0
    .kernarg_segment_align: 8
    .kernarg_segment_size: 40
    .language:       OpenCL C
    .language_version:
      - 2
      - 0
    .max_flat_workgroup_size: 128
    .name:           _ZN7rocprim17ROCPRIM_400000_NS6detail17trampoline_kernelINS0_14default_configENS1_25transform_config_selectorIdLb1EEEZNS1_14transform_implILb1ES3_S5_PKdPdNS0_8identityIdEEEE10hipError_tT2_T3_mT4_P12ihipStream_tbEUlT_E_NS1_11comp_targetILNS1_3genE3ELNS1_11target_archE908ELNS1_3gpuE7ELNS1_3repE0EEENS1_30default_config_static_selectorELNS0_4arch9wavefront6targetE0EEEvT1_
    .private_segment_fixed_size: 0
    .sgpr_count:     0
    .sgpr_spill_count: 0
    .symbol:         _ZN7rocprim17ROCPRIM_400000_NS6detail17trampoline_kernelINS0_14default_configENS1_25transform_config_selectorIdLb1EEEZNS1_14transform_implILb1ES3_S5_PKdPdNS0_8identityIdEEEE10hipError_tT2_T3_mT4_P12ihipStream_tbEUlT_E_NS1_11comp_targetILNS1_3genE3ELNS1_11target_archE908ELNS1_3gpuE7ELNS1_3repE0EEENS1_30default_config_static_selectorELNS0_4arch9wavefront6targetE0EEEvT1_.kd
    .uniform_work_group_size: 1
    .uses_dynamic_stack: false
    .vgpr_count:     0
    .vgpr_spill_count: 0
    .wavefront_size: 32
  - .args:
      - .offset:         0
        .size:           40
        .value_kind:     by_value
    .group_segment_fixed_size: 0
    .kernarg_segment_align: 8
    .kernarg_segment_size: 40
    .language:       OpenCL C
    .language_version:
      - 2
      - 0
    .max_flat_workgroup_size: 1024
    .name:           _ZN7rocprim17ROCPRIM_400000_NS6detail17trampoline_kernelINS0_14default_configENS1_25transform_config_selectorIdLb1EEEZNS1_14transform_implILb1ES3_S5_PKdPdNS0_8identityIdEEEE10hipError_tT2_T3_mT4_P12ihipStream_tbEUlT_E_NS1_11comp_targetILNS1_3genE2ELNS1_11target_archE906ELNS1_3gpuE6ELNS1_3repE0EEENS1_30default_config_static_selectorELNS0_4arch9wavefront6targetE0EEEvT1_
    .private_segment_fixed_size: 0
    .sgpr_count:     0
    .sgpr_spill_count: 0
    .symbol:         _ZN7rocprim17ROCPRIM_400000_NS6detail17trampoline_kernelINS0_14default_configENS1_25transform_config_selectorIdLb1EEEZNS1_14transform_implILb1ES3_S5_PKdPdNS0_8identityIdEEEE10hipError_tT2_T3_mT4_P12ihipStream_tbEUlT_E_NS1_11comp_targetILNS1_3genE2ELNS1_11target_archE906ELNS1_3gpuE6ELNS1_3repE0EEENS1_30default_config_static_selectorELNS0_4arch9wavefront6targetE0EEEvT1_.kd
    .uniform_work_group_size: 1
    .uses_dynamic_stack: false
    .vgpr_count:     0
    .vgpr_spill_count: 0
    .wavefront_size: 32
  - .args:
      - .offset:         0
        .size:           40
        .value_kind:     by_value
    .group_segment_fixed_size: 0
    .kernarg_segment_align: 8
    .kernarg_segment_size: 40
    .language:       OpenCL C
    .language_version:
      - 2
      - 0
    .max_flat_workgroup_size: 1024
    .name:           _ZN7rocprim17ROCPRIM_400000_NS6detail17trampoline_kernelINS0_14default_configENS1_25transform_config_selectorIdLb1EEEZNS1_14transform_implILb1ES3_S5_PKdPdNS0_8identityIdEEEE10hipError_tT2_T3_mT4_P12ihipStream_tbEUlT_E_NS1_11comp_targetILNS1_3genE9ELNS1_11target_archE1100ELNS1_3gpuE3ELNS1_3repE0EEENS1_30default_config_static_selectorELNS0_4arch9wavefront6targetE0EEEvT1_
    .private_segment_fixed_size: 0
    .sgpr_count:     0
    .sgpr_spill_count: 0
    .symbol:         _ZN7rocprim17ROCPRIM_400000_NS6detail17trampoline_kernelINS0_14default_configENS1_25transform_config_selectorIdLb1EEEZNS1_14transform_implILb1ES3_S5_PKdPdNS0_8identityIdEEEE10hipError_tT2_T3_mT4_P12ihipStream_tbEUlT_E_NS1_11comp_targetILNS1_3genE9ELNS1_11target_archE1100ELNS1_3gpuE3ELNS1_3repE0EEENS1_30default_config_static_selectorELNS0_4arch9wavefront6targetE0EEEvT1_.kd
    .uniform_work_group_size: 1
    .uses_dynamic_stack: false
    .vgpr_count:     0
    .vgpr_spill_count: 0
    .wavefront_size: 32
  - .args:
      - .offset:         0
        .size:           40
        .value_kind:     by_value
    .group_segment_fixed_size: 0
    .kernarg_segment_align: 8
    .kernarg_segment_size: 40
    .language:       OpenCL C
    .language_version:
      - 2
      - 0
    .max_flat_workgroup_size: 1024
    .name:           _ZN7rocprim17ROCPRIM_400000_NS6detail17trampoline_kernelINS0_14default_configENS1_25transform_config_selectorIdLb1EEEZNS1_14transform_implILb1ES3_S5_PKdPdNS0_8identityIdEEEE10hipError_tT2_T3_mT4_P12ihipStream_tbEUlT_E_NS1_11comp_targetILNS1_3genE8ELNS1_11target_archE1030ELNS1_3gpuE2ELNS1_3repE0EEENS1_30default_config_static_selectorELNS0_4arch9wavefront6targetE0EEEvT1_
    .private_segment_fixed_size: 0
    .sgpr_count:     0
    .sgpr_spill_count: 0
    .symbol:         _ZN7rocprim17ROCPRIM_400000_NS6detail17trampoline_kernelINS0_14default_configENS1_25transform_config_selectorIdLb1EEEZNS1_14transform_implILb1ES3_S5_PKdPdNS0_8identityIdEEEE10hipError_tT2_T3_mT4_P12ihipStream_tbEUlT_E_NS1_11comp_targetILNS1_3genE8ELNS1_11target_archE1030ELNS1_3gpuE2ELNS1_3repE0EEENS1_30default_config_static_selectorELNS0_4arch9wavefront6targetE0EEEvT1_.kd
    .uniform_work_group_size: 1
    .uses_dynamic_stack: false
    .vgpr_count:     0
    .vgpr_spill_count: 0
    .wavefront_size: 32
  - .args:
      - .offset:         0
        .size:           88
        .value_kind:     by_value
      - .offset:         88
        .size:           4
        .value_kind:     hidden_block_count_x
      - .offset:         92
        .size:           4
        .value_kind:     hidden_block_count_y
      - .offset:         96
        .size:           4
        .value_kind:     hidden_block_count_z
      - .offset:         100
        .size:           2
        .value_kind:     hidden_group_size_x
      - .offset:         102
        .size:           2
        .value_kind:     hidden_group_size_y
      - .offset:         104
        .size:           2
        .value_kind:     hidden_group_size_z
      - .offset:         106
        .size:           2
        .value_kind:     hidden_remainder_x
      - .offset:         108
        .size:           2
        .value_kind:     hidden_remainder_y
      - .offset:         110
        .size:           2
        .value_kind:     hidden_remainder_z
      - .offset:         128
        .size:           8
        .value_kind:     hidden_global_offset_x
      - .offset:         136
        .size:           8
        .value_kind:     hidden_global_offset_y
      - .offset:         144
        .size:           8
        .value_kind:     hidden_global_offset_z
      - .offset:         152
        .size:           2
        .value_kind:     hidden_grid_dims
    .group_segment_fixed_size: 18504
    .kernarg_segment_align: 8
    .kernarg_segment_size: 344
    .language:       OpenCL C
    .language_version:
      - 2
      - 0
    .max_flat_workgroup_size: 512
    .name:           _ZN7rocprim17ROCPRIM_400000_NS6detail17trampoline_kernelINS0_14default_configENS1_35radix_sort_onesweep_config_selectorIdNS0_10empty_typeEEEZZNS1_29radix_sort_onesweep_iterationIS3_Lb1EPKdPdPS5_SB_mNS0_19identity_decomposerENS1_16block_id_wrapperIjLb1EEEEE10hipError_tT1_PNSt15iterator_traitsISG_E10value_typeET2_T3_PNSH_ISM_E10value_typeET4_T5_PSR_SS_PNS1_23onesweep_lookback_stateEbbT6_jjT7_P12ihipStream_tbENKUlT_T0_SG_SL_E_clIS9_SA_SB_SB_EEDaSZ_S10_SG_SL_EUlSZ_E_NS1_11comp_targetILNS1_3genE0ELNS1_11target_archE4294967295ELNS1_3gpuE0ELNS1_3repE0EEENS1_47radix_sort_onesweep_sort_config_static_selectorELNS0_4arch9wavefront6targetE0EEEvSG_
    .private_segment_fixed_size: 0
    .sgpr_count:     33
    .sgpr_spill_count: 0
    .symbol:         _ZN7rocprim17ROCPRIM_400000_NS6detail17trampoline_kernelINS0_14default_configENS1_35radix_sort_onesweep_config_selectorIdNS0_10empty_typeEEEZZNS1_29radix_sort_onesweep_iterationIS3_Lb1EPKdPdPS5_SB_mNS0_19identity_decomposerENS1_16block_id_wrapperIjLb1EEEEE10hipError_tT1_PNSt15iterator_traitsISG_E10value_typeET2_T3_PNSH_ISM_E10value_typeET4_T5_PSR_SS_PNS1_23onesweep_lookback_stateEbbT6_jjT7_P12ihipStream_tbENKUlT_T0_SG_SL_E_clIS9_SA_SB_SB_EEDaSZ_S10_SG_SL_EUlSZ_E_NS1_11comp_targetILNS1_3genE0ELNS1_11target_archE4294967295ELNS1_3gpuE0ELNS1_3repE0EEENS1_47radix_sort_onesweep_sort_config_static_selectorELNS0_4arch9wavefront6targetE0EEEvSG_.kd
    .uniform_work_group_size: 1
    .uses_dynamic_stack: false
    .vgpr_count:     57
    .vgpr_spill_count: 0
    .wavefront_size: 32
  - .args:
      - .offset:         0
        .size:           88
        .value_kind:     by_value
    .group_segment_fixed_size: 0
    .kernarg_segment_align: 8
    .kernarg_segment_size: 88
    .language:       OpenCL C
    .language_version:
      - 2
      - 0
    .max_flat_workgroup_size: 512
    .name:           _ZN7rocprim17ROCPRIM_400000_NS6detail17trampoline_kernelINS0_14default_configENS1_35radix_sort_onesweep_config_selectorIdNS0_10empty_typeEEEZZNS1_29radix_sort_onesweep_iterationIS3_Lb1EPKdPdPS5_SB_mNS0_19identity_decomposerENS1_16block_id_wrapperIjLb1EEEEE10hipError_tT1_PNSt15iterator_traitsISG_E10value_typeET2_T3_PNSH_ISM_E10value_typeET4_T5_PSR_SS_PNS1_23onesweep_lookback_stateEbbT6_jjT7_P12ihipStream_tbENKUlT_T0_SG_SL_E_clIS9_SA_SB_SB_EEDaSZ_S10_SG_SL_EUlSZ_E_NS1_11comp_targetILNS1_3genE6ELNS1_11target_archE950ELNS1_3gpuE13ELNS1_3repE0EEENS1_47radix_sort_onesweep_sort_config_static_selectorELNS0_4arch9wavefront6targetE0EEEvSG_
    .private_segment_fixed_size: 0
    .sgpr_count:     0
    .sgpr_spill_count: 0
    .symbol:         _ZN7rocprim17ROCPRIM_400000_NS6detail17trampoline_kernelINS0_14default_configENS1_35radix_sort_onesweep_config_selectorIdNS0_10empty_typeEEEZZNS1_29radix_sort_onesweep_iterationIS3_Lb1EPKdPdPS5_SB_mNS0_19identity_decomposerENS1_16block_id_wrapperIjLb1EEEEE10hipError_tT1_PNSt15iterator_traitsISG_E10value_typeET2_T3_PNSH_ISM_E10value_typeET4_T5_PSR_SS_PNS1_23onesweep_lookback_stateEbbT6_jjT7_P12ihipStream_tbENKUlT_T0_SG_SL_E_clIS9_SA_SB_SB_EEDaSZ_S10_SG_SL_EUlSZ_E_NS1_11comp_targetILNS1_3genE6ELNS1_11target_archE950ELNS1_3gpuE13ELNS1_3repE0EEENS1_47radix_sort_onesweep_sort_config_static_selectorELNS0_4arch9wavefront6targetE0EEEvSG_.kd
    .uniform_work_group_size: 1
    .uses_dynamic_stack: false
    .vgpr_count:     0
    .vgpr_spill_count: 0
    .wavefront_size: 32
  - .args:
      - .offset:         0
        .size:           88
        .value_kind:     by_value
    .group_segment_fixed_size: 0
    .kernarg_segment_align: 8
    .kernarg_segment_size: 88
    .language:       OpenCL C
    .language_version:
      - 2
      - 0
    .max_flat_workgroup_size: 512
    .name:           _ZN7rocprim17ROCPRIM_400000_NS6detail17trampoline_kernelINS0_14default_configENS1_35radix_sort_onesweep_config_selectorIdNS0_10empty_typeEEEZZNS1_29radix_sort_onesweep_iterationIS3_Lb1EPKdPdPS5_SB_mNS0_19identity_decomposerENS1_16block_id_wrapperIjLb1EEEEE10hipError_tT1_PNSt15iterator_traitsISG_E10value_typeET2_T3_PNSH_ISM_E10value_typeET4_T5_PSR_SS_PNS1_23onesweep_lookback_stateEbbT6_jjT7_P12ihipStream_tbENKUlT_T0_SG_SL_E_clIS9_SA_SB_SB_EEDaSZ_S10_SG_SL_EUlSZ_E_NS1_11comp_targetILNS1_3genE5ELNS1_11target_archE942ELNS1_3gpuE9ELNS1_3repE0EEENS1_47radix_sort_onesweep_sort_config_static_selectorELNS0_4arch9wavefront6targetE0EEEvSG_
    .private_segment_fixed_size: 0
    .sgpr_count:     0
    .sgpr_spill_count: 0
    .symbol:         _ZN7rocprim17ROCPRIM_400000_NS6detail17trampoline_kernelINS0_14default_configENS1_35radix_sort_onesweep_config_selectorIdNS0_10empty_typeEEEZZNS1_29radix_sort_onesweep_iterationIS3_Lb1EPKdPdPS5_SB_mNS0_19identity_decomposerENS1_16block_id_wrapperIjLb1EEEEE10hipError_tT1_PNSt15iterator_traitsISG_E10value_typeET2_T3_PNSH_ISM_E10value_typeET4_T5_PSR_SS_PNS1_23onesweep_lookback_stateEbbT6_jjT7_P12ihipStream_tbENKUlT_T0_SG_SL_E_clIS9_SA_SB_SB_EEDaSZ_S10_SG_SL_EUlSZ_E_NS1_11comp_targetILNS1_3genE5ELNS1_11target_archE942ELNS1_3gpuE9ELNS1_3repE0EEENS1_47radix_sort_onesweep_sort_config_static_selectorELNS0_4arch9wavefront6targetE0EEEvSG_.kd
    .uniform_work_group_size: 1
    .uses_dynamic_stack: false
    .vgpr_count:     0
    .vgpr_spill_count: 0
    .wavefront_size: 32
  - .args:
      - .offset:         0
        .size:           88
        .value_kind:     by_value
    .group_segment_fixed_size: 0
    .kernarg_segment_align: 8
    .kernarg_segment_size: 88
    .language:       OpenCL C
    .language_version:
      - 2
      - 0
    .max_flat_workgroup_size: 512
    .name:           _ZN7rocprim17ROCPRIM_400000_NS6detail17trampoline_kernelINS0_14default_configENS1_35radix_sort_onesweep_config_selectorIdNS0_10empty_typeEEEZZNS1_29radix_sort_onesweep_iterationIS3_Lb1EPKdPdPS5_SB_mNS0_19identity_decomposerENS1_16block_id_wrapperIjLb1EEEEE10hipError_tT1_PNSt15iterator_traitsISG_E10value_typeET2_T3_PNSH_ISM_E10value_typeET4_T5_PSR_SS_PNS1_23onesweep_lookback_stateEbbT6_jjT7_P12ihipStream_tbENKUlT_T0_SG_SL_E_clIS9_SA_SB_SB_EEDaSZ_S10_SG_SL_EUlSZ_E_NS1_11comp_targetILNS1_3genE2ELNS1_11target_archE906ELNS1_3gpuE6ELNS1_3repE0EEENS1_47radix_sort_onesweep_sort_config_static_selectorELNS0_4arch9wavefront6targetE0EEEvSG_
    .private_segment_fixed_size: 0
    .sgpr_count:     0
    .sgpr_spill_count: 0
    .symbol:         _ZN7rocprim17ROCPRIM_400000_NS6detail17trampoline_kernelINS0_14default_configENS1_35radix_sort_onesweep_config_selectorIdNS0_10empty_typeEEEZZNS1_29radix_sort_onesweep_iterationIS3_Lb1EPKdPdPS5_SB_mNS0_19identity_decomposerENS1_16block_id_wrapperIjLb1EEEEE10hipError_tT1_PNSt15iterator_traitsISG_E10value_typeET2_T3_PNSH_ISM_E10value_typeET4_T5_PSR_SS_PNS1_23onesweep_lookback_stateEbbT6_jjT7_P12ihipStream_tbENKUlT_T0_SG_SL_E_clIS9_SA_SB_SB_EEDaSZ_S10_SG_SL_EUlSZ_E_NS1_11comp_targetILNS1_3genE2ELNS1_11target_archE906ELNS1_3gpuE6ELNS1_3repE0EEENS1_47radix_sort_onesweep_sort_config_static_selectorELNS0_4arch9wavefront6targetE0EEEvSG_.kd
    .uniform_work_group_size: 1
    .uses_dynamic_stack: false
    .vgpr_count:     0
    .vgpr_spill_count: 0
    .wavefront_size: 32
  - .args:
      - .offset:         0
        .size:           88
        .value_kind:     by_value
    .group_segment_fixed_size: 0
    .kernarg_segment_align: 8
    .kernarg_segment_size: 88
    .language:       OpenCL C
    .language_version:
      - 2
      - 0
    .max_flat_workgroup_size: 1024
    .name:           _ZN7rocprim17ROCPRIM_400000_NS6detail17trampoline_kernelINS0_14default_configENS1_35radix_sort_onesweep_config_selectorIdNS0_10empty_typeEEEZZNS1_29radix_sort_onesweep_iterationIS3_Lb1EPKdPdPS5_SB_mNS0_19identity_decomposerENS1_16block_id_wrapperIjLb1EEEEE10hipError_tT1_PNSt15iterator_traitsISG_E10value_typeET2_T3_PNSH_ISM_E10value_typeET4_T5_PSR_SS_PNS1_23onesweep_lookback_stateEbbT6_jjT7_P12ihipStream_tbENKUlT_T0_SG_SL_E_clIS9_SA_SB_SB_EEDaSZ_S10_SG_SL_EUlSZ_E_NS1_11comp_targetILNS1_3genE4ELNS1_11target_archE910ELNS1_3gpuE8ELNS1_3repE0EEENS1_47radix_sort_onesweep_sort_config_static_selectorELNS0_4arch9wavefront6targetE0EEEvSG_
    .private_segment_fixed_size: 0
    .sgpr_count:     0
    .sgpr_spill_count: 0
    .symbol:         _ZN7rocprim17ROCPRIM_400000_NS6detail17trampoline_kernelINS0_14default_configENS1_35radix_sort_onesweep_config_selectorIdNS0_10empty_typeEEEZZNS1_29radix_sort_onesweep_iterationIS3_Lb1EPKdPdPS5_SB_mNS0_19identity_decomposerENS1_16block_id_wrapperIjLb1EEEEE10hipError_tT1_PNSt15iterator_traitsISG_E10value_typeET2_T3_PNSH_ISM_E10value_typeET4_T5_PSR_SS_PNS1_23onesweep_lookback_stateEbbT6_jjT7_P12ihipStream_tbENKUlT_T0_SG_SL_E_clIS9_SA_SB_SB_EEDaSZ_S10_SG_SL_EUlSZ_E_NS1_11comp_targetILNS1_3genE4ELNS1_11target_archE910ELNS1_3gpuE8ELNS1_3repE0EEENS1_47radix_sort_onesweep_sort_config_static_selectorELNS0_4arch9wavefront6targetE0EEEvSG_.kd
    .uniform_work_group_size: 1
    .uses_dynamic_stack: false
    .vgpr_count:     0
    .vgpr_spill_count: 0
    .wavefront_size: 32
  - .args:
      - .offset:         0
        .size:           88
        .value_kind:     by_value
    .group_segment_fixed_size: 0
    .kernarg_segment_align: 8
    .kernarg_segment_size: 88
    .language:       OpenCL C
    .language_version:
      - 2
      - 0
    .max_flat_workgroup_size: 512
    .name:           _ZN7rocprim17ROCPRIM_400000_NS6detail17trampoline_kernelINS0_14default_configENS1_35radix_sort_onesweep_config_selectorIdNS0_10empty_typeEEEZZNS1_29radix_sort_onesweep_iterationIS3_Lb1EPKdPdPS5_SB_mNS0_19identity_decomposerENS1_16block_id_wrapperIjLb1EEEEE10hipError_tT1_PNSt15iterator_traitsISG_E10value_typeET2_T3_PNSH_ISM_E10value_typeET4_T5_PSR_SS_PNS1_23onesweep_lookback_stateEbbT6_jjT7_P12ihipStream_tbENKUlT_T0_SG_SL_E_clIS9_SA_SB_SB_EEDaSZ_S10_SG_SL_EUlSZ_E_NS1_11comp_targetILNS1_3genE3ELNS1_11target_archE908ELNS1_3gpuE7ELNS1_3repE0EEENS1_47radix_sort_onesweep_sort_config_static_selectorELNS0_4arch9wavefront6targetE0EEEvSG_
    .private_segment_fixed_size: 0
    .sgpr_count:     0
    .sgpr_spill_count: 0
    .symbol:         _ZN7rocprim17ROCPRIM_400000_NS6detail17trampoline_kernelINS0_14default_configENS1_35radix_sort_onesweep_config_selectorIdNS0_10empty_typeEEEZZNS1_29radix_sort_onesweep_iterationIS3_Lb1EPKdPdPS5_SB_mNS0_19identity_decomposerENS1_16block_id_wrapperIjLb1EEEEE10hipError_tT1_PNSt15iterator_traitsISG_E10value_typeET2_T3_PNSH_ISM_E10value_typeET4_T5_PSR_SS_PNS1_23onesweep_lookback_stateEbbT6_jjT7_P12ihipStream_tbENKUlT_T0_SG_SL_E_clIS9_SA_SB_SB_EEDaSZ_S10_SG_SL_EUlSZ_E_NS1_11comp_targetILNS1_3genE3ELNS1_11target_archE908ELNS1_3gpuE7ELNS1_3repE0EEENS1_47radix_sort_onesweep_sort_config_static_selectorELNS0_4arch9wavefront6targetE0EEEvSG_.kd
    .uniform_work_group_size: 1
    .uses_dynamic_stack: false
    .vgpr_count:     0
    .vgpr_spill_count: 0
    .wavefront_size: 32
  - .args:
      - .offset:         0
        .size:           88
        .value_kind:     by_value
    .group_segment_fixed_size: 0
    .kernarg_segment_align: 8
    .kernarg_segment_size: 88
    .language:       OpenCL C
    .language_version:
      - 2
      - 0
    .max_flat_workgroup_size: 512
    .name:           _ZN7rocprim17ROCPRIM_400000_NS6detail17trampoline_kernelINS0_14default_configENS1_35radix_sort_onesweep_config_selectorIdNS0_10empty_typeEEEZZNS1_29radix_sort_onesweep_iterationIS3_Lb1EPKdPdPS5_SB_mNS0_19identity_decomposerENS1_16block_id_wrapperIjLb1EEEEE10hipError_tT1_PNSt15iterator_traitsISG_E10value_typeET2_T3_PNSH_ISM_E10value_typeET4_T5_PSR_SS_PNS1_23onesweep_lookback_stateEbbT6_jjT7_P12ihipStream_tbENKUlT_T0_SG_SL_E_clIS9_SA_SB_SB_EEDaSZ_S10_SG_SL_EUlSZ_E_NS1_11comp_targetILNS1_3genE10ELNS1_11target_archE1201ELNS1_3gpuE5ELNS1_3repE0EEENS1_47radix_sort_onesweep_sort_config_static_selectorELNS0_4arch9wavefront6targetE0EEEvSG_
    .private_segment_fixed_size: 0
    .sgpr_count:     0
    .sgpr_spill_count: 0
    .symbol:         _ZN7rocprim17ROCPRIM_400000_NS6detail17trampoline_kernelINS0_14default_configENS1_35radix_sort_onesweep_config_selectorIdNS0_10empty_typeEEEZZNS1_29radix_sort_onesweep_iterationIS3_Lb1EPKdPdPS5_SB_mNS0_19identity_decomposerENS1_16block_id_wrapperIjLb1EEEEE10hipError_tT1_PNSt15iterator_traitsISG_E10value_typeET2_T3_PNSH_ISM_E10value_typeET4_T5_PSR_SS_PNS1_23onesweep_lookback_stateEbbT6_jjT7_P12ihipStream_tbENKUlT_T0_SG_SL_E_clIS9_SA_SB_SB_EEDaSZ_S10_SG_SL_EUlSZ_E_NS1_11comp_targetILNS1_3genE10ELNS1_11target_archE1201ELNS1_3gpuE5ELNS1_3repE0EEENS1_47radix_sort_onesweep_sort_config_static_selectorELNS0_4arch9wavefront6targetE0EEEvSG_.kd
    .uniform_work_group_size: 1
    .uses_dynamic_stack: false
    .vgpr_count:     0
    .vgpr_spill_count: 0
    .wavefront_size: 32
  - .args:
      - .offset:         0
        .size:           88
        .value_kind:     by_value
    .group_segment_fixed_size: 0
    .kernarg_segment_align: 8
    .kernarg_segment_size: 88
    .language:       OpenCL C
    .language_version:
      - 2
      - 0
    .max_flat_workgroup_size: 1024
    .name:           _ZN7rocprim17ROCPRIM_400000_NS6detail17trampoline_kernelINS0_14default_configENS1_35radix_sort_onesweep_config_selectorIdNS0_10empty_typeEEEZZNS1_29radix_sort_onesweep_iterationIS3_Lb1EPKdPdPS5_SB_mNS0_19identity_decomposerENS1_16block_id_wrapperIjLb1EEEEE10hipError_tT1_PNSt15iterator_traitsISG_E10value_typeET2_T3_PNSH_ISM_E10value_typeET4_T5_PSR_SS_PNS1_23onesweep_lookback_stateEbbT6_jjT7_P12ihipStream_tbENKUlT_T0_SG_SL_E_clIS9_SA_SB_SB_EEDaSZ_S10_SG_SL_EUlSZ_E_NS1_11comp_targetILNS1_3genE9ELNS1_11target_archE1100ELNS1_3gpuE3ELNS1_3repE0EEENS1_47radix_sort_onesweep_sort_config_static_selectorELNS0_4arch9wavefront6targetE0EEEvSG_
    .private_segment_fixed_size: 0
    .sgpr_count:     0
    .sgpr_spill_count: 0
    .symbol:         _ZN7rocprim17ROCPRIM_400000_NS6detail17trampoline_kernelINS0_14default_configENS1_35radix_sort_onesweep_config_selectorIdNS0_10empty_typeEEEZZNS1_29radix_sort_onesweep_iterationIS3_Lb1EPKdPdPS5_SB_mNS0_19identity_decomposerENS1_16block_id_wrapperIjLb1EEEEE10hipError_tT1_PNSt15iterator_traitsISG_E10value_typeET2_T3_PNSH_ISM_E10value_typeET4_T5_PSR_SS_PNS1_23onesweep_lookback_stateEbbT6_jjT7_P12ihipStream_tbENKUlT_T0_SG_SL_E_clIS9_SA_SB_SB_EEDaSZ_S10_SG_SL_EUlSZ_E_NS1_11comp_targetILNS1_3genE9ELNS1_11target_archE1100ELNS1_3gpuE3ELNS1_3repE0EEENS1_47radix_sort_onesweep_sort_config_static_selectorELNS0_4arch9wavefront6targetE0EEEvSG_.kd
    .uniform_work_group_size: 1
    .uses_dynamic_stack: false
    .vgpr_count:     0
    .vgpr_spill_count: 0
    .wavefront_size: 32
  - .args:
      - .offset:         0
        .size:           88
        .value_kind:     by_value
    .group_segment_fixed_size: 0
    .kernarg_segment_align: 8
    .kernarg_segment_size: 88
    .language:       OpenCL C
    .language_version:
      - 2
      - 0
    .max_flat_workgroup_size: 1024
    .name:           _ZN7rocprim17ROCPRIM_400000_NS6detail17trampoline_kernelINS0_14default_configENS1_35radix_sort_onesweep_config_selectorIdNS0_10empty_typeEEEZZNS1_29radix_sort_onesweep_iterationIS3_Lb1EPKdPdPS5_SB_mNS0_19identity_decomposerENS1_16block_id_wrapperIjLb1EEEEE10hipError_tT1_PNSt15iterator_traitsISG_E10value_typeET2_T3_PNSH_ISM_E10value_typeET4_T5_PSR_SS_PNS1_23onesweep_lookback_stateEbbT6_jjT7_P12ihipStream_tbENKUlT_T0_SG_SL_E_clIS9_SA_SB_SB_EEDaSZ_S10_SG_SL_EUlSZ_E_NS1_11comp_targetILNS1_3genE8ELNS1_11target_archE1030ELNS1_3gpuE2ELNS1_3repE0EEENS1_47radix_sort_onesweep_sort_config_static_selectorELNS0_4arch9wavefront6targetE0EEEvSG_
    .private_segment_fixed_size: 0
    .sgpr_count:     0
    .sgpr_spill_count: 0
    .symbol:         _ZN7rocprim17ROCPRIM_400000_NS6detail17trampoline_kernelINS0_14default_configENS1_35radix_sort_onesweep_config_selectorIdNS0_10empty_typeEEEZZNS1_29radix_sort_onesweep_iterationIS3_Lb1EPKdPdPS5_SB_mNS0_19identity_decomposerENS1_16block_id_wrapperIjLb1EEEEE10hipError_tT1_PNSt15iterator_traitsISG_E10value_typeET2_T3_PNSH_ISM_E10value_typeET4_T5_PSR_SS_PNS1_23onesweep_lookback_stateEbbT6_jjT7_P12ihipStream_tbENKUlT_T0_SG_SL_E_clIS9_SA_SB_SB_EEDaSZ_S10_SG_SL_EUlSZ_E_NS1_11comp_targetILNS1_3genE8ELNS1_11target_archE1030ELNS1_3gpuE2ELNS1_3repE0EEENS1_47radix_sort_onesweep_sort_config_static_selectorELNS0_4arch9wavefront6targetE0EEEvSG_.kd
    .uniform_work_group_size: 1
    .uses_dynamic_stack: false
    .vgpr_count:     0
    .vgpr_spill_count: 0
    .wavefront_size: 32
  - .args:
      - .offset:         0
        .size:           88
        .value_kind:     by_value
      - .offset:         88
        .size:           4
        .value_kind:     hidden_block_count_x
      - .offset:         92
        .size:           4
        .value_kind:     hidden_block_count_y
      - .offset:         96
        .size:           4
        .value_kind:     hidden_block_count_z
      - .offset:         100
        .size:           2
        .value_kind:     hidden_group_size_x
      - .offset:         102
        .size:           2
        .value_kind:     hidden_group_size_y
      - .offset:         104
        .size:           2
        .value_kind:     hidden_group_size_z
      - .offset:         106
        .size:           2
        .value_kind:     hidden_remainder_x
      - .offset:         108
        .size:           2
        .value_kind:     hidden_remainder_y
      - .offset:         110
        .size:           2
        .value_kind:     hidden_remainder_z
      - .offset:         128
        .size:           8
        .value_kind:     hidden_global_offset_x
      - .offset:         136
        .size:           8
        .value_kind:     hidden_global_offset_y
      - .offset:         144
        .size:           8
        .value_kind:     hidden_global_offset_z
      - .offset:         152
        .size:           2
        .value_kind:     hidden_grid_dims
    .group_segment_fixed_size: 18504
    .kernarg_segment_align: 8
    .kernarg_segment_size: 344
    .language:       OpenCL C
    .language_version:
      - 2
      - 0
    .max_flat_workgroup_size: 512
    .name:           _ZN7rocprim17ROCPRIM_400000_NS6detail17trampoline_kernelINS0_14default_configENS1_35radix_sort_onesweep_config_selectorIdNS0_10empty_typeEEEZZNS1_29radix_sort_onesweep_iterationIS3_Lb1EPKdPdPS5_SB_mNS0_19identity_decomposerENS1_16block_id_wrapperIjLb1EEEEE10hipError_tT1_PNSt15iterator_traitsISG_E10value_typeET2_T3_PNSH_ISM_E10value_typeET4_T5_PSR_SS_PNS1_23onesweep_lookback_stateEbbT6_jjT7_P12ihipStream_tbENKUlT_T0_SG_SL_E_clISA_SA_SB_SB_EEDaSZ_S10_SG_SL_EUlSZ_E_NS1_11comp_targetILNS1_3genE0ELNS1_11target_archE4294967295ELNS1_3gpuE0ELNS1_3repE0EEENS1_47radix_sort_onesweep_sort_config_static_selectorELNS0_4arch9wavefront6targetE0EEEvSG_
    .private_segment_fixed_size: 0
    .sgpr_count:     33
    .sgpr_spill_count: 0
    .symbol:         _ZN7rocprim17ROCPRIM_400000_NS6detail17trampoline_kernelINS0_14default_configENS1_35radix_sort_onesweep_config_selectorIdNS0_10empty_typeEEEZZNS1_29radix_sort_onesweep_iterationIS3_Lb1EPKdPdPS5_SB_mNS0_19identity_decomposerENS1_16block_id_wrapperIjLb1EEEEE10hipError_tT1_PNSt15iterator_traitsISG_E10value_typeET2_T3_PNSH_ISM_E10value_typeET4_T5_PSR_SS_PNS1_23onesweep_lookback_stateEbbT6_jjT7_P12ihipStream_tbENKUlT_T0_SG_SL_E_clISA_SA_SB_SB_EEDaSZ_S10_SG_SL_EUlSZ_E_NS1_11comp_targetILNS1_3genE0ELNS1_11target_archE4294967295ELNS1_3gpuE0ELNS1_3repE0EEENS1_47radix_sort_onesweep_sort_config_static_selectorELNS0_4arch9wavefront6targetE0EEEvSG_.kd
    .uniform_work_group_size: 1
    .uses_dynamic_stack: false
    .vgpr_count:     57
    .vgpr_spill_count: 0
    .wavefront_size: 32
  - .args:
      - .offset:         0
        .size:           88
        .value_kind:     by_value
    .group_segment_fixed_size: 0
    .kernarg_segment_align: 8
    .kernarg_segment_size: 88
    .language:       OpenCL C
    .language_version:
      - 2
      - 0
    .max_flat_workgroup_size: 512
    .name:           _ZN7rocprim17ROCPRIM_400000_NS6detail17trampoline_kernelINS0_14default_configENS1_35radix_sort_onesweep_config_selectorIdNS0_10empty_typeEEEZZNS1_29radix_sort_onesweep_iterationIS3_Lb1EPKdPdPS5_SB_mNS0_19identity_decomposerENS1_16block_id_wrapperIjLb1EEEEE10hipError_tT1_PNSt15iterator_traitsISG_E10value_typeET2_T3_PNSH_ISM_E10value_typeET4_T5_PSR_SS_PNS1_23onesweep_lookback_stateEbbT6_jjT7_P12ihipStream_tbENKUlT_T0_SG_SL_E_clISA_SA_SB_SB_EEDaSZ_S10_SG_SL_EUlSZ_E_NS1_11comp_targetILNS1_3genE6ELNS1_11target_archE950ELNS1_3gpuE13ELNS1_3repE0EEENS1_47radix_sort_onesweep_sort_config_static_selectorELNS0_4arch9wavefront6targetE0EEEvSG_
    .private_segment_fixed_size: 0
    .sgpr_count:     0
    .sgpr_spill_count: 0
    .symbol:         _ZN7rocprim17ROCPRIM_400000_NS6detail17trampoline_kernelINS0_14default_configENS1_35radix_sort_onesweep_config_selectorIdNS0_10empty_typeEEEZZNS1_29radix_sort_onesweep_iterationIS3_Lb1EPKdPdPS5_SB_mNS0_19identity_decomposerENS1_16block_id_wrapperIjLb1EEEEE10hipError_tT1_PNSt15iterator_traitsISG_E10value_typeET2_T3_PNSH_ISM_E10value_typeET4_T5_PSR_SS_PNS1_23onesweep_lookback_stateEbbT6_jjT7_P12ihipStream_tbENKUlT_T0_SG_SL_E_clISA_SA_SB_SB_EEDaSZ_S10_SG_SL_EUlSZ_E_NS1_11comp_targetILNS1_3genE6ELNS1_11target_archE950ELNS1_3gpuE13ELNS1_3repE0EEENS1_47radix_sort_onesweep_sort_config_static_selectorELNS0_4arch9wavefront6targetE0EEEvSG_.kd
    .uniform_work_group_size: 1
    .uses_dynamic_stack: false
    .vgpr_count:     0
    .vgpr_spill_count: 0
    .wavefront_size: 32
  - .args:
      - .offset:         0
        .size:           88
        .value_kind:     by_value
    .group_segment_fixed_size: 0
    .kernarg_segment_align: 8
    .kernarg_segment_size: 88
    .language:       OpenCL C
    .language_version:
      - 2
      - 0
    .max_flat_workgroup_size: 512
    .name:           _ZN7rocprim17ROCPRIM_400000_NS6detail17trampoline_kernelINS0_14default_configENS1_35radix_sort_onesweep_config_selectorIdNS0_10empty_typeEEEZZNS1_29radix_sort_onesweep_iterationIS3_Lb1EPKdPdPS5_SB_mNS0_19identity_decomposerENS1_16block_id_wrapperIjLb1EEEEE10hipError_tT1_PNSt15iterator_traitsISG_E10value_typeET2_T3_PNSH_ISM_E10value_typeET4_T5_PSR_SS_PNS1_23onesweep_lookback_stateEbbT6_jjT7_P12ihipStream_tbENKUlT_T0_SG_SL_E_clISA_SA_SB_SB_EEDaSZ_S10_SG_SL_EUlSZ_E_NS1_11comp_targetILNS1_3genE5ELNS1_11target_archE942ELNS1_3gpuE9ELNS1_3repE0EEENS1_47radix_sort_onesweep_sort_config_static_selectorELNS0_4arch9wavefront6targetE0EEEvSG_
    .private_segment_fixed_size: 0
    .sgpr_count:     0
    .sgpr_spill_count: 0
    .symbol:         _ZN7rocprim17ROCPRIM_400000_NS6detail17trampoline_kernelINS0_14default_configENS1_35radix_sort_onesweep_config_selectorIdNS0_10empty_typeEEEZZNS1_29radix_sort_onesweep_iterationIS3_Lb1EPKdPdPS5_SB_mNS0_19identity_decomposerENS1_16block_id_wrapperIjLb1EEEEE10hipError_tT1_PNSt15iterator_traitsISG_E10value_typeET2_T3_PNSH_ISM_E10value_typeET4_T5_PSR_SS_PNS1_23onesweep_lookback_stateEbbT6_jjT7_P12ihipStream_tbENKUlT_T0_SG_SL_E_clISA_SA_SB_SB_EEDaSZ_S10_SG_SL_EUlSZ_E_NS1_11comp_targetILNS1_3genE5ELNS1_11target_archE942ELNS1_3gpuE9ELNS1_3repE0EEENS1_47radix_sort_onesweep_sort_config_static_selectorELNS0_4arch9wavefront6targetE0EEEvSG_.kd
    .uniform_work_group_size: 1
    .uses_dynamic_stack: false
    .vgpr_count:     0
    .vgpr_spill_count: 0
    .wavefront_size: 32
  - .args:
      - .offset:         0
        .size:           88
        .value_kind:     by_value
    .group_segment_fixed_size: 0
    .kernarg_segment_align: 8
    .kernarg_segment_size: 88
    .language:       OpenCL C
    .language_version:
      - 2
      - 0
    .max_flat_workgroup_size: 512
    .name:           _ZN7rocprim17ROCPRIM_400000_NS6detail17trampoline_kernelINS0_14default_configENS1_35radix_sort_onesweep_config_selectorIdNS0_10empty_typeEEEZZNS1_29radix_sort_onesweep_iterationIS3_Lb1EPKdPdPS5_SB_mNS0_19identity_decomposerENS1_16block_id_wrapperIjLb1EEEEE10hipError_tT1_PNSt15iterator_traitsISG_E10value_typeET2_T3_PNSH_ISM_E10value_typeET4_T5_PSR_SS_PNS1_23onesweep_lookback_stateEbbT6_jjT7_P12ihipStream_tbENKUlT_T0_SG_SL_E_clISA_SA_SB_SB_EEDaSZ_S10_SG_SL_EUlSZ_E_NS1_11comp_targetILNS1_3genE2ELNS1_11target_archE906ELNS1_3gpuE6ELNS1_3repE0EEENS1_47radix_sort_onesweep_sort_config_static_selectorELNS0_4arch9wavefront6targetE0EEEvSG_
    .private_segment_fixed_size: 0
    .sgpr_count:     0
    .sgpr_spill_count: 0
    .symbol:         _ZN7rocprim17ROCPRIM_400000_NS6detail17trampoline_kernelINS0_14default_configENS1_35radix_sort_onesweep_config_selectorIdNS0_10empty_typeEEEZZNS1_29radix_sort_onesweep_iterationIS3_Lb1EPKdPdPS5_SB_mNS0_19identity_decomposerENS1_16block_id_wrapperIjLb1EEEEE10hipError_tT1_PNSt15iterator_traitsISG_E10value_typeET2_T3_PNSH_ISM_E10value_typeET4_T5_PSR_SS_PNS1_23onesweep_lookback_stateEbbT6_jjT7_P12ihipStream_tbENKUlT_T0_SG_SL_E_clISA_SA_SB_SB_EEDaSZ_S10_SG_SL_EUlSZ_E_NS1_11comp_targetILNS1_3genE2ELNS1_11target_archE906ELNS1_3gpuE6ELNS1_3repE0EEENS1_47radix_sort_onesweep_sort_config_static_selectorELNS0_4arch9wavefront6targetE0EEEvSG_.kd
    .uniform_work_group_size: 1
    .uses_dynamic_stack: false
    .vgpr_count:     0
    .vgpr_spill_count: 0
    .wavefront_size: 32
  - .args:
      - .offset:         0
        .size:           88
        .value_kind:     by_value
    .group_segment_fixed_size: 0
    .kernarg_segment_align: 8
    .kernarg_segment_size: 88
    .language:       OpenCL C
    .language_version:
      - 2
      - 0
    .max_flat_workgroup_size: 1024
    .name:           _ZN7rocprim17ROCPRIM_400000_NS6detail17trampoline_kernelINS0_14default_configENS1_35radix_sort_onesweep_config_selectorIdNS0_10empty_typeEEEZZNS1_29radix_sort_onesweep_iterationIS3_Lb1EPKdPdPS5_SB_mNS0_19identity_decomposerENS1_16block_id_wrapperIjLb1EEEEE10hipError_tT1_PNSt15iterator_traitsISG_E10value_typeET2_T3_PNSH_ISM_E10value_typeET4_T5_PSR_SS_PNS1_23onesweep_lookback_stateEbbT6_jjT7_P12ihipStream_tbENKUlT_T0_SG_SL_E_clISA_SA_SB_SB_EEDaSZ_S10_SG_SL_EUlSZ_E_NS1_11comp_targetILNS1_3genE4ELNS1_11target_archE910ELNS1_3gpuE8ELNS1_3repE0EEENS1_47radix_sort_onesweep_sort_config_static_selectorELNS0_4arch9wavefront6targetE0EEEvSG_
    .private_segment_fixed_size: 0
    .sgpr_count:     0
    .sgpr_spill_count: 0
    .symbol:         _ZN7rocprim17ROCPRIM_400000_NS6detail17trampoline_kernelINS0_14default_configENS1_35radix_sort_onesweep_config_selectorIdNS0_10empty_typeEEEZZNS1_29radix_sort_onesweep_iterationIS3_Lb1EPKdPdPS5_SB_mNS0_19identity_decomposerENS1_16block_id_wrapperIjLb1EEEEE10hipError_tT1_PNSt15iterator_traitsISG_E10value_typeET2_T3_PNSH_ISM_E10value_typeET4_T5_PSR_SS_PNS1_23onesweep_lookback_stateEbbT6_jjT7_P12ihipStream_tbENKUlT_T0_SG_SL_E_clISA_SA_SB_SB_EEDaSZ_S10_SG_SL_EUlSZ_E_NS1_11comp_targetILNS1_3genE4ELNS1_11target_archE910ELNS1_3gpuE8ELNS1_3repE0EEENS1_47radix_sort_onesweep_sort_config_static_selectorELNS0_4arch9wavefront6targetE0EEEvSG_.kd
    .uniform_work_group_size: 1
    .uses_dynamic_stack: false
    .vgpr_count:     0
    .vgpr_spill_count: 0
    .wavefront_size: 32
  - .args:
      - .offset:         0
        .size:           88
        .value_kind:     by_value
    .group_segment_fixed_size: 0
    .kernarg_segment_align: 8
    .kernarg_segment_size: 88
    .language:       OpenCL C
    .language_version:
      - 2
      - 0
    .max_flat_workgroup_size: 512
    .name:           _ZN7rocprim17ROCPRIM_400000_NS6detail17trampoline_kernelINS0_14default_configENS1_35radix_sort_onesweep_config_selectorIdNS0_10empty_typeEEEZZNS1_29radix_sort_onesweep_iterationIS3_Lb1EPKdPdPS5_SB_mNS0_19identity_decomposerENS1_16block_id_wrapperIjLb1EEEEE10hipError_tT1_PNSt15iterator_traitsISG_E10value_typeET2_T3_PNSH_ISM_E10value_typeET4_T5_PSR_SS_PNS1_23onesweep_lookback_stateEbbT6_jjT7_P12ihipStream_tbENKUlT_T0_SG_SL_E_clISA_SA_SB_SB_EEDaSZ_S10_SG_SL_EUlSZ_E_NS1_11comp_targetILNS1_3genE3ELNS1_11target_archE908ELNS1_3gpuE7ELNS1_3repE0EEENS1_47radix_sort_onesweep_sort_config_static_selectorELNS0_4arch9wavefront6targetE0EEEvSG_
    .private_segment_fixed_size: 0
    .sgpr_count:     0
    .sgpr_spill_count: 0
    .symbol:         _ZN7rocprim17ROCPRIM_400000_NS6detail17trampoline_kernelINS0_14default_configENS1_35radix_sort_onesweep_config_selectorIdNS0_10empty_typeEEEZZNS1_29radix_sort_onesweep_iterationIS3_Lb1EPKdPdPS5_SB_mNS0_19identity_decomposerENS1_16block_id_wrapperIjLb1EEEEE10hipError_tT1_PNSt15iterator_traitsISG_E10value_typeET2_T3_PNSH_ISM_E10value_typeET4_T5_PSR_SS_PNS1_23onesweep_lookback_stateEbbT6_jjT7_P12ihipStream_tbENKUlT_T0_SG_SL_E_clISA_SA_SB_SB_EEDaSZ_S10_SG_SL_EUlSZ_E_NS1_11comp_targetILNS1_3genE3ELNS1_11target_archE908ELNS1_3gpuE7ELNS1_3repE0EEENS1_47radix_sort_onesweep_sort_config_static_selectorELNS0_4arch9wavefront6targetE0EEEvSG_.kd
    .uniform_work_group_size: 1
    .uses_dynamic_stack: false
    .vgpr_count:     0
    .vgpr_spill_count: 0
    .wavefront_size: 32
  - .args:
      - .offset:         0
        .size:           88
        .value_kind:     by_value
    .group_segment_fixed_size: 0
    .kernarg_segment_align: 8
    .kernarg_segment_size: 88
    .language:       OpenCL C
    .language_version:
      - 2
      - 0
    .max_flat_workgroup_size: 512
    .name:           _ZN7rocprim17ROCPRIM_400000_NS6detail17trampoline_kernelINS0_14default_configENS1_35radix_sort_onesweep_config_selectorIdNS0_10empty_typeEEEZZNS1_29radix_sort_onesweep_iterationIS3_Lb1EPKdPdPS5_SB_mNS0_19identity_decomposerENS1_16block_id_wrapperIjLb1EEEEE10hipError_tT1_PNSt15iterator_traitsISG_E10value_typeET2_T3_PNSH_ISM_E10value_typeET4_T5_PSR_SS_PNS1_23onesweep_lookback_stateEbbT6_jjT7_P12ihipStream_tbENKUlT_T0_SG_SL_E_clISA_SA_SB_SB_EEDaSZ_S10_SG_SL_EUlSZ_E_NS1_11comp_targetILNS1_3genE10ELNS1_11target_archE1201ELNS1_3gpuE5ELNS1_3repE0EEENS1_47radix_sort_onesweep_sort_config_static_selectorELNS0_4arch9wavefront6targetE0EEEvSG_
    .private_segment_fixed_size: 0
    .sgpr_count:     0
    .sgpr_spill_count: 0
    .symbol:         _ZN7rocprim17ROCPRIM_400000_NS6detail17trampoline_kernelINS0_14default_configENS1_35radix_sort_onesweep_config_selectorIdNS0_10empty_typeEEEZZNS1_29radix_sort_onesweep_iterationIS3_Lb1EPKdPdPS5_SB_mNS0_19identity_decomposerENS1_16block_id_wrapperIjLb1EEEEE10hipError_tT1_PNSt15iterator_traitsISG_E10value_typeET2_T3_PNSH_ISM_E10value_typeET4_T5_PSR_SS_PNS1_23onesweep_lookback_stateEbbT6_jjT7_P12ihipStream_tbENKUlT_T0_SG_SL_E_clISA_SA_SB_SB_EEDaSZ_S10_SG_SL_EUlSZ_E_NS1_11comp_targetILNS1_3genE10ELNS1_11target_archE1201ELNS1_3gpuE5ELNS1_3repE0EEENS1_47radix_sort_onesweep_sort_config_static_selectorELNS0_4arch9wavefront6targetE0EEEvSG_.kd
    .uniform_work_group_size: 1
    .uses_dynamic_stack: false
    .vgpr_count:     0
    .vgpr_spill_count: 0
    .wavefront_size: 32
  - .args:
      - .offset:         0
        .size:           88
        .value_kind:     by_value
    .group_segment_fixed_size: 0
    .kernarg_segment_align: 8
    .kernarg_segment_size: 88
    .language:       OpenCL C
    .language_version:
      - 2
      - 0
    .max_flat_workgroup_size: 1024
    .name:           _ZN7rocprim17ROCPRIM_400000_NS6detail17trampoline_kernelINS0_14default_configENS1_35radix_sort_onesweep_config_selectorIdNS0_10empty_typeEEEZZNS1_29radix_sort_onesweep_iterationIS3_Lb1EPKdPdPS5_SB_mNS0_19identity_decomposerENS1_16block_id_wrapperIjLb1EEEEE10hipError_tT1_PNSt15iterator_traitsISG_E10value_typeET2_T3_PNSH_ISM_E10value_typeET4_T5_PSR_SS_PNS1_23onesweep_lookback_stateEbbT6_jjT7_P12ihipStream_tbENKUlT_T0_SG_SL_E_clISA_SA_SB_SB_EEDaSZ_S10_SG_SL_EUlSZ_E_NS1_11comp_targetILNS1_3genE9ELNS1_11target_archE1100ELNS1_3gpuE3ELNS1_3repE0EEENS1_47radix_sort_onesweep_sort_config_static_selectorELNS0_4arch9wavefront6targetE0EEEvSG_
    .private_segment_fixed_size: 0
    .sgpr_count:     0
    .sgpr_spill_count: 0
    .symbol:         _ZN7rocprim17ROCPRIM_400000_NS6detail17trampoline_kernelINS0_14default_configENS1_35radix_sort_onesweep_config_selectorIdNS0_10empty_typeEEEZZNS1_29radix_sort_onesweep_iterationIS3_Lb1EPKdPdPS5_SB_mNS0_19identity_decomposerENS1_16block_id_wrapperIjLb1EEEEE10hipError_tT1_PNSt15iterator_traitsISG_E10value_typeET2_T3_PNSH_ISM_E10value_typeET4_T5_PSR_SS_PNS1_23onesweep_lookback_stateEbbT6_jjT7_P12ihipStream_tbENKUlT_T0_SG_SL_E_clISA_SA_SB_SB_EEDaSZ_S10_SG_SL_EUlSZ_E_NS1_11comp_targetILNS1_3genE9ELNS1_11target_archE1100ELNS1_3gpuE3ELNS1_3repE0EEENS1_47radix_sort_onesweep_sort_config_static_selectorELNS0_4arch9wavefront6targetE0EEEvSG_.kd
    .uniform_work_group_size: 1
    .uses_dynamic_stack: false
    .vgpr_count:     0
    .vgpr_spill_count: 0
    .wavefront_size: 32
  - .args:
      - .offset:         0
        .size:           88
        .value_kind:     by_value
    .group_segment_fixed_size: 0
    .kernarg_segment_align: 8
    .kernarg_segment_size: 88
    .language:       OpenCL C
    .language_version:
      - 2
      - 0
    .max_flat_workgroup_size: 1024
    .name:           _ZN7rocprim17ROCPRIM_400000_NS6detail17trampoline_kernelINS0_14default_configENS1_35radix_sort_onesweep_config_selectorIdNS0_10empty_typeEEEZZNS1_29radix_sort_onesweep_iterationIS3_Lb1EPKdPdPS5_SB_mNS0_19identity_decomposerENS1_16block_id_wrapperIjLb1EEEEE10hipError_tT1_PNSt15iterator_traitsISG_E10value_typeET2_T3_PNSH_ISM_E10value_typeET4_T5_PSR_SS_PNS1_23onesweep_lookback_stateEbbT6_jjT7_P12ihipStream_tbENKUlT_T0_SG_SL_E_clISA_SA_SB_SB_EEDaSZ_S10_SG_SL_EUlSZ_E_NS1_11comp_targetILNS1_3genE8ELNS1_11target_archE1030ELNS1_3gpuE2ELNS1_3repE0EEENS1_47radix_sort_onesweep_sort_config_static_selectorELNS0_4arch9wavefront6targetE0EEEvSG_
    .private_segment_fixed_size: 0
    .sgpr_count:     0
    .sgpr_spill_count: 0
    .symbol:         _ZN7rocprim17ROCPRIM_400000_NS6detail17trampoline_kernelINS0_14default_configENS1_35radix_sort_onesweep_config_selectorIdNS0_10empty_typeEEEZZNS1_29radix_sort_onesweep_iterationIS3_Lb1EPKdPdPS5_SB_mNS0_19identity_decomposerENS1_16block_id_wrapperIjLb1EEEEE10hipError_tT1_PNSt15iterator_traitsISG_E10value_typeET2_T3_PNSH_ISM_E10value_typeET4_T5_PSR_SS_PNS1_23onesweep_lookback_stateEbbT6_jjT7_P12ihipStream_tbENKUlT_T0_SG_SL_E_clISA_SA_SB_SB_EEDaSZ_S10_SG_SL_EUlSZ_E_NS1_11comp_targetILNS1_3genE8ELNS1_11target_archE1030ELNS1_3gpuE2ELNS1_3repE0EEENS1_47radix_sort_onesweep_sort_config_static_selectorELNS0_4arch9wavefront6targetE0EEEvSG_.kd
    .uniform_work_group_size: 1
    .uses_dynamic_stack: false
    .vgpr_count:     0
    .vgpr_spill_count: 0
    .wavefront_size: 32
  - .args:
      - .offset:         0
        .size:           88
        .value_kind:     by_value
      - .offset:         88
        .size:           4
        .value_kind:     hidden_block_count_x
      - .offset:         92
        .size:           4
        .value_kind:     hidden_block_count_y
      - .offset:         96
        .size:           4
        .value_kind:     hidden_block_count_z
      - .offset:         100
        .size:           2
        .value_kind:     hidden_group_size_x
      - .offset:         102
        .size:           2
        .value_kind:     hidden_group_size_y
      - .offset:         104
        .size:           2
        .value_kind:     hidden_group_size_z
      - .offset:         106
        .size:           2
        .value_kind:     hidden_remainder_x
      - .offset:         108
        .size:           2
        .value_kind:     hidden_remainder_y
      - .offset:         110
        .size:           2
        .value_kind:     hidden_remainder_z
      - .offset:         128
        .size:           8
        .value_kind:     hidden_global_offset_x
      - .offset:         136
        .size:           8
        .value_kind:     hidden_global_offset_y
      - .offset:         144
        .size:           8
        .value_kind:     hidden_global_offset_z
      - .offset:         152
        .size:           2
        .value_kind:     hidden_grid_dims
    .group_segment_fixed_size: 18504
    .kernarg_segment_align: 8
    .kernarg_segment_size: 344
    .language:       OpenCL C
    .language_version:
      - 2
      - 0
    .max_flat_workgroup_size: 512
    .name:           _ZN7rocprim17ROCPRIM_400000_NS6detail17trampoline_kernelINS0_14default_configENS1_35radix_sort_onesweep_config_selectorIdNS0_10empty_typeEEEZZNS1_29radix_sort_onesweep_iterationIS3_Lb1EPKdPdPS5_SB_mNS0_19identity_decomposerENS1_16block_id_wrapperIjLb0EEEEE10hipError_tT1_PNSt15iterator_traitsISG_E10value_typeET2_T3_PNSH_ISM_E10value_typeET4_T5_PSR_SS_PNS1_23onesweep_lookback_stateEbbT6_jjT7_P12ihipStream_tbENKUlT_T0_SG_SL_E_clIS9_SA_SB_SB_EEDaSZ_S10_SG_SL_EUlSZ_E_NS1_11comp_targetILNS1_3genE0ELNS1_11target_archE4294967295ELNS1_3gpuE0ELNS1_3repE0EEENS1_47radix_sort_onesweep_sort_config_static_selectorELNS0_4arch9wavefront6targetE0EEEvSG_
    .private_segment_fixed_size: 0
    .sgpr_count:     32
    .sgpr_spill_count: 0
    .symbol:         _ZN7rocprim17ROCPRIM_400000_NS6detail17trampoline_kernelINS0_14default_configENS1_35radix_sort_onesweep_config_selectorIdNS0_10empty_typeEEEZZNS1_29radix_sort_onesweep_iterationIS3_Lb1EPKdPdPS5_SB_mNS0_19identity_decomposerENS1_16block_id_wrapperIjLb0EEEEE10hipError_tT1_PNSt15iterator_traitsISG_E10value_typeET2_T3_PNSH_ISM_E10value_typeET4_T5_PSR_SS_PNS1_23onesweep_lookback_stateEbbT6_jjT7_P12ihipStream_tbENKUlT_T0_SG_SL_E_clIS9_SA_SB_SB_EEDaSZ_S10_SG_SL_EUlSZ_E_NS1_11comp_targetILNS1_3genE0ELNS1_11target_archE4294967295ELNS1_3gpuE0ELNS1_3repE0EEENS1_47radix_sort_onesweep_sort_config_static_selectorELNS0_4arch9wavefront6targetE0EEEvSG_.kd
    .uniform_work_group_size: 1
    .uses_dynamic_stack: false
    .vgpr_count:     57
    .vgpr_spill_count: 0
    .wavefront_size: 32
  - .args:
      - .offset:         0
        .size:           88
        .value_kind:     by_value
    .group_segment_fixed_size: 0
    .kernarg_segment_align: 8
    .kernarg_segment_size: 88
    .language:       OpenCL C
    .language_version:
      - 2
      - 0
    .max_flat_workgroup_size: 512
    .name:           _ZN7rocprim17ROCPRIM_400000_NS6detail17trampoline_kernelINS0_14default_configENS1_35radix_sort_onesweep_config_selectorIdNS0_10empty_typeEEEZZNS1_29radix_sort_onesweep_iterationIS3_Lb1EPKdPdPS5_SB_mNS0_19identity_decomposerENS1_16block_id_wrapperIjLb0EEEEE10hipError_tT1_PNSt15iterator_traitsISG_E10value_typeET2_T3_PNSH_ISM_E10value_typeET4_T5_PSR_SS_PNS1_23onesweep_lookback_stateEbbT6_jjT7_P12ihipStream_tbENKUlT_T0_SG_SL_E_clIS9_SA_SB_SB_EEDaSZ_S10_SG_SL_EUlSZ_E_NS1_11comp_targetILNS1_3genE6ELNS1_11target_archE950ELNS1_3gpuE13ELNS1_3repE0EEENS1_47radix_sort_onesweep_sort_config_static_selectorELNS0_4arch9wavefront6targetE0EEEvSG_
    .private_segment_fixed_size: 0
    .sgpr_count:     0
    .sgpr_spill_count: 0
    .symbol:         _ZN7rocprim17ROCPRIM_400000_NS6detail17trampoline_kernelINS0_14default_configENS1_35radix_sort_onesweep_config_selectorIdNS0_10empty_typeEEEZZNS1_29radix_sort_onesweep_iterationIS3_Lb1EPKdPdPS5_SB_mNS0_19identity_decomposerENS1_16block_id_wrapperIjLb0EEEEE10hipError_tT1_PNSt15iterator_traitsISG_E10value_typeET2_T3_PNSH_ISM_E10value_typeET4_T5_PSR_SS_PNS1_23onesweep_lookback_stateEbbT6_jjT7_P12ihipStream_tbENKUlT_T0_SG_SL_E_clIS9_SA_SB_SB_EEDaSZ_S10_SG_SL_EUlSZ_E_NS1_11comp_targetILNS1_3genE6ELNS1_11target_archE950ELNS1_3gpuE13ELNS1_3repE0EEENS1_47radix_sort_onesweep_sort_config_static_selectorELNS0_4arch9wavefront6targetE0EEEvSG_.kd
    .uniform_work_group_size: 1
    .uses_dynamic_stack: false
    .vgpr_count:     0
    .vgpr_spill_count: 0
    .wavefront_size: 32
  - .args:
      - .offset:         0
        .size:           88
        .value_kind:     by_value
    .group_segment_fixed_size: 0
    .kernarg_segment_align: 8
    .kernarg_segment_size: 88
    .language:       OpenCL C
    .language_version:
      - 2
      - 0
    .max_flat_workgroup_size: 512
    .name:           _ZN7rocprim17ROCPRIM_400000_NS6detail17trampoline_kernelINS0_14default_configENS1_35radix_sort_onesweep_config_selectorIdNS0_10empty_typeEEEZZNS1_29radix_sort_onesweep_iterationIS3_Lb1EPKdPdPS5_SB_mNS0_19identity_decomposerENS1_16block_id_wrapperIjLb0EEEEE10hipError_tT1_PNSt15iterator_traitsISG_E10value_typeET2_T3_PNSH_ISM_E10value_typeET4_T5_PSR_SS_PNS1_23onesweep_lookback_stateEbbT6_jjT7_P12ihipStream_tbENKUlT_T0_SG_SL_E_clIS9_SA_SB_SB_EEDaSZ_S10_SG_SL_EUlSZ_E_NS1_11comp_targetILNS1_3genE5ELNS1_11target_archE942ELNS1_3gpuE9ELNS1_3repE0EEENS1_47radix_sort_onesweep_sort_config_static_selectorELNS0_4arch9wavefront6targetE0EEEvSG_
    .private_segment_fixed_size: 0
    .sgpr_count:     0
    .sgpr_spill_count: 0
    .symbol:         _ZN7rocprim17ROCPRIM_400000_NS6detail17trampoline_kernelINS0_14default_configENS1_35radix_sort_onesweep_config_selectorIdNS0_10empty_typeEEEZZNS1_29radix_sort_onesweep_iterationIS3_Lb1EPKdPdPS5_SB_mNS0_19identity_decomposerENS1_16block_id_wrapperIjLb0EEEEE10hipError_tT1_PNSt15iterator_traitsISG_E10value_typeET2_T3_PNSH_ISM_E10value_typeET4_T5_PSR_SS_PNS1_23onesweep_lookback_stateEbbT6_jjT7_P12ihipStream_tbENKUlT_T0_SG_SL_E_clIS9_SA_SB_SB_EEDaSZ_S10_SG_SL_EUlSZ_E_NS1_11comp_targetILNS1_3genE5ELNS1_11target_archE942ELNS1_3gpuE9ELNS1_3repE0EEENS1_47radix_sort_onesweep_sort_config_static_selectorELNS0_4arch9wavefront6targetE0EEEvSG_.kd
    .uniform_work_group_size: 1
    .uses_dynamic_stack: false
    .vgpr_count:     0
    .vgpr_spill_count: 0
    .wavefront_size: 32
  - .args:
      - .offset:         0
        .size:           88
        .value_kind:     by_value
    .group_segment_fixed_size: 0
    .kernarg_segment_align: 8
    .kernarg_segment_size: 88
    .language:       OpenCL C
    .language_version:
      - 2
      - 0
    .max_flat_workgroup_size: 512
    .name:           _ZN7rocprim17ROCPRIM_400000_NS6detail17trampoline_kernelINS0_14default_configENS1_35radix_sort_onesweep_config_selectorIdNS0_10empty_typeEEEZZNS1_29radix_sort_onesweep_iterationIS3_Lb1EPKdPdPS5_SB_mNS0_19identity_decomposerENS1_16block_id_wrapperIjLb0EEEEE10hipError_tT1_PNSt15iterator_traitsISG_E10value_typeET2_T3_PNSH_ISM_E10value_typeET4_T5_PSR_SS_PNS1_23onesweep_lookback_stateEbbT6_jjT7_P12ihipStream_tbENKUlT_T0_SG_SL_E_clIS9_SA_SB_SB_EEDaSZ_S10_SG_SL_EUlSZ_E_NS1_11comp_targetILNS1_3genE2ELNS1_11target_archE906ELNS1_3gpuE6ELNS1_3repE0EEENS1_47radix_sort_onesweep_sort_config_static_selectorELNS0_4arch9wavefront6targetE0EEEvSG_
    .private_segment_fixed_size: 0
    .sgpr_count:     0
    .sgpr_spill_count: 0
    .symbol:         _ZN7rocprim17ROCPRIM_400000_NS6detail17trampoline_kernelINS0_14default_configENS1_35radix_sort_onesweep_config_selectorIdNS0_10empty_typeEEEZZNS1_29radix_sort_onesweep_iterationIS3_Lb1EPKdPdPS5_SB_mNS0_19identity_decomposerENS1_16block_id_wrapperIjLb0EEEEE10hipError_tT1_PNSt15iterator_traitsISG_E10value_typeET2_T3_PNSH_ISM_E10value_typeET4_T5_PSR_SS_PNS1_23onesweep_lookback_stateEbbT6_jjT7_P12ihipStream_tbENKUlT_T0_SG_SL_E_clIS9_SA_SB_SB_EEDaSZ_S10_SG_SL_EUlSZ_E_NS1_11comp_targetILNS1_3genE2ELNS1_11target_archE906ELNS1_3gpuE6ELNS1_3repE0EEENS1_47radix_sort_onesweep_sort_config_static_selectorELNS0_4arch9wavefront6targetE0EEEvSG_.kd
    .uniform_work_group_size: 1
    .uses_dynamic_stack: false
    .vgpr_count:     0
    .vgpr_spill_count: 0
    .wavefront_size: 32
  - .args:
      - .offset:         0
        .size:           88
        .value_kind:     by_value
    .group_segment_fixed_size: 0
    .kernarg_segment_align: 8
    .kernarg_segment_size: 88
    .language:       OpenCL C
    .language_version:
      - 2
      - 0
    .max_flat_workgroup_size: 1024
    .name:           _ZN7rocprim17ROCPRIM_400000_NS6detail17trampoline_kernelINS0_14default_configENS1_35radix_sort_onesweep_config_selectorIdNS0_10empty_typeEEEZZNS1_29radix_sort_onesweep_iterationIS3_Lb1EPKdPdPS5_SB_mNS0_19identity_decomposerENS1_16block_id_wrapperIjLb0EEEEE10hipError_tT1_PNSt15iterator_traitsISG_E10value_typeET2_T3_PNSH_ISM_E10value_typeET4_T5_PSR_SS_PNS1_23onesweep_lookback_stateEbbT6_jjT7_P12ihipStream_tbENKUlT_T0_SG_SL_E_clIS9_SA_SB_SB_EEDaSZ_S10_SG_SL_EUlSZ_E_NS1_11comp_targetILNS1_3genE4ELNS1_11target_archE910ELNS1_3gpuE8ELNS1_3repE0EEENS1_47radix_sort_onesweep_sort_config_static_selectorELNS0_4arch9wavefront6targetE0EEEvSG_
    .private_segment_fixed_size: 0
    .sgpr_count:     0
    .sgpr_spill_count: 0
    .symbol:         _ZN7rocprim17ROCPRIM_400000_NS6detail17trampoline_kernelINS0_14default_configENS1_35radix_sort_onesweep_config_selectorIdNS0_10empty_typeEEEZZNS1_29radix_sort_onesweep_iterationIS3_Lb1EPKdPdPS5_SB_mNS0_19identity_decomposerENS1_16block_id_wrapperIjLb0EEEEE10hipError_tT1_PNSt15iterator_traitsISG_E10value_typeET2_T3_PNSH_ISM_E10value_typeET4_T5_PSR_SS_PNS1_23onesweep_lookback_stateEbbT6_jjT7_P12ihipStream_tbENKUlT_T0_SG_SL_E_clIS9_SA_SB_SB_EEDaSZ_S10_SG_SL_EUlSZ_E_NS1_11comp_targetILNS1_3genE4ELNS1_11target_archE910ELNS1_3gpuE8ELNS1_3repE0EEENS1_47radix_sort_onesweep_sort_config_static_selectorELNS0_4arch9wavefront6targetE0EEEvSG_.kd
    .uniform_work_group_size: 1
    .uses_dynamic_stack: false
    .vgpr_count:     0
    .vgpr_spill_count: 0
    .wavefront_size: 32
  - .args:
      - .offset:         0
        .size:           88
        .value_kind:     by_value
    .group_segment_fixed_size: 0
    .kernarg_segment_align: 8
    .kernarg_segment_size: 88
    .language:       OpenCL C
    .language_version:
      - 2
      - 0
    .max_flat_workgroup_size: 512
    .name:           _ZN7rocprim17ROCPRIM_400000_NS6detail17trampoline_kernelINS0_14default_configENS1_35radix_sort_onesweep_config_selectorIdNS0_10empty_typeEEEZZNS1_29radix_sort_onesweep_iterationIS3_Lb1EPKdPdPS5_SB_mNS0_19identity_decomposerENS1_16block_id_wrapperIjLb0EEEEE10hipError_tT1_PNSt15iterator_traitsISG_E10value_typeET2_T3_PNSH_ISM_E10value_typeET4_T5_PSR_SS_PNS1_23onesweep_lookback_stateEbbT6_jjT7_P12ihipStream_tbENKUlT_T0_SG_SL_E_clIS9_SA_SB_SB_EEDaSZ_S10_SG_SL_EUlSZ_E_NS1_11comp_targetILNS1_3genE3ELNS1_11target_archE908ELNS1_3gpuE7ELNS1_3repE0EEENS1_47radix_sort_onesweep_sort_config_static_selectorELNS0_4arch9wavefront6targetE0EEEvSG_
    .private_segment_fixed_size: 0
    .sgpr_count:     0
    .sgpr_spill_count: 0
    .symbol:         _ZN7rocprim17ROCPRIM_400000_NS6detail17trampoline_kernelINS0_14default_configENS1_35radix_sort_onesweep_config_selectorIdNS0_10empty_typeEEEZZNS1_29radix_sort_onesweep_iterationIS3_Lb1EPKdPdPS5_SB_mNS0_19identity_decomposerENS1_16block_id_wrapperIjLb0EEEEE10hipError_tT1_PNSt15iterator_traitsISG_E10value_typeET2_T3_PNSH_ISM_E10value_typeET4_T5_PSR_SS_PNS1_23onesweep_lookback_stateEbbT6_jjT7_P12ihipStream_tbENKUlT_T0_SG_SL_E_clIS9_SA_SB_SB_EEDaSZ_S10_SG_SL_EUlSZ_E_NS1_11comp_targetILNS1_3genE3ELNS1_11target_archE908ELNS1_3gpuE7ELNS1_3repE0EEENS1_47radix_sort_onesweep_sort_config_static_selectorELNS0_4arch9wavefront6targetE0EEEvSG_.kd
    .uniform_work_group_size: 1
    .uses_dynamic_stack: false
    .vgpr_count:     0
    .vgpr_spill_count: 0
    .wavefront_size: 32
  - .args:
      - .offset:         0
        .size:           88
        .value_kind:     by_value
    .group_segment_fixed_size: 0
    .kernarg_segment_align: 8
    .kernarg_segment_size: 88
    .language:       OpenCL C
    .language_version:
      - 2
      - 0
    .max_flat_workgroup_size: 512
    .name:           _ZN7rocprim17ROCPRIM_400000_NS6detail17trampoline_kernelINS0_14default_configENS1_35radix_sort_onesweep_config_selectorIdNS0_10empty_typeEEEZZNS1_29radix_sort_onesweep_iterationIS3_Lb1EPKdPdPS5_SB_mNS0_19identity_decomposerENS1_16block_id_wrapperIjLb0EEEEE10hipError_tT1_PNSt15iterator_traitsISG_E10value_typeET2_T3_PNSH_ISM_E10value_typeET4_T5_PSR_SS_PNS1_23onesweep_lookback_stateEbbT6_jjT7_P12ihipStream_tbENKUlT_T0_SG_SL_E_clIS9_SA_SB_SB_EEDaSZ_S10_SG_SL_EUlSZ_E_NS1_11comp_targetILNS1_3genE10ELNS1_11target_archE1201ELNS1_3gpuE5ELNS1_3repE0EEENS1_47radix_sort_onesweep_sort_config_static_selectorELNS0_4arch9wavefront6targetE0EEEvSG_
    .private_segment_fixed_size: 0
    .sgpr_count:     0
    .sgpr_spill_count: 0
    .symbol:         _ZN7rocprim17ROCPRIM_400000_NS6detail17trampoline_kernelINS0_14default_configENS1_35radix_sort_onesweep_config_selectorIdNS0_10empty_typeEEEZZNS1_29radix_sort_onesweep_iterationIS3_Lb1EPKdPdPS5_SB_mNS0_19identity_decomposerENS1_16block_id_wrapperIjLb0EEEEE10hipError_tT1_PNSt15iterator_traitsISG_E10value_typeET2_T3_PNSH_ISM_E10value_typeET4_T5_PSR_SS_PNS1_23onesweep_lookback_stateEbbT6_jjT7_P12ihipStream_tbENKUlT_T0_SG_SL_E_clIS9_SA_SB_SB_EEDaSZ_S10_SG_SL_EUlSZ_E_NS1_11comp_targetILNS1_3genE10ELNS1_11target_archE1201ELNS1_3gpuE5ELNS1_3repE0EEENS1_47radix_sort_onesweep_sort_config_static_selectorELNS0_4arch9wavefront6targetE0EEEvSG_.kd
    .uniform_work_group_size: 1
    .uses_dynamic_stack: false
    .vgpr_count:     0
    .vgpr_spill_count: 0
    .wavefront_size: 32
  - .args:
      - .offset:         0
        .size:           88
        .value_kind:     by_value
    .group_segment_fixed_size: 0
    .kernarg_segment_align: 8
    .kernarg_segment_size: 88
    .language:       OpenCL C
    .language_version:
      - 2
      - 0
    .max_flat_workgroup_size: 1024
    .name:           _ZN7rocprim17ROCPRIM_400000_NS6detail17trampoline_kernelINS0_14default_configENS1_35radix_sort_onesweep_config_selectorIdNS0_10empty_typeEEEZZNS1_29radix_sort_onesweep_iterationIS3_Lb1EPKdPdPS5_SB_mNS0_19identity_decomposerENS1_16block_id_wrapperIjLb0EEEEE10hipError_tT1_PNSt15iterator_traitsISG_E10value_typeET2_T3_PNSH_ISM_E10value_typeET4_T5_PSR_SS_PNS1_23onesweep_lookback_stateEbbT6_jjT7_P12ihipStream_tbENKUlT_T0_SG_SL_E_clIS9_SA_SB_SB_EEDaSZ_S10_SG_SL_EUlSZ_E_NS1_11comp_targetILNS1_3genE9ELNS1_11target_archE1100ELNS1_3gpuE3ELNS1_3repE0EEENS1_47radix_sort_onesweep_sort_config_static_selectorELNS0_4arch9wavefront6targetE0EEEvSG_
    .private_segment_fixed_size: 0
    .sgpr_count:     0
    .sgpr_spill_count: 0
    .symbol:         _ZN7rocprim17ROCPRIM_400000_NS6detail17trampoline_kernelINS0_14default_configENS1_35radix_sort_onesweep_config_selectorIdNS0_10empty_typeEEEZZNS1_29radix_sort_onesweep_iterationIS3_Lb1EPKdPdPS5_SB_mNS0_19identity_decomposerENS1_16block_id_wrapperIjLb0EEEEE10hipError_tT1_PNSt15iterator_traitsISG_E10value_typeET2_T3_PNSH_ISM_E10value_typeET4_T5_PSR_SS_PNS1_23onesweep_lookback_stateEbbT6_jjT7_P12ihipStream_tbENKUlT_T0_SG_SL_E_clIS9_SA_SB_SB_EEDaSZ_S10_SG_SL_EUlSZ_E_NS1_11comp_targetILNS1_3genE9ELNS1_11target_archE1100ELNS1_3gpuE3ELNS1_3repE0EEENS1_47radix_sort_onesweep_sort_config_static_selectorELNS0_4arch9wavefront6targetE0EEEvSG_.kd
    .uniform_work_group_size: 1
    .uses_dynamic_stack: false
    .vgpr_count:     0
    .vgpr_spill_count: 0
    .wavefront_size: 32
  - .args:
      - .offset:         0
        .size:           88
        .value_kind:     by_value
    .group_segment_fixed_size: 0
    .kernarg_segment_align: 8
    .kernarg_segment_size: 88
    .language:       OpenCL C
    .language_version:
      - 2
      - 0
    .max_flat_workgroup_size: 1024
    .name:           _ZN7rocprim17ROCPRIM_400000_NS6detail17trampoline_kernelINS0_14default_configENS1_35radix_sort_onesweep_config_selectorIdNS0_10empty_typeEEEZZNS1_29radix_sort_onesweep_iterationIS3_Lb1EPKdPdPS5_SB_mNS0_19identity_decomposerENS1_16block_id_wrapperIjLb0EEEEE10hipError_tT1_PNSt15iterator_traitsISG_E10value_typeET2_T3_PNSH_ISM_E10value_typeET4_T5_PSR_SS_PNS1_23onesweep_lookback_stateEbbT6_jjT7_P12ihipStream_tbENKUlT_T0_SG_SL_E_clIS9_SA_SB_SB_EEDaSZ_S10_SG_SL_EUlSZ_E_NS1_11comp_targetILNS1_3genE8ELNS1_11target_archE1030ELNS1_3gpuE2ELNS1_3repE0EEENS1_47radix_sort_onesweep_sort_config_static_selectorELNS0_4arch9wavefront6targetE0EEEvSG_
    .private_segment_fixed_size: 0
    .sgpr_count:     0
    .sgpr_spill_count: 0
    .symbol:         _ZN7rocprim17ROCPRIM_400000_NS6detail17trampoline_kernelINS0_14default_configENS1_35radix_sort_onesweep_config_selectorIdNS0_10empty_typeEEEZZNS1_29radix_sort_onesweep_iterationIS3_Lb1EPKdPdPS5_SB_mNS0_19identity_decomposerENS1_16block_id_wrapperIjLb0EEEEE10hipError_tT1_PNSt15iterator_traitsISG_E10value_typeET2_T3_PNSH_ISM_E10value_typeET4_T5_PSR_SS_PNS1_23onesweep_lookback_stateEbbT6_jjT7_P12ihipStream_tbENKUlT_T0_SG_SL_E_clIS9_SA_SB_SB_EEDaSZ_S10_SG_SL_EUlSZ_E_NS1_11comp_targetILNS1_3genE8ELNS1_11target_archE1030ELNS1_3gpuE2ELNS1_3repE0EEENS1_47radix_sort_onesweep_sort_config_static_selectorELNS0_4arch9wavefront6targetE0EEEvSG_.kd
    .uniform_work_group_size: 1
    .uses_dynamic_stack: false
    .vgpr_count:     0
    .vgpr_spill_count: 0
    .wavefront_size: 32
  - .args:
      - .offset:         0
        .size:           88
        .value_kind:     by_value
      - .offset:         88
        .size:           4
        .value_kind:     hidden_block_count_x
      - .offset:         92
        .size:           4
        .value_kind:     hidden_block_count_y
      - .offset:         96
        .size:           4
        .value_kind:     hidden_block_count_z
      - .offset:         100
        .size:           2
        .value_kind:     hidden_group_size_x
      - .offset:         102
        .size:           2
        .value_kind:     hidden_group_size_y
      - .offset:         104
        .size:           2
        .value_kind:     hidden_group_size_z
      - .offset:         106
        .size:           2
        .value_kind:     hidden_remainder_x
      - .offset:         108
        .size:           2
        .value_kind:     hidden_remainder_y
      - .offset:         110
        .size:           2
        .value_kind:     hidden_remainder_z
      - .offset:         128
        .size:           8
        .value_kind:     hidden_global_offset_x
      - .offset:         136
        .size:           8
        .value_kind:     hidden_global_offset_y
      - .offset:         144
        .size:           8
        .value_kind:     hidden_global_offset_z
      - .offset:         152
        .size:           2
        .value_kind:     hidden_grid_dims
    .group_segment_fixed_size: 18504
    .kernarg_segment_align: 8
    .kernarg_segment_size: 344
    .language:       OpenCL C
    .language_version:
      - 2
      - 0
    .max_flat_workgroup_size: 512
    .name:           _ZN7rocprim17ROCPRIM_400000_NS6detail17trampoline_kernelINS0_14default_configENS1_35radix_sort_onesweep_config_selectorIdNS0_10empty_typeEEEZZNS1_29radix_sort_onesweep_iterationIS3_Lb1EPKdPdPS5_SB_mNS0_19identity_decomposerENS1_16block_id_wrapperIjLb0EEEEE10hipError_tT1_PNSt15iterator_traitsISG_E10value_typeET2_T3_PNSH_ISM_E10value_typeET4_T5_PSR_SS_PNS1_23onesweep_lookback_stateEbbT6_jjT7_P12ihipStream_tbENKUlT_T0_SG_SL_E_clISA_SA_SB_SB_EEDaSZ_S10_SG_SL_EUlSZ_E_NS1_11comp_targetILNS1_3genE0ELNS1_11target_archE4294967295ELNS1_3gpuE0ELNS1_3repE0EEENS1_47radix_sort_onesweep_sort_config_static_selectorELNS0_4arch9wavefront6targetE0EEEvSG_
    .private_segment_fixed_size: 0
    .sgpr_count:     32
    .sgpr_spill_count: 0
    .symbol:         _ZN7rocprim17ROCPRIM_400000_NS6detail17trampoline_kernelINS0_14default_configENS1_35radix_sort_onesweep_config_selectorIdNS0_10empty_typeEEEZZNS1_29radix_sort_onesweep_iterationIS3_Lb1EPKdPdPS5_SB_mNS0_19identity_decomposerENS1_16block_id_wrapperIjLb0EEEEE10hipError_tT1_PNSt15iterator_traitsISG_E10value_typeET2_T3_PNSH_ISM_E10value_typeET4_T5_PSR_SS_PNS1_23onesweep_lookback_stateEbbT6_jjT7_P12ihipStream_tbENKUlT_T0_SG_SL_E_clISA_SA_SB_SB_EEDaSZ_S10_SG_SL_EUlSZ_E_NS1_11comp_targetILNS1_3genE0ELNS1_11target_archE4294967295ELNS1_3gpuE0ELNS1_3repE0EEENS1_47radix_sort_onesweep_sort_config_static_selectorELNS0_4arch9wavefront6targetE0EEEvSG_.kd
    .uniform_work_group_size: 1
    .uses_dynamic_stack: false
    .vgpr_count:     57
    .vgpr_spill_count: 0
    .wavefront_size: 32
  - .args:
      - .offset:         0
        .size:           88
        .value_kind:     by_value
    .group_segment_fixed_size: 0
    .kernarg_segment_align: 8
    .kernarg_segment_size: 88
    .language:       OpenCL C
    .language_version:
      - 2
      - 0
    .max_flat_workgroup_size: 512
    .name:           _ZN7rocprim17ROCPRIM_400000_NS6detail17trampoline_kernelINS0_14default_configENS1_35radix_sort_onesweep_config_selectorIdNS0_10empty_typeEEEZZNS1_29radix_sort_onesweep_iterationIS3_Lb1EPKdPdPS5_SB_mNS0_19identity_decomposerENS1_16block_id_wrapperIjLb0EEEEE10hipError_tT1_PNSt15iterator_traitsISG_E10value_typeET2_T3_PNSH_ISM_E10value_typeET4_T5_PSR_SS_PNS1_23onesweep_lookback_stateEbbT6_jjT7_P12ihipStream_tbENKUlT_T0_SG_SL_E_clISA_SA_SB_SB_EEDaSZ_S10_SG_SL_EUlSZ_E_NS1_11comp_targetILNS1_3genE6ELNS1_11target_archE950ELNS1_3gpuE13ELNS1_3repE0EEENS1_47radix_sort_onesweep_sort_config_static_selectorELNS0_4arch9wavefront6targetE0EEEvSG_
    .private_segment_fixed_size: 0
    .sgpr_count:     0
    .sgpr_spill_count: 0
    .symbol:         _ZN7rocprim17ROCPRIM_400000_NS6detail17trampoline_kernelINS0_14default_configENS1_35radix_sort_onesweep_config_selectorIdNS0_10empty_typeEEEZZNS1_29radix_sort_onesweep_iterationIS3_Lb1EPKdPdPS5_SB_mNS0_19identity_decomposerENS1_16block_id_wrapperIjLb0EEEEE10hipError_tT1_PNSt15iterator_traitsISG_E10value_typeET2_T3_PNSH_ISM_E10value_typeET4_T5_PSR_SS_PNS1_23onesweep_lookback_stateEbbT6_jjT7_P12ihipStream_tbENKUlT_T0_SG_SL_E_clISA_SA_SB_SB_EEDaSZ_S10_SG_SL_EUlSZ_E_NS1_11comp_targetILNS1_3genE6ELNS1_11target_archE950ELNS1_3gpuE13ELNS1_3repE0EEENS1_47radix_sort_onesweep_sort_config_static_selectorELNS0_4arch9wavefront6targetE0EEEvSG_.kd
    .uniform_work_group_size: 1
    .uses_dynamic_stack: false
    .vgpr_count:     0
    .vgpr_spill_count: 0
    .wavefront_size: 32
  - .args:
      - .offset:         0
        .size:           88
        .value_kind:     by_value
    .group_segment_fixed_size: 0
    .kernarg_segment_align: 8
    .kernarg_segment_size: 88
    .language:       OpenCL C
    .language_version:
      - 2
      - 0
    .max_flat_workgroup_size: 512
    .name:           _ZN7rocprim17ROCPRIM_400000_NS6detail17trampoline_kernelINS0_14default_configENS1_35radix_sort_onesweep_config_selectorIdNS0_10empty_typeEEEZZNS1_29radix_sort_onesweep_iterationIS3_Lb1EPKdPdPS5_SB_mNS0_19identity_decomposerENS1_16block_id_wrapperIjLb0EEEEE10hipError_tT1_PNSt15iterator_traitsISG_E10value_typeET2_T3_PNSH_ISM_E10value_typeET4_T5_PSR_SS_PNS1_23onesweep_lookback_stateEbbT6_jjT7_P12ihipStream_tbENKUlT_T0_SG_SL_E_clISA_SA_SB_SB_EEDaSZ_S10_SG_SL_EUlSZ_E_NS1_11comp_targetILNS1_3genE5ELNS1_11target_archE942ELNS1_3gpuE9ELNS1_3repE0EEENS1_47radix_sort_onesweep_sort_config_static_selectorELNS0_4arch9wavefront6targetE0EEEvSG_
    .private_segment_fixed_size: 0
    .sgpr_count:     0
    .sgpr_spill_count: 0
    .symbol:         _ZN7rocprim17ROCPRIM_400000_NS6detail17trampoline_kernelINS0_14default_configENS1_35radix_sort_onesweep_config_selectorIdNS0_10empty_typeEEEZZNS1_29radix_sort_onesweep_iterationIS3_Lb1EPKdPdPS5_SB_mNS0_19identity_decomposerENS1_16block_id_wrapperIjLb0EEEEE10hipError_tT1_PNSt15iterator_traitsISG_E10value_typeET2_T3_PNSH_ISM_E10value_typeET4_T5_PSR_SS_PNS1_23onesweep_lookback_stateEbbT6_jjT7_P12ihipStream_tbENKUlT_T0_SG_SL_E_clISA_SA_SB_SB_EEDaSZ_S10_SG_SL_EUlSZ_E_NS1_11comp_targetILNS1_3genE5ELNS1_11target_archE942ELNS1_3gpuE9ELNS1_3repE0EEENS1_47radix_sort_onesweep_sort_config_static_selectorELNS0_4arch9wavefront6targetE0EEEvSG_.kd
    .uniform_work_group_size: 1
    .uses_dynamic_stack: false
    .vgpr_count:     0
    .vgpr_spill_count: 0
    .wavefront_size: 32
  - .args:
      - .offset:         0
        .size:           88
        .value_kind:     by_value
    .group_segment_fixed_size: 0
    .kernarg_segment_align: 8
    .kernarg_segment_size: 88
    .language:       OpenCL C
    .language_version:
      - 2
      - 0
    .max_flat_workgroup_size: 512
    .name:           _ZN7rocprim17ROCPRIM_400000_NS6detail17trampoline_kernelINS0_14default_configENS1_35radix_sort_onesweep_config_selectorIdNS0_10empty_typeEEEZZNS1_29radix_sort_onesweep_iterationIS3_Lb1EPKdPdPS5_SB_mNS0_19identity_decomposerENS1_16block_id_wrapperIjLb0EEEEE10hipError_tT1_PNSt15iterator_traitsISG_E10value_typeET2_T3_PNSH_ISM_E10value_typeET4_T5_PSR_SS_PNS1_23onesweep_lookback_stateEbbT6_jjT7_P12ihipStream_tbENKUlT_T0_SG_SL_E_clISA_SA_SB_SB_EEDaSZ_S10_SG_SL_EUlSZ_E_NS1_11comp_targetILNS1_3genE2ELNS1_11target_archE906ELNS1_3gpuE6ELNS1_3repE0EEENS1_47radix_sort_onesweep_sort_config_static_selectorELNS0_4arch9wavefront6targetE0EEEvSG_
    .private_segment_fixed_size: 0
    .sgpr_count:     0
    .sgpr_spill_count: 0
    .symbol:         _ZN7rocprim17ROCPRIM_400000_NS6detail17trampoline_kernelINS0_14default_configENS1_35radix_sort_onesweep_config_selectorIdNS0_10empty_typeEEEZZNS1_29radix_sort_onesweep_iterationIS3_Lb1EPKdPdPS5_SB_mNS0_19identity_decomposerENS1_16block_id_wrapperIjLb0EEEEE10hipError_tT1_PNSt15iterator_traitsISG_E10value_typeET2_T3_PNSH_ISM_E10value_typeET4_T5_PSR_SS_PNS1_23onesweep_lookback_stateEbbT6_jjT7_P12ihipStream_tbENKUlT_T0_SG_SL_E_clISA_SA_SB_SB_EEDaSZ_S10_SG_SL_EUlSZ_E_NS1_11comp_targetILNS1_3genE2ELNS1_11target_archE906ELNS1_3gpuE6ELNS1_3repE0EEENS1_47radix_sort_onesweep_sort_config_static_selectorELNS0_4arch9wavefront6targetE0EEEvSG_.kd
    .uniform_work_group_size: 1
    .uses_dynamic_stack: false
    .vgpr_count:     0
    .vgpr_spill_count: 0
    .wavefront_size: 32
  - .args:
      - .offset:         0
        .size:           88
        .value_kind:     by_value
    .group_segment_fixed_size: 0
    .kernarg_segment_align: 8
    .kernarg_segment_size: 88
    .language:       OpenCL C
    .language_version:
      - 2
      - 0
    .max_flat_workgroup_size: 1024
    .name:           _ZN7rocprim17ROCPRIM_400000_NS6detail17trampoline_kernelINS0_14default_configENS1_35radix_sort_onesweep_config_selectorIdNS0_10empty_typeEEEZZNS1_29radix_sort_onesweep_iterationIS3_Lb1EPKdPdPS5_SB_mNS0_19identity_decomposerENS1_16block_id_wrapperIjLb0EEEEE10hipError_tT1_PNSt15iterator_traitsISG_E10value_typeET2_T3_PNSH_ISM_E10value_typeET4_T5_PSR_SS_PNS1_23onesweep_lookback_stateEbbT6_jjT7_P12ihipStream_tbENKUlT_T0_SG_SL_E_clISA_SA_SB_SB_EEDaSZ_S10_SG_SL_EUlSZ_E_NS1_11comp_targetILNS1_3genE4ELNS1_11target_archE910ELNS1_3gpuE8ELNS1_3repE0EEENS1_47radix_sort_onesweep_sort_config_static_selectorELNS0_4arch9wavefront6targetE0EEEvSG_
    .private_segment_fixed_size: 0
    .sgpr_count:     0
    .sgpr_spill_count: 0
    .symbol:         _ZN7rocprim17ROCPRIM_400000_NS6detail17trampoline_kernelINS0_14default_configENS1_35radix_sort_onesweep_config_selectorIdNS0_10empty_typeEEEZZNS1_29radix_sort_onesweep_iterationIS3_Lb1EPKdPdPS5_SB_mNS0_19identity_decomposerENS1_16block_id_wrapperIjLb0EEEEE10hipError_tT1_PNSt15iterator_traitsISG_E10value_typeET2_T3_PNSH_ISM_E10value_typeET4_T5_PSR_SS_PNS1_23onesweep_lookback_stateEbbT6_jjT7_P12ihipStream_tbENKUlT_T0_SG_SL_E_clISA_SA_SB_SB_EEDaSZ_S10_SG_SL_EUlSZ_E_NS1_11comp_targetILNS1_3genE4ELNS1_11target_archE910ELNS1_3gpuE8ELNS1_3repE0EEENS1_47radix_sort_onesweep_sort_config_static_selectorELNS0_4arch9wavefront6targetE0EEEvSG_.kd
    .uniform_work_group_size: 1
    .uses_dynamic_stack: false
    .vgpr_count:     0
    .vgpr_spill_count: 0
    .wavefront_size: 32
  - .args:
      - .offset:         0
        .size:           88
        .value_kind:     by_value
    .group_segment_fixed_size: 0
    .kernarg_segment_align: 8
    .kernarg_segment_size: 88
    .language:       OpenCL C
    .language_version:
      - 2
      - 0
    .max_flat_workgroup_size: 512
    .name:           _ZN7rocprim17ROCPRIM_400000_NS6detail17trampoline_kernelINS0_14default_configENS1_35radix_sort_onesweep_config_selectorIdNS0_10empty_typeEEEZZNS1_29radix_sort_onesweep_iterationIS3_Lb1EPKdPdPS5_SB_mNS0_19identity_decomposerENS1_16block_id_wrapperIjLb0EEEEE10hipError_tT1_PNSt15iterator_traitsISG_E10value_typeET2_T3_PNSH_ISM_E10value_typeET4_T5_PSR_SS_PNS1_23onesweep_lookback_stateEbbT6_jjT7_P12ihipStream_tbENKUlT_T0_SG_SL_E_clISA_SA_SB_SB_EEDaSZ_S10_SG_SL_EUlSZ_E_NS1_11comp_targetILNS1_3genE3ELNS1_11target_archE908ELNS1_3gpuE7ELNS1_3repE0EEENS1_47radix_sort_onesweep_sort_config_static_selectorELNS0_4arch9wavefront6targetE0EEEvSG_
    .private_segment_fixed_size: 0
    .sgpr_count:     0
    .sgpr_spill_count: 0
    .symbol:         _ZN7rocprim17ROCPRIM_400000_NS6detail17trampoline_kernelINS0_14default_configENS1_35radix_sort_onesweep_config_selectorIdNS0_10empty_typeEEEZZNS1_29radix_sort_onesweep_iterationIS3_Lb1EPKdPdPS5_SB_mNS0_19identity_decomposerENS1_16block_id_wrapperIjLb0EEEEE10hipError_tT1_PNSt15iterator_traitsISG_E10value_typeET2_T3_PNSH_ISM_E10value_typeET4_T5_PSR_SS_PNS1_23onesweep_lookback_stateEbbT6_jjT7_P12ihipStream_tbENKUlT_T0_SG_SL_E_clISA_SA_SB_SB_EEDaSZ_S10_SG_SL_EUlSZ_E_NS1_11comp_targetILNS1_3genE3ELNS1_11target_archE908ELNS1_3gpuE7ELNS1_3repE0EEENS1_47radix_sort_onesweep_sort_config_static_selectorELNS0_4arch9wavefront6targetE0EEEvSG_.kd
    .uniform_work_group_size: 1
    .uses_dynamic_stack: false
    .vgpr_count:     0
    .vgpr_spill_count: 0
    .wavefront_size: 32
  - .args:
      - .offset:         0
        .size:           88
        .value_kind:     by_value
    .group_segment_fixed_size: 0
    .kernarg_segment_align: 8
    .kernarg_segment_size: 88
    .language:       OpenCL C
    .language_version:
      - 2
      - 0
    .max_flat_workgroup_size: 512
    .name:           _ZN7rocprim17ROCPRIM_400000_NS6detail17trampoline_kernelINS0_14default_configENS1_35radix_sort_onesweep_config_selectorIdNS0_10empty_typeEEEZZNS1_29radix_sort_onesweep_iterationIS3_Lb1EPKdPdPS5_SB_mNS0_19identity_decomposerENS1_16block_id_wrapperIjLb0EEEEE10hipError_tT1_PNSt15iterator_traitsISG_E10value_typeET2_T3_PNSH_ISM_E10value_typeET4_T5_PSR_SS_PNS1_23onesweep_lookback_stateEbbT6_jjT7_P12ihipStream_tbENKUlT_T0_SG_SL_E_clISA_SA_SB_SB_EEDaSZ_S10_SG_SL_EUlSZ_E_NS1_11comp_targetILNS1_3genE10ELNS1_11target_archE1201ELNS1_3gpuE5ELNS1_3repE0EEENS1_47radix_sort_onesweep_sort_config_static_selectorELNS0_4arch9wavefront6targetE0EEEvSG_
    .private_segment_fixed_size: 0
    .sgpr_count:     0
    .sgpr_spill_count: 0
    .symbol:         _ZN7rocprim17ROCPRIM_400000_NS6detail17trampoline_kernelINS0_14default_configENS1_35radix_sort_onesweep_config_selectorIdNS0_10empty_typeEEEZZNS1_29radix_sort_onesweep_iterationIS3_Lb1EPKdPdPS5_SB_mNS0_19identity_decomposerENS1_16block_id_wrapperIjLb0EEEEE10hipError_tT1_PNSt15iterator_traitsISG_E10value_typeET2_T3_PNSH_ISM_E10value_typeET4_T5_PSR_SS_PNS1_23onesweep_lookback_stateEbbT6_jjT7_P12ihipStream_tbENKUlT_T0_SG_SL_E_clISA_SA_SB_SB_EEDaSZ_S10_SG_SL_EUlSZ_E_NS1_11comp_targetILNS1_3genE10ELNS1_11target_archE1201ELNS1_3gpuE5ELNS1_3repE0EEENS1_47radix_sort_onesweep_sort_config_static_selectorELNS0_4arch9wavefront6targetE0EEEvSG_.kd
    .uniform_work_group_size: 1
    .uses_dynamic_stack: false
    .vgpr_count:     0
    .vgpr_spill_count: 0
    .wavefront_size: 32
  - .args:
      - .offset:         0
        .size:           88
        .value_kind:     by_value
    .group_segment_fixed_size: 0
    .kernarg_segment_align: 8
    .kernarg_segment_size: 88
    .language:       OpenCL C
    .language_version:
      - 2
      - 0
    .max_flat_workgroup_size: 1024
    .name:           _ZN7rocprim17ROCPRIM_400000_NS6detail17trampoline_kernelINS0_14default_configENS1_35radix_sort_onesweep_config_selectorIdNS0_10empty_typeEEEZZNS1_29radix_sort_onesweep_iterationIS3_Lb1EPKdPdPS5_SB_mNS0_19identity_decomposerENS1_16block_id_wrapperIjLb0EEEEE10hipError_tT1_PNSt15iterator_traitsISG_E10value_typeET2_T3_PNSH_ISM_E10value_typeET4_T5_PSR_SS_PNS1_23onesweep_lookback_stateEbbT6_jjT7_P12ihipStream_tbENKUlT_T0_SG_SL_E_clISA_SA_SB_SB_EEDaSZ_S10_SG_SL_EUlSZ_E_NS1_11comp_targetILNS1_3genE9ELNS1_11target_archE1100ELNS1_3gpuE3ELNS1_3repE0EEENS1_47radix_sort_onesweep_sort_config_static_selectorELNS0_4arch9wavefront6targetE0EEEvSG_
    .private_segment_fixed_size: 0
    .sgpr_count:     0
    .sgpr_spill_count: 0
    .symbol:         _ZN7rocprim17ROCPRIM_400000_NS6detail17trampoline_kernelINS0_14default_configENS1_35radix_sort_onesweep_config_selectorIdNS0_10empty_typeEEEZZNS1_29radix_sort_onesweep_iterationIS3_Lb1EPKdPdPS5_SB_mNS0_19identity_decomposerENS1_16block_id_wrapperIjLb0EEEEE10hipError_tT1_PNSt15iterator_traitsISG_E10value_typeET2_T3_PNSH_ISM_E10value_typeET4_T5_PSR_SS_PNS1_23onesweep_lookback_stateEbbT6_jjT7_P12ihipStream_tbENKUlT_T0_SG_SL_E_clISA_SA_SB_SB_EEDaSZ_S10_SG_SL_EUlSZ_E_NS1_11comp_targetILNS1_3genE9ELNS1_11target_archE1100ELNS1_3gpuE3ELNS1_3repE0EEENS1_47radix_sort_onesweep_sort_config_static_selectorELNS0_4arch9wavefront6targetE0EEEvSG_.kd
    .uniform_work_group_size: 1
    .uses_dynamic_stack: false
    .vgpr_count:     0
    .vgpr_spill_count: 0
    .wavefront_size: 32
  - .args:
      - .offset:         0
        .size:           88
        .value_kind:     by_value
    .group_segment_fixed_size: 0
    .kernarg_segment_align: 8
    .kernarg_segment_size: 88
    .language:       OpenCL C
    .language_version:
      - 2
      - 0
    .max_flat_workgroup_size: 1024
    .name:           _ZN7rocprim17ROCPRIM_400000_NS6detail17trampoline_kernelINS0_14default_configENS1_35radix_sort_onesweep_config_selectorIdNS0_10empty_typeEEEZZNS1_29radix_sort_onesweep_iterationIS3_Lb1EPKdPdPS5_SB_mNS0_19identity_decomposerENS1_16block_id_wrapperIjLb0EEEEE10hipError_tT1_PNSt15iterator_traitsISG_E10value_typeET2_T3_PNSH_ISM_E10value_typeET4_T5_PSR_SS_PNS1_23onesweep_lookback_stateEbbT6_jjT7_P12ihipStream_tbENKUlT_T0_SG_SL_E_clISA_SA_SB_SB_EEDaSZ_S10_SG_SL_EUlSZ_E_NS1_11comp_targetILNS1_3genE8ELNS1_11target_archE1030ELNS1_3gpuE2ELNS1_3repE0EEENS1_47radix_sort_onesweep_sort_config_static_selectorELNS0_4arch9wavefront6targetE0EEEvSG_
    .private_segment_fixed_size: 0
    .sgpr_count:     0
    .sgpr_spill_count: 0
    .symbol:         _ZN7rocprim17ROCPRIM_400000_NS6detail17trampoline_kernelINS0_14default_configENS1_35radix_sort_onesweep_config_selectorIdNS0_10empty_typeEEEZZNS1_29radix_sort_onesweep_iterationIS3_Lb1EPKdPdPS5_SB_mNS0_19identity_decomposerENS1_16block_id_wrapperIjLb0EEEEE10hipError_tT1_PNSt15iterator_traitsISG_E10value_typeET2_T3_PNSH_ISM_E10value_typeET4_T5_PSR_SS_PNS1_23onesweep_lookback_stateEbbT6_jjT7_P12ihipStream_tbENKUlT_T0_SG_SL_E_clISA_SA_SB_SB_EEDaSZ_S10_SG_SL_EUlSZ_E_NS1_11comp_targetILNS1_3genE8ELNS1_11target_archE1030ELNS1_3gpuE2ELNS1_3repE0EEENS1_47radix_sort_onesweep_sort_config_static_selectorELNS0_4arch9wavefront6targetE0EEEvSG_.kd
    .uniform_work_group_size: 1
    .uses_dynamic_stack: false
    .vgpr_count:     0
    .vgpr_spill_count: 0
    .wavefront_size: 32
  - .args:
      - .offset:         0
        .size:           48
        .value_kind:     by_value
      - .offset:         48
        .size:           4
        .value_kind:     hidden_block_count_x
      - .offset:         52
        .size:           4
        .value_kind:     hidden_block_count_y
      - .offset:         56
        .size:           4
        .value_kind:     hidden_block_count_z
      - .offset:         60
        .size:           2
        .value_kind:     hidden_group_size_x
      - .offset:         62
        .size:           2
        .value_kind:     hidden_group_size_y
      - .offset:         64
        .size:           2
        .value_kind:     hidden_group_size_z
      - .offset:         66
        .size:           2
        .value_kind:     hidden_remainder_x
      - .offset:         68
        .size:           2
        .value_kind:     hidden_remainder_y
      - .offset:         70
        .size:           2
        .value_kind:     hidden_remainder_z
      - .offset:         88
        .size:           8
        .value_kind:     hidden_global_offset_x
      - .offset:         96
        .size:           8
        .value_kind:     hidden_global_offset_y
      - .offset:         104
        .size:           8
        .value_kind:     hidden_global_offset_z
      - .offset:         112
        .size:           2
        .value_kind:     hidden_grid_dims
    .group_segment_fixed_size: 8224
    .kernarg_segment_align: 8
    .kernarg_segment_size: 304
    .language:       OpenCL C
    .language_version:
      - 2
      - 0
    .max_flat_workgroup_size: 256
    .name:           _ZN7rocprim17ROCPRIM_400000_NS6detail17trampoline_kernelINS0_13kernel_configILj256ELj4ELj4294967295EEENS1_37radix_sort_block_sort_config_selectorIdNS0_10empty_typeEEEZNS1_21radix_sort_block_sortIS4_Lb0EPKdPdPS6_SC_NS0_19identity_decomposerEEE10hipError_tT1_T2_T3_T4_jRjT5_jjP12ihipStream_tbEUlT_E_NS1_11comp_targetILNS1_3genE0ELNS1_11target_archE4294967295ELNS1_3gpuE0ELNS1_3repE0EEENS1_44radix_sort_block_sort_config_static_selectorELNS0_4arch9wavefront6targetE0EEEvSF_
    .private_segment_fixed_size: 0
    .sgpr_count:     36
    .sgpr_spill_count: 0
    .symbol:         _ZN7rocprim17ROCPRIM_400000_NS6detail17trampoline_kernelINS0_13kernel_configILj256ELj4ELj4294967295EEENS1_37radix_sort_block_sort_config_selectorIdNS0_10empty_typeEEEZNS1_21radix_sort_block_sortIS4_Lb0EPKdPdPS6_SC_NS0_19identity_decomposerEEE10hipError_tT1_T2_T3_T4_jRjT5_jjP12ihipStream_tbEUlT_E_NS1_11comp_targetILNS1_3genE0ELNS1_11target_archE4294967295ELNS1_3gpuE0ELNS1_3repE0EEENS1_44radix_sort_block_sort_config_static_selectorELNS0_4arch9wavefront6targetE0EEEvSF_.kd
    .uniform_work_group_size: 1
    .uses_dynamic_stack: false
    .vgpr_count:     42
    .vgpr_spill_count: 0
    .wavefront_size: 32
  - .args:
      - .offset:         0
        .size:           48
        .value_kind:     by_value
    .group_segment_fixed_size: 0
    .kernarg_segment_align: 8
    .kernarg_segment_size: 48
    .language:       OpenCL C
    .language_version:
      - 2
      - 0
    .max_flat_workgroup_size: 256
    .name:           _ZN7rocprim17ROCPRIM_400000_NS6detail17trampoline_kernelINS0_13kernel_configILj256ELj4ELj4294967295EEENS1_37radix_sort_block_sort_config_selectorIdNS0_10empty_typeEEEZNS1_21radix_sort_block_sortIS4_Lb0EPKdPdPS6_SC_NS0_19identity_decomposerEEE10hipError_tT1_T2_T3_T4_jRjT5_jjP12ihipStream_tbEUlT_E_NS1_11comp_targetILNS1_3genE5ELNS1_11target_archE942ELNS1_3gpuE9ELNS1_3repE0EEENS1_44radix_sort_block_sort_config_static_selectorELNS0_4arch9wavefront6targetE0EEEvSF_
    .private_segment_fixed_size: 0
    .sgpr_count:     0
    .sgpr_spill_count: 0
    .symbol:         _ZN7rocprim17ROCPRIM_400000_NS6detail17trampoline_kernelINS0_13kernel_configILj256ELj4ELj4294967295EEENS1_37radix_sort_block_sort_config_selectorIdNS0_10empty_typeEEEZNS1_21radix_sort_block_sortIS4_Lb0EPKdPdPS6_SC_NS0_19identity_decomposerEEE10hipError_tT1_T2_T3_T4_jRjT5_jjP12ihipStream_tbEUlT_E_NS1_11comp_targetILNS1_3genE5ELNS1_11target_archE942ELNS1_3gpuE9ELNS1_3repE0EEENS1_44radix_sort_block_sort_config_static_selectorELNS0_4arch9wavefront6targetE0EEEvSF_.kd
    .uniform_work_group_size: 1
    .uses_dynamic_stack: false
    .vgpr_count:     0
    .vgpr_spill_count: 0
    .wavefront_size: 32
  - .args:
      - .offset:         0
        .size:           48
        .value_kind:     by_value
    .group_segment_fixed_size: 0
    .kernarg_segment_align: 8
    .kernarg_segment_size: 48
    .language:       OpenCL C
    .language_version:
      - 2
      - 0
    .max_flat_workgroup_size: 256
    .name:           _ZN7rocprim17ROCPRIM_400000_NS6detail17trampoline_kernelINS0_13kernel_configILj256ELj4ELj4294967295EEENS1_37radix_sort_block_sort_config_selectorIdNS0_10empty_typeEEEZNS1_21radix_sort_block_sortIS4_Lb0EPKdPdPS6_SC_NS0_19identity_decomposerEEE10hipError_tT1_T2_T3_T4_jRjT5_jjP12ihipStream_tbEUlT_E_NS1_11comp_targetILNS1_3genE4ELNS1_11target_archE910ELNS1_3gpuE8ELNS1_3repE0EEENS1_44radix_sort_block_sort_config_static_selectorELNS0_4arch9wavefront6targetE0EEEvSF_
    .private_segment_fixed_size: 0
    .sgpr_count:     0
    .sgpr_spill_count: 0
    .symbol:         _ZN7rocprim17ROCPRIM_400000_NS6detail17trampoline_kernelINS0_13kernel_configILj256ELj4ELj4294967295EEENS1_37radix_sort_block_sort_config_selectorIdNS0_10empty_typeEEEZNS1_21radix_sort_block_sortIS4_Lb0EPKdPdPS6_SC_NS0_19identity_decomposerEEE10hipError_tT1_T2_T3_T4_jRjT5_jjP12ihipStream_tbEUlT_E_NS1_11comp_targetILNS1_3genE4ELNS1_11target_archE910ELNS1_3gpuE8ELNS1_3repE0EEENS1_44radix_sort_block_sort_config_static_selectorELNS0_4arch9wavefront6targetE0EEEvSF_.kd
    .uniform_work_group_size: 1
    .uses_dynamic_stack: false
    .vgpr_count:     0
    .vgpr_spill_count: 0
    .wavefront_size: 32
  - .args:
      - .offset:         0
        .size:           48
        .value_kind:     by_value
    .group_segment_fixed_size: 0
    .kernarg_segment_align: 8
    .kernarg_segment_size: 48
    .language:       OpenCL C
    .language_version:
      - 2
      - 0
    .max_flat_workgroup_size: 256
    .name:           _ZN7rocprim17ROCPRIM_400000_NS6detail17trampoline_kernelINS0_13kernel_configILj256ELj4ELj4294967295EEENS1_37radix_sort_block_sort_config_selectorIdNS0_10empty_typeEEEZNS1_21radix_sort_block_sortIS4_Lb0EPKdPdPS6_SC_NS0_19identity_decomposerEEE10hipError_tT1_T2_T3_T4_jRjT5_jjP12ihipStream_tbEUlT_E_NS1_11comp_targetILNS1_3genE3ELNS1_11target_archE908ELNS1_3gpuE7ELNS1_3repE0EEENS1_44radix_sort_block_sort_config_static_selectorELNS0_4arch9wavefront6targetE0EEEvSF_
    .private_segment_fixed_size: 0
    .sgpr_count:     0
    .sgpr_spill_count: 0
    .symbol:         _ZN7rocprim17ROCPRIM_400000_NS6detail17trampoline_kernelINS0_13kernel_configILj256ELj4ELj4294967295EEENS1_37radix_sort_block_sort_config_selectorIdNS0_10empty_typeEEEZNS1_21radix_sort_block_sortIS4_Lb0EPKdPdPS6_SC_NS0_19identity_decomposerEEE10hipError_tT1_T2_T3_T4_jRjT5_jjP12ihipStream_tbEUlT_E_NS1_11comp_targetILNS1_3genE3ELNS1_11target_archE908ELNS1_3gpuE7ELNS1_3repE0EEENS1_44radix_sort_block_sort_config_static_selectorELNS0_4arch9wavefront6targetE0EEEvSF_.kd
    .uniform_work_group_size: 1
    .uses_dynamic_stack: false
    .vgpr_count:     0
    .vgpr_spill_count: 0
    .wavefront_size: 32
  - .args:
      - .offset:         0
        .size:           48
        .value_kind:     by_value
    .group_segment_fixed_size: 0
    .kernarg_segment_align: 8
    .kernarg_segment_size: 48
    .language:       OpenCL C
    .language_version:
      - 2
      - 0
    .max_flat_workgroup_size: 256
    .name:           _ZN7rocprim17ROCPRIM_400000_NS6detail17trampoline_kernelINS0_13kernel_configILj256ELj4ELj4294967295EEENS1_37radix_sort_block_sort_config_selectorIdNS0_10empty_typeEEEZNS1_21radix_sort_block_sortIS4_Lb0EPKdPdPS6_SC_NS0_19identity_decomposerEEE10hipError_tT1_T2_T3_T4_jRjT5_jjP12ihipStream_tbEUlT_E_NS1_11comp_targetILNS1_3genE2ELNS1_11target_archE906ELNS1_3gpuE6ELNS1_3repE0EEENS1_44radix_sort_block_sort_config_static_selectorELNS0_4arch9wavefront6targetE0EEEvSF_
    .private_segment_fixed_size: 0
    .sgpr_count:     0
    .sgpr_spill_count: 0
    .symbol:         _ZN7rocprim17ROCPRIM_400000_NS6detail17trampoline_kernelINS0_13kernel_configILj256ELj4ELj4294967295EEENS1_37radix_sort_block_sort_config_selectorIdNS0_10empty_typeEEEZNS1_21radix_sort_block_sortIS4_Lb0EPKdPdPS6_SC_NS0_19identity_decomposerEEE10hipError_tT1_T2_T3_T4_jRjT5_jjP12ihipStream_tbEUlT_E_NS1_11comp_targetILNS1_3genE2ELNS1_11target_archE906ELNS1_3gpuE6ELNS1_3repE0EEENS1_44radix_sort_block_sort_config_static_selectorELNS0_4arch9wavefront6targetE0EEEvSF_.kd
    .uniform_work_group_size: 1
    .uses_dynamic_stack: false
    .vgpr_count:     0
    .vgpr_spill_count: 0
    .wavefront_size: 32
  - .args:
      - .offset:         0
        .size:           48
        .value_kind:     by_value
    .group_segment_fixed_size: 0
    .kernarg_segment_align: 8
    .kernarg_segment_size: 48
    .language:       OpenCL C
    .language_version:
      - 2
      - 0
    .max_flat_workgroup_size: 256
    .name:           _ZN7rocprim17ROCPRIM_400000_NS6detail17trampoline_kernelINS0_13kernel_configILj256ELj4ELj4294967295EEENS1_37radix_sort_block_sort_config_selectorIdNS0_10empty_typeEEEZNS1_21radix_sort_block_sortIS4_Lb0EPKdPdPS6_SC_NS0_19identity_decomposerEEE10hipError_tT1_T2_T3_T4_jRjT5_jjP12ihipStream_tbEUlT_E_NS1_11comp_targetILNS1_3genE10ELNS1_11target_archE1201ELNS1_3gpuE5ELNS1_3repE0EEENS1_44radix_sort_block_sort_config_static_selectorELNS0_4arch9wavefront6targetE0EEEvSF_
    .private_segment_fixed_size: 0
    .sgpr_count:     0
    .sgpr_spill_count: 0
    .symbol:         _ZN7rocprim17ROCPRIM_400000_NS6detail17trampoline_kernelINS0_13kernel_configILj256ELj4ELj4294967295EEENS1_37radix_sort_block_sort_config_selectorIdNS0_10empty_typeEEEZNS1_21radix_sort_block_sortIS4_Lb0EPKdPdPS6_SC_NS0_19identity_decomposerEEE10hipError_tT1_T2_T3_T4_jRjT5_jjP12ihipStream_tbEUlT_E_NS1_11comp_targetILNS1_3genE10ELNS1_11target_archE1201ELNS1_3gpuE5ELNS1_3repE0EEENS1_44radix_sort_block_sort_config_static_selectorELNS0_4arch9wavefront6targetE0EEEvSF_.kd
    .uniform_work_group_size: 1
    .uses_dynamic_stack: false
    .vgpr_count:     0
    .vgpr_spill_count: 0
    .wavefront_size: 32
  - .args:
      - .offset:         0
        .size:           48
        .value_kind:     by_value
    .group_segment_fixed_size: 0
    .kernarg_segment_align: 8
    .kernarg_segment_size: 48
    .language:       OpenCL C
    .language_version:
      - 2
      - 0
    .max_flat_workgroup_size: 256
    .name:           _ZN7rocprim17ROCPRIM_400000_NS6detail17trampoline_kernelINS0_13kernel_configILj256ELj4ELj4294967295EEENS1_37radix_sort_block_sort_config_selectorIdNS0_10empty_typeEEEZNS1_21radix_sort_block_sortIS4_Lb0EPKdPdPS6_SC_NS0_19identity_decomposerEEE10hipError_tT1_T2_T3_T4_jRjT5_jjP12ihipStream_tbEUlT_E_NS1_11comp_targetILNS1_3genE10ELNS1_11target_archE1200ELNS1_3gpuE4ELNS1_3repE0EEENS1_44radix_sort_block_sort_config_static_selectorELNS0_4arch9wavefront6targetE0EEEvSF_
    .private_segment_fixed_size: 0
    .sgpr_count:     0
    .sgpr_spill_count: 0
    .symbol:         _ZN7rocprim17ROCPRIM_400000_NS6detail17trampoline_kernelINS0_13kernel_configILj256ELj4ELj4294967295EEENS1_37radix_sort_block_sort_config_selectorIdNS0_10empty_typeEEEZNS1_21radix_sort_block_sortIS4_Lb0EPKdPdPS6_SC_NS0_19identity_decomposerEEE10hipError_tT1_T2_T3_T4_jRjT5_jjP12ihipStream_tbEUlT_E_NS1_11comp_targetILNS1_3genE10ELNS1_11target_archE1200ELNS1_3gpuE4ELNS1_3repE0EEENS1_44radix_sort_block_sort_config_static_selectorELNS0_4arch9wavefront6targetE0EEEvSF_.kd
    .uniform_work_group_size: 1
    .uses_dynamic_stack: false
    .vgpr_count:     0
    .vgpr_spill_count: 0
    .wavefront_size: 32
  - .args:
      - .offset:         0
        .size:           48
        .value_kind:     by_value
    .group_segment_fixed_size: 0
    .kernarg_segment_align: 8
    .kernarg_segment_size: 48
    .language:       OpenCL C
    .language_version:
      - 2
      - 0
    .max_flat_workgroup_size: 256
    .name:           _ZN7rocprim17ROCPRIM_400000_NS6detail17trampoline_kernelINS0_13kernel_configILj256ELj4ELj4294967295EEENS1_37radix_sort_block_sort_config_selectorIdNS0_10empty_typeEEEZNS1_21radix_sort_block_sortIS4_Lb0EPKdPdPS6_SC_NS0_19identity_decomposerEEE10hipError_tT1_T2_T3_T4_jRjT5_jjP12ihipStream_tbEUlT_E_NS1_11comp_targetILNS1_3genE9ELNS1_11target_archE1100ELNS1_3gpuE3ELNS1_3repE0EEENS1_44radix_sort_block_sort_config_static_selectorELNS0_4arch9wavefront6targetE0EEEvSF_
    .private_segment_fixed_size: 0
    .sgpr_count:     0
    .sgpr_spill_count: 0
    .symbol:         _ZN7rocprim17ROCPRIM_400000_NS6detail17trampoline_kernelINS0_13kernel_configILj256ELj4ELj4294967295EEENS1_37radix_sort_block_sort_config_selectorIdNS0_10empty_typeEEEZNS1_21radix_sort_block_sortIS4_Lb0EPKdPdPS6_SC_NS0_19identity_decomposerEEE10hipError_tT1_T2_T3_T4_jRjT5_jjP12ihipStream_tbEUlT_E_NS1_11comp_targetILNS1_3genE9ELNS1_11target_archE1100ELNS1_3gpuE3ELNS1_3repE0EEENS1_44radix_sort_block_sort_config_static_selectorELNS0_4arch9wavefront6targetE0EEEvSF_.kd
    .uniform_work_group_size: 1
    .uses_dynamic_stack: false
    .vgpr_count:     0
    .vgpr_spill_count: 0
    .wavefront_size: 32
  - .args:
      - .offset:         0
        .size:           48
        .value_kind:     by_value
    .group_segment_fixed_size: 0
    .kernarg_segment_align: 8
    .kernarg_segment_size: 48
    .language:       OpenCL C
    .language_version:
      - 2
      - 0
    .max_flat_workgroup_size: 256
    .name:           _ZN7rocprim17ROCPRIM_400000_NS6detail17trampoline_kernelINS0_13kernel_configILj256ELj4ELj4294967295EEENS1_37radix_sort_block_sort_config_selectorIdNS0_10empty_typeEEEZNS1_21radix_sort_block_sortIS4_Lb0EPKdPdPS6_SC_NS0_19identity_decomposerEEE10hipError_tT1_T2_T3_T4_jRjT5_jjP12ihipStream_tbEUlT_E_NS1_11comp_targetILNS1_3genE8ELNS1_11target_archE1030ELNS1_3gpuE2ELNS1_3repE0EEENS1_44radix_sort_block_sort_config_static_selectorELNS0_4arch9wavefront6targetE0EEEvSF_
    .private_segment_fixed_size: 0
    .sgpr_count:     0
    .sgpr_spill_count: 0
    .symbol:         _ZN7rocprim17ROCPRIM_400000_NS6detail17trampoline_kernelINS0_13kernel_configILj256ELj4ELj4294967295EEENS1_37radix_sort_block_sort_config_selectorIdNS0_10empty_typeEEEZNS1_21radix_sort_block_sortIS4_Lb0EPKdPdPS6_SC_NS0_19identity_decomposerEEE10hipError_tT1_T2_T3_T4_jRjT5_jjP12ihipStream_tbEUlT_E_NS1_11comp_targetILNS1_3genE8ELNS1_11target_archE1030ELNS1_3gpuE2ELNS1_3repE0EEENS1_44radix_sort_block_sort_config_static_selectorELNS0_4arch9wavefront6targetE0EEEvSF_.kd
    .uniform_work_group_size: 1
    .uses_dynamic_stack: false
    .vgpr_count:     0
    .vgpr_spill_count: 0
    .wavefront_size: 32
  - .args:
      - .offset:         0
        .size:           40
        .value_kind:     by_value
    .group_segment_fixed_size: 0
    .kernarg_segment_align: 8
    .kernarg_segment_size: 40
    .language:       OpenCL C
    .language_version:
      - 2
      - 0
    .max_flat_workgroup_size: 128
    .name:           _ZN7rocprim17ROCPRIM_400000_NS6detail17trampoline_kernelINS0_14default_configENS1_38merge_sort_block_merge_config_selectorIdNS0_10empty_typeEEEZZNS1_27merge_sort_block_merge_implIS3_PdPS5_jNS1_19radix_merge_compareILb0ELb0EdNS0_19identity_decomposerEEEEE10hipError_tT0_T1_T2_jT3_P12ihipStream_tbPNSt15iterator_traitsISE_E10value_typeEPNSK_ISF_E10value_typeEPSG_NS1_7vsmem_tEENKUlT_SE_SF_SG_E_clIS8_S8_S9_S9_EESD_ST_SE_SF_SG_EUlST_E_NS1_11comp_targetILNS1_3genE0ELNS1_11target_archE4294967295ELNS1_3gpuE0ELNS1_3repE0EEENS1_48merge_mergepath_partition_config_static_selectorELNS0_4arch9wavefront6targetE0EEEvSF_
    .private_segment_fixed_size: 0
    .sgpr_count:     8
    .sgpr_spill_count: 0
    .symbol:         _ZN7rocprim17ROCPRIM_400000_NS6detail17trampoline_kernelINS0_14default_configENS1_38merge_sort_block_merge_config_selectorIdNS0_10empty_typeEEEZZNS1_27merge_sort_block_merge_implIS3_PdPS5_jNS1_19radix_merge_compareILb0ELb0EdNS0_19identity_decomposerEEEEE10hipError_tT0_T1_T2_jT3_P12ihipStream_tbPNSt15iterator_traitsISE_E10value_typeEPNSK_ISF_E10value_typeEPSG_NS1_7vsmem_tEENKUlT_SE_SF_SG_E_clIS8_S8_S9_S9_EESD_ST_SE_SF_SG_EUlST_E_NS1_11comp_targetILNS1_3genE0ELNS1_11target_archE4294967295ELNS1_3gpuE0ELNS1_3repE0EEENS1_48merge_mergepath_partition_config_static_selectorELNS0_4arch9wavefront6targetE0EEEvSF_.kd
    .uniform_work_group_size: 1
    .uses_dynamic_stack: false
    .vgpr_count:     20
    .vgpr_spill_count: 0
    .wavefront_size: 32
  - .args:
      - .offset:         0
        .size:           40
        .value_kind:     by_value
    .group_segment_fixed_size: 0
    .kernarg_segment_align: 8
    .kernarg_segment_size: 40
    .language:       OpenCL C
    .language_version:
      - 2
      - 0
    .max_flat_workgroup_size: 128
    .name:           _ZN7rocprim17ROCPRIM_400000_NS6detail17trampoline_kernelINS0_14default_configENS1_38merge_sort_block_merge_config_selectorIdNS0_10empty_typeEEEZZNS1_27merge_sort_block_merge_implIS3_PdPS5_jNS1_19radix_merge_compareILb0ELb0EdNS0_19identity_decomposerEEEEE10hipError_tT0_T1_T2_jT3_P12ihipStream_tbPNSt15iterator_traitsISE_E10value_typeEPNSK_ISF_E10value_typeEPSG_NS1_7vsmem_tEENKUlT_SE_SF_SG_E_clIS8_S8_S9_S9_EESD_ST_SE_SF_SG_EUlST_E_NS1_11comp_targetILNS1_3genE10ELNS1_11target_archE1201ELNS1_3gpuE5ELNS1_3repE0EEENS1_48merge_mergepath_partition_config_static_selectorELNS0_4arch9wavefront6targetE0EEEvSF_
    .private_segment_fixed_size: 0
    .sgpr_count:     0
    .sgpr_spill_count: 0
    .symbol:         _ZN7rocprim17ROCPRIM_400000_NS6detail17trampoline_kernelINS0_14default_configENS1_38merge_sort_block_merge_config_selectorIdNS0_10empty_typeEEEZZNS1_27merge_sort_block_merge_implIS3_PdPS5_jNS1_19radix_merge_compareILb0ELb0EdNS0_19identity_decomposerEEEEE10hipError_tT0_T1_T2_jT3_P12ihipStream_tbPNSt15iterator_traitsISE_E10value_typeEPNSK_ISF_E10value_typeEPSG_NS1_7vsmem_tEENKUlT_SE_SF_SG_E_clIS8_S8_S9_S9_EESD_ST_SE_SF_SG_EUlST_E_NS1_11comp_targetILNS1_3genE10ELNS1_11target_archE1201ELNS1_3gpuE5ELNS1_3repE0EEENS1_48merge_mergepath_partition_config_static_selectorELNS0_4arch9wavefront6targetE0EEEvSF_.kd
    .uniform_work_group_size: 1
    .uses_dynamic_stack: false
    .vgpr_count:     0
    .vgpr_spill_count: 0
    .wavefront_size: 32
  - .args:
      - .offset:         0
        .size:           40
        .value_kind:     by_value
    .group_segment_fixed_size: 0
    .kernarg_segment_align: 8
    .kernarg_segment_size: 40
    .language:       OpenCL C
    .language_version:
      - 2
      - 0
    .max_flat_workgroup_size: 128
    .name:           _ZN7rocprim17ROCPRIM_400000_NS6detail17trampoline_kernelINS0_14default_configENS1_38merge_sort_block_merge_config_selectorIdNS0_10empty_typeEEEZZNS1_27merge_sort_block_merge_implIS3_PdPS5_jNS1_19radix_merge_compareILb0ELb0EdNS0_19identity_decomposerEEEEE10hipError_tT0_T1_T2_jT3_P12ihipStream_tbPNSt15iterator_traitsISE_E10value_typeEPNSK_ISF_E10value_typeEPSG_NS1_7vsmem_tEENKUlT_SE_SF_SG_E_clIS8_S8_S9_S9_EESD_ST_SE_SF_SG_EUlST_E_NS1_11comp_targetILNS1_3genE5ELNS1_11target_archE942ELNS1_3gpuE9ELNS1_3repE0EEENS1_48merge_mergepath_partition_config_static_selectorELNS0_4arch9wavefront6targetE0EEEvSF_
    .private_segment_fixed_size: 0
    .sgpr_count:     0
    .sgpr_spill_count: 0
    .symbol:         _ZN7rocprim17ROCPRIM_400000_NS6detail17trampoline_kernelINS0_14default_configENS1_38merge_sort_block_merge_config_selectorIdNS0_10empty_typeEEEZZNS1_27merge_sort_block_merge_implIS3_PdPS5_jNS1_19radix_merge_compareILb0ELb0EdNS0_19identity_decomposerEEEEE10hipError_tT0_T1_T2_jT3_P12ihipStream_tbPNSt15iterator_traitsISE_E10value_typeEPNSK_ISF_E10value_typeEPSG_NS1_7vsmem_tEENKUlT_SE_SF_SG_E_clIS8_S8_S9_S9_EESD_ST_SE_SF_SG_EUlST_E_NS1_11comp_targetILNS1_3genE5ELNS1_11target_archE942ELNS1_3gpuE9ELNS1_3repE0EEENS1_48merge_mergepath_partition_config_static_selectorELNS0_4arch9wavefront6targetE0EEEvSF_.kd
    .uniform_work_group_size: 1
    .uses_dynamic_stack: false
    .vgpr_count:     0
    .vgpr_spill_count: 0
    .wavefront_size: 32
  - .args:
      - .offset:         0
        .size:           40
        .value_kind:     by_value
    .group_segment_fixed_size: 0
    .kernarg_segment_align: 8
    .kernarg_segment_size: 40
    .language:       OpenCL C
    .language_version:
      - 2
      - 0
    .max_flat_workgroup_size: 128
    .name:           _ZN7rocprim17ROCPRIM_400000_NS6detail17trampoline_kernelINS0_14default_configENS1_38merge_sort_block_merge_config_selectorIdNS0_10empty_typeEEEZZNS1_27merge_sort_block_merge_implIS3_PdPS5_jNS1_19radix_merge_compareILb0ELb0EdNS0_19identity_decomposerEEEEE10hipError_tT0_T1_T2_jT3_P12ihipStream_tbPNSt15iterator_traitsISE_E10value_typeEPNSK_ISF_E10value_typeEPSG_NS1_7vsmem_tEENKUlT_SE_SF_SG_E_clIS8_S8_S9_S9_EESD_ST_SE_SF_SG_EUlST_E_NS1_11comp_targetILNS1_3genE4ELNS1_11target_archE910ELNS1_3gpuE8ELNS1_3repE0EEENS1_48merge_mergepath_partition_config_static_selectorELNS0_4arch9wavefront6targetE0EEEvSF_
    .private_segment_fixed_size: 0
    .sgpr_count:     0
    .sgpr_spill_count: 0
    .symbol:         _ZN7rocprim17ROCPRIM_400000_NS6detail17trampoline_kernelINS0_14default_configENS1_38merge_sort_block_merge_config_selectorIdNS0_10empty_typeEEEZZNS1_27merge_sort_block_merge_implIS3_PdPS5_jNS1_19radix_merge_compareILb0ELb0EdNS0_19identity_decomposerEEEEE10hipError_tT0_T1_T2_jT3_P12ihipStream_tbPNSt15iterator_traitsISE_E10value_typeEPNSK_ISF_E10value_typeEPSG_NS1_7vsmem_tEENKUlT_SE_SF_SG_E_clIS8_S8_S9_S9_EESD_ST_SE_SF_SG_EUlST_E_NS1_11comp_targetILNS1_3genE4ELNS1_11target_archE910ELNS1_3gpuE8ELNS1_3repE0EEENS1_48merge_mergepath_partition_config_static_selectorELNS0_4arch9wavefront6targetE0EEEvSF_.kd
    .uniform_work_group_size: 1
    .uses_dynamic_stack: false
    .vgpr_count:     0
    .vgpr_spill_count: 0
    .wavefront_size: 32
  - .args:
      - .offset:         0
        .size:           40
        .value_kind:     by_value
    .group_segment_fixed_size: 0
    .kernarg_segment_align: 8
    .kernarg_segment_size: 40
    .language:       OpenCL C
    .language_version:
      - 2
      - 0
    .max_flat_workgroup_size: 128
    .name:           _ZN7rocprim17ROCPRIM_400000_NS6detail17trampoline_kernelINS0_14default_configENS1_38merge_sort_block_merge_config_selectorIdNS0_10empty_typeEEEZZNS1_27merge_sort_block_merge_implIS3_PdPS5_jNS1_19radix_merge_compareILb0ELb0EdNS0_19identity_decomposerEEEEE10hipError_tT0_T1_T2_jT3_P12ihipStream_tbPNSt15iterator_traitsISE_E10value_typeEPNSK_ISF_E10value_typeEPSG_NS1_7vsmem_tEENKUlT_SE_SF_SG_E_clIS8_S8_S9_S9_EESD_ST_SE_SF_SG_EUlST_E_NS1_11comp_targetILNS1_3genE3ELNS1_11target_archE908ELNS1_3gpuE7ELNS1_3repE0EEENS1_48merge_mergepath_partition_config_static_selectorELNS0_4arch9wavefront6targetE0EEEvSF_
    .private_segment_fixed_size: 0
    .sgpr_count:     0
    .sgpr_spill_count: 0
    .symbol:         _ZN7rocprim17ROCPRIM_400000_NS6detail17trampoline_kernelINS0_14default_configENS1_38merge_sort_block_merge_config_selectorIdNS0_10empty_typeEEEZZNS1_27merge_sort_block_merge_implIS3_PdPS5_jNS1_19radix_merge_compareILb0ELb0EdNS0_19identity_decomposerEEEEE10hipError_tT0_T1_T2_jT3_P12ihipStream_tbPNSt15iterator_traitsISE_E10value_typeEPNSK_ISF_E10value_typeEPSG_NS1_7vsmem_tEENKUlT_SE_SF_SG_E_clIS8_S8_S9_S9_EESD_ST_SE_SF_SG_EUlST_E_NS1_11comp_targetILNS1_3genE3ELNS1_11target_archE908ELNS1_3gpuE7ELNS1_3repE0EEENS1_48merge_mergepath_partition_config_static_selectorELNS0_4arch9wavefront6targetE0EEEvSF_.kd
    .uniform_work_group_size: 1
    .uses_dynamic_stack: false
    .vgpr_count:     0
    .vgpr_spill_count: 0
    .wavefront_size: 32
  - .args:
      - .offset:         0
        .size:           40
        .value_kind:     by_value
    .group_segment_fixed_size: 0
    .kernarg_segment_align: 8
    .kernarg_segment_size: 40
    .language:       OpenCL C
    .language_version:
      - 2
      - 0
    .max_flat_workgroup_size: 128
    .name:           _ZN7rocprim17ROCPRIM_400000_NS6detail17trampoline_kernelINS0_14default_configENS1_38merge_sort_block_merge_config_selectorIdNS0_10empty_typeEEEZZNS1_27merge_sort_block_merge_implIS3_PdPS5_jNS1_19radix_merge_compareILb0ELb0EdNS0_19identity_decomposerEEEEE10hipError_tT0_T1_T2_jT3_P12ihipStream_tbPNSt15iterator_traitsISE_E10value_typeEPNSK_ISF_E10value_typeEPSG_NS1_7vsmem_tEENKUlT_SE_SF_SG_E_clIS8_S8_S9_S9_EESD_ST_SE_SF_SG_EUlST_E_NS1_11comp_targetILNS1_3genE2ELNS1_11target_archE906ELNS1_3gpuE6ELNS1_3repE0EEENS1_48merge_mergepath_partition_config_static_selectorELNS0_4arch9wavefront6targetE0EEEvSF_
    .private_segment_fixed_size: 0
    .sgpr_count:     0
    .sgpr_spill_count: 0
    .symbol:         _ZN7rocprim17ROCPRIM_400000_NS6detail17trampoline_kernelINS0_14default_configENS1_38merge_sort_block_merge_config_selectorIdNS0_10empty_typeEEEZZNS1_27merge_sort_block_merge_implIS3_PdPS5_jNS1_19radix_merge_compareILb0ELb0EdNS0_19identity_decomposerEEEEE10hipError_tT0_T1_T2_jT3_P12ihipStream_tbPNSt15iterator_traitsISE_E10value_typeEPNSK_ISF_E10value_typeEPSG_NS1_7vsmem_tEENKUlT_SE_SF_SG_E_clIS8_S8_S9_S9_EESD_ST_SE_SF_SG_EUlST_E_NS1_11comp_targetILNS1_3genE2ELNS1_11target_archE906ELNS1_3gpuE6ELNS1_3repE0EEENS1_48merge_mergepath_partition_config_static_selectorELNS0_4arch9wavefront6targetE0EEEvSF_.kd
    .uniform_work_group_size: 1
    .uses_dynamic_stack: false
    .vgpr_count:     0
    .vgpr_spill_count: 0
    .wavefront_size: 32
  - .args:
      - .offset:         0
        .size:           40
        .value_kind:     by_value
    .group_segment_fixed_size: 0
    .kernarg_segment_align: 8
    .kernarg_segment_size: 40
    .language:       OpenCL C
    .language_version:
      - 2
      - 0
    .max_flat_workgroup_size: 128
    .name:           _ZN7rocprim17ROCPRIM_400000_NS6detail17trampoline_kernelINS0_14default_configENS1_38merge_sort_block_merge_config_selectorIdNS0_10empty_typeEEEZZNS1_27merge_sort_block_merge_implIS3_PdPS5_jNS1_19radix_merge_compareILb0ELb0EdNS0_19identity_decomposerEEEEE10hipError_tT0_T1_T2_jT3_P12ihipStream_tbPNSt15iterator_traitsISE_E10value_typeEPNSK_ISF_E10value_typeEPSG_NS1_7vsmem_tEENKUlT_SE_SF_SG_E_clIS8_S8_S9_S9_EESD_ST_SE_SF_SG_EUlST_E_NS1_11comp_targetILNS1_3genE9ELNS1_11target_archE1100ELNS1_3gpuE3ELNS1_3repE0EEENS1_48merge_mergepath_partition_config_static_selectorELNS0_4arch9wavefront6targetE0EEEvSF_
    .private_segment_fixed_size: 0
    .sgpr_count:     0
    .sgpr_spill_count: 0
    .symbol:         _ZN7rocprim17ROCPRIM_400000_NS6detail17trampoline_kernelINS0_14default_configENS1_38merge_sort_block_merge_config_selectorIdNS0_10empty_typeEEEZZNS1_27merge_sort_block_merge_implIS3_PdPS5_jNS1_19radix_merge_compareILb0ELb0EdNS0_19identity_decomposerEEEEE10hipError_tT0_T1_T2_jT3_P12ihipStream_tbPNSt15iterator_traitsISE_E10value_typeEPNSK_ISF_E10value_typeEPSG_NS1_7vsmem_tEENKUlT_SE_SF_SG_E_clIS8_S8_S9_S9_EESD_ST_SE_SF_SG_EUlST_E_NS1_11comp_targetILNS1_3genE9ELNS1_11target_archE1100ELNS1_3gpuE3ELNS1_3repE0EEENS1_48merge_mergepath_partition_config_static_selectorELNS0_4arch9wavefront6targetE0EEEvSF_.kd
    .uniform_work_group_size: 1
    .uses_dynamic_stack: false
    .vgpr_count:     0
    .vgpr_spill_count: 0
    .wavefront_size: 32
  - .args:
      - .offset:         0
        .size:           40
        .value_kind:     by_value
    .group_segment_fixed_size: 0
    .kernarg_segment_align: 8
    .kernarg_segment_size: 40
    .language:       OpenCL C
    .language_version:
      - 2
      - 0
    .max_flat_workgroup_size: 128
    .name:           _ZN7rocprim17ROCPRIM_400000_NS6detail17trampoline_kernelINS0_14default_configENS1_38merge_sort_block_merge_config_selectorIdNS0_10empty_typeEEEZZNS1_27merge_sort_block_merge_implIS3_PdPS5_jNS1_19radix_merge_compareILb0ELb0EdNS0_19identity_decomposerEEEEE10hipError_tT0_T1_T2_jT3_P12ihipStream_tbPNSt15iterator_traitsISE_E10value_typeEPNSK_ISF_E10value_typeEPSG_NS1_7vsmem_tEENKUlT_SE_SF_SG_E_clIS8_S8_S9_S9_EESD_ST_SE_SF_SG_EUlST_E_NS1_11comp_targetILNS1_3genE8ELNS1_11target_archE1030ELNS1_3gpuE2ELNS1_3repE0EEENS1_48merge_mergepath_partition_config_static_selectorELNS0_4arch9wavefront6targetE0EEEvSF_
    .private_segment_fixed_size: 0
    .sgpr_count:     0
    .sgpr_spill_count: 0
    .symbol:         _ZN7rocprim17ROCPRIM_400000_NS6detail17trampoline_kernelINS0_14default_configENS1_38merge_sort_block_merge_config_selectorIdNS0_10empty_typeEEEZZNS1_27merge_sort_block_merge_implIS3_PdPS5_jNS1_19radix_merge_compareILb0ELb0EdNS0_19identity_decomposerEEEEE10hipError_tT0_T1_T2_jT3_P12ihipStream_tbPNSt15iterator_traitsISE_E10value_typeEPNSK_ISF_E10value_typeEPSG_NS1_7vsmem_tEENKUlT_SE_SF_SG_E_clIS8_S8_S9_S9_EESD_ST_SE_SF_SG_EUlST_E_NS1_11comp_targetILNS1_3genE8ELNS1_11target_archE1030ELNS1_3gpuE2ELNS1_3repE0EEENS1_48merge_mergepath_partition_config_static_selectorELNS0_4arch9wavefront6targetE0EEEvSF_.kd
    .uniform_work_group_size: 1
    .uses_dynamic_stack: false
    .vgpr_count:     0
    .vgpr_spill_count: 0
    .wavefront_size: 32
  - .args:
      - .offset:         0
        .size:           64
        .value_kind:     by_value
      - .offset:         64
        .size:           4
        .value_kind:     hidden_block_count_x
      - .offset:         68
        .size:           4
        .value_kind:     hidden_block_count_y
      - .offset:         72
        .size:           4
        .value_kind:     hidden_block_count_z
      - .offset:         76
        .size:           2
        .value_kind:     hidden_group_size_x
      - .offset:         78
        .size:           2
        .value_kind:     hidden_group_size_y
      - .offset:         80
        .size:           2
        .value_kind:     hidden_group_size_z
      - .offset:         82
        .size:           2
        .value_kind:     hidden_remainder_x
      - .offset:         84
        .size:           2
        .value_kind:     hidden_remainder_y
      - .offset:         86
        .size:           2
        .value_kind:     hidden_remainder_z
      - .offset:         104
        .size:           8
        .value_kind:     hidden_global_offset_x
      - .offset:         112
        .size:           8
        .value_kind:     hidden_global_offset_y
      - .offset:         120
        .size:           8
        .value_kind:     hidden_global_offset_z
      - .offset:         128
        .size:           2
        .value_kind:     hidden_grid_dims
    .group_segment_fixed_size: 8448
    .kernarg_segment_align: 8
    .kernarg_segment_size: 320
    .language:       OpenCL C
    .language_version:
      - 2
      - 0
    .max_flat_workgroup_size: 256
    .name:           _ZN7rocprim17ROCPRIM_400000_NS6detail17trampoline_kernelINS0_14default_configENS1_38merge_sort_block_merge_config_selectorIdNS0_10empty_typeEEEZZNS1_27merge_sort_block_merge_implIS3_PdPS5_jNS1_19radix_merge_compareILb0ELb0EdNS0_19identity_decomposerEEEEE10hipError_tT0_T1_T2_jT3_P12ihipStream_tbPNSt15iterator_traitsISE_E10value_typeEPNSK_ISF_E10value_typeEPSG_NS1_7vsmem_tEENKUlT_SE_SF_SG_E_clIS8_S8_S9_S9_EESD_ST_SE_SF_SG_EUlST_E0_NS1_11comp_targetILNS1_3genE0ELNS1_11target_archE4294967295ELNS1_3gpuE0ELNS1_3repE0EEENS1_38merge_mergepath_config_static_selectorELNS0_4arch9wavefront6targetE0EEEvSF_
    .private_segment_fixed_size: 0
    .sgpr_count:     24
    .sgpr_spill_count: 0
    .symbol:         _ZN7rocprim17ROCPRIM_400000_NS6detail17trampoline_kernelINS0_14default_configENS1_38merge_sort_block_merge_config_selectorIdNS0_10empty_typeEEEZZNS1_27merge_sort_block_merge_implIS3_PdPS5_jNS1_19radix_merge_compareILb0ELb0EdNS0_19identity_decomposerEEEEE10hipError_tT0_T1_T2_jT3_P12ihipStream_tbPNSt15iterator_traitsISE_E10value_typeEPNSK_ISF_E10value_typeEPSG_NS1_7vsmem_tEENKUlT_SE_SF_SG_E_clIS8_S8_S9_S9_EESD_ST_SE_SF_SG_EUlST_E0_NS1_11comp_targetILNS1_3genE0ELNS1_11target_archE4294967295ELNS1_3gpuE0ELNS1_3repE0EEENS1_38merge_mergepath_config_static_selectorELNS0_4arch9wavefront6targetE0EEEvSF_.kd
    .uniform_work_group_size: 1
    .uses_dynamic_stack: false
    .vgpr_count:     26
    .vgpr_spill_count: 0
    .wavefront_size: 32
  - .args:
      - .offset:         0
        .size:           64
        .value_kind:     by_value
    .group_segment_fixed_size: 0
    .kernarg_segment_align: 8
    .kernarg_segment_size: 64
    .language:       OpenCL C
    .language_version:
      - 2
      - 0
    .max_flat_workgroup_size: 512
    .name:           _ZN7rocprim17ROCPRIM_400000_NS6detail17trampoline_kernelINS0_14default_configENS1_38merge_sort_block_merge_config_selectorIdNS0_10empty_typeEEEZZNS1_27merge_sort_block_merge_implIS3_PdPS5_jNS1_19radix_merge_compareILb0ELb0EdNS0_19identity_decomposerEEEEE10hipError_tT0_T1_T2_jT3_P12ihipStream_tbPNSt15iterator_traitsISE_E10value_typeEPNSK_ISF_E10value_typeEPSG_NS1_7vsmem_tEENKUlT_SE_SF_SG_E_clIS8_S8_S9_S9_EESD_ST_SE_SF_SG_EUlST_E0_NS1_11comp_targetILNS1_3genE10ELNS1_11target_archE1201ELNS1_3gpuE5ELNS1_3repE0EEENS1_38merge_mergepath_config_static_selectorELNS0_4arch9wavefront6targetE0EEEvSF_
    .private_segment_fixed_size: 0
    .sgpr_count:     0
    .sgpr_spill_count: 0
    .symbol:         _ZN7rocprim17ROCPRIM_400000_NS6detail17trampoline_kernelINS0_14default_configENS1_38merge_sort_block_merge_config_selectorIdNS0_10empty_typeEEEZZNS1_27merge_sort_block_merge_implIS3_PdPS5_jNS1_19radix_merge_compareILb0ELb0EdNS0_19identity_decomposerEEEEE10hipError_tT0_T1_T2_jT3_P12ihipStream_tbPNSt15iterator_traitsISE_E10value_typeEPNSK_ISF_E10value_typeEPSG_NS1_7vsmem_tEENKUlT_SE_SF_SG_E_clIS8_S8_S9_S9_EESD_ST_SE_SF_SG_EUlST_E0_NS1_11comp_targetILNS1_3genE10ELNS1_11target_archE1201ELNS1_3gpuE5ELNS1_3repE0EEENS1_38merge_mergepath_config_static_selectorELNS0_4arch9wavefront6targetE0EEEvSF_.kd
    .uniform_work_group_size: 1
    .uses_dynamic_stack: false
    .vgpr_count:     0
    .vgpr_spill_count: 0
    .wavefront_size: 32
  - .args:
      - .offset:         0
        .size:           64
        .value_kind:     by_value
    .group_segment_fixed_size: 0
    .kernarg_segment_align: 8
    .kernarg_segment_size: 64
    .language:       OpenCL C
    .language_version:
      - 2
      - 0
    .max_flat_workgroup_size: 256
    .name:           _ZN7rocprim17ROCPRIM_400000_NS6detail17trampoline_kernelINS0_14default_configENS1_38merge_sort_block_merge_config_selectorIdNS0_10empty_typeEEEZZNS1_27merge_sort_block_merge_implIS3_PdPS5_jNS1_19radix_merge_compareILb0ELb0EdNS0_19identity_decomposerEEEEE10hipError_tT0_T1_T2_jT3_P12ihipStream_tbPNSt15iterator_traitsISE_E10value_typeEPNSK_ISF_E10value_typeEPSG_NS1_7vsmem_tEENKUlT_SE_SF_SG_E_clIS8_S8_S9_S9_EESD_ST_SE_SF_SG_EUlST_E0_NS1_11comp_targetILNS1_3genE5ELNS1_11target_archE942ELNS1_3gpuE9ELNS1_3repE0EEENS1_38merge_mergepath_config_static_selectorELNS0_4arch9wavefront6targetE0EEEvSF_
    .private_segment_fixed_size: 0
    .sgpr_count:     0
    .sgpr_spill_count: 0
    .symbol:         _ZN7rocprim17ROCPRIM_400000_NS6detail17trampoline_kernelINS0_14default_configENS1_38merge_sort_block_merge_config_selectorIdNS0_10empty_typeEEEZZNS1_27merge_sort_block_merge_implIS3_PdPS5_jNS1_19radix_merge_compareILb0ELb0EdNS0_19identity_decomposerEEEEE10hipError_tT0_T1_T2_jT3_P12ihipStream_tbPNSt15iterator_traitsISE_E10value_typeEPNSK_ISF_E10value_typeEPSG_NS1_7vsmem_tEENKUlT_SE_SF_SG_E_clIS8_S8_S9_S9_EESD_ST_SE_SF_SG_EUlST_E0_NS1_11comp_targetILNS1_3genE5ELNS1_11target_archE942ELNS1_3gpuE9ELNS1_3repE0EEENS1_38merge_mergepath_config_static_selectorELNS0_4arch9wavefront6targetE0EEEvSF_.kd
    .uniform_work_group_size: 1
    .uses_dynamic_stack: false
    .vgpr_count:     0
    .vgpr_spill_count: 0
    .wavefront_size: 32
  - .args:
      - .offset:         0
        .size:           64
        .value_kind:     by_value
    .group_segment_fixed_size: 0
    .kernarg_segment_align: 8
    .kernarg_segment_size: 64
    .language:       OpenCL C
    .language_version:
      - 2
      - 0
    .max_flat_workgroup_size: 256
    .name:           _ZN7rocprim17ROCPRIM_400000_NS6detail17trampoline_kernelINS0_14default_configENS1_38merge_sort_block_merge_config_selectorIdNS0_10empty_typeEEEZZNS1_27merge_sort_block_merge_implIS3_PdPS5_jNS1_19radix_merge_compareILb0ELb0EdNS0_19identity_decomposerEEEEE10hipError_tT0_T1_T2_jT3_P12ihipStream_tbPNSt15iterator_traitsISE_E10value_typeEPNSK_ISF_E10value_typeEPSG_NS1_7vsmem_tEENKUlT_SE_SF_SG_E_clIS8_S8_S9_S9_EESD_ST_SE_SF_SG_EUlST_E0_NS1_11comp_targetILNS1_3genE4ELNS1_11target_archE910ELNS1_3gpuE8ELNS1_3repE0EEENS1_38merge_mergepath_config_static_selectorELNS0_4arch9wavefront6targetE0EEEvSF_
    .private_segment_fixed_size: 0
    .sgpr_count:     0
    .sgpr_spill_count: 0
    .symbol:         _ZN7rocprim17ROCPRIM_400000_NS6detail17trampoline_kernelINS0_14default_configENS1_38merge_sort_block_merge_config_selectorIdNS0_10empty_typeEEEZZNS1_27merge_sort_block_merge_implIS3_PdPS5_jNS1_19radix_merge_compareILb0ELb0EdNS0_19identity_decomposerEEEEE10hipError_tT0_T1_T2_jT3_P12ihipStream_tbPNSt15iterator_traitsISE_E10value_typeEPNSK_ISF_E10value_typeEPSG_NS1_7vsmem_tEENKUlT_SE_SF_SG_E_clIS8_S8_S9_S9_EESD_ST_SE_SF_SG_EUlST_E0_NS1_11comp_targetILNS1_3genE4ELNS1_11target_archE910ELNS1_3gpuE8ELNS1_3repE0EEENS1_38merge_mergepath_config_static_selectorELNS0_4arch9wavefront6targetE0EEEvSF_.kd
    .uniform_work_group_size: 1
    .uses_dynamic_stack: false
    .vgpr_count:     0
    .vgpr_spill_count: 0
    .wavefront_size: 32
  - .args:
      - .offset:         0
        .size:           64
        .value_kind:     by_value
    .group_segment_fixed_size: 0
    .kernarg_segment_align: 8
    .kernarg_segment_size: 64
    .language:       OpenCL C
    .language_version:
      - 2
      - 0
    .max_flat_workgroup_size: 256
    .name:           _ZN7rocprim17ROCPRIM_400000_NS6detail17trampoline_kernelINS0_14default_configENS1_38merge_sort_block_merge_config_selectorIdNS0_10empty_typeEEEZZNS1_27merge_sort_block_merge_implIS3_PdPS5_jNS1_19radix_merge_compareILb0ELb0EdNS0_19identity_decomposerEEEEE10hipError_tT0_T1_T2_jT3_P12ihipStream_tbPNSt15iterator_traitsISE_E10value_typeEPNSK_ISF_E10value_typeEPSG_NS1_7vsmem_tEENKUlT_SE_SF_SG_E_clIS8_S8_S9_S9_EESD_ST_SE_SF_SG_EUlST_E0_NS1_11comp_targetILNS1_3genE3ELNS1_11target_archE908ELNS1_3gpuE7ELNS1_3repE0EEENS1_38merge_mergepath_config_static_selectorELNS0_4arch9wavefront6targetE0EEEvSF_
    .private_segment_fixed_size: 0
    .sgpr_count:     0
    .sgpr_spill_count: 0
    .symbol:         _ZN7rocprim17ROCPRIM_400000_NS6detail17trampoline_kernelINS0_14default_configENS1_38merge_sort_block_merge_config_selectorIdNS0_10empty_typeEEEZZNS1_27merge_sort_block_merge_implIS3_PdPS5_jNS1_19radix_merge_compareILb0ELb0EdNS0_19identity_decomposerEEEEE10hipError_tT0_T1_T2_jT3_P12ihipStream_tbPNSt15iterator_traitsISE_E10value_typeEPNSK_ISF_E10value_typeEPSG_NS1_7vsmem_tEENKUlT_SE_SF_SG_E_clIS8_S8_S9_S9_EESD_ST_SE_SF_SG_EUlST_E0_NS1_11comp_targetILNS1_3genE3ELNS1_11target_archE908ELNS1_3gpuE7ELNS1_3repE0EEENS1_38merge_mergepath_config_static_selectorELNS0_4arch9wavefront6targetE0EEEvSF_.kd
    .uniform_work_group_size: 1
    .uses_dynamic_stack: false
    .vgpr_count:     0
    .vgpr_spill_count: 0
    .wavefront_size: 32
  - .args:
      - .offset:         0
        .size:           64
        .value_kind:     by_value
    .group_segment_fixed_size: 0
    .kernarg_segment_align: 8
    .kernarg_segment_size: 64
    .language:       OpenCL C
    .language_version:
      - 2
      - 0
    .max_flat_workgroup_size: 256
    .name:           _ZN7rocprim17ROCPRIM_400000_NS6detail17trampoline_kernelINS0_14default_configENS1_38merge_sort_block_merge_config_selectorIdNS0_10empty_typeEEEZZNS1_27merge_sort_block_merge_implIS3_PdPS5_jNS1_19radix_merge_compareILb0ELb0EdNS0_19identity_decomposerEEEEE10hipError_tT0_T1_T2_jT3_P12ihipStream_tbPNSt15iterator_traitsISE_E10value_typeEPNSK_ISF_E10value_typeEPSG_NS1_7vsmem_tEENKUlT_SE_SF_SG_E_clIS8_S8_S9_S9_EESD_ST_SE_SF_SG_EUlST_E0_NS1_11comp_targetILNS1_3genE2ELNS1_11target_archE906ELNS1_3gpuE6ELNS1_3repE0EEENS1_38merge_mergepath_config_static_selectorELNS0_4arch9wavefront6targetE0EEEvSF_
    .private_segment_fixed_size: 0
    .sgpr_count:     0
    .sgpr_spill_count: 0
    .symbol:         _ZN7rocprim17ROCPRIM_400000_NS6detail17trampoline_kernelINS0_14default_configENS1_38merge_sort_block_merge_config_selectorIdNS0_10empty_typeEEEZZNS1_27merge_sort_block_merge_implIS3_PdPS5_jNS1_19radix_merge_compareILb0ELb0EdNS0_19identity_decomposerEEEEE10hipError_tT0_T1_T2_jT3_P12ihipStream_tbPNSt15iterator_traitsISE_E10value_typeEPNSK_ISF_E10value_typeEPSG_NS1_7vsmem_tEENKUlT_SE_SF_SG_E_clIS8_S8_S9_S9_EESD_ST_SE_SF_SG_EUlST_E0_NS1_11comp_targetILNS1_3genE2ELNS1_11target_archE906ELNS1_3gpuE6ELNS1_3repE0EEENS1_38merge_mergepath_config_static_selectorELNS0_4arch9wavefront6targetE0EEEvSF_.kd
    .uniform_work_group_size: 1
    .uses_dynamic_stack: false
    .vgpr_count:     0
    .vgpr_spill_count: 0
    .wavefront_size: 32
  - .args:
      - .offset:         0
        .size:           64
        .value_kind:     by_value
    .group_segment_fixed_size: 0
    .kernarg_segment_align: 8
    .kernarg_segment_size: 64
    .language:       OpenCL C
    .language_version:
      - 2
      - 0
    .max_flat_workgroup_size: 512
    .name:           _ZN7rocprim17ROCPRIM_400000_NS6detail17trampoline_kernelINS0_14default_configENS1_38merge_sort_block_merge_config_selectorIdNS0_10empty_typeEEEZZNS1_27merge_sort_block_merge_implIS3_PdPS5_jNS1_19radix_merge_compareILb0ELb0EdNS0_19identity_decomposerEEEEE10hipError_tT0_T1_T2_jT3_P12ihipStream_tbPNSt15iterator_traitsISE_E10value_typeEPNSK_ISF_E10value_typeEPSG_NS1_7vsmem_tEENKUlT_SE_SF_SG_E_clIS8_S8_S9_S9_EESD_ST_SE_SF_SG_EUlST_E0_NS1_11comp_targetILNS1_3genE9ELNS1_11target_archE1100ELNS1_3gpuE3ELNS1_3repE0EEENS1_38merge_mergepath_config_static_selectorELNS0_4arch9wavefront6targetE0EEEvSF_
    .private_segment_fixed_size: 0
    .sgpr_count:     0
    .sgpr_spill_count: 0
    .symbol:         _ZN7rocprim17ROCPRIM_400000_NS6detail17trampoline_kernelINS0_14default_configENS1_38merge_sort_block_merge_config_selectorIdNS0_10empty_typeEEEZZNS1_27merge_sort_block_merge_implIS3_PdPS5_jNS1_19radix_merge_compareILb0ELb0EdNS0_19identity_decomposerEEEEE10hipError_tT0_T1_T2_jT3_P12ihipStream_tbPNSt15iterator_traitsISE_E10value_typeEPNSK_ISF_E10value_typeEPSG_NS1_7vsmem_tEENKUlT_SE_SF_SG_E_clIS8_S8_S9_S9_EESD_ST_SE_SF_SG_EUlST_E0_NS1_11comp_targetILNS1_3genE9ELNS1_11target_archE1100ELNS1_3gpuE3ELNS1_3repE0EEENS1_38merge_mergepath_config_static_selectorELNS0_4arch9wavefront6targetE0EEEvSF_.kd
    .uniform_work_group_size: 1
    .uses_dynamic_stack: false
    .vgpr_count:     0
    .vgpr_spill_count: 0
    .wavefront_size: 32
  - .args:
      - .offset:         0
        .size:           64
        .value_kind:     by_value
    .group_segment_fixed_size: 0
    .kernarg_segment_align: 8
    .kernarg_segment_size: 64
    .language:       OpenCL C
    .language_version:
      - 2
      - 0
    .max_flat_workgroup_size: 1024
    .name:           _ZN7rocprim17ROCPRIM_400000_NS6detail17trampoline_kernelINS0_14default_configENS1_38merge_sort_block_merge_config_selectorIdNS0_10empty_typeEEEZZNS1_27merge_sort_block_merge_implIS3_PdPS5_jNS1_19radix_merge_compareILb0ELb0EdNS0_19identity_decomposerEEEEE10hipError_tT0_T1_T2_jT3_P12ihipStream_tbPNSt15iterator_traitsISE_E10value_typeEPNSK_ISF_E10value_typeEPSG_NS1_7vsmem_tEENKUlT_SE_SF_SG_E_clIS8_S8_S9_S9_EESD_ST_SE_SF_SG_EUlST_E0_NS1_11comp_targetILNS1_3genE8ELNS1_11target_archE1030ELNS1_3gpuE2ELNS1_3repE0EEENS1_38merge_mergepath_config_static_selectorELNS0_4arch9wavefront6targetE0EEEvSF_
    .private_segment_fixed_size: 0
    .sgpr_count:     0
    .sgpr_spill_count: 0
    .symbol:         _ZN7rocprim17ROCPRIM_400000_NS6detail17trampoline_kernelINS0_14default_configENS1_38merge_sort_block_merge_config_selectorIdNS0_10empty_typeEEEZZNS1_27merge_sort_block_merge_implIS3_PdPS5_jNS1_19radix_merge_compareILb0ELb0EdNS0_19identity_decomposerEEEEE10hipError_tT0_T1_T2_jT3_P12ihipStream_tbPNSt15iterator_traitsISE_E10value_typeEPNSK_ISF_E10value_typeEPSG_NS1_7vsmem_tEENKUlT_SE_SF_SG_E_clIS8_S8_S9_S9_EESD_ST_SE_SF_SG_EUlST_E0_NS1_11comp_targetILNS1_3genE8ELNS1_11target_archE1030ELNS1_3gpuE2ELNS1_3repE0EEENS1_38merge_mergepath_config_static_selectorELNS0_4arch9wavefront6targetE0EEEvSF_.kd
    .uniform_work_group_size: 1
    .uses_dynamic_stack: false
    .vgpr_count:     0
    .vgpr_spill_count: 0
    .wavefront_size: 32
  - .args:
      - .offset:         0
        .size:           48
        .value_kind:     by_value
    .group_segment_fixed_size: 0
    .kernarg_segment_align: 8
    .kernarg_segment_size: 48
    .language:       OpenCL C
    .language_version:
      - 2
      - 0
    .max_flat_workgroup_size: 256
    .name:           _ZN7rocprim17ROCPRIM_400000_NS6detail17trampoline_kernelINS0_14default_configENS1_38merge_sort_block_merge_config_selectorIdNS0_10empty_typeEEEZZNS1_27merge_sort_block_merge_implIS3_PdPS5_jNS1_19radix_merge_compareILb0ELb0EdNS0_19identity_decomposerEEEEE10hipError_tT0_T1_T2_jT3_P12ihipStream_tbPNSt15iterator_traitsISE_E10value_typeEPNSK_ISF_E10value_typeEPSG_NS1_7vsmem_tEENKUlT_SE_SF_SG_E_clIS8_S8_S9_S9_EESD_ST_SE_SF_SG_EUlST_E1_NS1_11comp_targetILNS1_3genE0ELNS1_11target_archE4294967295ELNS1_3gpuE0ELNS1_3repE0EEENS1_36merge_oddeven_config_static_selectorELNS0_4arch9wavefront6targetE0EEEvSF_
    .private_segment_fixed_size: 0
    .sgpr_count:     18
    .sgpr_spill_count: 0
    .symbol:         _ZN7rocprim17ROCPRIM_400000_NS6detail17trampoline_kernelINS0_14default_configENS1_38merge_sort_block_merge_config_selectorIdNS0_10empty_typeEEEZZNS1_27merge_sort_block_merge_implIS3_PdPS5_jNS1_19radix_merge_compareILb0ELb0EdNS0_19identity_decomposerEEEEE10hipError_tT0_T1_T2_jT3_P12ihipStream_tbPNSt15iterator_traitsISE_E10value_typeEPNSK_ISF_E10value_typeEPSG_NS1_7vsmem_tEENKUlT_SE_SF_SG_E_clIS8_S8_S9_S9_EESD_ST_SE_SF_SG_EUlST_E1_NS1_11comp_targetILNS1_3genE0ELNS1_11target_archE4294967295ELNS1_3gpuE0ELNS1_3repE0EEENS1_36merge_oddeven_config_static_selectorELNS0_4arch9wavefront6targetE0EEEvSF_.kd
    .uniform_work_group_size: 1
    .uses_dynamic_stack: false
    .vgpr_count:     12
    .vgpr_spill_count: 0
    .wavefront_size: 32
  - .args:
      - .offset:         0
        .size:           48
        .value_kind:     by_value
    .group_segment_fixed_size: 0
    .kernarg_segment_align: 8
    .kernarg_segment_size: 48
    .language:       OpenCL C
    .language_version:
      - 2
      - 0
    .max_flat_workgroup_size: 256
    .name:           _ZN7rocprim17ROCPRIM_400000_NS6detail17trampoline_kernelINS0_14default_configENS1_38merge_sort_block_merge_config_selectorIdNS0_10empty_typeEEEZZNS1_27merge_sort_block_merge_implIS3_PdPS5_jNS1_19radix_merge_compareILb0ELb0EdNS0_19identity_decomposerEEEEE10hipError_tT0_T1_T2_jT3_P12ihipStream_tbPNSt15iterator_traitsISE_E10value_typeEPNSK_ISF_E10value_typeEPSG_NS1_7vsmem_tEENKUlT_SE_SF_SG_E_clIS8_S8_S9_S9_EESD_ST_SE_SF_SG_EUlST_E1_NS1_11comp_targetILNS1_3genE10ELNS1_11target_archE1201ELNS1_3gpuE5ELNS1_3repE0EEENS1_36merge_oddeven_config_static_selectorELNS0_4arch9wavefront6targetE0EEEvSF_
    .private_segment_fixed_size: 0
    .sgpr_count:     0
    .sgpr_spill_count: 0
    .symbol:         _ZN7rocprim17ROCPRIM_400000_NS6detail17trampoline_kernelINS0_14default_configENS1_38merge_sort_block_merge_config_selectorIdNS0_10empty_typeEEEZZNS1_27merge_sort_block_merge_implIS3_PdPS5_jNS1_19radix_merge_compareILb0ELb0EdNS0_19identity_decomposerEEEEE10hipError_tT0_T1_T2_jT3_P12ihipStream_tbPNSt15iterator_traitsISE_E10value_typeEPNSK_ISF_E10value_typeEPSG_NS1_7vsmem_tEENKUlT_SE_SF_SG_E_clIS8_S8_S9_S9_EESD_ST_SE_SF_SG_EUlST_E1_NS1_11comp_targetILNS1_3genE10ELNS1_11target_archE1201ELNS1_3gpuE5ELNS1_3repE0EEENS1_36merge_oddeven_config_static_selectorELNS0_4arch9wavefront6targetE0EEEvSF_.kd
    .uniform_work_group_size: 1
    .uses_dynamic_stack: false
    .vgpr_count:     0
    .vgpr_spill_count: 0
    .wavefront_size: 32
  - .args:
      - .offset:         0
        .size:           48
        .value_kind:     by_value
    .group_segment_fixed_size: 0
    .kernarg_segment_align: 8
    .kernarg_segment_size: 48
    .language:       OpenCL C
    .language_version:
      - 2
      - 0
    .max_flat_workgroup_size: 256
    .name:           _ZN7rocprim17ROCPRIM_400000_NS6detail17trampoline_kernelINS0_14default_configENS1_38merge_sort_block_merge_config_selectorIdNS0_10empty_typeEEEZZNS1_27merge_sort_block_merge_implIS3_PdPS5_jNS1_19radix_merge_compareILb0ELb0EdNS0_19identity_decomposerEEEEE10hipError_tT0_T1_T2_jT3_P12ihipStream_tbPNSt15iterator_traitsISE_E10value_typeEPNSK_ISF_E10value_typeEPSG_NS1_7vsmem_tEENKUlT_SE_SF_SG_E_clIS8_S8_S9_S9_EESD_ST_SE_SF_SG_EUlST_E1_NS1_11comp_targetILNS1_3genE5ELNS1_11target_archE942ELNS1_3gpuE9ELNS1_3repE0EEENS1_36merge_oddeven_config_static_selectorELNS0_4arch9wavefront6targetE0EEEvSF_
    .private_segment_fixed_size: 0
    .sgpr_count:     0
    .sgpr_spill_count: 0
    .symbol:         _ZN7rocprim17ROCPRIM_400000_NS6detail17trampoline_kernelINS0_14default_configENS1_38merge_sort_block_merge_config_selectorIdNS0_10empty_typeEEEZZNS1_27merge_sort_block_merge_implIS3_PdPS5_jNS1_19radix_merge_compareILb0ELb0EdNS0_19identity_decomposerEEEEE10hipError_tT0_T1_T2_jT3_P12ihipStream_tbPNSt15iterator_traitsISE_E10value_typeEPNSK_ISF_E10value_typeEPSG_NS1_7vsmem_tEENKUlT_SE_SF_SG_E_clIS8_S8_S9_S9_EESD_ST_SE_SF_SG_EUlST_E1_NS1_11comp_targetILNS1_3genE5ELNS1_11target_archE942ELNS1_3gpuE9ELNS1_3repE0EEENS1_36merge_oddeven_config_static_selectorELNS0_4arch9wavefront6targetE0EEEvSF_.kd
    .uniform_work_group_size: 1
    .uses_dynamic_stack: false
    .vgpr_count:     0
    .vgpr_spill_count: 0
    .wavefront_size: 32
  - .args:
      - .offset:         0
        .size:           48
        .value_kind:     by_value
    .group_segment_fixed_size: 0
    .kernarg_segment_align: 8
    .kernarg_segment_size: 48
    .language:       OpenCL C
    .language_version:
      - 2
      - 0
    .max_flat_workgroup_size: 256
    .name:           _ZN7rocprim17ROCPRIM_400000_NS6detail17trampoline_kernelINS0_14default_configENS1_38merge_sort_block_merge_config_selectorIdNS0_10empty_typeEEEZZNS1_27merge_sort_block_merge_implIS3_PdPS5_jNS1_19radix_merge_compareILb0ELb0EdNS0_19identity_decomposerEEEEE10hipError_tT0_T1_T2_jT3_P12ihipStream_tbPNSt15iterator_traitsISE_E10value_typeEPNSK_ISF_E10value_typeEPSG_NS1_7vsmem_tEENKUlT_SE_SF_SG_E_clIS8_S8_S9_S9_EESD_ST_SE_SF_SG_EUlST_E1_NS1_11comp_targetILNS1_3genE4ELNS1_11target_archE910ELNS1_3gpuE8ELNS1_3repE0EEENS1_36merge_oddeven_config_static_selectorELNS0_4arch9wavefront6targetE0EEEvSF_
    .private_segment_fixed_size: 0
    .sgpr_count:     0
    .sgpr_spill_count: 0
    .symbol:         _ZN7rocprim17ROCPRIM_400000_NS6detail17trampoline_kernelINS0_14default_configENS1_38merge_sort_block_merge_config_selectorIdNS0_10empty_typeEEEZZNS1_27merge_sort_block_merge_implIS3_PdPS5_jNS1_19radix_merge_compareILb0ELb0EdNS0_19identity_decomposerEEEEE10hipError_tT0_T1_T2_jT3_P12ihipStream_tbPNSt15iterator_traitsISE_E10value_typeEPNSK_ISF_E10value_typeEPSG_NS1_7vsmem_tEENKUlT_SE_SF_SG_E_clIS8_S8_S9_S9_EESD_ST_SE_SF_SG_EUlST_E1_NS1_11comp_targetILNS1_3genE4ELNS1_11target_archE910ELNS1_3gpuE8ELNS1_3repE0EEENS1_36merge_oddeven_config_static_selectorELNS0_4arch9wavefront6targetE0EEEvSF_.kd
    .uniform_work_group_size: 1
    .uses_dynamic_stack: false
    .vgpr_count:     0
    .vgpr_spill_count: 0
    .wavefront_size: 32
  - .args:
      - .offset:         0
        .size:           48
        .value_kind:     by_value
    .group_segment_fixed_size: 0
    .kernarg_segment_align: 8
    .kernarg_segment_size: 48
    .language:       OpenCL C
    .language_version:
      - 2
      - 0
    .max_flat_workgroup_size: 256
    .name:           _ZN7rocprim17ROCPRIM_400000_NS6detail17trampoline_kernelINS0_14default_configENS1_38merge_sort_block_merge_config_selectorIdNS0_10empty_typeEEEZZNS1_27merge_sort_block_merge_implIS3_PdPS5_jNS1_19radix_merge_compareILb0ELb0EdNS0_19identity_decomposerEEEEE10hipError_tT0_T1_T2_jT3_P12ihipStream_tbPNSt15iterator_traitsISE_E10value_typeEPNSK_ISF_E10value_typeEPSG_NS1_7vsmem_tEENKUlT_SE_SF_SG_E_clIS8_S8_S9_S9_EESD_ST_SE_SF_SG_EUlST_E1_NS1_11comp_targetILNS1_3genE3ELNS1_11target_archE908ELNS1_3gpuE7ELNS1_3repE0EEENS1_36merge_oddeven_config_static_selectorELNS0_4arch9wavefront6targetE0EEEvSF_
    .private_segment_fixed_size: 0
    .sgpr_count:     0
    .sgpr_spill_count: 0
    .symbol:         _ZN7rocprim17ROCPRIM_400000_NS6detail17trampoline_kernelINS0_14default_configENS1_38merge_sort_block_merge_config_selectorIdNS0_10empty_typeEEEZZNS1_27merge_sort_block_merge_implIS3_PdPS5_jNS1_19radix_merge_compareILb0ELb0EdNS0_19identity_decomposerEEEEE10hipError_tT0_T1_T2_jT3_P12ihipStream_tbPNSt15iterator_traitsISE_E10value_typeEPNSK_ISF_E10value_typeEPSG_NS1_7vsmem_tEENKUlT_SE_SF_SG_E_clIS8_S8_S9_S9_EESD_ST_SE_SF_SG_EUlST_E1_NS1_11comp_targetILNS1_3genE3ELNS1_11target_archE908ELNS1_3gpuE7ELNS1_3repE0EEENS1_36merge_oddeven_config_static_selectorELNS0_4arch9wavefront6targetE0EEEvSF_.kd
    .uniform_work_group_size: 1
    .uses_dynamic_stack: false
    .vgpr_count:     0
    .vgpr_spill_count: 0
    .wavefront_size: 32
  - .args:
      - .offset:         0
        .size:           48
        .value_kind:     by_value
    .group_segment_fixed_size: 0
    .kernarg_segment_align: 8
    .kernarg_segment_size: 48
    .language:       OpenCL C
    .language_version:
      - 2
      - 0
    .max_flat_workgroup_size: 256
    .name:           _ZN7rocprim17ROCPRIM_400000_NS6detail17trampoline_kernelINS0_14default_configENS1_38merge_sort_block_merge_config_selectorIdNS0_10empty_typeEEEZZNS1_27merge_sort_block_merge_implIS3_PdPS5_jNS1_19radix_merge_compareILb0ELb0EdNS0_19identity_decomposerEEEEE10hipError_tT0_T1_T2_jT3_P12ihipStream_tbPNSt15iterator_traitsISE_E10value_typeEPNSK_ISF_E10value_typeEPSG_NS1_7vsmem_tEENKUlT_SE_SF_SG_E_clIS8_S8_S9_S9_EESD_ST_SE_SF_SG_EUlST_E1_NS1_11comp_targetILNS1_3genE2ELNS1_11target_archE906ELNS1_3gpuE6ELNS1_3repE0EEENS1_36merge_oddeven_config_static_selectorELNS0_4arch9wavefront6targetE0EEEvSF_
    .private_segment_fixed_size: 0
    .sgpr_count:     0
    .sgpr_spill_count: 0
    .symbol:         _ZN7rocprim17ROCPRIM_400000_NS6detail17trampoline_kernelINS0_14default_configENS1_38merge_sort_block_merge_config_selectorIdNS0_10empty_typeEEEZZNS1_27merge_sort_block_merge_implIS3_PdPS5_jNS1_19radix_merge_compareILb0ELb0EdNS0_19identity_decomposerEEEEE10hipError_tT0_T1_T2_jT3_P12ihipStream_tbPNSt15iterator_traitsISE_E10value_typeEPNSK_ISF_E10value_typeEPSG_NS1_7vsmem_tEENKUlT_SE_SF_SG_E_clIS8_S8_S9_S9_EESD_ST_SE_SF_SG_EUlST_E1_NS1_11comp_targetILNS1_3genE2ELNS1_11target_archE906ELNS1_3gpuE6ELNS1_3repE0EEENS1_36merge_oddeven_config_static_selectorELNS0_4arch9wavefront6targetE0EEEvSF_.kd
    .uniform_work_group_size: 1
    .uses_dynamic_stack: false
    .vgpr_count:     0
    .vgpr_spill_count: 0
    .wavefront_size: 32
  - .args:
      - .offset:         0
        .size:           48
        .value_kind:     by_value
    .group_segment_fixed_size: 0
    .kernarg_segment_align: 8
    .kernarg_segment_size: 48
    .language:       OpenCL C
    .language_version:
      - 2
      - 0
    .max_flat_workgroup_size: 256
    .name:           _ZN7rocprim17ROCPRIM_400000_NS6detail17trampoline_kernelINS0_14default_configENS1_38merge_sort_block_merge_config_selectorIdNS0_10empty_typeEEEZZNS1_27merge_sort_block_merge_implIS3_PdPS5_jNS1_19radix_merge_compareILb0ELb0EdNS0_19identity_decomposerEEEEE10hipError_tT0_T1_T2_jT3_P12ihipStream_tbPNSt15iterator_traitsISE_E10value_typeEPNSK_ISF_E10value_typeEPSG_NS1_7vsmem_tEENKUlT_SE_SF_SG_E_clIS8_S8_S9_S9_EESD_ST_SE_SF_SG_EUlST_E1_NS1_11comp_targetILNS1_3genE9ELNS1_11target_archE1100ELNS1_3gpuE3ELNS1_3repE0EEENS1_36merge_oddeven_config_static_selectorELNS0_4arch9wavefront6targetE0EEEvSF_
    .private_segment_fixed_size: 0
    .sgpr_count:     0
    .sgpr_spill_count: 0
    .symbol:         _ZN7rocprim17ROCPRIM_400000_NS6detail17trampoline_kernelINS0_14default_configENS1_38merge_sort_block_merge_config_selectorIdNS0_10empty_typeEEEZZNS1_27merge_sort_block_merge_implIS3_PdPS5_jNS1_19radix_merge_compareILb0ELb0EdNS0_19identity_decomposerEEEEE10hipError_tT0_T1_T2_jT3_P12ihipStream_tbPNSt15iterator_traitsISE_E10value_typeEPNSK_ISF_E10value_typeEPSG_NS1_7vsmem_tEENKUlT_SE_SF_SG_E_clIS8_S8_S9_S9_EESD_ST_SE_SF_SG_EUlST_E1_NS1_11comp_targetILNS1_3genE9ELNS1_11target_archE1100ELNS1_3gpuE3ELNS1_3repE0EEENS1_36merge_oddeven_config_static_selectorELNS0_4arch9wavefront6targetE0EEEvSF_.kd
    .uniform_work_group_size: 1
    .uses_dynamic_stack: false
    .vgpr_count:     0
    .vgpr_spill_count: 0
    .wavefront_size: 32
  - .args:
      - .offset:         0
        .size:           48
        .value_kind:     by_value
    .group_segment_fixed_size: 0
    .kernarg_segment_align: 8
    .kernarg_segment_size: 48
    .language:       OpenCL C
    .language_version:
      - 2
      - 0
    .max_flat_workgroup_size: 256
    .name:           _ZN7rocprim17ROCPRIM_400000_NS6detail17trampoline_kernelINS0_14default_configENS1_38merge_sort_block_merge_config_selectorIdNS0_10empty_typeEEEZZNS1_27merge_sort_block_merge_implIS3_PdPS5_jNS1_19radix_merge_compareILb0ELb0EdNS0_19identity_decomposerEEEEE10hipError_tT0_T1_T2_jT3_P12ihipStream_tbPNSt15iterator_traitsISE_E10value_typeEPNSK_ISF_E10value_typeEPSG_NS1_7vsmem_tEENKUlT_SE_SF_SG_E_clIS8_S8_S9_S9_EESD_ST_SE_SF_SG_EUlST_E1_NS1_11comp_targetILNS1_3genE8ELNS1_11target_archE1030ELNS1_3gpuE2ELNS1_3repE0EEENS1_36merge_oddeven_config_static_selectorELNS0_4arch9wavefront6targetE0EEEvSF_
    .private_segment_fixed_size: 0
    .sgpr_count:     0
    .sgpr_spill_count: 0
    .symbol:         _ZN7rocprim17ROCPRIM_400000_NS6detail17trampoline_kernelINS0_14default_configENS1_38merge_sort_block_merge_config_selectorIdNS0_10empty_typeEEEZZNS1_27merge_sort_block_merge_implIS3_PdPS5_jNS1_19radix_merge_compareILb0ELb0EdNS0_19identity_decomposerEEEEE10hipError_tT0_T1_T2_jT3_P12ihipStream_tbPNSt15iterator_traitsISE_E10value_typeEPNSK_ISF_E10value_typeEPSG_NS1_7vsmem_tEENKUlT_SE_SF_SG_E_clIS8_S8_S9_S9_EESD_ST_SE_SF_SG_EUlST_E1_NS1_11comp_targetILNS1_3genE8ELNS1_11target_archE1030ELNS1_3gpuE2ELNS1_3repE0EEENS1_36merge_oddeven_config_static_selectorELNS0_4arch9wavefront6targetE0EEEvSF_.kd
    .uniform_work_group_size: 1
    .uses_dynamic_stack: false
    .vgpr_count:     0
    .vgpr_spill_count: 0
    .wavefront_size: 32
  - .args:
      - .offset:         0
        .size:           48
        .value_kind:     by_value
    .group_segment_fixed_size: 32768
    .kernarg_segment_align: 8
    .kernarg_segment_size: 48
    .language:       OpenCL C
    .language_version:
      - 2
      - 0
    .max_flat_workgroup_size: 512
    .name:           _ZN7rocprim17ROCPRIM_400000_NS6detail17trampoline_kernelINS0_14default_configENS1_35radix_sort_onesweep_config_selectorIdNS0_10empty_typeEEEZNS1_34radix_sort_onesweep_global_offsetsIS3_Lb0EPKdPS5_mNS0_19identity_decomposerEEE10hipError_tT1_T2_PT3_SF_jT4_jjP12ihipStream_tbEUlT_E_NS1_11comp_targetILNS1_3genE0ELNS1_11target_archE4294967295ELNS1_3gpuE0ELNS1_3repE0EEENS1_52radix_sort_onesweep_histogram_config_static_selectorELNS0_4arch9wavefront6targetE0EEEvSD_
    .private_segment_fixed_size: 0
    .sgpr_count:     18
    .sgpr_spill_count: 0
    .symbol:         _ZN7rocprim17ROCPRIM_400000_NS6detail17trampoline_kernelINS0_14default_configENS1_35radix_sort_onesweep_config_selectorIdNS0_10empty_typeEEEZNS1_34radix_sort_onesweep_global_offsetsIS3_Lb0EPKdPS5_mNS0_19identity_decomposerEEE10hipError_tT1_T2_PT3_SF_jT4_jjP12ihipStream_tbEUlT_E_NS1_11comp_targetILNS1_3genE0ELNS1_11target_archE4294967295ELNS1_3gpuE0ELNS1_3repE0EEENS1_52radix_sort_onesweep_histogram_config_static_selectorELNS0_4arch9wavefront6targetE0EEEvSD_.kd
    .uniform_work_group_size: 1
    .uses_dynamic_stack: false
    .vgpr_count:     30
    .vgpr_spill_count: 0
    .wavefront_size: 32
  - .args:
      - .offset:         0
        .size:           48
        .value_kind:     by_value
    .group_segment_fixed_size: 0
    .kernarg_segment_align: 8
    .kernarg_segment_size: 48
    .language:       OpenCL C
    .language_version:
      - 2
      - 0
    .max_flat_workgroup_size: 512
    .name:           _ZN7rocprim17ROCPRIM_400000_NS6detail17trampoline_kernelINS0_14default_configENS1_35radix_sort_onesweep_config_selectorIdNS0_10empty_typeEEEZNS1_34radix_sort_onesweep_global_offsetsIS3_Lb0EPKdPS5_mNS0_19identity_decomposerEEE10hipError_tT1_T2_PT3_SF_jT4_jjP12ihipStream_tbEUlT_E_NS1_11comp_targetILNS1_3genE6ELNS1_11target_archE950ELNS1_3gpuE13ELNS1_3repE0EEENS1_52radix_sort_onesweep_histogram_config_static_selectorELNS0_4arch9wavefront6targetE0EEEvSD_
    .private_segment_fixed_size: 0
    .sgpr_count:     0
    .sgpr_spill_count: 0
    .symbol:         _ZN7rocprim17ROCPRIM_400000_NS6detail17trampoline_kernelINS0_14default_configENS1_35radix_sort_onesweep_config_selectorIdNS0_10empty_typeEEEZNS1_34radix_sort_onesweep_global_offsetsIS3_Lb0EPKdPS5_mNS0_19identity_decomposerEEE10hipError_tT1_T2_PT3_SF_jT4_jjP12ihipStream_tbEUlT_E_NS1_11comp_targetILNS1_3genE6ELNS1_11target_archE950ELNS1_3gpuE13ELNS1_3repE0EEENS1_52radix_sort_onesweep_histogram_config_static_selectorELNS0_4arch9wavefront6targetE0EEEvSD_.kd
    .uniform_work_group_size: 1
    .uses_dynamic_stack: false
    .vgpr_count:     0
    .vgpr_spill_count: 0
    .wavefront_size: 32
  - .args:
      - .offset:         0
        .size:           48
        .value_kind:     by_value
    .group_segment_fixed_size: 0
    .kernarg_segment_align: 8
    .kernarg_segment_size: 48
    .language:       OpenCL C
    .language_version:
      - 2
      - 0
    .max_flat_workgroup_size: 512
    .name:           _ZN7rocprim17ROCPRIM_400000_NS6detail17trampoline_kernelINS0_14default_configENS1_35radix_sort_onesweep_config_selectorIdNS0_10empty_typeEEEZNS1_34radix_sort_onesweep_global_offsetsIS3_Lb0EPKdPS5_mNS0_19identity_decomposerEEE10hipError_tT1_T2_PT3_SF_jT4_jjP12ihipStream_tbEUlT_E_NS1_11comp_targetILNS1_3genE5ELNS1_11target_archE942ELNS1_3gpuE9ELNS1_3repE0EEENS1_52radix_sort_onesweep_histogram_config_static_selectorELNS0_4arch9wavefront6targetE0EEEvSD_
    .private_segment_fixed_size: 0
    .sgpr_count:     0
    .sgpr_spill_count: 0
    .symbol:         _ZN7rocprim17ROCPRIM_400000_NS6detail17trampoline_kernelINS0_14default_configENS1_35radix_sort_onesweep_config_selectorIdNS0_10empty_typeEEEZNS1_34radix_sort_onesweep_global_offsetsIS3_Lb0EPKdPS5_mNS0_19identity_decomposerEEE10hipError_tT1_T2_PT3_SF_jT4_jjP12ihipStream_tbEUlT_E_NS1_11comp_targetILNS1_3genE5ELNS1_11target_archE942ELNS1_3gpuE9ELNS1_3repE0EEENS1_52radix_sort_onesweep_histogram_config_static_selectorELNS0_4arch9wavefront6targetE0EEEvSD_.kd
    .uniform_work_group_size: 1
    .uses_dynamic_stack: false
    .vgpr_count:     0
    .vgpr_spill_count: 0
    .wavefront_size: 32
  - .args:
      - .offset:         0
        .size:           48
        .value_kind:     by_value
    .group_segment_fixed_size: 0
    .kernarg_segment_align: 8
    .kernarg_segment_size: 48
    .language:       OpenCL C
    .language_version:
      - 2
      - 0
    .max_flat_workgroup_size: 512
    .name:           _ZN7rocprim17ROCPRIM_400000_NS6detail17trampoline_kernelINS0_14default_configENS1_35radix_sort_onesweep_config_selectorIdNS0_10empty_typeEEEZNS1_34radix_sort_onesweep_global_offsetsIS3_Lb0EPKdPS5_mNS0_19identity_decomposerEEE10hipError_tT1_T2_PT3_SF_jT4_jjP12ihipStream_tbEUlT_E_NS1_11comp_targetILNS1_3genE2ELNS1_11target_archE906ELNS1_3gpuE6ELNS1_3repE0EEENS1_52radix_sort_onesweep_histogram_config_static_selectorELNS0_4arch9wavefront6targetE0EEEvSD_
    .private_segment_fixed_size: 0
    .sgpr_count:     0
    .sgpr_spill_count: 0
    .symbol:         _ZN7rocprim17ROCPRIM_400000_NS6detail17trampoline_kernelINS0_14default_configENS1_35radix_sort_onesweep_config_selectorIdNS0_10empty_typeEEEZNS1_34radix_sort_onesweep_global_offsetsIS3_Lb0EPKdPS5_mNS0_19identity_decomposerEEE10hipError_tT1_T2_PT3_SF_jT4_jjP12ihipStream_tbEUlT_E_NS1_11comp_targetILNS1_3genE2ELNS1_11target_archE906ELNS1_3gpuE6ELNS1_3repE0EEENS1_52radix_sort_onesweep_histogram_config_static_selectorELNS0_4arch9wavefront6targetE0EEEvSD_.kd
    .uniform_work_group_size: 1
    .uses_dynamic_stack: false
    .vgpr_count:     0
    .vgpr_spill_count: 0
    .wavefront_size: 32
  - .args:
      - .offset:         0
        .size:           48
        .value_kind:     by_value
    .group_segment_fixed_size: 0
    .kernarg_segment_align: 8
    .kernarg_segment_size: 48
    .language:       OpenCL C
    .language_version:
      - 2
      - 0
    .max_flat_workgroup_size: 1024
    .name:           _ZN7rocprim17ROCPRIM_400000_NS6detail17trampoline_kernelINS0_14default_configENS1_35radix_sort_onesweep_config_selectorIdNS0_10empty_typeEEEZNS1_34radix_sort_onesweep_global_offsetsIS3_Lb0EPKdPS5_mNS0_19identity_decomposerEEE10hipError_tT1_T2_PT3_SF_jT4_jjP12ihipStream_tbEUlT_E_NS1_11comp_targetILNS1_3genE4ELNS1_11target_archE910ELNS1_3gpuE8ELNS1_3repE0EEENS1_52radix_sort_onesweep_histogram_config_static_selectorELNS0_4arch9wavefront6targetE0EEEvSD_
    .private_segment_fixed_size: 0
    .sgpr_count:     0
    .sgpr_spill_count: 0
    .symbol:         _ZN7rocprim17ROCPRIM_400000_NS6detail17trampoline_kernelINS0_14default_configENS1_35radix_sort_onesweep_config_selectorIdNS0_10empty_typeEEEZNS1_34radix_sort_onesweep_global_offsetsIS3_Lb0EPKdPS5_mNS0_19identity_decomposerEEE10hipError_tT1_T2_PT3_SF_jT4_jjP12ihipStream_tbEUlT_E_NS1_11comp_targetILNS1_3genE4ELNS1_11target_archE910ELNS1_3gpuE8ELNS1_3repE0EEENS1_52radix_sort_onesweep_histogram_config_static_selectorELNS0_4arch9wavefront6targetE0EEEvSD_.kd
    .uniform_work_group_size: 1
    .uses_dynamic_stack: false
    .vgpr_count:     0
    .vgpr_spill_count: 0
    .wavefront_size: 32
  - .args:
      - .offset:         0
        .size:           48
        .value_kind:     by_value
    .group_segment_fixed_size: 0
    .kernarg_segment_align: 8
    .kernarg_segment_size: 48
    .language:       OpenCL C
    .language_version:
      - 2
      - 0
    .max_flat_workgroup_size: 512
    .name:           _ZN7rocprim17ROCPRIM_400000_NS6detail17trampoline_kernelINS0_14default_configENS1_35radix_sort_onesweep_config_selectorIdNS0_10empty_typeEEEZNS1_34radix_sort_onesweep_global_offsetsIS3_Lb0EPKdPS5_mNS0_19identity_decomposerEEE10hipError_tT1_T2_PT3_SF_jT4_jjP12ihipStream_tbEUlT_E_NS1_11comp_targetILNS1_3genE3ELNS1_11target_archE908ELNS1_3gpuE7ELNS1_3repE0EEENS1_52radix_sort_onesweep_histogram_config_static_selectorELNS0_4arch9wavefront6targetE0EEEvSD_
    .private_segment_fixed_size: 0
    .sgpr_count:     0
    .sgpr_spill_count: 0
    .symbol:         _ZN7rocprim17ROCPRIM_400000_NS6detail17trampoline_kernelINS0_14default_configENS1_35radix_sort_onesweep_config_selectorIdNS0_10empty_typeEEEZNS1_34radix_sort_onesweep_global_offsetsIS3_Lb0EPKdPS5_mNS0_19identity_decomposerEEE10hipError_tT1_T2_PT3_SF_jT4_jjP12ihipStream_tbEUlT_E_NS1_11comp_targetILNS1_3genE3ELNS1_11target_archE908ELNS1_3gpuE7ELNS1_3repE0EEENS1_52radix_sort_onesweep_histogram_config_static_selectorELNS0_4arch9wavefront6targetE0EEEvSD_.kd
    .uniform_work_group_size: 1
    .uses_dynamic_stack: false
    .vgpr_count:     0
    .vgpr_spill_count: 0
    .wavefront_size: 32
  - .args:
      - .offset:         0
        .size:           48
        .value_kind:     by_value
    .group_segment_fixed_size: 0
    .kernarg_segment_align: 8
    .kernarg_segment_size: 48
    .language:       OpenCL C
    .language_version:
      - 2
      - 0
    .max_flat_workgroup_size: 512
    .name:           _ZN7rocprim17ROCPRIM_400000_NS6detail17trampoline_kernelINS0_14default_configENS1_35radix_sort_onesweep_config_selectorIdNS0_10empty_typeEEEZNS1_34radix_sort_onesweep_global_offsetsIS3_Lb0EPKdPS5_mNS0_19identity_decomposerEEE10hipError_tT1_T2_PT3_SF_jT4_jjP12ihipStream_tbEUlT_E_NS1_11comp_targetILNS1_3genE10ELNS1_11target_archE1201ELNS1_3gpuE5ELNS1_3repE0EEENS1_52radix_sort_onesweep_histogram_config_static_selectorELNS0_4arch9wavefront6targetE0EEEvSD_
    .private_segment_fixed_size: 0
    .sgpr_count:     0
    .sgpr_spill_count: 0
    .symbol:         _ZN7rocprim17ROCPRIM_400000_NS6detail17trampoline_kernelINS0_14default_configENS1_35radix_sort_onesweep_config_selectorIdNS0_10empty_typeEEEZNS1_34radix_sort_onesweep_global_offsetsIS3_Lb0EPKdPS5_mNS0_19identity_decomposerEEE10hipError_tT1_T2_PT3_SF_jT4_jjP12ihipStream_tbEUlT_E_NS1_11comp_targetILNS1_3genE10ELNS1_11target_archE1201ELNS1_3gpuE5ELNS1_3repE0EEENS1_52radix_sort_onesweep_histogram_config_static_selectorELNS0_4arch9wavefront6targetE0EEEvSD_.kd
    .uniform_work_group_size: 1
    .uses_dynamic_stack: false
    .vgpr_count:     0
    .vgpr_spill_count: 0
    .wavefront_size: 32
  - .args:
      - .offset:         0
        .size:           48
        .value_kind:     by_value
    .group_segment_fixed_size: 0
    .kernarg_segment_align: 8
    .kernarg_segment_size: 48
    .language:       OpenCL C
    .language_version:
      - 2
      - 0
    .max_flat_workgroup_size: 1024
    .name:           _ZN7rocprim17ROCPRIM_400000_NS6detail17trampoline_kernelINS0_14default_configENS1_35radix_sort_onesweep_config_selectorIdNS0_10empty_typeEEEZNS1_34radix_sort_onesweep_global_offsetsIS3_Lb0EPKdPS5_mNS0_19identity_decomposerEEE10hipError_tT1_T2_PT3_SF_jT4_jjP12ihipStream_tbEUlT_E_NS1_11comp_targetILNS1_3genE9ELNS1_11target_archE1100ELNS1_3gpuE3ELNS1_3repE0EEENS1_52radix_sort_onesweep_histogram_config_static_selectorELNS0_4arch9wavefront6targetE0EEEvSD_
    .private_segment_fixed_size: 0
    .sgpr_count:     0
    .sgpr_spill_count: 0
    .symbol:         _ZN7rocprim17ROCPRIM_400000_NS6detail17trampoline_kernelINS0_14default_configENS1_35radix_sort_onesweep_config_selectorIdNS0_10empty_typeEEEZNS1_34radix_sort_onesweep_global_offsetsIS3_Lb0EPKdPS5_mNS0_19identity_decomposerEEE10hipError_tT1_T2_PT3_SF_jT4_jjP12ihipStream_tbEUlT_E_NS1_11comp_targetILNS1_3genE9ELNS1_11target_archE1100ELNS1_3gpuE3ELNS1_3repE0EEENS1_52radix_sort_onesweep_histogram_config_static_selectorELNS0_4arch9wavefront6targetE0EEEvSD_.kd
    .uniform_work_group_size: 1
    .uses_dynamic_stack: false
    .vgpr_count:     0
    .vgpr_spill_count: 0
    .wavefront_size: 32
  - .args:
      - .offset:         0
        .size:           48
        .value_kind:     by_value
    .group_segment_fixed_size: 0
    .kernarg_segment_align: 8
    .kernarg_segment_size: 48
    .language:       OpenCL C
    .language_version:
      - 2
      - 0
    .max_flat_workgroup_size: 1024
    .name:           _ZN7rocprim17ROCPRIM_400000_NS6detail17trampoline_kernelINS0_14default_configENS1_35radix_sort_onesweep_config_selectorIdNS0_10empty_typeEEEZNS1_34radix_sort_onesweep_global_offsetsIS3_Lb0EPKdPS5_mNS0_19identity_decomposerEEE10hipError_tT1_T2_PT3_SF_jT4_jjP12ihipStream_tbEUlT_E_NS1_11comp_targetILNS1_3genE8ELNS1_11target_archE1030ELNS1_3gpuE2ELNS1_3repE0EEENS1_52radix_sort_onesweep_histogram_config_static_selectorELNS0_4arch9wavefront6targetE0EEEvSD_
    .private_segment_fixed_size: 0
    .sgpr_count:     0
    .sgpr_spill_count: 0
    .symbol:         _ZN7rocprim17ROCPRIM_400000_NS6detail17trampoline_kernelINS0_14default_configENS1_35radix_sort_onesweep_config_selectorIdNS0_10empty_typeEEEZNS1_34radix_sort_onesweep_global_offsetsIS3_Lb0EPKdPS5_mNS0_19identity_decomposerEEE10hipError_tT1_T2_PT3_SF_jT4_jjP12ihipStream_tbEUlT_E_NS1_11comp_targetILNS1_3genE8ELNS1_11target_archE1030ELNS1_3gpuE2ELNS1_3repE0EEENS1_52radix_sort_onesweep_histogram_config_static_selectorELNS0_4arch9wavefront6targetE0EEEvSD_.kd
    .uniform_work_group_size: 1
    .uses_dynamic_stack: false
    .vgpr_count:     0
    .vgpr_spill_count: 0
    .wavefront_size: 32
  - .args:
      - .address_space:  global
        .offset:         0
        .size:           8
        .value_kind:     global_buffer
    .group_segment_fixed_size: 128
    .kernarg_segment_align: 8
    .kernarg_segment_size: 8
    .language:       OpenCL C
    .language_version:
      - 2
      - 0
    .max_flat_workgroup_size: 512
    .name:           _ZN7rocprim17ROCPRIM_400000_NS6detail17trampoline_kernelINS0_14default_configENS1_35radix_sort_onesweep_config_selectorIdNS0_10empty_typeEEEZNS1_34radix_sort_onesweep_global_offsetsIS3_Lb0EPKdPS5_mNS0_19identity_decomposerEEE10hipError_tT1_T2_PT3_SF_jT4_jjP12ihipStream_tbEUlT_E0_NS1_11comp_targetILNS1_3genE0ELNS1_11target_archE4294967295ELNS1_3gpuE0ELNS1_3repE0EEENS1_52radix_sort_onesweep_histogram_config_static_selectorELNS0_4arch9wavefront6targetE0EEEvSD_
    .private_segment_fixed_size: 0
    .sgpr_count:     10
    .sgpr_spill_count: 0
    .symbol:         _ZN7rocprim17ROCPRIM_400000_NS6detail17trampoline_kernelINS0_14default_configENS1_35radix_sort_onesweep_config_selectorIdNS0_10empty_typeEEEZNS1_34radix_sort_onesweep_global_offsetsIS3_Lb0EPKdPS5_mNS0_19identity_decomposerEEE10hipError_tT1_T2_PT3_SF_jT4_jjP12ihipStream_tbEUlT_E0_NS1_11comp_targetILNS1_3genE0ELNS1_11target_archE4294967295ELNS1_3gpuE0ELNS1_3repE0EEENS1_52radix_sort_onesweep_histogram_config_static_selectorELNS0_4arch9wavefront6targetE0EEEvSD_.kd
    .uniform_work_group_size: 1
    .uses_dynamic_stack: false
    .vgpr_count:     14
    .vgpr_spill_count: 0
    .wavefront_size: 32
  - .args:
      - .address_space:  global
        .offset:         0
        .size:           8
        .value_kind:     global_buffer
    .group_segment_fixed_size: 0
    .kernarg_segment_align: 8
    .kernarg_segment_size: 8
    .language:       OpenCL C
    .language_version:
      - 2
      - 0
    .max_flat_workgroup_size: 512
    .name:           _ZN7rocprim17ROCPRIM_400000_NS6detail17trampoline_kernelINS0_14default_configENS1_35radix_sort_onesweep_config_selectorIdNS0_10empty_typeEEEZNS1_34radix_sort_onesweep_global_offsetsIS3_Lb0EPKdPS5_mNS0_19identity_decomposerEEE10hipError_tT1_T2_PT3_SF_jT4_jjP12ihipStream_tbEUlT_E0_NS1_11comp_targetILNS1_3genE6ELNS1_11target_archE950ELNS1_3gpuE13ELNS1_3repE0EEENS1_52radix_sort_onesweep_histogram_config_static_selectorELNS0_4arch9wavefront6targetE0EEEvSD_
    .private_segment_fixed_size: 0
    .sgpr_count:     0
    .sgpr_spill_count: 0
    .symbol:         _ZN7rocprim17ROCPRIM_400000_NS6detail17trampoline_kernelINS0_14default_configENS1_35radix_sort_onesweep_config_selectorIdNS0_10empty_typeEEEZNS1_34radix_sort_onesweep_global_offsetsIS3_Lb0EPKdPS5_mNS0_19identity_decomposerEEE10hipError_tT1_T2_PT3_SF_jT4_jjP12ihipStream_tbEUlT_E0_NS1_11comp_targetILNS1_3genE6ELNS1_11target_archE950ELNS1_3gpuE13ELNS1_3repE0EEENS1_52radix_sort_onesweep_histogram_config_static_selectorELNS0_4arch9wavefront6targetE0EEEvSD_.kd
    .uniform_work_group_size: 1
    .uses_dynamic_stack: false
    .vgpr_count:     0
    .vgpr_spill_count: 0
    .wavefront_size: 32
  - .args:
      - .address_space:  global
        .offset:         0
        .size:           8
        .value_kind:     global_buffer
    .group_segment_fixed_size: 0
    .kernarg_segment_align: 8
    .kernarg_segment_size: 8
    .language:       OpenCL C
    .language_version:
      - 2
      - 0
    .max_flat_workgroup_size: 512
    .name:           _ZN7rocprim17ROCPRIM_400000_NS6detail17trampoline_kernelINS0_14default_configENS1_35radix_sort_onesweep_config_selectorIdNS0_10empty_typeEEEZNS1_34radix_sort_onesweep_global_offsetsIS3_Lb0EPKdPS5_mNS0_19identity_decomposerEEE10hipError_tT1_T2_PT3_SF_jT4_jjP12ihipStream_tbEUlT_E0_NS1_11comp_targetILNS1_3genE5ELNS1_11target_archE942ELNS1_3gpuE9ELNS1_3repE0EEENS1_52radix_sort_onesweep_histogram_config_static_selectorELNS0_4arch9wavefront6targetE0EEEvSD_
    .private_segment_fixed_size: 0
    .sgpr_count:     0
    .sgpr_spill_count: 0
    .symbol:         _ZN7rocprim17ROCPRIM_400000_NS6detail17trampoline_kernelINS0_14default_configENS1_35radix_sort_onesweep_config_selectorIdNS0_10empty_typeEEEZNS1_34radix_sort_onesweep_global_offsetsIS3_Lb0EPKdPS5_mNS0_19identity_decomposerEEE10hipError_tT1_T2_PT3_SF_jT4_jjP12ihipStream_tbEUlT_E0_NS1_11comp_targetILNS1_3genE5ELNS1_11target_archE942ELNS1_3gpuE9ELNS1_3repE0EEENS1_52radix_sort_onesweep_histogram_config_static_selectorELNS0_4arch9wavefront6targetE0EEEvSD_.kd
    .uniform_work_group_size: 1
    .uses_dynamic_stack: false
    .vgpr_count:     0
    .vgpr_spill_count: 0
    .wavefront_size: 32
  - .args:
      - .address_space:  global
        .offset:         0
        .size:           8
        .value_kind:     global_buffer
    .group_segment_fixed_size: 0
    .kernarg_segment_align: 8
    .kernarg_segment_size: 8
    .language:       OpenCL C
    .language_version:
      - 2
      - 0
    .max_flat_workgroup_size: 512
    .name:           _ZN7rocprim17ROCPRIM_400000_NS6detail17trampoline_kernelINS0_14default_configENS1_35radix_sort_onesweep_config_selectorIdNS0_10empty_typeEEEZNS1_34radix_sort_onesweep_global_offsetsIS3_Lb0EPKdPS5_mNS0_19identity_decomposerEEE10hipError_tT1_T2_PT3_SF_jT4_jjP12ihipStream_tbEUlT_E0_NS1_11comp_targetILNS1_3genE2ELNS1_11target_archE906ELNS1_3gpuE6ELNS1_3repE0EEENS1_52radix_sort_onesweep_histogram_config_static_selectorELNS0_4arch9wavefront6targetE0EEEvSD_
    .private_segment_fixed_size: 0
    .sgpr_count:     0
    .sgpr_spill_count: 0
    .symbol:         _ZN7rocprim17ROCPRIM_400000_NS6detail17trampoline_kernelINS0_14default_configENS1_35radix_sort_onesweep_config_selectorIdNS0_10empty_typeEEEZNS1_34radix_sort_onesweep_global_offsetsIS3_Lb0EPKdPS5_mNS0_19identity_decomposerEEE10hipError_tT1_T2_PT3_SF_jT4_jjP12ihipStream_tbEUlT_E0_NS1_11comp_targetILNS1_3genE2ELNS1_11target_archE906ELNS1_3gpuE6ELNS1_3repE0EEENS1_52radix_sort_onesweep_histogram_config_static_selectorELNS0_4arch9wavefront6targetE0EEEvSD_.kd
    .uniform_work_group_size: 1
    .uses_dynamic_stack: false
    .vgpr_count:     0
    .vgpr_spill_count: 0
    .wavefront_size: 32
  - .args:
      - .address_space:  global
        .offset:         0
        .size:           8
        .value_kind:     global_buffer
    .group_segment_fixed_size: 0
    .kernarg_segment_align: 8
    .kernarg_segment_size: 8
    .language:       OpenCL C
    .language_version:
      - 2
      - 0
    .max_flat_workgroup_size: 1024
    .name:           _ZN7rocprim17ROCPRIM_400000_NS6detail17trampoline_kernelINS0_14default_configENS1_35radix_sort_onesweep_config_selectorIdNS0_10empty_typeEEEZNS1_34radix_sort_onesweep_global_offsetsIS3_Lb0EPKdPS5_mNS0_19identity_decomposerEEE10hipError_tT1_T2_PT3_SF_jT4_jjP12ihipStream_tbEUlT_E0_NS1_11comp_targetILNS1_3genE4ELNS1_11target_archE910ELNS1_3gpuE8ELNS1_3repE0EEENS1_52radix_sort_onesweep_histogram_config_static_selectorELNS0_4arch9wavefront6targetE0EEEvSD_
    .private_segment_fixed_size: 0
    .sgpr_count:     0
    .sgpr_spill_count: 0
    .symbol:         _ZN7rocprim17ROCPRIM_400000_NS6detail17trampoline_kernelINS0_14default_configENS1_35radix_sort_onesweep_config_selectorIdNS0_10empty_typeEEEZNS1_34radix_sort_onesweep_global_offsetsIS3_Lb0EPKdPS5_mNS0_19identity_decomposerEEE10hipError_tT1_T2_PT3_SF_jT4_jjP12ihipStream_tbEUlT_E0_NS1_11comp_targetILNS1_3genE4ELNS1_11target_archE910ELNS1_3gpuE8ELNS1_3repE0EEENS1_52radix_sort_onesweep_histogram_config_static_selectorELNS0_4arch9wavefront6targetE0EEEvSD_.kd
    .uniform_work_group_size: 1
    .uses_dynamic_stack: false
    .vgpr_count:     0
    .vgpr_spill_count: 0
    .wavefront_size: 32
  - .args:
      - .address_space:  global
        .offset:         0
        .size:           8
        .value_kind:     global_buffer
    .group_segment_fixed_size: 0
    .kernarg_segment_align: 8
    .kernarg_segment_size: 8
    .language:       OpenCL C
    .language_version:
      - 2
      - 0
    .max_flat_workgroup_size: 512
    .name:           _ZN7rocprim17ROCPRIM_400000_NS6detail17trampoline_kernelINS0_14default_configENS1_35radix_sort_onesweep_config_selectorIdNS0_10empty_typeEEEZNS1_34radix_sort_onesweep_global_offsetsIS3_Lb0EPKdPS5_mNS0_19identity_decomposerEEE10hipError_tT1_T2_PT3_SF_jT4_jjP12ihipStream_tbEUlT_E0_NS1_11comp_targetILNS1_3genE3ELNS1_11target_archE908ELNS1_3gpuE7ELNS1_3repE0EEENS1_52radix_sort_onesweep_histogram_config_static_selectorELNS0_4arch9wavefront6targetE0EEEvSD_
    .private_segment_fixed_size: 0
    .sgpr_count:     0
    .sgpr_spill_count: 0
    .symbol:         _ZN7rocprim17ROCPRIM_400000_NS6detail17trampoline_kernelINS0_14default_configENS1_35radix_sort_onesweep_config_selectorIdNS0_10empty_typeEEEZNS1_34radix_sort_onesweep_global_offsetsIS3_Lb0EPKdPS5_mNS0_19identity_decomposerEEE10hipError_tT1_T2_PT3_SF_jT4_jjP12ihipStream_tbEUlT_E0_NS1_11comp_targetILNS1_3genE3ELNS1_11target_archE908ELNS1_3gpuE7ELNS1_3repE0EEENS1_52radix_sort_onesweep_histogram_config_static_selectorELNS0_4arch9wavefront6targetE0EEEvSD_.kd
    .uniform_work_group_size: 1
    .uses_dynamic_stack: false
    .vgpr_count:     0
    .vgpr_spill_count: 0
    .wavefront_size: 32
  - .args:
      - .address_space:  global
        .offset:         0
        .size:           8
        .value_kind:     global_buffer
    .group_segment_fixed_size: 0
    .kernarg_segment_align: 8
    .kernarg_segment_size: 8
    .language:       OpenCL C
    .language_version:
      - 2
      - 0
    .max_flat_workgroup_size: 512
    .name:           _ZN7rocprim17ROCPRIM_400000_NS6detail17trampoline_kernelINS0_14default_configENS1_35radix_sort_onesweep_config_selectorIdNS0_10empty_typeEEEZNS1_34radix_sort_onesweep_global_offsetsIS3_Lb0EPKdPS5_mNS0_19identity_decomposerEEE10hipError_tT1_T2_PT3_SF_jT4_jjP12ihipStream_tbEUlT_E0_NS1_11comp_targetILNS1_3genE10ELNS1_11target_archE1201ELNS1_3gpuE5ELNS1_3repE0EEENS1_52radix_sort_onesweep_histogram_config_static_selectorELNS0_4arch9wavefront6targetE0EEEvSD_
    .private_segment_fixed_size: 0
    .sgpr_count:     0
    .sgpr_spill_count: 0
    .symbol:         _ZN7rocprim17ROCPRIM_400000_NS6detail17trampoline_kernelINS0_14default_configENS1_35radix_sort_onesweep_config_selectorIdNS0_10empty_typeEEEZNS1_34radix_sort_onesweep_global_offsetsIS3_Lb0EPKdPS5_mNS0_19identity_decomposerEEE10hipError_tT1_T2_PT3_SF_jT4_jjP12ihipStream_tbEUlT_E0_NS1_11comp_targetILNS1_3genE10ELNS1_11target_archE1201ELNS1_3gpuE5ELNS1_3repE0EEENS1_52radix_sort_onesweep_histogram_config_static_selectorELNS0_4arch9wavefront6targetE0EEEvSD_.kd
    .uniform_work_group_size: 1
    .uses_dynamic_stack: false
    .vgpr_count:     0
    .vgpr_spill_count: 0
    .wavefront_size: 32
  - .args:
      - .address_space:  global
        .offset:         0
        .size:           8
        .value_kind:     global_buffer
    .group_segment_fixed_size: 0
    .kernarg_segment_align: 8
    .kernarg_segment_size: 8
    .language:       OpenCL C
    .language_version:
      - 2
      - 0
    .max_flat_workgroup_size: 1024
    .name:           _ZN7rocprim17ROCPRIM_400000_NS6detail17trampoline_kernelINS0_14default_configENS1_35radix_sort_onesweep_config_selectorIdNS0_10empty_typeEEEZNS1_34radix_sort_onesweep_global_offsetsIS3_Lb0EPKdPS5_mNS0_19identity_decomposerEEE10hipError_tT1_T2_PT3_SF_jT4_jjP12ihipStream_tbEUlT_E0_NS1_11comp_targetILNS1_3genE9ELNS1_11target_archE1100ELNS1_3gpuE3ELNS1_3repE0EEENS1_52radix_sort_onesweep_histogram_config_static_selectorELNS0_4arch9wavefront6targetE0EEEvSD_
    .private_segment_fixed_size: 0
    .sgpr_count:     0
    .sgpr_spill_count: 0
    .symbol:         _ZN7rocprim17ROCPRIM_400000_NS6detail17trampoline_kernelINS0_14default_configENS1_35radix_sort_onesweep_config_selectorIdNS0_10empty_typeEEEZNS1_34radix_sort_onesweep_global_offsetsIS3_Lb0EPKdPS5_mNS0_19identity_decomposerEEE10hipError_tT1_T2_PT3_SF_jT4_jjP12ihipStream_tbEUlT_E0_NS1_11comp_targetILNS1_3genE9ELNS1_11target_archE1100ELNS1_3gpuE3ELNS1_3repE0EEENS1_52radix_sort_onesweep_histogram_config_static_selectorELNS0_4arch9wavefront6targetE0EEEvSD_.kd
    .uniform_work_group_size: 1
    .uses_dynamic_stack: false
    .vgpr_count:     0
    .vgpr_spill_count: 0
    .wavefront_size: 32
  - .args:
      - .address_space:  global
        .offset:         0
        .size:           8
        .value_kind:     global_buffer
    .group_segment_fixed_size: 0
    .kernarg_segment_align: 8
    .kernarg_segment_size: 8
    .language:       OpenCL C
    .language_version:
      - 2
      - 0
    .max_flat_workgroup_size: 1024
    .name:           _ZN7rocprim17ROCPRIM_400000_NS6detail17trampoline_kernelINS0_14default_configENS1_35radix_sort_onesweep_config_selectorIdNS0_10empty_typeEEEZNS1_34radix_sort_onesweep_global_offsetsIS3_Lb0EPKdPS5_mNS0_19identity_decomposerEEE10hipError_tT1_T2_PT3_SF_jT4_jjP12ihipStream_tbEUlT_E0_NS1_11comp_targetILNS1_3genE8ELNS1_11target_archE1030ELNS1_3gpuE2ELNS1_3repE0EEENS1_52radix_sort_onesweep_histogram_config_static_selectorELNS0_4arch9wavefront6targetE0EEEvSD_
    .private_segment_fixed_size: 0
    .sgpr_count:     0
    .sgpr_spill_count: 0
    .symbol:         _ZN7rocprim17ROCPRIM_400000_NS6detail17trampoline_kernelINS0_14default_configENS1_35radix_sort_onesweep_config_selectorIdNS0_10empty_typeEEEZNS1_34radix_sort_onesweep_global_offsetsIS3_Lb0EPKdPS5_mNS0_19identity_decomposerEEE10hipError_tT1_T2_PT3_SF_jT4_jjP12ihipStream_tbEUlT_E0_NS1_11comp_targetILNS1_3genE8ELNS1_11target_archE1030ELNS1_3gpuE2ELNS1_3repE0EEENS1_52radix_sort_onesweep_histogram_config_static_selectorELNS0_4arch9wavefront6targetE0EEEvSD_.kd
    .uniform_work_group_size: 1
    .uses_dynamic_stack: false
    .vgpr_count:     0
    .vgpr_spill_count: 0
    .wavefront_size: 32
  - .args:
      - .offset:         0
        .size:           88
        .value_kind:     by_value
      - .offset:         88
        .size:           4
        .value_kind:     hidden_block_count_x
      - .offset:         92
        .size:           4
        .value_kind:     hidden_block_count_y
      - .offset:         96
        .size:           4
        .value_kind:     hidden_block_count_z
      - .offset:         100
        .size:           2
        .value_kind:     hidden_group_size_x
      - .offset:         102
        .size:           2
        .value_kind:     hidden_group_size_y
      - .offset:         104
        .size:           2
        .value_kind:     hidden_group_size_z
      - .offset:         106
        .size:           2
        .value_kind:     hidden_remainder_x
      - .offset:         108
        .size:           2
        .value_kind:     hidden_remainder_y
      - .offset:         110
        .size:           2
        .value_kind:     hidden_remainder_z
      - .offset:         128
        .size:           8
        .value_kind:     hidden_global_offset_x
      - .offset:         136
        .size:           8
        .value_kind:     hidden_global_offset_y
      - .offset:         144
        .size:           8
        .value_kind:     hidden_global_offset_z
      - .offset:         152
        .size:           2
        .value_kind:     hidden_grid_dims
    .group_segment_fixed_size: 18504
    .kernarg_segment_align: 8
    .kernarg_segment_size: 344
    .language:       OpenCL C
    .language_version:
      - 2
      - 0
    .max_flat_workgroup_size: 512
    .name:           _ZN7rocprim17ROCPRIM_400000_NS6detail17trampoline_kernelINS0_14default_configENS1_35radix_sort_onesweep_config_selectorIdNS0_10empty_typeEEEZZNS1_29radix_sort_onesweep_iterationIS3_Lb0EPKdPdPS5_SB_mNS0_19identity_decomposerENS1_16block_id_wrapperIjLb1EEEEE10hipError_tT1_PNSt15iterator_traitsISG_E10value_typeET2_T3_PNSH_ISM_E10value_typeET4_T5_PSR_SS_PNS1_23onesweep_lookback_stateEbbT6_jjT7_P12ihipStream_tbENKUlT_T0_SG_SL_E_clIS9_SA_SB_SB_EEDaSZ_S10_SG_SL_EUlSZ_E_NS1_11comp_targetILNS1_3genE0ELNS1_11target_archE4294967295ELNS1_3gpuE0ELNS1_3repE0EEENS1_47radix_sort_onesweep_sort_config_static_selectorELNS0_4arch9wavefront6targetE0EEEvSG_
    .private_segment_fixed_size: 0
    .sgpr_count:     33
    .sgpr_spill_count: 0
    .symbol:         _ZN7rocprim17ROCPRIM_400000_NS6detail17trampoline_kernelINS0_14default_configENS1_35radix_sort_onesweep_config_selectorIdNS0_10empty_typeEEEZZNS1_29radix_sort_onesweep_iterationIS3_Lb0EPKdPdPS5_SB_mNS0_19identity_decomposerENS1_16block_id_wrapperIjLb1EEEEE10hipError_tT1_PNSt15iterator_traitsISG_E10value_typeET2_T3_PNSH_ISM_E10value_typeET4_T5_PSR_SS_PNS1_23onesweep_lookback_stateEbbT6_jjT7_P12ihipStream_tbENKUlT_T0_SG_SL_E_clIS9_SA_SB_SB_EEDaSZ_S10_SG_SL_EUlSZ_E_NS1_11comp_targetILNS1_3genE0ELNS1_11target_archE4294967295ELNS1_3gpuE0ELNS1_3repE0EEENS1_47radix_sort_onesweep_sort_config_static_selectorELNS0_4arch9wavefront6targetE0EEEvSG_.kd
    .uniform_work_group_size: 1
    .uses_dynamic_stack: false
    .vgpr_count:     57
    .vgpr_spill_count: 0
    .wavefront_size: 32
  - .args:
      - .offset:         0
        .size:           88
        .value_kind:     by_value
    .group_segment_fixed_size: 0
    .kernarg_segment_align: 8
    .kernarg_segment_size: 88
    .language:       OpenCL C
    .language_version:
      - 2
      - 0
    .max_flat_workgroup_size: 512
    .name:           _ZN7rocprim17ROCPRIM_400000_NS6detail17trampoline_kernelINS0_14default_configENS1_35radix_sort_onesweep_config_selectorIdNS0_10empty_typeEEEZZNS1_29radix_sort_onesweep_iterationIS3_Lb0EPKdPdPS5_SB_mNS0_19identity_decomposerENS1_16block_id_wrapperIjLb1EEEEE10hipError_tT1_PNSt15iterator_traitsISG_E10value_typeET2_T3_PNSH_ISM_E10value_typeET4_T5_PSR_SS_PNS1_23onesweep_lookback_stateEbbT6_jjT7_P12ihipStream_tbENKUlT_T0_SG_SL_E_clIS9_SA_SB_SB_EEDaSZ_S10_SG_SL_EUlSZ_E_NS1_11comp_targetILNS1_3genE6ELNS1_11target_archE950ELNS1_3gpuE13ELNS1_3repE0EEENS1_47radix_sort_onesweep_sort_config_static_selectorELNS0_4arch9wavefront6targetE0EEEvSG_
    .private_segment_fixed_size: 0
    .sgpr_count:     0
    .sgpr_spill_count: 0
    .symbol:         _ZN7rocprim17ROCPRIM_400000_NS6detail17trampoline_kernelINS0_14default_configENS1_35radix_sort_onesweep_config_selectorIdNS0_10empty_typeEEEZZNS1_29radix_sort_onesweep_iterationIS3_Lb0EPKdPdPS5_SB_mNS0_19identity_decomposerENS1_16block_id_wrapperIjLb1EEEEE10hipError_tT1_PNSt15iterator_traitsISG_E10value_typeET2_T3_PNSH_ISM_E10value_typeET4_T5_PSR_SS_PNS1_23onesweep_lookback_stateEbbT6_jjT7_P12ihipStream_tbENKUlT_T0_SG_SL_E_clIS9_SA_SB_SB_EEDaSZ_S10_SG_SL_EUlSZ_E_NS1_11comp_targetILNS1_3genE6ELNS1_11target_archE950ELNS1_3gpuE13ELNS1_3repE0EEENS1_47radix_sort_onesweep_sort_config_static_selectorELNS0_4arch9wavefront6targetE0EEEvSG_.kd
    .uniform_work_group_size: 1
    .uses_dynamic_stack: false
    .vgpr_count:     0
    .vgpr_spill_count: 0
    .wavefront_size: 32
  - .args:
      - .offset:         0
        .size:           88
        .value_kind:     by_value
    .group_segment_fixed_size: 0
    .kernarg_segment_align: 8
    .kernarg_segment_size: 88
    .language:       OpenCL C
    .language_version:
      - 2
      - 0
    .max_flat_workgroup_size: 512
    .name:           _ZN7rocprim17ROCPRIM_400000_NS6detail17trampoline_kernelINS0_14default_configENS1_35radix_sort_onesweep_config_selectorIdNS0_10empty_typeEEEZZNS1_29radix_sort_onesweep_iterationIS3_Lb0EPKdPdPS5_SB_mNS0_19identity_decomposerENS1_16block_id_wrapperIjLb1EEEEE10hipError_tT1_PNSt15iterator_traitsISG_E10value_typeET2_T3_PNSH_ISM_E10value_typeET4_T5_PSR_SS_PNS1_23onesweep_lookback_stateEbbT6_jjT7_P12ihipStream_tbENKUlT_T0_SG_SL_E_clIS9_SA_SB_SB_EEDaSZ_S10_SG_SL_EUlSZ_E_NS1_11comp_targetILNS1_3genE5ELNS1_11target_archE942ELNS1_3gpuE9ELNS1_3repE0EEENS1_47radix_sort_onesweep_sort_config_static_selectorELNS0_4arch9wavefront6targetE0EEEvSG_
    .private_segment_fixed_size: 0
    .sgpr_count:     0
    .sgpr_spill_count: 0
    .symbol:         _ZN7rocprim17ROCPRIM_400000_NS6detail17trampoline_kernelINS0_14default_configENS1_35radix_sort_onesweep_config_selectorIdNS0_10empty_typeEEEZZNS1_29radix_sort_onesweep_iterationIS3_Lb0EPKdPdPS5_SB_mNS0_19identity_decomposerENS1_16block_id_wrapperIjLb1EEEEE10hipError_tT1_PNSt15iterator_traitsISG_E10value_typeET2_T3_PNSH_ISM_E10value_typeET4_T5_PSR_SS_PNS1_23onesweep_lookback_stateEbbT6_jjT7_P12ihipStream_tbENKUlT_T0_SG_SL_E_clIS9_SA_SB_SB_EEDaSZ_S10_SG_SL_EUlSZ_E_NS1_11comp_targetILNS1_3genE5ELNS1_11target_archE942ELNS1_3gpuE9ELNS1_3repE0EEENS1_47radix_sort_onesweep_sort_config_static_selectorELNS0_4arch9wavefront6targetE0EEEvSG_.kd
    .uniform_work_group_size: 1
    .uses_dynamic_stack: false
    .vgpr_count:     0
    .vgpr_spill_count: 0
    .wavefront_size: 32
  - .args:
      - .offset:         0
        .size:           88
        .value_kind:     by_value
    .group_segment_fixed_size: 0
    .kernarg_segment_align: 8
    .kernarg_segment_size: 88
    .language:       OpenCL C
    .language_version:
      - 2
      - 0
    .max_flat_workgroup_size: 512
    .name:           _ZN7rocprim17ROCPRIM_400000_NS6detail17trampoline_kernelINS0_14default_configENS1_35radix_sort_onesweep_config_selectorIdNS0_10empty_typeEEEZZNS1_29radix_sort_onesweep_iterationIS3_Lb0EPKdPdPS5_SB_mNS0_19identity_decomposerENS1_16block_id_wrapperIjLb1EEEEE10hipError_tT1_PNSt15iterator_traitsISG_E10value_typeET2_T3_PNSH_ISM_E10value_typeET4_T5_PSR_SS_PNS1_23onesweep_lookback_stateEbbT6_jjT7_P12ihipStream_tbENKUlT_T0_SG_SL_E_clIS9_SA_SB_SB_EEDaSZ_S10_SG_SL_EUlSZ_E_NS1_11comp_targetILNS1_3genE2ELNS1_11target_archE906ELNS1_3gpuE6ELNS1_3repE0EEENS1_47radix_sort_onesweep_sort_config_static_selectorELNS0_4arch9wavefront6targetE0EEEvSG_
    .private_segment_fixed_size: 0
    .sgpr_count:     0
    .sgpr_spill_count: 0
    .symbol:         _ZN7rocprim17ROCPRIM_400000_NS6detail17trampoline_kernelINS0_14default_configENS1_35radix_sort_onesweep_config_selectorIdNS0_10empty_typeEEEZZNS1_29radix_sort_onesweep_iterationIS3_Lb0EPKdPdPS5_SB_mNS0_19identity_decomposerENS1_16block_id_wrapperIjLb1EEEEE10hipError_tT1_PNSt15iterator_traitsISG_E10value_typeET2_T3_PNSH_ISM_E10value_typeET4_T5_PSR_SS_PNS1_23onesweep_lookback_stateEbbT6_jjT7_P12ihipStream_tbENKUlT_T0_SG_SL_E_clIS9_SA_SB_SB_EEDaSZ_S10_SG_SL_EUlSZ_E_NS1_11comp_targetILNS1_3genE2ELNS1_11target_archE906ELNS1_3gpuE6ELNS1_3repE0EEENS1_47radix_sort_onesweep_sort_config_static_selectorELNS0_4arch9wavefront6targetE0EEEvSG_.kd
    .uniform_work_group_size: 1
    .uses_dynamic_stack: false
    .vgpr_count:     0
    .vgpr_spill_count: 0
    .wavefront_size: 32
  - .args:
      - .offset:         0
        .size:           88
        .value_kind:     by_value
    .group_segment_fixed_size: 0
    .kernarg_segment_align: 8
    .kernarg_segment_size: 88
    .language:       OpenCL C
    .language_version:
      - 2
      - 0
    .max_flat_workgroup_size: 1024
    .name:           _ZN7rocprim17ROCPRIM_400000_NS6detail17trampoline_kernelINS0_14default_configENS1_35radix_sort_onesweep_config_selectorIdNS0_10empty_typeEEEZZNS1_29radix_sort_onesweep_iterationIS3_Lb0EPKdPdPS5_SB_mNS0_19identity_decomposerENS1_16block_id_wrapperIjLb1EEEEE10hipError_tT1_PNSt15iterator_traitsISG_E10value_typeET2_T3_PNSH_ISM_E10value_typeET4_T5_PSR_SS_PNS1_23onesweep_lookback_stateEbbT6_jjT7_P12ihipStream_tbENKUlT_T0_SG_SL_E_clIS9_SA_SB_SB_EEDaSZ_S10_SG_SL_EUlSZ_E_NS1_11comp_targetILNS1_3genE4ELNS1_11target_archE910ELNS1_3gpuE8ELNS1_3repE0EEENS1_47radix_sort_onesweep_sort_config_static_selectorELNS0_4arch9wavefront6targetE0EEEvSG_
    .private_segment_fixed_size: 0
    .sgpr_count:     0
    .sgpr_spill_count: 0
    .symbol:         _ZN7rocprim17ROCPRIM_400000_NS6detail17trampoline_kernelINS0_14default_configENS1_35radix_sort_onesweep_config_selectorIdNS0_10empty_typeEEEZZNS1_29radix_sort_onesweep_iterationIS3_Lb0EPKdPdPS5_SB_mNS0_19identity_decomposerENS1_16block_id_wrapperIjLb1EEEEE10hipError_tT1_PNSt15iterator_traitsISG_E10value_typeET2_T3_PNSH_ISM_E10value_typeET4_T5_PSR_SS_PNS1_23onesweep_lookback_stateEbbT6_jjT7_P12ihipStream_tbENKUlT_T0_SG_SL_E_clIS9_SA_SB_SB_EEDaSZ_S10_SG_SL_EUlSZ_E_NS1_11comp_targetILNS1_3genE4ELNS1_11target_archE910ELNS1_3gpuE8ELNS1_3repE0EEENS1_47radix_sort_onesweep_sort_config_static_selectorELNS0_4arch9wavefront6targetE0EEEvSG_.kd
    .uniform_work_group_size: 1
    .uses_dynamic_stack: false
    .vgpr_count:     0
    .vgpr_spill_count: 0
    .wavefront_size: 32
  - .args:
      - .offset:         0
        .size:           88
        .value_kind:     by_value
    .group_segment_fixed_size: 0
    .kernarg_segment_align: 8
    .kernarg_segment_size: 88
    .language:       OpenCL C
    .language_version:
      - 2
      - 0
    .max_flat_workgroup_size: 512
    .name:           _ZN7rocprim17ROCPRIM_400000_NS6detail17trampoline_kernelINS0_14default_configENS1_35radix_sort_onesweep_config_selectorIdNS0_10empty_typeEEEZZNS1_29radix_sort_onesweep_iterationIS3_Lb0EPKdPdPS5_SB_mNS0_19identity_decomposerENS1_16block_id_wrapperIjLb1EEEEE10hipError_tT1_PNSt15iterator_traitsISG_E10value_typeET2_T3_PNSH_ISM_E10value_typeET4_T5_PSR_SS_PNS1_23onesweep_lookback_stateEbbT6_jjT7_P12ihipStream_tbENKUlT_T0_SG_SL_E_clIS9_SA_SB_SB_EEDaSZ_S10_SG_SL_EUlSZ_E_NS1_11comp_targetILNS1_3genE3ELNS1_11target_archE908ELNS1_3gpuE7ELNS1_3repE0EEENS1_47radix_sort_onesweep_sort_config_static_selectorELNS0_4arch9wavefront6targetE0EEEvSG_
    .private_segment_fixed_size: 0
    .sgpr_count:     0
    .sgpr_spill_count: 0
    .symbol:         _ZN7rocprim17ROCPRIM_400000_NS6detail17trampoline_kernelINS0_14default_configENS1_35radix_sort_onesweep_config_selectorIdNS0_10empty_typeEEEZZNS1_29radix_sort_onesweep_iterationIS3_Lb0EPKdPdPS5_SB_mNS0_19identity_decomposerENS1_16block_id_wrapperIjLb1EEEEE10hipError_tT1_PNSt15iterator_traitsISG_E10value_typeET2_T3_PNSH_ISM_E10value_typeET4_T5_PSR_SS_PNS1_23onesweep_lookback_stateEbbT6_jjT7_P12ihipStream_tbENKUlT_T0_SG_SL_E_clIS9_SA_SB_SB_EEDaSZ_S10_SG_SL_EUlSZ_E_NS1_11comp_targetILNS1_3genE3ELNS1_11target_archE908ELNS1_3gpuE7ELNS1_3repE0EEENS1_47radix_sort_onesweep_sort_config_static_selectorELNS0_4arch9wavefront6targetE0EEEvSG_.kd
    .uniform_work_group_size: 1
    .uses_dynamic_stack: false
    .vgpr_count:     0
    .vgpr_spill_count: 0
    .wavefront_size: 32
  - .args:
      - .offset:         0
        .size:           88
        .value_kind:     by_value
    .group_segment_fixed_size: 0
    .kernarg_segment_align: 8
    .kernarg_segment_size: 88
    .language:       OpenCL C
    .language_version:
      - 2
      - 0
    .max_flat_workgroup_size: 512
    .name:           _ZN7rocprim17ROCPRIM_400000_NS6detail17trampoline_kernelINS0_14default_configENS1_35radix_sort_onesweep_config_selectorIdNS0_10empty_typeEEEZZNS1_29radix_sort_onesweep_iterationIS3_Lb0EPKdPdPS5_SB_mNS0_19identity_decomposerENS1_16block_id_wrapperIjLb1EEEEE10hipError_tT1_PNSt15iterator_traitsISG_E10value_typeET2_T3_PNSH_ISM_E10value_typeET4_T5_PSR_SS_PNS1_23onesweep_lookback_stateEbbT6_jjT7_P12ihipStream_tbENKUlT_T0_SG_SL_E_clIS9_SA_SB_SB_EEDaSZ_S10_SG_SL_EUlSZ_E_NS1_11comp_targetILNS1_3genE10ELNS1_11target_archE1201ELNS1_3gpuE5ELNS1_3repE0EEENS1_47radix_sort_onesweep_sort_config_static_selectorELNS0_4arch9wavefront6targetE0EEEvSG_
    .private_segment_fixed_size: 0
    .sgpr_count:     0
    .sgpr_spill_count: 0
    .symbol:         _ZN7rocprim17ROCPRIM_400000_NS6detail17trampoline_kernelINS0_14default_configENS1_35radix_sort_onesweep_config_selectorIdNS0_10empty_typeEEEZZNS1_29radix_sort_onesweep_iterationIS3_Lb0EPKdPdPS5_SB_mNS0_19identity_decomposerENS1_16block_id_wrapperIjLb1EEEEE10hipError_tT1_PNSt15iterator_traitsISG_E10value_typeET2_T3_PNSH_ISM_E10value_typeET4_T5_PSR_SS_PNS1_23onesweep_lookback_stateEbbT6_jjT7_P12ihipStream_tbENKUlT_T0_SG_SL_E_clIS9_SA_SB_SB_EEDaSZ_S10_SG_SL_EUlSZ_E_NS1_11comp_targetILNS1_3genE10ELNS1_11target_archE1201ELNS1_3gpuE5ELNS1_3repE0EEENS1_47radix_sort_onesweep_sort_config_static_selectorELNS0_4arch9wavefront6targetE0EEEvSG_.kd
    .uniform_work_group_size: 1
    .uses_dynamic_stack: false
    .vgpr_count:     0
    .vgpr_spill_count: 0
    .wavefront_size: 32
  - .args:
      - .offset:         0
        .size:           88
        .value_kind:     by_value
    .group_segment_fixed_size: 0
    .kernarg_segment_align: 8
    .kernarg_segment_size: 88
    .language:       OpenCL C
    .language_version:
      - 2
      - 0
    .max_flat_workgroup_size: 1024
    .name:           _ZN7rocprim17ROCPRIM_400000_NS6detail17trampoline_kernelINS0_14default_configENS1_35radix_sort_onesweep_config_selectorIdNS0_10empty_typeEEEZZNS1_29radix_sort_onesweep_iterationIS3_Lb0EPKdPdPS5_SB_mNS0_19identity_decomposerENS1_16block_id_wrapperIjLb1EEEEE10hipError_tT1_PNSt15iterator_traitsISG_E10value_typeET2_T3_PNSH_ISM_E10value_typeET4_T5_PSR_SS_PNS1_23onesweep_lookback_stateEbbT6_jjT7_P12ihipStream_tbENKUlT_T0_SG_SL_E_clIS9_SA_SB_SB_EEDaSZ_S10_SG_SL_EUlSZ_E_NS1_11comp_targetILNS1_3genE9ELNS1_11target_archE1100ELNS1_3gpuE3ELNS1_3repE0EEENS1_47radix_sort_onesweep_sort_config_static_selectorELNS0_4arch9wavefront6targetE0EEEvSG_
    .private_segment_fixed_size: 0
    .sgpr_count:     0
    .sgpr_spill_count: 0
    .symbol:         _ZN7rocprim17ROCPRIM_400000_NS6detail17trampoline_kernelINS0_14default_configENS1_35radix_sort_onesweep_config_selectorIdNS0_10empty_typeEEEZZNS1_29radix_sort_onesweep_iterationIS3_Lb0EPKdPdPS5_SB_mNS0_19identity_decomposerENS1_16block_id_wrapperIjLb1EEEEE10hipError_tT1_PNSt15iterator_traitsISG_E10value_typeET2_T3_PNSH_ISM_E10value_typeET4_T5_PSR_SS_PNS1_23onesweep_lookback_stateEbbT6_jjT7_P12ihipStream_tbENKUlT_T0_SG_SL_E_clIS9_SA_SB_SB_EEDaSZ_S10_SG_SL_EUlSZ_E_NS1_11comp_targetILNS1_3genE9ELNS1_11target_archE1100ELNS1_3gpuE3ELNS1_3repE0EEENS1_47radix_sort_onesweep_sort_config_static_selectorELNS0_4arch9wavefront6targetE0EEEvSG_.kd
    .uniform_work_group_size: 1
    .uses_dynamic_stack: false
    .vgpr_count:     0
    .vgpr_spill_count: 0
    .wavefront_size: 32
  - .args:
      - .offset:         0
        .size:           88
        .value_kind:     by_value
    .group_segment_fixed_size: 0
    .kernarg_segment_align: 8
    .kernarg_segment_size: 88
    .language:       OpenCL C
    .language_version:
      - 2
      - 0
    .max_flat_workgroup_size: 1024
    .name:           _ZN7rocprim17ROCPRIM_400000_NS6detail17trampoline_kernelINS0_14default_configENS1_35radix_sort_onesweep_config_selectorIdNS0_10empty_typeEEEZZNS1_29radix_sort_onesweep_iterationIS3_Lb0EPKdPdPS5_SB_mNS0_19identity_decomposerENS1_16block_id_wrapperIjLb1EEEEE10hipError_tT1_PNSt15iterator_traitsISG_E10value_typeET2_T3_PNSH_ISM_E10value_typeET4_T5_PSR_SS_PNS1_23onesweep_lookback_stateEbbT6_jjT7_P12ihipStream_tbENKUlT_T0_SG_SL_E_clIS9_SA_SB_SB_EEDaSZ_S10_SG_SL_EUlSZ_E_NS1_11comp_targetILNS1_3genE8ELNS1_11target_archE1030ELNS1_3gpuE2ELNS1_3repE0EEENS1_47radix_sort_onesweep_sort_config_static_selectorELNS0_4arch9wavefront6targetE0EEEvSG_
    .private_segment_fixed_size: 0
    .sgpr_count:     0
    .sgpr_spill_count: 0
    .symbol:         _ZN7rocprim17ROCPRIM_400000_NS6detail17trampoline_kernelINS0_14default_configENS1_35radix_sort_onesweep_config_selectorIdNS0_10empty_typeEEEZZNS1_29radix_sort_onesweep_iterationIS3_Lb0EPKdPdPS5_SB_mNS0_19identity_decomposerENS1_16block_id_wrapperIjLb1EEEEE10hipError_tT1_PNSt15iterator_traitsISG_E10value_typeET2_T3_PNSH_ISM_E10value_typeET4_T5_PSR_SS_PNS1_23onesweep_lookback_stateEbbT6_jjT7_P12ihipStream_tbENKUlT_T0_SG_SL_E_clIS9_SA_SB_SB_EEDaSZ_S10_SG_SL_EUlSZ_E_NS1_11comp_targetILNS1_3genE8ELNS1_11target_archE1030ELNS1_3gpuE2ELNS1_3repE0EEENS1_47radix_sort_onesweep_sort_config_static_selectorELNS0_4arch9wavefront6targetE0EEEvSG_.kd
    .uniform_work_group_size: 1
    .uses_dynamic_stack: false
    .vgpr_count:     0
    .vgpr_spill_count: 0
    .wavefront_size: 32
  - .args:
      - .offset:         0
        .size:           88
        .value_kind:     by_value
      - .offset:         88
        .size:           4
        .value_kind:     hidden_block_count_x
      - .offset:         92
        .size:           4
        .value_kind:     hidden_block_count_y
      - .offset:         96
        .size:           4
        .value_kind:     hidden_block_count_z
      - .offset:         100
        .size:           2
        .value_kind:     hidden_group_size_x
      - .offset:         102
        .size:           2
        .value_kind:     hidden_group_size_y
      - .offset:         104
        .size:           2
        .value_kind:     hidden_group_size_z
      - .offset:         106
        .size:           2
        .value_kind:     hidden_remainder_x
      - .offset:         108
        .size:           2
        .value_kind:     hidden_remainder_y
      - .offset:         110
        .size:           2
        .value_kind:     hidden_remainder_z
      - .offset:         128
        .size:           8
        .value_kind:     hidden_global_offset_x
      - .offset:         136
        .size:           8
        .value_kind:     hidden_global_offset_y
      - .offset:         144
        .size:           8
        .value_kind:     hidden_global_offset_z
      - .offset:         152
        .size:           2
        .value_kind:     hidden_grid_dims
    .group_segment_fixed_size: 18504
    .kernarg_segment_align: 8
    .kernarg_segment_size: 344
    .language:       OpenCL C
    .language_version:
      - 2
      - 0
    .max_flat_workgroup_size: 512
    .name:           _ZN7rocprim17ROCPRIM_400000_NS6detail17trampoline_kernelINS0_14default_configENS1_35radix_sort_onesweep_config_selectorIdNS0_10empty_typeEEEZZNS1_29radix_sort_onesweep_iterationIS3_Lb0EPKdPdPS5_SB_mNS0_19identity_decomposerENS1_16block_id_wrapperIjLb1EEEEE10hipError_tT1_PNSt15iterator_traitsISG_E10value_typeET2_T3_PNSH_ISM_E10value_typeET4_T5_PSR_SS_PNS1_23onesweep_lookback_stateEbbT6_jjT7_P12ihipStream_tbENKUlT_T0_SG_SL_E_clISA_SA_SB_SB_EEDaSZ_S10_SG_SL_EUlSZ_E_NS1_11comp_targetILNS1_3genE0ELNS1_11target_archE4294967295ELNS1_3gpuE0ELNS1_3repE0EEENS1_47radix_sort_onesweep_sort_config_static_selectorELNS0_4arch9wavefront6targetE0EEEvSG_
    .private_segment_fixed_size: 0
    .sgpr_count:     33
    .sgpr_spill_count: 0
    .symbol:         _ZN7rocprim17ROCPRIM_400000_NS6detail17trampoline_kernelINS0_14default_configENS1_35radix_sort_onesweep_config_selectorIdNS0_10empty_typeEEEZZNS1_29radix_sort_onesweep_iterationIS3_Lb0EPKdPdPS5_SB_mNS0_19identity_decomposerENS1_16block_id_wrapperIjLb1EEEEE10hipError_tT1_PNSt15iterator_traitsISG_E10value_typeET2_T3_PNSH_ISM_E10value_typeET4_T5_PSR_SS_PNS1_23onesweep_lookback_stateEbbT6_jjT7_P12ihipStream_tbENKUlT_T0_SG_SL_E_clISA_SA_SB_SB_EEDaSZ_S10_SG_SL_EUlSZ_E_NS1_11comp_targetILNS1_3genE0ELNS1_11target_archE4294967295ELNS1_3gpuE0ELNS1_3repE0EEENS1_47radix_sort_onesweep_sort_config_static_selectorELNS0_4arch9wavefront6targetE0EEEvSG_.kd
    .uniform_work_group_size: 1
    .uses_dynamic_stack: false
    .vgpr_count:     57
    .vgpr_spill_count: 0
    .wavefront_size: 32
  - .args:
      - .offset:         0
        .size:           88
        .value_kind:     by_value
    .group_segment_fixed_size: 0
    .kernarg_segment_align: 8
    .kernarg_segment_size: 88
    .language:       OpenCL C
    .language_version:
      - 2
      - 0
    .max_flat_workgroup_size: 512
    .name:           _ZN7rocprim17ROCPRIM_400000_NS6detail17trampoline_kernelINS0_14default_configENS1_35radix_sort_onesweep_config_selectorIdNS0_10empty_typeEEEZZNS1_29radix_sort_onesweep_iterationIS3_Lb0EPKdPdPS5_SB_mNS0_19identity_decomposerENS1_16block_id_wrapperIjLb1EEEEE10hipError_tT1_PNSt15iterator_traitsISG_E10value_typeET2_T3_PNSH_ISM_E10value_typeET4_T5_PSR_SS_PNS1_23onesweep_lookback_stateEbbT6_jjT7_P12ihipStream_tbENKUlT_T0_SG_SL_E_clISA_SA_SB_SB_EEDaSZ_S10_SG_SL_EUlSZ_E_NS1_11comp_targetILNS1_3genE6ELNS1_11target_archE950ELNS1_3gpuE13ELNS1_3repE0EEENS1_47radix_sort_onesweep_sort_config_static_selectorELNS0_4arch9wavefront6targetE0EEEvSG_
    .private_segment_fixed_size: 0
    .sgpr_count:     0
    .sgpr_spill_count: 0
    .symbol:         _ZN7rocprim17ROCPRIM_400000_NS6detail17trampoline_kernelINS0_14default_configENS1_35radix_sort_onesweep_config_selectorIdNS0_10empty_typeEEEZZNS1_29radix_sort_onesweep_iterationIS3_Lb0EPKdPdPS5_SB_mNS0_19identity_decomposerENS1_16block_id_wrapperIjLb1EEEEE10hipError_tT1_PNSt15iterator_traitsISG_E10value_typeET2_T3_PNSH_ISM_E10value_typeET4_T5_PSR_SS_PNS1_23onesweep_lookback_stateEbbT6_jjT7_P12ihipStream_tbENKUlT_T0_SG_SL_E_clISA_SA_SB_SB_EEDaSZ_S10_SG_SL_EUlSZ_E_NS1_11comp_targetILNS1_3genE6ELNS1_11target_archE950ELNS1_3gpuE13ELNS1_3repE0EEENS1_47radix_sort_onesweep_sort_config_static_selectorELNS0_4arch9wavefront6targetE0EEEvSG_.kd
    .uniform_work_group_size: 1
    .uses_dynamic_stack: false
    .vgpr_count:     0
    .vgpr_spill_count: 0
    .wavefront_size: 32
  - .args:
      - .offset:         0
        .size:           88
        .value_kind:     by_value
    .group_segment_fixed_size: 0
    .kernarg_segment_align: 8
    .kernarg_segment_size: 88
    .language:       OpenCL C
    .language_version:
      - 2
      - 0
    .max_flat_workgroup_size: 512
    .name:           _ZN7rocprim17ROCPRIM_400000_NS6detail17trampoline_kernelINS0_14default_configENS1_35radix_sort_onesweep_config_selectorIdNS0_10empty_typeEEEZZNS1_29radix_sort_onesweep_iterationIS3_Lb0EPKdPdPS5_SB_mNS0_19identity_decomposerENS1_16block_id_wrapperIjLb1EEEEE10hipError_tT1_PNSt15iterator_traitsISG_E10value_typeET2_T3_PNSH_ISM_E10value_typeET4_T5_PSR_SS_PNS1_23onesweep_lookback_stateEbbT6_jjT7_P12ihipStream_tbENKUlT_T0_SG_SL_E_clISA_SA_SB_SB_EEDaSZ_S10_SG_SL_EUlSZ_E_NS1_11comp_targetILNS1_3genE5ELNS1_11target_archE942ELNS1_3gpuE9ELNS1_3repE0EEENS1_47radix_sort_onesweep_sort_config_static_selectorELNS0_4arch9wavefront6targetE0EEEvSG_
    .private_segment_fixed_size: 0
    .sgpr_count:     0
    .sgpr_spill_count: 0
    .symbol:         _ZN7rocprim17ROCPRIM_400000_NS6detail17trampoline_kernelINS0_14default_configENS1_35radix_sort_onesweep_config_selectorIdNS0_10empty_typeEEEZZNS1_29radix_sort_onesweep_iterationIS3_Lb0EPKdPdPS5_SB_mNS0_19identity_decomposerENS1_16block_id_wrapperIjLb1EEEEE10hipError_tT1_PNSt15iterator_traitsISG_E10value_typeET2_T3_PNSH_ISM_E10value_typeET4_T5_PSR_SS_PNS1_23onesweep_lookback_stateEbbT6_jjT7_P12ihipStream_tbENKUlT_T0_SG_SL_E_clISA_SA_SB_SB_EEDaSZ_S10_SG_SL_EUlSZ_E_NS1_11comp_targetILNS1_3genE5ELNS1_11target_archE942ELNS1_3gpuE9ELNS1_3repE0EEENS1_47radix_sort_onesweep_sort_config_static_selectorELNS0_4arch9wavefront6targetE0EEEvSG_.kd
    .uniform_work_group_size: 1
    .uses_dynamic_stack: false
    .vgpr_count:     0
    .vgpr_spill_count: 0
    .wavefront_size: 32
  - .args:
      - .offset:         0
        .size:           88
        .value_kind:     by_value
    .group_segment_fixed_size: 0
    .kernarg_segment_align: 8
    .kernarg_segment_size: 88
    .language:       OpenCL C
    .language_version:
      - 2
      - 0
    .max_flat_workgroup_size: 512
    .name:           _ZN7rocprim17ROCPRIM_400000_NS6detail17trampoline_kernelINS0_14default_configENS1_35radix_sort_onesweep_config_selectorIdNS0_10empty_typeEEEZZNS1_29radix_sort_onesweep_iterationIS3_Lb0EPKdPdPS5_SB_mNS0_19identity_decomposerENS1_16block_id_wrapperIjLb1EEEEE10hipError_tT1_PNSt15iterator_traitsISG_E10value_typeET2_T3_PNSH_ISM_E10value_typeET4_T5_PSR_SS_PNS1_23onesweep_lookback_stateEbbT6_jjT7_P12ihipStream_tbENKUlT_T0_SG_SL_E_clISA_SA_SB_SB_EEDaSZ_S10_SG_SL_EUlSZ_E_NS1_11comp_targetILNS1_3genE2ELNS1_11target_archE906ELNS1_3gpuE6ELNS1_3repE0EEENS1_47radix_sort_onesweep_sort_config_static_selectorELNS0_4arch9wavefront6targetE0EEEvSG_
    .private_segment_fixed_size: 0
    .sgpr_count:     0
    .sgpr_spill_count: 0
    .symbol:         _ZN7rocprim17ROCPRIM_400000_NS6detail17trampoline_kernelINS0_14default_configENS1_35radix_sort_onesweep_config_selectorIdNS0_10empty_typeEEEZZNS1_29radix_sort_onesweep_iterationIS3_Lb0EPKdPdPS5_SB_mNS0_19identity_decomposerENS1_16block_id_wrapperIjLb1EEEEE10hipError_tT1_PNSt15iterator_traitsISG_E10value_typeET2_T3_PNSH_ISM_E10value_typeET4_T5_PSR_SS_PNS1_23onesweep_lookback_stateEbbT6_jjT7_P12ihipStream_tbENKUlT_T0_SG_SL_E_clISA_SA_SB_SB_EEDaSZ_S10_SG_SL_EUlSZ_E_NS1_11comp_targetILNS1_3genE2ELNS1_11target_archE906ELNS1_3gpuE6ELNS1_3repE0EEENS1_47radix_sort_onesweep_sort_config_static_selectorELNS0_4arch9wavefront6targetE0EEEvSG_.kd
    .uniform_work_group_size: 1
    .uses_dynamic_stack: false
    .vgpr_count:     0
    .vgpr_spill_count: 0
    .wavefront_size: 32
  - .args:
      - .offset:         0
        .size:           88
        .value_kind:     by_value
    .group_segment_fixed_size: 0
    .kernarg_segment_align: 8
    .kernarg_segment_size: 88
    .language:       OpenCL C
    .language_version:
      - 2
      - 0
    .max_flat_workgroup_size: 1024
    .name:           _ZN7rocprim17ROCPRIM_400000_NS6detail17trampoline_kernelINS0_14default_configENS1_35radix_sort_onesweep_config_selectorIdNS0_10empty_typeEEEZZNS1_29radix_sort_onesweep_iterationIS3_Lb0EPKdPdPS5_SB_mNS0_19identity_decomposerENS1_16block_id_wrapperIjLb1EEEEE10hipError_tT1_PNSt15iterator_traitsISG_E10value_typeET2_T3_PNSH_ISM_E10value_typeET4_T5_PSR_SS_PNS1_23onesweep_lookback_stateEbbT6_jjT7_P12ihipStream_tbENKUlT_T0_SG_SL_E_clISA_SA_SB_SB_EEDaSZ_S10_SG_SL_EUlSZ_E_NS1_11comp_targetILNS1_3genE4ELNS1_11target_archE910ELNS1_3gpuE8ELNS1_3repE0EEENS1_47radix_sort_onesweep_sort_config_static_selectorELNS0_4arch9wavefront6targetE0EEEvSG_
    .private_segment_fixed_size: 0
    .sgpr_count:     0
    .sgpr_spill_count: 0
    .symbol:         _ZN7rocprim17ROCPRIM_400000_NS6detail17trampoline_kernelINS0_14default_configENS1_35radix_sort_onesweep_config_selectorIdNS0_10empty_typeEEEZZNS1_29radix_sort_onesweep_iterationIS3_Lb0EPKdPdPS5_SB_mNS0_19identity_decomposerENS1_16block_id_wrapperIjLb1EEEEE10hipError_tT1_PNSt15iterator_traitsISG_E10value_typeET2_T3_PNSH_ISM_E10value_typeET4_T5_PSR_SS_PNS1_23onesweep_lookback_stateEbbT6_jjT7_P12ihipStream_tbENKUlT_T0_SG_SL_E_clISA_SA_SB_SB_EEDaSZ_S10_SG_SL_EUlSZ_E_NS1_11comp_targetILNS1_3genE4ELNS1_11target_archE910ELNS1_3gpuE8ELNS1_3repE0EEENS1_47radix_sort_onesweep_sort_config_static_selectorELNS0_4arch9wavefront6targetE0EEEvSG_.kd
    .uniform_work_group_size: 1
    .uses_dynamic_stack: false
    .vgpr_count:     0
    .vgpr_spill_count: 0
    .wavefront_size: 32
  - .args:
      - .offset:         0
        .size:           88
        .value_kind:     by_value
    .group_segment_fixed_size: 0
    .kernarg_segment_align: 8
    .kernarg_segment_size: 88
    .language:       OpenCL C
    .language_version:
      - 2
      - 0
    .max_flat_workgroup_size: 512
    .name:           _ZN7rocprim17ROCPRIM_400000_NS6detail17trampoline_kernelINS0_14default_configENS1_35radix_sort_onesweep_config_selectorIdNS0_10empty_typeEEEZZNS1_29radix_sort_onesweep_iterationIS3_Lb0EPKdPdPS5_SB_mNS0_19identity_decomposerENS1_16block_id_wrapperIjLb1EEEEE10hipError_tT1_PNSt15iterator_traitsISG_E10value_typeET2_T3_PNSH_ISM_E10value_typeET4_T5_PSR_SS_PNS1_23onesweep_lookback_stateEbbT6_jjT7_P12ihipStream_tbENKUlT_T0_SG_SL_E_clISA_SA_SB_SB_EEDaSZ_S10_SG_SL_EUlSZ_E_NS1_11comp_targetILNS1_3genE3ELNS1_11target_archE908ELNS1_3gpuE7ELNS1_3repE0EEENS1_47radix_sort_onesweep_sort_config_static_selectorELNS0_4arch9wavefront6targetE0EEEvSG_
    .private_segment_fixed_size: 0
    .sgpr_count:     0
    .sgpr_spill_count: 0
    .symbol:         _ZN7rocprim17ROCPRIM_400000_NS6detail17trampoline_kernelINS0_14default_configENS1_35radix_sort_onesweep_config_selectorIdNS0_10empty_typeEEEZZNS1_29radix_sort_onesweep_iterationIS3_Lb0EPKdPdPS5_SB_mNS0_19identity_decomposerENS1_16block_id_wrapperIjLb1EEEEE10hipError_tT1_PNSt15iterator_traitsISG_E10value_typeET2_T3_PNSH_ISM_E10value_typeET4_T5_PSR_SS_PNS1_23onesweep_lookback_stateEbbT6_jjT7_P12ihipStream_tbENKUlT_T0_SG_SL_E_clISA_SA_SB_SB_EEDaSZ_S10_SG_SL_EUlSZ_E_NS1_11comp_targetILNS1_3genE3ELNS1_11target_archE908ELNS1_3gpuE7ELNS1_3repE0EEENS1_47radix_sort_onesweep_sort_config_static_selectorELNS0_4arch9wavefront6targetE0EEEvSG_.kd
    .uniform_work_group_size: 1
    .uses_dynamic_stack: false
    .vgpr_count:     0
    .vgpr_spill_count: 0
    .wavefront_size: 32
  - .args:
      - .offset:         0
        .size:           88
        .value_kind:     by_value
    .group_segment_fixed_size: 0
    .kernarg_segment_align: 8
    .kernarg_segment_size: 88
    .language:       OpenCL C
    .language_version:
      - 2
      - 0
    .max_flat_workgroup_size: 512
    .name:           _ZN7rocprim17ROCPRIM_400000_NS6detail17trampoline_kernelINS0_14default_configENS1_35radix_sort_onesweep_config_selectorIdNS0_10empty_typeEEEZZNS1_29radix_sort_onesweep_iterationIS3_Lb0EPKdPdPS5_SB_mNS0_19identity_decomposerENS1_16block_id_wrapperIjLb1EEEEE10hipError_tT1_PNSt15iterator_traitsISG_E10value_typeET2_T3_PNSH_ISM_E10value_typeET4_T5_PSR_SS_PNS1_23onesweep_lookback_stateEbbT6_jjT7_P12ihipStream_tbENKUlT_T0_SG_SL_E_clISA_SA_SB_SB_EEDaSZ_S10_SG_SL_EUlSZ_E_NS1_11comp_targetILNS1_3genE10ELNS1_11target_archE1201ELNS1_3gpuE5ELNS1_3repE0EEENS1_47radix_sort_onesweep_sort_config_static_selectorELNS0_4arch9wavefront6targetE0EEEvSG_
    .private_segment_fixed_size: 0
    .sgpr_count:     0
    .sgpr_spill_count: 0
    .symbol:         _ZN7rocprim17ROCPRIM_400000_NS6detail17trampoline_kernelINS0_14default_configENS1_35radix_sort_onesweep_config_selectorIdNS0_10empty_typeEEEZZNS1_29radix_sort_onesweep_iterationIS3_Lb0EPKdPdPS5_SB_mNS0_19identity_decomposerENS1_16block_id_wrapperIjLb1EEEEE10hipError_tT1_PNSt15iterator_traitsISG_E10value_typeET2_T3_PNSH_ISM_E10value_typeET4_T5_PSR_SS_PNS1_23onesweep_lookback_stateEbbT6_jjT7_P12ihipStream_tbENKUlT_T0_SG_SL_E_clISA_SA_SB_SB_EEDaSZ_S10_SG_SL_EUlSZ_E_NS1_11comp_targetILNS1_3genE10ELNS1_11target_archE1201ELNS1_3gpuE5ELNS1_3repE0EEENS1_47radix_sort_onesweep_sort_config_static_selectorELNS0_4arch9wavefront6targetE0EEEvSG_.kd
    .uniform_work_group_size: 1
    .uses_dynamic_stack: false
    .vgpr_count:     0
    .vgpr_spill_count: 0
    .wavefront_size: 32
  - .args:
      - .offset:         0
        .size:           88
        .value_kind:     by_value
    .group_segment_fixed_size: 0
    .kernarg_segment_align: 8
    .kernarg_segment_size: 88
    .language:       OpenCL C
    .language_version:
      - 2
      - 0
    .max_flat_workgroup_size: 1024
    .name:           _ZN7rocprim17ROCPRIM_400000_NS6detail17trampoline_kernelINS0_14default_configENS1_35radix_sort_onesweep_config_selectorIdNS0_10empty_typeEEEZZNS1_29radix_sort_onesweep_iterationIS3_Lb0EPKdPdPS5_SB_mNS0_19identity_decomposerENS1_16block_id_wrapperIjLb1EEEEE10hipError_tT1_PNSt15iterator_traitsISG_E10value_typeET2_T3_PNSH_ISM_E10value_typeET4_T5_PSR_SS_PNS1_23onesweep_lookback_stateEbbT6_jjT7_P12ihipStream_tbENKUlT_T0_SG_SL_E_clISA_SA_SB_SB_EEDaSZ_S10_SG_SL_EUlSZ_E_NS1_11comp_targetILNS1_3genE9ELNS1_11target_archE1100ELNS1_3gpuE3ELNS1_3repE0EEENS1_47radix_sort_onesweep_sort_config_static_selectorELNS0_4arch9wavefront6targetE0EEEvSG_
    .private_segment_fixed_size: 0
    .sgpr_count:     0
    .sgpr_spill_count: 0
    .symbol:         _ZN7rocprim17ROCPRIM_400000_NS6detail17trampoline_kernelINS0_14default_configENS1_35radix_sort_onesweep_config_selectorIdNS0_10empty_typeEEEZZNS1_29radix_sort_onesweep_iterationIS3_Lb0EPKdPdPS5_SB_mNS0_19identity_decomposerENS1_16block_id_wrapperIjLb1EEEEE10hipError_tT1_PNSt15iterator_traitsISG_E10value_typeET2_T3_PNSH_ISM_E10value_typeET4_T5_PSR_SS_PNS1_23onesweep_lookback_stateEbbT6_jjT7_P12ihipStream_tbENKUlT_T0_SG_SL_E_clISA_SA_SB_SB_EEDaSZ_S10_SG_SL_EUlSZ_E_NS1_11comp_targetILNS1_3genE9ELNS1_11target_archE1100ELNS1_3gpuE3ELNS1_3repE0EEENS1_47radix_sort_onesweep_sort_config_static_selectorELNS0_4arch9wavefront6targetE0EEEvSG_.kd
    .uniform_work_group_size: 1
    .uses_dynamic_stack: false
    .vgpr_count:     0
    .vgpr_spill_count: 0
    .wavefront_size: 32
  - .args:
      - .offset:         0
        .size:           88
        .value_kind:     by_value
    .group_segment_fixed_size: 0
    .kernarg_segment_align: 8
    .kernarg_segment_size: 88
    .language:       OpenCL C
    .language_version:
      - 2
      - 0
    .max_flat_workgroup_size: 1024
    .name:           _ZN7rocprim17ROCPRIM_400000_NS6detail17trampoline_kernelINS0_14default_configENS1_35radix_sort_onesweep_config_selectorIdNS0_10empty_typeEEEZZNS1_29radix_sort_onesweep_iterationIS3_Lb0EPKdPdPS5_SB_mNS0_19identity_decomposerENS1_16block_id_wrapperIjLb1EEEEE10hipError_tT1_PNSt15iterator_traitsISG_E10value_typeET2_T3_PNSH_ISM_E10value_typeET4_T5_PSR_SS_PNS1_23onesweep_lookback_stateEbbT6_jjT7_P12ihipStream_tbENKUlT_T0_SG_SL_E_clISA_SA_SB_SB_EEDaSZ_S10_SG_SL_EUlSZ_E_NS1_11comp_targetILNS1_3genE8ELNS1_11target_archE1030ELNS1_3gpuE2ELNS1_3repE0EEENS1_47radix_sort_onesweep_sort_config_static_selectorELNS0_4arch9wavefront6targetE0EEEvSG_
    .private_segment_fixed_size: 0
    .sgpr_count:     0
    .sgpr_spill_count: 0
    .symbol:         _ZN7rocprim17ROCPRIM_400000_NS6detail17trampoline_kernelINS0_14default_configENS1_35radix_sort_onesweep_config_selectorIdNS0_10empty_typeEEEZZNS1_29radix_sort_onesweep_iterationIS3_Lb0EPKdPdPS5_SB_mNS0_19identity_decomposerENS1_16block_id_wrapperIjLb1EEEEE10hipError_tT1_PNSt15iterator_traitsISG_E10value_typeET2_T3_PNSH_ISM_E10value_typeET4_T5_PSR_SS_PNS1_23onesweep_lookback_stateEbbT6_jjT7_P12ihipStream_tbENKUlT_T0_SG_SL_E_clISA_SA_SB_SB_EEDaSZ_S10_SG_SL_EUlSZ_E_NS1_11comp_targetILNS1_3genE8ELNS1_11target_archE1030ELNS1_3gpuE2ELNS1_3repE0EEENS1_47radix_sort_onesweep_sort_config_static_selectorELNS0_4arch9wavefront6targetE0EEEvSG_.kd
    .uniform_work_group_size: 1
    .uses_dynamic_stack: false
    .vgpr_count:     0
    .vgpr_spill_count: 0
    .wavefront_size: 32
  - .args:
      - .offset:         0
        .size:           88
        .value_kind:     by_value
      - .offset:         88
        .size:           4
        .value_kind:     hidden_block_count_x
      - .offset:         92
        .size:           4
        .value_kind:     hidden_block_count_y
      - .offset:         96
        .size:           4
        .value_kind:     hidden_block_count_z
      - .offset:         100
        .size:           2
        .value_kind:     hidden_group_size_x
      - .offset:         102
        .size:           2
        .value_kind:     hidden_group_size_y
      - .offset:         104
        .size:           2
        .value_kind:     hidden_group_size_z
      - .offset:         106
        .size:           2
        .value_kind:     hidden_remainder_x
      - .offset:         108
        .size:           2
        .value_kind:     hidden_remainder_y
      - .offset:         110
        .size:           2
        .value_kind:     hidden_remainder_z
      - .offset:         128
        .size:           8
        .value_kind:     hidden_global_offset_x
      - .offset:         136
        .size:           8
        .value_kind:     hidden_global_offset_y
      - .offset:         144
        .size:           8
        .value_kind:     hidden_global_offset_z
      - .offset:         152
        .size:           2
        .value_kind:     hidden_grid_dims
    .group_segment_fixed_size: 18504
    .kernarg_segment_align: 8
    .kernarg_segment_size: 344
    .language:       OpenCL C
    .language_version:
      - 2
      - 0
    .max_flat_workgroup_size: 512
    .name:           _ZN7rocprim17ROCPRIM_400000_NS6detail17trampoline_kernelINS0_14default_configENS1_35radix_sort_onesweep_config_selectorIdNS0_10empty_typeEEEZZNS1_29radix_sort_onesweep_iterationIS3_Lb0EPKdPdPS5_SB_mNS0_19identity_decomposerENS1_16block_id_wrapperIjLb0EEEEE10hipError_tT1_PNSt15iterator_traitsISG_E10value_typeET2_T3_PNSH_ISM_E10value_typeET4_T5_PSR_SS_PNS1_23onesweep_lookback_stateEbbT6_jjT7_P12ihipStream_tbENKUlT_T0_SG_SL_E_clIS9_SA_SB_SB_EEDaSZ_S10_SG_SL_EUlSZ_E_NS1_11comp_targetILNS1_3genE0ELNS1_11target_archE4294967295ELNS1_3gpuE0ELNS1_3repE0EEENS1_47radix_sort_onesweep_sort_config_static_selectorELNS0_4arch9wavefront6targetE0EEEvSG_
    .private_segment_fixed_size: 0
    .sgpr_count:     32
    .sgpr_spill_count: 0
    .symbol:         _ZN7rocprim17ROCPRIM_400000_NS6detail17trampoline_kernelINS0_14default_configENS1_35radix_sort_onesweep_config_selectorIdNS0_10empty_typeEEEZZNS1_29radix_sort_onesweep_iterationIS3_Lb0EPKdPdPS5_SB_mNS0_19identity_decomposerENS1_16block_id_wrapperIjLb0EEEEE10hipError_tT1_PNSt15iterator_traitsISG_E10value_typeET2_T3_PNSH_ISM_E10value_typeET4_T5_PSR_SS_PNS1_23onesweep_lookback_stateEbbT6_jjT7_P12ihipStream_tbENKUlT_T0_SG_SL_E_clIS9_SA_SB_SB_EEDaSZ_S10_SG_SL_EUlSZ_E_NS1_11comp_targetILNS1_3genE0ELNS1_11target_archE4294967295ELNS1_3gpuE0ELNS1_3repE0EEENS1_47radix_sort_onesweep_sort_config_static_selectorELNS0_4arch9wavefront6targetE0EEEvSG_.kd
    .uniform_work_group_size: 1
    .uses_dynamic_stack: false
    .vgpr_count:     57
    .vgpr_spill_count: 0
    .wavefront_size: 32
  - .args:
      - .offset:         0
        .size:           88
        .value_kind:     by_value
    .group_segment_fixed_size: 0
    .kernarg_segment_align: 8
    .kernarg_segment_size: 88
    .language:       OpenCL C
    .language_version:
      - 2
      - 0
    .max_flat_workgroup_size: 512
    .name:           _ZN7rocprim17ROCPRIM_400000_NS6detail17trampoline_kernelINS0_14default_configENS1_35radix_sort_onesweep_config_selectorIdNS0_10empty_typeEEEZZNS1_29radix_sort_onesweep_iterationIS3_Lb0EPKdPdPS5_SB_mNS0_19identity_decomposerENS1_16block_id_wrapperIjLb0EEEEE10hipError_tT1_PNSt15iterator_traitsISG_E10value_typeET2_T3_PNSH_ISM_E10value_typeET4_T5_PSR_SS_PNS1_23onesweep_lookback_stateEbbT6_jjT7_P12ihipStream_tbENKUlT_T0_SG_SL_E_clIS9_SA_SB_SB_EEDaSZ_S10_SG_SL_EUlSZ_E_NS1_11comp_targetILNS1_3genE6ELNS1_11target_archE950ELNS1_3gpuE13ELNS1_3repE0EEENS1_47radix_sort_onesweep_sort_config_static_selectorELNS0_4arch9wavefront6targetE0EEEvSG_
    .private_segment_fixed_size: 0
    .sgpr_count:     0
    .sgpr_spill_count: 0
    .symbol:         _ZN7rocprim17ROCPRIM_400000_NS6detail17trampoline_kernelINS0_14default_configENS1_35radix_sort_onesweep_config_selectorIdNS0_10empty_typeEEEZZNS1_29radix_sort_onesweep_iterationIS3_Lb0EPKdPdPS5_SB_mNS0_19identity_decomposerENS1_16block_id_wrapperIjLb0EEEEE10hipError_tT1_PNSt15iterator_traitsISG_E10value_typeET2_T3_PNSH_ISM_E10value_typeET4_T5_PSR_SS_PNS1_23onesweep_lookback_stateEbbT6_jjT7_P12ihipStream_tbENKUlT_T0_SG_SL_E_clIS9_SA_SB_SB_EEDaSZ_S10_SG_SL_EUlSZ_E_NS1_11comp_targetILNS1_3genE6ELNS1_11target_archE950ELNS1_3gpuE13ELNS1_3repE0EEENS1_47radix_sort_onesweep_sort_config_static_selectorELNS0_4arch9wavefront6targetE0EEEvSG_.kd
    .uniform_work_group_size: 1
    .uses_dynamic_stack: false
    .vgpr_count:     0
    .vgpr_spill_count: 0
    .wavefront_size: 32
  - .args:
      - .offset:         0
        .size:           88
        .value_kind:     by_value
    .group_segment_fixed_size: 0
    .kernarg_segment_align: 8
    .kernarg_segment_size: 88
    .language:       OpenCL C
    .language_version:
      - 2
      - 0
    .max_flat_workgroup_size: 512
    .name:           _ZN7rocprim17ROCPRIM_400000_NS6detail17trampoline_kernelINS0_14default_configENS1_35radix_sort_onesweep_config_selectorIdNS0_10empty_typeEEEZZNS1_29radix_sort_onesweep_iterationIS3_Lb0EPKdPdPS5_SB_mNS0_19identity_decomposerENS1_16block_id_wrapperIjLb0EEEEE10hipError_tT1_PNSt15iterator_traitsISG_E10value_typeET2_T3_PNSH_ISM_E10value_typeET4_T5_PSR_SS_PNS1_23onesweep_lookback_stateEbbT6_jjT7_P12ihipStream_tbENKUlT_T0_SG_SL_E_clIS9_SA_SB_SB_EEDaSZ_S10_SG_SL_EUlSZ_E_NS1_11comp_targetILNS1_3genE5ELNS1_11target_archE942ELNS1_3gpuE9ELNS1_3repE0EEENS1_47radix_sort_onesweep_sort_config_static_selectorELNS0_4arch9wavefront6targetE0EEEvSG_
    .private_segment_fixed_size: 0
    .sgpr_count:     0
    .sgpr_spill_count: 0
    .symbol:         _ZN7rocprim17ROCPRIM_400000_NS6detail17trampoline_kernelINS0_14default_configENS1_35radix_sort_onesweep_config_selectorIdNS0_10empty_typeEEEZZNS1_29radix_sort_onesweep_iterationIS3_Lb0EPKdPdPS5_SB_mNS0_19identity_decomposerENS1_16block_id_wrapperIjLb0EEEEE10hipError_tT1_PNSt15iterator_traitsISG_E10value_typeET2_T3_PNSH_ISM_E10value_typeET4_T5_PSR_SS_PNS1_23onesweep_lookback_stateEbbT6_jjT7_P12ihipStream_tbENKUlT_T0_SG_SL_E_clIS9_SA_SB_SB_EEDaSZ_S10_SG_SL_EUlSZ_E_NS1_11comp_targetILNS1_3genE5ELNS1_11target_archE942ELNS1_3gpuE9ELNS1_3repE0EEENS1_47radix_sort_onesweep_sort_config_static_selectorELNS0_4arch9wavefront6targetE0EEEvSG_.kd
    .uniform_work_group_size: 1
    .uses_dynamic_stack: false
    .vgpr_count:     0
    .vgpr_spill_count: 0
    .wavefront_size: 32
  - .args:
      - .offset:         0
        .size:           88
        .value_kind:     by_value
    .group_segment_fixed_size: 0
    .kernarg_segment_align: 8
    .kernarg_segment_size: 88
    .language:       OpenCL C
    .language_version:
      - 2
      - 0
    .max_flat_workgroup_size: 512
    .name:           _ZN7rocprim17ROCPRIM_400000_NS6detail17trampoline_kernelINS0_14default_configENS1_35radix_sort_onesweep_config_selectorIdNS0_10empty_typeEEEZZNS1_29radix_sort_onesweep_iterationIS3_Lb0EPKdPdPS5_SB_mNS0_19identity_decomposerENS1_16block_id_wrapperIjLb0EEEEE10hipError_tT1_PNSt15iterator_traitsISG_E10value_typeET2_T3_PNSH_ISM_E10value_typeET4_T5_PSR_SS_PNS1_23onesweep_lookback_stateEbbT6_jjT7_P12ihipStream_tbENKUlT_T0_SG_SL_E_clIS9_SA_SB_SB_EEDaSZ_S10_SG_SL_EUlSZ_E_NS1_11comp_targetILNS1_3genE2ELNS1_11target_archE906ELNS1_3gpuE6ELNS1_3repE0EEENS1_47radix_sort_onesweep_sort_config_static_selectorELNS0_4arch9wavefront6targetE0EEEvSG_
    .private_segment_fixed_size: 0
    .sgpr_count:     0
    .sgpr_spill_count: 0
    .symbol:         _ZN7rocprim17ROCPRIM_400000_NS6detail17trampoline_kernelINS0_14default_configENS1_35radix_sort_onesweep_config_selectorIdNS0_10empty_typeEEEZZNS1_29radix_sort_onesweep_iterationIS3_Lb0EPKdPdPS5_SB_mNS0_19identity_decomposerENS1_16block_id_wrapperIjLb0EEEEE10hipError_tT1_PNSt15iterator_traitsISG_E10value_typeET2_T3_PNSH_ISM_E10value_typeET4_T5_PSR_SS_PNS1_23onesweep_lookback_stateEbbT6_jjT7_P12ihipStream_tbENKUlT_T0_SG_SL_E_clIS9_SA_SB_SB_EEDaSZ_S10_SG_SL_EUlSZ_E_NS1_11comp_targetILNS1_3genE2ELNS1_11target_archE906ELNS1_3gpuE6ELNS1_3repE0EEENS1_47radix_sort_onesweep_sort_config_static_selectorELNS0_4arch9wavefront6targetE0EEEvSG_.kd
    .uniform_work_group_size: 1
    .uses_dynamic_stack: false
    .vgpr_count:     0
    .vgpr_spill_count: 0
    .wavefront_size: 32
  - .args:
      - .offset:         0
        .size:           88
        .value_kind:     by_value
    .group_segment_fixed_size: 0
    .kernarg_segment_align: 8
    .kernarg_segment_size: 88
    .language:       OpenCL C
    .language_version:
      - 2
      - 0
    .max_flat_workgroup_size: 1024
    .name:           _ZN7rocprim17ROCPRIM_400000_NS6detail17trampoline_kernelINS0_14default_configENS1_35radix_sort_onesweep_config_selectorIdNS0_10empty_typeEEEZZNS1_29radix_sort_onesweep_iterationIS3_Lb0EPKdPdPS5_SB_mNS0_19identity_decomposerENS1_16block_id_wrapperIjLb0EEEEE10hipError_tT1_PNSt15iterator_traitsISG_E10value_typeET2_T3_PNSH_ISM_E10value_typeET4_T5_PSR_SS_PNS1_23onesweep_lookback_stateEbbT6_jjT7_P12ihipStream_tbENKUlT_T0_SG_SL_E_clIS9_SA_SB_SB_EEDaSZ_S10_SG_SL_EUlSZ_E_NS1_11comp_targetILNS1_3genE4ELNS1_11target_archE910ELNS1_3gpuE8ELNS1_3repE0EEENS1_47radix_sort_onesweep_sort_config_static_selectorELNS0_4arch9wavefront6targetE0EEEvSG_
    .private_segment_fixed_size: 0
    .sgpr_count:     0
    .sgpr_spill_count: 0
    .symbol:         _ZN7rocprim17ROCPRIM_400000_NS6detail17trampoline_kernelINS0_14default_configENS1_35radix_sort_onesweep_config_selectorIdNS0_10empty_typeEEEZZNS1_29radix_sort_onesweep_iterationIS3_Lb0EPKdPdPS5_SB_mNS0_19identity_decomposerENS1_16block_id_wrapperIjLb0EEEEE10hipError_tT1_PNSt15iterator_traitsISG_E10value_typeET2_T3_PNSH_ISM_E10value_typeET4_T5_PSR_SS_PNS1_23onesweep_lookback_stateEbbT6_jjT7_P12ihipStream_tbENKUlT_T0_SG_SL_E_clIS9_SA_SB_SB_EEDaSZ_S10_SG_SL_EUlSZ_E_NS1_11comp_targetILNS1_3genE4ELNS1_11target_archE910ELNS1_3gpuE8ELNS1_3repE0EEENS1_47radix_sort_onesweep_sort_config_static_selectorELNS0_4arch9wavefront6targetE0EEEvSG_.kd
    .uniform_work_group_size: 1
    .uses_dynamic_stack: false
    .vgpr_count:     0
    .vgpr_spill_count: 0
    .wavefront_size: 32
  - .args:
      - .offset:         0
        .size:           88
        .value_kind:     by_value
    .group_segment_fixed_size: 0
    .kernarg_segment_align: 8
    .kernarg_segment_size: 88
    .language:       OpenCL C
    .language_version:
      - 2
      - 0
    .max_flat_workgroup_size: 512
    .name:           _ZN7rocprim17ROCPRIM_400000_NS6detail17trampoline_kernelINS0_14default_configENS1_35radix_sort_onesweep_config_selectorIdNS0_10empty_typeEEEZZNS1_29radix_sort_onesweep_iterationIS3_Lb0EPKdPdPS5_SB_mNS0_19identity_decomposerENS1_16block_id_wrapperIjLb0EEEEE10hipError_tT1_PNSt15iterator_traitsISG_E10value_typeET2_T3_PNSH_ISM_E10value_typeET4_T5_PSR_SS_PNS1_23onesweep_lookback_stateEbbT6_jjT7_P12ihipStream_tbENKUlT_T0_SG_SL_E_clIS9_SA_SB_SB_EEDaSZ_S10_SG_SL_EUlSZ_E_NS1_11comp_targetILNS1_3genE3ELNS1_11target_archE908ELNS1_3gpuE7ELNS1_3repE0EEENS1_47radix_sort_onesweep_sort_config_static_selectorELNS0_4arch9wavefront6targetE0EEEvSG_
    .private_segment_fixed_size: 0
    .sgpr_count:     0
    .sgpr_spill_count: 0
    .symbol:         _ZN7rocprim17ROCPRIM_400000_NS6detail17trampoline_kernelINS0_14default_configENS1_35radix_sort_onesweep_config_selectorIdNS0_10empty_typeEEEZZNS1_29radix_sort_onesweep_iterationIS3_Lb0EPKdPdPS5_SB_mNS0_19identity_decomposerENS1_16block_id_wrapperIjLb0EEEEE10hipError_tT1_PNSt15iterator_traitsISG_E10value_typeET2_T3_PNSH_ISM_E10value_typeET4_T5_PSR_SS_PNS1_23onesweep_lookback_stateEbbT6_jjT7_P12ihipStream_tbENKUlT_T0_SG_SL_E_clIS9_SA_SB_SB_EEDaSZ_S10_SG_SL_EUlSZ_E_NS1_11comp_targetILNS1_3genE3ELNS1_11target_archE908ELNS1_3gpuE7ELNS1_3repE0EEENS1_47radix_sort_onesweep_sort_config_static_selectorELNS0_4arch9wavefront6targetE0EEEvSG_.kd
    .uniform_work_group_size: 1
    .uses_dynamic_stack: false
    .vgpr_count:     0
    .vgpr_spill_count: 0
    .wavefront_size: 32
  - .args:
      - .offset:         0
        .size:           88
        .value_kind:     by_value
    .group_segment_fixed_size: 0
    .kernarg_segment_align: 8
    .kernarg_segment_size: 88
    .language:       OpenCL C
    .language_version:
      - 2
      - 0
    .max_flat_workgroup_size: 512
    .name:           _ZN7rocprim17ROCPRIM_400000_NS6detail17trampoline_kernelINS0_14default_configENS1_35radix_sort_onesweep_config_selectorIdNS0_10empty_typeEEEZZNS1_29radix_sort_onesweep_iterationIS3_Lb0EPKdPdPS5_SB_mNS0_19identity_decomposerENS1_16block_id_wrapperIjLb0EEEEE10hipError_tT1_PNSt15iterator_traitsISG_E10value_typeET2_T3_PNSH_ISM_E10value_typeET4_T5_PSR_SS_PNS1_23onesweep_lookback_stateEbbT6_jjT7_P12ihipStream_tbENKUlT_T0_SG_SL_E_clIS9_SA_SB_SB_EEDaSZ_S10_SG_SL_EUlSZ_E_NS1_11comp_targetILNS1_3genE10ELNS1_11target_archE1201ELNS1_3gpuE5ELNS1_3repE0EEENS1_47radix_sort_onesweep_sort_config_static_selectorELNS0_4arch9wavefront6targetE0EEEvSG_
    .private_segment_fixed_size: 0
    .sgpr_count:     0
    .sgpr_spill_count: 0
    .symbol:         _ZN7rocprim17ROCPRIM_400000_NS6detail17trampoline_kernelINS0_14default_configENS1_35radix_sort_onesweep_config_selectorIdNS0_10empty_typeEEEZZNS1_29radix_sort_onesweep_iterationIS3_Lb0EPKdPdPS5_SB_mNS0_19identity_decomposerENS1_16block_id_wrapperIjLb0EEEEE10hipError_tT1_PNSt15iterator_traitsISG_E10value_typeET2_T3_PNSH_ISM_E10value_typeET4_T5_PSR_SS_PNS1_23onesweep_lookback_stateEbbT6_jjT7_P12ihipStream_tbENKUlT_T0_SG_SL_E_clIS9_SA_SB_SB_EEDaSZ_S10_SG_SL_EUlSZ_E_NS1_11comp_targetILNS1_3genE10ELNS1_11target_archE1201ELNS1_3gpuE5ELNS1_3repE0EEENS1_47radix_sort_onesweep_sort_config_static_selectorELNS0_4arch9wavefront6targetE0EEEvSG_.kd
    .uniform_work_group_size: 1
    .uses_dynamic_stack: false
    .vgpr_count:     0
    .vgpr_spill_count: 0
    .wavefront_size: 32
  - .args:
      - .offset:         0
        .size:           88
        .value_kind:     by_value
    .group_segment_fixed_size: 0
    .kernarg_segment_align: 8
    .kernarg_segment_size: 88
    .language:       OpenCL C
    .language_version:
      - 2
      - 0
    .max_flat_workgroup_size: 1024
    .name:           _ZN7rocprim17ROCPRIM_400000_NS6detail17trampoline_kernelINS0_14default_configENS1_35radix_sort_onesweep_config_selectorIdNS0_10empty_typeEEEZZNS1_29radix_sort_onesweep_iterationIS3_Lb0EPKdPdPS5_SB_mNS0_19identity_decomposerENS1_16block_id_wrapperIjLb0EEEEE10hipError_tT1_PNSt15iterator_traitsISG_E10value_typeET2_T3_PNSH_ISM_E10value_typeET4_T5_PSR_SS_PNS1_23onesweep_lookback_stateEbbT6_jjT7_P12ihipStream_tbENKUlT_T0_SG_SL_E_clIS9_SA_SB_SB_EEDaSZ_S10_SG_SL_EUlSZ_E_NS1_11comp_targetILNS1_3genE9ELNS1_11target_archE1100ELNS1_3gpuE3ELNS1_3repE0EEENS1_47radix_sort_onesweep_sort_config_static_selectorELNS0_4arch9wavefront6targetE0EEEvSG_
    .private_segment_fixed_size: 0
    .sgpr_count:     0
    .sgpr_spill_count: 0
    .symbol:         _ZN7rocprim17ROCPRIM_400000_NS6detail17trampoline_kernelINS0_14default_configENS1_35radix_sort_onesweep_config_selectorIdNS0_10empty_typeEEEZZNS1_29radix_sort_onesweep_iterationIS3_Lb0EPKdPdPS5_SB_mNS0_19identity_decomposerENS1_16block_id_wrapperIjLb0EEEEE10hipError_tT1_PNSt15iterator_traitsISG_E10value_typeET2_T3_PNSH_ISM_E10value_typeET4_T5_PSR_SS_PNS1_23onesweep_lookback_stateEbbT6_jjT7_P12ihipStream_tbENKUlT_T0_SG_SL_E_clIS9_SA_SB_SB_EEDaSZ_S10_SG_SL_EUlSZ_E_NS1_11comp_targetILNS1_3genE9ELNS1_11target_archE1100ELNS1_3gpuE3ELNS1_3repE0EEENS1_47radix_sort_onesweep_sort_config_static_selectorELNS0_4arch9wavefront6targetE0EEEvSG_.kd
    .uniform_work_group_size: 1
    .uses_dynamic_stack: false
    .vgpr_count:     0
    .vgpr_spill_count: 0
    .wavefront_size: 32
  - .args:
      - .offset:         0
        .size:           88
        .value_kind:     by_value
    .group_segment_fixed_size: 0
    .kernarg_segment_align: 8
    .kernarg_segment_size: 88
    .language:       OpenCL C
    .language_version:
      - 2
      - 0
    .max_flat_workgroup_size: 1024
    .name:           _ZN7rocprim17ROCPRIM_400000_NS6detail17trampoline_kernelINS0_14default_configENS1_35radix_sort_onesweep_config_selectorIdNS0_10empty_typeEEEZZNS1_29radix_sort_onesweep_iterationIS3_Lb0EPKdPdPS5_SB_mNS0_19identity_decomposerENS1_16block_id_wrapperIjLb0EEEEE10hipError_tT1_PNSt15iterator_traitsISG_E10value_typeET2_T3_PNSH_ISM_E10value_typeET4_T5_PSR_SS_PNS1_23onesweep_lookback_stateEbbT6_jjT7_P12ihipStream_tbENKUlT_T0_SG_SL_E_clIS9_SA_SB_SB_EEDaSZ_S10_SG_SL_EUlSZ_E_NS1_11comp_targetILNS1_3genE8ELNS1_11target_archE1030ELNS1_3gpuE2ELNS1_3repE0EEENS1_47radix_sort_onesweep_sort_config_static_selectorELNS0_4arch9wavefront6targetE0EEEvSG_
    .private_segment_fixed_size: 0
    .sgpr_count:     0
    .sgpr_spill_count: 0
    .symbol:         _ZN7rocprim17ROCPRIM_400000_NS6detail17trampoline_kernelINS0_14default_configENS1_35radix_sort_onesweep_config_selectorIdNS0_10empty_typeEEEZZNS1_29radix_sort_onesweep_iterationIS3_Lb0EPKdPdPS5_SB_mNS0_19identity_decomposerENS1_16block_id_wrapperIjLb0EEEEE10hipError_tT1_PNSt15iterator_traitsISG_E10value_typeET2_T3_PNSH_ISM_E10value_typeET4_T5_PSR_SS_PNS1_23onesweep_lookback_stateEbbT6_jjT7_P12ihipStream_tbENKUlT_T0_SG_SL_E_clIS9_SA_SB_SB_EEDaSZ_S10_SG_SL_EUlSZ_E_NS1_11comp_targetILNS1_3genE8ELNS1_11target_archE1030ELNS1_3gpuE2ELNS1_3repE0EEENS1_47radix_sort_onesweep_sort_config_static_selectorELNS0_4arch9wavefront6targetE0EEEvSG_.kd
    .uniform_work_group_size: 1
    .uses_dynamic_stack: false
    .vgpr_count:     0
    .vgpr_spill_count: 0
    .wavefront_size: 32
  - .args:
      - .offset:         0
        .size:           88
        .value_kind:     by_value
      - .offset:         88
        .size:           4
        .value_kind:     hidden_block_count_x
      - .offset:         92
        .size:           4
        .value_kind:     hidden_block_count_y
      - .offset:         96
        .size:           4
        .value_kind:     hidden_block_count_z
      - .offset:         100
        .size:           2
        .value_kind:     hidden_group_size_x
      - .offset:         102
        .size:           2
        .value_kind:     hidden_group_size_y
      - .offset:         104
        .size:           2
        .value_kind:     hidden_group_size_z
      - .offset:         106
        .size:           2
        .value_kind:     hidden_remainder_x
      - .offset:         108
        .size:           2
        .value_kind:     hidden_remainder_y
      - .offset:         110
        .size:           2
        .value_kind:     hidden_remainder_z
      - .offset:         128
        .size:           8
        .value_kind:     hidden_global_offset_x
      - .offset:         136
        .size:           8
        .value_kind:     hidden_global_offset_y
      - .offset:         144
        .size:           8
        .value_kind:     hidden_global_offset_z
      - .offset:         152
        .size:           2
        .value_kind:     hidden_grid_dims
    .group_segment_fixed_size: 18504
    .kernarg_segment_align: 8
    .kernarg_segment_size: 344
    .language:       OpenCL C
    .language_version:
      - 2
      - 0
    .max_flat_workgroup_size: 512
    .name:           _ZN7rocprim17ROCPRIM_400000_NS6detail17trampoline_kernelINS0_14default_configENS1_35radix_sort_onesweep_config_selectorIdNS0_10empty_typeEEEZZNS1_29radix_sort_onesweep_iterationIS3_Lb0EPKdPdPS5_SB_mNS0_19identity_decomposerENS1_16block_id_wrapperIjLb0EEEEE10hipError_tT1_PNSt15iterator_traitsISG_E10value_typeET2_T3_PNSH_ISM_E10value_typeET4_T5_PSR_SS_PNS1_23onesweep_lookback_stateEbbT6_jjT7_P12ihipStream_tbENKUlT_T0_SG_SL_E_clISA_SA_SB_SB_EEDaSZ_S10_SG_SL_EUlSZ_E_NS1_11comp_targetILNS1_3genE0ELNS1_11target_archE4294967295ELNS1_3gpuE0ELNS1_3repE0EEENS1_47radix_sort_onesweep_sort_config_static_selectorELNS0_4arch9wavefront6targetE0EEEvSG_
    .private_segment_fixed_size: 0
    .sgpr_count:     32
    .sgpr_spill_count: 0
    .symbol:         _ZN7rocprim17ROCPRIM_400000_NS6detail17trampoline_kernelINS0_14default_configENS1_35radix_sort_onesweep_config_selectorIdNS0_10empty_typeEEEZZNS1_29radix_sort_onesweep_iterationIS3_Lb0EPKdPdPS5_SB_mNS0_19identity_decomposerENS1_16block_id_wrapperIjLb0EEEEE10hipError_tT1_PNSt15iterator_traitsISG_E10value_typeET2_T3_PNSH_ISM_E10value_typeET4_T5_PSR_SS_PNS1_23onesweep_lookback_stateEbbT6_jjT7_P12ihipStream_tbENKUlT_T0_SG_SL_E_clISA_SA_SB_SB_EEDaSZ_S10_SG_SL_EUlSZ_E_NS1_11comp_targetILNS1_3genE0ELNS1_11target_archE4294967295ELNS1_3gpuE0ELNS1_3repE0EEENS1_47radix_sort_onesweep_sort_config_static_selectorELNS0_4arch9wavefront6targetE0EEEvSG_.kd
    .uniform_work_group_size: 1
    .uses_dynamic_stack: false
    .vgpr_count:     57
    .vgpr_spill_count: 0
    .wavefront_size: 32
  - .args:
      - .offset:         0
        .size:           88
        .value_kind:     by_value
    .group_segment_fixed_size: 0
    .kernarg_segment_align: 8
    .kernarg_segment_size: 88
    .language:       OpenCL C
    .language_version:
      - 2
      - 0
    .max_flat_workgroup_size: 512
    .name:           _ZN7rocprim17ROCPRIM_400000_NS6detail17trampoline_kernelINS0_14default_configENS1_35radix_sort_onesweep_config_selectorIdNS0_10empty_typeEEEZZNS1_29radix_sort_onesweep_iterationIS3_Lb0EPKdPdPS5_SB_mNS0_19identity_decomposerENS1_16block_id_wrapperIjLb0EEEEE10hipError_tT1_PNSt15iterator_traitsISG_E10value_typeET2_T3_PNSH_ISM_E10value_typeET4_T5_PSR_SS_PNS1_23onesweep_lookback_stateEbbT6_jjT7_P12ihipStream_tbENKUlT_T0_SG_SL_E_clISA_SA_SB_SB_EEDaSZ_S10_SG_SL_EUlSZ_E_NS1_11comp_targetILNS1_3genE6ELNS1_11target_archE950ELNS1_3gpuE13ELNS1_3repE0EEENS1_47radix_sort_onesweep_sort_config_static_selectorELNS0_4arch9wavefront6targetE0EEEvSG_
    .private_segment_fixed_size: 0
    .sgpr_count:     0
    .sgpr_spill_count: 0
    .symbol:         _ZN7rocprim17ROCPRIM_400000_NS6detail17trampoline_kernelINS0_14default_configENS1_35radix_sort_onesweep_config_selectorIdNS0_10empty_typeEEEZZNS1_29radix_sort_onesweep_iterationIS3_Lb0EPKdPdPS5_SB_mNS0_19identity_decomposerENS1_16block_id_wrapperIjLb0EEEEE10hipError_tT1_PNSt15iterator_traitsISG_E10value_typeET2_T3_PNSH_ISM_E10value_typeET4_T5_PSR_SS_PNS1_23onesweep_lookback_stateEbbT6_jjT7_P12ihipStream_tbENKUlT_T0_SG_SL_E_clISA_SA_SB_SB_EEDaSZ_S10_SG_SL_EUlSZ_E_NS1_11comp_targetILNS1_3genE6ELNS1_11target_archE950ELNS1_3gpuE13ELNS1_3repE0EEENS1_47radix_sort_onesweep_sort_config_static_selectorELNS0_4arch9wavefront6targetE0EEEvSG_.kd
    .uniform_work_group_size: 1
    .uses_dynamic_stack: false
    .vgpr_count:     0
    .vgpr_spill_count: 0
    .wavefront_size: 32
  - .args:
      - .offset:         0
        .size:           88
        .value_kind:     by_value
    .group_segment_fixed_size: 0
    .kernarg_segment_align: 8
    .kernarg_segment_size: 88
    .language:       OpenCL C
    .language_version:
      - 2
      - 0
    .max_flat_workgroup_size: 512
    .name:           _ZN7rocprim17ROCPRIM_400000_NS6detail17trampoline_kernelINS0_14default_configENS1_35radix_sort_onesweep_config_selectorIdNS0_10empty_typeEEEZZNS1_29radix_sort_onesweep_iterationIS3_Lb0EPKdPdPS5_SB_mNS0_19identity_decomposerENS1_16block_id_wrapperIjLb0EEEEE10hipError_tT1_PNSt15iterator_traitsISG_E10value_typeET2_T3_PNSH_ISM_E10value_typeET4_T5_PSR_SS_PNS1_23onesweep_lookback_stateEbbT6_jjT7_P12ihipStream_tbENKUlT_T0_SG_SL_E_clISA_SA_SB_SB_EEDaSZ_S10_SG_SL_EUlSZ_E_NS1_11comp_targetILNS1_3genE5ELNS1_11target_archE942ELNS1_3gpuE9ELNS1_3repE0EEENS1_47radix_sort_onesweep_sort_config_static_selectorELNS0_4arch9wavefront6targetE0EEEvSG_
    .private_segment_fixed_size: 0
    .sgpr_count:     0
    .sgpr_spill_count: 0
    .symbol:         _ZN7rocprim17ROCPRIM_400000_NS6detail17trampoline_kernelINS0_14default_configENS1_35radix_sort_onesweep_config_selectorIdNS0_10empty_typeEEEZZNS1_29radix_sort_onesweep_iterationIS3_Lb0EPKdPdPS5_SB_mNS0_19identity_decomposerENS1_16block_id_wrapperIjLb0EEEEE10hipError_tT1_PNSt15iterator_traitsISG_E10value_typeET2_T3_PNSH_ISM_E10value_typeET4_T5_PSR_SS_PNS1_23onesweep_lookback_stateEbbT6_jjT7_P12ihipStream_tbENKUlT_T0_SG_SL_E_clISA_SA_SB_SB_EEDaSZ_S10_SG_SL_EUlSZ_E_NS1_11comp_targetILNS1_3genE5ELNS1_11target_archE942ELNS1_3gpuE9ELNS1_3repE0EEENS1_47radix_sort_onesweep_sort_config_static_selectorELNS0_4arch9wavefront6targetE0EEEvSG_.kd
    .uniform_work_group_size: 1
    .uses_dynamic_stack: false
    .vgpr_count:     0
    .vgpr_spill_count: 0
    .wavefront_size: 32
  - .args:
      - .offset:         0
        .size:           88
        .value_kind:     by_value
    .group_segment_fixed_size: 0
    .kernarg_segment_align: 8
    .kernarg_segment_size: 88
    .language:       OpenCL C
    .language_version:
      - 2
      - 0
    .max_flat_workgroup_size: 512
    .name:           _ZN7rocprim17ROCPRIM_400000_NS6detail17trampoline_kernelINS0_14default_configENS1_35radix_sort_onesweep_config_selectorIdNS0_10empty_typeEEEZZNS1_29radix_sort_onesweep_iterationIS3_Lb0EPKdPdPS5_SB_mNS0_19identity_decomposerENS1_16block_id_wrapperIjLb0EEEEE10hipError_tT1_PNSt15iterator_traitsISG_E10value_typeET2_T3_PNSH_ISM_E10value_typeET4_T5_PSR_SS_PNS1_23onesweep_lookback_stateEbbT6_jjT7_P12ihipStream_tbENKUlT_T0_SG_SL_E_clISA_SA_SB_SB_EEDaSZ_S10_SG_SL_EUlSZ_E_NS1_11comp_targetILNS1_3genE2ELNS1_11target_archE906ELNS1_3gpuE6ELNS1_3repE0EEENS1_47radix_sort_onesweep_sort_config_static_selectorELNS0_4arch9wavefront6targetE0EEEvSG_
    .private_segment_fixed_size: 0
    .sgpr_count:     0
    .sgpr_spill_count: 0
    .symbol:         _ZN7rocprim17ROCPRIM_400000_NS6detail17trampoline_kernelINS0_14default_configENS1_35radix_sort_onesweep_config_selectorIdNS0_10empty_typeEEEZZNS1_29radix_sort_onesweep_iterationIS3_Lb0EPKdPdPS5_SB_mNS0_19identity_decomposerENS1_16block_id_wrapperIjLb0EEEEE10hipError_tT1_PNSt15iterator_traitsISG_E10value_typeET2_T3_PNSH_ISM_E10value_typeET4_T5_PSR_SS_PNS1_23onesweep_lookback_stateEbbT6_jjT7_P12ihipStream_tbENKUlT_T0_SG_SL_E_clISA_SA_SB_SB_EEDaSZ_S10_SG_SL_EUlSZ_E_NS1_11comp_targetILNS1_3genE2ELNS1_11target_archE906ELNS1_3gpuE6ELNS1_3repE0EEENS1_47radix_sort_onesweep_sort_config_static_selectorELNS0_4arch9wavefront6targetE0EEEvSG_.kd
    .uniform_work_group_size: 1
    .uses_dynamic_stack: false
    .vgpr_count:     0
    .vgpr_spill_count: 0
    .wavefront_size: 32
  - .args:
      - .offset:         0
        .size:           88
        .value_kind:     by_value
    .group_segment_fixed_size: 0
    .kernarg_segment_align: 8
    .kernarg_segment_size: 88
    .language:       OpenCL C
    .language_version:
      - 2
      - 0
    .max_flat_workgroup_size: 1024
    .name:           _ZN7rocprim17ROCPRIM_400000_NS6detail17trampoline_kernelINS0_14default_configENS1_35radix_sort_onesweep_config_selectorIdNS0_10empty_typeEEEZZNS1_29radix_sort_onesweep_iterationIS3_Lb0EPKdPdPS5_SB_mNS0_19identity_decomposerENS1_16block_id_wrapperIjLb0EEEEE10hipError_tT1_PNSt15iterator_traitsISG_E10value_typeET2_T3_PNSH_ISM_E10value_typeET4_T5_PSR_SS_PNS1_23onesweep_lookback_stateEbbT6_jjT7_P12ihipStream_tbENKUlT_T0_SG_SL_E_clISA_SA_SB_SB_EEDaSZ_S10_SG_SL_EUlSZ_E_NS1_11comp_targetILNS1_3genE4ELNS1_11target_archE910ELNS1_3gpuE8ELNS1_3repE0EEENS1_47radix_sort_onesweep_sort_config_static_selectorELNS0_4arch9wavefront6targetE0EEEvSG_
    .private_segment_fixed_size: 0
    .sgpr_count:     0
    .sgpr_spill_count: 0
    .symbol:         _ZN7rocprim17ROCPRIM_400000_NS6detail17trampoline_kernelINS0_14default_configENS1_35radix_sort_onesweep_config_selectorIdNS0_10empty_typeEEEZZNS1_29radix_sort_onesweep_iterationIS3_Lb0EPKdPdPS5_SB_mNS0_19identity_decomposerENS1_16block_id_wrapperIjLb0EEEEE10hipError_tT1_PNSt15iterator_traitsISG_E10value_typeET2_T3_PNSH_ISM_E10value_typeET4_T5_PSR_SS_PNS1_23onesweep_lookback_stateEbbT6_jjT7_P12ihipStream_tbENKUlT_T0_SG_SL_E_clISA_SA_SB_SB_EEDaSZ_S10_SG_SL_EUlSZ_E_NS1_11comp_targetILNS1_3genE4ELNS1_11target_archE910ELNS1_3gpuE8ELNS1_3repE0EEENS1_47radix_sort_onesweep_sort_config_static_selectorELNS0_4arch9wavefront6targetE0EEEvSG_.kd
    .uniform_work_group_size: 1
    .uses_dynamic_stack: false
    .vgpr_count:     0
    .vgpr_spill_count: 0
    .wavefront_size: 32
  - .args:
      - .offset:         0
        .size:           88
        .value_kind:     by_value
    .group_segment_fixed_size: 0
    .kernarg_segment_align: 8
    .kernarg_segment_size: 88
    .language:       OpenCL C
    .language_version:
      - 2
      - 0
    .max_flat_workgroup_size: 512
    .name:           _ZN7rocprim17ROCPRIM_400000_NS6detail17trampoline_kernelINS0_14default_configENS1_35radix_sort_onesweep_config_selectorIdNS0_10empty_typeEEEZZNS1_29radix_sort_onesweep_iterationIS3_Lb0EPKdPdPS5_SB_mNS0_19identity_decomposerENS1_16block_id_wrapperIjLb0EEEEE10hipError_tT1_PNSt15iterator_traitsISG_E10value_typeET2_T3_PNSH_ISM_E10value_typeET4_T5_PSR_SS_PNS1_23onesweep_lookback_stateEbbT6_jjT7_P12ihipStream_tbENKUlT_T0_SG_SL_E_clISA_SA_SB_SB_EEDaSZ_S10_SG_SL_EUlSZ_E_NS1_11comp_targetILNS1_3genE3ELNS1_11target_archE908ELNS1_3gpuE7ELNS1_3repE0EEENS1_47radix_sort_onesweep_sort_config_static_selectorELNS0_4arch9wavefront6targetE0EEEvSG_
    .private_segment_fixed_size: 0
    .sgpr_count:     0
    .sgpr_spill_count: 0
    .symbol:         _ZN7rocprim17ROCPRIM_400000_NS6detail17trampoline_kernelINS0_14default_configENS1_35radix_sort_onesweep_config_selectorIdNS0_10empty_typeEEEZZNS1_29radix_sort_onesweep_iterationIS3_Lb0EPKdPdPS5_SB_mNS0_19identity_decomposerENS1_16block_id_wrapperIjLb0EEEEE10hipError_tT1_PNSt15iterator_traitsISG_E10value_typeET2_T3_PNSH_ISM_E10value_typeET4_T5_PSR_SS_PNS1_23onesweep_lookback_stateEbbT6_jjT7_P12ihipStream_tbENKUlT_T0_SG_SL_E_clISA_SA_SB_SB_EEDaSZ_S10_SG_SL_EUlSZ_E_NS1_11comp_targetILNS1_3genE3ELNS1_11target_archE908ELNS1_3gpuE7ELNS1_3repE0EEENS1_47radix_sort_onesweep_sort_config_static_selectorELNS0_4arch9wavefront6targetE0EEEvSG_.kd
    .uniform_work_group_size: 1
    .uses_dynamic_stack: false
    .vgpr_count:     0
    .vgpr_spill_count: 0
    .wavefront_size: 32
  - .args:
      - .offset:         0
        .size:           88
        .value_kind:     by_value
    .group_segment_fixed_size: 0
    .kernarg_segment_align: 8
    .kernarg_segment_size: 88
    .language:       OpenCL C
    .language_version:
      - 2
      - 0
    .max_flat_workgroup_size: 512
    .name:           _ZN7rocprim17ROCPRIM_400000_NS6detail17trampoline_kernelINS0_14default_configENS1_35radix_sort_onesweep_config_selectorIdNS0_10empty_typeEEEZZNS1_29radix_sort_onesweep_iterationIS3_Lb0EPKdPdPS5_SB_mNS0_19identity_decomposerENS1_16block_id_wrapperIjLb0EEEEE10hipError_tT1_PNSt15iterator_traitsISG_E10value_typeET2_T3_PNSH_ISM_E10value_typeET4_T5_PSR_SS_PNS1_23onesweep_lookback_stateEbbT6_jjT7_P12ihipStream_tbENKUlT_T0_SG_SL_E_clISA_SA_SB_SB_EEDaSZ_S10_SG_SL_EUlSZ_E_NS1_11comp_targetILNS1_3genE10ELNS1_11target_archE1201ELNS1_3gpuE5ELNS1_3repE0EEENS1_47radix_sort_onesweep_sort_config_static_selectorELNS0_4arch9wavefront6targetE0EEEvSG_
    .private_segment_fixed_size: 0
    .sgpr_count:     0
    .sgpr_spill_count: 0
    .symbol:         _ZN7rocprim17ROCPRIM_400000_NS6detail17trampoline_kernelINS0_14default_configENS1_35radix_sort_onesweep_config_selectorIdNS0_10empty_typeEEEZZNS1_29radix_sort_onesweep_iterationIS3_Lb0EPKdPdPS5_SB_mNS0_19identity_decomposerENS1_16block_id_wrapperIjLb0EEEEE10hipError_tT1_PNSt15iterator_traitsISG_E10value_typeET2_T3_PNSH_ISM_E10value_typeET4_T5_PSR_SS_PNS1_23onesweep_lookback_stateEbbT6_jjT7_P12ihipStream_tbENKUlT_T0_SG_SL_E_clISA_SA_SB_SB_EEDaSZ_S10_SG_SL_EUlSZ_E_NS1_11comp_targetILNS1_3genE10ELNS1_11target_archE1201ELNS1_3gpuE5ELNS1_3repE0EEENS1_47radix_sort_onesweep_sort_config_static_selectorELNS0_4arch9wavefront6targetE0EEEvSG_.kd
    .uniform_work_group_size: 1
    .uses_dynamic_stack: false
    .vgpr_count:     0
    .vgpr_spill_count: 0
    .wavefront_size: 32
  - .args:
      - .offset:         0
        .size:           88
        .value_kind:     by_value
    .group_segment_fixed_size: 0
    .kernarg_segment_align: 8
    .kernarg_segment_size: 88
    .language:       OpenCL C
    .language_version:
      - 2
      - 0
    .max_flat_workgroup_size: 1024
    .name:           _ZN7rocprim17ROCPRIM_400000_NS6detail17trampoline_kernelINS0_14default_configENS1_35radix_sort_onesweep_config_selectorIdNS0_10empty_typeEEEZZNS1_29radix_sort_onesweep_iterationIS3_Lb0EPKdPdPS5_SB_mNS0_19identity_decomposerENS1_16block_id_wrapperIjLb0EEEEE10hipError_tT1_PNSt15iterator_traitsISG_E10value_typeET2_T3_PNSH_ISM_E10value_typeET4_T5_PSR_SS_PNS1_23onesweep_lookback_stateEbbT6_jjT7_P12ihipStream_tbENKUlT_T0_SG_SL_E_clISA_SA_SB_SB_EEDaSZ_S10_SG_SL_EUlSZ_E_NS1_11comp_targetILNS1_3genE9ELNS1_11target_archE1100ELNS1_3gpuE3ELNS1_3repE0EEENS1_47radix_sort_onesweep_sort_config_static_selectorELNS0_4arch9wavefront6targetE0EEEvSG_
    .private_segment_fixed_size: 0
    .sgpr_count:     0
    .sgpr_spill_count: 0
    .symbol:         _ZN7rocprim17ROCPRIM_400000_NS6detail17trampoline_kernelINS0_14default_configENS1_35radix_sort_onesweep_config_selectorIdNS0_10empty_typeEEEZZNS1_29radix_sort_onesweep_iterationIS3_Lb0EPKdPdPS5_SB_mNS0_19identity_decomposerENS1_16block_id_wrapperIjLb0EEEEE10hipError_tT1_PNSt15iterator_traitsISG_E10value_typeET2_T3_PNSH_ISM_E10value_typeET4_T5_PSR_SS_PNS1_23onesweep_lookback_stateEbbT6_jjT7_P12ihipStream_tbENKUlT_T0_SG_SL_E_clISA_SA_SB_SB_EEDaSZ_S10_SG_SL_EUlSZ_E_NS1_11comp_targetILNS1_3genE9ELNS1_11target_archE1100ELNS1_3gpuE3ELNS1_3repE0EEENS1_47radix_sort_onesweep_sort_config_static_selectorELNS0_4arch9wavefront6targetE0EEEvSG_.kd
    .uniform_work_group_size: 1
    .uses_dynamic_stack: false
    .vgpr_count:     0
    .vgpr_spill_count: 0
    .wavefront_size: 32
  - .args:
      - .offset:         0
        .size:           88
        .value_kind:     by_value
    .group_segment_fixed_size: 0
    .kernarg_segment_align: 8
    .kernarg_segment_size: 88
    .language:       OpenCL C
    .language_version:
      - 2
      - 0
    .max_flat_workgroup_size: 1024
    .name:           _ZN7rocprim17ROCPRIM_400000_NS6detail17trampoline_kernelINS0_14default_configENS1_35radix_sort_onesweep_config_selectorIdNS0_10empty_typeEEEZZNS1_29radix_sort_onesweep_iterationIS3_Lb0EPKdPdPS5_SB_mNS0_19identity_decomposerENS1_16block_id_wrapperIjLb0EEEEE10hipError_tT1_PNSt15iterator_traitsISG_E10value_typeET2_T3_PNSH_ISM_E10value_typeET4_T5_PSR_SS_PNS1_23onesweep_lookback_stateEbbT6_jjT7_P12ihipStream_tbENKUlT_T0_SG_SL_E_clISA_SA_SB_SB_EEDaSZ_S10_SG_SL_EUlSZ_E_NS1_11comp_targetILNS1_3genE8ELNS1_11target_archE1030ELNS1_3gpuE2ELNS1_3repE0EEENS1_47radix_sort_onesweep_sort_config_static_selectorELNS0_4arch9wavefront6targetE0EEEvSG_
    .private_segment_fixed_size: 0
    .sgpr_count:     0
    .sgpr_spill_count: 0
    .symbol:         _ZN7rocprim17ROCPRIM_400000_NS6detail17trampoline_kernelINS0_14default_configENS1_35radix_sort_onesweep_config_selectorIdNS0_10empty_typeEEEZZNS1_29radix_sort_onesweep_iterationIS3_Lb0EPKdPdPS5_SB_mNS0_19identity_decomposerENS1_16block_id_wrapperIjLb0EEEEE10hipError_tT1_PNSt15iterator_traitsISG_E10value_typeET2_T3_PNSH_ISM_E10value_typeET4_T5_PSR_SS_PNS1_23onesweep_lookback_stateEbbT6_jjT7_P12ihipStream_tbENKUlT_T0_SG_SL_E_clISA_SA_SB_SB_EEDaSZ_S10_SG_SL_EUlSZ_E_NS1_11comp_targetILNS1_3genE8ELNS1_11target_archE1030ELNS1_3gpuE2ELNS1_3repE0EEENS1_47radix_sort_onesweep_sort_config_static_selectorELNS0_4arch9wavefront6targetE0EEEvSG_.kd
    .uniform_work_group_size: 1
    .uses_dynamic_stack: false
    .vgpr_count:     0
    .vgpr_spill_count: 0
    .wavefront_size: 32
  - .args:
      - .offset:         0
        .size:           48
        .value_kind:     by_value
      - .offset:         48
        .size:           4
        .value_kind:     hidden_block_count_x
      - .offset:         52
        .size:           4
        .value_kind:     hidden_block_count_y
      - .offset:         56
        .size:           4
        .value_kind:     hidden_block_count_z
      - .offset:         60
        .size:           2
        .value_kind:     hidden_group_size_x
      - .offset:         62
        .size:           2
        .value_kind:     hidden_group_size_y
      - .offset:         64
        .size:           2
        .value_kind:     hidden_group_size_z
      - .offset:         66
        .size:           2
        .value_kind:     hidden_remainder_x
      - .offset:         68
        .size:           2
        .value_kind:     hidden_remainder_y
      - .offset:         70
        .size:           2
        .value_kind:     hidden_remainder_z
      - .offset:         88
        .size:           8
        .value_kind:     hidden_global_offset_x
      - .offset:         96
        .size:           8
        .value_kind:     hidden_global_offset_y
      - .offset:         104
        .size:           8
        .value_kind:     hidden_global_offset_z
      - .offset:         112
        .size:           2
        .value_kind:     hidden_grid_dims
    .group_segment_fixed_size: 8224
    .kernarg_segment_align: 8
    .kernarg_segment_size: 304
    .language:       OpenCL C
    .language_version:
      - 2
      - 0
    .max_flat_workgroup_size: 256
    .name:           _ZN7rocprim17ROCPRIM_400000_NS6detail17trampoline_kernelINS0_13kernel_configILj256ELj4ELj4294967295EEENS1_37radix_sort_block_sort_config_selectorIbNS0_10empty_typeEEEZNS1_21radix_sort_block_sortIS4_Lb1EPKbPbPS6_SC_NS0_19identity_decomposerEEE10hipError_tT1_T2_T3_T4_jRjT5_jjP12ihipStream_tbEUlT_E_NS1_11comp_targetILNS1_3genE0ELNS1_11target_archE4294967295ELNS1_3gpuE0ELNS1_3repE0EEENS1_44radix_sort_block_sort_config_static_selectorELNS0_4arch9wavefront6targetE0EEEvSF_
    .private_segment_fixed_size: 0
    .sgpr_count:     30
    .sgpr_spill_count: 0
    .symbol:         _ZN7rocprim17ROCPRIM_400000_NS6detail17trampoline_kernelINS0_13kernel_configILj256ELj4ELj4294967295EEENS1_37radix_sort_block_sort_config_selectorIbNS0_10empty_typeEEEZNS1_21radix_sort_block_sortIS4_Lb1EPKbPbPS6_SC_NS0_19identity_decomposerEEE10hipError_tT1_T2_T3_T4_jRjT5_jjP12ihipStream_tbEUlT_E_NS1_11comp_targetILNS1_3genE0ELNS1_11target_archE4294967295ELNS1_3gpuE0ELNS1_3repE0EEENS1_44radix_sort_block_sort_config_static_selectorELNS0_4arch9wavefront6targetE0EEEvSF_.kd
    .uniform_work_group_size: 1
    .uses_dynamic_stack: false
    .vgpr_count:     36
    .vgpr_spill_count: 0
    .wavefront_size: 32
  - .args:
      - .offset:         0
        .size:           48
        .value_kind:     by_value
    .group_segment_fixed_size: 0
    .kernarg_segment_align: 8
    .kernarg_segment_size: 48
    .language:       OpenCL C
    .language_version:
      - 2
      - 0
    .max_flat_workgroup_size: 256
    .name:           _ZN7rocprim17ROCPRIM_400000_NS6detail17trampoline_kernelINS0_13kernel_configILj256ELj4ELj4294967295EEENS1_37radix_sort_block_sort_config_selectorIbNS0_10empty_typeEEEZNS1_21radix_sort_block_sortIS4_Lb1EPKbPbPS6_SC_NS0_19identity_decomposerEEE10hipError_tT1_T2_T3_T4_jRjT5_jjP12ihipStream_tbEUlT_E_NS1_11comp_targetILNS1_3genE5ELNS1_11target_archE942ELNS1_3gpuE9ELNS1_3repE0EEENS1_44radix_sort_block_sort_config_static_selectorELNS0_4arch9wavefront6targetE0EEEvSF_
    .private_segment_fixed_size: 0
    .sgpr_count:     0
    .sgpr_spill_count: 0
    .symbol:         _ZN7rocprim17ROCPRIM_400000_NS6detail17trampoline_kernelINS0_13kernel_configILj256ELj4ELj4294967295EEENS1_37radix_sort_block_sort_config_selectorIbNS0_10empty_typeEEEZNS1_21radix_sort_block_sortIS4_Lb1EPKbPbPS6_SC_NS0_19identity_decomposerEEE10hipError_tT1_T2_T3_T4_jRjT5_jjP12ihipStream_tbEUlT_E_NS1_11comp_targetILNS1_3genE5ELNS1_11target_archE942ELNS1_3gpuE9ELNS1_3repE0EEENS1_44radix_sort_block_sort_config_static_selectorELNS0_4arch9wavefront6targetE0EEEvSF_.kd
    .uniform_work_group_size: 1
    .uses_dynamic_stack: false
    .vgpr_count:     0
    .vgpr_spill_count: 0
    .wavefront_size: 32
  - .args:
      - .offset:         0
        .size:           48
        .value_kind:     by_value
    .group_segment_fixed_size: 0
    .kernarg_segment_align: 8
    .kernarg_segment_size: 48
    .language:       OpenCL C
    .language_version:
      - 2
      - 0
    .max_flat_workgroup_size: 256
    .name:           _ZN7rocprim17ROCPRIM_400000_NS6detail17trampoline_kernelINS0_13kernel_configILj256ELj4ELj4294967295EEENS1_37radix_sort_block_sort_config_selectorIbNS0_10empty_typeEEEZNS1_21radix_sort_block_sortIS4_Lb1EPKbPbPS6_SC_NS0_19identity_decomposerEEE10hipError_tT1_T2_T3_T4_jRjT5_jjP12ihipStream_tbEUlT_E_NS1_11comp_targetILNS1_3genE4ELNS1_11target_archE910ELNS1_3gpuE8ELNS1_3repE0EEENS1_44radix_sort_block_sort_config_static_selectorELNS0_4arch9wavefront6targetE0EEEvSF_
    .private_segment_fixed_size: 0
    .sgpr_count:     0
    .sgpr_spill_count: 0
    .symbol:         _ZN7rocprim17ROCPRIM_400000_NS6detail17trampoline_kernelINS0_13kernel_configILj256ELj4ELj4294967295EEENS1_37radix_sort_block_sort_config_selectorIbNS0_10empty_typeEEEZNS1_21radix_sort_block_sortIS4_Lb1EPKbPbPS6_SC_NS0_19identity_decomposerEEE10hipError_tT1_T2_T3_T4_jRjT5_jjP12ihipStream_tbEUlT_E_NS1_11comp_targetILNS1_3genE4ELNS1_11target_archE910ELNS1_3gpuE8ELNS1_3repE0EEENS1_44radix_sort_block_sort_config_static_selectorELNS0_4arch9wavefront6targetE0EEEvSF_.kd
    .uniform_work_group_size: 1
    .uses_dynamic_stack: false
    .vgpr_count:     0
    .vgpr_spill_count: 0
    .wavefront_size: 32
  - .args:
      - .offset:         0
        .size:           48
        .value_kind:     by_value
    .group_segment_fixed_size: 0
    .kernarg_segment_align: 8
    .kernarg_segment_size: 48
    .language:       OpenCL C
    .language_version:
      - 2
      - 0
    .max_flat_workgroup_size: 256
    .name:           _ZN7rocprim17ROCPRIM_400000_NS6detail17trampoline_kernelINS0_13kernel_configILj256ELj4ELj4294967295EEENS1_37radix_sort_block_sort_config_selectorIbNS0_10empty_typeEEEZNS1_21radix_sort_block_sortIS4_Lb1EPKbPbPS6_SC_NS0_19identity_decomposerEEE10hipError_tT1_T2_T3_T4_jRjT5_jjP12ihipStream_tbEUlT_E_NS1_11comp_targetILNS1_3genE3ELNS1_11target_archE908ELNS1_3gpuE7ELNS1_3repE0EEENS1_44radix_sort_block_sort_config_static_selectorELNS0_4arch9wavefront6targetE0EEEvSF_
    .private_segment_fixed_size: 0
    .sgpr_count:     0
    .sgpr_spill_count: 0
    .symbol:         _ZN7rocprim17ROCPRIM_400000_NS6detail17trampoline_kernelINS0_13kernel_configILj256ELj4ELj4294967295EEENS1_37radix_sort_block_sort_config_selectorIbNS0_10empty_typeEEEZNS1_21radix_sort_block_sortIS4_Lb1EPKbPbPS6_SC_NS0_19identity_decomposerEEE10hipError_tT1_T2_T3_T4_jRjT5_jjP12ihipStream_tbEUlT_E_NS1_11comp_targetILNS1_3genE3ELNS1_11target_archE908ELNS1_3gpuE7ELNS1_3repE0EEENS1_44radix_sort_block_sort_config_static_selectorELNS0_4arch9wavefront6targetE0EEEvSF_.kd
    .uniform_work_group_size: 1
    .uses_dynamic_stack: false
    .vgpr_count:     0
    .vgpr_spill_count: 0
    .wavefront_size: 32
  - .args:
      - .offset:         0
        .size:           48
        .value_kind:     by_value
    .group_segment_fixed_size: 0
    .kernarg_segment_align: 8
    .kernarg_segment_size: 48
    .language:       OpenCL C
    .language_version:
      - 2
      - 0
    .max_flat_workgroup_size: 256
    .name:           _ZN7rocprim17ROCPRIM_400000_NS6detail17trampoline_kernelINS0_13kernel_configILj256ELj4ELj4294967295EEENS1_37radix_sort_block_sort_config_selectorIbNS0_10empty_typeEEEZNS1_21radix_sort_block_sortIS4_Lb1EPKbPbPS6_SC_NS0_19identity_decomposerEEE10hipError_tT1_T2_T3_T4_jRjT5_jjP12ihipStream_tbEUlT_E_NS1_11comp_targetILNS1_3genE2ELNS1_11target_archE906ELNS1_3gpuE6ELNS1_3repE0EEENS1_44radix_sort_block_sort_config_static_selectorELNS0_4arch9wavefront6targetE0EEEvSF_
    .private_segment_fixed_size: 0
    .sgpr_count:     0
    .sgpr_spill_count: 0
    .symbol:         _ZN7rocprim17ROCPRIM_400000_NS6detail17trampoline_kernelINS0_13kernel_configILj256ELj4ELj4294967295EEENS1_37radix_sort_block_sort_config_selectorIbNS0_10empty_typeEEEZNS1_21radix_sort_block_sortIS4_Lb1EPKbPbPS6_SC_NS0_19identity_decomposerEEE10hipError_tT1_T2_T3_T4_jRjT5_jjP12ihipStream_tbEUlT_E_NS1_11comp_targetILNS1_3genE2ELNS1_11target_archE906ELNS1_3gpuE6ELNS1_3repE0EEENS1_44radix_sort_block_sort_config_static_selectorELNS0_4arch9wavefront6targetE0EEEvSF_.kd
    .uniform_work_group_size: 1
    .uses_dynamic_stack: false
    .vgpr_count:     0
    .vgpr_spill_count: 0
    .wavefront_size: 32
  - .args:
      - .offset:         0
        .size:           48
        .value_kind:     by_value
    .group_segment_fixed_size: 0
    .kernarg_segment_align: 8
    .kernarg_segment_size: 48
    .language:       OpenCL C
    .language_version:
      - 2
      - 0
    .max_flat_workgroup_size: 256
    .name:           _ZN7rocprim17ROCPRIM_400000_NS6detail17trampoline_kernelINS0_13kernel_configILj256ELj4ELj4294967295EEENS1_37radix_sort_block_sort_config_selectorIbNS0_10empty_typeEEEZNS1_21radix_sort_block_sortIS4_Lb1EPKbPbPS6_SC_NS0_19identity_decomposerEEE10hipError_tT1_T2_T3_T4_jRjT5_jjP12ihipStream_tbEUlT_E_NS1_11comp_targetILNS1_3genE10ELNS1_11target_archE1201ELNS1_3gpuE5ELNS1_3repE0EEENS1_44radix_sort_block_sort_config_static_selectorELNS0_4arch9wavefront6targetE0EEEvSF_
    .private_segment_fixed_size: 0
    .sgpr_count:     0
    .sgpr_spill_count: 0
    .symbol:         _ZN7rocprim17ROCPRIM_400000_NS6detail17trampoline_kernelINS0_13kernel_configILj256ELj4ELj4294967295EEENS1_37radix_sort_block_sort_config_selectorIbNS0_10empty_typeEEEZNS1_21radix_sort_block_sortIS4_Lb1EPKbPbPS6_SC_NS0_19identity_decomposerEEE10hipError_tT1_T2_T3_T4_jRjT5_jjP12ihipStream_tbEUlT_E_NS1_11comp_targetILNS1_3genE10ELNS1_11target_archE1201ELNS1_3gpuE5ELNS1_3repE0EEENS1_44radix_sort_block_sort_config_static_selectorELNS0_4arch9wavefront6targetE0EEEvSF_.kd
    .uniform_work_group_size: 1
    .uses_dynamic_stack: false
    .vgpr_count:     0
    .vgpr_spill_count: 0
    .wavefront_size: 32
  - .args:
      - .offset:         0
        .size:           48
        .value_kind:     by_value
    .group_segment_fixed_size: 0
    .kernarg_segment_align: 8
    .kernarg_segment_size: 48
    .language:       OpenCL C
    .language_version:
      - 2
      - 0
    .max_flat_workgroup_size: 256
    .name:           _ZN7rocprim17ROCPRIM_400000_NS6detail17trampoline_kernelINS0_13kernel_configILj256ELj4ELj4294967295EEENS1_37radix_sort_block_sort_config_selectorIbNS0_10empty_typeEEEZNS1_21radix_sort_block_sortIS4_Lb1EPKbPbPS6_SC_NS0_19identity_decomposerEEE10hipError_tT1_T2_T3_T4_jRjT5_jjP12ihipStream_tbEUlT_E_NS1_11comp_targetILNS1_3genE10ELNS1_11target_archE1200ELNS1_3gpuE4ELNS1_3repE0EEENS1_44radix_sort_block_sort_config_static_selectorELNS0_4arch9wavefront6targetE0EEEvSF_
    .private_segment_fixed_size: 0
    .sgpr_count:     0
    .sgpr_spill_count: 0
    .symbol:         _ZN7rocprim17ROCPRIM_400000_NS6detail17trampoline_kernelINS0_13kernel_configILj256ELj4ELj4294967295EEENS1_37radix_sort_block_sort_config_selectorIbNS0_10empty_typeEEEZNS1_21radix_sort_block_sortIS4_Lb1EPKbPbPS6_SC_NS0_19identity_decomposerEEE10hipError_tT1_T2_T3_T4_jRjT5_jjP12ihipStream_tbEUlT_E_NS1_11comp_targetILNS1_3genE10ELNS1_11target_archE1200ELNS1_3gpuE4ELNS1_3repE0EEENS1_44radix_sort_block_sort_config_static_selectorELNS0_4arch9wavefront6targetE0EEEvSF_.kd
    .uniform_work_group_size: 1
    .uses_dynamic_stack: false
    .vgpr_count:     0
    .vgpr_spill_count: 0
    .wavefront_size: 32
  - .args:
      - .offset:         0
        .size:           48
        .value_kind:     by_value
    .group_segment_fixed_size: 0
    .kernarg_segment_align: 8
    .kernarg_segment_size: 48
    .language:       OpenCL C
    .language_version:
      - 2
      - 0
    .max_flat_workgroup_size: 256
    .name:           _ZN7rocprim17ROCPRIM_400000_NS6detail17trampoline_kernelINS0_13kernel_configILj256ELj4ELj4294967295EEENS1_37radix_sort_block_sort_config_selectorIbNS0_10empty_typeEEEZNS1_21radix_sort_block_sortIS4_Lb1EPKbPbPS6_SC_NS0_19identity_decomposerEEE10hipError_tT1_T2_T3_T4_jRjT5_jjP12ihipStream_tbEUlT_E_NS1_11comp_targetILNS1_3genE9ELNS1_11target_archE1100ELNS1_3gpuE3ELNS1_3repE0EEENS1_44radix_sort_block_sort_config_static_selectorELNS0_4arch9wavefront6targetE0EEEvSF_
    .private_segment_fixed_size: 0
    .sgpr_count:     0
    .sgpr_spill_count: 0
    .symbol:         _ZN7rocprim17ROCPRIM_400000_NS6detail17trampoline_kernelINS0_13kernel_configILj256ELj4ELj4294967295EEENS1_37radix_sort_block_sort_config_selectorIbNS0_10empty_typeEEEZNS1_21radix_sort_block_sortIS4_Lb1EPKbPbPS6_SC_NS0_19identity_decomposerEEE10hipError_tT1_T2_T3_T4_jRjT5_jjP12ihipStream_tbEUlT_E_NS1_11comp_targetILNS1_3genE9ELNS1_11target_archE1100ELNS1_3gpuE3ELNS1_3repE0EEENS1_44radix_sort_block_sort_config_static_selectorELNS0_4arch9wavefront6targetE0EEEvSF_.kd
    .uniform_work_group_size: 1
    .uses_dynamic_stack: false
    .vgpr_count:     0
    .vgpr_spill_count: 0
    .wavefront_size: 32
  - .args:
      - .offset:         0
        .size:           48
        .value_kind:     by_value
    .group_segment_fixed_size: 0
    .kernarg_segment_align: 8
    .kernarg_segment_size: 48
    .language:       OpenCL C
    .language_version:
      - 2
      - 0
    .max_flat_workgroup_size: 256
    .name:           _ZN7rocprim17ROCPRIM_400000_NS6detail17trampoline_kernelINS0_13kernel_configILj256ELj4ELj4294967295EEENS1_37radix_sort_block_sort_config_selectorIbNS0_10empty_typeEEEZNS1_21radix_sort_block_sortIS4_Lb1EPKbPbPS6_SC_NS0_19identity_decomposerEEE10hipError_tT1_T2_T3_T4_jRjT5_jjP12ihipStream_tbEUlT_E_NS1_11comp_targetILNS1_3genE8ELNS1_11target_archE1030ELNS1_3gpuE2ELNS1_3repE0EEENS1_44radix_sort_block_sort_config_static_selectorELNS0_4arch9wavefront6targetE0EEEvSF_
    .private_segment_fixed_size: 0
    .sgpr_count:     0
    .sgpr_spill_count: 0
    .symbol:         _ZN7rocprim17ROCPRIM_400000_NS6detail17trampoline_kernelINS0_13kernel_configILj256ELj4ELj4294967295EEENS1_37radix_sort_block_sort_config_selectorIbNS0_10empty_typeEEEZNS1_21radix_sort_block_sortIS4_Lb1EPKbPbPS6_SC_NS0_19identity_decomposerEEE10hipError_tT1_T2_T3_T4_jRjT5_jjP12ihipStream_tbEUlT_E_NS1_11comp_targetILNS1_3genE8ELNS1_11target_archE1030ELNS1_3gpuE2ELNS1_3repE0EEENS1_44radix_sort_block_sort_config_static_selectorELNS0_4arch9wavefront6targetE0EEEvSF_.kd
    .uniform_work_group_size: 1
    .uses_dynamic_stack: false
    .vgpr_count:     0
    .vgpr_spill_count: 0
    .wavefront_size: 32
  - .args:           []
    .group_segment_fixed_size: 0
    .kernarg_segment_align: 4
    .kernarg_segment_size: 0
    .language:       OpenCL C
    .language_version:
      - 2
      - 0
    .max_flat_workgroup_size: 1024
    .name:           _ZN7rocprim17ROCPRIM_400000_NS6detail44device_merge_sort_compile_time_verifier_archINS1_11comp_targetILNS1_3genE0ELNS1_11target_archE4294967295ELNS1_3gpuE0ELNS1_3repE0EEES8_NS1_28merge_sort_block_sort_configILj256ELj4ELNS0_20block_sort_algorithmE0EEENS0_14default_configENS1_37merge_sort_block_sort_config_selectorIbNS0_10empty_typeEEENS1_38merge_sort_block_merge_config_selectorIbSE_EEEEvv
    .private_segment_fixed_size: 0
    .sgpr_count:     0
    .sgpr_spill_count: 0
    .symbol:         _ZN7rocprim17ROCPRIM_400000_NS6detail44device_merge_sort_compile_time_verifier_archINS1_11comp_targetILNS1_3genE0ELNS1_11target_archE4294967295ELNS1_3gpuE0ELNS1_3repE0EEES8_NS1_28merge_sort_block_sort_configILj256ELj4ELNS0_20block_sort_algorithmE0EEENS0_14default_configENS1_37merge_sort_block_sort_config_selectorIbNS0_10empty_typeEEENS1_38merge_sort_block_merge_config_selectorIbSE_EEEEvv.kd
    .uniform_work_group_size: 1
    .uses_dynamic_stack: false
    .vgpr_count:     0
    .vgpr_spill_count: 0
    .wavefront_size: 32
  - .args:           []
    .group_segment_fixed_size: 0
    .kernarg_segment_align: 4
    .kernarg_segment_size: 0
    .language:       OpenCL C
    .language_version:
      - 2
      - 0
    .max_flat_workgroup_size: 1024
    .name:           _ZN7rocprim17ROCPRIM_400000_NS6detail44device_merge_sort_compile_time_verifier_archINS1_11comp_targetILNS1_3genE5ELNS1_11target_archE942ELNS1_3gpuE9ELNS1_3repE0EEES8_NS1_28merge_sort_block_sort_configILj256ELj4ELNS0_20block_sort_algorithmE0EEENS0_14default_configENS1_37merge_sort_block_sort_config_selectorIbNS0_10empty_typeEEENS1_38merge_sort_block_merge_config_selectorIbSE_EEEEvv
    .private_segment_fixed_size: 0
    .sgpr_count:     0
    .sgpr_spill_count: 0
    .symbol:         _ZN7rocprim17ROCPRIM_400000_NS6detail44device_merge_sort_compile_time_verifier_archINS1_11comp_targetILNS1_3genE5ELNS1_11target_archE942ELNS1_3gpuE9ELNS1_3repE0EEES8_NS1_28merge_sort_block_sort_configILj256ELj4ELNS0_20block_sort_algorithmE0EEENS0_14default_configENS1_37merge_sort_block_sort_config_selectorIbNS0_10empty_typeEEENS1_38merge_sort_block_merge_config_selectorIbSE_EEEEvv.kd
    .uniform_work_group_size: 1
    .uses_dynamic_stack: false
    .vgpr_count:     0
    .vgpr_spill_count: 0
    .wavefront_size: 32
  - .args:           []
    .group_segment_fixed_size: 0
    .kernarg_segment_align: 4
    .kernarg_segment_size: 0
    .language:       OpenCL C
    .language_version:
      - 2
      - 0
    .max_flat_workgroup_size: 1024
    .name:           _ZN7rocprim17ROCPRIM_400000_NS6detail44device_merge_sort_compile_time_verifier_archINS1_11comp_targetILNS1_3genE4ELNS1_11target_archE910ELNS1_3gpuE8ELNS1_3repE0EEES8_NS1_28merge_sort_block_sort_configILj256ELj4ELNS0_20block_sort_algorithmE0EEENS0_14default_configENS1_37merge_sort_block_sort_config_selectorIbNS0_10empty_typeEEENS1_38merge_sort_block_merge_config_selectorIbSE_EEEEvv
    .private_segment_fixed_size: 0
    .sgpr_count:     0
    .sgpr_spill_count: 0
    .symbol:         _ZN7rocprim17ROCPRIM_400000_NS6detail44device_merge_sort_compile_time_verifier_archINS1_11comp_targetILNS1_3genE4ELNS1_11target_archE910ELNS1_3gpuE8ELNS1_3repE0EEES8_NS1_28merge_sort_block_sort_configILj256ELj4ELNS0_20block_sort_algorithmE0EEENS0_14default_configENS1_37merge_sort_block_sort_config_selectorIbNS0_10empty_typeEEENS1_38merge_sort_block_merge_config_selectorIbSE_EEEEvv.kd
    .uniform_work_group_size: 1
    .uses_dynamic_stack: false
    .vgpr_count:     0
    .vgpr_spill_count: 0
    .wavefront_size: 32
  - .args:           []
    .group_segment_fixed_size: 0
    .kernarg_segment_align: 4
    .kernarg_segment_size: 0
    .language:       OpenCL C
    .language_version:
      - 2
      - 0
    .max_flat_workgroup_size: 1024
    .name:           _ZN7rocprim17ROCPRIM_400000_NS6detail44device_merge_sort_compile_time_verifier_archINS1_11comp_targetILNS1_3genE3ELNS1_11target_archE908ELNS1_3gpuE7ELNS1_3repE0EEES8_NS1_28merge_sort_block_sort_configILj256ELj4ELNS0_20block_sort_algorithmE0EEENS0_14default_configENS1_37merge_sort_block_sort_config_selectorIbNS0_10empty_typeEEENS1_38merge_sort_block_merge_config_selectorIbSE_EEEEvv
    .private_segment_fixed_size: 0
    .sgpr_count:     0
    .sgpr_spill_count: 0
    .symbol:         _ZN7rocprim17ROCPRIM_400000_NS6detail44device_merge_sort_compile_time_verifier_archINS1_11comp_targetILNS1_3genE3ELNS1_11target_archE908ELNS1_3gpuE7ELNS1_3repE0EEES8_NS1_28merge_sort_block_sort_configILj256ELj4ELNS0_20block_sort_algorithmE0EEENS0_14default_configENS1_37merge_sort_block_sort_config_selectorIbNS0_10empty_typeEEENS1_38merge_sort_block_merge_config_selectorIbSE_EEEEvv.kd
    .uniform_work_group_size: 1
    .uses_dynamic_stack: false
    .vgpr_count:     0
    .vgpr_spill_count: 0
    .wavefront_size: 32
  - .args:           []
    .group_segment_fixed_size: 0
    .kernarg_segment_align: 4
    .kernarg_segment_size: 0
    .language:       OpenCL C
    .language_version:
      - 2
      - 0
    .max_flat_workgroup_size: 1024
    .name:           _ZN7rocprim17ROCPRIM_400000_NS6detail44device_merge_sort_compile_time_verifier_archINS1_11comp_targetILNS1_3genE2ELNS1_11target_archE906ELNS1_3gpuE6ELNS1_3repE0EEES8_NS1_28merge_sort_block_sort_configILj256ELj4ELNS0_20block_sort_algorithmE0EEENS0_14default_configENS1_37merge_sort_block_sort_config_selectorIbNS0_10empty_typeEEENS1_38merge_sort_block_merge_config_selectorIbSE_EEEEvv
    .private_segment_fixed_size: 0
    .sgpr_count:     0
    .sgpr_spill_count: 0
    .symbol:         _ZN7rocprim17ROCPRIM_400000_NS6detail44device_merge_sort_compile_time_verifier_archINS1_11comp_targetILNS1_3genE2ELNS1_11target_archE906ELNS1_3gpuE6ELNS1_3repE0EEES8_NS1_28merge_sort_block_sort_configILj256ELj4ELNS0_20block_sort_algorithmE0EEENS0_14default_configENS1_37merge_sort_block_sort_config_selectorIbNS0_10empty_typeEEENS1_38merge_sort_block_merge_config_selectorIbSE_EEEEvv.kd
    .uniform_work_group_size: 1
    .uses_dynamic_stack: false
    .vgpr_count:     0
    .vgpr_spill_count: 0
    .wavefront_size: 32
  - .args:           []
    .group_segment_fixed_size: 0
    .kernarg_segment_align: 4
    .kernarg_segment_size: 0
    .language:       OpenCL C
    .language_version:
      - 2
      - 0
    .max_flat_workgroup_size: 1024
    .name:           _ZN7rocprim17ROCPRIM_400000_NS6detail44device_merge_sort_compile_time_verifier_archINS1_11comp_targetILNS1_3genE10ELNS1_11target_archE1201ELNS1_3gpuE5ELNS1_3repE0EEES8_NS1_28merge_sort_block_sort_configILj256ELj4ELNS0_20block_sort_algorithmE0EEENS0_14default_configENS1_37merge_sort_block_sort_config_selectorIbNS0_10empty_typeEEENS1_38merge_sort_block_merge_config_selectorIbSE_EEEEvv
    .private_segment_fixed_size: 0
    .sgpr_count:     0
    .sgpr_spill_count: 0
    .symbol:         _ZN7rocprim17ROCPRIM_400000_NS6detail44device_merge_sort_compile_time_verifier_archINS1_11comp_targetILNS1_3genE10ELNS1_11target_archE1201ELNS1_3gpuE5ELNS1_3repE0EEES8_NS1_28merge_sort_block_sort_configILj256ELj4ELNS0_20block_sort_algorithmE0EEENS0_14default_configENS1_37merge_sort_block_sort_config_selectorIbNS0_10empty_typeEEENS1_38merge_sort_block_merge_config_selectorIbSE_EEEEvv.kd
    .uniform_work_group_size: 1
    .uses_dynamic_stack: false
    .vgpr_count:     0
    .vgpr_spill_count: 0
    .wavefront_size: 32
  - .args:           []
    .group_segment_fixed_size: 0
    .kernarg_segment_align: 4
    .kernarg_segment_size: 0
    .language:       OpenCL C
    .language_version:
      - 2
      - 0
    .max_flat_workgroup_size: 1024
    .name:           _ZN7rocprim17ROCPRIM_400000_NS6detail44device_merge_sort_compile_time_verifier_archINS1_11comp_targetILNS1_3genE10ELNS1_11target_archE1200ELNS1_3gpuE4ELNS1_3repE0EEENS3_ILS4_10ELS5_1201ELS6_5ELS7_0EEENS1_28merge_sort_block_sort_configILj256ELj4ELNS0_20block_sort_algorithmE0EEENS0_14default_configENS1_37merge_sort_block_sort_config_selectorIbNS0_10empty_typeEEENS1_38merge_sort_block_merge_config_selectorIbSF_EEEEvv
    .private_segment_fixed_size: 0
    .sgpr_count:     0
    .sgpr_spill_count: 0
    .symbol:         _ZN7rocprim17ROCPRIM_400000_NS6detail44device_merge_sort_compile_time_verifier_archINS1_11comp_targetILNS1_3genE10ELNS1_11target_archE1200ELNS1_3gpuE4ELNS1_3repE0EEENS3_ILS4_10ELS5_1201ELS6_5ELS7_0EEENS1_28merge_sort_block_sort_configILj256ELj4ELNS0_20block_sort_algorithmE0EEENS0_14default_configENS1_37merge_sort_block_sort_config_selectorIbNS0_10empty_typeEEENS1_38merge_sort_block_merge_config_selectorIbSF_EEEEvv.kd
    .uniform_work_group_size: 1
    .uses_dynamic_stack: false
    .vgpr_count:     0
    .vgpr_spill_count: 0
    .wavefront_size: 32
  - .args:           []
    .group_segment_fixed_size: 0
    .kernarg_segment_align: 4
    .kernarg_segment_size: 0
    .language:       OpenCL C
    .language_version:
      - 2
      - 0
    .max_flat_workgroup_size: 1024
    .name:           _ZN7rocprim17ROCPRIM_400000_NS6detail44device_merge_sort_compile_time_verifier_archINS1_11comp_targetILNS1_3genE9ELNS1_11target_archE1100ELNS1_3gpuE3ELNS1_3repE0EEES8_NS1_28merge_sort_block_sort_configILj256ELj4ELNS0_20block_sort_algorithmE0EEENS0_14default_configENS1_37merge_sort_block_sort_config_selectorIbNS0_10empty_typeEEENS1_38merge_sort_block_merge_config_selectorIbSE_EEEEvv
    .private_segment_fixed_size: 0
    .sgpr_count:     0
    .sgpr_spill_count: 0
    .symbol:         _ZN7rocprim17ROCPRIM_400000_NS6detail44device_merge_sort_compile_time_verifier_archINS1_11comp_targetILNS1_3genE9ELNS1_11target_archE1100ELNS1_3gpuE3ELNS1_3repE0EEES8_NS1_28merge_sort_block_sort_configILj256ELj4ELNS0_20block_sort_algorithmE0EEENS0_14default_configENS1_37merge_sort_block_sort_config_selectorIbNS0_10empty_typeEEENS1_38merge_sort_block_merge_config_selectorIbSE_EEEEvv.kd
    .uniform_work_group_size: 1
    .uses_dynamic_stack: false
    .vgpr_count:     0
    .vgpr_spill_count: 0
    .wavefront_size: 32
  - .args:           []
    .group_segment_fixed_size: 0
    .kernarg_segment_align: 4
    .kernarg_segment_size: 0
    .language:       OpenCL C
    .language_version:
      - 2
      - 0
    .max_flat_workgroup_size: 1024
    .name:           _ZN7rocprim17ROCPRIM_400000_NS6detail44device_merge_sort_compile_time_verifier_archINS1_11comp_targetILNS1_3genE8ELNS1_11target_archE1030ELNS1_3gpuE2ELNS1_3repE0EEES8_NS1_28merge_sort_block_sort_configILj256ELj4ELNS0_20block_sort_algorithmE0EEENS0_14default_configENS1_37merge_sort_block_sort_config_selectorIbNS0_10empty_typeEEENS1_38merge_sort_block_merge_config_selectorIbSE_EEEEvv
    .private_segment_fixed_size: 0
    .sgpr_count:     0
    .sgpr_spill_count: 0
    .symbol:         _ZN7rocprim17ROCPRIM_400000_NS6detail44device_merge_sort_compile_time_verifier_archINS1_11comp_targetILNS1_3genE8ELNS1_11target_archE1030ELNS1_3gpuE2ELNS1_3repE0EEES8_NS1_28merge_sort_block_sort_configILj256ELj4ELNS0_20block_sort_algorithmE0EEENS0_14default_configENS1_37merge_sort_block_sort_config_selectorIbNS0_10empty_typeEEENS1_38merge_sort_block_merge_config_selectorIbSE_EEEEvv.kd
    .uniform_work_group_size: 1
    .uses_dynamic_stack: false
    .vgpr_count:     0
    .vgpr_spill_count: 0
    .wavefront_size: 32
  - .args:
      - .offset:         0
        .size:           40
        .value_kind:     by_value
    .group_segment_fixed_size: 0
    .kernarg_segment_align: 8
    .kernarg_segment_size: 40
    .language:       OpenCL C
    .language_version:
      - 2
      - 0
    .max_flat_workgroup_size: 128
    .name:           _ZN7rocprim17ROCPRIM_400000_NS6detail17trampoline_kernelINS0_14default_configENS1_38merge_sort_block_merge_config_selectorIbNS0_10empty_typeEEEZZNS1_27merge_sort_block_merge_implIS3_PbPS5_jNS1_19radix_merge_compareILb1ELb0EbNS0_19identity_decomposerEEEEE10hipError_tT0_T1_T2_jT3_P12ihipStream_tbPNSt15iterator_traitsISE_E10value_typeEPNSK_ISF_E10value_typeEPSG_NS1_7vsmem_tEENKUlT_SE_SF_SG_E_clIS8_S8_S9_S9_EESD_ST_SE_SF_SG_EUlST_E_NS1_11comp_targetILNS1_3genE0ELNS1_11target_archE4294967295ELNS1_3gpuE0ELNS1_3repE0EEENS1_48merge_mergepath_partition_config_static_selectorELNS0_4arch9wavefront6targetE0EEEvSF_
    .private_segment_fixed_size: 0
    .sgpr_count:     8
    .sgpr_spill_count: 0
    .symbol:         _ZN7rocprim17ROCPRIM_400000_NS6detail17trampoline_kernelINS0_14default_configENS1_38merge_sort_block_merge_config_selectorIbNS0_10empty_typeEEEZZNS1_27merge_sort_block_merge_implIS3_PbPS5_jNS1_19radix_merge_compareILb1ELb0EbNS0_19identity_decomposerEEEEE10hipError_tT0_T1_T2_jT3_P12ihipStream_tbPNSt15iterator_traitsISE_E10value_typeEPNSK_ISF_E10value_typeEPSG_NS1_7vsmem_tEENKUlT_SE_SF_SG_E_clIS8_S8_S9_S9_EESD_ST_SE_SF_SG_EUlST_E_NS1_11comp_targetILNS1_3genE0ELNS1_11target_archE4294967295ELNS1_3gpuE0ELNS1_3repE0EEENS1_48merge_mergepath_partition_config_static_selectorELNS0_4arch9wavefront6targetE0EEEvSF_.kd
    .uniform_work_group_size: 1
    .uses_dynamic_stack: false
    .vgpr_count:     17
    .vgpr_spill_count: 0
    .wavefront_size: 32
  - .args:
      - .offset:         0
        .size:           40
        .value_kind:     by_value
    .group_segment_fixed_size: 0
    .kernarg_segment_align: 8
    .kernarg_segment_size: 40
    .language:       OpenCL C
    .language_version:
      - 2
      - 0
    .max_flat_workgroup_size: 128
    .name:           _ZN7rocprim17ROCPRIM_400000_NS6detail17trampoline_kernelINS0_14default_configENS1_38merge_sort_block_merge_config_selectorIbNS0_10empty_typeEEEZZNS1_27merge_sort_block_merge_implIS3_PbPS5_jNS1_19radix_merge_compareILb1ELb0EbNS0_19identity_decomposerEEEEE10hipError_tT0_T1_T2_jT3_P12ihipStream_tbPNSt15iterator_traitsISE_E10value_typeEPNSK_ISF_E10value_typeEPSG_NS1_7vsmem_tEENKUlT_SE_SF_SG_E_clIS8_S8_S9_S9_EESD_ST_SE_SF_SG_EUlST_E_NS1_11comp_targetILNS1_3genE10ELNS1_11target_archE1201ELNS1_3gpuE5ELNS1_3repE0EEENS1_48merge_mergepath_partition_config_static_selectorELNS0_4arch9wavefront6targetE0EEEvSF_
    .private_segment_fixed_size: 0
    .sgpr_count:     0
    .sgpr_spill_count: 0
    .symbol:         _ZN7rocprim17ROCPRIM_400000_NS6detail17trampoline_kernelINS0_14default_configENS1_38merge_sort_block_merge_config_selectorIbNS0_10empty_typeEEEZZNS1_27merge_sort_block_merge_implIS3_PbPS5_jNS1_19radix_merge_compareILb1ELb0EbNS0_19identity_decomposerEEEEE10hipError_tT0_T1_T2_jT3_P12ihipStream_tbPNSt15iterator_traitsISE_E10value_typeEPNSK_ISF_E10value_typeEPSG_NS1_7vsmem_tEENKUlT_SE_SF_SG_E_clIS8_S8_S9_S9_EESD_ST_SE_SF_SG_EUlST_E_NS1_11comp_targetILNS1_3genE10ELNS1_11target_archE1201ELNS1_3gpuE5ELNS1_3repE0EEENS1_48merge_mergepath_partition_config_static_selectorELNS0_4arch9wavefront6targetE0EEEvSF_.kd
    .uniform_work_group_size: 1
    .uses_dynamic_stack: false
    .vgpr_count:     0
    .vgpr_spill_count: 0
    .wavefront_size: 32
  - .args:
      - .offset:         0
        .size:           40
        .value_kind:     by_value
    .group_segment_fixed_size: 0
    .kernarg_segment_align: 8
    .kernarg_segment_size: 40
    .language:       OpenCL C
    .language_version:
      - 2
      - 0
    .max_flat_workgroup_size: 128
    .name:           _ZN7rocprim17ROCPRIM_400000_NS6detail17trampoline_kernelINS0_14default_configENS1_38merge_sort_block_merge_config_selectorIbNS0_10empty_typeEEEZZNS1_27merge_sort_block_merge_implIS3_PbPS5_jNS1_19radix_merge_compareILb1ELb0EbNS0_19identity_decomposerEEEEE10hipError_tT0_T1_T2_jT3_P12ihipStream_tbPNSt15iterator_traitsISE_E10value_typeEPNSK_ISF_E10value_typeEPSG_NS1_7vsmem_tEENKUlT_SE_SF_SG_E_clIS8_S8_S9_S9_EESD_ST_SE_SF_SG_EUlST_E_NS1_11comp_targetILNS1_3genE5ELNS1_11target_archE942ELNS1_3gpuE9ELNS1_3repE0EEENS1_48merge_mergepath_partition_config_static_selectorELNS0_4arch9wavefront6targetE0EEEvSF_
    .private_segment_fixed_size: 0
    .sgpr_count:     0
    .sgpr_spill_count: 0
    .symbol:         _ZN7rocprim17ROCPRIM_400000_NS6detail17trampoline_kernelINS0_14default_configENS1_38merge_sort_block_merge_config_selectorIbNS0_10empty_typeEEEZZNS1_27merge_sort_block_merge_implIS3_PbPS5_jNS1_19radix_merge_compareILb1ELb0EbNS0_19identity_decomposerEEEEE10hipError_tT0_T1_T2_jT3_P12ihipStream_tbPNSt15iterator_traitsISE_E10value_typeEPNSK_ISF_E10value_typeEPSG_NS1_7vsmem_tEENKUlT_SE_SF_SG_E_clIS8_S8_S9_S9_EESD_ST_SE_SF_SG_EUlST_E_NS1_11comp_targetILNS1_3genE5ELNS1_11target_archE942ELNS1_3gpuE9ELNS1_3repE0EEENS1_48merge_mergepath_partition_config_static_selectorELNS0_4arch9wavefront6targetE0EEEvSF_.kd
    .uniform_work_group_size: 1
    .uses_dynamic_stack: false
    .vgpr_count:     0
    .vgpr_spill_count: 0
    .wavefront_size: 32
  - .args:
      - .offset:         0
        .size:           40
        .value_kind:     by_value
    .group_segment_fixed_size: 0
    .kernarg_segment_align: 8
    .kernarg_segment_size: 40
    .language:       OpenCL C
    .language_version:
      - 2
      - 0
    .max_flat_workgroup_size: 128
    .name:           _ZN7rocprim17ROCPRIM_400000_NS6detail17trampoline_kernelINS0_14default_configENS1_38merge_sort_block_merge_config_selectorIbNS0_10empty_typeEEEZZNS1_27merge_sort_block_merge_implIS3_PbPS5_jNS1_19radix_merge_compareILb1ELb0EbNS0_19identity_decomposerEEEEE10hipError_tT0_T1_T2_jT3_P12ihipStream_tbPNSt15iterator_traitsISE_E10value_typeEPNSK_ISF_E10value_typeEPSG_NS1_7vsmem_tEENKUlT_SE_SF_SG_E_clIS8_S8_S9_S9_EESD_ST_SE_SF_SG_EUlST_E_NS1_11comp_targetILNS1_3genE4ELNS1_11target_archE910ELNS1_3gpuE8ELNS1_3repE0EEENS1_48merge_mergepath_partition_config_static_selectorELNS0_4arch9wavefront6targetE0EEEvSF_
    .private_segment_fixed_size: 0
    .sgpr_count:     0
    .sgpr_spill_count: 0
    .symbol:         _ZN7rocprim17ROCPRIM_400000_NS6detail17trampoline_kernelINS0_14default_configENS1_38merge_sort_block_merge_config_selectorIbNS0_10empty_typeEEEZZNS1_27merge_sort_block_merge_implIS3_PbPS5_jNS1_19radix_merge_compareILb1ELb0EbNS0_19identity_decomposerEEEEE10hipError_tT0_T1_T2_jT3_P12ihipStream_tbPNSt15iterator_traitsISE_E10value_typeEPNSK_ISF_E10value_typeEPSG_NS1_7vsmem_tEENKUlT_SE_SF_SG_E_clIS8_S8_S9_S9_EESD_ST_SE_SF_SG_EUlST_E_NS1_11comp_targetILNS1_3genE4ELNS1_11target_archE910ELNS1_3gpuE8ELNS1_3repE0EEENS1_48merge_mergepath_partition_config_static_selectorELNS0_4arch9wavefront6targetE0EEEvSF_.kd
    .uniform_work_group_size: 1
    .uses_dynamic_stack: false
    .vgpr_count:     0
    .vgpr_spill_count: 0
    .wavefront_size: 32
  - .args:
      - .offset:         0
        .size:           40
        .value_kind:     by_value
    .group_segment_fixed_size: 0
    .kernarg_segment_align: 8
    .kernarg_segment_size: 40
    .language:       OpenCL C
    .language_version:
      - 2
      - 0
    .max_flat_workgroup_size: 128
    .name:           _ZN7rocprim17ROCPRIM_400000_NS6detail17trampoline_kernelINS0_14default_configENS1_38merge_sort_block_merge_config_selectorIbNS0_10empty_typeEEEZZNS1_27merge_sort_block_merge_implIS3_PbPS5_jNS1_19radix_merge_compareILb1ELb0EbNS0_19identity_decomposerEEEEE10hipError_tT0_T1_T2_jT3_P12ihipStream_tbPNSt15iterator_traitsISE_E10value_typeEPNSK_ISF_E10value_typeEPSG_NS1_7vsmem_tEENKUlT_SE_SF_SG_E_clIS8_S8_S9_S9_EESD_ST_SE_SF_SG_EUlST_E_NS1_11comp_targetILNS1_3genE3ELNS1_11target_archE908ELNS1_3gpuE7ELNS1_3repE0EEENS1_48merge_mergepath_partition_config_static_selectorELNS0_4arch9wavefront6targetE0EEEvSF_
    .private_segment_fixed_size: 0
    .sgpr_count:     0
    .sgpr_spill_count: 0
    .symbol:         _ZN7rocprim17ROCPRIM_400000_NS6detail17trampoline_kernelINS0_14default_configENS1_38merge_sort_block_merge_config_selectorIbNS0_10empty_typeEEEZZNS1_27merge_sort_block_merge_implIS3_PbPS5_jNS1_19radix_merge_compareILb1ELb0EbNS0_19identity_decomposerEEEEE10hipError_tT0_T1_T2_jT3_P12ihipStream_tbPNSt15iterator_traitsISE_E10value_typeEPNSK_ISF_E10value_typeEPSG_NS1_7vsmem_tEENKUlT_SE_SF_SG_E_clIS8_S8_S9_S9_EESD_ST_SE_SF_SG_EUlST_E_NS1_11comp_targetILNS1_3genE3ELNS1_11target_archE908ELNS1_3gpuE7ELNS1_3repE0EEENS1_48merge_mergepath_partition_config_static_selectorELNS0_4arch9wavefront6targetE0EEEvSF_.kd
    .uniform_work_group_size: 1
    .uses_dynamic_stack: false
    .vgpr_count:     0
    .vgpr_spill_count: 0
    .wavefront_size: 32
  - .args:
      - .offset:         0
        .size:           40
        .value_kind:     by_value
    .group_segment_fixed_size: 0
    .kernarg_segment_align: 8
    .kernarg_segment_size: 40
    .language:       OpenCL C
    .language_version:
      - 2
      - 0
    .max_flat_workgroup_size: 128
    .name:           _ZN7rocprim17ROCPRIM_400000_NS6detail17trampoline_kernelINS0_14default_configENS1_38merge_sort_block_merge_config_selectorIbNS0_10empty_typeEEEZZNS1_27merge_sort_block_merge_implIS3_PbPS5_jNS1_19radix_merge_compareILb1ELb0EbNS0_19identity_decomposerEEEEE10hipError_tT0_T1_T2_jT3_P12ihipStream_tbPNSt15iterator_traitsISE_E10value_typeEPNSK_ISF_E10value_typeEPSG_NS1_7vsmem_tEENKUlT_SE_SF_SG_E_clIS8_S8_S9_S9_EESD_ST_SE_SF_SG_EUlST_E_NS1_11comp_targetILNS1_3genE2ELNS1_11target_archE906ELNS1_3gpuE6ELNS1_3repE0EEENS1_48merge_mergepath_partition_config_static_selectorELNS0_4arch9wavefront6targetE0EEEvSF_
    .private_segment_fixed_size: 0
    .sgpr_count:     0
    .sgpr_spill_count: 0
    .symbol:         _ZN7rocprim17ROCPRIM_400000_NS6detail17trampoline_kernelINS0_14default_configENS1_38merge_sort_block_merge_config_selectorIbNS0_10empty_typeEEEZZNS1_27merge_sort_block_merge_implIS3_PbPS5_jNS1_19radix_merge_compareILb1ELb0EbNS0_19identity_decomposerEEEEE10hipError_tT0_T1_T2_jT3_P12ihipStream_tbPNSt15iterator_traitsISE_E10value_typeEPNSK_ISF_E10value_typeEPSG_NS1_7vsmem_tEENKUlT_SE_SF_SG_E_clIS8_S8_S9_S9_EESD_ST_SE_SF_SG_EUlST_E_NS1_11comp_targetILNS1_3genE2ELNS1_11target_archE906ELNS1_3gpuE6ELNS1_3repE0EEENS1_48merge_mergepath_partition_config_static_selectorELNS0_4arch9wavefront6targetE0EEEvSF_.kd
    .uniform_work_group_size: 1
    .uses_dynamic_stack: false
    .vgpr_count:     0
    .vgpr_spill_count: 0
    .wavefront_size: 32
  - .args:
      - .offset:         0
        .size:           40
        .value_kind:     by_value
    .group_segment_fixed_size: 0
    .kernarg_segment_align: 8
    .kernarg_segment_size: 40
    .language:       OpenCL C
    .language_version:
      - 2
      - 0
    .max_flat_workgroup_size: 128
    .name:           _ZN7rocprim17ROCPRIM_400000_NS6detail17trampoline_kernelINS0_14default_configENS1_38merge_sort_block_merge_config_selectorIbNS0_10empty_typeEEEZZNS1_27merge_sort_block_merge_implIS3_PbPS5_jNS1_19radix_merge_compareILb1ELb0EbNS0_19identity_decomposerEEEEE10hipError_tT0_T1_T2_jT3_P12ihipStream_tbPNSt15iterator_traitsISE_E10value_typeEPNSK_ISF_E10value_typeEPSG_NS1_7vsmem_tEENKUlT_SE_SF_SG_E_clIS8_S8_S9_S9_EESD_ST_SE_SF_SG_EUlST_E_NS1_11comp_targetILNS1_3genE9ELNS1_11target_archE1100ELNS1_3gpuE3ELNS1_3repE0EEENS1_48merge_mergepath_partition_config_static_selectorELNS0_4arch9wavefront6targetE0EEEvSF_
    .private_segment_fixed_size: 0
    .sgpr_count:     0
    .sgpr_spill_count: 0
    .symbol:         _ZN7rocprim17ROCPRIM_400000_NS6detail17trampoline_kernelINS0_14default_configENS1_38merge_sort_block_merge_config_selectorIbNS0_10empty_typeEEEZZNS1_27merge_sort_block_merge_implIS3_PbPS5_jNS1_19radix_merge_compareILb1ELb0EbNS0_19identity_decomposerEEEEE10hipError_tT0_T1_T2_jT3_P12ihipStream_tbPNSt15iterator_traitsISE_E10value_typeEPNSK_ISF_E10value_typeEPSG_NS1_7vsmem_tEENKUlT_SE_SF_SG_E_clIS8_S8_S9_S9_EESD_ST_SE_SF_SG_EUlST_E_NS1_11comp_targetILNS1_3genE9ELNS1_11target_archE1100ELNS1_3gpuE3ELNS1_3repE0EEENS1_48merge_mergepath_partition_config_static_selectorELNS0_4arch9wavefront6targetE0EEEvSF_.kd
    .uniform_work_group_size: 1
    .uses_dynamic_stack: false
    .vgpr_count:     0
    .vgpr_spill_count: 0
    .wavefront_size: 32
  - .args:
      - .offset:         0
        .size:           40
        .value_kind:     by_value
    .group_segment_fixed_size: 0
    .kernarg_segment_align: 8
    .kernarg_segment_size: 40
    .language:       OpenCL C
    .language_version:
      - 2
      - 0
    .max_flat_workgroup_size: 128
    .name:           _ZN7rocprim17ROCPRIM_400000_NS6detail17trampoline_kernelINS0_14default_configENS1_38merge_sort_block_merge_config_selectorIbNS0_10empty_typeEEEZZNS1_27merge_sort_block_merge_implIS3_PbPS5_jNS1_19radix_merge_compareILb1ELb0EbNS0_19identity_decomposerEEEEE10hipError_tT0_T1_T2_jT3_P12ihipStream_tbPNSt15iterator_traitsISE_E10value_typeEPNSK_ISF_E10value_typeEPSG_NS1_7vsmem_tEENKUlT_SE_SF_SG_E_clIS8_S8_S9_S9_EESD_ST_SE_SF_SG_EUlST_E_NS1_11comp_targetILNS1_3genE8ELNS1_11target_archE1030ELNS1_3gpuE2ELNS1_3repE0EEENS1_48merge_mergepath_partition_config_static_selectorELNS0_4arch9wavefront6targetE0EEEvSF_
    .private_segment_fixed_size: 0
    .sgpr_count:     0
    .sgpr_spill_count: 0
    .symbol:         _ZN7rocprim17ROCPRIM_400000_NS6detail17trampoline_kernelINS0_14default_configENS1_38merge_sort_block_merge_config_selectorIbNS0_10empty_typeEEEZZNS1_27merge_sort_block_merge_implIS3_PbPS5_jNS1_19radix_merge_compareILb1ELb0EbNS0_19identity_decomposerEEEEE10hipError_tT0_T1_T2_jT3_P12ihipStream_tbPNSt15iterator_traitsISE_E10value_typeEPNSK_ISF_E10value_typeEPSG_NS1_7vsmem_tEENKUlT_SE_SF_SG_E_clIS8_S8_S9_S9_EESD_ST_SE_SF_SG_EUlST_E_NS1_11comp_targetILNS1_3genE8ELNS1_11target_archE1030ELNS1_3gpuE2ELNS1_3repE0EEENS1_48merge_mergepath_partition_config_static_selectorELNS0_4arch9wavefront6targetE0EEEvSF_.kd
    .uniform_work_group_size: 1
    .uses_dynamic_stack: false
    .vgpr_count:     0
    .vgpr_spill_count: 0
    .wavefront_size: 32
  - .args:
      - .offset:         0
        .size:           64
        .value_kind:     by_value
      - .offset:         64
        .size:           4
        .value_kind:     hidden_block_count_x
      - .offset:         68
        .size:           4
        .value_kind:     hidden_block_count_y
      - .offset:         72
        .size:           4
        .value_kind:     hidden_block_count_z
      - .offset:         76
        .size:           2
        .value_kind:     hidden_group_size_x
      - .offset:         78
        .size:           2
        .value_kind:     hidden_group_size_y
      - .offset:         80
        .size:           2
        .value_kind:     hidden_group_size_z
      - .offset:         82
        .size:           2
        .value_kind:     hidden_remainder_x
      - .offset:         84
        .size:           2
        .value_kind:     hidden_remainder_y
      - .offset:         86
        .size:           2
        .value_kind:     hidden_remainder_z
      - .offset:         104
        .size:           8
        .value_kind:     hidden_global_offset_x
      - .offset:         112
        .size:           8
        .value_kind:     hidden_global_offset_y
      - .offset:         120
        .size:           8
        .value_kind:     hidden_global_offset_z
      - .offset:         128
        .size:           2
        .value_kind:     hidden_grid_dims
    .group_segment_fixed_size: 1056
    .kernarg_segment_align: 8
    .kernarg_segment_size: 320
    .language:       OpenCL C
    .language_version:
      - 2
      - 0
    .max_flat_workgroup_size: 128
    .name:           _ZN7rocprim17ROCPRIM_400000_NS6detail17trampoline_kernelINS0_14default_configENS1_38merge_sort_block_merge_config_selectorIbNS0_10empty_typeEEEZZNS1_27merge_sort_block_merge_implIS3_PbPS5_jNS1_19radix_merge_compareILb1ELb0EbNS0_19identity_decomposerEEEEE10hipError_tT0_T1_T2_jT3_P12ihipStream_tbPNSt15iterator_traitsISE_E10value_typeEPNSK_ISF_E10value_typeEPSG_NS1_7vsmem_tEENKUlT_SE_SF_SG_E_clIS8_S8_S9_S9_EESD_ST_SE_SF_SG_EUlST_E0_NS1_11comp_targetILNS1_3genE0ELNS1_11target_archE4294967295ELNS1_3gpuE0ELNS1_3repE0EEENS1_38merge_mergepath_config_static_selectorELNS0_4arch9wavefront6targetE0EEEvSF_
    .private_segment_fixed_size: 0
    .sgpr_count:     24
    .sgpr_spill_count: 0
    .symbol:         _ZN7rocprim17ROCPRIM_400000_NS6detail17trampoline_kernelINS0_14default_configENS1_38merge_sort_block_merge_config_selectorIbNS0_10empty_typeEEEZZNS1_27merge_sort_block_merge_implIS3_PbPS5_jNS1_19radix_merge_compareILb1ELb0EbNS0_19identity_decomposerEEEEE10hipError_tT0_T1_T2_jT3_P12ihipStream_tbPNSt15iterator_traitsISE_E10value_typeEPNSK_ISF_E10value_typeEPSG_NS1_7vsmem_tEENKUlT_SE_SF_SG_E_clIS8_S8_S9_S9_EESD_ST_SE_SF_SG_EUlST_E0_NS1_11comp_targetILNS1_3genE0ELNS1_11target_archE4294967295ELNS1_3gpuE0ELNS1_3repE0EEENS1_38merge_mergepath_config_static_selectorELNS0_4arch9wavefront6targetE0EEEvSF_.kd
    .uniform_work_group_size: 1
    .uses_dynamic_stack: false
    .vgpr_count:     25
    .vgpr_spill_count: 0
    .wavefront_size: 32
  - .args:
      - .offset:         0
        .size:           64
        .value_kind:     by_value
    .group_segment_fixed_size: 0
    .kernarg_segment_align: 8
    .kernarg_segment_size: 64
    .language:       OpenCL C
    .language_version:
      - 2
      - 0
    .max_flat_workgroup_size: 128
    .name:           _ZN7rocprim17ROCPRIM_400000_NS6detail17trampoline_kernelINS0_14default_configENS1_38merge_sort_block_merge_config_selectorIbNS0_10empty_typeEEEZZNS1_27merge_sort_block_merge_implIS3_PbPS5_jNS1_19radix_merge_compareILb1ELb0EbNS0_19identity_decomposerEEEEE10hipError_tT0_T1_T2_jT3_P12ihipStream_tbPNSt15iterator_traitsISE_E10value_typeEPNSK_ISF_E10value_typeEPSG_NS1_7vsmem_tEENKUlT_SE_SF_SG_E_clIS8_S8_S9_S9_EESD_ST_SE_SF_SG_EUlST_E0_NS1_11comp_targetILNS1_3genE10ELNS1_11target_archE1201ELNS1_3gpuE5ELNS1_3repE0EEENS1_38merge_mergepath_config_static_selectorELNS0_4arch9wavefront6targetE0EEEvSF_
    .private_segment_fixed_size: 0
    .sgpr_count:     0
    .sgpr_spill_count: 0
    .symbol:         _ZN7rocprim17ROCPRIM_400000_NS6detail17trampoline_kernelINS0_14default_configENS1_38merge_sort_block_merge_config_selectorIbNS0_10empty_typeEEEZZNS1_27merge_sort_block_merge_implIS3_PbPS5_jNS1_19radix_merge_compareILb1ELb0EbNS0_19identity_decomposerEEEEE10hipError_tT0_T1_T2_jT3_P12ihipStream_tbPNSt15iterator_traitsISE_E10value_typeEPNSK_ISF_E10value_typeEPSG_NS1_7vsmem_tEENKUlT_SE_SF_SG_E_clIS8_S8_S9_S9_EESD_ST_SE_SF_SG_EUlST_E0_NS1_11comp_targetILNS1_3genE10ELNS1_11target_archE1201ELNS1_3gpuE5ELNS1_3repE0EEENS1_38merge_mergepath_config_static_selectorELNS0_4arch9wavefront6targetE0EEEvSF_.kd
    .uniform_work_group_size: 1
    .uses_dynamic_stack: false
    .vgpr_count:     0
    .vgpr_spill_count: 0
    .wavefront_size: 32
  - .args:
      - .offset:         0
        .size:           64
        .value_kind:     by_value
    .group_segment_fixed_size: 0
    .kernarg_segment_align: 8
    .kernarg_segment_size: 64
    .language:       OpenCL C
    .language_version:
      - 2
      - 0
    .max_flat_workgroup_size: 128
    .name:           _ZN7rocprim17ROCPRIM_400000_NS6detail17trampoline_kernelINS0_14default_configENS1_38merge_sort_block_merge_config_selectorIbNS0_10empty_typeEEEZZNS1_27merge_sort_block_merge_implIS3_PbPS5_jNS1_19radix_merge_compareILb1ELb0EbNS0_19identity_decomposerEEEEE10hipError_tT0_T1_T2_jT3_P12ihipStream_tbPNSt15iterator_traitsISE_E10value_typeEPNSK_ISF_E10value_typeEPSG_NS1_7vsmem_tEENKUlT_SE_SF_SG_E_clIS8_S8_S9_S9_EESD_ST_SE_SF_SG_EUlST_E0_NS1_11comp_targetILNS1_3genE5ELNS1_11target_archE942ELNS1_3gpuE9ELNS1_3repE0EEENS1_38merge_mergepath_config_static_selectorELNS0_4arch9wavefront6targetE0EEEvSF_
    .private_segment_fixed_size: 0
    .sgpr_count:     0
    .sgpr_spill_count: 0
    .symbol:         _ZN7rocprim17ROCPRIM_400000_NS6detail17trampoline_kernelINS0_14default_configENS1_38merge_sort_block_merge_config_selectorIbNS0_10empty_typeEEEZZNS1_27merge_sort_block_merge_implIS3_PbPS5_jNS1_19radix_merge_compareILb1ELb0EbNS0_19identity_decomposerEEEEE10hipError_tT0_T1_T2_jT3_P12ihipStream_tbPNSt15iterator_traitsISE_E10value_typeEPNSK_ISF_E10value_typeEPSG_NS1_7vsmem_tEENKUlT_SE_SF_SG_E_clIS8_S8_S9_S9_EESD_ST_SE_SF_SG_EUlST_E0_NS1_11comp_targetILNS1_3genE5ELNS1_11target_archE942ELNS1_3gpuE9ELNS1_3repE0EEENS1_38merge_mergepath_config_static_selectorELNS0_4arch9wavefront6targetE0EEEvSF_.kd
    .uniform_work_group_size: 1
    .uses_dynamic_stack: false
    .vgpr_count:     0
    .vgpr_spill_count: 0
    .wavefront_size: 32
  - .args:
      - .offset:         0
        .size:           64
        .value_kind:     by_value
    .group_segment_fixed_size: 0
    .kernarg_segment_align: 8
    .kernarg_segment_size: 64
    .language:       OpenCL C
    .language_version:
      - 2
      - 0
    .max_flat_workgroup_size: 128
    .name:           _ZN7rocprim17ROCPRIM_400000_NS6detail17trampoline_kernelINS0_14default_configENS1_38merge_sort_block_merge_config_selectorIbNS0_10empty_typeEEEZZNS1_27merge_sort_block_merge_implIS3_PbPS5_jNS1_19radix_merge_compareILb1ELb0EbNS0_19identity_decomposerEEEEE10hipError_tT0_T1_T2_jT3_P12ihipStream_tbPNSt15iterator_traitsISE_E10value_typeEPNSK_ISF_E10value_typeEPSG_NS1_7vsmem_tEENKUlT_SE_SF_SG_E_clIS8_S8_S9_S9_EESD_ST_SE_SF_SG_EUlST_E0_NS1_11comp_targetILNS1_3genE4ELNS1_11target_archE910ELNS1_3gpuE8ELNS1_3repE0EEENS1_38merge_mergepath_config_static_selectorELNS0_4arch9wavefront6targetE0EEEvSF_
    .private_segment_fixed_size: 0
    .sgpr_count:     0
    .sgpr_spill_count: 0
    .symbol:         _ZN7rocprim17ROCPRIM_400000_NS6detail17trampoline_kernelINS0_14default_configENS1_38merge_sort_block_merge_config_selectorIbNS0_10empty_typeEEEZZNS1_27merge_sort_block_merge_implIS3_PbPS5_jNS1_19radix_merge_compareILb1ELb0EbNS0_19identity_decomposerEEEEE10hipError_tT0_T1_T2_jT3_P12ihipStream_tbPNSt15iterator_traitsISE_E10value_typeEPNSK_ISF_E10value_typeEPSG_NS1_7vsmem_tEENKUlT_SE_SF_SG_E_clIS8_S8_S9_S9_EESD_ST_SE_SF_SG_EUlST_E0_NS1_11comp_targetILNS1_3genE4ELNS1_11target_archE910ELNS1_3gpuE8ELNS1_3repE0EEENS1_38merge_mergepath_config_static_selectorELNS0_4arch9wavefront6targetE0EEEvSF_.kd
    .uniform_work_group_size: 1
    .uses_dynamic_stack: false
    .vgpr_count:     0
    .vgpr_spill_count: 0
    .wavefront_size: 32
  - .args:
      - .offset:         0
        .size:           64
        .value_kind:     by_value
    .group_segment_fixed_size: 0
    .kernarg_segment_align: 8
    .kernarg_segment_size: 64
    .language:       OpenCL C
    .language_version:
      - 2
      - 0
    .max_flat_workgroup_size: 128
    .name:           _ZN7rocprim17ROCPRIM_400000_NS6detail17trampoline_kernelINS0_14default_configENS1_38merge_sort_block_merge_config_selectorIbNS0_10empty_typeEEEZZNS1_27merge_sort_block_merge_implIS3_PbPS5_jNS1_19radix_merge_compareILb1ELb0EbNS0_19identity_decomposerEEEEE10hipError_tT0_T1_T2_jT3_P12ihipStream_tbPNSt15iterator_traitsISE_E10value_typeEPNSK_ISF_E10value_typeEPSG_NS1_7vsmem_tEENKUlT_SE_SF_SG_E_clIS8_S8_S9_S9_EESD_ST_SE_SF_SG_EUlST_E0_NS1_11comp_targetILNS1_3genE3ELNS1_11target_archE908ELNS1_3gpuE7ELNS1_3repE0EEENS1_38merge_mergepath_config_static_selectorELNS0_4arch9wavefront6targetE0EEEvSF_
    .private_segment_fixed_size: 0
    .sgpr_count:     0
    .sgpr_spill_count: 0
    .symbol:         _ZN7rocprim17ROCPRIM_400000_NS6detail17trampoline_kernelINS0_14default_configENS1_38merge_sort_block_merge_config_selectorIbNS0_10empty_typeEEEZZNS1_27merge_sort_block_merge_implIS3_PbPS5_jNS1_19radix_merge_compareILb1ELb0EbNS0_19identity_decomposerEEEEE10hipError_tT0_T1_T2_jT3_P12ihipStream_tbPNSt15iterator_traitsISE_E10value_typeEPNSK_ISF_E10value_typeEPSG_NS1_7vsmem_tEENKUlT_SE_SF_SG_E_clIS8_S8_S9_S9_EESD_ST_SE_SF_SG_EUlST_E0_NS1_11comp_targetILNS1_3genE3ELNS1_11target_archE908ELNS1_3gpuE7ELNS1_3repE0EEENS1_38merge_mergepath_config_static_selectorELNS0_4arch9wavefront6targetE0EEEvSF_.kd
    .uniform_work_group_size: 1
    .uses_dynamic_stack: false
    .vgpr_count:     0
    .vgpr_spill_count: 0
    .wavefront_size: 32
  - .args:
      - .offset:         0
        .size:           64
        .value_kind:     by_value
    .group_segment_fixed_size: 0
    .kernarg_segment_align: 8
    .kernarg_segment_size: 64
    .language:       OpenCL C
    .language_version:
      - 2
      - 0
    .max_flat_workgroup_size: 128
    .name:           _ZN7rocprim17ROCPRIM_400000_NS6detail17trampoline_kernelINS0_14default_configENS1_38merge_sort_block_merge_config_selectorIbNS0_10empty_typeEEEZZNS1_27merge_sort_block_merge_implIS3_PbPS5_jNS1_19radix_merge_compareILb1ELb0EbNS0_19identity_decomposerEEEEE10hipError_tT0_T1_T2_jT3_P12ihipStream_tbPNSt15iterator_traitsISE_E10value_typeEPNSK_ISF_E10value_typeEPSG_NS1_7vsmem_tEENKUlT_SE_SF_SG_E_clIS8_S8_S9_S9_EESD_ST_SE_SF_SG_EUlST_E0_NS1_11comp_targetILNS1_3genE2ELNS1_11target_archE906ELNS1_3gpuE6ELNS1_3repE0EEENS1_38merge_mergepath_config_static_selectorELNS0_4arch9wavefront6targetE0EEEvSF_
    .private_segment_fixed_size: 0
    .sgpr_count:     0
    .sgpr_spill_count: 0
    .symbol:         _ZN7rocprim17ROCPRIM_400000_NS6detail17trampoline_kernelINS0_14default_configENS1_38merge_sort_block_merge_config_selectorIbNS0_10empty_typeEEEZZNS1_27merge_sort_block_merge_implIS3_PbPS5_jNS1_19radix_merge_compareILb1ELb0EbNS0_19identity_decomposerEEEEE10hipError_tT0_T1_T2_jT3_P12ihipStream_tbPNSt15iterator_traitsISE_E10value_typeEPNSK_ISF_E10value_typeEPSG_NS1_7vsmem_tEENKUlT_SE_SF_SG_E_clIS8_S8_S9_S9_EESD_ST_SE_SF_SG_EUlST_E0_NS1_11comp_targetILNS1_3genE2ELNS1_11target_archE906ELNS1_3gpuE6ELNS1_3repE0EEENS1_38merge_mergepath_config_static_selectorELNS0_4arch9wavefront6targetE0EEEvSF_.kd
    .uniform_work_group_size: 1
    .uses_dynamic_stack: false
    .vgpr_count:     0
    .vgpr_spill_count: 0
    .wavefront_size: 32
  - .args:
      - .offset:         0
        .size:           64
        .value_kind:     by_value
    .group_segment_fixed_size: 0
    .kernarg_segment_align: 8
    .kernarg_segment_size: 64
    .language:       OpenCL C
    .language_version:
      - 2
      - 0
    .max_flat_workgroup_size: 128
    .name:           _ZN7rocprim17ROCPRIM_400000_NS6detail17trampoline_kernelINS0_14default_configENS1_38merge_sort_block_merge_config_selectorIbNS0_10empty_typeEEEZZNS1_27merge_sort_block_merge_implIS3_PbPS5_jNS1_19radix_merge_compareILb1ELb0EbNS0_19identity_decomposerEEEEE10hipError_tT0_T1_T2_jT3_P12ihipStream_tbPNSt15iterator_traitsISE_E10value_typeEPNSK_ISF_E10value_typeEPSG_NS1_7vsmem_tEENKUlT_SE_SF_SG_E_clIS8_S8_S9_S9_EESD_ST_SE_SF_SG_EUlST_E0_NS1_11comp_targetILNS1_3genE9ELNS1_11target_archE1100ELNS1_3gpuE3ELNS1_3repE0EEENS1_38merge_mergepath_config_static_selectorELNS0_4arch9wavefront6targetE0EEEvSF_
    .private_segment_fixed_size: 0
    .sgpr_count:     0
    .sgpr_spill_count: 0
    .symbol:         _ZN7rocprim17ROCPRIM_400000_NS6detail17trampoline_kernelINS0_14default_configENS1_38merge_sort_block_merge_config_selectorIbNS0_10empty_typeEEEZZNS1_27merge_sort_block_merge_implIS3_PbPS5_jNS1_19radix_merge_compareILb1ELb0EbNS0_19identity_decomposerEEEEE10hipError_tT0_T1_T2_jT3_P12ihipStream_tbPNSt15iterator_traitsISE_E10value_typeEPNSK_ISF_E10value_typeEPSG_NS1_7vsmem_tEENKUlT_SE_SF_SG_E_clIS8_S8_S9_S9_EESD_ST_SE_SF_SG_EUlST_E0_NS1_11comp_targetILNS1_3genE9ELNS1_11target_archE1100ELNS1_3gpuE3ELNS1_3repE0EEENS1_38merge_mergepath_config_static_selectorELNS0_4arch9wavefront6targetE0EEEvSF_.kd
    .uniform_work_group_size: 1
    .uses_dynamic_stack: false
    .vgpr_count:     0
    .vgpr_spill_count: 0
    .wavefront_size: 32
  - .args:
      - .offset:         0
        .size:           64
        .value_kind:     by_value
    .group_segment_fixed_size: 0
    .kernarg_segment_align: 8
    .kernarg_segment_size: 64
    .language:       OpenCL C
    .language_version:
      - 2
      - 0
    .max_flat_workgroup_size: 128
    .name:           _ZN7rocprim17ROCPRIM_400000_NS6detail17trampoline_kernelINS0_14default_configENS1_38merge_sort_block_merge_config_selectorIbNS0_10empty_typeEEEZZNS1_27merge_sort_block_merge_implIS3_PbPS5_jNS1_19radix_merge_compareILb1ELb0EbNS0_19identity_decomposerEEEEE10hipError_tT0_T1_T2_jT3_P12ihipStream_tbPNSt15iterator_traitsISE_E10value_typeEPNSK_ISF_E10value_typeEPSG_NS1_7vsmem_tEENKUlT_SE_SF_SG_E_clIS8_S8_S9_S9_EESD_ST_SE_SF_SG_EUlST_E0_NS1_11comp_targetILNS1_3genE8ELNS1_11target_archE1030ELNS1_3gpuE2ELNS1_3repE0EEENS1_38merge_mergepath_config_static_selectorELNS0_4arch9wavefront6targetE0EEEvSF_
    .private_segment_fixed_size: 0
    .sgpr_count:     0
    .sgpr_spill_count: 0
    .symbol:         _ZN7rocprim17ROCPRIM_400000_NS6detail17trampoline_kernelINS0_14default_configENS1_38merge_sort_block_merge_config_selectorIbNS0_10empty_typeEEEZZNS1_27merge_sort_block_merge_implIS3_PbPS5_jNS1_19radix_merge_compareILb1ELb0EbNS0_19identity_decomposerEEEEE10hipError_tT0_T1_T2_jT3_P12ihipStream_tbPNSt15iterator_traitsISE_E10value_typeEPNSK_ISF_E10value_typeEPSG_NS1_7vsmem_tEENKUlT_SE_SF_SG_E_clIS8_S8_S9_S9_EESD_ST_SE_SF_SG_EUlST_E0_NS1_11comp_targetILNS1_3genE8ELNS1_11target_archE1030ELNS1_3gpuE2ELNS1_3repE0EEENS1_38merge_mergepath_config_static_selectorELNS0_4arch9wavefront6targetE0EEEvSF_.kd
    .uniform_work_group_size: 1
    .uses_dynamic_stack: false
    .vgpr_count:     0
    .vgpr_spill_count: 0
    .wavefront_size: 32
  - .args:
      - .offset:         0
        .size:           48
        .value_kind:     by_value
    .group_segment_fixed_size: 0
    .kernarg_segment_align: 8
    .kernarg_segment_size: 48
    .language:       OpenCL C
    .language_version:
      - 2
      - 0
    .max_flat_workgroup_size: 256
    .name:           _ZN7rocprim17ROCPRIM_400000_NS6detail17trampoline_kernelINS0_14default_configENS1_38merge_sort_block_merge_config_selectorIbNS0_10empty_typeEEEZZNS1_27merge_sort_block_merge_implIS3_PbPS5_jNS1_19radix_merge_compareILb1ELb0EbNS0_19identity_decomposerEEEEE10hipError_tT0_T1_T2_jT3_P12ihipStream_tbPNSt15iterator_traitsISE_E10value_typeEPNSK_ISF_E10value_typeEPSG_NS1_7vsmem_tEENKUlT_SE_SF_SG_E_clIS8_S8_S9_S9_EESD_ST_SE_SF_SG_EUlST_E1_NS1_11comp_targetILNS1_3genE0ELNS1_11target_archE4294967295ELNS1_3gpuE0ELNS1_3repE0EEENS1_36merge_oddeven_config_static_selectorELNS0_4arch9wavefront6targetE0EEEvSF_
    .private_segment_fixed_size: 0
    .sgpr_count:     17
    .sgpr_spill_count: 0
    .symbol:         _ZN7rocprim17ROCPRIM_400000_NS6detail17trampoline_kernelINS0_14default_configENS1_38merge_sort_block_merge_config_selectorIbNS0_10empty_typeEEEZZNS1_27merge_sort_block_merge_implIS3_PbPS5_jNS1_19radix_merge_compareILb1ELb0EbNS0_19identity_decomposerEEEEE10hipError_tT0_T1_T2_jT3_P12ihipStream_tbPNSt15iterator_traitsISE_E10value_typeEPNSK_ISF_E10value_typeEPSG_NS1_7vsmem_tEENKUlT_SE_SF_SG_E_clIS8_S8_S9_S9_EESD_ST_SE_SF_SG_EUlST_E1_NS1_11comp_targetILNS1_3genE0ELNS1_11target_archE4294967295ELNS1_3gpuE0ELNS1_3repE0EEENS1_36merge_oddeven_config_static_selectorELNS0_4arch9wavefront6targetE0EEEvSF_.kd
    .uniform_work_group_size: 1
    .uses_dynamic_stack: false
    .vgpr_count:     8
    .vgpr_spill_count: 0
    .wavefront_size: 32
  - .args:
      - .offset:         0
        .size:           48
        .value_kind:     by_value
    .group_segment_fixed_size: 0
    .kernarg_segment_align: 8
    .kernarg_segment_size: 48
    .language:       OpenCL C
    .language_version:
      - 2
      - 0
    .max_flat_workgroup_size: 256
    .name:           _ZN7rocprim17ROCPRIM_400000_NS6detail17trampoline_kernelINS0_14default_configENS1_38merge_sort_block_merge_config_selectorIbNS0_10empty_typeEEEZZNS1_27merge_sort_block_merge_implIS3_PbPS5_jNS1_19radix_merge_compareILb1ELb0EbNS0_19identity_decomposerEEEEE10hipError_tT0_T1_T2_jT3_P12ihipStream_tbPNSt15iterator_traitsISE_E10value_typeEPNSK_ISF_E10value_typeEPSG_NS1_7vsmem_tEENKUlT_SE_SF_SG_E_clIS8_S8_S9_S9_EESD_ST_SE_SF_SG_EUlST_E1_NS1_11comp_targetILNS1_3genE10ELNS1_11target_archE1201ELNS1_3gpuE5ELNS1_3repE0EEENS1_36merge_oddeven_config_static_selectorELNS0_4arch9wavefront6targetE0EEEvSF_
    .private_segment_fixed_size: 0
    .sgpr_count:     0
    .sgpr_spill_count: 0
    .symbol:         _ZN7rocprim17ROCPRIM_400000_NS6detail17trampoline_kernelINS0_14default_configENS1_38merge_sort_block_merge_config_selectorIbNS0_10empty_typeEEEZZNS1_27merge_sort_block_merge_implIS3_PbPS5_jNS1_19radix_merge_compareILb1ELb0EbNS0_19identity_decomposerEEEEE10hipError_tT0_T1_T2_jT3_P12ihipStream_tbPNSt15iterator_traitsISE_E10value_typeEPNSK_ISF_E10value_typeEPSG_NS1_7vsmem_tEENKUlT_SE_SF_SG_E_clIS8_S8_S9_S9_EESD_ST_SE_SF_SG_EUlST_E1_NS1_11comp_targetILNS1_3genE10ELNS1_11target_archE1201ELNS1_3gpuE5ELNS1_3repE0EEENS1_36merge_oddeven_config_static_selectorELNS0_4arch9wavefront6targetE0EEEvSF_.kd
    .uniform_work_group_size: 1
    .uses_dynamic_stack: false
    .vgpr_count:     0
    .vgpr_spill_count: 0
    .wavefront_size: 32
  - .args:
      - .offset:         0
        .size:           48
        .value_kind:     by_value
    .group_segment_fixed_size: 0
    .kernarg_segment_align: 8
    .kernarg_segment_size: 48
    .language:       OpenCL C
    .language_version:
      - 2
      - 0
    .max_flat_workgroup_size: 256
    .name:           _ZN7rocprim17ROCPRIM_400000_NS6detail17trampoline_kernelINS0_14default_configENS1_38merge_sort_block_merge_config_selectorIbNS0_10empty_typeEEEZZNS1_27merge_sort_block_merge_implIS3_PbPS5_jNS1_19radix_merge_compareILb1ELb0EbNS0_19identity_decomposerEEEEE10hipError_tT0_T1_T2_jT3_P12ihipStream_tbPNSt15iterator_traitsISE_E10value_typeEPNSK_ISF_E10value_typeEPSG_NS1_7vsmem_tEENKUlT_SE_SF_SG_E_clIS8_S8_S9_S9_EESD_ST_SE_SF_SG_EUlST_E1_NS1_11comp_targetILNS1_3genE5ELNS1_11target_archE942ELNS1_3gpuE9ELNS1_3repE0EEENS1_36merge_oddeven_config_static_selectorELNS0_4arch9wavefront6targetE0EEEvSF_
    .private_segment_fixed_size: 0
    .sgpr_count:     0
    .sgpr_spill_count: 0
    .symbol:         _ZN7rocprim17ROCPRIM_400000_NS6detail17trampoline_kernelINS0_14default_configENS1_38merge_sort_block_merge_config_selectorIbNS0_10empty_typeEEEZZNS1_27merge_sort_block_merge_implIS3_PbPS5_jNS1_19radix_merge_compareILb1ELb0EbNS0_19identity_decomposerEEEEE10hipError_tT0_T1_T2_jT3_P12ihipStream_tbPNSt15iterator_traitsISE_E10value_typeEPNSK_ISF_E10value_typeEPSG_NS1_7vsmem_tEENKUlT_SE_SF_SG_E_clIS8_S8_S9_S9_EESD_ST_SE_SF_SG_EUlST_E1_NS1_11comp_targetILNS1_3genE5ELNS1_11target_archE942ELNS1_3gpuE9ELNS1_3repE0EEENS1_36merge_oddeven_config_static_selectorELNS0_4arch9wavefront6targetE0EEEvSF_.kd
    .uniform_work_group_size: 1
    .uses_dynamic_stack: false
    .vgpr_count:     0
    .vgpr_spill_count: 0
    .wavefront_size: 32
  - .args:
      - .offset:         0
        .size:           48
        .value_kind:     by_value
    .group_segment_fixed_size: 0
    .kernarg_segment_align: 8
    .kernarg_segment_size: 48
    .language:       OpenCL C
    .language_version:
      - 2
      - 0
    .max_flat_workgroup_size: 256
    .name:           _ZN7rocprim17ROCPRIM_400000_NS6detail17trampoline_kernelINS0_14default_configENS1_38merge_sort_block_merge_config_selectorIbNS0_10empty_typeEEEZZNS1_27merge_sort_block_merge_implIS3_PbPS5_jNS1_19radix_merge_compareILb1ELb0EbNS0_19identity_decomposerEEEEE10hipError_tT0_T1_T2_jT3_P12ihipStream_tbPNSt15iterator_traitsISE_E10value_typeEPNSK_ISF_E10value_typeEPSG_NS1_7vsmem_tEENKUlT_SE_SF_SG_E_clIS8_S8_S9_S9_EESD_ST_SE_SF_SG_EUlST_E1_NS1_11comp_targetILNS1_3genE4ELNS1_11target_archE910ELNS1_3gpuE8ELNS1_3repE0EEENS1_36merge_oddeven_config_static_selectorELNS0_4arch9wavefront6targetE0EEEvSF_
    .private_segment_fixed_size: 0
    .sgpr_count:     0
    .sgpr_spill_count: 0
    .symbol:         _ZN7rocprim17ROCPRIM_400000_NS6detail17trampoline_kernelINS0_14default_configENS1_38merge_sort_block_merge_config_selectorIbNS0_10empty_typeEEEZZNS1_27merge_sort_block_merge_implIS3_PbPS5_jNS1_19radix_merge_compareILb1ELb0EbNS0_19identity_decomposerEEEEE10hipError_tT0_T1_T2_jT3_P12ihipStream_tbPNSt15iterator_traitsISE_E10value_typeEPNSK_ISF_E10value_typeEPSG_NS1_7vsmem_tEENKUlT_SE_SF_SG_E_clIS8_S8_S9_S9_EESD_ST_SE_SF_SG_EUlST_E1_NS1_11comp_targetILNS1_3genE4ELNS1_11target_archE910ELNS1_3gpuE8ELNS1_3repE0EEENS1_36merge_oddeven_config_static_selectorELNS0_4arch9wavefront6targetE0EEEvSF_.kd
    .uniform_work_group_size: 1
    .uses_dynamic_stack: false
    .vgpr_count:     0
    .vgpr_spill_count: 0
    .wavefront_size: 32
  - .args:
      - .offset:         0
        .size:           48
        .value_kind:     by_value
    .group_segment_fixed_size: 0
    .kernarg_segment_align: 8
    .kernarg_segment_size: 48
    .language:       OpenCL C
    .language_version:
      - 2
      - 0
    .max_flat_workgroup_size: 256
    .name:           _ZN7rocprim17ROCPRIM_400000_NS6detail17trampoline_kernelINS0_14default_configENS1_38merge_sort_block_merge_config_selectorIbNS0_10empty_typeEEEZZNS1_27merge_sort_block_merge_implIS3_PbPS5_jNS1_19radix_merge_compareILb1ELb0EbNS0_19identity_decomposerEEEEE10hipError_tT0_T1_T2_jT3_P12ihipStream_tbPNSt15iterator_traitsISE_E10value_typeEPNSK_ISF_E10value_typeEPSG_NS1_7vsmem_tEENKUlT_SE_SF_SG_E_clIS8_S8_S9_S9_EESD_ST_SE_SF_SG_EUlST_E1_NS1_11comp_targetILNS1_3genE3ELNS1_11target_archE908ELNS1_3gpuE7ELNS1_3repE0EEENS1_36merge_oddeven_config_static_selectorELNS0_4arch9wavefront6targetE0EEEvSF_
    .private_segment_fixed_size: 0
    .sgpr_count:     0
    .sgpr_spill_count: 0
    .symbol:         _ZN7rocprim17ROCPRIM_400000_NS6detail17trampoline_kernelINS0_14default_configENS1_38merge_sort_block_merge_config_selectorIbNS0_10empty_typeEEEZZNS1_27merge_sort_block_merge_implIS3_PbPS5_jNS1_19radix_merge_compareILb1ELb0EbNS0_19identity_decomposerEEEEE10hipError_tT0_T1_T2_jT3_P12ihipStream_tbPNSt15iterator_traitsISE_E10value_typeEPNSK_ISF_E10value_typeEPSG_NS1_7vsmem_tEENKUlT_SE_SF_SG_E_clIS8_S8_S9_S9_EESD_ST_SE_SF_SG_EUlST_E1_NS1_11comp_targetILNS1_3genE3ELNS1_11target_archE908ELNS1_3gpuE7ELNS1_3repE0EEENS1_36merge_oddeven_config_static_selectorELNS0_4arch9wavefront6targetE0EEEvSF_.kd
    .uniform_work_group_size: 1
    .uses_dynamic_stack: false
    .vgpr_count:     0
    .vgpr_spill_count: 0
    .wavefront_size: 32
  - .args:
      - .offset:         0
        .size:           48
        .value_kind:     by_value
    .group_segment_fixed_size: 0
    .kernarg_segment_align: 8
    .kernarg_segment_size: 48
    .language:       OpenCL C
    .language_version:
      - 2
      - 0
    .max_flat_workgroup_size: 256
    .name:           _ZN7rocprim17ROCPRIM_400000_NS6detail17trampoline_kernelINS0_14default_configENS1_38merge_sort_block_merge_config_selectorIbNS0_10empty_typeEEEZZNS1_27merge_sort_block_merge_implIS3_PbPS5_jNS1_19radix_merge_compareILb1ELb0EbNS0_19identity_decomposerEEEEE10hipError_tT0_T1_T2_jT3_P12ihipStream_tbPNSt15iterator_traitsISE_E10value_typeEPNSK_ISF_E10value_typeEPSG_NS1_7vsmem_tEENKUlT_SE_SF_SG_E_clIS8_S8_S9_S9_EESD_ST_SE_SF_SG_EUlST_E1_NS1_11comp_targetILNS1_3genE2ELNS1_11target_archE906ELNS1_3gpuE6ELNS1_3repE0EEENS1_36merge_oddeven_config_static_selectorELNS0_4arch9wavefront6targetE0EEEvSF_
    .private_segment_fixed_size: 0
    .sgpr_count:     0
    .sgpr_spill_count: 0
    .symbol:         _ZN7rocprim17ROCPRIM_400000_NS6detail17trampoline_kernelINS0_14default_configENS1_38merge_sort_block_merge_config_selectorIbNS0_10empty_typeEEEZZNS1_27merge_sort_block_merge_implIS3_PbPS5_jNS1_19radix_merge_compareILb1ELb0EbNS0_19identity_decomposerEEEEE10hipError_tT0_T1_T2_jT3_P12ihipStream_tbPNSt15iterator_traitsISE_E10value_typeEPNSK_ISF_E10value_typeEPSG_NS1_7vsmem_tEENKUlT_SE_SF_SG_E_clIS8_S8_S9_S9_EESD_ST_SE_SF_SG_EUlST_E1_NS1_11comp_targetILNS1_3genE2ELNS1_11target_archE906ELNS1_3gpuE6ELNS1_3repE0EEENS1_36merge_oddeven_config_static_selectorELNS0_4arch9wavefront6targetE0EEEvSF_.kd
    .uniform_work_group_size: 1
    .uses_dynamic_stack: false
    .vgpr_count:     0
    .vgpr_spill_count: 0
    .wavefront_size: 32
  - .args:
      - .offset:         0
        .size:           48
        .value_kind:     by_value
    .group_segment_fixed_size: 0
    .kernarg_segment_align: 8
    .kernarg_segment_size: 48
    .language:       OpenCL C
    .language_version:
      - 2
      - 0
    .max_flat_workgroup_size: 256
    .name:           _ZN7rocprim17ROCPRIM_400000_NS6detail17trampoline_kernelINS0_14default_configENS1_38merge_sort_block_merge_config_selectorIbNS0_10empty_typeEEEZZNS1_27merge_sort_block_merge_implIS3_PbPS5_jNS1_19radix_merge_compareILb1ELb0EbNS0_19identity_decomposerEEEEE10hipError_tT0_T1_T2_jT3_P12ihipStream_tbPNSt15iterator_traitsISE_E10value_typeEPNSK_ISF_E10value_typeEPSG_NS1_7vsmem_tEENKUlT_SE_SF_SG_E_clIS8_S8_S9_S9_EESD_ST_SE_SF_SG_EUlST_E1_NS1_11comp_targetILNS1_3genE9ELNS1_11target_archE1100ELNS1_3gpuE3ELNS1_3repE0EEENS1_36merge_oddeven_config_static_selectorELNS0_4arch9wavefront6targetE0EEEvSF_
    .private_segment_fixed_size: 0
    .sgpr_count:     0
    .sgpr_spill_count: 0
    .symbol:         _ZN7rocprim17ROCPRIM_400000_NS6detail17trampoline_kernelINS0_14default_configENS1_38merge_sort_block_merge_config_selectorIbNS0_10empty_typeEEEZZNS1_27merge_sort_block_merge_implIS3_PbPS5_jNS1_19radix_merge_compareILb1ELb0EbNS0_19identity_decomposerEEEEE10hipError_tT0_T1_T2_jT3_P12ihipStream_tbPNSt15iterator_traitsISE_E10value_typeEPNSK_ISF_E10value_typeEPSG_NS1_7vsmem_tEENKUlT_SE_SF_SG_E_clIS8_S8_S9_S9_EESD_ST_SE_SF_SG_EUlST_E1_NS1_11comp_targetILNS1_3genE9ELNS1_11target_archE1100ELNS1_3gpuE3ELNS1_3repE0EEENS1_36merge_oddeven_config_static_selectorELNS0_4arch9wavefront6targetE0EEEvSF_.kd
    .uniform_work_group_size: 1
    .uses_dynamic_stack: false
    .vgpr_count:     0
    .vgpr_spill_count: 0
    .wavefront_size: 32
  - .args:
      - .offset:         0
        .size:           48
        .value_kind:     by_value
    .group_segment_fixed_size: 0
    .kernarg_segment_align: 8
    .kernarg_segment_size: 48
    .language:       OpenCL C
    .language_version:
      - 2
      - 0
    .max_flat_workgroup_size: 256
    .name:           _ZN7rocprim17ROCPRIM_400000_NS6detail17trampoline_kernelINS0_14default_configENS1_38merge_sort_block_merge_config_selectorIbNS0_10empty_typeEEEZZNS1_27merge_sort_block_merge_implIS3_PbPS5_jNS1_19radix_merge_compareILb1ELb0EbNS0_19identity_decomposerEEEEE10hipError_tT0_T1_T2_jT3_P12ihipStream_tbPNSt15iterator_traitsISE_E10value_typeEPNSK_ISF_E10value_typeEPSG_NS1_7vsmem_tEENKUlT_SE_SF_SG_E_clIS8_S8_S9_S9_EESD_ST_SE_SF_SG_EUlST_E1_NS1_11comp_targetILNS1_3genE8ELNS1_11target_archE1030ELNS1_3gpuE2ELNS1_3repE0EEENS1_36merge_oddeven_config_static_selectorELNS0_4arch9wavefront6targetE0EEEvSF_
    .private_segment_fixed_size: 0
    .sgpr_count:     0
    .sgpr_spill_count: 0
    .symbol:         _ZN7rocprim17ROCPRIM_400000_NS6detail17trampoline_kernelINS0_14default_configENS1_38merge_sort_block_merge_config_selectorIbNS0_10empty_typeEEEZZNS1_27merge_sort_block_merge_implIS3_PbPS5_jNS1_19radix_merge_compareILb1ELb0EbNS0_19identity_decomposerEEEEE10hipError_tT0_T1_T2_jT3_P12ihipStream_tbPNSt15iterator_traitsISE_E10value_typeEPNSK_ISF_E10value_typeEPSG_NS1_7vsmem_tEENKUlT_SE_SF_SG_E_clIS8_S8_S9_S9_EESD_ST_SE_SF_SG_EUlST_E1_NS1_11comp_targetILNS1_3genE8ELNS1_11target_archE1030ELNS1_3gpuE2ELNS1_3repE0EEENS1_36merge_oddeven_config_static_selectorELNS0_4arch9wavefront6targetE0EEEvSF_.kd
    .uniform_work_group_size: 1
    .uses_dynamic_stack: false
    .vgpr_count:     0
    .vgpr_spill_count: 0
    .wavefront_size: 32
  - .args:
      - .offset:         0
        .size:           40
        .value_kind:     by_value
      - .offset:         40
        .size:           4
        .value_kind:     hidden_block_count_x
      - .offset:         44
        .size:           4
        .value_kind:     hidden_block_count_y
      - .offset:         48
        .size:           4
        .value_kind:     hidden_block_count_z
      - .offset:         52
        .size:           2
        .value_kind:     hidden_group_size_x
      - .offset:         54
        .size:           2
        .value_kind:     hidden_group_size_y
      - .offset:         56
        .size:           2
        .value_kind:     hidden_group_size_z
      - .offset:         58
        .size:           2
        .value_kind:     hidden_remainder_x
      - .offset:         60
        .size:           2
        .value_kind:     hidden_remainder_y
      - .offset:         62
        .size:           2
        .value_kind:     hidden_remainder_z
      - .offset:         80
        .size:           8
        .value_kind:     hidden_global_offset_x
      - .offset:         88
        .size:           8
        .value_kind:     hidden_global_offset_y
      - .offset:         96
        .size:           8
        .value_kind:     hidden_global_offset_z
      - .offset:         104
        .size:           2
        .value_kind:     hidden_grid_dims
    .group_segment_fixed_size: 0
    .kernarg_segment_align: 8
    .kernarg_segment_size: 296
    .language:       OpenCL C
    .language_version:
      - 2
      - 0
    .max_flat_workgroup_size: 128
    .name:           _ZN7rocprim17ROCPRIM_400000_NS6detail17trampoline_kernelINS0_14default_configENS1_25transform_config_selectorIbLb1EEEZNS1_14transform_implILb1ES3_S5_PbS7_NS0_8identityIbEEEE10hipError_tT2_T3_mT4_P12ihipStream_tbEUlT_E_NS1_11comp_targetILNS1_3genE0ELNS1_11target_archE4294967295ELNS1_3gpuE0ELNS1_3repE0EEENS1_30default_config_static_selectorELNS0_4arch9wavefront6targetE0EEEvT1_
    .private_segment_fixed_size: 0
    .sgpr_count:     16
    .sgpr_spill_count: 0
    .symbol:         _ZN7rocprim17ROCPRIM_400000_NS6detail17trampoline_kernelINS0_14default_configENS1_25transform_config_selectorIbLb1EEEZNS1_14transform_implILb1ES3_S5_PbS7_NS0_8identityIbEEEE10hipError_tT2_T3_mT4_P12ihipStream_tbEUlT_E_NS1_11comp_targetILNS1_3genE0ELNS1_11target_archE4294967295ELNS1_3gpuE0ELNS1_3repE0EEENS1_30default_config_static_selectorELNS0_4arch9wavefront6targetE0EEEvT1_.kd
    .uniform_work_group_size: 1
    .uses_dynamic_stack: false
    .vgpr_count:     12
    .vgpr_spill_count: 0
    .wavefront_size: 32
  - .args:
      - .offset:         0
        .size:           40
        .value_kind:     by_value
    .group_segment_fixed_size: 0
    .kernarg_segment_align: 8
    .kernarg_segment_size: 40
    .language:       OpenCL C
    .language_version:
      - 2
      - 0
    .max_flat_workgroup_size: 1024
    .name:           _ZN7rocprim17ROCPRIM_400000_NS6detail17trampoline_kernelINS0_14default_configENS1_25transform_config_selectorIbLb1EEEZNS1_14transform_implILb1ES3_S5_PbS7_NS0_8identityIbEEEE10hipError_tT2_T3_mT4_P12ihipStream_tbEUlT_E_NS1_11comp_targetILNS1_3genE10ELNS1_11target_archE1201ELNS1_3gpuE5ELNS1_3repE0EEENS1_30default_config_static_selectorELNS0_4arch9wavefront6targetE0EEEvT1_
    .private_segment_fixed_size: 0
    .sgpr_count:     0
    .sgpr_spill_count: 0
    .symbol:         _ZN7rocprim17ROCPRIM_400000_NS6detail17trampoline_kernelINS0_14default_configENS1_25transform_config_selectorIbLb1EEEZNS1_14transform_implILb1ES3_S5_PbS7_NS0_8identityIbEEEE10hipError_tT2_T3_mT4_P12ihipStream_tbEUlT_E_NS1_11comp_targetILNS1_3genE10ELNS1_11target_archE1201ELNS1_3gpuE5ELNS1_3repE0EEENS1_30default_config_static_selectorELNS0_4arch9wavefront6targetE0EEEvT1_.kd
    .uniform_work_group_size: 1
    .uses_dynamic_stack: false
    .vgpr_count:     0
    .vgpr_spill_count: 0
    .wavefront_size: 32
  - .args:
      - .offset:         0
        .size:           40
        .value_kind:     by_value
    .group_segment_fixed_size: 0
    .kernarg_segment_align: 8
    .kernarg_segment_size: 40
    .language:       OpenCL C
    .language_version:
      - 2
      - 0
    .max_flat_workgroup_size: 256
    .name:           _ZN7rocprim17ROCPRIM_400000_NS6detail17trampoline_kernelINS0_14default_configENS1_25transform_config_selectorIbLb1EEEZNS1_14transform_implILb1ES3_S5_PbS7_NS0_8identityIbEEEE10hipError_tT2_T3_mT4_P12ihipStream_tbEUlT_E_NS1_11comp_targetILNS1_3genE5ELNS1_11target_archE942ELNS1_3gpuE9ELNS1_3repE0EEENS1_30default_config_static_selectorELNS0_4arch9wavefront6targetE0EEEvT1_
    .private_segment_fixed_size: 0
    .sgpr_count:     0
    .sgpr_spill_count: 0
    .symbol:         _ZN7rocprim17ROCPRIM_400000_NS6detail17trampoline_kernelINS0_14default_configENS1_25transform_config_selectorIbLb1EEEZNS1_14transform_implILb1ES3_S5_PbS7_NS0_8identityIbEEEE10hipError_tT2_T3_mT4_P12ihipStream_tbEUlT_E_NS1_11comp_targetILNS1_3genE5ELNS1_11target_archE942ELNS1_3gpuE9ELNS1_3repE0EEENS1_30default_config_static_selectorELNS0_4arch9wavefront6targetE0EEEvT1_.kd
    .uniform_work_group_size: 1
    .uses_dynamic_stack: false
    .vgpr_count:     0
    .vgpr_spill_count: 0
    .wavefront_size: 32
  - .args:
      - .offset:         0
        .size:           40
        .value_kind:     by_value
    .group_segment_fixed_size: 0
    .kernarg_segment_align: 8
    .kernarg_segment_size: 40
    .language:       OpenCL C
    .language_version:
      - 2
      - 0
    .max_flat_workgroup_size: 1024
    .name:           _ZN7rocprim17ROCPRIM_400000_NS6detail17trampoline_kernelINS0_14default_configENS1_25transform_config_selectorIbLb1EEEZNS1_14transform_implILb1ES3_S5_PbS7_NS0_8identityIbEEEE10hipError_tT2_T3_mT4_P12ihipStream_tbEUlT_E_NS1_11comp_targetILNS1_3genE4ELNS1_11target_archE910ELNS1_3gpuE8ELNS1_3repE0EEENS1_30default_config_static_selectorELNS0_4arch9wavefront6targetE0EEEvT1_
    .private_segment_fixed_size: 0
    .sgpr_count:     0
    .sgpr_spill_count: 0
    .symbol:         _ZN7rocprim17ROCPRIM_400000_NS6detail17trampoline_kernelINS0_14default_configENS1_25transform_config_selectorIbLb1EEEZNS1_14transform_implILb1ES3_S5_PbS7_NS0_8identityIbEEEE10hipError_tT2_T3_mT4_P12ihipStream_tbEUlT_E_NS1_11comp_targetILNS1_3genE4ELNS1_11target_archE910ELNS1_3gpuE8ELNS1_3repE0EEENS1_30default_config_static_selectorELNS0_4arch9wavefront6targetE0EEEvT1_.kd
    .uniform_work_group_size: 1
    .uses_dynamic_stack: false
    .vgpr_count:     0
    .vgpr_spill_count: 0
    .wavefront_size: 32
  - .args:
      - .offset:         0
        .size:           40
        .value_kind:     by_value
    .group_segment_fixed_size: 0
    .kernarg_segment_align: 8
    .kernarg_segment_size: 40
    .language:       OpenCL C
    .language_version:
      - 2
      - 0
    .max_flat_workgroup_size: 128
    .name:           _ZN7rocprim17ROCPRIM_400000_NS6detail17trampoline_kernelINS0_14default_configENS1_25transform_config_selectorIbLb1EEEZNS1_14transform_implILb1ES3_S5_PbS7_NS0_8identityIbEEEE10hipError_tT2_T3_mT4_P12ihipStream_tbEUlT_E_NS1_11comp_targetILNS1_3genE3ELNS1_11target_archE908ELNS1_3gpuE7ELNS1_3repE0EEENS1_30default_config_static_selectorELNS0_4arch9wavefront6targetE0EEEvT1_
    .private_segment_fixed_size: 0
    .sgpr_count:     0
    .sgpr_spill_count: 0
    .symbol:         _ZN7rocprim17ROCPRIM_400000_NS6detail17trampoline_kernelINS0_14default_configENS1_25transform_config_selectorIbLb1EEEZNS1_14transform_implILb1ES3_S5_PbS7_NS0_8identityIbEEEE10hipError_tT2_T3_mT4_P12ihipStream_tbEUlT_E_NS1_11comp_targetILNS1_3genE3ELNS1_11target_archE908ELNS1_3gpuE7ELNS1_3repE0EEENS1_30default_config_static_selectorELNS0_4arch9wavefront6targetE0EEEvT1_.kd
    .uniform_work_group_size: 1
    .uses_dynamic_stack: false
    .vgpr_count:     0
    .vgpr_spill_count: 0
    .wavefront_size: 32
  - .args:
      - .offset:         0
        .size:           40
        .value_kind:     by_value
    .group_segment_fixed_size: 0
    .kernarg_segment_align: 8
    .kernarg_segment_size: 40
    .language:       OpenCL C
    .language_version:
      - 2
      - 0
    .max_flat_workgroup_size: 512
    .name:           _ZN7rocprim17ROCPRIM_400000_NS6detail17trampoline_kernelINS0_14default_configENS1_25transform_config_selectorIbLb1EEEZNS1_14transform_implILb1ES3_S5_PbS7_NS0_8identityIbEEEE10hipError_tT2_T3_mT4_P12ihipStream_tbEUlT_E_NS1_11comp_targetILNS1_3genE2ELNS1_11target_archE906ELNS1_3gpuE6ELNS1_3repE0EEENS1_30default_config_static_selectorELNS0_4arch9wavefront6targetE0EEEvT1_
    .private_segment_fixed_size: 0
    .sgpr_count:     0
    .sgpr_spill_count: 0
    .symbol:         _ZN7rocprim17ROCPRIM_400000_NS6detail17trampoline_kernelINS0_14default_configENS1_25transform_config_selectorIbLb1EEEZNS1_14transform_implILb1ES3_S5_PbS7_NS0_8identityIbEEEE10hipError_tT2_T3_mT4_P12ihipStream_tbEUlT_E_NS1_11comp_targetILNS1_3genE2ELNS1_11target_archE906ELNS1_3gpuE6ELNS1_3repE0EEENS1_30default_config_static_selectorELNS0_4arch9wavefront6targetE0EEEvT1_.kd
    .uniform_work_group_size: 1
    .uses_dynamic_stack: false
    .vgpr_count:     0
    .vgpr_spill_count: 0
    .wavefront_size: 32
  - .args:
      - .offset:         0
        .size:           40
        .value_kind:     by_value
    .group_segment_fixed_size: 0
    .kernarg_segment_align: 8
    .kernarg_segment_size: 40
    .language:       OpenCL C
    .language_version:
      - 2
      - 0
    .max_flat_workgroup_size: 1024
    .name:           _ZN7rocprim17ROCPRIM_400000_NS6detail17trampoline_kernelINS0_14default_configENS1_25transform_config_selectorIbLb1EEEZNS1_14transform_implILb1ES3_S5_PbS7_NS0_8identityIbEEEE10hipError_tT2_T3_mT4_P12ihipStream_tbEUlT_E_NS1_11comp_targetILNS1_3genE9ELNS1_11target_archE1100ELNS1_3gpuE3ELNS1_3repE0EEENS1_30default_config_static_selectorELNS0_4arch9wavefront6targetE0EEEvT1_
    .private_segment_fixed_size: 0
    .sgpr_count:     0
    .sgpr_spill_count: 0
    .symbol:         _ZN7rocprim17ROCPRIM_400000_NS6detail17trampoline_kernelINS0_14default_configENS1_25transform_config_selectorIbLb1EEEZNS1_14transform_implILb1ES3_S5_PbS7_NS0_8identityIbEEEE10hipError_tT2_T3_mT4_P12ihipStream_tbEUlT_E_NS1_11comp_targetILNS1_3genE9ELNS1_11target_archE1100ELNS1_3gpuE3ELNS1_3repE0EEENS1_30default_config_static_selectorELNS0_4arch9wavefront6targetE0EEEvT1_.kd
    .uniform_work_group_size: 1
    .uses_dynamic_stack: false
    .vgpr_count:     0
    .vgpr_spill_count: 0
    .wavefront_size: 32
  - .args:
      - .offset:         0
        .size:           40
        .value_kind:     by_value
    .group_segment_fixed_size: 0
    .kernarg_segment_align: 8
    .kernarg_segment_size: 40
    .language:       OpenCL C
    .language_version:
      - 2
      - 0
    .max_flat_workgroup_size: 1024
    .name:           _ZN7rocprim17ROCPRIM_400000_NS6detail17trampoline_kernelINS0_14default_configENS1_25transform_config_selectorIbLb1EEEZNS1_14transform_implILb1ES3_S5_PbS7_NS0_8identityIbEEEE10hipError_tT2_T3_mT4_P12ihipStream_tbEUlT_E_NS1_11comp_targetILNS1_3genE8ELNS1_11target_archE1030ELNS1_3gpuE2ELNS1_3repE0EEENS1_30default_config_static_selectorELNS0_4arch9wavefront6targetE0EEEvT1_
    .private_segment_fixed_size: 0
    .sgpr_count:     0
    .sgpr_spill_count: 0
    .symbol:         _ZN7rocprim17ROCPRIM_400000_NS6detail17trampoline_kernelINS0_14default_configENS1_25transform_config_selectorIbLb1EEEZNS1_14transform_implILb1ES3_S5_PbS7_NS0_8identityIbEEEE10hipError_tT2_T3_mT4_P12ihipStream_tbEUlT_E_NS1_11comp_targetILNS1_3genE8ELNS1_11target_archE1030ELNS1_3gpuE2ELNS1_3repE0EEENS1_30default_config_static_selectorELNS0_4arch9wavefront6targetE0EEEvT1_.kd
    .uniform_work_group_size: 1
    .uses_dynamic_stack: false
    .vgpr_count:     0
    .vgpr_spill_count: 0
    .wavefront_size: 32
  - .args:
      - .offset:         0
        .size:           40
        .value_kind:     by_value
    .group_segment_fixed_size: 128
    .kernarg_segment_align: 8
    .kernarg_segment_size: 40
    .language:       OpenCL C
    .language_version:
      - 2
      - 0
    .max_flat_workgroup_size: 128
    .name:           _ZN7rocprim17ROCPRIM_400000_NS6detail17trampoline_kernelINS0_14default_configENS1_38merge_sort_block_merge_config_selectorIbNS0_10empty_typeEEEZZNS1_27merge_sort_block_merge_implIS3_PbPS5_jNS1_19radix_merge_compareILb1ELb1EbNS0_19identity_decomposerEEEEE10hipError_tT0_T1_T2_jT3_P12ihipStream_tbPNSt15iterator_traitsISE_E10value_typeEPNSK_ISF_E10value_typeEPSG_NS1_7vsmem_tEENKUlT_SE_SF_SG_E_clIS8_S8_S9_S9_EESD_ST_SE_SF_SG_EUlST_E_NS1_11comp_targetILNS1_3genE0ELNS1_11target_archE4294967295ELNS1_3gpuE0ELNS1_3repE0EEENS1_48merge_mergepath_partition_config_static_selectorELNS0_4arch9wavefront6targetE0EEEvSF_
    .private_segment_fixed_size: 0
    .sgpr_count:     12
    .sgpr_spill_count: 0
    .symbol:         _ZN7rocprim17ROCPRIM_400000_NS6detail17trampoline_kernelINS0_14default_configENS1_38merge_sort_block_merge_config_selectorIbNS0_10empty_typeEEEZZNS1_27merge_sort_block_merge_implIS3_PbPS5_jNS1_19radix_merge_compareILb1ELb1EbNS0_19identity_decomposerEEEEE10hipError_tT0_T1_T2_jT3_P12ihipStream_tbPNSt15iterator_traitsISE_E10value_typeEPNSK_ISF_E10value_typeEPSG_NS1_7vsmem_tEENKUlT_SE_SF_SG_E_clIS8_S8_S9_S9_EESD_ST_SE_SF_SG_EUlST_E_NS1_11comp_targetILNS1_3genE0ELNS1_11target_archE4294967295ELNS1_3gpuE0ELNS1_3repE0EEENS1_48merge_mergepath_partition_config_static_selectorELNS0_4arch9wavefront6targetE0EEEvSF_.kd
    .uniform_work_group_size: 1
    .uses_dynamic_stack: false
    .vgpr_count:     18
    .vgpr_spill_count: 0
    .wavefront_size: 32
  - .args:
      - .offset:         0
        .size:           40
        .value_kind:     by_value
    .group_segment_fixed_size: 0
    .kernarg_segment_align: 8
    .kernarg_segment_size: 40
    .language:       OpenCL C
    .language_version:
      - 2
      - 0
    .max_flat_workgroup_size: 128
    .name:           _ZN7rocprim17ROCPRIM_400000_NS6detail17trampoline_kernelINS0_14default_configENS1_38merge_sort_block_merge_config_selectorIbNS0_10empty_typeEEEZZNS1_27merge_sort_block_merge_implIS3_PbPS5_jNS1_19radix_merge_compareILb1ELb1EbNS0_19identity_decomposerEEEEE10hipError_tT0_T1_T2_jT3_P12ihipStream_tbPNSt15iterator_traitsISE_E10value_typeEPNSK_ISF_E10value_typeEPSG_NS1_7vsmem_tEENKUlT_SE_SF_SG_E_clIS8_S8_S9_S9_EESD_ST_SE_SF_SG_EUlST_E_NS1_11comp_targetILNS1_3genE10ELNS1_11target_archE1201ELNS1_3gpuE5ELNS1_3repE0EEENS1_48merge_mergepath_partition_config_static_selectorELNS0_4arch9wavefront6targetE0EEEvSF_
    .private_segment_fixed_size: 0
    .sgpr_count:     0
    .sgpr_spill_count: 0
    .symbol:         _ZN7rocprim17ROCPRIM_400000_NS6detail17trampoline_kernelINS0_14default_configENS1_38merge_sort_block_merge_config_selectorIbNS0_10empty_typeEEEZZNS1_27merge_sort_block_merge_implIS3_PbPS5_jNS1_19radix_merge_compareILb1ELb1EbNS0_19identity_decomposerEEEEE10hipError_tT0_T1_T2_jT3_P12ihipStream_tbPNSt15iterator_traitsISE_E10value_typeEPNSK_ISF_E10value_typeEPSG_NS1_7vsmem_tEENKUlT_SE_SF_SG_E_clIS8_S8_S9_S9_EESD_ST_SE_SF_SG_EUlST_E_NS1_11comp_targetILNS1_3genE10ELNS1_11target_archE1201ELNS1_3gpuE5ELNS1_3repE0EEENS1_48merge_mergepath_partition_config_static_selectorELNS0_4arch9wavefront6targetE0EEEvSF_.kd
    .uniform_work_group_size: 1
    .uses_dynamic_stack: false
    .vgpr_count:     0
    .vgpr_spill_count: 0
    .wavefront_size: 32
  - .args:
      - .offset:         0
        .size:           40
        .value_kind:     by_value
    .group_segment_fixed_size: 0
    .kernarg_segment_align: 8
    .kernarg_segment_size: 40
    .language:       OpenCL C
    .language_version:
      - 2
      - 0
    .max_flat_workgroup_size: 128
    .name:           _ZN7rocprim17ROCPRIM_400000_NS6detail17trampoline_kernelINS0_14default_configENS1_38merge_sort_block_merge_config_selectorIbNS0_10empty_typeEEEZZNS1_27merge_sort_block_merge_implIS3_PbPS5_jNS1_19radix_merge_compareILb1ELb1EbNS0_19identity_decomposerEEEEE10hipError_tT0_T1_T2_jT3_P12ihipStream_tbPNSt15iterator_traitsISE_E10value_typeEPNSK_ISF_E10value_typeEPSG_NS1_7vsmem_tEENKUlT_SE_SF_SG_E_clIS8_S8_S9_S9_EESD_ST_SE_SF_SG_EUlST_E_NS1_11comp_targetILNS1_3genE5ELNS1_11target_archE942ELNS1_3gpuE9ELNS1_3repE0EEENS1_48merge_mergepath_partition_config_static_selectorELNS0_4arch9wavefront6targetE0EEEvSF_
    .private_segment_fixed_size: 0
    .sgpr_count:     0
    .sgpr_spill_count: 0
    .symbol:         _ZN7rocprim17ROCPRIM_400000_NS6detail17trampoline_kernelINS0_14default_configENS1_38merge_sort_block_merge_config_selectorIbNS0_10empty_typeEEEZZNS1_27merge_sort_block_merge_implIS3_PbPS5_jNS1_19radix_merge_compareILb1ELb1EbNS0_19identity_decomposerEEEEE10hipError_tT0_T1_T2_jT3_P12ihipStream_tbPNSt15iterator_traitsISE_E10value_typeEPNSK_ISF_E10value_typeEPSG_NS1_7vsmem_tEENKUlT_SE_SF_SG_E_clIS8_S8_S9_S9_EESD_ST_SE_SF_SG_EUlST_E_NS1_11comp_targetILNS1_3genE5ELNS1_11target_archE942ELNS1_3gpuE9ELNS1_3repE0EEENS1_48merge_mergepath_partition_config_static_selectorELNS0_4arch9wavefront6targetE0EEEvSF_.kd
    .uniform_work_group_size: 1
    .uses_dynamic_stack: false
    .vgpr_count:     0
    .vgpr_spill_count: 0
    .wavefront_size: 32
  - .args:
      - .offset:         0
        .size:           40
        .value_kind:     by_value
    .group_segment_fixed_size: 0
    .kernarg_segment_align: 8
    .kernarg_segment_size: 40
    .language:       OpenCL C
    .language_version:
      - 2
      - 0
    .max_flat_workgroup_size: 128
    .name:           _ZN7rocprim17ROCPRIM_400000_NS6detail17trampoline_kernelINS0_14default_configENS1_38merge_sort_block_merge_config_selectorIbNS0_10empty_typeEEEZZNS1_27merge_sort_block_merge_implIS3_PbPS5_jNS1_19radix_merge_compareILb1ELb1EbNS0_19identity_decomposerEEEEE10hipError_tT0_T1_T2_jT3_P12ihipStream_tbPNSt15iterator_traitsISE_E10value_typeEPNSK_ISF_E10value_typeEPSG_NS1_7vsmem_tEENKUlT_SE_SF_SG_E_clIS8_S8_S9_S9_EESD_ST_SE_SF_SG_EUlST_E_NS1_11comp_targetILNS1_3genE4ELNS1_11target_archE910ELNS1_3gpuE8ELNS1_3repE0EEENS1_48merge_mergepath_partition_config_static_selectorELNS0_4arch9wavefront6targetE0EEEvSF_
    .private_segment_fixed_size: 0
    .sgpr_count:     0
    .sgpr_spill_count: 0
    .symbol:         _ZN7rocprim17ROCPRIM_400000_NS6detail17trampoline_kernelINS0_14default_configENS1_38merge_sort_block_merge_config_selectorIbNS0_10empty_typeEEEZZNS1_27merge_sort_block_merge_implIS3_PbPS5_jNS1_19radix_merge_compareILb1ELb1EbNS0_19identity_decomposerEEEEE10hipError_tT0_T1_T2_jT3_P12ihipStream_tbPNSt15iterator_traitsISE_E10value_typeEPNSK_ISF_E10value_typeEPSG_NS1_7vsmem_tEENKUlT_SE_SF_SG_E_clIS8_S8_S9_S9_EESD_ST_SE_SF_SG_EUlST_E_NS1_11comp_targetILNS1_3genE4ELNS1_11target_archE910ELNS1_3gpuE8ELNS1_3repE0EEENS1_48merge_mergepath_partition_config_static_selectorELNS0_4arch9wavefront6targetE0EEEvSF_.kd
    .uniform_work_group_size: 1
    .uses_dynamic_stack: false
    .vgpr_count:     0
    .vgpr_spill_count: 0
    .wavefront_size: 32
  - .args:
      - .offset:         0
        .size:           40
        .value_kind:     by_value
    .group_segment_fixed_size: 0
    .kernarg_segment_align: 8
    .kernarg_segment_size: 40
    .language:       OpenCL C
    .language_version:
      - 2
      - 0
    .max_flat_workgroup_size: 128
    .name:           _ZN7rocprim17ROCPRIM_400000_NS6detail17trampoline_kernelINS0_14default_configENS1_38merge_sort_block_merge_config_selectorIbNS0_10empty_typeEEEZZNS1_27merge_sort_block_merge_implIS3_PbPS5_jNS1_19radix_merge_compareILb1ELb1EbNS0_19identity_decomposerEEEEE10hipError_tT0_T1_T2_jT3_P12ihipStream_tbPNSt15iterator_traitsISE_E10value_typeEPNSK_ISF_E10value_typeEPSG_NS1_7vsmem_tEENKUlT_SE_SF_SG_E_clIS8_S8_S9_S9_EESD_ST_SE_SF_SG_EUlST_E_NS1_11comp_targetILNS1_3genE3ELNS1_11target_archE908ELNS1_3gpuE7ELNS1_3repE0EEENS1_48merge_mergepath_partition_config_static_selectorELNS0_4arch9wavefront6targetE0EEEvSF_
    .private_segment_fixed_size: 0
    .sgpr_count:     0
    .sgpr_spill_count: 0
    .symbol:         _ZN7rocprim17ROCPRIM_400000_NS6detail17trampoline_kernelINS0_14default_configENS1_38merge_sort_block_merge_config_selectorIbNS0_10empty_typeEEEZZNS1_27merge_sort_block_merge_implIS3_PbPS5_jNS1_19radix_merge_compareILb1ELb1EbNS0_19identity_decomposerEEEEE10hipError_tT0_T1_T2_jT3_P12ihipStream_tbPNSt15iterator_traitsISE_E10value_typeEPNSK_ISF_E10value_typeEPSG_NS1_7vsmem_tEENKUlT_SE_SF_SG_E_clIS8_S8_S9_S9_EESD_ST_SE_SF_SG_EUlST_E_NS1_11comp_targetILNS1_3genE3ELNS1_11target_archE908ELNS1_3gpuE7ELNS1_3repE0EEENS1_48merge_mergepath_partition_config_static_selectorELNS0_4arch9wavefront6targetE0EEEvSF_.kd
    .uniform_work_group_size: 1
    .uses_dynamic_stack: false
    .vgpr_count:     0
    .vgpr_spill_count: 0
    .wavefront_size: 32
  - .args:
      - .offset:         0
        .size:           40
        .value_kind:     by_value
    .group_segment_fixed_size: 0
    .kernarg_segment_align: 8
    .kernarg_segment_size: 40
    .language:       OpenCL C
    .language_version:
      - 2
      - 0
    .max_flat_workgroup_size: 128
    .name:           _ZN7rocprim17ROCPRIM_400000_NS6detail17trampoline_kernelINS0_14default_configENS1_38merge_sort_block_merge_config_selectorIbNS0_10empty_typeEEEZZNS1_27merge_sort_block_merge_implIS3_PbPS5_jNS1_19radix_merge_compareILb1ELb1EbNS0_19identity_decomposerEEEEE10hipError_tT0_T1_T2_jT3_P12ihipStream_tbPNSt15iterator_traitsISE_E10value_typeEPNSK_ISF_E10value_typeEPSG_NS1_7vsmem_tEENKUlT_SE_SF_SG_E_clIS8_S8_S9_S9_EESD_ST_SE_SF_SG_EUlST_E_NS1_11comp_targetILNS1_3genE2ELNS1_11target_archE906ELNS1_3gpuE6ELNS1_3repE0EEENS1_48merge_mergepath_partition_config_static_selectorELNS0_4arch9wavefront6targetE0EEEvSF_
    .private_segment_fixed_size: 0
    .sgpr_count:     0
    .sgpr_spill_count: 0
    .symbol:         _ZN7rocprim17ROCPRIM_400000_NS6detail17trampoline_kernelINS0_14default_configENS1_38merge_sort_block_merge_config_selectorIbNS0_10empty_typeEEEZZNS1_27merge_sort_block_merge_implIS3_PbPS5_jNS1_19radix_merge_compareILb1ELb1EbNS0_19identity_decomposerEEEEE10hipError_tT0_T1_T2_jT3_P12ihipStream_tbPNSt15iterator_traitsISE_E10value_typeEPNSK_ISF_E10value_typeEPSG_NS1_7vsmem_tEENKUlT_SE_SF_SG_E_clIS8_S8_S9_S9_EESD_ST_SE_SF_SG_EUlST_E_NS1_11comp_targetILNS1_3genE2ELNS1_11target_archE906ELNS1_3gpuE6ELNS1_3repE0EEENS1_48merge_mergepath_partition_config_static_selectorELNS0_4arch9wavefront6targetE0EEEvSF_.kd
    .uniform_work_group_size: 1
    .uses_dynamic_stack: false
    .vgpr_count:     0
    .vgpr_spill_count: 0
    .wavefront_size: 32
  - .args:
      - .offset:         0
        .size:           40
        .value_kind:     by_value
    .group_segment_fixed_size: 0
    .kernarg_segment_align: 8
    .kernarg_segment_size: 40
    .language:       OpenCL C
    .language_version:
      - 2
      - 0
    .max_flat_workgroup_size: 128
    .name:           _ZN7rocprim17ROCPRIM_400000_NS6detail17trampoline_kernelINS0_14default_configENS1_38merge_sort_block_merge_config_selectorIbNS0_10empty_typeEEEZZNS1_27merge_sort_block_merge_implIS3_PbPS5_jNS1_19radix_merge_compareILb1ELb1EbNS0_19identity_decomposerEEEEE10hipError_tT0_T1_T2_jT3_P12ihipStream_tbPNSt15iterator_traitsISE_E10value_typeEPNSK_ISF_E10value_typeEPSG_NS1_7vsmem_tEENKUlT_SE_SF_SG_E_clIS8_S8_S9_S9_EESD_ST_SE_SF_SG_EUlST_E_NS1_11comp_targetILNS1_3genE9ELNS1_11target_archE1100ELNS1_3gpuE3ELNS1_3repE0EEENS1_48merge_mergepath_partition_config_static_selectorELNS0_4arch9wavefront6targetE0EEEvSF_
    .private_segment_fixed_size: 0
    .sgpr_count:     0
    .sgpr_spill_count: 0
    .symbol:         _ZN7rocprim17ROCPRIM_400000_NS6detail17trampoline_kernelINS0_14default_configENS1_38merge_sort_block_merge_config_selectorIbNS0_10empty_typeEEEZZNS1_27merge_sort_block_merge_implIS3_PbPS5_jNS1_19radix_merge_compareILb1ELb1EbNS0_19identity_decomposerEEEEE10hipError_tT0_T1_T2_jT3_P12ihipStream_tbPNSt15iterator_traitsISE_E10value_typeEPNSK_ISF_E10value_typeEPSG_NS1_7vsmem_tEENKUlT_SE_SF_SG_E_clIS8_S8_S9_S9_EESD_ST_SE_SF_SG_EUlST_E_NS1_11comp_targetILNS1_3genE9ELNS1_11target_archE1100ELNS1_3gpuE3ELNS1_3repE0EEENS1_48merge_mergepath_partition_config_static_selectorELNS0_4arch9wavefront6targetE0EEEvSF_.kd
    .uniform_work_group_size: 1
    .uses_dynamic_stack: false
    .vgpr_count:     0
    .vgpr_spill_count: 0
    .wavefront_size: 32
  - .args:
      - .offset:         0
        .size:           40
        .value_kind:     by_value
    .group_segment_fixed_size: 0
    .kernarg_segment_align: 8
    .kernarg_segment_size: 40
    .language:       OpenCL C
    .language_version:
      - 2
      - 0
    .max_flat_workgroup_size: 128
    .name:           _ZN7rocprim17ROCPRIM_400000_NS6detail17trampoline_kernelINS0_14default_configENS1_38merge_sort_block_merge_config_selectorIbNS0_10empty_typeEEEZZNS1_27merge_sort_block_merge_implIS3_PbPS5_jNS1_19radix_merge_compareILb1ELb1EbNS0_19identity_decomposerEEEEE10hipError_tT0_T1_T2_jT3_P12ihipStream_tbPNSt15iterator_traitsISE_E10value_typeEPNSK_ISF_E10value_typeEPSG_NS1_7vsmem_tEENKUlT_SE_SF_SG_E_clIS8_S8_S9_S9_EESD_ST_SE_SF_SG_EUlST_E_NS1_11comp_targetILNS1_3genE8ELNS1_11target_archE1030ELNS1_3gpuE2ELNS1_3repE0EEENS1_48merge_mergepath_partition_config_static_selectorELNS0_4arch9wavefront6targetE0EEEvSF_
    .private_segment_fixed_size: 0
    .sgpr_count:     0
    .sgpr_spill_count: 0
    .symbol:         _ZN7rocprim17ROCPRIM_400000_NS6detail17trampoline_kernelINS0_14default_configENS1_38merge_sort_block_merge_config_selectorIbNS0_10empty_typeEEEZZNS1_27merge_sort_block_merge_implIS3_PbPS5_jNS1_19radix_merge_compareILb1ELb1EbNS0_19identity_decomposerEEEEE10hipError_tT0_T1_T2_jT3_P12ihipStream_tbPNSt15iterator_traitsISE_E10value_typeEPNSK_ISF_E10value_typeEPSG_NS1_7vsmem_tEENKUlT_SE_SF_SG_E_clIS8_S8_S9_S9_EESD_ST_SE_SF_SG_EUlST_E_NS1_11comp_targetILNS1_3genE8ELNS1_11target_archE1030ELNS1_3gpuE2ELNS1_3repE0EEENS1_48merge_mergepath_partition_config_static_selectorELNS0_4arch9wavefront6targetE0EEEvSF_.kd
    .uniform_work_group_size: 1
    .uses_dynamic_stack: false
    .vgpr_count:     0
    .vgpr_spill_count: 0
    .wavefront_size: 32
  - .args:
      - .offset:         0
        .size:           64
        .value_kind:     by_value
      - .offset:         64
        .size:           4
        .value_kind:     hidden_block_count_x
      - .offset:         68
        .size:           4
        .value_kind:     hidden_block_count_y
      - .offset:         72
        .size:           4
        .value_kind:     hidden_block_count_z
      - .offset:         76
        .size:           2
        .value_kind:     hidden_group_size_x
      - .offset:         78
        .size:           2
        .value_kind:     hidden_group_size_y
      - .offset:         80
        .size:           2
        .value_kind:     hidden_group_size_z
      - .offset:         82
        .size:           2
        .value_kind:     hidden_remainder_x
      - .offset:         84
        .size:           2
        .value_kind:     hidden_remainder_y
      - .offset:         86
        .size:           2
        .value_kind:     hidden_remainder_z
      - .offset:         104
        .size:           8
        .value_kind:     hidden_global_offset_x
      - .offset:         112
        .size:           8
        .value_kind:     hidden_global_offset_y
      - .offset:         120
        .size:           8
        .value_kind:     hidden_global_offset_z
      - .offset:         128
        .size:           2
        .value_kind:     hidden_grid_dims
    .group_segment_fixed_size: 1568
    .kernarg_segment_align: 8
    .kernarg_segment_size: 320
    .language:       OpenCL C
    .language_version:
      - 2
      - 0
    .max_flat_workgroup_size: 128
    .name:           _ZN7rocprim17ROCPRIM_400000_NS6detail17trampoline_kernelINS0_14default_configENS1_38merge_sort_block_merge_config_selectorIbNS0_10empty_typeEEEZZNS1_27merge_sort_block_merge_implIS3_PbPS5_jNS1_19radix_merge_compareILb1ELb1EbNS0_19identity_decomposerEEEEE10hipError_tT0_T1_T2_jT3_P12ihipStream_tbPNSt15iterator_traitsISE_E10value_typeEPNSK_ISF_E10value_typeEPSG_NS1_7vsmem_tEENKUlT_SE_SF_SG_E_clIS8_S8_S9_S9_EESD_ST_SE_SF_SG_EUlST_E0_NS1_11comp_targetILNS1_3genE0ELNS1_11target_archE4294967295ELNS1_3gpuE0ELNS1_3repE0EEENS1_38merge_mergepath_config_static_selectorELNS0_4arch9wavefront6targetE0EEEvSF_
    .private_segment_fixed_size: 0
    .sgpr_count:     24
    .sgpr_spill_count: 0
    .symbol:         _ZN7rocprim17ROCPRIM_400000_NS6detail17trampoline_kernelINS0_14default_configENS1_38merge_sort_block_merge_config_selectorIbNS0_10empty_typeEEEZZNS1_27merge_sort_block_merge_implIS3_PbPS5_jNS1_19radix_merge_compareILb1ELb1EbNS0_19identity_decomposerEEEEE10hipError_tT0_T1_T2_jT3_P12ihipStream_tbPNSt15iterator_traitsISE_E10value_typeEPNSK_ISF_E10value_typeEPSG_NS1_7vsmem_tEENKUlT_SE_SF_SG_E_clIS8_S8_S9_S9_EESD_ST_SE_SF_SG_EUlST_E0_NS1_11comp_targetILNS1_3genE0ELNS1_11target_archE4294967295ELNS1_3gpuE0ELNS1_3repE0EEENS1_38merge_mergepath_config_static_selectorELNS0_4arch9wavefront6targetE0EEEvSF_.kd
    .uniform_work_group_size: 1
    .uses_dynamic_stack: false
    .vgpr_count:     26
    .vgpr_spill_count: 0
    .wavefront_size: 32
  - .args:
      - .offset:         0
        .size:           64
        .value_kind:     by_value
    .group_segment_fixed_size: 0
    .kernarg_segment_align: 8
    .kernarg_segment_size: 64
    .language:       OpenCL C
    .language_version:
      - 2
      - 0
    .max_flat_workgroup_size: 128
    .name:           _ZN7rocprim17ROCPRIM_400000_NS6detail17trampoline_kernelINS0_14default_configENS1_38merge_sort_block_merge_config_selectorIbNS0_10empty_typeEEEZZNS1_27merge_sort_block_merge_implIS3_PbPS5_jNS1_19radix_merge_compareILb1ELb1EbNS0_19identity_decomposerEEEEE10hipError_tT0_T1_T2_jT3_P12ihipStream_tbPNSt15iterator_traitsISE_E10value_typeEPNSK_ISF_E10value_typeEPSG_NS1_7vsmem_tEENKUlT_SE_SF_SG_E_clIS8_S8_S9_S9_EESD_ST_SE_SF_SG_EUlST_E0_NS1_11comp_targetILNS1_3genE10ELNS1_11target_archE1201ELNS1_3gpuE5ELNS1_3repE0EEENS1_38merge_mergepath_config_static_selectorELNS0_4arch9wavefront6targetE0EEEvSF_
    .private_segment_fixed_size: 0
    .sgpr_count:     0
    .sgpr_spill_count: 0
    .symbol:         _ZN7rocprim17ROCPRIM_400000_NS6detail17trampoline_kernelINS0_14default_configENS1_38merge_sort_block_merge_config_selectorIbNS0_10empty_typeEEEZZNS1_27merge_sort_block_merge_implIS3_PbPS5_jNS1_19radix_merge_compareILb1ELb1EbNS0_19identity_decomposerEEEEE10hipError_tT0_T1_T2_jT3_P12ihipStream_tbPNSt15iterator_traitsISE_E10value_typeEPNSK_ISF_E10value_typeEPSG_NS1_7vsmem_tEENKUlT_SE_SF_SG_E_clIS8_S8_S9_S9_EESD_ST_SE_SF_SG_EUlST_E0_NS1_11comp_targetILNS1_3genE10ELNS1_11target_archE1201ELNS1_3gpuE5ELNS1_3repE0EEENS1_38merge_mergepath_config_static_selectorELNS0_4arch9wavefront6targetE0EEEvSF_.kd
    .uniform_work_group_size: 1
    .uses_dynamic_stack: false
    .vgpr_count:     0
    .vgpr_spill_count: 0
    .wavefront_size: 32
  - .args:
      - .offset:         0
        .size:           64
        .value_kind:     by_value
    .group_segment_fixed_size: 0
    .kernarg_segment_align: 8
    .kernarg_segment_size: 64
    .language:       OpenCL C
    .language_version:
      - 2
      - 0
    .max_flat_workgroup_size: 128
    .name:           _ZN7rocprim17ROCPRIM_400000_NS6detail17trampoline_kernelINS0_14default_configENS1_38merge_sort_block_merge_config_selectorIbNS0_10empty_typeEEEZZNS1_27merge_sort_block_merge_implIS3_PbPS5_jNS1_19radix_merge_compareILb1ELb1EbNS0_19identity_decomposerEEEEE10hipError_tT0_T1_T2_jT3_P12ihipStream_tbPNSt15iterator_traitsISE_E10value_typeEPNSK_ISF_E10value_typeEPSG_NS1_7vsmem_tEENKUlT_SE_SF_SG_E_clIS8_S8_S9_S9_EESD_ST_SE_SF_SG_EUlST_E0_NS1_11comp_targetILNS1_3genE5ELNS1_11target_archE942ELNS1_3gpuE9ELNS1_3repE0EEENS1_38merge_mergepath_config_static_selectorELNS0_4arch9wavefront6targetE0EEEvSF_
    .private_segment_fixed_size: 0
    .sgpr_count:     0
    .sgpr_spill_count: 0
    .symbol:         _ZN7rocprim17ROCPRIM_400000_NS6detail17trampoline_kernelINS0_14default_configENS1_38merge_sort_block_merge_config_selectorIbNS0_10empty_typeEEEZZNS1_27merge_sort_block_merge_implIS3_PbPS5_jNS1_19radix_merge_compareILb1ELb1EbNS0_19identity_decomposerEEEEE10hipError_tT0_T1_T2_jT3_P12ihipStream_tbPNSt15iterator_traitsISE_E10value_typeEPNSK_ISF_E10value_typeEPSG_NS1_7vsmem_tEENKUlT_SE_SF_SG_E_clIS8_S8_S9_S9_EESD_ST_SE_SF_SG_EUlST_E0_NS1_11comp_targetILNS1_3genE5ELNS1_11target_archE942ELNS1_3gpuE9ELNS1_3repE0EEENS1_38merge_mergepath_config_static_selectorELNS0_4arch9wavefront6targetE0EEEvSF_.kd
    .uniform_work_group_size: 1
    .uses_dynamic_stack: false
    .vgpr_count:     0
    .vgpr_spill_count: 0
    .wavefront_size: 32
  - .args:
      - .offset:         0
        .size:           64
        .value_kind:     by_value
    .group_segment_fixed_size: 0
    .kernarg_segment_align: 8
    .kernarg_segment_size: 64
    .language:       OpenCL C
    .language_version:
      - 2
      - 0
    .max_flat_workgroup_size: 128
    .name:           _ZN7rocprim17ROCPRIM_400000_NS6detail17trampoline_kernelINS0_14default_configENS1_38merge_sort_block_merge_config_selectorIbNS0_10empty_typeEEEZZNS1_27merge_sort_block_merge_implIS3_PbPS5_jNS1_19radix_merge_compareILb1ELb1EbNS0_19identity_decomposerEEEEE10hipError_tT0_T1_T2_jT3_P12ihipStream_tbPNSt15iterator_traitsISE_E10value_typeEPNSK_ISF_E10value_typeEPSG_NS1_7vsmem_tEENKUlT_SE_SF_SG_E_clIS8_S8_S9_S9_EESD_ST_SE_SF_SG_EUlST_E0_NS1_11comp_targetILNS1_3genE4ELNS1_11target_archE910ELNS1_3gpuE8ELNS1_3repE0EEENS1_38merge_mergepath_config_static_selectorELNS0_4arch9wavefront6targetE0EEEvSF_
    .private_segment_fixed_size: 0
    .sgpr_count:     0
    .sgpr_spill_count: 0
    .symbol:         _ZN7rocprim17ROCPRIM_400000_NS6detail17trampoline_kernelINS0_14default_configENS1_38merge_sort_block_merge_config_selectorIbNS0_10empty_typeEEEZZNS1_27merge_sort_block_merge_implIS3_PbPS5_jNS1_19radix_merge_compareILb1ELb1EbNS0_19identity_decomposerEEEEE10hipError_tT0_T1_T2_jT3_P12ihipStream_tbPNSt15iterator_traitsISE_E10value_typeEPNSK_ISF_E10value_typeEPSG_NS1_7vsmem_tEENKUlT_SE_SF_SG_E_clIS8_S8_S9_S9_EESD_ST_SE_SF_SG_EUlST_E0_NS1_11comp_targetILNS1_3genE4ELNS1_11target_archE910ELNS1_3gpuE8ELNS1_3repE0EEENS1_38merge_mergepath_config_static_selectorELNS0_4arch9wavefront6targetE0EEEvSF_.kd
    .uniform_work_group_size: 1
    .uses_dynamic_stack: false
    .vgpr_count:     0
    .vgpr_spill_count: 0
    .wavefront_size: 32
  - .args:
      - .offset:         0
        .size:           64
        .value_kind:     by_value
    .group_segment_fixed_size: 0
    .kernarg_segment_align: 8
    .kernarg_segment_size: 64
    .language:       OpenCL C
    .language_version:
      - 2
      - 0
    .max_flat_workgroup_size: 128
    .name:           _ZN7rocprim17ROCPRIM_400000_NS6detail17trampoline_kernelINS0_14default_configENS1_38merge_sort_block_merge_config_selectorIbNS0_10empty_typeEEEZZNS1_27merge_sort_block_merge_implIS3_PbPS5_jNS1_19radix_merge_compareILb1ELb1EbNS0_19identity_decomposerEEEEE10hipError_tT0_T1_T2_jT3_P12ihipStream_tbPNSt15iterator_traitsISE_E10value_typeEPNSK_ISF_E10value_typeEPSG_NS1_7vsmem_tEENKUlT_SE_SF_SG_E_clIS8_S8_S9_S9_EESD_ST_SE_SF_SG_EUlST_E0_NS1_11comp_targetILNS1_3genE3ELNS1_11target_archE908ELNS1_3gpuE7ELNS1_3repE0EEENS1_38merge_mergepath_config_static_selectorELNS0_4arch9wavefront6targetE0EEEvSF_
    .private_segment_fixed_size: 0
    .sgpr_count:     0
    .sgpr_spill_count: 0
    .symbol:         _ZN7rocprim17ROCPRIM_400000_NS6detail17trampoline_kernelINS0_14default_configENS1_38merge_sort_block_merge_config_selectorIbNS0_10empty_typeEEEZZNS1_27merge_sort_block_merge_implIS3_PbPS5_jNS1_19radix_merge_compareILb1ELb1EbNS0_19identity_decomposerEEEEE10hipError_tT0_T1_T2_jT3_P12ihipStream_tbPNSt15iterator_traitsISE_E10value_typeEPNSK_ISF_E10value_typeEPSG_NS1_7vsmem_tEENKUlT_SE_SF_SG_E_clIS8_S8_S9_S9_EESD_ST_SE_SF_SG_EUlST_E0_NS1_11comp_targetILNS1_3genE3ELNS1_11target_archE908ELNS1_3gpuE7ELNS1_3repE0EEENS1_38merge_mergepath_config_static_selectorELNS0_4arch9wavefront6targetE0EEEvSF_.kd
    .uniform_work_group_size: 1
    .uses_dynamic_stack: false
    .vgpr_count:     0
    .vgpr_spill_count: 0
    .wavefront_size: 32
  - .args:
      - .offset:         0
        .size:           64
        .value_kind:     by_value
    .group_segment_fixed_size: 0
    .kernarg_segment_align: 8
    .kernarg_segment_size: 64
    .language:       OpenCL C
    .language_version:
      - 2
      - 0
    .max_flat_workgroup_size: 128
    .name:           _ZN7rocprim17ROCPRIM_400000_NS6detail17trampoline_kernelINS0_14default_configENS1_38merge_sort_block_merge_config_selectorIbNS0_10empty_typeEEEZZNS1_27merge_sort_block_merge_implIS3_PbPS5_jNS1_19radix_merge_compareILb1ELb1EbNS0_19identity_decomposerEEEEE10hipError_tT0_T1_T2_jT3_P12ihipStream_tbPNSt15iterator_traitsISE_E10value_typeEPNSK_ISF_E10value_typeEPSG_NS1_7vsmem_tEENKUlT_SE_SF_SG_E_clIS8_S8_S9_S9_EESD_ST_SE_SF_SG_EUlST_E0_NS1_11comp_targetILNS1_3genE2ELNS1_11target_archE906ELNS1_3gpuE6ELNS1_3repE0EEENS1_38merge_mergepath_config_static_selectorELNS0_4arch9wavefront6targetE0EEEvSF_
    .private_segment_fixed_size: 0
    .sgpr_count:     0
    .sgpr_spill_count: 0
    .symbol:         _ZN7rocprim17ROCPRIM_400000_NS6detail17trampoline_kernelINS0_14default_configENS1_38merge_sort_block_merge_config_selectorIbNS0_10empty_typeEEEZZNS1_27merge_sort_block_merge_implIS3_PbPS5_jNS1_19radix_merge_compareILb1ELb1EbNS0_19identity_decomposerEEEEE10hipError_tT0_T1_T2_jT3_P12ihipStream_tbPNSt15iterator_traitsISE_E10value_typeEPNSK_ISF_E10value_typeEPSG_NS1_7vsmem_tEENKUlT_SE_SF_SG_E_clIS8_S8_S9_S9_EESD_ST_SE_SF_SG_EUlST_E0_NS1_11comp_targetILNS1_3genE2ELNS1_11target_archE906ELNS1_3gpuE6ELNS1_3repE0EEENS1_38merge_mergepath_config_static_selectorELNS0_4arch9wavefront6targetE0EEEvSF_.kd
    .uniform_work_group_size: 1
    .uses_dynamic_stack: false
    .vgpr_count:     0
    .vgpr_spill_count: 0
    .wavefront_size: 32
  - .args:
      - .offset:         0
        .size:           64
        .value_kind:     by_value
    .group_segment_fixed_size: 0
    .kernarg_segment_align: 8
    .kernarg_segment_size: 64
    .language:       OpenCL C
    .language_version:
      - 2
      - 0
    .max_flat_workgroup_size: 128
    .name:           _ZN7rocprim17ROCPRIM_400000_NS6detail17trampoline_kernelINS0_14default_configENS1_38merge_sort_block_merge_config_selectorIbNS0_10empty_typeEEEZZNS1_27merge_sort_block_merge_implIS3_PbPS5_jNS1_19radix_merge_compareILb1ELb1EbNS0_19identity_decomposerEEEEE10hipError_tT0_T1_T2_jT3_P12ihipStream_tbPNSt15iterator_traitsISE_E10value_typeEPNSK_ISF_E10value_typeEPSG_NS1_7vsmem_tEENKUlT_SE_SF_SG_E_clIS8_S8_S9_S9_EESD_ST_SE_SF_SG_EUlST_E0_NS1_11comp_targetILNS1_3genE9ELNS1_11target_archE1100ELNS1_3gpuE3ELNS1_3repE0EEENS1_38merge_mergepath_config_static_selectorELNS0_4arch9wavefront6targetE0EEEvSF_
    .private_segment_fixed_size: 0
    .sgpr_count:     0
    .sgpr_spill_count: 0
    .symbol:         _ZN7rocprim17ROCPRIM_400000_NS6detail17trampoline_kernelINS0_14default_configENS1_38merge_sort_block_merge_config_selectorIbNS0_10empty_typeEEEZZNS1_27merge_sort_block_merge_implIS3_PbPS5_jNS1_19radix_merge_compareILb1ELb1EbNS0_19identity_decomposerEEEEE10hipError_tT0_T1_T2_jT3_P12ihipStream_tbPNSt15iterator_traitsISE_E10value_typeEPNSK_ISF_E10value_typeEPSG_NS1_7vsmem_tEENKUlT_SE_SF_SG_E_clIS8_S8_S9_S9_EESD_ST_SE_SF_SG_EUlST_E0_NS1_11comp_targetILNS1_3genE9ELNS1_11target_archE1100ELNS1_3gpuE3ELNS1_3repE0EEENS1_38merge_mergepath_config_static_selectorELNS0_4arch9wavefront6targetE0EEEvSF_.kd
    .uniform_work_group_size: 1
    .uses_dynamic_stack: false
    .vgpr_count:     0
    .vgpr_spill_count: 0
    .wavefront_size: 32
  - .args:
      - .offset:         0
        .size:           64
        .value_kind:     by_value
    .group_segment_fixed_size: 0
    .kernarg_segment_align: 8
    .kernarg_segment_size: 64
    .language:       OpenCL C
    .language_version:
      - 2
      - 0
    .max_flat_workgroup_size: 128
    .name:           _ZN7rocprim17ROCPRIM_400000_NS6detail17trampoline_kernelINS0_14default_configENS1_38merge_sort_block_merge_config_selectorIbNS0_10empty_typeEEEZZNS1_27merge_sort_block_merge_implIS3_PbPS5_jNS1_19radix_merge_compareILb1ELb1EbNS0_19identity_decomposerEEEEE10hipError_tT0_T1_T2_jT3_P12ihipStream_tbPNSt15iterator_traitsISE_E10value_typeEPNSK_ISF_E10value_typeEPSG_NS1_7vsmem_tEENKUlT_SE_SF_SG_E_clIS8_S8_S9_S9_EESD_ST_SE_SF_SG_EUlST_E0_NS1_11comp_targetILNS1_3genE8ELNS1_11target_archE1030ELNS1_3gpuE2ELNS1_3repE0EEENS1_38merge_mergepath_config_static_selectorELNS0_4arch9wavefront6targetE0EEEvSF_
    .private_segment_fixed_size: 0
    .sgpr_count:     0
    .sgpr_spill_count: 0
    .symbol:         _ZN7rocprim17ROCPRIM_400000_NS6detail17trampoline_kernelINS0_14default_configENS1_38merge_sort_block_merge_config_selectorIbNS0_10empty_typeEEEZZNS1_27merge_sort_block_merge_implIS3_PbPS5_jNS1_19radix_merge_compareILb1ELb1EbNS0_19identity_decomposerEEEEE10hipError_tT0_T1_T2_jT3_P12ihipStream_tbPNSt15iterator_traitsISE_E10value_typeEPNSK_ISF_E10value_typeEPSG_NS1_7vsmem_tEENKUlT_SE_SF_SG_E_clIS8_S8_S9_S9_EESD_ST_SE_SF_SG_EUlST_E0_NS1_11comp_targetILNS1_3genE8ELNS1_11target_archE1030ELNS1_3gpuE2ELNS1_3repE0EEENS1_38merge_mergepath_config_static_selectorELNS0_4arch9wavefront6targetE0EEEvSF_.kd
    .uniform_work_group_size: 1
    .uses_dynamic_stack: false
    .vgpr_count:     0
    .vgpr_spill_count: 0
    .wavefront_size: 32
  - .args:
      - .offset:         0
        .size:           48
        .value_kind:     by_value
    .group_segment_fixed_size: 256
    .kernarg_segment_align: 8
    .kernarg_segment_size: 48
    .language:       OpenCL C
    .language_version:
      - 2
      - 0
    .max_flat_workgroup_size: 256
    .name:           _ZN7rocprim17ROCPRIM_400000_NS6detail17trampoline_kernelINS0_14default_configENS1_38merge_sort_block_merge_config_selectorIbNS0_10empty_typeEEEZZNS1_27merge_sort_block_merge_implIS3_PbPS5_jNS1_19radix_merge_compareILb1ELb1EbNS0_19identity_decomposerEEEEE10hipError_tT0_T1_T2_jT3_P12ihipStream_tbPNSt15iterator_traitsISE_E10value_typeEPNSK_ISF_E10value_typeEPSG_NS1_7vsmem_tEENKUlT_SE_SF_SG_E_clIS8_S8_S9_S9_EESD_ST_SE_SF_SG_EUlST_E1_NS1_11comp_targetILNS1_3genE0ELNS1_11target_archE4294967295ELNS1_3gpuE0ELNS1_3repE0EEENS1_36merge_oddeven_config_static_selectorELNS0_4arch9wavefront6targetE0EEEvSF_
    .private_segment_fixed_size: 0
    .sgpr_count:     17
    .sgpr_spill_count: 0
    .symbol:         _ZN7rocprim17ROCPRIM_400000_NS6detail17trampoline_kernelINS0_14default_configENS1_38merge_sort_block_merge_config_selectorIbNS0_10empty_typeEEEZZNS1_27merge_sort_block_merge_implIS3_PbPS5_jNS1_19radix_merge_compareILb1ELb1EbNS0_19identity_decomposerEEEEE10hipError_tT0_T1_T2_jT3_P12ihipStream_tbPNSt15iterator_traitsISE_E10value_typeEPNSK_ISF_E10value_typeEPSG_NS1_7vsmem_tEENKUlT_SE_SF_SG_E_clIS8_S8_S9_S9_EESD_ST_SE_SF_SG_EUlST_E1_NS1_11comp_targetILNS1_3genE0ELNS1_11target_archE4294967295ELNS1_3gpuE0ELNS1_3repE0EEENS1_36merge_oddeven_config_static_selectorELNS0_4arch9wavefront6targetE0EEEvSF_.kd
    .uniform_work_group_size: 1
    .uses_dynamic_stack: false
    .vgpr_count:     10
    .vgpr_spill_count: 0
    .wavefront_size: 32
  - .args:
      - .offset:         0
        .size:           48
        .value_kind:     by_value
    .group_segment_fixed_size: 0
    .kernarg_segment_align: 8
    .kernarg_segment_size: 48
    .language:       OpenCL C
    .language_version:
      - 2
      - 0
    .max_flat_workgroup_size: 256
    .name:           _ZN7rocprim17ROCPRIM_400000_NS6detail17trampoline_kernelINS0_14default_configENS1_38merge_sort_block_merge_config_selectorIbNS0_10empty_typeEEEZZNS1_27merge_sort_block_merge_implIS3_PbPS5_jNS1_19radix_merge_compareILb1ELb1EbNS0_19identity_decomposerEEEEE10hipError_tT0_T1_T2_jT3_P12ihipStream_tbPNSt15iterator_traitsISE_E10value_typeEPNSK_ISF_E10value_typeEPSG_NS1_7vsmem_tEENKUlT_SE_SF_SG_E_clIS8_S8_S9_S9_EESD_ST_SE_SF_SG_EUlST_E1_NS1_11comp_targetILNS1_3genE10ELNS1_11target_archE1201ELNS1_3gpuE5ELNS1_3repE0EEENS1_36merge_oddeven_config_static_selectorELNS0_4arch9wavefront6targetE0EEEvSF_
    .private_segment_fixed_size: 0
    .sgpr_count:     0
    .sgpr_spill_count: 0
    .symbol:         _ZN7rocprim17ROCPRIM_400000_NS6detail17trampoline_kernelINS0_14default_configENS1_38merge_sort_block_merge_config_selectorIbNS0_10empty_typeEEEZZNS1_27merge_sort_block_merge_implIS3_PbPS5_jNS1_19radix_merge_compareILb1ELb1EbNS0_19identity_decomposerEEEEE10hipError_tT0_T1_T2_jT3_P12ihipStream_tbPNSt15iterator_traitsISE_E10value_typeEPNSK_ISF_E10value_typeEPSG_NS1_7vsmem_tEENKUlT_SE_SF_SG_E_clIS8_S8_S9_S9_EESD_ST_SE_SF_SG_EUlST_E1_NS1_11comp_targetILNS1_3genE10ELNS1_11target_archE1201ELNS1_3gpuE5ELNS1_3repE0EEENS1_36merge_oddeven_config_static_selectorELNS0_4arch9wavefront6targetE0EEEvSF_.kd
    .uniform_work_group_size: 1
    .uses_dynamic_stack: false
    .vgpr_count:     0
    .vgpr_spill_count: 0
    .wavefront_size: 32
  - .args:
      - .offset:         0
        .size:           48
        .value_kind:     by_value
    .group_segment_fixed_size: 0
    .kernarg_segment_align: 8
    .kernarg_segment_size: 48
    .language:       OpenCL C
    .language_version:
      - 2
      - 0
    .max_flat_workgroup_size: 256
    .name:           _ZN7rocprim17ROCPRIM_400000_NS6detail17trampoline_kernelINS0_14default_configENS1_38merge_sort_block_merge_config_selectorIbNS0_10empty_typeEEEZZNS1_27merge_sort_block_merge_implIS3_PbPS5_jNS1_19radix_merge_compareILb1ELb1EbNS0_19identity_decomposerEEEEE10hipError_tT0_T1_T2_jT3_P12ihipStream_tbPNSt15iterator_traitsISE_E10value_typeEPNSK_ISF_E10value_typeEPSG_NS1_7vsmem_tEENKUlT_SE_SF_SG_E_clIS8_S8_S9_S9_EESD_ST_SE_SF_SG_EUlST_E1_NS1_11comp_targetILNS1_3genE5ELNS1_11target_archE942ELNS1_3gpuE9ELNS1_3repE0EEENS1_36merge_oddeven_config_static_selectorELNS0_4arch9wavefront6targetE0EEEvSF_
    .private_segment_fixed_size: 0
    .sgpr_count:     0
    .sgpr_spill_count: 0
    .symbol:         _ZN7rocprim17ROCPRIM_400000_NS6detail17trampoline_kernelINS0_14default_configENS1_38merge_sort_block_merge_config_selectorIbNS0_10empty_typeEEEZZNS1_27merge_sort_block_merge_implIS3_PbPS5_jNS1_19radix_merge_compareILb1ELb1EbNS0_19identity_decomposerEEEEE10hipError_tT0_T1_T2_jT3_P12ihipStream_tbPNSt15iterator_traitsISE_E10value_typeEPNSK_ISF_E10value_typeEPSG_NS1_7vsmem_tEENKUlT_SE_SF_SG_E_clIS8_S8_S9_S9_EESD_ST_SE_SF_SG_EUlST_E1_NS1_11comp_targetILNS1_3genE5ELNS1_11target_archE942ELNS1_3gpuE9ELNS1_3repE0EEENS1_36merge_oddeven_config_static_selectorELNS0_4arch9wavefront6targetE0EEEvSF_.kd
    .uniform_work_group_size: 1
    .uses_dynamic_stack: false
    .vgpr_count:     0
    .vgpr_spill_count: 0
    .wavefront_size: 32
  - .args:
      - .offset:         0
        .size:           48
        .value_kind:     by_value
    .group_segment_fixed_size: 0
    .kernarg_segment_align: 8
    .kernarg_segment_size: 48
    .language:       OpenCL C
    .language_version:
      - 2
      - 0
    .max_flat_workgroup_size: 256
    .name:           _ZN7rocprim17ROCPRIM_400000_NS6detail17trampoline_kernelINS0_14default_configENS1_38merge_sort_block_merge_config_selectorIbNS0_10empty_typeEEEZZNS1_27merge_sort_block_merge_implIS3_PbPS5_jNS1_19radix_merge_compareILb1ELb1EbNS0_19identity_decomposerEEEEE10hipError_tT0_T1_T2_jT3_P12ihipStream_tbPNSt15iterator_traitsISE_E10value_typeEPNSK_ISF_E10value_typeEPSG_NS1_7vsmem_tEENKUlT_SE_SF_SG_E_clIS8_S8_S9_S9_EESD_ST_SE_SF_SG_EUlST_E1_NS1_11comp_targetILNS1_3genE4ELNS1_11target_archE910ELNS1_3gpuE8ELNS1_3repE0EEENS1_36merge_oddeven_config_static_selectorELNS0_4arch9wavefront6targetE0EEEvSF_
    .private_segment_fixed_size: 0
    .sgpr_count:     0
    .sgpr_spill_count: 0
    .symbol:         _ZN7rocprim17ROCPRIM_400000_NS6detail17trampoline_kernelINS0_14default_configENS1_38merge_sort_block_merge_config_selectorIbNS0_10empty_typeEEEZZNS1_27merge_sort_block_merge_implIS3_PbPS5_jNS1_19radix_merge_compareILb1ELb1EbNS0_19identity_decomposerEEEEE10hipError_tT0_T1_T2_jT3_P12ihipStream_tbPNSt15iterator_traitsISE_E10value_typeEPNSK_ISF_E10value_typeEPSG_NS1_7vsmem_tEENKUlT_SE_SF_SG_E_clIS8_S8_S9_S9_EESD_ST_SE_SF_SG_EUlST_E1_NS1_11comp_targetILNS1_3genE4ELNS1_11target_archE910ELNS1_3gpuE8ELNS1_3repE0EEENS1_36merge_oddeven_config_static_selectorELNS0_4arch9wavefront6targetE0EEEvSF_.kd
    .uniform_work_group_size: 1
    .uses_dynamic_stack: false
    .vgpr_count:     0
    .vgpr_spill_count: 0
    .wavefront_size: 32
  - .args:
      - .offset:         0
        .size:           48
        .value_kind:     by_value
    .group_segment_fixed_size: 0
    .kernarg_segment_align: 8
    .kernarg_segment_size: 48
    .language:       OpenCL C
    .language_version:
      - 2
      - 0
    .max_flat_workgroup_size: 256
    .name:           _ZN7rocprim17ROCPRIM_400000_NS6detail17trampoline_kernelINS0_14default_configENS1_38merge_sort_block_merge_config_selectorIbNS0_10empty_typeEEEZZNS1_27merge_sort_block_merge_implIS3_PbPS5_jNS1_19radix_merge_compareILb1ELb1EbNS0_19identity_decomposerEEEEE10hipError_tT0_T1_T2_jT3_P12ihipStream_tbPNSt15iterator_traitsISE_E10value_typeEPNSK_ISF_E10value_typeEPSG_NS1_7vsmem_tEENKUlT_SE_SF_SG_E_clIS8_S8_S9_S9_EESD_ST_SE_SF_SG_EUlST_E1_NS1_11comp_targetILNS1_3genE3ELNS1_11target_archE908ELNS1_3gpuE7ELNS1_3repE0EEENS1_36merge_oddeven_config_static_selectorELNS0_4arch9wavefront6targetE0EEEvSF_
    .private_segment_fixed_size: 0
    .sgpr_count:     0
    .sgpr_spill_count: 0
    .symbol:         _ZN7rocprim17ROCPRIM_400000_NS6detail17trampoline_kernelINS0_14default_configENS1_38merge_sort_block_merge_config_selectorIbNS0_10empty_typeEEEZZNS1_27merge_sort_block_merge_implIS3_PbPS5_jNS1_19radix_merge_compareILb1ELb1EbNS0_19identity_decomposerEEEEE10hipError_tT0_T1_T2_jT3_P12ihipStream_tbPNSt15iterator_traitsISE_E10value_typeEPNSK_ISF_E10value_typeEPSG_NS1_7vsmem_tEENKUlT_SE_SF_SG_E_clIS8_S8_S9_S9_EESD_ST_SE_SF_SG_EUlST_E1_NS1_11comp_targetILNS1_3genE3ELNS1_11target_archE908ELNS1_3gpuE7ELNS1_3repE0EEENS1_36merge_oddeven_config_static_selectorELNS0_4arch9wavefront6targetE0EEEvSF_.kd
    .uniform_work_group_size: 1
    .uses_dynamic_stack: false
    .vgpr_count:     0
    .vgpr_spill_count: 0
    .wavefront_size: 32
  - .args:
      - .offset:         0
        .size:           48
        .value_kind:     by_value
    .group_segment_fixed_size: 0
    .kernarg_segment_align: 8
    .kernarg_segment_size: 48
    .language:       OpenCL C
    .language_version:
      - 2
      - 0
    .max_flat_workgroup_size: 256
    .name:           _ZN7rocprim17ROCPRIM_400000_NS6detail17trampoline_kernelINS0_14default_configENS1_38merge_sort_block_merge_config_selectorIbNS0_10empty_typeEEEZZNS1_27merge_sort_block_merge_implIS3_PbPS5_jNS1_19radix_merge_compareILb1ELb1EbNS0_19identity_decomposerEEEEE10hipError_tT0_T1_T2_jT3_P12ihipStream_tbPNSt15iterator_traitsISE_E10value_typeEPNSK_ISF_E10value_typeEPSG_NS1_7vsmem_tEENKUlT_SE_SF_SG_E_clIS8_S8_S9_S9_EESD_ST_SE_SF_SG_EUlST_E1_NS1_11comp_targetILNS1_3genE2ELNS1_11target_archE906ELNS1_3gpuE6ELNS1_3repE0EEENS1_36merge_oddeven_config_static_selectorELNS0_4arch9wavefront6targetE0EEEvSF_
    .private_segment_fixed_size: 0
    .sgpr_count:     0
    .sgpr_spill_count: 0
    .symbol:         _ZN7rocprim17ROCPRIM_400000_NS6detail17trampoline_kernelINS0_14default_configENS1_38merge_sort_block_merge_config_selectorIbNS0_10empty_typeEEEZZNS1_27merge_sort_block_merge_implIS3_PbPS5_jNS1_19radix_merge_compareILb1ELb1EbNS0_19identity_decomposerEEEEE10hipError_tT0_T1_T2_jT3_P12ihipStream_tbPNSt15iterator_traitsISE_E10value_typeEPNSK_ISF_E10value_typeEPSG_NS1_7vsmem_tEENKUlT_SE_SF_SG_E_clIS8_S8_S9_S9_EESD_ST_SE_SF_SG_EUlST_E1_NS1_11comp_targetILNS1_3genE2ELNS1_11target_archE906ELNS1_3gpuE6ELNS1_3repE0EEENS1_36merge_oddeven_config_static_selectorELNS0_4arch9wavefront6targetE0EEEvSF_.kd
    .uniform_work_group_size: 1
    .uses_dynamic_stack: false
    .vgpr_count:     0
    .vgpr_spill_count: 0
    .wavefront_size: 32
  - .args:
      - .offset:         0
        .size:           48
        .value_kind:     by_value
    .group_segment_fixed_size: 0
    .kernarg_segment_align: 8
    .kernarg_segment_size: 48
    .language:       OpenCL C
    .language_version:
      - 2
      - 0
    .max_flat_workgroup_size: 256
    .name:           _ZN7rocprim17ROCPRIM_400000_NS6detail17trampoline_kernelINS0_14default_configENS1_38merge_sort_block_merge_config_selectorIbNS0_10empty_typeEEEZZNS1_27merge_sort_block_merge_implIS3_PbPS5_jNS1_19radix_merge_compareILb1ELb1EbNS0_19identity_decomposerEEEEE10hipError_tT0_T1_T2_jT3_P12ihipStream_tbPNSt15iterator_traitsISE_E10value_typeEPNSK_ISF_E10value_typeEPSG_NS1_7vsmem_tEENKUlT_SE_SF_SG_E_clIS8_S8_S9_S9_EESD_ST_SE_SF_SG_EUlST_E1_NS1_11comp_targetILNS1_3genE9ELNS1_11target_archE1100ELNS1_3gpuE3ELNS1_3repE0EEENS1_36merge_oddeven_config_static_selectorELNS0_4arch9wavefront6targetE0EEEvSF_
    .private_segment_fixed_size: 0
    .sgpr_count:     0
    .sgpr_spill_count: 0
    .symbol:         _ZN7rocprim17ROCPRIM_400000_NS6detail17trampoline_kernelINS0_14default_configENS1_38merge_sort_block_merge_config_selectorIbNS0_10empty_typeEEEZZNS1_27merge_sort_block_merge_implIS3_PbPS5_jNS1_19radix_merge_compareILb1ELb1EbNS0_19identity_decomposerEEEEE10hipError_tT0_T1_T2_jT3_P12ihipStream_tbPNSt15iterator_traitsISE_E10value_typeEPNSK_ISF_E10value_typeEPSG_NS1_7vsmem_tEENKUlT_SE_SF_SG_E_clIS8_S8_S9_S9_EESD_ST_SE_SF_SG_EUlST_E1_NS1_11comp_targetILNS1_3genE9ELNS1_11target_archE1100ELNS1_3gpuE3ELNS1_3repE0EEENS1_36merge_oddeven_config_static_selectorELNS0_4arch9wavefront6targetE0EEEvSF_.kd
    .uniform_work_group_size: 1
    .uses_dynamic_stack: false
    .vgpr_count:     0
    .vgpr_spill_count: 0
    .wavefront_size: 32
  - .args:
      - .offset:         0
        .size:           48
        .value_kind:     by_value
    .group_segment_fixed_size: 0
    .kernarg_segment_align: 8
    .kernarg_segment_size: 48
    .language:       OpenCL C
    .language_version:
      - 2
      - 0
    .max_flat_workgroup_size: 256
    .name:           _ZN7rocprim17ROCPRIM_400000_NS6detail17trampoline_kernelINS0_14default_configENS1_38merge_sort_block_merge_config_selectorIbNS0_10empty_typeEEEZZNS1_27merge_sort_block_merge_implIS3_PbPS5_jNS1_19radix_merge_compareILb1ELb1EbNS0_19identity_decomposerEEEEE10hipError_tT0_T1_T2_jT3_P12ihipStream_tbPNSt15iterator_traitsISE_E10value_typeEPNSK_ISF_E10value_typeEPSG_NS1_7vsmem_tEENKUlT_SE_SF_SG_E_clIS8_S8_S9_S9_EESD_ST_SE_SF_SG_EUlST_E1_NS1_11comp_targetILNS1_3genE8ELNS1_11target_archE1030ELNS1_3gpuE2ELNS1_3repE0EEENS1_36merge_oddeven_config_static_selectorELNS0_4arch9wavefront6targetE0EEEvSF_
    .private_segment_fixed_size: 0
    .sgpr_count:     0
    .sgpr_spill_count: 0
    .symbol:         _ZN7rocprim17ROCPRIM_400000_NS6detail17trampoline_kernelINS0_14default_configENS1_38merge_sort_block_merge_config_selectorIbNS0_10empty_typeEEEZZNS1_27merge_sort_block_merge_implIS3_PbPS5_jNS1_19radix_merge_compareILb1ELb1EbNS0_19identity_decomposerEEEEE10hipError_tT0_T1_T2_jT3_P12ihipStream_tbPNSt15iterator_traitsISE_E10value_typeEPNSK_ISF_E10value_typeEPSG_NS1_7vsmem_tEENKUlT_SE_SF_SG_E_clIS8_S8_S9_S9_EESD_ST_SE_SF_SG_EUlST_E1_NS1_11comp_targetILNS1_3genE8ELNS1_11target_archE1030ELNS1_3gpuE2ELNS1_3repE0EEENS1_36merge_oddeven_config_static_selectorELNS0_4arch9wavefront6targetE0EEEvSF_.kd
    .uniform_work_group_size: 1
    .uses_dynamic_stack: false
    .vgpr_count:     0
    .vgpr_spill_count: 0
    .wavefront_size: 32
  - .args:
      - .offset:         0
        .size:           48
        .value_kind:     by_value
    .group_segment_fixed_size: 512
    .kernarg_segment_align: 8
    .kernarg_segment_size: 48
    .language:       OpenCL C
    .language_version:
      - 2
      - 0
    .max_flat_workgroup_size: 1024
    .name:           _ZN7rocprim17ROCPRIM_400000_NS6detail17trampoline_kernelINS0_14default_configENS1_35radix_sort_onesweep_config_selectorIbNS0_10empty_typeEEEZNS1_34radix_sort_onesweep_global_offsetsIS3_Lb1EPKbPS5_mNS0_19identity_decomposerEEE10hipError_tT1_T2_PT3_SF_jT4_jjP12ihipStream_tbEUlT_E_NS1_11comp_targetILNS1_3genE0ELNS1_11target_archE4294967295ELNS1_3gpuE0ELNS1_3repE0EEENS1_52radix_sort_onesweep_histogram_config_static_selectorELNS0_4arch9wavefront6targetE0EEEvSD_
    .private_segment_fixed_size: 0
    .sgpr_count:     36
    .sgpr_spill_count: 0
    .symbol:         _ZN7rocprim17ROCPRIM_400000_NS6detail17trampoline_kernelINS0_14default_configENS1_35radix_sort_onesweep_config_selectorIbNS0_10empty_typeEEEZNS1_34radix_sort_onesweep_global_offsetsIS3_Lb1EPKbPS5_mNS0_19identity_decomposerEEE10hipError_tT1_T2_PT3_SF_jT4_jjP12ihipStream_tbEUlT_E_NS1_11comp_targetILNS1_3genE0ELNS1_11target_archE4294967295ELNS1_3gpuE0ELNS1_3repE0EEENS1_52radix_sort_onesweep_histogram_config_static_selectorELNS0_4arch9wavefront6targetE0EEEvSD_.kd
    .uniform_work_group_size: 1
    .uses_dynamic_stack: false
    .vgpr_count:     47
    .vgpr_spill_count: 0
    .wavefront_size: 32
  - .args:
      - .offset:         0
        .size:           48
        .value_kind:     by_value
    .group_segment_fixed_size: 0
    .kernarg_segment_align: 8
    .kernarg_segment_size: 48
    .language:       OpenCL C
    .language_version:
      - 2
      - 0
    .max_flat_workgroup_size: 1024
    .name:           _ZN7rocprim17ROCPRIM_400000_NS6detail17trampoline_kernelINS0_14default_configENS1_35radix_sort_onesweep_config_selectorIbNS0_10empty_typeEEEZNS1_34radix_sort_onesweep_global_offsetsIS3_Lb1EPKbPS5_mNS0_19identity_decomposerEEE10hipError_tT1_T2_PT3_SF_jT4_jjP12ihipStream_tbEUlT_E_NS1_11comp_targetILNS1_3genE6ELNS1_11target_archE950ELNS1_3gpuE13ELNS1_3repE0EEENS1_52radix_sort_onesweep_histogram_config_static_selectorELNS0_4arch9wavefront6targetE0EEEvSD_
    .private_segment_fixed_size: 0
    .sgpr_count:     0
    .sgpr_spill_count: 0
    .symbol:         _ZN7rocprim17ROCPRIM_400000_NS6detail17trampoline_kernelINS0_14default_configENS1_35radix_sort_onesweep_config_selectorIbNS0_10empty_typeEEEZNS1_34radix_sort_onesweep_global_offsetsIS3_Lb1EPKbPS5_mNS0_19identity_decomposerEEE10hipError_tT1_T2_PT3_SF_jT4_jjP12ihipStream_tbEUlT_E_NS1_11comp_targetILNS1_3genE6ELNS1_11target_archE950ELNS1_3gpuE13ELNS1_3repE0EEENS1_52radix_sort_onesweep_histogram_config_static_selectorELNS0_4arch9wavefront6targetE0EEEvSD_.kd
    .uniform_work_group_size: 1
    .uses_dynamic_stack: false
    .vgpr_count:     0
    .vgpr_spill_count: 0
    .wavefront_size: 32
  - .args:
      - .offset:         0
        .size:           48
        .value_kind:     by_value
    .group_segment_fixed_size: 0
    .kernarg_segment_align: 8
    .kernarg_segment_size: 48
    .language:       OpenCL C
    .language_version:
      - 2
      - 0
    .max_flat_workgroup_size: 1024
    .name:           _ZN7rocprim17ROCPRIM_400000_NS6detail17trampoline_kernelINS0_14default_configENS1_35radix_sort_onesweep_config_selectorIbNS0_10empty_typeEEEZNS1_34radix_sort_onesweep_global_offsetsIS3_Lb1EPKbPS5_mNS0_19identity_decomposerEEE10hipError_tT1_T2_PT3_SF_jT4_jjP12ihipStream_tbEUlT_E_NS1_11comp_targetILNS1_3genE5ELNS1_11target_archE942ELNS1_3gpuE9ELNS1_3repE0EEENS1_52radix_sort_onesweep_histogram_config_static_selectorELNS0_4arch9wavefront6targetE0EEEvSD_
    .private_segment_fixed_size: 0
    .sgpr_count:     0
    .sgpr_spill_count: 0
    .symbol:         _ZN7rocprim17ROCPRIM_400000_NS6detail17trampoline_kernelINS0_14default_configENS1_35radix_sort_onesweep_config_selectorIbNS0_10empty_typeEEEZNS1_34radix_sort_onesweep_global_offsetsIS3_Lb1EPKbPS5_mNS0_19identity_decomposerEEE10hipError_tT1_T2_PT3_SF_jT4_jjP12ihipStream_tbEUlT_E_NS1_11comp_targetILNS1_3genE5ELNS1_11target_archE942ELNS1_3gpuE9ELNS1_3repE0EEENS1_52radix_sort_onesweep_histogram_config_static_selectorELNS0_4arch9wavefront6targetE0EEEvSD_.kd
    .uniform_work_group_size: 1
    .uses_dynamic_stack: false
    .vgpr_count:     0
    .vgpr_spill_count: 0
    .wavefront_size: 32
  - .args:
      - .offset:         0
        .size:           48
        .value_kind:     by_value
    .group_segment_fixed_size: 0
    .kernarg_segment_align: 8
    .kernarg_segment_size: 48
    .language:       OpenCL C
    .language_version:
      - 2
      - 0
    .max_flat_workgroup_size: 512
    .name:           _ZN7rocprim17ROCPRIM_400000_NS6detail17trampoline_kernelINS0_14default_configENS1_35radix_sort_onesweep_config_selectorIbNS0_10empty_typeEEEZNS1_34radix_sort_onesweep_global_offsetsIS3_Lb1EPKbPS5_mNS0_19identity_decomposerEEE10hipError_tT1_T2_PT3_SF_jT4_jjP12ihipStream_tbEUlT_E_NS1_11comp_targetILNS1_3genE2ELNS1_11target_archE906ELNS1_3gpuE6ELNS1_3repE0EEENS1_52radix_sort_onesweep_histogram_config_static_selectorELNS0_4arch9wavefront6targetE0EEEvSD_
    .private_segment_fixed_size: 0
    .sgpr_count:     0
    .sgpr_spill_count: 0
    .symbol:         _ZN7rocprim17ROCPRIM_400000_NS6detail17trampoline_kernelINS0_14default_configENS1_35radix_sort_onesweep_config_selectorIbNS0_10empty_typeEEEZNS1_34radix_sort_onesweep_global_offsetsIS3_Lb1EPKbPS5_mNS0_19identity_decomposerEEE10hipError_tT1_T2_PT3_SF_jT4_jjP12ihipStream_tbEUlT_E_NS1_11comp_targetILNS1_3genE2ELNS1_11target_archE906ELNS1_3gpuE6ELNS1_3repE0EEENS1_52radix_sort_onesweep_histogram_config_static_selectorELNS0_4arch9wavefront6targetE0EEEvSD_.kd
    .uniform_work_group_size: 1
    .uses_dynamic_stack: false
    .vgpr_count:     0
    .vgpr_spill_count: 0
    .wavefront_size: 32
  - .args:
      - .offset:         0
        .size:           48
        .value_kind:     by_value
    .group_segment_fixed_size: 0
    .kernarg_segment_align: 8
    .kernarg_segment_size: 48
    .language:       OpenCL C
    .language_version:
      - 2
      - 0
    .max_flat_workgroup_size: 512
    .name:           _ZN7rocprim17ROCPRIM_400000_NS6detail17trampoline_kernelINS0_14default_configENS1_35radix_sort_onesweep_config_selectorIbNS0_10empty_typeEEEZNS1_34radix_sort_onesweep_global_offsetsIS3_Lb1EPKbPS5_mNS0_19identity_decomposerEEE10hipError_tT1_T2_PT3_SF_jT4_jjP12ihipStream_tbEUlT_E_NS1_11comp_targetILNS1_3genE4ELNS1_11target_archE910ELNS1_3gpuE8ELNS1_3repE0EEENS1_52radix_sort_onesweep_histogram_config_static_selectorELNS0_4arch9wavefront6targetE0EEEvSD_
    .private_segment_fixed_size: 0
    .sgpr_count:     0
    .sgpr_spill_count: 0
    .symbol:         _ZN7rocprim17ROCPRIM_400000_NS6detail17trampoline_kernelINS0_14default_configENS1_35radix_sort_onesweep_config_selectorIbNS0_10empty_typeEEEZNS1_34radix_sort_onesweep_global_offsetsIS3_Lb1EPKbPS5_mNS0_19identity_decomposerEEE10hipError_tT1_T2_PT3_SF_jT4_jjP12ihipStream_tbEUlT_E_NS1_11comp_targetILNS1_3genE4ELNS1_11target_archE910ELNS1_3gpuE8ELNS1_3repE0EEENS1_52radix_sort_onesweep_histogram_config_static_selectorELNS0_4arch9wavefront6targetE0EEEvSD_.kd
    .uniform_work_group_size: 1
    .uses_dynamic_stack: false
    .vgpr_count:     0
    .vgpr_spill_count: 0
    .wavefront_size: 32
  - .args:
      - .offset:         0
        .size:           48
        .value_kind:     by_value
    .group_segment_fixed_size: 0
    .kernarg_segment_align: 8
    .kernarg_segment_size: 48
    .language:       OpenCL C
    .language_version:
      - 2
      - 0
    .max_flat_workgroup_size: 1024
    .name:           _ZN7rocprim17ROCPRIM_400000_NS6detail17trampoline_kernelINS0_14default_configENS1_35radix_sort_onesweep_config_selectorIbNS0_10empty_typeEEEZNS1_34radix_sort_onesweep_global_offsetsIS3_Lb1EPKbPS5_mNS0_19identity_decomposerEEE10hipError_tT1_T2_PT3_SF_jT4_jjP12ihipStream_tbEUlT_E_NS1_11comp_targetILNS1_3genE3ELNS1_11target_archE908ELNS1_3gpuE7ELNS1_3repE0EEENS1_52radix_sort_onesweep_histogram_config_static_selectorELNS0_4arch9wavefront6targetE0EEEvSD_
    .private_segment_fixed_size: 0
    .sgpr_count:     0
    .sgpr_spill_count: 0
    .symbol:         _ZN7rocprim17ROCPRIM_400000_NS6detail17trampoline_kernelINS0_14default_configENS1_35radix_sort_onesweep_config_selectorIbNS0_10empty_typeEEEZNS1_34radix_sort_onesweep_global_offsetsIS3_Lb1EPKbPS5_mNS0_19identity_decomposerEEE10hipError_tT1_T2_PT3_SF_jT4_jjP12ihipStream_tbEUlT_E_NS1_11comp_targetILNS1_3genE3ELNS1_11target_archE908ELNS1_3gpuE7ELNS1_3repE0EEENS1_52radix_sort_onesweep_histogram_config_static_selectorELNS0_4arch9wavefront6targetE0EEEvSD_.kd
    .uniform_work_group_size: 1
    .uses_dynamic_stack: false
    .vgpr_count:     0
    .vgpr_spill_count: 0
    .wavefront_size: 32
  - .args:
      - .offset:         0
        .size:           48
        .value_kind:     by_value
    .group_segment_fixed_size: 0
    .kernarg_segment_align: 8
    .kernarg_segment_size: 48
    .language:       OpenCL C
    .language_version:
      - 2
      - 0
    .max_flat_workgroup_size: 256
    .name:           _ZN7rocprim17ROCPRIM_400000_NS6detail17trampoline_kernelINS0_14default_configENS1_35radix_sort_onesweep_config_selectorIbNS0_10empty_typeEEEZNS1_34radix_sort_onesweep_global_offsetsIS3_Lb1EPKbPS5_mNS0_19identity_decomposerEEE10hipError_tT1_T2_PT3_SF_jT4_jjP12ihipStream_tbEUlT_E_NS1_11comp_targetILNS1_3genE10ELNS1_11target_archE1201ELNS1_3gpuE5ELNS1_3repE0EEENS1_52radix_sort_onesweep_histogram_config_static_selectorELNS0_4arch9wavefront6targetE0EEEvSD_
    .private_segment_fixed_size: 0
    .sgpr_count:     0
    .sgpr_spill_count: 0
    .symbol:         _ZN7rocprim17ROCPRIM_400000_NS6detail17trampoline_kernelINS0_14default_configENS1_35radix_sort_onesweep_config_selectorIbNS0_10empty_typeEEEZNS1_34radix_sort_onesweep_global_offsetsIS3_Lb1EPKbPS5_mNS0_19identity_decomposerEEE10hipError_tT1_T2_PT3_SF_jT4_jjP12ihipStream_tbEUlT_E_NS1_11comp_targetILNS1_3genE10ELNS1_11target_archE1201ELNS1_3gpuE5ELNS1_3repE0EEENS1_52radix_sort_onesweep_histogram_config_static_selectorELNS0_4arch9wavefront6targetE0EEEvSD_.kd
    .uniform_work_group_size: 1
    .uses_dynamic_stack: false
    .vgpr_count:     0
    .vgpr_spill_count: 0
    .wavefront_size: 32
  - .args:
      - .offset:         0
        .size:           48
        .value_kind:     by_value
    .group_segment_fixed_size: 0
    .kernarg_segment_align: 8
    .kernarg_segment_size: 48
    .language:       OpenCL C
    .language_version:
      - 2
      - 0
    .max_flat_workgroup_size: 256
    .name:           _ZN7rocprim17ROCPRIM_400000_NS6detail17trampoline_kernelINS0_14default_configENS1_35radix_sort_onesweep_config_selectorIbNS0_10empty_typeEEEZNS1_34radix_sort_onesweep_global_offsetsIS3_Lb1EPKbPS5_mNS0_19identity_decomposerEEE10hipError_tT1_T2_PT3_SF_jT4_jjP12ihipStream_tbEUlT_E_NS1_11comp_targetILNS1_3genE9ELNS1_11target_archE1100ELNS1_3gpuE3ELNS1_3repE0EEENS1_52radix_sort_onesweep_histogram_config_static_selectorELNS0_4arch9wavefront6targetE0EEEvSD_
    .private_segment_fixed_size: 0
    .sgpr_count:     0
    .sgpr_spill_count: 0
    .symbol:         _ZN7rocprim17ROCPRIM_400000_NS6detail17trampoline_kernelINS0_14default_configENS1_35radix_sort_onesweep_config_selectorIbNS0_10empty_typeEEEZNS1_34radix_sort_onesweep_global_offsetsIS3_Lb1EPKbPS5_mNS0_19identity_decomposerEEE10hipError_tT1_T2_PT3_SF_jT4_jjP12ihipStream_tbEUlT_E_NS1_11comp_targetILNS1_3genE9ELNS1_11target_archE1100ELNS1_3gpuE3ELNS1_3repE0EEENS1_52radix_sort_onesweep_histogram_config_static_selectorELNS0_4arch9wavefront6targetE0EEEvSD_.kd
    .uniform_work_group_size: 1
    .uses_dynamic_stack: false
    .vgpr_count:     0
    .vgpr_spill_count: 0
    .wavefront_size: 32
  - .args:
      - .offset:         0
        .size:           48
        .value_kind:     by_value
    .group_segment_fixed_size: 0
    .kernarg_segment_align: 8
    .kernarg_segment_size: 48
    .language:       OpenCL C
    .language_version:
      - 2
      - 0
    .max_flat_workgroup_size: 256
    .name:           _ZN7rocprim17ROCPRIM_400000_NS6detail17trampoline_kernelINS0_14default_configENS1_35radix_sort_onesweep_config_selectorIbNS0_10empty_typeEEEZNS1_34radix_sort_onesweep_global_offsetsIS3_Lb1EPKbPS5_mNS0_19identity_decomposerEEE10hipError_tT1_T2_PT3_SF_jT4_jjP12ihipStream_tbEUlT_E_NS1_11comp_targetILNS1_3genE8ELNS1_11target_archE1030ELNS1_3gpuE2ELNS1_3repE0EEENS1_52radix_sort_onesweep_histogram_config_static_selectorELNS0_4arch9wavefront6targetE0EEEvSD_
    .private_segment_fixed_size: 0
    .sgpr_count:     0
    .sgpr_spill_count: 0
    .symbol:         _ZN7rocprim17ROCPRIM_400000_NS6detail17trampoline_kernelINS0_14default_configENS1_35radix_sort_onesweep_config_selectorIbNS0_10empty_typeEEEZNS1_34radix_sort_onesweep_global_offsetsIS3_Lb1EPKbPS5_mNS0_19identity_decomposerEEE10hipError_tT1_T2_PT3_SF_jT4_jjP12ihipStream_tbEUlT_E_NS1_11comp_targetILNS1_3genE8ELNS1_11target_archE1030ELNS1_3gpuE2ELNS1_3repE0EEENS1_52radix_sort_onesweep_histogram_config_static_selectorELNS0_4arch9wavefront6targetE0EEEvSD_.kd
    .uniform_work_group_size: 1
    .uses_dynamic_stack: false
    .vgpr_count:     0
    .vgpr_spill_count: 0
    .wavefront_size: 32
  - .args:
      - .address_space:  global
        .offset:         0
        .size:           8
        .value_kind:     global_buffer
    .group_segment_fixed_size: 256
    .kernarg_segment_align: 8
    .kernarg_segment_size: 8
    .language:       OpenCL C
    .language_version:
      - 2
      - 0
    .max_flat_workgroup_size: 1024
    .name:           _ZN7rocprim17ROCPRIM_400000_NS6detail17trampoline_kernelINS0_14default_configENS1_35radix_sort_onesweep_config_selectorIbNS0_10empty_typeEEEZNS1_34radix_sort_onesweep_global_offsetsIS3_Lb1EPKbPS5_mNS0_19identity_decomposerEEE10hipError_tT1_T2_PT3_SF_jT4_jjP12ihipStream_tbEUlT_E0_NS1_11comp_targetILNS1_3genE0ELNS1_11target_archE4294967295ELNS1_3gpuE0ELNS1_3repE0EEENS1_52radix_sort_onesweep_histogram_config_static_selectorELNS0_4arch9wavefront6targetE0EEEvSD_
    .private_segment_fixed_size: 0
    .sgpr_count:     12
    .sgpr_spill_count: 0
    .symbol:         _ZN7rocprim17ROCPRIM_400000_NS6detail17trampoline_kernelINS0_14default_configENS1_35radix_sort_onesweep_config_selectorIbNS0_10empty_typeEEEZNS1_34radix_sort_onesweep_global_offsetsIS3_Lb1EPKbPS5_mNS0_19identity_decomposerEEE10hipError_tT1_T2_PT3_SF_jT4_jjP12ihipStream_tbEUlT_E0_NS1_11comp_targetILNS1_3genE0ELNS1_11target_archE4294967295ELNS1_3gpuE0ELNS1_3repE0EEENS1_52radix_sort_onesweep_histogram_config_static_selectorELNS0_4arch9wavefront6targetE0EEEvSD_.kd
    .uniform_work_group_size: 1
    .uses_dynamic_stack: false
    .vgpr_count:     14
    .vgpr_spill_count: 0
    .wavefront_size: 32
  - .args:
      - .address_space:  global
        .offset:         0
        .size:           8
        .value_kind:     global_buffer
    .group_segment_fixed_size: 0
    .kernarg_segment_align: 8
    .kernarg_segment_size: 8
    .language:       OpenCL C
    .language_version:
      - 2
      - 0
    .max_flat_workgroup_size: 1024
    .name:           _ZN7rocprim17ROCPRIM_400000_NS6detail17trampoline_kernelINS0_14default_configENS1_35radix_sort_onesweep_config_selectorIbNS0_10empty_typeEEEZNS1_34radix_sort_onesweep_global_offsetsIS3_Lb1EPKbPS5_mNS0_19identity_decomposerEEE10hipError_tT1_T2_PT3_SF_jT4_jjP12ihipStream_tbEUlT_E0_NS1_11comp_targetILNS1_3genE6ELNS1_11target_archE950ELNS1_3gpuE13ELNS1_3repE0EEENS1_52radix_sort_onesweep_histogram_config_static_selectorELNS0_4arch9wavefront6targetE0EEEvSD_
    .private_segment_fixed_size: 0
    .sgpr_count:     0
    .sgpr_spill_count: 0
    .symbol:         _ZN7rocprim17ROCPRIM_400000_NS6detail17trampoline_kernelINS0_14default_configENS1_35radix_sort_onesweep_config_selectorIbNS0_10empty_typeEEEZNS1_34radix_sort_onesweep_global_offsetsIS3_Lb1EPKbPS5_mNS0_19identity_decomposerEEE10hipError_tT1_T2_PT3_SF_jT4_jjP12ihipStream_tbEUlT_E0_NS1_11comp_targetILNS1_3genE6ELNS1_11target_archE950ELNS1_3gpuE13ELNS1_3repE0EEENS1_52radix_sort_onesweep_histogram_config_static_selectorELNS0_4arch9wavefront6targetE0EEEvSD_.kd
    .uniform_work_group_size: 1
    .uses_dynamic_stack: false
    .vgpr_count:     0
    .vgpr_spill_count: 0
    .wavefront_size: 32
  - .args:
      - .address_space:  global
        .offset:         0
        .size:           8
        .value_kind:     global_buffer
    .group_segment_fixed_size: 0
    .kernarg_segment_align: 8
    .kernarg_segment_size: 8
    .language:       OpenCL C
    .language_version:
      - 2
      - 0
    .max_flat_workgroup_size: 1024
    .name:           _ZN7rocprim17ROCPRIM_400000_NS6detail17trampoline_kernelINS0_14default_configENS1_35radix_sort_onesweep_config_selectorIbNS0_10empty_typeEEEZNS1_34radix_sort_onesweep_global_offsetsIS3_Lb1EPKbPS5_mNS0_19identity_decomposerEEE10hipError_tT1_T2_PT3_SF_jT4_jjP12ihipStream_tbEUlT_E0_NS1_11comp_targetILNS1_3genE5ELNS1_11target_archE942ELNS1_3gpuE9ELNS1_3repE0EEENS1_52radix_sort_onesweep_histogram_config_static_selectorELNS0_4arch9wavefront6targetE0EEEvSD_
    .private_segment_fixed_size: 0
    .sgpr_count:     0
    .sgpr_spill_count: 0
    .symbol:         _ZN7rocprim17ROCPRIM_400000_NS6detail17trampoline_kernelINS0_14default_configENS1_35radix_sort_onesweep_config_selectorIbNS0_10empty_typeEEEZNS1_34radix_sort_onesweep_global_offsetsIS3_Lb1EPKbPS5_mNS0_19identity_decomposerEEE10hipError_tT1_T2_PT3_SF_jT4_jjP12ihipStream_tbEUlT_E0_NS1_11comp_targetILNS1_3genE5ELNS1_11target_archE942ELNS1_3gpuE9ELNS1_3repE0EEENS1_52radix_sort_onesweep_histogram_config_static_selectorELNS0_4arch9wavefront6targetE0EEEvSD_.kd
    .uniform_work_group_size: 1
    .uses_dynamic_stack: false
    .vgpr_count:     0
    .vgpr_spill_count: 0
    .wavefront_size: 32
  - .args:
      - .address_space:  global
        .offset:         0
        .size:           8
        .value_kind:     global_buffer
    .group_segment_fixed_size: 0
    .kernarg_segment_align: 8
    .kernarg_segment_size: 8
    .language:       OpenCL C
    .language_version:
      - 2
      - 0
    .max_flat_workgroup_size: 512
    .name:           _ZN7rocprim17ROCPRIM_400000_NS6detail17trampoline_kernelINS0_14default_configENS1_35radix_sort_onesweep_config_selectorIbNS0_10empty_typeEEEZNS1_34radix_sort_onesweep_global_offsetsIS3_Lb1EPKbPS5_mNS0_19identity_decomposerEEE10hipError_tT1_T2_PT3_SF_jT4_jjP12ihipStream_tbEUlT_E0_NS1_11comp_targetILNS1_3genE2ELNS1_11target_archE906ELNS1_3gpuE6ELNS1_3repE0EEENS1_52radix_sort_onesweep_histogram_config_static_selectorELNS0_4arch9wavefront6targetE0EEEvSD_
    .private_segment_fixed_size: 0
    .sgpr_count:     0
    .sgpr_spill_count: 0
    .symbol:         _ZN7rocprim17ROCPRIM_400000_NS6detail17trampoline_kernelINS0_14default_configENS1_35radix_sort_onesweep_config_selectorIbNS0_10empty_typeEEEZNS1_34radix_sort_onesweep_global_offsetsIS3_Lb1EPKbPS5_mNS0_19identity_decomposerEEE10hipError_tT1_T2_PT3_SF_jT4_jjP12ihipStream_tbEUlT_E0_NS1_11comp_targetILNS1_3genE2ELNS1_11target_archE906ELNS1_3gpuE6ELNS1_3repE0EEENS1_52radix_sort_onesweep_histogram_config_static_selectorELNS0_4arch9wavefront6targetE0EEEvSD_.kd
    .uniform_work_group_size: 1
    .uses_dynamic_stack: false
    .vgpr_count:     0
    .vgpr_spill_count: 0
    .wavefront_size: 32
  - .args:
      - .address_space:  global
        .offset:         0
        .size:           8
        .value_kind:     global_buffer
    .group_segment_fixed_size: 0
    .kernarg_segment_align: 8
    .kernarg_segment_size: 8
    .language:       OpenCL C
    .language_version:
      - 2
      - 0
    .max_flat_workgroup_size: 512
    .name:           _ZN7rocprim17ROCPRIM_400000_NS6detail17trampoline_kernelINS0_14default_configENS1_35radix_sort_onesweep_config_selectorIbNS0_10empty_typeEEEZNS1_34radix_sort_onesweep_global_offsetsIS3_Lb1EPKbPS5_mNS0_19identity_decomposerEEE10hipError_tT1_T2_PT3_SF_jT4_jjP12ihipStream_tbEUlT_E0_NS1_11comp_targetILNS1_3genE4ELNS1_11target_archE910ELNS1_3gpuE8ELNS1_3repE0EEENS1_52radix_sort_onesweep_histogram_config_static_selectorELNS0_4arch9wavefront6targetE0EEEvSD_
    .private_segment_fixed_size: 0
    .sgpr_count:     0
    .sgpr_spill_count: 0
    .symbol:         _ZN7rocprim17ROCPRIM_400000_NS6detail17trampoline_kernelINS0_14default_configENS1_35radix_sort_onesweep_config_selectorIbNS0_10empty_typeEEEZNS1_34radix_sort_onesweep_global_offsetsIS3_Lb1EPKbPS5_mNS0_19identity_decomposerEEE10hipError_tT1_T2_PT3_SF_jT4_jjP12ihipStream_tbEUlT_E0_NS1_11comp_targetILNS1_3genE4ELNS1_11target_archE910ELNS1_3gpuE8ELNS1_3repE0EEENS1_52radix_sort_onesweep_histogram_config_static_selectorELNS0_4arch9wavefront6targetE0EEEvSD_.kd
    .uniform_work_group_size: 1
    .uses_dynamic_stack: false
    .vgpr_count:     0
    .vgpr_spill_count: 0
    .wavefront_size: 32
  - .args:
      - .address_space:  global
        .offset:         0
        .size:           8
        .value_kind:     global_buffer
    .group_segment_fixed_size: 0
    .kernarg_segment_align: 8
    .kernarg_segment_size: 8
    .language:       OpenCL C
    .language_version:
      - 2
      - 0
    .max_flat_workgroup_size: 1024
    .name:           _ZN7rocprim17ROCPRIM_400000_NS6detail17trampoline_kernelINS0_14default_configENS1_35radix_sort_onesweep_config_selectorIbNS0_10empty_typeEEEZNS1_34radix_sort_onesweep_global_offsetsIS3_Lb1EPKbPS5_mNS0_19identity_decomposerEEE10hipError_tT1_T2_PT3_SF_jT4_jjP12ihipStream_tbEUlT_E0_NS1_11comp_targetILNS1_3genE3ELNS1_11target_archE908ELNS1_3gpuE7ELNS1_3repE0EEENS1_52radix_sort_onesweep_histogram_config_static_selectorELNS0_4arch9wavefront6targetE0EEEvSD_
    .private_segment_fixed_size: 0
    .sgpr_count:     0
    .sgpr_spill_count: 0
    .symbol:         _ZN7rocprim17ROCPRIM_400000_NS6detail17trampoline_kernelINS0_14default_configENS1_35radix_sort_onesweep_config_selectorIbNS0_10empty_typeEEEZNS1_34radix_sort_onesweep_global_offsetsIS3_Lb1EPKbPS5_mNS0_19identity_decomposerEEE10hipError_tT1_T2_PT3_SF_jT4_jjP12ihipStream_tbEUlT_E0_NS1_11comp_targetILNS1_3genE3ELNS1_11target_archE908ELNS1_3gpuE7ELNS1_3repE0EEENS1_52radix_sort_onesweep_histogram_config_static_selectorELNS0_4arch9wavefront6targetE0EEEvSD_.kd
    .uniform_work_group_size: 1
    .uses_dynamic_stack: false
    .vgpr_count:     0
    .vgpr_spill_count: 0
    .wavefront_size: 32
  - .args:
      - .address_space:  global
        .offset:         0
        .size:           8
        .value_kind:     global_buffer
    .group_segment_fixed_size: 0
    .kernarg_segment_align: 8
    .kernarg_segment_size: 8
    .language:       OpenCL C
    .language_version:
      - 2
      - 0
    .max_flat_workgroup_size: 256
    .name:           _ZN7rocprim17ROCPRIM_400000_NS6detail17trampoline_kernelINS0_14default_configENS1_35radix_sort_onesweep_config_selectorIbNS0_10empty_typeEEEZNS1_34radix_sort_onesweep_global_offsetsIS3_Lb1EPKbPS5_mNS0_19identity_decomposerEEE10hipError_tT1_T2_PT3_SF_jT4_jjP12ihipStream_tbEUlT_E0_NS1_11comp_targetILNS1_3genE10ELNS1_11target_archE1201ELNS1_3gpuE5ELNS1_3repE0EEENS1_52radix_sort_onesweep_histogram_config_static_selectorELNS0_4arch9wavefront6targetE0EEEvSD_
    .private_segment_fixed_size: 0
    .sgpr_count:     0
    .sgpr_spill_count: 0
    .symbol:         _ZN7rocprim17ROCPRIM_400000_NS6detail17trampoline_kernelINS0_14default_configENS1_35radix_sort_onesweep_config_selectorIbNS0_10empty_typeEEEZNS1_34radix_sort_onesweep_global_offsetsIS3_Lb1EPKbPS5_mNS0_19identity_decomposerEEE10hipError_tT1_T2_PT3_SF_jT4_jjP12ihipStream_tbEUlT_E0_NS1_11comp_targetILNS1_3genE10ELNS1_11target_archE1201ELNS1_3gpuE5ELNS1_3repE0EEENS1_52radix_sort_onesweep_histogram_config_static_selectorELNS0_4arch9wavefront6targetE0EEEvSD_.kd
    .uniform_work_group_size: 1
    .uses_dynamic_stack: false
    .vgpr_count:     0
    .vgpr_spill_count: 0
    .wavefront_size: 32
  - .args:
      - .address_space:  global
        .offset:         0
        .size:           8
        .value_kind:     global_buffer
    .group_segment_fixed_size: 0
    .kernarg_segment_align: 8
    .kernarg_segment_size: 8
    .language:       OpenCL C
    .language_version:
      - 2
      - 0
    .max_flat_workgroup_size: 256
    .name:           _ZN7rocprim17ROCPRIM_400000_NS6detail17trampoline_kernelINS0_14default_configENS1_35radix_sort_onesweep_config_selectorIbNS0_10empty_typeEEEZNS1_34radix_sort_onesweep_global_offsetsIS3_Lb1EPKbPS5_mNS0_19identity_decomposerEEE10hipError_tT1_T2_PT3_SF_jT4_jjP12ihipStream_tbEUlT_E0_NS1_11comp_targetILNS1_3genE9ELNS1_11target_archE1100ELNS1_3gpuE3ELNS1_3repE0EEENS1_52radix_sort_onesweep_histogram_config_static_selectorELNS0_4arch9wavefront6targetE0EEEvSD_
    .private_segment_fixed_size: 0
    .sgpr_count:     0
    .sgpr_spill_count: 0
    .symbol:         _ZN7rocprim17ROCPRIM_400000_NS6detail17trampoline_kernelINS0_14default_configENS1_35radix_sort_onesweep_config_selectorIbNS0_10empty_typeEEEZNS1_34radix_sort_onesweep_global_offsetsIS3_Lb1EPKbPS5_mNS0_19identity_decomposerEEE10hipError_tT1_T2_PT3_SF_jT4_jjP12ihipStream_tbEUlT_E0_NS1_11comp_targetILNS1_3genE9ELNS1_11target_archE1100ELNS1_3gpuE3ELNS1_3repE0EEENS1_52radix_sort_onesweep_histogram_config_static_selectorELNS0_4arch9wavefront6targetE0EEEvSD_.kd
    .uniform_work_group_size: 1
    .uses_dynamic_stack: false
    .vgpr_count:     0
    .vgpr_spill_count: 0
    .wavefront_size: 32
  - .args:
      - .address_space:  global
        .offset:         0
        .size:           8
        .value_kind:     global_buffer
    .group_segment_fixed_size: 0
    .kernarg_segment_align: 8
    .kernarg_segment_size: 8
    .language:       OpenCL C
    .language_version:
      - 2
      - 0
    .max_flat_workgroup_size: 256
    .name:           _ZN7rocprim17ROCPRIM_400000_NS6detail17trampoline_kernelINS0_14default_configENS1_35radix_sort_onesweep_config_selectorIbNS0_10empty_typeEEEZNS1_34radix_sort_onesweep_global_offsetsIS3_Lb1EPKbPS5_mNS0_19identity_decomposerEEE10hipError_tT1_T2_PT3_SF_jT4_jjP12ihipStream_tbEUlT_E0_NS1_11comp_targetILNS1_3genE8ELNS1_11target_archE1030ELNS1_3gpuE2ELNS1_3repE0EEENS1_52radix_sort_onesweep_histogram_config_static_selectorELNS0_4arch9wavefront6targetE0EEEvSD_
    .private_segment_fixed_size: 0
    .sgpr_count:     0
    .sgpr_spill_count: 0
    .symbol:         _ZN7rocprim17ROCPRIM_400000_NS6detail17trampoline_kernelINS0_14default_configENS1_35radix_sort_onesweep_config_selectorIbNS0_10empty_typeEEEZNS1_34radix_sort_onesweep_global_offsetsIS3_Lb1EPKbPS5_mNS0_19identity_decomposerEEE10hipError_tT1_T2_PT3_SF_jT4_jjP12ihipStream_tbEUlT_E0_NS1_11comp_targetILNS1_3genE8ELNS1_11target_archE1030ELNS1_3gpuE2ELNS1_3repE0EEENS1_52radix_sort_onesweep_histogram_config_static_selectorELNS0_4arch9wavefront6targetE0EEEvSD_.kd
    .uniform_work_group_size: 1
    .uses_dynamic_stack: false
    .vgpr_count:     0
    .vgpr_spill_count: 0
    .wavefront_size: 32
  - .args:
      - .offset:         0
        .size:           40
        .value_kind:     by_value
      - .offset:         40
        .size:           4
        .value_kind:     hidden_block_count_x
      - .offset:         44
        .size:           4
        .value_kind:     hidden_block_count_y
      - .offset:         48
        .size:           4
        .value_kind:     hidden_block_count_z
      - .offset:         52
        .size:           2
        .value_kind:     hidden_group_size_x
      - .offset:         54
        .size:           2
        .value_kind:     hidden_group_size_y
      - .offset:         56
        .size:           2
        .value_kind:     hidden_group_size_z
      - .offset:         58
        .size:           2
        .value_kind:     hidden_remainder_x
      - .offset:         60
        .size:           2
        .value_kind:     hidden_remainder_y
      - .offset:         62
        .size:           2
        .value_kind:     hidden_remainder_z
      - .offset:         80
        .size:           8
        .value_kind:     hidden_global_offset_x
      - .offset:         88
        .size:           8
        .value_kind:     hidden_global_offset_y
      - .offset:         96
        .size:           8
        .value_kind:     hidden_global_offset_z
      - .offset:         104
        .size:           2
        .value_kind:     hidden_grid_dims
    .group_segment_fixed_size: 0
    .kernarg_segment_align: 8
    .kernarg_segment_size: 296
    .language:       OpenCL C
    .language_version:
      - 2
      - 0
    .max_flat_workgroup_size: 128
    .name:           _ZN7rocprim17ROCPRIM_400000_NS6detail17trampoline_kernelINS0_14default_configENS1_25transform_config_selectorIbLb1EEEZNS1_14transform_implILb1ES3_S5_PKbPbNS0_8identityIbEEEE10hipError_tT2_T3_mT4_P12ihipStream_tbEUlT_E_NS1_11comp_targetILNS1_3genE0ELNS1_11target_archE4294967295ELNS1_3gpuE0ELNS1_3repE0EEENS1_30default_config_static_selectorELNS0_4arch9wavefront6targetE0EEEvT1_
    .private_segment_fixed_size: 0
    .sgpr_count:     16
    .sgpr_spill_count: 0
    .symbol:         _ZN7rocprim17ROCPRIM_400000_NS6detail17trampoline_kernelINS0_14default_configENS1_25transform_config_selectorIbLb1EEEZNS1_14transform_implILb1ES3_S5_PKbPbNS0_8identityIbEEEE10hipError_tT2_T3_mT4_P12ihipStream_tbEUlT_E_NS1_11comp_targetILNS1_3genE0ELNS1_11target_archE4294967295ELNS1_3gpuE0ELNS1_3repE0EEENS1_30default_config_static_selectorELNS0_4arch9wavefront6targetE0EEEvT1_.kd
    .uniform_work_group_size: 1
    .uses_dynamic_stack: false
    .vgpr_count:     12
    .vgpr_spill_count: 0
    .wavefront_size: 32
  - .args:
      - .offset:         0
        .size:           40
        .value_kind:     by_value
    .group_segment_fixed_size: 0
    .kernarg_segment_align: 8
    .kernarg_segment_size: 40
    .language:       OpenCL C
    .language_version:
      - 2
      - 0
    .max_flat_workgroup_size: 1024
    .name:           _ZN7rocprim17ROCPRIM_400000_NS6detail17trampoline_kernelINS0_14default_configENS1_25transform_config_selectorIbLb1EEEZNS1_14transform_implILb1ES3_S5_PKbPbNS0_8identityIbEEEE10hipError_tT2_T3_mT4_P12ihipStream_tbEUlT_E_NS1_11comp_targetILNS1_3genE10ELNS1_11target_archE1201ELNS1_3gpuE5ELNS1_3repE0EEENS1_30default_config_static_selectorELNS0_4arch9wavefront6targetE0EEEvT1_
    .private_segment_fixed_size: 0
    .sgpr_count:     0
    .sgpr_spill_count: 0
    .symbol:         _ZN7rocprim17ROCPRIM_400000_NS6detail17trampoline_kernelINS0_14default_configENS1_25transform_config_selectorIbLb1EEEZNS1_14transform_implILb1ES3_S5_PKbPbNS0_8identityIbEEEE10hipError_tT2_T3_mT4_P12ihipStream_tbEUlT_E_NS1_11comp_targetILNS1_3genE10ELNS1_11target_archE1201ELNS1_3gpuE5ELNS1_3repE0EEENS1_30default_config_static_selectorELNS0_4arch9wavefront6targetE0EEEvT1_.kd
    .uniform_work_group_size: 1
    .uses_dynamic_stack: false
    .vgpr_count:     0
    .vgpr_spill_count: 0
    .wavefront_size: 32
  - .args:
      - .offset:         0
        .size:           40
        .value_kind:     by_value
    .group_segment_fixed_size: 0
    .kernarg_segment_align: 8
    .kernarg_segment_size: 40
    .language:       OpenCL C
    .language_version:
      - 2
      - 0
    .max_flat_workgroup_size: 256
    .name:           _ZN7rocprim17ROCPRIM_400000_NS6detail17trampoline_kernelINS0_14default_configENS1_25transform_config_selectorIbLb1EEEZNS1_14transform_implILb1ES3_S5_PKbPbNS0_8identityIbEEEE10hipError_tT2_T3_mT4_P12ihipStream_tbEUlT_E_NS1_11comp_targetILNS1_3genE5ELNS1_11target_archE942ELNS1_3gpuE9ELNS1_3repE0EEENS1_30default_config_static_selectorELNS0_4arch9wavefront6targetE0EEEvT1_
    .private_segment_fixed_size: 0
    .sgpr_count:     0
    .sgpr_spill_count: 0
    .symbol:         _ZN7rocprim17ROCPRIM_400000_NS6detail17trampoline_kernelINS0_14default_configENS1_25transform_config_selectorIbLb1EEEZNS1_14transform_implILb1ES3_S5_PKbPbNS0_8identityIbEEEE10hipError_tT2_T3_mT4_P12ihipStream_tbEUlT_E_NS1_11comp_targetILNS1_3genE5ELNS1_11target_archE942ELNS1_3gpuE9ELNS1_3repE0EEENS1_30default_config_static_selectorELNS0_4arch9wavefront6targetE0EEEvT1_.kd
    .uniform_work_group_size: 1
    .uses_dynamic_stack: false
    .vgpr_count:     0
    .vgpr_spill_count: 0
    .wavefront_size: 32
  - .args:
      - .offset:         0
        .size:           40
        .value_kind:     by_value
    .group_segment_fixed_size: 0
    .kernarg_segment_align: 8
    .kernarg_segment_size: 40
    .language:       OpenCL C
    .language_version:
      - 2
      - 0
    .max_flat_workgroup_size: 1024
    .name:           _ZN7rocprim17ROCPRIM_400000_NS6detail17trampoline_kernelINS0_14default_configENS1_25transform_config_selectorIbLb1EEEZNS1_14transform_implILb1ES3_S5_PKbPbNS0_8identityIbEEEE10hipError_tT2_T3_mT4_P12ihipStream_tbEUlT_E_NS1_11comp_targetILNS1_3genE4ELNS1_11target_archE910ELNS1_3gpuE8ELNS1_3repE0EEENS1_30default_config_static_selectorELNS0_4arch9wavefront6targetE0EEEvT1_
    .private_segment_fixed_size: 0
    .sgpr_count:     0
    .sgpr_spill_count: 0
    .symbol:         _ZN7rocprim17ROCPRIM_400000_NS6detail17trampoline_kernelINS0_14default_configENS1_25transform_config_selectorIbLb1EEEZNS1_14transform_implILb1ES3_S5_PKbPbNS0_8identityIbEEEE10hipError_tT2_T3_mT4_P12ihipStream_tbEUlT_E_NS1_11comp_targetILNS1_3genE4ELNS1_11target_archE910ELNS1_3gpuE8ELNS1_3repE0EEENS1_30default_config_static_selectorELNS0_4arch9wavefront6targetE0EEEvT1_.kd
    .uniform_work_group_size: 1
    .uses_dynamic_stack: false
    .vgpr_count:     0
    .vgpr_spill_count: 0
    .wavefront_size: 32
  - .args:
      - .offset:         0
        .size:           40
        .value_kind:     by_value
    .group_segment_fixed_size: 0
    .kernarg_segment_align: 8
    .kernarg_segment_size: 40
    .language:       OpenCL C
    .language_version:
      - 2
      - 0
    .max_flat_workgroup_size: 128
    .name:           _ZN7rocprim17ROCPRIM_400000_NS6detail17trampoline_kernelINS0_14default_configENS1_25transform_config_selectorIbLb1EEEZNS1_14transform_implILb1ES3_S5_PKbPbNS0_8identityIbEEEE10hipError_tT2_T3_mT4_P12ihipStream_tbEUlT_E_NS1_11comp_targetILNS1_3genE3ELNS1_11target_archE908ELNS1_3gpuE7ELNS1_3repE0EEENS1_30default_config_static_selectorELNS0_4arch9wavefront6targetE0EEEvT1_
    .private_segment_fixed_size: 0
    .sgpr_count:     0
    .sgpr_spill_count: 0
    .symbol:         _ZN7rocprim17ROCPRIM_400000_NS6detail17trampoline_kernelINS0_14default_configENS1_25transform_config_selectorIbLb1EEEZNS1_14transform_implILb1ES3_S5_PKbPbNS0_8identityIbEEEE10hipError_tT2_T3_mT4_P12ihipStream_tbEUlT_E_NS1_11comp_targetILNS1_3genE3ELNS1_11target_archE908ELNS1_3gpuE7ELNS1_3repE0EEENS1_30default_config_static_selectorELNS0_4arch9wavefront6targetE0EEEvT1_.kd
    .uniform_work_group_size: 1
    .uses_dynamic_stack: false
    .vgpr_count:     0
    .vgpr_spill_count: 0
    .wavefront_size: 32
  - .args:
      - .offset:         0
        .size:           40
        .value_kind:     by_value
    .group_segment_fixed_size: 0
    .kernarg_segment_align: 8
    .kernarg_segment_size: 40
    .language:       OpenCL C
    .language_version:
      - 2
      - 0
    .max_flat_workgroup_size: 512
    .name:           _ZN7rocprim17ROCPRIM_400000_NS6detail17trampoline_kernelINS0_14default_configENS1_25transform_config_selectorIbLb1EEEZNS1_14transform_implILb1ES3_S5_PKbPbNS0_8identityIbEEEE10hipError_tT2_T3_mT4_P12ihipStream_tbEUlT_E_NS1_11comp_targetILNS1_3genE2ELNS1_11target_archE906ELNS1_3gpuE6ELNS1_3repE0EEENS1_30default_config_static_selectorELNS0_4arch9wavefront6targetE0EEEvT1_
    .private_segment_fixed_size: 0
    .sgpr_count:     0
    .sgpr_spill_count: 0
    .symbol:         _ZN7rocprim17ROCPRIM_400000_NS6detail17trampoline_kernelINS0_14default_configENS1_25transform_config_selectorIbLb1EEEZNS1_14transform_implILb1ES3_S5_PKbPbNS0_8identityIbEEEE10hipError_tT2_T3_mT4_P12ihipStream_tbEUlT_E_NS1_11comp_targetILNS1_3genE2ELNS1_11target_archE906ELNS1_3gpuE6ELNS1_3repE0EEENS1_30default_config_static_selectorELNS0_4arch9wavefront6targetE0EEEvT1_.kd
    .uniform_work_group_size: 1
    .uses_dynamic_stack: false
    .vgpr_count:     0
    .vgpr_spill_count: 0
    .wavefront_size: 32
  - .args:
      - .offset:         0
        .size:           40
        .value_kind:     by_value
    .group_segment_fixed_size: 0
    .kernarg_segment_align: 8
    .kernarg_segment_size: 40
    .language:       OpenCL C
    .language_version:
      - 2
      - 0
    .max_flat_workgroup_size: 1024
    .name:           _ZN7rocprim17ROCPRIM_400000_NS6detail17trampoline_kernelINS0_14default_configENS1_25transform_config_selectorIbLb1EEEZNS1_14transform_implILb1ES3_S5_PKbPbNS0_8identityIbEEEE10hipError_tT2_T3_mT4_P12ihipStream_tbEUlT_E_NS1_11comp_targetILNS1_3genE9ELNS1_11target_archE1100ELNS1_3gpuE3ELNS1_3repE0EEENS1_30default_config_static_selectorELNS0_4arch9wavefront6targetE0EEEvT1_
    .private_segment_fixed_size: 0
    .sgpr_count:     0
    .sgpr_spill_count: 0
    .symbol:         _ZN7rocprim17ROCPRIM_400000_NS6detail17trampoline_kernelINS0_14default_configENS1_25transform_config_selectorIbLb1EEEZNS1_14transform_implILb1ES3_S5_PKbPbNS0_8identityIbEEEE10hipError_tT2_T3_mT4_P12ihipStream_tbEUlT_E_NS1_11comp_targetILNS1_3genE9ELNS1_11target_archE1100ELNS1_3gpuE3ELNS1_3repE0EEENS1_30default_config_static_selectorELNS0_4arch9wavefront6targetE0EEEvT1_.kd
    .uniform_work_group_size: 1
    .uses_dynamic_stack: false
    .vgpr_count:     0
    .vgpr_spill_count: 0
    .wavefront_size: 32
  - .args:
      - .offset:         0
        .size:           40
        .value_kind:     by_value
    .group_segment_fixed_size: 0
    .kernarg_segment_align: 8
    .kernarg_segment_size: 40
    .language:       OpenCL C
    .language_version:
      - 2
      - 0
    .max_flat_workgroup_size: 1024
    .name:           _ZN7rocprim17ROCPRIM_400000_NS6detail17trampoline_kernelINS0_14default_configENS1_25transform_config_selectorIbLb1EEEZNS1_14transform_implILb1ES3_S5_PKbPbNS0_8identityIbEEEE10hipError_tT2_T3_mT4_P12ihipStream_tbEUlT_E_NS1_11comp_targetILNS1_3genE8ELNS1_11target_archE1030ELNS1_3gpuE2ELNS1_3repE0EEENS1_30default_config_static_selectorELNS0_4arch9wavefront6targetE0EEEvT1_
    .private_segment_fixed_size: 0
    .sgpr_count:     0
    .sgpr_spill_count: 0
    .symbol:         _ZN7rocprim17ROCPRIM_400000_NS6detail17trampoline_kernelINS0_14default_configENS1_25transform_config_selectorIbLb1EEEZNS1_14transform_implILb1ES3_S5_PKbPbNS0_8identityIbEEEE10hipError_tT2_T3_mT4_P12ihipStream_tbEUlT_E_NS1_11comp_targetILNS1_3genE8ELNS1_11target_archE1030ELNS1_3gpuE2ELNS1_3repE0EEENS1_30default_config_static_selectorELNS0_4arch9wavefront6targetE0EEEvT1_.kd
    .uniform_work_group_size: 1
    .uses_dynamic_stack: false
    .vgpr_count:     0
    .vgpr_spill_count: 0
    .wavefront_size: 32
  - .args:
      - .offset:         0
        .size:           88
        .value_kind:     by_value
      - .offset:         88
        .size:           4
        .value_kind:     hidden_block_count_x
      - .offset:         92
        .size:           4
        .value_kind:     hidden_block_count_y
      - .offset:         96
        .size:           4
        .value_kind:     hidden_block_count_z
      - .offset:         100
        .size:           2
        .value_kind:     hidden_group_size_x
      - .offset:         102
        .size:           2
        .value_kind:     hidden_group_size_y
      - .offset:         104
        .size:           2
        .value_kind:     hidden_group_size_z
      - .offset:         106
        .size:           2
        .value_kind:     hidden_remainder_x
      - .offset:         108
        .size:           2
        .value_kind:     hidden_remainder_y
      - .offset:         110
        .size:           2
        .value_kind:     hidden_remainder_z
      - .offset:         128
        .size:           8
        .value_kind:     hidden_global_offset_x
      - .offset:         136
        .size:           8
        .value_kind:     hidden_global_offset_y
      - .offset:         144
        .size:           8
        .value_kind:     hidden_global_offset_z
      - .offset:         152
        .size:           2
        .value_kind:     hidden_grid_dims
    .group_segment_fixed_size: 32904
    .kernarg_segment_align: 8
    .kernarg_segment_size: 344
    .language:       OpenCL C
    .language_version:
      - 2
      - 0
    .max_flat_workgroup_size: 1024
    .name:           _ZN7rocprim17ROCPRIM_400000_NS6detail17trampoline_kernelINS0_14default_configENS1_35radix_sort_onesweep_config_selectorIbNS0_10empty_typeEEEZZNS1_29radix_sort_onesweep_iterationIS3_Lb1EPKbPbPS5_SB_mNS0_19identity_decomposerENS1_16block_id_wrapperIjLb1EEEEE10hipError_tT1_PNSt15iterator_traitsISG_E10value_typeET2_T3_PNSH_ISM_E10value_typeET4_T5_PSR_SS_PNS1_23onesweep_lookback_stateEbbT6_jjT7_P12ihipStream_tbENKUlT_T0_SG_SL_E_clIS9_SA_SB_SB_EEDaSZ_S10_SG_SL_EUlSZ_E_NS1_11comp_targetILNS1_3genE0ELNS1_11target_archE4294967295ELNS1_3gpuE0ELNS1_3repE0EEENS1_47radix_sort_onesweep_sort_config_static_selectorELNS0_4arch9wavefront6targetE0EEEvSG_
    .private_segment_fixed_size: 0
    .sgpr_count:     27
    .sgpr_spill_count: 0
    .symbol:         _ZN7rocprim17ROCPRIM_400000_NS6detail17trampoline_kernelINS0_14default_configENS1_35radix_sort_onesweep_config_selectorIbNS0_10empty_typeEEEZZNS1_29radix_sort_onesweep_iterationIS3_Lb1EPKbPbPS5_SB_mNS0_19identity_decomposerENS1_16block_id_wrapperIjLb1EEEEE10hipError_tT1_PNSt15iterator_traitsISG_E10value_typeET2_T3_PNSH_ISM_E10value_typeET4_T5_PSR_SS_PNS1_23onesweep_lookback_stateEbbT6_jjT7_P12ihipStream_tbENKUlT_T0_SG_SL_E_clIS9_SA_SB_SB_EEDaSZ_S10_SG_SL_EUlSZ_E_NS1_11comp_targetILNS1_3genE0ELNS1_11target_archE4294967295ELNS1_3gpuE0ELNS1_3repE0EEENS1_47radix_sort_onesweep_sort_config_static_selectorELNS0_4arch9wavefront6targetE0EEEvSG_.kd
    .uniform_work_group_size: 1
    .uses_dynamic_stack: false
    .vgpr_count:     80
    .vgpr_spill_count: 0
    .wavefront_size: 32
  - .args:
      - .offset:         0
        .size:           88
        .value_kind:     by_value
    .group_segment_fixed_size: 0
    .kernarg_segment_align: 8
    .kernarg_segment_size: 88
    .language:       OpenCL C
    .language_version:
      - 2
      - 0
    .max_flat_workgroup_size: 1024
    .name:           _ZN7rocprim17ROCPRIM_400000_NS6detail17trampoline_kernelINS0_14default_configENS1_35radix_sort_onesweep_config_selectorIbNS0_10empty_typeEEEZZNS1_29radix_sort_onesweep_iterationIS3_Lb1EPKbPbPS5_SB_mNS0_19identity_decomposerENS1_16block_id_wrapperIjLb1EEEEE10hipError_tT1_PNSt15iterator_traitsISG_E10value_typeET2_T3_PNSH_ISM_E10value_typeET4_T5_PSR_SS_PNS1_23onesweep_lookback_stateEbbT6_jjT7_P12ihipStream_tbENKUlT_T0_SG_SL_E_clIS9_SA_SB_SB_EEDaSZ_S10_SG_SL_EUlSZ_E_NS1_11comp_targetILNS1_3genE6ELNS1_11target_archE950ELNS1_3gpuE13ELNS1_3repE0EEENS1_47radix_sort_onesweep_sort_config_static_selectorELNS0_4arch9wavefront6targetE0EEEvSG_
    .private_segment_fixed_size: 0
    .sgpr_count:     0
    .sgpr_spill_count: 0
    .symbol:         _ZN7rocprim17ROCPRIM_400000_NS6detail17trampoline_kernelINS0_14default_configENS1_35radix_sort_onesweep_config_selectorIbNS0_10empty_typeEEEZZNS1_29radix_sort_onesweep_iterationIS3_Lb1EPKbPbPS5_SB_mNS0_19identity_decomposerENS1_16block_id_wrapperIjLb1EEEEE10hipError_tT1_PNSt15iterator_traitsISG_E10value_typeET2_T3_PNSH_ISM_E10value_typeET4_T5_PSR_SS_PNS1_23onesweep_lookback_stateEbbT6_jjT7_P12ihipStream_tbENKUlT_T0_SG_SL_E_clIS9_SA_SB_SB_EEDaSZ_S10_SG_SL_EUlSZ_E_NS1_11comp_targetILNS1_3genE6ELNS1_11target_archE950ELNS1_3gpuE13ELNS1_3repE0EEENS1_47radix_sort_onesweep_sort_config_static_selectorELNS0_4arch9wavefront6targetE0EEEvSG_.kd
    .uniform_work_group_size: 1
    .uses_dynamic_stack: false
    .vgpr_count:     0
    .vgpr_spill_count: 0
    .wavefront_size: 32
  - .args:
      - .offset:         0
        .size:           88
        .value_kind:     by_value
    .group_segment_fixed_size: 0
    .kernarg_segment_align: 8
    .kernarg_segment_size: 88
    .language:       OpenCL C
    .language_version:
      - 2
      - 0
    .max_flat_workgroup_size: 1024
    .name:           _ZN7rocprim17ROCPRIM_400000_NS6detail17trampoline_kernelINS0_14default_configENS1_35radix_sort_onesweep_config_selectorIbNS0_10empty_typeEEEZZNS1_29radix_sort_onesweep_iterationIS3_Lb1EPKbPbPS5_SB_mNS0_19identity_decomposerENS1_16block_id_wrapperIjLb1EEEEE10hipError_tT1_PNSt15iterator_traitsISG_E10value_typeET2_T3_PNSH_ISM_E10value_typeET4_T5_PSR_SS_PNS1_23onesweep_lookback_stateEbbT6_jjT7_P12ihipStream_tbENKUlT_T0_SG_SL_E_clIS9_SA_SB_SB_EEDaSZ_S10_SG_SL_EUlSZ_E_NS1_11comp_targetILNS1_3genE5ELNS1_11target_archE942ELNS1_3gpuE9ELNS1_3repE0EEENS1_47radix_sort_onesweep_sort_config_static_selectorELNS0_4arch9wavefront6targetE0EEEvSG_
    .private_segment_fixed_size: 0
    .sgpr_count:     0
    .sgpr_spill_count: 0
    .symbol:         _ZN7rocprim17ROCPRIM_400000_NS6detail17trampoline_kernelINS0_14default_configENS1_35radix_sort_onesweep_config_selectorIbNS0_10empty_typeEEEZZNS1_29radix_sort_onesweep_iterationIS3_Lb1EPKbPbPS5_SB_mNS0_19identity_decomposerENS1_16block_id_wrapperIjLb1EEEEE10hipError_tT1_PNSt15iterator_traitsISG_E10value_typeET2_T3_PNSH_ISM_E10value_typeET4_T5_PSR_SS_PNS1_23onesweep_lookback_stateEbbT6_jjT7_P12ihipStream_tbENKUlT_T0_SG_SL_E_clIS9_SA_SB_SB_EEDaSZ_S10_SG_SL_EUlSZ_E_NS1_11comp_targetILNS1_3genE5ELNS1_11target_archE942ELNS1_3gpuE9ELNS1_3repE0EEENS1_47radix_sort_onesweep_sort_config_static_selectorELNS0_4arch9wavefront6targetE0EEEvSG_.kd
    .uniform_work_group_size: 1
    .uses_dynamic_stack: false
    .vgpr_count:     0
    .vgpr_spill_count: 0
    .wavefront_size: 32
  - .args:
      - .offset:         0
        .size:           88
        .value_kind:     by_value
    .group_segment_fixed_size: 0
    .kernarg_segment_align: 8
    .kernarg_segment_size: 88
    .language:       OpenCL C
    .language_version:
      - 2
      - 0
    .max_flat_workgroup_size: 512
    .name:           _ZN7rocprim17ROCPRIM_400000_NS6detail17trampoline_kernelINS0_14default_configENS1_35radix_sort_onesweep_config_selectorIbNS0_10empty_typeEEEZZNS1_29radix_sort_onesweep_iterationIS3_Lb1EPKbPbPS5_SB_mNS0_19identity_decomposerENS1_16block_id_wrapperIjLb1EEEEE10hipError_tT1_PNSt15iterator_traitsISG_E10value_typeET2_T3_PNSH_ISM_E10value_typeET4_T5_PSR_SS_PNS1_23onesweep_lookback_stateEbbT6_jjT7_P12ihipStream_tbENKUlT_T0_SG_SL_E_clIS9_SA_SB_SB_EEDaSZ_S10_SG_SL_EUlSZ_E_NS1_11comp_targetILNS1_3genE2ELNS1_11target_archE906ELNS1_3gpuE6ELNS1_3repE0EEENS1_47radix_sort_onesweep_sort_config_static_selectorELNS0_4arch9wavefront6targetE0EEEvSG_
    .private_segment_fixed_size: 0
    .sgpr_count:     0
    .sgpr_spill_count: 0
    .symbol:         _ZN7rocprim17ROCPRIM_400000_NS6detail17trampoline_kernelINS0_14default_configENS1_35radix_sort_onesweep_config_selectorIbNS0_10empty_typeEEEZZNS1_29radix_sort_onesweep_iterationIS3_Lb1EPKbPbPS5_SB_mNS0_19identity_decomposerENS1_16block_id_wrapperIjLb1EEEEE10hipError_tT1_PNSt15iterator_traitsISG_E10value_typeET2_T3_PNSH_ISM_E10value_typeET4_T5_PSR_SS_PNS1_23onesweep_lookback_stateEbbT6_jjT7_P12ihipStream_tbENKUlT_T0_SG_SL_E_clIS9_SA_SB_SB_EEDaSZ_S10_SG_SL_EUlSZ_E_NS1_11comp_targetILNS1_3genE2ELNS1_11target_archE906ELNS1_3gpuE6ELNS1_3repE0EEENS1_47radix_sort_onesweep_sort_config_static_selectorELNS0_4arch9wavefront6targetE0EEEvSG_.kd
    .uniform_work_group_size: 1
    .uses_dynamic_stack: false
    .vgpr_count:     0
    .vgpr_spill_count: 0
    .wavefront_size: 32
  - .args:
      - .offset:         0
        .size:           88
        .value_kind:     by_value
    .group_segment_fixed_size: 0
    .kernarg_segment_align: 8
    .kernarg_segment_size: 88
    .language:       OpenCL C
    .language_version:
      - 2
      - 0
    .max_flat_workgroup_size: 512
    .name:           _ZN7rocprim17ROCPRIM_400000_NS6detail17trampoline_kernelINS0_14default_configENS1_35radix_sort_onesweep_config_selectorIbNS0_10empty_typeEEEZZNS1_29radix_sort_onesweep_iterationIS3_Lb1EPKbPbPS5_SB_mNS0_19identity_decomposerENS1_16block_id_wrapperIjLb1EEEEE10hipError_tT1_PNSt15iterator_traitsISG_E10value_typeET2_T3_PNSH_ISM_E10value_typeET4_T5_PSR_SS_PNS1_23onesweep_lookback_stateEbbT6_jjT7_P12ihipStream_tbENKUlT_T0_SG_SL_E_clIS9_SA_SB_SB_EEDaSZ_S10_SG_SL_EUlSZ_E_NS1_11comp_targetILNS1_3genE4ELNS1_11target_archE910ELNS1_3gpuE8ELNS1_3repE0EEENS1_47radix_sort_onesweep_sort_config_static_selectorELNS0_4arch9wavefront6targetE0EEEvSG_
    .private_segment_fixed_size: 0
    .sgpr_count:     0
    .sgpr_spill_count: 0
    .symbol:         _ZN7rocprim17ROCPRIM_400000_NS6detail17trampoline_kernelINS0_14default_configENS1_35radix_sort_onesweep_config_selectorIbNS0_10empty_typeEEEZZNS1_29radix_sort_onesweep_iterationIS3_Lb1EPKbPbPS5_SB_mNS0_19identity_decomposerENS1_16block_id_wrapperIjLb1EEEEE10hipError_tT1_PNSt15iterator_traitsISG_E10value_typeET2_T3_PNSH_ISM_E10value_typeET4_T5_PSR_SS_PNS1_23onesweep_lookback_stateEbbT6_jjT7_P12ihipStream_tbENKUlT_T0_SG_SL_E_clIS9_SA_SB_SB_EEDaSZ_S10_SG_SL_EUlSZ_E_NS1_11comp_targetILNS1_3genE4ELNS1_11target_archE910ELNS1_3gpuE8ELNS1_3repE0EEENS1_47radix_sort_onesweep_sort_config_static_selectorELNS0_4arch9wavefront6targetE0EEEvSG_.kd
    .uniform_work_group_size: 1
    .uses_dynamic_stack: false
    .vgpr_count:     0
    .vgpr_spill_count: 0
    .wavefront_size: 32
  - .args:
      - .offset:         0
        .size:           88
        .value_kind:     by_value
    .group_segment_fixed_size: 0
    .kernarg_segment_align: 8
    .kernarg_segment_size: 88
    .language:       OpenCL C
    .language_version:
      - 2
      - 0
    .max_flat_workgroup_size: 1024
    .name:           _ZN7rocprim17ROCPRIM_400000_NS6detail17trampoline_kernelINS0_14default_configENS1_35radix_sort_onesweep_config_selectorIbNS0_10empty_typeEEEZZNS1_29radix_sort_onesweep_iterationIS3_Lb1EPKbPbPS5_SB_mNS0_19identity_decomposerENS1_16block_id_wrapperIjLb1EEEEE10hipError_tT1_PNSt15iterator_traitsISG_E10value_typeET2_T3_PNSH_ISM_E10value_typeET4_T5_PSR_SS_PNS1_23onesweep_lookback_stateEbbT6_jjT7_P12ihipStream_tbENKUlT_T0_SG_SL_E_clIS9_SA_SB_SB_EEDaSZ_S10_SG_SL_EUlSZ_E_NS1_11comp_targetILNS1_3genE3ELNS1_11target_archE908ELNS1_3gpuE7ELNS1_3repE0EEENS1_47radix_sort_onesweep_sort_config_static_selectorELNS0_4arch9wavefront6targetE0EEEvSG_
    .private_segment_fixed_size: 0
    .sgpr_count:     0
    .sgpr_spill_count: 0
    .symbol:         _ZN7rocprim17ROCPRIM_400000_NS6detail17trampoline_kernelINS0_14default_configENS1_35radix_sort_onesweep_config_selectorIbNS0_10empty_typeEEEZZNS1_29radix_sort_onesweep_iterationIS3_Lb1EPKbPbPS5_SB_mNS0_19identity_decomposerENS1_16block_id_wrapperIjLb1EEEEE10hipError_tT1_PNSt15iterator_traitsISG_E10value_typeET2_T3_PNSH_ISM_E10value_typeET4_T5_PSR_SS_PNS1_23onesweep_lookback_stateEbbT6_jjT7_P12ihipStream_tbENKUlT_T0_SG_SL_E_clIS9_SA_SB_SB_EEDaSZ_S10_SG_SL_EUlSZ_E_NS1_11comp_targetILNS1_3genE3ELNS1_11target_archE908ELNS1_3gpuE7ELNS1_3repE0EEENS1_47radix_sort_onesweep_sort_config_static_selectorELNS0_4arch9wavefront6targetE0EEEvSG_.kd
    .uniform_work_group_size: 1
    .uses_dynamic_stack: false
    .vgpr_count:     0
    .vgpr_spill_count: 0
    .wavefront_size: 32
  - .args:
      - .offset:         0
        .size:           88
        .value_kind:     by_value
    .group_segment_fixed_size: 0
    .kernarg_segment_align: 8
    .kernarg_segment_size: 88
    .language:       OpenCL C
    .language_version:
      - 2
      - 0
    .max_flat_workgroup_size: 256
    .name:           _ZN7rocprim17ROCPRIM_400000_NS6detail17trampoline_kernelINS0_14default_configENS1_35radix_sort_onesweep_config_selectorIbNS0_10empty_typeEEEZZNS1_29radix_sort_onesweep_iterationIS3_Lb1EPKbPbPS5_SB_mNS0_19identity_decomposerENS1_16block_id_wrapperIjLb1EEEEE10hipError_tT1_PNSt15iterator_traitsISG_E10value_typeET2_T3_PNSH_ISM_E10value_typeET4_T5_PSR_SS_PNS1_23onesweep_lookback_stateEbbT6_jjT7_P12ihipStream_tbENKUlT_T0_SG_SL_E_clIS9_SA_SB_SB_EEDaSZ_S10_SG_SL_EUlSZ_E_NS1_11comp_targetILNS1_3genE10ELNS1_11target_archE1201ELNS1_3gpuE5ELNS1_3repE0EEENS1_47radix_sort_onesweep_sort_config_static_selectorELNS0_4arch9wavefront6targetE0EEEvSG_
    .private_segment_fixed_size: 0
    .sgpr_count:     0
    .sgpr_spill_count: 0
    .symbol:         _ZN7rocprim17ROCPRIM_400000_NS6detail17trampoline_kernelINS0_14default_configENS1_35radix_sort_onesweep_config_selectorIbNS0_10empty_typeEEEZZNS1_29radix_sort_onesweep_iterationIS3_Lb1EPKbPbPS5_SB_mNS0_19identity_decomposerENS1_16block_id_wrapperIjLb1EEEEE10hipError_tT1_PNSt15iterator_traitsISG_E10value_typeET2_T3_PNSH_ISM_E10value_typeET4_T5_PSR_SS_PNS1_23onesweep_lookback_stateEbbT6_jjT7_P12ihipStream_tbENKUlT_T0_SG_SL_E_clIS9_SA_SB_SB_EEDaSZ_S10_SG_SL_EUlSZ_E_NS1_11comp_targetILNS1_3genE10ELNS1_11target_archE1201ELNS1_3gpuE5ELNS1_3repE0EEENS1_47radix_sort_onesweep_sort_config_static_selectorELNS0_4arch9wavefront6targetE0EEEvSG_.kd
    .uniform_work_group_size: 1
    .uses_dynamic_stack: false
    .vgpr_count:     0
    .vgpr_spill_count: 0
    .wavefront_size: 32
  - .args:
      - .offset:         0
        .size:           88
        .value_kind:     by_value
    .group_segment_fixed_size: 0
    .kernarg_segment_align: 8
    .kernarg_segment_size: 88
    .language:       OpenCL C
    .language_version:
      - 2
      - 0
    .max_flat_workgroup_size: 256
    .name:           _ZN7rocprim17ROCPRIM_400000_NS6detail17trampoline_kernelINS0_14default_configENS1_35radix_sort_onesweep_config_selectorIbNS0_10empty_typeEEEZZNS1_29radix_sort_onesweep_iterationIS3_Lb1EPKbPbPS5_SB_mNS0_19identity_decomposerENS1_16block_id_wrapperIjLb1EEEEE10hipError_tT1_PNSt15iterator_traitsISG_E10value_typeET2_T3_PNSH_ISM_E10value_typeET4_T5_PSR_SS_PNS1_23onesweep_lookback_stateEbbT6_jjT7_P12ihipStream_tbENKUlT_T0_SG_SL_E_clIS9_SA_SB_SB_EEDaSZ_S10_SG_SL_EUlSZ_E_NS1_11comp_targetILNS1_3genE9ELNS1_11target_archE1100ELNS1_3gpuE3ELNS1_3repE0EEENS1_47radix_sort_onesweep_sort_config_static_selectorELNS0_4arch9wavefront6targetE0EEEvSG_
    .private_segment_fixed_size: 0
    .sgpr_count:     0
    .sgpr_spill_count: 0
    .symbol:         _ZN7rocprim17ROCPRIM_400000_NS6detail17trampoline_kernelINS0_14default_configENS1_35radix_sort_onesweep_config_selectorIbNS0_10empty_typeEEEZZNS1_29radix_sort_onesweep_iterationIS3_Lb1EPKbPbPS5_SB_mNS0_19identity_decomposerENS1_16block_id_wrapperIjLb1EEEEE10hipError_tT1_PNSt15iterator_traitsISG_E10value_typeET2_T3_PNSH_ISM_E10value_typeET4_T5_PSR_SS_PNS1_23onesweep_lookback_stateEbbT6_jjT7_P12ihipStream_tbENKUlT_T0_SG_SL_E_clIS9_SA_SB_SB_EEDaSZ_S10_SG_SL_EUlSZ_E_NS1_11comp_targetILNS1_3genE9ELNS1_11target_archE1100ELNS1_3gpuE3ELNS1_3repE0EEENS1_47radix_sort_onesweep_sort_config_static_selectorELNS0_4arch9wavefront6targetE0EEEvSG_.kd
    .uniform_work_group_size: 1
    .uses_dynamic_stack: false
    .vgpr_count:     0
    .vgpr_spill_count: 0
    .wavefront_size: 32
  - .args:
      - .offset:         0
        .size:           88
        .value_kind:     by_value
    .group_segment_fixed_size: 0
    .kernarg_segment_align: 8
    .kernarg_segment_size: 88
    .language:       OpenCL C
    .language_version:
      - 2
      - 0
    .max_flat_workgroup_size: 256
    .name:           _ZN7rocprim17ROCPRIM_400000_NS6detail17trampoline_kernelINS0_14default_configENS1_35radix_sort_onesweep_config_selectorIbNS0_10empty_typeEEEZZNS1_29radix_sort_onesweep_iterationIS3_Lb1EPKbPbPS5_SB_mNS0_19identity_decomposerENS1_16block_id_wrapperIjLb1EEEEE10hipError_tT1_PNSt15iterator_traitsISG_E10value_typeET2_T3_PNSH_ISM_E10value_typeET4_T5_PSR_SS_PNS1_23onesweep_lookback_stateEbbT6_jjT7_P12ihipStream_tbENKUlT_T0_SG_SL_E_clIS9_SA_SB_SB_EEDaSZ_S10_SG_SL_EUlSZ_E_NS1_11comp_targetILNS1_3genE8ELNS1_11target_archE1030ELNS1_3gpuE2ELNS1_3repE0EEENS1_47radix_sort_onesweep_sort_config_static_selectorELNS0_4arch9wavefront6targetE0EEEvSG_
    .private_segment_fixed_size: 0
    .sgpr_count:     0
    .sgpr_spill_count: 0
    .symbol:         _ZN7rocprim17ROCPRIM_400000_NS6detail17trampoline_kernelINS0_14default_configENS1_35radix_sort_onesweep_config_selectorIbNS0_10empty_typeEEEZZNS1_29radix_sort_onesweep_iterationIS3_Lb1EPKbPbPS5_SB_mNS0_19identity_decomposerENS1_16block_id_wrapperIjLb1EEEEE10hipError_tT1_PNSt15iterator_traitsISG_E10value_typeET2_T3_PNSH_ISM_E10value_typeET4_T5_PSR_SS_PNS1_23onesweep_lookback_stateEbbT6_jjT7_P12ihipStream_tbENKUlT_T0_SG_SL_E_clIS9_SA_SB_SB_EEDaSZ_S10_SG_SL_EUlSZ_E_NS1_11comp_targetILNS1_3genE8ELNS1_11target_archE1030ELNS1_3gpuE2ELNS1_3repE0EEENS1_47radix_sort_onesweep_sort_config_static_selectorELNS0_4arch9wavefront6targetE0EEEvSG_.kd
    .uniform_work_group_size: 1
    .uses_dynamic_stack: false
    .vgpr_count:     0
    .vgpr_spill_count: 0
    .wavefront_size: 32
  - .args:
      - .offset:         0
        .size:           88
        .value_kind:     by_value
      - .offset:         88
        .size:           4
        .value_kind:     hidden_block_count_x
      - .offset:         92
        .size:           4
        .value_kind:     hidden_block_count_y
      - .offset:         96
        .size:           4
        .value_kind:     hidden_block_count_z
      - .offset:         100
        .size:           2
        .value_kind:     hidden_group_size_x
      - .offset:         102
        .size:           2
        .value_kind:     hidden_group_size_y
      - .offset:         104
        .size:           2
        .value_kind:     hidden_group_size_z
      - .offset:         106
        .size:           2
        .value_kind:     hidden_remainder_x
      - .offset:         108
        .size:           2
        .value_kind:     hidden_remainder_y
      - .offset:         110
        .size:           2
        .value_kind:     hidden_remainder_z
      - .offset:         128
        .size:           8
        .value_kind:     hidden_global_offset_x
      - .offset:         136
        .size:           8
        .value_kind:     hidden_global_offset_y
      - .offset:         144
        .size:           8
        .value_kind:     hidden_global_offset_z
      - .offset:         152
        .size:           2
        .value_kind:     hidden_grid_dims
    .group_segment_fixed_size: 32904
    .kernarg_segment_align: 8
    .kernarg_segment_size: 344
    .language:       OpenCL C
    .language_version:
      - 2
      - 0
    .max_flat_workgroup_size: 1024
    .name:           _ZN7rocprim17ROCPRIM_400000_NS6detail17trampoline_kernelINS0_14default_configENS1_35radix_sort_onesweep_config_selectorIbNS0_10empty_typeEEEZZNS1_29radix_sort_onesweep_iterationIS3_Lb1EPKbPbPS5_SB_mNS0_19identity_decomposerENS1_16block_id_wrapperIjLb1EEEEE10hipError_tT1_PNSt15iterator_traitsISG_E10value_typeET2_T3_PNSH_ISM_E10value_typeET4_T5_PSR_SS_PNS1_23onesweep_lookback_stateEbbT6_jjT7_P12ihipStream_tbENKUlT_T0_SG_SL_E_clISA_SA_SB_SB_EEDaSZ_S10_SG_SL_EUlSZ_E_NS1_11comp_targetILNS1_3genE0ELNS1_11target_archE4294967295ELNS1_3gpuE0ELNS1_3repE0EEENS1_47radix_sort_onesweep_sort_config_static_selectorELNS0_4arch9wavefront6targetE0EEEvSG_
    .private_segment_fixed_size: 0
    .sgpr_count:     27
    .sgpr_spill_count: 0
    .symbol:         _ZN7rocprim17ROCPRIM_400000_NS6detail17trampoline_kernelINS0_14default_configENS1_35radix_sort_onesweep_config_selectorIbNS0_10empty_typeEEEZZNS1_29radix_sort_onesweep_iterationIS3_Lb1EPKbPbPS5_SB_mNS0_19identity_decomposerENS1_16block_id_wrapperIjLb1EEEEE10hipError_tT1_PNSt15iterator_traitsISG_E10value_typeET2_T3_PNSH_ISM_E10value_typeET4_T5_PSR_SS_PNS1_23onesweep_lookback_stateEbbT6_jjT7_P12ihipStream_tbENKUlT_T0_SG_SL_E_clISA_SA_SB_SB_EEDaSZ_S10_SG_SL_EUlSZ_E_NS1_11comp_targetILNS1_3genE0ELNS1_11target_archE4294967295ELNS1_3gpuE0ELNS1_3repE0EEENS1_47radix_sort_onesweep_sort_config_static_selectorELNS0_4arch9wavefront6targetE0EEEvSG_.kd
    .uniform_work_group_size: 1
    .uses_dynamic_stack: false
    .vgpr_count:     80
    .vgpr_spill_count: 0
    .wavefront_size: 32
  - .args:
      - .offset:         0
        .size:           88
        .value_kind:     by_value
    .group_segment_fixed_size: 0
    .kernarg_segment_align: 8
    .kernarg_segment_size: 88
    .language:       OpenCL C
    .language_version:
      - 2
      - 0
    .max_flat_workgroup_size: 1024
    .name:           _ZN7rocprim17ROCPRIM_400000_NS6detail17trampoline_kernelINS0_14default_configENS1_35radix_sort_onesweep_config_selectorIbNS0_10empty_typeEEEZZNS1_29radix_sort_onesweep_iterationIS3_Lb1EPKbPbPS5_SB_mNS0_19identity_decomposerENS1_16block_id_wrapperIjLb1EEEEE10hipError_tT1_PNSt15iterator_traitsISG_E10value_typeET2_T3_PNSH_ISM_E10value_typeET4_T5_PSR_SS_PNS1_23onesweep_lookback_stateEbbT6_jjT7_P12ihipStream_tbENKUlT_T0_SG_SL_E_clISA_SA_SB_SB_EEDaSZ_S10_SG_SL_EUlSZ_E_NS1_11comp_targetILNS1_3genE6ELNS1_11target_archE950ELNS1_3gpuE13ELNS1_3repE0EEENS1_47radix_sort_onesweep_sort_config_static_selectorELNS0_4arch9wavefront6targetE0EEEvSG_
    .private_segment_fixed_size: 0
    .sgpr_count:     0
    .sgpr_spill_count: 0
    .symbol:         _ZN7rocprim17ROCPRIM_400000_NS6detail17trampoline_kernelINS0_14default_configENS1_35radix_sort_onesweep_config_selectorIbNS0_10empty_typeEEEZZNS1_29radix_sort_onesweep_iterationIS3_Lb1EPKbPbPS5_SB_mNS0_19identity_decomposerENS1_16block_id_wrapperIjLb1EEEEE10hipError_tT1_PNSt15iterator_traitsISG_E10value_typeET2_T3_PNSH_ISM_E10value_typeET4_T5_PSR_SS_PNS1_23onesweep_lookback_stateEbbT6_jjT7_P12ihipStream_tbENKUlT_T0_SG_SL_E_clISA_SA_SB_SB_EEDaSZ_S10_SG_SL_EUlSZ_E_NS1_11comp_targetILNS1_3genE6ELNS1_11target_archE950ELNS1_3gpuE13ELNS1_3repE0EEENS1_47radix_sort_onesweep_sort_config_static_selectorELNS0_4arch9wavefront6targetE0EEEvSG_.kd
    .uniform_work_group_size: 1
    .uses_dynamic_stack: false
    .vgpr_count:     0
    .vgpr_spill_count: 0
    .wavefront_size: 32
  - .args:
      - .offset:         0
        .size:           88
        .value_kind:     by_value
    .group_segment_fixed_size: 0
    .kernarg_segment_align: 8
    .kernarg_segment_size: 88
    .language:       OpenCL C
    .language_version:
      - 2
      - 0
    .max_flat_workgroup_size: 1024
    .name:           _ZN7rocprim17ROCPRIM_400000_NS6detail17trampoline_kernelINS0_14default_configENS1_35radix_sort_onesweep_config_selectorIbNS0_10empty_typeEEEZZNS1_29radix_sort_onesweep_iterationIS3_Lb1EPKbPbPS5_SB_mNS0_19identity_decomposerENS1_16block_id_wrapperIjLb1EEEEE10hipError_tT1_PNSt15iterator_traitsISG_E10value_typeET2_T3_PNSH_ISM_E10value_typeET4_T5_PSR_SS_PNS1_23onesweep_lookback_stateEbbT6_jjT7_P12ihipStream_tbENKUlT_T0_SG_SL_E_clISA_SA_SB_SB_EEDaSZ_S10_SG_SL_EUlSZ_E_NS1_11comp_targetILNS1_3genE5ELNS1_11target_archE942ELNS1_3gpuE9ELNS1_3repE0EEENS1_47radix_sort_onesweep_sort_config_static_selectorELNS0_4arch9wavefront6targetE0EEEvSG_
    .private_segment_fixed_size: 0
    .sgpr_count:     0
    .sgpr_spill_count: 0
    .symbol:         _ZN7rocprim17ROCPRIM_400000_NS6detail17trampoline_kernelINS0_14default_configENS1_35radix_sort_onesweep_config_selectorIbNS0_10empty_typeEEEZZNS1_29radix_sort_onesweep_iterationIS3_Lb1EPKbPbPS5_SB_mNS0_19identity_decomposerENS1_16block_id_wrapperIjLb1EEEEE10hipError_tT1_PNSt15iterator_traitsISG_E10value_typeET2_T3_PNSH_ISM_E10value_typeET4_T5_PSR_SS_PNS1_23onesweep_lookback_stateEbbT6_jjT7_P12ihipStream_tbENKUlT_T0_SG_SL_E_clISA_SA_SB_SB_EEDaSZ_S10_SG_SL_EUlSZ_E_NS1_11comp_targetILNS1_3genE5ELNS1_11target_archE942ELNS1_3gpuE9ELNS1_3repE0EEENS1_47radix_sort_onesweep_sort_config_static_selectorELNS0_4arch9wavefront6targetE0EEEvSG_.kd
    .uniform_work_group_size: 1
    .uses_dynamic_stack: false
    .vgpr_count:     0
    .vgpr_spill_count: 0
    .wavefront_size: 32
  - .args:
      - .offset:         0
        .size:           88
        .value_kind:     by_value
    .group_segment_fixed_size: 0
    .kernarg_segment_align: 8
    .kernarg_segment_size: 88
    .language:       OpenCL C
    .language_version:
      - 2
      - 0
    .max_flat_workgroup_size: 512
    .name:           _ZN7rocprim17ROCPRIM_400000_NS6detail17trampoline_kernelINS0_14default_configENS1_35radix_sort_onesweep_config_selectorIbNS0_10empty_typeEEEZZNS1_29radix_sort_onesweep_iterationIS3_Lb1EPKbPbPS5_SB_mNS0_19identity_decomposerENS1_16block_id_wrapperIjLb1EEEEE10hipError_tT1_PNSt15iterator_traitsISG_E10value_typeET2_T3_PNSH_ISM_E10value_typeET4_T5_PSR_SS_PNS1_23onesweep_lookback_stateEbbT6_jjT7_P12ihipStream_tbENKUlT_T0_SG_SL_E_clISA_SA_SB_SB_EEDaSZ_S10_SG_SL_EUlSZ_E_NS1_11comp_targetILNS1_3genE2ELNS1_11target_archE906ELNS1_3gpuE6ELNS1_3repE0EEENS1_47radix_sort_onesweep_sort_config_static_selectorELNS0_4arch9wavefront6targetE0EEEvSG_
    .private_segment_fixed_size: 0
    .sgpr_count:     0
    .sgpr_spill_count: 0
    .symbol:         _ZN7rocprim17ROCPRIM_400000_NS6detail17trampoline_kernelINS0_14default_configENS1_35radix_sort_onesweep_config_selectorIbNS0_10empty_typeEEEZZNS1_29radix_sort_onesweep_iterationIS3_Lb1EPKbPbPS5_SB_mNS0_19identity_decomposerENS1_16block_id_wrapperIjLb1EEEEE10hipError_tT1_PNSt15iterator_traitsISG_E10value_typeET2_T3_PNSH_ISM_E10value_typeET4_T5_PSR_SS_PNS1_23onesweep_lookback_stateEbbT6_jjT7_P12ihipStream_tbENKUlT_T0_SG_SL_E_clISA_SA_SB_SB_EEDaSZ_S10_SG_SL_EUlSZ_E_NS1_11comp_targetILNS1_3genE2ELNS1_11target_archE906ELNS1_3gpuE6ELNS1_3repE0EEENS1_47radix_sort_onesweep_sort_config_static_selectorELNS0_4arch9wavefront6targetE0EEEvSG_.kd
    .uniform_work_group_size: 1
    .uses_dynamic_stack: false
    .vgpr_count:     0
    .vgpr_spill_count: 0
    .wavefront_size: 32
  - .args:
      - .offset:         0
        .size:           88
        .value_kind:     by_value
    .group_segment_fixed_size: 0
    .kernarg_segment_align: 8
    .kernarg_segment_size: 88
    .language:       OpenCL C
    .language_version:
      - 2
      - 0
    .max_flat_workgroup_size: 512
    .name:           _ZN7rocprim17ROCPRIM_400000_NS6detail17trampoline_kernelINS0_14default_configENS1_35radix_sort_onesweep_config_selectorIbNS0_10empty_typeEEEZZNS1_29radix_sort_onesweep_iterationIS3_Lb1EPKbPbPS5_SB_mNS0_19identity_decomposerENS1_16block_id_wrapperIjLb1EEEEE10hipError_tT1_PNSt15iterator_traitsISG_E10value_typeET2_T3_PNSH_ISM_E10value_typeET4_T5_PSR_SS_PNS1_23onesweep_lookback_stateEbbT6_jjT7_P12ihipStream_tbENKUlT_T0_SG_SL_E_clISA_SA_SB_SB_EEDaSZ_S10_SG_SL_EUlSZ_E_NS1_11comp_targetILNS1_3genE4ELNS1_11target_archE910ELNS1_3gpuE8ELNS1_3repE0EEENS1_47radix_sort_onesweep_sort_config_static_selectorELNS0_4arch9wavefront6targetE0EEEvSG_
    .private_segment_fixed_size: 0
    .sgpr_count:     0
    .sgpr_spill_count: 0
    .symbol:         _ZN7rocprim17ROCPRIM_400000_NS6detail17trampoline_kernelINS0_14default_configENS1_35radix_sort_onesweep_config_selectorIbNS0_10empty_typeEEEZZNS1_29radix_sort_onesweep_iterationIS3_Lb1EPKbPbPS5_SB_mNS0_19identity_decomposerENS1_16block_id_wrapperIjLb1EEEEE10hipError_tT1_PNSt15iterator_traitsISG_E10value_typeET2_T3_PNSH_ISM_E10value_typeET4_T5_PSR_SS_PNS1_23onesweep_lookback_stateEbbT6_jjT7_P12ihipStream_tbENKUlT_T0_SG_SL_E_clISA_SA_SB_SB_EEDaSZ_S10_SG_SL_EUlSZ_E_NS1_11comp_targetILNS1_3genE4ELNS1_11target_archE910ELNS1_3gpuE8ELNS1_3repE0EEENS1_47radix_sort_onesweep_sort_config_static_selectorELNS0_4arch9wavefront6targetE0EEEvSG_.kd
    .uniform_work_group_size: 1
    .uses_dynamic_stack: false
    .vgpr_count:     0
    .vgpr_spill_count: 0
    .wavefront_size: 32
  - .args:
      - .offset:         0
        .size:           88
        .value_kind:     by_value
    .group_segment_fixed_size: 0
    .kernarg_segment_align: 8
    .kernarg_segment_size: 88
    .language:       OpenCL C
    .language_version:
      - 2
      - 0
    .max_flat_workgroup_size: 1024
    .name:           _ZN7rocprim17ROCPRIM_400000_NS6detail17trampoline_kernelINS0_14default_configENS1_35radix_sort_onesweep_config_selectorIbNS0_10empty_typeEEEZZNS1_29radix_sort_onesweep_iterationIS3_Lb1EPKbPbPS5_SB_mNS0_19identity_decomposerENS1_16block_id_wrapperIjLb1EEEEE10hipError_tT1_PNSt15iterator_traitsISG_E10value_typeET2_T3_PNSH_ISM_E10value_typeET4_T5_PSR_SS_PNS1_23onesweep_lookback_stateEbbT6_jjT7_P12ihipStream_tbENKUlT_T0_SG_SL_E_clISA_SA_SB_SB_EEDaSZ_S10_SG_SL_EUlSZ_E_NS1_11comp_targetILNS1_3genE3ELNS1_11target_archE908ELNS1_3gpuE7ELNS1_3repE0EEENS1_47radix_sort_onesweep_sort_config_static_selectorELNS0_4arch9wavefront6targetE0EEEvSG_
    .private_segment_fixed_size: 0
    .sgpr_count:     0
    .sgpr_spill_count: 0
    .symbol:         _ZN7rocprim17ROCPRIM_400000_NS6detail17trampoline_kernelINS0_14default_configENS1_35radix_sort_onesweep_config_selectorIbNS0_10empty_typeEEEZZNS1_29radix_sort_onesweep_iterationIS3_Lb1EPKbPbPS5_SB_mNS0_19identity_decomposerENS1_16block_id_wrapperIjLb1EEEEE10hipError_tT1_PNSt15iterator_traitsISG_E10value_typeET2_T3_PNSH_ISM_E10value_typeET4_T5_PSR_SS_PNS1_23onesweep_lookback_stateEbbT6_jjT7_P12ihipStream_tbENKUlT_T0_SG_SL_E_clISA_SA_SB_SB_EEDaSZ_S10_SG_SL_EUlSZ_E_NS1_11comp_targetILNS1_3genE3ELNS1_11target_archE908ELNS1_3gpuE7ELNS1_3repE0EEENS1_47radix_sort_onesweep_sort_config_static_selectorELNS0_4arch9wavefront6targetE0EEEvSG_.kd
    .uniform_work_group_size: 1
    .uses_dynamic_stack: false
    .vgpr_count:     0
    .vgpr_spill_count: 0
    .wavefront_size: 32
  - .args:
      - .offset:         0
        .size:           88
        .value_kind:     by_value
    .group_segment_fixed_size: 0
    .kernarg_segment_align: 8
    .kernarg_segment_size: 88
    .language:       OpenCL C
    .language_version:
      - 2
      - 0
    .max_flat_workgroup_size: 256
    .name:           _ZN7rocprim17ROCPRIM_400000_NS6detail17trampoline_kernelINS0_14default_configENS1_35radix_sort_onesweep_config_selectorIbNS0_10empty_typeEEEZZNS1_29radix_sort_onesweep_iterationIS3_Lb1EPKbPbPS5_SB_mNS0_19identity_decomposerENS1_16block_id_wrapperIjLb1EEEEE10hipError_tT1_PNSt15iterator_traitsISG_E10value_typeET2_T3_PNSH_ISM_E10value_typeET4_T5_PSR_SS_PNS1_23onesweep_lookback_stateEbbT6_jjT7_P12ihipStream_tbENKUlT_T0_SG_SL_E_clISA_SA_SB_SB_EEDaSZ_S10_SG_SL_EUlSZ_E_NS1_11comp_targetILNS1_3genE10ELNS1_11target_archE1201ELNS1_3gpuE5ELNS1_3repE0EEENS1_47radix_sort_onesweep_sort_config_static_selectorELNS0_4arch9wavefront6targetE0EEEvSG_
    .private_segment_fixed_size: 0
    .sgpr_count:     0
    .sgpr_spill_count: 0
    .symbol:         _ZN7rocprim17ROCPRIM_400000_NS6detail17trampoline_kernelINS0_14default_configENS1_35radix_sort_onesweep_config_selectorIbNS0_10empty_typeEEEZZNS1_29radix_sort_onesweep_iterationIS3_Lb1EPKbPbPS5_SB_mNS0_19identity_decomposerENS1_16block_id_wrapperIjLb1EEEEE10hipError_tT1_PNSt15iterator_traitsISG_E10value_typeET2_T3_PNSH_ISM_E10value_typeET4_T5_PSR_SS_PNS1_23onesweep_lookback_stateEbbT6_jjT7_P12ihipStream_tbENKUlT_T0_SG_SL_E_clISA_SA_SB_SB_EEDaSZ_S10_SG_SL_EUlSZ_E_NS1_11comp_targetILNS1_3genE10ELNS1_11target_archE1201ELNS1_3gpuE5ELNS1_3repE0EEENS1_47radix_sort_onesweep_sort_config_static_selectorELNS0_4arch9wavefront6targetE0EEEvSG_.kd
    .uniform_work_group_size: 1
    .uses_dynamic_stack: false
    .vgpr_count:     0
    .vgpr_spill_count: 0
    .wavefront_size: 32
  - .args:
      - .offset:         0
        .size:           88
        .value_kind:     by_value
    .group_segment_fixed_size: 0
    .kernarg_segment_align: 8
    .kernarg_segment_size: 88
    .language:       OpenCL C
    .language_version:
      - 2
      - 0
    .max_flat_workgroup_size: 256
    .name:           _ZN7rocprim17ROCPRIM_400000_NS6detail17trampoline_kernelINS0_14default_configENS1_35radix_sort_onesweep_config_selectorIbNS0_10empty_typeEEEZZNS1_29radix_sort_onesweep_iterationIS3_Lb1EPKbPbPS5_SB_mNS0_19identity_decomposerENS1_16block_id_wrapperIjLb1EEEEE10hipError_tT1_PNSt15iterator_traitsISG_E10value_typeET2_T3_PNSH_ISM_E10value_typeET4_T5_PSR_SS_PNS1_23onesweep_lookback_stateEbbT6_jjT7_P12ihipStream_tbENKUlT_T0_SG_SL_E_clISA_SA_SB_SB_EEDaSZ_S10_SG_SL_EUlSZ_E_NS1_11comp_targetILNS1_3genE9ELNS1_11target_archE1100ELNS1_3gpuE3ELNS1_3repE0EEENS1_47radix_sort_onesweep_sort_config_static_selectorELNS0_4arch9wavefront6targetE0EEEvSG_
    .private_segment_fixed_size: 0
    .sgpr_count:     0
    .sgpr_spill_count: 0
    .symbol:         _ZN7rocprim17ROCPRIM_400000_NS6detail17trampoline_kernelINS0_14default_configENS1_35radix_sort_onesweep_config_selectorIbNS0_10empty_typeEEEZZNS1_29radix_sort_onesweep_iterationIS3_Lb1EPKbPbPS5_SB_mNS0_19identity_decomposerENS1_16block_id_wrapperIjLb1EEEEE10hipError_tT1_PNSt15iterator_traitsISG_E10value_typeET2_T3_PNSH_ISM_E10value_typeET4_T5_PSR_SS_PNS1_23onesweep_lookback_stateEbbT6_jjT7_P12ihipStream_tbENKUlT_T0_SG_SL_E_clISA_SA_SB_SB_EEDaSZ_S10_SG_SL_EUlSZ_E_NS1_11comp_targetILNS1_3genE9ELNS1_11target_archE1100ELNS1_3gpuE3ELNS1_3repE0EEENS1_47radix_sort_onesweep_sort_config_static_selectorELNS0_4arch9wavefront6targetE0EEEvSG_.kd
    .uniform_work_group_size: 1
    .uses_dynamic_stack: false
    .vgpr_count:     0
    .vgpr_spill_count: 0
    .wavefront_size: 32
  - .args:
      - .offset:         0
        .size:           88
        .value_kind:     by_value
    .group_segment_fixed_size: 0
    .kernarg_segment_align: 8
    .kernarg_segment_size: 88
    .language:       OpenCL C
    .language_version:
      - 2
      - 0
    .max_flat_workgroup_size: 256
    .name:           _ZN7rocprim17ROCPRIM_400000_NS6detail17trampoline_kernelINS0_14default_configENS1_35radix_sort_onesweep_config_selectorIbNS0_10empty_typeEEEZZNS1_29radix_sort_onesweep_iterationIS3_Lb1EPKbPbPS5_SB_mNS0_19identity_decomposerENS1_16block_id_wrapperIjLb1EEEEE10hipError_tT1_PNSt15iterator_traitsISG_E10value_typeET2_T3_PNSH_ISM_E10value_typeET4_T5_PSR_SS_PNS1_23onesweep_lookback_stateEbbT6_jjT7_P12ihipStream_tbENKUlT_T0_SG_SL_E_clISA_SA_SB_SB_EEDaSZ_S10_SG_SL_EUlSZ_E_NS1_11comp_targetILNS1_3genE8ELNS1_11target_archE1030ELNS1_3gpuE2ELNS1_3repE0EEENS1_47radix_sort_onesweep_sort_config_static_selectorELNS0_4arch9wavefront6targetE0EEEvSG_
    .private_segment_fixed_size: 0
    .sgpr_count:     0
    .sgpr_spill_count: 0
    .symbol:         _ZN7rocprim17ROCPRIM_400000_NS6detail17trampoline_kernelINS0_14default_configENS1_35radix_sort_onesweep_config_selectorIbNS0_10empty_typeEEEZZNS1_29radix_sort_onesweep_iterationIS3_Lb1EPKbPbPS5_SB_mNS0_19identity_decomposerENS1_16block_id_wrapperIjLb1EEEEE10hipError_tT1_PNSt15iterator_traitsISG_E10value_typeET2_T3_PNSH_ISM_E10value_typeET4_T5_PSR_SS_PNS1_23onesweep_lookback_stateEbbT6_jjT7_P12ihipStream_tbENKUlT_T0_SG_SL_E_clISA_SA_SB_SB_EEDaSZ_S10_SG_SL_EUlSZ_E_NS1_11comp_targetILNS1_3genE8ELNS1_11target_archE1030ELNS1_3gpuE2ELNS1_3repE0EEENS1_47radix_sort_onesweep_sort_config_static_selectorELNS0_4arch9wavefront6targetE0EEEvSG_.kd
    .uniform_work_group_size: 1
    .uses_dynamic_stack: false
    .vgpr_count:     0
    .vgpr_spill_count: 0
    .wavefront_size: 32
  - .args:
      - .offset:         0
        .size:           88
        .value_kind:     by_value
      - .offset:         88
        .size:           4
        .value_kind:     hidden_block_count_x
      - .offset:         92
        .size:           4
        .value_kind:     hidden_block_count_y
      - .offset:         96
        .size:           4
        .value_kind:     hidden_block_count_z
      - .offset:         100
        .size:           2
        .value_kind:     hidden_group_size_x
      - .offset:         102
        .size:           2
        .value_kind:     hidden_group_size_y
      - .offset:         104
        .size:           2
        .value_kind:     hidden_group_size_z
      - .offset:         106
        .size:           2
        .value_kind:     hidden_remainder_x
      - .offset:         108
        .size:           2
        .value_kind:     hidden_remainder_y
      - .offset:         110
        .size:           2
        .value_kind:     hidden_remainder_z
      - .offset:         128
        .size:           8
        .value_kind:     hidden_global_offset_x
      - .offset:         136
        .size:           8
        .value_kind:     hidden_global_offset_y
      - .offset:         144
        .size:           8
        .value_kind:     hidden_global_offset_z
      - .offset:         152
        .size:           2
        .value_kind:     hidden_grid_dims
    .group_segment_fixed_size: 32904
    .kernarg_segment_align: 8
    .kernarg_segment_size: 344
    .language:       OpenCL C
    .language_version:
      - 2
      - 0
    .max_flat_workgroup_size: 1024
    .name:           _ZN7rocprim17ROCPRIM_400000_NS6detail17trampoline_kernelINS0_14default_configENS1_35radix_sort_onesweep_config_selectorIbNS0_10empty_typeEEEZZNS1_29radix_sort_onesweep_iterationIS3_Lb1EPKbPbPS5_SB_mNS0_19identity_decomposerENS1_16block_id_wrapperIjLb0EEEEE10hipError_tT1_PNSt15iterator_traitsISG_E10value_typeET2_T3_PNSH_ISM_E10value_typeET4_T5_PSR_SS_PNS1_23onesweep_lookback_stateEbbT6_jjT7_P12ihipStream_tbENKUlT_T0_SG_SL_E_clIS9_SA_SB_SB_EEDaSZ_S10_SG_SL_EUlSZ_E_NS1_11comp_targetILNS1_3genE0ELNS1_11target_archE4294967295ELNS1_3gpuE0ELNS1_3repE0EEENS1_47radix_sort_onesweep_sort_config_static_selectorELNS0_4arch9wavefront6targetE0EEEvSG_
    .private_segment_fixed_size: 0
    .sgpr_count:     27
    .sgpr_spill_count: 0
    .symbol:         _ZN7rocprim17ROCPRIM_400000_NS6detail17trampoline_kernelINS0_14default_configENS1_35radix_sort_onesweep_config_selectorIbNS0_10empty_typeEEEZZNS1_29radix_sort_onesweep_iterationIS3_Lb1EPKbPbPS5_SB_mNS0_19identity_decomposerENS1_16block_id_wrapperIjLb0EEEEE10hipError_tT1_PNSt15iterator_traitsISG_E10value_typeET2_T3_PNSH_ISM_E10value_typeET4_T5_PSR_SS_PNS1_23onesweep_lookback_stateEbbT6_jjT7_P12ihipStream_tbENKUlT_T0_SG_SL_E_clIS9_SA_SB_SB_EEDaSZ_S10_SG_SL_EUlSZ_E_NS1_11comp_targetILNS1_3genE0ELNS1_11target_archE4294967295ELNS1_3gpuE0ELNS1_3repE0EEENS1_47radix_sort_onesweep_sort_config_static_selectorELNS0_4arch9wavefront6targetE0EEEvSG_.kd
    .uniform_work_group_size: 1
    .uses_dynamic_stack: false
    .vgpr_count:     80
    .vgpr_spill_count: 0
    .wavefront_size: 32
  - .args:
      - .offset:         0
        .size:           88
        .value_kind:     by_value
    .group_segment_fixed_size: 0
    .kernarg_segment_align: 8
    .kernarg_segment_size: 88
    .language:       OpenCL C
    .language_version:
      - 2
      - 0
    .max_flat_workgroup_size: 1024
    .name:           _ZN7rocprim17ROCPRIM_400000_NS6detail17trampoline_kernelINS0_14default_configENS1_35radix_sort_onesweep_config_selectorIbNS0_10empty_typeEEEZZNS1_29radix_sort_onesweep_iterationIS3_Lb1EPKbPbPS5_SB_mNS0_19identity_decomposerENS1_16block_id_wrapperIjLb0EEEEE10hipError_tT1_PNSt15iterator_traitsISG_E10value_typeET2_T3_PNSH_ISM_E10value_typeET4_T5_PSR_SS_PNS1_23onesweep_lookback_stateEbbT6_jjT7_P12ihipStream_tbENKUlT_T0_SG_SL_E_clIS9_SA_SB_SB_EEDaSZ_S10_SG_SL_EUlSZ_E_NS1_11comp_targetILNS1_3genE6ELNS1_11target_archE950ELNS1_3gpuE13ELNS1_3repE0EEENS1_47radix_sort_onesweep_sort_config_static_selectorELNS0_4arch9wavefront6targetE0EEEvSG_
    .private_segment_fixed_size: 0
    .sgpr_count:     0
    .sgpr_spill_count: 0
    .symbol:         _ZN7rocprim17ROCPRIM_400000_NS6detail17trampoline_kernelINS0_14default_configENS1_35radix_sort_onesweep_config_selectorIbNS0_10empty_typeEEEZZNS1_29radix_sort_onesweep_iterationIS3_Lb1EPKbPbPS5_SB_mNS0_19identity_decomposerENS1_16block_id_wrapperIjLb0EEEEE10hipError_tT1_PNSt15iterator_traitsISG_E10value_typeET2_T3_PNSH_ISM_E10value_typeET4_T5_PSR_SS_PNS1_23onesweep_lookback_stateEbbT6_jjT7_P12ihipStream_tbENKUlT_T0_SG_SL_E_clIS9_SA_SB_SB_EEDaSZ_S10_SG_SL_EUlSZ_E_NS1_11comp_targetILNS1_3genE6ELNS1_11target_archE950ELNS1_3gpuE13ELNS1_3repE0EEENS1_47radix_sort_onesweep_sort_config_static_selectorELNS0_4arch9wavefront6targetE0EEEvSG_.kd
    .uniform_work_group_size: 1
    .uses_dynamic_stack: false
    .vgpr_count:     0
    .vgpr_spill_count: 0
    .wavefront_size: 32
  - .args:
      - .offset:         0
        .size:           88
        .value_kind:     by_value
    .group_segment_fixed_size: 0
    .kernarg_segment_align: 8
    .kernarg_segment_size: 88
    .language:       OpenCL C
    .language_version:
      - 2
      - 0
    .max_flat_workgroup_size: 1024
    .name:           _ZN7rocprim17ROCPRIM_400000_NS6detail17trampoline_kernelINS0_14default_configENS1_35radix_sort_onesweep_config_selectorIbNS0_10empty_typeEEEZZNS1_29radix_sort_onesweep_iterationIS3_Lb1EPKbPbPS5_SB_mNS0_19identity_decomposerENS1_16block_id_wrapperIjLb0EEEEE10hipError_tT1_PNSt15iterator_traitsISG_E10value_typeET2_T3_PNSH_ISM_E10value_typeET4_T5_PSR_SS_PNS1_23onesweep_lookback_stateEbbT6_jjT7_P12ihipStream_tbENKUlT_T0_SG_SL_E_clIS9_SA_SB_SB_EEDaSZ_S10_SG_SL_EUlSZ_E_NS1_11comp_targetILNS1_3genE5ELNS1_11target_archE942ELNS1_3gpuE9ELNS1_3repE0EEENS1_47radix_sort_onesweep_sort_config_static_selectorELNS0_4arch9wavefront6targetE0EEEvSG_
    .private_segment_fixed_size: 0
    .sgpr_count:     0
    .sgpr_spill_count: 0
    .symbol:         _ZN7rocprim17ROCPRIM_400000_NS6detail17trampoline_kernelINS0_14default_configENS1_35radix_sort_onesweep_config_selectorIbNS0_10empty_typeEEEZZNS1_29radix_sort_onesweep_iterationIS3_Lb1EPKbPbPS5_SB_mNS0_19identity_decomposerENS1_16block_id_wrapperIjLb0EEEEE10hipError_tT1_PNSt15iterator_traitsISG_E10value_typeET2_T3_PNSH_ISM_E10value_typeET4_T5_PSR_SS_PNS1_23onesweep_lookback_stateEbbT6_jjT7_P12ihipStream_tbENKUlT_T0_SG_SL_E_clIS9_SA_SB_SB_EEDaSZ_S10_SG_SL_EUlSZ_E_NS1_11comp_targetILNS1_3genE5ELNS1_11target_archE942ELNS1_3gpuE9ELNS1_3repE0EEENS1_47radix_sort_onesweep_sort_config_static_selectorELNS0_4arch9wavefront6targetE0EEEvSG_.kd
    .uniform_work_group_size: 1
    .uses_dynamic_stack: false
    .vgpr_count:     0
    .vgpr_spill_count: 0
    .wavefront_size: 32
  - .args:
      - .offset:         0
        .size:           88
        .value_kind:     by_value
    .group_segment_fixed_size: 0
    .kernarg_segment_align: 8
    .kernarg_segment_size: 88
    .language:       OpenCL C
    .language_version:
      - 2
      - 0
    .max_flat_workgroup_size: 512
    .name:           _ZN7rocprim17ROCPRIM_400000_NS6detail17trampoline_kernelINS0_14default_configENS1_35radix_sort_onesweep_config_selectorIbNS0_10empty_typeEEEZZNS1_29radix_sort_onesweep_iterationIS3_Lb1EPKbPbPS5_SB_mNS0_19identity_decomposerENS1_16block_id_wrapperIjLb0EEEEE10hipError_tT1_PNSt15iterator_traitsISG_E10value_typeET2_T3_PNSH_ISM_E10value_typeET4_T5_PSR_SS_PNS1_23onesweep_lookback_stateEbbT6_jjT7_P12ihipStream_tbENKUlT_T0_SG_SL_E_clIS9_SA_SB_SB_EEDaSZ_S10_SG_SL_EUlSZ_E_NS1_11comp_targetILNS1_3genE2ELNS1_11target_archE906ELNS1_3gpuE6ELNS1_3repE0EEENS1_47radix_sort_onesweep_sort_config_static_selectorELNS0_4arch9wavefront6targetE0EEEvSG_
    .private_segment_fixed_size: 0
    .sgpr_count:     0
    .sgpr_spill_count: 0
    .symbol:         _ZN7rocprim17ROCPRIM_400000_NS6detail17trampoline_kernelINS0_14default_configENS1_35radix_sort_onesweep_config_selectorIbNS0_10empty_typeEEEZZNS1_29radix_sort_onesweep_iterationIS3_Lb1EPKbPbPS5_SB_mNS0_19identity_decomposerENS1_16block_id_wrapperIjLb0EEEEE10hipError_tT1_PNSt15iterator_traitsISG_E10value_typeET2_T3_PNSH_ISM_E10value_typeET4_T5_PSR_SS_PNS1_23onesweep_lookback_stateEbbT6_jjT7_P12ihipStream_tbENKUlT_T0_SG_SL_E_clIS9_SA_SB_SB_EEDaSZ_S10_SG_SL_EUlSZ_E_NS1_11comp_targetILNS1_3genE2ELNS1_11target_archE906ELNS1_3gpuE6ELNS1_3repE0EEENS1_47radix_sort_onesweep_sort_config_static_selectorELNS0_4arch9wavefront6targetE0EEEvSG_.kd
    .uniform_work_group_size: 1
    .uses_dynamic_stack: false
    .vgpr_count:     0
    .vgpr_spill_count: 0
    .wavefront_size: 32
  - .args:
      - .offset:         0
        .size:           88
        .value_kind:     by_value
    .group_segment_fixed_size: 0
    .kernarg_segment_align: 8
    .kernarg_segment_size: 88
    .language:       OpenCL C
    .language_version:
      - 2
      - 0
    .max_flat_workgroup_size: 512
    .name:           _ZN7rocprim17ROCPRIM_400000_NS6detail17trampoline_kernelINS0_14default_configENS1_35radix_sort_onesweep_config_selectorIbNS0_10empty_typeEEEZZNS1_29radix_sort_onesweep_iterationIS3_Lb1EPKbPbPS5_SB_mNS0_19identity_decomposerENS1_16block_id_wrapperIjLb0EEEEE10hipError_tT1_PNSt15iterator_traitsISG_E10value_typeET2_T3_PNSH_ISM_E10value_typeET4_T5_PSR_SS_PNS1_23onesweep_lookback_stateEbbT6_jjT7_P12ihipStream_tbENKUlT_T0_SG_SL_E_clIS9_SA_SB_SB_EEDaSZ_S10_SG_SL_EUlSZ_E_NS1_11comp_targetILNS1_3genE4ELNS1_11target_archE910ELNS1_3gpuE8ELNS1_3repE0EEENS1_47radix_sort_onesweep_sort_config_static_selectorELNS0_4arch9wavefront6targetE0EEEvSG_
    .private_segment_fixed_size: 0
    .sgpr_count:     0
    .sgpr_spill_count: 0
    .symbol:         _ZN7rocprim17ROCPRIM_400000_NS6detail17trampoline_kernelINS0_14default_configENS1_35radix_sort_onesweep_config_selectorIbNS0_10empty_typeEEEZZNS1_29radix_sort_onesweep_iterationIS3_Lb1EPKbPbPS5_SB_mNS0_19identity_decomposerENS1_16block_id_wrapperIjLb0EEEEE10hipError_tT1_PNSt15iterator_traitsISG_E10value_typeET2_T3_PNSH_ISM_E10value_typeET4_T5_PSR_SS_PNS1_23onesweep_lookback_stateEbbT6_jjT7_P12ihipStream_tbENKUlT_T0_SG_SL_E_clIS9_SA_SB_SB_EEDaSZ_S10_SG_SL_EUlSZ_E_NS1_11comp_targetILNS1_3genE4ELNS1_11target_archE910ELNS1_3gpuE8ELNS1_3repE0EEENS1_47radix_sort_onesweep_sort_config_static_selectorELNS0_4arch9wavefront6targetE0EEEvSG_.kd
    .uniform_work_group_size: 1
    .uses_dynamic_stack: false
    .vgpr_count:     0
    .vgpr_spill_count: 0
    .wavefront_size: 32
  - .args:
      - .offset:         0
        .size:           88
        .value_kind:     by_value
    .group_segment_fixed_size: 0
    .kernarg_segment_align: 8
    .kernarg_segment_size: 88
    .language:       OpenCL C
    .language_version:
      - 2
      - 0
    .max_flat_workgroup_size: 1024
    .name:           _ZN7rocprim17ROCPRIM_400000_NS6detail17trampoline_kernelINS0_14default_configENS1_35radix_sort_onesweep_config_selectorIbNS0_10empty_typeEEEZZNS1_29radix_sort_onesweep_iterationIS3_Lb1EPKbPbPS5_SB_mNS0_19identity_decomposerENS1_16block_id_wrapperIjLb0EEEEE10hipError_tT1_PNSt15iterator_traitsISG_E10value_typeET2_T3_PNSH_ISM_E10value_typeET4_T5_PSR_SS_PNS1_23onesweep_lookback_stateEbbT6_jjT7_P12ihipStream_tbENKUlT_T0_SG_SL_E_clIS9_SA_SB_SB_EEDaSZ_S10_SG_SL_EUlSZ_E_NS1_11comp_targetILNS1_3genE3ELNS1_11target_archE908ELNS1_3gpuE7ELNS1_3repE0EEENS1_47radix_sort_onesweep_sort_config_static_selectorELNS0_4arch9wavefront6targetE0EEEvSG_
    .private_segment_fixed_size: 0
    .sgpr_count:     0
    .sgpr_spill_count: 0
    .symbol:         _ZN7rocprim17ROCPRIM_400000_NS6detail17trampoline_kernelINS0_14default_configENS1_35radix_sort_onesweep_config_selectorIbNS0_10empty_typeEEEZZNS1_29radix_sort_onesweep_iterationIS3_Lb1EPKbPbPS5_SB_mNS0_19identity_decomposerENS1_16block_id_wrapperIjLb0EEEEE10hipError_tT1_PNSt15iterator_traitsISG_E10value_typeET2_T3_PNSH_ISM_E10value_typeET4_T5_PSR_SS_PNS1_23onesweep_lookback_stateEbbT6_jjT7_P12ihipStream_tbENKUlT_T0_SG_SL_E_clIS9_SA_SB_SB_EEDaSZ_S10_SG_SL_EUlSZ_E_NS1_11comp_targetILNS1_3genE3ELNS1_11target_archE908ELNS1_3gpuE7ELNS1_3repE0EEENS1_47radix_sort_onesweep_sort_config_static_selectorELNS0_4arch9wavefront6targetE0EEEvSG_.kd
    .uniform_work_group_size: 1
    .uses_dynamic_stack: false
    .vgpr_count:     0
    .vgpr_spill_count: 0
    .wavefront_size: 32
  - .args:
      - .offset:         0
        .size:           88
        .value_kind:     by_value
    .group_segment_fixed_size: 0
    .kernarg_segment_align: 8
    .kernarg_segment_size: 88
    .language:       OpenCL C
    .language_version:
      - 2
      - 0
    .max_flat_workgroup_size: 256
    .name:           _ZN7rocprim17ROCPRIM_400000_NS6detail17trampoline_kernelINS0_14default_configENS1_35radix_sort_onesweep_config_selectorIbNS0_10empty_typeEEEZZNS1_29radix_sort_onesweep_iterationIS3_Lb1EPKbPbPS5_SB_mNS0_19identity_decomposerENS1_16block_id_wrapperIjLb0EEEEE10hipError_tT1_PNSt15iterator_traitsISG_E10value_typeET2_T3_PNSH_ISM_E10value_typeET4_T5_PSR_SS_PNS1_23onesweep_lookback_stateEbbT6_jjT7_P12ihipStream_tbENKUlT_T0_SG_SL_E_clIS9_SA_SB_SB_EEDaSZ_S10_SG_SL_EUlSZ_E_NS1_11comp_targetILNS1_3genE10ELNS1_11target_archE1201ELNS1_3gpuE5ELNS1_3repE0EEENS1_47radix_sort_onesweep_sort_config_static_selectorELNS0_4arch9wavefront6targetE0EEEvSG_
    .private_segment_fixed_size: 0
    .sgpr_count:     0
    .sgpr_spill_count: 0
    .symbol:         _ZN7rocprim17ROCPRIM_400000_NS6detail17trampoline_kernelINS0_14default_configENS1_35radix_sort_onesweep_config_selectorIbNS0_10empty_typeEEEZZNS1_29radix_sort_onesweep_iterationIS3_Lb1EPKbPbPS5_SB_mNS0_19identity_decomposerENS1_16block_id_wrapperIjLb0EEEEE10hipError_tT1_PNSt15iterator_traitsISG_E10value_typeET2_T3_PNSH_ISM_E10value_typeET4_T5_PSR_SS_PNS1_23onesweep_lookback_stateEbbT6_jjT7_P12ihipStream_tbENKUlT_T0_SG_SL_E_clIS9_SA_SB_SB_EEDaSZ_S10_SG_SL_EUlSZ_E_NS1_11comp_targetILNS1_3genE10ELNS1_11target_archE1201ELNS1_3gpuE5ELNS1_3repE0EEENS1_47radix_sort_onesweep_sort_config_static_selectorELNS0_4arch9wavefront6targetE0EEEvSG_.kd
    .uniform_work_group_size: 1
    .uses_dynamic_stack: false
    .vgpr_count:     0
    .vgpr_spill_count: 0
    .wavefront_size: 32
  - .args:
      - .offset:         0
        .size:           88
        .value_kind:     by_value
    .group_segment_fixed_size: 0
    .kernarg_segment_align: 8
    .kernarg_segment_size: 88
    .language:       OpenCL C
    .language_version:
      - 2
      - 0
    .max_flat_workgroup_size: 256
    .name:           _ZN7rocprim17ROCPRIM_400000_NS6detail17trampoline_kernelINS0_14default_configENS1_35radix_sort_onesweep_config_selectorIbNS0_10empty_typeEEEZZNS1_29radix_sort_onesweep_iterationIS3_Lb1EPKbPbPS5_SB_mNS0_19identity_decomposerENS1_16block_id_wrapperIjLb0EEEEE10hipError_tT1_PNSt15iterator_traitsISG_E10value_typeET2_T3_PNSH_ISM_E10value_typeET4_T5_PSR_SS_PNS1_23onesweep_lookback_stateEbbT6_jjT7_P12ihipStream_tbENKUlT_T0_SG_SL_E_clIS9_SA_SB_SB_EEDaSZ_S10_SG_SL_EUlSZ_E_NS1_11comp_targetILNS1_3genE9ELNS1_11target_archE1100ELNS1_3gpuE3ELNS1_3repE0EEENS1_47radix_sort_onesweep_sort_config_static_selectorELNS0_4arch9wavefront6targetE0EEEvSG_
    .private_segment_fixed_size: 0
    .sgpr_count:     0
    .sgpr_spill_count: 0
    .symbol:         _ZN7rocprim17ROCPRIM_400000_NS6detail17trampoline_kernelINS0_14default_configENS1_35radix_sort_onesweep_config_selectorIbNS0_10empty_typeEEEZZNS1_29radix_sort_onesweep_iterationIS3_Lb1EPKbPbPS5_SB_mNS0_19identity_decomposerENS1_16block_id_wrapperIjLb0EEEEE10hipError_tT1_PNSt15iterator_traitsISG_E10value_typeET2_T3_PNSH_ISM_E10value_typeET4_T5_PSR_SS_PNS1_23onesweep_lookback_stateEbbT6_jjT7_P12ihipStream_tbENKUlT_T0_SG_SL_E_clIS9_SA_SB_SB_EEDaSZ_S10_SG_SL_EUlSZ_E_NS1_11comp_targetILNS1_3genE9ELNS1_11target_archE1100ELNS1_3gpuE3ELNS1_3repE0EEENS1_47radix_sort_onesweep_sort_config_static_selectorELNS0_4arch9wavefront6targetE0EEEvSG_.kd
    .uniform_work_group_size: 1
    .uses_dynamic_stack: false
    .vgpr_count:     0
    .vgpr_spill_count: 0
    .wavefront_size: 32
  - .args:
      - .offset:         0
        .size:           88
        .value_kind:     by_value
    .group_segment_fixed_size: 0
    .kernarg_segment_align: 8
    .kernarg_segment_size: 88
    .language:       OpenCL C
    .language_version:
      - 2
      - 0
    .max_flat_workgroup_size: 256
    .name:           _ZN7rocprim17ROCPRIM_400000_NS6detail17trampoline_kernelINS0_14default_configENS1_35radix_sort_onesweep_config_selectorIbNS0_10empty_typeEEEZZNS1_29radix_sort_onesweep_iterationIS3_Lb1EPKbPbPS5_SB_mNS0_19identity_decomposerENS1_16block_id_wrapperIjLb0EEEEE10hipError_tT1_PNSt15iterator_traitsISG_E10value_typeET2_T3_PNSH_ISM_E10value_typeET4_T5_PSR_SS_PNS1_23onesweep_lookback_stateEbbT6_jjT7_P12ihipStream_tbENKUlT_T0_SG_SL_E_clIS9_SA_SB_SB_EEDaSZ_S10_SG_SL_EUlSZ_E_NS1_11comp_targetILNS1_3genE8ELNS1_11target_archE1030ELNS1_3gpuE2ELNS1_3repE0EEENS1_47radix_sort_onesweep_sort_config_static_selectorELNS0_4arch9wavefront6targetE0EEEvSG_
    .private_segment_fixed_size: 0
    .sgpr_count:     0
    .sgpr_spill_count: 0
    .symbol:         _ZN7rocprim17ROCPRIM_400000_NS6detail17trampoline_kernelINS0_14default_configENS1_35radix_sort_onesweep_config_selectorIbNS0_10empty_typeEEEZZNS1_29radix_sort_onesweep_iterationIS3_Lb1EPKbPbPS5_SB_mNS0_19identity_decomposerENS1_16block_id_wrapperIjLb0EEEEE10hipError_tT1_PNSt15iterator_traitsISG_E10value_typeET2_T3_PNSH_ISM_E10value_typeET4_T5_PSR_SS_PNS1_23onesweep_lookback_stateEbbT6_jjT7_P12ihipStream_tbENKUlT_T0_SG_SL_E_clIS9_SA_SB_SB_EEDaSZ_S10_SG_SL_EUlSZ_E_NS1_11comp_targetILNS1_3genE8ELNS1_11target_archE1030ELNS1_3gpuE2ELNS1_3repE0EEENS1_47radix_sort_onesweep_sort_config_static_selectorELNS0_4arch9wavefront6targetE0EEEvSG_.kd
    .uniform_work_group_size: 1
    .uses_dynamic_stack: false
    .vgpr_count:     0
    .vgpr_spill_count: 0
    .wavefront_size: 32
  - .args:
      - .offset:         0
        .size:           88
        .value_kind:     by_value
      - .offset:         88
        .size:           4
        .value_kind:     hidden_block_count_x
      - .offset:         92
        .size:           4
        .value_kind:     hidden_block_count_y
      - .offset:         96
        .size:           4
        .value_kind:     hidden_block_count_z
      - .offset:         100
        .size:           2
        .value_kind:     hidden_group_size_x
      - .offset:         102
        .size:           2
        .value_kind:     hidden_group_size_y
      - .offset:         104
        .size:           2
        .value_kind:     hidden_group_size_z
      - .offset:         106
        .size:           2
        .value_kind:     hidden_remainder_x
      - .offset:         108
        .size:           2
        .value_kind:     hidden_remainder_y
      - .offset:         110
        .size:           2
        .value_kind:     hidden_remainder_z
      - .offset:         128
        .size:           8
        .value_kind:     hidden_global_offset_x
      - .offset:         136
        .size:           8
        .value_kind:     hidden_global_offset_y
      - .offset:         144
        .size:           8
        .value_kind:     hidden_global_offset_z
      - .offset:         152
        .size:           2
        .value_kind:     hidden_grid_dims
    .group_segment_fixed_size: 32904
    .kernarg_segment_align: 8
    .kernarg_segment_size: 344
    .language:       OpenCL C
    .language_version:
      - 2
      - 0
    .max_flat_workgroup_size: 1024
    .name:           _ZN7rocprim17ROCPRIM_400000_NS6detail17trampoline_kernelINS0_14default_configENS1_35radix_sort_onesweep_config_selectorIbNS0_10empty_typeEEEZZNS1_29radix_sort_onesweep_iterationIS3_Lb1EPKbPbPS5_SB_mNS0_19identity_decomposerENS1_16block_id_wrapperIjLb0EEEEE10hipError_tT1_PNSt15iterator_traitsISG_E10value_typeET2_T3_PNSH_ISM_E10value_typeET4_T5_PSR_SS_PNS1_23onesweep_lookback_stateEbbT6_jjT7_P12ihipStream_tbENKUlT_T0_SG_SL_E_clISA_SA_SB_SB_EEDaSZ_S10_SG_SL_EUlSZ_E_NS1_11comp_targetILNS1_3genE0ELNS1_11target_archE4294967295ELNS1_3gpuE0ELNS1_3repE0EEENS1_47radix_sort_onesweep_sort_config_static_selectorELNS0_4arch9wavefront6targetE0EEEvSG_
    .private_segment_fixed_size: 0
    .sgpr_count:     27
    .sgpr_spill_count: 0
    .symbol:         _ZN7rocprim17ROCPRIM_400000_NS6detail17trampoline_kernelINS0_14default_configENS1_35radix_sort_onesweep_config_selectorIbNS0_10empty_typeEEEZZNS1_29radix_sort_onesweep_iterationIS3_Lb1EPKbPbPS5_SB_mNS0_19identity_decomposerENS1_16block_id_wrapperIjLb0EEEEE10hipError_tT1_PNSt15iterator_traitsISG_E10value_typeET2_T3_PNSH_ISM_E10value_typeET4_T5_PSR_SS_PNS1_23onesweep_lookback_stateEbbT6_jjT7_P12ihipStream_tbENKUlT_T0_SG_SL_E_clISA_SA_SB_SB_EEDaSZ_S10_SG_SL_EUlSZ_E_NS1_11comp_targetILNS1_3genE0ELNS1_11target_archE4294967295ELNS1_3gpuE0ELNS1_3repE0EEENS1_47radix_sort_onesweep_sort_config_static_selectorELNS0_4arch9wavefront6targetE0EEEvSG_.kd
    .uniform_work_group_size: 1
    .uses_dynamic_stack: false
    .vgpr_count:     80
    .vgpr_spill_count: 0
    .wavefront_size: 32
  - .args:
      - .offset:         0
        .size:           88
        .value_kind:     by_value
    .group_segment_fixed_size: 0
    .kernarg_segment_align: 8
    .kernarg_segment_size: 88
    .language:       OpenCL C
    .language_version:
      - 2
      - 0
    .max_flat_workgroup_size: 1024
    .name:           _ZN7rocprim17ROCPRIM_400000_NS6detail17trampoline_kernelINS0_14default_configENS1_35radix_sort_onesweep_config_selectorIbNS0_10empty_typeEEEZZNS1_29radix_sort_onesweep_iterationIS3_Lb1EPKbPbPS5_SB_mNS0_19identity_decomposerENS1_16block_id_wrapperIjLb0EEEEE10hipError_tT1_PNSt15iterator_traitsISG_E10value_typeET2_T3_PNSH_ISM_E10value_typeET4_T5_PSR_SS_PNS1_23onesweep_lookback_stateEbbT6_jjT7_P12ihipStream_tbENKUlT_T0_SG_SL_E_clISA_SA_SB_SB_EEDaSZ_S10_SG_SL_EUlSZ_E_NS1_11comp_targetILNS1_3genE6ELNS1_11target_archE950ELNS1_3gpuE13ELNS1_3repE0EEENS1_47radix_sort_onesweep_sort_config_static_selectorELNS0_4arch9wavefront6targetE0EEEvSG_
    .private_segment_fixed_size: 0
    .sgpr_count:     0
    .sgpr_spill_count: 0
    .symbol:         _ZN7rocprim17ROCPRIM_400000_NS6detail17trampoline_kernelINS0_14default_configENS1_35radix_sort_onesweep_config_selectorIbNS0_10empty_typeEEEZZNS1_29radix_sort_onesweep_iterationIS3_Lb1EPKbPbPS5_SB_mNS0_19identity_decomposerENS1_16block_id_wrapperIjLb0EEEEE10hipError_tT1_PNSt15iterator_traitsISG_E10value_typeET2_T3_PNSH_ISM_E10value_typeET4_T5_PSR_SS_PNS1_23onesweep_lookback_stateEbbT6_jjT7_P12ihipStream_tbENKUlT_T0_SG_SL_E_clISA_SA_SB_SB_EEDaSZ_S10_SG_SL_EUlSZ_E_NS1_11comp_targetILNS1_3genE6ELNS1_11target_archE950ELNS1_3gpuE13ELNS1_3repE0EEENS1_47radix_sort_onesweep_sort_config_static_selectorELNS0_4arch9wavefront6targetE0EEEvSG_.kd
    .uniform_work_group_size: 1
    .uses_dynamic_stack: false
    .vgpr_count:     0
    .vgpr_spill_count: 0
    .wavefront_size: 32
  - .args:
      - .offset:         0
        .size:           88
        .value_kind:     by_value
    .group_segment_fixed_size: 0
    .kernarg_segment_align: 8
    .kernarg_segment_size: 88
    .language:       OpenCL C
    .language_version:
      - 2
      - 0
    .max_flat_workgroup_size: 1024
    .name:           _ZN7rocprim17ROCPRIM_400000_NS6detail17trampoline_kernelINS0_14default_configENS1_35radix_sort_onesweep_config_selectorIbNS0_10empty_typeEEEZZNS1_29radix_sort_onesweep_iterationIS3_Lb1EPKbPbPS5_SB_mNS0_19identity_decomposerENS1_16block_id_wrapperIjLb0EEEEE10hipError_tT1_PNSt15iterator_traitsISG_E10value_typeET2_T3_PNSH_ISM_E10value_typeET4_T5_PSR_SS_PNS1_23onesweep_lookback_stateEbbT6_jjT7_P12ihipStream_tbENKUlT_T0_SG_SL_E_clISA_SA_SB_SB_EEDaSZ_S10_SG_SL_EUlSZ_E_NS1_11comp_targetILNS1_3genE5ELNS1_11target_archE942ELNS1_3gpuE9ELNS1_3repE0EEENS1_47radix_sort_onesweep_sort_config_static_selectorELNS0_4arch9wavefront6targetE0EEEvSG_
    .private_segment_fixed_size: 0
    .sgpr_count:     0
    .sgpr_spill_count: 0
    .symbol:         _ZN7rocprim17ROCPRIM_400000_NS6detail17trampoline_kernelINS0_14default_configENS1_35radix_sort_onesweep_config_selectorIbNS0_10empty_typeEEEZZNS1_29radix_sort_onesweep_iterationIS3_Lb1EPKbPbPS5_SB_mNS0_19identity_decomposerENS1_16block_id_wrapperIjLb0EEEEE10hipError_tT1_PNSt15iterator_traitsISG_E10value_typeET2_T3_PNSH_ISM_E10value_typeET4_T5_PSR_SS_PNS1_23onesweep_lookback_stateEbbT6_jjT7_P12ihipStream_tbENKUlT_T0_SG_SL_E_clISA_SA_SB_SB_EEDaSZ_S10_SG_SL_EUlSZ_E_NS1_11comp_targetILNS1_3genE5ELNS1_11target_archE942ELNS1_3gpuE9ELNS1_3repE0EEENS1_47radix_sort_onesweep_sort_config_static_selectorELNS0_4arch9wavefront6targetE0EEEvSG_.kd
    .uniform_work_group_size: 1
    .uses_dynamic_stack: false
    .vgpr_count:     0
    .vgpr_spill_count: 0
    .wavefront_size: 32
  - .args:
      - .offset:         0
        .size:           88
        .value_kind:     by_value
    .group_segment_fixed_size: 0
    .kernarg_segment_align: 8
    .kernarg_segment_size: 88
    .language:       OpenCL C
    .language_version:
      - 2
      - 0
    .max_flat_workgroup_size: 512
    .name:           _ZN7rocprim17ROCPRIM_400000_NS6detail17trampoline_kernelINS0_14default_configENS1_35radix_sort_onesweep_config_selectorIbNS0_10empty_typeEEEZZNS1_29radix_sort_onesweep_iterationIS3_Lb1EPKbPbPS5_SB_mNS0_19identity_decomposerENS1_16block_id_wrapperIjLb0EEEEE10hipError_tT1_PNSt15iterator_traitsISG_E10value_typeET2_T3_PNSH_ISM_E10value_typeET4_T5_PSR_SS_PNS1_23onesweep_lookback_stateEbbT6_jjT7_P12ihipStream_tbENKUlT_T0_SG_SL_E_clISA_SA_SB_SB_EEDaSZ_S10_SG_SL_EUlSZ_E_NS1_11comp_targetILNS1_3genE2ELNS1_11target_archE906ELNS1_3gpuE6ELNS1_3repE0EEENS1_47radix_sort_onesweep_sort_config_static_selectorELNS0_4arch9wavefront6targetE0EEEvSG_
    .private_segment_fixed_size: 0
    .sgpr_count:     0
    .sgpr_spill_count: 0
    .symbol:         _ZN7rocprim17ROCPRIM_400000_NS6detail17trampoline_kernelINS0_14default_configENS1_35radix_sort_onesweep_config_selectorIbNS0_10empty_typeEEEZZNS1_29radix_sort_onesweep_iterationIS3_Lb1EPKbPbPS5_SB_mNS0_19identity_decomposerENS1_16block_id_wrapperIjLb0EEEEE10hipError_tT1_PNSt15iterator_traitsISG_E10value_typeET2_T3_PNSH_ISM_E10value_typeET4_T5_PSR_SS_PNS1_23onesweep_lookback_stateEbbT6_jjT7_P12ihipStream_tbENKUlT_T0_SG_SL_E_clISA_SA_SB_SB_EEDaSZ_S10_SG_SL_EUlSZ_E_NS1_11comp_targetILNS1_3genE2ELNS1_11target_archE906ELNS1_3gpuE6ELNS1_3repE0EEENS1_47radix_sort_onesweep_sort_config_static_selectorELNS0_4arch9wavefront6targetE0EEEvSG_.kd
    .uniform_work_group_size: 1
    .uses_dynamic_stack: false
    .vgpr_count:     0
    .vgpr_spill_count: 0
    .wavefront_size: 32
  - .args:
      - .offset:         0
        .size:           88
        .value_kind:     by_value
    .group_segment_fixed_size: 0
    .kernarg_segment_align: 8
    .kernarg_segment_size: 88
    .language:       OpenCL C
    .language_version:
      - 2
      - 0
    .max_flat_workgroup_size: 512
    .name:           _ZN7rocprim17ROCPRIM_400000_NS6detail17trampoline_kernelINS0_14default_configENS1_35radix_sort_onesweep_config_selectorIbNS0_10empty_typeEEEZZNS1_29radix_sort_onesweep_iterationIS3_Lb1EPKbPbPS5_SB_mNS0_19identity_decomposerENS1_16block_id_wrapperIjLb0EEEEE10hipError_tT1_PNSt15iterator_traitsISG_E10value_typeET2_T3_PNSH_ISM_E10value_typeET4_T5_PSR_SS_PNS1_23onesweep_lookback_stateEbbT6_jjT7_P12ihipStream_tbENKUlT_T0_SG_SL_E_clISA_SA_SB_SB_EEDaSZ_S10_SG_SL_EUlSZ_E_NS1_11comp_targetILNS1_3genE4ELNS1_11target_archE910ELNS1_3gpuE8ELNS1_3repE0EEENS1_47radix_sort_onesweep_sort_config_static_selectorELNS0_4arch9wavefront6targetE0EEEvSG_
    .private_segment_fixed_size: 0
    .sgpr_count:     0
    .sgpr_spill_count: 0
    .symbol:         _ZN7rocprim17ROCPRIM_400000_NS6detail17trampoline_kernelINS0_14default_configENS1_35radix_sort_onesweep_config_selectorIbNS0_10empty_typeEEEZZNS1_29radix_sort_onesweep_iterationIS3_Lb1EPKbPbPS5_SB_mNS0_19identity_decomposerENS1_16block_id_wrapperIjLb0EEEEE10hipError_tT1_PNSt15iterator_traitsISG_E10value_typeET2_T3_PNSH_ISM_E10value_typeET4_T5_PSR_SS_PNS1_23onesweep_lookback_stateEbbT6_jjT7_P12ihipStream_tbENKUlT_T0_SG_SL_E_clISA_SA_SB_SB_EEDaSZ_S10_SG_SL_EUlSZ_E_NS1_11comp_targetILNS1_3genE4ELNS1_11target_archE910ELNS1_3gpuE8ELNS1_3repE0EEENS1_47radix_sort_onesweep_sort_config_static_selectorELNS0_4arch9wavefront6targetE0EEEvSG_.kd
    .uniform_work_group_size: 1
    .uses_dynamic_stack: false
    .vgpr_count:     0
    .vgpr_spill_count: 0
    .wavefront_size: 32
  - .args:
      - .offset:         0
        .size:           88
        .value_kind:     by_value
    .group_segment_fixed_size: 0
    .kernarg_segment_align: 8
    .kernarg_segment_size: 88
    .language:       OpenCL C
    .language_version:
      - 2
      - 0
    .max_flat_workgroup_size: 1024
    .name:           _ZN7rocprim17ROCPRIM_400000_NS6detail17trampoline_kernelINS0_14default_configENS1_35radix_sort_onesweep_config_selectorIbNS0_10empty_typeEEEZZNS1_29radix_sort_onesweep_iterationIS3_Lb1EPKbPbPS5_SB_mNS0_19identity_decomposerENS1_16block_id_wrapperIjLb0EEEEE10hipError_tT1_PNSt15iterator_traitsISG_E10value_typeET2_T3_PNSH_ISM_E10value_typeET4_T5_PSR_SS_PNS1_23onesweep_lookback_stateEbbT6_jjT7_P12ihipStream_tbENKUlT_T0_SG_SL_E_clISA_SA_SB_SB_EEDaSZ_S10_SG_SL_EUlSZ_E_NS1_11comp_targetILNS1_3genE3ELNS1_11target_archE908ELNS1_3gpuE7ELNS1_3repE0EEENS1_47radix_sort_onesweep_sort_config_static_selectorELNS0_4arch9wavefront6targetE0EEEvSG_
    .private_segment_fixed_size: 0
    .sgpr_count:     0
    .sgpr_spill_count: 0
    .symbol:         _ZN7rocprim17ROCPRIM_400000_NS6detail17trampoline_kernelINS0_14default_configENS1_35radix_sort_onesweep_config_selectorIbNS0_10empty_typeEEEZZNS1_29radix_sort_onesweep_iterationIS3_Lb1EPKbPbPS5_SB_mNS0_19identity_decomposerENS1_16block_id_wrapperIjLb0EEEEE10hipError_tT1_PNSt15iterator_traitsISG_E10value_typeET2_T3_PNSH_ISM_E10value_typeET4_T5_PSR_SS_PNS1_23onesweep_lookback_stateEbbT6_jjT7_P12ihipStream_tbENKUlT_T0_SG_SL_E_clISA_SA_SB_SB_EEDaSZ_S10_SG_SL_EUlSZ_E_NS1_11comp_targetILNS1_3genE3ELNS1_11target_archE908ELNS1_3gpuE7ELNS1_3repE0EEENS1_47radix_sort_onesweep_sort_config_static_selectorELNS0_4arch9wavefront6targetE0EEEvSG_.kd
    .uniform_work_group_size: 1
    .uses_dynamic_stack: false
    .vgpr_count:     0
    .vgpr_spill_count: 0
    .wavefront_size: 32
  - .args:
      - .offset:         0
        .size:           88
        .value_kind:     by_value
    .group_segment_fixed_size: 0
    .kernarg_segment_align: 8
    .kernarg_segment_size: 88
    .language:       OpenCL C
    .language_version:
      - 2
      - 0
    .max_flat_workgroup_size: 256
    .name:           _ZN7rocprim17ROCPRIM_400000_NS6detail17trampoline_kernelINS0_14default_configENS1_35radix_sort_onesweep_config_selectorIbNS0_10empty_typeEEEZZNS1_29radix_sort_onesweep_iterationIS3_Lb1EPKbPbPS5_SB_mNS0_19identity_decomposerENS1_16block_id_wrapperIjLb0EEEEE10hipError_tT1_PNSt15iterator_traitsISG_E10value_typeET2_T3_PNSH_ISM_E10value_typeET4_T5_PSR_SS_PNS1_23onesweep_lookback_stateEbbT6_jjT7_P12ihipStream_tbENKUlT_T0_SG_SL_E_clISA_SA_SB_SB_EEDaSZ_S10_SG_SL_EUlSZ_E_NS1_11comp_targetILNS1_3genE10ELNS1_11target_archE1201ELNS1_3gpuE5ELNS1_3repE0EEENS1_47radix_sort_onesweep_sort_config_static_selectorELNS0_4arch9wavefront6targetE0EEEvSG_
    .private_segment_fixed_size: 0
    .sgpr_count:     0
    .sgpr_spill_count: 0
    .symbol:         _ZN7rocprim17ROCPRIM_400000_NS6detail17trampoline_kernelINS0_14default_configENS1_35radix_sort_onesweep_config_selectorIbNS0_10empty_typeEEEZZNS1_29radix_sort_onesweep_iterationIS3_Lb1EPKbPbPS5_SB_mNS0_19identity_decomposerENS1_16block_id_wrapperIjLb0EEEEE10hipError_tT1_PNSt15iterator_traitsISG_E10value_typeET2_T3_PNSH_ISM_E10value_typeET4_T5_PSR_SS_PNS1_23onesweep_lookback_stateEbbT6_jjT7_P12ihipStream_tbENKUlT_T0_SG_SL_E_clISA_SA_SB_SB_EEDaSZ_S10_SG_SL_EUlSZ_E_NS1_11comp_targetILNS1_3genE10ELNS1_11target_archE1201ELNS1_3gpuE5ELNS1_3repE0EEENS1_47radix_sort_onesweep_sort_config_static_selectorELNS0_4arch9wavefront6targetE0EEEvSG_.kd
    .uniform_work_group_size: 1
    .uses_dynamic_stack: false
    .vgpr_count:     0
    .vgpr_spill_count: 0
    .wavefront_size: 32
  - .args:
      - .offset:         0
        .size:           88
        .value_kind:     by_value
    .group_segment_fixed_size: 0
    .kernarg_segment_align: 8
    .kernarg_segment_size: 88
    .language:       OpenCL C
    .language_version:
      - 2
      - 0
    .max_flat_workgroup_size: 256
    .name:           _ZN7rocprim17ROCPRIM_400000_NS6detail17trampoline_kernelINS0_14default_configENS1_35radix_sort_onesweep_config_selectorIbNS0_10empty_typeEEEZZNS1_29radix_sort_onesweep_iterationIS3_Lb1EPKbPbPS5_SB_mNS0_19identity_decomposerENS1_16block_id_wrapperIjLb0EEEEE10hipError_tT1_PNSt15iterator_traitsISG_E10value_typeET2_T3_PNSH_ISM_E10value_typeET4_T5_PSR_SS_PNS1_23onesweep_lookback_stateEbbT6_jjT7_P12ihipStream_tbENKUlT_T0_SG_SL_E_clISA_SA_SB_SB_EEDaSZ_S10_SG_SL_EUlSZ_E_NS1_11comp_targetILNS1_3genE9ELNS1_11target_archE1100ELNS1_3gpuE3ELNS1_3repE0EEENS1_47radix_sort_onesweep_sort_config_static_selectorELNS0_4arch9wavefront6targetE0EEEvSG_
    .private_segment_fixed_size: 0
    .sgpr_count:     0
    .sgpr_spill_count: 0
    .symbol:         _ZN7rocprim17ROCPRIM_400000_NS6detail17trampoline_kernelINS0_14default_configENS1_35radix_sort_onesweep_config_selectorIbNS0_10empty_typeEEEZZNS1_29radix_sort_onesweep_iterationIS3_Lb1EPKbPbPS5_SB_mNS0_19identity_decomposerENS1_16block_id_wrapperIjLb0EEEEE10hipError_tT1_PNSt15iterator_traitsISG_E10value_typeET2_T3_PNSH_ISM_E10value_typeET4_T5_PSR_SS_PNS1_23onesweep_lookback_stateEbbT6_jjT7_P12ihipStream_tbENKUlT_T0_SG_SL_E_clISA_SA_SB_SB_EEDaSZ_S10_SG_SL_EUlSZ_E_NS1_11comp_targetILNS1_3genE9ELNS1_11target_archE1100ELNS1_3gpuE3ELNS1_3repE0EEENS1_47radix_sort_onesweep_sort_config_static_selectorELNS0_4arch9wavefront6targetE0EEEvSG_.kd
    .uniform_work_group_size: 1
    .uses_dynamic_stack: false
    .vgpr_count:     0
    .vgpr_spill_count: 0
    .wavefront_size: 32
  - .args:
      - .offset:         0
        .size:           88
        .value_kind:     by_value
    .group_segment_fixed_size: 0
    .kernarg_segment_align: 8
    .kernarg_segment_size: 88
    .language:       OpenCL C
    .language_version:
      - 2
      - 0
    .max_flat_workgroup_size: 256
    .name:           _ZN7rocprim17ROCPRIM_400000_NS6detail17trampoline_kernelINS0_14default_configENS1_35radix_sort_onesweep_config_selectorIbNS0_10empty_typeEEEZZNS1_29radix_sort_onesweep_iterationIS3_Lb1EPKbPbPS5_SB_mNS0_19identity_decomposerENS1_16block_id_wrapperIjLb0EEEEE10hipError_tT1_PNSt15iterator_traitsISG_E10value_typeET2_T3_PNSH_ISM_E10value_typeET4_T5_PSR_SS_PNS1_23onesweep_lookback_stateEbbT6_jjT7_P12ihipStream_tbENKUlT_T0_SG_SL_E_clISA_SA_SB_SB_EEDaSZ_S10_SG_SL_EUlSZ_E_NS1_11comp_targetILNS1_3genE8ELNS1_11target_archE1030ELNS1_3gpuE2ELNS1_3repE0EEENS1_47radix_sort_onesweep_sort_config_static_selectorELNS0_4arch9wavefront6targetE0EEEvSG_
    .private_segment_fixed_size: 0
    .sgpr_count:     0
    .sgpr_spill_count: 0
    .symbol:         _ZN7rocprim17ROCPRIM_400000_NS6detail17trampoline_kernelINS0_14default_configENS1_35radix_sort_onesweep_config_selectorIbNS0_10empty_typeEEEZZNS1_29radix_sort_onesweep_iterationIS3_Lb1EPKbPbPS5_SB_mNS0_19identity_decomposerENS1_16block_id_wrapperIjLb0EEEEE10hipError_tT1_PNSt15iterator_traitsISG_E10value_typeET2_T3_PNSH_ISM_E10value_typeET4_T5_PSR_SS_PNS1_23onesweep_lookback_stateEbbT6_jjT7_P12ihipStream_tbENKUlT_T0_SG_SL_E_clISA_SA_SB_SB_EEDaSZ_S10_SG_SL_EUlSZ_E_NS1_11comp_targetILNS1_3genE8ELNS1_11target_archE1030ELNS1_3gpuE2ELNS1_3repE0EEENS1_47radix_sort_onesweep_sort_config_static_selectorELNS0_4arch9wavefront6targetE0EEEvSG_.kd
    .uniform_work_group_size: 1
    .uses_dynamic_stack: false
    .vgpr_count:     0
    .vgpr_spill_count: 0
    .wavefront_size: 32
  - .args:
      - .offset:         0
        .size:           48
        .value_kind:     by_value
      - .offset:         48
        .size:           4
        .value_kind:     hidden_block_count_x
      - .offset:         52
        .size:           4
        .value_kind:     hidden_block_count_y
      - .offset:         56
        .size:           4
        .value_kind:     hidden_block_count_z
      - .offset:         60
        .size:           2
        .value_kind:     hidden_group_size_x
      - .offset:         62
        .size:           2
        .value_kind:     hidden_group_size_y
      - .offset:         64
        .size:           2
        .value_kind:     hidden_group_size_z
      - .offset:         66
        .size:           2
        .value_kind:     hidden_remainder_x
      - .offset:         68
        .size:           2
        .value_kind:     hidden_remainder_y
      - .offset:         70
        .size:           2
        .value_kind:     hidden_remainder_z
      - .offset:         88
        .size:           8
        .value_kind:     hidden_global_offset_x
      - .offset:         96
        .size:           8
        .value_kind:     hidden_global_offset_y
      - .offset:         104
        .size:           8
        .value_kind:     hidden_global_offset_z
      - .offset:         112
        .size:           2
        .value_kind:     hidden_grid_dims
    .group_segment_fixed_size: 8224
    .kernarg_segment_align: 8
    .kernarg_segment_size: 304
    .language:       OpenCL C
    .language_version:
      - 2
      - 0
    .max_flat_workgroup_size: 256
    .name:           _ZN7rocprim17ROCPRIM_400000_NS6detail17trampoline_kernelINS0_13kernel_configILj256ELj4ELj4294967295EEENS1_37radix_sort_block_sort_config_selectorIbNS0_10empty_typeEEEZNS1_21radix_sort_block_sortIS4_Lb0EPKbPbPS6_SC_NS0_19identity_decomposerEEE10hipError_tT1_T2_T3_T4_jRjT5_jjP12ihipStream_tbEUlT_E_NS1_11comp_targetILNS1_3genE0ELNS1_11target_archE4294967295ELNS1_3gpuE0ELNS1_3repE0EEENS1_44radix_sort_block_sort_config_static_selectorELNS0_4arch9wavefront6targetE0EEEvSF_
    .private_segment_fixed_size: 0
    .sgpr_count:     28
    .sgpr_spill_count: 0
    .symbol:         _ZN7rocprim17ROCPRIM_400000_NS6detail17trampoline_kernelINS0_13kernel_configILj256ELj4ELj4294967295EEENS1_37radix_sort_block_sort_config_selectorIbNS0_10empty_typeEEEZNS1_21radix_sort_block_sortIS4_Lb0EPKbPbPS6_SC_NS0_19identity_decomposerEEE10hipError_tT1_T2_T3_T4_jRjT5_jjP12ihipStream_tbEUlT_E_NS1_11comp_targetILNS1_3genE0ELNS1_11target_archE4294967295ELNS1_3gpuE0ELNS1_3repE0EEENS1_44radix_sort_block_sort_config_static_selectorELNS0_4arch9wavefront6targetE0EEEvSF_.kd
    .uniform_work_group_size: 1
    .uses_dynamic_stack: false
    .vgpr_count:     38
    .vgpr_spill_count: 0
    .wavefront_size: 32
  - .args:
      - .offset:         0
        .size:           48
        .value_kind:     by_value
    .group_segment_fixed_size: 0
    .kernarg_segment_align: 8
    .kernarg_segment_size: 48
    .language:       OpenCL C
    .language_version:
      - 2
      - 0
    .max_flat_workgroup_size: 256
    .name:           _ZN7rocprim17ROCPRIM_400000_NS6detail17trampoline_kernelINS0_13kernel_configILj256ELj4ELj4294967295EEENS1_37radix_sort_block_sort_config_selectorIbNS0_10empty_typeEEEZNS1_21radix_sort_block_sortIS4_Lb0EPKbPbPS6_SC_NS0_19identity_decomposerEEE10hipError_tT1_T2_T3_T4_jRjT5_jjP12ihipStream_tbEUlT_E_NS1_11comp_targetILNS1_3genE5ELNS1_11target_archE942ELNS1_3gpuE9ELNS1_3repE0EEENS1_44radix_sort_block_sort_config_static_selectorELNS0_4arch9wavefront6targetE0EEEvSF_
    .private_segment_fixed_size: 0
    .sgpr_count:     0
    .sgpr_spill_count: 0
    .symbol:         _ZN7rocprim17ROCPRIM_400000_NS6detail17trampoline_kernelINS0_13kernel_configILj256ELj4ELj4294967295EEENS1_37radix_sort_block_sort_config_selectorIbNS0_10empty_typeEEEZNS1_21radix_sort_block_sortIS4_Lb0EPKbPbPS6_SC_NS0_19identity_decomposerEEE10hipError_tT1_T2_T3_T4_jRjT5_jjP12ihipStream_tbEUlT_E_NS1_11comp_targetILNS1_3genE5ELNS1_11target_archE942ELNS1_3gpuE9ELNS1_3repE0EEENS1_44radix_sort_block_sort_config_static_selectorELNS0_4arch9wavefront6targetE0EEEvSF_.kd
    .uniform_work_group_size: 1
    .uses_dynamic_stack: false
    .vgpr_count:     0
    .vgpr_spill_count: 0
    .wavefront_size: 32
  - .args:
      - .offset:         0
        .size:           48
        .value_kind:     by_value
    .group_segment_fixed_size: 0
    .kernarg_segment_align: 8
    .kernarg_segment_size: 48
    .language:       OpenCL C
    .language_version:
      - 2
      - 0
    .max_flat_workgroup_size: 256
    .name:           _ZN7rocprim17ROCPRIM_400000_NS6detail17trampoline_kernelINS0_13kernel_configILj256ELj4ELj4294967295EEENS1_37radix_sort_block_sort_config_selectorIbNS0_10empty_typeEEEZNS1_21radix_sort_block_sortIS4_Lb0EPKbPbPS6_SC_NS0_19identity_decomposerEEE10hipError_tT1_T2_T3_T4_jRjT5_jjP12ihipStream_tbEUlT_E_NS1_11comp_targetILNS1_3genE4ELNS1_11target_archE910ELNS1_3gpuE8ELNS1_3repE0EEENS1_44radix_sort_block_sort_config_static_selectorELNS0_4arch9wavefront6targetE0EEEvSF_
    .private_segment_fixed_size: 0
    .sgpr_count:     0
    .sgpr_spill_count: 0
    .symbol:         _ZN7rocprim17ROCPRIM_400000_NS6detail17trampoline_kernelINS0_13kernel_configILj256ELj4ELj4294967295EEENS1_37radix_sort_block_sort_config_selectorIbNS0_10empty_typeEEEZNS1_21radix_sort_block_sortIS4_Lb0EPKbPbPS6_SC_NS0_19identity_decomposerEEE10hipError_tT1_T2_T3_T4_jRjT5_jjP12ihipStream_tbEUlT_E_NS1_11comp_targetILNS1_3genE4ELNS1_11target_archE910ELNS1_3gpuE8ELNS1_3repE0EEENS1_44radix_sort_block_sort_config_static_selectorELNS0_4arch9wavefront6targetE0EEEvSF_.kd
    .uniform_work_group_size: 1
    .uses_dynamic_stack: false
    .vgpr_count:     0
    .vgpr_spill_count: 0
    .wavefront_size: 32
  - .args:
      - .offset:         0
        .size:           48
        .value_kind:     by_value
    .group_segment_fixed_size: 0
    .kernarg_segment_align: 8
    .kernarg_segment_size: 48
    .language:       OpenCL C
    .language_version:
      - 2
      - 0
    .max_flat_workgroup_size: 256
    .name:           _ZN7rocprim17ROCPRIM_400000_NS6detail17trampoline_kernelINS0_13kernel_configILj256ELj4ELj4294967295EEENS1_37radix_sort_block_sort_config_selectorIbNS0_10empty_typeEEEZNS1_21radix_sort_block_sortIS4_Lb0EPKbPbPS6_SC_NS0_19identity_decomposerEEE10hipError_tT1_T2_T3_T4_jRjT5_jjP12ihipStream_tbEUlT_E_NS1_11comp_targetILNS1_3genE3ELNS1_11target_archE908ELNS1_3gpuE7ELNS1_3repE0EEENS1_44radix_sort_block_sort_config_static_selectorELNS0_4arch9wavefront6targetE0EEEvSF_
    .private_segment_fixed_size: 0
    .sgpr_count:     0
    .sgpr_spill_count: 0
    .symbol:         _ZN7rocprim17ROCPRIM_400000_NS6detail17trampoline_kernelINS0_13kernel_configILj256ELj4ELj4294967295EEENS1_37radix_sort_block_sort_config_selectorIbNS0_10empty_typeEEEZNS1_21radix_sort_block_sortIS4_Lb0EPKbPbPS6_SC_NS0_19identity_decomposerEEE10hipError_tT1_T2_T3_T4_jRjT5_jjP12ihipStream_tbEUlT_E_NS1_11comp_targetILNS1_3genE3ELNS1_11target_archE908ELNS1_3gpuE7ELNS1_3repE0EEENS1_44radix_sort_block_sort_config_static_selectorELNS0_4arch9wavefront6targetE0EEEvSF_.kd
    .uniform_work_group_size: 1
    .uses_dynamic_stack: false
    .vgpr_count:     0
    .vgpr_spill_count: 0
    .wavefront_size: 32
  - .args:
      - .offset:         0
        .size:           48
        .value_kind:     by_value
    .group_segment_fixed_size: 0
    .kernarg_segment_align: 8
    .kernarg_segment_size: 48
    .language:       OpenCL C
    .language_version:
      - 2
      - 0
    .max_flat_workgroup_size: 256
    .name:           _ZN7rocprim17ROCPRIM_400000_NS6detail17trampoline_kernelINS0_13kernel_configILj256ELj4ELj4294967295EEENS1_37radix_sort_block_sort_config_selectorIbNS0_10empty_typeEEEZNS1_21radix_sort_block_sortIS4_Lb0EPKbPbPS6_SC_NS0_19identity_decomposerEEE10hipError_tT1_T2_T3_T4_jRjT5_jjP12ihipStream_tbEUlT_E_NS1_11comp_targetILNS1_3genE2ELNS1_11target_archE906ELNS1_3gpuE6ELNS1_3repE0EEENS1_44radix_sort_block_sort_config_static_selectorELNS0_4arch9wavefront6targetE0EEEvSF_
    .private_segment_fixed_size: 0
    .sgpr_count:     0
    .sgpr_spill_count: 0
    .symbol:         _ZN7rocprim17ROCPRIM_400000_NS6detail17trampoline_kernelINS0_13kernel_configILj256ELj4ELj4294967295EEENS1_37radix_sort_block_sort_config_selectorIbNS0_10empty_typeEEEZNS1_21radix_sort_block_sortIS4_Lb0EPKbPbPS6_SC_NS0_19identity_decomposerEEE10hipError_tT1_T2_T3_T4_jRjT5_jjP12ihipStream_tbEUlT_E_NS1_11comp_targetILNS1_3genE2ELNS1_11target_archE906ELNS1_3gpuE6ELNS1_3repE0EEENS1_44radix_sort_block_sort_config_static_selectorELNS0_4arch9wavefront6targetE0EEEvSF_.kd
    .uniform_work_group_size: 1
    .uses_dynamic_stack: false
    .vgpr_count:     0
    .vgpr_spill_count: 0
    .wavefront_size: 32
  - .args:
      - .offset:         0
        .size:           48
        .value_kind:     by_value
    .group_segment_fixed_size: 0
    .kernarg_segment_align: 8
    .kernarg_segment_size: 48
    .language:       OpenCL C
    .language_version:
      - 2
      - 0
    .max_flat_workgroup_size: 256
    .name:           _ZN7rocprim17ROCPRIM_400000_NS6detail17trampoline_kernelINS0_13kernel_configILj256ELj4ELj4294967295EEENS1_37radix_sort_block_sort_config_selectorIbNS0_10empty_typeEEEZNS1_21radix_sort_block_sortIS4_Lb0EPKbPbPS6_SC_NS0_19identity_decomposerEEE10hipError_tT1_T2_T3_T4_jRjT5_jjP12ihipStream_tbEUlT_E_NS1_11comp_targetILNS1_3genE10ELNS1_11target_archE1201ELNS1_3gpuE5ELNS1_3repE0EEENS1_44radix_sort_block_sort_config_static_selectorELNS0_4arch9wavefront6targetE0EEEvSF_
    .private_segment_fixed_size: 0
    .sgpr_count:     0
    .sgpr_spill_count: 0
    .symbol:         _ZN7rocprim17ROCPRIM_400000_NS6detail17trampoline_kernelINS0_13kernel_configILj256ELj4ELj4294967295EEENS1_37radix_sort_block_sort_config_selectorIbNS0_10empty_typeEEEZNS1_21radix_sort_block_sortIS4_Lb0EPKbPbPS6_SC_NS0_19identity_decomposerEEE10hipError_tT1_T2_T3_T4_jRjT5_jjP12ihipStream_tbEUlT_E_NS1_11comp_targetILNS1_3genE10ELNS1_11target_archE1201ELNS1_3gpuE5ELNS1_3repE0EEENS1_44radix_sort_block_sort_config_static_selectorELNS0_4arch9wavefront6targetE0EEEvSF_.kd
    .uniform_work_group_size: 1
    .uses_dynamic_stack: false
    .vgpr_count:     0
    .vgpr_spill_count: 0
    .wavefront_size: 32
  - .args:
      - .offset:         0
        .size:           48
        .value_kind:     by_value
    .group_segment_fixed_size: 0
    .kernarg_segment_align: 8
    .kernarg_segment_size: 48
    .language:       OpenCL C
    .language_version:
      - 2
      - 0
    .max_flat_workgroup_size: 256
    .name:           _ZN7rocprim17ROCPRIM_400000_NS6detail17trampoline_kernelINS0_13kernel_configILj256ELj4ELj4294967295EEENS1_37radix_sort_block_sort_config_selectorIbNS0_10empty_typeEEEZNS1_21radix_sort_block_sortIS4_Lb0EPKbPbPS6_SC_NS0_19identity_decomposerEEE10hipError_tT1_T2_T3_T4_jRjT5_jjP12ihipStream_tbEUlT_E_NS1_11comp_targetILNS1_3genE10ELNS1_11target_archE1200ELNS1_3gpuE4ELNS1_3repE0EEENS1_44radix_sort_block_sort_config_static_selectorELNS0_4arch9wavefront6targetE0EEEvSF_
    .private_segment_fixed_size: 0
    .sgpr_count:     0
    .sgpr_spill_count: 0
    .symbol:         _ZN7rocprim17ROCPRIM_400000_NS6detail17trampoline_kernelINS0_13kernel_configILj256ELj4ELj4294967295EEENS1_37radix_sort_block_sort_config_selectorIbNS0_10empty_typeEEEZNS1_21radix_sort_block_sortIS4_Lb0EPKbPbPS6_SC_NS0_19identity_decomposerEEE10hipError_tT1_T2_T3_T4_jRjT5_jjP12ihipStream_tbEUlT_E_NS1_11comp_targetILNS1_3genE10ELNS1_11target_archE1200ELNS1_3gpuE4ELNS1_3repE0EEENS1_44radix_sort_block_sort_config_static_selectorELNS0_4arch9wavefront6targetE0EEEvSF_.kd
    .uniform_work_group_size: 1
    .uses_dynamic_stack: false
    .vgpr_count:     0
    .vgpr_spill_count: 0
    .wavefront_size: 32
  - .args:
      - .offset:         0
        .size:           48
        .value_kind:     by_value
    .group_segment_fixed_size: 0
    .kernarg_segment_align: 8
    .kernarg_segment_size: 48
    .language:       OpenCL C
    .language_version:
      - 2
      - 0
    .max_flat_workgroup_size: 256
    .name:           _ZN7rocprim17ROCPRIM_400000_NS6detail17trampoline_kernelINS0_13kernel_configILj256ELj4ELj4294967295EEENS1_37radix_sort_block_sort_config_selectorIbNS0_10empty_typeEEEZNS1_21radix_sort_block_sortIS4_Lb0EPKbPbPS6_SC_NS0_19identity_decomposerEEE10hipError_tT1_T2_T3_T4_jRjT5_jjP12ihipStream_tbEUlT_E_NS1_11comp_targetILNS1_3genE9ELNS1_11target_archE1100ELNS1_3gpuE3ELNS1_3repE0EEENS1_44radix_sort_block_sort_config_static_selectorELNS0_4arch9wavefront6targetE0EEEvSF_
    .private_segment_fixed_size: 0
    .sgpr_count:     0
    .sgpr_spill_count: 0
    .symbol:         _ZN7rocprim17ROCPRIM_400000_NS6detail17trampoline_kernelINS0_13kernel_configILj256ELj4ELj4294967295EEENS1_37radix_sort_block_sort_config_selectorIbNS0_10empty_typeEEEZNS1_21radix_sort_block_sortIS4_Lb0EPKbPbPS6_SC_NS0_19identity_decomposerEEE10hipError_tT1_T2_T3_T4_jRjT5_jjP12ihipStream_tbEUlT_E_NS1_11comp_targetILNS1_3genE9ELNS1_11target_archE1100ELNS1_3gpuE3ELNS1_3repE0EEENS1_44radix_sort_block_sort_config_static_selectorELNS0_4arch9wavefront6targetE0EEEvSF_.kd
    .uniform_work_group_size: 1
    .uses_dynamic_stack: false
    .vgpr_count:     0
    .vgpr_spill_count: 0
    .wavefront_size: 32
  - .args:
      - .offset:         0
        .size:           48
        .value_kind:     by_value
    .group_segment_fixed_size: 0
    .kernarg_segment_align: 8
    .kernarg_segment_size: 48
    .language:       OpenCL C
    .language_version:
      - 2
      - 0
    .max_flat_workgroup_size: 256
    .name:           _ZN7rocprim17ROCPRIM_400000_NS6detail17trampoline_kernelINS0_13kernel_configILj256ELj4ELj4294967295EEENS1_37radix_sort_block_sort_config_selectorIbNS0_10empty_typeEEEZNS1_21radix_sort_block_sortIS4_Lb0EPKbPbPS6_SC_NS0_19identity_decomposerEEE10hipError_tT1_T2_T3_T4_jRjT5_jjP12ihipStream_tbEUlT_E_NS1_11comp_targetILNS1_3genE8ELNS1_11target_archE1030ELNS1_3gpuE2ELNS1_3repE0EEENS1_44radix_sort_block_sort_config_static_selectorELNS0_4arch9wavefront6targetE0EEEvSF_
    .private_segment_fixed_size: 0
    .sgpr_count:     0
    .sgpr_spill_count: 0
    .symbol:         _ZN7rocprim17ROCPRIM_400000_NS6detail17trampoline_kernelINS0_13kernel_configILj256ELj4ELj4294967295EEENS1_37radix_sort_block_sort_config_selectorIbNS0_10empty_typeEEEZNS1_21radix_sort_block_sortIS4_Lb0EPKbPbPS6_SC_NS0_19identity_decomposerEEE10hipError_tT1_T2_T3_T4_jRjT5_jjP12ihipStream_tbEUlT_E_NS1_11comp_targetILNS1_3genE8ELNS1_11target_archE1030ELNS1_3gpuE2ELNS1_3repE0EEENS1_44radix_sort_block_sort_config_static_selectorELNS0_4arch9wavefront6targetE0EEEvSF_.kd
    .uniform_work_group_size: 1
    .uses_dynamic_stack: false
    .vgpr_count:     0
    .vgpr_spill_count: 0
    .wavefront_size: 32
  - .args:
      - .offset:         0
        .size:           40
        .value_kind:     by_value
    .group_segment_fixed_size: 0
    .kernarg_segment_align: 8
    .kernarg_segment_size: 40
    .language:       OpenCL C
    .language_version:
      - 2
      - 0
    .max_flat_workgroup_size: 128
    .name:           _ZN7rocprim17ROCPRIM_400000_NS6detail17trampoline_kernelINS0_14default_configENS1_38merge_sort_block_merge_config_selectorIbNS0_10empty_typeEEEZZNS1_27merge_sort_block_merge_implIS3_PbPS5_jNS1_19radix_merge_compareILb0ELb0EbNS0_19identity_decomposerEEEEE10hipError_tT0_T1_T2_jT3_P12ihipStream_tbPNSt15iterator_traitsISE_E10value_typeEPNSK_ISF_E10value_typeEPSG_NS1_7vsmem_tEENKUlT_SE_SF_SG_E_clIS8_S8_S9_S9_EESD_ST_SE_SF_SG_EUlST_E_NS1_11comp_targetILNS1_3genE0ELNS1_11target_archE4294967295ELNS1_3gpuE0ELNS1_3repE0EEENS1_48merge_mergepath_partition_config_static_selectorELNS0_4arch9wavefront6targetE0EEEvSF_
    .private_segment_fixed_size: 0
    .sgpr_count:     8
    .sgpr_spill_count: 0
    .symbol:         _ZN7rocprim17ROCPRIM_400000_NS6detail17trampoline_kernelINS0_14default_configENS1_38merge_sort_block_merge_config_selectorIbNS0_10empty_typeEEEZZNS1_27merge_sort_block_merge_implIS3_PbPS5_jNS1_19radix_merge_compareILb0ELb0EbNS0_19identity_decomposerEEEEE10hipError_tT0_T1_T2_jT3_P12ihipStream_tbPNSt15iterator_traitsISE_E10value_typeEPNSK_ISF_E10value_typeEPSG_NS1_7vsmem_tEENKUlT_SE_SF_SG_E_clIS8_S8_S9_S9_EESD_ST_SE_SF_SG_EUlST_E_NS1_11comp_targetILNS1_3genE0ELNS1_11target_archE4294967295ELNS1_3gpuE0ELNS1_3repE0EEENS1_48merge_mergepath_partition_config_static_selectorELNS0_4arch9wavefront6targetE0EEEvSF_.kd
    .uniform_work_group_size: 1
    .uses_dynamic_stack: false
    .vgpr_count:     17
    .vgpr_spill_count: 0
    .wavefront_size: 32
  - .args:
      - .offset:         0
        .size:           40
        .value_kind:     by_value
    .group_segment_fixed_size: 0
    .kernarg_segment_align: 8
    .kernarg_segment_size: 40
    .language:       OpenCL C
    .language_version:
      - 2
      - 0
    .max_flat_workgroup_size: 128
    .name:           _ZN7rocprim17ROCPRIM_400000_NS6detail17trampoline_kernelINS0_14default_configENS1_38merge_sort_block_merge_config_selectorIbNS0_10empty_typeEEEZZNS1_27merge_sort_block_merge_implIS3_PbPS5_jNS1_19radix_merge_compareILb0ELb0EbNS0_19identity_decomposerEEEEE10hipError_tT0_T1_T2_jT3_P12ihipStream_tbPNSt15iterator_traitsISE_E10value_typeEPNSK_ISF_E10value_typeEPSG_NS1_7vsmem_tEENKUlT_SE_SF_SG_E_clIS8_S8_S9_S9_EESD_ST_SE_SF_SG_EUlST_E_NS1_11comp_targetILNS1_3genE10ELNS1_11target_archE1201ELNS1_3gpuE5ELNS1_3repE0EEENS1_48merge_mergepath_partition_config_static_selectorELNS0_4arch9wavefront6targetE0EEEvSF_
    .private_segment_fixed_size: 0
    .sgpr_count:     0
    .sgpr_spill_count: 0
    .symbol:         _ZN7rocprim17ROCPRIM_400000_NS6detail17trampoline_kernelINS0_14default_configENS1_38merge_sort_block_merge_config_selectorIbNS0_10empty_typeEEEZZNS1_27merge_sort_block_merge_implIS3_PbPS5_jNS1_19radix_merge_compareILb0ELb0EbNS0_19identity_decomposerEEEEE10hipError_tT0_T1_T2_jT3_P12ihipStream_tbPNSt15iterator_traitsISE_E10value_typeEPNSK_ISF_E10value_typeEPSG_NS1_7vsmem_tEENKUlT_SE_SF_SG_E_clIS8_S8_S9_S9_EESD_ST_SE_SF_SG_EUlST_E_NS1_11comp_targetILNS1_3genE10ELNS1_11target_archE1201ELNS1_3gpuE5ELNS1_3repE0EEENS1_48merge_mergepath_partition_config_static_selectorELNS0_4arch9wavefront6targetE0EEEvSF_.kd
    .uniform_work_group_size: 1
    .uses_dynamic_stack: false
    .vgpr_count:     0
    .vgpr_spill_count: 0
    .wavefront_size: 32
  - .args:
      - .offset:         0
        .size:           40
        .value_kind:     by_value
    .group_segment_fixed_size: 0
    .kernarg_segment_align: 8
    .kernarg_segment_size: 40
    .language:       OpenCL C
    .language_version:
      - 2
      - 0
    .max_flat_workgroup_size: 128
    .name:           _ZN7rocprim17ROCPRIM_400000_NS6detail17trampoline_kernelINS0_14default_configENS1_38merge_sort_block_merge_config_selectorIbNS0_10empty_typeEEEZZNS1_27merge_sort_block_merge_implIS3_PbPS5_jNS1_19radix_merge_compareILb0ELb0EbNS0_19identity_decomposerEEEEE10hipError_tT0_T1_T2_jT3_P12ihipStream_tbPNSt15iterator_traitsISE_E10value_typeEPNSK_ISF_E10value_typeEPSG_NS1_7vsmem_tEENKUlT_SE_SF_SG_E_clIS8_S8_S9_S9_EESD_ST_SE_SF_SG_EUlST_E_NS1_11comp_targetILNS1_3genE5ELNS1_11target_archE942ELNS1_3gpuE9ELNS1_3repE0EEENS1_48merge_mergepath_partition_config_static_selectorELNS0_4arch9wavefront6targetE0EEEvSF_
    .private_segment_fixed_size: 0
    .sgpr_count:     0
    .sgpr_spill_count: 0
    .symbol:         _ZN7rocprim17ROCPRIM_400000_NS6detail17trampoline_kernelINS0_14default_configENS1_38merge_sort_block_merge_config_selectorIbNS0_10empty_typeEEEZZNS1_27merge_sort_block_merge_implIS3_PbPS5_jNS1_19radix_merge_compareILb0ELb0EbNS0_19identity_decomposerEEEEE10hipError_tT0_T1_T2_jT3_P12ihipStream_tbPNSt15iterator_traitsISE_E10value_typeEPNSK_ISF_E10value_typeEPSG_NS1_7vsmem_tEENKUlT_SE_SF_SG_E_clIS8_S8_S9_S9_EESD_ST_SE_SF_SG_EUlST_E_NS1_11comp_targetILNS1_3genE5ELNS1_11target_archE942ELNS1_3gpuE9ELNS1_3repE0EEENS1_48merge_mergepath_partition_config_static_selectorELNS0_4arch9wavefront6targetE0EEEvSF_.kd
    .uniform_work_group_size: 1
    .uses_dynamic_stack: false
    .vgpr_count:     0
    .vgpr_spill_count: 0
    .wavefront_size: 32
  - .args:
      - .offset:         0
        .size:           40
        .value_kind:     by_value
    .group_segment_fixed_size: 0
    .kernarg_segment_align: 8
    .kernarg_segment_size: 40
    .language:       OpenCL C
    .language_version:
      - 2
      - 0
    .max_flat_workgroup_size: 128
    .name:           _ZN7rocprim17ROCPRIM_400000_NS6detail17trampoline_kernelINS0_14default_configENS1_38merge_sort_block_merge_config_selectorIbNS0_10empty_typeEEEZZNS1_27merge_sort_block_merge_implIS3_PbPS5_jNS1_19radix_merge_compareILb0ELb0EbNS0_19identity_decomposerEEEEE10hipError_tT0_T1_T2_jT3_P12ihipStream_tbPNSt15iterator_traitsISE_E10value_typeEPNSK_ISF_E10value_typeEPSG_NS1_7vsmem_tEENKUlT_SE_SF_SG_E_clIS8_S8_S9_S9_EESD_ST_SE_SF_SG_EUlST_E_NS1_11comp_targetILNS1_3genE4ELNS1_11target_archE910ELNS1_3gpuE8ELNS1_3repE0EEENS1_48merge_mergepath_partition_config_static_selectorELNS0_4arch9wavefront6targetE0EEEvSF_
    .private_segment_fixed_size: 0
    .sgpr_count:     0
    .sgpr_spill_count: 0
    .symbol:         _ZN7rocprim17ROCPRIM_400000_NS6detail17trampoline_kernelINS0_14default_configENS1_38merge_sort_block_merge_config_selectorIbNS0_10empty_typeEEEZZNS1_27merge_sort_block_merge_implIS3_PbPS5_jNS1_19radix_merge_compareILb0ELb0EbNS0_19identity_decomposerEEEEE10hipError_tT0_T1_T2_jT3_P12ihipStream_tbPNSt15iterator_traitsISE_E10value_typeEPNSK_ISF_E10value_typeEPSG_NS1_7vsmem_tEENKUlT_SE_SF_SG_E_clIS8_S8_S9_S9_EESD_ST_SE_SF_SG_EUlST_E_NS1_11comp_targetILNS1_3genE4ELNS1_11target_archE910ELNS1_3gpuE8ELNS1_3repE0EEENS1_48merge_mergepath_partition_config_static_selectorELNS0_4arch9wavefront6targetE0EEEvSF_.kd
    .uniform_work_group_size: 1
    .uses_dynamic_stack: false
    .vgpr_count:     0
    .vgpr_spill_count: 0
    .wavefront_size: 32
  - .args:
      - .offset:         0
        .size:           40
        .value_kind:     by_value
    .group_segment_fixed_size: 0
    .kernarg_segment_align: 8
    .kernarg_segment_size: 40
    .language:       OpenCL C
    .language_version:
      - 2
      - 0
    .max_flat_workgroup_size: 128
    .name:           _ZN7rocprim17ROCPRIM_400000_NS6detail17trampoline_kernelINS0_14default_configENS1_38merge_sort_block_merge_config_selectorIbNS0_10empty_typeEEEZZNS1_27merge_sort_block_merge_implIS3_PbPS5_jNS1_19radix_merge_compareILb0ELb0EbNS0_19identity_decomposerEEEEE10hipError_tT0_T1_T2_jT3_P12ihipStream_tbPNSt15iterator_traitsISE_E10value_typeEPNSK_ISF_E10value_typeEPSG_NS1_7vsmem_tEENKUlT_SE_SF_SG_E_clIS8_S8_S9_S9_EESD_ST_SE_SF_SG_EUlST_E_NS1_11comp_targetILNS1_3genE3ELNS1_11target_archE908ELNS1_3gpuE7ELNS1_3repE0EEENS1_48merge_mergepath_partition_config_static_selectorELNS0_4arch9wavefront6targetE0EEEvSF_
    .private_segment_fixed_size: 0
    .sgpr_count:     0
    .sgpr_spill_count: 0
    .symbol:         _ZN7rocprim17ROCPRIM_400000_NS6detail17trampoline_kernelINS0_14default_configENS1_38merge_sort_block_merge_config_selectorIbNS0_10empty_typeEEEZZNS1_27merge_sort_block_merge_implIS3_PbPS5_jNS1_19radix_merge_compareILb0ELb0EbNS0_19identity_decomposerEEEEE10hipError_tT0_T1_T2_jT3_P12ihipStream_tbPNSt15iterator_traitsISE_E10value_typeEPNSK_ISF_E10value_typeEPSG_NS1_7vsmem_tEENKUlT_SE_SF_SG_E_clIS8_S8_S9_S9_EESD_ST_SE_SF_SG_EUlST_E_NS1_11comp_targetILNS1_3genE3ELNS1_11target_archE908ELNS1_3gpuE7ELNS1_3repE0EEENS1_48merge_mergepath_partition_config_static_selectorELNS0_4arch9wavefront6targetE0EEEvSF_.kd
    .uniform_work_group_size: 1
    .uses_dynamic_stack: false
    .vgpr_count:     0
    .vgpr_spill_count: 0
    .wavefront_size: 32
  - .args:
      - .offset:         0
        .size:           40
        .value_kind:     by_value
    .group_segment_fixed_size: 0
    .kernarg_segment_align: 8
    .kernarg_segment_size: 40
    .language:       OpenCL C
    .language_version:
      - 2
      - 0
    .max_flat_workgroup_size: 128
    .name:           _ZN7rocprim17ROCPRIM_400000_NS6detail17trampoline_kernelINS0_14default_configENS1_38merge_sort_block_merge_config_selectorIbNS0_10empty_typeEEEZZNS1_27merge_sort_block_merge_implIS3_PbPS5_jNS1_19radix_merge_compareILb0ELb0EbNS0_19identity_decomposerEEEEE10hipError_tT0_T1_T2_jT3_P12ihipStream_tbPNSt15iterator_traitsISE_E10value_typeEPNSK_ISF_E10value_typeEPSG_NS1_7vsmem_tEENKUlT_SE_SF_SG_E_clIS8_S8_S9_S9_EESD_ST_SE_SF_SG_EUlST_E_NS1_11comp_targetILNS1_3genE2ELNS1_11target_archE906ELNS1_3gpuE6ELNS1_3repE0EEENS1_48merge_mergepath_partition_config_static_selectorELNS0_4arch9wavefront6targetE0EEEvSF_
    .private_segment_fixed_size: 0
    .sgpr_count:     0
    .sgpr_spill_count: 0
    .symbol:         _ZN7rocprim17ROCPRIM_400000_NS6detail17trampoline_kernelINS0_14default_configENS1_38merge_sort_block_merge_config_selectorIbNS0_10empty_typeEEEZZNS1_27merge_sort_block_merge_implIS3_PbPS5_jNS1_19radix_merge_compareILb0ELb0EbNS0_19identity_decomposerEEEEE10hipError_tT0_T1_T2_jT3_P12ihipStream_tbPNSt15iterator_traitsISE_E10value_typeEPNSK_ISF_E10value_typeEPSG_NS1_7vsmem_tEENKUlT_SE_SF_SG_E_clIS8_S8_S9_S9_EESD_ST_SE_SF_SG_EUlST_E_NS1_11comp_targetILNS1_3genE2ELNS1_11target_archE906ELNS1_3gpuE6ELNS1_3repE0EEENS1_48merge_mergepath_partition_config_static_selectorELNS0_4arch9wavefront6targetE0EEEvSF_.kd
    .uniform_work_group_size: 1
    .uses_dynamic_stack: false
    .vgpr_count:     0
    .vgpr_spill_count: 0
    .wavefront_size: 32
  - .args:
      - .offset:         0
        .size:           40
        .value_kind:     by_value
    .group_segment_fixed_size: 0
    .kernarg_segment_align: 8
    .kernarg_segment_size: 40
    .language:       OpenCL C
    .language_version:
      - 2
      - 0
    .max_flat_workgroup_size: 128
    .name:           _ZN7rocprim17ROCPRIM_400000_NS6detail17trampoline_kernelINS0_14default_configENS1_38merge_sort_block_merge_config_selectorIbNS0_10empty_typeEEEZZNS1_27merge_sort_block_merge_implIS3_PbPS5_jNS1_19radix_merge_compareILb0ELb0EbNS0_19identity_decomposerEEEEE10hipError_tT0_T1_T2_jT3_P12ihipStream_tbPNSt15iterator_traitsISE_E10value_typeEPNSK_ISF_E10value_typeEPSG_NS1_7vsmem_tEENKUlT_SE_SF_SG_E_clIS8_S8_S9_S9_EESD_ST_SE_SF_SG_EUlST_E_NS1_11comp_targetILNS1_3genE9ELNS1_11target_archE1100ELNS1_3gpuE3ELNS1_3repE0EEENS1_48merge_mergepath_partition_config_static_selectorELNS0_4arch9wavefront6targetE0EEEvSF_
    .private_segment_fixed_size: 0
    .sgpr_count:     0
    .sgpr_spill_count: 0
    .symbol:         _ZN7rocprim17ROCPRIM_400000_NS6detail17trampoline_kernelINS0_14default_configENS1_38merge_sort_block_merge_config_selectorIbNS0_10empty_typeEEEZZNS1_27merge_sort_block_merge_implIS3_PbPS5_jNS1_19radix_merge_compareILb0ELb0EbNS0_19identity_decomposerEEEEE10hipError_tT0_T1_T2_jT3_P12ihipStream_tbPNSt15iterator_traitsISE_E10value_typeEPNSK_ISF_E10value_typeEPSG_NS1_7vsmem_tEENKUlT_SE_SF_SG_E_clIS8_S8_S9_S9_EESD_ST_SE_SF_SG_EUlST_E_NS1_11comp_targetILNS1_3genE9ELNS1_11target_archE1100ELNS1_3gpuE3ELNS1_3repE0EEENS1_48merge_mergepath_partition_config_static_selectorELNS0_4arch9wavefront6targetE0EEEvSF_.kd
    .uniform_work_group_size: 1
    .uses_dynamic_stack: false
    .vgpr_count:     0
    .vgpr_spill_count: 0
    .wavefront_size: 32
  - .args:
      - .offset:         0
        .size:           40
        .value_kind:     by_value
    .group_segment_fixed_size: 0
    .kernarg_segment_align: 8
    .kernarg_segment_size: 40
    .language:       OpenCL C
    .language_version:
      - 2
      - 0
    .max_flat_workgroup_size: 128
    .name:           _ZN7rocprim17ROCPRIM_400000_NS6detail17trampoline_kernelINS0_14default_configENS1_38merge_sort_block_merge_config_selectorIbNS0_10empty_typeEEEZZNS1_27merge_sort_block_merge_implIS3_PbPS5_jNS1_19radix_merge_compareILb0ELb0EbNS0_19identity_decomposerEEEEE10hipError_tT0_T1_T2_jT3_P12ihipStream_tbPNSt15iterator_traitsISE_E10value_typeEPNSK_ISF_E10value_typeEPSG_NS1_7vsmem_tEENKUlT_SE_SF_SG_E_clIS8_S8_S9_S9_EESD_ST_SE_SF_SG_EUlST_E_NS1_11comp_targetILNS1_3genE8ELNS1_11target_archE1030ELNS1_3gpuE2ELNS1_3repE0EEENS1_48merge_mergepath_partition_config_static_selectorELNS0_4arch9wavefront6targetE0EEEvSF_
    .private_segment_fixed_size: 0
    .sgpr_count:     0
    .sgpr_spill_count: 0
    .symbol:         _ZN7rocprim17ROCPRIM_400000_NS6detail17trampoline_kernelINS0_14default_configENS1_38merge_sort_block_merge_config_selectorIbNS0_10empty_typeEEEZZNS1_27merge_sort_block_merge_implIS3_PbPS5_jNS1_19radix_merge_compareILb0ELb0EbNS0_19identity_decomposerEEEEE10hipError_tT0_T1_T2_jT3_P12ihipStream_tbPNSt15iterator_traitsISE_E10value_typeEPNSK_ISF_E10value_typeEPSG_NS1_7vsmem_tEENKUlT_SE_SF_SG_E_clIS8_S8_S9_S9_EESD_ST_SE_SF_SG_EUlST_E_NS1_11comp_targetILNS1_3genE8ELNS1_11target_archE1030ELNS1_3gpuE2ELNS1_3repE0EEENS1_48merge_mergepath_partition_config_static_selectorELNS0_4arch9wavefront6targetE0EEEvSF_.kd
    .uniform_work_group_size: 1
    .uses_dynamic_stack: false
    .vgpr_count:     0
    .vgpr_spill_count: 0
    .wavefront_size: 32
  - .args:
      - .offset:         0
        .size:           64
        .value_kind:     by_value
      - .offset:         64
        .size:           4
        .value_kind:     hidden_block_count_x
      - .offset:         68
        .size:           4
        .value_kind:     hidden_block_count_y
      - .offset:         72
        .size:           4
        .value_kind:     hidden_block_count_z
      - .offset:         76
        .size:           2
        .value_kind:     hidden_group_size_x
      - .offset:         78
        .size:           2
        .value_kind:     hidden_group_size_y
      - .offset:         80
        .size:           2
        .value_kind:     hidden_group_size_z
      - .offset:         82
        .size:           2
        .value_kind:     hidden_remainder_x
      - .offset:         84
        .size:           2
        .value_kind:     hidden_remainder_y
      - .offset:         86
        .size:           2
        .value_kind:     hidden_remainder_z
      - .offset:         104
        .size:           8
        .value_kind:     hidden_global_offset_x
      - .offset:         112
        .size:           8
        .value_kind:     hidden_global_offset_y
      - .offset:         120
        .size:           8
        .value_kind:     hidden_global_offset_z
      - .offset:         128
        .size:           2
        .value_kind:     hidden_grid_dims
    .group_segment_fixed_size: 1056
    .kernarg_segment_align: 8
    .kernarg_segment_size: 320
    .language:       OpenCL C
    .language_version:
      - 2
      - 0
    .max_flat_workgroup_size: 128
    .name:           _ZN7rocprim17ROCPRIM_400000_NS6detail17trampoline_kernelINS0_14default_configENS1_38merge_sort_block_merge_config_selectorIbNS0_10empty_typeEEEZZNS1_27merge_sort_block_merge_implIS3_PbPS5_jNS1_19radix_merge_compareILb0ELb0EbNS0_19identity_decomposerEEEEE10hipError_tT0_T1_T2_jT3_P12ihipStream_tbPNSt15iterator_traitsISE_E10value_typeEPNSK_ISF_E10value_typeEPSG_NS1_7vsmem_tEENKUlT_SE_SF_SG_E_clIS8_S8_S9_S9_EESD_ST_SE_SF_SG_EUlST_E0_NS1_11comp_targetILNS1_3genE0ELNS1_11target_archE4294967295ELNS1_3gpuE0ELNS1_3repE0EEENS1_38merge_mergepath_config_static_selectorELNS0_4arch9wavefront6targetE0EEEvSF_
    .private_segment_fixed_size: 0
    .sgpr_count:     24
    .sgpr_spill_count: 0
    .symbol:         _ZN7rocprim17ROCPRIM_400000_NS6detail17trampoline_kernelINS0_14default_configENS1_38merge_sort_block_merge_config_selectorIbNS0_10empty_typeEEEZZNS1_27merge_sort_block_merge_implIS3_PbPS5_jNS1_19radix_merge_compareILb0ELb0EbNS0_19identity_decomposerEEEEE10hipError_tT0_T1_T2_jT3_P12ihipStream_tbPNSt15iterator_traitsISE_E10value_typeEPNSK_ISF_E10value_typeEPSG_NS1_7vsmem_tEENKUlT_SE_SF_SG_E_clIS8_S8_S9_S9_EESD_ST_SE_SF_SG_EUlST_E0_NS1_11comp_targetILNS1_3genE0ELNS1_11target_archE4294967295ELNS1_3gpuE0ELNS1_3repE0EEENS1_38merge_mergepath_config_static_selectorELNS0_4arch9wavefront6targetE0EEEvSF_.kd
    .uniform_work_group_size: 1
    .uses_dynamic_stack: false
    .vgpr_count:     25
    .vgpr_spill_count: 0
    .wavefront_size: 32
  - .args:
      - .offset:         0
        .size:           64
        .value_kind:     by_value
    .group_segment_fixed_size: 0
    .kernarg_segment_align: 8
    .kernarg_segment_size: 64
    .language:       OpenCL C
    .language_version:
      - 2
      - 0
    .max_flat_workgroup_size: 128
    .name:           _ZN7rocprim17ROCPRIM_400000_NS6detail17trampoline_kernelINS0_14default_configENS1_38merge_sort_block_merge_config_selectorIbNS0_10empty_typeEEEZZNS1_27merge_sort_block_merge_implIS3_PbPS5_jNS1_19radix_merge_compareILb0ELb0EbNS0_19identity_decomposerEEEEE10hipError_tT0_T1_T2_jT3_P12ihipStream_tbPNSt15iterator_traitsISE_E10value_typeEPNSK_ISF_E10value_typeEPSG_NS1_7vsmem_tEENKUlT_SE_SF_SG_E_clIS8_S8_S9_S9_EESD_ST_SE_SF_SG_EUlST_E0_NS1_11comp_targetILNS1_3genE10ELNS1_11target_archE1201ELNS1_3gpuE5ELNS1_3repE0EEENS1_38merge_mergepath_config_static_selectorELNS0_4arch9wavefront6targetE0EEEvSF_
    .private_segment_fixed_size: 0
    .sgpr_count:     0
    .sgpr_spill_count: 0
    .symbol:         _ZN7rocprim17ROCPRIM_400000_NS6detail17trampoline_kernelINS0_14default_configENS1_38merge_sort_block_merge_config_selectorIbNS0_10empty_typeEEEZZNS1_27merge_sort_block_merge_implIS3_PbPS5_jNS1_19radix_merge_compareILb0ELb0EbNS0_19identity_decomposerEEEEE10hipError_tT0_T1_T2_jT3_P12ihipStream_tbPNSt15iterator_traitsISE_E10value_typeEPNSK_ISF_E10value_typeEPSG_NS1_7vsmem_tEENKUlT_SE_SF_SG_E_clIS8_S8_S9_S9_EESD_ST_SE_SF_SG_EUlST_E0_NS1_11comp_targetILNS1_3genE10ELNS1_11target_archE1201ELNS1_3gpuE5ELNS1_3repE0EEENS1_38merge_mergepath_config_static_selectorELNS0_4arch9wavefront6targetE0EEEvSF_.kd
    .uniform_work_group_size: 1
    .uses_dynamic_stack: false
    .vgpr_count:     0
    .vgpr_spill_count: 0
    .wavefront_size: 32
  - .args:
      - .offset:         0
        .size:           64
        .value_kind:     by_value
    .group_segment_fixed_size: 0
    .kernarg_segment_align: 8
    .kernarg_segment_size: 64
    .language:       OpenCL C
    .language_version:
      - 2
      - 0
    .max_flat_workgroup_size: 128
    .name:           _ZN7rocprim17ROCPRIM_400000_NS6detail17trampoline_kernelINS0_14default_configENS1_38merge_sort_block_merge_config_selectorIbNS0_10empty_typeEEEZZNS1_27merge_sort_block_merge_implIS3_PbPS5_jNS1_19radix_merge_compareILb0ELb0EbNS0_19identity_decomposerEEEEE10hipError_tT0_T1_T2_jT3_P12ihipStream_tbPNSt15iterator_traitsISE_E10value_typeEPNSK_ISF_E10value_typeEPSG_NS1_7vsmem_tEENKUlT_SE_SF_SG_E_clIS8_S8_S9_S9_EESD_ST_SE_SF_SG_EUlST_E0_NS1_11comp_targetILNS1_3genE5ELNS1_11target_archE942ELNS1_3gpuE9ELNS1_3repE0EEENS1_38merge_mergepath_config_static_selectorELNS0_4arch9wavefront6targetE0EEEvSF_
    .private_segment_fixed_size: 0
    .sgpr_count:     0
    .sgpr_spill_count: 0
    .symbol:         _ZN7rocprim17ROCPRIM_400000_NS6detail17trampoline_kernelINS0_14default_configENS1_38merge_sort_block_merge_config_selectorIbNS0_10empty_typeEEEZZNS1_27merge_sort_block_merge_implIS3_PbPS5_jNS1_19radix_merge_compareILb0ELb0EbNS0_19identity_decomposerEEEEE10hipError_tT0_T1_T2_jT3_P12ihipStream_tbPNSt15iterator_traitsISE_E10value_typeEPNSK_ISF_E10value_typeEPSG_NS1_7vsmem_tEENKUlT_SE_SF_SG_E_clIS8_S8_S9_S9_EESD_ST_SE_SF_SG_EUlST_E0_NS1_11comp_targetILNS1_3genE5ELNS1_11target_archE942ELNS1_3gpuE9ELNS1_3repE0EEENS1_38merge_mergepath_config_static_selectorELNS0_4arch9wavefront6targetE0EEEvSF_.kd
    .uniform_work_group_size: 1
    .uses_dynamic_stack: false
    .vgpr_count:     0
    .vgpr_spill_count: 0
    .wavefront_size: 32
  - .args:
      - .offset:         0
        .size:           64
        .value_kind:     by_value
    .group_segment_fixed_size: 0
    .kernarg_segment_align: 8
    .kernarg_segment_size: 64
    .language:       OpenCL C
    .language_version:
      - 2
      - 0
    .max_flat_workgroup_size: 128
    .name:           _ZN7rocprim17ROCPRIM_400000_NS6detail17trampoline_kernelINS0_14default_configENS1_38merge_sort_block_merge_config_selectorIbNS0_10empty_typeEEEZZNS1_27merge_sort_block_merge_implIS3_PbPS5_jNS1_19radix_merge_compareILb0ELb0EbNS0_19identity_decomposerEEEEE10hipError_tT0_T1_T2_jT3_P12ihipStream_tbPNSt15iterator_traitsISE_E10value_typeEPNSK_ISF_E10value_typeEPSG_NS1_7vsmem_tEENKUlT_SE_SF_SG_E_clIS8_S8_S9_S9_EESD_ST_SE_SF_SG_EUlST_E0_NS1_11comp_targetILNS1_3genE4ELNS1_11target_archE910ELNS1_3gpuE8ELNS1_3repE0EEENS1_38merge_mergepath_config_static_selectorELNS0_4arch9wavefront6targetE0EEEvSF_
    .private_segment_fixed_size: 0
    .sgpr_count:     0
    .sgpr_spill_count: 0
    .symbol:         _ZN7rocprim17ROCPRIM_400000_NS6detail17trampoline_kernelINS0_14default_configENS1_38merge_sort_block_merge_config_selectorIbNS0_10empty_typeEEEZZNS1_27merge_sort_block_merge_implIS3_PbPS5_jNS1_19radix_merge_compareILb0ELb0EbNS0_19identity_decomposerEEEEE10hipError_tT0_T1_T2_jT3_P12ihipStream_tbPNSt15iterator_traitsISE_E10value_typeEPNSK_ISF_E10value_typeEPSG_NS1_7vsmem_tEENKUlT_SE_SF_SG_E_clIS8_S8_S9_S9_EESD_ST_SE_SF_SG_EUlST_E0_NS1_11comp_targetILNS1_3genE4ELNS1_11target_archE910ELNS1_3gpuE8ELNS1_3repE0EEENS1_38merge_mergepath_config_static_selectorELNS0_4arch9wavefront6targetE0EEEvSF_.kd
    .uniform_work_group_size: 1
    .uses_dynamic_stack: false
    .vgpr_count:     0
    .vgpr_spill_count: 0
    .wavefront_size: 32
  - .args:
      - .offset:         0
        .size:           64
        .value_kind:     by_value
    .group_segment_fixed_size: 0
    .kernarg_segment_align: 8
    .kernarg_segment_size: 64
    .language:       OpenCL C
    .language_version:
      - 2
      - 0
    .max_flat_workgroup_size: 128
    .name:           _ZN7rocprim17ROCPRIM_400000_NS6detail17trampoline_kernelINS0_14default_configENS1_38merge_sort_block_merge_config_selectorIbNS0_10empty_typeEEEZZNS1_27merge_sort_block_merge_implIS3_PbPS5_jNS1_19radix_merge_compareILb0ELb0EbNS0_19identity_decomposerEEEEE10hipError_tT0_T1_T2_jT3_P12ihipStream_tbPNSt15iterator_traitsISE_E10value_typeEPNSK_ISF_E10value_typeEPSG_NS1_7vsmem_tEENKUlT_SE_SF_SG_E_clIS8_S8_S9_S9_EESD_ST_SE_SF_SG_EUlST_E0_NS1_11comp_targetILNS1_3genE3ELNS1_11target_archE908ELNS1_3gpuE7ELNS1_3repE0EEENS1_38merge_mergepath_config_static_selectorELNS0_4arch9wavefront6targetE0EEEvSF_
    .private_segment_fixed_size: 0
    .sgpr_count:     0
    .sgpr_spill_count: 0
    .symbol:         _ZN7rocprim17ROCPRIM_400000_NS6detail17trampoline_kernelINS0_14default_configENS1_38merge_sort_block_merge_config_selectorIbNS0_10empty_typeEEEZZNS1_27merge_sort_block_merge_implIS3_PbPS5_jNS1_19radix_merge_compareILb0ELb0EbNS0_19identity_decomposerEEEEE10hipError_tT0_T1_T2_jT3_P12ihipStream_tbPNSt15iterator_traitsISE_E10value_typeEPNSK_ISF_E10value_typeEPSG_NS1_7vsmem_tEENKUlT_SE_SF_SG_E_clIS8_S8_S9_S9_EESD_ST_SE_SF_SG_EUlST_E0_NS1_11comp_targetILNS1_3genE3ELNS1_11target_archE908ELNS1_3gpuE7ELNS1_3repE0EEENS1_38merge_mergepath_config_static_selectorELNS0_4arch9wavefront6targetE0EEEvSF_.kd
    .uniform_work_group_size: 1
    .uses_dynamic_stack: false
    .vgpr_count:     0
    .vgpr_spill_count: 0
    .wavefront_size: 32
  - .args:
      - .offset:         0
        .size:           64
        .value_kind:     by_value
    .group_segment_fixed_size: 0
    .kernarg_segment_align: 8
    .kernarg_segment_size: 64
    .language:       OpenCL C
    .language_version:
      - 2
      - 0
    .max_flat_workgroup_size: 128
    .name:           _ZN7rocprim17ROCPRIM_400000_NS6detail17trampoline_kernelINS0_14default_configENS1_38merge_sort_block_merge_config_selectorIbNS0_10empty_typeEEEZZNS1_27merge_sort_block_merge_implIS3_PbPS5_jNS1_19radix_merge_compareILb0ELb0EbNS0_19identity_decomposerEEEEE10hipError_tT0_T1_T2_jT3_P12ihipStream_tbPNSt15iterator_traitsISE_E10value_typeEPNSK_ISF_E10value_typeEPSG_NS1_7vsmem_tEENKUlT_SE_SF_SG_E_clIS8_S8_S9_S9_EESD_ST_SE_SF_SG_EUlST_E0_NS1_11comp_targetILNS1_3genE2ELNS1_11target_archE906ELNS1_3gpuE6ELNS1_3repE0EEENS1_38merge_mergepath_config_static_selectorELNS0_4arch9wavefront6targetE0EEEvSF_
    .private_segment_fixed_size: 0
    .sgpr_count:     0
    .sgpr_spill_count: 0
    .symbol:         _ZN7rocprim17ROCPRIM_400000_NS6detail17trampoline_kernelINS0_14default_configENS1_38merge_sort_block_merge_config_selectorIbNS0_10empty_typeEEEZZNS1_27merge_sort_block_merge_implIS3_PbPS5_jNS1_19radix_merge_compareILb0ELb0EbNS0_19identity_decomposerEEEEE10hipError_tT0_T1_T2_jT3_P12ihipStream_tbPNSt15iterator_traitsISE_E10value_typeEPNSK_ISF_E10value_typeEPSG_NS1_7vsmem_tEENKUlT_SE_SF_SG_E_clIS8_S8_S9_S9_EESD_ST_SE_SF_SG_EUlST_E0_NS1_11comp_targetILNS1_3genE2ELNS1_11target_archE906ELNS1_3gpuE6ELNS1_3repE0EEENS1_38merge_mergepath_config_static_selectorELNS0_4arch9wavefront6targetE0EEEvSF_.kd
    .uniform_work_group_size: 1
    .uses_dynamic_stack: false
    .vgpr_count:     0
    .vgpr_spill_count: 0
    .wavefront_size: 32
  - .args:
      - .offset:         0
        .size:           64
        .value_kind:     by_value
    .group_segment_fixed_size: 0
    .kernarg_segment_align: 8
    .kernarg_segment_size: 64
    .language:       OpenCL C
    .language_version:
      - 2
      - 0
    .max_flat_workgroup_size: 128
    .name:           _ZN7rocprim17ROCPRIM_400000_NS6detail17trampoline_kernelINS0_14default_configENS1_38merge_sort_block_merge_config_selectorIbNS0_10empty_typeEEEZZNS1_27merge_sort_block_merge_implIS3_PbPS5_jNS1_19radix_merge_compareILb0ELb0EbNS0_19identity_decomposerEEEEE10hipError_tT0_T1_T2_jT3_P12ihipStream_tbPNSt15iterator_traitsISE_E10value_typeEPNSK_ISF_E10value_typeEPSG_NS1_7vsmem_tEENKUlT_SE_SF_SG_E_clIS8_S8_S9_S9_EESD_ST_SE_SF_SG_EUlST_E0_NS1_11comp_targetILNS1_3genE9ELNS1_11target_archE1100ELNS1_3gpuE3ELNS1_3repE0EEENS1_38merge_mergepath_config_static_selectorELNS0_4arch9wavefront6targetE0EEEvSF_
    .private_segment_fixed_size: 0
    .sgpr_count:     0
    .sgpr_spill_count: 0
    .symbol:         _ZN7rocprim17ROCPRIM_400000_NS6detail17trampoline_kernelINS0_14default_configENS1_38merge_sort_block_merge_config_selectorIbNS0_10empty_typeEEEZZNS1_27merge_sort_block_merge_implIS3_PbPS5_jNS1_19radix_merge_compareILb0ELb0EbNS0_19identity_decomposerEEEEE10hipError_tT0_T1_T2_jT3_P12ihipStream_tbPNSt15iterator_traitsISE_E10value_typeEPNSK_ISF_E10value_typeEPSG_NS1_7vsmem_tEENKUlT_SE_SF_SG_E_clIS8_S8_S9_S9_EESD_ST_SE_SF_SG_EUlST_E0_NS1_11comp_targetILNS1_3genE9ELNS1_11target_archE1100ELNS1_3gpuE3ELNS1_3repE0EEENS1_38merge_mergepath_config_static_selectorELNS0_4arch9wavefront6targetE0EEEvSF_.kd
    .uniform_work_group_size: 1
    .uses_dynamic_stack: false
    .vgpr_count:     0
    .vgpr_spill_count: 0
    .wavefront_size: 32
  - .args:
      - .offset:         0
        .size:           64
        .value_kind:     by_value
    .group_segment_fixed_size: 0
    .kernarg_segment_align: 8
    .kernarg_segment_size: 64
    .language:       OpenCL C
    .language_version:
      - 2
      - 0
    .max_flat_workgroup_size: 128
    .name:           _ZN7rocprim17ROCPRIM_400000_NS6detail17trampoline_kernelINS0_14default_configENS1_38merge_sort_block_merge_config_selectorIbNS0_10empty_typeEEEZZNS1_27merge_sort_block_merge_implIS3_PbPS5_jNS1_19radix_merge_compareILb0ELb0EbNS0_19identity_decomposerEEEEE10hipError_tT0_T1_T2_jT3_P12ihipStream_tbPNSt15iterator_traitsISE_E10value_typeEPNSK_ISF_E10value_typeEPSG_NS1_7vsmem_tEENKUlT_SE_SF_SG_E_clIS8_S8_S9_S9_EESD_ST_SE_SF_SG_EUlST_E0_NS1_11comp_targetILNS1_3genE8ELNS1_11target_archE1030ELNS1_3gpuE2ELNS1_3repE0EEENS1_38merge_mergepath_config_static_selectorELNS0_4arch9wavefront6targetE0EEEvSF_
    .private_segment_fixed_size: 0
    .sgpr_count:     0
    .sgpr_spill_count: 0
    .symbol:         _ZN7rocprim17ROCPRIM_400000_NS6detail17trampoline_kernelINS0_14default_configENS1_38merge_sort_block_merge_config_selectorIbNS0_10empty_typeEEEZZNS1_27merge_sort_block_merge_implIS3_PbPS5_jNS1_19radix_merge_compareILb0ELb0EbNS0_19identity_decomposerEEEEE10hipError_tT0_T1_T2_jT3_P12ihipStream_tbPNSt15iterator_traitsISE_E10value_typeEPNSK_ISF_E10value_typeEPSG_NS1_7vsmem_tEENKUlT_SE_SF_SG_E_clIS8_S8_S9_S9_EESD_ST_SE_SF_SG_EUlST_E0_NS1_11comp_targetILNS1_3genE8ELNS1_11target_archE1030ELNS1_3gpuE2ELNS1_3repE0EEENS1_38merge_mergepath_config_static_selectorELNS0_4arch9wavefront6targetE0EEEvSF_.kd
    .uniform_work_group_size: 1
    .uses_dynamic_stack: false
    .vgpr_count:     0
    .vgpr_spill_count: 0
    .wavefront_size: 32
  - .args:
      - .offset:         0
        .size:           48
        .value_kind:     by_value
    .group_segment_fixed_size: 0
    .kernarg_segment_align: 8
    .kernarg_segment_size: 48
    .language:       OpenCL C
    .language_version:
      - 2
      - 0
    .max_flat_workgroup_size: 256
    .name:           _ZN7rocprim17ROCPRIM_400000_NS6detail17trampoline_kernelINS0_14default_configENS1_38merge_sort_block_merge_config_selectorIbNS0_10empty_typeEEEZZNS1_27merge_sort_block_merge_implIS3_PbPS5_jNS1_19radix_merge_compareILb0ELb0EbNS0_19identity_decomposerEEEEE10hipError_tT0_T1_T2_jT3_P12ihipStream_tbPNSt15iterator_traitsISE_E10value_typeEPNSK_ISF_E10value_typeEPSG_NS1_7vsmem_tEENKUlT_SE_SF_SG_E_clIS8_S8_S9_S9_EESD_ST_SE_SF_SG_EUlST_E1_NS1_11comp_targetILNS1_3genE0ELNS1_11target_archE4294967295ELNS1_3gpuE0ELNS1_3repE0EEENS1_36merge_oddeven_config_static_selectorELNS0_4arch9wavefront6targetE0EEEvSF_
    .private_segment_fixed_size: 0
    .sgpr_count:     17
    .sgpr_spill_count: 0
    .symbol:         _ZN7rocprim17ROCPRIM_400000_NS6detail17trampoline_kernelINS0_14default_configENS1_38merge_sort_block_merge_config_selectorIbNS0_10empty_typeEEEZZNS1_27merge_sort_block_merge_implIS3_PbPS5_jNS1_19radix_merge_compareILb0ELb0EbNS0_19identity_decomposerEEEEE10hipError_tT0_T1_T2_jT3_P12ihipStream_tbPNSt15iterator_traitsISE_E10value_typeEPNSK_ISF_E10value_typeEPSG_NS1_7vsmem_tEENKUlT_SE_SF_SG_E_clIS8_S8_S9_S9_EESD_ST_SE_SF_SG_EUlST_E1_NS1_11comp_targetILNS1_3genE0ELNS1_11target_archE4294967295ELNS1_3gpuE0ELNS1_3repE0EEENS1_36merge_oddeven_config_static_selectorELNS0_4arch9wavefront6targetE0EEEvSF_.kd
    .uniform_work_group_size: 1
    .uses_dynamic_stack: false
    .vgpr_count:     8
    .vgpr_spill_count: 0
    .wavefront_size: 32
  - .args:
      - .offset:         0
        .size:           48
        .value_kind:     by_value
    .group_segment_fixed_size: 0
    .kernarg_segment_align: 8
    .kernarg_segment_size: 48
    .language:       OpenCL C
    .language_version:
      - 2
      - 0
    .max_flat_workgroup_size: 256
    .name:           _ZN7rocprim17ROCPRIM_400000_NS6detail17trampoline_kernelINS0_14default_configENS1_38merge_sort_block_merge_config_selectorIbNS0_10empty_typeEEEZZNS1_27merge_sort_block_merge_implIS3_PbPS5_jNS1_19radix_merge_compareILb0ELb0EbNS0_19identity_decomposerEEEEE10hipError_tT0_T1_T2_jT3_P12ihipStream_tbPNSt15iterator_traitsISE_E10value_typeEPNSK_ISF_E10value_typeEPSG_NS1_7vsmem_tEENKUlT_SE_SF_SG_E_clIS8_S8_S9_S9_EESD_ST_SE_SF_SG_EUlST_E1_NS1_11comp_targetILNS1_3genE10ELNS1_11target_archE1201ELNS1_3gpuE5ELNS1_3repE0EEENS1_36merge_oddeven_config_static_selectorELNS0_4arch9wavefront6targetE0EEEvSF_
    .private_segment_fixed_size: 0
    .sgpr_count:     0
    .sgpr_spill_count: 0
    .symbol:         _ZN7rocprim17ROCPRIM_400000_NS6detail17trampoline_kernelINS0_14default_configENS1_38merge_sort_block_merge_config_selectorIbNS0_10empty_typeEEEZZNS1_27merge_sort_block_merge_implIS3_PbPS5_jNS1_19radix_merge_compareILb0ELb0EbNS0_19identity_decomposerEEEEE10hipError_tT0_T1_T2_jT3_P12ihipStream_tbPNSt15iterator_traitsISE_E10value_typeEPNSK_ISF_E10value_typeEPSG_NS1_7vsmem_tEENKUlT_SE_SF_SG_E_clIS8_S8_S9_S9_EESD_ST_SE_SF_SG_EUlST_E1_NS1_11comp_targetILNS1_3genE10ELNS1_11target_archE1201ELNS1_3gpuE5ELNS1_3repE0EEENS1_36merge_oddeven_config_static_selectorELNS0_4arch9wavefront6targetE0EEEvSF_.kd
    .uniform_work_group_size: 1
    .uses_dynamic_stack: false
    .vgpr_count:     0
    .vgpr_spill_count: 0
    .wavefront_size: 32
  - .args:
      - .offset:         0
        .size:           48
        .value_kind:     by_value
    .group_segment_fixed_size: 0
    .kernarg_segment_align: 8
    .kernarg_segment_size: 48
    .language:       OpenCL C
    .language_version:
      - 2
      - 0
    .max_flat_workgroup_size: 256
    .name:           _ZN7rocprim17ROCPRIM_400000_NS6detail17trampoline_kernelINS0_14default_configENS1_38merge_sort_block_merge_config_selectorIbNS0_10empty_typeEEEZZNS1_27merge_sort_block_merge_implIS3_PbPS5_jNS1_19radix_merge_compareILb0ELb0EbNS0_19identity_decomposerEEEEE10hipError_tT0_T1_T2_jT3_P12ihipStream_tbPNSt15iterator_traitsISE_E10value_typeEPNSK_ISF_E10value_typeEPSG_NS1_7vsmem_tEENKUlT_SE_SF_SG_E_clIS8_S8_S9_S9_EESD_ST_SE_SF_SG_EUlST_E1_NS1_11comp_targetILNS1_3genE5ELNS1_11target_archE942ELNS1_3gpuE9ELNS1_3repE0EEENS1_36merge_oddeven_config_static_selectorELNS0_4arch9wavefront6targetE0EEEvSF_
    .private_segment_fixed_size: 0
    .sgpr_count:     0
    .sgpr_spill_count: 0
    .symbol:         _ZN7rocprim17ROCPRIM_400000_NS6detail17trampoline_kernelINS0_14default_configENS1_38merge_sort_block_merge_config_selectorIbNS0_10empty_typeEEEZZNS1_27merge_sort_block_merge_implIS3_PbPS5_jNS1_19radix_merge_compareILb0ELb0EbNS0_19identity_decomposerEEEEE10hipError_tT0_T1_T2_jT3_P12ihipStream_tbPNSt15iterator_traitsISE_E10value_typeEPNSK_ISF_E10value_typeEPSG_NS1_7vsmem_tEENKUlT_SE_SF_SG_E_clIS8_S8_S9_S9_EESD_ST_SE_SF_SG_EUlST_E1_NS1_11comp_targetILNS1_3genE5ELNS1_11target_archE942ELNS1_3gpuE9ELNS1_3repE0EEENS1_36merge_oddeven_config_static_selectorELNS0_4arch9wavefront6targetE0EEEvSF_.kd
    .uniform_work_group_size: 1
    .uses_dynamic_stack: false
    .vgpr_count:     0
    .vgpr_spill_count: 0
    .wavefront_size: 32
  - .args:
      - .offset:         0
        .size:           48
        .value_kind:     by_value
    .group_segment_fixed_size: 0
    .kernarg_segment_align: 8
    .kernarg_segment_size: 48
    .language:       OpenCL C
    .language_version:
      - 2
      - 0
    .max_flat_workgroup_size: 256
    .name:           _ZN7rocprim17ROCPRIM_400000_NS6detail17trampoline_kernelINS0_14default_configENS1_38merge_sort_block_merge_config_selectorIbNS0_10empty_typeEEEZZNS1_27merge_sort_block_merge_implIS3_PbPS5_jNS1_19radix_merge_compareILb0ELb0EbNS0_19identity_decomposerEEEEE10hipError_tT0_T1_T2_jT3_P12ihipStream_tbPNSt15iterator_traitsISE_E10value_typeEPNSK_ISF_E10value_typeEPSG_NS1_7vsmem_tEENKUlT_SE_SF_SG_E_clIS8_S8_S9_S9_EESD_ST_SE_SF_SG_EUlST_E1_NS1_11comp_targetILNS1_3genE4ELNS1_11target_archE910ELNS1_3gpuE8ELNS1_3repE0EEENS1_36merge_oddeven_config_static_selectorELNS0_4arch9wavefront6targetE0EEEvSF_
    .private_segment_fixed_size: 0
    .sgpr_count:     0
    .sgpr_spill_count: 0
    .symbol:         _ZN7rocprim17ROCPRIM_400000_NS6detail17trampoline_kernelINS0_14default_configENS1_38merge_sort_block_merge_config_selectorIbNS0_10empty_typeEEEZZNS1_27merge_sort_block_merge_implIS3_PbPS5_jNS1_19radix_merge_compareILb0ELb0EbNS0_19identity_decomposerEEEEE10hipError_tT0_T1_T2_jT3_P12ihipStream_tbPNSt15iterator_traitsISE_E10value_typeEPNSK_ISF_E10value_typeEPSG_NS1_7vsmem_tEENKUlT_SE_SF_SG_E_clIS8_S8_S9_S9_EESD_ST_SE_SF_SG_EUlST_E1_NS1_11comp_targetILNS1_3genE4ELNS1_11target_archE910ELNS1_3gpuE8ELNS1_3repE0EEENS1_36merge_oddeven_config_static_selectorELNS0_4arch9wavefront6targetE0EEEvSF_.kd
    .uniform_work_group_size: 1
    .uses_dynamic_stack: false
    .vgpr_count:     0
    .vgpr_spill_count: 0
    .wavefront_size: 32
  - .args:
      - .offset:         0
        .size:           48
        .value_kind:     by_value
    .group_segment_fixed_size: 0
    .kernarg_segment_align: 8
    .kernarg_segment_size: 48
    .language:       OpenCL C
    .language_version:
      - 2
      - 0
    .max_flat_workgroup_size: 256
    .name:           _ZN7rocprim17ROCPRIM_400000_NS6detail17trampoline_kernelINS0_14default_configENS1_38merge_sort_block_merge_config_selectorIbNS0_10empty_typeEEEZZNS1_27merge_sort_block_merge_implIS3_PbPS5_jNS1_19radix_merge_compareILb0ELb0EbNS0_19identity_decomposerEEEEE10hipError_tT0_T1_T2_jT3_P12ihipStream_tbPNSt15iterator_traitsISE_E10value_typeEPNSK_ISF_E10value_typeEPSG_NS1_7vsmem_tEENKUlT_SE_SF_SG_E_clIS8_S8_S9_S9_EESD_ST_SE_SF_SG_EUlST_E1_NS1_11comp_targetILNS1_3genE3ELNS1_11target_archE908ELNS1_3gpuE7ELNS1_3repE0EEENS1_36merge_oddeven_config_static_selectorELNS0_4arch9wavefront6targetE0EEEvSF_
    .private_segment_fixed_size: 0
    .sgpr_count:     0
    .sgpr_spill_count: 0
    .symbol:         _ZN7rocprim17ROCPRIM_400000_NS6detail17trampoline_kernelINS0_14default_configENS1_38merge_sort_block_merge_config_selectorIbNS0_10empty_typeEEEZZNS1_27merge_sort_block_merge_implIS3_PbPS5_jNS1_19radix_merge_compareILb0ELb0EbNS0_19identity_decomposerEEEEE10hipError_tT0_T1_T2_jT3_P12ihipStream_tbPNSt15iterator_traitsISE_E10value_typeEPNSK_ISF_E10value_typeEPSG_NS1_7vsmem_tEENKUlT_SE_SF_SG_E_clIS8_S8_S9_S9_EESD_ST_SE_SF_SG_EUlST_E1_NS1_11comp_targetILNS1_3genE3ELNS1_11target_archE908ELNS1_3gpuE7ELNS1_3repE0EEENS1_36merge_oddeven_config_static_selectorELNS0_4arch9wavefront6targetE0EEEvSF_.kd
    .uniform_work_group_size: 1
    .uses_dynamic_stack: false
    .vgpr_count:     0
    .vgpr_spill_count: 0
    .wavefront_size: 32
  - .args:
      - .offset:         0
        .size:           48
        .value_kind:     by_value
    .group_segment_fixed_size: 0
    .kernarg_segment_align: 8
    .kernarg_segment_size: 48
    .language:       OpenCL C
    .language_version:
      - 2
      - 0
    .max_flat_workgroup_size: 256
    .name:           _ZN7rocprim17ROCPRIM_400000_NS6detail17trampoline_kernelINS0_14default_configENS1_38merge_sort_block_merge_config_selectorIbNS0_10empty_typeEEEZZNS1_27merge_sort_block_merge_implIS3_PbPS5_jNS1_19radix_merge_compareILb0ELb0EbNS0_19identity_decomposerEEEEE10hipError_tT0_T1_T2_jT3_P12ihipStream_tbPNSt15iterator_traitsISE_E10value_typeEPNSK_ISF_E10value_typeEPSG_NS1_7vsmem_tEENKUlT_SE_SF_SG_E_clIS8_S8_S9_S9_EESD_ST_SE_SF_SG_EUlST_E1_NS1_11comp_targetILNS1_3genE2ELNS1_11target_archE906ELNS1_3gpuE6ELNS1_3repE0EEENS1_36merge_oddeven_config_static_selectorELNS0_4arch9wavefront6targetE0EEEvSF_
    .private_segment_fixed_size: 0
    .sgpr_count:     0
    .sgpr_spill_count: 0
    .symbol:         _ZN7rocprim17ROCPRIM_400000_NS6detail17trampoline_kernelINS0_14default_configENS1_38merge_sort_block_merge_config_selectorIbNS0_10empty_typeEEEZZNS1_27merge_sort_block_merge_implIS3_PbPS5_jNS1_19radix_merge_compareILb0ELb0EbNS0_19identity_decomposerEEEEE10hipError_tT0_T1_T2_jT3_P12ihipStream_tbPNSt15iterator_traitsISE_E10value_typeEPNSK_ISF_E10value_typeEPSG_NS1_7vsmem_tEENKUlT_SE_SF_SG_E_clIS8_S8_S9_S9_EESD_ST_SE_SF_SG_EUlST_E1_NS1_11comp_targetILNS1_3genE2ELNS1_11target_archE906ELNS1_3gpuE6ELNS1_3repE0EEENS1_36merge_oddeven_config_static_selectorELNS0_4arch9wavefront6targetE0EEEvSF_.kd
    .uniform_work_group_size: 1
    .uses_dynamic_stack: false
    .vgpr_count:     0
    .vgpr_spill_count: 0
    .wavefront_size: 32
  - .args:
      - .offset:         0
        .size:           48
        .value_kind:     by_value
    .group_segment_fixed_size: 0
    .kernarg_segment_align: 8
    .kernarg_segment_size: 48
    .language:       OpenCL C
    .language_version:
      - 2
      - 0
    .max_flat_workgroup_size: 256
    .name:           _ZN7rocprim17ROCPRIM_400000_NS6detail17trampoline_kernelINS0_14default_configENS1_38merge_sort_block_merge_config_selectorIbNS0_10empty_typeEEEZZNS1_27merge_sort_block_merge_implIS3_PbPS5_jNS1_19radix_merge_compareILb0ELb0EbNS0_19identity_decomposerEEEEE10hipError_tT0_T1_T2_jT3_P12ihipStream_tbPNSt15iterator_traitsISE_E10value_typeEPNSK_ISF_E10value_typeEPSG_NS1_7vsmem_tEENKUlT_SE_SF_SG_E_clIS8_S8_S9_S9_EESD_ST_SE_SF_SG_EUlST_E1_NS1_11comp_targetILNS1_3genE9ELNS1_11target_archE1100ELNS1_3gpuE3ELNS1_3repE0EEENS1_36merge_oddeven_config_static_selectorELNS0_4arch9wavefront6targetE0EEEvSF_
    .private_segment_fixed_size: 0
    .sgpr_count:     0
    .sgpr_spill_count: 0
    .symbol:         _ZN7rocprim17ROCPRIM_400000_NS6detail17trampoline_kernelINS0_14default_configENS1_38merge_sort_block_merge_config_selectorIbNS0_10empty_typeEEEZZNS1_27merge_sort_block_merge_implIS3_PbPS5_jNS1_19radix_merge_compareILb0ELb0EbNS0_19identity_decomposerEEEEE10hipError_tT0_T1_T2_jT3_P12ihipStream_tbPNSt15iterator_traitsISE_E10value_typeEPNSK_ISF_E10value_typeEPSG_NS1_7vsmem_tEENKUlT_SE_SF_SG_E_clIS8_S8_S9_S9_EESD_ST_SE_SF_SG_EUlST_E1_NS1_11comp_targetILNS1_3genE9ELNS1_11target_archE1100ELNS1_3gpuE3ELNS1_3repE0EEENS1_36merge_oddeven_config_static_selectorELNS0_4arch9wavefront6targetE0EEEvSF_.kd
    .uniform_work_group_size: 1
    .uses_dynamic_stack: false
    .vgpr_count:     0
    .vgpr_spill_count: 0
    .wavefront_size: 32
  - .args:
      - .offset:         0
        .size:           48
        .value_kind:     by_value
    .group_segment_fixed_size: 0
    .kernarg_segment_align: 8
    .kernarg_segment_size: 48
    .language:       OpenCL C
    .language_version:
      - 2
      - 0
    .max_flat_workgroup_size: 256
    .name:           _ZN7rocprim17ROCPRIM_400000_NS6detail17trampoline_kernelINS0_14default_configENS1_38merge_sort_block_merge_config_selectorIbNS0_10empty_typeEEEZZNS1_27merge_sort_block_merge_implIS3_PbPS5_jNS1_19radix_merge_compareILb0ELb0EbNS0_19identity_decomposerEEEEE10hipError_tT0_T1_T2_jT3_P12ihipStream_tbPNSt15iterator_traitsISE_E10value_typeEPNSK_ISF_E10value_typeEPSG_NS1_7vsmem_tEENKUlT_SE_SF_SG_E_clIS8_S8_S9_S9_EESD_ST_SE_SF_SG_EUlST_E1_NS1_11comp_targetILNS1_3genE8ELNS1_11target_archE1030ELNS1_3gpuE2ELNS1_3repE0EEENS1_36merge_oddeven_config_static_selectorELNS0_4arch9wavefront6targetE0EEEvSF_
    .private_segment_fixed_size: 0
    .sgpr_count:     0
    .sgpr_spill_count: 0
    .symbol:         _ZN7rocprim17ROCPRIM_400000_NS6detail17trampoline_kernelINS0_14default_configENS1_38merge_sort_block_merge_config_selectorIbNS0_10empty_typeEEEZZNS1_27merge_sort_block_merge_implIS3_PbPS5_jNS1_19radix_merge_compareILb0ELb0EbNS0_19identity_decomposerEEEEE10hipError_tT0_T1_T2_jT3_P12ihipStream_tbPNSt15iterator_traitsISE_E10value_typeEPNSK_ISF_E10value_typeEPSG_NS1_7vsmem_tEENKUlT_SE_SF_SG_E_clIS8_S8_S9_S9_EESD_ST_SE_SF_SG_EUlST_E1_NS1_11comp_targetILNS1_3genE8ELNS1_11target_archE1030ELNS1_3gpuE2ELNS1_3repE0EEENS1_36merge_oddeven_config_static_selectorELNS0_4arch9wavefront6targetE0EEEvSF_.kd
    .uniform_work_group_size: 1
    .uses_dynamic_stack: false
    .vgpr_count:     0
    .vgpr_spill_count: 0
    .wavefront_size: 32
  - .args:
      - .offset:         0
        .size:           40
        .value_kind:     by_value
    .group_segment_fixed_size: 128
    .kernarg_segment_align: 8
    .kernarg_segment_size: 40
    .language:       OpenCL C
    .language_version:
      - 2
      - 0
    .max_flat_workgroup_size: 128
    .name:           _ZN7rocprim17ROCPRIM_400000_NS6detail17trampoline_kernelINS0_14default_configENS1_38merge_sort_block_merge_config_selectorIbNS0_10empty_typeEEEZZNS1_27merge_sort_block_merge_implIS3_PbPS5_jNS1_19radix_merge_compareILb0ELb1EbNS0_19identity_decomposerEEEEE10hipError_tT0_T1_T2_jT3_P12ihipStream_tbPNSt15iterator_traitsISE_E10value_typeEPNSK_ISF_E10value_typeEPSG_NS1_7vsmem_tEENKUlT_SE_SF_SG_E_clIS8_S8_S9_S9_EESD_ST_SE_SF_SG_EUlST_E_NS1_11comp_targetILNS1_3genE0ELNS1_11target_archE4294967295ELNS1_3gpuE0ELNS1_3repE0EEENS1_48merge_mergepath_partition_config_static_selectorELNS0_4arch9wavefront6targetE0EEEvSF_
    .private_segment_fixed_size: 0
    .sgpr_count:     12
    .sgpr_spill_count: 0
    .symbol:         _ZN7rocprim17ROCPRIM_400000_NS6detail17trampoline_kernelINS0_14default_configENS1_38merge_sort_block_merge_config_selectorIbNS0_10empty_typeEEEZZNS1_27merge_sort_block_merge_implIS3_PbPS5_jNS1_19radix_merge_compareILb0ELb1EbNS0_19identity_decomposerEEEEE10hipError_tT0_T1_T2_jT3_P12ihipStream_tbPNSt15iterator_traitsISE_E10value_typeEPNSK_ISF_E10value_typeEPSG_NS1_7vsmem_tEENKUlT_SE_SF_SG_E_clIS8_S8_S9_S9_EESD_ST_SE_SF_SG_EUlST_E_NS1_11comp_targetILNS1_3genE0ELNS1_11target_archE4294967295ELNS1_3gpuE0ELNS1_3repE0EEENS1_48merge_mergepath_partition_config_static_selectorELNS0_4arch9wavefront6targetE0EEEvSF_.kd
    .uniform_work_group_size: 1
    .uses_dynamic_stack: false
    .vgpr_count:     18
    .vgpr_spill_count: 0
    .wavefront_size: 32
  - .args:
      - .offset:         0
        .size:           40
        .value_kind:     by_value
    .group_segment_fixed_size: 0
    .kernarg_segment_align: 8
    .kernarg_segment_size: 40
    .language:       OpenCL C
    .language_version:
      - 2
      - 0
    .max_flat_workgroup_size: 128
    .name:           _ZN7rocprim17ROCPRIM_400000_NS6detail17trampoline_kernelINS0_14default_configENS1_38merge_sort_block_merge_config_selectorIbNS0_10empty_typeEEEZZNS1_27merge_sort_block_merge_implIS3_PbPS5_jNS1_19radix_merge_compareILb0ELb1EbNS0_19identity_decomposerEEEEE10hipError_tT0_T1_T2_jT3_P12ihipStream_tbPNSt15iterator_traitsISE_E10value_typeEPNSK_ISF_E10value_typeEPSG_NS1_7vsmem_tEENKUlT_SE_SF_SG_E_clIS8_S8_S9_S9_EESD_ST_SE_SF_SG_EUlST_E_NS1_11comp_targetILNS1_3genE10ELNS1_11target_archE1201ELNS1_3gpuE5ELNS1_3repE0EEENS1_48merge_mergepath_partition_config_static_selectorELNS0_4arch9wavefront6targetE0EEEvSF_
    .private_segment_fixed_size: 0
    .sgpr_count:     0
    .sgpr_spill_count: 0
    .symbol:         _ZN7rocprim17ROCPRIM_400000_NS6detail17trampoline_kernelINS0_14default_configENS1_38merge_sort_block_merge_config_selectorIbNS0_10empty_typeEEEZZNS1_27merge_sort_block_merge_implIS3_PbPS5_jNS1_19radix_merge_compareILb0ELb1EbNS0_19identity_decomposerEEEEE10hipError_tT0_T1_T2_jT3_P12ihipStream_tbPNSt15iterator_traitsISE_E10value_typeEPNSK_ISF_E10value_typeEPSG_NS1_7vsmem_tEENKUlT_SE_SF_SG_E_clIS8_S8_S9_S9_EESD_ST_SE_SF_SG_EUlST_E_NS1_11comp_targetILNS1_3genE10ELNS1_11target_archE1201ELNS1_3gpuE5ELNS1_3repE0EEENS1_48merge_mergepath_partition_config_static_selectorELNS0_4arch9wavefront6targetE0EEEvSF_.kd
    .uniform_work_group_size: 1
    .uses_dynamic_stack: false
    .vgpr_count:     0
    .vgpr_spill_count: 0
    .wavefront_size: 32
  - .args:
      - .offset:         0
        .size:           40
        .value_kind:     by_value
    .group_segment_fixed_size: 0
    .kernarg_segment_align: 8
    .kernarg_segment_size: 40
    .language:       OpenCL C
    .language_version:
      - 2
      - 0
    .max_flat_workgroup_size: 128
    .name:           _ZN7rocprim17ROCPRIM_400000_NS6detail17trampoline_kernelINS0_14default_configENS1_38merge_sort_block_merge_config_selectorIbNS0_10empty_typeEEEZZNS1_27merge_sort_block_merge_implIS3_PbPS5_jNS1_19radix_merge_compareILb0ELb1EbNS0_19identity_decomposerEEEEE10hipError_tT0_T1_T2_jT3_P12ihipStream_tbPNSt15iterator_traitsISE_E10value_typeEPNSK_ISF_E10value_typeEPSG_NS1_7vsmem_tEENKUlT_SE_SF_SG_E_clIS8_S8_S9_S9_EESD_ST_SE_SF_SG_EUlST_E_NS1_11comp_targetILNS1_3genE5ELNS1_11target_archE942ELNS1_3gpuE9ELNS1_3repE0EEENS1_48merge_mergepath_partition_config_static_selectorELNS0_4arch9wavefront6targetE0EEEvSF_
    .private_segment_fixed_size: 0
    .sgpr_count:     0
    .sgpr_spill_count: 0
    .symbol:         _ZN7rocprim17ROCPRIM_400000_NS6detail17trampoline_kernelINS0_14default_configENS1_38merge_sort_block_merge_config_selectorIbNS0_10empty_typeEEEZZNS1_27merge_sort_block_merge_implIS3_PbPS5_jNS1_19radix_merge_compareILb0ELb1EbNS0_19identity_decomposerEEEEE10hipError_tT0_T1_T2_jT3_P12ihipStream_tbPNSt15iterator_traitsISE_E10value_typeEPNSK_ISF_E10value_typeEPSG_NS1_7vsmem_tEENKUlT_SE_SF_SG_E_clIS8_S8_S9_S9_EESD_ST_SE_SF_SG_EUlST_E_NS1_11comp_targetILNS1_3genE5ELNS1_11target_archE942ELNS1_3gpuE9ELNS1_3repE0EEENS1_48merge_mergepath_partition_config_static_selectorELNS0_4arch9wavefront6targetE0EEEvSF_.kd
    .uniform_work_group_size: 1
    .uses_dynamic_stack: false
    .vgpr_count:     0
    .vgpr_spill_count: 0
    .wavefront_size: 32
  - .args:
      - .offset:         0
        .size:           40
        .value_kind:     by_value
    .group_segment_fixed_size: 0
    .kernarg_segment_align: 8
    .kernarg_segment_size: 40
    .language:       OpenCL C
    .language_version:
      - 2
      - 0
    .max_flat_workgroup_size: 128
    .name:           _ZN7rocprim17ROCPRIM_400000_NS6detail17trampoline_kernelINS0_14default_configENS1_38merge_sort_block_merge_config_selectorIbNS0_10empty_typeEEEZZNS1_27merge_sort_block_merge_implIS3_PbPS5_jNS1_19radix_merge_compareILb0ELb1EbNS0_19identity_decomposerEEEEE10hipError_tT0_T1_T2_jT3_P12ihipStream_tbPNSt15iterator_traitsISE_E10value_typeEPNSK_ISF_E10value_typeEPSG_NS1_7vsmem_tEENKUlT_SE_SF_SG_E_clIS8_S8_S9_S9_EESD_ST_SE_SF_SG_EUlST_E_NS1_11comp_targetILNS1_3genE4ELNS1_11target_archE910ELNS1_3gpuE8ELNS1_3repE0EEENS1_48merge_mergepath_partition_config_static_selectorELNS0_4arch9wavefront6targetE0EEEvSF_
    .private_segment_fixed_size: 0
    .sgpr_count:     0
    .sgpr_spill_count: 0
    .symbol:         _ZN7rocprim17ROCPRIM_400000_NS6detail17trampoline_kernelINS0_14default_configENS1_38merge_sort_block_merge_config_selectorIbNS0_10empty_typeEEEZZNS1_27merge_sort_block_merge_implIS3_PbPS5_jNS1_19radix_merge_compareILb0ELb1EbNS0_19identity_decomposerEEEEE10hipError_tT0_T1_T2_jT3_P12ihipStream_tbPNSt15iterator_traitsISE_E10value_typeEPNSK_ISF_E10value_typeEPSG_NS1_7vsmem_tEENKUlT_SE_SF_SG_E_clIS8_S8_S9_S9_EESD_ST_SE_SF_SG_EUlST_E_NS1_11comp_targetILNS1_3genE4ELNS1_11target_archE910ELNS1_3gpuE8ELNS1_3repE0EEENS1_48merge_mergepath_partition_config_static_selectorELNS0_4arch9wavefront6targetE0EEEvSF_.kd
    .uniform_work_group_size: 1
    .uses_dynamic_stack: false
    .vgpr_count:     0
    .vgpr_spill_count: 0
    .wavefront_size: 32
  - .args:
      - .offset:         0
        .size:           40
        .value_kind:     by_value
    .group_segment_fixed_size: 0
    .kernarg_segment_align: 8
    .kernarg_segment_size: 40
    .language:       OpenCL C
    .language_version:
      - 2
      - 0
    .max_flat_workgroup_size: 128
    .name:           _ZN7rocprim17ROCPRIM_400000_NS6detail17trampoline_kernelINS0_14default_configENS1_38merge_sort_block_merge_config_selectorIbNS0_10empty_typeEEEZZNS1_27merge_sort_block_merge_implIS3_PbPS5_jNS1_19radix_merge_compareILb0ELb1EbNS0_19identity_decomposerEEEEE10hipError_tT0_T1_T2_jT3_P12ihipStream_tbPNSt15iterator_traitsISE_E10value_typeEPNSK_ISF_E10value_typeEPSG_NS1_7vsmem_tEENKUlT_SE_SF_SG_E_clIS8_S8_S9_S9_EESD_ST_SE_SF_SG_EUlST_E_NS1_11comp_targetILNS1_3genE3ELNS1_11target_archE908ELNS1_3gpuE7ELNS1_3repE0EEENS1_48merge_mergepath_partition_config_static_selectorELNS0_4arch9wavefront6targetE0EEEvSF_
    .private_segment_fixed_size: 0
    .sgpr_count:     0
    .sgpr_spill_count: 0
    .symbol:         _ZN7rocprim17ROCPRIM_400000_NS6detail17trampoline_kernelINS0_14default_configENS1_38merge_sort_block_merge_config_selectorIbNS0_10empty_typeEEEZZNS1_27merge_sort_block_merge_implIS3_PbPS5_jNS1_19radix_merge_compareILb0ELb1EbNS0_19identity_decomposerEEEEE10hipError_tT0_T1_T2_jT3_P12ihipStream_tbPNSt15iterator_traitsISE_E10value_typeEPNSK_ISF_E10value_typeEPSG_NS1_7vsmem_tEENKUlT_SE_SF_SG_E_clIS8_S8_S9_S9_EESD_ST_SE_SF_SG_EUlST_E_NS1_11comp_targetILNS1_3genE3ELNS1_11target_archE908ELNS1_3gpuE7ELNS1_3repE0EEENS1_48merge_mergepath_partition_config_static_selectorELNS0_4arch9wavefront6targetE0EEEvSF_.kd
    .uniform_work_group_size: 1
    .uses_dynamic_stack: false
    .vgpr_count:     0
    .vgpr_spill_count: 0
    .wavefront_size: 32
  - .args:
      - .offset:         0
        .size:           40
        .value_kind:     by_value
    .group_segment_fixed_size: 0
    .kernarg_segment_align: 8
    .kernarg_segment_size: 40
    .language:       OpenCL C
    .language_version:
      - 2
      - 0
    .max_flat_workgroup_size: 128
    .name:           _ZN7rocprim17ROCPRIM_400000_NS6detail17trampoline_kernelINS0_14default_configENS1_38merge_sort_block_merge_config_selectorIbNS0_10empty_typeEEEZZNS1_27merge_sort_block_merge_implIS3_PbPS5_jNS1_19radix_merge_compareILb0ELb1EbNS0_19identity_decomposerEEEEE10hipError_tT0_T1_T2_jT3_P12ihipStream_tbPNSt15iterator_traitsISE_E10value_typeEPNSK_ISF_E10value_typeEPSG_NS1_7vsmem_tEENKUlT_SE_SF_SG_E_clIS8_S8_S9_S9_EESD_ST_SE_SF_SG_EUlST_E_NS1_11comp_targetILNS1_3genE2ELNS1_11target_archE906ELNS1_3gpuE6ELNS1_3repE0EEENS1_48merge_mergepath_partition_config_static_selectorELNS0_4arch9wavefront6targetE0EEEvSF_
    .private_segment_fixed_size: 0
    .sgpr_count:     0
    .sgpr_spill_count: 0
    .symbol:         _ZN7rocprim17ROCPRIM_400000_NS6detail17trampoline_kernelINS0_14default_configENS1_38merge_sort_block_merge_config_selectorIbNS0_10empty_typeEEEZZNS1_27merge_sort_block_merge_implIS3_PbPS5_jNS1_19radix_merge_compareILb0ELb1EbNS0_19identity_decomposerEEEEE10hipError_tT0_T1_T2_jT3_P12ihipStream_tbPNSt15iterator_traitsISE_E10value_typeEPNSK_ISF_E10value_typeEPSG_NS1_7vsmem_tEENKUlT_SE_SF_SG_E_clIS8_S8_S9_S9_EESD_ST_SE_SF_SG_EUlST_E_NS1_11comp_targetILNS1_3genE2ELNS1_11target_archE906ELNS1_3gpuE6ELNS1_3repE0EEENS1_48merge_mergepath_partition_config_static_selectorELNS0_4arch9wavefront6targetE0EEEvSF_.kd
    .uniform_work_group_size: 1
    .uses_dynamic_stack: false
    .vgpr_count:     0
    .vgpr_spill_count: 0
    .wavefront_size: 32
  - .args:
      - .offset:         0
        .size:           40
        .value_kind:     by_value
    .group_segment_fixed_size: 0
    .kernarg_segment_align: 8
    .kernarg_segment_size: 40
    .language:       OpenCL C
    .language_version:
      - 2
      - 0
    .max_flat_workgroup_size: 128
    .name:           _ZN7rocprim17ROCPRIM_400000_NS6detail17trampoline_kernelINS0_14default_configENS1_38merge_sort_block_merge_config_selectorIbNS0_10empty_typeEEEZZNS1_27merge_sort_block_merge_implIS3_PbPS5_jNS1_19radix_merge_compareILb0ELb1EbNS0_19identity_decomposerEEEEE10hipError_tT0_T1_T2_jT3_P12ihipStream_tbPNSt15iterator_traitsISE_E10value_typeEPNSK_ISF_E10value_typeEPSG_NS1_7vsmem_tEENKUlT_SE_SF_SG_E_clIS8_S8_S9_S9_EESD_ST_SE_SF_SG_EUlST_E_NS1_11comp_targetILNS1_3genE9ELNS1_11target_archE1100ELNS1_3gpuE3ELNS1_3repE0EEENS1_48merge_mergepath_partition_config_static_selectorELNS0_4arch9wavefront6targetE0EEEvSF_
    .private_segment_fixed_size: 0
    .sgpr_count:     0
    .sgpr_spill_count: 0
    .symbol:         _ZN7rocprim17ROCPRIM_400000_NS6detail17trampoline_kernelINS0_14default_configENS1_38merge_sort_block_merge_config_selectorIbNS0_10empty_typeEEEZZNS1_27merge_sort_block_merge_implIS3_PbPS5_jNS1_19radix_merge_compareILb0ELb1EbNS0_19identity_decomposerEEEEE10hipError_tT0_T1_T2_jT3_P12ihipStream_tbPNSt15iterator_traitsISE_E10value_typeEPNSK_ISF_E10value_typeEPSG_NS1_7vsmem_tEENKUlT_SE_SF_SG_E_clIS8_S8_S9_S9_EESD_ST_SE_SF_SG_EUlST_E_NS1_11comp_targetILNS1_3genE9ELNS1_11target_archE1100ELNS1_3gpuE3ELNS1_3repE0EEENS1_48merge_mergepath_partition_config_static_selectorELNS0_4arch9wavefront6targetE0EEEvSF_.kd
    .uniform_work_group_size: 1
    .uses_dynamic_stack: false
    .vgpr_count:     0
    .vgpr_spill_count: 0
    .wavefront_size: 32
  - .args:
      - .offset:         0
        .size:           40
        .value_kind:     by_value
    .group_segment_fixed_size: 0
    .kernarg_segment_align: 8
    .kernarg_segment_size: 40
    .language:       OpenCL C
    .language_version:
      - 2
      - 0
    .max_flat_workgroup_size: 128
    .name:           _ZN7rocprim17ROCPRIM_400000_NS6detail17trampoline_kernelINS0_14default_configENS1_38merge_sort_block_merge_config_selectorIbNS0_10empty_typeEEEZZNS1_27merge_sort_block_merge_implIS3_PbPS5_jNS1_19radix_merge_compareILb0ELb1EbNS0_19identity_decomposerEEEEE10hipError_tT0_T1_T2_jT3_P12ihipStream_tbPNSt15iterator_traitsISE_E10value_typeEPNSK_ISF_E10value_typeEPSG_NS1_7vsmem_tEENKUlT_SE_SF_SG_E_clIS8_S8_S9_S9_EESD_ST_SE_SF_SG_EUlST_E_NS1_11comp_targetILNS1_3genE8ELNS1_11target_archE1030ELNS1_3gpuE2ELNS1_3repE0EEENS1_48merge_mergepath_partition_config_static_selectorELNS0_4arch9wavefront6targetE0EEEvSF_
    .private_segment_fixed_size: 0
    .sgpr_count:     0
    .sgpr_spill_count: 0
    .symbol:         _ZN7rocprim17ROCPRIM_400000_NS6detail17trampoline_kernelINS0_14default_configENS1_38merge_sort_block_merge_config_selectorIbNS0_10empty_typeEEEZZNS1_27merge_sort_block_merge_implIS3_PbPS5_jNS1_19radix_merge_compareILb0ELb1EbNS0_19identity_decomposerEEEEE10hipError_tT0_T1_T2_jT3_P12ihipStream_tbPNSt15iterator_traitsISE_E10value_typeEPNSK_ISF_E10value_typeEPSG_NS1_7vsmem_tEENKUlT_SE_SF_SG_E_clIS8_S8_S9_S9_EESD_ST_SE_SF_SG_EUlST_E_NS1_11comp_targetILNS1_3genE8ELNS1_11target_archE1030ELNS1_3gpuE2ELNS1_3repE0EEENS1_48merge_mergepath_partition_config_static_selectorELNS0_4arch9wavefront6targetE0EEEvSF_.kd
    .uniform_work_group_size: 1
    .uses_dynamic_stack: false
    .vgpr_count:     0
    .vgpr_spill_count: 0
    .wavefront_size: 32
  - .args:
      - .offset:         0
        .size:           64
        .value_kind:     by_value
      - .offset:         64
        .size:           4
        .value_kind:     hidden_block_count_x
      - .offset:         68
        .size:           4
        .value_kind:     hidden_block_count_y
      - .offset:         72
        .size:           4
        .value_kind:     hidden_block_count_z
      - .offset:         76
        .size:           2
        .value_kind:     hidden_group_size_x
      - .offset:         78
        .size:           2
        .value_kind:     hidden_group_size_y
      - .offset:         80
        .size:           2
        .value_kind:     hidden_group_size_z
      - .offset:         82
        .size:           2
        .value_kind:     hidden_remainder_x
      - .offset:         84
        .size:           2
        .value_kind:     hidden_remainder_y
      - .offset:         86
        .size:           2
        .value_kind:     hidden_remainder_z
      - .offset:         104
        .size:           8
        .value_kind:     hidden_global_offset_x
      - .offset:         112
        .size:           8
        .value_kind:     hidden_global_offset_y
      - .offset:         120
        .size:           8
        .value_kind:     hidden_global_offset_z
      - .offset:         128
        .size:           2
        .value_kind:     hidden_grid_dims
    .group_segment_fixed_size: 1568
    .kernarg_segment_align: 8
    .kernarg_segment_size: 320
    .language:       OpenCL C
    .language_version:
      - 2
      - 0
    .max_flat_workgroup_size: 128
    .name:           _ZN7rocprim17ROCPRIM_400000_NS6detail17trampoline_kernelINS0_14default_configENS1_38merge_sort_block_merge_config_selectorIbNS0_10empty_typeEEEZZNS1_27merge_sort_block_merge_implIS3_PbPS5_jNS1_19radix_merge_compareILb0ELb1EbNS0_19identity_decomposerEEEEE10hipError_tT0_T1_T2_jT3_P12ihipStream_tbPNSt15iterator_traitsISE_E10value_typeEPNSK_ISF_E10value_typeEPSG_NS1_7vsmem_tEENKUlT_SE_SF_SG_E_clIS8_S8_S9_S9_EESD_ST_SE_SF_SG_EUlST_E0_NS1_11comp_targetILNS1_3genE0ELNS1_11target_archE4294967295ELNS1_3gpuE0ELNS1_3repE0EEENS1_38merge_mergepath_config_static_selectorELNS0_4arch9wavefront6targetE0EEEvSF_
    .private_segment_fixed_size: 0
    .sgpr_count:     24
    .sgpr_spill_count: 0
    .symbol:         _ZN7rocprim17ROCPRIM_400000_NS6detail17trampoline_kernelINS0_14default_configENS1_38merge_sort_block_merge_config_selectorIbNS0_10empty_typeEEEZZNS1_27merge_sort_block_merge_implIS3_PbPS5_jNS1_19radix_merge_compareILb0ELb1EbNS0_19identity_decomposerEEEEE10hipError_tT0_T1_T2_jT3_P12ihipStream_tbPNSt15iterator_traitsISE_E10value_typeEPNSK_ISF_E10value_typeEPSG_NS1_7vsmem_tEENKUlT_SE_SF_SG_E_clIS8_S8_S9_S9_EESD_ST_SE_SF_SG_EUlST_E0_NS1_11comp_targetILNS1_3genE0ELNS1_11target_archE4294967295ELNS1_3gpuE0ELNS1_3repE0EEENS1_38merge_mergepath_config_static_selectorELNS0_4arch9wavefront6targetE0EEEvSF_.kd
    .uniform_work_group_size: 1
    .uses_dynamic_stack: false
    .vgpr_count:     26
    .vgpr_spill_count: 0
    .wavefront_size: 32
  - .args:
      - .offset:         0
        .size:           64
        .value_kind:     by_value
    .group_segment_fixed_size: 0
    .kernarg_segment_align: 8
    .kernarg_segment_size: 64
    .language:       OpenCL C
    .language_version:
      - 2
      - 0
    .max_flat_workgroup_size: 128
    .name:           _ZN7rocprim17ROCPRIM_400000_NS6detail17trampoline_kernelINS0_14default_configENS1_38merge_sort_block_merge_config_selectorIbNS0_10empty_typeEEEZZNS1_27merge_sort_block_merge_implIS3_PbPS5_jNS1_19radix_merge_compareILb0ELb1EbNS0_19identity_decomposerEEEEE10hipError_tT0_T1_T2_jT3_P12ihipStream_tbPNSt15iterator_traitsISE_E10value_typeEPNSK_ISF_E10value_typeEPSG_NS1_7vsmem_tEENKUlT_SE_SF_SG_E_clIS8_S8_S9_S9_EESD_ST_SE_SF_SG_EUlST_E0_NS1_11comp_targetILNS1_3genE10ELNS1_11target_archE1201ELNS1_3gpuE5ELNS1_3repE0EEENS1_38merge_mergepath_config_static_selectorELNS0_4arch9wavefront6targetE0EEEvSF_
    .private_segment_fixed_size: 0
    .sgpr_count:     0
    .sgpr_spill_count: 0
    .symbol:         _ZN7rocprim17ROCPRIM_400000_NS6detail17trampoline_kernelINS0_14default_configENS1_38merge_sort_block_merge_config_selectorIbNS0_10empty_typeEEEZZNS1_27merge_sort_block_merge_implIS3_PbPS5_jNS1_19radix_merge_compareILb0ELb1EbNS0_19identity_decomposerEEEEE10hipError_tT0_T1_T2_jT3_P12ihipStream_tbPNSt15iterator_traitsISE_E10value_typeEPNSK_ISF_E10value_typeEPSG_NS1_7vsmem_tEENKUlT_SE_SF_SG_E_clIS8_S8_S9_S9_EESD_ST_SE_SF_SG_EUlST_E0_NS1_11comp_targetILNS1_3genE10ELNS1_11target_archE1201ELNS1_3gpuE5ELNS1_3repE0EEENS1_38merge_mergepath_config_static_selectorELNS0_4arch9wavefront6targetE0EEEvSF_.kd
    .uniform_work_group_size: 1
    .uses_dynamic_stack: false
    .vgpr_count:     0
    .vgpr_spill_count: 0
    .wavefront_size: 32
  - .args:
      - .offset:         0
        .size:           64
        .value_kind:     by_value
    .group_segment_fixed_size: 0
    .kernarg_segment_align: 8
    .kernarg_segment_size: 64
    .language:       OpenCL C
    .language_version:
      - 2
      - 0
    .max_flat_workgroup_size: 128
    .name:           _ZN7rocprim17ROCPRIM_400000_NS6detail17trampoline_kernelINS0_14default_configENS1_38merge_sort_block_merge_config_selectorIbNS0_10empty_typeEEEZZNS1_27merge_sort_block_merge_implIS3_PbPS5_jNS1_19radix_merge_compareILb0ELb1EbNS0_19identity_decomposerEEEEE10hipError_tT0_T1_T2_jT3_P12ihipStream_tbPNSt15iterator_traitsISE_E10value_typeEPNSK_ISF_E10value_typeEPSG_NS1_7vsmem_tEENKUlT_SE_SF_SG_E_clIS8_S8_S9_S9_EESD_ST_SE_SF_SG_EUlST_E0_NS1_11comp_targetILNS1_3genE5ELNS1_11target_archE942ELNS1_3gpuE9ELNS1_3repE0EEENS1_38merge_mergepath_config_static_selectorELNS0_4arch9wavefront6targetE0EEEvSF_
    .private_segment_fixed_size: 0
    .sgpr_count:     0
    .sgpr_spill_count: 0
    .symbol:         _ZN7rocprim17ROCPRIM_400000_NS6detail17trampoline_kernelINS0_14default_configENS1_38merge_sort_block_merge_config_selectorIbNS0_10empty_typeEEEZZNS1_27merge_sort_block_merge_implIS3_PbPS5_jNS1_19radix_merge_compareILb0ELb1EbNS0_19identity_decomposerEEEEE10hipError_tT0_T1_T2_jT3_P12ihipStream_tbPNSt15iterator_traitsISE_E10value_typeEPNSK_ISF_E10value_typeEPSG_NS1_7vsmem_tEENKUlT_SE_SF_SG_E_clIS8_S8_S9_S9_EESD_ST_SE_SF_SG_EUlST_E0_NS1_11comp_targetILNS1_3genE5ELNS1_11target_archE942ELNS1_3gpuE9ELNS1_3repE0EEENS1_38merge_mergepath_config_static_selectorELNS0_4arch9wavefront6targetE0EEEvSF_.kd
    .uniform_work_group_size: 1
    .uses_dynamic_stack: false
    .vgpr_count:     0
    .vgpr_spill_count: 0
    .wavefront_size: 32
  - .args:
      - .offset:         0
        .size:           64
        .value_kind:     by_value
    .group_segment_fixed_size: 0
    .kernarg_segment_align: 8
    .kernarg_segment_size: 64
    .language:       OpenCL C
    .language_version:
      - 2
      - 0
    .max_flat_workgroup_size: 128
    .name:           _ZN7rocprim17ROCPRIM_400000_NS6detail17trampoline_kernelINS0_14default_configENS1_38merge_sort_block_merge_config_selectorIbNS0_10empty_typeEEEZZNS1_27merge_sort_block_merge_implIS3_PbPS5_jNS1_19radix_merge_compareILb0ELb1EbNS0_19identity_decomposerEEEEE10hipError_tT0_T1_T2_jT3_P12ihipStream_tbPNSt15iterator_traitsISE_E10value_typeEPNSK_ISF_E10value_typeEPSG_NS1_7vsmem_tEENKUlT_SE_SF_SG_E_clIS8_S8_S9_S9_EESD_ST_SE_SF_SG_EUlST_E0_NS1_11comp_targetILNS1_3genE4ELNS1_11target_archE910ELNS1_3gpuE8ELNS1_3repE0EEENS1_38merge_mergepath_config_static_selectorELNS0_4arch9wavefront6targetE0EEEvSF_
    .private_segment_fixed_size: 0
    .sgpr_count:     0
    .sgpr_spill_count: 0
    .symbol:         _ZN7rocprim17ROCPRIM_400000_NS6detail17trampoline_kernelINS0_14default_configENS1_38merge_sort_block_merge_config_selectorIbNS0_10empty_typeEEEZZNS1_27merge_sort_block_merge_implIS3_PbPS5_jNS1_19radix_merge_compareILb0ELb1EbNS0_19identity_decomposerEEEEE10hipError_tT0_T1_T2_jT3_P12ihipStream_tbPNSt15iterator_traitsISE_E10value_typeEPNSK_ISF_E10value_typeEPSG_NS1_7vsmem_tEENKUlT_SE_SF_SG_E_clIS8_S8_S9_S9_EESD_ST_SE_SF_SG_EUlST_E0_NS1_11comp_targetILNS1_3genE4ELNS1_11target_archE910ELNS1_3gpuE8ELNS1_3repE0EEENS1_38merge_mergepath_config_static_selectorELNS0_4arch9wavefront6targetE0EEEvSF_.kd
    .uniform_work_group_size: 1
    .uses_dynamic_stack: false
    .vgpr_count:     0
    .vgpr_spill_count: 0
    .wavefront_size: 32
  - .args:
      - .offset:         0
        .size:           64
        .value_kind:     by_value
    .group_segment_fixed_size: 0
    .kernarg_segment_align: 8
    .kernarg_segment_size: 64
    .language:       OpenCL C
    .language_version:
      - 2
      - 0
    .max_flat_workgroup_size: 128
    .name:           _ZN7rocprim17ROCPRIM_400000_NS6detail17trampoline_kernelINS0_14default_configENS1_38merge_sort_block_merge_config_selectorIbNS0_10empty_typeEEEZZNS1_27merge_sort_block_merge_implIS3_PbPS5_jNS1_19radix_merge_compareILb0ELb1EbNS0_19identity_decomposerEEEEE10hipError_tT0_T1_T2_jT3_P12ihipStream_tbPNSt15iterator_traitsISE_E10value_typeEPNSK_ISF_E10value_typeEPSG_NS1_7vsmem_tEENKUlT_SE_SF_SG_E_clIS8_S8_S9_S9_EESD_ST_SE_SF_SG_EUlST_E0_NS1_11comp_targetILNS1_3genE3ELNS1_11target_archE908ELNS1_3gpuE7ELNS1_3repE0EEENS1_38merge_mergepath_config_static_selectorELNS0_4arch9wavefront6targetE0EEEvSF_
    .private_segment_fixed_size: 0
    .sgpr_count:     0
    .sgpr_spill_count: 0
    .symbol:         _ZN7rocprim17ROCPRIM_400000_NS6detail17trampoline_kernelINS0_14default_configENS1_38merge_sort_block_merge_config_selectorIbNS0_10empty_typeEEEZZNS1_27merge_sort_block_merge_implIS3_PbPS5_jNS1_19radix_merge_compareILb0ELb1EbNS0_19identity_decomposerEEEEE10hipError_tT0_T1_T2_jT3_P12ihipStream_tbPNSt15iterator_traitsISE_E10value_typeEPNSK_ISF_E10value_typeEPSG_NS1_7vsmem_tEENKUlT_SE_SF_SG_E_clIS8_S8_S9_S9_EESD_ST_SE_SF_SG_EUlST_E0_NS1_11comp_targetILNS1_3genE3ELNS1_11target_archE908ELNS1_3gpuE7ELNS1_3repE0EEENS1_38merge_mergepath_config_static_selectorELNS0_4arch9wavefront6targetE0EEEvSF_.kd
    .uniform_work_group_size: 1
    .uses_dynamic_stack: false
    .vgpr_count:     0
    .vgpr_spill_count: 0
    .wavefront_size: 32
  - .args:
      - .offset:         0
        .size:           64
        .value_kind:     by_value
    .group_segment_fixed_size: 0
    .kernarg_segment_align: 8
    .kernarg_segment_size: 64
    .language:       OpenCL C
    .language_version:
      - 2
      - 0
    .max_flat_workgroup_size: 128
    .name:           _ZN7rocprim17ROCPRIM_400000_NS6detail17trampoline_kernelINS0_14default_configENS1_38merge_sort_block_merge_config_selectorIbNS0_10empty_typeEEEZZNS1_27merge_sort_block_merge_implIS3_PbPS5_jNS1_19radix_merge_compareILb0ELb1EbNS0_19identity_decomposerEEEEE10hipError_tT0_T1_T2_jT3_P12ihipStream_tbPNSt15iterator_traitsISE_E10value_typeEPNSK_ISF_E10value_typeEPSG_NS1_7vsmem_tEENKUlT_SE_SF_SG_E_clIS8_S8_S9_S9_EESD_ST_SE_SF_SG_EUlST_E0_NS1_11comp_targetILNS1_3genE2ELNS1_11target_archE906ELNS1_3gpuE6ELNS1_3repE0EEENS1_38merge_mergepath_config_static_selectorELNS0_4arch9wavefront6targetE0EEEvSF_
    .private_segment_fixed_size: 0
    .sgpr_count:     0
    .sgpr_spill_count: 0
    .symbol:         _ZN7rocprim17ROCPRIM_400000_NS6detail17trampoline_kernelINS0_14default_configENS1_38merge_sort_block_merge_config_selectorIbNS0_10empty_typeEEEZZNS1_27merge_sort_block_merge_implIS3_PbPS5_jNS1_19radix_merge_compareILb0ELb1EbNS0_19identity_decomposerEEEEE10hipError_tT0_T1_T2_jT3_P12ihipStream_tbPNSt15iterator_traitsISE_E10value_typeEPNSK_ISF_E10value_typeEPSG_NS1_7vsmem_tEENKUlT_SE_SF_SG_E_clIS8_S8_S9_S9_EESD_ST_SE_SF_SG_EUlST_E0_NS1_11comp_targetILNS1_3genE2ELNS1_11target_archE906ELNS1_3gpuE6ELNS1_3repE0EEENS1_38merge_mergepath_config_static_selectorELNS0_4arch9wavefront6targetE0EEEvSF_.kd
    .uniform_work_group_size: 1
    .uses_dynamic_stack: false
    .vgpr_count:     0
    .vgpr_spill_count: 0
    .wavefront_size: 32
  - .args:
      - .offset:         0
        .size:           64
        .value_kind:     by_value
    .group_segment_fixed_size: 0
    .kernarg_segment_align: 8
    .kernarg_segment_size: 64
    .language:       OpenCL C
    .language_version:
      - 2
      - 0
    .max_flat_workgroup_size: 128
    .name:           _ZN7rocprim17ROCPRIM_400000_NS6detail17trampoline_kernelINS0_14default_configENS1_38merge_sort_block_merge_config_selectorIbNS0_10empty_typeEEEZZNS1_27merge_sort_block_merge_implIS3_PbPS5_jNS1_19radix_merge_compareILb0ELb1EbNS0_19identity_decomposerEEEEE10hipError_tT0_T1_T2_jT3_P12ihipStream_tbPNSt15iterator_traitsISE_E10value_typeEPNSK_ISF_E10value_typeEPSG_NS1_7vsmem_tEENKUlT_SE_SF_SG_E_clIS8_S8_S9_S9_EESD_ST_SE_SF_SG_EUlST_E0_NS1_11comp_targetILNS1_3genE9ELNS1_11target_archE1100ELNS1_3gpuE3ELNS1_3repE0EEENS1_38merge_mergepath_config_static_selectorELNS0_4arch9wavefront6targetE0EEEvSF_
    .private_segment_fixed_size: 0
    .sgpr_count:     0
    .sgpr_spill_count: 0
    .symbol:         _ZN7rocprim17ROCPRIM_400000_NS6detail17trampoline_kernelINS0_14default_configENS1_38merge_sort_block_merge_config_selectorIbNS0_10empty_typeEEEZZNS1_27merge_sort_block_merge_implIS3_PbPS5_jNS1_19radix_merge_compareILb0ELb1EbNS0_19identity_decomposerEEEEE10hipError_tT0_T1_T2_jT3_P12ihipStream_tbPNSt15iterator_traitsISE_E10value_typeEPNSK_ISF_E10value_typeEPSG_NS1_7vsmem_tEENKUlT_SE_SF_SG_E_clIS8_S8_S9_S9_EESD_ST_SE_SF_SG_EUlST_E0_NS1_11comp_targetILNS1_3genE9ELNS1_11target_archE1100ELNS1_3gpuE3ELNS1_3repE0EEENS1_38merge_mergepath_config_static_selectorELNS0_4arch9wavefront6targetE0EEEvSF_.kd
    .uniform_work_group_size: 1
    .uses_dynamic_stack: false
    .vgpr_count:     0
    .vgpr_spill_count: 0
    .wavefront_size: 32
  - .args:
      - .offset:         0
        .size:           64
        .value_kind:     by_value
    .group_segment_fixed_size: 0
    .kernarg_segment_align: 8
    .kernarg_segment_size: 64
    .language:       OpenCL C
    .language_version:
      - 2
      - 0
    .max_flat_workgroup_size: 128
    .name:           _ZN7rocprim17ROCPRIM_400000_NS6detail17trampoline_kernelINS0_14default_configENS1_38merge_sort_block_merge_config_selectorIbNS0_10empty_typeEEEZZNS1_27merge_sort_block_merge_implIS3_PbPS5_jNS1_19radix_merge_compareILb0ELb1EbNS0_19identity_decomposerEEEEE10hipError_tT0_T1_T2_jT3_P12ihipStream_tbPNSt15iterator_traitsISE_E10value_typeEPNSK_ISF_E10value_typeEPSG_NS1_7vsmem_tEENKUlT_SE_SF_SG_E_clIS8_S8_S9_S9_EESD_ST_SE_SF_SG_EUlST_E0_NS1_11comp_targetILNS1_3genE8ELNS1_11target_archE1030ELNS1_3gpuE2ELNS1_3repE0EEENS1_38merge_mergepath_config_static_selectorELNS0_4arch9wavefront6targetE0EEEvSF_
    .private_segment_fixed_size: 0
    .sgpr_count:     0
    .sgpr_spill_count: 0
    .symbol:         _ZN7rocprim17ROCPRIM_400000_NS6detail17trampoline_kernelINS0_14default_configENS1_38merge_sort_block_merge_config_selectorIbNS0_10empty_typeEEEZZNS1_27merge_sort_block_merge_implIS3_PbPS5_jNS1_19radix_merge_compareILb0ELb1EbNS0_19identity_decomposerEEEEE10hipError_tT0_T1_T2_jT3_P12ihipStream_tbPNSt15iterator_traitsISE_E10value_typeEPNSK_ISF_E10value_typeEPSG_NS1_7vsmem_tEENKUlT_SE_SF_SG_E_clIS8_S8_S9_S9_EESD_ST_SE_SF_SG_EUlST_E0_NS1_11comp_targetILNS1_3genE8ELNS1_11target_archE1030ELNS1_3gpuE2ELNS1_3repE0EEENS1_38merge_mergepath_config_static_selectorELNS0_4arch9wavefront6targetE0EEEvSF_.kd
    .uniform_work_group_size: 1
    .uses_dynamic_stack: false
    .vgpr_count:     0
    .vgpr_spill_count: 0
    .wavefront_size: 32
  - .args:
      - .offset:         0
        .size:           48
        .value_kind:     by_value
    .group_segment_fixed_size: 256
    .kernarg_segment_align: 8
    .kernarg_segment_size: 48
    .language:       OpenCL C
    .language_version:
      - 2
      - 0
    .max_flat_workgroup_size: 256
    .name:           _ZN7rocprim17ROCPRIM_400000_NS6detail17trampoline_kernelINS0_14default_configENS1_38merge_sort_block_merge_config_selectorIbNS0_10empty_typeEEEZZNS1_27merge_sort_block_merge_implIS3_PbPS5_jNS1_19radix_merge_compareILb0ELb1EbNS0_19identity_decomposerEEEEE10hipError_tT0_T1_T2_jT3_P12ihipStream_tbPNSt15iterator_traitsISE_E10value_typeEPNSK_ISF_E10value_typeEPSG_NS1_7vsmem_tEENKUlT_SE_SF_SG_E_clIS8_S8_S9_S9_EESD_ST_SE_SF_SG_EUlST_E1_NS1_11comp_targetILNS1_3genE0ELNS1_11target_archE4294967295ELNS1_3gpuE0ELNS1_3repE0EEENS1_36merge_oddeven_config_static_selectorELNS0_4arch9wavefront6targetE0EEEvSF_
    .private_segment_fixed_size: 0
    .sgpr_count:     17
    .sgpr_spill_count: 0
    .symbol:         _ZN7rocprim17ROCPRIM_400000_NS6detail17trampoline_kernelINS0_14default_configENS1_38merge_sort_block_merge_config_selectorIbNS0_10empty_typeEEEZZNS1_27merge_sort_block_merge_implIS3_PbPS5_jNS1_19radix_merge_compareILb0ELb1EbNS0_19identity_decomposerEEEEE10hipError_tT0_T1_T2_jT3_P12ihipStream_tbPNSt15iterator_traitsISE_E10value_typeEPNSK_ISF_E10value_typeEPSG_NS1_7vsmem_tEENKUlT_SE_SF_SG_E_clIS8_S8_S9_S9_EESD_ST_SE_SF_SG_EUlST_E1_NS1_11comp_targetILNS1_3genE0ELNS1_11target_archE4294967295ELNS1_3gpuE0ELNS1_3repE0EEENS1_36merge_oddeven_config_static_selectorELNS0_4arch9wavefront6targetE0EEEvSF_.kd
    .uniform_work_group_size: 1
    .uses_dynamic_stack: false
    .vgpr_count:     10
    .vgpr_spill_count: 0
    .wavefront_size: 32
  - .args:
      - .offset:         0
        .size:           48
        .value_kind:     by_value
    .group_segment_fixed_size: 0
    .kernarg_segment_align: 8
    .kernarg_segment_size: 48
    .language:       OpenCL C
    .language_version:
      - 2
      - 0
    .max_flat_workgroup_size: 256
    .name:           _ZN7rocprim17ROCPRIM_400000_NS6detail17trampoline_kernelINS0_14default_configENS1_38merge_sort_block_merge_config_selectorIbNS0_10empty_typeEEEZZNS1_27merge_sort_block_merge_implIS3_PbPS5_jNS1_19radix_merge_compareILb0ELb1EbNS0_19identity_decomposerEEEEE10hipError_tT0_T1_T2_jT3_P12ihipStream_tbPNSt15iterator_traitsISE_E10value_typeEPNSK_ISF_E10value_typeEPSG_NS1_7vsmem_tEENKUlT_SE_SF_SG_E_clIS8_S8_S9_S9_EESD_ST_SE_SF_SG_EUlST_E1_NS1_11comp_targetILNS1_3genE10ELNS1_11target_archE1201ELNS1_3gpuE5ELNS1_3repE0EEENS1_36merge_oddeven_config_static_selectorELNS0_4arch9wavefront6targetE0EEEvSF_
    .private_segment_fixed_size: 0
    .sgpr_count:     0
    .sgpr_spill_count: 0
    .symbol:         _ZN7rocprim17ROCPRIM_400000_NS6detail17trampoline_kernelINS0_14default_configENS1_38merge_sort_block_merge_config_selectorIbNS0_10empty_typeEEEZZNS1_27merge_sort_block_merge_implIS3_PbPS5_jNS1_19radix_merge_compareILb0ELb1EbNS0_19identity_decomposerEEEEE10hipError_tT0_T1_T2_jT3_P12ihipStream_tbPNSt15iterator_traitsISE_E10value_typeEPNSK_ISF_E10value_typeEPSG_NS1_7vsmem_tEENKUlT_SE_SF_SG_E_clIS8_S8_S9_S9_EESD_ST_SE_SF_SG_EUlST_E1_NS1_11comp_targetILNS1_3genE10ELNS1_11target_archE1201ELNS1_3gpuE5ELNS1_3repE0EEENS1_36merge_oddeven_config_static_selectorELNS0_4arch9wavefront6targetE0EEEvSF_.kd
    .uniform_work_group_size: 1
    .uses_dynamic_stack: false
    .vgpr_count:     0
    .vgpr_spill_count: 0
    .wavefront_size: 32
  - .args:
      - .offset:         0
        .size:           48
        .value_kind:     by_value
    .group_segment_fixed_size: 0
    .kernarg_segment_align: 8
    .kernarg_segment_size: 48
    .language:       OpenCL C
    .language_version:
      - 2
      - 0
    .max_flat_workgroup_size: 256
    .name:           _ZN7rocprim17ROCPRIM_400000_NS6detail17trampoline_kernelINS0_14default_configENS1_38merge_sort_block_merge_config_selectorIbNS0_10empty_typeEEEZZNS1_27merge_sort_block_merge_implIS3_PbPS5_jNS1_19radix_merge_compareILb0ELb1EbNS0_19identity_decomposerEEEEE10hipError_tT0_T1_T2_jT3_P12ihipStream_tbPNSt15iterator_traitsISE_E10value_typeEPNSK_ISF_E10value_typeEPSG_NS1_7vsmem_tEENKUlT_SE_SF_SG_E_clIS8_S8_S9_S9_EESD_ST_SE_SF_SG_EUlST_E1_NS1_11comp_targetILNS1_3genE5ELNS1_11target_archE942ELNS1_3gpuE9ELNS1_3repE0EEENS1_36merge_oddeven_config_static_selectorELNS0_4arch9wavefront6targetE0EEEvSF_
    .private_segment_fixed_size: 0
    .sgpr_count:     0
    .sgpr_spill_count: 0
    .symbol:         _ZN7rocprim17ROCPRIM_400000_NS6detail17trampoline_kernelINS0_14default_configENS1_38merge_sort_block_merge_config_selectorIbNS0_10empty_typeEEEZZNS1_27merge_sort_block_merge_implIS3_PbPS5_jNS1_19radix_merge_compareILb0ELb1EbNS0_19identity_decomposerEEEEE10hipError_tT0_T1_T2_jT3_P12ihipStream_tbPNSt15iterator_traitsISE_E10value_typeEPNSK_ISF_E10value_typeEPSG_NS1_7vsmem_tEENKUlT_SE_SF_SG_E_clIS8_S8_S9_S9_EESD_ST_SE_SF_SG_EUlST_E1_NS1_11comp_targetILNS1_3genE5ELNS1_11target_archE942ELNS1_3gpuE9ELNS1_3repE0EEENS1_36merge_oddeven_config_static_selectorELNS0_4arch9wavefront6targetE0EEEvSF_.kd
    .uniform_work_group_size: 1
    .uses_dynamic_stack: false
    .vgpr_count:     0
    .vgpr_spill_count: 0
    .wavefront_size: 32
  - .args:
      - .offset:         0
        .size:           48
        .value_kind:     by_value
    .group_segment_fixed_size: 0
    .kernarg_segment_align: 8
    .kernarg_segment_size: 48
    .language:       OpenCL C
    .language_version:
      - 2
      - 0
    .max_flat_workgroup_size: 256
    .name:           _ZN7rocprim17ROCPRIM_400000_NS6detail17trampoline_kernelINS0_14default_configENS1_38merge_sort_block_merge_config_selectorIbNS0_10empty_typeEEEZZNS1_27merge_sort_block_merge_implIS3_PbPS5_jNS1_19radix_merge_compareILb0ELb1EbNS0_19identity_decomposerEEEEE10hipError_tT0_T1_T2_jT3_P12ihipStream_tbPNSt15iterator_traitsISE_E10value_typeEPNSK_ISF_E10value_typeEPSG_NS1_7vsmem_tEENKUlT_SE_SF_SG_E_clIS8_S8_S9_S9_EESD_ST_SE_SF_SG_EUlST_E1_NS1_11comp_targetILNS1_3genE4ELNS1_11target_archE910ELNS1_3gpuE8ELNS1_3repE0EEENS1_36merge_oddeven_config_static_selectorELNS0_4arch9wavefront6targetE0EEEvSF_
    .private_segment_fixed_size: 0
    .sgpr_count:     0
    .sgpr_spill_count: 0
    .symbol:         _ZN7rocprim17ROCPRIM_400000_NS6detail17trampoline_kernelINS0_14default_configENS1_38merge_sort_block_merge_config_selectorIbNS0_10empty_typeEEEZZNS1_27merge_sort_block_merge_implIS3_PbPS5_jNS1_19radix_merge_compareILb0ELb1EbNS0_19identity_decomposerEEEEE10hipError_tT0_T1_T2_jT3_P12ihipStream_tbPNSt15iterator_traitsISE_E10value_typeEPNSK_ISF_E10value_typeEPSG_NS1_7vsmem_tEENKUlT_SE_SF_SG_E_clIS8_S8_S9_S9_EESD_ST_SE_SF_SG_EUlST_E1_NS1_11comp_targetILNS1_3genE4ELNS1_11target_archE910ELNS1_3gpuE8ELNS1_3repE0EEENS1_36merge_oddeven_config_static_selectorELNS0_4arch9wavefront6targetE0EEEvSF_.kd
    .uniform_work_group_size: 1
    .uses_dynamic_stack: false
    .vgpr_count:     0
    .vgpr_spill_count: 0
    .wavefront_size: 32
  - .args:
      - .offset:         0
        .size:           48
        .value_kind:     by_value
    .group_segment_fixed_size: 0
    .kernarg_segment_align: 8
    .kernarg_segment_size: 48
    .language:       OpenCL C
    .language_version:
      - 2
      - 0
    .max_flat_workgroup_size: 256
    .name:           _ZN7rocprim17ROCPRIM_400000_NS6detail17trampoline_kernelINS0_14default_configENS1_38merge_sort_block_merge_config_selectorIbNS0_10empty_typeEEEZZNS1_27merge_sort_block_merge_implIS3_PbPS5_jNS1_19radix_merge_compareILb0ELb1EbNS0_19identity_decomposerEEEEE10hipError_tT0_T1_T2_jT3_P12ihipStream_tbPNSt15iterator_traitsISE_E10value_typeEPNSK_ISF_E10value_typeEPSG_NS1_7vsmem_tEENKUlT_SE_SF_SG_E_clIS8_S8_S9_S9_EESD_ST_SE_SF_SG_EUlST_E1_NS1_11comp_targetILNS1_3genE3ELNS1_11target_archE908ELNS1_3gpuE7ELNS1_3repE0EEENS1_36merge_oddeven_config_static_selectorELNS0_4arch9wavefront6targetE0EEEvSF_
    .private_segment_fixed_size: 0
    .sgpr_count:     0
    .sgpr_spill_count: 0
    .symbol:         _ZN7rocprim17ROCPRIM_400000_NS6detail17trampoline_kernelINS0_14default_configENS1_38merge_sort_block_merge_config_selectorIbNS0_10empty_typeEEEZZNS1_27merge_sort_block_merge_implIS3_PbPS5_jNS1_19radix_merge_compareILb0ELb1EbNS0_19identity_decomposerEEEEE10hipError_tT0_T1_T2_jT3_P12ihipStream_tbPNSt15iterator_traitsISE_E10value_typeEPNSK_ISF_E10value_typeEPSG_NS1_7vsmem_tEENKUlT_SE_SF_SG_E_clIS8_S8_S9_S9_EESD_ST_SE_SF_SG_EUlST_E1_NS1_11comp_targetILNS1_3genE3ELNS1_11target_archE908ELNS1_3gpuE7ELNS1_3repE0EEENS1_36merge_oddeven_config_static_selectorELNS0_4arch9wavefront6targetE0EEEvSF_.kd
    .uniform_work_group_size: 1
    .uses_dynamic_stack: false
    .vgpr_count:     0
    .vgpr_spill_count: 0
    .wavefront_size: 32
  - .args:
      - .offset:         0
        .size:           48
        .value_kind:     by_value
    .group_segment_fixed_size: 0
    .kernarg_segment_align: 8
    .kernarg_segment_size: 48
    .language:       OpenCL C
    .language_version:
      - 2
      - 0
    .max_flat_workgroup_size: 256
    .name:           _ZN7rocprim17ROCPRIM_400000_NS6detail17trampoline_kernelINS0_14default_configENS1_38merge_sort_block_merge_config_selectorIbNS0_10empty_typeEEEZZNS1_27merge_sort_block_merge_implIS3_PbPS5_jNS1_19radix_merge_compareILb0ELb1EbNS0_19identity_decomposerEEEEE10hipError_tT0_T1_T2_jT3_P12ihipStream_tbPNSt15iterator_traitsISE_E10value_typeEPNSK_ISF_E10value_typeEPSG_NS1_7vsmem_tEENKUlT_SE_SF_SG_E_clIS8_S8_S9_S9_EESD_ST_SE_SF_SG_EUlST_E1_NS1_11comp_targetILNS1_3genE2ELNS1_11target_archE906ELNS1_3gpuE6ELNS1_3repE0EEENS1_36merge_oddeven_config_static_selectorELNS0_4arch9wavefront6targetE0EEEvSF_
    .private_segment_fixed_size: 0
    .sgpr_count:     0
    .sgpr_spill_count: 0
    .symbol:         _ZN7rocprim17ROCPRIM_400000_NS6detail17trampoline_kernelINS0_14default_configENS1_38merge_sort_block_merge_config_selectorIbNS0_10empty_typeEEEZZNS1_27merge_sort_block_merge_implIS3_PbPS5_jNS1_19radix_merge_compareILb0ELb1EbNS0_19identity_decomposerEEEEE10hipError_tT0_T1_T2_jT3_P12ihipStream_tbPNSt15iterator_traitsISE_E10value_typeEPNSK_ISF_E10value_typeEPSG_NS1_7vsmem_tEENKUlT_SE_SF_SG_E_clIS8_S8_S9_S9_EESD_ST_SE_SF_SG_EUlST_E1_NS1_11comp_targetILNS1_3genE2ELNS1_11target_archE906ELNS1_3gpuE6ELNS1_3repE0EEENS1_36merge_oddeven_config_static_selectorELNS0_4arch9wavefront6targetE0EEEvSF_.kd
    .uniform_work_group_size: 1
    .uses_dynamic_stack: false
    .vgpr_count:     0
    .vgpr_spill_count: 0
    .wavefront_size: 32
  - .args:
      - .offset:         0
        .size:           48
        .value_kind:     by_value
    .group_segment_fixed_size: 0
    .kernarg_segment_align: 8
    .kernarg_segment_size: 48
    .language:       OpenCL C
    .language_version:
      - 2
      - 0
    .max_flat_workgroup_size: 256
    .name:           _ZN7rocprim17ROCPRIM_400000_NS6detail17trampoline_kernelINS0_14default_configENS1_38merge_sort_block_merge_config_selectorIbNS0_10empty_typeEEEZZNS1_27merge_sort_block_merge_implIS3_PbPS5_jNS1_19radix_merge_compareILb0ELb1EbNS0_19identity_decomposerEEEEE10hipError_tT0_T1_T2_jT3_P12ihipStream_tbPNSt15iterator_traitsISE_E10value_typeEPNSK_ISF_E10value_typeEPSG_NS1_7vsmem_tEENKUlT_SE_SF_SG_E_clIS8_S8_S9_S9_EESD_ST_SE_SF_SG_EUlST_E1_NS1_11comp_targetILNS1_3genE9ELNS1_11target_archE1100ELNS1_3gpuE3ELNS1_3repE0EEENS1_36merge_oddeven_config_static_selectorELNS0_4arch9wavefront6targetE0EEEvSF_
    .private_segment_fixed_size: 0
    .sgpr_count:     0
    .sgpr_spill_count: 0
    .symbol:         _ZN7rocprim17ROCPRIM_400000_NS6detail17trampoline_kernelINS0_14default_configENS1_38merge_sort_block_merge_config_selectorIbNS0_10empty_typeEEEZZNS1_27merge_sort_block_merge_implIS3_PbPS5_jNS1_19radix_merge_compareILb0ELb1EbNS0_19identity_decomposerEEEEE10hipError_tT0_T1_T2_jT3_P12ihipStream_tbPNSt15iterator_traitsISE_E10value_typeEPNSK_ISF_E10value_typeEPSG_NS1_7vsmem_tEENKUlT_SE_SF_SG_E_clIS8_S8_S9_S9_EESD_ST_SE_SF_SG_EUlST_E1_NS1_11comp_targetILNS1_3genE9ELNS1_11target_archE1100ELNS1_3gpuE3ELNS1_3repE0EEENS1_36merge_oddeven_config_static_selectorELNS0_4arch9wavefront6targetE0EEEvSF_.kd
    .uniform_work_group_size: 1
    .uses_dynamic_stack: false
    .vgpr_count:     0
    .vgpr_spill_count: 0
    .wavefront_size: 32
  - .args:
      - .offset:         0
        .size:           48
        .value_kind:     by_value
    .group_segment_fixed_size: 0
    .kernarg_segment_align: 8
    .kernarg_segment_size: 48
    .language:       OpenCL C
    .language_version:
      - 2
      - 0
    .max_flat_workgroup_size: 256
    .name:           _ZN7rocprim17ROCPRIM_400000_NS6detail17trampoline_kernelINS0_14default_configENS1_38merge_sort_block_merge_config_selectorIbNS0_10empty_typeEEEZZNS1_27merge_sort_block_merge_implIS3_PbPS5_jNS1_19radix_merge_compareILb0ELb1EbNS0_19identity_decomposerEEEEE10hipError_tT0_T1_T2_jT3_P12ihipStream_tbPNSt15iterator_traitsISE_E10value_typeEPNSK_ISF_E10value_typeEPSG_NS1_7vsmem_tEENKUlT_SE_SF_SG_E_clIS8_S8_S9_S9_EESD_ST_SE_SF_SG_EUlST_E1_NS1_11comp_targetILNS1_3genE8ELNS1_11target_archE1030ELNS1_3gpuE2ELNS1_3repE0EEENS1_36merge_oddeven_config_static_selectorELNS0_4arch9wavefront6targetE0EEEvSF_
    .private_segment_fixed_size: 0
    .sgpr_count:     0
    .sgpr_spill_count: 0
    .symbol:         _ZN7rocprim17ROCPRIM_400000_NS6detail17trampoline_kernelINS0_14default_configENS1_38merge_sort_block_merge_config_selectorIbNS0_10empty_typeEEEZZNS1_27merge_sort_block_merge_implIS3_PbPS5_jNS1_19radix_merge_compareILb0ELb1EbNS0_19identity_decomposerEEEEE10hipError_tT0_T1_T2_jT3_P12ihipStream_tbPNSt15iterator_traitsISE_E10value_typeEPNSK_ISF_E10value_typeEPSG_NS1_7vsmem_tEENKUlT_SE_SF_SG_E_clIS8_S8_S9_S9_EESD_ST_SE_SF_SG_EUlST_E1_NS1_11comp_targetILNS1_3genE8ELNS1_11target_archE1030ELNS1_3gpuE2ELNS1_3repE0EEENS1_36merge_oddeven_config_static_selectorELNS0_4arch9wavefront6targetE0EEEvSF_.kd
    .uniform_work_group_size: 1
    .uses_dynamic_stack: false
    .vgpr_count:     0
    .vgpr_spill_count: 0
    .wavefront_size: 32
  - .args:
      - .offset:         0
        .size:           48
        .value_kind:     by_value
    .group_segment_fixed_size: 512
    .kernarg_segment_align: 8
    .kernarg_segment_size: 48
    .language:       OpenCL C
    .language_version:
      - 2
      - 0
    .max_flat_workgroup_size: 1024
    .name:           _ZN7rocprim17ROCPRIM_400000_NS6detail17trampoline_kernelINS0_14default_configENS1_35radix_sort_onesweep_config_selectorIbNS0_10empty_typeEEEZNS1_34radix_sort_onesweep_global_offsetsIS3_Lb0EPKbPS5_mNS0_19identity_decomposerEEE10hipError_tT1_T2_PT3_SF_jT4_jjP12ihipStream_tbEUlT_E_NS1_11comp_targetILNS1_3genE0ELNS1_11target_archE4294967295ELNS1_3gpuE0ELNS1_3repE0EEENS1_52radix_sort_onesweep_histogram_config_static_selectorELNS0_4arch9wavefront6targetE0EEEvSD_
    .private_segment_fixed_size: 0
    .sgpr_count:     15
    .sgpr_spill_count: 0
    .symbol:         _ZN7rocprim17ROCPRIM_400000_NS6detail17trampoline_kernelINS0_14default_configENS1_35radix_sort_onesweep_config_selectorIbNS0_10empty_typeEEEZNS1_34radix_sort_onesweep_global_offsetsIS3_Lb0EPKbPS5_mNS0_19identity_decomposerEEE10hipError_tT1_T2_PT3_SF_jT4_jjP12ihipStream_tbEUlT_E_NS1_11comp_targetILNS1_3genE0ELNS1_11target_archE4294967295ELNS1_3gpuE0ELNS1_3repE0EEENS1_52radix_sort_onesweep_histogram_config_static_selectorELNS0_4arch9wavefront6targetE0EEEvSD_.kd
    .uniform_work_group_size: 1
    .uses_dynamic_stack: false
    .vgpr_count:     47
    .vgpr_spill_count: 0
    .wavefront_size: 32
  - .args:
      - .offset:         0
        .size:           48
        .value_kind:     by_value
    .group_segment_fixed_size: 0
    .kernarg_segment_align: 8
    .kernarg_segment_size: 48
    .language:       OpenCL C
    .language_version:
      - 2
      - 0
    .max_flat_workgroup_size: 1024
    .name:           _ZN7rocprim17ROCPRIM_400000_NS6detail17trampoline_kernelINS0_14default_configENS1_35radix_sort_onesweep_config_selectorIbNS0_10empty_typeEEEZNS1_34radix_sort_onesweep_global_offsetsIS3_Lb0EPKbPS5_mNS0_19identity_decomposerEEE10hipError_tT1_T2_PT3_SF_jT4_jjP12ihipStream_tbEUlT_E_NS1_11comp_targetILNS1_3genE6ELNS1_11target_archE950ELNS1_3gpuE13ELNS1_3repE0EEENS1_52radix_sort_onesweep_histogram_config_static_selectorELNS0_4arch9wavefront6targetE0EEEvSD_
    .private_segment_fixed_size: 0
    .sgpr_count:     0
    .sgpr_spill_count: 0
    .symbol:         _ZN7rocprim17ROCPRIM_400000_NS6detail17trampoline_kernelINS0_14default_configENS1_35radix_sort_onesweep_config_selectorIbNS0_10empty_typeEEEZNS1_34radix_sort_onesweep_global_offsetsIS3_Lb0EPKbPS5_mNS0_19identity_decomposerEEE10hipError_tT1_T2_PT3_SF_jT4_jjP12ihipStream_tbEUlT_E_NS1_11comp_targetILNS1_3genE6ELNS1_11target_archE950ELNS1_3gpuE13ELNS1_3repE0EEENS1_52radix_sort_onesweep_histogram_config_static_selectorELNS0_4arch9wavefront6targetE0EEEvSD_.kd
    .uniform_work_group_size: 1
    .uses_dynamic_stack: false
    .vgpr_count:     0
    .vgpr_spill_count: 0
    .wavefront_size: 32
  - .args:
      - .offset:         0
        .size:           48
        .value_kind:     by_value
    .group_segment_fixed_size: 0
    .kernarg_segment_align: 8
    .kernarg_segment_size: 48
    .language:       OpenCL C
    .language_version:
      - 2
      - 0
    .max_flat_workgroup_size: 1024
    .name:           _ZN7rocprim17ROCPRIM_400000_NS6detail17trampoline_kernelINS0_14default_configENS1_35radix_sort_onesweep_config_selectorIbNS0_10empty_typeEEEZNS1_34radix_sort_onesweep_global_offsetsIS3_Lb0EPKbPS5_mNS0_19identity_decomposerEEE10hipError_tT1_T2_PT3_SF_jT4_jjP12ihipStream_tbEUlT_E_NS1_11comp_targetILNS1_3genE5ELNS1_11target_archE942ELNS1_3gpuE9ELNS1_3repE0EEENS1_52radix_sort_onesweep_histogram_config_static_selectorELNS0_4arch9wavefront6targetE0EEEvSD_
    .private_segment_fixed_size: 0
    .sgpr_count:     0
    .sgpr_spill_count: 0
    .symbol:         _ZN7rocprim17ROCPRIM_400000_NS6detail17trampoline_kernelINS0_14default_configENS1_35radix_sort_onesweep_config_selectorIbNS0_10empty_typeEEEZNS1_34radix_sort_onesweep_global_offsetsIS3_Lb0EPKbPS5_mNS0_19identity_decomposerEEE10hipError_tT1_T2_PT3_SF_jT4_jjP12ihipStream_tbEUlT_E_NS1_11comp_targetILNS1_3genE5ELNS1_11target_archE942ELNS1_3gpuE9ELNS1_3repE0EEENS1_52radix_sort_onesweep_histogram_config_static_selectorELNS0_4arch9wavefront6targetE0EEEvSD_.kd
    .uniform_work_group_size: 1
    .uses_dynamic_stack: false
    .vgpr_count:     0
    .vgpr_spill_count: 0
    .wavefront_size: 32
  - .args:
      - .offset:         0
        .size:           48
        .value_kind:     by_value
    .group_segment_fixed_size: 0
    .kernarg_segment_align: 8
    .kernarg_segment_size: 48
    .language:       OpenCL C
    .language_version:
      - 2
      - 0
    .max_flat_workgroup_size: 512
    .name:           _ZN7rocprim17ROCPRIM_400000_NS6detail17trampoline_kernelINS0_14default_configENS1_35radix_sort_onesweep_config_selectorIbNS0_10empty_typeEEEZNS1_34radix_sort_onesweep_global_offsetsIS3_Lb0EPKbPS5_mNS0_19identity_decomposerEEE10hipError_tT1_T2_PT3_SF_jT4_jjP12ihipStream_tbEUlT_E_NS1_11comp_targetILNS1_3genE2ELNS1_11target_archE906ELNS1_3gpuE6ELNS1_3repE0EEENS1_52radix_sort_onesweep_histogram_config_static_selectorELNS0_4arch9wavefront6targetE0EEEvSD_
    .private_segment_fixed_size: 0
    .sgpr_count:     0
    .sgpr_spill_count: 0
    .symbol:         _ZN7rocprim17ROCPRIM_400000_NS6detail17trampoline_kernelINS0_14default_configENS1_35radix_sort_onesweep_config_selectorIbNS0_10empty_typeEEEZNS1_34radix_sort_onesweep_global_offsetsIS3_Lb0EPKbPS5_mNS0_19identity_decomposerEEE10hipError_tT1_T2_PT3_SF_jT4_jjP12ihipStream_tbEUlT_E_NS1_11comp_targetILNS1_3genE2ELNS1_11target_archE906ELNS1_3gpuE6ELNS1_3repE0EEENS1_52radix_sort_onesweep_histogram_config_static_selectorELNS0_4arch9wavefront6targetE0EEEvSD_.kd
    .uniform_work_group_size: 1
    .uses_dynamic_stack: false
    .vgpr_count:     0
    .vgpr_spill_count: 0
    .wavefront_size: 32
  - .args:
      - .offset:         0
        .size:           48
        .value_kind:     by_value
    .group_segment_fixed_size: 0
    .kernarg_segment_align: 8
    .kernarg_segment_size: 48
    .language:       OpenCL C
    .language_version:
      - 2
      - 0
    .max_flat_workgroup_size: 512
    .name:           _ZN7rocprim17ROCPRIM_400000_NS6detail17trampoline_kernelINS0_14default_configENS1_35radix_sort_onesweep_config_selectorIbNS0_10empty_typeEEEZNS1_34radix_sort_onesweep_global_offsetsIS3_Lb0EPKbPS5_mNS0_19identity_decomposerEEE10hipError_tT1_T2_PT3_SF_jT4_jjP12ihipStream_tbEUlT_E_NS1_11comp_targetILNS1_3genE4ELNS1_11target_archE910ELNS1_3gpuE8ELNS1_3repE0EEENS1_52radix_sort_onesweep_histogram_config_static_selectorELNS0_4arch9wavefront6targetE0EEEvSD_
    .private_segment_fixed_size: 0
    .sgpr_count:     0
    .sgpr_spill_count: 0
    .symbol:         _ZN7rocprim17ROCPRIM_400000_NS6detail17trampoline_kernelINS0_14default_configENS1_35radix_sort_onesweep_config_selectorIbNS0_10empty_typeEEEZNS1_34radix_sort_onesweep_global_offsetsIS3_Lb0EPKbPS5_mNS0_19identity_decomposerEEE10hipError_tT1_T2_PT3_SF_jT4_jjP12ihipStream_tbEUlT_E_NS1_11comp_targetILNS1_3genE4ELNS1_11target_archE910ELNS1_3gpuE8ELNS1_3repE0EEENS1_52radix_sort_onesweep_histogram_config_static_selectorELNS0_4arch9wavefront6targetE0EEEvSD_.kd
    .uniform_work_group_size: 1
    .uses_dynamic_stack: false
    .vgpr_count:     0
    .vgpr_spill_count: 0
    .wavefront_size: 32
  - .args:
      - .offset:         0
        .size:           48
        .value_kind:     by_value
    .group_segment_fixed_size: 0
    .kernarg_segment_align: 8
    .kernarg_segment_size: 48
    .language:       OpenCL C
    .language_version:
      - 2
      - 0
    .max_flat_workgroup_size: 1024
    .name:           _ZN7rocprim17ROCPRIM_400000_NS6detail17trampoline_kernelINS0_14default_configENS1_35radix_sort_onesweep_config_selectorIbNS0_10empty_typeEEEZNS1_34radix_sort_onesweep_global_offsetsIS3_Lb0EPKbPS5_mNS0_19identity_decomposerEEE10hipError_tT1_T2_PT3_SF_jT4_jjP12ihipStream_tbEUlT_E_NS1_11comp_targetILNS1_3genE3ELNS1_11target_archE908ELNS1_3gpuE7ELNS1_3repE0EEENS1_52radix_sort_onesweep_histogram_config_static_selectorELNS0_4arch9wavefront6targetE0EEEvSD_
    .private_segment_fixed_size: 0
    .sgpr_count:     0
    .sgpr_spill_count: 0
    .symbol:         _ZN7rocprim17ROCPRIM_400000_NS6detail17trampoline_kernelINS0_14default_configENS1_35radix_sort_onesweep_config_selectorIbNS0_10empty_typeEEEZNS1_34radix_sort_onesweep_global_offsetsIS3_Lb0EPKbPS5_mNS0_19identity_decomposerEEE10hipError_tT1_T2_PT3_SF_jT4_jjP12ihipStream_tbEUlT_E_NS1_11comp_targetILNS1_3genE3ELNS1_11target_archE908ELNS1_3gpuE7ELNS1_3repE0EEENS1_52radix_sort_onesweep_histogram_config_static_selectorELNS0_4arch9wavefront6targetE0EEEvSD_.kd
    .uniform_work_group_size: 1
    .uses_dynamic_stack: false
    .vgpr_count:     0
    .vgpr_spill_count: 0
    .wavefront_size: 32
  - .args:
      - .offset:         0
        .size:           48
        .value_kind:     by_value
    .group_segment_fixed_size: 0
    .kernarg_segment_align: 8
    .kernarg_segment_size: 48
    .language:       OpenCL C
    .language_version:
      - 2
      - 0
    .max_flat_workgroup_size: 256
    .name:           _ZN7rocprim17ROCPRIM_400000_NS6detail17trampoline_kernelINS0_14default_configENS1_35radix_sort_onesweep_config_selectorIbNS0_10empty_typeEEEZNS1_34radix_sort_onesweep_global_offsetsIS3_Lb0EPKbPS5_mNS0_19identity_decomposerEEE10hipError_tT1_T2_PT3_SF_jT4_jjP12ihipStream_tbEUlT_E_NS1_11comp_targetILNS1_3genE10ELNS1_11target_archE1201ELNS1_3gpuE5ELNS1_3repE0EEENS1_52radix_sort_onesweep_histogram_config_static_selectorELNS0_4arch9wavefront6targetE0EEEvSD_
    .private_segment_fixed_size: 0
    .sgpr_count:     0
    .sgpr_spill_count: 0
    .symbol:         _ZN7rocprim17ROCPRIM_400000_NS6detail17trampoline_kernelINS0_14default_configENS1_35radix_sort_onesweep_config_selectorIbNS0_10empty_typeEEEZNS1_34radix_sort_onesweep_global_offsetsIS3_Lb0EPKbPS5_mNS0_19identity_decomposerEEE10hipError_tT1_T2_PT3_SF_jT4_jjP12ihipStream_tbEUlT_E_NS1_11comp_targetILNS1_3genE10ELNS1_11target_archE1201ELNS1_3gpuE5ELNS1_3repE0EEENS1_52radix_sort_onesweep_histogram_config_static_selectorELNS0_4arch9wavefront6targetE0EEEvSD_.kd
    .uniform_work_group_size: 1
    .uses_dynamic_stack: false
    .vgpr_count:     0
    .vgpr_spill_count: 0
    .wavefront_size: 32
  - .args:
      - .offset:         0
        .size:           48
        .value_kind:     by_value
    .group_segment_fixed_size: 0
    .kernarg_segment_align: 8
    .kernarg_segment_size: 48
    .language:       OpenCL C
    .language_version:
      - 2
      - 0
    .max_flat_workgroup_size: 256
    .name:           _ZN7rocprim17ROCPRIM_400000_NS6detail17trampoline_kernelINS0_14default_configENS1_35radix_sort_onesweep_config_selectorIbNS0_10empty_typeEEEZNS1_34radix_sort_onesweep_global_offsetsIS3_Lb0EPKbPS5_mNS0_19identity_decomposerEEE10hipError_tT1_T2_PT3_SF_jT4_jjP12ihipStream_tbEUlT_E_NS1_11comp_targetILNS1_3genE9ELNS1_11target_archE1100ELNS1_3gpuE3ELNS1_3repE0EEENS1_52radix_sort_onesweep_histogram_config_static_selectorELNS0_4arch9wavefront6targetE0EEEvSD_
    .private_segment_fixed_size: 0
    .sgpr_count:     0
    .sgpr_spill_count: 0
    .symbol:         _ZN7rocprim17ROCPRIM_400000_NS6detail17trampoline_kernelINS0_14default_configENS1_35radix_sort_onesweep_config_selectorIbNS0_10empty_typeEEEZNS1_34radix_sort_onesweep_global_offsetsIS3_Lb0EPKbPS5_mNS0_19identity_decomposerEEE10hipError_tT1_T2_PT3_SF_jT4_jjP12ihipStream_tbEUlT_E_NS1_11comp_targetILNS1_3genE9ELNS1_11target_archE1100ELNS1_3gpuE3ELNS1_3repE0EEENS1_52radix_sort_onesweep_histogram_config_static_selectorELNS0_4arch9wavefront6targetE0EEEvSD_.kd
    .uniform_work_group_size: 1
    .uses_dynamic_stack: false
    .vgpr_count:     0
    .vgpr_spill_count: 0
    .wavefront_size: 32
  - .args:
      - .offset:         0
        .size:           48
        .value_kind:     by_value
    .group_segment_fixed_size: 0
    .kernarg_segment_align: 8
    .kernarg_segment_size: 48
    .language:       OpenCL C
    .language_version:
      - 2
      - 0
    .max_flat_workgroup_size: 256
    .name:           _ZN7rocprim17ROCPRIM_400000_NS6detail17trampoline_kernelINS0_14default_configENS1_35radix_sort_onesweep_config_selectorIbNS0_10empty_typeEEEZNS1_34radix_sort_onesweep_global_offsetsIS3_Lb0EPKbPS5_mNS0_19identity_decomposerEEE10hipError_tT1_T2_PT3_SF_jT4_jjP12ihipStream_tbEUlT_E_NS1_11comp_targetILNS1_3genE8ELNS1_11target_archE1030ELNS1_3gpuE2ELNS1_3repE0EEENS1_52radix_sort_onesweep_histogram_config_static_selectorELNS0_4arch9wavefront6targetE0EEEvSD_
    .private_segment_fixed_size: 0
    .sgpr_count:     0
    .sgpr_spill_count: 0
    .symbol:         _ZN7rocprim17ROCPRIM_400000_NS6detail17trampoline_kernelINS0_14default_configENS1_35radix_sort_onesweep_config_selectorIbNS0_10empty_typeEEEZNS1_34radix_sort_onesweep_global_offsetsIS3_Lb0EPKbPS5_mNS0_19identity_decomposerEEE10hipError_tT1_T2_PT3_SF_jT4_jjP12ihipStream_tbEUlT_E_NS1_11comp_targetILNS1_3genE8ELNS1_11target_archE1030ELNS1_3gpuE2ELNS1_3repE0EEENS1_52radix_sort_onesweep_histogram_config_static_selectorELNS0_4arch9wavefront6targetE0EEEvSD_.kd
    .uniform_work_group_size: 1
    .uses_dynamic_stack: false
    .vgpr_count:     0
    .vgpr_spill_count: 0
    .wavefront_size: 32
  - .args:
      - .address_space:  global
        .offset:         0
        .size:           8
        .value_kind:     global_buffer
    .group_segment_fixed_size: 256
    .kernarg_segment_align: 8
    .kernarg_segment_size: 8
    .language:       OpenCL C
    .language_version:
      - 2
      - 0
    .max_flat_workgroup_size: 1024
    .name:           _ZN7rocprim17ROCPRIM_400000_NS6detail17trampoline_kernelINS0_14default_configENS1_35radix_sort_onesweep_config_selectorIbNS0_10empty_typeEEEZNS1_34radix_sort_onesweep_global_offsetsIS3_Lb0EPKbPS5_mNS0_19identity_decomposerEEE10hipError_tT1_T2_PT3_SF_jT4_jjP12ihipStream_tbEUlT_E0_NS1_11comp_targetILNS1_3genE0ELNS1_11target_archE4294967295ELNS1_3gpuE0ELNS1_3repE0EEENS1_52radix_sort_onesweep_histogram_config_static_selectorELNS0_4arch9wavefront6targetE0EEEvSD_
    .private_segment_fixed_size: 0
    .sgpr_count:     12
    .sgpr_spill_count: 0
    .symbol:         _ZN7rocprim17ROCPRIM_400000_NS6detail17trampoline_kernelINS0_14default_configENS1_35radix_sort_onesweep_config_selectorIbNS0_10empty_typeEEEZNS1_34radix_sort_onesweep_global_offsetsIS3_Lb0EPKbPS5_mNS0_19identity_decomposerEEE10hipError_tT1_T2_PT3_SF_jT4_jjP12ihipStream_tbEUlT_E0_NS1_11comp_targetILNS1_3genE0ELNS1_11target_archE4294967295ELNS1_3gpuE0ELNS1_3repE0EEENS1_52radix_sort_onesweep_histogram_config_static_selectorELNS0_4arch9wavefront6targetE0EEEvSD_.kd
    .uniform_work_group_size: 1
    .uses_dynamic_stack: false
    .vgpr_count:     14
    .vgpr_spill_count: 0
    .wavefront_size: 32
  - .args:
      - .address_space:  global
        .offset:         0
        .size:           8
        .value_kind:     global_buffer
    .group_segment_fixed_size: 0
    .kernarg_segment_align: 8
    .kernarg_segment_size: 8
    .language:       OpenCL C
    .language_version:
      - 2
      - 0
    .max_flat_workgroup_size: 1024
    .name:           _ZN7rocprim17ROCPRIM_400000_NS6detail17trampoline_kernelINS0_14default_configENS1_35radix_sort_onesweep_config_selectorIbNS0_10empty_typeEEEZNS1_34radix_sort_onesweep_global_offsetsIS3_Lb0EPKbPS5_mNS0_19identity_decomposerEEE10hipError_tT1_T2_PT3_SF_jT4_jjP12ihipStream_tbEUlT_E0_NS1_11comp_targetILNS1_3genE6ELNS1_11target_archE950ELNS1_3gpuE13ELNS1_3repE0EEENS1_52radix_sort_onesweep_histogram_config_static_selectorELNS0_4arch9wavefront6targetE0EEEvSD_
    .private_segment_fixed_size: 0
    .sgpr_count:     0
    .sgpr_spill_count: 0
    .symbol:         _ZN7rocprim17ROCPRIM_400000_NS6detail17trampoline_kernelINS0_14default_configENS1_35radix_sort_onesweep_config_selectorIbNS0_10empty_typeEEEZNS1_34radix_sort_onesweep_global_offsetsIS3_Lb0EPKbPS5_mNS0_19identity_decomposerEEE10hipError_tT1_T2_PT3_SF_jT4_jjP12ihipStream_tbEUlT_E0_NS1_11comp_targetILNS1_3genE6ELNS1_11target_archE950ELNS1_3gpuE13ELNS1_3repE0EEENS1_52radix_sort_onesweep_histogram_config_static_selectorELNS0_4arch9wavefront6targetE0EEEvSD_.kd
    .uniform_work_group_size: 1
    .uses_dynamic_stack: false
    .vgpr_count:     0
    .vgpr_spill_count: 0
    .wavefront_size: 32
  - .args:
      - .address_space:  global
        .offset:         0
        .size:           8
        .value_kind:     global_buffer
    .group_segment_fixed_size: 0
    .kernarg_segment_align: 8
    .kernarg_segment_size: 8
    .language:       OpenCL C
    .language_version:
      - 2
      - 0
    .max_flat_workgroup_size: 1024
    .name:           _ZN7rocprim17ROCPRIM_400000_NS6detail17trampoline_kernelINS0_14default_configENS1_35radix_sort_onesweep_config_selectorIbNS0_10empty_typeEEEZNS1_34radix_sort_onesweep_global_offsetsIS3_Lb0EPKbPS5_mNS0_19identity_decomposerEEE10hipError_tT1_T2_PT3_SF_jT4_jjP12ihipStream_tbEUlT_E0_NS1_11comp_targetILNS1_3genE5ELNS1_11target_archE942ELNS1_3gpuE9ELNS1_3repE0EEENS1_52radix_sort_onesweep_histogram_config_static_selectorELNS0_4arch9wavefront6targetE0EEEvSD_
    .private_segment_fixed_size: 0
    .sgpr_count:     0
    .sgpr_spill_count: 0
    .symbol:         _ZN7rocprim17ROCPRIM_400000_NS6detail17trampoline_kernelINS0_14default_configENS1_35radix_sort_onesweep_config_selectorIbNS0_10empty_typeEEEZNS1_34radix_sort_onesweep_global_offsetsIS3_Lb0EPKbPS5_mNS0_19identity_decomposerEEE10hipError_tT1_T2_PT3_SF_jT4_jjP12ihipStream_tbEUlT_E0_NS1_11comp_targetILNS1_3genE5ELNS1_11target_archE942ELNS1_3gpuE9ELNS1_3repE0EEENS1_52radix_sort_onesweep_histogram_config_static_selectorELNS0_4arch9wavefront6targetE0EEEvSD_.kd
    .uniform_work_group_size: 1
    .uses_dynamic_stack: false
    .vgpr_count:     0
    .vgpr_spill_count: 0
    .wavefront_size: 32
  - .args:
      - .address_space:  global
        .offset:         0
        .size:           8
        .value_kind:     global_buffer
    .group_segment_fixed_size: 0
    .kernarg_segment_align: 8
    .kernarg_segment_size: 8
    .language:       OpenCL C
    .language_version:
      - 2
      - 0
    .max_flat_workgroup_size: 512
    .name:           _ZN7rocprim17ROCPRIM_400000_NS6detail17trampoline_kernelINS0_14default_configENS1_35radix_sort_onesweep_config_selectorIbNS0_10empty_typeEEEZNS1_34radix_sort_onesweep_global_offsetsIS3_Lb0EPKbPS5_mNS0_19identity_decomposerEEE10hipError_tT1_T2_PT3_SF_jT4_jjP12ihipStream_tbEUlT_E0_NS1_11comp_targetILNS1_3genE2ELNS1_11target_archE906ELNS1_3gpuE6ELNS1_3repE0EEENS1_52radix_sort_onesweep_histogram_config_static_selectorELNS0_4arch9wavefront6targetE0EEEvSD_
    .private_segment_fixed_size: 0
    .sgpr_count:     0
    .sgpr_spill_count: 0
    .symbol:         _ZN7rocprim17ROCPRIM_400000_NS6detail17trampoline_kernelINS0_14default_configENS1_35radix_sort_onesweep_config_selectorIbNS0_10empty_typeEEEZNS1_34radix_sort_onesweep_global_offsetsIS3_Lb0EPKbPS5_mNS0_19identity_decomposerEEE10hipError_tT1_T2_PT3_SF_jT4_jjP12ihipStream_tbEUlT_E0_NS1_11comp_targetILNS1_3genE2ELNS1_11target_archE906ELNS1_3gpuE6ELNS1_3repE0EEENS1_52radix_sort_onesweep_histogram_config_static_selectorELNS0_4arch9wavefront6targetE0EEEvSD_.kd
    .uniform_work_group_size: 1
    .uses_dynamic_stack: false
    .vgpr_count:     0
    .vgpr_spill_count: 0
    .wavefront_size: 32
  - .args:
      - .address_space:  global
        .offset:         0
        .size:           8
        .value_kind:     global_buffer
    .group_segment_fixed_size: 0
    .kernarg_segment_align: 8
    .kernarg_segment_size: 8
    .language:       OpenCL C
    .language_version:
      - 2
      - 0
    .max_flat_workgroup_size: 512
    .name:           _ZN7rocprim17ROCPRIM_400000_NS6detail17trampoline_kernelINS0_14default_configENS1_35radix_sort_onesweep_config_selectorIbNS0_10empty_typeEEEZNS1_34radix_sort_onesweep_global_offsetsIS3_Lb0EPKbPS5_mNS0_19identity_decomposerEEE10hipError_tT1_T2_PT3_SF_jT4_jjP12ihipStream_tbEUlT_E0_NS1_11comp_targetILNS1_3genE4ELNS1_11target_archE910ELNS1_3gpuE8ELNS1_3repE0EEENS1_52radix_sort_onesweep_histogram_config_static_selectorELNS0_4arch9wavefront6targetE0EEEvSD_
    .private_segment_fixed_size: 0
    .sgpr_count:     0
    .sgpr_spill_count: 0
    .symbol:         _ZN7rocprim17ROCPRIM_400000_NS6detail17trampoline_kernelINS0_14default_configENS1_35radix_sort_onesweep_config_selectorIbNS0_10empty_typeEEEZNS1_34radix_sort_onesweep_global_offsetsIS3_Lb0EPKbPS5_mNS0_19identity_decomposerEEE10hipError_tT1_T2_PT3_SF_jT4_jjP12ihipStream_tbEUlT_E0_NS1_11comp_targetILNS1_3genE4ELNS1_11target_archE910ELNS1_3gpuE8ELNS1_3repE0EEENS1_52radix_sort_onesweep_histogram_config_static_selectorELNS0_4arch9wavefront6targetE0EEEvSD_.kd
    .uniform_work_group_size: 1
    .uses_dynamic_stack: false
    .vgpr_count:     0
    .vgpr_spill_count: 0
    .wavefront_size: 32
  - .args:
      - .address_space:  global
        .offset:         0
        .size:           8
        .value_kind:     global_buffer
    .group_segment_fixed_size: 0
    .kernarg_segment_align: 8
    .kernarg_segment_size: 8
    .language:       OpenCL C
    .language_version:
      - 2
      - 0
    .max_flat_workgroup_size: 1024
    .name:           _ZN7rocprim17ROCPRIM_400000_NS6detail17trampoline_kernelINS0_14default_configENS1_35radix_sort_onesweep_config_selectorIbNS0_10empty_typeEEEZNS1_34radix_sort_onesweep_global_offsetsIS3_Lb0EPKbPS5_mNS0_19identity_decomposerEEE10hipError_tT1_T2_PT3_SF_jT4_jjP12ihipStream_tbEUlT_E0_NS1_11comp_targetILNS1_3genE3ELNS1_11target_archE908ELNS1_3gpuE7ELNS1_3repE0EEENS1_52radix_sort_onesweep_histogram_config_static_selectorELNS0_4arch9wavefront6targetE0EEEvSD_
    .private_segment_fixed_size: 0
    .sgpr_count:     0
    .sgpr_spill_count: 0
    .symbol:         _ZN7rocprim17ROCPRIM_400000_NS6detail17trampoline_kernelINS0_14default_configENS1_35radix_sort_onesweep_config_selectorIbNS0_10empty_typeEEEZNS1_34radix_sort_onesweep_global_offsetsIS3_Lb0EPKbPS5_mNS0_19identity_decomposerEEE10hipError_tT1_T2_PT3_SF_jT4_jjP12ihipStream_tbEUlT_E0_NS1_11comp_targetILNS1_3genE3ELNS1_11target_archE908ELNS1_3gpuE7ELNS1_3repE0EEENS1_52radix_sort_onesweep_histogram_config_static_selectorELNS0_4arch9wavefront6targetE0EEEvSD_.kd
    .uniform_work_group_size: 1
    .uses_dynamic_stack: false
    .vgpr_count:     0
    .vgpr_spill_count: 0
    .wavefront_size: 32
  - .args:
      - .address_space:  global
        .offset:         0
        .size:           8
        .value_kind:     global_buffer
    .group_segment_fixed_size: 0
    .kernarg_segment_align: 8
    .kernarg_segment_size: 8
    .language:       OpenCL C
    .language_version:
      - 2
      - 0
    .max_flat_workgroup_size: 256
    .name:           _ZN7rocprim17ROCPRIM_400000_NS6detail17trampoline_kernelINS0_14default_configENS1_35radix_sort_onesweep_config_selectorIbNS0_10empty_typeEEEZNS1_34radix_sort_onesweep_global_offsetsIS3_Lb0EPKbPS5_mNS0_19identity_decomposerEEE10hipError_tT1_T2_PT3_SF_jT4_jjP12ihipStream_tbEUlT_E0_NS1_11comp_targetILNS1_3genE10ELNS1_11target_archE1201ELNS1_3gpuE5ELNS1_3repE0EEENS1_52radix_sort_onesweep_histogram_config_static_selectorELNS0_4arch9wavefront6targetE0EEEvSD_
    .private_segment_fixed_size: 0
    .sgpr_count:     0
    .sgpr_spill_count: 0
    .symbol:         _ZN7rocprim17ROCPRIM_400000_NS6detail17trampoline_kernelINS0_14default_configENS1_35radix_sort_onesweep_config_selectorIbNS0_10empty_typeEEEZNS1_34radix_sort_onesweep_global_offsetsIS3_Lb0EPKbPS5_mNS0_19identity_decomposerEEE10hipError_tT1_T2_PT3_SF_jT4_jjP12ihipStream_tbEUlT_E0_NS1_11comp_targetILNS1_3genE10ELNS1_11target_archE1201ELNS1_3gpuE5ELNS1_3repE0EEENS1_52radix_sort_onesweep_histogram_config_static_selectorELNS0_4arch9wavefront6targetE0EEEvSD_.kd
    .uniform_work_group_size: 1
    .uses_dynamic_stack: false
    .vgpr_count:     0
    .vgpr_spill_count: 0
    .wavefront_size: 32
  - .args:
      - .address_space:  global
        .offset:         0
        .size:           8
        .value_kind:     global_buffer
    .group_segment_fixed_size: 0
    .kernarg_segment_align: 8
    .kernarg_segment_size: 8
    .language:       OpenCL C
    .language_version:
      - 2
      - 0
    .max_flat_workgroup_size: 256
    .name:           _ZN7rocprim17ROCPRIM_400000_NS6detail17trampoline_kernelINS0_14default_configENS1_35radix_sort_onesweep_config_selectorIbNS0_10empty_typeEEEZNS1_34radix_sort_onesweep_global_offsetsIS3_Lb0EPKbPS5_mNS0_19identity_decomposerEEE10hipError_tT1_T2_PT3_SF_jT4_jjP12ihipStream_tbEUlT_E0_NS1_11comp_targetILNS1_3genE9ELNS1_11target_archE1100ELNS1_3gpuE3ELNS1_3repE0EEENS1_52radix_sort_onesweep_histogram_config_static_selectorELNS0_4arch9wavefront6targetE0EEEvSD_
    .private_segment_fixed_size: 0
    .sgpr_count:     0
    .sgpr_spill_count: 0
    .symbol:         _ZN7rocprim17ROCPRIM_400000_NS6detail17trampoline_kernelINS0_14default_configENS1_35radix_sort_onesweep_config_selectorIbNS0_10empty_typeEEEZNS1_34radix_sort_onesweep_global_offsetsIS3_Lb0EPKbPS5_mNS0_19identity_decomposerEEE10hipError_tT1_T2_PT3_SF_jT4_jjP12ihipStream_tbEUlT_E0_NS1_11comp_targetILNS1_3genE9ELNS1_11target_archE1100ELNS1_3gpuE3ELNS1_3repE0EEENS1_52radix_sort_onesweep_histogram_config_static_selectorELNS0_4arch9wavefront6targetE0EEEvSD_.kd
    .uniform_work_group_size: 1
    .uses_dynamic_stack: false
    .vgpr_count:     0
    .vgpr_spill_count: 0
    .wavefront_size: 32
  - .args:
      - .address_space:  global
        .offset:         0
        .size:           8
        .value_kind:     global_buffer
    .group_segment_fixed_size: 0
    .kernarg_segment_align: 8
    .kernarg_segment_size: 8
    .language:       OpenCL C
    .language_version:
      - 2
      - 0
    .max_flat_workgroup_size: 256
    .name:           _ZN7rocprim17ROCPRIM_400000_NS6detail17trampoline_kernelINS0_14default_configENS1_35radix_sort_onesweep_config_selectorIbNS0_10empty_typeEEEZNS1_34radix_sort_onesweep_global_offsetsIS3_Lb0EPKbPS5_mNS0_19identity_decomposerEEE10hipError_tT1_T2_PT3_SF_jT4_jjP12ihipStream_tbEUlT_E0_NS1_11comp_targetILNS1_3genE8ELNS1_11target_archE1030ELNS1_3gpuE2ELNS1_3repE0EEENS1_52radix_sort_onesweep_histogram_config_static_selectorELNS0_4arch9wavefront6targetE0EEEvSD_
    .private_segment_fixed_size: 0
    .sgpr_count:     0
    .sgpr_spill_count: 0
    .symbol:         _ZN7rocprim17ROCPRIM_400000_NS6detail17trampoline_kernelINS0_14default_configENS1_35radix_sort_onesweep_config_selectorIbNS0_10empty_typeEEEZNS1_34radix_sort_onesweep_global_offsetsIS3_Lb0EPKbPS5_mNS0_19identity_decomposerEEE10hipError_tT1_T2_PT3_SF_jT4_jjP12ihipStream_tbEUlT_E0_NS1_11comp_targetILNS1_3genE8ELNS1_11target_archE1030ELNS1_3gpuE2ELNS1_3repE0EEENS1_52radix_sort_onesweep_histogram_config_static_selectorELNS0_4arch9wavefront6targetE0EEEvSD_.kd
    .uniform_work_group_size: 1
    .uses_dynamic_stack: false
    .vgpr_count:     0
    .vgpr_spill_count: 0
    .wavefront_size: 32
  - .args:
      - .offset:         0
        .size:           88
        .value_kind:     by_value
      - .offset:         88
        .size:           4
        .value_kind:     hidden_block_count_x
      - .offset:         92
        .size:           4
        .value_kind:     hidden_block_count_y
      - .offset:         96
        .size:           4
        .value_kind:     hidden_block_count_z
      - .offset:         100
        .size:           2
        .value_kind:     hidden_group_size_x
      - .offset:         102
        .size:           2
        .value_kind:     hidden_group_size_y
      - .offset:         104
        .size:           2
        .value_kind:     hidden_group_size_z
      - .offset:         106
        .size:           2
        .value_kind:     hidden_remainder_x
      - .offset:         108
        .size:           2
        .value_kind:     hidden_remainder_y
      - .offset:         110
        .size:           2
        .value_kind:     hidden_remainder_z
      - .offset:         128
        .size:           8
        .value_kind:     hidden_global_offset_x
      - .offset:         136
        .size:           8
        .value_kind:     hidden_global_offset_y
      - .offset:         144
        .size:           8
        .value_kind:     hidden_global_offset_z
      - .offset:         152
        .size:           2
        .value_kind:     hidden_grid_dims
    .group_segment_fixed_size: 32904
    .kernarg_segment_align: 8
    .kernarg_segment_size: 344
    .language:       OpenCL C
    .language_version:
      - 2
      - 0
    .max_flat_workgroup_size: 1024
    .name:           _ZN7rocprim17ROCPRIM_400000_NS6detail17trampoline_kernelINS0_14default_configENS1_35radix_sort_onesweep_config_selectorIbNS0_10empty_typeEEEZZNS1_29radix_sort_onesweep_iterationIS3_Lb0EPKbPbPS5_SB_mNS0_19identity_decomposerENS1_16block_id_wrapperIjLb1EEEEE10hipError_tT1_PNSt15iterator_traitsISG_E10value_typeET2_T3_PNSH_ISM_E10value_typeET4_T5_PSR_SS_PNS1_23onesweep_lookback_stateEbbT6_jjT7_P12ihipStream_tbENKUlT_T0_SG_SL_E_clIS9_SA_SB_SB_EEDaSZ_S10_SG_SL_EUlSZ_E_NS1_11comp_targetILNS1_3genE0ELNS1_11target_archE4294967295ELNS1_3gpuE0ELNS1_3repE0EEENS1_47radix_sort_onesweep_sort_config_static_selectorELNS0_4arch9wavefront6targetE0EEEvSG_
    .private_segment_fixed_size: 0
    .sgpr_count:     27
    .sgpr_spill_count: 0
    .symbol:         _ZN7rocprim17ROCPRIM_400000_NS6detail17trampoline_kernelINS0_14default_configENS1_35radix_sort_onesweep_config_selectorIbNS0_10empty_typeEEEZZNS1_29radix_sort_onesweep_iterationIS3_Lb0EPKbPbPS5_SB_mNS0_19identity_decomposerENS1_16block_id_wrapperIjLb1EEEEE10hipError_tT1_PNSt15iterator_traitsISG_E10value_typeET2_T3_PNSH_ISM_E10value_typeET4_T5_PSR_SS_PNS1_23onesweep_lookback_stateEbbT6_jjT7_P12ihipStream_tbENKUlT_T0_SG_SL_E_clIS9_SA_SB_SB_EEDaSZ_S10_SG_SL_EUlSZ_E_NS1_11comp_targetILNS1_3genE0ELNS1_11target_archE4294967295ELNS1_3gpuE0ELNS1_3repE0EEENS1_47radix_sort_onesweep_sort_config_static_selectorELNS0_4arch9wavefront6targetE0EEEvSG_.kd
    .uniform_work_group_size: 1
    .uses_dynamic_stack: false
    .vgpr_count:     79
    .vgpr_spill_count: 0
    .wavefront_size: 32
  - .args:
      - .offset:         0
        .size:           88
        .value_kind:     by_value
    .group_segment_fixed_size: 0
    .kernarg_segment_align: 8
    .kernarg_segment_size: 88
    .language:       OpenCL C
    .language_version:
      - 2
      - 0
    .max_flat_workgroup_size: 1024
    .name:           _ZN7rocprim17ROCPRIM_400000_NS6detail17trampoline_kernelINS0_14default_configENS1_35radix_sort_onesweep_config_selectorIbNS0_10empty_typeEEEZZNS1_29radix_sort_onesweep_iterationIS3_Lb0EPKbPbPS5_SB_mNS0_19identity_decomposerENS1_16block_id_wrapperIjLb1EEEEE10hipError_tT1_PNSt15iterator_traitsISG_E10value_typeET2_T3_PNSH_ISM_E10value_typeET4_T5_PSR_SS_PNS1_23onesweep_lookback_stateEbbT6_jjT7_P12ihipStream_tbENKUlT_T0_SG_SL_E_clIS9_SA_SB_SB_EEDaSZ_S10_SG_SL_EUlSZ_E_NS1_11comp_targetILNS1_3genE6ELNS1_11target_archE950ELNS1_3gpuE13ELNS1_3repE0EEENS1_47radix_sort_onesweep_sort_config_static_selectorELNS0_4arch9wavefront6targetE0EEEvSG_
    .private_segment_fixed_size: 0
    .sgpr_count:     0
    .sgpr_spill_count: 0
    .symbol:         _ZN7rocprim17ROCPRIM_400000_NS6detail17trampoline_kernelINS0_14default_configENS1_35radix_sort_onesweep_config_selectorIbNS0_10empty_typeEEEZZNS1_29radix_sort_onesweep_iterationIS3_Lb0EPKbPbPS5_SB_mNS0_19identity_decomposerENS1_16block_id_wrapperIjLb1EEEEE10hipError_tT1_PNSt15iterator_traitsISG_E10value_typeET2_T3_PNSH_ISM_E10value_typeET4_T5_PSR_SS_PNS1_23onesweep_lookback_stateEbbT6_jjT7_P12ihipStream_tbENKUlT_T0_SG_SL_E_clIS9_SA_SB_SB_EEDaSZ_S10_SG_SL_EUlSZ_E_NS1_11comp_targetILNS1_3genE6ELNS1_11target_archE950ELNS1_3gpuE13ELNS1_3repE0EEENS1_47radix_sort_onesweep_sort_config_static_selectorELNS0_4arch9wavefront6targetE0EEEvSG_.kd
    .uniform_work_group_size: 1
    .uses_dynamic_stack: false
    .vgpr_count:     0
    .vgpr_spill_count: 0
    .wavefront_size: 32
  - .args:
      - .offset:         0
        .size:           88
        .value_kind:     by_value
    .group_segment_fixed_size: 0
    .kernarg_segment_align: 8
    .kernarg_segment_size: 88
    .language:       OpenCL C
    .language_version:
      - 2
      - 0
    .max_flat_workgroup_size: 1024
    .name:           _ZN7rocprim17ROCPRIM_400000_NS6detail17trampoline_kernelINS0_14default_configENS1_35radix_sort_onesweep_config_selectorIbNS0_10empty_typeEEEZZNS1_29radix_sort_onesweep_iterationIS3_Lb0EPKbPbPS5_SB_mNS0_19identity_decomposerENS1_16block_id_wrapperIjLb1EEEEE10hipError_tT1_PNSt15iterator_traitsISG_E10value_typeET2_T3_PNSH_ISM_E10value_typeET4_T5_PSR_SS_PNS1_23onesweep_lookback_stateEbbT6_jjT7_P12ihipStream_tbENKUlT_T0_SG_SL_E_clIS9_SA_SB_SB_EEDaSZ_S10_SG_SL_EUlSZ_E_NS1_11comp_targetILNS1_3genE5ELNS1_11target_archE942ELNS1_3gpuE9ELNS1_3repE0EEENS1_47radix_sort_onesweep_sort_config_static_selectorELNS0_4arch9wavefront6targetE0EEEvSG_
    .private_segment_fixed_size: 0
    .sgpr_count:     0
    .sgpr_spill_count: 0
    .symbol:         _ZN7rocprim17ROCPRIM_400000_NS6detail17trampoline_kernelINS0_14default_configENS1_35radix_sort_onesweep_config_selectorIbNS0_10empty_typeEEEZZNS1_29radix_sort_onesweep_iterationIS3_Lb0EPKbPbPS5_SB_mNS0_19identity_decomposerENS1_16block_id_wrapperIjLb1EEEEE10hipError_tT1_PNSt15iterator_traitsISG_E10value_typeET2_T3_PNSH_ISM_E10value_typeET4_T5_PSR_SS_PNS1_23onesweep_lookback_stateEbbT6_jjT7_P12ihipStream_tbENKUlT_T0_SG_SL_E_clIS9_SA_SB_SB_EEDaSZ_S10_SG_SL_EUlSZ_E_NS1_11comp_targetILNS1_3genE5ELNS1_11target_archE942ELNS1_3gpuE9ELNS1_3repE0EEENS1_47radix_sort_onesweep_sort_config_static_selectorELNS0_4arch9wavefront6targetE0EEEvSG_.kd
    .uniform_work_group_size: 1
    .uses_dynamic_stack: false
    .vgpr_count:     0
    .vgpr_spill_count: 0
    .wavefront_size: 32
  - .args:
      - .offset:         0
        .size:           88
        .value_kind:     by_value
    .group_segment_fixed_size: 0
    .kernarg_segment_align: 8
    .kernarg_segment_size: 88
    .language:       OpenCL C
    .language_version:
      - 2
      - 0
    .max_flat_workgroup_size: 512
    .name:           _ZN7rocprim17ROCPRIM_400000_NS6detail17trampoline_kernelINS0_14default_configENS1_35radix_sort_onesweep_config_selectorIbNS0_10empty_typeEEEZZNS1_29radix_sort_onesweep_iterationIS3_Lb0EPKbPbPS5_SB_mNS0_19identity_decomposerENS1_16block_id_wrapperIjLb1EEEEE10hipError_tT1_PNSt15iterator_traitsISG_E10value_typeET2_T3_PNSH_ISM_E10value_typeET4_T5_PSR_SS_PNS1_23onesweep_lookback_stateEbbT6_jjT7_P12ihipStream_tbENKUlT_T0_SG_SL_E_clIS9_SA_SB_SB_EEDaSZ_S10_SG_SL_EUlSZ_E_NS1_11comp_targetILNS1_3genE2ELNS1_11target_archE906ELNS1_3gpuE6ELNS1_3repE0EEENS1_47radix_sort_onesweep_sort_config_static_selectorELNS0_4arch9wavefront6targetE0EEEvSG_
    .private_segment_fixed_size: 0
    .sgpr_count:     0
    .sgpr_spill_count: 0
    .symbol:         _ZN7rocprim17ROCPRIM_400000_NS6detail17trampoline_kernelINS0_14default_configENS1_35radix_sort_onesweep_config_selectorIbNS0_10empty_typeEEEZZNS1_29radix_sort_onesweep_iterationIS3_Lb0EPKbPbPS5_SB_mNS0_19identity_decomposerENS1_16block_id_wrapperIjLb1EEEEE10hipError_tT1_PNSt15iterator_traitsISG_E10value_typeET2_T3_PNSH_ISM_E10value_typeET4_T5_PSR_SS_PNS1_23onesweep_lookback_stateEbbT6_jjT7_P12ihipStream_tbENKUlT_T0_SG_SL_E_clIS9_SA_SB_SB_EEDaSZ_S10_SG_SL_EUlSZ_E_NS1_11comp_targetILNS1_3genE2ELNS1_11target_archE906ELNS1_3gpuE6ELNS1_3repE0EEENS1_47radix_sort_onesweep_sort_config_static_selectorELNS0_4arch9wavefront6targetE0EEEvSG_.kd
    .uniform_work_group_size: 1
    .uses_dynamic_stack: false
    .vgpr_count:     0
    .vgpr_spill_count: 0
    .wavefront_size: 32
  - .args:
      - .offset:         0
        .size:           88
        .value_kind:     by_value
    .group_segment_fixed_size: 0
    .kernarg_segment_align: 8
    .kernarg_segment_size: 88
    .language:       OpenCL C
    .language_version:
      - 2
      - 0
    .max_flat_workgroup_size: 512
    .name:           _ZN7rocprim17ROCPRIM_400000_NS6detail17trampoline_kernelINS0_14default_configENS1_35radix_sort_onesweep_config_selectorIbNS0_10empty_typeEEEZZNS1_29radix_sort_onesweep_iterationIS3_Lb0EPKbPbPS5_SB_mNS0_19identity_decomposerENS1_16block_id_wrapperIjLb1EEEEE10hipError_tT1_PNSt15iterator_traitsISG_E10value_typeET2_T3_PNSH_ISM_E10value_typeET4_T5_PSR_SS_PNS1_23onesweep_lookback_stateEbbT6_jjT7_P12ihipStream_tbENKUlT_T0_SG_SL_E_clIS9_SA_SB_SB_EEDaSZ_S10_SG_SL_EUlSZ_E_NS1_11comp_targetILNS1_3genE4ELNS1_11target_archE910ELNS1_3gpuE8ELNS1_3repE0EEENS1_47radix_sort_onesweep_sort_config_static_selectorELNS0_4arch9wavefront6targetE0EEEvSG_
    .private_segment_fixed_size: 0
    .sgpr_count:     0
    .sgpr_spill_count: 0
    .symbol:         _ZN7rocprim17ROCPRIM_400000_NS6detail17trampoline_kernelINS0_14default_configENS1_35radix_sort_onesweep_config_selectorIbNS0_10empty_typeEEEZZNS1_29radix_sort_onesweep_iterationIS3_Lb0EPKbPbPS5_SB_mNS0_19identity_decomposerENS1_16block_id_wrapperIjLb1EEEEE10hipError_tT1_PNSt15iterator_traitsISG_E10value_typeET2_T3_PNSH_ISM_E10value_typeET4_T5_PSR_SS_PNS1_23onesweep_lookback_stateEbbT6_jjT7_P12ihipStream_tbENKUlT_T0_SG_SL_E_clIS9_SA_SB_SB_EEDaSZ_S10_SG_SL_EUlSZ_E_NS1_11comp_targetILNS1_3genE4ELNS1_11target_archE910ELNS1_3gpuE8ELNS1_3repE0EEENS1_47radix_sort_onesweep_sort_config_static_selectorELNS0_4arch9wavefront6targetE0EEEvSG_.kd
    .uniform_work_group_size: 1
    .uses_dynamic_stack: false
    .vgpr_count:     0
    .vgpr_spill_count: 0
    .wavefront_size: 32
  - .args:
      - .offset:         0
        .size:           88
        .value_kind:     by_value
    .group_segment_fixed_size: 0
    .kernarg_segment_align: 8
    .kernarg_segment_size: 88
    .language:       OpenCL C
    .language_version:
      - 2
      - 0
    .max_flat_workgroup_size: 1024
    .name:           _ZN7rocprim17ROCPRIM_400000_NS6detail17trampoline_kernelINS0_14default_configENS1_35radix_sort_onesweep_config_selectorIbNS0_10empty_typeEEEZZNS1_29radix_sort_onesweep_iterationIS3_Lb0EPKbPbPS5_SB_mNS0_19identity_decomposerENS1_16block_id_wrapperIjLb1EEEEE10hipError_tT1_PNSt15iterator_traitsISG_E10value_typeET2_T3_PNSH_ISM_E10value_typeET4_T5_PSR_SS_PNS1_23onesweep_lookback_stateEbbT6_jjT7_P12ihipStream_tbENKUlT_T0_SG_SL_E_clIS9_SA_SB_SB_EEDaSZ_S10_SG_SL_EUlSZ_E_NS1_11comp_targetILNS1_3genE3ELNS1_11target_archE908ELNS1_3gpuE7ELNS1_3repE0EEENS1_47radix_sort_onesweep_sort_config_static_selectorELNS0_4arch9wavefront6targetE0EEEvSG_
    .private_segment_fixed_size: 0
    .sgpr_count:     0
    .sgpr_spill_count: 0
    .symbol:         _ZN7rocprim17ROCPRIM_400000_NS6detail17trampoline_kernelINS0_14default_configENS1_35radix_sort_onesweep_config_selectorIbNS0_10empty_typeEEEZZNS1_29radix_sort_onesweep_iterationIS3_Lb0EPKbPbPS5_SB_mNS0_19identity_decomposerENS1_16block_id_wrapperIjLb1EEEEE10hipError_tT1_PNSt15iterator_traitsISG_E10value_typeET2_T3_PNSH_ISM_E10value_typeET4_T5_PSR_SS_PNS1_23onesweep_lookback_stateEbbT6_jjT7_P12ihipStream_tbENKUlT_T0_SG_SL_E_clIS9_SA_SB_SB_EEDaSZ_S10_SG_SL_EUlSZ_E_NS1_11comp_targetILNS1_3genE3ELNS1_11target_archE908ELNS1_3gpuE7ELNS1_3repE0EEENS1_47radix_sort_onesweep_sort_config_static_selectorELNS0_4arch9wavefront6targetE0EEEvSG_.kd
    .uniform_work_group_size: 1
    .uses_dynamic_stack: false
    .vgpr_count:     0
    .vgpr_spill_count: 0
    .wavefront_size: 32
  - .args:
      - .offset:         0
        .size:           88
        .value_kind:     by_value
    .group_segment_fixed_size: 0
    .kernarg_segment_align: 8
    .kernarg_segment_size: 88
    .language:       OpenCL C
    .language_version:
      - 2
      - 0
    .max_flat_workgroup_size: 256
    .name:           _ZN7rocprim17ROCPRIM_400000_NS6detail17trampoline_kernelINS0_14default_configENS1_35radix_sort_onesweep_config_selectorIbNS0_10empty_typeEEEZZNS1_29radix_sort_onesweep_iterationIS3_Lb0EPKbPbPS5_SB_mNS0_19identity_decomposerENS1_16block_id_wrapperIjLb1EEEEE10hipError_tT1_PNSt15iterator_traitsISG_E10value_typeET2_T3_PNSH_ISM_E10value_typeET4_T5_PSR_SS_PNS1_23onesweep_lookback_stateEbbT6_jjT7_P12ihipStream_tbENKUlT_T0_SG_SL_E_clIS9_SA_SB_SB_EEDaSZ_S10_SG_SL_EUlSZ_E_NS1_11comp_targetILNS1_3genE10ELNS1_11target_archE1201ELNS1_3gpuE5ELNS1_3repE0EEENS1_47radix_sort_onesweep_sort_config_static_selectorELNS0_4arch9wavefront6targetE0EEEvSG_
    .private_segment_fixed_size: 0
    .sgpr_count:     0
    .sgpr_spill_count: 0
    .symbol:         _ZN7rocprim17ROCPRIM_400000_NS6detail17trampoline_kernelINS0_14default_configENS1_35radix_sort_onesweep_config_selectorIbNS0_10empty_typeEEEZZNS1_29radix_sort_onesweep_iterationIS3_Lb0EPKbPbPS5_SB_mNS0_19identity_decomposerENS1_16block_id_wrapperIjLb1EEEEE10hipError_tT1_PNSt15iterator_traitsISG_E10value_typeET2_T3_PNSH_ISM_E10value_typeET4_T5_PSR_SS_PNS1_23onesweep_lookback_stateEbbT6_jjT7_P12ihipStream_tbENKUlT_T0_SG_SL_E_clIS9_SA_SB_SB_EEDaSZ_S10_SG_SL_EUlSZ_E_NS1_11comp_targetILNS1_3genE10ELNS1_11target_archE1201ELNS1_3gpuE5ELNS1_3repE0EEENS1_47radix_sort_onesweep_sort_config_static_selectorELNS0_4arch9wavefront6targetE0EEEvSG_.kd
    .uniform_work_group_size: 1
    .uses_dynamic_stack: false
    .vgpr_count:     0
    .vgpr_spill_count: 0
    .wavefront_size: 32
  - .args:
      - .offset:         0
        .size:           88
        .value_kind:     by_value
    .group_segment_fixed_size: 0
    .kernarg_segment_align: 8
    .kernarg_segment_size: 88
    .language:       OpenCL C
    .language_version:
      - 2
      - 0
    .max_flat_workgroup_size: 256
    .name:           _ZN7rocprim17ROCPRIM_400000_NS6detail17trampoline_kernelINS0_14default_configENS1_35radix_sort_onesweep_config_selectorIbNS0_10empty_typeEEEZZNS1_29radix_sort_onesweep_iterationIS3_Lb0EPKbPbPS5_SB_mNS0_19identity_decomposerENS1_16block_id_wrapperIjLb1EEEEE10hipError_tT1_PNSt15iterator_traitsISG_E10value_typeET2_T3_PNSH_ISM_E10value_typeET4_T5_PSR_SS_PNS1_23onesweep_lookback_stateEbbT6_jjT7_P12ihipStream_tbENKUlT_T0_SG_SL_E_clIS9_SA_SB_SB_EEDaSZ_S10_SG_SL_EUlSZ_E_NS1_11comp_targetILNS1_3genE9ELNS1_11target_archE1100ELNS1_3gpuE3ELNS1_3repE0EEENS1_47radix_sort_onesweep_sort_config_static_selectorELNS0_4arch9wavefront6targetE0EEEvSG_
    .private_segment_fixed_size: 0
    .sgpr_count:     0
    .sgpr_spill_count: 0
    .symbol:         _ZN7rocprim17ROCPRIM_400000_NS6detail17trampoline_kernelINS0_14default_configENS1_35radix_sort_onesweep_config_selectorIbNS0_10empty_typeEEEZZNS1_29radix_sort_onesweep_iterationIS3_Lb0EPKbPbPS5_SB_mNS0_19identity_decomposerENS1_16block_id_wrapperIjLb1EEEEE10hipError_tT1_PNSt15iterator_traitsISG_E10value_typeET2_T3_PNSH_ISM_E10value_typeET4_T5_PSR_SS_PNS1_23onesweep_lookback_stateEbbT6_jjT7_P12ihipStream_tbENKUlT_T0_SG_SL_E_clIS9_SA_SB_SB_EEDaSZ_S10_SG_SL_EUlSZ_E_NS1_11comp_targetILNS1_3genE9ELNS1_11target_archE1100ELNS1_3gpuE3ELNS1_3repE0EEENS1_47radix_sort_onesweep_sort_config_static_selectorELNS0_4arch9wavefront6targetE0EEEvSG_.kd
    .uniform_work_group_size: 1
    .uses_dynamic_stack: false
    .vgpr_count:     0
    .vgpr_spill_count: 0
    .wavefront_size: 32
  - .args:
      - .offset:         0
        .size:           88
        .value_kind:     by_value
    .group_segment_fixed_size: 0
    .kernarg_segment_align: 8
    .kernarg_segment_size: 88
    .language:       OpenCL C
    .language_version:
      - 2
      - 0
    .max_flat_workgroup_size: 256
    .name:           _ZN7rocprim17ROCPRIM_400000_NS6detail17trampoline_kernelINS0_14default_configENS1_35radix_sort_onesweep_config_selectorIbNS0_10empty_typeEEEZZNS1_29radix_sort_onesweep_iterationIS3_Lb0EPKbPbPS5_SB_mNS0_19identity_decomposerENS1_16block_id_wrapperIjLb1EEEEE10hipError_tT1_PNSt15iterator_traitsISG_E10value_typeET2_T3_PNSH_ISM_E10value_typeET4_T5_PSR_SS_PNS1_23onesweep_lookback_stateEbbT6_jjT7_P12ihipStream_tbENKUlT_T0_SG_SL_E_clIS9_SA_SB_SB_EEDaSZ_S10_SG_SL_EUlSZ_E_NS1_11comp_targetILNS1_3genE8ELNS1_11target_archE1030ELNS1_3gpuE2ELNS1_3repE0EEENS1_47radix_sort_onesweep_sort_config_static_selectorELNS0_4arch9wavefront6targetE0EEEvSG_
    .private_segment_fixed_size: 0
    .sgpr_count:     0
    .sgpr_spill_count: 0
    .symbol:         _ZN7rocprim17ROCPRIM_400000_NS6detail17trampoline_kernelINS0_14default_configENS1_35radix_sort_onesweep_config_selectorIbNS0_10empty_typeEEEZZNS1_29radix_sort_onesweep_iterationIS3_Lb0EPKbPbPS5_SB_mNS0_19identity_decomposerENS1_16block_id_wrapperIjLb1EEEEE10hipError_tT1_PNSt15iterator_traitsISG_E10value_typeET2_T3_PNSH_ISM_E10value_typeET4_T5_PSR_SS_PNS1_23onesweep_lookback_stateEbbT6_jjT7_P12ihipStream_tbENKUlT_T0_SG_SL_E_clIS9_SA_SB_SB_EEDaSZ_S10_SG_SL_EUlSZ_E_NS1_11comp_targetILNS1_3genE8ELNS1_11target_archE1030ELNS1_3gpuE2ELNS1_3repE0EEENS1_47radix_sort_onesweep_sort_config_static_selectorELNS0_4arch9wavefront6targetE0EEEvSG_.kd
    .uniform_work_group_size: 1
    .uses_dynamic_stack: false
    .vgpr_count:     0
    .vgpr_spill_count: 0
    .wavefront_size: 32
  - .args:
      - .offset:         0
        .size:           88
        .value_kind:     by_value
      - .offset:         88
        .size:           4
        .value_kind:     hidden_block_count_x
      - .offset:         92
        .size:           4
        .value_kind:     hidden_block_count_y
      - .offset:         96
        .size:           4
        .value_kind:     hidden_block_count_z
      - .offset:         100
        .size:           2
        .value_kind:     hidden_group_size_x
      - .offset:         102
        .size:           2
        .value_kind:     hidden_group_size_y
      - .offset:         104
        .size:           2
        .value_kind:     hidden_group_size_z
      - .offset:         106
        .size:           2
        .value_kind:     hidden_remainder_x
      - .offset:         108
        .size:           2
        .value_kind:     hidden_remainder_y
      - .offset:         110
        .size:           2
        .value_kind:     hidden_remainder_z
      - .offset:         128
        .size:           8
        .value_kind:     hidden_global_offset_x
      - .offset:         136
        .size:           8
        .value_kind:     hidden_global_offset_y
      - .offset:         144
        .size:           8
        .value_kind:     hidden_global_offset_z
      - .offset:         152
        .size:           2
        .value_kind:     hidden_grid_dims
    .group_segment_fixed_size: 32904
    .kernarg_segment_align: 8
    .kernarg_segment_size: 344
    .language:       OpenCL C
    .language_version:
      - 2
      - 0
    .max_flat_workgroup_size: 1024
    .name:           _ZN7rocprim17ROCPRIM_400000_NS6detail17trampoline_kernelINS0_14default_configENS1_35radix_sort_onesweep_config_selectorIbNS0_10empty_typeEEEZZNS1_29radix_sort_onesweep_iterationIS3_Lb0EPKbPbPS5_SB_mNS0_19identity_decomposerENS1_16block_id_wrapperIjLb1EEEEE10hipError_tT1_PNSt15iterator_traitsISG_E10value_typeET2_T3_PNSH_ISM_E10value_typeET4_T5_PSR_SS_PNS1_23onesweep_lookback_stateEbbT6_jjT7_P12ihipStream_tbENKUlT_T0_SG_SL_E_clISA_SA_SB_SB_EEDaSZ_S10_SG_SL_EUlSZ_E_NS1_11comp_targetILNS1_3genE0ELNS1_11target_archE4294967295ELNS1_3gpuE0ELNS1_3repE0EEENS1_47radix_sort_onesweep_sort_config_static_selectorELNS0_4arch9wavefront6targetE0EEEvSG_
    .private_segment_fixed_size: 0
    .sgpr_count:     27
    .sgpr_spill_count: 0
    .symbol:         _ZN7rocprim17ROCPRIM_400000_NS6detail17trampoline_kernelINS0_14default_configENS1_35radix_sort_onesweep_config_selectorIbNS0_10empty_typeEEEZZNS1_29radix_sort_onesweep_iterationIS3_Lb0EPKbPbPS5_SB_mNS0_19identity_decomposerENS1_16block_id_wrapperIjLb1EEEEE10hipError_tT1_PNSt15iterator_traitsISG_E10value_typeET2_T3_PNSH_ISM_E10value_typeET4_T5_PSR_SS_PNS1_23onesweep_lookback_stateEbbT6_jjT7_P12ihipStream_tbENKUlT_T0_SG_SL_E_clISA_SA_SB_SB_EEDaSZ_S10_SG_SL_EUlSZ_E_NS1_11comp_targetILNS1_3genE0ELNS1_11target_archE4294967295ELNS1_3gpuE0ELNS1_3repE0EEENS1_47radix_sort_onesweep_sort_config_static_selectorELNS0_4arch9wavefront6targetE0EEEvSG_.kd
    .uniform_work_group_size: 1
    .uses_dynamic_stack: false
    .vgpr_count:     79
    .vgpr_spill_count: 0
    .wavefront_size: 32
  - .args:
      - .offset:         0
        .size:           88
        .value_kind:     by_value
    .group_segment_fixed_size: 0
    .kernarg_segment_align: 8
    .kernarg_segment_size: 88
    .language:       OpenCL C
    .language_version:
      - 2
      - 0
    .max_flat_workgroup_size: 1024
    .name:           _ZN7rocprim17ROCPRIM_400000_NS6detail17trampoline_kernelINS0_14default_configENS1_35radix_sort_onesweep_config_selectorIbNS0_10empty_typeEEEZZNS1_29radix_sort_onesweep_iterationIS3_Lb0EPKbPbPS5_SB_mNS0_19identity_decomposerENS1_16block_id_wrapperIjLb1EEEEE10hipError_tT1_PNSt15iterator_traitsISG_E10value_typeET2_T3_PNSH_ISM_E10value_typeET4_T5_PSR_SS_PNS1_23onesweep_lookback_stateEbbT6_jjT7_P12ihipStream_tbENKUlT_T0_SG_SL_E_clISA_SA_SB_SB_EEDaSZ_S10_SG_SL_EUlSZ_E_NS1_11comp_targetILNS1_3genE6ELNS1_11target_archE950ELNS1_3gpuE13ELNS1_3repE0EEENS1_47radix_sort_onesweep_sort_config_static_selectorELNS0_4arch9wavefront6targetE0EEEvSG_
    .private_segment_fixed_size: 0
    .sgpr_count:     0
    .sgpr_spill_count: 0
    .symbol:         _ZN7rocprim17ROCPRIM_400000_NS6detail17trampoline_kernelINS0_14default_configENS1_35radix_sort_onesweep_config_selectorIbNS0_10empty_typeEEEZZNS1_29radix_sort_onesweep_iterationIS3_Lb0EPKbPbPS5_SB_mNS0_19identity_decomposerENS1_16block_id_wrapperIjLb1EEEEE10hipError_tT1_PNSt15iterator_traitsISG_E10value_typeET2_T3_PNSH_ISM_E10value_typeET4_T5_PSR_SS_PNS1_23onesweep_lookback_stateEbbT6_jjT7_P12ihipStream_tbENKUlT_T0_SG_SL_E_clISA_SA_SB_SB_EEDaSZ_S10_SG_SL_EUlSZ_E_NS1_11comp_targetILNS1_3genE6ELNS1_11target_archE950ELNS1_3gpuE13ELNS1_3repE0EEENS1_47radix_sort_onesweep_sort_config_static_selectorELNS0_4arch9wavefront6targetE0EEEvSG_.kd
    .uniform_work_group_size: 1
    .uses_dynamic_stack: false
    .vgpr_count:     0
    .vgpr_spill_count: 0
    .wavefront_size: 32
  - .args:
      - .offset:         0
        .size:           88
        .value_kind:     by_value
    .group_segment_fixed_size: 0
    .kernarg_segment_align: 8
    .kernarg_segment_size: 88
    .language:       OpenCL C
    .language_version:
      - 2
      - 0
    .max_flat_workgroup_size: 1024
    .name:           _ZN7rocprim17ROCPRIM_400000_NS6detail17trampoline_kernelINS0_14default_configENS1_35radix_sort_onesweep_config_selectorIbNS0_10empty_typeEEEZZNS1_29radix_sort_onesweep_iterationIS3_Lb0EPKbPbPS5_SB_mNS0_19identity_decomposerENS1_16block_id_wrapperIjLb1EEEEE10hipError_tT1_PNSt15iterator_traitsISG_E10value_typeET2_T3_PNSH_ISM_E10value_typeET4_T5_PSR_SS_PNS1_23onesweep_lookback_stateEbbT6_jjT7_P12ihipStream_tbENKUlT_T0_SG_SL_E_clISA_SA_SB_SB_EEDaSZ_S10_SG_SL_EUlSZ_E_NS1_11comp_targetILNS1_3genE5ELNS1_11target_archE942ELNS1_3gpuE9ELNS1_3repE0EEENS1_47radix_sort_onesweep_sort_config_static_selectorELNS0_4arch9wavefront6targetE0EEEvSG_
    .private_segment_fixed_size: 0
    .sgpr_count:     0
    .sgpr_spill_count: 0
    .symbol:         _ZN7rocprim17ROCPRIM_400000_NS6detail17trampoline_kernelINS0_14default_configENS1_35radix_sort_onesweep_config_selectorIbNS0_10empty_typeEEEZZNS1_29radix_sort_onesweep_iterationIS3_Lb0EPKbPbPS5_SB_mNS0_19identity_decomposerENS1_16block_id_wrapperIjLb1EEEEE10hipError_tT1_PNSt15iterator_traitsISG_E10value_typeET2_T3_PNSH_ISM_E10value_typeET4_T5_PSR_SS_PNS1_23onesweep_lookback_stateEbbT6_jjT7_P12ihipStream_tbENKUlT_T0_SG_SL_E_clISA_SA_SB_SB_EEDaSZ_S10_SG_SL_EUlSZ_E_NS1_11comp_targetILNS1_3genE5ELNS1_11target_archE942ELNS1_3gpuE9ELNS1_3repE0EEENS1_47radix_sort_onesweep_sort_config_static_selectorELNS0_4arch9wavefront6targetE0EEEvSG_.kd
    .uniform_work_group_size: 1
    .uses_dynamic_stack: false
    .vgpr_count:     0
    .vgpr_spill_count: 0
    .wavefront_size: 32
  - .args:
      - .offset:         0
        .size:           88
        .value_kind:     by_value
    .group_segment_fixed_size: 0
    .kernarg_segment_align: 8
    .kernarg_segment_size: 88
    .language:       OpenCL C
    .language_version:
      - 2
      - 0
    .max_flat_workgroup_size: 512
    .name:           _ZN7rocprim17ROCPRIM_400000_NS6detail17trampoline_kernelINS0_14default_configENS1_35radix_sort_onesweep_config_selectorIbNS0_10empty_typeEEEZZNS1_29radix_sort_onesweep_iterationIS3_Lb0EPKbPbPS5_SB_mNS0_19identity_decomposerENS1_16block_id_wrapperIjLb1EEEEE10hipError_tT1_PNSt15iterator_traitsISG_E10value_typeET2_T3_PNSH_ISM_E10value_typeET4_T5_PSR_SS_PNS1_23onesweep_lookback_stateEbbT6_jjT7_P12ihipStream_tbENKUlT_T0_SG_SL_E_clISA_SA_SB_SB_EEDaSZ_S10_SG_SL_EUlSZ_E_NS1_11comp_targetILNS1_3genE2ELNS1_11target_archE906ELNS1_3gpuE6ELNS1_3repE0EEENS1_47radix_sort_onesweep_sort_config_static_selectorELNS0_4arch9wavefront6targetE0EEEvSG_
    .private_segment_fixed_size: 0
    .sgpr_count:     0
    .sgpr_spill_count: 0
    .symbol:         _ZN7rocprim17ROCPRIM_400000_NS6detail17trampoline_kernelINS0_14default_configENS1_35radix_sort_onesweep_config_selectorIbNS0_10empty_typeEEEZZNS1_29radix_sort_onesweep_iterationIS3_Lb0EPKbPbPS5_SB_mNS0_19identity_decomposerENS1_16block_id_wrapperIjLb1EEEEE10hipError_tT1_PNSt15iterator_traitsISG_E10value_typeET2_T3_PNSH_ISM_E10value_typeET4_T5_PSR_SS_PNS1_23onesweep_lookback_stateEbbT6_jjT7_P12ihipStream_tbENKUlT_T0_SG_SL_E_clISA_SA_SB_SB_EEDaSZ_S10_SG_SL_EUlSZ_E_NS1_11comp_targetILNS1_3genE2ELNS1_11target_archE906ELNS1_3gpuE6ELNS1_3repE0EEENS1_47radix_sort_onesweep_sort_config_static_selectorELNS0_4arch9wavefront6targetE0EEEvSG_.kd
    .uniform_work_group_size: 1
    .uses_dynamic_stack: false
    .vgpr_count:     0
    .vgpr_spill_count: 0
    .wavefront_size: 32
  - .args:
      - .offset:         0
        .size:           88
        .value_kind:     by_value
    .group_segment_fixed_size: 0
    .kernarg_segment_align: 8
    .kernarg_segment_size: 88
    .language:       OpenCL C
    .language_version:
      - 2
      - 0
    .max_flat_workgroup_size: 512
    .name:           _ZN7rocprim17ROCPRIM_400000_NS6detail17trampoline_kernelINS0_14default_configENS1_35radix_sort_onesweep_config_selectorIbNS0_10empty_typeEEEZZNS1_29radix_sort_onesweep_iterationIS3_Lb0EPKbPbPS5_SB_mNS0_19identity_decomposerENS1_16block_id_wrapperIjLb1EEEEE10hipError_tT1_PNSt15iterator_traitsISG_E10value_typeET2_T3_PNSH_ISM_E10value_typeET4_T5_PSR_SS_PNS1_23onesweep_lookback_stateEbbT6_jjT7_P12ihipStream_tbENKUlT_T0_SG_SL_E_clISA_SA_SB_SB_EEDaSZ_S10_SG_SL_EUlSZ_E_NS1_11comp_targetILNS1_3genE4ELNS1_11target_archE910ELNS1_3gpuE8ELNS1_3repE0EEENS1_47radix_sort_onesweep_sort_config_static_selectorELNS0_4arch9wavefront6targetE0EEEvSG_
    .private_segment_fixed_size: 0
    .sgpr_count:     0
    .sgpr_spill_count: 0
    .symbol:         _ZN7rocprim17ROCPRIM_400000_NS6detail17trampoline_kernelINS0_14default_configENS1_35radix_sort_onesweep_config_selectorIbNS0_10empty_typeEEEZZNS1_29radix_sort_onesweep_iterationIS3_Lb0EPKbPbPS5_SB_mNS0_19identity_decomposerENS1_16block_id_wrapperIjLb1EEEEE10hipError_tT1_PNSt15iterator_traitsISG_E10value_typeET2_T3_PNSH_ISM_E10value_typeET4_T5_PSR_SS_PNS1_23onesweep_lookback_stateEbbT6_jjT7_P12ihipStream_tbENKUlT_T0_SG_SL_E_clISA_SA_SB_SB_EEDaSZ_S10_SG_SL_EUlSZ_E_NS1_11comp_targetILNS1_3genE4ELNS1_11target_archE910ELNS1_3gpuE8ELNS1_3repE0EEENS1_47radix_sort_onesweep_sort_config_static_selectorELNS0_4arch9wavefront6targetE0EEEvSG_.kd
    .uniform_work_group_size: 1
    .uses_dynamic_stack: false
    .vgpr_count:     0
    .vgpr_spill_count: 0
    .wavefront_size: 32
  - .args:
      - .offset:         0
        .size:           88
        .value_kind:     by_value
    .group_segment_fixed_size: 0
    .kernarg_segment_align: 8
    .kernarg_segment_size: 88
    .language:       OpenCL C
    .language_version:
      - 2
      - 0
    .max_flat_workgroup_size: 1024
    .name:           _ZN7rocprim17ROCPRIM_400000_NS6detail17trampoline_kernelINS0_14default_configENS1_35radix_sort_onesweep_config_selectorIbNS0_10empty_typeEEEZZNS1_29radix_sort_onesweep_iterationIS3_Lb0EPKbPbPS5_SB_mNS0_19identity_decomposerENS1_16block_id_wrapperIjLb1EEEEE10hipError_tT1_PNSt15iterator_traitsISG_E10value_typeET2_T3_PNSH_ISM_E10value_typeET4_T5_PSR_SS_PNS1_23onesweep_lookback_stateEbbT6_jjT7_P12ihipStream_tbENKUlT_T0_SG_SL_E_clISA_SA_SB_SB_EEDaSZ_S10_SG_SL_EUlSZ_E_NS1_11comp_targetILNS1_3genE3ELNS1_11target_archE908ELNS1_3gpuE7ELNS1_3repE0EEENS1_47radix_sort_onesweep_sort_config_static_selectorELNS0_4arch9wavefront6targetE0EEEvSG_
    .private_segment_fixed_size: 0
    .sgpr_count:     0
    .sgpr_spill_count: 0
    .symbol:         _ZN7rocprim17ROCPRIM_400000_NS6detail17trampoline_kernelINS0_14default_configENS1_35radix_sort_onesweep_config_selectorIbNS0_10empty_typeEEEZZNS1_29radix_sort_onesweep_iterationIS3_Lb0EPKbPbPS5_SB_mNS0_19identity_decomposerENS1_16block_id_wrapperIjLb1EEEEE10hipError_tT1_PNSt15iterator_traitsISG_E10value_typeET2_T3_PNSH_ISM_E10value_typeET4_T5_PSR_SS_PNS1_23onesweep_lookback_stateEbbT6_jjT7_P12ihipStream_tbENKUlT_T0_SG_SL_E_clISA_SA_SB_SB_EEDaSZ_S10_SG_SL_EUlSZ_E_NS1_11comp_targetILNS1_3genE3ELNS1_11target_archE908ELNS1_3gpuE7ELNS1_3repE0EEENS1_47radix_sort_onesweep_sort_config_static_selectorELNS0_4arch9wavefront6targetE0EEEvSG_.kd
    .uniform_work_group_size: 1
    .uses_dynamic_stack: false
    .vgpr_count:     0
    .vgpr_spill_count: 0
    .wavefront_size: 32
  - .args:
      - .offset:         0
        .size:           88
        .value_kind:     by_value
    .group_segment_fixed_size: 0
    .kernarg_segment_align: 8
    .kernarg_segment_size: 88
    .language:       OpenCL C
    .language_version:
      - 2
      - 0
    .max_flat_workgroup_size: 256
    .name:           _ZN7rocprim17ROCPRIM_400000_NS6detail17trampoline_kernelINS0_14default_configENS1_35radix_sort_onesweep_config_selectorIbNS0_10empty_typeEEEZZNS1_29radix_sort_onesweep_iterationIS3_Lb0EPKbPbPS5_SB_mNS0_19identity_decomposerENS1_16block_id_wrapperIjLb1EEEEE10hipError_tT1_PNSt15iterator_traitsISG_E10value_typeET2_T3_PNSH_ISM_E10value_typeET4_T5_PSR_SS_PNS1_23onesweep_lookback_stateEbbT6_jjT7_P12ihipStream_tbENKUlT_T0_SG_SL_E_clISA_SA_SB_SB_EEDaSZ_S10_SG_SL_EUlSZ_E_NS1_11comp_targetILNS1_3genE10ELNS1_11target_archE1201ELNS1_3gpuE5ELNS1_3repE0EEENS1_47radix_sort_onesweep_sort_config_static_selectorELNS0_4arch9wavefront6targetE0EEEvSG_
    .private_segment_fixed_size: 0
    .sgpr_count:     0
    .sgpr_spill_count: 0
    .symbol:         _ZN7rocprim17ROCPRIM_400000_NS6detail17trampoline_kernelINS0_14default_configENS1_35radix_sort_onesweep_config_selectorIbNS0_10empty_typeEEEZZNS1_29radix_sort_onesweep_iterationIS3_Lb0EPKbPbPS5_SB_mNS0_19identity_decomposerENS1_16block_id_wrapperIjLb1EEEEE10hipError_tT1_PNSt15iterator_traitsISG_E10value_typeET2_T3_PNSH_ISM_E10value_typeET4_T5_PSR_SS_PNS1_23onesweep_lookback_stateEbbT6_jjT7_P12ihipStream_tbENKUlT_T0_SG_SL_E_clISA_SA_SB_SB_EEDaSZ_S10_SG_SL_EUlSZ_E_NS1_11comp_targetILNS1_3genE10ELNS1_11target_archE1201ELNS1_3gpuE5ELNS1_3repE0EEENS1_47radix_sort_onesweep_sort_config_static_selectorELNS0_4arch9wavefront6targetE0EEEvSG_.kd
    .uniform_work_group_size: 1
    .uses_dynamic_stack: false
    .vgpr_count:     0
    .vgpr_spill_count: 0
    .wavefront_size: 32
  - .args:
      - .offset:         0
        .size:           88
        .value_kind:     by_value
    .group_segment_fixed_size: 0
    .kernarg_segment_align: 8
    .kernarg_segment_size: 88
    .language:       OpenCL C
    .language_version:
      - 2
      - 0
    .max_flat_workgroup_size: 256
    .name:           _ZN7rocprim17ROCPRIM_400000_NS6detail17trampoline_kernelINS0_14default_configENS1_35radix_sort_onesweep_config_selectorIbNS0_10empty_typeEEEZZNS1_29radix_sort_onesweep_iterationIS3_Lb0EPKbPbPS5_SB_mNS0_19identity_decomposerENS1_16block_id_wrapperIjLb1EEEEE10hipError_tT1_PNSt15iterator_traitsISG_E10value_typeET2_T3_PNSH_ISM_E10value_typeET4_T5_PSR_SS_PNS1_23onesweep_lookback_stateEbbT6_jjT7_P12ihipStream_tbENKUlT_T0_SG_SL_E_clISA_SA_SB_SB_EEDaSZ_S10_SG_SL_EUlSZ_E_NS1_11comp_targetILNS1_3genE9ELNS1_11target_archE1100ELNS1_3gpuE3ELNS1_3repE0EEENS1_47radix_sort_onesweep_sort_config_static_selectorELNS0_4arch9wavefront6targetE0EEEvSG_
    .private_segment_fixed_size: 0
    .sgpr_count:     0
    .sgpr_spill_count: 0
    .symbol:         _ZN7rocprim17ROCPRIM_400000_NS6detail17trampoline_kernelINS0_14default_configENS1_35radix_sort_onesweep_config_selectorIbNS0_10empty_typeEEEZZNS1_29radix_sort_onesweep_iterationIS3_Lb0EPKbPbPS5_SB_mNS0_19identity_decomposerENS1_16block_id_wrapperIjLb1EEEEE10hipError_tT1_PNSt15iterator_traitsISG_E10value_typeET2_T3_PNSH_ISM_E10value_typeET4_T5_PSR_SS_PNS1_23onesweep_lookback_stateEbbT6_jjT7_P12ihipStream_tbENKUlT_T0_SG_SL_E_clISA_SA_SB_SB_EEDaSZ_S10_SG_SL_EUlSZ_E_NS1_11comp_targetILNS1_3genE9ELNS1_11target_archE1100ELNS1_3gpuE3ELNS1_3repE0EEENS1_47radix_sort_onesweep_sort_config_static_selectorELNS0_4arch9wavefront6targetE0EEEvSG_.kd
    .uniform_work_group_size: 1
    .uses_dynamic_stack: false
    .vgpr_count:     0
    .vgpr_spill_count: 0
    .wavefront_size: 32
  - .args:
      - .offset:         0
        .size:           88
        .value_kind:     by_value
    .group_segment_fixed_size: 0
    .kernarg_segment_align: 8
    .kernarg_segment_size: 88
    .language:       OpenCL C
    .language_version:
      - 2
      - 0
    .max_flat_workgroup_size: 256
    .name:           _ZN7rocprim17ROCPRIM_400000_NS6detail17trampoline_kernelINS0_14default_configENS1_35radix_sort_onesweep_config_selectorIbNS0_10empty_typeEEEZZNS1_29radix_sort_onesweep_iterationIS3_Lb0EPKbPbPS5_SB_mNS0_19identity_decomposerENS1_16block_id_wrapperIjLb1EEEEE10hipError_tT1_PNSt15iterator_traitsISG_E10value_typeET2_T3_PNSH_ISM_E10value_typeET4_T5_PSR_SS_PNS1_23onesweep_lookback_stateEbbT6_jjT7_P12ihipStream_tbENKUlT_T0_SG_SL_E_clISA_SA_SB_SB_EEDaSZ_S10_SG_SL_EUlSZ_E_NS1_11comp_targetILNS1_3genE8ELNS1_11target_archE1030ELNS1_3gpuE2ELNS1_3repE0EEENS1_47radix_sort_onesweep_sort_config_static_selectorELNS0_4arch9wavefront6targetE0EEEvSG_
    .private_segment_fixed_size: 0
    .sgpr_count:     0
    .sgpr_spill_count: 0
    .symbol:         _ZN7rocprim17ROCPRIM_400000_NS6detail17trampoline_kernelINS0_14default_configENS1_35radix_sort_onesweep_config_selectorIbNS0_10empty_typeEEEZZNS1_29radix_sort_onesweep_iterationIS3_Lb0EPKbPbPS5_SB_mNS0_19identity_decomposerENS1_16block_id_wrapperIjLb1EEEEE10hipError_tT1_PNSt15iterator_traitsISG_E10value_typeET2_T3_PNSH_ISM_E10value_typeET4_T5_PSR_SS_PNS1_23onesweep_lookback_stateEbbT6_jjT7_P12ihipStream_tbENKUlT_T0_SG_SL_E_clISA_SA_SB_SB_EEDaSZ_S10_SG_SL_EUlSZ_E_NS1_11comp_targetILNS1_3genE8ELNS1_11target_archE1030ELNS1_3gpuE2ELNS1_3repE0EEENS1_47radix_sort_onesweep_sort_config_static_selectorELNS0_4arch9wavefront6targetE0EEEvSG_.kd
    .uniform_work_group_size: 1
    .uses_dynamic_stack: false
    .vgpr_count:     0
    .vgpr_spill_count: 0
    .wavefront_size: 32
  - .args:
      - .offset:         0
        .size:           88
        .value_kind:     by_value
      - .offset:         88
        .size:           4
        .value_kind:     hidden_block_count_x
      - .offset:         92
        .size:           4
        .value_kind:     hidden_block_count_y
      - .offset:         96
        .size:           4
        .value_kind:     hidden_block_count_z
      - .offset:         100
        .size:           2
        .value_kind:     hidden_group_size_x
      - .offset:         102
        .size:           2
        .value_kind:     hidden_group_size_y
      - .offset:         104
        .size:           2
        .value_kind:     hidden_group_size_z
      - .offset:         106
        .size:           2
        .value_kind:     hidden_remainder_x
      - .offset:         108
        .size:           2
        .value_kind:     hidden_remainder_y
      - .offset:         110
        .size:           2
        .value_kind:     hidden_remainder_z
      - .offset:         128
        .size:           8
        .value_kind:     hidden_global_offset_x
      - .offset:         136
        .size:           8
        .value_kind:     hidden_global_offset_y
      - .offset:         144
        .size:           8
        .value_kind:     hidden_global_offset_z
      - .offset:         152
        .size:           2
        .value_kind:     hidden_grid_dims
    .group_segment_fixed_size: 32904
    .kernarg_segment_align: 8
    .kernarg_segment_size: 344
    .language:       OpenCL C
    .language_version:
      - 2
      - 0
    .max_flat_workgroup_size: 1024
    .name:           _ZN7rocprim17ROCPRIM_400000_NS6detail17trampoline_kernelINS0_14default_configENS1_35radix_sort_onesweep_config_selectorIbNS0_10empty_typeEEEZZNS1_29radix_sort_onesweep_iterationIS3_Lb0EPKbPbPS5_SB_mNS0_19identity_decomposerENS1_16block_id_wrapperIjLb0EEEEE10hipError_tT1_PNSt15iterator_traitsISG_E10value_typeET2_T3_PNSH_ISM_E10value_typeET4_T5_PSR_SS_PNS1_23onesweep_lookback_stateEbbT6_jjT7_P12ihipStream_tbENKUlT_T0_SG_SL_E_clIS9_SA_SB_SB_EEDaSZ_S10_SG_SL_EUlSZ_E_NS1_11comp_targetILNS1_3genE0ELNS1_11target_archE4294967295ELNS1_3gpuE0ELNS1_3repE0EEENS1_47radix_sort_onesweep_sort_config_static_selectorELNS0_4arch9wavefront6targetE0EEEvSG_
    .private_segment_fixed_size: 0
    .sgpr_count:     27
    .sgpr_spill_count: 0
    .symbol:         _ZN7rocprim17ROCPRIM_400000_NS6detail17trampoline_kernelINS0_14default_configENS1_35radix_sort_onesweep_config_selectorIbNS0_10empty_typeEEEZZNS1_29radix_sort_onesweep_iterationIS3_Lb0EPKbPbPS5_SB_mNS0_19identity_decomposerENS1_16block_id_wrapperIjLb0EEEEE10hipError_tT1_PNSt15iterator_traitsISG_E10value_typeET2_T3_PNSH_ISM_E10value_typeET4_T5_PSR_SS_PNS1_23onesweep_lookback_stateEbbT6_jjT7_P12ihipStream_tbENKUlT_T0_SG_SL_E_clIS9_SA_SB_SB_EEDaSZ_S10_SG_SL_EUlSZ_E_NS1_11comp_targetILNS1_3genE0ELNS1_11target_archE4294967295ELNS1_3gpuE0ELNS1_3repE0EEENS1_47radix_sort_onesweep_sort_config_static_selectorELNS0_4arch9wavefront6targetE0EEEvSG_.kd
    .uniform_work_group_size: 1
    .uses_dynamic_stack: false
    .vgpr_count:     79
    .vgpr_spill_count: 0
    .wavefront_size: 32
  - .args:
      - .offset:         0
        .size:           88
        .value_kind:     by_value
    .group_segment_fixed_size: 0
    .kernarg_segment_align: 8
    .kernarg_segment_size: 88
    .language:       OpenCL C
    .language_version:
      - 2
      - 0
    .max_flat_workgroup_size: 1024
    .name:           _ZN7rocprim17ROCPRIM_400000_NS6detail17trampoline_kernelINS0_14default_configENS1_35radix_sort_onesweep_config_selectorIbNS0_10empty_typeEEEZZNS1_29radix_sort_onesweep_iterationIS3_Lb0EPKbPbPS5_SB_mNS0_19identity_decomposerENS1_16block_id_wrapperIjLb0EEEEE10hipError_tT1_PNSt15iterator_traitsISG_E10value_typeET2_T3_PNSH_ISM_E10value_typeET4_T5_PSR_SS_PNS1_23onesweep_lookback_stateEbbT6_jjT7_P12ihipStream_tbENKUlT_T0_SG_SL_E_clIS9_SA_SB_SB_EEDaSZ_S10_SG_SL_EUlSZ_E_NS1_11comp_targetILNS1_3genE6ELNS1_11target_archE950ELNS1_3gpuE13ELNS1_3repE0EEENS1_47radix_sort_onesweep_sort_config_static_selectorELNS0_4arch9wavefront6targetE0EEEvSG_
    .private_segment_fixed_size: 0
    .sgpr_count:     0
    .sgpr_spill_count: 0
    .symbol:         _ZN7rocprim17ROCPRIM_400000_NS6detail17trampoline_kernelINS0_14default_configENS1_35radix_sort_onesweep_config_selectorIbNS0_10empty_typeEEEZZNS1_29radix_sort_onesweep_iterationIS3_Lb0EPKbPbPS5_SB_mNS0_19identity_decomposerENS1_16block_id_wrapperIjLb0EEEEE10hipError_tT1_PNSt15iterator_traitsISG_E10value_typeET2_T3_PNSH_ISM_E10value_typeET4_T5_PSR_SS_PNS1_23onesweep_lookback_stateEbbT6_jjT7_P12ihipStream_tbENKUlT_T0_SG_SL_E_clIS9_SA_SB_SB_EEDaSZ_S10_SG_SL_EUlSZ_E_NS1_11comp_targetILNS1_3genE6ELNS1_11target_archE950ELNS1_3gpuE13ELNS1_3repE0EEENS1_47radix_sort_onesweep_sort_config_static_selectorELNS0_4arch9wavefront6targetE0EEEvSG_.kd
    .uniform_work_group_size: 1
    .uses_dynamic_stack: false
    .vgpr_count:     0
    .vgpr_spill_count: 0
    .wavefront_size: 32
  - .args:
      - .offset:         0
        .size:           88
        .value_kind:     by_value
    .group_segment_fixed_size: 0
    .kernarg_segment_align: 8
    .kernarg_segment_size: 88
    .language:       OpenCL C
    .language_version:
      - 2
      - 0
    .max_flat_workgroup_size: 1024
    .name:           _ZN7rocprim17ROCPRIM_400000_NS6detail17trampoline_kernelINS0_14default_configENS1_35radix_sort_onesweep_config_selectorIbNS0_10empty_typeEEEZZNS1_29radix_sort_onesweep_iterationIS3_Lb0EPKbPbPS5_SB_mNS0_19identity_decomposerENS1_16block_id_wrapperIjLb0EEEEE10hipError_tT1_PNSt15iterator_traitsISG_E10value_typeET2_T3_PNSH_ISM_E10value_typeET4_T5_PSR_SS_PNS1_23onesweep_lookback_stateEbbT6_jjT7_P12ihipStream_tbENKUlT_T0_SG_SL_E_clIS9_SA_SB_SB_EEDaSZ_S10_SG_SL_EUlSZ_E_NS1_11comp_targetILNS1_3genE5ELNS1_11target_archE942ELNS1_3gpuE9ELNS1_3repE0EEENS1_47radix_sort_onesweep_sort_config_static_selectorELNS0_4arch9wavefront6targetE0EEEvSG_
    .private_segment_fixed_size: 0
    .sgpr_count:     0
    .sgpr_spill_count: 0
    .symbol:         _ZN7rocprim17ROCPRIM_400000_NS6detail17trampoline_kernelINS0_14default_configENS1_35radix_sort_onesweep_config_selectorIbNS0_10empty_typeEEEZZNS1_29radix_sort_onesweep_iterationIS3_Lb0EPKbPbPS5_SB_mNS0_19identity_decomposerENS1_16block_id_wrapperIjLb0EEEEE10hipError_tT1_PNSt15iterator_traitsISG_E10value_typeET2_T3_PNSH_ISM_E10value_typeET4_T5_PSR_SS_PNS1_23onesweep_lookback_stateEbbT6_jjT7_P12ihipStream_tbENKUlT_T0_SG_SL_E_clIS9_SA_SB_SB_EEDaSZ_S10_SG_SL_EUlSZ_E_NS1_11comp_targetILNS1_3genE5ELNS1_11target_archE942ELNS1_3gpuE9ELNS1_3repE0EEENS1_47radix_sort_onesweep_sort_config_static_selectorELNS0_4arch9wavefront6targetE0EEEvSG_.kd
    .uniform_work_group_size: 1
    .uses_dynamic_stack: false
    .vgpr_count:     0
    .vgpr_spill_count: 0
    .wavefront_size: 32
  - .args:
      - .offset:         0
        .size:           88
        .value_kind:     by_value
    .group_segment_fixed_size: 0
    .kernarg_segment_align: 8
    .kernarg_segment_size: 88
    .language:       OpenCL C
    .language_version:
      - 2
      - 0
    .max_flat_workgroup_size: 512
    .name:           _ZN7rocprim17ROCPRIM_400000_NS6detail17trampoline_kernelINS0_14default_configENS1_35radix_sort_onesweep_config_selectorIbNS0_10empty_typeEEEZZNS1_29radix_sort_onesweep_iterationIS3_Lb0EPKbPbPS5_SB_mNS0_19identity_decomposerENS1_16block_id_wrapperIjLb0EEEEE10hipError_tT1_PNSt15iterator_traitsISG_E10value_typeET2_T3_PNSH_ISM_E10value_typeET4_T5_PSR_SS_PNS1_23onesweep_lookback_stateEbbT6_jjT7_P12ihipStream_tbENKUlT_T0_SG_SL_E_clIS9_SA_SB_SB_EEDaSZ_S10_SG_SL_EUlSZ_E_NS1_11comp_targetILNS1_3genE2ELNS1_11target_archE906ELNS1_3gpuE6ELNS1_3repE0EEENS1_47radix_sort_onesweep_sort_config_static_selectorELNS0_4arch9wavefront6targetE0EEEvSG_
    .private_segment_fixed_size: 0
    .sgpr_count:     0
    .sgpr_spill_count: 0
    .symbol:         _ZN7rocprim17ROCPRIM_400000_NS6detail17trampoline_kernelINS0_14default_configENS1_35radix_sort_onesweep_config_selectorIbNS0_10empty_typeEEEZZNS1_29radix_sort_onesweep_iterationIS3_Lb0EPKbPbPS5_SB_mNS0_19identity_decomposerENS1_16block_id_wrapperIjLb0EEEEE10hipError_tT1_PNSt15iterator_traitsISG_E10value_typeET2_T3_PNSH_ISM_E10value_typeET4_T5_PSR_SS_PNS1_23onesweep_lookback_stateEbbT6_jjT7_P12ihipStream_tbENKUlT_T0_SG_SL_E_clIS9_SA_SB_SB_EEDaSZ_S10_SG_SL_EUlSZ_E_NS1_11comp_targetILNS1_3genE2ELNS1_11target_archE906ELNS1_3gpuE6ELNS1_3repE0EEENS1_47radix_sort_onesweep_sort_config_static_selectorELNS0_4arch9wavefront6targetE0EEEvSG_.kd
    .uniform_work_group_size: 1
    .uses_dynamic_stack: false
    .vgpr_count:     0
    .vgpr_spill_count: 0
    .wavefront_size: 32
  - .args:
      - .offset:         0
        .size:           88
        .value_kind:     by_value
    .group_segment_fixed_size: 0
    .kernarg_segment_align: 8
    .kernarg_segment_size: 88
    .language:       OpenCL C
    .language_version:
      - 2
      - 0
    .max_flat_workgroup_size: 512
    .name:           _ZN7rocprim17ROCPRIM_400000_NS6detail17trampoline_kernelINS0_14default_configENS1_35radix_sort_onesweep_config_selectorIbNS0_10empty_typeEEEZZNS1_29radix_sort_onesweep_iterationIS3_Lb0EPKbPbPS5_SB_mNS0_19identity_decomposerENS1_16block_id_wrapperIjLb0EEEEE10hipError_tT1_PNSt15iterator_traitsISG_E10value_typeET2_T3_PNSH_ISM_E10value_typeET4_T5_PSR_SS_PNS1_23onesweep_lookback_stateEbbT6_jjT7_P12ihipStream_tbENKUlT_T0_SG_SL_E_clIS9_SA_SB_SB_EEDaSZ_S10_SG_SL_EUlSZ_E_NS1_11comp_targetILNS1_3genE4ELNS1_11target_archE910ELNS1_3gpuE8ELNS1_3repE0EEENS1_47radix_sort_onesweep_sort_config_static_selectorELNS0_4arch9wavefront6targetE0EEEvSG_
    .private_segment_fixed_size: 0
    .sgpr_count:     0
    .sgpr_spill_count: 0
    .symbol:         _ZN7rocprim17ROCPRIM_400000_NS6detail17trampoline_kernelINS0_14default_configENS1_35radix_sort_onesweep_config_selectorIbNS0_10empty_typeEEEZZNS1_29radix_sort_onesweep_iterationIS3_Lb0EPKbPbPS5_SB_mNS0_19identity_decomposerENS1_16block_id_wrapperIjLb0EEEEE10hipError_tT1_PNSt15iterator_traitsISG_E10value_typeET2_T3_PNSH_ISM_E10value_typeET4_T5_PSR_SS_PNS1_23onesweep_lookback_stateEbbT6_jjT7_P12ihipStream_tbENKUlT_T0_SG_SL_E_clIS9_SA_SB_SB_EEDaSZ_S10_SG_SL_EUlSZ_E_NS1_11comp_targetILNS1_3genE4ELNS1_11target_archE910ELNS1_3gpuE8ELNS1_3repE0EEENS1_47radix_sort_onesweep_sort_config_static_selectorELNS0_4arch9wavefront6targetE0EEEvSG_.kd
    .uniform_work_group_size: 1
    .uses_dynamic_stack: false
    .vgpr_count:     0
    .vgpr_spill_count: 0
    .wavefront_size: 32
  - .args:
      - .offset:         0
        .size:           88
        .value_kind:     by_value
    .group_segment_fixed_size: 0
    .kernarg_segment_align: 8
    .kernarg_segment_size: 88
    .language:       OpenCL C
    .language_version:
      - 2
      - 0
    .max_flat_workgroup_size: 1024
    .name:           _ZN7rocprim17ROCPRIM_400000_NS6detail17trampoline_kernelINS0_14default_configENS1_35radix_sort_onesweep_config_selectorIbNS0_10empty_typeEEEZZNS1_29radix_sort_onesweep_iterationIS3_Lb0EPKbPbPS5_SB_mNS0_19identity_decomposerENS1_16block_id_wrapperIjLb0EEEEE10hipError_tT1_PNSt15iterator_traitsISG_E10value_typeET2_T3_PNSH_ISM_E10value_typeET4_T5_PSR_SS_PNS1_23onesweep_lookback_stateEbbT6_jjT7_P12ihipStream_tbENKUlT_T0_SG_SL_E_clIS9_SA_SB_SB_EEDaSZ_S10_SG_SL_EUlSZ_E_NS1_11comp_targetILNS1_3genE3ELNS1_11target_archE908ELNS1_3gpuE7ELNS1_3repE0EEENS1_47radix_sort_onesweep_sort_config_static_selectorELNS0_4arch9wavefront6targetE0EEEvSG_
    .private_segment_fixed_size: 0
    .sgpr_count:     0
    .sgpr_spill_count: 0
    .symbol:         _ZN7rocprim17ROCPRIM_400000_NS6detail17trampoline_kernelINS0_14default_configENS1_35radix_sort_onesweep_config_selectorIbNS0_10empty_typeEEEZZNS1_29radix_sort_onesweep_iterationIS3_Lb0EPKbPbPS5_SB_mNS0_19identity_decomposerENS1_16block_id_wrapperIjLb0EEEEE10hipError_tT1_PNSt15iterator_traitsISG_E10value_typeET2_T3_PNSH_ISM_E10value_typeET4_T5_PSR_SS_PNS1_23onesweep_lookback_stateEbbT6_jjT7_P12ihipStream_tbENKUlT_T0_SG_SL_E_clIS9_SA_SB_SB_EEDaSZ_S10_SG_SL_EUlSZ_E_NS1_11comp_targetILNS1_3genE3ELNS1_11target_archE908ELNS1_3gpuE7ELNS1_3repE0EEENS1_47radix_sort_onesweep_sort_config_static_selectorELNS0_4arch9wavefront6targetE0EEEvSG_.kd
    .uniform_work_group_size: 1
    .uses_dynamic_stack: false
    .vgpr_count:     0
    .vgpr_spill_count: 0
    .wavefront_size: 32
  - .args:
      - .offset:         0
        .size:           88
        .value_kind:     by_value
    .group_segment_fixed_size: 0
    .kernarg_segment_align: 8
    .kernarg_segment_size: 88
    .language:       OpenCL C
    .language_version:
      - 2
      - 0
    .max_flat_workgroup_size: 256
    .name:           _ZN7rocprim17ROCPRIM_400000_NS6detail17trampoline_kernelINS0_14default_configENS1_35radix_sort_onesweep_config_selectorIbNS0_10empty_typeEEEZZNS1_29radix_sort_onesweep_iterationIS3_Lb0EPKbPbPS5_SB_mNS0_19identity_decomposerENS1_16block_id_wrapperIjLb0EEEEE10hipError_tT1_PNSt15iterator_traitsISG_E10value_typeET2_T3_PNSH_ISM_E10value_typeET4_T5_PSR_SS_PNS1_23onesweep_lookback_stateEbbT6_jjT7_P12ihipStream_tbENKUlT_T0_SG_SL_E_clIS9_SA_SB_SB_EEDaSZ_S10_SG_SL_EUlSZ_E_NS1_11comp_targetILNS1_3genE10ELNS1_11target_archE1201ELNS1_3gpuE5ELNS1_3repE0EEENS1_47radix_sort_onesweep_sort_config_static_selectorELNS0_4arch9wavefront6targetE0EEEvSG_
    .private_segment_fixed_size: 0
    .sgpr_count:     0
    .sgpr_spill_count: 0
    .symbol:         _ZN7rocprim17ROCPRIM_400000_NS6detail17trampoline_kernelINS0_14default_configENS1_35radix_sort_onesweep_config_selectorIbNS0_10empty_typeEEEZZNS1_29radix_sort_onesweep_iterationIS3_Lb0EPKbPbPS5_SB_mNS0_19identity_decomposerENS1_16block_id_wrapperIjLb0EEEEE10hipError_tT1_PNSt15iterator_traitsISG_E10value_typeET2_T3_PNSH_ISM_E10value_typeET4_T5_PSR_SS_PNS1_23onesweep_lookback_stateEbbT6_jjT7_P12ihipStream_tbENKUlT_T0_SG_SL_E_clIS9_SA_SB_SB_EEDaSZ_S10_SG_SL_EUlSZ_E_NS1_11comp_targetILNS1_3genE10ELNS1_11target_archE1201ELNS1_3gpuE5ELNS1_3repE0EEENS1_47radix_sort_onesweep_sort_config_static_selectorELNS0_4arch9wavefront6targetE0EEEvSG_.kd
    .uniform_work_group_size: 1
    .uses_dynamic_stack: false
    .vgpr_count:     0
    .vgpr_spill_count: 0
    .wavefront_size: 32
  - .args:
      - .offset:         0
        .size:           88
        .value_kind:     by_value
    .group_segment_fixed_size: 0
    .kernarg_segment_align: 8
    .kernarg_segment_size: 88
    .language:       OpenCL C
    .language_version:
      - 2
      - 0
    .max_flat_workgroup_size: 256
    .name:           _ZN7rocprim17ROCPRIM_400000_NS6detail17trampoline_kernelINS0_14default_configENS1_35radix_sort_onesweep_config_selectorIbNS0_10empty_typeEEEZZNS1_29radix_sort_onesweep_iterationIS3_Lb0EPKbPbPS5_SB_mNS0_19identity_decomposerENS1_16block_id_wrapperIjLb0EEEEE10hipError_tT1_PNSt15iterator_traitsISG_E10value_typeET2_T3_PNSH_ISM_E10value_typeET4_T5_PSR_SS_PNS1_23onesweep_lookback_stateEbbT6_jjT7_P12ihipStream_tbENKUlT_T0_SG_SL_E_clIS9_SA_SB_SB_EEDaSZ_S10_SG_SL_EUlSZ_E_NS1_11comp_targetILNS1_3genE9ELNS1_11target_archE1100ELNS1_3gpuE3ELNS1_3repE0EEENS1_47radix_sort_onesweep_sort_config_static_selectorELNS0_4arch9wavefront6targetE0EEEvSG_
    .private_segment_fixed_size: 0
    .sgpr_count:     0
    .sgpr_spill_count: 0
    .symbol:         _ZN7rocprim17ROCPRIM_400000_NS6detail17trampoline_kernelINS0_14default_configENS1_35radix_sort_onesweep_config_selectorIbNS0_10empty_typeEEEZZNS1_29radix_sort_onesweep_iterationIS3_Lb0EPKbPbPS5_SB_mNS0_19identity_decomposerENS1_16block_id_wrapperIjLb0EEEEE10hipError_tT1_PNSt15iterator_traitsISG_E10value_typeET2_T3_PNSH_ISM_E10value_typeET4_T5_PSR_SS_PNS1_23onesweep_lookback_stateEbbT6_jjT7_P12ihipStream_tbENKUlT_T0_SG_SL_E_clIS9_SA_SB_SB_EEDaSZ_S10_SG_SL_EUlSZ_E_NS1_11comp_targetILNS1_3genE9ELNS1_11target_archE1100ELNS1_3gpuE3ELNS1_3repE0EEENS1_47radix_sort_onesweep_sort_config_static_selectorELNS0_4arch9wavefront6targetE0EEEvSG_.kd
    .uniform_work_group_size: 1
    .uses_dynamic_stack: false
    .vgpr_count:     0
    .vgpr_spill_count: 0
    .wavefront_size: 32
  - .args:
      - .offset:         0
        .size:           88
        .value_kind:     by_value
    .group_segment_fixed_size: 0
    .kernarg_segment_align: 8
    .kernarg_segment_size: 88
    .language:       OpenCL C
    .language_version:
      - 2
      - 0
    .max_flat_workgroup_size: 256
    .name:           _ZN7rocprim17ROCPRIM_400000_NS6detail17trampoline_kernelINS0_14default_configENS1_35radix_sort_onesweep_config_selectorIbNS0_10empty_typeEEEZZNS1_29radix_sort_onesweep_iterationIS3_Lb0EPKbPbPS5_SB_mNS0_19identity_decomposerENS1_16block_id_wrapperIjLb0EEEEE10hipError_tT1_PNSt15iterator_traitsISG_E10value_typeET2_T3_PNSH_ISM_E10value_typeET4_T5_PSR_SS_PNS1_23onesweep_lookback_stateEbbT6_jjT7_P12ihipStream_tbENKUlT_T0_SG_SL_E_clIS9_SA_SB_SB_EEDaSZ_S10_SG_SL_EUlSZ_E_NS1_11comp_targetILNS1_3genE8ELNS1_11target_archE1030ELNS1_3gpuE2ELNS1_3repE0EEENS1_47radix_sort_onesweep_sort_config_static_selectorELNS0_4arch9wavefront6targetE0EEEvSG_
    .private_segment_fixed_size: 0
    .sgpr_count:     0
    .sgpr_spill_count: 0
    .symbol:         _ZN7rocprim17ROCPRIM_400000_NS6detail17trampoline_kernelINS0_14default_configENS1_35radix_sort_onesweep_config_selectorIbNS0_10empty_typeEEEZZNS1_29radix_sort_onesweep_iterationIS3_Lb0EPKbPbPS5_SB_mNS0_19identity_decomposerENS1_16block_id_wrapperIjLb0EEEEE10hipError_tT1_PNSt15iterator_traitsISG_E10value_typeET2_T3_PNSH_ISM_E10value_typeET4_T5_PSR_SS_PNS1_23onesweep_lookback_stateEbbT6_jjT7_P12ihipStream_tbENKUlT_T0_SG_SL_E_clIS9_SA_SB_SB_EEDaSZ_S10_SG_SL_EUlSZ_E_NS1_11comp_targetILNS1_3genE8ELNS1_11target_archE1030ELNS1_3gpuE2ELNS1_3repE0EEENS1_47radix_sort_onesweep_sort_config_static_selectorELNS0_4arch9wavefront6targetE0EEEvSG_.kd
    .uniform_work_group_size: 1
    .uses_dynamic_stack: false
    .vgpr_count:     0
    .vgpr_spill_count: 0
    .wavefront_size: 32
  - .args:
      - .offset:         0
        .size:           88
        .value_kind:     by_value
      - .offset:         88
        .size:           4
        .value_kind:     hidden_block_count_x
      - .offset:         92
        .size:           4
        .value_kind:     hidden_block_count_y
      - .offset:         96
        .size:           4
        .value_kind:     hidden_block_count_z
      - .offset:         100
        .size:           2
        .value_kind:     hidden_group_size_x
      - .offset:         102
        .size:           2
        .value_kind:     hidden_group_size_y
      - .offset:         104
        .size:           2
        .value_kind:     hidden_group_size_z
      - .offset:         106
        .size:           2
        .value_kind:     hidden_remainder_x
      - .offset:         108
        .size:           2
        .value_kind:     hidden_remainder_y
      - .offset:         110
        .size:           2
        .value_kind:     hidden_remainder_z
      - .offset:         128
        .size:           8
        .value_kind:     hidden_global_offset_x
      - .offset:         136
        .size:           8
        .value_kind:     hidden_global_offset_y
      - .offset:         144
        .size:           8
        .value_kind:     hidden_global_offset_z
      - .offset:         152
        .size:           2
        .value_kind:     hidden_grid_dims
    .group_segment_fixed_size: 32904
    .kernarg_segment_align: 8
    .kernarg_segment_size: 344
    .language:       OpenCL C
    .language_version:
      - 2
      - 0
    .max_flat_workgroup_size: 1024
    .name:           _ZN7rocprim17ROCPRIM_400000_NS6detail17trampoline_kernelINS0_14default_configENS1_35radix_sort_onesweep_config_selectorIbNS0_10empty_typeEEEZZNS1_29radix_sort_onesweep_iterationIS3_Lb0EPKbPbPS5_SB_mNS0_19identity_decomposerENS1_16block_id_wrapperIjLb0EEEEE10hipError_tT1_PNSt15iterator_traitsISG_E10value_typeET2_T3_PNSH_ISM_E10value_typeET4_T5_PSR_SS_PNS1_23onesweep_lookback_stateEbbT6_jjT7_P12ihipStream_tbENKUlT_T0_SG_SL_E_clISA_SA_SB_SB_EEDaSZ_S10_SG_SL_EUlSZ_E_NS1_11comp_targetILNS1_3genE0ELNS1_11target_archE4294967295ELNS1_3gpuE0ELNS1_3repE0EEENS1_47radix_sort_onesweep_sort_config_static_selectorELNS0_4arch9wavefront6targetE0EEEvSG_
    .private_segment_fixed_size: 0
    .sgpr_count:     27
    .sgpr_spill_count: 0
    .symbol:         _ZN7rocprim17ROCPRIM_400000_NS6detail17trampoline_kernelINS0_14default_configENS1_35radix_sort_onesweep_config_selectorIbNS0_10empty_typeEEEZZNS1_29radix_sort_onesweep_iterationIS3_Lb0EPKbPbPS5_SB_mNS0_19identity_decomposerENS1_16block_id_wrapperIjLb0EEEEE10hipError_tT1_PNSt15iterator_traitsISG_E10value_typeET2_T3_PNSH_ISM_E10value_typeET4_T5_PSR_SS_PNS1_23onesweep_lookback_stateEbbT6_jjT7_P12ihipStream_tbENKUlT_T0_SG_SL_E_clISA_SA_SB_SB_EEDaSZ_S10_SG_SL_EUlSZ_E_NS1_11comp_targetILNS1_3genE0ELNS1_11target_archE4294967295ELNS1_3gpuE0ELNS1_3repE0EEENS1_47radix_sort_onesweep_sort_config_static_selectorELNS0_4arch9wavefront6targetE0EEEvSG_.kd
    .uniform_work_group_size: 1
    .uses_dynamic_stack: false
    .vgpr_count:     79
    .vgpr_spill_count: 0
    .wavefront_size: 32
  - .args:
      - .offset:         0
        .size:           88
        .value_kind:     by_value
    .group_segment_fixed_size: 0
    .kernarg_segment_align: 8
    .kernarg_segment_size: 88
    .language:       OpenCL C
    .language_version:
      - 2
      - 0
    .max_flat_workgroup_size: 1024
    .name:           _ZN7rocprim17ROCPRIM_400000_NS6detail17trampoline_kernelINS0_14default_configENS1_35radix_sort_onesweep_config_selectorIbNS0_10empty_typeEEEZZNS1_29radix_sort_onesweep_iterationIS3_Lb0EPKbPbPS5_SB_mNS0_19identity_decomposerENS1_16block_id_wrapperIjLb0EEEEE10hipError_tT1_PNSt15iterator_traitsISG_E10value_typeET2_T3_PNSH_ISM_E10value_typeET4_T5_PSR_SS_PNS1_23onesweep_lookback_stateEbbT6_jjT7_P12ihipStream_tbENKUlT_T0_SG_SL_E_clISA_SA_SB_SB_EEDaSZ_S10_SG_SL_EUlSZ_E_NS1_11comp_targetILNS1_3genE6ELNS1_11target_archE950ELNS1_3gpuE13ELNS1_3repE0EEENS1_47radix_sort_onesweep_sort_config_static_selectorELNS0_4arch9wavefront6targetE0EEEvSG_
    .private_segment_fixed_size: 0
    .sgpr_count:     0
    .sgpr_spill_count: 0
    .symbol:         _ZN7rocprim17ROCPRIM_400000_NS6detail17trampoline_kernelINS0_14default_configENS1_35radix_sort_onesweep_config_selectorIbNS0_10empty_typeEEEZZNS1_29radix_sort_onesweep_iterationIS3_Lb0EPKbPbPS5_SB_mNS0_19identity_decomposerENS1_16block_id_wrapperIjLb0EEEEE10hipError_tT1_PNSt15iterator_traitsISG_E10value_typeET2_T3_PNSH_ISM_E10value_typeET4_T5_PSR_SS_PNS1_23onesweep_lookback_stateEbbT6_jjT7_P12ihipStream_tbENKUlT_T0_SG_SL_E_clISA_SA_SB_SB_EEDaSZ_S10_SG_SL_EUlSZ_E_NS1_11comp_targetILNS1_3genE6ELNS1_11target_archE950ELNS1_3gpuE13ELNS1_3repE0EEENS1_47radix_sort_onesweep_sort_config_static_selectorELNS0_4arch9wavefront6targetE0EEEvSG_.kd
    .uniform_work_group_size: 1
    .uses_dynamic_stack: false
    .vgpr_count:     0
    .vgpr_spill_count: 0
    .wavefront_size: 32
  - .args:
      - .offset:         0
        .size:           88
        .value_kind:     by_value
    .group_segment_fixed_size: 0
    .kernarg_segment_align: 8
    .kernarg_segment_size: 88
    .language:       OpenCL C
    .language_version:
      - 2
      - 0
    .max_flat_workgroup_size: 1024
    .name:           _ZN7rocprim17ROCPRIM_400000_NS6detail17trampoline_kernelINS0_14default_configENS1_35radix_sort_onesweep_config_selectorIbNS0_10empty_typeEEEZZNS1_29radix_sort_onesweep_iterationIS3_Lb0EPKbPbPS5_SB_mNS0_19identity_decomposerENS1_16block_id_wrapperIjLb0EEEEE10hipError_tT1_PNSt15iterator_traitsISG_E10value_typeET2_T3_PNSH_ISM_E10value_typeET4_T5_PSR_SS_PNS1_23onesweep_lookback_stateEbbT6_jjT7_P12ihipStream_tbENKUlT_T0_SG_SL_E_clISA_SA_SB_SB_EEDaSZ_S10_SG_SL_EUlSZ_E_NS1_11comp_targetILNS1_3genE5ELNS1_11target_archE942ELNS1_3gpuE9ELNS1_3repE0EEENS1_47radix_sort_onesweep_sort_config_static_selectorELNS0_4arch9wavefront6targetE0EEEvSG_
    .private_segment_fixed_size: 0
    .sgpr_count:     0
    .sgpr_spill_count: 0
    .symbol:         _ZN7rocprim17ROCPRIM_400000_NS6detail17trampoline_kernelINS0_14default_configENS1_35radix_sort_onesweep_config_selectorIbNS0_10empty_typeEEEZZNS1_29radix_sort_onesweep_iterationIS3_Lb0EPKbPbPS5_SB_mNS0_19identity_decomposerENS1_16block_id_wrapperIjLb0EEEEE10hipError_tT1_PNSt15iterator_traitsISG_E10value_typeET2_T3_PNSH_ISM_E10value_typeET4_T5_PSR_SS_PNS1_23onesweep_lookback_stateEbbT6_jjT7_P12ihipStream_tbENKUlT_T0_SG_SL_E_clISA_SA_SB_SB_EEDaSZ_S10_SG_SL_EUlSZ_E_NS1_11comp_targetILNS1_3genE5ELNS1_11target_archE942ELNS1_3gpuE9ELNS1_3repE0EEENS1_47radix_sort_onesweep_sort_config_static_selectorELNS0_4arch9wavefront6targetE0EEEvSG_.kd
    .uniform_work_group_size: 1
    .uses_dynamic_stack: false
    .vgpr_count:     0
    .vgpr_spill_count: 0
    .wavefront_size: 32
  - .args:
      - .offset:         0
        .size:           88
        .value_kind:     by_value
    .group_segment_fixed_size: 0
    .kernarg_segment_align: 8
    .kernarg_segment_size: 88
    .language:       OpenCL C
    .language_version:
      - 2
      - 0
    .max_flat_workgroup_size: 512
    .name:           _ZN7rocprim17ROCPRIM_400000_NS6detail17trampoline_kernelINS0_14default_configENS1_35radix_sort_onesweep_config_selectorIbNS0_10empty_typeEEEZZNS1_29radix_sort_onesweep_iterationIS3_Lb0EPKbPbPS5_SB_mNS0_19identity_decomposerENS1_16block_id_wrapperIjLb0EEEEE10hipError_tT1_PNSt15iterator_traitsISG_E10value_typeET2_T3_PNSH_ISM_E10value_typeET4_T5_PSR_SS_PNS1_23onesweep_lookback_stateEbbT6_jjT7_P12ihipStream_tbENKUlT_T0_SG_SL_E_clISA_SA_SB_SB_EEDaSZ_S10_SG_SL_EUlSZ_E_NS1_11comp_targetILNS1_3genE2ELNS1_11target_archE906ELNS1_3gpuE6ELNS1_3repE0EEENS1_47radix_sort_onesweep_sort_config_static_selectorELNS0_4arch9wavefront6targetE0EEEvSG_
    .private_segment_fixed_size: 0
    .sgpr_count:     0
    .sgpr_spill_count: 0
    .symbol:         _ZN7rocprim17ROCPRIM_400000_NS6detail17trampoline_kernelINS0_14default_configENS1_35radix_sort_onesweep_config_selectorIbNS0_10empty_typeEEEZZNS1_29radix_sort_onesweep_iterationIS3_Lb0EPKbPbPS5_SB_mNS0_19identity_decomposerENS1_16block_id_wrapperIjLb0EEEEE10hipError_tT1_PNSt15iterator_traitsISG_E10value_typeET2_T3_PNSH_ISM_E10value_typeET4_T5_PSR_SS_PNS1_23onesweep_lookback_stateEbbT6_jjT7_P12ihipStream_tbENKUlT_T0_SG_SL_E_clISA_SA_SB_SB_EEDaSZ_S10_SG_SL_EUlSZ_E_NS1_11comp_targetILNS1_3genE2ELNS1_11target_archE906ELNS1_3gpuE6ELNS1_3repE0EEENS1_47radix_sort_onesweep_sort_config_static_selectorELNS0_4arch9wavefront6targetE0EEEvSG_.kd
    .uniform_work_group_size: 1
    .uses_dynamic_stack: false
    .vgpr_count:     0
    .vgpr_spill_count: 0
    .wavefront_size: 32
  - .args:
      - .offset:         0
        .size:           88
        .value_kind:     by_value
    .group_segment_fixed_size: 0
    .kernarg_segment_align: 8
    .kernarg_segment_size: 88
    .language:       OpenCL C
    .language_version:
      - 2
      - 0
    .max_flat_workgroup_size: 512
    .name:           _ZN7rocprim17ROCPRIM_400000_NS6detail17trampoline_kernelINS0_14default_configENS1_35radix_sort_onesweep_config_selectorIbNS0_10empty_typeEEEZZNS1_29radix_sort_onesweep_iterationIS3_Lb0EPKbPbPS5_SB_mNS0_19identity_decomposerENS1_16block_id_wrapperIjLb0EEEEE10hipError_tT1_PNSt15iterator_traitsISG_E10value_typeET2_T3_PNSH_ISM_E10value_typeET4_T5_PSR_SS_PNS1_23onesweep_lookback_stateEbbT6_jjT7_P12ihipStream_tbENKUlT_T0_SG_SL_E_clISA_SA_SB_SB_EEDaSZ_S10_SG_SL_EUlSZ_E_NS1_11comp_targetILNS1_3genE4ELNS1_11target_archE910ELNS1_3gpuE8ELNS1_3repE0EEENS1_47radix_sort_onesweep_sort_config_static_selectorELNS0_4arch9wavefront6targetE0EEEvSG_
    .private_segment_fixed_size: 0
    .sgpr_count:     0
    .sgpr_spill_count: 0
    .symbol:         _ZN7rocprim17ROCPRIM_400000_NS6detail17trampoline_kernelINS0_14default_configENS1_35radix_sort_onesweep_config_selectorIbNS0_10empty_typeEEEZZNS1_29radix_sort_onesweep_iterationIS3_Lb0EPKbPbPS5_SB_mNS0_19identity_decomposerENS1_16block_id_wrapperIjLb0EEEEE10hipError_tT1_PNSt15iterator_traitsISG_E10value_typeET2_T3_PNSH_ISM_E10value_typeET4_T5_PSR_SS_PNS1_23onesweep_lookback_stateEbbT6_jjT7_P12ihipStream_tbENKUlT_T0_SG_SL_E_clISA_SA_SB_SB_EEDaSZ_S10_SG_SL_EUlSZ_E_NS1_11comp_targetILNS1_3genE4ELNS1_11target_archE910ELNS1_3gpuE8ELNS1_3repE0EEENS1_47radix_sort_onesweep_sort_config_static_selectorELNS0_4arch9wavefront6targetE0EEEvSG_.kd
    .uniform_work_group_size: 1
    .uses_dynamic_stack: false
    .vgpr_count:     0
    .vgpr_spill_count: 0
    .wavefront_size: 32
  - .args:
      - .offset:         0
        .size:           88
        .value_kind:     by_value
    .group_segment_fixed_size: 0
    .kernarg_segment_align: 8
    .kernarg_segment_size: 88
    .language:       OpenCL C
    .language_version:
      - 2
      - 0
    .max_flat_workgroup_size: 1024
    .name:           _ZN7rocprim17ROCPRIM_400000_NS6detail17trampoline_kernelINS0_14default_configENS1_35radix_sort_onesweep_config_selectorIbNS0_10empty_typeEEEZZNS1_29radix_sort_onesweep_iterationIS3_Lb0EPKbPbPS5_SB_mNS0_19identity_decomposerENS1_16block_id_wrapperIjLb0EEEEE10hipError_tT1_PNSt15iterator_traitsISG_E10value_typeET2_T3_PNSH_ISM_E10value_typeET4_T5_PSR_SS_PNS1_23onesweep_lookback_stateEbbT6_jjT7_P12ihipStream_tbENKUlT_T0_SG_SL_E_clISA_SA_SB_SB_EEDaSZ_S10_SG_SL_EUlSZ_E_NS1_11comp_targetILNS1_3genE3ELNS1_11target_archE908ELNS1_3gpuE7ELNS1_3repE0EEENS1_47radix_sort_onesweep_sort_config_static_selectorELNS0_4arch9wavefront6targetE0EEEvSG_
    .private_segment_fixed_size: 0
    .sgpr_count:     0
    .sgpr_spill_count: 0
    .symbol:         _ZN7rocprim17ROCPRIM_400000_NS6detail17trampoline_kernelINS0_14default_configENS1_35radix_sort_onesweep_config_selectorIbNS0_10empty_typeEEEZZNS1_29radix_sort_onesweep_iterationIS3_Lb0EPKbPbPS5_SB_mNS0_19identity_decomposerENS1_16block_id_wrapperIjLb0EEEEE10hipError_tT1_PNSt15iterator_traitsISG_E10value_typeET2_T3_PNSH_ISM_E10value_typeET4_T5_PSR_SS_PNS1_23onesweep_lookback_stateEbbT6_jjT7_P12ihipStream_tbENKUlT_T0_SG_SL_E_clISA_SA_SB_SB_EEDaSZ_S10_SG_SL_EUlSZ_E_NS1_11comp_targetILNS1_3genE3ELNS1_11target_archE908ELNS1_3gpuE7ELNS1_3repE0EEENS1_47radix_sort_onesweep_sort_config_static_selectorELNS0_4arch9wavefront6targetE0EEEvSG_.kd
    .uniform_work_group_size: 1
    .uses_dynamic_stack: false
    .vgpr_count:     0
    .vgpr_spill_count: 0
    .wavefront_size: 32
  - .args:
      - .offset:         0
        .size:           88
        .value_kind:     by_value
    .group_segment_fixed_size: 0
    .kernarg_segment_align: 8
    .kernarg_segment_size: 88
    .language:       OpenCL C
    .language_version:
      - 2
      - 0
    .max_flat_workgroup_size: 256
    .name:           _ZN7rocprim17ROCPRIM_400000_NS6detail17trampoline_kernelINS0_14default_configENS1_35radix_sort_onesweep_config_selectorIbNS0_10empty_typeEEEZZNS1_29radix_sort_onesweep_iterationIS3_Lb0EPKbPbPS5_SB_mNS0_19identity_decomposerENS1_16block_id_wrapperIjLb0EEEEE10hipError_tT1_PNSt15iterator_traitsISG_E10value_typeET2_T3_PNSH_ISM_E10value_typeET4_T5_PSR_SS_PNS1_23onesweep_lookback_stateEbbT6_jjT7_P12ihipStream_tbENKUlT_T0_SG_SL_E_clISA_SA_SB_SB_EEDaSZ_S10_SG_SL_EUlSZ_E_NS1_11comp_targetILNS1_3genE10ELNS1_11target_archE1201ELNS1_3gpuE5ELNS1_3repE0EEENS1_47radix_sort_onesweep_sort_config_static_selectorELNS0_4arch9wavefront6targetE0EEEvSG_
    .private_segment_fixed_size: 0
    .sgpr_count:     0
    .sgpr_spill_count: 0
    .symbol:         _ZN7rocprim17ROCPRIM_400000_NS6detail17trampoline_kernelINS0_14default_configENS1_35radix_sort_onesweep_config_selectorIbNS0_10empty_typeEEEZZNS1_29radix_sort_onesweep_iterationIS3_Lb0EPKbPbPS5_SB_mNS0_19identity_decomposerENS1_16block_id_wrapperIjLb0EEEEE10hipError_tT1_PNSt15iterator_traitsISG_E10value_typeET2_T3_PNSH_ISM_E10value_typeET4_T5_PSR_SS_PNS1_23onesweep_lookback_stateEbbT6_jjT7_P12ihipStream_tbENKUlT_T0_SG_SL_E_clISA_SA_SB_SB_EEDaSZ_S10_SG_SL_EUlSZ_E_NS1_11comp_targetILNS1_3genE10ELNS1_11target_archE1201ELNS1_3gpuE5ELNS1_3repE0EEENS1_47radix_sort_onesweep_sort_config_static_selectorELNS0_4arch9wavefront6targetE0EEEvSG_.kd
    .uniform_work_group_size: 1
    .uses_dynamic_stack: false
    .vgpr_count:     0
    .vgpr_spill_count: 0
    .wavefront_size: 32
  - .args:
      - .offset:         0
        .size:           88
        .value_kind:     by_value
    .group_segment_fixed_size: 0
    .kernarg_segment_align: 8
    .kernarg_segment_size: 88
    .language:       OpenCL C
    .language_version:
      - 2
      - 0
    .max_flat_workgroup_size: 256
    .name:           _ZN7rocprim17ROCPRIM_400000_NS6detail17trampoline_kernelINS0_14default_configENS1_35radix_sort_onesweep_config_selectorIbNS0_10empty_typeEEEZZNS1_29radix_sort_onesweep_iterationIS3_Lb0EPKbPbPS5_SB_mNS0_19identity_decomposerENS1_16block_id_wrapperIjLb0EEEEE10hipError_tT1_PNSt15iterator_traitsISG_E10value_typeET2_T3_PNSH_ISM_E10value_typeET4_T5_PSR_SS_PNS1_23onesweep_lookback_stateEbbT6_jjT7_P12ihipStream_tbENKUlT_T0_SG_SL_E_clISA_SA_SB_SB_EEDaSZ_S10_SG_SL_EUlSZ_E_NS1_11comp_targetILNS1_3genE9ELNS1_11target_archE1100ELNS1_3gpuE3ELNS1_3repE0EEENS1_47radix_sort_onesweep_sort_config_static_selectorELNS0_4arch9wavefront6targetE0EEEvSG_
    .private_segment_fixed_size: 0
    .sgpr_count:     0
    .sgpr_spill_count: 0
    .symbol:         _ZN7rocprim17ROCPRIM_400000_NS6detail17trampoline_kernelINS0_14default_configENS1_35radix_sort_onesweep_config_selectorIbNS0_10empty_typeEEEZZNS1_29radix_sort_onesweep_iterationIS3_Lb0EPKbPbPS5_SB_mNS0_19identity_decomposerENS1_16block_id_wrapperIjLb0EEEEE10hipError_tT1_PNSt15iterator_traitsISG_E10value_typeET2_T3_PNSH_ISM_E10value_typeET4_T5_PSR_SS_PNS1_23onesweep_lookback_stateEbbT6_jjT7_P12ihipStream_tbENKUlT_T0_SG_SL_E_clISA_SA_SB_SB_EEDaSZ_S10_SG_SL_EUlSZ_E_NS1_11comp_targetILNS1_3genE9ELNS1_11target_archE1100ELNS1_3gpuE3ELNS1_3repE0EEENS1_47radix_sort_onesweep_sort_config_static_selectorELNS0_4arch9wavefront6targetE0EEEvSG_.kd
    .uniform_work_group_size: 1
    .uses_dynamic_stack: false
    .vgpr_count:     0
    .vgpr_spill_count: 0
    .wavefront_size: 32
  - .args:
      - .offset:         0
        .size:           88
        .value_kind:     by_value
    .group_segment_fixed_size: 0
    .kernarg_segment_align: 8
    .kernarg_segment_size: 88
    .language:       OpenCL C
    .language_version:
      - 2
      - 0
    .max_flat_workgroup_size: 256
    .name:           _ZN7rocprim17ROCPRIM_400000_NS6detail17trampoline_kernelINS0_14default_configENS1_35radix_sort_onesweep_config_selectorIbNS0_10empty_typeEEEZZNS1_29radix_sort_onesweep_iterationIS3_Lb0EPKbPbPS5_SB_mNS0_19identity_decomposerENS1_16block_id_wrapperIjLb0EEEEE10hipError_tT1_PNSt15iterator_traitsISG_E10value_typeET2_T3_PNSH_ISM_E10value_typeET4_T5_PSR_SS_PNS1_23onesweep_lookback_stateEbbT6_jjT7_P12ihipStream_tbENKUlT_T0_SG_SL_E_clISA_SA_SB_SB_EEDaSZ_S10_SG_SL_EUlSZ_E_NS1_11comp_targetILNS1_3genE8ELNS1_11target_archE1030ELNS1_3gpuE2ELNS1_3repE0EEENS1_47radix_sort_onesweep_sort_config_static_selectorELNS0_4arch9wavefront6targetE0EEEvSG_
    .private_segment_fixed_size: 0
    .sgpr_count:     0
    .sgpr_spill_count: 0
    .symbol:         _ZN7rocprim17ROCPRIM_400000_NS6detail17trampoline_kernelINS0_14default_configENS1_35radix_sort_onesweep_config_selectorIbNS0_10empty_typeEEEZZNS1_29radix_sort_onesweep_iterationIS3_Lb0EPKbPbPS5_SB_mNS0_19identity_decomposerENS1_16block_id_wrapperIjLb0EEEEE10hipError_tT1_PNSt15iterator_traitsISG_E10value_typeET2_T3_PNSH_ISM_E10value_typeET4_T5_PSR_SS_PNS1_23onesweep_lookback_stateEbbT6_jjT7_P12ihipStream_tbENKUlT_T0_SG_SL_E_clISA_SA_SB_SB_EEDaSZ_S10_SG_SL_EUlSZ_E_NS1_11comp_targetILNS1_3genE8ELNS1_11target_archE1030ELNS1_3gpuE2ELNS1_3repE0EEENS1_47radix_sort_onesweep_sort_config_static_selectorELNS0_4arch9wavefront6targetE0EEEvSG_.kd
    .uniform_work_group_size: 1
    .uses_dynamic_stack: false
    .vgpr_count:     0
    .vgpr_spill_count: 0
    .wavefront_size: 32
  - .args:
      - .offset:         0
        .size:           48
        .value_kind:     by_value
      - .offset:         48
        .size:           4
        .value_kind:     hidden_block_count_x
      - .offset:         52
        .size:           4
        .value_kind:     hidden_block_count_y
      - .offset:         56
        .size:           4
        .value_kind:     hidden_block_count_z
      - .offset:         60
        .size:           2
        .value_kind:     hidden_group_size_x
      - .offset:         62
        .size:           2
        .value_kind:     hidden_group_size_y
      - .offset:         64
        .size:           2
        .value_kind:     hidden_group_size_z
      - .offset:         66
        .size:           2
        .value_kind:     hidden_remainder_x
      - .offset:         68
        .size:           2
        .value_kind:     hidden_remainder_y
      - .offset:         70
        .size:           2
        .value_kind:     hidden_remainder_z
      - .offset:         88
        .size:           8
        .value_kind:     hidden_global_offset_x
      - .offset:         96
        .size:           8
        .value_kind:     hidden_global_offset_y
      - .offset:         104
        .size:           8
        .value_kind:     hidden_global_offset_z
      - .offset:         112
        .size:           2
        .value_kind:     hidden_grid_dims
    .group_segment_fixed_size: 8224
    .kernarg_segment_align: 8
    .kernarg_segment_size: 304
    .language:       OpenCL C
    .language_version:
      - 2
      - 0
    .max_flat_workgroup_size: 256
    .name:           _ZN7rocprim17ROCPRIM_400000_NS6detail17trampoline_kernelINS0_13kernel_configILj256ELj4ELj4294967295EEENS1_37radix_sort_block_sort_config_selectorI12hip_bfloat16NS0_10empty_typeEEEZNS1_21radix_sort_block_sortIS4_Lb1EPKS6_PS6_PS7_SD_NS0_19identity_decomposerEEE10hipError_tT1_T2_T3_T4_jRjT5_jjP12ihipStream_tbEUlT_E_NS1_11comp_targetILNS1_3genE0ELNS1_11target_archE4294967295ELNS1_3gpuE0ELNS1_3repE0EEENS1_44radix_sort_block_sort_config_static_selectorELNS0_4arch9wavefront6targetE0EEEvSG_
    .private_segment_fixed_size: 0
    .sgpr_count:     33
    .sgpr_spill_count: 0
    .symbol:         _ZN7rocprim17ROCPRIM_400000_NS6detail17trampoline_kernelINS0_13kernel_configILj256ELj4ELj4294967295EEENS1_37radix_sort_block_sort_config_selectorI12hip_bfloat16NS0_10empty_typeEEEZNS1_21radix_sort_block_sortIS4_Lb1EPKS6_PS6_PS7_SD_NS0_19identity_decomposerEEE10hipError_tT1_T2_T3_T4_jRjT5_jjP12ihipStream_tbEUlT_E_NS1_11comp_targetILNS1_3genE0ELNS1_11target_archE4294967295ELNS1_3gpuE0ELNS1_3repE0EEENS1_44radix_sort_block_sort_config_static_selectorELNS0_4arch9wavefront6targetE0EEEvSG_.kd
    .uniform_work_group_size: 1
    .uses_dynamic_stack: false
    .vgpr_count:     38
    .vgpr_spill_count: 0
    .wavefront_size: 32
  - .args:
      - .offset:         0
        .size:           48
        .value_kind:     by_value
    .group_segment_fixed_size: 0
    .kernarg_segment_align: 8
    .kernarg_segment_size: 48
    .language:       OpenCL C
    .language_version:
      - 2
      - 0
    .max_flat_workgroup_size: 256
    .name:           _ZN7rocprim17ROCPRIM_400000_NS6detail17trampoline_kernelINS0_13kernel_configILj256ELj4ELj4294967295EEENS1_37radix_sort_block_sort_config_selectorI12hip_bfloat16NS0_10empty_typeEEEZNS1_21radix_sort_block_sortIS4_Lb1EPKS6_PS6_PS7_SD_NS0_19identity_decomposerEEE10hipError_tT1_T2_T3_T4_jRjT5_jjP12ihipStream_tbEUlT_E_NS1_11comp_targetILNS1_3genE5ELNS1_11target_archE942ELNS1_3gpuE9ELNS1_3repE0EEENS1_44radix_sort_block_sort_config_static_selectorELNS0_4arch9wavefront6targetE0EEEvSG_
    .private_segment_fixed_size: 0
    .sgpr_count:     0
    .sgpr_spill_count: 0
    .symbol:         _ZN7rocprim17ROCPRIM_400000_NS6detail17trampoline_kernelINS0_13kernel_configILj256ELj4ELj4294967295EEENS1_37radix_sort_block_sort_config_selectorI12hip_bfloat16NS0_10empty_typeEEEZNS1_21radix_sort_block_sortIS4_Lb1EPKS6_PS6_PS7_SD_NS0_19identity_decomposerEEE10hipError_tT1_T2_T3_T4_jRjT5_jjP12ihipStream_tbEUlT_E_NS1_11comp_targetILNS1_3genE5ELNS1_11target_archE942ELNS1_3gpuE9ELNS1_3repE0EEENS1_44radix_sort_block_sort_config_static_selectorELNS0_4arch9wavefront6targetE0EEEvSG_.kd
    .uniform_work_group_size: 1
    .uses_dynamic_stack: false
    .vgpr_count:     0
    .vgpr_spill_count: 0
    .wavefront_size: 32
  - .args:
      - .offset:         0
        .size:           48
        .value_kind:     by_value
    .group_segment_fixed_size: 0
    .kernarg_segment_align: 8
    .kernarg_segment_size: 48
    .language:       OpenCL C
    .language_version:
      - 2
      - 0
    .max_flat_workgroup_size: 256
    .name:           _ZN7rocprim17ROCPRIM_400000_NS6detail17trampoline_kernelINS0_13kernel_configILj256ELj4ELj4294967295EEENS1_37radix_sort_block_sort_config_selectorI12hip_bfloat16NS0_10empty_typeEEEZNS1_21radix_sort_block_sortIS4_Lb1EPKS6_PS6_PS7_SD_NS0_19identity_decomposerEEE10hipError_tT1_T2_T3_T4_jRjT5_jjP12ihipStream_tbEUlT_E_NS1_11comp_targetILNS1_3genE4ELNS1_11target_archE910ELNS1_3gpuE8ELNS1_3repE0EEENS1_44radix_sort_block_sort_config_static_selectorELNS0_4arch9wavefront6targetE0EEEvSG_
    .private_segment_fixed_size: 0
    .sgpr_count:     0
    .sgpr_spill_count: 0
    .symbol:         _ZN7rocprim17ROCPRIM_400000_NS6detail17trampoline_kernelINS0_13kernel_configILj256ELj4ELj4294967295EEENS1_37radix_sort_block_sort_config_selectorI12hip_bfloat16NS0_10empty_typeEEEZNS1_21radix_sort_block_sortIS4_Lb1EPKS6_PS6_PS7_SD_NS0_19identity_decomposerEEE10hipError_tT1_T2_T3_T4_jRjT5_jjP12ihipStream_tbEUlT_E_NS1_11comp_targetILNS1_3genE4ELNS1_11target_archE910ELNS1_3gpuE8ELNS1_3repE0EEENS1_44radix_sort_block_sort_config_static_selectorELNS0_4arch9wavefront6targetE0EEEvSG_.kd
    .uniform_work_group_size: 1
    .uses_dynamic_stack: false
    .vgpr_count:     0
    .vgpr_spill_count: 0
    .wavefront_size: 32
  - .args:
      - .offset:         0
        .size:           48
        .value_kind:     by_value
    .group_segment_fixed_size: 0
    .kernarg_segment_align: 8
    .kernarg_segment_size: 48
    .language:       OpenCL C
    .language_version:
      - 2
      - 0
    .max_flat_workgroup_size: 256
    .name:           _ZN7rocprim17ROCPRIM_400000_NS6detail17trampoline_kernelINS0_13kernel_configILj256ELj4ELj4294967295EEENS1_37radix_sort_block_sort_config_selectorI12hip_bfloat16NS0_10empty_typeEEEZNS1_21radix_sort_block_sortIS4_Lb1EPKS6_PS6_PS7_SD_NS0_19identity_decomposerEEE10hipError_tT1_T2_T3_T4_jRjT5_jjP12ihipStream_tbEUlT_E_NS1_11comp_targetILNS1_3genE3ELNS1_11target_archE908ELNS1_3gpuE7ELNS1_3repE0EEENS1_44radix_sort_block_sort_config_static_selectorELNS0_4arch9wavefront6targetE0EEEvSG_
    .private_segment_fixed_size: 0
    .sgpr_count:     0
    .sgpr_spill_count: 0
    .symbol:         _ZN7rocprim17ROCPRIM_400000_NS6detail17trampoline_kernelINS0_13kernel_configILj256ELj4ELj4294967295EEENS1_37radix_sort_block_sort_config_selectorI12hip_bfloat16NS0_10empty_typeEEEZNS1_21radix_sort_block_sortIS4_Lb1EPKS6_PS6_PS7_SD_NS0_19identity_decomposerEEE10hipError_tT1_T2_T3_T4_jRjT5_jjP12ihipStream_tbEUlT_E_NS1_11comp_targetILNS1_3genE3ELNS1_11target_archE908ELNS1_3gpuE7ELNS1_3repE0EEENS1_44radix_sort_block_sort_config_static_selectorELNS0_4arch9wavefront6targetE0EEEvSG_.kd
    .uniform_work_group_size: 1
    .uses_dynamic_stack: false
    .vgpr_count:     0
    .vgpr_spill_count: 0
    .wavefront_size: 32
  - .args:
      - .offset:         0
        .size:           48
        .value_kind:     by_value
    .group_segment_fixed_size: 0
    .kernarg_segment_align: 8
    .kernarg_segment_size: 48
    .language:       OpenCL C
    .language_version:
      - 2
      - 0
    .max_flat_workgroup_size: 256
    .name:           _ZN7rocprim17ROCPRIM_400000_NS6detail17trampoline_kernelINS0_13kernel_configILj256ELj4ELj4294967295EEENS1_37radix_sort_block_sort_config_selectorI12hip_bfloat16NS0_10empty_typeEEEZNS1_21radix_sort_block_sortIS4_Lb1EPKS6_PS6_PS7_SD_NS0_19identity_decomposerEEE10hipError_tT1_T2_T3_T4_jRjT5_jjP12ihipStream_tbEUlT_E_NS1_11comp_targetILNS1_3genE2ELNS1_11target_archE906ELNS1_3gpuE6ELNS1_3repE0EEENS1_44radix_sort_block_sort_config_static_selectorELNS0_4arch9wavefront6targetE0EEEvSG_
    .private_segment_fixed_size: 0
    .sgpr_count:     0
    .sgpr_spill_count: 0
    .symbol:         _ZN7rocprim17ROCPRIM_400000_NS6detail17trampoline_kernelINS0_13kernel_configILj256ELj4ELj4294967295EEENS1_37radix_sort_block_sort_config_selectorI12hip_bfloat16NS0_10empty_typeEEEZNS1_21radix_sort_block_sortIS4_Lb1EPKS6_PS6_PS7_SD_NS0_19identity_decomposerEEE10hipError_tT1_T2_T3_T4_jRjT5_jjP12ihipStream_tbEUlT_E_NS1_11comp_targetILNS1_3genE2ELNS1_11target_archE906ELNS1_3gpuE6ELNS1_3repE0EEENS1_44radix_sort_block_sort_config_static_selectorELNS0_4arch9wavefront6targetE0EEEvSG_.kd
    .uniform_work_group_size: 1
    .uses_dynamic_stack: false
    .vgpr_count:     0
    .vgpr_spill_count: 0
    .wavefront_size: 32
  - .args:
      - .offset:         0
        .size:           48
        .value_kind:     by_value
    .group_segment_fixed_size: 0
    .kernarg_segment_align: 8
    .kernarg_segment_size: 48
    .language:       OpenCL C
    .language_version:
      - 2
      - 0
    .max_flat_workgroup_size: 256
    .name:           _ZN7rocprim17ROCPRIM_400000_NS6detail17trampoline_kernelINS0_13kernel_configILj256ELj4ELj4294967295EEENS1_37radix_sort_block_sort_config_selectorI12hip_bfloat16NS0_10empty_typeEEEZNS1_21radix_sort_block_sortIS4_Lb1EPKS6_PS6_PS7_SD_NS0_19identity_decomposerEEE10hipError_tT1_T2_T3_T4_jRjT5_jjP12ihipStream_tbEUlT_E_NS1_11comp_targetILNS1_3genE10ELNS1_11target_archE1201ELNS1_3gpuE5ELNS1_3repE0EEENS1_44radix_sort_block_sort_config_static_selectorELNS0_4arch9wavefront6targetE0EEEvSG_
    .private_segment_fixed_size: 0
    .sgpr_count:     0
    .sgpr_spill_count: 0
    .symbol:         _ZN7rocprim17ROCPRIM_400000_NS6detail17trampoline_kernelINS0_13kernel_configILj256ELj4ELj4294967295EEENS1_37radix_sort_block_sort_config_selectorI12hip_bfloat16NS0_10empty_typeEEEZNS1_21radix_sort_block_sortIS4_Lb1EPKS6_PS6_PS7_SD_NS0_19identity_decomposerEEE10hipError_tT1_T2_T3_T4_jRjT5_jjP12ihipStream_tbEUlT_E_NS1_11comp_targetILNS1_3genE10ELNS1_11target_archE1201ELNS1_3gpuE5ELNS1_3repE0EEENS1_44radix_sort_block_sort_config_static_selectorELNS0_4arch9wavefront6targetE0EEEvSG_.kd
    .uniform_work_group_size: 1
    .uses_dynamic_stack: false
    .vgpr_count:     0
    .vgpr_spill_count: 0
    .wavefront_size: 32
  - .args:
      - .offset:         0
        .size:           48
        .value_kind:     by_value
    .group_segment_fixed_size: 0
    .kernarg_segment_align: 8
    .kernarg_segment_size: 48
    .language:       OpenCL C
    .language_version:
      - 2
      - 0
    .max_flat_workgroup_size: 256
    .name:           _ZN7rocprim17ROCPRIM_400000_NS6detail17trampoline_kernelINS0_13kernel_configILj256ELj4ELj4294967295EEENS1_37radix_sort_block_sort_config_selectorI12hip_bfloat16NS0_10empty_typeEEEZNS1_21radix_sort_block_sortIS4_Lb1EPKS6_PS6_PS7_SD_NS0_19identity_decomposerEEE10hipError_tT1_T2_T3_T4_jRjT5_jjP12ihipStream_tbEUlT_E_NS1_11comp_targetILNS1_3genE10ELNS1_11target_archE1200ELNS1_3gpuE4ELNS1_3repE0EEENS1_44radix_sort_block_sort_config_static_selectorELNS0_4arch9wavefront6targetE0EEEvSG_
    .private_segment_fixed_size: 0
    .sgpr_count:     0
    .sgpr_spill_count: 0
    .symbol:         _ZN7rocprim17ROCPRIM_400000_NS6detail17trampoline_kernelINS0_13kernel_configILj256ELj4ELj4294967295EEENS1_37radix_sort_block_sort_config_selectorI12hip_bfloat16NS0_10empty_typeEEEZNS1_21radix_sort_block_sortIS4_Lb1EPKS6_PS6_PS7_SD_NS0_19identity_decomposerEEE10hipError_tT1_T2_T3_T4_jRjT5_jjP12ihipStream_tbEUlT_E_NS1_11comp_targetILNS1_3genE10ELNS1_11target_archE1200ELNS1_3gpuE4ELNS1_3repE0EEENS1_44radix_sort_block_sort_config_static_selectorELNS0_4arch9wavefront6targetE0EEEvSG_.kd
    .uniform_work_group_size: 1
    .uses_dynamic_stack: false
    .vgpr_count:     0
    .vgpr_spill_count: 0
    .wavefront_size: 32
  - .args:
      - .offset:         0
        .size:           48
        .value_kind:     by_value
    .group_segment_fixed_size: 0
    .kernarg_segment_align: 8
    .kernarg_segment_size: 48
    .language:       OpenCL C
    .language_version:
      - 2
      - 0
    .max_flat_workgroup_size: 256
    .name:           _ZN7rocprim17ROCPRIM_400000_NS6detail17trampoline_kernelINS0_13kernel_configILj256ELj4ELj4294967295EEENS1_37radix_sort_block_sort_config_selectorI12hip_bfloat16NS0_10empty_typeEEEZNS1_21radix_sort_block_sortIS4_Lb1EPKS6_PS6_PS7_SD_NS0_19identity_decomposerEEE10hipError_tT1_T2_T3_T4_jRjT5_jjP12ihipStream_tbEUlT_E_NS1_11comp_targetILNS1_3genE9ELNS1_11target_archE1100ELNS1_3gpuE3ELNS1_3repE0EEENS1_44radix_sort_block_sort_config_static_selectorELNS0_4arch9wavefront6targetE0EEEvSG_
    .private_segment_fixed_size: 0
    .sgpr_count:     0
    .sgpr_spill_count: 0
    .symbol:         _ZN7rocprim17ROCPRIM_400000_NS6detail17trampoline_kernelINS0_13kernel_configILj256ELj4ELj4294967295EEENS1_37radix_sort_block_sort_config_selectorI12hip_bfloat16NS0_10empty_typeEEEZNS1_21radix_sort_block_sortIS4_Lb1EPKS6_PS6_PS7_SD_NS0_19identity_decomposerEEE10hipError_tT1_T2_T3_T4_jRjT5_jjP12ihipStream_tbEUlT_E_NS1_11comp_targetILNS1_3genE9ELNS1_11target_archE1100ELNS1_3gpuE3ELNS1_3repE0EEENS1_44radix_sort_block_sort_config_static_selectorELNS0_4arch9wavefront6targetE0EEEvSG_.kd
    .uniform_work_group_size: 1
    .uses_dynamic_stack: false
    .vgpr_count:     0
    .vgpr_spill_count: 0
    .wavefront_size: 32
  - .args:
      - .offset:         0
        .size:           48
        .value_kind:     by_value
    .group_segment_fixed_size: 0
    .kernarg_segment_align: 8
    .kernarg_segment_size: 48
    .language:       OpenCL C
    .language_version:
      - 2
      - 0
    .max_flat_workgroup_size: 256
    .name:           _ZN7rocprim17ROCPRIM_400000_NS6detail17trampoline_kernelINS0_13kernel_configILj256ELj4ELj4294967295EEENS1_37radix_sort_block_sort_config_selectorI12hip_bfloat16NS0_10empty_typeEEEZNS1_21radix_sort_block_sortIS4_Lb1EPKS6_PS6_PS7_SD_NS0_19identity_decomposerEEE10hipError_tT1_T2_T3_T4_jRjT5_jjP12ihipStream_tbEUlT_E_NS1_11comp_targetILNS1_3genE8ELNS1_11target_archE1030ELNS1_3gpuE2ELNS1_3repE0EEENS1_44radix_sort_block_sort_config_static_selectorELNS0_4arch9wavefront6targetE0EEEvSG_
    .private_segment_fixed_size: 0
    .sgpr_count:     0
    .sgpr_spill_count: 0
    .symbol:         _ZN7rocprim17ROCPRIM_400000_NS6detail17trampoline_kernelINS0_13kernel_configILj256ELj4ELj4294967295EEENS1_37radix_sort_block_sort_config_selectorI12hip_bfloat16NS0_10empty_typeEEEZNS1_21radix_sort_block_sortIS4_Lb1EPKS6_PS6_PS7_SD_NS0_19identity_decomposerEEE10hipError_tT1_T2_T3_T4_jRjT5_jjP12ihipStream_tbEUlT_E_NS1_11comp_targetILNS1_3genE8ELNS1_11target_archE1030ELNS1_3gpuE2ELNS1_3repE0EEENS1_44radix_sort_block_sort_config_static_selectorELNS0_4arch9wavefront6targetE0EEEvSG_.kd
    .uniform_work_group_size: 1
    .uses_dynamic_stack: false
    .vgpr_count:     0
    .vgpr_spill_count: 0
    .wavefront_size: 32
  - .args:           []
    .group_segment_fixed_size: 0
    .kernarg_segment_align: 4
    .kernarg_segment_size: 0
    .language:       OpenCL C
    .language_version:
      - 2
      - 0
    .max_flat_workgroup_size: 1024
    .name:           _ZN7rocprim17ROCPRIM_400000_NS6detail44device_merge_sort_compile_time_verifier_archINS1_11comp_targetILNS1_3genE0ELNS1_11target_archE4294967295ELNS1_3gpuE0ELNS1_3repE0EEES8_NS1_28merge_sort_block_sort_configILj256ELj4ELNS0_20block_sort_algorithmE0EEENS0_14default_configENS1_37merge_sort_block_sort_config_selectorI12hip_bfloat16NS0_10empty_typeEEENS1_38merge_sort_block_merge_config_selectorISE_SF_EEEEvv
    .private_segment_fixed_size: 0
    .sgpr_count:     0
    .sgpr_spill_count: 0
    .symbol:         _ZN7rocprim17ROCPRIM_400000_NS6detail44device_merge_sort_compile_time_verifier_archINS1_11comp_targetILNS1_3genE0ELNS1_11target_archE4294967295ELNS1_3gpuE0ELNS1_3repE0EEES8_NS1_28merge_sort_block_sort_configILj256ELj4ELNS0_20block_sort_algorithmE0EEENS0_14default_configENS1_37merge_sort_block_sort_config_selectorI12hip_bfloat16NS0_10empty_typeEEENS1_38merge_sort_block_merge_config_selectorISE_SF_EEEEvv.kd
    .uniform_work_group_size: 1
    .uses_dynamic_stack: false
    .vgpr_count:     0
    .vgpr_spill_count: 0
    .wavefront_size: 32
  - .args:           []
    .group_segment_fixed_size: 0
    .kernarg_segment_align: 4
    .kernarg_segment_size: 0
    .language:       OpenCL C
    .language_version:
      - 2
      - 0
    .max_flat_workgroup_size: 1024
    .name:           _ZN7rocprim17ROCPRIM_400000_NS6detail44device_merge_sort_compile_time_verifier_archINS1_11comp_targetILNS1_3genE5ELNS1_11target_archE942ELNS1_3gpuE9ELNS1_3repE0EEES8_NS1_28merge_sort_block_sort_configILj256ELj4ELNS0_20block_sort_algorithmE0EEENS0_14default_configENS1_37merge_sort_block_sort_config_selectorI12hip_bfloat16NS0_10empty_typeEEENS1_38merge_sort_block_merge_config_selectorISE_SF_EEEEvv
    .private_segment_fixed_size: 0
    .sgpr_count:     0
    .sgpr_spill_count: 0
    .symbol:         _ZN7rocprim17ROCPRIM_400000_NS6detail44device_merge_sort_compile_time_verifier_archINS1_11comp_targetILNS1_3genE5ELNS1_11target_archE942ELNS1_3gpuE9ELNS1_3repE0EEES8_NS1_28merge_sort_block_sort_configILj256ELj4ELNS0_20block_sort_algorithmE0EEENS0_14default_configENS1_37merge_sort_block_sort_config_selectorI12hip_bfloat16NS0_10empty_typeEEENS1_38merge_sort_block_merge_config_selectorISE_SF_EEEEvv.kd
    .uniform_work_group_size: 1
    .uses_dynamic_stack: false
    .vgpr_count:     0
    .vgpr_spill_count: 0
    .wavefront_size: 32
  - .args:           []
    .group_segment_fixed_size: 0
    .kernarg_segment_align: 4
    .kernarg_segment_size: 0
    .language:       OpenCL C
    .language_version:
      - 2
      - 0
    .max_flat_workgroup_size: 1024
    .name:           _ZN7rocprim17ROCPRIM_400000_NS6detail44device_merge_sort_compile_time_verifier_archINS1_11comp_targetILNS1_3genE4ELNS1_11target_archE910ELNS1_3gpuE8ELNS1_3repE0EEES8_NS1_28merge_sort_block_sort_configILj256ELj4ELNS0_20block_sort_algorithmE0EEENS0_14default_configENS1_37merge_sort_block_sort_config_selectorI12hip_bfloat16NS0_10empty_typeEEENS1_38merge_sort_block_merge_config_selectorISE_SF_EEEEvv
    .private_segment_fixed_size: 0
    .sgpr_count:     0
    .sgpr_spill_count: 0
    .symbol:         _ZN7rocprim17ROCPRIM_400000_NS6detail44device_merge_sort_compile_time_verifier_archINS1_11comp_targetILNS1_3genE4ELNS1_11target_archE910ELNS1_3gpuE8ELNS1_3repE0EEES8_NS1_28merge_sort_block_sort_configILj256ELj4ELNS0_20block_sort_algorithmE0EEENS0_14default_configENS1_37merge_sort_block_sort_config_selectorI12hip_bfloat16NS0_10empty_typeEEENS1_38merge_sort_block_merge_config_selectorISE_SF_EEEEvv.kd
    .uniform_work_group_size: 1
    .uses_dynamic_stack: false
    .vgpr_count:     0
    .vgpr_spill_count: 0
    .wavefront_size: 32
  - .args:           []
    .group_segment_fixed_size: 0
    .kernarg_segment_align: 4
    .kernarg_segment_size: 0
    .language:       OpenCL C
    .language_version:
      - 2
      - 0
    .max_flat_workgroup_size: 1024
    .name:           _ZN7rocprim17ROCPRIM_400000_NS6detail44device_merge_sort_compile_time_verifier_archINS1_11comp_targetILNS1_3genE3ELNS1_11target_archE908ELNS1_3gpuE7ELNS1_3repE0EEES8_NS1_28merge_sort_block_sort_configILj256ELj4ELNS0_20block_sort_algorithmE0EEENS0_14default_configENS1_37merge_sort_block_sort_config_selectorI12hip_bfloat16NS0_10empty_typeEEENS1_38merge_sort_block_merge_config_selectorISE_SF_EEEEvv
    .private_segment_fixed_size: 0
    .sgpr_count:     0
    .sgpr_spill_count: 0
    .symbol:         _ZN7rocprim17ROCPRIM_400000_NS6detail44device_merge_sort_compile_time_verifier_archINS1_11comp_targetILNS1_3genE3ELNS1_11target_archE908ELNS1_3gpuE7ELNS1_3repE0EEES8_NS1_28merge_sort_block_sort_configILj256ELj4ELNS0_20block_sort_algorithmE0EEENS0_14default_configENS1_37merge_sort_block_sort_config_selectorI12hip_bfloat16NS0_10empty_typeEEENS1_38merge_sort_block_merge_config_selectorISE_SF_EEEEvv.kd
    .uniform_work_group_size: 1
    .uses_dynamic_stack: false
    .vgpr_count:     0
    .vgpr_spill_count: 0
    .wavefront_size: 32
  - .args:           []
    .group_segment_fixed_size: 0
    .kernarg_segment_align: 4
    .kernarg_segment_size: 0
    .language:       OpenCL C
    .language_version:
      - 2
      - 0
    .max_flat_workgroup_size: 1024
    .name:           _ZN7rocprim17ROCPRIM_400000_NS6detail44device_merge_sort_compile_time_verifier_archINS1_11comp_targetILNS1_3genE2ELNS1_11target_archE906ELNS1_3gpuE6ELNS1_3repE0EEES8_NS1_28merge_sort_block_sort_configILj256ELj4ELNS0_20block_sort_algorithmE0EEENS0_14default_configENS1_37merge_sort_block_sort_config_selectorI12hip_bfloat16NS0_10empty_typeEEENS1_38merge_sort_block_merge_config_selectorISE_SF_EEEEvv
    .private_segment_fixed_size: 0
    .sgpr_count:     0
    .sgpr_spill_count: 0
    .symbol:         _ZN7rocprim17ROCPRIM_400000_NS6detail44device_merge_sort_compile_time_verifier_archINS1_11comp_targetILNS1_3genE2ELNS1_11target_archE906ELNS1_3gpuE6ELNS1_3repE0EEES8_NS1_28merge_sort_block_sort_configILj256ELj4ELNS0_20block_sort_algorithmE0EEENS0_14default_configENS1_37merge_sort_block_sort_config_selectorI12hip_bfloat16NS0_10empty_typeEEENS1_38merge_sort_block_merge_config_selectorISE_SF_EEEEvv.kd
    .uniform_work_group_size: 1
    .uses_dynamic_stack: false
    .vgpr_count:     0
    .vgpr_spill_count: 0
    .wavefront_size: 32
  - .args:           []
    .group_segment_fixed_size: 0
    .kernarg_segment_align: 4
    .kernarg_segment_size: 0
    .language:       OpenCL C
    .language_version:
      - 2
      - 0
    .max_flat_workgroup_size: 1024
    .name:           _ZN7rocprim17ROCPRIM_400000_NS6detail44device_merge_sort_compile_time_verifier_archINS1_11comp_targetILNS1_3genE10ELNS1_11target_archE1201ELNS1_3gpuE5ELNS1_3repE0EEES8_NS1_28merge_sort_block_sort_configILj256ELj4ELNS0_20block_sort_algorithmE0EEENS0_14default_configENS1_37merge_sort_block_sort_config_selectorI12hip_bfloat16NS0_10empty_typeEEENS1_38merge_sort_block_merge_config_selectorISE_SF_EEEEvv
    .private_segment_fixed_size: 0
    .sgpr_count:     0
    .sgpr_spill_count: 0
    .symbol:         _ZN7rocprim17ROCPRIM_400000_NS6detail44device_merge_sort_compile_time_verifier_archINS1_11comp_targetILNS1_3genE10ELNS1_11target_archE1201ELNS1_3gpuE5ELNS1_3repE0EEES8_NS1_28merge_sort_block_sort_configILj256ELj4ELNS0_20block_sort_algorithmE0EEENS0_14default_configENS1_37merge_sort_block_sort_config_selectorI12hip_bfloat16NS0_10empty_typeEEENS1_38merge_sort_block_merge_config_selectorISE_SF_EEEEvv.kd
    .uniform_work_group_size: 1
    .uses_dynamic_stack: false
    .vgpr_count:     0
    .vgpr_spill_count: 0
    .wavefront_size: 32
  - .args:           []
    .group_segment_fixed_size: 0
    .kernarg_segment_align: 4
    .kernarg_segment_size: 0
    .language:       OpenCL C
    .language_version:
      - 2
      - 0
    .max_flat_workgroup_size: 1024
    .name:           _ZN7rocprim17ROCPRIM_400000_NS6detail44device_merge_sort_compile_time_verifier_archINS1_11comp_targetILNS1_3genE10ELNS1_11target_archE1200ELNS1_3gpuE4ELNS1_3repE0EEENS3_ILS4_10ELS5_1201ELS6_5ELS7_0EEENS1_28merge_sort_block_sort_configILj256ELj4ELNS0_20block_sort_algorithmE0EEENS0_14default_configENS1_37merge_sort_block_sort_config_selectorI12hip_bfloat16NS0_10empty_typeEEENS1_38merge_sort_block_merge_config_selectorISF_SG_EEEEvv
    .private_segment_fixed_size: 0
    .sgpr_count:     0
    .sgpr_spill_count: 0
    .symbol:         _ZN7rocprim17ROCPRIM_400000_NS6detail44device_merge_sort_compile_time_verifier_archINS1_11comp_targetILNS1_3genE10ELNS1_11target_archE1200ELNS1_3gpuE4ELNS1_3repE0EEENS3_ILS4_10ELS5_1201ELS6_5ELS7_0EEENS1_28merge_sort_block_sort_configILj256ELj4ELNS0_20block_sort_algorithmE0EEENS0_14default_configENS1_37merge_sort_block_sort_config_selectorI12hip_bfloat16NS0_10empty_typeEEENS1_38merge_sort_block_merge_config_selectorISF_SG_EEEEvv.kd
    .uniform_work_group_size: 1
    .uses_dynamic_stack: false
    .vgpr_count:     0
    .vgpr_spill_count: 0
    .wavefront_size: 32
  - .args:           []
    .group_segment_fixed_size: 0
    .kernarg_segment_align: 4
    .kernarg_segment_size: 0
    .language:       OpenCL C
    .language_version:
      - 2
      - 0
    .max_flat_workgroup_size: 1024
    .name:           _ZN7rocprim17ROCPRIM_400000_NS6detail44device_merge_sort_compile_time_verifier_archINS1_11comp_targetILNS1_3genE9ELNS1_11target_archE1100ELNS1_3gpuE3ELNS1_3repE0EEES8_NS1_28merge_sort_block_sort_configILj256ELj4ELNS0_20block_sort_algorithmE0EEENS0_14default_configENS1_37merge_sort_block_sort_config_selectorI12hip_bfloat16NS0_10empty_typeEEENS1_38merge_sort_block_merge_config_selectorISE_SF_EEEEvv
    .private_segment_fixed_size: 0
    .sgpr_count:     0
    .sgpr_spill_count: 0
    .symbol:         _ZN7rocprim17ROCPRIM_400000_NS6detail44device_merge_sort_compile_time_verifier_archINS1_11comp_targetILNS1_3genE9ELNS1_11target_archE1100ELNS1_3gpuE3ELNS1_3repE0EEES8_NS1_28merge_sort_block_sort_configILj256ELj4ELNS0_20block_sort_algorithmE0EEENS0_14default_configENS1_37merge_sort_block_sort_config_selectorI12hip_bfloat16NS0_10empty_typeEEENS1_38merge_sort_block_merge_config_selectorISE_SF_EEEEvv.kd
    .uniform_work_group_size: 1
    .uses_dynamic_stack: false
    .vgpr_count:     0
    .vgpr_spill_count: 0
    .wavefront_size: 32
  - .args:           []
    .group_segment_fixed_size: 0
    .kernarg_segment_align: 4
    .kernarg_segment_size: 0
    .language:       OpenCL C
    .language_version:
      - 2
      - 0
    .max_flat_workgroup_size: 1024
    .name:           _ZN7rocprim17ROCPRIM_400000_NS6detail44device_merge_sort_compile_time_verifier_archINS1_11comp_targetILNS1_3genE8ELNS1_11target_archE1030ELNS1_3gpuE2ELNS1_3repE0EEES8_NS1_28merge_sort_block_sort_configILj256ELj4ELNS0_20block_sort_algorithmE0EEENS0_14default_configENS1_37merge_sort_block_sort_config_selectorI12hip_bfloat16NS0_10empty_typeEEENS1_38merge_sort_block_merge_config_selectorISE_SF_EEEEvv
    .private_segment_fixed_size: 0
    .sgpr_count:     0
    .sgpr_spill_count: 0
    .symbol:         _ZN7rocprim17ROCPRIM_400000_NS6detail44device_merge_sort_compile_time_verifier_archINS1_11comp_targetILNS1_3genE8ELNS1_11target_archE1030ELNS1_3gpuE2ELNS1_3repE0EEES8_NS1_28merge_sort_block_sort_configILj256ELj4ELNS0_20block_sort_algorithmE0EEENS0_14default_configENS1_37merge_sort_block_sort_config_selectorI12hip_bfloat16NS0_10empty_typeEEENS1_38merge_sort_block_merge_config_selectorISE_SF_EEEEvv.kd
    .uniform_work_group_size: 1
    .uses_dynamic_stack: false
    .vgpr_count:     0
    .vgpr_spill_count: 0
    .wavefront_size: 32
  - .args:
      - .offset:         0
        .size:           40
        .value_kind:     by_value
    .group_segment_fixed_size: 0
    .kernarg_segment_align: 8
    .kernarg_segment_size: 40
    .language:       OpenCL C
    .language_version:
      - 2
      - 0
    .max_flat_workgroup_size: 128
    .name:           _ZN7rocprim17ROCPRIM_400000_NS6detail17trampoline_kernelINS0_14default_configENS1_38merge_sort_block_merge_config_selectorI12hip_bfloat16NS0_10empty_typeEEEZZNS1_27merge_sort_block_merge_implIS3_PS5_PS6_jNS1_19radix_merge_compareILb1ELb0ES5_NS0_19identity_decomposerEEEEE10hipError_tT0_T1_T2_jT3_P12ihipStream_tbPNSt15iterator_traitsISF_E10value_typeEPNSL_ISG_E10value_typeEPSH_NS1_7vsmem_tEENKUlT_SF_SG_SH_E_clIS9_S9_SA_SA_EESE_SU_SF_SG_SH_EUlSU_E_NS1_11comp_targetILNS1_3genE0ELNS1_11target_archE4294967295ELNS1_3gpuE0ELNS1_3repE0EEENS1_48merge_mergepath_partition_config_static_selectorELNS0_4arch9wavefront6targetE0EEEvSG_
    .private_segment_fixed_size: 0
    .sgpr_count:     8
    .sgpr_spill_count: 0
    .symbol:         _ZN7rocprim17ROCPRIM_400000_NS6detail17trampoline_kernelINS0_14default_configENS1_38merge_sort_block_merge_config_selectorI12hip_bfloat16NS0_10empty_typeEEEZZNS1_27merge_sort_block_merge_implIS3_PS5_PS6_jNS1_19radix_merge_compareILb1ELb0ES5_NS0_19identity_decomposerEEEEE10hipError_tT0_T1_T2_jT3_P12ihipStream_tbPNSt15iterator_traitsISF_E10value_typeEPNSL_ISG_E10value_typeEPSH_NS1_7vsmem_tEENKUlT_SF_SG_SH_E_clIS9_S9_SA_SA_EESE_SU_SF_SG_SH_EUlSU_E_NS1_11comp_targetILNS1_3genE0ELNS1_11target_archE4294967295ELNS1_3gpuE0ELNS1_3repE0EEENS1_48merge_mergepath_partition_config_static_selectorELNS0_4arch9wavefront6targetE0EEEvSG_.kd
    .uniform_work_group_size: 1
    .uses_dynamic_stack: false
    .vgpr_count:     15
    .vgpr_spill_count: 0
    .wavefront_size: 32
  - .args:
      - .offset:         0
        .size:           40
        .value_kind:     by_value
    .group_segment_fixed_size: 0
    .kernarg_segment_align: 8
    .kernarg_segment_size: 40
    .language:       OpenCL C
    .language_version:
      - 2
      - 0
    .max_flat_workgroup_size: 128
    .name:           _ZN7rocprim17ROCPRIM_400000_NS6detail17trampoline_kernelINS0_14default_configENS1_38merge_sort_block_merge_config_selectorI12hip_bfloat16NS0_10empty_typeEEEZZNS1_27merge_sort_block_merge_implIS3_PS5_PS6_jNS1_19radix_merge_compareILb1ELb0ES5_NS0_19identity_decomposerEEEEE10hipError_tT0_T1_T2_jT3_P12ihipStream_tbPNSt15iterator_traitsISF_E10value_typeEPNSL_ISG_E10value_typeEPSH_NS1_7vsmem_tEENKUlT_SF_SG_SH_E_clIS9_S9_SA_SA_EESE_SU_SF_SG_SH_EUlSU_E_NS1_11comp_targetILNS1_3genE10ELNS1_11target_archE1201ELNS1_3gpuE5ELNS1_3repE0EEENS1_48merge_mergepath_partition_config_static_selectorELNS0_4arch9wavefront6targetE0EEEvSG_
    .private_segment_fixed_size: 0
    .sgpr_count:     0
    .sgpr_spill_count: 0
    .symbol:         _ZN7rocprim17ROCPRIM_400000_NS6detail17trampoline_kernelINS0_14default_configENS1_38merge_sort_block_merge_config_selectorI12hip_bfloat16NS0_10empty_typeEEEZZNS1_27merge_sort_block_merge_implIS3_PS5_PS6_jNS1_19radix_merge_compareILb1ELb0ES5_NS0_19identity_decomposerEEEEE10hipError_tT0_T1_T2_jT3_P12ihipStream_tbPNSt15iterator_traitsISF_E10value_typeEPNSL_ISG_E10value_typeEPSH_NS1_7vsmem_tEENKUlT_SF_SG_SH_E_clIS9_S9_SA_SA_EESE_SU_SF_SG_SH_EUlSU_E_NS1_11comp_targetILNS1_3genE10ELNS1_11target_archE1201ELNS1_3gpuE5ELNS1_3repE0EEENS1_48merge_mergepath_partition_config_static_selectorELNS0_4arch9wavefront6targetE0EEEvSG_.kd
    .uniform_work_group_size: 1
    .uses_dynamic_stack: false
    .vgpr_count:     0
    .vgpr_spill_count: 0
    .wavefront_size: 32
  - .args:
      - .offset:         0
        .size:           40
        .value_kind:     by_value
    .group_segment_fixed_size: 0
    .kernarg_segment_align: 8
    .kernarg_segment_size: 40
    .language:       OpenCL C
    .language_version:
      - 2
      - 0
    .max_flat_workgroup_size: 128
    .name:           _ZN7rocprim17ROCPRIM_400000_NS6detail17trampoline_kernelINS0_14default_configENS1_38merge_sort_block_merge_config_selectorI12hip_bfloat16NS0_10empty_typeEEEZZNS1_27merge_sort_block_merge_implIS3_PS5_PS6_jNS1_19radix_merge_compareILb1ELb0ES5_NS0_19identity_decomposerEEEEE10hipError_tT0_T1_T2_jT3_P12ihipStream_tbPNSt15iterator_traitsISF_E10value_typeEPNSL_ISG_E10value_typeEPSH_NS1_7vsmem_tEENKUlT_SF_SG_SH_E_clIS9_S9_SA_SA_EESE_SU_SF_SG_SH_EUlSU_E_NS1_11comp_targetILNS1_3genE5ELNS1_11target_archE942ELNS1_3gpuE9ELNS1_3repE0EEENS1_48merge_mergepath_partition_config_static_selectorELNS0_4arch9wavefront6targetE0EEEvSG_
    .private_segment_fixed_size: 0
    .sgpr_count:     0
    .sgpr_spill_count: 0
    .symbol:         _ZN7rocprim17ROCPRIM_400000_NS6detail17trampoline_kernelINS0_14default_configENS1_38merge_sort_block_merge_config_selectorI12hip_bfloat16NS0_10empty_typeEEEZZNS1_27merge_sort_block_merge_implIS3_PS5_PS6_jNS1_19radix_merge_compareILb1ELb0ES5_NS0_19identity_decomposerEEEEE10hipError_tT0_T1_T2_jT3_P12ihipStream_tbPNSt15iterator_traitsISF_E10value_typeEPNSL_ISG_E10value_typeEPSH_NS1_7vsmem_tEENKUlT_SF_SG_SH_E_clIS9_S9_SA_SA_EESE_SU_SF_SG_SH_EUlSU_E_NS1_11comp_targetILNS1_3genE5ELNS1_11target_archE942ELNS1_3gpuE9ELNS1_3repE0EEENS1_48merge_mergepath_partition_config_static_selectorELNS0_4arch9wavefront6targetE0EEEvSG_.kd
    .uniform_work_group_size: 1
    .uses_dynamic_stack: false
    .vgpr_count:     0
    .vgpr_spill_count: 0
    .wavefront_size: 32
  - .args:
      - .offset:         0
        .size:           40
        .value_kind:     by_value
    .group_segment_fixed_size: 0
    .kernarg_segment_align: 8
    .kernarg_segment_size: 40
    .language:       OpenCL C
    .language_version:
      - 2
      - 0
    .max_flat_workgroup_size: 128
    .name:           _ZN7rocprim17ROCPRIM_400000_NS6detail17trampoline_kernelINS0_14default_configENS1_38merge_sort_block_merge_config_selectorI12hip_bfloat16NS0_10empty_typeEEEZZNS1_27merge_sort_block_merge_implIS3_PS5_PS6_jNS1_19radix_merge_compareILb1ELb0ES5_NS0_19identity_decomposerEEEEE10hipError_tT0_T1_T2_jT3_P12ihipStream_tbPNSt15iterator_traitsISF_E10value_typeEPNSL_ISG_E10value_typeEPSH_NS1_7vsmem_tEENKUlT_SF_SG_SH_E_clIS9_S9_SA_SA_EESE_SU_SF_SG_SH_EUlSU_E_NS1_11comp_targetILNS1_3genE4ELNS1_11target_archE910ELNS1_3gpuE8ELNS1_3repE0EEENS1_48merge_mergepath_partition_config_static_selectorELNS0_4arch9wavefront6targetE0EEEvSG_
    .private_segment_fixed_size: 0
    .sgpr_count:     0
    .sgpr_spill_count: 0
    .symbol:         _ZN7rocprim17ROCPRIM_400000_NS6detail17trampoline_kernelINS0_14default_configENS1_38merge_sort_block_merge_config_selectorI12hip_bfloat16NS0_10empty_typeEEEZZNS1_27merge_sort_block_merge_implIS3_PS5_PS6_jNS1_19radix_merge_compareILb1ELb0ES5_NS0_19identity_decomposerEEEEE10hipError_tT0_T1_T2_jT3_P12ihipStream_tbPNSt15iterator_traitsISF_E10value_typeEPNSL_ISG_E10value_typeEPSH_NS1_7vsmem_tEENKUlT_SF_SG_SH_E_clIS9_S9_SA_SA_EESE_SU_SF_SG_SH_EUlSU_E_NS1_11comp_targetILNS1_3genE4ELNS1_11target_archE910ELNS1_3gpuE8ELNS1_3repE0EEENS1_48merge_mergepath_partition_config_static_selectorELNS0_4arch9wavefront6targetE0EEEvSG_.kd
    .uniform_work_group_size: 1
    .uses_dynamic_stack: false
    .vgpr_count:     0
    .vgpr_spill_count: 0
    .wavefront_size: 32
  - .args:
      - .offset:         0
        .size:           40
        .value_kind:     by_value
    .group_segment_fixed_size: 0
    .kernarg_segment_align: 8
    .kernarg_segment_size: 40
    .language:       OpenCL C
    .language_version:
      - 2
      - 0
    .max_flat_workgroup_size: 128
    .name:           _ZN7rocprim17ROCPRIM_400000_NS6detail17trampoline_kernelINS0_14default_configENS1_38merge_sort_block_merge_config_selectorI12hip_bfloat16NS0_10empty_typeEEEZZNS1_27merge_sort_block_merge_implIS3_PS5_PS6_jNS1_19radix_merge_compareILb1ELb0ES5_NS0_19identity_decomposerEEEEE10hipError_tT0_T1_T2_jT3_P12ihipStream_tbPNSt15iterator_traitsISF_E10value_typeEPNSL_ISG_E10value_typeEPSH_NS1_7vsmem_tEENKUlT_SF_SG_SH_E_clIS9_S9_SA_SA_EESE_SU_SF_SG_SH_EUlSU_E_NS1_11comp_targetILNS1_3genE3ELNS1_11target_archE908ELNS1_3gpuE7ELNS1_3repE0EEENS1_48merge_mergepath_partition_config_static_selectorELNS0_4arch9wavefront6targetE0EEEvSG_
    .private_segment_fixed_size: 0
    .sgpr_count:     0
    .sgpr_spill_count: 0
    .symbol:         _ZN7rocprim17ROCPRIM_400000_NS6detail17trampoline_kernelINS0_14default_configENS1_38merge_sort_block_merge_config_selectorI12hip_bfloat16NS0_10empty_typeEEEZZNS1_27merge_sort_block_merge_implIS3_PS5_PS6_jNS1_19radix_merge_compareILb1ELb0ES5_NS0_19identity_decomposerEEEEE10hipError_tT0_T1_T2_jT3_P12ihipStream_tbPNSt15iterator_traitsISF_E10value_typeEPNSL_ISG_E10value_typeEPSH_NS1_7vsmem_tEENKUlT_SF_SG_SH_E_clIS9_S9_SA_SA_EESE_SU_SF_SG_SH_EUlSU_E_NS1_11comp_targetILNS1_3genE3ELNS1_11target_archE908ELNS1_3gpuE7ELNS1_3repE0EEENS1_48merge_mergepath_partition_config_static_selectorELNS0_4arch9wavefront6targetE0EEEvSG_.kd
    .uniform_work_group_size: 1
    .uses_dynamic_stack: false
    .vgpr_count:     0
    .vgpr_spill_count: 0
    .wavefront_size: 32
  - .args:
      - .offset:         0
        .size:           40
        .value_kind:     by_value
    .group_segment_fixed_size: 0
    .kernarg_segment_align: 8
    .kernarg_segment_size: 40
    .language:       OpenCL C
    .language_version:
      - 2
      - 0
    .max_flat_workgroup_size: 128
    .name:           _ZN7rocprim17ROCPRIM_400000_NS6detail17trampoline_kernelINS0_14default_configENS1_38merge_sort_block_merge_config_selectorI12hip_bfloat16NS0_10empty_typeEEEZZNS1_27merge_sort_block_merge_implIS3_PS5_PS6_jNS1_19radix_merge_compareILb1ELb0ES5_NS0_19identity_decomposerEEEEE10hipError_tT0_T1_T2_jT3_P12ihipStream_tbPNSt15iterator_traitsISF_E10value_typeEPNSL_ISG_E10value_typeEPSH_NS1_7vsmem_tEENKUlT_SF_SG_SH_E_clIS9_S9_SA_SA_EESE_SU_SF_SG_SH_EUlSU_E_NS1_11comp_targetILNS1_3genE2ELNS1_11target_archE906ELNS1_3gpuE6ELNS1_3repE0EEENS1_48merge_mergepath_partition_config_static_selectorELNS0_4arch9wavefront6targetE0EEEvSG_
    .private_segment_fixed_size: 0
    .sgpr_count:     0
    .sgpr_spill_count: 0
    .symbol:         _ZN7rocprim17ROCPRIM_400000_NS6detail17trampoline_kernelINS0_14default_configENS1_38merge_sort_block_merge_config_selectorI12hip_bfloat16NS0_10empty_typeEEEZZNS1_27merge_sort_block_merge_implIS3_PS5_PS6_jNS1_19radix_merge_compareILb1ELb0ES5_NS0_19identity_decomposerEEEEE10hipError_tT0_T1_T2_jT3_P12ihipStream_tbPNSt15iterator_traitsISF_E10value_typeEPNSL_ISG_E10value_typeEPSH_NS1_7vsmem_tEENKUlT_SF_SG_SH_E_clIS9_S9_SA_SA_EESE_SU_SF_SG_SH_EUlSU_E_NS1_11comp_targetILNS1_3genE2ELNS1_11target_archE906ELNS1_3gpuE6ELNS1_3repE0EEENS1_48merge_mergepath_partition_config_static_selectorELNS0_4arch9wavefront6targetE0EEEvSG_.kd
    .uniform_work_group_size: 1
    .uses_dynamic_stack: false
    .vgpr_count:     0
    .vgpr_spill_count: 0
    .wavefront_size: 32
  - .args:
      - .offset:         0
        .size:           40
        .value_kind:     by_value
    .group_segment_fixed_size: 0
    .kernarg_segment_align: 8
    .kernarg_segment_size: 40
    .language:       OpenCL C
    .language_version:
      - 2
      - 0
    .max_flat_workgroup_size: 128
    .name:           _ZN7rocprim17ROCPRIM_400000_NS6detail17trampoline_kernelINS0_14default_configENS1_38merge_sort_block_merge_config_selectorI12hip_bfloat16NS0_10empty_typeEEEZZNS1_27merge_sort_block_merge_implIS3_PS5_PS6_jNS1_19radix_merge_compareILb1ELb0ES5_NS0_19identity_decomposerEEEEE10hipError_tT0_T1_T2_jT3_P12ihipStream_tbPNSt15iterator_traitsISF_E10value_typeEPNSL_ISG_E10value_typeEPSH_NS1_7vsmem_tEENKUlT_SF_SG_SH_E_clIS9_S9_SA_SA_EESE_SU_SF_SG_SH_EUlSU_E_NS1_11comp_targetILNS1_3genE9ELNS1_11target_archE1100ELNS1_3gpuE3ELNS1_3repE0EEENS1_48merge_mergepath_partition_config_static_selectorELNS0_4arch9wavefront6targetE0EEEvSG_
    .private_segment_fixed_size: 0
    .sgpr_count:     0
    .sgpr_spill_count: 0
    .symbol:         _ZN7rocprim17ROCPRIM_400000_NS6detail17trampoline_kernelINS0_14default_configENS1_38merge_sort_block_merge_config_selectorI12hip_bfloat16NS0_10empty_typeEEEZZNS1_27merge_sort_block_merge_implIS3_PS5_PS6_jNS1_19radix_merge_compareILb1ELb0ES5_NS0_19identity_decomposerEEEEE10hipError_tT0_T1_T2_jT3_P12ihipStream_tbPNSt15iterator_traitsISF_E10value_typeEPNSL_ISG_E10value_typeEPSH_NS1_7vsmem_tEENKUlT_SF_SG_SH_E_clIS9_S9_SA_SA_EESE_SU_SF_SG_SH_EUlSU_E_NS1_11comp_targetILNS1_3genE9ELNS1_11target_archE1100ELNS1_3gpuE3ELNS1_3repE0EEENS1_48merge_mergepath_partition_config_static_selectorELNS0_4arch9wavefront6targetE0EEEvSG_.kd
    .uniform_work_group_size: 1
    .uses_dynamic_stack: false
    .vgpr_count:     0
    .vgpr_spill_count: 0
    .wavefront_size: 32
  - .args:
      - .offset:         0
        .size:           40
        .value_kind:     by_value
    .group_segment_fixed_size: 0
    .kernarg_segment_align: 8
    .kernarg_segment_size: 40
    .language:       OpenCL C
    .language_version:
      - 2
      - 0
    .max_flat_workgroup_size: 128
    .name:           _ZN7rocprim17ROCPRIM_400000_NS6detail17trampoline_kernelINS0_14default_configENS1_38merge_sort_block_merge_config_selectorI12hip_bfloat16NS0_10empty_typeEEEZZNS1_27merge_sort_block_merge_implIS3_PS5_PS6_jNS1_19radix_merge_compareILb1ELb0ES5_NS0_19identity_decomposerEEEEE10hipError_tT0_T1_T2_jT3_P12ihipStream_tbPNSt15iterator_traitsISF_E10value_typeEPNSL_ISG_E10value_typeEPSH_NS1_7vsmem_tEENKUlT_SF_SG_SH_E_clIS9_S9_SA_SA_EESE_SU_SF_SG_SH_EUlSU_E_NS1_11comp_targetILNS1_3genE8ELNS1_11target_archE1030ELNS1_3gpuE2ELNS1_3repE0EEENS1_48merge_mergepath_partition_config_static_selectorELNS0_4arch9wavefront6targetE0EEEvSG_
    .private_segment_fixed_size: 0
    .sgpr_count:     0
    .sgpr_spill_count: 0
    .symbol:         _ZN7rocprim17ROCPRIM_400000_NS6detail17trampoline_kernelINS0_14default_configENS1_38merge_sort_block_merge_config_selectorI12hip_bfloat16NS0_10empty_typeEEEZZNS1_27merge_sort_block_merge_implIS3_PS5_PS6_jNS1_19radix_merge_compareILb1ELb0ES5_NS0_19identity_decomposerEEEEE10hipError_tT0_T1_T2_jT3_P12ihipStream_tbPNSt15iterator_traitsISF_E10value_typeEPNSL_ISG_E10value_typeEPSH_NS1_7vsmem_tEENKUlT_SF_SG_SH_E_clIS9_S9_SA_SA_EESE_SU_SF_SG_SH_EUlSU_E_NS1_11comp_targetILNS1_3genE8ELNS1_11target_archE1030ELNS1_3gpuE2ELNS1_3repE0EEENS1_48merge_mergepath_partition_config_static_selectorELNS0_4arch9wavefront6targetE0EEEvSG_.kd
    .uniform_work_group_size: 1
    .uses_dynamic_stack: false
    .vgpr_count:     0
    .vgpr_spill_count: 0
    .wavefront_size: 32
  - .args:
      - .offset:         0
        .size:           64
        .value_kind:     by_value
      - .offset:         64
        .size:           4
        .value_kind:     hidden_block_count_x
      - .offset:         68
        .size:           4
        .value_kind:     hidden_block_count_y
      - .offset:         72
        .size:           4
        .value_kind:     hidden_block_count_z
      - .offset:         76
        .size:           2
        .value_kind:     hidden_group_size_x
      - .offset:         78
        .size:           2
        .value_kind:     hidden_group_size_y
      - .offset:         80
        .size:           2
        .value_kind:     hidden_group_size_z
      - .offset:         82
        .size:           2
        .value_kind:     hidden_remainder_x
      - .offset:         84
        .size:           2
        .value_kind:     hidden_remainder_y
      - .offset:         86
        .size:           2
        .value_kind:     hidden_remainder_z
      - .offset:         104
        .size:           8
        .value_kind:     hidden_global_offset_x
      - .offset:         112
        .size:           8
        .value_kind:     hidden_global_offset_y
      - .offset:         120
        .size:           8
        .value_kind:     hidden_global_offset_z
      - .offset:         128
        .size:           2
        .value_kind:     hidden_grid_dims
    .group_segment_fixed_size: 2112
    .kernarg_segment_align: 8
    .kernarg_segment_size: 320
    .language:       OpenCL C
    .language_version:
      - 2
      - 0
    .max_flat_workgroup_size: 128
    .name:           _ZN7rocprim17ROCPRIM_400000_NS6detail17trampoline_kernelINS0_14default_configENS1_38merge_sort_block_merge_config_selectorI12hip_bfloat16NS0_10empty_typeEEEZZNS1_27merge_sort_block_merge_implIS3_PS5_PS6_jNS1_19radix_merge_compareILb1ELb0ES5_NS0_19identity_decomposerEEEEE10hipError_tT0_T1_T2_jT3_P12ihipStream_tbPNSt15iterator_traitsISF_E10value_typeEPNSL_ISG_E10value_typeEPSH_NS1_7vsmem_tEENKUlT_SF_SG_SH_E_clIS9_S9_SA_SA_EESE_SU_SF_SG_SH_EUlSU_E0_NS1_11comp_targetILNS1_3genE0ELNS1_11target_archE4294967295ELNS1_3gpuE0ELNS1_3repE0EEENS1_38merge_mergepath_config_static_selectorELNS0_4arch9wavefront6targetE0EEEvSG_
    .private_segment_fixed_size: 0
    .sgpr_count:     24
    .sgpr_spill_count: 0
    .symbol:         _ZN7rocprim17ROCPRIM_400000_NS6detail17trampoline_kernelINS0_14default_configENS1_38merge_sort_block_merge_config_selectorI12hip_bfloat16NS0_10empty_typeEEEZZNS1_27merge_sort_block_merge_implIS3_PS5_PS6_jNS1_19radix_merge_compareILb1ELb0ES5_NS0_19identity_decomposerEEEEE10hipError_tT0_T1_T2_jT3_P12ihipStream_tbPNSt15iterator_traitsISF_E10value_typeEPNSL_ISG_E10value_typeEPSH_NS1_7vsmem_tEENKUlT_SF_SG_SH_E_clIS9_S9_SA_SA_EESE_SU_SF_SG_SH_EUlSU_E0_NS1_11comp_targetILNS1_3genE0ELNS1_11target_archE4294967295ELNS1_3gpuE0ELNS1_3repE0EEENS1_38merge_mergepath_config_static_selectorELNS0_4arch9wavefront6targetE0EEEvSG_.kd
    .uniform_work_group_size: 1
    .uses_dynamic_stack: false
    .vgpr_count:     30
    .vgpr_spill_count: 0
    .wavefront_size: 32
  - .args:
      - .offset:         0
        .size:           64
        .value_kind:     by_value
    .group_segment_fixed_size: 0
    .kernarg_segment_align: 8
    .kernarg_segment_size: 64
    .language:       OpenCL C
    .language_version:
      - 2
      - 0
    .max_flat_workgroup_size: 128
    .name:           _ZN7rocprim17ROCPRIM_400000_NS6detail17trampoline_kernelINS0_14default_configENS1_38merge_sort_block_merge_config_selectorI12hip_bfloat16NS0_10empty_typeEEEZZNS1_27merge_sort_block_merge_implIS3_PS5_PS6_jNS1_19radix_merge_compareILb1ELb0ES5_NS0_19identity_decomposerEEEEE10hipError_tT0_T1_T2_jT3_P12ihipStream_tbPNSt15iterator_traitsISF_E10value_typeEPNSL_ISG_E10value_typeEPSH_NS1_7vsmem_tEENKUlT_SF_SG_SH_E_clIS9_S9_SA_SA_EESE_SU_SF_SG_SH_EUlSU_E0_NS1_11comp_targetILNS1_3genE10ELNS1_11target_archE1201ELNS1_3gpuE5ELNS1_3repE0EEENS1_38merge_mergepath_config_static_selectorELNS0_4arch9wavefront6targetE0EEEvSG_
    .private_segment_fixed_size: 0
    .sgpr_count:     0
    .sgpr_spill_count: 0
    .symbol:         _ZN7rocprim17ROCPRIM_400000_NS6detail17trampoline_kernelINS0_14default_configENS1_38merge_sort_block_merge_config_selectorI12hip_bfloat16NS0_10empty_typeEEEZZNS1_27merge_sort_block_merge_implIS3_PS5_PS6_jNS1_19radix_merge_compareILb1ELb0ES5_NS0_19identity_decomposerEEEEE10hipError_tT0_T1_T2_jT3_P12ihipStream_tbPNSt15iterator_traitsISF_E10value_typeEPNSL_ISG_E10value_typeEPSH_NS1_7vsmem_tEENKUlT_SF_SG_SH_E_clIS9_S9_SA_SA_EESE_SU_SF_SG_SH_EUlSU_E0_NS1_11comp_targetILNS1_3genE10ELNS1_11target_archE1201ELNS1_3gpuE5ELNS1_3repE0EEENS1_38merge_mergepath_config_static_selectorELNS0_4arch9wavefront6targetE0EEEvSG_.kd
    .uniform_work_group_size: 1
    .uses_dynamic_stack: false
    .vgpr_count:     0
    .vgpr_spill_count: 0
    .wavefront_size: 32
  - .args:
      - .offset:         0
        .size:           64
        .value_kind:     by_value
    .group_segment_fixed_size: 0
    .kernarg_segment_align: 8
    .kernarg_segment_size: 64
    .language:       OpenCL C
    .language_version:
      - 2
      - 0
    .max_flat_workgroup_size: 128
    .name:           _ZN7rocprim17ROCPRIM_400000_NS6detail17trampoline_kernelINS0_14default_configENS1_38merge_sort_block_merge_config_selectorI12hip_bfloat16NS0_10empty_typeEEEZZNS1_27merge_sort_block_merge_implIS3_PS5_PS6_jNS1_19radix_merge_compareILb1ELb0ES5_NS0_19identity_decomposerEEEEE10hipError_tT0_T1_T2_jT3_P12ihipStream_tbPNSt15iterator_traitsISF_E10value_typeEPNSL_ISG_E10value_typeEPSH_NS1_7vsmem_tEENKUlT_SF_SG_SH_E_clIS9_S9_SA_SA_EESE_SU_SF_SG_SH_EUlSU_E0_NS1_11comp_targetILNS1_3genE5ELNS1_11target_archE942ELNS1_3gpuE9ELNS1_3repE0EEENS1_38merge_mergepath_config_static_selectorELNS0_4arch9wavefront6targetE0EEEvSG_
    .private_segment_fixed_size: 0
    .sgpr_count:     0
    .sgpr_spill_count: 0
    .symbol:         _ZN7rocprim17ROCPRIM_400000_NS6detail17trampoline_kernelINS0_14default_configENS1_38merge_sort_block_merge_config_selectorI12hip_bfloat16NS0_10empty_typeEEEZZNS1_27merge_sort_block_merge_implIS3_PS5_PS6_jNS1_19radix_merge_compareILb1ELb0ES5_NS0_19identity_decomposerEEEEE10hipError_tT0_T1_T2_jT3_P12ihipStream_tbPNSt15iterator_traitsISF_E10value_typeEPNSL_ISG_E10value_typeEPSH_NS1_7vsmem_tEENKUlT_SF_SG_SH_E_clIS9_S9_SA_SA_EESE_SU_SF_SG_SH_EUlSU_E0_NS1_11comp_targetILNS1_3genE5ELNS1_11target_archE942ELNS1_3gpuE9ELNS1_3repE0EEENS1_38merge_mergepath_config_static_selectorELNS0_4arch9wavefront6targetE0EEEvSG_.kd
    .uniform_work_group_size: 1
    .uses_dynamic_stack: false
    .vgpr_count:     0
    .vgpr_spill_count: 0
    .wavefront_size: 32
  - .args:
      - .offset:         0
        .size:           64
        .value_kind:     by_value
    .group_segment_fixed_size: 0
    .kernarg_segment_align: 8
    .kernarg_segment_size: 64
    .language:       OpenCL C
    .language_version:
      - 2
      - 0
    .max_flat_workgroup_size: 128
    .name:           _ZN7rocprim17ROCPRIM_400000_NS6detail17trampoline_kernelINS0_14default_configENS1_38merge_sort_block_merge_config_selectorI12hip_bfloat16NS0_10empty_typeEEEZZNS1_27merge_sort_block_merge_implIS3_PS5_PS6_jNS1_19radix_merge_compareILb1ELb0ES5_NS0_19identity_decomposerEEEEE10hipError_tT0_T1_T2_jT3_P12ihipStream_tbPNSt15iterator_traitsISF_E10value_typeEPNSL_ISG_E10value_typeEPSH_NS1_7vsmem_tEENKUlT_SF_SG_SH_E_clIS9_S9_SA_SA_EESE_SU_SF_SG_SH_EUlSU_E0_NS1_11comp_targetILNS1_3genE4ELNS1_11target_archE910ELNS1_3gpuE8ELNS1_3repE0EEENS1_38merge_mergepath_config_static_selectorELNS0_4arch9wavefront6targetE0EEEvSG_
    .private_segment_fixed_size: 0
    .sgpr_count:     0
    .sgpr_spill_count: 0
    .symbol:         _ZN7rocprim17ROCPRIM_400000_NS6detail17trampoline_kernelINS0_14default_configENS1_38merge_sort_block_merge_config_selectorI12hip_bfloat16NS0_10empty_typeEEEZZNS1_27merge_sort_block_merge_implIS3_PS5_PS6_jNS1_19radix_merge_compareILb1ELb0ES5_NS0_19identity_decomposerEEEEE10hipError_tT0_T1_T2_jT3_P12ihipStream_tbPNSt15iterator_traitsISF_E10value_typeEPNSL_ISG_E10value_typeEPSH_NS1_7vsmem_tEENKUlT_SF_SG_SH_E_clIS9_S9_SA_SA_EESE_SU_SF_SG_SH_EUlSU_E0_NS1_11comp_targetILNS1_3genE4ELNS1_11target_archE910ELNS1_3gpuE8ELNS1_3repE0EEENS1_38merge_mergepath_config_static_selectorELNS0_4arch9wavefront6targetE0EEEvSG_.kd
    .uniform_work_group_size: 1
    .uses_dynamic_stack: false
    .vgpr_count:     0
    .vgpr_spill_count: 0
    .wavefront_size: 32
  - .args:
      - .offset:         0
        .size:           64
        .value_kind:     by_value
    .group_segment_fixed_size: 0
    .kernarg_segment_align: 8
    .kernarg_segment_size: 64
    .language:       OpenCL C
    .language_version:
      - 2
      - 0
    .max_flat_workgroup_size: 128
    .name:           _ZN7rocprim17ROCPRIM_400000_NS6detail17trampoline_kernelINS0_14default_configENS1_38merge_sort_block_merge_config_selectorI12hip_bfloat16NS0_10empty_typeEEEZZNS1_27merge_sort_block_merge_implIS3_PS5_PS6_jNS1_19radix_merge_compareILb1ELb0ES5_NS0_19identity_decomposerEEEEE10hipError_tT0_T1_T2_jT3_P12ihipStream_tbPNSt15iterator_traitsISF_E10value_typeEPNSL_ISG_E10value_typeEPSH_NS1_7vsmem_tEENKUlT_SF_SG_SH_E_clIS9_S9_SA_SA_EESE_SU_SF_SG_SH_EUlSU_E0_NS1_11comp_targetILNS1_3genE3ELNS1_11target_archE908ELNS1_3gpuE7ELNS1_3repE0EEENS1_38merge_mergepath_config_static_selectorELNS0_4arch9wavefront6targetE0EEEvSG_
    .private_segment_fixed_size: 0
    .sgpr_count:     0
    .sgpr_spill_count: 0
    .symbol:         _ZN7rocprim17ROCPRIM_400000_NS6detail17trampoline_kernelINS0_14default_configENS1_38merge_sort_block_merge_config_selectorI12hip_bfloat16NS0_10empty_typeEEEZZNS1_27merge_sort_block_merge_implIS3_PS5_PS6_jNS1_19radix_merge_compareILb1ELb0ES5_NS0_19identity_decomposerEEEEE10hipError_tT0_T1_T2_jT3_P12ihipStream_tbPNSt15iterator_traitsISF_E10value_typeEPNSL_ISG_E10value_typeEPSH_NS1_7vsmem_tEENKUlT_SF_SG_SH_E_clIS9_S9_SA_SA_EESE_SU_SF_SG_SH_EUlSU_E0_NS1_11comp_targetILNS1_3genE3ELNS1_11target_archE908ELNS1_3gpuE7ELNS1_3repE0EEENS1_38merge_mergepath_config_static_selectorELNS0_4arch9wavefront6targetE0EEEvSG_.kd
    .uniform_work_group_size: 1
    .uses_dynamic_stack: false
    .vgpr_count:     0
    .vgpr_spill_count: 0
    .wavefront_size: 32
  - .args:
      - .offset:         0
        .size:           64
        .value_kind:     by_value
    .group_segment_fixed_size: 0
    .kernarg_segment_align: 8
    .kernarg_segment_size: 64
    .language:       OpenCL C
    .language_version:
      - 2
      - 0
    .max_flat_workgroup_size: 128
    .name:           _ZN7rocprim17ROCPRIM_400000_NS6detail17trampoline_kernelINS0_14default_configENS1_38merge_sort_block_merge_config_selectorI12hip_bfloat16NS0_10empty_typeEEEZZNS1_27merge_sort_block_merge_implIS3_PS5_PS6_jNS1_19radix_merge_compareILb1ELb0ES5_NS0_19identity_decomposerEEEEE10hipError_tT0_T1_T2_jT3_P12ihipStream_tbPNSt15iterator_traitsISF_E10value_typeEPNSL_ISG_E10value_typeEPSH_NS1_7vsmem_tEENKUlT_SF_SG_SH_E_clIS9_S9_SA_SA_EESE_SU_SF_SG_SH_EUlSU_E0_NS1_11comp_targetILNS1_3genE2ELNS1_11target_archE906ELNS1_3gpuE6ELNS1_3repE0EEENS1_38merge_mergepath_config_static_selectorELNS0_4arch9wavefront6targetE0EEEvSG_
    .private_segment_fixed_size: 0
    .sgpr_count:     0
    .sgpr_spill_count: 0
    .symbol:         _ZN7rocprim17ROCPRIM_400000_NS6detail17trampoline_kernelINS0_14default_configENS1_38merge_sort_block_merge_config_selectorI12hip_bfloat16NS0_10empty_typeEEEZZNS1_27merge_sort_block_merge_implIS3_PS5_PS6_jNS1_19radix_merge_compareILb1ELb0ES5_NS0_19identity_decomposerEEEEE10hipError_tT0_T1_T2_jT3_P12ihipStream_tbPNSt15iterator_traitsISF_E10value_typeEPNSL_ISG_E10value_typeEPSH_NS1_7vsmem_tEENKUlT_SF_SG_SH_E_clIS9_S9_SA_SA_EESE_SU_SF_SG_SH_EUlSU_E0_NS1_11comp_targetILNS1_3genE2ELNS1_11target_archE906ELNS1_3gpuE6ELNS1_3repE0EEENS1_38merge_mergepath_config_static_selectorELNS0_4arch9wavefront6targetE0EEEvSG_.kd
    .uniform_work_group_size: 1
    .uses_dynamic_stack: false
    .vgpr_count:     0
    .vgpr_spill_count: 0
    .wavefront_size: 32
  - .args:
      - .offset:         0
        .size:           64
        .value_kind:     by_value
    .group_segment_fixed_size: 0
    .kernarg_segment_align: 8
    .kernarg_segment_size: 64
    .language:       OpenCL C
    .language_version:
      - 2
      - 0
    .max_flat_workgroup_size: 128
    .name:           _ZN7rocprim17ROCPRIM_400000_NS6detail17trampoline_kernelINS0_14default_configENS1_38merge_sort_block_merge_config_selectorI12hip_bfloat16NS0_10empty_typeEEEZZNS1_27merge_sort_block_merge_implIS3_PS5_PS6_jNS1_19radix_merge_compareILb1ELb0ES5_NS0_19identity_decomposerEEEEE10hipError_tT0_T1_T2_jT3_P12ihipStream_tbPNSt15iterator_traitsISF_E10value_typeEPNSL_ISG_E10value_typeEPSH_NS1_7vsmem_tEENKUlT_SF_SG_SH_E_clIS9_S9_SA_SA_EESE_SU_SF_SG_SH_EUlSU_E0_NS1_11comp_targetILNS1_3genE9ELNS1_11target_archE1100ELNS1_3gpuE3ELNS1_3repE0EEENS1_38merge_mergepath_config_static_selectorELNS0_4arch9wavefront6targetE0EEEvSG_
    .private_segment_fixed_size: 0
    .sgpr_count:     0
    .sgpr_spill_count: 0
    .symbol:         _ZN7rocprim17ROCPRIM_400000_NS6detail17trampoline_kernelINS0_14default_configENS1_38merge_sort_block_merge_config_selectorI12hip_bfloat16NS0_10empty_typeEEEZZNS1_27merge_sort_block_merge_implIS3_PS5_PS6_jNS1_19radix_merge_compareILb1ELb0ES5_NS0_19identity_decomposerEEEEE10hipError_tT0_T1_T2_jT3_P12ihipStream_tbPNSt15iterator_traitsISF_E10value_typeEPNSL_ISG_E10value_typeEPSH_NS1_7vsmem_tEENKUlT_SF_SG_SH_E_clIS9_S9_SA_SA_EESE_SU_SF_SG_SH_EUlSU_E0_NS1_11comp_targetILNS1_3genE9ELNS1_11target_archE1100ELNS1_3gpuE3ELNS1_3repE0EEENS1_38merge_mergepath_config_static_selectorELNS0_4arch9wavefront6targetE0EEEvSG_.kd
    .uniform_work_group_size: 1
    .uses_dynamic_stack: false
    .vgpr_count:     0
    .vgpr_spill_count: 0
    .wavefront_size: 32
  - .args:
      - .offset:         0
        .size:           64
        .value_kind:     by_value
    .group_segment_fixed_size: 0
    .kernarg_segment_align: 8
    .kernarg_segment_size: 64
    .language:       OpenCL C
    .language_version:
      - 2
      - 0
    .max_flat_workgroup_size: 128
    .name:           _ZN7rocprim17ROCPRIM_400000_NS6detail17trampoline_kernelINS0_14default_configENS1_38merge_sort_block_merge_config_selectorI12hip_bfloat16NS0_10empty_typeEEEZZNS1_27merge_sort_block_merge_implIS3_PS5_PS6_jNS1_19radix_merge_compareILb1ELb0ES5_NS0_19identity_decomposerEEEEE10hipError_tT0_T1_T2_jT3_P12ihipStream_tbPNSt15iterator_traitsISF_E10value_typeEPNSL_ISG_E10value_typeEPSH_NS1_7vsmem_tEENKUlT_SF_SG_SH_E_clIS9_S9_SA_SA_EESE_SU_SF_SG_SH_EUlSU_E0_NS1_11comp_targetILNS1_3genE8ELNS1_11target_archE1030ELNS1_3gpuE2ELNS1_3repE0EEENS1_38merge_mergepath_config_static_selectorELNS0_4arch9wavefront6targetE0EEEvSG_
    .private_segment_fixed_size: 0
    .sgpr_count:     0
    .sgpr_spill_count: 0
    .symbol:         _ZN7rocprim17ROCPRIM_400000_NS6detail17trampoline_kernelINS0_14default_configENS1_38merge_sort_block_merge_config_selectorI12hip_bfloat16NS0_10empty_typeEEEZZNS1_27merge_sort_block_merge_implIS3_PS5_PS6_jNS1_19radix_merge_compareILb1ELb0ES5_NS0_19identity_decomposerEEEEE10hipError_tT0_T1_T2_jT3_P12ihipStream_tbPNSt15iterator_traitsISF_E10value_typeEPNSL_ISG_E10value_typeEPSH_NS1_7vsmem_tEENKUlT_SF_SG_SH_E_clIS9_S9_SA_SA_EESE_SU_SF_SG_SH_EUlSU_E0_NS1_11comp_targetILNS1_3genE8ELNS1_11target_archE1030ELNS1_3gpuE2ELNS1_3repE0EEENS1_38merge_mergepath_config_static_selectorELNS0_4arch9wavefront6targetE0EEEvSG_.kd
    .uniform_work_group_size: 1
    .uses_dynamic_stack: false
    .vgpr_count:     0
    .vgpr_spill_count: 0
    .wavefront_size: 32
  - .args:
      - .offset:         0
        .size:           48
        .value_kind:     by_value
    .group_segment_fixed_size: 0
    .kernarg_segment_align: 8
    .kernarg_segment_size: 48
    .language:       OpenCL C
    .language_version:
      - 2
      - 0
    .max_flat_workgroup_size: 256
    .name:           _ZN7rocprim17ROCPRIM_400000_NS6detail17trampoline_kernelINS0_14default_configENS1_38merge_sort_block_merge_config_selectorI12hip_bfloat16NS0_10empty_typeEEEZZNS1_27merge_sort_block_merge_implIS3_PS5_PS6_jNS1_19radix_merge_compareILb1ELb0ES5_NS0_19identity_decomposerEEEEE10hipError_tT0_T1_T2_jT3_P12ihipStream_tbPNSt15iterator_traitsISF_E10value_typeEPNSL_ISG_E10value_typeEPSH_NS1_7vsmem_tEENKUlT_SF_SG_SH_E_clIS9_S9_SA_SA_EESE_SU_SF_SG_SH_EUlSU_E1_NS1_11comp_targetILNS1_3genE0ELNS1_11target_archE4294967295ELNS1_3gpuE0ELNS1_3repE0EEENS1_36merge_oddeven_config_static_selectorELNS0_4arch9wavefront6targetE0EEEvSG_
    .private_segment_fixed_size: 0
    .sgpr_count:     18
    .sgpr_spill_count: 0
    .symbol:         _ZN7rocprim17ROCPRIM_400000_NS6detail17trampoline_kernelINS0_14default_configENS1_38merge_sort_block_merge_config_selectorI12hip_bfloat16NS0_10empty_typeEEEZZNS1_27merge_sort_block_merge_implIS3_PS5_PS6_jNS1_19radix_merge_compareILb1ELb0ES5_NS0_19identity_decomposerEEEEE10hipError_tT0_T1_T2_jT3_P12ihipStream_tbPNSt15iterator_traitsISF_E10value_typeEPNSL_ISG_E10value_typeEPSH_NS1_7vsmem_tEENKUlT_SF_SG_SH_E_clIS9_S9_SA_SA_EESE_SU_SF_SG_SH_EUlSU_E1_NS1_11comp_targetILNS1_3genE0ELNS1_11target_archE4294967295ELNS1_3gpuE0ELNS1_3repE0EEENS1_36merge_oddeven_config_static_selectorELNS0_4arch9wavefront6targetE0EEEvSG_.kd
    .uniform_work_group_size: 1
    .uses_dynamic_stack: false
    .vgpr_count:     9
    .vgpr_spill_count: 0
    .wavefront_size: 32
  - .args:
      - .offset:         0
        .size:           48
        .value_kind:     by_value
    .group_segment_fixed_size: 0
    .kernarg_segment_align: 8
    .kernarg_segment_size: 48
    .language:       OpenCL C
    .language_version:
      - 2
      - 0
    .max_flat_workgroup_size: 256
    .name:           _ZN7rocprim17ROCPRIM_400000_NS6detail17trampoline_kernelINS0_14default_configENS1_38merge_sort_block_merge_config_selectorI12hip_bfloat16NS0_10empty_typeEEEZZNS1_27merge_sort_block_merge_implIS3_PS5_PS6_jNS1_19radix_merge_compareILb1ELb0ES5_NS0_19identity_decomposerEEEEE10hipError_tT0_T1_T2_jT3_P12ihipStream_tbPNSt15iterator_traitsISF_E10value_typeEPNSL_ISG_E10value_typeEPSH_NS1_7vsmem_tEENKUlT_SF_SG_SH_E_clIS9_S9_SA_SA_EESE_SU_SF_SG_SH_EUlSU_E1_NS1_11comp_targetILNS1_3genE10ELNS1_11target_archE1201ELNS1_3gpuE5ELNS1_3repE0EEENS1_36merge_oddeven_config_static_selectorELNS0_4arch9wavefront6targetE0EEEvSG_
    .private_segment_fixed_size: 0
    .sgpr_count:     0
    .sgpr_spill_count: 0
    .symbol:         _ZN7rocprim17ROCPRIM_400000_NS6detail17trampoline_kernelINS0_14default_configENS1_38merge_sort_block_merge_config_selectorI12hip_bfloat16NS0_10empty_typeEEEZZNS1_27merge_sort_block_merge_implIS3_PS5_PS6_jNS1_19radix_merge_compareILb1ELb0ES5_NS0_19identity_decomposerEEEEE10hipError_tT0_T1_T2_jT3_P12ihipStream_tbPNSt15iterator_traitsISF_E10value_typeEPNSL_ISG_E10value_typeEPSH_NS1_7vsmem_tEENKUlT_SF_SG_SH_E_clIS9_S9_SA_SA_EESE_SU_SF_SG_SH_EUlSU_E1_NS1_11comp_targetILNS1_3genE10ELNS1_11target_archE1201ELNS1_3gpuE5ELNS1_3repE0EEENS1_36merge_oddeven_config_static_selectorELNS0_4arch9wavefront6targetE0EEEvSG_.kd
    .uniform_work_group_size: 1
    .uses_dynamic_stack: false
    .vgpr_count:     0
    .vgpr_spill_count: 0
    .wavefront_size: 32
  - .args:
      - .offset:         0
        .size:           48
        .value_kind:     by_value
    .group_segment_fixed_size: 0
    .kernarg_segment_align: 8
    .kernarg_segment_size: 48
    .language:       OpenCL C
    .language_version:
      - 2
      - 0
    .max_flat_workgroup_size: 256
    .name:           _ZN7rocprim17ROCPRIM_400000_NS6detail17trampoline_kernelINS0_14default_configENS1_38merge_sort_block_merge_config_selectorI12hip_bfloat16NS0_10empty_typeEEEZZNS1_27merge_sort_block_merge_implIS3_PS5_PS6_jNS1_19radix_merge_compareILb1ELb0ES5_NS0_19identity_decomposerEEEEE10hipError_tT0_T1_T2_jT3_P12ihipStream_tbPNSt15iterator_traitsISF_E10value_typeEPNSL_ISG_E10value_typeEPSH_NS1_7vsmem_tEENKUlT_SF_SG_SH_E_clIS9_S9_SA_SA_EESE_SU_SF_SG_SH_EUlSU_E1_NS1_11comp_targetILNS1_3genE5ELNS1_11target_archE942ELNS1_3gpuE9ELNS1_3repE0EEENS1_36merge_oddeven_config_static_selectorELNS0_4arch9wavefront6targetE0EEEvSG_
    .private_segment_fixed_size: 0
    .sgpr_count:     0
    .sgpr_spill_count: 0
    .symbol:         _ZN7rocprim17ROCPRIM_400000_NS6detail17trampoline_kernelINS0_14default_configENS1_38merge_sort_block_merge_config_selectorI12hip_bfloat16NS0_10empty_typeEEEZZNS1_27merge_sort_block_merge_implIS3_PS5_PS6_jNS1_19radix_merge_compareILb1ELb0ES5_NS0_19identity_decomposerEEEEE10hipError_tT0_T1_T2_jT3_P12ihipStream_tbPNSt15iterator_traitsISF_E10value_typeEPNSL_ISG_E10value_typeEPSH_NS1_7vsmem_tEENKUlT_SF_SG_SH_E_clIS9_S9_SA_SA_EESE_SU_SF_SG_SH_EUlSU_E1_NS1_11comp_targetILNS1_3genE5ELNS1_11target_archE942ELNS1_3gpuE9ELNS1_3repE0EEENS1_36merge_oddeven_config_static_selectorELNS0_4arch9wavefront6targetE0EEEvSG_.kd
    .uniform_work_group_size: 1
    .uses_dynamic_stack: false
    .vgpr_count:     0
    .vgpr_spill_count: 0
    .wavefront_size: 32
  - .args:
      - .offset:         0
        .size:           48
        .value_kind:     by_value
    .group_segment_fixed_size: 0
    .kernarg_segment_align: 8
    .kernarg_segment_size: 48
    .language:       OpenCL C
    .language_version:
      - 2
      - 0
    .max_flat_workgroup_size: 256
    .name:           _ZN7rocprim17ROCPRIM_400000_NS6detail17trampoline_kernelINS0_14default_configENS1_38merge_sort_block_merge_config_selectorI12hip_bfloat16NS0_10empty_typeEEEZZNS1_27merge_sort_block_merge_implIS3_PS5_PS6_jNS1_19radix_merge_compareILb1ELb0ES5_NS0_19identity_decomposerEEEEE10hipError_tT0_T1_T2_jT3_P12ihipStream_tbPNSt15iterator_traitsISF_E10value_typeEPNSL_ISG_E10value_typeEPSH_NS1_7vsmem_tEENKUlT_SF_SG_SH_E_clIS9_S9_SA_SA_EESE_SU_SF_SG_SH_EUlSU_E1_NS1_11comp_targetILNS1_3genE4ELNS1_11target_archE910ELNS1_3gpuE8ELNS1_3repE0EEENS1_36merge_oddeven_config_static_selectorELNS0_4arch9wavefront6targetE0EEEvSG_
    .private_segment_fixed_size: 0
    .sgpr_count:     0
    .sgpr_spill_count: 0
    .symbol:         _ZN7rocprim17ROCPRIM_400000_NS6detail17trampoline_kernelINS0_14default_configENS1_38merge_sort_block_merge_config_selectorI12hip_bfloat16NS0_10empty_typeEEEZZNS1_27merge_sort_block_merge_implIS3_PS5_PS6_jNS1_19radix_merge_compareILb1ELb0ES5_NS0_19identity_decomposerEEEEE10hipError_tT0_T1_T2_jT3_P12ihipStream_tbPNSt15iterator_traitsISF_E10value_typeEPNSL_ISG_E10value_typeEPSH_NS1_7vsmem_tEENKUlT_SF_SG_SH_E_clIS9_S9_SA_SA_EESE_SU_SF_SG_SH_EUlSU_E1_NS1_11comp_targetILNS1_3genE4ELNS1_11target_archE910ELNS1_3gpuE8ELNS1_3repE0EEENS1_36merge_oddeven_config_static_selectorELNS0_4arch9wavefront6targetE0EEEvSG_.kd
    .uniform_work_group_size: 1
    .uses_dynamic_stack: false
    .vgpr_count:     0
    .vgpr_spill_count: 0
    .wavefront_size: 32
  - .args:
      - .offset:         0
        .size:           48
        .value_kind:     by_value
    .group_segment_fixed_size: 0
    .kernarg_segment_align: 8
    .kernarg_segment_size: 48
    .language:       OpenCL C
    .language_version:
      - 2
      - 0
    .max_flat_workgroup_size: 256
    .name:           _ZN7rocprim17ROCPRIM_400000_NS6detail17trampoline_kernelINS0_14default_configENS1_38merge_sort_block_merge_config_selectorI12hip_bfloat16NS0_10empty_typeEEEZZNS1_27merge_sort_block_merge_implIS3_PS5_PS6_jNS1_19radix_merge_compareILb1ELb0ES5_NS0_19identity_decomposerEEEEE10hipError_tT0_T1_T2_jT3_P12ihipStream_tbPNSt15iterator_traitsISF_E10value_typeEPNSL_ISG_E10value_typeEPSH_NS1_7vsmem_tEENKUlT_SF_SG_SH_E_clIS9_S9_SA_SA_EESE_SU_SF_SG_SH_EUlSU_E1_NS1_11comp_targetILNS1_3genE3ELNS1_11target_archE908ELNS1_3gpuE7ELNS1_3repE0EEENS1_36merge_oddeven_config_static_selectorELNS0_4arch9wavefront6targetE0EEEvSG_
    .private_segment_fixed_size: 0
    .sgpr_count:     0
    .sgpr_spill_count: 0
    .symbol:         _ZN7rocprim17ROCPRIM_400000_NS6detail17trampoline_kernelINS0_14default_configENS1_38merge_sort_block_merge_config_selectorI12hip_bfloat16NS0_10empty_typeEEEZZNS1_27merge_sort_block_merge_implIS3_PS5_PS6_jNS1_19radix_merge_compareILb1ELb0ES5_NS0_19identity_decomposerEEEEE10hipError_tT0_T1_T2_jT3_P12ihipStream_tbPNSt15iterator_traitsISF_E10value_typeEPNSL_ISG_E10value_typeEPSH_NS1_7vsmem_tEENKUlT_SF_SG_SH_E_clIS9_S9_SA_SA_EESE_SU_SF_SG_SH_EUlSU_E1_NS1_11comp_targetILNS1_3genE3ELNS1_11target_archE908ELNS1_3gpuE7ELNS1_3repE0EEENS1_36merge_oddeven_config_static_selectorELNS0_4arch9wavefront6targetE0EEEvSG_.kd
    .uniform_work_group_size: 1
    .uses_dynamic_stack: false
    .vgpr_count:     0
    .vgpr_spill_count: 0
    .wavefront_size: 32
  - .args:
      - .offset:         0
        .size:           48
        .value_kind:     by_value
    .group_segment_fixed_size: 0
    .kernarg_segment_align: 8
    .kernarg_segment_size: 48
    .language:       OpenCL C
    .language_version:
      - 2
      - 0
    .max_flat_workgroup_size: 256
    .name:           _ZN7rocprim17ROCPRIM_400000_NS6detail17trampoline_kernelINS0_14default_configENS1_38merge_sort_block_merge_config_selectorI12hip_bfloat16NS0_10empty_typeEEEZZNS1_27merge_sort_block_merge_implIS3_PS5_PS6_jNS1_19radix_merge_compareILb1ELb0ES5_NS0_19identity_decomposerEEEEE10hipError_tT0_T1_T2_jT3_P12ihipStream_tbPNSt15iterator_traitsISF_E10value_typeEPNSL_ISG_E10value_typeEPSH_NS1_7vsmem_tEENKUlT_SF_SG_SH_E_clIS9_S9_SA_SA_EESE_SU_SF_SG_SH_EUlSU_E1_NS1_11comp_targetILNS1_3genE2ELNS1_11target_archE906ELNS1_3gpuE6ELNS1_3repE0EEENS1_36merge_oddeven_config_static_selectorELNS0_4arch9wavefront6targetE0EEEvSG_
    .private_segment_fixed_size: 0
    .sgpr_count:     0
    .sgpr_spill_count: 0
    .symbol:         _ZN7rocprim17ROCPRIM_400000_NS6detail17trampoline_kernelINS0_14default_configENS1_38merge_sort_block_merge_config_selectorI12hip_bfloat16NS0_10empty_typeEEEZZNS1_27merge_sort_block_merge_implIS3_PS5_PS6_jNS1_19radix_merge_compareILb1ELb0ES5_NS0_19identity_decomposerEEEEE10hipError_tT0_T1_T2_jT3_P12ihipStream_tbPNSt15iterator_traitsISF_E10value_typeEPNSL_ISG_E10value_typeEPSH_NS1_7vsmem_tEENKUlT_SF_SG_SH_E_clIS9_S9_SA_SA_EESE_SU_SF_SG_SH_EUlSU_E1_NS1_11comp_targetILNS1_3genE2ELNS1_11target_archE906ELNS1_3gpuE6ELNS1_3repE0EEENS1_36merge_oddeven_config_static_selectorELNS0_4arch9wavefront6targetE0EEEvSG_.kd
    .uniform_work_group_size: 1
    .uses_dynamic_stack: false
    .vgpr_count:     0
    .vgpr_spill_count: 0
    .wavefront_size: 32
  - .args:
      - .offset:         0
        .size:           48
        .value_kind:     by_value
    .group_segment_fixed_size: 0
    .kernarg_segment_align: 8
    .kernarg_segment_size: 48
    .language:       OpenCL C
    .language_version:
      - 2
      - 0
    .max_flat_workgroup_size: 256
    .name:           _ZN7rocprim17ROCPRIM_400000_NS6detail17trampoline_kernelINS0_14default_configENS1_38merge_sort_block_merge_config_selectorI12hip_bfloat16NS0_10empty_typeEEEZZNS1_27merge_sort_block_merge_implIS3_PS5_PS6_jNS1_19radix_merge_compareILb1ELb0ES5_NS0_19identity_decomposerEEEEE10hipError_tT0_T1_T2_jT3_P12ihipStream_tbPNSt15iterator_traitsISF_E10value_typeEPNSL_ISG_E10value_typeEPSH_NS1_7vsmem_tEENKUlT_SF_SG_SH_E_clIS9_S9_SA_SA_EESE_SU_SF_SG_SH_EUlSU_E1_NS1_11comp_targetILNS1_3genE9ELNS1_11target_archE1100ELNS1_3gpuE3ELNS1_3repE0EEENS1_36merge_oddeven_config_static_selectorELNS0_4arch9wavefront6targetE0EEEvSG_
    .private_segment_fixed_size: 0
    .sgpr_count:     0
    .sgpr_spill_count: 0
    .symbol:         _ZN7rocprim17ROCPRIM_400000_NS6detail17trampoline_kernelINS0_14default_configENS1_38merge_sort_block_merge_config_selectorI12hip_bfloat16NS0_10empty_typeEEEZZNS1_27merge_sort_block_merge_implIS3_PS5_PS6_jNS1_19radix_merge_compareILb1ELb0ES5_NS0_19identity_decomposerEEEEE10hipError_tT0_T1_T2_jT3_P12ihipStream_tbPNSt15iterator_traitsISF_E10value_typeEPNSL_ISG_E10value_typeEPSH_NS1_7vsmem_tEENKUlT_SF_SG_SH_E_clIS9_S9_SA_SA_EESE_SU_SF_SG_SH_EUlSU_E1_NS1_11comp_targetILNS1_3genE9ELNS1_11target_archE1100ELNS1_3gpuE3ELNS1_3repE0EEENS1_36merge_oddeven_config_static_selectorELNS0_4arch9wavefront6targetE0EEEvSG_.kd
    .uniform_work_group_size: 1
    .uses_dynamic_stack: false
    .vgpr_count:     0
    .vgpr_spill_count: 0
    .wavefront_size: 32
  - .args:
      - .offset:         0
        .size:           48
        .value_kind:     by_value
    .group_segment_fixed_size: 0
    .kernarg_segment_align: 8
    .kernarg_segment_size: 48
    .language:       OpenCL C
    .language_version:
      - 2
      - 0
    .max_flat_workgroup_size: 256
    .name:           _ZN7rocprim17ROCPRIM_400000_NS6detail17trampoline_kernelINS0_14default_configENS1_38merge_sort_block_merge_config_selectorI12hip_bfloat16NS0_10empty_typeEEEZZNS1_27merge_sort_block_merge_implIS3_PS5_PS6_jNS1_19radix_merge_compareILb1ELb0ES5_NS0_19identity_decomposerEEEEE10hipError_tT0_T1_T2_jT3_P12ihipStream_tbPNSt15iterator_traitsISF_E10value_typeEPNSL_ISG_E10value_typeEPSH_NS1_7vsmem_tEENKUlT_SF_SG_SH_E_clIS9_S9_SA_SA_EESE_SU_SF_SG_SH_EUlSU_E1_NS1_11comp_targetILNS1_3genE8ELNS1_11target_archE1030ELNS1_3gpuE2ELNS1_3repE0EEENS1_36merge_oddeven_config_static_selectorELNS0_4arch9wavefront6targetE0EEEvSG_
    .private_segment_fixed_size: 0
    .sgpr_count:     0
    .sgpr_spill_count: 0
    .symbol:         _ZN7rocprim17ROCPRIM_400000_NS6detail17trampoline_kernelINS0_14default_configENS1_38merge_sort_block_merge_config_selectorI12hip_bfloat16NS0_10empty_typeEEEZZNS1_27merge_sort_block_merge_implIS3_PS5_PS6_jNS1_19radix_merge_compareILb1ELb0ES5_NS0_19identity_decomposerEEEEE10hipError_tT0_T1_T2_jT3_P12ihipStream_tbPNSt15iterator_traitsISF_E10value_typeEPNSL_ISG_E10value_typeEPSH_NS1_7vsmem_tEENKUlT_SF_SG_SH_E_clIS9_S9_SA_SA_EESE_SU_SF_SG_SH_EUlSU_E1_NS1_11comp_targetILNS1_3genE8ELNS1_11target_archE1030ELNS1_3gpuE2ELNS1_3repE0EEENS1_36merge_oddeven_config_static_selectorELNS0_4arch9wavefront6targetE0EEEvSG_.kd
    .uniform_work_group_size: 1
    .uses_dynamic_stack: false
    .vgpr_count:     0
    .vgpr_spill_count: 0
    .wavefront_size: 32
  - .args:
      - .offset:         0
        .size:           40
        .value_kind:     by_value
      - .offset:         40
        .size:           4
        .value_kind:     hidden_block_count_x
      - .offset:         44
        .size:           4
        .value_kind:     hidden_block_count_y
      - .offset:         48
        .size:           4
        .value_kind:     hidden_block_count_z
      - .offset:         52
        .size:           2
        .value_kind:     hidden_group_size_x
      - .offset:         54
        .size:           2
        .value_kind:     hidden_group_size_y
      - .offset:         56
        .size:           2
        .value_kind:     hidden_group_size_z
      - .offset:         58
        .size:           2
        .value_kind:     hidden_remainder_x
      - .offset:         60
        .size:           2
        .value_kind:     hidden_remainder_y
      - .offset:         62
        .size:           2
        .value_kind:     hidden_remainder_z
      - .offset:         80
        .size:           8
        .value_kind:     hidden_global_offset_x
      - .offset:         88
        .size:           8
        .value_kind:     hidden_global_offset_y
      - .offset:         96
        .size:           8
        .value_kind:     hidden_global_offset_z
      - .offset:         104
        .size:           2
        .value_kind:     hidden_grid_dims
    .group_segment_fixed_size: 0
    .kernarg_segment_align: 8
    .kernarg_segment_size: 296
    .language:       OpenCL C
    .language_version:
      - 2
      - 0
    .max_flat_workgroup_size: 128
    .name:           _ZN7rocprim17ROCPRIM_400000_NS6detail17trampoline_kernelINS0_14default_configENS1_25transform_config_selectorI12hip_bfloat16Lb1EEEZNS1_14transform_implILb1ES3_S6_PS5_S8_NS0_8identityIS5_EEEE10hipError_tT2_T3_mT4_P12ihipStream_tbEUlT_E_NS1_11comp_targetILNS1_3genE0ELNS1_11target_archE4294967295ELNS1_3gpuE0ELNS1_3repE0EEENS1_30default_config_static_selectorELNS0_4arch9wavefront6targetE0EEEvT1_
    .private_segment_fixed_size: 0
    .sgpr_count:     17
    .sgpr_spill_count: 0
    .symbol:         _ZN7rocprim17ROCPRIM_400000_NS6detail17trampoline_kernelINS0_14default_configENS1_25transform_config_selectorI12hip_bfloat16Lb1EEEZNS1_14transform_implILb1ES3_S6_PS5_S8_NS0_8identityIS5_EEEE10hipError_tT2_T3_mT4_P12ihipStream_tbEUlT_E_NS1_11comp_targetILNS1_3genE0ELNS1_11target_archE4294967295ELNS1_3gpuE0ELNS1_3repE0EEENS1_30default_config_static_selectorELNS0_4arch9wavefront6targetE0EEEvT1_.kd
    .uniform_work_group_size: 1
    .uses_dynamic_stack: false
    .vgpr_count:     6
    .vgpr_spill_count: 0
    .wavefront_size: 32
  - .args:
      - .offset:         0
        .size:           40
        .value_kind:     by_value
    .group_segment_fixed_size: 0
    .kernarg_segment_align: 8
    .kernarg_segment_size: 40
    .language:       OpenCL C
    .language_version:
      - 2
      - 0
    .max_flat_workgroup_size: 1024
    .name:           _ZN7rocprim17ROCPRIM_400000_NS6detail17trampoline_kernelINS0_14default_configENS1_25transform_config_selectorI12hip_bfloat16Lb1EEEZNS1_14transform_implILb1ES3_S6_PS5_S8_NS0_8identityIS5_EEEE10hipError_tT2_T3_mT4_P12ihipStream_tbEUlT_E_NS1_11comp_targetILNS1_3genE10ELNS1_11target_archE1201ELNS1_3gpuE5ELNS1_3repE0EEENS1_30default_config_static_selectorELNS0_4arch9wavefront6targetE0EEEvT1_
    .private_segment_fixed_size: 0
    .sgpr_count:     0
    .sgpr_spill_count: 0
    .symbol:         _ZN7rocprim17ROCPRIM_400000_NS6detail17trampoline_kernelINS0_14default_configENS1_25transform_config_selectorI12hip_bfloat16Lb1EEEZNS1_14transform_implILb1ES3_S6_PS5_S8_NS0_8identityIS5_EEEE10hipError_tT2_T3_mT4_P12ihipStream_tbEUlT_E_NS1_11comp_targetILNS1_3genE10ELNS1_11target_archE1201ELNS1_3gpuE5ELNS1_3repE0EEENS1_30default_config_static_selectorELNS0_4arch9wavefront6targetE0EEEvT1_.kd
    .uniform_work_group_size: 1
    .uses_dynamic_stack: false
    .vgpr_count:     0
    .vgpr_spill_count: 0
    .wavefront_size: 32
  - .args:
      - .offset:         0
        .size:           40
        .value_kind:     by_value
    .group_segment_fixed_size: 0
    .kernarg_segment_align: 8
    .kernarg_segment_size: 40
    .language:       OpenCL C
    .language_version:
      - 2
      - 0
    .max_flat_workgroup_size: 256
    .name:           _ZN7rocprim17ROCPRIM_400000_NS6detail17trampoline_kernelINS0_14default_configENS1_25transform_config_selectorI12hip_bfloat16Lb1EEEZNS1_14transform_implILb1ES3_S6_PS5_S8_NS0_8identityIS5_EEEE10hipError_tT2_T3_mT4_P12ihipStream_tbEUlT_E_NS1_11comp_targetILNS1_3genE5ELNS1_11target_archE942ELNS1_3gpuE9ELNS1_3repE0EEENS1_30default_config_static_selectorELNS0_4arch9wavefront6targetE0EEEvT1_
    .private_segment_fixed_size: 0
    .sgpr_count:     0
    .sgpr_spill_count: 0
    .symbol:         _ZN7rocprim17ROCPRIM_400000_NS6detail17trampoline_kernelINS0_14default_configENS1_25transform_config_selectorI12hip_bfloat16Lb1EEEZNS1_14transform_implILb1ES3_S6_PS5_S8_NS0_8identityIS5_EEEE10hipError_tT2_T3_mT4_P12ihipStream_tbEUlT_E_NS1_11comp_targetILNS1_3genE5ELNS1_11target_archE942ELNS1_3gpuE9ELNS1_3repE0EEENS1_30default_config_static_selectorELNS0_4arch9wavefront6targetE0EEEvT1_.kd
    .uniform_work_group_size: 1
    .uses_dynamic_stack: false
    .vgpr_count:     0
    .vgpr_spill_count: 0
    .wavefront_size: 32
  - .args:
      - .offset:         0
        .size:           40
        .value_kind:     by_value
    .group_segment_fixed_size: 0
    .kernarg_segment_align: 8
    .kernarg_segment_size: 40
    .language:       OpenCL C
    .language_version:
      - 2
      - 0
    .max_flat_workgroup_size: 1024
    .name:           _ZN7rocprim17ROCPRIM_400000_NS6detail17trampoline_kernelINS0_14default_configENS1_25transform_config_selectorI12hip_bfloat16Lb1EEEZNS1_14transform_implILb1ES3_S6_PS5_S8_NS0_8identityIS5_EEEE10hipError_tT2_T3_mT4_P12ihipStream_tbEUlT_E_NS1_11comp_targetILNS1_3genE4ELNS1_11target_archE910ELNS1_3gpuE8ELNS1_3repE0EEENS1_30default_config_static_selectorELNS0_4arch9wavefront6targetE0EEEvT1_
    .private_segment_fixed_size: 0
    .sgpr_count:     0
    .sgpr_spill_count: 0
    .symbol:         _ZN7rocprim17ROCPRIM_400000_NS6detail17trampoline_kernelINS0_14default_configENS1_25transform_config_selectorI12hip_bfloat16Lb1EEEZNS1_14transform_implILb1ES3_S6_PS5_S8_NS0_8identityIS5_EEEE10hipError_tT2_T3_mT4_P12ihipStream_tbEUlT_E_NS1_11comp_targetILNS1_3genE4ELNS1_11target_archE910ELNS1_3gpuE8ELNS1_3repE0EEENS1_30default_config_static_selectorELNS0_4arch9wavefront6targetE0EEEvT1_.kd
    .uniform_work_group_size: 1
    .uses_dynamic_stack: false
    .vgpr_count:     0
    .vgpr_spill_count: 0
    .wavefront_size: 32
  - .args:
      - .offset:         0
        .size:           40
        .value_kind:     by_value
    .group_segment_fixed_size: 0
    .kernarg_segment_align: 8
    .kernarg_segment_size: 40
    .language:       OpenCL C
    .language_version:
      - 2
      - 0
    .max_flat_workgroup_size: 128
    .name:           _ZN7rocprim17ROCPRIM_400000_NS6detail17trampoline_kernelINS0_14default_configENS1_25transform_config_selectorI12hip_bfloat16Lb1EEEZNS1_14transform_implILb1ES3_S6_PS5_S8_NS0_8identityIS5_EEEE10hipError_tT2_T3_mT4_P12ihipStream_tbEUlT_E_NS1_11comp_targetILNS1_3genE3ELNS1_11target_archE908ELNS1_3gpuE7ELNS1_3repE0EEENS1_30default_config_static_selectorELNS0_4arch9wavefront6targetE0EEEvT1_
    .private_segment_fixed_size: 0
    .sgpr_count:     0
    .sgpr_spill_count: 0
    .symbol:         _ZN7rocprim17ROCPRIM_400000_NS6detail17trampoline_kernelINS0_14default_configENS1_25transform_config_selectorI12hip_bfloat16Lb1EEEZNS1_14transform_implILb1ES3_S6_PS5_S8_NS0_8identityIS5_EEEE10hipError_tT2_T3_mT4_P12ihipStream_tbEUlT_E_NS1_11comp_targetILNS1_3genE3ELNS1_11target_archE908ELNS1_3gpuE7ELNS1_3repE0EEENS1_30default_config_static_selectorELNS0_4arch9wavefront6targetE0EEEvT1_.kd
    .uniform_work_group_size: 1
    .uses_dynamic_stack: false
    .vgpr_count:     0
    .vgpr_spill_count: 0
    .wavefront_size: 32
  - .args:
      - .offset:         0
        .size:           40
        .value_kind:     by_value
    .group_segment_fixed_size: 0
    .kernarg_segment_align: 8
    .kernarg_segment_size: 40
    .language:       OpenCL C
    .language_version:
      - 2
      - 0
    .max_flat_workgroup_size: 512
    .name:           _ZN7rocprim17ROCPRIM_400000_NS6detail17trampoline_kernelINS0_14default_configENS1_25transform_config_selectorI12hip_bfloat16Lb1EEEZNS1_14transform_implILb1ES3_S6_PS5_S8_NS0_8identityIS5_EEEE10hipError_tT2_T3_mT4_P12ihipStream_tbEUlT_E_NS1_11comp_targetILNS1_3genE2ELNS1_11target_archE906ELNS1_3gpuE6ELNS1_3repE0EEENS1_30default_config_static_selectorELNS0_4arch9wavefront6targetE0EEEvT1_
    .private_segment_fixed_size: 0
    .sgpr_count:     0
    .sgpr_spill_count: 0
    .symbol:         _ZN7rocprim17ROCPRIM_400000_NS6detail17trampoline_kernelINS0_14default_configENS1_25transform_config_selectorI12hip_bfloat16Lb1EEEZNS1_14transform_implILb1ES3_S6_PS5_S8_NS0_8identityIS5_EEEE10hipError_tT2_T3_mT4_P12ihipStream_tbEUlT_E_NS1_11comp_targetILNS1_3genE2ELNS1_11target_archE906ELNS1_3gpuE6ELNS1_3repE0EEENS1_30default_config_static_selectorELNS0_4arch9wavefront6targetE0EEEvT1_.kd
    .uniform_work_group_size: 1
    .uses_dynamic_stack: false
    .vgpr_count:     0
    .vgpr_spill_count: 0
    .wavefront_size: 32
  - .args:
      - .offset:         0
        .size:           40
        .value_kind:     by_value
    .group_segment_fixed_size: 0
    .kernarg_segment_align: 8
    .kernarg_segment_size: 40
    .language:       OpenCL C
    .language_version:
      - 2
      - 0
    .max_flat_workgroup_size: 1024
    .name:           _ZN7rocprim17ROCPRIM_400000_NS6detail17trampoline_kernelINS0_14default_configENS1_25transform_config_selectorI12hip_bfloat16Lb1EEEZNS1_14transform_implILb1ES3_S6_PS5_S8_NS0_8identityIS5_EEEE10hipError_tT2_T3_mT4_P12ihipStream_tbEUlT_E_NS1_11comp_targetILNS1_3genE9ELNS1_11target_archE1100ELNS1_3gpuE3ELNS1_3repE0EEENS1_30default_config_static_selectorELNS0_4arch9wavefront6targetE0EEEvT1_
    .private_segment_fixed_size: 0
    .sgpr_count:     0
    .sgpr_spill_count: 0
    .symbol:         _ZN7rocprim17ROCPRIM_400000_NS6detail17trampoline_kernelINS0_14default_configENS1_25transform_config_selectorI12hip_bfloat16Lb1EEEZNS1_14transform_implILb1ES3_S6_PS5_S8_NS0_8identityIS5_EEEE10hipError_tT2_T3_mT4_P12ihipStream_tbEUlT_E_NS1_11comp_targetILNS1_3genE9ELNS1_11target_archE1100ELNS1_3gpuE3ELNS1_3repE0EEENS1_30default_config_static_selectorELNS0_4arch9wavefront6targetE0EEEvT1_.kd
    .uniform_work_group_size: 1
    .uses_dynamic_stack: false
    .vgpr_count:     0
    .vgpr_spill_count: 0
    .wavefront_size: 32
  - .args:
      - .offset:         0
        .size:           40
        .value_kind:     by_value
    .group_segment_fixed_size: 0
    .kernarg_segment_align: 8
    .kernarg_segment_size: 40
    .language:       OpenCL C
    .language_version:
      - 2
      - 0
    .max_flat_workgroup_size: 1024
    .name:           _ZN7rocprim17ROCPRIM_400000_NS6detail17trampoline_kernelINS0_14default_configENS1_25transform_config_selectorI12hip_bfloat16Lb1EEEZNS1_14transform_implILb1ES3_S6_PS5_S8_NS0_8identityIS5_EEEE10hipError_tT2_T3_mT4_P12ihipStream_tbEUlT_E_NS1_11comp_targetILNS1_3genE8ELNS1_11target_archE1030ELNS1_3gpuE2ELNS1_3repE0EEENS1_30default_config_static_selectorELNS0_4arch9wavefront6targetE0EEEvT1_
    .private_segment_fixed_size: 0
    .sgpr_count:     0
    .sgpr_spill_count: 0
    .symbol:         _ZN7rocprim17ROCPRIM_400000_NS6detail17trampoline_kernelINS0_14default_configENS1_25transform_config_selectorI12hip_bfloat16Lb1EEEZNS1_14transform_implILb1ES3_S6_PS5_S8_NS0_8identityIS5_EEEE10hipError_tT2_T3_mT4_P12ihipStream_tbEUlT_E_NS1_11comp_targetILNS1_3genE8ELNS1_11target_archE1030ELNS1_3gpuE2ELNS1_3repE0EEENS1_30default_config_static_selectorELNS0_4arch9wavefront6targetE0EEEvT1_.kd
    .uniform_work_group_size: 1
    .uses_dynamic_stack: false
    .vgpr_count:     0
    .vgpr_spill_count: 0
    .wavefront_size: 32
  - .args:
      - .offset:         0
        .size:           48
        .value_kind:     by_value
    .group_segment_fixed_size: 8192
    .kernarg_segment_align: 8
    .kernarg_segment_size: 48
    .language:       OpenCL C
    .language_version:
      - 2
      - 0
    .max_flat_workgroup_size: 512
    .name:           _ZN7rocprim17ROCPRIM_400000_NS6detail17trampoline_kernelINS0_14default_configENS1_35radix_sort_onesweep_config_selectorI12hip_bfloat16NS0_10empty_typeEEEZNS1_34radix_sort_onesweep_global_offsetsIS3_Lb1EPKS5_PS6_mNS0_19identity_decomposerEEE10hipError_tT1_T2_PT3_SG_jT4_jjP12ihipStream_tbEUlT_E_NS1_11comp_targetILNS1_3genE0ELNS1_11target_archE4294967295ELNS1_3gpuE0ELNS1_3repE0EEENS1_52radix_sort_onesweep_histogram_config_static_selectorELNS0_4arch9wavefront6targetE0EEEvSE_
    .private_segment_fixed_size: 0
    .sgpr_count:     15
    .sgpr_spill_count: 0
    .symbol:         _ZN7rocprim17ROCPRIM_400000_NS6detail17trampoline_kernelINS0_14default_configENS1_35radix_sort_onesweep_config_selectorI12hip_bfloat16NS0_10empty_typeEEEZNS1_34radix_sort_onesweep_global_offsetsIS3_Lb1EPKS5_PS6_mNS0_19identity_decomposerEEE10hipError_tT1_T2_PT3_SG_jT4_jjP12ihipStream_tbEUlT_E_NS1_11comp_targetILNS1_3genE0ELNS1_11target_archE4294967295ELNS1_3gpuE0ELNS1_3repE0EEENS1_52radix_sort_onesweep_histogram_config_static_selectorELNS0_4arch9wavefront6targetE0EEEvSE_.kd
    .uniform_work_group_size: 1
    .uses_dynamic_stack: false
    .vgpr_count:     28
    .vgpr_spill_count: 0
    .wavefront_size: 32
  - .args:
      - .offset:         0
        .size:           48
        .value_kind:     by_value
    .group_segment_fixed_size: 0
    .kernarg_segment_align: 8
    .kernarg_segment_size: 48
    .language:       OpenCL C
    .language_version:
      - 2
      - 0
    .max_flat_workgroup_size: 1024
    .name:           _ZN7rocprim17ROCPRIM_400000_NS6detail17trampoline_kernelINS0_14default_configENS1_35radix_sort_onesweep_config_selectorI12hip_bfloat16NS0_10empty_typeEEEZNS1_34radix_sort_onesweep_global_offsetsIS3_Lb1EPKS5_PS6_mNS0_19identity_decomposerEEE10hipError_tT1_T2_PT3_SG_jT4_jjP12ihipStream_tbEUlT_E_NS1_11comp_targetILNS1_3genE6ELNS1_11target_archE950ELNS1_3gpuE13ELNS1_3repE0EEENS1_52radix_sort_onesweep_histogram_config_static_selectorELNS0_4arch9wavefront6targetE0EEEvSE_
    .private_segment_fixed_size: 0
    .sgpr_count:     0
    .sgpr_spill_count: 0
    .symbol:         _ZN7rocprim17ROCPRIM_400000_NS6detail17trampoline_kernelINS0_14default_configENS1_35radix_sort_onesweep_config_selectorI12hip_bfloat16NS0_10empty_typeEEEZNS1_34radix_sort_onesweep_global_offsetsIS3_Lb1EPKS5_PS6_mNS0_19identity_decomposerEEE10hipError_tT1_T2_PT3_SG_jT4_jjP12ihipStream_tbEUlT_E_NS1_11comp_targetILNS1_3genE6ELNS1_11target_archE950ELNS1_3gpuE13ELNS1_3repE0EEENS1_52radix_sort_onesweep_histogram_config_static_selectorELNS0_4arch9wavefront6targetE0EEEvSE_.kd
    .uniform_work_group_size: 1
    .uses_dynamic_stack: false
    .vgpr_count:     0
    .vgpr_spill_count: 0
    .wavefront_size: 32
  - .args:
      - .offset:         0
        .size:           48
        .value_kind:     by_value
    .group_segment_fixed_size: 0
    .kernarg_segment_align: 8
    .kernarg_segment_size: 48
    .language:       OpenCL C
    .language_version:
      - 2
      - 0
    .max_flat_workgroup_size: 1024
    .name:           _ZN7rocprim17ROCPRIM_400000_NS6detail17trampoline_kernelINS0_14default_configENS1_35radix_sort_onesweep_config_selectorI12hip_bfloat16NS0_10empty_typeEEEZNS1_34radix_sort_onesweep_global_offsetsIS3_Lb1EPKS5_PS6_mNS0_19identity_decomposerEEE10hipError_tT1_T2_PT3_SG_jT4_jjP12ihipStream_tbEUlT_E_NS1_11comp_targetILNS1_3genE5ELNS1_11target_archE942ELNS1_3gpuE9ELNS1_3repE0EEENS1_52radix_sort_onesweep_histogram_config_static_selectorELNS0_4arch9wavefront6targetE0EEEvSE_
    .private_segment_fixed_size: 0
    .sgpr_count:     0
    .sgpr_spill_count: 0
    .symbol:         _ZN7rocprim17ROCPRIM_400000_NS6detail17trampoline_kernelINS0_14default_configENS1_35radix_sort_onesweep_config_selectorI12hip_bfloat16NS0_10empty_typeEEEZNS1_34radix_sort_onesweep_global_offsetsIS3_Lb1EPKS5_PS6_mNS0_19identity_decomposerEEE10hipError_tT1_T2_PT3_SG_jT4_jjP12ihipStream_tbEUlT_E_NS1_11comp_targetILNS1_3genE5ELNS1_11target_archE942ELNS1_3gpuE9ELNS1_3repE0EEENS1_52radix_sort_onesweep_histogram_config_static_selectorELNS0_4arch9wavefront6targetE0EEEvSE_.kd
    .uniform_work_group_size: 1
    .uses_dynamic_stack: false
    .vgpr_count:     0
    .vgpr_spill_count: 0
    .wavefront_size: 32
  - .args:
      - .offset:         0
        .size:           48
        .value_kind:     by_value
    .group_segment_fixed_size: 0
    .kernarg_segment_align: 8
    .kernarg_segment_size: 48
    .language:       OpenCL C
    .language_version:
      - 2
      - 0
    .max_flat_workgroup_size: 512
    .name:           _ZN7rocprim17ROCPRIM_400000_NS6detail17trampoline_kernelINS0_14default_configENS1_35radix_sort_onesweep_config_selectorI12hip_bfloat16NS0_10empty_typeEEEZNS1_34radix_sort_onesweep_global_offsetsIS3_Lb1EPKS5_PS6_mNS0_19identity_decomposerEEE10hipError_tT1_T2_PT3_SG_jT4_jjP12ihipStream_tbEUlT_E_NS1_11comp_targetILNS1_3genE2ELNS1_11target_archE906ELNS1_3gpuE6ELNS1_3repE0EEENS1_52radix_sort_onesweep_histogram_config_static_selectorELNS0_4arch9wavefront6targetE0EEEvSE_
    .private_segment_fixed_size: 0
    .sgpr_count:     0
    .sgpr_spill_count: 0
    .symbol:         _ZN7rocprim17ROCPRIM_400000_NS6detail17trampoline_kernelINS0_14default_configENS1_35radix_sort_onesweep_config_selectorI12hip_bfloat16NS0_10empty_typeEEEZNS1_34radix_sort_onesweep_global_offsetsIS3_Lb1EPKS5_PS6_mNS0_19identity_decomposerEEE10hipError_tT1_T2_PT3_SG_jT4_jjP12ihipStream_tbEUlT_E_NS1_11comp_targetILNS1_3genE2ELNS1_11target_archE906ELNS1_3gpuE6ELNS1_3repE0EEENS1_52radix_sort_onesweep_histogram_config_static_selectorELNS0_4arch9wavefront6targetE0EEEvSE_.kd
    .uniform_work_group_size: 1
    .uses_dynamic_stack: false
    .vgpr_count:     0
    .vgpr_spill_count: 0
    .wavefront_size: 32
  - .args:
      - .offset:         0
        .size:           48
        .value_kind:     by_value
    .group_segment_fixed_size: 0
    .kernarg_segment_align: 8
    .kernarg_segment_size: 48
    .language:       OpenCL C
    .language_version:
      - 2
      - 0
    .max_flat_workgroup_size: 1024
    .name:           _ZN7rocprim17ROCPRIM_400000_NS6detail17trampoline_kernelINS0_14default_configENS1_35radix_sort_onesweep_config_selectorI12hip_bfloat16NS0_10empty_typeEEEZNS1_34radix_sort_onesweep_global_offsetsIS3_Lb1EPKS5_PS6_mNS0_19identity_decomposerEEE10hipError_tT1_T2_PT3_SG_jT4_jjP12ihipStream_tbEUlT_E_NS1_11comp_targetILNS1_3genE4ELNS1_11target_archE910ELNS1_3gpuE8ELNS1_3repE0EEENS1_52radix_sort_onesweep_histogram_config_static_selectorELNS0_4arch9wavefront6targetE0EEEvSE_
    .private_segment_fixed_size: 0
    .sgpr_count:     0
    .sgpr_spill_count: 0
    .symbol:         _ZN7rocprim17ROCPRIM_400000_NS6detail17trampoline_kernelINS0_14default_configENS1_35radix_sort_onesweep_config_selectorI12hip_bfloat16NS0_10empty_typeEEEZNS1_34radix_sort_onesweep_global_offsetsIS3_Lb1EPKS5_PS6_mNS0_19identity_decomposerEEE10hipError_tT1_T2_PT3_SG_jT4_jjP12ihipStream_tbEUlT_E_NS1_11comp_targetILNS1_3genE4ELNS1_11target_archE910ELNS1_3gpuE8ELNS1_3repE0EEENS1_52radix_sort_onesweep_histogram_config_static_selectorELNS0_4arch9wavefront6targetE0EEEvSE_.kd
    .uniform_work_group_size: 1
    .uses_dynamic_stack: false
    .vgpr_count:     0
    .vgpr_spill_count: 0
    .wavefront_size: 32
  - .args:
      - .offset:         0
        .size:           48
        .value_kind:     by_value
    .group_segment_fixed_size: 0
    .kernarg_segment_align: 8
    .kernarg_segment_size: 48
    .language:       OpenCL C
    .language_version:
      - 2
      - 0
    .max_flat_workgroup_size: 512
    .name:           _ZN7rocprim17ROCPRIM_400000_NS6detail17trampoline_kernelINS0_14default_configENS1_35radix_sort_onesweep_config_selectorI12hip_bfloat16NS0_10empty_typeEEEZNS1_34radix_sort_onesweep_global_offsetsIS3_Lb1EPKS5_PS6_mNS0_19identity_decomposerEEE10hipError_tT1_T2_PT3_SG_jT4_jjP12ihipStream_tbEUlT_E_NS1_11comp_targetILNS1_3genE3ELNS1_11target_archE908ELNS1_3gpuE7ELNS1_3repE0EEENS1_52radix_sort_onesweep_histogram_config_static_selectorELNS0_4arch9wavefront6targetE0EEEvSE_
    .private_segment_fixed_size: 0
    .sgpr_count:     0
    .sgpr_spill_count: 0
    .symbol:         _ZN7rocprim17ROCPRIM_400000_NS6detail17trampoline_kernelINS0_14default_configENS1_35radix_sort_onesweep_config_selectorI12hip_bfloat16NS0_10empty_typeEEEZNS1_34radix_sort_onesweep_global_offsetsIS3_Lb1EPKS5_PS6_mNS0_19identity_decomposerEEE10hipError_tT1_T2_PT3_SG_jT4_jjP12ihipStream_tbEUlT_E_NS1_11comp_targetILNS1_3genE3ELNS1_11target_archE908ELNS1_3gpuE7ELNS1_3repE0EEENS1_52radix_sort_onesweep_histogram_config_static_selectorELNS0_4arch9wavefront6targetE0EEEvSE_.kd
    .uniform_work_group_size: 1
    .uses_dynamic_stack: false
    .vgpr_count:     0
    .vgpr_spill_count: 0
    .wavefront_size: 32
  - .args:
      - .offset:         0
        .size:           48
        .value_kind:     by_value
    .group_segment_fixed_size: 0
    .kernarg_segment_align: 8
    .kernarg_segment_size: 48
    .language:       OpenCL C
    .language_version:
      - 2
      - 0
    .max_flat_workgroup_size: 256
    .name:           _ZN7rocprim17ROCPRIM_400000_NS6detail17trampoline_kernelINS0_14default_configENS1_35radix_sort_onesweep_config_selectorI12hip_bfloat16NS0_10empty_typeEEEZNS1_34radix_sort_onesweep_global_offsetsIS3_Lb1EPKS5_PS6_mNS0_19identity_decomposerEEE10hipError_tT1_T2_PT3_SG_jT4_jjP12ihipStream_tbEUlT_E_NS1_11comp_targetILNS1_3genE10ELNS1_11target_archE1201ELNS1_3gpuE5ELNS1_3repE0EEENS1_52radix_sort_onesweep_histogram_config_static_selectorELNS0_4arch9wavefront6targetE0EEEvSE_
    .private_segment_fixed_size: 0
    .sgpr_count:     0
    .sgpr_spill_count: 0
    .symbol:         _ZN7rocprim17ROCPRIM_400000_NS6detail17trampoline_kernelINS0_14default_configENS1_35radix_sort_onesweep_config_selectorI12hip_bfloat16NS0_10empty_typeEEEZNS1_34radix_sort_onesweep_global_offsetsIS3_Lb1EPKS5_PS6_mNS0_19identity_decomposerEEE10hipError_tT1_T2_PT3_SG_jT4_jjP12ihipStream_tbEUlT_E_NS1_11comp_targetILNS1_3genE10ELNS1_11target_archE1201ELNS1_3gpuE5ELNS1_3repE0EEENS1_52radix_sort_onesweep_histogram_config_static_selectorELNS0_4arch9wavefront6targetE0EEEvSE_.kd
    .uniform_work_group_size: 1
    .uses_dynamic_stack: false
    .vgpr_count:     0
    .vgpr_spill_count: 0
    .wavefront_size: 32
  - .args:
      - .offset:         0
        .size:           48
        .value_kind:     by_value
    .group_segment_fixed_size: 0
    .kernarg_segment_align: 8
    .kernarg_segment_size: 48
    .language:       OpenCL C
    .language_version:
      - 2
      - 0
    .max_flat_workgroup_size: 256
    .name:           _ZN7rocprim17ROCPRIM_400000_NS6detail17trampoline_kernelINS0_14default_configENS1_35radix_sort_onesweep_config_selectorI12hip_bfloat16NS0_10empty_typeEEEZNS1_34radix_sort_onesweep_global_offsetsIS3_Lb1EPKS5_PS6_mNS0_19identity_decomposerEEE10hipError_tT1_T2_PT3_SG_jT4_jjP12ihipStream_tbEUlT_E_NS1_11comp_targetILNS1_3genE9ELNS1_11target_archE1100ELNS1_3gpuE3ELNS1_3repE0EEENS1_52radix_sort_onesweep_histogram_config_static_selectorELNS0_4arch9wavefront6targetE0EEEvSE_
    .private_segment_fixed_size: 0
    .sgpr_count:     0
    .sgpr_spill_count: 0
    .symbol:         _ZN7rocprim17ROCPRIM_400000_NS6detail17trampoline_kernelINS0_14default_configENS1_35radix_sort_onesweep_config_selectorI12hip_bfloat16NS0_10empty_typeEEEZNS1_34radix_sort_onesweep_global_offsetsIS3_Lb1EPKS5_PS6_mNS0_19identity_decomposerEEE10hipError_tT1_T2_PT3_SG_jT4_jjP12ihipStream_tbEUlT_E_NS1_11comp_targetILNS1_3genE9ELNS1_11target_archE1100ELNS1_3gpuE3ELNS1_3repE0EEENS1_52radix_sort_onesweep_histogram_config_static_selectorELNS0_4arch9wavefront6targetE0EEEvSE_.kd
    .uniform_work_group_size: 1
    .uses_dynamic_stack: false
    .vgpr_count:     0
    .vgpr_spill_count: 0
    .wavefront_size: 32
  - .args:
      - .offset:         0
        .size:           48
        .value_kind:     by_value
    .group_segment_fixed_size: 0
    .kernarg_segment_align: 8
    .kernarg_segment_size: 48
    .language:       OpenCL C
    .language_version:
      - 2
      - 0
    .max_flat_workgroup_size: 256
    .name:           _ZN7rocprim17ROCPRIM_400000_NS6detail17trampoline_kernelINS0_14default_configENS1_35radix_sort_onesweep_config_selectorI12hip_bfloat16NS0_10empty_typeEEEZNS1_34radix_sort_onesweep_global_offsetsIS3_Lb1EPKS5_PS6_mNS0_19identity_decomposerEEE10hipError_tT1_T2_PT3_SG_jT4_jjP12ihipStream_tbEUlT_E_NS1_11comp_targetILNS1_3genE8ELNS1_11target_archE1030ELNS1_3gpuE2ELNS1_3repE0EEENS1_52radix_sort_onesweep_histogram_config_static_selectorELNS0_4arch9wavefront6targetE0EEEvSE_
    .private_segment_fixed_size: 0
    .sgpr_count:     0
    .sgpr_spill_count: 0
    .symbol:         _ZN7rocprim17ROCPRIM_400000_NS6detail17trampoline_kernelINS0_14default_configENS1_35radix_sort_onesweep_config_selectorI12hip_bfloat16NS0_10empty_typeEEEZNS1_34radix_sort_onesweep_global_offsetsIS3_Lb1EPKS5_PS6_mNS0_19identity_decomposerEEE10hipError_tT1_T2_PT3_SG_jT4_jjP12ihipStream_tbEUlT_E_NS1_11comp_targetILNS1_3genE8ELNS1_11target_archE1030ELNS1_3gpuE2ELNS1_3repE0EEENS1_52radix_sort_onesweep_histogram_config_static_selectorELNS0_4arch9wavefront6targetE0EEEvSE_.kd
    .uniform_work_group_size: 1
    .uses_dynamic_stack: false
    .vgpr_count:     0
    .vgpr_spill_count: 0
    .wavefront_size: 32
  - .args:
      - .address_space:  global
        .offset:         0
        .size:           8
        .value_kind:     global_buffer
    .group_segment_fixed_size: 128
    .kernarg_segment_align: 8
    .kernarg_segment_size: 8
    .language:       OpenCL C
    .language_version:
      - 2
      - 0
    .max_flat_workgroup_size: 512
    .name:           _ZN7rocprim17ROCPRIM_400000_NS6detail17trampoline_kernelINS0_14default_configENS1_35radix_sort_onesweep_config_selectorI12hip_bfloat16NS0_10empty_typeEEEZNS1_34radix_sort_onesweep_global_offsetsIS3_Lb1EPKS5_PS6_mNS0_19identity_decomposerEEE10hipError_tT1_T2_PT3_SG_jT4_jjP12ihipStream_tbEUlT_E0_NS1_11comp_targetILNS1_3genE0ELNS1_11target_archE4294967295ELNS1_3gpuE0ELNS1_3repE0EEENS1_52radix_sort_onesweep_histogram_config_static_selectorELNS0_4arch9wavefront6targetE0EEEvSE_
    .private_segment_fixed_size: 0
    .sgpr_count:     10
    .sgpr_spill_count: 0
    .symbol:         _ZN7rocprim17ROCPRIM_400000_NS6detail17trampoline_kernelINS0_14default_configENS1_35radix_sort_onesweep_config_selectorI12hip_bfloat16NS0_10empty_typeEEEZNS1_34radix_sort_onesweep_global_offsetsIS3_Lb1EPKS5_PS6_mNS0_19identity_decomposerEEE10hipError_tT1_T2_PT3_SG_jT4_jjP12ihipStream_tbEUlT_E0_NS1_11comp_targetILNS1_3genE0ELNS1_11target_archE4294967295ELNS1_3gpuE0ELNS1_3repE0EEENS1_52radix_sort_onesweep_histogram_config_static_selectorELNS0_4arch9wavefront6targetE0EEEvSE_.kd
    .uniform_work_group_size: 1
    .uses_dynamic_stack: false
    .vgpr_count:     14
    .vgpr_spill_count: 0
    .wavefront_size: 32
  - .args:
      - .address_space:  global
        .offset:         0
        .size:           8
        .value_kind:     global_buffer
    .group_segment_fixed_size: 0
    .kernarg_segment_align: 8
    .kernarg_segment_size: 8
    .language:       OpenCL C
    .language_version:
      - 2
      - 0
    .max_flat_workgroup_size: 1024
    .name:           _ZN7rocprim17ROCPRIM_400000_NS6detail17trampoline_kernelINS0_14default_configENS1_35radix_sort_onesweep_config_selectorI12hip_bfloat16NS0_10empty_typeEEEZNS1_34radix_sort_onesweep_global_offsetsIS3_Lb1EPKS5_PS6_mNS0_19identity_decomposerEEE10hipError_tT1_T2_PT3_SG_jT4_jjP12ihipStream_tbEUlT_E0_NS1_11comp_targetILNS1_3genE6ELNS1_11target_archE950ELNS1_3gpuE13ELNS1_3repE0EEENS1_52radix_sort_onesweep_histogram_config_static_selectorELNS0_4arch9wavefront6targetE0EEEvSE_
    .private_segment_fixed_size: 0
    .sgpr_count:     0
    .sgpr_spill_count: 0
    .symbol:         _ZN7rocprim17ROCPRIM_400000_NS6detail17trampoline_kernelINS0_14default_configENS1_35radix_sort_onesweep_config_selectorI12hip_bfloat16NS0_10empty_typeEEEZNS1_34radix_sort_onesweep_global_offsetsIS3_Lb1EPKS5_PS6_mNS0_19identity_decomposerEEE10hipError_tT1_T2_PT3_SG_jT4_jjP12ihipStream_tbEUlT_E0_NS1_11comp_targetILNS1_3genE6ELNS1_11target_archE950ELNS1_3gpuE13ELNS1_3repE0EEENS1_52radix_sort_onesweep_histogram_config_static_selectorELNS0_4arch9wavefront6targetE0EEEvSE_.kd
    .uniform_work_group_size: 1
    .uses_dynamic_stack: false
    .vgpr_count:     0
    .vgpr_spill_count: 0
    .wavefront_size: 32
  - .args:
      - .address_space:  global
        .offset:         0
        .size:           8
        .value_kind:     global_buffer
    .group_segment_fixed_size: 0
    .kernarg_segment_align: 8
    .kernarg_segment_size: 8
    .language:       OpenCL C
    .language_version:
      - 2
      - 0
    .max_flat_workgroup_size: 1024
    .name:           _ZN7rocprim17ROCPRIM_400000_NS6detail17trampoline_kernelINS0_14default_configENS1_35radix_sort_onesweep_config_selectorI12hip_bfloat16NS0_10empty_typeEEEZNS1_34radix_sort_onesweep_global_offsetsIS3_Lb1EPKS5_PS6_mNS0_19identity_decomposerEEE10hipError_tT1_T2_PT3_SG_jT4_jjP12ihipStream_tbEUlT_E0_NS1_11comp_targetILNS1_3genE5ELNS1_11target_archE942ELNS1_3gpuE9ELNS1_3repE0EEENS1_52radix_sort_onesweep_histogram_config_static_selectorELNS0_4arch9wavefront6targetE0EEEvSE_
    .private_segment_fixed_size: 0
    .sgpr_count:     0
    .sgpr_spill_count: 0
    .symbol:         _ZN7rocprim17ROCPRIM_400000_NS6detail17trampoline_kernelINS0_14default_configENS1_35radix_sort_onesweep_config_selectorI12hip_bfloat16NS0_10empty_typeEEEZNS1_34radix_sort_onesweep_global_offsetsIS3_Lb1EPKS5_PS6_mNS0_19identity_decomposerEEE10hipError_tT1_T2_PT3_SG_jT4_jjP12ihipStream_tbEUlT_E0_NS1_11comp_targetILNS1_3genE5ELNS1_11target_archE942ELNS1_3gpuE9ELNS1_3repE0EEENS1_52radix_sort_onesweep_histogram_config_static_selectorELNS0_4arch9wavefront6targetE0EEEvSE_.kd
    .uniform_work_group_size: 1
    .uses_dynamic_stack: false
    .vgpr_count:     0
    .vgpr_spill_count: 0
    .wavefront_size: 32
  - .args:
      - .address_space:  global
        .offset:         0
        .size:           8
        .value_kind:     global_buffer
    .group_segment_fixed_size: 0
    .kernarg_segment_align: 8
    .kernarg_segment_size: 8
    .language:       OpenCL C
    .language_version:
      - 2
      - 0
    .max_flat_workgroup_size: 512
    .name:           _ZN7rocprim17ROCPRIM_400000_NS6detail17trampoline_kernelINS0_14default_configENS1_35radix_sort_onesweep_config_selectorI12hip_bfloat16NS0_10empty_typeEEEZNS1_34radix_sort_onesweep_global_offsetsIS3_Lb1EPKS5_PS6_mNS0_19identity_decomposerEEE10hipError_tT1_T2_PT3_SG_jT4_jjP12ihipStream_tbEUlT_E0_NS1_11comp_targetILNS1_3genE2ELNS1_11target_archE906ELNS1_3gpuE6ELNS1_3repE0EEENS1_52radix_sort_onesweep_histogram_config_static_selectorELNS0_4arch9wavefront6targetE0EEEvSE_
    .private_segment_fixed_size: 0
    .sgpr_count:     0
    .sgpr_spill_count: 0
    .symbol:         _ZN7rocprim17ROCPRIM_400000_NS6detail17trampoline_kernelINS0_14default_configENS1_35radix_sort_onesweep_config_selectorI12hip_bfloat16NS0_10empty_typeEEEZNS1_34radix_sort_onesweep_global_offsetsIS3_Lb1EPKS5_PS6_mNS0_19identity_decomposerEEE10hipError_tT1_T2_PT3_SG_jT4_jjP12ihipStream_tbEUlT_E0_NS1_11comp_targetILNS1_3genE2ELNS1_11target_archE906ELNS1_3gpuE6ELNS1_3repE0EEENS1_52radix_sort_onesweep_histogram_config_static_selectorELNS0_4arch9wavefront6targetE0EEEvSE_.kd
    .uniform_work_group_size: 1
    .uses_dynamic_stack: false
    .vgpr_count:     0
    .vgpr_spill_count: 0
    .wavefront_size: 32
  - .args:
      - .address_space:  global
        .offset:         0
        .size:           8
        .value_kind:     global_buffer
    .group_segment_fixed_size: 0
    .kernarg_segment_align: 8
    .kernarg_segment_size: 8
    .language:       OpenCL C
    .language_version:
      - 2
      - 0
    .max_flat_workgroup_size: 1024
    .name:           _ZN7rocprim17ROCPRIM_400000_NS6detail17trampoline_kernelINS0_14default_configENS1_35radix_sort_onesweep_config_selectorI12hip_bfloat16NS0_10empty_typeEEEZNS1_34radix_sort_onesweep_global_offsetsIS3_Lb1EPKS5_PS6_mNS0_19identity_decomposerEEE10hipError_tT1_T2_PT3_SG_jT4_jjP12ihipStream_tbEUlT_E0_NS1_11comp_targetILNS1_3genE4ELNS1_11target_archE910ELNS1_3gpuE8ELNS1_3repE0EEENS1_52radix_sort_onesweep_histogram_config_static_selectorELNS0_4arch9wavefront6targetE0EEEvSE_
    .private_segment_fixed_size: 0
    .sgpr_count:     0
    .sgpr_spill_count: 0
    .symbol:         _ZN7rocprim17ROCPRIM_400000_NS6detail17trampoline_kernelINS0_14default_configENS1_35radix_sort_onesweep_config_selectorI12hip_bfloat16NS0_10empty_typeEEEZNS1_34radix_sort_onesweep_global_offsetsIS3_Lb1EPKS5_PS6_mNS0_19identity_decomposerEEE10hipError_tT1_T2_PT3_SG_jT4_jjP12ihipStream_tbEUlT_E0_NS1_11comp_targetILNS1_3genE4ELNS1_11target_archE910ELNS1_3gpuE8ELNS1_3repE0EEENS1_52radix_sort_onesweep_histogram_config_static_selectorELNS0_4arch9wavefront6targetE0EEEvSE_.kd
    .uniform_work_group_size: 1
    .uses_dynamic_stack: false
    .vgpr_count:     0
    .vgpr_spill_count: 0
    .wavefront_size: 32
  - .args:
      - .address_space:  global
        .offset:         0
        .size:           8
        .value_kind:     global_buffer
    .group_segment_fixed_size: 0
    .kernarg_segment_align: 8
    .kernarg_segment_size: 8
    .language:       OpenCL C
    .language_version:
      - 2
      - 0
    .max_flat_workgroup_size: 512
    .name:           _ZN7rocprim17ROCPRIM_400000_NS6detail17trampoline_kernelINS0_14default_configENS1_35radix_sort_onesweep_config_selectorI12hip_bfloat16NS0_10empty_typeEEEZNS1_34radix_sort_onesweep_global_offsetsIS3_Lb1EPKS5_PS6_mNS0_19identity_decomposerEEE10hipError_tT1_T2_PT3_SG_jT4_jjP12ihipStream_tbEUlT_E0_NS1_11comp_targetILNS1_3genE3ELNS1_11target_archE908ELNS1_3gpuE7ELNS1_3repE0EEENS1_52radix_sort_onesweep_histogram_config_static_selectorELNS0_4arch9wavefront6targetE0EEEvSE_
    .private_segment_fixed_size: 0
    .sgpr_count:     0
    .sgpr_spill_count: 0
    .symbol:         _ZN7rocprim17ROCPRIM_400000_NS6detail17trampoline_kernelINS0_14default_configENS1_35radix_sort_onesweep_config_selectorI12hip_bfloat16NS0_10empty_typeEEEZNS1_34radix_sort_onesweep_global_offsetsIS3_Lb1EPKS5_PS6_mNS0_19identity_decomposerEEE10hipError_tT1_T2_PT3_SG_jT4_jjP12ihipStream_tbEUlT_E0_NS1_11comp_targetILNS1_3genE3ELNS1_11target_archE908ELNS1_3gpuE7ELNS1_3repE0EEENS1_52radix_sort_onesweep_histogram_config_static_selectorELNS0_4arch9wavefront6targetE0EEEvSE_.kd
    .uniform_work_group_size: 1
    .uses_dynamic_stack: false
    .vgpr_count:     0
    .vgpr_spill_count: 0
    .wavefront_size: 32
  - .args:
      - .address_space:  global
        .offset:         0
        .size:           8
        .value_kind:     global_buffer
    .group_segment_fixed_size: 0
    .kernarg_segment_align: 8
    .kernarg_segment_size: 8
    .language:       OpenCL C
    .language_version:
      - 2
      - 0
    .max_flat_workgroup_size: 256
    .name:           _ZN7rocprim17ROCPRIM_400000_NS6detail17trampoline_kernelINS0_14default_configENS1_35radix_sort_onesweep_config_selectorI12hip_bfloat16NS0_10empty_typeEEEZNS1_34radix_sort_onesweep_global_offsetsIS3_Lb1EPKS5_PS6_mNS0_19identity_decomposerEEE10hipError_tT1_T2_PT3_SG_jT4_jjP12ihipStream_tbEUlT_E0_NS1_11comp_targetILNS1_3genE10ELNS1_11target_archE1201ELNS1_3gpuE5ELNS1_3repE0EEENS1_52radix_sort_onesweep_histogram_config_static_selectorELNS0_4arch9wavefront6targetE0EEEvSE_
    .private_segment_fixed_size: 0
    .sgpr_count:     0
    .sgpr_spill_count: 0
    .symbol:         _ZN7rocprim17ROCPRIM_400000_NS6detail17trampoline_kernelINS0_14default_configENS1_35radix_sort_onesweep_config_selectorI12hip_bfloat16NS0_10empty_typeEEEZNS1_34radix_sort_onesweep_global_offsetsIS3_Lb1EPKS5_PS6_mNS0_19identity_decomposerEEE10hipError_tT1_T2_PT3_SG_jT4_jjP12ihipStream_tbEUlT_E0_NS1_11comp_targetILNS1_3genE10ELNS1_11target_archE1201ELNS1_3gpuE5ELNS1_3repE0EEENS1_52radix_sort_onesweep_histogram_config_static_selectorELNS0_4arch9wavefront6targetE0EEEvSE_.kd
    .uniform_work_group_size: 1
    .uses_dynamic_stack: false
    .vgpr_count:     0
    .vgpr_spill_count: 0
    .wavefront_size: 32
  - .args:
      - .address_space:  global
        .offset:         0
        .size:           8
        .value_kind:     global_buffer
    .group_segment_fixed_size: 0
    .kernarg_segment_align: 8
    .kernarg_segment_size: 8
    .language:       OpenCL C
    .language_version:
      - 2
      - 0
    .max_flat_workgroup_size: 256
    .name:           _ZN7rocprim17ROCPRIM_400000_NS6detail17trampoline_kernelINS0_14default_configENS1_35radix_sort_onesweep_config_selectorI12hip_bfloat16NS0_10empty_typeEEEZNS1_34radix_sort_onesweep_global_offsetsIS3_Lb1EPKS5_PS6_mNS0_19identity_decomposerEEE10hipError_tT1_T2_PT3_SG_jT4_jjP12ihipStream_tbEUlT_E0_NS1_11comp_targetILNS1_3genE9ELNS1_11target_archE1100ELNS1_3gpuE3ELNS1_3repE0EEENS1_52radix_sort_onesweep_histogram_config_static_selectorELNS0_4arch9wavefront6targetE0EEEvSE_
    .private_segment_fixed_size: 0
    .sgpr_count:     0
    .sgpr_spill_count: 0
    .symbol:         _ZN7rocprim17ROCPRIM_400000_NS6detail17trampoline_kernelINS0_14default_configENS1_35radix_sort_onesweep_config_selectorI12hip_bfloat16NS0_10empty_typeEEEZNS1_34radix_sort_onesweep_global_offsetsIS3_Lb1EPKS5_PS6_mNS0_19identity_decomposerEEE10hipError_tT1_T2_PT3_SG_jT4_jjP12ihipStream_tbEUlT_E0_NS1_11comp_targetILNS1_3genE9ELNS1_11target_archE1100ELNS1_3gpuE3ELNS1_3repE0EEENS1_52radix_sort_onesweep_histogram_config_static_selectorELNS0_4arch9wavefront6targetE0EEEvSE_.kd
    .uniform_work_group_size: 1
    .uses_dynamic_stack: false
    .vgpr_count:     0
    .vgpr_spill_count: 0
    .wavefront_size: 32
  - .args:
      - .address_space:  global
        .offset:         0
        .size:           8
        .value_kind:     global_buffer
    .group_segment_fixed_size: 0
    .kernarg_segment_align: 8
    .kernarg_segment_size: 8
    .language:       OpenCL C
    .language_version:
      - 2
      - 0
    .max_flat_workgroup_size: 256
    .name:           _ZN7rocprim17ROCPRIM_400000_NS6detail17trampoline_kernelINS0_14default_configENS1_35radix_sort_onesweep_config_selectorI12hip_bfloat16NS0_10empty_typeEEEZNS1_34radix_sort_onesweep_global_offsetsIS3_Lb1EPKS5_PS6_mNS0_19identity_decomposerEEE10hipError_tT1_T2_PT3_SG_jT4_jjP12ihipStream_tbEUlT_E0_NS1_11comp_targetILNS1_3genE8ELNS1_11target_archE1030ELNS1_3gpuE2ELNS1_3repE0EEENS1_52radix_sort_onesweep_histogram_config_static_selectorELNS0_4arch9wavefront6targetE0EEEvSE_
    .private_segment_fixed_size: 0
    .sgpr_count:     0
    .sgpr_spill_count: 0
    .symbol:         _ZN7rocprim17ROCPRIM_400000_NS6detail17trampoline_kernelINS0_14default_configENS1_35radix_sort_onesweep_config_selectorI12hip_bfloat16NS0_10empty_typeEEEZNS1_34radix_sort_onesweep_global_offsetsIS3_Lb1EPKS5_PS6_mNS0_19identity_decomposerEEE10hipError_tT1_T2_PT3_SG_jT4_jjP12ihipStream_tbEUlT_E0_NS1_11comp_targetILNS1_3genE8ELNS1_11target_archE1030ELNS1_3gpuE2ELNS1_3repE0EEENS1_52radix_sort_onesweep_histogram_config_static_selectorELNS0_4arch9wavefront6targetE0EEEvSE_.kd
    .uniform_work_group_size: 1
    .uses_dynamic_stack: false
    .vgpr_count:     0
    .vgpr_spill_count: 0
    .wavefront_size: 32
  - .args:
      - .offset:         0
        .size:           40
        .value_kind:     by_value
      - .offset:         40
        .size:           4
        .value_kind:     hidden_block_count_x
      - .offset:         44
        .size:           4
        .value_kind:     hidden_block_count_y
      - .offset:         48
        .size:           4
        .value_kind:     hidden_block_count_z
      - .offset:         52
        .size:           2
        .value_kind:     hidden_group_size_x
      - .offset:         54
        .size:           2
        .value_kind:     hidden_group_size_y
      - .offset:         56
        .size:           2
        .value_kind:     hidden_group_size_z
      - .offset:         58
        .size:           2
        .value_kind:     hidden_remainder_x
      - .offset:         60
        .size:           2
        .value_kind:     hidden_remainder_y
      - .offset:         62
        .size:           2
        .value_kind:     hidden_remainder_z
      - .offset:         80
        .size:           8
        .value_kind:     hidden_global_offset_x
      - .offset:         88
        .size:           8
        .value_kind:     hidden_global_offset_y
      - .offset:         96
        .size:           8
        .value_kind:     hidden_global_offset_z
      - .offset:         104
        .size:           2
        .value_kind:     hidden_grid_dims
    .group_segment_fixed_size: 0
    .kernarg_segment_align: 8
    .kernarg_segment_size: 296
    .language:       OpenCL C
    .language_version:
      - 2
      - 0
    .max_flat_workgroup_size: 128
    .name:           _ZN7rocprim17ROCPRIM_400000_NS6detail17trampoline_kernelINS0_14default_configENS1_25transform_config_selectorI12hip_bfloat16Lb1EEEZNS1_14transform_implILb1ES3_S6_PKS5_PS5_NS0_8identityIS5_EEEE10hipError_tT2_T3_mT4_P12ihipStream_tbEUlT_E_NS1_11comp_targetILNS1_3genE0ELNS1_11target_archE4294967295ELNS1_3gpuE0ELNS1_3repE0EEENS1_30default_config_static_selectorELNS0_4arch9wavefront6targetE0EEEvT1_
    .private_segment_fixed_size: 0
    .sgpr_count:     17
    .sgpr_spill_count: 0
    .symbol:         _ZN7rocprim17ROCPRIM_400000_NS6detail17trampoline_kernelINS0_14default_configENS1_25transform_config_selectorI12hip_bfloat16Lb1EEEZNS1_14transform_implILb1ES3_S6_PKS5_PS5_NS0_8identityIS5_EEEE10hipError_tT2_T3_mT4_P12ihipStream_tbEUlT_E_NS1_11comp_targetILNS1_3genE0ELNS1_11target_archE4294967295ELNS1_3gpuE0ELNS1_3repE0EEENS1_30default_config_static_selectorELNS0_4arch9wavefront6targetE0EEEvT1_.kd
    .uniform_work_group_size: 1
    .uses_dynamic_stack: false
    .vgpr_count:     6
    .vgpr_spill_count: 0
    .wavefront_size: 32
  - .args:
      - .offset:         0
        .size:           40
        .value_kind:     by_value
    .group_segment_fixed_size: 0
    .kernarg_segment_align: 8
    .kernarg_segment_size: 40
    .language:       OpenCL C
    .language_version:
      - 2
      - 0
    .max_flat_workgroup_size: 1024
    .name:           _ZN7rocprim17ROCPRIM_400000_NS6detail17trampoline_kernelINS0_14default_configENS1_25transform_config_selectorI12hip_bfloat16Lb1EEEZNS1_14transform_implILb1ES3_S6_PKS5_PS5_NS0_8identityIS5_EEEE10hipError_tT2_T3_mT4_P12ihipStream_tbEUlT_E_NS1_11comp_targetILNS1_3genE10ELNS1_11target_archE1201ELNS1_3gpuE5ELNS1_3repE0EEENS1_30default_config_static_selectorELNS0_4arch9wavefront6targetE0EEEvT1_
    .private_segment_fixed_size: 0
    .sgpr_count:     0
    .sgpr_spill_count: 0
    .symbol:         _ZN7rocprim17ROCPRIM_400000_NS6detail17trampoline_kernelINS0_14default_configENS1_25transform_config_selectorI12hip_bfloat16Lb1EEEZNS1_14transform_implILb1ES3_S6_PKS5_PS5_NS0_8identityIS5_EEEE10hipError_tT2_T3_mT4_P12ihipStream_tbEUlT_E_NS1_11comp_targetILNS1_3genE10ELNS1_11target_archE1201ELNS1_3gpuE5ELNS1_3repE0EEENS1_30default_config_static_selectorELNS0_4arch9wavefront6targetE0EEEvT1_.kd
    .uniform_work_group_size: 1
    .uses_dynamic_stack: false
    .vgpr_count:     0
    .vgpr_spill_count: 0
    .wavefront_size: 32
  - .args:
      - .offset:         0
        .size:           40
        .value_kind:     by_value
    .group_segment_fixed_size: 0
    .kernarg_segment_align: 8
    .kernarg_segment_size: 40
    .language:       OpenCL C
    .language_version:
      - 2
      - 0
    .max_flat_workgroup_size: 256
    .name:           _ZN7rocprim17ROCPRIM_400000_NS6detail17trampoline_kernelINS0_14default_configENS1_25transform_config_selectorI12hip_bfloat16Lb1EEEZNS1_14transform_implILb1ES3_S6_PKS5_PS5_NS0_8identityIS5_EEEE10hipError_tT2_T3_mT4_P12ihipStream_tbEUlT_E_NS1_11comp_targetILNS1_3genE5ELNS1_11target_archE942ELNS1_3gpuE9ELNS1_3repE0EEENS1_30default_config_static_selectorELNS0_4arch9wavefront6targetE0EEEvT1_
    .private_segment_fixed_size: 0
    .sgpr_count:     0
    .sgpr_spill_count: 0
    .symbol:         _ZN7rocprim17ROCPRIM_400000_NS6detail17trampoline_kernelINS0_14default_configENS1_25transform_config_selectorI12hip_bfloat16Lb1EEEZNS1_14transform_implILb1ES3_S6_PKS5_PS5_NS0_8identityIS5_EEEE10hipError_tT2_T3_mT4_P12ihipStream_tbEUlT_E_NS1_11comp_targetILNS1_3genE5ELNS1_11target_archE942ELNS1_3gpuE9ELNS1_3repE0EEENS1_30default_config_static_selectorELNS0_4arch9wavefront6targetE0EEEvT1_.kd
    .uniform_work_group_size: 1
    .uses_dynamic_stack: false
    .vgpr_count:     0
    .vgpr_spill_count: 0
    .wavefront_size: 32
  - .args:
      - .offset:         0
        .size:           40
        .value_kind:     by_value
    .group_segment_fixed_size: 0
    .kernarg_segment_align: 8
    .kernarg_segment_size: 40
    .language:       OpenCL C
    .language_version:
      - 2
      - 0
    .max_flat_workgroup_size: 1024
    .name:           _ZN7rocprim17ROCPRIM_400000_NS6detail17trampoline_kernelINS0_14default_configENS1_25transform_config_selectorI12hip_bfloat16Lb1EEEZNS1_14transform_implILb1ES3_S6_PKS5_PS5_NS0_8identityIS5_EEEE10hipError_tT2_T3_mT4_P12ihipStream_tbEUlT_E_NS1_11comp_targetILNS1_3genE4ELNS1_11target_archE910ELNS1_3gpuE8ELNS1_3repE0EEENS1_30default_config_static_selectorELNS0_4arch9wavefront6targetE0EEEvT1_
    .private_segment_fixed_size: 0
    .sgpr_count:     0
    .sgpr_spill_count: 0
    .symbol:         _ZN7rocprim17ROCPRIM_400000_NS6detail17trampoline_kernelINS0_14default_configENS1_25transform_config_selectorI12hip_bfloat16Lb1EEEZNS1_14transform_implILb1ES3_S6_PKS5_PS5_NS0_8identityIS5_EEEE10hipError_tT2_T3_mT4_P12ihipStream_tbEUlT_E_NS1_11comp_targetILNS1_3genE4ELNS1_11target_archE910ELNS1_3gpuE8ELNS1_3repE0EEENS1_30default_config_static_selectorELNS0_4arch9wavefront6targetE0EEEvT1_.kd
    .uniform_work_group_size: 1
    .uses_dynamic_stack: false
    .vgpr_count:     0
    .vgpr_spill_count: 0
    .wavefront_size: 32
  - .args:
      - .offset:         0
        .size:           40
        .value_kind:     by_value
    .group_segment_fixed_size: 0
    .kernarg_segment_align: 8
    .kernarg_segment_size: 40
    .language:       OpenCL C
    .language_version:
      - 2
      - 0
    .max_flat_workgroup_size: 128
    .name:           _ZN7rocprim17ROCPRIM_400000_NS6detail17trampoline_kernelINS0_14default_configENS1_25transform_config_selectorI12hip_bfloat16Lb1EEEZNS1_14transform_implILb1ES3_S6_PKS5_PS5_NS0_8identityIS5_EEEE10hipError_tT2_T3_mT4_P12ihipStream_tbEUlT_E_NS1_11comp_targetILNS1_3genE3ELNS1_11target_archE908ELNS1_3gpuE7ELNS1_3repE0EEENS1_30default_config_static_selectorELNS0_4arch9wavefront6targetE0EEEvT1_
    .private_segment_fixed_size: 0
    .sgpr_count:     0
    .sgpr_spill_count: 0
    .symbol:         _ZN7rocprim17ROCPRIM_400000_NS6detail17trampoline_kernelINS0_14default_configENS1_25transform_config_selectorI12hip_bfloat16Lb1EEEZNS1_14transform_implILb1ES3_S6_PKS5_PS5_NS0_8identityIS5_EEEE10hipError_tT2_T3_mT4_P12ihipStream_tbEUlT_E_NS1_11comp_targetILNS1_3genE3ELNS1_11target_archE908ELNS1_3gpuE7ELNS1_3repE0EEENS1_30default_config_static_selectorELNS0_4arch9wavefront6targetE0EEEvT1_.kd
    .uniform_work_group_size: 1
    .uses_dynamic_stack: false
    .vgpr_count:     0
    .vgpr_spill_count: 0
    .wavefront_size: 32
  - .args:
      - .offset:         0
        .size:           40
        .value_kind:     by_value
    .group_segment_fixed_size: 0
    .kernarg_segment_align: 8
    .kernarg_segment_size: 40
    .language:       OpenCL C
    .language_version:
      - 2
      - 0
    .max_flat_workgroup_size: 512
    .name:           _ZN7rocprim17ROCPRIM_400000_NS6detail17trampoline_kernelINS0_14default_configENS1_25transform_config_selectorI12hip_bfloat16Lb1EEEZNS1_14transform_implILb1ES3_S6_PKS5_PS5_NS0_8identityIS5_EEEE10hipError_tT2_T3_mT4_P12ihipStream_tbEUlT_E_NS1_11comp_targetILNS1_3genE2ELNS1_11target_archE906ELNS1_3gpuE6ELNS1_3repE0EEENS1_30default_config_static_selectorELNS0_4arch9wavefront6targetE0EEEvT1_
    .private_segment_fixed_size: 0
    .sgpr_count:     0
    .sgpr_spill_count: 0
    .symbol:         _ZN7rocprim17ROCPRIM_400000_NS6detail17trampoline_kernelINS0_14default_configENS1_25transform_config_selectorI12hip_bfloat16Lb1EEEZNS1_14transform_implILb1ES3_S6_PKS5_PS5_NS0_8identityIS5_EEEE10hipError_tT2_T3_mT4_P12ihipStream_tbEUlT_E_NS1_11comp_targetILNS1_3genE2ELNS1_11target_archE906ELNS1_3gpuE6ELNS1_3repE0EEENS1_30default_config_static_selectorELNS0_4arch9wavefront6targetE0EEEvT1_.kd
    .uniform_work_group_size: 1
    .uses_dynamic_stack: false
    .vgpr_count:     0
    .vgpr_spill_count: 0
    .wavefront_size: 32
  - .args:
      - .offset:         0
        .size:           40
        .value_kind:     by_value
    .group_segment_fixed_size: 0
    .kernarg_segment_align: 8
    .kernarg_segment_size: 40
    .language:       OpenCL C
    .language_version:
      - 2
      - 0
    .max_flat_workgroup_size: 1024
    .name:           _ZN7rocprim17ROCPRIM_400000_NS6detail17trampoline_kernelINS0_14default_configENS1_25transform_config_selectorI12hip_bfloat16Lb1EEEZNS1_14transform_implILb1ES3_S6_PKS5_PS5_NS0_8identityIS5_EEEE10hipError_tT2_T3_mT4_P12ihipStream_tbEUlT_E_NS1_11comp_targetILNS1_3genE9ELNS1_11target_archE1100ELNS1_3gpuE3ELNS1_3repE0EEENS1_30default_config_static_selectorELNS0_4arch9wavefront6targetE0EEEvT1_
    .private_segment_fixed_size: 0
    .sgpr_count:     0
    .sgpr_spill_count: 0
    .symbol:         _ZN7rocprim17ROCPRIM_400000_NS6detail17trampoline_kernelINS0_14default_configENS1_25transform_config_selectorI12hip_bfloat16Lb1EEEZNS1_14transform_implILb1ES3_S6_PKS5_PS5_NS0_8identityIS5_EEEE10hipError_tT2_T3_mT4_P12ihipStream_tbEUlT_E_NS1_11comp_targetILNS1_3genE9ELNS1_11target_archE1100ELNS1_3gpuE3ELNS1_3repE0EEENS1_30default_config_static_selectorELNS0_4arch9wavefront6targetE0EEEvT1_.kd
    .uniform_work_group_size: 1
    .uses_dynamic_stack: false
    .vgpr_count:     0
    .vgpr_spill_count: 0
    .wavefront_size: 32
  - .args:
      - .offset:         0
        .size:           40
        .value_kind:     by_value
    .group_segment_fixed_size: 0
    .kernarg_segment_align: 8
    .kernarg_segment_size: 40
    .language:       OpenCL C
    .language_version:
      - 2
      - 0
    .max_flat_workgroup_size: 1024
    .name:           _ZN7rocprim17ROCPRIM_400000_NS6detail17trampoline_kernelINS0_14default_configENS1_25transform_config_selectorI12hip_bfloat16Lb1EEEZNS1_14transform_implILb1ES3_S6_PKS5_PS5_NS0_8identityIS5_EEEE10hipError_tT2_T3_mT4_P12ihipStream_tbEUlT_E_NS1_11comp_targetILNS1_3genE8ELNS1_11target_archE1030ELNS1_3gpuE2ELNS1_3repE0EEENS1_30default_config_static_selectorELNS0_4arch9wavefront6targetE0EEEvT1_
    .private_segment_fixed_size: 0
    .sgpr_count:     0
    .sgpr_spill_count: 0
    .symbol:         _ZN7rocprim17ROCPRIM_400000_NS6detail17trampoline_kernelINS0_14default_configENS1_25transform_config_selectorI12hip_bfloat16Lb1EEEZNS1_14transform_implILb1ES3_S6_PKS5_PS5_NS0_8identityIS5_EEEE10hipError_tT2_T3_mT4_P12ihipStream_tbEUlT_E_NS1_11comp_targetILNS1_3genE8ELNS1_11target_archE1030ELNS1_3gpuE2ELNS1_3repE0EEENS1_30default_config_static_selectorELNS0_4arch9wavefront6targetE0EEEvT1_.kd
    .uniform_work_group_size: 1
    .uses_dynamic_stack: false
    .vgpr_count:     0
    .vgpr_spill_count: 0
    .wavefront_size: 32
  - .args:
      - .offset:         0
        .size:           88
        .value_kind:     by_value
      - .offset:         88
        .size:           4
        .value_kind:     hidden_block_count_x
      - .offset:         92
        .size:           4
        .value_kind:     hidden_block_count_y
      - .offset:         96
        .size:           4
        .value_kind:     hidden_block_count_z
      - .offset:         100
        .size:           2
        .value_kind:     hidden_group_size_x
      - .offset:         102
        .size:           2
        .value_kind:     hidden_group_size_y
      - .offset:         104
        .size:           2
        .value_kind:     hidden_group_size_z
      - .offset:         106
        .size:           2
        .value_kind:     hidden_remainder_x
      - .offset:         108
        .size:           2
        .value_kind:     hidden_remainder_y
      - .offset:         110
        .size:           2
        .value_kind:     hidden_remainder_z
      - .offset:         128
        .size:           8
        .value_kind:     hidden_global_offset_x
      - .offset:         136
        .size:           8
        .value_kind:     hidden_global_offset_y
      - .offset:         144
        .size:           8
        .value_kind:     hidden_global_offset_z
      - .offset:         152
        .size:           2
        .value_kind:     hidden_grid_dims
    .group_segment_fixed_size: 18504
    .kernarg_segment_align: 8
    .kernarg_segment_size: 344
    .language:       OpenCL C
    .language_version:
      - 2
      - 0
    .max_flat_workgroup_size: 512
    .name:           _ZN7rocprim17ROCPRIM_400000_NS6detail17trampoline_kernelINS0_14default_configENS1_35radix_sort_onesweep_config_selectorI12hip_bfloat16NS0_10empty_typeEEEZZNS1_29radix_sort_onesweep_iterationIS3_Lb1EPKS5_PS5_PS6_SC_mNS0_19identity_decomposerENS1_16block_id_wrapperIjLb1EEEEE10hipError_tT1_PNSt15iterator_traitsISH_E10value_typeET2_T3_PNSI_ISN_E10value_typeET4_T5_PSS_ST_PNS1_23onesweep_lookback_stateEbbT6_jjT7_P12ihipStream_tbENKUlT_T0_SH_SM_E_clISA_SB_SC_SC_EEDaS10_S11_SH_SM_EUlS10_E_NS1_11comp_targetILNS1_3genE0ELNS1_11target_archE4294967295ELNS1_3gpuE0ELNS1_3repE0EEENS1_47radix_sort_onesweep_sort_config_static_selectorELNS0_4arch9wavefront6targetE0EEEvSH_
    .private_segment_fixed_size: 0
    .sgpr_count:     32
    .sgpr_spill_count: 0
    .symbol:         _ZN7rocprim17ROCPRIM_400000_NS6detail17trampoline_kernelINS0_14default_configENS1_35radix_sort_onesweep_config_selectorI12hip_bfloat16NS0_10empty_typeEEEZZNS1_29radix_sort_onesweep_iterationIS3_Lb1EPKS5_PS5_PS6_SC_mNS0_19identity_decomposerENS1_16block_id_wrapperIjLb1EEEEE10hipError_tT1_PNSt15iterator_traitsISH_E10value_typeET2_T3_PNSI_ISN_E10value_typeET4_T5_PSS_ST_PNS1_23onesweep_lookback_stateEbbT6_jjT7_P12ihipStream_tbENKUlT_T0_SH_SM_E_clISA_SB_SC_SC_EEDaS10_S11_SH_SM_EUlS10_E_NS1_11comp_targetILNS1_3genE0ELNS1_11target_archE4294967295ELNS1_3gpuE0ELNS1_3repE0EEENS1_47radix_sort_onesweep_sort_config_static_selectorELNS0_4arch9wavefront6targetE0EEEvSH_.kd
    .uniform_work_group_size: 1
    .uses_dynamic_stack: false
    .vgpr_count:     65
    .vgpr_spill_count: 0
    .wavefront_size: 32
  - .args:
      - .offset:         0
        .size:           88
        .value_kind:     by_value
    .group_segment_fixed_size: 0
    .kernarg_segment_align: 8
    .kernarg_segment_size: 88
    .language:       OpenCL C
    .language_version:
      - 2
      - 0
    .max_flat_workgroup_size: 1024
    .name:           _ZN7rocprim17ROCPRIM_400000_NS6detail17trampoline_kernelINS0_14default_configENS1_35radix_sort_onesweep_config_selectorI12hip_bfloat16NS0_10empty_typeEEEZZNS1_29radix_sort_onesweep_iterationIS3_Lb1EPKS5_PS5_PS6_SC_mNS0_19identity_decomposerENS1_16block_id_wrapperIjLb1EEEEE10hipError_tT1_PNSt15iterator_traitsISH_E10value_typeET2_T3_PNSI_ISN_E10value_typeET4_T5_PSS_ST_PNS1_23onesweep_lookback_stateEbbT6_jjT7_P12ihipStream_tbENKUlT_T0_SH_SM_E_clISA_SB_SC_SC_EEDaS10_S11_SH_SM_EUlS10_E_NS1_11comp_targetILNS1_3genE6ELNS1_11target_archE950ELNS1_3gpuE13ELNS1_3repE0EEENS1_47radix_sort_onesweep_sort_config_static_selectorELNS0_4arch9wavefront6targetE0EEEvSH_
    .private_segment_fixed_size: 0
    .sgpr_count:     0
    .sgpr_spill_count: 0
    .symbol:         _ZN7rocprim17ROCPRIM_400000_NS6detail17trampoline_kernelINS0_14default_configENS1_35radix_sort_onesweep_config_selectorI12hip_bfloat16NS0_10empty_typeEEEZZNS1_29radix_sort_onesweep_iterationIS3_Lb1EPKS5_PS5_PS6_SC_mNS0_19identity_decomposerENS1_16block_id_wrapperIjLb1EEEEE10hipError_tT1_PNSt15iterator_traitsISH_E10value_typeET2_T3_PNSI_ISN_E10value_typeET4_T5_PSS_ST_PNS1_23onesweep_lookback_stateEbbT6_jjT7_P12ihipStream_tbENKUlT_T0_SH_SM_E_clISA_SB_SC_SC_EEDaS10_S11_SH_SM_EUlS10_E_NS1_11comp_targetILNS1_3genE6ELNS1_11target_archE950ELNS1_3gpuE13ELNS1_3repE0EEENS1_47radix_sort_onesweep_sort_config_static_selectorELNS0_4arch9wavefront6targetE0EEEvSH_.kd
    .uniform_work_group_size: 1
    .uses_dynamic_stack: false
    .vgpr_count:     0
    .vgpr_spill_count: 0
    .wavefront_size: 32
  - .args:
      - .offset:         0
        .size:           88
        .value_kind:     by_value
    .group_segment_fixed_size: 0
    .kernarg_segment_align: 8
    .kernarg_segment_size: 88
    .language:       OpenCL C
    .language_version:
      - 2
      - 0
    .max_flat_workgroup_size: 1024
    .name:           _ZN7rocprim17ROCPRIM_400000_NS6detail17trampoline_kernelINS0_14default_configENS1_35radix_sort_onesweep_config_selectorI12hip_bfloat16NS0_10empty_typeEEEZZNS1_29radix_sort_onesweep_iterationIS3_Lb1EPKS5_PS5_PS6_SC_mNS0_19identity_decomposerENS1_16block_id_wrapperIjLb1EEEEE10hipError_tT1_PNSt15iterator_traitsISH_E10value_typeET2_T3_PNSI_ISN_E10value_typeET4_T5_PSS_ST_PNS1_23onesweep_lookback_stateEbbT6_jjT7_P12ihipStream_tbENKUlT_T0_SH_SM_E_clISA_SB_SC_SC_EEDaS10_S11_SH_SM_EUlS10_E_NS1_11comp_targetILNS1_3genE5ELNS1_11target_archE942ELNS1_3gpuE9ELNS1_3repE0EEENS1_47radix_sort_onesweep_sort_config_static_selectorELNS0_4arch9wavefront6targetE0EEEvSH_
    .private_segment_fixed_size: 0
    .sgpr_count:     0
    .sgpr_spill_count: 0
    .symbol:         _ZN7rocprim17ROCPRIM_400000_NS6detail17trampoline_kernelINS0_14default_configENS1_35radix_sort_onesweep_config_selectorI12hip_bfloat16NS0_10empty_typeEEEZZNS1_29radix_sort_onesweep_iterationIS3_Lb1EPKS5_PS5_PS6_SC_mNS0_19identity_decomposerENS1_16block_id_wrapperIjLb1EEEEE10hipError_tT1_PNSt15iterator_traitsISH_E10value_typeET2_T3_PNSI_ISN_E10value_typeET4_T5_PSS_ST_PNS1_23onesweep_lookback_stateEbbT6_jjT7_P12ihipStream_tbENKUlT_T0_SH_SM_E_clISA_SB_SC_SC_EEDaS10_S11_SH_SM_EUlS10_E_NS1_11comp_targetILNS1_3genE5ELNS1_11target_archE942ELNS1_3gpuE9ELNS1_3repE0EEENS1_47radix_sort_onesweep_sort_config_static_selectorELNS0_4arch9wavefront6targetE0EEEvSH_.kd
    .uniform_work_group_size: 1
    .uses_dynamic_stack: false
    .vgpr_count:     0
    .vgpr_spill_count: 0
    .wavefront_size: 32
  - .args:
      - .offset:         0
        .size:           88
        .value_kind:     by_value
    .group_segment_fixed_size: 0
    .kernarg_segment_align: 8
    .kernarg_segment_size: 88
    .language:       OpenCL C
    .language_version:
      - 2
      - 0
    .max_flat_workgroup_size: 512
    .name:           _ZN7rocprim17ROCPRIM_400000_NS6detail17trampoline_kernelINS0_14default_configENS1_35radix_sort_onesweep_config_selectorI12hip_bfloat16NS0_10empty_typeEEEZZNS1_29radix_sort_onesweep_iterationIS3_Lb1EPKS5_PS5_PS6_SC_mNS0_19identity_decomposerENS1_16block_id_wrapperIjLb1EEEEE10hipError_tT1_PNSt15iterator_traitsISH_E10value_typeET2_T3_PNSI_ISN_E10value_typeET4_T5_PSS_ST_PNS1_23onesweep_lookback_stateEbbT6_jjT7_P12ihipStream_tbENKUlT_T0_SH_SM_E_clISA_SB_SC_SC_EEDaS10_S11_SH_SM_EUlS10_E_NS1_11comp_targetILNS1_3genE2ELNS1_11target_archE906ELNS1_3gpuE6ELNS1_3repE0EEENS1_47radix_sort_onesweep_sort_config_static_selectorELNS0_4arch9wavefront6targetE0EEEvSH_
    .private_segment_fixed_size: 0
    .sgpr_count:     0
    .sgpr_spill_count: 0
    .symbol:         _ZN7rocprim17ROCPRIM_400000_NS6detail17trampoline_kernelINS0_14default_configENS1_35radix_sort_onesweep_config_selectorI12hip_bfloat16NS0_10empty_typeEEEZZNS1_29radix_sort_onesweep_iterationIS3_Lb1EPKS5_PS5_PS6_SC_mNS0_19identity_decomposerENS1_16block_id_wrapperIjLb1EEEEE10hipError_tT1_PNSt15iterator_traitsISH_E10value_typeET2_T3_PNSI_ISN_E10value_typeET4_T5_PSS_ST_PNS1_23onesweep_lookback_stateEbbT6_jjT7_P12ihipStream_tbENKUlT_T0_SH_SM_E_clISA_SB_SC_SC_EEDaS10_S11_SH_SM_EUlS10_E_NS1_11comp_targetILNS1_3genE2ELNS1_11target_archE906ELNS1_3gpuE6ELNS1_3repE0EEENS1_47radix_sort_onesweep_sort_config_static_selectorELNS0_4arch9wavefront6targetE0EEEvSH_.kd
    .uniform_work_group_size: 1
    .uses_dynamic_stack: false
    .vgpr_count:     0
    .vgpr_spill_count: 0
    .wavefront_size: 32
  - .args:
      - .offset:         0
        .size:           88
        .value_kind:     by_value
    .group_segment_fixed_size: 0
    .kernarg_segment_align: 8
    .kernarg_segment_size: 88
    .language:       OpenCL C
    .language_version:
      - 2
      - 0
    .max_flat_workgroup_size: 1024
    .name:           _ZN7rocprim17ROCPRIM_400000_NS6detail17trampoline_kernelINS0_14default_configENS1_35radix_sort_onesweep_config_selectorI12hip_bfloat16NS0_10empty_typeEEEZZNS1_29radix_sort_onesweep_iterationIS3_Lb1EPKS5_PS5_PS6_SC_mNS0_19identity_decomposerENS1_16block_id_wrapperIjLb1EEEEE10hipError_tT1_PNSt15iterator_traitsISH_E10value_typeET2_T3_PNSI_ISN_E10value_typeET4_T5_PSS_ST_PNS1_23onesweep_lookback_stateEbbT6_jjT7_P12ihipStream_tbENKUlT_T0_SH_SM_E_clISA_SB_SC_SC_EEDaS10_S11_SH_SM_EUlS10_E_NS1_11comp_targetILNS1_3genE4ELNS1_11target_archE910ELNS1_3gpuE8ELNS1_3repE0EEENS1_47radix_sort_onesweep_sort_config_static_selectorELNS0_4arch9wavefront6targetE0EEEvSH_
    .private_segment_fixed_size: 0
    .sgpr_count:     0
    .sgpr_spill_count: 0
    .symbol:         _ZN7rocprim17ROCPRIM_400000_NS6detail17trampoline_kernelINS0_14default_configENS1_35radix_sort_onesweep_config_selectorI12hip_bfloat16NS0_10empty_typeEEEZZNS1_29radix_sort_onesweep_iterationIS3_Lb1EPKS5_PS5_PS6_SC_mNS0_19identity_decomposerENS1_16block_id_wrapperIjLb1EEEEE10hipError_tT1_PNSt15iterator_traitsISH_E10value_typeET2_T3_PNSI_ISN_E10value_typeET4_T5_PSS_ST_PNS1_23onesweep_lookback_stateEbbT6_jjT7_P12ihipStream_tbENKUlT_T0_SH_SM_E_clISA_SB_SC_SC_EEDaS10_S11_SH_SM_EUlS10_E_NS1_11comp_targetILNS1_3genE4ELNS1_11target_archE910ELNS1_3gpuE8ELNS1_3repE0EEENS1_47radix_sort_onesweep_sort_config_static_selectorELNS0_4arch9wavefront6targetE0EEEvSH_.kd
    .uniform_work_group_size: 1
    .uses_dynamic_stack: false
    .vgpr_count:     0
    .vgpr_spill_count: 0
    .wavefront_size: 32
  - .args:
      - .offset:         0
        .size:           88
        .value_kind:     by_value
    .group_segment_fixed_size: 0
    .kernarg_segment_align: 8
    .kernarg_segment_size: 88
    .language:       OpenCL C
    .language_version:
      - 2
      - 0
    .max_flat_workgroup_size: 512
    .name:           _ZN7rocprim17ROCPRIM_400000_NS6detail17trampoline_kernelINS0_14default_configENS1_35radix_sort_onesweep_config_selectorI12hip_bfloat16NS0_10empty_typeEEEZZNS1_29radix_sort_onesweep_iterationIS3_Lb1EPKS5_PS5_PS6_SC_mNS0_19identity_decomposerENS1_16block_id_wrapperIjLb1EEEEE10hipError_tT1_PNSt15iterator_traitsISH_E10value_typeET2_T3_PNSI_ISN_E10value_typeET4_T5_PSS_ST_PNS1_23onesweep_lookback_stateEbbT6_jjT7_P12ihipStream_tbENKUlT_T0_SH_SM_E_clISA_SB_SC_SC_EEDaS10_S11_SH_SM_EUlS10_E_NS1_11comp_targetILNS1_3genE3ELNS1_11target_archE908ELNS1_3gpuE7ELNS1_3repE0EEENS1_47radix_sort_onesweep_sort_config_static_selectorELNS0_4arch9wavefront6targetE0EEEvSH_
    .private_segment_fixed_size: 0
    .sgpr_count:     0
    .sgpr_spill_count: 0
    .symbol:         _ZN7rocprim17ROCPRIM_400000_NS6detail17trampoline_kernelINS0_14default_configENS1_35radix_sort_onesweep_config_selectorI12hip_bfloat16NS0_10empty_typeEEEZZNS1_29radix_sort_onesweep_iterationIS3_Lb1EPKS5_PS5_PS6_SC_mNS0_19identity_decomposerENS1_16block_id_wrapperIjLb1EEEEE10hipError_tT1_PNSt15iterator_traitsISH_E10value_typeET2_T3_PNSI_ISN_E10value_typeET4_T5_PSS_ST_PNS1_23onesweep_lookback_stateEbbT6_jjT7_P12ihipStream_tbENKUlT_T0_SH_SM_E_clISA_SB_SC_SC_EEDaS10_S11_SH_SM_EUlS10_E_NS1_11comp_targetILNS1_3genE3ELNS1_11target_archE908ELNS1_3gpuE7ELNS1_3repE0EEENS1_47radix_sort_onesweep_sort_config_static_selectorELNS0_4arch9wavefront6targetE0EEEvSH_.kd
    .uniform_work_group_size: 1
    .uses_dynamic_stack: false
    .vgpr_count:     0
    .vgpr_spill_count: 0
    .wavefront_size: 32
  - .args:
      - .offset:         0
        .size:           88
        .value_kind:     by_value
    .group_segment_fixed_size: 0
    .kernarg_segment_align: 8
    .kernarg_segment_size: 88
    .language:       OpenCL C
    .language_version:
      - 2
      - 0
    .max_flat_workgroup_size: 256
    .name:           _ZN7rocprim17ROCPRIM_400000_NS6detail17trampoline_kernelINS0_14default_configENS1_35radix_sort_onesweep_config_selectorI12hip_bfloat16NS0_10empty_typeEEEZZNS1_29radix_sort_onesweep_iterationIS3_Lb1EPKS5_PS5_PS6_SC_mNS0_19identity_decomposerENS1_16block_id_wrapperIjLb1EEEEE10hipError_tT1_PNSt15iterator_traitsISH_E10value_typeET2_T3_PNSI_ISN_E10value_typeET4_T5_PSS_ST_PNS1_23onesweep_lookback_stateEbbT6_jjT7_P12ihipStream_tbENKUlT_T0_SH_SM_E_clISA_SB_SC_SC_EEDaS10_S11_SH_SM_EUlS10_E_NS1_11comp_targetILNS1_3genE10ELNS1_11target_archE1201ELNS1_3gpuE5ELNS1_3repE0EEENS1_47radix_sort_onesweep_sort_config_static_selectorELNS0_4arch9wavefront6targetE0EEEvSH_
    .private_segment_fixed_size: 0
    .sgpr_count:     0
    .sgpr_spill_count: 0
    .symbol:         _ZN7rocprim17ROCPRIM_400000_NS6detail17trampoline_kernelINS0_14default_configENS1_35radix_sort_onesweep_config_selectorI12hip_bfloat16NS0_10empty_typeEEEZZNS1_29radix_sort_onesweep_iterationIS3_Lb1EPKS5_PS5_PS6_SC_mNS0_19identity_decomposerENS1_16block_id_wrapperIjLb1EEEEE10hipError_tT1_PNSt15iterator_traitsISH_E10value_typeET2_T3_PNSI_ISN_E10value_typeET4_T5_PSS_ST_PNS1_23onesweep_lookback_stateEbbT6_jjT7_P12ihipStream_tbENKUlT_T0_SH_SM_E_clISA_SB_SC_SC_EEDaS10_S11_SH_SM_EUlS10_E_NS1_11comp_targetILNS1_3genE10ELNS1_11target_archE1201ELNS1_3gpuE5ELNS1_3repE0EEENS1_47radix_sort_onesweep_sort_config_static_selectorELNS0_4arch9wavefront6targetE0EEEvSH_.kd
    .uniform_work_group_size: 1
    .uses_dynamic_stack: false
    .vgpr_count:     0
    .vgpr_spill_count: 0
    .wavefront_size: 32
  - .args:
      - .offset:         0
        .size:           88
        .value_kind:     by_value
    .group_segment_fixed_size: 0
    .kernarg_segment_align: 8
    .kernarg_segment_size: 88
    .language:       OpenCL C
    .language_version:
      - 2
      - 0
    .max_flat_workgroup_size: 256
    .name:           _ZN7rocprim17ROCPRIM_400000_NS6detail17trampoline_kernelINS0_14default_configENS1_35radix_sort_onesweep_config_selectorI12hip_bfloat16NS0_10empty_typeEEEZZNS1_29radix_sort_onesweep_iterationIS3_Lb1EPKS5_PS5_PS6_SC_mNS0_19identity_decomposerENS1_16block_id_wrapperIjLb1EEEEE10hipError_tT1_PNSt15iterator_traitsISH_E10value_typeET2_T3_PNSI_ISN_E10value_typeET4_T5_PSS_ST_PNS1_23onesweep_lookback_stateEbbT6_jjT7_P12ihipStream_tbENKUlT_T0_SH_SM_E_clISA_SB_SC_SC_EEDaS10_S11_SH_SM_EUlS10_E_NS1_11comp_targetILNS1_3genE9ELNS1_11target_archE1100ELNS1_3gpuE3ELNS1_3repE0EEENS1_47radix_sort_onesweep_sort_config_static_selectorELNS0_4arch9wavefront6targetE0EEEvSH_
    .private_segment_fixed_size: 0
    .sgpr_count:     0
    .sgpr_spill_count: 0
    .symbol:         _ZN7rocprim17ROCPRIM_400000_NS6detail17trampoline_kernelINS0_14default_configENS1_35radix_sort_onesweep_config_selectorI12hip_bfloat16NS0_10empty_typeEEEZZNS1_29radix_sort_onesweep_iterationIS3_Lb1EPKS5_PS5_PS6_SC_mNS0_19identity_decomposerENS1_16block_id_wrapperIjLb1EEEEE10hipError_tT1_PNSt15iterator_traitsISH_E10value_typeET2_T3_PNSI_ISN_E10value_typeET4_T5_PSS_ST_PNS1_23onesweep_lookback_stateEbbT6_jjT7_P12ihipStream_tbENKUlT_T0_SH_SM_E_clISA_SB_SC_SC_EEDaS10_S11_SH_SM_EUlS10_E_NS1_11comp_targetILNS1_3genE9ELNS1_11target_archE1100ELNS1_3gpuE3ELNS1_3repE0EEENS1_47radix_sort_onesweep_sort_config_static_selectorELNS0_4arch9wavefront6targetE0EEEvSH_.kd
    .uniform_work_group_size: 1
    .uses_dynamic_stack: false
    .vgpr_count:     0
    .vgpr_spill_count: 0
    .wavefront_size: 32
  - .args:
      - .offset:         0
        .size:           88
        .value_kind:     by_value
    .group_segment_fixed_size: 0
    .kernarg_segment_align: 8
    .kernarg_segment_size: 88
    .language:       OpenCL C
    .language_version:
      - 2
      - 0
    .max_flat_workgroup_size: 256
    .name:           _ZN7rocprim17ROCPRIM_400000_NS6detail17trampoline_kernelINS0_14default_configENS1_35radix_sort_onesweep_config_selectorI12hip_bfloat16NS0_10empty_typeEEEZZNS1_29radix_sort_onesweep_iterationIS3_Lb1EPKS5_PS5_PS6_SC_mNS0_19identity_decomposerENS1_16block_id_wrapperIjLb1EEEEE10hipError_tT1_PNSt15iterator_traitsISH_E10value_typeET2_T3_PNSI_ISN_E10value_typeET4_T5_PSS_ST_PNS1_23onesweep_lookback_stateEbbT6_jjT7_P12ihipStream_tbENKUlT_T0_SH_SM_E_clISA_SB_SC_SC_EEDaS10_S11_SH_SM_EUlS10_E_NS1_11comp_targetILNS1_3genE8ELNS1_11target_archE1030ELNS1_3gpuE2ELNS1_3repE0EEENS1_47radix_sort_onesweep_sort_config_static_selectorELNS0_4arch9wavefront6targetE0EEEvSH_
    .private_segment_fixed_size: 0
    .sgpr_count:     0
    .sgpr_spill_count: 0
    .symbol:         _ZN7rocprim17ROCPRIM_400000_NS6detail17trampoline_kernelINS0_14default_configENS1_35radix_sort_onesweep_config_selectorI12hip_bfloat16NS0_10empty_typeEEEZZNS1_29radix_sort_onesweep_iterationIS3_Lb1EPKS5_PS5_PS6_SC_mNS0_19identity_decomposerENS1_16block_id_wrapperIjLb1EEEEE10hipError_tT1_PNSt15iterator_traitsISH_E10value_typeET2_T3_PNSI_ISN_E10value_typeET4_T5_PSS_ST_PNS1_23onesweep_lookback_stateEbbT6_jjT7_P12ihipStream_tbENKUlT_T0_SH_SM_E_clISA_SB_SC_SC_EEDaS10_S11_SH_SM_EUlS10_E_NS1_11comp_targetILNS1_3genE8ELNS1_11target_archE1030ELNS1_3gpuE2ELNS1_3repE0EEENS1_47radix_sort_onesweep_sort_config_static_selectorELNS0_4arch9wavefront6targetE0EEEvSH_.kd
    .uniform_work_group_size: 1
    .uses_dynamic_stack: false
    .vgpr_count:     0
    .vgpr_spill_count: 0
    .wavefront_size: 32
  - .args:
      - .offset:         0
        .size:           88
        .value_kind:     by_value
      - .offset:         88
        .size:           4
        .value_kind:     hidden_block_count_x
      - .offset:         92
        .size:           4
        .value_kind:     hidden_block_count_y
      - .offset:         96
        .size:           4
        .value_kind:     hidden_block_count_z
      - .offset:         100
        .size:           2
        .value_kind:     hidden_group_size_x
      - .offset:         102
        .size:           2
        .value_kind:     hidden_group_size_y
      - .offset:         104
        .size:           2
        .value_kind:     hidden_group_size_z
      - .offset:         106
        .size:           2
        .value_kind:     hidden_remainder_x
      - .offset:         108
        .size:           2
        .value_kind:     hidden_remainder_y
      - .offset:         110
        .size:           2
        .value_kind:     hidden_remainder_z
      - .offset:         128
        .size:           8
        .value_kind:     hidden_global_offset_x
      - .offset:         136
        .size:           8
        .value_kind:     hidden_global_offset_y
      - .offset:         144
        .size:           8
        .value_kind:     hidden_global_offset_z
      - .offset:         152
        .size:           2
        .value_kind:     hidden_grid_dims
    .group_segment_fixed_size: 18504
    .kernarg_segment_align: 8
    .kernarg_segment_size: 344
    .language:       OpenCL C
    .language_version:
      - 2
      - 0
    .max_flat_workgroup_size: 512
    .name:           _ZN7rocprim17ROCPRIM_400000_NS6detail17trampoline_kernelINS0_14default_configENS1_35radix_sort_onesweep_config_selectorI12hip_bfloat16NS0_10empty_typeEEEZZNS1_29radix_sort_onesweep_iterationIS3_Lb1EPKS5_PS5_PS6_SC_mNS0_19identity_decomposerENS1_16block_id_wrapperIjLb1EEEEE10hipError_tT1_PNSt15iterator_traitsISH_E10value_typeET2_T3_PNSI_ISN_E10value_typeET4_T5_PSS_ST_PNS1_23onesweep_lookback_stateEbbT6_jjT7_P12ihipStream_tbENKUlT_T0_SH_SM_E_clISB_SB_SC_SC_EEDaS10_S11_SH_SM_EUlS10_E_NS1_11comp_targetILNS1_3genE0ELNS1_11target_archE4294967295ELNS1_3gpuE0ELNS1_3repE0EEENS1_47radix_sort_onesweep_sort_config_static_selectorELNS0_4arch9wavefront6targetE0EEEvSH_
    .private_segment_fixed_size: 0
    .sgpr_count:     32
    .sgpr_spill_count: 0
    .symbol:         _ZN7rocprim17ROCPRIM_400000_NS6detail17trampoline_kernelINS0_14default_configENS1_35radix_sort_onesweep_config_selectorI12hip_bfloat16NS0_10empty_typeEEEZZNS1_29radix_sort_onesweep_iterationIS3_Lb1EPKS5_PS5_PS6_SC_mNS0_19identity_decomposerENS1_16block_id_wrapperIjLb1EEEEE10hipError_tT1_PNSt15iterator_traitsISH_E10value_typeET2_T3_PNSI_ISN_E10value_typeET4_T5_PSS_ST_PNS1_23onesweep_lookback_stateEbbT6_jjT7_P12ihipStream_tbENKUlT_T0_SH_SM_E_clISB_SB_SC_SC_EEDaS10_S11_SH_SM_EUlS10_E_NS1_11comp_targetILNS1_3genE0ELNS1_11target_archE4294967295ELNS1_3gpuE0ELNS1_3repE0EEENS1_47radix_sort_onesweep_sort_config_static_selectorELNS0_4arch9wavefront6targetE0EEEvSH_.kd
    .uniform_work_group_size: 1
    .uses_dynamic_stack: false
    .vgpr_count:     65
    .vgpr_spill_count: 0
    .wavefront_size: 32
  - .args:
      - .offset:         0
        .size:           88
        .value_kind:     by_value
    .group_segment_fixed_size: 0
    .kernarg_segment_align: 8
    .kernarg_segment_size: 88
    .language:       OpenCL C
    .language_version:
      - 2
      - 0
    .max_flat_workgroup_size: 1024
    .name:           _ZN7rocprim17ROCPRIM_400000_NS6detail17trampoline_kernelINS0_14default_configENS1_35radix_sort_onesweep_config_selectorI12hip_bfloat16NS0_10empty_typeEEEZZNS1_29radix_sort_onesweep_iterationIS3_Lb1EPKS5_PS5_PS6_SC_mNS0_19identity_decomposerENS1_16block_id_wrapperIjLb1EEEEE10hipError_tT1_PNSt15iterator_traitsISH_E10value_typeET2_T3_PNSI_ISN_E10value_typeET4_T5_PSS_ST_PNS1_23onesweep_lookback_stateEbbT6_jjT7_P12ihipStream_tbENKUlT_T0_SH_SM_E_clISB_SB_SC_SC_EEDaS10_S11_SH_SM_EUlS10_E_NS1_11comp_targetILNS1_3genE6ELNS1_11target_archE950ELNS1_3gpuE13ELNS1_3repE0EEENS1_47radix_sort_onesweep_sort_config_static_selectorELNS0_4arch9wavefront6targetE0EEEvSH_
    .private_segment_fixed_size: 0
    .sgpr_count:     0
    .sgpr_spill_count: 0
    .symbol:         _ZN7rocprim17ROCPRIM_400000_NS6detail17trampoline_kernelINS0_14default_configENS1_35radix_sort_onesweep_config_selectorI12hip_bfloat16NS0_10empty_typeEEEZZNS1_29radix_sort_onesweep_iterationIS3_Lb1EPKS5_PS5_PS6_SC_mNS0_19identity_decomposerENS1_16block_id_wrapperIjLb1EEEEE10hipError_tT1_PNSt15iterator_traitsISH_E10value_typeET2_T3_PNSI_ISN_E10value_typeET4_T5_PSS_ST_PNS1_23onesweep_lookback_stateEbbT6_jjT7_P12ihipStream_tbENKUlT_T0_SH_SM_E_clISB_SB_SC_SC_EEDaS10_S11_SH_SM_EUlS10_E_NS1_11comp_targetILNS1_3genE6ELNS1_11target_archE950ELNS1_3gpuE13ELNS1_3repE0EEENS1_47radix_sort_onesweep_sort_config_static_selectorELNS0_4arch9wavefront6targetE0EEEvSH_.kd
    .uniform_work_group_size: 1
    .uses_dynamic_stack: false
    .vgpr_count:     0
    .vgpr_spill_count: 0
    .wavefront_size: 32
  - .args:
      - .offset:         0
        .size:           88
        .value_kind:     by_value
    .group_segment_fixed_size: 0
    .kernarg_segment_align: 8
    .kernarg_segment_size: 88
    .language:       OpenCL C
    .language_version:
      - 2
      - 0
    .max_flat_workgroup_size: 1024
    .name:           _ZN7rocprim17ROCPRIM_400000_NS6detail17trampoline_kernelINS0_14default_configENS1_35radix_sort_onesweep_config_selectorI12hip_bfloat16NS0_10empty_typeEEEZZNS1_29radix_sort_onesweep_iterationIS3_Lb1EPKS5_PS5_PS6_SC_mNS0_19identity_decomposerENS1_16block_id_wrapperIjLb1EEEEE10hipError_tT1_PNSt15iterator_traitsISH_E10value_typeET2_T3_PNSI_ISN_E10value_typeET4_T5_PSS_ST_PNS1_23onesweep_lookback_stateEbbT6_jjT7_P12ihipStream_tbENKUlT_T0_SH_SM_E_clISB_SB_SC_SC_EEDaS10_S11_SH_SM_EUlS10_E_NS1_11comp_targetILNS1_3genE5ELNS1_11target_archE942ELNS1_3gpuE9ELNS1_3repE0EEENS1_47radix_sort_onesweep_sort_config_static_selectorELNS0_4arch9wavefront6targetE0EEEvSH_
    .private_segment_fixed_size: 0
    .sgpr_count:     0
    .sgpr_spill_count: 0
    .symbol:         _ZN7rocprim17ROCPRIM_400000_NS6detail17trampoline_kernelINS0_14default_configENS1_35radix_sort_onesweep_config_selectorI12hip_bfloat16NS0_10empty_typeEEEZZNS1_29radix_sort_onesweep_iterationIS3_Lb1EPKS5_PS5_PS6_SC_mNS0_19identity_decomposerENS1_16block_id_wrapperIjLb1EEEEE10hipError_tT1_PNSt15iterator_traitsISH_E10value_typeET2_T3_PNSI_ISN_E10value_typeET4_T5_PSS_ST_PNS1_23onesweep_lookback_stateEbbT6_jjT7_P12ihipStream_tbENKUlT_T0_SH_SM_E_clISB_SB_SC_SC_EEDaS10_S11_SH_SM_EUlS10_E_NS1_11comp_targetILNS1_3genE5ELNS1_11target_archE942ELNS1_3gpuE9ELNS1_3repE0EEENS1_47radix_sort_onesweep_sort_config_static_selectorELNS0_4arch9wavefront6targetE0EEEvSH_.kd
    .uniform_work_group_size: 1
    .uses_dynamic_stack: false
    .vgpr_count:     0
    .vgpr_spill_count: 0
    .wavefront_size: 32
  - .args:
      - .offset:         0
        .size:           88
        .value_kind:     by_value
    .group_segment_fixed_size: 0
    .kernarg_segment_align: 8
    .kernarg_segment_size: 88
    .language:       OpenCL C
    .language_version:
      - 2
      - 0
    .max_flat_workgroup_size: 512
    .name:           _ZN7rocprim17ROCPRIM_400000_NS6detail17trampoline_kernelINS0_14default_configENS1_35radix_sort_onesweep_config_selectorI12hip_bfloat16NS0_10empty_typeEEEZZNS1_29radix_sort_onesweep_iterationIS3_Lb1EPKS5_PS5_PS6_SC_mNS0_19identity_decomposerENS1_16block_id_wrapperIjLb1EEEEE10hipError_tT1_PNSt15iterator_traitsISH_E10value_typeET2_T3_PNSI_ISN_E10value_typeET4_T5_PSS_ST_PNS1_23onesweep_lookback_stateEbbT6_jjT7_P12ihipStream_tbENKUlT_T0_SH_SM_E_clISB_SB_SC_SC_EEDaS10_S11_SH_SM_EUlS10_E_NS1_11comp_targetILNS1_3genE2ELNS1_11target_archE906ELNS1_3gpuE6ELNS1_3repE0EEENS1_47radix_sort_onesweep_sort_config_static_selectorELNS0_4arch9wavefront6targetE0EEEvSH_
    .private_segment_fixed_size: 0
    .sgpr_count:     0
    .sgpr_spill_count: 0
    .symbol:         _ZN7rocprim17ROCPRIM_400000_NS6detail17trampoline_kernelINS0_14default_configENS1_35radix_sort_onesweep_config_selectorI12hip_bfloat16NS0_10empty_typeEEEZZNS1_29radix_sort_onesweep_iterationIS3_Lb1EPKS5_PS5_PS6_SC_mNS0_19identity_decomposerENS1_16block_id_wrapperIjLb1EEEEE10hipError_tT1_PNSt15iterator_traitsISH_E10value_typeET2_T3_PNSI_ISN_E10value_typeET4_T5_PSS_ST_PNS1_23onesweep_lookback_stateEbbT6_jjT7_P12ihipStream_tbENKUlT_T0_SH_SM_E_clISB_SB_SC_SC_EEDaS10_S11_SH_SM_EUlS10_E_NS1_11comp_targetILNS1_3genE2ELNS1_11target_archE906ELNS1_3gpuE6ELNS1_3repE0EEENS1_47radix_sort_onesweep_sort_config_static_selectorELNS0_4arch9wavefront6targetE0EEEvSH_.kd
    .uniform_work_group_size: 1
    .uses_dynamic_stack: false
    .vgpr_count:     0
    .vgpr_spill_count: 0
    .wavefront_size: 32
  - .args:
      - .offset:         0
        .size:           88
        .value_kind:     by_value
    .group_segment_fixed_size: 0
    .kernarg_segment_align: 8
    .kernarg_segment_size: 88
    .language:       OpenCL C
    .language_version:
      - 2
      - 0
    .max_flat_workgroup_size: 1024
    .name:           _ZN7rocprim17ROCPRIM_400000_NS6detail17trampoline_kernelINS0_14default_configENS1_35radix_sort_onesweep_config_selectorI12hip_bfloat16NS0_10empty_typeEEEZZNS1_29radix_sort_onesweep_iterationIS3_Lb1EPKS5_PS5_PS6_SC_mNS0_19identity_decomposerENS1_16block_id_wrapperIjLb1EEEEE10hipError_tT1_PNSt15iterator_traitsISH_E10value_typeET2_T3_PNSI_ISN_E10value_typeET4_T5_PSS_ST_PNS1_23onesweep_lookback_stateEbbT6_jjT7_P12ihipStream_tbENKUlT_T0_SH_SM_E_clISB_SB_SC_SC_EEDaS10_S11_SH_SM_EUlS10_E_NS1_11comp_targetILNS1_3genE4ELNS1_11target_archE910ELNS1_3gpuE8ELNS1_3repE0EEENS1_47radix_sort_onesweep_sort_config_static_selectorELNS0_4arch9wavefront6targetE0EEEvSH_
    .private_segment_fixed_size: 0
    .sgpr_count:     0
    .sgpr_spill_count: 0
    .symbol:         _ZN7rocprim17ROCPRIM_400000_NS6detail17trampoline_kernelINS0_14default_configENS1_35radix_sort_onesweep_config_selectorI12hip_bfloat16NS0_10empty_typeEEEZZNS1_29radix_sort_onesweep_iterationIS3_Lb1EPKS5_PS5_PS6_SC_mNS0_19identity_decomposerENS1_16block_id_wrapperIjLb1EEEEE10hipError_tT1_PNSt15iterator_traitsISH_E10value_typeET2_T3_PNSI_ISN_E10value_typeET4_T5_PSS_ST_PNS1_23onesweep_lookback_stateEbbT6_jjT7_P12ihipStream_tbENKUlT_T0_SH_SM_E_clISB_SB_SC_SC_EEDaS10_S11_SH_SM_EUlS10_E_NS1_11comp_targetILNS1_3genE4ELNS1_11target_archE910ELNS1_3gpuE8ELNS1_3repE0EEENS1_47radix_sort_onesweep_sort_config_static_selectorELNS0_4arch9wavefront6targetE0EEEvSH_.kd
    .uniform_work_group_size: 1
    .uses_dynamic_stack: false
    .vgpr_count:     0
    .vgpr_spill_count: 0
    .wavefront_size: 32
  - .args:
      - .offset:         0
        .size:           88
        .value_kind:     by_value
    .group_segment_fixed_size: 0
    .kernarg_segment_align: 8
    .kernarg_segment_size: 88
    .language:       OpenCL C
    .language_version:
      - 2
      - 0
    .max_flat_workgroup_size: 512
    .name:           _ZN7rocprim17ROCPRIM_400000_NS6detail17trampoline_kernelINS0_14default_configENS1_35radix_sort_onesweep_config_selectorI12hip_bfloat16NS0_10empty_typeEEEZZNS1_29radix_sort_onesweep_iterationIS3_Lb1EPKS5_PS5_PS6_SC_mNS0_19identity_decomposerENS1_16block_id_wrapperIjLb1EEEEE10hipError_tT1_PNSt15iterator_traitsISH_E10value_typeET2_T3_PNSI_ISN_E10value_typeET4_T5_PSS_ST_PNS1_23onesweep_lookback_stateEbbT6_jjT7_P12ihipStream_tbENKUlT_T0_SH_SM_E_clISB_SB_SC_SC_EEDaS10_S11_SH_SM_EUlS10_E_NS1_11comp_targetILNS1_3genE3ELNS1_11target_archE908ELNS1_3gpuE7ELNS1_3repE0EEENS1_47radix_sort_onesweep_sort_config_static_selectorELNS0_4arch9wavefront6targetE0EEEvSH_
    .private_segment_fixed_size: 0
    .sgpr_count:     0
    .sgpr_spill_count: 0
    .symbol:         _ZN7rocprim17ROCPRIM_400000_NS6detail17trampoline_kernelINS0_14default_configENS1_35radix_sort_onesweep_config_selectorI12hip_bfloat16NS0_10empty_typeEEEZZNS1_29radix_sort_onesweep_iterationIS3_Lb1EPKS5_PS5_PS6_SC_mNS0_19identity_decomposerENS1_16block_id_wrapperIjLb1EEEEE10hipError_tT1_PNSt15iterator_traitsISH_E10value_typeET2_T3_PNSI_ISN_E10value_typeET4_T5_PSS_ST_PNS1_23onesweep_lookback_stateEbbT6_jjT7_P12ihipStream_tbENKUlT_T0_SH_SM_E_clISB_SB_SC_SC_EEDaS10_S11_SH_SM_EUlS10_E_NS1_11comp_targetILNS1_3genE3ELNS1_11target_archE908ELNS1_3gpuE7ELNS1_3repE0EEENS1_47radix_sort_onesweep_sort_config_static_selectorELNS0_4arch9wavefront6targetE0EEEvSH_.kd
    .uniform_work_group_size: 1
    .uses_dynamic_stack: false
    .vgpr_count:     0
    .vgpr_spill_count: 0
    .wavefront_size: 32
  - .args:
      - .offset:         0
        .size:           88
        .value_kind:     by_value
    .group_segment_fixed_size: 0
    .kernarg_segment_align: 8
    .kernarg_segment_size: 88
    .language:       OpenCL C
    .language_version:
      - 2
      - 0
    .max_flat_workgroup_size: 256
    .name:           _ZN7rocprim17ROCPRIM_400000_NS6detail17trampoline_kernelINS0_14default_configENS1_35radix_sort_onesweep_config_selectorI12hip_bfloat16NS0_10empty_typeEEEZZNS1_29radix_sort_onesweep_iterationIS3_Lb1EPKS5_PS5_PS6_SC_mNS0_19identity_decomposerENS1_16block_id_wrapperIjLb1EEEEE10hipError_tT1_PNSt15iterator_traitsISH_E10value_typeET2_T3_PNSI_ISN_E10value_typeET4_T5_PSS_ST_PNS1_23onesweep_lookback_stateEbbT6_jjT7_P12ihipStream_tbENKUlT_T0_SH_SM_E_clISB_SB_SC_SC_EEDaS10_S11_SH_SM_EUlS10_E_NS1_11comp_targetILNS1_3genE10ELNS1_11target_archE1201ELNS1_3gpuE5ELNS1_3repE0EEENS1_47radix_sort_onesweep_sort_config_static_selectorELNS0_4arch9wavefront6targetE0EEEvSH_
    .private_segment_fixed_size: 0
    .sgpr_count:     0
    .sgpr_spill_count: 0
    .symbol:         _ZN7rocprim17ROCPRIM_400000_NS6detail17trampoline_kernelINS0_14default_configENS1_35radix_sort_onesweep_config_selectorI12hip_bfloat16NS0_10empty_typeEEEZZNS1_29radix_sort_onesweep_iterationIS3_Lb1EPKS5_PS5_PS6_SC_mNS0_19identity_decomposerENS1_16block_id_wrapperIjLb1EEEEE10hipError_tT1_PNSt15iterator_traitsISH_E10value_typeET2_T3_PNSI_ISN_E10value_typeET4_T5_PSS_ST_PNS1_23onesweep_lookback_stateEbbT6_jjT7_P12ihipStream_tbENKUlT_T0_SH_SM_E_clISB_SB_SC_SC_EEDaS10_S11_SH_SM_EUlS10_E_NS1_11comp_targetILNS1_3genE10ELNS1_11target_archE1201ELNS1_3gpuE5ELNS1_3repE0EEENS1_47radix_sort_onesweep_sort_config_static_selectorELNS0_4arch9wavefront6targetE0EEEvSH_.kd
    .uniform_work_group_size: 1
    .uses_dynamic_stack: false
    .vgpr_count:     0
    .vgpr_spill_count: 0
    .wavefront_size: 32
  - .args:
      - .offset:         0
        .size:           88
        .value_kind:     by_value
    .group_segment_fixed_size: 0
    .kernarg_segment_align: 8
    .kernarg_segment_size: 88
    .language:       OpenCL C
    .language_version:
      - 2
      - 0
    .max_flat_workgroup_size: 256
    .name:           _ZN7rocprim17ROCPRIM_400000_NS6detail17trampoline_kernelINS0_14default_configENS1_35radix_sort_onesweep_config_selectorI12hip_bfloat16NS0_10empty_typeEEEZZNS1_29radix_sort_onesweep_iterationIS3_Lb1EPKS5_PS5_PS6_SC_mNS0_19identity_decomposerENS1_16block_id_wrapperIjLb1EEEEE10hipError_tT1_PNSt15iterator_traitsISH_E10value_typeET2_T3_PNSI_ISN_E10value_typeET4_T5_PSS_ST_PNS1_23onesweep_lookback_stateEbbT6_jjT7_P12ihipStream_tbENKUlT_T0_SH_SM_E_clISB_SB_SC_SC_EEDaS10_S11_SH_SM_EUlS10_E_NS1_11comp_targetILNS1_3genE9ELNS1_11target_archE1100ELNS1_3gpuE3ELNS1_3repE0EEENS1_47radix_sort_onesweep_sort_config_static_selectorELNS0_4arch9wavefront6targetE0EEEvSH_
    .private_segment_fixed_size: 0
    .sgpr_count:     0
    .sgpr_spill_count: 0
    .symbol:         _ZN7rocprim17ROCPRIM_400000_NS6detail17trampoline_kernelINS0_14default_configENS1_35radix_sort_onesweep_config_selectorI12hip_bfloat16NS0_10empty_typeEEEZZNS1_29radix_sort_onesweep_iterationIS3_Lb1EPKS5_PS5_PS6_SC_mNS0_19identity_decomposerENS1_16block_id_wrapperIjLb1EEEEE10hipError_tT1_PNSt15iterator_traitsISH_E10value_typeET2_T3_PNSI_ISN_E10value_typeET4_T5_PSS_ST_PNS1_23onesweep_lookback_stateEbbT6_jjT7_P12ihipStream_tbENKUlT_T0_SH_SM_E_clISB_SB_SC_SC_EEDaS10_S11_SH_SM_EUlS10_E_NS1_11comp_targetILNS1_3genE9ELNS1_11target_archE1100ELNS1_3gpuE3ELNS1_3repE0EEENS1_47radix_sort_onesweep_sort_config_static_selectorELNS0_4arch9wavefront6targetE0EEEvSH_.kd
    .uniform_work_group_size: 1
    .uses_dynamic_stack: false
    .vgpr_count:     0
    .vgpr_spill_count: 0
    .wavefront_size: 32
  - .args:
      - .offset:         0
        .size:           88
        .value_kind:     by_value
    .group_segment_fixed_size: 0
    .kernarg_segment_align: 8
    .kernarg_segment_size: 88
    .language:       OpenCL C
    .language_version:
      - 2
      - 0
    .max_flat_workgroup_size: 256
    .name:           _ZN7rocprim17ROCPRIM_400000_NS6detail17trampoline_kernelINS0_14default_configENS1_35radix_sort_onesweep_config_selectorI12hip_bfloat16NS0_10empty_typeEEEZZNS1_29radix_sort_onesweep_iterationIS3_Lb1EPKS5_PS5_PS6_SC_mNS0_19identity_decomposerENS1_16block_id_wrapperIjLb1EEEEE10hipError_tT1_PNSt15iterator_traitsISH_E10value_typeET2_T3_PNSI_ISN_E10value_typeET4_T5_PSS_ST_PNS1_23onesweep_lookback_stateEbbT6_jjT7_P12ihipStream_tbENKUlT_T0_SH_SM_E_clISB_SB_SC_SC_EEDaS10_S11_SH_SM_EUlS10_E_NS1_11comp_targetILNS1_3genE8ELNS1_11target_archE1030ELNS1_3gpuE2ELNS1_3repE0EEENS1_47radix_sort_onesweep_sort_config_static_selectorELNS0_4arch9wavefront6targetE0EEEvSH_
    .private_segment_fixed_size: 0
    .sgpr_count:     0
    .sgpr_spill_count: 0
    .symbol:         _ZN7rocprim17ROCPRIM_400000_NS6detail17trampoline_kernelINS0_14default_configENS1_35radix_sort_onesweep_config_selectorI12hip_bfloat16NS0_10empty_typeEEEZZNS1_29radix_sort_onesweep_iterationIS3_Lb1EPKS5_PS5_PS6_SC_mNS0_19identity_decomposerENS1_16block_id_wrapperIjLb1EEEEE10hipError_tT1_PNSt15iterator_traitsISH_E10value_typeET2_T3_PNSI_ISN_E10value_typeET4_T5_PSS_ST_PNS1_23onesweep_lookback_stateEbbT6_jjT7_P12ihipStream_tbENKUlT_T0_SH_SM_E_clISB_SB_SC_SC_EEDaS10_S11_SH_SM_EUlS10_E_NS1_11comp_targetILNS1_3genE8ELNS1_11target_archE1030ELNS1_3gpuE2ELNS1_3repE0EEENS1_47radix_sort_onesweep_sort_config_static_selectorELNS0_4arch9wavefront6targetE0EEEvSH_.kd
    .uniform_work_group_size: 1
    .uses_dynamic_stack: false
    .vgpr_count:     0
    .vgpr_spill_count: 0
    .wavefront_size: 32
  - .args:
      - .offset:         0
        .size:           88
        .value_kind:     by_value
      - .offset:         88
        .size:           4
        .value_kind:     hidden_block_count_x
      - .offset:         92
        .size:           4
        .value_kind:     hidden_block_count_y
      - .offset:         96
        .size:           4
        .value_kind:     hidden_block_count_z
      - .offset:         100
        .size:           2
        .value_kind:     hidden_group_size_x
      - .offset:         102
        .size:           2
        .value_kind:     hidden_group_size_y
      - .offset:         104
        .size:           2
        .value_kind:     hidden_group_size_z
      - .offset:         106
        .size:           2
        .value_kind:     hidden_remainder_x
      - .offset:         108
        .size:           2
        .value_kind:     hidden_remainder_y
      - .offset:         110
        .size:           2
        .value_kind:     hidden_remainder_z
      - .offset:         128
        .size:           8
        .value_kind:     hidden_global_offset_x
      - .offset:         136
        .size:           8
        .value_kind:     hidden_global_offset_y
      - .offset:         144
        .size:           8
        .value_kind:     hidden_global_offset_z
      - .offset:         152
        .size:           2
        .value_kind:     hidden_grid_dims
    .group_segment_fixed_size: 18504
    .kernarg_segment_align: 8
    .kernarg_segment_size: 344
    .language:       OpenCL C
    .language_version:
      - 2
      - 0
    .max_flat_workgroup_size: 512
    .name:           _ZN7rocprim17ROCPRIM_400000_NS6detail17trampoline_kernelINS0_14default_configENS1_35radix_sort_onesweep_config_selectorI12hip_bfloat16NS0_10empty_typeEEEZZNS1_29radix_sort_onesweep_iterationIS3_Lb1EPKS5_PS5_PS6_SC_mNS0_19identity_decomposerENS1_16block_id_wrapperIjLb0EEEEE10hipError_tT1_PNSt15iterator_traitsISH_E10value_typeET2_T3_PNSI_ISN_E10value_typeET4_T5_PSS_ST_PNS1_23onesweep_lookback_stateEbbT6_jjT7_P12ihipStream_tbENKUlT_T0_SH_SM_E_clISA_SB_SC_SC_EEDaS10_S11_SH_SM_EUlS10_E_NS1_11comp_targetILNS1_3genE0ELNS1_11target_archE4294967295ELNS1_3gpuE0ELNS1_3repE0EEENS1_47radix_sort_onesweep_sort_config_static_selectorELNS0_4arch9wavefront6targetE0EEEvSH_
    .private_segment_fixed_size: 0
    .sgpr_count:     30
    .sgpr_spill_count: 0
    .symbol:         _ZN7rocprim17ROCPRIM_400000_NS6detail17trampoline_kernelINS0_14default_configENS1_35radix_sort_onesweep_config_selectorI12hip_bfloat16NS0_10empty_typeEEEZZNS1_29radix_sort_onesweep_iterationIS3_Lb1EPKS5_PS5_PS6_SC_mNS0_19identity_decomposerENS1_16block_id_wrapperIjLb0EEEEE10hipError_tT1_PNSt15iterator_traitsISH_E10value_typeET2_T3_PNSI_ISN_E10value_typeET4_T5_PSS_ST_PNS1_23onesweep_lookback_stateEbbT6_jjT7_P12ihipStream_tbENKUlT_T0_SH_SM_E_clISA_SB_SC_SC_EEDaS10_S11_SH_SM_EUlS10_E_NS1_11comp_targetILNS1_3genE0ELNS1_11target_archE4294967295ELNS1_3gpuE0ELNS1_3repE0EEENS1_47radix_sort_onesweep_sort_config_static_selectorELNS0_4arch9wavefront6targetE0EEEvSH_.kd
    .uniform_work_group_size: 1
    .uses_dynamic_stack: false
    .vgpr_count:     65
    .vgpr_spill_count: 0
    .wavefront_size: 32
  - .args:
      - .offset:         0
        .size:           88
        .value_kind:     by_value
    .group_segment_fixed_size: 0
    .kernarg_segment_align: 8
    .kernarg_segment_size: 88
    .language:       OpenCL C
    .language_version:
      - 2
      - 0
    .max_flat_workgroup_size: 1024
    .name:           _ZN7rocprim17ROCPRIM_400000_NS6detail17trampoline_kernelINS0_14default_configENS1_35radix_sort_onesweep_config_selectorI12hip_bfloat16NS0_10empty_typeEEEZZNS1_29radix_sort_onesweep_iterationIS3_Lb1EPKS5_PS5_PS6_SC_mNS0_19identity_decomposerENS1_16block_id_wrapperIjLb0EEEEE10hipError_tT1_PNSt15iterator_traitsISH_E10value_typeET2_T3_PNSI_ISN_E10value_typeET4_T5_PSS_ST_PNS1_23onesweep_lookback_stateEbbT6_jjT7_P12ihipStream_tbENKUlT_T0_SH_SM_E_clISA_SB_SC_SC_EEDaS10_S11_SH_SM_EUlS10_E_NS1_11comp_targetILNS1_3genE6ELNS1_11target_archE950ELNS1_3gpuE13ELNS1_3repE0EEENS1_47radix_sort_onesweep_sort_config_static_selectorELNS0_4arch9wavefront6targetE0EEEvSH_
    .private_segment_fixed_size: 0
    .sgpr_count:     0
    .sgpr_spill_count: 0
    .symbol:         _ZN7rocprim17ROCPRIM_400000_NS6detail17trampoline_kernelINS0_14default_configENS1_35radix_sort_onesweep_config_selectorI12hip_bfloat16NS0_10empty_typeEEEZZNS1_29radix_sort_onesweep_iterationIS3_Lb1EPKS5_PS5_PS6_SC_mNS0_19identity_decomposerENS1_16block_id_wrapperIjLb0EEEEE10hipError_tT1_PNSt15iterator_traitsISH_E10value_typeET2_T3_PNSI_ISN_E10value_typeET4_T5_PSS_ST_PNS1_23onesweep_lookback_stateEbbT6_jjT7_P12ihipStream_tbENKUlT_T0_SH_SM_E_clISA_SB_SC_SC_EEDaS10_S11_SH_SM_EUlS10_E_NS1_11comp_targetILNS1_3genE6ELNS1_11target_archE950ELNS1_3gpuE13ELNS1_3repE0EEENS1_47radix_sort_onesweep_sort_config_static_selectorELNS0_4arch9wavefront6targetE0EEEvSH_.kd
    .uniform_work_group_size: 1
    .uses_dynamic_stack: false
    .vgpr_count:     0
    .vgpr_spill_count: 0
    .wavefront_size: 32
  - .args:
      - .offset:         0
        .size:           88
        .value_kind:     by_value
    .group_segment_fixed_size: 0
    .kernarg_segment_align: 8
    .kernarg_segment_size: 88
    .language:       OpenCL C
    .language_version:
      - 2
      - 0
    .max_flat_workgroup_size: 1024
    .name:           _ZN7rocprim17ROCPRIM_400000_NS6detail17trampoline_kernelINS0_14default_configENS1_35radix_sort_onesweep_config_selectorI12hip_bfloat16NS0_10empty_typeEEEZZNS1_29radix_sort_onesweep_iterationIS3_Lb1EPKS5_PS5_PS6_SC_mNS0_19identity_decomposerENS1_16block_id_wrapperIjLb0EEEEE10hipError_tT1_PNSt15iterator_traitsISH_E10value_typeET2_T3_PNSI_ISN_E10value_typeET4_T5_PSS_ST_PNS1_23onesweep_lookback_stateEbbT6_jjT7_P12ihipStream_tbENKUlT_T0_SH_SM_E_clISA_SB_SC_SC_EEDaS10_S11_SH_SM_EUlS10_E_NS1_11comp_targetILNS1_3genE5ELNS1_11target_archE942ELNS1_3gpuE9ELNS1_3repE0EEENS1_47radix_sort_onesweep_sort_config_static_selectorELNS0_4arch9wavefront6targetE0EEEvSH_
    .private_segment_fixed_size: 0
    .sgpr_count:     0
    .sgpr_spill_count: 0
    .symbol:         _ZN7rocprim17ROCPRIM_400000_NS6detail17trampoline_kernelINS0_14default_configENS1_35radix_sort_onesweep_config_selectorI12hip_bfloat16NS0_10empty_typeEEEZZNS1_29radix_sort_onesweep_iterationIS3_Lb1EPKS5_PS5_PS6_SC_mNS0_19identity_decomposerENS1_16block_id_wrapperIjLb0EEEEE10hipError_tT1_PNSt15iterator_traitsISH_E10value_typeET2_T3_PNSI_ISN_E10value_typeET4_T5_PSS_ST_PNS1_23onesweep_lookback_stateEbbT6_jjT7_P12ihipStream_tbENKUlT_T0_SH_SM_E_clISA_SB_SC_SC_EEDaS10_S11_SH_SM_EUlS10_E_NS1_11comp_targetILNS1_3genE5ELNS1_11target_archE942ELNS1_3gpuE9ELNS1_3repE0EEENS1_47radix_sort_onesweep_sort_config_static_selectorELNS0_4arch9wavefront6targetE0EEEvSH_.kd
    .uniform_work_group_size: 1
    .uses_dynamic_stack: false
    .vgpr_count:     0
    .vgpr_spill_count: 0
    .wavefront_size: 32
  - .args:
      - .offset:         0
        .size:           88
        .value_kind:     by_value
    .group_segment_fixed_size: 0
    .kernarg_segment_align: 8
    .kernarg_segment_size: 88
    .language:       OpenCL C
    .language_version:
      - 2
      - 0
    .max_flat_workgroup_size: 512
    .name:           _ZN7rocprim17ROCPRIM_400000_NS6detail17trampoline_kernelINS0_14default_configENS1_35radix_sort_onesweep_config_selectorI12hip_bfloat16NS0_10empty_typeEEEZZNS1_29radix_sort_onesweep_iterationIS3_Lb1EPKS5_PS5_PS6_SC_mNS0_19identity_decomposerENS1_16block_id_wrapperIjLb0EEEEE10hipError_tT1_PNSt15iterator_traitsISH_E10value_typeET2_T3_PNSI_ISN_E10value_typeET4_T5_PSS_ST_PNS1_23onesweep_lookback_stateEbbT6_jjT7_P12ihipStream_tbENKUlT_T0_SH_SM_E_clISA_SB_SC_SC_EEDaS10_S11_SH_SM_EUlS10_E_NS1_11comp_targetILNS1_3genE2ELNS1_11target_archE906ELNS1_3gpuE6ELNS1_3repE0EEENS1_47radix_sort_onesweep_sort_config_static_selectorELNS0_4arch9wavefront6targetE0EEEvSH_
    .private_segment_fixed_size: 0
    .sgpr_count:     0
    .sgpr_spill_count: 0
    .symbol:         _ZN7rocprim17ROCPRIM_400000_NS6detail17trampoline_kernelINS0_14default_configENS1_35radix_sort_onesweep_config_selectorI12hip_bfloat16NS0_10empty_typeEEEZZNS1_29radix_sort_onesweep_iterationIS3_Lb1EPKS5_PS5_PS6_SC_mNS0_19identity_decomposerENS1_16block_id_wrapperIjLb0EEEEE10hipError_tT1_PNSt15iterator_traitsISH_E10value_typeET2_T3_PNSI_ISN_E10value_typeET4_T5_PSS_ST_PNS1_23onesweep_lookback_stateEbbT6_jjT7_P12ihipStream_tbENKUlT_T0_SH_SM_E_clISA_SB_SC_SC_EEDaS10_S11_SH_SM_EUlS10_E_NS1_11comp_targetILNS1_3genE2ELNS1_11target_archE906ELNS1_3gpuE6ELNS1_3repE0EEENS1_47radix_sort_onesweep_sort_config_static_selectorELNS0_4arch9wavefront6targetE0EEEvSH_.kd
    .uniform_work_group_size: 1
    .uses_dynamic_stack: false
    .vgpr_count:     0
    .vgpr_spill_count: 0
    .wavefront_size: 32
  - .args:
      - .offset:         0
        .size:           88
        .value_kind:     by_value
    .group_segment_fixed_size: 0
    .kernarg_segment_align: 8
    .kernarg_segment_size: 88
    .language:       OpenCL C
    .language_version:
      - 2
      - 0
    .max_flat_workgroup_size: 1024
    .name:           _ZN7rocprim17ROCPRIM_400000_NS6detail17trampoline_kernelINS0_14default_configENS1_35radix_sort_onesweep_config_selectorI12hip_bfloat16NS0_10empty_typeEEEZZNS1_29radix_sort_onesweep_iterationIS3_Lb1EPKS5_PS5_PS6_SC_mNS0_19identity_decomposerENS1_16block_id_wrapperIjLb0EEEEE10hipError_tT1_PNSt15iterator_traitsISH_E10value_typeET2_T3_PNSI_ISN_E10value_typeET4_T5_PSS_ST_PNS1_23onesweep_lookback_stateEbbT6_jjT7_P12ihipStream_tbENKUlT_T0_SH_SM_E_clISA_SB_SC_SC_EEDaS10_S11_SH_SM_EUlS10_E_NS1_11comp_targetILNS1_3genE4ELNS1_11target_archE910ELNS1_3gpuE8ELNS1_3repE0EEENS1_47radix_sort_onesweep_sort_config_static_selectorELNS0_4arch9wavefront6targetE0EEEvSH_
    .private_segment_fixed_size: 0
    .sgpr_count:     0
    .sgpr_spill_count: 0
    .symbol:         _ZN7rocprim17ROCPRIM_400000_NS6detail17trampoline_kernelINS0_14default_configENS1_35radix_sort_onesweep_config_selectorI12hip_bfloat16NS0_10empty_typeEEEZZNS1_29radix_sort_onesweep_iterationIS3_Lb1EPKS5_PS5_PS6_SC_mNS0_19identity_decomposerENS1_16block_id_wrapperIjLb0EEEEE10hipError_tT1_PNSt15iterator_traitsISH_E10value_typeET2_T3_PNSI_ISN_E10value_typeET4_T5_PSS_ST_PNS1_23onesweep_lookback_stateEbbT6_jjT7_P12ihipStream_tbENKUlT_T0_SH_SM_E_clISA_SB_SC_SC_EEDaS10_S11_SH_SM_EUlS10_E_NS1_11comp_targetILNS1_3genE4ELNS1_11target_archE910ELNS1_3gpuE8ELNS1_3repE0EEENS1_47radix_sort_onesweep_sort_config_static_selectorELNS0_4arch9wavefront6targetE0EEEvSH_.kd
    .uniform_work_group_size: 1
    .uses_dynamic_stack: false
    .vgpr_count:     0
    .vgpr_spill_count: 0
    .wavefront_size: 32
  - .args:
      - .offset:         0
        .size:           88
        .value_kind:     by_value
    .group_segment_fixed_size: 0
    .kernarg_segment_align: 8
    .kernarg_segment_size: 88
    .language:       OpenCL C
    .language_version:
      - 2
      - 0
    .max_flat_workgroup_size: 512
    .name:           _ZN7rocprim17ROCPRIM_400000_NS6detail17trampoline_kernelINS0_14default_configENS1_35radix_sort_onesweep_config_selectorI12hip_bfloat16NS0_10empty_typeEEEZZNS1_29radix_sort_onesweep_iterationIS3_Lb1EPKS5_PS5_PS6_SC_mNS0_19identity_decomposerENS1_16block_id_wrapperIjLb0EEEEE10hipError_tT1_PNSt15iterator_traitsISH_E10value_typeET2_T3_PNSI_ISN_E10value_typeET4_T5_PSS_ST_PNS1_23onesweep_lookback_stateEbbT6_jjT7_P12ihipStream_tbENKUlT_T0_SH_SM_E_clISA_SB_SC_SC_EEDaS10_S11_SH_SM_EUlS10_E_NS1_11comp_targetILNS1_3genE3ELNS1_11target_archE908ELNS1_3gpuE7ELNS1_3repE0EEENS1_47radix_sort_onesweep_sort_config_static_selectorELNS0_4arch9wavefront6targetE0EEEvSH_
    .private_segment_fixed_size: 0
    .sgpr_count:     0
    .sgpr_spill_count: 0
    .symbol:         _ZN7rocprim17ROCPRIM_400000_NS6detail17trampoline_kernelINS0_14default_configENS1_35radix_sort_onesweep_config_selectorI12hip_bfloat16NS0_10empty_typeEEEZZNS1_29radix_sort_onesweep_iterationIS3_Lb1EPKS5_PS5_PS6_SC_mNS0_19identity_decomposerENS1_16block_id_wrapperIjLb0EEEEE10hipError_tT1_PNSt15iterator_traitsISH_E10value_typeET2_T3_PNSI_ISN_E10value_typeET4_T5_PSS_ST_PNS1_23onesweep_lookback_stateEbbT6_jjT7_P12ihipStream_tbENKUlT_T0_SH_SM_E_clISA_SB_SC_SC_EEDaS10_S11_SH_SM_EUlS10_E_NS1_11comp_targetILNS1_3genE3ELNS1_11target_archE908ELNS1_3gpuE7ELNS1_3repE0EEENS1_47radix_sort_onesweep_sort_config_static_selectorELNS0_4arch9wavefront6targetE0EEEvSH_.kd
    .uniform_work_group_size: 1
    .uses_dynamic_stack: false
    .vgpr_count:     0
    .vgpr_spill_count: 0
    .wavefront_size: 32
  - .args:
      - .offset:         0
        .size:           88
        .value_kind:     by_value
    .group_segment_fixed_size: 0
    .kernarg_segment_align: 8
    .kernarg_segment_size: 88
    .language:       OpenCL C
    .language_version:
      - 2
      - 0
    .max_flat_workgroup_size: 256
    .name:           _ZN7rocprim17ROCPRIM_400000_NS6detail17trampoline_kernelINS0_14default_configENS1_35radix_sort_onesweep_config_selectorI12hip_bfloat16NS0_10empty_typeEEEZZNS1_29radix_sort_onesweep_iterationIS3_Lb1EPKS5_PS5_PS6_SC_mNS0_19identity_decomposerENS1_16block_id_wrapperIjLb0EEEEE10hipError_tT1_PNSt15iterator_traitsISH_E10value_typeET2_T3_PNSI_ISN_E10value_typeET4_T5_PSS_ST_PNS1_23onesweep_lookback_stateEbbT6_jjT7_P12ihipStream_tbENKUlT_T0_SH_SM_E_clISA_SB_SC_SC_EEDaS10_S11_SH_SM_EUlS10_E_NS1_11comp_targetILNS1_3genE10ELNS1_11target_archE1201ELNS1_3gpuE5ELNS1_3repE0EEENS1_47radix_sort_onesweep_sort_config_static_selectorELNS0_4arch9wavefront6targetE0EEEvSH_
    .private_segment_fixed_size: 0
    .sgpr_count:     0
    .sgpr_spill_count: 0
    .symbol:         _ZN7rocprim17ROCPRIM_400000_NS6detail17trampoline_kernelINS0_14default_configENS1_35radix_sort_onesweep_config_selectorI12hip_bfloat16NS0_10empty_typeEEEZZNS1_29radix_sort_onesweep_iterationIS3_Lb1EPKS5_PS5_PS6_SC_mNS0_19identity_decomposerENS1_16block_id_wrapperIjLb0EEEEE10hipError_tT1_PNSt15iterator_traitsISH_E10value_typeET2_T3_PNSI_ISN_E10value_typeET4_T5_PSS_ST_PNS1_23onesweep_lookback_stateEbbT6_jjT7_P12ihipStream_tbENKUlT_T0_SH_SM_E_clISA_SB_SC_SC_EEDaS10_S11_SH_SM_EUlS10_E_NS1_11comp_targetILNS1_3genE10ELNS1_11target_archE1201ELNS1_3gpuE5ELNS1_3repE0EEENS1_47radix_sort_onesweep_sort_config_static_selectorELNS0_4arch9wavefront6targetE0EEEvSH_.kd
    .uniform_work_group_size: 1
    .uses_dynamic_stack: false
    .vgpr_count:     0
    .vgpr_spill_count: 0
    .wavefront_size: 32
  - .args:
      - .offset:         0
        .size:           88
        .value_kind:     by_value
    .group_segment_fixed_size: 0
    .kernarg_segment_align: 8
    .kernarg_segment_size: 88
    .language:       OpenCL C
    .language_version:
      - 2
      - 0
    .max_flat_workgroup_size: 256
    .name:           _ZN7rocprim17ROCPRIM_400000_NS6detail17trampoline_kernelINS0_14default_configENS1_35radix_sort_onesweep_config_selectorI12hip_bfloat16NS0_10empty_typeEEEZZNS1_29radix_sort_onesweep_iterationIS3_Lb1EPKS5_PS5_PS6_SC_mNS0_19identity_decomposerENS1_16block_id_wrapperIjLb0EEEEE10hipError_tT1_PNSt15iterator_traitsISH_E10value_typeET2_T3_PNSI_ISN_E10value_typeET4_T5_PSS_ST_PNS1_23onesweep_lookback_stateEbbT6_jjT7_P12ihipStream_tbENKUlT_T0_SH_SM_E_clISA_SB_SC_SC_EEDaS10_S11_SH_SM_EUlS10_E_NS1_11comp_targetILNS1_3genE9ELNS1_11target_archE1100ELNS1_3gpuE3ELNS1_3repE0EEENS1_47radix_sort_onesweep_sort_config_static_selectorELNS0_4arch9wavefront6targetE0EEEvSH_
    .private_segment_fixed_size: 0
    .sgpr_count:     0
    .sgpr_spill_count: 0
    .symbol:         _ZN7rocprim17ROCPRIM_400000_NS6detail17trampoline_kernelINS0_14default_configENS1_35radix_sort_onesweep_config_selectorI12hip_bfloat16NS0_10empty_typeEEEZZNS1_29radix_sort_onesweep_iterationIS3_Lb1EPKS5_PS5_PS6_SC_mNS0_19identity_decomposerENS1_16block_id_wrapperIjLb0EEEEE10hipError_tT1_PNSt15iterator_traitsISH_E10value_typeET2_T3_PNSI_ISN_E10value_typeET4_T5_PSS_ST_PNS1_23onesweep_lookback_stateEbbT6_jjT7_P12ihipStream_tbENKUlT_T0_SH_SM_E_clISA_SB_SC_SC_EEDaS10_S11_SH_SM_EUlS10_E_NS1_11comp_targetILNS1_3genE9ELNS1_11target_archE1100ELNS1_3gpuE3ELNS1_3repE0EEENS1_47radix_sort_onesweep_sort_config_static_selectorELNS0_4arch9wavefront6targetE0EEEvSH_.kd
    .uniform_work_group_size: 1
    .uses_dynamic_stack: false
    .vgpr_count:     0
    .vgpr_spill_count: 0
    .wavefront_size: 32
  - .args:
      - .offset:         0
        .size:           88
        .value_kind:     by_value
    .group_segment_fixed_size: 0
    .kernarg_segment_align: 8
    .kernarg_segment_size: 88
    .language:       OpenCL C
    .language_version:
      - 2
      - 0
    .max_flat_workgroup_size: 256
    .name:           _ZN7rocprim17ROCPRIM_400000_NS6detail17trampoline_kernelINS0_14default_configENS1_35radix_sort_onesweep_config_selectorI12hip_bfloat16NS0_10empty_typeEEEZZNS1_29radix_sort_onesweep_iterationIS3_Lb1EPKS5_PS5_PS6_SC_mNS0_19identity_decomposerENS1_16block_id_wrapperIjLb0EEEEE10hipError_tT1_PNSt15iterator_traitsISH_E10value_typeET2_T3_PNSI_ISN_E10value_typeET4_T5_PSS_ST_PNS1_23onesweep_lookback_stateEbbT6_jjT7_P12ihipStream_tbENKUlT_T0_SH_SM_E_clISA_SB_SC_SC_EEDaS10_S11_SH_SM_EUlS10_E_NS1_11comp_targetILNS1_3genE8ELNS1_11target_archE1030ELNS1_3gpuE2ELNS1_3repE0EEENS1_47radix_sort_onesweep_sort_config_static_selectorELNS0_4arch9wavefront6targetE0EEEvSH_
    .private_segment_fixed_size: 0
    .sgpr_count:     0
    .sgpr_spill_count: 0
    .symbol:         _ZN7rocprim17ROCPRIM_400000_NS6detail17trampoline_kernelINS0_14default_configENS1_35radix_sort_onesweep_config_selectorI12hip_bfloat16NS0_10empty_typeEEEZZNS1_29radix_sort_onesweep_iterationIS3_Lb1EPKS5_PS5_PS6_SC_mNS0_19identity_decomposerENS1_16block_id_wrapperIjLb0EEEEE10hipError_tT1_PNSt15iterator_traitsISH_E10value_typeET2_T3_PNSI_ISN_E10value_typeET4_T5_PSS_ST_PNS1_23onesweep_lookback_stateEbbT6_jjT7_P12ihipStream_tbENKUlT_T0_SH_SM_E_clISA_SB_SC_SC_EEDaS10_S11_SH_SM_EUlS10_E_NS1_11comp_targetILNS1_3genE8ELNS1_11target_archE1030ELNS1_3gpuE2ELNS1_3repE0EEENS1_47radix_sort_onesweep_sort_config_static_selectorELNS0_4arch9wavefront6targetE0EEEvSH_.kd
    .uniform_work_group_size: 1
    .uses_dynamic_stack: false
    .vgpr_count:     0
    .vgpr_spill_count: 0
    .wavefront_size: 32
  - .args:
      - .offset:         0
        .size:           88
        .value_kind:     by_value
      - .offset:         88
        .size:           4
        .value_kind:     hidden_block_count_x
      - .offset:         92
        .size:           4
        .value_kind:     hidden_block_count_y
      - .offset:         96
        .size:           4
        .value_kind:     hidden_block_count_z
      - .offset:         100
        .size:           2
        .value_kind:     hidden_group_size_x
      - .offset:         102
        .size:           2
        .value_kind:     hidden_group_size_y
      - .offset:         104
        .size:           2
        .value_kind:     hidden_group_size_z
      - .offset:         106
        .size:           2
        .value_kind:     hidden_remainder_x
      - .offset:         108
        .size:           2
        .value_kind:     hidden_remainder_y
      - .offset:         110
        .size:           2
        .value_kind:     hidden_remainder_z
      - .offset:         128
        .size:           8
        .value_kind:     hidden_global_offset_x
      - .offset:         136
        .size:           8
        .value_kind:     hidden_global_offset_y
      - .offset:         144
        .size:           8
        .value_kind:     hidden_global_offset_z
      - .offset:         152
        .size:           2
        .value_kind:     hidden_grid_dims
    .group_segment_fixed_size: 18504
    .kernarg_segment_align: 8
    .kernarg_segment_size: 344
    .language:       OpenCL C
    .language_version:
      - 2
      - 0
    .max_flat_workgroup_size: 512
    .name:           _ZN7rocprim17ROCPRIM_400000_NS6detail17trampoline_kernelINS0_14default_configENS1_35radix_sort_onesweep_config_selectorI12hip_bfloat16NS0_10empty_typeEEEZZNS1_29radix_sort_onesweep_iterationIS3_Lb1EPKS5_PS5_PS6_SC_mNS0_19identity_decomposerENS1_16block_id_wrapperIjLb0EEEEE10hipError_tT1_PNSt15iterator_traitsISH_E10value_typeET2_T3_PNSI_ISN_E10value_typeET4_T5_PSS_ST_PNS1_23onesweep_lookback_stateEbbT6_jjT7_P12ihipStream_tbENKUlT_T0_SH_SM_E_clISB_SB_SC_SC_EEDaS10_S11_SH_SM_EUlS10_E_NS1_11comp_targetILNS1_3genE0ELNS1_11target_archE4294967295ELNS1_3gpuE0ELNS1_3repE0EEENS1_47radix_sort_onesweep_sort_config_static_selectorELNS0_4arch9wavefront6targetE0EEEvSH_
    .private_segment_fixed_size: 0
    .sgpr_count:     30
    .sgpr_spill_count: 0
    .symbol:         _ZN7rocprim17ROCPRIM_400000_NS6detail17trampoline_kernelINS0_14default_configENS1_35radix_sort_onesweep_config_selectorI12hip_bfloat16NS0_10empty_typeEEEZZNS1_29radix_sort_onesweep_iterationIS3_Lb1EPKS5_PS5_PS6_SC_mNS0_19identity_decomposerENS1_16block_id_wrapperIjLb0EEEEE10hipError_tT1_PNSt15iterator_traitsISH_E10value_typeET2_T3_PNSI_ISN_E10value_typeET4_T5_PSS_ST_PNS1_23onesweep_lookback_stateEbbT6_jjT7_P12ihipStream_tbENKUlT_T0_SH_SM_E_clISB_SB_SC_SC_EEDaS10_S11_SH_SM_EUlS10_E_NS1_11comp_targetILNS1_3genE0ELNS1_11target_archE4294967295ELNS1_3gpuE0ELNS1_3repE0EEENS1_47radix_sort_onesweep_sort_config_static_selectorELNS0_4arch9wavefront6targetE0EEEvSH_.kd
    .uniform_work_group_size: 1
    .uses_dynamic_stack: false
    .vgpr_count:     65
    .vgpr_spill_count: 0
    .wavefront_size: 32
  - .args:
      - .offset:         0
        .size:           88
        .value_kind:     by_value
    .group_segment_fixed_size: 0
    .kernarg_segment_align: 8
    .kernarg_segment_size: 88
    .language:       OpenCL C
    .language_version:
      - 2
      - 0
    .max_flat_workgroup_size: 1024
    .name:           _ZN7rocprim17ROCPRIM_400000_NS6detail17trampoline_kernelINS0_14default_configENS1_35radix_sort_onesweep_config_selectorI12hip_bfloat16NS0_10empty_typeEEEZZNS1_29radix_sort_onesweep_iterationIS3_Lb1EPKS5_PS5_PS6_SC_mNS0_19identity_decomposerENS1_16block_id_wrapperIjLb0EEEEE10hipError_tT1_PNSt15iterator_traitsISH_E10value_typeET2_T3_PNSI_ISN_E10value_typeET4_T5_PSS_ST_PNS1_23onesweep_lookback_stateEbbT6_jjT7_P12ihipStream_tbENKUlT_T0_SH_SM_E_clISB_SB_SC_SC_EEDaS10_S11_SH_SM_EUlS10_E_NS1_11comp_targetILNS1_3genE6ELNS1_11target_archE950ELNS1_3gpuE13ELNS1_3repE0EEENS1_47radix_sort_onesweep_sort_config_static_selectorELNS0_4arch9wavefront6targetE0EEEvSH_
    .private_segment_fixed_size: 0
    .sgpr_count:     0
    .sgpr_spill_count: 0
    .symbol:         _ZN7rocprim17ROCPRIM_400000_NS6detail17trampoline_kernelINS0_14default_configENS1_35radix_sort_onesweep_config_selectorI12hip_bfloat16NS0_10empty_typeEEEZZNS1_29radix_sort_onesweep_iterationIS3_Lb1EPKS5_PS5_PS6_SC_mNS0_19identity_decomposerENS1_16block_id_wrapperIjLb0EEEEE10hipError_tT1_PNSt15iterator_traitsISH_E10value_typeET2_T3_PNSI_ISN_E10value_typeET4_T5_PSS_ST_PNS1_23onesweep_lookback_stateEbbT6_jjT7_P12ihipStream_tbENKUlT_T0_SH_SM_E_clISB_SB_SC_SC_EEDaS10_S11_SH_SM_EUlS10_E_NS1_11comp_targetILNS1_3genE6ELNS1_11target_archE950ELNS1_3gpuE13ELNS1_3repE0EEENS1_47radix_sort_onesweep_sort_config_static_selectorELNS0_4arch9wavefront6targetE0EEEvSH_.kd
    .uniform_work_group_size: 1
    .uses_dynamic_stack: false
    .vgpr_count:     0
    .vgpr_spill_count: 0
    .wavefront_size: 32
  - .args:
      - .offset:         0
        .size:           88
        .value_kind:     by_value
    .group_segment_fixed_size: 0
    .kernarg_segment_align: 8
    .kernarg_segment_size: 88
    .language:       OpenCL C
    .language_version:
      - 2
      - 0
    .max_flat_workgroup_size: 1024
    .name:           _ZN7rocprim17ROCPRIM_400000_NS6detail17trampoline_kernelINS0_14default_configENS1_35radix_sort_onesweep_config_selectorI12hip_bfloat16NS0_10empty_typeEEEZZNS1_29radix_sort_onesweep_iterationIS3_Lb1EPKS5_PS5_PS6_SC_mNS0_19identity_decomposerENS1_16block_id_wrapperIjLb0EEEEE10hipError_tT1_PNSt15iterator_traitsISH_E10value_typeET2_T3_PNSI_ISN_E10value_typeET4_T5_PSS_ST_PNS1_23onesweep_lookback_stateEbbT6_jjT7_P12ihipStream_tbENKUlT_T0_SH_SM_E_clISB_SB_SC_SC_EEDaS10_S11_SH_SM_EUlS10_E_NS1_11comp_targetILNS1_3genE5ELNS1_11target_archE942ELNS1_3gpuE9ELNS1_3repE0EEENS1_47radix_sort_onesweep_sort_config_static_selectorELNS0_4arch9wavefront6targetE0EEEvSH_
    .private_segment_fixed_size: 0
    .sgpr_count:     0
    .sgpr_spill_count: 0
    .symbol:         _ZN7rocprim17ROCPRIM_400000_NS6detail17trampoline_kernelINS0_14default_configENS1_35radix_sort_onesweep_config_selectorI12hip_bfloat16NS0_10empty_typeEEEZZNS1_29radix_sort_onesweep_iterationIS3_Lb1EPKS5_PS5_PS6_SC_mNS0_19identity_decomposerENS1_16block_id_wrapperIjLb0EEEEE10hipError_tT1_PNSt15iterator_traitsISH_E10value_typeET2_T3_PNSI_ISN_E10value_typeET4_T5_PSS_ST_PNS1_23onesweep_lookback_stateEbbT6_jjT7_P12ihipStream_tbENKUlT_T0_SH_SM_E_clISB_SB_SC_SC_EEDaS10_S11_SH_SM_EUlS10_E_NS1_11comp_targetILNS1_3genE5ELNS1_11target_archE942ELNS1_3gpuE9ELNS1_3repE0EEENS1_47radix_sort_onesweep_sort_config_static_selectorELNS0_4arch9wavefront6targetE0EEEvSH_.kd
    .uniform_work_group_size: 1
    .uses_dynamic_stack: false
    .vgpr_count:     0
    .vgpr_spill_count: 0
    .wavefront_size: 32
  - .args:
      - .offset:         0
        .size:           88
        .value_kind:     by_value
    .group_segment_fixed_size: 0
    .kernarg_segment_align: 8
    .kernarg_segment_size: 88
    .language:       OpenCL C
    .language_version:
      - 2
      - 0
    .max_flat_workgroup_size: 512
    .name:           _ZN7rocprim17ROCPRIM_400000_NS6detail17trampoline_kernelINS0_14default_configENS1_35radix_sort_onesweep_config_selectorI12hip_bfloat16NS0_10empty_typeEEEZZNS1_29radix_sort_onesweep_iterationIS3_Lb1EPKS5_PS5_PS6_SC_mNS0_19identity_decomposerENS1_16block_id_wrapperIjLb0EEEEE10hipError_tT1_PNSt15iterator_traitsISH_E10value_typeET2_T3_PNSI_ISN_E10value_typeET4_T5_PSS_ST_PNS1_23onesweep_lookback_stateEbbT6_jjT7_P12ihipStream_tbENKUlT_T0_SH_SM_E_clISB_SB_SC_SC_EEDaS10_S11_SH_SM_EUlS10_E_NS1_11comp_targetILNS1_3genE2ELNS1_11target_archE906ELNS1_3gpuE6ELNS1_3repE0EEENS1_47radix_sort_onesweep_sort_config_static_selectorELNS0_4arch9wavefront6targetE0EEEvSH_
    .private_segment_fixed_size: 0
    .sgpr_count:     0
    .sgpr_spill_count: 0
    .symbol:         _ZN7rocprim17ROCPRIM_400000_NS6detail17trampoline_kernelINS0_14default_configENS1_35radix_sort_onesweep_config_selectorI12hip_bfloat16NS0_10empty_typeEEEZZNS1_29radix_sort_onesweep_iterationIS3_Lb1EPKS5_PS5_PS6_SC_mNS0_19identity_decomposerENS1_16block_id_wrapperIjLb0EEEEE10hipError_tT1_PNSt15iterator_traitsISH_E10value_typeET2_T3_PNSI_ISN_E10value_typeET4_T5_PSS_ST_PNS1_23onesweep_lookback_stateEbbT6_jjT7_P12ihipStream_tbENKUlT_T0_SH_SM_E_clISB_SB_SC_SC_EEDaS10_S11_SH_SM_EUlS10_E_NS1_11comp_targetILNS1_3genE2ELNS1_11target_archE906ELNS1_3gpuE6ELNS1_3repE0EEENS1_47radix_sort_onesweep_sort_config_static_selectorELNS0_4arch9wavefront6targetE0EEEvSH_.kd
    .uniform_work_group_size: 1
    .uses_dynamic_stack: false
    .vgpr_count:     0
    .vgpr_spill_count: 0
    .wavefront_size: 32
  - .args:
      - .offset:         0
        .size:           88
        .value_kind:     by_value
    .group_segment_fixed_size: 0
    .kernarg_segment_align: 8
    .kernarg_segment_size: 88
    .language:       OpenCL C
    .language_version:
      - 2
      - 0
    .max_flat_workgroup_size: 1024
    .name:           _ZN7rocprim17ROCPRIM_400000_NS6detail17trampoline_kernelINS0_14default_configENS1_35radix_sort_onesweep_config_selectorI12hip_bfloat16NS0_10empty_typeEEEZZNS1_29radix_sort_onesweep_iterationIS3_Lb1EPKS5_PS5_PS6_SC_mNS0_19identity_decomposerENS1_16block_id_wrapperIjLb0EEEEE10hipError_tT1_PNSt15iterator_traitsISH_E10value_typeET2_T3_PNSI_ISN_E10value_typeET4_T5_PSS_ST_PNS1_23onesweep_lookback_stateEbbT6_jjT7_P12ihipStream_tbENKUlT_T0_SH_SM_E_clISB_SB_SC_SC_EEDaS10_S11_SH_SM_EUlS10_E_NS1_11comp_targetILNS1_3genE4ELNS1_11target_archE910ELNS1_3gpuE8ELNS1_3repE0EEENS1_47radix_sort_onesweep_sort_config_static_selectorELNS0_4arch9wavefront6targetE0EEEvSH_
    .private_segment_fixed_size: 0
    .sgpr_count:     0
    .sgpr_spill_count: 0
    .symbol:         _ZN7rocprim17ROCPRIM_400000_NS6detail17trampoline_kernelINS0_14default_configENS1_35radix_sort_onesweep_config_selectorI12hip_bfloat16NS0_10empty_typeEEEZZNS1_29radix_sort_onesweep_iterationIS3_Lb1EPKS5_PS5_PS6_SC_mNS0_19identity_decomposerENS1_16block_id_wrapperIjLb0EEEEE10hipError_tT1_PNSt15iterator_traitsISH_E10value_typeET2_T3_PNSI_ISN_E10value_typeET4_T5_PSS_ST_PNS1_23onesweep_lookback_stateEbbT6_jjT7_P12ihipStream_tbENKUlT_T0_SH_SM_E_clISB_SB_SC_SC_EEDaS10_S11_SH_SM_EUlS10_E_NS1_11comp_targetILNS1_3genE4ELNS1_11target_archE910ELNS1_3gpuE8ELNS1_3repE0EEENS1_47radix_sort_onesweep_sort_config_static_selectorELNS0_4arch9wavefront6targetE0EEEvSH_.kd
    .uniform_work_group_size: 1
    .uses_dynamic_stack: false
    .vgpr_count:     0
    .vgpr_spill_count: 0
    .wavefront_size: 32
  - .args:
      - .offset:         0
        .size:           88
        .value_kind:     by_value
    .group_segment_fixed_size: 0
    .kernarg_segment_align: 8
    .kernarg_segment_size: 88
    .language:       OpenCL C
    .language_version:
      - 2
      - 0
    .max_flat_workgroup_size: 512
    .name:           _ZN7rocprim17ROCPRIM_400000_NS6detail17trampoline_kernelINS0_14default_configENS1_35radix_sort_onesweep_config_selectorI12hip_bfloat16NS0_10empty_typeEEEZZNS1_29radix_sort_onesweep_iterationIS3_Lb1EPKS5_PS5_PS6_SC_mNS0_19identity_decomposerENS1_16block_id_wrapperIjLb0EEEEE10hipError_tT1_PNSt15iterator_traitsISH_E10value_typeET2_T3_PNSI_ISN_E10value_typeET4_T5_PSS_ST_PNS1_23onesweep_lookback_stateEbbT6_jjT7_P12ihipStream_tbENKUlT_T0_SH_SM_E_clISB_SB_SC_SC_EEDaS10_S11_SH_SM_EUlS10_E_NS1_11comp_targetILNS1_3genE3ELNS1_11target_archE908ELNS1_3gpuE7ELNS1_3repE0EEENS1_47radix_sort_onesweep_sort_config_static_selectorELNS0_4arch9wavefront6targetE0EEEvSH_
    .private_segment_fixed_size: 0
    .sgpr_count:     0
    .sgpr_spill_count: 0
    .symbol:         _ZN7rocprim17ROCPRIM_400000_NS6detail17trampoline_kernelINS0_14default_configENS1_35radix_sort_onesweep_config_selectorI12hip_bfloat16NS0_10empty_typeEEEZZNS1_29radix_sort_onesweep_iterationIS3_Lb1EPKS5_PS5_PS6_SC_mNS0_19identity_decomposerENS1_16block_id_wrapperIjLb0EEEEE10hipError_tT1_PNSt15iterator_traitsISH_E10value_typeET2_T3_PNSI_ISN_E10value_typeET4_T5_PSS_ST_PNS1_23onesweep_lookback_stateEbbT6_jjT7_P12ihipStream_tbENKUlT_T0_SH_SM_E_clISB_SB_SC_SC_EEDaS10_S11_SH_SM_EUlS10_E_NS1_11comp_targetILNS1_3genE3ELNS1_11target_archE908ELNS1_3gpuE7ELNS1_3repE0EEENS1_47radix_sort_onesweep_sort_config_static_selectorELNS0_4arch9wavefront6targetE0EEEvSH_.kd
    .uniform_work_group_size: 1
    .uses_dynamic_stack: false
    .vgpr_count:     0
    .vgpr_spill_count: 0
    .wavefront_size: 32
  - .args:
      - .offset:         0
        .size:           88
        .value_kind:     by_value
    .group_segment_fixed_size: 0
    .kernarg_segment_align: 8
    .kernarg_segment_size: 88
    .language:       OpenCL C
    .language_version:
      - 2
      - 0
    .max_flat_workgroup_size: 256
    .name:           _ZN7rocprim17ROCPRIM_400000_NS6detail17trampoline_kernelINS0_14default_configENS1_35radix_sort_onesweep_config_selectorI12hip_bfloat16NS0_10empty_typeEEEZZNS1_29radix_sort_onesweep_iterationIS3_Lb1EPKS5_PS5_PS6_SC_mNS0_19identity_decomposerENS1_16block_id_wrapperIjLb0EEEEE10hipError_tT1_PNSt15iterator_traitsISH_E10value_typeET2_T3_PNSI_ISN_E10value_typeET4_T5_PSS_ST_PNS1_23onesweep_lookback_stateEbbT6_jjT7_P12ihipStream_tbENKUlT_T0_SH_SM_E_clISB_SB_SC_SC_EEDaS10_S11_SH_SM_EUlS10_E_NS1_11comp_targetILNS1_3genE10ELNS1_11target_archE1201ELNS1_3gpuE5ELNS1_3repE0EEENS1_47radix_sort_onesweep_sort_config_static_selectorELNS0_4arch9wavefront6targetE0EEEvSH_
    .private_segment_fixed_size: 0
    .sgpr_count:     0
    .sgpr_spill_count: 0
    .symbol:         _ZN7rocprim17ROCPRIM_400000_NS6detail17trampoline_kernelINS0_14default_configENS1_35radix_sort_onesweep_config_selectorI12hip_bfloat16NS0_10empty_typeEEEZZNS1_29radix_sort_onesweep_iterationIS3_Lb1EPKS5_PS5_PS6_SC_mNS0_19identity_decomposerENS1_16block_id_wrapperIjLb0EEEEE10hipError_tT1_PNSt15iterator_traitsISH_E10value_typeET2_T3_PNSI_ISN_E10value_typeET4_T5_PSS_ST_PNS1_23onesweep_lookback_stateEbbT6_jjT7_P12ihipStream_tbENKUlT_T0_SH_SM_E_clISB_SB_SC_SC_EEDaS10_S11_SH_SM_EUlS10_E_NS1_11comp_targetILNS1_3genE10ELNS1_11target_archE1201ELNS1_3gpuE5ELNS1_3repE0EEENS1_47radix_sort_onesweep_sort_config_static_selectorELNS0_4arch9wavefront6targetE0EEEvSH_.kd
    .uniform_work_group_size: 1
    .uses_dynamic_stack: false
    .vgpr_count:     0
    .vgpr_spill_count: 0
    .wavefront_size: 32
  - .args:
      - .offset:         0
        .size:           88
        .value_kind:     by_value
    .group_segment_fixed_size: 0
    .kernarg_segment_align: 8
    .kernarg_segment_size: 88
    .language:       OpenCL C
    .language_version:
      - 2
      - 0
    .max_flat_workgroup_size: 256
    .name:           _ZN7rocprim17ROCPRIM_400000_NS6detail17trampoline_kernelINS0_14default_configENS1_35radix_sort_onesweep_config_selectorI12hip_bfloat16NS0_10empty_typeEEEZZNS1_29radix_sort_onesweep_iterationIS3_Lb1EPKS5_PS5_PS6_SC_mNS0_19identity_decomposerENS1_16block_id_wrapperIjLb0EEEEE10hipError_tT1_PNSt15iterator_traitsISH_E10value_typeET2_T3_PNSI_ISN_E10value_typeET4_T5_PSS_ST_PNS1_23onesweep_lookback_stateEbbT6_jjT7_P12ihipStream_tbENKUlT_T0_SH_SM_E_clISB_SB_SC_SC_EEDaS10_S11_SH_SM_EUlS10_E_NS1_11comp_targetILNS1_3genE9ELNS1_11target_archE1100ELNS1_3gpuE3ELNS1_3repE0EEENS1_47radix_sort_onesweep_sort_config_static_selectorELNS0_4arch9wavefront6targetE0EEEvSH_
    .private_segment_fixed_size: 0
    .sgpr_count:     0
    .sgpr_spill_count: 0
    .symbol:         _ZN7rocprim17ROCPRIM_400000_NS6detail17trampoline_kernelINS0_14default_configENS1_35radix_sort_onesweep_config_selectorI12hip_bfloat16NS0_10empty_typeEEEZZNS1_29radix_sort_onesweep_iterationIS3_Lb1EPKS5_PS5_PS6_SC_mNS0_19identity_decomposerENS1_16block_id_wrapperIjLb0EEEEE10hipError_tT1_PNSt15iterator_traitsISH_E10value_typeET2_T3_PNSI_ISN_E10value_typeET4_T5_PSS_ST_PNS1_23onesweep_lookback_stateEbbT6_jjT7_P12ihipStream_tbENKUlT_T0_SH_SM_E_clISB_SB_SC_SC_EEDaS10_S11_SH_SM_EUlS10_E_NS1_11comp_targetILNS1_3genE9ELNS1_11target_archE1100ELNS1_3gpuE3ELNS1_3repE0EEENS1_47radix_sort_onesweep_sort_config_static_selectorELNS0_4arch9wavefront6targetE0EEEvSH_.kd
    .uniform_work_group_size: 1
    .uses_dynamic_stack: false
    .vgpr_count:     0
    .vgpr_spill_count: 0
    .wavefront_size: 32
  - .args:
      - .offset:         0
        .size:           88
        .value_kind:     by_value
    .group_segment_fixed_size: 0
    .kernarg_segment_align: 8
    .kernarg_segment_size: 88
    .language:       OpenCL C
    .language_version:
      - 2
      - 0
    .max_flat_workgroup_size: 256
    .name:           _ZN7rocprim17ROCPRIM_400000_NS6detail17trampoline_kernelINS0_14default_configENS1_35radix_sort_onesweep_config_selectorI12hip_bfloat16NS0_10empty_typeEEEZZNS1_29radix_sort_onesweep_iterationIS3_Lb1EPKS5_PS5_PS6_SC_mNS0_19identity_decomposerENS1_16block_id_wrapperIjLb0EEEEE10hipError_tT1_PNSt15iterator_traitsISH_E10value_typeET2_T3_PNSI_ISN_E10value_typeET4_T5_PSS_ST_PNS1_23onesweep_lookback_stateEbbT6_jjT7_P12ihipStream_tbENKUlT_T0_SH_SM_E_clISB_SB_SC_SC_EEDaS10_S11_SH_SM_EUlS10_E_NS1_11comp_targetILNS1_3genE8ELNS1_11target_archE1030ELNS1_3gpuE2ELNS1_3repE0EEENS1_47radix_sort_onesweep_sort_config_static_selectorELNS0_4arch9wavefront6targetE0EEEvSH_
    .private_segment_fixed_size: 0
    .sgpr_count:     0
    .sgpr_spill_count: 0
    .symbol:         _ZN7rocprim17ROCPRIM_400000_NS6detail17trampoline_kernelINS0_14default_configENS1_35radix_sort_onesweep_config_selectorI12hip_bfloat16NS0_10empty_typeEEEZZNS1_29radix_sort_onesweep_iterationIS3_Lb1EPKS5_PS5_PS6_SC_mNS0_19identity_decomposerENS1_16block_id_wrapperIjLb0EEEEE10hipError_tT1_PNSt15iterator_traitsISH_E10value_typeET2_T3_PNSI_ISN_E10value_typeET4_T5_PSS_ST_PNS1_23onesweep_lookback_stateEbbT6_jjT7_P12ihipStream_tbENKUlT_T0_SH_SM_E_clISB_SB_SC_SC_EEDaS10_S11_SH_SM_EUlS10_E_NS1_11comp_targetILNS1_3genE8ELNS1_11target_archE1030ELNS1_3gpuE2ELNS1_3repE0EEENS1_47radix_sort_onesweep_sort_config_static_selectorELNS0_4arch9wavefront6targetE0EEEvSH_.kd
    .uniform_work_group_size: 1
    .uses_dynamic_stack: false
    .vgpr_count:     0
    .vgpr_spill_count: 0
    .wavefront_size: 32
  - .args:
      - .offset:         0
        .size:           48
        .value_kind:     by_value
      - .offset:         48
        .size:           4
        .value_kind:     hidden_block_count_x
      - .offset:         52
        .size:           4
        .value_kind:     hidden_block_count_y
      - .offset:         56
        .size:           4
        .value_kind:     hidden_block_count_z
      - .offset:         60
        .size:           2
        .value_kind:     hidden_group_size_x
      - .offset:         62
        .size:           2
        .value_kind:     hidden_group_size_y
      - .offset:         64
        .size:           2
        .value_kind:     hidden_group_size_z
      - .offset:         66
        .size:           2
        .value_kind:     hidden_remainder_x
      - .offset:         68
        .size:           2
        .value_kind:     hidden_remainder_y
      - .offset:         70
        .size:           2
        .value_kind:     hidden_remainder_z
      - .offset:         88
        .size:           8
        .value_kind:     hidden_global_offset_x
      - .offset:         96
        .size:           8
        .value_kind:     hidden_global_offset_y
      - .offset:         104
        .size:           8
        .value_kind:     hidden_global_offset_z
      - .offset:         112
        .size:           2
        .value_kind:     hidden_grid_dims
    .group_segment_fixed_size: 8224
    .kernarg_segment_align: 8
    .kernarg_segment_size: 304
    .language:       OpenCL C
    .language_version:
      - 2
      - 0
    .max_flat_workgroup_size: 256
    .name:           _ZN7rocprim17ROCPRIM_400000_NS6detail17trampoline_kernelINS0_13kernel_configILj256ELj4ELj4294967295EEENS1_37radix_sort_block_sort_config_selectorI12hip_bfloat16NS0_10empty_typeEEEZNS1_21radix_sort_block_sortIS4_Lb0EPKS6_PS6_PS7_SD_NS0_19identity_decomposerEEE10hipError_tT1_T2_T3_T4_jRjT5_jjP12ihipStream_tbEUlT_E_NS1_11comp_targetILNS1_3genE0ELNS1_11target_archE4294967295ELNS1_3gpuE0ELNS1_3repE0EEENS1_44radix_sort_block_sort_config_static_selectorELNS0_4arch9wavefront6targetE0EEEvSG_
    .private_segment_fixed_size: 0
    .sgpr_count:     33
    .sgpr_spill_count: 0
    .symbol:         _ZN7rocprim17ROCPRIM_400000_NS6detail17trampoline_kernelINS0_13kernel_configILj256ELj4ELj4294967295EEENS1_37radix_sort_block_sort_config_selectorI12hip_bfloat16NS0_10empty_typeEEEZNS1_21radix_sort_block_sortIS4_Lb0EPKS6_PS6_PS7_SD_NS0_19identity_decomposerEEE10hipError_tT1_T2_T3_T4_jRjT5_jjP12ihipStream_tbEUlT_E_NS1_11comp_targetILNS1_3genE0ELNS1_11target_archE4294967295ELNS1_3gpuE0ELNS1_3repE0EEENS1_44radix_sort_block_sort_config_static_selectorELNS0_4arch9wavefront6targetE0EEEvSG_.kd
    .uniform_work_group_size: 1
    .uses_dynamic_stack: false
    .vgpr_count:     38
    .vgpr_spill_count: 0
    .wavefront_size: 32
  - .args:
      - .offset:         0
        .size:           48
        .value_kind:     by_value
    .group_segment_fixed_size: 0
    .kernarg_segment_align: 8
    .kernarg_segment_size: 48
    .language:       OpenCL C
    .language_version:
      - 2
      - 0
    .max_flat_workgroup_size: 256
    .name:           _ZN7rocprim17ROCPRIM_400000_NS6detail17trampoline_kernelINS0_13kernel_configILj256ELj4ELj4294967295EEENS1_37radix_sort_block_sort_config_selectorI12hip_bfloat16NS0_10empty_typeEEEZNS1_21radix_sort_block_sortIS4_Lb0EPKS6_PS6_PS7_SD_NS0_19identity_decomposerEEE10hipError_tT1_T2_T3_T4_jRjT5_jjP12ihipStream_tbEUlT_E_NS1_11comp_targetILNS1_3genE5ELNS1_11target_archE942ELNS1_3gpuE9ELNS1_3repE0EEENS1_44radix_sort_block_sort_config_static_selectorELNS0_4arch9wavefront6targetE0EEEvSG_
    .private_segment_fixed_size: 0
    .sgpr_count:     0
    .sgpr_spill_count: 0
    .symbol:         _ZN7rocprim17ROCPRIM_400000_NS6detail17trampoline_kernelINS0_13kernel_configILj256ELj4ELj4294967295EEENS1_37radix_sort_block_sort_config_selectorI12hip_bfloat16NS0_10empty_typeEEEZNS1_21radix_sort_block_sortIS4_Lb0EPKS6_PS6_PS7_SD_NS0_19identity_decomposerEEE10hipError_tT1_T2_T3_T4_jRjT5_jjP12ihipStream_tbEUlT_E_NS1_11comp_targetILNS1_3genE5ELNS1_11target_archE942ELNS1_3gpuE9ELNS1_3repE0EEENS1_44radix_sort_block_sort_config_static_selectorELNS0_4arch9wavefront6targetE0EEEvSG_.kd
    .uniform_work_group_size: 1
    .uses_dynamic_stack: false
    .vgpr_count:     0
    .vgpr_spill_count: 0
    .wavefront_size: 32
  - .args:
      - .offset:         0
        .size:           48
        .value_kind:     by_value
    .group_segment_fixed_size: 0
    .kernarg_segment_align: 8
    .kernarg_segment_size: 48
    .language:       OpenCL C
    .language_version:
      - 2
      - 0
    .max_flat_workgroup_size: 256
    .name:           _ZN7rocprim17ROCPRIM_400000_NS6detail17trampoline_kernelINS0_13kernel_configILj256ELj4ELj4294967295EEENS1_37radix_sort_block_sort_config_selectorI12hip_bfloat16NS0_10empty_typeEEEZNS1_21radix_sort_block_sortIS4_Lb0EPKS6_PS6_PS7_SD_NS0_19identity_decomposerEEE10hipError_tT1_T2_T3_T4_jRjT5_jjP12ihipStream_tbEUlT_E_NS1_11comp_targetILNS1_3genE4ELNS1_11target_archE910ELNS1_3gpuE8ELNS1_3repE0EEENS1_44radix_sort_block_sort_config_static_selectorELNS0_4arch9wavefront6targetE0EEEvSG_
    .private_segment_fixed_size: 0
    .sgpr_count:     0
    .sgpr_spill_count: 0
    .symbol:         _ZN7rocprim17ROCPRIM_400000_NS6detail17trampoline_kernelINS0_13kernel_configILj256ELj4ELj4294967295EEENS1_37radix_sort_block_sort_config_selectorI12hip_bfloat16NS0_10empty_typeEEEZNS1_21radix_sort_block_sortIS4_Lb0EPKS6_PS6_PS7_SD_NS0_19identity_decomposerEEE10hipError_tT1_T2_T3_T4_jRjT5_jjP12ihipStream_tbEUlT_E_NS1_11comp_targetILNS1_3genE4ELNS1_11target_archE910ELNS1_3gpuE8ELNS1_3repE0EEENS1_44radix_sort_block_sort_config_static_selectorELNS0_4arch9wavefront6targetE0EEEvSG_.kd
    .uniform_work_group_size: 1
    .uses_dynamic_stack: false
    .vgpr_count:     0
    .vgpr_spill_count: 0
    .wavefront_size: 32
  - .args:
      - .offset:         0
        .size:           48
        .value_kind:     by_value
    .group_segment_fixed_size: 0
    .kernarg_segment_align: 8
    .kernarg_segment_size: 48
    .language:       OpenCL C
    .language_version:
      - 2
      - 0
    .max_flat_workgroup_size: 256
    .name:           _ZN7rocprim17ROCPRIM_400000_NS6detail17trampoline_kernelINS0_13kernel_configILj256ELj4ELj4294967295EEENS1_37radix_sort_block_sort_config_selectorI12hip_bfloat16NS0_10empty_typeEEEZNS1_21radix_sort_block_sortIS4_Lb0EPKS6_PS6_PS7_SD_NS0_19identity_decomposerEEE10hipError_tT1_T2_T3_T4_jRjT5_jjP12ihipStream_tbEUlT_E_NS1_11comp_targetILNS1_3genE3ELNS1_11target_archE908ELNS1_3gpuE7ELNS1_3repE0EEENS1_44radix_sort_block_sort_config_static_selectorELNS0_4arch9wavefront6targetE0EEEvSG_
    .private_segment_fixed_size: 0
    .sgpr_count:     0
    .sgpr_spill_count: 0
    .symbol:         _ZN7rocprim17ROCPRIM_400000_NS6detail17trampoline_kernelINS0_13kernel_configILj256ELj4ELj4294967295EEENS1_37radix_sort_block_sort_config_selectorI12hip_bfloat16NS0_10empty_typeEEEZNS1_21radix_sort_block_sortIS4_Lb0EPKS6_PS6_PS7_SD_NS0_19identity_decomposerEEE10hipError_tT1_T2_T3_T4_jRjT5_jjP12ihipStream_tbEUlT_E_NS1_11comp_targetILNS1_3genE3ELNS1_11target_archE908ELNS1_3gpuE7ELNS1_3repE0EEENS1_44radix_sort_block_sort_config_static_selectorELNS0_4arch9wavefront6targetE0EEEvSG_.kd
    .uniform_work_group_size: 1
    .uses_dynamic_stack: false
    .vgpr_count:     0
    .vgpr_spill_count: 0
    .wavefront_size: 32
  - .args:
      - .offset:         0
        .size:           48
        .value_kind:     by_value
    .group_segment_fixed_size: 0
    .kernarg_segment_align: 8
    .kernarg_segment_size: 48
    .language:       OpenCL C
    .language_version:
      - 2
      - 0
    .max_flat_workgroup_size: 256
    .name:           _ZN7rocprim17ROCPRIM_400000_NS6detail17trampoline_kernelINS0_13kernel_configILj256ELj4ELj4294967295EEENS1_37radix_sort_block_sort_config_selectorI12hip_bfloat16NS0_10empty_typeEEEZNS1_21radix_sort_block_sortIS4_Lb0EPKS6_PS6_PS7_SD_NS0_19identity_decomposerEEE10hipError_tT1_T2_T3_T4_jRjT5_jjP12ihipStream_tbEUlT_E_NS1_11comp_targetILNS1_3genE2ELNS1_11target_archE906ELNS1_3gpuE6ELNS1_3repE0EEENS1_44radix_sort_block_sort_config_static_selectorELNS0_4arch9wavefront6targetE0EEEvSG_
    .private_segment_fixed_size: 0
    .sgpr_count:     0
    .sgpr_spill_count: 0
    .symbol:         _ZN7rocprim17ROCPRIM_400000_NS6detail17trampoline_kernelINS0_13kernel_configILj256ELj4ELj4294967295EEENS1_37radix_sort_block_sort_config_selectorI12hip_bfloat16NS0_10empty_typeEEEZNS1_21radix_sort_block_sortIS4_Lb0EPKS6_PS6_PS7_SD_NS0_19identity_decomposerEEE10hipError_tT1_T2_T3_T4_jRjT5_jjP12ihipStream_tbEUlT_E_NS1_11comp_targetILNS1_3genE2ELNS1_11target_archE906ELNS1_3gpuE6ELNS1_3repE0EEENS1_44radix_sort_block_sort_config_static_selectorELNS0_4arch9wavefront6targetE0EEEvSG_.kd
    .uniform_work_group_size: 1
    .uses_dynamic_stack: false
    .vgpr_count:     0
    .vgpr_spill_count: 0
    .wavefront_size: 32
  - .args:
      - .offset:         0
        .size:           48
        .value_kind:     by_value
    .group_segment_fixed_size: 0
    .kernarg_segment_align: 8
    .kernarg_segment_size: 48
    .language:       OpenCL C
    .language_version:
      - 2
      - 0
    .max_flat_workgroup_size: 256
    .name:           _ZN7rocprim17ROCPRIM_400000_NS6detail17trampoline_kernelINS0_13kernel_configILj256ELj4ELj4294967295EEENS1_37radix_sort_block_sort_config_selectorI12hip_bfloat16NS0_10empty_typeEEEZNS1_21radix_sort_block_sortIS4_Lb0EPKS6_PS6_PS7_SD_NS0_19identity_decomposerEEE10hipError_tT1_T2_T3_T4_jRjT5_jjP12ihipStream_tbEUlT_E_NS1_11comp_targetILNS1_3genE10ELNS1_11target_archE1201ELNS1_3gpuE5ELNS1_3repE0EEENS1_44radix_sort_block_sort_config_static_selectorELNS0_4arch9wavefront6targetE0EEEvSG_
    .private_segment_fixed_size: 0
    .sgpr_count:     0
    .sgpr_spill_count: 0
    .symbol:         _ZN7rocprim17ROCPRIM_400000_NS6detail17trampoline_kernelINS0_13kernel_configILj256ELj4ELj4294967295EEENS1_37radix_sort_block_sort_config_selectorI12hip_bfloat16NS0_10empty_typeEEEZNS1_21radix_sort_block_sortIS4_Lb0EPKS6_PS6_PS7_SD_NS0_19identity_decomposerEEE10hipError_tT1_T2_T3_T4_jRjT5_jjP12ihipStream_tbEUlT_E_NS1_11comp_targetILNS1_3genE10ELNS1_11target_archE1201ELNS1_3gpuE5ELNS1_3repE0EEENS1_44radix_sort_block_sort_config_static_selectorELNS0_4arch9wavefront6targetE0EEEvSG_.kd
    .uniform_work_group_size: 1
    .uses_dynamic_stack: false
    .vgpr_count:     0
    .vgpr_spill_count: 0
    .wavefront_size: 32
  - .args:
      - .offset:         0
        .size:           48
        .value_kind:     by_value
    .group_segment_fixed_size: 0
    .kernarg_segment_align: 8
    .kernarg_segment_size: 48
    .language:       OpenCL C
    .language_version:
      - 2
      - 0
    .max_flat_workgroup_size: 256
    .name:           _ZN7rocprim17ROCPRIM_400000_NS6detail17trampoline_kernelINS0_13kernel_configILj256ELj4ELj4294967295EEENS1_37radix_sort_block_sort_config_selectorI12hip_bfloat16NS0_10empty_typeEEEZNS1_21radix_sort_block_sortIS4_Lb0EPKS6_PS6_PS7_SD_NS0_19identity_decomposerEEE10hipError_tT1_T2_T3_T4_jRjT5_jjP12ihipStream_tbEUlT_E_NS1_11comp_targetILNS1_3genE10ELNS1_11target_archE1200ELNS1_3gpuE4ELNS1_3repE0EEENS1_44radix_sort_block_sort_config_static_selectorELNS0_4arch9wavefront6targetE0EEEvSG_
    .private_segment_fixed_size: 0
    .sgpr_count:     0
    .sgpr_spill_count: 0
    .symbol:         _ZN7rocprim17ROCPRIM_400000_NS6detail17trampoline_kernelINS0_13kernel_configILj256ELj4ELj4294967295EEENS1_37radix_sort_block_sort_config_selectorI12hip_bfloat16NS0_10empty_typeEEEZNS1_21radix_sort_block_sortIS4_Lb0EPKS6_PS6_PS7_SD_NS0_19identity_decomposerEEE10hipError_tT1_T2_T3_T4_jRjT5_jjP12ihipStream_tbEUlT_E_NS1_11comp_targetILNS1_3genE10ELNS1_11target_archE1200ELNS1_3gpuE4ELNS1_3repE0EEENS1_44radix_sort_block_sort_config_static_selectorELNS0_4arch9wavefront6targetE0EEEvSG_.kd
    .uniform_work_group_size: 1
    .uses_dynamic_stack: false
    .vgpr_count:     0
    .vgpr_spill_count: 0
    .wavefront_size: 32
  - .args:
      - .offset:         0
        .size:           48
        .value_kind:     by_value
    .group_segment_fixed_size: 0
    .kernarg_segment_align: 8
    .kernarg_segment_size: 48
    .language:       OpenCL C
    .language_version:
      - 2
      - 0
    .max_flat_workgroup_size: 256
    .name:           _ZN7rocprim17ROCPRIM_400000_NS6detail17trampoline_kernelINS0_13kernel_configILj256ELj4ELj4294967295EEENS1_37radix_sort_block_sort_config_selectorI12hip_bfloat16NS0_10empty_typeEEEZNS1_21radix_sort_block_sortIS4_Lb0EPKS6_PS6_PS7_SD_NS0_19identity_decomposerEEE10hipError_tT1_T2_T3_T4_jRjT5_jjP12ihipStream_tbEUlT_E_NS1_11comp_targetILNS1_3genE9ELNS1_11target_archE1100ELNS1_3gpuE3ELNS1_3repE0EEENS1_44radix_sort_block_sort_config_static_selectorELNS0_4arch9wavefront6targetE0EEEvSG_
    .private_segment_fixed_size: 0
    .sgpr_count:     0
    .sgpr_spill_count: 0
    .symbol:         _ZN7rocprim17ROCPRIM_400000_NS6detail17trampoline_kernelINS0_13kernel_configILj256ELj4ELj4294967295EEENS1_37radix_sort_block_sort_config_selectorI12hip_bfloat16NS0_10empty_typeEEEZNS1_21radix_sort_block_sortIS4_Lb0EPKS6_PS6_PS7_SD_NS0_19identity_decomposerEEE10hipError_tT1_T2_T3_T4_jRjT5_jjP12ihipStream_tbEUlT_E_NS1_11comp_targetILNS1_3genE9ELNS1_11target_archE1100ELNS1_3gpuE3ELNS1_3repE0EEENS1_44radix_sort_block_sort_config_static_selectorELNS0_4arch9wavefront6targetE0EEEvSG_.kd
    .uniform_work_group_size: 1
    .uses_dynamic_stack: false
    .vgpr_count:     0
    .vgpr_spill_count: 0
    .wavefront_size: 32
  - .args:
      - .offset:         0
        .size:           48
        .value_kind:     by_value
    .group_segment_fixed_size: 0
    .kernarg_segment_align: 8
    .kernarg_segment_size: 48
    .language:       OpenCL C
    .language_version:
      - 2
      - 0
    .max_flat_workgroup_size: 256
    .name:           _ZN7rocprim17ROCPRIM_400000_NS6detail17trampoline_kernelINS0_13kernel_configILj256ELj4ELj4294967295EEENS1_37radix_sort_block_sort_config_selectorI12hip_bfloat16NS0_10empty_typeEEEZNS1_21radix_sort_block_sortIS4_Lb0EPKS6_PS6_PS7_SD_NS0_19identity_decomposerEEE10hipError_tT1_T2_T3_T4_jRjT5_jjP12ihipStream_tbEUlT_E_NS1_11comp_targetILNS1_3genE8ELNS1_11target_archE1030ELNS1_3gpuE2ELNS1_3repE0EEENS1_44radix_sort_block_sort_config_static_selectorELNS0_4arch9wavefront6targetE0EEEvSG_
    .private_segment_fixed_size: 0
    .sgpr_count:     0
    .sgpr_spill_count: 0
    .symbol:         _ZN7rocprim17ROCPRIM_400000_NS6detail17trampoline_kernelINS0_13kernel_configILj256ELj4ELj4294967295EEENS1_37radix_sort_block_sort_config_selectorI12hip_bfloat16NS0_10empty_typeEEEZNS1_21radix_sort_block_sortIS4_Lb0EPKS6_PS6_PS7_SD_NS0_19identity_decomposerEEE10hipError_tT1_T2_T3_T4_jRjT5_jjP12ihipStream_tbEUlT_E_NS1_11comp_targetILNS1_3genE8ELNS1_11target_archE1030ELNS1_3gpuE2ELNS1_3repE0EEENS1_44radix_sort_block_sort_config_static_selectorELNS0_4arch9wavefront6targetE0EEEvSG_.kd
    .uniform_work_group_size: 1
    .uses_dynamic_stack: false
    .vgpr_count:     0
    .vgpr_spill_count: 0
    .wavefront_size: 32
  - .args:
      - .offset:         0
        .size:           40
        .value_kind:     by_value
    .group_segment_fixed_size: 0
    .kernarg_segment_align: 8
    .kernarg_segment_size: 40
    .language:       OpenCL C
    .language_version:
      - 2
      - 0
    .max_flat_workgroup_size: 128
    .name:           _ZN7rocprim17ROCPRIM_400000_NS6detail17trampoline_kernelINS0_14default_configENS1_38merge_sort_block_merge_config_selectorI12hip_bfloat16NS0_10empty_typeEEEZZNS1_27merge_sort_block_merge_implIS3_PS5_PS6_jNS1_19radix_merge_compareILb0ELb0ES5_NS0_19identity_decomposerEEEEE10hipError_tT0_T1_T2_jT3_P12ihipStream_tbPNSt15iterator_traitsISF_E10value_typeEPNSL_ISG_E10value_typeEPSH_NS1_7vsmem_tEENKUlT_SF_SG_SH_E_clIS9_S9_SA_SA_EESE_SU_SF_SG_SH_EUlSU_E_NS1_11comp_targetILNS1_3genE0ELNS1_11target_archE4294967295ELNS1_3gpuE0ELNS1_3repE0EEENS1_48merge_mergepath_partition_config_static_selectorELNS0_4arch9wavefront6targetE0EEEvSG_
    .private_segment_fixed_size: 0
    .sgpr_count:     8
    .sgpr_spill_count: 0
    .symbol:         _ZN7rocprim17ROCPRIM_400000_NS6detail17trampoline_kernelINS0_14default_configENS1_38merge_sort_block_merge_config_selectorI12hip_bfloat16NS0_10empty_typeEEEZZNS1_27merge_sort_block_merge_implIS3_PS5_PS6_jNS1_19radix_merge_compareILb0ELb0ES5_NS0_19identity_decomposerEEEEE10hipError_tT0_T1_T2_jT3_P12ihipStream_tbPNSt15iterator_traitsISF_E10value_typeEPNSL_ISG_E10value_typeEPSH_NS1_7vsmem_tEENKUlT_SF_SG_SH_E_clIS9_S9_SA_SA_EESE_SU_SF_SG_SH_EUlSU_E_NS1_11comp_targetILNS1_3genE0ELNS1_11target_archE4294967295ELNS1_3gpuE0ELNS1_3repE0EEENS1_48merge_mergepath_partition_config_static_selectorELNS0_4arch9wavefront6targetE0EEEvSG_.kd
    .uniform_work_group_size: 1
    .uses_dynamic_stack: false
    .vgpr_count:     15
    .vgpr_spill_count: 0
    .wavefront_size: 32
  - .args:
      - .offset:         0
        .size:           40
        .value_kind:     by_value
    .group_segment_fixed_size: 0
    .kernarg_segment_align: 8
    .kernarg_segment_size: 40
    .language:       OpenCL C
    .language_version:
      - 2
      - 0
    .max_flat_workgroup_size: 128
    .name:           _ZN7rocprim17ROCPRIM_400000_NS6detail17trampoline_kernelINS0_14default_configENS1_38merge_sort_block_merge_config_selectorI12hip_bfloat16NS0_10empty_typeEEEZZNS1_27merge_sort_block_merge_implIS3_PS5_PS6_jNS1_19radix_merge_compareILb0ELb0ES5_NS0_19identity_decomposerEEEEE10hipError_tT0_T1_T2_jT3_P12ihipStream_tbPNSt15iterator_traitsISF_E10value_typeEPNSL_ISG_E10value_typeEPSH_NS1_7vsmem_tEENKUlT_SF_SG_SH_E_clIS9_S9_SA_SA_EESE_SU_SF_SG_SH_EUlSU_E_NS1_11comp_targetILNS1_3genE10ELNS1_11target_archE1201ELNS1_3gpuE5ELNS1_3repE0EEENS1_48merge_mergepath_partition_config_static_selectorELNS0_4arch9wavefront6targetE0EEEvSG_
    .private_segment_fixed_size: 0
    .sgpr_count:     0
    .sgpr_spill_count: 0
    .symbol:         _ZN7rocprim17ROCPRIM_400000_NS6detail17trampoline_kernelINS0_14default_configENS1_38merge_sort_block_merge_config_selectorI12hip_bfloat16NS0_10empty_typeEEEZZNS1_27merge_sort_block_merge_implIS3_PS5_PS6_jNS1_19radix_merge_compareILb0ELb0ES5_NS0_19identity_decomposerEEEEE10hipError_tT0_T1_T2_jT3_P12ihipStream_tbPNSt15iterator_traitsISF_E10value_typeEPNSL_ISG_E10value_typeEPSH_NS1_7vsmem_tEENKUlT_SF_SG_SH_E_clIS9_S9_SA_SA_EESE_SU_SF_SG_SH_EUlSU_E_NS1_11comp_targetILNS1_3genE10ELNS1_11target_archE1201ELNS1_3gpuE5ELNS1_3repE0EEENS1_48merge_mergepath_partition_config_static_selectorELNS0_4arch9wavefront6targetE0EEEvSG_.kd
    .uniform_work_group_size: 1
    .uses_dynamic_stack: false
    .vgpr_count:     0
    .vgpr_spill_count: 0
    .wavefront_size: 32
  - .args:
      - .offset:         0
        .size:           40
        .value_kind:     by_value
    .group_segment_fixed_size: 0
    .kernarg_segment_align: 8
    .kernarg_segment_size: 40
    .language:       OpenCL C
    .language_version:
      - 2
      - 0
    .max_flat_workgroup_size: 128
    .name:           _ZN7rocprim17ROCPRIM_400000_NS6detail17trampoline_kernelINS0_14default_configENS1_38merge_sort_block_merge_config_selectorI12hip_bfloat16NS0_10empty_typeEEEZZNS1_27merge_sort_block_merge_implIS3_PS5_PS6_jNS1_19radix_merge_compareILb0ELb0ES5_NS0_19identity_decomposerEEEEE10hipError_tT0_T1_T2_jT3_P12ihipStream_tbPNSt15iterator_traitsISF_E10value_typeEPNSL_ISG_E10value_typeEPSH_NS1_7vsmem_tEENKUlT_SF_SG_SH_E_clIS9_S9_SA_SA_EESE_SU_SF_SG_SH_EUlSU_E_NS1_11comp_targetILNS1_3genE5ELNS1_11target_archE942ELNS1_3gpuE9ELNS1_3repE0EEENS1_48merge_mergepath_partition_config_static_selectorELNS0_4arch9wavefront6targetE0EEEvSG_
    .private_segment_fixed_size: 0
    .sgpr_count:     0
    .sgpr_spill_count: 0
    .symbol:         _ZN7rocprim17ROCPRIM_400000_NS6detail17trampoline_kernelINS0_14default_configENS1_38merge_sort_block_merge_config_selectorI12hip_bfloat16NS0_10empty_typeEEEZZNS1_27merge_sort_block_merge_implIS3_PS5_PS6_jNS1_19radix_merge_compareILb0ELb0ES5_NS0_19identity_decomposerEEEEE10hipError_tT0_T1_T2_jT3_P12ihipStream_tbPNSt15iterator_traitsISF_E10value_typeEPNSL_ISG_E10value_typeEPSH_NS1_7vsmem_tEENKUlT_SF_SG_SH_E_clIS9_S9_SA_SA_EESE_SU_SF_SG_SH_EUlSU_E_NS1_11comp_targetILNS1_3genE5ELNS1_11target_archE942ELNS1_3gpuE9ELNS1_3repE0EEENS1_48merge_mergepath_partition_config_static_selectorELNS0_4arch9wavefront6targetE0EEEvSG_.kd
    .uniform_work_group_size: 1
    .uses_dynamic_stack: false
    .vgpr_count:     0
    .vgpr_spill_count: 0
    .wavefront_size: 32
  - .args:
      - .offset:         0
        .size:           40
        .value_kind:     by_value
    .group_segment_fixed_size: 0
    .kernarg_segment_align: 8
    .kernarg_segment_size: 40
    .language:       OpenCL C
    .language_version:
      - 2
      - 0
    .max_flat_workgroup_size: 128
    .name:           _ZN7rocprim17ROCPRIM_400000_NS6detail17trampoline_kernelINS0_14default_configENS1_38merge_sort_block_merge_config_selectorI12hip_bfloat16NS0_10empty_typeEEEZZNS1_27merge_sort_block_merge_implIS3_PS5_PS6_jNS1_19radix_merge_compareILb0ELb0ES5_NS0_19identity_decomposerEEEEE10hipError_tT0_T1_T2_jT3_P12ihipStream_tbPNSt15iterator_traitsISF_E10value_typeEPNSL_ISG_E10value_typeEPSH_NS1_7vsmem_tEENKUlT_SF_SG_SH_E_clIS9_S9_SA_SA_EESE_SU_SF_SG_SH_EUlSU_E_NS1_11comp_targetILNS1_3genE4ELNS1_11target_archE910ELNS1_3gpuE8ELNS1_3repE0EEENS1_48merge_mergepath_partition_config_static_selectorELNS0_4arch9wavefront6targetE0EEEvSG_
    .private_segment_fixed_size: 0
    .sgpr_count:     0
    .sgpr_spill_count: 0
    .symbol:         _ZN7rocprim17ROCPRIM_400000_NS6detail17trampoline_kernelINS0_14default_configENS1_38merge_sort_block_merge_config_selectorI12hip_bfloat16NS0_10empty_typeEEEZZNS1_27merge_sort_block_merge_implIS3_PS5_PS6_jNS1_19radix_merge_compareILb0ELb0ES5_NS0_19identity_decomposerEEEEE10hipError_tT0_T1_T2_jT3_P12ihipStream_tbPNSt15iterator_traitsISF_E10value_typeEPNSL_ISG_E10value_typeEPSH_NS1_7vsmem_tEENKUlT_SF_SG_SH_E_clIS9_S9_SA_SA_EESE_SU_SF_SG_SH_EUlSU_E_NS1_11comp_targetILNS1_3genE4ELNS1_11target_archE910ELNS1_3gpuE8ELNS1_3repE0EEENS1_48merge_mergepath_partition_config_static_selectorELNS0_4arch9wavefront6targetE0EEEvSG_.kd
    .uniform_work_group_size: 1
    .uses_dynamic_stack: false
    .vgpr_count:     0
    .vgpr_spill_count: 0
    .wavefront_size: 32
  - .args:
      - .offset:         0
        .size:           40
        .value_kind:     by_value
    .group_segment_fixed_size: 0
    .kernarg_segment_align: 8
    .kernarg_segment_size: 40
    .language:       OpenCL C
    .language_version:
      - 2
      - 0
    .max_flat_workgroup_size: 128
    .name:           _ZN7rocprim17ROCPRIM_400000_NS6detail17trampoline_kernelINS0_14default_configENS1_38merge_sort_block_merge_config_selectorI12hip_bfloat16NS0_10empty_typeEEEZZNS1_27merge_sort_block_merge_implIS3_PS5_PS6_jNS1_19radix_merge_compareILb0ELb0ES5_NS0_19identity_decomposerEEEEE10hipError_tT0_T1_T2_jT3_P12ihipStream_tbPNSt15iterator_traitsISF_E10value_typeEPNSL_ISG_E10value_typeEPSH_NS1_7vsmem_tEENKUlT_SF_SG_SH_E_clIS9_S9_SA_SA_EESE_SU_SF_SG_SH_EUlSU_E_NS1_11comp_targetILNS1_3genE3ELNS1_11target_archE908ELNS1_3gpuE7ELNS1_3repE0EEENS1_48merge_mergepath_partition_config_static_selectorELNS0_4arch9wavefront6targetE0EEEvSG_
    .private_segment_fixed_size: 0
    .sgpr_count:     0
    .sgpr_spill_count: 0
    .symbol:         _ZN7rocprim17ROCPRIM_400000_NS6detail17trampoline_kernelINS0_14default_configENS1_38merge_sort_block_merge_config_selectorI12hip_bfloat16NS0_10empty_typeEEEZZNS1_27merge_sort_block_merge_implIS3_PS5_PS6_jNS1_19radix_merge_compareILb0ELb0ES5_NS0_19identity_decomposerEEEEE10hipError_tT0_T1_T2_jT3_P12ihipStream_tbPNSt15iterator_traitsISF_E10value_typeEPNSL_ISG_E10value_typeEPSH_NS1_7vsmem_tEENKUlT_SF_SG_SH_E_clIS9_S9_SA_SA_EESE_SU_SF_SG_SH_EUlSU_E_NS1_11comp_targetILNS1_3genE3ELNS1_11target_archE908ELNS1_3gpuE7ELNS1_3repE0EEENS1_48merge_mergepath_partition_config_static_selectorELNS0_4arch9wavefront6targetE0EEEvSG_.kd
    .uniform_work_group_size: 1
    .uses_dynamic_stack: false
    .vgpr_count:     0
    .vgpr_spill_count: 0
    .wavefront_size: 32
  - .args:
      - .offset:         0
        .size:           40
        .value_kind:     by_value
    .group_segment_fixed_size: 0
    .kernarg_segment_align: 8
    .kernarg_segment_size: 40
    .language:       OpenCL C
    .language_version:
      - 2
      - 0
    .max_flat_workgroup_size: 128
    .name:           _ZN7rocprim17ROCPRIM_400000_NS6detail17trampoline_kernelINS0_14default_configENS1_38merge_sort_block_merge_config_selectorI12hip_bfloat16NS0_10empty_typeEEEZZNS1_27merge_sort_block_merge_implIS3_PS5_PS6_jNS1_19radix_merge_compareILb0ELb0ES5_NS0_19identity_decomposerEEEEE10hipError_tT0_T1_T2_jT3_P12ihipStream_tbPNSt15iterator_traitsISF_E10value_typeEPNSL_ISG_E10value_typeEPSH_NS1_7vsmem_tEENKUlT_SF_SG_SH_E_clIS9_S9_SA_SA_EESE_SU_SF_SG_SH_EUlSU_E_NS1_11comp_targetILNS1_3genE2ELNS1_11target_archE906ELNS1_3gpuE6ELNS1_3repE0EEENS1_48merge_mergepath_partition_config_static_selectorELNS0_4arch9wavefront6targetE0EEEvSG_
    .private_segment_fixed_size: 0
    .sgpr_count:     0
    .sgpr_spill_count: 0
    .symbol:         _ZN7rocprim17ROCPRIM_400000_NS6detail17trampoline_kernelINS0_14default_configENS1_38merge_sort_block_merge_config_selectorI12hip_bfloat16NS0_10empty_typeEEEZZNS1_27merge_sort_block_merge_implIS3_PS5_PS6_jNS1_19radix_merge_compareILb0ELb0ES5_NS0_19identity_decomposerEEEEE10hipError_tT0_T1_T2_jT3_P12ihipStream_tbPNSt15iterator_traitsISF_E10value_typeEPNSL_ISG_E10value_typeEPSH_NS1_7vsmem_tEENKUlT_SF_SG_SH_E_clIS9_S9_SA_SA_EESE_SU_SF_SG_SH_EUlSU_E_NS1_11comp_targetILNS1_3genE2ELNS1_11target_archE906ELNS1_3gpuE6ELNS1_3repE0EEENS1_48merge_mergepath_partition_config_static_selectorELNS0_4arch9wavefront6targetE0EEEvSG_.kd
    .uniform_work_group_size: 1
    .uses_dynamic_stack: false
    .vgpr_count:     0
    .vgpr_spill_count: 0
    .wavefront_size: 32
  - .args:
      - .offset:         0
        .size:           40
        .value_kind:     by_value
    .group_segment_fixed_size: 0
    .kernarg_segment_align: 8
    .kernarg_segment_size: 40
    .language:       OpenCL C
    .language_version:
      - 2
      - 0
    .max_flat_workgroup_size: 128
    .name:           _ZN7rocprim17ROCPRIM_400000_NS6detail17trampoline_kernelINS0_14default_configENS1_38merge_sort_block_merge_config_selectorI12hip_bfloat16NS0_10empty_typeEEEZZNS1_27merge_sort_block_merge_implIS3_PS5_PS6_jNS1_19radix_merge_compareILb0ELb0ES5_NS0_19identity_decomposerEEEEE10hipError_tT0_T1_T2_jT3_P12ihipStream_tbPNSt15iterator_traitsISF_E10value_typeEPNSL_ISG_E10value_typeEPSH_NS1_7vsmem_tEENKUlT_SF_SG_SH_E_clIS9_S9_SA_SA_EESE_SU_SF_SG_SH_EUlSU_E_NS1_11comp_targetILNS1_3genE9ELNS1_11target_archE1100ELNS1_3gpuE3ELNS1_3repE0EEENS1_48merge_mergepath_partition_config_static_selectorELNS0_4arch9wavefront6targetE0EEEvSG_
    .private_segment_fixed_size: 0
    .sgpr_count:     0
    .sgpr_spill_count: 0
    .symbol:         _ZN7rocprim17ROCPRIM_400000_NS6detail17trampoline_kernelINS0_14default_configENS1_38merge_sort_block_merge_config_selectorI12hip_bfloat16NS0_10empty_typeEEEZZNS1_27merge_sort_block_merge_implIS3_PS5_PS6_jNS1_19radix_merge_compareILb0ELb0ES5_NS0_19identity_decomposerEEEEE10hipError_tT0_T1_T2_jT3_P12ihipStream_tbPNSt15iterator_traitsISF_E10value_typeEPNSL_ISG_E10value_typeEPSH_NS1_7vsmem_tEENKUlT_SF_SG_SH_E_clIS9_S9_SA_SA_EESE_SU_SF_SG_SH_EUlSU_E_NS1_11comp_targetILNS1_3genE9ELNS1_11target_archE1100ELNS1_3gpuE3ELNS1_3repE0EEENS1_48merge_mergepath_partition_config_static_selectorELNS0_4arch9wavefront6targetE0EEEvSG_.kd
    .uniform_work_group_size: 1
    .uses_dynamic_stack: false
    .vgpr_count:     0
    .vgpr_spill_count: 0
    .wavefront_size: 32
  - .args:
      - .offset:         0
        .size:           40
        .value_kind:     by_value
    .group_segment_fixed_size: 0
    .kernarg_segment_align: 8
    .kernarg_segment_size: 40
    .language:       OpenCL C
    .language_version:
      - 2
      - 0
    .max_flat_workgroup_size: 128
    .name:           _ZN7rocprim17ROCPRIM_400000_NS6detail17trampoline_kernelINS0_14default_configENS1_38merge_sort_block_merge_config_selectorI12hip_bfloat16NS0_10empty_typeEEEZZNS1_27merge_sort_block_merge_implIS3_PS5_PS6_jNS1_19radix_merge_compareILb0ELb0ES5_NS0_19identity_decomposerEEEEE10hipError_tT0_T1_T2_jT3_P12ihipStream_tbPNSt15iterator_traitsISF_E10value_typeEPNSL_ISG_E10value_typeEPSH_NS1_7vsmem_tEENKUlT_SF_SG_SH_E_clIS9_S9_SA_SA_EESE_SU_SF_SG_SH_EUlSU_E_NS1_11comp_targetILNS1_3genE8ELNS1_11target_archE1030ELNS1_3gpuE2ELNS1_3repE0EEENS1_48merge_mergepath_partition_config_static_selectorELNS0_4arch9wavefront6targetE0EEEvSG_
    .private_segment_fixed_size: 0
    .sgpr_count:     0
    .sgpr_spill_count: 0
    .symbol:         _ZN7rocprim17ROCPRIM_400000_NS6detail17trampoline_kernelINS0_14default_configENS1_38merge_sort_block_merge_config_selectorI12hip_bfloat16NS0_10empty_typeEEEZZNS1_27merge_sort_block_merge_implIS3_PS5_PS6_jNS1_19radix_merge_compareILb0ELb0ES5_NS0_19identity_decomposerEEEEE10hipError_tT0_T1_T2_jT3_P12ihipStream_tbPNSt15iterator_traitsISF_E10value_typeEPNSL_ISG_E10value_typeEPSH_NS1_7vsmem_tEENKUlT_SF_SG_SH_E_clIS9_S9_SA_SA_EESE_SU_SF_SG_SH_EUlSU_E_NS1_11comp_targetILNS1_3genE8ELNS1_11target_archE1030ELNS1_3gpuE2ELNS1_3repE0EEENS1_48merge_mergepath_partition_config_static_selectorELNS0_4arch9wavefront6targetE0EEEvSG_.kd
    .uniform_work_group_size: 1
    .uses_dynamic_stack: false
    .vgpr_count:     0
    .vgpr_spill_count: 0
    .wavefront_size: 32
  - .args:
      - .offset:         0
        .size:           64
        .value_kind:     by_value
      - .offset:         64
        .size:           4
        .value_kind:     hidden_block_count_x
      - .offset:         68
        .size:           4
        .value_kind:     hidden_block_count_y
      - .offset:         72
        .size:           4
        .value_kind:     hidden_block_count_z
      - .offset:         76
        .size:           2
        .value_kind:     hidden_group_size_x
      - .offset:         78
        .size:           2
        .value_kind:     hidden_group_size_y
      - .offset:         80
        .size:           2
        .value_kind:     hidden_group_size_z
      - .offset:         82
        .size:           2
        .value_kind:     hidden_remainder_x
      - .offset:         84
        .size:           2
        .value_kind:     hidden_remainder_y
      - .offset:         86
        .size:           2
        .value_kind:     hidden_remainder_z
      - .offset:         104
        .size:           8
        .value_kind:     hidden_global_offset_x
      - .offset:         112
        .size:           8
        .value_kind:     hidden_global_offset_y
      - .offset:         120
        .size:           8
        .value_kind:     hidden_global_offset_z
      - .offset:         128
        .size:           2
        .value_kind:     hidden_grid_dims
    .group_segment_fixed_size: 2112
    .kernarg_segment_align: 8
    .kernarg_segment_size: 320
    .language:       OpenCL C
    .language_version:
      - 2
      - 0
    .max_flat_workgroup_size: 128
    .name:           _ZN7rocprim17ROCPRIM_400000_NS6detail17trampoline_kernelINS0_14default_configENS1_38merge_sort_block_merge_config_selectorI12hip_bfloat16NS0_10empty_typeEEEZZNS1_27merge_sort_block_merge_implIS3_PS5_PS6_jNS1_19radix_merge_compareILb0ELb0ES5_NS0_19identity_decomposerEEEEE10hipError_tT0_T1_T2_jT3_P12ihipStream_tbPNSt15iterator_traitsISF_E10value_typeEPNSL_ISG_E10value_typeEPSH_NS1_7vsmem_tEENKUlT_SF_SG_SH_E_clIS9_S9_SA_SA_EESE_SU_SF_SG_SH_EUlSU_E0_NS1_11comp_targetILNS1_3genE0ELNS1_11target_archE4294967295ELNS1_3gpuE0ELNS1_3repE0EEENS1_38merge_mergepath_config_static_selectorELNS0_4arch9wavefront6targetE0EEEvSG_
    .private_segment_fixed_size: 0
    .sgpr_count:     24
    .sgpr_spill_count: 0
    .symbol:         _ZN7rocprim17ROCPRIM_400000_NS6detail17trampoline_kernelINS0_14default_configENS1_38merge_sort_block_merge_config_selectorI12hip_bfloat16NS0_10empty_typeEEEZZNS1_27merge_sort_block_merge_implIS3_PS5_PS6_jNS1_19radix_merge_compareILb0ELb0ES5_NS0_19identity_decomposerEEEEE10hipError_tT0_T1_T2_jT3_P12ihipStream_tbPNSt15iterator_traitsISF_E10value_typeEPNSL_ISG_E10value_typeEPSH_NS1_7vsmem_tEENKUlT_SF_SG_SH_E_clIS9_S9_SA_SA_EESE_SU_SF_SG_SH_EUlSU_E0_NS1_11comp_targetILNS1_3genE0ELNS1_11target_archE4294967295ELNS1_3gpuE0ELNS1_3repE0EEENS1_38merge_mergepath_config_static_selectorELNS0_4arch9wavefront6targetE0EEEvSG_.kd
    .uniform_work_group_size: 1
    .uses_dynamic_stack: false
    .vgpr_count:     30
    .vgpr_spill_count: 0
    .wavefront_size: 32
  - .args:
      - .offset:         0
        .size:           64
        .value_kind:     by_value
    .group_segment_fixed_size: 0
    .kernarg_segment_align: 8
    .kernarg_segment_size: 64
    .language:       OpenCL C
    .language_version:
      - 2
      - 0
    .max_flat_workgroup_size: 128
    .name:           _ZN7rocprim17ROCPRIM_400000_NS6detail17trampoline_kernelINS0_14default_configENS1_38merge_sort_block_merge_config_selectorI12hip_bfloat16NS0_10empty_typeEEEZZNS1_27merge_sort_block_merge_implIS3_PS5_PS6_jNS1_19radix_merge_compareILb0ELb0ES5_NS0_19identity_decomposerEEEEE10hipError_tT0_T1_T2_jT3_P12ihipStream_tbPNSt15iterator_traitsISF_E10value_typeEPNSL_ISG_E10value_typeEPSH_NS1_7vsmem_tEENKUlT_SF_SG_SH_E_clIS9_S9_SA_SA_EESE_SU_SF_SG_SH_EUlSU_E0_NS1_11comp_targetILNS1_3genE10ELNS1_11target_archE1201ELNS1_3gpuE5ELNS1_3repE0EEENS1_38merge_mergepath_config_static_selectorELNS0_4arch9wavefront6targetE0EEEvSG_
    .private_segment_fixed_size: 0
    .sgpr_count:     0
    .sgpr_spill_count: 0
    .symbol:         _ZN7rocprim17ROCPRIM_400000_NS6detail17trampoline_kernelINS0_14default_configENS1_38merge_sort_block_merge_config_selectorI12hip_bfloat16NS0_10empty_typeEEEZZNS1_27merge_sort_block_merge_implIS3_PS5_PS6_jNS1_19radix_merge_compareILb0ELb0ES5_NS0_19identity_decomposerEEEEE10hipError_tT0_T1_T2_jT3_P12ihipStream_tbPNSt15iterator_traitsISF_E10value_typeEPNSL_ISG_E10value_typeEPSH_NS1_7vsmem_tEENKUlT_SF_SG_SH_E_clIS9_S9_SA_SA_EESE_SU_SF_SG_SH_EUlSU_E0_NS1_11comp_targetILNS1_3genE10ELNS1_11target_archE1201ELNS1_3gpuE5ELNS1_3repE0EEENS1_38merge_mergepath_config_static_selectorELNS0_4arch9wavefront6targetE0EEEvSG_.kd
    .uniform_work_group_size: 1
    .uses_dynamic_stack: false
    .vgpr_count:     0
    .vgpr_spill_count: 0
    .wavefront_size: 32
  - .args:
      - .offset:         0
        .size:           64
        .value_kind:     by_value
    .group_segment_fixed_size: 0
    .kernarg_segment_align: 8
    .kernarg_segment_size: 64
    .language:       OpenCL C
    .language_version:
      - 2
      - 0
    .max_flat_workgroup_size: 128
    .name:           _ZN7rocprim17ROCPRIM_400000_NS6detail17trampoline_kernelINS0_14default_configENS1_38merge_sort_block_merge_config_selectorI12hip_bfloat16NS0_10empty_typeEEEZZNS1_27merge_sort_block_merge_implIS3_PS5_PS6_jNS1_19radix_merge_compareILb0ELb0ES5_NS0_19identity_decomposerEEEEE10hipError_tT0_T1_T2_jT3_P12ihipStream_tbPNSt15iterator_traitsISF_E10value_typeEPNSL_ISG_E10value_typeEPSH_NS1_7vsmem_tEENKUlT_SF_SG_SH_E_clIS9_S9_SA_SA_EESE_SU_SF_SG_SH_EUlSU_E0_NS1_11comp_targetILNS1_3genE5ELNS1_11target_archE942ELNS1_3gpuE9ELNS1_3repE0EEENS1_38merge_mergepath_config_static_selectorELNS0_4arch9wavefront6targetE0EEEvSG_
    .private_segment_fixed_size: 0
    .sgpr_count:     0
    .sgpr_spill_count: 0
    .symbol:         _ZN7rocprim17ROCPRIM_400000_NS6detail17trampoline_kernelINS0_14default_configENS1_38merge_sort_block_merge_config_selectorI12hip_bfloat16NS0_10empty_typeEEEZZNS1_27merge_sort_block_merge_implIS3_PS5_PS6_jNS1_19radix_merge_compareILb0ELb0ES5_NS0_19identity_decomposerEEEEE10hipError_tT0_T1_T2_jT3_P12ihipStream_tbPNSt15iterator_traitsISF_E10value_typeEPNSL_ISG_E10value_typeEPSH_NS1_7vsmem_tEENKUlT_SF_SG_SH_E_clIS9_S9_SA_SA_EESE_SU_SF_SG_SH_EUlSU_E0_NS1_11comp_targetILNS1_3genE5ELNS1_11target_archE942ELNS1_3gpuE9ELNS1_3repE0EEENS1_38merge_mergepath_config_static_selectorELNS0_4arch9wavefront6targetE0EEEvSG_.kd
    .uniform_work_group_size: 1
    .uses_dynamic_stack: false
    .vgpr_count:     0
    .vgpr_spill_count: 0
    .wavefront_size: 32
  - .args:
      - .offset:         0
        .size:           64
        .value_kind:     by_value
    .group_segment_fixed_size: 0
    .kernarg_segment_align: 8
    .kernarg_segment_size: 64
    .language:       OpenCL C
    .language_version:
      - 2
      - 0
    .max_flat_workgroup_size: 128
    .name:           _ZN7rocprim17ROCPRIM_400000_NS6detail17trampoline_kernelINS0_14default_configENS1_38merge_sort_block_merge_config_selectorI12hip_bfloat16NS0_10empty_typeEEEZZNS1_27merge_sort_block_merge_implIS3_PS5_PS6_jNS1_19radix_merge_compareILb0ELb0ES5_NS0_19identity_decomposerEEEEE10hipError_tT0_T1_T2_jT3_P12ihipStream_tbPNSt15iterator_traitsISF_E10value_typeEPNSL_ISG_E10value_typeEPSH_NS1_7vsmem_tEENKUlT_SF_SG_SH_E_clIS9_S9_SA_SA_EESE_SU_SF_SG_SH_EUlSU_E0_NS1_11comp_targetILNS1_3genE4ELNS1_11target_archE910ELNS1_3gpuE8ELNS1_3repE0EEENS1_38merge_mergepath_config_static_selectorELNS0_4arch9wavefront6targetE0EEEvSG_
    .private_segment_fixed_size: 0
    .sgpr_count:     0
    .sgpr_spill_count: 0
    .symbol:         _ZN7rocprim17ROCPRIM_400000_NS6detail17trampoline_kernelINS0_14default_configENS1_38merge_sort_block_merge_config_selectorI12hip_bfloat16NS0_10empty_typeEEEZZNS1_27merge_sort_block_merge_implIS3_PS5_PS6_jNS1_19radix_merge_compareILb0ELb0ES5_NS0_19identity_decomposerEEEEE10hipError_tT0_T1_T2_jT3_P12ihipStream_tbPNSt15iterator_traitsISF_E10value_typeEPNSL_ISG_E10value_typeEPSH_NS1_7vsmem_tEENKUlT_SF_SG_SH_E_clIS9_S9_SA_SA_EESE_SU_SF_SG_SH_EUlSU_E0_NS1_11comp_targetILNS1_3genE4ELNS1_11target_archE910ELNS1_3gpuE8ELNS1_3repE0EEENS1_38merge_mergepath_config_static_selectorELNS0_4arch9wavefront6targetE0EEEvSG_.kd
    .uniform_work_group_size: 1
    .uses_dynamic_stack: false
    .vgpr_count:     0
    .vgpr_spill_count: 0
    .wavefront_size: 32
  - .args:
      - .offset:         0
        .size:           64
        .value_kind:     by_value
    .group_segment_fixed_size: 0
    .kernarg_segment_align: 8
    .kernarg_segment_size: 64
    .language:       OpenCL C
    .language_version:
      - 2
      - 0
    .max_flat_workgroup_size: 128
    .name:           _ZN7rocprim17ROCPRIM_400000_NS6detail17trampoline_kernelINS0_14default_configENS1_38merge_sort_block_merge_config_selectorI12hip_bfloat16NS0_10empty_typeEEEZZNS1_27merge_sort_block_merge_implIS3_PS5_PS6_jNS1_19radix_merge_compareILb0ELb0ES5_NS0_19identity_decomposerEEEEE10hipError_tT0_T1_T2_jT3_P12ihipStream_tbPNSt15iterator_traitsISF_E10value_typeEPNSL_ISG_E10value_typeEPSH_NS1_7vsmem_tEENKUlT_SF_SG_SH_E_clIS9_S9_SA_SA_EESE_SU_SF_SG_SH_EUlSU_E0_NS1_11comp_targetILNS1_3genE3ELNS1_11target_archE908ELNS1_3gpuE7ELNS1_3repE0EEENS1_38merge_mergepath_config_static_selectorELNS0_4arch9wavefront6targetE0EEEvSG_
    .private_segment_fixed_size: 0
    .sgpr_count:     0
    .sgpr_spill_count: 0
    .symbol:         _ZN7rocprim17ROCPRIM_400000_NS6detail17trampoline_kernelINS0_14default_configENS1_38merge_sort_block_merge_config_selectorI12hip_bfloat16NS0_10empty_typeEEEZZNS1_27merge_sort_block_merge_implIS3_PS5_PS6_jNS1_19radix_merge_compareILb0ELb0ES5_NS0_19identity_decomposerEEEEE10hipError_tT0_T1_T2_jT3_P12ihipStream_tbPNSt15iterator_traitsISF_E10value_typeEPNSL_ISG_E10value_typeEPSH_NS1_7vsmem_tEENKUlT_SF_SG_SH_E_clIS9_S9_SA_SA_EESE_SU_SF_SG_SH_EUlSU_E0_NS1_11comp_targetILNS1_3genE3ELNS1_11target_archE908ELNS1_3gpuE7ELNS1_3repE0EEENS1_38merge_mergepath_config_static_selectorELNS0_4arch9wavefront6targetE0EEEvSG_.kd
    .uniform_work_group_size: 1
    .uses_dynamic_stack: false
    .vgpr_count:     0
    .vgpr_spill_count: 0
    .wavefront_size: 32
  - .args:
      - .offset:         0
        .size:           64
        .value_kind:     by_value
    .group_segment_fixed_size: 0
    .kernarg_segment_align: 8
    .kernarg_segment_size: 64
    .language:       OpenCL C
    .language_version:
      - 2
      - 0
    .max_flat_workgroup_size: 128
    .name:           _ZN7rocprim17ROCPRIM_400000_NS6detail17trampoline_kernelINS0_14default_configENS1_38merge_sort_block_merge_config_selectorI12hip_bfloat16NS0_10empty_typeEEEZZNS1_27merge_sort_block_merge_implIS3_PS5_PS6_jNS1_19radix_merge_compareILb0ELb0ES5_NS0_19identity_decomposerEEEEE10hipError_tT0_T1_T2_jT3_P12ihipStream_tbPNSt15iterator_traitsISF_E10value_typeEPNSL_ISG_E10value_typeEPSH_NS1_7vsmem_tEENKUlT_SF_SG_SH_E_clIS9_S9_SA_SA_EESE_SU_SF_SG_SH_EUlSU_E0_NS1_11comp_targetILNS1_3genE2ELNS1_11target_archE906ELNS1_3gpuE6ELNS1_3repE0EEENS1_38merge_mergepath_config_static_selectorELNS0_4arch9wavefront6targetE0EEEvSG_
    .private_segment_fixed_size: 0
    .sgpr_count:     0
    .sgpr_spill_count: 0
    .symbol:         _ZN7rocprim17ROCPRIM_400000_NS6detail17trampoline_kernelINS0_14default_configENS1_38merge_sort_block_merge_config_selectorI12hip_bfloat16NS0_10empty_typeEEEZZNS1_27merge_sort_block_merge_implIS3_PS5_PS6_jNS1_19radix_merge_compareILb0ELb0ES5_NS0_19identity_decomposerEEEEE10hipError_tT0_T1_T2_jT3_P12ihipStream_tbPNSt15iterator_traitsISF_E10value_typeEPNSL_ISG_E10value_typeEPSH_NS1_7vsmem_tEENKUlT_SF_SG_SH_E_clIS9_S9_SA_SA_EESE_SU_SF_SG_SH_EUlSU_E0_NS1_11comp_targetILNS1_3genE2ELNS1_11target_archE906ELNS1_3gpuE6ELNS1_3repE0EEENS1_38merge_mergepath_config_static_selectorELNS0_4arch9wavefront6targetE0EEEvSG_.kd
    .uniform_work_group_size: 1
    .uses_dynamic_stack: false
    .vgpr_count:     0
    .vgpr_spill_count: 0
    .wavefront_size: 32
  - .args:
      - .offset:         0
        .size:           64
        .value_kind:     by_value
    .group_segment_fixed_size: 0
    .kernarg_segment_align: 8
    .kernarg_segment_size: 64
    .language:       OpenCL C
    .language_version:
      - 2
      - 0
    .max_flat_workgroup_size: 128
    .name:           _ZN7rocprim17ROCPRIM_400000_NS6detail17trampoline_kernelINS0_14default_configENS1_38merge_sort_block_merge_config_selectorI12hip_bfloat16NS0_10empty_typeEEEZZNS1_27merge_sort_block_merge_implIS3_PS5_PS6_jNS1_19radix_merge_compareILb0ELb0ES5_NS0_19identity_decomposerEEEEE10hipError_tT0_T1_T2_jT3_P12ihipStream_tbPNSt15iterator_traitsISF_E10value_typeEPNSL_ISG_E10value_typeEPSH_NS1_7vsmem_tEENKUlT_SF_SG_SH_E_clIS9_S9_SA_SA_EESE_SU_SF_SG_SH_EUlSU_E0_NS1_11comp_targetILNS1_3genE9ELNS1_11target_archE1100ELNS1_3gpuE3ELNS1_3repE0EEENS1_38merge_mergepath_config_static_selectorELNS0_4arch9wavefront6targetE0EEEvSG_
    .private_segment_fixed_size: 0
    .sgpr_count:     0
    .sgpr_spill_count: 0
    .symbol:         _ZN7rocprim17ROCPRIM_400000_NS6detail17trampoline_kernelINS0_14default_configENS1_38merge_sort_block_merge_config_selectorI12hip_bfloat16NS0_10empty_typeEEEZZNS1_27merge_sort_block_merge_implIS3_PS5_PS6_jNS1_19radix_merge_compareILb0ELb0ES5_NS0_19identity_decomposerEEEEE10hipError_tT0_T1_T2_jT3_P12ihipStream_tbPNSt15iterator_traitsISF_E10value_typeEPNSL_ISG_E10value_typeEPSH_NS1_7vsmem_tEENKUlT_SF_SG_SH_E_clIS9_S9_SA_SA_EESE_SU_SF_SG_SH_EUlSU_E0_NS1_11comp_targetILNS1_3genE9ELNS1_11target_archE1100ELNS1_3gpuE3ELNS1_3repE0EEENS1_38merge_mergepath_config_static_selectorELNS0_4arch9wavefront6targetE0EEEvSG_.kd
    .uniform_work_group_size: 1
    .uses_dynamic_stack: false
    .vgpr_count:     0
    .vgpr_spill_count: 0
    .wavefront_size: 32
  - .args:
      - .offset:         0
        .size:           64
        .value_kind:     by_value
    .group_segment_fixed_size: 0
    .kernarg_segment_align: 8
    .kernarg_segment_size: 64
    .language:       OpenCL C
    .language_version:
      - 2
      - 0
    .max_flat_workgroup_size: 128
    .name:           _ZN7rocprim17ROCPRIM_400000_NS6detail17trampoline_kernelINS0_14default_configENS1_38merge_sort_block_merge_config_selectorI12hip_bfloat16NS0_10empty_typeEEEZZNS1_27merge_sort_block_merge_implIS3_PS5_PS6_jNS1_19radix_merge_compareILb0ELb0ES5_NS0_19identity_decomposerEEEEE10hipError_tT0_T1_T2_jT3_P12ihipStream_tbPNSt15iterator_traitsISF_E10value_typeEPNSL_ISG_E10value_typeEPSH_NS1_7vsmem_tEENKUlT_SF_SG_SH_E_clIS9_S9_SA_SA_EESE_SU_SF_SG_SH_EUlSU_E0_NS1_11comp_targetILNS1_3genE8ELNS1_11target_archE1030ELNS1_3gpuE2ELNS1_3repE0EEENS1_38merge_mergepath_config_static_selectorELNS0_4arch9wavefront6targetE0EEEvSG_
    .private_segment_fixed_size: 0
    .sgpr_count:     0
    .sgpr_spill_count: 0
    .symbol:         _ZN7rocprim17ROCPRIM_400000_NS6detail17trampoline_kernelINS0_14default_configENS1_38merge_sort_block_merge_config_selectorI12hip_bfloat16NS0_10empty_typeEEEZZNS1_27merge_sort_block_merge_implIS3_PS5_PS6_jNS1_19radix_merge_compareILb0ELb0ES5_NS0_19identity_decomposerEEEEE10hipError_tT0_T1_T2_jT3_P12ihipStream_tbPNSt15iterator_traitsISF_E10value_typeEPNSL_ISG_E10value_typeEPSH_NS1_7vsmem_tEENKUlT_SF_SG_SH_E_clIS9_S9_SA_SA_EESE_SU_SF_SG_SH_EUlSU_E0_NS1_11comp_targetILNS1_3genE8ELNS1_11target_archE1030ELNS1_3gpuE2ELNS1_3repE0EEENS1_38merge_mergepath_config_static_selectorELNS0_4arch9wavefront6targetE0EEEvSG_.kd
    .uniform_work_group_size: 1
    .uses_dynamic_stack: false
    .vgpr_count:     0
    .vgpr_spill_count: 0
    .wavefront_size: 32
  - .args:
      - .offset:         0
        .size:           48
        .value_kind:     by_value
    .group_segment_fixed_size: 0
    .kernarg_segment_align: 8
    .kernarg_segment_size: 48
    .language:       OpenCL C
    .language_version:
      - 2
      - 0
    .max_flat_workgroup_size: 256
    .name:           _ZN7rocprim17ROCPRIM_400000_NS6detail17trampoline_kernelINS0_14default_configENS1_38merge_sort_block_merge_config_selectorI12hip_bfloat16NS0_10empty_typeEEEZZNS1_27merge_sort_block_merge_implIS3_PS5_PS6_jNS1_19radix_merge_compareILb0ELb0ES5_NS0_19identity_decomposerEEEEE10hipError_tT0_T1_T2_jT3_P12ihipStream_tbPNSt15iterator_traitsISF_E10value_typeEPNSL_ISG_E10value_typeEPSH_NS1_7vsmem_tEENKUlT_SF_SG_SH_E_clIS9_S9_SA_SA_EESE_SU_SF_SG_SH_EUlSU_E1_NS1_11comp_targetILNS1_3genE0ELNS1_11target_archE4294967295ELNS1_3gpuE0ELNS1_3repE0EEENS1_36merge_oddeven_config_static_selectorELNS0_4arch9wavefront6targetE0EEEvSG_
    .private_segment_fixed_size: 0
    .sgpr_count:     18
    .sgpr_spill_count: 0
    .symbol:         _ZN7rocprim17ROCPRIM_400000_NS6detail17trampoline_kernelINS0_14default_configENS1_38merge_sort_block_merge_config_selectorI12hip_bfloat16NS0_10empty_typeEEEZZNS1_27merge_sort_block_merge_implIS3_PS5_PS6_jNS1_19radix_merge_compareILb0ELb0ES5_NS0_19identity_decomposerEEEEE10hipError_tT0_T1_T2_jT3_P12ihipStream_tbPNSt15iterator_traitsISF_E10value_typeEPNSL_ISG_E10value_typeEPSH_NS1_7vsmem_tEENKUlT_SF_SG_SH_E_clIS9_S9_SA_SA_EESE_SU_SF_SG_SH_EUlSU_E1_NS1_11comp_targetILNS1_3genE0ELNS1_11target_archE4294967295ELNS1_3gpuE0ELNS1_3repE0EEENS1_36merge_oddeven_config_static_selectorELNS0_4arch9wavefront6targetE0EEEvSG_.kd
    .uniform_work_group_size: 1
    .uses_dynamic_stack: false
    .vgpr_count:     9
    .vgpr_spill_count: 0
    .wavefront_size: 32
  - .args:
      - .offset:         0
        .size:           48
        .value_kind:     by_value
    .group_segment_fixed_size: 0
    .kernarg_segment_align: 8
    .kernarg_segment_size: 48
    .language:       OpenCL C
    .language_version:
      - 2
      - 0
    .max_flat_workgroup_size: 256
    .name:           _ZN7rocprim17ROCPRIM_400000_NS6detail17trampoline_kernelINS0_14default_configENS1_38merge_sort_block_merge_config_selectorI12hip_bfloat16NS0_10empty_typeEEEZZNS1_27merge_sort_block_merge_implIS3_PS5_PS6_jNS1_19radix_merge_compareILb0ELb0ES5_NS0_19identity_decomposerEEEEE10hipError_tT0_T1_T2_jT3_P12ihipStream_tbPNSt15iterator_traitsISF_E10value_typeEPNSL_ISG_E10value_typeEPSH_NS1_7vsmem_tEENKUlT_SF_SG_SH_E_clIS9_S9_SA_SA_EESE_SU_SF_SG_SH_EUlSU_E1_NS1_11comp_targetILNS1_3genE10ELNS1_11target_archE1201ELNS1_3gpuE5ELNS1_3repE0EEENS1_36merge_oddeven_config_static_selectorELNS0_4arch9wavefront6targetE0EEEvSG_
    .private_segment_fixed_size: 0
    .sgpr_count:     0
    .sgpr_spill_count: 0
    .symbol:         _ZN7rocprim17ROCPRIM_400000_NS6detail17trampoline_kernelINS0_14default_configENS1_38merge_sort_block_merge_config_selectorI12hip_bfloat16NS0_10empty_typeEEEZZNS1_27merge_sort_block_merge_implIS3_PS5_PS6_jNS1_19radix_merge_compareILb0ELb0ES5_NS0_19identity_decomposerEEEEE10hipError_tT0_T1_T2_jT3_P12ihipStream_tbPNSt15iterator_traitsISF_E10value_typeEPNSL_ISG_E10value_typeEPSH_NS1_7vsmem_tEENKUlT_SF_SG_SH_E_clIS9_S9_SA_SA_EESE_SU_SF_SG_SH_EUlSU_E1_NS1_11comp_targetILNS1_3genE10ELNS1_11target_archE1201ELNS1_3gpuE5ELNS1_3repE0EEENS1_36merge_oddeven_config_static_selectorELNS0_4arch9wavefront6targetE0EEEvSG_.kd
    .uniform_work_group_size: 1
    .uses_dynamic_stack: false
    .vgpr_count:     0
    .vgpr_spill_count: 0
    .wavefront_size: 32
  - .args:
      - .offset:         0
        .size:           48
        .value_kind:     by_value
    .group_segment_fixed_size: 0
    .kernarg_segment_align: 8
    .kernarg_segment_size: 48
    .language:       OpenCL C
    .language_version:
      - 2
      - 0
    .max_flat_workgroup_size: 256
    .name:           _ZN7rocprim17ROCPRIM_400000_NS6detail17trampoline_kernelINS0_14default_configENS1_38merge_sort_block_merge_config_selectorI12hip_bfloat16NS0_10empty_typeEEEZZNS1_27merge_sort_block_merge_implIS3_PS5_PS6_jNS1_19radix_merge_compareILb0ELb0ES5_NS0_19identity_decomposerEEEEE10hipError_tT0_T1_T2_jT3_P12ihipStream_tbPNSt15iterator_traitsISF_E10value_typeEPNSL_ISG_E10value_typeEPSH_NS1_7vsmem_tEENKUlT_SF_SG_SH_E_clIS9_S9_SA_SA_EESE_SU_SF_SG_SH_EUlSU_E1_NS1_11comp_targetILNS1_3genE5ELNS1_11target_archE942ELNS1_3gpuE9ELNS1_3repE0EEENS1_36merge_oddeven_config_static_selectorELNS0_4arch9wavefront6targetE0EEEvSG_
    .private_segment_fixed_size: 0
    .sgpr_count:     0
    .sgpr_spill_count: 0
    .symbol:         _ZN7rocprim17ROCPRIM_400000_NS6detail17trampoline_kernelINS0_14default_configENS1_38merge_sort_block_merge_config_selectorI12hip_bfloat16NS0_10empty_typeEEEZZNS1_27merge_sort_block_merge_implIS3_PS5_PS6_jNS1_19radix_merge_compareILb0ELb0ES5_NS0_19identity_decomposerEEEEE10hipError_tT0_T1_T2_jT3_P12ihipStream_tbPNSt15iterator_traitsISF_E10value_typeEPNSL_ISG_E10value_typeEPSH_NS1_7vsmem_tEENKUlT_SF_SG_SH_E_clIS9_S9_SA_SA_EESE_SU_SF_SG_SH_EUlSU_E1_NS1_11comp_targetILNS1_3genE5ELNS1_11target_archE942ELNS1_3gpuE9ELNS1_3repE0EEENS1_36merge_oddeven_config_static_selectorELNS0_4arch9wavefront6targetE0EEEvSG_.kd
    .uniform_work_group_size: 1
    .uses_dynamic_stack: false
    .vgpr_count:     0
    .vgpr_spill_count: 0
    .wavefront_size: 32
  - .args:
      - .offset:         0
        .size:           48
        .value_kind:     by_value
    .group_segment_fixed_size: 0
    .kernarg_segment_align: 8
    .kernarg_segment_size: 48
    .language:       OpenCL C
    .language_version:
      - 2
      - 0
    .max_flat_workgroup_size: 256
    .name:           _ZN7rocprim17ROCPRIM_400000_NS6detail17trampoline_kernelINS0_14default_configENS1_38merge_sort_block_merge_config_selectorI12hip_bfloat16NS0_10empty_typeEEEZZNS1_27merge_sort_block_merge_implIS3_PS5_PS6_jNS1_19radix_merge_compareILb0ELb0ES5_NS0_19identity_decomposerEEEEE10hipError_tT0_T1_T2_jT3_P12ihipStream_tbPNSt15iterator_traitsISF_E10value_typeEPNSL_ISG_E10value_typeEPSH_NS1_7vsmem_tEENKUlT_SF_SG_SH_E_clIS9_S9_SA_SA_EESE_SU_SF_SG_SH_EUlSU_E1_NS1_11comp_targetILNS1_3genE4ELNS1_11target_archE910ELNS1_3gpuE8ELNS1_3repE0EEENS1_36merge_oddeven_config_static_selectorELNS0_4arch9wavefront6targetE0EEEvSG_
    .private_segment_fixed_size: 0
    .sgpr_count:     0
    .sgpr_spill_count: 0
    .symbol:         _ZN7rocprim17ROCPRIM_400000_NS6detail17trampoline_kernelINS0_14default_configENS1_38merge_sort_block_merge_config_selectorI12hip_bfloat16NS0_10empty_typeEEEZZNS1_27merge_sort_block_merge_implIS3_PS5_PS6_jNS1_19radix_merge_compareILb0ELb0ES5_NS0_19identity_decomposerEEEEE10hipError_tT0_T1_T2_jT3_P12ihipStream_tbPNSt15iterator_traitsISF_E10value_typeEPNSL_ISG_E10value_typeEPSH_NS1_7vsmem_tEENKUlT_SF_SG_SH_E_clIS9_S9_SA_SA_EESE_SU_SF_SG_SH_EUlSU_E1_NS1_11comp_targetILNS1_3genE4ELNS1_11target_archE910ELNS1_3gpuE8ELNS1_3repE0EEENS1_36merge_oddeven_config_static_selectorELNS0_4arch9wavefront6targetE0EEEvSG_.kd
    .uniform_work_group_size: 1
    .uses_dynamic_stack: false
    .vgpr_count:     0
    .vgpr_spill_count: 0
    .wavefront_size: 32
  - .args:
      - .offset:         0
        .size:           48
        .value_kind:     by_value
    .group_segment_fixed_size: 0
    .kernarg_segment_align: 8
    .kernarg_segment_size: 48
    .language:       OpenCL C
    .language_version:
      - 2
      - 0
    .max_flat_workgroup_size: 256
    .name:           _ZN7rocprim17ROCPRIM_400000_NS6detail17trampoline_kernelINS0_14default_configENS1_38merge_sort_block_merge_config_selectorI12hip_bfloat16NS0_10empty_typeEEEZZNS1_27merge_sort_block_merge_implIS3_PS5_PS6_jNS1_19radix_merge_compareILb0ELb0ES5_NS0_19identity_decomposerEEEEE10hipError_tT0_T1_T2_jT3_P12ihipStream_tbPNSt15iterator_traitsISF_E10value_typeEPNSL_ISG_E10value_typeEPSH_NS1_7vsmem_tEENKUlT_SF_SG_SH_E_clIS9_S9_SA_SA_EESE_SU_SF_SG_SH_EUlSU_E1_NS1_11comp_targetILNS1_3genE3ELNS1_11target_archE908ELNS1_3gpuE7ELNS1_3repE0EEENS1_36merge_oddeven_config_static_selectorELNS0_4arch9wavefront6targetE0EEEvSG_
    .private_segment_fixed_size: 0
    .sgpr_count:     0
    .sgpr_spill_count: 0
    .symbol:         _ZN7rocprim17ROCPRIM_400000_NS6detail17trampoline_kernelINS0_14default_configENS1_38merge_sort_block_merge_config_selectorI12hip_bfloat16NS0_10empty_typeEEEZZNS1_27merge_sort_block_merge_implIS3_PS5_PS6_jNS1_19radix_merge_compareILb0ELb0ES5_NS0_19identity_decomposerEEEEE10hipError_tT0_T1_T2_jT3_P12ihipStream_tbPNSt15iterator_traitsISF_E10value_typeEPNSL_ISG_E10value_typeEPSH_NS1_7vsmem_tEENKUlT_SF_SG_SH_E_clIS9_S9_SA_SA_EESE_SU_SF_SG_SH_EUlSU_E1_NS1_11comp_targetILNS1_3genE3ELNS1_11target_archE908ELNS1_3gpuE7ELNS1_3repE0EEENS1_36merge_oddeven_config_static_selectorELNS0_4arch9wavefront6targetE0EEEvSG_.kd
    .uniform_work_group_size: 1
    .uses_dynamic_stack: false
    .vgpr_count:     0
    .vgpr_spill_count: 0
    .wavefront_size: 32
  - .args:
      - .offset:         0
        .size:           48
        .value_kind:     by_value
    .group_segment_fixed_size: 0
    .kernarg_segment_align: 8
    .kernarg_segment_size: 48
    .language:       OpenCL C
    .language_version:
      - 2
      - 0
    .max_flat_workgroup_size: 256
    .name:           _ZN7rocprim17ROCPRIM_400000_NS6detail17trampoline_kernelINS0_14default_configENS1_38merge_sort_block_merge_config_selectorI12hip_bfloat16NS0_10empty_typeEEEZZNS1_27merge_sort_block_merge_implIS3_PS5_PS6_jNS1_19radix_merge_compareILb0ELb0ES5_NS0_19identity_decomposerEEEEE10hipError_tT0_T1_T2_jT3_P12ihipStream_tbPNSt15iterator_traitsISF_E10value_typeEPNSL_ISG_E10value_typeEPSH_NS1_7vsmem_tEENKUlT_SF_SG_SH_E_clIS9_S9_SA_SA_EESE_SU_SF_SG_SH_EUlSU_E1_NS1_11comp_targetILNS1_3genE2ELNS1_11target_archE906ELNS1_3gpuE6ELNS1_3repE0EEENS1_36merge_oddeven_config_static_selectorELNS0_4arch9wavefront6targetE0EEEvSG_
    .private_segment_fixed_size: 0
    .sgpr_count:     0
    .sgpr_spill_count: 0
    .symbol:         _ZN7rocprim17ROCPRIM_400000_NS6detail17trampoline_kernelINS0_14default_configENS1_38merge_sort_block_merge_config_selectorI12hip_bfloat16NS0_10empty_typeEEEZZNS1_27merge_sort_block_merge_implIS3_PS5_PS6_jNS1_19radix_merge_compareILb0ELb0ES5_NS0_19identity_decomposerEEEEE10hipError_tT0_T1_T2_jT3_P12ihipStream_tbPNSt15iterator_traitsISF_E10value_typeEPNSL_ISG_E10value_typeEPSH_NS1_7vsmem_tEENKUlT_SF_SG_SH_E_clIS9_S9_SA_SA_EESE_SU_SF_SG_SH_EUlSU_E1_NS1_11comp_targetILNS1_3genE2ELNS1_11target_archE906ELNS1_3gpuE6ELNS1_3repE0EEENS1_36merge_oddeven_config_static_selectorELNS0_4arch9wavefront6targetE0EEEvSG_.kd
    .uniform_work_group_size: 1
    .uses_dynamic_stack: false
    .vgpr_count:     0
    .vgpr_spill_count: 0
    .wavefront_size: 32
  - .args:
      - .offset:         0
        .size:           48
        .value_kind:     by_value
    .group_segment_fixed_size: 0
    .kernarg_segment_align: 8
    .kernarg_segment_size: 48
    .language:       OpenCL C
    .language_version:
      - 2
      - 0
    .max_flat_workgroup_size: 256
    .name:           _ZN7rocprim17ROCPRIM_400000_NS6detail17trampoline_kernelINS0_14default_configENS1_38merge_sort_block_merge_config_selectorI12hip_bfloat16NS0_10empty_typeEEEZZNS1_27merge_sort_block_merge_implIS3_PS5_PS6_jNS1_19radix_merge_compareILb0ELb0ES5_NS0_19identity_decomposerEEEEE10hipError_tT0_T1_T2_jT3_P12ihipStream_tbPNSt15iterator_traitsISF_E10value_typeEPNSL_ISG_E10value_typeEPSH_NS1_7vsmem_tEENKUlT_SF_SG_SH_E_clIS9_S9_SA_SA_EESE_SU_SF_SG_SH_EUlSU_E1_NS1_11comp_targetILNS1_3genE9ELNS1_11target_archE1100ELNS1_3gpuE3ELNS1_3repE0EEENS1_36merge_oddeven_config_static_selectorELNS0_4arch9wavefront6targetE0EEEvSG_
    .private_segment_fixed_size: 0
    .sgpr_count:     0
    .sgpr_spill_count: 0
    .symbol:         _ZN7rocprim17ROCPRIM_400000_NS6detail17trampoline_kernelINS0_14default_configENS1_38merge_sort_block_merge_config_selectorI12hip_bfloat16NS0_10empty_typeEEEZZNS1_27merge_sort_block_merge_implIS3_PS5_PS6_jNS1_19radix_merge_compareILb0ELb0ES5_NS0_19identity_decomposerEEEEE10hipError_tT0_T1_T2_jT3_P12ihipStream_tbPNSt15iterator_traitsISF_E10value_typeEPNSL_ISG_E10value_typeEPSH_NS1_7vsmem_tEENKUlT_SF_SG_SH_E_clIS9_S9_SA_SA_EESE_SU_SF_SG_SH_EUlSU_E1_NS1_11comp_targetILNS1_3genE9ELNS1_11target_archE1100ELNS1_3gpuE3ELNS1_3repE0EEENS1_36merge_oddeven_config_static_selectorELNS0_4arch9wavefront6targetE0EEEvSG_.kd
    .uniform_work_group_size: 1
    .uses_dynamic_stack: false
    .vgpr_count:     0
    .vgpr_spill_count: 0
    .wavefront_size: 32
  - .args:
      - .offset:         0
        .size:           48
        .value_kind:     by_value
    .group_segment_fixed_size: 0
    .kernarg_segment_align: 8
    .kernarg_segment_size: 48
    .language:       OpenCL C
    .language_version:
      - 2
      - 0
    .max_flat_workgroup_size: 256
    .name:           _ZN7rocprim17ROCPRIM_400000_NS6detail17trampoline_kernelINS0_14default_configENS1_38merge_sort_block_merge_config_selectorI12hip_bfloat16NS0_10empty_typeEEEZZNS1_27merge_sort_block_merge_implIS3_PS5_PS6_jNS1_19radix_merge_compareILb0ELb0ES5_NS0_19identity_decomposerEEEEE10hipError_tT0_T1_T2_jT3_P12ihipStream_tbPNSt15iterator_traitsISF_E10value_typeEPNSL_ISG_E10value_typeEPSH_NS1_7vsmem_tEENKUlT_SF_SG_SH_E_clIS9_S9_SA_SA_EESE_SU_SF_SG_SH_EUlSU_E1_NS1_11comp_targetILNS1_3genE8ELNS1_11target_archE1030ELNS1_3gpuE2ELNS1_3repE0EEENS1_36merge_oddeven_config_static_selectorELNS0_4arch9wavefront6targetE0EEEvSG_
    .private_segment_fixed_size: 0
    .sgpr_count:     0
    .sgpr_spill_count: 0
    .symbol:         _ZN7rocprim17ROCPRIM_400000_NS6detail17trampoline_kernelINS0_14default_configENS1_38merge_sort_block_merge_config_selectorI12hip_bfloat16NS0_10empty_typeEEEZZNS1_27merge_sort_block_merge_implIS3_PS5_PS6_jNS1_19radix_merge_compareILb0ELb0ES5_NS0_19identity_decomposerEEEEE10hipError_tT0_T1_T2_jT3_P12ihipStream_tbPNSt15iterator_traitsISF_E10value_typeEPNSL_ISG_E10value_typeEPSH_NS1_7vsmem_tEENKUlT_SF_SG_SH_E_clIS9_S9_SA_SA_EESE_SU_SF_SG_SH_EUlSU_E1_NS1_11comp_targetILNS1_3genE8ELNS1_11target_archE1030ELNS1_3gpuE2ELNS1_3repE0EEENS1_36merge_oddeven_config_static_selectorELNS0_4arch9wavefront6targetE0EEEvSG_.kd
    .uniform_work_group_size: 1
    .uses_dynamic_stack: false
    .vgpr_count:     0
    .vgpr_spill_count: 0
    .wavefront_size: 32
  - .args:
      - .offset:         0
        .size:           48
        .value_kind:     by_value
    .group_segment_fixed_size: 8192
    .kernarg_segment_align: 8
    .kernarg_segment_size: 48
    .language:       OpenCL C
    .language_version:
      - 2
      - 0
    .max_flat_workgroup_size: 512
    .name:           _ZN7rocprim17ROCPRIM_400000_NS6detail17trampoline_kernelINS0_14default_configENS1_35radix_sort_onesweep_config_selectorI12hip_bfloat16NS0_10empty_typeEEEZNS1_34radix_sort_onesweep_global_offsetsIS3_Lb0EPKS5_PS6_mNS0_19identity_decomposerEEE10hipError_tT1_T2_PT3_SG_jT4_jjP12ihipStream_tbEUlT_E_NS1_11comp_targetILNS1_3genE0ELNS1_11target_archE4294967295ELNS1_3gpuE0ELNS1_3repE0EEENS1_52radix_sort_onesweep_histogram_config_static_selectorELNS0_4arch9wavefront6targetE0EEEvSE_
    .private_segment_fixed_size: 0
    .sgpr_count:     15
    .sgpr_spill_count: 0
    .symbol:         _ZN7rocprim17ROCPRIM_400000_NS6detail17trampoline_kernelINS0_14default_configENS1_35radix_sort_onesweep_config_selectorI12hip_bfloat16NS0_10empty_typeEEEZNS1_34radix_sort_onesweep_global_offsetsIS3_Lb0EPKS5_PS6_mNS0_19identity_decomposerEEE10hipError_tT1_T2_PT3_SG_jT4_jjP12ihipStream_tbEUlT_E_NS1_11comp_targetILNS1_3genE0ELNS1_11target_archE4294967295ELNS1_3gpuE0ELNS1_3repE0EEENS1_52radix_sort_onesweep_histogram_config_static_selectorELNS0_4arch9wavefront6targetE0EEEvSE_.kd
    .uniform_work_group_size: 1
    .uses_dynamic_stack: false
    .vgpr_count:     28
    .vgpr_spill_count: 0
    .wavefront_size: 32
  - .args:
      - .offset:         0
        .size:           48
        .value_kind:     by_value
    .group_segment_fixed_size: 0
    .kernarg_segment_align: 8
    .kernarg_segment_size: 48
    .language:       OpenCL C
    .language_version:
      - 2
      - 0
    .max_flat_workgroup_size: 1024
    .name:           _ZN7rocprim17ROCPRIM_400000_NS6detail17trampoline_kernelINS0_14default_configENS1_35radix_sort_onesweep_config_selectorI12hip_bfloat16NS0_10empty_typeEEEZNS1_34radix_sort_onesweep_global_offsetsIS3_Lb0EPKS5_PS6_mNS0_19identity_decomposerEEE10hipError_tT1_T2_PT3_SG_jT4_jjP12ihipStream_tbEUlT_E_NS1_11comp_targetILNS1_3genE6ELNS1_11target_archE950ELNS1_3gpuE13ELNS1_3repE0EEENS1_52radix_sort_onesweep_histogram_config_static_selectorELNS0_4arch9wavefront6targetE0EEEvSE_
    .private_segment_fixed_size: 0
    .sgpr_count:     0
    .sgpr_spill_count: 0
    .symbol:         _ZN7rocprim17ROCPRIM_400000_NS6detail17trampoline_kernelINS0_14default_configENS1_35radix_sort_onesweep_config_selectorI12hip_bfloat16NS0_10empty_typeEEEZNS1_34radix_sort_onesweep_global_offsetsIS3_Lb0EPKS5_PS6_mNS0_19identity_decomposerEEE10hipError_tT1_T2_PT3_SG_jT4_jjP12ihipStream_tbEUlT_E_NS1_11comp_targetILNS1_3genE6ELNS1_11target_archE950ELNS1_3gpuE13ELNS1_3repE0EEENS1_52radix_sort_onesweep_histogram_config_static_selectorELNS0_4arch9wavefront6targetE0EEEvSE_.kd
    .uniform_work_group_size: 1
    .uses_dynamic_stack: false
    .vgpr_count:     0
    .vgpr_spill_count: 0
    .wavefront_size: 32
  - .args:
      - .offset:         0
        .size:           48
        .value_kind:     by_value
    .group_segment_fixed_size: 0
    .kernarg_segment_align: 8
    .kernarg_segment_size: 48
    .language:       OpenCL C
    .language_version:
      - 2
      - 0
    .max_flat_workgroup_size: 1024
    .name:           _ZN7rocprim17ROCPRIM_400000_NS6detail17trampoline_kernelINS0_14default_configENS1_35radix_sort_onesweep_config_selectorI12hip_bfloat16NS0_10empty_typeEEEZNS1_34radix_sort_onesweep_global_offsetsIS3_Lb0EPKS5_PS6_mNS0_19identity_decomposerEEE10hipError_tT1_T2_PT3_SG_jT4_jjP12ihipStream_tbEUlT_E_NS1_11comp_targetILNS1_3genE5ELNS1_11target_archE942ELNS1_3gpuE9ELNS1_3repE0EEENS1_52radix_sort_onesweep_histogram_config_static_selectorELNS0_4arch9wavefront6targetE0EEEvSE_
    .private_segment_fixed_size: 0
    .sgpr_count:     0
    .sgpr_spill_count: 0
    .symbol:         _ZN7rocprim17ROCPRIM_400000_NS6detail17trampoline_kernelINS0_14default_configENS1_35radix_sort_onesweep_config_selectorI12hip_bfloat16NS0_10empty_typeEEEZNS1_34radix_sort_onesweep_global_offsetsIS3_Lb0EPKS5_PS6_mNS0_19identity_decomposerEEE10hipError_tT1_T2_PT3_SG_jT4_jjP12ihipStream_tbEUlT_E_NS1_11comp_targetILNS1_3genE5ELNS1_11target_archE942ELNS1_3gpuE9ELNS1_3repE0EEENS1_52radix_sort_onesweep_histogram_config_static_selectorELNS0_4arch9wavefront6targetE0EEEvSE_.kd
    .uniform_work_group_size: 1
    .uses_dynamic_stack: false
    .vgpr_count:     0
    .vgpr_spill_count: 0
    .wavefront_size: 32
  - .args:
      - .offset:         0
        .size:           48
        .value_kind:     by_value
    .group_segment_fixed_size: 0
    .kernarg_segment_align: 8
    .kernarg_segment_size: 48
    .language:       OpenCL C
    .language_version:
      - 2
      - 0
    .max_flat_workgroup_size: 512
    .name:           _ZN7rocprim17ROCPRIM_400000_NS6detail17trampoline_kernelINS0_14default_configENS1_35radix_sort_onesweep_config_selectorI12hip_bfloat16NS0_10empty_typeEEEZNS1_34radix_sort_onesweep_global_offsetsIS3_Lb0EPKS5_PS6_mNS0_19identity_decomposerEEE10hipError_tT1_T2_PT3_SG_jT4_jjP12ihipStream_tbEUlT_E_NS1_11comp_targetILNS1_3genE2ELNS1_11target_archE906ELNS1_3gpuE6ELNS1_3repE0EEENS1_52radix_sort_onesweep_histogram_config_static_selectorELNS0_4arch9wavefront6targetE0EEEvSE_
    .private_segment_fixed_size: 0
    .sgpr_count:     0
    .sgpr_spill_count: 0
    .symbol:         _ZN7rocprim17ROCPRIM_400000_NS6detail17trampoline_kernelINS0_14default_configENS1_35radix_sort_onesweep_config_selectorI12hip_bfloat16NS0_10empty_typeEEEZNS1_34radix_sort_onesweep_global_offsetsIS3_Lb0EPKS5_PS6_mNS0_19identity_decomposerEEE10hipError_tT1_T2_PT3_SG_jT4_jjP12ihipStream_tbEUlT_E_NS1_11comp_targetILNS1_3genE2ELNS1_11target_archE906ELNS1_3gpuE6ELNS1_3repE0EEENS1_52radix_sort_onesweep_histogram_config_static_selectorELNS0_4arch9wavefront6targetE0EEEvSE_.kd
    .uniform_work_group_size: 1
    .uses_dynamic_stack: false
    .vgpr_count:     0
    .vgpr_spill_count: 0
    .wavefront_size: 32
  - .args:
      - .offset:         0
        .size:           48
        .value_kind:     by_value
    .group_segment_fixed_size: 0
    .kernarg_segment_align: 8
    .kernarg_segment_size: 48
    .language:       OpenCL C
    .language_version:
      - 2
      - 0
    .max_flat_workgroup_size: 1024
    .name:           _ZN7rocprim17ROCPRIM_400000_NS6detail17trampoline_kernelINS0_14default_configENS1_35radix_sort_onesweep_config_selectorI12hip_bfloat16NS0_10empty_typeEEEZNS1_34radix_sort_onesweep_global_offsetsIS3_Lb0EPKS5_PS6_mNS0_19identity_decomposerEEE10hipError_tT1_T2_PT3_SG_jT4_jjP12ihipStream_tbEUlT_E_NS1_11comp_targetILNS1_3genE4ELNS1_11target_archE910ELNS1_3gpuE8ELNS1_3repE0EEENS1_52radix_sort_onesweep_histogram_config_static_selectorELNS0_4arch9wavefront6targetE0EEEvSE_
    .private_segment_fixed_size: 0
    .sgpr_count:     0
    .sgpr_spill_count: 0
    .symbol:         _ZN7rocprim17ROCPRIM_400000_NS6detail17trampoline_kernelINS0_14default_configENS1_35radix_sort_onesweep_config_selectorI12hip_bfloat16NS0_10empty_typeEEEZNS1_34radix_sort_onesweep_global_offsetsIS3_Lb0EPKS5_PS6_mNS0_19identity_decomposerEEE10hipError_tT1_T2_PT3_SG_jT4_jjP12ihipStream_tbEUlT_E_NS1_11comp_targetILNS1_3genE4ELNS1_11target_archE910ELNS1_3gpuE8ELNS1_3repE0EEENS1_52radix_sort_onesweep_histogram_config_static_selectorELNS0_4arch9wavefront6targetE0EEEvSE_.kd
    .uniform_work_group_size: 1
    .uses_dynamic_stack: false
    .vgpr_count:     0
    .vgpr_spill_count: 0
    .wavefront_size: 32
  - .args:
      - .offset:         0
        .size:           48
        .value_kind:     by_value
    .group_segment_fixed_size: 0
    .kernarg_segment_align: 8
    .kernarg_segment_size: 48
    .language:       OpenCL C
    .language_version:
      - 2
      - 0
    .max_flat_workgroup_size: 512
    .name:           _ZN7rocprim17ROCPRIM_400000_NS6detail17trampoline_kernelINS0_14default_configENS1_35radix_sort_onesweep_config_selectorI12hip_bfloat16NS0_10empty_typeEEEZNS1_34radix_sort_onesweep_global_offsetsIS3_Lb0EPKS5_PS6_mNS0_19identity_decomposerEEE10hipError_tT1_T2_PT3_SG_jT4_jjP12ihipStream_tbEUlT_E_NS1_11comp_targetILNS1_3genE3ELNS1_11target_archE908ELNS1_3gpuE7ELNS1_3repE0EEENS1_52radix_sort_onesweep_histogram_config_static_selectorELNS0_4arch9wavefront6targetE0EEEvSE_
    .private_segment_fixed_size: 0
    .sgpr_count:     0
    .sgpr_spill_count: 0
    .symbol:         _ZN7rocprim17ROCPRIM_400000_NS6detail17trampoline_kernelINS0_14default_configENS1_35radix_sort_onesweep_config_selectorI12hip_bfloat16NS0_10empty_typeEEEZNS1_34radix_sort_onesweep_global_offsetsIS3_Lb0EPKS5_PS6_mNS0_19identity_decomposerEEE10hipError_tT1_T2_PT3_SG_jT4_jjP12ihipStream_tbEUlT_E_NS1_11comp_targetILNS1_3genE3ELNS1_11target_archE908ELNS1_3gpuE7ELNS1_3repE0EEENS1_52radix_sort_onesweep_histogram_config_static_selectorELNS0_4arch9wavefront6targetE0EEEvSE_.kd
    .uniform_work_group_size: 1
    .uses_dynamic_stack: false
    .vgpr_count:     0
    .vgpr_spill_count: 0
    .wavefront_size: 32
  - .args:
      - .offset:         0
        .size:           48
        .value_kind:     by_value
    .group_segment_fixed_size: 0
    .kernarg_segment_align: 8
    .kernarg_segment_size: 48
    .language:       OpenCL C
    .language_version:
      - 2
      - 0
    .max_flat_workgroup_size: 256
    .name:           _ZN7rocprim17ROCPRIM_400000_NS6detail17trampoline_kernelINS0_14default_configENS1_35radix_sort_onesweep_config_selectorI12hip_bfloat16NS0_10empty_typeEEEZNS1_34radix_sort_onesweep_global_offsetsIS3_Lb0EPKS5_PS6_mNS0_19identity_decomposerEEE10hipError_tT1_T2_PT3_SG_jT4_jjP12ihipStream_tbEUlT_E_NS1_11comp_targetILNS1_3genE10ELNS1_11target_archE1201ELNS1_3gpuE5ELNS1_3repE0EEENS1_52radix_sort_onesweep_histogram_config_static_selectorELNS0_4arch9wavefront6targetE0EEEvSE_
    .private_segment_fixed_size: 0
    .sgpr_count:     0
    .sgpr_spill_count: 0
    .symbol:         _ZN7rocprim17ROCPRIM_400000_NS6detail17trampoline_kernelINS0_14default_configENS1_35radix_sort_onesweep_config_selectorI12hip_bfloat16NS0_10empty_typeEEEZNS1_34radix_sort_onesweep_global_offsetsIS3_Lb0EPKS5_PS6_mNS0_19identity_decomposerEEE10hipError_tT1_T2_PT3_SG_jT4_jjP12ihipStream_tbEUlT_E_NS1_11comp_targetILNS1_3genE10ELNS1_11target_archE1201ELNS1_3gpuE5ELNS1_3repE0EEENS1_52radix_sort_onesweep_histogram_config_static_selectorELNS0_4arch9wavefront6targetE0EEEvSE_.kd
    .uniform_work_group_size: 1
    .uses_dynamic_stack: false
    .vgpr_count:     0
    .vgpr_spill_count: 0
    .wavefront_size: 32
  - .args:
      - .offset:         0
        .size:           48
        .value_kind:     by_value
    .group_segment_fixed_size: 0
    .kernarg_segment_align: 8
    .kernarg_segment_size: 48
    .language:       OpenCL C
    .language_version:
      - 2
      - 0
    .max_flat_workgroup_size: 256
    .name:           _ZN7rocprim17ROCPRIM_400000_NS6detail17trampoline_kernelINS0_14default_configENS1_35radix_sort_onesweep_config_selectorI12hip_bfloat16NS0_10empty_typeEEEZNS1_34radix_sort_onesweep_global_offsetsIS3_Lb0EPKS5_PS6_mNS0_19identity_decomposerEEE10hipError_tT1_T2_PT3_SG_jT4_jjP12ihipStream_tbEUlT_E_NS1_11comp_targetILNS1_3genE9ELNS1_11target_archE1100ELNS1_3gpuE3ELNS1_3repE0EEENS1_52radix_sort_onesweep_histogram_config_static_selectorELNS0_4arch9wavefront6targetE0EEEvSE_
    .private_segment_fixed_size: 0
    .sgpr_count:     0
    .sgpr_spill_count: 0
    .symbol:         _ZN7rocprim17ROCPRIM_400000_NS6detail17trampoline_kernelINS0_14default_configENS1_35radix_sort_onesweep_config_selectorI12hip_bfloat16NS0_10empty_typeEEEZNS1_34radix_sort_onesweep_global_offsetsIS3_Lb0EPKS5_PS6_mNS0_19identity_decomposerEEE10hipError_tT1_T2_PT3_SG_jT4_jjP12ihipStream_tbEUlT_E_NS1_11comp_targetILNS1_3genE9ELNS1_11target_archE1100ELNS1_3gpuE3ELNS1_3repE0EEENS1_52radix_sort_onesweep_histogram_config_static_selectorELNS0_4arch9wavefront6targetE0EEEvSE_.kd
    .uniform_work_group_size: 1
    .uses_dynamic_stack: false
    .vgpr_count:     0
    .vgpr_spill_count: 0
    .wavefront_size: 32
  - .args:
      - .offset:         0
        .size:           48
        .value_kind:     by_value
    .group_segment_fixed_size: 0
    .kernarg_segment_align: 8
    .kernarg_segment_size: 48
    .language:       OpenCL C
    .language_version:
      - 2
      - 0
    .max_flat_workgroup_size: 256
    .name:           _ZN7rocprim17ROCPRIM_400000_NS6detail17trampoline_kernelINS0_14default_configENS1_35radix_sort_onesweep_config_selectorI12hip_bfloat16NS0_10empty_typeEEEZNS1_34radix_sort_onesweep_global_offsetsIS3_Lb0EPKS5_PS6_mNS0_19identity_decomposerEEE10hipError_tT1_T2_PT3_SG_jT4_jjP12ihipStream_tbEUlT_E_NS1_11comp_targetILNS1_3genE8ELNS1_11target_archE1030ELNS1_3gpuE2ELNS1_3repE0EEENS1_52radix_sort_onesweep_histogram_config_static_selectorELNS0_4arch9wavefront6targetE0EEEvSE_
    .private_segment_fixed_size: 0
    .sgpr_count:     0
    .sgpr_spill_count: 0
    .symbol:         _ZN7rocprim17ROCPRIM_400000_NS6detail17trampoline_kernelINS0_14default_configENS1_35radix_sort_onesweep_config_selectorI12hip_bfloat16NS0_10empty_typeEEEZNS1_34radix_sort_onesweep_global_offsetsIS3_Lb0EPKS5_PS6_mNS0_19identity_decomposerEEE10hipError_tT1_T2_PT3_SG_jT4_jjP12ihipStream_tbEUlT_E_NS1_11comp_targetILNS1_3genE8ELNS1_11target_archE1030ELNS1_3gpuE2ELNS1_3repE0EEENS1_52radix_sort_onesweep_histogram_config_static_selectorELNS0_4arch9wavefront6targetE0EEEvSE_.kd
    .uniform_work_group_size: 1
    .uses_dynamic_stack: false
    .vgpr_count:     0
    .vgpr_spill_count: 0
    .wavefront_size: 32
  - .args:
      - .address_space:  global
        .offset:         0
        .size:           8
        .value_kind:     global_buffer
    .group_segment_fixed_size: 128
    .kernarg_segment_align: 8
    .kernarg_segment_size: 8
    .language:       OpenCL C
    .language_version:
      - 2
      - 0
    .max_flat_workgroup_size: 512
    .name:           _ZN7rocprim17ROCPRIM_400000_NS6detail17trampoline_kernelINS0_14default_configENS1_35radix_sort_onesweep_config_selectorI12hip_bfloat16NS0_10empty_typeEEEZNS1_34radix_sort_onesweep_global_offsetsIS3_Lb0EPKS5_PS6_mNS0_19identity_decomposerEEE10hipError_tT1_T2_PT3_SG_jT4_jjP12ihipStream_tbEUlT_E0_NS1_11comp_targetILNS1_3genE0ELNS1_11target_archE4294967295ELNS1_3gpuE0ELNS1_3repE0EEENS1_52radix_sort_onesweep_histogram_config_static_selectorELNS0_4arch9wavefront6targetE0EEEvSE_
    .private_segment_fixed_size: 0
    .sgpr_count:     10
    .sgpr_spill_count: 0
    .symbol:         _ZN7rocprim17ROCPRIM_400000_NS6detail17trampoline_kernelINS0_14default_configENS1_35radix_sort_onesweep_config_selectorI12hip_bfloat16NS0_10empty_typeEEEZNS1_34radix_sort_onesweep_global_offsetsIS3_Lb0EPKS5_PS6_mNS0_19identity_decomposerEEE10hipError_tT1_T2_PT3_SG_jT4_jjP12ihipStream_tbEUlT_E0_NS1_11comp_targetILNS1_3genE0ELNS1_11target_archE4294967295ELNS1_3gpuE0ELNS1_3repE0EEENS1_52radix_sort_onesweep_histogram_config_static_selectorELNS0_4arch9wavefront6targetE0EEEvSE_.kd
    .uniform_work_group_size: 1
    .uses_dynamic_stack: false
    .vgpr_count:     14
    .vgpr_spill_count: 0
    .wavefront_size: 32
  - .args:
      - .address_space:  global
        .offset:         0
        .size:           8
        .value_kind:     global_buffer
    .group_segment_fixed_size: 0
    .kernarg_segment_align: 8
    .kernarg_segment_size: 8
    .language:       OpenCL C
    .language_version:
      - 2
      - 0
    .max_flat_workgroup_size: 1024
    .name:           _ZN7rocprim17ROCPRIM_400000_NS6detail17trampoline_kernelINS0_14default_configENS1_35radix_sort_onesweep_config_selectorI12hip_bfloat16NS0_10empty_typeEEEZNS1_34radix_sort_onesweep_global_offsetsIS3_Lb0EPKS5_PS6_mNS0_19identity_decomposerEEE10hipError_tT1_T2_PT3_SG_jT4_jjP12ihipStream_tbEUlT_E0_NS1_11comp_targetILNS1_3genE6ELNS1_11target_archE950ELNS1_3gpuE13ELNS1_3repE0EEENS1_52radix_sort_onesweep_histogram_config_static_selectorELNS0_4arch9wavefront6targetE0EEEvSE_
    .private_segment_fixed_size: 0
    .sgpr_count:     0
    .sgpr_spill_count: 0
    .symbol:         _ZN7rocprim17ROCPRIM_400000_NS6detail17trampoline_kernelINS0_14default_configENS1_35radix_sort_onesweep_config_selectorI12hip_bfloat16NS0_10empty_typeEEEZNS1_34radix_sort_onesweep_global_offsetsIS3_Lb0EPKS5_PS6_mNS0_19identity_decomposerEEE10hipError_tT1_T2_PT3_SG_jT4_jjP12ihipStream_tbEUlT_E0_NS1_11comp_targetILNS1_3genE6ELNS1_11target_archE950ELNS1_3gpuE13ELNS1_3repE0EEENS1_52radix_sort_onesweep_histogram_config_static_selectorELNS0_4arch9wavefront6targetE0EEEvSE_.kd
    .uniform_work_group_size: 1
    .uses_dynamic_stack: false
    .vgpr_count:     0
    .vgpr_spill_count: 0
    .wavefront_size: 32
  - .args:
      - .address_space:  global
        .offset:         0
        .size:           8
        .value_kind:     global_buffer
    .group_segment_fixed_size: 0
    .kernarg_segment_align: 8
    .kernarg_segment_size: 8
    .language:       OpenCL C
    .language_version:
      - 2
      - 0
    .max_flat_workgroup_size: 1024
    .name:           _ZN7rocprim17ROCPRIM_400000_NS6detail17trampoline_kernelINS0_14default_configENS1_35radix_sort_onesweep_config_selectorI12hip_bfloat16NS0_10empty_typeEEEZNS1_34radix_sort_onesweep_global_offsetsIS3_Lb0EPKS5_PS6_mNS0_19identity_decomposerEEE10hipError_tT1_T2_PT3_SG_jT4_jjP12ihipStream_tbEUlT_E0_NS1_11comp_targetILNS1_3genE5ELNS1_11target_archE942ELNS1_3gpuE9ELNS1_3repE0EEENS1_52radix_sort_onesweep_histogram_config_static_selectorELNS0_4arch9wavefront6targetE0EEEvSE_
    .private_segment_fixed_size: 0
    .sgpr_count:     0
    .sgpr_spill_count: 0
    .symbol:         _ZN7rocprim17ROCPRIM_400000_NS6detail17trampoline_kernelINS0_14default_configENS1_35radix_sort_onesweep_config_selectorI12hip_bfloat16NS0_10empty_typeEEEZNS1_34radix_sort_onesweep_global_offsetsIS3_Lb0EPKS5_PS6_mNS0_19identity_decomposerEEE10hipError_tT1_T2_PT3_SG_jT4_jjP12ihipStream_tbEUlT_E0_NS1_11comp_targetILNS1_3genE5ELNS1_11target_archE942ELNS1_3gpuE9ELNS1_3repE0EEENS1_52radix_sort_onesweep_histogram_config_static_selectorELNS0_4arch9wavefront6targetE0EEEvSE_.kd
    .uniform_work_group_size: 1
    .uses_dynamic_stack: false
    .vgpr_count:     0
    .vgpr_spill_count: 0
    .wavefront_size: 32
  - .args:
      - .address_space:  global
        .offset:         0
        .size:           8
        .value_kind:     global_buffer
    .group_segment_fixed_size: 0
    .kernarg_segment_align: 8
    .kernarg_segment_size: 8
    .language:       OpenCL C
    .language_version:
      - 2
      - 0
    .max_flat_workgroup_size: 512
    .name:           _ZN7rocprim17ROCPRIM_400000_NS6detail17trampoline_kernelINS0_14default_configENS1_35radix_sort_onesweep_config_selectorI12hip_bfloat16NS0_10empty_typeEEEZNS1_34radix_sort_onesweep_global_offsetsIS3_Lb0EPKS5_PS6_mNS0_19identity_decomposerEEE10hipError_tT1_T2_PT3_SG_jT4_jjP12ihipStream_tbEUlT_E0_NS1_11comp_targetILNS1_3genE2ELNS1_11target_archE906ELNS1_3gpuE6ELNS1_3repE0EEENS1_52radix_sort_onesweep_histogram_config_static_selectorELNS0_4arch9wavefront6targetE0EEEvSE_
    .private_segment_fixed_size: 0
    .sgpr_count:     0
    .sgpr_spill_count: 0
    .symbol:         _ZN7rocprim17ROCPRIM_400000_NS6detail17trampoline_kernelINS0_14default_configENS1_35radix_sort_onesweep_config_selectorI12hip_bfloat16NS0_10empty_typeEEEZNS1_34radix_sort_onesweep_global_offsetsIS3_Lb0EPKS5_PS6_mNS0_19identity_decomposerEEE10hipError_tT1_T2_PT3_SG_jT4_jjP12ihipStream_tbEUlT_E0_NS1_11comp_targetILNS1_3genE2ELNS1_11target_archE906ELNS1_3gpuE6ELNS1_3repE0EEENS1_52radix_sort_onesweep_histogram_config_static_selectorELNS0_4arch9wavefront6targetE0EEEvSE_.kd
    .uniform_work_group_size: 1
    .uses_dynamic_stack: false
    .vgpr_count:     0
    .vgpr_spill_count: 0
    .wavefront_size: 32
  - .args:
      - .address_space:  global
        .offset:         0
        .size:           8
        .value_kind:     global_buffer
    .group_segment_fixed_size: 0
    .kernarg_segment_align: 8
    .kernarg_segment_size: 8
    .language:       OpenCL C
    .language_version:
      - 2
      - 0
    .max_flat_workgroup_size: 1024
    .name:           _ZN7rocprim17ROCPRIM_400000_NS6detail17trampoline_kernelINS0_14default_configENS1_35radix_sort_onesweep_config_selectorI12hip_bfloat16NS0_10empty_typeEEEZNS1_34radix_sort_onesweep_global_offsetsIS3_Lb0EPKS5_PS6_mNS0_19identity_decomposerEEE10hipError_tT1_T2_PT3_SG_jT4_jjP12ihipStream_tbEUlT_E0_NS1_11comp_targetILNS1_3genE4ELNS1_11target_archE910ELNS1_3gpuE8ELNS1_3repE0EEENS1_52radix_sort_onesweep_histogram_config_static_selectorELNS0_4arch9wavefront6targetE0EEEvSE_
    .private_segment_fixed_size: 0
    .sgpr_count:     0
    .sgpr_spill_count: 0
    .symbol:         _ZN7rocprim17ROCPRIM_400000_NS6detail17trampoline_kernelINS0_14default_configENS1_35radix_sort_onesweep_config_selectorI12hip_bfloat16NS0_10empty_typeEEEZNS1_34radix_sort_onesweep_global_offsetsIS3_Lb0EPKS5_PS6_mNS0_19identity_decomposerEEE10hipError_tT1_T2_PT3_SG_jT4_jjP12ihipStream_tbEUlT_E0_NS1_11comp_targetILNS1_3genE4ELNS1_11target_archE910ELNS1_3gpuE8ELNS1_3repE0EEENS1_52radix_sort_onesweep_histogram_config_static_selectorELNS0_4arch9wavefront6targetE0EEEvSE_.kd
    .uniform_work_group_size: 1
    .uses_dynamic_stack: false
    .vgpr_count:     0
    .vgpr_spill_count: 0
    .wavefront_size: 32
  - .args:
      - .address_space:  global
        .offset:         0
        .size:           8
        .value_kind:     global_buffer
    .group_segment_fixed_size: 0
    .kernarg_segment_align: 8
    .kernarg_segment_size: 8
    .language:       OpenCL C
    .language_version:
      - 2
      - 0
    .max_flat_workgroup_size: 512
    .name:           _ZN7rocprim17ROCPRIM_400000_NS6detail17trampoline_kernelINS0_14default_configENS1_35radix_sort_onesweep_config_selectorI12hip_bfloat16NS0_10empty_typeEEEZNS1_34radix_sort_onesweep_global_offsetsIS3_Lb0EPKS5_PS6_mNS0_19identity_decomposerEEE10hipError_tT1_T2_PT3_SG_jT4_jjP12ihipStream_tbEUlT_E0_NS1_11comp_targetILNS1_3genE3ELNS1_11target_archE908ELNS1_3gpuE7ELNS1_3repE0EEENS1_52radix_sort_onesweep_histogram_config_static_selectorELNS0_4arch9wavefront6targetE0EEEvSE_
    .private_segment_fixed_size: 0
    .sgpr_count:     0
    .sgpr_spill_count: 0
    .symbol:         _ZN7rocprim17ROCPRIM_400000_NS6detail17trampoline_kernelINS0_14default_configENS1_35radix_sort_onesweep_config_selectorI12hip_bfloat16NS0_10empty_typeEEEZNS1_34radix_sort_onesweep_global_offsetsIS3_Lb0EPKS5_PS6_mNS0_19identity_decomposerEEE10hipError_tT1_T2_PT3_SG_jT4_jjP12ihipStream_tbEUlT_E0_NS1_11comp_targetILNS1_3genE3ELNS1_11target_archE908ELNS1_3gpuE7ELNS1_3repE0EEENS1_52radix_sort_onesweep_histogram_config_static_selectorELNS0_4arch9wavefront6targetE0EEEvSE_.kd
    .uniform_work_group_size: 1
    .uses_dynamic_stack: false
    .vgpr_count:     0
    .vgpr_spill_count: 0
    .wavefront_size: 32
  - .args:
      - .address_space:  global
        .offset:         0
        .size:           8
        .value_kind:     global_buffer
    .group_segment_fixed_size: 0
    .kernarg_segment_align: 8
    .kernarg_segment_size: 8
    .language:       OpenCL C
    .language_version:
      - 2
      - 0
    .max_flat_workgroup_size: 256
    .name:           _ZN7rocprim17ROCPRIM_400000_NS6detail17trampoline_kernelINS0_14default_configENS1_35radix_sort_onesweep_config_selectorI12hip_bfloat16NS0_10empty_typeEEEZNS1_34radix_sort_onesweep_global_offsetsIS3_Lb0EPKS5_PS6_mNS0_19identity_decomposerEEE10hipError_tT1_T2_PT3_SG_jT4_jjP12ihipStream_tbEUlT_E0_NS1_11comp_targetILNS1_3genE10ELNS1_11target_archE1201ELNS1_3gpuE5ELNS1_3repE0EEENS1_52radix_sort_onesweep_histogram_config_static_selectorELNS0_4arch9wavefront6targetE0EEEvSE_
    .private_segment_fixed_size: 0
    .sgpr_count:     0
    .sgpr_spill_count: 0
    .symbol:         _ZN7rocprim17ROCPRIM_400000_NS6detail17trampoline_kernelINS0_14default_configENS1_35radix_sort_onesweep_config_selectorI12hip_bfloat16NS0_10empty_typeEEEZNS1_34radix_sort_onesweep_global_offsetsIS3_Lb0EPKS5_PS6_mNS0_19identity_decomposerEEE10hipError_tT1_T2_PT3_SG_jT4_jjP12ihipStream_tbEUlT_E0_NS1_11comp_targetILNS1_3genE10ELNS1_11target_archE1201ELNS1_3gpuE5ELNS1_3repE0EEENS1_52radix_sort_onesweep_histogram_config_static_selectorELNS0_4arch9wavefront6targetE0EEEvSE_.kd
    .uniform_work_group_size: 1
    .uses_dynamic_stack: false
    .vgpr_count:     0
    .vgpr_spill_count: 0
    .wavefront_size: 32
  - .args:
      - .address_space:  global
        .offset:         0
        .size:           8
        .value_kind:     global_buffer
    .group_segment_fixed_size: 0
    .kernarg_segment_align: 8
    .kernarg_segment_size: 8
    .language:       OpenCL C
    .language_version:
      - 2
      - 0
    .max_flat_workgroup_size: 256
    .name:           _ZN7rocprim17ROCPRIM_400000_NS6detail17trampoline_kernelINS0_14default_configENS1_35radix_sort_onesweep_config_selectorI12hip_bfloat16NS0_10empty_typeEEEZNS1_34radix_sort_onesweep_global_offsetsIS3_Lb0EPKS5_PS6_mNS0_19identity_decomposerEEE10hipError_tT1_T2_PT3_SG_jT4_jjP12ihipStream_tbEUlT_E0_NS1_11comp_targetILNS1_3genE9ELNS1_11target_archE1100ELNS1_3gpuE3ELNS1_3repE0EEENS1_52radix_sort_onesweep_histogram_config_static_selectorELNS0_4arch9wavefront6targetE0EEEvSE_
    .private_segment_fixed_size: 0
    .sgpr_count:     0
    .sgpr_spill_count: 0
    .symbol:         _ZN7rocprim17ROCPRIM_400000_NS6detail17trampoline_kernelINS0_14default_configENS1_35radix_sort_onesweep_config_selectorI12hip_bfloat16NS0_10empty_typeEEEZNS1_34radix_sort_onesweep_global_offsetsIS3_Lb0EPKS5_PS6_mNS0_19identity_decomposerEEE10hipError_tT1_T2_PT3_SG_jT4_jjP12ihipStream_tbEUlT_E0_NS1_11comp_targetILNS1_3genE9ELNS1_11target_archE1100ELNS1_3gpuE3ELNS1_3repE0EEENS1_52radix_sort_onesweep_histogram_config_static_selectorELNS0_4arch9wavefront6targetE0EEEvSE_.kd
    .uniform_work_group_size: 1
    .uses_dynamic_stack: false
    .vgpr_count:     0
    .vgpr_spill_count: 0
    .wavefront_size: 32
  - .args:
      - .address_space:  global
        .offset:         0
        .size:           8
        .value_kind:     global_buffer
    .group_segment_fixed_size: 0
    .kernarg_segment_align: 8
    .kernarg_segment_size: 8
    .language:       OpenCL C
    .language_version:
      - 2
      - 0
    .max_flat_workgroup_size: 256
    .name:           _ZN7rocprim17ROCPRIM_400000_NS6detail17trampoline_kernelINS0_14default_configENS1_35radix_sort_onesweep_config_selectorI12hip_bfloat16NS0_10empty_typeEEEZNS1_34radix_sort_onesweep_global_offsetsIS3_Lb0EPKS5_PS6_mNS0_19identity_decomposerEEE10hipError_tT1_T2_PT3_SG_jT4_jjP12ihipStream_tbEUlT_E0_NS1_11comp_targetILNS1_3genE8ELNS1_11target_archE1030ELNS1_3gpuE2ELNS1_3repE0EEENS1_52radix_sort_onesweep_histogram_config_static_selectorELNS0_4arch9wavefront6targetE0EEEvSE_
    .private_segment_fixed_size: 0
    .sgpr_count:     0
    .sgpr_spill_count: 0
    .symbol:         _ZN7rocprim17ROCPRIM_400000_NS6detail17trampoline_kernelINS0_14default_configENS1_35radix_sort_onesweep_config_selectorI12hip_bfloat16NS0_10empty_typeEEEZNS1_34radix_sort_onesweep_global_offsetsIS3_Lb0EPKS5_PS6_mNS0_19identity_decomposerEEE10hipError_tT1_T2_PT3_SG_jT4_jjP12ihipStream_tbEUlT_E0_NS1_11comp_targetILNS1_3genE8ELNS1_11target_archE1030ELNS1_3gpuE2ELNS1_3repE0EEENS1_52radix_sort_onesweep_histogram_config_static_selectorELNS0_4arch9wavefront6targetE0EEEvSE_.kd
    .uniform_work_group_size: 1
    .uses_dynamic_stack: false
    .vgpr_count:     0
    .vgpr_spill_count: 0
    .wavefront_size: 32
  - .args:
      - .offset:         0
        .size:           88
        .value_kind:     by_value
      - .offset:         88
        .size:           4
        .value_kind:     hidden_block_count_x
      - .offset:         92
        .size:           4
        .value_kind:     hidden_block_count_y
      - .offset:         96
        .size:           4
        .value_kind:     hidden_block_count_z
      - .offset:         100
        .size:           2
        .value_kind:     hidden_group_size_x
      - .offset:         102
        .size:           2
        .value_kind:     hidden_group_size_y
      - .offset:         104
        .size:           2
        .value_kind:     hidden_group_size_z
      - .offset:         106
        .size:           2
        .value_kind:     hidden_remainder_x
      - .offset:         108
        .size:           2
        .value_kind:     hidden_remainder_y
      - .offset:         110
        .size:           2
        .value_kind:     hidden_remainder_z
      - .offset:         128
        .size:           8
        .value_kind:     hidden_global_offset_x
      - .offset:         136
        .size:           8
        .value_kind:     hidden_global_offset_y
      - .offset:         144
        .size:           8
        .value_kind:     hidden_global_offset_z
      - .offset:         152
        .size:           2
        .value_kind:     hidden_grid_dims
    .group_segment_fixed_size: 18504
    .kernarg_segment_align: 8
    .kernarg_segment_size: 344
    .language:       OpenCL C
    .language_version:
      - 2
      - 0
    .max_flat_workgroup_size: 512
    .name:           _ZN7rocprim17ROCPRIM_400000_NS6detail17trampoline_kernelINS0_14default_configENS1_35radix_sort_onesweep_config_selectorI12hip_bfloat16NS0_10empty_typeEEEZZNS1_29radix_sort_onesweep_iterationIS3_Lb0EPKS5_PS5_PS6_SC_mNS0_19identity_decomposerENS1_16block_id_wrapperIjLb1EEEEE10hipError_tT1_PNSt15iterator_traitsISH_E10value_typeET2_T3_PNSI_ISN_E10value_typeET4_T5_PSS_ST_PNS1_23onesweep_lookback_stateEbbT6_jjT7_P12ihipStream_tbENKUlT_T0_SH_SM_E_clISA_SB_SC_SC_EEDaS10_S11_SH_SM_EUlS10_E_NS1_11comp_targetILNS1_3genE0ELNS1_11target_archE4294967295ELNS1_3gpuE0ELNS1_3repE0EEENS1_47radix_sort_onesweep_sort_config_static_selectorELNS0_4arch9wavefront6targetE0EEEvSH_
    .private_segment_fixed_size: 0
    .sgpr_count:     32
    .sgpr_spill_count: 0
    .symbol:         _ZN7rocprim17ROCPRIM_400000_NS6detail17trampoline_kernelINS0_14default_configENS1_35radix_sort_onesweep_config_selectorI12hip_bfloat16NS0_10empty_typeEEEZZNS1_29radix_sort_onesweep_iterationIS3_Lb0EPKS5_PS5_PS6_SC_mNS0_19identity_decomposerENS1_16block_id_wrapperIjLb1EEEEE10hipError_tT1_PNSt15iterator_traitsISH_E10value_typeET2_T3_PNSI_ISN_E10value_typeET4_T5_PSS_ST_PNS1_23onesweep_lookback_stateEbbT6_jjT7_P12ihipStream_tbENKUlT_T0_SH_SM_E_clISA_SB_SC_SC_EEDaS10_S11_SH_SM_EUlS10_E_NS1_11comp_targetILNS1_3genE0ELNS1_11target_archE4294967295ELNS1_3gpuE0ELNS1_3repE0EEENS1_47radix_sort_onesweep_sort_config_static_selectorELNS0_4arch9wavefront6targetE0EEEvSH_.kd
    .uniform_work_group_size: 1
    .uses_dynamic_stack: false
    .vgpr_count:     65
    .vgpr_spill_count: 0
    .wavefront_size: 32
  - .args:
      - .offset:         0
        .size:           88
        .value_kind:     by_value
    .group_segment_fixed_size: 0
    .kernarg_segment_align: 8
    .kernarg_segment_size: 88
    .language:       OpenCL C
    .language_version:
      - 2
      - 0
    .max_flat_workgroup_size: 1024
    .name:           _ZN7rocprim17ROCPRIM_400000_NS6detail17trampoline_kernelINS0_14default_configENS1_35radix_sort_onesweep_config_selectorI12hip_bfloat16NS0_10empty_typeEEEZZNS1_29radix_sort_onesweep_iterationIS3_Lb0EPKS5_PS5_PS6_SC_mNS0_19identity_decomposerENS1_16block_id_wrapperIjLb1EEEEE10hipError_tT1_PNSt15iterator_traitsISH_E10value_typeET2_T3_PNSI_ISN_E10value_typeET4_T5_PSS_ST_PNS1_23onesweep_lookback_stateEbbT6_jjT7_P12ihipStream_tbENKUlT_T0_SH_SM_E_clISA_SB_SC_SC_EEDaS10_S11_SH_SM_EUlS10_E_NS1_11comp_targetILNS1_3genE6ELNS1_11target_archE950ELNS1_3gpuE13ELNS1_3repE0EEENS1_47radix_sort_onesweep_sort_config_static_selectorELNS0_4arch9wavefront6targetE0EEEvSH_
    .private_segment_fixed_size: 0
    .sgpr_count:     0
    .sgpr_spill_count: 0
    .symbol:         _ZN7rocprim17ROCPRIM_400000_NS6detail17trampoline_kernelINS0_14default_configENS1_35radix_sort_onesweep_config_selectorI12hip_bfloat16NS0_10empty_typeEEEZZNS1_29radix_sort_onesweep_iterationIS3_Lb0EPKS5_PS5_PS6_SC_mNS0_19identity_decomposerENS1_16block_id_wrapperIjLb1EEEEE10hipError_tT1_PNSt15iterator_traitsISH_E10value_typeET2_T3_PNSI_ISN_E10value_typeET4_T5_PSS_ST_PNS1_23onesweep_lookback_stateEbbT6_jjT7_P12ihipStream_tbENKUlT_T0_SH_SM_E_clISA_SB_SC_SC_EEDaS10_S11_SH_SM_EUlS10_E_NS1_11comp_targetILNS1_3genE6ELNS1_11target_archE950ELNS1_3gpuE13ELNS1_3repE0EEENS1_47radix_sort_onesweep_sort_config_static_selectorELNS0_4arch9wavefront6targetE0EEEvSH_.kd
    .uniform_work_group_size: 1
    .uses_dynamic_stack: false
    .vgpr_count:     0
    .vgpr_spill_count: 0
    .wavefront_size: 32
  - .args:
      - .offset:         0
        .size:           88
        .value_kind:     by_value
    .group_segment_fixed_size: 0
    .kernarg_segment_align: 8
    .kernarg_segment_size: 88
    .language:       OpenCL C
    .language_version:
      - 2
      - 0
    .max_flat_workgroup_size: 1024
    .name:           _ZN7rocprim17ROCPRIM_400000_NS6detail17trampoline_kernelINS0_14default_configENS1_35radix_sort_onesweep_config_selectorI12hip_bfloat16NS0_10empty_typeEEEZZNS1_29radix_sort_onesweep_iterationIS3_Lb0EPKS5_PS5_PS6_SC_mNS0_19identity_decomposerENS1_16block_id_wrapperIjLb1EEEEE10hipError_tT1_PNSt15iterator_traitsISH_E10value_typeET2_T3_PNSI_ISN_E10value_typeET4_T5_PSS_ST_PNS1_23onesweep_lookback_stateEbbT6_jjT7_P12ihipStream_tbENKUlT_T0_SH_SM_E_clISA_SB_SC_SC_EEDaS10_S11_SH_SM_EUlS10_E_NS1_11comp_targetILNS1_3genE5ELNS1_11target_archE942ELNS1_3gpuE9ELNS1_3repE0EEENS1_47radix_sort_onesweep_sort_config_static_selectorELNS0_4arch9wavefront6targetE0EEEvSH_
    .private_segment_fixed_size: 0
    .sgpr_count:     0
    .sgpr_spill_count: 0
    .symbol:         _ZN7rocprim17ROCPRIM_400000_NS6detail17trampoline_kernelINS0_14default_configENS1_35radix_sort_onesweep_config_selectorI12hip_bfloat16NS0_10empty_typeEEEZZNS1_29radix_sort_onesweep_iterationIS3_Lb0EPKS5_PS5_PS6_SC_mNS0_19identity_decomposerENS1_16block_id_wrapperIjLb1EEEEE10hipError_tT1_PNSt15iterator_traitsISH_E10value_typeET2_T3_PNSI_ISN_E10value_typeET4_T5_PSS_ST_PNS1_23onesweep_lookback_stateEbbT6_jjT7_P12ihipStream_tbENKUlT_T0_SH_SM_E_clISA_SB_SC_SC_EEDaS10_S11_SH_SM_EUlS10_E_NS1_11comp_targetILNS1_3genE5ELNS1_11target_archE942ELNS1_3gpuE9ELNS1_3repE0EEENS1_47radix_sort_onesweep_sort_config_static_selectorELNS0_4arch9wavefront6targetE0EEEvSH_.kd
    .uniform_work_group_size: 1
    .uses_dynamic_stack: false
    .vgpr_count:     0
    .vgpr_spill_count: 0
    .wavefront_size: 32
  - .args:
      - .offset:         0
        .size:           88
        .value_kind:     by_value
    .group_segment_fixed_size: 0
    .kernarg_segment_align: 8
    .kernarg_segment_size: 88
    .language:       OpenCL C
    .language_version:
      - 2
      - 0
    .max_flat_workgroup_size: 512
    .name:           _ZN7rocprim17ROCPRIM_400000_NS6detail17trampoline_kernelINS0_14default_configENS1_35radix_sort_onesweep_config_selectorI12hip_bfloat16NS0_10empty_typeEEEZZNS1_29radix_sort_onesweep_iterationIS3_Lb0EPKS5_PS5_PS6_SC_mNS0_19identity_decomposerENS1_16block_id_wrapperIjLb1EEEEE10hipError_tT1_PNSt15iterator_traitsISH_E10value_typeET2_T3_PNSI_ISN_E10value_typeET4_T5_PSS_ST_PNS1_23onesweep_lookback_stateEbbT6_jjT7_P12ihipStream_tbENKUlT_T0_SH_SM_E_clISA_SB_SC_SC_EEDaS10_S11_SH_SM_EUlS10_E_NS1_11comp_targetILNS1_3genE2ELNS1_11target_archE906ELNS1_3gpuE6ELNS1_3repE0EEENS1_47radix_sort_onesweep_sort_config_static_selectorELNS0_4arch9wavefront6targetE0EEEvSH_
    .private_segment_fixed_size: 0
    .sgpr_count:     0
    .sgpr_spill_count: 0
    .symbol:         _ZN7rocprim17ROCPRIM_400000_NS6detail17trampoline_kernelINS0_14default_configENS1_35radix_sort_onesweep_config_selectorI12hip_bfloat16NS0_10empty_typeEEEZZNS1_29radix_sort_onesweep_iterationIS3_Lb0EPKS5_PS5_PS6_SC_mNS0_19identity_decomposerENS1_16block_id_wrapperIjLb1EEEEE10hipError_tT1_PNSt15iterator_traitsISH_E10value_typeET2_T3_PNSI_ISN_E10value_typeET4_T5_PSS_ST_PNS1_23onesweep_lookback_stateEbbT6_jjT7_P12ihipStream_tbENKUlT_T0_SH_SM_E_clISA_SB_SC_SC_EEDaS10_S11_SH_SM_EUlS10_E_NS1_11comp_targetILNS1_3genE2ELNS1_11target_archE906ELNS1_3gpuE6ELNS1_3repE0EEENS1_47radix_sort_onesweep_sort_config_static_selectorELNS0_4arch9wavefront6targetE0EEEvSH_.kd
    .uniform_work_group_size: 1
    .uses_dynamic_stack: false
    .vgpr_count:     0
    .vgpr_spill_count: 0
    .wavefront_size: 32
  - .args:
      - .offset:         0
        .size:           88
        .value_kind:     by_value
    .group_segment_fixed_size: 0
    .kernarg_segment_align: 8
    .kernarg_segment_size: 88
    .language:       OpenCL C
    .language_version:
      - 2
      - 0
    .max_flat_workgroup_size: 1024
    .name:           _ZN7rocprim17ROCPRIM_400000_NS6detail17trampoline_kernelINS0_14default_configENS1_35radix_sort_onesweep_config_selectorI12hip_bfloat16NS0_10empty_typeEEEZZNS1_29radix_sort_onesweep_iterationIS3_Lb0EPKS5_PS5_PS6_SC_mNS0_19identity_decomposerENS1_16block_id_wrapperIjLb1EEEEE10hipError_tT1_PNSt15iterator_traitsISH_E10value_typeET2_T3_PNSI_ISN_E10value_typeET4_T5_PSS_ST_PNS1_23onesweep_lookback_stateEbbT6_jjT7_P12ihipStream_tbENKUlT_T0_SH_SM_E_clISA_SB_SC_SC_EEDaS10_S11_SH_SM_EUlS10_E_NS1_11comp_targetILNS1_3genE4ELNS1_11target_archE910ELNS1_3gpuE8ELNS1_3repE0EEENS1_47radix_sort_onesweep_sort_config_static_selectorELNS0_4arch9wavefront6targetE0EEEvSH_
    .private_segment_fixed_size: 0
    .sgpr_count:     0
    .sgpr_spill_count: 0
    .symbol:         _ZN7rocprim17ROCPRIM_400000_NS6detail17trampoline_kernelINS0_14default_configENS1_35radix_sort_onesweep_config_selectorI12hip_bfloat16NS0_10empty_typeEEEZZNS1_29radix_sort_onesweep_iterationIS3_Lb0EPKS5_PS5_PS6_SC_mNS0_19identity_decomposerENS1_16block_id_wrapperIjLb1EEEEE10hipError_tT1_PNSt15iterator_traitsISH_E10value_typeET2_T3_PNSI_ISN_E10value_typeET4_T5_PSS_ST_PNS1_23onesweep_lookback_stateEbbT6_jjT7_P12ihipStream_tbENKUlT_T0_SH_SM_E_clISA_SB_SC_SC_EEDaS10_S11_SH_SM_EUlS10_E_NS1_11comp_targetILNS1_3genE4ELNS1_11target_archE910ELNS1_3gpuE8ELNS1_3repE0EEENS1_47radix_sort_onesweep_sort_config_static_selectorELNS0_4arch9wavefront6targetE0EEEvSH_.kd
    .uniform_work_group_size: 1
    .uses_dynamic_stack: false
    .vgpr_count:     0
    .vgpr_spill_count: 0
    .wavefront_size: 32
  - .args:
      - .offset:         0
        .size:           88
        .value_kind:     by_value
    .group_segment_fixed_size: 0
    .kernarg_segment_align: 8
    .kernarg_segment_size: 88
    .language:       OpenCL C
    .language_version:
      - 2
      - 0
    .max_flat_workgroup_size: 512
    .name:           _ZN7rocprim17ROCPRIM_400000_NS6detail17trampoline_kernelINS0_14default_configENS1_35radix_sort_onesweep_config_selectorI12hip_bfloat16NS0_10empty_typeEEEZZNS1_29radix_sort_onesweep_iterationIS3_Lb0EPKS5_PS5_PS6_SC_mNS0_19identity_decomposerENS1_16block_id_wrapperIjLb1EEEEE10hipError_tT1_PNSt15iterator_traitsISH_E10value_typeET2_T3_PNSI_ISN_E10value_typeET4_T5_PSS_ST_PNS1_23onesweep_lookback_stateEbbT6_jjT7_P12ihipStream_tbENKUlT_T0_SH_SM_E_clISA_SB_SC_SC_EEDaS10_S11_SH_SM_EUlS10_E_NS1_11comp_targetILNS1_3genE3ELNS1_11target_archE908ELNS1_3gpuE7ELNS1_3repE0EEENS1_47radix_sort_onesweep_sort_config_static_selectorELNS0_4arch9wavefront6targetE0EEEvSH_
    .private_segment_fixed_size: 0
    .sgpr_count:     0
    .sgpr_spill_count: 0
    .symbol:         _ZN7rocprim17ROCPRIM_400000_NS6detail17trampoline_kernelINS0_14default_configENS1_35radix_sort_onesweep_config_selectorI12hip_bfloat16NS0_10empty_typeEEEZZNS1_29radix_sort_onesweep_iterationIS3_Lb0EPKS5_PS5_PS6_SC_mNS0_19identity_decomposerENS1_16block_id_wrapperIjLb1EEEEE10hipError_tT1_PNSt15iterator_traitsISH_E10value_typeET2_T3_PNSI_ISN_E10value_typeET4_T5_PSS_ST_PNS1_23onesweep_lookback_stateEbbT6_jjT7_P12ihipStream_tbENKUlT_T0_SH_SM_E_clISA_SB_SC_SC_EEDaS10_S11_SH_SM_EUlS10_E_NS1_11comp_targetILNS1_3genE3ELNS1_11target_archE908ELNS1_3gpuE7ELNS1_3repE0EEENS1_47radix_sort_onesweep_sort_config_static_selectorELNS0_4arch9wavefront6targetE0EEEvSH_.kd
    .uniform_work_group_size: 1
    .uses_dynamic_stack: false
    .vgpr_count:     0
    .vgpr_spill_count: 0
    .wavefront_size: 32
  - .args:
      - .offset:         0
        .size:           88
        .value_kind:     by_value
    .group_segment_fixed_size: 0
    .kernarg_segment_align: 8
    .kernarg_segment_size: 88
    .language:       OpenCL C
    .language_version:
      - 2
      - 0
    .max_flat_workgroup_size: 256
    .name:           _ZN7rocprim17ROCPRIM_400000_NS6detail17trampoline_kernelINS0_14default_configENS1_35radix_sort_onesweep_config_selectorI12hip_bfloat16NS0_10empty_typeEEEZZNS1_29radix_sort_onesweep_iterationIS3_Lb0EPKS5_PS5_PS6_SC_mNS0_19identity_decomposerENS1_16block_id_wrapperIjLb1EEEEE10hipError_tT1_PNSt15iterator_traitsISH_E10value_typeET2_T3_PNSI_ISN_E10value_typeET4_T5_PSS_ST_PNS1_23onesweep_lookback_stateEbbT6_jjT7_P12ihipStream_tbENKUlT_T0_SH_SM_E_clISA_SB_SC_SC_EEDaS10_S11_SH_SM_EUlS10_E_NS1_11comp_targetILNS1_3genE10ELNS1_11target_archE1201ELNS1_3gpuE5ELNS1_3repE0EEENS1_47radix_sort_onesweep_sort_config_static_selectorELNS0_4arch9wavefront6targetE0EEEvSH_
    .private_segment_fixed_size: 0
    .sgpr_count:     0
    .sgpr_spill_count: 0
    .symbol:         _ZN7rocprim17ROCPRIM_400000_NS6detail17trampoline_kernelINS0_14default_configENS1_35radix_sort_onesweep_config_selectorI12hip_bfloat16NS0_10empty_typeEEEZZNS1_29radix_sort_onesweep_iterationIS3_Lb0EPKS5_PS5_PS6_SC_mNS0_19identity_decomposerENS1_16block_id_wrapperIjLb1EEEEE10hipError_tT1_PNSt15iterator_traitsISH_E10value_typeET2_T3_PNSI_ISN_E10value_typeET4_T5_PSS_ST_PNS1_23onesweep_lookback_stateEbbT6_jjT7_P12ihipStream_tbENKUlT_T0_SH_SM_E_clISA_SB_SC_SC_EEDaS10_S11_SH_SM_EUlS10_E_NS1_11comp_targetILNS1_3genE10ELNS1_11target_archE1201ELNS1_3gpuE5ELNS1_3repE0EEENS1_47radix_sort_onesweep_sort_config_static_selectorELNS0_4arch9wavefront6targetE0EEEvSH_.kd
    .uniform_work_group_size: 1
    .uses_dynamic_stack: false
    .vgpr_count:     0
    .vgpr_spill_count: 0
    .wavefront_size: 32
  - .args:
      - .offset:         0
        .size:           88
        .value_kind:     by_value
    .group_segment_fixed_size: 0
    .kernarg_segment_align: 8
    .kernarg_segment_size: 88
    .language:       OpenCL C
    .language_version:
      - 2
      - 0
    .max_flat_workgroup_size: 256
    .name:           _ZN7rocprim17ROCPRIM_400000_NS6detail17trampoline_kernelINS0_14default_configENS1_35radix_sort_onesweep_config_selectorI12hip_bfloat16NS0_10empty_typeEEEZZNS1_29radix_sort_onesweep_iterationIS3_Lb0EPKS5_PS5_PS6_SC_mNS0_19identity_decomposerENS1_16block_id_wrapperIjLb1EEEEE10hipError_tT1_PNSt15iterator_traitsISH_E10value_typeET2_T3_PNSI_ISN_E10value_typeET4_T5_PSS_ST_PNS1_23onesweep_lookback_stateEbbT6_jjT7_P12ihipStream_tbENKUlT_T0_SH_SM_E_clISA_SB_SC_SC_EEDaS10_S11_SH_SM_EUlS10_E_NS1_11comp_targetILNS1_3genE9ELNS1_11target_archE1100ELNS1_3gpuE3ELNS1_3repE0EEENS1_47radix_sort_onesweep_sort_config_static_selectorELNS0_4arch9wavefront6targetE0EEEvSH_
    .private_segment_fixed_size: 0
    .sgpr_count:     0
    .sgpr_spill_count: 0
    .symbol:         _ZN7rocprim17ROCPRIM_400000_NS6detail17trampoline_kernelINS0_14default_configENS1_35radix_sort_onesweep_config_selectorI12hip_bfloat16NS0_10empty_typeEEEZZNS1_29radix_sort_onesweep_iterationIS3_Lb0EPKS5_PS5_PS6_SC_mNS0_19identity_decomposerENS1_16block_id_wrapperIjLb1EEEEE10hipError_tT1_PNSt15iterator_traitsISH_E10value_typeET2_T3_PNSI_ISN_E10value_typeET4_T5_PSS_ST_PNS1_23onesweep_lookback_stateEbbT6_jjT7_P12ihipStream_tbENKUlT_T0_SH_SM_E_clISA_SB_SC_SC_EEDaS10_S11_SH_SM_EUlS10_E_NS1_11comp_targetILNS1_3genE9ELNS1_11target_archE1100ELNS1_3gpuE3ELNS1_3repE0EEENS1_47radix_sort_onesweep_sort_config_static_selectorELNS0_4arch9wavefront6targetE0EEEvSH_.kd
    .uniform_work_group_size: 1
    .uses_dynamic_stack: false
    .vgpr_count:     0
    .vgpr_spill_count: 0
    .wavefront_size: 32
  - .args:
      - .offset:         0
        .size:           88
        .value_kind:     by_value
    .group_segment_fixed_size: 0
    .kernarg_segment_align: 8
    .kernarg_segment_size: 88
    .language:       OpenCL C
    .language_version:
      - 2
      - 0
    .max_flat_workgroup_size: 256
    .name:           _ZN7rocprim17ROCPRIM_400000_NS6detail17trampoline_kernelINS0_14default_configENS1_35radix_sort_onesweep_config_selectorI12hip_bfloat16NS0_10empty_typeEEEZZNS1_29radix_sort_onesweep_iterationIS3_Lb0EPKS5_PS5_PS6_SC_mNS0_19identity_decomposerENS1_16block_id_wrapperIjLb1EEEEE10hipError_tT1_PNSt15iterator_traitsISH_E10value_typeET2_T3_PNSI_ISN_E10value_typeET4_T5_PSS_ST_PNS1_23onesweep_lookback_stateEbbT6_jjT7_P12ihipStream_tbENKUlT_T0_SH_SM_E_clISA_SB_SC_SC_EEDaS10_S11_SH_SM_EUlS10_E_NS1_11comp_targetILNS1_3genE8ELNS1_11target_archE1030ELNS1_3gpuE2ELNS1_3repE0EEENS1_47radix_sort_onesweep_sort_config_static_selectorELNS0_4arch9wavefront6targetE0EEEvSH_
    .private_segment_fixed_size: 0
    .sgpr_count:     0
    .sgpr_spill_count: 0
    .symbol:         _ZN7rocprim17ROCPRIM_400000_NS6detail17trampoline_kernelINS0_14default_configENS1_35radix_sort_onesweep_config_selectorI12hip_bfloat16NS0_10empty_typeEEEZZNS1_29radix_sort_onesweep_iterationIS3_Lb0EPKS5_PS5_PS6_SC_mNS0_19identity_decomposerENS1_16block_id_wrapperIjLb1EEEEE10hipError_tT1_PNSt15iterator_traitsISH_E10value_typeET2_T3_PNSI_ISN_E10value_typeET4_T5_PSS_ST_PNS1_23onesweep_lookback_stateEbbT6_jjT7_P12ihipStream_tbENKUlT_T0_SH_SM_E_clISA_SB_SC_SC_EEDaS10_S11_SH_SM_EUlS10_E_NS1_11comp_targetILNS1_3genE8ELNS1_11target_archE1030ELNS1_3gpuE2ELNS1_3repE0EEENS1_47radix_sort_onesweep_sort_config_static_selectorELNS0_4arch9wavefront6targetE0EEEvSH_.kd
    .uniform_work_group_size: 1
    .uses_dynamic_stack: false
    .vgpr_count:     0
    .vgpr_spill_count: 0
    .wavefront_size: 32
  - .args:
      - .offset:         0
        .size:           88
        .value_kind:     by_value
      - .offset:         88
        .size:           4
        .value_kind:     hidden_block_count_x
      - .offset:         92
        .size:           4
        .value_kind:     hidden_block_count_y
      - .offset:         96
        .size:           4
        .value_kind:     hidden_block_count_z
      - .offset:         100
        .size:           2
        .value_kind:     hidden_group_size_x
      - .offset:         102
        .size:           2
        .value_kind:     hidden_group_size_y
      - .offset:         104
        .size:           2
        .value_kind:     hidden_group_size_z
      - .offset:         106
        .size:           2
        .value_kind:     hidden_remainder_x
      - .offset:         108
        .size:           2
        .value_kind:     hidden_remainder_y
      - .offset:         110
        .size:           2
        .value_kind:     hidden_remainder_z
      - .offset:         128
        .size:           8
        .value_kind:     hidden_global_offset_x
      - .offset:         136
        .size:           8
        .value_kind:     hidden_global_offset_y
      - .offset:         144
        .size:           8
        .value_kind:     hidden_global_offset_z
      - .offset:         152
        .size:           2
        .value_kind:     hidden_grid_dims
    .group_segment_fixed_size: 18504
    .kernarg_segment_align: 8
    .kernarg_segment_size: 344
    .language:       OpenCL C
    .language_version:
      - 2
      - 0
    .max_flat_workgroup_size: 512
    .name:           _ZN7rocprim17ROCPRIM_400000_NS6detail17trampoline_kernelINS0_14default_configENS1_35radix_sort_onesweep_config_selectorI12hip_bfloat16NS0_10empty_typeEEEZZNS1_29radix_sort_onesweep_iterationIS3_Lb0EPKS5_PS5_PS6_SC_mNS0_19identity_decomposerENS1_16block_id_wrapperIjLb1EEEEE10hipError_tT1_PNSt15iterator_traitsISH_E10value_typeET2_T3_PNSI_ISN_E10value_typeET4_T5_PSS_ST_PNS1_23onesweep_lookback_stateEbbT6_jjT7_P12ihipStream_tbENKUlT_T0_SH_SM_E_clISB_SB_SC_SC_EEDaS10_S11_SH_SM_EUlS10_E_NS1_11comp_targetILNS1_3genE0ELNS1_11target_archE4294967295ELNS1_3gpuE0ELNS1_3repE0EEENS1_47radix_sort_onesweep_sort_config_static_selectorELNS0_4arch9wavefront6targetE0EEEvSH_
    .private_segment_fixed_size: 0
    .sgpr_count:     32
    .sgpr_spill_count: 0
    .symbol:         _ZN7rocprim17ROCPRIM_400000_NS6detail17trampoline_kernelINS0_14default_configENS1_35radix_sort_onesweep_config_selectorI12hip_bfloat16NS0_10empty_typeEEEZZNS1_29radix_sort_onesweep_iterationIS3_Lb0EPKS5_PS5_PS6_SC_mNS0_19identity_decomposerENS1_16block_id_wrapperIjLb1EEEEE10hipError_tT1_PNSt15iterator_traitsISH_E10value_typeET2_T3_PNSI_ISN_E10value_typeET4_T5_PSS_ST_PNS1_23onesweep_lookback_stateEbbT6_jjT7_P12ihipStream_tbENKUlT_T0_SH_SM_E_clISB_SB_SC_SC_EEDaS10_S11_SH_SM_EUlS10_E_NS1_11comp_targetILNS1_3genE0ELNS1_11target_archE4294967295ELNS1_3gpuE0ELNS1_3repE0EEENS1_47radix_sort_onesweep_sort_config_static_selectorELNS0_4arch9wavefront6targetE0EEEvSH_.kd
    .uniform_work_group_size: 1
    .uses_dynamic_stack: false
    .vgpr_count:     65
    .vgpr_spill_count: 0
    .wavefront_size: 32
  - .args:
      - .offset:         0
        .size:           88
        .value_kind:     by_value
    .group_segment_fixed_size: 0
    .kernarg_segment_align: 8
    .kernarg_segment_size: 88
    .language:       OpenCL C
    .language_version:
      - 2
      - 0
    .max_flat_workgroup_size: 1024
    .name:           _ZN7rocprim17ROCPRIM_400000_NS6detail17trampoline_kernelINS0_14default_configENS1_35radix_sort_onesweep_config_selectorI12hip_bfloat16NS0_10empty_typeEEEZZNS1_29radix_sort_onesweep_iterationIS3_Lb0EPKS5_PS5_PS6_SC_mNS0_19identity_decomposerENS1_16block_id_wrapperIjLb1EEEEE10hipError_tT1_PNSt15iterator_traitsISH_E10value_typeET2_T3_PNSI_ISN_E10value_typeET4_T5_PSS_ST_PNS1_23onesweep_lookback_stateEbbT6_jjT7_P12ihipStream_tbENKUlT_T0_SH_SM_E_clISB_SB_SC_SC_EEDaS10_S11_SH_SM_EUlS10_E_NS1_11comp_targetILNS1_3genE6ELNS1_11target_archE950ELNS1_3gpuE13ELNS1_3repE0EEENS1_47radix_sort_onesweep_sort_config_static_selectorELNS0_4arch9wavefront6targetE0EEEvSH_
    .private_segment_fixed_size: 0
    .sgpr_count:     0
    .sgpr_spill_count: 0
    .symbol:         _ZN7rocprim17ROCPRIM_400000_NS6detail17trampoline_kernelINS0_14default_configENS1_35radix_sort_onesweep_config_selectorI12hip_bfloat16NS0_10empty_typeEEEZZNS1_29radix_sort_onesweep_iterationIS3_Lb0EPKS5_PS5_PS6_SC_mNS0_19identity_decomposerENS1_16block_id_wrapperIjLb1EEEEE10hipError_tT1_PNSt15iterator_traitsISH_E10value_typeET2_T3_PNSI_ISN_E10value_typeET4_T5_PSS_ST_PNS1_23onesweep_lookback_stateEbbT6_jjT7_P12ihipStream_tbENKUlT_T0_SH_SM_E_clISB_SB_SC_SC_EEDaS10_S11_SH_SM_EUlS10_E_NS1_11comp_targetILNS1_3genE6ELNS1_11target_archE950ELNS1_3gpuE13ELNS1_3repE0EEENS1_47radix_sort_onesweep_sort_config_static_selectorELNS0_4arch9wavefront6targetE0EEEvSH_.kd
    .uniform_work_group_size: 1
    .uses_dynamic_stack: false
    .vgpr_count:     0
    .vgpr_spill_count: 0
    .wavefront_size: 32
  - .args:
      - .offset:         0
        .size:           88
        .value_kind:     by_value
    .group_segment_fixed_size: 0
    .kernarg_segment_align: 8
    .kernarg_segment_size: 88
    .language:       OpenCL C
    .language_version:
      - 2
      - 0
    .max_flat_workgroup_size: 1024
    .name:           _ZN7rocprim17ROCPRIM_400000_NS6detail17trampoline_kernelINS0_14default_configENS1_35radix_sort_onesweep_config_selectorI12hip_bfloat16NS0_10empty_typeEEEZZNS1_29radix_sort_onesweep_iterationIS3_Lb0EPKS5_PS5_PS6_SC_mNS0_19identity_decomposerENS1_16block_id_wrapperIjLb1EEEEE10hipError_tT1_PNSt15iterator_traitsISH_E10value_typeET2_T3_PNSI_ISN_E10value_typeET4_T5_PSS_ST_PNS1_23onesweep_lookback_stateEbbT6_jjT7_P12ihipStream_tbENKUlT_T0_SH_SM_E_clISB_SB_SC_SC_EEDaS10_S11_SH_SM_EUlS10_E_NS1_11comp_targetILNS1_3genE5ELNS1_11target_archE942ELNS1_3gpuE9ELNS1_3repE0EEENS1_47radix_sort_onesweep_sort_config_static_selectorELNS0_4arch9wavefront6targetE0EEEvSH_
    .private_segment_fixed_size: 0
    .sgpr_count:     0
    .sgpr_spill_count: 0
    .symbol:         _ZN7rocprim17ROCPRIM_400000_NS6detail17trampoline_kernelINS0_14default_configENS1_35radix_sort_onesweep_config_selectorI12hip_bfloat16NS0_10empty_typeEEEZZNS1_29radix_sort_onesweep_iterationIS3_Lb0EPKS5_PS5_PS6_SC_mNS0_19identity_decomposerENS1_16block_id_wrapperIjLb1EEEEE10hipError_tT1_PNSt15iterator_traitsISH_E10value_typeET2_T3_PNSI_ISN_E10value_typeET4_T5_PSS_ST_PNS1_23onesweep_lookback_stateEbbT6_jjT7_P12ihipStream_tbENKUlT_T0_SH_SM_E_clISB_SB_SC_SC_EEDaS10_S11_SH_SM_EUlS10_E_NS1_11comp_targetILNS1_3genE5ELNS1_11target_archE942ELNS1_3gpuE9ELNS1_3repE0EEENS1_47radix_sort_onesweep_sort_config_static_selectorELNS0_4arch9wavefront6targetE0EEEvSH_.kd
    .uniform_work_group_size: 1
    .uses_dynamic_stack: false
    .vgpr_count:     0
    .vgpr_spill_count: 0
    .wavefront_size: 32
  - .args:
      - .offset:         0
        .size:           88
        .value_kind:     by_value
    .group_segment_fixed_size: 0
    .kernarg_segment_align: 8
    .kernarg_segment_size: 88
    .language:       OpenCL C
    .language_version:
      - 2
      - 0
    .max_flat_workgroup_size: 512
    .name:           _ZN7rocprim17ROCPRIM_400000_NS6detail17trampoline_kernelINS0_14default_configENS1_35radix_sort_onesweep_config_selectorI12hip_bfloat16NS0_10empty_typeEEEZZNS1_29radix_sort_onesweep_iterationIS3_Lb0EPKS5_PS5_PS6_SC_mNS0_19identity_decomposerENS1_16block_id_wrapperIjLb1EEEEE10hipError_tT1_PNSt15iterator_traitsISH_E10value_typeET2_T3_PNSI_ISN_E10value_typeET4_T5_PSS_ST_PNS1_23onesweep_lookback_stateEbbT6_jjT7_P12ihipStream_tbENKUlT_T0_SH_SM_E_clISB_SB_SC_SC_EEDaS10_S11_SH_SM_EUlS10_E_NS1_11comp_targetILNS1_3genE2ELNS1_11target_archE906ELNS1_3gpuE6ELNS1_3repE0EEENS1_47radix_sort_onesweep_sort_config_static_selectorELNS0_4arch9wavefront6targetE0EEEvSH_
    .private_segment_fixed_size: 0
    .sgpr_count:     0
    .sgpr_spill_count: 0
    .symbol:         _ZN7rocprim17ROCPRIM_400000_NS6detail17trampoline_kernelINS0_14default_configENS1_35radix_sort_onesweep_config_selectorI12hip_bfloat16NS0_10empty_typeEEEZZNS1_29radix_sort_onesweep_iterationIS3_Lb0EPKS5_PS5_PS6_SC_mNS0_19identity_decomposerENS1_16block_id_wrapperIjLb1EEEEE10hipError_tT1_PNSt15iterator_traitsISH_E10value_typeET2_T3_PNSI_ISN_E10value_typeET4_T5_PSS_ST_PNS1_23onesweep_lookback_stateEbbT6_jjT7_P12ihipStream_tbENKUlT_T0_SH_SM_E_clISB_SB_SC_SC_EEDaS10_S11_SH_SM_EUlS10_E_NS1_11comp_targetILNS1_3genE2ELNS1_11target_archE906ELNS1_3gpuE6ELNS1_3repE0EEENS1_47radix_sort_onesweep_sort_config_static_selectorELNS0_4arch9wavefront6targetE0EEEvSH_.kd
    .uniform_work_group_size: 1
    .uses_dynamic_stack: false
    .vgpr_count:     0
    .vgpr_spill_count: 0
    .wavefront_size: 32
  - .args:
      - .offset:         0
        .size:           88
        .value_kind:     by_value
    .group_segment_fixed_size: 0
    .kernarg_segment_align: 8
    .kernarg_segment_size: 88
    .language:       OpenCL C
    .language_version:
      - 2
      - 0
    .max_flat_workgroup_size: 1024
    .name:           _ZN7rocprim17ROCPRIM_400000_NS6detail17trampoline_kernelINS0_14default_configENS1_35radix_sort_onesweep_config_selectorI12hip_bfloat16NS0_10empty_typeEEEZZNS1_29radix_sort_onesweep_iterationIS3_Lb0EPKS5_PS5_PS6_SC_mNS0_19identity_decomposerENS1_16block_id_wrapperIjLb1EEEEE10hipError_tT1_PNSt15iterator_traitsISH_E10value_typeET2_T3_PNSI_ISN_E10value_typeET4_T5_PSS_ST_PNS1_23onesweep_lookback_stateEbbT6_jjT7_P12ihipStream_tbENKUlT_T0_SH_SM_E_clISB_SB_SC_SC_EEDaS10_S11_SH_SM_EUlS10_E_NS1_11comp_targetILNS1_3genE4ELNS1_11target_archE910ELNS1_3gpuE8ELNS1_3repE0EEENS1_47radix_sort_onesweep_sort_config_static_selectorELNS0_4arch9wavefront6targetE0EEEvSH_
    .private_segment_fixed_size: 0
    .sgpr_count:     0
    .sgpr_spill_count: 0
    .symbol:         _ZN7rocprim17ROCPRIM_400000_NS6detail17trampoline_kernelINS0_14default_configENS1_35radix_sort_onesweep_config_selectorI12hip_bfloat16NS0_10empty_typeEEEZZNS1_29radix_sort_onesweep_iterationIS3_Lb0EPKS5_PS5_PS6_SC_mNS0_19identity_decomposerENS1_16block_id_wrapperIjLb1EEEEE10hipError_tT1_PNSt15iterator_traitsISH_E10value_typeET2_T3_PNSI_ISN_E10value_typeET4_T5_PSS_ST_PNS1_23onesweep_lookback_stateEbbT6_jjT7_P12ihipStream_tbENKUlT_T0_SH_SM_E_clISB_SB_SC_SC_EEDaS10_S11_SH_SM_EUlS10_E_NS1_11comp_targetILNS1_3genE4ELNS1_11target_archE910ELNS1_3gpuE8ELNS1_3repE0EEENS1_47radix_sort_onesweep_sort_config_static_selectorELNS0_4arch9wavefront6targetE0EEEvSH_.kd
    .uniform_work_group_size: 1
    .uses_dynamic_stack: false
    .vgpr_count:     0
    .vgpr_spill_count: 0
    .wavefront_size: 32
  - .args:
      - .offset:         0
        .size:           88
        .value_kind:     by_value
    .group_segment_fixed_size: 0
    .kernarg_segment_align: 8
    .kernarg_segment_size: 88
    .language:       OpenCL C
    .language_version:
      - 2
      - 0
    .max_flat_workgroup_size: 512
    .name:           _ZN7rocprim17ROCPRIM_400000_NS6detail17trampoline_kernelINS0_14default_configENS1_35radix_sort_onesweep_config_selectorI12hip_bfloat16NS0_10empty_typeEEEZZNS1_29radix_sort_onesweep_iterationIS3_Lb0EPKS5_PS5_PS6_SC_mNS0_19identity_decomposerENS1_16block_id_wrapperIjLb1EEEEE10hipError_tT1_PNSt15iterator_traitsISH_E10value_typeET2_T3_PNSI_ISN_E10value_typeET4_T5_PSS_ST_PNS1_23onesweep_lookback_stateEbbT6_jjT7_P12ihipStream_tbENKUlT_T0_SH_SM_E_clISB_SB_SC_SC_EEDaS10_S11_SH_SM_EUlS10_E_NS1_11comp_targetILNS1_3genE3ELNS1_11target_archE908ELNS1_3gpuE7ELNS1_3repE0EEENS1_47radix_sort_onesweep_sort_config_static_selectorELNS0_4arch9wavefront6targetE0EEEvSH_
    .private_segment_fixed_size: 0
    .sgpr_count:     0
    .sgpr_spill_count: 0
    .symbol:         _ZN7rocprim17ROCPRIM_400000_NS6detail17trampoline_kernelINS0_14default_configENS1_35radix_sort_onesweep_config_selectorI12hip_bfloat16NS0_10empty_typeEEEZZNS1_29radix_sort_onesweep_iterationIS3_Lb0EPKS5_PS5_PS6_SC_mNS0_19identity_decomposerENS1_16block_id_wrapperIjLb1EEEEE10hipError_tT1_PNSt15iterator_traitsISH_E10value_typeET2_T3_PNSI_ISN_E10value_typeET4_T5_PSS_ST_PNS1_23onesweep_lookback_stateEbbT6_jjT7_P12ihipStream_tbENKUlT_T0_SH_SM_E_clISB_SB_SC_SC_EEDaS10_S11_SH_SM_EUlS10_E_NS1_11comp_targetILNS1_3genE3ELNS1_11target_archE908ELNS1_3gpuE7ELNS1_3repE0EEENS1_47radix_sort_onesweep_sort_config_static_selectorELNS0_4arch9wavefront6targetE0EEEvSH_.kd
    .uniform_work_group_size: 1
    .uses_dynamic_stack: false
    .vgpr_count:     0
    .vgpr_spill_count: 0
    .wavefront_size: 32
  - .args:
      - .offset:         0
        .size:           88
        .value_kind:     by_value
    .group_segment_fixed_size: 0
    .kernarg_segment_align: 8
    .kernarg_segment_size: 88
    .language:       OpenCL C
    .language_version:
      - 2
      - 0
    .max_flat_workgroup_size: 256
    .name:           _ZN7rocprim17ROCPRIM_400000_NS6detail17trampoline_kernelINS0_14default_configENS1_35radix_sort_onesweep_config_selectorI12hip_bfloat16NS0_10empty_typeEEEZZNS1_29radix_sort_onesweep_iterationIS3_Lb0EPKS5_PS5_PS6_SC_mNS0_19identity_decomposerENS1_16block_id_wrapperIjLb1EEEEE10hipError_tT1_PNSt15iterator_traitsISH_E10value_typeET2_T3_PNSI_ISN_E10value_typeET4_T5_PSS_ST_PNS1_23onesweep_lookback_stateEbbT6_jjT7_P12ihipStream_tbENKUlT_T0_SH_SM_E_clISB_SB_SC_SC_EEDaS10_S11_SH_SM_EUlS10_E_NS1_11comp_targetILNS1_3genE10ELNS1_11target_archE1201ELNS1_3gpuE5ELNS1_3repE0EEENS1_47radix_sort_onesweep_sort_config_static_selectorELNS0_4arch9wavefront6targetE0EEEvSH_
    .private_segment_fixed_size: 0
    .sgpr_count:     0
    .sgpr_spill_count: 0
    .symbol:         _ZN7rocprim17ROCPRIM_400000_NS6detail17trampoline_kernelINS0_14default_configENS1_35radix_sort_onesweep_config_selectorI12hip_bfloat16NS0_10empty_typeEEEZZNS1_29radix_sort_onesweep_iterationIS3_Lb0EPKS5_PS5_PS6_SC_mNS0_19identity_decomposerENS1_16block_id_wrapperIjLb1EEEEE10hipError_tT1_PNSt15iterator_traitsISH_E10value_typeET2_T3_PNSI_ISN_E10value_typeET4_T5_PSS_ST_PNS1_23onesweep_lookback_stateEbbT6_jjT7_P12ihipStream_tbENKUlT_T0_SH_SM_E_clISB_SB_SC_SC_EEDaS10_S11_SH_SM_EUlS10_E_NS1_11comp_targetILNS1_3genE10ELNS1_11target_archE1201ELNS1_3gpuE5ELNS1_3repE0EEENS1_47radix_sort_onesweep_sort_config_static_selectorELNS0_4arch9wavefront6targetE0EEEvSH_.kd
    .uniform_work_group_size: 1
    .uses_dynamic_stack: false
    .vgpr_count:     0
    .vgpr_spill_count: 0
    .wavefront_size: 32
  - .args:
      - .offset:         0
        .size:           88
        .value_kind:     by_value
    .group_segment_fixed_size: 0
    .kernarg_segment_align: 8
    .kernarg_segment_size: 88
    .language:       OpenCL C
    .language_version:
      - 2
      - 0
    .max_flat_workgroup_size: 256
    .name:           _ZN7rocprim17ROCPRIM_400000_NS6detail17trampoline_kernelINS0_14default_configENS1_35radix_sort_onesweep_config_selectorI12hip_bfloat16NS0_10empty_typeEEEZZNS1_29radix_sort_onesweep_iterationIS3_Lb0EPKS5_PS5_PS6_SC_mNS0_19identity_decomposerENS1_16block_id_wrapperIjLb1EEEEE10hipError_tT1_PNSt15iterator_traitsISH_E10value_typeET2_T3_PNSI_ISN_E10value_typeET4_T5_PSS_ST_PNS1_23onesweep_lookback_stateEbbT6_jjT7_P12ihipStream_tbENKUlT_T0_SH_SM_E_clISB_SB_SC_SC_EEDaS10_S11_SH_SM_EUlS10_E_NS1_11comp_targetILNS1_3genE9ELNS1_11target_archE1100ELNS1_3gpuE3ELNS1_3repE0EEENS1_47radix_sort_onesweep_sort_config_static_selectorELNS0_4arch9wavefront6targetE0EEEvSH_
    .private_segment_fixed_size: 0
    .sgpr_count:     0
    .sgpr_spill_count: 0
    .symbol:         _ZN7rocprim17ROCPRIM_400000_NS6detail17trampoline_kernelINS0_14default_configENS1_35radix_sort_onesweep_config_selectorI12hip_bfloat16NS0_10empty_typeEEEZZNS1_29radix_sort_onesweep_iterationIS3_Lb0EPKS5_PS5_PS6_SC_mNS0_19identity_decomposerENS1_16block_id_wrapperIjLb1EEEEE10hipError_tT1_PNSt15iterator_traitsISH_E10value_typeET2_T3_PNSI_ISN_E10value_typeET4_T5_PSS_ST_PNS1_23onesweep_lookback_stateEbbT6_jjT7_P12ihipStream_tbENKUlT_T0_SH_SM_E_clISB_SB_SC_SC_EEDaS10_S11_SH_SM_EUlS10_E_NS1_11comp_targetILNS1_3genE9ELNS1_11target_archE1100ELNS1_3gpuE3ELNS1_3repE0EEENS1_47radix_sort_onesweep_sort_config_static_selectorELNS0_4arch9wavefront6targetE0EEEvSH_.kd
    .uniform_work_group_size: 1
    .uses_dynamic_stack: false
    .vgpr_count:     0
    .vgpr_spill_count: 0
    .wavefront_size: 32
  - .args:
      - .offset:         0
        .size:           88
        .value_kind:     by_value
    .group_segment_fixed_size: 0
    .kernarg_segment_align: 8
    .kernarg_segment_size: 88
    .language:       OpenCL C
    .language_version:
      - 2
      - 0
    .max_flat_workgroup_size: 256
    .name:           _ZN7rocprim17ROCPRIM_400000_NS6detail17trampoline_kernelINS0_14default_configENS1_35radix_sort_onesweep_config_selectorI12hip_bfloat16NS0_10empty_typeEEEZZNS1_29radix_sort_onesweep_iterationIS3_Lb0EPKS5_PS5_PS6_SC_mNS0_19identity_decomposerENS1_16block_id_wrapperIjLb1EEEEE10hipError_tT1_PNSt15iterator_traitsISH_E10value_typeET2_T3_PNSI_ISN_E10value_typeET4_T5_PSS_ST_PNS1_23onesweep_lookback_stateEbbT6_jjT7_P12ihipStream_tbENKUlT_T0_SH_SM_E_clISB_SB_SC_SC_EEDaS10_S11_SH_SM_EUlS10_E_NS1_11comp_targetILNS1_3genE8ELNS1_11target_archE1030ELNS1_3gpuE2ELNS1_3repE0EEENS1_47radix_sort_onesweep_sort_config_static_selectorELNS0_4arch9wavefront6targetE0EEEvSH_
    .private_segment_fixed_size: 0
    .sgpr_count:     0
    .sgpr_spill_count: 0
    .symbol:         _ZN7rocprim17ROCPRIM_400000_NS6detail17trampoline_kernelINS0_14default_configENS1_35radix_sort_onesweep_config_selectorI12hip_bfloat16NS0_10empty_typeEEEZZNS1_29radix_sort_onesweep_iterationIS3_Lb0EPKS5_PS5_PS6_SC_mNS0_19identity_decomposerENS1_16block_id_wrapperIjLb1EEEEE10hipError_tT1_PNSt15iterator_traitsISH_E10value_typeET2_T3_PNSI_ISN_E10value_typeET4_T5_PSS_ST_PNS1_23onesweep_lookback_stateEbbT6_jjT7_P12ihipStream_tbENKUlT_T0_SH_SM_E_clISB_SB_SC_SC_EEDaS10_S11_SH_SM_EUlS10_E_NS1_11comp_targetILNS1_3genE8ELNS1_11target_archE1030ELNS1_3gpuE2ELNS1_3repE0EEENS1_47radix_sort_onesweep_sort_config_static_selectorELNS0_4arch9wavefront6targetE0EEEvSH_.kd
    .uniform_work_group_size: 1
    .uses_dynamic_stack: false
    .vgpr_count:     0
    .vgpr_spill_count: 0
    .wavefront_size: 32
  - .args:
      - .offset:         0
        .size:           88
        .value_kind:     by_value
      - .offset:         88
        .size:           4
        .value_kind:     hidden_block_count_x
      - .offset:         92
        .size:           4
        .value_kind:     hidden_block_count_y
      - .offset:         96
        .size:           4
        .value_kind:     hidden_block_count_z
      - .offset:         100
        .size:           2
        .value_kind:     hidden_group_size_x
      - .offset:         102
        .size:           2
        .value_kind:     hidden_group_size_y
      - .offset:         104
        .size:           2
        .value_kind:     hidden_group_size_z
      - .offset:         106
        .size:           2
        .value_kind:     hidden_remainder_x
      - .offset:         108
        .size:           2
        .value_kind:     hidden_remainder_y
      - .offset:         110
        .size:           2
        .value_kind:     hidden_remainder_z
      - .offset:         128
        .size:           8
        .value_kind:     hidden_global_offset_x
      - .offset:         136
        .size:           8
        .value_kind:     hidden_global_offset_y
      - .offset:         144
        .size:           8
        .value_kind:     hidden_global_offset_z
      - .offset:         152
        .size:           2
        .value_kind:     hidden_grid_dims
    .group_segment_fixed_size: 18504
    .kernarg_segment_align: 8
    .kernarg_segment_size: 344
    .language:       OpenCL C
    .language_version:
      - 2
      - 0
    .max_flat_workgroup_size: 512
    .name:           _ZN7rocprim17ROCPRIM_400000_NS6detail17trampoline_kernelINS0_14default_configENS1_35radix_sort_onesweep_config_selectorI12hip_bfloat16NS0_10empty_typeEEEZZNS1_29radix_sort_onesweep_iterationIS3_Lb0EPKS5_PS5_PS6_SC_mNS0_19identity_decomposerENS1_16block_id_wrapperIjLb0EEEEE10hipError_tT1_PNSt15iterator_traitsISH_E10value_typeET2_T3_PNSI_ISN_E10value_typeET4_T5_PSS_ST_PNS1_23onesweep_lookback_stateEbbT6_jjT7_P12ihipStream_tbENKUlT_T0_SH_SM_E_clISA_SB_SC_SC_EEDaS10_S11_SH_SM_EUlS10_E_NS1_11comp_targetILNS1_3genE0ELNS1_11target_archE4294967295ELNS1_3gpuE0ELNS1_3repE0EEENS1_47radix_sort_onesweep_sort_config_static_selectorELNS0_4arch9wavefront6targetE0EEEvSH_
    .private_segment_fixed_size: 0
    .sgpr_count:     30
    .sgpr_spill_count: 0
    .symbol:         _ZN7rocprim17ROCPRIM_400000_NS6detail17trampoline_kernelINS0_14default_configENS1_35radix_sort_onesweep_config_selectorI12hip_bfloat16NS0_10empty_typeEEEZZNS1_29radix_sort_onesweep_iterationIS3_Lb0EPKS5_PS5_PS6_SC_mNS0_19identity_decomposerENS1_16block_id_wrapperIjLb0EEEEE10hipError_tT1_PNSt15iterator_traitsISH_E10value_typeET2_T3_PNSI_ISN_E10value_typeET4_T5_PSS_ST_PNS1_23onesweep_lookback_stateEbbT6_jjT7_P12ihipStream_tbENKUlT_T0_SH_SM_E_clISA_SB_SC_SC_EEDaS10_S11_SH_SM_EUlS10_E_NS1_11comp_targetILNS1_3genE0ELNS1_11target_archE4294967295ELNS1_3gpuE0ELNS1_3repE0EEENS1_47radix_sort_onesweep_sort_config_static_selectorELNS0_4arch9wavefront6targetE0EEEvSH_.kd
    .uniform_work_group_size: 1
    .uses_dynamic_stack: false
    .vgpr_count:     65
    .vgpr_spill_count: 0
    .wavefront_size: 32
  - .args:
      - .offset:         0
        .size:           88
        .value_kind:     by_value
    .group_segment_fixed_size: 0
    .kernarg_segment_align: 8
    .kernarg_segment_size: 88
    .language:       OpenCL C
    .language_version:
      - 2
      - 0
    .max_flat_workgroup_size: 1024
    .name:           _ZN7rocprim17ROCPRIM_400000_NS6detail17trampoline_kernelINS0_14default_configENS1_35radix_sort_onesweep_config_selectorI12hip_bfloat16NS0_10empty_typeEEEZZNS1_29radix_sort_onesweep_iterationIS3_Lb0EPKS5_PS5_PS6_SC_mNS0_19identity_decomposerENS1_16block_id_wrapperIjLb0EEEEE10hipError_tT1_PNSt15iterator_traitsISH_E10value_typeET2_T3_PNSI_ISN_E10value_typeET4_T5_PSS_ST_PNS1_23onesweep_lookback_stateEbbT6_jjT7_P12ihipStream_tbENKUlT_T0_SH_SM_E_clISA_SB_SC_SC_EEDaS10_S11_SH_SM_EUlS10_E_NS1_11comp_targetILNS1_3genE6ELNS1_11target_archE950ELNS1_3gpuE13ELNS1_3repE0EEENS1_47radix_sort_onesweep_sort_config_static_selectorELNS0_4arch9wavefront6targetE0EEEvSH_
    .private_segment_fixed_size: 0
    .sgpr_count:     0
    .sgpr_spill_count: 0
    .symbol:         _ZN7rocprim17ROCPRIM_400000_NS6detail17trampoline_kernelINS0_14default_configENS1_35radix_sort_onesweep_config_selectorI12hip_bfloat16NS0_10empty_typeEEEZZNS1_29radix_sort_onesweep_iterationIS3_Lb0EPKS5_PS5_PS6_SC_mNS0_19identity_decomposerENS1_16block_id_wrapperIjLb0EEEEE10hipError_tT1_PNSt15iterator_traitsISH_E10value_typeET2_T3_PNSI_ISN_E10value_typeET4_T5_PSS_ST_PNS1_23onesweep_lookback_stateEbbT6_jjT7_P12ihipStream_tbENKUlT_T0_SH_SM_E_clISA_SB_SC_SC_EEDaS10_S11_SH_SM_EUlS10_E_NS1_11comp_targetILNS1_3genE6ELNS1_11target_archE950ELNS1_3gpuE13ELNS1_3repE0EEENS1_47radix_sort_onesweep_sort_config_static_selectorELNS0_4arch9wavefront6targetE0EEEvSH_.kd
    .uniform_work_group_size: 1
    .uses_dynamic_stack: false
    .vgpr_count:     0
    .vgpr_spill_count: 0
    .wavefront_size: 32
  - .args:
      - .offset:         0
        .size:           88
        .value_kind:     by_value
    .group_segment_fixed_size: 0
    .kernarg_segment_align: 8
    .kernarg_segment_size: 88
    .language:       OpenCL C
    .language_version:
      - 2
      - 0
    .max_flat_workgroup_size: 1024
    .name:           _ZN7rocprim17ROCPRIM_400000_NS6detail17trampoline_kernelINS0_14default_configENS1_35radix_sort_onesweep_config_selectorI12hip_bfloat16NS0_10empty_typeEEEZZNS1_29radix_sort_onesweep_iterationIS3_Lb0EPKS5_PS5_PS6_SC_mNS0_19identity_decomposerENS1_16block_id_wrapperIjLb0EEEEE10hipError_tT1_PNSt15iterator_traitsISH_E10value_typeET2_T3_PNSI_ISN_E10value_typeET4_T5_PSS_ST_PNS1_23onesweep_lookback_stateEbbT6_jjT7_P12ihipStream_tbENKUlT_T0_SH_SM_E_clISA_SB_SC_SC_EEDaS10_S11_SH_SM_EUlS10_E_NS1_11comp_targetILNS1_3genE5ELNS1_11target_archE942ELNS1_3gpuE9ELNS1_3repE0EEENS1_47radix_sort_onesweep_sort_config_static_selectorELNS0_4arch9wavefront6targetE0EEEvSH_
    .private_segment_fixed_size: 0
    .sgpr_count:     0
    .sgpr_spill_count: 0
    .symbol:         _ZN7rocprim17ROCPRIM_400000_NS6detail17trampoline_kernelINS0_14default_configENS1_35radix_sort_onesweep_config_selectorI12hip_bfloat16NS0_10empty_typeEEEZZNS1_29radix_sort_onesweep_iterationIS3_Lb0EPKS5_PS5_PS6_SC_mNS0_19identity_decomposerENS1_16block_id_wrapperIjLb0EEEEE10hipError_tT1_PNSt15iterator_traitsISH_E10value_typeET2_T3_PNSI_ISN_E10value_typeET4_T5_PSS_ST_PNS1_23onesweep_lookback_stateEbbT6_jjT7_P12ihipStream_tbENKUlT_T0_SH_SM_E_clISA_SB_SC_SC_EEDaS10_S11_SH_SM_EUlS10_E_NS1_11comp_targetILNS1_3genE5ELNS1_11target_archE942ELNS1_3gpuE9ELNS1_3repE0EEENS1_47radix_sort_onesweep_sort_config_static_selectorELNS0_4arch9wavefront6targetE0EEEvSH_.kd
    .uniform_work_group_size: 1
    .uses_dynamic_stack: false
    .vgpr_count:     0
    .vgpr_spill_count: 0
    .wavefront_size: 32
  - .args:
      - .offset:         0
        .size:           88
        .value_kind:     by_value
    .group_segment_fixed_size: 0
    .kernarg_segment_align: 8
    .kernarg_segment_size: 88
    .language:       OpenCL C
    .language_version:
      - 2
      - 0
    .max_flat_workgroup_size: 512
    .name:           _ZN7rocprim17ROCPRIM_400000_NS6detail17trampoline_kernelINS0_14default_configENS1_35radix_sort_onesweep_config_selectorI12hip_bfloat16NS0_10empty_typeEEEZZNS1_29radix_sort_onesweep_iterationIS3_Lb0EPKS5_PS5_PS6_SC_mNS0_19identity_decomposerENS1_16block_id_wrapperIjLb0EEEEE10hipError_tT1_PNSt15iterator_traitsISH_E10value_typeET2_T3_PNSI_ISN_E10value_typeET4_T5_PSS_ST_PNS1_23onesweep_lookback_stateEbbT6_jjT7_P12ihipStream_tbENKUlT_T0_SH_SM_E_clISA_SB_SC_SC_EEDaS10_S11_SH_SM_EUlS10_E_NS1_11comp_targetILNS1_3genE2ELNS1_11target_archE906ELNS1_3gpuE6ELNS1_3repE0EEENS1_47radix_sort_onesweep_sort_config_static_selectorELNS0_4arch9wavefront6targetE0EEEvSH_
    .private_segment_fixed_size: 0
    .sgpr_count:     0
    .sgpr_spill_count: 0
    .symbol:         _ZN7rocprim17ROCPRIM_400000_NS6detail17trampoline_kernelINS0_14default_configENS1_35radix_sort_onesweep_config_selectorI12hip_bfloat16NS0_10empty_typeEEEZZNS1_29radix_sort_onesweep_iterationIS3_Lb0EPKS5_PS5_PS6_SC_mNS0_19identity_decomposerENS1_16block_id_wrapperIjLb0EEEEE10hipError_tT1_PNSt15iterator_traitsISH_E10value_typeET2_T3_PNSI_ISN_E10value_typeET4_T5_PSS_ST_PNS1_23onesweep_lookback_stateEbbT6_jjT7_P12ihipStream_tbENKUlT_T0_SH_SM_E_clISA_SB_SC_SC_EEDaS10_S11_SH_SM_EUlS10_E_NS1_11comp_targetILNS1_3genE2ELNS1_11target_archE906ELNS1_3gpuE6ELNS1_3repE0EEENS1_47radix_sort_onesweep_sort_config_static_selectorELNS0_4arch9wavefront6targetE0EEEvSH_.kd
    .uniform_work_group_size: 1
    .uses_dynamic_stack: false
    .vgpr_count:     0
    .vgpr_spill_count: 0
    .wavefront_size: 32
  - .args:
      - .offset:         0
        .size:           88
        .value_kind:     by_value
    .group_segment_fixed_size: 0
    .kernarg_segment_align: 8
    .kernarg_segment_size: 88
    .language:       OpenCL C
    .language_version:
      - 2
      - 0
    .max_flat_workgroup_size: 1024
    .name:           _ZN7rocprim17ROCPRIM_400000_NS6detail17trampoline_kernelINS0_14default_configENS1_35radix_sort_onesweep_config_selectorI12hip_bfloat16NS0_10empty_typeEEEZZNS1_29radix_sort_onesweep_iterationIS3_Lb0EPKS5_PS5_PS6_SC_mNS0_19identity_decomposerENS1_16block_id_wrapperIjLb0EEEEE10hipError_tT1_PNSt15iterator_traitsISH_E10value_typeET2_T3_PNSI_ISN_E10value_typeET4_T5_PSS_ST_PNS1_23onesweep_lookback_stateEbbT6_jjT7_P12ihipStream_tbENKUlT_T0_SH_SM_E_clISA_SB_SC_SC_EEDaS10_S11_SH_SM_EUlS10_E_NS1_11comp_targetILNS1_3genE4ELNS1_11target_archE910ELNS1_3gpuE8ELNS1_3repE0EEENS1_47radix_sort_onesweep_sort_config_static_selectorELNS0_4arch9wavefront6targetE0EEEvSH_
    .private_segment_fixed_size: 0
    .sgpr_count:     0
    .sgpr_spill_count: 0
    .symbol:         _ZN7rocprim17ROCPRIM_400000_NS6detail17trampoline_kernelINS0_14default_configENS1_35radix_sort_onesweep_config_selectorI12hip_bfloat16NS0_10empty_typeEEEZZNS1_29radix_sort_onesweep_iterationIS3_Lb0EPKS5_PS5_PS6_SC_mNS0_19identity_decomposerENS1_16block_id_wrapperIjLb0EEEEE10hipError_tT1_PNSt15iterator_traitsISH_E10value_typeET2_T3_PNSI_ISN_E10value_typeET4_T5_PSS_ST_PNS1_23onesweep_lookback_stateEbbT6_jjT7_P12ihipStream_tbENKUlT_T0_SH_SM_E_clISA_SB_SC_SC_EEDaS10_S11_SH_SM_EUlS10_E_NS1_11comp_targetILNS1_3genE4ELNS1_11target_archE910ELNS1_3gpuE8ELNS1_3repE0EEENS1_47radix_sort_onesweep_sort_config_static_selectorELNS0_4arch9wavefront6targetE0EEEvSH_.kd
    .uniform_work_group_size: 1
    .uses_dynamic_stack: false
    .vgpr_count:     0
    .vgpr_spill_count: 0
    .wavefront_size: 32
  - .args:
      - .offset:         0
        .size:           88
        .value_kind:     by_value
    .group_segment_fixed_size: 0
    .kernarg_segment_align: 8
    .kernarg_segment_size: 88
    .language:       OpenCL C
    .language_version:
      - 2
      - 0
    .max_flat_workgroup_size: 512
    .name:           _ZN7rocprim17ROCPRIM_400000_NS6detail17trampoline_kernelINS0_14default_configENS1_35radix_sort_onesweep_config_selectorI12hip_bfloat16NS0_10empty_typeEEEZZNS1_29radix_sort_onesweep_iterationIS3_Lb0EPKS5_PS5_PS6_SC_mNS0_19identity_decomposerENS1_16block_id_wrapperIjLb0EEEEE10hipError_tT1_PNSt15iterator_traitsISH_E10value_typeET2_T3_PNSI_ISN_E10value_typeET4_T5_PSS_ST_PNS1_23onesweep_lookback_stateEbbT6_jjT7_P12ihipStream_tbENKUlT_T0_SH_SM_E_clISA_SB_SC_SC_EEDaS10_S11_SH_SM_EUlS10_E_NS1_11comp_targetILNS1_3genE3ELNS1_11target_archE908ELNS1_3gpuE7ELNS1_3repE0EEENS1_47radix_sort_onesweep_sort_config_static_selectorELNS0_4arch9wavefront6targetE0EEEvSH_
    .private_segment_fixed_size: 0
    .sgpr_count:     0
    .sgpr_spill_count: 0
    .symbol:         _ZN7rocprim17ROCPRIM_400000_NS6detail17trampoline_kernelINS0_14default_configENS1_35radix_sort_onesweep_config_selectorI12hip_bfloat16NS0_10empty_typeEEEZZNS1_29radix_sort_onesweep_iterationIS3_Lb0EPKS5_PS5_PS6_SC_mNS0_19identity_decomposerENS1_16block_id_wrapperIjLb0EEEEE10hipError_tT1_PNSt15iterator_traitsISH_E10value_typeET2_T3_PNSI_ISN_E10value_typeET4_T5_PSS_ST_PNS1_23onesweep_lookback_stateEbbT6_jjT7_P12ihipStream_tbENKUlT_T0_SH_SM_E_clISA_SB_SC_SC_EEDaS10_S11_SH_SM_EUlS10_E_NS1_11comp_targetILNS1_3genE3ELNS1_11target_archE908ELNS1_3gpuE7ELNS1_3repE0EEENS1_47radix_sort_onesweep_sort_config_static_selectorELNS0_4arch9wavefront6targetE0EEEvSH_.kd
    .uniform_work_group_size: 1
    .uses_dynamic_stack: false
    .vgpr_count:     0
    .vgpr_spill_count: 0
    .wavefront_size: 32
  - .args:
      - .offset:         0
        .size:           88
        .value_kind:     by_value
    .group_segment_fixed_size: 0
    .kernarg_segment_align: 8
    .kernarg_segment_size: 88
    .language:       OpenCL C
    .language_version:
      - 2
      - 0
    .max_flat_workgroup_size: 256
    .name:           _ZN7rocprim17ROCPRIM_400000_NS6detail17trampoline_kernelINS0_14default_configENS1_35radix_sort_onesweep_config_selectorI12hip_bfloat16NS0_10empty_typeEEEZZNS1_29radix_sort_onesweep_iterationIS3_Lb0EPKS5_PS5_PS6_SC_mNS0_19identity_decomposerENS1_16block_id_wrapperIjLb0EEEEE10hipError_tT1_PNSt15iterator_traitsISH_E10value_typeET2_T3_PNSI_ISN_E10value_typeET4_T5_PSS_ST_PNS1_23onesweep_lookback_stateEbbT6_jjT7_P12ihipStream_tbENKUlT_T0_SH_SM_E_clISA_SB_SC_SC_EEDaS10_S11_SH_SM_EUlS10_E_NS1_11comp_targetILNS1_3genE10ELNS1_11target_archE1201ELNS1_3gpuE5ELNS1_3repE0EEENS1_47radix_sort_onesweep_sort_config_static_selectorELNS0_4arch9wavefront6targetE0EEEvSH_
    .private_segment_fixed_size: 0
    .sgpr_count:     0
    .sgpr_spill_count: 0
    .symbol:         _ZN7rocprim17ROCPRIM_400000_NS6detail17trampoline_kernelINS0_14default_configENS1_35radix_sort_onesweep_config_selectorI12hip_bfloat16NS0_10empty_typeEEEZZNS1_29radix_sort_onesweep_iterationIS3_Lb0EPKS5_PS5_PS6_SC_mNS0_19identity_decomposerENS1_16block_id_wrapperIjLb0EEEEE10hipError_tT1_PNSt15iterator_traitsISH_E10value_typeET2_T3_PNSI_ISN_E10value_typeET4_T5_PSS_ST_PNS1_23onesweep_lookback_stateEbbT6_jjT7_P12ihipStream_tbENKUlT_T0_SH_SM_E_clISA_SB_SC_SC_EEDaS10_S11_SH_SM_EUlS10_E_NS1_11comp_targetILNS1_3genE10ELNS1_11target_archE1201ELNS1_3gpuE5ELNS1_3repE0EEENS1_47radix_sort_onesweep_sort_config_static_selectorELNS0_4arch9wavefront6targetE0EEEvSH_.kd
    .uniform_work_group_size: 1
    .uses_dynamic_stack: false
    .vgpr_count:     0
    .vgpr_spill_count: 0
    .wavefront_size: 32
  - .args:
      - .offset:         0
        .size:           88
        .value_kind:     by_value
    .group_segment_fixed_size: 0
    .kernarg_segment_align: 8
    .kernarg_segment_size: 88
    .language:       OpenCL C
    .language_version:
      - 2
      - 0
    .max_flat_workgroup_size: 256
    .name:           _ZN7rocprim17ROCPRIM_400000_NS6detail17trampoline_kernelINS0_14default_configENS1_35radix_sort_onesweep_config_selectorI12hip_bfloat16NS0_10empty_typeEEEZZNS1_29radix_sort_onesweep_iterationIS3_Lb0EPKS5_PS5_PS6_SC_mNS0_19identity_decomposerENS1_16block_id_wrapperIjLb0EEEEE10hipError_tT1_PNSt15iterator_traitsISH_E10value_typeET2_T3_PNSI_ISN_E10value_typeET4_T5_PSS_ST_PNS1_23onesweep_lookback_stateEbbT6_jjT7_P12ihipStream_tbENKUlT_T0_SH_SM_E_clISA_SB_SC_SC_EEDaS10_S11_SH_SM_EUlS10_E_NS1_11comp_targetILNS1_3genE9ELNS1_11target_archE1100ELNS1_3gpuE3ELNS1_3repE0EEENS1_47radix_sort_onesweep_sort_config_static_selectorELNS0_4arch9wavefront6targetE0EEEvSH_
    .private_segment_fixed_size: 0
    .sgpr_count:     0
    .sgpr_spill_count: 0
    .symbol:         _ZN7rocprim17ROCPRIM_400000_NS6detail17trampoline_kernelINS0_14default_configENS1_35radix_sort_onesweep_config_selectorI12hip_bfloat16NS0_10empty_typeEEEZZNS1_29radix_sort_onesweep_iterationIS3_Lb0EPKS5_PS5_PS6_SC_mNS0_19identity_decomposerENS1_16block_id_wrapperIjLb0EEEEE10hipError_tT1_PNSt15iterator_traitsISH_E10value_typeET2_T3_PNSI_ISN_E10value_typeET4_T5_PSS_ST_PNS1_23onesweep_lookback_stateEbbT6_jjT7_P12ihipStream_tbENKUlT_T0_SH_SM_E_clISA_SB_SC_SC_EEDaS10_S11_SH_SM_EUlS10_E_NS1_11comp_targetILNS1_3genE9ELNS1_11target_archE1100ELNS1_3gpuE3ELNS1_3repE0EEENS1_47radix_sort_onesweep_sort_config_static_selectorELNS0_4arch9wavefront6targetE0EEEvSH_.kd
    .uniform_work_group_size: 1
    .uses_dynamic_stack: false
    .vgpr_count:     0
    .vgpr_spill_count: 0
    .wavefront_size: 32
  - .args:
      - .offset:         0
        .size:           88
        .value_kind:     by_value
    .group_segment_fixed_size: 0
    .kernarg_segment_align: 8
    .kernarg_segment_size: 88
    .language:       OpenCL C
    .language_version:
      - 2
      - 0
    .max_flat_workgroup_size: 256
    .name:           _ZN7rocprim17ROCPRIM_400000_NS6detail17trampoline_kernelINS0_14default_configENS1_35radix_sort_onesweep_config_selectorI12hip_bfloat16NS0_10empty_typeEEEZZNS1_29radix_sort_onesweep_iterationIS3_Lb0EPKS5_PS5_PS6_SC_mNS0_19identity_decomposerENS1_16block_id_wrapperIjLb0EEEEE10hipError_tT1_PNSt15iterator_traitsISH_E10value_typeET2_T3_PNSI_ISN_E10value_typeET4_T5_PSS_ST_PNS1_23onesweep_lookback_stateEbbT6_jjT7_P12ihipStream_tbENKUlT_T0_SH_SM_E_clISA_SB_SC_SC_EEDaS10_S11_SH_SM_EUlS10_E_NS1_11comp_targetILNS1_3genE8ELNS1_11target_archE1030ELNS1_3gpuE2ELNS1_3repE0EEENS1_47radix_sort_onesweep_sort_config_static_selectorELNS0_4arch9wavefront6targetE0EEEvSH_
    .private_segment_fixed_size: 0
    .sgpr_count:     0
    .sgpr_spill_count: 0
    .symbol:         _ZN7rocprim17ROCPRIM_400000_NS6detail17trampoline_kernelINS0_14default_configENS1_35radix_sort_onesweep_config_selectorI12hip_bfloat16NS0_10empty_typeEEEZZNS1_29radix_sort_onesweep_iterationIS3_Lb0EPKS5_PS5_PS6_SC_mNS0_19identity_decomposerENS1_16block_id_wrapperIjLb0EEEEE10hipError_tT1_PNSt15iterator_traitsISH_E10value_typeET2_T3_PNSI_ISN_E10value_typeET4_T5_PSS_ST_PNS1_23onesweep_lookback_stateEbbT6_jjT7_P12ihipStream_tbENKUlT_T0_SH_SM_E_clISA_SB_SC_SC_EEDaS10_S11_SH_SM_EUlS10_E_NS1_11comp_targetILNS1_3genE8ELNS1_11target_archE1030ELNS1_3gpuE2ELNS1_3repE0EEENS1_47radix_sort_onesweep_sort_config_static_selectorELNS0_4arch9wavefront6targetE0EEEvSH_.kd
    .uniform_work_group_size: 1
    .uses_dynamic_stack: false
    .vgpr_count:     0
    .vgpr_spill_count: 0
    .wavefront_size: 32
  - .args:
      - .offset:         0
        .size:           88
        .value_kind:     by_value
      - .offset:         88
        .size:           4
        .value_kind:     hidden_block_count_x
      - .offset:         92
        .size:           4
        .value_kind:     hidden_block_count_y
      - .offset:         96
        .size:           4
        .value_kind:     hidden_block_count_z
      - .offset:         100
        .size:           2
        .value_kind:     hidden_group_size_x
      - .offset:         102
        .size:           2
        .value_kind:     hidden_group_size_y
      - .offset:         104
        .size:           2
        .value_kind:     hidden_group_size_z
      - .offset:         106
        .size:           2
        .value_kind:     hidden_remainder_x
      - .offset:         108
        .size:           2
        .value_kind:     hidden_remainder_y
      - .offset:         110
        .size:           2
        .value_kind:     hidden_remainder_z
      - .offset:         128
        .size:           8
        .value_kind:     hidden_global_offset_x
      - .offset:         136
        .size:           8
        .value_kind:     hidden_global_offset_y
      - .offset:         144
        .size:           8
        .value_kind:     hidden_global_offset_z
      - .offset:         152
        .size:           2
        .value_kind:     hidden_grid_dims
    .group_segment_fixed_size: 18504
    .kernarg_segment_align: 8
    .kernarg_segment_size: 344
    .language:       OpenCL C
    .language_version:
      - 2
      - 0
    .max_flat_workgroup_size: 512
    .name:           _ZN7rocprim17ROCPRIM_400000_NS6detail17trampoline_kernelINS0_14default_configENS1_35radix_sort_onesweep_config_selectorI12hip_bfloat16NS0_10empty_typeEEEZZNS1_29radix_sort_onesweep_iterationIS3_Lb0EPKS5_PS5_PS6_SC_mNS0_19identity_decomposerENS1_16block_id_wrapperIjLb0EEEEE10hipError_tT1_PNSt15iterator_traitsISH_E10value_typeET2_T3_PNSI_ISN_E10value_typeET4_T5_PSS_ST_PNS1_23onesweep_lookback_stateEbbT6_jjT7_P12ihipStream_tbENKUlT_T0_SH_SM_E_clISB_SB_SC_SC_EEDaS10_S11_SH_SM_EUlS10_E_NS1_11comp_targetILNS1_3genE0ELNS1_11target_archE4294967295ELNS1_3gpuE0ELNS1_3repE0EEENS1_47radix_sort_onesweep_sort_config_static_selectorELNS0_4arch9wavefront6targetE0EEEvSH_
    .private_segment_fixed_size: 0
    .sgpr_count:     30
    .sgpr_spill_count: 0
    .symbol:         _ZN7rocprim17ROCPRIM_400000_NS6detail17trampoline_kernelINS0_14default_configENS1_35radix_sort_onesweep_config_selectorI12hip_bfloat16NS0_10empty_typeEEEZZNS1_29radix_sort_onesweep_iterationIS3_Lb0EPKS5_PS5_PS6_SC_mNS0_19identity_decomposerENS1_16block_id_wrapperIjLb0EEEEE10hipError_tT1_PNSt15iterator_traitsISH_E10value_typeET2_T3_PNSI_ISN_E10value_typeET4_T5_PSS_ST_PNS1_23onesweep_lookback_stateEbbT6_jjT7_P12ihipStream_tbENKUlT_T0_SH_SM_E_clISB_SB_SC_SC_EEDaS10_S11_SH_SM_EUlS10_E_NS1_11comp_targetILNS1_3genE0ELNS1_11target_archE4294967295ELNS1_3gpuE0ELNS1_3repE0EEENS1_47radix_sort_onesweep_sort_config_static_selectorELNS0_4arch9wavefront6targetE0EEEvSH_.kd
    .uniform_work_group_size: 1
    .uses_dynamic_stack: false
    .vgpr_count:     65
    .vgpr_spill_count: 0
    .wavefront_size: 32
  - .args:
      - .offset:         0
        .size:           88
        .value_kind:     by_value
    .group_segment_fixed_size: 0
    .kernarg_segment_align: 8
    .kernarg_segment_size: 88
    .language:       OpenCL C
    .language_version:
      - 2
      - 0
    .max_flat_workgroup_size: 1024
    .name:           _ZN7rocprim17ROCPRIM_400000_NS6detail17trampoline_kernelINS0_14default_configENS1_35radix_sort_onesweep_config_selectorI12hip_bfloat16NS0_10empty_typeEEEZZNS1_29radix_sort_onesweep_iterationIS3_Lb0EPKS5_PS5_PS6_SC_mNS0_19identity_decomposerENS1_16block_id_wrapperIjLb0EEEEE10hipError_tT1_PNSt15iterator_traitsISH_E10value_typeET2_T3_PNSI_ISN_E10value_typeET4_T5_PSS_ST_PNS1_23onesweep_lookback_stateEbbT6_jjT7_P12ihipStream_tbENKUlT_T0_SH_SM_E_clISB_SB_SC_SC_EEDaS10_S11_SH_SM_EUlS10_E_NS1_11comp_targetILNS1_3genE6ELNS1_11target_archE950ELNS1_3gpuE13ELNS1_3repE0EEENS1_47radix_sort_onesweep_sort_config_static_selectorELNS0_4arch9wavefront6targetE0EEEvSH_
    .private_segment_fixed_size: 0
    .sgpr_count:     0
    .sgpr_spill_count: 0
    .symbol:         _ZN7rocprim17ROCPRIM_400000_NS6detail17trampoline_kernelINS0_14default_configENS1_35radix_sort_onesweep_config_selectorI12hip_bfloat16NS0_10empty_typeEEEZZNS1_29radix_sort_onesweep_iterationIS3_Lb0EPKS5_PS5_PS6_SC_mNS0_19identity_decomposerENS1_16block_id_wrapperIjLb0EEEEE10hipError_tT1_PNSt15iterator_traitsISH_E10value_typeET2_T3_PNSI_ISN_E10value_typeET4_T5_PSS_ST_PNS1_23onesweep_lookback_stateEbbT6_jjT7_P12ihipStream_tbENKUlT_T0_SH_SM_E_clISB_SB_SC_SC_EEDaS10_S11_SH_SM_EUlS10_E_NS1_11comp_targetILNS1_3genE6ELNS1_11target_archE950ELNS1_3gpuE13ELNS1_3repE0EEENS1_47radix_sort_onesweep_sort_config_static_selectorELNS0_4arch9wavefront6targetE0EEEvSH_.kd
    .uniform_work_group_size: 1
    .uses_dynamic_stack: false
    .vgpr_count:     0
    .vgpr_spill_count: 0
    .wavefront_size: 32
  - .args:
      - .offset:         0
        .size:           88
        .value_kind:     by_value
    .group_segment_fixed_size: 0
    .kernarg_segment_align: 8
    .kernarg_segment_size: 88
    .language:       OpenCL C
    .language_version:
      - 2
      - 0
    .max_flat_workgroup_size: 1024
    .name:           _ZN7rocprim17ROCPRIM_400000_NS6detail17trampoline_kernelINS0_14default_configENS1_35radix_sort_onesweep_config_selectorI12hip_bfloat16NS0_10empty_typeEEEZZNS1_29radix_sort_onesweep_iterationIS3_Lb0EPKS5_PS5_PS6_SC_mNS0_19identity_decomposerENS1_16block_id_wrapperIjLb0EEEEE10hipError_tT1_PNSt15iterator_traitsISH_E10value_typeET2_T3_PNSI_ISN_E10value_typeET4_T5_PSS_ST_PNS1_23onesweep_lookback_stateEbbT6_jjT7_P12ihipStream_tbENKUlT_T0_SH_SM_E_clISB_SB_SC_SC_EEDaS10_S11_SH_SM_EUlS10_E_NS1_11comp_targetILNS1_3genE5ELNS1_11target_archE942ELNS1_3gpuE9ELNS1_3repE0EEENS1_47radix_sort_onesweep_sort_config_static_selectorELNS0_4arch9wavefront6targetE0EEEvSH_
    .private_segment_fixed_size: 0
    .sgpr_count:     0
    .sgpr_spill_count: 0
    .symbol:         _ZN7rocprim17ROCPRIM_400000_NS6detail17trampoline_kernelINS0_14default_configENS1_35radix_sort_onesweep_config_selectorI12hip_bfloat16NS0_10empty_typeEEEZZNS1_29radix_sort_onesweep_iterationIS3_Lb0EPKS5_PS5_PS6_SC_mNS0_19identity_decomposerENS1_16block_id_wrapperIjLb0EEEEE10hipError_tT1_PNSt15iterator_traitsISH_E10value_typeET2_T3_PNSI_ISN_E10value_typeET4_T5_PSS_ST_PNS1_23onesweep_lookback_stateEbbT6_jjT7_P12ihipStream_tbENKUlT_T0_SH_SM_E_clISB_SB_SC_SC_EEDaS10_S11_SH_SM_EUlS10_E_NS1_11comp_targetILNS1_3genE5ELNS1_11target_archE942ELNS1_3gpuE9ELNS1_3repE0EEENS1_47radix_sort_onesweep_sort_config_static_selectorELNS0_4arch9wavefront6targetE0EEEvSH_.kd
    .uniform_work_group_size: 1
    .uses_dynamic_stack: false
    .vgpr_count:     0
    .vgpr_spill_count: 0
    .wavefront_size: 32
  - .args:
      - .offset:         0
        .size:           88
        .value_kind:     by_value
    .group_segment_fixed_size: 0
    .kernarg_segment_align: 8
    .kernarg_segment_size: 88
    .language:       OpenCL C
    .language_version:
      - 2
      - 0
    .max_flat_workgroup_size: 512
    .name:           _ZN7rocprim17ROCPRIM_400000_NS6detail17trampoline_kernelINS0_14default_configENS1_35radix_sort_onesweep_config_selectorI12hip_bfloat16NS0_10empty_typeEEEZZNS1_29radix_sort_onesweep_iterationIS3_Lb0EPKS5_PS5_PS6_SC_mNS0_19identity_decomposerENS1_16block_id_wrapperIjLb0EEEEE10hipError_tT1_PNSt15iterator_traitsISH_E10value_typeET2_T3_PNSI_ISN_E10value_typeET4_T5_PSS_ST_PNS1_23onesweep_lookback_stateEbbT6_jjT7_P12ihipStream_tbENKUlT_T0_SH_SM_E_clISB_SB_SC_SC_EEDaS10_S11_SH_SM_EUlS10_E_NS1_11comp_targetILNS1_3genE2ELNS1_11target_archE906ELNS1_3gpuE6ELNS1_3repE0EEENS1_47radix_sort_onesweep_sort_config_static_selectorELNS0_4arch9wavefront6targetE0EEEvSH_
    .private_segment_fixed_size: 0
    .sgpr_count:     0
    .sgpr_spill_count: 0
    .symbol:         _ZN7rocprim17ROCPRIM_400000_NS6detail17trampoline_kernelINS0_14default_configENS1_35radix_sort_onesweep_config_selectorI12hip_bfloat16NS0_10empty_typeEEEZZNS1_29radix_sort_onesweep_iterationIS3_Lb0EPKS5_PS5_PS6_SC_mNS0_19identity_decomposerENS1_16block_id_wrapperIjLb0EEEEE10hipError_tT1_PNSt15iterator_traitsISH_E10value_typeET2_T3_PNSI_ISN_E10value_typeET4_T5_PSS_ST_PNS1_23onesweep_lookback_stateEbbT6_jjT7_P12ihipStream_tbENKUlT_T0_SH_SM_E_clISB_SB_SC_SC_EEDaS10_S11_SH_SM_EUlS10_E_NS1_11comp_targetILNS1_3genE2ELNS1_11target_archE906ELNS1_3gpuE6ELNS1_3repE0EEENS1_47radix_sort_onesweep_sort_config_static_selectorELNS0_4arch9wavefront6targetE0EEEvSH_.kd
    .uniform_work_group_size: 1
    .uses_dynamic_stack: false
    .vgpr_count:     0
    .vgpr_spill_count: 0
    .wavefront_size: 32
  - .args:
      - .offset:         0
        .size:           88
        .value_kind:     by_value
    .group_segment_fixed_size: 0
    .kernarg_segment_align: 8
    .kernarg_segment_size: 88
    .language:       OpenCL C
    .language_version:
      - 2
      - 0
    .max_flat_workgroup_size: 1024
    .name:           _ZN7rocprim17ROCPRIM_400000_NS6detail17trampoline_kernelINS0_14default_configENS1_35radix_sort_onesweep_config_selectorI12hip_bfloat16NS0_10empty_typeEEEZZNS1_29radix_sort_onesweep_iterationIS3_Lb0EPKS5_PS5_PS6_SC_mNS0_19identity_decomposerENS1_16block_id_wrapperIjLb0EEEEE10hipError_tT1_PNSt15iterator_traitsISH_E10value_typeET2_T3_PNSI_ISN_E10value_typeET4_T5_PSS_ST_PNS1_23onesweep_lookback_stateEbbT6_jjT7_P12ihipStream_tbENKUlT_T0_SH_SM_E_clISB_SB_SC_SC_EEDaS10_S11_SH_SM_EUlS10_E_NS1_11comp_targetILNS1_3genE4ELNS1_11target_archE910ELNS1_3gpuE8ELNS1_3repE0EEENS1_47radix_sort_onesweep_sort_config_static_selectorELNS0_4arch9wavefront6targetE0EEEvSH_
    .private_segment_fixed_size: 0
    .sgpr_count:     0
    .sgpr_spill_count: 0
    .symbol:         _ZN7rocprim17ROCPRIM_400000_NS6detail17trampoline_kernelINS0_14default_configENS1_35radix_sort_onesweep_config_selectorI12hip_bfloat16NS0_10empty_typeEEEZZNS1_29radix_sort_onesweep_iterationIS3_Lb0EPKS5_PS5_PS6_SC_mNS0_19identity_decomposerENS1_16block_id_wrapperIjLb0EEEEE10hipError_tT1_PNSt15iterator_traitsISH_E10value_typeET2_T3_PNSI_ISN_E10value_typeET4_T5_PSS_ST_PNS1_23onesweep_lookback_stateEbbT6_jjT7_P12ihipStream_tbENKUlT_T0_SH_SM_E_clISB_SB_SC_SC_EEDaS10_S11_SH_SM_EUlS10_E_NS1_11comp_targetILNS1_3genE4ELNS1_11target_archE910ELNS1_3gpuE8ELNS1_3repE0EEENS1_47radix_sort_onesweep_sort_config_static_selectorELNS0_4arch9wavefront6targetE0EEEvSH_.kd
    .uniform_work_group_size: 1
    .uses_dynamic_stack: false
    .vgpr_count:     0
    .vgpr_spill_count: 0
    .wavefront_size: 32
  - .args:
      - .offset:         0
        .size:           88
        .value_kind:     by_value
    .group_segment_fixed_size: 0
    .kernarg_segment_align: 8
    .kernarg_segment_size: 88
    .language:       OpenCL C
    .language_version:
      - 2
      - 0
    .max_flat_workgroup_size: 512
    .name:           _ZN7rocprim17ROCPRIM_400000_NS6detail17trampoline_kernelINS0_14default_configENS1_35radix_sort_onesweep_config_selectorI12hip_bfloat16NS0_10empty_typeEEEZZNS1_29radix_sort_onesweep_iterationIS3_Lb0EPKS5_PS5_PS6_SC_mNS0_19identity_decomposerENS1_16block_id_wrapperIjLb0EEEEE10hipError_tT1_PNSt15iterator_traitsISH_E10value_typeET2_T3_PNSI_ISN_E10value_typeET4_T5_PSS_ST_PNS1_23onesweep_lookback_stateEbbT6_jjT7_P12ihipStream_tbENKUlT_T0_SH_SM_E_clISB_SB_SC_SC_EEDaS10_S11_SH_SM_EUlS10_E_NS1_11comp_targetILNS1_3genE3ELNS1_11target_archE908ELNS1_3gpuE7ELNS1_3repE0EEENS1_47radix_sort_onesweep_sort_config_static_selectorELNS0_4arch9wavefront6targetE0EEEvSH_
    .private_segment_fixed_size: 0
    .sgpr_count:     0
    .sgpr_spill_count: 0
    .symbol:         _ZN7rocprim17ROCPRIM_400000_NS6detail17trampoline_kernelINS0_14default_configENS1_35radix_sort_onesweep_config_selectorI12hip_bfloat16NS0_10empty_typeEEEZZNS1_29radix_sort_onesweep_iterationIS3_Lb0EPKS5_PS5_PS6_SC_mNS0_19identity_decomposerENS1_16block_id_wrapperIjLb0EEEEE10hipError_tT1_PNSt15iterator_traitsISH_E10value_typeET2_T3_PNSI_ISN_E10value_typeET4_T5_PSS_ST_PNS1_23onesweep_lookback_stateEbbT6_jjT7_P12ihipStream_tbENKUlT_T0_SH_SM_E_clISB_SB_SC_SC_EEDaS10_S11_SH_SM_EUlS10_E_NS1_11comp_targetILNS1_3genE3ELNS1_11target_archE908ELNS1_3gpuE7ELNS1_3repE0EEENS1_47radix_sort_onesweep_sort_config_static_selectorELNS0_4arch9wavefront6targetE0EEEvSH_.kd
    .uniform_work_group_size: 1
    .uses_dynamic_stack: false
    .vgpr_count:     0
    .vgpr_spill_count: 0
    .wavefront_size: 32
  - .args:
      - .offset:         0
        .size:           88
        .value_kind:     by_value
    .group_segment_fixed_size: 0
    .kernarg_segment_align: 8
    .kernarg_segment_size: 88
    .language:       OpenCL C
    .language_version:
      - 2
      - 0
    .max_flat_workgroup_size: 256
    .name:           _ZN7rocprim17ROCPRIM_400000_NS6detail17trampoline_kernelINS0_14default_configENS1_35radix_sort_onesweep_config_selectorI12hip_bfloat16NS0_10empty_typeEEEZZNS1_29radix_sort_onesweep_iterationIS3_Lb0EPKS5_PS5_PS6_SC_mNS0_19identity_decomposerENS1_16block_id_wrapperIjLb0EEEEE10hipError_tT1_PNSt15iterator_traitsISH_E10value_typeET2_T3_PNSI_ISN_E10value_typeET4_T5_PSS_ST_PNS1_23onesweep_lookback_stateEbbT6_jjT7_P12ihipStream_tbENKUlT_T0_SH_SM_E_clISB_SB_SC_SC_EEDaS10_S11_SH_SM_EUlS10_E_NS1_11comp_targetILNS1_3genE10ELNS1_11target_archE1201ELNS1_3gpuE5ELNS1_3repE0EEENS1_47radix_sort_onesweep_sort_config_static_selectorELNS0_4arch9wavefront6targetE0EEEvSH_
    .private_segment_fixed_size: 0
    .sgpr_count:     0
    .sgpr_spill_count: 0
    .symbol:         _ZN7rocprim17ROCPRIM_400000_NS6detail17trampoline_kernelINS0_14default_configENS1_35radix_sort_onesweep_config_selectorI12hip_bfloat16NS0_10empty_typeEEEZZNS1_29radix_sort_onesweep_iterationIS3_Lb0EPKS5_PS5_PS6_SC_mNS0_19identity_decomposerENS1_16block_id_wrapperIjLb0EEEEE10hipError_tT1_PNSt15iterator_traitsISH_E10value_typeET2_T3_PNSI_ISN_E10value_typeET4_T5_PSS_ST_PNS1_23onesweep_lookback_stateEbbT6_jjT7_P12ihipStream_tbENKUlT_T0_SH_SM_E_clISB_SB_SC_SC_EEDaS10_S11_SH_SM_EUlS10_E_NS1_11comp_targetILNS1_3genE10ELNS1_11target_archE1201ELNS1_3gpuE5ELNS1_3repE0EEENS1_47radix_sort_onesweep_sort_config_static_selectorELNS0_4arch9wavefront6targetE0EEEvSH_.kd
    .uniform_work_group_size: 1
    .uses_dynamic_stack: false
    .vgpr_count:     0
    .vgpr_spill_count: 0
    .wavefront_size: 32
  - .args:
      - .offset:         0
        .size:           88
        .value_kind:     by_value
    .group_segment_fixed_size: 0
    .kernarg_segment_align: 8
    .kernarg_segment_size: 88
    .language:       OpenCL C
    .language_version:
      - 2
      - 0
    .max_flat_workgroup_size: 256
    .name:           _ZN7rocprim17ROCPRIM_400000_NS6detail17trampoline_kernelINS0_14default_configENS1_35radix_sort_onesweep_config_selectorI12hip_bfloat16NS0_10empty_typeEEEZZNS1_29radix_sort_onesweep_iterationIS3_Lb0EPKS5_PS5_PS6_SC_mNS0_19identity_decomposerENS1_16block_id_wrapperIjLb0EEEEE10hipError_tT1_PNSt15iterator_traitsISH_E10value_typeET2_T3_PNSI_ISN_E10value_typeET4_T5_PSS_ST_PNS1_23onesweep_lookback_stateEbbT6_jjT7_P12ihipStream_tbENKUlT_T0_SH_SM_E_clISB_SB_SC_SC_EEDaS10_S11_SH_SM_EUlS10_E_NS1_11comp_targetILNS1_3genE9ELNS1_11target_archE1100ELNS1_3gpuE3ELNS1_3repE0EEENS1_47radix_sort_onesweep_sort_config_static_selectorELNS0_4arch9wavefront6targetE0EEEvSH_
    .private_segment_fixed_size: 0
    .sgpr_count:     0
    .sgpr_spill_count: 0
    .symbol:         _ZN7rocprim17ROCPRIM_400000_NS6detail17trampoline_kernelINS0_14default_configENS1_35radix_sort_onesweep_config_selectorI12hip_bfloat16NS0_10empty_typeEEEZZNS1_29radix_sort_onesweep_iterationIS3_Lb0EPKS5_PS5_PS6_SC_mNS0_19identity_decomposerENS1_16block_id_wrapperIjLb0EEEEE10hipError_tT1_PNSt15iterator_traitsISH_E10value_typeET2_T3_PNSI_ISN_E10value_typeET4_T5_PSS_ST_PNS1_23onesweep_lookback_stateEbbT6_jjT7_P12ihipStream_tbENKUlT_T0_SH_SM_E_clISB_SB_SC_SC_EEDaS10_S11_SH_SM_EUlS10_E_NS1_11comp_targetILNS1_3genE9ELNS1_11target_archE1100ELNS1_3gpuE3ELNS1_3repE0EEENS1_47radix_sort_onesweep_sort_config_static_selectorELNS0_4arch9wavefront6targetE0EEEvSH_.kd
    .uniform_work_group_size: 1
    .uses_dynamic_stack: false
    .vgpr_count:     0
    .vgpr_spill_count: 0
    .wavefront_size: 32
  - .args:
      - .offset:         0
        .size:           88
        .value_kind:     by_value
    .group_segment_fixed_size: 0
    .kernarg_segment_align: 8
    .kernarg_segment_size: 88
    .language:       OpenCL C
    .language_version:
      - 2
      - 0
    .max_flat_workgroup_size: 256
    .name:           _ZN7rocprim17ROCPRIM_400000_NS6detail17trampoline_kernelINS0_14default_configENS1_35radix_sort_onesweep_config_selectorI12hip_bfloat16NS0_10empty_typeEEEZZNS1_29radix_sort_onesweep_iterationIS3_Lb0EPKS5_PS5_PS6_SC_mNS0_19identity_decomposerENS1_16block_id_wrapperIjLb0EEEEE10hipError_tT1_PNSt15iterator_traitsISH_E10value_typeET2_T3_PNSI_ISN_E10value_typeET4_T5_PSS_ST_PNS1_23onesweep_lookback_stateEbbT6_jjT7_P12ihipStream_tbENKUlT_T0_SH_SM_E_clISB_SB_SC_SC_EEDaS10_S11_SH_SM_EUlS10_E_NS1_11comp_targetILNS1_3genE8ELNS1_11target_archE1030ELNS1_3gpuE2ELNS1_3repE0EEENS1_47radix_sort_onesweep_sort_config_static_selectorELNS0_4arch9wavefront6targetE0EEEvSH_
    .private_segment_fixed_size: 0
    .sgpr_count:     0
    .sgpr_spill_count: 0
    .symbol:         _ZN7rocprim17ROCPRIM_400000_NS6detail17trampoline_kernelINS0_14default_configENS1_35radix_sort_onesweep_config_selectorI12hip_bfloat16NS0_10empty_typeEEEZZNS1_29radix_sort_onesweep_iterationIS3_Lb0EPKS5_PS5_PS6_SC_mNS0_19identity_decomposerENS1_16block_id_wrapperIjLb0EEEEE10hipError_tT1_PNSt15iterator_traitsISH_E10value_typeET2_T3_PNSI_ISN_E10value_typeET4_T5_PSS_ST_PNS1_23onesweep_lookback_stateEbbT6_jjT7_P12ihipStream_tbENKUlT_T0_SH_SM_E_clISB_SB_SC_SC_EEDaS10_S11_SH_SM_EUlS10_E_NS1_11comp_targetILNS1_3genE8ELNS1_11target_archE1030ELNS1_3gpuE2ELNS1_3repE0EEENS1_47radix_sort_onesweep_sort_config_static_selectorELNS0_4arch9wavefront6targetE0EEEvSH_.kd
    .uniform_work_group_size: 1
    .uses_dynamic_stack: false
    .vgpr_count:     0
    .vgpr_spill_count: 0
    .wavefront_size: 32
  - .args:
      - .offset:         0
        .size:           48
        .value_kind:     by_value
      - .offset:         48
        .size:           4
        .value_kind:     hidden_block_count_x
      - .offset:         52
        .size:           4
        .value_kind:     hidden_block_count_y
      - .offset:         56
        .size:           4
        .value_kind:     hidden_block_count_z
      - .offset:         60
        .size:           2
        .value_kind:     hidden_group_size_x
      - .offset:         62
        .size:           2
        .value_kind:     hidden_group_size_y
      - .offset:         64
        .size:           2
        .value_kind:     hidden_group_size_z
      - .offset:         66
        .size:           2
        .value_kind:     hidden_remainder_x
      - .offset:         68
        .size:           2
        .value_kind:     hidden_remainder_y
      - .offset:         70
        .size:           2
        .value_kind:     hidden_remainder_z
      - .offset:         88
        .size:           8
        .value_kind:     hidden_global_offset_x
      - .offset:         96
        .size:           8
        .value_kind:     hidden_global_offset_y
      - .offset:         104
        .size:           8
        .value_kind:     hidden_global_offset_z
      - .offset:         112
        .size:           2
        .value_kind:     hidden_grid_dims
    .group_segment_fixed_size: 8224
    .kernarg_segment_align: 8
    .kernarg_segment_size: 304
    .language:       OpenCL C
    .language_version:
      - 2
      - 0
    .max_flat_workgroup_size: 256
    .name:           _ZN7rocprim17ROCPRIM_400000_NS6detail17trampoline_kernelINS0_13kernel_configILj256ELj4ELj4294967295EEENS1_37radix_sort_block_sort_config_selectorI6__halfNS0_10empty_typeEEEZNS1_21radix_sort_block_sortIS4_Lb1EPKS6_PS6_PS7_SD_NS0_19identity_decomposerEEE10hipError_tT1_T2_T3_T4_jRjT5_jjP12ihipStream_tbEUlT_E_NS1_11comp_targetILNS1_3genE0ELNS1_11target_archE4294967295ELNS1_3gpuE0ELNS1_3repE0EEENS1_44radix_sort_block_sort_config_static_selectorELNS0_4arch9wavefront6targetE0EEEvSG_
    .private_segment_fixed_size: 0
    .sgpr_count:     33
    .sgpr_spill_count: 0
    .symbol:         _ZN7rocprim17ROCPRIM_400000_NS6detail17trampoline_kernelINS0_13kernel_configILj256ELj4ELj4294967295EEENS1_37radix_sort_block_sort_config_selectorI6__halfNS0_10empty_typeEEEZNS1_21radix_sort_block_sortIS4_Lb1EPKS6_PS6_PS7_SD_NS0_19identity_decomposerEEE10hipError_tT1_T2_T3_T4_jRjT5_jjP12ihipStream_tbEUlT_E_NS1_11comp_targetILNS1_3genE0ELNS1_11target_archE4294967295ELNS1_3gpuE0ELNS1_3repE0EEENS1_44radix_sort_block_sort_config_static_selectorELNS0_4arch9wavefront6targetE0EEEvSG_.kd
    .uniform_work_group_size: 1
    .uses_dynamic_stack: false
    .vgpr_count:     38
    .vgpr_spill_count: 0
    .wavefront_size: 32
  - .args:
      - .offset:         0
        .size:           48
        .value_kind:     by_value
    .group_segment_fixed_size: 0
    .kernarg_segment_align: 8
    .kernarg_segment_size: 48
    .language:       OpenCL C
    .language_version:
      - 2
      - 0
    .max_flat_workgroup_size: 256
    .name:           _ZN7rocprim17ROCPRIM_400000_NS6detail17trampoline_kernelINS0_13kernel_configILj256ELj4ELj4294967295EEENS1_37radix_sort_block_sort_config_selectorI6__halfNS0_10empty_typeEEEZNS1_21radix_sort_block_sortIS4_Lb1EPKS6_PS6_PS7_SD_NS0_19identity_decomposerEEE10hipError_tT1_T2_T3_T4_jRjT5_jjP12ihipStream_tbEUlT_E_NS1_11comp_targetILNS1_3genE5ELNS1_11target_archE942ELNS1_3gpuE9ELNS1_3repE0EEENS1_44radix_sort_block_sort_config_static_selectorELNS0_4arch9wavefront6targetE0EEEvSG_
    .private_segment_fixed_size: 0
    .sgpr_count:     0
    .sgpr_spill_count: 0
    .symbol:         _ZN7rocprim17ROCPRIM_400000_NS6detail17trampoline_kernelINS0_13kernel_configILj256ELj4ELj4294967295EEENS1_37radix_sort_block_sort_config_selectorI6__halfNS0_10empty_typeEEEZNS1_21radix_sort_block_sortIS4_Lb1EPKS6_PS6_PS7_SD_NS0_19identity_decomposerEEE10hipError_tT1_T2_T3_T4_jRjT5_jjP12ihipStream_tbEUlT_E_NS1_11comp_targetILNS1_3genE5ELNS1_11target_archE942ELNS1_3gpuE9ELNS1_3repE0EEENS1_44radix_sort_block_sort_config_static_selectorELNS0_4arch9wavefront6targetE0EEEvSG_.kd
    .uniform_work_group_size: 1
    .uses_dynamic_stack: false
    .vgpr_count:     0
    .vgpr_spill_count: 0
    .wavefront_size: 32
  - .args:
      - .offset:         0
        .size:           48
        .value_kind:     by_value
    .group_segment_fixed_size: 0
    .kernarg_segment_align: 8
    .kernarg_segment_size: 48
    .language:       OpenCL C
    .language_version:
      - 2
      - 0
    .max_flat_workgroup_size: 256
    .name:           _ZN7rocprim17ROCPRIM_400000_NS6detail17trampoline_kernelINS0_13kernel_configILj256ELj4ELj4294967295EEENS1_37radix_sort_block_sort_config_selectorI6__halfNS0_10empty_typeEEEZNS1_21radix_sort_block_sortIS4_Lb1EPKS6_PS6_PS7_SD_NS0_19identity_decomposerEEE10hipError_tT1_T2_T3_T4_jRjT5_jjP12ihipStream_tbEUlT_E_NS1_11comp_targetILNS1_3genE4ELNS1_11target_archE910ELNS1_3gpuE8ELNS1_3repE0EEENS1_44radix_sort_block_sort_config_static_selectorELNS0_4arch9wavefront6targetE0EEEvSG_
    .private_segment_fixed_size: 0
    .sgpr_count:     0
    .sgpr_spill_count: 0
    .symbol:         _ZN7rocprim17ROCPRIM_400000_NS6detail17trampoline_kernelINS0_13kernel_configILj256ELj4ELj4294967295EEENS1_37radix_sort_block_sort_config_selectorI6__halfNS0_10empty_typeEEEZNS1_21radix_sort_block_sortIS4_Lb1EPKS6_PS6_PS7_SD_NS0_19identity_decomposerEEE10hipError_tT1_T2_T3_T4_jRjT5_jjP12ihipStream_tbEUlT_E_NS1_11comp_targetILNS1_3genE4ELNS1_11target_archE910ELNS1_3gpuE8ELNS1_3repE0EEENS1_44radix_sort_block_sort_config_static_selectorELNS0_4arch9wavefront6targetE0EEEvSG_.kd
    .uniform_work_group_size: 1
    .uses_dynamic_stack: false
    .vgpr_count:     0
    .vgpr_spill_count: 0
    .wavefront_size: 32
  - .args:
      - .offset:         0
        .size:           48
        .value_kind:     by_value
    .group_segment_fixed_size: 0
    .kernarg_segment_align: 8
    .kernarg_segment_size: 48
    .language:       OpenCL C
    .language_version:
      - 2
      - 0
    .max_flat_workgroup_size: 256
    .name:           _ZN7rocprim17ROCPRIM_400000_NS6detail17trampoline_kernelINS0_13kernel_configILj256ELj4ELj4294967295EEENS1_37radix_sort_block_sort_config_selectorI6__halfNS0_10empty_typeEEEZNS1_21radix_sort_block_sortIS4_Lb1EPKS6_PS6_PS7_SD_NS0_19identity_decomposerEEE10hipError_tT1_T2_T3_T4_jRjT5_jjP12ihipStream_tbEUlT_E_NS1_11comp_targetILNS1_3genE3ELNS1_11target_archE908ELNS1_3gpuE7ELNS1_3repE0EEENS1_44radix_sort_block_sort_config_static_selectorELNS0_4arch9wavefront6targetE0EEEvSG_
    .private_segment_fixed_size: 0
    .sgpr_count:     0
    .sgpr_spill_count: 0
    .symbol:         _ZN7rocprim17ROCPRIM_400000_NS6detail17trampoline_kernelINS0_13kernel_configILj256ELj4ELj4294967295EEENS1_37radix_sort_block_sort_config_selectorI6__halfNS0_10empty_typeEEEZNS1_21radix_sort_block_sortIS4_Lb1EPKS6_PS6_PS7_SD_NS0_19identity_decomposerEEE10hipError_tT1_T2_T3_T4_jRjT5_jjP12ihipStream_tbEUlT_E_NS1_11comp_targetILNS1_3genE3ELNS1_11target_archE908ELNS1_3gpuE7ELNS1_3repE0EEENS1_44radix_sort_block_sort_config_static_selectorELNS0_4arch9wavefront6targetE0EEEvSG_.kd
    .uniform_work_group_size: 1
    .uses_dynamic_stack: false
    .vgpr_count:     0
    .vgpr_spill_count: 0
    .wavefront_size: 32
  - .args:
      - .offset:         0
        .size:           48
        .value_kind:     by_value
    .group_segment_fixed_size: 0
    .kernarg_segment_align: 8
    .kernarg_segment_size: 48
    .language:       OpenCL C
    .language_version:
      - 2
      - 0
    .max_flat_workgroup_size: 256
    .name:           _ZN7rocprim17ROCPRIM_400000_NS6detail17trampoline_kernelINS0_13kernel_configILj256ELj4ELj4294967295EEENS1_37radix_sort_block_sort_config_selectorI6__halfNS0_10empty_typeEEEZNS1_21radix_sort_block_sortIS4_Lb1EPKS6_PS6_PS7_SD_NS0_19identity_decomposerEEE10hipError_tT1_T2_T3_T4_jRjT5_jjP12ihipStream_tbEUlT_E_NS1_11comp_targetILNS1_3genE2ELNS1_11target_archE906ELNS1_3gpuE6ELNS1_3repE0EEENS1_44radix_sort_block_sort_config_static_selectorELNS0_4arch9wavefront6targetE0EEEvSG_
    .private_segment_fixed_size: 0
    .sgpr_count:     0
    .sgpr_spill_count: 0
    .symbol:         _ZN7rocprim17ROCPRIM_400000_NS6detail17trampoline_kernelINS0_13kernel_configILj256ELj4ELj4294967295EEENS1_37radix_sort_block_sort_config_selectorI6__halfNS0_10empty_typeEEEZNS1_21radix_sort_block_sortIS4_Lb1EPKS6_PS6_PS7_SD_NS0_19identity_decomposerEEE10hipError_tT1_T2_T3_T4_jRjT5_jjP12ihipStream_tbEUlT_E_NS1_11comp_targetILNS1_3genE2ELNS1_11target_archE906ELNS1_3gpuE6ELNS1_3repE0EEENS1_44radix_sort_block_sort_config_static_selectorELNS0_4arch9wavefront6targetE0EEEvSG_.kd
    .uniform_work_group_size: 1
    .uses_dynamic_stack: false
    .vgpr_count:     0
    .vgpr_spill_count: 0
    .wavefront_size: 32
  - .args:
      - .offset:         0
        .size:           48
        .value_kind:     by_value
    .group_segment_fixed_size: 0
    .kernarg_segment_align: 8
    .kernarg_segment_size: 48
    .language:       OpenCL C
    .language_version:
      - 2
      - 0
    .max_flat_workgroup_size: 256
    .name:           _ZN7rocprim17ROCPRIM_400000_NS6detail17trampoline_kernelINS0_13kernel_configILj256ELj4ELj4294967295EEENS1_37radix_sort_block_sort_config_selectorI6__halfNS0_10empty_typeEEEZNS1_21radix_sort_block_sortIS4_Lb1EPKS6_PS6_PS7_SD_NS0_19identity_decomposerEEE10hipError_tT1_T2_T3_T4_jRjT5_jjP12ihipStream_tbEUlT_E_NS1_11comp_targetILNS1_3genE10ELNS1_11target_archE1201ELNS1_3gpuE5ELNS1_3repE0EEENS1_44radix_sort_block_sort_config_static_selectorELNS0_4arch9wavefront6targetE0EEEvSG_
    .private_segment_fixed_size: 0
    .sgpr_count:     0
    .sgpr_spill_count: 0
    .symbol:         _ZN7rocprim17ROCPRIM_400000_NS6detail17trampoline_kernelINS0_13kernel_configILj256ELj4ELj4294967295EEENS1_37radix_sort_block_sort_config_selectorI6__halfNS0_10empty_typeEEEZNS1_21radix_sort_block_sortIS4_Lb1EPKS6_PS6_PS7_SD_NS0_19identity_decomposerEEE10hipError_tT1_T2_T3_T4_jRjT5_jjP12ihipStream_tbEUlT_E_NS1_11comp_targetILNS1_3genE10ELNS1_11target_archE1201ELNS1_3gpuE5ELNS1_3repE0EEENS1_44radix_sort_block_sort_config_static_selectorELNS0_4arch9wavefront6targetE0EEEvSG_.kd
    .uniform_work_group_size: 1
    .uses_dynamic_stack: false
    .vgpr_count:     0
    .vgpr_spill_count: 0
    .wavefront_size: 32
  - .args:
      - .offset:         0
        .size:           48
        .value_kind:     by_value
    .group_segment_fixed_size: 0
    .kernarg_segment_align: 8
    .kernarg_segment_size: 48
    .language:       OpenCL C
    .language_version:
      - 2
      - 0
    .max_flat_workgroup_size: 256
    .name:           _ZN7rocprim17ROCPRIM_400000_NS6detail17trampoline_kernelINS0_13kernel_configILj256ELj4ELj4294967295EEENS1_37radix_sort_block_sort_config_selectorI6__halfNS0_10empty_typeEEEZNS1_21radix_sort_block_sortIS4_Lb1EPKS6_PS6_PS7_SD_NS0_19identity_decomposerEEE10hipError_tT1_T2_T3_T4_jRjT5_jjP12ihipStream_tbEUlT_E_NS1_11comp_targetILNS1_3genE10ELNS1_11target_archE1200ELNS1_3gpuE4ELNS1_3repE0EEENS1_44radix_sort_block_sort_config_static_selectorELNS0_4arch9wavefront6targetE0EEEvSG_
    .private_segment_fixed_size: 0
    .sgpr_count:     0
    .sgpr_spill_count: 0
    .symbol:         _ZN7rocprim17ROCPRIM_400000_NS6detail17trampoline_kernelINS0_13kernel_configILj256ELj4ELj4294967295EEENS1_37radix_sort_block_sort_config_selectorI6__halfNS0_10empty_typeEEEZNS1_21radix_sort_block_sortIS4_Lb1EPKS6_PS6_PS7_SD_NS0_19identity_decomposerEEE10hipError_tT1_T2_T3_T4_jRjT5_jjP12ihipStream_tbEUlT_E_NS1_11comp_targetILNS1_3genE10ELNS1_11target_archE1200ELNS1_3gpuE4ELNS1_3repE0EEENS1_44radix_sort_block_sort_config_static_selectorELNS0_4arch9wavefront6targetE0EEEvSG_.kd
    .uniform_work_group_size: 1
    .uses_dynamic_stack: false
    .vgpr_count:     0
    .vgpr_spill_count: 0
    .wavefront_size: 32
  - .args:
      - .offset:         0
        .size:           48
        .value_kind:     by_value
    .group_segment_fixed_size: 0
    .kernarg_segment_align: 8
    .kernarg_segment_size: 48
    .language:       OpenCL C
    .language_version:
      - 2
      - 0
    .max_flat_workgroup_size: 256
    .name:           _ZN7rocprim17ROCPRIM_400000_NS6detail17trampoline_kernelINS0_13kernel_configILj256ELj4ELj4294967295EEENS1_37radix_sort_block_sort_config_selectorI6__halfNS0_10empty_typeEEEZNS1_21radix_sort_block_sortIS4_Lb1EPKS6_PS6_PS7_SD_NS0_19identity_decomposerEEE10hipError_tT1_T2_T3_T4_jRjT5_jjP12ihipStream_tbEUlT_E_NS1_11comp_targetILNS1_3genE9ELNS1_11target_archE1100ELNS1_3gpuE3ELNS1_3repE0EEENS1_44radix_sort_block_sort_config_static_selectorELNS0_4arch9wavefront6targetE0EEEvSG_
    .private_segment_fixed_size: 0
    .sgpr_count:     0
    .sgpr_spill_count: 0
    .symbol:         _ZN7rocprim17ROCPRIM_400000_NS6detail17trampoline_kernelINS0_13kernel_configILj256ELj4ELj4294967295EEENS1_37radix_sort_block_sort_config_selectorI6__halfNS0_10empty_typeEEEZNS1_21radix_sort_block_sortIS4_Lb1EPKS6_PS6_PS7_SD_NS0_19identity_decomposerEEE10hipError_tT1_T2_T3_T4_jRjT5_jjP12ihipStream_tbEUlT_E_NS1_11comp_targetILNS1_3genE9ELNS1_11target_archE1100ELNS1_3gpuE3ELNS1_3repE0EEENS1_44radix_sort_block_sort_config_static_selectorELNS0_4arch9wavefront6targetE0EEEvSG_.kd
    .uniform_work_group_size: 1
    .uses_dynamic_stack: false
    .vgpr_count:     0
    .vgpr_spill_count: 0
    .wavefront_size: 32
  - .args:
      - .offset:         0
        .size:           48
        .value_kind:     by_value
    .group_segment_fixed_size: 0
    .kernarg_segment_align: 8
    .kernarg_segment_size: 48
    .language:       OpenCL C
    .language_version:
      - 2
      - 0
    .max_flat_workgroup_size: 256
    .name:           _ZN7rocprim17ROCPRIM_400000_NS6detail17trampoline_kernelINS0_13kernel_configILj256ELj4ELj4294967295EEENS1_37radix_sort_block_sort_config_selectorI6__halfNS0_10empty_typeEEEZNS1_21radix_sort_block_sortIS4_Lb1EPKS6_PS6_PS7_SD_NS0_19identity_decomposerEEE10hipError_tT1_T2_T3_T4_jRjT5_jjP12ihipStream_tbEUlT_E_NS1_11comp_targetILNS1_3genE8ELNS1_11target_archE1030ELNS1_3gpuE2ELNS1_3repE0EEENS1_44radix_sort_block_sort_config_static_selectorELNS0_4arch9wavefront6targetE0EEEvSG_
    .private_segment_fixed_size: 0
    .sgpr_count:     0
    .sgpr_spill_count: 0
    .symbol:         _ZN7rocprim17ROCPRIM_400000_NS6detail17trampoline_kernelINS0_13kernel_configILj256ELj4ELj4294967295EEENS1_37radix_sort_block_sort_config_selectorI6__halfNS0_10empty_typeEEEZNS1_21radix_sort_block_sortIS4_Lb1EPKS6_PS6_PS7_SD_NS0_19identity_decomposerEEE10hipError_tT1_T2_T3_T4_jRjT5_jjP12ihipStream_tbEUlT_E_NS1_11comp_targetILNS1_3genE8ELNS1_11target_archE1030ELNS1_3gpuE2ELNS1_3repE0EEENS1_44radix_sort_block_sort_config_static_selectorELNS0_4arch9wavefront6targetE0EEEvSG_.kd
    .uniform_work_group_size: 1
    .uses_dynamic_stack: false
    .vgpr_count:     0
    .vgpr_spill_count: 0
    .wavefront_size: 32
  - .args:           []
    .group_segment_fixed_size: 0
    .kernarg_segment_align: 4
    .kernarg_segment_size: 0
    .language:       OpenCL C
    .language_version:
      - 2
      - 0
    .max_flat_workgroup_size: 1024
    .name:           _ZN7rocprim17ROCPRIM_400000_NS6detail44device_merge_sort_compile_time_verifier_archINS1_11comp_targetILNS1_3genE0ELNS1_11target_archE4294967295ELNS1_3gpuE0ELNS1_3repE0EEES8_NS1_28merge_sort_block_sort_configILj256ELj4ELNS0_20block_sort_algorithmE0EEENS0_14default_configENS1_37merge_sort_block_sort_config_selectorI6__halfNS0_10empty_typeEEENS1_38merge_sort_block_merge_config_selectorISE_SF_EEEEvv
    .private_segment_fixed_size: 0
    .sgpr_count:     0
    .sgpr_spill_count: 0
    .symbol:         _ZN7rocprim17ROCPRIM_400000_NS6detail44device_merge_sort_compile_time_verifier_archINS1_11comp_targetILNS1_3genE0ELNS1_11target_archE4294967295ELNS1_3gpuE0ELNS1_3repE0EEES8_NS1_28merge_sort_block_sort_configILj256ELj4ELNS0_20block_sort_algorithmE0EEENS0_14default_configENS1_37merge_sort_block_sort_config_selectorI6__halfNS0_10empty_typeEEENS1_38merge_sort_block_merge_config_selectorISE_SF_EEEEvv.kd
    .uniform_work_group_size: 1
    .uses_dynamic_stack: false
    .vgpr_count:     0
    .vgpr_spill_count: 0
    .wavefront_size: 32
  - .args:           []
    .group_segment_fixed_size: 0
    .kernarg_segment_align: 4
    .kernarg_segment_size: 0
    .language:       OpenCL C
    .language_version:
      - 2
      - 0
    .max_flat_workgroup_size: 1024
    .name:           _ZN7rocprim17ROCPRIM_400000_NS6detail44device_merge_sort_compile_time_verifier_archINS1_11comp_targetILNS1_3genE5ELNS1_11target_archE942ELNS1_3gpuE9ELNS1_3repE0EEES8_NS1_28merge_sort_block_sort_configILj256ELj4ELNS0_20block_sort_algorithmE0EEENS0_14default_configENS1_37merge_sort_block_sort_config_selectorI6__halfNS0_10empty_typeEEENS1_38merge_sort_block_merge_config_selectorISE_SF_EEEEvv
    .private_segment_fixed_size: 0
    .sgpr_count:     0
    .sgpr_spill_count: 0
    .symbol:         _ZN7rocprim17ROCPRIM_400000_NS6detail44device_merge_sort_compile_time_verifier_archINS1_11comp_targetILNS1_3genE5ELNS1_11target_archE942ELNS1_3gpuE9ELNS1_3repE0EEES8_NS1_28merge_sort_block_sort_configILj256ELj4ELNS0_20block_sort_algorithmE0EEENS0_14default_configENS1_37merge_sort_block_sort_config_selectorI6__halfNS0_10empty_typeEEENS1_38merge_sort_block_merge_config_selectorISE_SF_EEEEvv.kd
    .uniform_work_group_size: 1
    .uses_dynamic_stack: false
    .vgpr_count:     0
    .vgpr_spill_count: 0
    .wavefront_size: 32
  - .args:           []
    .group_segment_fixed_size: 0
    .kernarg_segment_align: 4
    .kernarg_segment_size: 0
    .language:       OpenCL C
    .language_version:
      - 2
      - 0
    .max_flat_workgroup_size: 1024
    .name:           _ZN7rocprim17ROCPRIM_400000_NS6detail44device_merge_sort_compile_time_verifier_archINS1_11comp_targetILNS1_3genE4ELNS1_11target_archE910ELNS1_3gpuE8ELNS1_3repE0EEES8_NS1_28merge_sort_block_sort_configILj256ELj4ELNS0_20block_sort_algorithmE0EEENS0_14default_configENS1_37merge_sort_block_sort_config_selectorI6__halfNS0_10empty_typeEEENS1_38merge_sort_block_merge_config_selectorISE_SF_EEEEvv
    .private_segment_fixed_size: 0
    .sgpr_count:     0
    .sgpr_spill_count: 0
    .symbol:         _ZN7rocprim17ROCPRIM_400000_NS6detail44device_merge_sort_compile_time_verifier_archINS1_11comp_targetILNS1_3genE4ELNS1_11target_archE910ELNS1_3gpuE8ELNS1_3repE0EEES8_NS1_28merge_sort_block_sort_configILj256ELj4ELNS0_20block_sort_algorithmE0EEENS0_14default_configENS1_37merge_sort_block_sort_config_selectorI6__halfNS0_10empty_typeEEENS1_38merge_sort_block_merge_config_selectorISE_SF_EEEEvv.kd
    .uniform_work_group_size: 1
    .uses_dynamic_stack: false
    .vgpr_count:     0
    .vgpr_spill_count: 0
    .wavefront_size: 32
  - .args:           []
    .group_segment_fixed_size: 0
    .kernarg_segment_align: 4
    .kernarg_segment_size: 0
    .language:       OpenCL C
    .language_version:
      - 2
      - 0
    .max_flat_workgroup_size: 1024
    .name:           _ZN7rocprim17ROCPRIM_400000_NS6detail44device_merge_sort_compile_time_verifier_archINS1_11comp_targetILNS1_3genE3ELNS1_11target_archE908ELNS1_3gpuE7ELNS1_3repE0EEES8_NS1_28merge_sort_block_sort_configILj256ELj4ELNS0_20block_sort_algorithmE0EEENS0_14default_configENS1_37merge_sort_block_sort_config_selectorI6__halfNS0_10empty_typeEEENS1_38merge_sort_block_merge_config_selectorISE_SF_EEEEvv
    .private_segment_fixed_size: 0
    .sgpr_count:     0
    .sgpr_spill_count: 0
    .symbol:         _ZN7rocprim17ROCPRIM_400000_NS6detail44device_merge_sort_compile_time_verifier_archINS1_11comp_targetILNS1_3genE3ELNS1_11target_archE908ELNS1_3gpuE7ELNS1_3repE0EEES8_NS1_28merge_sort_block_sort_configILj256ELj4ELNS0_20block_sort_algorithmE0EEENS0_14default_configENS1_37merge_sort_block_sort_config_selectorI6__halfNS0_10empty_typeEEENS1_38merge_sort_block_merge_config_selectorISE_SF_EEEEvv.kd
    .uniform_work_group_size: 1
    .uses_dynamic_stack: false
    .vgpr_count:     0
    .vgpr_spill_count: 0
    .wavefront_size: 32
  - .args:           []
    .group_segment_fixed_size: 0
    .kernarg_segment_align: 4
    .kernarg_segment_size: 0
    .language:       OpenCL C
    .language_version:
      - 2
      - 0
    .max_flat_workgroup_size: 1024
    .name:           _ZN7rocprim17ROCPRIM_400000_NS6detail44device_merge_sort_compile_time_verifier_archINS1_11comp_targetILNS1_3genE2ELNS1_11target_archE906ELNS1_3gpuE6ELNS1_3repE0EEES8_NS1_28merge_sort_block_sort_configILj256ELj4ELNS0_20block_sort_algorithmE0EEENS0_14default_configENS1_37merge_sort_block_sort_config_selectorI6__halfNS0_10empty_typeEEENS1_38merge_sort_block_merge_config_selectorISE_SF_EEEEvv
    .private_segment_fixed_size: 0
    .sgpr_count:     0
    .sgpr_spill_count: 0
    .symbol:         _ZN7rocprim17ROCPRIM_400000_NS6detail44device_merge_sort_compile_time_verifier_archINS1_11comp_targetILNS1_3genE2ELNS1_11target_archE906ELNS1_3gpuE6ELNS1_3repE0EEES8_NS1_28merge_sort_block_sort_configILj256ELj4ELNS0_20block_sort_algorithmE0EEENS0_14default_configENS1_37merge_sort_block_sort_config_selectorI6__halfNS0_10empty_typeEEENS1_38merge_sort_block_merge_config_selectorISE_SF_EEEEvv.kd
    .uniform_work_group_size: 1
    .uses_dynamic_stack: false
    .vgpr_count:     0
    .vgpr_spill_count: 0
    .wavefront_size: 32
  - .args:           []
    .group_segment_fixed_size: 0
    .kernarg_segment_align: 4
    .kernarg_segment_size: 0
    .language:       OpenCL C
    .language_version:
      - 2
      - 0
    .max_flat_workgroup_size: 1024
    .name:           _ZN7rocprim17ROCPRIM_400000_NS6detail44device_merge_sort_compile_time_verifier_archINS1_11comp_targetILNS1_3genE10ELNS1_11target_archE1201ELNS1_3gpuE5ELNS1_3repE0EEES8_NS1_28merge_sort_block_sort_configILj256ELj4ELNS0_20block_sort_algorithmE0EEENS0_14default_configENS1_37merge_sort_block_sort_config_selectorI6__halfNS0_10empty_typeEEENS1_38merge_sort_block_merge_config_selectorISE_SF_EEEEvv
    .private_segment_fixed_size: 0
    .sgpr_count:     0
    .sgpr_spill_count: 0
    .symbol:         _ZN7rocprim17ROCPRIM_400000_NS6detail44device_merge_sort_compile_time_verifier_archINS1_11comp_targetILNS1_3genE10ELNS1_11target_archE1201ELNS1_3gpuE5ELNS1_3repE0EEES8_NS1_28merge_sort_block_sort_configILj256ELj4ELNS0_20block_sort_algorithmE0EEENS0_14default_configENS1_37merge_sort_block_sort_config_selectorI6__halfNS0_10empty_typeEEENS1_38merge_sort_block_merge_config_selectorISE_SF_EEEEvv.kd
    .uniform_work_group_size: 1
    .uses_dynamic_stack: false
    .vgpr_count:     0
    .vgpr_spill_count: 0
    .wavefront_size: 32
  - .args:           []
    .group_segment_fixed_size: 0
    .kernarg_segment_align: 4
    .kernarg_segment_size: 0
    .language:       OpenCL C
    .language_version:
      - 2
      - 0
    .max_flat_workgroup_size: 1024
    .name:           _ZN7rocprim17ROCPRIM_400000_NS6detail44device_merge_sort_compile_time_verifier_archINS1_11comp_targetILNS1_3genE10ELNS1_11target_archE1200ELNS1_3gpuE4ELNS1_3repE0EEENS3_ILS4_10ELS5_1201ELS6_5ELS7_0EEENS1_28merge_sort_block_sort_configILj256ELj4ELNS0_20block_sort_algorithmE0EEENS0_14default_configENS1_37merge_sort_block_sort_config_selectorI6__halfNS0_10empty_typeEEENS1_38merge_sort_block_merge_config_selectorISF_SG_EEEEvv
    .private_segment_fixed_size: 0
    .sgpr_count:     0
    .sgpr_spill_count: 0
    .symbol:         _ZN7rocprim17ROCPRIM_400000_NS6detail44device_merge_sort_compile_time_verifier_archINS1_11comp_targetILNS1_3genE10ELNS1_11target_archE1200ELNS1_3gpuE4ELNS1_3repE0EEENS3_ILS4_10ELS5_1201ELS6_5ELS7_0EEENS1_28merge_sort_block_sort_configILj256ELj4ELNS0_20block_sort_algorithmE0EEENS0_14default_configENS1_37merge_sort_block_sort_config_selectorI6__halfNS0_10empty_typeEEENS1_38merge_sort_block_merge_config_selectorISF_SG_EEEEvv.kd
    .uniform_work_group_size: 1
    .uses_dynamic_stack: false
    .vgpr_count:     0
    .vgpr_spill_count: 0
    .wavefront_size: 32
  - .args:           []
    .group_segment_fixed_size: 0
    .kernarg_segment_align: 4
    .kernarg_segment_size: 0
    .language:       OpenCL C
    .language_version:
      - 2
      - 0
    .max_flat_workgroup_size: 1024
    .name:           _ZN7rocprim17ROCPRIM_400000_NS6detail44device_merge_sort_compile_time_verifier_archINS1_11comp_targetILNS1_3genE9ELNS1_11target_archE1100ELNS1_3gpuE3ELNS1_3repE0EEES8_NS1_28merge_sort_block_sort_configILj256ELj4ELNS0_20block_sort_algorithmE0EEENS0_14default_configENS1_37merge_sort_block_sort_config_selectorI6__halfNS0_10empty_typeEEENS1_38merge_sort_block_merge_config_selectorISE_SF_EEEEvv
    .private_segment_fixed_size: 0
    .sgpr_count:     0
    .sgpr_spill_count: 0
    .symbol:         _ZN7rocprim17ROCPRIM_400000_NS6detail44device_merge_sort_compile_time_verifier_archINS1_11comp_targetILNS1_3genE9ELNS1_11target_archE1100ELNS1_3gpuE3ELNS1_3repE0EEES8_NS1_28merge_sort_block_sort_configILj256ELj4ELNS0_20block_sort_algorithmE0EEENS0_14default_configENS1_37merge_sort_block_sort_config_selectorI6__halfNS0_10empty_typeEEENS1_38merge_sort_block_merge_config_selectorISE_SF_EEEEvv.kd
    .uniform_work_group_size: 1
    .uses_dynamic_stack: false
    .vgpr_count:     0
    .vgpr_spill_count: 0
    .wavefront_size: 32
  - .args:           []
    .group_segment_fixed_size: 0
    .kernarg_segment_align: 4
    .kernarg_segment_size: 0
    .language:       OpenCL C
    .language_version:
      - 2
      - 0
    .max_flat_workgroup_size: 1024
    .name:           _ZN7rocprim17ROCPRIM_400000_NS6detail44device_merge_sort_compile_time_verifier_archINS1_11comp_targetILNS1_3genE8ELNS1_11target_archE1030ELNS1_3gpuE2ELNS1_3repE0EEES8_NS1_28merge_sort_block_sort_configILj256ELj4ELNS0_20block_sort_algorithmE0EEENS0_14default_configENS1_37merge_sort_block_sort_config_selectorI6__halfNS0_10empty_typeEEENS1_38merge_sort_block_merge_config_selectorISE_SF_EEEEvv
    .private_segment_fixed_size: 0
    .sgpr_count:     0
    .sgpr_spill_count: 0
    .symbol:         _ZN7rocprim17ROCPRIM_400000_NS6detail44device_merge_sort_compile_time_verifier_archINS1_11comp_targetILNS1_3genE8ELNS1_11target_archE1030ELNS1_3gpuE2ELNS1_3repE0EEES8_NS1_28merge_sort_block_sort_configILj256ELj4ELNS0_20block_sort_algorithmE0EEENS0_14default_configENS1_37merge_sort_block_sort_config_selectorI6__halfNS0_10empty_typeEEENS1_38merge_sort_block_merge_config_selectorISE_SF_EEEEvv.kd
    .uniform_work_group_size: 1
    .uses_dynamic_stack: false
    .vgpr_count:     0
    .vgpr_spill_count: 0
    .wavefront_size: 32
  - .args:
      - .offset:         0
        .size:           40
        .value_kind:     by_value
    .group_segment_fixed_size: 0
    .kernarg_segment_align: 8
    .kernarg_segment_size: 40
    .language:       OpenCL C
    .language_version:
      - 2
      - 0
    .max_flat_workgroup_size: 128
    .name:           _ZN7rocprim17ROCPRIM_400000_NS6detail17trampoline_kernelINS0_14default_configENS1_38merge_sort_block_merge_config_selectorI6__halfNS0_10empty_typeEEEZZNS1_27merge_sort_block_merge_implIS3_PS5_PS6_jNS1_19radix_merge_compareILb1ELb0ES5_NS0_19identity_decomposerEEEEE10hipError_tT0_T1_T2_jT3_P12ihipStream_tbPNSt15iterator_traitsISF_E10value_typeEPNSL_ISG_E10value_typeEPSH_NS1_7vsmem_tEENKUlT_SF_SG_SH_E_clIS9_S9_SA_SA_EESE_SU_SF_SG_SH_EUlSU_E_NS1_11comp_targetILNS1_3genE0ELNS1_11target_archE4294967295ELNS1_3gpuE0ELNS1_3repE0EEENS1_48merge_mergepath_partition_config_static_selectorELNS0_4arch9wavefront6targetE0EEEvSG_
    .private_segment_fixed_size: 0
    .sgpr_count:     8
    .sgpr_spill_count: 0
    .symbol:         _ZN7rocprim17ROCPRIM_400000_NS6detail17trampoline_kernelINS0_14default_configENS1_38merge_sort_block_merge_config_selectorI6__halfNS0_10empty_typeEEEZZNS1_27merge_sort_block_merge_implIS3_PS5_PS6_jNS1_19radix_merge_compareILb1ELb0ES5_NS0_19identity_decomposerEEEEE10hipError_tT0_T1_T2_jT3_P12ihipStream_tbPNSt15iterator_traitsISF_E10value_typeEPNSL_ISG_E10value_typeEPSH_NS1_7vsmem_tEENKUlT_SF_SG_SH_E_clIS9_S9_SA_SA_EESE_SU_SF_SG_SH_EUlSU_E_NS1_11comp_targetILNS1_3genE0ELNS1_11target_archE4294967295ELNS1_3gpuE0ELNS1_3repE0EEENS1_48merge_mergepath_partition_config_static_selectorELNS0_4arch9wavefront6targetE0EEEvSG_.kd
    .uniform_work_group_size: 1
    .uses_dynamic_stack: false
    .vgpr_count:     17
    .vgpr_spill_count: 0
    .wavefront_size: 32
  - .args:
      - .offset:         0
        .size:           40
        .value_kind:     by_value
    .group_segment_fixed_size: 0
    .kernarg_segment_align: 8
    .kernarg_segment_size: 40
    .language:       OpenCL C
    .language_version:
      - 2
      - 0
    .max_flat_workgroup_size: 128
    .name:           _ZN7rocprim17ROCPRIM_400000_NS6detail17trampoline_kernelINS0_14default_configENS1_38merge_sort_block_merge_config_selectorI6__halfNS0_10empty_typeEEEZZNS1_27merge_sort_block_merge_implIS3_PS5_PS6_jNS1_19radix_merge_compareILb1ELb0ES5_NS0_19identity_decomposerEEEEE10hipError_tT0_T1_T2_jT3_P12ihipStream_tbPNSt15iterator_traitsISF_E10value_typeEPNSL_ISG_E10value_typeEPSH_NS1_7vsmem_tEENKUlT_SF_SG_SH_E_clIS9_S9_SA_SA_EESE_SU_SF_SG_SH_EUlSU_E_NS1_11comp_targetILNS1_3genE10ELNS1_11target_archE1201ELNS1_3gpuE5ELNS1_3repE0EEENS1_48merge_mergepath_partition_config_static_selectorELNS0_4arch9wavefront6targetE0EEEvSG_
    .private_segment_fixed_size: 0
    .sgpr_count:     0
    .sgpr_spill_count: 0
    .symbol:         _ZN7rocprim17ROCPRIM_400000_NS6detail17trampoline_kernelINS0_14default_configENS1_38merge_sort_block_merge_config_selectorI6__halfNS0_10empty_typeEEEZZNS1_27merge_sort_block_merge_implIS3_PS5_PS6_jNS1_19radix_merge_compareILb1ELb0ES5_NS0_19identity_decomposerEEEEE10hipError_tT0_T1_T2_jT3_P12ihipStream_tbPNSt15iterator_traitsISF_E10value_typeEPNSL_ISG_E10value_typeEPSH_NS1_7vsmem_tEENKUlT_SF_SG_SH_E_clIS9_S9_SA_SA_EESE_SU_SF_SG_SH_EUlSU_E_NS1_11comp_targetILNS1_3genE10ELNS1_11target_archE1201ELNS1_3gpuE5ELNS1_3repE0EEENS1_48merge_mergepath_partition_config_static_selectorELNS0_4arch9wavefront6targetE0EEEvSG_.kd
    .uniform_work_group_size: 1
    .uses_dynamic_stack: false
    .vgpr_count:     0
    .vgpr_spill_count: 0
    .wavefront_size: 32
  - .args:
      - .offset:         0
        .size:           40
        .value_kind:     by_value
    .group_segment_fixed_size: 0
    .kernarg_segment_align: 8
    .kernarg_segment_size: 40
    .language:       OpenCL C
    .language_version:
      - 2
      - 0
    .max_flat_workgroup_size: 128
    .name:           _ZN7rocprim17ROCPRIM_400000_NS6detail17trampoline_kernelINS0_14default_configENS1_38merge_sort_block_merge_config_selectorI6__halfNS0_10empty_typeEEEZZNS1_27merge_sort_block_merge_implIS3_PS5_PS6_jNS1_19radix_merge_compareILb1ELb0ES5_NS0_19identity_decomposerEEEEE10hipError_tT0_T1_T2_jT3_P12ihipStream_tbPNSt15iterator_traitsISF_E10value_typeEPNSL_ISG_E10value_typeEPSH_NS1_7vsmem_tEENKUlT_SF_SG_SH_E_clIS9_S9_SA_SA_EESE_SU_SF_SG_SH_EUlSU_E_NS1_11comp_targetILNS1_3genE5ELNS1_11target_archE942ELNS1_3gpuE9ELNS1_3repE0EEENS1_48merge_mergepath_partition_config_static_selectorELNS0_4arch9wavefront6targetE0EEEvSG_
    .private_segment_fixed_size: 0
    .sgpr_count:     0
    .sgpr_spill_count: 0
    .symbol:         _ZN7rocprim17ROCPRIM_400000_NS6detail17trampoline_kernelINS0_14default_configENS1_38merge_sort_block_merge_config_selectorI6__halfNS0_10empty_typeEEEZZNS1_27merge_sort_block_merge_implIS3_PS5_PS6_jNS1_19radix_merge_compareILb1ELb0ES5_NS0_19identity_decomposerEEEEE10hipError_tT0_T1_T2_jT3_P12ihipStream_tbPNSt15iterator_traitsISF_E10value_typeEPNSL_ISG_E10value_typeEPSH_NS1_7vsmem_tEENKUlT_SF_SG_SH_E_clIS9_S9_SA_SA_EESE_SU_SF_SG_SH_EUlSU_E_NS1_11comp_targetILNS1_3genE5ELNS1_11target_archE942ELNS1_3gpuE9ELNS1_3repE0EEENS1_48merge_mergepath_partition_config_static_selectorELNS0_4arch9wavefront6targetE0EEEvSG_.kd
    .uniform_work_group_size: 1
    .uses_dynamic_stack: false
    .vgpr_count:     0
    .vgpr_spill_count: 0
    .wavefront_size: 32
  - .args:
      - .offset:         0
        .size:           40
        .value_kind:     by_value
    .group_segment_fixed_size: 0
    .kernarg_segment_align: 8
    .kernarg_segment_size: 40
    .language:       OpenCL C
    .language_version:
      - 2
      - 0
    .max_flat_workgroup_size: 128
    .name:           _ZN7rocprim17ROCPRIM_400000_NS6detail17trampoline_kernelINS0_14default_configENS1_38merge_sort_block_merge_config_selectorI6__halfNS0_10empty_typeEEEZZNS1_27merge_sort_block_merge_implIS3_PS5_PS6_jNS1_19radix_merge_compareILb1ELb0ES5_NS0_19identity_decomposerEEEEE10hipError_tT0_T1_T2_jT3_P12ihipStream_tbPNSt15iterator_traitsISF_E10value_typeEPNSL_ISG_E10value_typeEPSH_NS1_7vsmem_tEENKUlT_SF_SG_SH_E_clIS9_S9_SA_SA_EESE_SU_SF_SG_SH_EUlSU_E_NS1_11comp_targetILNS1_3genE4ELNS1_11target_archE910ELNS1_3gpuE8ELNS1_3repE0EEENS1_48merge_mergepath_partition_config_static_selectorELNS0_4arch9wavefront6targetE0EEEvSG_
    .private_segment_fixed_size: 0
    .sgpr_count:     0
    .sgpr_spill_count: 0
    .symbol:         _ZN7rocprim17ROCPRIM_400000_NS6detail17trampoline_kernelINS0_14default_configENS1_38merge_sort_block_merge_config_selectorI6__halfNS0_10empty_typeEEEZZNS1_27merge_sort_block_merge_implIS3_PS5_PS6_jNS1_19radix_merge_compareILb1ELb0ES5_NS0_19identity_decomposerEEEEE10hipError_tT0_T1_T2_jT3_P12ihipStream_tbPNSt15iterator_traitsISF_E10value_typeEPNSL_ISG_E10value_typeEPSH_NS1_7vsmem_tEENKUlT_SF_SG_SH_E_clIS9_S9_SA_SA_EESE_SU_SF_SG_SH_EUlSU_E_NS1_11comp_targetILNS1_3genE4ELNS1_11target_archE910ELNS1_3gpuE8ELNS1_3repE0EEENS1_48merge_mergepath_partition_config_static_selectorELNS0_4arch9wavefront6targetE0EEEvSG_.kd
    .uniform_work_group_size: 1
    .uses_dynamic_stack: false
    .vgpr_count:     0
    .vgpr_spill_count: 0
    .wavefront_size: 32
  - .args:
      - .offset:         0
        .size:           40
        .value_kind:     by_value
    .group_segment_fixed_size: 0
    .kernarg_segment_align: 8
    .kernarg_segment_size: 40
    .language:       OpenCL C
    .language_version:
      - 2
      - 0
    .max_flat_workgroup_size: 128
    .name:           _ZN7rocprim17ROCPRIM_400000_NS6detail17trampoline_kernelINS0_14default_configENS1_38merge_sort_block_merge_config_selectorI6__halfNS0_10empty_typeEEEZZNS1_27merge_sort_block_merge_implIS3_PS5_PS6_jNS1_19radix_merge_compareILb1ELb0ES5_NS0_19identity_decomposerEEEEE10hipError_tT0_T1_T2_jT3_P12ihipStream_tbPNSt15iterator_traitsISF_E10value_typeEPNSL_ISG_E10value_typeEPSH_NS1_7vsmem_tEENKUlT_SF_SG_SH_E_clIS9_S9_SA_SA_EESE_SU_SF_SG_SH_EUlSU_E_NS1_11comp_targetILNS1_3genE3ELNS1_11target_archE908ELNS1_3gpuE7ELNS1_3repE0EEENS1_48merge_mergepath_partition_config_static_selectorELNS0_4arch9wavefront6targetE0EEEvSG_
    .private_segment_fixed_size: 0
    .sgpr_count:     0
    .sgpr_spill_count: 0
    .symbol:         _ZN7rocprim17ROCPRIM_400000_NS6detail17trampoline_kernelINS0_14default_configENS1_38merge_sort_block_merge_config_selectorI6__halfNS0_10empty_typeEEEZZNS1_27merge_sort_block_merge_implIS3_PS5_PS6_jNS1_19radix_merge_compareILb1ELb0ES5_NS0_19identity_decomposerEEEEE10hipError_tT0_T1_T2_jT3_P12ihipStream_tbPNSt15iterator_traitsISF_E10value_typeEPNSL_ISG_E10value_typeEPSH_NS1_7vsmem_tEENKUlT_SF_SG_SH_E_clIS9_S9_SA_SA_EESE_SU_SF_SG_SH_EUlSU_E_NS1_11comp_targetILNS1_3genE3ELNS1_11target_archE908ELNS1_3gpuE7ELNS1_3repE0EEENS1_48merge_mergepath_partition_config_static_selectorELNS0_4arch9wavefront6targetE0EEEvSG_.kd
    .uniform_work_group_size: 1
    .uses_dynamic_stack: false
    .vgpr_count:     0
    .vgpr_spill_count: 0
    .wavefront_size: 32
  - .args:
      - .offset:         0
        .size:           40
        .value_kind:     by_value
    .group_segment_fixed_size: 0
    .kernarg_segment_align: 8
    .kernarg_segment_size: 40
    .language:       OpenCL C
    .language_version:
      - 2
      - 0
    .max_flat_workgroup_size: 128
    .name:           _ZN7rocprim17ROCPRIM_400000_NS6detail17trampoline_kernelINS0_14default_configENS1_38merge_sort_block_merge_config_selectorI6__halfNS0_10empty_typeEEEZZNS1_27merge_sort_block_merge_implIS3_PS5_PS6_jNS1_19radix_merge_compareILb1ELb0ES5_NS0_19identity_decomposerEEEEE10hipError_tT0_T1_T2_jT3_P12ihipStream_tbPNSt15iterator_traitsISF_E10value_typeEPNSL_ISG_E10value_typeEPSH_NS1_7vsmem_tEENKUlT_SF_SG_SH_E_clIS9_S9_SA_SA_EESE_SU_SF_SG_SH_EUlSU_E_NS1_11comp_targetILNS1_3genE2ELNS1_11target_archE906ELNS1_3gpuE6ELNS1_3repE0EEENS1_48merge_mergepath_partition_config_static_selectorELNS0_4arch9wavefront6targetE0EEEvSG_
    .private_segment_fixed_size: 0
    .sgpr_count:     0
    .sgpr_spill_count: 0
    .symbol:         _ZN7rocprim17ROCPRIM_400000_NS6detail17trampoline_kernelINS0_14default_configENS1_38merge_sort_block_merge_config_selectorI6__halfNS0_10empty_typeEEEZZNS1_27merge_sort_block_merge_implIS3_PS5_PS6_jNS1_19radix_merge_compareILb1ELb0ES5_NS0_19identity_decomposerEEEEE10hipError_tT0_T1_T2_jT3_P12ihipStream_tbPNSt15iterator_traitsISF_E10value_typeEPNSL_ISG_E10value_typeEPSH_NS1_7vsmem_tEENKUlT_SF_SG_SH_E_clIS9_S9_SA_SA_EESE_SU_SF_SG_SH_EUlSU_E_NS1_11comp_targetILNS1_3genE2ELNS1_11target_archE906ELNS1_3gpuE6ELNS1_3repE0EEENS1_48merge_mergepath_partition_config_static_selectorELNS0_4arch9wavefront6targetE0EEEvSG_.kd
    .uniform_work_group_size: 1
    .uses_dynamic_stack: false
    .vgpr_count:     0
    .vgpr_spill_count: 0
    .wavefront_size: 32
  - .args:
      - .offset:         0
        .size:           40
        .value_kind:     by_value
    .group_segment_fixed_size: 0
    .kernarg_segment_align: 8
    .kernarg_segment_size: 40
    .language:       OpenCL C
    .language_version:
      - 2
      - 0
    .max_flat_workgroup_size: 128
    .name:           _ZN7rocprim17ROCPRIM_400000_NS6detail17trampoline_kernelINS0_14default_configENS1_38merge_sort_block_merge_config_selectorI6__halfNS0_10empty_typeEEEZZNS1_27merge_sort_block_merge_implIS3_PS5_PS6_jNS1_19radix_merge_compareILb1ELb0ES5_NS0_19identity_decomposerEEEEE10hipError_tT0_T1_T2_jT3_P12ihipStream_tbPNSt15iterator_traitsISF_E10value_typeEPNSL_ISG_E10value_typeEPSH_NS1_7vsmem_tEENKUlT_SF_SG_SH_E_clIS9_S9_SA_SA_EESE_SU_SF_SG_SH_EUlSU_E_NS1_11comp_targetILNS1_3genE9ELNS1_11target_archE1100ELNS1_3gpuE3ELNS1_3repE0EEENS1_48merge_mergepath_partition_config_static_selectorELNS0_4arch9wavefront6targetE0EEEvSG_
    .private_segment_fixed_size: 0
    .sgpr_count:     0
    .sgpr_spill_count: 0
    .symbol:         _ZN7rocprim17ROCPRIM_400000_NS6detail17trampoline_kernelINS0_14default_configENS1_38merge_sort_block_merge_config_selectorI6__halfNS0_10empty_typeEEEZZNS1_27merge_sort_block_merge_implIS3_PS5_PS6_jNS1_19radix_merge_compareILb1ELb0ES5_NS0_19identity_decomposerEEEEE10hipError_tT0_T1_T2_jT3_P12ihipStream_tbPNSt15iterator_traitsISF_E10value_typeEPNSL_ISG_E10value_typeEPSH_NS1_7vsmem_tEENKUlT_SF_SG_SH_E_clIS9_S9_SA_SA_EESE_SU_SF_SG_SH_EUlSU_E_NS1_11comp_targetILNS1_3genE9ELNS1_11target_archE1100ELNS1_3gpuE3ELNS1_3repE0EEENS1_48merge_mergepath_partition_config_static_selectorELNS0_4arch9wavefront6targetE0EEEvSG_.kd
    .uniform_work_group_size: 1
    .uses_dynamic_stack: false
    .vgpr_count:     0
    .vgpr_spill_count: 0
    .wavefront_size: 32
  - .args:
      - .offset:         0
        .size:           40
        .value_kind:     by_value
    .group_segment_fixed_size: 0
    .kernarg_segment_align: 8
    .kernarg_segment_size: 40
    .language:       OpenCL C
    .language_version:
      - 2
      - 0
    .max_flat_workgroup_size: 128
    .name:           _ZN7rocprim17ROCPRIM_400000_NS6detail17trampoline_kernelINS0_14default_configENS1_38merge_sort_block_merge_config_selectorI6__halfNS0_10empty_typeEEEZZNS1_27merge_sort_block_merge_implIS3_PS5_PS6_jNS1_19radix_merge_compareILb1ELb0ES5_NS0_19identity_decomposerEEEEE10hipError_tT0_T1_T2_jT3_P12ihipStream_tbPNSt15iterator_traitsISF_E10value_typeEPNSL_ISG_E10value_typeEPSH_NS1_7vsmem_tEENKUlT_SF_SG_SH_E_clIS9_S9_SA_SA_EESE_SU_SF_SG_SH_EUlSU_E_NS1_11comp_targetILNS1_3genE8ELNS1_11target_archE1030ELNS1_3gpuE2ELNS1_3repE0EEENS1_48merge_mergepath_partition_config_static_selectorELNS0_4arch9wavefront6targetE0EEEvSG_
    .private_segment_fixed_size: 0
    .sgpr_count:     0
    .sgpr_spill_count: 0
    .symbol:         _ZN7rocprim17ROCPRIM_400000_NS6detail17trampoline_kernelINS0_14default_configENS1_38merge_sort_block_merge_config_selectorI6__halfNS0_10empty_typeEEEZZNS1_27merge_sort_block_merge_implIS3_PS5_PS6_jNS1_19radix_merge_compareILb1ELb0ES5_NS0_19identity_decomposerEEEEE10hipError_tT0_T1_T2_jT3_P12ihipStream_tbPNSt15iterator_traitsISF_E10value_typeEPNSL_ISG_E10value_typeEPSH_NS1_7vsmem_tEENKUlT_SF_SG_SH_E_clIS9_S9_SA_SA_EESE_SU_SF_SG_SH_EUlSU_E_NS1_11comp_targetILNS1_3genE8ELNS1_11target_archE1030ELNS1_3gpuE2ELNS1_3repE0EEENS1_48merge_mergepath_partition_config_static_selectorELNS0_4arch9wavefront6targetE0EEEvSG_.kd
    .uniform_work_group_size: 1
    .uses_dynamic_stack: false
    .vgpr_count:     0
    .vgpr_spill_count: 0
    .wavefront_size: 32
  - .args:
      - .offset:         0
        .size:           64
        .value_kind:     by_value
      - .offset:         64
        .size:           4
        .value_kind:     hidden_block_count_x
      - .offset:         68
        .size:           4
        .value_kind:     hidden_block_count_y
      - .offset:         72
        .size:           4
        .value_kind:     hidden_block_count_z
      - .offset:         76
        .size:           2
        .value_kind:     hidden_group_size_x
      - .offset:         78
        .size:           2
        .value_kind:     hidden_group_size_y
      - .offset:         80
        .size:           2
        .value_kind:     hidden_group_size_z
      - .offset:         82
        .size:           2
        .value_kind:     hidden_remainder_x
      - .offset:         84
        .size:           2
        .value_kind:     hidden_remainder_y
      - .offset:         86
        .size:           2
        .value_kind:     hidden_remainder_z
      - .offset:         104
        .size:           8
        .value_kind:     hidden_global_offset_x
      - .offset:         112
        .size:           8
        .value_kind:     hidden_global_offset_y
      - .offset:         120
        .size:           8
        .value_kind:     hidden_global_offset_z
      - .offset:         128
        .size:           2
        .value_kind:     hidden_grid_dims
    .group_segment_fixed_size: 2112
    .kernarg_segment_align: 8
    .kernarg_segment_size: 320
    .language:       OpenCL C
    .language_version:
      - 2
      - 0
    .max_flat_workgroup_size: 128
    .name:           _ZN7rocprim17ROCPRIM_400000_NS6detail17trampoline_kernelINS0_14default_configENS1_38merge_sort_block_merge_config_selectorI6__halfNS0_10empty_typeEEEZZNS1_27merge_sort_block_merge_implIS3_PS5_PS6_jNS1_19radix_merge_compareILb1ELb0ES5_NS0_19identity_decomposerEEEEE10hipError_tT0_T1_T2_jT3_P12ihipStream_tbPNSt15iterator_traitsISF_E10value_typeEPNSL_ISG_E10value_typeEPSH_NS1_7vsmem_tEENKUlT_SF_SG_SH_E_clIS9_S9_SA_SA_EESE_SU_SF_SG_SH_EUlSU_E0_NS1_11comp_targetILNS1_3genE0ELNS1_11target_archE4294967295ELNS1_3gpuE0ELNS1_3repE0EEENS1_38merge_mergepath_config_static_selectorELNS0_4arch9wavefront6targetE0EEEvSG_
    .private_segment_fixed_size: 0
    .sgpr_count:     24
    .sgpr_spill_count: 0
    .symbol:         _ZN7rocprim17ROCPRIM_400000_NS6detail17trampoline_kernelINS0_14default_configENS1_38merge_sort_block_merge_config_selectorI6__halfNS0_10empty_typeEEEZZNS1_27merge_sort_block_merge_implIS3_PS5_PS6_jNS1_19radix_merge_compareILb1ELb0ES5_NS0_19identity_decomposerEEEEE10hipError_tT0_T1_T2_jT3_P12ihipStream_tbPNSt15iterator_traitsISF_E10value_typeEPNSL_ISG_E10value_typeEPSH_NS1_7vsmem_tEENKUlT_SF_SG_SH_E_clIS9_S9_SA_SA_EESE_SU_SF_SG_SH_EUlSU_E0_NS1_11comp_targetILNS1_3genE0ELNS1_11target_archE4294967295ELNS1_3gpuE0ELNS1_3repE0EEENS1_38merge_mergepath_config_static_selectorELNS0_4arch9wavefront6targetE0EEEvSG_.kd
    .uniform_work_group_size: 1
    .uses_dynamic_stack: false
    .vgpr_count:     28
    .vgpr_spill_count: 0
    .wavefront_size: 32
  - .args:
      - .offset:         0
        .size:           64
        .value_kind:     by_value
    .group_segment_fixed_size: 0
    .kernarg_segment_align: 8
    .kernarg_segment_size: 64
    .language:       OpenCL C
    .language_version:
      - 2
      - 0
    .max_flat_workgroup_size: 128
    .name:           _ZN7rocprim17ROCPRIM_400000_NS6detail17trampoline_kernelINS0_14default_configENS1_38merge_sort_block_merge_config_selectorI6__halfNS0_10empty_typeEEEZZNS1_27merge_sort_block_merge_implIS3_PS5_PS6_jNS1_19radix_merge_compareILb1ELb0ES5_NS0_19identity_decomposerEEEEE10hipError_tT0_T1_T2_jT3_P12ihipStream_tbPNSt15iterator_traitsISF_E10value_typeEPNSL_ISG_E10value_typeEPSH_NS1_7vsmem_tEENKUlT_SF_SG_SH_E_clIS9_S9_SA_SA_EESE_SU_SF_SG_SH_EUlSU_E0_NS1_11comp_targetILNS1_3genE10ELNS1_11target_archE1201ELNS1_3gpuE5ELNS1_3repE0EEENS1_38merge_mergepath_config_static_selectorELNS0_4arch9wavefront6targetE0EEEvSG_
    .private_segment_fixed_size: 0
    .sgpr_count:     0
    .sgpr_spill_count: 0
    .symbol:         _ZN7rocprim17ROCPRIM_400000_NS6detail17trampoline_kernelINS0_14default_configENS1_38merge_sort_block_merge_config_selectorI6__halfNS0_10empty_typeEEEZZNS1_27merge_sort_block_merge_implIS3_PS5_PS6_jNS1_19radix_merge_compareILb1ELb0ES5_NS0_19identity_decomposerEEEEE10hipError_tT0_T1_T2_jT3_P12ihipStream_tbPNSt15iterator_traitsISF_E10value_typeEPNSL_ISG_E10value_typeEPSH_NS1_7vsmem_tEENKUlT_SF_SG_SH_E_clIS9_S9_SA_SA_EESE_SU_SF_SG_SH_EUlSU_E0_NS1_11comp_targetILNS1_3genE10ELNS1_11target_archE1201ELNS1_3gpuE5ELNS1_3repE0EEENS1_38merge_mergepath_config_static_selectorELNS0_4arch9wavefront6targetE0EEEvSG_.kd
    .uniform_work_group_size: 1
    .uses_dynamic_stack: false
    .vgpr_count:     0
    .vgpr_spill_count: 0
    .wavefront_size: 32
  - .args:
      - .offset:         0
        .size:           64
        .value_kind:     by_value
    .group_segment_fixed_size: 0
    .kernarg_segment_align: 8
    .kernarg_segment_size: 64
    .language:       OpenCL C
    .language_version:
      - 2
      - 0
    .max_flat_workgroup_size: 128
    .name:           _ZN7rocprim17ROCPRIM_400000_NS6detail17trampoline_kernelINS0_14default_configENS1_38merge_sort_block_merge_config_selectorI6__halfNS0_10empty_typeEEEZZNS1_27merge_sort_block_merge_implIS3_PS5_PS6_jNS1_19radix_merge_compareILb1ELb0ES5_NS0_19identity_decomposerEEEEE10hipError_tT0_T1_T2_jT3_P12ihipStream_tbPNSt15iterator_traitsISF_E10value_typeEPNSL_ISG_E10value_typeEPSH_NS1_7vsmem_tEENKUlT_SF_SG_SH_E_clIS9_S9_SA_SA_EESE_SU_SF_SG_SH_EUlSU_E0_NS1_11comp_targetILNS1_3genE5ELNS1_11target_archE942ELNS1_3gpuE9ELNS1_3repE0EEENS1_38merge_mergepath_config_static_selectorELNS0_4arch9wavefront6targetE0EEEvSG_
    .private_segment_fixed_size: 0
    .sgpr_count:     0
    .sgpr_spill_count: 0
    .symbol:         _ZN7rocprim17ROCPRIM_400000_NS6detail17trampoline_kernelINS0_14default_configENS1_38merge_sort_block_merge_config_selectorI6__halfNS0_10empty_typeEEEZZNS1_27merge_sort_block_merge_implIS3_PS5_PS6_jNS1_19radix_merge_compareILb1ELb0ES5_NS0_19identity_decomposerEEEEE10hipError_tT0_T1_T2_jT3_P12ihipStream_tbPNSt15iterator_traitsISF_E10value_typeEPNSL_ISG_E10value_typeEPSH_NS1_7vsmem_tEENKUlT_SF_SG_SH_E_clIS9_S9_SA_SA_EESE_SU_SF_SG_SH_EUlSU_E0_NS1_11comp_targetILNS1_3genE5ELNS1_11target_archE942ELNS1_3gpuE9ELNS1_3repE0EEENS1_38merge_mergepath_config_static_selectorELNS0_4arch9wavefront6targetE0EEEvSG_.kd
    .uniform_work_group_size: 1
    .uses_dynamic_stack: false
    .vgpr_count:     0
    .vgpr_spill_count: 0
    .wavefront_size: 32
  - .args:
      - .offset:         0
        .size:           64
        .value_kind:     by_value
    .group_segment_fixed_size: 0
    .kernarg_segment_align: 8
    .kernarg_segment_size: 64
    .language:       OpenCL C
    .language_version:
      - 2
      - 0
    .max_flat_workgroup_size: 128
    .name:           _ZN7rocprim17ROCPRIM_400000_NS6detail17trampoline_kernelINS0_14default_configENS1_38merge_sort_block_merge_config_selectorI6__halfNS0_10empty_typeEEEZZNS1_27merge_sort_block_merge_implIS3_PS5_PS6_jNS1_19radix_merge_compareILb1ELb0ES5_NS0_19identity_decomposerEEEEE10hipError_tT0_T1_T2_jT3_P12ihipStream_tbPNSt15iterator_traitsISF_E10value_typeEPNSL_ISG_E10value_typeEPSH_NS1_7vsmem_tEENKUlT_SF_SG_SH_E_clIS9_S9_SA_SA_EESE_SU_SF_SG_SH_EUlSU_E0_NS1_11comp_targetILNS1_3genE4ELNS1_11target_archE910ELNS1_3gpuE8ELNS1_3repE0EEENS1_38merge_mergepath_config_static_selectorELNS0_4arch9wavefront6targetE0EEEvSG_
    .private_segment_fixed_size: 0
    .sgpr_count:     0
    .sgpr_spill_count: 0
    .symbol:         _ZN7rocprim17ROCPRIM_400000_NS6detail17trampoline_kernelINS0_14default_configENS1_38merge_sort_block_merge_config_selectorI6__halfNS0_10empty_typeEEEZZNS1_27merge_sort_block_merge_implIS3_PS5_PS6_jNS1_19radix_merge_compareILb1ELb0ES5_NS0_19identity_decomposerEEEEE10hipError_tT0_T1_T2_jT3_P12ihipStream_tbPNSt15iterator_traitsISF_E10value_typeEPNSL_ISG_E10value_typeEPSH_NS1_7vsmem_tEENKUlT_SF_SG_SH_E_clIS9_S9_SA_SA_EESE_SU_SF_SG_SH_EUlSU_E0_NS1_11comp_targetILNS1_3genE4ELNS1_11target_archE910ELNS1_3gpuE8ELNS1_3repE0EEENS1_38merge_mergepath_config_static_selectorELNS0_4arch9wavefront6targetE0EEEvSG_.kd
    .uniform_work_group_size: 1
    .uses_dynamic_stack: false
    .vgpr_count:     0
    .vgpr_spill_count: 0
    .wavefront_size: 32
  - .args:
      - .offset:         0
        .size:           64
        .value_kind:     by_value
    .group_segment_fixed_size: 0
    .kernarg_segment_align: 8
    .kernarg_segment_size: 64
    .language:       OpenCL C
    .language_version:
      - 2
      - 0
    .max_flat_workgroup_size: 128
    .name:           _ZN7rocprim17ROCPRIM_400000_NS6detail17trampoline_kernelINS0_14default_configENS1_38merge_sort_block_merge_config_selectorI6__halfNS0_10empty_typeEEEZZNS1_27merge_sort_block_merge_implIS3_PS5_PS6_jNS1_19radix_merge_compareILb1ELb0ES5_NS0_19identity_decomposerEEEEE10hipError_tT0_T1_T2_jT3_P12ihipStream_tbPNSt15iterator_traitsISF_E10value_typeEPNSL_ISG_E10value_typeEPSH_NS1_7vsmem_tEENKUlT_SF_SG_SH_E_clIS9_S9_SA_SA_EESE_SU_SF_SG_SH_EUlSU_E0_NS1_11comp_targetILNS1_3genE3ELNS1_11target_archE908ELNS1_3gpuE7ELNS1_3repE0EEENS1_38merge_mergepath_config_static_selectorELNS0_4arch9wavefront6targetE0EEEvSG_
    .private_segment_fixed_size: 0
    .sgpr_count:     0
    .sgpr_spill_count: 0
    .symbol:         _ZN7rocprim17ROCPRIM_400000_NS6detail17trampoline_kernelINS0_14default_configENS1_38merge_sort_block_merge_config_selectorI6__halfNS0_10empty_typeEEEZZNS1_27merge_sort_block_merge_implIS3_PS5_PS6_jNS1_19radix_merge_compareILb1ELb0ES5_NS0_19identity_decomposerEEEEE10hipError_tT0_T1_T2_jT3_P12ihipStream_tbPNSt15iterator_traitsISF_E10value_typeEPNSL_ISG_E10value_typeEPSH_NS1_7vsmem_tEENKUlT_SF_SG_SH_E_clIS9_S9_SA_SA_EESE_SU_SF_SG_SH_EUlSU_E0_NS1_11comp_targetILNS1_3genE3ELNS1_11target_archE908ELNS1_3gpuE7ELNS1_3repE0EEENS1_38merge_mergepath_config_static_selectorELNS0_4arch9wavefront6targetE0EEEvSG_.kd
    .uniform_work_group_size: 1
    .uses_dynamic_stack: false
    .vgpr_count:     0
    .vgpr_spill_count: 0
    .wavefront_size: 32
  - .args:
      - .offset:         0
        .size:           64
        .value_kind:     by_value
    .group_segment_fixed_size: 0
    .kernarg_segment_align: 8
    .kernarg_segment_size: 64
    .language:       OpenCL C
    .language_version:
      - 2
      - 0
    .max_flat_workgroup_size: 128
    .name:           _ZN7rocprim17ROCPRIM_400000_NS6detail17trampoline_kernelINS0_14default_configENS1_38merge_sort_block_merge_config_selectorI6__halfNS0_10empty_typeEEEZZNS1_27merge_sort_block_merge_implIS3_PS5_PS6_jNS1_19radix_merge_compareILb1ELb0ES5_NS0_19identity_decomposerEEEEE10hipError_tT0_T1_T2_jT3_P12ihipStream_tbPNSt15iterator_traitsISF_E10value_typeEPNSL_ISG_E10value_typeEPSH_NS1_7vsmem_tEENKUlT_SF_SG_SH_E_clIS9_S9_SA_SA_EESE_SU_SF_SG_SH_EUlSU_E0_NS1_11comp_targetILNS1_3genE2ELNS1_11target_archE906ELNS1_3gpuE6ELNS1_3repE0EEENS1_38merge_mergepath_config_static_selectorELNS0_4arch9wavefront6targetE0EEEvSG_
    .private_segment_fixed_size: 0
    .sgpr_count:     0
    .sgpr_spill_count: 0
    .symbol:         _ZN7rocprim17ROCPRIM_400000_NS6detail17trampoline_kernelINS0_14default_configENS1_38merge_sort_block_merge_config_selectorI6__halfNS0_10empty_typeEEEZZNS1_27merge_sort_block_merge_implIS3_PS5_PS6_jNS1_19radix_merge_compareILb1ELb0ES5_NS0_19identity_decomposerEEEEE10hipError_tT0_T1_T2_jT3_P12ihipStream_tbPNSt15iterator_traitsISF_E10value_typeEPNSL_ISG_E10value_typeEPSH_NS1_7vsmem_tEENKUlT_SF_SG_SH_E_clIS9_S9_SA_SA_EESE_SU_SF_SG_SH_EUlSU_E0_NS1_11comp_targetILNS1_3genE2ELNS1_11target_archE906ELNS1_3gpuE6ELNS1_3repE0EEENS1_38merge_mergepath_config_static_selectorELNS0_4arch9wavefront6targetE0EEEvSG_.kd
    .uniform_work_group_size: 1
    .uses_dynamic_stack: false
    .vgpr_count:     0
    .vgpr_spill_count: 0
    .wavefront_size: 32
  - .args:
      - .offset:         0
        .size:           64
        .value_kind:     by_value
    .group_segment_fixed_size: 0
    .kernarg_segment_align: 8
    .kernarg_segment_size: 64
    .language:       OpenCL C
    .language_version:
      - 2
      - 0
    .max_flat_workgroup_size: 128
    .name:           _ZN7rocprim17ROCPRIM_400000_NS6detail17trampoline_kernelINS0_14default_configENS1_38merge_sort_block_merge_config_selectorI6__halfNS0_10empty_typeEEEZZNS1_27merge_sort_block_merge_implIS3_PS5_PS6_jNS1_19radix_merge_compareILb1ELb0ES5_NS0_19identity_decomposerEEEEE10hipError_tT0_T1_T2_jT3_P12ihipStream_tbPNSt15iterator_traitsISF_E10value_typeEPNSL_ISG_E10value_typeEPSH_NS1_7vsmem_tEENKUlT_SF_SG_SH_E_clIS9_S9_SA_SA_EESE_SU_SF_SG_SH_EUlSU_E0_NS1_11comp_targetILNS1_3genE9ELNS1_11target_archE1100ELNS1_3gpuE3ELNS1_3repE0EEENS1_38merge_mergepath_config_static_selectorELNS0_4arch9wavefront6targetE0EEEvSG_
    .private_segment_fixed_size: 0
    .sgpr_count:     0
    .sgpr_spill_count: 0
    .symbol:         _ZN7rocprim17ROCPRIM_400000_NS6detail17trampoline_kernelINS0_14default_configENS1_38merge_sort_block_merge_config_selectorI6__halfNS0_10empty_typeEEEZZNS1_27merge_sort_block_merge_implIS3_PS5_PS6_jNS1_19radix_merge_compareILb1ELb0ES5_NS0_19identity_decomposerEEEEE10hipError_tT0_T1_T2_jT3_P12ihipStream_tbPNSt15iterator_traitsISF_E10value_typeEPNSL_ISG_E10value_typeEPSH_NS1_7vsmem_tEENKUlT_SF_SG_SH_E_clIS9_S9_SA_SA_EESE_SU_SF_SG_SH_EUlSU_E0_NS1_11comp_targetILNS1_3genE9ELNS1_11target_archE1100ELNS1_3gpuE3ELNS1_3repE0EEENS1_38merge_mergepath_config_static_selectorELNS0_4arch9wavefront6targetE0EEEvSG_.kd
    .uniform_work_group_size: 1
    .uses_dynamic_stack: false
    .vgpr_count:     0
    .vgpr_spill_count: 0
    .wavefront_size: 32
  - .args:
      - .offset:         0
        .size:           64
        .value_kind:     by_value
    .group_segment_fixed_size: 0
    .kernarg_segment_align: 8
    .kernarg_segment_size: 64
    .language:       OpenCL C
    .language_version:
      - 2
      - 0
    .max_flat_workgroup_size: 128
    .name:           _ZN7rocprim17ROCPRIM_400000_NS6detail17trampoline_kernelINS0_14default_configENS1_38merge_sort_block_merge_config_selectorI6__halfNS0_10empty_typeEEEZZNS1_27merge_sort_block_merge_implIS3_PS5_PS6_jNS1_19radix_merge_compareILb1ELb0ES5_NS0_19identity_decomposerEEEEE10hipError_tT0_T1_T2_jT3_P12ihipStream_tbPNSt15iterator_traitsISF_E10value_typeEPNSL_ISG_E10value_typeEPSH_NS1_7vsmem_tEENKUlT_SF_SG_SH_E_clIS9_S9_SA_SA_EESE_SU_SF_SG_SH_EUlSU_E0_NS1_11comp_targetILNS1_3genE8ELNS1_11target_archE1030ELNS1_3gpuE2ELNS1_3repE0EEENS1_38merge_mergepath_config_static_selectorELNS0_4arch9wavefront6targetE0EEEvSG_
    .private_segment_fixed_size: 0
    .sgpr_count:     0
    .sgpr_spill_count: 0
    .symbol:         _ZN7rocprim17ROCPRIM_400000_NS6detail17trampoline_kernelINS0_14default_configENS1_38merge_sort_block_merge_config_selectorI6__halfNS0_10empty_typeEEEZZNS1_27merge_sort_block_merge_implIS3_PS5_PS6_jNS1_19radix_merge_compareILb1ELb0ES5_NS0_19identity_decomposerEEEEE10hipError_tT0_T1_T2_jT3_P12ihipStream_tbPNSt15iterator_traitsISF_E10value_typeEPNSL_ISG_E10value_typeEPSH_NS1_7vsmem_tEENKUlT_SF_SG_SH_E_clIS9_S9_SA_SA_EESE_SU_SF_SG_SH_EUlSU_E0_NS1_11comp_targetILNS1_3genE8ELNS1_11target_archE1030ELNS1_3gpuE2ELNS1_3repE0EEENS1_38merge_mergepath_config_static_selectorELNS0_4arch9wavefront6targetE0EEEvSG_.kd
    .uniform_work_group_size: 1
    .uses_dynamic_stack: false
    .vgpr_count:     0
    .vgpr_spill_count: 0
    .wavefront_size: 32
  - .args:
      - .offset:         0
        .size:           48
        .value_kind:     by_value
    .group_segment_fixed_size: 0
    .kernarg_segment_align: 8
    .kernarg_segment_size: 48
    .language:       OpenCL C
    .language_version:
      - 2
      - 0
    .max_flat_workgroup_size: 256
    .name:           _ZN7rocprim17ROCPRIM_400000_NS6detail17trampoline_kernelINS0_14default_configENS1_38merge_sort_block_merge_config_selectorI6__halfNS0_10empty_typeEEEZZNS1_27merge_sort_block_merge_implIS3_PS5_PS6_jNS1_19radix_merge_compareILb1ELb0ES5_NS0_19identity_decomposerEEEEE10hipError_tT0_T1_T2_jT3_P12ihipStream_tbPNSt15iterator_traitsISF_E10value_typeEPNSL_ISG_E10value_typeEPSH_NS1_7vsmem_tEENKUlT_SF_SG_SH_E_clIS9_S9_SA_SA_EESE_SU_SF_SG_SH_EUlSU_E1_NS1_11comp_targetILNS1_3genE0ELNS1_11target_archE4294967295ELNS1_3gpuE0ELNS1_3repE0EEENS1_36merge_oddeven_config_static_selectorELNS0_4arch9wavefront6targetE0EEEvSG_
    .private_segment_fixed_size: 0
    .sgpr_count:     18
    .sgpr_spill_count: 0
    .symbol:         _ZN7rocprim17ROCPRIM_400000_NS6detail17trampoline_kernelINS0_14default_configENS1_38merge_sort_block_merge_config_selectorI6__halfNS0_10empty_typeEEEZZNS1_27merge_sort_block_merge_implIS3_PS5_PS6_jNS1_19radix_merge_compareILb1ELb0ES5_NS0_19identity_decomposerEEEEE10hipError_tT0_T1_T2_jT3_P12ihipStream_tbPNSt15iterator_traitsISF_E10value_typeEPNSL_ISG_E10value_typeEPSH_NS1_7vsmem_tEENKUlT_SF_SG_SH_E_clIS9_S9_SA_SA_EESE_SU_SF_SG_SH_EUlSU_E1_NS1_11comp_targetILNS1_3genE0ELNS1_11target_archE4294967295ELNS1_3gpuE0ELNS1_3repE0EEENS1_36merge_oddeven_config_static_selectorELNS0_4arch9wavefront6targetE0EEEvSG_.kd
    .uniform_work_group_size: 1
    .uses_dynamic_stack: false
    .vgpr_count:     8
    .vgpr_spill_count: 0
    .wavefront_size: 32
  - .args:
      - .offset:         0
        .size:           48
        .value_kind:     by_value
    .group_segment_fixed_size: 0
    .kernarg_segment_align: 8
    .kernarg_segment_size: 48
    .language:       OpenCL C
    .language_version:
      - 2
      - 0
    .max_flat_workgroup_size: 256
    .name:           _ZN7rocprim17ROCPRIM_400000_NS6detail17trampoline_kernelINS0_14default_configENS1_38merge_sort_block_merge_config_selectorI6__halfNS0_10empty_typeEEEZZNS1_27merge_sort_block_merge_implIS3_PS5_PS6_jNS1_19radix_merge_compareILb1ELb0ES5_NS0_19identity_decomposerEEEEE10hipError_tT0_T1_T2_jT3_P12ihipStream_tbPNSt15iterator_traitsISF_E10value_typeEPNSL_ISG_E10value_typeEPSH_NS1_7vsmem_tEENKUlT_SF_SG_SH_E_clIS9_S9_SA_SA_EESE_SU_SF_SG_SH_EUlSU_E1_NS1_11comp_targetILNS1_3genE10ELNS1_11target_archE1201ELNS1_3gpuE5ELNS1_3repE0EEENS1_36merge_oddeven_config_static_selectorELNS0_4arch9wavefront6targetE0EEEvSG_
    .private_segment_fixed_size: 0
    .sgpr_count:     0
    .sgpr_spill_count: 0
    .symbol:         _ZN7rocprim17ROCPRIM_400000_NS6detail17trampoline_kernelINS0_14default_configENS1_38merge_sort_block_merge_config_selectorI6__halfNS0_10empty_typeEEEZZNS1_27merge_sort_block_merge_implIS3_PS5_PS6_jNS1_19radix_merge_compareILb1ELb0ES5_NS0_19identity_decomposerEEEEE10hipError_tT0_T1_T2_jT3_P12ihipStream_tbPNSt15iterator_traitsISF_E10value_typeEPNSL_ISG_E10value_typeEPSH_NS1_7vsmem_tEENKUlT_SF_SG_SH_E_clIS9_S9_SA_SA_EESE_SU_SF_SG_SH_EUlSU_E1_NS1_11comp_targetILNS1_3genE10ELNS1_11target_archE1201ELNS1_3gpuE5ELNS1_3repE0EEENS1_36merge_oddeven_config_static_selectorELNS0_4arch9wavefront6targetE0EEEvSG_.kd
    .uniform_work_group_size: 1
    .uses_dynamic_stack: false
    .vgpr_count:     0
    .vgpr_spill_count: 0
    .wavefront_size: 32
  - .args:
      - .offset:         0
        .size:           48
        .value_kind:     by_value
    .group_segment_fixed_size: 0
    .kernarg_segment_align: 8
    .kernarg_segment_size: 48
    .language:       OpenCL C
    .language_version:
      - 2
      - 0
    .max_flat_workgroup_size: 256
    .name:           _ZN7rocprim17ROCPRIM_400000_NS6detail17trampoline_kernelINS0_14default_configENS1_38merge_sort_block_merge_config_selectorI6__halfNS0_10empty_typeEEEZZNS1_27merge_sort_block_merge_implIS3_PS5_PS6_jNS1_19radix_merge_compareILb1ELb0ES5_NS0_19identity_decomposerEEEEE10hipError_tT0_T1_T2_jT3_P12ihipStream_tbPNSt15iterator_traitsISF_E10value_typeEPNSL_ISG_E10value_typeEPSH_NS1_7vsmem_tEENKUlT_SF_SG_SH_E_clIS9_S9_SA_SA_EESE_SU_SF_SG_SH_EUlSU_E1_NS1_11comp_targetILNS1_3genE5ELNS1_11target_archE942ELNS1_3gpuE9ELNS1_3repE0EEENS1_36merge_oddeven_config_static_selectorELNS0_4arch9wavefront6targetE0EEEvSG_
    .private_segment_fixed_size: 0
    .sgpr_count:     0
    .sgpr_spill_count: 0
    .symbol:         _ZN7rocprim17ROCPRIM_400000_NS6detail17trampoline_kernelINS0_14default_configENS1_38merge_sort_block_merge_config_selectorI6__halfNS0_10empty_typeEEEZZNS1_27merge_sort_block_merge_implIS3_PS5_PS6_jNS1_19radix_merge_compareILb1ELb0ES5_NS0_19identity_decomposerEEEEE10hipError_tT0_T1_T2_jT3_P12ihipStream_tbPNSt15iterator_traitsISF_E10value_typeEPNSL_ISG_E10value_typeEPSH_NS1_7vsmem_tEENKUlT_SF_SG_SH_E_clIS9_S9_SA_SA_EESE_SU_SF_SG_SH_EUlSU_E1_NS1_11comp_targetILNS1_3genE5ELNS1_11target_archE942ELNS1_3gpuE9ELNS1_3repE0EEENS1_36merge_oddeven_config_static_selectorELNS0_4arch9wavefront6targetE0EEEvSG_.kd
    .uniform_work_group_size: 1
    .uses_dynamic_stack: false
    .vgpr_count:     0
    .vgpr_spill_count: 0
    .wavefront_size: 32
  - .args:
      - .offset:         0
        .size:           48
        .value_kind:     by_value
    .group_segment_fixed_size: 0
    .kernarg_segment_align: 8
    .kernarg_segment_size: 48
    .language:       OpenCL C
    .language_version:
      - 2
      - 0
    .max_flat_workgroup_size: 256
    .name:           _ZN7rocprim17ROCPRIM_400000_NS6detail17trampoline_kernelINS0_14default_configENS1_38merge_sort_block_merge_config_selectorI6__halfNS0_10empty_typeEEEZZNS1_27merge_sort_block_merge_implIS3_PS5_PS6_jNS1_19radix_merge_compareILb1ELb0ES5_NS0_19identity_decomposerEEEEE10hipError_tT0_T1_T2_jT3_P12ihipStream_tbPNSt15iterator_traitsISF_E10value_typeEPNSL_ISG_E10value_typeEPSH_NS1_7vsmem_tEENKUlT_SF_SG_SH_E_clIS9_S9_SA_SA_EESE_SU_SF_SG_SH_EUlSU_E1_NS1_11comp_targetILNS1_3genE4ELNS1_11target_archE910ELNS1_3gpuE8ELNS1_3repE0EEENS1_36merge_oddeven_config_static_selectorELNS0_4arch9wavefront6targetE0EEEvSG_
    .private_segment_fixed_size: 0
    .sgpr_count:     0
    .sgpr_spill_count: 0
    .symbol:         _ZN7rocprim17ROCPRIM_400000_NS6detail17trampoline_kernelINS0_14default_configENS1_38merge_sort_block_merge_config_selectorI6__halfNS0_10empty_typeEEEZZNS1_27merge_sort_block_merge_implIS3_PS5_PS6_jNS1_19radix_merge_compareILb1ELb0ES5_NS0_19identity_decomposerEEEEE10hipError_tT0_T1_T2_jT3_P12ihipStream_tbPNSt15iterator_traitsISF_E10value_typeEPNSL_ISG_E10value_typeEPSH_NS1_7vsmem_tEENKUlT_SF_SG_SH_E_clIS9_S9_SA_SA_EESE_SU_SF_SG_SH_EUlSU_E1_NS1_11comp_targetILNS1_3genE4ELNS1_11target_archE910ELNS1_3gpuE8ELNS1_3repE0EEENS1_36merge_oddeven_config_static_selectorELNS0_4arch9wavefront6targetE0EEEvSG_.kd
    .uniform_work_group_size: 1
    .uses_dynamic_stack: false
    .vgpr_count:     0
    .vgpr_spill_count: 0
    .wavefront_size: 32
  - .args:
      - .offset:         0
        .size:           48
        .value_kind:     by_value
    .group_segment_fixed_size: 0
    .kernarg_segment_align: 8
    .kernarg_segment_size: 48
    .language:       OpenCL C
    .language_version:
      - 2
      - 0
    .max_flat_workgroup_size: 256
    .name:           _ZN7rocprim17ROCPRIM_400000_NS6detail17trampoline_kernelINS0_14default_configENS1_38merge_sort_block_merge_config_selectorI6__halfNS0_10empty_typeEEEZZNS1_27merge_sort_block_merge_implIS3_PS5_PS6_jNS1_19radix_merge_compareILb1ELb0ES5_NS0_19identity_decomposerEEEEE10hipError_tT0_T1_T2_jT3_P12ihipStream_tbPNSt15iterator_traitsISF_E10value_typeEPNSL_ISG_E10value_typeEPSH_NS1_7vsmem_tEENKUlT_SF_SG_SH_E_clIS9_S9_SA_SA_EESE_SU_SF_SG_SH_EUlSU_E1_NS1_11comp_targetILNS1_3genE3ELNS1_11target_archE908ELNS1_3gpuE7ELNS1_3repE0EEENS1_36merge_oddeven_config_static_selectorELNS0_4arch9wavefront6targetE0EEEvSG_
    .private_segment_fixed_size: 0
    .sgpr_count:     0
    .sgpr_spill_count: 0
    .symbol:         _ZN7rocprim17ROCPRIM_400000_NS6detail17trampoline_kernelINS0_14default_configENS1_38merge_sort_block_merge_config_selectorI6__halfNS0_10empty_typeEEEZZNS1_27merge_sort_block_merge_implIS3_PS5_PS6_jNS1_19radix_merge_compareILb1ELb0ES5_NS0_19identity_decomposerEEEEE10hipError_tT0_T1_T2_jT3_P12ihipStream_tbPNSt15iterator_traitsISF_E10value_typeEPNSL_ISG_E10value_typeEPSH_NS1_7vsmem_tEENKUlT_SF_SG_SH_E_clIS9_S9_SA_SA_EESE_SU_SF_SG_SH_EUlSU_E1_NS1_11comp_targetILNS1_3genE3ELNS1_11target_archE908ELNS1_3gpuE7ELNS1_3repE0EEENS1_36merge_oddeven_config_static_selectorELNS0_4arch9wavefront6targetE0EEEvSG_.kd
    .uniform_work_group_size: 1
    .uses_dynamic_stack: false
    .vgpr_count:     0
    .vgpr_spill_count: 0
    .wavefront_size: 32
  - .args:
      - .offset:         0
        .size:           48
        .value_kind:     by_value
    .group_segment_fixed_size: 0
    .kernarg_segment_align: 8
    .kernarg_segment_size: 48
    .language:       OpenCL C
    .language_version:
      - 2
      - 0
    .max_flat_workgroup_size: 256
    .name:           _ZN7rocprim17ROCPRIM_400000_NS6detail17trampoline_kernelINS0_14default_configENS1_38merge_sort_block_merge_config_selectorI6__halfNS0_10empty_typeEEEZZNS1_27merge_sort_block_merge_implIS3_PS5_PS6_jNS1_19radix_merge_compareILb1ELb0ES5_NS0_19identity_decomposerEEEEE10hipError_tT0_T1_T2_jT3_P12ihipStream_tbPNSt15iterator_traitsISF_E10value_typeEPNSL_ISG_E10value_typeEPSH_NS1_7vsmem_tEENKUlT_SF_SG_SH_E_clIS9_S9_SA_SA_EESE_SU_SF_SG_SH_EUlSU_E1_NS1_11comp_targetILNS1_3genE2ELNS1_11target_archE906ELNS1_3gpuE6ELNS1_3repE0EEENS1_36merge_oddeven_config_static_selectorELNS0_4arch9wavefront6targetE0EEEvSG_
    .private_segment_fixed_size: 0
    .sgpr_count:     0
    .sgpr_spill_count: 0
    .symbol:         _ZN7rocprim17ROCPRIM_400000_NS6detail17trampoline_kernelINS0_14default_configENS1_38merge_sort_block_merge_config_selectorI6__halfNS0_10empty_typeEEEZZNS1_27merge_sort_block_merge_implIS3_PS5_PS6_jNS1_19radix_merge_compareILb1ELb0ES5_NS0_19identity_decomposerEEEEE10hipError_tT0_T1_T2_jT3_P12ihipStream_tbPNSt15iterator_traitsISF_E10value_typeEPNSL_ISG_E10value_typeEPSH_NS1_7vsmem_tEENKUlT_SF_SG_SH_E_clIS9_S9_SA_SA_EESE_SU_SF_SG_SH_EUlSU_E1_NS1_11comp_targetILNS1_3genE2ELNS1_11target_archE906ELNS1_3gpuE6ELNS1_3repE0EEENS1_36merge_oddeven_config_static_selectorELNS0_4arch9wavefront6targetE0EEEvSG_.kd
    .uniform_work_group_size: 1
    .uses_dynamic_stack: false
    .vgpr_count:     0
    .vgpr_spill_count: 0
    .wavefront_size: 32
  - .args:
      - .offset:         0
        .size:           48
        .value_kind:     by_value
    .group_segment_fixed_size: 0
    .kernarg_segment_align: 8
    .kernarg_segment_size: 48
    .language:       OpenCL C
    .language_version:
      - 2
      - 0
    .max_flat_workgroup_size: 256
    .name:           _ZN7rocprim17ROCPRIM_400000_NS6detail17trampoline_kernelINS0_14default_configENS1_38merge_sort_block_merge_config_selectorI6__halfNS0_10empty_typeEEEZZNS1_27merge_sort_block_merge_implIS3_PS5_PS6_jNS1_19radix_merge_compareILb1ELb0ES5_NS0_19identity_decomposerEEEEE10hipError_tT0_T1_T2_jT3_P12ihipStream_tbPNSt15iterator_traitsISF_E10value_typeEPNSL_ISG_E10value_typeEPSH_NS1_7vsmem_tEENKUlT_SF_SG_SH_E_clIS9_S9_SA_SA_EESE_SU_SF_SG_SH_EUlSU_E1_NS1_11comp_targetILNS1_3genE9ELNS1_11target_archE1100ELNS1_3gpuE3ELNS1_3repE0EEENS1_36merge_oddeven_config_static_selectorELNS0_4arch9wavefront6targetE0EEEvSG_
    .private_segment_fixed_size: 0
    .sgpr_count:     0
    .sgpr_spill_count: 0
    .symbol:         _ZN7rocprim17ROCPRIM_400000_NS6detail17trampoline_kernelINS0_14default_configENS1_38merge_sort_block_merge_config_selectorI6__halfNS0_10empty_typeEEEZZNS1_27merge_sort_block_merge_implIS3_PS5_PS6_jNS1_19radix_merge_compareILb1ELb0ES5_NS0_19identity_decomposerEEEEE10hipError_tT0_T1_T2_jT3_P12ihipStream_tbPNSt15iterator_traitsISF_E10value_typeEPNSL_ISG_E10value_typeEPSH_NS1_7vsmem_tEENKUlT_SF_SG_SH_E_clIS9_S9_SA_SA_EESE_SU_SF_SG_SH_EUlSU_E1_NS1_11comp_targetILNS1_3genE9ELNS1_11target_archE1100ELNS1_3gpuE3ELNS1_3repE0EEENS1_36merge_oddeven_config_static_selectorELNS0_4arch9wavefront6targetE0EEEvSG_.kd
    .uniform_work_group_size: 1
    .uses_dynamic_stack: false
    .vgpr_count:     0
    .vgpr_spill_count: 0
    .wavefront_size: 32
  - .args:
      - .offset:         0
        .size:           48
        .value_kind:     by_value
    .group_segment_fixed_size: 0
    .kernarg_segment_align: 8
    .kernarg_segment_size: 48
    .language:       OpenCL C
    .language_version:
      - 2
      - 0
    .max_flat_workgroup_size: 256
    .name:           _ZN7rocprim17ROCPRIM_400000_NS6detail17trampoline_kernelINS0_14default_configENS1_38merge_sort_block_merge_config_selectorI6__halfNS0_10empty_typeEEEZZNS1_27merge_sort_block_merge_implIS3_PS5_PS6_jNS1_19radix_merge_compareILb1ELb0ES5_NS0_19identity_decomposerEEEEE10hipError_tT0_T1_T2_jT3_P12ihipStream_tbPNSt15iterator_traitsISF_E10value_typeEPNSL_ISG_E10value_typeEPSH_NS1_7vsmem_tEENKUlT_SF_SG_SH_E_clIS9_S9_SA_SA_EESE_SU_SF_SG_SH_EUlSU_E1_NS1_11comp_targetILNS1_3genE8ELNS1_11target_archE1030ELNS1_3gpuE2ELNS1_3repE0EEENS1_36merge_oddeven_config_static_selectorELNS0_4arch9wavefront6targetE0EEEvSG_
    .private_segment_fixed_size: 0
    .sgpr_count:     0
    .sgpr_spill_count: 0
    .symbol:         _ZN7rocprim17ROCPRIM_400000_NS6detail17trampoline_kernelINS0_14default_configENS1_38merge_sort_block_merge_config_selectorI6__halfNS0_10empty_typeEEEZZNS1_27merge_sort_block_merge_implIS3_PS5_PS6_jNS1_19radix_merge_compareILb1ELb0ES5_NS0_19identity_decomposerEEEEE10hipError_tT0_T1_T2_jT3_P12ihipStream_tbPNSt15iterator_traitsISF_E10value_typeEPNSL_ISG_E10value_typeEPSH_NS1_7vsmem_tEENKUlT_SF_SG_SH_E_clIS9_S9_SA_SA_EESE_SU_SF_SG_SH_EUlSU_E1_NS1_11comp_targetILNS1_3genE8ELNS1_11target_archE1030ELNS1_3gpuE2ELNS1_3repE0EEENS1_36merge_oddeven_config_static_selectorELNS0_4arch9wavefront6targetE0EEEvSG_.kd
    .uniform_work_group_size: 1
    .uses_dynamic_stack: false
    .vgpr_count:     0
    .vgpr_spill_count: 0
    .wavefront_size: 32
  - .args:
      - .offset:         0
        .size:           40
        .value_kind:     by_value
      - .offset:         40
        .size:           4
        .value_kind:     hidden_block_count_x
      - .offset:         44
        .size:           4
        .value_kind:     hidden_block_count_y
      - .offset:         48
        .size:           4
        .value_kind:     hidden_block_count_z
      - .offset:         52
        .size:           2
        .value_kind:     hidden_group_size_x
      - .offset:         54
        .size:           2
        .value_kind:     hidden_group_size_y
      - .offset:         56
        .size:           2
        .value_kind:     hidden_group_size_z
      - .offset:         58
        .size:           2
        .value_kind:     hidden_remainder_x
      - .offset:         60
        .size:           2
        .value_kind:     hidden_remainder_y
      - .offset:         62
        .size:           2
        .value_kind:     hidden_remainder_z
      - .offset:         80
        .size:           8
        .value_kind:     hidden_global_offset_x
      - .offset:         88
        .size:           8
        .value_kind:     hidden_global_offset_y
      - .offset:         96
        .size:           8
        .value_kind:     hidden_global_offset_z
      - .offset:         104
        .size:           2
        .value_kind:     hidden_grid_dims
    .group_segment_fixed_size: 0
    .kernarg_segment_align: 8
    .kernarg_segment_size: 296
    .language:       OpenCL C
    .language_version:
      - 2
      - 0
    .max_flat_workgroup_size: 128
    .name:           _ZN7rocprim17ROCPRIM_400000_NS6detail17trampoline_kernelINS0_14default_configENS1_25transform_config_selectorI6__halfLb1EEEZNS1_14transform_implILb1ES3_S6_PS5_S8_NS0_8identityIS5_EEEE10hipError_tT2_T3_mT4_P12ihipStream_tbEUlT_E_NS1_11comp_targetILNS1_3genE0ELNS1_11target_archE4294967295ELNS1_3gpuE0ELNS1_3repE0EEENS1_30default_config_static_selectorELNS0_4arch9wavefront6targetE0EEEvT1_
    .private_segment_fixed_size: 0
    .sgpr_count:     17
    .sgpr_spill_count: 0
    .symbol:         _ZN7rocprim17ROCPRIM_400000_NS6detail17trampoline_kernelINS0_14default_configENS1_25transform_config_selectorI6__halfLb1EEEZNS1_14transform_implILb1ES3_S6_PS5_S8_NS0_8identityIS5_EEEE10hipError_tT2_T3_mT4_P12ihipStream_tbEUlT_E_NS1_11comp_targetILNS1_3genE0ELNS1_11target_archE4294967295ELNS1_3gpuE0ELNS1_3repE0EEENS1_30default_config_static_selectorELNS0_4arch9wavefront6targetE0EEEvT1_.kd
    .uniform_work_group_size: 1
    .uses_dynamic_stack: false
    .vgpr_count:     6
    .vgpr_spill_count: 0
    .wavefront_size: 32
  - .args:
      - .offset:         0
        .size:           40
        .value_kind:     by_value
    .group_segment_fixed_size: 0
    .kernarg_segment_align: 8
    .kernarg_segment_size: 40
    .language:       OpenCL C
    .language_version:
      - 2
      - 0
    .max_flat_workgroup_size: 1024
    .name:           _ZN7rocprim17ROCPRIM_400000_NS6detail17trampoline_kernelINS0_14default_configENS1_25transform_config_selectorI6__halfLb1EEEZNS1_14transform_implILb1ES3_S6_PS5_S8_NS0_8identityIS5_EEEE10hipError_tT2_T3_mT4_P12ihipStream_tbEUlT_E_NS1_11comp_targetILNS1_3genE10ELNS1_11target_archE1201ELNS1_3gpuE5ELNS1_3repE0EEENS1_30default_config_static_selectorELNS0_4arch9wavefront6targetE0EEEvT1_
    .private_segment_fixed_size: 0
    .sgpr_count:     0
    .sgpr_spill_count: 0
    .symbol:         _ZN7rocprim17ROCPRIM_400000_NS6detail17trampoline_kernelINS0_14default_configENS1_25transform_config_selectorI6__halfLb1EEEZNS1_14transform_implILb1ES3_S6_PS5_S8_NS0_8identityIS5_EEEE10hipError_tT2_T3_mT4_P12ihipStream_tbEUlT_E_NS1_11comp_targetILNS1_3genE10ELNS1_11target_archE1201ELNS1_3gpuE5ELNS1_3repE0EEENS1_30default_config_static_selectorELNS0_4arch9wavefront6targetE0EEEvT1_.kd
    .uniform_work_group_size: 1
    .uses_dynamic_stack: false
    .vgpr_count:     0
    .vgpr_spill_count: 0
    .wavefront_size: 32
  - .args:
      - .offset:         0
        .size:           40
        .value_kind:     by_value
    .group_segment_fixed_size: 0
    .kernarg_segment_align: 8
    .kernarg_segment_size: 40
    .language:       OpenCL C
    .language_version:
      - 2
      - 0
    .max_flat_workgroup_size: 256
    .name:           _ZN7rocprim17ROCPRIM_400000_NS6detail17trampoline_kernelINS0_14default_configENS1_25transform_config_selectorI6__halfLb1EEEZNS1_14transform_implILb1ES3_S6_PS5_S8_NS0_8identityIS5_EEEE10hipError_tT2_T3_mT4_P12ihipStream_tbEUlT_E_NS1_11comp_targetILNS1_3genE5ELNS1_11target_archE942ELNS1_3gpuE9ELNS1_3repE0EEENS1_30default_config_static_selectorELNS0_4arch9wavefront6targetE0EEEvT1_
    .private_segment_fixed_size: 0
    .sgpr_count:     0
    .sgpr_spill_count: 0
    .symbol:         _ZN7rocprim17ROCPRIM_400000_NS6detail17trampoline_kernelINS0_14default_configENS1_25transform_config_selectorI6__halfLb1EEEZNS1_14transform_implILb1ES3_S6_PS5_S8_NS0_8identityIS5_EEEE10hipError_tT2_T3_mT4_P12ihipStream_tbEUlT_E_NS1_11comp_targetILNS1_3genE5ELNS1_11target_archE942ELNS1_3gpuE9ELNS1_3repE0EEENS1_30default_config_static_selectorELNS0_4arch9wavefront6targetE0EEEvT1_.kd
    .uniform_work_group_size: 1
    .uses_dynamic_stack: false
    .vgpr_count:     0
    .vgpr_spill_count: 0
    .wavefront_size: 32
  - .args:
      - .offset:         0
        .size:           40
        .value_kind:     by_value
    .group_segment_fixed_size: 0
    .kernarg_segment_align: 8
    .kernarg_segment_size: 40
    .language:       OpenCL C
    .language_version:
      - 2
      - 0
    .max_flat_workgroup_size: 1024
    .name:           _ZN7rocprim17ROCPRIM_400000_NS6detail17trampoline_kernelINS0_14default_configENS1_25transform_config_selectorI6__halfLb1EEEZNS1_14transform_implILb1ES3_S6_PS5_S8_NS0_8identityIS5_EEEE10hipError_tT2_T3_mT4_P12ihipStream_tbEUlT_E_NS1_11comp_targetILNS1_3genE4ELNS1_11target_archE910ELNS1_3gpuE8ELNS1_3repE0EEENS1_30default_config_static_selectorELNS0_4arch9wavefront6targetE0EEEvT1_
    .private_segment_fixed_size: 0
    .sgpr_count:     0
    .sgpr_spill_count: 0
    .symbol:         _ZN7rocprim17ROCPRIM_400000_NS6detail17trampoline_kernelINS0_14default_configENS1_25transform_config_selectorI6__halfLb1EEEZNS1_14transform_implILb1ES3_S6_PS5_S8_NS0_8identityIS5_EEEE10hipError_tT2_T3_mT4_P12ihipStream_tbEUlT_E_NS1_11comp_targetILNS1_3genE4ELNS1_11target_archE910ELNS1_3gpuE8ELNS1_3repE0EEENS1_30default_config_static_selectorELNS0_4arch9wavefront6targetE0EEEvT1_.kd
    .uniform_work_group_size: 1
    .uses_dynamic_stack: false
    .vgpr_count:     0
    .vgpr_spill_count: 0
    .wavefront_size: 32
  - .args:
      - .offset:         0
        .size:           40
        .value_kind:     by_value
    .group_segment_fixed_size: 0
    .kernarg_segment_align: 8
    .kernarg_segment_size: 40
    .language:       OpenCL C
    .language_version:
      - 2
      - 0
    .max_flat_workgroup_size: 128
    .name:           _ZN7rocprim17ROCPRIM_400000_NS6detail17trampoline_kernelINS0_14default_configENS1_25transform_config_selectorI6__halfLb1EEEZNS1_14transform_implILb1ES3_S6_PS5_S8_NS0_8identityIS5_EEEE10hipError_tT2_T3_mT4_P12ihipStream_tbEUlT_E_NS1_11comp_targetILNS1_3genE3ELNS1_11target_archE908ELNS1_3gpuE7ELNS1_3repE0EEENS1_30default_config_static_selectorELNS0_4arch9wavefront6targetE0EEEvT1_
    .private_segment_fixed_size: 0
    .sgpr_count:     0
    .sgpr_spill_count: 0
    .symbol:         _ZN7rocprim17ROCPRIM_400000_NS6detail17trampoline_kernelINS0_14default_configENS1_25transform_config_selectorI6__halfLb1EEEZNS1_14transform_implILb1ES3_S6_PS5_S8_NS0_8identityIS5_EEEE10hipError_tT2_T3_mT4_P12ihipStream_tbEUlT_E_NS1_11comp_targetILNS1_3genE3ELNS1_11target_archE908ELNS1_3gpuE7ELNS1_3repE0EEENS1_30default_config_static_selectorELNS0_4arch9wavefront6targetE0EEEvT1_.kd
    .uniform_work_group_size: 1
    .uses_dynamic_stack: false
    .vgpr_count:     0
    .vgpr_spill_count: 0
    .wavefront_size: 32
  - .args:
      - .offset:         0
        .size:           40
        .value_kind:     by_value
    .group_segment_fixed_size: 0
    .kernarg_segment_align: 8
    .kernarg_segment_size: 40
    .language:       OpenCL C
    .language_version:
      - 2
      - 0
    .max_flat_workgroup_size: 512
    .name:           _ZN7rocprim17ROCPRIM_400000_NS6detail17trampoline_kernelINS0_14default_configENS1_25transform_config_selectorI6__halfLb1EEEZNS1_14transform_implILb1ES3_S6_PS5_S8_NS0_8identityIS5_EEEE10hipError_tT2_T3_mT4_P12ihipStream_tbEUlT_E_NS1_11comp_targetILNS1_3genE2ELNS1_11target_archE906ELNS1_3gpuE6ELNS1_3repE0EEENS1_30default_config_static_selectorELNS0_4arch9wavefront6targetE0EEEvT1_
    .private_segment_fixed_size: 0
    .sgpr_count:     0
    .sgpr_spill_count: 0
    .symbol:         _ZN7rocprim17ROCPRIM_400000_NS6detail17trampoline_kernelINS0_14default_configENS1_25transform_config_selectorI6__halfLb1EEEZNS1_14transform_implILb1ES3_S6_PS5_S8_NS0_8identityIS5_EEEE10hipError_tT2_T3_mT4_P12ihipStream_tbEUlT_E_NS1_11comp_targetILNS1_3genE2ELNS1_11target_archE906ELNS1_3gpuE6ELNS1_3repE0EEENS1_30default_config_static_selectorELNS0_4arch9wavefront6targetE0EEEvT1_.kd
    .uniform_work_group_size: 1
    .uses_dynamic_stack: false
    .vgpr_count:     0
    .vgpr_spill_count: 0
    .wavefront_size: 32
  - .args:
      - .offset:         0
        .size:           40
        .value_kind:     by_value
    .group_segment_fixed_size: 0
    .kernarg_segment_align: 8
    .kernarg_segment_size: 40
    .language:       OpenCL C
    .language_version:
      - 2
      - 0
    .max_flat_workgroup_size: 1024
    .name:           _ZN7rocprim17ROCPRIM_400000_NS6detail17trampoline_kernelINS0_14default_configENS1_25transform_config_selectorI6__halfLb1EEEZNS1_14transform_implILb1ES3_S6_PS5_S8_NS0_8identityIS5_EEEE10hipError_tT2_T3_mT4_P12ihipStream_tbEUlT_E_NS1_11comp_targetILNS1_3genE9ELNS1_11target_archE1100ELNS1_3gpuE3ELNS1_3repE0EEENS1_30default_config_static_selectorELNS0_4arch9wavefront6targetE0EEEvT1_
    .private_segment_fixed_size: 0
    .sgpr_count:     0
    .sgpr_spill_count: 0
    .symbol:         _ZN7rocprim17ROCPRIM_400000_NS6detail17trampoline_kernelINS0_14default_configENS1_25transform_config_selectorI6__halfLb1EEEZNS1_14transform_implILb1ES3_S6_PS5_S8_NS0_8identityIS5_EEEE10hipError_tT2_T3_mT4_P12ihipStream_tbEUlT_E_NS1_11comp_targetILNS1_3genE9ELNS1_11target_archE1100ELNS1_3gpuE3ELNS1_3repE0EEENS1_30default_config_static_selectorELNS0_4arch9wavefront6targetE0EEEvT1_.kd
    .uniform_work_group_size: 1
    .uses_dynamic_stack: false
    .vgpr_count:     0
    .vgpr_spill_count: 0
    .wavefront_size: 32
  - .args:
      - .offset:         0
        .size:           40
        .value_kind:     by_value
    .group_segment_fixed_size: 0
    .kernarg_segment_align: 8
    .kernarg_segment_size: 40
    .language:       OpenCL C
    .language_version:
      - 2
      - 0
    .max_flat_workgroup_size: 1024
    .name:           _ZN7rocprim17ROCPRIM_400000_NS6detail17trampoline_kernelINS0_14default_configENS1_25transform_config_selectorI6__halfLb1EEEZNS1_14transform_implILb1ES3_S6_PS5_S8_NS0_8identityIS5_EEEE10hipError_tT2_T3_mT4_P12ihipStream_tbEUlT_E_NS1_11comp_targetILNS1_3genE8ELNS1_11target_archE1030ELNS1_3gpuE2ELNS1_3repE0EEENS1_30default_config_static_selectorELNS0_4arch9wavefront6targetE0EEEvT1_
    .private_segment_fixed_size: 0
    .sgpr_count:     0
    .sgpr_spill_count: 0
    .symbol:         _ZN7rocprim17ROCPRIM_400000_NS6detail17trampoline_kernelINS0_14default_configENS1_25transform_config_selectorI6__halfLb1EEEZNS1_14transform_implILb1ES3_S6_PS5_S8_NS0_8identityIS5_EEEE10hipError_tT2_T3_mT4_P12ihipStream_tbEUlT_E_NS1_11comp_targetILNS1_3genE8ELNS1_11target_archE1030ELNS1_3gpuE2ELNS1_3repE0EEENS1_30default_config_static_selectorELNS0_4arch9wavefront6targetE0EEEvT1_.kd
    .uniform_work_group_size: 1
    .uses_dynamic_stack: false
    .vgpr_count:     0
    .vgpr_spill_count: 0
    .wavefront_size: 32
  - .args:
      - .offset:         0
        .size:           48
        .value_kind:     by_value
    .group_segment_fixed_size: 8192
    .kernarg_segment_align: 8
    .kernarg_segment_size: 48
    .language:       OpenCL C
    .language_version:
      - 2
      - 0
    .max_flat_workgroup_size: 512
    .name:           _ZN7rocprim17ROCPRIM_400000_NS6detail17trampoline_kernelINS0_14default_configENS1_35radix_sort_onesweep_config_selectorI6__halfNS0_10empty_typeEEEZNS1_34radix_sort_onesweep_global_offsetsIS3_Lb1EPKS5_PS6_mNS0_19identity_decomposerEEE10hipError_tT1_T2_PT3_SG_jT4_jjP12ihipStream_tbEUlT_E_NS1_11comp_targetILNS1_3genE0ELNS1_11target_archE4294967295ELNS1_3gpuE0ELNS1_3repE0EEENS1_52radix_sort_onesweep_histogram_config_static_selectorELNS0_4arch9wavefront6targetE0EEEvSE_
    .private_segment_fixed_size: 0
    .sgpr_count:     15
    .sgpr_spill_count: 0
    .symbol:         _ZN7rocprim17ROCPRIM_400000_NS6detail17trampoline_kernelINS0_14default_configENS1_35radix_sort_onesweep_config_selectorI6__halfNS0_10empty_typeEEEZNS1_34radix_sort_onesweep_global_offsetsIS3_Lb1EPKS5_PS6_mNS0_19identity_decomposerEEE10hipError_tT1_T2_PT3_SG_jT4_jjP12ihipStream_tbEUlT_E_NS1_11comp_targetILNS1_3genE0ELNS1_11target_archE4294967295ELNS1_3gpuE0ELNS1_3repE0EEENS1_52radix_sort_onesweep_histogram_config_static_selectorELNS0_4arch9wavefront6targetE0EEEvSE_.kd
    .uniform_work_group_size: 1
    .uses_dynamic_stack: false
    .vgpr_count:     28
    .vgpr_spill_count: 0
    .wavefront_size: 32
  - .args:
      - .offset:         0
        .size:           48
        .value_kind:     by_value
    .group_segment_fixed_size: 0
    .kernarg_segment_align: 8
    .kernarg_segment_size: 48
    .language:       OpenCL C
    .language_version:
      - 2
      - 0
    .max_flat_workgroup_size: 1024
    .name:           _ZN7rocprim17ROCPRIM_400000_NS6detail17trampoline_kernelINS0_14default_configENS1_35radix_sort_onesweep_config_selectorI6__halfNS0_10empty_typeEEEZNS1_34radix_sort_onesweep_global_offsetsIS3_Lb1EPKS5_PS6_mNS0_19identity_decomposerEEE10hipError_tT1_T2_PT3_SG_jT4_jjP12ihipStream_tbEUlT_E_NS1_11comp_targetILNS1_3genE6ELNS1_11target_archE950ELNS1_3gpuE13ELNS1_3repE0EEENS1_52radix_sort_onesweep_histogram_config_static_selectorELNS0_4arch9wavefront6targetE0EEEvSE_
    .private_segment_fixed_size: 0
    .sgpr_count:     0
    .sgpr_spill_count: 0
    .symbol:         _ZN7rocprim17ROCPRIM_400000_NS6detail17trampoline_kernelINS0_14default_configENS1_35radix_sort_onesweep_config_selectorI6__halfNS0_10empty_typeEEEZNS1_34radix_sort_onesweep_global_offsetsIS3_Lb1EPKS5_PS6_mNS0_19identity_decomposerEEE10hipError_tT1_T2_PT3_SG_jT4_jjP12ihipStream_tbEUlT_E_NS1_11comp_targetILNS1_3genE6ELNS1_11target_archE950ELNS1_3gpuE13ELNS1_3repE0EEENS1_52radix_sort_onesweep_histogram_config_static_selectorELNS0_4arch9wavefront6targetE0EEEvSE_.kd
    .uniform_work_group_size: 1
    .uses_dynamic_stack: false
    .vgpr_count:     0
    .vgpr_spill_count: 0
    .wavefront_size: 32
  - .args:
      - .offset:         0
        .size:           48
        .value_kind:     by_value
    .group_segment_fixed_size: 0
    .kernarg_segment_align: 8
    .kernarg_segment_size: 48
    .language:       OpenCL C
    .language_version:
      - 2
      - 0
    .max_flat_workgroup_size: 1024
    .name:           _ZN7rocprim17ROCPRIM_400000_NS6detail17trampoline_kernelINS0_14default_configENS1_35radix_sort_onesweep_config_selectorI6__halfNS0_10empty_typeEEEZNS1_34radix_sort_onesweep_global_offsetsIS3_Lb1EPKS5_PS6_mNS0_19identity_decomposerEEE10hipError_tT1_T2_PT3_SG_jT4_jjP12ihipStream_tbEUlT_E_NS1_11comp_targetILNS1_3genE5ELNS1_11target_archE942ELNS1_3gpuE9ELNS1_3repE0EEENS1_52radix_sort_onesweep_histogram_config_static_selectorELNS0_4arch9wavefront6targetE0EEEvSE_
    .private_segment_fixed_size: 0
    .sgpr_count:     0
    .sgpr_spill_count: 0
    .symbol:         _ZN7rocprim17ROCPRIM_400000_NS6detail17trampoline_kernelINS0_14default_configENS1_35radix_sort_onesweep_config_selectorI6__halfNS0_10empty_typeEEEZNS1_34radix_sort_onesweep_global_offsetsIS3_Lb1EPKS5_PS6_mNS0_19identity_decomposerEEE10hipError_tT1_T2_PT3_SG_jT4_jjP12ihipStream_tbEUlT_E_NS1_11comp_targetILNS1_3genE5ELNS1_11target_archE942ELNS1_3gpuE9ELNS1_3repE0EEENS1_52radix_sort_onesweep_histogram_config_static_selectorELNS0_4arch9wavefront6targetE0EEEvSE_.kd
    .uniform_work_group_size: 1
    .uses_dynamic_stack: false
    .vgpr_count:     0
    .vgpr_spill_count: 0
    .wavefront_size: 32
  - .args:
      - .offset:         0
        .size:           48
        .value_kind:     by_value
    .group_segment_fixed_size: 0
    .kernarg_segment_align: 8
    .kernarg_segment_size: 48
    .language:       OpenCL C
    .language_version:
      - 2
      - 0
    .max_flat_workgroup_size: 512
    .name:           _ZN7rocprim17ROCPRIM_400000_NS6detail17trampoline_kernelINS0_14default_configENS1_35radix_sort_onesweep_config_selectorI6__halfNS0_10empty_typeEEEZNS1_34radix_sort_onesweep_global_offsetsIS3_Lb1EPKS5_PS6_mNS0_19identity_decomposerEEE10hipError_tT1_T2_PT3_SG_jT4_jjP12ihipStream_tbEUlT_E_NS1_11comp_targetILNS1_3genE2ELNS1_11target_archE906ELNS1_3gpuE6ELNS1_3repE0EEENS1_52radix_sort_onesweep_histogram_config_static_selectorELNS0_4arch9wavefront6targetE0EEEvSE_
    .private_segment_fixed_size: 0
    .sgpr_count:     0
    .sgpr_spill_count: 0
    .symbol:         _ZN7rocprim17ROCPRIM_400000_NS6detail17trampoline_kernelINS0_14default_configENS1_35radix_sort_onesweep_config_selectorI6__halfNS0_10empty_typeEEEZNS1_34radix_sort_onesweep_global_offsetsIS3_Lb1EPKS5_PS6_mNS0_19identity_decomposerEEE10hipError_tT1_T2_PT3_SG_jT4_jjP12ihipStream_tbEUlT_E_NS1_11comp_targetILNS1_3genE2ELNS1_11target_archE906ELNS1_3gpuE6ELNS1_3repE0EEENS1_52radix_sort_onesweep_histogram_config_static_selectorELNS0_4arch9wavefront6targetE0EEEvSE_.kd
    .uniform_work_group_size: 1
    .uses_dynamic_stack: false
    .vgpr_count:     0
    .vgpr_spill_count: 0
    .wavefront_size: 32
  - .args:
      - .offset:         0
        .size:           48
        .value_kind:     by_value
    .group_segment_fixed_size: 0
    .kernarg_segment_align: 8
    .kernarg_segment_size: 48
    .language:       OpenCL C
    .language_version:
      - 2
      - 0
    .max_flat_workgroup_size: 1024
    .name:           _ZN7rocprim17ROCPRIM_400000_NS6detail17trampoline_kernelINS0_14default_configENS1_35radix_sort_onesweep_config_selectorI6__halfNS0_10empty_typeEEEZNS1_34radix_sort_onesweep_global_offsetsIS3_Lb1EPKS5_PS6_mNS0_19identity_decomposerEEE10hipError_tT1_T2_PT3_SG_jT4_jjP12ihipStream_tbEUlT_E_NS1_11comp_targetILNS1_3genE4ELNS1_11target_archE910ELNS1_3gpuE8ELNS1_3repE0EEENS1_52radix_sort_onesweep_histogram_config_static_selectorELNS0_4arch9wavefront6targetE0EEEvSE_
    .private_segment_fixed_size: 0
    .sgpr_count:     0
    .sgpr_spill_count: 0
    .symbol:         _ZN7rocprim17ROCPRIM_400000_NS6detail17trampoline_kernelINS0_14default_configENS1_35radix_sort_onesweep_config_selectorI6__halfNS0_10empty_typeEEEZNS1_34radix_sort_onesweep_global_offsetsIS3_Lb1EPKS5_PS6_mNS0_19identity_decomposerEEE10hipError_tT1_T2_PT3_SG_jT4_jjP12ihipStream_tbEUlT_E_NS1_11comp_targetILNS1_3genE4ELNS1_11target_archE910ELNS1_3gpuE8ELNS1_3repE0EEENS1_52radix_sort_onesweep_histogram_config_static_selectorELNS0_4arch9wavefront6targetE0EEEvSE_.kd
    .uniform_work_group_size: 1
    .uses_dynamic_stack: false
    .vgpr_count:     0
    .vgpr_spill_count: 0
    .wavefront_size: 32
  - .args:
      - .offset:         0
        .size:           48
        .value_kind:     by_value
    .group_segment_fixed_size: 0
    .kernarg_segment_align: 8
    .kernarg_segment_size: 48
    .language:       OpenCL C
    .language_version:
      - 2
      - 0
    .max_flat_workgroup_size: 512
    .name:           _ZN7rocprim17ROCPRIM_400000_NS6detail17trampoline_kernelINS0_14default_configENS1_35radix_sort_onesweep_config_selectorI6__halfNS0_10empty_typeEEEZNS1_34radix_sort_onesweep_global_offsetsIS3_Lb1EPKS5_PS6_mNS0_19identity_decomposerEEE10hipError_tT1_T2_PT3_SG_jT4_jjP12ihipStream_tbEUlT_E_NS1_11comp_targetILNS1_3genE3ELNS1_11target_archE908ELNS1_3gpuE7ELNS1_3repE0EEENS1_52radix_sort_onesweep_histogram_config_static_selectorELNS0_4arch9wavefront6targetE0EEEvSE_
    .private_segment_fixed_size: 0
    .sgpr_count:     0
    .sgpr_spill_count: 0
    .symbol:         _ZN7rocprim17ROCPRIM_400000_NS6detail17trampoline_kernelINS0_14default_configENS1_35radix_sort_onesweep_config_selectorI6__halfNS0_10empty_typeEEEZNS1_34radix_sort_onesweep_global_offsetsIS3_Lb1EPKS5_PS6_mNS0_19identity_decomposerEEE10hipError_tT1_T2_PT3_SG_jT4_jjP12ihipStream_tbEUlT_E_NS1_11comp_targetILNS1_3genE3ELNS1_11target_archE908ELNS1_3gpuE7ELNS1_3repE0EEENS1_52radix_sort_onesweep_histogram_config_static_selectorELNS0_4arch9wavefront6targetE0EEEvSE_.kd
    .uniform_work_group_size: 1
    .uses_dynamic_stack: false
    .vgpr_count:     0
    .vgpr_spill_count: 0
    .wavefront_size: 32
  - .args:
      - .offset:         0
        .size:           48
        .value_kind:     by_value
    .group_segment_fixed_size: 0
    .kernarg_segment_align: 8
    .kernarg_segment_size: 48
    .language:       OpenCL C
    .language_version:
      - 2
      - 0
    .max_flat_workgroup_size: 256
    .name:           _ZN7rocprim17ROCPRIM_400000_NS6detail17trampoline_kernelINS0_14default_configENS1_35radix_sort_onesweep_config_selectorI6__halfNS0_10empty_typeEEEZNS1_34radix_sort_onesweep_global_offsetsIS3_Lb1EPKS5_PS6_mNS0_19identity_decomposerEEE10hipError_tT1_T2_PT3_SG_jT4_jjP12ihipStream_tbEUlT_E_NS1_11comp_targetILNS1_3genE10ELNS1_11target_archE1201ELNS1_3gpuE5ELNS1_3repE0EEENS1_52radix_sort_onesweep_histogram_config_static_selectorELNS0_4arch9wavefront6targetE0EEEvSE_
    .private_segment_fixed_size: 0
    .sgpr_count:     0
    .sgpr_spill_count: 0
    .symbol:         _ZN7rocprim17ROCPRIM_400000_NS6detail17trampoline_kernelINS0_14default_configENS1_35radix_sort_onesweep_config_selectorI6__halfNS0_10empty_typeEEEZNS1_34radix_sort_onesweep_global_offsetsIS3_Lb1EPKS5_PS6_mNS0_19identity_decomposerEEE10hipError_tT1_T2_PT3_SG_jT4_jjP12ihipStream_tbEUlT_E_NS1_11comp_targetILNS1_3genE10ELNS1_11target_archE1201ELNS1_3gpuE5ELNS1_3repE0EEENS1_52radix_sort_onesweep_histogram_config_static_selectorELNS0_4arch9wavefront6targetE0EEEvSE_.kd
    .uniform_work_group_size: 1
    .uses_dynamic_stack: false
    .vgpr_count:     0
    .vgpr_spill_count: 0
    .wavefront_size: 32
  - .args:
      - .offset:         0
        .size:           48
        .value_kind:     by_value
    .group_segment_fixed_size: 0
    .kernarg_segment_align: 8
    .kernarg_segment_size: 48
    .language:       OpenCL C
    .language_version:
      - 2
      - 0
    .max_flat_workgroup_size: 256
    .name:           _ZN7rocprim17ROCPRIM_400000_NS6detail17trampoline_kernelINS0_14default_configENS1_35radix_sort_onesweep_config_selectorI6__halfNS0_10empty_typeEEEZNS1_34radix_sort_onesweep_global_offsetsIS3_Lb1EPKS5_PS6_mNS0_19identity_decomposerEEE10hipError_tT1_T2_PT3_SG_jT4_jjP12ihipStream_tbEUlT_E_NS1_11comp_targetILNS1_3genE9ELNS1_11target_archE1100ELNS1_3gpuE3ELNS1_3repE0EEENS1_52radix_sort_onesweep_histogram_config_static_selectorELNS0_4arch9wavefront6targetE0EEEvSE_
    .private_segment_fixed_size: 0
    .sgpr_count:     0
    .sgpr_spill_count: 0
    .symbol:         _ZN7rocprim17ROCPRIM_400000_NS6detail17trampoline_kernelINS0_14default_configENS1_35radix_sort_onesweep_config_selectorI6__halfNS0_10empty_typeEEEZNS1_34radix_sort_onesweep_global_offsetsIS3_Lb1EPKS5_PS6_mNS0_19identity_decomposerEEE10hipError_tT1_T2_PT3_SG_jT4_jjP12ihipStream_tbEUlT_E_NS1_11comp_targetILNS1_3genE9ELNS1_11target_archE1100ELNS1_3gpuE3ELNS1_3repE0EEENS1_52radix_sort_onesweep_histogram_config_static_selectorELNS0_4arch9wavefront6targetE0EEEvSE_.kd
    .uniform_work_group_size: 1
    .uses_dynamic_stack: false
    .vgpr_count:     0
    .vgpr_spill_count: 0
    .wavefront_size: 32
  - .args:
      - .offset:         0
        .size:           48
        .value_kind:     by_value
    .group_segment_fixed_size: 0
    .kernarg_segment_align: 8
    .kernarg_segment_size: 48
    .language:       OpenCL C
    .language_version:
      - 2
      - 0
    .max_flat_workgroup_size: 256
    .name:           _ZN7rocprim17ROCPRIM_400000_NS6detail17trampoline_kernelINS0_14default_configENS1_35radix_sort_onesweep_config_selectorI6__halfNS0_10empty_typeEEEZNS1_34radix_sort_onesweep_global_offsetsIS3_Lb1EPKS5_PS6_mNS0_19identity_decomposerEEE10hipError_tT1_T2_PT3_SG_jT4_jjP12ihipStream_tbEUlT_E_NS1_11comp_targetILNS1_3genE8ELNS1_11target_archE1030ELNS1_3gpuE2ELNS1_3repE0EEENS1_52radix_sort_onesweep_histogram_config_static_selectorELNS0_4arch9wavefront6targetE0EEEvSE_
    .private_segment_fixed_size: 0
    .sgpr_count:     0
    .sgpr_spill_count: 0
    .symbol:         _ZN7rocprim17ROCPRIM_400000_NS6detail17trampoline_kernelINS0_14default_configENS1_35radix_sort_onesweep_config_selectorI6__halfNS0_10empty_typeEEEZNS1_34radix_sort_onesweep_global_offsetsIS3_Lb1EPKS5_PS6_mNS0_19identity_decomposerEEE10hipError_tT1_T2_PT3_SG_jT4_jjP12ihipStream_tbEUlT_E_NS1_11comp_targetILNS1_3genE8ELNS1_11target_archE1030ELNS1_3gpuE2ELNS1_3repE0EEENS1_52radix_sort_onesweep_histogram_config_static_selectorELNS0_4arch9wavefront6targetE0EEEvSE_.kd
    .uniform_work_group_size: 1
    .uses_dynamic_stack: false
    .vgpr_count:     0
    .vgpr_spill_count: 0
    .wavefront_size: 32
  - .args:
      - .address_space:  global
        .offset:         0
        .size:           8
        .value_kind:     global_buffer
    .group_segment_fixed_size: 128
    .kernarg_segment_align: 8
    .kernarg_segment_size: 8
    .language:       OpenCL C
    .language_version:
      - 2
      - 0
    .max_flat_workgroup_size: 512
    .name:           _ZN7rocprim17ROCPRIM_400000_NS6detail17trampoline_kernelINS0_14default_configENS1_35radix_sort_onesweep_config_selectorI6__halfNS0_10empty_typeEEEZNS1_34radix_sort_onesweep_global_offsetsIS3_Lb1EPKS5_PS6_mNS0_19identity_decomposerEEE10hipError_tT1_T2_PT3_SG_jT4_jjP12ihipStream_tbEUlT_E0_NS1_11comp_targetILNS1_3genE0ELNS1_11target_archE4294967295ELNS1_3gpuE0ELNS1_3repE0EEENS1_52radix_sort_onesweep_histogram_config_static_selectorELNS0_4arch9wavefront6targetE0EEEvSE_
    .private_segment_fixed_size: 0
    .sgpr_count:     10
    .sgpr_spill_count: 0
    .symbol:         _ZN7rocprim17ROCPRIM_400000_NS6detail17trampoline_kernelINS0_14default_configENS1_35radix_sort_onesweep_config_selectorI6__halfNS0_10empty_typeEEEZNS1_34radix_sort_onesweep_global_offsetsIS3_Lb1EPKS5_PS6_mNS0_19identity_decomposerEEE10hipError_tT1_T2_PT3_SG_jT4_jjP12ihipStream_tbEUlT_E0_NS1_11comp_targetILNS1_3genE0ELNS1_11target_archE4294967295ELNS1_3gpuE0ELNS1_3repE0EEENS1_52radix_sort_onesweep_histogram_config_static_selectorELNS0_4arch9wavefront6targetE0EEEvSE_.kd
    .uniform_work_group_size: 1
    .uses_dynamic_stack: false
    .vgpr_count:     14
    .vgpr_spill_count: 0
    .wavefront_size: 32
  - .args:
      - .address_space:  global
        .offset:         0
        .size:           8
        .value_kind:     global_buffer
    .group_segment_fixed_size: 0
    .kernarg_segment_align: 8
    .kernarg_segment_size: 8
    .language:       OpenCL C
    .language_version:
      - 2
      - 0
    .max_flat_workgroup_size: 1024
    .name:           _ZN7rocprim17ROCPRIM_400000_NS6detail17trampoline_kernelINS0_14default_configENS1_35radix_sort_onesweep_config_selectorI6__halfNS0_10empty_typeEEEZNS1_34radix_sort_onesweep_global_offsetsIS3_Lb1EPKS5_PS6_mNS0_19identity_decomposerEEE10hipError_tT1_T2_PT3_SG_jT4_jjP12ihipStream_tbEUlT_E0_NS1_11comp_targetILNS1_3genE6ELNS1_11target_archE950ELNS1_3gpuE13ELNS1_3repE0EEENS1_52radix_sort_onesweep_histogram_config_static_selectorELNS0_4arch9wavefront6targetE0EEEvSE_
    .private_segment_fixed_size: 0
    .sgpr_count:     0
    .sgpr_spill_count: 0
    .symbol:         _ZN7rocprim17ROCPRIM_400000_NS6detail17trampoline_kernelINS0_14default_configENS1_35radix_sort_onesweep_config_selectorI6__halfNS0_10empty_typeEEEZNS1_34radix_sort_onesweep_global_offsetsIS3_Lb1EPKS5_PS6_mNS0_19identity_decomposerEEE10hipError_tT1_T2_PT3_SG_jT4_jjP12ihipStream_tbEUlT_E0_NS1_11comp_targetILNS1_3genE6ELNS1_11target_archE950ELNS1_3gpuE13ELNS1_3repE0EEENS1_52radix_sort_onesweep_histogram_config_static_selectorELNS0_4arch9wavefront6targetE0EEEvSE_.kd
    .uniform_work_group_size: 1
    .uses_dynamic_stack: false
    .vgpr_count:     0
    .vgpr_spill_count: 0
    .wavefront_size: 32
  - .args:
      - .address_space:  global
        .offset:         0
        .size:           8
        .value_kind:     global_buffer
    .group_segment_fixed_size: 0
    .kernarg_segment_align: 8
    .kernarg_segment_size: 8
    .language:       OpenCL C
    .language_version:
      - 2
      - 0
    .max_flat_workgroup_size: 1024
    .name:           _ZN7rocprim17ROCPRIM_400000_NS6detail17trampoline_kernelINS0_14default_configENS1_35radix_sort_onesweep_config_selectorI6__halfNS0_10empty_typeEEEZNS1_34radix_sort_onesweep_global_offsetsIS3_Lb1EPKS5_PS6_mNS0_19identity_decomposerEEE10hipError_tT1_T2_PT3_SG_jT4_jjP12ihipStream_tbEUlT_E0_NS1_11comp_targetILNS1_3genE5ELNS1_11target_archE942ELNS1_3gpuE9ELNS1_3repE0EEENS1_52radix_sort_onesweep_histogram_config_static_selectorELNS0_4arch9wavefront6targetE0EEEvSE_
    .private_segment_fixed_size: 0
    .sgpr_count:     0
    .sgpr_spill_count: 0
    .symbol:         _ZN7rocprim17ROCPRIM_400000_NS6detail17trampoline_kernelINS0_14default_configENS1_35radix_sort_onesweep_config_selectorI6__halfNS0_10empty_typeEEEZNS1_34radix_sort_onesweep_global_offsetsIS3_Lb1EPKS5_PS6_mNS0_19identity_decomposerEEE10hipError_tT1_T2_PT3_SG_jT4_jjP12ihipStream_tbEUlT_E0_NS1_11comp_targetILNS1_3genE5ELNS1_11target_archE942ELNS1_3gpuE9ELNS1_3repE0EEENS1_52radix_sort_onesweep_histogram_config_static_selectorELNS0_4arch9wavefront6targetE0EEEvSE_.kd
    .uniform_work_group_size: 1
    .uses_dynamic_stack: false
    .vgpr_count:     0
    .vgpr_spill_count: 0
    .wavefront_size: 32
  - .args:
      - .address_space:  global
        .offset:         0
        .size:           8
        .value_kind:     global_buffer
    .group_segment_fixed_size: 0
    .kernarg_segment_align: 8
    .kernarg_segment_size: 8
    .language:       OpenCL C
    .language_version:
      - 2
      - 0
    .max_flat_workgroup_size: 512
    .name:           _ZN7rocprim17ROCPRIM_400000_NS6detail17trampoline_kernelINS0_14default_configENS1_35radix_sort_onesweep_config_selectorI6__halfNS0_10empty_typeEEEZNS1_34radix_sort_onesweep_global_offsetsIS3_Lb1EPKS5_PS6_mNS0_19identity_decomposerEEE10hipError_tT1_T2_PT3_SG_jT4_jjP12ihipStream_tbEUlT_E0_NS1_11comp_targetILNS1_3genE2ELNS1_11target_archE906ELNS1_3gpuE6ELNS1_3repE0EEENS1_52radix_sort_onesweep_histogram_config_static_selectorELNS0_4arch9wavefront6targetE0EEEvSE_
    .private_segment_fixed_size: 0
    .sgpr_count:     0
    .sgpr_spill_count: 0
    .symbol:         _ZN7rocprim17ROCPRIM_400000_NS6detail17trampoline_kernelINS0_14default_configENS1_35radix_sort_onesweep_config_selectorI6__halfNS0_10empty_typeEEEZNS1_34radix_sort_onesweep_global_offsetsIS3_Lb1EPKS5_PS6_mNS0_19identity_decomposerEEE10hipError_tT1_T2_PT3_SG_jT4_jjP12ihipStream_tbEUlT_E0_NS1_11comp_targetILNS1_3genE2ELNS1_11target_archE906ELNS1_3gpuE6ELNS1_3repE0EEENS1_52radix_sort_onesweep_histogram_config_static_selectorELNS0_4arch9wavefront6targetE0EEEvSE_.kd
    .uniform_work_group_size: 1
    .uses_dynamic_stack: false
    .vgpr_count:     0
    .vgpr_spill_count: 0
    .wavefront_size: 32
  - .args:
      - .address_space:  global
        .offset:         0
        .size:           8
        .value_kind:     global_buffer
    .group_segment_fixed_size: 0
    .kernarg_segment_align: 8
    .kernarg_segment_size: 8
    .language:       OpenCL C
    .language_version:
      - 2
      - 0
    .max_flat_workgroup_size: 1024
    .name:           _ZN7rocprim17ROCPRIM_400000_NS6detail17trampoline_kernelINS0_14default_configENS1_35radix_sort_onesweep_config_selectorI6__halfNS0_10empty_typeEEEZNS1_34radix_sort_onesweep_global_offsetsIS3_Lb1EPKS5_PS6_mNS0_19identity_decomposerEEE10hipError_tT1_T2_PT3_SG_jT4_jjP12ihipStream_tbEUlT_E0_NS1_11comp_targetILNS1_3genE4ELNS1_11target_archE910ELNS1_3gpuE8ELNS1_3repE0EEENS1_52radix_sort_onesweep_histogram_config_static_selectorELNS0_4arch9wavefront6targetE0EEEvSE_
    .private_segment_fixed_size: 0
    .sgpr_count:     0
    .sgpr_spill_count: 0
    .symbol:         _ZN7rocprim17ROCPRIM_400000_NS6detail17trampoline_kernelINS0_14default_configENS1_35radix_sort_onesweep_config_selectorI6__halfNS0_10empty_typeEEEZNS1_34radix_sort_onesweep_global_offsetsIS3_Lb1EPKS5_PS6_mNS0_19identity_decomposerEEE10hipError_tT1_T2_PT3_SG_jT4_jjP12ihipStream_tbEUlT_E0_NS1_11comp_targetILNS1_3genE4ELNS1_11target_archE910ELNS1_3gpuE8ELNS1_3repE0EEENS1_52radix_sort_onesweep_histogram_config_static_selectorELNS0_4arch9wavefront6targetE0EEEvSE_.kd
    .uniform_work_group_size: 1
    .uses_dynamic_stack: false
    .vgpr_count:     0
    .vgpr_spill_count: 0
    .wavefront_size: 32
  - .args:
      - .address_space:  global
        .offset:         0
        .size:           8
        .value_kind:     global_buffer
    .group_segment_fixed_size: 0
    .kernarg_segment_align: 8
    .kernarg_segment_size: 8
    .language:       OpenCL C
    .language_version:
      - 2
      - 0
    .max_flat_workgroup_size: 512
    .name:           _ZN7rocprim17ROCPRIM_400000_NS6detail17trampoline_kernelINS0_14default_configENS1_35radix_sort_onesweep_config_selectorI6__halfNS0_10empty_typeEEEZNS1_34radix_sort_onesweep_global_offsetsIS3_Lb1EPKS5_PS6_mNS0_19identity_decomposerEEE10hipError_tT1_T2_PT3_SG_jT4_jjP12ihipStream_tbEUlT_E0_NS1_11comp_targetILNS1_3genE3ELNS1_11target_archE908ELNS1_3gpuE7ELNS1_3repE0EEENS1_52radix_sort_onesweep_histogram_config_static_selectorELNS0_4arch9wavefront6targetE0EEEvSE_
    .private_segment_fixed_size: 0
    .sgpr_count:     0
    .sgpr_spill_count: 0
    .symbol:         _ZN7rocprim17ROCPRIM_400000_NS6detail17trampoline_kernelINS0_14default_configENS1_35radix_sort_onesweep_config_selectorI6__halfNS0_10empty_typeEEEZNS1_34radix_sort_onesweep_global_offsetsIS3_Lb1EPKS5_PS6_mNS0_19identity_decomposerEEE10hipError_tT1_T2_PT3_SG_jT4_jjP12ihipStream_tbEUlT_E0_NS1_11comp_targetILNS1_3genE3ELNS1_11target_archE908ELNS1_3gpuE7ELNS1_3repE0EEENS1_52radix_sort_onesweep_histogram_config_static_selectorELNS0_4arch9wavefront6targetE0EEEvSE_.kd
    .uniform_work_group_size: 1
    .uses_dynamic_stack: false
    .vgpr_count:     0
    .vgpr_spill_count: 0
    .wavefront_size: 32
  - .args:
      - .address_space:  global
        .offset:         0
        .size:           8
        .value_kind:     global_buffer
    .group_segment_fixed_size: 0
    .kernarg_segment_align: 8
    .kernarg_segment_size: 8
    .language:       OpenCL C
    .language_version:
      - 2
      - 0
    .max_flat_workgroup_size: 256
    .name:           _ZN7rocprim17ROCPRIM_400000_NS6detail17trampoline_kernelINS0_14default_configENS1_35radix_sort_onesweep_config_selectorI6__halfNS0_10empty_typeEEEZNS1_34radix_sort_onesweep_global_offsetsIS3_Lb1EPKS5_PS6_mNS0_19identity_decomposerEEE10hipError_tT1_T2_PT3_SG_jT4_jjP12ihipStream_tbEUlT_E0_NS1_11comp_targetILNS1_3genE10ELNS1_11target_archE1201ELNS1_3gpuE5ELNS1_3repE0EEENS1_52radix_sort_onesweep_histogram_config_static_selectorELNS0_4arch9wavefront6targetE0EEEvSE_
    .private_segment_fixed_size: 0
    .sgpr_count:     0
    .sgpr_spill_count: 0
    .symbol:         _ZN7rocprim17ROCPRIM_400000_NS6detail17trampoline_kernelINS0_14default_configENS1_35radix_sort_onesweep_config_selectorI6__halfNS0_10empty_typeEEEZNS1_34radix_sort_onesweep_global_offsetsIS3_Lb1EPKS5_PS6_mNS0_19identity_decomposerEEE10hipError_tT1_T2_PT3_SG_jT4_jjP12ihipStream_tbEUlT_E0_NS1_11comp_targetILNS1_3genE10ELNS1_11target_archE1201ELNS1_3gpuE5ELNS1_3repE0EEENS1_52radix_sort_onesweep_histogram_config_static_selectorELNS0_4arch9wavefront6targetE0EEEvSE_.kd
    .uniform_work_group_size: 1
    .uses_dynamic_stack: false
    .vgpr_count:     0
    .vgpr_spill_count: 0
    .wavefront_size: 32
  - .args:
      - .address_space:  global
        .offset:         0
        .size:           8
        .value_kind:     global_buffer
    .group_segment_fixed_size: 0
    .kernarg_segment_align: 8
    .kernarg_segment_size: 8
    .language:       OpenCL C
    .language_version:
      - 2
      - 0
    .max_flat_workgroup_size: 256
    .name:           _ZN7rocprim17ROCPRIM_400000_NS6detail17trampoline_kernelINS0_14default_configENS1_35radix_sort_onesweep_config_selectorI6__halfNS0_10empty_typeEEEZNS1_34radix_sort_onesweep_global_offsetsIS3_Lb1EPKS5_PS6_mNS0_19identity_decomposerEEE10hipError_tT1_T2_PT3_SG_jT4_jjP12ihipStream_tbEUlT_E0_NS1_11comp_targetILNS1_3genE9ELNS1_11target_archE1100ELNS1_3gpuE3ELNS1_3repE0EEENS1_52radix_sort_onesweep_histogram_config_static_selectorELNS0_4arch9wavefront6targetE0EEEvSE_
    .private_segment_fixed_size: 0
    .sgpr_count:     0
    .sgpr_spill_count: 0
    .symbol:         _ZN7rocprim17ROCPRIM_400000_NS6detail17trampoline_kernelINS0_14default_configENS1_35radix_sort_onesweep_config_selectorI6__halfNS0_10empty_typeEEEZNS1_34radix_sort_onesweep_global_offsetsIS3_Lb1EPKS5_PS6_mNS0_19identity_decomposerEEE10hipError_tT1_T2_PT3_SG_jT4_jjP12ihipStream_tbEUlT_E0_NS1_11comp_targetILNS1_3genE9ELNS1_11target_archE1100ELNS1_3gpuE3ELNS1_3repE0EEENS1_52radix_sort_onesweep_histogram_config_static_selectorELNS0_4arch9wavefront6targetE0EEEvSE_.kd
    .uniform_work_group_size: 1
    .uses_dynamic_stack: false
    .vgpr_count:     0
    .vgpr_spill_count: 0
    .wavefront_size: 32
  - .args:
      - .address_space:  global
        .offset:         0
        .size:           8
        .value_kind:     global_buffer
    .group_segment_fixed_size: 0
    .kernarg_segment_align: 8
    .kernarg_segment_size: 8
    .language:       OpenCL C
    .language_version:
      - 2
      - 0
    .max_flat_workgroup_size: 256
    .name:           _ZN7rocprim17ROCPRIM_400000_NS6detail17trampoline_kernelINS0_14default_configENS1_35radix_sort_onesweep_config_selectorI6__halfNS0_10empty_typeEEEZNS1_34radix_sort_onesweep_global_offsetsIS3_Lb1EPKS5_PS6_mNS0_19identity_decomposerEEE10hipError_tT1_T2_PT3_SG_jT4_jjP12ihipStream_tbEUlT_E0_NS1_11comp_targetILNS1_3genE8ELNS1_11target_archE1030ELNS1_3gpuE2ELNS1_3repE0EEENS1_52radix_sort_onesweep_histogram_config_static_selectorELNS0_4arch9wavefront6targetE0EEEvSE_
    .private_segment_fixed_size: 0
    .sgpr_count:     0
    .sgpr_spill_count: 0
    .symbol:         _ZN7rocprim17ROCPRIM_400000_NS6detail17trampoline_kernelINS0_14default_configENS1_35radix_sort_onesweep_config_selectorI6__halfNS0_10empty_typeEEEZNS1_34radix_sort_onesweep_global_offsetsIS3_Lb1EPKS5_PS6_mNS0_19identity_decomposerEEE10hipError_tT1_T2_PT3_SG_jT4_jjP12ihipStream_tbEUlT_E0_NS1_11comp_targetILNS1_3genE8ELNS1_11target_archE1030ELNS1_3gpuE2ELNS1_3repE0EEENS1_52radix_sort_onesweep_histogram_config_static_selectorELNS0_4arch9wavefront6targetE0EEEvSE_.kd
    .uniform_work_group_size: 1
    .uses_dynamic_stack: false
    .vgpr_count:     0
    .vgpr_spill_count: 0
    .wavefront_size: 32
  - .args:
      - .offset:         0
        .size:           40
        .value_kind:     by_value
      - .offset:         40
        .size:           4
        .value_kind:     hidden_block_count_x
      - .offset:         44
        .size:           4
        .value_kind:     hidden_block_count_y
      - .offset:         48
        .size:           4
        .value_kind:     hidden_block_count_z
      - .offset:         52
        .size:           2
        .value_kind:     hidden_group_size_x
      - .offset:         54
        .size:           2
        .value_kind:     hidden_group_size_y
      - .offset:         56
        .size:           2
        .value_kind:     hidden_group_size_z
      - .offset:         58
        .size:           2
        .value_kind:     hidden_remainder_x
      - .offset:         60
        .size:           2
        .value_kind:     hidden_remainder_y
      - .offset:         62
        .size:           2
        .value_kind:     hidden_remainder_z
      - .offset:         80
        .size:           8
        .value_kind:     hidden_global_offset_x
      - .offset:         88
        .size:           8
        .value_kind:     hidden_global_offset_y
      - .offset:         96
        .size:           8
        .value_kind:     hidden_global_offset_z
      - .offset:         104
        .size:           2
        .value_kind:     hidden_grid_dims
    .group_segment_fixed_size: 0
    .kernarg_segment_align: 8
    .kernarg_segment_size: 296
    .language:       OpenCL C
    .language_version:
      - 2
      - 0
    .max_flat_workgroup_size: 128
    .name:           _ZN7rocprim17ROCPRIM_400000_NS6detail17trampoline_kernelINS0_14default_configENS1_25transform_config_selectorI6__halfLb1EEEZNS1_14transform_implILb1ES3_S6_PKS5_PS5_NS0_8identityIS5_EEEE10hipError_tT2_T3_mT4_P12ihipStream_tbEUlT_E_NS1_11comp_targetILNS1_3genE0ELNS1_11target_archE4294967295ELNS1_3gpuE0ELNS1_3repE0EEENS1_30default_config_static_selectorELNS0_4arch9wavefront6targetE0EEEvT1_
    .private_segment_fixed_size: 0
    .sgpr_count:     17
    .sgpr_spill_count: 0
    .symbol:         _ZN7rocprim17ROCPRIM_400000_NS6detail17trampoline_kernelINS0_14default_configENS1_25transform_config_selectorI6__halfLb1EEEZNS1_14transform_implILb1ES3_S6_PKS5_PS5_NS0_8identityIS5_EEEE10hipError_tT2_T3_mT4_P12ihipStream_tbEUlT_E_NS1_11comp_targetILNS1_3genE0ELNS1_11target_archE4294967295ELNS1_3gpuE0ELNS1_3repE0EEENS1_30default_config_static_selectorELNS0_4arch9wavefront6targetE0EEEvT1_.kd
    .uniform_work_group_size: 1
    .uses_dynamic_stack: false
    .vgpr_count:     6
    .vgpr_spill_count: 0
    .wavefront_size: 32
  - .args:
      - .offset:         0
        .size:           40
        .value_kind:     by_value
    .group_segment_fixed_size: 0
    .kernarg_segment_align: 8
    .kernarg_segment_size: 40
    .language:       OpenCL C
    .language_version:
      - 2
      - 0
    .max_flat_workgroup_size: 1024
    .name:           _ZN7rocprim17ROCPRIM_400000_NS6detail17trampoline_kernelINS0_14default_configENS1_25transform_config_selectorI6__halfLb1EEEZNS1_14transform_implILb1ES3_S6_PKS5_PS5_NS0_8identityIS5_EEEE10hipError_tT2_T3_mT4_P12ihipStream_tbEUlT_E_NS1_11comp_targetILNS1_3genE10ELNS1_11target_archE1201ELNS1_3gpuE5ELNS1_3repE0EEENS1_30default_config_static_selectorELNS0_4arch9wavefront6targetE0EEEvT1_
    .private_segment_fixed_size: 0
    .sgpr_count:     0
    .sgpr_spill_count: 0
    .symbol:         _ZN7rocprim17ROCPRIM_400000_NS6detail17trampoline_kernelINS0_14default_configENS1_25transform_config_selectorI6__halfLb1EEEZNS1_14transform_implILb1ES3_S6_PKS5_PS5_NS0_8identityIS5_EEEE10hipError_tT2_T3_mT4_P12ihipStream_tbEUlT_E_NS1_11comp_targetILNS1_3genE10ELNS1_11target_archE1201ELNS1_3gpuE5ELNS1_3repE0EEENS1_30default_config_static_selectorELNS0_4arch9wavefront6targetE0EEEvT1_.kd
    .uniform_work_group_size: 1
    .uses_dynamic_stack: false
    .vgpr_count:     0
    .vgpr_spill_count: 0
    .wavefront_size: 32
  - .args:
      - .offset:         0
        .size:           40
        .value_kind:     by_value
    .group_segment_fixed_size: 0
    .kernarg_segment_align: 8
    .kernarg_segment_size: 40
    .language:       OpenCL C
    .language_version:
      - 2
      - 0
    .max_flat_workgroup_size: 256
    .name:           _ZN7rocprim17ROCPRIM_400000_NS6detail17trampoline_kernelINS0_14default_configENS1_25transform_config_selectorI6__halfLb1EEEZNS1_14transform_implILb1ES3_S6_PKS5_PS5_NS0_8identityIS5_EEEE10hipError_tT2_T3_mT4_P12ihipStream_tbEUlT_E_NS1_11comp_targetILNS1_3genE5ELNS1_11target_archE942ELNS1_3gpuE9ELNS1_3repE0EEENS1_30default_config_static_selectorELNS0_4arch9wavefront6targetE0EEEvT1_
    .private_segment_fixed_size: 0
    .sgpr_count:     0
    .sgpr_spill_count: 0
    .symbol:         _ZN7rocprim17ROCPRIM_400000_NS6detail17trampoline_kernelINS0_14default_configENS1_25transform_config_selectorI6__halfLb1EEEZNS1_14transform_implILb1ES3_S6_PKS5_PS5_NS0_8identityIS5_EEEE10hipError_tT2_T3_mT4_P12ihipStream_tbEUlT_E_NS1_11comp_targetILNS1_3genE5ELNS1_11target_archE942ELNS1_3gpuE9ELNS1_3repE0EEENS1_30default_config_static_selectorELNS0_4arch9wavefront6targetE0EEEvT1_.kd
    .uniform_work_group_size: 1
    .uses_dynamic_stack: false
    .vgpr_count:     0
    .vgpr_spill_count: 0
    .wavefront_size: 32
  - .args:
      - .offset:         0
        .size:           40
        .value_kind:     by_value
    .group_segment_fixed_size: 0
    .kernarg_segment_align: 8
    .kernarg_segment_size: 40
    .language:       OpenCL C
    .language_version:
      - 2
      - 0
    .max_flat_workgroup_size: 1024
    .name:           _ZN7rocprim17ROCPRIM_400000_NS6detail17trampoline_kernelINS0_14default_configENS1_25transform_config_selectorI6__halfLb1EEEZNS1_14transform_implILb1ES3_S6_PKS5_PS5_NS0_8identityIS5_EEEE10hipError_tT2_T3_mT4_P12ihipStream_tbEUlT_E_NS1_11comp_targetILNS1_3genE4ELNS1_11target_archE910ELNS1_3gpuE8ELNS1_3repE0EEENS1_30default_config_static_selectorELNS0_4arch9wavefront6targetE0EEEvT1_
    .private_segment_fixed_size: 0
    .sgpr_count:     0
    .sgpr_spill_count: 0
    .symbol:         _ZN7rocprim17ROCPRIM_400000_NS6detail17trampoline_kernelINS0_14default_configENS1_25transform_config_selectorI6__halfLb1EEEZNS1_14transform_implILb1ES3_S6_PKS5_PS5_NS0_8identityIS5_EEEE10hipError_tT2_T3_mT4_P12ihipStream_tbEUlT_E_NS1_11comp_targetILNS1_3genE4ELNS1_11target_archE910ELNS1_3gpuE8ELNS1_3repE0EEENS1_30default_config_static_selectorELNS0_4arch9wavefront6targetE0EEEvT1_.kd
    .uniform_work_group_size: 1
    .uses_dynamic_stack: false
    .vgpr_count:     0
    .vgpr_spill_count: 0
    .wavefront_size: 32
  - .args:
      - .offset:         0
        .size:           40
        .value_kind:     by_value
    .group_segment_fixed_size: 0
    .kernarg_segment_align: 8
    .kernarg_segment_size: 40
    .language:       OpenCL C
    .language_version:
      - 2
      - 0
    .max_flat_workgroup_size: 128
    .name:           _ZN7rocprim17ROCPRIM_400000_NS6detail17trampoline_kernelINS0_14default_configENS1_25transform_config_selectorI6__halfLb1EEEZNS1_14transform_implILb1ES3_S6_PKS5_PS5_NS0_8identityIS5_EEEE10hipError_tT2_T3_mT4_P12ihipStream_tbEUlT_E_NS1_11comp_targetILNS1_3genE3ELNS1_11target_archE908ELNS1_3gpuE7ELNS1_3repE0EEENS1_30default_config_static_selectorELNS0_4arch9wavefront6targetE0EEEvT1_
    .private_segment_fixed_size: 0
    .sgpr_count:     0
    .sgpr_spill_count: 0
    .symbol:         _ZN7rocprim17ROCPRIM_400000_NS6detail17trampoline_kernelINS0_14default_configENS1_25transform_config_selectorI6__halfLb1EEEZNS1_14transform_implILb1ES3_S6_PKS5_PS5_NS0_8identityIS5_EEEE10hipError_tT2_T3_mT4_P12ihipStream_tbEUlT_E_NS1_11comp_targetILNS1_3genE3ELNS1_11target_archE908ELNS1_3gpuE7ELNS1_3repE0EEENS1_30default_config_static_selectorELNS0_4arch9wavefront6targetE0EEEvT1_.kd
    .uniform_work_group_size: 1
    .uses_dynamic_stack: false
    .vgpr_count:     0
    .vgpr_spill_count: 0
    .wavefront_size: 32
  - .args:
      - .offset:         0
        .size:           40
        .value_kind:     by_value
    .group_segment_fixed_size: 0
    .kernarg_segment_align: 8
    .kernarg_segment_size: 40
    .language:       OpenCL C
    .language_version:
      - 2
      - 0
    .max_flat_workgroup_size: 512
    .name:           _ZN7rocprim17ROCPRIM_400000_NS6detail17trampoline_kernelINS0_14default_configENS1_25transform_config_selectorI6__halfLb1EEEZNS1_14transform_implILb1ES3_S6_PKS5_PS5_NS0_8identityIS5_EEEE10hipError_tT2_T3_mT4_P12ihipStream_tbEUlT_E_NS1_11comp_targetILNS1_3genE2ELNS1_11target_archE906ELNS1_3gpuE6ELNS1_3repE0EEENS1_30default_config_static_selectorELNS0_4arch9wavefront6targetE0EEEvT1_
    .private_segment_fixed_size: 0
    .sgpr_count:     0
    .sgpr_spill_count: 0
    .symbol:         _ZN7rocprim17ROCPRIM_400000_NS6detail17trampoline_kernelINS0_14default_configENS1_25transform_config_selectorI6__halfLb1EEEZNS1_14transform_implILb1ES3_S6_PKS5_PS5_NS0_8identityIS5_EEEE10hipError_tT2_T3_mT4_P12ihipStream_tbEUlT_E_NS1_11comp_targetILNS1_3genE2ELNS1_11target_archE906ELNS1_3gpuE6ELNS1_3repE0EEENS1_30default_config_static_selectorELNS0_4arch9wavefront6targetE0EEEvT1_.kd
    .uniform_work_group_size: 1
    .uses_dynamic_stack: false
    .vgpr_count:     0
    .vgpr_spill_count: 0
    .wavefront_size: 32
  - .args:
      - .offset:         0
        .size:           40
        .value_kind:     by_value
    .group_segment_fixed_size: 0
    .kernarg_segment_align: 8
    .kernarg_segment_size: 40
    .language:       OpenCL C
    .language_version:
      - 2
      - 0
    .max_flat_workgroup_size: 1024
    .name:           _ZN7rocprim17ROCPRIM_400000_NS6detail17trampoline_kernelINS0_14default_configENS1_25transform_config_selectorI6__halfLb1EEEZNS1_14transform_implILb1ES3_S6_PKS5_PS5_NS0_8identityIS5_EEEE10hipError_tT2_T3_mT4_P12ihipStream_tbEUlT_E_NS1_11comp_targetILNS1_3genE9ELNS1_11target_archE1100ELNS1_3gpuE3ELNS1_3repE0EEENS1_30default_config_static_selectorELNS0_4arch9wavefront6targetE0EEEvT1_
    .private_segment_fixed_size: 0
    .sgpr_count:     0
    .sgpr_spill_count: 0
    .symbol:         _ZN7rocprim17ROCPRIM_400000_NS6detail17trampoline_kernelINS0_14default_configENS1_25transform_config_selectorI6__halfLb1EEEZNS1_14transform_implILb1ES3_S6_PKS5_PS5_NS0_8identityIS5_EEEE10hipError_tT2_T3_mT4_P12ihipStream_tbEUlT_E_NS1_11comp_targetILNS1_3genE9ELNS1_11target_archE1100ELNS1_3gpuE3ELNS1_3repE0EEENS1_30default_config_static_selectorELNS0_4arch9wavefront6targetE0EEEvT1_.kd
    .uniform_work_group_size: 1
    .uses_dynamic_stack: false
    .vgpr_count:     0
    .vgpr_spill_count: 0
    .wavefront_size: 32
  - .args:
      - .offset:         0
        .size:           40
        .value_kind:     by_value
    .group_segment_fixed_size: 0
    .kernarg_segment_align: 8
    .kernarg_segment_size: 40
    .language:       OpenCL C
    .language_version:
      - 2
      - 0
    .max_flat_workgroup_size: 1024
    .name:           _ZN7rocprim17ROCPRIM_400000_NS6detail17trampoline_kernelINS0_14default_configENS1_25transform_config_selectorI6__halfLb1EEEZNS1_14transform_implILb1ES3_S6_PKS5_PS5_NS0_8identityIS5_EEEE10hipError_tT2_T3_mT4_P12ihipStream_tbEUlT_E_NS1_11comp_targetILNS1_3genE8ELNS1_11target_archE1030ELNS1_3gpuE2ELNS1_3repE0EEENS1_30default_config_static_selectorELNS0_4arch9wavefront6targetE0EEEvT1_
    .private_segment_fixed_size: 0
    .sgpr_count:     0
    .sgpr_spill_count: 0
    .symbol:         _ZN7rocprim17ROCPRIM_400000_NS6detail17trampoline_kernelINS0_14default_configENS1_25transform_config_selectorI6__halfLb1EEEZNS1_14transform_implILb1ES3_S6_PKS5_PS5_NS0_8identityIS5_EEEE10hipError_tT2_T3_mT4_P12ihipStream_tbEUlT_E_NS1_11comp_targetILNS1_3genE8ELNS1_11target_archE1030ELNS1_3gpuE2ELNS1_3repE0EEENS1_30default_config_static_selectorELNS0_4arch9wavefront6targetE0EEEvT1_.kd
    .uniform_work_group_size: 1
    .uses_dynamic_stack: false
    .vgpr_count:     0
    .vgpr_spill_count: 0
    .wavefront_size: 32
  - .args:
      - .offset:         0
        .size:           88
        .value_kind:     by_value
      - .offset:         88
        .size:           4
        .value_kind:     hidden_block_count_x
      - .offset:         92
        .size:           4
        .value_kind:     hidden_block_count_y
      - .offset:         96
        .size:           4
        .value_kind:     hidden_block_count_z
      - .offset:         100
        .size:           2
        .value_kind:     hidden_group_size_x
      - .offset:         102
        .size:           2
        .value_kind:     hidden_group_size_y
      - .offset:         104
        .size:           2
        .value_kind:     hidden_group_size_z
      - .offset:         106
        .size:           2
        .value_kind:     hidden_remainder_x
      - .offset:         108
        .size:           2
        .value_kind:     hidden_remainder_y
      - .offset:         110
        .size:           2
        .value_kind:     hidden_remainder_z
      - .offset:         128
        .size:           8
        .value_kind:     hidden_global_offset_x
      - .offset:         136
        .size:           8
        .value_kind:     hidden_global_offset_y
      - .offset:         144
        .size:           8
        .value_kind:     hidden_global_offset_z
      - .offset:         152
        .size:           2
        .value_kind:     hidden_grid_dims
    .group_segment_fixed_size: 18504
    .kernarg_segment_align: 8
    .kernarg_segment_size: 344
    .language:       OpenCL C
    .language_version:
      - 2
      - 0
    .max_flat_workgroup_size: 512
    .name:           _ZN7rocprim17ROCPRIM_400000_NS6detail17trampoline_kernelINS0_14default_configENS1_35radix_sort_onesweep_config_selectorI6__halfNS0_10empty_typeEEEZZNS1_29radix_sort_onesweep_iterationIS3_Lb1EPKS5_PS5_PS6_SC_mNS0_19identity_decomposerENS1_16block_id_wrapperIjLb1EEEEE10hipError_tT1_PNSt15iterator_traitsISH_E10value_typeET2_T3_PNSI_ISN_E10value_typeET4_T5_PSS_ST_PNS1_23onesweep_lookback_stateEbbT6_jjT7_P12ihipStream_tbENKUlT_T0_SH_SM_E_clISA_SB_SC_SC_EEDaS10_S11_SH_SM_EUlS10_E_NS1_11comp_targetILNS1_3genE0ELNS1_11target_archE4294967295ELNS1_3gpuE0ELNS1_3repE0EEENS1_47radix_sort_onesweep_sort_config_static_selectorELNS0_4arch9wavefront6targetE0EEEvSH_
    .private_segment_fixed_size: 0
    .sgpr_count:     32
    .sgpr_spill_count: 0
    .symbol:         _ZN7rocprim17ROCPRIM_400000_NS6detail17trampoline_kernelINS0_14default_configENS1_35radix_sort_onesweep_config_selectorI6__halfNS0_10empty_typeEEEZZNS1_29radix_sort_onesweep_iterationIS3_Lb1EPKS5_PS5_PS6_SC_mNS0_19identity_decomposerENS1_16block_id_wrapperIjLb1EEEEE10hipError_tT1_PNSt15iterator_traitsISH_E10value_typeET2_T3_PNSI_ISN_E10value_typeET4_T5_PSS_ST_PNS1_23onesweep_lookback_stateEbbT6_jjT7_P12ihipStream_tbENKUlT_T0_SH_SM_E_clISA_SB_SC_SC_EEDaS10_S11_SH_SM_EUlS10_E_NS1_11comp_targetILNS1_3genE0ELNS1_11target_archE4294967295ELNS1_3gpuE0ELNS1_3repE0EEENS1_47radix_sort_onesweep_sort_config_static_selectorELNS0_4arch9wavefront6targetE0EEEvSH_.kd
    .uniform_work_group_size: 1
    .uses_dynamic_stack: false
    .vgpr_count:     65
    .vgpr_spill_count: 0
    .wavefront_size: 32
  - .args:
      - .offset:         0
        .size:           88
        .value_kind:     by_value
    .group_segment_fixed_size: 0
    .kernarg_segment_align: 8
    .kernarg_segment_size: 88
    .language:       OpenCL C
    .language_version:
      - 2
      - 0
    .max_flat_workgroup_size: 1024
    .name:           _ZN7rocprim17ROCPRIM_400000_NS6detail17trampoline_kernelINS0_14default_configENS1_35radix_sort_onesweep_config_selectorI6__halfNS0_10empty_typeEEEZZNS1_29radix_sort_onesweep_iterationIS3_Lb1EPKS5_PS5_PS6_SC_mNS0_19identity_decomposerENS1_16block_id_wrapperIjLb1EEEEE10hipError_tT1_PNSt15iterator_traitsISH_E10value_typeET2_T3_PNSI_ISN_E10value_typeET4_T5_PSS_ST_PNS1_23onesweep_lookback_stateEbbT6_jjT7_P12ihipStream_tbENKUlT_T0_SH_SM_E_clISA_SB_SC_SC_EEDaS10_S11_SH_SM_EUlS10_E_NS1_11comp_targetILNS1_3genE6ELNS1_11target_archE950ELNS1_3gpuE13ELNS1_3repE0EEENS1_47radix_sort_onesweep_sort_config_static_selectorELNS0_4arch9wavefront6targetE0EEEvSH_
    .private_segment_fixed_size: 0
    .sgpr_count:     0
    .sgpr_spill_count: 0
    .symbol:         _ZN7rocprim17ROCPRIM_400000_NS6detail17trampoline_kernelINS0_14default_configENS1_35radix_sort_onesweep_config_selectorI6__halfNS0_10empty_typeEEEZZNS1_29radix_sort_onesweep_iterationIS3_Lb1EPKS5_PS5_PS6_SC_mNS0_19identity_decomposerENS1_16block_id_wrapperIjLb1EEEEE10hipError_tT1_PNSt15iterator_traitsISH_E10value_typeET2_T3_PNSI_ISN_E10value_typeET4_T5_PSS_ST_PNS1_23onesweep_lookback_stateEbbT6_jjT7_P12ihipStream_tbENKUlT_T0_SH_SM_E_clISA_SB_SC_SC_EEDaS10_S11_SH_SM_EUlS10_E_NS1_11comp_targetILNS1_3genE6ELNS1_11target_archE950ELNS1_3gpuE13ELNS1_3repE0EEENS1_47radix_sort_onesweep_sort_config_static_selectorELNS0_4arch9wavefront6targetE0EEEvSH_.kd
    .uniform_work_group_size: 1
    .uses_dynamic_stack: false
    .vgpr_count:     0
    .vgpr_spill_count: 0
    .wavefront_size: 32
  - .args:
      - .offset:         0
        .size:           88
        .value_kind:     by_value
    .group_segment_fixed_size: 0
    .kernarg_segment_align: 8
    .kernarg_segment_size: 88
    .language:       OpenCL C
    .language_version:
      - 2
      - 0
    .max_flat_workgroup_size: 1024
    .name:           _ZN7rocprim17ROCPRIM_400000_NS6detail17trampoline_kernelINS0_14default_configENS1_35radix_sort_onesweep_config_selectorI6__halfNS0_10empty_typeEEEZZNS1_29radix_sort_onesweep_iterationIS3_Lb1EPKS5_PS5_PS6_SC_mNS0_19identity_decomposerENS1_16block_id_wrapperIjLb1EEEEE10hipError_tT1_PNSt15iterator_traitsISH_E10value_typeET2_T3_PNSI_ISN_E10value_typeET4_T5_PSS_ST_PNS1_23onesweep_lookback_stateEbbT6_jjT7_P12ihipStream_tbENKUlT_T0_SH_SM_E_clISA_SB_SC_SC_EEDaS10_S11_SH_SM_EUlS10_E_NS1_11comp_targetILNS1_3genE5ELNS1_11target_archE942ELNS1_3gpuE9ELNS1_3repE0EEENS1_47radix_sort_onesweep_sort_config_static_selectorELNS0_4arch9wavefront6targetE0EEEvSH_
    .private_segment_fixed_size: 0
    .sgpr_count:     0
    .sgpr_spill_count: 0
    .symbol:         _ZN7rocprim17ROCPRIM_400000_NS6detail17trampoline_kernelINS0_14default_configENS1_35radix_sort_onesweep_config_selectorI6__halfNS0_10empty_typeEEEZZNS1_29radix_sort_onesweep_iterationIS3_Lb1EPKS5_PS5_PS6_SC_mNS0_19identity_decomposerENS1_16block_id_wrapperIjLb1EEEEE10hipError_tT1_PNSt15iterator_traitsISH_E10value_typeET2_T3_PNSI_ISN_E10value_typeET4_T5_PSS_ST_PNS1_23onesweep_lookback_stateEbbT6_jjT7_P12ihipStream_tbENKUlT_T0_SH_SM_E_clISA_SB_SC_SC_EEDaS10_S11_SH_SM_EUlS10_E_NS1_11comp_targetILNS1_3genE5ELNS1_11target_archE942ELNS1_3gpuE9ELNS1_3repE0EEENS1_47radix_sort_onesweep_sort_config_static_selectorELNS0_4arch9wavefront6targetE0EEEvSH_.kd
    .uniform_work_group_size: 1
    .uses_dynamic_stack: false
    .vgpr_count:     0
    .vgpr_spill_count: 0
    .wavefront_size: 32
  - .args:
      - .offset:         0
        .size:           88
        .value_kind:     by_value
    .group_segment_fixed_size: 0
    .kernarg_segment_align: 8
    .kernarg_segment_size: 88
    .language:       OpenCL C
    .language_version:
      - 2
      - 0
    .max_flat_workgroup_size: 512
    .name:           _ZN7rocprim17ROCPRIM_400000_NS6detail17trampoline_kernelINS0_14default_configENS1_35radix_sort_onesweep_config_selectorI6__halfNS0_10empty_typeEEEZZNS1_29radix_sort_onesweep_iterationIS3_Lb1EPKS5_PS5_PS6_SC_mNS0_19identity_decomposerENS1_16block_id_wrapperIjLb1EEEEE10hipError_tT1_PNSt15iterator_traitsISH_E10value_typeET2_T3_PNSI_ISN_E10value_typeET4_T5_PSS_ST_PNS1_23onesweep_lookback_stateEbbT6_jjT7_P12ihipStream_tbENKUlT_T0_SH_SM_E_clISA_SB_SC_SC_EEDaS10_S11_SH_SM_EUlS10_E_NS1_11comp_targetILNS1_3genE2ELNS1_11target_archE906ELNS1_3gpuE6ELNS1_3repE0EEENS1_47radix_sort_onesweep_sort_config_static_selectorELNS0_4arch9wavefront6targetE0EEEvSH_
    .private_segment_fixed_size: 0
    .sgpr_count:     0
    .sgpr_spill_count: 0
    .symbol:         _ZN7rocprim17ROCPRIM_400000_NS6detail17trampoline_kernelINS0_14default_configENS1_35radix_sort_onesweep_config_selectorI6__halfNS0_10empty_typeEEEZZNS1_29radix_sort_onesweep_iterationIS3_Lb1EPKS5_PS5_PS6_SC_mNS0_19identity_decomposerENS1_16block_id_wrapperIjLb1EEEEE10hipError_tT1_PNSt15iterator_traitsISH_E10value_typeET2_T3_PNSI_ISN_E10value_typeET4_T5_PSS_ST_PNS1_23onesweep_lookback_stateEbbT6_jjT7_P12ihipStream_tbENKUlT_T0_SH_SM_E_clISA_SB_SC_SC_EEDaS10_S11_SH_SM_EUlS10_E_NS1_11comp_targetILNS1_3genE2ELNS1_11target_archE906ELNS1_3gpuE6ELNS1_3repE0EEENS1_47radix_sort_onesweep_sort_config_static_selectorELNS0_4arch9wavefront6targetE0EEEvSH_.kd
    .uniform_work_group_size: 1
    .uses_dynamic_stack: false
    .vgpr_count:     0
    .vgpr_spill_count: 0
    .wavefront_size: 32
  - .args:
      - .offset:         0
        .size:           88
        .value_kind:     by_value
    .group_segment_fixed_size: 0
    .kernarg_segment_align: 8
    .kernarg_segment_size: 88
    .language:       OpenCL C
    .language_version:
      - 2
      - 0
    .max_flat_workgroup_size: 1024
    .name:           _ZN7rocprim17ROCPRIM_400000_NS6detail17trampoline_kernelINS0_14default_configENS1_35radix_sort_onesweep_config_selectorI6__halfNS0_10empty_typeEEEZZNS1_29radix_sort_onesweep_iterationIS3_Lb1EPKS5_PS5_PS6_SC_mNS0_19identity_decomposerENS1_16block_id_wrapperIjLb1EEEEE10hipError_tT1_PNSt15iterator_traitsISH_E10value_typeET2_T3_PNSI_ISN_E10value_typeET4_T5_PSS_ST_PNS1_23onesweep_lookback_stateEbbT6_jjT7_P12ihipStream_tbENKUlT_T0_SH_SM_E_clISA_SB_SC_SC_EEDaS10_S11_SH_SM_EUlS10_E_NS1_11comp_targetILNS1_3genE4ELNS1_11target_archE910ELNS1_3gpuE8ELNS1_3repE0EEENS1_47radix_sort_onesweep_sort_config_static_selectorELNS0_4arch9wavefront6targetE0EEEvSH_
    .private_segment_fixed_size: 0
    .sgpr_count:     0
    .sgpr_spill_count: 0
    .symbol:         _ZN7rocprim17ROCPRIM_400000_NS6detail17trampoline_kernelINS0_14default_configENS1_35radix_sort_onesweep_config_selectorI6__halfNS0_10empty_typeEEEZZNS1_29radix_sort_onesweep_iterationIS3_Lb1EPKS5_PS5_PS6_SC_mNS0_19identity_decomposerENS1_16block_id_wrapperIjLb1EEEEE10hipError_tT1_PNSt15iterator_traitsISH_E10value_typeET2_T3_PNSI_ISN_E10value_typeET4_T5_PSS_ST_PNS1_23onesweep_lookback_stateEbbT6_jjT7_P12ihipStream_tbENKUlT_T0_SH_SM_E_clISA_SB_SC_SC_EEDaS10_S11_SH_SM_EUlS10_E_NS1_11comp_targetILNS1_3genE4ELNS1_11target_archE910ELNS1_3gpuE8ELNS1_3repE0EEENS1_47radix_sort_onesweep_sort_config_static_selectorELNS0_4arch9wavefront6targetE0EEEvSH_.kd
    .uniform_work_group_size: 1
    .uses_dynamic_stack: false
    .vgpr_count:     0
    .vgpr_spill_count: 0
    .wavefront_size: 32
  - .args:
      - .offset:         0
        .size:           88
        .value_kind:     by_value
    .group_segment_fixed_size: 0
    .kernarg_segment_align: 8
    .kernarg_segment_size: 88
    .language:       OpenCL C
    .language_version:
      - 2
      - 0
    .max_flat_workgroup_size: 512
    .name:           _ZN7rocprim17ROCPRIM_400000_NS6detail17trampoline_kernelINS0_14default_configENS1_35radix_sort_onesweep_config_selectorI6__halfNS0_10empty_typeEEEZZNS1_29radix_sort_onesweep_iterationIS3_Lb1EPKS5_PS5_PS6_SC_mNS0_19identity_decomposerENS1_16block_id_wrapperIjLb1EEEEE10hipError_tT1_PNSt15iterator_traitsISH_E10value_typeET2_T3_PNSI_ISN_E10value_typeET4_T5_PSS_ST_PNS1_23onesweep_lookback_stateEbbT6_jjT7_P12ihipStream_tbENKUlT_T0_SH_SM_E_clISA_SB_SC_SC_EEDaS10_S11_SH_SM_EUlS10_E_NS1_11comp_targetILNS1_3genE3ELNS1_11target_archE908ELNS1_3gpuE7ELNS1_3repE0EEENS1_47radix_sort_onesweep_sort_config_static_selectorELNS0_4arch9wavefront6targetE0EEEvSH_
    .private_segment_fixed_size: 0
    .sgpr_count:     0
    .sgpr_spill_count: 0
    .symbol:         _ZN7rocprim17ROCPRIM_400000_NS6detail17trampoline_kernelINS0_14default_configENS1_35radix_sort_onesweep_config_selectorI6__halfNS0_10empty_typeEEEZZNS1_29radix_sort_onesweep_iterationIS3_Lb1EPKS5_PS5_PS6_SC_mNS0_19identity_decomposerENS1_16block_id_wrapperIjLb1EEEEE10hipError_tT1_PNSt15iterator_traitsISH_E10value_typeET2_T3_PNSI_ISN_E10value_typeET4_T5_PSS_ST_PNS1_23onesweep_lookback_stateEbbT6_jjT7_P12ihipStream_tbENKUlT_T0_SH_SM_E_clISA_SB_SC_SC_EEDaS10_S11_SH_SM_EUlS10_E_NS1_11comp_targetILNS1_3genE3ELNS1_11target_archE908ELNS1_3gpuE7ELNS1_3repE0EEENS1_47radix_sort_onesweep_sort_config_static_selectorELNS0_4arch9wavefront6targetE0EEEvSH_.kd
    .uniform_work_group_size: 1
    .uses_dynamic_stack: false
    .vgpr_count:     0
    .vgpr_spill_count: 0
    .wavefront_size: 32
  - .args:
      - .offset:         0
        .size:           88
        .value_kind:     by_value
    .group_segment_fixed_size: 0
    .kernarg_segment_align: 8
    .kernarg_segment_size: 88
    .language:       OpenCL C
    .language_version:
      - 2
      - 0
    .max_flat_workgroup_size: 256
    .name:           _ZN7rocprim17ROCPRIM_400000_NS6detail17trampoline_kernelINS0_14default_configENS1_35radix_sort_onesweep_config_selectorI6__halfNS0_10empty_typeEEEZZNS1_29radix_sort_onesweep_iterationIS3_Lb1EPKS5_PS5_PS6_SC_mNS0_19identity_decomposerENS1_16block_id_wrapperIjLb1EEEEE10hipError_tT1_PNSt15iterator_traitsISH_E10value_typeET2_T3_PNSI_ISN_E10value_typeET4_T5_PSS_ST_PNS1_23onesweep_lookback_stateEbbT6_jjT7_P12ihipStream_tbENKUlT_T0_SH_SM_E_clISA_SB_SC_SC_EEDaS10_S11_SH_SM_EUlS10_E_NS1_11comp_targetILNS1_3genE10ELNS1_11target_archE1201ELNS1_3gpuE5ELNS1_3repE0EEENS1_47radix_sort_onesweep_sort_config_static_selectorELNS0_4arch9wavefront6targetE0EEEvSH_
    .private_segment_fixed_size: 0
    .sgpr_count:     0
    .sgpr_spill_count: 0
    .symbol:         _ZN7rocprim17ROCPRIM_400000_NS6detail17trampoline_kernelINS0_14default_configENS1_35radix_sort_onesweep_config_selectorI6__halfNS0_10empty_typeEEEZZNS1_29radix_sort_onesweep_iterationIS3_Lb1EPKS5_PS5_PS6_SC_mNS0_19identity_decomposerENS1_16block_id_wrapperIjLb1EEEEE10hipError_tT1_PNSt15iterator_traitsISH_E10value_typeET2_T3_PNSI_ISN_E10value_typeET4_T5_PSS_ST_PNS1_23onesweep_lookback_stateEbbT6_jjT7_P12ihipStream_tbENKUlT_T0_SH_SM_E_clISA_SB_SC_SC_EEDaS10_S11_SH_SM_EUlS10_E_NS1_11comp_targetILNS1_3genE10ELNS1_11target_archE1201ELNS1_3gpuE5ELNS1_3repE0EEENS1_47radix_sort_onesweep_sort_config_static_selectorELNS0_4arch9wavefront6targetE0EEEvSH_.kd
    .uniform_work_group_size: 1
    .uses_dynamic_stack: false
    .vgpr_count:     0
    .vgpr_spill_count: 0
    .wavefront_size: 32
  - .args:
      - .offset:         0
        .size:           88
        .value_kind:     by_value
    .group_segment_fixed_size: 0
    .kernarg_segment_align: 8
    .kernarg_segment_size: 88
    .language:       OpenCL C
    .language_version:
      - 2
      - 0
    .max_flat_workgroup_size: 256
    .name:           _ZN7rocprim17ROCPRIM_400000_NS6detail17trampoline_kernelINS0_14default_configENS1_35radix_sort_onesweep_config_selectorI6__halfNS0_10empty_typeEEEZZNS1_29radix_sort_onesweep_iterationIS3_Lb1EPKS5_PS5_PS6_SC_mNS0_19identity_decomposerENS1_16block_id_wrapperIjLb1EEEEE10hipError_tT1_PNSt15iterator_traitsISH_E10value_typeET2_T3_PNSI_ISN_E10value_typeET4_T5_PSS_ST_PNS1_23onesweep_lookback_stateEbbT6_jjT7_P12ihipStream_tbENKUlT_T0_SH_SM_E_clISA_SB_SC_SC_EEDaS10_S11_SH_SM_EUlS10_E_NS1_11comp_targetILNS1_3genE9ELNS1_11target_archE1100ELNS1_3gpuE3ELNS1_3repE0EEENS1_47radix_sort_onesweep_sort_config_static_selectorELNS0_4arch9wavefront6targetE0EEEvSH_
    .private_segment_fixed_size: 0
    .sgpr_count:     0
    .sgpr_spill_count: 0
    .symbol:         _ZN7rocprim17ROCPRIM_400000_NS6detail17trampoline_kernelINS0_14default_configENS1_35radix_sort_onesweep_config_selectorI6__halfNS0_10empty_typeEEEZZNS1_29radix_sort_onesweep_iterationIS3_Lb1EPKS5_PS5_PS6_SC_mNS0_19identity_decomposerENS1_16block_id_wrapperIjLb1EEEEE10hipError_tT1_PNSt15iterator_traitsISH_E10value_typeET2_T3_PNSI_ISN_E10value_typeET4_T5_PSS_ST_PNS1_23onesweep_lookback_stateEbbT6_jjT7_P12ihipStream_tbENKUlT_T0_SH_SM_E_clISA_SB_SC_SC_EEDaS10_S11_SH_SM_EUlS10_E_NS1_11comp_targetILNS1_3genE9ELNS1_11target_archE1100ELNS1_3gpuE3ELNS1_3repE0EEENS1_47radix_sort_onesweep_sort_config_static_selectorELNS0_4arch9wavefront6targetE0EEEvSH_.kd
    .uniform_work_group_size: 1
    .uses_dynamic_stack: false
    .vgpr_count:     0
    .vgpr_spill_count: 0
    .wavefront_size: 32
  - .args:
      - .offset:         0
        .size:           88
        .value_kind:     by_value
    .group_segment_fixed_size: 0
    .kernarg_segment_align: 8
    .kernarg_segment_size: 88
    .language:       OpenCL C
    .language_version:
      - 2
      - 0
    .max_flat_workgroup_size: 256
    .name:           _ZN7rocprim17ROCPRIM_400000_NS6detail17trampoline_kernelINS0_14default_configENS1_35radix_sort_onesweep_config_selectorI6__halfNS0_10empty_typeEEEZZNS1_29radix_sort_onesweep_iterationIS3_Lb1EPKS5_PS5_PS6_SC_mNS0_19identity_decomposerENS1_16block_id_wrapperIjLb1EEEEE10hipError_tT1_PNSt15iterator_traitsISH_E10value_typeET2_T3_PNSI_ISN_E10value_typeET4_T5_PSS_ST_PNS1_23onesweep_lookback_stateEbbT6_jjT7_P12ihipStream_tbENKUlT_T0_SH_SM_E_clISA_SB_SC_SC_EEDaS10_S11_SH_SM_EUlS10_E_NS1_11comp_targetILNS1_3genE8ELNS1_11target_archE1030ELNS1_3gpuE2ELNS1_3repE0EEENS1_47radix_sort_onesweep_sort_config_static_selectorELNS0_4arch9wavefront6targetE0EEEvSH_
    .private_segment_fixed_size: 0
    .sgpr_count:     0
    .sgpr_spill_count: 0
    .symbol:         _ZN7rocprim17ROCPRIM_400000_NS6detail17trampoline_kernelINS0_14default_configENS1_35radix_sort_onesweep_config_selectorI6__halfNS0_10empty_typeEEEZZNS1_29radix_sort_onesweep_iterationIS3_Lb1EPKS5_PS5_PS6_SC_mNS0_19identity_decomposerENS1_16block_id_wrapperIjLb1EEEEE10hipError_tT1_PNSt15iterator_traitsISH_E10value_typeET2_T3_PNSI_ISN_E10value_typeET4_T5_PSS_ST_PNS1_23onesweep_lookback_stateEbbT6_jjT7_P12ihipStream_tbENKUlT_T0_SH_SM_E_clISA_SB_SC_SC_EEDaS10_S11_SH_SM_EUlS10_E_NS1_11comp_targetILNS1_3genE8ELNS1_11target_archE1030ELNS1_3gpuE2ELNS1_3repE0EEENS1_47radix_sort_onesweep_sort_config_static_selectorELNS0_4arch9wavefront6targetE0EEEvSH_.kd
    .uniform_work_group_size: 1
    .uses_dynamic_stack: false
    .vgpr_count:     0
    .vgpr_spill_count: 0
    .wavefront_size: 32
  - .args:
      - .offset:         0
        .size:           88
        .value_kind:     by_value
      - .offset:         88
        .size:           4
        .value_kind:     hidden_block_count_x
      - .offset:         92
        .size:           4
        .value_kind:     hidden_block_count_y
      - .offset:         96
        .size:           4
        .value_kind:     hidden_block_count_z
      - .offset:         100
        .size:           2
        .value_kind:     hidden_group_size_x
      - .offset:         102
        .size:           2
        .value_kind:     hidden_group_size_y
      - .offset:         104
        .size:           2
        .value_kind:     hidden_group_size_z
      - .offset:         106
        .size:           2
        .value_kind:     hidden_remainder_x
      - .offset:         108
        .size:           2
        .value_kind:     hidden_remainder_y
      - .offset:         110
        .size:           2
        .value_kind:     hidden_remainder_z
      - .offset:         128
        .size:           8
        .value_kind:     hidden_global_offset_x
      - .offset:         136
        .size:           8
        .value_kind:     hidden_global_offset_y
      - .offset:         144
        .size:           8
        .value_kind:     hidden_global_offset_z
      - .offset:         152
        .size:           2
        .value_kind:     hidden_grid_dims
    .group_segment_fixed_size: 18504
    .kernarg_segment_align: 8
    .kernarg_segment_size: 344
    .language:       OpenCL C
    .language_version:
      - 2
      - 0
    .max_flat_workgroup_size: 512
    .name:           _ZN7rocprim17ROCPRIM_400000_NS6detail17trampoline_kernelINS0_14default_configENS1_35radix_sort_onesweep_config_selectorI6__halfNS0_10empty_typeEEEZZNS1_29radix_sort_onesweep_iterationIS3_Lb1EPKS5_PS5_PS6_SC_mNS0_19identity_decomposerENS1_16block_id_wrapperIjLb1EEEEE10hipError_tT1_PNSt15iterator_traitsISH_E10value_typeET2_T3_PNSI_ISN_E10value_typeET4_T5_PSS_ST_PNS1_23onesweep_lookback_stateEbbT6_jjT7_P12ihipStream_tbENKUlT_T0_SH_SM_E_clISB_SB_SC_SC_EEDaS10_S11_SH_SM_EUlS10_E_NS1_11comp_targetILNS1_3genE0ELNS1_11target_archE4294967295ELNS1_3gpuE0ELNS1_3repE0EEENS1_47radix_sort_onesweep_sort_config_static_selectorELNS0_4arch9wavefront6targetE0EEEvSH_
    .private_segment_fixed_size: 0
    .sgpr_count:     32
    .sgpr_spill_count: 0
    .symbol:         _ZN7rocprim17ROCPRIM_400000_NS6detail17trampoline_kernelINS0_14default_configENS1_35radix_sort_onesweep_config_selectorI6__halfNS0_10empty_typeEEEZZNS1_29radix_sort_onesweep_iterationIS3_Lb1EPKS5_PS5_PS6_SC_mNS0_19identity_decomposerENS1_16block_id_wrapperIjLb1EEEEE10hipError_tT1_PNSt15iterator_traitsISH_E10value_typeET2_T3_PNSI_ISN_E10value_typeET4_T5_PSS_ST_PNS1_23onesweep_lookback_stateEbbT6_jjT7_P12ihipStream_tbENKUlT_T0_SH_SM_E_clISB_SB_SC_SC_EEDaS10_S11_SH_SM_EUlS10_E_NS1_11comp_targetILNS1_3genE0ELNS1_11target_archE4294967295ELNS1_3gpuE0ELNS1_3repE0EEENS1_47radix_sort_onesweep_sort_config_static_selectorELNS0_4arch9wavefront6targetE0EEEvSH_.kd
    .uniform_work_group_size: 1
    .uses_dynamic_stack: false
    .vgpr_count:     65
    .vgpr_spill_count: 0
    .wavefront_size: 32
  - .args:
      - .offset:         0
        .size:           88
        .value_kind:     by_value
    .group_segment_fixed_size: 0
    .kernarg_segment_align: 8
    .kernarg_segment_size: 88
    .language:       OpenCL C
    .language_version:
      - 2
      - 0
    .max_flat_workgroup_size: 1024
    .name:           _ZN7rocprim17ROCPRIM_400000_NS6detail17trampoline_kernelINS0_14default_configENS1_35radix_sort_onesweep_config_selectorI6__halfNS0_10empty_typeEEEZZNS1_29radix_sort_onesweep_iterationIS3_Lb1EPKS5_PS5_PS6_SC_mNS0_19identity_decomposerENS1_16block_id_wrapperIjLb1EEEEE10hipError_tT1_PNSt15iterator_traitsISH_E10value_typeET2_T3_PNSI_ISN_E10value_typeET4_T5_PSS_ST_PNS1_23onesweep_lookback_stateEbbT6_jjT7_P12ihipStream_tbENKUlT_T0_SH_SM_E_clISB_SB_SC_SC_EEDaS10_S11_SH_SM_EUlS10_E_NS1_11comp_targetILNS1_3genE6ELNS1_11target_archE950ELNS1_3gpuE13ELNS1_3repE0EEENS1_47radix_sort_onesweep_sort_config_static_selectorELNS0_4arch9wavefront6targetE0EEEvSH_
    .private_segment_fixed_size: 0
    .sgpr_count:     0
    .sgpr_spill_count: 0
    .symbol:         _ZN7rocprim17ROCPRIM_400000_NS6detail17trampoline_kernelINS0_14default_configENS1_35radix_sort_onesweep_config_selectorI6__halfNS0_10empty_typeEEEZZNS1_29radix_sort_onesweep_iterationIS3_Lb1EPKS5_PS5_PS6_SC_mNS0_19identity_decomposerENS1_16block_id_wrapperIjLb1EEEEE10hipError_tT1_PNSt15iterator_traitsISH_E10value_typeET2_T3_PNSI_ISN_E10value_typeET4_T5_PSS_ST_PNS1_23onesweep_lookback_stateEbbT6_jjT7_P12ihipStream_tbENKUlT_T0_SH_SM_E_clISB_SB_SC_SC_EEDaS10_S11_SH_SM_EUlS10_E_NS1_11comp_targetILNS1_3genE6ELNS1_11target_archE950ELNS1_3gpuE13ELNS1_3repE0EEENS1_47radix_sort_onesweep_sort_config_static_selectorELNS0_4arch9wavefront6targetE0EEEvSH_.kd
    .uniform_work_group_size: 1
    .uses_dynamic_stack: false
    .vgpr_count:     0
    .vgpr_spill_count: 0
    .wavefront_size: 32
  - .args:
      - .offset:         0
        .size:           88
        .value_kind:     by_value
    .group_segment_fixed_size: 0
    .kernarg_segment_align: 8
    .kernarg_segment_size: 88
    .language:       OpenCL C
    .language_version:
      - 2
      - 0
    .max_flat_workgroup_size: 1024
    .name:           _ZN7rocprim17ROCPRIM_400000_NS6detail17trampoline_kernelINS0_14default_configENS1_35radix_sort_onesweep_config_selectorI6__halfNS0_10empty_typeEEEZZNS1_29radix_sort_onesweep_iterationIS3_Lb1EPKS5_PS5_PS6_SC_mNS0_19identity_decomposerENS1_16block_id_wrapperIjLb1EEEEE10hipError_tT1_PNSt15iterator_traitsISH_E10value_typeET2_T3_PNSI_ISN_E10value_typeET4_T5_PSS_ST_PNS1_23onesweep_lookback_stateEbbT6_jjT7_P12ihipStream_tbENKUlT_T0_SH_SM_E_clISB_SB_SC_SC_EEDaS10_S11_SH_SM_EUlS10_E_NS1_11comp_targetILNS1_3genE5ELNS1_11target_archE942ELNS1_3gpuE9ELNS1_3repE0EEENS1_47radix_sort_onesweep_sort_config_static_selectorELNS0_4arch9wavefront6targetE0EEEvSH_
    .private_segment_fixed_size: 0
    .sgpr_count:     0
    .sgpr_spill_count: 0
    .symbol:         _ZN7rocprim17ROCPRIM_400000_NS6detail17trampoline_kernelINS0_14default_configENS1_35radix_sort_onesweep_config_selectorI6__halfNS0_10empty_typeEEEZZNS1_29radix_sort_onesweep_iterationIS3_Lb1EPKS5_PS5_PS6_SC_mNS0_19identity_decomposerENS1_16block_id_wrapperIjLb1EEEEE10hipError_tT1_PNSt15iterator_traitsISH_E10value_typeET2_T3_PNSI_ISN_E10value_typeET4_T5_PSS_ST_PNS1_23onesweep_lookback_stateEbbT6_jjT7_P12ihipStream_tbENKUlT_T0_SH_SM_E_clISB_SB_SC_SC_EEDaS10_S11_SH_SM_EUlS10_E_NS1_11comp_targetILNS1_3genE5ELNS1_11target_archE942ELNS1_3gpuE9ELNS1_3repE0EEENS1_47radix_sort_onesweep_sort_config_static_selectorELNS0_4arch9wavefront6targetE0EEEvSH_.kd
    .uniform_work_group_size: 1
    .uses_dynamic_stack: false
    .vgpr_count:     0
    .vgpr_spill_count: 0
    .wavefront_size: 32
  - .args:
      - .offset:         0
        .size:           88
        .value_kind:     by_value
    .group_segment_fixed_size: 0
    .kernarg_segment_align: 8
    .kernarg_segment_size: 88
    .language:       OpenCL C
    .language_version:
      - 2
      - 0
    .max_flat_workgroup_size: 512
    .name:           _ZN7rocprim17ROCPRIM_400000_NS6detail17trampoline_kernelINS0_14default_configENS1_35radix_sort_onesweep_config_selectorI6__halfNS0_10empty_typeEEEZZNS1_29radix_sort_onesweep_iterationIS3_Lb1EPKS5_PS5_PS6_SC_mNS0_19identity_decomposerENS1_16block_id_wrapperIjLb1EEEEE10hipError_tT1_PNSt15iterator_traitsISH_E10value_typeET2_T3_PNSI_ISN_E10value_typeET4_T5_PSS_ST_PNS1_23onesweep_lookback_stateEbbT6_jjT7_P12ihipStream_tbENKUlT_T0_SH_SM_E_clISB_SB_SC_SC_EEDaS10_S11_SH_SM_EUlS10_E_NS1_11comp_targetILNS1_3genE2ELNS1_11target_archE906ELNS1_3gpuE6ELNS1_3repE0EEENS1_47radix_sort_onesweep_sort_config_static_selectorELNS0_4arch9wavefront6targetE0EEEvSH_
    .private_segment_fixed_size: 0
    .sgpr_count:     0
    .sgpr_spill_count: 0
    .symbol:         _ZN7rocprim17ROCPRIM_400000_NS6detail17trampoline_kernelINS0_14default_configENS1_35radix_sort_onesweep_config_selectorI6__halfNS0_10empty_typeEEEZZNS1_29radix_sort_onesweep_iterationIS3_Lb1EPKS5_PS5_PS6_SC_mNS0_19identity_decomposerENS1_16block_id_wrapperIjLb1EEEEE10hipError_tT1_PNSt15iterator_traitsISH_E10value_typeET2_T3_PNSI_ISN_E10value_typeET4_T5_PSS_ST_PNS1_23onesweep_lookback_stateEbbT6_jjT7_P12ihipStream_tbENKUlT_T0_SH_SM_E_clISB_SB_SC_SC_EEDaS10_S11_SH_SM_EUlS10_E_NS1_11comp_targetILNS1_3genE2ELNS1_11target_archE906ELNS1_3gpuE6ELNS1_3repE0EEENS1_47radix_sort_onesweep_sort_config_static_selectorELNS0_4arch9wavefront6targetE0EEEvSH_.kd
    .uniform_work_group_size: 1
    .uses_dynamic_stack: false
    .vgpr_count:     0
    .vgpr_spill_count: 0
    .wavefront_size: 32
  - .args:
      - .offset:         0
        .size:           88
        .value_kind:     by_value
    .group_segment_fixed_size: 0
    .kernarg_segment_align: 8
    .kernarg_segment_size: 88
    .language:       OpenCL C
    .language_version:
      - 2
      - 0
    .max_flat_workgroup_size: 1024
    .name:           _ZN7rocprim17ROCPRIM_400000_NS6detail17trampoline_kernelINS0_14default_configENS1_35radix_sort_onesweep_config_selectorI6__halfNS0_10empty_typeEEEZZNS1_29radix_sort_onesweep_iterationIS3_Lb1EPKS5_PS5_PS6_SC_mNS0_19identity_decomposerENS1_16block_id_wrapperIjLb1EEEEE10hipError_tT1_PNSt15iterator_traitsISH_E10value_typeET2_T3_PNSI_ISN_E10value_typeET4_T5_PSS_ST_PNS1_23onesweep_lookback_stateEbbT6_jjT7_P12ihipStream_tbENKUlT_T0_SH_SM_E_clISB_SB_SC_SC_EEDaS10_S11_SH_SM_EUlS10_E_NS1_11comp_targetILNS1_3genE4ELNS1_11target_archE910ELNS1_3gpuE8ELNS1_3repE0EEENS1_47radix_sort_onesweep_sort_config_static_selectorELNS0_4arch9wavefront6targetE0EEEvSH_
    .private_segment_fixed_size: 0
    .sgpr_count:     0
    .sgpr_spill_count: 0
    .symbol:         _ZN7rocprim17ROCPRIM_400000_NS6detail17trampoline_kernelINS0_14default_configENS1_35radix_sort_onesweep_config_selectorI6__halfNS0_10empty_typeEEEZZNS1_29radix_sort_onesweep_iterationIS3_Lb1EPKS5_PS5_PS6_SC_mNS0_19identity_decomposerENS1_16block_id_wrapperIjLb1EEEEE10hipError_tT1_PNSt15iterator_traitsISH_E10value_typeET2_T3_PNSI_ISN_E10value_typeET4_T5_PSS_ST_PNS1_23onesweep_lookback_stateEbbT6_jjT7_P12ihipStream_tbENKUlT_T0_SH_SM_E_clISB_SB_SC_SC_EEDaS10_S11_SH_SM_EUlS10_E_NS1_11comp_targetILNS1_3genE4ELNS1_11target_archE910ELNS1_3gpuE8ELNS1_3repE0EEENS1_47radix_sort_onesweep_sort_config_static_selectorELNS0_4arch9wavefront6targetE0EEEvSH_.kd
    .uniform_work_group_size: 1
    .uses_dynamic_stack: false
    .vgpr_count:     0
    .vgpr_spill_count: 0
    .wavefront_size: 32
  - .args:
      - .offset:         0
        .size:           88
        .value_kind:     by_value
    .group_segment_fixed_size: 0
    .kernarg_segment_align: 8
    .kernarg_segment_size: 88
    .language:       OpenCL C
    .language_version:
      - 2
      - 0
    .max_flat_workgroup_size: 512
    .name:           _ZN7rocprim17ROCPRIM_400000_NS6detail17trampoline_kernelINS0_14default_configENS1_35radix_sort_onesweep_config_selectorI6__halfNS0_10empty_typeEEEZZNS1_29radix_sort_onesweep_iterationIS3_Lb1EPKS5_PS5_PS6_SC_mNS0_19identity_decomposerENS1_16block_id_wrapperIjLb1EEEEE10hipError_tT1_PNSt15iterator_traitsISH_E10value_typeET2_T3_PNSI_ISN_E10value_typeET4_T5_PSS_ST_PNS1_23onesweep_lookback_stateEbbT6_jjT7_P12ihipStream_tbENKUlT_T0_SH_SM_E_clISB_SB_SC_SC_EEDaS10_S11_SH_SM_EUlS10_E_NS1_11comp_targetILNS1_3genE3ELNS1_11target_archE908ELNS1_3gpuE7ELNS1_3repE0EEENS1_47radix_sort_onesweep_sort_config_static_selectorELNS0_4arch9wavefront6targetE0EEEvSH_
    .private_segment_fixed_size: 0
    .sgpr_count:     0
    .sgpr_spill_count: 0
    .symbol:         _ZN7rocprim17ROCPRIM_400000_NS6detail17trampoline_kernelINS0_14default_configENS1_35radix_sort_onesweep_config_selectorI6__halfNS0_10empty_typeEEEZZNS1_29radix_sort_onesweep_iterationIS3_Lb1EPKS5_PS5_PS6_SC_mNS0_19identity_decomposerENS1_16block_id_wrapperIjLb1EEEEE10hipError_tT1_PNSt15iterator_traitsISH_E10value_typeET2_T3_PNSI_ISN_E10value_typeET4_T5_PSS_ST_PNS1_23onesweep_lookback_stateEbbT6_jjT7_P12ihipStream_tbENKUlT_T0_SH_SM_E_clISB_SB_SC_SC_EEDaS10_S11_SH_SM_EUlS10_E_NS1_11comp_targetILNS1_3genE3ELNS1_11target_archE908ELNS1_3gpuE7ELNS1_3repE0EEENS1_47radix_sort_onesweep_sort_config_static_selectorELNS0_4arch9wavefront6targetE0EEEvSH_.kd
    .uniform_work_group_size: 1
    .uses_dynamic_stack: false
    .vgpr_count:     0
    .vgpr_spill_count: 0
    .wavefront_size: 32
  - .args:
      - .offset:         0
        .size:           88
        .value_kind:     by_value
    .group_segment_fixed_size: 0
    .kernarg_segment_align: 8
    .kernarg_segment_size: 88
    .language:       OpenCL C
    .language_version:
      - 2
      - 0
    .max_flat_workgroup_size: 256
    .name:           _ZN7rocprim17ROCPRIM_400000_NS6detail17trampoline_kernelINS0_14default_configENS1_35radix_sort_onesweep_config_selectorI6__halfNS0_10empty_typeEEEZZNS1_29radix_sort_onesweep_iterationIS3_Lb1EPKS5_PS5_PS6_SC_mNS0_19identity_decomposerENS1_16block_id_wrapperIjLb1EEEEE10hipError_tT1_PNSt15iterator_traitsISH_E10value_typeET2_T3_PNSI_ISN_E10value_typeET4_T5_PSS_ST_PNS1_23onesweep_lookback_stateEbbT6_jjT7_P12ihipStream_tbENKUlT_T0_SH_SM_E_clISB_SB_SC_SC_EEDaS10_S11_SH_SM_EUlS10_E_NS1_11comp_targetILNS1_3genE10ELNS1_11target_archE1201ELNS1_3gpuE5ELNS1_3repE0EEENS1_47radix_sort_onesweep_sort_config_static_selectorELNS0_4arch9wavefront6targetE0EEEvSH_
    .private_segment_fixed_size: 0
    .sgpr_count:     0
    .sgpr_spill_count: 0
    .symbol:         _ZN7rocprim17ROCPRIM_400000_NS6detail17trampoline_kernelINS0_14default_configENS1_35radix_sort_onesweep_config_selectorI6__halfNS0_10empty_typeEEEZZNS1_29radix_sort_onesweep_iterationIS3_Lb1EPKS5_PS5_PS6_SC_mNS0_19identity_decomposerENS1_16block_id_wrapperIjLb1EEEEE10hipError_tT1_PNSt15iterator_traitsISH_E10value_typeET2_T3_PNSI_ISN_E10value_typeET4_T5_PSS_ST_PNS1_23onesweep_lookback_stateEbbT6_jjT7_P12ihipStream_tbENKUlT_T0_SH_SM_E_clISB_SB_SC_SC_EEDaS10_S11_SH_SM_EUlS10_E_NS1_11comp_targetILNS1_3genE10ELNS1_11target_archE1201ELNS1_3gpuE5ELNS1_3repE0EEENS1_47radix_sort_onesweep_sort_config_static_selectorELNS0_4arch9wavefront6targetE0EEEvSH_.kd
    .uniform_work_group_size: 1
    .uses_dynamic_stack: false
    .vgpr_count:     0
    .vgpr_spill_count: 0
    .wavefront_size: 32
  - .args:
      - .offset:         0
        .size:           88
        .value_kind:     by_value
    .group_segment_fixed_size: 0
    .kernarg_segment_align: 8
    .kernarg_segment_size: 88
    .language:       OpenCL C
    .language_version:
      - 2
      - 0
    .max_flat_workgroup_size: 256
    .name:           _ZN7rocprim17ROCPRIM_400000_NS6detail17trampoline_kernelINS0_14default_configENS1_35radix_sort_onesweep_config_selectorI6__halfNS0_10empty_typeEEEZZNS1_29radix_sort_onesweep_iterationIS3_Lb1EPKS5_PS5_PS6_SC_mNS0_19identity_decomposerENS1_16block_id_wrapperIjLb1EEEEE10hipError_tT1_PNSt15iterator_traitsISH_E10value_typeET2_T3_PNSI_ISN_E10value_typeET4_T5_PSS_ST_PNS1_23onesweep_lookback_stateEbbT6_jjT7_P12ihipStream_tbENKUlT_T0_SH_SM_E_clISB_SB_SC_SC_EEDaS10_S11_SH_SM_EUlS10_E_NS1_11comp_targetILNS1_3genE9ELNS1_11target_archE1100ELNS1_3gpuE3ELNS1_3repE0EEENS1_47radix_sort_onesweep_sort_config_static_selectorELNS0_4arch9wavefront6targetE0EEEvSH_
    .private_segment_fixed_size: 0
    .sgpr_count:     0
    .sgpr_spill_count: 0
    .symbol:         _ZN7rocprim17ROCPRIM_400000_NS6detail17trampoline_kernelINS0_14default_configENS1_35radix_sort_onesweep_config_selectorI6__halfNS0_10empty_typeEEEZZNS1_29radix_sort_onesweep_iterationIS3_Lb1EPKS5_PS5_PS6_SC_mNS0_19identity_decomposerENS1_16block_id_wrapperIjLb1EEEEE10hipError_tT1_PNSt15iterator_traitsISH_E10value_typeET2_T3_PNSI_ISN_E10value_typeET4_T5_PSS_ST_PNS1_23onesweep_lookback_stateEbbT6_jjT7_P12ihipStream_tbENKUlT_T0_SH_SM_E_clISB_SB_SC_SC_EEDaS10_S11_SH_SM_EUlS10_E_NS1_11comp_targetILNS1_3genE9ELNS1_11target_archE1100ELNS1_3gpuE3ELNS1_3repE0EEENS1_47radix_sort_onesweep_sort_config_static_selectorELNS0_4arch9wavefront6targetE0EEEvSH_.kd
    .uniform_work_group_size: 1
    .uses_dynamic_stack: false
    .vgpr_count:     0
    .vgpr_spill_count: 0
    .wavefront_size: 32
  - .args:
      - .offset:         0
        .size:           88
        .value_kind:     by_value
    .group_segment_fixed_size: 0
    .kernarg_segment_align: 8
    .kernarg_segment_size: 88
    .language:       OpenCL C
    .language_version:
      - 2
      - 0
    .max_flat_workgroup_size: 256
    .name:           _ZN7rocprim17ROCPRIM_400000_NS6detail17trampoline_kernelINS0_14default_configENS1_35radix_sort_onesweep_config_selectorI6__halfNS0_10empty_typeEEEZZNS1_29radix_sort_onesweep_iterationIS3_Lb1EPKS5_PS5_PS6_SC_mNS0_19identity_decomposerENS1_16block_id_wrapperIjLb1EEEEE10hipError_tT1_PNSt15iterator_traitsISH_E10value_typeET2_T3_PNSI_ISN_E10value_typeET4_T5_PSS_ST_PNS1_23onesweep_lookback_stateEbbT6_jjT7_P12ihipStream_tbENKUlT_T0_SH_SM_E_clISB_SB_SC_SC_EEDaS10_S11_SH_SM_EUlS10_E_NS1_11comp_targetILNS1_3genE8ELNS1_11target_archE1030ELNS1_3gpuE2ELNS1_3repE0EEENS1_47radix_sort_onesweep_sort_config_static_selectorELNS0_4arch9wavefront6targetE0EEEvSH_
    .private_segment_fixed_size: 0
    .sgpr_count:     0
    .sgpr_spill_count: 0
    .symbol:         _ZN7rocprim17ROCPRIM_400000_NS6detail17trampoline_kernelINS0_14default_configENS1_35radix_sort_onesweep_config_selectorI6__halfNS0_10empty_typeEEEZZNS1_29radix_sort_onesweep_iterationIS3_Lb1EPKS5_PS5_PS6_SC_mNS0_19identity_decomposerENS1_16block_id_wrapperIjLb1EEEEE10hipError_tT1_PNSt15iterator_traitsISH_E10value_typeET2_T3_PNSI_ISN_E10value_typeET4_T5_PSS_ST_PNS1_23onesweep_lookback_stateEbbT6_jjT7_P12ihipStream_tbENKUlT_T0_SH_SM_E_clISB_SB_SC_SC_EEDaS10_S11_SH_SM_EUlS10_E_NS1_11comp_targetILNS1_3genE8ELNS1_11target_archE1030ELNS1_3gpuE2ELNS1_3repE0EEENS1_47radix_sort_onesweep_sort_config_static_selectorELNS0_4arch9wavefront6targetE0EEEvSH_.kd
    .uniform_work_group_size: 1
    .uses_dynamic_stack: false
    .vgpr_count:     0
    .vgpr_spill_count: 0
    .wavefront_size: 32
  - .args:
      - .offset:         0
        .size:           88
        .value_kind:     by_value
      - .offset:         88
        .size:           4
        .value_kind:     hidden_block_count_x
      - .offset:         92
        .size:           4
        .value_kind:     hidden_block_count_y
      - .offset:         96
        .size:           4
        .value_kind:     hidden_block_count_z
      - .offset:         100
        .size:           2
        .value_kind:     hidden_group_size_x
      - .offset:         102
        .size:           2
        .value_kind:     hidden_group_size_y
      - .offset:         104
        .size:           2
        .value_kind:     hidden_group_size_z
      - .offset:         106
        .size:           2
        .value_kind:     hidden_remainder_x
      - .offset:         108
        .size:           2
        .value_kind:     hidden_remainder_y
      - .offset:         110
        .size:           2
        .value_kind:     hidden_remainder_z
      - .offset:         128
        .size:           8
        .value_kind:     hidden_global_offset_x
      - .offset:         136
        .size:           8
        .value_kind:     hidden_global_offset_y
      - .offset:         144
        .size:           8
        .value_kind:     hidden_global_offset_z
      - .offset:         152
        .size:           2
        .value_kind:     hidden_grid_dims
    .group_segment_fixed_size: 18504
    .kernarg_segment_align: 8
    .kernarg_segment_size: 344
    .language:       OpenCL C
    .language_version:
      - 2
      - 0
    .max_flat_workgroup_size: 512
    .name:           _ZN7rocprim17ROCPRIM_400000_NS6detail17trampoline_kernelINS0_14default_configENS1_35radix_sort_onesweep_config_selectorI6__halfNS0_10empty_typeEEEZZNS1_29radix_sort_onesweep_iterationIS3_Lb1EPKS5_PS5_PS6_SC_mNS0_19identity_decomposerENS1_16block_id_wrapperIjLb0EEEEE10hipError_tT1_PNSt15iterator_traitsISH_E10value_typeET2_T3_PNSI_ISN_E10value_typeET4_T5_PSS_ST_PNS1_23onesweep_lookback_stateEbbT6_jjT7_P12ihipStream_tbENKUlT_T0_SH_SM_E_clISA_SB_SC_SC_EEDaS10_S11_SH_SM_EUlS10_E_NS1_11comp_targetILNS1_3genE0ELNS1_11target_archE4294967295ELNS1_3gpuE0ELNS1_3repE0EEENS1_47radix_sort_onesweep_sort_config_static_selectorELNS0_4arch9wavefront6targetE0EEEvSH_
    .private_segment_fixed_size: 0
    .sgpr_count:     30
    .sgpr_spill_count: 0
    .symbol:         _ZN7rocprim17ROCPRIM_400000_NS6detail17trampoline_kernelINS0_14default_configENS1_35radix_sort_onesweep_config_selectorI6__halfNS0_10empty_typeEEEZZNS1_29radix_sort_onesweep_iterationIS3_Lb1EPKS5_PS5_PS6_SC_mNS0_19identity_decomposerENS1_16block_id_wrapperIjLb0EEEEE10hipError_tT1_PNSt15iterator_traitsISH_E10value_typeET2_T3_PNSI_ISN_E10value_typeET4_T5_PSS_ST_PNS1_23onesweep_lookback_stateEbbT6_jjT7_P12ihipStream_tbENKUlT_T0_SH_SM_E_clISA_SB_SC_SC_EEDaS10_S11_SH_SM_EUlS10_E_NS1_11comp_targetILNS1_3genE0ELNS1_11target_archE4294967295ELNS1_3gpuE0ELNS1_3repE0EEENS1_47radix_sort_onesweep_sort_config_static_selectorELNS0_4arch9wavefront6targetE0EEEvSH_.kd
    .uniform_work_group_size: 1
    .uses_dynamic_stack: false
    .vgpr_count:     65
    .vgpr_spill_count: 0
    .wavefront_size: 32
  - .args:
      - .offset:         0
        .size:           88
        .value_kind:     by_value
    .group_segment_fixed_size: 0
    .kernarg_segment_align: 8
    .kernarg_segment_size: 88
    .language:       OpenCL C
    .language_version:
      - 2
      - 0
    .max_flat_workgroup_size: 1024
    .name:           _ZN7rocprim17ROCPRIM_400000_NS6detail17trampoline_kernelINS0_14default_configENS1_35radix_sort_onesweep_config_selectorI6__halfNS0_10empty_typeEEEZZNS1_29radix_sort_onesweep_iterationIS3_Lb1EPKS5_PS5_PS6_SC_mNS0_19identity_decomposerENS1_16block_id_wrapperIjLb0EEEEE10hipError_tT1_PNSt15iterator_traitsISH_E10value_typeET2_T3_PNSI_ISN_E10value_typeET4_T5_PSS_ST_PNS1_23onesweep_lookback_stateEbbT6_jjT7_P12ihipStream_tbENKUlT_T0_SH_SM_E_clISA_SB_SC_SC_EEDaS10_S11_SH_SM_EUlS10_E_NS1_11comp_targetILNS1_3genE6ELNS1_11target_archE950ELNS1_3gpuE13ELNS1_3repE0EEENS1_47radix_sort_onesweep_sort_config_static_selectorELNS0_4arch9wavefront6targetE0EEEvSH_
    .private_segment_fixed_size: 0
    .sgpr_count:     0
    .sgpr_spill_count: 0
    .symbol:         _ZN7rocprim17ROCPRIM_400000_NS6detail17trampoline_kernelINS0_14default_configENS1_35radix_sort_onesweep_config_selectorI6__halfNS0_10empty_typeEEEZZNS1_29radix_sort_onesweep_iterationIS3_Lb1EPKS5_PS5_PS6_SC_mNS0_19identity_decomposerENS1_16block_id_wrapperIjLb0EEEEE10hipError_tT1_PNSt15iterator_traitsISH_E10value_typeET2_T3_PNSI_ISN_E10value_typeET4_T5_PSS_ST_PNS1_23onesweep_lookback_stateEbbT6_jjT7_P12ihipStream_tbENKUlT_T0_SH_SM_E_clISA_SB_SC_SC_EEDaS10_S11_SH_SM_EUlS10_E_NS1_11comp_targetILNS1_3genE6ELNS1_11target_archE950ELNS1_3gpuE13ELNS1_3repE0EEENS1_47radix_sort_onesweep_sort_config_static_selectorELNS0_4arch9wavefront6targetE0EEEvSH_.kd
    .uniform_work_group_size: 1
    .uses_dynamic_stack: false
    .vgpr_count:     0
    .vgpr_spill_count: 0
    .wavefront_size: 32
  - .args:
      - .offset:         0
        .size:           88
        .value_kind:     by_value
    .group_segment_fixed_size: 0
    .kernarg_segment_align: 8
    .kernarg_segment_size: 88
    .language:       OpenCL C
    .language_version:
      - 2
      - 0
    .max_flat_workgroup_size: 1024
    .name:           _ZN7rocprim17ROCPRIM_400000_NS6detail17trampoline_kernelINS0_14default_configENS1_35radix_sort_onesweep_config_selectorI6__halfNS0_10empty_typeEEEZZNS1_29radix_sort_onesweep_iterationIS3_Lb1EPKS5_PS5_PS6_SC_mNS0_19identity_decomposerENS1_16block_id_wrapperIjLb0EEEEE10hipError_tT1_PNSt15iterator_traitsISH_E10value_typeET2_T3_PNSI_ISN_E10value_typeET4_T5_PSS_ST_PNS1_23onesweep_lookback_stateEbbT6_jjT7_P12ihipStream_tbENKUlT_T0_SH_SM_E_clISA_SB_SC_SC_EEDaS10_S11_SH_SM_EUlS10_E_NS1_11comp_targetILNS1_3genE5ELNS1_11target_archE942ELNS1_3gpuE9ELNS1_3repE0EEENS1_47radix_sort_onesweep_sort_config_static_selectorELNS0_4arch9wavefront6targetE0EEEvSH_
    .private_segment_fixed_size: 0
    .sgpr_count:     0
    .sgpr_spill_count: 0
    .symbol:         _ZN7rocprim17ROCPRIM_400000_NS6detail17trampoline_kernelINS0_14default_configENS1_35radix_sort_onesweep_config_selectorI6__halfNS0_10empty_typeEEEZZNS1_29radix_sort_onesweep_iterationIS3_Lb1EPKS5_PS5_PS6_SC_mNS0_19identity_decomposerENS1_16block_id_wrapperIjLb0EEEEE10hipError_tT1_PNSt15iterator_traitsISH_E10value_typeET2_T3_PNSI_ISN_E10value_typeET4_T5_PSS_ST_PNS1_23onesweep_lookback_stateEbbT6_jjT7_P12ihipStream_tbENKUlT_T0_SH_SM_E_clISA_SB_SC_SC_EEDaS10_S11_SH_SM_EUlS10_E_NS1_11comp_targetILNS1_3genE5ELNS1_11target_archE942ELNS1_3gpuE9ELNS1_3repE0EEENS1_47radix_sort_onesweep_sort_config_static_selectorELNS0_4arch9wavefront6targetE0EEEvSH_.kd
    .uniform_work_group_size: 1
    .uses_dynamic_stack: false
    .vgpr_count:     0
    .vgpr_spill_count: 0
    .wavefront_size: 32
  - .args:
      - .offset:         0
        .size:           88
        .value_kind:     by_value
    .group_segment_fixed_size: 0
    .kernarg_segment_align: 8
    .kernarg_segment_size: 88
    .language:       OpenCL C
    .language_version:
      - 2
      - 0
    .max_flat_workgroup_size: 512
    .name:           _ZN7rocprim17ROCPRIM_400000_NS6detail17trampoline_kernelINS0_14default_configENS1_35radix_sort_onesweep_config_selectorI6__halfNS0_10empty_typeEEEZZNS1_29radix_sort_onesweep_iterationIS3_Lb1EPKS5_PS5_PS6_SC_mNS0_19identity_decomposerENS1_16block_id_wrapperIjLb0EEEEE10hipError_tT1_PNSt15iterator_traitsISH_E10value_typeET2_T3_PNSI_ISN_E10value_typeET4_T5_PSS_ST_PNS1_23onesweep_lookback_stateEbbT6_jjT7_P12ihipStream_tbENKUlT_T0_SH_SM_E_clISA_SB_SC_SC_EEDaS10_S11_SH_SM_EUlS10_E_NS1_11comp_targetILNS1_3genE2ELNS1_11target_archE906ELNS1_3gpuE6ELNS1_3repE0EEENS1_47radix_sort_onesweep_sort_config_static_selectorELNS0_4arch9wavefront6targetE0EEEvSH_
    .private_segment_fixed_size: 0
    .sgpr_count:     0
    .sgpr_spill_count: 0
    .symbol:         _ZN7rocprim17ROCPRIM_400000_NS6detail17trampoline_kernelINS0_14default_configENS1_35radix_sort_onesweep_config_selectorI6__halfNS0_10empty_typeEEEZZNS1_29radix_sort_onesweep_iterationIS3_Lb1EPKS5_PS5_PS6_SC_mNS0_19identity_decomposerENS1_16block_id_wrapperIjLb0EEEEE10hipError_tT1_PNSt15iterator_traitsISH_E10value_typeET2_T3_PNSI_ISN_E10value_typeET4_T5_PSS_ST_PNS1_23onesweep_lookback_stateEbbT6_jjT7_P12ihipStream_tbENKUlT_T0_SH_SM_E_clISA_SB_SC_SC_EEDaS10_S11_SH_SM_EUlS10_E_NS1_11comp_targetILNS1_3genE2ELNS1_11target_archE906ELNS1_3gpuE6ELNS1_3repE0EEENS1_47radix_sort_onesweep_sort_config_static_selectorELNS0_4arch9wavefront6targetE0EEEvSH_.kd
    .uniform_work_group_size: 1
    .uses_dynamic_stack: false
    .vgpr_count:     0
    .vgpr_spill_count: 0
    .wavefront_size: 32
  - .args:
      - .offset:         0
        .size:           88
        .value_kind:     by_value
    .group_segment_fixed_size: 0
    .kernarg_segment_align: 8
    .kernarg_segment_size: 88
    .language:       OpenCL C
    .language_version:
      - 2
      - 0
    .max_flat_workgroup_size: 1024
    .name:           _ZN7rocprim17ROCPRIM_400000_NS6detail17trampoline_kernelINS0_14default_configENS1_35radix_sort_onesweep_config_selectorI6__halfNS0_10empty_typeEEEZZNS1_29radix_sort_onesweep_iterationIS3_Lb1EPKS5_PS5_PS6_SC_mNS0_19identity_decomposerENS1_16block_id_wrapperIjLb0EEEEE10hipError_tT1_PNSt15iterator_traitsISH_E10value_typeET2_T3_PNSI_ISN_E10value_typeET4_T5_PSS_ST_PNS1_23onesweep_lookback_stateEbbT6_jjT7_P12ihipStream_tbENKUlT_T0_SH_SM_E_clISA_SB_SC_SC_EEDaS10_S11_SH_SM_EUlS10_E_NS1_11comp_targetILNS1_3genE4ELNS1_11target_archE910ELNS1_3gpuE8ELNS1_3repE0EEENS1_47radix_sort_onesweep_sort_config_static_selectorELNS0_4arch9wavefront6targetE0EEEvSH_
    .private_segment_fixed_size: 0
    .sgpr_count:     0
    .sgpr_spill_count: 0
    .symbol:         _ZN7rocprim17ROCPRIM_400000_NS6detail17trampoline_kernelINS0_14default_configENS1_35radix_sort_onesweep_config_selectorI6__halfNS0_10empty_typeEEEZZNS1_29radix_sort_onesweep_iterationIS3_Lb1EPKS5_PS5_PS6_SC_mNS0_19identity_decomposerENS1_16block_id_wrapperIjLb0EEEEE10hipError_tT1_PNSt15iterator_traitsISH_E10value_typeET2_T3_PNSI_ISN_E10value_typeET4_T5_PSS_ST_PNS1_23onesweep_lookback_stateEbbT6_jjT7_P12ihipStream_tbENKUlT_T0_SH_SM_E_clISA_SB_SC_SC_EEDaS10_S11_SH_SM_EUlS10_E_NS1_11comp_targetILNS1_3genE4ELNS1_11target_archE910ELNS1_3gpuE8ELNS1_3repE0EEENS1_47radix_sort_onesweep_sort_config_static_selectorELNS0_4arch9wavefront6targetE0EEEvSH_.kd
    .uniform_work_group_size: 1
    .uses_dynamic_stack: false
    .vgpr_count:     0
    .vgpr_spill_count: 0
    .wavefront_size: 32
  - .args:
      - .offset:         0
        .size:           88
        .value_kind:     by_value
    .group_segment_fixed_size: 0
    .kernarg_segment_align: 8
    .kernarg_segment_size: 88
    .language:       OpenCL C
    .language_version:
      - 2
      - 0
    .max_flat_workgroup_size: 512
    .name:           _ZN7rocprim17ROCPRIM_400000_NS6detail17trampoline_kernelINS0_14default_configENS1_35radix_sort_onesweep_config_selectorI6__halfNS0_10empty_typeEEEZZNS1_29radix_sort_onesweep_iterationIS3_Lb1EPKS5_PS5_PS6_SC_mNS0_19identity_decomposerENS1_16block_id_wrapperIjLb0EEEEE10hipError_tT1_PNSt15iterator_traitsISH_E10value_typeET2_T3_PNSI_ISN_E10value_typeET4_T5_PSS_ST_PNS1_23onesweep_lookback_stateEbbT6_jjT7_P12ihipStream_tbENKUlT_T0_SH_SM_E_clISA_SB_SC_SC_EEDaS10_S11_SH_SM_EUlS10_E_NS1_11comp_targetILNS1_3genE3ELNS1_11target_archE908ELNS1_3gpuE7ELNS1_3repE0EEENS1_47radix_sort_onesweep_sort_config_static_selectorELNS0_4arch9wavefront6targetE0EEEvSH_
    .private_segment_fixed_size: 0
    .sgpr_count:     0
    .sgpr_spill_count: 0
    .symbol:         _ZN7rocprim17ROCPRIM_400000_NS6detail17trampoline_kernelINS0_14default_configENS1_35radix_sort_onesweep_config_selectorI6__halfNS0_10empty_typeEEEZZNS1_29radix_sort_onesweep_iterationIS3_Lb1EPKS5_PS5_PS6_SC_mNS0_19identity_decomposerENS1_16block_id_wrapperIjLb0EEEEE10hipError_tT1_PNSt15iterator_traitsISH_E10value_typeET2_T3_PNSI_ISN_E10value_typeET4_T5_PSS_ST_PNS1_23onesweep_lookback_stateEbbT6_jjT7_P12ihipStream_tbENKUlT_T0_SH_SM_E_clISA_SB_SC_SC_EEDaS10_S11_SH_SM_EUlS10_E_NS1_11comp_targetILNS1_3genE3ELNS1_11target_archE908ELNS1_3gpuE7ELNS1_3repE0EEENS1_47radix_sort_onesweep_sort_config_static_selectorELNS0_4arch9wavefront6targetE0EEEvSH_.kd
    .uniform_work_group_size: 1
    .uses_dynamic_stack: false
    .vgpr_count:     0
    .vgpr_spill_count: 0
    .wavefront_size: 32
  - .args:
      - .offset:         0
        .size:           88
        .value_kind:     by_value
    .group_segment_fixed_size: 0
    .kernarg_segment_align: 8
    .kernarg_segment_size: 88
    .language:       OpenCL C
    .language_version:
      - 2
      - 0
    .max_flat_workgroup_size: 256
    .name:           _ZN7rocprim17ROCPRIM_400000_NS6detail17trampoline_kernelINS0_14default_configENS1_35radix_sort_onesweep_config_selectorI6__halfNS0_10empty_typeEEEZZNS1_29radix_sort_onesweep_iterationIS3_Lb1EPKS5_PS5_PS6_SC_mNS0_19identity_decomposerENS1_16block_id_wrapperIjLb0EEEEE10hipError_tT1_PNSt15iterator_traitsISH_E10value_typeET2_T3_PNSI_ISN_E10value_typeET4_T5_PSS_ST_PNS1_23onesweep_lookback_stateEbbT6_jjT7_P12ihipStream_tbENKUlT_T0_SH_SM_E_clISA_SB_SC_SC_EEDaS10_S11_SH_SM_EUlS10_E_NS1_11comp_targetILNS1_3genE10ELNS1_11target_archE1201ELNS1_3gpuE5ELNS1_3repE0EEENS1_47radix_sort_onesweep_sort_config_static_selectorELNS0_4arch9wavefront6targetE0EEEvSH_
    .private_segment_fixed_size: 0
    .sgpr_count:     0
    .sgpr_spill_count: 0
    .symbol:         _ZN7rocprim17ROCPRIM_400000_NS6detail17trampoline_kernelINS0_14default_configENS1_35radix_sort_onesweep_config_selectorI6__halfNS0_10empty_typeEEEZZNS1_29radix_sort_onesweep_iterationIS3_Lb1EPKS5_PS5_PS6_SC_mNS0_19identity_decomposerENS1_16block_id_wrapperIjLb0EEEEE10hipError_tT1_PNSt15iterator_traitsISH_E10value_typeET2_T3_PNSI_ISN_E10value_typeET4_T5_PSS_ST_PNS1_23onesweep_lookback_stateEbbT6_jjT7_P12ihipStream_tbENKUlT_T0_SH_SM_E_clISA_SB_SC_SC_EEDaS10_S11_SH_SM_EUlS10_E_NS1_11comp_targetILNS1_3genE10ELNS1_11target_archE1201ELNS1_3gpuE5ELNS1_3repE0EEENS1_47radix_sort_onesweep_sort_config_static_selectorELNS0_4arch9wavefront6targetE0EEEvSH_.kd
    .uniform_work_group_size: 1
    .uses_dynamic_stack: false
    .vgpr_count:     0
    .vgpr_spill_count: 0
    .wavefront_size: 32
  - .args:
      - .offset:         0
        .size:           88
        .value_kind:     by_value
    .group_segment_fixed_size: 0
    .kernarg_segment_align: 8
    .kernarg_segment_size: 88
    .language:       OpenCL C
    .language_version:
      - 2
      - 0
    .max_flat_workgroup_size: 256
    .name:           _ZN7rocprim17ROCPRIM_400000_NS6detail17trampoline_kernelINS0_14default_configENS1_35radix_sort_onesweep_config_selectorI6__halfNS0_10empty_typeEEEZZNS1_29radix_sort_onesweep_iterationIS3_Lb1EPKS5_PS5_PS6_SC_mNS0_19identity_decomposerENS1_16block_id_wrapperIjLb0EEEEE10hipError_tT1_PNSt15iterator_traitsISH_E10value_typeET2_T3_PNSI_ISN_E10value_typeET4_T5_PSS_ST_PNS1_23onesweep_lookback_stateEbbT6_jjT7_P12ihipStream_tbENKUlT_T0_SH_SM_E_clISA_SB_SC_SC_EEDaS10_S11_SH_SM_EUlS10_E_NS1_11comp_targetILNS1_3genE9ELNS1_11target_archE1100ELNS1_3gpuE3ELNS1_3repE0EEENS1_47radix_sort_onesweep_sort_config_static_selectorELNS0_4arch9wavefront6targetE0EEEvSH_
    .private_segment_fixed_size: 0
    .sgpr_count:     0
    .sgpr_spill_count: 0
    .symbol:         _ZN7rocprim17ROCPRIM_400000_NS6detail17trampoline_kernelINS0_14default_configENS1_35radix_sort_onesweep_config_selectorI6__halfNS0_10empty_typeEEEZZNS1_29radix_sort_onesweep_iterationIS3_Lb1EPKS5_PS5_PS6_SC_mNS0_19identity_decomposerENS1_16block_id_wrapperIjLb0EEEEE10hipError_tT1_PNSt15iterator_traitsISH_E10value_typeET2_T3_PNSI_ISN_E10value_typeET4_T5_PSS_ST_PNS1_23onesweep_lookback_stateEbbT6_jjT7_P12ihipStream_tbENKUlT_T0_SH_SM_E_clISA_SB_SC_SC_EEDaS10_S11_SH_SM_EUlS10_E_NS1_11comp_targetILNS1_3genE9ELNS1_11target_archE1100ELNS1_3gpuE3ELNS1_3repE0EEENS1_47radix_sort_onesweep_sort_config_static_selectorELNS0_4arch9wavefront6targetE0EEEvSH_.kd
    .uniform_work_group_size: 1
    .uses_dynamic_stack: false
    .vgpr_count:     0
    .vgpr_spill_count: 0
    .wavefront_size: 32
  - .args:
      - .offset:         0
        .size:           88
        .value_kind:     by_value
    .group_segment_fixed_size: 0
    .kernarg_segment_align: 8
    .kernarg_segment_size: 88
    .language:       OpenCL C
    .language_version:
      - 2
      - 0
    .max_flat_workgroup_size: 256
    .name:           _ZN7rocprim17ROCPRIM_400000_NS6detail17trampoline_kernelINS0_14default_configENS1_35radix_sort_onesweep_config_selectorI6__halfNS0_10empty_typeEEEZZNS1_29radix_sort_onesweep_iterationIS3_Lb1EPKS5_PS5_PS6_SC_mNS0_19identity_decomposerENS1_16block_id_wrapperIjLb0EEEEE10hipError_tT1_PNSt15iterator_traitsISH_E10value_typeET2_T3_PNSI_ISN_E10value_typeET4_T5_PSS_ST_PNS1_23onesweep_lookback_stateEbbT6_jjT7_P12ihipStream_tbENKUlT_T0_SH_SM_E_clISA_SB_SC_SC_EEDaS10_S11_SH_SM_EUlS10_E_NS1_11comp_targetILNS1_3genE8ELNS1_11target_archE1030ELNS1_3gpuE2ELNS1_3repE0EEENS1_47radix_sort_onesweep_sort_config_static_selectorELNS0_4arch9wavefront6targetE0EEEvSH_
    .private_segment_fixed_size: 0
    .sgpr_count:     0
    .sgpr_spill_count: 0
    .symbol:         _ZN7rocprim17ROCPRIM_400000_NS6detail17trampoline_kernelINS0_14default_configENS1_35radix_sort_onesweep_config_selectorI6__halfNS0_10empty_typeEEEZZNS1_29radix_sort_onesweep_iterationIS3_Lb1EPKS5_PS5_PS6_SC_mNS0_19identity_decomposerENS1_16block_id_wrapperIjLb0EEEEE10hipError_tT1_PNSt15iterator_traitsISH_E10value_typeET2_T3_PNSI_ISN_E10value_typeET4_T5_PSS_ST_PNS1_23onesweep_lookback_stateEbbT6_jjT7_P12ihipStream_tbENKUlT_T0_SH_SM_E_clISA_SB_SC_SC_EEDaS10_S11_SH_SM_EUlS10_E_NS1_11comp_targetILNS1_3genE8ELNS1_11target_archE1030ELNS1_3gpuE2ELNS1_3repE0EEENS1_47radix_sort_onesweep_sort_config_static_selectorELNS0_4arch9wavefront6targetE0EEEvSH_.kd
    .uniform_work_group_size: 1
    .uses_dynamic_stack: false
    .vgpr_count:     0
    .vgpr_spill_count: 0
    .wavefront_size: 32
  - .args:
      - .offset:         0
        .size:           88
        .value_kind:     by_value
      - .offset:         88
        .size:           4
        .value_kind:     hidden_block_count_x
      - .offset:         92
        .size:           4
        .value_kind:     hidden_block_count_y
      - .offset:         96
        .size:           4
        .value_kind:     hidden_block_count_z
      - .offset:         100
        .size:           2
        .value_kind:     hidden_group_size_x
      - .offset:         102
        .size:           2
        .value_kind:     hidden_group_size_y
      - .offset:         104
        .size:           2
        .value_kind:     hidden_group_size_z
      - .offset:         106
        .size:           2
        .value_kind:     hidden_remainder_x
      - .offset:         108
        .size:           2
        .value_kind:     hidden_remainder_y
      - .offset:         110
        .size:           2
        .value_kind:     hidden_remainder_z
      - .offset:         128
        .size:           8
        .value_kind:     hidden_global_offset_x
      - .offset:         136
        .size:           8
        .value_kind:     hidden_global_offset_y
      - .offset:         144
        .size:           8
        .value_kind:     hidden_global_offset_z
      - .offset:         152
        .size:           2
        .value_kind:     hidden_grid_dims
    .group_segment_fixed_size: 18504
    .kernarg_segment_align: 8
    .kernarg_segment_size: 344
    .language:       OpenCL C
    .language_version:
      - 2
      - 0
    .max_flat_workgroup_size: 512
    .name:           _ZN7rocprim17ROCPRIM_400000_NS6detail17trampoline_kernelINS0_14default_configENS1_35radix_sort_onesweep_config_selectorI6__halfNS0_10empty_typeEEEZZNS1_29radix_sort_onesweep_iterationIS3_Lb1EPKS5_PS5_PS6_SC_mNS0_19identity_decomposerENS1_16block_id_wrapperIjLb0EEEEE10hipError_tT1_PNSt15iterator_traitsISH_E10value_typeET2_T3_PNSI_ISN_E10value_typeET4_T5_PSS_ST_PNS1_23onesweep_lookback_stateEbbT6_jjT7_P12ihipStream_tbENKUlT_T0_SH_SM_E_clISB_SB_SC_SC_EEDaS10_S11_SH_SM_EUlS10_E_NS1_11comp_targetILNS1_3genE0ELNS1_11target_archE4294967295ELNS1_3gpuE0ELNS1_3repE0EEENS1_47radix_sort_onesweep_sort_config_static_selectorELNS0_4arch9wavefront6targetE0EEEvSH_
    .private_segment_fixed_size: 0
    .sgpr_count:     30
    .sgpr_spill_count: 0
    .symbol:         _ZN7rocprim17ROCPRIM_400000_NS6detail17trampoline_kernelINS0_14default_configENS1_35radix_sort_onesweep_config_selectorI6__halfNS0_10empty_typeEEEZZNS1_29radix_sort_onesweep_iterationIS3_Lb1EPKS5_PS5_PS6_SC_mNS0_19identity_decomposerENS1_16block_id_wrapperIjLb0EEEEE10hipError_tT1_PNSt15iterator_traitsISH_E10value_typeET2_T3_PNSI_ISN_E10value_typeET4_T5_PSS_ST_PNS1_23onesweep_lookback_stateEbbT6_jjT7_P12ihipStream_tbENKUlT_T0_SH_SM_E_clISB_SB_SC_SC_EEDaS10_S11_SH_SM_EUlS10_E_NS1_11comp_targetILNS1_3genE0ELNS1_11target_archE4294967295ELNS1_3gpuE0ELNS1_3repE0EEENS1_47radix_sort_onesweep_sort_config_static_selectorELNS0_4arch9wavefront6targetE0EEEvSH_.kd
    .uniform_work_group_size: 1
    .uses_dynamic_stack: false
    .vgpr_count:     65
    .vgpr_spill_count: 0
    .wavefront_size: 32
  - .args:
      - .offset:         0
        .size:           88
        .value_kind:     by_value
    .group_segment_fixed_size: 0
    .kernarg_segment_align: 8
    .kernarg_segment_size: 88
    .language:       OpenCL C
    .language_version:
      - 2
      - 0
    .max_flat_workgroup_size: 1024
    .name:           _ZN7rocprim17ROCPRIM_400000_NS6detail17trampoline_kernelINS0_14default_configENS1_35radix_sort_onesweep_config_selectorI6__halfNS0_10empty_typeEEEZZNS1_29radix_sort_onesweep_iterationIS3_Lb1EPKS5_PS5_PS6_SC_mNS0_19identity_decomposerENS1_16block_id_wrapperIjLb0EEEEE10hipError_tT1_PNSt15iterator_traitsISH_E10value_typeET2_T3_PNSI_ISN_E10value_typeET4_T5_PSS_ST_PNS1_23onesweep_lookback_stateEbbT6_jjT7_P12ihipStream_tbENKUlT_T0_SH_SM_E_clISB_SB_SC_SC_EEDaS10_S11_SH_SM_EUlS10_E_NS1_11comp_targetILNS1_3genE6ELNS1_11target_archE950ELNS1_3gpuE13ELNS1_3repE0EEENS1_47radix_sort_onesweep_sort_config_static_selectorELNS0_4arch9wavefront6targetE0EEEvSH_
    .private_segment_fixed_size: 0
    .sgpr_count:     0
    .sgpr_spill_count: 0
    .symbol:         _ZN7rocprim17ROCPRIM_400000_NS6detail17trampoline_kernelINS0_14default_configENS1_35radix_sort_onesweep_config_selectorI6__halfNS0_10empty_typeEEEZZNS1_29radix_sort_onesweep_iterationIS3_Lb1EPKS5_PS5_PS6_SC_mNS0_19identity_decomposerENS1_16block_id_wrapperIjLb0EEEEE10hipError_tT1_PNSt15iterator_traitsISH_E10value_typeET2_T3_PNSI_ISN_E10value_typeET4_T5_PSS_ST_PNS1_23onesweep_lookback_stateEbbT6_jjT7_P12ihipStream_tbENKUlT_T0_SH_SM_E_clISB_SB_SC_SC_EEDaS10_S11_SH_SM_EUlS10_E_NS1_11comp_targetILNS1_3genE6ELNS1_11target_archE950ELNS1_3gpuE13ELNS1_3repE0EEENS1_47radix_sort_onesweep_sort_config_static_selectorELNS0_4arch9wavefront6targetE0EEEvSH_.kd
    .uniform_work_group_size: 1
    .uses_dynamic_stack: false
    .vgpr_count:     0
    .vgpr_spill_count: 0
    .wavefront_size: 32
  - .args:
      - .offset:         0
        .size:           88
        .value_kind:     by_value
    .group_segment_fixed_size: 0
    .kernarg_segment_align: 8
    .kernarg_segment_size: 88
    .language:       OpenCL C
    .language_version:
      - 2
      - 0
    .max_flat_workgroup_size: 1024
    .name:           _ZN7rocprim17ROCPRIM_400000_NS6detail17trampoline_kernelINS0_14default_configENS1_35radix_sort_onesweep_config_selectorI6__halfNS0_10empty_typeEEEZZNS1_29radix_sort_onesweep_iterationIS3_Lb1EPKS5_PS5_PS6_SC_mNS0_19identity_decomposerENS1_16block_id_wrapperIjLb0EEEEE10hipError_tT1_PNSt15iterator_traitsISH_E10value_typeET2_T3_PNSI_ISN_E10value_typeET4_T5_PSS_ST_PNS1_23onesweep_lookback_stateEbbT6_jjT7_P12ihipStream_tbENKUlT_T0_SH_SM_E_clISB_SB_SC_SC_EEDaS10_S11_SH_SM_EUlS10_E_NS1_11comp_targetILNS1_3genE5ELNS1_11target_archE942ELNS1_3gpuE9ELNS1_3repE0EEENS1_47radix_sort_onesweep_sort_config_static_selectorELNS0_4arch9wavefront6targetE0EEEvSH_
    .private_segment_fixed_size: 0
    .sgpr_count:     0
    .sgpr_spill_count: 0
    .symbol:         _ZN7rocprim17ROCPRIM_400000_NS6detail17trampoline_kernelINS0_14default_configENS1_35radix_sort_onesweep_config_selectorI6__halfNS0_10empty_typeEEEZZNS1_29radix_sort_onesweep_iterationIS3_Lb1EPKS5_PS5_PS6_SC_mNS0_19identity_decomposerENS1_16block_id_wrapperIjLb0EEEEE10hipError_tT1_PNSt15iterator_traitsISH_E10value_typeET2_T3_PNSI_ISN_E10value_typeET4_T5_PSS_ST_PNS1_23onesweep_lookback_stateEbbT6_jjT7_P12ihipStream_tbENKUlT_T0_SH_SM_E_clISB_SB_SC_SC_EEDaS10_S11_SH_SM_EUlS10_E_NS1_11comp_targetILNS1_3genE5ELNS1_11target_archE942ELNS1_3gpuE9ELNS1_3repE0EEENS1_47radix_sort_onesweep_sort_config_static_selectorELNS0_4arch9wavefront6targetE0EEEvSH_.kd
    .uniform_work_group_size: 1
    .uses_dynamic_stack: false
    .vgpr_count:     0
    .vgpr_spill_count: 0
    .wavefront_size: 32
  - .args:
      - .offset:         0
        .size:           88
        .value_kind:     by_value
    .group_segment_fixed_size: 0
    .kernarg_segment_align: 8
    .kernarg_segment_size: 88
    .language:       OpenCL C
    .language_version:
      - 2
      - 0
    .max_flat_workgroup_size: 512
    .name:           _ZN7rocprim17ROCPRIM_400000_NS6detail17trampoline_kernelINS0_14default_configENS1_35radix_sort_onesweep_config_selectorI6__halfNS0_10empty_typeEEEZZNS1_29radix_sort_onesweep_iterationIS3_Lb1EPKS5_PS5_PS6_SC_mNS0_19identity_decomposerENS1_16block_id_wrapperIjLb0EEEEE10hipError_tT1_PNSt15iterator_traitsISH_E10value_typeET2_T3_PNSI_ISN_E10value_typeET4_T5_PSS_ST_PNS1_23onesweep_lookback_stateEbbT6_jjT7_P12ihipStream_tbENKUlT_T0_SH_SM_E_clISB_SB_SC_SC_EEDaS10_S11_SH_SM_EUlS10_E_NS1_11comp_targetILNS1_3genE2ELNS1_11target_archE906ELNS1_3gpuE6ELNS1_3repE0EEENS1_47radix_sort_onesweep_sort_config_static_selectorELNS0_4arch9wavefront6targetE0EEEvSH_
    .private_segment_fixed_size: 0
    .sgpr_count:     0
    .sgpr_spill_count: 0
    .symbol:         _ZN7rocprim17ROCPRIM_400000_NS6detail17trampoline_kernelINS0_14default_configENS1_35radix_sort_onesweep_config_selectorI6__halfNS0_10empty_typeEEEZZNS1_29radix_sort_onesweep_iterationIS3_Lb1EPKS5_PS5_PS6_SC_mNS0_19identity_decomposerENS1_16block_id_wrapperIjLb0EEEEE10hipError_tT1_PNSt15iterator_traitsISH_E10value_typeET2_T3_PNSI_ISN_E10value_typeET4_T5_PSS_ST_PNS1_23onesweep_lookback_stateEbbT6_jjT7_P12ihipStream_tbENKUlT_T0_SH_SM_E_clISB_SB_SC_SC_EEDaS10_S11_SH_SM_EUlS10_E_NS1_11comp_targetILNS1_3genE2ELNS1_11target_archE906ELNS1_3gpuE6ELNS1_3repE0EEENS1_47radix_sort_onesweep_sort_config_static_selectorELNS0_4arch9wavefront6targetE0EEEvSH_.kd
    .uniform_work_group_size: 1
    .uses_dynamic_stack: false
    .vgpr_count:     0
    .vgpr_spill_count: 0
    .wavefront_size: 32
  - .args:
      - .offset:         0
        .size:           88
        .value_kind:     by_value
    .group_segment_fixed_size: 0
    .kernarg_segment_align: 8
    .kernarg_segment_size: 88
    .language:       OpenCL C
    .language_version:
      - 2
      - 0
    .max_flat_workgroup_size: 1024
    .name:           _ZN7rocprim17ROCPRIM_400000_NS6detail17trampoline_kernelINS0_14default_configENS1_35radix_sort_onesweep_config_selectorI6__halfNS0_10empty_typeEEEZZNS1_29radix_sort_onesweep_iterationIS3_Lb1EPKS5_PS5_PS6_SC_mNS0_19identity_decomposerENS1_16block_id_wrapperIjLb0EEEEE10hipError_tT1_PNSt15iterator_traitsISH_E10value_typeET2_T3_PNSI_ISN_E10value_typeET4_T5_PSS_ST_PNS1_23onesweep_lookback_stateEbbT6_jjT7_P12ihipStream_tbENKUlT_T0_SH_SM_E_clISB_SB_SC_SC_EEDaS10_S11_SH_SM_EUlS10_E_NS1_11comp_targetILNS1_3genE4ELNS1_11target_archE910ELNS1_3gpuE8ELNS1_3repE0EEENS1_47radix_sort_onesweep_sort_config_static_selectorELNS0_4arch9wavefront6targetE0EEEvSH_
    .private_segment_fixed_size: 0
    .sgpr_count:     0
    .sgpr_spill_count: 0
    .symbol:         _ZN7rocprim17ROCPRIM_400000_NS6detail17trampoline_kernelINS0_14default_configENS1_35radix_sort_onesweep_config_selectorI6__halfNS0_10empty_typeEEEZZNS1_29radix_sort_onesweep_iterationIS3_Lb1EPKS5_PS5_PS6_SC_mNS0_19identity_decomposerENS1_16block_id_wrapperIjLb0EEEEE10hipError_tT1_PNSt15iterator_traitsISH_E10value_typeET2_T3_PNSI_ISN_E10value_typeET4_T5_PSS_ST_PNS1_23onesweep_lookback_stateEbbT6_jjT7_P12ihipStream_tbENKUlT_T0_SH_SM_E_clISB_SB_SC_SC_EEDaS10_S11_SH_SM_EUlS10_E_NS1_11comp_targetILNS1_3genE4ELNS1_11target_archE910ELNS1_3gpuE8ELNS1_3repE0EEENS1_47radix_sort_onesweep_sort_config_static_selectorELNS0_4arch9wavefront6targetE0EEEvSH_.kd
    .uniform_work_group_size: 1
    .uses_dynamic_stack: false
    .vgpr_count:     0
    .vgpr_spill_count: 0
    .wavefront_size: 32
  - .args:
      - .offset:         0
        .size:           88
        .value_kind:     by_value
    .group_segment_fixed_size: 0
    .kernarg_segment_align: 8
    .kernarg_segment_size: 88
    .language:       OpenCL C
    .language_version:
      - 2
      - 0
    .max_flat_workgroup_size: 512
    .name:           _ZN7rocprim17ROCPRIM_400000_NS6detail17trampoline_kernelINS0_14default_configENS1_35radix_sort_onesweep_config_selectorI6__halfNS0_10empty_typeEEEZZNS1_29radix_sort_onesweep_iterationIS3_Lb1EPKS5_PS5_PS6_SC_mNS0_19identity_decomposerENS1_16block_id_wrapperIjLb0EEEEE10hipError_tT1_PNSt15iterator_traitsISH_E10value_typeET2_T3_PNSI_ISN_E10value_typeET4_T5_PSS_ST_PNS1_23onesweep_lookback_stateEbbT6_jjT7_P12ihipStream_tbENKUlT_T0_SH_SM_E_clISB_SB_SC_SC_EEDaS10_S11_SH_SM_EUlS10_E_NS1_11comp_targetILNS1_3genE3ELNS1_11target_archE908ELNS1_3gpuE7ELNS1_3repE0EEENS1_47radix_sort_onesweep_sort_config_static_selectorELNS0_4arch9wavefront6targetE0EEEvSH_
    .private_segment_fixed_size: 0
    .sgpr_count:     0
    .sgpr_spill_count: 0
    .symbol:         _ZN7rocprim17ROCPRIM_400000_NS6detail17trampoline_kernelINS0_14default_configENS1_35radix_sort_onesweep_config_selectorI6__halfNS0_10empty_typeEEEZZNS1_29radix_sort_onesweep_iterationIS3_Lb1EPKS5_PS5_PS6_SC_mNS0_19identity_decomposerENS1_16block_id_wrapperIjLb0EEEEE10hipError_tT1_PNSt15iterator_traitsISH_E10value_typeET2_T3_PNSI_ISN_E10value_typeET4_T5_PSS_ST_PNS1_23onesweep_lookback_stateEbbT6_jjT7_P12ihipStream_tbENKUlT_T0_SH_SM_E_clISB_SB_SC_SC_EEDaS10_S11_SH_SM_EUlS10_E_NS1_11comp_targetILNS1_3genE3ELNS1_11target_archE908ELNS1_3gpuE7ELNS1_3repE0EEENS1_47radix_sort_onesweep_sort_config_static_selectorELNS0_4arch9wavefront6targetE0EEEvSH_.kd
    .uniform_work_group_size: 1
    .uses_dynamic_stack: false
    .vgpr_count:     0
    .vgpr_spill_count: 0
    .wavefront_size: 32
  - .args:
      - .offset:         0
        .size:           88
        .value_kind:     by_value
    .group_segment_fixed_size: 0
    .kernarg_segment_align: 8
    .kernarg_segment_size: 88
    .language:       OpenCL C
    .language_version:
      - 2
      - 0
    .max_flat_workgroup_size: 256
    .name:           _ZN7rocprim17ROCPRIM_400000_NS6detail17trampoline_kernelINS0_14default_configENS1_35radix_sort_onesweep_config_selectorI6__halfNS0_10empty_typeEEEZZNS1_29radix_sort_onesweep_iterationIS3_Lb1EPKS5_PS5_PS6_SC_mNS0_19identity_decomposerENS1_16block_id_wrapperIjLb0EEEEE10hipError_tT1_PNSt15iterator_traitsISH_E10value_typeET2_T3_PNSI_ISN_E10value_typeET4_T5_PSS_ST_PNS1_23onesweep_lookback_stateEbbT6_jjT7_P12ihipStream_tbENKUlT_T0_SH_SM_E_clISB_SB_SC_SC_EEDaS10_S11_SH_SM_EUlS10_E_NS1_11comp_targetILNS1_3genE10ELNS1_11target_archE1201ELNS1_3gpuE5ELNS1_3repE0EEENS1_47radix_sort_onesweep_sort_config_static_selectorELNS0_4arch9wavefront6targetE0EEEvSH_
    .private_segment_fixed_size: 0
    .sgpr_count:     0
    .sgpr_spill_count: 0
    .symbol:         _ZN7rocprim17ROCPRIM_400000_NS6detail17trampoline_kernelINS0_14default_configENS1_35radix_sort_onesweep_config_selectorI6__halfNS0_10empty_typeEEEZZNS1_29radix_sort_onesweep_iterationIS3_Lb1EPKS5_PS5_PS6_SC_mNS0_19identity_decomposerENS1_16block_id_wrapperIjLb0EEEEE10hipError_tT1_PNSt15iterator_traitsISH_E10value_typeET2_T3_PNSI_ISN_E10value_typeET4_T5_PSS_ST_PNS1_23onesweep_lookback_stateEbbT6_jjT7_P12ihipStream_tbENKUlT_T0_SH_SM_E_clISB_SB_SC_SC_EEDaS10_S11_SH_SM_EUlS10_E_NS1_11comp_targetILNS1_3genE10ELNS1_11target_archE1201ELNS1_3gpuE5ELNS1_3repE0EEENS1_47radix_sort_onesweep_sort_config_static_selectorELNS0_4arch9wavefront6targetE0EEEvSH_.kd
    .uniform_work_group_size: 1
    .uses_dynamic_stack: false
    .vgpr_count:     0
    .vgpr_spill_count: 0
    .wavefront_size: 32
  - .args:
      - .offset:         0
        .size:           88
        .value_kind:     by_value
    .group_segment_fixed_size: 0
    .kernarg_segment_align: 8
    .kernarg_segment_size: 88
    .language:       OpenCL C
    .language_version:
      - 2
      - 0
    .max_flat_workgroup_size: 256
    .name:           _ZN7rocprim17ROCPRIM_400000_NS6detail17trampoline_kernelINS0_14default_configENS1_35radix_sort_onesweep_config_selectorI6__halfNS0_10empty_typeEEEZZNS1_29radix_sort_onesweep_iterationIS3_Lb1EPKS5_PS5_PS6_SC_mNS0_19identity_decomposerENS1_16block_id_wrapperIjLb0EEEEE10hipError_tT1_PNSt15iterator_traitsISH_E10value_typeET2_T3_PNSI_ISN_E10value_typeET4_T5_PSS_ST_PNS1_23onesweep_lookback_stateEbbT6_jjT7_P12ihipStream_tbENKUlT_T0_SH_SM_E_clISB_SB_SC_SC_EEDaS10_S11_SH_SM_EUlS10_E_NS1_11comp_targetILNS1_3genE9ELNS1_11target_archE1100ELNS1_3gpuE3ELNS1_3repE0EEENS1_47radix_sort_onesweep_sort_config_static_selectorELNS0_4arch9wavefront6targetE0EEEvSH_
    .private_segment_fixed_size: 0
    .sgpr_count:     0
    .sgpr_spill_count: 0
    .symbol:         _ZN7rocprim17ROCPRIM_400000_NS6detail17trampoline_kernelINS0_14default_configENS1_35radix_sort_onesweep_config_selectorI6__halfNS0_10empty_typeEEEZZNS1_29radix_sort_onesweep_iterationIS3_Lb1EPKS5_PS5_PS6_SC_mNS0_19identity_decomposerENS1_16block_id_wrapperIjLb0EEEEE10hipError_tT1_PNSt15iterator_traitsISH_E10value_typeET2_T3_PNSI_ISN_E10value_typeET4_T5_PSS_ST_PNS1_23onesweep_lookback_stateEbbT6_jjT7_P12ihipStream_tbENKUlT_T0_SH_SM_E_clISB_SB_SC_SC_EEDaS10_S11_SH_SM_EUlS10_E_NS1_11comp_targetILNS1_3genE9ELNS1_11target_archE1100ELNS1_3gpuE3ELNS1_3repE0EEENS1_47radix_sort_onesweep_sort_config_static_selectorELNS0_4arch9wavefront6targetE0EEEvSH_.kd
    .uniform_work_group_size: 1
    .uses_dynamic_stack: false
    .vgpr_count:     0
    .vgpr_spill_count: 0
    .wavefront_size: 32
  - .args:
      - .offset:         0
        .size:           88
        .value_kind:     by_value
    .group_segment_fixed_size: 0
    .kernarg_segment_align: 8
    .kernarg_segment_size: 88
    .language:       OpenCL C
    .language_version:
      - 2
      - 0
    .max_flat_workgroup_size: 256
    .name:           _ZN7rocprim17ROCPRIM_400000_NS6detail17trampoline_kernelINS0_14default_configENS1_35radix_sort_onesweep_config_selectorI6__halfNS0_10empty_typeEEEZZNS1_29radix_sort_onesweep_iterationIS3_Lb1EPKS5_PS5_PS6_SC_mNS0_19identity_decomposerENS1_16block_id_wrapperIjLb0EEEEE10hipError_tT1_PNSt15iterator_traitsISH_E10value_typeET2_T3_PNSI_ISN_E10value_typeET4_T5_PSS_ST_PNS1_23onesweep_lookback_stateEbbT6_jjT7_P12ihipStream_tbENKUlT_T0_SH_SM_E_clISB_SB_SC_SC_EEDaS10_S11_SH_SM_EUlS10_E_NS1_11comp_targetILNS1_3genE8ELNS1_11target_archE1030ELNS1_3gpuE2ELNS1_3repE0EEENS1_47radix_sort_onesweep_sort_config_static_selectorELNS0_4arch9wavefront6targetE0EEEvSH_
    .private_segment_fixed_size: 0
    .sgpr_count:     0
    .sgpr_spill_count: 0
    .symbol:         _ZN7rocprim17ROCPRIM_400000_NS6detail17trampoline_kernelINS0_14default_configENS1_35radix_sort_onesweep_config_selectorI6__halfNS0_10empty_typeEEEZZNS1_29radix_sort_onesweep_iterationIS3_Lb1EPKS5_PS5_PS6_SC_mNS0_19identity_decomposerENS1_16block_id_wrapperIjLb0EEEEE10hipError_tT1_PNSt15iterator_traitsISH_E10value_typeET2_T3_PNSI_ISN_E10value_typeET4_T5_PSS_ST_PNS1_23onesweep_lookback_stateEbbT6_jjT7_P12ihipStream_tbENKUlT_T0_SH_SM_E_clISB_SB_SC_SC_EEDaS10_S11_SH_SM_EUlS10_E_NS1_11comp_targetILNS1_3genE8ELNS1_11target_archE1030ELNS1_3gpuE2ELNS1_3repE0EEENS1_47radix_sort_onesweep_sort_config_static_selectorELNS0_4arch9wavefront6targetE0EEEvSH_.kd
    .uniform_work_group_size: 1
    .uses_dynamic_stack: false
    .vgpr_count:     0
    .vgpr_spill_count: 0
    .wavefront_size: 32
  - .args:
      - .offset:         0
        .size:           48
        .value_kind:     by_value
      - .offset:         48
        .size:           4
        .value_kind:     hidden_block_count_x
      - .offset:         52
        .size:           4
        .value_kind:     hidden_block_count_y
      - .offset:         56
        .size:           4
        .value_kind:     hidden_block_count_z
      - .offset:         60
        .size:           2
        .value_kind:     hidden_group_size_x
      - .offset:         62
        .size:           2
        .value_kind:     hidden_group_size_y
      - .offset:         64
        .size:           2
        .value_kind:     hidden_group_size_z
      - .offset:         66
        .size:           2
        .value_kind:     hidden_remainder_x
      - .offset:         68
        .size:           2
        .value_kind:     hidden_remainder_y
      - .offset:         70
        .size:           2
        .value_kind:     hidden_remainder_z
      - .offset:         88
        .size:           8
        .value_kind:     hidden_global_offset_x
      - .offset:         96
        .size:           8
        .value_kind:     hidden_global_offset_y
      - .offset:         104
        .size:           8
        .value_kind:     hidden_global_offset_z
      - .offset:         112
        .size:           2
        .value_kind:     hidden_grid_dims
    .group_segment_fixed_size: 8224
    .kernarg_segment_align: 8
    .kernarg_segment_size: 304
    .language:       OpenCL C
    .language_version:
      - 2
      - 0
    .max_flat_workgroup_size: 256
    .name:           _ZN7rocprim17ROCPRIM_400000_NS6detail17trampoline_kernelINS0_13kernel_configILj256ELj4ELj4294967295EEENS1_37radix_sort_block_sort_config_selectorI6__halfNS0_10empty_typeEEEZNS1_21radix_sort_block_sortIS4_Lb0EPKS6_PS6_PS7_SD_NS0_19identity_decomposerEEE10hipError_tT1_T2_T3_T4_jRjT5_jjP12ihipStream_tbEUlT_E_NS1_11comp_targetILNS1_3genE0ELNS1_11target_archE4294967295ELNS1_3gpuE0ELNS1_3repE0EEENS1_44radix_sort_block_sort_config_static_selectorELNS0_4arch9wavefront6targetE0EEEvSG_
    .private_segment_fixed_size: 0
    .sgpr_count:     33
    .sgpr_spill_count: 0
    .symbol:         _ZN7rocprim17ROCPRIM_400000_NS6detail17trampoline_kernelINS0_13kernel_configILj256ELj4ELj4294967295EEENS1_37radix_sort_block_sort_config_selectorI6__halfNS0_10empty_typeEEEZNS1_21radix_sort_block_sortIS4_Lb0EPKS6_PS6_PS7_SD_NS0_19identity_decomposerEEE10hipError_tT1_T2_T3_T4_jRjT5_jjP12ihipStream_tbEUlT_E_NS1_11comp_targetILNS1_3genE0ELNS1_11target_archE4294967295ELNS1_3gpuE0ELNS1_3repE0EEENS1_44radix_sort_block_sort_config_static_selectorELNS0_4arch9wavefront6targetE0EEEvSG_.kd
    .uniform_work_group_size: 1
    .uses_dynamic_stack: false
    .vgpr_count:     38
    .vgpr_spill_count: 0
    .wavefront_size: 32
  - .args:
      - .offset:         0
        .size:           48
        .value_kind:     by_value
    .group_segment_fixed_size: 0
    .kernarg_segment_align: 8
    .kernarg_segment_size: 48
    .language:       OpenCL C
    .language_version:
      - 2
      - 0
    .max_flat_workgroup_size: 256
    .name:           _ZN7rocprim17ROCPRIM_400000_NS6detail17trampoline_kernelINS0_13kernel_configILj256ELj4ELj4294967295EEENS1_37radix_sort_block_sort_config_selectorI6__halfNS0_10empty_typeEEEZNS1_21radix_sort_block_sortIS4_Lb0EPKS6_PS6_PS7_SD_NS0_19identity_decomposerEEE10hipError_tT1_T2_T3_T4_jRjT5_jjP12ihipStream_tbEUlT_E_NS1_11comp_targetILNS1_3genE5ELNS1_11target_archE942ELNS1_3gpuE9ELNS1_3repE0EEENS1_44radix_sort_block_sort_config_static_selectorELNS0_4arch9wavefront6targetE0EEEvSG_
    .private_segment_fixed_size: 0
    .sgpr_count:     0
    .sgpr_spill_count: 0
    .symbol:         _ZN7rocprim17ROCPRIM_400000_NS6detail17trampoline_kernelINS0_13kernel_configILj256ELj4ELj4294967295EEENS1_37radix_sort_block_sort_config_selectorI6__halfNS0_10empty_typeEEEZNS1_21radix_sort_block_sortIS4_Lb0EPKS6_PS6_PS7_SD_NS0_19identity_decomposerEEE10hipError_tT1_T2_T3_T4_jRjT5_jjP12ihipStream_tbEUlT_E_NS1_11comp_targetILNS1_3genE5ELNS1_11target_archE942ELNS1_3gpuE9ELNS1_3repE0EEENS1_44radix_sort_block_sort_config_static_selectorELNS0_4arch9wavefront6targetE0EEEvSG_.kd
    .uniform_work_group_size: 1
    .uses_dynamic_stack: false
    .vgpr_count:     0
    .vgpr_spill_count: 0
    .wavefront_size: 32
  - .args:
      - .offset:         0
        .size:           48
        .value_kind:     by_value
    .group_segment_fixed_size: 0
    .kernarg_segment_align: 8
    .kernarg_segment_size: 48
    .language:       OpenCL C
    .language_version:
      - 2
      - 0
    .max_flat_workgroup_size: 256
    .name:           _ZN7rocprim17ROCPRIM_400000_NS6detail17trampoline_kernelINS0_13kernel_configILj256ELj4ELj4294967295EEENS1_37radix_sort_block_sort_config_selectorI6__halfNS0_10empty_typeEEEZNS1_21radix_sort_block_sortIS4_Lb0EPKS6_PS6_PS7_SD_NS0_19identity_decomposerEEE10hipError_tT1_T2_T3_T4_jRjT5_jjP12ihipStream_tbEUlT_E_NS1_11comp_targetILNS1_3genE4ELNS1_11target_archE910ELNS1_3gpuE8ELNS1_3repE0EEENS1_44radix_sort_block_sort_config_static_selectorELNS0_4arch9wavefront6targetE0EEEvSG_
    .private_segment_fixed_size: 0
    .sgpr_count:     0
    .sgpr_spill_count: 0
    .symbol:         _ZN7rocprim17ROCPRIM_400000_NS6detail17trampoline_kernelINS0_13kernel_configILj256ELj4ELj4294967295EEENS1_37radix_sort_block_sort_config_selectorI6__halfNS0_10empty_typeEEEZNS1_21radix_sort_block_sortIS4_Lb0EPKS6_PS6_PS7_SD_NS0_19identity_decomposerEEE10hipError_tT1_T2_T3_T4_jRjT5_jjP12ihipStream_tbEUlT_E_NS1_11comp_targetILNS1_3genE4ELNS1_11target_archE910ELNS1_3gpuE8ELNS1_3repE0EEENS1_44radix_sort_block_sort_config_static_selectorELNS0_4arch9wavefront6targetE0EEEvSG_.kd
    .uniform_work_group_size: 1
    .uses_dynamic_stack: false
    .vgpr_count:     0
    .vgpr_spill_count: 0
    .wavefront_size: 32
  - .args:
      - .offset:         0
        .size:           48
        .value_kind:     by_value
    .group_segment_fixed_size: 0
    .kernarg_segment_align: 8
    .kernarg_segment_size: 48
    .language:       OpenCL C
    .language_version:
      - 2
      - 0
    .max_flat_workgroup_size: 256
    .name:           _ZN7rocprim17ROCPRIM_400000_NS6detail17trampoline_kernelINS0_13kernel_configILj256ELj4ELj4294967295EEENS1_37radix_sort_block_sort_config_selectorI6__halfNS0_10empty_typeEEEZNS1_21radix_sort_block_sortIS4_Lb0EPKS6_PS6_PS7_SD_NS0_19identity_decomposerEEE10hipError_tT1_T2_T3_T4_jRjT5_jjP12ihipStream_tbEUlT_E_NS1_11comp_targetILNS1_3genE3ELNS1_11target_archE908ELNS1_3gpuE7ELNS1_3repE0EEENS1_44radix_sort_block_sort_config_static_selectorELNS0_4arch9wavefront6targetE0EEEvSG_
    .private_segment_fixed_size: 0
    .sgpr_count:     0
    .sgpr_spill_count: 0
    .symbol:         _ZN7rocprim17ROCPRIM_400000_NS6detail17trampoline_kernelINS0_13kernel_configILj256ELj4ELj4294967295EEENS1_37radix_sort_block_sort_config_selectorI6__halfNS0_10empty_typeEEEZNS1_21radix_sort_block_sortIS4_Lb0EPKS6_PS6_PS7_SD_NS0_19identity_decomposerEEE10hipError_tT1_T2_T3_T4_jRjT5_jjP12ihipStream_tbEUlT_E_NS1_11comp_targetILNS1_3genE3ELNS1_11target_archE908ELNS1_3gpuE7ELNS1_3repE0EEENS1_44radix_sort_block_sort_config_static_selectorELNS0_4arch9wavefront6targetE0EEEvSG_.kd
    .uniform_work_group_size: 1
    .uses_dynamic_stack: false
    .vgpr_count:     0
    .vgpr_spill_count: 0
    .wavefront_size: 32
  - .args:
      - .offset:         0
        .size:           48
        .value_kind:     by_value
    .group_segment_fixed_size: 0
    .kernarg_segment_align: 8
    .kernarg_segment_size: 48
    .language:       OpenCL C
    .language_version:
      - 2
      - 0
    .max_flat_workgroup_size: 256
    .name:           _ZN7rocprim17ROCPRIM_400000_NS6detail17trampoline_kernelINS0_13kernel_configILj256ELj4ELj4294967295EEENS1_37radix_sort_block_sort_config_selectorI6__halfNS0_10empty_typeEEEZNS1_21radix_sort_block_sortIS4_Lb0EPKS6_PS6_PS7_SD_NS0_19identity_decomposerEEE10hipError_tT1_T2_T3_T4_jRjT5_jjP12ihipStream_tbEUlT_E_NS1_11comp_targetILNS1_3genE2ELNS1_11target_archE906ELNS1_3gpuE6ELNS1_3repE0EEENS1_44radix_sort_block_sort_config_static_selectorELNS0_4arch9wavefront6targetE0EEEvSG_
    .private_segment_fixed_size: 0
    .sgpr_count:     0
    .sgpr_spill_count: 0
    .symbol:         _ZN7rocprim17ROCPRIM_400000_NS6detail17trampoline_kernelINS0_13kernel_configILj256ELj4ELj4294967295EEENS1_37radix_sort_block_sort_config_selectorI6__halfNS0_10empty_typeEEEZNS1_21radix_sort_block_sortIS4_Lb0EPKS6_PS6_PS7_SD_NS0_19identity_decomposerEEE10hipError_tT1_T2_T3_T4_jRjT5_jjP12ihipStream_tbEUlT_E_NS1_11comp_targetILNS1_3genE2ELNS1_11target_archE906ELNS1_3gpuE6ELNS1_3repE0EEENS1_44radix_sort_block_sort_config_static_selectorELNS0_4arch9wavefront6targetE0EEEvSG_.kd
    .uniform_work_group_size: 1
    .uses_dynamic_stack: false
    .vgpr_count:     0
    .vgpr_spill_count: 0
    .wavefront_size: 32
  - .args:
      - .offset:         0
        .size:           48
        .value_kind:     by_value
    .group_segment_fixed_size: 0
    .kernarg_segment_align: 8
    .kernarg_segment_size: 48
    .language:       OpenCL C
    .language_version:
      - 2
      - 0
    .max_flat_workgroup_size: 256
    .name:           _ZN7rocprim17ROCPRIM_400000_NS6detail17trampoline_kernelINS0_13kernel_configILj256ELj4ELj4294967295EEENS1_37radix_sort_block_sort_config_selectorI6__halfNS0_10empty_typeEEEZNS1_21radix_sort_block_sortIS4_Lb0EPKS6_PS6_PS7_SD_NS0_19identity_decomposerEEE10hipError_tT1_T2_T3_T4_jRjT5_jjP12ihipStream_tbEUlT_E_NS1_11comp_targetILNS1_3genE10ELNS1_11target_archE1201ELNS1_3gpuE5ELNS1_3repE0EEENS1_44radix_sort_block_sort_config_static_selectorELNS0_4arch9wavefront6targetE0EEEvSG_
    .private_segment_fixed_size: 0
    .sgpr_count:     0
    .sgpr_spill_count: 0
    .symbol:         _ZN7rocprim17ROCPRIM_400000_NS6detail17trampoline_kernelINS0_13kernel_configILj256ELj4ELj4294967295EEENS1_37radix_sort_block_sort_config_selectorI6__halfNS0_10empty_typeEEEZNS1_21radix_sort_block_sortIS4_Lb0EPKS6_PS6_PS7_SD_NS0_19identity_decomposerEEE10hipError_tT1_T2_T3_T4_jRjT5_jjP12ihipStream_tbEUlT_E_NS1_11comp_targetILNS1_3genE10ELNS1_11target_archE1201ELNS1_3gpuE5ELNS1_3repE0EEENS1_44radix_sort_block_sort_config_static_selectorELNS0_4arch9wavefront6targetE0EEEvSG_.kd
    .uniform_work_group_size: 1
    .uses_dynamic_stack: false
    .vgpr_count:     0
    .vgpr_spill_count: 0
    .wavefront_size: 32
  - .args:
      - .offset:         0
        .size:           48
        .value_kind:     by_value
    .group_segment_fixed_size: 0
    .kernarg_segment_align: 8
    .kernarg_segment_size: 48
    .language:       OpenCL C
    .language_version:
      - 2
      - 0
    .max_flat_workgroup_size: 256
    .name:           _ZN7rocprim17ROCPRIM_400000_NS6detail17trampoline_kernelINS0_13kernel_configILj256ELj4ELj4294967295EEENS1_37radix_sort_block_sort_config_selectorI6__halfNS0_10empty_typeEEEZNS1_21radix_sort_block_sortIS4_Lb0EPKS6_PS6_PS7_SD_NS0_19identity_decomposerEEE10hipError_tT1_T2_T3_T4_jRjT5_jjP12ihipStream_tbEUlT_E_NS1_11comp_targetILNS1_3genE10ELNS1_11target_archE1200ELNS1_3gpuE4ELNS1_3repE0EEENS1_44radix_sort_block_sort_config_static_selectorELNS0_4arch9wavefront6targetE0EEEvSG_
    .private_segment_fixed_size: 0
    .sgpr_count:     0
    .sgpr_spill_count: 0
    .symbol:         _ZN7rocprim17ROCPRIM_400000_NS6detail17trampoline_kernelINS0_13kernel_configILj256ELj4ELj4294967295EEENS1_37radix_sort_block_sort_config_selectorI6__halfNS0_10empty_typeEEEZNS1_21radix_sort_block_sortIS4_Lb0EPKS6_PS6_PS7_SD_NS0_19identity_decomposerEEE10hipError_tT1_T2_T3_T4_jRjT5_jjP12ihipStream_tbEUlT_E_NS1_11comp_targetILNS1_3genE10ELNS1_11target_archE1200ELNS1_3gpuE4ELNS1_3repE0EEENS1_44radix_sort_block_sort_config_static_selectorELNS0_4arch9wavefront6targetE0EEEvSG_.kd
    .uniform_work_group_size: 1
    .uses_dynamic_stack: false
    .vgpr_count:     0
    .vgpr_spill_count: 0
    .wavefront_size: 32
  - .args:
      - .offset:         0
        .size:           48
        .value_kind:     by_value
    .group_segment_fixed_size: 0
    .kernarg_segment_align: 8
    .kernarg_segment_size: 48
    .language:       OpenCL C
    .language_version:
      - 2
      - 0
    .max_flat_workgroup_size: 256
    .name:           _ZN7rocprim17ROCPRIM_400000_NS6detail17trampoline_kernelINS0_13kernel_configILj256ELj4ELj4294967295EEENS1_37radix_sort_block_sort_config_selectorI6__halfNS0_10empty_typeEEEZNS1_21radix_sort_block_sortIS4_Lb0EPKS6_PS6_PS7_SD_NS0_19identity_decomposerEEE10hipError_tT1_T2_T3_T4_jRjT5_jjP12ihipStream_tbEUlT_E_NS1_11comp_targetILNS1_3genE9ELNS1_11target_archE1100ELNS1_3gpuE3ELNS1_3repE0EEENS1_44radix_sort_block_sort_config_static_selectorELNS0_4arch9wavefront6targetE0EEEvSG_
    .private_segment_fixed_size: 0
    .sgpr_count:     0
    .sgpr_spill_count: 0
    .symbol:         _ZN7rocprim17ROCPRIM_400000_NS6detail17trampoline_kernelINS0_13kernel_configILj256ELj4ELj4294967295EEENS1_37radix_sort_block_sort_config_selectorI6__halfNS0_10empty_typeEEEZNS1_21radix_sort_block_sortIS4_Lb0EPKS6_PS6_PS7_SD_NS0_19identity_decomposerEEE10hipError_tT1_T2_T3_T4_jRjT5_jjP12ihipStream_tbEUlT_E_NS1_11comp_targetILNS1_3genE9ELNS1_11target_archE1100ELNS1_3gpuE3ELNS1_3repE0EEENS1_44radix_sort_block_sort_config_static_selectorELNS0_4arch9wavefront6targetE0EEEvSG_.kd
    .uniform_work_group_size: 1
    .uses_dynamic_stack: false
    .vgpr_count:     0
    .vgpr_spill_count: 0
    .wavefront_size: 32
  - .args:
      - .offset:         0
        .size:           48
        .value_kind:     by_value
    .group_segment_fixed_size: 0
    .kernarg_segment_align: 8
    .kernarg_segment_size: 48
    .language:       OpenCL C
    .language_version:
      - 2
      - 0
    .max_flat_workgroup_size: 256
    .name:           _ZN7rocprim17ROCPRIM_400000_NS6detail17trampoline_kernelINS0_13kernel_configILj256ELj4ELj4294967295EEENS1_37radix_sort_block_sort_config_selectorI6__halfNS0_10empty_typeEEEZNS1_21radix_sort_block_sortIS4_Lb0EPKS6_PS6_PS7_SD_NS0_19identity_decomposerEEE10hipError_tT1_T2_T3_T4_jRjT5_jjP12ihipStream_tbEUlT_E_NS1_11comp_targetILNS1_3genE8ELNS1_11target_archE1030ELNS1_3gpuE2ELNS1_3repE0EEENS1_44radix_sort_block_sort_config_static_selectorELNS0_4arch9wavefront6targetE0EEEvSG_
    .private_segment_fixed_size: 0
    .sgpr_count:     0
    .sgpr_spill_count: 0
    .symbol:         _ZN7rocprim17ROCPRIM_400000_NS6detail17trampoline_kernelINS0_13kernel_configILj256ELj4ELj4294967295EEENS1_37radix_sort_block_sort_config_selectorI6__halfNS0_10empty_typeEEEZNS1_21radix_sort_block_sortIS4_Lb0EPKS6_PS6_PS7_SD_NS0_19identity_decomposerEEE10hipError_tT1_T2_T3_T4_jRjT5_jjP12ihipStream_tbEUlT_E_NS1_11comp_targetILNS1_3genE8ELNS1_11target_archE1030ELNS1_3gpuE2ELNS1_3repE0EEENS1_44radix_sort_block_sort_config_static_selectorELNS0_4arch9wavefront6targetE0EEEvSG_.kd
    .uniform_work_group_size: 1
    .uses_dynamic_stack: false
    .vgpr_count:     0
    .vgpr_spill_count: 0
    .wavefront_size: 32
  - .args:
      - .offset:         0
        .size:           40
        .value_kind:     by_value
    .group_segment_fixed_size: 0
    .kernarg_segment_align: 8
    .kernarg_segment_size: 40
    .language:       OpenCL C
    .language_version:
      - 2
      - 0
    .max_flat_workgroup_size: 128
    .name:           _ZN7rocprim17ROCPRIM_400000_NS6detail17trampoline_kernelINS0_14default_configENS1_38merge_sort_block_merge_config_selectorI6__halfNS0_10empty_typeEEEZZNS1_27merge_sort_block_merge_implIS3_PS5_PS6_jNS1_19radix_merge_compareILb0ELb0ES5_NS0_19identity_decomposerEEEEE10hipError_tT0_T1_T2_jT3_P12ihipStream_tbPNSt15iterator_traitsISF_E10value_typeEPNSL_ISG_E10value_typeEPSH_NS1_7vsmem_tEENKUlT_SF_SG_SH_E_clIS9_S9_SA_SA_EESE_SU_SF_SG_SH_EUlSU_E_NS1_11comp_targetILNS1_3genE0ELNS1_11target_archE4294967295ELNS1_3gpuE0ELNS1_3repE0EEENS1_48merge_mergepath_partition_config_static_selectorELNS0_4arch9wavefront6targetE0EEEvSG_
    .private_segment_fixed_size: 0
    .sgpr_count:     8
    .sgpr_spill_count: 0
    .symbol:         _ZN7rocprim17ROCPRIM_400000_NS6detail17trampoline_kernelINS0_14default_configENS1_38merge_sort_block_merge_config_selectorI6__halfNS0_10empty_typeEEEZZNS1_27merge_sort_block_merge_implIS3_PS5_PS6_jNS1_19radix_merge_compareILb0ELb0ES5_NS0_19identity_decomposerEEEEE10hipError_tT0_T1_T2_jT3_P12ihipStream_tbPNSt15iterator_traitsISF_E10value_typeEPNSL_ISG_E10value_typeEPSH_NS1_7vsmem_tEENKUlT_SF_SG_SH_E_clIS9_S9_SA_SA_EESE_SU_SF_SG_SH_EUlSU_E_NS1_11comp_targetILNS1_3genE0ELNS1_11target_archE4294967295ELNS1_3gpuE0ELNS1_3repE0EEENS1_48merge_mergepath_partition_config_static_selectorELNS0_4arch9wavefront6targetE0EEEvSG_.kd
    .uniform_work_group_size: 1
    .uses_dynamic_stack: false
    .vgpr_count:     17
    .vgpr_spill_count: 0
    .wavefront_size: 32
  - .args:
      - .offset:         0
        .size:           40
        .value_kind:     by_value
    .group_segment_fixed_size: 0
    .kernarg_segment_align: 8
    .kernarg_segment_size: 40
    .language:       OpenCL C
    .language_version:
      - 2
      - 0
    .max_flat_workgroup_size: 128
    .name:           _ZN7rocprim17ROCPRIM_400000_NS6detail17trampoline_kernelINS0_14default_configENS1_38merge_sort_block_merge_config_selectorI6__halfNS0_10empty_typeEEEZZNS1_27merge_sort_block_merge_implIS3_PS5_PS6_jNS1_19radix_merge_compareILb0ELb0ES5_NS0_19identity_decomposerEEEEE10hipError_tT0_T1_T2_jT3_P12ihipStream_tbPNSt15iterator_traitsISF_E10value_typeEPNSL_ISG_E10value_typeEPSH_NS1_7vsmem_tEENKUlT_SF_SG_SH_E_clIS9_S9_SA_SA_EESE_SU_SF_SG_SH_EUlSU_E_NS1_11comp_targetILNS1_3genE10ELNS1_11target_archE1201ELNS1_3gpuE5ELNS1_3repE0EEENS1_48merge_mergepath_partition_config_static_selectorELNS0_4arch9wavefront6targetE0EEEvSG_
    .private_segment_fixed_size: 0
    .sgpr_count:     0
    .sgpr_spill_count: 0
    .symbol:         _ZN7rocprim17ROCPRIM_400000_NS6detail17trampoline_kernelINS0_14default_configENS1_38merge_sort_block_merge_config_selectorI6__halfNS0_10empty_typeEEEZZNS1_27merge_sort_block_merge_implIS3_PS5_PS6_jNS1_19radix_merge_compareILb0ELb0ES5_NS0_19identity_decomposerEEEEE10hipError_tT0_T1_T2_jT3_P12ihipStream_tbPNSt15iterator_traitsISF_E10value_typeEPNSL_ISG_E10value_typeEPSH_NS1_7vsmem_tEENKUlT_SF_SG_SH_E_clIS9_S9_SA_SA_EESE_SU_SF_SG_SH_EUlSU_E_NS1_11comp_targetILNS1_3genE10ELNS1_11target_archE1201ELNS1_3gpuE5ELNS1_3repE0EEENS1_48merge_mergepath_partition_config_static_selectorELNS0_4arch9wavefront6targetE0EEEvSG_.kd
    .uniform_work_group_size: 1
    .uses_dynamic_stack: false
    .vgpr_count:     0
    .vgpr_spill_count: 0
    .wavefront_size: 32
  - .args:
      - .offset:         0
        .size:           40
        .value_kind:     by_value
    .group_segment_fixed_size: 0
    .kernarg_segment_align: 8
    .kernarg_segment_size: 40
    .language:       OpenCL C
    .language_version:
      - 2
      - 0
    .max_flat_workgroup_size: 128
    .name:           _ZN7rocprim17ROCPRIM_400000_NS6detail17trampoline_kernelINS0_14default_configENS1_38merge_sort_block_merge_config_selectorI6__halfNS0_10empty_typeEEEZZNS1_27merge_sort_block_merge_implIS3_PS5_PS6_jNS1_19radix_merge_compareILb0ELb0ES5_NS0_19identity_decomposerEEEEE10hipError_tT0_T1_T2_jT3_P12ihipStream_tbPNSt15iterator_traitsISF_E10value_typeEPNSL_ISG_E10value_typeEPSH_NS1_7vsmem_tEENKUlT_SF_SG_SH_E_clIS9_S9_SA_SA_EESE_SU_SF_SG_SH_EUlSU_E_NS1_11comp_targetILNS1_3genE5ELNS1_11target_archE942ELNS1_3gpuE9ELNS1_3repE0EEENS1_48merge_mergepath_partition_config_static_selectorELNS0_4arch9wavefront6targetE0EEEvSG_
    .private_segment_fixed_size: 0
    .sgpr_count:     0
    .sgpr_spill_count: 0
    .symbol:         _ZN7rocprim17ROCPRIM_400000_NS6detail17trampoline_kernelINS0_14default_configENS1_38merge_sort_block_merge_config_selectorI6__halfNS0_10empty_typeEEEZZNS1_27merge_sort_block_merge_implIS3_PS5_PS6_jNS1_19radix_merge_compareILb0ELb0ES5_NS0_19identity_decomposerEEEEE10hipError_tT0_T1_T2_jT3_P12ihipStream_tbPNSt15iterator_traitsISF_E10value_typeEPNSL_ISG_E10value_typeEPSH_NS1_7vsmem_tEENKUlT_SF_SG_SH_E_clIS9_S9_SA_SA_EESE_SU_SF_SG_SH_EUlSU_E_NS1_11comp_targetILNS1_3genE5ELNS1_11target_archE942ELNS1_3gpuE9ELNS1_3repE0EEENS1_48merge_mergepath_partition_config_static_selectorELNS0_4arch9wavefront6targetE0EEEvSG_.kd
    .uniform_work_group_size: 1
    .uses_dynamic_stack: false
    .vgpr_count:     0
    .vgpr_spill_count: 0
    .wavefront_size: 32
  - .args:
      - .offset:         0
        .size:           40
        .value_kind:     by_value
    .group_segment_fixed_size: 0
    .kernarg_segment_align: 8
    .kernarg_segment_size: 40
    .language:       OpenCL C
    .language_version:
      - 2
      - 0
    .max_flat_workgroup_size: 128
    .name:           _ZN7rocprim17ROCPRIM_400000_NS6detail17trampoline_kernelINS0_14default_configENS1_38merge_sort_block_merge_config_selectorI6__halfNS0_10empty_typeEEEZZNS1_27merge_sort_block_merge_implIS3_PS5_PS6_jNS1_19radix_merge_compareILb0ELb0ES5_NS0_19identity_decomposerEEEEE10hipError_tT0_T1_T2_jT3_P12ihipStream_tbPNSt15iterator_traitsISF_E10value_typeEPNSL_ISG_E10value_typeEPSH_NS1_7vsmem_tEENKUlT_SF_SG_SH_E_clIS9_S9_SA_SA_EESE_SU_SF_SG_SH_EUlSU_E_NS1_11comp_targetILNS1_3genE4ELNS1_11target_archE910ELNS1_3gpuE8ELNS1_3repE0EEENS1_48merge_mergepath_partition_config_static_selectorELNS0_4arch9wavefront6targetE0EEEvSG_
    .private_segment_fixed_size: 0
    .sgpr_count:     0
    .sgpr_spill_count: 0
    .symbol:         _ZN7rocprim17ROCPRIM_400000_NS6detail17trampoline_kernelINS0_14default_configENS1_38merge_sort_block_merge_config_selectorI6__halfNS0_10empty_typeEEEZZNS1_27merge_sort_block_merge_implIS3_PS5_PS6_jNS1_19radix_merge_compareILb0ELb0ES5_NS0_19identity_decomposerEEEEE10hipError_tT0_T1_T2_jT3_P12ihipStream_tbPNSt15iterator_traitsISF_E10value_typeEPNSL_ISG_E10value_typeEPSH_NS1_7vsmem_tEENKUlT_SF_SG_SH_E_clIS9_S9_SA_SA_EESE_SU_SF_SG_SH_EUlSU_E_NS1_11comp_targetILNS1_3genE4ELNS1_11target_archE910ELNS1_3gpuE8ELNS1_3repE0EEENS1_48merge_mergepath_partition_config_static_selectorELNS0_4arch9wavefront6targetE0EEEvSG_.kd
    .uniform_work_group_size: 1
    .uses_dynamic_stack: false
    .vgpr_count:     0
    .vgpr_spill_count: 0
    .wavefront_size: 32
  - .args:
      - .offset:         0
        .size:           40
        .value_kind:     by_value
    .group_segment_fixed_size: 0
    .kernarg_segment_align: 8
    .kernarg_segment_size: 40
    .language:       OpenCL C
    .language_version:
      - 2
      - 0
    .max_flat_workgroup_size: 128
    .name:           _ZN7rocprim17ROCPRIM_400000_NS6detail17trampoline_kernelINS0_14default_configENS1_38merge_sort_block_merge_config_selectorI6__halfNS0_10empty_typeEEEZZNS1_27merge_sort_block_merge_implIS3_PS5_PS6_jNS1_19radix_merge_compareILb0ELb0ES5_NS0_19identity_decomposerEEEEE10hipError_tT0_T1_T2_jT3_P12ihipStream_tbPNSt15iterator_traitsISF_E10value_typeEPNSL_ISG_E10value_typeEPSH_NS1_7vsmem_tEENKUlT_SF_SG_SH_E_clIS9_S9_SA_SA_EESE_SU_SF_SG_SH_EUlSU_E_NS1_11comp_targetILNS1_3genE3ELNS1_11target_archE908ELNS1_3gpuE7ELNS1_3repE0EEENS1_48merge_mergepath_partition_config_static_selectorELNS0_4arch9wavefront6targetE0EEEvSG_
    .private_segment_fixed_size: 0
    .sgpr_count:     0
    .sgpr_spill_count: 0
    .symbol:         _ZN7rocprim17ROCPRIM_400000_NS6detail17trampoline_kernelINS0_14default_configENS1_38merge_sort_block_merge_config_selectorI6__halfNS0_10empty_typeEEEZZNS1_27merge_sort_block_merge_implIS3_PS5_PS6_jNS1_19radix_merge_compareILb0ELb0ES5_NS0_19identity_decomposerEEEEE10hipError_tT0_T1_T2_jT3_P12ihipStream_tbPNSt15iterator_traitsISF_E10value_typeEPNSL_ISG_E10value_typeEPSH_NS1_7vsmem_tEENKUlT_SF_SG_SH_E_clIS9_S9_SA_SA_EESE_SU_SF_SG_SH_EUlSU_E_NS1_11comp_targetILNS1_3genE3ELNS1_11target_archE908ELNS1_3gpuE7ELNS1_3repE0EEENS1_48merge_mergepath_partition_config_static_selectorELNS0_4arch9wavefront6targetE0EEEvSG_.kd
    .uniform_work_group_size: 1
    .uses_dynamic_stack: false
    .vgpr_count:     0
    .vgpr_spill_count: 0
    .wavefront_size: 32
  - .args:
      - .offset:         0
        .size:           40
        .value_kind:     by_value
    .group_segment_fixed_size: 0
    .kernarg_segment_align: 8
    .kernarg_segment_size: 40
    .language:       OpenCL C
    .language_version:
      - 2
      - 0
    .max_flat_workgroup_size: 128
    .name:           _ZN7rocprim17ROCPRIM_400000_NS6detail17trampoline_kernelINS0_14default_configENS1_38merge_sort_block_merge_config_selectorI6__halfNS0_10empty_typeEEEZZNS1_27merge_sort_block_merge_implIS3_PS5_PS6_jNS1_19radix_merge_compareILb0ELb0ES5_NS0_19identity_decomposerEEEEE10hipError_tT0_T1_T2_jT3_P12ihipStream_tbPNSt15iterator_traitsISF_E10value_typeEPNSL_ISG_E10value_typeEPSH_NS1_7vsmem_tEENKUlT_SF_SG_SH_E_clIS9_S9_SA_SA_EESE_SU_SF_SG_SH_EUlSU_E_NS1_11comp_targetILNS1_3genE2ELNS1_11target_archE906ELNS1_3gpuE6ELNS1_3repE0EEENS1_48merge_mergepath_partition_config_static_selectorELNS0_4arch9wavefront6targetE0EEEvSG_
    .private_segment_fixed_size: 0
    .sgpr_count:     0
    .sgpr_spill_count: 0
    .symbol:         _ZN7rocprim17ROCPRIM_400000_NS6detail17trampoline_kernelINS0_14default_configENS1_38merge_sort_block_merge_config_selectorI6__halfNS0_10empty_typeEEEZZNS1_27merge_sort_block_merge_implIS3_PS5_PS6_jNS1_19radix_merge_compareILb0ELb0ES5_NS0_19identity_decomposerEEEEE10hipError_tT0_T1_T2_jT3_P12ihipStream_tbPNSt15iterator_traitsISF_E10value_typeEPNSL_ISG_E10value_typeEPSH_NS1_7vsmem_tEENKUlT_SF_SG_SH_E_clIS9_S9_SA_SA_EESE_SU_SF_SG_SH_EUlSU_E_NS1_11comp_targetILNS1_3genE2ELNS1_11target_archE906ELNS1_3gpuE6ELNS1_3repE0EEENS1_48merge_mergepath_partition_config_static_selectorELNS0_4arch9wavefront6targetE0EEEvSG_.kd
    .uniform_work_group_size: 1
    .uses_dynamic_stack: false
    .vgpr_count:     0
    .vgpr_spill_count: 0
    .wavefront_size: 32
  - .args:
      - .offset:         0
        .size:           40
        .value_kind:     by_value
    .group_segment_fixed_size: 0
    .kernarg_segment_align: 8
    .kernarg_segment_size: 40
    .language:       OpenCL C
    .language_version:
      - 2
      - 0
    .max_flat_workgroup_size: 128
    .name:           _ZN7rocprim17ROCPRIM_400000_NS6detail17trampoline_kernelINS0_14default_configENS1_38merge_sort_block_merge_config_selectorI6__halfNS0_10empty_typeEEEZZNS1_27merge_sort_block_merge_implIS3_PS5_PS6_jNS1_19radix_merge_compareILb0ELb0ES5_NS0_19identity_decomposerEEEEE10hipError_tT0_T1_T2_jT3_P12ihipStream_tbPNSt15iterator_traitsISF_E10value_typeEPNSL_ISG_E10value_typeEPSH_NS1_7vsmem_tEENKUlT_SF_SG_SH_E_clIS9_S9_SA_SA_EESE_SU_SF_SG_SH_EUlSU_E_NS1_11comp_targetILNS1_3genE9ELNS1_11target_archE1100ELNS1_3gpuE3ELNS1_3repE0EEENS1_48merge_mergepath_partition_config_static_selectorELNS0_4arch9wavefront6targetE0EEEvSG_
    .private_segment_fixed_size: 0
    .sgpr_count:     0
    .sgpr_spill_count: 0
    .symbol:         _ZN7rocprim17ROCPRIM_400000_NS6detail17trampoline_kernelINS0_14default_configENS1_38merge_sort_block_merge_config_selectorI6__halfNS0_10empty_typeEEEZZNS1_27merge_sort_block_merge_implIS3_PS5_PS6_jNS1_19radix_merge_compareILb0ELb0ES5_NS0_19identity_decomposerEEEEE10hipError_tT0_T1_T2_jT3_P12ihipStream_tbPNSt15iterator_traitsISF_E10value_typeEPNSL_ISG_E10value_typeEPSH_NS1_7vsmem_tEENKUlT_SF_SG_SH_E_clIS9_S9_SA_SA_EESE_SU_SF_SG_SH_EUlSU_E_NS1_11comp_targetILNS1_3genE9ELNS1_11target_archE1100ELNS1_3gpuE3ELNS1_3repE0EEENS1_48merge_mergepath_partition_config_static_selectorELNS0_4arch9wavefront6targetE0EEEvSG_.kd
    .uniform_work_group_size: 1
    .uses_dynamic_stack: false
    .vgpr_count:     0
    .vgpr_spill_count: 0
    .wavefront_size: 32
  - .args:
      - .offset:         0
        .size:           40
        .value_kind:     by_value
    .group_segment_fixed_size: 0
    .kernarg_segment_align: 8
    .kernarg_segment_size: 40
    .language:       OpenCL C
    .language_version:
      - 2
      - 0
    .max_flat_workgroup_size: 128
    .name:           _ZN7rocprim17ROCPRIM_400000_NS6detail17trampoline_kernelINS0_14default_configENS1_38merge_sort_block_merge_config_selectorI6__halfNS0_10empty_typeEEEZZNS1_27merge_sort_block_merge_implIS3_PS5_PS6_jNS1_19radix_merge_compareILb0ELb0ES5_NS0_19identity_decomposerEEEEE10hipError_tT0_T1_T2_jT3_P12ihipStream_tbPNSt15iterator_traitsISF_E10value_typeEPNSL_ISG_E10value_typeEPSH_NS1_7vsmem_tEENKUlT_SF_SG_SH_E_clIS9_S9_SA_SA_EESE_SU_SF_SG_SH_EUlSU_E_NS1_11comp_targetILNS1_3genE8ELNS1_11target_archE1030ELNS1_3gpuE2ELNS1_3repE0EEENS1_48merge_mergepath_partition_config_static_selectorELNS0_4arch9wavefront6targetE0EEEvSG_
    .private_segment_fixed_size: 0
    .sgpr_count:     0
    .sgpr_spill_count: 0
    .symbol:         _ZN7rocprim17ROCPRIM_400000_NS6detail17trampoline_kernelINS0_14default_configENS1_38merge_sort_block_merge_config_selectorI6__halfNS0_10empty_typeEEEZZNS1_27merge_sort_block_merge_implIS3_PS5_PS6_jNS1_19radix_merge_compareILb0ELb0ES5_NS0_19identity_decomposerEEEEE10hipError_tT0_T1_T2_jT3_P12ihipStream_tbPNSt15iterator_traitsISF_E10value_typeEPNSL_ISG_E10value_typeEPSH_NS1_7vsmem_tEENKUlT_SF_SG_SH_E_clIS9_S9_SA_SA_EESE_SU_SF_SG_SH_EUlSU_E_NS1_11comp_targetILNS1_3genE8ELNS1_11target_archE1030ELNS1_3gpuE2ELNS1_3repE0EEENS1_48merge_mergepath_partition_config_static_selectorELNS0_4arch9wavefront6targetE0EEEvSG_.kd
    .uniform_work_group_size: 1
    .uses_dynamic_stack: false
    .vgpr_count:     0
    .vgpr_spill_count: 0
    .wavefront_size: 32
  - .args:
      - .offset:         0
        .size:           64
        .value_kind:     by_value
      - .offset:         64
        .size:           4
        .value_kind:     hidden_block_count_x
      - .offset:         68
        .size:           4
        .value_kind:     hidden_block_count_y
      - .offset:         72
        .size:           4
        .value_kind:     hidden_block_count_z
      - .offset:         76
        .size:           2
        .value_kind:     hidden_group_size_x
      - .offset:         78
        .size:           2
        .value_kind:     hidden_group_size_y
      - .offset:         80
        .size:           2
        .value_kind:     hidden_group_size_z
      - .offset:         82
        .size:           2
        .value_kind:     hidden_remainder_x
      - .offset:         84
        .size:           2
        .value_kind:     hidden_remainder_y
      - .offset:         86
        .size:           2
        .value_kind:     hidden_remainder_z
      - .offset:         104
        .size:           8
        .value_kind:     hidden_global_offset_x
      - .offset:         112
        .size:           8
        .value_kind:     hidden_global_offset_y
      - .offset:         120
        .size:           8
        .value_kind:     hidden_global_offset_z
      - .offset:         128
        .size:           2
        .value_kind:     hidden_grid_dims
    .group_segment_fixed_size: 2112
    .kernarg_segment_align: 8
    .kernarg_segment_size: 320
    .language:       OpenCL C
    .language_version:
      - 2
      - 0
    .max_flat_workgroup_size: 128
    .name:           _ZN7rocprim17ROCPRIM_400000_NS6detail17trampoline_kernelINS0_14default_configENS1_38merge_sort_block_merge_config_selectorI6__halfNS0_10empty_typeEEEZZNS1_27merge_sort_block_merge_implIS3_PS5_PS6_jNS1_19radix_merge_compareILb0ELb0ES5_NS0_19identity_decomposerEEEEE10hipError_tT0_T1_T2_jT3_P12ihipStream_tbPNSt15iterator_traitsISF_E10value_typeEPNSL_ISG_E10value_typeEPSH_NS1_7vsmem_tEENKUlT_SF_SG_SH_E_clIS9_S9_SA_SA_EESE_SU_SF_SG_SH_EUlSU_E0_NS1_11comp_targetILNS1_3genE0ELNS1_11target_archE4294967295ELNS1_3gpuE0ELNS1_3repE0EEENS1_38merge_mergepath_config_static_selectorELNS0_4arch9wavefront6targetE0EEEvSG_
    .private_segment_fixed_size: 0
    .sgpr_count:     24
    .sgpr_spill_count: 0
    .symbol:         _ZN7rocprim17ROCPRIM_400000_NS6detail17trampoline_kernelINS0_14default_configENS1_38merge_sort_block_merge_config_selectorI6__halfNS0_10empty_typeEEEZZNS1_27merge_sort_block_merge_implIS3_PS5_PS6_jNS1_19radix_merge_compareILb0ELb0ES5_NS0_19identity_decomposerEEEEE10hipError_tT0_T1_T2_jT3_P12ihipStream_tbPNSt15iterator_traitsISF_E10value_typeEPNSL_ISG_E10value_typeEPSH_NS1_7vsmem_tEENKUlT_SF_SG_SH_E_clIS9_S9_SA_SA_EESE_SU_SF_SG_SH_EUlSU_E0_NS1_11comp_targetILNS1_3genE0ELNS1_11target_archE4294967295ELNS1_3gpuE0ELNS1_3repE0EEENS1_38merge_mergepath_config_static_selectorELNS0_4arch9wavefront6targetE0EEEvSG_.kd
    .uniform_work_group_size: 1
    .uses_dynamic_stack: false
    .vgpr_count:     28
    .vgpr_spill_count: 0
    .wavefront_size: 32
  - .args:
      - .offset:         0
        .size:           64
        .value_kind:     by_value
    .group_segment_fixed_size: 0
    .kernarg_segment_align: 8
    .kernarg_segment_size: 64
    .language:       OpenCL C
    .language_version:
      - 2
      - 0
    .max_flat_workgroup_size: 128
    .name:           _ZN7rocprim17ROCPRIM_400000_NS6detail17trampoline_kernelINS0_14default_configENS1_38merge_sort_block_merge_config_selectorI6__halfNS0_10empty_typeEEEZZNS1_27merge_sort_block_merge_implIS3_PS5_PS6_jNS1_19radix_merge_compareILb0ELb0ES5_NS0_19identity_decomposerEEEEE10hipError_tT0_T1_T2_jT3_P12ihipStream_tbPNSt15iterator_traitsISF_E10value_typeEPNSL_ISG_E10value_typeEPSH_NS1_7vsmem_tEENKUlT_SF_SG_SH_E_clIS9_S9_SA_SA_EESE_SU_SF_SG_SH_EUlSU_E0_NS1_11comp_targetILNS1_3genE10ELNS1_11target_archE1201ELNS1_3gpuE5ELNS1_3repE0EEENS1_38merge_mergepath_config_static_selectorELNS0_4arch9wavefront6targetE0EEEvSG_
    .private_segment_fixed_size: 0
    .sgpr_count:     0
    .sgpr_spill_count: 0
    .symbol:         _ZN7rocprim17ROCPRIM_400000_NS6detail17trampoline_kernelINS0_14default_configENS1_38merge_sort_block_merge_config_selectorI6__halfNS0_10empty_typeEEEZZNS1_27merge_sort_block_merge_implIS3_PS5_PS6_jNS1_19radix_merge_compareILb0ELb0ES5_NS0_19identity_decomposerEEEEE10hipError_tT0_T1_T2_jT3_P12ihipStream_tbPNSt15iterator_traitsISF_E10value_typeEPNSL_ISG_E10value_typeEPSH_NS1_7vsmem_tEENKUlT_SF_SG_SH_E_clIS9_S9_SA_SA_EESE_SU_SF_SG_SH_EUlSU_E0_NS1_11comp_targetILNS1_3genE10ELNS1_11target_archE1201ELNS1_3gpuE5ELNS1_3repE0EEENS1_38merge_mergepath_config_static_selectorELNS0_4arch9wavefront6targetE0EEEvSG_.kd
    .uniform_work_group_size: 1
    .uses_dynamic_stack: false
    .vgpr_count:     0
    .vgpr_spill_count: 0
    .wavefront_size: 32
  - .args:
      - .offset:         0
        .size:           64
        .value_kind:     by_value
    .group_segment_fixed_size: 0
    .kernarg_segment_align: 8
    .kernarg_segment_size: 64
    .language:       OpenCL C
    .language_version:
      - 2
      - 0
    .max_flat_workgroup_size: 128
    .name:           _ZN7rocprim17ROCPRIM_400000_NS6detail17trampoline_kernelINS0_14default_configENS1_38merge_sort_block_merge_config_selectorI6__halfNS0_10empty_typeEEEZZNS1_27merge_sort_block_merge_implIS3_PS5_PS6_jNS1_19radix_merge_compareILb0ELb0ES5_NS0_19identity_decomposerEEEEE10hipError_tT0_T1_T2_jT3_P12ihipStream_tbPNSt15iterator_traitsISF_E10value_typeEPNSL_ISG_E10value_typeEPSH_NS1_7vsmem_tEENKUlT_SF_SG_SH_E_clIS9_S9_SA_SA_EESE_SU_SF_SG_SH_EUlSU_E0_NS1_11comp_targetILNS1_3genE5ELNS1_11target_archE942ELNS1_3gpuE9ELNS1_3repE0EEENS1_38merge_mergepath_config_static_selectorELNS0_4arch9wavefront6targetE0EEEvSG_
    .private_segment_fixed_size: 0
    .sgpr_count:     0
    .sgpr_spill_count: 0
    .symbol:         _ZN7rocprim17ROCPRIM_400000_NS6detail17trampoline_kernelINS0_14default_configENS1_38merge_sort_block_merge_config_selectorI6__halfNS0_10empty_typeEEEZZNS1_27merge_sort_block_merge_implIS3_PS5_PS6_jNS1_19radix_merge_compareILb0ELb0ES5_NS0_19identity_decomposerEEEEE10hipError_tT0_T1_T2_jT3_P12ihipStream_tbPNSt15iterator_traitsISF_E10value_typeEPNSL_ISG_E10value_typeEPSH_NS1_7vsmem_tEENKUlT_SF_SG_SH_E_clIS9_S9_SA_SA_EESE_SU_SF_SG_SH_EUlSU_E0_NS1_11comp_targetILNS1_3genE5ELNS1_11target_archE942ELNS1_3gpuE9ELNS1_3repE0EEENS1_38merge_mergepath_config_static_selectorELNS0_4arch9wavefront6targetE0EEEvSG_.kd
    .uniform_work_group_size: 1
    .uses_dynamic_stack: false
    .vgpr_count:     0
    .vgpr_spill_count: 0
    .wavefront_size: 32
  - .args:
      - .offset:         0
        .size:           64
        .value_kind:     by_value
    .group_segment_fixed_size: 0
    .kernarg_segment_align: 8
    .kernarg_segment_size: 64
    .language:       OpenCL C
    .language_version:
      - 2
      - 0
    .max_flat_workgroup_size: 128
    .name:           _ZN7rocprim17ROCPRIM_400000_NS6detail17trampoline_kernelINS0_14default_configENS1_38merge_sort_block_merge_config_selectorI6__halfNS0_10empty_typeEEEZZNS1_27merge_sort_block_merge_implIS3_PS5_PS6_jNS1_19radix_merge_compareILb0ELb0ES5_NS0_19identity_decomposerEEEEE10hipError_tT0_T1_T2_jT3_P12ihipStream_tbPNSt15iterator_traitsISF_E10value_typeEPNSL_ISG_E10value_typeEPSH_NS1_7vsmem_tEENKUlT_SF_SG_SH_E_clIS9_S9_SA_SA_EESE_SU_SF_SG_SH_EUlSU_E0_NS1_11comp_targetILNS1_3genE4ELNS1_11target_archE910ELNS1_3gpuE8ELNS1_3repE0EEENS1_38merge_mergepath_config_static_selectorELNS0_4arch9wavefront6targetE0EEEvSG_
    .private_segment_fixed_size: 0
    .sgpr_count:     0
    .sgpr_spill_count: 0
    .symbol:         _ZN7rocprim17ROCPRIM_400000_NS6detail17trampoline_kernelINS0_14default_configENS1_38merge_sort_block_merge_config_selectorI6__halfNS0_10empty_typeEEEZZNS1_27merge_sort_block_merge_implIS3_PS5_PS6_jNS1_19radix_merge_compareILb0ELb0ES5_NS0_19identity_decomposerEEEEE10hipError_tT0_T1_T2_jT3_P12ihipStream_tbPNSt15iterator_traitsISF_E10value_typeEPNSL_ISG_E10value_typeEPSH_NS1_7vsmem_tEENKUlT_SF_SG_SH_E_clIS9_S9_SA_SA_EESE_SU_SF_SG_SH_EUlSU_E0_NS1_11comp_targetILNS1_3genE4ELNS1_11target_archE910ELNS1_3gpuE8ELNS1_3repE0EEENS1_38merge_mergepath_config_static_selectorELNS0_4arch9wavefront6targetE0EEEvSG_.kd
    .uniform_work_group_size: 1
    .uses_dynamic_stack: false
    .vgpr_count:     0
    .vgpr_spill_count: 0
    .wavefront_size: 32
  - .args:
      - .offset:         0
        .size:           64
        .value_kind:     by_value
    .group_segment_fixed_size: 0
    .kernarg_segment_align: 8
    .kernarg_segment_size: 64
    .language:       OpenCL C
    .language_version:
      - 2
      - 0
    .max_flat_workgroup_size: 128
    .name:           _ZN7rocprim17ROCPRIM_400000_NS6detail17trampoline_kernelINS0_14default_configENS1_38merge_sort_block_merge_config_selectorI6__halfNS0_10empty_typeEEEZZNS1_27merge_sort_block_merge_implIS3_PS5_PS6_jNS1_19radix_merge_compareILb0ELb0ES5_NS0_19identity_decomposerEEEEE10hipError_tT0_T1_T2_jT3_P12ihipStream_tbPNSt15iterator_traitsISF_E10value_typeEPNSL_ISG_E10value_typeEPSH_NS1_7vsmem_tEENKUlT_SF_SG_SH_E_clIS9_S9_SA_SA_EESE_SU_SF_SG_SH_EUlSU_E0_NS1_11comp_targetILNS1_3genE3ELNS1_11target_archE908ELNS1_3gpuE7ELNS1_3repE0EEENS1_38merge_mergepath_config_static_selectorELNS0_4arch9wavefront6targetE0EEEvSG_
    .private_segment_fixed_size: 0
    .sgpr_count:     0
    .sgpr_spill_count: 0
    .symbol:         _ZN7rocprim17ROCPRIM_400000_NS6detail17trampoline_kernelINS0_14default_configENS1_38merge_sort_block_merge_config_selectorI6__halfNS0_10empty_typeEEEZZNS1_27merge_sort_block_merge_implIS3_PS5_PS6_jNS1_19radix_merge_compareILb0ELb0ES5_NS0_19identity_decomposerEEEEE10hipError_tT0_T1_T2_jT3_P12ihipStream_tbPNSt15iterator_traitsISF_E10value_typeEPNSL_ISG_E10value_typeEPSH_NS1_7vsmem_tEENKUlT_SF_SG_SH_E_clIS9_S9_SA_SA_EESE_SU_SF_SG_SH_EUlSU_E0_NS1_11comp_targetILNS1_3genE3ELNS1_11target_archE908ELNS1_3gpuE7ELNS1_3repE0EEENS1_38merge_mergepath_config_static_selectorELNS0_4arch9wavefront6targetE0EEEvSG_.kd
    .uniform_work_group_size: 1
    .uses_dynamic_stack: false
    .vgpr_count:     0
    .vgpr_spill_count: 0
    .wavefront_size: 32
  - .args:
      - .offset:         0
        .size:           64
        .value_kind:     by_value
    .group_segment_fixed_size: 0
    .kernarg_segment_align: 8
    .kernarg_segment_size: 64
    .language:       OpenCL C
    .language_version:
      - 2
      - 0
    .max_flat_workgroup_size: 128
    .name:           _ZN7rocprim17ROCPRIM_400000_NS6detail17trampoline_kernelINS0_14default_configENS1_38merge_sort_block_merge_config_selectorI6__halfNS0_10empty_typeEEEZZNS1_27merge_sort_block_merge_implIS3_PS5_PS6_jNS1_19radix_merge_compareILb0ELb0ES5_NS0_19identity_decomposerEEEEE10hipError_tT0_T1_T2_jT3_P12ihipStream_tbPNSt15iterator_traitsISF_E10value_typeEPNSL_ISG_E10value_typeEPSH_NS1_7vsmem_tEENKUlT_SF_SG_SH_E_clIS9_S9_SA_SA_EESE_SU_SF_SG_SH_EUlSU_E0_NS1_11comp_targetILNS1_3genE2ELNS1_11target_archE906ELNS1_3gpuE6ELNS1_3repE0EEENS1_38merge_mergepath_config_static_selectorELNS0_4arch9wavefront6targetE0EEEvSG_
    .private_segment_fixed_size: 0
    .sgpr_count:     0
    .sgpr_spill_count: 0
    .symbol:         _ZN7rocprim17ROCPRIM_400000_NS6detail17trampoline_kernelINS0_14default_configENS1_38merge_sort_block_merge_config_selectorI6__halfNS0_10empty_typeEEEZZNS1_27merge_sort_block_merge_implIS3_PS5_PS6_jNS1_19radix_merge_compareILb0ELb0ES5_NS0_19identity_decomposerEEEEE10hipError_tT0_T1_T2_jT3_P12ihipStream_tbPNSt15iterator_traitsISF_E10value_typeEPNSL_ISG_E10value_typeEPSH_NS1_7vsmem_tEENKUlT_SF_SG_SH_E_clIS9_S9_SA_SA_EESE_SU_SF_SG_SH_EUlSU_E0_NS1_11comp_targetILNS1_3genE2ELNS1_11target_archE906ELNS1_3gpuE6ELNS1_3repE0EEENS1_38merge_mergepath_config_static_selectorELNS0_4arch9wavefront6targetE0EEEvSG_.kd
    .uniform_work_group_size: 1
    .uses_dynamic_stack: false
    .vgpr_count:     0
    .vgpr_spill_count: 0
    .wavefront_size: 32
  - .args:
      - .offset:         0
        .size:           64
        .value_kind:     by_value
    .group_segment_fixed_size: 0
    .kernarg_segment_align: 8
    .kernarg_segment_size: 64
    .language:       OpenCL C
    .language_version:
      - 2
      - 0
    .max_flat_workgroup_size: 128
    .name:           _ZN7rocprim17ROCPRIM_400000_NS6detail17trampoline_kernelINS0_14default_configENS1_38merge_sort_block_merge_config_selectorI6__halfNS0_10empty_typeEEEZZNS1_27merge_sort_block_merge_implIS3_PS5_PS6_jNS1_19radix_merge_compareILb0ELb0ES5_NS0_19identity_decomposerEEEEE10hipError_tT0_T1_T2_jT3_P12ihipStream_tbPNSt15iterator_traitsISF_E10value_typeEPNSL_ISG_E10value_typeEPSH_NS1_7vsmem_tEENKUlT_SF_SG_SH_E_clIS9_S9_SA_SA_EESE_SU_SF_SG_SH_EUlSU_E0_NS1_11comp_targetILNS1_3genE9ELNS1_11target_archE1100ELNS1_3gpuE3ELNS1_3repE0EEENS1_38merge_mergepath_config_static_selectorELNS0_4arch9wavefront6targetE0EEEvSG_
    .private_segment_fixed_size: 0
    .sgpr_count:     0
    .sgpr_spill_count: 0
    .symbol:         _ZN7rocprim17ROCPRIM_400000_NS6detail17trampoline_kernelINS0_14default_configENS1_38merge_sort_block_merge_config_selectorI6__halfNS0_10empty_typeEEEZZNS1_27merge_sort_block_merge_implIS3_PS5_PS6_jNS1_19radix_merge_compareILb0ELb0ES5_NS0_19identity_decomposerEEEEE10hipError_tT0_T1_T2_jT3_P12ihipStream_tbPNSt15iterator_traitsISF_E10value_typeEPNSL_ISG_E10value_typeEPSH_NS1_7vsmem_tEENKUlT_SF_SG_SH_E_clIS9_S9_SA_SA_EESE_SU_SF_SG_SH_EUlSU_E0_NS1_11comp_targetILNS1_3genE9ELNS1_11target_archE1100ELNS1_3gpuE3ELNS1_3repE0EEENS1_38merge_mergepath_config_static_selectorELNS0_4arch9wavefront6targetE0EEEvSG_.kd
    .uniform_work_group_size: 1
    .uses_dynamic_stack: false
    .vgpr_count:     0
    .vgpr_spill_count: 0
    .wavefront_size: 32
  - .args:
      - .offset:         0
        .size:           64
        .value_kind:     by_value
    .group_segment_fixed_size: 0
    .kernarg_segment_align: 8
    .kernarg_segment_size: 64
    .language:       OpenCL C
    .language_version:
      - 2
      - 0
    .max_flat_workgroup_size: 128
    .name:           _ZN7rocprim17ROCPRIM_400000_NS6detail17trampoline_kernelINS0_14default_configENS1_38merge_sort_block_merge_config_selectorI6__halfNS0_10empty_typeEEEZZNS1_27merge_sort_block_merge_implIS3_PS5_PS6_jNS1_19radix_merge_compareILb0ELb0ES5_NS0_19identity_decomposerEEEEE10hipError_tT0_T1_T2_jT3_P12ihipStream_tbPNSt15iterator_traitsISF_E10value_typeEPNSL_ISG_E10value_typeEPSH_NS1_7vsmem_tEENKUlT_SF_SG_SH_E_clIS9_S9_SA_SA_EESE_SU_SF_SG_SH_EUlSU_E0_NS1_11comp_targetILNS1_3genE8ELNS1_11target_archE1030ELNS1_3gpuE2ELNS1_3repE0EEENS1_38merge_mergepath_config_static_selectorELNS0_4arch9wavefront6targetE0EEEvSG_
    .private_segment_fixed_size: 0
    .sgpr_count:     0
    .sgpr_spill_count: 0
    .symbol:         _ZN7rocprim17ROCPRIM_400000_NS6detail17trampoline_kernelINS0_14default_configENS1_38merge_sort_block_merge_config_selectorI6__halfNS0_10empty_typeEEEZZNS1_27merge_sort_block_merge_implIS3_PS5_PS6_jNS1_19radix_merge_compareILb0ELb0ES5_NS0_19identity_decomposerEEEEE10hipError_tT0_T1_T2_jT3_P12ihipStream_tbPNSt15iterator_traitsISF_E10value_typeEPNSL_ISG_E10value_typeEPSH_NS1_7vsmem_tEENKUlT_SF_SG_SH_E_clIS9_S9_SA_SA_EESE_SU_SF_SG_SH_EUlSU_E0_NS1_11comp_targetILNS1_3genE8ELNS1_11target_archE1030ELNS1_3gpuE2ELNS1_3repE0EEENS1_38merge_mergepath_config_static_selectorELNS0_4arch9wavefront6targetE0EEEvSG_.kd
    .uniform_work_group_size: 1
    .uses_dynamic_stack: false
    .vgpr_count:     0
    .vgpr_spill_count: 0
    .wavefront_size: 32
  - .args:
      - .offset:         0
        .size:           48
        .value_kind:     by_value
    .group_segment_fixed_size: 0
    .kernarg_segment_align: 8
    .kernarg_segment_size: 48
    .language:       OpenCL C
    .language_version:
      - 2
      - 0
    .max_flat_workgroup_size: 256
    .name:           _ZN7rocprim17ROCPRIM_400000_NS6detail17trampoline_kernelINS0_14default_configENS1_38merge_sort_block_merge_config_selectorI6__halfNS0_10empty_typeEEEZZNS1_27merge_sort_block_merge_implIS3_PS5_PS6_jNS1_19radix_merge_compareILb0ELb0ES5_NS0_19identity_decomposerEEEEE10hipError_tT0_T1_T2_jT3_P12ihipStream_tbPNSt15iterator_traitsISF_E10value_typeEPNSL_ISG_E10value_typeEPSH_NS1_7vsmem_tEENKUlT_SF_SG_SH_E_clIS9_S9_SA_SA_EESE_SU_SF_SG_SH_EUlSU_E1_NS1_11comp_targetILNS1_3genE0ELNS1_11target_archE4294967295ELNS1_3gpuE0ELNS1_3repE0EEENS1_36merge_oddeven_config_static_selectorELNS0_4arch9wavefront6targetE0EEEvSG_
    .private_segment_fixed_size: 0
    .sgpr_count:     18
    .sgpr_spill_count: 0
    .symbol:         _ZN7rocprim17ROCPRIM_400000_NS6detail17trampoline_kernelINS0_14default_configENS1_38merge_sort_block_merge_config_selectorI6__halfNS0_10empty_typeEEEZZNS1_27merge_sort_block_merge_implIS3_PS5_PS6_jNS1_19radix_merge_compareILb0ELb0ES5_NS0_19identity_decomposerEEEEE10hipError_tT0_T1_T2_jT3_P12ihipStream_tbPNSt15iterator_traitsISF_E10value_typeEPNSL_ISG_E10value_typeEPSH_NS1_7vsmem_tEENKUlT_SF_SG_SH_E_clIS9_S9_SA_SA_EESE_SU_SF_SG_SH_EUlSU_E1_NS1_11comp_targetILNS1_3genE0ELNS1_11target_archE4294967295ELNS1_3gpuE0ELNS1_3repE0EEENS1_36merge_oddeven_config_static_selectorELNS0_4arch9wavefront6targetE0EEEvSG_.kd
    .uniform_work_group_size: 1
    .uses_dynamic_stack: false
    .vgpr_count:     8
    .vgpr_spill_count: 0
    .wavefront_size: 32
  - .args:
      - .offset:         0
        .size:           48
        .value_kind:     by_value
    .group_segment_fixed_size: 0
    .kernarg_segment_align: 8
    .kernarg_segment_size: 48
    .language:       OpenCL C
    .language_version:
      - 2
      - 0
    .max_flat_workgroup_size: 256
    .name:           _ZN7rocprim17ROCPRIM_400000_NS6detail17trampoline_kernelINS0_14default_configENS1_38merge_sort_block_merge_config_selectorI6__halfNS0_10empty_typeEEEZZNS1_27merge_sort_block_merge_implIS3_PS5_PS6_jNS1_19radix_merge_compareILb0ELb0ES5_NS0_19identity_decomposerEEEEE10hipError_tT0_T1_T2_jT3_P12ihipStream_tbPNSt15iterator_traitsISF_E10value_typeEPNSL_ISG_E10value_typeEPSH_NS1_7vsmem_tEENKUlT_SF_SG_SH_E_clIS9_S9_SA_SA_EESE_SU_SF_SG_SH_EUlSU_E1_NS1_11comp_targetILNS1_3genE10ELNS1_11target_archE1201ELNS1_3gpuE5ELNS1_3repE0EEENS1_36merge_oddeven_config_static_selectorELNS0_4arch9wavefront6targetE0EEEvSG_
    .private_segment_fixed_size: 0
    .sgpr_count:     0
    .sgpr_spill_count: 0
    .symbol:         _ZN7rocprim17ROCPRIM_400000_NS6detail17trampoline_kernelINS0_14default_configENS1_38merge_sort_block_merge_config_selectorI6__halfNS0_10empty_typeEEEZZNS1_27merge_sort_block_merge_implIS3_PS5_PS6_jNS1_19radix_merge_compareILb0ELb0ES5_NS0_19identity_decomposerEEEEE10hipError_tT0_T1_T2_jT3_P12ihipStream_tbPNSt15iterator_traitsISF_E10value_typeEPNSL_ISG_E10value_typeEPSH_NS1_7vsmem_tEENKUlT_SF_SG_SH_E_clIS9_S9_SA_SA_EESE_SU_SF_SG_SH_EUlSU_E1_NS1_11comp_targetILNS1_3genE10ELNS1_11target_archE1201ELNS1_3gpuE5ELNS1_3repE0EEENS1_36merge_oddeven_config_static_selectorELNS0_4arch9wavefront6targetE0EEEvSG_.kd
    .uniform_work_group_size: 1
    .uses_dynamic_stack: false
    .vgpr_count:     0
    .vgpr_spill_count: 0
    .wavefront_size: 32
  - .args:
      - .offset:         0
        .size:           48
        .value_kind:     by_value
    .group_segment_fixed_size: 0
    .kernarg_segment_align: 8
    .kernarg_segment_size: 48
    .language:       OpenCL C
    .language_version:
      - 2
      - 0
    .max_flat_workgroup_size: 256
    .name:           _ZN7rocprim17ROCPRIM_400000_NS6detail17trampoline_kernelINS0_14default_configENS1_38merge_sort_block_merge_config_selectorI6__halfNS0_10empty_typeEEEZZNS1_27merge_sort_block_merge_implIS3_PS5_PS6_jNS1_19radix_merge_compareILb0ELb0ES5_NS0_19identity_decomposerEEEEE10hipError_tT0_T1_T2_jT3_P12ihipStream_tbPNSt15iterator_traitsISF_E10value_typeEPNSL_ISG_E10value_typeEPSH_NS1_7vsmem_tEENKUlT_SF_SG_SH_E_clIS9_S9_SA_SA_EESE_SU_SF_SG_SH_EUlSU_E1_NS1_11comp_targetILNS1_3genE5ELNS1_11target_archE942ELNS1_3gpuE9ELNS1_3repE0EEENS1_36merge_oddeven_config_static_selectorELNS0_4arch9wavefront6targetE0EEEvSG_
    .private_segment_fixed_size: 0
    .sgpr_count:     0
    .sgpr_spill_count: 0
    .symbol:         _ZN7rocprim17ROCPRIM_400000_NS6detail17trampoline_kernelINS0_14default_configENS1_38merge_sort_block_merge_config_selectorI6__halfNS0_10empty_typeEEEZZNS1_27merge_sort_block_merge_implIS3_PS5_PS6_jNS1_19radix_merge_compareILb0ELb0ES5_NS0_19identity_decomposerEEEEE10hipError_tT0_T1_T2_jT3_P12ihipStream_tbPNSt15iterator_traitsISF_E10value_typeEPNSL_ISG_E10value_typeEPSH_NS1_7vsmem_tEENKUlT_SF_SG_SH_E_clIS9_S9_SA_SA_EESE_SU_SF_SG_SH_EUlSU_E1_NS1_11comp_targetILNS1_3genE5ELNS1_11target_archE942ELNS1_3gpuE9ELNS1_3repE0EEENS1_36merge_oddeven_config_static_selectorELNS0_4arch9wavefront6targetE0EEEvSG_.kd
    .uniform_work_group_size: 1
    .uses_dynamic_stack: false
    .vgpr_count:     0
    .vgpr_spill_count: 0
    .wavefront_size: 32
  - .args:
      - .offset:         0
        .size:           48
        .value_kind:     by_value
    .group_segment_fixed_size: 0
    .kernarg_segment_align: 8
    .kernarg_segment_size: 48
    .language:       OpenCL C
    .language_version:
      - 2
      - 0
    .max_flat_workgroup_size: 256
    .name:           _ZN7rocprim17ROCPRIM_400000_NS6detail17trampoline_kernelINS0_14default_configENS1_38merge_sort_block_merge_config_selectorI6__halfNS0_10empty_typeEEEZZNS1_27merge_sort_block_merge_implIS3_PS5_PS6_jNS1_19radix_merge_compareILb0ELb0ES5_NS0_19identity_decomposerEEEEE10hipError_tT0_T1_T2_jT3_P12ihipStream_tbPNSt15iterator_traitsISF_E10value_typeEPNSL_ISG_E10value_typeEPSH_NS1_7vsmem_tEENKUlT_SF_SG_SH_E_clIS9_S9_SA_SA_EESE_SU_SF_SG_SH_EUlSU_E1_NS1_11comp_targetILNS1_3genE4ELNS1_11target_archE910ELNS1_3gpuE8ELNS1_3repE0EEENS1_36merge_oddeven_config_static_selectorELNS0_4arch9wavefront6targetE0EEEvSG_
    .private_segment_fixed_size: 0
    .sgpr_count:     0
    .sgpr_spill_count: 0
    .symbol:         _ZN7rocprim17ROCPRIM_400000_NS6detail17trampoline_kernelINS0_14default_configENS1_38merge_sort_block_merge_config_selectorI6__halfNS0_10empty_typeEEEZZNS1_27merge_sort_block_merge_implIS3_PS5_PS6_jNS1_19radix_merge_compareILb0ELb0ES5_NS0_19identity_decomposerEEEEE10hipError_tT0_T1_T2_jT3_P12ihipStream_tbPNSt15iterator_traitsISF_E10value_typeEPNSL_ISG_E10value_typeEPSH_NS1_7vsmem_tEENKUlT_SF_SG_SH_E_clIS9_S9_SA_SA_EESE_SU_SF_SG_SH_EUlSU_E1_NS1_11comp_targetILNS1_3genE4ELNS1_11target_archE910ELNS1_3gpuE8ELNS1_3repE0EEENS1_36merge_oddeven_config_static_selectorELNS0_4arch9wavefront6targetE0EEEvSG_.kd
    .uniform_work_group_size: 1
    .uses_dynamic_stack: false
    .vgpr_count:     0
    .vgpr_spill_count: 0
    .wavefront_size: 32
  - .args:
      - .offset:         0
        .size:           48
        .value_kind:     by_value
    .group_segment_fixed_size: 0
    .kernarg_segment_align: 8
    .kernarg_segment_size: 48
    .language:       OpenCL C
    .language_version:
      - 2
      - 0
    .max_flat_workgroup_size: 256
    .name:           _ZN7rocprim17ROCPRIM_400000_NS6detail17trampoline_kernelINS0_14default_configENS1_38merge_sort_block_merge_config_selectorI6__halfNS0_10empty_typeEEEZZNS1_27merge_sort_block_merge_implIS3_PS5_PS6_jNS1_19radix_merge_compareILb0ELb0ES5_NS0_19identity_decomposerEEEEE10hipError_tT0_T1_T2_jT3_P12ihipStream_tbPNSt15iterator_traitsISF_E10value_typeEPNSL_ISG_E10value_typeEPSH_NS1_7vsmem_tEENKUlT_SF_SG_SH_E_clIS9_S9_SA_SA_EESE_SU_SF_SG_SH_EUlSU_E1_NS1_11comp_targetILNS1_3genE3ELNS1_11target_archE908ELNS1_3gpuE7ELNS1_3repE0EEENS1_36merge_oddeven_config_static_selectorELNS0_4arch9wavefront6targetE0EEEvSG_
    .private_segment_fixed_size: 0
    .sgpr_count:     0
    .sgpr_spill_count: 0
    .symbol:         _ZN7rocprim17ROCPRIM_400000_NS6detail17trampoline_kernelINS0_14default_configENS1_38merge_sort_block_merge_config_selectorI6__halfNS0_10empty_typeEEEZZNS1_27merge_sort_block_merge_implIS3_PS5_PS6_jNS1_19radix_merge_compareILb0ELb0ES5_NS0_19identity_decomposerEEEEE10hipError_tT0_T1_T2_jT3_P12ihipStream_tbPNSt15iterator_traitsISF_E10value_typeEPNSL_ISG_E10value_typeEPSH_NS1_7vsmem_tEENKUlT_SF_SG_SH_E_clIS9_S9_SA_SA_EESE_SU_SF_SG_SH_EUlSU_E1_NS1_11comp_targetILNS1_3genE3ELNS1_11target_archE908ELNS1_3gpuE7ELNS1_3repE0EEENS1_36merge_oddeven_config_static_selectorELNS0_4arch9wavefront6targetE0EEEvSG_.kd
    .uniform_work_group_size: 1
    .uses_dynamic_stack: false
    .vgpr_count:     0
    .vgpr_spill_count: 0
    .wavefront_size: 32
  - .args:
      - .offset:         0
        .size:           48
        .value_kind:     by_value
    .group_segment_fixed_size: 0
    .kernarg_segment_align: 8
    .kernarg_segment_size: 48
    .language:       OpenCL C
    .language_version:
      - 2
      - 0
    .max_flat_workgroup_size: 256
    .name:           _ZN7rocprim17ROCPRIM_400000_NS6detail17trampoline_kernelINS0_14default_configENS1_38merge_sort_block_merge_config_selectorI6__halfNS0_10empty_typeEEEZZNS1_27merge_sort_block_merge_implIS3_PS5_PS6_jNS1_19radix_merge_compareILb0ELb0ES5_NS0_19identity_decomposerEEEEE10hipError_tT0_T1_T2_jT3_P12ihipStream_tbPNSt15iterator_traitsISF_E10value_typeEPNSL_ISG_E10value_typeEPSH_NS1_7vsmem_tEENKUlT_SF_SG_SH_E_clIS9_S9_SA_SA_EESE_SU_SF_SG_SH_EUlSU_E1_NS1_11comp_targetILNS1_3genE2ELNS1_11target_archE906ELNS1_3gpuE6ELNS1_3repE0EEENS1_36merge_oddeven_config_static_selectorELNS0_4arch9wavefront6targetE0EEEvSG_
    .private_segment_fixed_size: 0
    .sgpr_count:     0
    .sgpr_spill_count: 0
    .symbol:         _ZN7rocprim17ROCPRIM_400000_NS6detail17trampoline_kernelINS0_14default_configENS1_38merge_sort_block_merge_config_selectorI6__halfNS0_10empty_typeEEEZZNS1_27merge_sort_block_merge_implIS3_PS5_PS6_jNS1_19radix_merge_compareILb0ELb0ES5_NS0_19identity_decomposerEEEEE10hipError_tT0_T1_T2_jT3_P12ihipStream_tbPNSt15iterator_traitsISF_E10value_typeEPNSL_ISG_E10value_typeEPSH_NS1_7vsmem_tEENKUlT_SF_SG_SH_E_clIS9_S9_SA_SA_EESE_SU_SF_SG_SH_EUlSU_E1_NS1_11comp_targetILNS1_3genE2ELNS1_11target_archE906ELNS1_3gpuE6ELNS1_3repE0EEENS1_36merge_oddeven_config_static_selectorELNS0_4arch9wavefront6targetE0EEEvSG_.kd
    .uniform_work_group_size: 1
    .uses_dynamic_stack: false
    .vgpr_count:     0
    .vgpr_spill_count: 0
    .wavefront_size: 32
  - .args:
      - .offset:         0
        .size:           48
        .value_kind:     by_value
    .group_segment_fixed_size: 0
    .kernarg_segment_align: 8
    .kernarg_segment_size: 48
    .language:       OpenCL C
    .language_version:
      - 2
      - 0
    .max_flat_workgroup_size: 256
    .name:           _ZN7rocprim17ROCPRIM_400000_NS6detail17trampoline_kernelINS0_14default_configENS1_38merge_sort_block_merge_config_selectorI6__halfNS0_10empty_typeEEEZZNS1_27merge_sort_block_merge_implIS3_PS5_PS6_jNS1_19radix_merge_compareILb0ELb0ES5_NS0_19identity_decomposerEEEEE10hipError_tT0_T1_T2_jT3_P12ihipStream_tbPNSt15iterator_traitsISF_E10value_typeEPNSL_ISG_E10value_typeEPSH_NS1_7vsmem_tEENKUlT_SF_SG_SH_E_clIS9_S9_SA_SA_EESE_SU_SF_SG_SH_EUlSU_E1_NS1_11comp_targetILNS1_3genE9ELNS1_11target_archE1100ELNS1_3gpuE3ELNS1_3repE0EEENS1_36merge_oddeven_config_static_selectorELNS0_4arch9wavefront6targetE0EEEvSG_
    .private_segment_fixed_size: 0
    .sgpr_count:     0
    .sgpr_spill_count: 0
    .symbol:         _ZN7rocprim17ROCPRIM_400000_NS6detail17trampoline_kernelINS0_14default_configENS1_38merge_sort_block_merge_config_selectorI6__halfNS0_10empty_typeEEEZZNS1_27merge_sort_block_merge_implIS3_PS5_PS6_jNS1_19radix_merge_compareILb0ELb0ES5_NS0_19identity_decomposerEEEEE10hipError_tT0_T1_T2_jT3_P12ihipStream_tbPNSt15iterator_traitsISF_E10value_typeEPNSL_ISG_E10value_typeEPSH_NS1_7vsmem_tEENKUlT_SF_SG_SH_E_clIS9_S9_SA_SA_EESE_SU_SF_SG_SH_EUlSU_E1_NS1_11comp_targetILNS1_3genE9ELNS1_11target_archE1100ELNS1_3gpuE3ELNS1_3repE0EEENS1_36merge_oddeven_config_static_selectorELNS0_4arch9wavefront6targetE0EEEvSG_.kd
    .uniform_work_group_size: 1
    .uses_dynamic_stack: false
    .vgpr_count:     0
    .vgpr_spill_count: 0
    .wavefront_size: 32
  - .args:
      - .offset:         0
        .size:           48
        .value_kind:     by_value
    .group_segment_fixed_size: 0
    .kernarg_segment_align: 8
    .kernarg_segment_size: 48
    .language:       OpenCL C
    .language_version:
      - 2
      - 0
    .max_flat_workgroup_size: 256
    .name:           _ZN7rocprim17ROCPRIM_400000_NS6detail17trampoline_kernelINS0_14default_configENS1_38merge_sort_block_merge_config_selectorI6__halfNS0_10empty_typeEEEZZNS1_27merge_sort_block_merge_implIS3_PS5_PS6_jNS1_19radix_merge_compareILb0ELb0ES5_NS0_19identity_decomposerEEEEE10hipError_tT0_T1_T2_jT3_P12ihipStream_tbPNSt15iterator_traitsISF_E10value_typeEPNSL_ISG_E10value_typeEPSH_NS1_7vsmem_tEENKUlT_SF_SG_SH_E_clIS9_S9_SA_SA_EESE_SU_SF_SG_SH_EUlSU_E1_NS1_11comp_targetILNS1_3genE8ELNS1_11target_archE1030ELNS1_3gpuE2ELNS1_3repE0EEENS1_36merge_oddeven_config_static_selectorELNS0_4arch9wavefront6targetE0EEEvSG_
    .private_segment_fixed_size: 0
    .sgpr_count:     0
    .sgpr_spill_count: 0
    .symbol:         _ZN7rocprim17ROCPRIM_400000_NS6detail17trampoline_kernelINS0_14default_configENS1_38merge_sort_block_merge_config_selectorI6__halfNS0_10empty_typeEEEZZNS1_27merge_sort_block_merge_implIS3_PS5_PS6_jNS1_19radix_merge_compareILb0ELb0ES5_NS0_19identity_decomposerEEEEE10hipError_tT0_T1_T2_jT3_P12ihipStream_tbPNSt15iterator_traitsISF_E10value_typeEPNSL_ISG_E10value_typeEPSH_NS1_7vsmem_tEENKUlT_SF_SG_SH_E_clIS9_S9_SA_SA_EESE_SU_SF_SG_SH_EUlSU_E1_NS1_11comp_targetILNS1_3genE8ELNS1_11target_archE1030ELNS1_3gpuE2ELNS1_3repE0EEENS1_36merge_oddeven_config_static_selectorELNS0_4arch9wavefront6targetE0EEEvSG_.kd
    .uniform_work_group_size: 1
    .uses_dynamic_stack: false
    .vgpr_count:     0
    .vgpr_spill_count: 0
    .wavefront_size: 32
  - .args:
      - .offset:         0
        .size:           48
        .value_kind:     by_value
    .group_segment_fixed_size: 8192
    .kernarg_segment_align: 8
    .kernarg_segment_size: 48
    .language:       OpenCL C
    .language_version:
      - 2
      - 0
    .max_flat_workgroup_size: 512
    .name:           _ZN7rocprim17ROCPRIM_400000_NS6detail17trampoline_kernelINS0_14default_configENS1_35radix_sort_onesweep_config_selectorI6__halfNS0_10empty_typeEEEZNS1_34radix_sort_onesweep_global_offsetsIS3_Lb0EPKS5_PS6_mNS0_19identity_decomposerEEE10hipError_tT1_T2_PT3_SG_jT4_jjP12ihipStream_tbEUlT_E_NS1_11comp_targetILNS1_3genE0ELNS1_11target_archE4294967295ELNS1_3gpuE0ELNS1_3repE0EEENS1_52radix_sort_onesweep_histogram_config_static_selectorELNS0_4arch9wavefront6targetE0EEEvSE_
    .private_segment_fixed_size: 0
    .sgpr_count:     15
    .sgpr_spill_count: 0
    .symbol:         _ZN7rocprim17ROCPRIM_400000_NS6detail17trampoline_kernelINS0_14default_configENS1_35radix_sort_onesweep_config_selectorI6__halfNS0_10empty_typeEEEZNS1_34radix_sort_onesweep_global_offsetsIS3_Lb0EPKS5_PS6_mNS0_19identity_decomposerEEE10hipError_tT1_T2_PT3_SG_jT4_jjP12ihipStream_tbEUlT_E_NS1_11comp_targetILNS1_3genE0ELNS1_11target_archE4294967295ELNS1_3gpuE0ELNS1_3repE0EEENS1_52radix_sort_onesweep_histogram_config_static_selectorELNS0_4arch9wavefront6targetE0EEEvSE_.kd
    .uniform_work_group_size: 1
    .uses_dynamic_stack: false
    .vgpr_count:     28
    .vgpr_spill_count: 0
    .wavefront_size: 32
  - .args:
      - .offset:         0
        .size:           48
        .value_kind:     by_value
    .group_segment_fixed_size: 0
    .kernarg_segment_align: 8
    .kernarg_segment_size: 48
    .language:       OpenCL C
    .language_version:
      - 2
      - 0
    .max_flat_workgroup_size: 1024
    .name:           _ZN7rocprim17ROCPRIM_400000_NS6detail17trampoline_kernelINS0_14default_configENS1_35radix_sort_onesweep_config_selectorI6__halfNS0_10empty_typeEEEZNS1_34radix_sort_onesweep_global_offsetsIS3_Lb0EPKS5_PS6_mNS0_19identity_decomposerEEE10hipError_tT1_T2_PT3_SG_jT4_jjP12ihipStream_tbEUlT_E_NS1_11comp_targetILNS1_3genE6ELNS1_11target_archE950ELNS1_3gpuE13ELNS1_3repE0EEENS1_52radix_sort_onesweep_histogram_config_static_selectorELNS0_4arch9wavefront6targetE0EEEvSE_
    .private_segment_fixed_size: 0
    .sgpr_count:     0
    .sgpr_spill_count: 0
    .symbol:         _ZN7rocprim17ROCPRIM_400000_NS6detail17trampoline_kernelINS0_14default_configENS1_35radix_sort_onesweep_config_selectorI6__halfNS0_10empty_typeEEEZNS1_34radix_sort_onesweep_global_offsetsIS3_Lb0EPKS5_PS6_mNS0_19identity_decomposerEEE10hipError_tT1_T2_PT3_SG_jT4_jjP12ihipStream_tbEUlT_E_NS1_11comp_targetILNS1_3genE6ELNS1_11target_archE950ELNS1_3gpuE13ELNS1_3repE0EEENS1_52radix_sort_onesweep_histogram_config_static_selectorELNS0_4arch9wavefront6targetE0EEEvSE_.kd
    .uniform_work_group_size: 1
    .uses_dynamic_stack: false
    .vgpr_count:     0
    .vgpr_spill_count: 0
    .wavefront_size: 32
  - .args:
      - .offset:         0
        .size:           48
        .value_kind:     by_value
    .group_segment_fixed_size: 0
    .kernarg_segment_align: 8
    .kernarg_segment_size: 48
    .language:       OpenCL C
    .language_version:
      - 2
      - 0
    .max_flat_workgroup_size: 1024
    .name:           _ZN7rocprim17ROCPRIM_400000_NS6detail17trampoline_kernelINS0_14default_configENS1_35radix_sort_onesweep_config_selectorI6__halfNS0_10empty_typeEEEZNS1_34radix_sort_onesweep_global_offsetsIS3_Lb0EPKS5_PS6_mNS0_19identity_decomposerEEE10hipError_tT1_T2_PT3_SG_jT4_jjP12ihipStream_tbEUlT_E_NS1_11comp_targetILNS1_3genE5ELNS1_11target_archE942ELNS1_3gpuE9ELNS1_3repE0EEENS1_52radix_sort_onesweep_histogram_config_static_selectorELNS0_4arch9wavefront6targetE0EEEvSE_
    .private_segment_fixed_size: 0
    .sgpr_count:     0
    .sgpr_spill_count: 0
    .symbol:         _ZN7rocprim17ROCPRIM_400000_NS6detail17trampoline_kernelINS0_14default_configENS1_35radix_sort_onesweep_config_selectorI6__halfNS0_10empty_typeEEEZNS1_34radix_sort_onesweep_global_offsetsIS3_Lb0EPKS5_PS6_mNS0_19identity_decomposerEEE10hipError_tT1_T2_PT3_SG_jT4_jjP12ihipStream_tbEUlT_E_NS1_11comp_targetILNS1_3genE5ELNS1_11target_archE942ELNS1_3gpuE9ELNS1_3repE0EEENS1_52radix_sort_onesweep_histogram_config_static_selectorELNS0_4arch9wavefront6targetE0EEEvSE_.kd
    .uniform_work_group_size: 1
    .uses_dynamic_stack: false
    .vgpr_count:     0
    .vgpr_spill_count: 0
    .wavefront_size: 32
  - .args:
      - .offset:         0
        .size:           48
        .value_kind:     by_value
    .group_segment_fixed_size: 0
    .kernarg_segment_align: 8
    .kernarg_segment_size: 48
    .language:       OpenCL C
    .language_version:
      - 2
      - 0
    .max_flat_workgroup_size: 512
    .name:           _ZN7rocprim17ROCPRIM_400000_NS6detail17trampoline_kernelINS0_14default_configENS1_35radix_sort_onesweep_config_selectorI6__halfNS0_10empty_typeEEEZNS1_34radix_sort_onesweep_global_offsetsIS3_Lb0EPKS5_PS6_mNS0_19identity_decomposerEEE10hipError_tT1_T2_PT3_SG_jT4_jjP12ihipStream_tbEUlT_E_NS1_11comp_targetILNS1_3genE2ELNS1_11target_archE906ELNS1_3gpuE6ELNS1_3repE0EEENS1_52radix_sort_onesweep_histogram_config_static_selectorELNS0_4arch9wavefront6targetE0EEEvSE_
    .private_segment_fixed_size: 0
    .sgpr_count:     0
    .sgpr_spill_count: 0
    .symbol:         _ZN7rocprim17ROCPRIM_400000_NS6detail17trampoline_kernelINS0_14default_configENS1_35radix_sort_onesweep_config_selectorI6__halfNS0_10empty_typeEEEZNS1_34radix_sort_onesweep_global_offsetsIS3_Lb0EPKS5_PS6_mNS0_19identity_decomposerEEE10hipError_tT1_T2_PT3_SG_jT4_jjP12ihipStream_tbEUlT_E_NS1_11comp_targetILNS1_3genE2ELNS1_11target_archE906ELNS1_3gpuE6ELNS1_3repE0EEENS1_52radix_sort_onesweep_histogram_config_static_selectorELNS0_4arch9wavefront6targetE0EEEvSE_.kd
    .uniform_work_group_size: 1
    .uses_dynamic_stack: false
    .vgpr_count:     0
    .vgpr_spill_count: 0
    .wavefront_size: 32
  - .args:
      - .offset:         0
        .size:           48
        .value_kind:     by_value
    .group_segment_fixed_size: 0
    .kernarg_segment_align: 8
    .kernarg_segment_size: 48
    .language:       OpenCL C
    .language_version:
      - 2
      - 0
    .max_flat_workgroup_size: 1024
    .name:           _ZN7rocprim17ROCPRIM_400000_NS6detail17trampoline_kernelINS0_14default_configENS1_35radix_sort_onesweep_config_selectorI6__halfNS0_10empty_typeEEEZNS1_34radix_sort_onesweep_global_offsetsIS3_Lb0EPKS5_PS6_mNS0_19identity_decomposerEEE10hipError_tT1_T2_PT3_SG_jT4_jjP12ihipStream_tbEUlT_E_NS1_11comp_targetILNS1_3genE4ELNS1_11target_archE910ELNS1_3gpuE8ELNS1_3repE0EEENS1_52radix_sort_onesweep_histogram_config_static_selectorELNS0_4arch9wavefront6targetE0EEEvSE_
    .private_segment_fixed_size: 0
    .sgpr_count:     0
    .sgpr_spill_count: 0
    .symbol:         _ZN7rocprim17ROCPRIM_400000_NS6detail17trampoline_kernelINS0_14default_configENS1_35radix_sort_onesweep_config_selectorI6__halfNS0_10empty_typeEEEZNS1_34radix_sort_onesweep_global_offsetsIS3_Lb0EPKS5_PS6_mNS0_19identity_decomposerEEE10hipError_tT1_T2_PT3_SG_jT4_jjP12ihipStream_tbEUlT_E_NS1_11comp_targetILNS1_3genE4ELNS1_11target_archE910ELNS1_3gpuE8ELNS1_3repE0EEENS1_52radix_sort_onesweep_histogram_config_static_selectorELNS0_4arch9wavefront6targetE0EEEvSE_.kd
    .uniform_work_group_size: 1
    .uses_dynamic_stack: false
    .vgpr_count:     0
    .vgpr_spill_count: 0
    .wavefront_size: 32
  - .args:
      - .offset:         0
        .size:           48
        .value_kind:     by_value
    .group_segment_fixed_size: 0
    .kernarg_segment_align: 8
    .kernarg_segment_size: 48
    .language:       OpenCL C
    .language_version:
      - 2
      - 0
    .max_flat_workgroup_size: 512
    .name:           _ZN7rocprim17ROCPRIM_400000_NS6detail17trampoline_kernelINS0_14default_configENS1_35radix_sort_onesweep_config_selectorI6__halfNS0_10empty_typeEEEZNS1_34radix_sort_onesweep_global_offsetsIS3_Lb0EPKS5_PS6_mNS0_19identity_decomposerEEE10hipError_tT1_T2_PT3_SG_jT4_jjP12ihipStream_tbEUlT_E_NS1_11comp_targetILNS1_3genE3ELNS1_11target_archE908ELNS1_3gpuE7ELNS1_3repE0EEENS1_52radix_sort_onesweep_histogram_config_static_selectorELNS0_4arch9wavefront6targetE0EEEvSE_
    .private_segment_fixed_size: 0
    .sgpr_count:     0
    .sgpr_spill_count: 0
    .symbol:         _ZN7rocprim17ROCPRIM_400000_NS6detail17trampoline_kernelINS0_14default_configENS1_35radix_sort_onesweep_config_selectorI6__halfNS0_10empty_typeEEEZNS1_34radix_sort_onesweep_global_offsetsIS3_Lb0EPKS5_PS6_mNS0_19identity_decomposerEEE10hipError_tT1_T2_PT3_SG_jT4_jjP12ihipStream_tbEUlT_E_NS1_11comp_targetILNS1_3genE3ELNS1_11target_archE908ELNS1_3gpuE7ELNS1_3repE0EEENS1_52radix_sort_onesweep_histogram_config_static_selectorELNS0_4arch9wavefront6targetE0EEEvSE_.kd
    .uniform_work_group_size: 1
    .uses_dynamic_stack: false
    .vgpr_count:     0
    .vgpr_spill_count: 0
    .wavefront_size: 32
  - .args:
      - .offset:         0
        .size:           48
        .value_kind:     by_value
    .group_segment_fixed_size: 0
    .kernarg_segment_align: 8
    .kernarg_segment_size: 48
    .language:       OpenCL C
    .language_version:
      - 2
      - 0
    .max_flat_workgroup_size: 256
    .name:           _ZN7rocprim17ROCPRIM_400000_NS6detail17trampoline_kernelINS0_14default_configENS1_35radix_sort_onesweep_config_selectorI6__halfNS0_10empty_typeEEEZNS1_34radix_sort_onesweep_global_offsetsIS3_Lb0EPKS5_PS6_mNS0_19identity_decomposerEEE10hipError_tT1_T2_PT3_SG_jT4_jjP12ihipStream_tbEUlT_E_NS1_11comp_targetILNS1_3genE10ELNS1_11target_archE1201ELNS1_3gpuE5ELNS1_3repE0EEENS1_52radix_sort_onesweep_histogram_config_static_selectorELNS0_4arch9wavefront6targetE0EEEvSE_
    .private_segment_fixed_size: 0
    .sgpr_count:     0
    .sgpr_spill_count: 0
    .symbol:         _ZN7rocprim17ROCPRIM_400000_NS6detail17trampoline_kernelINS0_14default_configENS1_35radix_sort_onesweep_config_selectorI6__halfNS0_10empty_typeEEEZNS1_34radix_sort_onesweep_global_offsetsIS3_Lb0EPKS5_PS6_mNS0_19identity_decomposerEEE10hipError_tT1_T2_PT3_SG_jT4_jjP12ihipStream_tbEUlT_E_NS1_11comp_targetILNS1_3genE10ELNS1_11target_archE1201ELNS1_3gpuE5ELNS1_3repE0EEENS1_52radix_sort_onesweep_histogram_config_static_selectorELNS0_4arch9wavefront6targetE0EEEvSE_.kd
    .uniform_work_group_size: 1
    .uses_dynamic_stack: false
    .vgpr_count:     0
    .vgpr_spill_count: 0
    .wavefront_size: 32
  - .args:
      - .offset:         0
        .size:           48
        .value_kind:     by_value
    .group_segment_fixed_size: 0
    .kernarg_segment_align: 8
    .kernarg_segment_size: 48
    .language:       OpenCL C
    .language_version:
      - 2
      - 0
    .max_flat_workgroup_size: 256
    .name:           _ZN7rocprim17ROCPRIM_400000_NS6detail17trampoline_kernelINS0_14default_configENS1_35radix_sort_onesweep_config_selectorI6__halfNS0_10empty_typeEEEZNS1_34radix_sort_onesweep_global_offsetsIS3_Lb0EPKS5_PS6_mNS0_19identity_decomposerEEE10hipError_tT1_T2_PT3_SG_jT4_jjP12ihipStream_tbEUlT_E_NS1_11comp_targetILNS1_3genE9ELNS1_11target_archE1100ELNS1_3gpuE3ELNS1_3repE0EEENS1_52radix_sort_onesweep_histogram_config_static_selectorELNS0_4arch9wavefront6targetE0EEEvSE_
    .private_segment_fixed_size: 0
    .sgpr_count:     0
    .sgpr_spill_count: 0
    .symbol:         _ZN7rocprim17ROCPRIM_400000_NS6detail17trampoline_kernelINS0_14default_configENS1_35radix_sort_onesweep_config_selectorI6__halfNS0_10empty_typeEEEZNS1_34radix_sort_onesweep_global_offsetsIS3_Lb0EPKS5_PS6_mNS0_19identity_decomposerEEE10hipError_tT1_T2_PT3_SG_jT4_jjP12ihipStream_tbEUlT_E_NS1_11comp_targetILNS1_3genE9ELNS1_11target_archE1100ELNS1_3gpuE3ELNS1_3repE0EEENS1_52radix_sort_onesweep_histogram_config_static_selectorELNS0_4arch9wavefront6targetE0EEEvSE_.kd
    .uniform_work_group_size: 1
    .uses_dynamic_stack: false
    .vgpr_count:     0
    .vgpr_spill_count: 0
    .wavefront_size: 32
  - .args:
      - .offset:         0
        .size:           48
        .value_kind:     by_value
    .group_segment_fixed_size: 0
    .kernarg_segment_align: 8
    .kernarg_segment_size: 48
    .language:       OpenCL C
    .language_version:
      - 2
      - 0
    .max_flat_workgroup_size: 256
    .name:           _ZN7rocprim17ROCPRIM_400000_NS6detail17trampoline_kernelINS0_14default_configENS1_35radix_sort_onesweep_config_selectorI6__halfNS0_10empty_typeEEEZNS1_34radix_sort_onesweep_global_offsetsIS3_Lb0EPKS5_PS6_mNS0_19identity_decomposerEEE10hipError_tT1_T2_PT3_SG_jT4_jjP12ihipStream_tbEUlT_E_NS1_11comp_targetILNS1_3genE8ELNS1_11target_archE1030ELNS1_3gpuE2ELNS1_3repE0EEENS1_52radix_sort_onesweep_histogram_config_static_selectorELNS0_4arch9wavefront6targetE0EEEvSE_
    .private_segment_fixed_size: 0
    .sgpr_count:     0
    .sgpr_spill_count: 0
    .symbol:         _ZN7rocprim17ROCPRIM_400000_NS6detail17trampoline_kernelINS0_14default_configENS1_35radix_sort_onesweep_config_selectorI6__halfNS0_10empty_typeEEEZNS1_34radix_sort_onesweep_global_offsetsIS3_Lb0EPKS5_PS6_mNS0_19identity_decomposerEEE10hipError_tT1_T2_PT3_SG_jT4_jjP12ihipStream_tbEUlT_E_NS1_11comp_targetILNS1_3genE8ELNS1_11target_archE1030ELNS1_3gpuE2ELNS1_3repE0EEENS1_52radix_sort_onesweep_histogram_config_static_selectorELNS0_4arch9wavefront6targetE0EEEvSE_.kd
    .uniform_work_group_size: 1
    .uses_dynamic_stack: false
    .vgpr_count:     0
    .vgpr_spill_count: 0
    .wavefront_size: 32
  - .args:
      - .address_space:  global
        .offset:         0
        .size:           8
        .value_kind:     global_buffer
    .group_segment_fixed_size: 128
    .kernarg_segment_align: 8
    .kernarg_segment_size: 8
    .language:       OpenCL C
    .language_version:
      - 2
      - 0
    .max_flat_workgroup_size: 512
    .name:           _ZN7rocprim17ROCPRIM_400000_NS6detail17trampoline_kernelINS0_14default_configENS1_35radix_sort_onesweep_config_selectorI6__halfNS0_10empty_typeEEEZNS1_34radix_sort_onesweep_global_offsetsIS3_Lb0EPKS5_PS6_mNS0_19identity_decomposerEEE10hipError_tT1_T2_PT3_SG_jT4_jjP12ihipStream_tbEUlT_E0_NS1_11comp_targetILNS1_3genE0ELNS1_11target_archE4294967295ELNS1_3gpuE0ELNS1_3repE0EEENS1_52radix_sort_onesweep_histogram_config_static_selectorELNS0_4arch9wavefront6targetE0EEEvSE_
    .private_segment_fixed_size: 0
    .sgpr_count:     10
    .sgpr_spill_count: 0
    .symbol:         _ZN7rocprim17ROCPRIM_400000_NS6detail17trampoline_kernelINS0_14default_configENS1_35radix_sort_onesweep_config_selectorI6__halfNS0_10empty_typeEEEZNS1_34radix_sort_onesweep_global_offsetsIS3_Lb0EPKS5_PS6_mNS0_19identity_decomposerEEE10hipError_tT1_T2_PT3_SG_jT4_jjP12ihipStream_tbEUlT_E0_NS1_11comp_targetILNS1_3genE0ELNS1_11target_archE4294967295ELNS1_3gpuE0ELNS1_3repE0EEENS1_52radix_sort_onesweep_histogram_config_static_selectorELNS0_4arch9wavefront6targetE0EEEvSE_.kd
    .uniform_work_group_size: 1
    .uses_dynamic_stack: false
    .vgpr_count:     14
    .vgpr_spill_count: 0
    .wavefront_size: 32
  - .args:
      - .address_space:  global
        .offset:         0
        .size:           8
        .value_kind:     global_buffer
    .group_segment_fixed_size: 0
    .kernarg_segment_align: 8
    .kernarg_segment_size: 8
    .language:       OpenCL C
    .language_version:
      - 2
      - 0
    .max_flat_workgroup_size: 1024
    .name:           _ZN7rocprim17ROCPRIM_400000_NS6detail17trampoline_kernelINS0_14default_configENS1_35radix_sort_onesweep_config_selectorI6__halfNS0_10empty_typeEEEZNS1_34radix_sort_onesweep_global_offsetsIS3_Lb0EPKS5_PS6_mNS0_19identity_decomposerEEE10hipError_tT1_T2_PT3_SG_jT4_jjP12ihipStream_tbEUlT_E0_NS1_11comp_targetILNS1_3genE6ELNS1_11target_archE950ELNS1_3gpuE13ELNS1_3repE0EEENS1_52radix_sort_onesweep_histogram_config_static_selectorELNS0_4arch9wavefront6targetE0EEEvSE_
    .private_segment_fixed_size: 0
    .sgpr_count:     0
    .sgpr_spill_count: 0
    .symbol:         _ZN7rocprim17ROCPRIM_400000_NS6detail17trampoline_kernelINS0_14default_configENS1_35radix_sort_onesweep_config_selectorI6__halfNS0_10empty_typeEEEZNS1_34radix_sort_onesweep_global_offsetsIS3_Lb0EPKS5_PS6_mNS0_19identity_decomposerEEE10hipError_tT1_T2_PT3_SG_jT4_jjP12ihipStream_tbEUlT_E0_NS1_11comp_targetILNS1_3genE6ELNS1_11target_archE950ELNS1_3gpuE13ELNS1_3repE0EEENS1_52radix_sort_onesweep_histogram_config_static_selectorELNS0_4arch9wavefront6targetE0EEEvSE_.kd
    .uniform_work_group_size: 1
    .uses_dynamic_stack: false
    .vgpr_count:     0
    .vgpr_spill_count: 0
    .wavefront_size: 32
  - .args:
      - .address_space:  global
        .offset:         0
        .size:           8
        .value_kind:     global_buffer
    .group_segment_fixed_size: 0
    .kernarg_segment_align: 8
    .kernarg_segment_size: 8
    .language:       OpenCL C
    .language_version:
      - 2
      - 0
    .max_flat_workgroup_size: 1024
    .name:           _ZN7rocprim17ROCPRIM_400000_NS6detail17trampoline_kernelINS0_14default_configENS1_35radix_sort_onesweep_config_selectorI6__halfNS0_10empty_typeEEEZNS1_34radix_sort_onesweep_global_offsetsIS3_Lb0EPKS5_PS6_mNS0_19identity_decomposerEEE10hipError_tT1_T2_PT3_SG_jT4_jjP12ihipStream_tbEUlT_E0_NS1_11comp_targetILNS1_3genE5ELNS1_11target_archE942ELNS1_3gpuE9ELNS1_3repE0EEENS1_52radix_sort_onesweep_histogram_config_static_selectorELNS0_4arch9wavefront6targetE0EEEvSE_
    .private_segment_fixed_size: 0
    .sgpr_count:     0
    .sgpr_spill_count: 0
    .symbol:         _ZN7rocprim17ROCPRIM_400000_NS6detail17trampoline_kernelINS0_14default_configENS1_35radix_sort_onesweep_config_selectorI6__halfNS0_10empty_typeEEEZNS1_34radix_sort_onesweep_global_offsetsIS3_Lb0EPKS5_PS6_mNS0_19identity_decomposerEEE10hipError_tT1_T2_PT3_SG_jT4_jjP12ihipStream_tbEUlT_E0_NS1_11comp_targetILNS1_3genE5ELNS1_11target_archE942ELNS1_3gpuE9ELNS1_3repE0EEENS1_52radix_sort_onesweep_histogram_config_static_selectorELNS0_4arch9wavefront6targetE0EEEvSE_.kd
    .uniform_work_group_size: 1
    .uses_dynamic_stack: false
    .vgpr_count:     0
    .vgpr_spill_count: 0
    .wavefront_size: 32
  - .args:
      - .address_space:  global
        .offset:         0
        .size:           8
        .value_kind:     global_buffer
    .group_segment_fixed_size: 0
    .kernarg_segment_align: 8
    .kernarg_segment_size: 8
    .language:       OpenCL C
    .language_version:
      - 2
      - 0
    .max_flat_workgroup_size: 512
    .name:           _ZN7rocprim17ROCPRIM_400000_NS6detail17trampoline_kernelINS0_14default_configENS1_35radix_sort_onesweep_config_selectorI6__halfNS0_10empty_typeEEEZNS1_34radix_sort_onesweep_global_offsetsIS3_Lb0EPKS5_PS6_mNS0_19identity_decomposerEEE10hipError_tT1_T2_PT3_SG_jT4_jjP12ihipStream_tbEUlT_E0_NS1_11comp_targetILNS1_3genE2ELNS1_11target_archE906ELNS1_3gpuE6ELNS1_3repE0EEENS1_52radix_sort_onesweep_histogram_config_static_selectorELNS0_4arch9wavefront6targetE0EEEvSE_
    .private_segment_fixed_size: 0
    .sgpr_count:     0
    .sgpr_spill_count: 0
    .symbol:         _ZN7rocprim17ROCPRIM_400000_NS6detail17trampoline_kernelINS0_14default_configENS1_35radix_sort_onesweep_config_selectorI6__halfNS0_10empty_typeEEEZNS1_34radix_sort_onesweep_global_offsetsIS3_Lb0EPKS5_PS6_mNS0_19identity_decomposerEEE10hipError_tT1_T2_PT3_SG_jT4_jjP12ihipStream_tbEUlT_E0_NS1_11comp_targetILNS1_3genE2ELNS1_11target_archE906ELNS1_3gpuE6ELNS1_3repE0EEENS1_52radix_sort_onesweep_histogram_config_static_selectorELNS0_4arch9wavefront6targetE0EEEvSE_.kd
    .uniform_work_group_size: 1
    .uses_dynamic_stack: false
    .vgpr_count:     0
    .vgpr_spill_count: 0
    .wavefront_size: 32
  - .args:
      - .address_space:  global
        .offset:         0
        .size:           8
        .value_kind:     global_buffer
    .group_segment_fixed_size: 0
    .kernarg_segment_align: 8
    .kernarg_segment_size: 8
    .language:       OpenCL C
    .language_version:
      - 2
      - 0
    .max_flat_workgroup_size: 1024
    .name:           _ZN7rocprim17ROCPRIM_400000_NS6detail17trampoline_kernelINS0_14default_configENS1_35radix_sort_onesweep_config_selectorI6__halfNS0_10empty_typeEEEZNS1_34radix_sort_onesweep_global_offsetsIS3_Lb0EPKS5_PS6_mNS0_19identity_decomposerEEE10hipError_tT1_T2_PT3_SG_jT4_jjP12ihipStream_tbEUlT_E0_NS1_11comp_targetILNS1_3genE4ELNS1_11target_archE910ELNS1_3gpuE8ELNS1_3repE0EEENS1_52radix_sort_onesweep_histogram_config_static_selectorELNS0_4arch9wavefront6targetE0EEEvSE_
    .private_segment_fixed_size: 0
    .sgpr_count:     0
    .sgpr_spill_count: 0
    .symbol:         _ZN7rocprim17ROCPRIM_400000_NS6detail17trampoline_kernelINS0_14default_configENS1_35radix_sort_onesweep_config_selectorI6__halfNS0_10empty_typeEEEZNS1_34radix_sort_onesweep_global_offsetsIS3_Lb0EPKS5_PS6_mNS0_19identity_decomposerEEE10hipError_tT1_T2_PT3_SG_jT4_jjP12ihipStream_tbEUlT_E0_NS1_11comp_targetILNS1_3genE4ELNS1_11target_archE910ELNS1_3gpuE8ELNS1_3repE0EEENS1_52radix_sort_onesweep_histogram_config_static_selectorELNS0_4arch9wavefront6targetE0EEEvSE_.kd
    .uniform_work_group_size: 1
    .uses_dynamic_stack: false
    .vgpr_count:     0
    .vgpr_spill_count: 0
    .wavefront_size: 32
  - .args:
      - .address_space:  global
        .offset:         0
        .size:           8
        .value_kind:     global_buffer
    .group_segment_fixed_size: 0
    .kernarg_segment_align: 8
    .kernarg_segment_size: 8
    .language:       OpenCL C
    .language_version:
      - 2
      - 0
    .max_flat_workgroup_size: 512
    .name:           _ZN7rocprim17ROCPRIM_400000_NS6detail17trampoline_kernelINS0_14default_configENS1_35radix_sort_onesweep_config_selectorI6__halfNS0_10empty_typeEEEZNS1_34radix_sort_onesweep_global_offsetsIS3_Lb0EPKS5_PS6_mNS0_19identity_decomposerEEE10hipError_tT1_T2_PT3_SG_jT4_jjP12ihipStream_tbEUlT_E0_NS1_11comp_targetILNS1_3genE3ELNS1_11target_archE908ELNS1_3gpuE7ELNS1_3repE0EEENS1_52radix_sort_onesweep_histogram_config_static_selectorELNS0_4arch9wavefront6targetE0EEEvSE_
    .private_segment_fixed_size: 0
    .sgpr_count:     0
    .sgpr_spill_count: 0
    .symbol:         _ZN7rocprim17ROCPRIM_400000_NS6detail17trampoline_kernelINS0_14default_configENS1_35radix_sort_onesweep_config_selectorI6__halfNS0_10empty_typeEEEZNS1_34radix_sort_onesweep_global_offsetsIS3_Lb0EPKS5_PS6_mNS0_19identity_decomposerEEE10hipError_tT1_T2_PT3_SG_jT4_jjP12ihipStream_tbEUlT_E0_NS1_11comp_targetILNS1_3genE3ELNS1_11target_archE908ELNS1_3gpuE7ELNS1_3repE0EEENS1_52radix_sort_onesweep_histogram_config_static_selectorELNS0_4arch9wavefront6targetE0EEEvSE_.kd
    .uniform_work_group_size: 1
    .uses_dynamic_stack: false
    .vgpr_count:     0
    .vgpr_spill_count: 0
    .wavefront_size: 32
  - .args:
      - .address_space:  global
        .offset:         0
        .size:           8
        .value_kind:     global_buffer
    .group_segment_fixed_size: 0
    .kernarg_segment_align: 8
    .kernarg_segment_size: 8
    .language:       OpenCL C
    .language_version:
      - 2
      - 0
    .max_flat_workgroup_size: 256
    .name:           _ZN7rocprim17ROCPRIM_400000_NS6detail17trampoline_kernelINS0_14default_configENS1_35radix_sort_onesweep_config_selectorI6__halfNS0_10empty_typeEEEZNS1_34radix_sort_onesweep_global_offsetsIS3_Lb0EPKS5_PS6_mNS0_19identity_decomposerEEE10hipError_tT1_T2_PT3_SG_jT4_jjP12ihipStream_tbEUlT_E0_NS1_11comp_targetILNS1_3genE10ELNS1_11target_archE1201ELNS1_3gpuE5ELNS1_3repE0EEENS1_52radix_sort_onesweep_histogram_config_static_selectorELNS0_4arch9wavefront6targetE0EEEvSE_
    .private_segment_fixed_size: 0
    .sgpr_count:     0
    .sgpr_spill_count: 0
    .symbol:         _ZN7rocprim17ROCPRIM_400000_NS6detail17trampoline_kernelINS0_14default_configENS1_35radix_sort_onesweep_config_selectorI6__halfNS0_10empty_typeEEEZNS1_34radix_sort_onesweep_global_offsetsIS3_Lb0EPKS5_PS6_mNS0_19identity_decomposerEEE10hipError_tT1_T2_PT3_SG_jT4_jjP12ihipStream_tbEUlT_E0_NS1_11comp_targetILNS1_3genE10ELNS1_11target_archE1201ELNS1_3gpuE5ELNS1_3repE0EEENS1_52radix_sort_onesweep_histogram_config_static_selectorELNS0_4arch9wavefront6targetE0EEEvSE_.kd
    .uniform_work_group_size: 1
    .uses_dynamic_stack: false
    .vgpr_count:     0
    .vgpr_spill_count: 0
    .wavefront_size: 32
  - .args:
      - .address_space:  global
        .offset:         0
        .size:           8
        .value_kind:     global_buffer
    .group_segment_fixed_size: 0
    .kernarg_segment_align: 8
    .kernarg_segment_size: 8
    .language:       OpenCL C
    .language_version:
      - 2
      - 0
    .max_flat_workgroup_size: 256
    .name:           _ZN7rocprim17ROCPRIM_400000_NS6detail17trampoline_kernelINS0_14default_configENS1_35radix_sort_onesweep_config_selectorI6__halfNS0_10empty_typeEEEZNS1_34radix_sort_onesweep_global_offsetsIS3_Lb0EPKS5_PS6_mNS0_19identity_decomposerEEE10hipError_tT1_T2_PT3_SG_jT4_jjP12ihipStream_tbEUlT_E0_NS1_11comp_targetILNS1_3genE9ELNS1_11target_archE1100ELNS1_3gpuE3ELNS1_3repE0EEENS1_52radix_sort_onesweep_histogram_config_static_selectorELNS0_4arch9wavefront6targetE0EEEvSE_
    .private_segment_fixed_size: 0
    .sgpr_count:     0
    .sgpr_spill_count: 0
    .symbol:         _ZN7rocprim17ROCPRIM_400000_NS6detail17trampoline_kernelINS0_14default_configENS1_35radix_sort_onesweep_config_selectorI6__halfNS0_10empty_typeEEEZNS1_34radix_sort_onesweep_global_offsetsIS3_Lb0EPKS5_PS6_mNS0_19identity_decomposerEEE10hipError_tT1_T2_PT3_SG_jT4_jjP12ihipStream_tbEUlT_E0_NS1_11comp_targetILNS1_3genE9ELNS1_11target_archE1100ELNS1_3gpuE3ELNS1_3repE0EEENS1_52radix_sort_onesweep_histogram_config_static_selectorELNS0_4arch9wavefront6targetE0EEEvSE_.kd
    .uniform_work_group_size: 1
    .uses_dynamic_stack: false
    .vgpr_count:     0
    .vgpr_spill_count: 0
    .wavefront_size: 32
  - .args:
      - .address_space:  global
        .offset:         0
        .size:           8
        .value_kind:     global_buffer
    .group_segment_fixed_size: 0
    .kernarg_segment_align: 8
    .kernarg_segment_size: 8
    .language:       OpenCL C
    .language_version:
      - 2
      - 0
    .max_flat_workgroup_size: 256
    .name:           _ZN7rocprim17ROCPRIM_400000_NS6detail17trampoline_kernelINS0_14default_configENS1_35radix_sort_onesweep_config_selectorI6__halfNS0_10empty_typeEEEZNS1_34radix_sort_onesweep_global_offsetsIS3_Lb0EPKS5_PS6_mNS0_19identity_decomposerEEE10hipError_tT1_T2_PT3_SG_jT4_jjP12ihipStream_tbEUlT_E0_NS1_11comp_targetILNS1_3genE8ELNS1_11target_archE1030ELNS1_3gpuE2ELNS1_3repE0EEENS1_52radix_sort_onesweep_histogram_config_static_selectorELNS0_4arch9wavefront6targetE0EEEvSE_
    .private_segment_fixed_size: 0
    .sgpr_count:     0
    .sgpr_spill_count: 0
    .symbol:         _ZN7rocprim17ROCPRIM_400000_NS6detail17trampoline_kernelINS0_14default_configENS1_35radix_sort_onesweep_config_selectorI6__halfNS0_10empty_typeEEEZNS1_34radix_sort_onesweep_global_offsetsIS3_Lb0EPKS5_PS6_mNS0_19identity_decomposerEEE10hipError_tT1_T2_PT3_SG_jT4_jjP12ihipStream_tbEUlT_E0_NS1_11comp_targetILNS1_3genE8ELNS1_11target_archE1030ELNS1_3gpuE2ELNS1_3repE0EEENS1_52radix_sort_onesweep_histogram_config_static_selectorELNS0_4arch9wavefront6targetE0EEEvSE_.kd
    .uniform_work_group_size: 1
    .uses_dynamic_stack: false
    .vgpr_count:     0
    .vgpr_spill_count: 0
    .wavefront_size: 32
  - .args:
      - .offset:         0
        .size:           88
        .value_kind:     by_value
      - .offset:         88
        .size:           4
        .value_kind:     hidden_block_count_x
      - .offset:         92
        .size:           4
        .value_kind:     hidden_block_count_y
      - .offset:         96
        .size:           4
        .value_kind:     hidden_block_count_z
      - .offset:         100
        .size:           2
        .value_kind:     hidden_group_size_x
      - .offset:         102
        .size:           2
        .value_kind:     hidden_group_size_y
      - .offset:         104
        .size:           2
        .value_kind:     hidden_group_size_z
      - .offset:         106
        .size:           2
        .value_kind:     hidden_remainder_x
      - .offset:         108
        .size:           2
        .value_kind:     hidden_remainder_y
      - .offset:         110
        .size:           2
        .value_kind:     hidden_remainder_z
      - .offset:         128
        .size:           8
        .value_kind:     hidden_global_offset_x
      - .offset:         136
        .size:           8
        .value_kind:     hidden_global_offset_y
      - .offset:         144
        .size:           8
        .value_kind:     hidden_global_offset_z
      - .offset:         152
        .size:           2
        .value_kind:     hidden_grid_dims
    .group_segment_fixed_size: 18504
    .kernarg_segment_align: 8
    .kernarg_segment_size: 344
    .language:       OpenCL C
    .language_version:
      - 2
      - 0
    .max_flat_workgroup_size: 512
    .name:           _ZN7rocprim17ROCPRIM_400000_NS6detail17trampoline_kernelINS0_14default_configENS1_35radix_sort_onesweep_config_selectorI6__halfNS0_10empty_typeEEEZZNS1_29radix_sort_onesweep_iterationIS3_Lb0EPKS5_PS5_PS6_SC_mNS0_19identity_decomposerENS1_16block_id_wrapperIjLb1EEEEE10hipError_tT1_PNSt15iterator_traitsISH_E10value_typeET2_T3_PNSI_ISN_E10value_typeET4_T5_PSS_ST_PNS1_23onesweep_lookback_stateEbbT6_jjT7_P12ihipStream_tbENKUlT_T0_SH_SM_E_clISA_SB_SC_SC_EEDaS10_S11_SH_SM_EUlS10_E_NS1_11comp_targetILNS1_3genE0ELNS1_11target_archE4294967295ELNS1_3gpuE0ELNS1_3repE0EEENS1_47radix_sort_onesweep_sort_config_static_selectorELNS0_4arch9wavefront6targetE0EEEvSH_
    .private_segment_fixed_size: 0
    .sgpr_count:     32
    .sgpr_spill_count: 0
    .symbol:         _ZN7rocprim17ROCPRIM_400000_NS6detail17trampoline_kernelINS0_14default_configENS1_35radix_sort_onesweep_config_selectorI6__halfNS0_10empty_typeEEEZZNS1_29radix_sort_onesweep_iterationIS3_Lb0EPKS5_PS5_PS6_SC_mNS0_19identity_decomposerENS1_16block_id_wrapperIjLb1EEEEE10hipError_tT1_PNSt15iterator_traitsISH_E10value_typeET2_T3_PNSI_ISN_E10value_typeET4_T5_PSS_ST_PNS1_23onesweep_lookback_stateEbbT6_jjT7_P12ihipStream_tbENKUlT_T0_SH_SM_E_clISA_SB_SC_SC_EEDaS10_S11_SH_SM_EUlS10_E_NS1_11comp_targetILNS1_3genE0ELNS1_11target_archE4294967295ELNS1_3gpuE0ELNS1_3repE0EEENS1_47radix_sort_onesweep_sort_config_static_selectorELNS0_4arch9wavefront6targetE0EEEvSH_.kd
    .uniform_work_group_size: 1
    .uses_dynamic_stack: false
    .vgpr_count:     65
    .vgpr_spill_count: 0
    .wavefront_size: 32
  - .args:
      - .offset:         0
        .size:           88
        .value_kind:     by_value
    .group_segment_fixed_size: 0
    .kernarg_segment_align: 8
    .kernarg_segment_size: 88
    .language:       OpenCL C
    .language_version:
      - 2
      - 0
    .max_flat_workgroup_size: 1024
    .name:           _ZN7rocprim17ROCPRIM_400000_NS6detail17trampoline_kernelINS0_14default_configENS1_35radix_sort_onesweep_config_selectorI6__halfNS0_10empty_typeEEEZZNS1_29radix_sort_onesweep_iterationIS3_Lb0EPKS5_PS5_PS6_SC_mNS0_19identity_decomposerENS1_16block_id_wrapperIjLb1EEEEE10hipError_tT1_PNSt15iterator_traitsISH_E10value_typeET2_T3_PNSI_ISN_E10value_typeET4_T5_PSS_ST_PNS1_23onesweep_lookback_stateEbbT6_jjT7_P12ihipStream_tbENKUlT_T0_SH_SM_E_clISA_SB_SC_SC_EEDaS10_S11_SH_SM_EUlS10_E_NS1_11comp_targetILNS1_3genE6ELNS1_11target_archE950ELNS1_3gpuE13ELNS1_3repE0EEENS1_47radix_sort_onesweep_sort_config_static_selectorELNS0_4arch9wavefront6targetE0EEEvSH_
    .private_segment_fixed_size: 0
    .sgpr_count:     0
    .sgpr_spill_count: 0
    .symbol:         _ZN7rocprim17ROCPRIM_400000_NS6detail17trampoline_kernelINS0_14default_configENS1_35radix_sort_onesweep_config_selectorI6__halfNS0_10empty_typeEEEZZNS1_29radix_sort_onesweep_iterationIS3_Lb0EPKS5_PS5_PS6_SC_mNS0_19identity_decomposerENS1_16block_id_wrapperIjLb1EEEEE10hipError_tT1_PNSt15iterator_traitsISH_E10value_typeET2_T3_PNSI_ISN_E10value_typeET4_T5_PSS_ST_PNS1_23onesweep_lookback_stateEbbT6_jjT7_P12ihipStream_tbENKUlT_T0_SH_SM_E_clISA_SB_SC_SC_EEDaS10_S11_SH_SM_EUlS10_E_NS1_11comp_targetILNS1_3genE6ELNS1_11target_archE950ELNS1_3gpuE13ELNS1_3repE0EEENS1_47radix_sort_onesweep_sort_config_static_selectorELNS0_4arch9wavefront6targetE0EEEvSH_.kd
    .uniform_work_group_size: 1
    .uses_dynamic_stack: false
    .vgpr_count:     0
    .vgpr_spill_count: 0
    .wavefront_size: 32
  - .args:
      - .offset:         0
        .size:           88
        .value_kind:     by_value
    .group_segment_fixed_size: 0
    .kernarg_segment_align: 8
    .kernarg_segment_size: 88
    .language:       OpenCL C
    .language_version:
      - 2
      - 0
    .max_flat_workgroup_size: 1024
    .name:           _ZN7rocprim17ROCPRIM_400000_NS6detail17trampoline_kernelINS0_14default_configENS1_35radix_sort_onesweep_config_selectorI6__halfNS0_10empty_typeEEEZZNS1_29radix_sort_onesweep_iterationIS3_Lb0EPKS5_PS5_PS6_SC_mNS0_19identity_decomposerENS1_16block_id_wrapperIjLb1EEEEE10hipError_tT1_PNSt15iterator_traitsISH_E10value_typeET2_T3_PNSI_ISN_E10value_typeET4_T5_PSS_ST_PNS1_23onesweep_lookback_stateEbbT6_jjT7_P12ihipStream_tbENKUlT_T0_SH_SM_E_clISA_SB_SC_SC_EEDaS10_S11_SH_SM_EUlS10_E_NS1_11comp_targetILNS1_3genE5ELNS1_11target_archE942ELNS1_3gpuE9ELNS1_3repE0EEENS1_47radix_sort_onesweep_sort_config_static_selectorELNS0_4arch9wavefront6targetE0EEEvSH_
    .private_segment_fixed_size: 0
    .sgpr_count:     0
    .sgpr_spill_count: 0
    .symbol:         _ZN7rocprim17ROCPRIM_400000_NS6detail17trampoline_kernelINS0_14default_configENS1_35radix_sort_onesweep_config_selectorI6__halfNS0_10empty_typeEEEZZNS1_29radix_sort_onesweep_iterationIS3_Lb0EPKS5_PS5_PS6_SC_mNS0_19identity_decomposerENS1_16block_id_wrapperIjLb1EEEEE10hipError_tT1_PNSt15iterator_traitsISH_E10value_typeET2_T3_PNSI_ISN_E10value_typeET4_T5_PSS_ST_PNS1_23onesweep_lookback_stateEbbT6_jjT7_P12ihipStream_tbENKUlT_T0_SH_SM_E_clISA_SB_SC_SC_EEDaS10_S11_SH_SM_EUlS10_E_NS1_11comp_targetILNS1_3genE5ELNS1_11target_archE942ELNS1_3gpuE9ELNS1_3repE0EEENS1_47radix_sort_onesweep_sort_config_static_selectorELNS0_4arch9wavefront6targetE0EEEvSH_.kd
    .uniform_work_group_size: 1
    .uses_dynamic_stack: false
    .vgpr_count:     0
    .vgpr_spill_count: 0
    .wavefront_size: 32
  - .args:
      - .offset:         0
        .size:           88
        .value_kind:     by_value
    .group_segment_fixed_size: 0
    .kernarg_segment_align: 8
    .kernarg_segment_size: 88
    .language:       OpenCL C
    .language_version:
      - 2
      - 0
    .max_flat_workgroup_size: 512
    .name:           _ZN7rocprim17ROCPRIM_400000_NS6detail17trampoline_kernelINS0_14default_configENS1_35radix_sort_onesweep_config_selectorI6__halfNS0_10empty_typeEEEZZNS1_29radix_sort_onesweep_iterationIS3_Lb0EPKS5_PS5_PS6_SC_mNS0_19identity_decomposerENS1_16block_id_wrapperIjLb1EEEEE10hipError_tT1_PNSt15iterator_traitsISH_E10value_typeET2_T3_PNSI_ISN_E10value_typeET4_T5_PSS_ST_PNS1_23onesweep_lookback_stateEbbT6_jjT7_P12ihipStream_tbENKUlT_T0_SH_SM_E_clISA_SB_SC_SC_EEDaS10_S11_SH_SM_EUlS10_E_NS1_11comp_targetILNS1_3genE2ELNS1_11target_archE906ELNS1_3gpuE6ELNS1_3repE0EEENS1_47radix_sort_onesweep_sort_config_static_selectorELNS0_4arch9wavefront6targetE0EEEvSH_
    .private_segment_fixed_size: 0
    .sgpr_count:     0
    .sgpr_spill_count: 0
    .symbol:         _ZN7rocprim17ROCPRIM_400000_NS6detail17trampoline_kernelINS0_14default_configENS1_35radix_sort_onesweep_config_selectorI6__halfNS0_10empty_typeEEEZZNS1_29radix_sort_onesweep_iterationIS3_Lb0EPKS5_PS5_PS6_SC_mNS0_19identity_decomposerENS1_16block_id_wrapperIjLb1EEEEE10hipError_tT1_PNSt15iterator_traitsISH_E10value_typeET2_T3_PNSI_ISN_E10value_typeET4_T5_PSS_ST_PNS1_23onesweep_lookback_stateEbbT6_jjT7_P12ihipStream_tbENKUlT_T0_SH_SM_E_clISA_SB_SC_SC_EEDaS10_S11_SH_SM_EUlS10_E_NS1_11comp_targetILNS1_3genE2ELNS1_11target_archE906ELNS1_3gpuE6ELNS1_3repE0EEENS1_47radix_sort_onesweep_sort_config_static_selectorELNS0_4arch9wavefront6targetE0EEEvSH_.kd
    .uniform_work_group_size: 1
    .uses_dynamic_stack: false
    .vgpr_count:     0
    .vgpr_spill_count: 0
    .wavefront_size: 32
  - .args:
      - .offset:         0
        .size:           88
        .value_kind:     by_value
    .group_segment_fixed_size: 0
    .kernarg_segment_align: 8
    .kernarg_segment_size: 88
    .language:       OpenCL C
    .language_version:
      - 2
      - 0
    .max_flat_workgroup_size: 1024
    .name:           _ZN7rocprim17ROCPRIM_400000_NS6detail17trampoline_kernelINS0_14default_configENS1_35radix_sort_onesweep_config_selectorI6__halfNS0_10empty_typeEEEZZNS1_29radix_sort_onesweep_iterationIS3_Lb0EPKS5_PS5_PS6_SC_mNS0_19identity_decomposerENS1_16block_id_wrapperIjLb1EEEEE10hipError_tT1_PNSt15iterator_traitsISH_E10value_typeET2_T3_PNSI_ISN_E10value_typeET4_T5_PSS_ST_PNS1_23onesweep_lookback_stateEbbT6_jjT7_P12ihipStream_tbENKUlT_T0_SH_SM_E_clISA_SB_SC_SC_EEDaS10_S11_SH_SM_EUlS10_E_NS1_11comp_targetILNS1_3genE4ELNS1_11target_archE910ELNS1_3gpuE8ELNS1_3repE0EEENS1_47radix_sort_onesweep_sort_config_static_selectorELNS0_4arch9wavefront6targetE0EEEvSH_
    .private_segment_fixed_size: 0
    .sgpr_count:     0
    .sgpr_spill_count: 0
    .symbol:         _ZN7rocprim17ROCPRIM_400000_NS6detail17trampoline_kernelINS0_14default_configENS1_35radix_sort_onesweep_config_selectorI6__halfNS0_10empty_typeEEEZZNS1_29radix_sort_onesweep_iterationIS3_Lb0EPKS5_PS5_PS6_SC_mNS0_19identity_decomposerENS1_16block_id_wrapperIjLb1EEEEE10hipError_tT1_PNSt15iterator_traitsISH_E10value_typeET2_T3_PNSI_ISN_E10value_typeET4_T5_PSS_ST_PNS1_23onesweep_lookback_stateEbbT6_jjT7_P12ihipStream_tbENKUlT_T0_SH_SM_E_clISA_SB_SC_SC_EEDaS10_S11_SH_SM_EUlS10_E_NS1_11comp_targetILNS1_3genE4ELNS1_11target_archE910ELNS1_3gpuE8ELNS1_3repE0EEENS1_47radix_sort_onesweep_sort_config_static_selectorELNS0_4arch9wavefront6targetE0EEEvSH_.kd
    .uniform_work_group_size: 1
    .uses_dynamic_stack: false
    .vgpr_count:     0
    .vgpr_spill_count: 0
    .wavefront_size: 32
  - .args:
      - .offset:         0
        .size:           88
        .value_kind:     by_value
    .group_segment_fixed_size: 0
    .kernarg_segment_align: 8
    .kernarg_segment_size: 88
    .language:       OpenCL C
    .language_version:
      - 2
      - 0
    .max_flat_workgroup_size: 512
    .name:           _ZN7rocprim17ROCPRIM_400000_NS6detail17trampoline_kernelINS0_14default_configENS1_35radix_sort_onesweep_config_selectorI6__halfNS0_10empty_typeEEEZZNS1_29radix_sort_onesweep_iterationIS3_Lb0EPKS5_PS5_PS6_SC_mNS0_19identity_decomposerENS1_16block_id_wrapperIjLb1EEEEE10hipError_tT1_PNSt15iterator_traitsISH_E10value_typeET2_T3_PNSI_ISN_E10value_typeET4_T5_PSS_ST_PNS1_23onesweep_lookback_stateEbbT6_jjT7_P12ihipStream_tbENKUlT_T0_SH_SM_E_clISA_SB_SC_SC_EEDaS10_S11_SH_SM_EUlS10_E_NS1_11comp_targetILNS1_3genE3ELNS1_11target_archE908ELNS1_3gpuE7ELNS1_3repE0EEENS1_47radix_sort_onesweep_sort_config_static_selectorELNS0_4arch9wavefront6targetE0EEEvSH_
    .private_segment_fixed_size: 0
    .sgpr_count:     0
    .sgpr_spill_count: 0
    .symbol:         _ZN7rocprim17ROCPRIM_400000_NS6detail17trampoline_kernelINS0_14default_configENS1_35radix_sort_onesweep_config_selectorI6__halfNS0_10empty_typeEEEZZNS1_29radix_sort_onesweep_iterationIS3_Lb0EPKS5_PS5_PS6_SC_mNS0_19identity_decomposerENS1_16block_id_wrapperIjLb1EEEEE10hipError_tT1_PNSt15iterator_traitsISH_E10value_typeET2_T3_PNSI_ISN_E10value_typeET4_T5_PSS_ST_PNS1_23onesweep_lookback_stateEbbT6_jjT7_P12ihipStream_tbENKUlT_T0_SH_SM_E_clISA_SB_SC_SC_EEDaS10_S11_SH_SM_EUlS10_E_NS1_11comp_targetILNS1_3genE3ELNS1_11target_archE908ELNS1_3gpuE7ELNS1_3repE0EEENS1_47radix_sort_onesweep_sort_config_static_selectorELNS0_4arch9wavefront6targetE0EEEvSH_.kd
    .uniform_work_group_size: 1
    .uses_dynamic_stack: false
    .vgpr_count:     0
    .vgpr_spill_count: 0
    .wavefront_size: 32
  - .args:
      - .offset:         0
        .size:           88
        .value_kind:     by_value
    .group_segment_fixed_size: 0
    .kernarg_segment_align: 8
    .kernarg_segment_size: 88
    .language:       OpenCL C
    .language_version:
      - 2
      - 0
    .max_flat_workgroup_size: 256
    .name:           _ZN7rocprim17ROCPRIM_400000_NS6detail17trampoline_kernelINS0_14default_configENS1_35radix_sort_onesweep_config_selectorI6__halfNS0_10empty_typeEEEZZNS1_29radix_sort_onesweep_iterationIS3_Lb0EPKS5_PS5_PS6_SC_mNS0_19identity_decomposerENS1_16block_id_wrapperIjLb1EEEEE10hipError_tT1_PNSt15iterator_traitsISH_E10value_typeET2_T3_PNSI_ISN_E10value_typeET4_T5_PSS_ST_PNS1_23onesweep_lookback_stateEbbT6_jjT7_P12ihipStream_tbENKUlT_T0_SH_SM_E_clISA_SB_SC_SC_EEDaS10_S11_SH_SM_EUlS10_E_NS1_11comp_targetILNS1_3genE10ELNS1_11target_archE1201ELNS1_3gpuE5ELNS1_3repE0EEENS1_47radix_sort_onesweep_sort_config_static_selectorELNS0_4arch9wavefront6targetE0EEEvSH_
    .private_segment_fixed_size: 0
    .sgpr_count:     0
    .sgpr_spill_count: 0
    .symbol:         _ZN7rocprim17ROCPRIM_400000_NS6detail17trampoline_kernelINS0_14default_configENS1_35radix_sort_onesweep_config_selectorI6__halfNS0_10empty_typeEEEZZNS1_29radix_sort_onesweep_iterationIS3_Lb0EPKS5_PS5_PS6_SC_mNS0_19identity_decomposerENS1_16block_id_wrapperIjLb1EEEEE10hipError_tT1_PNSt15iterator_traitsISH_E10value_typeET2_T3_PNSI_ISN_E10value_typeET4_T5_PSS_ST_PNS1_23onesweep_lookback_stateEbbT6_jjT7_P12ihipStream_tbENKUlT_T0_SH_SM_E_clISA_SB_SC_SC_EEDaS10_S11_SH_SM_EUlS10_E_NS1_11comp_targetILNS1_3genE10ELNS1_11target_archE1201ELNS1_3gpuE5ELNS1_3repE0EEENS1_47radix_sort_onesweep_sort_config_static_selectorELNS0_4arch9wavefront6targetE0EEEvSH_.kd
    .uniform_work_group_size: 1
    .uses_dynamic_stack: false
    .vgpr_count:     0
    .vgpr_spill_count: 0
    .wavefront_size: 32
  - .args:
      - .offset:         0
        .size:           88
        .value_kind:     by_value
    .group_segment_fixed_size: 0
    .kernarg_segment_align: 8
    .kernarg_segment_size: 88
    .language:       OpenCL C
    .language_version:
      - 2
      - 0
    .max_flat_workgroup_size: 256
    .name:           _ZN7rocprim17ROCPRIM_400000_NS6detail17trampoline_kernelINS0_14default_configENS1_35radix_sort_onesweep_config_selectorI6__halfNS0_10empty_typeEEEZZNS1_29radix_sort_onesweep_iterationIS3_Lb0EPKS5_PS5_PS6_SC_mNS0_19identity_decomposerENS1_16block_id_wrapperIjLb1EEEEE10hipError_tT1_PNSt15iterator_traitsISH_E10value_typeET2_T3_PNSI_ISN_E10value_typeET4_T5_PSS_ST_PNS1_23onesweep_lookback_stateEbbT6_jjT7_P12ihipStream_tbENKUlT_T0_SH_SM_E_clISA_SB_SC_SC_EEDaS10_S11_SH_SM_EUlS10_E_NS1_11comp_targetILNS1_3genE9ELNS1_11target_archE1100ELNS1_3gpuE3ELNS1_3repE0EEENS1_47radix_sort_onesweep_sort_config_static_selectorELNS0_4arch9wavefront6targetE0EEEvSH_
    .private_segment_fixed_size: 0
    .sgpr_count:     0
    .sgpr_spill_count: 0
    .symbol:         _ZN7rocprim17ROCPRIM_400000_NS6detail17trampoline_kernelINS0_14default_configENS1_35radix_sort_onesweep_config_selectorI6__halfNS0_10empty_typeEEEZZNS1_29radix_sort_onesweep_iterationIS3_Lb0EPKS5_PS5_PS6_SC_mNS0_19identity_decomposerENS1_16block_id_wrapperIjLb1EEEEE10hipError_tT1_PNSt15iterator_traitsISH_E10value_typeET2_T3_PNSI_ISN_E10value_typeET4_T5_PSS_ST_PNS1_23onesweep_lookback_stateEbbT6_jjT7_P12ihipStream_tbENKUlT_T0_SH_SM_E_clISA_SB_SC_SC_EEDaS10_S11_SH_SM_EUlS10_E_NS1_11comp_targetILNS1_3genE9ELNS1_11target_archE1100ELNS1_3gpuE3ELNS1_3repE0EEENS1_47radix_sort_onesweep_sort_config_static_selectorELNS0_4arch9wavefront6targetE0EEEvSH_.kd
    .uniform_work_group_size: 1
    .uses_dynamic_stack: false
    .vgpr_count:     0
    .vgpr_spill_count: 0
    .wavefront_size: 32
  - .args:
      - .offset:         0
        .size:           88
        .value_kind:     by_value
    .group_segment_fixed_size: 0
    .kernarg_segment_align: 8
    .kernarg_segment_size: 88
    .language:       OpenCL C
    .language_version:
      - 2
      - 0
    .max_flat_workgroup_size: 256
    .name:           _ZN7rocprim17ROCPRIM_400000_NS6detail17trampoline_kernelINS0_14default_configENS1_35radix_sort_onesweep_config_selectorI6__halfNS0_10empty_typeEEEZZNS1_29radix_sort_onesweep_iterationIS3_Lb0EPKS5_PS5_PS6_SC_mNS0_19identity_decomposerENS1_16block_id_wrapperIjLb1EEEEE10hipError_tT1_PNSt15iterator_traitsISH_E10value_typeET2_T3_PNSI_ISN_E10value_typeET4_T5_PSS_ST_PNS1_23onesweep_lookback_stateEbbT6_jjT7_P12ihipStream_tbENKUlT_T0_SH_SM_E_clISA_SB_SC_SC_EEDaS10_S11_SH_SM_EUlS10_E_NS1_11comp_targetILNS1_3genE8ELNS1_11target_archE1030ELNS1_3gpuE2ELNS1_3repE0EEENS1_47radix_sort_onesweep_sort_config_static_selectorELNS0_4arch9wavefront6targetE0EEEvSH_
    .private_segment_fixed_size: 0
    .sgpr_count:     0
    .sgpr_spill_count: 0
    .symbol:         _ZN7rocprim17ROCPRIM_400000_NS6detail17trampoline_kernelINS0_14default_configENS1_35radix_sort_onesweep_config_selectorI6__halfNS0_10empty_typeEEEZZNS1_29radix_sort_onesweep_iterationIS3_Lb0EPKS5_PS5_PS6_SC_mNS0_19identity_decomposerENS1_16block_id_wrapperIjLb1EEEEE10hipError_tT1_PNSt15iterator_traitsISH_E10value_typeET2_T3_PNSI_ISN_E10value_typeET4_T5_PSS_ST_PNS1_23onesweep_lookback_stateEbbT6_jjT7_P12ihipStream_tbENKUlT_T0_SH_SM_E_clISA_SB_SC_SC_EEDaS10_S11_SH_SM_EUlS10_E_NS1_11comp_targetILNS1_3genE8ELNS1_11target_archE1030ELNS1_3gpuE2ELNS1_3repE0EEENS1_47radix_sort_onesweep_sort_config_static_selectorELNS0_4arch9wavefront6targetE0EEEvSH_.kd
    .uniform_work_group_size: 1
    .uses_dynamic_stack: false
    .vgpr_count:     0
    .vgpr_spill_count: 0
    .wavefront_size: 32
  - .args:
      - .offset:         0
        .size:           88
        .value_kind:     by_value
      - .offset:         88
        .size:           4
        .value_kind:     hidden_block_count_x
      - .offset:         92
        .size:           4
        .value_kind:     hidden_block_count_y
      - .offset:         96
        .size:           4
        .value_kind:     hidden_block_count_z
      - .offset:         100
        .size:           2
        .value_kind:     hidden_group_size_x
      - .offset:         102
        .size:           2
        .value_kind:     hidden_group_size_y
      - .offset:         104
        .size:           2
        .value_kind:     hidden_group_size_z
      - .offset:         106
        .size:           2
        .value_kind:     hidden_remainder_x
      - .offset:         108
        .size:           2
        .value_kind:     hidden_remainder_y
      - .offset:         110
        .size:           2
        .value_kind:     hidden_remainder_z
      - .offset:         128
        .size:           8
        .value_kind:     hidden_global_offset_x
      - .offset:         136
        .size:           8
        .value_kind:     hidden_global_offset_y
      - .offset:         144
        .size:           8
        .value_kind:     hidden_global_offset_z
      - .offset:         152
        .size:           2
        .value_kind:     hidden_grid_dims
    .group_segment_fixed_size: 18504
    .kernarg_segment_align: 8
    .kernarg_segment_size: 344
    .language:       OpenCL C
    .language_version:
      - 2
      - 0
    .max_flat_workgroup_size: 512
    .name:           _ZN7rocprim17ROCPRIM_400000_NS6detail17trampoline_kernelINS0_14default_configENS1_35radix_sort_onesweep_config_selectorI6__halfNS0_10empty_typeEEEZZNS1_29radix_sort_onesweep_iterationIS3_Lb0EPKS5_PS5_PS6_SC_mNS0_19identity_decomposerENS1_16block_id_wrapperIjLb1EEEEE10hipError_tT1_PNSt15iterator_traitsISH_E10value_typeET2_T3_PNSI_ISN_E10value_typeET4_T5_PSS_ST_PNS1_23onesweep_lookback_stateEbbT6_jjT7_P12ihipStream_tbENKUlT_T0_SH_SM_E_clISB_SB_SC_SC_EEDaS10_S11_SH_SM_EUlS10_E_NS1_11comp_targetILNS1_3genE0ELNS1_11target_archE4294967295ELNS1_3gpuE0ELNS1_3repE0EEENS1_47radix_sort_onesweep_sort_config_static_selectorELNS0_4arch9wavefront6targetE0EEEvSH_
    .private_segment_fixed_size: 0
    .sgpr_count:     32
    .sgpr_spill_count: 0
    .symbol:         _ZN7rocprim17ROCPRIM_400000_NS6detail17trampoline_kernelINS0_14default_configENS1_35radix_sort_onesweep_config_selectorI6__halfNS0_10empty_typeEEEZZNS1_29radix_sort_onesweep_iterationIS3_Lb0EPKS5_PS5_PS6_SC_mNS0_19identity_decomposerENS1_16block_id_wrapperIjLb1EEEEE10hipError_tT1_PNSt15iterator_traitsISH_E10value_typeET2_T3_PNSI_ISN_E10value_typeET4_T5_PSS_ST_PNS1_23onesweep_lookback_stateEbbT6_jjT7_P12ihipStream_tbENKUlT_T0_SH_SM_E_clISB_SB_SC_SC_EEDaS10_S11_SH_SM_EUlS10_E_NS1_11comp_targetILNS1_3genE0ELNS1_11target_archE4294967295ELNS1_3gpuE0ELNS1_3repE0EEENS1_47radix_sort_onesweep_sort_config_static_selectorELNS0_4arch9wavefront6targetE0EEEvSH_.kd
    .uniform_work_group_size: 1
    .uses_dynamic_stack: false
    .vgpr_count:     65
    .vgpr_spill_count: 0
    .wavefront_size: 32
  - .args:
      - .offset:         0
        .size:           88
        .value_kind:     by_value
    .group_segment_fixed_size: 0
    .kernarg_segment_align: 8
    .kernarg_segment_size: 88
    .language:       OpenCL C
    .language_version:
      - 2
      - 0
    .max_flat_workgroup_size: 1024
    .name:           _ZN7rocprim17ROCPRIM_400000_NS6detail17trampoline_kernelINS0_14default_configENS1_35radix_sort_onesweep_config_selectorI6__halfNS0_10empty_typeEEEZZNS1_29radix_sort_onesweep_iterationIS3_Lb0EPKS5_PS5_PS6_SC_mNS0_19identity_decomposerENS1_16block_id_wrapperIjLb1EEEEE10hipError_tT1_PNSt15iterator_traitsISH_E10value_typeET2_T3_PNSI_ISN_E10value_typeET4_T5_PSS_ST_PNS1_23onesweep_lookback_stateEbbT6_jjT7_P12ihipStream_tbENKUlT_T0_SH_SM_E_clISB_SB_SC_SC_EEDaS10_S11_SH_SM_EUlS10_E_NS1_11comp_targetILNS1_3genE6ELNS1_11target_archE950ELNS1_3gpuE13ELNS1_3repE0EEENS1_47radix_sort_onesweep_sort_config_static_selectorELNS0_4arch9wavefront6targetE0EEEvSH_
    .private_segment_fixed_size: 0
    .sgpr_count:     0
    .sgpr_spill_count: 0
    .symbol:         _ZN7rocprim17ROCPRIM_400000_NS6detail17trampoline_kernelINS0_14default_configENS1_35radix_sort_onesweep_config_selectorI6__halfNS0_10empty_typeEEEZZNS1_29radix_sort_onesweep_iterationIS3_Lb0EPKS5_PS5_PS6_SC_mNS0_19identity_decomposerENS1_16block_id_wrapperIjLb1EEEEE10hipError_tT1_PNSt15iterator_traitsISH_E10value_typeET2_T3_PNSI_ISN_E10value_typeET4_T5_PSS_ST_PNS1_23onesweep_lookback_stateEbbT6_jjT7_P12ihipStream_tbENKUlT_T0_SH_SM_E_clISB_SB_SC_SC_EEDaS10_S11_SH_SM_EUlS10_E_NS1_11comp_targetILNS1_3genE6ELNS1_11target_archE950ELNS1_3gpuE13ELNS1_3repE0EEENS1_47radix_sort_onesweep_sort_config_static_selectorELNS0_4arch9wavefront6targetE0EEEvSH_.kd
    .uniform_work_group_size: 1
    .uses_dynamic_stack: false
    .vgpr_count:     0
    .vgpr_spill_count: 0
    .wavefront_size: 32
  - .args:
      - .offset:         0
        .size:           88
        .value_kind:     by_value
    .group_segment_fixed_size: 0
    .kernarg_segment_align: 8
    .kernarg_segment_size: 88
    .language:       OpenCL C
    .language_version:
      - 2
      - 0
    .max_flat_workgroup_size: 1024
    .name:           _ZN7rocprim17ROCPRIM_400000_NS6detail17trampoline_kernelINS0_14default_configENS1_35radix_sort_onesweep_config_selectorI6__halfNS0_10empty_typeEEEZZNS1_29radix_sort_onesweep_iterationIS3_Lb0EPKS5_PS5_PS6_SC_mNS0_19identity_decomposerENS1_16block_id_wrapperIjLb1EEEEE10hipError_tT1_PNSt15iterator_traitsISH_E10value_typeET2_T3_PNSI_ISN_E10value_typeET4_T5_PSS_ST_PNS1_23onesweep_lookback_stateEbbT6_jjT7_P12ihipStream_tbENKUlT_T0_SH_SM_E_clISB_SB_SC_SC_EEDaS10_S11_SH_SM_EUlS10_E_NS1_11comp_targetILNS1_3genE5ELNS1_11target_archE942ELNS1_3gpuE9ELNS1_3repE0EEENS1_47radix_sort_onesweep_sort_config_static_selectorELNS0_4arch9wavefront6targetE0EEEvSH_
    .private_segment_fixed_size: 0
    .sgpr_count:     0
    .sgpr_spill_count: 0
    .symbol:         _ZN7rocprim17ROCPRIM_400000_NS6detail17trampoline_kernelINS0_14default_configENS1_35radix_sort_onesweep_config_selectorI6__halfNS0_10empty_typeEEEZZNS1_29radix_sort_onesweep_iterationIS3_Lb0EPKS5_PS5_PS6_SC_mNS0_19identity_decomposerENS1_16block_id_wrapperIjLb1EEEEE10hipError_tT1_PNSt15iterator_traitsISH_E10value_typeET2_T3_PNSI_ISN_E10value_typeET4_T5_PSS_ST_PNS1_23onesweep_lookback_stateEbbT6_jjT7_P12ihipStream_tbENKUlT_T0_SH_SM_E_clISB_SB_SC_SC_EEDaS10_S11_SH_SM_EUlS10_E_NS1_11comp_targetILNS1_3genE5ELNS1_11target_archE942ELNS1_3gpuE9ELNS1_3repE0EEENS1_47radix_sort_onesweep_sort_config_static_selectorELNS0_4arch9wavefront6targetE0EEEvSH_.kd
    .uniform_work_group_size: 1
    .uses_dynamic_stack: false
    .vgpr_count:     0
    .vgpr_spill_count: 0
    .wavefront_size: 32
  - .args:
      - .offset:         0
        .size:           88
        .value_kind:     by_value
    .group_segment_fixed_size: 0
    .kernarg_segment_align: 8
    .kernarg_segment_size: 88
    .language:       OpenCL C
    .language_version:
      - 2
      - 0
    .max_flat_workgroup_size: 512
    .name:           _ZN7rocprim17ROCPRIM_400000_NS6detail17trampoline_kernelINS0_14default_configENS1_35radix_sort_onesweep_config_selectorI6__halfNS0_10empty_typeEEEZZNS1_29radix_sort_onesweep_iterationIS3_Lb0EPKS5_PS5_PS6_SC_mNS0_19identity_decomposerENS1_16block_id_wrapperIjLb1EEEEE10hipError_tT1_PNSt15iterator_traitsISH_E10value_typeET2_T3_PNSI_ISN_E10value_typeET4_T5_PSS_ST_PNS1_23onesweep_lookback_stateEbbT6_jjT7_P12ihipStream_tbENKUlT_T0_SH_SM_E_clISB_SB_SC_SC_EEDaS10_S11_SH_SM_EUlS10_E_NS1_11comp_targetILNS1_3genE2ELNS1_11target_archE906ELNS1_3gpuE6ELNS1_3repE0EEENS1_47radix_sort_onesweep_sort_config_static_selectorELNS0_4arch9wavefront6targetE0EEEvSH_
    .private_segment_fixed_size: 0
    .sgpr_count:     0
    .sgpr_spill_count: 0
    .symbol:         _ZN7rocprim17ROCPRIM_400000_NS6detail17trampoline_kernelINS0_14default_configENS1_35radix_sort_onesweep_config_selectorI6__halfNS0_10empty_typeEEEZZNS1_29radix_sort_onesweep_iterationIS3_Lb0EPKS5_PS5_PS6_SC_mNS0_19identity_decomposerENS1_16block_id_wrapperIjLb1EEEEE10hipError_tT1_PNSt15iterator_traitsISH_E10value_typeET2_T3_PNSI_ISN_E10value_typeET4_T5_PSS_ST_PNS1_23onesweep_lookback_stateEbbT6_jjT7_P12ihipStream_tbENKUlT_T0_SH_SM_E_clISB_SB_SC_SC_EEDaS10_S11_SH_SM_EUlS10_E_NS1_11comp_targetILNS1_3genE2ELNS1_11target_archE906ELNS1_3gpuE6ELNS1_3repE0EEENS1_47radix_sort_onesweep_sort_config_static_selectorELNS0_4arch9wavefront6targetE0EEEvSH_.kd
    .uniform_work_group_size: 1
    .uses_dynamic_stack: false
    .vgpr_count:     0
    .vgpr_spill_count: 0
    .wavefront_size: 32
  - .args:
      - .offset:         0
        .size:           88
        .value_kind:     by_value
    .group_segment_fixed_size: 0
    .kernarg_segment_align: 8
    .kernarg_segment_size: 88
    .language:       OpenCL C
    .language_version:
      - 2
      - 0
    .max_flat_workgroup_size: 1024
    .name:           _ZN7rocprim17ROCPRIM_400000_NS6detail17trampoline_kernelINS0_14default_configENS1_35radix_sort_onesweep_config_selectorI6__halfNS0_10empty_typeEEEZZNS1_29radix_sort_onesweep_iterationIS3_Lb0EPKS5_PS5_PS6_SC_mNS0_19identity_decomposerENS1_16block_id_wrapperIjLb1EEEEE10hipError_tT1_PNSt15iterator_traitsISH_E10value_typeET2_T3_PNSI_ISN_E10value_typeET4_T5_PSS_ST_PNS1_23onesweep_lookback_stateEbbT6_jjT7_P12ihipStream_tbENKUlT_T0_SH_SM_E_clISB_SB_SC_SC_EEDaS10_S11_SH_SM_EUlS10_E_NS1_11comp_targetILNS1_3genE4ELNS1_11target_archE910ELNS1_3gpuE8ELNS1_3repE0EEENS1_47radix_sort_onesweep_sort_config_static_selectorELNS0_4arch9wavefront6targetE0EEEvSH_
    .private_segment_fixed_size: 0
    .sgpr_count:     0
    .sgpr_spill_count: 0
    .symbol:         _ZN7rocprim17ROCPRIM_400000_NS6detail17trampoline_kernelINS0_14default_configENS1_35radix_sort_onesweep_config_selectorI6__halfNS0_10empty_typeEEEZZNS1_29radix_sort_onesweep_iterationIS3_Lb0EPKS5_PS5_PS6_SC_mNS0_19identity_decomposerENS1_16block_id_wrapperIjLb1EEEEE10hipError_tT1_PNSt15iterator_traitsISH_E10value_typeET2_T3_PNSI_ISN_E10value_typeET4_T5_PSS_ST_PNS1_23onesweep_lookback_stateEbbT6_jjT7_P12ihipStream_tbENKUlT_T0_SH_SM_E_clISB_SB_SC_SC_EEDaS10_S11_SH_SM_EUlS10_E_NS1_11comp_targetILNS1_3genE4ELNS1_11target_archE910ELNS1_3gpuE8ELNS1_3repE0EEENS1_47radix_sort_onesweep_sort_config_static_selectorELNS0_4arch9wavefront6targetE0EEEvSH_.kd
    .uniform_work_group_size: 1
    .uses_dynamic_stack: false
    .vgpr_count:     0
    .vgpr_spill_count: 0
    .wavefront_size: 32
  - .args:
      - .offset:         0
        .size:           88
        .value_kind:     by_value
    .group_segment_fixed_size: 0
    .kernarg_segment_align: 8
    .kernarg_segment_size: 88
    .language:       OpenCL C
    .language_version:
      - 2
      - 0
    .max_flat_workgroup_size: 512
    .name:           _ZN7rocprim17ROCPRIM_400000_NS6detail17trampoline_kernelINS0_14default_configENS1_35radix_sort_onesweep_config_selectorI6__halfNS0_10empty_typeEEEZZNS1_29radix_sort_onesweep_iterationIS3_Lb0EPKS5_PS5_PS6_SC_mNS0_19identity_decomposerENS1_16block_id_wrapperIjLb1EEEEE10hipError_tT1_PNSt15iterator_traitsISH_E10value_typeET2_T3_PNSI_ISN_E10value_typeET4_T5_PSS_ST_PNS1_23onesweep_lookback_stateEbbT6_jjT7_P12ihipStream_tbENKUlT_T0_SH_SM_E_clISB_SB_SC_SC_EEDaS10_S11_SH_SM_EUlS10_E_NS1_11comp_targetILNS1_3genE3ELNS1_11target_archE908ELNS1_3gpuE7ELNS1_3repE0EEENS1_47radix_sort_onesweep_sort_config_static_selectorELNS0_4arch9wavefront6targetE0EEEvSH_
    .private_segment_fixed_size: 0
    .sgpr_count:     0
    .sgpr_spill_count: 0
    .symbol:         _ZN7rocprim17ROCPRIM_400000_NS6detail17trampoline_kernelINS0_14default_configENS1_35radix_sort_onesweep_config_selectorI6__halfNS0_10empty_typeEEEZZNS1_29radix_sort_onesweep_iterationIS3_Lb0EPKS5_PS5_PS6_SC_mNS0_19identity_decomposerENS1_16block_id_wrapperIjLb1EEEEE10hipError_tT1_PNSt15iterator_traitsISH_E10value_typeET2_T3_PNSI_ISN_E10value_typeET4_T5_PSS_ST_PNS1_23onesweep_lookback_stateEbbT6_jjT7_P12ihipStream_tbENKUlT_T0_SH_SM_E_clISB_SB_SC_SC_EEDaS10_S11_SH_SM_EUlS10_E_NS1_11comp_targetILNS1_3genE3ELNS1_11target_archE908ELNS1_3gpuE7ELNS1_3repE0EEENS1_47radix_sort_onesweep_sort_config_static_selectorELNS0_4arch9wavefront6targetE0EEEvSH_.kd
    .uniform_work_group_size: 1
    .uses_dynamic_stack: false
    .vgpr_count:     0
    .vgpr_spill_count: 0
    .wavefront_size: 32
  - .args:
      - .offset:         0
        .size:           88
        .value_kind:     by_value
    .group_segment_fixed_size: 0
    .kernarg_segment_align: 8
    .kernarg_segment_size: 88
    .language:       OpenCL C
    .language_version:
      - 2
      - 0
    .max_flat_workgroup_size: 256
    .name:           _ZN7rocprim17ROCPRIM_400000_NS6detail17trampoline_kernelINS0_14default_configENS1_35radix_sort_onesweep_config_selectorI6__halfNS0_10empty_typeEEEZZNS1_29radix_sort_onesweep_iterationIS3_Lb0EPKS5_PS5_PS6_SC_mNS0_19identity_decomposerENS1_16block_id_wrapperIjLb1EEEEE10hipError_tT1_PNSt15iterator_traitsISH_E10value_typeET2_T3_PNSI_ISN_E10value_typeET4_T5_PSS_ST_PNS1_23onesweep_lookback_stateEbbT6_jjT7_P12ihipStream_tbENKUlT_T0_SH_SM_E_clISB_SB_SC_SC_EEDaS10_S11_SH_SM_EUlS10_E_NS1_11comp_targetILNS1_3genE10ELNS1_11target_archE1201ELNS1_3gpuE5ELNS1_3repE0EEENS1_47radix_sort_onesweep_sort_config_static_selectorELNS0_4arch9wavefront6targetE0EEEvSH_
    .private_segment_fixed_size: 0
    .sgpr_count:     0
    .sgpr_spill_count: 0
    .symbol:         _ZN7rocprim17ROCPRIM_400000_NS6detail17trampoline_kernelINS0_14default_configENS1_35radix_sort_onesweep_config_selectorI6__halfNS0_10empty_typeEEEZZNS1_29radix_sort_onesweep_iterationIS3_Lb0EPKS5_PS5_PS6_SC_mNS0_19identity_decomposerENS1_16block_id_wrapperIjLb1EEEEE10hipError_tT1_PNSt15iterator_traitsISH_E10value_typeET2_T3_PNSI_ISN_E10value_typeET4_T5_PSS_ST_PNS1_23onesweep_lookback_stateEbbT6_jjT7_P12ihipStream_tbENKUlT_T0_SH_SM_E_clISB_SB_SC_SC_EEDaS10_S11_SH_SM_EUlS10_E_NS1_11comp_targetILNS1_3genE10ELNS1_11target_archE1201ELNS1_3gpuE5ELNS1_3repE0EEENS1_47radix_sort_onesweep_sort_config_static_selectorELNS0_4arch9wavefront6targetE0EEEvSH_.kd
    .uniform_work_group_size: 1
    .uses_dynamic_stack: false
    .vgpr_count:     0
    .vgpr_spill_count: 0
    .wavefront_size: 32
  - .args:
      - .offset:         0
        .size:           88
        .value_kind:     by_value
    .group_segment_fixed_size: 0
    .kernarg_segment_align: 8
    .kernarg_segment_size: 88
    .language:       OpenCL C
    .language_version:
      - 2
      - 0
    .max_flat_workgroup_size: 256
    .name:           _ZN7rocprim17ROCPRIM_400000_NS6detail17trampoline_kernelINS0_14default_configENS1_35radix_sort_onesweep_config_selectorI6__halfNS0_10empty_typeEEEZZNS1_29radix_sort_onesweep_iterationIS3_Lb0EPKS5_PS5_PS6_SC_mNS0_19identity_decomposerENS1_16block_id_wrapperIjLb1EEEEE10hipError_tT1_PNSt15iterator_traitsISH_E10value_typeET2_T3_PNSI_ISN_E10value_typeET4_T5_PSS_ST_PNS1_23onesweep_lookback_stateEbbT6_jjT7_P12ihipStream_tbENKUlT_T0_SH_SM_E_clISB_SB_SC_SC_EEDaS10_S11_SH_SM_EUlS10_E_NS1_11comp_targetILNS1_3genE9ELNS1_11target_archE1100ELNS1_3gpuE3ELNS1_3repE0EEENS1_47radix_sort_onesweep_sort_config_static_selectorELNS0_4arch9wavefront6targetE0EEEvSH_
    .private_segment_fixed_size: 0
    .sgpr_count:     0
    .sgpr_spill_count: 0
    .symbol:         _ZN7rocprim17ROCPRIM_400000_NS6detail17trampoline_kernelINS0_14default_configENS1_35radix_sort_onesweep_config_selectorI6__halfNS0_10empty_typeEEEZZNS1_29radix_sort_onesweep_iterationIS3_Lb0EPKS5_PS5_PS6_SC_mNS0_19identity_decomposerENS1_16block_id_wrapperIjLb1EEEEE10hipError_tT1_PNSt15iterator_traitsISH_E10value_typeET2_T3_PNSI_ISN_E10value_typeET4_T5_PSS_ST_PNS1_23onesweep_lookback_stateEbbT6_jjT7_P12ihipStream_tbENKUlT_T0_SH_SM_E_clISB_SB_SC_SC_EEDaS10_S11_SH_SM_EUlS10_E_NS1_11comp_targetILNS1_3genE9ELNS1_11target_archE1100ELNS1_3gpuE3ELNS1_3repE0EEENS1_47radix_sort_onesweep_sort_config_static_selectorELNS0_4arch9wavefront6targetE0EEEvSH_.kd
    .uniform_work_group_size: 1
    .uses_dynamic_stack: false
    .vgpr_count:     0
    .vgpr_spill_count: 0
    .wavefront_size: 32
  - .args:
      - .offset:         0
        .size:           88
        .value_kind:     by_value
    .group_segment_fixed_size: 0
    .kernarg_segment_align: 8
    .kernarg_segment_size: 88
    .language:       OpenCL C
    .language_version:
      - 2
      - 0
    .max_flat_workgroup_size: 256
    .name:           _ZN7rocprim17ROCPRIM_400000_NS6detail17trampoline_kernelINS0_14default_configENS1_35radix_sort_onesweep_config_selectorI6__halfNS0_10empty_typeEEEZZNS1_29radix_sort_onesweep_iterationIS3_Lb0EPKS5_PS5_PS6_SC_mNS0_19identity_decomposerENS1_16block_id_wrapperIjLb1EEEEE10hipError_tT1_PNSt15iterator_traitsISH_E10value_typeET2_T3_PNSI_ISN_E10value_typeET4_T5_PSS_ST_PNS1_23onesweep_lookback_stateEbbT6_jjT7_P12ihipStream_tbENKUlT_T0_SH_SM_E_clISB_SB_SC_SC_EEDaS10_S11_SH_SM_EUlS10_E_NS1_11comp_targetILNS1_3genE8ELNS1_11target_archE1030ELNS1_3gpuE2ELNS1_3repE0EEENS1_47radix_sort_onesweep_sort_config_static_selectorELNS0_4arch9wavefront6targetE0EEEvSH_
    .private_segment_fixed_size: 0
    .sgpr_count:     0
    .sgpr_spill_count: 0
    .symbol:         _ZN7rocprim17ROCPRIM_400000_NS6detail17trampoline_kernelINS0_14default_configENS1_35radix_sort_onesweep_config_selectorI6__halfNS0_10empty_typeEEEZZNS1_29radix_sort_onesweep_iterationIS3_Lb0EPKS5_PS5_PS6_SC_mNS0_19identity_decomposerENS1_16block_id_wrapperIjLb1EEEEE10hipError_tT1_PNSt15iterator_traitsISH_E10value_typeET2_T3_PNSI_ISN_E10value_typeET4_T5_PSS_ST_PNS1_23onesweep_lookback_stateEbbT6_jjT7_P12ihipStream_tbENKUlT_T0_SH_SM_E_clISB_SB_SC_SC_EEDaS10_S11_SH_SM_EUlS10_E_NS1_11comp_targetILNS1_3genE8ELNS1_11target_archE1030ELNS1_3gpuE2ELNS1_3repE0EEENS1_47radix_sort_onesweep_sort_config_static_selectorELNS0_4arch9wavefront6targetE0EEEvSH_.kd
    .uniform_work_group_size: 1
    .uses_dynamic_stack: false
    .vgpr_count:     0
    .vgpr_spill_count: 0
    .wavefront_size: 32
  - .args:
      - .offset:         0
        .size:           88
        .value_kind:     by_value
      - .offset:         88
        .size:           4
        .value_kind:     hidden_block_count_x
      - .offset:         92
        .size:           4
        .value_kind:     hidden_block_count_y
      - .offset:         96
        .size:           4
        .value_kind:     hidden_block_count_z
      - .offset:         100
        .size:           2
        .value_kind:     hidden_group_size_x
      - .offset:         102
        .size:           2
        .value_kind:     hidden_group_size_y
      - .offset:         104
        .size:           2
        .value_kind:     hidden_group_size_z
      - .offset:         106
        .size:           2
        .value_kind:     hidden_remainder_x
      - .offset:         108
        .size:           2
        .value_kind:     hidden_remainder_y
      - .offset:         110
        .size:           2
        .value_kind:     hidden_remainder_z
      - .offset:         128
        .size:           8
        .value_kind:     hidden_global_offset_x
      - .offset:         136
        .size:           8
        .value_kind:     hidden_global_offset_y
      - .offset:         144
        .size:           8
        .value_kind:     hidden_global_offset_z
      - .offset:         152
        .size:           2
        .value_kind:     hidden_grid_dims
    .group_segment_fixed_size: 18504
    .kernarg_segment_align: 8
    .kernarg_segment_size: 344
    .language:       OpenCL C
    .language_version:
      - 2
      - 0
    .max_flat_workgroup_size: 512
    .name:           _ZN7rocprim17ROCPRIM_400000_NS6detail17trampoline_kernelINS0_14default_configENS1_35radix_sort_onesweep_config_selectorI6__halfNS0_10empty_typeEEEZZNS1_29radix_sort_onesweep_iterationIS3_Lb0EPKS5_PS5_PS6_SC_mNS0_19identity_decomposerENS1_16block_id_wrapperIjLb0EEEEE10hipError_tT1_PNSt15iterator_traitsISH_E10value_typeET2_T3_PNSI_ISN_E10value_typeET4_T5_PSS_ST_PNS1_23onesweep_lookback_stateEbbT6_jjT7_P12ihipStream_tbENKUlT_T0_SH_SM_E_clISA_SB_SC_SC_EEDaS10_S11_SH_SM_EUlS10_E_NS1_11comp_targetILNS1_3genE0ELNS1_11target_archE4294967295ELNS1_3gpuE0ELNS1_3repE0EEENS1_47radix_sort_onesweep_sort_config_static_selectorELNS0_4arch9wavefront6targetE0EEEvSH_
    .private_segment_fixed_size: 0
    .sgpr_count:     30
    .sgpr_spill_count: 0
    .symbol:         _ZN7rocprim17ROCPRIM_400000_NS6detail17trampoline_kernelINS0_14default_configENS1_35radix_sort_onesweep_config_selectorI6__halfNS0_10empty_typeEEEZZNS1_29radix_sort_onesweep_iterationIS3_Lb0EPKS5_PS5_PS6_SC_mNS0_19identity_decomposerENS1_16block_id_wrapperIjLb0EEEEE10hipError_tT1_PNSt15iterator_traitsISH_E10value_typeET2_T3_PNSI_ISN_E10value_typeET4_T5_PSS_ST_PNS1_23onesweep_lookback_stateEbbT6_jjT7_P12ihipStream_tbENKUlT_T0_SH_SM_E_clISA_SB_SC_SC_EEDaS10_S11_SH_SM_EUlS10_E_NS1_11comp_targetILNS1_3genE0ELNS1_11target_archE4294967295ELNS1_3gpuE0ELNS1_3repE0EEENS1_47radix_sort_onesweep_sort_config_static_selectorELNS0_4arch9wavefront6targetE0EEEvSH_.kd
    .uniform_work_group_size: 1
    .uses_dynamic_stack: false
    .vgpr_count:     65
    .vgpr_spill_count: 0
    .wavefront_size: 32
  - .args:
      - .offset:         0
        .size:           88
        .value_kind:     by_value
    .group_segment_fixed_size: 0
    .kernarg_segment_align: 8
    .kernarg_segment_size: 88
    .language:       OpenCL C
    .language_version:
      - 2
      - 0
    .max_flat_workgroup_size: 1024
    .name:           _ZN7rocprim17ROCPRIM_400000_NS6detail17trampoline_kernelINS0_14default_configENS1_35radix_sort_onesweep_config_selectorI6__halfNS0_10empty_typeEEEZZNS1_29radix_sort_onesweep_iterationIS3_Lb0EPKS5_PS5_PS6_SC_mNS0_19identity_decomposerENS1_16block_id_wrapperIjLb0EEEEE10hipError_tT1_PNSt15iterator_traitsISH_E10value_typeET2_T3_PNSI_ISN_E10value_typeET4_T5_PSS_ST_PNS1_23onesweep_lookback_stateEbbT6_jjT7_P12ihipStream_tbENKUlT_T0_SH_SM_E_clISA_SB_SC_SC_EEDaS10_S11_SH_SM_EUlS10_E_NS1_11comp_targetILNS1_3genE6ELNS1_11target_archE950ELNS1_3gpuE13ELNS1_3repE0EEENS1_47radix_sort_onesweep_sort_config_static_selectorELNS0_4arch9wavefront6targetE0EEEvSH_
    .private_segment_fixed_size: 0
    .sgpr_count:     0
    .sgpr_spill_count: 0
    .symbol:         _ZN7rocprim17ROCPRIM_400000_NS6detail17trampoline_kernelINS0_14default_configENS1_35radix_sort_onesweep_config_selectorI6__halfNS0_10empty_typeEEEZZNS1_29radix_sort_onesweep_iterationIS3_Lb0EPKS5_PS5_PS6_SC_mNS0_19identity_decomposerENS1_16block_id_wrapperIjLb0EEEEE10hipError_tT1_PNSt15iterator_traitsISH_E10value_typeET2_T3_PNSI_ISN_E10value_typeET4_T5_PSS_ST_PNS1_23onesweep_lookback_stateEbbT6_jjT7_P12ihipStream_tbENKUlT_T0_SH_SM_E_clISA_SB_SC_SC_EEDaS10_S11_SH_SM_EUlS10_E_NS1_11comp_targetILNS1_3genE6ELNS1_11target_archE950ELNS1_3gpuE13ELNS1_3repE0EEENS1_47radix_sort_onesweep_sort_config_static_selectorELNS0_4arch9wavefront6targetE0EEEvSH_.kd
    .uniform_work_group_size: 1
    .uses_dynamic_stack: false
    .vgpr_count:     0
    .vgpr_spill_count: 0
    .wavefront_size: 32
  - .args:
      - .offset:         0
        .size:           88
        .value_kind:     by_value
    .group_segment_fixed_size: 0
    .kernarg_segment_align: 8
    .kernarg_segment_size: 88
    .language:       OpenCL C
    .language_version:
      - 2
      - 0
    .max_flat_workgroup_size: 1024
    .name:           _ZN7rocprim17ROCPRIM_400000_NS6detail17trampoline_kernelINS0_14default_configENS1_35radix_sort_onesweep_config_selectorI6__halfNS0_10empty_typeEEEZZNS1_29radix_sort_onesweep_iterationIS3_Lb0EPKS5_PS5_PS6_SC_mNS0_19identity_decomposerENS1_16block_id_wrapperIjLb0EEEEE10hipError_tT1_PNSt15iterator_traitsISH_E10value_typeET2_T3_PNSI_ISN_E10value_typeET4_T5_PSS_ST_PNS1_23onesweep_lookback_stateEbbT6_jjT7_P12ihipStream_tbENKUlT_T0_SH_SM_E_clISA_SB_SC_SC_EEDaS10_S11_SH_SM_EUlS10_E_NS1_11comp_targetILNS1_3genE5ELNS1_11target_archE942ELNS1_3gpuE9ELNS1_3repE0EEENS1_47radix_sort_onesweep_sort_config_static_selectorELNS0_4arch9wavefront6targetE0EEEvSH_
    .private_segment_fixed_size: 0
    .sgpr_count:     0
    .sgpr_spill_count: 0
    .symbol:         _ZN7rocprim17ROCPRIM_400000_NS6detail17trampoline_kernelINS0_14default_configENS1_35radix_sort_onesweep_config_selectorI6__halfNS0_10empty_typeEEEZZNS1_29radix_sort_onesweep_iterationIS3_Lb0EPKS5_PS5_PS6_SC_mNS0_19identity_decomposerENS1_16block_id_wrapperIjLb0EEEEE10hipError_tT1_PNSt15iterator_traitsISH_E10value_typeET2_T3_PNSI_ISN_E10value_typeET4_T5_PSS_ST_PNS1_23onesweep_lookback_stateEbbT6_jjT7_P12ihipStream_tbENKUlT_T0_SH_SM_E_clISA_SB_SC_SC_EEDaS10_S11_SH_SM_EUlS10_E_NS1_11comp_targetILNS1_3genE5ELNS1_11target_archE942ELNS1_3gpuE9ELNS1_3repE0EEENS1_47radix_sort_onesweep_sort_config_static_selectorELNS0_4arch9wavefront6targetE0EEEvSH_.kd
    .uniform_work_group_size: 1
    .uses_dynamic_stack: false
    .vgpr_count:     0
    .vgpr_spill_count: 0
    .wavefront_size: 32
  - .args:
      - .offset:         0
        .size:           88
        .value_kind:     by_value
    .group_segment_fixed_size: 0
    .kernarg_segment_align: 8
    .kernarg_segment_size: 88
    .language:       OpenCL C
    .language_version:
      - 2
      - 0
    .max_flat_workgroup_size: 512
    .name:           _ZN7rocprim17ROCPRIM_400000_NS6detail17trampoline_kernelINS0_14default_configENS1_35radix_sort_onesweep_config_selectorI6__halfNS0_10empty_typeEEEZZNS1_29radix_sort_onesweep_iterationIS3_Lb0EPKS5_PS5_PS6_SC_mNS0_19identity_decomposerENS1_16block_id_wrapperIjLb0EEEEE10hipError_tT1_PNSt15iterator_traitsISH_E10value_typeET2_T3_PNSI_ISN_E10value_typeET4_T5_PSS_ST_PNS1_23onesweep_lookback_stateEbbT6_jjT7_P12ihipStream_tbENKUlT_T0_SH_SM_E_clISA_SB_SC_SC_EEDaS10_S11_SH_SM_EUlS10_E_NS1_11comp_targetILNS1_3genE2ELNS1_11target_archE906ELNS1_3gpuE6ELNS1_3repE0EEENS1_47radix_sort_onesweep_sort_config_static_selectorELNS0_4arch9wavefront6targetE0EEEvSH_
    .private_segment_fixed_size: 0
    .sgpr_count:     0
    .sgpr_spill_count: 0
    .symbol:         _ZN7rocprim17ROCPRIM_400000_NS6detail17trampoline_kernelINS0_14default_configENS1_35radix_sort_onesweep_config_selectorI6__halfNS0_10empty_typeEEEZZNS1_29radix_sort_onesweep_iterationIS3_Lb0EPKS5_PS5_PS6_SC_mNS0_19identity_decomposerENS1_16block_id_wrapperIjLb0EEEEE10hipError_tT1_PNSt15iterator_traitsISH_E10value_typeET2_T3_PNSI_ISN_E10value_typeET4_T5_PSS_ST_PNS1_23onesweep_lookback_stateEbbT6_jjT7_P12ihipStream_tbENKUlT_T0_SH_SM_E_clISA_SB_SC_SC_EEDaS10_S11_SH_SM_EUlS10_E_NS1_11comp_targetILNS1_3genE2ELNS1_11target_archE906ELNS1_3gpuE6ELNS1_3repE0EEENS1_47radix_sort_onesweep_sort_config_static_selectorELNS0_4arch9wavefront6targetE0EEEvSH_.kd
    .uniform_work_group_size: 1
    .uses_dynamic_stack: false
    .vgpr_count:     0
    .vgpr_spill_count: 0
    .wavefront_size: 32
  - .args:
      - .offset:         0
        .size:           88
        .value_kind:     by_value
    .group_segment_fixed_size: 0
    .kernarg_segment_align: 8
    .kernarg_segment_size: 88
    .language:       OpenCL C
    .language_version:
      - 2
      - 0
    .max_flat_workgroup_size: 1024
    .name:           _ZN7rocprim17ROCPRIM_400000_NS6detail17trampoline_kernelINS0_14default_configENS1_35radix_sort_onesweep_config_selectorI6__halfNS0_10empty_typeEEEZZNS1_29radix_sort_onesweep_iterationIS3_Lb0EPKS5_PS5_PS6_SC_mNS0_19identity_decomposerENS1_16block_id_wrapperIjLb0EEEEE10hipError_tT1_PNSt15iterator_traitsISH_E10value_typeET2_T3_PNSI_ISN_E10value_typeET4_T5_PSS_ST_PNS1_23onesweep_lookback_stateEbbT6_jjT7_P12ihipStream_tbENKUlT_T0_SH_SM_E_clISA_SB_SC_SC_EEDaS10_S11_SH_SM_EUlS10_E_NS1_11comp_targetILNS1_3genE4ELNS1_11target_archE910ELNS1_3gpuE8ELNS1_3repE0EEENS1_47radix_sort_onesweep_sort_config_static_selectorELNS0_4arch9wavefront6targetE0EEEvSH_
    .private_segment_fixed_size: 0
    .sgpr_count:     0
    .sgpr_spill_count: 0
    .symbol:         _ZN7rocprim17ROCPRIM_400000_NS6detail17trampoline_kernelINS0_14default_configENS1_35radix_sort_onesweep_config_selectorI6__halfNS0_10empty_typeEEEZZNS1_29radix_sort_onesweep_iterationIS3_Lb0EPKS5_PS5_PS6_SC_mNS0_19identity_decomposerENS1_16block_id_wrapperIjLb0EEEEE10hipError_tT1_PNSt15iterator_traitsISH_E10value_typeET2_T3_PNSI_ISN_E10value_typeET4_T5_PSS_ST_PNS1_23onesweep_lookback_stateEbbT6_jjT7_P12ihipStream_tbENKUlT_T0_SH_SM_E_clISA_SB_SC_SC_EEDaS10_S11_SH_SM_EUlS10_E_NS1_11comp_targetILNS1_3genE4ELNS1_11target_archE910ELNS1_3gpuE8ELNS1_3repE0EEENS1_47radix_sort_onesweep_sort_config_static_selectorELNS0_4arch9wavefront6targetE0EEEvSH_.kd
    .uniform_work_group_size: 1
    .uses_dynamic_stack: false
    .vgpr_count:     0
    .vgpr_spill_count: 0
    .wavefront_size: 32
  - .args:
      - .offset:         0
        .size:           88
        .value_kind:     by_value
    .group_segment_fixed_size: 0
    .kernarg_segment_align: 8
    .kernarg_segment_size: 88
    .language:       OpenCL C
    .language_version:
      - 2
      - 0
    .max_flat_workgroup_size: 512
    .name:           _ZN7rocprim17ROCPRIM_400000_NS6detail17trampoline_kernelINS0_14default_configENS1_35radix_sort_onesweep_config_selectorI6__halfNS0_10empty_typeEEEZZNS1_29radix_sort_onesweep_iterationIS3_Lb0EPKS5_PS5_PS6_SC_mNS0_19identity_decomposerENS1_16block_id_wrapperIjLb0EEEEE10hipError_tT1_PNSt15iterator_traitsISH_E10value_typeET2_T3_PNSI_ISN_E10value_typeET4_T5_PSS_ST_PNS1_23onesweep_lookback_stateEbbT6_jjT7_P12ihipStream_tbENKUlT_T0_SH_SM_E_clISA_SB_SC_SC_EEDaS10_S11_SH_SM_EUlS10_E_NS1_11comp_targetILNS1_3genE3ELNS1_11target_archE908ELNS1_3gpuE7ELNS1_3repE0EEENS1_47radix_sort_onesweep_sort_config_static_selectorELNS0_4arch9wavefront6targetE0EEEvSH_
    .private_segment_fixed_size: 0
    .sgpr_count:     0
    .sgpr_spill_count: 0
    .symbol:         _ZN7rocprim17ROCPRIM_400000_NS6detail17trampoline_kernelINS0_14default_configENS1_35radix_sort_onesweep_config_selectorI6__halfNS0_10empty_typeEEEZZNS1_29radix_sort_onesweep_iterationIS3_Lb0EPKS5_PS5_PS6_SC_mNS0_19identity_decomposerENS1_16block_id_wrapperIjLb0EEEEE10hipError_tT1_PNSt15iterator_traitsISH_E10value_typeET2_T3_PNSI_ISN_E10value_typeET4_T5_PSS_ST_PNS1_23onesweep_lookback_stateEbbT6_jjT7_P12ihipStream_tbENKUlT_T0_SH_SM_E_clISA_SB_SC_SC_EEDaS10_S11_SH_SM_EUlS10_E_NS1_11comp_targetILNS1_3genE3ELNS1_11target_archE908ELNS1_3gpuE7ELNS1_3repE0EEENS1_47radix_sort_onesweep_sort_config_static_selectorELNS0_4arch9wavefront6targetE0EEEvSH_.kd
    .uniform_work_group_size: 1
    .uses_dynamic_stack: false
    .vgpr_count:     0
    .vgpr_spill_count: 0
    .wavefront_size: 32
  - .args:
      - .offset:         0
        .size:           88
        .value_kind:     by_value
    .group_segment_fixed_size: 0
    .kernarg_segment_align: 8
    .kernarg_segment_size: 88
    .language:       OpenCL C
    .language_version:
      - 2
      - 0
    .max_flat_workgroup_size: 256
    .name:           _ZN7rocprim17ROCPRIM_400000_NS6detail17trampoline_kernelINS0_14default_configENS1_35radix_sort_onesweep_config_selectorI6__halfNS0_10empty_typeEEEZZNS1_29radix_sort_onesweep_iterationIS3_Lb0EPKS5_PS5_PS6_SC_mNS0_19identity_decomposerENS1_16block_id_wrapperIjLb0EEEEE10hipError_tT1_PNSt15iterator_traitsISH_E10value_typeET2_T3_PNSI_ISN_E10value_typeET4_T5_PSS_ST_PNS1_23onesweep_lookback_stateEbbT6_jjT7_P12ihipStream_tbENKUlT_T0_SH_SM_E_clISA_SB_SC_SC_EEDaS10_S11_SH_SM_EUlS10_E_NS1_11comp_targetILNS1_3genE10ELNS1_11target_archE1201ELNS1_3gpuE5ELNS1_3repE0EEENS1_47radix_sort_onesweep_sort_config_static_selectorELNS0_4arch9wavefront6targetE0EEEvSH_
    .private_segment_fixed_size: 0
    .sgpr_count:     0
    .sgpr_spill_count: 0
    .symbol:         _ZN7rocprim17ROCPRIM_400000_NS6detail17trampoline_kernelINS0_14default_configENS1_35radix_sort_onesweep_config_selectorI6__halfNS0_10empty_typeEEEZZNS1_29radix_sort_onesweep_iterationIS3_Lb0EPKS5_PS5_PS6_SC_mNS0_19identity_decomposerENS1_16block_id_wrapperIjLb0EEEEE10hipError_tT1_PNSt15iterator_traitsISH_E10value_typeET2_T3_PNSI_ISN_E10value_typeET4_T5_PSS_ST_PNS1_23onesweep_lookback_stateEbbT6_jjT7_P12ihipStream_tbENKUlT_T0_SH_SM_E_clISA_SB_SC_SC_EEDaS10_S11_SH_SM_EUlS10_E_NS1_11comp_targetILNS1_3genE10ELNS1_11target_archE1201ELNS1_3gpuE5ELNS1_3repE0EEENS1_47radix_sort_onesweep_sort_config_static_selectorELNS0_4arch9wavefront6targetE0EEEvSH_.kd
    .uniform_work_group_size: 1
    .uses_dynamic_stack: false
    .vgpr_count:     0
    .vgpr_spill_count: 0
    .wavefront_size: 32
  - .args:
      - .offset:         0
        .size:           88
        .value_kind:     by_value
    .group_segment_fixed_size: 0
    .kernarg_segment_align: 8
    .kernarg_segment_size: 88
    .language:       OpenCL C
    .language_version:
      - 2
      - 0
    .max_flat_workgroup_size: 256
    .name:           _ZN7rocprim17ROCPRIM_400000_NS6detail17trampoline_kernelINS0_14default_configENS1_35radix_sort_onesweep_config_selectorI6__halfNS0_10empty_typeEEEZZNS1_29radix_sort_onesweep_iterationIS3_Lb0EPKS5_PS5_PS6_SC_mNS0_19identity_decomposerENS1_16block_id_wrapperIjLb0EEEEE10hipError_tT1_PNSt15iterator_traitsISH_E10value_typeET2_T3_PNSI_ISN_E10value_typeET4_T5_PSS_ST_PNS1_23onesweep_lookback_stateEbbT6_jjT7_P12ihipStream_tbENKUlT_T0_SH_SM_E_clISA_SB_SC_SC_EEDaS10_S11_SH_SM_EUlS10_E_NS1_11comp_targetILNS1_3genE9ELNS1_11target_archE1100ELNS1_3gpuE3ELNS1_3repE0EEENS1_47radix_sort_onesweep_sort_config_static_selectorELNS0_4arch9wavefront6targetE0EEEvSH_
    .private_segment_fixed_size: 0
    .sgpr_count:     0
    .sgpr_spill_count: 0
    .symbol:         _ZN7rocprim17ROCPRIM_400000_NS6detail17trampoline_kernelINS0_14default_configENS1_35radix_sort_onesweep_config_selectorI6__halfNS0_10empty_typeEEEZZNS1_29radix_sort_onesweep_iterationIS3_Lb0EPKS5_PS5_PS6_SC_mNS0_19identity_decomposerENS1_16block_id_wrapperIjLb0EEEEE10hipError_tT1_PNSt15iterator_traitsISH_E10value_typeET2_T3_PNSI_ISN_E10value_typeET4_T5_PSS_ST_PNS1_23onesweep_lookback_stateEbbT6_jjT7_P12ihipStream_tbENKUlT_T0_SH_SM_E_clISA_SB_SC_SC_EEDaS10_S11_SH_SM_EUlS10_E_NS1_11comp_targetILNS1_3genE9ELNS1_11target_archE1100ELNS1_3gpuE3ELNS1_3repE0EEENS1_47radix_sort_onesweep_sort_config_static_selectorELNS0_4arch9wavefront6targetE0EEEvSH_.kd
    .uniform_work_group_size: 1
    .uses_dynamic_stack: false
    .vgpr_count:     0
    .vgpr_spill_count: 0
    .wavefront_size: 32
  - .args:
      - .offset:         0
        .size:           88
        .value_kind:     by_value
    .group_segment_fixed_size: 0
    .kernarg_segment_align: 8
    .kernarg_segment_size: 88
    .language:       OpenCL C
    .language_version:
      - 2
      - 0
    .max_flat_workgroup_size: 256
    .name:           _ZN7rocprim17ROCPRIM_400000_NS6detail17trampoline_kernelINS0_14default_configENS1_35radix_sort_onesweep_config_selectorI6__halfNS0_10empty_typeEEEZZNS1_29radix_sort_onesweep_iterationIS3_Lb0EPKS5_PS5_PS6_SC_mNS0_19identity_decomposerENS1_16block_id_wrapperIjLb0EEEEE10hipError_tT1_PNSt15iterator_traitsISH_E10value_typeET2_T3_PNSI_ISN_E10value_typeET4_T5_PSS_ST_PNS1_23onesweep_lookback_stateEbbT6_jjT7_P12ihipStream_tbENKUlT_T0_SH_SM_E_clISA_SB_SC_SC_EEDaS10_S11_SH_SM_EUlS10_E_NS1_11comp_targetILNS1_3genE8ELNS1_11target_archE1030ELNS1_3gpuE2ELNS1_3repE0EEENS1_47radix_sort_onesweep_sort_config_static_selectorELNS0_4arch9wavefront6targetE0EEEvSH_
    .private_segment_fixed_size: 0
    .sgpr_count:     0
    .sgpr_spill_count: 0
    .symbol:         _ZN7rocprim17ROCPRIM_400000_NS6detail17trampoline_kernelINS0_14default_configENS1_35radix_sort_onesweep_config_selectorI6__halfNS0_10empty_typeEEEZZNS1_29radix_sort_onesweep_iterationIS3_Lb0EPKS5_PS5_PS6_SC_mNS0_19identity_decomposerENS1_16block_id_wrapperIjLb0EEEEE10hipError_tT1_PNSt15iterator_traitsISH_E10value_typeET2_T3_PNSI_ISN_E10value_typeET4_T5_PSS_ST_PNS1_23onesweep_lookback_stateEbbT6_jjT7_P12ihipStream_tbENKUlT_T0_SH_SM_E_clISA_SB_SC_SC_EEDaS10_S11_SH_SM_EUlS10_E_NS1_11comp_targetILNS1_3genE8ELNS1_11target_archE1030ELNS1_3gpuE2ELNS1_3repE0EEENS1_47radix_sort_onesweep_sort_config_static_selectorELNS0_4arch9wavefront6targetE0EEEvSH_.kd
    .uniform_work_group_size: 1
    .uses_dynamic_stack: false
    .vgpr_count:     0
    .vgpr_spill_count: 0
    .wavefront_size: 32
  - .args:
      - .offset:         0
        .size:           88
        .value_kind:     by_value
      - .offset:         88
        .size:           4
        .value_kind:     hidden_block_count_x
      - .offset:         92
        .size:           4
        .value_kind:     hidden_block_count_y
      - .offset:         96
        .size:           4
        .value_kind:     hidden_block_count_z
      - .offset:         100
        .size:           2
        .value_kind:     hidden_group_size_x
      - .offset:         102
        .size:           2
        .value_kind:     hidden_group_size_y
      - .offset:         104
        .size:           2
        .value_kind:     hidden_group_size_z
      - .offset:         106
        .size:           2
        .value_kind:     hidden_remainder_x
      - .offset:         108
        .size:           2
        .value_kind:     hidden_remainder_y
      - .offset:         110
        .size:           2
        .value_kind:     hidden_remainder_z
      - .offset:         128
        .size:           8
        .value_kind:     hidden_global_offset_x
      - .offset:         136
        .size:           8
        .value_kind:     hidden_global_offset_y
      - .offset:         144
        .size:           8
        .value_kind:     hidden_global_offset_z
      - .offset:         152
        .size:           2
        .value_kind:     hidden_grid_dims
    .group_segment_fixed_size: 18504
    .kernarg_segment_align: 8
    .kernarg_segment_size: 344
    .language:       OpenCL C
    .language_version:
      - 2
      - 0
    .max_flat_workgroup_size: 512
    .name:           _ZN7rocprim17ROCPRIM_400000_NS6detail17trampoline_kernelINS0_14default_configENS1_35radix_sort_onesweep_config_selectorI6__halfNS0_10empty_typeEEEZZNS1_29radix_sort_onesweep_iterationIS3_Lb0EPKS5_PS5_PS6_SC_mNS0_19identity_decomposerENS1_16block_id_wrapperIjLb0EEEEE10hipError_tT1_PNSt15iterator_traitsISH_E10value_typeET2_T3_PNSI_ISN_E10value_typeET4_T5_PSS_ST_PNS1_23onesweep_lookback_stateEbbT6_jjT7_P12ihipStream_tbENKUlT_T0_SH_SM_E_clISB_SB_SC_SC_EEDaS10_S11_SH_SM_EUlS10_E_NS1_11comp_targetILNS1_3genE0ELNS1_11target_archE4294967295ELNS1_3gpuE0ELNS1_3repE0EEENS1_47radix_sort_onesweep_sort_config_static_selectorELNS0_4arch9wavefront6targetE0EEEvSH_
    .private_segment_fixed_size: 0
    .sgpr_count:     30
    .sgpr_spill_count: 0
    .symbol:         _ZN7rocprim17ROCPRIM_400000_NS6detail17trampoline_kernelINS0_14default_configENS1_35radix_sort_onesweep_config_selectorI6__halfNS0_10empty_typeEEEZZNS1_29radix_sort_onesweep_iterationIS3_Lb0EPKS5_PS5_PS6_SC_mNS0_19identity_decomposerENS1_16block_id_wrapperIjLb0EEEEE10hipError_tT1_PNSt15iterator_traitsISH_E10value_typeET2_T3_PNSI_ISN_E10value_typeET4_T5_PSS_ST_PNS1_23onesweep_lookback_stateEbbT6_jjT7_P12ihipStream_tbENKUlT_T0_SH_SM_E_clISB_SB_SC_SC_EEDaS10_S11_SH_SM_EUlS10_E_NS1_11comp_targetILNS1_3genE0ELNS1_11target_archE4294967295ELNS1_3gpuE0ELNS1_3repE0EEENS1_47radix_sort_onesweep_sort_config_static_selectorELNS0_4arch9wavefront6targetE0EEEvSH_.kd
    .uniform_work_group_size: 1
    .uses_dynamic_stack: false
    .vgpr_count:     65
    .vgpr_spill_count: 0
    .wavefront_size: 32
  - .args:
      - .offset:         0
        .size:           88
        .value_kind:     by_value
    .group_segment_fixed_size: 0
    .kernarg_segment_align: 8
    .kernarg_segment_size: 88
    .language:       OpenCL C
    .language_version:
      - 2
      - 0
    .max_flat_workgroup_size: 1024
    .name:           _ZN7rocprim17ROCPRIM_400000_NS6detail17trampoline_kernelINS0_14default_configENS1_35radix_sort_onesweep_config_selectorI6__halfNS0_10empty_typeEEEZZNS1_29radix_sort_onesweep_iterationIS3_Lb0EPKS5_PS5_PS6_SC_mNS0_19identity_decomposerENS1_16block_id_wrapperIjLb0EEEEE10hipError_tT1_PNSt15iterator_traitsISH_E10value_typeET2_T3_PNSI_ISN_E10value_typeET4_T5_PSS_ST_PNS1_23onesweep_lookback_stateEbbT6_jjT7_P12ihipStream_tbENKUlT_T0_SH_SM_E_clISB_SB_SC_SC_EEDaS10_S11_SH_SM_EUlS10_E_NS1_11comp_targetILNS1_3genE6ELNS1_11target_archE950ELNS1_3gpuE13ELNS1_3repE0EEENS1_47radix_sort_onesweep_sort_config_static_selectorELNS0_4arch9wavefront6targetE0EEEvSH_
    .private_segment_fixed_size: 0
    .sgpr_count:     0
    .sgpr_spill_count: 0
    .symbol:         _ZN7rocprim17ROCPRIM_400000_NS6detail17trampoline_kernelINS0_14default_configENS1_35radix_sort_onesweep_config_selectorI6__halfNS0_10empty_typeEEEZZNS1_29radix_sort_onesweep_iterationIS3_Lb0EPKS5_PS5_PS6_SC_mNS0_19identity_decomposerENS1_16block_id_wrapperIjLb0EEEEE10hipError_tT1_PNSt15iterator_traitsISH_E10value_typeET2_T3_PNSI_ISN_E10value_typeET4_T5_PSS_ST_PNS1_23onesweep_lookback_stateEbbT6_jjT7_P12ihipStream_tbENKUlT_T0_SH_SM_E_clISB_SB_SC_SC_EEDaS10_S11_SH_SM_EUlS10_E_NS1_11comp_targetILNS1_3genE6ELNS1_11target_archE950ELNS1_3gpuE13ELNS1_3repE0EEENS1_47radix_sort_onesweep_sort_config_static_selectorELNS0_4arch9wavefront6targetE0EEEvSH_.kd
    .uniform_work_group_size: 1
    .uses_dynamic_stack: false
    .vgpr_count:     0
    .vgpr_spill_count: 0
    .wavefront_size: 32
  - .args:
      - .offset:         0
        .size:           88
        .value_kind:     by_value
    .group_segment_fixed_size: 0
    .kernarg_segment_align: 8
    .kernarg_segment_size: 88
    .language:       OpenCL C
    .language_version:
      - 2
      - 0
    .max_flat_workgroup_size: 1024
    .name:           _ZN7rocprim17ROCPRIM_400000_NS6detail17trampoline_kernelINS0_14default_configENS1_35radix_sort_onesweep_config_selectorI6__halfNS0_10empty_typeEEEZZNS1_29radix_sort_onesweep_iterationIS3_Lb0EPKS5_PS5_PS6_SC_mNS0_19identity_decomposerENS1_16block_id_wrapperIjLb0EEEEE10hipError_tT1_PNSt15iterator_traitsISH_E10value_typeET2_T3_PNSI_ISN_E10value_typeET4_T5_PSS_ST_PNS1_23onesweep_lookback_stateEbbT6_jjT7_P12ihipStream_tbENKUlT_T0_SH_SM_E_clISB_SB_SC_SC_EEDaS10_S11_SH_SM_EUlS10_E_NS1_11comp_targetILNS1_3genE5ELNS1_11target_archE942ELNS1_3gpuE9ELNS1_3repE0EEENS1_47radix_sort_onesweep_sort_config_static_selectorELNS0_4arch9wavefront6targetE0EEEvSH_
    .private_segment_fixed_size: 0
    .sgpr_count:     0
    .sgpr_spill_count: 0
    .symbol:         _ZN7rocprim17ROCPRIM_400000_NS6detail17trampoline_kernelINS0_14default_configENS1_35radix_sort_onesweep_config_selectorI6__halfNS0_10empty_typeEEEZZNS1_29radix_sort_onesweep_iterationIS3_Lb0EPKS5_PS5_PS6_SC_mNS0_19identity_decomposerENS1_16block_id_wrapperIjLb0EEEEE10hipError_tT1_PNSt15iterator_traitsISH_E10value_typeET2_T3_PNSI_ISN_E10value_typeET4_T5_PSS_ST_PNS1_23onesweep_lookback_stateEbbT6_jjT7_P12ihipStream_tbENKUlT_T0_SH_SM_E_clISB_SB_SC_SC_EEDaS10_S11_SH_SM_EUlS10_E_NS1_11comp_targetILNS1_3genE5ELNS1_11target_archE942ELNS1_3gpuE9ELNS1_3repE0EEENS1_47radix_sort_onesweep_sort_config_static_selectorELNS0_4arch9wavefront6targetE0EEEvSH_.kd
    .uniform_work_group_size: 1
    .uses_dynamic_stack: false
    .vgpr_count:     0
    .vgpr_spill_count: 0
    .wavefront_size: 32
  - .args:
      - .offset:         0
        .size:           88
        .value_kind:     by_value
    .group_segment_fixed_size: 0
    .kernarg_segment_align: 8
    .kernarg_segment_size: 88
    .language:       OpenCL C
    .language_version:
      - 2
      - 0
    .max_flat_workgroup_size: 512
    .name:           _ZN7rocprim17ROCPRIM_400000_NS6detail17trampoline_kernelINS0_14default_configENS1_35radix_sort_onesweep_config_selectorI6__halfNS0_10empty_typeEEEZZNS1_29radix_sort_onesweep_iterationIS3_Lb0EPKS5_PS5_PS6_SC_mNS0_19identity_decomposerENS1_16block_id_wrapperIjLb0EEEEE10hipError_tT1_PNSt15iterator_traitsISH_E10value_typeET2_T3_PNSI_ISN_E10value_typeET4_T5_PSS_ST_PNS1_23onesweep_lookback_stateEbbT6_jjT7_P12ihipStream_tbENKUlT_T0_SH_SM_E_clISB_SB_SC_SC_EEDaS10_S11_SH_SM_EUlS10_E_NS1_11comp_targetILNS1_3genE2ELNS1_11target_archE906ELNS1_3gpuE6ELNS1_3repE0EEENS1_47radix_sort_onesweep_sort_config_static_selectorELNS0_4arch9wavefront6targetE0EEEvSH_
    .private_segment_fixed_size: 0
    .sgpr_count:     0
    .sgpr_spill_count: 0
    .symbol:         _ZN7rocprim17ROCPRIM_400000_NS6detail17trampoline_kernelINS0_14default_configENS1_35radix_sort_onesweep_config_selectorI6__halfNS0_10empty_typeEEEZZNS1_29radix_sort_onesweep_iterationIS3_Lb0EPKS5_PS5_PS6_SC_mNS0_19identity_decomposerENS1_16block_id_wrapperIjLb0EEEEE10hipError_tT1_PNSt15iterator_traitsISH_E10value_typeET2_T3_PNSI_ISN_E10value_typeET4_T5_PSS_ST_PNS1_23onesweep_lookback_stateEbbT6_jjT7_P12ihipStream_tbENKUlT_T0_SH_SM_E_clISB_SB_SC_SC_EEDaS10_S11_SH_SM_EUlS10_E_NS1_11comp_targetILNS1_3genE2ELNS1_11target_archE906ELNS1_3gpuE6ELNS1_3repE0EEENS1_47radix_sort_onesweep_sort_config_static_selectorELNS0_4arch9wavefront6targetE0EEEvSH_.kd
    .uniform_work_group_size: 1
    .uses_dynamic_stack: false
    .vgpr_count:     0
    .vgpr_spill_count: 0
    .wavefront_size: 32
  - .args:
      - .offset:         0
        .size:           88
        .value_kind:     by_value
    .group_segment_fixed_size: 0
    .kernarg_segment_align: 8
    .kernarg_segment_size: 88
    .language:       OpenCL C
    .language_version:
      - 2
      - 0
    .max_flat_workgroup_size: 1024
    .name:           _ZN7rocprim17ROCPRIM_400000_NS6detail17trampoline_kernelINS0_14default_configENS1_35radix_sort_onesweep_config_selectorI6__halfNS0_10empty_typeEEEZZNS1_29radix_sort_onesweep_iterationIS3_Lb0EPKS5_PS5_PS6_SC_mNS0_19identity_decomposerENS1_16block_id_wrapperIjLb0EEEEE10hipError_tT1_PNSt15iterator_traitsISH_E10value_typeET2_T3_PNSI_ISN_E10value_typeET4_T5_PSS_ST_PNS1_23onesweep_lookback_stateEbbT6_jjT7_P12ihipStream_tbENKUlT_T0_SH_SM_E_clISB_SB_SC_SC_EEDaS10_S11_SH_SM_EUlS10_E_NS1_11comp_targetILNS1_3genE4ELNS1_11target_archE910ELNS1_3gpuE8ELNS1_3repE0EEENS1_47radix_sort_onesweep_sort_config_static_selectorELNS0_4arch9wavefront6targetE0EEEvSH_
    .private_segment_fixed_size: 0
    .sgpr_count:     0
    .sgpr_spill_count: 0
    .symbol:         _ZN7rocprim17ROCPRIM_400000_NS6detail17trampoline_kernelINS0_14default_configENS1_35radix_sort_onesweep_config_selectorI6__halfNS0_10empty_typeEEEZZNS1_29radix_sort_onesweep_iterationIS3_Lb0EPKS5_PS5_PS6_SC_mNS0_19identity_decomposerENS1_16block_id_wrapperIjLb0EEEEE10hipError_tT1_PNSt15iterator_traitsISH_E10value_typeET2_T3_PNSI_ISN_E10value_typeET4_T5_PSS_ST_PNS1_23onesweep_lookback_stateEbbT6_jjT7_P12ihipStream_tbENKUlT_T0_SH_SM_E_clISB_SB_SC_SC_EEDaS10_S11_SH_SM_EUlS10_E_NS1_11comp_targetILNS1_3genE4ELNS1_11target_archE910ELNS1_3gpuE8ELNS1_3repE0EEENS1_47radix_sort_onesweep_sort_config_static_selectorELNS0_4arch9wavefront6targetE0EEEvSH_.kd
    .uniform_work_group_size: 1
    .uses_dynamic_stack: false
    .vgpr_count:     0
    .vgpr_spill_count: 0
    .wavefront_size: 32
  - .args:
      - .offset:         0
        .size:           88
        .value_kind:     by_value
    .group_segment_fixed_size: 0
    .kernarg_segment_align: 8
    .kernarg_segment_size: 88
    .language:       OpenCL C
    .language_version:
      - 2
      - 0
    .max_flat_workgroup_size: 512
    .name:           _ZN7rocprim17ROCPRIM_400000_NS6detail17trampoline_kernelINS0_14default_configENS1_35radix_sort_onesweep_config_selectorI6__halfNS0_10empty_typeEEEZZNS1_29radix_sort_onesweep_iterationIS3_Lb0EPKS5_PS5_PS6_SC_mNS0_19identity_decomposerENS1_16block_id_wrapperIjLb0EEEEE10hipError_tT1_PNSt15iterator_traitsISH_E10value_typeET2_T3_PNSI_ISN_E10value_typeET4_T5_PSS_ST_PNS1_23onesweep_lookback_stateEbbT6_jjT7_P12ihipStream_tbENKUlT_T0_SH_SM_E_clISB_SB_SC_SC_EEDaS10_S11_SH_SM_EUlS10_E_NS1_11comp_targetILNS1_3genE3ELNS1_11target_archE908ELNS1_3gpuE7ELNS1_3repE0EEENS1_47radix_sort_onesweep_sort_config_static_selectorELNS0_4arch9wavefront6targetE0EEEvSH_
    .private_segment_fixed_size: 0
    .sgpr_count:     0
    .sgpr_spill_count: 0
    .symbol:         _ZN7rocprim17ROCPRIM_400000_NS6detail17trampoline_kernelINS0_14default_configENS1_35radix_sort_onesweep_config_selectorI6__halfNS0_10empty_typeEEEZZNS1_29radix_sort_onesweep_iterationIS3_Lb0EPKS5_PS5_PS6_SC_mNS0_19identity_decomposerENS1_16block_id_wrapperIjLb0EEEEE10hipError_tT1_PNSt15iterator_traitsISH_E10value_typeET2_T3_PNSI_ISN_E10value_typeET4_T5_PSS_ST_PNS1_23onesweep_lookback_stateEbbT6_jjT7_P12ihipStream_tbENKUlT_T0_SH_SM_E_clISB_SB_SC_SC_EEDaS10_S11_SH_SM_EUlS10_E_NS1_11comp_targetILNS1_3genE3ELNS1_11target_archE908ELNS1_3gpuE7ELNS1_3repE0EEENS1_47radix_sort_onesweep_sort_config_static_selectorELNS0_4arch9wavefront6targetE0EEEvSH_.kd
    .uniform_work_group_size: 1
    .uses_dynamic_stack: false
    .vgpr_count:     0
    .vgpr_spill_count: 0
    .wavefront_size: 32
  - .args:
      - .offset:         0
        .size:           88
        .value_kind:     by_value
    .group_segment_fixed_size: 0
    .kernarg_segment_align: 8
    .kernarg_segment_size: 88
    .language:       OpenCL C
    .language_version:
      - 2
      - 0
    .max_flat_workgroup_size: 256
    .name:           _ZN7rocprim17ROCPRIM_400000_NS6detail17trampoline_kernelINS0_14default_configENS1_35radix_sort_onesweep_config_selectorI6__halfNS0_10empty_typeEEEZZNS1_29radix_sort_onesweep_iterationIS3_Lb0EPKS5_PS5_PS6_SC_mNS0_19identity_decomposerENS1_16block_id_wrapperIjLb0EEEEE10hipError_tT1_PNSt15iterator_traitsISH_E10value_typeET2_T3_PNSI_ISN_E10value_typeET4_T5_PSS_ST_PNS1_23onesweep_lookback_stateEbbT6_jjT7_P12ihipStream_tbENKUlT_T0_SH_SM_E_clISB_SB_SC_SC_EEDaS10_S11_SH_SM_EUlS10_E_NS1_11comp_targetILNS1_3genE10ELNS1_11target_archE1201ELNS1_3gpuE5ELNS1_3repE0EEENS1_47radix_sort_onesweep_sort_config_static_selectorELNS0_4arch9wavefront6targetE0EEEvSH_
    .private_segment_fixed_size: 0
    .sgpr_count:     0
    .sgpr_spill_count: 0
    .symbol:         _ZN7rocprim17ROCPRIM_400000_NS6detail17trampoline_kernelINS0_14default_configENS1_35radix_sort_onesweep_config_selectorI6__halfNS0_10empty_typeEEEZZNS1_29radix_sort_onesweep_iterationIS3_Lb0EPKS5_PS5_PS6_SC_mNS0_19identity_decomposerENS1_16block_id_wrapperIjLb0EEEEE10hipError_tT1_PNSt15iterator_traitsISH_E10value_typeET2_T3_PNSI_ISN_E10value_typeET4_T5_PSS_ST_PNS1_23onesweep_lookback_stateEbbT6_jjT7_P12ihipStream_tbENKUlT_T0_SH_SM_E_clISB_SB_SC_SC_EEDaS10_S11_SH_SM_EUlS10_E_NS1_11comp_targetILNS1_3genE10ELNS1_11target_archE1201ELNS1_3gpuE5ELNS1_3repE0EEENS1_47radix_sort_onesweep_sort_config_static_selectorELNS0_4arch9wavefront6targetE0EEEvSH_.kd
    .uniform_work_group_size: 1
    .uses_dynamic_stack: false
    .vgpr_count:     0
    .vgpr_spill_count: 0
    .wavefront_size: 32
  - .args:
      - .offset:         0
        .size:           88
        .value_kind:     by_value
    .group_segment_fixed_size: 0
    .kernarg_segment_align: 8
    .kernarg_segment_size: 88
    .language:       OpenCL C
    .language_version:
      - 2
      - 0
    .max_flat_workgroup_size: 256
    .name:           _ZN7rocprim17ROCPRIM_400000_NS6detail17trampoline_kernelINS0_14default_configENS1_35radix_sort_onesweep_config_selectorI6__halfNS0_10empty_typeEEEZZNS1_29radix_sort_onesweep_iterationIS3_Lb0EPKS5_PS5_PS6_SC_mNS0_19identity_decomposerENS1_16block_id_wrapperIjLb0EEEEE10hipError_tT1_PNSt15iterator_traitsISH_E10value_typeET2_T3_PNSI_ISN_E10value_typeET4_T5_PSS_ST_PNS1_23onesweep_lookback_stateEbbT6_jjT7_P12ihipStream_tbENKUlT_T0_SH_SM_E_clISB_SB_SC_SC_EEDaS10_S11_SH_SM_EUlS10_E_NS1_11comp_targetILNS1_3genE9ELNS1_11target_archE1100ELNS1_3gpuE3ELNS1_3repE0EEENS1_47radix_sort_onesweep_sort_config_static_selectorELNS0_4arch9wavefront6targetE0EEEvSH_
    .private_segment_fixed_size: 0
    .sgpr_count:     0
    .sgpr_spill_count: 0
    .symbol:         _ZN7rocprim17ROCPRIM_400000_NS6detail17trampoline_kernelINS0_14default_configENS1_35radix_sort_onesweep_config_selectorI6__halfNS0_10empty_typeEEEZZNS1_29radix_sort_onesweep_iterationIS3_Lb0EPKS5_PS5_PS6_SC_mNS0_19identity_decomposerENS1_16block_id_wrapperIjLb0EEEEE10hipError_tT1_PNSt15iterator_traitsISH_E10value_typeET2_T3_PNSI_ISN_E10value_typeET4_T5_PSS_ST_PNS1_23onesweep_lookback_stateEbbT6_jjT7_P12ihipStream_tbENKUlT_T0_SH_SM_E_clISB_SB_SC_SC_EEDaS10_S11_SH_SM_EUlS10_E_NS1_11comp_targetILNS1_3genE9ELNS1_11target_archE1100ELNS1_3gpuE3ELNS1_3repE0EEENS1_47radix_sort_onesweep_sort_config_static_selectorELNS0_4arch9wavefront6targetE0EEEvSH_.kd
    .uniform_work_group_size: 1
    .uses_dynamic_stack: false
    .vgpr_count:     0
    .vgpr_spill_count: 0
    .wavefront_size: 32
  - .args:
      - .offset:         0
        .size:           88
        .value_kind:     by_value
    .group_segment_fixed_size: 0
    .kernarg_segment_align: 8
    .kernarg_segment_size: 88
    .language:       OpenCL C
    .language_version:
      - 2
      - 0
    .max_flat_workgroup_size: 256
    .name:           _ZN7rocprim17ROCPRIM_400000_NS6detail17trampoline_kernelINS0_14default_configENS1_35radix_sort_onesweep_config_selectorI6__halfNS0_10empty_typeEEEZZNS1_29radix_sort_onesweep_iterationIS3_Lb0EPKS5_PS5_PS6_SC_mNS0_19identity_decomposerENS1_16block_id_wrapperIjLb0EEEEE10hipError_tT1_PNSt15iterator_traitsISH_E10value_typeET2_T3_PNSI_ISN_E10value_typeET4_T5_PSS_ST_PNS1_23onesweep_lookback_stateEbbT6_jjT7_P12ihipStream_tbENKUlT_T0_SH_SM_E_clISB_SB_SC_SC_EEDaS10_S11_SH_SM_EUlS10_E_NS1_11comp_targetILNS1_3genE8ELNS1_11target_archE1030ELNS1_3gpuE2ELNS1_3repE0EEENS1_47radix_sort_onesweep_sort_config_static_selectorELNS0_4arch9wavefront6targetE0EEEvSH_
    .private_segment_fixed_size: 0
    .sgpr_count:     0
    .sgpr_spill_count: 0
    .symbol:         _ZN7rocprim17ROCPRIM_400000_NS6detail17trampoline_kernelINS0_14default_configENS1_35radix_sort_onesweep_config_selectorI6__halfNS0_10empty_typeEEEZZNS1_29radix_sort_onesweep_iterationIS3_Lb0EPKS5_PS5_PS6_SC_mNS0_19identity_decomposerENS1_16block_id_wrapperIjLb0EEEEE10hipError_tT1_PNSt15iterator_traitsISH_E10value_typeET2_T3_PNSI_ISN_E10value_typeET4_T5_PSS_ST_PNS1_23onesweep_lookback_stateEbbT6_jjT7_P12ihipStream_tbENKUlT_T0_SH_SM_E_clISB_SB_SC_SC_EEDaS10_S11_SH_SM_EUlS10_E_NS1_11comp_targetILNS1_3genE8ELNS1_11target_archE1030ELNS1_3gpuE2ELNS1_3repE0EEENS1_47radix_sort_onesweep_sort_config_static_selectorELNS0_4arch9wavefront6targetE0EEEvSH_.kd
    .uniform_work_group_size: 1
    .uses_dynamic_stack: false
    .vgpr_count:     0
    .vgpr_spill_count: 0
    .wavefront_size: 32
  - .args:
      - .offset:         0
        .size:           48
        .value_kind:     by_value
      - .offset:         48
        .size:           4
        .value_kind:     hidden_block_count_x
      - .offset:         52
        .size:           4
        .value_kind:     hidden_block_count_y
      - .offset:         56
        .size:           4
        .value_kind:     hidden_block_count_z
      - .offset:         60
        .size:           2
        .value_kind:     hidden_group_size_x
      - .offset:         62
        .size:           2
        .value_kind:     hidden_group_size_y
      - .offset:         64
        .size:           2
        .value_kind:     hidden_group_size_z
      - .offset:         66
        .size:           2
        .value_kind:     hidden_remainder_x
      - .offset:         68
        .size:           2
        .value_kind:     hidden_remainder_y
      - .offset:         70
        .size:           2
        .value_kind:     hidden_remainder_z
      - .offset:         88
        .size:           8
        .value_kind:     hidden_global_offset_x
      - .offset:         96
        .size:           8
        .value_kind:     hidden_global_offset_y
      - .offset:         104
        .size:           8
        .value_kind:     hidden_global_offset_z
      - .offset:         112
        .size:           2
        .value_kind:     hidden_grid_dims
    .group_segment_fixed_size: 8224
    .kernarg_segment_align: 8
    .kernarg_segment_size: 304
    .language:       OpenCL C
    .language_version:
      - 2
      - 0
    .max_flat_workgroup_size: 256
    .name:           _ZN7rocprim17ROCPRIM_400000_NS6detail17trampoline_kernelINS0_13kernel_configILj256ELj4ELj4294967295EEENS1_37radix_sort_block_sort_config_selectorItNS0_10empty_typeEEEZNS1_21radix_sort_block_sortIS4_Lb1EPKtPtPS6_SC_NS0_19identity_decomposerEEE10hipError_tT1_T2_T3_T4_jRjT5_jjP12ihipStream_tbEUlT_E_NS1_11comp_targetILNS1_3genE0ELNS1_11target_archE4294967295ELNS1_3gpuE0ELNS1_3repE0EEENS1_44radix_sort_block_sort_config_static_selectorELNS0_4arch9wavefront6targetE0EEEvSF_
    .private_segment_fixed_size: 0
    .sgpr_count:     31
    .sgpr_spill_count: 0
    .symbol:         _ZN7rocprim17ROCPRIM_400000_NS6detail17trampoline_kernelINS0_13kernel_configILj256ELj4ELj4294967295EEENS1_37radix_sort_block_sort_config_selectorItNS0_10empty_typeEEEZNS1_21radix_sort_block_sortIS4_Lb1EPKtPtPS6_SC_NS0_19identity_decomposerEEE10hipError_tT1_T2_T3_T4_jRjT5_jjP12ihipStream_tbEUlT_E_NS1_11comp_targetILNS1_3genE0ELNS1_11target_archE4294967295ELNS1_3gpuE0ELNS1_3repE0EEENS1_44radix_sort_block_sort_config_static_selectorELNS0_4arch9wavefront6targetE0EEEvSF_.kd
    .uniform_work_group_size: 1
    .uses_dynamic_stack: false
    .vgpr_count:     38
    .vgpr_spill_count: 0
    .wavefront_size: 32
  - .args:
      - .offset:         0
        .size:           48
        .value_kind:     by_value
    .group_segment_fixed_size: 0
    .kernarg_segment_align: 8
    .kernarg_segment_size: 48
    .language:       OpenCL C
    .language_version:
      - 2
      - 0
    .max_flat_workgroup_size: 256
    .name:           _ZN7rocprim17ROCPRIM_400000_NS6detail17trampoline_kernelINS0_13kernel_configILj256ELj4ELj4294967295EEENS1_37radix_sort_block_sort_config_selectorItNS0_10empty_typeEEEZNS1_21radix_sort_block_sortIS4_Lb1EPKtPtPS6_SC_NS0_19identity_decomposerEEE10hipError_tT1_T2_T3_T4_jRjT5_jjP12ihipStream_tbEUlT_E_NS1_11comp_targetILNS1_3genE5ELNS1_11target_archE942ELNS1_3gpuE9ELNS1_3repE0EEENS1_44radix_sort_block_sort_config_static_selectorELNS0_4arch9wavefront6targetE0EEEvSF_
    .private_segment_fixed_size: 0
    .sgpr_count:     0
    .sgpr_spill_count: 0
    .symbol:         _ZN7rocprim17ROCPRIM_400000_NS6detail17trampoline_kernelINS0_13kernel_configILj256ELj4ELj4294967295EEENS1_37radix_sort_block_sort_config_selectorItNS0_10empty_typeEEEZNS1_21radix_sort_block_sortIS4_Lb1EPKtPtPS6_SC_NS0_19identity_decomposerEEE10hipError_tT1_T2_T3_T4_jRjT5_jjP12ihipStream_tbEUlT_E_NS1_11comp_targetILNS1_3genE5ELNS1_11target_archE942ELNS1_3gpuE9ELNS1_3repE0EEENS1_44radix_sort_block_sort_config_static_selectorELNS0_4arch9wavefront6targetE0EEEvSF_.kd
    .uniform_work_group_size: 1
    .uses_dynamic_stack: false
    .vgpr_count:     0
    .vgpr_spill_count: 0
    .wavefront_size: 32
  - .args:
      - .offset:         0
        .size:           48
        .value_kind:     by_value
    .group_segment_fixed_size: 0
    .kernarg_segment_align: 8
    .kernarg_segment_size: 48
    .language:       OpenCL C
    .language_version:
      - 2
      - 0
    .max_flat_workgroup_size: 256
    .name:           _ZN7rocprim17ROCPRIM_400000_NS6detail17trampoline_kernelINS0_13kernel_configILj256ELj4ELj4294967295EEENS1_37radix_sort_block_sort_config_selectorItNS0_10empty_typeEEEZNS1_21radix_sort_block_sortIS4_Lb1EPKtPtPS6_SC_NS0_19identity_decomposerEEE10hipError_tT1_T2_T3_T4_jRjT5_jjP12ihipStream_tbEUlT_E_NS1_11comp_targetILNS1_3genE4ELNS1_11target_archE910ELNS1_3gpuE8ELNS1_3repE0EEENS1_44radix_sort_block_sort_config_static_selectorELNS0_4arch9wavefront6targetE0EEEvSF_
    .private_segment_fixed_size: 0
    .sgpr_count:     0
    .sgpr_spill_count: 0
    .symbol:         _ZN7rocprim17ROCPRIM_400000_NS6detail17trampoline_kernelINS0_13kernel_configILj256ELj4ELj4294967295EEENS1_37radix_sort_block_sort_config_selectorItNS0_10empty_typeEEEZNS1_21radix_sort_block_sortIS4_Lb1EPKtPtPS6_SC_NS0_19identity_decomposerEEE10hipError_tT1_T2_T3_T4_jRjT5_jjP12ihipStream_tbEUlT_E_NS1_11comp_targetILNS1_3genE4ELNS1_11target_archE910ELNS1_3gpuE8ELNS1_3repE0EEENS1_44radix_sort_block_sort_config_static_selectorELNS0_4arch9wavefront6targetE0EEEvSF_.kd
    .uniform_work_group_size: 1
    .uses_dynamic_stack: false
    .vgpr_count:     0
    .vgpr_spill_count: 0
    .wavefront_size: 32
  - .args:
      - .offset:         0
        .size:           48
        .value_kind:     by_value
    .group_segment_fixed_size: 0
    .kernarg_segment_align: 8
    .kernarg_segment_size: 48
    .language:       OpenCL C
    .language_version:
      - 2
      - 0
    .max_flat_workgroup_size: 256
    .name:           _ZN7rocprim17ROCPRIM_400000_NS6detail17trampoline_kernelINS0_13kernel_configILj256ELj4ELj4294967295EEENS1_37radix_sort_block_sort_config_selectorItNS0_10empty_typeEEEZNS1_21radix_sort_block_sortIS4_Lb1EPKtPtPS6_SC_NS0_19identity_decomposerEEE10hipError_tT1_T2_T3_T4_jRjT5_jjP12ihipStream_tbEUlT_E_NS1_11comp_targetILNS1_3genE3ELNS1_11target_archE908ELNS1_3gpuE7ELNS1_3repE0EEENS1_44radix_sort_block_sort_config_static_selectorELNS0_4arch9wavefront6targetE0EEEvSF_
    .private_segment_fixed_size: 0
    .sgpr_count:     0
    .sgpr_spill_count: 0
    .symbol:         _ZN7rocprim17ROCPRIM_400000_NS6detail17trampoline_kernelINS0_13kernel_configILj256ELj4ELj4294967295EEENS1_37radix_sort_block_sort_config_selectorItNS0_10empty_typeEEEZNS1_21radix_sort_block_sortIS4_Lb1EPKtPtPS6_SC_NS0_19identity_decomposerEEE10hipError_tT1_T2_T3_T4_jRjT5_jjP12ihipStream_tbEUlT_E_NS1_11comp_targetILNS1_3genE3ELNS1_11target_archE908ELNS1_3gpuE7ELNS1_3repE0EEENS1_44radix_sort_block_sort_config_static_selectorELNS0_4arch9wavefront6targetE0EEEvSF_.kd
    .uniform_work_group_size: 1
    .uses_dynamic_stack: false
    .vgpr_count:     0
    .vgpr_spill_count: 0
    .wavefront_size: 32
  - .args:
      - .offset:         0
        .size:           48
        .value_kind:     by_value
    .group_segment_fixed_size: 0
    .kernarg_segment_align: 8
    .kernarg_segment_size: 48
    .language:       OpenCL C
    .language_version:
      - 2
      - 0
    .max_flat_workgroup_size: 256
    .name:           _ZN7rocprim17ROCPRIM_400000_NS6detail17trampoline_kernelINS0_13kernel_configILj256ELj4ELj4294967295EEENS1_37radix_sort_block_sort_config_selectorItNS0_10empty_typeEEEZNS1_21radix_sort_block_sortIS4_Lb1EPKtPtPS6_SC_NS0_19identity_decomposerEEE10hipError_tT1_T2_T3_T4_jRjT5_jjP12ihipStream_tbEUlT_E_NS1_11comp_targetILNS1_3genE2ELNS1_11target_archE906ELNS1_3gpuE6ELNS1_3repE0EEENS1_44radix_sort_block_sort_config_static_selectorELNS0_4arch9wavefront6targetE0EEEvSF_
    .private_segment_fixed_size: 0
    .sgpr_count:     0
    .sgpr_spill_count: 0
    .symbol:         _ZN7rocprim17ROCPRIM_400000_NS6detail17trampoline_kernelINS0_13kernel_configILj256ELj4ELj4294967295EEENS1_37radix_sort_block_sort_config_selectorItNS0_10empty_typeEEEZNS1_21radix_sort_block_sortIS4_Lb1EPKtPtPS6_SC_NS0_19identity_decomposerEEE10hipError_tT1_T2_T3_T4_jRjT5_jjP12ihipStream_tbEUlT_E_NS1_11comp_targetILNS1_3genE2ELNS1_11target_archE906ELNS1_3gpuE6ELNS1_3repE0EEENS1_44radix_sort_block_sort_config_static_selectorELNS0_4arch9wavefront6targetE0EEEvSF_.kd
    .uniform_work_group_size: 1
    .uses_dynamic_stack: false
    .vgpr_count:     0
    .vgpr_spill_count: 0
    .wavefront_size: 32
  - .args:
      - .offset:         0
        .size:           48
        .value_kind:     by_value
    .group_segment_fixed_size: 0
    .kernarg_segment_align: 8
    .kernarg_segment_size: 48
    .language:       OpenCL C
    .language_version:
      - 2
      - 0
    .max_flat_workgroup_size: 256
    .name:           _ZN7rocprim17ROCPRIM_400000_NS6detail17trampoline_kernelINS0_13kernel_configILj256ELj4ELj4294967295EEENS1_37radix_sort_block_sort_config_selectorItNS0_10empty_typeEEEZNS1_21radix_sort_block_sortIS4_Lb1EPKtPtPS6_SC_NS0_19identity_decomposerEEE10hipError_tT1_T2_T3_T4_jRjT5_jjP12ihipStream_tbEUlT_E_NS1_11comp_targetILNS1_3genE10ELNS1_11target_archE1201ELNS1_3gpuE5ELNS1_3repE0EEENS1_44radix_sort_block_sort_config_static_selectorELNS0_4arch9wavefront6targetE0EEEvSF_
    .private_segment_fixed_size: 0
    .sgpr_count:     0
    .sgpr_spill_count: 0
    .symbol:         _ZN7rocprim17ROCPRIM_400000_NS6detail17trampoline_kernelINS0_13kernel_configILj256ELj4ELj4294967295EEENS1_37radix_sort_block_sort_config_selectorItNS0_10empty_typeEEEZNS1_21radix_sort_block_sortIS4_Lb1EPKtPtPS6_SC_NS0_19identity_decomposerEEE10hipError_tT1_T2_T3_T4_jRjT5_jjP12ihipStream_tbEUlT_E_NS1_11comp_targetILNS1_3genE10ELNS1_11target_archE1201ELNS1_3gpuE5ELNS1_3repE0EEENS1_44radix_sort_block_sort_config_static_selectorELNS0_4arch9wavefront6targetE0EEEvSF_.kd
    .uniform_work_group_size: 1
    .uses_dynamic_stack: false
    .vgpr_count:     0
    .vgpr_spill_count: 0
    .wavefront_size: 32
  - .args:
      - .offset:         0
        .size:           48
        .value_kind:     by_value
    .group_segment_fixed_size: 0
    .kernarg_segment_align: 8
    .kernarg_segment_size: 48
    .language:       OpenCL C
    .language_version:
      - 2
      - 0
    .max_flat_workgroup_size: 256
    .name:           _ZN7rocprim17ROCPRIM_400000_NS6detail17trampoline_kernelINS0_13kernel_configILj256ELj4ELj4294967295EEENS1_37radix_sort_block_sort_config_selectorItNS0_10empty_typeEEEZNS1_21radix_sort_block_sortIS4_Lb1EPKtPtPS6_SC_NS0_19identity_decomposerEEE10hipError_tT1_T2_T3_T4_jRjT5_jjP12ihipStream_tbEUlT_E_NS1_11comp_targetILNS1_3genE10ELNS1_11target_archE1200ELNS1_3gpuE4ELNS1_3repE0EEENS1_44radix_sort_block_sort_config_static_selectorELNS0_4arch9wavefront6targetE0EEEvSF_
    .private_segment_fixed_size: 0
    .sgpr_count:     0
    .sgpr_spill_count: 0
    .symbol:         _ZN7rocprim17ROCPRIM_400000_NS6detail17trampoline_kernelINS0_13kernel_configILj256ELj4ELj4294967295EEENS1_37radix_sort_block_sort_config_selectorItNS0_10empty_typeEEEZNS1_21radix_sort_block_sortIS4_Lb1EPKtPtPS6_SC_NS0_19identity_decomposerEEE10hipError_tT1_T2_T3_T4_jRjT5_jjP12ihipStream_tbEUlT_E_NS1_11comp_targetILNS1_3genE10ELNS1_11target_archE1200ELNS1_3gpuE4ELNS1_3repE0EEENS1_44radix_sort_block_sort_config_static_selectorELNS0_4arch9wavefront6targetE0EEEvSF_.kd
    .uniform_work_group_size: 1
    .uses_dynamic_stack: false
    .vgpr_count:     0
    .vgpr_spill_count: 0
    .wavefront_size: 32
  - .args:
      - .offset:         0
        .size:           48
        .value_kind:     by_value
    .group_segment_fixed_size: 0
    .kernarg_segment_align: 8
    .kernarg_segment_size: 48
    .language:       OpenCL C
    .language_version:
      - 2
      - 0
    .max_flat_workgroup_size: 256
    .name:           _ZN7rocprim17ROCPRIM_400000_NS6detail17trampoline_kernelINS0_13kernel_configILj256ELj4ELj4294967295EEENS1_37radix_sort_block_sort_config_selectorItNS0_10empty_typeEEEZNS1_21radix_sort_block_sortIS4_Lb1EPKtPtPS6_SC_NS0_19identity_decomposerEEE10hipError_tT1_T2_T3_T4_jRjT5_jjP12ihipStream_tbEUlT_E_NS1_11comp_targetILNS1_3genE9ELNS1_11target_archE1100ELNS1_3gpuE3ELNS1_3repE0EEENS1_44radix_sort_block_sort_config_static_selectorELNS0_4arch9wavefront6targetE0EEEvSF_
    .private_segment_fixed_size: 0
    .sgpr_count:     0
    .sgpr_spill_count: 0
    .symbol:         _ZN7rocprim17ROCPRIM_400000_NS6detail17trampoline_kernelINS0_13kernel_configILj256ELj4ELj4294967295EEENS1_37radix_sort_block_sort_config_selectorItNS0_10empty_typeEEEZNS1_21radix_sort_block_sortIS4_Lb1EPKtPtPS6_SC_NS0_19identity_decomposerEEE10hipError_tT1_T2_T3_T4_jRjT5_jjP12ihipStream_tbEUlT_E_NS1_11comp_targetILNS1_3genE9ELNS1_11target_archE1100ELNS1_3gpuE3ELNS1_3repE0EEENS1_44radix_sort_block_sort_config_static_selectorELNS0_4arch9wavefront6targetE0EEEvSF_.kd
    .uniform_work_group_size: 1
    .uses_dynamic_stack: false
    .vgpr_count:     0
    .vgpr_spill_count: 0
    .wavefront_size: 32
  - .args:
      - .offset:         0
        .size:           48
        .value_kind:     by_value
    .group_segment_fixed_size: 0
    .kernarg_segment_align: 8
    .kernarg_segment_size: 48
    .language:       OpenCL C
    .language_version:
      - 2
      - 0
    .max_flat_workgroup_size: 256
    .name:           _ZN7rocprim17ROCPRIM_400000_NS6detail17trampoline_kernelINS0_13kernel_configILj256ELj4ELj4294967295EEENS1_37radix_sort_block_sort_config_selectorItNS0_10empty_typeEEEZNS1_21radix_sort_block_sortIS4_Lb1EPKtPtPS6_SC_NS0_19identity_decomposerEEE10hipError_tT1_T2_T3_T4_jRjT5_jjP12ihipStream_tbEUlT_E_NS1_11comp_targetILNS1_3genE8ELNS1_11target_archE1030ELNS1_3gpuE2ELNS1_3repE0EEENS1_44radix_sort_block_sort_config_static_selectorELNS0_4arch9wavefront6targetE0EEEvSF_
    .private_segment_fixed_size: 0
    .sgpr_count:     0
    .sgpr_spill_count: 0
    .symbol:         _ZN7rocprim17ROCPRIM_400000_NS6detail17trampoline_kernelINS0_13kernel_configILj256ELj4ELj4294967295EEENS1_37radix_sort_block_sort_config_selectorItNS0_10empty_typeEEEZNS1_21radix_sort_block_sortIS4_Lb1EPKtPtPS6_SC_NS0_19identity_decomposerEEE10hipError_tT1_T2_T3_T4_jRjT5_jjP12ihipStream_tbEUlT_E_NS1_11comp_targetILNS1_3genE8ELNS1_11target_archE1030ELNS1_3gpuE2ELNS1_3repE0EEENS1_44radix_sort_block_sort_config_static_selectorELNS0_4arch9wavefront6targetE0EEEvSF_.kd
    .uniform_work_group_size: 1
    .uses_dynamic_stack: false
    .vgpr_count:     0
    .vgpr_spill_count: 0
    .wavefront_size: 32
  - .args:           []
    .group_segment_fixed_size: 0
    .kernarg_segment_align: 4
    .kernarg_segment_size: 0
    .language:       OpenCL C
    .language_version:
      - 2
      - 0
    .max_flat_workgroup_size: 1024
    .name:           _ZN7rocprim17ROCPRIM_400000_NS6detail44device_merge_sort_compile_time_verifier_archINS1_11comp_targetILNS1_3genE0ELNS1_11target_archE4294967295ELNS1_3gpuE0ELNS1_3repE0EEES8_NS1_28merge_sort_block_sort_configILj256ELj4ELNS0_20block_sort_algorithmE0EEENS0_14default_configENS1_37merge_sort_block_sort_config_selectorItNS0_10empty_typeEEENS1_38merge_sort_block_merge_config_selectorItSE_EEEEvv
    .private_segment_fixed_size: 0
    .sgpr_count:     0
    .sgpr_spill_count: 0
    .symbol:         _ZN7rocprim17ROCPRIM_400000_NS6detail44device_merge_sort_compile_time_verifier_archINS1_11comp_targetILNS1_3genE0ELNS1_11target_archE4294967295ELNS1_3gpuE0ELNS1_3repE0EEES8_NS1_28merge_sort_block_sort_configILj256ELj4ELNS0_20block_sort_algorithmE0EEENS0_14default_configENS1_37merge_sort_block_sort_config_selectorItNS0_10empty_typeEEENS1_38merge_sort_block_merge_config_selectorItSE_EEEEvv.kd
    .uniform_work_group_size: 1
    .uses_dynamic_stack: false
    .vgpr_count:     0
    .vgpr_spill_count: 0
    .wavefront_size: 32
  - .args:           []
    .group_segment_fixed_size: 0
    .kernarg_segment_align: 4
    .kernarg_segment_size: 0
    .language:       OpenCL C
    .language_version:
      - 2
      - 0
    .max_flat_workgroup_size: 1024
    .name:           _ZN7rocprim17ROCPRIM_400000_NS6detail44device_merge_sort_compile_time_verifier_archINS1_11comp_targetILNS1_3genE5ELNS1_11target_archE942ELNS1_3gpuE9ELNS1_3repE0EEES8_NS1_28merge_sort_block_sort_configILj256ELj4ELNS0_20block_sort_algorithmE0EEENS0_14default_configENS1_37merge_sort_block_sort_config_selectorItNS0_10empty_typeEEENS1_38merge_sort_block_merge_config_selectorItSE_EEEEvv
    .private_segment_fixed_size: 0
    .sgpr_count:     0
    .sgpr_spill_count: 0
    .symbol:         _ZN7rocprim17ROCPRIM_400000_NS6detail44device_merge_sort_compile_time_verifier_archINS1_11comp_targetILNS1_3genE5ELNS1_11target_archE942ELNS1_3gpuE9ELNS1_3repE0EEES8_NS1_28merge_sort_block_sort_configILj256ELj4ELNS0_20block_sort_algorithmE0EEENS0_14default_configENS1_37merge_sort_block_sort_config_selectorItNS0_10empty_typeEEENS1_38merge_sort_block_merge_config_selectorItSE_EEEEvv.kd
    .uniform_work_group_size: 1
    .uses_dynamic_stack: false
    .vgpr_count:     0
    .vgpr_spill_count: 0
    .wavefront_size: 32
  - .args:           []
    .group_segment_fixed_size: 0
    .kernarg_segment_align: 4
    .kernarg_segment_size: 0
    .language:       OpenCL C
    .language_version:
      - 2
      - 0
    .max_flat_workgroup_size: 1024
    .name:           _ZN7rocprim17ROCPRIM_400000_NS6detail44device_merge_sort_compile_time_verifier_archINS1_11comp_targetILNS1_3genE4ELNS1_11target_archE910ELNS1_3gpuE8ELNS1_3repE0EEES8_NS1_28merge_sort_block_sort_configILj256ELj4ELNS0_20block_sort_algorithmE0EEENS0_14default_configENS1_37merge_sort_block_sort_config_selectorItNS0_10empty_typeEEENS1_38merge_sort_block_merge_config_selectorItSE_EEEEvv
    .private_segment_fixed_size: 0
    .sgpr_count:     0
    .sgpr_spill_count: 0
    .symbol:         _ZN7rocprim17ROCPRIM_400000_NS6detail44device_merge_sort_compile_time_verifier_archINS1_11comp_targetILNS1_3genE4ELNS1_11target_archE910ELNS1_3gpuE8ELNS1_3repE0EEES8_NS1_28merge_sort_block_sort_configILj256ELj4ELNS0_20block_sort_algorithmE0EEENS0_14default_configENS1_37merge_sort_block_sort_config_selectorItNS0_10empty_typeEEENS1_38merge_sort_block_merge_config_selectorItSE_EEEEvv.kd
    .uniform_work_group_size: 1
    .uses_dynamic_stack: false
    .vgpr_count:     0
    .vgpr_spill_count: 0
    .wavefront_size: 32
  - .args:           []
    .group_segment_fixed_size: 0
    .kernarg_segment_align: 4
    .kernarg_segment_size: 0
    .language:       OpenCL C
    .language_version:
      - 2
      - 0
    .max_flat_workgroup_size: 1024
    .name:           _ZN7rocprim17ROCPRIM_400000_NS6detail44device_merge_sort_compile_time_verifier_archINS1_11comp_targetILNS1_3genE3ELNS1_11target_archE908ELNS1_3gpuE7ELNS1_3repE0EEES8_NS1_28merge_sort_block_sort_configILj256ELj4ELNS0_20block_sort_algorithmE0EEENS0_14default_configENS1_37merge_sort_block_sort_config_selectorItNS0_10empty_typeEEENS1_38merge_sort_block_merge_config_selectorItSE_EEEEvv
    .private_segment_fixed_size: 0
    .sgpr_count:     0
    .sgpr_spill_count: 0
    .symbol:         _ZN7rocprim17ROCPRIM_400000_NS6detail44device_merge_sort_compile_time_verifier_archINS1_11comp_targetILNS1_3genE3ELNS1_11target_archE908ELNS1_3gpuE7ELNS1_3repE0EEES8_NS1_28merge_sort_block_sort_configILj256ELj4ELNS0_20block_sort_algorithmE0EEENS0_14default_configENS1_37merge_sort_block_sort_config_selectorItNS0_10empty_typeEEENS1_38merge_sort_block_merge_config_selectorItSE_EEEEvv.kd
    .uniform_work_group_size: 1
    .uses_dynamic_stack: false
    .vgpr_count:     0
    .vgpr_spill_count: 0
    .wavefront_size: 32
  - .args:           []
    .group_segment_fixed_size: 0
    .kernarg_segment_align: 4
    .kernarg_segment_size: 0
    .language:       OpenCL C
    .language_version:
      - 2
      - 0
    .max_flat_workgroup_size: 1024
    .name:           _ZN7rocprim17ROCPRIM_400000_NS6detail44device_merge_sort_compile_time_verifier_archINS1_11comp_targetILNS1_3genE2ELNS1_11target_archE906ELNS1_3gpuE6ELNS1_3repE0EEES8_NS1_28merge_sort_block_sort_configILj256ELj4ELNS0_20block_sort_algorithmE0EEENS0_14default_configENS1_37merge_sort_block_sort_config_selectorItNS0_10empty_typeEEENS1_38merge_sort_block_merge_config_selectorItSE_EEEEvv
    .private_segment_fixed_size: 0
    .sgpr_count:     0
    .sgpr_spill_count: 0
    .symbol:         _ZN7rocprim17ROCPRIM_400000_NS6detail44device_merge_sort_compile_time_verifier_archINS1_11comp_targetILNS1_3genE2ELNS1_11target_archE906ELNS1_3gpuE6ELNS1_3repE0EEES8_NS1_28merge_sort_block_sort_configILj256ELj4ELNS0_20block_sort_algorithmE0EEENS0_14default_configENS1_37merge_sort_block_sort_config_selectorItNS0_10empty_typeEEENS1_38merge_sort_block_merge_config_selectorItSE_EEEEvv.kd
    .uniform_work_group_size: 1
    .uses_dynamic_stack: false
    .vgpr_count:     0
    .vgpr_spill_count: 0
    .wavefront_size: 32
  - .args:           []
    .group_segment_fixed_size: 0
    .kernarg_segment_align: 4
    .kernarg_segment_size: 0
    .language:       OpenCL C
    .language_version:
      - 2
      - 0
    .max_flat_workgroup_size: 1024
    .name:           _ZN7rocprim17ROCPRIM_400000_NS6detail44device_merge_sort_compile_time_verifier_archINS1_11comp_targetILNS1_3genE10ELNS1_11target_archE1201ELNS1_3gpuE5ELNS1_3repE0EEES8_NS1_28merge_sort_block_sort_configILj256ELj4ELNS0_20block_sort_algorithmE0EEENS0_14default_configENS1_37merge_sort_block_sort_config_selectorItNS0_10empty_typeEEENS1_38merge_sort_block_merge_config_selectorItSE_EEEEvv
    .private_segment_fixed_size: 0
    .sgpr_count:     0
    .sgpr_spill_count: 0
    .symbol:         _ZN7rocprim17ROCPRIM_400000_NS6detail44device_merge_sort_compile_time_verifier_archINS1_11comp_targetILNS1_3genE10ELNS1_11target_archE1201ELNS1_3gpuE5ELNS1_3repE0EEES8_NS1_28merge_sort_block_sort_configILj256ELj4ELNS0_20block_sort_algorithmE0EEENS0_14default_configENS1_37merge_sort_block_sort_config_selectorItNS0_10empty_typeEEENS1_38merge_sort_block_merge_config_selectorItSE_EEEEvv.kd
    .uniform_work_group_size: 1
    .uses_dynamic_stack: false
    .vgpr_count:     0
    .vgpr_spill_count: 0
    .wavefront_size: 32
  - .args:           []
    .group_segment_fixed_size: 0
    .kernarg_segment_align: 4
    .kernarg_segment_size: 0
    .language:       OpenCL C
    .language_version:
      - 2
      - 0
    .max_flat_workgroup_size: 1024
    .name:           _ZN7rocprim17ROCPRIM_400000_NS6detail44device_merge_sort_compile_time_verifier_archINS1_11comp_targetILNS1_3genE10ELNS1_11target_archE1200ELNS1_3gpuE4ELNS1_3repE0EEENS3_ILS4_10ELS5_1201ELS6_5ELS7_0EEENS1_28merge_sort_block_sort_configILj256ELj4ELNS0_20block_sort_algorithmE0EEENS0_14default_configENS1_37merge_sort_block_sort_config_selectorItNS0_10empty_typeEEENS1_38merge_sort_block_merge_config_selectorItSF_EEEEvv
    .private_segment_fixed_size: 0
    .sgpr_count:     0
    .sgpr_spill_count: 0
    .symbol:         _ZN7rocprim17ROCPRIM_400000_NS6detail44device_merge_sort_compile_time_verifier_archINS1_11comp_targetILNS1_3genE10ELNS1_11target_archE1200ELNS1_3gpuE4ELNS1_3repE0EEENS3_ILS4_10ELS5_1201ELS6_5ELS7_0EEENS1_28merge_sort_block_sort_configILj256ELj4ELNS0_20block_sort_algorithmE0EEENS0_14default_configENS1_37merge_sort_block_sort_config_selectorItNS0_10empty_typeEEENS1_38merge_sort_block_merge_config_selectorItSF_EEEEvv.kd
    .uniform_work_group_size: 1
    .uses_dynamic_stack: false
    .vgpr_count:     0
    .vgpr_spill_count: 0
    .wavefront_size: 32
  - .args:           []
    .group_segment_fixed_size: 0
    .kernarg_segment_align: 4
    .kernarg_segment_size: 0
    .language:       OpenCL C
    .language_version:
      - 2
      - 0
    .max_flat_workgroup_size: 1024
    .name:           _ZN7rocprim17ROCPRIM_400000_NS6detail44device_merge_sort_compile_time_verifier_archINS1_11comp_targetILNS1_3genE9ELNS1_11target_archE1100ELNS1_3gpuE3ELNS1_3repE0EEES8_NS1_28merge_sort_block_sort_configILj256ELj4ELNS0_20block_sort_algorithmE0EEENS0_14default_configENS1_37merge_sort_block_sort_config_selectorItNS0_10empty_typeEEENS1_38merge_sort_block_merge_config_selectorItSE_EEEEvv
    .private_segment_fixed_size: 0
    .sgpr_count:     0
    .sgpr_spill_count: 0
    .symbol:         _ZN7rocprim17ROCPRIM_400000_NS6detail44device_merge_sort_compile_time_verifier_archINS1_11comp_targetILNS1_3genE9ELNS1_11target_archE1100ELNS1_3gpuE3ELNS1_3repE0EEES8_NS1_28merge_sort_block_sort_configILj256ELj4ELNS0_20block_sort_algorithmE0EEENS0_14default_configENS1_37merge_sort_block_sort_config_selectorItNS0_10empty_typeEEENS1_38merge_sort_block_merge_config_selectorItSE_EEEEvv.kd
    .uniform_work_group_size: 1
    .uses_dynamic_stack: false
    .vgpr_count:     0
    .vgpr_spill_count: 0
    .wavefront_size: 32
  - .args:           []
    .group_segment_fixed_size: 0
    .kernarg_segment_align: 4
    .kernarg_segment_size: 0
    .language:       OpenCL C
    .language_version:
      - 2
      - 0
    .max_flat_workgroup_size: 1024
    .name:           _ZN7rocprim17ROCPRIM_400000_NS6detail44device_merge_sort_compile_time_verifier_archINS1_11comp_targetILNS1_3genE8ELNS1_11target_archE1030ELNS1_3gpuE2ELNS1_3repE0EEES8_NS1_28merge_sort_block_sort_configILj256ELj4ELNS0_20block_sort_algorithmE0EEENS0_14default_configENS1_37merge_sort_block_sort_config_selectorItNS0_10empty_typeEEENS1_38merge_sort_block_merge_config_selectorItSE_EEEEvv
    .private_segment_fixed_size: 0
    .sgpr_count:     0
    .sgpr_spill_count: 0
    .symbol:         _ZN7rocprim17ROCPRIM_400000_NS6detail44device_merge_sort_compile_time_verifier_archINS1_11comp_targetILNS1_3genE8ELNS1_11target_archE1030ELNS1_3gpuE2ELNS1_3repE0EEES8_NS1_28merge_sort_block_sort_configILj256ELj4ELNS0_20block_sort_algorithmE0EEENS0_14default_configENS1_37merge_sort_block_sort_config_selectorItNS0_10empty_typeEEENS1_38merge_sort_block_merge_config_selectorItSE_EEEEvv.kd
    .uniform_work_group_size: 1
    .uses_dynamic_stack: false
    .vgpr_count:     0
    .vgpr_spill_count: 0
    .wavefront_size: 32
  - .args:
      - .offset:         0
        .size:           40
        .value_kind:     by_value
    .group_segment_fixed_size: 0
    .kernarg_segment_align: 8
    .kernarg_segment_size: 40
    .language:       OpenCL C
    .language_version:
      - 2
      - 0
    .max_flat_workgroup_size: 128
    .name:           _ZN7rocprim17ROCPRIM_400000_NS6detail17trampoline_kernelINS0_14default_configENS1_38merge_sort_block_merge_config_selectorItNS0_10empty_typeEEEZZNS1_27merge_sort_block_merge_implIS3_PtPS5_jNS1_19radix_merge_compareILb1ELb0EtNS0_19identity_decomposerEEEEE10hipError_tT0_T1_T2_jT3_P12ihipStream_tbPNSt15iterator_traitsISE_E10value_typeEPNSK_ISF_E10value_typeEPSG_NS1_7vsmem_tEENKUlT_SE_SF_SG_E_clIS8_S8_S9_S9_EESD_ST_SE_SF_SG_EUlST_E_NS1_11comp_targetILNS1_3genE0ELNS1_11target_archE4294967295ELNS1_3gpuE0ELNS1_3repE0EEENS1_48merge_mergepath_partition_config_static_selectorELNS0_4arch9wavefront6targetE0EEEvSF_
    .private_segment_fixed_size: 0
    .sgpr_count:     8
    .sgpr_spill_count: 0
    .symbol:         _ZN7rocprim17ROCPRIM_400000_NS6detail17trampoline_kernelINS0_14default_configENS1_38merge_sort_block_merge_config_selectorItNS0_10empty_typeEEEZZNS1_27merge_sort_block_merge_implIS3_PtPS5_jNS1_19radix_merge_compareILb1ELb0EtNS0_19identity_decomposerEEEEE10hipError_tT0_T1_T2_jT3_P12ihipStream_tbPNSt15iterator_traitsISE_E10value_typeEPNSK_ISF_E10value_typeEPSG_NS1_7vsmem_tEENKUlT_SE_SF_SG_E_clIS8_S8_S9_S9_EESD_ST_SE_SF_SG_EUlST_E_NS1_11comp_targetILNS1_3genE0ELNS1_11target_archE4294967295ELNS1_3gpuE0ELNS1_3repE0EEENS1_48merge_mergepath_partition_config_static_selectorELNS0_4arch9wavefront6targetE0EEEvSF_.kd
    .uniform_work_group_size: 1
    .uses_dynamic_stack: false
    .vgpr_count:     17
    .vgpr_spill_count: 0
    .wavefront_size: 32
  - .args:
      - .offset:         0
        .size:           40
        .value_kind:     by_value
    .group_segment_fixed_size: 0
    .kernarg_segment_align: 8
    .kernarg_segment_size: 40
    .language:       OpenCL C
    .language_version:
      - 2
      - 0
    .max_flat_workgroup_size: 128
    .name:           _ZN7rocprim17ROCPRIM_400000_NS6detail17trampoline_kernelINS0_14default_configENS1_38merge_sort_block_merge_config_selectorItNS0_10empty_typeEEEZZNS1_27merge_sort_block_merge_implIS3_PtPS5_jNS1_19radix_merge_compareILb1ELb0EtNS0_19identity_decomposerEEEEE10hipError_tT0_T1_T2_jT3_P12ihipStream_tbPNSt15iterator_traitsISE_E10value_typeEPNSK_ISF_E10value_typeEPSG_NS1_7vsmem_tEENKUlT_SE_SF_SG_E_clIS8_S8_S9_S9_EESD_ST_SE_SF_SG_EUlST_E_NS1_11comp_targetILNS1_3genE10ELNS1_11target_archE1201ELNS1_3gpuE5ELNS1_3repE0EEENS1_48merge_mergepath_partition_config_static_selectorELNS0_4arch9wavefront6targetE0EEEvSF_
    .private_segment_fixed_size: 0
    .sgpr_count:     0
    .sgpr_spill_count: 0
    .symbol:         _ZN7rocprim17ROCPRIM_400000_NS6detail17trampoline_kernelINS0_14default_configENS1_38merge_sort_block_merge_config_selectorItNS0_10empty_typeEEEZZNS1_27merge_sort_block_merge_implIS3_PtPS5_jNS1_19radix_merge_compareILb1ELb0EtNS0_19identity_decomposerEEEEE10hipError_tT0_T1_T2_jT3_P12ihipStream_tbPNSt15iterator_traitsISE_E10value_typeEPNSK_ISF_E10value_typeEPSG_NS1_7vsmem_tEENKUlT_SE_SF_SG_E_clIS8_S8_S9_S9_EESD_ST_SE_SF_SG_EUlST_E_NS1_11comp_targetILNS1_3genE10ELNS1_11target_archE1201ELNS1_3gpuE5ELNS1_3repE0EEENS1_48merge_mergepath_partition_config_static_selectorELNS0_4arch9wavefront6targetE0EEEvSF_.kd
    .uniform_work_group_size: 1
    .uses_dynamic_stack: false
    .vgpr_count:     0
    .vgpr_spill_count: 0
    .wavefront_size: 32
  - .args:
      - .offset:         0
        .size:           40
        .value_kind:     by_value
    .group_segment_fixed_size: 0
    .kernarg_segment_align: 8
    .kernarg_segment_size: 40
    .language:       OpenCL C
    .language_version:
      - 2
      - 0
    .max_flat_workgroup_size: 128
    .name:           _ZN7rocprim17ROCPRIM_400000_NS6detail17trampoline_kernelINS0_14default_configENS1_38merge_sort_block_merge_config_selectorItNS0_10empty_typeEEEZZNS1_27merge_sort_block_merge_implIS3_PtPS5_jNS1_19radix_merge_compareILb1ELb0EtNS0_19identity_decomposerEEEEE10hipError_tT0_T1_T2_jT3_P12ihipStream_tbPNSt15iterator_traitsISE_E10value_typeEPNSK_ISF_E10value_typeEPSG_NS1_7vsmem_tEENKUlT_SE_SF_SG_E_clIS8_S8_S9_S9_EESD_ST_SE_SF_SG_EUlST_E_NS1_11comp_targetILNS1_3genE5ELNS1_11target_archE942ELNS1_3gpuE9ELNS1_3repE0EEENS1_48merge_mergepath_partition_config_static_selectorELNS0_4arch9wavefront6targetE0EEEvSF_
    .private_segment_fixed_size: 0
    .sgpr_count:     0
    .sgpr_spill_count: 0
    .symbol:         _ZN7rocprim17ROCPRIM_400000_NS6detail17trampoline_kernelINS0_14default_configENS1_38merge_sort_block_merge_config_selectorItNS0_10empty_typeEEEZZNS1_27merge_sort_block_merge_implIS3_PtPS5_jNS1_19radix_merge_compareILb1ELb0EtNS0_19identity_decomposerEEEEE10hipError_tT0_T1_T2_jT3_P12ihipStream_tbPNSt15iterator_traitsISE_E10value_typeEPNSK_ISF_E10value_typeEPSG_NS1_7vsmem_tEENKUlT_SE_SF_SG_E_clIS8_S8_S9_S9_EESD_ST_SE_SF_SG_EUlST_E_NS1_11comp_targetILNS1_3genE5ELNS1_11target_archE942ELNS1_3gpuE9ELNS1_3repE0EEENS1_48merge_mergepath_partition_config_static_selectorELNS0_4arch9wavefront6targetE0EEEvSF_.kd
    .uniform_work_group_size: 1
    .uses_dynamic_stack: false
    .vgpr_count:     0
    .vgpr_spill_count: 0
    .wavefront_size: 32
  - .args:
      - .offset:         0
        .size:           40
        .value_kind:     by_value
    .group_segment_fixed_size: 0
    .kernarg_segment_align: 8
    .kernarg_segment_size: 40
    .language:       OpenCL C
    .language_version:
      - 2
      - 0
    .max_flat_workgroup_size: 128
    .name:           _ZN7rocprim17ROCPRIM_400000_NS6detail17trampoline_kernelINS0_14default_configENS1_38merge_sort_block_merge_config_selectorItNS0_10empty_typeEEEZZNS1_27merge_sort_block_merge_implIS3_PtPS5_jNS1_19radix_merge_compareILb1ELb0EtNS0_19identity_decomposerEEEEE10hipError_tT0_T1_T2_jT3_P12ihipStream_tbPNSt15iterator_traitsISE_E10value_typeEPNSK_ISF_E10value_typeEPSG_NS1_7vsmem_tEENKUlT_SE_SF_SG_E_clIS8_S8_S9_S9_EESD_ST_SE_SF_SG_EUlST_E_NS1_11comp_targetILNS1_3genE4ELNS1_11target_archE910ELNS1_3gpuE8ELNS1_3repE0EEENS1_48merge_mergepath_partition_config_static_selectorELNS0_4arch9wavefront6targetE0EEEvSF_
    .private_segment_fixed_size: 0
    .sgpr_count:     0
    .sgpr_spill_count: 0
    .symbol:         _ZN7rocprim17ROCPRIM_400000_NS6detail17trampoline_kernelINS0_14default_configENS1_38merge_sort_block_merge_config_selectorItNS0_10empty_typeEEEZZNS1_27merge_sort_block_merge_implIS3_PtPS5_jNS1_19radix_merge_compareILb1ELb0EtNS0_19identity_decomposerEEEEE10hipError_tT0_T1_T2_jT3_P12ihipStream_tbPNSt15iterator_traitsISE_E10value_typeEPNSK_ISF_E10value_typeEPSG_NS1_7vsmem_tEENKUlT_SE_SF_SG_E_clIS8_S8_S9_S9_EESD_ST_SE_SF_SG_EUlST_E_NS1_11comp_targetILNS1_3genE4ELNS1_11target_archE910ELNS1_3gpuE8ELNS1_3repE0EEENS1_48merge_mergepath_partition_config_static_selectorELNS0_4arch9wavefront6targetE0EEEvSF_.kd
    .uniform_work_group_size: 1
    .uses_dynamic_stack: false
    .vgpr_count:     0
    .vgpr_spill_count: 0
    .wavefront_size: 32
  - .args:
      - .offset:         0
        .size:           40
        .value_kind:     by_value
    .group_segment_fixed_size: 0
    .kernarg_segment_align: 8
    .kernarg_segment_size: 40
    .language:       OpenCL C
    .language_version:
      - 2
      - 0
    .max_flat_workgroup_size: 128
    .name:           _ZN7rocprim17ROCPRIM_400000_NS6detail17trampoline_kernelINS0_14default_configENS1_38merge_sort_block_merge_config_selectorItNS0_10empty_typeEEEZZNS1_27merge_sort_block_merge_implIS3_PtPS5_jNS1_19radix_merge_compareILb1ELb0EtNS0_19identity_decomposerEEEEE10hipError_tT0_T1_T2_jT3_P12ihipStream_tbPNSt15iterator_traitsISE_E10value_typeEPNSK_ISF_E10value_typeEPSG_NS1_7vsmem_tEENKUlT_SE_SF_SG_E_clIS8_S8_S9_S9_EESD_ST_SE_SF_SG_EUlST_E_NS1_11comp_targetILNS1_3genE3ELNS1_11target_archE908ELNS1_3gpuE7ELNS1_3repE0EEENS1_48merge_mergepath_partition_config_static_selectorELNS0_4arch9wavefront6targetE0EEEvSF_
    .private_segment_fixed_size: 0
    .sgpr_count:     0
    .sgpr_spill_count: 0
    .symbol:         _ZN7rocprim17ROCPRIM_400000_NS6detail17trampoline_kernelINS0_14default_configENS1_38merge_sort_block_merge_config_selectorItNS0_10empty_typeEEEZZNS1_27merge_sort_block_merge_implIS3_PtPS5_jNS1_19radix_merge_compareILb1ELb0EtNS0_19identity_decomposerEEEEE10hipError_tT0_T1_T2_jT3_P12ihipStream_tbPNSt15iterator_traitsISE_E10value_typeEPNSK_ISF_E10value_typeEPSG_NS1_7vsmem_tEENKUlT_SE_SF_SG_E_clIS8_S8_S9_S9_EESD_ST_SE_SF_SG_EUlST_E_NS1_11comp_targetILNS1_3genE3ELNS1_11target_archE908ELNS1_3gpuE7ELNS1_3repE0EEENS1_48merge_mergepath_partition_config_static_selectorELNS0_4arch9wavefront6targetE0EEEvSF_.kd
    .uniform_work_group_size: 1
    .uses_dynamic_stack: false
    .vgpr_count:     0
    .vgpr_spill_count: 0
    .wavefront_size: 32
  - .args:
      - .offset:         0
        .size:           40
        .value_kind:     by_value
    .group_segment_fixed_size: 0
    .kernarg_segment_align: 8
    .kernarg_segment_size: 40
    .language:       OpenCL C
    .language_version:
      - 2
      - 0
    .max_flat_workgroup_size: 128
    .name:           _ZN7rocprim17ROCPRIM_400000_NS6detail17trampoline_kernelINS0_14default_configENS1_38merge_sort_block_merge_config_selectorItNS0_10empty_typeEEEZZNS1_27merge_sort_block_merge_implIS3_PtPS5_jNS1_19radix_merge_compareILb1ELb0EtNS0_19identity_decomposerEEEEE10hipError_tT0_T1_T2_jT3_P12ihipStream_tbPNSt15iterator_traitsISE_E10value_typeEPNSK_ISF_E10value_typeEPSG_NS1_7vsmem_tEENKUlT_SE_SF_SG_E_clIS8_S8_S9_S9_EESD_ST_SE_SF_SG_EUlST_E_NS1_11comp_targetILNS1_3genE2ELNS1_11target_archE906ELNS1_3gpuE6ELNS1_3repE0EEENS1_48merge_mergepath_partition_config_static_selectorELNS0_4arch9wavefront6targetE0EEEvSF_
    .private_segment_fixed_size: 0
    .sgpr_count:     0
    .sgpr_spill_count: 0
    .symbol:         _ZN7rocprim17ROCPRIM_400000_NS6detail17trampoline_kernelINS0_14default_configENS1_38merge_sort_block_merge_config_selectorItNS0_10empty_typeEEEZZNS1_27merge_sort_block_merge_implIS3_PtPS5_jNS1_19radix_merge_compareILb1ELb0EtNS0_19identity_decomposerEEEEE10hipError_tT0_T1_T2_jT3_P12ihipStream_tbPNSt15iterator_traitsISE_E10value_typeEPNSK_ISF_E10value_typeEPSG_NS1_7vsmem_tEENKUlT_SE_SF_SG_E_clIS8_S8_S9_S9_EESD_ST_SE_SF_SG_EUlST_E_NS1_11comp_targetILNS1_3genE2ELNS1_11target_archE906ELNS1_3gpuE6ELNS1_3repE0EEENS1_48merge_mergepath_partition_config_static_selectorELNS0_4arch9wavefront6targetE0EEEvSF_.kd
    .uniform_work_group_size: 1
    .uses_dynamic_stack: false
    .vgpr_count:     0
    .vgpr_spill_count: 0
    .wavefront_size: 32
  - .args:
      - .offset:         0
        .size:           40
        .value_kind:     by_value
    .group_segment_fixed_size: 0
    .kernarg_segment_align: 8
    .kernarg_segment_size: 40
    .language:       OpenCL C
    .language_version:
      - 2
      - 0
    .max_flat_workgroup_size: 128
    .name:           _ZN7rocprim17ROCPRIM_400000_NS6detail17trampoline_kernelINS0_14default_configENS1_38merge_sort_block_merge_config_selectorItNS0_10empty_typeEEEZZNS1_27merge_sort_block_merge_implIS3_PtPS5_jNS1_19radix_merge_compareILb1ELb0EtNS0_19identity_decomposerEEEEE10hipError_tT0_T1_T2_jT3_P12ihipStream_tbPNSt15iterator_traitsISE_E10value_typeEPNSK_ISF_E10value_typeEPSG_NS1_7vsmem_tEENKUlT_SE_SF_SG_E_clIS8_S8_S9_S9_EESD_ST_SE_SF_SG_EUlST_E_NS1_11comp_targetILNS1_3genE9ELNS1_11target_archE1100ELNS1_3gpuE3ELNS1_3repE0EEENS1_48merge_mergepath_partition_config_static_selectorELNS0_4arch9wavefront6targetE0EEEvSF_
    .private_segment_fixed_size: 0
    .sgpr_count:     0
    .sgpr_spill_count: 0
    .symbol:         _ZN7rocprim17ROCPRIM_400000_NS6detail17trampoline_kernelINS0_14default_configENS1_38merge_sort_block_merge_config_selectorItNS0_10empty_typeEEEZZNS1_27merge_sort_block_merge_implIS3_PtPS5_jNS1_19radix_merge_compareILb1ELb0EtNS0_19identity_decomposerEEEEE10hipError_tT0_T1_T2_jT3_P12ihipStream_tbPNSt15iterator_traitsISE_E10value_typeEPNSK_ISF_E10value_typeEPSG_NS1_7vsmem_tEENKUlT_SE_SF_SG_E_clIS8_S8_S9_S9_EESD_ST_SE_SF_SG_EUlST_E_NS1_11comp_targetILNS1_3genE9ELNS1_11target_archE1100ELNS1_3gpuE3ELNS1_3repE0EEENS1_48merge_mergepath_partition_config_static_selectorELNS0_4arch9wavefront6targetE0EEEvSF_.kd
    .uniform_work_group_size: 1
    .uses_dynamic_stack: false
    .vgpr_count:     0
    .vgpr_spill_count: 0
    .wavefront_size: 32
  - .args:
      - .offset:         0
        .size:           40
        .value_kind:     by_value
    .group_segment_fixed_size: 0
    .kernarg_segment_align: 8
    .kernarg_segment_size: 40
    .language:       OpenCL C
    .language_version:
      - 2
      - 0
    .max_flat_workgroup_size: 128
    .name:           _ZN7rocprim17ROCPRIM_400000_NS6detail17trampoline_kernelINS0_14default_configENS1_38merge_sort_block_merge_config_selectorItNS0_10empty_typeEEEZZNS1_27merge_sort_block_merge_implIS3_PtPS5_jNS1_19radix_merge_compareILb1ELb0EtNS0_19identity_decomposerEEEEE10hipError_tT0_T1_T2_jT3_P12ihipStream_tbPNSt15iterator_traitsISE_E10value_typeEPNSK_ISF_E10value_typeEPSG_NS1_7vsmem_tEENKUlT_SE_SF_SG_E_clIS8_S8_S9_S9_EESD_ST_SE_SF_SG_EUlST_E_NS1_11comp_targetILNS1_3genE8ELNS1_11target_archE1030ELNS1_3gpuE2ELNS1_3repE0EEENS1_48merge_mergepath_partition_config_static_selectorELNS0_4arch9wavefront6targetE0EEEvSF_
    .private_segment_fixed_size: 0
    .sgpr_count:     0
    .sgpr_spill_count: 0
    .symbol:         _ZN7rocprim17ROCPRIM_400000_NS6detail17trampoline_kernelINS0_14default_configENS1_38merge_sort_block_merge_config_selectorItNS0_10empty_typeEEEZZNS1_27merge_sort_block_merge_implIS3_PtPS5_jNS1_19radix_merge_compareILb1ELb0EtNS0_19identity_decomposerEEEEE10hipError_tT0_T1_T2_jT3_P12ihipStream_tbPNSt15iterator_traitsISE_E10value_typeEPNSK_ISF_E10value_typeEPSG_NS1_7vsmem_tEENKUlT_SE_SF_SG_E_clIS8_S8_S9_S9_EESD_ST_SE_SF_SG_EUlST_E_NS1_11comp_targetILNS1_3genE8ELNS1_11target_archE1030ELNS1_3gpuE2ELNS1_3repE0EEENS1_48merge_mergepath_partition_config_static_selectorELNS0_4arch9wavefront6targetE0EEEvSF_.kd
    .uniform_work_group_size: 1
    .uses_dynamic_stack: false
    .vgpr_count:     0
    .vgpr_spill_count: 0
    .wavefront_size: 32
  - .args:
      - .offset:         0
        .size:           64
        .value_kind:     by_value
      - .offset:         64
        .size:           4
        .value_kind:     hidden_block_count_x
      - .offset:         68
        .size:           4
        .value_kind:     hidden_block_count_y
      - .offset:         72
        .size:           4
        .value_kind:     hidden_block_count_z
      - .offset:         76
        .size:           2
        .value_kind:     hidden_group_size_x
      - .offset:         78
        .size:           2
        .value_kind:     hidden_group_size_y
      - .offset:         80
        .size:           2
        .value_kind:     hidden_group_size_z
      - .offset:         82
        .size:           2
        .value_kind:     hidden_remainder_x
      - .offset:         84
        .size:           2
        .value_kind:     hidden_remainder_y
      - .offset:         86
        .size:           2
        .value_kind:     hidden_remainder_z
      - .offset:         104
        .size:           8
        .value_kind:     hidden_global_offset_x
      - .offset:         112
        .size:           8
        .value_kind:     hidden_global_offset_y
      - .offset:         120
        .size:           8
        .value_kind:     hidden_global_offset_z
      - .offset:         128
        .size:           2
        .value_kind:     hidden_grid_dims
    .group_segment_fixed_size: 2112
    .kernarg_segment_align: 8
    .kernarg_segment_size: 320
    .language:       OpenCL C
    .language_version:
      - 2
      - 0
    .max_flat_workgroup_size: 128
    .name:           _ZN7rocprim17ROCPRIM_400000_NS6detail17trampoline_kernelINS0_14default_configENS1_38merge_sort_block_merge_config_selectorItNS0_10empty_typeEEEZZNS1_27merge_sort_block_merge_implIS3_PtPS5_jNS1_19radix_merge_compareILb1ELb0EtNS0_19identity_decomposerEEEEE10hipError_tT0_T1_T2_jT3_P12ihipStream_tbPNSt15iterator_traitsISE_E10value_typeEPNSK_ISF_E10value_typeEPSG_NS1_7vsmem_tEENKUlT_SE_SF_SG_E_clIS8_S8_S9_S9_EESD_ST_SE_SF_SG_EUlST_E0_NS1_11comp_targetILNS1_3genE0ELNS1_11target_archE4294967295ELNS1_3gpuE0ELNS1_3repE0EEENS1_38merge_mergepath_config_static_selectorELNS0_4arch9wavefront6targetE0EEEvSF_
    .private_segment_fixed_size: 0
    .sgpr_count:     25
    .sgpr_spill_count: 0
    .symbol:         _ZN7rocprim17ROCPRIM_400000_NS6detail17trampoline_kernelINS0_14default_configENS1_38merge_sort_block_merge_config_selectorItNS0_10empty_typeEEEZZNS1_27merge_sort_block_merge_implIS3_PtPS5_jNS1_19radix_merge_compareILb1ELb0EtNS0_19identity_decomposerEEEEE10hipError_tT0_T1_T2_jT3_P12ihipStream_tbPNSt15iterator_traitsISE_E10value_typeEPNSK_ISF_E10value_typeEPSG_NS1_7vsmem_tEENKUlT_SE_SF_SG_E_clIS8_S8_S9_S9_EESD_ST_SE_SF_SG_EUlST_E0_NS1_11comp_targetILNS1_3genE0ELNS1_11target_archE4294967295ELNS1_3gpuE0ELNS1_3repE0EEENS1_38merge_mergepath_config_static_selectorELNS0_4arch9wavefront6targetE0EEEvSF_.kd
    .uniform_work_group_size: 1
    .uses_dynamic_stack: false
    .vgpr_count:     27
    .vgpr_spill_count: 0
    .wavefront_size: 32
  - .args:
      - .offset:         0
        .size:           64
        .value_kind:     by_value
    .group_segment_fixed_size: 0
    .kernarg_segment_align: 8
    .kernarg_segment_size: 64
    .language:       OpenCL C
    .language_version:
      - 2
      - 0
    .max_flat_workgroup_size: 128
    .name:           _ZN7rocprim17ROCPRIM_400000_NS6detail17trampoline_kernelINS0_14default_configENS1_38merge_sort_block_merge_config_selectorItNS0_10empty_typeEEEZZNS1_27merge_sort_block_merge_implIS3_PtPS5_jNS1_19radix_merge_compareILb1ELb0EtNS0_19identity_decomposerEEEEE10hipError_tT0_T1_T2_jT3_P12ihipStream_tbPNSt15iterator_traitsISE_E10value_typeEPNSK_ISF_E10value_typeEPSG_NS1_7vsmem_tEENKUlT_SE_SF_SG_E_clIS8_S8_S9_S9_EESD_ST_SE_SF_SG_EUlST_E0_NS1_11comp_targetILNS1_3genE10ELNS1_11target_archE1201ELNS1_3gpuE5ELNS1_3repE0EEENS1_38merge_mergepath_config_static_selectorELNS0_4arch9wavefront6targetE0EEEvSF_
    .private_segment_fixed_size: 0
    .sgpr_count:     0
    .sgpr_spill_count: 0
    .symbol:         _ZN7rocprim17ROCPRIM_400000_NS6detail17trampoline_kernelINS0_14default_configENS1_38merge_sort_block_merge_config_selectorItNS0_10empty_typeEEEZZNS1_27merge_sort_block_merge_implIS3_PtPS5_jNS1_19radix_merge_compareILb1ELb0EtNS0_19identity_decomposerEEEEE10hipError_tT0_T1_T2_jT3_P12ihipStream_tbPNSt15iterator_traitsISE_E10value_typeEPNSK_ISF_E10value_typeEPSG_NS1_7vsmem_tEENKUlT_SE_SF_SG_E_clIS8_S8_S9_S9_EESD_ST_SE_SF_SG_EUlST_E0_NS1_11comp_targetILNS1_3genE10ELNS1_11target_archE1201ELNS1_3gpuE5ELNS1_3repE0EEENS1_38merge_mergepath_config_static_selectorELNS0_4arch9wavefront6targetE0EEEvSF_.kd
    .uniform_work_group_size: 1
    .uses_dynamic_stack: false
    .vgpr_count:     0
    .vgpr_spill_count: 0
    .wavefront_size: 32
  - .args:
      - .offset:         0
        .size:           64
        .value_kind:     by_value
    .group_segment_fixed_size: 0
    .kernarg_segment_align: 8
    .kernarg_segment_size: 64
    .language:       OpenCL C
    .language_version:
      - 2
      - 0
    .max_flat_workgroup_size: 128
    .name:           _ZN7rocprim17ROCPRIM_400000_NS6detail17trampoline_kernelINS0_14default_configENS1_38merge_sort_block_merge_config_selectorItNS0_10empty_typeEEEZZNS1_27merge_sort_block_merge_implIS3_PtPS5_jNS1_19radix_merge_compareILb1ELb0EtNS0_19identity_decomposerEEEEE10hipError_tT0_T1_T2_jT3_P12ihipStream_tbPNSt15iterator_traitsISE_E10value_typeEPNSK_ISF_E10value_typeEPSG_NS1_7vsmem_tEENKUlT_SE_SF_SG_E_clIS8_S8_S9_S9_EESD_ST_SE_SF_SG_EUlST_E0_NS1_11comp_targetILNS1_3genE5ELNS1_11target_archE942ELNS1_3gpuE9ELNS1_3repE0EEENS1_38merge_mergepath_config_static_selectorELNS0_4arch9wavefront6targetE0EEEvSF_
    .private_segment_fixed_size: 0
    .sgpr_count:     0
    .sgpr_spill_count: 0
    .symbol:         _ZN7rocprim17ROCPRIM_400000_NS6detail17trampoline_kernelINS0_14default_configENS1_38merge_sort_block_merge_config_selectorItNS0_10empty_typeEEEZZNS1_27merge_sort_block_merge_implIS3_PtPS5_jNS1_19radix_merge_compareILb1ELb0EtNS0_19identity_decomposerEEEEE10hipError_tT0_T1_T2_jT3_P12ihipStream_tbPNSt15iterator_traitsISE_E10value_typeEPNSK_ISF_E10value_typeEPSG_NS1_7vsmem_tEENKUlT_SE_SF_SG_E_clIS8_S8_S9_S9_EESD_ST_SE_SF_SG_EUlST_E0_NS1_11comp_targetILNS1_3genE5ELNS1_11target_archE942ELNS1_3gpuE9ELNS1_3repE0EEENS1_38merge_mergepath_config_static_selectorELNS0_4arch9wavefront6targetE0EEEvSF_.kd
    .uniform_work_group_size: 1
    .uses_dynamic_stack: false
    .vgpr_count:     0
    .vgpr_spill_count: 0
    .wavefront_size: 32
  - .args:
      - .offset:         0
        .size:           64
        .value_kind:     by_value
    .group_segment_fixed_size: 0
    .kernarg_segment_align: 8
    .kernarg_segment_size: 64
    .language:       OpenCL C
    .language_version:
      - 2
      - 0
    .max_flat_workgroup_size: 128
    .name:           _ZN7rocprim17ROCPRIM_400000_NS6detail17trampoline_kernelINS0_14default_configENS1_38merge_sort_block_merge_config_selectorItNS0_10empty_typeEEEZZNS1_27merge_sort_block_merge_implIS3_PtPS5_jNS1_19radix_merge_compareILb1ELb0EtNS0_19identity_decomposerEEEEE10hipError_tT0_T1_T2_jT3_P12ihipStream_tbPNSt15iterator_traitsISE_E10value_typeEPNSK_ISF_E10value_typeEPSG_NS1_7vsmem_tEENKUlT_SE_SF_SG_E_clIS8_S8_S9_S9_EESD_ST_SE_SF_SG_EUlST_E0_NS1_11comp_targetILNS1_3genE4ELNS1_11target_archE910ELNS1_3gpuE8ELNS1_3repE0EEENS1_38merge_mergepath_config_static_selectorELNS0_4arch9wavefront6targetE0EEEvSF_
    .private_segment_fixed_size: 0
    .sgpr_count:     0
    .sgpr_spill_count: 0
    .symbol:         _ZN7rocprim17ROCPRIM_400000_NS6detail17trampoline_kernelINS0_14default_configENS1_38merge_sort_block_merge_config_selectorItNS0_10empty_typeEEEZZNS1_27merge_sort_block_merge_implIS3_PtPS5_jNS1_19radix_merge_compareILb1ELb0EtNS0_19identity_decomposerEEEEE10hipError_tT0_T1_T2_jT3_P12ihipStream_tbPNSt15iterator_traitsISE_E10value_typeEPNSK_ISF_E10value_typeEPSG_NS1_7vsmem_tEENKUlT_SE_SF_SG_E_clIS8_S8_S9_S9_EESD_ST_SE_SF_SG_EUlST_E0_NS1_11comp_targetILNS1_3genE4ELNS1_11target_archE910ELNS1_3gpuE8ELNS1_3repE0EEENS1_38merge_mergepath_config_static_selectorELNS0_4arch9wavefront6targetE0EEEvSF_.kd
    .uniform_work_group_size: 1
    .uses_dynamic_stack: false
    .vgpr_count:     0
    .vgpr_spill_count: 0
    .wavefront_size: 32
  - .args:
      - .offset:         0
        .size:           64
        .value_kind:     by_value
    .group_segment_fixed_size: 0
    .kernarg_segment_align: 8
    .kernarg_segment_size: 64
    .language:       OpenCL C
    .language_version:
      - 2
      - 0
    .max_flat_workgroup_size: 128
    .name:           _ZN7rocprim17ROCPRIM_400000_NS6detail17trampoline_kernelINS0_14default_configENS1_38merge_sort_block_merge_config_selectorItNS0_10empty_typeEEEZZNS1_27merge_sort_block_merge_implIS3_PtPS5_jNS1_19radix_merge_compareILb1ELb0EtNS0_19identity_decomposerEEEEE10hipError_tT0_T1_T2_jT3_P12ihipStream_tbPNSt15iterator_traitsISE_E10value_typeEPNSK_ISF_E10value_typeEPSG_NS1_7vsmem_tEENKUlT_SE_SF_SG_E_clIS8_S8_S9_S9_EESD_ST_SE_SF_SG_EUlST_E0_NS1_11comp_targetILNS1_3genE3ELNS1_11target_archE908ELNS1_3gpuE7ELNS1_3repE0EEENS1_38merge_mergepath_config_static_selectorELNS0_4arch9wavefront6targetE0EEEvSF_
    .private_segment_fixed_size: 0
    .sgpr_count:     0
    .sgpr_spill_count: 0
    .symbol:         _ZN7rocprim17ROCPRIM_400000_NS6detail17trampoline_kernelINS0_14default_configENS1_38merge_sort_block_merge_config_selectorItNS0_10empty_typeEEEZZNS1_27merge_sort_block_merge_implIS3_PtPS5_jNS1_19radix_merge_compareILb1ELb0EtNS0_19identity_decomposerEEEEE10hipError_tT0_T1_T2_jT3_P12ihipStream_tbPNSt15iterator_traitsISE_E10value_typeEPNSK_ISF_E10value_typeEPSG_NS1_7vsmem_tEENKUlT_SE_SF_SG_E_clIS8_S8_S9_S9_EESD_ST_SE_SF_SG_EUlST_E0_NS1_11comp_targetILNS1_3genE3ELNS1_11target_archE908ELNS1_3gpuE7ELNS1_3repE0EEENS1_38merge_mergepath_config_static_selectorELNS0_4arch9wavefront6targetE0EEEvSF_.kd
    .uniform_work_group_size: 1
    .uses_dynamic_stack: false
    .vgpr_count:     0
    .vgpr_spill_count: 0
    .wavefront_size: 32
  - .args:
      - .offset:         0
        .size:           64
        .value_kind:     by_value
    .group_segment_fixed_size: 0
    .kernarg_segment_align: 8
    .kernarg_segment_size: 64
    .language:       OpenCL C
    .language_version:
      - 2
      - 0
    .max_flat_workgroup_size: 128
    .name:           _ZN7rocprim17ROCPRIM_400000_NS6detail17trampoline_kernelINS0_14default_configENS1_38merge_sort_block_merge_config_selectorItNS0_10empty_typeEEEZZNS1_27merge_sort_block_merge_implIS3_PtPS5_jNS1_19radix_merge_compareILb1ELb0EtNS0_19identity_decomposerEEEEE10hipError_tT0_T1_T2_jT3_P12ihipStream_tbPNSt15iterator_traitsISE_E10value_typeEPNSK_ISF_E10value_typeEPSG_NS1_7vsmem_tEENKUlT_SE_SF_SG_E_clIS8_S8_S9_S9_EESD_ST_SE_SF_SG_EUlST_E0_NS1_11comp_targetILNS1_3genE2ELNS1_11target_archE906ELNS1_3gpuE6ELNS1_3repE0EEENS1_38merge_mergepath_config_static_selectorELNS0_4arch9wavefront6targetE0EEEvSF_
    .private_segment_fixed_size: 0
    .sgpr_count:     0
    .sgpr_spill_count: 0
    .symbol:         _ZN7rocprim17ROCPRIM_400000_NS6detail17trampoline_kernelINS0_14default_configENS1_38merge_sort_block_merge_config_selectorItNS0_10empty_typeEEEZZNS1_27merge_sort_block_merge_implIS3_PtPS5_jNS1_19radix_merge_compareILb1ELb0EtNS0_19identity_decomposerEEEEE10hipError_tT0_T1_T2_jT3_P12ihipStream_tbPNSt15iterator_traitsISE_E10value_typeEPNSK_ISF_E10value_typeEPSG_NS1_7vsmem_tEENKUlT_SE_SF_SG_E_clIS8_S8_S9_S9_EESD_ST_SE_SF_SG_EUlST_E0_NS1_11comp_targetILNS1_3genE2ELNS1_11target_archE906ELNS1_3gpuE6ELNS1_3repE0EEENS1_38merge_mergepath_config_static_selectorELNS0_4arch9wavefront6targetE0EEEvSF_.kd
    .uniform_work_group_size: 1
    .uses_dynamic_stack: false
    .vgpr_count:     0
    .vgpr_spill_count: 0
    .wavefront_size: 32
  - .args:
      - .offset:         0
        .size:           64
        .value_kind:     by_value
    .group_segment_fixed_size: 0
    .kernarg_segment_align: 8
    .kernarg_segment_size: 64
    .language:       OpenCL C
    .language_version:
      - 2
      - 0
    .max_flat_workgroup_size: 128
    .name:           _ZN7rocprim17ROCPRIM_400000_NS6detail17trampoline_kernelINS0_14default_configENS1_38merge_sort_block_merge_config_selectorItNS0_10empty_typeEEEZZNS1_27merge_sort_block_merge_implIS3_PtPS5_jNS1_19radix_merge_compareILb1ELb0EtNS0_19identity_decomposerEEEEE10hipError_tT0_T1_T2_jT3_P12ihipStream_tbPNSt15iterator_traitsISE_E10value_typeEPNSK_ISF_E10value_typeEPSG_NS1_7vsmem_tEENKUlT_SE_SF_SG_E_clIS8_S8_S9_S9_EESD_ST_SE_SF_SG_EUlST_E0_NS1_11comp_targetILNS1_3genE9ELNS1_11target_archE1100ELNS1_3gpuE3ELNS1_3repE0EEENS1_38merge_mergepath_config_static_selectorELNS0_4arch9wavefront6targetE0EEEvSF_
    .private_segment_fixed_size: 0
    .sgpr_count:     0
    .sgpr_spill_count: 0
    .symbol:         _ZN7rocprim17ROCPRIM_400000_NS6detail17trampoline_kernelINS0_14default_configENS1_38merge_sort_block_merge_config_selectorItNS0_10empty_typeEEEZZNS1_27merge_sort_block_merge_implIS3_PtPS5_jNS1_19radix_merge_compareILb1ELb0EtNS0_19identity_decomposerEEEEE10hipError_tT0_T1_T2_jT3_P12ihipStream_tbPNSt15iterator_traitsISE_E10value_typeEPNSK_ISF_E10value_typeEPSG_NS1_7vsmem_tEENKUlT_SE_SF_SG_E_clIS8_S8_S9_S9_EESD_ST_SE_SF_SG_EUlST_E0_NS1_11comp_targetILNS1_3genE9ELNS1_11target_archE1100ELNS1_3gpuE3ELNS1_3repE0EEENS1_38merge_mergepath_config_static_selectorELNS0_4arch9wavefront6targetE0EEEvSF_.kd
    .uniform_work_group_size: 1
    .uses_dynamic_stack: false
    .vgpr_count:     0
    .vgpr_spill_count: 0
    .wavefront_size: 32
  - .args:
      - .offset:         0
        .size:           64
        .value_kind:     by_value
    .group_segment_fixed_size: 0
    .kernarg_segment_align: 8
    .kernarg_segment_size: 64
    .language:       OpenCL C
    .language_version:
      - 2
      - 0
    .max_flat_workgroup_size: 128
    .name:           _ZN7rocprim17ROCPRIM_400000_NS6detail17trampoline_kernelINS0_14default_configENS1_38merge_sort_block_merge_config_selectorItNS0_10empty_typeEEEZZNS1_27merge_sort_block_merge_implIS3_PtPS5_jNS1_19radix_merge_compareILb1ELb0EtNS0_19identity_decomposerEEEEE10hipError_tT0_T1_T2_jT3_P12ihipStream_tbPNSt15iterator_traitsISE_E10value_typeEPNSK_ISF_E10value_typeEPSG_NS1_7vsmem_tEENKUlT_SE_SF_SG_E_clIS8_S8_S9_S9_EESD_ST_SE_SF_SG_EUlST_E0_NS1_11comp_targetILNS1_3genE8ELNS1_11target_archE1030ELNS1_3gpuE2ELNS1_3repE0EEENS1_38merge_mergepath_config_static_selectorELNS0_4arch9wavefront6targetE0EEEvSF_
    .private_segment_fixed_size: 0
    .sgpr_count:     0
    .sgpr_spill_count: 0
    .symbol:         _ZN7rocprim17ROCPRIM_400000_NS6detail17trampoline_kernelINS0_14default_configENS1_38merge_sort_block_merge_config_selectorItNS0_10empty_typeEEEZZNS1_27merge_sort_block_merge_implIS3_PtPS5_jNS1_19radix_merge_compareILb1ELb0EtNS0_19identity_decomposerEEEEE10hipError_tT0_T1_T2_jT3_P12ihipStream_tbPNSt15iterator_traitsISE_E10value_typeEPNSK_ISF_E10value_typeEPSG_NS1_7vsmem_tEENKUlT_SE_SF_SG_E_clIS8_S8_S9_S9_EESD_ST_SE_SF_SG_EUlST_E0_NS1_11comp_targetILNS1_3genE8ELNS1_11target_archE1030ELNS1_3gpuE2ELNS1_3repE0EEENS1_38merge_mergepath_config_static_selectorELNS0_4arch9wavefront6targetE0EEEvSF_.kd
    .uniform_work_group_size: 1
    .uses_dynamic_stack: false
    .vgpr_count:     0
    .vgpr_spill_count: 0
    .wavefront_size: 32
  - .args:
      - .offset:         0
        .size:           48
        .value_kind:     by_value
    .group_segment_fixed_size: 0
    .kernarg_segment_align: 8
    .kernarg_segment_size: 48
    .language:       OpenCL C
    .language_version:
      - 2
      - 0
    .max_flat_workgroup_size: 256
    .name:           _ZN7rocprim17ROCPRIM_400000_NS6detail17trampoline_kernelINS0_14default_configENS1_38merge_sort_block_merge_config_selectorItNS0_10empty_typeEEEZZNS1_27merge_sort_block_merge_implIS3_PtPS5_jNS1_19radix_merge_compareILb1ELb0EtNS0_19identity_decomposerEEEEE10hipError_tT0_T1_T2_jT3_P12ihipStream_tbPNSt15iterator_traitsISE_E10value_typeEPNSK_ISF_E10value_typeEPSG_NS1_7vsmem_tEENKUlT_SE_SF_SG_E_clIS8_S8_S9_S9_EESD_ST_SE_SF_SG_EUlST_E1_NS1_11comp_targetILNS1_3genE0ELNS1_11target_archE4294967295ELNS1_3gpuE0ELNS1_3repE0EEENS1_36merge_oddeven_config_static_selectorELNS0_4arch9wavefront6targetE0EEEvSF_
    .private_segment_fixed_size: 0
    .sgpr_count:     18
    .sgpr_spill_count: 0
    .symbol:         _ZN7rocprim17ROCPRIM_400000_NS6detail17trampoline_kernelINS0_14default_configENS1_38merge_sort_block_merge_config_selectorItNS0_10empty_typeEEEZZNS1_27merge_sort_block_merge_implIS3_PtPS5_jNS1_19radix_merge_compareILb1ELb0EtNS0_19identity_decomposerEEEEE10hipError_tT0_T1_T2_jT3_P12ihipStream_tbPNSt15iterator_traitsISE_E10value_typeEPNSK_ISF_E10value_typeEPSG_NS1_7vsmem_tEENKUlT_SE_SF_SG_E_clIS8_S8_S9_S9_EESD_ST_SE_SF_SG_EUlST_E1_NS1_11comp_targetILNS1_3genE0ELNS1_11target_archE4294967295ELNS1_3gpuE0ELNS1_3repE0EEENS1_36merge_oddeven_config_static_selectorELNS0_4arch9wavefront6targetE0EEEvSF_.kd
    .uniform_work_group_size: 1
    .uses_dynamic_stack: false
    .vgpr_count:     7
    .vgpr_spill_count: 0
    .wavefront_size: 32
  - .args:
      - .offset:         0
        .size:           48
        .value_kind:     by_value
    .group_segment_fixed_size: 0
    .kernarg_segment_align: 8
    .kernarg_segment_size: 48
    .language:       OpenCL C
    .language_version:
      - 2
      - 0
    .max_flat_workgroup_size: 256
    .name:           _ZN7rocprim17ROCPRIM_400000_NS6detail17trampoline_kernelINS0_14default_configENS1_38merge_sort_block_merge_config_selectorItNS0_10empty_typeEEEZZNS1_27merge_sort_block_merge_implIS3_PtPS5_jNS1_19radix_merge_compareILb1ELb0EtNS0_19identity_decomposerEEEEE10hipError_tT0_T1_T2_jT3_P12ihipStream_tbPNSt15iterator_traitsISE_E10value_typeEPNSK_ISF_E10value_typeEPSG_NS1_7vsmem_tEENKUlT_SE_SF_SG_E_clIS8_S8_S9_S9_EESD_ST_SE_SF_SG_EUlST_E1_NS1_11comp_targetILNS1_3genE10ELNS1_11target_archE1201ELNS1_3gpuE5ELNS1_3repE0EEENS1_36merge_oddeven_config_static_selectorELNS0_4arch9wavefront6targetE0EEEvSF_
    .private_segment_fixed_size: 0
    .sgpr_count:     0
    .sgpr_spill_count: 0
    .symbol:         _ZN7rocprim17ROCPRIM_400000_NS6detail17trampoline_kernelINS0_14default_configENS1_38merge_sort_block_merge_config_selectorItNS0_10empty_typeEEEZZNS1_27merge_sort_block_merge_implIS3_PtPS5_jNS1_19radix_merge_compareILb1ELb0EtNS0_19identity_decomposerEEEEE10hipError_tT0_T1_T2_jT3_P12ihipStream_tbPNSt15iterator_traitsISE_E10value_typeEPNSK_ISF_E10value_typeEPSG_NS1_7vsmem_tEENKUlT_SE_SF_SG_E_clIS8_S8_S9_S9_EESD_ST_SE_SF_SG_EUlST_E1_NS1_11comp_targetILNS1_3genE10ELNS1_11target_archE1201ELNS1_3gpuE5ELNS1_3repE0EEENS1_36merge_oddeven_config_static_selectorELNS0_4arch9wavefront6targetE0EEEvSF_.kd
    .uniform_work_group_size: 1
    .uses_dynamic_stack: false
    .vgpr_count:     0
    .vgpr_spill_count: 0
    .wavefront_size: 32
  - .args:
      - .offset:         0
        .size:           48
        .value_kind:     by_value
    .group_segment_fixed_size: 0
    .kernarg_segment_align: 8
    .kernarg_segment_size: 48
    .language:       OpenCL C
    .language_version:
      - 2
      - 0
    .max_flat_workgroup_size: 256
    .name:           _ZN7rocprim17ROCPRIM_400000_NS6detail17trampoline_kernelINS0_14default_configENS1_38merge_sort_block_merge_config_selectorItNS0_10empty_typeEEEZZNS1_27merge_sort_block_merge_implIS3_PtPS5_jNS1_19radix_merge_compareILb1ELb0EtNS0_19identity_decomposerEEEEE10hipError_tT0_T1_T2_jT3_P12ihipStream_tbPNSt15iterator_traitsISE_E10value_typeEPNSK_ISF_E10value_typeEPSG_NS1_7vsmem_tEENKUlT_SE_SF_SG_E_clIS8_S8_S9_S9_EESD_ST_SE_SF_SG_EUlST_E1_NS1_11comp_targetILNS1_3genE5ELNS1_11target_archE942ELNS1_3gpuE9ELNS1_3repE0EEENS1_36merge_oddeven_config_static_selectorELNS0_4arch9wavefront6targetE0EEEvSF_
    .private_segment_fixed_size: 0
    .sgpr_count:     0
    .sgpr_spill_count: 0
    .symbol:         _ZN7rocprim17ROCPRIM_400000_NS6detail17trampoline_kernelINS0_14default_configENS1_38merge_sort_block_merge_config_selectorItNS0_10empty_typeEEEZZNS1_27merge_sort_block_merge_implIS3_PtPS5_jNS1_19radix_merge_compareILb1ELb0EtNS0_19identity_decomposerEEEEE10hipError_tT0_T1_T2_jT3_P12ihipStream_tbPNSt15iterator_traitsISE_E10value_typeEPNSK_ISF_E10value_typeEPSG_NS1_7vsmem_tEENKUlT_SE_SF_SG_E_clIS8_S8_S9_S9_EESD_ST_SE_SF_SG_EUlST_E1_NS1_11comp_targetILNS1_3genE5ELNS1_11target_archE942ELNS1_3gpuE9ELNS1_3repE0EEENS1_36merge_oddeven_config_static_selectorELNS0_4arch9wavefront6targetE0EEEvSF_.kd
    .uniform_work_group_size: 1
    .uses_dynamic_stack: false
    .vgpr_count:     0
    .vgpr_spill_count: 0
    .wavefront_size: 32
  - .args:
      - .offset:         0
        .size:           48
        .value_kind:     by_value
    .group_segment_fixed_size: 0
    .kernarg_segment_align: 8
    .kernarg_segment_size: 48
    .language:       OpenCL C
    .language_version:
      - 2
      - 0
    .max_flat_workgroup_size: 256
    .name:           _ZN7rocprim17ROCPRIM_400000_NS6detail17trampoline_kernelINS0_14default_configENS1_38merge_sort_block_merge_config_selectorItNS0_10empty_typeEEEZZNS1_27merge_sort_block_merge_implIS3_PtPS5_jNS1_19radix_merge_compareILb1ELb0EtNS0_19identity_decomposerEEEEE10hipError_tT0_T1_T2_jT3_P12ihipStream_tbPNSt15iterator_traitsISE_E10value_typeEPNSK_ISF_E10value_typeEPSG_NS1_7vsmem_tEENKUlT_SE_SF_SG_E_clIS8_S8_S9_S9_EESD_ST_SE_SF_SG_EUlST_E1_NS1_11comp_targetILNS1_3genE4ELNS1_11target_archE910ELNS1_3gpuE8ELNS1_3repE0EEENS1_36merge_oddeven_config_static_selectorELNS0_4arch9wavefront6targetE0EEEvSF_
    .private_segment_fixed_size: 0
    .sgpr_count:     0
    .sgpr_spill_count: 0
    .symbol:         _ZN7rocprim17ROCPRIM_400000_NS6detail17trampoline_kernelINS0_14default_configENS1_38merge_sort_block_merge_config_selectorItNS0_10empty_typeEEEZZNS1_27merge_sort_block_merge_implIS3_PtPS5_jNS1_19radix_merge_compareILb1ELb0EtNS0_19identity_decomposerEEEEE10hipError_tT0_T1_T2_jT3_P12ihipStream_tbPNSt15iterator_traitsISE_E10value_typeEPNSK_ISF_E10value_typeEPSG_NS1_7vsmem_tEENKUlT_SE_SF_SG_E_clIS8_S8_S9_S9_EESD_ST_SE_SF_SG_EUlST_E1_NS1_11comp_targetILNS1_3genE4ELNS1_11target_archE910ELNS1_3gpuE8ELNS1_3repE0EEENS1_36merge_oddeven_config_static_selectorELNS0_4arch9wavefront6targetE0EEEvSF_.kd
    .uniform_work_group_size: 1
    .uses_dynamic_stack: false
    .vgpr_count:     0
    .vgpr_spill_count: 0
    .wavefront_size: 32
  - .args:
      - .offset:         0
        .size:           48
        .value_kind:     by_value
    .group_segment_fixed_size: 0
    .kernarg_segment_align: 8
    .kernarg_segment_size: 48
    .language:       OpenCL C
    .language_version:
      - 2
      - 0
    .max_flat_workgroup_size: 256
    .name:           _ZN7rocprim17ROCPRIM_400000_NS6detail17trampoline_kernelINS0_14default_configENS1_38merge_sort_block_merge_config_selectorItNS0_10empty_typeEEEZZNS1_27merge_sort_block_merge_implIS3_PtPS5_jNS1_19radix_merge_compareILb1ELb0EtNS0_19identity_decomposerEEEEE10hipError_tT0_T1_T2_jT3_P12ihipStream_tbPNSt15iterator_traitsISE_E10value_typeEPNSK_ISF_E10value_typeEPSG_NS1_7vsmem_tEENKUlT_SE_SF_SG_E_clIS8_S8_S9_S9_EESD_ST_SE_SF_SG_EUlST_E1_NS1_11comp_targetILNS1_3genE3ELNS1_11target_archE908ELNS1_3gpuE7ELNS1_3repE0EEENS1_36merge_oddeven_config_static_selectorELNS0_4arch9wavefront6targetE0EEEvSF_
    .private_segment_fixed_size: 0
    .sgpr_count:     0
    .sgpr_spill_count: 0
    .symbol:         _ZN7rocprim17ROCPRIM_400000_NS6detail17trampoline_kernelINS0_14default_configENS1_38merge_sort_block_merge_config_selectorItNS0_10empty_typeEEEZZNS1_27merge_sort_block_merge_implIS3_PtPS5_jNS1_19radix_merge_compareILb1ELb0EtNS0_19identity_decomposerEEEEE10hipError_tT0_T1_T2_jT3_P12ihipStream_tbPNSt15iterator_traitsISE_E10value_typeEPNSK_ISF_E10value_typeEPSG_NS1_7vsmem_tEENKUlT_SE_SF_SG_E_clIS8_S8_S9_S9_EESD_ST_SE_SF_SG_EUlST_E1_NS1_11comp_targetILNS1_3genE3ELNS1_11target_archE908ELNS1_3gpuE7ELNS1_3repE0EEENS1_36merge_oddeven_config_static_selectorELNS0_4arch9wavefront6targetE0EEEvSF_.kd
    .uniform_work_group_size: 1
    .uses_dynamic_stack: false
    .vgpr_count:     0
    .vgpr_spill_count: 0
    .wavefront_size: 32
  - .args:
      - .offset:         0
        .size:           48
        .value_kind:     by_value
    .group_segment_fixed_size: 0
    .kernarg_segment_align: 8
    .kernarg_segment_size: 48
    .language:       OpenCL C
    .language_version:
      - 2
      - 0
    .max_flat_workgroup_size: 256
    .name:           _ZN7rocprim17ROCPRIM_400000_NS6detail17trampoline_kernelINS0_14default_configENS1_38merge_sort_block_merge_config_selectorItNS0_10empty_typeEEEZZNS1_27merge_sort_block_merge_implIS3_PtPS5_jNS1_19radix_merge_compareILb1ELb0EtNS0_19identity_decomposerEEEEE10hipError_tT0_T1_T2_jT3_P12ihipStream_tbPNSt15iterator_traitsISE_E10value_typeEPNSK_ISF_E10value_typeEPSG_NS1_7vsmem_tEENKUlT_SE_SF_SG_E_clIS8_S8_S9_S9_EESD_ST_SE_SF_SG_EUlST_E1_NS1_11comp_targetILNS1_3genE2ELNS1_11target_archE906ELNS1_3gpuE6ELNS1_3repE0EEENS1_36merge_oddeven_config_static_selectorELNS0_4arch9wavefront6targetE0EEEvSF_
    .private_segment_fixed_size: 0
    .sgpr_count:     0
    .sgpr_spill_count: 0
    .symbol:         _ZN7rocprim17ROCPRIM_400000_NS6detail17trampoline_kernelINS0_14default_configENS1_38merge_sort_block_merge_config_selectorItNS0_10empty_typeEEEZZNS1_27merge_sort_block_merge_implIS3_PtPS5_jNS1_19radix_merge_compareILb1ELb0EtNS0_19identity_decomposerEEEEE10hipError_tT0_T1_T2_jT3_P12ihipStream_tbPNSt15iterator_traitsISE_E10value_typeEPNSK_ISF_E10value_typeEPSG_NS1_7vsmem_tEENKUlT_SE_SF_SG_E_clIS8_S8_S9_S9_EESD_ST_SE_SF_SG_EUlST_E1_NS1_11comp_targetILNS1_3genE2ELNS1_11target_archE906ELNS1_3gpuE6ELNS1_3repE0EEENS1_36merge_oddeven_config_static_selectorELNS0_4arch9wavefront6targetE0EEEvSF_.kd
    .uniform_work_group_size: 1
    .uses_dynamic_stack: false
    .vgpr_count:     0
    .vgpr_spill_count: 0
    .wavefront_size: 32
  - .args:
      - .offset:         0
        .size:           48
        .value_kind:     by_value
    .group_segment_fixed_size: 0
    .kernarg_segment_align: 8
    .kernarg_segment_size: 48
    .language:       OpenCL C
    .language_version:
      - 2
      - 0
    .max_flat_workgroup_size: 256
    .name:           _ZN7rocprim17ROCPRIM_400000_NS6detail17trampoline_kernelINS0_14default_configENS1_38merge_sort_block_merge_config_selectorItNS0_10empty_typeEEEZZNS1_27merge_sort_block_merge_implIS3_PtPS5_jNS1_19radix_merge_compareILb1ELb0EtNS0_19identity_decomposerEEEEE10hipError_tT0_T1_T2_jT3_P12ihipStream_tbPNSt15iterator_traitsISE_E10value_typeEPNSK_ISF_E10value_typeEPSG_NS1_7vsmem_tEENKUlT_SE_SF_SG_E_clIS8_S8_S9_S9_EESD_ST_SE_SF_SG_EUlST_E1_NS1_11comp_targetILNS1_3genE9ELNS1_11target_archE1100ELNS1_3gpuE3ELNS1_3repE0EEENS1_36merge_oddeven_config_static_selectorELNS0_4arch9wavefront6targetE0EEEvSF_
    .private_segment_fixed_size: 0
    .sgpr_count:     0
    .sgpr_spill_count: 0
    .symbol:         _ZN7rocprim17ROCPRIM_400000_NS6detail17trampoline_kernelINS0_14default_configENS1_38merge_sort_block_merge_config_selectorItNS0_10empty_typeEEEZZNS1_27merge_sort_block_merge_implIS3_PtPS5_jNS1_19radix_merge_compareILb1ELb0EtNS0_19identity_decomposerEEEEE10hipError_tT0_T1_T2_jT3_P12ihipStream_tbPNSt15iterator_traitsISE_E10value_typeEPNSK_ISF_E10value_typeEPSG_NS1_7vsmem_tEENKUlT_SE_SF_SG_E_clIS8_S8_S9_S9_EESD_ST_SE_SF_SG_EUlST_E1_NS1_11comp_targetILNS1_3genE9ELNS1_11target_archE1100ELNS1_3gpuE3ELNS1_3repE0EEENS1_36merge_oddeven_config_static_selectorELNS0_4arch9wavefront6targetE0EEEvSF_.kd
    .uniform_work_group_size: 1
    .uses_dynamic_stack: false
    .vgpr_count:     0
    .vgpr_spill_count: 0
    .wavefront_size: 32
  - .args:
      - .offset:         0
        .size:           48
        .value_kind:     by_value
    .group_segment_fixed_size: 0
    .kernarg_segment_align: 8
    .kernarg_segment_size: 48
    .language:       OpenCL C
    .language_version:
      - 2
      - 0
    .max_flat_workgroup_size: 256
    .name:           _ZN7rocprim17ROCPRIM_400000_NS6detail17trampoline_kernelINS0_14default_configENS1_38merge_sort_block_merge_config_selectorItNS0_10empty_typeEEEZZNS1_27merge_sort_block_merge_implIS3_PtPS5_jNS1_19radix_merge_compareILb1ELb0EtNS0_19identity_decomposerEEEEE10hipError_tT0_T1_T2_jT3_P12ihipStream_tbPNSt15iterator_traitsISE_E10value_typeEPNSK_ISF_E10value_typeEPSG_NS1_7vsmem_tEENKUlT_SE_SF_SG_E_clIS8_S8_S9_S9_EESD_ST_SE_SF_SG_EUlST_E1_NS1_11comp_targetILNS1_3genE8ELNS1_11target_archE1030ELNS1_3gpuE2ELNS1_3repE0EEENS1_36merge_oddeven_config_static_selectorELNS0_4arch9wavefront6targetE0EEEvSF_
    .private_segment_fixed_size: 0
    .sgpr_count:     0
    .sgpr_spill_count: 0
    .symbol:         _ZN7rocprim17ROCPRIM_400000_NS6detail17trampoline_kernelINS0_14default_configENS1_38merge_sort_block_merge_config_selectorItNS0_10empty_typeEEEZZNS1_27merge_sort_block_merge_implIS3_PtPS5_jNS1_19radix_merge_compareILb1ELb0EtNS0_19identity_decomposerEEEEE10hipError_tT0_T1_T2_jT3_P12ihipStream_tbPNSt15iterator_traitsISE_E10value_typeEPNSK_ISF_E10value_typeEPSG_NS1_7vsmem_tEENKUlT_SE_SF_SG_E_clIS8_S8_S9_S9_EESD_ST_SE_SF_SG_EUlST_E1_NS1_11comp_targetILNS1_3genE8ELNS1_11target_archE1030ELNS1_3gpuE2ELNS1_3repE0EEENS1_36merge_oddeven_config_static_selectorELNS0_4arch9wavefront6targetE0EEEvSF_.kd
    .uniform_work_group_size: 1
    .uses_dynamic_stack: false
    .vgpr_count:     0
    .vgpr_spill_count: 0
    .wavefront_size: 32
  - .args:
      - .offset:         0
        .size:           40
        .value_kind:     by_value
      - .offset:         40
        .size:           4
        .value_kind:     hidden_block_count_x
      - .offset:         44
        .size:           4
        .value_kind:     hidden_block_count_y
      - .offset:         48
        .size:           4
        .value_kind:     hidden_block_count_z
      - .offset:         52
        .size:           2
        .value_kind:     hidden_group_size_x
      - .offset:         54
        .size:           2
        .value_kind:     hidden_group_size_y
      - .offset:         56
        .size:           2
        .value_kind:     hidden_group_size_z
      - .offset:         58
        .size:           2
        .value_kind:     hidden_remainder_x
      - .offset:         60
        .size:           2
        .value_kind:     hidden_remainder_y
      - .offset:         62
        .size:           2
        .value_kind:     hidden_remainder_z
      - .offset:         80
        .size:           8
        .value_kind:     hidden_global_offset_x
      - .offset:         88
        .size:           8
        .value_kind:     hidden_global_offset_y
      - .offset:         96
        .size:           8
        .value_kind:     hidden_global_offset_z
      - .offset:         104
        .size:           2
        .value_kind:     hidden_grid_dims
    .group_segment_fixed_size: 0
    .kernarg_segment_align: 8
    .kernarg_segment_size: 296
    .language:       OpenCL C
    .language_version:
      - 2
      - 0
    .max_flat_workgroup_size: 128
    .name:           _ZN7rocprim17ROCPRIM_400000_NS6detail17trampoline_kernelINS0_14default_configENS1_25transform_config_selectorItLb1EEEZNS1_14transform_implILb1ES3_S5_PtS7_NS0_8identityItEEEE10hipError_tT2_T3_mT4_P12ihipStream_tbEUlT_E_NS1_11comp_targetILNS1_3genE0ELNS1_11target_archE4294967295ELNS1_3gpuE0ELNS1_3repE0EEENS1_30default_config_static_selectorELNS0_4arch9wavefront6targetE0EEEvT1_
    .private_segment_fixed_size: 0
    .sgpr_count:     17
    .sgpr_spill_count: 0
    .symbol:         _ZN7rocprim17ROCPRIM_400000_NS6detail17trampoline_kernelINS0_14default_configENS1_25transform_config_selectorItLb1EEEZNS1_14transform_implILb1ES3_S5_PtS7_NS0_8identityItEEEE10hipError_tT2_T3_mT4_P12ihipStream_tbEUlT_E_NS1_11comp_targetILNS1_3genE0ELNS1_11target_archE4294967295ELNS1_3gpuE0ELNS1_3repE0EEENS1_30default_config_static_selectorELNS0_4arch9wavefront6targetE0EEEvT1_.kd
    .uniform_work_group_size: 1
    .uses_dynamic_stack: false
    .vgpr_count:     6
    .vgpr_spill_count: 0
    .wavefront_size: 32
  - .args:
      - .offset:         0
        .size:           40
        .value_kind:     by_value
    .group_segment_fixed_size: 0
    .kernarg_segment_align: 8
    .kernarg_segment_size: 40
    .language:       OpenCL C
    .language_version:
      - 2
      - 0
    .max_flat_workgroup_size: 64
    .name:           _ZN7rocprim17ROCPRIM_400000_NS6detail17trampoline_kernelINS0_14default_configENS1_25transform_config_selectorItLb1EEEZNS1_14transform_implILb1ES3_S5_PtS7_NS0_8identityItEEEE10hipError_tT2_T3_mT4_P12ihipStream_tbEUlT_E_NS1_11comp_targetILNS1_3genE10ELNS1_11target_archE1201ELNS1_3gpuE5ELNS1_3repE0EEENS1_30default_config_static_selectorELNS0_4arch9wavefront6targetE0EEEvT1_
    .private_segment_fixed_size: 0
    .sgpr_count:     0
    .sgpr_spill_count: 0
    .symbol:         _ZN7rocprim17ROCPRIM_400000_NS6detail17trampoline_kernelINS0_14default_configENS1_25transform_config_selectorItLb1EEEZNS1_14transform_implILb1ES3_S5_PtS7_NS0_8identityItEEEE10hipError_tT2_T3_mT4_P12ihipStream_tbEUlT_E_NS1_11comp_targetILNS1_3genE10ELNS1_11target_archE1201ELNS1_3gpuE5ELNS1_3repE0EEENS1_30default_config_static_selectorELNS0_4arch9wavefront6targetE0EEEvT1_.kd
    .uniform_work_group_size: 1
    .uses_dynamic_stack: false
    .vgpr_count:     0
    .vgpr_spill_count: 0
    .wavefront_size: 32
  - .args:
      - .offset:         0
        .size:           40
        .value_kind:     by_value
    .group_segment_fixed_size: 0
    .kernarg_segment_align: 8
    .kernarg_segment_size: 40
    .language:       OpenCL C
    .language_version:
      - 2
      - 0
    .max_flat_workgroup_size: 256
    .name:           _ZN7rocprim17ROCPRIM_400000_NS6detail17trampoline_kernelINS0_14default_configENS1_25transform_config_selectorItLb1EEEZNS1_14transform_implILb1ES3_S5_PtS7_NS0_8identityItEEEE10hipError_tT2_T3_mT4_P12ihipStream_tbEUlT_E_NS1_11comp_targetILNS1_3genE5ELNS1_11target_archE942ELNS1_3gpuE9ELNS1_3repE0EEENS1_30default_config_static_selectorELNS0_4arch9wavefront6targetE0EEEvT1_
    .private_segment_fixed_size: 0
    .sgpr_count:     0
    .sgpr_spill_count: 0
    .symbol:         _ZN7rocprim17ROCPRIM_400000_NS6detail17trampoline_kernelINS0_14default_configENS1_25transform_config_selectorItLb1EEEZNS1_14transform_implILb1ES3_S5_PtS7_NS0_8identityItEEEE10hipError_tT2_T3_mT4_P12ihipStream_tbEUlT_E_NS1_11comp_targetILNS1_3genE5ELNS1_11target_archE942ELNS1_3gpuE9ELNS1_3repE0EEENS1_30default_config_static_selectorELNS0_4arch9wavefront6targetE0EEEvT1_.kd
    .uniform_work_group_size: 1
    .uses_dynamic_stack: false
    .vgpr_count:     0
    .vgpr_spill_count: 0
    .wavefront_size: 32
  - .args:
      - .offset:         0
        .size:           40
        .value_kind:     by_value
    .group_segment_fixed_size: 0
    .kernarg_segment_align: 8
    .kernarg_segment_size: 40
    .language:       OpenCL C
    .language_version:
      - 2
      - 0
    .max_flat_workgroup_size: 1024
    .name:           _ZN7rocprim17ROCPRIM_400000_NS6detail17trampoline_kernelINS0_14default_configENS1_25transform_config_selectorItLb1EEEZNS1_14transform_implILb1ES3_S5_PtS7_NS0_8identityItEEEE10hipError_tT2_T3_mT4_P12ihipStream_tbEUlT_E_NS1_11comp_targetILNS1_3genE4ELNS1_11target_archE910ELNS1_3gpuE8ELNS1_3repE0EEENS1_30default_config_static_selectorELNS0_4arch9wavefront6targetE0EEEvT1_
    .private_segment_fixed_size: 0
    .sgpr_count:     0
    .sgpr_spill_count: 0
    .symbol:         _ZN7rocprim17ROCPRIM_400000_NS6detail17trampoline_kernelINS0_14default_configENS1_25transform_config_selectorItLb1EEEZNS1_14transform_implILb1ES3_S5_PtS7_NS0_8identityItEEEE10hipError_tT2_T3_mT4_P12ihipStream_tbEUlT_E_NS1_11comp_targetILNS1_3genE4ELNS1_11target_archE910ELNS1_3gpuE8ELNS1_3repE0EEENS1_30default_config_static_selectorELNS0_4arch9wavefront6targetE0EEEvT1_.kd
    .uniform_work_group_size: 1
    .uses_dynamic_stack: false
    .vgpr_count:     0
    .vgpr_spill_count: 0
    .wavefront_size: 32
  - .args:
      - .offset:         0
        .size:           40
        .value_kind:     by_value
    .group_segment_fixed_size: 0
    .kernarg_segment_align: 8
    .kernarg_segment_size: 40
    .language:       OpenCL C
    .language_version:
      - 2
      - 0
    .max_flat_workgroup_size: 128
    .name:           _ZN7rocprim17ROCPRIM_400000_NS6detail17trampoline_kernelINS0_14default_configENS1_25transform_config_selectorItLb1EEEZNS1_14transform_implILb1ES3_S5_PtS7_NS0_8identityItEEEE10hipError_tT2_T3_mT4_P12ihipStream_tbEUlT_E_NS1_11comp_targetILNS1_3genE3ELNS1_11target_archE908ELNS1_3gpuE7ELNS1_3repE0EEENS1_30default_config_static_selectorELNS0_4arch9wavefront6targetE0EEEvT1_
    .private_segment_fixed_size: 0
    .sgpr_count:     0
    .sgpr_spill_count: 0
    .symbol:         _ZN7rocprim17ROCPRIM_400000_NS6detail17trampoline_kernelINS0_14default_configENS1_25transform_config_selectorItLb1EEEZNS1_14transform_implILb1ES3_S5_PtS7_NS0_8identityItEEEE10hipError_tT2_T3_mT4_P12ihipStream_tbEUlT_E_NS1_11comp_targetILNS1_3genE3ELNS1_11target_archE908ELNS1_3gpuE7ELNS1_3repE0EEENS1_30default_config_static_selectorELNS0_4arch9wavefront6targetE0EEEvT1_.kd
    .uniform_work_group_size: 1
    .uses_dynamic_stack: false
    .vgpr_count:     0
    .vgpr_spill_count: 0
    .wavefront_size: 32
  - .args:
      - .offset:         0
        .size:           40
        .value_kind:     by_value
    .group_segment_fixed_size: 0
    .kernarg_segment_align: 8
    .kernarg_segment_size: 40
    .language:       OpenCL C
    .language_version:
      - 2
      - 0
    .max_flat_workgroup_size: 1024
    .name:           _ZN7rocprim17ROCPRIM_400000_NS6detail17trampoline_kernelINS0_14default_configENS1_25transform_config_selectorItLb1EEEZNS1_14transform_implILb1ES3_S5_PtS7_NS0_8identityItEEEE10hipError_tT2_T3_mT4_P12ihipStream_tbEUlT_E_NS1_11comp_targetILNS1_3genE2ELNS1_11target_archE906ELNS1_3gpuE6ELNS1_3repE0EEENS1_30default_config_static_selectorELNS0_4arch9wavefront6targetE0EEEvT1_
    .private_segment_fixed_size: 0
    .sgpr_count:     0
    .sgpr_spill_count: 0
    .symbol:         _ZN7rocprim17ROCPRIM_400000_NS6detail17trampoline_kernelINS0_14default_configENS1_25transform_config_selectorItLb1EEEZNS1_14transform_implILb1ES3_S5_PtS7_NS0_8identityItEEEE10hipError_tT2_T3_mT4_P12ihipStream_tbEUlT_E_NS1_11comp_targetILNS1_3genE2ELNS1_11target_archE906ELNS1_3gpuE6ELNS1_3repE0EEENS1_30default_config_static_selectorELNS0_4arch9wavefront6targetE0EEEvT1_.kd
    .uniform_work_group_size: 1
    .uses_dynamic_stack: false
    .vgpr_count:     0
    .vgpr_spill_count: 0
    .wavefront_size: 32
  - .args:
      - .offset:         0
        .size:           40
        .value_kind:     by_value
    .group_segment_fixed_size: 0
    .kernarg_segment_align: 8
    .kernarg_segment_size: 40
    .language:       OpenCL C
    .language_version:
      - 2
      - 0
    .max_flat_workgroup_size: 1024
    .name:           _ZN7rocprim17ROCPRIM_400000_NS6detail17trampoline_kernelINS0_14default_configENS1_25transform_config_selectorItLb1EEEZNS1_14transform_implILb1ES3_S5_PtS7_NS0_8identityItEEEE10hipError_tT2_T3_mT4_P12ihipStream_tbEUlT_E_NS1_11comp_targetILNS1_3genE9ELNS1_11target_archE1100ELNS1_3gpuE3ELNS1_3repE0EEENS1_30default_config_static_selectorELNS0_4arch9wavefront6targetE0EEEvT1_
    .private_segment_fixed_size: 0
    .sgpr_count:     0
    .sgpr_spill_count: 0
    .symbol:         _ZN7rocprim17ROCPRIM_400000_NS6detail17trampoline_kernelINS0_14default_configENS1_25transform_config_selectorItLb1EEEZNS1_14transform_implILb1ES3_S5_PtS7_NS0_8identityItEEEE10hipError_tT2_T3_mT4_P12ihipStream_tbEUlT_E_NS1_11comp_targetILNS1_3genE9ELNS1_11target_archE1100ELNS1_3gpuE3ELNS1_3repE0EEENS1_30default_config_static_selectorELNS0_4arch9wavefront6targetE0EEEvT1_.kd
    .uniform_work_group_size: 1
    .uses_dynamic_stack: false
    .vgpr_count:     0
    .vgpr_spill_count: 0
    .wavefront_size: 32
  - .args:
      - .offset:         0
        .size:           40
        .value_kind:     by_value
    .group_segment_fixed_size: 0
    .kernarg_segment_align: 8
    .kernarg_segment_size: 40
    .language:       OpenCL C
    .language_version:
      - 2
      - 0
    .max_flat_workgroup_size: 1024
    .name:           _ZN7rocprim17ROCPRIM_400000_NS6detail17trampoline_kernelINS0_14default_configENS1_25transform_config_selectorItLb1EEEZNS1_14transform_implILb1ES3_S5_PtS7_NS0_8identityItEEEE10hipError_tT2_T3_mT4_P12ihipStream_tbEUlT_E_NS1_11comp_targetILNS1_3genE8ELNS1_11target_archE1030ELNS1_3gpuE2ELNS1_3repE0EEENS1_30default_config_static_selectorELNS0_4arch9wavefront6targetE0EEEvT1_
    .private_segment_fixed_size: 0
    .sgpr_count:     0
    .sgpr_spill_count: 0
    .symbol:         _ZN7rocprim17ROCPRIM_400000_NS6detail17trampoline_kernelINS0_14default_configENS1_25transform_config_selectorItLb1EEEZNS1_14transform_implILb1ES3_S5_PtS7_NS0_8identityItEEEE10hipError_tT2_T3_mT4_P12ihipStream_tbEUlT_E_NS1_11comp_targetILNS1_3genE8ELNS1_11target_archE1030ELNS1_3gpuE2ELNS1_3repE0EEENS1_30default_config_static_selectorELNS0_4arch9wavefront6targetE0EEEvT1_.kd
    .uniform_work_group_size: 1
    .uses_dynamic_stack: false
    .vgpr_count:     0
    .vgpr_spill_count: 0
    .wavefront_size: 32
  - .args:
      - .offset:         0
        .size:           40
        .value_kind:     by_value
    .group_segment_fixed_size: 0
    .kernarg_segment_align: 8
    .kernarg_segment_size: 40
    .language:       OpenCL C
    .language_version:
      - 2
      - 0
    .max_flat_workgroup_size: 128
    .name:           _ZN7rocprim17ROCPRIM_400000_NS6detail17trampoline_kernelINS0_14default_configENS1_38merge_sort_block_merge_config_selectorItNS0_10empty_typeEEEZZNS1_27merge_sort_block_merge_implIS3_PtPS5_jNS1_19radix_merge_compareILb1ELb1EtNS0_19identity_decomposerEEEEE10hipError_tT0_T1_T2_jT3_P12ihipStream_tbPNSt15iterator_traitsISE_E10value_typeEPNSK_ISF_E10value_typeEPSG_NS1_7vsmem_tEENKUlT_SE_SF_SG_E_clIS8_S8_S9_S9_EESD_ST_SE_SF_SG_EUlST_E_NS1_11comp_targetILNS1_3genE0ELNS1_11target_archE4294967295ELNS1_3gpuE0ELNS1_3repE0EEENS1_48merge_mergepath_partition_config_static_selectorELNS0_4arch9wavefront6targetE0EEEvSF_
    .private_segment_fixed_size: 0
    .sgpr_count:     10
    .sgpr_spill_count: 0
    .symbol:         _ZN7rocprim17ROCPRIM_400000_NS6detail17trampoline_kernelINS0_14default_configENS1_38merge_sort_block_merge_config_selectorItNS0_10empty_typeEEEZZNS1_27merge_sort_block_merge_implIS3_PtPS5_jNS1_19radix_merge_compareILb1ELb1EtNS0_19identity_decomposerEEEEE10hipError_tT0_T1_T2_jT3_P12ihipStream_tbPNSt15iterator_traitsISE_E10value_typeEPNSK_ISF_E10value_typeEPSG_NS1_7vsmem_tEENKUlT_SE_SF_SG_E_clIS8_S8_S9_S9_EESD_ST_SE_SF_SG_EUlST_E_NS1_11comp_targetILNS1_3genE0ELNS1_11target_archE4294967295ELNS1_3gpuE0ELNS1_3repE0EEENS1_48merge_mergepath_partition_config_static_selectorELNS0_4arch9wavefront6targetE0EEEvSF_.kd
    .uniform_work_group_size: 1
    .uses_dynamic_stack: false
    .vgpr_count:     17
    .vgpr_spill_count: 0
    .wavefront_size: 32
  - .args:
      - .offset:         0
        .size:           40
        .value_kind:     by_value
    .group_segment_fixed_size: 0
    .kernarg_segment_align: 8
    .kernarg_segment_size: 40
    .language:       OpenCL C
    .language_version:
      - 2
      - 0
    .max_flat_workgroup_size: 128
    .name:           _ZN7rocprim17ROCPRIM_400000_NS6detail17trampoline_kernelINS0_14default_configENS1_38merge_sort_block_merge_config_selectorItNS0_10empty_typeEEEZZNS1_27merge_sort_block_merge_implIS3_PtPS5_jNS1_19radix_merge_compareILb1ELb1EtNS0_19identity_decomposerEEEEE10hipError_tT0_T1_T2_jT3_P12ihipStream_tbPNSt15iterator_traitsISE_E10value_typeEPNSK_ISF_E10value_typeEPSG_NS1_7vsmem_tEENKUlT_SE_SF_SG_E_clIS8_S8_S9_S9_EESD_ST_SE_SF_SG_EUlST_E_NS1_11comp_targetILNS1_3genE10ELNS1_11target_archE1201ELNS1_3gpuE5ELNS1_3repE0EEENS1_48merge_mergepath_partition_config_static_selectorELNS0_4arch9wavefront6targetE0EEEvSF_
    .private_segment_fixed_size: 0
    .sgpr_count:     0
    .sgpr_spill_count: 0
    .symbol:         _ZN7rocprim17ROCPRIM_400000_NS6detail17trampoline_kernelINS0_14default_configENS1_38merge_sort_block_merge_config_selectorItNS0_10empty_typeEEEZZNS1_27merge_sort_block_merge_implIS3_PtPS5_jNS1_19radix_merge_compareILb1ELb1EtNS0_19identity_decomposerEEEEE10hipError_tT0_T1_T2_jT3_P12ihipStream_tbPNSt15iterator_traitsISE_E10value_typeEPNSK_ISF_E10value_typeEPSG_NS1_7vsmem_tEENKUlT_SE_SF_SG_E_clIS8_S8_S9_S9_EESD_ST_SE_SF_SG_EUlST_E_NS1_11comp_targetILNS1_3genE10ELNS1_11target_archE1201ELNS1_3gpuE5ELNS1_3repE0EEENS1_48merge_mergepath_partition_config_static_selectorELNS0_4arch9wavefront6targetE0EEEvSF_.kd
    .uniform_work_group_size: 1
    .uses_dynamic_stack: false
    .vgpr_count:     0
    .vgpr_spill_count: 0
    .wavefront_size: 32
  - .args:
      - .offset:         0
        .size:           40
        .value_kind:     by_value
    .group_segment_fixed_size: 0
    .kernarg_segment_align: 8
    .kernarg_segment_size: 40
    .language:       OpenCL C
    .language_version:
      - 2
      - 0
    .max_flat_workgroup_size: 128
    .name:           _ZN7rocprim17ROCPRIM_400000_NS6detail17trampoline_kernelINS0_14default_configENS1_38merge_sort_block_merge_config_selectorItNS0_10empty_typeEEEZZNS1_27merge_sort_block_merge_implIS3_PtPS5_jNS1_19radix_merge_compareILb1ELb1EtNS0_19identity_decomposerEEEEE10hipError_tT0_T1_T2_jT3_P12ihipStream_tbPNSt15iterator_traitsISE_E10value_typeEPNSK_ISF_E10value_typeEPSG_NS1_7vsmem_tEENKUlT_SE_SF_SG_E_clIS8_S8_S9_S9_EESD_ST_SE_SF_SG_EUlST_E_NS1_11comp_targetILNS1_3genE5ELNS1_11target_archE942ELNS1_3gpuE9ELNS1_3repE0EEENS1_48merge_mergepath_partition_config_static_selectorELNS0_4arch9wavefront6targetE0EEEvSF_
    .private_segment_fixed_size: 0
    .sgpr_count:     0
    .sgpr_spill_count: 0
    .symbol:         _ZN7rocprim17ROCPRIM_400000_NS6detail17trampoline_kernelINS0_14default_configENS1_38merge_sort_block_merge_config_selectorItNS0_10empty_typeEEEZZNS1_27merge_sort_block_merge_implIS3_PtPS5_jNS1_19radix_merge_compareILb1ELb1EtNS0_19identity_decomposerEEEEE10hipError_tT0_T1_T2_jT3_P12ihipStream_tbPNSt15iterator_traitsISE_E10value_typeEPNSK_ISF_E10value_typeEPSG_NS1_7vsmem_tEENKUlT_SE_SF_SG_E_clIS8_S8_S9_S9_EESD_ST_SE_SF_SG_EUlST_E_NS1_11comp_targetILNS1_3genE5ELNS1_11target_archE942ELNS1_3gpuE9ELNS1_3repE0EEENS1_48merge_mergepath_partition_config_static_selectorELNS0_4arch9wavefront6targetE0EEEvSF_.kd
    .uniform_work_group_size: 1
    .uses_dynamic_stack: false
    .vgpr_count:     0
    .vgpr_spill_count: 0
    .wavefront_size: 32
  - .args:
      - .offset:         0
        .size:           40
        .value_kind:     by_value
    .group_segment_fixed_size: 0
    .kernarg_segment_align: 8
    .kernarg_segment_size: 40
    .language:       OpenCL C
    .language_version:
      - 2
      - 0
    .max_flat_workgroup_size: 128
    .name:           _ZN7rocprim17ROCPRIM_400000_NS6detail17trampoline_kernelINS0_14default_configENS1_38merge_sort_block_merge_config_selectorItNS0_10empty_typeEEEZZNS1_27merge_sort_block_merge_implIS3_PtPS5_jNS1_19radix_merge_compareILb1ELb1EtNS0_19identity_decomposerEEEEE10hipError_tT0_T1_T2_jT3_P12ihipStream_tbPNSt15iterator_traitsISE_E10value_typeEPNSK_ISF_E10value_typeEPSG_NS1_7vsmem_tEENKUlT_SE_SF_SG_E_clIS8_S8_S9_S9_EESD_ST_SE_SF_SG_EUlST_E_NS1_11comp_targetILNS1_3genE4ELNS1_11target_archE910ELNS1_3gpuE8ELNS1_3repE0EEENS1_48merge_mergepath_partition_config_static_selectorELNS0_4arch9wavefront6targetE0EEEvSF_
    .private_segment_fixed_size: 0
    .sgpr_count:     0
    .sgpr_spill_count: 0
    .symbol:         _ZN7rocprim17ROCPRIM_400000_NS6detail17trampoline_kernelINS0_14default_configENS1_38merge_sort_block_merge_config_selectorItNS0_10empty_typeEEEZZNS1_27merge_sort_block_merge_implIS3_PtPS5_jNS1_19radix_merge_compareILb1ELb1EtNS0_19identity_decomposerEEEEE10hipError_tT0_T1_T2_jT3_P12ihipStream_tbPNSt15iterator_traitsISE_E10value_typeEPNSK_ISF_E10value_typeEPSG_NS1_7vsmem_tEENKUlT_SE_SF_SG_E_clIS8_S8_S9_S9_EESD_ST_SE_SF_SG_EUlST_E_NS1_11comp_targetILNS1_3genE4ELNS1_11target_archE910ELNS1_3gpuE8ELNS1_3repE0EEENS1_48merge_mergepath_partition_config_static_selectorELNS0_4arch9wavefront6targetE0EEEvSF_.kd
    .uniform_work_group_size: 1
    .uses_dynamic_stack: false
    .vgpr_count:     0
    .vgpr_spill_count: 0
    .wavefront_size: 32
  - .args:
      - .offset:         0
        .size:           40
        .value_kind:     by_value
    .group_segment_fixed_size: 0
    .kernarg_segment_align: 8
    .kernarg_segment_size: 40
    .language:       OpenCL C
    .language_version:
      - 2
      - 0
    .max_flat_workgroup_size: 128
    .name:           _ZN7rocprim17ROCPRIM_400000_NS6detail17trampoline_kernelINS0_14default_configENS1_38merge_sort_block_merge_config_selectorItNS0_10empty_typeEEEZZNS1_27merge_sort_block_merge_implIS3_PtPS5_jNS1_19radix_merge_compareILb1ELb1EtNS0_19identity_decomposerEEEEE10hipError_tT0_T1_T2_jT3_P12ihipStream_tbPNSt15iterator_traitsISE_E10value_typeEPNSK_ISF_E10value_typeEPSG_NS1_7vsmem_tEENKUlT_SE_SF_SG_E_clIS8_S8_S9_S9_EESD_ST_SE_SF_SG_EUlST_E_NS1_11comp_targetILNS1_3genE3ELNS1_11target_archE908ELNS1_3gpuE7ELNS1_3repE0EEENS1_48merge_mergepath_partition_config_static_selectorELNS0_4arch9wavefront6targetE0EEEvSF_
    .private_segment_fixed_size: 0
    .sgpr_count:     0
    .sgpr_spill_count: 0
    .symbol:         _ZN7rocprim17ROCPRIM_400000_NS6detail17trampoline_kernelINS0_14default_configENS1_38merge_sort_block_merge_config_selectorItNS0_10empty_typeEEEZZNS1_27merge_sort_block_merge_implIS3_PtPS5_jNS1_19radix_merge_compareILb1ELb1EtNS0_19identity_decomposerEEEEE10hipError_tT0_T1_T2_jT3_P12ihipStream_tbPNSt15iterator_traitsISE_E10value_typeEPNSK_ISF_E10value_typeEPSG_NS1_7vsmem_tEENKUlT_SE_SF_SG_E_clIS8_S8_S9_S9_EESD_ST_SE_SF_SG_EUlST_E_NS1_11comp_targetILNS1_3genE3ELNS1_11target_archE908ELNS1_3gpuE7ELNS1_3repE0EEENS1_48merge_mergepath_partition_config_static_selectorELNS0_4arch9wavefront6targetE0EEEvSF_.kd
    .uniform_work_group_size: 1
    .uses_dynamic_stack: false
    .vgpr_count:     0
    .vgpr_spill_count: 0
    .wavefront_size: 32
  - .args:
      - .offset:         0
        .size:           40
        .value_kind:     by_value
    .group_segment_fixed_size: 0
    .kernarg_segment_align: 8
    .kernarg_segment_size: 40
    .language:       OpenCL C
    .language_version:
      - 2
      - 0
    .max_flat_workgroup_size: 128
    .name:           _ZN7rocprim17ROCPRIM_400000_NS6detail17trampoline_kernelINS0_14default_configENS1_38merge_sort_block_merge_config_selectorItNS0_10empty_typeEEEZZNS1_27merge_sort_block_merge_implIS3_PtPS5_jNS1_19radix_merge_compareILb1ELb1EtNS0_19identity_decomposerEEEEE10hipError_tT0_T1_T2_jT3_P12ihipStream_tbPNSt15iterator_traitsISE_E10value_typeEPNSK_ISF_E10value_typeEPSG_NS1_7vsmem_tEENKUlT_SE_SF_SG_E_clIS8_S8_S9_S9_EESD_ST_SE_SF_SG_EUlST_E_NS1_11comp_targetILNS1_3genE2ELNS1_11target_archE906ELNS1_3gpuE6ELNS1_3repE0EEENS1_48merge_mergepath_partition_config_static_selectorELNS0_4arch9wavefront6targetE0EEEvSF_
    .private_segment_fixed_size: 0
    .sgpr_count:     0
    .sgpr_spill_count: 0
    .symbol:         _ZN7rocprim17ROCPRIM_400000_NS6detail17trampoline_kernelINS0_14default_configENS1_38merge_sort_block_merge_config_selectorItNS0_10empty_typeEEEZZNS1_27merge_sort_block_merge_implIS3_PtPS5_jNS1_19radix_merge_compareILb1ELb1EtNS0_19identity_decomposerEEEEE10hipError_tT0_T1_T2_jT3_P12ihipStream_tbPNSt15iterator_traitsISE_E10value_typeEPNSK_ISF_E10value_typeEPSG_NS1_7vsmem_tEENKUlT_SE_SF_SG_E_clIS8_S8_S9_S9_EESD_ST_SE_SF_SG_EUlST_E_NS1_11comp_targetILNS1_3genE2ELNS1_11target_archE906ELNS1_3gpuE6ELNS1_3repE0EEENS1_48merge_mergepath_partition_config_static_selectorELNS0_4arch9wavefront6targetE0EEEvSF_.kd
    .uniform_work_group_size: 1
    .uses_dynamic_stack: false
    .vgpr_count:     0
    .vgpr_spill_count: 0
    .wavefront_size: 32
  - .args:
      - .offset:         0
        .size:           40
        .value_kind:     by_value
    .group_segment_fixed_size: 0
    .kernarg_segment_align: 8
    .kernarg_segment_size: 40
    .language:       OpenCL C
    .language_version:
      - 2
      - 0
    .max_flat_workgroup_size: 128
    .name:           _ZN7rocprim17ROCPRIM_400000_NS6detail17trampoline_kernelINS0_14default_configENS1_38merge_sort_block_merge_config_selectorItNS0_10empty_typeEEEZZNS1_27merge_sort_block_merge_implIS3_PtPS5_jNS1_19radix_merge_compareILb1ELb1EtNS0_19identity_decomposerEEEEE10hipError_tT0_T1_T2_jT3_P12ihipStream_tbPNSt15iterator_traitsISE_E10value_typeEPNSK_ISF_E10value_typeEPSG_NS1_7vsmem_tEENKUlT_SE_SF_SG_E_clIS8_S8_S9_S9_EESD_ST_SE_SF_SG_EUlST_E_NS1_11comp_targetILNS1_3genE9ELNS1_11target_archE1100ELNS1_3gpuE3ELNS1_3repE0EEENS1_48merge_mergepath_partition_config_static_selectorELNS0_4arch9wavefront6targetE0EEEvSF_
    .private_segment_fixed_size: 0
    .sgpr_count:     0
    .sgpr_spill_count: 0
    .symbol:         _ZN7rocprim17ROCPRIM_400000_NS6detail17trampoline_kernelINS0_14default_configENS1_38merge_sort_block_merge_config_selectorItNS0_10empty_typeEEEZZNS1_27merge_sort_block_merge_implIS3_PtPS5_jNS1_19radix_merge_compareILb1ELb1EtNS0_19identity_decomposerEEEEE10hipError_tT0_T1_T2_jT3_P12ihipStream_tbPNSt15iterator_traitsISE_E10value_typeEPNSK_ISF_E10value_typeEPSG_NS1_7vsmem_tEENKUlT_SE_SF_SG_E_clIS8_S8_S9_S9_EESD_ST_SE_SF_SG_EUlST_E_NS1_11comp_targetILNS1_3genE9ELNS1_11target_archE1100ELNS1_3gpuE3ELNS1_3repE0EEENS1_48merge_mergepath_partition_config_static_selectorELNS0_4arch9wavefront6targetE0EEEvSF_.kd
    .uniform_work_group_size: 1
    .uses_dynamic_stack: false
    .vgpr_count:     0
    .vgpr_spill_count: 0
    .wavefront_size: 32
  - .args:
      - .offset:         0
        .size:           40
        .value_kind:     by_value
    .group_segment_fixed_size: 0
    .kernarg_segment_align: 8
    .kernarg_segment_size: 40
    .language:       OpenCL C
    .language_version:
      - 2
      - 0
    .max_flat_workgroup_size: 128
    .name:           _ZN7rocprim17ROCPRIM_400000_NS6detail17trampoline_kernelINS0_14default_configENS1_38merge_sort_block_merge_config_selectorItNS0_10empty_typeEEEZZNS1_27merge_sort_block_merge_implIS3_PtPS5_jNS1_19radix_merge_compareILb1ELb1EtNS0_19identity_decomposerEEEEE10hipError_tT0_T1_T2_jT3_P12ihipStream_tbPNSt15iterator_traitsISE_E10value_typeEPNSK_ISF_E10value_typeEPSG_NS1_7vsmem_tEENKUlT_SE_SF_SG_E_clIS8_S8_S9_S9_EESD_ST_SE_SF_SG_EUlST_E_NS1_11comp_targetILNS1_3genE8ELNS1_11target_archE1030ELNS1_3gpuE2ELNS1_3repE0EEENS1_48merge_mergepath_partition_config_static_selectorELNS0_4arch9wavefront6targetE0EEEvSF_
    .private_segment_fixed_size: 0
    .sgpr_count:     0
    .sgpr_spill_count: 0
    .symbol:         _ZN7rocprim17ROCPRIM_400000_NS6detail17trampoline_kernelINS0_14default_configENS1_38merge_sort_block_merge_config_selectorItNS0_10empty_typeEEEZZNS1_27merge_sort_block_merge_implIS3_PtPS5_jNS1_19radix_merge_compareILb1ELb1EtNS0_19identity_decomposerEEEEE10hipError_tT0_T1_T2_jT3_P12ihipStream_tbPNSt15iterator_traitsISE_E10value_typeEPNSK_ISF_E10value_typeEPSG_NS1_7vsmem_tEENKUlT_SE_SF_SG_E_clIS8_S8_S9_S9_EESD_ST_SE_SF_SG_EUlST_E_NS1_11comp_targetILNS1_3genE8ELNS1_11target_archE1030ELNS1_3gpuE2ELNS1_3repE0EEENS1_48merge_mergepath_partition_config_static_selectorELNS0_4arch9wavefront6targetE0EEEvSF_.kd
    .uniform_work_group_size: 1
    .uses_dynamic_stack: false
    .vgpr_count:     0
    .vgpr_spill_count: 0
    .wavefront_size: 32
  - .args:
      - .offset:         0
        .size:           64
        .value_kind:     by_value
      - .offset:         64
        .size:           4
        .value_kind:     hidden_block_count_x
      - .offset:         68
        .size:           4
        .value_kind:     hidden_block_count_y
      - .offset:         72
        .size:           4
        .value_kind:     hidden_block_count_z
      - .offset:         76
        .size:           2
        .value_kind:     hidden_group_size_x
      - .offset:         78
        .size:           2
        .value_kind:     hidden_group_size_y
      - .offset:         80
        .size:           2
        .value_kind:     hidden_group_size_z
      - .offset:         82
        .size:           2
        .value_kind:     hidden_remainder_x
      - .offset:         84
        .size:           2
        .value_kind:     hidden_remainder_y
      - .offset:         86
        .size:           2
        .value_kind:     hidden_remainder_z
      - .offset:         104
        .size:           8
        .value_kind:     hidden_global_offset_x
      - .offset:         112
        .size:           8
        .value_kind:     hidden_global_offset_y
      - .offset:         120
        .size:           8
        .value_kind:     hidden_global_offset_z
      - .offset:         128
        .size:           2
        .value_kind:     hidden_grid_dims
    .group_segment_fixed_size: 2112
    .kernarg_segment_align: 8
    .kernarg_segment_size: 320
    .language:       OpenCL C
    .language_version:
      - 2
      - 0
    .max_flat_workgroup_size: 128
    .name:           _ZN7rocprim17ROCPRIM_400000_NS6detail17trampoline_kernelINS0_14default_configENS1_38merge_sort_block_merge_config_selectorItNS0_10empty_typeEEEZZNS1_27merge_sort_block_merge_implIS3_PtPS5_jNS1_19radix_merge_compareILb1ELb1EtNS0_19identity_decomposerEEEEE10hipError_tT0_T1_T2_jT3_P12ihipStream_tbPNSt15iterator_traitsISE_E10value_typeEPNSK_ISF_E10value_typeEPSG_NS1_7vsmem_tEENKUlT_SE_SF_SG_E_clIS8_S8_S9_S9_EESD_ST_SE_SF_SG_EUlST_E0_NS1_11comp_targetILNS1_3genE0ELNS1_11target_archE4294967295ELNS1_3gpuE0ELNS1_3repE0EEENS1_38merge_mergepath_config_static_selectorELNS0_4arch9wavefront6targetE0EEEvSF_
    .private_segment_fixed_size: 0
    .sgpr_count:     25
    .sgpr_spill_count: 0
    .symbol:         _ZN7rocprim17ROCPRIM_400000_NS6detail17trampoline_kernelINS0_14default_configENS1_38merge_sort_block_merge_config_selectorItNS0_10empty_typeEEEZZNS1_27merge_sort_block_merge_implIS3_PtPS5_jNS1_19radix_merge_compareILb1ELb1EtNS0_19identity_decomposerEEEEE10hipError_tT0_T1_T2_jT3_P12ihipStream_tbPNSt15iterator_traitsISE_E10value_typeEPNSK_ISF_E10value_typeEPSG_NS1_7vsmem_tEENKUlT_SE_SF_SG_E_clIS8_S8_S9_S9_EESD_ST_SE_SF_SG_EUlST_E0_NS1_11comp_targetILNS1_3genE0ELNS1_11target_archE4294967295ELNS1_3gpuE0ELNS1_3repE0EEENS1_38merge_mergepath_config_static_selectorELNS0_4arch9wavefront6targetE0EEEvSF_.kd
    .uniform_work_group_size: 1
    .uses_dynamic_stack: false
    .vgpr_count:     27
    .vgpr_spill_count: 0
    .wavefront_size: 32
  - .args:
      - .offset:         0
        .size:           64
        .value_kind:     by_value
    .group_segment_fixed_size: 0
    .kernarg_segment_align: 8
    .kernarg_segment_size: 64
    .language:       OpenCL C
    .language_version:
      - 2
      - 0
    .max_flat_workgroup_size: 128
    .name:           _ZN7rocprim17ROCPRIM_400000_NS6detail17trampoline_kernelINS0_14default_configENS1_38merge_sort_block_merge_config_selectorItNS0_10empty_typeEEEZZNS1_27merge_sort_block_merge_implIS3_PtPS5_jNS1_19radix_merge_compareILb1ELb1EtNS0_19identity_decomposerEEEEE10hipError_tT0_T1_T2_jT3_P12ihipStream_tbPNSt15iterator_traitsISE_E10value_typeEPNSK_ISF_E10value_typeEPSG_NS1_7vsmem_tEENKUlT_SE_SF_SG_E_clIS8_S8_S9_S9_EESD_ST_SE_SF_SG_EUlST_E0_NS1_11comp_targetILNS1_3genE10ELNS1_11target_archE1201ELNS1_3gpuE5ELNS1_3repE0EEENS1_38merge_mergepath_config_static_selectorELNS0_4arch9wavefront6targetE0EEEvSF_
    .private_segment_fixed_size: 0
    .sgpr_count:     0
    .sgpr_spill_count: 0
    .symbol:         _ZN7rocprim17ROCPRIM_400000_NS6detail17trampoline_kernelINS0_14default_configENS1_38merge_sort_block_merge_config_selectorItNS0_10empty_typeEEEZZNS1_27merge_sort_block_merge_implIS3_PtPS5_jNS1_19radix_merge_compareILb1ELb1EtNS0_19identity_decomposerEEEEE10hipError_tT0_T1_T2_jT3_P12ihipStream_tbPNSt15iterator_traitsISE_E10value_typeEPNSK_ISF_E10value_typeEPSG_NS1_7vsmem_tEENKUlT_SE_SF_SG_E_clIS8_S8_S9_S9_EESD_ST_SE_SF_SG_EUlST_E0_NS1_11comp_targetILNS1_3genE10ELNS1_11target_archE1201ELNS1_3gpuE5ELNS1_3repE0EEENS1_38merge_mergepath_config_static_selectorELNS0_4arch9wavefront6targetE0EEEvSF_.kd
    .uniform_work_group_size: 1
    .uses_dynamic_stack: false
    .vgpr_count:     0
    .vgpr_spill_count: 0
    .wavefront_size: 32
  - .args:
      - .offset:         0
        .size:           64
        .value_kind:     by_value
    .group_segment_fixed_size: 0
    .kernarg_segment_align: 8
    .kernarg_segment_size: 64
    .language:       OpenCL C
    .language_version:
      - 2
      - 0
    .max_flat_workgroup_size: 128
    .name:           _ZN7rocprim17ROCPRIM_400000_NS6detail17trampoline_kernelINS0_14default_configENS1_38merge_sort_block_merge_config_selectorItNS0_10empty_typeEEEZZNS1_27merge_sort_block_merge_implIS3_PtPS5_jNS1_19radix_merge_compareILb1ELb1EtNS0_19identity_decomposerEEEEE10hipError_tT0_T1_T2_jT3_P12ihipStream_tbPNSt15iterator_traitsISE_E10value_typeEPNSK_ISF_E10value_typeEPSG_NS1_7vsmem_tEENKUlT_SE_SF_SG_E_clIS8_S8_S9_S9_EESD_ST_SE_SF_SG_EUlST_E0_NS1_11comp_targetILNS1_3genE5ELNS1_11target_archE942ELNS1_3gpuE9ELNS1_3repE0EEENS1_38merge_mergepath_config_static_selectorELNS0_4arch9wavefront6targetE0EEEvSF_
    .private_segment_fixed_size: 0
    .sgpr_count:     0
    .sgpr_spill_count: 0
    .symbol:         _ZN7rocprim17ROCPRIM_400000_NS6detail17trampoline_kernelINS0_14default_configENS1_38merge_sort_block_merge_config_selectorItNS0_10empty_typeEEEZZNS1_27merge_sort_block_merge_implIS3_PtPS5_jNS1_19radix_merge_compareILb1ELb1EtNS0_19identity_decomposerEEEEE10hipError_tT0_T1_T2_jT3_P12ihipStream_tbPNSt15iterator_traitsISE_E10value_typeEPNSK_ISF_E10value_typeEPSG_NS1_7vsmem_tEENKUlT_SE_SF_SG_E_clIS8_S8_S9_S9_EESD_ST_SE_SF_SG_EUlST_E0_NS1_11comp_targetILNS1_3genE5ELNS1_11target_archE942ELNS1_3gpuE9ELNS1_3repE0EEENS1_38merge_mergepath_config_static_selectorELNS0_4arch9wavefront6targetE0EEEvSF_.kd
    .uniform_work_group_size: 1
    .uses_dynamic_stack: false
    .vgpr_count:     0
    .vgpr_spill_count: 0
    .wavefront_size: 32
  - .args:
      - .offset:         0
        .size:           64
        .value_kind:     by_value
    .group_segment_fixed_size: 0
    .kernarg_segment_align: 8
    .kernarg_segment_size: 64
    .language:       OpenCL C
    .language_version:
      - 2
      - 0
    .max_flat_workgroup_size: 128
    .name:           _ZN7rocprim17ROCPRIM_400000_NS6detail17trampoline_kernelINS0_14default_configENS1_38merge_sort_block_merge_config_selectorItNS0_10empty_typeEEEZZNS1_27merge_sort_block_merge_implIS3_PtPS5_jNS1_19radix_merge_compareILb1ELb1EtNS0_19identity_decomposerEEEEE10hipError_tT0_T1_T2_jT3_P12ihipStream_tbPNSt15iterator_traitsISE_E10value_typeEPNSK_ISF_E10value_typeEPSG_NS1_7vsmem_tEENKUlT_SE_SF_SG_E_clIS8_S8_S9_S9_EESD_ST_SE_SF_SG_EUlST_E0_NS1_11comp_targetILNS1_3genE4ELNS1_11target_archE910ELNS1_3gpuE8ELNS1_3repE0EEENS1_38merge_mergepath_config_static_selectorELNS0_4arch9wavefront6targetE0EEEvSF_
    .private_segment_fixed_size: 0
    .sgpr_count:     0
    .sgpr_spill_count: 0
    .symbol:         _ZN7rocprim17ROCPRIM_400000_NS6detail17trampoline_kernelINS0_14default_configENS1_38merge_sort_block_merge_config_selectorItNS0_10empty_typeEEEZZNS1_27merge_sort_block_merge_implIS3_PtPS5_jNS1_19radix_merge_compareILb1ELb1EtNS0_19identity_decomposerEEEEE10hipError_tT0_T1_T2_jT3_P12ihipStream_tbPNSt15iterator_traitsISE_E10value_typeEPNSK_ISF_E10value_typeEPSG_NS1_7vsmem_tEENKUlT_SE_SF_SG_E_clIS8_S8_S9_S9_EESD_ST_SE_SF_SG_EUlST_E0_NS1_11comp_targetILNS1_3genE4ELNS1_11target_archE910ELNS1_3gpuE8ELNS1_3repE0EEENS1_38merge_mergepath_config_static_selectorELNS0_4arch9wavefront6targetE0EEEvSF_.kd
    .uniform_work_group_size: 1
    .uses_dynamic_stack: false
    .vgpr_count:     0
    .vgpr_spill_count: 0
    .wavefront_size: 32
  - .args:
      - .offset:         0
        .size:           64
        .value_kind:     by_value
    .group_segment_fixed_size: 0
    .kernarg_segment_align: 8
    .kernarg_segment_size: 64
    .language:       OpenCL C
    .language_version:
      - 2
      - 0
    .max_flat_workgroup_size: 128
    .name:           _ZN7rocprim17ROCPRIM_400000_NS6detail17trampoline_kernelINS0_14default_configENS1_38merge_sort_block_merge_config_selectorItNS0_10empty_typeEEEZZNS1_27merge_sort_block_merge_implIS3_PtPS5_jNS1_19radix_merge_compareILb1ELb1EtNS0_19identity_decomposerEEEEE10hipError_tT0_T1_T2_jT3_P12ihipStream_tbPNSt15iterator_traitsISE_E10value_typeEPNSK_ISF_E10value_typeEPSG_NS1_7vsmem_tEENKUlT_SE_SF_SG_E_clIS8_S8_S9_S9_EESD_ST_SE_SF_SG_EUlST_E0_NS1_11comp_targetILNS1_3genE3ELNS1_11target_archE908ELNS1_3gpuE7ELNS1_3repE0EEENS1_38merge_mergepath_config_static_selectorELNS0_4arch9wavefront6targetE0EEEvSF_
    .private_segment_fixed_size: 0
    .sgpr_count:     0
    .sgpr_spill_count: 0
    .symbol:         _ZN7rocprim17ROCPRIM_400000_NS6detail17trampoline_kernelINS0_14default_configENS1_38merge_sort_block_merge_config_selectorItNS0_10empty_typeEEEZZNS1_27merge_sort_block_merge_implIS3_PtPS5_jNS1_19radix_merge_compareILb1ELb1EtNS0_19identity_decomposerEEEEE10hipError_tT0_T1_T2_jT3_P12ihipStream_tbPNSt15iterator_traitsISE_E10value_typeEPNSK_ISF_E10value_typeEPSG_NS1_7vsmem_tEENKUlT_SE_SF_SG_E_clIS8_S8_S9_S9_EESD_ST_SE_SF_SG_EUlST_E0_NS1_11comp_targetILNS1_3genE3ELNS1_11target_archE908ELNS1_3gpuE7ELNS1_3repE0EEENS1_38merge_mergepath_config_static_selectorELNS0_4arch9wavefront6targetE0EEEvSF_.kd
    .uniform_work_group_size: 1
    .uses_dynamic_stack: false
    .vgpr_count:     0
    .vgpr_spill_count: 0
    .wavefront_size: 32
  - .args:
      - .offset:         0
        .size:           64
        .value_kind:     by_value
    .group_segment_fixed_size: 0
    .kernarg_segment_align: 8
    .kernarg_segment_size: 64
    .language:       OpenCL C
    .language_version:
      - 2
      - 0
    .max_flat_workgroup_size: 128
    .name:           _ZN7rocprim17ROCPRIM_400000_NS6detail17trampoline_kernelINS0_14default_configENS1_38merge_sort_block_merge_config_selectorItNS0_10empty_typeEEEZZNS1_27merge_sort_block_merge_implIS3_PtPS5_jNS1_19radix_merge_compareILb1ELb1EtNS0_19identity_decomposerEEEEE10hipError_tT0_T1_T2_jT3_P12ihipStream_tbPNSt15iterator_traitsISE_E10value_typeEPNSK_ISF_E10value_typeEPSG_NS1_7vsmem_tEENKUlT_SE_SF_SG_E_clIS8_S8_S9_S9_EESD_ST_SE_SF_SG_EUlST_E0_NS1_11comp_targetILNS1_3genE2ELNS1_11target_archE906ELNS1_3gpuE6ELNS1_3repE0EEENS1_38merge_mergepath_config_static_selectorELNS0_4arch9wavefront6targetE0EEEvSF_
    .private_segment_fixed_size: 0
    .sgpr_count:     0
    .sgpr_spill_count: 0
    .symbol:         _ZN7rocprim17ROCPRIM_400000_NS6detail17trampoline_kernelINS0_14default_configENS1_38merge_sort_block_merge_config_selectorItNS0_10empty_typeEEEZZNS1_27merge_sort_block_merge_implIS3_PtPS5_jNS1_19radix_merge_compareILb1ELb1EtNS0_19identity_decomposerEEEEE10hipError_tT0_T1_T2_jT3_P12ihipStream_tbPNSt15iterator_traitsISE_E10value_typeEPNSK_ISF_E10value_typeEPSG_NS1_7vsmem_tEENKUlT_SE_SF_SG_E_clIS8_S8_S9_S9_EESD_ST_SE_SF_SG_EUlST_E0_NS1_11comp_targetILNS1_3genE2ELNS1_11target_archE906ELNS1_3gpuE6ELNS1_3repE0EEENS1_38merge_mergepath_config_static_selectorELNS0_4arch9wavefront6targetE0EEEvSF_.kd
    .uniform_work_group_size: 1
    .uses_dynamic_stack: false
    .vgpr_count:     0
    .vgpr_spill_count: 0
    .wavefront_size: 32
  - .args:
      - .offset:         0
        .size:           64
        .value_kind:     by_value
    .group_segment_fixed_size: 0
    .kernarg_segment_align: 8
    .kernarg_segment_size: 64
    .language:       OpenCL C
    .language_version:
      - 2
      - 0
    .max_flat_workgroup_size: 128
    .name:           _ZN7rocprim17ROCPRIM_400000_NS6detail17trampoline_kernelINS0_14default_configENS1_38merge_sort_block_merge_config_selectorItNS0_10empty_typeEEEZZNS1_27merge_sort_block_merge_implIS3_PtPS5_jNS1_19radix_merge_compareILb1ELb1EtNS0_19identity_decomposerEEEEE10hipError_tT0_T1_T2_jT3_P12ihipStream_tbPNSt15iterator_traitsISE_E10value_typeEPNSK_ISF_E10value_typeEPSG_NS1_7vsmem_tEENKUlT_SE_SF_SG_E_clIS8_S8_S9_S9_EESD_ST_SE_SF_SG_EUlST_E0_NS1_11comp_targetILNS1_3genE9ELNS1_11target_archE1100ELNS1_3gpuE3ELNS1_3repE0EEENS1_38merge_mergepath_config_static_selectorELNS0_4arch9wavefront6targetE0EEEvSF_
    .private_segment_fixed_size: 0
    .sgpr_count:     0
    .sgpr_spill_count: 0
    .symbol:         _ZN7rocprim17ROCPRIM_400000_NS6detail17trampoline_kernelINS0_14default_configENS1_38merge_sort_block_merge_config_selectorItNS0_10empty_typeEEEZZNS1_27merge_sort_block_merge_implIS3_PtPS5_jNS1_19radix_merge_compareILb1ELb1EtNS0_19identity_decomposerEEEEE10hipError_tT0_T1_T2_jT3_P12ihipStream_tbPNSt15iterator_traitsISE_E10value_typeEPNSK_ISF_E10value_typeEPSG_NS1_7vsmem_tEENKUlT_SE_SF_SG_E_clIS8_S8_S9_S9_EESD_ST_SE_SF_SG_EUlST_E0_NS1_11comp_targetILNS1_3genE9ELNS1_11target_archE1100ELNS1_3gpuE3ELNS1_3repE0EEENS1_38merge_mergepath_config_static_selectorELNS0_4arch9wavefront6targetE0EEEvSF_.kd
    .uniform_work_group_size: 1
    .uses_dynamic_stack: false
    .vgpr_count:     0
    .vgpr_spill_count: 0
    .wavefront_size: 32
  - .args:
      - .offset:         0
        .size:           64
        .value_kind:     by_value
    .group_segment_fixed_size: 0
    .kernarg_segment_align: 8
    .kernarg_segment_size: 64
    .language:       OpenCL C
    .language_version:
      - 2
      - 0
    .max_flat_workgroup_size: 128
    .name:           _ZN7rocprim17ROCPRIM_400000_NS6detail17trampoline_kernelINS0_14default_configENS1_38merge_sort_block_merge_config_selectorItNS0_10empty_typeEEEZZNS1_27merge_sort_block_merge_implIS3_PtPS5_jNS1_19radix_merge_compareILb1ELb1EtNS0_19identity_decomposerEEEEE10hipError_tT0_T1_T2_jT3_P12ihipStream_tbPNSt15iterator_traitsISE_E10value_typeEPNSK_ISF_E10value_typeEPSG_NS1_7vsmem_tEENKUlT_SE_SF_SG_E_clIS8_S8_S9_S9_EESD_ST_SE_SF_SG_EUlST_E0_NS1_11comp_targetILNS1_3genE8ELNS1_11target_archE1030ELNS1_3gpuE2ELNS1_3repE0EEENS1_38merge_mergepath_config_static_selectorELNS0_4arch9wavefront6targetE0EEEvSF_
    .private_segment_fixed_size: 0
    .sgpr_count:     0
    .sgpr_spill_count: 0
    .symbol:         _ZN7rocprim17ROCPRIM_400000_NS6detail17trampoline_kernelINS0_14default_configENS1_38merge_sort_block_merge_config_selectorItNS0_10empty_typeEEEZZNS1_27merge_sort_block_merge_implIS3_PtPS5_jNS1_19radix_merge_compareILb1ELb1EtNS0_19identity_decomposerEEEEE10hipError_tT0_T1_T2_jT3_P12ihipStream_tbPNSt15iterator_traitsISE_E10value_typeEPNSK_ISF_E10value_typeEPSG_NS1_7vsmem_tEENKUlT_SE_SF_SG_E_clIS8_S8_S9_S9_EESD_ST_SE_SF_SG_EUlST_E0_NS1_11comp_targetILNS1_3genE8ELNS1_11target_archE1030ELNS1_3gpuE2ELNS1_3repE0EEENS1_38merge_mergepath_config_static_selectorELNS0_4arch9wavefront6targetE0EEEvSF_.kd
    .uniform_work_group_size: 1
    .uses_dynamic_stack: false
    .vgpr_count:     0
    .vgpr_spill_count: 0
    .wavefront_size: 32
  - .args:
      - .offset:         0
        .size:           48
        .value_kind:     by_value
    .group_segment_fixed_size: 0
    .kernarg_segment_align: 8
    .kernarg_segment_size: 48
    .language:       OpenCL C
    .language_version:
      - 2
      - 0
    .max_flat_workgroup_size: 256
    .name:           _ZN7rocprim17ROCPRIM_400000_NS6detail17trampoline_kernelINS0_14default_configENS1_38merge_sort_block_merge_config_selectorItNS0_10empty_typeEEEZZNS1_27merge_sort_block_merge_implIS3_PtPS5_jNS1_19radix_merge_compareILb1ELb1EtNS0_19identity_decomposerEEEEE10hipError_tT0_T1_T2_jT3_P12ihipStream_tbPNSt15iterator_traitsISE_E10value_typeEPNSK_ISF_E10value_typeEPSG_NS1_7vsmem_tEENKUlT_SE_SF_SG_E_clIS8_S8_S9_S9_EESD_ST_SE_SF_SG_EUlST_E1_NS1_11comp_targetILNS1_3genE0ELNS1_11target_archE4294967295ELNS1_3gpuE0ELNS1_3repE0EEENS1_36merge_oddeven_config_static_selectorELNS0_4arch9wavefront6targetE0EEEvSF_
    .private_segment_fixed_size: 0
    .sgpr_count:     20
    .sgpr_spill_count: 0
    .symbol:         _ZN7rocprim17ROCPRIM_400000_NS6detail17trampoline_kernelINS0_14default_configENS1_38merge_sort_block_merge_config_selectorItNS0_10empty_typeEEEZZNS1_27merge_sort_block_merge_implIS3_PtPS5_jNS1_19radix_merge_compareILb1ELb1EtNS0_19identity_decomposerEEEEE10hipError_tT0_T1_T2_jT3_P12ihipStream_tbPNSt15iterator_traitsISE_E10value_typeEPNSK_ISF_E10value_typeEPSG_NS1_7vsmem_tEENKUlT_SE_SF_SG_E_clIS8_S8_S9_S9_EESD_ST_SE_SF_SG_EUlST_E1_NS1_11comp_targetILNS1_3genE0ELNS1_11target_archE4294967295ELNS1_3gpuE0ELNS1_3repE0EEENS1_36merge_oddeven_config_static_selectorELNS0_4arch9wavefront6targetE0EEEvSF_.kd
    .uniform_work_group_size: 1
    .uses_dynamic_stack: false
    .vgpr_count:     8
    .vgpr_spill_count: 0
    .wavefront_size: 32
  - .args:
      - .offset:         0
        .size:           48
        .value_kind:     by_value
    .group_segment_fixed_size: 0
    .kernarg_segment_align: 8
    .kernarg_segment_size: 48
    .language:       OpenCL C
    .language_version:
      - 2
      - 0
    .max_flat_workgroup_size: 256
    .name:           _ZN7rocprim17ROCPRIM_400000_NS6detail17trampoline_kernelINS0_14default_configENS1_38merge_sort_block_merge_config_selectorItNS0_10empty_typeEEEZZNS1_27merge_sort_block_merge_implIS3_PtPS5_jNS1_19radix_merge_compareILb1ELb1EtNS0_19identity_decomposerEEEEE10hipError_tT0_T1_T2_jT3_P12ihipStream_tbPNSt15iterator_traitsISE_E10value_typeEPNSK_ISF_E10value_typeEPSG_NS1_7vsmem_tEENKUlT_SE_SF_SG_E_clIS8_S8_S9_S9_EESD_ST_SE_SF_SG_EUlST_E1_NS1_11comp_targetILNS1_3genE10ELNS1_11target_archE1201ELNS1_3gpuE5ELNS1_3repE0EEENS1_36merge_oddeven_config_static_selectorELNS0_4arch9wavefront6targetE0EEEvSF_
    .private_segment_fixed_size: 0
    .sgpr_count:     0
    .sgpr_spill_count: 0
    .symbol:         _ZN7rocprim17ROCPRIM_400000_NS6detail17trampoline_kernelINS0_14default_configENS1_38merge_sort_block_merge_config_selectorItNS0_10empty_typeEEEZZNS1_27merge_sort_block_merge_implIS3_PtPS5_jNS1_19radix_merge_compareILb1ELb1EtNS0_19identity_decomposerEEEEE10hipError_tT0_T1_T2_jT3_P12ihipStream_tbPNSt15iterator_traitsISE_E10value_typeEPNSK_ISF_E10value_typeEPSG_NS1_7vsmem_tEENKUlT_SE_SF_SG_E_clIS8_S8_S9_S9_EESD_ST_SE_SF_SG_EUlST_E1_NS1_11comp_targetILNS1_3genE10ELNS1_11target_archE1201ELNS1_3gpuE5ELNS1_3repE0EEENS1_36merge_oddeven_config_static_selectorELNS0_4arch9wavefront6targetE0EEEvSF_.kd
    .uniform_work_group_size: 1
    .uses_dynamic_stack: false
    .vgpr_count:     0
    .vgpr_spill_count: 0
    .wavefront_size: 32
  - .args:
      - .offset:         0
        .size:           48
        .value_kind:     by_value
    .group_segment_fixed_size: 0
    .kernarg_segment_align: 8
    .kernarg_segment_size: 48
    .language:       OpenCL C
    .language_version:
      - 2
      - 0
    .max_flat_workgroup_size: 256
    .name:           _ZN7rocprim17ROCPRIM_400000_NS6detail17trampoline_kernelINS0_14default_configENS1_38merge_sort_block_merge_config_selectorItNS0_10empty_typeEEEZZNS1_27merge_sort_block_merge_implIS3_PtPS5_jNS1_19radix_merge_compareILb1ELb1EtNS0_19identity_decomposerEEEEE10hipError_tT0_T1_T2_jT3_P12ihipStream_tbPNSt15iterator_traitsISE_E10value_typeEPNSK_ISF_E10value_typeEPSG_NS1_7vsmem_tEENKUlT_SE_SF_SG_E_clIS8_S8_S9_S9_EESD_ST_SE_SF_SG_EUlST_E1_NS1_11comp_targetILNS1_3genE5ELNS1_11target_archE942ELNS1_3gpuE9ELNS1_3repE0EEENS1_36merge_oddeven_config_static_selectorELNS0_4arch9wavefront6targetE0EEEvSF_
    .private_segment_fixed_size: 0
    .sgpr_count:     0
    .sgpr_spill_count: 0
    .symbol:         _ZN7rocprim17ROCPRIM_400000_NS6detail17trampoline_kernelINS0_14default_configENS1_38merge_sort_block_merge_config_selectorItNS0_10empty_typeEEEZZNS1_27merge_sort_block_merge_implIS3_PtPS5_jNS1_19radix_merge_compareILb1ELb1EtNS0_19identity_decomposerEEEEE10hipError_tT0_T1_T2_jT3_P12ihipStream_tbPNSt15iterator_traitsISE_E10value_typeEPNSK_ISF_E10value_typeEPSG_NS1_7vsmem_tEENKUlT_SE_SF_SG_E_clIS8_S8_S9_S9_EESD_ST_SE_SF_SG_EUlST_E1_NS1_11comp_targetILNS1_3genE5ELNS1_11target_archE942ELNS1_3gpuE9ELNS1_3repE0EEENS1_36merge_oddeven_config_static_selectorELNS0_4arch9wavefront6targetE0EEEvSF_.kd
    .uniform_work_group_size: 1
    .uses_dynamic_stack: false
    .vgpr_count:     0
    .vgpr_spill_count: 0
    .wavefront_size: 32
  - .args:
      - .offset:         0
        .size:           48
        .value_kind:     by_value
    .group_segment_fixed_size: 0
    .kernarg_segment_align: 8
    .kernarg_segment_size: 48
    .language:       OpenCL C
    .language_version:
      - 2
      - 0
    .max_flat_workgroup_size: 256
    .name:           _ZN7rocprim17ROCPRIM_400000_NS6detail17trampoline_kernelINS0_14default_configENS1_38merge_sort_block_merge_config_selectorItNS0_10empty_typeEEEZZNS1_27merge_sort_block_merge_implIS3_PtPS5_jNS1_19radix_merge_compareILb1ELb1EtNS0_19identity_decomposerEEEEE10hipError_tT0_T1_T2_jT3_P12ihipStream_tbPNSt15iterator_traitsISE_E10value_typeEPNSK_ISF_E10value_typeEPSG_NS1_7vsmem_tEENKUlT_SE_SF_SG_E_clIS8_S8_S9_S9_EESD_ST_SE_SF_SG_EUlST_E1_NS1_11comp_targetILNS1_3genE4ELNS1_11target_archE910ELNS1_3gpuE8ELNS1_3repE0EEENS1_36merge_oddeven_config_static_selectorELNS0_4arch9wavefront6targetE0EEEvSF_
    .private_segment_fixed_size: 0
    .sgpr_count:     0
    .sgpr_spill_count: 0
    .symbol:         _ZN7rocprim17ROCPRIM_400000_NS6detail17trampoline_kernelINS0_14default_configENS1_38merge_sort_block_merge_config_selectorItNS0_10empty_typeEEEZZNS1_27merge_sort_block_merge_implIS3_PtPS5_jNS1_19radix_merge_compareILb1ELb1EtNS0_19identity_decomposerEEEEE10hipError_tT0_T1_T2_jT3_P12ihipStream_tbPNSt15iterator_traitsISE_E10value_typeEPNSK_ISF_E10value_typeEPSG_NS1_7vsmem_tEENKUlT_SE_SF_SG_E_clIS8_S8_S9_S9_EESD_ST_SE_SF_SG_EUlST_E1_NS1_11comp_targetILNS1_3genE4ELNS1_11target_archE910ELNS1_3gpuE8ELNS1_3repE0EEENS1_36merge_oddeven_config_static_selectorELNS0_4arch9wavefront6targetE0EEEvSF_.kd
    .uniform_work_group_size: 1
    .uses_dynamic_stack: false
    .vgpr_count:     0
    .vgpr_spill_count: 0
    .wavefront_size: 32
  - .args:
      - .offset:         0
        .size:           48
        .value_kind:     by_value
    .group_segment_fixed_size: 0
    .kernarg_segment_align: 8
    .kernarg_segment_size: 48
    .language:       OpenCL C
    .language_version:
      - 2
      - 0
    .max_flat_workgroup_size: 256
    .name:           _ZN7rocprim17ROCPRIM_400000_NS6detail17trampoline_kernelINS0_14default_configENS1_38merge_sort_block_merge_config_selectorItNS0_10empty_typeEEEZZNS1_27merge_sort_block_merge_implIS3_PtPS5_jNS1_19radix_merge_compareILb1ELb1EtNS0_19identity_decomposerEEEEE10hipError_tT0_T1_T2_jT3_P12ihipStream_tbPNSt15iterator_traitsISE_E10value_typeEPNSK_ISF_E10value_typeEPSG_NS1_7vsmem_tEENKUlT_SE_SF_SG_E_clIS8_S8_S9_S9_EESD_ST_SE_SF_SG_EUlST_E1_NS1_11comp_targetILNS1_3genE3ELNS1_11target_archE908ELNS1_3gpuE7ELNS1_3repE0EEENS1_36merge_oddeven_config_static_selectorELNS0_4arch9wavefront6targetE0EEEvSF_
    .private_segment_fixed_size: 0
    .sgpr_count:     0
    .sgpr_spill_count: 0
    .symbol:         _ZN7rocprim17ROCPRIM_400000_NS6detail17trampoline_kernelINS0_14default_configENS1_38merge_sort_block_merge_config_selectorItNS0_10empty_typeEEEZZNS1_27merge_sort_block_merge_implIS3_PtPS5_jNS1_19radix_merge_compareILb1ELb1EtNS0_19identity_decomposerEEEEE10hipError_tT0_T1_T2_jT3_P12ihipStream_tbPNSt15iterator_traitsISE_E10value_typeEPNSK_ISF_E10value_typeEPSG_NS1_7vsmem_tEENKUlT_SE_SF_SG_E_clIS8_S8_S9_S9_EESD_ST_SE_SF_SG_EUlST_E1_NS1_11comp_targetILNS1_3genE3ELNS1_11target_archE908ELNS1_3gpuE7ELNS1_3repE0EEENS1_36merge_oddeven_config_static_selectorELNS0_4arch9wavefront6targetE0EEEvSF_.kd
    .uniform_work_group_size: 1
    .uses_dynamic_stack: false
    .vgpr_count:     0
    .vgpr_spill_count: 0
    .wavefront_size: 32
  - .args:
      - .offset:         0
        .size:           48
        .value_kind:     by_value
    .group_segment_fixed_size: 0
    .kernarg_segment_align: 8
    .kernarg_segment_size: 48
    .language:       OpenCL C
    .language_version:
      - 2
      - 0
    .max_flat_workgroup_size: 256
    .name:           _ZN7rocprim17ROCPRIM_400000_NS6detail17trampoline_kernelINS0_14default_configENS1_38merge_sort_block_merge_config_selectorItNS0_10empty_typeEEEZZNS1_27merge_sort_block_merge_implIS3_PtPS5_jNS1_19radix_merge_compareILb1ELb1EtNS0_19identity_decomposerEEEEE10hipError_tT0_T1_T2_jT3_P12ihipStream_tbPNSt15iterator_traitsISE_E10value_typeEPNSK_ISF_E10value_typeEPSG_NS1_7vsmem_tEENKUlT_SE_SF_SG_E_clIS8_S8_S9_S9_EESD_ST_SE_SF_SG_EUlST_E1_NS1_11comp_targetILNS1_3genE2ELNS1_11target_archE906ELNS1_3gpuE6ELNS1_3repE0EEENS1_36merge_oddeven_config_static_selectorELNS0_4arch9wavefront6targetE0EEEvSF_
    .private_segment_fixed_size: 0
    .sgpr_count:     0
    .sgpr_spill_count: 0
    .symbol:         _ZN7rocprim17ROCPRIM_400000_NS6detail17trampoline_kernelINS0_14default_configENS1_38merge_sort_block_merge_config_selectorItNS0_10empty_typeEEEZZNS1_27merge_sort_block_merge_implIS3_PtPS5_jNS1_19radix_merge_compareILb1ELb1EtNS0_19identity_decomposerEEEEE10hipError_tT0_T1_T2_jT3_P12ihipStream_tbPNSt15iterator_traitsISE_E10value_typeEPNSK_ISF_E10value_typeEPSG_NS1_7vsmem_tEENKUlT_SE_SF_SG_E_clIS8_S8_S9_S9_EESD_ST_SE_SF_SG_EUlST_E1_NS1_11comp_targetILNS1_3genE2ELNS1_11target_archE906ELNS1_3gpuE6ELNS1_3repE0EEENS1_36merge_oddeven_config_static_selectorELNS0_4arch9wavefront6targetE0EEEvSF_.kd
    .uniform_work_group_size: 1
    .uses_dynamic_stack: false
    .vgpr_count:     0
    .vgpr_spill_count: 0
    .wavefront_size: 32
  - .args:
      - .offset:         0
        .size:           48
        .value_kind:     by_value
    .group_segment_fixed_size: 0
    .kernarg_segment_align: 8
    .kernarg_segment_size: 48
    .language:       OpenCL C
    .language_version:
      - 2
      - 0
    .max_flat_workgroup_size: 256
    .name:           _ZN7rocprim17ROCPRIM_400000_NS6detail17trampoline_kernelINS0_14default_configENS1_38merge_sort_block_merge_config_selectorItNS0_10empty_typeEEEZZNS1_27merge_sort_block_merge_implIS3_PtPS5_jNS1_19radix_merge_compareILb1ELb1EtNS0_19identity_decomposerEEEEE10hipError_tT0_T1_T2_jT3_P12ihipStream_tbPNSt15iterator_traitsISE_E10value_typeEPNSK_ISF_E10value_typeEPSG_NS1_7vsmem_tEENKUlT_SE_SF_SG_E_clIS8_S8_S9_S9_EESD_ST_SE_SF_SG_EUlST_E1_NS1_11comp_targetILNS1_3genE9ELNS1_11target_archE1100ELNS1_3gpuE3ELNS1_3repE0EEENS1_36merge_oddeven_config_static_selectorELNS0_4arch9wavefront6targetE0EEEvSF_
    .private_segment_fixed_size: 0
    .sgpr_count:     0
    .sgpr_spill_count: 0
    .symbol:         _ZN7rocprim17ROCPRIM_400000_NS6detail17trampoline_kernelINS0_14default_configENS1_38merge_sort_block_merge_config_selectorItNS0_10empty_typeEEEZZNS1_27merge_sort_block_merge_implIS3_PtPS5_jNS1_19radix_merge_compareILb1ELb1EtNS0_19identity_decomposerEEEEE10hipError_tT0_T1_T2_jT3_P12ihipStream_tbPNSt15iterator_traitsISE_E10value_typeEPNSK_ISF_E10value_typeEPSG_NS1_7vsmem_tEENKUlT_SE_SF_SG_E_clIS8_S8_S9_S9_EESD_ST_SE_SF_SG_EUlST_E1_NS1_11comp_targetILNS1_3genE9ELNS1_11target_archE1100ELNS1_3gpuE3ELNS1_3repE0EEENS1_36merge_oddeven_config_static_selectorELNS0_4arch9wavefront6targetE0EEEvSF_.kd
    .uniform_work_group_size: 1
    .uses_dynamic_stack: false
    .vgpr_count:     0
    .vgpr_spill_count: 0
    .wavefront_size: 32
  - .args:
      - .offset:         0
        .size:           48
        .value_kind:     by_value
    .group_segment_fixed_size: 0
    .kernarg_segment_align: 8
    .kernarg_segment_size: 48
    .language:       OpenCL C
    .language_version:
      - 2
      - 0
    .max_flat_workgroup_size: 256
    .name:           _ZN7rocprim17ROCPRIM_400000_NS6detail17trampoline_kernelINS0_14default_configENS1_38merge_sort_block_merge_config_selectorItNS0_10empty_typeEEEZZNS1_27merge_sort_block_merge_implIS3_PtPS5_jNS1_19radix_merge_compareILb1ELb1EtNS0_19identity_decomposerEEEEE10hipError_tT0_T1_T2_jT3_P12ihipStream_tbPNSt15iterator_traitsISE_E10value_typeEPNSK_ISF_E10value_typeEPSG_NS1_7vsmem_tEENKUlT_SE_SF_SG_E_clIS8_S8_S9_S9_EESD_ST_SE_SF_SG_EUlST_E1_NS1_11comp_targetILNS1_3genE8ELNS1_11target_archE1030ELNS1_3gpuE2ELNS1_3repE0EEENS1_36merge_oddeven_config_static_selectorELNS0_4arch9wavefront6targetE0EEEvSF_
    .private_segment_fixed_size: 0
    .sgpr_count:     0
    .sgpr_spill_count: 0
    .symbol:         _ZN7rocprim17ROCPRIM_400000_NS6detail17trampoline_kernelINS0_14default_configENS1_38merge_sort_block_merge_config_selectorItNS0_10empty_typeEEEZZNS1_27merge_sort_block_merge_implIS3_PtPS5_jNS1_19radix_merge_compareILb1ELb1EtNS0_19identity_decomposerEEEEE10hipError_tT0_T1_T2_jT3_P12ihipStream_tbPNSt15iterator_traitsISE_E10value_typeEPNSK_ISF_E10value_typeEPSG_NS1_7vsmem_tEENKUlT_SE_SF_SG_E_clIS8_S8_S9_S9_EESD_ST_SE_SF_SG_EUlST_E1_NS1_11comp_targetILNS1_3genE8ELNS1_11target_archE1030ELNS1_3gpuE2ELNS1_3repE0EEENS1_36merge_oddeven_config_static_selectorELNS0_4arch9wavefront6targetE0EEEvSF_.kd
    .uniform_work_group_size: 1
    .uses_dynamic_stack: false
    .vgpr_count:     0
    .vgpr_spill_count: 0
    .wavefront_size: 32
  - .args:
      - .offset:         0
        .size:           48
        .value_kind:     by_value
    .group_segment_fixed_size: 8192
    .kernarg_segment_align: 8
    .kernarg_segment_size: 48
    .language:       OpenCL C
    .language_version:
      - 2
      - 0
    .max_flat_workgroup_size: 512
    .name:           _ZN7rocprim17ROCPRIM_400000_NS6detail17trampoline_kernelINS0_14default_configENS1_35radix_sort_onesweep_config_selectorItNS0_10empty_typeEEEZNS1_34radix_sort_onesweep_global_offsetsIS3_Lb1EPKtPS5_mNS0_19identity_decomposerEEE10hipError_tT1_T2_PT3_SF_jT4_jjP12ihipStream_tbEUlT_E_NS1_11comp_targetILNS1_3genE0ELNS1_11target_archE4294967295ELNS1_3gpuE0ELNS1_3repE0EEENS1_52radix_sort_onesweep_histogram_config_static_selectorELNS0_4arch9wavefront6targetE0EEEvSD_
    .private_segment_fixed_size: 0
    .sgpr_count:     15
    .sgpr_spill_count: 0
    .symbol:         _ZN7rocprim17ROCPRIM_400000_NS6detail17trampoline_kernelINS0_14default_configENS1_35radix_sort_onesweep_config_selectorItNS0_10empty_typeEEEZNS1_34radix_sort_onesweep_global_offsetsIS3_Lb1EPKtPS5_mNS0_19identity_decomposerEEE10hipError_tT1_T2_PT3_SF_jT4_jjP12ihipStream_tbEUlT_E_NS1_11comp_targetILNS1_3genE0ELNS1_11target_archE4294967295ELNS1_3gpuE0ELNS1_3repE0EEENS1_52radix_sort_onesweep_histogram_config_static_selectorELNS0_4arch9wavefront6targetE0EEEvSD_.kd
    .uniform_work_group_size: 1
    .uses_dynamic_stack: false
    .vgpr_count:     23
    .vgpr_spill_count: 0
    .wavefront_size: 32
  - .args:
      - .offset:         0
        .size:           48
        .value_kind:     by_value
    .group_segment_fixed_size: 0
    .kernarg_segment_align: 8
    .kernarg_segment_size: 48
    .language:       OpenCL C
    .language_version:
      - 2
      - 0
    .max_flat_workgroup_size: 1024
    .name:           _ZN7rocprim17ROCPRIM_400000_NS6detail17trampoline_kernelINS0_14default_configENS1_35radix_sort_onesweep_config_selectorItNS0_10empty_typeEEEZNS1_34radix_sort_onesweep_global_offsetsIS3_Lb1EPKtPS5_mNS0_19identity_decomposerEEE10hipError_tT1_T2_PT3_SF_jT4_jjP12ihipStream_tbEUlT_E_NS1_11comp_targetILNS1_3genE6ELNS1_11target_archE950ELNS1_3gpuE13ELNS1_3repE0EEENS1_52radix_sort_onesweep_histogram_config_static_selectorELNS0_4arch9wavefront6targetE0EEEvSD_
    .private_segment_fixed_size: 0
    .sgpr_count:     0
    .sgpr_spill_count: 0
    .symbol:         _ZN7rocprim17ROCPRIM_400000_NS6detail17trampoline_kernelINS0_14default_configENS1_35radix_sort_onesweep_config_selectorItNS0_10empty_typeEEEZNS1_34radix_sort_onesweep_global_offsetsIS3_Lb1EPKtPS5_mNS0_19identity_decomposerEEE10hipError_tT1_T2_PT3_SF_jT4_jjP12ihipStream_tbEUlT_E_NS1_11comp_targetILNS1_3genE6ELNS1_11target_archE950ELNS1_3gpuE13ELNS1_3repE0EEENS1_52radix_sort_onesweep_histogram_config_static_selectorELNS0_4arch9wavefront6targetE0EEEvSD_.kd
    .uniform_work_group_size: 1
    .uses_dynamic_stack: false
    .vgpr_count:     0
    .vgpr_spill_count: 0
    .wavefront_size: 32
  - .args:
      - .offset:         0
        .size:           48
        .value_kind:     by_value
    .group_segment_fixed_size: 0
    .kernarg_segment_align: 8
    .kernarg_segment_size: 48
    .language:       OpenCL C
    .language_version:
      - 2
      - 0
    .max_flat_workgroup_size: 1024
    .name:           _ZN7rocprim17ROCPRIM_400000_NS6detail17trampoline_kernelINS0_14default_configENS1_35radix_sort_onesweep_config_selectorItNS0_10empty_typeEEEZNS1_34radix_sort_onesweep_global_offsetsIS3_Lb1EPKtPS5_mNS0_19identity_decomposerEEE10hipError_tT1_T2_PT3_SF_jT4_jjP12ihipStream_tbEUlT_E_NS1_11comp_targetILNS1_3genE5ELNS1_11target_archE942ELNS1_3gpuE9ELNS1_3repE0EEENS1_52radix_sort_onesweep_histogram_config_static_selectorELNS0_4arch9wavefront6targetE0EEEvSD_
    .private_segment_fixed_size: 0
    .sgpr_count:     0
    .sgpr_spill_count: 0
    .symbol:         _ZN7rocprim17ROCPRIM_400000_NS6detail17trampoline_kernelINS0_14default_configENS1_35radix_sort_onesweep_config_selectorItNS0_10empty_typeEEEZNS1_34radix_sort_onesweep_global_offsetsIS3_Lb1EPKtPS5_mNS0_19identity_decomposerEEE10hipError_tT1_T2_PT3_SF_jT4_jjP12ihipStream_tbEUlT_E_NS1_11comp_targetILNS1_3genE5ELNS1_11target_archE942ELNS1_3gpuE9ELNS1_3repE0EEENS1_52radix_sort_onesweep_histogram_config_static_selectorELNS0_4arch9wavefront6targetE0EEEvSD_.kd
    .uniform_work_group_size: 1
    .uses_dynamic_stack: false
    .vgpr_count:     0
    .vgpr_spill_count: 0
    .wavefront_size: 32
  - .args:
      - .offset:         0
        .size:           48
        .value_kind:     by_value
    .group_segment_fixed_size: 0
    .kernarg_segment_align: 8
    .kernarg_segment_size: 48
    .language:       OpenCL C
    .language_version:
      - 2
      - 0
    .max_flat_workgroup_size: 512
    .name:           _ZN7rocprim17ROCPRIM_400000_NS6detail17trampoline_kernelINS0_14default_configENS1_35radix_sort_onesweep_config_selectorItNS0_10empty_typeEEEZNS1_34radix_sort_onesweep_global_offsetsIS3_Lb1EPKtPS5_mNS0_19identity_decomposerEEE10hipError_tT1_T2_PT3_SF_jT4_jjP12ihipStream_tbEUlT_E_NS1_11comp_targetILNS1_3genE2ELNS1_11target_archE906ELNS1_3gpuE6ELNS1_3repE0EEENS1_52radix_sort_onesweep_histogram_config_static_selectorELNS0_4arch9wavefront6targetE0EEEvSD_
    .private_segment_fixed_size: 0
    .sgpr_count:     0
    .sgpr_spill_count: 0
    .symbol:         _ZN7rocprim17ROCPRIM_400000_NS6detail17trampoline_kernelINS0_14default_configENS1_35radix_sort_onesweep_config_selectorItNS0_10empty_typeEEEZNS1_34radix_sort_onesweep_global_offsetsIS3_Lb1EPKtPS5_mNS0_19identity_decomposerEEE10hipError_tT1_T2_PT3_SF_jT4_jjP12ihipStream_tbEUlT_E_NS1_11comp_targetILNS1_3genE2ELNS1_11target_archE906ELNS1_3gpuE6ELNS1_3repE0EEENS1_52radix_sort_onesweep_histogram_config_static_selectorELNS0_4arch9wavefront6targetE0EEEvSD_.kd
    .uniform_work_group_size: 1
    .uses_dynamic_stack: false
    .vgpr_count:     0
    .vgpr_spill_count: 0
    .wavefront_size: 32
  - .args:
      - .offset:         0
        .size:           48
        .value_kind:     by_value
    .group_segment_fixed_size: 0
    .kernarg_segment_align: 8
    .kernarg_segment_size: 48
    .language:       OpenCL C
    .language_version:
      - 2
      - 0
    .max_flat_workgroup_size: 1024
    .name:           _ZN7rocprim17ROCPRIM_400000_NS6detail17trampoline_kernelINS0_14default_configENS1_35radix_sort_onesweep_config_selectorItNS0_10empty_typeEEEZNS1_34radix_sort_onesweep_global_offsetsIS3_Lb1EPKtPS5_mNS0_19identity_decomposerEEE10hipError_tT1_T2_PT3_SF_jT4_jjP12ihipStream_tbEUlT_E_NS1_11comp_targetILNS1_3genE4ELNS1_11target_archE910ELNS1_3gpuE8ELNS1_3repE0EEENS1_52radix_sort_onesweep_histogram_config_static_selectorELNS0_4arch9wavefront6targetE0EEEvSD_
    .private_segment_fixed_size: 0
    .sgpr_count:     0
    .sgpr_spill_count: 0
    .symbol:         _ZN7rocprim17ROCPRIM_400000_NS6detail17trampoline_kernelINS0_14default_configENS1_35radix_sort_onesweep_config_selectorItNS0_10empty_typeEEEZNS1_34radix_sort_onesweep_global_offsetsIS3_Lb1EPKtPS5_mNS0_19identity_decomposerEEE10hipError_tT1_T2_PT3_SF_jT4_jjP12ihipStream_tbEUlT_E_NS1_11comp_targetILNS1_3genE4ELNS1_11target_archE910ELNS1_3gpuE8ELNS1_3repE0EEENS1_52radix_sort_onesweep_histogram_config_static_selectorELNS0_4arch9wavefront6targetE0EEEvSD_.kd
    .uniform_work_group_size: 1
    .uses_dynamic_stack: false
    .vgpr_count:     0
    .vgpr_spill_count: 0
    .wavefront_size: 32
  - .args:
      - .offset:         0
        .size:           48
        .value_kind:     by_value
    .group_segment_fixed_size: 0
    .kernarg_segment_align: 8
    .kernarg_segment_size: 48
    .language:       OpenCL C
    .language_version:
      - 2
      - 0
    .max_flat_workgroup_size: 512
    .name:           _ZN7rocprim17ROCPRIM_400000_NS6detail17trampoline_kernelINS0_14default_configENS1_35radix_sort_onesweep_config_selectorItNS0_10empty_typeEEEZNS1_34radix_sort_onesweep_global_offsetsIS3_Lb1EPKtPS5_mNS0_19identity_decomposerEEE10hipError_tT1_T2_PT3_SF_jT4_jjP12ihipStream_tbEUlT_E_NS1_11comp_targetILNS1_3genE3ELNS1_11target_archE908ELNS1_3gpuE7ELNS1_3repE0EEENS1_52radix_sort_onesweep_histogram_config_static_selectorELNS0_4arch9wavefront6targetE0EEEvSD_
    .private_segment_fixed_size: 0
    .sgpr_count:     0
    .sgpr_spill_count: 0
    .symbol:         _ZN7rocprim17ROCPRIM_400000_NS6detail17trampoline_kernelINS0_14default_configENS1_35radix_sort_onesweep_config_selectorItNS0_10empty_typeEEEZNS1_34radix_sort_onesweep_global_offsetsIS3_Lb1EPKtPS5_mNS0_19identity_decomposerEEE10hipError_tT1_T2_PT3_SF_jT4_jjP12ihipStream_tbEUlT_E_NS1_11comp_targetILNS1_3genE3ELNS1_11target_archE908ELNS1_3gpuE7ELNS1_3repE0EEENS1_52radix_sort_onesweep_histogram_config_static_selectorELNS0_4arch9wavefront6targetE0EEEvSD_.kd
    .uniform_work_group_size: 1
    .uses_dynamic_stack: false
    .vgpr_count:     0
    .vgpr_spill_count: 0
    .wavefront_size: 32
  - .args:
      - .offset:         0
        .size:           48
        .value_kind:     by_value
    .group_segment_fixed_size: 0
    .kernarg_segment_align: 8
    .kernarg_segment_size: 48
    .language:       OpenCL C
    .language_version:
      - 2
      - 0
    .max_flat_workgroup_size: 256
    .name:           _ZN7rocprim17ROCPRIM_400000_NS6detail17trampoline_kernelINS0_14default_configENS1_35radix_sort_onesweep_config_selectorItNS0_10empty_typeEEEZNS1_34radix_sort_onesweep_global_offsetsIS3_Lb1EPKtPS5_mNS0_19identity_decomposerEEE10hipError_tT1_T2_PT3_SF_jT4_jjP12ihipStream_tbEUlT_E_NS1_11comp_targetILNS1_3genE10ELNS1_11target_archE1201ELNS1_3gpuE5ELNS1_3repE0EEENS1_52radix_sort_onesweep_histogram_config_static_selectorELNS0_4arch9wavefront6targetE0EEEvSD_
    .private_segment_fixed_size: 0
    .sgpr_count:     0
    .sgpr_spill_count: 0
    .symbol:         _ZN7rocprim17ROCPRIM_400000_NS6detail17trampoline_kernelINS0_14default_configENS1_35radix_sort_onesweep_config_selectorItNS0_10empty_typeEEEZNS1_34radix_sort_onesweep_global_offsetsIS3_Lb1EPKtPS5_mNS0_19identity_decomposerEEE10hipError_tT1_T2_PT3_SF_jT4_jjP12ihipStream_tbEUlT_E_NS1_11comp_targetILNS1_3genE10ELNS1_11target_archE1201ELNS1_3gpuE5ELNS1_3repE0EEENS1_52radix_sort_onesweep_histogram_config_static_selectorELNS0_4arch9wavefront6targetE0EEEvSD_.kd
    .uniform_work_group_size: 1
    .uses_dynamic_stack: false
    .vgpr_count:     0
    .vgpr_spill_count: 0
    .wavefront_size: 32
  - .args:
      - .offset:         0
        .size:           48
        .value_kind:     by_value
    .group_segment_fixed_size: 0
    .kernarg_segment_align: 8
    .kernarg_segment_size: 48
    .language:       OpenCL C
    .language_version:
      - 2
      - 0
    .max_flat_workgroup_size: 256
    .name:           _ZN7rocprim17ROCPRIM_400000_NS6detail17trampoline_kernelINS0_14default_configENS1_35radix_sort_onesweep_config_selectorItNS0_10empty_typeEEEZNS1_34radix_sort_onesweep_global_offsetsIS3_Lb1EPKtPS5_mNS0_19identity_decomposerEEE10hipError_tT1_T2_PT3_SF_jT4_jjP12ihipStream_tbEUlT_E_NS1_11comp_targetILNS1_3genE9ELNS1_11target_archE1100ELNS1_3gpuE3ELNS1_3repE0EEENS1_52radix_sort_onesweep_histogram_config_static_selectorELNS0_4arch9wavefront6targetE0EEEvSD_
    .private_segment_fixed_size: 0
    .sgpr_count:     0
    .sgpr_spill_count: 0
    .symbol:         _ZN7rocprim17ROCPRIM_400000_NS6detail17trampoline_kernelINS0_14default_configENS1_35radix_sort_onesweep_config_selectorItNS0_10empty_typeEEEZNS1_34radix_sort_onesweep_global_offsetsIS3_Lb1EPKtPS5_mNS0_19identity_decomposerEEE10hipError_tT1_T2_PT3_SF_jT4_jjP12ihipStream_tbEUlT_E_NS1_11comp_targetILNS1_3genE9ELNS1_11target_archE1100ELNS1_3gpuE3ELNS1_3repE0EEENS1_52radix_sort_onesweep_histogram_config_static_selectorELNS0_4arch9wavefront6targetE0EEEvSD_.kd
    .uniform_work_group_size: 1
    .uses_dynamic_stack: false
    .vgpr_count:     0
    .vgpr_spill_count: 0
    .wavefront_size: 32
  - .args:
      - .offset:         0
        .size:           48
        .value_kind:     by_value
    .group_segment_fixed_size: 0
    .kernarg_segment_align: 8
    .kernarg_segment_size: 48
    .language:       OpenCL C
    .language_version:
      - 2
      - 0
    .max_flat_workgroup_size: 256
    .name:           _ZN7rocprim17ROCPRIM_400000_NS6detail17trampoline_kernelINS0_14default_configENS1_35radix_sort_onesweep_config_selectorItNS0_10empty_typeEEEZNS1_34radix_sort_onesweep_global_offsetsIS3_Lb1EPKtPS5_mNS0_19identity_decomposerEEE10hipError_tT1_T2_PT3_SF_jT4_jjP12ihipStream_tbEUlT_E_NS1_11comp_targetILNS1_3genE8ELNS1_11target_archE1030ELNS1_3gpuE2ELNS1_3repE0EEENS1_52radix_sort_onesweep_histogram_config_static_selectorELNS0_4arch9wavefront6targetE0EEEvSD_
    .private_segment_fixed_size: 0
    .sgpr_count:     0
    .sgpr_spill_count: 0
    .symbol:         _ZN7rocprim17ROCPRIM_400000_NS6detail17trampoline_kernelINS0_14default_configENS1_35radix_sort_onesweep_config_selectorItNS0_10empty_typeEEEZNS1_34radix_sort_onesweep_global_offsetsIS3_Lb1EPKtPS5_mNS0_19identity_decomposerEEE10hipError_tT1_T2_PT3_SF_jT4_jjP12ihipStream_tbEUlT_E_NS1_11comp_targetILNS1_3genE8ELNS1_11target_archE1030ELNS1_3gpuE2ELNS1_3repE0EEENS1_52radix_sort_onesweep_histogram_config_static_selectorELNS0_4arch9wavefront6targetE0EEEvSD_.kd
    .uniform_work_group_size: 1
    .uses_dynamic_stack: false
    .vgpr_count:     0
    .vgpr_spill_count: 0
    .wavefront_size: 32
  - .args:
      - .address_space:  global
        .offset:         0
        .size:           8
        .value_kind:     global_buffer
    .group_segment_fixed_size: 128
    .kernarg_segment_align: 8
    .kernarg_segment_size: 8
    .language:       OpenCL C
    .language_version:
      - 2
      - 0
    .max_flat_workgroup_size: 512
    .name:           _ZN7rocprim17ROCPRIM_400000_NS6detail17trampoline_kernelINS0_14default_configENS1_35radix_sort_onesweep_config_selectorItNS0_10empty_typeEEEZNS1_34radix_sort_onesweep_global_offsetsIS3_Lb1EPKtPS5_mNS0_19identity_decomposerEEE10hipError_tT1_T2_PT3_SF_jT4_jjP12ihipStream_tbEUlT_E0_NS1_11comp_targetILNS1_3genE0ELNS1_11target_archE4294967295ELNS1_3gpuE0ELNS1_3repE0EEENS1_52radix_sort_onesweep_histogram_config_static_selectorELNS0_4arch9wavefront6targetE0EEEvSD_
    .private_segment_fixed_size: 0
    .sgpr_count:     10
    .sgpr_spill_count: 0
    .symbol:         _ZN7rocprim17ROCPRIM_400000_NS6detail17trampoline_kernelINS0_14default_configENS1_35radix_sort_onesweep_config_selectorItNS0_10empty_typeEEEZNS1_34radix_sort_onesweep_global_offsetsIS3_Lb1EPKtPS5_mNS0_19identity_decomposerEEE10hipError_tT1_T2_PT3_SF_jT4_jjP12ihipStream_tbEUlT_E0_NS1_11comp_targetILNS1_3genE0ELNS1_11target_archE4294967295ELNS1_3gpuE0ELNS1_3repE0EEENS1_52radix_sort_onesweep_histogram_config_static_selectorELNS0_4arch9wavefront6targetE0EEEvSD_.kd
    .uniform_work_group_size: 1
    .uses_dynamic_stack: false
    .vgpr_count:     14
    .vgpr_spill_count: 0
    .wavefront_size: 32
  - .args:
      - .address_space:  global
        .offset:         0
        .size:           8
        .value_kind:     global_buffer
    .group_segment_fixed_size: 0
    .kernarg_segment_align: 8
    .kernarg_segment_size: 8
    .language:       OpenCL C
    .language_version:
      - 2
      - 0
    .max_flat_workgroup_size: 1024
    .name:           _ZN7rocprim17ROCPRIM_400000_NS6detail17trampoline_kernelINS0_14default_configENS1_35radix_sort_onesweep_config_selectorItNS0_10empty_typeEEEZNS1_34radix_sort_onesweep_global_offsetsIS3_Lb1EPKtPS5_mNS0_19identity_decomposerEEE10hipError_tT1_T2_PT3_SF_jT4_jjP12ihipStream_tbEUlT_E0_NS1_11comp_targetILNS1_3genE6ELNS1_11target_archE950ELNS1_3gpuE13ELNS1_3repE0EEENS1_52radix_sort_onesweep_histogram_config_static_selectorELNS0_4arch9wavefront6targetE0EEEvSD_
    .private_segment_fixed_size: 0
    .sgpr_count:     0
    .sgpr_spill_count: 0
    .symbol:         _ZN7rocprim17ROCPRIM_400000_NS6detail17trampoline_kernelINS0_14default_configENS1_35radix_sort_onesweep_config_selectorItNS0_10empty_typeEEEZNS1_34radix_sort_onesweep_global_offsetsIS3_Lb1EPKtPS5_mNS0_19identity_decomposerEEE10hipError_tT1_T2_PT3_SF_jT4_jjP12ihipStream_tbEUlT_E0_NS1_11comp_targetILNS1_3genE6ELNS1_11target_archE950ELNS1_3gpuE13ELNS1_3repE0EEENS1_52radix_sort_onesweep_histogram_config_static_selectorELNS0_4arch9wavefront6targetE0EEEvSD_.kd
    .uniform_work_group_size: 1
    .uses_dynamic_stack: false
    .vgpr_count:     0
    .vgpr_spill_count: 0
    .wavefront_size: 32
  - .args:
      - .address_space:  global
        .offset:         0
        .size:           8
        .value_kind:     global_buffer
    .group_segment_fixed_size: 0
    .kernarg_segment_align: 8
    .kernarg_segment_size: 8
    .language:       OpenCL C
    .language_version:
      - 2
      - 0
    .max_flat_workgroup_size: 1024
    .name:           _ZN7rocprim17ROCPRIM_400000_NS6detail17trampoline_kernelINS0_14default_configENS1_35radix_sort_onesweep_config_selectorItNS0_10empty_typeEEEZNS1_34radix_sort_onesweep_global_offsetsIS3_Lb1EPKtPS5_mNS0_19identity_decomposerEEE10hipError_tT1_T2_PT3_SF_jT4_jjP12ihipStream_tbEUlT_E0_NS1_11comp_targetILNS1_3genE5ELNS1_11target_archE942ELNS1_3gpuE9ELNS1_3repE0EEENS1_52radix_sort_onesweep_histogram_config_static_selectorELNS0_4arch9wavefront6targetE0EEEvSD_
    .private_segment_fixed_size: 0
    .sgpr_count:     0
    .sgpr_spill_count: 0
    .symbol:         _ZN7rocprim17ROCPRIM_400000_NS6detail17trampoline_kernelINS0_14default_configENS1_35radix_sort_onesweep_config_selectorItNS0_10empty_typeEEEZNS1_34radix_sort_onesweep_global_offsetsIS3_Lb1EPKtPS5_mNS0_19identity_decomposerEEE10hipError_tT1_T2_PT3_SF_jT4_jjP12ihipStream_tbEUlT_E0_NS1_11comp_targetILNS1_3genE5ELNS1_11target_archE942ELNS1_3gpuE9ELNS1_3repE0EEENS1_52radix_sort_onesweep_histogram_config_static_selectorELNS0_4arch9wavefront6targetE0EEEvSD_.kd
    .uniform_work_group_size: 1
    .uses_dynamic_stack: false
    .vgpr_count:     0
    .vgpr_spill_count: 0
    .wavefront_size: 32
  - .args:
      - .address_space:  global
        .offset:         0
        .size:           8
        .value_kind:     global_buffer
    .group_segment_fixed_size: 0
    .kernarg_segment_align: 8
    .kernarg_segment_size: 8
    .language:       OpenCL C
    .language_version:
      - 2
      - 0
    .max_flat_workgroup_size: 512
    .name:           _ZN7rocprim17ROCPRIM_400000_NS6detail17trampoline_kernelINS0_14default_configENS1_35radix_sort_onesweep_config_selectorItNS0_10empty_typeEEEZNS1_34radix_sort_onesweep_global_offsetsIS3_Lb1EPKtPS5_mNS0_19identity_decomposerEEE10hipError_tT1_T2_PT3_SF_jT4_jjP12ihipStream_tbEUlT_E0_NS1_11comp_targetILNS1_3genE2ELNS1_11target_archE906ELNS1_3gpuE6ELNS1_3repE0EEENS1_52radix_sort_onesweep_histogram_config_static_selectorELNS0_4arch9wavefront6targetE0EEEvSD_
    .private_segment_fixed_size: 0
    .sgpr_count:     0
    .sgpr_spill_count: 0
    .symbol:         _ZN7rocprim17ROCPRIM_400000_NS6detail17trampoline_kernelINS0_14default_configENS1_35radix_sort_onesweep_config_selectorItNS0_10empty_typeEEEZNS1_34radix_sort_onesweep_global_offsetsIS3_Lb1EPKtPS5_mNS0_19identity_decomposerEEE10hipError_tT1_T2_PT3_SF_jT4_jjP12ihipStream_tbEUlT_E0_NS1_11comp_targetILNS1_3genE2ELNS1_11target_archE906ELNS1_3gpuE6ELNS1_3repE0EEENS1_52radix_sort_onesweep_histogram_config_static_selectorELNS0_4arch9wavefront6targetE0EEEvSD_.kd
    .uniform_work_group_size: 1
    .uses_dynamic_stack: false
    .vgpr_count:     0
    .vgpr_spill_count: 0
    .wavefront_size: 32
  - .args:
      - .address_space:  global
        .offset:         0
        .size:           8
        .value_kind:     global_buffer
    .group_segment_fixed_size: 0
    .kernarg_segment_align: 8
    .kernarg_segment_size: 8
    .language:       OpenCL C
    .language_version:
      - 2
      - 0
    .max_flat_workgroup_size: 1024
    .name:           _ZN7rocprim17ROCPRIM_400000_NS6detail17trampoline_kernelINS0_14default_configENS1_35radix_sort_onesweep_config_selectorItNS0_10empty_typeEEEZNS1_34radix_sort_onesweep_global_offsetsIS3_Lb1EPKtPS5_mNS0_19identity_decomposerEEE10hipError_tT1_T2_PT3_SF_jT4_jjP12ihipStream_tbEUlT_E0_NS1_11comp_targetILNS1_3genE4ELNS1_11target_archE910ELNS1_3gpuE8ELNS1_3repE0EEENS1_52radix_sort_onesweep_histogram_config_static_selectorELNS0_4arch9wavefront6targetE0EEEvSD_
    .private_segment_fixed_size: 0
    .sgpr_count:     0
    .sgpr_spill_count: 0
    .symbol:         _ZN7rocprim17ROCPRIM_400000_NS6detail17trampoline_kernelINS0_14default_configENS1_35radix_sort_onesweep_config_selectorItNS0_10empty_typeEEEZNS1_34radix_sort_onesweep_global_offsetsIS3_Lb1EPKtPS5_mNS0_19identity_decomposerEEE10hipError_tT1_T2_PT3_SF_jT4_jjP12ihipStream_tbEUlT_E0_NS1_11comp_targetILNS1_3genE4ELNS1_11target_archE910ELNS1_3gpuE8ELNS1_3repE0EEENS1_52radix_sort_onesweep_histogram_config_static_selectorELNS0_4arch9wavefront6targetE0EEEvSD_.kd
    .uniform_work_group_size: 1
    .uses_dynamic_stack: false
    .vgpr_count:     0
    .vgpr_spill_count: 0
    .wavefront_size: 32
  - .args:
      - .address_space:  global
        .offset:         0
        .size:           8
        .value_kind:     global_buffer
    .group_segment_fixed_size: 0
    .kernarg_segment_align: 8
    .kernarg_segment_size: 8
    .language:       OpenCL C
    .language_version:
      - 2
      - 0
    .max_flat_workgroup_size: 512
    .name:           _ZN7rocprim17ROCPRIM_400000_NS6detail17trampoline_kernelINS0_14default_configENS1_35radix_sort_onesweep_config_selectorItNS0_10empty_typeEEEZNS1_34radix_sort_onesweep_global_offsetsIS3_Lb1EPKtPS5_mNS0_19identity_decomposerEEE10hipError_tT1_T2_PT3_SF_jT4_jjP12ihipStream_tbEUlT_E0_NS1_11comp_targetILNS1_3genE3ELNS1_11target_archE908ELNS1_3gpuE7ELNS1_3repE0EEENS1_52radix_sort_onesweep_histogram_config_static_selectorELNS0_4arch9wavefront6targetE0EEEvSD_
    .private_segment_fixed_size: 0
    .sgpr_count:     0
    .sgpr_spill_count: 0
    .symbol:         _ZN7rocprim17ROCPRIM_400000_NS6detail17trampoline_kernelINS0_14default_configENS1_35radix_sort_onesweep_config_selectorItNS0_10empty_typeEEEZNS1_34radix_sort_onesweep_global_offsetsIS3_Lb1EPKtPS5_mNS0_19identity_decomposerEEE10hipError_tT1_T2_PT3_SF_jT4_jjP12ihipStream_tbEUlT_E0_NS1_11comp_targetILNS1_3genE3ELNS1_11target_archE908ELNS1_3gpuE7ELNS1_3repE0EEENS1_52radix_sort_onesweep_histogram_config_static_selectorELNS0_4arch9wavefront6targetE0EEEvSD_.kd
    .uniform_work_group_size: 1
    .uses_dynamic_stack: false
    .vgpr_count:     0
    .vgpr_spill_count: 0
    .wavefront_size: 32
  - .args:
      - .address_space:  global
        .offset:         0
        .size:           8
        .value_kind:     global_buffer
    .group_segment_fixed_size: 0
    .kernarg_segment_align: 8
    .kernarg_segment_size: 8
    .language:       OpenCL C
    .language_version:
      - 2
      - 0
    .max_flat_workgroup_size: 256
    .name:           _ZN7rocprim17ROCPRIM_400000_NS6detail17trampoline_kernelINS0_14default_configENS1_35radix_sort_onesweep_config_selectorItNS0_10empty_typeEEEZNS1_34radix_sort_onesweep_global_offsetsIS3_Lb1EPKtPS5_mNS0_19identity_decomposerEEE10hipError_tT1_T2_PT3_SF_jT4_jjP12ihipStream_tbEUlT_E0_NS1_11comp_targetILNS1_3genE10ELNS1_11target_archE1201ELNS1_3gpuE5ELNS1_3repE0EEENS1_52radix_sort_onesweep_histogram_config_static_selectorELNS0_4arch9wavefront6targetE0EEEvSD_
    .private_segment_fixed_size: 0
    .sgpr_count:     0
    .sgpr_spill_count: 0
    .symbol:         _ZN7rocprim17ROCPRIM_400000_NS6detail17trampoline_kernelINS0_14default_configENS1_35radix_sort_onesweep_config_selectorItNS0_10empty_typeEEEZNS1_34radix_sort_onesweep_global_offsetsIS3_Lb1EPKtPS5_mNS0_19identity_decomposerEEE10hipError_tT1_T2_PT3_SF_jT4_jjP12ihipStream_tbEUlT_E0_NS1_11comp_targetILNS1_3genE10ELNS1_11target_archE1201ELNS1_3gpuE5ELNS1_3repE0EEENS1_52radix_sort_onesweep_histogram_config_static_selectorELNS0_4arch9wavefront6targetE0EEEvSD_.kd
    .uniform_work_group_size: 1
    .uses_dynamic_stack: false
    .vgpr_count:     0
    .vgpr_spill_count: 0
    .wavefront_size: 32
  - .args:
      - .address_space:  global
        .offset:         0
        .size:           8
        .value_kind:     global_buffer
    .group_segment_fixed_size: 0
    .kernarg_segment_align: 8
    .kernarg_segment_size: 8
    .language:       OpenCL C
    .language_version:
      - 2
      - 0
    .max_flat_workgroup_size: 256
    .name:           _ZN7rocprim17ROCPRIM_400000_NS6detail17trampoline_kernelINS0_14default_configENS1_35radix_sort_onesweep_config_selectorItNS0_10empty_typeEEEZNS1_34radix_sort_onesweep_global_offsetsIS3_Lb1EPKtPS5_mNS0_19identity_decomposerEEE10hipError_tT1_T2_PT3_SF_jT4_jjP12ihipStream_tbEUlT_E0_NS1_11comp_targetILNS1_3genE9ELNS1_11target_archE1100ELNS1_3gpuE3ELNS1_3repE0EEENS1_52radix_sort_onesweep_histogram_config_static_selectorELNS0_4arch9wavefront6targetE0EEEvSD_
    .private_segment_fixed_size: 0
    .sgpr_count:     0
    .sgpr_spill_count: 0
    .symbol:         _ZN7rocprim17ROCPRIM_400000_NS6detail17trampoline_kernelINS0_14default_configENS1_35radix_sort_onesweep_config_selectorItNS0_10empty_typeEEEZNS1_34radix_sort_onesweep_global_offsetsIS3_Lb1EPKtPS5_mNS0_19identity_decomposerEEE10hipError_tT1_T2_PT3_SF_jT4_jjP12ihipStream_tbEUlT_E0_NS1_11comp_targetILNS1_3genE9ELNS1_11target_archE1100ELNS1_3gpuE3ELNS1_3repE0EEENS1_52radix_sort_onesweep_histogram_config_static_selectorELNS0_4arch9wavefront6targetE0EEEvSD_.kd
    .uniform_work_group_size: 1
    .uses_dynamic_stack: false
    .vgpr_count:     0
    .vgpr_spill_count: 0
    .wavefront_size: 32
  - .args:
      - .address_space:  global
        .offset:         0
        .size:           8
        .value_kind:     global_buffer
    .group_segment_fixed_size: 0
    .kernarg_segment_align: 8
    .kernarg_segment_size: 8
    .language:       OpenCL C
    .language_version:
      - 2
      - 0
    .max_flat_workgroup_size: 256
    .name:           _ZN7rocprim17ROCPRIM_400000_NS6detail17trampoline_kernelINS0_14default_configENS1_35radix_sort_onesweep_config_selectorItNS0_10empty_typeEEEZNS1_34radix_sort_onesweep_global_offsetsIS3_Lb1EPKtPS5_mNS0_19identity_decomposerEEE10hipError_tT1_T2_PT3_SF_jT4_jjP12ihipStream_tbEUlT_E0_NS1_11comp_targetILNS1_3genE8ELNS1_11target_archE1030ELNS1_3gpuE2ELNS1_3repE0EEENS1_52radix_sort_onesweep_histogram_config_static_selectorELNS0_4arch9wavefront6targetE0EEEvSD_
    .private_segment_fixed_size: 0
    .sgpr_count:     0
    .sgpr_spill_count: 0
    .symbol:         _ZN7rocprim17ROCPRIM_400000_NS6detail17trampoline_kernelINS0_14default_configENS1_35radix_sort_onesweep_config_selectorItNS0_10empty_typeEEEZNS1_34radix_sort_onesweep_global_offsetsIS3_Lb1EPKtPS5_mNS0_19identity_decomposerEEE10hipError_tT1_T2_PT3_SF_jT4_jjP12ihipStream_tbEUlT_E0_NS1_11comp_targetILNS1_3genE8ELNS1_11target_archE1030ELNS1_3gpuE2ELNS1_3repE0EEENS1_52radix_sort_onesweep_histogram_config_static_selectorELNS0_4arch9wavefront6targetE0EEEvSD_.kd
    .uniform_work_group_size: 1
    .uses_dynamic_stack: false
    .vgpr_count:     0
    .vgpr_spill_count: 0
    .wavefront_size: 32
  - .args:
      - .offset:         0
        .size:           40
        .value_kind:     by_value
      - .offset:         40
        .size:           4
        .value_kind:     hidden_block_count_x
      - .offset:         44
        .size:           4
        .value_kind:     hidden_block_count_y
      - .offset:         48
        .size:           4
        .value_kind:     hidden_block_count_z
      - .offset:         52
        .size:           2
        .value_kind:     hidden_group_size_x
      - .offset:         54
        .size:           2
        .value_kind:     hidden_group_size_y
      - .offset:         56
        .size:           2
        .value_kind:     hidden_group_size_z
      - .offset:         58
        .size:           2
        .value_kind:     hidden_remainder_x
      - .offset:         60
        .size:           2
        .value_kind:     hidden_remainder_y
      - .offset:         62
        .size:           2
        .value_kind:     hidden_remainder_z
      - .offset:         80
        .size:           8
        .value_kind:     hidden_global_offset_x
      - .offset:         88
        .size:           8
        .value_kind:     hidden_global_offset_y
      - .offset:         96
        .size:           8
        .value_kind:     hidden_global_offset_z
      - .offset:         104
        .size:           2
        .value_kind:     hidden_grid_dims
    .group_segment_fixed_size: 0
    .kernarg_segment_align: 8
    .kernarg_segment_size: 296
    .language:       OpenCL C
    .language_version:
      - 2
      - 0
    .max_flat_workgroup_size: 128
    .name:           _ZN7rocprim17ROCPRIM_400000_NS6detail17trampoline_kernelINS0_14default_configENS1_25transform_config_selectorItLb1EEEZNS1_14transform_implILb1ES3_S5_PKtPtNS0_8identityItEEEE10hipError_tT2_T3_mT4_P12ihipStream_tbEUlT_E_NS1_11comp_targetILNS1_3genE0ELNS1_11target_archE4294967295ELNS1_3gpuE0ELNS1_3repE0EEENS1_30default_config_static_selectorELNS0_4arch9wavefront6targetE0EEEvT1_
    .private_segment_fixed_size: 0
    .sgpr_count:     17
    .sgpr_spill_count: 0
    .symbol:         _ZN7rocprim17ROCPRIM_400000_NS6detail17trampoline_kernelINS0_14default_configENS1_25transform_config_selectorItLb1EEEZNS1_14transform_implILb1ES3_S5_PKtPtNS0_8identityItEEEE10hipError_tT2_T3_mT4_P12ihipStream_tbEUlT_E_NS1_11comp_targetILNS1_3genE0ELNS1_11target_archE4294967295ELNS1_3gpuE0ELNS1_3repE0EEENS1_30default_config_static_selectorELNS0_4arch9wavefront6targetE0EEEvT1_.kd
    .uniform_work_group_size: 1
    .uses_dynamic_stack: false
    .vgpr_count:     6
    .vgpr_spill_count: 0
    .wavefront_size: 32
  - .args:
      - .offset:         0
        .size:           40
        .value_kind:     by_value
    .group_segment_fixed_size: 0
    .kernarg_segment_align: 8
    .kernarg_segment_size: 40
    .language:       OpenCL C
    .language_version:
      - 2
      - 0
    .max_flat_workgroup_size: 64
    .name:           _ZN7rocprim17ROCPRIM_400000_NS6detail17trampoline_kernelINS0_14default_configENS1_25transform_config_selectorItLb1EEEZNS1_14transform_implILb1ES3_S5_PKtPtNS0_8identityItEEEE10hipError_tT2_T3_mT4_P12ihipStream_tbEUlT_E_NS1_11comp_targetILNS1_3genE10ELNS1_11target_archE1201ELNS1_3gpuE5ELNS1_3repE0EEENS1_30default_config_static_selectorELNS0_4arch9wavefront6targetE0EEEvT1_
    .private_segment_fixed_size: 0
    .sgpr_count:     0
    .sgpr_spill_count: 0
    .symbol:         _ZN7rocprim17ROCPRIM_400000_NS6detail17trampoline_kernelINS0_14default_configENS1_25transform_config_selectorItLb1EEEZNS1_14transform_implILb1ES3_S5_PKtPtNS0_8identityItEEEE10hipError_tT2_T3_mT4_P12ihipStream_tbEUlT_E_NS1_11comp_targetILNS1_3genE10ELNS1_11target_archE1201ELNS1_3gpuE5ELNS1_3repE0EEENS1_30default_config_static_selectorELNS0_4arch9wavefront6targetE0EEEvT1_.kd
    .uniform_work_group_size: 1
    .uses_dynamic_stack: false
    .vgpr_count:     0
    .vgpr_spill_count: 0
    .wavefront_size: 32
  - .args:
      - .offset:         0
        .size:           40
        .value_kind:     by_value
    .group_segment_fixed_size: 0
    .kernarg_segment_align: 8
    .kernarg_segment_size: 40
    .language:       OpenCL C
    .language_version:
      - 2
      - 0
    .max_flat_workgroup_size: 256
    .name:           _ZN7rocprim17ROCPRIM_400000_NS6detail17trampoline_kernelINS0_14default_configENS1_25transform_config_selectorItLb1EEEZNS1_14transform_implILb1ES3_S5_PKtPtNS0_8identityItEEEE10hipError_tT2_T3_mT4_P12ihipStream_tbEUlT_E_NS1_11comp_targetILNS1_3genE5ELNS1_11target_archE942ELNS1_3gpuE9ELNS1_3repE0EEENS1_30default_config_static_selectorELNS0_4arch9wavefront6targetE0EEEvT1_
    .private_segment_fixed_size: 0
    .sgpr_count:     0
    .sgpr_spill_count: 0
    .symbol:         _ZN7rocprim17ROCPRIM_400000_NS6detail17trampoline_kernelINS0_14default_configENS1_25transform_config_selectorItLb1EEEZNS1_14transform_implILb1ES3_S5_PKtPtNS0_8identityItEEEE10hipError_tT2_T3_mT4_P12ihipStream_tbEUlT_E_NS1_11comp_targetILNS1_3genE5ELNS1_11target_archE942ELNS1_3gpuE9ELNS1_3repE0EEENS1_30default_config_static_selectorELNS0_4arch9wavefront6targetE0EEEvT1_.kd
    .uniform_work_group_size: 1
    .uses_dynamic_stack: false
    .vgpr_count:     0
    .vgpr_spill_count: 0
    .wavefront_size: 32
  - .args:
      - .offset:         0
        .size:           40
        .value_kind:     by_value
    .group_segment_fixed_size: 0
    .kernarg_segment_align: 8
    .kernarg_segment_size: 40
    .language:       OpenCL C
    .language_version:
      - 2
      - 0
    .max_flat_workgroup_size: 1024
    .name:           _ZN7rocprim17ROCPRIM_400000_NS6detail17trampoline_kernelINS0_14default_configENS1_25transform_config_selectorItLb1EEEZNS1_14transform_implILb1ES3_S5_PKtPtNS0_8identityItEEEE10hipError_tT2_T3_mT4_P12ihipStream_tbEUlT_E_NS1_11comp_targetILNS1_3genE4ELNS1_11target_archE910ELNS1_3gpuE8ELNS1_3repE0EEENS1_30default_config_static_selectorELNS0_4arch9wavefront6targetE0EEEvT1_
    .private_segment_fixed_size: 0
    .sgpr_count:     0
    .sgpr_spill_count: 0
    .symbol:         _ZN7rocprim17ROCPRIM_400000_NS6detail17trampoline_kernelINS0_14default_configENS1_25transform_config_selectorItLb1EEEZNS1_14transform_implILb1ES3_S5_PKtPtNS0_8identityItEEEE10hipError_tT2_T3_mT4_P12ihipStream_tbEUlT_E_NS1_11comp_targetILNS1_3genE4ELNS1_11target_archE910ELNS1_3gpuE8ELNS1_3repE0EEENS1_30default_config_static_selectorELNS0_4arch9wavefront6targetE0EEEvT1_.kd
    .uniform_work_group_size: 1
    .uses_dynamic_stack: false
    .vgpr_count:     0
    .vgpr_spill_count: 0
    .wavefront_size: 32
  - .args:
      - .offset:         0
        .size:           40
        .value_kind:     by_value
    .group_segment_fixed_size: 0
    .kernarg_segment_align: 8
    .kernarg_segment_size: 40
    .language:       OpenCL C
    .language_version:
      - 2
      - 0
    .max_flat_workgroup_size: 128
    .name:           _ZN7rocprim17ROCPRIM_400000_NS6detail17trampoline_kernelINS0_14default_configENS1_25transform_config_selectorItLb1EEEZNS1_14transform_implILb1ES3_S5_PKtPtNS0_8identityItEEEE10hipError_tT2_T3_mT4_P12ihipStream_tbEUlT_E_NS1_11comp_targetILNS1_3genE3ELNS1_11target_archE908ELNS1_3gpuE7ELNS1_3repE0EEENS1_30default_config_static_selectorELNS0_4arch9wavefront6targetE0EEEvT1_
    .private_segment_fixed_size: 0
    .sgpr_count:     0
    .sgpr_spill_count: 0
    .symbol:         _ZN7rocprim17ROCPRIM_400000_NS6detail17trampoline_kernelINS0_14default_configENS1_25transform_config_selectorItLb1EEEZNS1_14transform_implILb1ES3_S5_PKtPtNS0_8identityItEEEE10hipError_tT2_T3_mT4_P12ihipStream_tbEUlT_E_NS1_11comp_targetILNS1_3genE3ELNS1_11target_archE908ELNS1_3gpuE7ELNS1_3repE0EEENS1_30default_config_static_selectorELNS0_4arch9wavefront6targetE0EEEvT1_.kd
    .uniform_work_group_size: 1
    .uses_dynamic_stack: false
    .vgpr_count:     0
    .vgpr_spill_count: 0
    .wavefront_size: 32
  - .args:
      - .offset:         0
        .size:           40
        .value_kind:     by_value
    .group_segment_fixed_size: 0
    .kernarg_segment_align: 8
    .kernarg_segment_size: 40
    .language:       OpenCL C
    .language_version:
      - 2
      - 0
    .max_flat_workgroup_size: 1024
    .name:           _ZN7rocprim17ROCPRIM_400000_NS6detail17trampoline_kernelINS0_14default_configENS1_25transform_config_selectorItLb1EEEZNS1_14transform_implILb1ES3_S5_PKtPtNS0_8identityItEEEE10hipError_tT2_T3_mT4_P12ihipStream_tbEUlT_E_NS1_11comp_targetILNS1_3genE2ELNS1_11target_archE906ELNS1_3gpuE6ELNS1_3repE0EEENS1_30default_config_static_selectorELNS0_4arch9wavefront6targetE0EEEvT1_
    .private_segment_fixed_size: 0
    .sgpr_count:     0
    .sgpr_spill_count: 0
    .symbol:         _ZN7rocprim17ROCPRIM_400000_NS6detail17trampoline_kernelINS0_14default_configENS1_25transform_config_selectorItLb1EEEZNS1_14transform_implILb1ES3_S5_PKtPtNS0_8identityItEEEE10hipError_tT2_T3_mT4_P12ihipStream_tbEUlT_E_NS1_11comp_targetILNS1_3genE2ELNS1_11target_archE906ELNS1_3gpuE6ELNS1_3repE0EEENS1_30default_config_static_selectorELNS0_4arch9wavefront6targetE0EEEvT1_.kd
    .uniform_work_group_size: 1
    .uses_dynamic_stack: false
    .vgpr_count:     0
    .vgpr_spill_count: 0
    .wavefront_size: 32
  - .args:
      - .offset:         0
        .size:           40
        .value_kind:     by_value
    .group_segment_fixed_size: 0
    .kernarg_segment_align: 8
    .kernarg_segment_size: 40
    .language:       OpenCL C
    .language_version:
      - 2
      - 0
    .max_flat_workgroup_size: 1024
    .name:           _ZN7rocprim17ROCPRIM_400000_NS6detail17trampoline_kernelINS0_14default_configENS1_25transform_config_selectorItLb1EEEZNS1_14transform_implILb1ES3_S5_PKtPtNS0_8identityItEEEE10hipError_tT2_T3_mT4_P12ihipStream_tbEUlT_E_NS1_11comp_targetILNS1_3genE9ELNS1_11target_archE1100ELNS1_3gpuE3ELNS1_3repE0EEENS1_30default_config_static_selectorELNS0_4arch9wavefront6targetE0EEEvT1_
    .private_segment_fixed_size: 0
    .sgpr_count:     0
    .sgpr_spill_count: 0
    .symbol:         _ZN7rocprim17ROCPRIM_400000_NS6detail17trampoline_kernelINS0_14default_configENS1_25transform_config_selectorItLb1EEEZNS1_14transform_implILb1ES3_S5_PKtPtNS0_8identityItEEEE10hipError_tT2_T3_mT4_P12ihipStream_tbEUlT_E_NS1_11comp_targetILNS1_3genE9ELNS1_11target_archE1100ELNS1_3gpuE3ELNS1_3repE0EEENS1_30default_config_static_selectorELNS0_4arch9wavefront6targetE0EEEvT1_.kd
    .uniform_work_group_size: 1
    .uses_dynamic_stack: false
    .vgpr_count:     0
    .vgpr_spill_count: 0
    .wavefront_size: 32
  - .args:
      - .offset:         0
        .size:           40
        .value_kind:     by_value
    .group_segment_fixed_size: 0
    .kernarg_segment_align: 8
    .kernarg_segment_size: 40
    .language:       OpenCL C
    .language_version:
      - 2
      - 0
    .max_flat_workgroup_size: 1024
    .name:           _ZN7rocprim17ROCPRIM_400000_NS6detail17trampoline_kernelINS0_14default_configENS1_25transform_config_selectorItLb1EEEZNS1_14transform_implILb1ES3_S5_PKtPtNS0_8identityItEEEE10hipError_tT2_T3_mT4_P12ihipStream_tbEUlT_E_NS1_11comp_targetILNS1_3genE8ELNS1_11target_archE1030ELNS1_3gpuE2ELNS1_3repE0EEENS1_30default_config_static_selectorELNS0_4arch9wavefront6targetE0EEEvT1_
    .private_segment_fixed_size: 0
    .sgpr_count:     0
    .sgpr_spill_count: 0
    .symbol:         _ZN7rocprim17ROCPRIM_400000_NS6detail17trampoline_kernelINS0_14default_configENS1_25transform_config_selectorItLb1EEEZNS1_14transform_implILb1ES3_S5_PKtPtNS0_8identityItEEEE10hipError_tT2_T3_mT4_P12ihipStream_tbEUlT_E_NS1_11comp_targetILNS1_3genE8ELNS1_11target_archE1030ELNS1_3gpuE2ELNS1_3repE0EEENS1_30default_config_static_selectorELNS0_4arch9wavefront6targetE0EEEvT1_.kd
    .uniform_work_group_size: 1
    .uses_dynamic_stack: false
    .vgpr_count:     0
    .vgpr_spill_count: 0
    .wavefront_size: 32
  - .args:
      - .offset:         0
        .size:           88
        .value_kind:     by_value
      - .offset:         88
        .size:           4
        .value_kind:     hidden_block_count_x
      - .offset:         92
        .size:           4
        .value_kind:     hidden_block_count_y
      - .offset:         96
        .size:           4
        .value_kind:     hidden_block_count_z
      - .offset:         100
        .size:           2
        .value_kind:     hidden_group_size_x
      - .offset:         102
        .size:           2
        .value_kind:     hidden_group_size_y
      - .offset:         104
        .size:           2
        .value_kind:     hidden_group_size_z
      - .offset:         106
        .size:           2
        .value_kind:     hidden_remainder_x
      - .offset:         108
        .size:           2
        .value_kind:     hidden_remainder_y
      - .offset:         110
        .size:           2
        .value_kind:     hidden_remainder_z
      - .offset:         128
        .size:           8
        .value_kind:     hidden_global_offset_x
      - .offset:         136
        .size:           8
        .value_kind:     hidden_global_offset_y
      - .offset:         144
        .size:           8
        .value_kind:     hidden_global_offset_z
      - .offset:         152
        .size:           2
        .value_kind:     hidden_grid_dims
    .group_segment_fixed_size: 18504
    .kernarg_segment_align: 8
    .kernarg_segment_size: 344
    .language:       OpenCL C
    .language_version:
      - 2
      - 0
    .max_flat_workgroup_size: 512
    .name:           _ZN7rocprim17ROCPRIM_400000_NS6detail17trampoline_kernelINS0_14default_configENS1_35radix_sort_onesweep_config_selectorItNS0_10empty_typeEEEZZNS1_29radix_sort_onesweep_iterationIS3_Lb1EPKtPtPS5_SB_mNS0_19identity_decomposerENS1_16block_id_wrapperIjLb1EEEEE10hipError_tT1_PNSt15iterator_traitsISG_E10value_typeET2_T3_PNSH_ISM_E10value_typeET4_T5_PSR_SS_PNS1_23onesweep_lookback_stateEbbT6_jjT7_P12ihipStream_tbENKUlT_T0_SG_SL_E_clIS9_SA_SB_SB_EEDaSZ_S10_SG_SL_EUlSZ_E_NS1_11comp_targetILNS1_3genE0ELNS1_11target_archE4294967295ELNS1_3gpuE0ELNS1_3repE0EEENS1_47radix_sort_onesweep_sort_config_static_selectorELNS0_4arch9wavefront6targetE0EEEvSG_
    .private_segment_fixed_size: 0
    .sgpr_count:     32
    .sgpr_spill_count: 0
    .symbol:         _ZN7rocprim17ROCPRIM_400000_NS6detail17trampoline_kernelINS0_14default_configENS1_35radix_sort_onesweep_config_selectorItNS0_10empty_typeEEEZZNS1_29radix_sort_onesweep_iterationIS3_Lb1EPKtPtPS5_SB_mNS0_19identity_decomposerENS1_16block_id_wrapperIjLb1EEEEE10hipError_tT1_PNSt15iterator_traitsISG_E10value_typeET2_T3_PNSH_ISM_E10value_typeET4_T5_PSR_SS_PNS1_23onesweep_lookback_stateEbbT6_jjT7_P12ihipStream_tbENKUlT_T0_SG_SL_E_clIS9_SA_SB_SB_EEDaSZ_S10_SG_SL_EUlSZ_E_NS1_11comp_targetILNS1_3genE0ELNS1_11target_archE4294967295ELNS1_3gpuE0ELNS1_3repE0EEENS1_47radix_sort_onesweep_sort_config_static_selectorELNS0_4arch9wavefront6targetE0EEEvSG_.kd
    .uniform_work_group_size: 1
    .uses_dynamic_stack: false
    .vgpr_count:     65
    .vgpr_spill_count: 0
    .wavefront_size: 32
  - .args:
      - .offset:         0
        .size:           88
        .value_kind:     by_value
    .group_segment_fixed_size: 0
    .kernarg_segment_align: 8
    .kernarg_segment_size: 88
    .language:       OpenCL C
    .language_version:
      - 2
      - 0
    .max_flat_workgroup_size: 1024
    .name:           _ZN7rocprim17ROCPRIM_400000_NS6detail17trampoline_kernelINS0_14default_configENS1_35radix_sort_onesweep_config_selectorItNS0_10empty_typeEEEZZNS1_29radix_sort_onesweep_iterationIS3_Lb1EPKtPtPS5_SB_mNS0_19identity_decomposerENS1_16block_id_wrapperIjLb1EEEEE10hipError_tT1_PNSt15iterator_traitsISG_E10value_typeET2_T3_PNSH_ISM_E10value_typeET4_T5_PSR_SS_PNS1_23onesweep_lookback_stateEbbT6_jjT7_P12ihipStream_tbENKUlT_T0_SG_SL_E_clIS9_SA_SB_SB_EEDaSZ_S10_SG_SL_EUlSZ_E_NS1_11comp_targetILNS1_3genE6ELNS1_11target_archE950ELNS1_3gpuE13ELNS1_3repE0EEENS1_47radix_sort_onesweep_sort_config_static_selectorELNS0_4arch9wavefront6targetE0EEEvSG_
    .private_segment_fixed_size: 0
    .sgpr_count:     0
    .sgpr_spill_count: 0
    .symbol:         _ZN7rocprim17ROCPRIM_400000_NS6detail17trampoline_kernelINS0_14default_configENS1_35radix_sort_onesweep_config_selectorItNS0_10empty_typeEEEZZNS1_29radix_sort_onesweep_iterationIS3_Lb1EPKtPtPS5_SB_mNS0_19identity_decomposerENS1_16block_id_wrapperIjLb1EEEEE10hipError_tT1_PNSt15iterator_traitsISG_E10value_typeET2_T3_PNSH_ISM_E10value_typeET4_T5_PSR_SS_PNS1_23onesweep_lookback_stateEbbT6_jjT7_P12ihipStream_tbENKUlT_T0_SG_SL_E_clIS9_SA_SB_SB_EEDaSZ_S10_SG_SL_EUlSZ_E_NS1_11comp_targetILNS1_3genE6ELNS1_11target_archE950ELNS1_3gpuE13ELNS1_3repE0EEENS1_47radix_sort_onesweep_sort_config_static_selectorELNS0_4arch9wavefront6targetE0EEEvSG_.kd
    .uniform_work_group_size: 1
    .uses_dynamic_stack: false
    .vgpr_count:     0
    .vgpr_spill_count: 0
    .wavefront_size: 32
  - .args:
      - .offset:         0
        .size:           88
        .value_kind:     by_value
    .group_segment_fixed_size: 0
    .kernarg_segment_align: 8
    .kernarg_segment_size: 88
    .language:       OpenCL C
    .language_version:
      - 2
      - 0
    .max_flat_workgroup_size: 1024
    .name:           _ZN7rocprim17ROCPRIM_400000_NS6detail17trampoline_kernelINS0_14default_configENS1_35radix_sort_onesweep_config_selectorItNS0_10empty_typeEEEZZNS1_29radix_sort_onesweep_iterationIS3_Lb1EPKtPtPS5_SB_mNS0_19identity_decomposerENS1_16block_id_wrapperIjLb1EEEEE10hipError_tT1_PNSt15iterator_traitsISG_E10value_typeET2_T3_PNSH_ISM_E10value_typeET4_T5_PSR_SS_PNS1_23onesweep_lookback_stateEbbT6_jjT7_P12ihipStream_tbENKUlT_T0_SG_SL_E_clIS9_SA_SB_SB_EEDaSZ_S10_SG_SL_EUlSZ_E_NS1_11comp_targetILNS1_3genE5ELNS1_11target_archE942ELNS1_3gpuE9ELNS1_3repE0EEENS1_47radix_sort_onesweep_sort_config_static_selectorELNS0_4arch9wavefront6targetE0EEEvSG_
    .private_segment_fixed_size: 0
    .sgpr_count:     0
    .sgpr_spill_count: 0
    .symbol:         _ZN7rocprim17ROCPRIM_400000_NS6detail17trampoline_kernelINS0_14default_configENS1_35radix_sort_onesweep_config_selectorItNS0_10empty_typeEEEZZNS1_29radix_sort_onesweep_iterationIS3_Lb1EPKtPtPS5_SB_mNS0_19identity_decomposerENS1_16block_id_wrapperIjLb1EEEEE10hipError_tT1_PNSt15iterator_traitsISG_E10value_typeET2_T3_PNSH_ISM_E10value_typeET4_T5_PSR_SS_PNS1_23onesweep_lookback_stateEbbT6_jjT7_P12ihipStream_tbENKUlT_T0_SG_SL_E_clIS9_SA_SB_SB_EEDaSZ_S10_SG_SL_EUlSZ_E_NS1_11comp_targetILNS1_3genE5ELNS1_11target_archE942ELNS1_3gpuE9ELNS1_3repE0EEENS1_47radix_sort_onesweep_sort_config_static_selectorELNS0_4arch9wavefront6targetE0EEEvSG_.kd
    .uniform_work_group_size: 1
    .uses_dynamic_stack: false
    .vgpr_count:     0
    .vgpr_spill_count: 0
    .wavefront_size: 32
  - .args:
      - .offset:         0
        .size:           88
        .value_kind:     by_value
    .group_segment_fixed_size: 0
    .kernarg_segment_align: 8
    .kernarg_segment_size: 88
    .language:       OpenCL C
    .language_version:
      - 2
      - 0
    .max_flat_workgroup_size: 512
    .name:           _ZN7rocprim17ROCPRIM_400000_NS6detail17trampoline_kernelINS0_14default_configENS1_35radix_sort_onesweep_config_selectorItNS0_10empty_typeEEEZZNS1_29radix_sort_onesweep_iterationIS3_Lb1EPKtPtPS5_SB_mNS0_19identity_decomposerENS1_16block_id_wrapperIjLb1EEEEE10hipError_tT1_PNSt15iterator_traitsISG_E10value_typeET2_T3_PNSH_ISM_E10value_typeET4_T5_PSR_SS_PNS1_23onesweep_lookback_stateEbbT6_jjT7_P12ihipStream_tbENKUlT_T0_SG_SL_E_clIS9_SA_SB_SB_EEDaSZ_S10_SG_SL_EUlSZ_E_NS1_11comp_targetILNS1_3genE2ELNS1_11target_archE906ELNS1_3gpuE6ELNS1_3repE0EEENS1_47radix_sort_onesweep_sort_config_static_selectorELNS0_4arch9wavefront6targetE0EEEvSG_
    .private_segment_fixed_size: 0
    .sgpr_count:     0
    .sgpr_spill_count: 0
    .symbol:         _ZN7rocprim17ROCPRIM_400000_NS6detail17trampoline_kernelINS0_14default_configENS1_35radix_sort_onesweep_config_selectorItNS0_10empty_typeEEEZZNS1_29radix_sort_onesweep_iterationIS3_Lb1EPKtPtPS5_SB_mNS0_19identity_decomposerENS1_16block_id_wrapperIjLb1EEEEE10hipError_tT1_PNSt15iterator_traitsISG_E10value_typeET2_T3_PNSH_ISM_E10value_typeET4_T5_PSR_SS_PNS1_23onesweep_lookback_stateEbbT6_jjT7_P12ihipStream_tbENKUlT_T0_SG_SL_E_clIS9_SA_SB_SB_EEDaSZ_S10_SG_SL_EUlSZ_E_NS1_11comp_targetILNS1_3genE2ELNS1_11target_archE906ELNS1_3gpuE6ELNS1_3repE0EEENS1_47radix_sort_onesweep_sort_config_static_selectorELNS0_4arch9wavefront6targetE0EEEvSG_.kd
    .uniform_work_group_size: 1
    .uses_dynamic_stack: false
    .vgpr_count:     0
    .vgpr_spill_count: 0
    .wavefront_size: 32
  - .args:
      - .offset:         0
        .size:           88
        .value_kind:     by_value
    .group_segment_fixed_size: 0
    .kernarg_segment_align: 8
    .kernarg_segment_size: 88
    .language:       OpenCL C
    .language_version:
      - 2
      - 0
    .max_flat_workgroup_size: 1024
    .name:           _ZN7rocprim17ROCPRIM_400000_NS6detail17trampoline_kernelINS0_14default_configENS1_35radix_sort_onesweep_config_selectorItNS0_10empty_typeEEEZZNS1_29radix_sort_onesweep_iterationIS3_Lb1EPKtPtPS5_SB_mNS0_19identity_decomposerENS1_16block_id_wrapperIjLb1EEEEE10hipError_tT1_PNSt15iterator_traitsISG_E10value_typeET2_T3_PNSH_ISM_E10value_typeET4_T5_PSR_SS_PNS1_23onesweep_lookback_stateEbbT6_jjT7_P12ihipStream_tbENKUlT_T0_SG_SL_E_clIS9_SA_SB_SB_EEDaSZ_S10_SG_SL_EUlSZ_E_NS1_11comp_targetILNS1_3genE4ELNS1_11target_archE910ELNS1_3gpuE8ELNS1_3repE0EEENS1_47radix_sort_onesweep_sort_config_static_selectorELNS0_4arch9wavefront6targetE0EEEvSG_
    .private_segment_fixed_size: 0
    .sgpr_count:     0
    .sgpr_spill_count: 0
    .symbol:         _ZN7rocprim17ROCPRIM_400000_NS6detail17trampoline_kernelINS0_14default_configENS1_35radix_sort_onesweep_config_selectorItNS0_10empty_typeEEEZZNS1_29radix_sort_onesweep_iterationIS3_Lb1EPKtPtPS5_SB_mNS0_19identity_decomposerENS1_16block_id_wrapperIjLb1EEEEE10hipError_tT1_PNSt15iterator_traitsISG_E10value_typeET2_T3_PNSH_ISM_E10value_typeET4_T5_PSR_SS_PNS1_23onesweep_lookback_stateEbbT6_jjT7_P12ihipStream_tbENKUlT_T0_SG_SL_E_clIS9_SA_SB_SB_EEDaSZ_S10_SG_SL_EUlSZ_E_NS1_11comp_targetILNS1_3genE4ELNS1_11target_archE910ELNS1_3gpuE8ELNS1_3repE0EEENS1_47radix_sort_onesweep_sort_config_static_selectorELNS0_4arch9wavefront6targetE0EEEvSG_.kd
    .uniform_work_group_size: 1
    .uses_dynamic_stack: false
    .vgpr_count:     0
    .vgpr_spill_count: 0
    .wavefront_size: 32
  - .args:
      - .offset:         0
        .size:           88
        .value_kind:     by_value
    .group_segment_fixed_size: 0
    .kernarg_segment_align: 8
    .kernarg_segment_size: 88
    .language:       OpenCL C
    .language_version:
      - 2
      - 0
    .max_flat_workgroup_size: 512
    .name:           _ZN7rocprim17ROCPRIM_400000_NS6detail17trampoline_kernelINS0_14default_configENS1_35radix_sort_onesweep_config_selectorItNS0_10empty_typeEEEZZNS1_29radix_sort_onesweep_iterationIS3_Lb1EPKtPtPS5_SB_mNS0_19identity_decomposerENS1_16block_id_wrapperIjLb1EEEEE10hipError_tT1_PNSt15iterator_traitsISG_E10value_typeET2_T3_PNSH_ISM_E10value_typeET4_T5_PSR_SS_PNS1_23onesweep_lookback_stateEbbT6_jjT7_P12ihipStream_tbENKUlT_T0_SG_SL_E_clIS9_SA_SB_SB_EEDaSZ_S10_SG_SL_EUlSZ_E_NS1_11comp_targetILNS1_3genE3ELNS1_11target_archE908ELNS1_3gpuE7ELNS1_3repE0EEENS1_47radix_sort_onesweep_sort_config_static_selectorELNS0_4arch9wavefront6targetE0EEEvSG_
    .private_segment_fixed_size: 0
    .sgpr_count:     0
    .sgpr_spill_count: 0
    .symbol:         _ZN7rocprim17ROCPRIM_400000_NS6detail17trampoline_kernelINS0_14default_configENS1_35radix_sort_onesweep_config_selectorItNS0_10empty_typeEEEZZNS1_29radix_sort_onesweep_iterationIS3_Lb1EPKtPtPS5_SB_mNS0_19identity_decomposerENS1_16block_id_wrapperIjLb1EEEEE10hipError_tT1_PNSt15iterator_traitsISG_E10value_typeET2_T3_PNSH_ISM_E10value_typeET4_T5_PSR_SS_PNS1_23onesweep_lookback_stateEbbT6_jjT7_P12ihipStream_tbENKUlT_T0_SG_SL_E_clIS9_SA_SB_SB_EEDaSZ_S10_SG_SL_EUlSZ_E_NS1_11comp_targetILNS1_3genE3ELNS1_11target_archE908ELNS1_3gpuE7ELNS1_3repE0EEENS1_47radix_sort_onesweep_sort_config_static_selectorELNS0_4arch9wavefront6targetE0EEEvSG_.kd
    .uniform_work_group_size: 1
    .uses_dynamic_stack: false
    .vgpr_count:     0
    .vgpr_spill_count: 0
    .wavefront_size: 32
  - .args:
      - .offset:         0
        .size:           88
        .value_kind:     by_value
    .group_segment_fixed_size: 0
    .kernarg_segment_align: 8
    .kernarg_segment_size: 88
    .language:       OpenCL C
    .language_version:
      - 2
      - 0
    .max_flat_workgroup_size: 256
    .name:           _ZN7rocprim17ROCPRIM_400000_NS6detail17trampoline_kernelINS0_14default_configENS1_35radix_sort_onesweep_config_selectorItNS0_10empty_typeEEEZZNS1_29radix_sort_onesweep_iterationIS3_Lb1EPKtPtPS5_SB_mNS0_19identity_decomposerENS1_16block_id_wrapperIjLb1EEEEE10hipError_tT1_PNSt15iterator_traitsISG_E10value_typeET2_T3_PNSH_ISM_E10value_typeET4_T5_PSR_SS_PNS1_23onesweep_lookback_stateEbbT6_jjT7_P12ihipStream_tbENKUlT_T0_SG_SL_E_clIS9_SA_SB_SB_EEDaSZ_S10_SG_SL_EUlSZ_E_NS1_11comp_targetILNS1_3genE10ELNS1_11target_archE1201ELNS1_3gpuE5ELNS1_3repE0EEENS1_47radix_sort_onesweep_sort_config_static_selectorELNS0_4arch9wavefront6targetE0EEEvSG_
    .private_segment_fixed_size: 0
    .sgpr_count:     0
    .sgpr_spill_count: 0
    .symbol:         _ZN7rocprim17ROCPRIM_400000_NS6detail17trampoline_kernelINS0_14default_configENS1_35radix_sort_onesweep_config_selectorItNS0_10empty_typeEEEZZNS1_29radix_sort_onesweep_iterationIS3_Lb1EPKtPtPS5_SB_mNS0_19identity_decomposerENS1_16block_id_wrapperIjLb1EEEEE10hipError_tT1_PNSt15iterator_traitsISG_E10value_typeET2_T3_PNSH_ISM_E10value_typeET4_T5_PSR_SS_PNS1_23onesweep_lookback_stateEbbT6_jjT7_P12ihipStream_tbENKUlT_T0_SG_SL_E_clIS9_SA_SB_SB_EEDaSZ_S10_SG_SL_EUlSZ_E_NS1_11comp_targetILNS1_3genE10ELNS1_11target_archE1201ELNS1_3gpuE5ELNS1_3repE0EEENS1_47radix_sort_onesweep_sort_config_static_selectorELNS0_4arch9wavefront6targetE0EEEvSG_.kd
    .uniform_work_group_size: 1
    .uses_dynamic_stack: false
    .vgpr_count:     0
    .vgpr_spill_count: 0
    .wavefront_size: 32
  - .args:
      - .offset:         0
        .size:           88
        .value_kind:     by_value
    .group_segment_fixed_size: 0
    .kernarg_segment_align: 8
    .kernarg_segment_size: 88
    .language:       OpenCL C
    .language_version:
      - 2
      - 0
    .max_flat_workgroup_size: 256
    .name:           _ZN7rocprim17ROCPRIM_400000_NS6detail17trampoline_kernelINS0_14default_configENS1_35radix_sort_onesweep_config_selectorItNS0_10empty_typeEEEZZNS1_29radix_sort_onesweep_iterationIS3_Lb1EPKtPtPS5_SB_mNS0_19identity_decomposerENS1_16block_id_wrapperIjLb1EEEEE10hipError_tT1_PNSt15iterator_traitsISG_E10value_typeET2_T3_PNSH_ISM_E10value_typeET4_T5_PSR_SS_PNS1_23onesweep_lookback_stateEbbT6_jjT7_P12ihipStream_tbENKUlT_T0_SG_SL_E_clIS9_SA_SB_SB_EEDaSZ_S10_SG_SL_EUlSZ_E_NS1_11comp_targetILNS1_3genE9ELNS1_11target_archE1100ELNS1_3gpuE3ELNS1_3repE0EEENS1_47radix_sort_onesweep_sort_config_static_selectorELNS0_4arch9wavefront6targetE0EEEvSG_
    .private_segment_fixed_size: 0
    .sgpr_count:     0
    .sgpr_spill_count: 0
    .symbol:         _ZN7rocprim17ROCPRIM_400000_NS6detail17trampoline_kernelINS0_14default_configENS1_35radix_sort_onesweep_config_selectorItNS0_10empty_typeEEEZZNS1_29radix_sort_onesweep_iterationIS3_Lb1EPKtPtPS5_SB_mNS0_19identity_decomposerENS1_16block_id_wrapperIjLb1EEEEE10hipError_tT1_PNSt15iterator_traitsISG_E10value_typeET2_T3_PNSH_ISM_E10value_typeET4_T5_PSR_SS_PNS1_23onesweep_lookback_stateEbbT6_jjT7_P12ihipStream_tbENKUlT_T0_SG_SL_E_clIS9_SA_SB_SB_EEDaSZ_S10_SG_SL_EUlSZ_E_NS1_11comp_targetILNS1_3genE9ELNS1_11target_archE1100ELNS1_3gpuE3ELNS1_3repE0EEENS1_47radix_sort_onesweep_sort_config_static_selectorELNS0_4arch9wavefront6targetE0EEEvSG_.kd
    .uniform_work_group_size: 1
    .uses_dynamic_stack: false
    .vgpr_count:     0
    .vgpr_spill_count: 0
    .wavefront_size: 32
  - .args:
      - .offset:         0
        .size:           88
        .value_kind:     by_value
    .group_segment_fixed_size: 0
    .kernarg_segment_align: 8
    .kernarg_segment_size: 88
    .language:       OpenCL C
    .language_version:
      - 2
      - 0
    .max_flat_workgroup_size: 256
    .name:           _ZN7rocprim17ROCPRIM_400000_NS6detail17trampoline_kernelINS0_14default_configENS1_35radix_sort_onesweep_config_selectorItNS0_10empty_typeEEEZZNS1_29radix_sort_onesweep_iterationIS3_Lb1EPKtPtPS5_SB_mNS0_19identity_decomposerENS1_16block_id_wrapperIjLb1EEEEE10hipError_tT1_PNSt15iterator_traitsISG_E10value_typeET2_T3_PNSH_ISM_E10value_typeET4_T5_PSR_SS_PNS1_23onesweep_lookback_stateEbbT6_jjT7_P12ihipStream_tbENKUlT_T0_SG_SL_E_clIS9_SA_SB_SB_EEDaSZ_S10_SG_SL_EUlSZ_E_NS1_11comp_targetILNS1_3genE8ELNS1_11target_archE1030ELNS1_3gpuE2ELNS1_3repE0EEENS1_47radix_sort_onesweep_sort_config_static_selectorELNS0_4arch9wavefront6targetE0EEEvSG_
    .private_segment_fixed_size: 0
    .sgpr_count:     0
    .sgpr_spill_count: 0
    .symbol:         _ZN7rocprim17ROCPRIM_400000_NS6detail17trampoline_kernelINS0_14default_configENS1_35radix_sort_onesweep_config_selectorItNS0_10empty_typeEEEZZNS1_29radix_sort_onesweep_iterationIS3_Lb1EPKtPtPS5_SB_mNS0_19identity_decomposerENS1_16block_id_wrapperIjLb1EEEEE10hipError_tT1_PNSt15iterator_traitsISG_E10value_typeET2_T3_PNSH_ISM_E10value_typeET4_T5_PSR_SS_PNS1_23onesweep_lookback_stateEbbT6_jjT7_P12ihipStream_tbENKUlT_T0_SG_SL_E_clIS9_SA_SB_SB_EEDaSZ_S10_SG_SL_EUlSZ_E_NS1_11comp_targetILNS1_3genE8ELNS1_11target_archE1030ELNS1_3gpuE2ELNS1_3repE0EEENS1_47radix_sort_onesweep_sort_config_static_selectorELNS0_4arch9wavefront6targetE0EEEvSG_.kd
    .uniform_work_group_size: 1
    .uses_dynamic_stack: false
    .vgpr_count:     0
    .vgpr_spill_count: 0
    .wavefront_size: 32
  - .args:
      - .offset:         0
        .size:           88
        .value_kind:     by_value
      - .offset:         88
        .size:           4
        .value_kind:     hidden_block_count_x
      - .offset:         92
        .size:           4
        .value_kind:     hidden_block_count_y
      - .offset:         96
        .size:           4
        .value_kind:     hidden_block_count_z
      - .offset:         100
        .size:           2
        .value_kind:     hidden_group_size_x
      - .offset:         102
        .size:           2
        .value_kind:     hidden_group_size_y
      - .offset:         104
        .size:           2
        .value_kind:     hidden_group_size_z
      - .offset:         106
        .size:           2
        .value_kind:     hidden_remainder_x
      - .offset:         108
        .size:           2
        .value_kind:     hidden_remainder_y
      - .offset:         110
        .size:           2
        .value_kind:     hidden_remainder_z
      - .offset:         128
        .size:           8
        .value_kind:     hidden_global_offset_x
      - .offset:         136
        .size:           8
        .value_kind:     hidden_global_offset_y
      - .offset:         144
        .size:           8
        .value_kind:     hidden_global_offset_z
      - .offset:         152
        .size:           2
        .value_kind:     hidden_grid_dims
    .group_segment_fixed_size: 18504
    .kernarg_segment_align: 8
    .kernarg_segment_size: 344
    .language:       OpenCL C
    .language_version:
      - 2
      - 0
    .max_flat_workgroup_size: 512
    .name:           _ZN7rocprim17ROCPRIM_400000_NS6detail17trampoline_kernelINS0_14default_configENS1_35radix_sort_onesweep_config_selectorItNS0_10empty_typeEEEZZNS1_29radix_sort_onesweep_iterationIS3_Lb1EPKtPtPS5_SB_mNS0_19identity_decomposerENS1_16block_id_wrapperIjLb1EEEEE10hipError_tT1_PNSt15iterator_traitsISG_E10value_typeET2_T3_PNSH_ISM_E10value_typeET4_T5_PSR_SS_PNS1_23onesweep_lookback_stateEbbT6_jjT7_P12ihipStream_tbENKUlT_T0_SG_SL_E_clISA_SA_SB_SB_EEDaSZ_S10_SG_SL_EUlSZ_E_NS1_11comp_targetILNS1_3genE0ELNS1_11target_archE4294967295ELNS1_3gpuE0ELNS1_3repE0EEENS1_47radix_sort_onesweep_sort_config_static_selectorELNS0_4arch9wavefront6targetE0EEEvSG_
    .private_segment_fixed_size: 0
    .sgpr_count:     32
    .sgpr_spill_count: 0
    .symbol:         _ZN7rocprim17ROCPRIM_400000_NS6detail17trampoline_kernelINS0_14default_configENS1_35radix_sort_onesweep_config_selectorItNS0_10empty_typeEEEZZNS1_29radix_sort_onesweep_iterationIS3_Lb1EPKtPtPS5_SB_mNS0_19identity_decomposerENS1_16block_id_wrapperIjLb1EEEEE10hipError_tT1_PNSt15iterator_traitsISG_E10value_typeET2_T3_PNSH_ISM_E10value_typeET4_T5_PSR_SS_PNS1_23onesweep_lookback_stateEbbT6_jjT7_P12ihipStream_tbENKUlT_T0_SG_SL_E_clISA_SA_SB_SB_EEDaSZ_S10_SG_SL_EUlSZ_E_NS1_11comp_targetILNS1_3genE0ELNS1_11target_archE4294967295ELNS1_3gpuE0ELNS1_3repE0EEENS1_47radix_sort_onesweep_sort_config_static_selectorELNS0_4arch9wavefront6targetE0EEEvSG_.kd
    .uniform_work_group_size: 1
    .uses_dynamic_stack: false
    .vgpr_count:     65
    .vgpr_spill_count: 0
    .wavefront_size: 32
  - .args:
      - .offset:         0
        .size:           88
        .value_kind:     by_value
    .group_segment_fixed_size: 0
    .kernarg_segment_align: 8
    .kernarg_segment_size: 88
    .language:       OpenCL C
    .language_version:
      - 2
      - 0
    .max_flat_workgroup_size: 1024
    .name:           _ZN7rocprim17ROCPRIM_400000_NS6detail17trampoline_kernelINS0_14default_configENS1_35radix_sort_onesweep_config_selectorItNS0_10empty_typeEEEZZNS1_29radix_sort_onesweep_iterationIS3_Lb1EPKtPtPS5_SB_mNS0_19identity_decomposerENS1_16block_id_wrapperIjLb1EEEEE10hipError_tT1_PNSt15iterator_traitsISG_E10value_typeET2_T3_PNSH_ISM_E10value_typeET4_T5_PSR_SS_PNS1_23onesweep_lookback_stateEbbT6_jjT7_P12ihipStream_tbENKUlT_T0_SG_SL_E_clISA_SA_SB_SB_EEDaSZ_S10_SG_SL_EUlSZ_E_NS1_11comp_targetILNS1_3genE6ELNS1_11target_archE950ELNS1_3gpuE13ELNS1_3repE0EEENS1_47radix_sort_onesweep_sort_config_static_selectorELNS0_4arch9wavefront6targetE0EEEvSG_
    .private_segment_fixed_size: 0
    .sgpr_count:     0
    .sgpr_spill_count: 0
    .symbol:         _ZN7rocprim17ROCPRIM_400000_NS6detail17trampoline_kernelINS0_14default_configENS1_35radix_sort_onesweep_config_selectorItNS0_10empty_typeEEEZZNS1_29radix_sort_onesweep_iterationIS3_Lb1EPKtPtPS5_SB_mNS0_19identity_decomposerENS1_16block_id_wrapperIjLb1EEEEE10hipError_tT1_PNSt15iterator_traitsISG_E10value_typeET2_T3_PNSH_ISM_E10value_typeET4_T5_PSR_SS_PNS1_23onesweep_lookback_stateEbbT6_jjT7_P12ihipStream_tbENKUlT_T0_SG_SL_E_clISA_SA_SB_SB_EEDaSZ_S10_SG_SL_EUlSZ_E_NS1_11comp_targetILNS1_3genE6ELNS1_11target_archE950ELNS1_3gpuE13ELNS1_3repE0EEENS1_47radix_sort_onesweep_sort_config_static_selectorELNS0_4arch9wavefront6targetE0EEEvSG_.kd
    .uniform_work_group_size: 1
    .uses_dynamic_stack: false
    .vgpr_count:     0
    .vgpr_spill_count: 0
    .wavefront_size: 32
  - .args:
      - .offset:         0
        .size:           88
        .value_kind:     by_value
    .group_segment_fixed_size: 0
    .kernarg_segment_align: 8
    .kernarg_segment_size: 88
    .language:       OpenCL C
    .language_version:
      - 2
      - 0
    .max_flat_workgroup_size: 1024
    .name:           _ZN7rocprim17ROCPRIM_400000_NS6detail17trampoline_kernelINS0_14default_configENS1_35radix_sort_onesweep_config_selectorItNS0_10empty_typeEEEZZNS1_29radix_sort_onesweep_iterationIS3_Lb1EPKtPtPS5_SB_mNS0_19identity_decomposerENS1_16block_id_wrapperIjLb1EEEEE10hipError_tT1_PNSt15iterator_traitsISG_E10value_typeET2_T3_PNSH_ISM_E10value_typeET4_T5_PSR_SS_PNS1_23onesweep_lookback_stateEbbT6_jjT7_P12ihipStream_tbENKUlT_T0_SG_SL_E_clISA_SA_SB_SB_EEDaSZ_S10_SG_SL_EUlSZ_E_NS1_11comp_targetILNS1_3genE5ELNS1_11target_archE942ELNS1_3gpuE9ELNS1_3repE0EEENS1_47radix_sort_onesweep_sort_config_static_selectorELNS0_4arch9wavefront6targetE0EEEvSG_
    .private_segment_fixed_size: 0
    .sgpr_count:     0
    .sgpr_spill_count: 0
    .symbol:         _ZN7rocprim17ROCPRIM_400000_NS6detail17trampoline_kernelINS0_14default_configENS1_35radix_sort_onesweep_config_selectorItNS0_10empty_typeEEEZZNS1_29radix_sort_onesweep_iterationIS3_Lb1EPKtPtPS5_SB_mNS0_19identity_decomposerENS1_16block_id_wrapperIjLb1EEEEE10hipError_tT1_PNSt15iterator_traitsISG_E10value_typeET2_T3_PNSH_ISM_E10value_typeET4_T5_PSR_SS_PNS1_23onesweep_lookback_stateEbbT6_jjT7_P12ihipStream_tbENKUlT_T0_SG_SL_E_clISA_SA_SB_SB_EEDaSZ_S10_SG_SL_EUlSZ_E_NS1_11comp_targetILNS1_3genE5ELNS1_11target_archE942ELNS1_3gpuE9ELNS1_3repE0EEENS1_47radix_sort_onesweep_sort_config_static_selectorELNS0_4arch9wavefront6targetE0EEEvSG_.kd
    .uniform_work_group_size: 1
    .uses_dynamic_stack: false
    .vgpr_count:     0
    .vgpr_spill_count: 0
    .wavefront_size: 32
  - .args:
      - .offset:         0
        .size:           88
        .value_kind:     by_value
    .group_segment_fixed_size: 0
    .kernarg_segment_align: 8
    .kernarg_segment_size: 88
    .language:       OpenCL C
    .language_version:
      - 2
      - 0
    .max_flat_workgroup_size: 512
    .name:           _ZN7rocprim17ROCPRIM_400000_NS6detail17trampoline_kernelINS0_14default_configENS1_35radix_sort_onesweep_config_selectorItNS0_10empty_typeEEEZZNS1_29radix_sort_onesweep_iterationIS3_Lb1EPKtPtPS5_SB_mNS0_19identity_decomposerENS1_16block_id_wrapperIjLb1EEEEE10hipError_tT1_PNSt15iterator_traitsISG_E10value_typeET2_T3_PNSH_ISM_E10value_typeET4_T5_PSR_SS_PNS1_23onesweep_lookback_stateEbbT6_jjT7_P12ihipStream_tbENKUlT_T0_SG_SL_E_clISA_SA_SB_SB_EEDaSZ_S10_SG_SL_EUlSZ_E_NS1_11comp_targetILNS1_3genE2ELNS1_11target_archE906ELNS1_3gpuE6ELNS1_3repE0EEENS1_47radix_sort_onesweep_sort_config_static_selectorELNS0_4arch9wavefront6targetE0EEEvSG_
    .private_segment_fixed_size: 0
    .sgpr_count:     0
    .sgpr_spill_count: 0
    .symbol:         _ZN7rocprim17ROCPRIM_400000_NS6detail17trampoline_kernelINS0_14default_configENS1_35radix_sort_onesweep_config_selectorItNS0_10empty_typeEEEZZNS1_29radix_sort_onesweep_iterationIS3_Lb1EPKtPtPS5_SB_mNS0_19identity_decomposerENS1_16block_id_wrapperIjLb1EEEEE10hipError_tT1_PNSt15iterator_traitsISG_E10value_typeET2_T3_PNSH_ISM_E10value_typeET4_T5_PSR_SS_PNS1_23onesweep_lookback_stateEbbT6_jjT7_P12ihipStream_tbENKUlT_T0_SG_SL_E_clISA_SA_SB_SB_EEDaSZ_S10_SG_SL_EUlSZ_E_NS1_11comp_targetILNS1_3genE2ELNS1_11target_archE906ELNS1_3gpuE6ELNS1_3repE0EEENS1_47radix_sort_onesweep_sort_config_static_selectorELNS0_4arch9wavefront6targetE0EEEvSG_.kd
    .uniform_work_group_size: 1
    .uses_dynamic_stack: false
    .vgpr_count:     0
    .vgpr_spill_count: 0
    .wavefront_size: 32
  - .args:
      - .offset:         0
        .size:           88
        .value_kind:     by_value
    .group_segment_fixed_size: 0
    .kernarg_segment_align: 8
    .kernarg_segment_size: 88
    .language:       OpenCL C
    .language_version:
      - 2
      - 0
    .max_flat_workgroup_size: 1024
    .name:           _ZN7rocprim17ROCPRIM_400000_NS6detail17trampoline_kernelINS0_14default_configENS1_35radix_sort_onesweep_config_selectorItNS0_10empty_typeEEEZZNS1_29radix_sort_onesweep_iterationIS3_Lb1EPKtPtPS5_SB_mNS0_19identity_decomposerENS1_16block_id_wrapperIjLb1EEEEE10hipError_tT1_PNSt15iterator_traitsISG_E10value_typeET2_T3_PNSH_ISM_E10value_typeET4_T5_PSR_SS_PNS1_23onesweep_lookback_stateEbbT6_jjT7_P12ihipStream_tbENKUlT_T0_SG_SL_E_clISA_SA_SB_SB_EEDaSZ_S10_SG_SL_EUlSZ_E_NS1_11comp_targetILNS1_3genE4ELNS1_11target_archE910ELNS1_3gpuE8ELNS1_3repE0EEENS1_47radix_sort_onesweep_sort_config_static_selectorELNS0_4arch9wavefront6targetE0EEEvSG_
    .private_segment_fixed_size: 0
    .sgpr_count:     0
    .sgpr_spill_count: 0
    .symbol:         _ZN7rocprim17ROCPRIM_400000_NS6detail17trampoline_kernelINS0_14default_configENS1_35radix_sort_onesweep_config_selectorItNS0_10empty_typeEEEZZNS1_29radix_sort_onesweep_iterationIS3_Lb1EPKtPtPS5_SB_mNS0_19identity_decomposerENS1_16block_id_wrapperIjLb1EEEEE10hipError_tT1_PNSt15iterator_traitsISG_E10value_typeET2_T3_PNSH_ISM_E10value_typeET4_T5_PSR_SS_PNS1_23onesweep_lookback_stateEbbT6_jjT7_P12ihipStream_tbENKUlT_T0_SG_SL_E_clISA_SA_SB_SB_EEDaSZ_S10_SG_SL_EUlSZ_E_NS1_11comp_targetILNS1_3genE4ELNS1_11target_archE910ELNS1_3gpuE8ELNS1_3repE0EEENS1_47radix_sort_onesweep_sort_config_static_selectorELNS0_4arch9wavefront6targetE0EEEvSG_.kd
    .uniform_work_group_size: 1
    .uses_dynamic_stack: false
    .vgpr_count:     0
    .vgpr_spill_count: 0
    .wavefront_size: 32
  - .args:
      - .offset:         0
        .size:           88
        .value_kind:     by_value
    .group_segment_fixed_size: 0
    .kernarg_segment_align: 8
    .kernarg_segment_size: 88
    .language:       OpenCL C
    .language_version:
      - 2
      - 0
    .max_flat_workgroup_size: 512
    .name:           _ZN7rocprim17ROCPRIM_400000_NS6detail17trampoline_kernelINS0_14default_configENS1_35radix_sort_onesweep_config_selectorItNS0_10empty_typeEEEZZNS1_29radix_sort_onesweep_iterationIS3_Lb1EPKtPtPS5_SB_mNS0_19identity_decomposerENS1_16block_id_wrapperIjLb1EEEEE10hipError_tT1_PNSt15iterator_traitsISG_E10value_typeET2_T3_PNSH_ISM_E10value_typeET4_T5_PSR_SS_PNS1_23onesweep_lookback_stateEbbT6_jjT7_P12ihipStream_tbENKUlT_T0_SG_SL_E_clISA_SA_SB_SB_EEDaSZ_S10_SG_SL_EUlSZ_E_NS1_11comp_targetILNS1_3genE3ELNS1_11target_archE908ELNS1_3gpuE7ELNS1_3repE0EEENS1_47radix_sort_onesweep_sort_config_static_selectorELNS0_4arch9wavefront6targetE0EEEvSG_
    .private_segment_fixed_size: 0
    .sgpr_count:     0
    .sgpr_spill_count: 0
    .symbol:         _ZN7rocprim17ROCPRIM_400000_NS6detail17trampoline_kernelINS0_14default_configENS1_35radix_sort_onesweep_config_selectorItNS0_10empty_typeEEEZZNS1_29radix_sort_onesweep_iterationIS3_Lb1EPKtPtPS5_SB_mNS0_19identity_decomposerENS1_16block_id_wrapperIjLb1EEEEE10hipError_tT1_PNSt15iterator_traitsISG_E10value_typeET2_T3_PNSH_ISM_E10value_typeET4_T5_PSR_SS_PNS1_23onesweep_lookback_stateEbbT6_jjT7_P12ihipStream_tbENKUlT_T0_SG_SL_E_clISA_SA_SB_SB_EEDaSZ_S10_SG_SL_EUlSZ_E_NS1_11comp_targetILNS1_3genE3ELNS1_11target_archE908ELNS1_3gpuE7ELNS1_3repE0EEENS1_47radix_sort_onesweep_sort_config_static_selectorELNS0_4arch9wavefront6targetE0EEEvSG_.kd
    .uniform_work_group_size: 1
    .uses_dynamic_stack: false
    .vgpr_count:     0
    .vgpr_spill_count: 0
    .wavefront_size: 32
  - .args:
      - .offset:         0
        .size:           88
        .value_kind:     by_value
    .group_segment_fixed_size: 0
    .kernarg_segment_align: 8
    .kernarg_segment_size: 88
    .language:       OpenCL C
    .language_version:
      - 2
      - 0
    .max_flat_workgroup_size: 256
    .name:           _ZN7rocprim17ROCPRIM_400000_NS6detail17trampoline_kernelINS0_14default_configENS1_35radix_sort_onesweep_config_selectorItNS0_10empty_typeEEEZZNS1_29radix_sort_onesweep_iterationIS3_Lb1EPKtPtPS5_SB_mNS0_19identity_decomposerENS1_16block_id_wrapperIjLb1EEEEE10hipError_tT1_PNSt15iterator_traitsISG_E10value_typeET2_T3_PNSH_ISM_E10value_typeET4_T5_PSR_SS_PNS1_23onesweep_lookback_stateEbbT6_jjT7_P12ihipStream_tbENKUlT_T0_SG_SL_E_clISA_SA_SB_SB_EEDaSZ_S10_SG_SL_EUlSZ_E_NS1_11comp_targetILNS1_3genE10ELNS1_11target_archE1201ELNS1_3gpuE5ELNS1_3repE0EEENS1_47radix_sort_onesweep_sort_config_static_selectorELNS0_4arch9wavefront6targetE0EEEvSG_
    .private_segment_fixed_size: 0
    .sgpr_count:     0
    .sgpr_spill_count: 0
    .symbol:         _ZN7rocprim17ROCPRIM_400000_NS6detail17trampoline_kernelINS0_14default_configENS1_35radix_sort_onesweep_config_selectorItNS0_10empty_typeEEEZZNS1_29radix_sort_onesweep_iterationIS3_Lb1EPKtPtPS5_SB_mNS0_19identity_decomposerENS1_16block_id_wrapperIjLb1EEEEE10hipError_tT1_PNSt15iterator_traitsISG_E10value_typeET2_T3_PNSH_ISM_E10value_typeET4_T5_PSR_SS_PNS1_23onesweep_lookback_stateEbbT6_jjT7_P12ihipStream_tbENKUlT_T0_SG_SL_E_clISA_SA_SB_SB_EEDaSZ_S10_SG_SL_EUlSZ_E_NS1_11comp_targetILNS1_3genE10ELNS1_11target_archE1201ELNS1_3gpuE5ELNS1_3repE0EEENS1_47radix_sort_onesweep_sort_config_static_selectorELNS0_4arch9wavefront6targetE0EEEvSG_.kd
    .uniform_work_group_size: 1
    .uses_dynamic_stack: false
    .vgpr_count:     0
    .vgpr_spill_count: 0
    .wavefront_size: 32
  - .args:
      - .offset:         0
        .size:           88
        .value_kind:     by_value
    .group_segment_fixed_size: 0
    .kernarg_segment_align: 8
    .kernarg_segment_size: 88
    .language:       OpenCL C
    .language_version:
      - 2
      - 0
    .max_flat_workgroup_size: 256
    .name:           _ZN7rocprim17ROCPRIM_400000_NS6detail17trampoline_kernelINS0_14default_configENS1_35radix_sort_onesweep_config_selectorItNS0_10empty_typeEEEZZNS1_29radix_sort_onesweep_iterationIS3_Lb1EPKtPtPS5_SB_mNS0_19identity_decomposerENS1_16block_id_wrapperIjLb1EEEEE10hipError_tT1_PNSt15iterator_traitsISG_E10value_typeET2_T3_PNSH_ISM_E10value_typeET4_T5_PSR_SS_PNS1_23onesweep_lookback_stateEbbT6_jjT7_P12ihipStream_tbENKUlT_T0_SG_SL_E_clISA_SA_SB_SB_EEDaSZ_S10_SG_SL_EUlSZ_E_NS1_11comp_targetILNS1_3genE9ELNS1_11target_archE1100ELNS1_3gpuE3ELNS1_3repE0EEENS1_47radix_sort_onesweep_sort_config_static_selectorELNS0_4arch9wavefront6targetE0EEEvSG_
    .private_segment_fixed_size: 0
    .sgpr_count:     0
    .sgpr_spill_count: 0
    .symbol:         _ZN7rocprim17ROCPRIM_400000_NS6detail17trampoline_kernelINS0_14default_configENS1_35radix_sort_onesweep_config_selectorItNS0_10empty_typeEEEZZNS1_29radix_sort_onesweep_iterationIS3_Lb1EPKtPtPS5_SB_mNS0_19identity_decomposerENS1_16block_id_wrapperIjLb1EEEEE10hipError_tT1_PNSt15iterator_traitsISG_E10value_typeET2_T3_PNSH_ISM_E10value_typeET4_T5_PSR_SS_PNS1_23onesweep_lookback_stateEbbT6_jjT7_P12ihipStream_tbENKUlT_T0_SG_SL_E_clISA_SA_SB_SB_EEDaSZ_S10_SG_SL_EUlSZ_E_NS1_11comp_targetILNS1_3genE9ELNS1_11target_archE1100ELNS1_3gpuE3ELNS1_3repE0EEENS1_47radix_sort_onesweep_sort_config_static_selectorELNS0_4arch9wavefront6targetE0EEEvSG_.kd
    .uniform_work_group_size: 1
    .uses_dynamic_stack: false
    .vgpr_count:     0
    .vgpr_spill_count: 0
    .wavefront_size: 32
  - .args:
      - .offset:         0
        .size:           88
        .value_kind:     by_value
    .group_segment_fixed_size: 0
    .kernarg_segment_align: 8
    .kernarg_segment_size: 88
    .language:       OpenCL C
    .language_version:
      - 2
      - 0
    .max_flat_workgroup_size: 256
    .name:           _ZN7rocprim17ROCPRIM_400000_NS6detail17trampoline_kernelINS0_14default_configENS1_35radix_sort_onesweep_config_selectorItNS0_10empty_typeEEEZZNS1_29radix_sort_onesweep_iterationIS3_Lb1EPKtPtPS5_SB_mNS0_19identity_decomposerENS1_16block_id_wrapperIjLb1EEEEE10hipError_tT1_PNSt15iterator_traitsISG_E10value_typeET2_T3_PNSH_ISM_E10value_typeET4_T5_PSR_SS_PNS1_23onesweep_lookback_stateEbbT6_jjT7_P12ihipStream_tbENKUlT_T0_SG_SL_E_clISA_SA_SB_SB_EEDaSZ_S10_SG_SL_EUlSZ_E_NS1_11comp_targetILNS1_3genE8ELNS1_11target_archE1030ELNS1_3gpuE2ELNS1_3repE0EEENS1_47radix_sort_onesweep_sort_config_static_selectorELNS0_4arch9wavefront6targetE0EEEvSG_
    .private_segment_fixed_size: 0
    .sgpr_count:     0
    .sgpr_spill_count: 0
    .symbol:         _ZN7rocprim17ROCPRIM_400000_NS6detail17trampoline_kernelINS0_14default_configENS1_35radix_sort_onesweep_config_selectorItNS0_10empty_typeEEEZZNS1_29radix_sort_onesweep_iterationIS3_Lb1EPKtPtPS5_SB_mNS0_19identity_decomposerENS1_16block_id_wrapperIjLb1EEEEE10hipError_tT1_PNSt15iterator_traitsISG_E10value_typeET2_T3_PNSH_ISM_E10value_typeET4_T5_PSR_SS_PNS1_23onesweep_lookback_stateEbbT6_jjT7_P12ihipStream_tbENKUlT_T0_SG_SL_E_clISA_SA_SB_SB_EEDaSZ_S10_SG_SL_EUlSZ_E_NS1_11comp_targetILNS1_3genE8ELNS1_11target_archE1030ELNS1_3gpuE2ELNS1_3repE0EEENS1_47radix_sort_onesweep_sort_config_static_selectorELNS0_4arch9wavefront6targetE0EEEvSG_.kd
    .uniform_work_group_size: 1
    .uses_dynamic_stack: false
    .vgpr_count:     0
    .vgpr_spill_count: 0
    .wavefront_size: 32
  - .args:
      - .offset:         0
        .size:           88
        .value_kind:     by_value
      - .offset:         88
        .size:           4
        .value_kind:     hidden_block_count_x
      - .offset:         92
        .size:           4
        .value_kind:     hidden_block_count_y
      - .offset:         96
        .size:           4
        .value_kind:     hidden_block_count_z
      - .offset:         100
        .size:           2
        .value_kind:     hidden_group_size_x
      - .offset:         102
        .size:           2
        .value_kind:     hidden_group_size_y
      - .offset:         104
        .size:           2
        .value_kind:     hidden_group_size_z
      - .offset:         106
        .size:           2
        .value_kind:     hidden_remainder_x
      - .offset:         108
        .size:           2
        .value_kind:     hidden_remainder_y
      - .offset:         110
        .size:           2
        .value_kind:     hidden_remainder_z
      - .offset:         128
        .size:           8
        .value_kind:     hidden_global_offset_x
      - .offset:         136
        .size:           8
        .value_kind:     hidden_global_offset_y
      - .offset:         144
        .size:           8
        .value_kind:     hidden_global_offset_z
      - .offset:         152
        .size:           2
        .value_kind:     hidden_grid_dims
    .group_segment_fixed_size: 18504
    .kernarg_segment_align: 8
    .kernarg_segment_size: 344
    .language:       OpenCL C
    .language_version:
      - 2
      - 0
    .max_flat_workgroup_size: 512
    .name:           _ZN7rocprim17ROCPRIM_400000_NS6detail17trampoline_kernelINS0_14default_configENS1_35radix_sort_onesweep_config_selectorItNS0_10empty_typeEEEZZNS1_29radix_sort_onesweep_iterationIS3_Lb1EPKtPtPS5_SB_mNS0_19identity_decomposerENS1_16block_id_wrapperIjLb0EEEEE10hipError_tT1_PNSt15iterator_traitsISG_E10value_typeET2_T3_PNSH_ISM_E10value_typeET4_T5_PSR_SS_PNS1_23onesweep_lookback_stateEbbT6_jjT7_P12ihipStream_tbENKUlT_T0_SG_SL_E_clIS9_SA_SB_SB_EEDaSZ_S10_SG_SL_EUlSZ_E_NS1_11comp_targetILNS1_3genE0ELNS1_11target_archE4294967295ELNS1_3gpuE0ELNS1_3repE0EEENS1_47radix_sort_onesweep_sort_config_static_selectorELNS0_4arch9wavefront6targetE0EEEvSG_
    .private_segment_fixed_size: 0
    .sgpr_count:     31
    .sgpr_spill_count: 0
    .symbol:         _ZN7rocprim17ROCPRIM_400000_NS6detail17trampoline_kernelINS0_14default_configENS1_35radix_sort_onesweep_config_selectorItNS0_10empty_typeEEEZZNS1_29radix_sort_onesweep_iterationIS3_Lb1EPKtPtPS5_SB_mNS0_19identity_decomposerENS1_16block_id_wrapperIjLb0EEEEE10hipError_tT1_PNSt15iterator_traitsISG_E10value_typeET2_T3_PNSH_ISM_E10value_typeET4_T5_PSR_SS_PNS1_23onesweep_lookback_stateEbbT6_jjT7_P12ihipStream_tbENKUlT_T0_SG_SL_E_clIS9_SA_SB_SB_EEDaSZ_S10_SG_SL_EUlSZ_E_NS1_11comp_targetILNS1_3genE0ELNS1_11target_archE4294967295ELNS1_3gpuE0ELNS1_3repE0EEENS1_47radix_sort_onesweep_sort_config_static_selectorELNS0_4arch9wavefront6targetE0EEEvSG_.kd
    .uniform_work_group_size: 1
    .uses_dynamic_stack: false
    .vgpr_count:     65
    .vgpr_spill_count: 0
    .wavefront_size: 32
  - .args:
      - .offset:         0
        .size:           88
        .value_kind:     by_value
    .group_segment_fixed_size: 0
    .kernarg_segment_align: 8
    .kernarg_segment_size: 88
    .language:       OpenCL C
    .language_version:
      - 2
      - 0
    .max_flat_workgroup_size: 1024
    .name:           _ZN7rocprim17ROCPRIM_400000_NS6detail17trampoline_kernelINS0_14default_configENS1_35radix_sort_onesweep_config_selectorItNS0_10empty_typeEEEZZNS1_29radix_sort_onesweep_iterationIS3_Lb1EPKtPtPS5_SB_mNS0_19identity_decomposerENS1_16block_id_wrapperIjLb0EEEEE10hipError_tT1_PNSt15iterator_traitsISG_E10value_typeET2_T3_PNSH_ISM_E10value_typeET4_T5_PSR_SS_PNS1_23onesweep_lookback_stateEbbT6_jjT7_P12ihipStream_tbENKUlT_T0_SG_SL_E_clIS9_SA_SB_SB_EEDaSZ_S10_SG_SL_EUlSZ_E_NS1_11comp_targetILNS1_3genE6ELNS1_11target_archE950ELNS1_3gpuE13ELNS1_3repE0EEENS1_47radix_sort_onesweep_sort_config_static_selectorELNS0_4arch9wavefront6targetE0EEEvSG_
    .private_segment_fixed_size: 0
    .sgpr_count:     0
    .sgpr_spill_count: 0
    .symbol:         _ZN7rocprim17ROCPRIM_400000_NS6detail17trampoline_kernelINS0_14default_configENS1_35radix_sort_onesweep_config_selectorItNS0_10empty_typeEEEZZNS1_29radix_sort_onesweep_iterationIS3_Lb1EPKtPtPS5_SB_mNS0_19identity_decomposerENS1_16block_id_wrapperIjLb0EEEEE10hipError_tT1_PNSt15iterator_traitsISG_E10value_typeET2_T3_PNSH_ISM_E10value_typeET4_T5_PSR_SS_PNS1_23onesweep_lookback_stateEbbT6_jjT7_P12ihipStream_tbENKUlT_T0_SG_SL_E_clIS9_SA_SB_SB_EEDaSZ_S10_SG_SL_EUlSZ_E_NS1_11comp_targetILNS1_3genE6ELNS1_11target_archE950ELNS1_3gpuE13ELNS1_3repE0EEENS1_47radix_sort_onesweep_sort_config_static_selectorELNS0_4arch9wavefront6targetE0EEEvSG_.kd
    .uniform_work_group_size: 1
    .uses_dynamic_stack: false
    .vgpr_count:     0
    .vgpr_spill_count: 0
    .wavefront_size: 32
  - .args:
      - .offset:         0
        .size:           88
        .value_kind:     by_value
    .group_segment_fixed_size: 0
    .kernarg_segment_align: 8
    .kernarg_segment_size: 88
    .language:       OpenCL C
    .language_version:
      - 2
      - 0
    .max_flat_workgroup_size: 1024
    .name:           _ZN7rocprim17ROCPRIM_400000_NS6detail17trampoline_kernelINS0_14default_configENS1_35radix_sort_onesweep_config_selectorItNS0_10empty_typeEEEZZNS1_29radix_sort_onesweep_iterationIS3_Lb1EPKtPtPS5_SB_mNS0_19identity_decomposerENS1_16block_id_wrapperIjLb0EEEEE10hipError_tT1_PNSt15iterator_traitsISG_E10value_typeET2_T3_PNSH_ISM_E10value_typeET4_T5_PSR_SS_PNS1_23onesweep_lookback_stateEbbT6_jjT7_P12ihipStream_tbENKUlT_T0_SG_SL_E_clIS9_SA_SB_SB_EEDaSZ_S10_SG_SL_EUlSZ_E_NS1_11comp_targetILNS1_3genE5ELNS1_11target_archE942ELNS1_3gpuE9ELNS1_3repE0EEENS1_47radix_sort_onesweep_sort_config_static_selectorELNS0_4arch9wavefront6targetE0EEEvSG_
    .private_segment_fixed_size: 0
    .sgpr_count:     0
    .sgpr_spill_count: 0
    .symbol:         _ZN7rocprim17ROCPRIM_400000_NS6detail17trampoline_kernelINS0_14default_configENS1_35radix_sort_onesweep_config_selectorItNS0_10empty_typeEEEZZNS1_29radix_sort_onesweep_iterationIS3_Lb1EPKtPtPS5_SB_mNS0_19identity_decomposerENS1_16block_id_wrapperIjLb0EEEEE10hipError_tT1_PNSt15iterator_traitsISG_E10value_typeET2_T3_PNSH_ISM_E10value_typeET4_T5_PSR_SS_PNS1_23onesweep_lookback_stateEbbT6_jjT7_P12ihipStream_tbENKUlT_T0_SG_SL_E_clIS9_SA_SB_SB_EEDaSZ_S10_SG_SL_EUlSZ_E_NS1_11comp_targetILNS1_3genE5ELNS1_11target_archE942ELNS1_3gpuE9ELNS1_3repE0EEENS1_47radix_sort_onesweep_sort_config_static_selectorELNS0_4arch9wavefront6targetE0EEEvSG_.kd
    .uniform_work_group_size: 1
    .uses_dynamic_stack: false
    .vgpr_count:     0
    .vgpr_spill_count: 0
    .wavefront_size: 32
  - .args:
      - .offset:         0
        .size:           88
        .value_kind:     by_value
    .group_segment_fixed_size: 0
    .kernarg_segment_align: 8
    .kernarg_segment_size: 88
    .language:       OpenCL C
    .language_version:
      - 2
      - 0
    .max_flat_workgroup_size: 512
    .name:           _ZN7rocprim17ROCPRIM_400000_NS6detail17trampoline_kernelINS0_14default_configENS1_35radix_sort_onesweep_config_selectorItNS0_10empty_typeEEEZZNS1_29radix_sort_onesweep_iterationIS3_Lb1EPKtPtPS5_SB_mNS0_19identity_decomposerENS1_16block_id_wrapperIjLb0EEEEE10hipError_tT1_PNSt15iterator_traitsISG_E10value_typeET2_T3_PNSH_ISM_E10value_typeET4_T5_PSR_SS_PNS1_23onesweep_lookback_stateEbbT6_jjT7_P12ihipStream_tbENKUlT_T0_SG_SL_E_clIS9_SA_SB_SB_EEDaSZ_S10_SG_SL_EUlSZ_E_NS1_11comp_targetILNS1_3genE2ELNS1_11target_archE906ELNS1_3gpuE6ELNS1_3repE0EEENS1_47radix_sort_onesweep_sort_config_static_selectorELNS0_4arch9wavefront6targetE0EEEvSG_
    .private_segment_fixed_size: 0
    .sgpr_count:     0
    .sgpr_spill_count: 0
    .symbol:         _ZN7rocprim17ROCPRIM_400000_NS6detail17trampoline_kernelINS0_14default_configENS1_35radix_sort_onesweep_config_selectorItNS0_10empty_typeEEEZZNS1_29radix_sort_onesweep_iterationIS3_Lb1EPKtPtPS5_SB_mNS0_19identity_decomposerENS1_16block_id_wrapperIjLb0EEEEE10hipError_tT1_PNSt15iterator_traitsISG_E10value_typeET2_T3_PNSH_ISM_E10value_typeET4_T5_PSR_SS_PNS1_23onesweep_lookback_stateEbbT6_jjT7_P12ihipStream_tbENKUlT_T0_SG_SL_E_clIS9_SA_SB_SB_EEDaSZ_S10_SG_SL_EUlSZ_E_NS1_11comp_targetILNS1_3genE2ELNS1_11target_archE906ELNS1_3gpuE6ELNS1_3repE0EEENS1_47radix_sort_onesweep_sort_config_static_selectorELNS0_4arch9wavefront6targetE0EEEvSG_.kd
    .uniform_work_group_size: 1
    .uses_dynamic_stack: false
    .vgpr_count:     0
    .vgpr_spill_count: 0
    .wavefront_size: 32
  - .args:
      - .offset:         0
        .size:           88
        .value_kind:     by_value
    .group_segment_fixed_size: 0
    .kernarg_segment_align: 8
    .kernarg_segment_size: 88
    .language:       OpenCL C
    .language_version:
      - 2
      - 0
    .max_flat_workgroup_size: 1024
    .name:           _ZN7rocprim17ROCPRIM_400000_NS6detail17trampoline_kernelINS0_14default_configENS1_35radix_sort_onesweep_config_selectorItNS0_10empty_typeEEEZZNS1_29radix_sort_onesweep_iterationIS3_Lb1EPKtPtPS5_SB_mNS0_19identity_decomposerENS1_16block_id_wrapperIjLb0EEEEE10hipError_tT1_PNSt15iterator_traitsISG_E10value_typeET2_T3_PNSH_ISM_E10value_typeET4_T5_PSR_SS_PNS1_23onesweep_lookback_stateEbbT6_jjT7_P12ihipStream_tbENKUlT_T0_SG_SL_E_clIS9_SA_SB_SB_EEDaSZ_S10_SG_SL_EUlSZ_E_NS1_11comp_targetILNS1_3genE4ELNS1_11target_archE910ELNS1_3gpuE8ELNS1_3repE0EEENS1_47radix_sort_onesweep_sort_config_static_selectorELNS0_4arch9wavefront6targetE0EEEvSG_
    .private_segment_fixed_size: 0
    .sgpr_count:     0
    .sgpr_spill_count: 0
    .symbol:         _ZN7rocprim17ROCPRIM_400000_NS6detail17trampoline_kernelINS0_14default_configENS1_35radix_sort_onesweep_config_selectorItNS0_10empty_typeEEEZZNS1_29radix_sort_onesweep_iterationIS3_Lb1EPKtPtPS5_SB_mNS0_19identity_decomposerENS1_16block_id_wrapperIjLb0EEEEE10hipError_tT1_PNSt15iterator_traitsISG_E10value_typeET2_T3_PNSH_ISM_E10value_typeET4_T5_PSR_SS_PNS1_23onesweep_lookback_stateEbbT6_jjT7_P12ihipStream_tbENKUlT_T0_SG_SL_E_clIS9_SA_SB_SB_EEDaSZ_S10_SG_SL_EUlSZ_E_NS1_11comp_targetILNS1_3genE4ELNS1_11target_archE910ELNS1_3gpuE8ELNS1_3repE0EEENS1_47radix_sort_onesweep_sort_config_static_selectorELNS0_4arch9wavefront6targetE0EEEvSG_.kd
    .uniform_work_group_size: 1
    .uses_dynamic_stack: false
    .vgpr_count:     0
    .vgpr_spill_count: 0
    .wavefront_size: 32
  - .args:
      - .offset:         0
        .size:           88
        .value_kind:     by_value
    .group_segment_fixed_size: 0
    .kernarg_segment_align: 8
    .kernarg_segment_size: 88
    .language:       OpenCL C
    .language_version:
      - 2
      - 0
    .max_flat_workgroup_size: 512
    .name:           _ZN7rocprim17ROCPRIM_400000_NS6detail17trampoline_kernelINS0_14default_configENS1_35radix_sort_onesweep_config_selectorItNS0_10empty_typeEEEZZNS1_29radix_sort_onesweep_iterationIS3_Lb1EPKtPtPS5_SB_mNS0_19identity_decomposerENS1_16block_id_wrapperIjLb0EEEEE10hipError_tT1_PNSt15iterator_traitsISG_E10value_typeET2_T3_PNSH_ISM_E10value_typeET4_T5_PSR_SS_PNS1_23onesweep_lookback_stateEbbT6_jjT7_P12ihipStream_tbENKUlT_T0_SG_SL_E_clIS9_SA_SB_SB_EEDaSZ_S10_SG_SL_EUlSZ_E_NS1_11comp_targetILNS1_3genE3ELNS1_11target_archE908ELNS1_3gpuE7ELNS1_3repE0EEENS1_47radix_sort_onesweep_sort_config_static_selectorELNS0_4arch9wavefront6targetE0EEEvSG_
    .private_segment_fixed_size: 0
    .sgpr_count:     0
    .sgpr_spill_count: 0
    .symbol:         _ZN7rocprim17ROCPRIM_400000_NS6detail17trampoline_kernelINS0_14default_configENS1_35radix_sort_onesweep_config_selectorItNS0_10empty_typeEEEZZNS1_29radix_sort_onesweep_iterationIS3_Lb1EPKtPtPS5_SB_mNS0_19identity_decomposerENS1_16block_id_wrapperIjLb0EEEEE10hipError_tT1_PNSt15iterator_traitsISG_E10value_typeET2_T3_PNSH_ISM_E10value_typeET4_T5_PSR_SS_PNS1_23onesweep_lookback_stateEbbT6_jjT7_P12ihipStream_tbENKUlT_T0_SG_SL_E_clIS9_SA_SB_SB_EEDaSZ_S10_SG_SL_EUlSZ_E_NS1_11comp_targetILNS1_3genE3ELNS1_11target_archE908ELNS1_3gpuE7ELNS1_3repE0EEENS1_47radix_sort_onesweep_sort_config_static_selectorELNS0_4arch9wavefront6targetE0EEEvSG_.kd
    .uniform_work_group_size: 1
    .uses_dynamic_stack: false
    .vgpr_count:     0
    .vgpr_spill_count: 0
    .wavefront_size: 32
  - .args:
      - .offset:         0
        .size:           88
        .value_kind:     by_value
    .group_segment_fixed_size: 0
    .kernarg_segment_align: 8
    .kernarg_segment_size: 88
    .language:       OpenCL C
    .language_version:
      - 2
      - 0
    .max_flat_workgroup_size: 256
    .name:           _ZN7rocprim17ROCPRIM_400000_NS6detail17trampoline_kernelINS0_14default_configENS1_35radix_sort_onesweep_config_selectorItNS0_10empty_typeEEEZZNS1_29radix_sort_onesweep_iterationIS3_Lb1EPKtPtPS5_SB_mNS0_19identity_decomposerENS1_16block_id_wrapperIjLb0EEEEE10hipError_tT1_PNSt15iterator_traitsISG_E10value_typeET2_T3_PNSH_ISM_E10value_typeET4_T5_PSR_SS_PNS1_23onesweep_lookback_stateEbbT6_jjT7_P12ihipStream_tbENKUlT_T0_SG_SL_E_clIS9_SA_SB_SB_EEDaSZ_S10_SG_SL_EUlSZ_E_NS1_11comp_targetILNS1_3genE10ELNS1_11target_archE1201ELNS1_3gpuE5ELNS1_3repE0EEENS1_47radix_sort_onesweep_sort_config_static_selectorELNS0_4arch9wavefront6targetE0EEEvSG_
    .private_segment_fixed_size: 0
    .sgpr_count:     0
    .sgpr_spill_count: 0
    .symbol:         _ZN7rocprim17ROCPRIM_400000_NS6detail17trampoline_kernelINS0_14default_configENS1_35radix_sort_onesweep_config_selectorItNS0_10empty_typeEEEZZNS1_29radix_sort_onesweep_iterationIS3_Lb1EPKtPtPS5_SB_mNS0_19identity_decomposerENS1_16block_id_wrapperIjLb0EEEEE10hipError_tT1_PNSt15iterator_traitsISG_E10value_typeET2_T3_PNSH_ISM_E10value_typeET4_T5_PSR_SS_PNS1_23onesweep_lookback_stateEbbT6_jjT7_P12ihipStream_tbENKUlT_T0_SG_SL_E_clIS9_SA_SB_SB_EEDaSZ_S10_SG_SL_EUlSZ_E_NS1_11comp_targetILNS1_3genE10ELNS1_11target_archE1201ELNS1_3gpuE5ELNS1_3repE0EEENS1_47radix_sort_onesweep_sort_config_static_selectorELNS0_4arch9wavefront6targetE0EEEvSG_.kd
    .uniform_work_group_size: 1
    .uses_dynamic_stack: false
    .vgpr_count:     0
    .vgpr_spill_count: 0
    .wavefront_size: 32
  - .args:
      - .offset:         0
        .size:           88
        .value_kind:     by_value
    .group_segment_fixed_size: 0
    .kernarg_segment_align: 8
    .kernarg_segment_size: 88
    .language:       OpenCL C
    .language_version:
      - 2
      - 0
    .max_flat_workgroup_size: 256
    .name:           _ZN7rocprim17ROCPRIM_400000_NS6detail17trampoline_kernelINS0_14default_configENS1_35radix_sort_onesweep_config_selectorItNS0_10empty_typeEEEZZNS1_29radix_sort_onesweep_iterationIS3_Lb1EPKtPtPS5_SB_mNS0_19identity_decomposerENS1_16block_id_wrapperIjLb0EEEEE10hipError_tT1_PNSt15iterator_traitsISG_E10value_typeET2_T3_PNSH_ISM_E10value_typeET4_T5_PSR_SS_PNS1_23onesweep_lookback_stateEbbT6_jjT7_P12ihipStream_tbENKUlT_T0_SG_SL_E_clIS9_SA_SB_SB_EEDaSZ_S10_SG_SL_EUlSZ_E_NS1_11comp_targetILNS1_3genE9ELNS1_11target_archE1100ELNS1_3gpuE3ELNS1_3repE0EEENS1_47radix_sort_onesweep_sort_config_static_selectorELNS0_4arch9wavefront6targetE0EEEvSG_
    .private_segment_fixed_size: 0
    .sgpr_count:     0
    .sgpr_spill_count: 0
    .symbol:         _ZN7rocprim17ROCPRIM_400000_NS6detail17trampoline_kernelINS0_14default_configENS1_35radix_sort_onesweep_config_selectorItNS0_10empty_typeEEEZZNS1_29radix_sort_onesweep_iterationIS3_Lb1EPKtPtPS5_SB_mNS0_19identity_decomposerENS1_16block_id_wrapperIjLb0EEEEE10hipError_tT1_PNSt15iterator_traitsISG_E10value_typeET2_T3_PNSH_ISM_E10value_typeET4_T5_PSR_SS_PNS1_23onesweep_lookback_stateEbbT6_jjT7_P12ihipStream_tbENKUlT_T0_SG_SL_E_clIS9_SA_SB_SB_EEDaSZ_S10_SG_SL_EUlSZ_E_NS1_11comp_targetILNS1_3genE9ELNS1_11target_archE1100ELNS1_3gpuE3ELNS1_3repE0EEENS1_47radix_sort_onesweep_sort_config_static_selectorELNS0_4arch9wavefront6targetE0EEEvSG_.kd
    .uniform_work_group_size: 1
    .uses_dynamic_stack: false
    .vgpr_count:     0
    .vgpr_spill_count: 0
    .wavefront_size: 32
  - .args:
      - .offset:         0
        .size:           88
        .value_kind:     by_value
    .group_segment_fixed_size: 0
    .kernarg_segment_align: 8
    .kernarg_segment_size: 88
    .language:       OpenCL C
    .language_version:
      - 2
      - 0
    .max_flat_workgroup_size: 256
    .name:           _ZN7rocprim17ROCPRIM_400000_NS6detail17trampoline_kernelINS0_14default_configENS1_35radix_sort_onesweep_config_selectorItNS0_10empty_typeEEEZZNS1_29radix_sort_onesweep_iterationIS3_Lb1EPKtPtPS5_SB_mNS0_19identity_decomposerENS1_16block_id_wrapperIjLb0EEEEE10hipError_tT1_PNSt15iterator_traitsISG_E10value_typeET2_T3_PNSH_ISM_E10value_typeET4_T5_PSR_SS_PNS1_23onesweep_lookback_stateEbbT6_jjT7_P12ihipStream_tbENKUlT_T0_SG_SL_E_clIS9_SA_SB_SB_EEDaSZ_S10_SG_SL_EUlSZ_E_NS1_11comp_targetILNS1_3genE8ELNS1_11target_archE1030ELNS1_3gpuE2ELNS1_3repE0EEENS1_47radix_sort_onesweep_sort_config_static_selectorELNS0_4arch9wavefront6targetE0EEEvSG_
    .private_segment_fixed_size: 0
    .sgpr_count:     0
    .sgpr_spill_count: 0
    .symbol:         _ZN7rocprim17ROCPRIM_400000_NS6detail17trampoline_kernelINS0_14default_configENS1_35radix_sort_onesweep_config_selectorItNS0_10empty_typeEEEZZNS1_29radix_sort_onesweep_iterationIS3_Lb1EPKtPtPS5_SB_mNS0_19identity_decomposerENS1_16block_id_wrapperIjLb0EEEEE10hipError_tT1_PNSt15iterator_traitsISG_E10value_typeET2_T3_PNSH_ISM_E10value_typeET4_T5_PSR_SS_PNS1_23onesweep_lookback_stateEbbT6_jjT7_P12ihipStream_tbENKUlT_T0_SG_SL_E_clIS9_SA_SB_SB_EEDaSZ_S10_SG_SL_EUlSZ_E_NS1_11comp_targetILNS1_3genE8ELNS1_11target_archE1030ELNS1_3gpuE2ELNS1_3repE0EEENS1_47radix_sort_onesweep_sort_config_static_selectorELNS0_4arch9wavefront6targetE0EEEvSG_.kd
    .uniform_work_group_size: 1
    .uses_dynamic_stack: false
    .vgpr_count:     0
    .vgpr_spill_count: 0
    .wavefront_size: 32
  - .args:
      - .offset:         0
        .size:           88
        .value_kind:     by_value
      - .offset:         88
        .size:           4
        .value_kind:     hidden_block_count_x
      - .offset:         92
        .size:           4
        .value_kind:     hidden_block_count_y
      - .offset:         96
        .size:           4
        .value_kind:     hidden_block_count_z
      - .offset:         100
        .size:           2
        .value_kind:     hidden_group_size_x
      - .offset:         102
        .size:           2
        .value_kind:     hidden_group_size_y
      - .offset:         104
        .size:           2
        .value_kind:     hidden_group_size_z
      - .offset:         106
        .size:           2
        .value_kind:     hidden_remainder_x
      - .offset:         108
        .size:           2
        .value_kind:     hidden_remainder_y
      - .offset:         110
        .size:           2
        .value_kind:     hidden_remainder_z
      - .offset:         128
        .size:           8
        .value_kind:     hidden_global_offset_x
      - .offset:         136
        .size:           8
        .value_kind:     hidden_global_offset_y
      - .offset:         144
        .size:           8
        .value_kind:     hidden_global_offset_z
      - .offset:         152
        .size:           2
        .value_kind:     hidden_grid_dims
    .group_segment_fixed_size: 18504
    .kernarg_segment_align: 8
    .kernarg_segment_size: 344
    .language:       OpenCL C
    .language_version:
      - 2
      - 0
    .max_flat_workgroup_size: 512
    .name:           _ZN7rocprim17ROCPRIM_400000_NS6detail17trampoline_kernelINS0_14default_configENS1_35radix_sort_onesweep_config_selectorItNS0_10empty_typeEEEZZNS1_29radix_sort_onesweep_iterationIS3_Lb1EPKtPtPS5_SB_mNS0_19identity_decomposerENS1_16block_id_wrapperIjLb0EEEEE10hipError_tT1_PNSt15iterator_traitsISG_E10value_typeET2_T3_PNSH_ISM_E10value_typeET4_T5_PSR_SS_PNS1_23onesweep_lookback_stateEbbT6_jjT7_P12ihipStream_tbENKUlT_T0_SG_SL_E_clISA_SA_SB_SB_EEDaSZ_S10_SG_SL_EUlSZ_E_NS1_11comp_targetILNS1_3genE0ELNS1_11target_archE4294967295ELNS1_3gpuE0ELNS1_3repE0EEENS1_47radix_sort_onesweep_sort_config_static_selectorELNS0_4arch9wavefront6targetE0EEEvSG_
    .private_segment_fixed_size: 0
    .sgpr_count:     31
    .sgpr_spill_count: 0
    .symbol:         _ZN7rocprim17ROCPRIM_400000_NS6detail17trampoline_kernelINS0_14default_configENS1_35radix_sort_onesweep_config_selectorItNS0_10empty_typeEEEZZNS1_29radix_sort_onesweep_iterationIS3_Lb1EPKtPtPS5_SB_mNS0_19identity_decomposerENS1_16block_id_wrapperIjLb0EEEEE10hipError_tT1_PNSt15iterator_traitsISG_E10value_typeET2_T3_PNSH_ISM_E10value_typeET4_T5_PSR_SS_PNS1_23onesweep_lookback_stateEbbT6_jjT7_P12ihipStream_tbENKUlT_T0_SG_SL_E_clISA_SA_SB_SB_EEDaSZ_S10_SG_SL_EUlSZ_E_NS1_11comp_targetILNS1_3genE0ELNS1_11target_archE4294967295ELNS1_3gpuE0ELNS1_3repE0EEENS1_47radix_sort_onesweep_sort_config_static_selectorELNS0_4arch9wavefront6targetE0EEEvSG_.kd
    .uniform_work_group_size: 1
    .uses_dynamic_stack: false
    .vgpr_count:     65
    .vgpr_spill_count: 0
    .wavefront_size: 32
  - .args:
      - .offset:         0
        .size:           88
        .value_kind:     by_value
    .group_segment_fixed_size: 0
    .kernarg_segment_align: 8
    .kernarg_segment_size: 88
    .language:       OpenCL C
    .language_version:
      - 2
      - 0
    .max_flat_workgroup_size: 1024
    .name:           _ZN7rocprim17ROCPRIM_400000_NS6detail17trampoline_kernelINS0_14default_configENS1_35radix_sort_onesweep_config_selectorItNS0_10empty_typeEEEZZNS1_29radix_sort_onesweep_iterationIS3_Lb1EPKtPtPS5_SB_mNS0_19identity_decomposerENS1_16block_id_wrapperIjLb0EEEEE10hipError_tT1_PNSt15iterator_traitsISG_E10value_typeET2_T3_PNSH_ISM_E10value_typeET4_T5_PSR_SS_PNS1_23onesweep_lookback_stateEbbT6_jjT7_P12ihipStream_tbENKUlT_T0_SG_SL_E_clISA_SA_SB_SB_EEDaSZ_S10_SG_SL_EUlSZ_E_NS1_11comp_targetILNS1_3genE6ELNS1_11target_archE950ELNS1_3gpuE13ELNS1_3repE0EEENS1_47radix_sort_onesweep_sort_config_static_selectorELNS0_4arch9wavefront6targetE0EEEvSG_
    .private_segment_fixed_size: 0
    .sgpr_count:     0
    .sgpr_spill_count: 0
    .symbol:         _ZN7rocprim17ROCPRIM_400000_NS6detail17trampoline_kernelINS0_14default_configENS1_35radix_sort_onesweep_config_selectorItNS0_10empty_typeEEEZZNS1_29radix_sort_onesweep_iterationIS3_Lb1EPKtPtPS5_SB_mNS0_19identity_decomposerENS1_16block_id_wrapperIjLb0EEEEE10hipError_tT1_PNSt15iterator_traitsISG_E10value_typeET2_T3_PNSH_ISM_E10value_typeET4_T5_PSR_SS_PNS1_23onesweep_lookback_stateEbbT6_jjT7_P12ihipStream_tbENKUlT_T0_SG_SL_E_clISA_SA_SB_SB_EEDaSZ_S10_SG_SL_EUlSZ_E_NS1_11comp_targetILNS1_3genE6ELNS1_11target_archE950ELNS1_3gpuE13ELNS1_3repE0EEENS1_47radix_sort_onesweep_sort_config_static_selectorELNS0_4arch9wavefront6targetE0EEEvSG_.kd
    .uniform_work_group_size: 1
    .uses_dynamic_stack: false
    .vgpr_count:     0
    .vgpr_spill_count: 0
    .wavefront_size: 32
  - .args:
      - .offset:         0
        .size:           88
        .value_kind:     by_value
    .group_segment_fixed_size: 0
    .kernarg_segment_align: 8
    .kernarg_segment_size: 88
    .language:       OpenCL C
    .language_version:
      - 2
      - 0
    .max_flat_workgroup_size: 1024
    .name:           _ZN7rocprim17ROCPRIM_400000_NS6detail17trampoline_kernelINS0_14default_configENS1_35radix_sort_onesweep_config_selectorItNS0_10empty_typeEEEZZNS1_29radix_sort_onesweep_iterationIS3_Lb1EPKtPtPS5_SB_mNS0_19identity_decomposerENS1_16block_id_wrapperIjLb0EEEEE10hipError_tT1_PNSt15iterator_traitsISG_E10value_typeET2_T3_PNSH_ISM_E10value_typeET4_T5_PSR_SS_PNS1_23onesweep_lookback_stateEbbT6_jjT7_P12ihipStream_tbENKUlT_T0_SG_SL_E_clISA_SA_SB_SB_EEDaSZ_S10_SG_SL_EUlSZ_E_NS1_11comp_targetILNS1_3genE5ELNS1_11target_archE942ELNS1_3gpuE9ELNS1_3repE0EEENS1_47radix_sort_onesweep_sort_config_static_selectorELNS0_4arch9wavefront6targetE0EEEvSG_
    .private_segment_fixed_size: 0
    .sgpr_count:     0
    .sgpr_spill_count: 0
    .symbol:         _ZN7rocprim17ROCPRIM_400000_NS6detail17trampoline_kernelINS0_14default_configENS1_35radix_sort_onesweep_config_selectorItNS0_10empty_typeEEEZZNS1_29radix_sort_onesweep_iterationIS3_Lb1EPKtPtPS5_SB_mNS0_19identity_decomposerENS1_16block_id_wrapperIjLb0EEEEE10hipError_tT1_PNSt15iterator_traitsISG_E10value_typeET2_T3_PNSH_ISM_E10value_typeET4_T5_PSR_SS_PNS1_23onesweep_lookback_stateEbbT6_jjT7_P12ihipStream_tbENKUlT_T0_SG_SL_E_clISA_SA_SB_SB_EEDaSZ_S10_SG_SL_EUlSZ_E_NS1_11comp_targetILNS1_3genE5ELNS1_11target_archE942ELNS1_3gpuE9ELNS1_3repE0EEENS1_47radix_sort_onesweep_sort_config_static_selectorELNS0_4arch9wavefront6targetE0EEEvSG_.kd
    .uniform_work_group_size: 1
    .uses_dynamic_stack: false
    .vgpr_count:     0
    .vgpr_spill_count: 0
    .wavefront_size: 32
  - .args:
      - .offset:         0
        .size:           88
        .value_kind:     by_value
    .group_segment_fixed_size: 0
    .kernarg_segment_align: 8
    .kernarg_segment_size: 88
    .language:       OpenCL C
    .language_version:
      - 2
      - 0
    .max_flat_workgroup_size: 512
    .name:           _ZN7rocprim17ROCPRIM_400000_NS6detail17trampoline_kernelINS0_14default_configENS1_35radix_sort_onesweep_config_selectorItNS0_10empty_typeEEEZZNS1_29radix_sort_onesweep_iterationIS3_Lb1EPKtPtPS5_SB_mNS0_19identity_decomposerENS1_16block_id_wrapperIjLb0EEEEE10hipError_tT1_PNSt15iterator_traitsISG_E10value_typeET2_T3_PNSH_ISM_E10value_typeET4_T5_PSR_SS_PNS1_23onesweep_lookback_stateEbbT6_jjT7_P12ihipStream_tbENKUlT_T0_SG_SL_E_clISA_SA_SB_SB_EEDaSZ_S10_SG_SL_EUlSZ_E_NS1_11comp_targetILNS1_3genE2ELNS1_11target_archE906ELNS1_3gpuE6ELNS1_3repE0EEENS1_47radix_sort_onesweep_sort_config_static_selectorELNS0_4arch9wavefront6targetE0EEEvSG_
    .private_segment_fixed_size: 0
    .sgpr_count:     0
    .sgpr_spill_count: 0
    .symbol:         _ZN7rocprim17ROCPRIM_400000_NS6detail17trampoline_kernelINS0_14default_configENS1_35radix_sort_onesweep_config_selectorItNS0_10empty_typeEEEZZNS1_29radix_sort_onesweep_iterationIS3_Lb1EPKtPtPS5_SB_mNS0_19identity_decomposerENS1_16block_id_wrapperIjLb0EEEEE10hipError_tT1_PNSt15iterator_traitsISG_E10value_typeET2_T3_PNSH_ISM_E10value_typeET4_T5_PSR_SS_PNS1_23onesweep_lookback_stateEbbT6_jjT7_P12ihipStream_tbENKUlT_T0_SG_SL_E_clISA_SA_SB_SB_EEDaSZ_S10_SG_SL_EUlSZ_E_NS1_11comp_targetILNS1_3genE2ELNS1_11target_archE906ELNS1_3gpuE6ELNS1_3repE0EEENS1_47radix_sort_onesweep_sort_config_static_selectorELNS0_4arch9wavefront6targetE0EEEvSG_.kd
    .uniform_work_group_size: 1
    .uses_dynamic_stack: false
    .vgpr_count:     0
    .vgpr_spill_count: 0
    .wavefront_size: 32
  - .args:
      - .offset:         0
        .size:           88
        .value_kind:     by_value
    .group_segment_fixed_size: 0
    .kernarg_segment_align: 8
    .kernarg_segment_size: 88
    .language:       OpenCL C
    .language_version:
      - 2
      - 0
    .max_flat_workgroup_size: 1024
    .name:           _ZN7rocprim17ROCPRIM_400000_NS6detail17trampoline_kernelINS0_14default_configENS1_35radix_sort_onesweep_config_selectorItNS0_10empty_typeEEEZZNS1_29radix_sort_onesweep_iterationIS3_Lb1EPKtPtPS5_SB_mNS0_19identity_decomposerENS1_16block_id_wrapperIjLb0EEEEE10hipError_tT1_PNSt15iterator_traitsISG_E10value_typeET2_T3_PNSH_ISM_E10value_typeET4_T5_PSR_SS_PNS1_23onesweep_lookback_stateEbbT6_jjT7_P12ihipStream_tbENKUlT_T0_SG_SL_E_clISA_SA_SB_SB_EEDaSZ_S10_SG_SL_EUlSZ_E_NS1_11comp_targetILNS1_3genE4ELNS1_11target_archE910ELNS1_3gpuE8ELNS1_3repE0EEENS1_47radix_sort_onesweep_sort_config_static_selectorELNS0_4arch9wavefront6targetE0EEEvSG_
    .private_segment_fixed_size: 0
    .sgpr_count:     0
    .sgpr_spill_count: 0
    .symbol:         _ZN7rocprim17ROCPRIM_400000_NS6detail17trampoline_kernelINS0_14default_configENS1_35radix_sort_onesweep_config_selectorItNS0_10empty_typeEEEZZNS1_29radix_sort_onesweep_iterationIS3_Lb1EPKtPtPS5_SB_mNS0_19identity_decomposerENS1_16block_id_wrapperIjLb0EEEEE10hipError_tT1_PNSt15iterator_traitsISG_E10value_typeET2_T3_PNSH_ISM_E10value_typeET4_T5_PSR_SS_PNS1_23onesweep_lookback_stateEbbT6_jjT7_P12ihipStream_tbENKUlT_T0_SG_SL_E_clISA_SA_SB_SB_EEDaSZ_S10_SG_SL_EUlSZ_E_NS1_11comp_targetILNS1_3genE4ELNS1_11target_archE910ELNS1_3gpuE8ELNS1_3repE0EEENS1_47radix_sort_onesweep_sort_config_static_selectorELNS0_4arch9wavefront6targetE0EEEvSG_.kd
    .uniform_work_group_size: 1
    .uses_dynamic_stack: false
    .vgpr_count:     0
    .vgpr_spill_count: 0
    .wavefront_size: 32
  - .args:
      - .offset:         0
        .size:           88
        .value_kind:     by_value
    .group_segment_fixed_size: 0
    .kernarg_segment_align: 8
    .kernarg_segment_size: 88
    .language:       OpenCL C
    .language_version:
      - 2
      - 0
    .max_flat_workgroup_size: 512
    .name:           _ZN7rocprim17ROCPRIM_400000_NS6detail17trampoline_kernelINS0_14default_configENS1_35radix_sort_onesweep_config_selectorItNS0_10empty_typeEEEZZNS1_29radix_sort_onesweep_iterationIS3_Lb1EPKtPtPS5_SB_mNS0_19identity_decomposerENS1_16block_id_wrapperIjLb0EEEEE10hipError_tT1_PNSt15iterator_traitsISG_E10value_typeET2_T3_PNSH_ISM_E10value_typeET4_T5_PSR_SS_PNS1_23onesweep_lookback_stateEbbT6_jjT7_P12ihipStream_tbENKUlT_T0_SG_SL_E_clISA_SA_SB_SB_EEDaSZ_S10_SG_SL_EUlSZ_E_NS1_11comp_targetILNS1_3genE3ELNS1_11target_archE908ELNS1_3gpuE7ELNS1_3repE0EEENS1_47radix_sort_onesweep_sort_config_static_selectorELNS0_4arch9wavefront6targetE0EEEvSG_
    .private_segment_fixed_size: 0
    .sgpr_count:     0
    .sgpr_spill_count: 0
    .symbol:         _ZN7rocprim17ROCPRIM_400000_NS6detail17trampoline_kernelINS0_14default_configENS1_35radix_sort_onesweep_config_selectorItNS0_10empty_typeEEEZZNS1_29radix_sort_onesweep_iterationIS3_Lb1EPKtPtPS5_SB_mNS0_19identity_decomposerENS1_16block_id_wrapperIjLb0EEEEE10hipError_tT1_PNSt15iterator_traitsISG_E10value_typeET2_T3_PNSH_ISM_E10value_typeET4_T5_PSR_SS_PNS1_23onesweep_lookback_stateEbbT6_jjT7_P12ihipStream_tbENKUlT_T0_SG_SL_E_clISA_SA_SB_SB_EEDaSZ_S10_SG_SL_EUlSZ_E_NS1_11comp_targetILNS1_3genE3ELNS1_11target_archE908ELNS1_3gpuE7ELNS1_3repE0EEENS1_47radix_sort_onesweep_sort_config_static_selectorELNS0_4arch9wavefront6targetE0EEEvSG_.kd
    .uniform_work_group_size: 1
    .uses_dynamic_stack: false
    .vgpr_count:     0
    .vgpr_spill_count: 0
    .wavefront_size: 32
  - .args:
      - .offset:         0
        .size:           88
        .value_kind:     by_value
    .group_segment_fixed_size: 0
    .kernarg_segment_align: 8
    .kernarg_segment_size: 88
    .language:       OpenCL C
    .language_version:
      - 2
      - 0
    .max_flat_workgroup_size: 256
    .name:           _ZN7rocprim17ROCPRIM_400000_NS6detail17trampoline_kernelINS0_14default_configENS1_35radix_sort_onesweep_config_selectorItNS0_10empty_typeEEEZZNS1_29radix_sort_onesweep_iterationIS3_Lb1EPKtPtPS5_SB_mNS0_19identity_decomposerENS1_16block_id_wrapperIjLb0EEEEE10hipError_tT1_PNSt15iterator_traitsISG_E10value_typeET2_T3_PNSH_ISM_E10value_typeET4_T5_PSR_SS_PNS1_23onesweep_lookback_stateEbbT6_jjT7_P12ihipStream_tbENKUlT_T0_SG_SL_E_clISA_SA_SB_SB_EEDaSZ_S10_SG_SL_EUlSZ_E_NS1_11comp_targetILNS1_3genE10ELNS1_11target_archE1201ELNS1_3gpuE5ELNS1_3repE0EEENS1_47radix_sort_onesweep_sort_config_static_selectorELNS0_4arch9wavefront6targetE0EEEvSG_
    .private_segment_fixed_size: 0
    .sgpr_count:     0
    .sgpr_spill_count: 0
    .symbol:         _ZN7rocprim17ROCPRIM_400000_NS6detail17trampoline_kernelINS0_14default_configENS1_35radix_sort_onesweep_config_selectorItNS0_10empty_typeEEEZZNS1_29radix_sort_onesweep_iterationIS3_Lb1EPKtPtPS5_SB_mNS0_19identity_decomposerENS1_16block_id_wrapperIjLb0EEEEE10hipError_tT1_PNSt15iterator_traitsISG_E10value_typeET2_T3_PNSH_ISM_E10value_typeET4_T5_PSR_SS_PNS1_23onesweep_lookback_stateEbbT6_jjT7_P12ihipStream_tbENKUlT_T0_SG_SL_E_clISA_SA_SB_SB_EEDaSZ_S10_SG_SL_EUlSZ_E_NS1_11comp_targetILNS1_3genE10ELNS1_11target_archE1201ELNS1_3gpuE5ELNS1_3repE0EEENS1_47radix_sort_onesweep_sort_config_static_selectorELNS0_4arch9wavefront6targetE0EEEvSG_.kd
    .uniform_work_group_size: 1
    .uses_dynamic_stack: false
    .vgpr_count:     0
    .vgpr_spill_count: 0
    .wavefront_size: 32
  - .args:
      - .offset:         0
        .size:           88
        .value_kind:     by_value
    .group_segment_fixed_size: 0
    .kernarg_segment_align: 8
    .kernarg_segment_size: 88
    .language:       OpenCL C
    .language_version:
      - 2
      - 0
    .max_flat_workgroup_size: 256
    .name:           _ZN7rocprim17ROCPRIM_400000_NS6detail17trampoline_kernelINS0_14default_configENS1_35radix_sort_onesweep_config_selectorItNS0_10empty_typeEEEZZNS1_29radix_sort_onesweep_iterationIS3_Lb1EPKtPtPS5_SB_mNS0_19identity_decomposerENS1_16block_id_wrapperIjLb0EEEEE10hipError_tT1_PNSt15iterator_traitsISG_E10value_typeET2_T3_PNSH_ISM_E10value_typeET4_T5_PSR_SS_PNS1_23onesweep_lookback_stateEbbT6_jjT7_P12ihipStream_tbENKUlT_T0_SG_SL_E_clISA_SA_SB_SB_EEDaSZ_S10_SG_SL_EUlSZ_E_NS1_11comp_targetILNS1_3genE9ELNS1_11target_archE1100ELNS1_3gpuE3ELNS1_3repE0EEENS1_47radix_sort_onesweep_sort_config_static_selectorELNS0_4arch9wavefront6targetE0EEEvSG_
    .private_segment_fixed_size: 0
    .sgpr_count:     0
    .sgpr_spill_count: 0
    .symbol:         _ZN7rocprim17ROCPRIM_400000_NS6detail17trampoline_kernelINS0_14default_configENS1_35radix_sort_onesweep_config_selectorItNS0_10empty_typeEEEZZNS1_29radix_sort_onesweep_iterationIS3_Lb1EPKtPtPS5_SB_mNS0_19identity_decomposerENS1_16block_id_wrapperIjLb0EEEEE10hipError_tT1_PNSt15iterator_traitsISG_E10value_typeET2_T3_PNSH_ISM_E10value_typeET4_T5_PSR_SS_PNS1_23onesweep_lookback_stateEbbT6_jjT7_P12ihipStream_tbENKUlT_T0_SG_SL_E_clISA_SA_SB_SB_EEDaSZ_S10_SG_SL_EUlSZ_E_NS1_11comp_targetILNS1_3genE9ELNS1_11target_archE1100ELNS1_3gpuE3ELNS1_3repE0EEENS1_47radix_sort_onesweep_sort_config_static_selectorELNS0_4arch9wavefront6targetE0EEEvSG_.kd
    .uniform_work_group_size: 1
    .uses_dynamic_stack: false
    .vgpr_count:     0
    .vgpr_spill_count: 0
    .wavefront_size: 32
  - .args:
      - .offset:         0
        .size:           88
        .value_kind:     by_value
    .group_segment_fixed_size: 0
    .kernarg_segment_align: 8
    .kernarg_segment_size: 88
    .language:       OpenCL C
    .language_version:
      - 2
      - 0
    .max_flat_workgroup_size: 256
    .name:           _ZN7rocprim17ROCPRIM_400000_NS6detail17trampoline_kernelINS0_14default_configENS1_35radix_sort_onesweep_config_selectorItNS0_10empty_typeEEEZZNS1_29radix_sort_onesweep_iterationIS3_Lb1EPKtPtPS5_SB_mNS0_19identity_decomposerENS1_16block_id_wrapperIjLb0EEEEE10hipError_tT1_PNSt15iterator_traitsISG_E10value_typeET2_T3_PNSH_ISM_E10value_typeET4_T5_PSR_SS_PNS1_23onesweep_lookback_stateEbbT6_jjT7_P12ihipStream_tbENKUlT_T0_SG_SL_E_clISA_SA_SB_SB_EEDaSZ_S10_SG_SL_EUlSZ_E_NS1_11comp_targetILNS1_3genE8ELNS1_11target_archE1030ELNS1_3gpuE2ELNS1_3repE0EEENS1_47radix_sort_onesweep_sort_config_static_selectorELNS0_4arch9wavefront6targetE0EEEvSG_
    .private_segment_fixed_size: 0
    .sgpr_count:     0
    .sgpr_spill_count: 0
    .symbol:         _ZN7rocprim17ROCPRIM_400000_NS6detail17trampoline_kernelINS0_14default_configENS1_35radix_sort_onesweep_config_selectorItNS0_10empty_typeEEEZZNS1_29radix_sort_onesweep_iterationIS3_Lb1EPKtPtPS5_SB_mNS0_19identity_decomposerENS1_16block_id_wrapperIjLb0EEEEE10hipError_tT1_PNSt15iterator_traitsISG_E10value_typeET2_T3_PNSH_ISM_E10value_typeET4_T5_PSR_SS_PNS1_23onesweep_lookback_stateEbbT6_jjT7_P12ihipStream_tbENKUlT_T0_SG_SL_E_clISA_SA_SB_SB_EEDaSZ_S10_SG_SL_EUlSZ_E_NS1_11comp_targetILNS1_3genE8ELNS1_11target_archE1030ELNS1_3gpuE2ELNS1_3repE0EEENS1_47radix_sort_onesweep_sort_config_static_selectorELNS0_4arch9wavefront6targetE0EEEvSG_.kd
    .uniform_work_group_size: 1
    .uses_dynamic_stack: false
    .vgpr_count:     0
    .vgpr_spill_count: 0
    .wavefront_size: 32
  - .args:
      - .offset:         0
        .size:           48
        .value_kind:     by_value
      - .offset:         48
        .size:           4
        .value_kind:     hidden_block_count_x
      - .offset:         52
        .size:           4
        .value_kind:     hidden_block_count_y
      - .offset:         56
        .size:           4
        .value_kind:     hidden_block_count_z
      - .offset:         60
        .size:           2
        .value_kind:     hidden_group_size_x
      - .offset:         62
        .size:           2
        .value_kind:     hidden_group_size_y
      - .offset:         64
        .size:           2
        .value_kind:     hidden_group_size_z
      - .offset:         66
        .size:           2
        .value_kind:     hidden_remainder_x
      - .offset:         68
        .size:           2
        .value_kind:     hidden_remainder_y
      - .offset:         70
        .size:           2
        .value_kind:     hidden_remainder_z
      - .offset:         88
        .size:           8
        .value_kind:     hidden_global_offset_x
      - .offset:         96
        .size:           8
        .value_kind:     hidden_global_offset_y
      - .offset:         104
        .size:           8
        .value_kind:     hidden_global_offset_z
      - .offset:         112
        .size:           2
        .value_kind:     hidden_grid_dims
    .group_segment_fixed_size: 8224
    .kernarg_segment_align: 8
    .kernarg_segment_size: 304
    .language:       OpenCL C
    .language_version:
      - 2
      - 0
    .max_flat_workgroup_size: 256
    .name:           _ZN7rocprim17ROCPRIM_400000_NS6detail17trampoline_kernelINS0_13kernel_configILj256ELj4ELj4294967295EEENS1_37radix_sort_block_sort_config_selectorItNS0_10empty_typeEEEZNS1_21radix_sort_block_sortIS4_Lb0EPKtPtPS6_SC_NS0_19identity_decomposerEEE10hipError_tT1_T2_T3_T4_jRjT5_jjP12ihipStream_tbEUlT_E_NS1_11comp_targetILNS1_3genE0ELNS1_11target_archE4294967295ELNS1_3gpuE0ELNS1_3repE0EEENS1_44radix_sort_block_sort_config_static_selectorELNS0_4arch9wavefront6targetE0EEEvSF_
    .private_segment_fixed_size: 0
    .sgpr_count:     31
    .sgpr_spill_count: 0
    .symbol:         _ZN7rocprim17ROCPRIM_400000_NS6detail17trampoline_kernelINS0_13kernel_configILj256ELj4ELj4294967295EEENS1_37radix_sort_block_sort_config_selectorItNS0_10empty_typeEEEZNS1_21radix_sort_block_sortIS4_Lb0EPKtPtPS6_SC_NS0_19identity_decomposerEEE10hipError_tT1_T2_T3_T4_jRjT5_jjP12ihipStream_tbEUlT_E_NS1_11comp_targetILNS1_3genE0ELNS1_11target_archE4294967295ELNS1_3gpuE0ELNS1_3repE0EEENS1_44radix_sort_block_sort_config_static_selectorELNS0_4arch9wavefront6targetE0EEEvSF_.kd
    .uniform_work_group_size: 1
    .uses_dynamic_stack: false
    .vgpr_count:     38
    .vgpr_spill_count: 0
    .wavefront_size: 32
  - .args:
      - .offset:         0
        .size:           48
        .value_kind:     by_value
    .group_segment_fixed_size: 0
    .kernarg_segment_align: 8
    .kernarg_segment_size: 48
    .language:       OpenCL C
    .language_version:
      - 2
      - 0
    .max_flat_workgroup_size: 256
    .name:           _ZN7rocprim17ROCPRIM_400000_NS6detail17trampoline_kernelINS0_13kernel_configILj256ELj4ELj4294967295EEENS1_37radix_sort_block_sort_config_selectorItNS0_10empty_typeEEEZNS1_21radix_sort_block_sortIS4_Lb0EPKtPtPS6_SC_NS0_19identity_decomposerEEE10hipError_tT1_T2_T3_T4_jRjT5_jjP12ihipStream_tbEUlT_E_NS1_11comp_targetILNS1_3genE5ELNS1_11target_archE942ELNS1_3gpuE9ELNS1_3repE0EEENS1_44radix_sort_block_sort_config_static_selectorELNS0_4arch9wavefront6targetE0EEEvSF_
    .private_segment_fixed_size: 0
    .sgpr_count:     0
    .sgpr_spill_count: 0
    .symbol:         _ZN7rocprim17ROCPRIM_400000_NS6detail17trampoline_kernelINS0_13kernel_configILj256ELj4ELj4294967295EEENS1_37radix_sort_block_sort_config_selectorItNS0_10empty_typeEEEZNS1_21radix_sort_block_sortIS4_Lb0EPKtPtPS6_SC_NS0_19identity_decomposerEEE10hipError_tT1_T2_T3_T4_jRjT5_jjP12ihipStream_tbEUlT_E_NS1_11comp_targetILNS1_3genE5ELNS1_11target_archE942ELNS1_3gpuE9ELNS1_3repE0EEENS1_44radix_sort_block_sort_config_static_selectorELNS0_4arch9wavefront6targetE0EEEvSF_.kd
    .uniform_work_group_size: 1
    .uses_dynamic_stack: false
    .vgpr_count:     0
    .vgpr_spill_count: 0
    .wavefront_size: 32
  - .args:
      - .offset:         0
        .size:           48
        .value_kind:     by_value
    .group_segment_fixed_size: 0
    .kernarg_segment_align: 8
    .kernarg_segment_size: 48
    .language:       OpenCL C
    .language_version:
      - 2
      - 0
    .max_flat_workgroup_size: 256
    .name:           _ZN7rocprim17ROCPRIM_400000_NS6detail17trampoline_kernelINS0_13kernel_configILj256ELj4ELj4294967295EEENS1_37radix_sort_block_sort_config_selectorItNS0_10empty_typeEEEZNS1_21radix_sort_block_sortIS4_Lb0EPKtPtPS6_SC_NS0_19identity_decomposerEEE10hipError_tT1_T2_T3_T4_jRjT5_jjP12ihipStream_tbEUlT_E_NS1_11comp_targetILNS1_3genE4ELNS1_11target_archE910ELNS1_3gpuE8ELNS1_3repE0EEENS1_44radix_sort_block_sort_config_static_selectorELNS0_4arch9wavefront6targetE0EEEvSF_
    .private_segment_fixed_size: 0
    .sgpr_count:     0
    .sgpr_spill_count: 0
    .symbol:         _ZN7rocprim17ROCPRIM_400000_NS6detail17trampoline_kernelINS0_13kernel_configILj256ELj4ELj4294967295EEENS1_37radix_sort_block_sort_config_selectorItNS0_10empty_typeEEEZNS1_21radix_sort_block_sortIS4_Lb0EPKtPtPS6_SC_NS0_19identity_decomposerEEE10hipError_tT1_T2_T3_T4_jRjT5_jjP12ihipStream_tbEUlT_E_NS1_11comp_targetILNS1_3genE4ELNS1_11target_archE910ELNS1_3gpuE8ELNS1_3repE0EEENS1_44radix_sort_block_sort_config_static_selectorELNS0_4arch9wavefront6targetE0EEEvSF_.kd
    .uniform_work_group_size: 1
    .uses_dynamic_stack: false
    .vgpr_count:     0
    .vgpr_spill_count: 0
    .wavefront_size: 32
  - .args:
      - .offset:         0
        .size:           48
        .value_kind:     by_value
    .group_segment_fixed_size: 0
    .kernarg_segment_align: 8
    .kernarg_segment_size: 48
    .language:       OpenCL C
    .language_version:
      - 2
      - 0
    .max_flat_workgroup_size: 256
    .name:           _ZN7rocprim17ROCPRIM_400000_NS6detail17trampoline_kernelINS0_13kernel_configILj256ELj4ELj4294967295EEENS1_37radix_sort_block_sort_config_selectorItNS0_10empty_typeEEEZNS1_21radix_sort_block_sortIS4_Lb0EPKtPtPS6_SC_NS0_19identity_decomposerEEE10hipError_tT1_T2_T3_T4_jRjT5_jjP12ihipStream_tbEUlT_E_NS1_11comp_targetILNS1_3genE3ELNS1_11target_archE908ELNS1_3gpuE7ELNS1_3repE0EEENS1_44radix_sort_block_sort_config_static_selectorELNS0_4arch9wavefront6targetE0EEEvSF_
    .private_segment_fixed_size: 0
    .sgpr_count:     0
    .sgpr_spill_count: 0
    .symbol:         _ZN7rocprim17ROCPRIM_400000_NS6detail17trampoline_kernelINS0_13kernel_configILj256ELj4ELj4294967295EEENS1_37radix_sort_block_sort_config_selectorItNS0_10empty_typeEEEZNS1_21radix_sort_block_sortIS4_Lb0EPKtPtPS6_SC_NS0_19identity_decomposerEEE10hipError_tT1_T2_T3_T4_jRjT5_jjP12ihipStream_tbEUlT_E_NS1_11comp_targetILNS1_3genE3ELNS1_11target_archE908ELNS1_3gpuE7ELNS1_3repE0EEENS1_44radix_sort_block_sort_config_static_selectorELNS0_4arch9wavefront6targetE0EEEvSF_.kd
    .uniform_work_group_size: 1
    .uses_dynamic_stack: false
    .vgpr_count:     0
    .vgpr_spill_count: 0
    .wavefront_size: 32
  - .args:
      - .offset:         0
        .size:           48
        .value_kind:     by_value
    .group_segment_fixed_size: 0
    .kernarg_segment_align: 8
    .kernarg_segment_size: 48
    .language:       OpenCL C
    .language_version:
      - 2
      - 0
    .max_flat_workgroup_size: 256
    .name:           _ZN7rocprim17ROCPRIM_400000_NS6detail17trampoline_kernelINS0_13kernel_configILj256ELj4ELj4294967295EEENS1_37radix_sort_block_sort_config_selectorItNS0_10empty_typeEEEZNS1_21radix_sort_block_sortIS4_Lb0EPKtPtPS6_SC_NS0_19identity_decomposerEEE10hipError_tT1_T2_T3_T4_jRjT5_jjP12ihipStream_tbEUlT_E_NS1_11comp_targetILNS1_3genE2ELNS1_11target_archE906ELNS1_3gpuE6ELNS1_3repE0EEENS1_44radix_sort_block_sort_config_static_selectorELNS0_4arch9wavefront6targetE0EEEvSF_
    .private_segment_fixed_size: 0
    .sgpr_count:     0
    .sgpr_spill_count: 0
    .symbol:         _ZN7rocprim17ROCPRIM_400000_NS6detail17trampoline_kernelINS0_13kernel_configILj256ELj4ELj4294967295EEENS1_37radix_sort_block_sort_config_selectorItNS0_10empty_typeEEEZNS1_21radix_sort_block_sortIS4_Lb0EPKtPtPS6_SC_NS0_19identity_decomposerEEE10hipError_tT1_T2_T3_T4_jRjT5_jjP12ihipStream_tbEUlT_E_NS1_11comp_targetILNS1_3genE2ELNS1_11target_archE906ELNS1_3gpuE6ELNS1_3repE0EEENS1_44radix_sort_block_sort_config_static_selectorELNS0_4arch9wavefront6targetE0EEEvSF_.kd
    .uniform_work_group_size: 1
    .uses_dynamic_stack: false
    .vgpr_count:     0
    .vgpr_spill_count: 0
    .wavefront_size: 32
  - .args:
      - .offset:         0
        .size:           48
        .value_kind:     by_value
    .group_segment_fixed_size: 0
    .kernarg_segment_align: 8
    .kernarg_segment_size: 48
    .language:       OpenCL C
    .language_version:
      - 2
      - 0
    .max_flat_workgroup_size: 256
    .name:           _ZN7rocprim17ROCPRIM_400000_NS6detail17trampoline_kernelINS0_13kernel_configILj256ELj4ELj4294967295EEENS1_37radix_sort_block_sort_config_selectorItNS0_10empty_typeEEEZNS1_21radix_sort_block_sortIS4_Lb0EPKtPtPS6_SC_NS0_19identity_decomposerEEE10hipError_tT1_T2_T3_T4_jRjT5_jjP12ihipStream_tbEUlT_E_NS1_11comp_targetILNS1_3genE10ELNS1_11target_archE1201ELNS1_3gpuE5ELNS1_3repE0EEENS1_44radix_sort_block_sort_config_static_selectorELNS0_4arch9wavefront6targetE0EEEvSF_
    .private_segment_fixed_size: 0
    .sgpr_count:     0
    .sgpr_spill_count: 0
    .symbol:         _ZN7rocprim17ROCPRIM_400000_NS6detail17trampoline_kernelINS0_13kernel_configILj256ELj4ELj4294967295EEENS1_37radix_sort_block_sort_config_selectorItNS0_10empty_typeEEEZNS1_21radix_sort_block_sortIS4_Lb0EPKtPtPS6_SC_NS0_19identity_decomposerEEE10hipError_tT1_T2_T3_T4_jRjT5_jjP12ihipStream_tbEUlT_E_NS1_11comp_targetILNS1_3genE10ELNS1_11target_archE1201ELNS1_3gpuE5ELNS1_3repE0EEENS1_44radix_sort_block_sort_config_static_selectorELNS0_4arch9wavefront6targetE0EEEvSF_.kd
    .uniform_work_group_size: 1
    .uses_dynamic_stack: false
    .vgpr_count:     0
    .vgpr_spill_count: 0
    .wavefront_size: 32
  - .args:
      - .offset:         0
        .size:           48
        .value_kind:     by_value
    .group_segment_fixed_size: 0
    .kernarg_segment_align: 8
    .kernarg_segment_size: 48
    .language:       OpenCL C
    .language_version:
      - 2
      - 0
    .max_flat_workgroup_size: 256
    .name:           _ZN7rocprim17ROCPRIM_400000_NS6detail17trampoline_kernelINS0_13kernel_configILj256ELj4ELj4294967295EEENS1_37radix_sort_block_sort_config_selectorItNS0_10empty_typeEEEZNS1_21radix_sort_block_sortIS4_Lb0EPKtPtPS6_SC_NS0_19identity_decomposerEEE10hipError_tT1_T2_T3_T4_jRjT5_jjP12ihipStream_tbEUlT_E_NS1_11comp_targetILNS1_3genE10ELNS1_11target_archE1200ELNS1_3gpuE4ELNS1_3repE0EEENS1_44radix_sort_block_sort_config_static_selectorELNS0_4arch9wavefront6targetE0EEEvSF_
    .private_segment_fixed_size: 0
    .sgpr_count:     0
    .sgpr_spill_count: 0
    .symbol:         _ZN7rocprim17ROCPRIM_400000_NS6detail17trampoline_kernelINS0_13kernel_configILj256ELj4ELj4294967295EEENS1_37radix_sort_block_sort_config_selectorItNS0_10empty_typeEEEZNS1_21radix_sort_block_sortIS4_Lb0EPKtPtPS6_SC_NS0_19identity_decomposerEEE10hipError_tT1_T2_T3_T4_jRjT5_jjP12ihipStream_tbEUlT_E_NS1_11comp_targetILNS1_3genE10ELNS1_11target_archE1200ELNS1_3gpuE4ELNS1_3repE0EEENS1_44radix_sort_block_sort_config_static_selectorELNS0_4arch9wavefront6targetE0EEEvSF_.kd
    .uniform_work_group_size: 1
    .uses_dynamic_stack: false
    .vgpr_count:     0
    .vgpr_spill_count: 0
    .wavefront_size: 32
  - .args:
      - .offset:         0
        .size:           48
        .value_kind:     by_value
    .group_segment_fixed_size: 0
    .kernarg_segment_align: 8
    .kernarg_segment_size: 48
    .language:       OpenCL C
    .language_version:
      - 2
      - 0
    .max_flat_workgroup_size: 256
    .name:           _ZN7rocprim17ROCPRIM_400000_NS6detail17trampoline_kernelINS0_13kernel_configILj256ELj4ELj4294967295EEENS1_37radix_sort_block_sort_config_selectorItNS0_10empty_typeEEEZNS1_21radix_sort_block_sortIS4_Lb0EPKtPtPS6_SC_NS0_19identity_decomposerEEE10hipError_tT1_T2_T3_T4_jRjT5_jjP12ihipStream_tbEUlT_E_NS1_11comp_targetILNS1_3genE9ELNS1_11target_archE1100ELNS1_3gpuE3ELNS1_3repE0EEENS1_44radix_sort_block_sort_config_static_selectorELNS0_4arch9wavefront6targetE0EEEvSF_
    .private_segment_fixed_size: 0
    .sgpr_count:     0
    .sgpr_spill_count: 0
    .symbol:         _ZN7rocprim17ROCPRIM_400000_NS6detail17trampoline_kernelINS0_13kernel_configILj256ELj4ELj4294967295EEENS1_37radix_sort_block_sort_config_selectorItNS0_10empty_typeEEEZNS1_21radix_sort_block_sortIS4_Lb0EPKtPtPS6_SC_NS0_19identity_decomposerEEE10hipError_tT1_T2_T3_T4_jRjT5_jjP12ihipStream_tbEUlT_E_NS1_11comp_targetILNS1_3genE9ELNS1_11target_archE1100ELNS1_3gpuE3ELNS1_3repE0EEENS1_44radix_sort_block_sort_config_static_selectorELNS0_4arch9wavefront6targetE0EEEvSF_.kd
    .uniform_work_group_size: 1
    .uses_dynamic_stack: false
    .vgpr_count:     0
    .vgpr_spill_count: 0
    .wavefront_size: 32
  - .args:
      - .offset:         0
        .size:           48
        .value_kind:     by_value
    .group_segment_fixed_size: 0
    .kernarg_segment_align: 8
    .kernarg_segment_size: 48
    .language:       OpenCL C
    .language_version:
      - 2
      - 0
    .max_flat_workgroup_size: 256
    .name:           _ZN7rocprim17ROCPRIM_400000_NS6detail17trampoline_kernelINS0_13kernel_configILj256ELj4ELj4294967295EEENS1_37radix_sort_block_sort_config_selectorItNS0_10empty_typeEEEZNS1_21radix_sort_block_sortIS4_Lb0EPKtPtPS6_SC_NS0_19identity_decomposerEEE10hipError_tT1_T2_T3_T4_jRjT5_jjP12ihipStream_tbEUlT_E_NS1_11comp_targetILNS1_3genE8ELNS1_11target_archE1030ELNS1_3gpuE2ELNS1_3repE0EEENS1_44radix_sort_block_sort_config_static_selectorELNS0_4arch9wavefront6targetE0EEEvSF_
    .private_segment_fixed_size: 0
    .sgpr_count:     0
    .sgpr_spill_count: 0
    .symbol:         _ZN7rocprim17ROCPRIM_400000_NS6detail17trampoline_kernelINS0_13kernel_configILj256ELj4ELj4294967295EEENS1_37radix_sort_block_sort_config_selectorItNS0_10empty_typeEEEZNS1_21radix_sort_block_sortIS4_Lb0EPKtPtPS6_SC_NS0_19identity_decomposerEEE10hipError_tT1_T2_T3_T4_jRjT5_jjP12ihipStream_tbEUlT_E_NS1_11comp_targetILNS1_3genE8ELNS1_11target_archE1030ELNS1_3gpuE2ELNS1_3repE0EEENS1_44radix_sort_block_sort_config_static_selectorELNS0_4arch9wavefront6targetE0EEEvSF_.kd
    .uniform_work_group_size: 1
    .uses_dynamic_stack: false
    .vgpr_count:     0
    .vgpr_spill_count: 0
    .wavefront_size: 32
  - .args:
      - .offset:         0
        .size:           40
        .value_kind:     by_value
    .group_segment_fixed_size: 0
    .kernarg_segment_align: 8
    .kernarg_segment_size: 40
    .language:       OpenCL C
    .language_version:
      - 2
      - 0
    .max_flat_workgroup_size: 128
    .name:           _ZN7rocprim17ROCPRIM_400000_NS6detail17trampoline_kernelINS0_14default_configENS1_38merge_sort_block_merge_config_selectorItNS0_10empty_typeEEEZZNS1_27merge_sort_block_merge_implIS3_PtPS5_jNS1_19radix_merge_compareILb0ELb0EtNS0_19identity_decomposerEEEEE10hipError_tT0_T1_T2_jT3_P12ihipStream_tbPNSt15iterator_traitsISE_E10value_typeEPNSK_ISF_E10value_typeEPSG_NS1_7vsmem_tEENKUlT_SE_SF_SG_E_clIS8_S8_S9_S9_EESD_ST_SE_SF_SG_EUlST_E_NS1_11comp_targetILNS1_3genE0ELNS1_11target_archE4294967295ELNS1_3gpuE0ELNS1_3repE0EEENS1_48merge_mergepath_partition_config_static_selectorELNS0_4arch9wavefront6targetE0EEEvSF_
    .private_segment_fixed_size: 0
    .sgpr_count:     8
    .sgpr_spill_count: 0
    .symbol:         _ZN7rocprim17ROCPRIM_400000_NS6detail17trampoline_kernelINS0_14default_configENS1_38merge_sort_block_merge_config_selectorItNS0_10empty_typeEEEZZNS1_27merge_sort_block_merge_implIS3_PtPS5_jNS1_19radix_merge_compareILb0ELb0EtNS0_19identity_decomposerEEEEE10hipError_tT0_T1_T2_jT3_P12ihipStream_tbPNSt15iterator_traitsISE_E10value_typeEPNSK_ISF_E10value_typeEPSG_NS1_7vsmem_tEENKUlT_SE_SF_SG_E_clIS8_S8_S9_S9_EESD_ST_SE_SF_SG_EUlST_E_NS1_11comp_targetILNS1_3genE0ELNS1_11target_archE4294967295ELNS1_3gpuE0ELNS1_3repE0EEENS1_48merge_mergepath_partition_config_static_selectorELNS0_4arch9wavefront6targetE0EEEvSF_.kd
    .uniform_work_group_size: 1
    .uses_dynamic_stack: false
    .vgpr_count:     17
    .vgpr_spill_count: 0
    .wavefront_size: 32
  - .args:
      - .offset:         0
        .size:           40
        .value_kind:     by_value
    .group_segment_fixed_size: 0
    .kernarg_segment_align: 8
    .kernarg_segment_size: 40
    .language:       OpenCL C
    .language_version:
      - 2
      - 0
    .max_flat_workgroup_size: 128
    .name:           _ZN7rocprim17ROCPRIM_400000_NS6detail17trampoline_kernelINS0_14default_configENS1_38merge_sort_block_merge_config_selectorItNS0_10empty_typeEEEZZNS1_27merge_sort_block_merge_implIS3_PtPS5_jNS1_19radix_merge_compareILb0ELb0EtNS0_19identity_decomposerEEEEE10hipError_tT0_T1_T2_jT3_P12ihipStream_tbPNSt15iterator_traitsISE_E10value_typeEPNSK_ISF_E10value_typeEPSG_NS1_7vsmem_tEENKUlT_SE_SF_SG_E_clIS8_S8_S9_S9_EESD_ST_SE_SF_SG_EUlST_E_NS1_11comp_targetILNS1_3genE10ELNS1_11target_archE1201ELNS1_3gpuE5ELNS1_3repE0EEENS1_48merge_mergepath_partition_config_static_selectorELNS0_4arch9wavefront6targetE0EEEvSF_
    .private_segment_fixed_size: 0
    .sgpr_count:     0
    .sgpr_spill_count: 0
    .symbol:         _ZN7rocprim17ROCPRIM_400000_NS6detail17trampoline_kernelINS0_14default_configENS1_38merge_sort_block_merge_config_selectorItNS0_10empty_typeEEEZZNS1_27merge_sort_block_merge_implIS3_PtPS5_jNS1_19radix_merge_compareILb0ELb0EtNS0_19identity_decomposerEEEEE10hipError_tT0_T1_T2_jT3_P12ihipStream_tbPNSt15iterator_traitsISE_E10value_typeEPNSK_ISF_E10value_typeEPSG_NS1_7vsmem_tEENKUlT_SE_SF_SG_E_clIS8_S8_S9_S9_EESD_ST_SE_SF_SG_EUlST_E_NS1_11comp_targetILNS1_3genE10ELNS1_11target_archE1201ELNS1_3gpuE5ELNS1_3repE0EEENS1_48merge_mergepath_partition_config_static_selectorELNS0_4arch9wavefront6targetE0EEEvSF_.kd
    .uniform_work_group_size: 1
    .uses_dynamic_stack: false
    .vgpr_count:     0
    .vgpr_spill_count: 0
    .wavefront_size: 32
  - .args:
      - .offset:         0
        .size:           40
        .value_kind:     by_value
    .group_segment_fixed_size: 0
    .kernarg_segment_align: 8
    .kernarg_segment_size: 40
    .language:       OpenCL C
    .language_version:
      - 2
      - 0
    .max_flat_workgroup_size: 128
    .name:           _ZN7rocprim17ROCPRIM_400000_NS6detail17trampoline_kernelINS0_14default_configENS1_38merge_sort_block_merge_config_selectorItNS0_10empty_typeEEEZZNS1_27merge_sort_block_merge_implIS3_PtPS5_jNS1_19radix_merge_compareILb0ELb0EtNS0_19identity_decomposerEEEEE10hipError_tT0_T1_T2_jT3_P12ihipStream_tbPNSt15iterator_traitsISE_E10value_typeEPNSK_ISF_E10value_typeEPSG_NS1_7vsmem_tEENKUlT_SE_SF_SG_E_clIS8_S8_S9_S9_EESD_ST_SE_SF_SG_EUlST_E_NS1_11comp_targetILNS1_3genE5ELNS1_11target_archE942ELNS1_3gpuE9ELNS1_3repE0EEENS1_48merge_mergepath_partition_config_static_selectorELNS0_4arch9wavefront6targetE0EEEvSF_
    .private_segment_fixed_size: 0
    .sgpr_count:     0
    .sgpr_spill_count: 0
    .symbol:         _ZN7rocprim17ROCPRIM_400000_NS6detail17trampoline_kernelINS0_14default_configENS1_38merge_sort_block_merge_config_selectorItNS0_10empty_typeEEEZZNS1_27merge_sort_block_merge_implIS3_PtPS5_jNS1_19radix_merge_compareILb0ELb0EtNS0_19identity_decomposerEEEEE10hipError_tT0_T1_T2_jT3_P12ihipStream_tbPNSt15iterator_traitsISE_E10value_typeEPNSK_ISF_E10value_typeEPSG_NS1_7vsmem_tEENKUlT_SE_SF_SG_E_clIS8_S8_S9_S9_EESD_ST_SE_SF_SG_EUlST_E_NS1_11comp_targetILNS1_3genE5ELNS1_11target_archE942ELNS1_3gpuE9ELNS1_3repE0EEENS1_48merge_mergepath_partition_config_static_selectorELNS0_4arch9wavefront6targetE0EEEvSF_.kd
    .uniform_work_group_size: 1
    .uses_dynamic_stack: false
    .vgpr_count:     0
    .vgpr_spill_count: 0
    .wavefront_size: 32
  - .args:
      - .offset:         0
        .size:           40
        .value_kind:     by_value
    .group_segment_fixed_size: 0
    .kernarg_segment_align: 8
    .kernarg_segment_size: 40
    .language:       OpenCL C
    .language_version:
      - 2
      - 0
    .max_flat_workgroup_size: 128
    .name:           _ZN7rocprim17ROCPRIM_400000_NS6detail17trampoline_kernelINS0_14default_configENS1_38merge_sort_block_merge_config_selectorItNS0_10empty_typeEEEZZNS1_27merge_sort_block_merge_implIS3_PtPS5_jNS1_19radix_merge_compareILb0ELb0EtNS0_19identity_decomposerEEEEE10hipError_tT0_T1_T2_jT3_P12ihipStream_tbPNSt15iterator_traitsISE_E10value_typeEPNSK_ISF_E10value_typeEPSG_NS1_7vsmem_tEENKUlT_SE_SF_SG_E_clIS8_S8_S9_S9_EESD_ST_SE_SF_SG_EUlST_E_NS1_11comp_targetILNS1_3genE4ELNS1_11target_archE910ELNS1_3gpuE8ELNS1_3repE0EEENS1_48merge_mergepath_partition_config_static_selectorELNS0_4arch9wavefront6targetE0EEEvSF_
    .private_segment_fixed_size: 0
    .sgpr_count:     0
    .sgpr_spill_count: 0
    .symbol:         _ZN7rocprim17ROCPRIM_400000_NS6detail17trampoline_kernelINS0_14default_configENS1_38merge_sort_block_merge_config_selectorItNS0_10empty_typeEEEZZNS1_27merge_sort_block_merge_implIS3_PtPS5_jNS1_19radix_merge_compareILb0ELb0EtNS0_19identity_decomposerEEEEE10hipError_tT0_T1_T2_jT3_P12ihipStream_tbPNSt15iterator_traitsISE_E10value_typeEPNSK_ISF_E10value_typeEPSG_NS1_7vsmem_tEENKUlT_SE_SF_SG_E_clIS8_S8_S9_S9_EESD_ST_SE_SF_SG_EUlST_E_NS1_11comp_targetILNS1_3genE4ELNS1_11target_archE910ELNS1_3gpuE8ELNS1_3repE0EEENS1_48merge_mergepath_partition_config_static_selectorELNS0_4arch9wavefront6targetE0EEEvSF_.kd
    .uniform_work_group_size: 1
    .uses_dynamic_stack: false
    .vgpr_count:     0
    .vgpr_spill_count: 0
    .wavefront_size: 32
  - .args:
      - .offset:         0
        .size:           40
        .value_kind:     by_value
    .group_segment_fixed_size: 0
    .kernarg_segment_align: 8
    .kernarg_segment_size: 40
    .language:       OpenCL C
    .language_version:
      - 2
      - 0
    .max_flat_workgroup_size: 128
    .name:           _ZN7rocprim17ROCPRIM_400000_NS6detail17trampoline_kernelINS0_14default_configENS1_38merge_sort_block_merge_config_selectorItNS0_10empty_typeEEEZZNS1_27merge_sort_block_merge_implIS3_PtPS5_jNS1_19radix_merge_compareILb0ELb0EtNS0_19identity_decomposerEEEEE10hipError_tT0_T1_T2_jT3_P12ihipStream_tbPNSt15iterator_traitsISE_E10value_typeEPNSK_ISF_E10value_typeEPSG_NS1_7vsmem_tEENKUlT_SE_SF_SG_E_clIS8_S8_S9_S9_EESD_ST_SE_SF_SG_EUlST_E_NS1_11comp_targetILNS1_3genE3ELNS1_11target_archE908ELNS1_3gpuE7ELNS1_3repE0EEENS1_48merge_mergepath_partition_config_static_selectorELNS0_4arch9wavefront6targetE0EEEvSF_
    .private_segment_fixed_size: 0
    .sgpr_count:     0
    .sgpr_spill_count: 0
    .symbol:         _ZN7rocprim17ROCPRIM_400000_NS6detail17trampoline_kernelINS0_14default_configENS1_38merge_sort_block_merge_config_selectorItNS0_10empty_typeEEEZZNS1_27merge_sort_block_merge_implIS3_PtPS5_jNS1_19radix_merge_compareILb0ELb0EtNS0_19identity_decomposerEEEEE10hipError_tT0_T1_T2_jT3_P12ihipStream_tbPNSt15iterator_traitsISE_E10value_typeEPNSK_ISF_E10value_typeEPSG_NS1_7vsmem_tEENKUlT_SE_SF_SG_E_clIS8_S8_S9_S9_EESD_ST_SE_SF_SG_EUlST_E_NS1_11comp_targetILNS1_3genE3ELNS1_11target_archE908ELNS1_3gpuE7ELNS1_3repE0EEENS1_48merge_mergepath_partition_config_static_selectorELNS0_4arch9wavefront6targetE0EEEvSF_.kd
    .uniform_work_group_size: 1
    .uses_dynamic_stack: false
    .vgpr_count:     0
    .vgpr_spill_count: 0
    .wavefront_size: 32
  - .args:
      - .offset:         0
        .size:           40
        .value_kind:     by_value
    .group_segment_fixed_size: 0
    .kernarg_segment_align: 8
    .kernarg_segment_size: 40
    .language:       OpenCL C
    .language_version:
      - 2
      - 0
    .max_flat_workgroup_size: 128
    .name:           _ZN7rocprim17ROCPRIM_400000_NS6detail17trampoline_kernelINS0_14default_configENS1_38merge_sort_block_merge_config_selectorItNS0_10empty_typeEEEZZNS1_27merge_sort_block_merge_implIS3_PtPS5_jNS1_19radix_merge_compareILb0ELb0EtNS0_19identity_decomposerEEEEE10hipError_tT0_T1_T2_jT3_P12ihipStream_tbPNSt15iterator_traitsISE_E10value_typeEPNSK_ISF_E10value_typeEPSG_NS1_7vsmem_tEENKUlT_SE_SF_SG_E_clIS8_S8_S9_S9_EESD_ST_SE_SF_SG_EUlST_E_NS1_11comp_targetILNS1_3genE2ELNS1_11target_archE906ELNS1_3gpuE6ELNS1_3repE0EEENS1_48merge_mergepath_partition_config_static_selectorELNS0_4arch9wavefront6targetE0EEEvSF_
    .private_segment_fixed_size: 0
    .sgpr_count:     0
    .sgpr_spill_count: 0
    .symbol:         _ZN7rocprim17ROCPRIM_400000_NS6detail17trampoline_kernelINS0_14default_configENS1_38merge_sort_block_merge_config_selectorItNS0_10empty_typeEEEZZNS1_27merge_sort_block_merge_implIS3_PtPS5_jNS1_19radix_merge_compareILb0ELb0EtNS0_19identity_decomposerEEEEE10hipError_tT0_T1_T2_jT3_P12ihipStream_tbPNSt15iterator_traitsISE_E10value_typeEPNSK_ISF_E10value_typeEPSG_NS1_7vsmem_tEENKUlT_SE_SF_SG_E_clIS8_S8_S9_S9_EESD_ST_SE_SF_SG_EUlST_E_NS1_11comp_targetILNS1_3genE2ELNS1_11target_archE906ELNS1_3gpuE6ELNS1_3repE0EEENS1_48merge_mergepath_partition_config_static_selectorELNS0_4arch9wavefront6targetE0EEEvSF_.kd
    .uniform_work_group_size: 1
    .uses_dynamic_stack: false
    .vgpr_count:     0
    .vgpr_spill_count: 0
    .wavefront_size: 32
  - .args:
      - .offset:         0
        .size:           40
        .value_kind:     by_value
    .group_segment_fixed_size: 0
    .kernarg_segment_align: 8
    .kernarg_segment_size: 40
    .language:       OpenCL C
    .language_version:
      - 2
      - 0
    .max_flat_workgroup_size: 128
    .name:           _ZN7rocprim17ROCPRIM_400000_NS6detail17trampoline_kernelINS0_14default_configENS1_38merge_sort_block_merge_config_selectorItNS0_10empty_typeEEEZZNS1_27merge_sort_block_merge_implIS3_PtPS5_jNS1_19radix_merge_compareILb0ELb0EtNS0_19identity_decomposerEEEEE10hipError_tT0_T1_T2_jT3_P12ihipStream_tbPNSt15iterator_traitsISE_E10value_typeEPNSK_ISF_E10value_typeEPSG_NS1_7vsmem_tEENKUlT_SE_SF_SG_E_clIS8_S8_S9_S9_EESD_ST_SE_SF_SG_EUlST_E_NS1_11comp_targetILNS1_3genE9ELNS1_11target_archE1100ELNS1_3gpuE3ELNS1_3repE0EEENS1_48merge_mergepath_partition_config_static_selectorELNS0_4arch9wavefront6targetE0EEEvSF_
    .private_segment_fixed_size: 0
    .sgpr_count:     0
    .sgpr_spill_count: 0
    .symbol:         _ZN7rocprim17ROCPRIM_400000_NS6detail17trampoline_kernelINS0_14default_configENS1_38merge_sort_block_merge_config_selectorItNS0_10empty_typeEEEZZNS1_27merge_sort_block_merge_implIS3_PtPS5_jNS1_19radix_merge_compareILb0ELb0EtNS0_19identity_decomposerEEEEE10hipError_tT0_T1_T2_jT3_P12ihipStream_tbPNSt15iterator_traitsISE_E10value_typeEPNSK_ISF_E10value_typeEPSG_NS1_7vsmem_tEENKUlT_SE_SF_SG_E_clIS8_S8_S9_S9_EESD_ST_SE_SF_SG_EUlST_E_NS1_11comp_targetILNS1_3genE9ELNS1_11target_archE1100ELNS1_3gpuE3ELNS1_3repE0EEENS1_48merge_mergepath_partition_config_static_selectorELNS0_4arch9wavefront6targetE0EEEvSF_.kd
    .uniform_work_group_size: 1
    .uses_dynamic_stack: false
    .vgpr_count:     0
    .vgpr_spill_count: 0
    .wavefront_size: 32
  - .args:
      - .offset:         0
        .size:           40
        .value_kind:     by_value
    .group_segment_fixed_size: 0
    .kernarg_segment_align: 8
    .kernarg_segment_size: 40
    .language:       OpenCL C
    .language_version:
      - 2
      - 0
    .max_flat_workgroup_size: 128
    .name:           _ZN7rocprim17ROCPRIM_400000_NS6detail17trampoline_kernelINS0_14default_configENS1_38merge_sort_block_merge_config_selectorItNS0_10empty_typeEEEZZNS1_27merge_sort_block_merge_implIS3_PtPS5_jNS1_19radix_merge_compareILb0ELb0EtNS0_19identity_decomposerEEEEE10hipError_tT0_T1_T2_jT3_P12ihipStream_tbPNSt15iterator_traitsISE_E10value_typeEPNSK_ISF_E10value_typeEPSG_NS1_7vsmem_tEENKUlT_SE_SF_SG_E_clIS8_S8_S9_S9_EESD_ST_SE_SF_SG_EUlST_E_NS1_11comp_targetILNS1_3genE8ELNS1_11target_archE1030ELNS1_3gpuE2ELNS1_3repE0EEENS1_48merge_mergepath_partition_config_static_selectorELNS0_4arch9wavefront6targetE0EEEvSF_
    .private_segment_fixed_size: 0
    .sgpr_count:     0
    .sgpr_spill_count: 0
    .symbol:         _ZN7rocprim17ROCPRIM_400000_NS6detail17trampoline_kernelINS0_14default_configENS1_38merge_sort_block_merge_config_selectorItNS0_10empty_typeEEEZZNS1_27merge_sort_block_merge_implIS3_PtPS5_jNS1_19radix_merge_compareILb0ELb0EtNS0_19identity_decomposerEEEEE10hipError_tT0_T1_T2_jT3_P12ihipStream_tbPNSt15iterator_traitsISE_E10value_typeEPNSK_ISF_E10value_typeEPSG_NS1_7vsmem_tEENKUlT_SE_SF_SG_E_clIS8_S8_S9_S9_EESD_ST_SE_SF_SG_EUlST_E_NS1_11comp_targetILNS1_3genE8ELNS1_11target_archE1030ELNS1_3gpuE2ELNS1_3repE0EEENS1_48merge_mergepath_partition_config_static_selectorELNS0_4arch9wavefront6targetE0EEEvSF_.kd
    .uniform_work_group_size: 1
    .uses_dynamic_stack: false
    .vgpr_count:     0
    .vgpr_spill_count: 0
    .wavefront_size: 32
  - .args:
      - .offset:         0
        .size:           64
        .value_kind:     by_value
      - .offset:         64
        .size:           4
        .value_kind:     hidden_block_count_x
      - .offset:         68
        .size:           4
        .value_kind:     hidden_block_count_y
      - .offset:         72
        .size:           4
        .value_kind:     hidden_block_count_z
      - .offset:         76
        .size:           2
        .value_kind:     hidden_group_size_x
      - .offset:         78
        .size:           2
        .value_kind:     hidden_group_size_y
      - .offset:         80
        .size:           2
        .value_kind:     hidden_group_size_z
      - .offset:         82
        .size:           2
        .value_kind:     hidden_remainder_x
      - .offset:         84
        .size:           2
        .value_kind:     hidden_remainder_y
      - .offset:         86
        .size:           2
        .value_kind:     hidden_remainder_z
      - .offset:         104
        .size:           8
        .value_kind:     hidden_global_offset_x
      - .offset:         112
        .size:           8
        .value_kind:     hidden_global_offset_y
      - .offset:         120
        .size:           8
        .value_kind:     hidden_global_offset_z
      - .offset:         128
        .size:           2
        .value_kind:     hidden_grid_dims
    .group_segment_fixed_size: 2112
    .kernarg_segment_align: 8
    .kernarg_segment_size: 320
    .language:       OpenCL C
    .language_version:
      - 2
      - 0
    .max_flat_workgroup_size: 128
    .name:           _ZN7rocprim17ROCPRIM_400000_NS6detail17trampoline_kernelINS0_14default_configENS1_38merge_sort_block_merge_config_selectorItNS0_10empty_typeEEEZZNS1_27merge_sort_block_merge_implIS3_PtPS5_jNS1_19radix_merge_compareILb0ELb0EtNS0_19identity_decomposerEEEEE10hipError_tT0_T1_T2_jT3_P12ihipStream_tbPNSt15iterator_traitsISE_E10value_typeEPNSK_ISF_E10value_typeEPSG_NS1_7vsmem_tEENKUlT_SE_SF_SG_E_clIS8_S8_S9_S9_EESD_ST_SE_SF_SG_EUlST_E0_NS1_11comp_targetILNS1_3genE0ELNS1_11target_archE4294967295ELNS1_3gpuE0ELNS1_3repE0EEENS1_38merge_mergepath_config_static_selectorELNS0_4arch9wavefront6targetE0EEEvSF_
    .private_segment_fixed_size: 0
    .sgpr_count:     25
    .sgpr_spill_count: 0
    .symbol:         _ZN7rocprim17ROCPRIM_400000_NS6detail17trampoline_kernelINS0_14default_configENS1_38merge_sort_block_merge_config_selectorItNS0_10empty_typeEEEZZNS1_27merge_sort_block_merge_implIS3_PtPS5_jNS1_19radix_merge_compareILb0ELb0EtNS0_19identity_decomposerEEEEE10hipError_tT0_T1_T2_jT3_P12ihipStream_tbPNSt15iterator_traitsISE_E10value_typeEPNSK_ISF_E10value_typeEPSG_NS1_7vsmem_tEENKUlT_SE_SF_SG_E_clIS8_S8_S9_S9_EESD_ST_SE_SF_SG_EUlST_E0_NS1_11comp_targetILNS1_3genE0ELNS1_11target_archE4294967295ELNS1_3gpuE0ELNS1_3repE0EEENS1_38merge_mergepath_config_static_selectorELNS0_4arch9wavefront6targetE0EEEvSF_.kd
    .uniform_work_group_size: 1
    .uses_dynamic_stack: false
    .vgpr_count:     27
    .vgpr_spill_count: 0
    .wavefront_size: 32
  - .args:
      - .offset:         0
        .size:           64
        .value_kind:     by_value
    .group_segment_fixed_size: 0
    .kernarg_segment_align: 8
    .kernarg_segment_size: 64
    .language:       OpenCL C
    .language_version:
      - 2
      - 0
    .max_flat_workgroup_size: 128
    .name:           _ZN7rocprim17ROCPRIM_400000_NS6detail17trampoline_kernelINS0_14default_configENS1_38merge_sort_block_merge_config_selectorItNS0_10empty_typeEEEZZNS1_27merge_sort_block_merge_implIS3_PtPS5_jNS1_19radix_merge_compareILb0ELb0EtNS0_19identity_decomposerEEEEE10hipError_tT0_T1_T2_jT3_P12ihipStream_tbPNSt15iterator_traitsISE_E10value_typeEPNSK_ISF_E10value_typeEPSG_NS1_7vsmem_tEENKUlT_SE_SF_SG_E_clIS8_S8_S9_S9_EESD_ST_SE_SF_SG_EUlST_E0_NS1_11comp_targetILNS1_3genE10ELNS1_11target_archE1201ELNS1_3gpuE5ELNS1_3repE0EEENS1_38merge_mergepath_config_static_selectorELNS0_4arch9wavefront6targetE0EEEvSF_
    .private_segment_fixed_size: 0
    .sgpr_count:     0
    .sgpr_spill_count: 0
    .symbol:         _ZN7rocprim17ROCPRIM_400000_NS6detail17trampoline_kernelINS0_14default_configENS1_38merge_sort_block_merge_config_selectorItNS0_10empty_typeEEEZZNS1_27merge_sort_block_merge_implIS3_PtPS5_jNS1_19radix_merge_compareILb0ELb0EtNS0_19identity_decomposerEEEEE10hipError_tT0_T1_T2_jT3_P12ihipStream_tbPNSt15iterator_traitsISE_E10value_typeEPNSK_ISF_E10value_typeEPSG_NS1_7vsmem_tEENKUlT_SE_SF_SG_E_clIS8_S8_S9_S9_EESD_ST_SE_SF_SG_EUlST_E0_NS1_11comp_targetILNS1_3genE10ELNS1_11target_archE1201ELNS1_3gpuE5ELNS1_3repE0EEENS1_38merge_mergepath_config_static_selectorELNS0_4arch9wavefront6targetE0EEEvSF_.kd
    .uniform_work_group_size: 1
    .uses_dynamic_stack: false
    .vgpr_count:     0
    .vgpr_spill_count: 0
    .wavefront_size: 32
  - .args:
      - .offset:         0
        .size:           64
        .value_kind:     by_value
    .group_segment_fixed_size: 0
    .kernarg_segment_align: 8
    .kernarg_segment_size: 64
    .language:       OpenCL C
    .language_version:
      - 2
      - 0
    .max_flat_workgroup_size: 128
    .name:           _ZN7rocprim17ROCPRIM_400000_NS6detail17trampoline_kernelINS0_14default_configENS1_38merge_sort_block_merge_config_selectorItNS0_10empty_typeEEEZZNS1_27merge_sort_block_merge_implIS3_PtPS5_jNS1_19radix_merge_compareILb0ELb0EtNS0_19identity_decomposerEEEEE10hipError_tT0_T1_T2_jT3_P12ihipStream_tbPNSt15iterator_traitsISE_E10value_typeEPNSK_ISF_E10value_typeEPSG_NS1_7vsmem_tEENKUlT_SE_SF_SG_E_clIS8_S8_S9_S9_EESD_ST_SE_SF_SG_EUlST_E0_NS1_11comp_targetILNS1_3genE5ELNS1_11target_archE942ELNS1_3gpuE9ELNS1_3repE0EEENS1_38merge_mergepath_config_static_selectorELNS0_4arch9wavefront6targetE0EEEvSF_
    .private_segment_fixed_size: 0
    .sgpr_count:     0
    .sgpr_spill_count: 0
    .symbol:         _ZN7rocprim17ROCPRIM_400000_NS6detail17trampoline_kernelINS0_14default_configENS1_38merge_sort_block_merge_config_selectorItNS0_10empty_typeEEEZZNS1_27merge_sort_block_merge_implIS3_PtPS5_jNS1_19radix_merge_compareILb0ELb0EtNS0_19identity_decomposerEEEEE10hipError_tT0_T1_T2_jT3_P12ihipStream_tbPNSt15iterator_traitsISE_E10value_typeEPNSK_ISF_E10value_typeEPSG_NS1_7vsmem_tEENKUlT_SE_SF_SG_E_clIS8_S8_S9_S9_EESD_ST_SE_SF_SG_EUlST_E0_NS1_11comp_targetILNS1_3genE5ELNS1_11target_archE942ELNS1_3gpuE9ELNS1_3repE0EEENS1_38merge_mergepath_config_static_selectorELNS0_4arch9wavefront6targetE0EEEvSF_.kd
    .uniform_work_group_size: 1
    .uses_dynamic_stack: false
    .vgpr_count:     0
    .vgpr_spill_count: 0
    .wavefront_size: 32
  - .args:
      - .offset:         0
        .size:           64
        .value_kind:     by_value
    .group_segment_fixed_size: 0
    .kernarg_segment_align: 8
    .kernarg_segment_size: 64
    .language:       OpenCL C
    .language_version:
      - 2
      - 0
    .max_flat_workgroup_size: 128
    .name:           _ZN7rocprim17ROCPRIM_400000_NS6detail17trampoline_kernelINS0_14default_configENS1_38merge_sort_block_merge_config_selectorItNS0_10empty_typeEEEZZNS1_27merge_sort_block_merge_implIS3_PtPS5_jNS1_19radix_merge_compareILb0ELb0EtNS0_19identity_decomposerEEEEE10hipError_tT0_T1_T2_jT3_P12ihipStream_tbPNSt15iterator_traitsISE_E10value_typeEPNSK_ISF_E10value_typeEPSG_NS1_7vsmem_tEENKUlT_SE_SF_SG_E_clIS8_S8_S9_S9_EESD_ST_SE_SF_SG_EUlST_E0_NS1_11comp_targetILNS1_3genE4ELNS1_11target_archE910ELNS1_3gpuE8ELNS1_3repE0EEENS1_38merge_mergepath_config_static_selectorELNS0_4arch9wavefront6targetE0EEEvSF_
    .private_segment_fixed_size: 0
    .sgpr_count:     0
    .sgpr_spill_count: 0
    .symbol:         _ZN7rocprim17ROCPRIM_400000_NS6detail17trampoline_kernelINS0_14default_configENS1_38merge_sort_block_merge_config_selectorItNS0_10empty_typeEEEZZNS1_27merge_sort_block_merge_implIS3_PtPS5_jNS1_19radix_merge_compareILb0ELb0EtNS0_19identity_decomposerEEEEE10hipError_tT0_T1_T2_jT3_P12ihipStream_tbPNSt15iterator_traitsISE_E10value_typeEPNSK_ISF_E10value_typeEPSG_NS1_7vsmem_tEENKUlT_SE_SF_SG_E_clIS8_S8_S9_S9_EESD_ST_SE_SF_SG_EUlST_E0_NS1_11comp_targetILNS1_3genE4ELNS1_11target_archE910ELNS1_3gpuE8ELNS1_3repE0EEENS1_38merge_mergepath_config_static_selectorELNS0_4arch9wavefront6targetE0EEEvSF_.kd
    .uniform_work_group_size: 1
    .uses_dynamic_stack: false
    .vgpr_count:     0
    .vgpr_spill_count: 0
    .wavefront_size: 32
  - .args:
      - .offset:         0
        .size:           64
        .value_kind:     by_value
    .group_segment_fixed_size: 0
    .kernarg_segment_align: 8
    .kernarg_segment_size: 64
    .language:       OpenCL C
    .language_version:
      - 2
      - 0
    .max_flat_workgroup_size: 128
    .name:           _ZN7rocprim17ROCPRIM_400000_NS6detail17trampoline_kernelINS0_14default_configENS1_38merge_sort_block_merge_config_selectorItNS0_10empty_typeEEEZZNS1_27merge_sort_block_merge_implIS3_PtPS5_jNS1_19radix_merge_compareILb0ELb0EtNS0_19identity_decomposerEEEEE10hipError_tT0_T1_T2_jT3_P12ihipStream_tbPNSt15iterator_traitsISE_E10value_typeEPNSK_ISF_E10value_typeEPSG_NS1_7vsmem_tEENKUlT_SE_SF_SG_E_clIS8_S8_S9_S9_EESD_ST_SE_SF_SG_EUlST_E0_NS1_11comp_targetILNS1_3genE3ELNS1_11target_archE908ELNS1_3gpuE7ELNS1_3repE0EEENS1_38merge_mergepath_config_static_selectorELNS0_4arch9wavefront6targetE0EEEvSF_
    .private_segment_fixed_size: 0
    .sgpr_count:     0
    .sgpr_spill_count: 0
    .symbol:         _ZN7rocprim17ROCPRIM_400000_NS6detail17trampoline_kernelINS0_14default_configENS1_38merge_sort_block_merge_config_selectorItNS0_10empty_typeEEEZZNS1_27merge_sort_block_merge_implIS3_PtPS5_jNS1_19radix_merge_compareILb0ELb0EtNS0_19identity_decomposerEEEEE10hipError_tT0_T1_T2_jT3_P12ihipStream_tbPNSt15iterator_traitsISE_E10value_typeEPNSK_ISF_E10value_typeEPSG_NS1_7vsmem_tEENKUlT_SE_SF_SG_E_clIS8_S8_S9_S9_EESD_ST_SE_SF_SG_EUlST_E0_NS1_11comp_targetILNS1_3genE3ELNS1_11target_archE908ELNS1_3gpuE7ELNS1_3repE0EEENS1_38merge_mergepath_config_static_selectorELNS0_4arch9wavefront6targetE0EEEvSF_.kd
    .uniform_work_group_size: 1
    .uses_dynamic_stack: false
    .vgpr_count:     0
    .vgpr_spill_count: 0
    .wavefront_size: 32
  - .args:
      - .offset:         0
        .size:           64
        .value_kind:     by_value
    .group_segment_fixed_size: 0
    .kernarg_segment_align: 8
    .kernarg_segment_size: 64
    .language:       OpenCL C
    .language_version:
      - 2
      - 0
    .max_flat_workgroup_size: 128
    .name:           _ZN7rocprim17ROCPRIM_400000_NS6detail17trampoline_kernelINS0_14default_configENS1_38merge_sort_block_merge_config_selectorItNS0_10empty_typeEEEZZNS1_27merge_sort_block_merge_implIS3_PtPS5_jNS1_19radix_merge_compareILb0ELb0EtNS0_19identity_decomposerEEEEE10hipError_tT0_T1_T2_jT3_P12ihipStream_tbPNSt15iterator_traitsISE_E10value_typeEPNSK_ISF_E10value_typeEPSG_NS1_7vsmem_tEENKUlT_SE_SF_SG_E_clIS8_S8_S9_S9_EESD_ST_SE_SF_SG_EUlST_E0_NS1_11comp_targetILNS1_3genE2ELNS1_11target_archE906ELNS1_3gpuE6ELNS1_3repE0EEENS1_38merge_mergepath_config_static_selectorELNS0_4arch9wavefront6targetE0EEEvSF_
    .private_segment_fixed_size: 0
    .sgpr_count:     0
    .sgpr_spill_count: 0
    .symbol:         _ZN7rocprim17ROCPRIM_400000_NS6detail17trampoline_kernelINS0_14default_configENS1_38merge_sort_block_merge_config_selectorItNS0_10empty_typeEEEZZNS1_27merge_sort_block_merge_implIS3_PtPS5_jNS1_19radix_merge_compareILb0ELb0EtNS0_19identity_decomposerEEEEE10hipError_tT0_T1_T2_jT3_P12ihipStream_tbPNSt15iterator_traitsISE_E10value_typeEPNSK_ISF_E10value_typeEPSG_NS1_7vsmem_tEENKUlT_SE_SF_SG_E_clIS8_S8_S9_S9_EESD_ST_SE_SF_SG_EUlST_E0_NS1_11comp_targetILNS1_3genE2ELNS1_11target_archE906ELNS1_3gpuE6ELNS1_3repE0EEENS1_38merge_mergepath_config_static_selectorELNS0_4arch9wavefront6targetE0EEEvSF_.kd
    .uniform_work_group_size: 1
    .uses_dynamic_stack: false
    .vgpr_count:     0
    .vgpr_spill_count: 0
    .wavefront_size: 32
  - .args:
      - .offset:         0
        .size:           64
        .value_kind:     by_value
    .group_segment_fixed_size: 0
    .kernarg_segment_align: 8
    .kernarg_segment_size: 64
    .language:       OpenCL C
    .language_version:
      - 2
      - 0
    .max_flat_workgroup_size: 128
    .name:           _ZN7rocprim17ROCPRIM_400000_NS6detail17trampoline_kernelINS0_14default_configENS1_38merge_sort_block_merge_config_selectorItNS0_10empty_typeEEEZZNS1_27merge_sort_block_merge_implIS3_PtPS5_jNS1_19radix_merge_compareILb0ELb0EtNS0_19identity_decomposerEEEEE10hipError_tT0_T1_T2_jT3_P12ihipStream_tbPNSt15iterator_traitsISE_E10value_typeEPNSK_ISF_E10value_typeEPSG_NS1_7vsmem_tEENKUlT_SE_SF_SG_E_clIS8_S8_S9_S9_EESD_ST_SE_SF_SG_EUlST_E0_NS1_11comp_targetILNS1_3genE9ELNS1_11target_archE1100ELNS1_3gpuE3ELNS1_3repE0EEENS1_38merge_mergepath_config_static_selectorELNS0_4arch9wavefront6targetE0EEEvSF_
    .private_segment_fixed_size: 0
    .sgpr_count:     0
    .sgpr_spill_count: 0
    .symbol:         _ZN7rocprim17ROCPRIM_400000_NS6detail17trampoline_kernelINS0_14default_configENS1_38merge_sort_block_merge_config_selectorItNS0_10empty_typeEEEZZNS1_27merge_sort_block_merge_implIS3_PtPS5_jNS1_19radix_merge_compareILb0ELb0EtNS0_19identity_decomposerEEEEE10hipError_tT0_T1_T2_jT3_P12ihipStream_tbPNSt15iterator_traitsISE_E10value_typeEPNSK_ISF_E10value_typeEPSG_NS1_7vsmem_tEENKUlT_SE_SF_SG_E_clIS8_S8_S9_S9_EESD_ST_SE_SF_SG_EUlST_E0_NS1_11comp_targetILNS1_3genE9ELNS1_11target_archE1100ELNS1_3gpuE3ELNS1_3repE0EEENS1_38merge_mergepath_config_static_selectorELNS0_4arch9wavefront6targetE0EEEvSF_.kd
    .uniform_work_group_size: 1
    .uses_dynamic_stack: false
    .vgpr_count:     0
    .vgpr_spill_count: 0
    .wavefront_size: 32
  - .args:
      - .offset:         0
        .size:           64
        .value_kind:     by_value
    .group_segment_fixed_size: 0
    .kernarg_segment_align: 8
    .kernarg_segment_size: 64
    .language:       OpenCL C
    .language_version:
      - 2
      - 0
    .max_flat_workgroup_size: 128
    .name:           _ZN7rocprim17ROCPRIM_400000_NS6detail17trampoline_kernelINS0_14default_configENS1_38merge_sort_block_merge_config_selectorItNS0_10empty_typeEEEZZNS1_27merge_sort_block_merge_implIS3_PtPS5_jNS1_19radix_merge_compareILb0ELb0EtNS0_19identity_decomposerEEEEE10hipError_tT0_T1_T2_jT3_P12ihipStream_tbPNSt15iterator_traitsISE_E10value_typeEPNSK_ISF_E10value_typeEPSG_NS1_7vsmem_tEENKUlT_SE_SF_SG_E_clIS8_S8_S9_S9_EESD_ST_SE_SF_SG_EUlST_E0_NS1_11comp_targetILNS1_3genE8ELNS1_11target_archE1030ELNS1_3gpuE2ELNS1_3repE0EEENS1_38merge_mergepath_config_static_selectorELNS0_4arch9wavefront6targetE0EEEvSF_
    .private_segment_fixed_size: 0
    .sgpr_count:     0
    .sgpr_spill_count: 0
    .symbol:         _ZN7rocprim17ROCPRIM_400000_NS6detail17trampoline_kernelINS0_14default_configENS1_38merge_sort_block_merge_config_selectorItNS0_10empty_typeEEEZZNS1_27merge_sort_block_merge_implIS3_PtPS5_jNS1_19radix_merge_compareILb0ELb0EtNS0_19identity_decomposerEEEEE10hipError_tT0_T1_T2_jT3_P12ihipStream_tbPNSt15iterator_traitsISE_E10value_typeEPNSK_ISF_E10value_typeEPSG_NS1_7vsmem_tEENKUlT_SE_SF_SG_E_clIS8_S8_S9_S9_EESD_ST_SE_SF_SG_EUlST_E0_NS1_11comp_targetILNS1_3genE8ELNS1_11target_archE1030ELNS1_3gpuE2ELNS1_3repE0EEENS1_38merge_mergepath_config_static_selectorELNS0_4arch9wavefront6targetE0EEEvSF_.kd
    .uniform_work_group_size: 1
    .uses_dynamic_stack: false
    .vgpr_count:     0
    .vgpr_spill_count: 0
    .wavefront_size: 32
  - .args:
      - .offset:         0
        .size:           48
        .value_kind:     by_value
    .group_segment_fixed_size: 0
    .kernarg_segment_align: 8
    .kernarg_segment_size: 48
    .language:       OpenCL C
    .language_version:
      - 2
      - 0
    .max_flat_workgroup_size: 256
    .name:           _ZN7rocprim17ROCPRIM_400000_NS6detail17trampoline_kernelINS0_14default_configENS1_38merge_sort_block_merge_config_selectorItNS0_10empty_typeEEEZZNS1_27merge_sort_block_merge_implIS3_PtPS5_jNS1_19radix_merge_compareILb0ELb0EtNS0_19identity_decomposerEEEEE10hipError_tT0_T1_T2_jT3_P12ihipStream_tbPNSt15iterator_traitsISE_E10value_typeEPNSK_ISF_E10value_typeEPSG_NS1_7vsmem_tEENKUlT_SE_SF_SG_E_clIS8_S8_S9_S9_EESD_ST_SE_SF_SG_EUlST_E1_NS1_11comp_targetILNS1_3genE0ELNS1_11target_archE4294967295ELNS1_3gpuE0ELNS1_3repE0EEENS1_36merge_oddeven_config_static_selectorELNS0_4arch9wavefront6targetE0EEEvSF_
    .private_segment_fixed_size: 0
    .sgpr_count:     18
    .sgpr_spill_count: 0
    .symbol:         _ZN7rocprim17ROCPRIM_400000_NS6detail17trampoline_kernelINS0_14default_configENS1_38merge_sort_block_merge_config_selectorItNS0_10empty_typeEEEZZNS1_27merge_sort_block_merge_implIS3_PtPS5_jNS1_19radix_merge_compareILb0ELb0EtNS0_19identity_decomposerEEEEE10hipError_tT0_T1_T2_jT3_P12ihipStream_tbPNSt15iterator_traitsISE_E10value_typeEPNSK_ISF_E10value_typeEPSG_NS1_7vsmem_tEENKUlT_SE_SF_SG_E_clIS8_S8_S9_S9_EESD_ST_SE_SF_SG_EUlST_E1_NS1_11comp_targetILNS1_3genE0ELNS1_11target_archE4294967295ELNS1_3gpuE0ELNS1_3repE0EEENS1_36merge_oddeven_config_static_selectorELNS0_4arch9wavefront6targetE0EEEvSF_.kd
    .uniform_work_group_size: 1
    .uses_dynamic_stack: false
    .vgpr_count:     7
    .vgpr_spill_count: 0
    .wavefront_size: 32
  - .args:
      - .offset:         0
        .size:           48
        .value_kind:     by_value
    .group_segment_fixed_size: 0
    .kernarg_segment_align: 8
    .kernarg_segment_size: 48
    .language:       OpenCL C
    .language_version:
      - 2
      - 0
    .max_flat_workgroup_size: 256
    .name:           _ZN7rocprim17ROCPRIM_400000_NS6detail17trampoline_kernelINS0_14default_configENS1_38merge_sort_block_merge_config_selectorItNS0_10empty_typeEEEZZNS1_27merge_sort_block_merge_implIS3_PtPS5_jNS1_19radix_merge_compareILb0ELb0EtNS0_19identity_decomposerEEEEE10hipError_tT0_T1_T2_jT3_P12ihipStream_tbPNSt15iterator_traitsISE_E10value_typeEPNSK_ISF_E10value_typeEPSG_NS1_7vsmem_tEENKUlT_SE_SF_SG_E_clIS8_S8_S9_S9_EESD_ST_SE_SF_SG_EUlST_E1_NS1_11comp_targetILNS1_3genE10ELNS1_11target_archE1201ELNS1_3gpuE5ELNS1_3repE0EEENS1_36merge_oddeven_config_static_selectorELNS0_4arch9wavefront6targetE0EEEvSF_
    .private_segment_fixed_size: 0
    .sgpr_count:     0
    .sgpr_spill_count: 0
    .symbol:         _ZN7rocprim17ROCPRIM_400000_NS6detail17trampoline_kernelINS0_14default_configENS1_38merge_sort_block_merge_config_selectorItNS0_10empty_typeEEEZZNS1_27merge_sort_block_merge_implIS3_PtPS5_jNS1_19radix_merge_compareILb0ELb0EtNS0_19identity_decomposerEEEEE10hipError_tT0_T1_T2_jT3_P12ihipStream_tbPNSt15iterator_traitsISE_E10value_typeEPNSK_ISF_E10value_typeEPSG_NS1_7vsmem_tEENKUlT_SE_SF_SG_E_clIS8_S8_S9_S9_EESD_ST_SE_SF_SG_EUlST_E1_NS1_11comp_targetILNS1_3genE10ELNS1_11target_archE1201ELNS1_3gpuE5ELNS1_3repE0EEENS1_36merge_oddeven_config_static_selectorELNS0_4arch9wavefront6targetE0EEEvSF_.kd
    .uniform_work_group_size: 1
    .uses_dynamic_stack: false
    .vgpr_count:     0
    .vgpr_spill_count: 0
    .wavefront_size: 32
  - .args:
      - .offset:         0
        .size:           48
        .value_kind:     by_value
    .group_segment_fixed_size: 0
    .kernarg_segment_align: 8
    .kernarg_segment_size: 48
    .language:       OpenCL C
    .language_version:
      - 2
      - 0
    .max_flat_workgroup_size: 256
    .name:           _ZN7rocprim17ROCPRIM_400000_NS6detail17trampoline_kernelINS0_14default_configENS1_38merge_sort_block_merge_config_selectorItNS0_10empty_typeEEEZZNS1_27merge_sort_block_merge_implIS3_PtPS5_jNS1_19radix_merge_compareILb0ELb0EtNS0_19identity_decomposerEEEEE10hipError_tT0_T1_T2_jT3_P12ihipStream_tbPNSt15iterator_traitsISE_E10value_typeEPNSK_ISF_E10value_typeEPSG_NS1_7vsmem_tEENKUlT_SE_SF_SG_E_clIS8_S8_S9_S9_EESD_ST_SE_SF_SG_EUlST_E1_NS1_11comp_targetILNS1_3genE5ELNS1_11target_archE942ELNS1_3gpuE9ELNS1_3repE0EEENS1_36merge_oddeven_config_static_selectorELNS0_4arch9wavefront6targetE0EEEvSF_
    .private_segment_fixed_size: 0
    .sgpr_count:     0
    .sgpr_spill_count: 0
    .symbol:         _ZN7rocprim17ROCPRIM_400000_NS6detail17trampoline_kernelINS0_14default_configENS1_38merge_sort_block_merge_config_selectorItNS0_10empty_typeEEEZZNS1_27merge_sort_block_merge_implIS3_PtPS5_jNS1_19radix_merge_compareILb0ELb0EtNS0_19identity_decomposerEEEEE10hipError_tT0_T1_T2_jT3_P12ihipStream_tbPNSt15iterator_traitsISE_E10value_typeEPNSK_ISF_E10value_typeEPSG_NS1_7vsmem_tEENKUlT_SE_SF_SG_E_clIS8_S8_S9_S9_EESD_ST_SE_SF_SG_EUlST_E1_NS1_11comp_targetILNS1_3genE5ELNS1_11target_archE942ELNS1_3gpuE9ELNS1_3repE0EEENS1_36merge_oddeven_config_static_selectorELNS0_4arch9wavefront6targetE0EEEvSF_.kd
    .uniform_work_group_size: 1
    .uses_dynamic_stack: false
    .vgpr_count:     0
    .vgpr_spill_count: 0
    .wavefront_size: 32
  - .args:
      - .offset:         0
        .size:           48
        .value_kind:     by_value
    .group_segment_fixed_size: 0
    .kernarg_segment_align: 8
    .kernarg_segment_size: 48
    .language:       OpenCL C
    .language_version:
      - 2
      - 0
    .max_flat_workgroup_size: 256
    .name:           _ZN7rocprim17ROCPRIM_400000_NS6detail17trampoline_kernelINS0_14default_configENS1_38merge_sort_block_merge_config_selectorItNS0_10empty_typeEEEZZNS1_27merge_sort_block_merge_implIS3_PtPS5_jNS1_19radix_merge_compareILb0ELb0EtNS0_19identity_decomposerEEEEE10hipError_tT0_T1_T2_jT3_P12ihipStream_tbPNSt15iterator_traitsISE_E10value_typeEPNSK_ISF_E10value_typeEPSG_NS1_7vsmem_tEENKUlT_SE_SF_SG_E_clIS8_S8_S9_S9_EESD_ST_SE_SF_SG_EUlST_E1_NS1_11comp_targetILNS1_3genE4ELNS1_11target_archE910ELNS1_3gpuE8ELNS1_3repE0EEENS1_36merge_oddeven_config_static_selectorELNS0_4arch9wavefront6targetE0EEEvSF_
    .private_segment_fixed_size: 0
    .sgpr_count:     0
    .sgpr_spill_count: 0
    .symbol:         _ZN7rocprim17ROCPRIM_400000_NS6detail17trampoline_kernelINS0_14default_configENS1_38merge_sort_block_merge_config_selectorItNS0_10empty_typeEEEZZNS1_27merge_sort_block_merge_implIS3_PtPS5_jNS1_19radix_merge_compareILb0ELb0EtNS0_19identity_decomposerEEEEE10hipError_tT0_T1_T2_jT3_P12ihipStream_tbPNSt15iterator_traitsISE_E10value_typeEPNSK_ISF_E10value_typeEPSG_NS1_7vsmem_tEENKUlT_SE_SF_SG_E_clIS8_S8_S9_S9_EESD_ST_SE_SF_SG_EUlST_E1_NS1_11comp_targetILNS1_3genE4ELNS1_11target_archE910ELNS1_3gpuE8ELNS1_3repE0EEENS1_36merge_oddeven_config_static_selectorELNS0_4arch9wavefront6targetE0EEEvSF_.kd
    .uniform_work_group_size: 1
    .uses_dynamic_stack: false
    .vgpr_count:     0
    .vgpr_spill_count: 0
    .wavefront_size: 32
  - .args:
      - .offset:         0
        .size:           48
        .value_kind:     by_value
    .group_segment_fixed_size: 0
    .kernarg_segment_align: 8
    .kernarg_segment_size: 48
    .language:       OpenCL C
    .language_version:
      - 2
      - 0
    .max_flat_workgroup_size: 256
    .name:           _ZN7rocprim17ROCPRIM_400000_NS6detail17trampoline_kernelINS0_14default_configENS1_38merge_sort_block_merge_config_selectorItNS0_10empty_typeEEEZZNS1_27merge_sort_block_merge_implIS3_PtPS5_jNS1_19radix_merge_compareILb0ELb0EtNS0_19identity_decomposerEEEEE10hipError_tT0_T1_T2_jT3_P12ihipStream_tbPNSt15iterator_traitsISE_E10value_typeEPNSK_ISF_E10value_typeEPSG_NS1_7vsmem_tEENKUlT_SE_SF_SG_E_clIS8_S8_S9_S9_EESD_ST_SE_SF_SG_EUlST_E1_NS1_11comp_targetILNS1_3genE3ELNS1_11target_archE908ELNS1_3gpuE7ELNS1_3repE0EEENS1_36merge_oddeven_config_static_selectorELNS0_4arch9wavefront6targetE0EEEvSF_
    .private_segment_fixed_size: 0
    .sgpr_count:     0
    .sgpr_spill_count: 0
    .symbol:         _ZN7rocprim17ROCPRIM_400000_NS6detail17trampoline_kernelINS0_14default_configENS1_38merge_sort_block_merge_config_selectorItNS0_10empty_typeEEEZZNS1_27merge_sort_block_merge_implIS3_PtPS5_jNS1_19radix_merge_compareILb0ELb0EtNS0_19identity_decomposerEEEEE10hipError_tT0_T1_T2_jT3_P12ihipStream_tbPNSt15iterator_traitsISE_E10value_typeEPNSK_ISF_E10value_typeEPSG_NS1_7vsmem_tEENKUlT_SE_SF_SG_E_clIS8_S8_S9_S9_EESD_ST_SE_SF_SG_EUlST_E1_NS1_11comp_targetILNS1_3genE3ELNS1_11target_archE908ELNS1_3gpuE7ELNS1_3repE0EEENS1_36merge_oddeven_config_static_selectorELNS0_4arch9wavefront6targetE0EEEvSF_.kd
    .uniform_work_group_size: 1
    .uses_dynamic_stack: false
    .vgpr_count:     0
    .vgpr_spill_count: 0
    .wavefront_size: 32
  - .args:
      - .offset:         0
        .size:           48
        .value_kind:     by_value
    .group_segment_fixed_size: 0
    .kernarg_segment_align: 8
    .kernarg_segment_size: 48
    .language:       OpenCL C
    .language_version:
      - 2
      - 0
    .max_flat_workgroup_size: 256
    .name:           _ZN7rocprim17ROCPRIM_400000_NS6detail17trampoline_kernelINS0_14default_configENS1_38merge_sort_block_merge_config_selectorItNS0_10empty_typeEEEZZNS1_27merge_sort_block_merge_implIS3_PtPS5_jNS1_19radix_merge_compareILb0ELb0EtNS0_19identity_decomposerEEEEE10hipError_tT0_T1_T2_jT3_P12ihipStream_tbPNSt15iterator_traitsISE_E10value_typeEPNSK_ISF_E10value_typeEPSG_NS1_7vsmem_tEENKUlT_SE_SF_SG_E_clIS8_S8_S9_S9_EESD_ST_SE_SF_SG_EUlST_E1_NS1_11comp_targetILNS1_3genE2ELNS1_11target_archE906ELNS1_3gpuE6ELNS1_3repE0EEENS1_36merge_oddeven_config_static_selectorELNS0_4arch9wavefront6targetE0EEEvSF_
    .private_segment_fixed_size: 0
    .sgpr_count:     0
    .sgpr_spill_count: 0
    .symbol:         _ZN7rocprim17ROCPRIM_400000_NS6detail17trampoline_kernelINS0_14default_configENS1_38merge_sort_block_merge_config_selectorItNS0_10empty_typeEEEZZNS1_27merge_sort_block_merge_implIS3_PtPS5_jNS1_19radix_merge_compareILb0ELb0EtNS0_19identity_decomposerEEEEE10hipError_tT0_T1_T2_jT3_P12ihipStream_tbPNSt15iterator_traitsISE_E10value_typeEPNSK_ISF_E10value_typeEPSG_NS1_7vsmem_tEENKUlT_SE_SF_SG_E_clIS8_S8_S9_S9_EESD_ST_SE_SF_SG_EUlST_E1_NS1_11comp_targetILNS1_3genE2ELNS1_11target_archE906ELNS1_3gpuE6ELNS1_3repE0EEENS1_36merge_oddeven_config_static_selectorELNS0_4arch9wavefront6targetE0EEEvSF_.kd
    .uniform_work_group_size: 1
    .uses_dynamic_stack: false
    .vgpr_count:     0
    .vgpr_spill_count: 0
    .wavefront_size: 32
  - .args:
      - .offset:         0
        .size:           48
        .value_kind:     by_value
    .group_segment_fixed_size: 0
    .kernarg_segment_align: 8
    .kernarg_segment_size: 48
    .language:       OpenCL C
    .language_version:
      - 2
      - 0
    .max_flat_workgroup_size: 256
    .name:           _ZN7rocprim17ROCPRIM_400000_NS6detail17trampoline_kernelINS0_14default_configENS1_38merge_sort_block_merge_config_selectorItNS0_10empty_typeEEEZZNS1_27merge_sort_block_merge_implIS3_PtPS5_jNS1_19radix_merge_compareILb0ELb0EtNS0_19identity_decomposerEEEEE10hipError_tT0_T1_T2_jT3_P12ihipStream_tbPNSt15iterator_traitsISE_E10value_typeEPNSK_ISF_E10value_typeEPSG_NS1_7vsmem_tEENKUlT_SE_SF_SG_E_clIS8_S8_S9_S9_EESD_ST_SE_SF_SG_EUlST_E1_NS1_11comp_targetILNS1_3genE9ELNS1_11target_archE1100ELNS1_3gpuE3ELNS1_3repE0EEENS1_36merge_oddeven_config_static_selectorELNS0_4arch9wavefront6targetE0EEEvSF_
    .private_segment_fixed_size: 0
    .sgpr_count:     0
    .sgpr_spill_count: 0
    .symbol:         _ZN7rocprim17ROCPRIM_400000_NS6detail17trampoline_kernelINS0_14default_configENS1_38merge_sort_block_merge_config_selectorItNS0_10empty_typeEEEZZNS1_27merge_sort_block_merge_implIS3_PtPS5_jNS1_19radix_merge_compareILb0ELb0EtNS0_19identity_decomposerEEEEE10hipError_tT0_T1_T2_jT3_P12ihipStream_tbPNSt15iterator_traitsISE_E10value_typeEPNSK_ISF_E10value_typeEPSG_NS1_7vsmem_tEENKUlT_SE_SF_SG_E_clIS8_S8_S9_S9_EESD_ST_SE_SF_SG_EUlST_E1_NS1_11comp_targetILNS1_3genE9ELNS1_11target_archE1100ELNS1_3gpuE3ELNS1_3repE0EEENS1_36merge_oddeven_config_static_selectorELNS0_4arch9wavefront6targetE0EEEvSF_.kd
    .uniform_work_group_size: 1
    .uses_dynamic_stack: false
    .vgpr_count:     0
    .vgpr_spill_count: 0
    .wavefront_size: 32
  - .args:
      - .offset:         0
        .size:           48
        .value_kind:     by_value
    .group_segment_fixed_size: 0
    .kernarg_segment_align: 8
    .kernarg_segment_size: 48
    .language:       OpenCL C
    .language_version:
      - 2
      - 0
    .max_flat_workgroup_size: 256
    .name:           _ZN7rocprim17ROCPRIM_400000_NS6detail17trampoline_kernelINS0_14default_configENS1_38merge_sort_block_merge_config_selectorItNS0_10empty_typeEEEZZNS1_27merge_sort_block_merge_implIS3_PtPS5_jNS1_19radix_merge_compareILb0ELb0EtNS0_19identity_decomposerEEEEE10hipError_tT0_T1_T2_jT3_P12ihipStream_tbPNSt15iterator_traitsISE_E10value_typeEPNSK_ISF_E10value_typeEPSG_NS1_7vsmem_tEENKUlT_SE_SF_SG_E_clIS8_S8_S9_S9_EESD_ST_SE_SF_SG_EUlST_E1_NS1_11comp_targetILNS1_3genE8ELNS1_11target_archE1030ELNS1_3gpuE2ELNS1_3repE0EEENS1_36merge_oddeven_config_static_selectorELNS0_4arch9wavefront6targetE0EEEvSF_
    .private_segment_fixed_size: 0
    .sgpr_count:     0
    .sgpr_spill_count: 0
    .symbol:         _ZN7rocprim17ROCPRIM_400000_NS6detail17trampoline_kernelINS0_14default_configENS1_38merge_sort_block_merge_config_selectorItNS0_10empty_typeEEEZZNS1_27merge_sort_block_merge_implIS3_PtPS5_jNS1_19radix_merge_compareILb0ELb0EtNS0_19identity_decomposerEEEEE10hipError_tT0_T1_T2_jT3_P12ihipStream_tbPNSt15iterator_traitsISE_E10value_typeEPNSK_ISF_E10value_typeEPSG_NS1_7vsmem_tEENKUlT_SE_SF_SG_E_clIS8_S8_S9_S9_EESD_ST_SE_SF_SG_EUlST_E1_NS1_11comp_targetILNS1_3genE8ELNS1_11target_archE1030ELNS1_3gpuE2ELNS1_3repE0EEENS1_36merge_oddeven_config_static_selectorELNS0_4arch9wavefront6targetE0EEEvSF_.kd
    .uniform_work_group_size: 1
    .uses_dynamic_stack: false
    .vgpr_count:     0
    .vgpr_spill_count: 0
    .wavefront_size: 32
  - .args:
      - .offset:         0
        .size:           40
        .value_kind:     by_value
    .group_segment_fixed_size: 0
    .kernarg_segment_align: 8
    .kernarg_segment_size: 40
    .language:       OpenCL C
    .language_version:
      - 2
      - 0
    .max_flat_workgroup_size: 128
    .name:           _ZN7rocprim17ROCPRIM_400000_NS6detail17trampoline_kernelINS0_14default_configENS1_38merge_sort_block_merge_config_selectorItNS0_10empty_typeEEEZZNS1_27merge_sort_block_merge_implIS3_PtPS5_jNS1_19radix_merge_compareILb0ELb1EtNS0_19identity_decomposerEEEEE10hipError_tT0_T1_T2_jT3_P12ihipStream_tbPNSt15iterator_traitsISE_E10value_typeEPNSK_ISF_E10value_typeEPSG_NS1_7vsmem_tEENKUlT_SE_SF_SG_E_clIS8_S8_S9_S9_EESD_ST_SE_SF_SG_EUlST_E_NS1_11comp_targetILNS1_3genE0ELNS1_11target_archE4294967295ELNS1_3gpuE0ELNS1_3repE0EEENS1_48merge_mergepath_partition_config_static_selectorELNS0_4arch9wavefront6targetE0EEEvSF_
    .private_segment_fixed_size: 0
    .sgpr_count:     10
    .sgpr_spill_count: 0
    .symbol:         _ZN7rocprim17ROCPRIM_400000_NS6detail17trampoline_kernelINS0_14default_configENS1_38merge_sort_block_merge_config_selectorItNS0_10empty_typeEEEZZNS1_27merge_sort_block_merge_implIS3_PtPS5_jNS1_19radix_merge_compareILb0ELb1EtNS0_19identity_decomposerEEEEE10hipError_tT0_T1_T2_jT3_P12ihipStream_tbPNSt15iterator_traitsISE_E10value_typeEPNSK_ISF_E10value_typeEPSG_NS1_7vsmem_tEENKUlT_SE_SF_SG_E_clIS8_S8_S9_S9_EESD_ST_SE_SF_SG_EUlST_E_NS1_11comp_targetILNS1_3genE0ELNS1_11target_archE4294967295ELNS1_3gpuE0ELNS1_3repE0EEENS1_48merge_mergepath_partition_config_static_selectorELNS0_4arch9wavefront6targetE0EEEvSF_.kd
    .uniform_work_group_size: 1
    .uses_dynamic_stack: false
    .vgpr_count:     17
    .vgpr_spill_count: 0
    .wavefront_size: 32
  - .args:
      - .offset:         0
        .size:           40
        .value_kind:     by_value
    .group_segment_fixed_size: 0
    .kernarg_segment_align: 8
    .kernarg_segment_size: 40
    .language:       OpenCL C
    .language_version:
      - 2
      - 0
    .max_flat_workgroup_size: 128
    .name:           _ZN7rocprim17ROCPRIM_400000_NS6detail17trampoline_kernelINS0_14default_configENS1_38merge_sort_block_merge_config_selectorItNS0_10empty_typeEEEZZNS1_27merge_sort_block_merge_implIS3_PtPS5_jNS1_19radix_merge_compareILb0ELb1EtNS0_19identity_decomposerEEEEE10hipError_tT0_T1_T2_jT3_P12ihipStream_tbPNSt15iterator_traitsISE_E10value_typeEPNSK_ISF_E10value_typeEPSG_NS1_7vsmem_tEENKUlT_SE_SF_SG_E_clIS8_S8_S9_S9_EESD_ST_SE_SF_SG_EUlST_E_NS1_11comp_targetILNS1_3genE10ELNS1_11target_archE1201ELNS1_3gpuE5ELNS1_3repE0EEENS1_48merge_mergepath_partition_config_static_selectorELNS0_4arch9wavefront6targetE0EEEvSF_
    .private_segment_fixed_size: 0
    .sgpr_count:     0
    .sgpr_spill_count: 0
    .symbol:         _ZN7rocprim17ROCPRIM_400000_NS6detail17trampoline_kernelINS0_14default_configENS1_38merge_sort_block_merge_config_selectorItNS0_10empty_typeEEEZZNS1_27merge_sort_block_merge_implIS3_PtPS5_jNS1_19radix_merge_compareILb0ELb1EtNS0_19identity_decomposerEEEEE10hipError_tT0_T1_T2_jT3_P12ihipStream_tbPNSt15iterator_traitsISE_E10value_typeEPNSK_ISF_E10value_typeEPSG_NS1_7vsmem_tEENKUlT_SE_SF_SG_E_clIS8_S8_S9_S9_EESD_ST_SE_SF_SG_EUlST_E_NS1_11comp_targetILNS1_3genE10ELNS1_11target_archE1201ELNS1_3gpuE5ELNS1_3repE0EEENS1_48merge_mergepath_partition_config_static_selectorELNS0_4arch9wavefront6targetE0EEEvSF_.kd
    .uniform_work_group_size: 1
    .uses_dynamic_stack: false
    .vgpr_count:     0
    .vgpr_spill_count: 0
    .wavefront_size: 32
  - .args:
      - .offset:         0
        .size:           40
        .value_kind:     by_value
    .group_segment_fixed_size: 0
    .kernarg_segment_align: 8
    .kernarg_segment_size: 40
    .language:       OpenCL C
    .language_version:
      - 2
      - 0
    .max_flat_workgroup_size: 128
    .name:           _ZN7rocprim17ROCPRIM_400000_NS6detail17trampoline_kernelINS0_14default_configENS1_38merge_sort_block_merge_config_selectorItNS0_10empty_typeEEEZZNS1_27merge_sort_block_merge_implIS3_PtPS5_jNS1_19radix_merge_compareILb0ELb1EtNS0_19identity_decomposerEEEEE10hipError_tT0_T1_T2_jT3_P12ihipStream_tbPNSt15iterator_traitsISE_E10value_typeEPNSK_ISF_E10value_typeEPSG_NS1_7vsmem_tEENKUlT_SE_SF_SG_E_clIS8_S8_S9_S9_EESD_ST_SE_SF_SG_EUlST_E_NS1_11comp_targetILNS1_3genE5ELNS1_11target_archE942ELNS1_3gpuE9ELNS1_3repE0EEENS1_48merge_mergepath_partition_config_static_selectorELNS0_4arch9wavefront6targetE0EEEvSF_
    .private_segment_fixed_size: 0
    .sgpr_count:     0
    .sgpr_spill_count: 0
    .symbol:         _ZN7rocprim17ROCPRIM_400000_NS6detail17trampoline_kernelINS0_14default_configENS1_38merge_sort_block_merge_config_selectorItNS0_10empty_typeEEEZZNS1_27merge_sort_block_merge_implIS3_PtPS5_jNS1_19radix_merge_compareILb0ELb1EtNS0_19identity_decomposerEEEEE10hipError_tT0_T1_T2_jT3_P12ihipStream_tbPNSt15iterator_traitsISE_E10value_typeEPNSK_ISF_E10value_typeEPSG_NS1_7vsmem_tEENKUlT_SE_SF_SG_E_clIS8_S8_S9_S9_EESD_ST_SE_SF_SG_EUlST_E_NS1_11comp_targetILNS1_3genE5ELNS1_11target_archE942ELNS1_3gpuE9ELNS1_3repE0EEENS1_48merge_mergepath_partition_config_static_selectorELNS0_4arch9wavefront6targetE0EEEvSF_.kd
    .uniform_work_group_size: 1
    .uses_dynamic_stack: false
    .vgpr_count:     0
    .vgpr_spill_count: 0
    .wavefront_size: 32
  - .args:
      - .offset:         0
        .size:           40
        .value_kind:     by_value
    .group_segment_fixed_size: 0
    .kernarg_segment_align: 8
    .kernarg_segment_size: 40
    .language:       OpenCL C
    .language_version:
      - 2
      - 0
    .max_flat_workgroup_size: 128
    .name:           _ZN7rocprim17ROCPRIM_400000_NS6detail17trampoline_kernelINS0_14default_configENS1_38merge_sort_block_merge_config_selectorItNS0_10empty_typeEEEZZNS1_27merge_sort_block_merge_implIS3_PtPS5_jNS1_19radix_merge_compareILb0ELb1EtNS0_19identity_decomposerEEEEE10hipError_tT0_T1_T2_jT3_P12ihipStream_tbPNSt15iterator_traitsISE_E10value_typeEPNSK_ISF_E10value_typeEPSG_NS1_7vsmem_tEENKUlT_SE_SF_SG_E_clIS8_S8_S9_S9_EESD_ST_SE_SF_SG_EUlST_E_NS1_11comp_targetILNS1_3genE4ELNS1_11target_archE910ELNS1_3gpuE8ELNS1_3repE0EEENS1_48merge_mergepath_partition_config_static_selectorELNS0_4arch9wavefront6targetE0EEEvSF_
    .private_segment_fixed_size: 0
    .sgpr_count:     0
    .sgpr_spill_count: 0
    .symbol:         _ZN7rocprim17ROCPRIM_400000_NS6detail17trampoline_kernelINS0_14default_configENS1_38merge_sort_block_merge_config_selectorItNS0_10empty_typeEEEZZNS1_27merge_sort_block_merge_implIS3_PtPS5_jNS1_19radix_merge_compareILb0ELb1EtNS0_19identity_decomposerEEEEE10hipError_tT0_T1_T2_jT3_P12ihipStream_tbPNSt15iterator_traitsISE_E10value_typeEPNSK_ISF_E10value_typeEPSG_NS1_7vsmem_tEENKUlT_SE_SF_SG_E_clIS8_S8_S9_S9_EESD_ST_SE_SF_SG_EUlST_E_NS1_11comp_targetILNS1_3genE4ELNS1_11target_archE910ELNS1_3gpuE8ELNS1_3repE0EEENS1_48merge_mergepath_partition_config_static_selectorELNS0_4arch9wavefront6targetE0EEEvSF_.kd
    .uniform_work_group_size: 1
    .uses_dynamic_stack: false
    .vgpr_count:     0
    .vgpr_spill_count: 0
    .wavefront_size: 32
  - .args:
      - .offset:         0
        .size:           40
        .value_kind:     by_value
    .group_segment_fixed_size: 0
    .kernarg_segment_align: 8
    .kernarg_segment_size: 40
    .language:       OpenCL C
    .language_version:
      - 2
      - 0
    .max_flat_workgroup_size: 128
    .name:           _ZN7rocprim17ROCPRIM_400000_NS6detail17trampoline_kernelINS0_14default_configENS1_38merge_sort_block_merge_config_selectorItNS0_10empty_typeEEEZZNS1_27merge_sort_block_merge_implIS3_PtPS5_jNS1_19radix_merge_compareILb0ELb1EtNS0_19identity_decomposerEEEEE10hipError_tT0_T1_T2_jT3_P12ihipStream_tbPNSt15iterator_traitsISE_E10value_typeEPNSK_ISF_E10value_typeEPSG_NS1_7vsmem_tEENKUlT_SE_SF_SG_E_clIS8_S8_S9_S9_EESD_ST_SE_SF_SG_EUlST_E_NS1_11comp_targetILNS1_3genE3ELNS1_11target_archE908ELNS1_3gpuE7ELNS1_3repE0EEENS1_48merge_mergepath_partition_config_static_selectorELNS0_4arch9wavefront6targetE0EEEvSF_
    .private_segment_fixed_size: 0
    .sgpr_count:     0
    .sgpr_spill_count: 0
    .symbol:         _ZN7rocprim17ROCPRIM_400000_NS6detail17trampoline_kernelINS0_14default_configENS1_38merge_sort_block_merge_config_selectorItNS0_10empty_typeEEEZZNS1_27merge_sort_block_merge_implIS3_PtPS5_jNS1_19radix_merge_compareILb0ELb1EtNS0_19identity_decomposerEEEEE10hipError_tT0_T1_T2_jT3_P12ihipStream_tbPNSt15iterator_traitsISE_E10value_typeEPNSK_ISF_E10value_typeEPSG_NS1_7vsmem_tEENKUlT_SE_SF_SG_E_clIS8_S8_S9_S9_EESD_ST_SE_SF_SG_EUlST_E_NS1_11comp_targetILNS1_3genE3ELNS1_11target_archE908ELNS1_3gpuE7ELNS1_3repE0EEENS1_48merge_mergepath_partition_config_static_selectorELNS0_4arch9wavefront6targetE0EEEvSF_.kd
    .uniform_work_group_size: 1
    .uses_dynamic_stack: false
    .vgpr_count:     0
    .vgpr_spill_count: 0
    .wavefront_size: 32
  - .args:
      - .offset:         0
        .size:           40
        .value_kind:     by_value
    .group_segment_fixed_size: 0
    .kernarg_segment_align: 8
    .kernarg_segment_size: 40
    .language:       OpenCL C
    .language_version:
      - 2
      - 0
    .max_flat_workgroup_size: 128
    .name:           _ZN7rocprim17ROCPRIM_400000_NS6detail17trampoline_kernelINS0_14default_configENS1_38merge_sort_block_merge_config_selectorItNS0_10empty_typeEEEZZNS1_27merge_sort_block_merge_implIS3_PtPS5_jNS1_19radix_merge_compareILb0ELb1EtNS0_19identity_decomposerEEEEE10hipError_tT0_T1_T2_jT3_P12ihipStream_tbPNSt15iterator_traitsISE_E10value_typeEPNSK_ISF_E10value_typeEPSG_NS1_7vsmem_tEENKUlT_SE_SF_SG_E_clIS8_S8_S9_S9_EESD_ST_SE_SF_SG_EUlST_E_NS1_11comp_targetILNS1_3genE2ELNS1_11target_archE906ELNS1_3gpuE6ELNS1_3repE0EEENS1_48merge_mergepath_partition_config_static_selectorELNS0_4arch9wavefront6targetE0EEEvSF_
    .private_segment_fixed_size: 0
    .sgpr_count:     0
    .sgpr_spill_count: 0
    .symbol:         _ZN7rocprim17ROCPRIM_400000_NS6detail17trampoline_kernelINS0_14default_configENS1_38merge_sort_block_merge_config_selectorItNS0_10empty_typeEEEZZNS1_27merge_sort_block_merge_implIS3_PtPS5_jNS1_19radix_merge_compareILb0ELb1EtNS0_19identity_decomposerEEEEE10hipError_tT0_T1_T2_jT3_P12ihipStream_tbPNSt15iterator_traitsISE_E10value_typeEPNSK_ISF_E10value_typeEPSG_NS1_7vsmem_tEENKUlT_SE_SF_SG_E_clIS8_S8_S9_S9_EESD_ST_SE_SF_SG_EUlST_E_NS1_11comp_targetILNS1_3genE2ELNS1_11target_archE906ELNS1_3gpuE6ELNS1_3repE0EEENS1_48merge_mergepath_partition_config_static_selectorELNS0_4arch9wavefront6targetE0EEEvSF_.kd
    .uniform_work_group_size: 1
    .uses_dynamic_stack: false
    .vgpr_count:     0
    .vgpr_spill_count: 0
    .wavefront_size: 32
  - .args:
      - .offset:         0
        .size:           40
        .value_kind:     by_value
    .group_segment_fixed_size: 0
    .kernarg_segment_align: 8
    .kernarg_segment_size: 40
    .language:       OpenCL C
    .language_version:
      - 2
      - 0
    .max_flat_workgroup_size: 128
    .name:           _ZN7rocprim17ROCPRIM_400000_NS6detail17trampoline_kernelINS0_14default_configENS1_38merge_sort_block_merge_config_selectorItNS0_10empty_typeEEEZZNS1_27merge_sort_block_merge_implIS3_PtPS5_jNS1_19radix_merge_compareILb0ELb1EtNS0_19identity_decomposerEEEEE10hipError_tT0_T1_T2_jT3_P12ihipStream_tbPNSt15iterator_traitsISE_E10value_typeEPNSK_ISF_E10value_typeEPSG_NS1_7vsmem_tEENKUlT_SE_SF_SG_E_clIS8_S8_S9_S9_EESD_ST_SE_SF_SG_EUlST_E_NS1_11comp_targetILNS1_3genE9ELNS1_11target_archE1100ELNS1_3gpuE3ELNS1_3repE0EEENS1_48merge_mergepath_partition_config_static_selectorELNS0_4arch9wavefront6targetE0EEEvSF_
    .private_segment_fixed_size: 0
    .sgpr_count:     0
    .sgpr_spill_count: 0
    .symbol:         _ZN7rocprim17ROCPRIM_400000_NS6detail17trampoline_kernelINS0_14default_configENS1_38merge_sort_block_merge_config_selectorItNS0_10empty_typeEEEZZNS1_27merge_sort_block_merge_implIS3_PtPS5_jNS1_19radix_merge_compareILb0ELb1EtNS0_19identity_decomposerEEEEE10hipError_tT0_T1_T2_jT3_P12ihipStream_tbPNSt15iterator_traitsISE_E10value_typeEPNSK_ISF_E10value_typeEPSG_NS1_7vsmem_tEENKUlT_SE_SF_SG_E_clIS8_S8_S9_S9_EESD_ST_SE_SF_SG_EUlST_E_NS1_11comp_targetILNS1_3genE9ELNS1_11target_archE1100ELNS1_3gpuE3ELNS1_3repE0EEENS1_48merge_mergepath_partition_config_static_selectorELNS0_4arch9wavefront6targetE0EEEvSF_.kd
    .uniform_work_group_size: 1
    .uses_dynamic_stack: false
    .vgpr_count:     0
    .vgpr_spill_count: 0
    .wavefront_size: 32
  - .args:
      - .offset:         0
        .size:           40
        .value_kind:     by_value
    .group_segment_fixed_size: 0
    .kernarg_segment_align: 8
    .kernarg_segment_size: 40
    .language:       OpenCL C
    .language_version:
      - 2
      - 0
    .max_flat_workgroup_size: 128
    .name:           _ZN7rocprim17ROCPRIM_400000_NS6detail17trampoline_kernelINS0_14default_configENS1_38merge_sort_block_merge_config_selectorItNS0_10empty_typeEEEZZNS1_27merge_sort_block_merge_implIS3_PtPS5_jNS1_19radix_merge_compareILb0ELb1EtNS0_19identity_decomposerEEEEE10hipError_tT0_T1_T2_jT3_P12ihipStream_tbPNSt15iterator_traitsISE_E10value_typeEPNSK_ISF_E10value_typeEPSG_NS1_7vsmem_tEENKUlT_SE_SF_SG_E_clIS8_S8_S9_S9_EESD_ST_SE_SF_SG_EUlST_E_NS1_11comp_targetILNS1_3genE8ELNS1_11target_archE1030ELNS1_3gpuE2ELNS1_3repE0EEENS1_48merge_mergepath_partition_config_static_selectorELNS0_4arch9wavefront6targetE0EEEvSF_
    .private_segment_fixed_size: 0
    .sgpr_count:     0
    .sgpr_spill_count: 0
    .symbol:         _ZN7rocprim17ROCPRIM_400000_NS6detail17trampoline_kernelINS0_14default_configENS1_38merge_sort_block_merge_config_selectorItNS0_10empty_typeEEEZZNS1_27merge_sort_block_merge_implIS3_PtPS5_jNS1_19radix_merge_compareILb0ELb1EtNS0_19identity_decomposerEEEEE10hipError_tT0_T1_T2_jT3_P12ihipStream_tbPNSt15iterator_traitsISE_E10value_typeEPNSK_ISF_E10value_typeEPSG_NS1_7vsmem_tEENKUlT_SE_SF_SG_E_clIS8_S8_S9_S9_EESD_ST_SE_SF_SG_EUlST_E_NS1_11comp_targetILNS1_3genE8ELNS1_11target_archE1030ELNS1_3gpuE2ELNS1_3repE0EEENS1_48merge_mergepath_partition_config_static_selectorELNS0_4arch9wavefront6targetE0EEEvSF_.kd
    .uniform_work_group_size: 1
    .uses_dynamic_stack: false
    .vgpr_count:     0
    .vgpr_spill_count: 0
    .wavefront_size: 32
  - .args:
      - .offset:         0
        .size:           64
        .value_kind:     by_value
      - .offset:         64
        .size:           4
        .value_kind:     hidden_block_count_x
      - .offset:         68
        .size:           4
        .value_kind:     hidden_block_count_y
      - .offset:         72
        .size:           4
        .value_kind:     hidden_block_count_z
      - .offset:         76
        .size:           2
        .value_kind:     hidden_group_size_x
      - .offset:         78
        .size:           2
        .value_kind:     hidden_group_size_y
      - .offset:         80
        .size:           2
        .value_kind:     hidden_group_size_z
      - .offset:         82
        .size:           2
        .value_kind:     hidden_remainder_x
      - .offset:         84
        .size:           2
        .value_kind:     hidden_remainder_y
      - .offset:         86
        .size:           2
        .value_kind:     hidden_remainder_z
      - .offset:         104
        .size:           8
        .value_kind:     hidden_global_offset_x
      - .offset:         112
        .size:           8
        .value_kind:     hidden_global_offset_y
      - .offset:         120
        .size:           8
        .value_kind:     hidden_global_offset_z
      - .offset:         128
        .size:           2
        .value_kind:     hidden_grid_dims
    .group_segment_fixed_size: 2112
    .kernarg_segment_align: 8
    .kernarg_segment_size: 320
    .language:       OpenCL C
    .language_version:
      - 2
      - 0
    .max_flat_workgroup_size: 128
    .name:           _ZN7rocprim17ROCPRIM_400000_NS6detail17trampoline_kernelINS0_14default_configENS1_38merge_sort_block_merge_config_selectorItNS0_10empty_typeEEEZZNS1_27merge_sort_block_merge_implIS3_PtPS5_jNS1_19radix_merge_compareILb0ELb1EtNS0_19identity_decomposerEEEEE10hipError_tT0_T1_T2_jT3_P12ihipStream_tbPNSt15iterator_traitsISE_E10value_typeEPNSK_ISF_E10value_typeEPSG_NS1_7vsmem_tEENKUlT_SE_SF_SG_E_clIS8_S8_S9_S9_EESD_ST_SE_SF_SG_EUlST_E0_NS1_11comp_targetILNS1_3genE0ELNS1_11target_archE4294967295ELNS1_3gpuE0ELNS1_3repE0EEENS1_38merge_mergepath_config_static_selectorELNS0_4arch9wavefront6targetE0EEEvSF_
    .private_segment_fixed_size: 0
    .sgpr_count:     25
    .sgpr_spill_count: 0
    .symbol:         _ZN7rocprim17ROCPRIM_400000_NS6detail17trampoline_kernelINS0_14default_configENS1_38merge_sort_block_merge_config_selectorItNS0_10empty_typeEEEZZNS1_27merge_sort_block_merge_implIS3_PtPS5_jNS1_19radix_merge_compareILb0ELb1EtNS0_19identity_decomposerEEEEE10hipError_tT0_T1_T2_jT3_P12ihipStream_tbPNSt15iterator_traitsISE_E10value_typeEPNSK_ISF_E10value_typeEPSG_NS1_7vsmem_tEENKUlT_SE_SF_SG_E_clIS8_S8_S9_S9_EESD_ST_SE_SF_SG_EUlST_E0_NS1_11comp_targetILNS1_3genE0ELNS1_11target_archE4294967295ELNS1_3gpuE0ELNS1_3repE0EEENS1_38merge_mergepath_config_static_selectorELNS0_4arch9wavefront6targetE0EEEvSF_.kd
    .uniform_work_group_size: 1
    .uses_dynamic_stack: false
    .vgpr_count:     27
    .vgpr_spill_count: 0
    .wavefront_size: 32
  - .args:
      - .offset:         0
        .size:           64
        .value_kind:     by_value
    .group_segment_fixed_size: 0
    .kernarg_segment_align: 8
    .kernarg_segment_size: 64
    .language:       OpenCL C
    .language_version:
      - 2
      - 0
    .max_flat_workgroup_size: 128
    .name:           _ZN7rocprim17ROCPRIM_400000_NS6detail17trampoline_kernelINS0_14default_configENS1_38merge_sort_block_merge_config_selectorItNS0_10empty_typeEEEZZNS1_27merge_sort_block_merge_implIS3_PtPS5_jNS1_19radix_merge_compareILb0ELb1EtNS0_19identity_decomposerEEEEE10hipError_tT0_T1_T2_jT3_P12ihipStream_tbPNSt15iterator_traitsISE_E10value_typeEPNSK_ISF_E10value_typeEPSG_NS1_7vsmem_tEENKUlT_SE_SF_SG_E_clIS8_S8_S9_S9_EESD_ST_SE_SF_SG_EUlST_E0_NS1_11comp_targetILNS1_3genE10ELNS1_11target_archE1201ELNS1_3gpuE5ELNS1_3repE0EEENS1_38merge_mergepath_config_static_selectorELNS0_4arch9wavefront6targetE0EEEvSF_
    .private_segment_fixed_size: 0
    .sgpr_count:     0
    .sgpr_spill_count: 0
    .symbol:         _ZN7rocprim17ROCPRIM_400000_NS6detail17trampoline_kernelINS0_14default_configENS1_38merge_sort_block_merge_config_selectorItNS0_10empty_typeEEEZZNS1_27merge_sort_block_merge_implIS3_PtPS5_jNS1_19radix_merge_compareILb0ELb1EtNS0_19identity_decomposerEEEEE10hipError_tT0_T1_T2_jT3_P12ihipStream_tbPNSt15iterator_traitsISE_E10value_typeEPNSK_ISF_E10value_typeEPSG_NS1_7vsmem_tEENKUlT_SE_SF_SG_E_clIS8_S8_S9_S9_EESD_ST_SE_SF_SG_EUlST_E0_NS1_11comp_targetILNS1_3genE10ELNS1_11target_archE1201ELNS1_3gpuE5ELNS1_3repE0EEENS1_38merge_mergepath_config_static_selectorELNS0_4arch9wavefront6targetE0EEEvSF_.kd
    .uniform_work_group_size: 1
    .uses_dynamic_stack: false
    .vgpr_count:     0
    .vgpr_spill_count: 0
    .wavefront_size: 32
  - .args:
      - .offset:         0
        .size:           64
        .value_kind:     by_value
    .group_segment_fixed_size: 0
    .kernarg_segment_align: 8
    .kernarg_segment_size: 64
    .language:       OpenCL C
    .language_version:
      - 2
      - 0
    .max_flat_workgroup_size: 128
    .name:           _ZN7rocprim17ROCPRIM_400000_NS6detail17trampoline_kernelINS0_14default_configENS1_38merge_sort_block_merge_config_selectorItNS0_10empty_typeEEEZZNS1_27merge_sort_block_merge_implIS3_PtPS5_jNS1_19radix_merge_compareILb0ELb1EtNS0_19identity_decomposerEEEEE10hipError_tT0_T1_T2_jT3_P12ihipStream_tbPNSt15iterator_traitsISE_E10value_typeEPNSK_ISF_E10value_typeEPSG_NS1_7vsmem_tEENKUlT_SE_SF_SG_E_clIS8_S8_S9_S9_EESD_ST_SE_SF_SG_EUlST_E0_NS1_11comp_targetILNS1_3genE5ELNS1_11target_archE942ELNS1_3gpuE9ELNS1_3repE0EEENS1_38merge_mergepath_config_static_selectorELNS0_4arch9wavefront6targetE0EEEvSF_
    .private_segment_fixed_size: 0
    .sgpr_count:     0
    .sgpr_spill_count: 0
    .symbol:         _ZN7rocprim17ROCPRIM_400000_NS6detail17trampoline_kernelINS0_14default_configENS1_38merge_sort_block_merge_config_selectorItNS0_10empty_typeEEEZZNS1_27merge_sort_block_merge_implIS3_PtPS5_jNS1_19radix_merge_compareILb0ELb1EtNS0_19identity_decomposerEEEEE10hipError_tT0_T1_T2_jT3_P12ihipStream_tbPNSt15iterator_traitsISE_E10value_typeEPNSK_ISF_E10value_typeEPSG_NS1_7vsmem_tEENKUlT_SE_SF_SG_E_clIS8_S8_S9_S9_EESD_ST_SE_SF_SG_EUlST_E0_NS1_11comp_targetILNS1_3genE5ELNS1_11target_archE942ELNS1_3gpuE9ELNS1_3repE0EEENS1_38merge_mergepath_config_static_selectorELNS0_4arch9wavefront6targetE0EEEvSF_.kd
    .uniform_work_group_size: 1
    .uses_dynamic_stack: false
    .vgpr_count:     0
    .vgpr_spill_count: 0
    .wavefront_size: 32
  - .args:
      - .offset:         0
        .size:           64
        .value_kind:     by_value
    .group_segment_fixed_size: 0
    .kernarg_segment_align: 8
    .kernarg_segment_size: 64
    .language:       OpenCL C
    .language_version:
      - 2
      - 0
    .max_flat_workgroup_size: 128
    .name:           _ZN7rocprim17ROCPRIM_400000_NS6detail17trampoline_kernelINS0_14default_configENS1_38merge_sort_block_merge_config_selectorItNS0_10empty_typeEEEZZNS1_27merge_sort_block_merge_implIS3_PtPS5_jNS1_19radix_merge_compareILb0ELb1EtNS0_19identity_decomposerEEEEE10hipError_tT0_T1_T2_jT3_P12ihipStream_tbPNSt15iterator_traitsISE_E10value_typeEPNSK_ISF_E10value_typeEPSG_NS1_7vsmem_tEENKUlT_SE_SF_SG_E_clIS8_S8_S9_S9_EESD_ST_SE_SF_SG_EUlST_E0_NS1_11comp_targetILNS1_3genE4ELNS1_11target_archE910ELNS1_3gpuE8ELNS1_3repE0EEENS1_38merge_mergepath_config_static_selectorELNS0_4arch9wavefront6targetE0EEEvSF_
    .private_segment_fixed_size: 0
    .sgpr_count:     0
    .sgpr_spill_count: 0
    .symbol:         _ZN7rocprim17ROCPRIM_400000_NS6detail17trampoline_kernelINS0_14default_configENS1_38merge_sort_block_merge_config_selectorItNS0_10empty_typeEEEZZNS1_27merge_sort_block_merge_implIS3_PtPS5_jNS1_19radix_merge_compareILb0ELb1EtNS0_19identity_decomposerEEEEE10hipError_tT0_T1_T2_jT3_P12ihipStream_tbPNSt15iterator_traitsISE_E10value_typeEPNSK_ISF_E10value_typeEPSG_NS1_7vsmem_tEENKUlT_SE_SF_SG_E_clIS8_S8_S9_S9_EESD_ST_SE_SF_SG_EUlST_E0_NS1_11comp_targetILNS1_3genE4ELNS1_11target_archE910ELNS1_3gpuE8ELNS1_3repE0EEENS1_38merge_mergepath_config_static_selectorELNS0_4arch9wavefront6targetE0EEEvSF_.kd
    .uniform_work_group_size: 1
    .uses_dynamic_stack: false
    .vgpr_count:     0
    .vgpr_spill_count: 0
    .wavefront_size: 32
  - .args:
      - .offset:         0
        .size:           64
        .value_kind:     by_value
    .group_segment_fixed_size: 0
    .kernarg_segment_align: 8
    .kernarg_segment_size: 64
    .language:       OpenCL C
    .language_version:
      - 2
      - 0
    .max_flat_workgroup_size: 128
    .name:           _ZN7rocprim17ROCPRIM_400000_NS6detail17trampoline_kernelINS0_14default_configENS1_38merge_sort_block_merge_config_selectorItNS0_10empty_typeEEEZZNS1_27merge_sort_block_merge_implIS3_PtPS5_jNS1_19radix_merge_compareILb0ELb1EtNS0_19identity_decomposerEEEEE10hipError_tT0_T1_T2_jT3_P12ihipStream_tbPNSt15iterator_traitsISE_E10value_typeEPNSK_ISF_E10value_typeEPSG_NS1_7vsmem_tEENKUlT_SE_SF_SG_E_clIS8_S8_S9_S9_EESD_ST_SE_SF_SG_EUlST_E0_NS1_11comp_targetILNS1_3genE3ELNS1_11target_archE908ELNS1_3gpuE7ELNS1_3repE0EEENS1_38merge_mergepath_config_static_selectorELNS0_4arch9wavefront6targetE0EEEvSF_
    .private_segment_fixed_size: 0
    .sgpr_count:     0
    .sgpr_spill_count: 0
    .symbol:         _ZN7rocprim17ROCPRIM_400000_NS6detail17trampoline_kernelINS0_14default_configENS1_38merge_sort_block_merge_config_selectorItNS0_10empty_typeEEEZZNS1_27merge_sort_block_merge_implIS3_PtPS5_jNS1_19radix_merge_compareILb0ELb1EtNS0_19identity_decomposerEEEEE10hipError_tT0_T1_T2_jT3_P12ihipStream_tbPNSt15iterator_traitsISE_E10value_typeEPNSK_ISF_E10value_typeEPSG_NS1_7vsmem_tEENKUlT_SE_SF_SG_E_clIS8_S8_S9_S9_EESD_ST_SE_SF_SG_EUlST_E0_NS1_11comp_targetILNS1_3genE3ELNS1_11target_archE908ELNS1_3gpuE7ELNS1_3repE0EEENS1_38merge_mergepath_config_static_selectorELNS0_4arch9wavefront6targetE0EEEvSF_.kd
    .uniform_work_group_size: 1
    .uses_dynamic_stack: false
    .vgpr_count:     0
    .vgpr_spill_count: 0
    .wavefront_size: 32
  - .args:
      - .offset:         0
        .size:           64
        .value_kind:     by_value
    .group_segment_fixed_size: 0
    .kernarg_segment_align: 8
    .kernarg_segment_size: 64
    .language:       OpenCL C
    .language_version:
      - 2
      - 0
    .max_flat_workgroup_size: 128
    .name:           _ZN7rocprim17ROCPRIM_400000_NS6detail17trampoline_kernelINS0_14default_configENS1_38merge_sort_block_merge_config_selectorItNS0_10empty_typeEEEZZNS1_27merge_sort_block_merge_implIS3_PtPS5_jNS1_19radix_merge_compareILb0ELb1EtNS0_19identity_decomposerEEEEE10hipError_tT0_T1_T2_jT3_P12ihipStream_tbPNSt15iterator_traitsISE_E10value_typeEPNSK_ISF_E10value_typeEPSG_NS1_7vsmem_tEENKUlT_SE_SF_SG_E_clIS8_S8_S9_S9_EESD_ST_SE_SF_SG_EUlST_E0_NS1_11comp_targetILNS1_3genE2ELNS1_11target_archE906ELNS1_3gpuE6ELNS1_3repE0EEENS1_38merge_mergepath_config_static_selectorELNS0_4arch9wavefront6targetE0EEEvSF_
    .private_segment_fixed_size: 0
    .sgpr_count:     0
    .sgpr_spill_count: 0
    .symbol:         _ZN7rocprim17ROCPRIM_400000_NS6detail17trampoline_kernelINS0_14default_configENS1_38merge_sort_block_merge_config_selectorItNS0_10empty_typeEEEZZNS1_27merge_sort_block_merge_implIS3_PtPS5_jNS1_19radix_merge_compareILb0ELb1EtNS0_19identity_decomposerEEEEE10hipError_tT0_T1_T2_jT3_P12ihipStream_tbPNSt15iterator_traitsISE_E10value_typeEPNSK_ISF_E10value_typeEPSG_NS1_7vsmem_tEENKUlT_SE_SF_SG_E_clIS8_S8_S9_S9_EESD_ST_SE_SF_SG_EUlST_E0_NS1_11comp_targetILNS1_3genE2ELNS1_11target_archE906ELNS1_3gpuE6ELNS1_3repE0EEENS1_38merge_mergepath_config_static_selectorELNS0_4arch9wavefront6targetE0EEEvSF_.kd
    .uniform_work_group_size: 1
    .uses_dynamic_stack: false
    .vgpr_count:     0
    .vgpr_spill_count: 0
    .wavefront_size: 32
  - .args:
      - .offset:         0
        .size:           64
        .value_kind:     by_value
    .group_segment_fixed_size: 0
    .kernarg_segment_align: 8
    .kernarg_segment_size: 64
    .language:       OpenCL C
    .language_version:
      - 2
      - 0
    .max_flat_workgroup_size: 128
    .name:           _ZN7rocprim17ROCPRIM_400000_NS6detail17trampoline_kernelINS0_14default_configENS1_38merge_sort_block_merge_config_selectorItNS0_10empty_typeEEEZZNS1_27merge_sort_block_merge_implIS3_PtPS5_jNS1_19radix_merge_compareILb0ELb1EtNS0_19identity_decomposerEEEEE10hipError_tT0_T1_T2_jT3_P12ihipStream_tbPNSt15iterator_traitsISE_E10value_typeEPNSK_ISF_E10value_typeEPSG_NS1_7vsmem_tEENKUlT_SE_SF_SG_E_clIS8_S8_S9_S9_EESD_ST_SE_SF_SG_EUlST_E0_NS1_11comp_targetILNS1_3genE9ELNS1_11target_archE1100ELNS1_3gpuE3ELNS1_3repE0EEENS1_38merge_mergepath_config_static_selectorELNS0_4arch9wavefront6targetE0EEEvSF_
    .private_segment_fixed_size: 0
    .sgpr_count:     0
    .sgpr_spill_count: 0
    .symbol:         _ZN7rocprim17ROCPRIM_400000_NS6detail17trampoline_kernelINS0_14default_configENS1_38merge_sort_block_merge_config_selectorItNS0_10empty_typeEEEZZNS1_27merge_sort_block_merge_implIS3_PtPS5_jNS1_19radix_merge_compareILb0ELb1EtNS0_19identity_decomposerEEEEE10hipError_tT0_T1_T2_jT3_P12ihipStream_tbPNSt15iterator_traitsISE_E10value_typeEPNSK_ISF_E10value_typeEPSG_NS1_7vsmem_tEENKUlT_SE_SF_SG_E_clIS8_S8_S9_S9_EESD_ST_SE_SF_SG_EUlST_E0_NS1_11comp_targetILNS1_3genE9ELNS1_11target_archE1100ELNS1_3gpuE3ELNS1_3repE0EEENS1_38merge_mergepath_config_static_selectorELNS0_4arch9wavefront6targetE0EEEvSF_.kd
    .uniform_work_group_size: 1
    .uses_dynamic_stack: false
    .vgpr_count:     0
    .vgpr_spill_count: 0
    .wavefront_size: 32
  - .args:
      - .offset:         0
        .size:           64
        .value_kind:     by_value
    .group_segment_fixed_size: 0
    .kernarg_segment_align: 8
    .kernarg_segment_size: 64
    .language:       OpenCL C
    .language_version:
      - 2
      - 0
    .max_flat_workgroup_size: 128
    .name:           _ZN7rocprim17ROCPRIM_400000_NS6detail17trampoline_kernelINS0_14default_configENS1_38merge_sort_block_merge_config_selectorItNS0_10empty_typeEEEZZNS1_27merge_sort_block_merge_implIS3_PtPS5_jNS1_19radix_merge_compareILb0ELb1EtNS0_19identity_decomposerEEEEE10hipError_tT0_T1_T2_jT3_P12ihipStream_tbPNSt15iterator_traitsISE_E10value_typeEPNSK_ISF_E10value_typeEPSG_NS1_7vsmem_tEENKUlT_SE_SF_SG_E_clIS8_S8_S9_S9_EESD_ST_SE_SF_SG_EUlST_E0_NS1_11comp_targetILNS1_3genE8ELNS1_11target_archE1030ELNS1_3gpuE2ELNS1_3repE0EEENS1_38merge_mergepath_config_static_selectorELNS0_4arch9wavefront6targetE0EEEvSF_
    .private_segment_fixed_size: 0
    .sgpr_count:     0
    .sgpr_spill_count: 0
    .symbol:         _ZN7rocprim17ROCPRIM_400000_NS6detail17trampoline_kernelINS0_14default_configENS1_38merge_sort_block_merge_config_selectorItNS0_10empty_typeEEEZZNS1_27merge_sort_block_merge_implIS3_PtPS5_jNS1_19radix_merge_compareILb0ELb1EtNS0_19identity_decomposerEEEEE10hipError_tT0_T1_T2_jT3_P12ihipStream_tbPNSt15iterator_traitsISE_E10value_typeEPNSK_ISF_E10value_typeEPSG_NS1_7vsmem_tEENKUlT_SE_SF_SG_E_clIS8_S8_S9_S9_EESD_ST_SE_SF_SG_EUlST_E0_NS1_11comp_targetILNS1_3genE8ELNS1_11target_archE1030ELNS1_3gpuE2ELNS1_3repE0EEENS1_38merge_mergepath_config_static_selectorELNS0_4arch9wavefront6targetE0EEEvSF_.kd
    .uniform_work_group_size: 1
    .uses_dynamic_stack: false
    .vgpr_count:     0
    .vgpr_spill_count: 0
    .wavefront_size: 32
  - .args:
      - .offset:         0
        .size:           48
        .value_kind:     by_value
    .group_segment_fixed_size: 0
    .kernarg_segment_align: 8
    .kernarg_segment_size: 48
    .language:       OpenCL C
    .language_version:
      - 2
      - 0
    .max_flat_workgroup_size: 256
    .name:           _ZN7rocprim17ROCPRIM_400000_NS6detail17trampoline_kernelINS0_14default_configENS1_38merge_sort_block_merge_config_selectorItNS0_10empty_typeEEEZZNS1_27merge_sort_block_merge_implIS3_PtPS5_jNS1_19radix_merge_compareILb0ELb1EtNS0_19identity_decomposerEEEEE10hipError_tT0_T1_T2_jT3_P12ihipStream_tbPNSt15iterator_traitsISE_E10value_typeEPNSK_ISF_E10value_typeEPSG_NS1_7vsmem_tEENKUlT_SE_SF_SG_E_clIS8_S8_S9_S9_EESD_ST_SE_SF_SG_EUlST_E1_NS1_11comp_targetILNS1_3genE0ELNS1_11target_archE4294967295ELNS1_3gpuE0ELNS1_3repE0EEENS1_36merge_oddeven_config_static_selectorELNS0_4arch9wavefront6targetE0EEEvSF_
    .private_segment_fixed_size: 0
    .sgpr_count:     20
    .sgpr_spill_count: 0
    .symbol:         _ZN7rocprim17ROCPRIM_400000_NS6detail17trampoline_kernelINS0_14default_configENS1_38merge_sort_block_merge_config_selectorItNS0_10empty_typeEEEZZNS1_27merge_sort_block_merge_implIS3_PtPS5_jNS1_19radix_merge_compareILb0ELb1EtNS0_19identity_decomposerEEEEE10hipError_tT0_T1_T2_jT3_P12ihipStream_tbPNSt15iterator_traitsISE_E10value_typeEPNSK_ISF_E10value_typeEPSG_NS1_7vsmem_tEENKUlT_SE_SF_SG_E_clIS8_S8_S9_S9_EESD_ST_SE_SF_SG_EUlST_E1_NS1_11comp_targetILNS1_3genE0ELNS1_11target_archE4294967295ELNS1_3gpuE0ELNS1_3repE0EEENS1_36merge_oddeven_config_static_selectorELNS0_4arch9wavefront6targetE0EEEvSF_.kd
    .uniform_work_group_size: 1
    .uses_dynamic_stack: false
    .vgpr_count:     8
    .vgpr_spill_count: 0
    .wavefront_size: 32
  - .args:
      - .offset:         0
        .size:           48
        .value_kind:     by_value
    .group_segment_fixed_size: 0
    .kernarg_segment_align: 8
    .kernarg_segment_size: 48
    .language:       OpenCL C
    .language_version:
      - 2
      - 0
    .max_flat_workgroup_size: 256
    .name:           _ZN7rocprim17ROCPRIM_400000_NS6detail17trampoline_kernelINS0_14default_configENS1_38merge_sort_block_merge_config_selectorItNS0_10empty_typeEEEZZNS1_27merge_sort_block_merge_implIS3_PtPS5_jNS1_19radix_merge_compareILb0ELb1EtNS0_19identity_decomposerEEEEE10hipError_tT0_T1_T2_jT3_P12ihipStream_tbPNSt15iterator_traitsISE_E10value_typeEPNSK_ISF_E10value_typeEPSG_NS1_7vsmem_tEENKUlT_SE_SF_SG_E_clIS8_S8_S9_S9_EESD_ST_SE_SF_SG_EUlST_E1_NS1_11comp_targetILNS1_3genE10ELNS1_11target_archE1201ELNS1_3gpuE5ELNS1_3repE0EEENS1_36merge_oddeven_config_static_selectorELNS0_4arch9wavefront6targetE0EEEvSF_
    .private_segment_fixed_size: 0
    .sgpr_count:     0
    .sgpr_spill_count: 0
    .symbol:         _ZN7rocprim17ROCPRIM_400000_NS6detail17trampoline_kernelINS0_14default_configENS1_38merge_sort_block_merge_config_selectorItNS0_10empty_typeEEEZZNS1_27merge_sort_block_merge_implIS3_PtPS5_jNS1_19radix_merge_compareILb0ELb1EtNS0_19identity_decomposerEEEEE10hipError_tT0_T1_T2_jT3_P12ihipStream_tbPNSt15iterator_traitsISE_E10value_typeEPNSK_ISF_E10value_typeEPSG_NS1_7vsmem_tEENKUlT_SE_SF_SG_E_clIS8_S8_S9_S9_EESD_ST_SE_SF_SG_EUlST_E1_NS1_11comp_targetILNS1_3genE10ELNS1_11target_archE1201ELNS1_3gpuE5ELNS1_3repE0EEENS1_36merge_oddeven_config_static_selectorELNS0_4arch9wavefront6targetE0EEEvSF_.kd
    .uniform_work_group_size: 1
    .uses_dynamic_stack: false
    .vgpr_count:     0
    .vgpr_spill_count: 0
    .wavefront_size: 32
  - .args:
      - .offset:         0
        .size:           48
        .value_kind:     by_value
    .group_segment_fixed_size: 0
    .kernarg_segment_align: 8
    .kernarg_segment_size: 48
    .language:       OpenCL C
    .language_version:
      - 2
      - 0
    .max_flat_workgroup_size: 256
    .name:           _ZN7rocprim17ROCPRIM_400000_NS6detail17trampoline_kernelINS0_14default_configENS1_38merge_sort_block_merge_config_selectorItNS0_10empty_typeEEEZZNS1_27merge_sort_block_merge_implIS3_PtPS5_jNS1_19radix_merge_compareILb0ELb1EtNS0_19identity_decomposerEEEEE10hipError_tT0_T1_T2_jT3_P12ihipStream_tbPNSt15iterator_traitsISE_E10value_typeEPNSK_ISF_E10value_typeEPSG_NS1_7vsmem_tEENKUlT_SE_SF_SG_E_clIS8_S8_S9_S9_EESD_ST_SE_SF_SG_EUlST_E1_NS1_11comp_targetILNS1_3genE5ELNS1_11target_archE942ELNS1_3gpuE9ELNS1_3repE0EEENS1_36merge_oddeven_config_static_selectorELNS0_4arch9wavefront6targetE0EEEvSF_
    .private_segment_fixed_size: 0
    .sgpr_count:     0
    .sgpr_spill_count: 0
    .symbol:         _ZN7rocprim17ROCPRIM_400000_NS6detail17trampoline_kernelINS0_14default_configENS1_38merge_sort_block_merge_config_selectorItNS0_10empty_typeEEEZZNS1_27merge_sort_block_merge_implIS3_PtPS5_jNS1_19radix_merge_compareILb0ELb1EtNS0_19identity_decomposerEEEEE10hipError_tT0_T1_T2_jT3_P12ihipStream_tbPNSt15iterator_traitsISE_E10value_typeEPNSK_ISF_E10value_typeEPSG_NS1_7vsmem_tEENKUlT_SE_SF_SG_E_clIS8_S8_S9_S9_EESD_ST_SE_SF_SG_EUlST_E1_NS1_11comp_targetILNS1_3genE5ELNS1_11target_archE942ELNS1_3gpuE9ELNS1_3repE0EEENS1_36merge_oddeven_config_static_selectorELNS0_4arch9wavefront6targetE0EEEvSF_.kd
    .uniform_work_group_size: 1
    .uses_dynamic_stack: false
    .vgpr_count:     0
    .vgpr_spill_count: 0
    .wavefront_size: 32
  - .args:
      - .offset:         0
        .size:           48
        .value_kind:     by_value
    .group_segment_fixed_size: 0
    .kernarg_segment_align: 8
    .kernarg_segment_size: 48
    .language:       OpenCL C
    .language_version:
      - 2
      - 0
    .max_flat_workgroup_size: 256
    .name:           _ZN7rocprim17ROCPRIM_400000_NS6detail17trampoline_kernelINS0_14default_configENS1_38merge_sort_block_merge_config_selectorItNS0_10empty_typeEEEZZNS1_27merge_sort_block_merge_implIS3_PtPS5_jNS1_19radix_merge_compareILb0ELb1EtNS0_19identity_decomposerEEEEE10hipError_tT0_T1_T2_jT3_P12ihipStream_tbPNSt15iterator_traitsISE_E10value_typeEPNSK_ISF_E10value_typeEPSG_NS1_7vsmem_tEENKUlT_SE_SF_SG_E_clIS8_S8_S9_S9_EESD_ST_SE_SF_SG_EUlST_E1_NS1_11comp_targetILNS1_3genE4ELNS1_11target_archE910ELNS1_3gpuE8ELNS1_3repE0EEENS1_36merge_oddeven_config_static_selectorELNS0_4arch9wavefront6targetE0EEEvSF_
    .private_segment_fixed_size: 0
    .sgpr_count:     0
    .sgpr_spill_count: 0
    .symbol:         _ZN7rocprim17ROCPRIM_400000_NS6detail17trampoline_kernelINS0_14default_configENS1_38merge_sort_block_merge_config_selectorItNS0_10empty_typeEEEZZNS1_27merge_sort_block_merge_implIS3_PtPS5_jNS1_19radix_merge_compareILb0ELb1EtNS0_19identity_decomposerEEEEE10hipError_tT0_T1_T2_jT3_P12ihipStream_tbPNSt15iterator_traitsISE_E10value_typeEPNSK_ISF_E10value_typeEPSG_NS1_7vsmem_tEENKUlT_SE_SF_SG_E_clIS8_S8_S9_S9_EESD_ST_SE_SF_SG_EUlST_E1_NS1_11comp_targetILNS1_3genE4ELNS1_11target_archE910ELNS1_3gpuE8ELNS1_3repE0EEENS1_36merge_oddeven_config_static_selectorELNS0_4arch9wavefront6targetE0EEEvSF_.kd
    .uniform_work_group_size: 1
    .uses_dynamic_stack: false
    .vgpr_count:     0
    .vgpr_spill_count: 0
    .wavefront_size: 32
  - .args:
      - .offset:         0
        .size:           48
        .value_kind:     by_value
    .group_segment_fixed_size: 0
    .kernarg_segment_align: 8
    .kernarg_segment_size: 48
    .language:       OpenCL C
    .language_version:
      - 2
      - 0
    .max_flat_workgroup_size: 256
    .name:           _ZN7rocprim17ROCPRIM_400000_NS6detail17trampoline_kernelINS0_14default_configENS1_38merge_sort_block_merge_config_selectorItNS0_10empty_typeEEEZZNS1_27merge_sort_block_merge_implIS3_PtPS5_jNS1_19radix_merge_compareILb0ELb1EtNS0_19identity_decomposerEEEEE10hipError_tT0_T1_T2_jT3_P12ihipStream_tbPNSt15iterator_traitsISE_E10value_typeEPNSK_ISF_E10value_typeEPSG_NS1_7vsmem_tEENKUlT_SE_SF_SG_E_clIS8_S8_S9_S9_EESD_ST_SE_SF_SG_EUlST_E1_NS1_11comp_targetILNS1_3genE3ELNS1_11target_archE908ELNS1_3gpuE7ELNS1_3repE0EEENS1_36merge_oddeven_config_static_selectorELNS0_4arch9wavefront6targetE0EEEvSF_
    .private_segment_fixed_size: 0
    .sgpr_count:     0
    .sgpr_spill_count: 0
    .symbol:         _ZN7rocprim17ROCPRIM_400000_NS6detail17trampoline_kernelINS0_14default_configENS1_38merge_sort_block_merge_config_selectorItNS0_10empty_typeEEEZZNS1_27merge_sort_block_merge_implIS3_PtPS5_jNS1_19radix_merge_compareILb0ELb1EtNS0_19identity_decomposerEEEEE10hipError_tT0_T1_T2_jT3_P12ihipStream_tbPNSt15iterator_traitsISE_E10value_typeEPNSK_ISF_E10value_typeEPSG_NS1_7vsmem_tEENKUlT_SE_SF_SG_E_clIS8_S8_S9_S9_EESD_ST_SE_SF_SG_EUlST_E1_NS1_11comp_targetILNS1_3genE3ELNS1_11target_archE908ELNS1_3gpuE7ELNS1_3repE0EEENS1_36merge_oddeven_config_static_selectorELNS0_4arch9wavefront6targetE0EEEvSF_.kd
    .uniform_work_group_size: 1
    .uses_dynamic_stack: false
    .vgpr_count:     0
    .vgpr_spill_count: 0
    .wavefront_size: 32
  - .args:
      - .offset:         0
        .size:           48
        .value_kind:     by_value
    .group_segment_fixed_size: 0
    .kernarg_segment_align: 8
    .kernarg_segment_size: 48
    .language:       OpenCL C
    .language_version:
      - 2
      - 0
    .max_flat_workgroup_size: 256
    .name:           _ZN7rocprim17ROCPRIM_400000_NS6detail17trampoline_kernelINS0_14default_configENS1_38merge_sort_block_merge_config_selectorItNS0_10empty_typeEEEZZNS1_27merge_sort_block_merge_implIS3_PtPS5_jNS1_19radix_merge_compareILb0ELb1EtNS0_19identity_decomposerEEEEE10hipError_tT0_T1_T2_jT3_P12ihipStream_tbPNSt15iterator_traitsISE_E10value_typeEPNSK_ISF_E10value_typeEPSG_NS1_7vsmem_tEENKUlT_SE_SF_SG_E_clIS8_S8_S9_S9_EESD_ST_SE_SF_SG_EUlST_E1_NS1_11comp_targetILNS1_3genE2ELNS1_11target_archE906ELNS1_3gpuE6ELNS1_3repE0EEENS1_36merge_oddeven_config_static_selectorELNS0_4arch9wavefront6targetE0EEEvSF_
    .private_segment_fixed_size: 0
    .sgpr_count:     0
    .sgpr_spill_count: 0
    .symbol:         _ZN7rocprim17ROCPRIM_400000_NS6detail17trampoline_kernelINS0_14default_configENS1_38merge_sort_block_merge_config_selectorItNS0_10empty_typeEEEZZNS1_27merge_sort_block_merge_implIS3_PtPS5_jNS1_19radix_merge_compareILb0ELb1EtNS0_19identity_decomposerEEEEE10hipError_tT0_T1_T2_jT3_P12ihipStream_tbPNSt15iterator_traitsISE_E10value_typeEPNSK_ISF_E10value_typeEPSG_NS1_7vsmem_tEENKUlT_SE_SF_SG_E_clIS8_S8_S9_S9_EESD_ST_SE_SF_SG_EUlST_E1_NS1_11comp_targetILNS1_3genE2ELNS1_11target_archE906ELNS1_3gpuE6ELNS1_3repE0EEENS1_36merge_oddeven_config_static_selectorELNS0_4arch9wavefront6targetE0EEEvSF_.kd
    .uniform_work_group_size: 1
    .uses_dynamic_stack: false
    .vgpr_count:     0
    .vgpr_spill_count: 0
    .wavefront_size: 32
  - .args:
      - .offset:         0
        .size:           48
        .value_kind:     by_value
    .group_segment_fixed_size: 0
    .kernarg_segment_align: 8
    .kernarg_segment_size: 48
    .language:       OpenCL C
    .language_version:
      - 2
      - 0
    .max_flat_workgroup_size: 256
    .name:           _ZN7rocprim17ROCPRIM_400000_NS6detail17trampoline_kernelINS0_14default_configENS1_38merge_sort_block_merge_config_selectorItNS0_10empty_typeEEEZZNS1_27merge_sort_block_merge_implIS3_PtPS5_jNS1_19radix_merge_compareILb0ELb1EtNS0_19identity_decomposerEEEEE10hipError_tT0_T1_T2_jT3_P12ihipStream_tbPNSt15iterator_traitsISE_E10value_typeEPNSK_ISF_E10value_typeEPSG_NS1_7vsmem_tEENKUlT_SE_SF_SG_E_clIS8_S8_S9_S9_EESD_ST_SE_SF_SG_EUlST_E1_NS1_11comp_targetILNS1_3genE9ELNS1_11target_archE1100ELNS1_3gpuE3ELNS1_3repE0EEENS1_36merge_oddeven_config_static_selectorELNS0_4arch9wavefront6targetE0EEEvSF_
    .private_segment_fixed_size: 0
    .sgpr_count:     0
    .sgpr_spill_count: 0
    .symbol:         _ZN7rocprim17ROCPRIM_400000_NS6detail17trampoline_kernelINS0_14default_configENS1_38merge_sort_block_merge_config_selectorItNS0_10empty_typeEEEZZNS1_27merge_sort_block_merge_implIS3_PtPS5_jNS1_19radix_merge_compareILb0ELb1EtNS0_19identity_decomposerEEEEE10hipError_tT0_T1_T2_jT3_P12ihipStream_tbPNSt15iterator_traitsISE_E10value_typeEPNSK_ISF_E10value_typeEPSG_NS1_7vsmem_tEENKUlT_SE_SF_SG_E_clIS8_S8_S9_S9_EESD_ST_SE_SF_SG_EUlST_E1_NS1_11comp_targetILNS1_3genE9ELNS1_11target_archE1100ELNS1_3gpuE3ELNS1_3repE0EEENS1_36merge_oddeven_config_static_selectorELNS0_4arch9wavefront6targetE0EEEvSF_.kd
    .uniform_work_group_size: 1
    .uses_dynamic_stack: false
    .vgpr_count:     0
    .vgpr_spill_count: 0
    .wavefront_size: 32
  - .args:
      - .offset:         0
        .size:           48
        .value_kind:     by_value
    .group_segment_fixed_size: 0
    .kernarg_segment_align: 8
    .kernarg_segment_size: 48
    .language:       OpenCL C
    .language_version:
      - 2
      - 0
    .max_flat_workgroup_size: 256
    .name:           _ZN7rocprim17ROCPRIM_400000_NS6detail17trampoline_kernelINS0_14default_configENS1_38merge_sort_block_merge_config_selectorItNS0_10empty_typeEEEZZNS1_27merge_sort_block_merge_implIS3_PtPS5_jNS1_19radix_merge_compareILb0ELb1EtNS0_19identity_decomposerEEEEE10hipError_tT0_T1_T2_jT3_P12ihipStream_tbPNSt15iterator_traitsISE_E10value_typeEPNSK_ISF_E10value_typeEPSG_NS1_7vsmem_tEENKUlT_SE_SF_SG_E_clIS8_S8_S9_S9_EESD_ST_SE_SF_SG_EUlST_E1_NS1_11comp_targetILNS1_3genE8ELNS1_11target_archE1030ELNS1_3gpuE2ELNS1_3repE0EEENS1_36merge_oddeven_config_static_selectorELNS0_4arch9wavefront6targetE0EEEvSF_
    .private_segment_fixed_size: 0
    .sgpr_count:     0
    .sgpr_spill_count: 0
    .symbol:         _ZN7rocprim17ROCPRIM_400000_NS6detail17trampoline_kernelINS0_14default_configENS1_38merge_sort_block_merge_config_selectorItNS0_10empty_typeEEEZZNS1_27merge_sort_block_merge_implIS3_PtPS5_jNS1_19radix_merge_compareILb0ELb1EtNS0_19identity_decomposerEEEEE10hipError_tT0_T1_T2_jT3_P12ihipStream_tbPNSt15iterator_traitsISE_E10value_typeEPNSK_ISF_E10value_typeEPSG_NS1_7vsmem_tEENKUlT_SE_SF_SG_E_clIS8_S8_S9_S9_EESD_ST_SE_SF_SG_EUlST_E1_NS1_11comp_targetILNS1_3genE8ELNS1_11target_archE1030ELNS1_3gpuE2ELNS1_3repE0EEENS1_36merge_oddeven_config_static_selectorELNS0_4arch9wavefront6targetE0EEEvSF_.kd
    .uniform_work_group_size: 1
    .uses_dynamic_stack: false
    .vgpr_count:     0
    .vgpr_spill_count: 0
    .wavefront_size: 32
  - .args:
      - .offset:         0
        .size:           48
        .value_kind:     by_value
    .group_segment_fixed_size: 8192
    .kernarg_segment_align: 8
    .kernarg_segment_size: 48
    .language:       OpenCL C
    .language_version:
      - 2
      - 0
    .max_flat_workgroup_size: 512
    .name:           _ZN7rocprim17ROCPRIM_400000_NS6detail17trampoline_kernelINS0_14default_configENS1_35radix_sort_onesweep_config_selectorItNS0_10empty_typeEEEZNS1_34radix_sort_onesweep_global_offsetsIS3_Lb0EPKtPS5_mNS0_19identity_decomposerEEE10hipError_tT1_T2_PT3_SF_jT4_jjP12ihipStream_tbEUlT_E_NS1_11comp_targetILNS1_3genE0ELNS1_11target_archE4294967295ELNS1_3gpuE0ELNS1_3repE0EEENS1_52radix_sort_onesweep_histogram_config_static_selectorELNS0_4arch9wavefront6targetE0EEEvSD_
    .private_segment_fixed_size: 0
    .sgpr_count:     15
    .sgpr_spill_count: 0
    .symbol:         _ZN7rocprim17ROCPRIM_400000_NS6detail17trampoline_kernelINS0_14default_configENS1_35radix_sort_onesweep_config_selectorItNS0_10empty_typeEEEZNS1_34radix_sort_onesweep_global_offsetsIS3_Lb0EPKtPS5_mNS0_19identity_decomposerEEE10hipError_tT1_T2_PT3_SF_jT4_jjP12ihipStream_tbEUlT_E_NS1_11comp_targetILNS1_3genE0ELNS1_11target_archE4294967295ELNS1_3gpuE0ELNS1_3repE0EEENS1_52radix_sort_onesweep_histogram_config_static_selectorELNS0_4arch9wavefront6targetE0EEEvSD_.kd
    .uniform_work_group_size: 1
    .uses_dynamic_stack: false
    .vgpr_count:     28
    .vgpr_spill_count: 0
    .wavefront_size: 32
  - .args:
      - .offset:         0
        .size:           48
        .value_kind:     by_value
    .group_segment_fixed_size: 0
    .kernarg_segment_align: 8
    .kernarg_segment_size: 48
    .language:       OpenCL C
    .language_version:
      - 2
      - 0
    .max_flat_workgroup_size: 1024
    .name:           _ZN7rocprim17ROCPRIM_400000_NS6detail17trampoline_kernelINS0_14default_configENS1_35radix_sort_onesweep_config_selectorItNS0_10empty_typeEEEZNS1_34radix_sort_onesweep_global_offsetsIS3_Lb0EPKtPS5_mNS0_19identity_decomposerEEE10hipError_tT1_T2_PT3_SF_jT4_jjP12ihipStream_tbEUlT_E_NS1_11comp_targetILNS1_3genE6ELNS1_11target_archE950ELNS1_3gpuE13ELNS1_3repE0EEENS1_52radix_sort_onesweep_histogram_config_static_selectorELNS0_4arch9wavefront6targetE0EEEvSD_
    .private_segment_fixed_size: 0
    .sgpr_count:     0
    .sgpr_spill_count: 0
    .symbol:         _ZN7rocprim17ROCPRIM_400000_NS6detail17trampoline_kernelINS0_14default_configENS1_35radix_sort_onesweep_config_selectorItNS0_10empty_typeEEEZNS1_34radix_sort_onesweep_global_offsetsIS3_Lb0EPKtPS5_mNS0_19identity_decomposerEEE10hipError_tT1_T2_PT3_SF_jT4_jjP12ihipStream_tbEUlT_E_NS1_11comp_targetILNS1_3genE6ELNS1_11target_archE950ELNS1_3gpuE13ELNS1_3repE0EEENS1_52radix_sort_onesweep_histogram_config_static_selectorELNS0_4arch9wavefront6targetE0EEEvSD_.kd
    .uniform_work_group_size: 1
    .uses_dynamic_stack: false
    .vgpr_count:     0
    .vgpr_spill_count: 0
    .wavefront_size: 32
  - .args:
      - .offset:         0
        .size:           48
        .value_kind:     by_value
    .group_segment_fixed_size: 0
    .kernarg_segment_align: 8
    .kernarg_segment_size: 48
    .language:       OpenCL C
    .language_version:
      - 2
      - 0
    .max_flat_workgroup_size: 1024
    .name:           _ZN7rocprim17ROCPRIM_400000_NS6detail17trampoline_kernelINS0_14default_configENS1_35radix_sort_onesweep_config_selectorItNS0_10empty_typeEEEZNS1_34radix_sort_onesweep_global_offsetsIS3_Lb0EPKtPS5_mNS0_19identity_decomposerEEE10hipError_tT1_T2_PT3_SF_jT4_jjP12ihipStream_tbEUlT_E_NS1_11comp_targetILNS1_3genE5ELNS1_11target_archE942ELNS1_3gpuE9ELNS1_3repE0EEENS1_52radix_sort_onesweep_histogram_config_static_selectorELNS0_4arch9wavefront6targetE0EEEvSD_
    .private_segment_fixed_size: 0
    .sgpr_count:     0
    .sgpr_spill_count: 0
    .symbol:         _ZN7rocprim17ROCPRIM_400000_NS6detail17trampoline_kernelINS0_14default_configENS1_35radix_sort_onesweep_config_selectorItNS0_10empty_typeEEEZNS1_34radix_sort_onesweep_global_offsetsIS3_Lb0EPKtPS5_mNS0_19identity_decomposerEEE10hipError_tT1_T2_PT3_SF_jT4_jjP12ihipStream_tbEUlT_E_NS1_11comp_targetILNS1_3genE5ELNS1_11target_archE942ELNS1_3gpuE9ELNS1_3repE0EEENS1_52radix_sort_onesweep_histogram_config_static_selectorELNS0_4arch9wavefront6targetE0EEEvSD_.kd
    .uniform_work_group_size: 1
    .uses_dynamic_stack: false
    .vgpr_count:     0
    .vgpr_spill_count: 0
    .wavefront_size: 32
  - .args:
      - .offset:         0
        .size:           48
        .value_kind:     by_value
    .group_segment_fixed_size: 0
    .kernarg_segment_align: 8
    .kernarg_segment_size: 48
    .language:       OpenCL C
    .language_version:
      - 2
      - 0
    .max_flat_workgroup_size: 512
    .name:           _ZN7rocprim17ROCPRIM_400000_NS6detail17trampoline_kernelINS0_14default_configENS1_35radix_sort_onesweep_config_selectorItNS0_10empty_typeEEEZNS1_34radix_sort_onesweep_global_offsetsIS3_Lb0EPKtPS5_mNS0_19identity_decomposerEEE10hipError_tT1_T2_PT3_SF_jT4_jjP12ihipStream_tbEUlT_E_NS1_11comp_targetILNS1_3genE2ELNS1_11target_archE906ELNS1_3gpuE6ELNS1_3repE0EEENS1_52radix_sort_onesweep_histogram_config_static_selectorELNS0_4arch9wavefront6targetE0EEEvSD_
    .private_segment_fixed_size: 0
    .sgpr_count:     0
    .sgpr_spill_count: 0
    .symbol:         _ZN7rocprim17ROCPRIM_400000_NS6detail17trampoline_kernelINS0_14default_configENS1_35radix_sort_onesweep_config_selectorItNS0_10empty_typeEEEZNS1_34radix_sort_onesweep_global_offsetsIS3_Lb0EPKtPS5_mNS0_19identity_decomposerEEE10hipError_tT1_T2_PT3_SF_jT4_jjP12ihipStream_tbEUlT_E_NS1_11comp_targetILNS1_3genE2ELNS1_11target_archE906ELNS1_3gpuE6ELNS1_3repE0EEENS1_52radix_sort_onesweep_histogram_config_static_selectorELNS0_4arch9wavefront6targetE0EEEvSD_.kd
    .uniform_work_group_size: 1
    .uses_dynamic_stack: false
    .vgpr_count:     0
    .vgpr_spill_count: 0
    .wavefront_size: 32
  - .args:
      - .offset:         0
        .size:           48
        .value_kind:     by_value
    .group_segment_fixed_size: 0
    .kernarg_segment_align: 8
    .kernarg_segment_size: 48
    .language:       OpenCL C
    .language_version:
      - 2
      - 0
    .max_flat_workgroup_size: 1024
    .name:           _ZN7rocprim17ROCPRIM_400000_NS6detail17trampoline_kernelINS0_14default_configENS1_35radix_sort_onesweep_config_selectorItNS0_10empty_typeEEEZNS1_34radix_sort_onesweep_global_offsetsIS3_Lb0EPKtPS5_mNS0_19identity_decomposerEEE10hipError_tT1_T2_PT3_SF_jT4_jjP12ihipStream_tbEUlT_E_NS1_11comp_targetILNS1_3genE4ELNS1_11target_archE910ELNS1_3gpuE8ELNS1_3repE0EEENS1_52radix_sort_onesweep_histogram_config_static_selectorELNS0_4arch9wavefront6targetE0EEEvSD_
    .private_segment_fixed_size: 0
    .sgpr_count:     0
    .sgpr_spill_count: 0
    .symbol:         _ZN7rocprim17ROCPRIM_400000_NS6detail17trampoline_kernelINS0_14default_configENS1_35radix_sort_onesweep_config_selectorItNS0_10empty_typeEEEZNS1_34radix_sort_onesweep_global_offsetsIS3_Lb0EPKtPS5_mNS0_19identity_decomposerEEE10hipError_tT1_T2_PT3_SF_jT4_jjP12ihipStream_tbEUlT_E_NS1_11comp_targetILNS1_3genE4ELNS1_11target_archE910ELNS1_3gpuE8ELNS1_3repE0EEENS1_52radix_sort_onesweep_histogram_config_static_selectorELNS0_4arch9wavefront6targetE0EEEvSD_.kd
    .uniform_work_group_size: 1
    .uses_dynamic_stack: false
    .vgpr_count:     0
    .vgpr_spill_count: 0
    .wavefront_size: 32
  - .args:
      - .offset:         0
        .size:           48
        .value_kind:     by_value
    .group_segment_fixed_size: 0
    .kernarg_segment_align: 8
    .kernarg_segment_size: 48
    .language:       OpenCL C
    .language_version:
      - 2
      - 0
    .max_flat_workgroup_size: 512
    .name:           _ZN7rocprim17ROCPRIM_400000_NS6detail17trampoline_kernelINS0_14default_configENS1_35radix_sort_onesweep_config_selectorItNS0_10empty_typeEEEZNS1_34radix_sort_onesweep_global_offsetsIS3_Lb0EPKtPS5_mNS0_19identity_decomposerEEE10hipError_tT1_T2_PT3_SF_jT4_jjP12ihipStream_tbEUlT_E_NS1_11comp_targetILNS1_3genE3ELNS1_11target_archE908ELNS1_3gpuE7ELNS1_3repE0EEENS1_52radix_sort_onesweep_histogram_config_static_selectorELNS0_4arch9wavefront6targetE0EEEvSD_
    .private_segment_fixed_size: 0
    .sgpr_count:     0
    .sgpr_spill_count: 0
    .symbol:         _ZN7rocprim17ROCPRIM_400000_NS6detail17trampoline_kernelINS0_14default_configENS1_35radix_sort_onesweep_config_selectorItNS0_10empty_typeEEEZNS1_34radix_sort_onesweep_global_offsetsIS3_Lb0EPKtPS5_mNS0_19identity_decomposerEEE10hipError_tT1_T2_PT3_SF_jT4_jjP12ihipStream_tbEUlT_E_NS1_11comp_targetILNS1_3genE3ELNS1_11target_archE908ELNS1_3gpuE7ELNS1_3repE0EEENS1_52radix_sort_onesweep_histogram_config_static_selectorELNS0_4arch9wavefront6targetE0EEEvSD_.kd
    .uniform_work_group_size: 1
    .uses_dynamic_stack: false
    .vgpr_count:     0
    .vgpr_spill_count: 0
    .wavefront_size: 32
  - .args:
      - .offset:         0
        .size:           48
        .value_kind:     by_value
    .group_segment_fixed_size: 0
    .kernarg_segment_align: 8
    .kernarg_segment_size: 48
    .language:       OpenCL C
    .language_version:
      - 2
      - 0
    .max_flat_workgroup_size: 256
    .name:           _ZN7rocprim17ROCPRIM_400000_NS6detail17trampoline_kernelINS0_14default_configENS1_35radix_sort_onesweep_config_selectorItNS0_10empty_typeEEEZNS1_34radix_sort_onesweep_global_offsetsIS3_Lb0EPKtPS5_mNS0_19identity_decomposerEEE10hipError_tT1_T2_PT3_SF_jT4_jjP12ihipStream_tbEUlT_E_NS1_11comp_targetILNS1_3genE10ELNS1_11target_archE1201ELNS1_3gpuE5ELNS1_3repE0EEENS1_52radix_sort_onesweep_histogram_config_static_selectorELNS0_4arch9wavefront6targetE0EEEvSD_
    .private_segment_fixed_size: 0
    .sgpr_count:     0
    .sgpr_spill_count: 0
    .symbol:         _ZN7rocprim17ROCPRIM_400000_NS6detail17trampoline_kernelINS0_14default_configENS1_35radix_sort_onesweep_config_selectorItNS0_10empty_typeEEEZNS1_34radix_sort_onesweep_global_offsetsIS3_Lb0EPKtPS5_mNS0_19identity_decomposerEEE10hipError_tT1_T2_PT3_SF_jT4_jjP12ihipStream_tbEUlT_E_NS1_11comp_targetILNS1_3genE10ELNS1_11target_archE1201ELNS1_3gpuE5ELNS1_3repE0EEENS1_52radix_sort_onesweep_histogram_config_static_selectorELNS0_4arch9wavefront6targetE0EEEvSD_.kd
    .uniform_work_group_size: 1
    .uses_dynamic_stack: false
    .vgpr_count:     0
    .vgpr_spill_count: 0
    .wavefront_size: 32
  - .args:
      - .offset:         0
        .size:           48
        .value_kind:     by_value
    .group_segment_fixed_size: 0
    .kernarg_segment_align: 8
    .kernarg_segment_size: 48
    .language:       OpenCL C
    .language_version:
      - 2
      - 0
    .max_flat_workgroup_size: 256
    .name:           _ZN7rocprim17ROCPRIM_400000_NS6detail17trampoline_kernelINS0_14default_configENS1_35radix_sort_onesweep_config_selectorItNS0_10empty_typeEEEZNS1_34radix_sort_onesweep_global_offsetsIS3_Lb0EPKtPS5_mNS0_19identity_decomposerEEE10hipError_tT1_T2_PT3_SF_jT4_jjP12ihipStream_tbEUlT_E_NS1_11comp_targetILNS1_3genE9ELNS1_11target_archE1100ELNS1_3gpuE3ELNS1_3repE0EEENS1_52radix_sort_onesweep_histogram_config_static_selectorELNS0_4arch9wavefront6targetE0EEEvSD_
    .private_segment_fixed_size: 0
    .sgpr_count:     0
    .sgpr_spill_count: 0
    .symbol:         _ZN7rocprim17ROCPRIM_400000_NS6detail17trampoline_kernelINS0_14default_configENS1_35radix_sort_onesweep_config_selectorItNS0_10empty_typeEEEZNS1_34radix_sort_onesweep_global_offsetsIS3_Lb0EPKtPS5_mNS0_19identity_decomposerEEE10hipError_tT1_T2_PT3_SF_jT4_jjP12ihipStream_tbEUlT_E_NS1_11comp_targetILNS1_3genE9ELNS1_11target_archE1100ELNS1_3gpuE3ELNS1_3repE0EEENS1_52radix_sort_onesweep_histogram_config_static_selectorELNS0_4arch9wavefront6targetE0EEEvSD_.kd
    .uniform_work_group_size: 1
    .uses_dynamic_stack: false
    .vgpr_count:     0
    .vgpr_spill_count: 0
    .wavefront_size: 32
  - .args:
      - .offset:         0
        .size:           48
        .value_kind:     by_value
    .group_segment_fixed_size: 0
    .kernarg_segment_align: 8
    .kernarg_segment_size: 48
    .language:       OpenCL C
    .language_version:
      - 2
      - 0
    .max_flat_workgroup_size: 256
    .name:           _ZN7rocprim17ROCPRIM_400000_NS6detail17trampoline_kernelINS0_14default_configENS1_35radix_sort_onesweep_config_selectorItNS0_10empty_typeEEEZNS1_34radix_sort_onesweep_global_offsetsIS3_Lb0EPKtPS5_mNS0_19identity_decomposerEEE10hipError_tT1_T2_PT3_SF_jT4_jjP12ihipStream_tbEUlT_E_NS1_11comp_targetILNS1_3genE8ELNS1_11target_archE1030ELNS1_3gpuE2ELNS1_3repE0EEENS1_52radix_sort_onesweep_histogram_config_static_selectorELNS0_4arch9wavefront6targetE0EEEvSD_
    .private_segment_fixed_size: 0
    .sgpr_count:     0
    .sgpr_spill_count: 0
    .symbol:         _ZN7rocprim17ROCPRIM_400000_NS6detail17trampoline_kernelINS0_14default_configENS1_35radix_sort_onesweep_config_selectorItNS0_10empty_typeEEEZNS1_34radix_sort_onesweep_global_offsetsIS3_Lb0EPKtPS5_mNS0_19identity_decomposerEEE10hipError_tT1_T2_PT3_SF_jT4_jjP12ihipStream_tbEUlT_E_NS1_11comp_targetILNS1_3genE8ELNS1_11target_archE1030ELNS1_3gpuE2ELNS1_3repE0EEENS1_52radix_sort_onesweep_histogram_config_static_selectorELNS0_4arch9wavefront6targetE0EEEvSD_.kd
    .uniform_work_group_size: 1
    .uses_dynamic_stack: false
    .vgpr_count:     0
    .vgpr_spill_count: 0
    .wavefront_size: 32
  - .args:
      - .address_space:  global
        .offset:         0
        .size:           8
        .value_kind:     global_buffer
    .group_segment_fixed_size: 128
    .kernarg_segment_align: 8
    .kernarg_segment_size: 8
    .language:       OpenCL C
    .language_version:
      - 2
      - 0
    .max_flat_workgroup_size: 512
    .name:           _ZN7rocprim17ROCPRIM_400000_NS6detail17trampoline_kernelINS0_14default_configENS1_35radix_sort_onesweep_config_selectorItNS0_10empty_typeEEEZNS1_34radix_sort_onesweep_global_offsetsIS3_Lb0EPKtPS5_mNS0_19identity_decomposerEEE10hipError_tT1_T2_PT3_SF_jT4_jjP12ihipStream_tbEUlT_E0_NS1_11comp_targetILNS1_3genE0ELNS1_11target_archE4294967295ELNS1_3gpuE0ELNS1_3repE0EEENS1_52radix_sort_onesweep_histogram_config_static_selectorELNS0_4arch9wavefront6targetE0EEEvSD_
    .private_segment_fixed_size: 0
    .sgpr_count:     10
    .sgpr_spill_count: 0
    .symbol:         _ZN7rocprim17ROCPRIM_400000_NS6detail17trampoline_kernelINS0_14default_configENS1_35radix_sort_onesweep_config_selectorItNS0_10empty_typeEEEZNS1_34radix_sort_onesweep_global_offsetsIS3_Lb0EPKtPS5_mNS0_19identity_decomposerEEE10hipError_tT1_T2_PT3_SF_jT4_jjP12ihipStream_tbEUlT_E0_NS1_11comp_targetILNS1_3genE0ELNS1_11target_archE4294967295ELNS1_3gpuE0ELNS1_3repE0EEENS1_52radix_sort_onesweep_histogram_config_static_selectorELNS0_4arch9wavefront6targetE0EEEvSD_.kd
    .uniform_work_group_size: 1
    .uses_dynamic_stack: false
    .vgpr_count:     14
    .vgpr_spill_count: 0
    .wavefront_size: 32
  - .args:
      - .address_space:  global
        .offset:         0
        .size:           8
        .value_kind:     global_buffer
    .group_segment_fixed_size: 0
    .kernarg_segment_align: 8
    .kernarg_segment_size: 8
    .language:       OpenCL C
    .language_version:
      - 2
      - 0
    .max_flat_workgroup_size: 1024
    .name:           _ZN7rocprim17ROCPRIM_400000_NS6detail17trampoline_kernelINS0_14default_configENS1_35radix_sort_onesweep_config_selectorItNS0_10empty_typeEEEZNS1_34radix_sort_onesweep_global_offsetsIS3_Lb0EPKtPS5_mNS0_19identity_decomposerEEE10hipError_tT1_T2_PT3_SF_jT4_jjP12ihipStream_tbEUlT_E0_NS1_11comp_targetILNS1_3genE6ELNS1_11target_archE950ELNS1_3gpuE13ELNS1_3repE0EEENS1_52radix_sort_onesweep_histogram_config_static_selectorELNS0_4arch9wavefront6targetE0EEEvSD_
    .private_segment_fixed_size: 0
    .sgpr_count:     0
    .sgpr_spill_count: 0
    .symbol:         _ZN7rocprim17ROCPRIM_400000_NS6detail17trampoline_kernelINS0_14default_configENS1_35radix_sort_onesweep_config_selectorItNS0_10empty_typeEEEZNS1_34radix_sort_onesweep_global_offsetsIS3_Lb0EPKtPS5_mNS0_19identity_decomposerEEE10hipError_tT1_T2_PT3_SF_jT4_jjP12ihipStream_tbEUlT_E0_NS1_11comp_targetILNS1_3genE6ELNS1_11target_archE950ELNS1_3gpuE13ELNS1_3repE0EEENS1_52radix_sort_onesweep_histogram_config_static_selectorELNS0_4arch9wavefront6targetE0EEEvSD_.kd
    .uniform_work_group_size: 1
    .uses_dynamic_stack: false
    .vgpr_count:     0
    .vgpr_spill_count: 0
    .wavefront_size: 32
  - .args:
      - .address_space:  global
        .offset:         0
        .size:           8
        .value_kind:     global_buffer
    .group_segment_fixed_size: 0
    .kernarg_segment_align: 8
    .kernarg_segment_size: 8
    .language:       OpenCL C
    .language_version:
      - 2
      - 0
    .max_flat_workgroup_size: 1024
    .name:           _ZN7rocprim17ROCPRIM_400000_NS6detail17trampoline_kernelINS0_14default_configENS1_35radix_sort_onesweep_config_selectorItNS0_10empty_typeEEEZNS1_34radix_sort_onesweep_global_offsetsIS3_Lb0EPKtPS5_mNS0_19identity_decomposerEEE10hipError_tT1_T2_PT3_SF_jT4_jjP12ihipStream_tbEUlT_E0_NS1_11comp_targetILNS1_3genE5ELNS1_11target_archE942ELNS1_3gpuE9ELNS1_3repE0EEENS1_52radix_sort_onesweep_histogram_config_static_selectorELNS0_4arch9wavefront6targetE0EEEvSD_
    .private_segment_fixed_size: 0
    .sgpr_count:     0
    .sgpr_spill_count: 0
    .symbol:         _ZN7rocprim17ROCPRIM_400000_NS6detail17trampoline_kernelINS0_14default_configENS1_35radix_sort_onesweep_config_selectorItNS0_10empty_typeEEEZNS1_34radix_sort_onesweep_global_offsetsIS3_Lb0EPKtPS5_mNS0_19identity_decomposerEEE10hipError_tT1_T2_PT3_SF_jT4_jjP12ihipStream_tbEUlT_E0_NS1_11comp_targetILNS1_3genE5ELNS1_11target_archE942ELNS1_3gpuE9ELNS1_3repE0EEENS1_52radix_sort_onesweep_histogram_config_static_selectorELNS0_4arch9wavefront6targetE0EEEvSD_.kd
    .uniform_work_group_size: 1
    .uses_dynamic_stack: false
    .vgpr_count:     0
    .vgpr_spill_count: 0
    .wavefront_size: 32
  - .args:
      - .address_space:  global
        .offset:         0
        .size:           8
        .value_kind:     global_buffer
    .group_segment_fixed_size: 0
    .kernarg_segment_align: 8
    .kernarg_segment_size: 8
    .language:       OpenCL C
    .language_version:
      - 2
      - 0
    .max_flat_workgroup_size: 512
    .name:           _ZN7rocprim17ROCPRIM_400000_NS6detail17trampoline_kernelINS0_14default_configENS1_35radix_sort_onesweep_config_selectorItNS0_10empty_typeEEEZNS1_34radix_sort_onesweep_global_offsetsIS3_Lb0EPKtPS5_mNS0_19identity_decomposerEEE10hipError_tT1_T2_PT3_SF_jT4_jjP12ihipStream_tbEUlT_E0_NS1_11comp_targetILNS1_3genE2ELNS1_11target_archE906ELNS1_3gpuE6ELNS1_3repE0EEENS1_52radix_sort_onesweep_histogram_config_static_selectorELNS0_4arch9wavefront6targetE0EEEvSD_
    .private_segment_fixed_size: 0
    .sgpr_count:     0
    .sgpr_spill_count: 0
    .symbol:         _ZN7rocprim17ROCPRIM_400000_NS6detail17trampoline_kernelINS0_14default_configENS1_35radix_sort_onesweep_config_selectorItNS0_10empty_typeEEEZNS1_34radix_sort_onesweep_global_offsetsIS3_Lb0EPKtPS5_mNS0_19identity_decomposerEEE10hipError_tT1_T2_PT3_SF_jT4_jjP12ihipStream_tbEUlT_E0_NS1_11comp_targetILNS1_3genE2ELNS1_11target_archE906ELNS1_3gpuE6ELNS1_3repE0EEENS1_52radix_sort_onesweep_histogram_config_static_selectorELNS0_4arch9wavefront6targetE0EEEvSD_.kd
    .uniform_work_group_size: 1
    .uses_dynamic_stack: false
    .vgpr_count:     0
    .vgpr_spill_count: 0
    .wavefront_size: 32
  - .args:
      - .address_space:  global
        .offset:         0
        .size:           8
        .value_kind:     global_buffer
    .group_segment_fixed_size: 0
    .kernarg_segment_align: 8
    .kernarg_segment_size: 8
    .language:       OpenCL C
    .language_version:
      - 2
      - 0
    .max_flat_workgroup_size: 1024
    .name:           _ZN7rocprim17ROCPRIM_400000_NS6detail17trampoline_kernelINS0_14default_configENS1_35radix_sort_onesweep_config_selectorItNS0_10empty_typeEEEZNS1_34radix_sort_onesweep_global_offsetsIS3_Lb0EPKtPS5_mNS0_19identity_decomposerEEE10hipError_tT1_T2_PT3_SF_jT4_jjP12ihipStream_tbEUlT_E0_NS1_11comp_targetILNS1_3genE4ELNS1_11target_archE910ELNS1_3gpuE8ELNS1_3repE0EEENS1_52radix_sort_onesweep_histogram_config_static_selectorELNS0_4arch9wavefront6targetE0EEEvSD_
    .private_segment_fixed_size: 0
    .sgpr_count:     0
    .sgpr_spill_count: 0
    .symbol:         _ZN7rocprim17ROCPRIM_400000_NS6detail17trampoline_kernelINS0_14default_configENS1_35radix_sort_onesweep_config_selectorItNS0_10empty_typeEEEZNS1_34radix_sort_onesweep_global_offsetsIS3_Lb0EPKtPS5_mNS0_19identity_decomposerEEE10hipError_tT1_T2_PT3_SF_jT4_jjP12ihipStream_tbEUlT_E0_NS1_11comp_targetILNS1_3genE4ELNS1_11target_archE910ELNS1_3gpuE8ELNS1_3repE0EEENS1_52radix_sort_onesweep_histogram_config_static_selectorELNS0_4arch9wavefront6targetE0EEEvSD_.kd
    .uniform_work_group_size: 1
    .uses_dynamic_stack: false
    .vgpr_count:     0
    .vgpr_spill_count: 0
    .wavefront_size: 32
  - .args:
      - .address_space:  global
        .offset:         0
        .size:           8
        .value_kind:     global_buffer
    .group_segment_fixed_size: 0
    .kernarg_segment_align: 8
    .kernarg_segment_size: 8
    .language:       OpenCL C
    .language_version:
      - 2
      - 0
    .max_flat_workgroup_size: 512
    .name:           _ZN7rocprim17ROCPRIM_400000_NS6detail17trampoline_kernelINS0_14default_configENS1_35radix_sort_onesweep_config_selectorItNS0_10empty_typeEEEZNS1_34radix_sort_onesweep_global_offsetsIS3_Lb0EPKtPS5_mNS0_19identity_decomposerEEE10hipError_tT1_T2_PT3_SF_jT4_jjP12ihipStream_tbEUlT_E0_NS1_11comp_targetILNS1_3genE3ELNS1_11target_archE908ELNS1_3gpuE7ELNS1_3repE0EEENS1_52radix_sort_onesweep_histogram_config_static_selectorELNS0_4arch9wavefront6targetE0EEEvSD_
    .private_segment_fixed_size: 0
    .sgpr_count:     0
    .sgpr_spill_count: 0
    .symbol:         _ZN7rocprim17ROCPRIM_400000_NS6detail17trampoline_kernelINS0_14default_configENS1_35radix_sort_onesweep_config_selectorItNS0_10empty_typeEEEZNS1_34radix_sort_onesweep_global_offsetsIS3_Lb0EPKtPS5_mNS0_19identity_decomposerEEE10hipError_tT1_T2_PT3_SF_jT4_jjP12ihipStream_tbEUlT_E0_NS1_11comp_targetILNS1_3genE3ELNS1_11target_archE908ELNS1_3gpuE7ELNS1_3repE0EEENS1_52radix_sort_onesweep_histogram_config_static_selectorELNS0_4arch9wavefront6targetE0EEEvSD_.kd
    .uniform_work_group_size: 1
    .uses_dynamic_stack: false
    .vgpr_count:     0
    .vgpr_spill_count: 0
    .wavefront_size: 32
  - .args:
      - .address_space:  global
        .offset:         0
        .size:           8
        .value_kind:     global_buffer
    .group_segment_fixed_size: 0
    .kernarg_segment_align: 8
    .kernarg_segment_size: 8
    .language:       OpenCL C
    .language_version:
      - 2
      - 0
    .max_flat_workgroup_size: 256
    .name:           _ZN7rocprim17ROCPRIM_400000_NS6detail17trampoline_kernelINS0_14default_configENS1_35radix_sort_onesweep_config_selectorItNS0_10empty_typeEEEZNS1_34radix_sort_onesweep_global_offsetsIS3_Lb0EPKtPS5_mNS0_19identity_decomposerEEE10hipError_tT1_T2_PT3_SF_jT4_jjP12ihipStream_tbEUlT_E0_NS1_11comp_targetILNS1_3genE10ELNS1_11target_archE1201ELNS1_3gpuE5ELNS1_3repE0EEENS1_52radix_sort_onesweep_histogram_config_static_selectorELNS0_4arch9wavefront6targetE0EEEvSD_
    .private_segment_fixed_size: 0
    .sgpr_count:     0
    .sgpr_spill_count: 0
    .symbol:         _ZN7rocprim17ROCPRIM_400000_NS6detail17trampoline_kernelINS0_14default_configENS1_35radix_sort_onesweep_config_selectorItNS0_10empty_typeEEEZNS1_34radix_sort_onesweep_global_offsetsIS3_Lb0EPKtPS5_mNS0_19identity_decomposerEEE10hipError_tT1_T2_PT3_SF_jT4_jjP12ihipStream_tbEUlT_E0_NS1_11comp_targetILNS1_3genE10ELNS1_11target_archE1201ELNS1_3gpuE5ELNS1_3repE0EEENS1_52radix_sort_onesweep_histogram_config_static_selectorELNS0_4arch9wavefront6targetE0EEEvSD_.kd
    .uniform_work_group_size: 1
    .uses_dynamic_stack: false
    .vgpr_count:     0
    .vgpr_spill_count: 0
    .wavefront_size: 32
  - .args:
      - .address_space:  global
        .offset:         0
        .size:           8
        .value_kind:     global_buffer
    .group_segment_fixed_size: 0
    .kernarg_segment_align: 8
    .kernarg_segment_size: 8
    .language:       OpenCL C
    .language_version:
      - 2
      - 0
    .max_flat_workgroup_size: 256
    .name:           _ZN7rocprim17ROCPRIM_400000_NS6detail17trampoline_kernelINS0_14default_configENS1_35radix_sort_onesweep_config_selectorItNS0_10empty_typeEEEZNS1_34radix_sort_onesweep_global_offsetsIS3_Lb0EPKtPS5_mNS0_19identity_decomposerEEE10hipError_tT1_T2_PT3_SF_jT4_jjP12ihipStream_tbEUlT_E0_NS1_11comp_targetILNS1_3genE9ELNS1_11target_archE1100ELNS1_3gpuE3ELNS1_3repE0EEENS1_52radix_sort_onesweep_histogram_config_static_selectorELNS0_4arch9wavefront6targetE0EEEvSD_
    .private_segment_fixed_size: 0
    .sgpr_count:     0
    .sgpr_spill_count: 0
    .symbol:         _ZN7rocprim17ROCPRIM_400000_NS6detail17trampoline_kernelINS0_14default_configENS1_35radix_sort_onesweep_config_selectorItNS0_10empty_typeEEEZNS1_34radix_sort_onesweep_global_offsetsIS3_Lb0EPKtPS5_mNS0_19identity_decomposerEEE10hipError_tT1_T2_PT3_SF_jT4_jjP12ihipStream_tbEUlT_E0_NS1_11comp_targetILNS1_3genE9ELNS1_11target_archE1100ELNS1_3gpuE3ELNS1_3repE0EEENS1_52radix_sort_onesweep_histogram_config_static_selectorELNS0_4arch9wavefront6targetE0EEEvSD_.kd
    .uniform_work_group_size: 1
    .uses_dynamic_stack: false
    .vgpr_count:     0
    .vgpr_spill_count: 0
    .wavefront_size: 32
  - .args:
      - .address_space:  global
        .offset:         0
        .size:           8
        .value_kind:     global_buffer
    .group_segment_fixed_size: 0
    .kernarg_segment_align: 8
    .kernarg_segment_size: 8
    .language:       OpenCL C
    .language_version:
      - 2
      - 0
    .max_flat_workgroup_size: 256
    .name:           _ZN7rocprim17ROCPRIM_400000_NS6detail17trampoline_kernelINS0_14default_configENS1_35radix_sort_onesweep_config_selectorItNS0_10empty_typeEEEZNS1_34radix_sort_onesweep_global_offsetsIS3_Lb0EPKtPS5_mNS0_19identity_decomposerEEE10hipError_tT1_T2_PT3_SF_jT4_jjP12ihipStream_tbEUlT_E0_NS1_11comp_targetILNS1_3genE8ELNS1_11target_archE1030ELNS1_3gpuE2ELNS1_3repE0EEENS1_52radix_sort_onesweep_histogram_config_static_selectorELNS0_4arch9wavefront6targetE0EEEvSD_
    .private_segment_fixed_size: 0
    .sgpr_count:     0
    .sgpr_spill_count: 0
    .symbol:         _ZN7rocprim17ROCPRIM_400000_NS6detail17trampoline_kernelINS0_14default_configENS1_35radix_sort_onesweep_config_selectorItNS0_10empty_typeEEEZNS1_34radix_sort_onesweep_global_offsetsIS3_Lb0EPKtPS5_mNS0_19identity_decomposerEEE10hipError_tT1_T2_PT3_SF_jT4_jjP12ihipStream_tbEUlT_E0_NS1_11comp_targetILNS1_3genE8ELNS1_11target_archE1030ELNS1_3gpuE2ELNS1_3repE0EEENS1_52radix_sort_onesweep_histogram_config_static_selectorELNS0_4arch9wavefront6targetE0EEEvSD_.kd
    .uniform_work_group_size: 1
    .uses_dynamic_stack: false
    .vgpr_count:     0
    .vgpr_spill_count: 0
    .wavefront_size: 32
  - .args:
      - .offset:         0
        .size:           88
        .value_kind:     by_value
      - .offset:         88
        .size:           4
        .value_kind:     hidden_block_count_x
      - .offset:         92
        .size:           4
        .value_kind:     hidden_block_count_y
      - .offset:         96
        .size:           4
        .value_kind:     hidden_block_count_z
      - .offset:         100
        .size:           2
        .value_kind:     hidden_group_size_x
      - .offset:         102
        .size:           2
        .value_kind:     hidden_group_size_y
      - .offset:         104
        .size:           2
        .value_kind:     hidden_group_size_z
      - .offset:         106
        .size:           2
        .value_kind:     hidden_remainder_x
      - .offset:         108
        .size:           2
        .value_kind:     hidden_remainder_y
      - .offset:         110
        .size:           2
        .value_kind:     hidden_remainder_z
      - .offset:         128
        .size:           8
        .value_kind:     hidden_global_offset_x
      - .offset:         136
        .size:           8
        .value_kind:     hidden_global_offset_y
      - .offset:         144
        .size:           8
        .value_kind:     hidden_global_offset_z
      - .offset:         152
        .size:           2
        .value_kind:     hidden_grid_dims
    .group_segment_fixed_size: 18504
    .kernarg_segment_align: 8
    .kernarg_segment_size: 344
    .language:       OpenCL C
    .language_version:
      - 2
      - 0
    .max_flat_workgroup_size: 512
    .name:           _ZN7rocprim17ROCPRIM_400000_NS6detail17trampoline_kernelINS0_14default_configENS1_35radix_sort_onesweep_config_selectorItNS0_10empty_typeEEEZZNS1_29radix_sort_onesweep_iterationIS3_Lb0EPKtPtPS5_SB_mNS0_19identity_decomposerENS1_16block_id_wrapperIjLb1EEEEE10hipError_tT1_PNSt15iterator_traitsISG_E10value_typeET2_T3_PNSH_ISM_E10value_typeET4_T5_PSR_SS_PNS1_23onesweep_lookback_stateEbbT6_jjT7_P12ihipStream_tbENKUlT_T0_SG_SL_E_clIS9_SA_SB_SB_EEDaSZ_S10_SG_SL_EUlSZ_E_NS1_11comp_targetILNS1_3genE0ELNS1_11target_archE4294967295ELNS1_3gpuE0ELNS1_3repE0EEENS1_47radix_sort_onesweep_sort_config_static_selectorELNS0_4arch9wavefront6targetE0EEEvSG_
    .private_segment_fixed_size: 0
    .sgpr_count:     31
    .sgpr_spill_count: 0
    .symbol:         _ZN7rocprim17ROCPRIM_400000_NS6detail17trampoline_kernelINS0_14default_configENS1_35radix_sort_onesweep_config_selectorItNS0_10empty_typeEEEZZNS1_29radix_sort_onesweep_iterationIS3_Lb0EPKtPtPS5_SB_mNS0_19identity_decomposerENS1_16block_id_wrapperIjLb1EEEEE10hipError_tT1_PNSt15iterator_traitsISG_E10value_typeET2_T3_PNSH_ISM_E10value_typeET4_T5_PSR_SS_PNS1_23onesweep_lookback_stateEbbT6_jjT7_P12ihipStream_tbENKUlT_T0_SG_SL_E_clIS9_SA_SB_SB_EEDaSZ_S10_SG_SL_EUlSZ_E_NS1_11comp_targetILNS1_3genE0ELNS1_11target_archE4294967295ELNS1_3gpuE0ELNS1_3repE0EEENS1_47radix_sort_onesweep_sort_config_static_selectorELNS0_4arch9wavefront6targetE0EEEvSG_.kd
    .uniform_work_group_size: 1
    .uses_dynamic_stack: false
    .vgpr_count:     65
    .vgpr_spill_count: 0
    .wavefront_size: 32
  - .args:
      - .offset:         0
        .size:           88
        .value_kind:     by_value
    .group_segment_fixed_size: 0
    .kernarg_segment_align: 8
    .kernarg_segment_size: 88
    .language:       OpenCL C
    .language_version:
      - 2
      - 0
    .max_flat_workgroup_size: 1024
    .name:           _ZN7rocprim17ROCPRIM_400000_NS6detail17trampoline_kernelINS0_14default_configENS1_35radix_sort_onesweep_config_selectorItNS0_10empty_typeEEEZZNS1_29radix_sort_onesweep_iterationIS3_Lb0EPKtPtPS5_SB_mNS0_19identity_decomposerENS1_16block_id_wrapperIjLb1EEEEE10hipError_tT1_PNSt15iterator_traitsISG_E10value_typeET2_T3_PNSH_ISM_E10value_typeET4_T5_PSR_SS_PNS1_23onesweep_lookback_stateEbbT6_jjT7_P12ihipStream_tbENKUlT_T0_SG_SL_E_clIS9_SA_SB_SB_EEDaSZ_S10_SG_SL_EUlSZ_E_NS1_11comp_targetILNS1_3genE6ELNS1_11target_archE950ELNS1_3gpuE13ELNS1_3repE0EEENS1_47radix_sort_onesweep_sort_config_static_selectorELNS0_4arch9wavefront6targetE0EEEvSG_
    .private_segment_fixed_size: 0
    .sgpr_count:     0
    .sgpr_spill_count: 0
    .symbol:         _ZN7rocprim17ROCPRIM_400000_NS6detail17trampoline_kernelINS0_14default_configENS1_35radix_sort_onesweep_config_selectorItNS0_10empty_typeEEEZZNS1_29radix_sort_onesweep_iterationIS3_Lb0EPKtPtPS5_SB_mNS0_19identity_decomposerENS1_16block_id_wrapperIjLb1EEEEE10hipError_tT1_PNSt15iterator_traitsISG_E10value_typeET2_T3_PNSH_ISM_E10value_typeET4_T5_PSR_SS_PNS1_23onesweep_lookback_stateEbbT6_jjT7_P12ihipStream_tbENKUlT_T0_SG_SL_E_clIS9_SA_SB_SB_EEDaSZ_S10_SG_SL_EUlSZ_E_NS1_11comp_targetILNS1_3genE6ELNS1_11target_archE950ELNS1_3gpuE13ELNS1_3repE0EEENS1_47radix_sort_onesweep_sort_config_static_selectorELNS0_4arch9wavefront6targetE0EEEvSG_.kd
    .uniform_work_group_size: 1
    .uses_dynamic_stack: false
    .vgpr_count:     0
    .vgpr_spill_count: 0
    .wavefront_size: 32
  - .args:
      - .offset:         0
        .size:           88
        .value_kind:     by_value
    .group_segment_fixed_size: 0
    .kernarg_segment_align: 8
    .kernarg_segment_size: 88
    .language:       OpenCL C
    .language_version:
      - 2
      - 0
    .max_flat_workgroup_size: 1024
    .name:           _ZN7rocprim17ROCPRIM_400000_NS6detail17trampoline_kernelINS0_14default_configENS1_35radix_sort_onesweep_config_selectorItNS0_10empty_typeEEEZZNS1_29radix_sort_onesweep_iterationIS3_Lb0EPKtPtPS5_SB_mNS0_19identity_decomposerENS1_16block_id_wrapperIjLb1EEEEE10hipError_tT1_PNSt15iterator_traitsISG_E10value_typeET2_T3_PNSH_ISM_E10value_typeET4_T5_PSR_SS_PNS1_23onesweep_lookback_stateEbbT6_jjT7_P12ihipStream_tbENKUlT_T0_SG_SL_E_clIS9_SA_SB_SB_EEDaSZ_S10_SG_SL_EUlSZ_E_NS1_11comp_targetILNS1_3genE5ELNS1_11target_archE942ELNS1_3gpuE9ELNS1_3repE0EEENS1_47radix_sort_onesweep_sort_config_static_selectorELNS0_4arch9wavefront6targetE0EEEvSG_
    .private_segment_fixed_size: 0
    .sgpr_count:     0
    .sgpr_spill_count: 0
    .symbol:         _ZN7rocprim17ROCPRIM_400000_NS6detail17trampoline_kernelINS0_14default_configENS1_35radix_sort_onesweep_config_selectorItNS0_10empty_typeEEEZZNS1_29radix_sort_onesweep_iterationIS3_Lb0EPKtPtPS5_SB_mNS0_19identity_decomposerENS1_16block_id_wrapperIjLb1EEEEE10hipError_tT1_PNSt15iterator_traitsISG_E10value_typeET2_T3_PNSH_ISM_E10value_typeET4_T5_PSR_SS_PNS1_23onesweep_lookback_stateEbbT6_jjT7_P12ihipStream_tbENKUlT_T0_SG_SL_E_clIS9_SA_SB_SB_EEDaSZ_S10_SG_SL_EUlSZ_E_NS1_11comp_targetILNS1_3genE5ELNS1_11target_archE942ELNS1_3gpuE9ELNS1_3repE0EEENS1_47radix_sort_onesweep_sort_config_static_selectorELNS0_4arch9wavefront6targetE0EEEvSG_.kd
    .uniform_work_group_size: 1
    .uses_dynamic_stack: false
    .vgpr_count:     0
    .vgpr_spill_count: 0
    .wavefront_size: 32
  - .args:
      - .offset:         0
        .size:           88
        .value_kind:     by_value
    .group_segment_fixed_size: 0
    .kernarg_segment_align: 8
    .kernarg_segment_size: 88
    .language:       OpenCL C
    .language_version:
      - 2
      - 0
    .max_flat_workgroup_size: 512
    .name:           _ZN7rocprim17ROCPRIM_400000_NS6detail17trampoline_kernelINS0_14default_configENS1_35radix_sort_onesweep_config_selectorItNS0_10empty_typeEEEZZNS1_29radix_sort_onesweep_iterationIS3_Lb0EPKtPtPS5_SB_mNS0_19identity_decomposerENS1_16block_id_wrapperIjLb1EEEEE10hipError_tT1_PNSt15iterator_traitsISG_E10value_typeET2_T3_PNSH_ISM_E10value_typeET4_T5_PSR_SS_PNS1_23onesweep_lookback_stateEbbT6_jjT7_P12ihipStream_tbENKUlT_T0_SG_SL_E_clIS9_SA_SB_SB_EEDaSZ_S10_SG_SL_EUlSZ_E_NS1_11comp_targetILNS1_3genE2ELNS1_11target_archE906ELNS1_3gpuE6ELNS1_3repE0EEENS1_47radix_sort_onesweep_sort_config_static_selectorELNS0_4arch9wavefront6targetE0EEEvSG_
    .private_segment_fixed_size: 0
    .sgpr_count:     0
    .sgpr_spill_count: 0
    .symbol:         _ZN7rocprim17ROCPRIM_400000_NS6detail17trampoline_kernelINS0_14default_configENS1_35radix_sort_onesweep_config_selectorItNS0_10empty_typeEEEZZNS1_29radix_sort_onesweep_iterationIS3_Lb0EPKtPtPS5_SB_mNS0_19identity_decomposerENS1_16block_id_wrapperIjLb1EEEEE10hipError_tT1_PNSt15iterator_traitsISG_E10value_typeET2_T3_PNSH_ISM_E10value_typeET4_T5_PSR_SS_PNS1_23onesweep_lookback_stateEbbT6_jjT7_P12ihipStream_tbENKUlT_T0_SG_SL_E_clIS9_SA_SB_SB_EEDaSZ_S10_SG_SL_EUlSZ_E_NS1_11comp_targetILNS1_3genE2ELNS1_11target_archE906ELNS1_3gpuE6ELNS1_3repE0EEENS1_47radix_sort_onesweep_sort_config_static_selectorELNS0_4arch9wavefront6targetE0EEEvSG_.kd
    .uniform_work_group_size: 1
    .uses_dynamic_stack: false
    .vgpr_count:     0
    .vgpr_spill_count: 0
    .wavefront_size: 32
  - .args:
      - .offset:         0
        .size:           88
        .value_kind:     by_value
    .group_segment_fixed_size: 0
    .kernarg_segment_align: 8
    .kernarg_segment_size: 88
    .language:       OpenCL C
    .language_version:
      - 2
      - 0
    .max_flat_workgroup_size: 1024
    .name:           _ZN7rocprim17ROCPRIM_400000_NS6detail17trampoline_kernelINS0_14default_configENS1_35radix_sort_onesweep_config_selectorItNS0_10empty_typeEEEZZNS1_29radix_sort_onesweep_iterationIS3_Lb0EPKtPtPS5_SB_mNS0_19identity_decomposerENS1_16block_id_wrapperIjLb1EEEEE10hipError_tT1_PNSt15iterator_traitsISG_E10value_typeET2_T3_PNSH_ISM_E10value_typeET4_T5_PSR_SS_PNS1_23onesweep_lookback_stateEbbT6_jjT7_P12ihipStream_tbENKUlT_T0_SG_SL_E_clIS9_SA_SB_SB_EEDaSZ_S10_SG_SL_EUlSZ_E_NS1_11comp_targetILNS1_3genE4ELNS1_11target_archE910ELNS1_3gpuE8ELNS1_3repE0EEENS1_47radix_sort_onesweep_sort_config_static_selectorELNS0_4arch9wavefront6targetE0EEEvSG_
    .private_segment_fixed_size: 0
    .sgpr_count:     0
    .sgpr_spill_count: 0
    .symbol:         _ZN7rocprim17ROCPRIM_400000_NS6detail17trampoline_kernelINS0_14default_configENS1_35radix_sort_onesweep_config_selectorItNS0_10empty_typeEEEZZNS1_29radix_sort_onesweep_iterationIS3_Lb0EPKtPtPS5_SB_mNS0_19identity_decomposerENS1_16block_id_wrapperIjLb1EEEEE10hipError_tT1_PNSt15iterator_traitsISG_E10value_typeET2_T3_PNSH_ISM_E10value_typeET4_T5_PSR_SS_PNS1_23onesweep_lookback_stateEbbT6_jjT7_P12ihipStream_tbENKUlT_T0_SG_SL_E_clIS9_SA_SB_SB_EEDaSZ_S10_SG_SL_EUlSZ_E_NS1_11comp_targetILNS1_3genE4ELNS1_11target_archE910ELNS1_3gpuE8ELNS1_3repE0EEENS1_47radix_sort_onesweep_sort_config_static_selectorELNS0_4arch9wavefront6targetE0EEEvSG_.kd
    .uniform_work_group_size: 1
    .uses_dynamic_stack: false
    .vgpr_count:     0
    .vgpr_spill_count: 0
    .wavefront_size: 32
  - .args:
      - .offset:         0
        .size:           88
        .value_kind:     by_value
    .group_segment_fixed_size: 0
    .kernarg_segment_align: 8
    .kernarg_segment_size: 88
    .language:       OpenCL C
    .language_version:
      - 2
      - 0
    .max_flat_workgroup_size: 512
    .name:           _ZN7rocprim17ROCPRIM_400000_NS6detail17trampoline_kernelINS0_14default_configENS1_35radix_sort_onesweep_config_selectorItNS0_10empty_typeEEEZZNS1_29radix_sort_onesweep_iterationIS3_Lb0EPKtPtPS5_SB_mNS0_19identity_decomposerENS1_16block_id_wrapperIjLb1EEEEE10hipError_tT1_PNSt15iterator_traitsISG_E10value_typeET2_T3_PNSH_ISM_E10value_typeET4_T5_PSR_SS_PNS1_23onesweep_lookback_stateEbbT6_jjT7_P12ihipStream_tbENKUlT_T0_SG_SL_E_clIS9_SA_SB_SB_EEDaSZ_S10_SG_SL_EUlSZ_E_NS1_11comp_targetILNS1_3genE3ELNS1_11target_archE908ELNS1_3gpuE7ELNS1_3repE0EEENS1_47radix_sort_onesweep_sort_config_static_selectorELNS0_4arch9wavefront6targetE0EEEvSG_
    .private_segment_fixed_size: 0
    .sgpr_count:     0
    .sgpr_spill_count: 0
    .symbol:         _ZN7rocprim17ROCPRIM_400000_NS6detail17trampoline_kernelINS0_14default_configENS1_35radix_sort_onesweep_config_selectorItNS0_10empty_typeEEEZZNS1_29radix_sort_onesweep_iterationIS3_Lb0EPKtPtPS5_SB_mNS0_19identity_decomposerENS1_16block_id_wrapperIjLb1EEEEE10hipError_tT1_PNSt15iterator_traitsISG_E10value_typeET2_T3_PNSH_ISM_E10value_typeET4_T5_PSR_SS_PNS1_23onesweep_lookback_stateEbbT6_jjT7_P12ihipStream_tbENKUlT_T0_SG_SL_E_clIS9_SA_SB_SB_EEDaSZ_S10_SG_SL_EUlSZ_E_NS1_11comp_targetILNS1_3genE3ELNS1_11target_archE908ELNS1_3gpuE7ELNS1_3repE0EEENS1_47radix_sort_onesweep_sort_config_static_selectorELNS0_4arch9wavefront6targetE0EEEvSG_.kd
    .uniform_work_group_size: 1
    .uses_dynamic_stack: false
    .vgpr_count:     0
    .vgpr_spill_count: 0
    .wavefront_size: 32
  - .args:
      - .offset:         0
        .size:           88
        .value_kind:     by_value
    .group_segment_fixed_size: 0
    .kernarg_segment_align: 8
    .kernarg_segment_size: 88
    .language:       OpenCL C
    .language_version:
      - 2
      - 0
    .max_flat_workgroup_size: 256
    .name:           _ZN7rocprim17ROCPRIM_400000_NS6detail17trampoline_kernelINS0_14default_configENS1_35radix_sort_onesweep_config_selectorItNS0_10empty_typeEEEZZNS1_29radix_sort_onesweep_iterationIS3_Lb0EPKtPtPS5_SB_mNS0_19identity_decomposerENS1_16block_id_wrapperIjLb1EEEEE10hipError_tT1_PNSt15iterator_traitsISG_E10value_typeET2_T3_PNSH_ISM_E10value_typeET4_T5_PSR_SS_PNS1_23onesweep_lookback_stateEbbT6_jjT7_P12ihipStream_tbENKUlT_T0_SG_SL_E_clIS9_SA_SB_SB_EEDaSZ_S10_SG_SL_EUlSZ_E_NS1_11comp_targetILNS1_3genE10ELNS1_11target_archE1201ELNS1_3gpuE5ELNS1_3repE0EEENS1_47radix_sort_onesweep_sort_config_static_selectorELNS0_4arch9wavefront6targetE0EEEvSG_
    .private_segment_fixed_size: 0
    .sgpr_count:     0
    .sgpr_spill_count: 0
    .symbol:         _ZN7rocprim17ROCPRIM_400000_NS6detail17trampoline_kernelINS0_14default_configENS1_35radix_sort_onesweep_config_selectorItNS0_10empty_typeEEEZZNS1_29radix_sort_onesweep_iterationIS3_Lb0EPKtPtPS5_SB_mNS0_19identity_decomposerENS1_16block_id_wrapperIjLb1EEEEE10hipError_tT1_PNSt15iterator_traitsISG_E10value_typeET2_T3_PNSH_ISM_E10value_typeET4_T5_PSR_SS_PNS1_23onesweep_lookback_stateEbbT6_jjT7_P12ihipStream_tbENKUlT_T0_SG_SL_E_clIS9_SA_SB_SB_EEDaSZ_S10_SG_SL_EUlSZ_E_NS1_11comp_targetILNS1_3genE10ELNS1_11target_archE1201ELNS1_3gpuE5ELNS1_3repE0EEENS1_47radix_sort_onesweep_sort_config_static_selectorELNS0_4arch9wavefront6targetE0EEEvSG_.kd
    .uniform_work_group_size: 1
    .uses_dynamic_stack: false
    .vgpr_count:     0
    .vgpr_spill_count: 0
    .wavefront_size: 32
  - .args:
      - .offset:         0
        .size:           88
        .value_kind:     by_value
    .group_segment_fixed_size: 0
    .kernarg_segment_align: 8
    .kernarg_segment_size: 88
    .language:       OpenCL C
    .language_version:
      - 2
      - 0
    .max_flat_workgroup_size: 256
    .name:           _ZN7rocprim17ROCPRIM_400000_NS6detail17trampoline_kernelINS0_14default_configENS1_35radix_sort_onesweep_config_selectorItNS0_10empty_typeEEEZZNS1_29radix_sort_onesweep_iterationIS3_Lb0EPKtPtPS5_SB_mNS0_19identity_decomposerENS1_16block_id_wrapperIjLb1EEEEE10hipError_tT1_PNSt15iterator_traitsISG_E10value_typeET2_T3_PNSH_ISM_E10value_typeET4_T5_PSR_SS_PNS1_23onesweep_lookback_stateEbbT6_jjT7_P12ihipStream_tbENKUlT_T0_SG_SL_E_clIS9_SA_SB_SB_EEDaSZ_S10_SG_SL_EUlSZ_E_NS1_11comp_targetILNS1_3genE9ELNS1_11target_archE1100ELNS1_3gpuE3ELNS1_3repE0EEENS1_47radix_sort_onesweep_sort_config_static_selectorELNS0_4arch9wavefront6targetE0EEEvSG_
    .private_segment_fixed_size: 0
    .sgpr_count:     0
    .sgpr_spill_count: 0
    .symbol:         _ZN7rocprim17ROCPRIM_400000_NS6detail17trampoline_kernelINS0_14default_configENS1_35radix_sort_onesweep_config_selectorItNS0_10empty_typeEEEZZNS1_29radix_sort_onesweep_iterationIS3_Lb0EPKtPtPS5_SB_mNS0_19identity_decomposerENS1_16block_id_wrapperIjLb1EEEEE10hipError_tT1_PNSt15iterator_traitsISG_E10value_typeET2_T3_PNSH_ISM_E10value_typeET4_T5_PSR_SS_PNS1_23onesweep_lookback_stateEbbT6_jjT7_P12ihipStream_tbENKUlT_T0_SG_SL_E_clIS9_SA_SB_SB_EEDaSZ_S10_SG_SL_EUlSZ_E_NS1_11comp_targetILNS1_3genE9ELNS1_11target_archE1100ELNS1_3gpuE3ELNS1_3repE0EEENS1_47radix_sort_onesweep_sort_config_static_selectorELNS0_4arch9wavefront6targetE0EEEvSG_.kd
    .uniform_work_group_size: 1
    .uses_dynamic_stack: false
    .vgpr_count:     0
    .vgpr_spill_count: 0
    .wavefront_size: 32
  - .args:
      - .offset:         0
        .size:           88
        .value_kind:     by_value
    .group_segment_fixed_size: 0
    .kernarg_segment_align: 8
    .kernarg_segment_size: 88
    .language:       OpenCL C
    .language_version:
      - 2
      - 0
    .max_flat_workgroup_size: 256
    .name:           _ZN7rocprim17ROCPRIM_400000_NS6detail17trampoline_kernelINS0_14default_configENS1_35radix_sort_onesweep_config_selectorItNS0_10empty_typeEEEZZNS1_29radix_sort_onesweep_iterationIS3_Lb0EPKtPtPS5_SB_mNS0_19identity_decomposerENS1_16block_id_wrapperIjLb1EEEEE10hipError_tT1_PNSt15iterator_traitsISG_E10value_typeET2_T3_PNSH_ISM_E10value_typeET4_T5_PSR_SS_PNS1_23onesweep_lookback_stateEbbT6_jjT7_P12ihipStream_tbENKUlT_T0_SG_SL_E_clIS9_SA_SB_SB_EEDaSZ_S10_SG_SL_EUlSZ_E_NS1_11comp_targetILNS1_3genE8ELNS1_11target_archE1030ELNS1_3gpuE2ELNS1_3repE0EEENS1_47radix_sort_onesweep_sort_config_static_selectorELNS0_4arch9wavefront6targetE0EEEvSG_
    .private_segment_fixed_size: 0
    .sgpr_count:     0
    .sgpr_spill_count: 0
    .symbol:         _ZN7rocprim17ROCPRIM_400000_NS6detail17trampoline_kernelINS0_14default_configENS1_35radix_sort_onesweep_config_selectorItNS0_10empty_typeEEEZZNS1_29radix_sort_onesweep_iterationIS3_Lb0EPKtPtPS5_SB_mNS0_19identity_decomposerENS1_16block_id_wrapperIjLb1EEEEE10hipError_tT1_PNSt15iterator_traitsISG_E10value_typeET2_T3_PNSH_ISM_E10value_typeET4_T5_PSR_SS_PNS1_23onesweep_lookback_stateEbbT6_jjT7_P12ihipStream_tbENKUlT_T0_SG_SL_E_clIS9_SA_SB_SB_EEDaSZ_S10_SG_SL_EUlSZ_E_NS1_11comp_targetILNS1_3genE8ELNS1_11target_archE1030ELNS1_3gpuE2ELNS1_3repE0EEENS1_47radix_sort_onesweep_sort_config_static_selectorELNS0_4arch9wavefront6targetE0EEEvSG_.kd
    .uniform_work_group_size: 1
    .uses_dynamic_stack: false
    .vgpr_count:     0
    .vgpr_spill_count: 0
    .wavefront_size: 32
  - .args:
      - .offset:         0
        .size:           88
        .value_kind:     by_value
      - .offset:         88
        .size:           4
        .value_kind:     hidden_block_count_x
      - .offset:         92
        .size:           4
        .value_kind:     hidden_block_count_y
      - .offset:         96
        .size:           4
        .value_kind:     hidden_block_count_z
      - .offset:         100
        .size:           2
        .value_kind:     hidden_group_size_x
      - .offset:         102
        .size:           2
        .value_kind:     hidden_group_size_y
      - .offset:         104
        .size:           2
        .value_kind:     hidden_group_size_z
      - .offset:         106
        .size:           2
        .value_kind:     hidden_remainder_x
      - .offset:         108
        .size:           2
        .value_kind:     hidden_remainder_y
      - .offset:         110
        .size:           2
        .value_kind:     hidden_remainder_z
      - .offset:         128
        .size:           8
        .value_kind:     hidden_global_offset_x
      - .offset:         136
        .size:           8
        .value_kind:     hidden_global_offset_y
      - .offset:         144
        .size:           8
        .value_kind:     hidden_global_offset_z
      - .offset:         152
        .size:           2
        .value_kind:     hidden_grid_dims
    .group_segment_fixed_size: 18504
    .kernarg_segment_align: 8
    .kernarg_segment_size: 344
    .language:       OpenCL C
    .language_version:
      - 2
      - 0
    .max_flat_workgroup_size: 512
    .name:           _ZN7rocprim17ROCPRIM_400000_NS6detail17trampoline_kernelINS0_14default_configENS1_35radix_sort_onesweep_config_selectorItNS0_10empty_typeEEEZZNS1_29radix_sort_onesweep_iterationIS3_Lb0EPKtPtPS5_SB_mNS0_19identity_decomposerENS1_16block_id_wrapperIjLb1EEEEE10hipError_tT1_PNSt15iterator_traitsISG_E10value_typeET2_T3_PNSH_ISM_E10value_typeET4_T5_PSR_SS_PNS1_23onesweep_lookback_stateEbbT6_jjT7_P12ihipStream_tbENKUlT_T0_SG_SL_E_clISA_SA_SB_SB_EEDaSZ_S10_SG_SL_EUlSZ_E_NS1_11comp_targetILNS1_3genE0ELNS1_11target_archE4294967295ELNS1_3gpuE0ELNS1_3repE0EEENS1_47radix_sort_onesweep_sort_config_static_selectorELNS0_4arch9wavefront6targetE0EEEvSG_
    .private_segment_fixed_size: 0
    .sgpr_count:     31
    .sgpr_spill_count: 0
    .symbol:         _ZN7rocprim17ROCPRIM_400000_NS6detail17trampoline_kernelINS0_14default_configENS1_35radix_sort_onesweep_config_selectorItNS0_10empty_typeEEEZZNS1_29radix_sort_onesweep_iterationIS3_Lb0EPKtPtPS5_SB_mNS0_19identity_decomposerENS1_16block_id_wrapperIjLb1EEEEE10hipError_tT1_PNSt15iterator_traitsISG_E10value_typeET2_T3_PNSH_ISM_E10value_typeET4_T5_PSR_SS_PNS1_23onesweep_lookback_stateEbbT6_jjT7_P12ihipStream_tbENKUlT_T0_SG_SL_E_clISA_SA_SB_SB_EEDaSZ_S10_SG_SL_EUlSZ_E_NS1_11comp_targetILNS1_3genE0ELNS1_11target_archE4294967295ELNS1_3gpuE0ELNS1_3repE0EEENS1_47radix_sort_onesweep_sort_config_static_selectorELNS0_4arch9wavefront6targetE0EEEvSG_.kd
    .uniform_work_group_size: 1
    .uses_dynamic_stack: false
    .vgpr_count:     65
    .vgpr_spill_count: 0
    .wavefront_size: 32
  - .args:
      - .offset:         0
        .size:           88
        .value_kind:     by_value
    .group_segment_fixed_size: 0
    .kernarg_segment_align: 8
    .kernarg_segment_size: 88
    .language:       OpenCL C
    .language_version:
      - 2
      - 0
    .max_flat_workgroup_size: 1024
    .name:           _ZN7rocprim17ROCPRIM_400000_NS6detail17trampoline_kernelINS0_14default_configENS1_35radix_sort_onesweep_config_selectorItNS0_10empty_typeEEEZZNS1_29radix_sort_onesweep_iterationIS3_Lb0EPKtPtPS5_SB_mNS0_19identity_decomposerENS1_16block_id_wrapperIjLb1EEEEE10hipError_tT1_PNSt15iterator_traitsISG_E10value_typeET2_T3_PNSH_ISM_E10value_typeET4_T5_PSR_SS_PNS1_23onesweep_lookback_stateEbbT6_jjT7_P12ihipStream_tbENKUlT_T0_SG_SL_E_clISA_SA_SB_SB_EEDaSZ_S10_SG_SL_EUlSZ_E_NS1_11comp_targetILNS1_3genE6ELNS1_11target_archE950ELNS1_3gpuE13ELNS1_3repE0EEENS1_47radix_sort_onesweep_sort_config_static_selectorELNS0_4arch9wavefront6targetE0EEEvSG_
    .private_segment_fixed_size: 0
    .sgpr_count:     0
    .sgpr_spill_count: 0
    .symbol:         _ZN7rocprim17ROCPRIM_400000_NS6detail17trampoline_kernelINS0_14default_configENS1_35radix_sort_onesweep_config_selectorItNS0_10empty_typeEEEZZNS1_29radix_sort_onesweep_iterationIS3_Lb0EPKtPtPS5_SB_mNS0_19identity_decomposerENS1_16block_id_wrapperIjLb1EEEEE10hipError_tT1_PNSt15iterator_traitsISG_E10value_typeET2_T3_PNSH_ISM_E10value_typeET4_T5_PSR_SS_PNS1_23onesweep_lookback_stateEbbT6_jjT7_P12ihipStream_tbENKUlT_T0_SG_SL_E_clISA_SA_SB_SB_EEDaSZ_S10_SG_SL_EUlSZ_E_NS1_11comp_targetILNS1_3genE6ELNS1_11target_archE950ELNS1_3gpuE13ELNS1_3repE0EEENS1_47radix_sort_onesweep_sort_config_static_selectorELNS0_4arch9wavefront6targetE0EEEvSG_.kd
    .uniform_work_group_size: 1
    .uses_dynamic_stack: false
    .vgpr_count:     0
    .vgpr_spill_count: 0
    .wavefront_size: 32
  - .args:
      - .offset:         0
        .size:           88
        .value_kind:     by_value
    .group_segment_fixed_size: 0
    .kernarg_segment_align: 8
    .kernarg_segment_size: 88
    .language:       OpenCL C
    .language_version:
      - 2
      - 0
    .max_flat_workgroup_size: 1024
    .name:           _ZN7rocprim17ROCPRIM_400000_NS6detail17trampoline_kernelINS0_14default_configENS1_35radix_sort_onesweep_config_selectorItNS0_10empty_typeEEEZZNS1_29radix_sort_onesweep_iterationIS3_Lb0EPKtPtPS5_SB_mNS0_19identity_decomposerENS1_16block_id_wrapperIjLb1EEEEE10hipError_tT1_PNSt15iterator_traitsISG_E10value_typeET2_T3_PNSH_ISM_E10value_typeET4_T5_PSR_SS_PNS1_23onesweep_lookback_stateEbbT6_jjT7_P12ihipStream_tbENKUlT_T0_SG_SL_E_clISA_SA_SB_SB_EEDaSZ_S10_SG_SL_EUlSZ_E_NS1_11comp_targetILNS1_3genE5ELNS1_11target_archE942ELNS1_3gpuE9ELNS1_3repE0EEENS1_47radix_sort_onesweep_sort_config_static_selectorELNS0_4arch9wavefront6targetE0EEEvSG_
    .private_segment_fixed_size: 0
    .sgpr_count:     0
    .sgpr_spill_count: 0
    .symbol:         _ZN7rocprim17ROCPRIM_400000_NS6detail17trampoline_kernelINS0_14default_configENS1_35radix_sort_onesweep_config_selectorItNS0_10empty_typeEEEZZNS1_29radix_sort_onesweep_iterationIS3_Lb0EPKtPtPS5_SB_mNS0_19identity_decomposerENS1_16block_id_wrapperIjLb1EEEEE10hipError_tT1_PNSt15iterator_traitsISG_E10value_typeET2_T3_PNSH_ISM_E10value_typeET4_T5_PSR_SS_PNS1_23onesweep_lookback_stateEbbT6_jjT7_P12ihipStream_tbENKUlT_T0_SG_SL_E_clISA_SA_SB_SB_EEDaSZ_S10_SG_SL_EUlSZ_E_NS1_11comp_targetILNS1_3genE5ELNS1_11target_archE942ELNS1_3gpuE9ELNS1_3repE0EEENS1_47radix_sort_onesweep_sort_config_static_selectorELNS0_4arch9wavefront6targetE0EEEvSG_.kd
    .uniform_work_group_size: 1
    .uses_dynamic_stack: false
    .vgpr_count:     0
    .vgpr_spill_count: 0
    .wavefront_size: 32
  - .args:
      - .offset:         0
        .size:           88
        .value_kind:     by_value
    .group_segment_fixed_size: 0
    .kernarg_segment_align: 8
    .kernarg_segment_size: 88
    .language:       OpenCL C
    .language_version:
      - 2
      - 0
    .max_flat_workgroup_size: 512
    .name:           _ZN7rocprim17ROCPRIM_400000_NS6detail17trampoline_kernelINS0_14default_configENS1_35radix_sort_onesweep_config_selectorItNS0_10empty_typeEEEZZNS1_29radix_sort_onesweep_iterationIS3_Lb0EPKtPtPS5_SB_mNS0_19identity_decomposerENS1_16block_id_wrapperIjLb1EEEEE10hipError_tT1_PNSt15iterator_traitsISG_E10value_typeET2_T3_PNSH_ISM_E10value_typeET4_T5_PSR_SS_PNS1_23onesweep_lookback_stateEbbT6_jjT7_P12ihipStream_tbENKUlT_T0_SG_SL_E_clISA_SA_SB_SB_EEDaSZ_S10_SG_SL_EUlSZ_E_NS1_11comp_targetILNS1_3genE2ELNS1_11target_archE906ELNS1_3gpuE6ELNS1_3repE0EEENS1_47radix_sort_onesweep_sort_config_static_selectorELNS0_4arch9wavefront6targetE0EEEvSG_
    .private_segment_fixed_size: 0
    .sgpr_count:     0
    .sgpr_spill_count: 0
    .symbol:         _ZN7rocprim17ROCPRIM_400000_NS6detail17trampoline_kernelINS0_14default_configENS1_35radix_sort_onesweep_config_selectorItNS0_10empty_typeEEEZZNS1_29radix_sort_onesweep_iterationIS3_Lb0EPKtPtPS5_SB_mNS0_19identity_decomposerENS1_16block_id_wrapperIjLb1EEEEE10hipError_tT1_PNSt15iterator_traitsISG_E10value_typeET2_T3_PNSH_ISM_E10value_typeET4_T5_PSR_SS_PNS1_23onesweep_lookback_stateEbbT6_jjT7_P12ihipStream_tbENKUlT_T0_SG_SL_E_clISA_SA_SB_SB_EEDaSZ_S10_SG_SL_EUlSZ_E_NS1_11comp_targetILNS1_3genE2ELNS1_11target_archE906ELNS1_3gpuE6ELNS1_3repE0EEENS1_47radix_sort_onesweep_sort_config_static_selectorELNS0_4arch9wavefront6targetE0EEEvSG_.kd
    .uniform_work_group_size: 1
    .uses_dynamic_stack: false
    .vgpr_count:     0
    .vgpr_spill_count: 0
    .wavefront_size: 32
  - .args:
      - .offset:         0
        .size:           88
        .value_kind:     by_value
    .group_segment_fixed_size: 0
    .kernarg_segment_align: 8
    .kernarg_segment_size: 88
    .language:       OpenCL C
    .language_version:
      - 2
      - 0
    .max_flat_workgroup_size: 1024
    .name:           _ZN7rocprim17ROCPRIM_400000_NS6detail17trampoline_kernelINS0_14default_configENS1_35radix_sort_onesweep_config_selectorItNS0_10empty_typeEEEZZNS1_29radix_sort_onesweep_iterationIS3_Lb0EPKtPtPS5_SB_mNS0_19identity_decomposerENS1_16block_id_wrapperIjLb1EEEEE10hipError_tT1_PNSt15iterator_traitsISG_E10value_typeET2_T3_PNSH_ISM_E10value_typeET4_T5_PSR_SS_PNS1_23onesweep_lookback_stateEbbT6_jjT7_P12ihipStream_tbENKUlT_T0_SG_SL_E_clISA_SA_SB_SB_EEDaSZ_S10_SG_SL_EUlSZ_E_NS1_11comp_targetILNS1_3genE4ELNS1_11target_archE910ELNS1_3gpuE8ELNS1_3repE0EEENS1_47radix_sort_onesweep_sort_config_static_selectorELNS0_4arch9wavefront6targetE0EEEvSG_
    .private_segment_fixed_size: 0
    .sgpr_count:     0
    .sgpr_spill_count: 0
    .symbol:         _ZN7rocprim17ROCPRIM_400000_NS6detail17trampoline_kernelINS0_14default_configENS1_35radix_sort_onesweep_config_selectorItNS0_10empty_typeEEEZZNS1_29radix_sort_onesweep_iterationIS3_Lb0EPKtPtPS5_SB_mNS0_19identity_decomposerENS1_16block_id_wrapperIjLb1EEEEE10hipError_tT1_PNSt15iterator_traitsISG_E10value_typeET2_T3_PNSH_ISM_E10value_typeET4_T5_PSR_SS_PNS1_23onesweep_lookback_stateEbbT6_jjT7_P12ihipStream_tbENKUlT_T0_SG_SL_E_clISA_SA_SB_SB_EEDaSZ_S10_SG_SL_EUlSZ_E_NS1_11comp_targetILNS1_3genE4ELNS1_11target_archE910ELNS1_3gpuE8ELNS1_3repE0EEENS1_47radix_sort_onesweep_sort_config_static_selectorELNS0_4arch9wavefront6targetE0EEEvSG_.kd
    .uniform_work_group_size: 1
    .uses_dynamic_stack: false
    .vgpr_count:     0
    .vgpr_spill_count: 0
    .wavefront_size: 32
  - .args:
      - .offset:         0
        .size:           88
        .value_kind:     by_value
    .group_segment_fixed_size: 0
    .kernarg_segment_align: 8
    .kernarg_segment_size: 88
    .language:       OpenCL C
    .language_version:
      - 2
      - 0
    .max_flat_workgroup_size: 512
    .name:           _ZN7rocprim17ROCPRIM_400000_NS6detail17trampoline_kernelINS0_14default_configENS1_35radix_sort_onesweep_config_selectorItNS0_10empty_typeEEEZZNS1_29radix_sort_onesweep_iterationIS3_Lb0EPKtPtPS5_SB_mNS0_19identity_decomposerENS1_16block_id_wrapperIjLb1EEEEE10hipError_tT1_PNSt15iterator_traitsISG_E10value_typeET2_T3_PNSH_ISM_E10value_typeET4_T5_PSR_SS_PNS1_23onesweep_lookback_stateEbbT6_jjT7_P12ihipStream_tbENKUlT_T0_SG_SL_E_clISA_SA_SB_SB_EEDaSZ_S10_SG_SL_EUlSZ_E_NS1_11comp_targetILNS1_3genE3ELNS1_11target_archE908ELNS1_3gpuE7ELNS1_3repE0EEENS1_47radix_sort_onesweep_sort_config_static_selectorELNS0_4arch9wavefront6targetE0EEEvSG_
    .private_segment_fixed_size: 0
    .sgpr_count:     0
    .sgpr_spill_count: 0
    .symbol:         _ZN7rocprim17ROCPRIM_400000_NS6detail17trampoline_kernelINS0_14default_configENS1_35radix_sort_onesweep_config_selectorItNS0_10empty_typeEEEZZNS1_29radix_sort_onesweep_iterationIS3_Lb0EPKtPtPS5_SB_mNS0_19identity_decomposerENS1_16block_id_wrapperIjLb1EEEEE10hipError_tT1_PNSt15iterator_traitsISG_E10value_typeET2_T3_PNSH_ISM_E10value_typeET4_T5_PSR_SS_PNS1_23onesweep_lookback_stateEbbT6_jjT7_P12ihipStream_tbENKUlT_T0_SG_SL_E_clISA_SA_SB_SB_EEDaSZ_S10_SG_SL_EUlSZ_E_NS1_11comp_targetILNS1_3genE3ELNS1_11target_archE908ELNS1_3gpuE7ELNS1_3repE0EEENS1_47radix_sort_onesweep_sort_config_static_selectorELNS0_4arch9wavefront6targetE0EEEvSG_.kd
    .uniform_work_group_size: 1
    .uses_dynamic_stack: false
    .vgpr_count:     0
    .vgpr_spill_count: 0
    .wavefront_size: 32
  - .args:
      - .offset:         0
        .size:           88
        .value_kind:     by_value
    .group_segment_fixed_size: 0
    .kernarg_segment_align: 8
    .kernarg_segment_size: 88
    .language:       OpenCL C
    .language_version:
      - 2
      - 0
    .max_flat_workgroup_size: 256
    .name:           _ZN7rocprim17ROCPRIM_400000_NS6detail17trampoline_kernelINS0_14default_configENS1_35radix_sort_onesweep_config_selectorItNS0_10empty_typeEEEZZNS1_29radix_sort_onesweep_iterationIS3_Lb0EPKtPtPS5_SB_mNS0_19identity_decomposerENS1_16block_id_wrapperIjLb1EEEEE10hipError_tT1_PNSt15iterator_traitsISG_E10value_typeET2_T3_PNSH_ISM_E10value_typeET4_T5_PSR_SS_PNS1_23onesweep_lookback_stateEbbT6_jjT7_P12ihipStream_tbENKUlT_T0_SG_SL_E_clISA_SA_SB_SB_EEDaSZ_S10_SG_SL_EUlSZ_E_NS1_11comp_targetILNS1_3genE10ELNS1_11target_archE1201ELNS1_3gpuE5ELNS1_3repE0EEENS1_47radix_sort_onesweep_sort_config_static_selectorELNS0_4arch9wavefront6targetE0EEEvSG_
    .private_segment_fixed_size: 0
    .sgpr_count:     0
    .sgpr_spill_count: 0
    .symbol:         _ZN7rocprim17ROCPRIM_400000_NS6detail17trampoline_kernelINS0_14default_configENS1_35radix_sort_onesweep_config_selectorItNS0_10empty_typeEEEZZNS1_29radix_sort_onesweep_iterationIS3_Lb0EPKtPtPS5_SB_mNS0_19identity_decomposerENS1_16block_id_wrapperIjLb1EEEEE10hipError_tT1_PNSt15iterator_traitsISG_E10value_typeET2_T3_PNSH_ISM_E10value_typeET4_T5_PSR_SS_PNS1_23onesweep_lookback_stateEbbT6_jjT7_P12ihipStream_tbENKUlT_T0_SG_SL_E_clISA_SA_SB_SB_EEDaSZ_S10_SG_SL_EUlSZ_E_NS1_11comp_targetILNS1_3genE10ELNS1_11target_archE1201ELNS1_3gpuE5ELNS1_3repE0EEENS1_47radix_sort_onesweep_sort_config_static_selectorELNS0_4arch9wavefront6targetE0EEEvSG_.kd
    .uniform_work_group_size: 1
    .uses_dynamic_stack: false
    .vgpr_count:     0
    .vgpr_spill_count: 0
    .wavefront_size: 32
  - .args:
      - .offset:         0
        .size:           88
        .value_kind:     by_value
    .group_segment_fixed_size: 0
    .kernarg_segment_align: 8
    .kernarg_segment_size: 88
    .language:       OpenCL C
    .language_version:
      - 2
      - 0
    .max_flat_workgroup_size: 256
    .name:           _ZN7rocprim17ROCPRIM_400000_NS6detail17trampoline_kernelINS0_14default_configENS1_35radix_sort_onesweep_config_selectorItNS0_10empty_typeEEEZZNS1_29radix_sort_onesweep_iterationIS3_Lb0EPKtPtPS5_SB_mNS0_19identity_decomposerENS1_16block_id_wrapperIjLb1EEEEE10hipError_tT1_PNSt15iterator_traitsISG_E10value_typeET2_T3_PNSH_ISM_E10value_typeET4_T5_PSR_SS_PNS1_23onesweep_lookback_stateEbbT6_jjT7_P12ihipStream_tbENKUlT_T0_SG_SL_E_clISA_SA_SB_SB_EEDaSZ_S10_SG_SL_EUlSZ_E_NS1_11comp_targetILNS1_3genE9ELNS1_11target_archE1100ELNS1_3gpuE3ELNS1_3repE0EEENS1_47radix_sort_onesweep_sort_config_static_selectorELNS0_4arch9wavefront6targetE0EEEvSG_
    .private_segment_fixed_size: 0
    .sgpr_count:     0
    .sgpr_spill_count: 0
    .symbol:         _ZN7rocprim17ROCPRIM_400000_NS6detail17trampoline_kernelINS0_14default_configENS1_35radix_sort_onesweep_config_selectorItNS0_10empty_typeEEEZZNS1_29radix_sort_onesweep_iterationIS3_Lb0EPKtPtPS5_SB_mNS0_19identity_decomposerENS1_16block_id_wrapperIjLb1EEEEE10hipError_tT1_PNSt15iterator_traitsISG_E10value_typeET2_T3_PNSH_ISM_E10value_typeET4_T5_PSR_SS_PNS1_23onesweep_lookback_stateEbbT6_jjT7_P12ihipStream_tbENKUlT_T0_SG_SL_E_clISA_SA_SB_SB_EEDaSZ_S10_SG_SL_EUlSZ_E_NS1_11comp_targetILNS1_3genE9ELNS1_11target_archE1100ELNS1_3gpuE3ELNS1_3repE0EEENS1_47radix_sort_onesweep_sort_config_static_selectorELNS0_4arch9wavefront6targetE0EEEvSG_.kd
    .uniform_work_group_size: 1
    .uses_dynamic_stack: false
    .vgpr_count:     0
    .vgpr_spill_count: 0
    .wavefront_size: 32
  - .args:
      - .offset:         0
        .size:           88
        .value_kind:     by_value
    .group_segment_fixed_size: 0
    .kernarg_segment_align: 8
    .kernarg_segment_size: 88
    .language:       OpenCL C
    .language_version:
      - 2
      - 0
    .max_flat_workgroup_size: 256
    .name:           _ZN7rocprim17ROCPRIM_400000_NS6detail17trampoline_kernelINS0_14default_configENS1_35radix_sort_onesweep_config_selectorItNS0_10empty_typeEEEZZNS1_29radix_sort_onesweep_iterationIS3_Lb0EPKtPtPS5_SB_mNS0_19identity_decomposerENS1_16block_id_wrapperIjLb1EEEEE10hipError_tT1_PNSt15iterator_traitsISG_E10value_typeET2_T3_PNSH_ISM_E10value_typeET4_T5_PSR_SS_PNS1_23onesweep_lookback_stateEbbT6_jjT7_P12ihipStream_tbENKUlT_T0_SG_SL_E_clISA_SA_SB_SB_EEDaSZ_S10_SG_SL_EUlSZ_E_NS1_11comp_targetILNS1_3genE8ELNS1_11target_archE1030ELNS1_3gpuE2ELNS1_3repE0EEENS1_47radix_sort_onesweep_sort_config_static_selectorELNS0_4arch9wavefront6targetE0EEEvSG_
    .private_segment_fixed_size: 0
    .sgpr_count:     0
    .sgpr_spill_count: 0
    .symbol:         _ZN7rocprim17ROCPRIM_400000_NS6detail17trampoline_kernelINS0_14default_configENS1_35radix_sort_onesweep_config_selectorItNS0_10empty_typeEEEZZNS1_29radix_sort_onesweep_iterationIS3_Lb0EPKtPtPS5_SB_mNS0_19identity_decomposerENS1_16block_id_wrapperIjLb1EEEEE10hipError_tT1_PNSt15iterator_traitsISG_E10value_typeET2_T3_PNSH_ISM_E10value_typeET4_T5_PSR_SS_PNS1_23onesweep_lookback_stateEbbT6_jjT7_P12ihipStream_tbENKUlT_T0_SG_SL_E_clISA_SA_SB_SB_EEDaSZ_S10_SG_SL_EUlSZ_E_NS1_11comp_targetILNS1_3genE8ELNS1_11target_archE1030ELNS1_3gpuE2ELNS1_3repE0EEENS1_47radix_sort_onesweep_sort_config_static_selectorELNS0_4arch9wavefront6targetE0EEEvSG_.kd
    .uniform_work_group_size: 1
    .uses_dynamic_stack: false
    .vgpr_count:     0
    .vgpr_spill_count: 0
    .wavefront_size: 32
  - .args:
      - .offset:         0
        .size:           88
        .value_kind:     by_value
      - .offset:         88
        .size:           4
        .value_kind:     hidden_block_count_x
      - .offset:         92
        .size:           4
        .value_kind:     hidden_block_count_y
      - .offset:         96
        .size:           4
        .value_kind:     hidden_block_count_z
      - .offset:         100
        .size:           2
        .value_kind:     hidden_group_size_x
      - .offset:         102
        .size:           2
        .value_kind:     hidden_group_size_y
      - .offset:         104
        .size:           2
        .value_kind:     hidden_group_size_z
      - .offset:         106
        .size:           2
        .value_kind:     hidden_remainder_x
      - .offset:         108
        .size:           2
        .value_kind:     hidden_remainder_y
      - .offset:         110
        .size:           2
        .value_kind:     hidden_remainder_z
      - .offset:         128
        .size:           8
        .value_kind:     hidden_global_offset_x
      - .offset:         136
        .size:           8
        .value_kind:     hidden_global_offset_y
      - .offset:         144
        .size:           8
        .value_kind:     hidden_global_offset_z
      - .offset:         152
        .size:           2
        .value_kind:     hidden_grid_dims
    .group_segment_fixed_size: 18504
    .kernarg_segment_align: 8
    .kernarg_segment_size: 344
    .language:       OpenCL C
    .language_version:
      - 2
      - 0
    .max_flat_workgroup_size: 512
    .name:           _ZN7rocprim17ROCPRIM_400000_NS6detail17trampoline_kernelINS0_14default_configENS1_35radix_sort_onesweep_config_selectorItNS0_10empty_typeEEEZZNS1_29radix_sort_onesweep_iterationIS3_Lb0EPKtPtPS5_SB_mNS0_19identity_decomposerENS1_16block_id_wrapperIjLb0EEEEE10hipError_tT1_PNSt15iterator_traitsISG_E10value_typeET2_T3_PNSH_ISM_E10value_typeET4_T5_PSR_SS_PNS1_23onesweep_lookback_stateEbbT6_jjT7_P12ihipStream_tbENKUlT_T0_SG_SL_E_clIS9_SA_SB_SB_EEDaSZ_S10_SG_SL_EUlSZ_E_NS1_11comp_targetILNS1_3genE0ELNS1_11target_archE4294967295ELNS1_3gpuE0ELNS1_3repE0EEENS1_47radix_sort_onesweep_sort_config_static_selectorELNS0_4arch9wavefront6targetE0EEEvSG_
    .private_segment_fixed_size: 0
    .sgpr_count:     31
    .sgpr_spill_count: 0
    .symbol:         _ZN7rocprim17ROCPRIM_400000_NS6detail17trampoline_kernelINS0_14default_configENS1_35radix_sort_onesweep_config_selectorItNS0_10empty_typeEEEZZNS1_29radix_sort_onesweep_iterationIS3_Lb0EPKtPtPS5_SB_mNS0_19identity_decomposerENS1_16block_id_wrapperIjLb0EEEEE10hipError_tT1_PNSt15iterator_traitsISG_E10value_typeET2_T3_PNSH_ISM_E10value_typeET4_T5_PSR_SS_PNS1_23onesweep_lookback_stateEbbT6_jjT7_P12ihipStream_tbENKUlT_T0_SG_SL_E_clIS9_SA_SB_SB_EEDaSZ_S10_SG_SL_EUlSZ_E_NS1_11comp_targetILNS1_3genE0ELNS1_11target_archE4294967295ELNS1_3gpuE0ELNS1_3repE0EEENS1_47radix_sort_onesweep_sort_config_static_selectorELNS0_4arch9wavefront6targetE0EEEvSG_.kd
    .uniform_work_group_size: 1
    .uses_dynamic_stack: false
    .vgpr_count:     65
    .vgpr_spill_count: 0
    .wavefront_size: 32
  - .args:
      - .offset:         0
        .size:           88
        .value_kind:     by_value
    .group_segment_fixed_size: 0
    .kernarg_segment_align: 8
    .kernarg_segment_size: 88
    .language:       OpenCL C
    .language_version:
      - 2
      - 0
    .max_flat_workgroup_size: 1024
    .name:           _ZN7rocprim17ROCPRIM_400000_NS6detail17trampoline_kernelINS0_14default_configENS1_35radix_sort_onesweep_config_selectorItNS0_10empty_typeEEEZZNS1_29radix_sort_onesweep_iterationIS3_Lb0EPKtPtPS5_SB_mNS0_19identity_decomposerENS1_16block_id_wrapperIjLb0EEEEE10hipError_tT1_PNSt15iterator_traitsISG_E10value_typeET2_T3_PNSH_ISM_E10value_typeET4_T5_PSR_SS_PNS1_23onesweep_lookback_stateEbbT6_jjT7_P12ihipStream_tbENKUlT_T0_SG_SL_E_clIS9_SA_SB_SB_EEDaSZ_S10_SG_SL_EUlSZ_E_NS1_11comp_targetILNS1_3genE6ELNS1_11target_archE950ELNS1_3gpuE13ELNS1_3repE0EEENS1_47radix_sort_onesweep_sort_config_static_selectorELNS0_4arch9wavefront6targetE0EEEvSG_
    .private_segment_fixed_size: 0
    .sgpr_count:     0
    .sgpr_spill_count: 0
    .symbol:         _ZN7rocprim17ROCPRIM_400000_NS6detail17trampoline_kernelINS0_14default_configENS1_35radix_sort_onesweep_config_selectorItNS0_10empty_typeEEEZZNS1_29radix_sort_onesweep_iterationIS3_Lb0EPKtPtPS5_SB_mNS0_19identity_decomposerENS1_16block_id_wrapperIjLb0EEEEE10hipError_tT1_PNSt15iterator_traitsISG_E10value_typeET2_T3_PNSH_ISM_E10value_typeET4_T5_PSR_SS_PNS1_23onesweep_lookback_stateEbbT6_jjT7_P12ihipStream_tbENKUlT_T0_SG_SL_E_clIS9_SA_SB_SB_EEDaSZ_S10_SG_SL_EUlSZ_E_NS1_11comp_targetILNS1_3genE6ELNS1_11target_archE950ELNS1_3gpuE13ELNS1_3repE0EEENS1_47radix_sort_onesweep_sort_config_static_selectorELNS0_4arch9wavefront6targetE0EEEvSG_.kd
    .uniform_work_group_size: 1
    .uses_dynamic_stack: false
    .vgpr_count:     0
    .vgpr_spill_count: 0
    .wavefront_size: 32
  - .args:
      - .offset:         0
        .size:           88
        .value_kind:     by_value
    .group_segment_fixed_size: 0
    .kernarg_segment_align: 8
    .kernarg_segment_size: 88
    .language:       OpenCL C
    .language_version:
      - 2
      - 0
    .max_flat_workgroup_size: 1024
    .name:           _ZN7rocprim17ROCPRIM_400000_NS6detail17trampoline_kernelINS0_14default_configENS1_35radix_sort_onesweep_config_selectorItNS0_10empty_typeEEEZZNS1_29radix_sort_onesweep_iterationIS3_Lb0EPKtPtPS5_SB_mNS0_19identity_decomposerENS1_16block_id_wrapperIjLb0EEEEE10hipError_tT1_PNSt15iterator_traitsISG_E10value_typeET2_T3_PNSH_ISM_E10value_typeET4_T5_PSR_SS_PNS1_23onesweep_lookback_stateEbbT6_jjT7_P12ihipStream_tbENKUlT_T0_SG_SL_E_clIS9_SA_SB_SB_EEDaSZ_S10_SG_SL_EUlSZ_E_NS1_11comp_targetILNS1_3genE5ELNS1_11target_archE942ELNS1_3gpuE9ELNS1_3repE0EEENS1_47radix_sort_onesweep_sort_config_static_selectorELNS0_4arch9wavefront6targetE0EEEvSG_
    .private_segment_fixed_size: 0
    .sgpr_count:     0
    .sgpr_spill_count: 0
    .symbol:         _ZN7rocprim17ROCPRIM_400000_NS6detail17trampoline_kernelINS0_14default_configENS1_35radix_sort_onesweep_config_selectorItNS0_10empty_typeEEEZZNS1_29radix_sort_onesweep_iterationIS3_Lb0EPKtPtPS5_SB_mNS0_19identity_decomposerENS1_16block_id_wrapperIjLb0EEEEE10hipError_tT1_PNSt15iterator_traitsISG_E10value_typeET2_T3_PNSH_ISM_E10value_typeET4_T5_PSR_SS_PNS1_23onesweep_lookback_stateEbbT6_jjT7_P12ihipStream_tbENKUlT_T0_SG_SL_E_clIS9_SA_SB_SB_EEDaSZ_S10_SG_SL_EUlSZ_E_NS1_11comp_targetILNS1_3genE5ELNS1_11target_archE942ELNS1_3gpuE9ELNS1_3repE0EEENS1_47radix_sort_onesweep_sort_config_static_selectorELNS0_4arch9wavefront6targetE0EEEvSG_.kd
    .uniform_work_group_size: 1
    .uses_dynamic_stack: false
    .vgpr_count:     0
    .vgpr_spill_count: 0
    .wavefront_size: 32
  - .args:
      - .offset:         0
        .size:           88
        .value_kind:     by_value
    .group_segment_fixed_size: 0
    .kernarg_segment_align: 8
    .kernarg_segment_size: 88
    .language:       OpenCL C
    .language_version:
      - 2
      - 0
    .max_flat_workgroup_size: 512
    .name:           _ZN7rocprim17ROCPRIM_400000_NS6detail17trampoline_kernelINS0_14default_configENS1_35radix_sort_onesweep_config_selectorItNS0_10empty_typeEEEZZNS1_29radix_sort_onesweep_iterationIS3_Lb0EPKtPtPS5_SB_mNS0_19identity_decomposerENS1_16block_id_wrapperIjLb0EEEEE10hipError_tT1_PNSt15iterator_traitsISG_E10value_typeET2_T3_PNSH_ISM_E10value_typeET4_T5_PSR_SS_PNS1_23onesweep_lookback_stateEbbT6_jjT7_P12ihipStream_tbENKUlT_T0_SG_SL_E_clIS9_SA_SB_SB_EEDaSZ_S10_SG_SL_EUlSZ_E_NS1_11comp_targetILNS1_3genE2ELNS1_11target_archE906ELNS1_3gpuE6ELNS1_3repE0EEENS1_47radix_sort_onesweep_sort_config_static_selectorELNS0_4arch9wavefront6targetE0EEEvSG_
    .private_segment_fixed_size: 0
    .sgpr_count:     0
    .sgpr_spill_count: 0
    .symbol:         _ZN7rocprim17ROCPRIM_400000_NS6detail17trampoline_kernelINS0_14default_configENS1_35radix_sort_onesweep_config_selectorItNS0_10empty_typeEEEZZNS1_29radix_sort_onesweep_iterationIS3_Lb0EPKtPtPS5_SB_mNS0_19identity_decomposerENS1_16block_id_wrapperIjLb0EEEEE10hipError_tT1_PNSt15iterator_traitsISG_E10value_typeET2_T3_PNSH_ISM_E10value_typeET4_T5_PSR_SS_PNS1_23onesweep_lookback_stateEbbT6_jjT7_P12ihipStream_tbENKUlT_T0_SG_SL_E_clIS9_SA_SB_SB_EEDaSZ_S10_SG_SL_EUlSZ_E_NS1_11comp_targetILNS1_3genE2ELNS1_11target_archE906ELNS1_3gpuE6ELNS1_3repE0EEENS1_47radix_sort_onesweep_sort_config_static_selectorELNS0_4arch9wavefront6targetE0EEEvSG_.kd
    .uniform_work_group_size: 1
    .uses_dynamic_stack: false
    .vgpr_count:     0
    .vgpr_spill_count: 0
    .wavefront_size: 32
  - .args:
      - .offset:         0
        .size:           88
        .value_kind:     by_value
    .group_segment_fixed_size: 0
    .kernarg_segment_align: 8
    .kernarg_segment_size: 88
    .language:       OpenCL C
    .language_version:
      - 2
      - 0
    .max_flat_workgroup_size: 1024
    .name:           _ZN7rocprim17ROCPRIM_400000_NS6detail17trampoline_kernelINS0_14default_configENS1_35radix_sort_onesweep_config_selectorItNS0_10empty_typeEEEZZNS1_29radix_sort_onesweep_iterationIS3_Lb0EPKtPtPS5_SB_mNS0_19identity_decomposerENS1_16block_id_wrapperIjLb0EEEEE10hipError_tT1_PNSt15iterator_traitsISG_E10value_typeET2_T3_PNSH_ISM_E10value_typeET4_T5_PSR_SS_PNS1_23onesweep_lookback_stateEbbT6_jjT7_P12ihipStream_tbENKUlT_T0_SG_SL_E_clIS9_SA_SB_SB_EEDaSZ_S10_SG_SL_EUlSZ_E_NS1_11comp_targetILNS1_3genE4ELNS1_11target_archE910ELNS1_3gpuE8ELNS1_3repE0EEENS1_47radix_sort_onesweep_sort_config_static_selectorELNS0_4arch9wavefront6targetE0EEEvSG_
    .private_segment_fixed_size: 0
    .sgpr_count:     0
    .sgpr_spill_count: 0
    .symbol:         _ZN7rocprim17ROCPRIM_400000_NS6detail17trampoline_kernelINS0_14default_configENS1_35radix_sort_onesweep_config_selectorItNS0_10empty_typeEEEZZNS1_29radix_sort_onesweep_iterationIS3_Lb0EPKtPtPS5_SB_mNS0_19identity_decomposerENS1_16block_id_wrapperIjLb0EEEEE10hipError_tT1_PNSt15iterator_traitsISG_E10value_typeET2_T3_PNSH_ISM_E10value_typeET4_T5_PSR_SS_PNS1_23onesweep_lookback_stateEbbT6_jjT7_P12ihipStream_tbENKUlT_T0_SG_SL_E_clIS9_SA_SB_SB_EEDaSZ_S10_SG_SL_EUlSZ_E_NS1_11comp_targetILNS1_3genE4ELNS1_11target_archE910ELNS1_3gpuE8ELNS1_3repE0EEENS1_47radix_sort_onesweep_sort_config_static_selectorELNS0_4arch9wavefront6targetE0EEEvSG_.kd
    .uniform_work_group_size: 1
    .uses_dynamic_stack: false
    .vgpr_count:     0
    .vgpr_spill_count: 0
    .wavefront_size: 32
  - .args:
      - .offset:         0
        .size:           88
        .value_kind:     by_value
    .group_segment_fixed_size: 0
    .kernarg_segment_align: 8
    .kernarg_segment_size: 88
    .language:       OpenCL C
    .language_version:
      - 2
      - 0
    .max_flat_workgroup_size: 512
    .name:           _ZN7rocprim17ROCPRIM_400000_NS6detail17trampoline_kernelINS0_14default_configENS1_35radix_sort_onesweep_config_selectorItNS0_10empty_typeEEEZZNS1_29radix_sort_onesweep_iterationIS3_Lb0EPKtPtPS5_SB_mNS0_19identity_decomposerENS1_16block_id_wrapperIjLb0EEEEE10hipError_tT1_PNSt15iterator_traitsISG_E10value_typeET2_T3_PNSH_ISM_E10value_typeET4_T5_PSR_SS_PNS1_23onesweep_lookback_stateEbbT6_jjT7_P12ihipStream_tbENKUlT_T0_SG_SL_E_clIS9_SA_SB_SB_EEDaSZ_S10_SG_SL_EUlSZ_E_NS1_11comp_targetILNS1_3genE3ELNS1_11target_archE908ELNS1_3gpuE7ELNS1_3repE0EEENS1_47radix_sort_onesweep_sort_config_static_selectorELNS0_4arch9wavefront6targetE0EEEvSG_
    .private_segment_fixed_size: 0
    .sgpr_count:     0
    .sgpr_spill_count: 0
    .symbol:         _ZN7rocprim17ROCPRIM_400000_NS6detail17trampoline_kernelINS0_14default_configENS1_35radix_sort_onesweep_config_selectorItNS0_10empty_typeEEEZZNS1_29radix_sort_onesweep_iterationIS3_Lb0EPKtPtPS5_SB_mNS0_19identity_decomposerENS1_16block_id_wrapperIjLb0EEEEE10hipError_tT1_PNSt15iterator_traitsISG_E10value_typeET2_T3_PNSH_ISM_E10value_typeET4_T5_PSR_SS_PNS1_23onesweep_lookback_stateEbbT6_jjT7_P12ihipStream_tbENKUlT_T0_SG_SL_E_clIS9_SA_SB_SB_EEDaSZ_S10_SG_SL_EUlSZ_E_NS1_11comp_targetILNS1_3genE3ELNS1_11target_archE908ELNS1_3gpuE7ELNS1_3repE0EEENS1_47radix_sort_onesweep_sort_config_static_selectorELNS0_4arch9wavefront6targetE0EEEvSG_.kd
    .uniform_work_group_size: 1
    .uses_dynamic_stack: false
    .vgpr_count:     0
    .vgpr_spill_count: 0
    .wavefront_size: 32
  - .args:
      - .offset:         0
        .size:           88
        .value_kind:     by_value
    .group_segment_fixed_size: 0
    .kernarg_segment_align: 8
    .kernarg_segment_size: 88
    .language:       OpenCL C
    .language_version:
      - 2
      - 0
    .max_flat_workgroup_size: 256
    .name:           _ZN7rocprim17ROCPRIM_400000_NS6detail17trampoline_kernelINS0_14default_configENS1_35radix_sort_onesweep_config_selectorItNS0_10empty_typeEEEZZNS1_29radix_sort_onesweep_iterationIS3_Lb0EPKtPtPS5_SB_mNS0_19identity_decomposerENS1_16block_id_wrapperIjLb0EEEEE10hipError_tT1_PNSt15iterator_traitsISG_E10value_typeET2_T3_PNSH_ISM_E10value_typeET4_T5_PSR_SS_PNS1_23onesweep_lookback_stateEbbT6_jjT7_P12ihipStream_tbENKUlT_T0_SG_SL_E_clIS9_SA_SB_SB_EEDaSZ_S10_SG_SL_EUlSZ_E_NS1_11comp_targetILNS1_3genE10ELNS1_11target_archE1201ELNS1_3gpuE5ELNS1_3repE0EEENS1_47radix_sort_onesweep_sort_config_static_selectorELNS0_4arch9wavefront6targetE0EEEvSG_
    .private_segment_fixed_size: 0
    .sgpr_count:     0
    .sgpr_spill_count: 0
    .symbol:         _ZN7rocprim17ROCPRIM_400000_NS6detail17trampoline_kernelINS0_14default_configENS1_35radix_sort_onesweep_config_selectorItNS0_10empty_typeEEEZZNS1_29radix_sort_onesweep_iterationIS3_Lb0EPKtPtPS5_SB_mNS0_19identity_decomposerENS1_16block_id_wrapperIjLb0EEEEE10hipError_tT1_PNSt15iterator_traitsISG_E10value_typeET2_T3_PNSH_ISM_E10value_typeET4_T5_PSR_SS_PNS1_23onesweep_lookback_stateEbbT6_jjT7_P12ihipStream_tbENKUlT_T0_SG_SL_E_clIS9_SA_SB_SB_EEDaSZ_S10_SG_SL_EUlSZ_E_NS1_11comp_targetILNS1_3genE10ELNS1_11target_archE1201ELNS1_3gpuE5ELNS1_3repE0EEENS1_47radix_sort_onesweep_sort_config_static_selectorELNS0_4arch9wavefront6targetE0EEEvSG_.kd
    .uniform_work_group_size: 1
    .uses_dynamic_stack: false
    .vgpr_count:     0
    .vgpr_spill_count: 0
    .wavefront_size: 32
  - .args:
      - .offset:         0
        .size:           88
        .value_kind:     by_value
    .group_segment_fixed_size: 0
    .kernarg_segment_align: 8
    .kernarg_segment_size: 88
    .language:       OpenCL C
    .language_version:
      - 2
      - 0
    .max_flat_workgroup_size: 256
    .name:           _ZN7rocprim17ROCPRIM_400000_NS6detail17trampoline_kernelINS0_14default_configENS1_35radix_sort_onesweep_config_selectorItNS0_10empty_typeEEEZZNS1_29radix_sort_onesweep_iterationIS3_Lb0EPKtPtPS5_SB_mNS0_19identity_decomposerENS1_16block_id_wrapperIjLb0EEEEE10hipError_tT1_PNSt15iterator_traitsISG_E10value_typeET2_T3_PNSH_ISM_E10value_typeET4_T5_PSR_SS_PNS1_23onesweep_lookback_stateEbbT6_jjT7_P12ihipStream_tbENKUlT_T0_SG_SL_E_clIS9_SA_SB_SB_EEDaSZ_S10_SG_SL_EUlSZ_E_NS1_11comp_targetILNS1_3genE9ELNS1_11target_archE1100ELNS1_3gpuE3ELNS1_3repE0EEENS1_47radix_sort_onesweep_sort_config_static_selectorELNS0_4arch9wavefront6targetE0EEEvSG_
    .private_segment_fixed_size: 0
    .sgpr_count:     0
    .sgpr_spill_count: 0
    .symbol:         _ZN7rocprim17ROCPRIM_400000_NS6detail17trampoline_kernelINS0_14default_configENS1_35radix_sort_onesweep_config_selectorItNS0_10empty_typeEEEZZNS1_29radix_sort_onesweep_iterationIS3_Lb0EPKtPtPS5_SB_mNS0_19identity_decomposerENS1_16block_id_wrapperIjLb0EEEEE10hipError_tT1_PNSt15iterator_traitsISG_E10value_typeET2_T3_PNSH_ISM_E10value_typeET4_T5_PSR_SS_PNS1_23onesweep_lookback_stateEbbT6_jjT7_P12ihipStream_tbENKUlT_T0_SG_SL_E_clIS9_SA_SB_SB_EEDaSZ_S10_SG_SL_EUlSZ_E_NS1_11comp_targetILNS1_3genE9ELNS1_11target_archE1100ELNS1_3gpuE3ELNS1_3repE0EEENS1_47radix_sort_onesweep_sort_config_static_selectorELNS0_4arch9wavefront6targetE0EEEvSG_.kd
    .uniform_work_group_size: 1
    .uses_dynamic_stack: false
    .vgpr_count:     0
    .vgpr_spill_count: 0
    .wavefront_size: 32
  - .args:
      - .offset:         0
        .size:           88
        .value_kind:     by_value
    .group_segment_fixed_size: 0
    .kernarg_segment_align: 8
    .kernarg_segment_size: 88
    .language:       OpenCL C
    .language_version:
      - 2
      - 0
    .max_flat_workgroup_size: 256
    .name:           _ZN7rocprim17ROCPRIM_400000_NS6detail17trampoline_kernelINS0_14default_configENS1_35radix_sort_onesweep_config_selectorItNS0_10empty_typeEEEZZNS1_29radix_sort_onesweep_iterationIS3_Lb0EPKtPtPS5_SB_mNS0_19identity_decomposerENS1_16block_id_wrapperIjLb0EEEEE10hipError_tT1_PNSt15iterator_traitsISG_E10value_typeET2_T3_PNSH_ISM_E10value_typeET4_T5_PSR_SS_PNS1_23onesweep_lookback_stateEbbT6_jjT7_P12ihipStream_tbENKUlT_T0_SG_SL_E_clIS9_SA_SB_SB_EEDaSZ_S10_SG_SL_EUlSZ_E_NS1_11comp_targetILNS1_3genE8ELNS1_11target_archE1030ELNS1_3gpuE2ELNS1_3repE0EEENS1_47radix_sort_onesweep_sort_config_static_selectorELNS0_4arch9wavefront6targetE0EEEvSG_
    .private_segment_fixed_size: 0
    .sgpr_count:     0
    .sgpr_spill_count: 0
    .symbol:         _ZN7rocprim17ROCPRIM_400000_NS6detail17trampoline_kernelINS0_14default_configENS1_35radix_sort_onesweep_config_selectorItNS0_10empty_typeEEEZZNS1_29radix_sort_onesweep_iterationIS3_Lb0EPKtPtPS5_SB_mNS0_19identity_decomposerENS1_16block_id_wrapperIjLb0EEEEE10hipError_tT1_PNSt15iterator_traitsISG_E10value_typeET2_T3_PNSH_ISM_E10value_typeET4_T5_PSR_SS_PNS1_23onesweep_lookback_stateEbbT6_jjT7_P12ihipStream_tbENKUlT_T0_SG_SL_E_clIS9_SA_SB_SB_EEDaSZ_S10_SG_SL_EUlSZ_E_NS1_11comp_targetILNS1_3genE8ELNS1_11target_archE1030ELNS1_3gpuE2ELNS1_3repE0EEENS1_47radix_sort_onesweep_sort_config_static_selectorELNS0_4arch9wavefront6targetE0EEEvSG_.kd
    .uniform_work_group_size: 1
    .uses_dynamic_stack: false
    .vgpr_count:     0
    .vgpr_spill_count: 0
    .wavefront_size: 32
  - .args:
      - .offset:         0
        .size:           88
        .value_kind:     by_value
      - .offset:         88
        .size:           4
        .value_kind:     hidden_block_count_x
      - .offset:         92
        .size:           4
        .value_kind:     hidden_block_count_y
      - .offset:         96
        .size:           4
        .value_kind:     hidden_block_count_z
      - .offset:         100
        .size:           2
        .value_kind:     hidden_group_size_x
      - .offset:         102
        .size:           2
        .value_kind:     hidden_group_size_y
      - .offset:         104
        .size:           2
        .value_kind:     hidden_group_size_z
      - .offset:         106
        .size:           2
        .value_kind:     hidden_remainder_x
      - .offset:         108
        .size:           2
        .value_kind:     hidden_remainder_y
      - .offset:         110
        .size:           2
        .value_kind:     hidden_remainder_z
      - .offset:         128
        .size:           8
        .value_kind:     hidden_global_offset_x
      - .offset:         136
        .size:           8
        .value_kind:     hidden_global_offset_y
      - .offset:         144
        .size:           8
        .value_kind:     hidden_global_offset_z
      - .offset:         152
        .size:           2
        .value_kind:     hidden_grid_dims
    .group_segment_fixed_size: 18504
    .kernarg_segment_align: 8
    .kernarg_segment_size: 344
    .language:       OpenCL C
    .language_version:
      - 2
      - 0
    .max_flat_workgroup_size: 512
    .name:           _ZN7rocprim17ROCPRIM_400000_NS6detail17trampoline_kernelINS0_14default_configENS1_35radix_sort_onesweep_config_selectorItNS0_10empty_typeEEEZZNS1_29radix_sort_onesweep_iterationIS3_Lb0EPKtPtPS5_SB_mNS0_19identity_decomposerENS1_16block_id_wrapperIjLb0EEEEE10hipError_tT1_PNSt15iterator_traitsISG_E10value_typeET2_T3_PNSH_ISM_E10value_typeET4_T5_PSR_SS_PNS1_23onesweep_lookback_stateEbbT6_jjT7_P12ihipStream_tbENKUlT_T0_SG_SL_E_clISA_SA_SB_SB_EEDaSZ_S10_SG_SL_EUlSZ_E_NS1_11comp_targetILNS1_3genE0ELNS1_11target_archE4294967295ELNS1_3gpuE0ELNS1_3repE0EEENS1_47radix_sort_onesweep_sort_config_static_selectorELNS0_4arch9wavefront6targetE0EEEvSG_
    .private_segment_fixed_size: 0
    .sgpr_count:     31
    .sgpr_spill_count: 0
    .symbol:         _ZN7rocprim17ROCPRIM_400000_NS6detail17trampoline_kernelINS0_14default_configENS1_35radix_sort_onesweep_config_selectorItNS0_10empty_typeEEEZZNS1_29radix_sort_onesweep_iterationIS3_Lb0EPKtPtPS5_SB_mNS0_19identity_decomposerENS1_16block_id_wrapperIjLb0EEEEE10hipError_tT1_PNSt15iterator_traitsISG_E10value_typeET2_T3_PNSH_ISM_E10value_typeET4_T5_PSR_SS_PNS1_23onesweep_lookback_stateEbbT6_jjT7_P12ihipStream_tbENKUlT_T0_SG_SL_E_clISA_SA_SB_SB_EEDaSZ_S10_SG_SL_EUlSZ_E_NS1_11comp_targetILNS1_3genE0ELNS1_11target_archE4294967295ELNS1_3gpuE0ELNS1_3repE0EEENS1_47radix_sort_onesweep_sort_config_static_selectorELNS0_4arch9wavefront6targetE0EEEvSG_.kd
    .uniform_work_group_size: 1
    .uses_dynamic_stack: false
    .vgpr_count:     65
    .vgpr_spill_count: 0
    .wavefront_size: 32
  - .args:
      - .offset:         0
        .size:           88
        .value_kind:     by_value
    .group_segment_fixed_size: 0
    .kernarg_segment_align: 8
    .kernarg_segment_size: 88
    .language:       OpenCL C
    .language_version:
      - 2
      - 0
    .max_flat_workgroup_size: 1024
    .name:           _ZN7rocprim17ROCPRIM_400000_NS6detail17trampoline_kernelINS0_14default_configENS1_35radix_sort_onesweep_config_selectorItNS0_10empty_typeEEEZZNS1_29radix_sort_onesweep_iterationIS3_Lb0EPKtPtPS5_SB_mNS0_19identity_decomposerENS1_16block_id_wrapperIjLb0EEEEE10hipError_tT1_PNSt15iterator_traitsISG_E10value_typeET2_T3_PNSH_ISM_E10value_typeET4_T5_PSR_SS_PNS1_23onesweep_lookback_stateEbbT6_jjT7_P12ihipStream_tbENKUlT_T0_SG_SL_E_clISA_SA_SB_SB_EEDaSZ_S10_SG_SL_EUlSZ_E_NS1_11comp_targetILNS1_3genE6ELNS1_11target_archE950ELNS1_3gpuE13ELNS1_3repE0EEENS1_47radix_sort_onesweep_sort_config_static_selectorELNS0_4arch9wavefront6targetE0EEEvSG_
    .private_segment_fixed_size: 0
    .sgpr_count:     0
    .sgpr_spill_count: 0
    .symbol:         _ZN7rocprim17ROCPRIM_400000_NS6detail17trampoline_kernelINS0_14default_configENS1_35radix_sort_onesweep_config_selectorItNS0_10empty_typeEEEZZNS1_29radix_sort_onesweep_iterationIS3_Lb0EPKtPtPS5_SB_mNS0_19identity_decomposerENS1_16block_id_wrapperIjLb0EEEEE10hipError_tT1_PNSt15iterator_traitsISG_E10value_typeET2_T3_PNSH_ISM_E10value_typeET4_T5_PSR_SS_PNS1_23onesweep_lookback_stateEbbT6_jjT7_P12ihipStream_tbENKUlT_T0_SG_SL_E_clISA_SA_SB_SB_EEDaSZ_S10_SG_SL_EUlSZ_E_NS1_11comp_targetILNS1_3genE6ELNS1_11target_archE950ELNS1_3gpuE13ELNS1_3repE0EEENS1_47radix_sort_onesweep_sort_config_static_selectorELNS0_4arch9wavefront6targetE0EEEvSG_.kd
    .uniform_work_group_size: 1
    .uses_dynamic_stack: false
    .vgpr_count:     0
    .vgpr_spill_count: 0
    .wavefront_size: 32
  - .args:
      - .offset:         0
        .size:           88
        .value_kind:     by_value
    .group_segment_fixed_size: 0
    .kernarg_segment_align: 8
    .kernarg_segment_size: 88
    .language:       OpenCL C
    .language_version:
      - 2
      - 0
    .max_flat_workgroup_size: 1024
    .name:           _ZN7rocprim17ROCPRIM_400000_NS6detail17trampoline_kernelINS0_14default_configENS1_35radix_sort_onesweep_config_selectorItNS0_10empty_typeEEEZZNS1_29radix_sort_onesweep_iterationIS3_Lb0EPKtPtPS5_SB_mNS0_19identity_decomposerENS1_16block_id_wrapperIjLb0EEEEE10hipError_tT1_PNSt15iterator_traitsISG_E10value_typeET2_T3_PNSH_ISM_E10value_typeET4_T5_PSR_SS_PNS1_23onesweep_lookback_stateEbbT6_jjT7_P12ihipStream_tbENKUlT_T0_SG_SL_E_clISA_SA_SB_SB_EEDaSZ_S10_SG_SL_EUlSZ_E_NS1_11comp_targetILNS1_3genE5ELNS1_11target_archE942ELNS1_3gpuE9ELNS1_3repE0EEENS1_47radix_sort_onesweep_sort_config_static_selectorELNS0_4arch9wavefront6targetE0EEEvSG_
    .private_segment_fixed_size: 0
    .sgpr_count:     0
    .sgpr_spill_count: 0
    .symbol:         _ZN7rocprim17ROCPRIM_400000_NS6detail17trampoline_kernelINS0_14default_configENS1_35radix_sort_onesweep_config_selectorItNS0_10empty_typeEEEZZNS1_29radix_sort_onesweep_iterationIS3_Lb0EPKtPtPS5_SB_mNS0_19identity_decomposerENS1_16block_id_wrapperIjLb0EEEEE10hipError_tT1_PNSt15iterator_traitsISG_E10value_typeET2_T3_PNSH_ISM_E10value_typeET4_T5_PSR_SS_PNS1_23onesweep_lookback_stateEbbT6_jjT7_P12ihipStream_tbENKUlT_T0_SG_SL_E_clISA_SA_SB_SB_EEDaSZ_S10_SG_SL_EUlSZ_E_NS1_11comp_targetILNS1_3genE5ELNS1_11target_archE942ELNS1_3gpuE9ELNS1_3repE0EEENS1_47radix_sort_onesweep_sort_config_static_selectorELNS0_4arch9wavefront6targetE0EEEvSG_.kd
    .uniform_work_group_size: 1
    .uses_dynamic_stack: false
    .vgpr_count:     0
    .vgpr_spill_count: 0
    .wavefront_size: 32
  - .args:
      - .offset:         0
        .size:           88
        .value_kind:     by_value
    .group_segment_fixed_size: 0
    .kernarg_segment_align: 8
    .kernarg_segment_size: 88
    .language:       OpenCL C
    .language_version:
      - 2
      - 0
    .max_flat_workgroup_size: 512
    .name:           _ZN7rocprim17ROCPRIM_400000_NS6detail17trampoline_kernelINS0_14default_configENS1_35radix_sort_onesweep_config_selectorItNS0_10empty_typeEEEZZNS1_29radix_sort_onesweep_iterationIS3_Lb0EPKtPtPS5_SB_mNS0_19identity_decomposerENS1_16block_id_wrapperIjLb0EEEEE10hipError_tT1_PNSt15iterator_traitsISG_E10value_typeET2_T3_PNSH_ISM_E10value_typeET4_T5_PSR_SS_PNS1_23onesweep_lookback_stateEbbT6_jjT7_P12ihipStream_tbENKUlT_T0_SG_SL_E_clISA_SA_SB_SB_EEDaSZ_S10_SG_SL_EUlSZ_E_NS1_11comp_targetILNS1_3genE2ELNS1_11target_archE906ELNS1_3gpuE6ELNS1_3repE0EEENS1_47radix_sort_onesweep_sort_config_static_selectorELNS0_4arch9wavefront6targetE0EEEvSG_
    .private_segment_fixed_size: 0
    .sgpr_count:     0
    .sgpr_spill_count: 0
    .symbol:         _ZN7rocprim17ROCPRIM_400000_NS6detail17trampoline_kernelINS0_14default_configENS1_35radix_sort_onesweep_config_selectorItNS0_10empty_typeEEEZZNS1_29radix_sort_onesweep_iterationIS3_Lb0EPKtPtPS5_SB_mNS0_19identity_decomposerENS1_16block_id_wrapperIjLb0EEEEE10hipError_tT1_PNSt15iterator_traitsISG_E10value_typeET2_T3_PNSH_ISM_E10value_typeET4_T5_PSR_SS_PNS1_23onesweep_lookback_stateEbbT6_jjT7_P12ihipStream_tbENKUlT_T0_SG_SL_E_clISA_SA_SB_SB_EEDaSZ_S10_SG_SL_EUlSZ_E_NS1_11comp_targetILNS1_3genE2ELNS1_11target_archE906ELNS1_3gpuE6ELNS1_3repE0EEENS1_47radix_sort_onesweep_sort_config_static_selectorELNS0_4arch9wavefront6targetE0EEEvSG_.kd
    .uniform_work_group_size: 1
    .uses_dynamic_stack: false
    .vgpr_count:     0
    .vgpr_spill_count: 0
    .wavefront_size: 32
  - .args:
      - .offset:         0
        .size:           88
        .value_kind:     by_value
    .group_segment_fixed_size: 0
    .kernarg_segment_align: 8
    .kernarg_segment_size: 88
    .language:       OpenCL C
    .language_version:
      - 2
      - 0
    .max_flat_workgroup_size: 1024
    .name:           _ZN7rocprim17ROCPRIM_400000_NS6detail17trampoline_kernelINS0_14default_configENS1_35radix_sort_onesweep_config_selectorItNS0_10empty_typeEEEZZNS1_29radix_sort_onesweep_iterationIS3_Lb0EPKtPtPS5_SB_mNS0_19identity_decomposerENS1_16block_id_wrapperIjLb0EEEEE10hipError_tT1_PNSt15iterator_traitsISG_E10value_typeET2_T3_PNSH_ISM_E10value_typeET4_T5_PSR_SS_PNS1_23onesweep_lookback_stateEbbT6_jjT7_P12ihipStream_tbENKUlT_T0_SG_SL_E_clISA_SA_SB_SB_EEDaSZ_S10_SG_SL_EUlSZ_E_NS1_11comp_targetILNS1_3genE4ELNS1_11target_archE910ELNS1_3gpuE8ELNS1_3repE0EEENS1_47radix_sort_onesweep_sort_config_static_selectorELNS0_4arch9wavefront6targetE0EEEvSG_
    .private_segment_fixed_size: 0
    .sgpr_count:     0
    .sgpr_spill_count: 0
    .symbol:         _ZN7rocprim17ROCPRIM_400000_NS6detail17trampoline_kernelINS0_14default_configENS1_35radix_sort_onesweep_config_selectorItNS0_10empty_typeEEEZZNS1_29radix_sort_onesweep_iterationIS3_Lb0EPKtPtPS5_SB_mNS0_19identity_decomposerENS1_16block_id_wrapperIjLb0EEEEE10hipError_tT1_PNSt15iterator_traitsISG_E10value_typeET2_T3_PNSH_ISM_E10value_typeET4_T5_PSR_SS_PNS1_23onesweep_lookback_stateEbbT6_jjT7_P12ihipStream_tbENKUlT_T0_SG_SL_E_clISA_SA_SB_SB_EEDaSZ_S10_SG_SL_EUlSZ_E_NS1_11comp_targetILNS1_3genE4ELNS1_11target_archE910ELNS1_3gpuE8ELNS1_3repE0EEENS1_47radix_sort_onesweep_sort_config_static_selectorELNS0_4arch9wavefront6targetE0EEEvSG_.kd
    .uniform_work_group_size: 1
    .uses_dynamic_stack: false
    .vgpr_count:     0
    .vgpr_spill_count: 0
    .wavefront_size: 32
  - .args:
      - .offset:         0
        .size:           88
        .value_kind:     by_value
    .group_segment_fixed_size: 0
    .kernarg_segment_align: 8
    .kernarg_segment_size: 88
    .language:       OpenCL C
    .language_version:
      - 2
      - 0
    .max_flat_workgroup_size: 512
    .name:           _ZN7rocprim17ROCPRIM_400000_NS6detail17trampoline_kernelINS0_14default_configENS1_35radix_sort_onesweep_config_selectorItNS0_10empty_typeEEEZZNS1_29radix_sort_onesweep_iterationIS3_Lb0EPKtPtPS5_SB_mNS0_19identity_decomposerENS1_16block_id_wrapperIjLb0EEEEE10hipError_tT1_PNSt15iterator_traitsISG_E10value_typeET2_T3_PNSH_ISM_E10value_typeET4_T5_PSR_SS_PNS1_23onesweep_lookback_stateEbbT6_jjT7_P12ihipStream_tbENKUlT_T0_SG_SL_E_clISA_SA_SB_SB_EEDaSZ_S10_SG_SL_EUlSZ_E_NS1_11comp_targetILNS1_3genE3ELNS1_11target_archE908ELNS1_3gpuE7ELNS1_3repE0EEENS1_47radix_sort_onesweep_sort_config_static_selectorELNS0_4arch9wavefront6targetE0EEEvSG_
    .private_segment_fixed_size: 0
    .sgpr_count:     0
    .sgpr_spill_count: 0
    .symbol:         _ZN7rocprim17ROCPRIM_400000_NS6detail17trampoline_kernelINS0_14default_configENS1_35radix_sort_onesweep_config_selectorItNS0_10empty_typeEEEZZNS1_29radix_sort_onesweep_iterationIS3_Lb0EPKtPtPS5_SB_mNS0_19identity_decomposerENS1_16block_id_wrapperIjLb0EEEEE10hipError_tT1_PNSt15iterator_traitsISG_E10value_typeET2_T3_PNSH_ISM_E10value_typeET4_T5_PSR_SS_PNS1_23onesweep_lookback_stateEbbT6_jjT7_P12ihipStream_tbENKUlT_T0_SG_SL_E_clISA_SA_SB_SB_EEDaSZ_S10_SG_SL_EUlSZ_E_NS1_11comp_targetILNS1_3genE3ELNS1_11target_archE908ELNS1_3gpuE7ELNS1_3repE0EEENS1_47radix_sort_onesweep_sort_config_static_selectorELNS0_4arch9wavefront6targetE0EEEvSG_.kd
    .uniform_work_group_size: 1
    .uses_dynamic_stack: false
    .vgpr_count:     0
    .vgpr_spill_count: 0
    .wavefront_size: 32
  - .args:
      - .offset:         0
        .size:           88
        .value_kind:     by_value
    .group_segment_fixed_size: 0
    .kernarg_segment_align: 8
    .kernarg_segment_size: 88
    .language:       OpenCL C
    .language_version:
      - 2
      - 0
    .max_flat_workgroup_size: 256
    .name:           _ZN7rocprim17ROCPRIM_400000_NS6detail17trampoline_kernelINS0_14default_configENS1_35radix_sort_onesweep_config_selectorItNS0_10empty_typeEEEZZNS1_29radix_sort_onesweep_iterationIS3_Lb0EPKtPtPS5_SB_mNS0_19identity_decomposerENS1_16block_id_wrapperIjLb0EEEEE10hipError_tT1_PNSt15iterator_traitsISG_E10value_typeET2_T3_PNSH_ISM_E10value_typeET4_T5_PSR_SS_PNS1_23onesweep_lookback_stateEbbT6_jjT7_P12ihipStream_tbENKUlT_T0_SG_SL_E_clISA_SA_SB_SB_EEDaSZ_S10_SG_SL_EUlSZ_E_NS1_11comp_targetILNS1_3genE10ELNS1_11target_archE1201ELNS1_3gpuE5ELNS1_3repE0EEENS1_47radix_sort_onesweep_sort_config_static_selectorELNS0_4arch9wavefront6targetE0EEEvSG_
    .private_segment_fixed_size: 0
    .sgpr_count:     0
    .sgpr_spill_count: 0
    .symbol:         _ZN7rocprim17ROCPRIM_400000_NS6detail17trampoline_kernelINS0_14default_configENS1_35radix_sort_onesweep_config_selectorItNS0_10empty_typeEEEZZNS1_29radix_sort_onesweep_iterationIS3_Lb0EPKtPtPS5_SB_mNS0_19identity_decomposerENS1_16block_id_wrapperIjLb0EEEEE10hipError_tT1_PNSt15iterator_traitsISG_E10value_typeET2_T3_PNSH_ISM_E10value_typeET4_T5_PSR_SS_PNS1_23onesweep_lookback_stateEbbT6_jjT7_P12ihipStream_tbENKUlT_T0_SG_SL_E_clISA_SA_SB_SB_EEDaSZ_S10_SG_SL_EUlSZ_E_NS1_11comp_targetILNS1_3genE10ELNS1_11target_archE1201ELNS1_3gpuE5ELNS1_3repE0EEENS1_47radix_sort_onesweep_sort_config_static_selectorELNS0_4arch9wavefront6targetE0EEEvSG_.kd
    .uniform_work_group_size: 1
    .uses_dynamic_stack: false
    .vgpr_count:     0
    .vgpr_spill_count: 0
    .wavefront_size: 32
  - .args:
      - .offset:         0
        .size:           88
        .value_kind:     by_value
    .group_segment_fixed_size: 0
    .kernarg_segment_align: 8
    .kernarg_segment_size: 88
    .language:       OpenCL C
    .language_version:
      - 2
      - 0
    .max_flat_workgroup_size: 256
    .name:           _ZN7rocprim17ROCPRIM_400000_NS6detail17trampoline_kernelINS0_14default_configENS1_35radix_sort_onesweep_config_selectorItNS0_10empty_typeEEEZZNS1_29radix_sort_onesweep_iterationIS3_Lb0EPKtPtPS5_SB_mNS0_19identity_decomposerENS1_16block_id_wrapperIjLb0EEEEE10hipError_tT1_PNSt15iterator_traitsISG_E10value_typeET2_T3_PNSH_ISM_E10value_typeET4_T5_PSR_SS_PNS1_23onesweep_lookback_stateEbbT6_jjT7_P12ihipStream_tbENKUlT_T0_SG_SL_E_clISA_SA_SB_SB_EEDaSZ_S10_SG_SL_EUlSZ_E_NS1_11comp_targetILNS1_3genE9ELNS1_11target_archE1100ELNS1_3gpuE3ELNS1_3repE0EEENS1_47radix_sort_onesweep_sort_config_static_selectorELNS0_4arch9wavefront6targetE0EEEvSG_
    .private_segment_fixed_size: 0
    .sgpr_count:     0
    .sgpr_spill_count: 0
    .symbol:         _ZN7rocprim17ROCPRIM_400000_NS6detail17trampoline_kernelINS0_14default_configENS1_35radix_sort_onesweep_config_selectorItNS0_10empty_typeEEEZZNS1_29radix_sort_onesweep_iterationIS3_Lb0EPKtPtPS5_SB_mNS0_19identity_decomposerENS1_16block_id_wrapperIjLb0EEEEE10hipError_tT1_PNSt15iterator_traitsISG_E10value_typeET2_T3_PNSH_ISM_E10value_typeET4_T5_PSR_SS_PNS1_23onesweep_lookback_stateEbbT6_jjT7_P12ihipStream_tbENKUlT_T0_SG_SL_E_clISA_SA_SB_SB_EEDaSZ_S10_SG_SL_EUlSZ_E_NS1_11comp_targetILNS1_3genE9ELNS1_11target_archE1100ELNS1_3gpuE3ELNS1_3repE0EEENS1_47radix_sort_onesweep_sort_config_static_selectorELNS0_4arch9wavefront6targetE0EEEvSG_.kd
    .uniform_work_group_size: 1
    .uses_dynamic_stack: false
    .vgpr_count:     0
    .vgpr_spill_count: 0
    .wavefront_size: 32
  - .args:
      - .offset:         0
        .size:           88
        .value_kind:     by_value
    .group_segment_fixed_size: 0
    .kernarg_segment_align: 8
    .kernarg_segment_size: 88
    .language:       OpenCL C
    .language_version:
      - 2
      - 0
    .max_flat_workgroup_size: 256
    .name:           _ZN7rocprim17ROCPRIM_400000_NS6detail17trampoline_kernelINS0_14default_configENS1_35radix_sort_onesweep_config_selectorItNS0_10empty_typeEEEZZNS1_29radix_sort_onesweep_iterationIS3_Lb0EPKtPtPS5_SB_mNS0_19identity_decomposerENS1_16block_id_wrapperIjLb0EEEEE10hipError_tT1_PNSt15iterator_traitsISG_E10value_typeET2_T3_PNSH_ISM_E10value_typeET4_T5_PSR_SS_PNS1_23onesweep_lookback_stateEbbT6_jjT7_P12ihipStream_tbENKUlT_T0_SG_SL_E_clISA_SA_SB_SB_EEDaSZ_S10_SG_SL_EUlSZ_E_NS1_11comp_targetILNS1_3genE8ELNS1_11target_archE1030ELNS1_3gpuE2ELNS1_3repE0EEENS1_47radix_sort_onesweep_sort_config_static_selectorELNS0_4arch9wavefront6targetE0EEEvSG_
    .private_segment_fixed_size: 0
    .sgpr_count:     0
    .sgpr_spill_count: 0
    .symbol:         _ZN7rocprim17ROCPRIM_400000_NS6detail17trampoline_kernelINS0_14default_configENS1_35radix_sort_onesweep_config_selectorItNS0_10empty_typeEEEZZNS1_29radix_sort_onesweep_iterationIS3_Lb0EPKtPtPS5_SB_mNS0_19identity_decomposerENS1_16block_id_wrapperIjLb0EEEEE10hipError_tT1_PNSt15iterator_traitsISG_E10value_typeET2_T3_PNSH_ISM_E10value_typeET4_T5_PSR_SS_PNS1_23onesweep_lookback_stateEbbT6_jjT7_P12ihipStream_tbENKUlT_T0_SG_SL_E_clISA_SA_SB_SB_EEDaSZ_S10_SG_SL_EUlSZ_E_NS1_11comp_targetILNS1_3genE8ELNS1_11target_archE1030ELNS1_3gpuE2ELNS1_3repE0EEENS1_47radix_sort_onesweep_sort_config_static_selectorELNS0_4arch9wavefront6targetE0EEEvSG_.kd
    .uniform_work_group_size: 1
    .uses_dynamic_stack: false
    .vgpr_count:     0
    .vgpr_spill_count: 0
    .wavefront_size: 32
  - .args:
      - .offset:         0
        .size:           48
        .value_kind:     by_value
      - .offset:         48
        .size:           4
        .value_kind:     hidden_block_count_x
      - .offset:         52
        .size:           4
        .value_kind:     hidden_block_count_y
      - .offset:         56
        .size:           4
        .value_kind:     hidden_block_count_z
      - .offset:         60
        .size:           2
        .value_kind:     hidden_group_size_x
      - .offset:         62
        .size:           2
        .value_kind:     hidden_group_size_y
      - .offset:         64
        .size:           2
        .value_kind:     hidden_group_size_z
      - .offset:         66
        .size:           2
        .value_kind:     hidden_remainder_x
      - .offset:         68
        .size:           2
        .value_kind:     hidden_remainder_y
      - .offset:         70
        .size:           2
        .value_kind:     hidden_remainder_z
      - .offset:         88
        .size:           8
        .value_kind:     hidden_global_offset_x
      - .offset:         96
        .size:           8
        .value_kind:     hidden_global_offset_y
      - .offset:         104
        .size:           8
        .value_kind:     hidden_global_offset_z
      - .offset:         112
        .size:           2
        .value_kind:     hidden_grid_dims
    .group_segment_fixed_size: 8224
    .kernarg_segment_align: 8
    .kernarg_segment_size: 304
    .language:       OpenCL C
    .language_version:
      - 2
      - 0
    .max_flat_workgroup_size: 256
    .name:           _ZN7rocprim17ROCPRIM_400000_NS6detail17trampoline_kernelINS0_13kernel_configILj256ELj4ELj4294967295EEENS1_37radix_sort_block_sort_config_selectorIjNS0_10empty_typeEEEZNS1_21radix_sort_block_sortIS4_Lb1EPKjPjPS6_SC_NS0_19identity_decomposerEEE10hipError_tT1_T2_T3_T4_jRjT5_jjP12ihipStream_tbEUlT_E_NS1_11comp_targetILNS1_3genE0ELNS1_11target_archE4294967295ELNS1_3gpuE0ELNS1_3repE0EEENS1_44radix_sort_block_sort_config_static_selectorELNS0_4arch9wavefront6targetE0EEEvSF_
    .private_segment_fixed_size: 0
    .sgpr_count:     31
    .sgpr_spill_count: 0
    .symbol:         _ZN7rocprim17ROCPRIM_400000_NS6detail17trampoline_kernelINS0_13kernel_configILj256ELj4ELj4294967295EEENS1_37radix_sort_block_sort_config_selectorIjNS0_10empty_typeEEEZNS1_21radix_sort_block_sortIS4_Lb1EPKjPjPS6_SC_NS0_19identity_decomposerEEE10hipError_tT1_T2_T3_T4_jRjT5_jjP12ihipStream_tbEUlT_E_NS1_11comp_targetILNS1_3genE0ELNS1_11target_archE4294967295ELNS1_3gpuE0ELNS1_3repE0EEENS1_44radix_sort_block_sort_config_static_selectorELNS0_4arch9wavefront6targetE0EEEvSF_.kd
    .uniform_work_group_size: 1
    .uses_dynamic_stack: false
    .vgpr_count:     38
    .vgpr_spill_count: 0
    .wavefront_size: 32
  - .args:
      - .offset:         0
        .size:           48
        .value_kind:     by_value
    .group_segment_fixed_size: 0
    .kernarg_segment_align: 8
    .kernarg_segment_size: 48
    .language:       OpenCL C
    .language_version:
      - 2
      - 0
    .max_flat_workgroup_size: 256
    .name:           _ZN7rocprim17ROCPRIM_400000_NS6detail17trampoline_kernelINS0_13kernel_configILj256ELj4ELj4294967295EEENS1_37radix_sort_block_sort_config_selectorIjNS0_10empty_typeEEEZNS1_21radix_sort_block_sortIS4_Lb1EPKjPjPS6_SC_NS0_19identity_decomposerEEE10hipError_tT1_T2_T3_T4_jRjT5_jjP12ihipStream_tbEUlT_E_NS1_11comp_targetILNS1_3genE5ELNS1_11target_archE942ELNS1_3gpuE9ELNS1_3repE0EEENS1_44radix_sort_block_sort_config_static_selectorELNS0_4arch9wavefront6targetE0EEEvSF_
    .private_segment_fixed_size: 0
    .sgpr_count:     0
    .sgpr_spill_count: 0
    .symbol:         _ZN7rocprim17ROCPRIM_400000_NS6detail17trampoline_kernelINS0_13kernel_configILj256ELj4ELj4294967295EEENS1_37radix_sort_block_sort_config_selectorIjNS0_10empty_typeEEEZNS1_21radix_sort_block_sortIS4_Lb1EPKjPjPS6_SC_NS0_19identity_decomposerEEE10hipError_tT1_T2_T3_T4_jRjT5_jjP12ihipStream_tbEUlT_E_NS1_11comp_targetILNS1_3genE5ELNS1_11target_archE942ELNS1_3gpuE9ELNS1_3repE0EEENS1_44radix_sort_block_sort_config_static_selectorELNS0_4arch9wavefront6targetE0EEEvSF_.kd
    .uniform_work_group_size: 1
    .uses_dynamic_stack: false
    .vgpr_count:     0
    .vgpr_spill_count: 0
    .wavefront_size: 32
  - .args:
      - .offset:         0
        .size:           48
        .value_kind:     by_value
    .group_segment_fixed_size: 0
    .kernarg_segment_align: 8
    .kernarg_segment_size: 48
    .language:       OpenCL C
    .language_version:
      - 2
      - 0
    .max_flat_workgroup_size: 256
    .name:           _ZN7rocprim17ROCPRIM_400000_NS6detail17trampoline_kernelINS0_13kernel_configILj256ELj4ELj4294967295EEENS1_37radix_sort_block_sort_config_selectorIjNS0_10empty_typeEEEZNS1_21radix_sort_block_sortIS4_Lb1EPKjPjPS6_SC_NS0_19identity_decomposerEEE10hipError_tT1_T2_T3_T4_jRjT5_jjP12ihipStream_tbEUlT_E_NS1_11comp_targetILNS1_3genE4ELNS1_11target_archE910ELNS1_3gpuE8ELNS1_3repE0EEENS1_44radix_sort_block_sort_config_static_selectorELNS0_4arch9wavefront6targetE0EEEvSF_
    .private_segment_fixed_size: 0
    .sgpr_count:     0
    .sgpr_spill_count: 0
    .symbol:         _ZN7rocprim17ROCPRIM_400000_NS6detail17trampoline_kernelINS0_13kernel_configILj256ELj4ELj4294967295EEENS1_37radix_sort_block_sort_config_selectorIjNS0_10empty_typeEEEZNS1_21radix_sort_block_sortIS4_Lb1EPKjPjPS6_SC_NS0_19identity_decomposerEEE10hipError_tT1_T2_T3_T4_jRjT5_jjP12ihipStream_tbEUlT_E_NS1_11comp_targetILNS1_3genE4ELNS1_11target_archE910ELNS1_3gpuE8ELNS1_3repE0EEENS1_44radix_sort_block_sort_config_static_selectorELNS0_4arch9wavefront6targetE0EEEvSF_.kd
    .uniform_work_group_size: 1
    .uses_dynamic_stack: false
    .vgpr_count:     0
    .vgpr_spill_count: 0
    .wavefront_size: 32
  - .args:
      - .offset:         0
        .size:           48
        .value_kind:     by_value
    .group_segment_fixed_size: 0
    .kernarg_segment_align: 8
    .kernarg_segment_size: 48
    .language:       OpenCL C
    .language_version:
      - 2
      - 0
    .max_flat_workgroup_size: 256
    .name:           _ZN7rocprim17ROCPRIM_400000_NS6detail17trampoline_kernelINS0_13kernel_configILj256ELj4ELj4294967295EEENS1_37radix_sort_block_sort_config_selectorIjNS0_10empty_typeEEEZNS1_21radix_sort_block_sortIS4_Lb1EPKjPjPS6_SC_NS0_19identity_decomposerEEE10hipError_tT1_T2_T3_T4_jRjT5_jjP12ihipStream_tbEUlT_E_NS1_11comp_targetILNS1_3genE3ELNS1_11target_archE908ELNS1_3gpuE7ELNS1_3repE0EEENS1_44radix_sort_block_sort_config_static_selectorELNS0_4arch9wavefront6targetE0EEEvSF_
    .private_segment_fixed_size: 0
    .sgpr_count:     0
    .sgpr_spill_count: 0
    .symbol:         _ZN7rocprim17ROCPRIM_400000_NS6detail17trampoline_kernelINS0_13kernel_configILj256ELj4ELj4294967295EEENS1_37radix_sort_block_sort_config_selectorIjNS0_10empty_typeEEEZNS1_21radix_sort_block_sortIS4_Lb1EPKjPjPS6_SC_NS0_19identity_decomposerEEE10hipError_tT1_T2_T3_T4_jRjT5_jjP12ihipStream_tbEUlT_E_NS1_11comp_targetILNS1_3genE3ELNS1_11target_archE908ELNS1_3gpuE7ELNS1_3repE0EEENS1_44radix_sort_block_sort_config_static_selectorELNS0_4arch9wavefront6targetE0EEEvSF_.kd
    .uniform_work_group_size: 1
    .uses_dynamic_stack: false
    .vgpr_count:     0
    .vgpr_spill_count: 0
    .wavefront_size: 32
  - .args:
      - .offset:         0
        .size:           48
        .value_kind:     by_value
    .group_segment_fixed_size: 0
    .kernarg_segment_align: 8
    .kernarg_segment_size: 48
    .language:       OpenCL C
    .language_version:
      - 2
      - 0
    .max_flat_workgroup_size: 256
    .name:           _ZN7rocprim17ROCPRIM_400000_NS6detail17trampoline_kernelINS0_13kernel_configILj256ELj4ELj4294967295EEENS1_37radix_sort_block_sort_config_selectorIjNS0_10empty_typeEEEZNS1_21radix_sort_block_sortIS4_Lb1EPKjPjPS6_SC_NS0_19identity_decomposerEEE10hipError_tT1_T2_T3_T4_jRjT5_jjP12ihipStream_tbEUlT_E_NS1_11comp_targetILNS1_3genE2ELNS1_11target_archE906ELNS1_3gpuE6ELNS1_3repE0EEENS1_44radix_sort_block_sort_config_static_selectorELNS0_4arch9wavefront6targetE0EEEvSF_
    .private_segment_fixed_size: 0
    .sgpr_count:     0
    .sgpr_spill_count: 0
    .symbol:         _ZN7rocprim17ROCPRIM_400000_NS6detail17trampoline_kernelINS0_13kernel_configILj256ELj4ELj4294967295EEENS1_37radix_sort_block_sort_config_selectorIjNS0_10empty_typeEEEZNS1_21radix_sort_block_sortIS4_Lb1EPKjPjPS6_SC_NS0_19identity_decomposerEEE10hipError_tT1_T2_T3_T4_jRjT5_jjP12ihipStream_tbEUlT_E_NS1_11comp_targetILNS1_3genE2ELNS1_11target_archE906ELNS1_3gpuE6ELNS1_3repE0EEENS1_44radix_sort_block_sort_config_static_selectorELNS0_4arch9wavefront6targetE0EEEvSF_.kd
    .uniform_work_group_size: 1
    .uses_dynamic_stack: false
    .vgpr_count:     0
    .vgpr_spill_count: 0
    .wavefront_size: 32
  - .args:
      - .offset:         0
        .size:           48
        .value_kind:     by_value
    .group_segment_fixed_size: 0
    .kernarg_segment_align: 8
    .kernarg_segment_size: 48
    .language:       OpenCL C
    .language_version:
      - 2
      - 0
    .max_flat_workgroup_size: 256
    .name:           _ZN7rocprim17ROCPRIM_400000_NS6detail17trampoline_kernelINS0_13kernel_configILj256ELj4ELj4294967295EEENS1_37radix_sort_block_sort_config_selectorIjNS0_10empty_typeEEEZNS1_21radix_sort_block_sortIS4_Lb1EPKjPjPS6_SC_NS0_19identity_decomposerEEE10hipError_tT1_T2_T3_T4_jRjT5_jjP12ihipStream_tbEUlT_E_NS1_11comp_targetILNS1_3genE10ELNS1_11target_archE1201ELNS1_3gpuE5ELNS1_3repE0EEENS1_44radix_sort_block_sort_config_static_selectorELNS0_4arch9wavefront6targetE0EEEvSF_
    .private_segment_fixed_size: 0
    .sgpr_count:     0
    .sgpr_spill_count: 0
    .symbol:         _ZN7rocprim17ROCPRIM_400000_NS6detail17trampoline_kernelINS0_13kernel_configILj256ELj4ELj4294967295EEENS1_37radix_sort_block_sort_config_selectorIjNS0_10empty_typeEEEZNS1_21radix_sort_block_sortIS4_Lb1EPKjPjPS6_SC_NS0_19identity_decomposerEEE10hipError_tT1_T2_T3_T4_jRjT5_jjP12ihipStream_tbEUlT_E_NS1_11comp_targetILNS1_3genE10ELNS1_11target_archE1201ELNS1_3gpuE5ELNS1_3repE0EEENS1_44radix_sort_block_sort_config_static_selectorELNS0_4arch9wavefront6targetE0EEEvSF_.kd
    .uniform_work_group_size: 1
    .uses_dynamic_stack: false
    .vgpr_count:     0
    .vgpr_spill_count: 0
    .wavefront_size: 32
  - .args:
      - .offset:         0
        .size:           48
        .value_kind:     by_value
    .group_segment_fixed_size: 0
    .kernarg_segment_align: 8
    .kernarg_segment_size: 48
    .language:       OpenCL C
    .language_version:
      - 2
      - 0
    .max_flat_workgroup_size: 256
    .name:           _ZN7rocprim17ROCPRIM_400000_NS6detail17trampoline_kernelINS0_13kernel_configILj256ELj4ELj4294967295EEENS1_37radix_sort_block_sort_config_selectorIjNS0_10empty_typeEEEZNS1_21radix_sort_block_sortIS4_Lb1EPKjPjPS6_SC_NS0_19identity_decomposerEEE10hipError_tT1_T2_T3_T4_jRjT5_jjP12ihipStream_tbEUlT_E_NS1_11comp_targetILNS1_3genE10ELNS1_11target_archE1200ELNS1_3gpuE4ELNS1_3repE0EEENS1_44radix_sort_block_sort_config_static_selectorELNS0_4arch9wavefront6targetE0EEEvSF_
    .private_segment_fixed_size: 0
    .sgpr_count:     0
    .sgpr_spill_count: 0
    .symbol:         _ZN7rocprim17ROCPRIM_400000_NS6detail17trampoline_kernelINS0_13kernel_configILj256ELj4ELj4294967295EEENS1_37radix_sort_block_sort_config_selectorIjNS0_10empty_typeEEEZNS1_21radix_sort_block_sortIS4_Lb1EPKjPjPS6_SC_NS0_19identity_decomposerEEE10hipError_tT1_T2_T3_T4_jRjT5_jjP12ihipStream_tbEUlT_E_NS1_11comp_targetILNS1_3genE10ELNS1_11target_archE1200ELNS1_3gpuE4ELNS1_3repE0EEENS1_44radix_sort_block_sort_config_static_selectorELNS0_4arch9wavefront6targetE0EEEvSF_.kd
    .uniform_work_group_size: 1
    .uses_dynamic_stack: false
    .vgpr_count:     0
    .vgpr_spill_count: 0
    .wavefront_size: 32
  - .args:
      - .offset:         0
        .size:           48
        .value_kind:     by_value
    .group_segment_fixed_size: 0
    .kernarg_segment_align: 8
    .kernarg_segment_size: 48
    .language:       OpenCL C
    .language_version:
      - 2
      - 0
    .max_flat_workgroup_size: 256
    .name:           _ZN7rocprim17ROCPRIM_400000_NS6detail17trampoline_kernelINS0_13kernel_configILj256ELj4ELj4294967295EEENS1_37radix_sort_block_sort_config_selectorIjNS0_10empty_typeEEEZNS1_21radix_sort_block_sortIS4_Lb1EPKjPjPS6_SC_NS0_19identity_decomposerEEE10hipError_tT1_T2_T3_T4_jRjT5_jjP12ihipStream_tbEUlT_E_NS1_11comp_targetILNS1_3genE9ELNS1_11target_archE1100ELNS1_3gpuE3ELNS1_3repE0EEENS1_44radix_sort_block_sort_config_static_selectorELNS0_4arch9wavefront6targetE0EEEvSF_
    .private_segment_fixed_size: 0
    .sgpr_count:     0
    .sgpr_spill_count: 0
    .symbol:         _ZN7rocprim17ROCPRIM_400000_NS6detail17trampoline_kernelINS0_13kernel_configILj256ELj4ELj4294967295EEENS1_37radix_sort_block_sort_config_selectorIjNS0_10empty_typeEEEZNS1_21radix_sort_block_sortIS4_Lb1EPKjPjPS6_SC_NS0_19identity_decomposerEEE10hipError_tT1_T2_T3_T4_jRjT5_jjP12ihipStream_tbEUlT_E_NS1_11comp_targetILNS1_3genE9ELNS1_11target_archE1100ELNS1_3gpuE3ELNS1_3repE0EEENS1_44radix_sort_block_sort_config_static_selectorELNS0_4arch9wavefront6targetE0EEEvSF_.kd
    .uniform_work_group_size: 1
    .uses_dynamic_stack: false
    .vgpr_count:     0
    .vgpr_spill_count: 0
    .wavefront_size: 32
  - .args:
      - .offset:         0
        .size:           48
        .value_kind:     by_value
    .group_segment_fixed_size: 0
    .kernarg_segment_align: 8
    .kernarg_segment_size: 48
    .language:       OpenCL C
    .language_version:
      - 2
      - 0
    .max_flat_workgroup_size: 256
    .name:           _ZN7rocprim17ROCPRIM_400000_NS6detail17trampoline_kernelINS0_13kernel_configILj256ELj4ELj4294967295EEENS1_37radix_sort_block_sort_config_selectorIjNS0_10empty_typeEEEZNS1_21radix_sort_block_sortIS4_Lb1EPKjPjPS6_SC_NS0_19identity_decomposerEEE10hipError_tT1_T2_T3_T4_jRjT5_jjP12ihipStream_tbEUlT_E_NS1_11comp_targetILNS1_3genE8ELNS1_11target_archE1030ELNS1_3gpuE2ELNS1_3repE0EEENS1_44radix_sort_block_sort_config_static_selectorELNS0_4arch9wavefront6targetE0EEEvSF_
    .private_segment_fixed_size: 0
    .sgpr_count:     0
    .sgpr_spill_count: 0
    .symbol:         _ZN7rocprim17ROCPRIM_400000_NS6detail17trampoline_kernelINS0_13kernel_configILj256ELj4ELj4294967295EEENS1_37radix_sort_block_sort_config_selectorIjNS0_10empty_typeEEEZNS1_21radix_sort_block_sortIS4_Lb1EPKjPjPS6_SC_NS0_19identity_decomposerEEE10hipError_tT1_T2_T3_T4_jRjT5_jjP12ihipStream_tbEUlT_E_NS1_11comp_targetILNS1_3genE8ELNS1_11target_archE1030ELNS1_3gpuE2ELNS1_3repE0EEENS1_44radix_sort_block_sort_config_static_selectorELNS0_4arch9wavefront6targetE0EEEvSF_.kd
    .uniform_work_group_size: 1
    .uses_dynamic_stack: false
    .vgpr_count:     0
    .vgpr_spill_count: 0
    .wavefront_size: 32
  - .args:           []
    .group_segment_fixed_size: 0
    .kernarg_segment_align: 4
    .kernarg_segment_size: 0
    .language:       OpenCL C
    .language_version:
      - 2
      - 0
    .max_flat_workgroup_size: 1024
    .name:           _ZN7rocprim17ROCPRIM_400000_NS6detail44device_merge_sort_compile_time_verifier_archINS1_11comp_targetILNS1_3genE0ELNS1_11target_archE4294967295ELNS1_3gpuE0ELNS1_3repE0EEES8_NS1_28merge_sort_block_sort_configILj256ELj4ELNS0_20block_sort_algorithmE0EEENS0_14default_configENS1_37merge_sort_block_sort_config_selectorIjNS0_10empty_typeEEENS1_38merge_sort_block_merge_config_selectorIjSE_EEEEvv
    .private_segment_fixed_size: 0
    .sgpr_count:     0
    .sgpr_spill_count: 0
    .symbol:         _ZN7rocprim17ROCPRIM_400000_NS6detail44device_merge_sort_compile_time_verifier_archINS1_11comp_targetILNS1_3genE0ELNS1_11target_archE4294967295ELNS1_3gpuE0ELNS1_3repE0EEES8_NS1_28merge_sort_block_sort_configILj256ELj4ELNS0_20block_sort_algorithmE0EEENS0_14default_configENS1_37merge_sort_block_sort_config_selectorIjNS0_10empty_typeEEENS1_38merge_sort_block_merge_config_selectorIjSE_EEEEvv.kd
    .uniform_work_group_size: 1
    .uses_dynamic_stack: false
    .vgpr_count:     0
    .vgpr_spill_count: 0
    .wavefront_size: 32
  - .args:           []
    .group_segment_fixed_size: 0
    .kernarg_segment_align: 4
    .kernarg_segment_size: 0
    .language:       OpenCL C
    .language_version:
      - 2
      - 0
    .max_flat_workgroup_size: 1024
    .name:           _ZN7rocprim17ROCPRIM_400000_NS6detail44device_merge_sort_compile_time_verifier_archINS1_11comp_targetILNS1_3genE5ELNS1_11target_archE942ELNS1_3gpuE9ELNS1_3repE0EEES8_NS1_28merge_sort_block_sort_configILj256ELj4ELNS0_20block_sort_algorithmE0EEENS0_14default_configENS1_37merge_sort_block_sort_config_selectorIjNS0_10empty_typeEEENS1_38merge_sort_block_merge_config_selectorIjSE_EEEEvv
    .private_segment_fixed_size: 0
    .sgpr_count:     0
    .sgpr_spill_count: 0
    .symbol:         _ZN7rocprim17ROCPRIM_400000_NS6detail44device_merge_sort_compile_time_verifier_archINS1_11comp_targetILNS1_3genE5ELNS1_11target_archE942ELNS1_3gpuE9ELNS1_3repE0EEES8_NS1_28merge_sort_block_sort_configILj256ELj4ELNS0_20block_sort_algorithmE0EEENS0_14default_configENS1_37merge_sort_block_sort_config_selectorIjNS0_10empty_typeEEENS1_38merge_sort_block_merge_config_selectorIjSE_EEEEvv.kd
    .uniform_work_group_size: 1
    .uses_dynamic_stack: false
    .vgpr_count:     0
    .vgpr_spill_count: 0
    .wavefront_size: 32
  - .args:           []
    .group_segment_fixed_size: 0
    .kernarg_segment_align: 4
    .kernarg_segment_size: 0
    .language:       OpenCL C
    .language_version:
      - 2
      - 0
    .max_flat_workgroup_size: 1024
    .name:           _ZN7rocprim17ROCPRIM_400000_NS6detail44device_merge_sort_compile_time_verifier_archINS1_11comp_targetILNS1_3genE4ELNS1_11target_archE910ELNS1_3gpuE8ELNS1_3repE0EEES8_NS1_28merge_sort_block_sort_configILj256ELj4ELNS0_20block_sort_algorithmE0EEENS0_14default_configENS1_37merge_sort_block_sort_config_selectorIjNS0_10empty_typeEEENS1_38merge_sort_block_merge_config_selectorIjSE_EEEEvv
    .private_segment_fixed_size: 0
    .sgpr_count:     0
    .sgpr_spill_count: 0
    .symbol:         _ZN7rocprim17ROCPRIM_400000_NS6detail44device_merge_sort_compile_time_verifier_archINS1_11comp_targetILNS1_3genE4ELNS1_11target_archE910ELNS1_3gpuE8ELNS1_3repE0EEES8_NS1_28merge_sort_block_sort_configILj256ELj4ELNS0_20block_sort_algorithmE0EEENS0_14default_configENS1_37merge_sort_block_sort_config_selectorIjNS0_10empty_typeEEENS1_38merge_sort_block_merge_config_selectorIjSE_EEEEvv.kd
    .uniform_work_group_size: 1
    .uses_dynamic_stack: false
    .vgpr_count:     0
    .vgpr_spill_count: 0
    .wavefront_size: 32
  - .args:           []
    .group_segment_fixed_size: 0
    .kernarg_segment_align: 4
    .kernarg_segment_size: 0
    .language:       OpenCL C
    .language_version:
      - 2
      - 0
    .max_flat_workgroup_size: 1024
    .name:           _ZN7rocprim17ROCPRIM_400000_NS6detail44device_merge_sort_compile_time_verifier_archINS1_11comp_targetILNS1_3genE3ELNS1_11target_archE908ELNS1_3gpuE7ELNS1_3repE0EEES8_NS1_28merge_sort_block_sort_configILj256ELj4ELNS0_20block_sort_algorithmE0EEENS0_14default_configENS1_37merge_sort_block_sort_config_selectorIjNS0_10empty_typeEEENS1_38merge_sort_block_merge_config_selectorIjSE_EEEEvv
    .private_segment_fixed_size: 0
    .sgpr_count:     0
    .sgpr_spill_count: 0
    .symbol:         _ZN7rocprim17ROCPRIM_400000_NS6detail44device_merge_sort_compile_time_verifier_archINS1_11comp_targetILNS1_3genE3ELNS1_11target_archE908ELNS1_3gpuE7ELNS1_3repE0EEES8_NS1_28merge_sort_block_sort_configILj256ELj4ELNS0_20block_sort_algorithmE0EEENS0_14default_configENS1_37merge_sort_block_sort_config_selectorIjNS0_10empty_typeEEENS1_38merge_sort_block_merge_config_selectorIjSE_EEEEvv.kd
    .uniform_work_group_size: 1
    .uses_dynamic_stack: false
    .vgpr_count:     0
    .vgpr_spill_count: 0
    .wavefront_size: 32
  - .args:           []
    .group_segment_fixed_size: 0
    .kernarg_segment_align: 4
    .kernarg_segment_size: 0
    .language:       OpenCL C
    .language_version:
      - 2
      - 0
    .max_flat_workgroup_size: 1024
    .name:           _ZN7rocprim17ROCPRIM_400000_NS6detail44device_merge_sort_compile_time_verifier_archINS1_11comp_targetILNS1_3genE2ELNS1_11target_archE906ELNS1_3gpuE6ELNS1_3repE0EEES8_NS1_28merge_sort_block_sort_configILj256ELj4ELNS0_20block_sort_algorithmE0EEENS0_14default_configENS1_37merge_sort_block_sort_config_selectorIjNS0_10empty_typeEEENS1_38merge_sort_block_merge_config_selectorIjSE_EEEEvv
    .private_segment_fixed_size: 0
    .sgpr_count:     0
    .sgpr_spill_count: 0
    .symbol:         _ZN7rocprim17ROCPRIM_400000_NS6detail44device_merge_sort_compile_time_verifier_archINS1_11comp_targetILNS1_3genE2ELNS1_11target_archE906ELNS1_3gpuE6ELNS1_3repE0EEES8_NS1_28merge_sort_block_sort_configILj256ELj4ELNS0_20block_sort_algorithmE0EEENS0_14default_configENS1_37merge_sort_block_sort_config_selectorIjNS0_10empty_typeEEENS1_38merge_sort_block_merge_config_selectorIjSE_EEEEvv.kd
    .uniform_work_group_size: 1
    .uses_dynamic_stack: false
    .vgpr_count:     0
    .vgpr_spill_count: 0
    .wavefront_size: 32
  - .args:           []
    .group_segment_fixed_size: 0
    .kernarg_segment_align: 4
    .kernarg_segment_size: 0
    .language:       OpenCL C
    .language_version:
      - 2
      - 0
    .max_flat_workgroup_size: 1024
    .name:           _ZN7rocprim17ROCPRIM_400000_NS6detail44device_merge_sort_compile_time_verifier_archINS1_11comp_targetILNS1_3genE10ELNS1_11target_archE1201ELNS1_3gpuE5ELNS1_3repE0EEES8_NS1_28merge_sort_block_sort_configILj256ELj4ELNS0_20block_sort_algorithmE0EEENS0_14default_configENS1_37merge_sort_block_sort_config_selectorIjNS0_10empty_typeEEENS1_38merge_sort_block_merge_config_selectorIjSE_EEEEvv
    .private_segment_fixed_size: 0
    .sgpr_count:     0
    .sgpr_spill_count: 0
    .symbol:         _ZN7rocprim17ROCPRIM_400000_NS6detail44device_merge_sort_compile_time_verifier_archINS1_11comp_targetILNS1_3genE10ELNS1_11target_archE1201ELNS1_3gpuE5ELNS1_3repE0EEES8_NS1_28merge_sort_block_sort_configILj256ELj4ELNS0_20block_sort_algorithmE0EEENS0_14default_configENS1_37merge_sort_block_sort_config_selectorIjNS0_10empty_typeEEENS1_38merge_sort_block_merge_config_selectorIjSE_EEEEvv.kd
    .uniform_work_group_size: 1
    .uses_dynamic_stack: false
    .vgpr_count:     0
    .vgpr_spill_count: 0
    .wavefront_size: 32
  - .args:           []
    .group_segment_fixed_size: 0
    .kernarg_segment_align: 4
    .kernarg_segment_size: 0
    .language:       OpenCL C
    .language_version:
      - 2
      - 0
    .max_flat_workgroup_size: 1024
    .name:           _ZN7rocprim17ROCPRIM_400000_NS6detail44device_merge_sort_compile_time_verifier_archINS1_11comp_targetILNS1_3genE10ELNS1_11target_archE1200ELNS1_3gpuE4ELNS1_3repE0EEENS3_ILS4_10ELS5_1201ELS6_5ELS7_0EEENS1_28merge_sort_block_sort_configILj256ELj4ELNS0_20block_sort_algorithmE0EEENS0_14default_configENS1_37merge_sort_block_sort_config_selectorIjNS0_10empty_typeEEENS1_38merge_sort_block_merge_config_selectorIjSF_EEEEvv
    .private_segment_fixed_size: 0
    .sgpr_count:     0
    .sgpr_spill_count: 0
    .symbol:         _ZN7rocprim17ROCPRIM_400000_NS6detail44device_merge_sort_compile_time_verifier_archINS1_11comp_targetILNS1_3genE10ELNS1_11target_archE1200ELNS1_3gpuE4ELNS1_3repE0EEENS3_ILS4_10ELS5_1201ELS6_5ELS7_0EEENS1_28merge_sort_block_sort_configILj256ELj4ELNS0_20block_sort_algorithmE0EEENS0_14default_configENS1_37merge_sort_block_sort_config_selectorIjNS0_10empty_typeEEENS1_38merge_sort_block_merge_config_selectorIjSF_EEEEvv.kd
    .uniform_work_group_size: 1
    .uses_dynamic_stack: false
    .vgpr_count:     0
    .vgpr_spill_count: 0
    .wavefront_size: 32
  - .args:           []
    .group_segment_fixed_size: 0
    .kernarg_segment_align: 4
    .kernarg_segment_size: 0
    .language:       OpenCL C
    .language_version:
      - 2
      - 0
    .max_flat_workgroup_size: 1024
    .name:           _ZN7rocprim17ROCPRIM_400000_NS6detail44device_merge_sort_compile_time_verifier_archINS1_11comp_targetILNS1_3genE9ELNS1_11target_archE1100ELNS1_3gpuE3ELNS1_3repE0EEES8_NS1_28merge_sort_block_sort_configILj256ELj4ELNS0_20block_sort_algorithmE0EEENS0_14default_configENS1_37merge_sort_block_sort_config_selectorIjNS0_10empty_typeEEENS1_38merge_sort_block_merge_config_selectorIjSE_EEEEvv
    .private_segment_fixed_size: 0
    .sgpr_count:     0
    .sgpr_spill_count: 0
    .symbol:         _ZN7rocprim17ROCPRIM_400000_NS6detail44device_merge_sort_compile_time_verifier_archINS1_11comp_targetILNS1_3genE9ELNS1_11target_archE1100ELNS1_3gpuE3ELNS1_3repE0EEES8_NS1_28merge_sort_block_sort_configILj256ELj4ELNS0_20block_sort_algorithmE0EEENS0_14default_configENS1_37merge_sort_block_sort_config_selectorIjNS0_10empty_typeEEENS1_38merge_sort_block_merge_config_selectorIjSE_EEEEvv.kd
    .uniform_work_group_size: 1
    .uses_dynamic_stack: false
    .vgpr_count:     0
    .vgpr_spill_count: 0
    .wavefront_size: 32
  - .args:           []
    .group_segment_fixed_size: 0
    .kernarg_segment_align: 4
    .kernarg_segment_size: 0
    .language:       OpenCL C
    .language_version:
      - 2
      - 0
    .max_flat_workgroup_size: 1024
    .name:           _ZN7rocprim17ROCPRIM_400000_NS6detail44device_merge_sort_compile_time_verifier_archINS1_11comp_targetILNS1_3genE8ELNS1_11target_archE1030ELNS1_3gpuE2ELNS1_3repE0EEES8_NS1_28merge_sort_block_sort_configILj256ELj4ELNS0_20block_sort_algorithmE0EEENS0_14default_configENS1_37merge_sort_block_sort_config_selectorIjNS0_10empty_typeEEENS1_38merge_sort_block_merge_config_selectorIjSE_EEEEvv
    .private_segment_fixed_size: 0
    .sgpr_count:     0
    .sgpr_spill_count: 0
    .symbol:         _ZN7rocprim17ROCPRIM_400000_NS6detail44device_merge_sort_compile_time_verifier_archINS1_11comp_targetILNS1_3genE8ELNS1_11target_archE1030ELNS1_3gpuE2ELNS1_3repE0EEES8_NS1_28merge_sort_block_sort_configILj256ELj4ELNS0_20block_sort_algorithmE0EEENS0_14default_configENS1_37merge_sort_block_sort_config_selectorIjNS0_10empty_typeEEENS1_38merge_sort_block_merge_config_selectorIjSE_EEEEvv.kd
    .uniform_work_group_size: 1
    .uses_dynamic_stack: false
    .vgpr_count:     0
    .vgpr_spill_count: 0
    .wavefront_size: 32
  - .args:
      - .offset:         0
        .size:           40
        .value_kind:     by_value
    .group_segment_fixed_size: 0
    .kernarg_segment_align: 8
    .kernarg_segment_size: 40
    .language:       OpenCL C
    .language_version:
      - 2
      - 0
    .max_flat_workgroup_size: 128
    .name:           _ZN7rocprim17ROCPRIM_400000_NS6detail17trampoline_kernelINS0_14default_configENS1_38merge_sort_block_merge_config_selectorIjNS0_10empty_typeEEEZZNS1_27merge_sort_block_merge_implIS3_PjPS5_jNS1_19radix_merge_compareILb1ELb0EjNS0_19identity_decomposerEEEEE10hipError_tT0_T1_T2_jT3_P12ihipStream_tbPNSt15iterator_traitsISE_E10value_typeEPNSK_ISF_E10value_typeEPSG_NS1_7vsmem_tEENKUlT_SE_SF_SG_E_clIS8_S8_S9_S9_EESD_ST_SE_SF_SG_EUlST_E_NS1_11comp_targetILNS1_3genE0ELNS1_11target_archE4294967295ELNS1_3gpuE0ELNS1_3repE0EEENS1_48merge_mergepath_partition_config_static_selectorELNS0_4arch9wavefront6targetE0EEEvSF_
    .private_segment_fixed_size: 0
    .sgpr_count:     8
    .sgpr_spill_count: 0
    .symbol:         _ZN7rocprim17ROCPRIM_400000_NS6detail17trampoline_kernelINS0_14default_configENS1_38merge_sort_block_merge_config_selectorIjNS0_10empty_typeEEEZZNS1_27merge_sort_block_merge_implIS3_PjPS5_jNS1_19radix_merge_compareILb1ELb0EjNS0_19identity_decomposerEEEEE10hipError_tT0_T1_T2_jT3_P12ihipStream_tbPNSt15iterator_traitsISE_E10value_typeEPNSK_ISF_E10value_typeEPSG_NS1_7vsmem_tEENKUlT_SE_SF_SG_E_clIS8_S8_S9_S9_EESD_ST_SE_SF_SG_EUlST_E_NS1_11comp_targetILNS1_3genE0ELNS1_11target_archE4294967295ELNS1_3gpuE0ELNS1_3repE0EEENS1_48merge_mergepath_partition_config_static_selectorELNS0_4arch9wavefront6targetE0EEEvSF_.kd
    .uniform_work_group_size: 1
    .uses_dynamic_stack: false
    .vgpr_count:     17
    .vgpr_spill_count: 0
    .wavefront_size: 32
  - .args:
      - .offset:         0
        .size:           40
        .value_kind:     by_value
    .group_segment_fixed_size: 0
    .kernarg_segment_align: 8
    .kernarg_segment_size: 40
    .language:       OpenCL C
    .language_version:
      - 2
      - 0
    .max_flat_workgroup_size: 128
    .name:           _ZN7rocprim17ROCPRIM_400000_NS6detail17trampoline_kernelINS0_14default_configENS1_38merge_sort_block_merge_config_selectorIjNS0_10empty_typeEEEZZNS1_27merge_sort_block_merge_implIS3_PjPS5_jNS1_19radix_merge_compareILb1ELb0EjNS0_19identity_decomposerEEEEE10hipError_tT0_T1_T2_jT3_P12ihipStream_tbPNSt15iterator_traitsISE_E10value_typeEPNSK_ISF_E10value_typeEPSG_NS1_7vsmem_tEENKUlT_SE_SF_SG_E_clIS8_S8_S9_S9_EESD_ST_SE_SF_SG_EUlST_E_NS1_11comp_targetILNS1_3genE10ELNS1_11target_archE1201ELNS1_3gpuE5ELNS1_3repE0EEENS1_48merge_mergepath_partition_config_static_selectorELNS0_4arch9wavefront6targetE0EEEvSF_
    .private_segment_fixed_size: 0
    .sgpr_count:     0
    .sgpr_spill_count: 0
    .symbol:         _ZN7rocprim17ROCPRIM_400000_NS6detail17trampoline_kernelINS0_14default_configENS1_38merge_sort_block_merge_config_selectorIjNS0_10empty_typeEEEZZNS1_27merge_sort_block_merge_implIS3_PjPS5_jNS1_19radix_merge_compareILb1ELb0EjNS0_19identity_decomposerEEEEE10hipError_tT0_T1_T2_jT3_P12ihipStream_tbPNSt15iterator_traitsISE_E10value_typeEPNSK_ISF_E10value_typeEPSG_NS1_7vsmem_tEENKUlT_SE_SF_SG_E_clIS8_S8_S9_S9_EESD_ST_SE_SF_SG_EUlST_E_NS1_11comp_targetILNS1_3genE10ELNS1_11target_archE1201ELNS1_3gpuE5ELNS1_3repE0EEENS1_48merge_mergepath_partition_config_static_selectorELNS0_4arch9wavefront6targetE0EEEvSF_.kd
    .uniform_work_group_size: 1
    .uses_dynamic_stack: false
    .vgpr_count:     0
    .vgpr_spill_count: 0
    .wavefront_size: 32
  - .args:
      - .offset:         0
        .size:           40
        .value_kind:     by_value
    .group_segment_fixed_size: 0
    .kernarg_segment_align: 8
    .kernarg_segment_size: 40
    .language:       OpenCL C
    .language_version:
      - 2
      - 0
    .max_flat_workgroup_size: 128
    .name:           _ZN7rocprim17ROCPRIM_400000_NS6detail17trampoline_kernelINS0_14default_configENS1_38merge_sort_block_merge_config_selectorIjNS0_10empty_typeEEEZZNS1_27merge_sort_block_merge_implIS3_PjPS5_jNS1_19radix_merge_compareILb1ELb0EjNS0_19identity_decomposerEEEEE10hipError_tT0_T1_T2_jT3_P12ihipStream_tbPNSt15iterator_traitsISE_E10value_typeEPNSK_ISF_E10value_typeEPSG_NS1_7vsmem_tEENKUlT_SE_SF_SG_E_clIS8_S8_S9_S9_EESD_ST_SE_SF_SG_EUlST_E_NS1_11comp_targetILNS1_3genE5ELNS1_11target_archE942ELNS1_3gpuE9ELNS1_3repE0EEENS1_48merge_mergepath_partition_config_static_selectorELNS0_4arch9wavefront6targetE0EEEvSF_
    .private_segment_fixed_size: 0
    .sgpr_count:     0
    .sgpr_spill_count: 0
    .symbol:         _ZN7rocprim17ROCPRIM_400000_NS6detail17trampoline_kernelINS0_14default_configENS1_38merge_sort_block_merge_config_selectorIjNS0_10empty_typeEEEZZNS1_27merge_sort_block_merge_implIS3_PjPS5_jNS1_19radix_merge_compareILb1ELb0EjNS0_19identity_decomposerEEEEE10hipError_tT0_T1_T2_jT3_P12ihipStream_tbPNSt15iterator_traitsISE_E10value_typeEPNSK_ISF_E10value_typeEPSG_NS1_7vsmem_tEENKUlT_SE_SF_SG_E_clIS8_S8_S9_S9_EESD_ST_SE_SF_SG_EUlST_E_NS1_11comp_targetILNS1_3genE5ELNS1_11target_archE942ELNS1_3gpuE9ELNS1_3repE0EEENS1_48merge_mergepath_partition_config_static_selectorELNS0_4arch9wavefront6targetE0EEEvSF_.kd
    .uniform_work_group_size: 1
    .uses_dynamic_stack: false
    .vgpr_count:     0
    .vgpr_spill_count: 0
    .wavefront_size: 32
  - .args:
      - .offset:         0
        .size:           40
        .value_kind:     by_value
    .group_segment_fixed_size: 0
    .kernarg_segment_align: 8
    .kernarg_segment_size: 40
    .language:       OpenCL C
    .language_version:
      - 2
      - 0
    .max_flat_workgroup_size: 128
    .name:           _ZN7rocprim17ROCPRIM_400000_NS6detail17trampoline_kernelINS0_14default_configENS1_38merge_sort_block_merge_config_selectorIjNS0_10empty_typeEEEZZNS1_27merge_sort_block_merge_implIS3_PjPS5_jNS1_19radix_merge_compareILb1ELb0EjNS0_19identity_decomposerEEEEE10hipError_tT0_T1_T2_jT3_P12ihipStream_tbPNSt15iterator_traitsISE_E10value_typeEPNSK_ISF_E10value_typeEPSG_NS1_7vsmem_tEENKUlT_SE_SF_SG_E_clIS8_S8_S9_S9_EESD_ST_SE_SF_SG_EUlST_E_NS1_11comp_targetILNS1_3genE4ELNS1_11target_archE910ELNS1_3gpuE8ELNS1_3repE0EEENS1_48merge_mergepath_partition_config_static_selectorELNS0_4arch9wavefront6targetE0EEEvSF_
    .private_segment_fixed_size: 0
    .sgpr_count:     0
    .sgpr_spill_count: 0
    .symbol:         _ZN7rocprim17ROCPRIM_400000_NS6detail17trampoline_kernelINS0_14default_configENS1_38merge_sort_block_merge_config_selectorIjNS0_10empty_typeEEEZZNS1_27merge_sort_block_merge_implIS3_PjPS5_jNS1_19radix_merge_compareILb1ELb0EjNS0_19identity_decomposerEEEEE10hipError_tT0_T1_T2_jT3_P12ihipStream_tbPNSt15iterator_traitsISE_E10value_typeEPNSK_ISF_E10value_typeEPSG_NS1_7vsmem_tEENKUlT_SE_SF_SG_E_clIS8_S8_S9_S9_EESD_ST_SE_SF_SG_EUlST_E_NS1_11comp_targetILNS1_3genE4ELNS1_11target_archE910ELNS1_3gpuE8ELNS1_3repE0EEENS1_48merge_mergepath_partition_config_static_selectorELNS0_4arch9wavefront6targetE0EEEvSF_.kd
    .uniform_work_group_size: 1
    .uses_dynamic_stack: false
    .vgpr_count:     0
    .vgpr_spill_count: 0
    .wavefront_size: 32
  - .args:
      - .offset:         0
        .size:           40
        .value_kind:     by_value
    .group_segment_fixed_size: 0
    .kernarg_segment_align: 8
    .kernarg_segment_size: 40
    .language:       OpenCL C
    .language_version:
      - 2
      - 0
    .max_flat_workgroup_size: 128
    .name:           _ZN7rocprim17ROCPRIM_400000_NS6detail17trampoline_kernelINS0_14default_configENS1_38merge_sort_block_merge_config_selectorIjNS0_10empty_typeEEEZZNS1_27merge_sort_block_merge_implIS3_PjPS5_jNS1_19radix_merge_compareILb1ELb0EjNS0_19identity_decomposerEEEEE10hipError_tT0_T1_T2_jT3_P12ihipStream_tbPNSt15iterator_traitsISE_E10value_typeEPNSK_ISF_E10value_typeEPSG_NS1_7vsmem_tEENKUlT_SE_SF_SG_E_clIS8_S8_S9_S9_EESD_ST_SE_SF_SG_EUlST_E_NS1_11comp_targetILNS1_3genE3ELNS1_11target_archE908ELNS1_3gpuE7ELNS1_3repE0EEENS1_48merge_mergepath_partition_config_static_selectorELNS0_4arch9wavefront6targetE0EEEvSF_
    .private_segment_fixed_size: 0
    .sgpr_count:     0
    .sgpr_spill_count: 0
    .symbol:         _ZN7rocprim17ROCPRIM_400000_NS6detail17trampoline_kernelINS0_14default_configENS1_38merge_sort_block_merge_config_selectorIjNS0_10empty_typeEEEZZNS1_27merge_sort_block_merge_implIS3_PjPS5_jNS1_19radix_merge_compareILb1ELb0EjNS0_19identity_decomposerEEEEE10hipError_tT0_T1_T2_jT3_P12ihipStream_tbPNSt15iterator_traitsISE_E10value_typeEPNSK_ISF_E10value_typeEPSG_NS1_7vsmem_tEENKUlT_SE_SF_SG_E_clIS8_S8_S9_S9_EESD_ST_SE_SF_SG_EUlST_E_NS1_11comp_targetILNS1_3genE3ELNS1_11target_archE908ELNS1_3gpuE7ELNS1_3repE0EEENS1_48merge_mergepath_partition_config_static_selectorELNS0_4arch9wavefront6targetE0EEEvSF_.kd
    .uniform_work_group_size: 1
    .uses_dynamic_stack: false
    .vgpr_count:     0
    .vgpr_spill_count: 0
    .wavefront_size: 32
  - .args:
      - .offset:         0
        .size:           40
        .value_kind:     by_value
    .group_segment_fixed_size: 0
    .kernarg_segment_align: 8
    .kernarg_segment_size: 40
    .language:       OpenCL C
    .language_version:
      - 2
      - 0
    .max_flat_workgroup_size: 128
    .name:           _ZN7rocprim17ROCPRIM_400000_NS6detail17trampoline_kernelINS0_14default_configENS1_38merge_sort_block_merge_config_selectorIjNS0_10empty_typeEEEZZNS1_27merge_sort_block_merge_implIS3_PjPS5_jNS1_19radix_merge_compareILb1ELb0EjNS0_19identity_decomposerEEEEE10hipError_tT0_T1_T2_jT3_P12ihipStream_tbPNSt15iterator_traitsISE_E10value_typeEPNSK_ISF_E10value_typeEPSG_NS1_7vsmem_tEENKUlT_SE_SF_SG_E_clIS8_S8_S9_S9_EESD_ST_SE_SF_SG_EUlST_E_NS1_11comp_targetILNS1_3genE2ELNS1_11target_archE906ELNS1_3gpuE6ELNS1_3repE0EEENS1_48merge_mergepath_partition_config_static_selectorELNS0_4arch9wavefront6targetE0EEEvSF_
    .private_segment_fixed_size: 0
    .sgpr_count:     0
    .sgpr_spill_count: 0
    .symbol:         _ZN7rocprim17ROCPRIM_400000_NS6detail17trampoline_kernelINS0_14default_configENS1_38merge_sort_block_merge_config_selectorIjNS0_10empty_typeEEEZZNS1_27merge_sort_block_merge_implIS3_PjPS5_jNS1_19radix_merge_compareILb1ELb0EjNS0_19identity_decomposerEEEEE10hipError_tT0_T1_T2_jT3_P12ihipStream_tbPNSt15iterator_traitsISE_E10value_typeEPNSK_ISF_E10value_typeEPSG_NS1_7vsmem_tEENKUlT_SE_SF_SG_E_clIS8_S8_S9_S9_EESD_ST_SE_SF_SG_EUlST_E_NS1_11comp_targetILNS1_3genE2ELNS1_11target_archE906ELNS1_3gpuE6ELNS1_3repE0EEENS1_48merge_mergepath_partition_config_static_selectorELNS0_4arch9wavefront6targetE0EEEvSF_.kd
    .uniform_work_group_size: 1
    .uses_dynamic_stack: false
    .vgpr_count:     0
    .vgpr_spill_count: 0
    .wavefront_size: 32
  - .args:
      - .offset:         0
        .size:           40
        .value_kind:     by_value
    .group_segment_fixed_size: 0
    .kernarg_segment_align: 8
    .kernarg_segment_size: 40
    .language:       OpenCL C
    .language_version:
      - 2
      - 0
    .max_flat_workgroup_size: 128
    .name:           _ZN7rocprim17ROCPRIM_400000_NS6detail17trampoline_kernelINS0_14default_configENS1_38merge_sort_block_merge_config_selectorIjNS0_10empty_typeEEEZZNS1_27merge_sort_block_merge_implIS3_PjPS5_jNS1_19radix_merge_compareILb1ELb0EjNS0_19identity_decomposerEEEEE10hipError_tT0_T1_T2_jT3_P12ihipStream_tbPNSt15iterator_traitsISE_E10value_typeEPNSK_ISF_E10value_typeEPSG_NS1_7vsmem_tEENKUlT_SE_SF_SG_E_clIS8_S8_S9_S9_EESD_ST_SE_SF_SG_EUlST_E_NS1_11comp_targetILNS1_3genE9ELNS1_11target_archE1100ELNS1_3gpuE3ELNS1_3repE0EEENS1_48merge_mergepath_partition_config_static_selectorELNS0_4arch9wavefront6targetE0EEEvSF_
    .private_segment_fixed_size: 0
    .sgpr_count:     0
    .sgpr_spill_count: 0
    .symbol:         _ZN7rocprim17ROCPRIM_400000_NS6detail17trampoline_kernelINS0_14default_configENS1_38merge_sort_block_merge_config_selectorIjNS0_10empty_typeEEEZZNS1_27merge_sort_block_merge_implIS3_PjPS5_jNS1_19radix_merge_compareILb1ELb0EjNS0_19identity_decomposerEEEEE10hipError_tT0_T1_T2_jT3_P12ihipStream_tbPNSt15iterator_traitsISE_E10value_typeEPNSK_ISF_E10value_typeEPSG_NS1_7vsmem_tEENKUlT_SE_SF_SG_E_clIS8_S8_S9_S9_EESD_ST_SE_SF_SG_EUlST_E_NS1_11comp_targetILNS1_3genE9ELNS1_11target_archE1100ELNS1_3gpuE3ELNS1_3repE0EEENS1_48merge_mergepath_partition_config_static_selectorELNS0_4arch9wavefront6targetE0EEEvSF_.kd
    .uniform_work_group_size: 1
    .uses_dynamic_stack: false
    .vgpr_count:     0
    .vgpr_spill_count: 0
    .wavefront_size: 32
  - .args:
      - .offset:         0
        .size:           40
        .value_kind:     by_value
    .group_segment_fixed_size: 0
    .kernarg_segment_align: 8
    .kernarg_segment_size: 40
    .language:       OpenCL C
    .language_version:
      - 2
      - 0
    .max_flat_workgroup_size: 128
    .name:           _ZN7rocprim17ROCPRIM_400000_NS6detail17trampoline_kernelINS0_14default_configENS1_38merge_sort_block_merge_config_selectorIjNS0_10empty_typeEEEZZNS1_27merge_sort_block_merge_implIS3_PjPS5_jNS1_19radix_merge_compareILb1ELb0EjNS0_19identity_decomposerEEEEE10hipError_tT0_T1_T2_jT3_P12ihipStream_tbPNSt15iterator_traitsISE_E10value_typeEPNSK_ISF_E10value_typeEPSG_NS1_7vsmem_tEENKUlT_SE_SF_SG_E_clIS8_S8_S9_S9_EESD_ST_SE_SF_SG_EUlST_E_NS1_11comp_targetILNS1_3genE8ELNS1_11target_archE1030ELNS1_3gpuE2ELNS1_3repE0EEENS1_48merge_mergepath_partition_config_static_selectorELNS0_4arch9wavefront6targetE0EEEvSF_
    .private_segment_fixed_size: 0
    .sgpr_count:     0
    .sgpr_spill_count: 0
    .symbol:         _ZN7rocprim17ROCPRIM_400000_NS6detail17trampoline_kernelINS0_14default_configENS1_38merge_sort_block_merge_config_selectorIjNS0_10empty_typeEEEZZNS1_27merge_sort_block_merge_implIS3_PjPS5_jNS1_19radix_merge_compareILb1ELb0EjNS0_19identity_decomposerEEEEE10hipError_tT0_T1_T2_jT3_P12ihipStream_tbPNSt15iterator_traitsISE_E10value_typeEPNSK_ISF_E10value_typeEPSG_NS1_7vsmem_tEENKUlT_SE_SF_SG_E_clIS8_S8_S9_S9_EESD_ST_SE_SF_SG_EUlST_E_NS1_11comp_targetILNS1_3genE8ELNS1_11target_archE1030ELNS1_3gpuE2ELNS1_3repE0EEENS1_48merge_mergepath_partition_config_static_selectorELNS0_4arch9wavefront6targetE0EEEvSF_.kd
    .uniform_work_group_size: 1
    .uses_dynamic_stack: false
    .vgpr_count:     0
    .vgpr_spill_count: 0
    .wavefront_size: 32
  - .args:
      - .offset:         0
        .size:           64
        .value_kind:     by_value
      - .offset:         64
        .size:           4
        .value_kind:     hidden_block_count_x
      - .offset:         68
        .size:           4
        .value_kind:     hidden_block_count_y
      - .offset:         72
        .size:           4
        .value_kind:     hidden_block_count_z
      - .offset:         76
        .size:           2
        .value_kind:     hidden_group_size_x
      - .offset:         78
        .size:           2
        .value_kind:     hidden_group_size_y
      - .offset:         80
        .size:           2
        .value_kind:     hidden_group_size_z
      - .offset:         82
        .size:           2
        .value_kind:     hidden_remainder_x
      - .offset:         84
        .size:           2
        .value_kind:     hidden_remainder_y
      - .offset:         86
        .size:           2
        .value_kind:     hidden_remainder_z
      - .offset:         104
        .size:           8
        .value_kind:     hidden_global_offset_x
      - .offset:         112
        .size:           8
        .value_kind:     hidden_global_offset_y
      - .offset:         120
        .size:           8
        .value_kind:     hidden_global_offset_z
      - .offset:         128
        .size:           2
        .value_kind:     hidden_grid_dims
    .group_segment_fixed_size: 4224
    .kernarg_segment_align: 8
    .kernarg_segment_size: 320
    .language:       OpenCL C
    .language_version:
      - 2
      - 0
    .max_flat_workgroup_size: 128
    .name:           _ZN7rocprim17ROCPRIM_400000_NS6detail17trampoline_kernelINS0_14default_configENS1_38merge_sort_block_merge_config_selectorIjNS0_10empty_typeEEEZZNS1_27merge_sort_block_merge_implIS3_PjPS5_jNS1_19radix_merge_compareILb1ELb0EjNS0_19identity_decomposerEEEEE10hipError_tT0_T1_T2_jT3_P12ihipStream_tbPNSt15iterator_traitsISE_E10value_typeEPNSK_ISF_E10value_typeEPSG_NS1_7vsmem_tEENKUlT_SE_SF_SG_E_clIS8_S8_S9_S9_EESD_ST_SE_SF_SG_EUlST_E0_NS1_11comp_targetILNS1_3genE0ELNS1_11target_archE4294967295ELNS1_3gpuE0ELNS1_3repE0EEENS1_38merge_mergepath_config_static_selectorELNS0_4arch9wavefront6targetE0EEEvSF_
    .private_segment_fixed_size: 0
    .sgpr_count:     25
    .sgpr_spill_count: 0
    .symbol:         _ZN7rocprim17ROCPRIM_400000_NS6detail17trampoline_kernelINS0_14default_configENS1_38merge_sort_block_merge_config_selectorIjNS0_10empty_typeEEEZZNS1_27merge_sort_block_merge_implIS3_PjPS5_jNS1_19radix_merge_compareILb1ELb0EjNS0_19identity_decomposerEEEEE10hipError_tT0_T1_T2_jT3_P12ihipStream_tbPNSt15iterator_traitsISE_E10value_typeEPNSK_ISF_E10value_typeEPSG_NS1_7vsmem_tEENKUlT_SE_SF_SG_E_clIS8_S8_S9_S9_EESD_ST_SE_SF_SG_EUlST_E0_NS1_11comp_targetILNS1_3genE0ELNS1_11target_archE4294967295ELNS1_3gpuE0ELNS1_3repE0EEENS1_38merge_mergepath_config_static_selectorELNS0_4arch9wavefront6targetE0EEEvSF_.kd
    .uniform_work_group_size: 1
    .uses_dynamic_stack: false
    .vgpr_count:     32
    .vgpr_spill_count: 0
    .wavefront_size: 32
  - .args:
      - .offset:         0
        .size:           64
        .value_kind:     by_value
    .group_segment_fixed_size: 0
    .kernarg_segment_align: 8
    .kernarg_segment_size: 64
    .language:       OpenCL C
    .language_version:
      - 2
      - 0
    .max_flat_workgroup_size: 256
    .name:           _ZN7rocprim17ROCPRIM_400000_NS6detail17trampoline_kernelINS0_14default_configENS1_38merge_sort_block_merge_config_selectorIjNS0_10empty_typeEEEZZNS1_27merge_sort_block_merge_implIS3_PjPS5_jNS1_19radix_merge_compareILb1ELb0EjNS0_19identity_decomposerEEEEE10hipError_tT0_T1_T2_jT3_P12ihipStream_tbPNSt15iterator_traitsISE_E10value_typeEPNSK_ISF_E10value_typeEPSG_NS1_7vsmem_tEENKUlT_SE_SF_SG_E_clIS8_S8_S9_S9_EESD_ST_SE_SF_SG_EUlST_E0_NS1_11comp_targetILNS1_3genE10ELNS1_11target_archE1201ELNS1_3gpuE5ELNS1_3repE0EEENS1_38merge_mergepath_config_static_selectorELNS0_4arch9wavefront6targetE0EEEvSF_
    .private_segment_fixed_size: 0
    .sgpr_count:     0
    .sgpr_spill_count: 0
    .symbol:         _ZN7rocprim17ROCPRIM_400000_NS6detail17trampoline_kernelINS0_14default_configENS1_38merge_sort_block_merge_config_selectorIjNS0_10empty_typeEEEZZNS1_27merge_sort_block_merge_implIS3_PjPS5_jNS1_19radix_merge_compareILb1ELb0EjNS0_19identity_decomposerEEEEE10hipError_tT0_T1_T2_jT3_P12ihipStream_tbPNSt15iterator_traitsISE_E10value_typeEPNSK_ISF_E10value_typeEPSG_NS1_7vsmem_tEENKUlT_SE_SF_SG_E_clIS8_S8_S9_S9_EESD_ST_SE_SF_SG_EUlST_E0_NS1_11comp_targetILNS1_3genE10ELNS1_11target_archE1201ELNS1_3gpuE5ELNS1_3repE0EEENS1_38merge_mergepath_config_static_selectorELNS0_4arch9wavefront6targetE0EEEvSF_.kd
    .uniform_work_group_size: 1
    .uses_dynamic_stack: false
    .vgpr_count:     0
    .vgpr_spill_count: 0
    .wavefront_size: 32
  - .args:
      - .offset:         0
        .size:           64
        .value_kind:     by_value
    .group_segment_fixed_size: 0
    .kernarg_segment_align: 8
    .kernarg_segment_size: 64
    .language:       OpenCL C
    .language_version:
      - 2
      - 0
    .max_flat_workgroup_size: 128
    .name:           _ZN7rocprim17ROCPRIM_400000_NS6detail17trampoline_kernelINS0_14default_configENS1_38merge_sort_block_merge_config_selectorIjNS0_10empty_typeEEEZZNS1_27merge_sort_block_merge_implIS3_PjPS5_jNS1_19radix_merge_compareILb1ELb0EjNS0_19identity_decomposerEEEEE10hipError_tT0_T1_T2_jT3_P12ihipStream_tbPNSt15iterator_traitsISE_E10value_typeEPNSK_ISF_E10value_typeEPSG_NS1_7vsmem_tEENKUlT_SE_SF_SG_E_clIS8_S8_S9_S9_EESD_ST_SE_SF_SG_EUlST_E0_NS1_11comp_targetILNS1_3genE5ELNS1_11target_archE942ELNS1_3gpuE9ELNS1_3repE0EEENS1_38merge_mergepath_config_static_selectorELNS0_4arch9wavefront6targetE0EEEvSF_
    .private_segment_fixed_size: 0
    .sgpr_count:     0
    .sgpr_spill_count: 0
    .symbol:         _ZN7rocprim17ROCPRIM_400000_NS6detail17trampoline_kernelINS0_14default_configENS1_38merge_sort_block_merge_config_selectorIjNS0_10empty_typeEEEZZNS1_27merge_sort_block_merge_implIS3_PjPS5_jNS1_19radix_merge_compareILb1ELb0EjNS0_19identity_decomposerEEEEE10hipError_tT0_T1_T2_jT3_P12ihipStream_tbPNSt15iterator_traitsISE_E10value_typeEPNSK_ISF_E10value_typeEPSG_NS1_7vsmem_tEENKUlT_SE_SF_SG_E_clIS8_S8_S9_S9_EESD_ST_SE_SF_SG_EUlST_E0_NS1_11comp_targetILNS1_3genE5ELNS1_11target_archE942ELNS1_3gpuE9ELNS1_3repE0EEENS1_38merge_mergepath_config_static_selectorELNS0_4arch9wavefront6targetE0EEEvSF_.kd
    .uniform_work_group_size: 1
    .uses_dynamic_stack: false
    .vgpr_count:     0
    .vgpr_spill_count: 0
    .wavefront_size: 32
  - .args:
      - .offset:         0
        .size:           64
        .value_kind:     by_value
    .group_segment_fixed_size: 0
    .kernarg_segment_align: 8
    .kernarg_segment_size: 64
    .language:       OpenCL C
    .language_version:
      - 2
      - 0
    .max_flat_workgroup_size: 128
    .name:           _ZN7rocprim17ROCPRIM_400000_NS6detail17trampoline_kernelINS0_14default_configENS1_38merge_sort_block_merge_config_selectorIjNS0_10empty_typeEEEZZNS1_27merge_sort_block_merge_implIS3_PjPS5_jNS1_19radix_merge_compareILb1ELb0EjNS0_19identity_decomposerEEEEE10hipError_tT0_T1_T2_jT3_P12ihipStream_tbPNSt15iterator_traitsISE_E10value_typeEPNSK_ISF_E10value_typeEPSG_NS1_7vsmem_tEENKUlT_SE_SF_SG_E_clIS8_S8_S9_S9_EESD_ST_SE_SF_SG_EUlST_E0_NS1_11comp_targetILNS1_3genE4ELNS1_11target_archE910ELNS1_3gpuE8ELNS1_3repE0EEENS1_38merge_mergepath_config_static_selectorELNS0_4arch9wavefront6targetE0EEEvSF_
    .private_segment_fixed_size: 0
    .sgpr_count:     0
    .sgpr_spill_count: 0
    .symbol:         _ZN7rocprim17ROCPRIM_400000_NS6detail17trampoline_kernelINS0_14default_configENS1_38merge_sort_block_merge_config_selectorIjNS0_10empty_typeEEEZZNS1_27merge_sort_block_merge_implIS3_PjPS5_jNS1_19radix_merge_compareILb1ELb0EjNS0_19identity_decomposerEEEEE10hipError_tT0_T1_T2_jT3_P12ihipStream_tbPNSt15iterator_traitsISE_E10value_typeEPNSK_ISF_E10value_typeEPSG_NS1_7vsmem_tEENKUlT_SE_SF_SG_E_clIS8_S8_S9_S9_EESD_ST_SE_SF_SG_EUlST_E0_NS1_11comp_targetILNS1_3genE4ELNS1_11target_archE910ELNS1_3gpuE8ELNS1_3repE0EEENS1_38merge_mergepath_config_static_selectorELNS0_4arch9wavefront6targetE0EEEvSF_.kd
    .uniform_work_group_size: 1
    .uses_dynamic_stack: false
    .vgpr_count:     0
    .vgpr_spill_count: 0
    .wavefront_size: 32
  - .args:
      - .offset:         0
        .size:           64
        .value_kind:     by_value
    .group_segment_fixed_size: 0
    .kernarg_segment_align: 8
    .kernarg_segment_size: 64
    .language:       OpenCL C
    .language_version:
      - 2
      - 0
    .max_flat_workgroup_size: 128
    .name:           _ZN7rocprim17ROCPRIM_400000_NS6detail17trampoline_kernelINS0_14default_configENS1_38merge_sort_block_merge_config_selectorIjNS0_10empty_typeEEEZZNS1_27merge_sort_block_merge_implIS3_PjPS5_jNS1_19radix_merge_compareILb1ELb0EjNS0_19identity_decomposerEEEEE10hipError_tT0_T1_T2_jT3_P12ihipStream_tbPNSt15iterator_traitsISE_E10value_typeEPNSK_ISF_E10value_typeEPSG_NS1_7vsmem_tEENKUlT_SE_SF_SG_E_clIS8_S8_S9_S9_EESD_ST_SE_SF_SG_EUlST_E0_NS1_11comp_targetILNS1_3genE3ELNS1_11target_archE908ELNS1_3gpuE7ELNS1_3repE0EEENS1_38merge_mergepath_config_static_selectorELNS0_4arch9wavefront6targetE0EEEvSF_
    .private_segment_fixed_size: 0
    .sgpr_count:     0
    .sgpr_spill_count: 0
    .symbol:         _ZN7rocprim17ROCPRIM_400000_NS6detail17trampoline_kernelINS0_14default_configENS1_38merge_sort_block_merge_config_selectorIjNS0_10empty_typeEEEZZNS1_27merge_sort_block_merge_implIS3_PjPS5_jNS1_19radix_merge_compareILb1ELb0EjNS0_19identity_decomposerEEEEE10hipError_tT0_T1_T2_jT3_P12ihipStream_tbPNSt15iterator_traitsISE_E10value_typeEPNSK_ISF_E10value_typeEPSG_NS1_7vsmem_tEENKUlT_SE_SF_SG_E_clIS8_S8_S9_S9_EESD_ST_SE_SF_SG_EUlST_E0_NS1_11comp_targetILNS1_3genE3ELNS1_11target_archE908ELNS1_3gpuE7ELNS1_3repE0EEENS1_38merge_mergepath_config_static_selectorELNS0_4arch9wavefront6targetE0EEEvSF_.kd
    .uniform_work_group_size: 1
    .uses_dynamic_stack: false
    .vgpr_count:     0
    .vgpr_spill_count: 0
    .wavefront_size: 32
  - .args:
      - .offset:         0
        .size:           64
        .value_kind:     by_value
    .group_segment_fixed_size: 0
    .kernarg_segment_align: 8
    .kernarg_segment_size: 64
    .language:       OpenCL C
    .language_version:
      - 2
      - 0
    .max_flat_workgroup_size: 128
    .name:           _ZN7rocprim17ROCPRIM_400000_NS6detail17trampoline_kernelINS0_14default_configENS1_38merge_sort_block_merge_config_selectorIjNS0_10empty_typeEEEZZNS1_27merge_sort_block_merge_implIS3_PjPS5_jNS1_19radix_merge_compareILb1ELb0EjNS0_19identity_decomposerEEEEE10hipError_tT0_T1_T2_jT3_P12ihipStream_tbPNSt15iterator_traitsISE_E10value_typeEPNSK_ISF_E10value_typeEPSG_NS1_7vsmem_tEENKUlT_SE_SF_SG_E_clIS8_S8_S9_S9_EESD_ST_SE_SF_SG_EUlST_E0_NS1_11comp_targetILNS1_3genE2ELNS1_11target_archE906ELNS1_3gpuE6ELNS1_3repE0EEENS1_38merge_mergepath_config_static_selectorELNS0_4arch9wavefront6targetE0EEEvSF_
    .private_segment_fixed_size: 0
    .sgpr_count:     0
    .sgpr_spill_count: 0
    .symbol:         _ZN7rocprim17ROCPRIM_400000_NS6detail17trampoline_kernelINS0_14default_configENS1_38merge_sort_block_merge_config_selectorIjNS0_10empty_typeEEEZZNS1_27merge_sort_block_merge_implIS3_PjPS5_jNS1_19radix_merge_compareILb1ELb0EjNS0_19identity_decomposerEEEEE10hipError_tT0_T1_T2_jT3_P12ihipStream_tbPNSt15iterator_traitsISE_E10value_typeEPNSK_ISF_E10value_typeEPSG_NS1_7vsmem_tEENKUlT_SE_SF_SG_E_clIS8_S8_S9_S9_EESD_ST_SE_SF_SG_EUlST_E0_NS1_11comp_targetILNS1_3genE2ELNS1_11target_archE906ELNS1_3gpuE6ELNS1_3repE0EEENS1_38merge_mergepath_config_static_selectorELNS0_4arch9wavefront6targetE0EEEvSF_.kd
    .uniform_work_group_size: 1
    .uses_dynamic_stack: false
    .vgpr_count:     0
    .vgpr_spill_count: 0
    .wavefront_size: 32
  - .args:
      - .offset:         0
        .size:           64
        .value_kind:     by_value
    .group_segment_fixed_size: 0
    .kernarg_segment_align: 8
    .kernarg_segment_size: 64
    .language:       OpenCL C
    .language_version:
      - 2
      - 0
    .max_flat_workgroup_size: 256
    .name:           _ZN7rocprim17ROCPRIM_400000_NS6detail17trampoline_kernelINS0_14default_configENS1_38merge_sort_block_merge_config_selectorIjNS0_10empty_typeEEEZZNS1_27merge_sort_block_merge_implIS3_PjPS5_jNS1_19radix_merge_compareILb1ELb0EjNS0_19identity_decomposerEEEEE10hipError_tT0_T1_T2_jT3_P12ihipStream_tbPNSt15iterator_traitsISE_E10value_typeEPNSK_ISF_E10value_typeEPSG_NS1_7vsmem_tEENKUlT_SE_SF_SG_E_clIS8_S8_S9_S9_EESD_ST_SE_SF_SG_EUlST_E0_NS1_11comp_targetILNS1_3genE9ELNS1_11target_archE1100ELNS1_3gpuE3ELNS1_3repE0EEENS1_38merge_mergepath_config_static_selectorELNS0_4arch9wavefront6targetE0EEEvSF_
    .private_segment_fixed_size: 0
    .sgpr_count:     0
    .sgpr_spill_count: 0
    .symbol:         _ZN7rocprim17ROCPRIM_400000_NS6detail17trampoline_kernelINS0_14default_configENS1_38merge_sort_block_merge_config_selectorIjNS0_10empty_typeEEEZZNS1_27merge_sort_block_merge_implIS3_PjPS5_jNS1_19radix_merge_compareILb1ELb0EjNS0_19identity_decomposerEEEEE10hipError_tT0_T1_T2_jT3_P12ihipStream_tbPNSt15iterator_traitsISE_E10value_typeEPNSK_ISF_E10value_typeEPSG_NS1_7vsmem_tEENKUlT_SE_SF_SG_E_clIS8_S8_S9_S9_EESD_ST_SE_SF_SG_EUlST_E0_NS1_11comp_targetILNS1_3genE9ELNS1_11target_archE1100ELNS1_3gpuE3ELNS1_3repE0EEENS1_38merge_mergepath_config_static_selectorELNS0_4arch9wavefront6targetE0EEEvSF_.kd
    .uniform_work_group_size: 1
    .uses_dynamic_stack: false
    .vgpr_count:     0
    .vgpr_spill_count: 0
    .wavefront_size: 32
  - .args:
      - .offset:         0
        .size:           64
        .value_kind:     by_value
    .group_segment_fixed_size: 0
    .kernarg_segment_align: 8
    .kernarg_segment_size: 64
    .language:       OpenCL C
    .language_version:
      - 2
      - 0
    .max_flat_workgroup_size: 512
    .name:           _ZN7rocprim17ROCPRIM_400000_NS6detail17trampoline_kernelINS0_14default_configENS1_38merge_sort_block_merge_config_selectorIjNS0_10empty_typeEEEZZNS1_27merge_sort_block_merge_implIS3_PjPS5_jNS1_19radix_merge_compareILb1ELb0EjNS0_19identity_decomposerEEEEE10hipError_tT0_T1_T2_jT3_P12ihipStream_tbPNSt15iterator_traitsISE_E10value_typeEPNSK_ISF_E10value_typeEPSG_NS1_7vsmem_tEENKUlT_SE_SF_SG_E_clIS8_S8_S9_S9_EESD_ST_SE_SF_SG_EUlST_E0_NS1_11comp_targetILNS1_3genE8ELNS1_11target_archE1030ELNS1_3gpuE2ELNS1_3repE0EEENS1_38merge_mergepath_config_static_selectorELNS0_4arch9wavefront6targetE0EEEvSF_
    .private_segment_fixed_size: 0
    .sgpr_count:     0
    .sgpr_spill_count: 0
    .symbol:         _ZN7rocprim17ROCPRIM_400000_NS6detail17trampoline_kernelINS0_14default_configENS1_38merge_sort_block_merge_config_selectorIjNS0_10empty_typeEEEZZNS1_27merge_sort_block_merge_implIS3_PjPS5_jNS1_19radix_merge_compareILb1ELb0EjNS0_19identity_decomposerEEEEE10hipError_tT0_T1_T2_jT3_P12ihipStream_tbPNSt15iterator_traitsISE_E10value_typeEPNSK_ISF_E10value_typeEPSG_NS1_7vsmem_tEENKUlT_SE_SF_SG_E_clIS8_S8_S9_S9_EESD_ST_SE_SF_SG_EUlST_E0_NS1_11comp_targetILNS1_3genE8ELNS1_11target_archE1030ELNS1_3gpuE2ELNS1_3repE0EEENS1_38merge_mergepath_config_static_selectorELNS0_4arch9wavefront6targetE0EEEvSF_.kd
    .uniform_work_group_size: 1
    .uses_dynamic_stack: false
    .vgpr_count:     0
    .vgpr_spill_count: 0
    .wavefront_size: 32
  - .args:
      - .offset:         0
        .size:           48
        .value_kind:     by_value
    .group_segment_fixed_size: 0
    .kernarg_segment_align: 8
    .kernarg_segment_size: 48
    .language:       OpenCL C
    .language_version:
      - 2
      - 0
    .max_flat_workgroup_size: 256
    .name:           _ZN7rocprim17ROCPRIM_400000_NS6detail17trampoline_kernelINS0_14default_configENS1_38merge_sort_block_merge_config_selectorIjNS0_10empty_typeEEEZZNS1_27merge_sort_block_merge_implIS3_PjPS5_jNS1_19radix_merge_compareILb1ELb0EjNS0_19identity_decomposerEEEEE10hipError_tT0_T1_T2_jT3_P12ihipStream_tbPNSt15iterator_traitsISE_E10value_typeEPNSK_ISF_E10value_typeEPSG_NS1_7vsmem_tEENKUlT_SE_SF_SG_E_clIS8_S8_S9_S9_EESD_ST_SE_SF_SG_EUlST_E1_NS1_11comp_targetILNS1_3genE0ELNS1_11target_archE4294967295ELNS1_3gpuE0ELNS1_3repE0EEENS1_36merge_oddeven_config_static_selectorELNS0_4arch9wavefront6targetE0EEEvSF_
    .private_segment_fixed_size: 0
    .sgpr_count:     18
    .sgpr_spill_count: 0
    .symbol:         _ZN7rocprim17ROCPRIM_400000_NS6detail17trampoline_kernelINS0_14default_configENS1_38merge_sort_block_merge_config_selectorIjNS0_10empty_typeEEEZZNS1_27merge_sort_block_merge_implIS3_PjPS5_jNS1_19radix_merge_compareILb1ELb0EjNS0_19identity_decomposerEEEEE10hipError_tT0_T1_T2_jT3_P12ihipStream_tbPNSt15iterator_traitsISE_E10value_typeEPNSK_ISF_E10value_typeEPSG_NS1_7vsmem_tEENKUlT_SE_SF_SG_E_clIS8_S8_S9_S9_EESD_ST_SE_SF_SG_EUlST_E1_NS1_11comp_targetILNS1_3genE0ELNS1_11target_archE4294967295ELNS1_3gpuE0ELNS1_3repE0EEENS1_36merge_oddeven_config_static_selectorELNS0_4arch9wavefront6targetE0EEEvSF_.kd
    .uniform_work_group_size: 1
    .uses_dynamic_stack: false
    .vgpr_count:     7
    .vgpr_spill_count: 0
    .wavefront_size: 32
  - .args:
      - .offset:         0
        .size:           48
        .value_kind:     by_value
    .group_segment_fixed_size: 0
    .kernarg_segment_align: 8
    .kernarg_segment_size: 48
    .language:       OpenCL C
    .language_version:
      - 2
      - 0
    .max_flat_workgroup_size: 256
    .name:           _ZN7rocprim17ROCPRIM_400000_NS6detail17trampoline_kernelINS0_14default_configENS1_38merge_sort_block_merge_config_selectorIjNS0_10empty_typeEEEZZNS1_27merge_sort_block_merge_implIS3_PjPS5_jNS1_19radix_merge_compareILb1ELb0EjNS0_19identity_decomposerEEEEE10hipError_tT0_T1_T2_jT3_P12ihipStream_tbPNSt15iterator_traitsISE_E10value_typeEPNSK_ISF_E10value_typeEPSG_NS1_7vsmem_tEENKUlT_SE_SF_SG_E_clIS8_S8_S9_S9_EESD_ST_SE_SF_SG_EUlST_E1_NS1_11comp_targetILNS1_3genE10ELNS1_11target_archE1201ELNS1_3gpuE5ELNS1_3repE0EEENS1_36merge_oddeven_config_static_selectorELNS0_4arch9wavefront6targetE0EEEvSF_
    .private_segment_fixed_size: 0
    .sgpr_count:     0
    .sgpr_spill_count: 0
    .symbol:         _ZN7rocprim17ROCPRIM_400000_NS6detail17trampoline_kernelINS0_14default_configENS1_38merge_sort_block_merge_config_selectorIjNS0_10empty_typeEEEZZNS1_27merge_sort_block_merge_implIS3_PjPS5_jNS1_19radix_merge_compareILb1ELb0EjNS0_19identity_decomposerEEEEE10hipError_tT0_T1_T2_jT3_P12ihipStream_tbPNSt15iterator_traitsISE_E10value_typeEPNSK_ISF_E10value_typeEPSG_NS1_7vsmem_tEENKUlT_SE_SF_SG_E_clIS8_S8_S9_S9_EESD_ST_SE_SF_SG_EUlST_E1_NS1_11comp_targetILNS1_3genE10ELNS1_11target_archE1201ELNS1_3gpuE5ELNS1_3repE0EEENS1_36merge_oddeven_config_static_selectorELNS0_4arch9wavefront6targetE0EEEvSF_.kd
    .uniform_work_group_size: 1
    .uses_dynamic_stack: false
    .vgpr_count:     0
    .vgpr_spill_count: 0
    .wavefront_size: 32
  - .args:
      - .offset:         0
        .size:           48
        .value_kind:     by_value
    .group_segment_fixed_size: 0
    .kernarg_segment_align: 8
    .kernarg_segment_size: 48
    .language:       OpenCL C
    .language_version:
      - 2
      - 0
    .max_flat_workgroup_size: 256
    .name:           _ZN7rocprim17ROCPRIM_400000_NS6detail17trampoline_kernelINS0_14default_configENS1_38merge_sort_block_merge_config_selectorIjNS0_10empty_typeEEEZZNS1_27merge_sort_block_merge_implIS3_PjPS5_jNS1_19radix_merge_compareILb1ELb0EjNS0_19identity_decomposerEEEEE10hipError_tT0_T1_T2_jT3_P12ihipStream_tbPNSt15iterator_traitsISE_E10value_typeEPNSK_ISF_E10value_typeEPSG_NS1_7vsmem_tEENKUlT_SE_SF_SG_E_clIS8_S8_S9_S9_EESD_ST_SE_SF_SG_EUlST_E1_NS1_11comp_targetILNS1_3genE5ELNS1_11target_archE942ELNS1_3gpuE9ELNS1_3repE0EEENS1_36merge_oddeven_config_static_selectorELNS0_4arch9wavefront6targetE0EEEvSF_
    .private_segment_fixed_size: 0
    .sgpr_count:     0
    .sgpr_spill_count: 0
    .symbol:         _ZN7rocprim17ROCPRIM_400000_NS6detail17trampoline_kernelINS0_14default_configENS1_38merge_sort_block_merge_config_selectorIjNS0_10empty_typeEEEZZNS1_27merge_sort_block_merge_implIS3_PjPS5_jNS1_19radix_merge_compareILb1ELb0EjNS0_19identity_decomposerEEEEE10hipError_tT0_T1_T2_jT3_P12ihipStream_tbPNSt15iterator_traitsISE_E10value_typeEPNSK_ISF_E10value_typeEPSG_NS1_7vsmem_tEENKUlT_SE_SF_SG_E_clIS8_S8_S9_S9_EESD_ST_SE_SF_SG_EUlST_E1_NS1_11comp_targetILNS1_3genE5ELNS1_11target_archE942ELNS1_3gpuE9ELNS1_3repE0EEENS1_36merge_oddeven_config_static_selectorELNS0_4arch9wavefront6targetE0EEEvSF_.kd
    .uniform_work_group_size: 1
    .uses_dynamic_stack: false
    .vgpr_count:     0
    .vgpr_spill_count: 0
    .wavefront_size: 32
  - .args:
      - .offset:         0
        .size:           48
        .value_kind:     by_value
    .group_segment_fixed_size: 0
    .kernarg_segment_align: 8
    .kernarg_segment_size: 48
    .language:       OpenCL C
    .language_version:
      - 2
      - 0
    .max_flat_workgroup_size: 256
    .name:           _ZN7rocprim17ROCPRIM_400000_NS6detail17trampoline_kernelINS0_14default_configENS1_38merge_sort_block_merge_config_selectorIjNS0_10empty_typeEEEZZNS1_27merge_sort_block_merge_implIS3_PjPS5_jNS1_19radix_merge_compareILb1ELb0EjNS0_19identity_decomposerEEEEE10hipError_tT0_T1_T2_jT3_P12ihipStream_tbPNSt15iterator_traitsISE_E10value_typeEPNSK_ISF_E10value_typeEPSG_NS1_7vsmem_tEENKUlT_SE_SF_SG_E_clIS8_S8_S9_S9_EESD_ST_SE_SF_SG_EUlST_E1_NS1_11comp_targetILNS1_3genE4ELNS1_11target_archE910ELNS1_3gpuE8ELNS1_3repE0EEENS1_36merge_oddeven_config_static_selectorELNS0_4arch9wavefront6targetE0EEEvSF_
    .private_segment_fixed_size: 0
    .sgpr_count:     0
    .sgpr_spill_count: 0
    .symbol:         _ZN7rocprim17ROCPRIM_400000_NS6detail17trampoline_kernelINS0_14default_configENS1_38merge_sort_block_merge_config_selectorIjNS0_10empty_typeEEEZZNS1_27merge_sort_block_merge_implIS3_PjPS5_jNS1_19radix_merge_compareILb1ELb0EjNS0_19identity_decomposerEEEEE10hipError_tT0_T1_T2_jT3_P12ihipStream_tbPNSt15iterator_traitsISE_E10value_typeEPNSK_ISF_E10value_typeEPSG_NS1_7vsmem_tEENKUlT_SE_SF_SG_E_clIS8_S8_S9_S9_EESD_ST_SE_SF_SG_EUlST_E1_NS1_11comp_targetILNS1_3genE4ELNS1_11target_archE910ELNS1_3gpuE8ELNS1_3repE0EEENS1_36merge_oddeven_config_static_selectorELNS0_4arch9wavefront6targetE0EEEvSF_.kd
    .uniform_work_group_size: 1
    .uses_dynamic_stack: false
    .vgpr_count:     0
    .vgpr_spill_count: 0
    .wavefront_size: 32
  - .args:
      - .offset:         0
        .size:           48
        .value_kind:     by_value
    .group_segment_fixed_size: 0
    .kernarg_segment_align: 8
    .kernarg_segment_size: 48
    .language:       OpenCL C
    .language_version:
      - 2
      - 0
    .max_flat_workgroup_size: 256
    .name:           _ZN7rocprim17ROCPRIM_400000_NS6detail17trampoline_kernelINS0_14default_configENS1_38merge_sort_block_merge_config_selectorIjNS0_10empty_typeEEEZZNS1_27merge_sort_block_merge_implIS3_PjPS5_jNS1_19radix_merge_compareILb1ELb0EjNS0_19identity_decomposerEEEEE10hipError_tT0_T1_T2_jT3_P12ihipStream_tbPNSt15iterator_traitsISE_E10value_typeEPNSK_ISF_E10value_typeEPSG_NS1_7vsmem_tEENKUlT_SE_SF_SG_E_clIS8_S8_S9_S9_EESD_ST_SE_SF_SG_EUlST_E1_NS1_11comp_targetILNS1_3genE3ELNS1_11target_archE908ELNS1_3gpuE7ELNS1_3repE0EEENS1_36merge_oddeven_config_static_selectorELNS0_4arch9wavefront6targetE0EEEvSF_
    .private_segment_fixed_size: 0
    .sgpr_count:     0
    .sgpr_spill_count: 0
    .symbol:         _ZN7rocprim17ROCPRIM_400000_NS6detail17trampoline_kernelINS0_14default_configENS1_38merge_sort_block_merge_config_selectorIjNS0_10empty_typeEEEZZNS1_27merge_sort_block_merge_implIS3_PjPS5_jNS1_19radix_merge_compareILb1ELb0EjNS0_19identity_decomposerEEEEE10hipError_tT0_T1_T2_jT3_P12ihipStream_tbPNSt15iterator_traitsISE_E10value_typeEPNSK_ISF_E10value_typeEPSG_NS1_7vsmem_tEENKUlT_SE_SF_SG_E_clIS8_S8_S9_S9_EESD_ST_SE_SF_SG_EUlST_E1_NS1_11comp_targetILNS1_3genE3ELNS1_11target_archE908ELNS1_3gpuE7ELNS1_3repE0EEENS1_36merge_oddeven_config_static_selectorELNS0_4arch9wavefront6targetE0EEEvSF_.kd
    .uniform_work_group_size: 1
    .uses_dynamic_stack: false
    .vgpr_count:     0
    .vgpr_spill_count: 0
    .wavefront_size: 32
  - .args:
      - .offset:         0
        .size:           48
        .value_kind:     by_value
    .group_segment_fixed_size: 0
    .kernarg_segment_align: 8
    .kernarg_segment_size: 48
    .language:       OpenCL C
    .language_version:
      - 2
      - 0
    .max_flat_workgroup_size: 256
    .name:           _ZN7rocprim17ROCPRIM_400000_NS6detail17trampoline_kernelINS0_14default_configENS1_38merge_sort_block_merge_config_selectorIjNS0_10empty_typeEEEZZNS1_27merge_sort_block_merge_implIS3_PjPS5_jNS1_19radix_merge_compareILb1ELb0EjNS0_19identity_decomposerEEEEE10hipError_tT0_T1_T2_jT3_P12ihipStream_tbPNSt15iterator_traitsISE_E10value_typeEPNSK_ISF_E10value_typeEPSG_NS1_7vsmem_tEENKUlT_SE_SF_SG_E_clIS8_S8_S9_S9_EESD_ST_SE_SF_SG_EUlST_E1_NS1_11comp_targetILNS1_3genE2ELNS1_11target_archE906ELNS1_3gpuE6ELNS1_3repE0EEENS1_36merge_oddeven_config_static_selectorELNS0_4arch9wavefront6targetE0EEEvSF_
    .private_segment_fixed_size: 0
    .sgpr_count:     0
    .sgpr_spill_count: 0
    .symbol:         _ZN7rocprim17ROCPRIM_400000_NS6detail17trampoline_kernelINS0_14default_configENS1_38merge_sort_block_merge_config_selectorIjNS0_10empty_typeEEEZZNS1_27merge_sort_block_merge_implIS3_PjPS5_jNS1_19radix_merge_compareILb1ELb0EjNS0_19identity_decomposerEEEEE10hipError_tT0_T1_T2_jT3_P12ihipStream_tbPNSt15iterator_traitsISE_E10value_typeEPNSK_ISF_E10value_typeEPSG_NS1_7vsmem_tEENKUlT_SE_SF_SG_E_clIS8_S8_S9_S9_EESD_ST_SE_SF_SG_EUlST_E1_NS1_11comp_targetILNS1_3genE2ELNS1_11target_archE906ELNS1_3gpuE6ELNS1_3repE0EEENS1_36merge_oddeven_config_static_selectorELNS0_4arch9wavefront6targetE0EEEvSF_.kd
    .uniform_work_group_size: 1
    .uses_dynamic_stack: false
    .vgpr_count:     0
    .vgpr_spill_count: 0
    .wavefront_size: 32
  - .args:
      - .offset:         0
        .size:           48
        .value_kind:     by_value
    .group_segment_fixed_size: 0
    .kernarg_segment_align: 8
    .kernarg_segment_size: 48
    .language:       OpenCL C
    .language_version:
      - 2
      - 0
    .max_flat_workgroup_size: 256
    .name:           _ZN7rocprim17ROCPRIM_400000_NS6detail17trampoline_kernelINS0_14default_configENS1_38merge_sort_block_merge_config_selectorIjNS0_10empty_typeEEEZZNS1_27merge_sort_block_merge_implIS3_PjPS5_jNS1_19radix_merge_compareILb1ELb0EjNS0_19identity_decomposerEEEEE10hipError_tT0_T1_T2_jT3_P12ihipStream_tbPNSt15iterator_traitsISE_E10value_typeEPNSK_ISF_E10value_typeEPSG_NS1_7vsmem_tEENKUlT_SE_SF_SG_E_clIS8_S8_S9_S9_EESD_ST_SE_SF_SG_EUlST_E1_NS1_11comp_targetILNS1_3genE9ELNS1_11target_archE1100ELNS1_3gpuE3ELNS1_3repE0EEENS1_36merge_oddeven_config_static_selectorELNS0_4arch9wavefront6targetE0EEEvSF_
    .private_segment_fixed_size: 0
    .sgpr_count:     0
    .sgpr_spill_count: 0
    .symbol:         _ZN7rocprim17ROCPRIM_400000_NS6detail17trampoline_kernelINS0_14default_configENS1_38merge_sort_block_merge_config_selectorIjNS0_10empty_typeEEEZZNS1_27merge_sort_block_merge_implIS3_PjPS5_jNS1_19radix_merge_compareILb1ELb0EjNS0_19identity_decomposerEEEEE10hipError_tT0_T1_T2_jT3_P12ihipStream_tbPNSt15iterator_traitsISE_E10value_typeEPNSK_ISF_E10value_typeEPSG_NS1_7vsmem_tEENKUlT_SE_SF_SG_E_clIS8_S8_S9_S9_EESD_ST_SE_SF_SG_EUlST_E1_NS1_11comp_targetILNS1_3genE9ELNS1_11target_archE1100ELNS1_3gpuE3ELNS1_3repE0EEENS1_36merge_oddeven_config_static_selectorELNS0_4arch9wavefront6targetE0EEEvSF_.kd
    .uniform_work_group_size: 1
    .uses_dynamic_stack: false
    .vgpr_count:     0
    .vgpr_spill_count: 0
    .wavefront_size: 32
  - .args:
      - .offset:         0
        .size:           48
        .value_kind:     by_value
    .group_segment_fixed_size: 0
    .kernarg_segment_align: 8
    .kernarg_segment_size: 48
    .language:       OpenCL C
    .language_version:
      - 2
      - 0
    .max_flat_workgroup_size: 256
    .name:           _ZN7rocprim17ROCPRIM_400000_NS6detail17trampoline_kernelINS0_14default_configENS1_38merge_sort_block_merge_config_selectorIjNS0_10empty_typeEEEZZNS1_27merge_sort_block_merge_implIS3_PjPS5_jNS1_19radix_merge_compareILb1ELb0EjNS0_19identity_decomposerEEEEE10hipError_tT0_T1_T2_jT3_P12ihipStream_tbPNSt15iterator_traitsISE_E10value_typeEPNSK_ISF_E10value_typeEPSG_NS1_7vsmem_tEENKUlT_SE_SF_SG_E_clIS8_S8_S9_S9_EESD_ST_SE_SF_SG_EUlST_E1_NS1_11comp_targetILNS1_3genE8ELNS1_11target_archE1030ELNS1_3gpuE2ELNS1_3repE0EEENS1_36merge_oddeven_config_static_selectorELNS0_4arch9wavefront6targetE0EEEvSF_
    .private_segment_fixed_size: 0
    .sgpr_count:     0
    .sgpr_spill_count: 0
    .symbol:         _ZN7rocprim17ROCPRIM_400000_NS6detail17trampoline_kernelINS0_14default_configENS1_38merge_sort_block_merge_config_selectorIjNS0_10empty_typeEEEZZNS1_27merge_sort_block_merge_implIS3_PjPS5_jNS1_19radix_merge_compareILb1ELb0EjNS0_19identity_decomposerEEEEE10hipError_tT0_T1_T2_jT3_P12ihipStream_tbPNSt15iterator_traitsISE_E10value_typeEPNSK_ISF_E10value_typeEPSG_NS1_7vsmem_tEENKUlT_SE_SF_SG_E_clIS8_S8_S9_S9_EESD_ST_SE_SF_SG_EUlST_E1_NS1_11comp_targetILNS1_3genE8ELNS1_11target_archE1030ELNS1_3gpuE2ELNS1_3repE0EEENS1_36merge_oddeven_config_static_selectorELNS0_4arch9wavefront6targetE0EEEvSF_.kd
    .uniform_work_group_size: 1
    .uses_dynamic_stack: false
    .vgpr_count:     0
    .vgpr_spill_count: 0
    .wavefront_size: 32
  - .args:
      - .offset:         0
        .size:           40
        .value_kind:     by_value
      - .offset:         40
        .size:           4
        .value_kind:     hidden_block_count_x
      - .offset:         44
        .size:           4
        .value_kind:     hidden_block_count_y
      - .offset:         48
        .size:           4
        .value_kind:     hidden_block_count_z
      - .offset:         52
        .size:           2
        .value_kind:     hidden_group_size_x
      - .offset:         54
        .size:           2
        .value_kind:     hidden_group_size_y
      - .offset:         56
        .size:           2
        .value_kind:     hidden_group_size_z
      - .offset:         58
        .size:           2
        .value_kind:     hidden_remainder_x
      - .offset:         60
        .size:           2
        .value_kind:     hidden_remainder_y
      - .offset:         62
        .size:           2
        .value_kind:     hidden_remainder_z
      - .offset:         80
        .size:           8
        .value_kind:     hidden_global_offset_x
      - .offset:         88
        .size:           8
        .value_kind:     hidden_global_offset_y
      - .offset:         96
        .size:           8
        .value_kind:     hidden_global_offset_z
      - .offset:         104
        .size:           2
        .value_kind:     hidden_grid_dims
    .group_segment_fixed_size: 0
    .kernarg_segment_align: 8
    .kernarg_segment_size: 296
    .language:       OpenCL C
    .language_version:
      - 2
      - 0
    .max_flat_workgroup_size: 128
    .name:           _ZN7rocprim17ROCPRIM_400000_NS6detail17trampoline_kernelINS0_14default_configENS1_25transform_config_selectorIjLb1EEEZNS1_14transform_implILb1ES3_S5_PjS7_NS0_8identityIjEEEE10hipError_tT2_T3_mT4_P12ihipStream_tbEUlT_E_NS1_11comp_targetILNS1_3genE0ELNS1_11target_archE4294967295ELNS1_3gpuE0ELNS1_3repE0EEENS1_30default_config_static_selectorELNS0_4arch9wavefront6targetE0EEEvT1_
    .private_segment_fixed_size: 0
    .sgpr_count:     16
    .sgpr_spill_count: 0
    .symbol:         _ZN7rocprim17ROCPRIM_400000_NS6detail17trampoline_kernelINS0_14default_configENS1_25transform_config_selectorIjLb1EEEZNS1_14transform_implILb1ES3_S5_PjS7_NS0_8identityIjEEEE10hipError_tT2_T3_mT4_P12ihipStream_tbEUlT_E_NS1_11comp_targetILNS1_3genE0ELNS1_11target_archE4294967295ELNS1_3gpuE0ELNS1_3repE0EEENS1_30default_config_static_selectorELNS0_4arch9wavefront6targetE0EEEvT1_.kd
    .uniform_work_group_size: 1
    .uses_dynamic_stack: false
    .vgpr_count:     4
    .vgpr_spill_count: 0
    .wavefront_size: 32
  - .args:
      - .offset:         0
        .size:           40
        .value_kind:     by_value
    .group_segment_fixed_size: 0
    .kernarg_segment_align: 8
    .kernarg_segment_size: 40
    .language:       OpenCL C
    .language_version:
      - 2
      - 0
    .max_flat_workgroup_size: 1024
    .name:           _ZN7rocprim17ROCPRIM_400000_NS6detail17trampoline_kernelINS0_14default_configENS1_25transform_config_selectorIjLb1EEEZNS1_14transform_implILb1ES3_S5_PjS7_NS0_8identityIjEEEE10hipError_tT2_T3_mT4_P12ihipStream_tbEUlT_E_NS1_11comp_targetILNS1_3genE10ELNS1_11target_archE1201ELNS1_3gpuE5ELNS1_3repE0EEENS1_30default_config_static_selectorELNS0_4arch9wavefront6targetE0EEEvT1_
    .private_segment_fixed_size: 0
    .sgpr_count:     0
    .sgpr_spill_count: 0
    .symbol:         _ZN7rocprim17ROCPRIM_400000_NS6detail17trampoline_kernelINS0_14default_configENS1_25transform_config_selectorIjLb1EEEZNS1_14transform_implILb1ES3_S5_PjS7_NS0_8identityIjEEEE10hipError_tT2_T3_mT4_P12ihipStream_tbEUlT_E_NS1_11comp_targetILNS1_3genE10ELNS1_11target_archE1201ELNS1_3gpuE5ELNS1_3repE0EEENS1_30default_config_static_selectorELNS0_4arch9wavefront6targetE0EEEvT1_.kd
    .uniform_work_group_size: 1
    .uses_dynamic_stack: false
    .vgpr_count:     0
    .vgpr_spill_count: 0
    .wavefront_size: 32
  - .args:
      - .offset:         0
        .size:           40
        .value_kind:     by_value
    .group_segment_fixed_size: 0
    .kernarg_segment_align: 8
    .kernarg_segment_size: 40
    .language:       OpenCL C
    .language_version:
      - 2
      - 0
    .max_flat_workgroup_size: 256
    .name:           _ZN7rocprim17ROCPRIM_400000_NS6detail17trampoline_kernelINS0_14default_configENS1_25transform_config_selectorIjLb1EEEZNS1_14transform_implILb1ES3_S5_PjS7_NS0_8identityIjEEEE10hipError_tT2_T3_mT4_P12ihipStream_tbEUlT_E_NS1_11comp_targetILNS1_3genE5ELNS1_11target_archE942ELNS1_3gpuE9ELNS1_3repE0EEENS1_30default_config_static_selectorELNS0_4arch9wavefront6targetE0EEEvT1_
    .private_segment_fixed_size: 0
    .sgpr_count:     0
    .sgpr_spill_count: 0
    .symbol:         _ZN7rocprim17ROCPRIM_400000_NS6detail17trampoline_kernelINS0_14default_configENS1_25transform_config_selectorIjLb1EEEZNS1_14transform_implILb1ES3_S5_PjS7_NS0_8identityIjEEEE10hipError_tT2_T3_mT4_P12ihipStream_tbEUlT_E_NS1_11comp_targetILNS1_3genE5ELNS1_11target_archE942ELNS1_3gpuE9ELNS1_3repE0EEENS1_30default_config_static_selectorELNS0_4arch9wavefront6targetE0EEEvT1_.kd
    .uniform_work_group_size: 1
    .uses_dynamic_stack: false
    .vgpr_count:     0
    .vgpr_spill_count: 0
    .wavefront_size: 32
  - .args:
      - .offset:         0
        .size:           40
        .value_kind:     by_value
    .group_segment_fixed_size: 0
    .kernarg_segment_align: 8
    .kernarg_segment_size: 40
    .language:       OpenCL C
    .language_version:
      - 2
      - 0
    .max_flat_workgroup_size: 1024
    .name:           _ZN7rocprim17ROCPRIM_400000_NS6detail17trampoline_kernelINS0_14default_configENS1_25transform_config_selectorIjLb1EEEZNS1_14transform_implILb1ES3_S5_PjS7_NS0_8identityIjEEEE10hipError_tT2_T3_mT4_P12ihipStream_tbEUlT_E_NS1_11comp_targetILNS1_3genE4ELNS1_11target_archE910ELNS1_3gpuE8ELNS1_3repE0EEENS1_30default_config_static_selectorELNS0_4arch9wavefront6targetE0EEEvT1_
    .private_segment_fixed_size: 0
    .sgpr_count:     0
    .sgpr_spill_count: 0
    .symbol:         _ZN7rocprim17ROCPRIM_400000_NS6detail17trampoline_kernelINS0_14default_configENS1_25transform_config_selectorIjLb1EEEZNS1_14transform_implILb1ES3_S5_PjS7_NS0_8identityIjEEEE10hipError_tT2_T3_mT4_P12ihipStream_tbEUlT_E_NS1_11comp_targetILNS1_3genE4ELNS1_11target_archE910ELNS1_3gpuE8ELNS1_3repE0EEENS1_30default_config_static_selectorELNS0_4arch9wavefront6targetE0EEEvT1_.kd
    .uniform_work_group_size: 1
    .uses_dynamic_stack: false
    .vgpr_count:     0
    .vgpr_spill_count: 0
    .wavefront_size: 32
  - .args:
      - .offset:         0
        .size:           40
        .value_kind:     by_value
    .group_segment_fixed_size: 0
    .kernarg_segment_align: 8
    .kernarg_segment_size: 40
    .language:       OpenCL C
    .language_version:
      - 2
      - 0
    .max_flat_workgroup_size: 128
    .name:           _ZN7rocprim17ROCPRIM_400000_NS6detail17trampoline_kernelINS0_14default_configENS1_25transform_config_selectorIjLb1EEEZNS1_14transform_implILb1ES3_S5_PjS7_NS0_8identityIjEEEE10hipError_tT2_T3_mT4_P12ihipStream_tbEUlT_E_NS1_11comp_targetILNS1_3genE3ELNS1_11target_archE908ELNS1_3gpuE7ELNS1_3repE0EEENS1_30default_config_static_selectorELNS0_4arch9wavefront6targetE0EEEvT1_
    .private_segment_fixed_size: 0
    .sgpr_count:     0
    .sgpr_spill_count: 0
    .symbol:         _ZN7rocprim17ROCPRIM_400000_NS6detail17trampoline_kernelINS0_14default_configENS1_25transform_config_selectorIjLb1EEEZNS1_14transform_implILb1ES3_S5_PjS7_NS0_8identityIjEEEE10hipError_tT2_T3_mT4_P12ihipStream_tbEUlT_E_NS1_11comp_targetILNS1_3genE3ELNS1_11target_archE908ELNS1_3gpuE7ELNS1_3repE0EEENS1_30default_config_static_selectorELNS0_4arch9wavefront6targetE0EEEvT1_.kd
    .uniform_work_group_size: 1
    .uses_dynamic_stack: false
    .vgpr_count:     0
    .vgpr_spill_count: 0
    .wavefront_size: 32
  - .args:
      - .offset:         0
        .size:           40
        .value_kind:     by_value
    .group_segment_fixed_size: 0
    .kernarg_segment_align: 8
    .kernarg_segment_size: 40
    .language:       OpenCL C
    .language_version:
      - 2
      - 0
    .max_flat_workgroup_size: 1024
    .name:           _ZN7rocprim17ROCPRIM_400000_NS6detail17trampoline_kernelINS0_14default_configENS1_25transform_config_selectorIjLb1EEEZNS1_14transform_implILb1ES3_S5_PjS7_NS0_8identityIjEEEE10hipError_tT2_T3_mT4_P12ihipStream_tbEUlT_E_NS1_11comp_targetILNS1_3genE2ELNS1_11target_archE906ELNS1_3gpuE6ELNS1_3repE0EEENS1_30default_config_static_selectorELNS0_4arch9wavefront6targetE0EEEvT1_
    .private_segment_fixed_size: 0
    .sgpr_count:     0
    .sgpr_spill_count: 0
    .symbol:         _ZN7rocprim17ROCPRIM_400000_NS6detail17trampoline_kernelINS0_14default_configENS1_25transform_config_selectorIjLb1EEEZNS1_14transform_implILb1ES3_S5_PjS7_NS0_8identityIjEEEE10hipError_tT2_T3_mT4_P12ihipStream_tbEUlT_E_NS1_11comp_targetILNS1_3genE2ELNS1_11target_archE906ELNS1_3gpuE6ELNS1_3repE0EEENS1_30default_config_static_selectorELNS0_4arch9wavefront6targetE0EEEvT1_.kd
    .uniform_work_group_size: 1
    .uses_dynamic_stack: false
    .vgpr_count:     0
    .vgpr_spill_count: 0
    .wavefront_size: 32
  - .args:
      - .offset:         0
        .size:           40
        .value_kind:     by_value
    .group_segment_fixed_size: 0
    .kernarg_segment_align: 8
    .kernarg_segment_size: 40
    .language:       OpenCL C
    .language_version:
      - 2
      - 0
    .max_flat_workgroup_size: 1024
    .name:           _ZN7rocprim17ROCPRIM_400000_NS6detail17trampoline_kernelINS0_14default_configENS1_25transform_config_selectorIjLb1EEEZNS1_14transform_implILb1ES3_S5_PjS7_NS0_8identityIjEEEE10hipError_tT2_T3_mT4_P12ihipStream_tbEUlT_E_NS1_11comp_targetILNS1_3genE9ELNS1_11target_archE1100ELNS1_3gpuE3ELNS1_3repE0EEENS1_30default_config_static_selectorELNS0_4arch9wavefront6targetE0EEEvT1_
    .private_segment_fixed_size: 0
    .sgpr_count:     0
    .sgpr_spill_count: 0
    .symbol:         _ZN7rocprim17ROCPRIM_400000_NS6detail17trampoline_kernelINS0_14default_configENS1_25transform_config_selectorIjLb1EEEZNS1_14transform_implILb1ES3_S5_PjS7_NS0_8identityIjEEEE10hipError_tT2_T3_mT4_P12ihipStream_tbEUlT_E_NS1_11comp_targetILNS1_3genE9ELNS1_11target_archE1100ELNS1_3gpuE3ELNS1_3repE0EEENS1_30default_config_static_selectorELNS0_4arch9wavefront6targetE0EEEvT1_.kd
    .uniform_work_group_size: 1
    .uses_dynamic_stack: false
    .vgpr_count:     0
    .vgpr_spill_count: 0
    .wavefront_size: 32
  - .args:
      - .offset:         0
        .size:           40
        .value_kind:     by_value
    .group_segment_fixed_size: 0
    .kernarg_segment_align: 8
    .kernarg_segment_size: 40
    .language:       OpenCL C
    .language_version:
      - 2
      - 0
    .max_flat_workgroup_size: 1024
    .name:           _ZN7rocprim17ROCPRIM_400000_NS6detail17trampoline_kernelINS0_14default_configENS1_25transform_config_selectorIjLb1EEEZNS1_14transform_implILb1ES3_S5_PjS7_NS0_8identityIjEEEE10hipError_tT2_T3_mT4_P12ihipStream_tbEUlT_E_NS1_11comp_targetILNS1_3genE8ELNS1_11target_archE1030ELNS1_3gpuE2ELNS1_3repE0EEENS1_30default_config_static_selectorELNS0_4arch9wavefront6targetE0EEEvT1_
    .private_segment_fixed_size: 0
    .sgpr_count:     0
    .sgpr_spill_count: 0
    .symbol:         _ZN7rocprim17ROCPRIM_400000_NS6detail17trampoline_kernelINS0_14default_configENS1_25transform_config_selectorIjLb1EEEZNS1_14transform_implILb1ES3_S5_PjS7_NS0_8identityIjEEEE10hipError_tT2_T3_mT4_P12ihipStream_tbEUlT_E_NS1_11comp_targetILNS1_3genE8ELNS1_11target_archE1030ELNS1_3gpuE2ELNS1_3repE0EEENS1_30default_config_static_selectorELNS0_4arch9wavefront6targetE0EEEvT1_.kd
    .uniform_work_group_size: 1
    .uses_dynamic_stack: false
    .vgpr_count:     0
    .vgpr_spill_count: 0
    .wavefront_size: 32
  - .args:
      - .offset:         0
        .size:           40
        .value_kind:     by_value
    .group_segment_fixed_size: 0
    .kernarg_segment_align: 8
    .kernarg_segment_size: 40
    .language:       OpenCL C
    .language_version:
      - 2
      - 0
    .max_flat_workgroup_size: 128
    .name:           _ZN7rocprim17ROCPRIM_400000_NS6detail17trampoline_kernelINS0_14default_configENS1_38merge_sort_block_merge_config_selectorIjNS0_10empty_typeEEEZZNS1_27merge_sort_block_merge_implIS3_PjPS5_jNS1_19radix_merge_compareILb1ELb1EjNS0_19identity_decomposerEEEEE10hipError_tT0_T1_T2_jT3_P12ihipStream_tbPNSt15iterator_traitsISE_E10value_typeEPNSK_ISF_E10value_typeEPSG_NS1_7vsmem_tEENKUlT_SE_SF_SG_E_clIS8_S8_S9_S9_EESD_ST_SE_SF_SG_EUlST_E_NS1_11comp_targetILNS1_3genE0ELNS1_11target_archE4294967295ELNS1_3gpuE0ELNS1_3repE0EEENS1_48merge_mergepath_partition_config_static_selectorELNS0_4arch9wavefront6targetE0EEEvSF_
    .private_segment_fixed_size: 0
    .sgpr_count:     10
    .sgpr_spill_count: 0
    .symbol:         _ZN7rocprim17ROCPRIM_400000_NS6detail17trampoline_kernelINS0_14default_configENS1_38merge_sort_block_merge_config_selectorIjNS0_10empty_typeEEEZZNS1_27merge_sort_block_merge_implIS3_PjPS5_jNS1_19radix_merge_compareILb1ELb1EjNS0_19identity_decomposerEEEEE10hipError_tT0_T1_T2_jT3_P12ihipStream_tbPNSt15iterator_traitsISE_E10value_typeEPNSK_ISF_E10value_typeEPSG_NS1_7vsmem_tEENKUlT_SE_SF_SG_E_clIS8_S8_S9_S9_EESD_ST_SE_SF_SG_EUlST_E_NS1_11comp_targetILNS1_3genE0ELNS1_11target_archE4294967295ELNS1_3gpuE0ELNS1_3repE0EEENS1_48merge_mergepath_partition_config_static_selectorELNS0_4arch9wavefront6targetE0EEEvSF_.kd
    .uniform_work_group_size: 1
    .uses_dynamic_stack: false
    .vgpr_count:     17
    .vgpr_spill_count: 0
    .wavefront_size: 32
  - .args:
      - .offset:         0
        .size:           40
        .value_kind:     by_value
    .group_segment_fixed_size: 0
    .kernarg_segment_align: 8
    .kernarg_segment_size: 40
    .language:       OpenCL C
    .language_version:
      - 2
      - 0
    .max_flat_workgroup_size: 128
    .name:           _ZN7rocprim17ROCPRIM_400000_NS6detail17trampoline_kernelINS0_14default_configENS1_38merge_sort_block_merge_config_selectorIjNS0_10empty_typeEEEZZNS1_27merge_sort_block_merge_implIS3_PjPS5_jNS1_19radix_merge_compareILb1ELb1EjNS0_19identity_decomposerEEEEE10hipError_tT0_T1_T2_jT3_P12ihipStream_tbPNSt15iterator_traitsISE_E10value_typeEPNSK_ISF_E10value_typeEPSG_NS1_7vsmem_tEENKUlT_SE_SF_SG_E_clIS8_S8_S9_S9_EESD_ST_SE_SF_SG_EUlST_E_NS1_11comp_targetILNS1_3genE10ELNS1_11target_archE1201ELNS1_3gpuE5ELNS1_3repE0EEENS1_48merge_mergepath_partition_config_static_selectorELNS0_4arch9wavefront6targetE0EEEvSF_
    .private_segment_fixed_size: 0
    .sgpr_count:     0
    .sgpr_spill_count: 0
    .symbol:         _ZN7rocprim17ROCPRIM_400000_NS6detail17trampoline_kernelINS0_14default_configENS1_38merge_sort_block_merge_config_selectorIjNS0_10empty_typeEEEZZNS1_27merge_sort_block_merge_implIS3_PjPS5_jNS1_19radix_merge_compareILb1ELb1EjNS0_19identity_decomposerEEEEE10hipError_tT0_T1_T2_jT3_P12ihipStream_tbPNSt15iterator_traitsISE_E10value_typeEPNSK_ISF_E10value_typeEPSG_NS1_7vsmem_tEENKUlT_SE_SF_SG_E_clIS8_S8_S9_S9_EESD_ST_SE_SF_SG_EUlST_E_NS1_11comp_targetILNS1_3genE10ELNS1_11target_archE1201ELNS1_3gpuE5ELNS1_3repE0EEENS1_48merge_mergepath_partition_config_static_selectorELNS0_4arch9wavefront6targetE0EEEvSF_.kd
    .uniform_work_group_size: 1
    .uses_dynamic_stack: false
    .vgpr_count:     0
    .vgpr_spill_count: 0
    .wavefront_size: 32
  - .args:
      - .offset:         0
        .size:           40
        .value_kind:     by_value
    .group_segment_fixed_size: 0
    .kernarg_segment_align: 8
    .kernarg_segment_size: 40
    .language:       OpenCL C
    .language_version:
      - 2
      - 0
    .max_flat_workgroup_size: 128
    .name:           _ZN7rocprim17ROCPRIM_400000_NS6detail17trampoline_kernelINS0_14default_configENS1_38merge_sort_block_merge_config_selectorIjNS0_10empty_typeEEEZZNS1_27merge_sort_block_merge_implIS3_PjPS5_jNS1_19radix_merge_compareILb1ELb1EjNS0_19identity_decomposerEEEEE10hipError_tT0_T1_T2_jT3_P12ihipStream_tbPNSt15iterator_traitsISE_E10value_typeEPNSK_ISF_E10value_typeEPSG_NS1_7vsmem_tEENKUlT_SE_SF_SG_E_clIS8_S8_S9_S9_EESD_ST_SE_SF_SG_EUlST_E_NS1_11comp_targetILNS1_3genE5ELNS1_11target_archE942ELNS1_3gpuE9ELNS1_3repE0EEENS1_48merge_mergepath_partition_config_static_selectorELNS0_4arch9wavefront6targetE0EEEvSF_
    .private_segment_fixed_size: 0
    .sgpr_count:     0
    .sgpr_spill_count: 0
    .symbol:         _ZN7rocprim17ROCPRIM_400000_NS6detail17trampoline_kernelINS0_14default_configENS1_38merge_sort_block_merge_config_selectorIjNS0_10empty_typeEEEZZNS1_27merge_sort_block_merge_implIS3_PjPS5_jNS1_19radix_merge_compareILb1ELb1EjNS0_19identity_decomposerEEEEE10hipError_tT0_T1_T2_jT3_P12ihipStream_tbPNSt15iterator_traitsISE_E10value_typeEPNSK_ISF_E10value_typeEPSG_NS1_7vsmem_tEENKUlT_SE_SF_SG_E_clIS8_S8_S9_S9_EESD_ST_SE_SF_SG_EUlST_E_NS1_11comp_targetILNS1_3genE5ELNS1_11target_archE942ELNS1_3gpuE9ELNS1_3repE0EEENS1_48merge_mergepath_partition_config_static_selectorELNS0_4arch9wavefront6targetE0EEEvSF_.kd
    .uniform_work_group_size: 1
    .uses_dynamic_stack: false
    .vgpr_count:     0
    .vgpr_spill_count: 0
    .wavefront_size: 32
  - .args:
      - .offset:         0
        .size:           40
        .value_kind:     by_value
    .group_segment_fixed_size: 0
    .kernarg_segment_align: 8
    .kernarg_segment_size: 40
    .language:       OpenCL C
    .language_version:
      - 2
      - 0
    .max_flat_workgroup_size: 128
    .name:           _ZN7rocprim17ROCPRIM_400000_NS6detail17trampoline_kernelINS0_14default_configENS1_38merge_sort_block_merge_config_selectorIjNS0_10empty_typeEEEZZNS1_27merge_sort_block_merge_implIS3_PjPS5_jNS1_19radix_merge_compareILb1ELb1EjNS0_19identity_decomposerEEEEE10hipError_tT0_T1_T2_jT3_P12ihipStream_tbPNSt15iterator_traitsISE_E10value_typeEPNSK_ISF_E10value_typeEPSG_NS1_7vsmem_tEENKUlT_SE_SF_SG_E_clIS8_S8_S9_S9_EESD_ST_SE_SF_SG_EUlST_E_NS1_11comp_targetILNS1_3genE4ELNS1_11target_archE910ELNS1_3gpuE8ELNS1_3repE0EEENS1_48merge_mergepath_partition_config_static_selectorELNS0_4arch9wavefront6targetE0EEEvSF_
    .private_segment_fixed_size: 0
    .sgpr_count:     0
    .sgpr_spill_count: 0
    .symbol:         _ZN7rocprim17ROCPRIM_400000_NS6detail17trampoline_kernelINS0_14default_configENS1_38merge_sort_block_merge_config_selectorIjNS0_10empty_typeEEEZZNS1_27merge_sort_block_merge_implIS3_PjPS5_jNS1_19radix_merge_compareILb1ELb1EjNS0_19identity_decomposerEEEEE10hipError_tT0_T1_T2_jT3_P12ihipStream_tbPNSt15iterator_traitsISE_E10value_typeEPNSK_ISF_E10value_typeEPSG_NS1_7vsmem_tEENKUlT_SE_SF_SG_E_clIS8_S8_S9_S9_EESD_ST_SE_SF_SG_EUlST_E_NS1_11comp_targetILNS1_3genE4ELNS1_11target_archE910ELNS1_3gpuE8ELNS1_3repE0EEENS1_48merge_mergepath_partition_config_static_selectorELNS0_4arch9wavefront6targetE0EEEvSF_.kd
    .uniform_work_group_size: 1
    .uses_dynamic_stack: false
    .vgpr_count:     0
    .vgpr_spill_count: 0
    .wavefront_size: 32
  - .args:
      - .offset:         0
        .size:           40
        .value_kind:     by_value
    .group_segment_fixed_size: 0
    .kernarg_segment_align: 8
    .kernarg_segment_size: 40
    .language:       OpenCL C
    .language_version:
      - 2
      - 0
    .max_flat_workgroup_size: 128
    .name:           _ZN7rocprim17ROCPRIM_400000_NS6detail17trampoline_kernelINS0_14default_configENS1_38merge_sort_block_merge_config_selectorIjNS0_10empty_typeEEEZZNS1_27merge_sort_block_merge_implIS3_PjPS5_jNS1_19radix_merge_compareILb1ELb1EjNS0_19identity_decomposerEEEEE10hipError_tT0_T1_T2_jT3_P12ihipStream_tbPNSt15iterator_traitsISE_E10value_typeEPNSK_ISF_E10value_typeEPSG_NS1_7vsmem_tEENKUlT_SE_SF_SG_E_clIS8_S8_S9_S9_EESD_ST_SE_SF_SG_EUlST_E_NS1_11comp_targetILNS1_3genE3ELNS1_11target_archE908ELNS1_3gpuE7ELNS1_3repE0EEENS1_48merge_mergepath_partition_config_static_selectorELNS0_4arch9wavefront6targetE0EEEvSF_
    .private_segment_fixed_size: 0
    .sgpr_count:     0
    .sgpr_spill_count: 0
    .symbol:         _ZN7rocprim17ROCPRIM_400000_NS6detail17trampoline_kernelINS0_14default_configENS1_38merge_sort_block_merge_config_selectorIjNS0_10empty_typeEEEZZNS1_27merge_sort_block_merge_implIS3_PjPS5_jNS1_19radix_merge_compareILb1ELb1EjNS0_19identity_decomposerEEEEE10hipError_tT0_T1_T2_jT3_P12ihipStream_tbPNSt15iterator_traitsISE_E10value_typeEPNSK_ISF_E10value_typeEPSG_NS1_7vsmem_tEENKUlT_SE_SF_SG_E_clIS8_S8_S9_S9_EESD_ST_SE_SF_SG_EUlST_E_NS1_11comp_targetILNS1_3genE3ELNS1_11target_archE908ELNS1_3gpuE7ELNS1_3repE0EEENS1_48merge_mergepath_partition_config_static_selectorELNS0_4arch9wavefront6targetE0EEEvSF_.kd
    .uniform_work_group_size: 1
    .uses_dynamic_stack: false
    .vgpr_count:     0
    .vgpr_spill_count: 0
    .wavefront_size: 32
  - .args:
      - .offset:         0
        .size:           40
        .value_kind:     by_value
    .group_segment_fixed_size: 0
    .kernarg_segment_align: 8
    .kernarg_segment_size: 40
    .language:       OpenCL C
    .language_version:
      - 2
      - 0
    .max_flat_workgroup_size: 128
    .name:           _ZN7rocprim17ROCPRIM_400000_NS6detail17trampoline_kernelINS0_14default_configENS1_38merge_sort_block_merge_config_selectorIjNS0_10empty_typeEEEZZNS1_27merge_sort_block_merge_implIS3_PjPS5_jNS1_19radix_merge_compareILb1ELb1EjNS0_19identity_decomposerEEEEE10hipError_tT0_T1_T2_jT3_P12ihipStream_tbPNSt15iterator_traitsISE_E10value_typeEPNSK_ISF_E10value_typeEPSG_NS1_7vsmem_tEENKUlT_SE_SF_SG_E_clIS8_S8_S9_S9_EESD_ST_SE_SF_SG_EUlST_E_NS1_11comp_targetILNS1_3genE2ELNS1_11target_archE906ELNS1_3gpuE6ELNS1_3repE0EEENS1_48merge_mergepath_partition_config_static_selectorELNS0_4arch9wavefront6targetE0EEEvSF_
    .private_segment_fixed_size: 0
    .sgpr_count:     0
    .sgpr_spill_count: 0
    .symbol:         _ZN7rocprim17ROCPRIM_400000_NS6detail17trampoline_kernelINS0_14default_configENS1_38merge_sort_block_merge_config_selectorIjNS0_10empty_typeEEEZZNS1_27merge_sort_block_merge_implIS3_PjPS5_jNS1_19radix_merge_compareILb1ELb1EjNS0_19identity_decomposerEEEEE10hipError_tT0_T1_T2_jT3_P12ihipStream_tbPNSt15iterator_traitsISE_E10value_typeEPNSK_ISF_E10value_typeEPSG_NS1_7vsmem_tEENKUlT_SE_SF_SG_E_clIS8_S8_S9_S9_EESD_ST_SE_SF_SG_EUlST_E_NS1_11comp_targetILNS1_3genE2ELNS1_11target_archE906ELNS1_3gpuE6ELNS1_3repE0EEENS1_48merge_mergepath_partition_config_static_selectorELNS0_4arch9wavefront6targetE0EEEvSF_.kd
    .uniform_work_group_size: 1
    .uses_dynamic_stack: false
    .vgpr_count:     0
    .vgpr_spill_count: 0
    .wavefront_size: 32
  - .args:
      - .offset:         0
        .size:           40
        .value_kind:     by_value
    .group_segment_fixed_size: 0
    .kernarg_segment_align: 8
    .kernarg_segment_size: 40
    .language:       OpenCL C
    .language_version:
      - 2
      - 0
    .max_flat_workgroup_size: 128
    .name:           _ZN7rocprim17ROCPRIM_400000_NS6detail17trampoline_kernelINS0_14default_configENS1_38merge_sort_block_merge_config_selectorIjNS0_10empty_typeEEEZZNS1_27merge_sort_block_merge_implIS3_PjPS5_jNS1_19radix_merge_compareILb1ELb1EjNS0_19identity_decomposerEEEEE10hipError_tT0_T1_T2_jT3_P12ihipStream_tbPNSt15iterator_traitsISE_E10value_typeEPNSK_ISF_E10value_typeEPSG_NS1_7vsmem_tEENKUlT_SE_SF_SG_E_clIS8_S8_S9_S9_EESD_ST_SE_SF_SG_EUlST_E_NS1_11comp_targetILNS1_3genE9ELNS1_11target_archE1100ELNS1_3gpuE3ELNS1_3repE0EEENS1_48merge_mergepath_partition_config_static_selectorELNS0_4arch9wavefront6targetE0EEEvSF_
    .private_segment_fixed_size: 0
    .sgpr_count:     0
    .sgpr_spill_count: 0
    .symbol:         _ZN7rocprim17ROCPRIM_400000_NS6detail17trampoline_kernelINS0_14default_configENS1_38merge_sort_block_merge_config_selectorIjNS0_10empty_typeEEEZZNS1_27merge_sort_block_merge_implIS3_PjPS5_jNS1_19radix_merge_compareILb1ELb1EjNS0_19identity_decomposerEEEEE10hipError_tT0_T1_T2_jT3_P12ihipStream_tbPNSt15iterator_traitsISE_E10value_typeEPNSK_ISF_E10value_typeEPSG_NS1_7vsmem_tEENKUlT_SE_SF_SG_E_clIS8_S8_S9_S9_EESD_ST_SE_SF_SG_EUlST_E_NS1_11comp_targetILNS1_3genE9ELNS1_11target_archE1100ELNS1_3gpuE3ELNS1_3repE0EEENS1_48merge_mergepath_partition_config_static_selectorELNS0_4arch9wavefront6targetE0EEEvSF_.kd
    .uniform_work_group_size: 1
    .uses_dynamic_stack: false
    .vgpr_count:     0
    .vgpr_spill_count: 0
    .wavefront_size: 32
  - .args:
      - .offset:         0
        .size:           40
        .value_kind:     by_value
    .group_segment_fixed_size: 0
    .kernarg_segment_align: 8
    .kernarg_segment_size: 40
    .language:       OpenCL C
    .language_version:
      - 2
      - 0
    .max_flat_workgroup_size: 128
    .name:           _ZN7rocprim17ROCPRIM_400000_NS6detail17trampoline_kernelINS0_14default_configENS1_38merge_sort_block_merge_config_selectorIjNS0_10empty_typeEEEZZNS1_27merge_sort_block_merge_implIS3_PjPS5_jNS1_19radix_merge_compareILb1ELb1EjNS0_19identity_decomposerEEEEE10hipError_tT0_T1_T2_jT3_P12ihipStream_tbPNSt15iterator_traitsISE_E10value_typeEPNSK_ISF_E10value_typeEPSG_NS1_7vsmem_tEENKUlT_SE_SF_SG_E_clIS8_S8_S9_S9_EESD_ST_SE_SF_SG_EUlST_E_NS1_11comp_targetILNS1_3genE8ELNS1_11target_archE1030ELNS1_3gpuE2ELNS1_3repE0EEENS1_48merge_mergepath_partition_config_static_selectorELNS0_4arch9wavefront6targetE0EEEvSF_
    .private_segment_fixed_size: 0
    .sgpr_count:     0
    .sgpr_spill_count: 0
    .symbol:         _ZN7rocprim17ROCPRIM_400000_NS6detail17trampoline_kernelINS0_14default_configENS1_38merge_sort_block_merge_config_selectorIjNS0_10empty_typeEEEZZNS1_27merge_sort_block_merge_implIS3_PjPS5_jNS1_19radix_merge_compareILb1ELb1EjNS0_19identity_decomposerEEEEE10hipError_tT0_T1_T2_jT3_P12ihipStream_tbPNSt15iterator_traitsISE_E10value_typeEPNSK_ISF_E10value_typeEPSG_NS1_7vsmem_tEENKUlT_SE_SF_SG_E_clIS8_S8_S9_S9_EESD_ST_SE_SF_SG_EUlST_E_NS1_11comp_targetILNS1_3genE8ELNS1_11target_archE1030ELNS1_3gpuE2ELNS1_3repE0EEENS1_48merge_mergepath_partition_config_static_selectorELNS0_4arch9wavefront6targetE0EEEvSF_.kd
    .uniform_work_group_size: 1
    .uses_dynamic_stack: false
    .vgpr_count:     0
    .vgpr_spill_count: 0
    .wavefront_size: 32
  - .args:
      - .offset:         0
        .size:           64
        .value_kind:     by_value
      - .offset:         64
        .size:           4
        .value_kind:     hidden_block_count_x
      - .offset:         68
        .size:           4
        .value_kind:     hidden_block_count_y
      - .offset:         72
        .size:           4
        .value_kind:     hidden_block_count_z
      - .offset:         76
        .size:           2
        .value_kind:     hidden_group_size_x
      - .offset:         78
        .size:           2
        .value_kind:     hidden_group_size_y
      - .offset:         80
        .size:           2
        .value_kind:     hidden_group_size_z
      - .offset:         82
        .size:           2
        .value_kind:     hidden_remainder_x
      - .offset:         84
        .size:           2
        .value_kind:     hidden_remainder_y
      - .offset:         86
        .size:           2
        .value_kind:     hidden_remainder_z
      - .offset:         104
        .size:           8
        .value_kind:     hidden_global_offset_x
      - .offset:         112
        .size:           8
        .value_kind:     hidden_global_offset_y
      - .offset:         120
        .size:           8
        .value_kind:     hidden_global_offset_z
      - .offset:         128
        .size:           2
        .value_kind:     hidden_grid_dims
    .group_segment_fixed_size: 4224
    .kernarg_segment_align: 8
    .kernarg_segment_size: 320
    .language:       OpenCL C
    .language_version:
      - 2
      - 0
    .max_flat_workgroup_size: 128
    .name:           _ZN7rocprim17ROCPRIM_400000_NS6detail17trampoline_kernelINS0_14default_configENS1_38merge_sort_block_merge_config_selectorIjNS0_10empty_typeEEEZZNS1_27merge_sort_block_merge_implIS3_PjPS5_jNS1_19radix_merge_compareILb1ELb1EjNS0_19identity_decomposerEEEEE10hipError_tT0_T1_T2_jT3_P12ihipStream_tbPNSt15iterator_traitsISE_E10value_typeEPNSK_ISF_E10value_typeEPSG_NS1_7vsmem_tEENKUlT_SE_SF_SG_E_clIS8_S8_S9_S9_EESD_ST_SE_SF_SG_EUlST_E0_NS1_11comp_targetILNS1_3genE0ELNS1_11target_archE4294967295ELNS1_3gpuE0ELNS1_3repE0EEENS1_38merge_mergepath_config_static_selectorELNS0_4arch9wavefront6targetE0EEEvSF_
    .private_segment_fixed_size: 0
    .sgpr_count:     26
    .sgpr_spill_count: 0
    .symbol:         _ZN7rocprim17ROCPRIM_400000_NS6detail17trampoline_kernelINS0_14default_configENS1_38merge_sort_block_merge_config_selectorIjNS0_10empty_typeEEEZZNS1_27merge_sort_block_merge_implIS3_PjPS5_jNS1_19radix_merge_compareILb1ELb1EjNS0_19identity_decomposerEEEEE10hipError_tT0_T1_T2_jT3_P12ihipStream_tbPNSt15iterator_traitsISE_E10value_typeEPNSK_ISF_E10value_typeEPSG_NS1_7vsmem_tEENKUlT_SE_SF_SG_E_clIS8_S8_S9_S9_EESD_ST_SE_SF_SG_EUlST_E0_NS1_11comp_targetILNS1_3genE0ELNS1_11target_archE4294967295ELNS1_3gpuE0ELNS1_3repE0EEENS1_38merge_mergepath_config_static_selectorELNS0_4arch9wavefront6targetE0EEEvSF_.kd
    .uniform_work_group_size: 1
    .uses_dynamic_stack: false
    .vgpr_count:     32
    .vgpr_spill_count: 0
    .wavefront_size: 32
  - .args:
      - .offset:         0
        .size:           64
        .value_kind:     by_value
    .group_segment_fixed_size: 0
    .kernarg_segment_align: 8
    .kernarg_segment_size: 64
    .language:       OpenCL C
    .language_version:
      - 2
      - 0
    .max_flat_workgroup_size: 256
    .name:           _ZN7rocprim17ROCPRIM_400000_NS6detail17trampoline_kernelINS0_14default_configENS1_38merge_sort_block_merge_config_selectorIjNS0_10empty_typeEEEZZNS1_27merge_sort_block_merge_implIS3_PjPS5_jNS1_19radix_merge_compareILb1ELb1EjNS0_19identity_decomposerEEEEE10hipError_tT0_T1_T2_jT3_P12ihipStream_tbPNSt15iterator_traitsISE_E10value_typeEPNSK_ISF_E10value_typeEPSG_NS1_7vsmem_tEENKUlT_SE_SF_SG_E_clIS8_S8_S9_S9_EESD_ST_SE_SF_SG_EUlST_E0_NS1_11comp_targetILNS1_3genE10ELNS1_11target_archE1201ELNS1_3gpuE5ELNS1_3repE0EEENS1_38merge_mergepath_config_static_selectorELNS0_4arch9wavefront6targetE0EEEvSF_
    .private_segment_fixed_size: 0
    .sgpr_count:     0
    .sgpr_spill_count: 0
    .symbol:         _ZN7rocprim17ROCPRIM_400000_NS6detail17trampoline_kernelINS0_14default_configENS1_38merge_sort_block_merge_config_selectorIjNS0_10empty_typeEEEZZNS1_27merge_sort_block_merge_implIS3_PjPS5_jNS1_19radix_merge_compareILb1ELb1EjNS0_19identity_decomposerEEEEE10hipError_tT0_T1_T2_jT3_P12ihipStream_tbPNSt15iterator_traitsISE_E10value_typeEPNSK_ISF_E10value_typeEPSG_NS1_7vsmem_tEENKUlT_SE_SF_SG_E_clIS8_S8_S9_S9_EESD_ST_SE_SF_SG_EUlST_E0_NS1_11comp_targetILNS1_3genE10ELNS1_11target_archE1201ELNS1_3gpuE5ELNS1_3repE0EEENS1_38merge_mergepath_config_static_selectorELNS0_4arch9wavefront6targetE0EEEvSF_.kd
    .uniform_work_group_size: 1
    .uses_dynamic_stack: false
    .vgpr_count:     0
    .vgpr_spill_count: 0
    .wavefront_size: 32
  - .args:
      - .offset:         0
        .size:           64
        .value_kind:     by_value
    .group_segment_fixed_size: 0
    .kernarg_segment_align: 8
    .kernarg_segment_size: 64
    .language:       OpenCL C
    .language_version:
      - 2
      - 0
    .max_flat_workgroup_size: 128
    .name:           _ZN7rocprim17ROCPRIM_400000_NS6detail17trampoline_kernelINS0_14default_configENS1_38merge_sort_block_merge_config_selectorIjNS0_10empty_typeEEEZZNS1_27merge_sort_block_merge_implIS3_PjPS5_jNS1_19radix_merge_compareILb1ELb1EjNS0_19identity_decomposerEEEEE10hipError_tT0_T1_T2_jT3_P12ihipStream_tbPNSt15iterator_traitsISE_E10value_typeEPNSK_ISF_E10value_typeEPSG_NS1_7vsmem_tEENKUlT_SE_SF_SG_E_clIS8_S8_S9_S9_EESD_ST_SE_SF_SG_EUlST_E0_NS1_11comp_targetILNS1_3genE5ELNS1_11target_archE942ELNS1_3gpuE9ELNS1_3repE0EEENS1_38merge_mergepath_config_static_selectorELNS0_4arch9wavefront6targetE0EEEvSF_
    .private_segment_fixed_size: 0
    .sgpr_count:     0
    .sgpr_spill_count: 0
    .symbol:         _ZN7rocprim17ROCPRIM_400000_NS6detail17trampoline_kernelINS0_14default_configENS1_38merge_sort_block_merge_config_selectorIjNS0_10empty_typeEEEZZNS1_27merge_sort_block_merge_implIS3_PjPS5_jNS1_19radix_merge_compareILb1ELb1EjNS0_19identity_decomposerEEEEE10hipError_tT0_T1_T2_jT3_P12ihipStream_tbPNSt15iterator_traitsISE_E10value_typeEPNSK_ISF_E10value_typeEPSG_NS1_7vsmem_tEENKUlT_SE_SF_SG_E_clIS8_S8_S9_S9_EESD_ST_SE_SF_SG_EUlST_E0_NS1_11comp_targetILNS1_3genE5ELNS1_11target_archE942ELNS1_3gpuE9ELNS1_3repE0EEENS1_38merge_mergepath_config_static_selectorELNS0_4arch9wavefront6targetE0EEEvSF_.kd
    .uniform_work_group_size: 1
    .uses_dynamic_stack: false
    .vgpr_count:     0
    .vgpr_spill_count: 0
    .wavefront_size: 32
  - .args:
      - .offset:         0
        .size:           64
        .value_kind:     by_value
    .group_segment_fixed_size: 0
    .kernarg_segment_align: 8
    .kernarg_segment_size: 64
    .language:       OpenCL C
    .language_version:
      - 2
      - 0
    .max_flat_workgroup_size: 128
    .name:           _ZN7rocprim17ROCPRIM_400000_NS6detail17trampoline_kernelINS0_14default_configENS1_38merge_sort_block_merge_config_selectorIjNS0_10empty_typeEEEZZNS1_27merge_sort_block_merge_implIS3_PjPS5_jNS1_19radix_merge_compareILb1ELb1EjNS0_19identity_decomposerEEEEE10hipError_tT0_T1_T2_jT3_P12ihipStream_tbPNSt15iterator_traitsISE_E10value_typeEPNSK_ISF_E10value_typeEPSG_NS1_7vsmem_tEENKUlT_SE_SF_SG_E_clIS8_S8_S9_S9_EESD_ST_SE_SF_SG_EUlST_E0_NS1_11comp_targetILNS1_3genE4ELNS1_11target_archE910ELNS1_3gpuE8ELNS1_3repE0EEENS1_38merge_mergepath_config_static_selectorELNS0_4arch9wavefront6targetE0EEEvSF_
    .private_segment_fixed_size: 0
    .sgpr_count:     0
    .sgpr_spill_count: 0
    .symbol:         _ZN7rocprim17ROCPRIM_400000_NS6detail17trampoline_kernelINS0_14default_configENS1_38merge_sort_block_merge_config_selectorIjNS0_10empty_typeEEEZZNS1_27merge_sort_block_merge_implIS3_PjPS5_jNS1_19radix_merge_compareILb1ELb1EjNS0_19identity_decomposerEEEEE10hipError_tT0_T1_T2_jT3_P12ihipStream_tbPNSt15iterator_traitsISE_E10value_typeEPNSK_ISF_E10value_typeEPSG_NS1_7vsmem_tEENKUlT_SE_SF_SG_E_clIS8_S8_S9_S9_EESD_ST_SE_SF_SG_EUlST_E0_NS1_11comp_targetILNS1_3genE4ELNS1_11target_archE910ELNS1_3gpuE8ELNS1_3repE0EEENS1_38merge_mergepath_config_static_selectorELNS0_4arch9wavefront6targetE0EEEvSF_.kd
    .uniform_work_group_size: 1
    .uses_dynamic_stack: false
    .vgpr_count:     0
    .vgpr_spill_count: 0
    .wavefront_size: 32
  - .args:
      - .offset:         0
        .size:           64
        .value_kind:     by_value
    .group_segment_fixed_size: 0
    .kernarg_segment_align: 8
    .kernarg_segment_size: 64
    .language:       OpenCL C
    .language_version:
      - 2
      - 0
    .max_flat_workgroup_size: 128
    .name:           _ZN7rocprim17ROCPRIM_400000_NS6detail17trampoline_kernelINS0_14default_configENS1_38merge_sort_block_merge_config_selectorIjNS0_10empty_typeEEEZZNS1_27merge_sort_block_merge_implIS3_PjPS5_jNS1_19radix_merge_compareILb1ELb1EjNS0_19identity_decomposerEEEEE10hipError_tT0_T1_T2_jT3_P12ihipStream_tbPNSt15iterator_traitsISE_E10value_typeEPNSK_ISF_E10value_typeEPSG_NS1_7vsmem_tEENKUlT_SE_SF_SG_E_clIS8_S8_S9_S9_EESD_ST_SE_SF_SG_EUlST_E0_NS1_11comp_targetILNS1_3genE3ELNS1_11target_archE908ELNS1_3gpuE7ELNS1_3repE0EEENS1_38merge_mergepath_config_static_selectorELNS0_4arch9wavefront6targetE0EEEvSF_
    .private_segment_fixed_size: 0
    .sgpr_count:     0
    .sgpr_spill_count: 0
    .symbol:         _ZN7rocprim17ROCPRIM_400000_NS6detail17trampoline_kernelINS0_14default_configENS1_38merge_sort_block_merge_config_selectorIjNS0_10empty_typeEEEZZNS1_27merge_sort_block_merge_implIS3_PjPS5_jNS1_19radix_merge_compareILb1ELb1EjNS0_19identity_decomposerEEEEE10hipError_tT0_T1_T2_jT3_P12ihipStream_tbPNSt15iterator_traitsISE_E10value_typeEPNSK_ISF_E10value_typeEPSG_NS1_7vsmem_tEENKUlT_SE_SF_SG_E_clIS8_S8_S9_S9_EESD_ST_SE_SF_SG_EUlST_E0_NS1_11comp_targetILNS1_3genE3ELNS1_11target_archE908ELNS1_3gpuE7ELNS1_3repE0EEENS1_38merge_mergepath_config_static_selectorELNS0_4arch9wavefront6targetE0EEEvSF_.kd
    .uniform_work_group_size: 1
    .uses_dynamic_stack: false
    .vgpr_count:     0
    .vgpr_spill_count: 0
    .wavefront_size: 32
  - .args:
      - .offset:         0
        .size:           64
        .value_kind:     by_value
    .group_segment_fixed_size: 0
    .kernarg_segment_align: 8
    .kernarg_segment_size: 64
    .language:       OpenCL C
    .language_version:
      - 2
      - 0
    .max_flat_workgroup_size: 128
    .name:           _ZN7rocprim17ROCPRIM_400000_NS6detail17trampoline_kernelINS0_14default_configENS1_38merge_sort_block_merge_config_selectorIjNS0_10empty_typeEEEZZNS1_27merge_sort_block_merge_implIS3_PjPS5_jNS1_19radix_merge_compareILb1ELb1EjNS0_19identity_decomposerEEEEE10hipError_tT0_T1_T2_jT3_P12ihipStream_tbPNSt15iterator_traitsISE_E10value_typeEPNSK_ISF_E10value_typeEPSG_NS1_7vsmem_tEENKUlT_SE_SF_SG_E_clIS8_S8_S9_S9_EESD_ST_SE_SF_SG_EUlST_E0_NS1_11comp_targetILNS1_3genE2ELNS1_11target_archE906ELNS1_3gpuE6ELNS1_3repE0EEENS1_38merge_mergepath_config_static_selectorELNS0_4arch9wavefront6targetE0EEEvSF_
    .private_segment_fixed_size: 0
    .sgpr_count:     0
    .sgpr_spill_count: 0
    .symbol:         _ZN7rocprim17ROCPRIM_400000_NS6detail17trampoline_kernelINS0_14default_configENS1_38merge_sort_block_merge_config_selectorIjNS0_10empty_typeEEEZZNS1_27merge_sort_block_merge_implIS3_PjPS5_jNS1_19radix_merge_compareILb1ELb1EjNS0_19identity_decomposerEEEEE10hipError_tT0_T1_T2_jT3_P12ihipStream_tbPNSt15iterator_traitsISE_E10value_typeEPNSK_ISF_E10value_typeEPSG_NS1_7vsmem_tEENKUlT_SE_SF_SG_E_clIS8_S8_S9_S9_EESD_ST_SE_SF_SG_EUlST_E0_NS1_11comp_targetILNS1_3genE2ELNS1_11target_archE906ELNS1_3gpuE6ELNS1_3repE0EEENS1_38merge_mergepath_config_static_selectorELNS0_4arch9wavefront6targetE0EEEvSF_.kd
    .uniform_work_group_size: 1
    .uses_dynamic_stack: false
    .vgpr_count:     0
    .vgpr_spill_count: 0
    .wavefront_size: 32
  - .args:
      - .offset:         0
        .size:           64
        .value_kind:     by_value
    .group_segment_fixed_size: 0
    .kernarg_segment_align: 8
    .kernarg_segment_size: 64
    .language:       OpenCL C
    .language_version:
      - 2
      - 0
    .max_flat_workgroup_size: 256
    .name:           _ZN7rocprim17ROCPRIM_400000_NS6detail17trampoline_kernelINS0_14default_configENS1_38merge_sort_block_merge_config_selectorIjNS0_10empty_typeEEEZZNS1_27merge_sort_block_merge_implIS3_PjPS5_jNS1_19radix_merge_compareILb1ELb1EjNS0_19identity_decomposerEEEEE10hipError_tT0_T1_T2_jT3_P12ihipStream_tbPNSt15iterator_traitsISE_E10value_typeEPNSK_ISF_E10value_typeEPSG_NS1_7vsmem_tEENKUlT_SE_SF_SG_E_clIS8_S8_S9_S9_EESD_ST_SE_SF_SG_EUlST_E0_NS1_11comp_targetILNS1_3genE9ELNS1_11target_archE1100ELNS1_3gpuE3ELNS1_3repE0EEENS1_38merge_mergepath_config_static_selectorELNS0_4arch9wavefront6targetE0EEEvSF_
    .private_segment_fixed_size: 0
    .sgpr_count:     0
    .sgpr_spill_count: 0
    .symbol:         _ZN7rocprim17ROCPRIM_400000_NS6detail17trampoline_kernelINS0_14default_configENS1_38merge_sort_block_merge_config_selectorIjNS0_10empty_typeEEEZZNS1_27merge_sort_block_merge_implIS3_PjPS5_jNS1_19radix_merge_compareILb1ELb1EjNS0_19identity_decomposerEEEEE10hipError_tT0_T1_T2_jT3_P12ihipStream_tbPNSt15iterator_traitsISE_E10value_typeEPNSK_ISF_E10value_typeEPSG_NS1_7vsmem_tEENKUlT_SE_SF_SG_E_clIS8_S8_S9_S9_EESD_ST_SE_SF_SG_EUlST_E0_NS1_11comp_targetILNS1_3genE9ELNS1_11target_archE1100ELNS1_3gpuE3ELNS1_3repE0EEENS1_38merge_mergepath_config_static_selectorELNS0_4arch9wavefront6targetE0EEEvSF_.kd
    .uniform_work_group_size: 1
    .uses_dynamic_stack: false
    .vgpr_count:     0
    .vgpr_spill_count: 0
    .wavefront_size: 32
  - .args:
      - .offset:         0
        .size:           64
        .value_kind:     by_value
    .group_segment_fixed_size: 0
    .kernarg_segment_align: 8
    .kernarg_segment_size: 64
    .language:       OpenCL C
    .language_version:
      - 2
      - 0
    .max_flat_workgroup_size: 512
    .name:           _ZN7rocprim17ROCPRIM_400000_NS6detail17trampoline_kernelINS0_14default_configENS1_38merge_sort_block_merge_config_selectorIjNS0_10empty_typeEEEZZNS1_27merge_sort_block_merge_implIS3_PjPS5_jNS1_19radix_merge_compareILb1ELb1EjNS0_19identity_decomposerEEEEE10hipError_tT0_T1_T2_jT3_P12ihipStream_tbPNSt15iterator_traitsISE_E10value_typeEPNSK_ISF_E10value_typeEPSG_NS1_7vsmem_tEENKUlT_SE_SF_SG_E_clIS8_S8_S9_S9_EESD_ST_SE_SF_SG_EUlST_E0_NS1_11comp_targetILNS1_3genE8ELNS1_11target_archE1030ELNS1_3gpuE2ELNS1_3repE0EEENS1_38merge_mergepath_config_static_selectorELNS0_4arch9wavefront6targetE0EEEvSF_
    .private_segment_fixed_size: 0
    .sgpr_count:     0
    .sgpr_spill_count: 0
    .symbol:         _ZN7rocprim17ROCPRIM_400000_NS6detail17trampoline_kernelINS0_14default_configENS1_38merge_sort_block_merge_config_selectorIjNS0_10empty_typeEEEZZNS1_27merge_sort_block_merge_implIS3_PjPS5_jNS1_19radix_merge_compareILb1ELb1EjNS0_19identity_decomposerEEEEE10hipError_tT0_T1_T2_jT3_P12ihipStream_tbPNSt15iterator_traitsISE_E10value_typeEPNSK_ISF_E10value_typeEPSG_NS1_7vsmem_tEENKUlT_SE_SF_SG_E_clIS8_S8_S9_S9_EESD_ST_SE_SF_SG_EUlST_E0_NS1_11comp_targetILNS1_3genE8ELNS1_11target_archE1030ELNS1_3gpuE2ELNS1_3repE0EEENS1_38merge_mergepath_config_static_selectorELNS0_4arch9wavefront6targetE0EEEvSF_.kd
    .uniform_work_group_size: 1
    .uses_dynamic_stack: false
    .vgpr_count:     0
    .vgpr_spill_count: 0
    .wavefront_size: 32
  - .args:
      - .offset:         0
        .size:           48
        .value_kind:     by_value
    .group_segment_fixed_size: 0
    .kernarg_segment_align: 8
    .kernarg_segment_size: 48
    .language:       OpenCL C
    .language_version:
      - 2
      - 0
    .max_flat_workgroup_size: 256
    .name:           _ZN7rocprim17ROCPRIM_400000_NS6detail17trampoline_kernelINS0_14default_configENS1_38merge_sort_block_merge_config_selectorIjNS0_10empty_typeEEEZZNS1_27merge_sort_block_merge_implIS3_PjPS5_jNS1_19radix_merge_compareILb1ELb1EjNS0_19identity_decomposerEEEEE10hipError_tT0_T1_T2_jT3_P12ihipStream_tbPNSt15iterator_traitsISE_E10value_typeEPNSK_ISF_E10value_typeEPSG_NS1_7vsmem_tEENKUlT_SE_SF_SG_E_clIS8_S8_S9_S9_EESD_ST_SE_SF_SG_EUlST_E1_NS1_11comp_targetILNS1_3genE0ELNS1_11target_archE4294967295ELNS1_3gpuE0ELNS1_3repE0EEENS1_36merge_oddeven_config_static_selectorELNS0_4arch9wavefront6targetE0EEEvSF_
    .private_segment_fixed_size: 0
    .sgpr_count:     20
    .sgpr_spill_count: 0
    .symbol:         _ZN7rocprim17ROCPRIM_400000_NS6detail17trampoline_kernelINS0_14default_configENS1_38merge_sort_block_merge_config_selectorIjNS0_10empty_typeEEEZZNS1_27merge_sort_block_merge_implIS3_PjPS5_jNS1_19radix_merge_compareILb1ELb1EjNS0_19identity_decomposerEEEEE10hipError_tT0_T1_T2_jT3_P12ihipStream_tbPNSt15iterator_traitsISE_E10value_typeEPNSK_ISF_E10value_typeEPSG_NS1_7vsmem_tEENKUlT_SE_SF_SG_E_clIS8_S8_S9_S9_EESD_ST_SE_SF_SG_EUlST_E1_NS1_11comp_targetILNS1_3genE0ELNS1_11target_archE4294967295ELNS1_3gpuE0ELNS1_3repE0EEENS1_36merge_oddeven_config_static_selectorELNS0_4arch9wavefront6targetE0EEEvSF_.kd
    .uniform_work_group_size: 1
    .uses_dynamic_stack: false
    .vgpr_count:     8
    .vgpr_spill_count: 0
    .wavefront_size: 32
  - .args:
      - .offset:         0
        .size:           48
        .value_kind:     by_value
    .group_segment_fixed_size: 0
    .kernarg_segment_align: 8
    .kernarg_segment_size: 48
    .language:       OpenCL C
    .language_version:
      - 2
      - 0
    .max_flat_workgroup_size: 256
    .name:           _ZN7rocprim17ROCPRIM_400000_NS6detail17trampoline_kernelINS0_14default_configENS1_38merge_sort_block_merge_config_selectorIjNS0_10empty_typeEEEZZNS1_27merge_sort_block_merge_implIS3_PjPS5_jNS1_19radix_merge_compareILb1ELb1EjNS0_19identity_decomposerEEEEE10hipError_tT0_T1_T2_jT3_P12ihipStream_tbPNSt15iterator_traitsISE_E10value_typeEPNSK_ISF_E10value_typeEPSG_NS1_7vsmem_tEENKUlT_SE_SF_SG_E_clIS8_S8_S9_S9_EESD_ST_SE_SF_SG_EUlST_E1_NS1_11comp_targetILNS1_3genE10ELNS1_11target_archE1201ELNS1_3gpuE5ELNS1_3repE0EEENS1_36merge_oddeven_config_static_selectorELNS0_4arch9wavefront6targetE0EEEvSF_
    .private_segment_fixed_size: 0
    .sgpr_count:     0
    .sgpr_spill_count: 0
    .symbol:         _ZN7rocprim17ROCPRIM_400000_NS6detail17trampoline_kernelINS0_14default_configENS1_38merge_sort_block_merge_config_selectorIjNS0_10empty_typeEEEZZNS1_27merge_sort_block_merge_implIS3_PjPS5_jNS1_19radix_merge_compareILb1ELb1EjNS0_19identity_decomposerEEEEE10hipError_tT0_T1_T2_jT3_P12ihipStream_tbPNSt15iterator_traitsISE_E10value_typeEPNSK_ISF_E10value_typeEPSG_NS1_7vsmem_tEENKUlT_SE_SF_SG_E_clIS8_S8_S9_S9_EESD_ST_SE_SF_SG_EUlST_E1_NS1_11comp_targetILNS1_3genE10ELNS1_11target_archE1201ELNS1_3gpuE5ELNS1_3repE0EEENS1_36merge_oddeven_config_static_selectorELNS0_4arch9wavefront6targetE0EEEvSF_.kd
    .uniform_work_group_size: 1
    .uses_dynamic_stack: false
    .vgpr_count:     0
    .vgpr_spill_count: 0
    .wavefront_size: 32
  - .args:
      - .offset:         0
        .size:           48
        .value_kind:     by_value
    .group_segment_fixed_size: 0
    .kernarg_segment_align: 8
    .kernarg_segment_size: 48
    .language:       OpenCL C
    .language_version:
      - 2
      - 0
    .max_flat_workgroup_size: 256
    .name:           _ZN7rocprim17ROCPRIM_400000_NS6detail17trampoline_kernelINS0_14default_configENS1_38merge_sort_block_merge_config_selectorIjNS0_10empty_typeEEEZZNS1_27merge_sort_block_merge_implIS3_PjPS5_jNS1_19radix_merge_compareILb1ELb1EjNS0_19identity_decomposerEEEEE10hipError_tT0_T1_T2_jT3_P12ihipStream_tbPNSt15iterator_traitsISE_E10value_typeEPNSK_ISF_E10value_typeEPSG_NS1_7vsmem_tEENKUlT_SE_SF_SG_E_clIS8_S8_S9_S9_EESD_ST_SE_SF_SG_EUlST_E1_NS1_11comp_targetILNS1_3genE5ELNS1_11target_archE942ELNS1_3gpuE9ELNS1_3repE0EEENS1_36merge_oddeven_config_static_selectorELNS0_4arch9wavefront6targetE0EEEvSF_
    .private_segment_fixed_size: 0
    .sgpr_count:     0
    .sgpr_spill_count: 0
    .symbol:         _ZN7rocprim17ROCPRIM_400000_NS6detail17trampoline_kernelINS0_14default_configENS1_38merge_sort_block_merge_config_selectorIjNS0_10empty_typeEEEZZNS1_27merge_sort_block_merge_implIS3_PjPS5_jNS1_19radix_merge_compareILb1ELb1EjNS0_19identity_decomposerEEEEE10hipError_tT0_T1_T2_jT3_P12ihipStream_tbPNSt15iterator_traitsISE_E10value_typeEPNSK_ISF_E10value_typeEPSG_NS1_7vsmem_tEENKUlT_SE_SF_SG_E_clIS8_S8_S9_S9_EESD_ST_SE_SF_SG_EUlST_E1_NS1_11comp_targetILNS1_3genE5ELNS1_11target_archE942ELNS1_3gpuE9ELNS1_3repE0EEENS1_36merge_oddeven_config_static_selectorELNS0_4arch9wavefront6targetE0EEEvSF_.kd
    .uniform_work_group_size: 1
    .uses_dynamic_stack: false
    .vgpr_count:     0
    .vgpr_spill_count: 0
    .wavefront_size: 32
  - .args:
      - .offset:         0
        .size:           48
        .value_kind:     by_value
    .group_segment_fixed_size: 0
    .kernarg_segment_align: 8
    .kernarg_segment_size: 48
    .language:       OpenCL C
    .language_version:
      - 2
      - 0
    .max_flat_workgroup_size: 256
    .name:           _ZN7rocprim17ROCPRIM_400000_NS6detail17trampoline_kernelINS0_14default_configENS1_38merge_sort_block_merge_config_selectorIjNS0_10empty_typeEEEZZNS1_27merge_sort_block_merge_implIS3_PjPS5_jNS1_19radix_merge_compareILb1ELb1EjNS0_19identity_decomposerEEEEE10hipError_tT0_T1_T2_jT3_P12ihipStream_tbPNSt15iterator_traitsISE_E10value_typeEPNSK_ISF_E10value_typeEPSG_NS1_7vsmem_tEENKUlT_SE_SF_SG_E_clIS8_S8_S9_S9_EESD_ST_SE_SF_SG_EUlST_E1_NS1_11comp_targetILNS1_3genE4ELNS1_11target_archE910ELNS1_3gpuE8ELNS1_3repE0EEENS1_36merge_oddeven_config_static_selectorELNS0_4arch9wavefront6targetE0EEEvSF_
    .private_segment_fixed_size: 0
    .sgpr_count:     0
    .sgpr_spill_count: 0
    .symbol:         _ZN7rocprim17ROCPRIM_400000_NS6detail17trampoline_kernelINS0_14default_configENS1_38merge_sort_block_merge_config_selectorIjNS0_10empty_typeEEEZZNS1_27merge_sort_block_merge_implIS3_PjPS5_jNS1_19radix_merge_compareILb1ELb1EjNS0_19identity_decomposerEEEEE10hipError_tT0_T1_T2_jT3_P12ihipStream_tbPNSt15iterator_traitsISE_E10value_typeEPNSK_ISF_E10value_typeEPSG_NS1_7vsmem_tEENKUlT_SE_SF_SG_E_clIS8_S8_S9_S9_EESD_ST_SE_SF_SG_EUlST_E1_NS1_11comp_targetILNS1_3genE4ELNS1_11target_archE910ELNS1_3gpuE8ELNS1_3repE0EEENS1_36merge_oddeven_config_static_selectorELNS0_4arch9wavefront6targetE0EEEvSF_.kd
    .uniform_work_group_size: 1
    .uses_dynamic_stack: false
    .vgpr_count:     0
    .vgpr_spill_count: 0
    .wavefront_size: 32
  - .args:
      - .offset:         0
        .size:           48
        .value_kind:     by_value
    .group_segment_fixed_size: 0
    .kernarg_segment_align: 8
    .kernarg_segment_size: 48
    .language:       OpenCL C
    .language_version:
      - 2
      - 0
    .max_flat_workgroup_size: 256
    .name:           _ZN7rocprim17ROCPRIM_400000_NS6detail17trampoline_kernelINS0_14default_configENS1_38merge_sort_block_merge_config_selectorIjNS0_10empty_typeEEEZZNS1_27merge_sort_block_merge_implIS3_PjPS5_jNS1_19radix_merge_compareILb1ELb1EjNS0_19identity_decomposerEEEEE10hipError_tT0_T1_T2_jT3_P12ihipStream_tbPNSt15iterator_traitsISE_E10value_typeEPNSK_ISF_E10value_typeEPSG_NS1_7vsmem_tEENKUlT_SE_SF_SG_E_clIS8_S8_S9_S9_EESD_ST_SE_SF_SG_EUlST_E1_NS1_11comp_targetILNS1_3genE3ELNS1_11target_archE908ELNS1_3gpuE7ELNS1_3repE0EEENS1_36merge_oddeven_config_static_selectorELNS0_4arch9wavefront6targetE0EEEvSF_
    .private_segment_fixed_size: 0
    .sgpr_count:     0
    .sgpr_spill_count: 0
    .symbol:         _ZN7rocprim17ROCPRIM_400000_NS6detail17trampoline_kernelINS0_14default_configENS1_38merge_sort_block_merge_config_selectorIjNS0_10empty_typeEEEZZNS1_27merge_sort_block_merge_implIS3_PjPS5_jNS1_19radix_merge_compareILb1ELb1EjNS0_19identity_decomposerEEEEE10hipError_tT0_T1_T2_jT3_P12ihipStream_tbPNSt15iterator_traitsISE_E10value_typeEPNSK_ISF_E10value_typeEPSG_NS1_7vsmem_tEENKUlT_SE_SF_SG_E_clIS8_S8_S9_S9_EESD_ST_SE_SF_SG_EUlST_E1_NS1_11comp_targetILNS1_3genE3ELNS1_11target_archE908ELNS1_3gpuE7ELNS1_3repE0EEENS1_36merge_oddeven_config_static_selectorELNS0_4arch9wavefront6targetE0EEEvSF_.kd
    .uniform_work_group_size: 1
    .uses_dynamic_stack: false
    .vgpr_count:     0
    .vgpr_spill_count: 0
    .wavefront_size: 32
  - .args:
      - .offset:         0
        .size:           48
        .value_kind:     by_value
    .group_segment_fixed_size: 0
    .kernarg_segment_align: 8
    .kernarg_segment_size: 48
    .language:       OpenCL C
    .language_version:
      - 2
      - 0
    .max_flat_workgroup_size: 256
    .name:           _ZN7rocprim17ROCPRIM_400000_NS6detail17trampoline_kernelINS0_14default_configENS1_38merge_sort_block_merge_config_selectorIjNS0_10empty_typeEEEZZNS1_27merge_sort_block_merge_implIS3_PjPS5_jNS1_19radix_merge_compareILb1ELb1EjNS0_19identity_decomposerEEEEE10hipError_tT0_T1_T2_jT3_P12ihipStream_tbPNSt15iterator_traitsISE_E10value_typeEPNSK_ISF_E10value_typeEPSG_NS1_7vsmem_tEENKUlT_SE_SF_SG_E_clIS8_S8_S9_S9_EESD_ST_SE_SF_SG_EUlST_E1_NS1_11comp_targetILNS1_3genE2ELNS1_11target_archE906ELNS1_3gpuE6ELNS1_3repE0EEENS1_36merge_oddeven_config_static_selectorELNS0_4arch9wavefront6targetE0EEEvSF_
    .private_segment_fixed_size: 0
    .sgpr_count:     0
    .sgpr_spill_count: 0
    .symbol:         _ZN7rocprim17ROCPRIM_400000_NS6detail17trampoline_kernelINS0_14default_configENS1_38merge_sort_block_merge_config_selectorIjNS0_10empty_typeEEEZZNS1_27merge_sort_block_merge_implIS3_PjPS5_jNS1_19radix_merge_compareILb1ELb1EjNS0_19identity_decomposerEEEEE10hipError_tT0_T1_T2_jT3_P12ihipStream_tbPNSt15iterator_traitsISE_E10value_typeEPNSK_ISF_E10value_typeEPSG_NS1_7vsmem_tEENKUlT_SE_SF_SG_E_clIS8_S8_S9_S9_EESD_ST_SE_SF_SG_EUlST_E1_NS1_11comp_targetILNS1_3genE2ELNS1_11target_archE906ELNS1_3gpuE6ELNS1_3repE0EEENS1_36merge_oddeven_config_static_selectorELNS0_4arch9wavefront6targetE0EEEvSF_.kd
    .uniform_work_group_size: 1
    .uses_dynamic_stack: false
    .vgpr_count:     0
    .vgpr_spill_count: 0
    .wavefront_size: 32
  - .args:
      - .offset:         0
        .size:           48
        .value_kind:     by_value
    .group_segment_fixed_size: 0
    .kernarg_segment_align: 8
    .kernarg_segment_size: 48
    .language:       OpenCL C
    .language_version:
      - 2
      - 0
    .max_flat_workgroup_size: 256
    .name:           _ZN7rocprim17ROCPRIM_400000_NS6detail17trampoline_kernelINS0_14default_configENS1_38merge_sort_block_merge_config_selectorIjNS0_10empty_typeEEEZZNS1_27merge_sort_block_merge_implIS3_PjPS5_jNS1_19radix_merge_compareILb1ELb1EjNS0_19identity_decomposerEEEEE10hipError_tT0_T1_T2_jT3_P12ihipStream_tbPNSt15iterator_traitsISE_E10value_typeEPNSK_ISF_E10value_typeEPSG_NS1_7vsmem_tEENKUlT_SE_SF_SG_E_clIS8_S8_S9_S9_EESD_ST_SE_SF_SG_EUlST_E1_NS1_11comp_targetILNS1_3genE9ELNS1_11target_archE1100ELNS1_3gpuE3ELNS1_3repE0EEENS1_36merge_oddeven_config_static_selectorELNS0_4arch9wavefront6targetE0EEEvSF_
    .private_segment_fixed_size: 0
    .sgpr_count:     0
    .sgpr_spill_count: 0
    .symbol:         _ZN7rocprim17ROCPRIM_400000_NS6detail17trampoline_kernelINS0_14default_configENS1_38merge_sort_block_merge_config_selectorIjNS0_10empty_typeEEEZZNS1_27merge_sort_block_merge_implIS3_PjPS5_jNS1_19radix_merge_compareILb1ELb1EjNS0_19identity_decomposerEEEEE10hipError_tT0_T1_T2_jT3_P12ihipStream_tbPNSt15iterator_traitsISE_E10value_typeEPNSK_ISF_E10value_typeEPSG_NS1_7vsmem_tEENKUlT_SE_SF_SG_E_clIS8_S8_S9_S9_EESD_ST_SE_SF_SG_EUlST_E1_NS1_11comp_targetILNS1_3genE9ELNS1_11target_archE1100ELNS1_3gpuE3ELNS1_3repE0EEENS1_36merge_oddeven_config_static_selectorELNS0_4arch9wavefront6targetE0EEEvSF_.kd
    .uniform_work_group_size: 1
    .uses_dynamic_stack: false
    .vgpr_count:     0
    .vgpr_spill_count: 0
    .wavefront_size: 32
  - .args:
      - .offset:         0
        .size:           48
        .value_kind:     by_value
    .group_segment_fixed_size: 0
    .kernarg_segment_align: 8
    .kernarg_segment_size: 48
    .language:       OpenCL C
    .language_version:
      - 2
      - 0
    .max_flat_workgroup_size: 256
    .name:           _ZN7rocprim17ROCPRIM_400000_NS6detail17trampoline_kernelINS0_14default_configENS1_38merge_sort_block_merge_config_selectorIjNS0_10empty_typeEEEZZNS1_27merge_sort_block_merge_implIS3_PjPS5_jNS1_19radix_merge_compareILb1ELb1EjNS0_19identity_decomposerEEEEE10hipError_tT0_T1_T2_jT3_P12ihipStream_tbPNSt15iterator_traitsISE_E10value_typeEPNSK_ISF_E10value_typeEPSG_NS1_7vsmem_tEENKUlT_SE_SF_SG_E_clIS8_S8_S9_S9_EESD_ST_SE_SF_SG_EUlST_E1_NS1_11comp_targetILNS1_3genE8ELNS1_11target_archE1030ELNS1_3gpuE2ELNS1_3repE0EEENS1_36merge_oddeven_config_static_selectorELNS0_4arch9wavefront6targetE0EEEvSF_
    .private_segment_fixed_size: 0
    .sgpr_count:     0
    .sgpr_spill_count: 0
    .symbol:         _ZN7rocprim17ROCPRIM_400000_NS6detail17trampoline_kernelINS0_14default_configENS1_38merge_sort_block_merge_config_selectorIjNS0_10empty_typeEEEZZNS1_27merge_sort_block_merge_implIS3_PjPS5_jNS1_19radix_merge_compareILb1ELb1EjNS0_19identity_decomposerEEEEE10hipError_tT0_T1_T2_jT3_P12ihipStream_tbPNSt15iterator_traitsISE_E10value_typeEPNSK_ISF_E10value_typeEPSG_NS1_7vsmem_tEENKUlT_SE_SF_SG_E_clIS8_S8_S9_S9_EESD_ST_SE_SF_SG_EUlST_E1_NS1_11comp_targetILNS1_3genE8ELNS1_11target_archE1030ELNS1_3gpuE2ELNS1_3repE0EEENS1_36merge_oddeven_config_static_selectorELNS0_4arch9wavefront6targetE0EEEvSF_.kd
    .uniform_work_group_size: 1
    .uses_dynamic_stack: false
    .vgpr_count:     0
    .vgpr_spill_count: 0
    .wavefront_size: 32
  - .args:
      - .offset:         0
        .size:           48
        .value_kind:     by_value
    .group_segment_fixed_size: 16384
    .kernarg_segment_align: 8
    .kernarg_segment_size: 48
    .language:       OpenCL C
    .language_version:
      - 2
      - 0
    .max_flat_workgroup_size: 512
    .name:           _ZN7rocprim17ROCPRIM_400000_NS6detail17trampoline_kernelINS0_14default_configENS1_35radix_sort_onesweep_config_selectorIjNS0_10empty_typeEEEZNS1_34radix_sort_onesweep_global_offsetsIS3_Lb1EPKjPS5_mNS0_19identity_decomposerEEE10hipError_tT1_T2_PT3_SF_jT4_jjP12ihipStream_tbEUlT_E_NS1_11comp_targetILNS1_3genE0ELNS1_11target_archE4294967295ELNS1_3gpuE0ELNS1_3repE0EEENS1_52radix_sort_onesweep_histogram_config_static_selectorELNS0_4arch9wavefront6targetE0EEEvSD_
    .private_segment_fixed_size: 0
    .sgpr_count:     15
    .sgpr_spill_count: 0
    .symbol:         _ZN7rocprim17ROCPRIM_400000_NS6detail17trampoline_kernelINS0_14default_configENS1_35radix_sort_onesweep_config_selectorIjNS0_10empty_typeEEEZNS1_34radix_sort_onesweep_global_offsetsIS3_Lb1EPKjPS5_mNS0_19identity_decomposerEEE10hipError_tT1_T2_PT3_SF_jT4_jjP12ihipStream_tbEUlT_E_NS1_11comp_targetILNS1_3genE0ELNS1_11target_archE4294967295ELNS1_3gpuE0ELNS1_3repE0EEENS1_52radix_sort_onesweep_histogram_config_static_selectorELNS0_4arch9wavefront6targetE0EEEvSD_.kd
    .uniform_work_group_size: 1
    .uses_dynamic_stack: false
    .vgpr_count:     28
    .vgpr_spill_count: 0
    .wavefront_size: 32
  - .args:
      - .offset:         0
        .size:           48
        .value_kind:     by_value
    .group_segment_fixed_size: 0
    .kernarg_segment_align: 8
    .kernarg_segment_size: 48
    .language:       OpenCL C
    .language_version:
      - 2
      - 0
    .max_flat_workgroup_size: 1024
    .name:           _ZN7rocprim17ROCPRIM_400000_NS6detail17trampoline_kernelINS0_14default_configENS1_35radix_sort_onesweep_config_selectorIjNS0_10empty_typeEEEZNS1_34radix_sort_onesweep_global_offsetsIS3_Lb1EPKjPS5_mNS0_19identity_decomposerEEE10hipError_tT1_T2_PT3_SF_jT4_jjP12ihipStream_tbEUlT_E_NS1_11comp_targetILNS1_3genE6ELNS1_11target_archE950ELNS1_3gpuE13ELNS1_3repE0EEENS1_52radix_sort_onesweep_histogram_config_static_selectorELNS0_4arch9wavefront6targetE0EEEvSD_
    .private_segment_fixed_size: 0
    .sgpr_count:     0
    .sgpr_spill_count: 0
    .symbol:         _ZN7rocprim17ROCPRIM_400000_NS6detail17trampoline_kernelINS0_14default_configENS1_35radix_sort_onesweep_config_selectorIjNS0_10empty_typeEEEZNS1_34radix_sort_onesweep_global_offsetsIS3_Lb1EPKjPS5_mNS0_19identity_decomposerEEE10hipError_tT1_T2_PT3_SF_jT4_jjP12ihipStream_tbEUlT_E_NS1_11comp_targetILNS1_3genE6ELNS1_11target_archE950ELNS1_3gpuE13ELNS1_3repE0EEENS1_52radix_sort_onesweep_histogram_config_static_selectorELNS0_4arch9wavefront6targetE0EEEvSD_.kd
    .uniform_work_group_size: 1
    .uses_dynamic_stack: false
    .vgpr_count:     0
    .vgpr_spill_count: 0
    .wavefront_size: 32
  - .args:
      - .offset:         0
        .size:           48
        .value_kind:     by_value
    .group_segment_fixed_size: 0
    .kernarg_segment_align: 8
    .kernarg_segment_size: 48
    .language:       OpenCL C
    .language_version:
      - 2
      - 0
    .max_flat_workgroup_size: 1024
    .name:           _ZN7rocprim17ROCPRIM_400000_NS6detail17trampoline_kernelINS0_14default_configENS1_35radix_sort_onesweep_config_selectorIjNS0_10empty_typeEEEZNS1_34radix_sort_onesweep_global_offsetsIS3_Lb1EPKjPS5_mNS0_19identity_decomposerEEE10hipError_tT1_T2_PT3_SF_jT4_jjP12ihipStream_tbEUlT_E_NS1_11comp_targetILNS1_3genE5ELNS1_11target_archE942ELNS1_3gpuE9ELNS1_3repE0EEENS1_52radix_sort_onesweep_histogram_config_static_selectorELNS0_4arch9wavefront6targetE0EEEvSD_
    .private_segment_fixed_size: 0
    .sgpr_count:     0
    .sgpr_spill_count: 0
    .symbol:         _ZN7rocprim17ROCPRIM_400000_NS6detail17trampoline_kernelINS0_14default_configENS1_35radix_sort_onesweep_config_selectorIjNS0_10empty_typeEEEZNS1_34radix_sort_onesweep_global_offsetsIS3_Lb1EPKjPS5_mNS0_19identity_decomposerEEE10hipError_tT1_T2_PT3_SF_jT4_jjP12ihipStream_tbEUlT_E_NS1_11comp_targetILNS1_3genE5ELNS1_11target_archE942ELNS1_3gpuE9ELNS1_3repE0EEENS1_52radix_sort_onesweep_histogram_config_static_selectorELNS0_4arch9wavefront6targetE0EEEvSD_.kd
    .uniform_work_group_size: 1
    .uses_dynamic_stack: false
    .vgpr_count:     0
    .vgpr_spill_count: 0
    .wavefront_size: 32
  - .args:
      - .offset:         0
        .size:           48
        .value_kind:     by_value
    .group_segment_fixed_size: 0
    .kernarg_segment_align: 8
    .kernarg_segment_size: 48
    .language:       OpenCL C
    .language_version:
      - 2
      - 0
    .max_flat_workgroup_size: 1024
    .name:           _ZN7rocprim17ROCPRIM_400000_NS6detail17trampoline_kernelINS0_14default_configENS1_35radix_sort_onesweep_config_selectorIjNS0_10empty_typeEEEZNS1_34radix_sort_onesweep_global_offsetsIS3_Lb1EPKjPS5_mNS0_19identity_decomposerEEE10hipError_tT1_T2_PT3_SF_jT4_jjP12ihipStream_tbEUlT_E_NS1_11comp_targetILNS1_3genE2ELNS1_11target_archE906ELNS1_3gpuE6ELNS1_3repE0EEENS1_52radix_sort_onesweep_histogram_config_static_selectorELNS0_4arch9wavefront6targetE0EEEvSD_
    .private_segment_fixed_size: 0
    .sgpr_count:     0
    .sgpr_spill_count: 0
    .symbol:         _ZN7rocprim17ROCPRIM_400000_NS6detail17trampoline_kernelINS0_14default_configENS1_35radix_sort_onesweep_config_selectorIjNS0_10empty_typeEEEZNS1_34radix_sort_onesweep_global_offsetsIS3_Lb1EPKjPS5_mNS0_19identity_decomposerEEE10hipError_tT1_T2_PT3_SF_jT4_jjP12ihipStream_tbEUlT_E_NS1_11comp_targetILNS1_3genE2ELNS1_11target_archE906ELNS1_3gpuE6ELNS1_3repE0EEENS1_52radix_sort_onesweep_histogram_config_static_selectorELNS0_4arch9wavefront6targetE0EEEvSD_.kd
    .uniform_work_group_size: 1
    .uses_dynamic_stack: false
    .vgpr_count:     0
    .vgpr_spill_count: 0
    .wavefront_size: 32
  - .args:
      - .offset:         0
        .size:           48
        .value_kind:     by_value
    .group_segment_fixed_size: 0
    .kernarg_segment_align: 8
    .kernarg_segment_size: 48
    .language:       OpenCL C
    .language_version:
      - 2
      - 0
    .max_flat_workgroup_size: 1024
    .name:           _ZN7rocprim17ROCPRIM_400000_NS6detail17trampoline_kernelINS0_14default_configENS1_35radix_sort_onesweep_config_selectorIjNS0_10empty_typeEEEZNS1_34radix_sort_onesweep_global_offsetsIS3_Lb1EPKjPS5_mNS0_19identity_decomposerEEE10hipError_tT1_T2_PT3_SF_jT4_jjP12ihipStream_tbEUlT_E_NS1_11comp_targetILNS1_3genE4ELNS1_11target_archE910ELNS1_3gpuE8ELNS1_3repE0EEENS1_52radix_sort_onesweep_histogram_config_static_selectorELNS0_4arch9wavefront6targetE0EEEvSD_
    .private_segment_fixed_size: 0
    .sgpr_count:     0
    .sgpr_spill_count: 0
    .symbol:         _ZN7rocprim17ROCPRIM_400000_NS6detail17trampoline_kernelINS0_14default_configENS1_35radix_sort_onesweep_config_selectorIjNS0_10empty_typeEEEZNS1_34radix_sort_onesweep_global_offsetsIS3_Lb1EPKjPS5_mNS0_19identity_decomposerEEE10hipError_tT1_T2_PT3_SF_jT4_jjP12ihipStream_tbEUlT_E_NS1_11comp_targetILNS1_3genE4ELNS1_11target_archE910ELNS1_3gpuE8ELNS1_3repE0EEENS1_52radix_sort_onesweep_histogram_config_static_selectorELNS0_4arch9wavefront6targetE0EEEvSD_.kd
    .uniform_work_group_size: 1
    .uses_dynamic_stack: false
    .vgpr_count:     0
    .vgpr_spill_count: 0
    .wavefront_size: 32
  - .args:
      - .offset:         0
        .size:           48
        .value_kind:     by_value
    .group_segment_fixed_size: 0
    .kernarg_segment_align: 8
    .kernarg_segment_size: 48
    .language:       OpenCL C
    .language_version:
      - 2
      - 0
    .max_flat_workgroup_size: 512
    .name:           _ZN7rocprim17ROCPRIM_400000_NS6detail17trampoline_kernelINS0_14default_configENS1_35radix_sort_onesweep_config_selectorIjNS0_10empty_typeEEEZNS1_34radix_sort_onesweep_global_offsetsIS3_Lb1EPKjPS5_mNS0_19identity_decomposerEEE10hipError_tT1_T2_PT3_SF_jT4_jjP12ihipStream_tbEUlT_E_NS1_11comp_targetILNS1_3genE3ELNS1_11target_archE908ELNS1_3gpuE7ELNS1_3repE0EEENS1_52radix_sort_onesweep_histogram_config_static_selectorELNS0_4arch9wavefront6targetE0EEEvSD_
    .private_segment_fixed_size: 0
    .sgpr_count:     0
    .sgpr_spill_count: 0
    .symbol:         _ZN7rocprim17ROCPRIM_400000_NS6detail17trampoline_kernelINS0_14default_configENS1_35radix_sort_onesweep_config_selectorIjNS0_10empty_typeEEEZNS1_34radix_sort_onesweep_global_offsetsIS3_Lb1EPKjPS5_mNS0_19identity_decomposerEEE10hipError_tT1_T2_PT3_SF_jT4_jjP12ihipStream_tbEUlT_E_NS1_11comp_targetILNS1_3genE3ELNS1_11target_archE908ELNS1_3gpuE7ELNS1_3repE0EEENS1_52radix_sort_onesweep_histogram_config_static_selectorELNS0_4arch9wavefront6targetE0EEEvSD_.kd
    .uniform_work_group_size: 1
    .uses_dynamic_stack: false
    .vgpr_count:     0
    .vgpr_spill_count: 0
    .wavefront_size: 32
  - .args:
      - .offset:         0
        .size:           48
        .value_kind:     by_value
    .group_segment_fixed_size: 0
    .kernarg_segment_align: 8
    .kernarg_segment_size: 48
    .language:       OpenCL C
    .language_version:
      - 2
      - 0
    .max_flat_workgroup_size: 1024
    .name:           _ZN7rocprim17ROCPRIM_400000_NS6detail17trampoline_kernelINS0_14default_configENS1_35radix_sort_onesweep_config_selectorIjNS0_10empty_typeEEEZNS1_34radix_sort_onesweep_global_offsetsIS3_Lb1EPKjPS5_mNS0_19identity_decomposerEEE10hipError_tT1_T2_PT3_SF_jT4_jjP12ihipStream_tbEUlT_E_NS1_11comp_targetILNS1_3genE10ELNS1_11target_archE1201ELNS1_3gpuE5ELNS1_3repE0EEENS1_52radix_sort_onesweep_histogram_config_static_selectorELNS0_4arch9wavefront6targetE0EEEvSD_
    .private_segment_fixed_size: 0
    .sgpr_count:     0
    .sgpr_spill_count: 0
    .symbol:         _ZN7rocprim17ROCPRIM_400000_NS6detail17trampoline_kernelINS0_14default_configENS1_35radix_sort_onesweep_config_selectorIjNS0_10empty_typeEEEZNS1_34radix_sort_onesweep_global_offsetsIS3_Lb1EPKjPS5_mNS0_19identity_decomposerEEE10hipError_tT1_T2_PT3_SF_jT4_jjP12ihipStream_tbEUlT_E_NS1_11comp_targetILNS1_3genE10ELNS1_11target_archE1201ELNS1_3gpuE5ELNS1_3repE0EEENS1_52radix_sort_onesweep_histogram_config_static_selectorELNS0_4arch9wavefront6targetE0EEEvSD_.kd
    .uniform_work_group_size: 1
    .uses_dynamic_stack: false
    .vgpr_count:     0
    .vgpr_spill_count: 0
    .wavefront_size: 32
  - .args:
      - .offset:         0
        .size:           48
        .value_kind:     by_value
    .group_segment_fixed_size: 0
    .kernarg_segment_align: 8
    .kernarg_segment_size: 48
    .language:       OpenCL C
    .language_version:
      - 2
      - 0
    .max_flat_workgroup_size: 1024
    .name:           _ZN7rocprim17ROCPRIM_400000_NS6detail17trampoline_kernelINS0_14default_configENS1_35radix_sort_onesweep_config_selectorIjNS0_10empty_typeEEEZNS1_34radix_sort_onesweep_global_offsetsIS3_Lb1EPKjPS5_mNS0_19identity_decomposerEEE10hipError_tT1_T2_PT3_SF_jT4_jjP12ihipStream_tbEUlT_E_NS1_11comp_targetILNS1_3genE9ELNS1_11target_archE1100ELNS1_3gpuE3ELNS1_3repE0EEENS1_52radix_sort_onesweep_histogram_config_static_selectorELNS0_4arch9wavefront6targetE0EEEvSD_
    .private_segment_fixed_size: 0
    .sgpr_count:     0
    .sgpr_spill_count: 0
    .symbol:         _ZN7rocprim17ROCPRIM_400000_NS6detail17trampoline_kernelINS0_14default_configENS1_35radix_sort_onesweep_config_selectorIjNS0_10empty_typeEEEZNS1_34radix_sort_onesweep_global_offsetsIS3_Lb1EPKjPS5_mNS0_19identity_decomposerEEE10hipError_tT1_T2_PT3_SF_jT4_jjP12ihipStream_tbEUlT_E_NS1_11comp_targetILNS1_3genE9ELNS1_11target_archE1100ELNS1_3gpuE3ELNS1_3repE0EEENS1_52radix_sort_onesweep_histogram_config_static_selectorELNS0_4arch9wavefront6targetE0EEEvSD_.kd
    .uniform_work_group_size: 1
    .uses_dynamic_stack: false
    .vgpr_count:     0
    .vgpr_spill_count: 0
    .wavefront_size: 32
  - .args:
      - .offset:         0
        .size:           48
        .value_kind:     by_value
    .group_segment_fixed_size: 0
    .kernarg_segment_align: 8
    .kernarg_segment_size: 48
    .language:       OpenCL C
    .language_version:
      - 2
      - 0
    .max_flat_workgroup_size: 1024
    .name:           _ZN7rocprim17ROCPRIM_400000_NS6detail17trampoline_kernelINS0_14default_configENS1_35radix_sort_onesweep_config_selectorIjNS0_10empty_typeEEEZNS1_34radix_sort_onesweep_global_offsetsIS3_Lb1EPKjPS5_mNS0_19identity_decomposerEEE10hipError_tT1_T2_PT3_SF_jT4_jjP12ihipStream_tbEUlT_E_NS1_11comp_targetILNS1_3genE8ELNS1_11target_archE1030ELNS1_3gpuE2ELNS1_3repE0EEENS1_52radix_sort_onesweep_histogram_config_static_selectorELNS0_4arch9wavefront6targetE0EEEvSD_
    .private_segment_fixed_size: 0
    .sgpr_count:     0
    .sgpr_spill_count: 0
    .symbol:         _ZN7rocprim17ROCPRIM_400000_NS6detail17trampoline_kernelINS0_14default_configENS1_35radix_sort_onesweep_config_selectorIjNS0_10empty_typeEEEZNS1_34radix_sort_onesweep_global_offsetsIS3_Lb1EPKjPS5_mNS0_19identity_decomposerEEE10hipError_tT1_T2_PT3_SF_jT4_jjP12ihipStream_tbEUlT_E_NS1_11comp_targetILNS1_3genE8ELNS1_11target_archE1030ELNS1_3gpuE2ELNS1_3repE0EEENS1_52radix_sort_onesweep_histogram_config_static_selectorELNS0_4arch9wavefront6targetE0EEEvSD_.kd
    .uniform_work_group_size: 1
    .uses_dynamic_stack: false
    .vgpr_count:     0
    .vgpr_spill_count: 0
    .wavefront_size: 32
  - .args:
      - .address_space:  global
        .offset:         0
        .size:           8
        .value_kind:     global_buffer
    .group_segment_fixed_size: 128
    .kernarg_segment_align: 8
    .kernarg_segment_size: 8
    .language:       OpenCL C
    .language_version:
      - 2
      - 0
    .max_flat_workgroup_size: 512
    .name:           _ZN7rocprim17ROCPRIM_400000_NS6detail17trampoline_kernelINS0_14default_configENS1_35radix_sort_onesweep_config_selectorIjNS0_10empty_typeEEEZNS1_34radix_sort_onesweep_global_offsetsIS3_Lb1EPKjPS5_mNS0_19identity_decomposerEEE10hipError_tT1_T2_PT3_SF_jT4_jjP12ihipStream_tbEUlT_E0_NS1_11comp_targetILNS1_3genE0ELNS1_11target_archE4294967295ELNS1_3gpuE0ELNS1_3repE0EEENS1_52radix_sort_onesweep_histogram_config_static_selectorELNS0_4arch9wavefront6targetE0EEEvSD_
    .private_segment_fixed_size: 0
    .sgpr_count:     10
    .sgpr_spill_count: 0
    .symbol:         _ZN7rocprim17ROCPRIM_400000_NS6detail17trampoline_kernelINS0_14default_configENS1_35radix_sort_onesweep_config_selectorIjNS0_10empty_typeEEEZNS1_34radix_sort_onesweep_global_offsetsIS3_Lb1EPKjPS5_mNS0_19identity_decomposerEEE10hipError_tT1_T2_PT3_SF_jT4_jjP12ihipStream_tbEUlT_E0_NS1_11comp_targetILNS1_3genE0ELNS1_11target_archE4294967295ELNS1_3gpuE0ELNS1_3repE0EEENS1_52radix_sort_onesweep_histogram_config_static_selectorELNS0_4arch9wavefront6targetE0EEEvSD_.kd
    .uniform_work_group_size: 1
    .uses_dynamic_stack: false
    .vgpr_count:     14
    .vgpr_spill_count: 0
    .wavefront_size: 32
  - .args:
      - .address_space:  global
        .offset:         0
        .size:           8
        .value_kind:     global_buffer
    .group_segment_fixed_size: 0
    .kernarg_segment_align: 8
    .kernarg_segment_size: 8
    .language:       OpenCL C
    .language_version:
      - 2
      - 0
    .max_flat_workgroup_size: 1024
    .name:           _ZN7rocprim17ROCPRIM_400000_NS6detail17trampoline_kernelINS0_14default_configENS1_35radix_sort_onesweep_config_selectorIjNS0_10empty_typeEEEZNS1_34radix_sort_onesweep_global_offsetsIS3_Lb1EPKjPS5_mNS0_19identity_decomposerEEE10hipError_tT1_T2_PT3_SF_jT4_jjP12ihipStream_tbEUlT_E0_NS1_11comp_targetILNS1_3genE6ELNS1_11target_archE950ELNS1_3gpuE13ELNS1_3repE0EEENS1_52radix_sort_onesweep_histogram_config_static_selectorELNS0_4arch9wavefront6targetE0EEEvSD_
    .private_segment_fixed_size: 0
    .sgpr_count:     0
    .sgpr_spill_count: 0
    .symbol:         _ZN7rocprim17ROCPRIM_400000_NS6detail17trampoline_kernelINS0_14default_configENS1_35radix_sort_onesweep_config_selectorIjNS0_10empty_typeEEEZNS1_34radix_sort_onesweep_global_offsetsIS3_Lb1EPKjPS5_mNS0_19identity_decomposerEEE10hipError_tT1_T2_PT3_SF_jT4_jjP12ihipStream_tbEUlT_E0_NS1_11comp_targetILNS1_3genE6ELNS1_11target_archE950ELNS1_3gpuE13ELNS1_3repE0EEENS1_52radix_sort_onesweep_histogram_config_static_selectorELNS0_4arch9wavefront6targetE0EEEvSD_.kd
    .uniform_work_group_size: 1
    .uses_dynamic_stack: false
    .vgpr_count:     0
    .vgpr_spill_count: 0
    .wavefront_size: 32
  - .args:
      - .address_space:  global
        .offset:         0
        .size:           8
        .value_kind:     global_buffer
    .group_segment_fixed_size: 0
    .kernarg_segment_align: 8
    .kernarg_segment_size: 8
    .language:       OpenCL C
    .language_version:
      - 2
      - 0
    .max_flat_workgroup_size: 1024
    .name:           _ZN7rocprim17ROCPRIM_400000_NS6detail17trampoline_kernelINS0_14default_configENS1_35radix_sort_onesweep_config_selectorIjNS0_10empty_typeEEEZNS1_34radix_sort_onesweep_global_offsetsIS3_Lb1EPKjPS5_mNS0_19identity_decomposerEEE10hipError_tT1_T2_PT3_SF_jT4_jjP12ihipStream_tbEUlT_E0_NS1_11comp_targetILNS1_3genE5ELNS1_11target_archE942ELNS1_3gpuE9ELNS1_3repE0EEENS1_52radix_sort_onesweep_histogram_config_static_selectorELNS0_4arch9wavefront6targetE0EEEvSD_
    .private_segment_fixed_size: 0
    .sgpr_count:     0
    .sgpr_spill_count: 0
    .symbol:         _ZN7rocprim17ROCPRIM_400000_NS6detail17trampoline_kernelINS0_14default_configENS1_35radix_sort_onesweep_config_selectorIjNS0_10empty_typeEEEZNS1_34radix_sort_onesweep_global_offsetsIS3_Lb1EPKjPS5_mNS0_19identity_decomposerEEE10hipError_tT1_T2_PT3_SF_jT4_jjP12ihipStream_tbEUlT_E0_NS1_11comp_targetILNS1_3genE5ELNS1_11target_archE942ELNS1_3gpuE9ELNS1_3repE0EEENS1_52radix_sort_onesweep_histogram_config_static_selectorELNS0_4arch9wavefront6targetE0EEEvSD_.kd
    .uniform_work_group_size: 1
    .uses_dynamic_stack: false
    .vgpr_count:     0
    .vgpr_spill_count: 0
    .wavefront_size: 32
  - .args:
      - .address_space:  global
        .offset:         0
        .size:           8
        .value_kind:     global_buffer
    .group_segment_fixed_size: 0
    .kernarg_segment_align: 8
    .kernarg_segment_size: 8
    .language:       OpenCL C
    .language_version:
      - 2
      - 0
    .max_flat_workgroup_size: 1024
    .name:           _ZN7rocprim17ROCPRIM_400000_NS6detail17trampoline_kernelINS0_14default_configENS1_35radix_sort_onesweep_config_selectorIjNS0_10empty_typeEEEZNS1_34radix_sort_onesweep_global_offsetsIS3_Lb1EPKjPS5_mNS0_19identity_decomposerEEE10hipError_tT1_T2_PT3_SF_jT4_jjP12ihipStream_tbEUlT_E0_NS1_11comp_targetILNS1_3genE2ELNS1_11target_archE906ELNS1_3gpuE6ELNS1_3repE0EEENS1_52radix_sort_onesweep_histogram_config_static_selectorELNS0_4arch9wavefront6targetE0EEEvSD_
    .private_segment_fixed_size: 0
    .sgpr_count:     0
    .sgpr_spill_count: 0
    .symbol:         _ZN7rocprim17ROCPRIM_400000_NS6detail17trampoline_kernelINS0_14default_configENS1_35radix_sort_onesweep_config_selectorIjNS0_10empty_typeEEEZNS1_34radix_sort_onesweep_global_offsetsIS3_Lb1EPKjPS5_mNS0_19identity_decomposerEEE10hipError_tT1_T2_PT3_SF_jT4_jjP12ihipStream_tbEUlT_E0_NS1_11comp_targetILNS1_3genE2ELNS1_11target_archE906ELNS1_3gpuE6ELNS1_3repE0EEENS1_52radix_sort_onesweep_histogram_config_static_selectorELNS0_4arch9wavefront6targetE0EEEvSD_.kd
    .uniform_work_group_size: 1
    .uses_dynamic_stack: false
    .vgpr_count:     0
    .vgpr_spill_count: 0
    .wavefront_size: 32
  - .args:
      - .address_space:  global
        .offset:         0
        .size:           8
        .value_kind:     global_buffer
    .group_segment_fixed_size: 0
    .kernarg_segment_align: 8
    .kernarg_segment_size: 8
    .language:       OpenCL C
    .language_version:
      - 2
      - 0
    .max_flat_workgroup_size: 1024
    .name:           _ZN7rocprim17ROCPRIM_400000_NS6detail17trampoline_kernelINS0_14default_configENS1_35radix_sort_onesweep_config_selectorIjNS0_10empty_typeEEEZNS1_34radix_sort_onesweep_global_offsetsIS3_Lb1EPKjPS5_mNS0_19identity_decomposerEEE10hipError_tT1_T2_PT3_SF_jT4_jjP12ihipStream_tbEUlT_E0_NS1_11comp_targetILNS1_3genE4ELNS1_11target_archE910ELNS1_3gpuE8ELNS1_3repE0EEENS1_52radix_sort_onesweep_histogram_config_static_selectorELNS0_4arch9wavefront6targetE0EEEvSD_
    .private_segment_fixed_size: 0
    .sgpr_count:     0
    .sgpr_spill_count: 0
    .symbol:         _ZN7rocprim17ROCPRIM_400000_NS6detail17trampoline_kernelINS0_14default_configENS1_35radix_sort_onesweep_config_selectorIjNS0_10empty_typeEEEZNS1_34radix_sort_onesweep_global_offsetsIS3_Lb1EPKjPS5_mNS0_19identity_decomposerEEE10hipError_tT1_T2_PT3_SF_jT4_jjP12ihipStream_tbEUlT_E0_NS1_11comp_targetILNS1_3genE4ELNS1_11target_archE910ELNS1_3gpuE8ELNS1_3repE0EEENS1_52radix_sort_onesweep_histogram_config_static_selectorELNS0_4arch9wavefront6targetE0EEEvSD_.kd
    .uniform_work_group_size: 1
    .uses_dynamic_stack: false
    .vgpr_count:     0
    .vgpr_spill_count: 0
    .wavefront_size: 32
  - .args:
      - .address_space:  global
        .offset:         0
        .size:           8
        .value_kind:     global_buffer
    .group_segment_fixed_size: 0
    .kernarg_segment_align: 8
    .kernarg_segment_size: 8
    .language:       OpenCL C
    .language_version:
      - 2
      - 0
    .max_flat_workgroup_size: 512
    .name:           _ZN7rocprim17ROCPRIM_400000_NS6detail17trampoline_kernelINS0_14default_configENS1_35radix_sort_onesweep_config_selectorIjNS0_10empty_typeEEEZNS1_34radix_sort_onesweep_global_offsetsIS3_Lb1EPKjPS5_mNS0_19identity_decomposerEEE10hipError_tT1_T2_PT3_SF_jT4_jjP12ihipStream_tbEUlT_E0_NS1_11comp_targetILNS1_3genE3ELNS1_11target_archE908ELNS1_3gpuE7ELNS1_3repE0EEENS1_52radix_sort_onesweep_histogram_config_static_selectorELNS0_4arch9wavefront6targetE0EEEvSD_
    .private_segment_fixed_size: 0
    .sgpr_count:     0
    .sgpr_spill_count: 0
    .symbol:         _ZN7rocprim17ROCPRIM_400000_NS6detail17trampoline_kernelINS0_14default_configENS1_35radix_sort_onesweep_config_selectorIjNS0_10empty_typeEEEZNS1_34radix_sort_onesweep_global_offsetsIS3_Lb1EPKjPS5_mNS0_19identity_decomposerEEE10hipError_tT1_T2_PT3_SF_jT4_jjP12ihipStream_tbEUlT_E0_NS1_11comp_targetILNS1_3genE3ELNS1_11target_archE908ELNS1_3gpuE7ELNS1_3repE0EEENS1_52radix_sort_onesweep_histogram_config_static_selectorELNS0_4arch9wavefront6targetE0EEEvSD_.kd
    .uniform_work_group_size: 1
    .uses_dynamic_stack: false
    .vgpr_count:     0
    .vgpr_spill_count: 0
    .wavefront_size: 32
  - .args:
      - .address_space:  global
        .offset:         0
        .size:           8
        .value_kind:     global_buffer
    .group_segment_fixed_size: 0
    .kernarg_segment_align: 8
    .kernarg_segment_size: 8
    .language:       OpenCL C
    .language_version:
      - 2
      - 0
    .max_flat_workgroup_size: 1024
    .name:           _ZN7rocprim17ROCPRIM_400000_NS6detail17trampoline_kernelINS0_14default_configENS1_35radix_sort_onesweep_config_selectorIjNS0_10empty_typeEEEZNS1_34radix_sort_onesweep_global_offsetsIS3_Lb1EPKjPS5_mNS0_19identity_decomposerEEE10hipError_tT1_T2_PT3_SF_jT4_jjP12ihipStream_tbEUlT_E0_NS1_11comp_targetILNS1_3genE10ELNS1_11target_archE1201ELNS1_3gpuE5ELNS1_3repE0EEENS1_52radix_sort_onesweep_histogram_config_static_selectorELNS0_4arch9wavefront6targetE0EEEvSD_
    .private_segment_fixed_size: 0
    .sgpr_count:     0
    .sgpr_spill_count: 0
    .symbol:         _ZN7rocprim17ROCPRIM_400000_NS6detail17trampoline_kernelINS0_14default_configENS1_35radix_sort_onesweep_config_selectorIjNS0_10empty_typeEEEZNS1_34radix_sort_onesweep_global_offsetsIS3_Lb1EPKjPS5_mNS0_19identity_decomposerEEE10hipError_tT1_T2_PT3_SF_jT4_jjP12ihipStream_tbEUlT_E0_NS1_11comp_targetILNS1_3genE10ELNS1_11target_archE1201ELNS1_3gpuE5ELNS1_3repE0EEENS1_52radix_sort_onesweep_histogram_config_static_selectorELNS0_4arch9wavefront6targetE0EEEvSD_.kd
    .uniform_work_group_size: 1
    .uses_dynamic_stack: false
    .vgpr_count:     0
    .vgpr_spill_count: 0
    .wavefront_size: 32
  - .args:
      - .address_space:  global
        .offset:         0
        .size:           8
        .value_kind:     global_buffer
    .group_segment_fixed_size: 0
    .kernarg_segment_align: 8
    .kernarg_segment_size: 8
    .language:       OpenCL C
    .language_version:
      - 2
      - 0
    .max_flat_workgroup_size: 1024
    .name:           _ZN7rocprim17ROCPRIM_400000_NS6detail17trampoline_kernelINS0_14default_configENS1_35radix_sort_onesweep_config_selectorIjNS0_10empty_typeEEEZNS1_34radix_sort_onesweep_global_offsetsIS3_Lb1EPKjPS5_mNS0_19identity_decomposerEEE10hipError_tT1_T2_PT3_SF_jT4_jjP12ihipStream_tbEUlT_E0_NS1_11comp_targetILNS1_3genE9ELNS1_11target_archE1100ELNS1_3gpuE3ELNS1_3repE0EEENS1_52radix_sort_onesweep_histogram_config_static_selectorELNS0_4arch9wavefront6targetE0EEEvSD_
    .private_segment_fixed_size: 0
    .sgpr_count:     0
    .sgpr_spill_count: 0
    .symbol:         _ZN7rocprim17ROCPRIM_400000_NS6detail17trampoline_kernelINS0_14default_configENS1_35radix_sort_onesweep_config_selectorIjNS0_10empty_typeEEEZNS1_34radix_sort_onesweep_global_offsetsIS3_Lb1EPKjPS5_mNS0_19identity_decomposerEEE10hipError_tT1_T2_PT3_SF_jT4_jjP12ihipStream_tbEUlT_E0_NS1_11comp_targetILNS1_3genE9ELNS1_11target_archE1100ELNS1_3gpuE3ELNS1_3repE0EEENS1_52radix_sort_onesweep_histogram_config_static_selectorELNS0_4arch9wavefront6targetE0EEEvSD_.kd
    .uniform_work_group_size: 1
    .uses_dynamic_stack: false
    .vgpr_count:     0
    .vgpr_spill_count: 0
    .wavefront_size: 32
  - .args:
      - .address_space:  global
        .offset:         0
        .size:           8
        .value_kind:     global_buffer
    .group_segment_fixed_size: 0
    .kernarg_segment_align: 8
    .kernarg_segment_size: 8
    .language:       OpenCL C
    .language_version:
      - 2
      - 0
    .max_flat_workgroup_size: 1024
    .name:           _ZN7rocprim17ROCPRIM_400000_NS6detail17trampoline_kernelINS0_14default_configENS1_35radix_sort_onesweep_config_selectorIjNS0_10empty_typeEEEZNS1_34radix_sort_onesweep_global_offsetsIS3_Lb1EPKjPS5_mNS0_19identity_decomposerEEE10hipError_tT1_T2_PT3_SF_jT4_jjP12ihipStream_tbEUlT_E0_NS1_11comp_targetILNS1_3genE8ELNS1_11target_archE1030ELNS1_3gpuE2ELNS1_3repE0EEENS1_52radix_sort_onesweep_histogram_config_static_selectorELNS0_4arch9wavefront6targetE0EEEvSD_
    .private_segment_fixed_size: 0
    .sgpr_count:     0
    .sgpr_spill_count: 0
    .symbol:         _ZN7rocprim17ROCPRIM_400000_NS6detail17trampoline_kernelINS0_14default_configENS1_35radix_sort_onesweep_config_selectorIjNS0_10empty_typeEEEZNS1_34radix_sort_onesweep_global_offsetsIS3_Lb1EPKjPS5_mNS0_19identity_decomposerEEE10hipError_tT1_T2_PT3_SF_jT4_jjP12ihipStream_tbEUlT_E0_NS1_11comp_targetILNS1_3genE8ELNS1_11target_archE1030ELNS1_3gpuE2ELNS1_3repE0EEENS1_52radix_sort_onesweep_histogram_config_static_selectorELNS0_4arch9wavefront6targetE0EEEvSD_.kd
    .uniform_work_group_size: 1
    .uses_dynamic_stack: false
    .vgpr_count:     0
    .vgpr_spill_count: 0
    .wavefront_size: 32
  - .args:
      - .offset:         0
        .size:           40
        .value_kind:     by_value
      - .offset:         40
        .size:           4
        .value_kind:     hidden_block_count_x
      - .offset:         44
        .size:           4
        .value_kind:     hidden_block_count_y
      - .offset:         48
        .size:           4
        .value_kind:     hidden_block_count_z
      - .offset:         52
        .size:           2
        .value_kind:     hidden_group_size_x
      - .offset:         54
        .size:           2
        .value_kind:     hidden_group_size_y
      - .offset:         56
        .size:           2
        .value_kind:     hidden_group_size_z
      - .offset:         58
        .size:           2
        .value_kind:     hidden_remainder_x
      - .offset:         60
        .size:           2
        .value_kind:     hidden_remainder_y
      - .offset:         62
        .size:           2
        .value_kind:     hidden_remainder_z
      - .offset:         80
        .size:           8
        .value_kind:     hidden_global_offset_x
      - .offset:         88
        .size:           8
        .value_kind:     hidden_global_offset_y
      - .offset:         96
        .size:           8
        .value_kind:     hidden_global_offset_z
      - .offset:         104
        .size:           2
        .value_kind:     hidden_grid_dims
    .group_segment_fixed_size: 0
    .kernarg_segment_align: 8
    .kernarg_segment_size: 296
    .language:       OpenCL C
    .language_version:
      - 2
      - 0
    .max_flat_workgroup_size: 128
    .name:           _ZN7rocprim17ROCPRIM_400000_NS6detail17trampoline_kernelINS0_14default_configENS1_25transform_config_selectorIjLb1EEEZNS1_14transform_implILb1ES3_S5_PKjPjNS0_8identityIjEEEE10hipError_tT2_T3_mT4_P12ihipStream_tbEUlT_E_NS1_11comp_targetILNS1_3genE0ELNS1_11target_archE4294967295ELNS1_3gpuE0ELNS1_3repE0EEENS1_30default_config_static_selectorELNS0_4arch9wavefront6targetE0EEEvT1_
    .private_segment_fixed_size: 0
    .sgpr_count:     16
    .sgpr_spill_count: 0
    .symbol:         _ZN7rocprim17ROCPRIM_400000_NS6detail17trampoline_kernelINS0_14default_configENS1_25transform_config_selectorIjLb1EEEZNS1_14transform_implILb1ES3_S5_PKjPjNS0_8identityIjEEEE10hipError_tT2_T3_mT4_P12ihipStream_tbEUlT_E_NS1_11comp_targetILNS1_3genE0ELNS1_11target_archE4294967295ELNS1_3gpuE0ELNS1_3repE0EEENS1_30default_config_static_selectorELNS0_4arch9wavefront6targetE0EEEvT1_.kd
    .uniform_work_group_size: 1
    .uses_dynamic_stack: false
    .vgpr_count:     4
    .vgpr_spill_count: 0
    .wavefront_size: 32
  - .args:
      - .offset:         0
        .size:           40
        .value_kind:     by_value
    .group_segment_fixed_size: 0
    .kernarg_segment_align: 8
    .kernarg_segment_size: 40
    .language:       OpenCL C
    .language_version:
      - 2
      - 0
    .max_flat_workgroup_size: 1024
    .name:           _ZN7rocprim17ROCPRIM_400000_NS6detail17trampoline_kernelINS0_14default_configENS1_25transform_config_selectorIjLb1EEEZNS1_14transform_implILb1ES3_S5_PKjPjNS0_8identityIjEEEE10hipError_tT2_T3_mT4_P12ihipStream_tbEUlT_E_NS1_11comp_targetILNS1_3genE10ELNS1_11target_archE1201ELNS1_3gpuE5ELNS1_3repE0EEENS1_30default_config_static_selectorELNS0_4arch9wavefront6targetE0EEEvT1_
    .private_segment_fixed_size: 0
    .sgpr_count:     0
    .sgpr_spill_count: 0
    .symbol:         _ZN7rocprim17ROCPRIM_400000_NS6detail17trampoline_kernelINS0_14default_configENS1_25transform_config_selectorIjLb1EEEZNS1_14transform_implILb1ES3_S5_PKjPjNS0_8identityIjEEEE10hipError_tT2_T3_mT4_P12ihipStream_tbEUlT_E_NS1_11comp_targetILNS1_3genE10ELNS1_11target_archE1201ELNS1_3gpuE5ELNS1_3repE0EEENS1_30default_config_static_selectorELNS0_4arch9wavefront6targetE0EEEvT1_.kd
    .uniform_work_group_size: 1
    .uses_dynamic_stack: false
    .vgpr_count:     0
    .vgpr_spill_count: 0
    .wavefront_size: 32
  - .args:
      - .offset:         0
        .size:           40
        .value_kind:     by_value
    .group_segment_fixed_size: 0
    .kernarg_segment_align: 8
    .kernarg_segment_size: 40
    .language:       OpenCL C
    .language_version:
      - 2
      - 0
    .max_flat_workgroup_size: 256
    .name:           _ZN7rocprim17ROCPRIM_400000_NS6detail17trampoline_kernelINS0_14default_configENS1_25transform_config_selectorIjLb1EEEZNS1_14transform_implILb1ES3_S5_PKjPjNS0_8identityIjEEEE10hipError_tT2_T3_mT4_P12ihipStream_tbEUlT_E_NS1_11comp_targetILNS1_3genE5ELNS1_11target_archE942ELNS1_3gpuE9ELNS1_3repE0EEENS1_30default_config_static_selectorELNS0_4arch9wavefront6targetE0EEEvT1_
    .private_segment_fixed_size: 0
    .sgpr_count:     0
    .sgpr_spill_count: 0
    .symbol:         _ZN7rocprim17ROCPRIM_400000_NS6detail17trampoline_kernelINS0_14default_configENS1_25transform_config_selectorIjLb1EEEZNS1_14transform_implILb1ES3_S5_PKjPjNS0_8identityIjEEEE10hipError_tT2_T3_mT4_P12ihipStream_tbEUlT_E_NS1_11comp_targetILNS1_3genE5ELNS1_11target_archE942ELNS1_3gpuE9ELNS1_3repE0EEENS1_30default_config_static_selectorELNS0_4arch9wavefront6targetE0EEEvT1_.kd
    .uniform_work_group_size: 1
    .uses_dynamic_stack: false
    .vgpr_count:     0
    .vgpr_spill_count: 0
    .wavefront_size: 32
  - .args:
      - .offset:         0
        .size:           40
        .value_kind:     by_value
    .group_segment_fixed_size: 0
    .kernarg_segment_align: 8
    .kernarg_segment_size: 40
    .language:       OpenCL C
    .language_version:
      - 2
      - 0
    .max_flat_workgroup_size: 1024
    .name:           _ZN7rocprim17ROCPRIM_400000_NS6detail17trampoline_kernelINS0_14default_configENS1_25transform_config_selectorIjLb1EEEZNS1_14transform_implILb1ES3_S5_PKjPjNS0_8identityIjEEEE10hipError_tT2_T3_mT4_P12ihipStream_tbEUlT_E_NS1_11comp_targetILNS1_3genE4ELNS1_11target_archE910ELNS1_3gpuE8ELNS1_3repE0EEENS1_30default_config_static_selectorELNS0_4arch9wavefront6targetE0EEEvT1_
    .private_segment_fixed_size: 0
    .sgpr_count:     0
    .sgpr_spill_count: 0
    .symbol:         _ZN7rocprim17ROCPRIM_400000_NS6detail17trampoline_kernelINS0_14default_configENS1_25transform_config_selectorIjLb1EEEZNS1_14transform_implILb1ES3_S5_PKjPjNS0_8identityIjEEEE10hipError_tT2_T3_mT4_P12ihipStream_tbEUlT_E_NS1_11comp_targetILNS1_3genE4ELNS1_11target_archE910ELNS1_3gpuE8ELNS1_3repE0EEENS1_30default_config_static_selectorELNS0_4arch9wavefront6targetE0EEEvT1_.kd
    .uniform_work_group_size: 1
    .uses_dynamic_stack: false
    .vgpr_count:     0
    .vgpr_spill_count: 0
    .wavefront_size: 32
  - .args:
      - .offset:         0
        .size:           40
        .value_kind:     by_value
    .group_segment_fixed_size: 0
    .kernarg_segment_align: 8
    .kernarg_segment_size: 40
    .language:       OpenCL C
    .language_version:
      - 2
      - 0
    .max_flat_workgroup_size: 128
    .name:           _ZN7rocprim17ROCPRIM_400000_NS6detail17trampoline_kernelINS0_14default_configENS1_25transform_config_selectorIjLb1EEEZNS1_14transform_implILb1ES3_S5_PKjPjNS0_8identityIjEEEE10hipError_tT2_T3_mT4_P12ihipStream_tbEUlT_E_NS1_11comp_targetILNS1_3genE3ELNS1_11target_archE908ELNS1_3gpuE7ELNS1_3repE0EEENS1_30default_config_static_selectorELNS0_4arch9wavefront6targetE0EEEvT1_
    .private_segment_fixed_size: 0
    .sgpr_count:     0
    .sgpr_spill_count: 0
    .symbol:         _ZN7rocprim17ROCPRIM_400000_NS6detail17trampoline_kernelINS0_14default_configENS1_25transform_config_selectorIjLb1EEEZNS1_14transform_implILb1ES3_S5_PKjPjNS0_8identityIjEEEE10hipError_tT2_T3_mT4_P12ihipStream_tbEUlT_E_NS1_11comp_targetILNS1_3genE3ELNS1_11target_archE908ELNS1_3gpuE7ELNS1_3repE0EEENS1_30default_config_static_selectorELNS0_4arch9wavefront6targetE0EEEvT1_.kd
    .uniform_work_group_size: 1
    .uses_dynamic_stack: false
    .vgpr_count:     0
    .vgpr_spill_count: 0
    .wavefront_size: 32
  - .args:
      - .offset:         0
        .size:           40
        .value_kind:     by_value
    .group_segment_fixed_size: 0
    .kernarg_segment_align: 8
    .kernarg_segment_size: 40
    .language:       OpenCL C
    .language_version:
      - 2
      - 0
    .max_flat_workgroup_size: 1024
    .name:           _ZN7rocprim17ROCPRIM_400000_NS6detail17trampoline_kernelINS0_14default_configENS1_25transform_config_selectorIjLb1EEEZNS1_14transform_implILb1ES3_S5_PKjPjNS0_8identityIjEEEE10hipError_tT2_T3_mT4_P12ihipStream_tbEUlT_E_NS1_11comp_targetILNS1_3genE2ELNS1_11target_archE906ELNS1_3gpuE6ELNS1_3repE0EEENS1_30default_config_static_selectorELNS0_4arch9wavefront6targetE0EEEvT1_
    .private_segment_fixed_size: 0
    .sgpr_count:     0
    .sgpr_spill_count: 0
    .symbol:         _ZN7rocprim17ROCPRIM_400000_NS6detail17trampoline_kernelINS0_14default_configENS1_25transform_config_selectorIjLb1EEEZNS1_14transform_implILb1ES3_S5_PKjPjNS0_8identityIjEEEE10hipError_tT2_T3_mT4_P12ihipStream_tbEUlT_E_NS1_11comp_targetILNS1_3genE2ELNS1_11target_archE906ELNS1_3gpuE6ELNS1_3repE0EEENS1_30default_config_static_selectorELNS0_4arch9wavefront6targetE0EEEvT1_.kd
    .uniform_work_group_size: 1
    .uses_dynamic_stack: false
    .vgpr_count:     0
    .vgpr_spill_count: 0
    .wavefront_size: 32
  - .args:
      - .offset:         0
        .size:           40
        .value_kind:     by_value
    .group_segment_fixed_size: 0
    .kernarg_segment_align: 8
    .kernarg_segment_size: 40
    .language:       OpenCL C
    .language_version:
      - 2
      - 0
    .max_flat_workgroup_size: 1024
    .name:           _ZN7rocprim17ROCPRIM_400000_NS6detail17trampoline_kernelINS0_14default_configENS1_25transform_config_selectorIjLb1EEEZNS1_14transform_implILb1ES3_S5_PKjPjNS0_8identityIjEEEE10hipError_tT2_T3_mT4_P12ihipStream_tbEUlT_E_NS1_11comp_targetILNS1_3genE9ELNS1_11target_archE1100ELNS1_3gpuE3ELNS1_3repE0EEENS1_30default_config_static_selectorELNS0_4arch9wavefront6targetE0EEEvT1_
    .private_segment_fixed_size: 0
    .sgpr_count:     0
    .sgpr_spill_count: 0
    .symbol:         _ZN7rocprim17ROCPRIM_400000_NS6detail17trampoline_kernelINS0_14default_configENS1_25transform_config_selectorIjLb1EEEZNS1_14transform_implILb1ES3_S5_PKjPjNS0_8identityIjEEEE10hipError_tT2_T3_mT4_P12ihipStream_tbEUlT_E_NS1_11comp_targetILNS1_3genE9ELNS1_11target_archE1100ELNS1_3gpuE3ELNS1_3repE0EEENS1_30default_config_static_selectorELNS0_4arch9wavefront6targetE0EEEvT1_.kd
    .uniform_work_group_size: 1
    .uses_dynamic_stack: false
    .vgpr_count:     0
    .vgpr_spill_count: 0
    .wavefront_size: 32
  - .args:
      - .offset:         0
        .size:           40
        .value_kind:     by_value
    .group_segment_fixed_size: 0
    .kernarg_segment_align: 8
    .kernarg_segment_size: 40
    .language:       OpenCL C
    .language_version:
      - 2
      - 0
    .max_flat_workgroup_size: 1024
    .name:           _ZN7rocprim17ROCPRIM_400000_NS6detail17trampoline_kernelINS0_14default_configENS1_25transform_config_selectorIjLb1EEEZNS1_14transform_implILb1ES3_S5_PKjPjNS0_8identityIjEEEE10hipError_tT2_T3_mT4_P12ihipStream_tbEUlT_E_NS1_11comp_targetILNS1_3genE8ELNS1_11target_archE1030ELNS1_3gpuE2ELNS1_3repE0EEENS1_30default_config_static_selectorELNS0_4arch9wavefront6targetE0EEEvT1_
    .private_segment_fixed_size: 0
    .sgpr_count:     0
    .sgpr_spill_count: 0
    .symbol:         _ZN7rocprim17ROCPRIM_400000_NS6detail17trampoline_kernelINS0_14default_configENS1_25transform_config_selectorIjLb1EEEZNS1_14transform_implILb1ES3_S5_PKjPjNS0_8identityIjEEEE10hipError_tT2_T3_mT4_P12ihipStream_tbEUlT_E_NS1_11comp_targetILNS1_3genE8ELNS1_11target_archE1030ELNS1_3gpuE2ELNS1_3repE0EEENS1_30default_config_static_selectorELNS0_4arch9wavefront6targetE0EEEvT1_.kd
    .uniform_work_group_size: 1
    .uses_dynamic_stack: false
    .vgpr_count:     0
    .vgpr_spill_count: 0
    .wavefront_size: 32
  - .args:
      - .offset:         0
        .size:           88
        .value_kind:     by_value
      - .offset:         88
        .size:           4
        .value_kind:     hidden_block_count_x
      - .offset:         92
        .size:           4
        .value_kind:     hidden_block_count_y
      - .offset:         96
        .size:           4
        .value_kind:     hidden_block_count_z
      - .offset:         100
        .size:           2
        .value_kind:     hidden_group_size_x
      - .offset:         102
        .size:           2
        .value_kind:     hidden_group_size_y
      - .offset:         104
        .size:           2
        .value_kind:     hidden_group_size_z
      - .offset:         106
        .size:           2
        .value_kind:     hidden_remainder_x
      - .offset:         108
        .size:           2
        .value_kind:     hidden_remainder_y
      - .offset:         110
        .size:           2
        .value_kind:     hidden_remainder_z
      - .offset:         128
        .size:           8
        .value_kind:     hidden_global_offset_x
      - .offset:         136
        .size:           8
        .value_kind:     hidden_global_offset_y
      - .offset:         144
        .size:           8
        .value_kind:     hidden_global_offset_z
      - .offset:         152
        .size:           2
        .value_kind:     hidden_grid_dims
    .group_segment_fixed_size: 18504
    .kernarg_segment_align: 8
    .kernarg_segment_size: 344
    .language:       OpenCL C
    .language_version:
      - 2
      - 0
    .max_flat_workgroup_size: 512
    .name:           _ZN7rocprim17ROCPRIM_400000_NS6detail17trampoline_kernelINS0_14default_configENS1_35radix_sort_onesweep_config_selectorIjNS0_10empty_typeEEEZZNS1_29radix_sort_onesweep_iterationIS3_Lb1EPKjPjPS5_SB_mNS0_19identity_decomposerENS1_16block_id_wrapperIjLb1EEEEE10hipError_tT1_PNSt15iterator_traitsISG_E10value_typeET2_T3_PNSH_ISM_E10value_typeET4_T5_PSR_SS_PNS1_23onesweep_lookback_stateEbbT6_jjT7_P12ihipStream_tbENKUlT_T0_SG_SL_E_clIS9_SA_SB_SB_EEDaSZ_S10_SG_SL_EUlSZ_E_NS1_11comp_targetILNS1_3genE0ELNS1_11target_archE4294967295ELNS1_3gpuE0ELNS1_3repE0EEENS1_47radix_sort_onesweep_sort_config_static_selectorELNS0_4arch9wavefront6targetE0EEEvSG_
    .private_segment_fixed_size: 0
    .sgpr_count:     31
    .sgpr_spill_count: 0
    .symbol:         _ZN7rocprim17ROCPRIM_400000_NS6detail17trampoline_kernelINS0_14default_configENS1_35radix_sort_onesweep_config_selectorIjNS0_10empty_typeEEEZZNS1_29radix_sort_onesweep_iterationIS3_Lb1EPKjPjPS5_SB_mNS0_19identity_decomposerENS1_16block_id_wrapperIjLb1EEEEE10hipError_tT1_PNSt15iterator_traitsISG_E10value_typeET2_T3_PNSH_ISM_E10value_typeET4_T5_PSR_SS_PNS1_23onesweep_lookback_stateEbbT6_jjT7_P12ihipStream_tbENKUlT_T0_SG_SL_E_clIS9_SA_SB_SB_EEDaSZ_S10_SG_SL_EUlSZ_E_NS1_11comp_targetILNS1_3genE0ELNS1_11target_archE4294967295ELNS1_3gpuE0ELNS1_3repE0EEENS1_47radix_sort_onesweep_sort_config_static_selectorELNS0_4arch9wavefront6targetE0EEEvSG_.kd
    .uniform_work_group_size: 1
    .uses_dynamic_stack: false
    .vgpr_count:     65
    .vgpr_spill_count: 0
    .wavefront_size: 32
  - .args:
      - .offset:         0
        .size:           88
        .value_kind:     by_value
    .group_segment_fixed_size: 0
    .kernarg_segment_align: 8
    .kernarg_segment_size: 88
    .language:       OpenCL C
    .language_version:
      - 2
      - 0
    .max_flat_workgroup_size: 1024
    .name:           _ZN7rocprim17ROCPRIM_400000_NS6detail17trampoline_kernelINS0_14default_configENS1_35radix_sort_onesweep_config_selectorIjNS0_10empty_typeEEEZZNS1_29radix_sort_onesweep_iterationIS3_Lb1EPKjPjPS5_SB_mNS0_19identity_decomposerENS1_16block_id_wrapperIjLb1EEEEE10hipError_tT1_PNSt15iterator_traitsISG_E10value_typeET2_T3_PNSH_ISM_E10value_typeET4_T5_PSR_SS_PNS1_23onesweep_lookback_stateEbbT6_jjT7_P12ihipStream_tbENKUlT_T0_SG_SL_E_clIS9_SA_SB_SB_EEDaSZ_S10_SG_SL_EUlSZ_E_NS1_11comp_targetILNS1_3genE6ELNS1_11target_archE950ELNS1_3gpuE13ELNS1_3repE0EEENS1_47radix_sort_onesweep_sort_config_static_selectorELNS0_4arch9wavefront6targetE0EEEvSG_
    .private_segment_fixed_size: 0
    .sgpr_count:     0
    .sgpr_spill_count: 0
    .symbol:         _ZN7rocprim17ROCPRIM_400000_NS6detail17trampoline_kernelINS0_14default_configENS1_35radix_sort_onesweep_config_selectorIjNS0_10empty_typeEEEZZNS1_29radix_sort_onesweep_iterationIS3_Lb1EPKjPjPS5_SB_mNS0_19identity_decomposerENS1_16block_id_wrapperIjLb1EEEEE10hipError_tT1_PNSt15iterator_traitsISG_E10value_typeET2_T3_PNSH_ISM_E10value_typeET4_T5_PSR_SS_PNS1_23onesweep_lookback_stateEbbT6_jjT7_P12ihipStream_tbENKUlT_T0_SG_SL_E_clIS9_SA_SB_SB_EEDaSZ_S10_SG_SL_EUlSZ_E_NS1_11comp_targetILNS1_3genE6ELNS1_11target_archE950ELNS1_3gpuE13ELNS1_3repE0EEENS1_47radix_sort_onesweep_sort_config_static_selectorELNS0_4arch9wavefront6targetE0EEEvSG_.kd
    .uniform_work_group_size: 1
    .uses_dynamic_stack: false
    .vgpr_count:     0
    .vgpr_spill_count: 0
    .wavefront_size: 32
  - .args:
      - .offset:         0
        .size:           88
        .value_kind:     by_value
    .group_segment_fixed_size: 0
    .kernarg_segment_align: 8
    .kernarg_segment_size: 88
    .language:       OpenCL C
    .language_version:
      - 2
      - 0
    .max_flat_workgroup_size: 1024
    .name:           _ZN7rocprim17ROCPRIM_400000_NS6detail17trampoline_kernelINS0_14default_configENS1_35radix_sort_onesweep_config_selectorIjNS0_10empty_typeEEEZZNS1_29radix_sort_onesweep_iterationIS3_Lb1EPKjPjPS5_SB_mNS0_19identity_decomposerENS1_16block_id_wrapperIjLb1EEEEE10hipError_tT1_PNSt15iterator_traitsISG_E10value_typeET2_T3_PNSH_ISM_E10value_typeET4_T5_PSR_SS_PNS1_23onesweep_lookback_stateEbbT6_jjT7_P12ihipStream_tbENKUlT_T0_SG_SL_E_clIS9_SA_SB_SB_EEDaSZ_S10_SG_SL_EUlSZ_E_NS1_11comp_targetILNS1_3genE5ELNS1_11target_archE942ELNS1_3gpuE9ELNS1_3repE0EEENS1_47radix_sort_onesweep_sort_config_static_selectorELNS0_4arch9wavefront6targetE0EEEvSG_
    .private_segment_fixed_size: 0
    .sgpr_count:     0
    .sgpr_spill_count: 0
    .symbol:         _ZN7rocprim17ROCPRIM_400000_NS6detail17trampoline_kernelINS0_14default_configENS1_35radix_sort_onesweep_config_selectorIjNS0_10empty_typeEEEZZNS1_29radix_sort_onesweep_iterationIS3_Lb1EPKjPjPS5_SB_mNS0_19identity_decomposerENS1_16block_id_wrapperIjLb1EEEEE10hipError_tT1_PNSt15iterator_traitsISG_E10value_typeET2_T3_PNSH_ISM_E10value_typeET4_T5_PSR_SS_PNS1_23onesweep_lookback_stateEbbT6_jjT7_P12ihipStream_tbENKUlT_T0_SG_SL_E_clIS9_SA_SB_SB_EEDaSZ_S10_SG_SL_EUlSZ_E_NS1_11comp_targetILNS1_3genE5ELNS1_11target_archE942ELNS1_3gpuE9ELNS1_3repE0EEENS1_47radix_sort_onesweep_sort_config_static_selectorELNS0_4arch9wavefront6targetE0EEEvSG_.kd
    .uniform_work_group_size: 1
    .uses_dynamic_stack: false
    .vgpr_count:     0
    .vgpr_spill_count: 0
    .wavefront_size: 32
  - .args:
      - .offset:         0
        .size:           88
        .value_kind:     by_value
    .group_segment_fixed_size: 0
    .kernarg_segment_align: 8
    .kernarg_segment_size: 88
    .language:       OpenCL C
    .language_version:
      - 2
      - 0
    .max_flat_workgroup_size: 1024
    .name:           _ZN7rocprim17ROCPRIM_400000_NS6detail17trampoline_kernelINS0_14default_configENS1_35radix_sort_onesweep_config_selectorIjNS0_10empty_typeEEEZZNS1_29radix_sort_onesweep_iterationIS3_Lb1EPKjPjPS5_SB_mNS0_19identity_decomposerENS1_16block_id_wrapperIjLb1EEEEE10hipError_tT1_PNSt15iterator_traitsISG_E10value_typeET2_T3_PNSH_ISM_E10value_typeET4_T5_PSR_SS_PNS1_23onesweep_lookback_stateEbbT6_jjT7_P12ihipStream_tbENKUlT_T0_SG_SL_E_clIS9_SA_SB_SB_EEDaSZ_S10_SG_SL_EUlSZ_E_NS1_11comp_targetILNS1_3genE2ELNS1_11target_archE906ELNS1_3gpuE6ELNS1_3repE0EEENS1_47radix_sort_onesweep_sort_config_static_selectorELNS0_4arch9wavefront6targetE0EEEvSG_
    .private_segment_fixed_size: 0
    .sgpr_count:     0
    .sgpr_spill_count: 0
    .symbol:         _ZN7rocprim17ROCPRIM_400000_NS6detail17trampoline_kernelINS0_14default_configENS1_35radix_sort_onesweep_config_selectorIjNS0_10empty_typeEEEZZNS1_29radix_sort_onesweep_iterationIS3_Lb1EPKjPjPS5_SB_mNS0_19identity_decomposerENS1_16block_id_wrapperIjLb1EEEEE10hipError_tT1_PNSt15iterator_traitsISG_E10value_typeET2_T3_PNSH_ISM_E10value_typeET4_T5_PSR_SS_PNS1_23onesweep_lookback_stateEbbT6_jjT7_P12ihipStream_tbENKUlT_T0_SG_SL_E_clIS9_SA_SB_SB_EEDaSZ_S10_SG_SL_EUlSZ_E_NS1_11comp_targetILNS1_3genE2ELNS1_11target_archE906ELNS1_3gpuE6ELNS1_3repE0EEENS1_47radix_sort_onesweep_sort_config_static_selectorELNS0_4arch9wavefront6targetE0EEEvSG_.kd
    .uniform_work_group_size: 1
    .uses_dynamic_stack: false
    .vgpr_count:     0
    .vgpr_spill_count: 0
    .wavefront_size: 32
  - .args:
      - .offset:         0
        .size:           88
        .value_kind:     by_value
    .group_segment_fixed_size: 0
    .kernarg_segment_align: 8
    .kernarg_segment_size: 88
    .language:       OpenCL C
    .language_version:
      - 2
      - 0
    .max_flat_workgroup_size: 1024
    .name:           _ZN7rocprim17ROCPRIM_400000_NS6detail17trampoline_kernelINS0_14default_configENS1_35radix_sort_onesweep_config_selectorIjNS0_10empty_typeEEEZZNS1_29radix_sort_onesweep_iterationIS3_Lb1EPKjPjPS5_SB_mNS0_19identity_decomposerENS1_16block_id_wrapperIjLb1EEEEE10hipError_tT1_PNSt15iterator_traitsISG_E10value_typeET2_T3_PNSH_ISM_E10value_typeET4_T5_PSR_SS_PNS1_23onesweep_lookback_stateEbbT6_jjT7_P12ihipStream_tbENKUlT_T0_SG_SL_E_clIS9_SA_SB_SB_EEDaSZ_S10_SG_SL_EUlSZ_E_NS1_11comp_targetILNS1_3genE4ELNS1_11target_archE910ELNS1_3gpuE8ELNS1_3repE0EEENS1_47radix_sort_onesweep_sort_config_static_selectorELNS0_4arch9wavefront6targetE0EEEvSG_
    .private_segment_fixed_size: 0
    .sgpr_count:     0
    .sgpr_spill_count: 0
    .symbol:         _ZN7rocprim17ROCPRIM_400000_NS6detail17trampoline_kernelINS0_14default_configENS1_35radix_sort_onesweep_config_selectorIjNS0_10empty_typeEEEZZNS1_29radix_sort_onesweep_iterationIS3_Lb1EPKjPjPS5_SB_mNS0_19identity_decomposerENS1_16block_id_wrapperIjLb1EEEEE10hipError_tT1_PNSt15iterator_traitsISG_E10value_typeET2_T3_PNSH_ISM_E10value_typeET4_T5_PSR_SS_PNS1_23onesweep_lookback_stateEbbT6_jjT7_P12ihipStream_tbENKUlT_T0_SG_SL_E_clIS9_SA_SB_SB_EEDaSZ_S10_SG_SL_EUlSZ_E_NS1_11comp_targetILNS1_3genE4ELNS1_11target_archE910ELNS1_3gpuE8ELNS1_3repE0EEENS1_47radix_sort_onesweep_sort_config_static_selectorELNS0_4arch9wavefront6targetE0EEEvSG_.kd
    .uniform_work_group_size: 1
    .uses_dynamic_stack: false
    .vgpr_count:     0
    .vgpr_spill_count: 0
    .wavefront_size: 32
  - .args:
      - .offset:         0
        .size:           88
        .value_kind:     by_value
    .group_segment_fixed_size: 0
    .kernarg_segment_align: 8
    .kernarg_segment_size: 88
    .language:       OpenCL C
    .language_version:
      - 2
      - 0
    .max_flat_workgroup_size: 512
    .name:           _ZN7rocprim17ROCPRIM_400000_NS6detail17trampoline_kernelINS0_14default_configENS1_35radix_sort_onesweep_config_selectorIjNS0_10empty_typeEEEZZNS1_29radix_sort_onesweep_iterationIS3_Lb1EPKjPjPS5_SB_mNS0_19identity_decomposerENS1_16block_id_wrapperIjLb1EEEEE10hipError_tT1_PNSt15iterator_traitsISG_E10value_typeET2_T3_PNSH_ISM_E10value_typeET4_T5_PSR_SS_PNS1_23onesweep_lookback_stateEbbT6_jjT7_P12ihipStream_tbENKUlT_T0_SG_SL_E_clIS9_SA_SB_SB_EEDaSZ_S10_SG_SL_EUlSZ_E_NS1_11comp_targetILNS1_3genE3ELNS1_11target_archE908ELNS1_3gpuE7ELNS1_3repE0EEENS1_47radix_sort_onesweep_sort_config_static_selectorELNS0_4arch9wavefront6targetE0EEEvSG_
    .private_segment_fixed_size: 0
    .sgpr_count:     0
    .sgpr_spill_count: 0
    .symbol:         _ZN7rocprim17ROCPRIM_400000_NS6detail17trampoline_kernelINS0_14default_configENS1_35radix_sort_onesweep_config_selectorIjNS0_10empty_typeEEEZZNS1_29radix_sort_onesweep_iterationIS3_Lb1EPKjPjPS5_SB_mNS0_19identity_decomposerENS1_16block_id_wrapperIjLb1EEEEE10hipError_tT1_PNSt15iterator_traitsISG_E10value_typeET2_T3_PNSH_ISM_E10value_typeET4_T5_PSR_SS_PNS1_23onesweep_lookback_stateEbbT6_jjT7_P12ihipStream_tbENKUlT_T0_SG_SL_E_clIS9_SA_SB_SB_EEDaSZ_S10_SG_SL_EUlSZ_E_NS1_11comp_targetILNS1_3genE3ELNS1_11target_archE908ELNS1_3gpuE7ELNS1_3repE0EEENS1_47radix_sort_onesweep_sort_config_static_selectorELNS0_4arch9wavefront6targetE0EEEvSG_.kd
    .uniform_work_group_size: 1
    .uses_dynamic_stack: false
    .vgpr_count:     0
    .vgpr_spill_count: 0
    .wavefront_size: 32
  - .args:
      - .offset:         0
        .size:           88
        .value_kind:     by_value
    .group_segment_fixed_size: 0
    .kernarg_segment_align: 8
    .kernarg_segment_size: 88
    .language:       OpenCL C
    .language_version:
      - 2
      - 0
    .max_flat_workgroup_size: 1024
    .name:           _ZN7rocprim17ROCPRIM_400000_NS6detail17trampoline_kernelINS0_14default_configENS1_35radix_sort_onesweep_config_selectorIjNS0_10empty_typeEEEZZNS1_29radix_sort_onesweep_iterationIS3_Lb1EPKjPjPS5_SB_mNS0_19identity_decomposerENS1_16block_id_wrapperIjLb1EEEEE10hipError_tT1_PNSt15iterator_traitsISG_E10value_typeET2_T3_PNSH_ISM_E10value_typeET4_T5_PSR_SS_PNS1_23onesweep_lookback_stateEbbT6_jjT7_P12ihipStream_tbENKUlT_T0_SG_SL_E_clIS9_SA_SB_SB_EEDaSZ_S10_SG_SL_EUlSZ_E_NS1_11comp_targetILNS1_3genE10ELNS1_11target_archE1201ELNS1_3gpuE5ELNS1_3repE0EEENS1_47radix_sort_onesweep_sort_config_static_selectorELNS0_4arch9wavefront6targetE0EEEvSG_
    .private_segment_fixed_size: 0
    .sgpr_count:     0
    .sgpr_spill_count: 0
    .symbol:         _ZN7rocprim17ROCPRIM_400000_NS6detail17trampoline_kernelINS0_14default_configENS1_35radix_sort_onesweep_config_selectorIjNS0_10empty_typeEEEZZNS1_29radix_sort_onesweep_iterationIS3_Lb1EPKjPjPS5_SB_mNS0_19identity_decomposerENS1_16block_id_wrapperIjLb1EEEEE10hipError_tT1_PNSt15iterator_traitsISG_E10value_typeET2_T3_PNSH_ISM_E10value_typeET4_T5_PSR_SS_PNS1_23onesweep_lookback_stateEbbT6_jjT7_P12ihipStream_tbENKUlT_T0_SG_SL_E_clIS9_SA_SB_SB_EEDaSZ_S10_SG_SL_EUlSZ_E_NS1_11comp_targetILNS1_3genE10ELNS1_11target_archE1201ELNS1_3gpuE5ELNS1_3repE0EEENS1_47radix_sort_onesweep_sort_config_static_selectorELNS0_4arch9wavefront6targetE0EEEvSG_.kd
    .uniform_work_group_size: 1
    .uses_dynamic_stack: false
    .vgpr_count:     0
    .vgpr_spill_count: 0
    .wavefront_size: 32
  - .args:
      - .offset:         0
        .size:           88
        .value_kind:     by_value
    .group_segment_fixed_size: 0
    .kernarg_segment_align: 8
    .kernarg_segment_size: 88
    .language:       OpenCL C
    .language_version:
      - 2
      - 0
    .max_flat_workgroup_size: 1024
    .name:           _ZN7rocprim17ROCPRIM_400000_NS6detail17trampoline_kernelINS0_14default_configENS1_35radix_sort_onesweep_config_selectorIjNS0_10empty_typeEEEZZNS1_29radix_sort_onesweep_iterationIS3_Lb1EPKjPjPS5_SB_mNS0_19identity_decomposerENS1_16block_id_wrapperIjLb1EEEEE10hipError_tT1_PNSt15iterator_traitsISG_E10value_typeET2_T3_PNSH_ISM_E10value_typeET4_T5_PSR_SS_PNS1_23onesweep_lookback_stateEbbT6_jjT7_P12ihipStream_tbENKUlT_T0_SG_SL_E_clIS9_SA_SB_SB_EEDaSZ_S10_SG_SL_EUlSZ_E_NS1_11comp_targetILNS1_3genE9ELNS1_11target_archE1100ELNS1_3gpuE3ELNS1_3repE0EEENS1_47radix_sort_onesweep_sort_config_static_selectorELNS0_4arch9wavefront6targetE0EEEvSG_
    .private_segment_fixed_size: 0
    .sgpr_count:     0
    .sgpr_spill_count: 0
    .symbol:         _ZN7rocprim17ROCPRIM_400000_NS6detail17trampoline_kernelINS0_14default_configENS1_35radix_sort_onesweep_config_selectorIjNS0_10empty_typeEEEZZNS1_29radix_sort_onesweep_iterationIS3_Lb1EPKjPjPS5_SB_mNS0_19identity_decomposerENS1_16block_id_wrapperIjLb1EEEEE10hipError_tT1_PNSt15iterator_traitsISG_E10value_typeET2_T3_PNSH_ISM_E10value_typeET4_T5_PSR_SS_PNS1_23onesweep_lookback_stateEbbT6_jjT7_P12ihipStream_tbENKUlT_T0_SG_SL_E_clIS9_SA_SB_SB_EEDaSZ_S10_SG_SL_EUlSZ_E_NS1_11comp_targetILNS1_3genE9ELNS1_11target_archE1100ELNS1_3gpuE3ELNS1_3repE0EEENS1_47radix_sort_onesweep_sort_config_static_selectorELNS0_4arch9wavefront6targetE0EEEvSG_.kd
    .uniform_work_group_size: 1
    .uses_dynamic_stack: false
    .vgpr_count:     0
    .vgpr_spill_count: 0
    .wavefront_size: 32
  - .args:
      - .offset:         0
        .size:           88
        .value_kind:     by_value
    .group_segment_fixed_size: 0
    .kernarg_segment_align: 8
    .kernarg_segment_size: 88
    .language:       OpenCL C
    .language_version:
      - 2
      - 0
    .max_flat_workgroup_size: 1024
    .name:           _ZN7rocprim17ROCPRIM_400000_NS6detail17trampoline_kernelINS0_14default_configENS1_35radix_sort_onesweep_config_selectorIjNS0_10empty_typeEEEZZNS1_29radix_sort_onesweep_iterationIS3_Lb1EPKjPjPS5_SB_mNS0_19identity_decomposerENS1_16block_id_wrapperIjLb1EEEEE10hipError_tT1_PNSt15iterator_traitsISG_E10value_typeET2_T3_PNSH_ISM_E10value_typeET4_T5_PSR_SS_PNS1_23onesweep_lookback_stateEbbT6_jjT7_P12ihipStream_tbENKUlT_T0_SG_SL_E_clIS9_SA_SB_SB_EEDaSZ_S10_SG_SL_EUlSZ_E_NS1_11comp_targetILNS1_3genE8ELNS1_11target_archE1030ELNS1_3gpuE2ELNS1_3repE0EEENS1_47radix_sort_onesweep_sort_config_static_selectorELNS0_4arch9wavefront6targetE0EEEvSG_
    .private_segment_fixed_size: 0
    .sgpr_count:     0
    .sgpr_spill_count: 0
    .symbol:         _ZN7rocprim17ROCPRIM_400000_NS6detail17trampoline_kernelINS0_14default_configENS1_35radix_sort_onesweep_config_selectorIjNS0_10empty_typeEEEZZNS1_29radix_sort_onesweep_iterationIS3_Lb1EPKjPjPS5_SB_mNS0_19identity_decomposerENS1_16block_id_wrapperIjLb1EEEEE10hipError_tT1_PNSt15iterator_traitsISG_E10value_typeET2_T3_PNSH_ISM_E10value_typeET4_T5_PSR_SS_PNS1_23onesweep_lookback_stateEbbT6_jjT7_P12ihipStream_tbENKUlT_T0_SG_SL_E_clIS9_SA_SB_SB_EEDaSZ_S10_SG_SL_EUlSZ_E_NS1_11comp_targetILNS1_3genE8ELNS1_11target_archE1030ELNS1_3gpuE2ELNS1_3repE0EEENS1_47radix_sort_onesweep_sort_config_static_selectorELNS0_4arch9wavefront6targetE0EEEvSG_.kd
    .uniform_work_group_size: 1
    .uses_dynamic_stack: false
    .vgpr_count:     0
    .vgpr_spill_count: 0
    .wavefront_size: 32
  - .args:
      - .offset:         0
        .size:           88
        .value_kind:     by_value
      - .offset:         88
        .size:           4
        .value_kind:     hidden_block_count_x
      - .offset:         92
        .size:           4
        .value_kind:     hidden_block_count_y
      - .offset:         96
        .size:           4
        .value_kind:     hidden_block_count_z
      - .offset:         100
        .size:           2
        .value_kind:     hidden_group_size_x
      - .offset:         102
        .size:           2
        .value_kind:     hidden_group_size_y
      - .offset:         104
        .size:           2
        .value_kind:     hidden_group_size_z
      - .offset:         106
        .size:           2
        .value_kind:     hidden_remainder_x
      - .offset:         108
        .size:           2
        .value_kind:     hidden_remainder_y
      - .offset:         110
        .size:           2
        .value_kind:     hidden_remainder_z
      - .offset:         128
        .size:           8
        .value_kind:     hidden_global_offset_x
      - .offset:         136
        .size:           8
        .value_kind:     hidden_global_offset_y
      - .offset:         144
        .size:           8
        .value_kind:     hidden_global_offset_z
      - .offset:         152
        .size:           2
        .value_kind:     hidden_grid_dims
    .group_segment_fixed_size: 18504
    .kernarg_segment_align: 8
    .kernarg_segment_size: 344
    .language:       OpenCL C
    .language_version:
      - 2
      - 0
    .max_flat_workgroup_size: 512
    .name:           _ZN7rocprim17ROCPRIM_400000_NS6detail17trampoline_kernelINS0_14default_configENS1_35radix_sort_onesweep_config_selectorIjNS0_10empty_typeEEEZZNS1_29radix_sort_onesweep_iterationIS3_Lb1EPKjPjPS5_SB_mNS0_19identity_decomposerENS1_16block_id_wrapperIjLb1EEEEE10hipError_tT1_PNSt15iterator_traitsISG_E10value_typeET2_T3_PNSH_ISM_E10value_typeET4_T5_PSR_SS_PNS1_23onesweep_lookback_stateEbbT6_jjT7_P12ihipStream_tbENKUlT_T0_SG_SL_E_clISA_SA_SB_SB_EEDaSZ_S10_SG_SL_EUlSZ_E_NS1_11comp_targetILNS1_3genE0ELNS1_11target_archE4294967295ELNS1_3gpuE0ELNS1_3repE0EEENS1_47radix_sort_onesweep_sort_config_static_selectorELNS0_4arch9wavefront6targetE0EEEvSG_
    .private_segment_fixed_size: 0
    .sgpr_count:     31
    .sgpr_spill_count: 0
    .symbol:         _ZN7rocprim17ROCPRIM_400000_NS6detail17trampoline_kernelINS0_14default_configENS1_35radix_sort_onesweep_config_selectorIjNS0_10empty_typeEEEZZNS1_29radix_sort_onesweep_iterationIS3_Lb1EPKjPjPS5_SB_mNS0_19identity_decomposerENS1_16block_id_wrapperIjLb1EEEEE10hipError_tT1_PNSt15iterator_traitsISG_E10value_typeET2_T3_PNSH_ISM_E10value_typeET4_T5_PSR_SS_PNS1_23onesweep_lookback_stateEbbT6_jjT7_P12ihipStream_tbENKUlT_T0_SG_SL_E_clISA_SA_SB_SB_EEDaSZ_S10_SG_SL_EUlSZ_E_NS1_11comp_targetILNS1_3genE0ELNS1_11target_archE4294967295ELNS1_3gpuE0ELNS1_3repE0EEENS1_47radix_sort_onesweep_sort_config_static_selectorELNS0_4arch9wavefront6targetE0EEEvSG_.kd
    .uniform_work_group_size: 1
    .uses_dynamic_stack: false
    .vgpr_count:     65
    .vgpr_spill_count: 0
    .wavefront_size: 32
  - .args:
      - .offset:         0
        .size:           88
        .value_kind:     by_value
    .group_segment_fixed_size: 0
    .kernarg_segment_align: 8
    .kernarg_segment_size: 88
    .language:       OpenCL C
    .language_version:
      - 2
      - 0
    .max_flat_workgroup_size: 1024
    .name:           _ZN7rocprim17ROCPRIM_400000_NS6detail17trampoline_kernelINS0_14default_configENS1_35radix_sort_onesweep_config_selectorIjNS0_10empty_typeEEEZZNS1_29radix_sort_onesweep_iterationIS3_Lb1EPKjPjPS5_SB_mNS0_19identity_decomposerENS1_16block_id_wrapperIjLb1EEEEE10hipError_tT1_PNSt15iterator_traitsISG_E10value_typeET2_T3_PNSH_ISM_E10value_typeET4_T5_PSR_SS_PNS1_23onesweep_lookback_stateEbbT6_jjT7_P12ihipStream_tbENKUlT_T0_SG_SL_E_clISA_SA_SB_SB_EEDaSZ_S10_SG_SL_EUlSZ_E_NS1_11comp_targetILNS1_3genE6ELNS1_11target_archE950ELNS1_3gpuE13ELNS1_3repE0EEENS1_47radix_sort_onesweep_sort_config_static_selectorELNS0_4arch9wavefront6targetE0EEEvSG_
    .private_segment_fixed_size: 0
    .sgpr_count:     0
    .sgpr_spill_count: 0
    .symbol:         _ZN7rocprim17ROCPRIM_400000_NS6detail17trampoline_kernelINS0_14default_configENS1_35radix_sort_onesweep_config_selectorIjNS0_10empty_typeEEEZZNS1_29radix_sort_onesweep_iterationIS3_Lb1EPKjPjPS5_SB_mNS0_19identity_decomposerENS1_16block_id_wrapperIjLb1EEEEE10hipError_tT1_PNSt15iterator_traitsISG_E10value_typeET2_T3_PNSH_ISM_E10value_typeET4_T5_PSR_SS_PNS1_23onesweep_lookback_stateEbbT6_jjT7_P12ihipStream_tbENKUlT_T0_SG_SL_E_clISA_SA_SB_SB_EEDaSZ_S10_SG_SL_EUlSZ_E_NS1_11comp_targetILNS1_3genE6ELNS1_11target_archE950ELNS1_3gpuE13ELNS1_3repE0EEENS1_47radix_sort_onesweep_sort_config_static_selectorELNS0_4arch9wavefront6targetE0EEEvSG_.kd
    .uniform_work_group_size: 1
    .uses_dynamic_stack: false
    .vgpr_count:     0
    .vgpr_spill_count: 0
    .wavefront_size: 32
  - .args:
      - .offset:         0
        .size:           88
        .value_kind:     by_value
    .group_segment_fixed_size: 0
    .kernarg_segment_align: 8
    .kernarg_segment_size: 88
    .language:       OpenCL C
    .language_version:
      - 2
      - 0
    .max_flat_workgroup_size: 1024
    .name:           _ZN7rocprim17ROCPRIM_400000_NS6detail17trampoline_kernelINS0_14default_configENS1_35radix_sort_onesweep_config_selectorIjNS0_10empty_typeEEEZZNS1_29radix_sort_onesweep_iterationIS3_Lb1EPKjPjPS5_SB_mNS0_19identity_decomposerENS1_16block_id_wrapperIjLb1EEEEE10hipError_tT1_PNSt15iterator_traitsISG_E10value_typeET2_T3_PNSH_ISM_E10value_typeET4_T5_PSR_SS_PNS1_23onesweep_lookback_stateEbbT6_jjT7_P12ihipStream_tbENKUlT_T0_SG_SL_E_clISA_SA_SB_SB_EEDaSZ_S10_SG_SL_EUlSZ_E_NS1_11comp_targetILNS1_3genE5ELNS1_11target_archE942ELNS1_3gpuE9ELNS1_3repE0EEENS1_47radix_sort_onesweep_sort_config_static_selectorELNS0_4arch9wavefront6targetE0EEEvSG_
    .private_segment_fixed_size: 0
    .sgpr_count:     0
    .sgpr_spill_count: 0
    .symbol:         _ZN7rocprim17ROCPRIM_400000_NS6detail17trampoline_kernelINS0_14default_configENS1_35radix_sort_onesweep_config_selectorIjNS0_10empty_typeEEEZZNS1_29radix_sort_onesweep_iterationIS3_Lb1EPKjPjPS5_SB_mNS0_19identity_decomposerENS1_16block_id_wrapperIjLb1EEEEE10hipError_tT1_PNSt15iterator_traitsISG_E10value_typeET2_T3_PNSH_ISM_E10value_typeET4_T5_PSR_SS_PNS1_23onesweep_lookback_stateEbbT6_jjT7_P12ihipStream_tbENKUlT_T0_SG_SL_E_clISA_SA_SB_SB_EEDaSZ_S10_SG_SL_EUlSZ_E_NS1_11comp_targetILNS1_3genE5ELNS1_11target_archE942ELNS1_3gpuE9ELNS1_3repE0EEENS1_47radix_sort_onesweep_sort_config_static_selectorELNS0_4arch9wavefront6targetE0EEEvSG_.kd
    .uniform_work_group_size: 1
    .uses_dynamic_stack: false
    .vgpr_count:     0
    .vgpr_spill_count: 0
    .wavefront_size: 32
  - .args:
      - .offset:         0
        .size:           88
        .value_kind:     by_value
    .group_segment_fixed_size: 0
    .kernarg_segment_align: 8
    .kernarg_segment_size: 88
    .language:       OpenCL C
    .language_version:
      - 2
      - 0
    .max_flat_workgroup_size: 1024
    .name:           _ZN7rocprim17ROCPRIM_400000_NS6detail17trampoline_kernelINS0_14default_configENS1_35radix_sort_onesweep_config_selectorIjNS0_10empty_typeEEEZZNS1_29radix_sort_onesweep_iterationIS3_Lb1EPKjPjPS5_SB_mNS0_19identity_decomposerENS1_16block_id_wrapperIjLb1EEEEE10hipError_tT1_PNSt15iterator_traitsISG_E10value_typeET2_T3_PNSH_ISM_E10value_typeET4_T5_PSR_SS_PNS1_23onesweep_lookback_stateEbbT6_jjT7_P12ihipStream_tbENKUlT_T0_SG_SL_E_clISA_SA_SB_SB_EEDaSZ_S10_SG_SL_EUlSZ_E_NS1_11comp_targetILNS1_3genE2ELNS1_11target_archE906ELNS1_3gpuE6ELNS1_3repE0EEENS1_47radix_sort_onesweep_sort_config_static_selectorELNS0_4arch9wavefront6targetE0EEEvSG_
    .private_segment_fixed_size: 0
    .sgpr_count:     0
    .sgpr_spill_count: 0
    .symbol:         _ZN7rocprim17ROCPRIM_400000_NS6detail17trampoline_kernelINS0_14default_configENS1_35radix_sort_onesweep_config_selectorIjNS0_10empty_typeEEEZZNS1_29radix_sort_onesweep_iterationIS3_Lb1EPKjPjPS5_SB_mNS0_19identity_decomposerENS1_16block_id_wrapperIjLb1EEEEE10hipError_tT1_PNSt15iterator_traitsISG_E10value_typeET2_T3_PNSH_ISM_E10value_typeET4_T5_PSR_SS_PNS1_23onesweep_lookback_stateEbbT6_jjT7_P12ihipStream_tbENKUlT_T0_SG_SL_E_clISA_SA_SB_SB_EEDaSZ_S10_SG_SL_EUlSZ_E_NS1_11comp_targetILNS1_3genE2ELNS1_11target_archE906ELNS1_3gpuE6ELNS1_3repE0EEENS1_47radix_sort_onesweep_sort_config_static_selectorELNS0_4arch9wavefront6targetE0EEEvSG_.kd
    .uniform_work_group_size: 1
    .uses_dynamic_stack: false
    .vgpr_count:     0
    .vgpr_spill_count: 0
    .wavefront_size: 32
  - .args:
      - .offset:         0
        .size:           88
        .value_kind:     by_value
    .group_segment_fixed_size: 0
    .kernarg_segment_align: 8
    .kernarg_segment_size: 88
    .language:       OpenCL C
    .language_version:
      - 2
      - 0
    .max_flat_workgroup_size: 1024
    .name:           _ZN7rocprim17ROCPRIM_400000_NS6detail17trampoline_kernelINS0_14default_configENS1_35radix_sort_onesweep_config_selectorIjNS0_10empty_typeEEEZZNS1_29radix_sort_onesweep_iterationIS3_Lb1EPKjPjPS5_SB_mNS0_19identity_decomposerENS1_16block_id_wrapperIjLb1EEEEE10hipError_tT1_PNSt15iterator_traitsISG_E10value_typeET2_T3_PNSH_ISM_E10value_typeET4_T5_PSR_SS_PNS1_23onesweep_lookback_stateEbbT6_jjT7_P12ihipStream_tbENKUlT_T0_SG_SL_E_clISA_SA_SB_SB_EEDaSZ_S10_SG_SL_EUlSZ_E_NS1_11comp_targetILNS1_3genE4ELNS1_11target_archE910ELNS1_3gpuE8ELNS1_3repE0EEENS1_47radix_sort_onesweep_sort_config_static_selectorELNS0_4arch9wavefront6targetE0EEEvSG_
    .private_segment_fixed_size: 0
    .sgpr_count:     0
    .sgpr_spill_count: 0
    .symbol:         _ZN7rocprim17ROCPRIM_400000_NS6detail17trampoline_kernelINS0_14default_configENS1_35radix_sort_onesweep_config_selectorIjNS0_10empty_typeEEEZZNS1_29radix_sort_onesweep_iterationIS3_Lb1EPKjPjPS5_SB_mNS0_19identity_decomposerENS1_16block_id_wrapperIjLb1EEEEE10hipError_tT1_PNSt15iterator_traitsISG_E10value_typeET2_T3_PNSH_ISM_E10value_typeET4_T5_PSR_SS_PNS1_23onesweep_lookback_stateEbbT6_jjT7_P12ihipStream_tbENKUlT_T0_SG_SL_E_clISA_SA_SB_SB_EEDaSZ_S10_SG_SL_EUlSZ_E_NS1_11comp_targetILNS1_3genE4ELNS1_11target_archE910ELNS1_3gpuE8ELNS1_3repE0EEENS1_47radix_sort_onesweep_sort_config_static_selectorELNS0_4arch9wavefront6targetE0EEEvSG_.kd
    .uniform_work_group_size: 1
    .uses_dynamic_stack: false
    .vgpr_count:     0
    .vgpr_spill_count: 0
    .wavefront_size: 32
  - .args:
      - .offset:         0
        .size:           88
        .value_kind:     by_value
    .group_segment_fixed_size: 0
    .kernarg_segment_align: 8
    .kernarg_segment_size: 88
    .language:       OpenCL C
    .language_version:
      - 2
      - 0
    .max_flat_workgroup_size: 512
    .name:           _ZN7rocprim17ROCPRIM_400000_NS6detail17trampoline_kernelINS0_14default_configENS1_35radix_sort_onesweep_config_selectorIjNS0_10empty_typeEEEZZNS1_29radix_sort_onesweep_iterationIS3_Lb1EPKjPjPS5_SB_mNS0_19identity_decomposerENS1_16block_id_wrapperIjLb1EEEEE10hipError_tT1_PNSt15iterator_traitsISG_E10value_typeET2_T3_PNSH_ISM_E10value_typeET4_T5_PSR_SS_PNS1_23onesweep_lookback_stateEbbT6_jjT7_P12ihipStream_tbENKUlT_T0_SG_SL_E_clISA_SA_SB_SB_EEDaSZ_S10_SG_SL_EUlSZ_E_NS1_11comp_targetILNS1_3genE3ELNS1_11target_archE908ELNS1_3gpuE7ELNS1_3repE0EEENS1_47radix_sort_onesweep_sort_config_static_selectorELNS0_4arch9wavefront6targetE0EEEvSG_
    .private_segment_fixed_size: 0
    .sgpr_count:     0
    .sgpr_spill_count: 0
    .symbol:         _ZN7rocprim17ROCPRIM_400000_NS6detail17trampoline_kernelINS0_14default_configENS1_35radix_sort_onesweep_config_selectorIjNS0_10empty_typeEEEZZNS1_29radix_sort_onesweep_iterationIS3_Lb1EPKjPjPS5_SB_mNS0_19identity_decomposerENS1_16block_id_wrapperIjLb1EEEEE10hipError_tT1_PNSt15iterator_traitsISG_E10value_typeET2_T3_PNSH_ISM_E10value_typeET4_T5_PSR_SS_PNS1_23onesweep_lookback_stateEbbT6_jjT7_P12ihipStream_tbENKUlT_T0_SG_SL_E_clISA_SA_SB_SB_EEDaSZ_S10_SG_SL_EUlSZ_E_NS1_11comp_targetILNS1_3genE3ELNS1_11target_archE908ELNS1_3gpuE7ELNS1_3repE0EEENS1_47radix_sort_onesweep_sort_config_static_selectorELNS0_4arch9wavefront6targetE0EEEvSG_.kd
    .uniform_work_group_size: 1
    .uses_dynamic_stack: false
    .vgpr_count:     0
    .vgpr_spill_count: 0
    .wavefront_size: 32
  - .args:
      - .offset:         0
        .size:           88
        .value_kind:     by_value
    .group_segment_fixed_size: 0
    .kernarg_segment_align: 8
    .kernarg_segment_size: 88
    .language:       OpenCL C
    .language_version:
      - 2
      - 0
    .max_flat_workgroup_size: 1024
    .name:           _ZN7rocprim17ROCPRIM_400000_NS6detail17trampoline_kernelINS0_14default_configENS1_35radix_sort_onesweep_config_selectorIjNS0_10empty_typeEEEZZNS1_29radix_sort_onesweep_iterationIS3_Lb1EPKjPjPS5_SB_mNS0_19identity_decomposerENS1_16block_id_wrapperIjLb1EEEEE10hipError_tT1_PNSt15iterator_traitsISG_E10value_typeET2_T3_PNSH_ISM_E10value_typeET4_T5_PSR_SS_PNS1_23onesweep_lookback_stateEbbT6_jjT7_P12ihipStream_tbENKUlT_T0_SG_SL_E_clISA_SA_SB_SB_EEDaSZ_S10_SG_SL_EUlSZ_E_NS1_11comp_targetILNS1_3genE10ELNS1_11target_archE1201ELNS1_3gpuE5ELNS1_3repE0EEENS1_47radix_sort_onesweep_sort_config_static_selectorELNS0_4arch9wavefront6targetE0EEEvSG_
    .private_segment_fixed_size: 0
    .sgpr_count:     0
    .sgpr_spill_count: 0
    .symbol:         _ZN7rocprim17ROCPRIM_400000_NS6detail17trampoline_kernelINS0_14default_configENS1_35radix_sort_onesweep_config_selectorIjNS0_10empty_typeEEEZZNS1_29radix_sort_onesweep_iterationIS3_Lb1EPKjPjPS5_SB_mNS0_19identity_decomposerENS1_16block_id_wrapperIjLb1EEEEE10hipError_tT1_PNSt15iterator_traitsISG_E10value_typeET2_T3_PNSH_ISM_E10value_typeET4_T5_PSR_SS_PNS1_23onesweep_lookback_stateEbbT6_jjT7_P12ihipStream_tbENKUlT_T0_SG_SL_E_clISA_SA_SB_SB_EEDaSZ_S10_SG_SL_EUlSZ_E_NS1_11comp_targetILNS1_3genE10ELNS1_11target_archE1201ELNS1_3gpuE5ELNS1_3repE0EEENS1_47radix_sort_onesweep_sort_config_static_selectorELNS0_4arch9wavefront6targetE0EEEvSG_.kd
    .uniform_work_group_size: 1
    .uses_dynamic_stack: false
    .vgpr_count:     0
    .vgpr_spill_count: 0
    .wavefront_size: 32
  - .args:
      - .offset:         0
        .size:           88
        .value_kind:     by_value
    .group_segment_fixed_size: 0
    .kernarg_segment_align: 8
    .kernarg_segment_size: 88
    .language:       OpenCL C
    .language_version:
      - 2
      - 0
    .max_flat_workgroup_size: 1024
    .name:           _ZN7rocprim17ROCPRIM_400000_NS6detail17trampoline_kernelINS0_14default_configENS1_35radix_sort_onesweep_config_selectorIjNS0_10empty_typeEEEZZNS1_29radix_sort_onesweep_iterationIS3_Lb1EPKjPjPS5_SB_mNS0_19identity_decomposerENS1_16block_id_wrapperIjLb1EEEEE10hipError_tT1_PNSt15iterator_traitsISG_E10value_typeET2_T3_PNSH_ISM_E10value_typeET4_T5_PSR_SS_PNS1_23onesweep_lookback_stateEbbT6_jjT7_P12ihipStream_tbENKUlT_T0_SG_SL_E_clISA_SA_SB_SB_EEDaSZ_S10_SG_SL_EUlSZ_E_NS1_11comp_targetILNS1_3genE9ELNS1_11target_archE1100ELNS1_3gpuE3ELNS1_3repE0EEENS1_47radix_sort_onesweep_sort_config_static_selectorELNS0_4arch9wavefront6targetE0EEEvSG_
    .private_segment_fixed_size: 0
    .sgpr_count:     0
    .sgpr_spill_count: 0
    .symbol:         _ZN7rocprim17ROCPRIM_400000_NS6detail17trampoline_kernelINS0_14default_configENS1_35radix_sort_onesweep_config_selectorIjNS0_10empty_typeEEEZZNS1_29radix_sort_onesweep_iterationIS3_Lb1EPKjPjPS5_SB_mNS0_19identity_decomposerENS1_16block_id_wrapperIjLb1EEEEE10hipError_tT1_PNSt15iterator_traitsISG_E10value_typeET2_T3_PNSH_ISM_E10value_typeET4_T5_PSR_SS_PNS1_23onesweep_lookback_stateEbbT6_jjT7_P12ihipStream_tbENKUlT_T0_SG_SL_E_clISA_SA_SB_SB_EEDaSZ_S10_SG_SL_EUlSZ_E_NS1_11comp_targetILNS1_3genE9ELNS1_11target_archE1100ELNS1_3gpuE3ELNS1_3repE0EEENS1_47radix_sort_onesweep_sort_config_static_selectorELNS0_4arch9wavefront6targetE0EEEvSG_.kd
    .uniform_work_group_size: 1
    .uses_dynamic_stack: false
    .vgpr_count:     0
    .vgpr_spill_count: 0
    .wavefront_size: 32
  - .args:
      - .offset:         0
        .size:           88
        .value_kind:     by_value
    .group_segment_fixed_size: 0
    .kernarg_segment_align: 8
    .kernarg_segment_size: 88
    .language:       OpenCL C
    .language_version:
      - 2
      - 0
    .max_flat_workgroup_size: 1024
    .name:           _ZN7rocprim17ROCPRIM_400000_NS6detail17trampoline_kernelINS0_14default_configENS1_35radix_sort_onesweep_config_selectorIjNS0_10empty_typeEEEZZNS1_29radix_sort_onesweep_iterationIS3_Lb1EPKjPjPS5_SB_mNS0_19identity_decomposerENS1_16block_id_wrapperIjLb1EEEEE10hipError_tT1_PNSt15iterator_traitsISG_E10value_typeET2_T3_PNSH_ISM_E10value_typeET4_T5_PSR_SS_PNS1_23onesweep_lookback_stateEbbT6_jjT7_P12ihipStream_tbENKUlT_T0_SG_SL_E_clISA_SA_SB_SB_EEDaSZ_S10_SG_SL_EUlSZ_E_NS1_11comp_targetILNS1_3genE8ELNS1_11target_archE1030ELNS1_3gpuE2ELNS1_3repE0EEENS1_47radix_sort_onesweep_sort_config_static_selectorELNS0_4arch9wavefront6targetE0EEEvSG_
    .private_segment_fixed_size: 0
    .sgpr_count:     0
    .sgpr_spill_count: 0
    .symbol:         _ZN7rocprim17ROCPRIM_400000_NS6detail17trampoline_kernelINS0_14default_configENS1_35radix_sort_onesweep_config_selectorIjNS0_10empty_typeEEEZZNS1_29radix_sort_onesweep_iterationIS3_Lb1EPKjPjPS5_SB_mNS0_19identity_decomposerENS1_16block_id_wrapperIjLb1EEEEE10hipError_tT1_PNSt15iterator_traitsISG_E10value_typeET2_T3_PNSH_ISM_E10value_typeET4_T5_PSR_SS_PNS1_23onesweep_lookback_stateEbbT6_jjT7_P12ihipStream_tbENKUlT_T0_SG_SL_E_clISA_SA_SB_SB_EEDaSZ_S10_SG_SL_EUlSZ_E_NS1_11comp_targetILNS1_3genE8ELNS1_11target_archE1030ELNS1_3gpuE2ELNS1_3repE0EEENS1_47radix_sort_onesweep_sort_config_static_selectorELNS0_4arch9wavefront6targetE0EEEvSG_.kd
    .uniform_work_group_size: 1
    .uses_dynamic_stack: false
    .vgpr_count:     0
    .vgpr_spill_count: 0
    .wavefront_size: 32
  - .args:
      - .offset:         0
        .size:           88
        .value_kind:     by_value
      - .offset:         88
        .size:           4
        .value_kind:     hidden_block_count_x
      - .offset:         92
        .size:           4
        .value_kind:     hidden_block_count_y
      - .offset:         96
        .size:           4
        .value_kind:     hidden_block_count_z
      - .offset:         100
        .size:           2
        .value_kind:     hidden_group_size_x
      - .offset:         102
        .size:           2
        .value_kind:     hidden_group_size_y
      - .offset:         104
        .size:           2
        .value_kind:     hidden_group_size_z
      - .offset:         106
        .size:           2
        .value_kind:     hidden_remainder_x
      - .offset:         108
        .size:           2
        .value_kind:     hidden_remainder_y
      - .offset:         110
        .size:           2
        .value_kind:     hidden_remainder_z
      - .offset:         128
        .size:           8
        .value_kind:     hidden_global_offset_x
      - .offset:         136
        .size:           8
        .value_kind:     hidden_global_offset_y
      - .offset:         144
        .size:           8
        .value_kind:     hidden_global_offset_z
      - .offset:         152
        .size:           2
        .value_kind:     hidden_grid_dims
    .group_segment_fixed_size: 18504
    .kernarg_segment_align: 8
    .kernarg_segment_size: 344
    .language:       OpenCL C
    .language_version:
      - 2
      - 0
    .max_flat_workgroup_size: 512
    .name:           _ZN7rocprim17ROCPRIM_400000_NS6detail17trampoline_kernelINS0_14default_configENS1_35radix_sort_onesweep_config_selectorIjNS0_10empty_typeEEEZZNS1_29radix_sort_onesweep_iterationIS3_Lb1EPKjPjPS5_SB_mNS0_19identity_decomposerENS1_16block_id_wrapperIjLb0EEEEE10hipError_tT1_PNSt15iterator_traitsISG_E10value_typeET2_T3_PNSH_ISM_E10value_typeET4_T5_PSR_SS_PNS1_23onesweep_lookback_stateEbbT6_jjT7_P12ihipStream_tbENKUlT_T0_SG_SL_E_clIS9_SA_SB_SB_EEDaSZ_S10_SG_SL_EUlSZ_E_NS1_11comp_targetILNS1_3genE0ELNS1_11target_archE4294967295ELNS1_3gpuE0ELNS1_3repE0EEENS1_47radix_sort_onesweep_sort_config_static_selectorELNS0_4arch9wavefront6targetE0EEEvSG_
    .private_segment_fixed_size: 0
    .sgpr_count:     31
    .sgpr_spill_count: 0
    .symbol:         _ZN7rocprim17ROCPRIM_400000_NS6detail17trampoline_kernelINS0_14default_configENS1_35radix_sort_onesweep_config_selectorIjNS0_10empty_typeEEEZZNS1_29radix_sort_onesweep_iterationIS3_Lb1EPKjPjPS5_SB_mNS0_19identity_decomposerENS1_16block_id_wrapperIjLb0EEEEE10hipError_tT1_PNSt15iterator_traitsISG_E10value_typeET2_T3_PNSH_ISM_E10value_typeET4_T5_PSR_SS_PNS1_23onesweep_lookback_stateEbbT6_jjT7_P12ihipStream_tbENKUlT_T0_SG_SL_E_clIS9_SA_SB_SB_EEDaSZ_S10_SG_SL_EUlSZ_E_NS1_11comp_targetILNS1_3genE0ELNS1_11target_archE4294967295ELNS1_3gpuE0ELNS1_3repE0EEENS1_47radix_sort_onesweep_sort_config_static_selectorELNS0_4arch9wavefront6targetE0EEEvSG_.kd
    .uniform_work_group_size: 1
    .uses_dynamic_stack: false
    .vgpr_count:     65
    .vgpr_spill_count: 0
    .wavefront_size: 32
  - .args:
      - .offset:         0
        .size:           88
        .value_kind:     by_value
    .group_segment_fixed_size: 0
    .kernarg_segment_align: 8
    .kernarg_segment_size: 88
    .language:       OpenCL C
    .language_version:
      - 2
      - 0
    .max_flat_workgroup_size: 1024
    .name:           _ZN7rocprim17ROCPRIM_400000_NS6detail17trampoline_kernelINS0_14default_configENS1_35radix_sort_onesweep_config_selectorIjNS0_10empty_typeEEEZZNS1_29radix_sort_onesweep_iterationIS3_Lb1EPKjPjPS5_SB_mNS0_19identity_decomposerENS1_16block_id_wrapperIjLb0EEEEE10hipError_tT1_PNSt15iterator_traitsISG_E10value_typeET2_T3_PNSH_ISM_E10value_typeET4_T5_PSR_SS_PNS1_23onesweep_lookback_stateEbbT6_jjT7_P12ihipStream_tbENKUlT_T0_SG_SL_E_clIS9_SA_SB_SB_EEDaSZ_S10_SG_SL_EUlSZ_E_NS1_11comp_targetILNS1_3genE6ELNS1_11target_archE950ELNS1_3gpuE13ELNS1_3repE0EEENS1_47radix_sort_onesweep_sort_config_static_selectorELNS0_4arch9wavefront6targetE0EEEvSG_
    .private_segment_fixed_size: 0
    .sgpr_count:     0
    .sgpr_spill_count: 0
    .symbol:         _ZN7rocprim17ROCPRIM_400000_NS6detail17trampoline_kernelINS0_14default_configENS1_35radix_sort_onesweep_config_selectorIjNS0_10empty_typeEEEZZNS1_29radix_sort_onesweep_iterationIS3_Lb1EPKjPjPS5_SB_mNS0_19identity_decomposerENS1_16block_id_wrapperIjLb0EEEEE10hipError_tT1_PNSt15iterator_traitsISG_E10value_typeET2_T3_PNSH_ISM_E10value_typeET4_T5_PSR_SS_PNS1_23onesweep_lookback_stateEbbT6_jjT7_P12ihipStream_tbENKUlT_T0_SG_SL_E_clIS9_SA_SB_SB_EEDaSZ_S10_SG_SL_EUlSZ_E_NS1_11comp_targetILNS1_3genE6ELNS1_11target_archE950ELNS1_3gpuE13ELNS1_3repE0EEENS1_47radix_sort_onesweep_sort_config_static_selectorELNS0_4arch9wavefront6targetE0EEEvSG_.kd
    .uniform_work_group_size: 1
    .uses_dynamic_stack: false
    .vgpr_count:     0
    .vgpr_spill_count: 0
    .wavefront_size: 32
  - .args:
      - .offset:         0
        .size:           88
        .value_kind:     by_value
    .group_segment_fixed_size: 0
    .kernarg_segment_align: 8
    .kernarg_segment_size: 88
    .language:       OpenCL C
    .language_version:
      - 2
      - 0
    .max_flat_workgroup_size: 1024
    .name:           _ZN7rocprim17ROCPRIM_400000_NS6detail17trampoline_kernelINS0_14default_configENS1_35radix_sort_onesweep_config_selectorIjNS0_10empty_typeEEEZZNS1_29radix_sort_onesweep_iterationIS3_Lb1EPKjPjPS5_SB_mNS0_19identity_decomposerENS1_16block_id_wrapperIjLb0EEEEE10hipError_tT1_PNSt15iterator_traitsISG_E10value_typeET2_T3_PNSH_ISM_E10value_typeET4_T5_PSR_SS_PNS1_23onesweep_lookback_stateEbbT6_jjT7_P12ihipStream_tbENKUlT_T0_SG_SL_E_clIS9_SA_SB_SB_EEDaSZ_S10_SG_SL_EUlSZ_E_NS1_11comp_targetILNS1_3genE5ELNS1_11target_archE942ELNS1_3gpuE9ELNS1_3repE0EEENS1_47radix_sort_onesweep_sort_config_static_selectorELNS0_4arch9wavefront6targetE0EEEvSG_
    .private_segment_fixed_size: 0
    .sgpr_count:     0
    .sgpr_spill_count: 0
    .symbol:         _ZN7rocprim17ROCPRIM_400000_NS6detail17trampoline_kernelINS0_14default_configENS1_35radix_sort_onesweep_config_selectorIjNS0_10empty_typeEEEZZNS1_29radix_sort_onesweep_iterationIS3_Lb1EPKjPjPS5_SB_mNS0_19identity_decomposerENS1_16block_id_wrapperIjLb0EEEEE10hipError_tT1_PNSt15iterator_traitsISG_E10value_typeET2_T3_PNSH_ISM_E10value_typeET4_T5_PSR_SS_PNS1_23onesweep_lookback_stateEbbT6_jjT7_P12ihipStream_tbENKUlT_T0_SG_SL_E_clIS9_SA_SB_SB_EEDaSZ_S10_SG_SL_EUlSZ_E_NS1_11comp_targetILNS1_3genE5ELNS1_11target_archE942ELNS1_3gpuE9ELNS1_3repE0EEENS1_47radix_sort_onesweep_sort_config_static_selectorELNS0_4arch9wavefront6targetE0EEEvSG_.kd
    .uniform_work_group_size: 1
    .uses_dynamic_stack: false
    .vgpr_count:     0
    .vgpr_spill_count: 0
    .wavefront_size: 32
  - .args:
      - .offset:         0
        .size:           88
        .value_kind:     by_value
    .group_segment_fixed_size: 0
    .kernarg_segment_align: 8
    .kernarg_segment_size: 88
    .language:       OpenCL C
    .language_version:
      - 2
      - 0
    .max_flat_workgroup_size: 1024
    .name:           _ZN7rocprim17ROCPRIM_400000_NS6detail17trampoline_kernelINS0_14default_configENS1_35radix_sort_onesweep_config_selectorIjNS0_10empty_typeEEEZZNS1_29radix_sort_onesweep_iterationIS3_Lb1EPKjPjPS5_SB_mNS0_19identity_decomposerENS1_16block_id_wrapperIjLb0EEEEE10hipError_tT1_PNSt15iterator_traitsISG_E10value_typeET2_T3_PNSH_ISM_E10value_typeET4_T5_PSR_SS_PNS1_23onesweep_lookback_stateEbbT6_jjT7_P12ihipStream_tbENKUlT_T0_SG_SL_E_clIS9_SA_SB_SB_EEDaSZ_S10_SG_SL_EUlSZ_E_NS1_11comp_targetILNS1_3genE2ELNS1_11target_archE906ELNS1_3gpuE6ELNS1_3repE0EEENS1_47radix_sort_onesweep_sort_config_static_selectorELNS0_4arch9wavefront6targetE0EEEvSG_
    .private_segment_fixed_size: 0
    .sgpr_count:     0
    .sgpr_spill_count: 0
    .symbol:         _ZN7rocprim17ROCPRIM_400000_NS6detail17trampoline_kernelINS0_14default_configENS1_35radix_sort_onesweep_config_selectorIjNS0_10empty_typeEEEZZNS1_29radix_sort_onesweep_iterationIS3_Lb1EPKjPjPS5_SB_mNS0_19identity_decomposerENS1_16block_id_wrapperIjLb0EEEEE10hipError_tT1_PNSt15iterator_traitsISG_E10value_typeET2_T3_PNSH_ISM_E10value_typeET4_T5_PSR_SS_PNS1_23onesweep_lookback_stateEbbT6_jjT7_P12ihipStream_tbENKUlT_T0_SG_SL_E_clIS9_SA_SB_SB_EEDaSZ_S10_SG_SL_EUlSZ_E_NS1_11comp_targetILNS1_3genE2ELNS1_11target_archE906ELNS1_3gpuE6ELNS1_3repE0EEENS1_47radix_sort_onesweep_sort_config_static_selectorELNS0_4arch9wavefront6targetE0EEEvSG_.kd
    .uniform_work_group_size: 1
    .uses_dynamic_stack: false
    .vgpr_count:     0
    .vgpr_spill_count: 0
    .wavefront_size: 32
  - .args:
      - .offset:         0
        .size:           88
        .value_kind:     by_value
    .group_segment_fixed_size: 0
    .kernarg_segment_align: 8
    .kernarg_segment_size: 88
    .language:       OpenCL C
    .language_version:
      - 2
      - 0
    .max_flat_workgroup_size: 1024
    .name:           _ZN7rocprim17ROCPRIM_400000_NS6detail17trampoline_kernelINS0_14default_configENS1_35radix_sort_onesweep_config_selectorIjNS0_10empty_typeEEEZZNS1_29radix_sort_onesweep_iterationIS3_Lb1EPKjPjPS5_SB_mNS0_19identity_decomposerENS1_16block_id_wrapperIjLb0EEEEE10hipError_tT1_PNSt15iterator_traitsISG_E10value_typeET2_T3_PNSH_ISM_E10value_typeET4_T5_PSR_SS_PNS1_23onesweep_lookback_stateEbbT6_jjT7_P12ihipStream_tbENKUlT_T0_SG_SL_E_clIS9_SA_SB_SB_EEDaSZ_S10_SG_SL_EUlSZ_E_NS1_11comp_targetILNS1_3genE4ELNS1_11target_archE910ELNS1_3gpuE8ELNS1_3repE0EEENS1_47radix_sort_onesweep_sort_config_static_selectorELNS0_4arch9wavefront6targetE0EEEvSG_
    .private_segment_fixed_size: 0
    .sgpr_count:     0
    .sgpr_spill_count: 0
    .symbol:         _ZN7rocprim17ROCPRIM_400000_NS6detail17trampoline_kernelINS0_14default_configENS1_35radix_sort_onesweep_config_selectorIjNS0_10empty_typeEEEZZNS1_29radix_sort_onesweep_iterationIS3_Lb1EPKjPjPS5_SB_mNS0_19identity_decomposerENS1_16block_id_wrapperIjLb0EEEEE10hipError_tT1_PNSt15iterator_traitsISG_E10value_typeET2_T3_PNSH_ISM_E10value_typeET4_T5_PSR_SS_PNS1_23onesweep_lookback_stateEbbT6_jjT7_P12ihipStream_tbENKUlT_T0_SG_SL_E_clIS9_SA_SB_SB_EEDaSZ_S10_SG_SL_EUlSZ_E_NS1_11comp_targetILNS1_3genE4ELNS1_11target_archE910ELNS1_3gpuE8ELNS1_3repE0EEENS1_47radix_sort_onesweep_sort_config_static_selectorELNS0_4arch9wavefront6targetE0EEEvSG_.kd
    .uniform_work_group_size: 1
    .uses_dynamic_stack: false
    .vgpr_count:     0
    .vgpr_spill_count: 0
    .wavefront_size: 32
  - .args:
      - .offset:         0
        .size:           88
        .value_kind:     by_value
    .group_segment_fixed_size: 0
    .kernarg_segment_align: 8
    .kernarg_segment_size: 88
    .language:       OpenCL C
    .language_version:
      - 2
      - 0
    .max_flat_workgroup_size: 512
    .name:           _ZN7rocprim17ROCPRIM_400000_NS6detail17trampoline_kernelINS0_14default_configENS1_35radix_sort_onesweep_config_selectorIjNS0_10empty_typeEEEZZNS1_29radix_sort_onesweep_iterationIS3_Lb1EPKjPjPS5_SB_mNS0_19identity_decomposerENS1_16block_id_wrapperIjLb0EEEEE10hipError_tT1_PNSt15iterator_traitsISG_E10value_typeET2_T3_PNSH_ISM_E10value_typeET4_T5_PSR_SS_PNS1_23onesweep_lookback_stateEbbT6_jjT7_P12ihipStream_tbENKUlT_T0_SG_SL_E_clIS9_SA_SB_SB_EEDaSZ_S10_SG_SL_EUlSZ_E_NS1_11comp_targetILNS1_3genE3ELNS1_11target_archE908ELNS1_3gpuE7ELNS1_3repE0EEENS1_47radix_sort_onesweep_sort_config_static_selectorELNS0_4arch9wavefront6targetE0EEEvSG_
    .private_segment_fixed_size: 0
    .sgpr_count:     0
    .sgpr_spill_count: 0
    .symbol:         _ZN7rocprim17ROCPRIM_400000_NS6detail17trampoline_kernelINS0_14default_configENS1_35radix_sort_onesweep_config_selectorIjNS0_10empty_typeEEEZZNS1_29radix_sort_onesweep_iterationIS3_Lb1EPKjPjPS5_SB_mNS0_19identity_decomposerENS1_16block_id_wrapperIjLb0EEEEE10hipError_tT1_PNSt15iterator_traitsISG_E10value_typeET2_T3_PNSH_ISM_E10value_typeET4_T5_PSR_SS_PNS1_23onesweep_lookback_stateEbbT6_jjT7_P12ihipStream_tbENKUlT_T0_SG_SL_E_clIS9_SA_SB_SB_EEDaSZ_S10_SG_SL_EUlSZ_E_NS1_11comp_targetILNS1_3genE3ELNS1_11target_archE908ELNS1_3gpuE7ELNS1_3repE0EEENS1_47radix_sort_onesweep_sort_config_static_selectorELNS0_4arch9wavefront6targetE0EEEvSG_.kd
    .uniform_work_group_size: 1
    .uses_dynamic_stack: false
    .vgpr_count:     0
    .vgpr_spill_count: 0
    .wavefront_size: 32
  - .args:
      - .offset:         0
        .size:           88
        .value_kind:     by_value
    .group_segment_fixed_size: 0
    .kernarg_segment_align: 8
    .kernarg_segment_size: 88
    .language:       OpenCL C
    .language_version:
      - 2
      - 0
    .max_flat_workgroup_size: 1024
    .name:           _ZN7rocprim17ROCPRIM_400000_NS6detail17trampoline_kernelINS0_14default_configENS1_35radix_sort_onesweep_config_selectorIjNS0_10empty_typeEEEZZNS1_29radix_sort_onesweep_iterationIS3_Lb1EPKjPjPS5_SB_mNS0_19identity_decomposerENS1_16block_id_wrapperIjLb0EEEEE10hipError_tT1_PNSt15iterator_traitsISG_E10value_typeET2_T3_PNSH_ISM_E10value_typeET4_T5_PSR_SS_PNS1_23onesweep_lookback_stateEbbT6_jjT7_P12ihipStream_tbENKUlT_T0_SG_SL_E_clIS9_SA_SB_SB_EEDaSZ_S10_SG_SL_EUlSZ_E_NS1_11comp_targetILNS1_3genE10ELNS1_11target_archE1201ELNS1_3gpuE5ELNS1_3repE0EEENS1_47radix_sort_onesweep_sort_config_static_selectorELNS0_4arch9wavefront6targetE0EEEvSG_
    .private_segment_fixed_size: 0
    .sgpr_count:     0
    .sgpr_spill_count: 0
    .symbol:         _ZN7rocprim17ROCPRIM_400000_NS6detail17trampoline_kernelINS0_14default_configENS1_35radix_sort_onesweep_config_selectorIjNS0_10empty_typeEEEZZNS1_29radix_sort_onesweep_iterationIS3_Lb1EPKjPjPS5_SB_mNS0_19identity_decomposerENS1_16block_id_wrapperIjLb0EEEEE10hipError_tT1_PNSt15iterator_traitsISG_E10value_typeET2_T3_PNSH_ISM_E10value_typeET4_T5_PSR_SS_PNS1_23onesweep_lookback_stateEbbT6_jjT7_P12ihipStream_tbENKUlT_T0_SG_SL_E_clIS9_SA_SB_SB_EEDaSZ_S10_SG_SL_EUlSZ_E_NS1_11comp_targetILNS1_3genE10ELNS1_11target_archE1201ELNS1_3gpuE5ELNS1_3repE0EEENS1_47radix_sort_onesweep_sort_config_static_selectorELNS0_4arch9wavefront6targetE0EEEvSG_.kd
    .uniform_work_group_size: 1
    .uses_dynamic_stack: false
    .vgpr_count:     0
    .vgpr_spill_count: 0
    .wavefront_size: 32
  - .args:
      - .offset:         0
        .size:           88
        .value_kind:     by_value
    .group_segment_fixed_size: 0
    .kernarg_segment_align: 8
    .kernarg_segment_size: 88
    .language:       OpenCL C
    .language_version:
      - 2
      - 0
    .max_flat_workgroup_size: 1024
    .name:           _ZN7rocprim17ROCPRIM_400000_NS6detail17trampoline_kernelINS0_14default_configENS1_35radix_sort_onesweep_config_selectorIjNS0_10empty_typeEEEZZNS1_29radix_sort_onesweep_iterationIS3_Lb1EPKjPjPS5_SB_mNS0_19identity_decomposerENS1_16block_id_wrapperIjLb0EEEEE10hipError_tT1_PNSt15iterator_traitsISG_E10value_typeET2_T3_PNSH_ISM_E10value_typeET4_T5_PSR_SS_PNS1_23onesweep_lookback_stateEbbT6_jjT7_P12ihipStream_tbENKUlT_T0_SG_SL_E_clIS9_SA_SB_SB_EEDaSZ_S10_SG_SL_EUlSZ_E_NS1_11comp_targetILNS1_3genE9ELNS1_11target_archE1100ELNS1_3gpuE3ELNS1_3repE0EEENS1_47radix_sort_onesweep_sort_config_static_selectorELNS0_4arch9wavefront6targetE0EEEvSG_
    .private_segment_fixed_size: 0
    .sgpr_count:     0
    .sgpr_spill_count: 0
    .symbol:         _ZN7rocprim17ROCPRIM_400000_NS6detail17trampoline_kernelINS0_14default_configENS1_35radix_sort_onesweep_config_selectorIjNS0_10empty_typeEEEZZNS1_29radix_sort_onesweep_iterationIS3_Lb1EPKjPjPS5_SB_mNS0_19identity_decomposerENS1_16block_id_wrapperIjLb0EEEEE10hipError_tT1_PNSt15iterator_traitsISG_E10value_typeET2_T3_PNSH_ISM_E10value_typeET4_T5_PSR_SS_PNS1_23onesweep_lookback_stateEbbT6_jjT7_P12ihipStream_tbENKUlT_T0_SG_SL_E_clIS9_SA_SB_SB_EEDaSZ_S10_SG_SL_EUlSZ_E_NS1_11comp_targetILNS1_3genE9ELNS1_11target_archE1100ELNS1_3gpuE3ELNS1_3repE0EEENS1_47radix_sort_onesweep_sort_config_static_selectorELNS0_4arch9wavefront6targetE0EEEvSG_.kd
    .uniform_work_group_size: 1
    .uses_dynamic_stack: false
    .vgpr_count:     0
    .vgpr_spill_count: 0
    .wavefront_size: 32
  - .args:
      - .offset:         0
        .size:           88
        .value_kind:     by_value
    .group_segment_fixed_size: 0
    .kernarg_segment_align: 8
    .kernarg_segment_size: 88
    .language:       OpenCL C
    .language_version:
      - 2
      - 0
    .max_flat_workgroup_size: 1024
    .name:           _ZN7rocprim17ROCPRIM_400000_NS6detail17trampoline_kernelINS0_14default_configENS1_35radix_sort_onesweep_config_selectorIjNS0_10empty_typeEEEZZNS1_29radix_sort_onesweep_iterationIS3_Lb1EPKjPjPS5_SB_mNS0_19identity_decomposerENS1_16block_id_wrapperIjLb0EEEEE10hipError_tT1_PNSt15iterator_traitsISG_E10value_typeET2_T3_PNSH_ISM_E10value_typeET4_T5_PSR_SS_PNS1_23onesweep_lookback_stateEbbT6_jjT7_P12ihipStream_tbENKUlT_T0_SG_SL_E_clIS9_SA_SB_SB_EEDaSZ_S10_SG_SL_EUlSZ_E_NS1_11comp_targetILNS1_3genE8ELNS1_11target_archE1030ELNS1_3gpuE2ELNS1_3repE0EEENS1_47radix_sort_onesweep_sort_config_static_selectorELNS0_4arch9wavefront6targetE0EEEvSG_
    .private_segment_fixed_size: 0
    .sgpr_count:     0
    .sgpr_spill_count: 0
    .symbol:         _ZN7rocprim17ROCPRIM_400000_NS6detail17trampoline_kernelINS0_14default_configENS1_35radix_sort_onesweep_config_selectorIjNS0_10empty_typeEEEZZNS1_29radix_sort_onesweep_iterationIS3_Lb1EPKjPjPS5_SB_mNS0_19identity_decomposerENS1_16block_id_wrapperIjLb0EEEEE10hipError_tT1_PNSt15iterator_traitsISG_E10value_typeET2_T3_PNSH_ISM_E10value_typeET4_T5_PSR_SS_PNS1_23onesweep_lookback_stateEbbT6_jjT7_P12ihipStream_tbENKUlT_T0_SG_SL_E_clIS9_SA_SB_SB_EEDaSZ_S10_SG_SL_EUlSZ_E_NS1_11comp_targetILNS1_3genE8ELNS1_11target_archE1030ELNS1_3gpuE2ELNS1_3repE0EEENS1_47radix_sort_onesweep_sort_config_static_selectorELNS0_4arch9wavefront6targetE0EEEvSG_.kd
    .uniform_work_group_size: 1
    .uses_dynamic_stack: false
    .vgpr_count:     0
    .vgpr_spill_count: 0
    .wavefront_size: 32
  - .args:
      - .offset:         0
        .size:           88
        .value_kind:     by_value
      - .offset:         88
        .size:           4
        .value_kind:     hidden_block_count_x
      - .offset:         92
        .size:           4
        .value_kind:     hidden_block_count_y
      - .offset:         96
        .size:           4
        .value_kind:     hidden_block_count_z
      - .offset:         100
        .size:           2
        .value_kind:     hidden_group_size_x
      - .offset:         102
        .size:           2
        .value_kind:     hidden_group_size_y
      - .offset:         104
        .size:           2
        .value_kind:     hidden_group_size_z
      - .offset:         106
        .size:           2
        .value_kind:     hidden_remainder_x
      - .offset:         108
        .size:           2
        .value_kind:     hidden_remainder_y
      - .offset:         110
        .size:           2
        .value_kind:     hidden_remainder_z
      - .offset:         128
        .size:           8
        .value_kind:     hidden_global_offset_x
      - .offset:         136
        .size:           8
        .value_kind:     hidden_global_offset_y
      - .offset:         144
        .size:           8
        .value_kind:     hidden_global_offset_z
      - .offset:         152
        .size:           2
        .value_kind:     hidden_grid_dims
    .group_segment_fixed_size: 18504
    .kernarg_segment_align: 8
    .kernarg_segment_size: 344
    .language:       OpenCL C
    .language_version:
      - 2
      - 0
    .max_flat_workgroup_size: 512
    .name:           _ZN7rocprim17ROCPRIM_400000_NS6detail17trampoline_kernelINS0_14default_configENS1_35radix_sort_onesweep_config_selectorIjNS0_10empty_typeEEEZZNS1_29radix_sort_onesweep_iterationIS3_Lb1EPKjPjPS5_SB_mNS0_19identity_decomposerENS1_16block_id_wrapperIjLb0EEEEE10hipError_tT1_PNSt15iterator_traitsISG_E10value_typeET2_T3_PNSH_ISM_E10value_typeET4_T5_PSR_SS_PNS1_23onesweep_lookback_stateEbbT6_jjT7_P12ihipStream_tbENKUlT_T0_SG_SL_E_clISA_SA_SB_SB_EEDaSZ_S10_SG_SL_EUlSZ_E_NS1_11comp_targetILNS1_3genE0ELNS1_11target_archE4294967295ELNS1_3gpuE0ELNS1_3repE0EEENS1_47radix_sort_onesweep_sort_config_static_selectorELNS0_4arch9wavefront6targetE0EEEvSG_
    .private_segment_fixed_size: 0
    .sgpr_count:     31
    .sgpr_spill_count: 0
    .symbol:         _ZN7rocprim17ROCPRIM_400000_NS6detail17trampoline_kernelINS0_14default_configENS1_35radix_sort_onesweep_config_selectorIjNS0_10empty_typeEEEZZNS1_29radix_sort_onesweep_iterationIS3_Lb1EPKjPjPS5_SB_mNS0_19identity_decomposerENS1_16block_id_wrapperIjLb0EEEEE10hipError_tT1_PNSt15iterator_traitsISG_E10value_typeET2_T3_PNSH_ISM_E10value_typeET4_T5_PSR_SS_PNS1_23onesweep_lookback_stateEbbT6_jjT7_P12ihipStream_tbENKUlT_T0_SG_SL_E_clISA_SA_SB_SB_EEDaSZ_S10_SG_SL_EUlSZ_E_NS1_11comp_targetILNS1_3genE0ELNS1_11target_archE4294967295ELNS1_3gpuE0ELNS1_3repE0EEENS1_47radix_sort_onesweep_sort_config_static_selectorELNS0_4arch9wavefront6targetE0EEEvSG_.kd
    .uniform_work_group_size: 1
    .uses_dynamic_stack: false
    .vgpr_count:     65
    .vgpr_spill_count: 0
    .wavefront_size: 32
  - .args:
      - .offset:         0
        .size:           88
        .value_kind:     by_value
    .group_segment_fixed_size: 0
    .kernarg_segment_align: 8
    .kernarg_segment_size: 88
    .language:       OpenCL C
    .language_version:
      - 2
      - 0
    .max_flat_workgroup_size: 1024
    .name:           _ZN7rocprim17ROCPRIM_400000_NS6detail17trampoline_kernelINS0_14default_configENS1_35radix_sort_onesweep_config_selectorIjNS0_10empty_typeEEEZZNS1_29radix_sort_onesweep_iterationIS3_Lb1EPKjPjPS5_SB_mNS0_19identity_decomposerENS1_16block_id_wrapperIjLb0EEEEE10hipError_tT1_PNSt15iterator_traitsISG_E10value_typeET2_T3_PNSH_ISM_E10value_typeET4_T5_PSR_SS_PNS1_23onesweep_lookback_stateEbbT6_jjT7_P12ihipStream_tbENKUlT_T0_SG_SL_E_clISA_SA_SB_SB_EEDaSZ_S10_SG_SL_EUlSZ_E_NS1_11comp_targetILNS1_3genE6ELNS1_11target_archE950ELNS1_3gpuE13ELNS1_3repE0EEENS1_47radix_sort_onesweep_sort_config_static_selectorELNS0_4arch9wavefront6targetE0EEEvSG_
    .private_segment_fixed_size: 0
    .sgpr_count:     0
    .sgpr_spill_count: 0
    .symbol:         _ZN7rocprim17ROCPRIM_400000_NS6detail17trampoline_kernelINS0_14default_configENS1_35radix_sort_onesweep_config_selectorIjNS0_10empty_typeEEEZZNS1_29radix_sort_onesweep_iterationIS3_Lb1EPKjPjPS5_SB_mNS0_19identity_decomposerENS1_16block_id_wrapperIjLb0EEEEE10hipError_tT1_PNSt15iterator_traitsISG_E10value_typeET2_T3_PNSH_ISM_E10value_typeET4_T5_PSR_SS_PNS1_23onesweep_lookback_stateEbbT6_jjT7_P12ihipStream_tbENKUlT_T0_SG_SL_E_clISA_SA_SB_SB_EEDaSZ_S10_SG_SL_EUlSZ_E_NS1_11comp_targetILNS1_3genE6ELNS1_11target_archE950ELNS1_3gpuE13ELNS1_3repE0EEENS1_47radix_sort_onesweep_sort_config_static_selectorELNS0_4arch9wavefront6targetE0EEEvSG_.kd
    .uniform_work_group_size: 1
    .uses_dynamic_stack: false
    .vgpr_count:     0
    .vgpr_spill_count: 0
    .wavefront_size: 32
  - .args:
      - .offset:         0
        .size:           88
        .value_kind:     by_value
    .group_segment_fixed_size: 0
    .kernarg_segment_align: 8
    .kernarg_segment_size: 88
    .language:       OpenCL C
    .language_version:
      - 2
      - 0
    .max_flat_workgroup_size: 1024
    .name:           _ZN7rocprim17ROCPRIM_400000_NS6detail17trampoline_kernelINS0_14default_configENS1_35radix_sort_onesweep_config_selectorIjNS0_10empty_typeEEEZZNS1_29radix_sort_onesweep_iterationIS3_Lb1EPKjPjPS5_SB_mNS0_19identity_decomposerENS1_16block_id_wrapperIjLb0EEEEE10hipError_tT1_PNSt15iterator_traitsISG_E10value_typeET2_T3_PNSH_ISM_E10value_typeET4_T5_PSR_SS_PNS1_23onesweep_lookback_stateEbbT6_jjT7_P12ihipStream_tbENKUlT_T0_SG_SL_E_clISA_SA_SB_SB_EEDaSZ_S10_SG_SL_EUlSZ_E_NS1_11comp_targetILNS1_3genE5ELNS1_11target_archE942ELNS1_3gpuE9ELNS1_3repE0EEENS1_47radix_sort_onesweep_sort_config_static_selectorELNS0_4arch9wavefront6targetE0EEEvSG_
    .private_segment_fixed_size: 0
    .sgpr_count:     0
    .sgpr_spill_count: 0
    .symbol:         _ZN7rocprim17ROCPRIM_400000_NS6detail17trampoline_kernelINS0_14default_configENS1_35radix_sort_onesweep_config_selectorIjNS0_10empty_typeEEEZZNS1_29radix_sort_onesweep_iterationIS3_Lb1EPKjPjPS5_SB_mNS0_19identity_decomposerENS1_16block_id_wrapperIjLb0EEEEE10hipError_tT1_PNSt15iterator_traitsISG_E10value_typeET2_T3_PNSH_ISM_E10value_typeET4_T5_PSR_SS_PNS1_23onesweep_lookback_stateEbbT6_jjT7_P12ihipStream_tbENKUlT_T0_SG_SL_E_clISA_SA_SB_SB_EEDaSZ_S10_SG_SL_EUlSZ_E_NS1_11comp_targetILNS1_3genE5ELNS1_11target_archE942ELNS1_3gpuE9ELNS1_3repE0EEENS1_47radix_sort_onesweep_sort_config_static_selectorELNS0_4arch9wavefront6targetE0EEEvSG_.kd
    .uniform_work_group_size: 1
    .uses_dynamic_stack: false
    .vgpr_count:     0
    .vgpr_spill_count: 0
    .wavefront_size: 32
  - .args:
      - .offset:         0
        .size:           88
        .value_kind:     by_value
    .group_segment_fixed_size: 0
    .kernarg_segment_align: 8
    .kernarg_segment_size: 88
    .language:       OpenCL C
    .language_version:
      - 2
      - 0
    .max_flat_workgroup_size: 1024
    .name:           _ZN7rocprim17ROCPRIM_400000_NS6detail17trampoline_kernelINS0_14default_configENS1_35radix_sort_onesweep_config_selectorIjNS0_10empty_typeEEEZZNS1_29radix_sort_onesweep_iterationIS3_Lb1EPKjPjPS5_SB_mNS0_19identity_decomposerENS1_16block_id_wrapperIjLb0EEEEE10hipError_tT1_PNSt15iterator_traitsISG_E10value_typeET2_T3_PNSH_ISM_E10value_typeET4_T5_PSR_SS_PNS1_23onesweep_lookback_stateEbbT6_jjT7_P12ihipStream_tbENKUlT_T0_SG_SL_E_clISA_SA_SB_SB_EEDaSZ_S10_SG_SL_EUlSZ_E_NS1_11comp_targetILNS1_3genE2ELNS1_11target_archE906ELNS1_3gpuE6ELNS1_3repE0EEENS1_47radix_sort_onesweep_sort_config_static_selectorELNS0_4arch9wavefront6targetE0EEEvSG_
    .private_segment_fixed_size: 0
    .sgpr_count:     0
    .sgpr_spill_count: 0
    .symbol:         _ZN7rocprim17ROCPRIM_400000_NS6detail17trampoline_kernelINS0_14default_configENS1_35radix_sort_onesweep_config_selectorIjNS0_10empty_typeEEEZZNS1_29radix_sort_onesweep_iterationIS3_Lb1EPKjPjPS5_SB_mNS0_19identity_decomposerENS1_16block_id_wrapperIjLb0EEEEE10hipError_tT1_PNSt15iterator_traitsISG_E10value_typeET2_T3_PNSH_ISM_E10value_typeET4_T5_PSR_SS_PNS1_23onesweep_lookback_stateEbbT6_jjT7_P12ihipStream_tbENKUlT_T0_SG_SL_E_clISA_SA_SB_SB_EEDaSZ_S10_SG_SL_EUlSZ_E_NS1_11comp_targetILNS1_3genE2ELNS1_11target_archE906ELNS1_3gpuE6ELNS1_3repE0EEENS1_47radix_sort_onesweep_sort_config_static_selectorELNS0_4arch9wavefront6targetE0EEEvSG_.kd
    .uniform_work_group_size: 1
    .uses_dynamic_stack: false
    .vgpr_count:     0
    .vgpr_spill_count: 0
    .wavefront_size: 32
  - .args:
      - .offset:         0
        .size:           88
        .value_kind:     by_value
    .group_segment_fixed_size: 0
    .kernarg_segment_align: 8
    .kernarg_segment_size: 88
    .language:       OpenCL C
    .language_version:
      - 2
      - 0
    .max_flat_workgroup_size: 1024
    .name:           _ZN7rocprim17ROCPRIM_400000_NS6detail17trampoline_kernelINS0_14default_configENS1_35radix_sort_onesweep_config_selectorIjNS0_10empty_typeEEEZZNS1_29radix_sort_onesweep_iterationIS3_Lb1EPKjPjPS5_SB_mNS0_19identity_decomposerENS1_16block_id_wrapperIjLb0EEEEE10hipError_tT1_PNSt15iterator_traitsISG_E10value_typeET2_T3_PNSH_ISM_E10value_typeET4_T5_PSR_SS_PNS1_23onesweep_lookback_stateEbbT6_jjT7_P12ihipStream_tbENKUlT_T0_SG_SL_E_clISA_SA_SB_SB_EEDaSZ_S10_SG_SL_EUlSZ_E_NS1_11comp_targetILNS1_3genE4ELNS1_11target_archE910ELNS1_3gpuE8ELNS1_3repE0EEENS1_47radix_sort_onesweep_sort_config_static_selectorELNS0_4arch9wavefront6targetE0EEEvSG_
    .private_segment_fixed_size: 0
    .sgpr_count:     0
    .sgpr_spill_count: 0
    .symbol:         _ZN7rocprim17ROCPRIM_400000_NS6detail17trampoline_kernelINS0_14default_configENS1_35radix_sort_onesweep_config_selectorIjNS0_10empty_typeEEEZZNS1_29radix_sort_onesweep_iterationIS3_Lb1EPKjPjPS5_SB_mNS0_19identity_decomposerENS1_16block_id_wrapperIjLb0EEEEE10hipError_tT1_PNSt15iterator_traitsISG_E10value_typeET2_T3_PNSH_ISM_E10value_typeET4_T5_PSR_SS_PNS1_23onesweep_lookback_stateEbbT6_jjT7_P12ihipStream_tbENKUlT_T0_SG_SL_E_clISA_SA_SB_SB_EEDaSZ_S10_SG_SL_EUlSZ_E_NS1_11comp_targetILNS1_3genE4ELNS1_11target_archE910ELNS1_3gpuE8ELNS1_3repE0EEENS1_47radix_sort_onesweep_sort_config_static_selectorELNS0_4arch9wavefront6targetE0EEEvSG_.kd
    .uniform_work_group_size: 1
    .uses_dynamic_stack: false
    .vgpr_count:     0
    .vgpr_spill_count: 0
    .wavefront_size: 32
  - .args:
      - .offset:         0
        .size:           88
        .value_kind:     by_value
    .group_segment_fixed_size: 0
    .kernarg_segment_align: 8
    .kernarg_segment_size: 88
    .language:       OpenCL C
    .language_version:
      - 2
      - 0
    .max_flat_workgroup_size: 512
    .name:           _ZN7rocprim17ROCPRIM_400000_NS6detail17trampoline_kernelINS0_14default_configENS1_35radix_sort_onesweep_config_selectorIjNS0_10empty_typeEEEZZNS1_29radix_sort_onesweep_iterationIS3_Lb1EPKjPjPS5_SB_mNS0_19identity_decomposerENS1_16block_id_wrapperIjLb0EEEEE10hipError_tT1_PNSt15iterator_traitsISG_E10value_typeET2_T3_PNSH_ISM_E10value_typeET4_T5_PSR_SS_PNS1_23onesweep_lookback_stateEbbT6_jjT7_P12ihipStream_tbENKUlT_T0_SG_SL_E_clISA_SA_SB_SB_EEDaSZ_S10_SG_SL_EUlSZ_E_NS1_11comp_targetILNS1_3genE3ELNS1_11target_archE908ELNS1_3gpuE7ELNS1_3repE0EEENS1_47radix_sort_onesweep_sort_config_static_selectorELNS0_4arch9wavefront6targetE0EEEvSG_
    .private_segment_fixed_size: 0
    .sgpr_count:     0
    .sgpr_spill_count: 0
    .symbol:         _ZN7rocprim17ROCPRIM_400000_NS6detail17trampoline_kernelINS0_14default_configENS1_35radix_sort_onesweep_config_selectorIjNS0_10empty_typeEEEZZNS1_29radix_sort_onesweep_iterationIS3_Lb1EPKjPjPS5_SB_mNS0_19identity_decomposerENS1_16block_id_wrapperIjLb0EEEEE10hipError_tT1_PNSt15iterator_traitsISG_E10value_typeET2_T3_PNSH_ISM_E10value_typeET4_T5_PSR_SS_PNS1_23onesweep_lookback_stateEbbT6_jjT7_P12ihipStream_tbENKUlT_T0_SG_SL_E_clISA_SA_SB_SB_EEDaSZ_S10_SG_SL_EUlSZ_E_NS1_11comp_targetILNS1_3genE3ELNS1_11target_archE908ELNS1_3gpuE7ELNS1_3repE0EEENS1_47radix_sort_onesweep_sort_config_static_selectorELNS0_4arch9wavefront6targetE0EEEvSG_.kd
    .uniform_work_group_size: 1
    .uses_dynamic_stack: false
    .vgpr_count:     0
    .vgpr_spill_count: 0
    .wavefront_size: 32
  - .args:
      - .offset:         0
        .size:           88
        .value_kind:     by_value
    .group_segment_fixed_size: 0
    .kernarg_segment_align: 8
    .kernarg_segment_size: 88
    .language:       OpenCL C
    .language_version:
      - 2
      - 0
    .max_flat_workgroup_size: 1024
    .name:           _ZN7rocprim17ROCPRIM_400000_NS6detail17trampoline_kernelINS0_14default_configENS1_35radix_sort_onesweep_config_selectorIjNS0_10empty_typeEEEZZNS1_29radix_sort_onesweep_iterationIS3_Lb1EPKjPjPS5_SB_mNS0_19identity_decomposerENS1_16block_id_wrapperIjLb0EEEEE10hipError_tT1_PNSt15iterator_traitsISG_E10value_typeET2_T3_PNSH_ISM_E10value_typeET4_T5_PSR_SS_PNS1_23onesweep_lookback_stateEbbT6_jjT7_P12ihipStream_tbENKUlT_T0_SG_SL_E_clISA_SA_SB_SB_EEDaSZ_S10_SG_SL_EUlSZ_E_NS1_11comp_targetILNS1_3genE10ELNS1_11target_archE1201ELNS1_3gpuE5ELNS1_3repE0EEENS1_47radix_sort_onesweep_sort_config_static_selectorELNS0_4arch9wavefront6targetE0EEEvSG_
    .private_segment_fixed_size: 0
    .sgpr_count:     0
    .sgpr_spill_count: 0
    .symbol:         _ZN7rocprim17ROCPRIM_400000_NS6detail17trampoline_kernelINS0_14default_configENS1_35radix_sort_onesweep_config_selectorIjNS0_10empty_typeEEEZZNS1_29radix_sort_onesweep_iterationIS3_Lb1EPKjPjPS5_SB_mNS0_19identity_decomposerENS1_16block_id_wrapperIjLb0EEEEE10hipError_tT1_PNSt15iterator_traitsISG_E10value_typeET2_T3_PNSH_ISM_E10value_typeET4_T5_PSR_SS_PNS1_23onesweep_lookback_stateEbbT6_jjT7_P12ihipStream_tbENKUlT_T0_SG_SL_E_clISA_SA_SB_SB_EEDaSZ_S10_SG_SL_EUlSZ_E_NS1_11comp_targetILNS1_3genE10ELNS1_11target_archE1201ELNS1_3gpuE5ELNS1_3repE0EEENS1_47radix_sort_onesweep_sort_config_static_selectorELNS0_4arch9wavefront6targetE0EEEvSG_.kd
    .uniform_work_group_size: 1
    .uses_dynamic_stack: false
    .vgpr_count:     0
    .vgpr_spill_count: 0
    .wavefront_size: 32
  - .args:
      - .offset:         0
        .size:           88
        .value_kind:     by_value
    .group_segment_fixed_size: 0
    .kernarg_segment_align: 8
    .kernarg_segment_size: 88
    .language:       OpenCL C
    .language_version:
      - 2
      - 0
    .max_flat_workgroup_size: 1024
    .name:           _ZN7rocprim17ROCPRIM_400000_NS6detail17trampoline_kernelINS0_14default_configENS1_35radix_sort_onesweep_config_selectorIjNS0_10empty_typeEEEZZNS1_29radix_sort_onesweep_iterationIS3_Lb1EPKjPjPS5_SB_mNS0_19identity_decomposerENS1_16block_id_wrapperIjLb0EEEEE10hipError_tT1_PNSt15iterator_traitsISG_E10value_typeET2_T3_PNSH_ISM_E10value_typeET4_T5_PSR_SS_PNS1_23onesweep_lookback_stateEbbT6_jjT7_P12ihipStream_tbENKUlT_T0_SG_SL_E_clISA_SA_SB_SB_EEDaSZ_S10_SG_SL_EUlSZ_E_NS1_11comp_targetILNS1_3genE9ELNS1_11target_archE1100ELNS1_3gpuE3ELNS1_3repE0EEENS1_47radix_sort_onesweep_sort_config_static_selectorELNS0_4arch9wavefront6targetE0EEEvSG_
    .private_segment_fixed_size: 0
    .sgpr_count:     0
    .sgpr_spill_count: 0
    .symbol:         _ZN7rocprim17ROCPRIM_400000_NS6detail17trampoline_kernelINS0_14default_configENS1_35radix_sort_onesweep_config_selectorIjNS0_10empty_typeEEEZZNS1_29radix_sort_onesweep_iterationIS3_Lb1EPKjPjPS5_SB_mNS0_19identity_decomposerENS1_16block_id_wrapperIjLb0EEEEE10hipError_tT1_PNSt15iterator_traitsISG_E10value_typeET2_T3_PNSH_ISM_E10value_typeET4_T5_PSR_SS_PNS1_23onesweep_lookback_stateEbbT6_jjT7_P12ihipStream_tbENKUlT_T0_SG_SL_E_clISA_SA_SB_SB_EEDaSZ_S10_SG_SL_EUlSZ_E_NS1_11comp_targetILNS1_3genE9ELNS1_11target_archE1100ELNS1_3gpuE3ELNS1_3repE0EEENS1_47radix_sort_onesweep_sort_config_static_selectorELNS0_4arch9wavefront6targetE0EEEvSG_.kd
    .uniform_work_group_size: 1
    .uses_dynamic_stack: false
    .vgpr_count:     0
    .vgpr_spill_count: 0
    .wavefront_size: 32
  - .args:
      - .offset:         0
        .size:           88
        .value_kind:     by_value
    .group_segment_fixed_size: 0
    .kernarg_segment_align: 8
    .kernarg_segment_size: 88
    .language:       OpenCL C
    .language_version:
      - 2
      - 0
    .max_flat_workgroup_size: 1024
    .name:           _ZN7rocprim17ROCPRIM_400000_NS6detail17trampoline_kernelINS0_14default_configENS1_35radix_sort_onesweep_config_selectorIjNS0_10empty_typeEEEZZNS1_29radix_sort_onesweep_iterationIS3_Lb1EPKjPjPS5_SB_mNS0_19identity_decomposerENS1_16block_id_wrapperIjLb0EEEEE10hipError_tT1_PNSt15iterator_traitsISG_E10value_typeET2_T3_PNSH_ISM_E10value_typeET4_T5_PSR_SS_PNS1_23onesweep_lookback_stateEbbT6_jjT7_P12ihipStream_tbENKUlT_T0_SG_SL_E_clISA_SA_SB_SB_EEDaSZ_S10_SG_SL_EUlSZ_E_NS1_11comp_targetILNS1_3genE8ELNS1_11target_archE1030ELNS1_3gpuE2ELNS1_3repE0EEENS1_47radix_sort_onesweep_sort_config_static_selectorELNS0_4arch9wavefront6targetE0EEEvSG_
    .private_segment_fixed_size: 0
    .sgpr_count:     0
    .sgpr_spill_count: 0
    .symbol:         _ZN7rocprim17ROCPRIM_400000_NS6detail17trampoline_kernelINS0_14default_configENS1_35radix_sort_onesweep_config_selectorIjNS0_10empty_typeEEEZZNS1_29radix_sort_onesweep_iterationIS3_Lb1EPKjPjPS5_SB_mNS0_19identity_decomposerENS1_16block_id_wrapperIjLb0EEEEE10hipError_tT1_PNSt15iterator_traitsISG_E10value_typeET2_T3_PNSH_ISM_E10value_typeET4_T5_PSR_SS_PNS1_23onesweep_lookback_stateEbbT6_jjT7_P12ihipStream_tbENKUlT_T0_SG_SL_E_clISA_SA_SB_SB_EEDaSZ_S10_SG_SL_EUlSZ_E_NS1_11comp_targetILNS1_3genE8ELNS1_11target_archE1030ELNS1_3gpuE2ELNS1_3repE0EEENS1_47radix_sort_onesweep_sort_config_static_selectorELNS0_4arch9wavefront6targetE0EEEvSG_.kd
    .uniform_work_group_size: 1
    .uses_dynamic_stack: false
    .vgpr_count:     0
    .vgpr_spill_count: 0
    .wavefront_size: 32
  - .args:
      - .offset:         0
        .size:           48
        .value_kind:     by_value
      - .offset:         48
        .size:           4
        .value_kind:     hidden_block_count_x
      - .offset:         52
        .size:           4
        .value_kind:     hidden_block_count_y
      - .offset:         56
        .size:           4
        .value_kind:     hidden_block_count_z
      - .offset:         60
        .size:           2
        .value_kind:     hidden_group_size_x
      - .offset:         62
        .size:           2
        .value_kind:     hidden_group_size_y
      - .offset:         64
        .size:           2
        .value_kind:     hidden_group_size_z
      - .offset:         66
        .size:           2
        .value_kind:     hidden_remainder_x
      - .offset:         68
        .size:           2
        .value_kind:     hidden_remainder_y
      - .offset:         70
        .size:           2
        .value_kind:     hidden_remainder_z
      - .offset:         88
        .size:           8
        .value_kind:     hidden_global_offset_x
      - .offset:         96
        .size:           8
        .value_kind:     hidden_global_offset_y
      - .offset:         104
        .size:           8
        .value_kind:     hidden_global_offset_z
      - .offset:         112
        .size:           2
        .value_kind:     hidden_grid_dims
    .group_segment_fixed_size: 8224
    .kernarg_segment_align: 8
    .kernarg_segment_size: 304
    .language:       OpenCL C
    .language_version:
      - 2
      - 0
    .max_flat_workgroup_size: 256
    .name:           _ZN7rocprim17ROCPRIM_400000_NS6detail17trampoline_kernelINS0_13kernel_configILj256ELj4ELj4294967295EEENS1_37radix_sort_block_sort_config_selectorIjNS0_10empty_typeEEEZNS1_21radix_sort_block_sortIS4_Lb0EPKjPjPS6_SC_NS0_19identity_decomposerEEE10hipError_tT1_T2_T3_T4_jRjT5_jjP12ihipStream_tbEUlT_E_NS1_11comp_targetILNS1_3genE0ELNS1_11target_archE4294967295ELNS1_3gpuE0ELNS1_3repE0EEENS1_44radix_sort_block_sort_config_static_selectorELNS0_4arch9wavefront6targetE0EEEvSF_
    .private_segment_fixed_size: 0
    .sgpr_count:     31
    .sgpr_spill_count: 0
    .symbol:         _ZN7rocprim17ROCPRIM_400000_NS6detail17trampoline_kernelINS0_13kernel_configILj256ELj4ELj4294967295EEENS1_37radix_sort_block_sort_config_selectorIjNS0_10empty_typeEEEZNS1_21radix_sort_block_sortIS4_Lb0EPKjPjPS6_SC_NS0_19identity_decomposerEEE10hipError_tT1_T2_T3_T4_jRjT5_jjP12ihipStream_tbEUlT_E_NS1_11comp_targetILNS1_3genE0ELNS1_11target_archE4294967295ELNS1_3gpuE0ELNS1_3repE0EEENS1_44radix_sort_block_sort_config_static_selectorELNS0_4arch9wavefront6targetE0EEEvSF_.kd
    .uniform_work_group_size: 1
    .uses_dynamic_stack: false
    .vgpr_count:     38
    .vgpr_spill_count: 0
    .wavefront_size: 32
  - .args:
      - .offset:         0
        .size:           48
        .value_kind:     by_value
    .group_segment_fixed_size: 0
    .kernarg_segment_align: 8
    .kernarg_segment_size: 48
    .language:       OpenCL C
    .language_version:
      - 2
      - 0
    .max_flat_workgroup_size: 256
    .name:           _ZN7rocprim17ROCPRIM_400000_NS6detail17trampoline_kernelINS0_13kernel_configILj256ELj4ELj4294967295EEENS1_37radix_sort_block_sort_config_selectorIjNS0_10empty_typeEEEZNS1_21radix_sort_block_sortIS4_Lb0EPKjPjPS6_SC_NS0_19identity_decomposerEEE10hipError_tT1_T2_T3_T4_jRjT5_jjP12ihipStream_tbEUlT_E_NS1_11comp_targetILNS1_3genE5ELNS1_11target_archE942ELNS1_3gpuE9ELNS1_3repE0EEENS1_44radix_sort_block_sort_config_static_selectorELNS0_4arch9wavefront6targetE0EEEvSF_
    .private_segment_fixed_size: 0
    .sgpr_count:     0
    .sgpr_spill_count: 0
    .symbol:         _ZN7rocprim17ROCPRIM_400000_NS6detail17trampoline_kernelINS0_13kernel_configILj256ELj4ELj4294967295EEENS1_37radix_sort_block_sort_config_selectorIjNS0_10empty_typeEEEZNS1_21radix_sort_block_sortIS4_Lb0EPKjPjPS6_SC_NS0_19identity_decomposerEEE10hipError_tT1_T2_T3_T4_jRjT5_jjP12ihipStream_tbEUlT_E_NS1_11comp_targetILNS1_3genE5ELNS1_11target_archE942ELNS1_3gpuE9ELNS1_3repE0EEENS1_44radix_sort_block_sort_config_static_selectorELNS0_4arch9wavefront6targetE0EEEvSF_.kd
    .uniform_work_group_size: 1
    .uses_dynamic_stack: false
    .vgpr_count:     0
    .vgpr_spill_count: 0
    .wavefront_size: 32
  - .args:
      - .offset:         0
        .size:           48
        .value_kind:     by_value
    .group_segment_fixed_size: 0
    .kernarg_segment_align: 8
    .kernarg_segment_size: 48
    .language:       OpenCL C
    .language_version:
      - 2
      - 0
    .max_flat_workgroup_size: 256
    .name:           _ZN7rocprim17ROCPRIM_400000_NS6detail17trampoline_kernelINS0_13kernel_configILj256ELj4ELj4294967295EEENS1_37radix_sort_block_sort_config_selectorIjNS0_10empty_typeEEEZNS1_21radix_sort_block_sortIS4_Lb0EPKjPjPS6_SC_NS0_19identity_decomposerEEE10hipError_tT1_T2_T3_T4_jRjT5_jjP12ihipStream_tbEUlT_E_NS1_11comp_targetILNS1_3genE4ELNS1_11target_archE910ELNS1_3gpuE8ELNS1_3repE0EEENS1_44radix_sort_block_sort_config_static_selectorELNS0_4arch9wavefront6targetE0EEEvSF_
    .private_segment_fixed_size: 0
    .sgpr_count:     0
    .sgpr_spill_count: 0
    .symbol:         _ZN7rocprim17ROCPRIM_400000_NS6detail17trampoline_kernelINS0_13kernel_configILj256ELj4ELj4294967295EEENS1_37radix_sort_block_sort_config_selectorIjNS0_10empty_typeEEEZNS1_21radix_sort_block_sortIS4_Lb0EPKjPjPS6_SC_NS0_19identity_decomposerEEE10hipError_tT1_T2_T3_T4_jRjT5_jjP12ihipStream_tbEUlT_E_NS1_11comp_targetILNS1_3genE4ELNS1_11target_archE910ELNS1_3gpuE8ELNS1_3repE0EEENS1_44radix_sort_block_sort_config_static_selectorELNS0_4arch9wavefront6targetE0EEEvSF_.kd
    .uniform_work_group_size: 1
    .uses_dynamic_stack: false
    .vgpr_count:     0
    .vgpr_spill_count: 0
    .wavefront_size: 32
  - .args:
      - .offset:         0
        .size:           48
        .value_kind:     by_value
    .group_segment_fixed_size: 0
    .kernarg_segment_align: 8
    .kernarg_segment_size: 48
    .language:       OpenCL C
    .language_version:
      - 2
      - 0
    .max_flat_workgroup_size: 256
    .name:           _ZN7rocprim17ROCPRIM_400000_NS6detail17trampoline_kernelINS0_13kernel_configILj256ELj4ELj4294967295EEENS1_37radix_sort_block_sort_config_selectorIjNS0_10empty_typeEEEZNS1_21radix_sort_block_sortIS4_Lb0EPKjPjPS6_SC_NS0_19identity_decomposerEEE10hipError_tT1_T2_T3_T4_jRjT5_jjP12ihipStream_tbEUlT_E_NS1_11comp_targetILNS1_3genE3ELNS1_11target_archE908ELNS1_3gpuE7ELNS1_3repE0EEENS1_44radix_sort_block_sort_config_static_selectorELNS0_4arch9wavefront6targetE0EEEvSF_
    .private_segment_fixed_size: 0
    .sgpr_count:     0
    .sgpr_spill_count: 0
    .symbol:         _ZN7rocprim17ROCPRIM_400000_NS6detail17trampoline_kernelINS0_13kernel_configILj256ELj4ELj4294967295EEENS1_37radix_sort_block_sort_config_selectorIjNS0_10empty_typeEEEZNS1_21radix_sort_block_sortIS4_Lb0EPKjPjPS6_SC_NS0_19identity_decomposerEEE10hipError_tT1_T2_T3_T4_jRjT5_jjP12ihipStream_tbEUlT_E_NS1_11comp_targetILNS1_3genE3ELNS1_11target_archE908ELNS1_3gpuE7ELNS1_3repE0EEENS1_44radix_sort_block_sort_config_static_selectorELNS0_4arch9wavefront6targetE0EEEvSF_.kd
    .uniform_work_group_size: 1
    .uses_dynamic_stack: false
    .vgpr_count:     0
    .vgpr_spill_count: 0
    .wavefront_size: 32
  - .args:
      - .offset:         0
        .size:           48
        .value_kind:     by_value
    .group_segment_fixed_size: 0
    .kernarg_segment_align: 8
    .kernarg_segment_size: 48
    .language:       OpenCL C
    .language_version:
      - 2
      - 0
    .max_flat_workgroup_size: 256
    .name:           _ZN7rocprim17ROCPRIM_400000_NS6detail17trampoline_kernelINS0_13kernel_configILj256ELj4ELj4294967295EEENS1_37radix_sort_block_sort_config_selectorIjNS0_10empty_typeEEEZNS1_21radix_sort_block_sortIS4_Lb0EPKjPjPS6_SC_NS0_19identity_decomposerEEE10hipError_tT1_T2_T3_T4_jRjT5_jjP12ihipStream_tbEUlT_E_NS1_11comp_targetILNS1_3genE2ELNS1_11target_archE906ELNS1_3gpuE6ELNS1_3repE0EEENS1_44radix_sort_block_sort_config_static_selectorELNS0_4arch9wavefront6targetE0EEEvSF_
    .private_segment_fixed_size: 0
    .sgpr_count:     0
    .sgpr_spill_count: 0
    .symbol:         _ZN7rocprim17ROCPRIM_400000_NS6detail17trampoline_kernelINS0_13kernel_configILj256ELj4ELj4294967295EEENS1_37radix_sort_block_sort_config_selectorIjNS0_10empty_typeEEEZNS1_21radix_sort_block_sortIS4_Lb0EPKjPjPS6_SC_NS0_19identity_decomposerEEE10hipError_tT1_T2_T3_T4_jRjT5_jjP12ihipStream_tbEUlT_E_NS1_11comp_targetILNS1_3genE2ELNS1_11target_archE906ELNS1_3gpuE6ELNS1_3repE0EEENS1_44radix_sort_block_sort_config_static_selectorELNS0_4arch9wavefront6targetE0EEEvSF_.kd
    .uniform_work_group_size: 1
    .uses_dynamic_stack: false
    .vgpr_count:     0
    .vgpr_spill_count: 0
    .wavefront_size: 32
  - .args:
      - .offset:         0
        .size:           48
        .value_kind:     by_value
    .group_segment_fixed_size: 0
    .kernarg_segment_align: 8
    .kernarg_segment_size: 48
    .language:       OpenCL C
    .language_version:
      - 2
      - 0
    .max_flat_workgroup_size: 256
    .name:           _ZN7rocprim17ROCPRIM_400000_NS6detail17trampoline_kernelINS0_13kernel_configILj256ELj4ELj4294967295EEENS1_37radix_sort_block_sort_config_selectorIjNS0_10empty_typeEEEZNS1_21radix_sort_block_sortIS4_Lb0EPKjPjPS6_SC_NS0_19identity_decomposerEEE10hipError_tT1_T2_T3_T4_jRjT5_jjP12ihipStream_tbEUlT_E_NS1_11comp_targetILNS1_3genE10ELNS1_11target_archE1201ELNS1_3gpuE5ELNS1_3repE0EEENS1_44radix_sort_block_sort_config_static_selectorELNS0_4arch9wavefront6targetE0EEEvSF_
    .private_segment_fixed_size: 0
    .sgpr_count:     0
    .sgpr_spill_count: 0
    .symbol:         _ZN7rocprim17ROCPRIM_400000_NS6detail17trampoline_kernelINS0_13kernel_configILj256ELj4ELj4294967295EEENS1_37radix_sort_block_sort_config_selectorIjNS0_10empty_typeEEEZNS1_21radix_sort_block_sortIS4_Lb0EPKjPjPS6_SC_NS0_19identity_decomposerEEE10hipError_tT1_T2_T3_T4_jRjT5_jjP12ihipStream_tbEUlT_E_NS1_11comp_targetILNS1_3genE10ELNS1_11target_archE1201ELNS1_3gpuE5ELNS1_3repE0EEENS1_44radix_sort_block_sort_config_static_selectorELNS0_4arch9wavefront6targetE0EEEvSF_.kd
    .uniform_work_group_size: 1
    .uses_dynamic_stack: false
    .vgpr_count:     0
    .vgpr_spill_count: 0
    .wavefront_size: 32
  - .args:
      - .offset:         0
        .size:           48
        .value_kind:     by_value
    .group_segment_fixed_size: 0
    .kernarg_segment_align: 8
    .kernarg_segment_size: 48
    .language:       OpenCL C
    .language_version:
      - 2
      - 0
    .max_flat_workgroup_size: 256
    .name:           _ZN7rocprim17ROCPRIM_400000_NS6detail17trampoline_kernelINS0_13kernel_configILj256ELj4ELj4294967295EEENS1_37radix_sort_block_sort_config_selectorIjNS0_10empty_typeEEEZNS1_21radix_sort_block_sortIS4_Lb0EPKjPjPS6_SC_NS0_19identity_decomposerEEE10hipError_tT1_T2_T3_T4_jRjT5_jjP12ihipStream_tbEUlT_E_NS1_11comp_targetILNS1_3genE10ELNS1_11target_archE1200ELNS1_3gpuE4ELNS1_3repE0EEENS1_44radix_sort_block_sort_config_static_selectorELNS0_4arch9wavefront6targetE0EEEvSF_
    .private_segment_fixed_size: 0
    .sgpr_count:     0
    .sgpr_spill_count: 0
    .symbol:         _ZN7rocprim17ROCPRIM_400000_NS6detail17trampoline_kernelINS0_13kernel_configILj256ELj4ELj4294967295EEENS1_37radix_sort_block_sort_config_selectorIjNS0_10empty_typeEEEZNS1_21radix_sort_block_sortIS4_Lb0EPKjPjPS6_SC_NS0_19identity_decomposerEEE10hipError_tT1_T2_T3_T4_jRjT5_jjP12ihipStream_tbEUlT_E_NS1_11comp_targetILNS1_3genE10ELNS1_11target_archE1200ELNS1_3gpuE4ELNS1_3repE0EEENS1_44radix_sort_block_sort_config_static_selectorELNS0_4arch9wavefront6targetE0EEEvSF_.kd
    .uniform_work_group_size: 1
    .uses_dynamic_stack: false
    .vgpr_count:     0
    .vgpr_spill_count: 0
    .wavefront_size: 32
  - .args:
      - .offset:         0
        .size:           48
        .value_kind:     by_value
    .group_segment_fixed_size: 0
    .kernarg_segment_align: 8
    .kernarg_segment_size: 48
    .language:       OpenCL C
    .language_version:
      - 2
      - 0
    .max_flat_workgroup_size: 256
    .name:           _ZN7rocprim17ROCPRIM_400000_NS6detail17trampoline_kernelINS0_13kernel_configILj256ELj4ELj4294967295EEENS1_37radix_sort_block_sort_config_selectorIjNS0_10empty_typeEEEZNS1_21radix_sort_block_sortIS4_Lb0EPKjPjPS6_SC_NS0_19identity_decomposerEEE10hipError_tT1_T2_T3_T4_jRjT5_jjP12ihipStream_tbEUlT_E_NS1_11comp_targetILNS1_3genE9ELNS1_11target_archE1100ELNS1_3gpuE3ELNS1_3repE0EEENS1_44radix_sort_block_sort_config_static_selectorELNS0_4arch9wavefront6targetE0EEEvSF_
    .private_segment_fixed_size: 0
    .sgpr_count:     0
    .sgpr_spill_count: 0
    .symbol:         _ZN7rocprim17ROCPRIM_400000_NS6detail17trampoline_kernelINS0_13kernel_configILj256ELj4ELj4294967295EEENS1_37radix_sort_block_sort_config_selectorIjNS0_10empty_typeEEEZNS1_21radix_sort_block_sortIS4_Lb0EPKjPjPS6_SC_NS0_19identity_decomposerEEE10hipError_tT1_T2_T3_T4_jRjT5_jjP12ihipStream_tbEUlT_E_NS1_11comp_targetILNS1_3genE9ELNS1_11target_archE1100ELNS1_3gpuE3ELNS1_3repE0EEENS1_44radix_sort_block_sort_config_static_selectorELNS0_4arch9wavefront6targetE0EEEvSF_.kd
    .uniform_work_group_size: 1
    .uses_dynamic_stack: false
    .vgpr_count:     0
    .vgpr_spill_count: 0
    .wavefront_size: 32
  - .args:
      - .offset:         0
        .size:           48
        .value_kind:     by_value
    .group_segment_fixed_size: 0
    .kernarg_segment_align: 8
    .kernarg_segment_size: 48
    .language:       OpenCL C
    .language_version:
      - 2
      - 0
    .max_flat_workgroup_size: 256
    .name:           _ZN7rocprim17ROCPRIM_400000_NS6detail17trampoline_kernelINS0_13kernel_configILj256ELj4ELj4294967295EEENS1_37radix_sort_block_sort_config_selectorIjNS0_10empty_typeEEEZNS1_21radix_sort_block_sortIS4_Lb0EPKjPjPS6_SC_NS0_19identity_decomposerEEE10hipError_tT1_T2_T3_T4_jRjT5_jjP12ihipStream_tbEUlT_E_NS1_11comp_targetILNS1_3genE8ELNS1_11target_archE1030ELNS1_3gpuE2ELNS1_3repE0EEENS1_44radix_sort_block_sort_config_static_selectorELNS0_4arch9wavefront6targetE0EEEvSF_
    .private_segment_fixed_size: 0
    .sgpr_count:     0
    .sgpr_spill_count: 0
    .symbol:         _ZN7rocprim17ROCPRIM_400000_NS6detail17trampoline_kernelINS0_13kernel_configILj256ELj4ELj4294967295EEENS1_37radix_sort_block_sort_config_selectorIjNS0_10empty_typeEEEZNS1_21radix_sort_block_sortIS4_Lb0EPKjPjPS6_SC_NS0_19identity_decomposerEEE10hipError_tT1_T2_T3_T4_jRjT5_jjP12ihipStream_tbEUlT_E_NS1_11comp_targetILNS1_3genE8ELNS1_11target_archE1030ELNS1_3gpuE2ELNS1_3repE0EEENS1_44radix_sort_block_sort_config_static_selectorELNS0_4arch9wavefront6targetE0EEEvSF_.kd
    .uniform_work_group_size: 1
    .uses_dynamic_stack: false
    .vgpr_count:     0
    .vgpr_spill_count: 0
    .wavefront_size: 32
  - .args:
      - .offset:         0
        .size:           40
        .value_kind:     by_value
    .group_segment_fixed_size: 0
    .kernarg_segment_align: 8
    .kernarg_segment_size: 40
    .language:       OpenCL C
    .language_version:
      - 2
      - 0
    .max_flat_workgroup_size: 128
    .name:           _ZN7rocprim17ROCPRIM_400000_NS6detail17trampoline_kernelINS0_14default_configENS1_38merge_sort_block_merge_config_selectorIjNS0_10empty_typeEEEZZNS1_27merge_sort_block_merge_implIS3_PjPS5_jNS1_19radix_merge_compareILb0ELb0EjNS0_19identity_decomposerEEEEE10hipError_tT0_T1_T2_jT3_P12ihipStream_tbPNSt15iterator_traitsISE_E10value_typeEPNSK_ISF_E10value_typeEPSG_NS1_7vsmem_tEENKUlT_SE_SF_SG_E_clIS8_S8_S9_S9_EESD_ST_SE_SF_SG_EUlST_E_NS1_11comp_targetILNS1_3genE0ELNS1_11target_archE4294967295ELNS1_3gpuE0ELNS1_3repE0EEENS1_48merge_mergepath_partition_config_static_selectorELNS0_4arch9wavefront6targetE0EEEvSF_
    .private_segment_fixed_size: 0
    .sgpr_count:     8
    .sgpr_spill_count: 0
    .symbol:         _ZN7rocprim17ROCPRIM_400000_NS6detail17trampoline_kernelINS0_14default_configENS1_38merge_sort_block_merge_config_selectorIjNS0_10empty_typeEEEZZNS1_27merge_sort_block_merge_implIS3_PjPS5_jNS1_19radix_merge_compareILb0ELb0EjNS0_19identity_decomposerEEEEE10hipError_tT0_T1_T2_jT3_P12ihipStream_tbPNSt15iterator_traitsISE_E10value_typeEPNSK_ISF_E10value_typeEPSG_NS1_7vsmem_tEENKUlT_SE_SF_SG_E_clIS8_S8_S9_S9_EESD_ST_SE_SF_SG_EUlST_E_NS1_11comp_targetILNS1_3genE0ELNS1_11target_archE4294967295ELNS1_3gpuE0ELNS1_3repE0EEENS1_48merge_mergepath_partition_config_static_selectorELNS0_4arch9wavefront6targetE0EEEvSF_.kd
    .uniform_work_group_size: 1
    .uses_dynamic_stack: false
    .vgpr_count:     17
    .vgpr_spill_count: 0
    .wavefront_size: 32
  - .args:
      - .offset:         0
        .size:           40
        .value_kind:     by_value
    .group_segment_fixed_size: 0
    .kernarg_segment_align: 8
    .kernarg_segment_size: 40
    .language:       OpenCL C
    .language_version:
      - 2
      - 0
    .max_flat_workgroup_size: 128
    .name:           _ZN7rocprim17ROCPRIM_400000_NS6detail17trampoline_kernelINS0_14default_configENS1_38merge_sort_block_merge_config_selectorIjNS0_10empty_typeEEEZZNS1_27merge_sort_block_merge_implIS3_PjPS5_jNS1_19radix_merge_compareILb0ELb0EjNS0_19identity_decomposerEEEEE10hipError_tT0_T1_T2_jT3_P12ihipStream_tbPNSt15iterator_traitsISE_E10value_typeEPNSK_ISF_E10value_typeEPSG_NS1_7vsmem_tEENKUlT_SE_SF_SG_E_clIS8_S8_S9_S9_EESD_ST_SE_SF_SG_EUlST_E_NS1_11comp_targetILNS1_3genE10ELNS1_11target_archE1201ELNS1_3gpuE5ELNS1_3repE0EEENS1_48merge_mergepath_partition_config_static_selectorELNS0_4arch9wavefront6targetE0EEEvSF_
    .private_segment_fixed_size: 0
    .sgpr_count:     0
    .sgpr_spill_count: 0
    .symbol:         _ZN7rocprim17ROCPRIM_400000_NS6detail17trampoline_kernelINS0_14default_configENS1_38merge_sort_block_merge_config_selectorIjNS0_10empty_typeEEEZZNS1_27merge_sort_block_merge_implIS3_PjPS5_jNS1_19radix_merge_compareILb0ELb0EjNS0_19identity_decomposerEEEEE10hipError_tT0_T1_T2_jT3_P12ihipStream_tbPNSt15iterator_traitsISE_E10value_typeEPNSK_ISF_E10value_typeEPSG_NS1_7vsmem_tEENKUlT_SE_SF_SG_E_clIS8_S8_S9_S9_EESD_ST_SE_SF_SG_EUlST_E_NS1_11comp_targetILNS1_3genE10ELNS1_11target_archE1201ELNS1_3gpuE5ELNS1_3repE0EEENS1_48merge_mergepath_partition_config_static_selectorELNS0_4arch9wavefront6targetE0EEEvSF_.kd
    .uniform_work_group_size: 1
    .uses_dynamic_stack: false
    .vgpr_count:     0
    .vgpr_spill_count: 0
    .wavefront_size: 32
  - .args:
      - .offset:         0
        .size:           40
        .value_kind:     by_value
    .group_segment_fixed_size: 0
    .kernarg_segment_align: 8
    .kernarg_segment_size: 40
    .language:       OpenCL C
    .language_version:
      - 2
      - 0
    .max_flat_workgroup_size: 128
    .name:           _ZN7rocprim17ROCPRIM_400000_NS6detail17trampoline_kernelINS0_14default_configENS1_38merge_sort_block_merge_config_selectorIjNS0_10empty_typeEEEZZNS1_27merge_sort_block_merge_implIS3_PjPS5_jNS1_19radix_merge_compareILb0ELb0EjNS0_19identity_decomposerEEEEE10hipError_tT0_T1_T2_jT3_P12ihipStream_tbPNSt15iterator_traitsISE_E10value_typeEPNSK_ISF_E10value_typeEPSG_NS1_7vsmem_tEENKUlT_SE_SF_SG_E_clIS8_S8_S9_S9_EESD_ST_SE_SF_SG_EUlST_E_NS1_11comp_targetILNS1_3genE5ELNS1_11target_archE942ELNS1_3gpuE9ELNS1_3repE0EEENS1_48merge_mergepath_partition_config_static_selectorELNS0_4arch9wavefront6targetE0EEEvSF_
    .private_segment_fixed_size: 0
    .sgpr_count:     0
    .sgpr_spill_count: 0
    .symbol:         _ZN7rocprim17ROCPRIM_400000_NS6detail17trampoline_kernelINS0_14default_configENS1_38merge_sort_block_merge_config_selectorIjNS0_10empty_typeEEEZZNS1_27merge_sort_block_merge_implIS3_PjPS5_jNS1_19radix_merge_compareILb0ELb0EjNS0_19identity_decomposerEEEEE10hipError_tT0_T1_T2_jT3_P12ihipStream_tbPNSt15iterator_traitsISE_E10value_typeEPNSK_ISF_E10value_typeEPSG_NS1_7vsmem_tEENKUlT_SE_SF_SG_E_clIS8_S8_S9_S9_EESD_ST_SE_SF_SG_EUlST_E_NS1_11comp_targetILNS1_3genE5ELNS1_11target_archE942ELNS1_3gpuE9ELNS1_3repE0EEENS1_48merge_mergepath_partition_config_static_selectorELNS0_4arch9wavefront6targetE0EEEvSF_.kd
    .uniform_work_group_size: 1
    .uses_dynamic_stack: false
    .vgpr_count:     0
    .vgpr_spill_count: 0
    .wavefront_size: 32
  - .args:
      - .offset:         0
        .size:           40
        .value_kind:     by_value
    .group_segment_fixed_size: 0
    .kernarg_segment_align: 8
    .kernarg_segment_size: 40
    .language:       OpenCL C
    .language_version:
      - 2
      - 0
    .max_flat_workgroup_size: 128
    .name:           _ZN7rocprim17ROCPRIM_400000_NS6detail17trampoline_kernelINS0_14default_configENS1_38merge_sort_block_merge_config_selectorIjNS0_10empty_typeEEEZZNS1_27merge_sort_block_merge_implIS3_PjPS5_jNS1_19radix_merge_compareILb0ELb0EjNS0_19identity_decomposerEEEEE10hipError_tT0_T1_T2_jT3_P12ihipStream_tbPNSt15iterator_traitsISE_E10value_typeEPNSK_ISF_E10value_typeEPSG_NS1_7vsmem_tEENKUlT_SE_SF_SG_E_clIS8_S8_S9_S9_EESD_ST_SE_SF_SG_EUlST_E_NS1_11comp_targetILNS1_3genE4ELNS1_11target_archE910ELNS1_3gpuE8ELNS1_3repE0EEENS1_48merge_mergepath_partition_config_static_selectorELNS0_4arch9wavefront6targetE0EEEvSF_
    .private_segment_fixed_size: 0
    .sgpr_count:     0
    .sgpr_spill_count: 0
    .symbol:         _ZN7rocprim17ROCPRIM_400000_NS6detail17trampoline_kernelINS0_14default_configENS1_38merge_sort_block_merge_config_selectorIjNS0_10empty_typeEEEZZNS1_27merge_sort_block_merge_implIS3_PjPS5_jNS1_19radix_merge_compareILb0ELb0EjNS0_19identity_decomposerEEEEE10hipError_tT0_T1_T2_jT3_P12ihipStream_tbPNSt15iterator_traitsISE_E10value_typeEPNSK_ISF_E10value_typeEPSG_NS1_7vsmem_tEENKUlT_SE_SF_SG_E_clIS8_S8_S9_S9_EESD_ST_SE_SF_SG_EUlST_E_NS1_11comp_targetILNS1_3genE4ELNS1_11target_archE910ELNS1_3gpuE8ELNS1_3repE0EEENS1_48merge_mergepath_partition_config_static_selectorELNS0_4arch9wavefront6targetE0EEEvSF_.kd
    .uniform_work_group_size: 1
    .uses_dynamic_stack: false
    .vgpr_count:     0
    .vgpr_spill_count: 0
    .wavefront_size: 32
  - .args:
      - .offset:         0
        .size:           40
        .value_kind:     by_value
    .group_segment_fixed_size: 0
    .kernarg_segment_align: 8
    .kernarg_segment_size: 40
    .language:       OpenCL C
    .language_version:
      - 2
      - 0
    .max_flat_workgroup_size: 128
    .name:           _ZN7rocprim17ROCPRIM_400000_NS6detail17trampoline_kernelINS0_14default_configENS1_38merge_sort_block_merge_config_selectorIjNS0_10empty_typeEEEZZNS1_27merge_sort_block_merge_implIS3_PjPS5_jNS1_19radix_merge_compareILb0ELb0EjNS0_19identity_decomposerEEEEE10hipError_tT0_T1_T2_jT3_P12ihipStream_tbPNSt15iterator_traitsISE_E10value_typeEPNSK_ISF_E10value_typeEPSG_NS1_7vsmem_tEENKUlT_SE_SF_SG_E_clIS8_S8_S9_S9_EESD_ST_SE_SF_SG_EUlST_E_NS1_11comp_targetILNS1_3genE3ELNS1_11target_archE908ELNS1_3gpuE7ELNS1_3repE0EEENS1_48merge_mergepath_partition_config_static_selectorELNS0_4arch9wavefront6targetE0EEEvSF_
    .private_segment_fixed_size: 0
    .sgpr_count:     0
    .sgpr_spill_count: 0
    .symbol:         _ZN7rocprim17ROCPRIM_400000_NS6detail17trampoline_kernelINS0_14default_configENS1_38merge_sort_block_merge_config_selectorIjNS0_10empty_typeEEEZZNS1_27merge_sort_block_merge_implIS3_PjPS5_jNS1_19radix_merge_compareILb0ELb0EjNS0_19identity_decomposerEEEEE10hipError_tT0_T1_T2_jT3_P12ihipStream_tbPNSt15iterator_traitsISE_E10value_typeEPNSK_ISF_E10value_typeEPSG_NS1_7vsmem_tEENKUlT_SE_SF_SG_E_clIS8_S8_S9_S9_EESD_ST_SE_SF_SG_EUlST_E_NS1_11comp_targetILNS1_3genE3ELNS1_11target_archE908ELNS1_3gpuE7ELNS1_3repE0EEENS1_48merge_mergepath_partition_config_static_selectorELNS0_4arch9wavefront6targetE0EEEvSF_.kd
    .uniform_work_group_size: 1
    .uses_dynamic_stack: false
    .vgpr_count:     0
    .vgpr_spill_count: 0
    .wavefront_size: 32
  - .args:
      - .offset:         0
        .size:           40
        .value_kind:     by_value
    .group_segment_fixed_size: 0
    .kernarg_segment_align: 8
    .kernarg_segment_size: 40
    .language:       OpenCL C
    .language_version:
      - 2
      - 0
    .max_flat_workgroup_size: 128
    .name:           _ZN7rocprim17ROCPRIM_400000_NS6detail17trampoline_kernelINS0_14default_configENS1_38merge_sort_block_merge_config_selectorIjNS0_10empty_typeEEEZZNS1_27merge_sort_block_merge_implIS3_PjPS5_jNS1_19radix_merge_compareILb0ELb0EjNS0_19identity_decomposerEEEEE10hipError_tT0_T1_T2_jT3_P12ihipStream_tbPNSt15iterator_traitsISE_E10value_typeEPNSK_ISF_E10value_typeEPSG_NS1_7vsmem_tEENKUlT_SE_SF_SG_E_clIS8_S8_S9_S9_EESD_ST_SE_SF_SG_EUlST_E_NS1_11comp_targetILNS1_3genE2ELNS1_11target_archE906ELNS1_3gpuE6ELNS1_3repE0EEENS1_48merge_mergepath_partition_config_static_selectorELNS0_4arch9wavefront6targetE0EEEvSF_
    .private_segment_fixed_size: 0
    .sgpr_count:     0
    .sgpr_spill_count: 0
    .symbol:         _ZN7rocprim17ROCPRIM_400000_NS6detail17trampoline_kernelINS0_14default_configENS1_38merge_sort_block_merge_config_selectorIjNS0_10empty_typeEEEZZNS1_27merge_sort_block_merge_implIS3_PjPS5_jNS1_19radix_merge_compareILb0ELb0EjNS0_19identity_decomposerEEEEE10hipError_tT0_T1_T2_jT3_P12ihipStream_tbPNSt15iterator_traitsISE_E10value_typeEPNSK_ISF_E10value_typeEPSG_NS1_7vsmem_tEENKUlT_SE_SF_SG_E_clIS8_S8_S9_S9_EESD_ST_SE_SF_SG_EUlST_E_NS1_11comp_targetILNS1_3genE2ELNS1_11target_archE906ELNS1_3gpuE6ELNS1_3repE0EEENS1_48merge_mergepath_partition_config_static_selectorELNS0_4arch9wavefront6targetE0EEEvSF_.kd
    .uniform_work_group_size: 1
    .uses_dynamic_stack: false
    .vgpr_count:     0
    .vgpr_spill_count: 0
    .wavefront_size: 32
  - .args:
      - .offset:         0
        .size:           40
        .value_kind:     by_value
    .group_segment_fixed_size: 0
    .kernarg_segment_align: 8
    .kernarg_segment_size: 40
    .language:       OpenCL C
    .language_version:
      - 2
      - 0
    .max_flat_workgroup_size: 128
    .name:           _ZN7rocprim17ROCPRIM_400000_NS6detail17trampoline_kernelINS0_14default_configENS1_38merge_sort_block_merge_config_selectorIjNS0_10empty_typeEEEZZNS1_27merge_sort_block_merge_implIS3_PjPS5_jNS1_19radix_merge_compareILb0ELb0EjNS0_19identity_decomposerEEEEE10hipError_tT0_T1_T2_jT3_P12ihipStream_tbPNSt15iterator_traitsISE_E10value_typeEPNSK_ISF_E10value_typeEPSG_NS1_7vsmem_tEENKUlT_SE_SF_SG_E_clIS8_S8_S9_S9_EESD_ST_SE_SF_SG_EUlST_E_NS1_11comp_targetILNS1_3genE9ELNS1_11target_archE1100ELNS1_3gpuE3ELNS1_3repE0EEENS1_48merge_mergepath_partition_config_static_selectorELNS0_4arch9wavefront6targetE0EEEvSF_
    .private_segment_fixed_size: 0
    .sgpr_count:     0
    .sgpr_spill_count: 0
    .symbol:         _ZN7rocprim17ROCPRIM_400000_NS6detail17trampoline_kernelINS0_14default_configENS1_38merge_sort_block_merge_config_selectorIjNS0_10empty_typeEEEZZNS1_27merge_sort_block_merge_implIS3_PjPS5_jNS1_19radix_merge_compareILb0ELb0EjNS0_19identity_decomposerEEEEE10hipError_tT0_T1_T2_jT3_P12ihipStream_tbPNSt15iterator_traitsISE_E10value_typeEPNSK_ISF_E10value_typeEPSG_NS1_7vsmem_tEENKUlT_SE_SF_SG_E_clIS8_S8_S9_S9_EESD_ST_SE_SF_SG_EUlST_E_NS1_11comp_targetILNS1_3genE9ELNS1_11target_archE1100ELNS1_3gpuE3ELNS1_3repE0EEENS1_48merge_mergepath_partition_config_static_selectorELNS0_4arch9wavefront6targetE0EEEvSF_.kd
    .uniform_work_group_size: 1
    .uses_dynamic_stack: false
    .vgpr_count:     0
    .vgpr_spill_count: 0
    .wavefront_size: 32
  - .args:
      - .offset:         0
        .size:           40
        .value_kind:     by_value
    .group_segment_fixed_size: 0
    .kernarg_segment_align: 8
    .kernarg_segment_size: 40
    .language:       OpenCL C
    .language_version:
      - 2
      - 0
    .max_flat_workgroup_size: 128
    .name:           _ZN7rocprim17ROCPRIM_400000_NS6detail17trampoline_kernelINS0_14default_configENS1_38merge_sort_block_merge_config_selectorIjNS0_10empty_typeEEEZZNS1_27merge_sort_block_merge_implIS3_PjPS5_jNS1_19radix_merge_compareILb0ELb0EjNS0_19identity_decomposerEEEEE10hipError_tT0_T1_T2_jT3_P12ihipStream_tbPNSt15iterator_traitsISE_E10value_typeEPNSK_ISF_E10value_typeEPSG_NS1_7vsmem_tEENKUlT_SE_SF_SG_E_clIS8_S8_S9_S9_EESD_ST_SE_SF_SG_EUlST_E_NS1_11comp_targetILNS1_3genE8ELNS1_11target_archE1030ELNS1_3gpuE2ELNS1_3repE0EEENS1_48merge_mergepath_partition_config_static_selectorELNS0_4arch9wavefront6targetE0EEEvSF_
    .private_segment_fixed_size: 0
    .sgpr_count:     0
    .sgpr_spill_count: 0
    .symbol:         _ZN7rocprim17ROCPRIM_400000_NS6detail17trampoline_kernelINS0_14default_configENS1_38merge_sort_block_merge_config_selectorIjNS0_10empty_typeEEEZZNS1_27merge_sort_block_merge_implIS3_PjPS5_jNS1_19radix_merge_compareILb0ELb0EjNS0_19identity_decomposerEEEEE10hipError_tT0_T1_T2_jT3_P12ihipStream_tbPNSt15iterator_traitsISE_E10value_typeEPNSK_ISF_E10value_typeEPSG_NS1_7vsmem_tEENKUlT_SE_SF_SG_E_clIS8_S8_S9_S9_EESD_ST_SE_SF_SG_EUlST_E_NS1_11comp_targetILNS1_3genE8ELNS1_11target_archE1030ELNS1_3gpuE2ELNS1_3repE0EEENS1_48merge_mergepath_partition_config_static_selectorELNS0_4arch9wavefront6targetE0EEEvSF_.kd
    .uniform_work_group_size: 1
    .uses_dynamic_stack: false
    .vgpr_count:     0
    .vgpr_spill_count: 0
    .wavefront_size: 32
  - .args:
      - .offset:         0
        .size:           64
        .value_kind:     by_value
      - .offset:         64
        .size:           4
        .value_kind:     hidden_block_count_x
      - .offset:         68
        .size:           4
        .value_kind:     hidden_block_count_y
      - .offset:         72
        .size:           4
        .value_kind:     hidden_block_count_z
      - .offset:         76
        .size:           2
        .value_kind:     hidden_group_size_x
      - .offset:         78
        .size:           2
        .value_kind:     hidden_group_size_y
      - .offset:         80
        .size:           2
        .value_kind:     hidden_group_size_z
      - .offset:         82
        .size:           2
        .value_kind:     hidden_remainder_x
      - .offset:         84
        .size:           2
        .value_kind:     hidden_remainder_y
      - .offset:         86
        .size:           2
        .value_kind:     hidden_remainder_z
      - .offset:         104
        .size:           8
        .value_kind:     hidden_global_offset_x
      - .offset:         112
        .size:           8
        .value_kind:     hidden_global_offset_y
      - .offset:         120
        .size:           8
        .value_kind:     hidden_global_offset_z
      - .offset:         128
        .size:           2
        .value_kind:     hidden_grid_dims
    .group_segment_fixed_size: 4224
    .kernarg_segment_align: 8
    .kernarg_segment_size: 320
    .language:       OpenCL C
    .language_version:
      - 2
      - 0
    .max_flat_workgroup_size: 128
    .name:           _ZN7rocprim17ROCPRIM_400000_NS6detail17trampoline_kernelINS0_14default_configENS1_38merge_sort_block_merge_config_selectorIjNS0_10empty_typeEEEZZNS1_27merge_sort_block_merge_implIS3_PjPS5_jNS1_19radix_merge_compareILb0ELb0EjNS0_19identity_decomposerEEEEE10hipError_tT0_T1_T2_jT3_P12ihipStream_tbPNSt15iterator_traitsISE_E10value_typeEPNSK_ISF_E10value_typeEPSG_NS1_7vsmem_tEENKUlT_SE_SF_SG_E_clIS8_S8_S9_S9_EESD_ST_SE_SF_SG_EUlST_E0_NS1_11comp_targetILNS1_3genE0ELNS1_11target_archE4294967295ELNS1_3gpuE0ELNS1_3repE0EEENS1_38merge_mergepath_config_static_selectorELNS0_4arch9wavefront6targetE0EEEvSF_
    .private_segment_fixed_size: 0
    .sgpr_count:     25
    .sgpr_spill_count: 0
    .symbol:         _ZN7rocprim17ROCPRIM_400000_NS6detail17trampoline_kernelINS0_14default_configENS1_38merge_sort_block_merge_config_selectorIjNS0_10empty_typeEEEZZNS1_27merge_sort_block_merge_implIS3_PjPS5_jNS1_19radix_merge_compareILb0ELb0EjNS0_19identity_decomposerEEEEE10hipError_tT0_T1_T2_jT3_P12ihipStream_tbPNSt15iterator_traitsISE_E10value_typeEPNSK_ISF_E10value_typeEPSG_NS1_7vsmem_tEENKUlT_SE_SF_SG_E_clIS8_S8_S9_S9_EESD_ST_SE_SF_SG_EUlST_E0_NS1_11comp_targetILNS1_3genE0ELNS1_11target_archE4294967295ELNS1_3gpuE0ELNS1_3repE0EEENS1_38merge_mergepath_config_static_selectorELNS0_4arch9wavefront6targetE0EEEvSF_.kd
    .uniform_work_group_size: 1
    .uses_dynamic_stack: false
    .vgpr_count:     32
    .vgpr_spill_count: 0
    .wavefront_size: 32
  - .args:
      - .offset:         0
        .size:           64
        .value_kind:     by_value
    .group_segment_fixed_size: 0
    .kernarg_segment_align: 8
    .kernarg_segment_size: 64
    .language:       OpenCL C
    .language_version:
      - 2
      - 0
    .max_flat_workgroup_size: 256
    .name:           _ZN7rocprim17ROCPRIM_400000_NS6detail17trampoline_kernelINS0_14default_configENS1_38merge_sort_block_merge_config_selectorIjNS0_10empty_typeEEEZZNS1_27merge_sort_block_merge_implIS3_PjPS5_jNS1_19radix_merge_compareILb0ELb0EjNS0_19identity_decomposerEEEEE10hipError_tT0_T1_T2_jT3_P12ihipStream_tbPNSt15iterator_traitsISE_E10value_typeEPNSK_ISF_E10value_typeEPSG_NS1_7vsmem_tEENKUlT_SE_SF_SG_E_clIS8_S8_S9_S9_EESD_ST_SE_SF_SG_EUlST_E0_NS1_11comp_targetILNS1_3genE10ELNS1_11target_archE1201ELNS1_3gpuE5ELNS1_3repE0EEENS1_38merge_mergepath_config_static_selectorELNS0_4arch9wavefront6targetE0EEEvSF_
    .private_segment_fixed_size: 0
    .sgpr_count:     0
    .sgpr_spill_count: 0
    .symbol:         _ZN7rocprim17ROCPRIM_400000_NS6detail17trampoline_kernelINS0_14default_configENS1_38merge_sort_block_merge_config_selectorIjNS0_10empty_typeEEEZZNS1_27merge_sort_block_merge_implIS3_PjPS5_jNS1_19radix_merge_compareILb0ELb0EjNS0_19identity_decomposerEEEEE10hipError_tT0_T1_T2_jT3_P12ihipStream_tbPNSt15iterator_traitsISE_E10value_typeEPNSK_ISF_E10value_typeEPSG_NS1_7vsmem_tEENKUlT_SE_SF_SG_E_clIS8_S8_S9_S9_EESD_ST_SE_SF_SG_EUlST_E0_NS1_11comp_targetILNS1_3genE10ELNS1_11target_archE1201ELNS1_3gpuE5ELNS1_3repE0EEENS1_38merge_mergepath_config_static_selectorELNS0_4arch9wavefront6targetE0EEEvSF_.kd
    .uniform_work_group_size: 1
    .uses_dynamic_stack: false
    .vgpr_count:     0
    .vgpr_spill_count: 0
    .wavefront_size: 32
  - .args:
      - .offset:         0
        .size:           64
        .value_kind:     by_value
    .group_segment_fixed_size: 0
    .kernarg_segment_align: 8
    .kernarg_segment_size: 64
    .language:       OpenCL C
    .language_version:
      - 2
      - 0
    .max_flat_workgroup_size: 128
    .name:           _ZN7rocprim17ROCPRIM_400000_NS6detail17trampoline_kernelINS0_14default_configENS1_38merge_sort_block_merge_config_selectorIjNS0_10empty_typeEEEZZNS1_27merge_sort_block_merge_implIS3_PjPS5_jNS1_19radix_merge_compareILb0ELb0EjNS0_19identity_decomposerEEEEE10hipError_tT0_T1_T2_jT3_P12ihipStream_tbPNSt15iterator_traitsISE_E10value_typeEPNSK_ISF_E10value_typeEPSG_NS1_7vsmem_tEENKUlT_SE_SF_SG_E_clIS8_S8_S9_S9_EESD_ST_SE_SF_SG_EUlST_E0_NS1_11comp_targetILNS1_3genE5ELNS1_11target_archE942ELNS1_3gpuE9ELNS1_3repE0EEENS1_38merge_mergepath_config_static_selectorELNS0_4arch9wavefront6targetE0EEEvSF_
    .private_segment_fixed_size: 0
    .sgpr_count:     0
    .sgpr_spill_count: 0
    .symbol:         _ZN7rocprim17ROCPRIM_400000_NS6detail17trampoline_kernelINS0_14default_configENS1_38merge_sort_block_merge_config_selectorIjNS0_10empty_typeEEEZZNS1_27merge_sort_block_merge_implIS3_PjPS5_jNS1_19radix_merge_compareILb0ELb0EjNS0_19identity_decomposerEEEEE10hipError_tT0_T1_T2_jT3_P12ihipStream_tbPNSt15iterator_traitsISE_E10value_typeEPNSK_ISF_E10value_typeEPSG_NS1_7vsmem_tEENKUlT_SE_SF_SG_E_clIS8_S8_S9_S9_EESD_ST_SE_SF_SG_EUlST_E0_NS1_11comp_targetILNS1_3genE5ELNS1_11target_archE942ELNS1_3gpuE9ELNS1_3repE0EEENS1_38merge_mergepath_config_static_selectorELNS0_4arch9wavefront6targetE0EEEvSF_.kd
    .uniform_work_group_size: 1
    .uses_dynamic_stack: false
    .vgpr_count:     0
    .vgpr_spill_count: 0
    .wavefront_size: 32
  - .args:
      - .offset:         0
        .size:           64
        .value_kind:     by_value
    .group_segment_fixed_size: 0
    .kernarg_segment_align: 8
    .kernarg_segment_size: 64
    .language:       OpenCL C
    .language_version:
      - 2
      - 0
    .max_flat_workgroup_size: 128
    .name:           _ZN7rocprim17ROCPRIM_400000_NS6detail17trampoline_kernelINS0_14default_configENS1_38merge_sort_block_merge_config_selectorIjNS0_10empty_typeEEEZZNS1_27merge_sort_block_merge_implIS3_PjPS5_jNS1_19radix_merge_compareILb0ELb0EjNS0_19identity_decomposerEEEEE10hipError_tT0_T1_T2_jT3_P12ihipStream_tbPNSt15iterator_traitsISE_E10value_typeEPNSK_ISF_E10value_typeEPSG_NS1_7vsmem_tEENKUlT_SE_SF_SG_E_clIS8_S8_S9_S9_EESD_ST_SE_SF_SG_EUlST_E0_NS1_11comp_targetILNS1_3genE4ELNS1_11target_archE910ELNS1_3gpuE8ELNS1_3repE0EEENS1_38merge_mergepath_config_static_selectorELNS0_4arch9wavefront6targetE0EEEvSF_
    .private_segment_fixed_size: 0
    .sgpr_count:     0
    .sgpr_spill_count: 0
    .symbol:         _ZN7rocprim17ROCPRIM_400000_NS6detail17trampoline_kernelINS0_14default_configENS1_38merge_sort_block_merge_config_selectorIjNS0_10empty_typeEEEZZNS1_27merge_sort_block_merge_implIS3_PjPS5_jNS1_19radix_merge_compareILb0ELb0EjNS0_19identity_decomposerEEEEE10hipError_tT0_T1_T2_jT3_P12ihipStream_tbPNSt15iterator_traitsISE_E10value_typeEPNSK_ISF_E10value_typeEPSG_NS1_7vsmem_tEENKUlT_SE_SF_SG_E_clIS8_S8_S9_S9_EESD_ST_SE_SF_SG_EUlST_E0_NS1_11comp_targetILNS1_3genE4ELNS1_11target_archE910ELNS1_3gpuE8ELNS1_3repE0EEENS1_38merge_mergepath_config_static_selectorELNS0_4arch9wavefront6targetE0EEEvSF_.kd
    .uniform_work_group_size: 1
    .uses_dynamic_stack: false
    .vgpr_count:     0
    .vgpr_spill_count: 0
    .wavefront_size: 32
  - .args:
      - .offset:         0
        .size:           64
        .value_kind:     by_value
    .group_segment_fixed_size: 0
    .kernarg_segment_align: 8
    .kernarg_segment_size: 64
    .language:       OpenCL C
    .language_version:
      - 2
      - 0
    .max_flat_workgroup_size: 128
    .name:           _ZN7rocprim17ROCPRIM_400000_NS6detail17trampoline_kernelINS0_14default_configENS1_38merge_sort_block_merge_config_selectorIjNS0_10empty_typeEEEZZNS1_27merge_sort_block_merge_implIS3_PjPS5_jNS1_19radix_merge_compareILb0ELb0EjNS0_19identity_decomposerEEEEE10hipError_tT0_T1_T2_jT3_P12ihipStream_tbPNSt15iterator_traitsISE_E10value_typeEPNSK_ISF_E10value_typeEPSG_NS1_7vsmem_tEENKUlT_SE_SF_SG_E_clIS8_S8_S9_S9_EESD_ST_SE_SF_SG_EUlST_E0_NS1_11comp_targetILNS1_3genE3ELNS1_11target_archE908ELNS1_3gpuE7ELNS1_3repE0EEENS1_38merge_mergepath_config_static_selectorELNS0_4arch9wavefront6targetE0EEEvSF_
    .private_segment_fixed_size: 0
    .sgpr_count:     0
    .sgpr_spill_count: 0
    .symbol:         _ZN7rocprim17ROCPRIM_400000_NS6detail17trampoline_kernelINS0_14default_configENS1_38merge_sort_block_merge_config_selectorIjNS0_10empty_typeEEEZZNS1_27merge_sort_block_merge_implIS3_PjPS5_jNS1_19radix_merge_compareILb0ELb0EjNS0_19identity_decomposerEEEEE10hipError_tT0_T1_T2_jT3_P12ihipStream_tbPNSt15iterator_traitsISE_E10value_typeEPNSK_ISF_E10value_typeEPSG_NS1_7vsmem_tEENKUlT_SE_SF_SG_E_clIS8_S8_S9_S9_EESD_ST_SE_SF_SG_EUlST_E0_NS1_11comp_targetILNS1_3genE3ELNS1_11target_archE908ELNS1_3gpuE7ELNS1_3repE0EEENS1_38merge_mergepath_config_static_selectorELNS0_4arch9wavefront6targetE0EEEvSF_.kd
    .uniform_work_group_size: 1
    .uses_dynamic_stack: false
    .vgpr_count:     0
    .vgpr_spill_count: 0
    .wavefront_size: 32
  - .args:
      - .offset:         0
        .size:           64
        .value_kind:     by_value
    .group_segment_fixed_size: 0
    .kernarg_segment_align: 8
    .kernarg_segment_size: 64
    .language:       OpenCL C
    .language_version:
      - 2
      - 0
    .max_flat_workgroup_size: 128
    .name:           _ZN7rocprim17ROCPRIM_400000_NS6detail17trampoline_kernelINS0_14default_configENS1_38merge_sort_block_merge_config_selectorIjNS0_10empty_typeEEEZZNS1_27merge_sort_block_merge_implIS3_PjPS5_jNS1_19radix_merge_compareILb0ELb0EjNS0_19identity_decomposerEEEEE10hipError_tT0_T1_T2_jT3_P12ihipStream_tbPNSt15iterator_traitsISE_E10value_typeEPNSK_ISF_E10value_typeEPSG_NS1_7vsmem_tEENKUlT_SE_SF_SG_E_clIS8_S8_S9_S9_EESD_ST_SE_SF_SG_EUlST_E0_NS1_11comp_targetILNS1_3genE2ELNS1_11target_archE906ELNS1_3gpuE6ELNS1_3repE0EEENS1_38merge_mergepath_config_static_selectorELNS0_4arch9wavefront6targetE0EEEvSF_
    .private_segment_fixed_size: 0
    .sgpr_count:     0
    .sgpr_spill_count: 0
    .symbol:         _ZN7rocprim17ROCPRIM_400000_NS6detail17trampoline_kernelINS0_14default_configENS1_38merge_sort_block_merge_config_selectorIjNS0_10empty_typeEEEZZNS1_27merge_sort_block_merge_implIS3_PjPS5_jNS1_19radix_merge_compareILb0ELb0EjNS0_19identity_decomposerEEEEE10hipError_tT0_T1_T2_jT3_P12ihipStream_tbPNSt15iterator_traitsISE_E10value_typeEPNSK_ISF_E10value_typeEPSG_NS1_7vsmem_tEENKUlT_SE_SF_SG_E_clIS8_S8_S9_S9_EESD_ST_SE_SF_SG_EUlST_E0_NS1_11comp_targetILNS1_3genE2ELNS1_11target_archE906ELNS1_3gpuE6ELNS1_3repE0EEENS1_38merge_mergepath_config_static_selectorELNS0_4arch9wavefront6targetE0EEEvSF_.kd
    .uniform_work_group_size: 1
    .uses_dynamic_stack: false
    .vgpr_count:     0
    .vgpr_spill_count: 0
    .wavefront_size: 32
  - .args:
      - .offset:         0
        .size:           64
        .value_kind:     by_value
    .group_segment_fixed_size: 0
    .kernarg_segment_align: 8
    .kernarg_segment_size: 64
    .language:       OpenCL C
    .language_version:
      - 2
      - 0
    .max_flat_workgroup_size: 256
    .name:           _ZN7rocprim17ROCPRIM_400000_NS6detail17trampoline_kernelINS0_14default_configENS1_38merge_sort_block_merge_config_selectorIjNS0_10empty_typeEEEZZNS1_27merge_sort_block_merge_implIS3_PjPS5_jNS1_19radix_merge_compareILb0ELb0EjNS0_19identity_decomposerEEEEE10hipError_tT0_T1_T2_jT3_P12ihipStream_tbPNSt15iterator_traitsISE_E10value_typeEPNSK_ISF_E10value_typeEPSG_NS1_7vsmem_tEENKUlT_SE_SF_SG_E_clIS8_S8_S9_S9_EESD_ST_SE_SF_SG_EUlST_E0_NS1_11comp_targetILNS1_3genE9ELNS1_11target_archE1100ELNS1_3gpuE3ELNS1_3repE0EEENS1_38merge_mergepath_config_static_selectorELNS0_4arch9wavefront6targetE0EEEvSF_
    .private_segment_fixed_size: 0
    .sgpr_count:     0
    .sgpr_spill_count: 0
    .symbol:         _ZN7rocprim17ROCPRIM_400000_NS6detail17trampoline_kernelINS0_14default_configENS1_38merge_sort_block_merge_config_selectorIjNS0_10empty_typeEEEZZNS1_27merge_sort_block_merge_implIS3_PjPS5_jNS1_19radix_merge_compareILb0ELb0EjNS0_19identity_decomposerEEEEE10hipError_tT0_T1_T2_jT3_P12ihipStream_tbPNSt15iterator_traitsISE_E10value_typeEPNSK_ISF_E10value_typeEPSG_NS1_7vsmem_tEENKUlT_SE_SF_SG_E_clIS8_S8_S9_S9_EESD_ST_SE_SF_SG_EUlST_E0_NS1_11comp_targetILNS1_3genE9ELNS1_11target_archE1100ELNS1_3gpuE3ELNS1_3repE0EEENS1_38merge_mergepath_config_static_selectorELNS0_4arch9wavefront6targetE0EEEvSF_.kd
    .uniform_work_group_size: 1
    .uses_dynamic_stack: false
    .vgpr_count:     0
    .vgpr_spill_count: 0
    .wavefront_size: 32
  - .args:
      - .offset:         0
        .size:           64
        .value_kind:     by_value
    .group_segment_fixed_size: 0
    .kernarg_segment_align: 8
    .kernarg_segment_size: 64
    .language:       OpenCL C
    .language_version:
      - 2
      - 0
    .max_flat_workgroup_size: 512
    .name:           _ZN7rocprim17ROCPRIM_400000_NS6detail17trampoline_kernelINS0_14default_configENS1_38merge_sort_block_merge_config_selectorIjNS0_10empty_typeEEEZZNS1_27merge_sort_block_merge_implIS3_PjPS5_jNS1_19radix_merge_compareILb0ELb0EjNS0_19identity_decomposerEEEEE10hipError_tT0_T1_T2_jT3_P12ihipStream_tbPNSt15iterator_traitsISE_E10value_typeEPNSK_ISF_E10value_typeEPSG_NS1_7vsmem_tEENKUlT_SE_SF_SG_E_clIS8_S8_S9_S9_EESD_ST_SE_SF_SG_EUlST_E0_NS1_11comp_targetILNS1_3genE8ELNS1_11target_archE1030ELNS1_3gpuE2ELNS1_3repE0EEENS1_38merge_mergepath_config_static_selectorELNS0_4arch9wavefront6targetE0EEEvSF_
    .private_segment_fixed_size: 0
    .sgpr_count:     0
    .sgpr_spill_count: 0
    .symbol:         _ZN7rocprim17ROCPRIM_400000_NS6detail17trampoline_kernelINS0_14default_configENS1_38merge_sort_block_merge_config_selectorIjNS0_10empty_typeEEEZZNS1_27merge_sort_block_merge_implIS3_PjPS5_jNS1_19radix_merge_compareILb0ELb0EjNS0_19identity_decomposerEEEEE10hipError_tT0_T1_T2_jT3_P12ihipStream_tbPNSt15iterator_traitsISE_E10value_typeEPNSK_ISF_E10value_typeEPSG_NS1_7vsmem_tEENKUlT_SE_SF_SG_E_clIS8_S8_S9_S9_EESD_ST_SE_SF_SG_EUlST_E0_NS1_11comp_targetILNS1_3genE8ELNS1_11target_archE1030ELNS1_3gpuE2ELNS1_3repE0EEENS1_38merge_mergepath_config_static_selectorELNS0_4arch9wavefront6targetE0EEEvSF_.kd
    .uniform_work_group_size: 1
    .uses_dynamic_stack: false
    .vgpr_count:     0
    .vgpr_spill_count: 0
    .wavefront_size: 32
  - .args:
      - .offset:         0
        .size:           48
        .value_kind:     by_value
    .group_segment_fixed_size: 0
    .kernarg_segment_align: 8
    .kernarg_segment_size: 48
    .language:       OpenCL C
    .language_version:
      - 2
      - 0
    .max_flat_workgroup_size: 256
    .name:           _ZN7rocprim17ROCPRIM_400000_NS6detail17trampoline_kernelINS0_14default_configENS1_38merge_sort_block_merge_config_selectorIjNS0_10empty_typeEEEZZNS1_27merge_sort_block_merge_implIS3_PjPS5_jNS1_19radix_merge_compareILb0ELb0EjNS0_19identity_decomposerEEEEE10hipError_tT0_T1_T2_jT3_P12ihipStream_tbPNSt15iterator_traitsISE_E10value_typeEPNSK_ISF_E10value_typeEPSG_NS1_7vsmem_tEENKUlT_SE_SF_SG_E_clIS8_S8_S9_S9_EESD_ST_SE_SF_SG_EUlST_E1_NS1_11comp_targetILNS1_3genE0ELNS1_11target_archE4294967295ELNS1_3gpuE0ELNS1_3repE0EEENS1_36merge_oddeven_config_static_selectorELNS0_4arch9wavefront6targetE0EEEvSF_
    .private_segment_fixed_size: 0
    .sgpr_count:     18
    .sgpr_spill_count: 0
    .symbol:         _ZN7rocprim17ROCPRIM_400000_NS6detail17trampoline_kernelINS0_14default_configENS1_38merge_sort_block_merge_config_selectorIjNS0_10empty_typeEEEZZNS1_27merge_sort_block_merge_implIS3_PjPS5_jNS1_19radix_merge_compareILb0ELb0EjNS0_19identity_decomposerEEEEE10hipError_tT0_T1_T2_jT3_P12ihipStream_tbPNSt15iterator_traitsISE_E10value_typeEPNSK_ISF_E10value_typeEPSG_NS1_7vsmem_tEENKUlT_SE_SF_SG_E_clIS8_S8_S9_S9_EESD_ST_SE_SF_SG_EUlST_E1_NS1_11comp_targetILNS1_3genE0ELNS1_11target_archE4294967295ELNS1_3gpuE0ELNS1_3repE0EEENS1_36merge_oddeven_config_static_selectorELNS0_4arch9wavefront6targetE0EEEvSF_.kd
    .uniform_work_group_size: 1
    .uses_dynamic_stack: false
    .vgpr_count:     7
    .vgpr_spill_count: 0
    .wavefront_size: 32
  - .args:
      - .offset:         0
        .size:           48
        .value_kind:     by_value
    .group_segment_fixed_size: 0
    .kernarg_segment_align: 8
    .kernarg_segment_size: 48
    .language:       OpenCL C
    .language_version:
      - 2
      - 0
    .max_flat_workgroup_size: 256
    .name:           _ZN7rocprim17ROCPRIM_400000_NS6detail17trampoline_kernelINS0_14default_configENS1_38merge_sort_block_merge_config_selectorIjNS0_10empty_typeEEEZZNS1_27merge_sort_block_merge_implIS3_PjPS5_jNS1_19radix_merge_compareILb0ELb0EjNS0_19identity_decomposerEEEEE10hipError_tT0_T1_T2_jT3_P12ihipStream_tbPNSt15iterator_traitsISE_E10value_typeEPNSK_ISF_E10value_typeEPSG_NS1_7vsmem_tEENKUlT_SE_SF_SG_E_clIS8_S8_S9_S9_EESD_ST_SE_SF_SG_EUlST_E1_NS1_11comp_targetILNS1_3genE10ELNS1_11target_archE1201ELNS1_3gpuE5ELNS1_3repE0EEENS1_36merge_oddeven_config_static_selectorELNS0_4arch9wavefront6targetE0EEEvSF_
    .private_segment_fixed_size: 0
    .sgpr_count:     0
    .sgpr_spill_count: 0
    .symbol:         _ZN7rocprim17ROCPRIM_400000_NS6detail17trampoline_kernelINS0_14default_configENS1_38merge_sort_block_merge_config_selectorIjNS0_10empty_typeEEEZZNS1_27merge_sort_block_merge_implIS3_PjPS5_jNS1_19radix_merge_compareILb0ELb0EjNS0_19identity_decomposerEEEEE10hipError_tT0_T1_T2_jT3_P12ihipStream_tbPNSt15iterator_traitsISE_E10value_typeEPNSK_ISF_E10value_typeEPSG_NS1_7vsmem_tEENKUlT_SE_SF_SG_E_clIS8_S8_S9_S9_EESD_ST_SE_SF_SG_EUlST_E1_NS1_11comp_targetILNS1_3genE10ELNS1_11target_archE1201ELNS1_3gpuE5ELNS1_3repE0EEENS1_36merge_oddeven_config_static_selectorELNS0_4arch9wavefront6targetE0EEEvSF_.kd
    .uniform_work_group_size: 1
    .uses_dynamic_stack: false
    .vgpr_count:     0
    .vgpr_spill_count: 0
    .wavefront_size: 32
  - .args:
      - .offset:         0
        .size:           48
        .value_kind:     by_value
    .group_segment_fixed_size: 0
    .kernarg_segment_align: 8
    .kernarg_segment_size: 48
    .language:       OpenCL C
    .language_version:
      - 2
      - 0
    .max_flat_workgroup_size: 256
    .name:           _ZN7rocprim17ROCPRIM_400000_NS6detail17trampoline_kernelINS0_14default_configENS1_38merge_sort_block_merge_config_selectorIjNS0_10empty_typeEEEZZNS1_27merge_sort_block_merge_implIS3_PjPS5_jNS1_19radix_merge_compareILb0ELb0EjNS0_19identity_decomposerEEEEE10hipError_tT0_T1_T2_jT3_P12ihipStream_tbPNSt15iterator_traitsISE_E10value_typeEPNSK_ISF_E10value_typeEPSG_NS1_7vsmem_tEENKUlT_SE_SF_SG_E_clIS8_S8_S9_S9_EESD_ST_SE_SF_SG_EUlST_E1_NS1_11comp_targetILNS1_3genE5ELNS1_11target_archE942ELNS1_3gpuE9ELNS1_3repE0EEENS1_36merge_oddeven_config_static_selectorELNS0_4arch9wavefront6targetE0EEEvSF_
    .private_segment_fixed_size: 0
    .sgpr_count:     0
    .sgpr_spill_count: 0
    .symbol:         _ZN7rocprim17ROCPRIM_400000_NS6detail17trampoline_kernelINS0_14default_configENS1_38merge_sort_block_merge_config_selectorIjNS0_10empty_typeEEEZZNS1_27merge_sort_block_merge_implIS3_PjPS5_jNS1_19radix_merge_compareILb0ELb0EjNS0_19identity_decomposerEEEEE10hipError_tT0_T1_T2_jT3_P12ihipStream_tbPNSt15iterator_traitsISE_E10value_typeEPNSK_ISF_E10value_typeEPSG_NS1_7vsmem_tEENKUlT_SE_SF_SG_E_clIS8_S8_S9_S9_EESD_ST_SE_SF_SG_EUlST_E1_NS1_11comp_targetILNS1_3genE5ELNS1_11target_archE942ELNS1_3gpuE9ELNS1_3repE0EEENS1_36merge_oddeven_config_static_selectorELNS0_4arch9wavefront6targetE0EEEvSF_.kd
    .uniform_work_group_size: 1
    .uses_dynamic_stack: false
    .vgpr_count:     0
    .vgpr_spill_count: 0
    .wavefront_size: 32
  - .args:
      - .offset:         0
        .size:           48
        .value_kind:     by_value
    .group_segment_fixed_size: 0
    .kernarg_segment_align: 8
    .kernarg_segment_size: 48
    .language:       OpenCL C
    .language_version:
      - 2
      - 0
    .max_flat_workgroup_size: 256
    .name:           _ZN7rocprim17ROCPRIM_400000_NS6detail17trampoline_kernelINS0_14default_configENS1_38merge_sort_block_merge_config_selectorIjNS0_10empty_typeEEEZZNS1_27merge_sort_block_merge_implIS3_PjPS5_jNS1_19radix_merge_compareILb0ELb0EjNS0_19identity_decomposerEEEEE10hipError_tT0_T1_T2_jT3_P12ihipStream_tbPNSt15iterator_traitsISE_E10value_typeEPNSK_ISF_E10value_typeEPSG_NS1_7vsmem_tEENKUlT_SE_SF_SG_E_clIS8_S8_S9_S9_EESD_ST_SE_SF_SG_EUlST_E1_NS1_11comp_targetILNS1_3genE4ELNS1_11target_archE910ELNS1_3gpuE8ELNS1_3repE0EEENS1_36merge_oddeven_config_static_selectorELNS0_4arch9wavefront6targetE0EEEvSF_
    .private_segment_fixed_size: 0
    .sgpr_count:     0
    .sgpr_spill_count: 0
    .symbol:         _ZN7rocprim17ROCPRIM_400000_NS6detail17trampoline_kernelINS0_14default_configENS1_38merge_sort_block_merge_config_selectorIjNS0_10empty_typeEEEZZNS1_27merge_sort_block_merge_implIS3_PjPS5_jNS1_19radix_merge_compareILb0ELb0EjNS0_19identity_decomposerEEEEE10hipError_tT0_T1_T2_jT3_P12ihipStream_tbPNSt15iterator_traitsISE_E10value_typeEPNSK_ISF_E10value_typeEPSG_NS1_7vsmem_tEENKUlT_SE_SF_SG_E_clIS8_S8_S9_S9_EESD_ST_SE_SF_SG_EUlST_E1_NS1_11comp_targetILNS1_3genE4ELNS1_11target_archE910ELNS1_3gpuE8ELNS1_3repE0EEENS1_36merge_oddeven_config_static_selectorELNS0_4arch9wavefront6targetE0EEEvSF_.kd
    .uniform_work_group_size: 1
    .uses_dynamic_stack: false
    .vgpr_count:     0
    .vgpr_spill_count: 0
    .wavefront_size: 32
  - .args:
      - .offset:         0
        .size:           48
        .value_kind:     by_value
    .group_segment_fixed_size: 0
    .kernarg_segment_align: 8
    .kernarg_segment_size: 48
    .language:       OpenCL C
    .language_version:
      - 2
      - 0
    .max_flat_workgroup_size: 256
    .name:           _ZN7rocprim17ROCPRIM_400000_NS6detail17trampoline_kernelINS0_14default_configENS1_38merge_sort_block_merge_config_selectorIjNS0_10empty_typeEEEZZNS1_27merge_sort_block_merge_implIS3_PjPS5_jNS1_19radix_merge_compareILb0ELb0EjNS0_19identity_decomposerEEEEE10hipError_tT0_T1_T2_jT3_P12ihipStream_tbPNSt15iterator_traitsISE_E10value_typeEPNSK_ISF_E10value_typeEPSG_NS1_7vsmem_tEENKUlT_SE_SF_SG_E_clIS8_S8_S9_S9_EESD_ST_SE_SF_SG_EUlST_E1_NS1_11comp_targetILNS1_3genE3ELNS1_11target_archE908ELNS1_3gpuE7ELNS1_3repE0EEENS1_36merge_oddeven_config_static_selectorELNS0_4arch9wavefront6targetE0EEEvSF_
    .private_segment_fixed_size: 0
    .sgpr_count:     0
    .sgpr_spill_count: 0
    .symbol:         _ZN7rocprim17ROCPRIM_400000_NS6detail17trampoline_kernelINS0_14default_configENS1_38merge_sort_block_merge_config_selectorIjNS0_10empty_typeEEEZZNS1_27merge_sort_block_merge_implIS3_PjPS5_jNS1_19radix_merge_compareILb0ELb0EjNS0_19identity_decomposerEEEEE10hipError_tT0_T1_T2_jT3_P12ihipStream_tbPNSt15iterator_traitsISE_E10value_typeEPNSK_ISF_E10value_typeEPSG_NS1_7vsmem_tEENKUlT_SE_SF_SG_E_clIS8_S8_S9_S9_EESD_ST_SE_SF_SG_EUlST_E1_NS1_11comp_targetILNS1_3genE3ELNS1_11target_archE908ELNS1_3gpuE7ELNS1_3repE0EEENS1_36merge_oddeven_config_static_selectorELNS0_4arch9wavefront6targetE0EEEvSF_.kd
    .uniform_work_group_size: 1
    .uses_dynamic_stack: false
    .vgpr_count:     0
    .vgpr_spill_count: 0
    .wavefront_size: 32
  - .args:
      - .offset:         0
        .size:           48
        .value_kind:     by_value
    .group_segment_fixed_size: 0
    .kernarg_segment_align: 8
    .kernarg_segment_size: 48
    .language:       OpenCL C
    .language_version:
      - 2
      - 0
    .max_flat_workgroup_size: 256
    .name:           _ZN7rocprim17ROCPRIM_400000_NS6detail17trampoline_kernelINS0_14default_configENS1_38merge_sort_block_merge_config_selectorIjNS0_10empty_typeEEEZZNS1_27merge_sort_block_merge_implIS3_PjPS5_jNS1_19radix_merge_compareILb0ELb0EjNS0_19identity_decomposerEEEEE10hipError_tT0_T1_T2_jT3_P12ihipStream_tbPNSt15iterator_traitsISE_E10value_typeEPNSK_ISF_E10value_typeEPSG_NS1_7vsmem_tEENKUlT_SE_SF_SG_E_clIS8_S8_S9_S9_EESD_ST_SE_SF_SG_EUlST_E1_NS1_11comp_targetILNS1_3genE2ELNS1_11target_archE906ELNS1_3gpuE6ELNS1_3repE0EEENS1_36merge_oddeven_config_static_selectorELNS0_4arch9wavefront6targetE0EEEvSF_
    .private_segment_fixed_size: 0
    .sgpr_count:     0
    .sgpr_spill_count: 0
    .symbol:         _ZN7rocprim17ROCPRIM_400000_NS6detail17trampoline_kernelINS0_14default_configENS1_38merge_sort_block_merge_config_selectorIjNS0_10empty_typeEEEZZNS1_27merge_sort_block_merge_implIS3_PjPS5_jNS1_19radix_merge_compareILb0ELb0EjNS0_19identity_decomposerEEEEE10hipError_tT0_T1_T2_jT3_P12ihipStream_tbPNSt15iterator_traitsISE_E10value_typeEPNSK_ISF_E10value_typeEPSG_NS1_7vsmem_tEENKUlT_SE_SF_SG_E_clIS8_S8_S9_S9_EESD_ST_SE_SF_SG_EUlST_E1_NS1_11comp_targetILNS1_3genE2ELNS1_11target_archE906ELNS1_3gpuE6ELNS1_3repE0EEENS1_36merge_oddeven_config_static_selectorELNS0_4arch9wavefront6targetE0EEEvSF_.kd
    .uniform_work_group_size: 1
    .uses_dynamic_stack: false
    .vgpr_count:     0
    .vgpr_spill_count: 0
    .wavefront_size: 32
  - .args:
      - .offset:         0
        .size:           48
        .value_kind:     by_value
    .group_segment_fixed_size: 0
    .kernarg_segment_align: 8
    .kernarg_segment_size: 48
    .language:       OpenCL C
    .language_version:
      - 2
      - 0
    .max_flat_workgroup_size: 256
    .name:           _ZN7rocprim17ROCPRIM_400000_NS6detail17trampoline_kernelINS0_14default_configENS1_38merge_sort_block_merge_config_selectorIjNS0_10empty_typeEEEZZNS1_27merge_sort_block_merge_implIS3_PjPS5_jNS1_19radix_merge_compareILb0ELb0EjNS0_19identity_decomposerEEEEE10hipError_tT0_T1_T2_jT3_P12ihipStream_tbPNSt15iterator_traitsISE_E10value_typeEPNSK_ISF_E10value_typeEPSG_NS1_7vsmem_tEENKUlT_SE_SF_SG_E_clIS8_S8_S9_S9_EESD_ST_SE_SF_SG_EUlST_E1_NS1_11comp_targetILNS1_3genE9ELNS1_11target_archE1100ELNS1_3gpuE3ELNS1_3repE0EEENS1_36merge_oddeven_config_static_selectorELNS0_4arch9wavefront6targetE0EEEvSF_
    .private_segment_fixed_size: 0
    .sgpr_count:     0
    .sgpr_spill_count: 0
    .symbol:         _ZN7rocprim17ROCPRIM_400000_NS6detail17trampoline_kernelINS0_14default_configENS1_38merge_sort_block_merge_config_selectorIjNS0_10empty_typeEEEZZNS1_27merge_sort_block_merge_implIS3_PjPS5_jNS1_19radix_merge_compareILb0ELb0EjNS0_19identity_decomposerEEEEE10hipError_tT0_T1_T2_jT3_P12ihipStream_tbPNSt15iterator_traitsISE_E10value_typeEPNSK_ISF_E10value_typeEPSG_NS1_7vsmem_tEENKUlT_SE_SF_SG_E_clIS8_S8_S9_S9_EESD_ST_SE_SF_SG_EUlST_E1_NS1_11comp_targetILNS1_3genE9ELNS1_11target_archE1100ELNS1_3gpuE3ELNS1_3repE0EEENS1_36merge_oddeven_config_static_selectorELNS0_4arch9wavefront6targetE0EEEvSF_.kd
    .uniform_work_group_size: 1
    .uses_dynamic_stack: false
    .vgpr_count:     0
    .vgpr_spill_count: 0
    .wavefront_size: 32
  - .args:
      - .offset:         0
        .size:           48
        .value_kind:     by_value
    .group_segment_fixed_size: 0
    .kernarg_segment_align: 8
    .kernarg_segment_size: 48
    .language:       OpenCL C
    .language_version:
      - 2
      - 0
    .max_flat_workgroup_size: 256
    .name:           _ZN7rocprim17ROCPRIM_400000_NS6detail17trampoline_kernelINS0_14default_configENS1_38merge_sort_block_merge_config_selectorIjNS0_10empty_typeEEEZZNS1_27merge_sort_block_merge_implIS3_PjPS5_jNS1_19radix_merge_compareILb0ELb0EjNS0_19identity_decomposerEEEEE10hipError_tT0_T1_T2_jT3_P12ihipStream_tbPNSt15iterator_traitsISE_E10value_typeEPNSK_ISF_E10value_typeEPSG_NS1_7vsmem_tEENKUlT_SE_SF_SG_E_clIS8_S8_S9_S9_EESD_ST_SE_SF_SG_EUlST_E1_NS1_11comp_targetILNS1_3genE8ELNS1_11target_archE1030ELNS1_3gpuE2ELNS1_3repE0EEENS1_36merge_oddeven_config_static_selectorELNS0_4arch9wavefront6targetE0EEEvSF_
    .private_segment_fixed_size: 0
    .sgpr_count:     0
    .sgpr_spill_count: 0
    .symbol:         _ZN7rocprim17ROCPRIM_400000_NS6detail17trampoline_kernelINS0_14default_configENS1_38merge_sort_block_merge_config_selectorIjNS0_10empty_typeEEEZZNS1_27merge_sort_block_merge_implIS3_PjPS5_jNS1_19radix_merge_compareILb0ELb0EjNS0_19identity_decomposerEEEEE10hipError_tT0_T1_T2_jT3_P12ihipStream_tbPNSt15iterator_traitsISE_E10value_typeEPNSK_ISF_E10value_typeEPSG_NS1_7vsmem_tEENKUlT_SE_SF_SG_E_clIS8_S8_S9_S9_EESD_ST_SE_SF_SG_EUlST_E1_NS1_11comp_targetILNS1_3genE8ELNS1_11target_archE1030ELNS1_3gpuE2ELNS1_3repE0EEENS1_36merge_oddeven_config_static_selectorELNS0_4arch9wavefront6targetE0EEEvSF_.kd
    .uniform_work_group_size: 1
    .uses_dynamic_stack: false
    .vgpr_count:     0
    .vgpr_spill_count: 0
    .wavefront_size: 32
  - .args:
      - .offset:         0
        .size:           40
        .value_kind:     by_value
    .group_segment_fixed_size: 0
    .kernarg_segment_align: 8
    .kernarg_segment_size: 40
    .language:       OpenCL C
    .language_version:
      - 2
      - 0
    .max_flat_workgroup_size: 128
    .name:           _ZN7rocprim17ROCPRIM_400000_NS6detail17trampoline_kernelINS0_14default_configENS1_38merge_sort_block_merge_config_selectorIjNS0_10empty_typeEEEZZNS1_27merge_sort_block_merge_implIS3_PjPS5_jNS1_19radix_merge_compareILb0ELb1EjNS0_19identity_decomposerEEEEE10hipError_tT0_T1_T2_jT3_P12ihipStream_tbPNSt15iterator_traitsISE_E10value_typeEPNSK_ISF_E10value_typeEPSG_NS1_7vsmem_tEENKUlT_SE_SF_SG_E_clIS8_S8_S9_S9_EESD_ST_SE_SF_SG_EUlST_E_NS1_11comp_targetILNS1_3genE0ELNS1_11target_archE4294967295ELNS1_3gpuE0ELNS1_3repE0EEENS1_48merge_mergepath_partition_config_static_selectorELNS0_4arch9wavefront6targetE0EEEvSF_
    .private_segment_fixed_size: 0
    .sgpr_count:     10
    .sgpr_spill_count: 0
    .symbol:         _ZN7rocprim17ROCPRIM_400000_NS6detail17trampoline_kernelINS0_14default_configENS1_38merge_sort_block_merge_config_selectorIjNS0_10empty_typeEEEZZNS1_27merge_sort_block_merge_implIS3_PjPS5_jNS1_19radix_merge_compareILb0ELb1EjNS0_19identity_decomposerEEEEE10hipError_tT0_T1_T2_jT3_P12ihipStream_tbPNSt15iterator_traitsISE_E10value_typeEPNSK_ISF_E10value_typeEPSG_NS1_7vsmem_tEENKUlT_SE_SF_SG_E_clIS8_S8_S9_S9_EESD_ST_SE_SF_SG_EUlST_E_NS1_11comp_targetILNS1_3genE0ELNS1_11target_archE4294967295ELNS1_3gpuE0ELNS1_3repE0EEENS1_48merge_mergepath_partition_config_static_selectorELNS0_4arch9wavefront6targetE0EEEvSF_.kd
    .uniform_work_group_size: 1
    .uses_dynamic_stack: false
    .vgpr_count:     17
    .vgpr_spill_count: 0
    .wavefront_size: 32
  - .args:
      - .offset:         0
        .size:           40
        .value_kind:     by_value
    .group_segment_fixed_size: 0
    .kernarg_segment_align: 8
    .kernarg_segment_size: 40
    .language:       OpenCL C
    .language_version:
      - 2
      - 0
    .max_flat_workgroup_size: 128
    .name:           _ZN7rocprim17ROCPRIM_400000_NS6detail17trampoline_kernelINS0_14default_configENS1_38merge_sort_block_merge_config_selectorIjNS0_10empty_typeEEEZZNS1_27merge_sort_block_merge_implIS3_PjPS5_jNS1_19radix_merge_compareILb0ELb1EjNS0_19identity_decomposerEEEEE10hipError_tT0_T1_T2_jT3_P12ihipStream_tbPNSt15iterator_traitsISE_E10value_typeEPNSK_ISF_E10value_typeEPSG_NS1_7vsmem_tEENKUlT_SE_SF_SG_E_clIS8_S8_S9_S9_EESD_ST_SE_SF_SG_EUlST_E_NS1_11comp_targetILNS1_3genE10ELNS1_11target_archE1201ELNS1_3gpuE5ELNS1_3repE0EEENS1_48merge_mergepath_partition_config_static_selectorELNS0_4arch9wavefront6targetE0EEEvSF_
    .private_segment_fixed_size: 0
    .sgpr_count:     0
    .sgpr_spill_count: 0
    .symbol:         _ZN7rocprim17ROCPRIM_400000_NS6detail17trampoline_kernelINS0_14default_configENS1_38merge_sort_block_merge_config_selectorIjNS0_10empty_typeEEEZZNS1_27merge_sort_block_merge_implIS3_PjPS5_jNS1_19radix_merge_compareILb0ELb1EjNS0_19identity_decomposerEEEEE10hipError_tT0_T1_T2_jT3_P12ihipStream_tbPNSt15iterator_traitsISE_E10value_typeEPNSK_ISF_E10value_typeEPSG_NS1_7vsmem_tEENKUlT_SE_SF_SG_E_clIS8_S8_S9_S9_EESD_ST_SE_SF_SG_EUlST_E_NS1_11comp_targetILNS1_3genE10ELNS1_11target_archE1201ELNS1_3gpuE5ELNS1_3repE0EEENS1_48merge_mergepath_partition_config_static_selectorELNS0_4arch9wavefront6targetE0EEEvSF_.kd
    .uniform_work_group_size: 1
    .uses_dynamic_stack: false
    .vgpr_count:     0
    .vgpr_spill_count: 0
    .wavefront_size: 32
  - .args:
      - .offset:         0
        .size:           40
        .value_kind:     by_value
    .group_segment_fixed_size: 0
    .kernarg_segment_align: 8
    .kernarg_segment_size: 40
    .language:       OpenCL C
    .language_version:
      - 2
      - 0
    .max_flat_workgroup_size: 128
    .name:           _ZN7rocprim17ROCPRIM_400000_NS6detail17trampoline_kernelINS0_14default_configENS1_38merge_sort_block_merge_config_selectorIjNS0_10empty_typeEEEZZNS1_27merge_sort_block_merge_implIS3_PjPS5_jNS1_19radix_merge_compareILb0ELb1EjNS0_19identity_decomposerEEEEE10hipError_tT0_T1_T2_jT3_P12ihipStream_tbPNSt15iterator_traitsISE_E10value_typeEPNSK_ISF_E10value_typeEPSG_NS1_7vsmem_tEENKUlT_SE_SF_SG_E_clIS8_S8_S9_S9_EESD_ST_SE_SF_SG_EUlST_E_NS1_11comp_targetILNS1_3genE5ELNS1_11target_archE942ELNS1_3gpuE9ELNS1_3repE0EEENS1_48merge_mergepath_partition_config_static_selectorELNS0_4arch9wavefront6targetE0EEEvSF_
    .private_segment_fixed_size: 0
    .sgpr_count:     0
    .sgpr_spill_count: 0
    .symbol:         _ZN7rocprim17ROCPRIM_400000_NS6detail17trampoline_kernelINS0_14default_configENS1_38merge_sort_block_merge_config_selectorIjNS0_10empty_typeEEEZZNS1_27merge_sort_block_merge_implIS3_PjPS5_jNS1_19radix_merge_compareILb0ELb1EjNS0_19identity_decomposerEEEEE10hipError_tT0_T1_T2_jT3_P12ihipStream_tbPNSt15iterator_traitsISE_E10value_typeEPNSK_ISF_E10value_typeEPSG_NS1_7vsmem_tEENKUlT_SE_SF_SG_E_clIS8_S8_S9_S9_EESD_ST_SE_SF_SG_EUlST_E_NS1_11comp_targetILNS1_3genE5ELNS1_11target_archE942ELNS1_3gpuE9ELNS1_3repE0EEENS1_48merge_mergepath_partition_config_static_selectorELNS0_4arch9wavefront6targetE0EEEvSF_.kd
    .uniform_work_group_size: 1
    .uses_dynamic_stack: false
    .vgpr_count:     0
    .vgpr_spill_count: 0
    .wavefront_size: 32
  - .args:
      - .offset:         0
        .size:           40
        .value_kind:     by_value
    .group_segment_fixed_size: 0
    .kernarg_segment_align: 8
    .kernarg_segment_size: 40
    .language:       OpenCL C
    .language_version:
      - 2
      - 0
    .max_flat_workgroup_size: 128
    .name:           _ZN7rocprim17ROCPRIM_400000_NS6detail17trampoline_kernelINS0_14default_configENS1_38merge_sort_block_merge_config_selectorIjNS0_10empty_typeEEEZZNS1_27merge_sort_block_merge_implIS3_PjPS5_jNS1_19radix_merge_compareILb0ELb1EjNS0_19identity_decomposerEEEEE10hipError_tT0_T1_T2_jT3_P12ihipStream_tbPNSt15iterator_traitsISE_E10value_typeEPNSK_ISF_E10value_typeEPSG_NS1_7vsmem_tEENKUlT_SE_SF_SG_E_clIS8_S8_S9_S9_EESD_ST_SE_SF_SG_EUlST_E_NS1_11comp_targetILNS1_3genE4ELNS1_11target_archE910ELNS1_3gpuE8ELNS1_3repE0EEENS1_48merge_mergepath_partition_config_static_selectorELNS0_4arch9wavefront6targetE0EEEvSF_
    .private_segment_fixed_size: 0
    .sgpr_count:     0
    .sgpr_spill_count: 0
    .symbol:         _ZN7rocprim17ROCPRIM_400000_NS6detail17trampoline_kernelINS0_14default_configENS1_38merge_sort_block_merge_config_selectorIjNS0_10empty_typeEEEZZNS1_27merge_sort_block_merge_implIS3_PjPS5_jNS1_19radix_merge_compareILb0ELb1EjNS0_19identity_decomposerEEEEE10hipError_tT0_T1_T2_jT3_P12ihipStream_tbPNSt15iterator_traitsISE_E10value_typeEPNSK_ISF_E10value_typeEPSG_NS1_7vsmem_tEENKUlT_SE_SF_SG_E_clIS8_S8_S9_S9_EESD_ST_SE_SF_SG_EUlST_E_NS1_11comp_targetILNS1_3genE4ELNS1_11target_archE910ELNS1_3gpuE8ELNS1_3repE0EEENS1_48merge_mergepath_partition_config_static_selectorELNS0_4arch9wavefront6targetE0EEEvSF_.kd
    .uniform_work_group_size: 1
    .uses_dynamic_stack: false
    .vgpr_count:     0
    .vgpr_spill_count: 0
    .wavefront_size: 32
  - .args:
      - .offset:         0
        .size:           40
        .value_kind:     by_value
    .group_segment_fixed_size: 0
    .kernarg_segment_align: 8
    .kernarg_segment_size: 40
    .language:       OpenCL C
    .language_version:
      - 2
      - 0
    .max_flat_workgroup_size: 128
    .name:           _ZN7rocprim17ROCPRIM_400000_NS6detail17trampoline_kernelINS0_14default_configENS1_38merge_sort_block_merge_config_selectorIjNS0_10empty_typeEEEZZNS1_27merge_sort_block_merge_implIS3_PjPS5_jNS1_19radix_merge_compareILb0ELb1EjNS0_19identity_decomposerEEEEE10hipError_tT0_T1_T2_jT3_P12ihipStream_tbPNSt15iterator_traitsISE_E10value_typeEPNSK_ISF_E10value_typeEPSG_NS1_7vsmem_tEENKUlT_SE_SF_SG_E_clIS8_S8_S9_S9_EESD_ST_SE_SF_SG_EUlST_E_NS1_11comp_targetILNS1_3genE3ELNS1_11target_archE908ELNS1_3gpuE7ELNS1_3repE0EEENS1_48merge_mergepath_partition_config_static_selectorELNS0_4arch9wavefront6targetE0EEEvSF_
    .private_segment_fixed_size: 0
    .sgpr_count:     0
    .sgpr_spill_count: 0
    .symbol:         _ZN7rocprim17ROCPRIM_400000_NS6detail17trampoline_kernelINS0_14default_configENS1_38merge_sort_block_merge_config_selectorIjNS0_10empty_typeEEEZZNS1_27merge_sort_block_merge_implIS3_PjPS5_jNS1_19radix_merge_compareILb0ELb1EjNS0_19identity_decomposerEEEEE10hipError_tT0_T1_T2_jT3_P12ihipStream_tbPNSt15iterator_traitsISE_E10value_typeEPNSK_ISF_E10value_typeEPSG_NS1_7vsmem_tEENKUlT_SE_SF_SG_E_clIS8_S8_S9_S9_EESD_ST_SE_SF_SG_EUlST_E_NS1_11comp_targetILNS1_3genE3ELNS1_11target_archE908ELNS1_3gpuE7ELNS1_3repE0EEENS1_48merge_mergepath_partition_config_static_selectorELNS0_4arch9wavefront6targetE0EEEvSF_.kd
    .uniform_work_group_size: 1
    .uses_dynamic_stack: false
    .vgpr_count:     0
    .vgpr_spill_count: 0
    .wavefront_size: 32
  - .args:
      - .offset:         0
        .size:           40
        .value_kind:     by_value
    .group_segment_fixed_size: 0
    .kernarg_segment_align: 8
    .kernarg_segment_size: 40
    .language:       OpenCL C
    .language_version:
      - 2
      - 0
    .max_flat_workgroup_size: 128
    .name:           _ZN7rocprim17ROCPRIM_400000_NS6detail17trampoline_kernelINS0_14default_configENS1_38merge_sort_block_merge_config_selectorIjNS0_10empty_typeEEEZZNS1_27merge_sort_block_merge_implIS3_PjPS5_jNS1_19radix_merge_compareILb0ELb1EjNS0_19identity_decomposerEEEEE10hipError_tT0_T1_T2_jT3_P12ihipStream_tbPNSt15iterator_traitsISE_E10value_typeEPNSK_ISF_E10value_typeEPSG_NS1_7vsmem_tEENKUlT_SE_SF_SG_E_clIS8_S8_S9_S9_EESD_ST_SE_SF_SG_EUlST_E_NS1_11comp_targetILNS1_3genE2ELNS1_11target_archE906ELNS1_3gpuE6ELNS1_3repE0EEENS1_48merge_mergepath_partition_config_static_selectorELNS0_4arch9wavefront6targetE0EEEvSF_
    .private_segment_fixed_size: 0
    .sgpr_count:     0
    .sgpr_spill_count: 0
    .symbol:         _ZN7rocprim17ROCPRIM_400000_NS6detail17trampoline_kernelINS0_14default_configENS1_38merge_sort_block_merge_config_selectorIjNS0_10empty_typeEEEZZNS1_27merge_sort_block_merge_implIS3_PjPS5_jNS1_19radix_merge_compareILb0ELb1EjNS0_19identity_decomposerEEEEE10hipError_tT0_T1_T2_jT3_P12ihipStream_tbPNSt15iterator_traitsISE_E10value_typeEPNSK_ISF_E10value_typeEPSG_NS1_7vsmem_tEENKUlT_SE_SF_SG_E_clIS8_S8_S9_S9_EESD_ST_SE_SF_SG_EUlST_E_NS1_11comp_targetILNS1_3genE2ELNS1_11target_archE906ELNS1_3gpuE6ELNS1_3repE0EEENS1_48merge_mergepath_partition_config_static_selectorELNS0_4arch9wavefront6targetE0EEEvSF_.kd
    .uniform_work_group_size: 1
    .uses_dynamic_stack: false
    .vgpr_count:     0
    .vgpr_spill_count: 0
    .wavefront_size: 32
  - .args:
      - .offset:         0
        .size:           40
        .value_kind:     by_value
    .group_segment_fixed_size: 0
    .kernarg_segment_align: 8
    .kernarg_segment_size: 40
    .language:       OpenCL C
    .language_version:
      - 2
      - 0
    .max_flat_workgroup_size: 128
    .name:           _ZN7rocprim17ROCPRIM_400000_NS6detail17trampoline_kernelINS0_14default_configENS1_38merge_sort_block_merge_config_selectorIjNS0_10empty_typeEEEZZNS1_27merge_sort_block_merge_implIS3_PjPS5_jNS1_19radix_merge_compareILb0ELb1EjNS0_19identity_decomposerEEEEE10hipError_tT0_T1_T2_jT3_P12ihipStream_tbPNSt15iterator_traitsISE_E10value_typeEPNSK_ISF_E10value_typeEPSG_NS1_7vsmem_tEENKUlT_SE_SF_SG_E_clIS8_S8_S9_S9_EESD_ST_SE_SF_SG_EUlST_E_NS1_11comp_targetILNS1_3genE9ELNS1_11target_archE1100ELNS1_3gpuE3ELNS1_3repE0EEENS1_48merge_mergepath_partition_config_static_selectorELNS0_4arch9wavefront6targetE0EEEvSF_
    .private_segment_fixed_size: 0
    .sgpr_count:     0
    .sgpr_spill_count: 0
    .symbol:         _ZN7rocprim17ROCPRIM_400000_NS6detail17trampoline_kernelINS0_14default_configENS1_38merge_sort_block_merge_config_selectorIjNS0_10empty_typeEEEZZNS1_27merge_sort_block_merge_implIS3_PjPS5_jNS1_19radix_merge_compareILb0ELb1EjNS0_19identity_decomposerEEEEE10hipError_tT0_T1_T2_jT3_P12ihipStream_tbPNSt15iterator_traitsISE_E10value_typeEPNSK_ISF_E10value_typeEPSG_NS1_7vsmem_tEENKUlT_SE_SF_SG_E_clIS8_S8_S9_S9_EESD_ST_SE_SF_SG_EUlST_E_NS1_11comp_targetILNS1_3genE9ELNS1_11target_archE1100ELNS1_3gpuE3ELNS1_3repE0EEENS1_48merge_mergepath_partition_config_static_selectorELNS0_4arch9wavefront6targetE0EEEvSF_.kd
    .uniform_work_group_size: 1
    .uses_dynamic_stack: false
    .vgpr_count:     0
    .vgpr_spill_count: 0
    .wavefront_size: 32
  - .args:
      - .offset:         0
        .size:           40
        .value_kind:     by_value
    .group_segment_fixed_size: 0
    .kernarg_segment_align: 8
    .kernarg_segment_size: 40
    .language:       OpenCL C
    .language_version:
      - 2
      - 0
    .max_flat_workgroup_size: 128
    .name:           _ZN7rocprim17ROCPRIM_400000_NS6detail17trampoline_kernelINS0_14default_configENS1_38merge_sort_block_merge_config_selectorIjNS0_10empty_typeEEEZZNS1_27merge_sort_block_merge_implIS3_PjPS5_jNS1_19radix_merge_compareILb0ELb1EjNS0_19identity_decomposerEEEEE10hipError_tT0_T1_T2_jT3_P12ihipStream_tbPNSt15iterator_traitsISE_E10value_typeEPNSK_ISF_E10value_typeEPSG_NS1_7vsmem_tEENKUlT_SE_SF_SG_E_clIS8_S8_S9_S9_EESD_ST_SE_SF_SG_EUlST_E_NS1_11comp_targetILNS1_3genE8ELNS1_11target_archE1030ELNS1_3gpuE2ELNS1_3repE0EEENS1_48merge_mergepath_partition_config_static_selectorELNS0_4arch9wavefront6targetE0EEEvSF_
    .private_segment_fixed_size: 0
    .sgpr_count:     0
    .sgpr_spill_count: 0
    .symbol:         _ZN7rocprim17ROCPRIM_400000_NS6detail17trampoline_kernelINS0_14default_configENS1_38merge_sort_block_merge_config_selectorIjNS0_10empty_typeEEEZZNS1_27merge_sort_block_merge_implIS3_PjPS5_jNS1_19radix_merge_compareILb0ELb1EjNS0_19identity_decomposerEEEEE10hipError_tT0_T1_T2_jT3_P12ihipStream_tbPNSt15iterator_traitsISE_E10value_typeEPNSK_ISF_E10value_typeEPSG_NS1_7vsmem_tEENKUlT_SE_SF_SG_E_clIS8_S8_S9_S9_EESD_ST_SE_SF_SG_EUlST_E_NS1_11comp_targetILNS1_3genE8ELNS1_11target_archE1030ELNS1_3gpuE2ELNS1_3repE0EEENS1_48merge_mergepath_partition_config_static_selectorELNS0_4arch9wavefront6targetE0EEEvSF_.kd
    .uniform_work_group_size: 1
    .uses_dynamic_stack: false
    .vgpr_count:     0
    .vgpr_spill_count: 0
    .wavefront_size: 32
  - .args:
      - .offset:         0
        .size:           64
        .value_kind:     by_value
      - .offset:         64
        .size:           4
        .value_kind:     hidden_block_count_x
      - .offset:         68
        .size:           4
        .value_kind:     hidden_block_count_y
      - .offset:         72
        .size:           4
        .value_kind:     hidden_block_count_z
      - .offset:         76
        .size:           2
        .value_kind:     hidden_group_size_x
      - .offset:         78
        .size:           2
        .value_kind:     hidden_group_size_y
      - .offset:         80
        .size:           2
        .value_kind:     hidden_group_size_z
      - .offset:         82
        .size:           2
        .value_kind:     hidden_remainder_x
      - .offset:         84
        .size:           2
        .value_kind:     hidden_remainder_y
      - .offset:         86
        .size:           2
        .value_kind:     hidden_remainder_z
      - .offset:         104
        .size:           8
        .value_kind:     hidden_global_offset_x
      - .offset:         112
        .size:           8
        .value_kind:     hidden_global_offset_y
      - .offset:         120
        .size:           8
        .value_kind:     hidden_global_offset_z
      - .offset:         128
        .size:           2
        .value_kind:     hidden_grid_dims
    .group_segment_fixed_size: 4224
    .kernarg_segment_align: 8
    .kernarg_segment_size: 320
    .language:       OpenCL C
    .language_version:
      - 2
      - 0
    .max_flat_workgroup_size: 128
    .name:           _ZN7rocprim17ROCPRIM_400000_NS6detail17trampoline_kernelINS0_14default_configENS1_38merge_sort_block_merge_config_selectorIjNS0_10empty_typeEEEZZNS1_27merge_sort_block_merge_implIS3_PjPS5_jNS1_19radix_merge_compareILb0ELb1EjNS0_19identity_decomposerEEEEE10hipError_tT0_T1_T2_jT3_P12ihipStream_tbPNSt15iterator_traitsISE_E10value_typeEPNSK_ISF_E10value_typeEPSG_NS1_7vsmem_tEENKUlT_SE_SF_SG_E_clIS8_S8_S9_S9_EESD_ST_SE_SF_SG_EUlST_E0_NS1_11comp_targetILNS1_3genE0ELNS1_11target_archE4294967295ELNS1_3gpuE0ELNS1_3repE0EEENS1_38merge_mergepath_config_static_selectorELNS0_4arch9wavefront6targetE0EEEvSF_
    .private_segment_fixed_size: 0
    .sgpr_count:     26
    .sgpr_spill_count: 0
    .symbol:         _ZN7rocprim17ROCPRIM_400000_NS6detail17trampoline_kernelINS0_14default_configENS1_38merge_sort_block_merge_config_selectorIjNS0_10empty_typeEEEZZNS1_27merge_sort_block_merge_implIS3_PjPS5_jNS1_19radix_merge_compareILb0ELb1EjNS0_19identity_decomposerEEEEE10hipError_tT0_T1_T2_jT3_P12ihipStream_tbPNSt15iterator_traitsISE_E10value_typeEPNSK_ISF_E10value_typeEPSG_NS1_7vsmem_tEENKUlT_SE_SF_SG_E_clIS8_S8_S9_S9_EESD_ST_SE_SF_SG_EUlST_E0_NS1_11comp_targetILNS1_3genE0ELNS1_11target_archE4294967295ELNS1_3gpuE0ELNS1_3repE0EEENS1_38merge_mergepath_config_static_selectorELNS0_4arch9wavefront6targetE0EEEvSF_.kd
    .uniform_work_group_size: 1
    .uses_dynamic_stack: false
    .vgpr_count:     32
    .vgpr_spill_count: 0
    .wavefront_size: 32
  - .args:
      - .offset:         0
        .size:           64
        .value_kind:     by_value
    .group_segment_fixed_size: 0
    .kernarg_segment_align: 8
    .kernarg_segment_size: 64
    .language:       OpenCL C
    .language_version:
      - 2
      - 0
    .max_flat_workgroup_size: 256
    .name:           _ZN7rocprim17ROCPRIM_400000_NS6detail17trampoline_kernelINS0_14default_configENS1_38merge_sort_block_merge_config_selectorIjNS0_10empty_typeEEEZZNS1_27merge_sort_block_merge_implIS3_PjPS5_jNS1_19radix_merge_compareILb0ELb1EjNS0_19identity_decomposerEEEEE10hipError_tT0_T1_T2_jT3_P12ihipStream_tbPNSt15iterator_traitsISE_E10value_typeEPNSK_ISF_E10value_typeEPSG_NS1_7vsmem_tEENKUlT_SE_SF_SG_E_clIS8_S8_S9_S9_EESD_ST_SE_SF_SG_EUlST_E0_NS1_11comp_targetILNS1_3genE10ELNS1_11target_archE1201ELNS1_3gpuE5ELNS1_3repE0EEENS1_38merge_mergepath_config_static_selectorELNS0_4arch9wavefront6targetE0EEEvSF_
    .private_segment_fixed_size: 0
    .sgpr_count:     0
    .sgpr_spill_count: 0
    .symbol:         _ZN7rocprim17ROCPRIM_400000_NS6detail17trampoline_kernelINS0_14default_configENS1_38merge_sort_block_merge_config_selectorIjNS0_10empty_typeEEEZZNS1_27merge_sort_block_merge_implIS3_PjPS5_jNS1_19radix_merge_compareILb0ELb1EjNS0_19identity_decomposerEEEEE10hipError_tT0_T1_T2_jT3_P12ihipStream_tbPNSt15iterator_traitsISE_E10value_typeEPNSK_ISF_E10value_typeEPSG_NS1_7vsmem_tEENKUlT_SE_SF_SG_E_clIS8_S8_S9_S9_EESD_ST_SE_SF_SG_EUlST_E0_NS1_11comp_targetILNS1_3genE10ELNS1_11target_archE1201ELNS1_3gpuE5ELNS1_3repE0EEENS1_38merge_mergepath_config_static_selectorELNS0_4arch9wavefront6targetE0EEEvSF_.kd
    .uniform_work_group_size: 1
    .uses_dynamic_stack: false
    .vgpr_count:     0
    .vgpr_spill_count: 0
    .wavefront_size: 32
  - .args:
      - .offset:         0
        .size:           64
        .value_kind:     by_value
    .group_segment_fixed_size: 0
    .kernarg_segment_align: 8
    .kernarg_segment_size: 64
    .language:       OpenCL C
    .language_version:
      - 2
      - 0
    .max_flat_workgroup_size: 128
    .name:           _ZN7rocprim17ROCPRIM_400000_NS6detail17trampoline_kernelINS0_14default_configENS1_38merge_sort_block_merge_config_selectorIjNS0_10empty_typeEEEZZNS1_27merge_sort_block_merge_implIS3_PjPS5_jNS1_19radix_merge_compareILb0ELb1EjNS0_19identity_decomposerEEEEE10hipError_tT0_T1_T2_jT3_P12ihipStream_tbPNSt15iterator_traitsISE_E10value_typeEPNSK_ISF_E10value_typeEPSG_NS1_7vsmem_tEENKUlT_SE_SF_SG_E_clIS8_S8_S9_S9_EESD_ST_SE_SF_SG_EUlST_E0_NS1_11comp_targetILNS1_3genE5ELNS1_11target_archE942ELNS1_3gpuE9ELNS1_3repE0EEENS1_38merge_mergepath_config_static_selectorELNS0_4arch9wavefront6targetE0EEEvSF_
    .private_segment_fixed_size: 0
    .sgpr_count:     0
    .sgpr_spill_count: 0
    .symbol:         _ZN7rocprim17ROCPRIM_400000_NS6detail17trampoline_kernelINS0_14default_configENS1_38merge_sort_block_merge_config_selectorIjNS0_10empty_typeEEEZZNS1_27merge_sort_block_merge_implIS3_PjPS5_jNS1_19radix_merge_compareILb0ELb1EjNS0_19identity_decomposerEEEEE10hipError_tT0_T1_T2_jT3_P12ihipStream_tbPNSt15iterator_traitsISE_E10value_typeEPNSK_ISF_E10value_typeEPSG_NS1_7vsmem_tEENKUlT_SE_SF_SG_E_clIS8_S8_S9_S9_EESD_ST_SE_SF_SG_EUlST_E0_NS1_11comp_targetILNS1_3genE5ELNS1_11target_archE942ELNS1_3gpuE9ELNS1_3repE0EEENS1_38merge_mergepath_config_static_selectorELNS0_4arch9wavefront6targetE0EEEvSF_.kd
    .uniform_work_group_size: 1
    .uses_dynamic_stack: false
    .vgpr_count:     0
    .vgpr_spill_count: 0
    .wavefront_size: 32
  - .args:
      - .offset:         0
        .size:           64
        .value_kind:     by_value
    .group_segment_fixed_size: 0
    .kernarg_segment_align: 8
    .kernarg_segment_size: 64
    .language:       OpenCL C
    .language_version:
      - 2
      - 0
    .max_flat_workgroup_size: 128
    .name:           _ZN7rocprim17ROCPRIM_400000_NS6detail17trampoline_kernelINS0_14default_configENS1_38merge_sort_block_merge_config_selectorIjNS0_10empty_typeEEEZZNS1_27merge_sort_block_merge_implIS3_PjPS5_jNS1_19radix_merge_compareILb0ELb1EjNS0_19identity_decomposerEEEEE10hipError_tT0_T1_T2_jT3_P12ihipStream_tbPNSt15iterator_traitsISE_E10value_typeEPNSK_ISF_E10value_typeEPSG_NS1_7vsmem_tEENKUlT_SE_SF_SG_E_clIS8_S8_S9_S9_EESD_ST_SE_SF_SG_EUlST_E0_NS1_11comp_targetILNS1_3genE4ELNS1_11target_archE910ELNS1_3gpuE8ELNS1_3repE0EEENS1_38merge_mergepath_config_static_selectorELNS0_4arch9wavefront6targetE0EEEvSF_
    .private_segment_fixed_size: 0
    .sgpr_count:     0
    .sgpr_spill_count: 0
    .symbol:         _ZN7rocprim17ROCPRIM_400000_NS6detail17trampoline_kernelINS0_14default_configENS1_38merge_sort_block_merge_config_selectorIjNS0_10empty_typeEEEZZNS1_27merge_sort_block_merge_implIS3_PjPS5_jNS1_19radix_merge_compareILb0ELb1EjNS0_19identity_decomposerEEEEE10hipError_tT0_T1_T2_jT3_P12ihipStream_tbPNSt15iterator_traitsISE_E10value_typeEPNSK_ISF_E10value_typeEPSG_NS1_7vsmem_tEENKUlT_SE_SF_SG_E_clIS8_S8_S9_S9_EESD_ST_SE_SF_SG_EUlST_E0_NS1_11comp_targetILNS1_3genE4ELNS1_11target_archE910ELNS1_3gpuE8ELNS1_3repE0EEENS1_38merge_mergepath_config_static_selectorELNS0_4arch9wavefront6targetE0EEEvSF_.kd
    .uniform_work_group_size: 1
    .uses_dynamic_stack: false
    .vgpr_count:     0
    .vgpr_spill_count: 0
    .wavefront_size: 32
  - .args:
      - .offset:         0
        .size:           64
        .value_kind:     by_value
    .group_segment_fixed_size: 0
    .kernarg_segment_align: 8
    .kernarg_segment_size: 64
    .language:       OpenCL C
    .language_version:
      - 2
      - 0
    .max_flat_workgroup_size: 128
    .name:           _ZN7rocprim17ROCPRIM_400000_NS6detail17trampoline_kernelINS0_14default_configENS1_38merge_sort_block_merge_config_selectorIjNS0_10empty_typeEEEZZNS1_27merge_sort_block_merge_implIS3_PjPS5_jNS1_19radix_merge_compareILb0ELb1EjNS0_19identity_decomposerEEEEE10hipError_tT0_T1_T2_jT3_P12ihipStream_tbPNSt15iterator_traitsISE_E10value_typeEPNSK_ISF_E10value_typeEPSG_NS1_7vsmem_tEENKUlT_SE_SF_SG_E_clIS8_S8_S9_S9_EESD_ST_SE_SF_SG_EUlST_E0_NS1_11comp_targetILNS1_3genE3ELNS1_11target_archE908ELNS1_3gpuE7ELNS1_3repE0EEENS1_38merge_mergepath_config_static_selectorELNS0_4arch9wavefront6targetE0EEEvSF_
    .private_segment_fixed_size: 0
    .sgpr_count:     0
    .sgpr_spill_count: 0
    .symbol:         _ZN7rocprim17ROCPRIM_400000_NS6detail17trampoline_kernelINS0_14default_configENS1_38merge_sort_block_merge_config_selectorIjNS0_10empty_typeEEEZZNS1_27merge_sort_block_merge_implIS3_PjPS5_jNS1_19radix_merge_compareILb0ELb1EjNS0_19identity_decomposerEEEEE10hipError_tT0_T1_T2_jT3_P12ihipStream_tbPNSt15iterator_traitsISE_E10value_typeEPNSK_ISF_E10value_typeEPSG_NS1_7vsmem_tEENKUlT_SE_SF_SG_E_clIS8_S8_S9_S9_EESD_ST_SE_SF_SG_EUlST_E0_NS1_11comp_targetILNS1_3genE3ELNS1_11target_archE908ELNS1_3gpuE7ELNS1_3repE0EEENS1_38merge_mergepath_config_static_selectorELNS0_4arch9wavefront6targetE0EEEvSF_.kd
    .uniform_work_group_size: 1
    .uses_dynamic_stack: false
    .vgpr_count:     0
    .vgpr_spill_count: 0
    .wavefront_size: 32
  - .args:
      - .offset:         0
        .size:           64
        .value_kind:     by_value
    .group_segment_fixed_size: 0
    .kernarg_segment_align: 8
    .kernarg_segment_size: 64
    .language:       OpenCL C
    .language_version:
      - 2
      - 0
    .max_flat_workgroup_size: 128
    .name:           _ZN7rocprim17ROCPRIM_400000_NS6detail17trampoline_kernelINS0_14default_configENS1_38merge_sort_block_merge_config_selectorIjNS0_10empty_typeEEEZZNS1_27merge_sort_block_merge_implIS3_PjPS5_jNS1_19radix_merge_compareILb0ELb1EjNS0_19identity_decomposerEEEEE10hipError_tT0_T1_T2_jT3_P12ihipStream_tbPNSt15iterator_traitsISE_E10value_typeEPNSK_ISF_E10value_typeEPSG_NS1_7vsmem_tEENKUlT_SE_SF_SG_E_clIS8_S8_S9_S9_EESD_ST_SE_SF_SG_EUlST_E0_NS1_11comp_targetILNS1_3genE2ELNS1_11target_archE906ELNS1_3gpuE6ELNS1_3repE0EEENS1_38merge_mergepath_config_static_selectorELNS0_4arch9wavefront6targetE0EEEvSF_
    .private_segment_fixed_size: 0
    .sgpr_count:     0
    .sgpr_spill_count: 0
    .symbol:         _ZN7rocprim17ROCPRIM_400000_NS6detail17trampoline_kernelINS0_14default_configENS1_38merge_sort_block_merge_config_selectorIjNS0_10empty_typeEEEZZNS1_27merge_sort_block_merge_implIS3_PjPS5_jNS1_19radix_merge_compareILb0ELb1EjNS0_19identity_decomposerEEEEE10hipError_tT0_T1_T2_jT3_P12ihipStream_tbPNSt15iterator_traitsISE_E10value_typeEPNSK_ISF_E10value_typeEPSG_NS1_7vsmem_tEENKUlT_SE_SF_SG_E_clIS8_S8_S9_S9_EESD_ST_SE_SF_SG_EUlST_E0_NS1_11comp_targetILNS1_3genE2ELNS1_11target_archE906ELNS1_3gpuE6ELNS1_3repE0EEENS1_38merge_mergepath_config_static_selectorELNS0_4arch9wavefront6targetE0EEEvSF_.kd
    .uniform_work_group_size: 1
    .uses_dynamic_stack: false
    .vgpr_count:     0
    .vgpr_spill_count: 0
    .wavefront_size: 32
  - .args:
      - .offset:         0
        .size:           64
        .value_kind:     by_value
    .group_segment_fixed_size: 0
    .kernarg_segment_align: 8
    .kernarg_segment_size: 64
    .language:       OpenCL C
    .language_version:
      - 2
      - 0
    .max_flat_workgroup_size: 256
    .name:           _ZN7rocprim17ROCPRIM_400000_NS6detail17trampoline_kernelINS0_14default_configENS1_38merge_sort_block_merge_config_selectorIjNS0_10empty_typeEEEZZNS1_27merge_sort_block_merge_implIS3_PjPS5_jNS1_19radix_merge_compareILb0ELb1EjNS0_19identity_decomposerEEEEE10hipError_tT0_T1_T2_jT3_P12ihipStream_tbPNSt15iterator_traitsISE_E10value_typeEPNSK_ISF_E10value_typeEPSG_NS1_7vsmem_tEENKUlT_SE_SF_SG_E_clIS8_S8_S9_S9_EESD_ST_SE_SF_SG_EUlST_E0_NS1_11comp_targetILNS1_3genE9ELNS1_11target_archE1100ELNS1_3gpuE3ELNS1_3repE0EEENS1_38merge_mergepath_config_static_selectorELNS0_4arch9wavefront6targetE0EEEvSF_
    .private_segment_fixed_size: 0
    .sgpr_count:     0
    .sgpr_spill_count: 0
    .symbol:         _ZN7rocprim17ROCPRIM_400000_NS6detail17trampoline_kernelINS0_14default_configENS1_38merge_sort_block_merge_config_selectorIjNS0_10empty_typeEEEZZNS1_27merge_sort_block_merge_implIS3_PjPS5_jNS1_19radix_merge_compareILb0ELb1EjNS0_19identity_decomposerEEEEE10hipError_tT0_T1_T2_jT3_P12ihipStream_tbPNSt15iterator_traitsISE_E10value_typeEPNSK_ISF_E10value_typeEPSG_NS1_7vsmem_tEENKUlT_SE_SF_SG_E_clIS8_S8_S9_S9_EESD_ST_SE_SF_SG_EUlST_E0_NS1_11comp_targetILNS1_3genE9ELNS1_11target_archE1100ELNS1_3gpuE3ELNS1_3repE0EEENS1_38merge_mergepath_config_static_selectorELNS0_4arch9wavefront6targetE0EEEvSF_.kd
    .uniform_work_group_size: 1
    .uses_dynamic_stack: false
    .vgpr_count:     0
    .vgpr_spill_count: 0
    .wavefront_size: 32
  - .args:
      - .offset:         0
        .size:           64
        .value_kind:     by_value
    .group_segment_fixed_size: 0
    .kernarg_segment_align: 8
    .kernarg_segment_size: 64
    .language:       OpenCL C
    .language_version:
      - 2
      - 0
    .max_flat_workgroup_size: 512
    .name:           _ZN7rocprim17ROCPRIM_400000_NS6detail17trampoline_kernelINS0_14default_configENS1_38merge_sort_block_merge_config_selectorIjNS0_10empty_typeEEEZZNS1_27merge_sort_block_merge_implIS3_PjPS5_jNS1_19radix_merge_compareILb0ELb1EjNS0_19identity_decomposerEEEEE10hipError_tT0_T1_T2_jT3_P12ihipStream_tbPNSt15iterator_traitsISE_E10value_typeEPNSK_ISF_E10value_typeEPSG_NS1_7vsmem_tEENKUlT_SE_SF_SG_E_clIS8_S8_S9_S9_EESD_ST_SE_SF_SG_EUlST_E0_NS1_11comp_targetILNS1_3genE8ELNS1_11target_archE1030ELNS1_3gpuE2ELNS1_3repE0EEENS1_38merge_mergepath_config_static_selectorELNS0_4arch9wavefront6targetE0EEEvSF_
    .private_segment_fixed_size: 0
    .sgpr_count:     0
    .sgpr_spill_count: 0
    .symbol:         _ZN7rocprim17ROCPRIM_400000_NS6detail17trampoline_kernelINS0_14default_configENS1_38merge_sort_block_merge_config_selectorIjNS0_10empty_typeEEEZZNS1_27merge_sort_block_merge_implIS3_PjPS5_jNS1_19radix_merge_compareILb0ELb1EjNS0_19identity_decomposerEEEEE10hipError_tT0_T1_T2_jT3_P12ihipStream_tbPNSt15iterator_traitsISE_E10value_typeEPNSK_ISF_E10value_typeEPSG_NS1_7vsmem_tEENKUlT_SE_SF_SG_E_clIS8_S8_S9_S9_EESD_ST_SE_SF_SG_EUlST_E0_NS1_11comp_targetILNS1_3genE8ELNS1_11target_archE1030ELNS1_3gpuE2ELNS1_3repE0EEENS1_38merge_mergepath_config_static_selectorELNS0_4arch9wavefront6targetE0EEEvSF_.kd
    .uniform_work_group_size: 1
    .uses_dynamic_stack: false
    .vgpr_count:     0
    .vgpr_spill_count: 0
    .wavefront_size: 32
  - .args:
      - .offset:         0
        .size:           48
        .value_kind:     by_value
    .group_segment_fixed_size: 0
    .kernarg_segment_align: 8
    .kernarg_segment_size: 48
    .language:       OpenCL C
    .language_version:
      - 2
      - 0
    .max_flat_workgroup_size: 256
    .name:           _ZN7rocprim17ROCPRIM_400000_NS6detail17trampoline_kernelINS0_14default_configENS1_38merge_sort_block_merge_config_selectorIjNS0_10empty_typeEEEZZNS1_27merge_sort_block_merge_implIS3_PjPS5_jNS1_19radix_merge_compareILb0ELb1EjNS0_19identity_decomposerEEEEE10hipError_tT0_T1_T2_jT3_P12ihipStream_tbPNSt15iterator_traitsISE_E10value_typeEPNSK_ISF_E10value_typeEPSG_NS1_7vsmem_tEENKUlT_SE_SF_SG_E_clIS8_S8_S9_S9_EESD_ST_SE_SF_SG_EUlST_E1_NS1_11comp_targetILNS1_3genE0ELNS1_11target_archE4294967295ELNS1_3gpuE0ELNS1_3repE0EEENS1_36merge_oddeven_config_static_selectorELNS0_4arch9wavefront6targetE0EEEvSF_
    .private_segment_fixed_size: 0
    .sgpr_count:     20
    .sgpr_spill_count: 0
    .symbol:         _ZN7rocprim17ROCPRIM_400000_NS6detail17trampoline_kernelINS0_14default_configENS1_38merge_sort_block_merge_config_selectorIjNS0_10empty_typeEEEZZNS1_27merge_sort_block_merge_implIS3_PjPS5_jNS1_19radix_merge_compareILb0ELb1EjNS0_19identity_decomposerEEEEE10hipError_tT0_T1_T2_jT3_P12ihipStream_tbPNSt15iterator_traitsISE_E10value_typeEPNSK_ISF_E10value_typeEPSG_NS1_7vsmem_tEENKUlT_SE_SF_SG_E_clIS8_S8_S9_S9_EESD_ST_SE_SF_SG_EUlST_E1_NS1_11comp_targetILNS1_3genE0ELNS1_11target_archE4294967295ELNS1_3gpuE0ELNS1_3repE0EEENS1_36merge_oddeven_config_static_selectorELNS0_4arch9wavefront6targetE0EEEvSF_.kd
    .uniform_work_group_size: 1
    .uses_dynamic_stack: false
    .vgpr_count:     8
    .vgpr_spill_count: 0
    .wavefront_size: 32
  - .args:
      - .offset:         0
        .size:           48
        .value_kind:     by_value
    .group_segment_fixed_size: 0
    .kernarg_segment_align: 8
    .kernarg_segment_size: 48
    .language:       OpenCL C
    .language_version:
      - 2
      - 0
    .max_flat_workgroup_size: 256
    .name:           _ZN7rocprim17ROCPRIM_400000_NS6detail17trampoline_kernelINS0_14default_configENS1_38merge_sort_block_merge_config_selectorIjNS0_10empty_typeEEEZZNS1_27merge_sort_block_merge_implIS3_PjPS5_jNS1_19radix_merge_compareILb0ELb1EjNS0_19identity_decomposerEEEEE10hipError_tT0_T1_T2_jT3_P12ihipStream_tbPNSt15iterator_traitsISE_E10value_typeEPNSK_ISF_E10value_typeEPSG_NS1_7vsmem_tEENKUlT_SE_SF_SG_E_clIS8_S8_S9_S9_EESD_ST_SE_SF_SG_EUlST_E1_NS1_11comp_targetILNS1_3genE10ELNS1_11target_archE1201ELNS1_3gpuE5ELNS1_3repE0EEENS1_36merge_oddeven_config_static_selectorELNS0_4arch9wavefront6targetE0EEEvSF_
    .private_segment_fixed_size: 0
    .sgpr_count:     0
    .sgpr_spill_count: 0
    .symbol:         _ZN7rocprim17ROCPRIM_400000_NS6detail17trampoline_kernelINS0_14default_configENS1_38merge_sort_block_merge_config_selectorIjNS0_10empty_typeEEEZZNS1_27merge_sort_block_merge_implIS3_PjPS5_jNS1_19radix_merge_compareILb0ELb1EjNS0_19identity_decomposerEEEEE10hipError_tT0_T1_T2_jT3_P12ihipStream_tbPNSt15iterator_traitsISE_E10value_typeEPNSK_ISF_E10value_typeEPSG_NS1_7vsmem_tEENKUlT_SE_SF_SG_E_clIS8_S8_S9_S9_EESD_ST_SE_SF_SG_EUlST_E1_NS1_11comp_targetILNS1_3genE10ELNS1_11target_archE1201ELNS1_3gpuE5ELNS1_3repE0EEENS1_36merge_oddeven_config_static_selectorELNS0_4arch9wavefront6targetE0EEEvSF_.kd
    .uniform_work_group_size: 1
    .uses_dynamic_stack: false
    .vgpr_count:     0
    .vgpr_spill_count: 0
    .wavefront_size: 32
  - .args:
      - .offset:         0
        .size:           48
        .value_kind:     by_value
    .group_segment_fixed_size: 0
    .kernarg_segment_align: 8
    .kernarg_segment_size: 48
    .language:       OpenCL C
    .language_version:
      - 2
      - 0
    .max_flat_workgroup_size: 256
    .name:           _ZN7rocprim17ROCPRIM_400000_NS6detail17trampoline_kernelINS0_14default_configENS1_38merge_sort_block_merge_config_selectorIjNS0_10empty_typeEEEZZNS1_27merge_sort_block_merge_implIS3_PjPS5_jNS1_19radix_merge_compareILb0ELb1EjNS0_19identity_decomposerEEEEE10hipError_tT0_T1_T2_jT3_P12ihipStream_tbPNSt15iterator_traitsISE_E10value_typeEPNSK_ISF_E10value_typeEPSG_NS1_7vsmem_tEENKUlT_SE_SF_SG_E_clIS8_S8_S9_S9_EESD_ST_SE_SF_SG_EUlST_E1_NS1_11comp_targetILNS1_3genE5ELNS1_11target_archE942ELNS1_3gpuE9ELNS1_3repE0EEENS1_36merge_oddeven_config_static_selectorELNS0_4arch9wavefront6targetE0EEEvSF_
    .private_segment_fixed_size: 0
    .sgpr_count:     0
    .sgpr_spill_count: 0
    .symbol:         _ZN7rocprim17ROCPRIM_400000_NS6detail17trampoline_kernelINS0_14default_configENS1_38merge_sort_block_merge_config_selectorIjNS0_10empty_typeEEEZZNS1_27merge_sort_block_merge_implIS3_PjPS5_jNS1_19radix_merge_compareILb0ELb1EjNS0_19identity_decomposerEEEEE10hipError_tT0_T1_T2_jT3_P12ihipStream_tbPNSt15iterator_traitsISE_E10value_typeEPNSK_ISF_E10value_typeEPSG_NS1_7vsmem_tEENKUlT_SE_SF_SG_E_clIS8_S8_S9_S9_EESD_ST_SE_SF_SG_EUlST_E1_NS1_11comp_targetILNS1_3genE5ELNS1_11target_archE942ELNS1_3gpuE9ELNS1_3repE0EEENS1_36merge_oddeven_config_static_selectorELNS0_4arch9wavefront6targetE0EEEvSF_.kd
    .uniform_work_group_size: 1
    .uses_dynamic_stack: false
    .vgpr_count:     0
    .vgpr_spill_count: 0
    .wavefront_size: 32
  - .args:
      - .offset:         0
        .size:           48
        .value_kind:     by_value
    .group_segment_fixed_size: 0
    .kernarg_segment_align: 8
    .kernarg_segment_size: 48
    .language:       OpenCL C
    .language_version:
      - 2
      - 0
    .max_flat_workgroup_size: 256
    .name:           _ZN7rocprim17ROCPRIM_400000_NS6detail17trampoline_kernelINS0_14default_configENS1_38merge_sort_block_merge_config_selectorIjNS0_10empty_typeEEEZZNS1_27merge_sort_block_merge_implIS3_PjPS5_jNS1_19radix_merge_compareILb0ELb1EjNS0_19identity_decomposerEEEEE10hipError_tT0_T1_T2_jT3_P12ihipStream_tbPNSt15iterator_traitsISE_E10value_typeEPNSK_ISF_E10value_typeEPSG_NS1_7vsmem_tEENKUlT_SE_SF_SG_E_clIS8_S8_S9_S9_EESD_ST_SE_SF_SG_EUlST_E1_NS1_11comp_targetILNS1_3genE4ELNS1_11target_archE910ELNS1_3gpuE8ELNS1_3repE0EEENS1_36merge_oddeven_config_static_selectorELNS0_4arch9wavefront6targetE0EEEvSF_
    .private_segment_fixed_size: 0
    .sgpr_count:     0
    .sgpr_spill_count: 0
    .symbol:         _ZN7rocprim17ROCPRIM_400000_NS6detail17trampoline_kernelINS0_14default_configENS1_38merge_sort_block_merge_config_selectorIjNS0_10empty_typeEEEZZNS1_27merge_sort_block_merge_implIS3_PjPS5_jNS1_19radix_merge_compareILb0ELb1EjNS0_19identity_decomposerEEEEE10hipError_tT0_T1_T2_jT3_P12ihipStream_tbPNSt15iterator_traitsISE_E10value_typeEPNSK_ISF_E10value_typeEPSG_NS1_7vsmem_tEENKUlT_SE_SF_SG_E_clIS8_S8_S9_S9_EESD_ST_SE_SF_SG_EUlST_E1_NS1_11comp_targetILNS1_3genE4ELNS1_11target_archE910ELNS1_3gpuE8ELNS1_3repE0EEENS1_36merge_oddeven_config_static_selectorELNS0_4arch9wavefront6targetE0EEEvSF_.kd
    .uniform_work_group_size: 1
    .uses_dynamic_stack: false
    .vgpr_count:     0
    .vgpr_spill_count: 0
    .wavefront_size: 32
  - .args:
      - .offset:         0
        .size:           48
        .value_kind:     by_value
    .group_segment_fixed_size: 0
    .kernarg_segment_align: 8
    .kernarg_segment_size: 48
    .language:       OpenCL C
    .language_version:
      - 2
      - 0
    .max_flat_workgroup_size: 256
    .name:           _ZN7rocprim17ROCPRIM_400000_NS6detail17trampoline_kernelINS0_14default_configENS1_38merge_sort_block_merge_config_selectorIjNS0_10empty_typeEEEZZNS1_27merge_sort_block_merge_implIS3_PjPS5_jNS1_19radix_merge_compareILb0ELb1EjNS0_19identity_decomposerEEEEE10hipError_tT0_T1_T2_jT3_P12ihipStream_tbPNSt15iterator_traitsISE_E10value_typeEPNSK_ISF_E10value_typeEPSG_NS1_7vsmem_tEENKUlT_SE_SF_SG_E_clIS8_S8_S9_S9_EESD_ST_SE_SF_SG_EUlST_E1_NS1_11comp_targetILNS1_3genE3ELNS1_11target_archE908ELNS1_3gpuE7ELNS1_3repE0EEENS1_36merge_oddeven_config_static_selectorELNS0_4arch9wavefront6targetE0EEEvSF_
    .private_segment_fixed_size: 0
    .sgpr_count:     0
    .sgpr_spill_count: 0
    .symbol:         _ZN7rocprim17ROCPRIM_400000_NS6detail17trampoline_kernelINS0_14default_configENS1_38merge_sort_block_merge_config_selectorIjNS0_10empty_typeEEEZZNS1_27merge_sort_block_merge_implIS3_PjPS5_jNS1_19radix_merge_compareILb0ELb1EjNS0_19identity_decomposerEEEEE10hipError_tT0_T1_T2_jT3_P12ihipStream_tbPNSt15iterator_traitsISE_E10value_typeEPNSK_ISF_E10value_typeEPSG_NS1_7vsmem_tEENKUlT_SE_SF_SG_E_clIS8_S8_S9_S9_EESD_ST_SE_SF_SG_EUlST_E1_NS1_11comp_targetILNS1_3genE3ELNS1_11target_archE908ELNS1_3gpuE7ELNS1_3repE0EEENS1_36merge_oddeven_config_static_selectorELNS0_4arch9wavefront6targetE0EEEvSF_.kd
    .uniform_work_group_size: 1
    .uses_dynamic_stack: false
    .vgpr_count:     0
    .vgpr_spill_count: 0
    .wavefront_size: 32
  - .args:
      - .offset:         0
        .size:           48
        .value_kind:     by_value
    .group_segment_fixed_size: 0
    .kernarg_segment_align: 8
    .kernarg_segment_size: 48
    .language:       OpenCL C
    .language_version:
      - 2
      - 0
    .max_flat_workgroup_size: 256
    .name:           _ZN7rocprim17ROCPRIM_400000_NS6detail17trampoline_kernelINS0_14default_configENS1_38merge_sort_block_merge_config_selectorIjNS0_10empty_typeEEEZZNS1_27merge_sort_block_merge_implIS3_PjPS5_jNS1_19radix_merge_compareILb0ELb1EjNS0_19identity_decomposerEEEEE10hipError_tT0_T1_T2_jT3_P12ihipStream_tbPNSt15iterator_traitsISE_E10value_typeEPNSK_ISF_E10value_typeEPSG_NS1_7vsmem_tEENKUlT_SE_SF_SG_E_clIS8_S8_S9_S9_EESD_ST_SE_SF_SG_EUlST_E1_NS1_11comp_targetILNS1_3genE2ELNS1_11target_archE906ELNS1_3gpuE6ELNS1_3repE0EEENS1_36merge_oddeven_config_static_selectorELNS0_4arch9wavefront6targetE0EEEvSF_
    .private_segment_fixed_size: 0
    .sgpr_count:     0
    .sgpr_spill_count: 0
    .symbol:         _ZN7rocprim17ROCPRIM_400000_NS6detail17trampoline_kernelINS0_14default_configENS1_38merge_sort_block_merge_config_selectorIjNS0_10empty_typeEEEZZNS1_27merge_sort_block_merge_implIS3_PjPS5_jNS1_19radix_merge_compareILb0ELb1EjNS0_19identity_decomposerEEEEE10hipError_tT0_T1_T2_jT3_P12ihipStream_tbPNSt15iterator_traitsISE_E10value_typeEPNSK_ISF_E10value_typeEPSG_NS1_7vsmem_tEENKUlT_SE_SF_SG_E_clIS8_S8_S9_S9_EESD_ST_SE_SF_SG_EUlST_E1_NS1_11comp_targetILNS1_3genE2ELNS1_11target_archE906ELNS1_3gpuE6ELNS1_3repE0EEENS1_36merge_oddeven_config_static_selectorELNS0_4arch9wavefront6targetE0EEEvSF_.kd
    .uniform_work_group_size: 1
    .uses_dynamic_stack: false
    .vgpr_count:     0
    .vgpr_spill_count: 0
    .wavefront_size: 32
  - .args:
      - .offset:         0
        .size:           48
        .value_kind:     by_value
    .group_segment_fixed_size: 0
    .kernarg_segment_align: 8
    .kernarg_segment_size: 48
    .language:       OpenCL C
    .language_version:
      - 2
      - 0
    .max_flat_workgroup_size: 256
    .name:           _ZN7rocprim17ROCPRIM_400000_NS6detail17trampoline_kernelINS0_14default_configENS1_38merge_sort_block_merge_config_selectorIjNS0_10empty_typeEEEZZNS1_27merge_sort_block_merge_implIS3_PjPS5_jNS1_19radix_merge_compareILb0ELb1EjNS0_19identity_decomposerEEEEE10hipError_tT0_T1_T2_jT3_P12ihipStream_tbPNSt15iterator_traitsISE_E10value_typeEPNSK_ISF_E10value_typeEPSG_NS1_7vsmem_tEENKUlT_SE_SF_SG_E_clIS8_S8_S9_S9_EESD_ST_SE_SF_SG_EUlST_E1_NS1_11comp_targetILNS1_3genE9ELNS1_11target_archE1100ELNS1_3gpuE3ELNS1_3repE0EEENS1_36merge_oddeven_config_static_selectorELNS0_4arch9wavefront6targetE0EEEvSF_
    .private_segment_fixed_size: 0
    .sgpr_count:     0
    .sgpr_spill_count: 0
    .symbol:         _ZN7rocprim17ROCPRIM_400000_NS6detail17trampoline_kernelINS0_14default_configENS1_38merge_sort_block_merge_config_selectorIjNS0_10empty_typeEEEZZNS1_27merge_sort_block_merge_implIS3_PjPS5_jNS1_19radix_merge_compareILb0ELb1EjNS0_19identity_decomposerEEEEE10hipError_tT0_T1_T2_jT3_P12ihipStream_tbPNSt15iterator_traitsISE_E10value_typeEPNSK_ISF_E10value_typeEPSG_NS1_7vsmem_tEENKUlT_SE_SF_SG_E_clIS8_S8_S9_S9_EESD_ST_SE_SF_SG_EUlST_E1_NS1_11comp_targetILNS1_3genE9ELNS1_11target_archE1100ELNS1_3gpuE3ELNS1_3repE0EEENS1_36merge_oddeven_config_static_selectorELNS0_4arch9wavefront6targetE0EEEvSF_.kd
    .uniform_work_group_size: 1
    .uses_dynamic_stack: false
    .vgpr_count:     0
    .vgpr_spill_count: 0
    .wavefront_size: 32
  - .args:
      - .offset:         0
        .size:           48
        .value_kind:     by_value
    .group_segment_fixed_size: 0
    .kernarg_segment_align: 8
    .kernarg_segment_size: 48
    .language:       OpenCL C
    .language_version:
      - 2
      - 0
    .max_flat_workgroup_size: 256
    .name:           _ZN7rocprim17ROCPRIM_400000_NS6detail17trampoline_kernelINS0_14default_configENS1_38merge_sort_block_merge_config_selectorIjNS0_10empty_typeEEEZZNS1_27merge_sort_block_merge_implIS3_PjPS5_jNS1_19radix_merge_compareILb0ELb1EjNS0_19identity_decomposerEEEEE10hipError_tT0_T1_T2_jT3_P12ihipStream_tbPNSt15iterator_traitsISE_E10value_typeEPNSK_ISF_E10value_typeEPSG_NS1_7vsmem_tEENKUlT_SE_SF_SG_E_clIS8_S8_S9_S9_EESD_ST_SE_SF_SG_EUlST_E1_NS1_11comp_targetILNS1_3genE8ELNS1_11target_archE1030ELNS1_3gpuE2ELNS1_3repE0EEENS1_36merge_oddeven_config_static_selectorELNS0_4arch9wavefront6targetE0EEEvSF_
    .private_segment_fixed_size: 0
    .sgpr_count:     0
    .sgpr_spill_count: 0
    .symbol:         _ZN7rocprim17ROCPRIM_400000_NS6detail17trampoline_kernelINS0_14default_configENS1_38merge_sort_block_merge_config_selectorIjNS0_10empty_typeEEEZZNS1_27merge_sort_block_merge_implIS3_PjPS5_jNS1_19radix_merge_compareILb0ELb1EjNS0_19identity_decomposerEEEEE10hipError_tT0_T1_T2_jT3_P12ihipStream_tbPNSt15iterator_traitsISE_E10value_typeEPNSK_ISF_E10value_typeEPSG_NS1_7vsmem_tEENKUlT_SE_SF_SG_E_clIS8_S8_S9_S9_EESD_ST_SE_SF_SG_EUlST_E1_NS1_11comp_targetILNS1_3genE8ELNS1_11target_archE1030ELNS1_3gpuE2ELNS1_3repE0EEENS1_36merge_oddeven_config_static_selectorELNS0_4arch9wavefront6targetE0EEEvSF_.kd
    .uniform_work_group_size: 1
    .uses_dynamic_stack: false
    .vgpr_count:     0
    .vgpr_spill_count: 0
    .wavefront_size: 32
  - .args:
      - .offset:         0
        .size:           48
        .value_kind:     by_value
    .group_segment_fixed_size: 16384
    .kernarg_segment_align: 8
    .kernarg_segment_size: 48
    .language:       OpenCL C
    .language_version:
      - 2
      - 0
    .max_flat_workgroup_size: 512
    .name:           _ZN7rocprim17ROCPRIM_400000_NS6detail17trampoline_kernelINS0_14default_configENS1_35radix_sort_onesweep_config_selectorIjNS0_10empty_typeEEEZNS1_34radix_sort_onesweep_global_offsetsIS3_Lb0EPKjPS5_mNS0_19identity_decomposerEEE10hipError_tT1_T2_PT3_SF_jT4_jjP12ihipStream_tbEUlT_E_NS1_11comp_targetILNS1_3genE0ELNS1_11target_archE4294967295ELNS1_3gpuE0ELNS1_3repE0EEENS1_52radix_sort_onesweep_histogram_config_static_selectorELNS0_4arch9wavefront6targetE0EEEvSD_
    .private_segment_fixed_size: 0
    .sgpr_count:     15
    .sgpr_spill_count: 0
    .symbol:         _ZN7rocprim17ROCPRIM_400000_NS6detail17trampoline_kernelINS0_14default_configENS1_35radix_sort_onesweep_config_selectorIjNS0_10empty_typeEEEZNS1_34radix_sort_onesweep_global_offsetsIS3_Lb0EPKjPS5_mNS0_19identity_decomposerEEE10hipError_tT1_T2_PT3_SF_jT4_jjP12ihipStream_tbEUlT_E_NS1_11comp_targetILNS1_3genE0ELNS1_11target_archE4294967295ELNS1_3gpuE0ELNS1_3repE0EEENS1_52radix_sort_onesweep_histogram_config_static_selectorELNS0_4arch9wavefront6targetE0EEEvSD_.kd
    .uniform_work_group_size: 1
    .uses_dynamic_stack: false
    .vgpr_count:     28
    .vgpr_spill_count: 0
    .wavefront_size: 32
  - .args:
      - .offset:         0
        .size:           48
        .value_kind:     by_value
    .group_segment_fixed_size: 0
    .kernarg_segment_align: 8
    .kernarg_segment_size: 48
    .language:       OpenCL C
    .language_version:
      - 2
      - 0
    .max_flat_workgroup_size: 1024
    .name:           _ZN7rocprim17ROCPRIM_400000_NS6detail17trampoline_kernelINS0_14default_configENS1_35radix_sort_onesweep_config_selectorIjNS0_10empty_typeEEEZNS1_34radix_sort_onesweep_global_offsetsIS3_Lb0EPKjPS5_mNS0_19identity_decomposerEEE10hipError_tT1_T2_PT3_SF_jT4_jjP12ihipStream_tbEUlT_E_NS1_11comp_targetILNS1_3genE6ELNS1_11target_archE950ELNS1_3gpuE13ELNS1_3repE0EEENS1_52radix_sort_onesweep_histogram_config_static_selectorELNS0_4arch9wavefront6targetE0EEEvSD_
    .private_segment_fixed_size: 0
    .sgpr_count:     0
    .sgpr_spill_count: 0
    .symbol:         _ZN7rocprim17ROCPRIM_400000_NS6detail17trampoline_kernelINS0_14default_configENS1_35radix_sort_onesweep_config_selectorIjNS0_10empty_typeEEEZNS1_34radix_sort_onesweep_global_offsetsIS3_Lb0EPKjPS5_mNS0_19identity_decomposerEEE10hipError_tT1_T2_PT3_SF_jT4_jjP12ihipStream_tbEUlT_E_NS1_11comp_targetILNS1_3genE6ELNS1_11target_archE950ELNS1_3gpuE13ELNS1_3repE0EEENS1_52radix_sort_onesweep_histogram_config_static_selectorELNS0_4arch9wavefront6targetE0EEEvSD_.kd
    .uniform_work_group_size: 1
    .uses_dynamic_stack: false
    .vgpr_count:     0
    .vgpr_spill_count: 0
    .wavefront_size: 32
  - .args:
      - .offset:         0
        .size:           48
        .value_kind:     by_value
    .group_segment_fixed_size: 0
    .kernarg_segment_align: 8
    .kernarg_segment_size: 48
    .language:       OpenCL C
    .language_version:
      - 2
      - 0
    .max_flat_workgroup_size: 1024
    .name:           _ZN7rocprim17ROCPRIM_400000_NS6detail17trampoline_kernelINS0_14default_configENS1_35radix_sort_onesweep_config_selectorIjNS0_10empty_typeEEEZNS1_34radix_sort_onesweep_global_offsetsIS3_Lb0EPKjPS5_mNS0_19identity_decomposerEEE10hipError_tT1_T2_PT3_SF_jT4_jjP12ihipStream_tbEUlT_E_NS1_11comp_targetILNS1_3genE5ELNS1_11target_archE942ELNS1_3gpuE9ELNS1_3repE0EEENS1_52radix_sort_onesweep_histogram_config_static_selectorELNS0_4arch9wavefront6targetE0EEEvSD_
    .private_segment_fixed_size: 0
    .sgpr_count:     0
    .sgpr_spill_count: 0
    .symbol:         _ZN7rocprim17ROCPRIM_400000_NS6detail17trampoline_kernelINS0_14default_configENS1_35radix_sort_onesweep_config_selectorIjNS0_10empty_typeEEEZNS1_34radix_sort_onesweep_global_offsetsIS3_Lb0EPKjPS5_mNS0_19identity_decomposerEEE10hipError_tT1_T2_PT3_SF_jT4_jjP12ihipStream_tbEUlT_E_NS1_11comp_targetILNS1_3genE5ELNS1_11target_archE942ELNS1_3gpuE9ELNS1_3repE0EEENS1_52radix_sort_onesweep_histogram_config_static_selectorELNS0_4arch9wavefront6targetE0EEEvSD_.kd
    .uniform_work_group_size: 1
    .uses_dynamic_stack: false
    .vgpr_count:     0
    .vgpr_spill_count: 0
    .wavefront_size: 32
  - .args:
      - .offset:         0
        .size:           48
        .value_kind:     by_value
    .group_segment_fixed_size: 0
    .kernarg_segment_align: 8
    .kernarg_segment_size: 48
    .language:       OpenCL C
    .language_version:
      - 2
      - 0
    .max_flat_workgroup_size: 1024
    .name:           _ZN7rocprim17ROCPRIM_400000_NS6detail17trampoline_kernelINS0_14default_configENS1_35radix_sort_onesweep_config_selectorIjNS0_10empty_typeEEEZNS1_34radix_sort_onesweep_global_offsetsIS3_Lb0EPKjPS5_mNS0_19identity_decomposerEEE10hipError_tT1_T2_PT3_SF_jT4_jjP12ihipStream_tbEUlT_E_NS1_11comp_targetILNS1_3genE2ELNS1_11target_archE906ELNS1_3gpuE6ELNS1_3repE0EEENS1_52radix_sort_onesweep_histogram_config_static_selectorELNS0_4arch9wavefront6targetE0EEEvSD_
    .private_segment_fixed_size: 0
    .sgpr_count:     0
    .sgpr_spill_count: 0
    .symbol:         _ZN7rocprim17ROCPRIM_400000_NS6detail17trampoline_kernelINS0_14default_configENS1_35radix_sort_onesweep_config_selectorIjNS0_10empty_typeEEEZNS1_34radix_sort_onesweep_global_offsetsIS3_Lb0EPKjPS5_mNS0_19identity_decomposerEEE10hipError_tT1_T2_PT3_SF_jT4_jjP12ihipStream_tbEUlT_E_NS1_11comp_targetILNS1_3genE2ELNS1_11target_archE906ELNS1_3gpuE6ELNS1_3repE0EEENS1_52radix_sort_onesweep_histogram_config_static_selectorELNS0_4arch9wavefront6targetE0EEEvSD_.kd
    .uniform_work_group_size: 1
    .uses_dynamic_stack: false
    .vgpr_count:     0
    .vgpr_spill_count: 0
    .wavefront_size: 32
  - .args:
      - .offset:         0
        .size:           48
        .value_kind:     by_value
    .group_segment_fixed_size: 0
    .kernarg_segment_align: 8
    .kernarg_segment_size: 48
    .language:       OpenCL C
    .language_version:
      - 2
      - 0
    .max_flat_workgroup_size: 1024
    .name:           _ZN7rocprim17ROCPRIM_400000_NS6detail17trampoline_kernelINS0_14default_configENS1_35radix_sort_onesweep_config_selectorIjNS0_10empty_typeEEEZNS1_34radix_sort_onesweep_global_offsetsIS3_Lb0EPKjPS5_mNS0_19identity_decomposerEEE10hipError_tT1_T2_PT3_SF_jT4_jjP12ihipStream_tbEUlT_E_NS1_11comp_targetILNS1_3genE4ELNS1_11target_archE910ELNS1_3gpuE8ELNS1_3repE0EEENS1_52radix_sort_onesweep_histogram_config_static_selectorELNS0_4arch9wavefront6targetE0EEEvSD_
    .private_segment_fixed_size: 0
    .sgpr_count:     0
    .sgpr_spill_count: 0
    .symbol:         _ZN7rocprim17ROCPRIM_400000_NS6detail17trampoline_kernelINS0_14default_configENS1_35radix_sort_onesweep_config_selectorIjNS0_10empty_typeEEEZNS1_34radix_sort_onesweep_global_offsetsIS3_Lb0EPKjPS5_mNS0_19identity_decomposerEEE10hipError_tT1_T2_PT3_SF_jT4_jjP12ihipStream_tbEUlT_E_NS1_11comp_targetILNS1_3genE4ELNS1_11target_archE910ELNS1_3gpuE8ELNS1_3repE0EEENS1_52radix_sort_onesweep_histogram_config_static_selectorELNS0_4arch9wavefront6targetE0EEEvSD_.kd
    .uniform_work_group_size: 1
    .uses_dynamic_stack: false
    .vgpr_count:     0
    .vgpr_spill_count: 0
    .wavefront_size: 32
  - .args:
      - .offset:         0
        .size:           48
        .value_kind:     by_value
    .group_segment_fixed_size: 0
    .kernarg_segment_align: 8
    .kernarg_segment_size: 48
    .language:       OpenCL C
    .language_version:
      - 2
      - 0
    .max_flat_workgroup_size: 512
    .name:           _ZN7rocprim17ROCPRIM_400000_NS6detail17trampoline_kernelINS0_14default_configENS1_35radix_sort_onesweep_config_selectorIjNS0_10empty_typeEEEZNS1_34radix_sort_onesweep_global_offsetsIS3_Lb0EPKjPS5_mNS0_19identity_decomposerEEE10hipError_tT1_T2_PT3_SF_jT4_jjP12ihipStream_tbEUlT_E_NS1_11comp_targetILNS1_3genE3ELNS1_11target_archE908ELNS1_3gpuE7ELNS1_3repE0EEENS1_52radix_sort_onesweep_histogram_config_static_selectorELNS0_4arch9wavefront6targetE0EEEvSD_
    .private_segment_fixed_size: 0
    .sgpr_count:     0
    .sgpr_spill_count: 0
    .symbol:         _ZN7rocprim17ROCPRIM_400000_NS6detail17trampoline_kernelINS0_14default_configENS1_35radix_sort_onesweep_config_selectorIjNS0_10empty_typeEEEZNS1_34radix_sort_onesweep_global_offsetsIS3_Lb0EPKjPS5_mNS0_19identity_decomposerEEE10hipError_tT1_T2_PT3_SF_jT4_jjP12ihipStream_tbEUlT_E_NS1_11comp_targetILNS1_3genE3ELNS1_11target_archE908ELNS1_3gpuE7ELNS1_3repE0EEENS1_52radix_sort_onesweep_histogram_config_static_selectorELNS0_4arch9wavefront6targetE0EEEvSD_.kd
    .uniform_work_group_size: 1
    .uses_dynamic_stack: false
    .vgpr_count:     0
    .vgpr_spill_count: 0
    .wavefront_size: 32
  - .args:
      - .offset:         0
        .size:           48
        .value_kind:     by_value
    .group_segment_fixed_size: 0
    .kernarg_segment_align: 8
    .kernarg_segment_size: 48
    .language:       OpenCL C
    .language_version:
      - 2
      - 0
    .max_flat_workgroup_size: 1024
    .name:           _ZN7rocprim17ROCPRIM_400000_NS6detail17trampoline_kernelINS0_14default_configENS1_35radix_sort_onesweep_config_selectorIjNS0_10empty_typeEEEZNS1_34radix_sort_onesweep_global_offsetsIS3_Lb0EPKjPS5_mNS0_19identity_decomposerEEE10hipError_tT1_T2_PT3_SF_jT4_jjP12ihipStream_tbEUlT_E_NS1_11comp_targetILNS1_3genE10ELNS1_11target_archE1201ELNS1_3gpuE5ELNS1_3repE0EEENS1_52radix_sort_onesweep_histogram_config_static_selectorELNS0_4arch9wavefront6targetE0EEEvSD_
    .private_segment_fixed_size: 0
    .sgpr_count:     0
    .sgpr_spill_count: 0
    .symbol:         _ZN7rocprim17ROCPRIM_400000_NS6detail17trampoline_kernelINS0_14default_configENS1_35radix_sort_onesweep_config_selectorIjNS0_10empty_typeEEEZNS1_34radix_sort_onesweep_global_offsetsIS3_Lb0EPKjPS5_mNS0_19identity_decomposerEEE10hipError_tT1_T2_PT3_SF_jT4_jjP12ihipStream_tbEUlT_E_NS1_11comp_targetILNS1_3genE10ELNS1_11target_archE1201ELNS1_3gpuE5ELNS1_3repE0EEENS1_52radix_sort_onesweep_histogram_config_static_selectorELNS0_4arch9wavefront6targetE0EEEvSD_.kd
    .uniform_work_group_size: 1
    .uses_dynamic_stack: false
    .vgpr_count:     0
    .vgpr_spill_count: 0
    .wavefront_size: 32
  - .args:
      - .offset:         0
        .size:           48
        .value_kind:     by_value
    .group_segment_fixed_size: 0
    .kernarg_segment_align: 8
    .kernarg_segment_size: 48
    .language:       OpenCL C
    .language_version:
      - 2
      - 0
    .max_flat_workgroup_size: 1024
    .name:           _ZN7rocprim17ROCPRIM_400000_NS6detail17trampoline_kernelINS0_14default_configENS1_35radix_sort_onesweep_config_selectorIjNS0_10empty_typeEEEZNS1_34radix_sort_onesweep_global_offsetsIS3_Lb0EPKjPS5_mNS0_19identity_decomposerEEE10hipError_tT1_T2_PT3_SF_jT4_jjP12ihipStream_tbEUlT_E_NS1_11comp_targetILNS1_3genE9ELNS1_11target_archE1100ELNS1_3gpuE3ELNS1_3repE0EEENS1_52radix_sort_onesweep_histogram_config_static_selectorELNS0_4arch9wavefront6targetE0EEEvSD_
    .private_segment_fixed_size: 0
    .sgpr_count:     0
    .sgpr_spill_count: 0
    .symbol:         _ZN7rocprim17ROCPRIM_400000_NS6detail17trampoline_kernelINS0_14default_configENS1_35radix_sort_onesweep_config_selectorIjNS0_10empty_typeEEEZNS1_34radix_sort_onesweep_global_offsetsIS3_Lb0EPKjPS5_mNS0_19identity_decomposerEEE10hipError_tT1_T2_PT3_SF_jT4_jjP12ihipStream_tbEUlT_E_NS1_11comp_targetILNS1_3genE9ELNS1_11target_archE1100ELNS1_3gpuE3ELNS1_3repE0EEENS1_52radix_sort_onesweep_histogram_config_static_selectorELNS0_4arch9wavefront6targetE0EEEvSD_.kd
    .uniform_work_group_size: 1
    .uses_dynamic_stack: false
    .vgpr_count:     0
    .vgpr_spill_count: 0
    .wavefront_size: 32
  - .args:
      - .offset:         0
        .size:           48
        .value_kind:     by_value
    .group_segment_fixed_size: 0
    .kernarg_segment_align: 8
    .kernarg_segment_size: 48
    .language:       OpenCL C
    .language_version:
      - 2
      - 0
    .max_flat_workgroup_size: 1024
    .name:           _ZN7rocprim17ROCPRIM_400000_NS6detail17trampoline_kernelINS0_14default_configENS1_35radix_sort_onesweep_config_selectorIjNS0_10empty_typeEEEZNS1_34radix_sort_onesweep_global_offsetsIS3_Lb0EPKjPS5_mNS0_19identity_decomposerEEE10hipError_tT1_T2_PT3_SF_jT4_jjP12ihipStream_tbEUlT_E_NS1_11comp_targetILNS1_3genE8ELNS1_11target_archE1030ELNS1_3gpuE2ELNS1_3repE0EEENS1_52radix_sort_onesweep_histogram_config_static_selectorELNS0_4arch9wavefront6targetE0EEEvSD_
    .private_segment_fixed_size: 0
    .sgpr_count:     0
    .sgpr_spill_count: 0
    .symbol:         _ZN7rocprim17ROCPRIM_400000_NS6detail17trampoline_kernelINS0_14default_configENS1_35radix_sort_onesweep_config_selectorIjNS0_10empty_typeEEEZNS1_34radix_sort_onesweep_global_offsetsIS3_Lb0EPKjPS5_mNS0_19identity_decomposerEEE10hipError_tT1_T2_PT3_SF_jT4_jjP12ihipStream_tbEUlT_E_NS1_11comp_targetILNS1_3genE8ELNS1_11target_archE1030ELNS1_3gpuE2ELNS1_3repE0EEENS1_52radix_sort_onesweep_histogram_config_static_selectorELNS0_4arch9wavefront6targetE0EEEvSD_.kd
    .uniform_work_group_size: 1
    .uses_dynamic_stack: false
    .vgpr_count:     0
    .vgpr_spill_count: 0
    .wavefront_size: 32
  - .args:
      - .address_space:  global
        .offset:         0
        .size:           8
        .value_kind:     global_buffer
    .group_segment_fixed_size: 128
    .kernarg_segment_align: 8
    .kernarg_segment_size: 8
    .language:       OpenCL C
    .language_version:
      - 2
      - 0
    .max_flat_workgroup_size: 512
    .name:           _ZN7rocprim17ROCPRIM_400000_NS6detail17trampoline_kernelINS0_14default_configENS1_35radix_sort_onesweep_config_selectorIjNS0_10empty_typeEEEZNS1_34radix_sort_onesweep_global_offsetsIS3_Lb0EPKjPS5_mNS0_19identity_decomposerEEE10hipError_tT1_T2_PT3_SF_jT4_jjP12ihipStream_tbEUlT_E0_NS1_11comp_targetILNS1_3genE0ELNS1_11target_archE4294967295ELNS1_3gpuE0ELNS1_3repE0EEENS1_52radix_sort_onesweep_histogram_config_static_selectorELNS0_4arch9wavefront6targetE0EEEvSD_
    .private_segment_fixed_size: 0
    .sgpr_count:     10
    .sgpr_spill_count: 0
    .symbol:         _ZN7rocprim17ROCPRIM_400000_NS6detail17trampoline_kernelINS0_14default_configENS1_35radix_sort_onesweep_config_selectorIjNS0_10empty_typeEEEZNS1_34radix_sort_onesweep_global_offsetsIS3_Lb0EPKjPS5_mNS0_19identity_decomposerEEE10hipError_tT1_T2_PT3_SF_jT4_jjP12ihipStream_tbEUlT_E0_NS1_11comp_targetILNS1_3genE0ELNS1_11target_archE4294967295ELNS1_3gpuE0ELNS1_3repE0EEENS1_52radix_sort_onesweep_histogram_config_static_selectorELNS0_4arch9wavefront6targetE0EEEvSD_.kd
    .uniform_work_group_size: 1
    .uses_dynamic_stack: false
    .vgpr_count:     14
    .vgpr_spill_count: 0
    .wavefront_size: 32
  - .args:
      - .address_space:  global
        .offset:         0
        .size:           8
        .value_kind:     global_buffer
    .group_segment_fixed_size: 0
    .kernarg_segment_align: 8
    .kernarg_segment_size: 8
    .language:       OpenCL C
    .language_version:
      - 2
      - 0
    .max_flat_workgroup_size: 1024
    .name:           _ZN7rocprim17ROCPRIM_400000_NS6detail17trampoline_kernelINS0_14default_configENS1_35radix_sort_onesweep_config_selectorIjNS0_10empty_typeEEEZNS1_34radix_sort_onesweep_global_offsetsIS3_Lb0EPKjPS5_mNS0_19identity_decomposerEEE10hipError_tT1_T2_PT3_SF_jT4_jjP12ihipStream_tbEUlT_E0_NS1_11comp_targetILNS1_3genE6ELNS1_11target_archE950ELNS1_3gpuE13ELNS1_3repE0EEENS1_52radix_sort_onesweep_histogram_config_static_selectorELNS0_4arch9wavefront6targetE0EEEvSD_
    .private_segment_fixed_size: 0
    .sgpr_count:     0
    .sgpr_spill_count: 0
    .symbol:         _ZN7rocprim17ROCPRIM_400000_NS6detail17trampoline_kernelINS0_14default_configENS1_35radix_sort_onesweep_config_selectorIjNS0_10empty_typeEEEZNS1_34radix_sort_onesweep_global_offsetsIS3_Lb0EPKjPS5_mNS0_19identity_decomposerEEE10hipError_tT1_T2_PT3_SF_jT4_jjP12ihipStream_tbEUlT_E0_NS1_11comp_targetILNS1_3genE6ELNS1_11target_archE950ELNS1_3gpuE13ELNS1_3repE0EEENS1_52radix_sort_onesweep_histogram_config_static_selectorELNS0_4arch9wavefront6targetE0EEEvSD_.kd
    .uniform_work_group_size: 1
    .uses_dynamic_stack: false
    .vgpr_count:     0
    .vgpr_spill_count: 0
    .wavefront_size: 32
  - .args:
      - .address_space:  global
        .offset:         0
        .size:           8
        .value_kind:     global_buffer
    .group_segment_fixed_size: 0
    .kernarg_segment_align: 8
    .kernarg_segment_size: 8
    .language:       OpenCL C
    .language_version:
      - 2
      - 0
    .max_flat_workgroup_size: 1024
    .name:           _ZN7rocprim17ROCPRIM_400000_NS6detail17trampoline_kernelINS0_14default_configENS1_35radix_sort_onesweep_config_selectorIjNS0_10empty_typeEEEZNS1_34radix_sort_onesweep_global_offsetsIS3_Lb0EPKjPS5_mNS0_19identity_decomposerEEE10hipError_tT1_T2_PT3_SF_jT4_jjP12ihipStream_tbEUlT_E0_NS1_11comp_targetILNS1_3genE5ELNS1_11target_archE942ELNS1_3gpuE9ELNS1_3repE0EEENS1_52radix_sort_onesweep_histogram_config_static_selectorELNS0_4arch9wavefront6targetE0EEEvSD_
    .private_segment_fixed_size: 0
    .sgpr_count:     0
    .sgpr_spill_count: 0
    .symbol:         _ZN7rocprim17ROCPRIM_400000_NS6detail17trampoline_kernelINS0_14default_configENS1_35radix_sort_onesweep_config_selectorIjNS0_10empty_typeEEEZNS1_34radix_sort_onesweep_global_offsetsIS3_Lb0EPKjPS5_mNS0_19identity_decomposerEEE10hipError_tT1_T2_PT3_SF_jT4_jjP12ihipStream_tbEUlT_E0_NS1_11comp_targetILNS1_3genE5ELNS1_11target_archE942ELNS1_3gpuE9ELNS1_3repE0EEENS1_52radix_sort_onesweep_histogram_config_static_selectorELNS0_4arch9wavefront6targetE0EEEvSD_.kd
    .uniform_work_group_size: 1
    .uses_dynamic_stack: false
    .vgpr_count:     0
    .vgpr_spill_count: 0
    .wavefront_size: 32
  - .args:
      - .address_space:  global
        .offset:         0
        .size:           8
        .value_kind:     global_buffer
    .group_segment_fixed_size: 0
    .kernarg_segment_align: 8
    .kernarg_segment_size: 8
    .language:       OpenCL C
    .language_version:
      - 2
      - 0
    .max_flat_workgroup_size: 1024
    .name:           _ZN7rocprim17ROCPRIM_400000_NS6detail17trampoline_kernelINS0_14default_configENS1_35radix_sort_onesweep_config_selectorIjNS0_10empty_typeEEEZNS1_34radix_sort_onesweep_global_offsetsIS3_Lb0EPKjPS5_mNS0_19identity_decomposerEEE10hipError_tT1_T2_PT3_SF_jT4_jjP12ihipStream_tbEUlT_E0_NS1_11comp_targetILNS1_3genE2ELNS1_11target_archE906ELNS1_3gpuE6ELNS1_3repE0EEENS1_52radix_sort_onesweep_histogram_config_static_selectorELNS0_4arch9wavefront6targetE0EEEvSD_
    .private_segment_fixed_size: 0
    .sgpr_count:     0
    .sgpr_spill_count: 0
    .symbol:         _ZN7rocprim17ROCPRIM_400000_NS6detail17trampoline_kernelINS0_14default_configENS1_35radix_sort_onesweep_config_selectorIjNS0_10empty_typeEEEZNS1_34radix_sort_onesweep_global_offsetsIS3_Lb0EPKjPS5_mNS0_19identity_decomposerEEE10hipError_tT1_T2_PT3_SF_jT4_jjP12ihipStream_tbEUlT_E0_NS1_11comp_targetILNS1_3genE2ELNS1_11target_archE906ELNS1_3gpuE6ELNS1_3repE0EEENS1_52radix_sort_onesweep_histogram_config_static_selectorELNS0_4arch9wavefront6targetE0EEEvSD_.kd
    .uniform_work_group_size: 1
    .uses_dynamic_stack: false
    .vgpr_count:     0
    .vgpr_spill_count: 0
    .wavefront_size: 32
  - .args:
      - .address_space:  global
        .offset:         0
        .size:           8
        .value_kind:     global_buffer
    .group_segment_fixed_size: 0
    .kernarg_segment_align: 8
    .kernarg_segment_size: 8
    .language:       OpenCL C
    .language_version:
      - 2
      - 0
    .max_flat_workgroup_size: 1024
    .name:           _ZN7rocprim17ROCPRIM_400000_NS6detail17trampoline_kernelINS0_14default_configENS1_35radix_sort_onesweep_config_selectorIjNS0_10empty_typeEEEZNS1_34radix_sort_onesweep_global_offsetsIS3_Lb0EPKjPS5_mNS0_19identity_decomposerEEE10hipError_tT1_T2_PT3_SF_jT4_jjP12ihipStream_tbEUlT_E0_NS1_11comp_targetILNS1_3genE4ELNS1_11target_archE910ELNS1_3gpuE8ELNS1_3repE0EEENS1_52radix_sort_onesweep_histogram_config_static_selectorELNS0_4arch9wavefront6targetE0EEEvSD_
    .private_segment_fixed_size: 0
    .sgpr_count:     0
    .sgpr_spill_count: 0
    .symbol:         _ZN7rocprim17ROCPRIM_400000_NS6detail17trampoline_kernelINS0_14default_configENS1_35radix_sort_onesweep_config_selectorIjNS0_10empty_typeEEEZNS1_34radix_sort_onesweep_global_offsetsIS3_Lb0EPKjPS5_mNS0_19identity_decomposerEEE10hipError_tT1_T2_PT3_SF_jT4_jjP12ihipStream_tbEUlT_E0_NS1_11comp_targetILNS1_3genE4ELNS1_11target_archE910ELNS1_3gpuE8ELNS1_3repE0EEENS1_52radix_sort_onesweep_histogram_config_static_selectorELNS0_4arch9wavefront6targetE0EEEvSD_.kd
    .uniform_work_group_size: 1
    .uses_dynamic_stack: false
    .vgpr_count:     0
    .vgpr_spill_count: 0
    .wavefront_size: 32
  - .args:
      - .address_space:  global
        .offset:         0
        .size:           8
        .value_kind:     global_buffer
    .group_segment_fixed_size: 0
    .kernarg_segment_align: 8
    .kernarg_segment_size: 8
    .language:       OpenCL C
    .language_version:
      - 2
      - 0
    .max_flat_workgroup_size: 512
    .name:           _ZN7rocprim17ROCPRIM_400000_NS6detail17trampoline_kernelINS0_14default_configENS1_35radix_sort_onesweep_config_selectorIjNS0_10empty_typeEEEZNS1_34radix_sort_onesweep_global_offsetsIS3_Lb0EPKjPS5_mNS0_19identity_decomposerEEE10hipError_tT1_T2_PT3_SF_jT4_jjP12ihipStream_tbEUlT_E0_NS1_11comp_targetILNS1_3genE3ELNS1_11target_archE908ELNS1_3gpuE7ELNS1_3repE0EEENS1_52radix_sort_onesweep_histogram_config_static_selectorELNS0_4arch9wavefront6targetE0EEEvSD_
    .private_segment_fixed_size: 0
    .sgpr_count:     0
    .sgpr_spill_count: 0
    .symbol:         _ZN7rocprim17ROCPRIM_400000_NS6detail17trampoline_kernelINS0_14default_configENS1_35radix_sort_onesweep_config_selectorIjNS0_10empty_typeEEEZNS1_34radix_sort_onesweep_global_offsetsIS3_Lb0EPKjPS5_mNS0_19identity_decomposerEEE10hipError_tT1_T2_PT3_SF_jT4_jjP12ihipStream_tbEUlT_E0_NS1_11comp_targetILNS1_3genE3ELNS1_11target_archE908ELNS1_3gpuE7ELNS1_3repE0EEENS1_52radix_sort_onesweep_histogram_config_static_selectorELNS0_4arch9wavefront6targetE0EEEvSD_.kd
    .uniform_work_group_size: 1
    .uses_dynamic_stack: false
    .vgpr_count:     0
    .vgpr_spill_count: 0
    .wavefront_size: 32
  - .args:
      - .address_space:  global
        .offset:         0
        .size:           8
        .value_kind:     global_buffer
    .group_segment_fixed_size: 0
    .kernarg_segment_align: 8
    .kernarg_segment_size: 8
    .language:       OpenCL C
    .language_version:
      - 2
      - 0
    .max_flat_workgroup_size: 1024
    .name:           _ZN7rocprim17ROCPRIM_400000_NS6detail17trampoline_kernelINS0_14default_configENS1_35radix_sort_onesweep_config_selectorIjNS0_10empty_typeEEEZNS1_34radix_sort_onesweep_global_offsetsIS3_Lb0EPKjPS5_mNS0_19identity_decomposerEEE10hipError_tT1_T2_PT3_SF_jT4_jjP12ihipStream_tbEUlT_E0_NS1_11comp_targetILNS1_3genE10ELNS1_11target_archE1201ELNS1_3gpuE5ELNS1_3repE0EEENS1_52radix_sort_onesweep_histogram_config_static_selectorELNS0_4arch9wavefront6targetE0EEEvSD_
    .private_segment_fixed_size: 0
    .sgpr_count:     0
    .sgpr_spill_count: 0
    .symbol:         _ZN7rocprim17ROCPRIM_400000_NS6detail17trampoline_kernelINS0_14default_configENS1_35radix_sort_onesweep_config_selectorIjNS0_10empty_typeEEEZNS1_34radix_sort_onesweep_global_offsetsIS3_Lb0EPKjPS5_mNS0_19identity_decomposerEEE10hipError_tT1_T2_PT3_SF_jT4_jjP12ihipStream_tbEUlT_E0_NS1_11comp_targetILNS1_3genE10ELNS1_11target_archE1201ELNS1_3gpuE5ELNS1_3repE0EEENS1_52radix_sort_onesweep_histogram_config_static_selectorELNS0_4arch9wavefront6targetE0EEEvSD_.kd
    .uniform_work_group_size: 1
    .uses_dynamic_stack: false
    .vgpr_count:     0
    .vgpr_spill_count: 0
    .wavefront_size: 32
  - .args:
      - .address_space:  global
        .offset:         0
        .size:           8
        .value_kind:     global_buffer
    .group_segment_fixed_size: 0
    .kernarg_segment_align: 8
    .kernarg_segment_size: 8
    .language:       OpenCL C
    .language_version:
      - 2
      - 0
    .max_flat_workgroup_size: 1024
    .name:           _ZN7rocprim17ROCPRIM_400000_NS6detail17trampoline_kernelINS0_14default_configENS1_35radix_sort_onesweep_config_selectorIjNS0_10empty_typeEEEZNS1_34radix_sort_onesweep_global_offsetsIS3_Lb0EPKjPS5_mNS0_19identity_decomposerEEE10hipError_tT1_T2_PT3_SF_jT4_jjP12ihipStream_tbEUlT_E0_NS1_11comp_targetILNS1_3genE9ELNS1_11target_archE1100ELNS1_3gpuE3ELNS1_3repE0EEENS1_52radix_sort_onesweep_histogram_config_static_selectorELNS0_4arch9wavefront6targetE0EEEvSD_
    .private_segment_fixed_size: 0
    .sgpr_count:     0
    .sgpr_spill_count: 0
    .symbol:         _ZN7rocprim17ROCPRIM_400000_NS6detail17trampoline_kernelINS0_14default_configENS1_35radix_sort_onesweep_config_selectorIjNS0_10empty_typeEEEZNS1_34radix_sort_onesweep_global_offsetsIS3_Lb0EPKjPS5_mNS0_19identity_decomposerEEE10hipError_tT1_T2_PT3_SF_jT4_jjP12ihipStream_tbEUlT_E0_NS1_11comp_targetILNS1_3genE9ELNS1_11target_archE1100ELNS1_3gpuE3ELNS1_3repE0EEENS1_52radix_sort_onesweep_histogram_config_static_selectorELNS0_4arch9wavefront6targetE0EEEvSD_.kd
    .uniform_work_group_size: 1
    .uses_dynamic_stack: false
    .vgpr_count:     0
    .vgpr_spill_count: 0
    .wavefront_size: 32
  - .args:
      - .address_space:  global
        .offset:         0
        .size:           8
        .value_kind:     global_buffer
    .group_segment_fixed_size: 0
    .kernarg_segment_align: 8
    .kernarg_segment_size: 8
    .language:       OpenCL C
    .language_version:
      - 2
      - 0
    .max_flat_workgroup_size: 1024
    .name:           _ZN7rocprim17ROCPRIM_400000_NS6detail17trampoline_kernelINS0_14default_configENS1_35radix_sort_onesweep_config_selectorIjNS0_10empty_typeEEEZNS1_34radix_sort_onesweep_global_offsetsIS3_Lb0EPKjPS5_mNS0_19identity_decomposerEEE10hipError_tT1_T2_PT3_SF_jT4_jjP12ihipStream_tbEUlT_E0_NS1_11comp_targetILNS1_3genE8ELNS1_11target_archE1030ELNS1_3gpuE2ELNS1_3repE0EEENS1_52radix_sort_onesweep_histogram_config_static_selectorELNS0_4arch9wavefront6targetE0EEEvSD_
    .private_segment_fixed_size: 0
    .sgpr_count:     0
    .sgpr_spill_count: 0
    .symbol:         _ZN7rocprim17ROCPRIM_400000_NS6detail17trampoline_kernelINS0_14default_configENS1_35radix_sort_onesweep_config_selectorIjNS0_10empty_typeEEEZNS1_34radix_sort_onesweep_global_offsetsIS3_Lb0EPKjPS5_mNS0_19identity_decomposerEEE10hipError_tT1_T2_PT3_SF_jT4_jjP12ihipStream_tbEUlT_E0_NS1_11comp_targetILNS1_3genE8ELNS1_11target_archE1030ELNS1_3gpuE2ELNS1_3repE0EEENS1_52radix_sort_onesweep_histogram_config_static_selectorELNS0_4arch9wavefront6targetE0EEEvSD_.kd
    .uniform_work_group_size: 1
    .uses_dynamic_stack: false
    .vgpr_count:     0
    .vgpr_spill_count: 0
    .wavefront_size: 32
  - .args:
      - .offset:         0
        .size:           88
        .value_kind:     by_value
      - .offset:         88
        .size:           4
        .value_kind:     hidden_block_count_x
      - .offset:         92
        .size:           4
        .value_kind:     hidden_block_count_y
      - .offset:         96
        .size:           4
        .value_kind:     hidden_block_count_z
      - .offset:         100
        .size:           2
        .value_kind:     hidden_group_size_x
      - .offset:         102
        .size:           2
        .value_kind:     hidden_group_size_y
      - .offset:         104
        .size:           2
        .value_kind:     hidden_group_size_z
      - .offset:         106
        .size:           2
        .value_kind:     hidden_remainder_x
      - .offset:         108
        .size:           2
        .value_kind:     hidden_remainder_y
      - .offset:         110
        .size:           2
        .value_kind:     hidden_remainder_z
      - .offset:         128
        .size:           8
        .value_kind:     hidden_global_offset_x
      - .offset:         136
        .size:           8
        .value_kind:     hidden_global_offset_y
      - .offset:         144
        .size:           8
        .value_kind:     hidden_global_offset_z
      - .offset:         152
        .size:           2
        .value_kind:     hidden_grid_dims
    .group_segment_fixed_size: 18504
    .kernarg_segment_align: 8
    .kernarg_segment_size: 344
    .language:       OpenCL C
    .language_version:
      - 2
      - 0
    .max_flat_workgroup_size: 512
    .name:           _ZN7rocprim17ROCPRIM_400000_NS6detail17trampoline_kernelINS0_14default_configENS1_35radix_sort_onesweep_config_selectorIjNS0_10empty_typeEEEZZNS1_29radix_sort_onesweep_iterationIS3_Lb0EPKjPjPS5_SB_mNS0_19identity_decomposerENS1_16block_id_wrapperIjLb1EEEEE10hipError_tT1_PNSt15iterator_traitsISG_E10value_typeET2_T3_PNSH_ISM_E10value_typeET4_T5_PSR_SS_PNS1_23onesweep_lookback_stateEbbT6_jjT7_P12ihipStream_tbENKUlT_T0_SG_SL_E_clIS9_SA_SB_SB_EEDaSZ_S10_SG_SL_EUlSZ_E_NS1_11comp_targetILNS1_3genE0ELNS1_11target_archE4294967295ELNS1_3gpuE0ELNS1_3repE0EEENS1_47radix_sort_onesweep_sort_config_static_selectorELNS0_4arch9wavefront6targetE0EEEvSG_
    .private_segment_fixed_size: 0
    .sgpr_count:     31
    .sgpr_spill_count: 0
    .symbol:         _ZN7rocprim17ROCPRIM_400000_NS6detail17trampoline_kernelINS0_14default_configENS1_35radix_sort_onesweep_config_selectorIjNS0_10empty_typeEEEZZNS1_29radix_sort_onesweep_iterationIS3_Lb0EPKjPjPS5_SB_mNS0_19identity_decomposerENS1_16block_id_wrapperIjLb1EEEEE10hipError_tT1_PNSt15iterator_traitsISG_E10value_typeET2_T3_PNSH_ISM_E10value_typeET4_T5_PSR_SS_PNS1_23onesweep_lookback_stateEbbT6_jjT7_P12ihipStream_tbENKUlT_T0_SG_SL_E_clIS9_SA_SB_SB_EEDaSZ_S10_SG_SL_EUlSZ_E_NS1_11comp_targetILNS1_3genE0ELNS1_11target_archE4294967295ELNS1_3gpuE0ELNS1_3repE0EEENS1_47radix_sort_onesweep_sort_config_static_selectorELNS0_4arch9wavefront6targetE0EEEvSG_.kd
    .uniform_work_group_size: 1
    .uses_dynamic_stack: false
    .vgpr_count:     65
    .vgpr_spill_count: 0
    .wavefront_size: 32
  - .args:
      - .offset:         0
        .size:           88
        .value_kind:     by_value
    .group_segment_fixed_size: 0
    .kernarg_segment_align: 8
    .kernarg_segment_size: 88
    .language:       OpenCL C
    .language_version:
      - 2
      - 0
    .max_flat_workgroup_size: 1024
    .name:           _ZN7rocprim17ROCPRIM_400000_NS6detail17trampoline_kernelINS0_14default_configENS1_35radix_sort_onesweep_config_selectorIjNS0_10empty_typeEEEZZNS1_29radix_sort_onesweep_iterationIS3_Lb0EPKjPjPS5_SB_mNS0_19identity_decomposerENS1_16block_id_wrapperIjLb1EEEEE10hipError_tT1_PNSt15iterator_traitsISG_E10value_typeET2_T3_PNSH_ISM_E10value_typeET4_T5_PSR_SS_PNS1_23onesweep_lookback_stateEbbT6_jjT7_P12ihipStream_tbENKUlT_T0_SG_SL_E_clIS9_SA_SB_SB_EEDaSZ_S10_SG_SL_EUlSZ_E_NS1_11comp_targetILNS1_3genE6ELNS1_11target_archE950ELNS1_3gpuE13ELNS1_3repE0EEENS1_47radix_sort_onesweep_sort_config_static_selectorELNS0_4arch9wavefront6targetE0EEEvSG_
    .private_segment_fixed_size: 0
    .sgpr_count:     0
    .sgpr_spill_count: 0
    .symbol:         _ZN7rocprim17ROCPRIM_400000_NS6detail17trampoline_kernelINS0_14default_configENS1_35radix_sort_onesweep_config_selectorIjNS0_10empty_typeEEEZZNS1_29radix_sort_onesweep_iterationIS3_Lb0EPKjPjPS5_SB_mNS0_19identity_decomposerENS1_16block_id_wrapperIjLb1EEEEE10hipError_tT1_PNSt15iterator_traitsISG_E10value_typeET2_T3_PNSH_ISM_E10value_typeET4_T5_PSR_SS_PNS1_23onesweep_lookback_stateEbbT6_jjT7_P12ihipStream_tbENKUlT_T0_SG_SL_E_clIS9_SA_SB_SB_EEDaSZ_S10_SG_SL_EUlSZ_E_NS1_11comp_targetILNS1_3genE6ELNS1_11target_archE950ELNS1_3gpuE13ELNS1_3repE0EEENS1_47radix_sort_onesweep_sort_config_static_selectorELNS0_4arch9wavefront6targetE0EEEvSG_.kd
    .uniform_work_group_size: 1
    .uses_dynamic_stack: false
    .vgpr_count:     0
    .vgpr_spill_count: 0
    .wavefront_size: 32
  - .args:
      - .offset:         0
        .size:           88
        .value_kind:     by_value
    .group_segment_fixed_size: 0
    .kernarg_segment_align: 8
    .kernarg_segment_size: 88
    .language:       OpenCL C
    .language_version:
      - 2
      - 0
    .max_flat_workgroup_size: 1024
    .name:           _ZN7rocprim17ROCPRIM_400000_NS6detail17trampoline_kernelINS0_14default_configENS1_35radix_sort_onesweep_config_selectorIjNS0_10empty_typeEEEZZNS1_29radix_sort_onesweep_iterationIS3_Lb0EPKjPjPS5_SB_mNS0_19identity_decomposerENS1_16block_id_wrapperIjLb1EEEEE10hipError_tT1_PNSt15iterator_traitsISG_E10value_typeET2_T3_PNSH_ISM_E10value_typeET4_T5_PSR_SS_PNS1_23onesweep_lookback_stateEbbT6_jjT7_P12ihipStream_tbENKUlT_T0_SG_SL_E_clIS9_SA_SB_SB_EEDaSZ_S10_SG_SL_EUlSZ_E_NS1_11comp_targetILNS1_3genE5ELNS1_11target_archE942ELNS1_3gpuE9ELNS1_3repE0EEENS1_47radix_sort_onesweep_sort_config_static_selectorELNS0_4arch9wavefront6targetE0EEEvSG_
    .private_segment_fixed_size: 0
    .sgpr_count:     0
    .sgpr_spill_count: 0
    .symbol:         _ZN7rocprim17ROCPRIM_400000_NS6detail17trampoline_kernelINS0_14default_configENS1_35radix_sort_onesweep_config_selectorIjNS0_10empty_typeEEEZZNS1_29radix_sort_onesweep_iterationIS3_Lb0EPKjPjPS5_SB_mNS0_19identity_decomposerENS1_16block_id_wrapperIjLb1EEEEE10hipError_tT1_PNSt15iterator_traitsISG_E10value_typeET2_T3_PNSH_ISM_E10value_typeET4_T5_PSR_SS_PNS1_23onesweep_lookback_stateEbbT6_jjT7_P12ihipStream_tbENKUlT_T0_SG_SL_E_clIS9_SA_SB_SB_EEDaSZ_S10_SG_SL_EUlSZ_E_NS1_11comp_targetILNS1_3genE5ELNS1_11target_archE942ELNS1_3gpuE9ELNS1_3repE0EEENS1_47radix_sort_onesweep_sort_config_static_selectorELNS0_4arch9wavefront6targetE0EEEvSG_.kd
    .uniform_work_group_size: 1
    .uses_dynamic_stack: false
    .vgpr_count:     0
    .vgpr_spill_count: 0
    .wavefront_size: 32
  - .args:
      - .offset:         0
        .size:           88
        .value_kind:     by_value
    .group_segment_fixed_size: 0
    .kernarg_segment_align: 8
    .kernarg_segment_size: 88
    .language:       OpenCL C
    .language_version:
      - 2
      - 0
    .max_flat_workgroup_size: 1024
    .name:           _ZN7rocprim17ROCPRIM_400000_NS6detail17trampoline_kernelINS0_14default_configENS1_35radix_sort_onesweep_config_selectorIjNS0_10empty_typeEEEZZNS1_29radix_sort_onesweep_iterationIS3_Lb0EPKjPjPS5_SB_mNS0_19identity_decomposerENS1_16block_id_wrapperIjLb1EEEEE10hipError_tT1_PNSt15iterator_traitsISG_E10value_typeET2_T3_PNSH_ISM_E10value_typeET4_T5_PSR_SS_PNS1_23onesweep_lookback_stateEbbT6_jjT7_P12ihipStream_tbENKUlT_T0_SG_SL_E_clIS9_SA_SB_SB_EEDaSZ_S10_SG_SL_EUlSZ_E_NS1_11comp_targetILNS1_3genE2ELNS1_11target_archE906ELNS1_3gpuE6ELNS1_3repE0EEENS1_47radix_sort_onesweep_sort_config_static_selectorELNS0_4arch9wavefront6targetE0EEEvSG_
    .private_segment_fixed_size: 0
    .sgpr_count:     0
    .sgpr_spill_count: 0
    .symbol:         _ZN7rocprim17ROCPRIM_400000_NS6detail17trampoline_kernelINS0_14default_configENS1_35radix_sort_onesweep_config_selectorIjNS0_10empty_typeEEEZZNS1_29radix_sort_onesweep_iterationIS3_Lb0EPKjPjPS5_SB_mNS0_19identity_decomposerENS1_16block_id_wrapperIjLb1EEEEE10hipError_tT1_PNSt15iterator_traitsISG_E10value_typeET2_T3_PNSH_ISM_E10value_typeET4_T5_PSR_SS_PNS1_23onesweep_lookback_stateEbbT6_jjT7_P12ihipStream_tbENKUlT_T0_SG_SL_E_clIS9_SA_SB_SB_EEDaSZ_S10_SG_SL_EUlSZ_E_NS1_11comp_targetILNS1_3genE2ELNS1_11target_archE906ELNS1_3gpuE6ELNS1_3repE0EEENS1_47radix_sort_onesweep_sort_config_static_selectorELNS0_4arch9wavefront6targetE0EEEvSG_.kd
    .uniform_work_group_size: 1
    .uses_dynamic_stack: false
    .vgpr_count:     0
    .vgpr_spill_count: 0
    .wavefront_size: 32
  - .args:
      - .offset:         0
        .size:           88
        .value_kind:     by_value
    .group_segment_fixed_size: 0
    .kernarg_segment_align: 8
    .kernarg_segment_size: 88
    .language:       OpenCL C
    .language_version:
      - 2
      - 0
    .max_flat_workgroup_size: 1024
    .name:           _ZN7rocprim17ROCPRIM_400000_NS6detail17trampoline_kernelINS0_14default_configENS1_35radix_sort_onesweep_config_selectorIjNS0_10empty_typeEEEZZNS1_29radix_sort_onesweep_iterationIS3_Lb0EPKjPjPS5_SB_mNS0_19identity_decomposerENS1_16block_id_wrapperIjLb1EEEEE10hipError_tT1_PNSt15iterator_traitsISG_E10value_typeET2_T3_PNSH_ISM_E10value_typeET4_T5_PSR_SS_PNS1_23onesweep_lookback_stateEbbT6_jjT7_P12ihipStream_tbENKUlT_T0_SG_SL_E_clIS9_SA_SB_SB_EEDaSZ_S10_SG_SL_EUlSZ_E_NS1_11comp_targetILNS1_3genE4ELNS1_11target_archE910ELNS1_3gpuE8ELNS1_3repE0EEENS1_47radix_sort_onesweep_sort_config_static_selectorELNS0_4arch9wavefront6targetE0EEEvSG_
    .private_segment_fixed_size: 0
    .sgpr_count:     0
    .sgpr_spill_count: 0
    .symbol:         _ZN7rocprim17ROCPRIM_400000_NS6detail17trampoline_kernelINS0_14default_configENS1_35radix_sort_onesweep_config_selectorIjNS0_10empty_typeEEEZZNS1_29radix_sort_onesweep_iterationIS3_Lb0EPKjPjPS5_SB_mNS0_19identity_decomposerENS1_16block_id_wrapperIjLb1EEEEE10hipError_tT1_PNSt15iterator_traitsISG_E10value_typeET2_T3_PNSH_ISM_E10value_typeET4_T5_PSR_SS_PNS1_23onesweep_lookback_stateEbbT6_jjT7_P12ihipStream_tbENKUlT_T0_SG_SL_E_clIS9_SA_SB_SB_EEDaSZ_S10_SG_SL_EUlSZ_E_NS1_11comp_targetILNS1_3genE4ELNS1_11target_archE910ELNS1_3gpuE8ELNS1_3repE0EEENS1_47radix_sort_onesweep_sort_config_static_selectorELNS0_4arch9wavefront6targetE0EEEvSG_.kd
    .uniform_work_group_size: 1
    .uses_dynamic_stack: false
    .vgpr_count:     0
    .vgpr_spill_count: 0
    .wavefront_size: 32
  - .args:
      - .offset:         0
        .size:           88
        .value_kind:     by_value
    .group_segment_fixed_size: 0
    .kernarg_segment_align: 8
    .kernarg_segment_size: 88
    .language:       OpenCL C
    .language_version:
      - 2
      - 0
    .max_flat_workgroup_size: 512
    .name:           _ZN7rocprim17ROCPRIM_400000_NS6detail17trampoline_kernelINS0_14default_configENS1_35radix_sort_onesweep_config_selectorIjNS0_10empty_typeEEEZZNS1_29radix_sort_onesweep_iterationIS3_Lb0EPKjPjPS5_SB_mNS0_19identity_decomposerENS1_16block_id_wrapperIjLb1EEEEE10hipError_tT1_PNSt15iterator_traitsISG_E10value_typeET2_T3_PNSH_ISM_E10value_typeET4_T5_PSR_SS_PNS1_23onesweep_lookback_stateEbbT6_jjT7_P12ihipStream_tbENKUlT_T0_SG_SL_E_clIS9_SA_SB_SB_EEDaSZ_S10_SG_SL_EUlSZ_E_NS1_11comp_targetILNS1_3genE3ELNS1_11target_archE908ELNS1_3gpuE7ELNS1_3repE0EEENS1_47radix_sort_onesweep_sort_config_static_selectorELNS0_4arch9wavefront6targetE0EEEvSG_
    .private_segment_fixed_size: 0
    .sgpr_count:     0
    .sgpr_spill_count: 0
    .symbol:         _ZN7rocprim17ROCPRIM_400000_NS6detail17trampoline_kernelINS0_14default_configENS1_35radix_sort_onesweep_config_selectorIjNS0_10empty_typeEEEZZNS1_29radix_sort_onesweep_iterationIS3_Lb0EPKjPjPS5_SB_mNS0_19identity_decomposerENS1_16block_id_wrapperIjLb1EEEEE10hipError_tT1_PNSt15iterator_traitsISG_E10value_typeET2_T3_PNSH_ISM_E10value_typeET4_T5_PSR_SS_PNS1_23onesweep_lookback_stateEbbT6_jjT7_P12ihipStream_tbENKUlT_T0_SG_SL_E_clIS9_SA_SB_SB_EEDaSZ_S10_SG_SL_EUlSZ_E_NS1_11comp_targetILNS1_3genE3ELNS1_11target_archE908ELNS1_3gpuE7ELNS1_3repE0EEENS1_47radix_sort_onesweep_sort_config_static_selectorELNS0_4arch9wavefront6targetE0EEEvSG_.kd
    .uniform_work_group_size: 1
    .uses_dynamic_stack: false
    .vgpr_count:     0
    .vgpr_spill_count: 0
    .wavefront_size: 32
  - .args:
      - .offset:         0
        .size:           88
        .value_kind:     by_value
    .group_segment_fixed_size: 0
    .kernarg_segment_align: 8
    .kernarg_segment_size: 88
    .language:       OpenCL C
    .language_version:
      - 2
      - 0
    .max_flat_workgroup_size: 1024
    .name:           _ZN7rocprim17ROCPRIM_400000_NS6detail17trampoline_kernelINS0_14default_configENS1_35radix_sort_onesweep_config_selectorIjNS0_10empty_typeEEEZZNS1_29radix_sort_onesweep_iterationIS3_Lb0EPKjPjPS5_SB_mNS0_19identity_decomposerENS1_16block_id_wrapperIjLb1EEEEE10hipError_tT1_PNSt15iterator_traitsISG_E10value_typeET2_T3_PNSH_ISM_E10value_typeET4_T5_PSR_SS_PNS1_23onesweep_lookback_stateEbbT6_jjT7_P12ihipStream_tbENKUlT_T0_SG_SL_E_clIS9_SA_SB_SB_EEDaSZ_S10_SG_SL_EUlSZ_E_NS1_11comp_targetILNS1_3genE10ELNS1_11target_archE1201ELNS1_3gpuE5ELNS1_3repE0EEENS1_47radix_sort_onesweep_sort_config_static_selectorELNS0_4arch9wavefront6targetE0EEEvSG_
    .private_segment_fixed_size: 0
    .sgpr_count:     0
    .sgpr_spill_count: 0
    .symbol:         _ZN7rocprim17ROCPRIM_400000_NS6detail17trampoline_kernelINS0_14default_configENS1_35radix_sort_onesweep_config_selectorIjNS0_10empty_typeEEEZZNS1_29radix_sort_onesweep_iterationIS3_Lb0EPKjPjPS5_SB_mNS0_19identity_decomposerENS1_16block_id_wrapperIjLb1EEEEE10hipError_tT1_PNSt15iterator_traitsISG_E10value_typeET2_T3_PNSH_ISM_E10value_typeET4_T5_PSR_SS_PNS1_23onesweep_lookback_stateEbbT6_jjT7_P12ihipStream_tbENKUlT_T0_SG_SL_E_clIS9_SA_SB_SB_EEDaSZ_S10_SG_SL_EUlSZ_E_NS1_11comp_targetILNS1_3genE10ELNS1_11target_archE1201ELNS1_3gpuE5ELNS1_3repE0EEENS1_47radix_sort_onesweep_sort_config_static_selectorELNS0_4arch9wavefront6targetE0EEEvSG_.kd
    .uniform_work_group_size: 1
    .uses_dynamic_stack: false
    .vgpr_count:     0
    .vgpr_spill_count: 0
    .wavefront_size: 32
  - .args:
      - .offset:         0
        .size:           88
        .value_kind:     by_value
    .group_segment_fixed_size: 0
    .kernarg_segment_align: 8
    .kernarg_segment_size: 88
    .language:       OpenCL C
    .language_version:
      - 2
      - 0
    .max_flat_workgroup_size: 1024
    .name:           _ZN7rocprim17ROCPRIM_400000_NS6detail17trampoline_kernelINS0_14default_configENS1_35radix_sort_onesweep_config_selectorIjNS0_10empty_typeEEEZZNS1_29radix_sort_onesweep_iterationIS3_Lb0EPKjPjPS5_SB_mNS0_19identity_decomposerENS1_16block_id_wrapperIjLb1EEEEE10hipError_tT1_PNSt15iterator_traitsISG_E10value_typeET2_T3_PNSH_ISM_E10value_typeET4_T5_PSR_SS_PNS1_23onesweep_lookback_stateEbbT6_jjT7_P12ihipStream_tbENKUlT_T0_SG_SL_E_clIS9_SA_SB_SB_EEDaSZ_S10_SG_SL_EUlSZ_E_NS1_11comp_targetILNS1_3genE9ELNS1_11target_archE1100ELNS1_3gpuE3ELNS1_3repE0EEENS1_47radix_sort_onesweep_sort_config_static_selectorELNS0_4arch9wavefront6targetE0EEEvSG_
    .private_segment_fixed_size: 0
    .sgpr_count:     0
    .sgpr_spill_count: 0
    .symbol:         _ZN7rocprim17ROCPRIM_400000_NS6detail17trampoline_kernelINS0_14default_configENS1_35radix_sort_onesweep_config_selectorIjNS0_10empty_typeEEEZZNS1_29radix_sort_onesweep_iterationIS3_Lb0EPKjPjPS5_SB_mNS0_19identity_decomposerENS1_16block_id_wrapperIjLb1EEEEE10hipError_tT1_PNSt15iterator_traitsISG_E10value_typeET2_T3_PNSH_ISM_E10value_typeET4_T5_PSR_SS_PNS1_23onesweep_lookback_stateEbbT6_jjT7_P12ihipStream_tbENKUlT_T0_SG_SL_E_clIS9_SA_SB_SB_EEDaSZ_S10_SG_SL_EUlSZ_E_NS1_11comp_targetILNS1_3genE9ELNS1_11target_archE1100ELNS1_3gpuE3ELNS1_3repE0EEENS1_47radix_sort_onesweep_sort_config_static_selectorELNS0_4arch9wavefront6targetE0EEEvSG_.kd
    .uniform_work_group_size: 1
    .uses_dynamic_stack: false
    .vgpr_count:     0
    .vgpr_spill_count: 0
    .wavefront_size: 32
  - .args:
      - .offset:         0
        .size:           88
        .value_kind:     by_value
    .group_segment_fixed_size: 0
    .kernarg_segment_align: 8
    .kernarg_segment_size: 88
    .language:       OpenCL C
    .language_version:
      - 2
      - 0
    .max_flat_workgroup_size: 1024
    .name:           _ZN7rocprim17ROCPRIM_400000_NS6detail17trampoline_kernelINS0_14default_configENS1_35radix_sort_onesweep_config_selectorIjNS0_10empty_typeEEEZZNS1_29radix_sort_onesweep_iterationIS3_Lb0EPKjPjPS5_SB_mNS0_19identity_decomposerENS1_16block_id_wrapperIjLb1EEEEE10hipError_tT1_PNSt15iterator_traitsISG_E10value_typeET2_T3_PNSH_ISM_E10value_typeET4_T5_PSR_SS_PNS1_23onesweep_lookback_stateEbbT6_jjT7_P12ihipStream_tbENKUlT_T0_SG_SL_E_clIS9_SA_SB_SB_EEDaSZ_S10_SG_SL_EUlSZ_E_NS1_11comp_targetILNS1_3genE8ELNS1_11target_archE1030ELNS1_3gpuE2ELNS1_3repE0EEENS1_47radix_sort_onesweep_sort_config_static_selectorELNS0_4arch9wavefront6targetE0EEEvSG_
    .private_segment_fixed_size: 0
    .sgpr_count:     0
    .sgpr_spill_count: 0
    .symbol:         _ZN7rocprim17ROCPRIM_400000_NS6detail17trampoline_kernelINS0_14default_configENS1_35radix_sort_onesweep_config_selectorIjNS0_10empty_typeEEEZZNS1_29radix_sort_onesweep_iterationIS3_Lb0EPKjPjPS5_SB_mNS0_19identity_decomposerENS1_16block_id_wrapperIjLb1EEEEE10hipError_tT1_PNSt15iterator_traitsISG_E10value_typeET2_T3_PNSH_ISM_E10value_typeET4_T5_PSR_SS_PNS1_23onesweep_lookback_stateEbbT6_jjT7_P12ihipStream_tbENKUlT_T0_SG_SL_E_clIS9_SA_SB_SB_EEDaSZ_S10_SG_SL_EUlSZ_E_NS1_11comp_targetILNS1_3genE8ELNS1_11target_archE1030ELNS1_3gpuE2ELNS1_3repE0EEENS1_47radix_sort_onesweep_sort_config_static_selectorELNS0_4arch9wavefront6targetE0EEEvSG_.kd
    .uniform_work_group_size: 1
    .uses_dynamic_stack: false
    .vgpr_count:     0
    .vgpr_spill_count: 0
    .wavefront_size: 32
  - .args:
      - .offset:         0
        .size:           88
        .value_kind:     by_value
      - .offset:         88
        .size:           4
        .value_kind:     hidden_block_count_x
      - .offset:         92
        .size:           4
        .value_kind:     hidden_block_count_y
      - .offset:         96
        .size:           4
        .value_kind:     hidden_block_count_z
      - .offset:         100
        .size:           2
        .value_kind:     hidden_group_size_x
      - .offset:         102
        .size:           2
        .value_kind:     hidden_group_size_y
      - .offset:         104
        .size:           2
        .value_kind:     hidden_group_size_z
      - .offset:         106
        .size:           2
        .value_kind:     hidden_remainder_x
      - .offset:         108
        .size:           2
        .value_kind:     hidden_remainder_y
      - .offset:         110
        .size:           2
        .value_kind:     hidden_remainder_z
      - .offset:         128
        .size:           8
        .value_kind:     hidden_global_offset_x
      - .offset:         136
        .size:           8
        .value_kind:     hidden_global_offset_y
      - .offset:         144
        .size:           8
        .value_kind:     hidden_global_offset_z
      - .offset:         152
        .size:           2
        .value_kind:     hidden_grid_dims
    .group_segment_fixed_size: 18504
    .kernarg_segment_align: 8
    .kernarg_segment_size: 344
    .language:       OpenCL C
    .language_version:
      - 2
      - 0
    .max_flat_workgroup_size: 512
    .name:           _ZN7rocprim17ROCPRIM_400000_NS6detail17trampoline_kernelINS0_14default_configENS1_35radix_sort_onesweep_config_selectorIjNS0_10empty_typeEEEZZNS1_29radix_sort_onesweep_iterationIS3_Lb0EPKjPjPS5_SB_mNS0_19identity_decomposerENS1_16block_id_wrapperIjLb1EEEEE10hipError_tT1_PNSt15iterator_traitsISG_E10value_typeET2_T3_PNSH_ISM_E10value_typeET4_T5_PSR_SS_PNS1_23onesweep_lookback_stateEbbT6_jjT7_P12ihipStream_tbENKUlT_T0_SG_SL_E_clISA_SA_SB_SB_EEDaSZ_S10_SG_SL_EUlSZ_E_NS1_11comp_targetILNS1_3genE0ELNS1_11target_archE4294967295ELNS1_3gpuE0ELNS1_3repE0EEENS1_47radix_sort_onesweep_sort_config_static_selectorELNS0_4arch9wavefront6targetE0EEEvSG_
    .private_segment_fixed_size: 0
    .sgpr_count:     31
    .sgpr_spill_count: 0
    .symbol:         _ZN7rocprim17ROCPRIM_400000_NS6detail17trampoline_kernelINS0_14default_configENS1_35radix_sort_onesweep_config_selectorIjNS0_10empty_typeEEEZZNS1_29radix_sort_onesweep_iterationIS3_Lb0EPKjPjPS5_SB_mNS0_19identity_decomposerENS1_16block_id_wrapperIjLb1EEEEE10hipError_tT1_PNSt15iterator_traitsISG_E10value_typeET2_T3_PNSH_ISM_E10value_typeET4_T5_PSR_SS_PNS1_23onesweep_lookback_stateEbbT6_jjT7_P12ihipStream_tbENKUlT_T0_SG_SL_E_clISA_SA_SB_SB_EEDaSZ_S10_SG_SL_EUlSZ_E_NS1_11comp_targetILNS1_3genE0ELNS1_11target_archE4294967295ELNS1_3gpuE0ELNS1_3repE0EEENS1_47radix_sort_onesweep_sort_config_static_selectorELNS0_4arch9wavefront6targetE0EEEvSG_.kd
    .uniform_work_group_size: 1
    .uses_dynamic_stack: false
    .vgpr_count:     65
    .vgpr_spill_count: 0
    .wavefront_size: 32
  - .args:
      - .offset:         0
        .size:           88
        .value_kind:     by_value
    .group_segment_fixed_size: 0
    .kernarg_segment_align: 8
    .kernarg_segment_size: 88
    .language:       OpenCL C
    .language_version:
      - 2
      - 0
    .max_flat_workgroup_size: 1024
    .name:           _ZN7rocprim17ROCPRIM_400000_NS6detail17trampoline_kernelINS0_14default_configENS1_35radix_sort_onesweep_config_selectorIjNS0_10empty_typeEEEZZNS1_29radix_sort_onesweep_iterationIS3_Lb0EPKjPjPS5_SB_mNS0_19identity_decomposerENS1_16block_id_wrapperIjLb1EEEEE10hipError_tT1_PNSt15iterator_traitsISG_E10value_typeET2_T3_PNSH_ISM_E10value_typeET4_T5_PSR_SS_PNS1_23onesweep_lookback_stateEbbT6_jjT7_P12ihipStream_tbENKUlT_T0_SG_SL_E_clISA_SA_SB_SB_EEDaSZ_S10_SG_SL_EUlSZ_E_NS1_11comp_targetILNS1_3genE6ELNS1_11target_archE950ELNS1_3gpuE13ELNS1_3repE0EEENS1_47radix_sort_onesweep_sort_config_static_selectorELNS0_4arch9wavefront6targetE0EEEvSG_
    .private_segment_fixed_size: 0
    .sgpr_count:     0
    .sgpr_spill_count: 0
    .symbol:         _ZN7rocprim17ROCPRIM_400000_NS6detail17trampoline_kernelINS0_14default_configENS1_35radix_sort_onesweep_config_selectorIjNS0_10empty_typeEEEZZNS1_29radix_sort_onesweep_iterationIS3_Lb0EPKjPjPS5_SB_mNS0_19identity_decomposerENS1_16block_id_wrapperIjLb1EEEEE10hipError_tT1_PNSt15iterator_traitsISG_E10value_typeET2_T3_PNSH_ISM_E10value_typeET4_T5_PSR_SS_PNS1_23onesweep_lookback_stateEbbT6_jjT7_P12ihipStream_tbENKUlT_T0_SG_SL_E_clISA_SA_SB_SB_EEDaSZ_S10_SG_SL_EUlSZ_E_NS1_11comp_targetILNS1_3genE6ELNS1_11target_archE950ELNS1_3gpuE13ELNS1_3repE0EEENS1_47radix_sort_onesweep_sort_config_static_selectorELNS0_4arch9wavefront6targetE0EEEvSG_.kd
    .uniform_work_group_size: 1
    .uses_dynamic_stack: false
    .vgpr_count:     0
    .vgpr_spill_count: 0
    .wavefront_size: 32
  - .args:
      - .offset:         0
        .size:           88
        .value_kind:     by_value
    .group_segment_fixed_size: 0
    .kernarg_segment_align: 8
    .kernarg_segment_size: 88
    .language:       OpenCL C
    .language_version:
      - 2
      - 0
    .max_flat_workgroup_size: 1024
    .name:           _ZN7rocprim17ROCPRIM_400000_NS6detail17trampoline_kernelINS0_14default_configENS1_35radix_sort_onesweep_config_selectorIjNS0_10empty_typeEEEZZNS1_29radix_sort_onesweep_iterationIS3_Lb0EPKjPjPS5_SB_mNS0_19identity_decomposerENS1_16block_id_wrapperIjLb1EEEEE10hipError_tT1_PNSt15iterator_traitsISG_E10value_typeET2_T3_PNSH_ISM_E10value_typeET4_T5_PSR_SS_PNS1_23onesweep_lookback_stateEbbT6_jjT7_P12ihipStream_tbENKUlT_T0_SG_SL_E_clISA_SA_SB_SB_EEDaSZ_S10_SG_SL_EUlSZ_E_NS1_11comp_targetILNS1_3genE5ELNS1_11target_archE942ELNS1_3gpuE9ELNS1_3repE0EEENS1_47radix_sort_onesweep_sort_config_static_selectorELNS0_4arch9wavefront6targetE0EEEvSG_
    .private_segment_fixed_size: 0
    .sgpr_count:     0
    .sgpr_spill_count: 0
    .symbol:         _ZN7rocprim17ROCPRIM_400000_NS6detail17trampoline_kernelINS0_14default_configENS1_35radix_sort_onesweep_config_selectorIjNS0_10empty_typeEEEZZNS1_29radix_sort_onesweep_iterationIS3_Lb0EPKjPjPS5_SB_mNS0_19identity_decomposerENS1_16block_id_wrapperIjLb1EEEEE10hipError_tT1_PNSt15iterator_traitsISG_E10value_typeET2_T3_PNSH_ISM_E10value_typeET4_T5_PSR_SS_PNS1_23onesweep_lookback_stateEbbT6_jjT7_P12ihipStream_tbENKUlT_T0_SG_SL_E_clISA_SA_SB_SB_EEDaSZ_S10_SG_SL_EUlSZ_E_NS1_11comp_targetILNS1_3genE5ELNS1_11target_archE942ELNS1_3gpuE9ELNS1_3repE0EEENS1_47radix_sort_onesweep_sort_config_static_selectorELNS0_4arch9wavefront6targetE0EEEvSG_.kd
    .uniform_work_group_size: 1
    .uses_dynamic_stack: false
    .vgpr_count:     0
    .vgpr_spill_count: 0
    .wavefront_size: 32
  - .args:
      - .offset:         0
        .size:           88
        .value_kind:     by_value
    .group_segment_fixed_size: 0
    .kernarg_segment_align: 8
    .kernarg_segment_size: 88
    .language:       OpenCL C
    .language_version:
      - 2
      - 0
    .max_flat_workgroup_size: 1024
    .name:           _ZN7rocprim17ROCPRIM_400000_NS6detail17trampoline_kernelINS0_14default_configENS1_35radix_sort_onesweep_config_selectorIjNS0_10empty_typeEEEZZNS1_29radix_sort_onesweep_iterationIS3_Lb0EPKjPjPS5_SB_mNS0_19identity_decomposerENS1_16block_id_wrapperIjLb1EEEEE10hipError_tT1_PNSt15iterator_traitsISG_E10value_typeET2_T3_PNSH_ISM_E10value_typeET4_T5_PSR_SS_PNS1_23onesweep_lookback_stateEbbT6_jjT7_P12ihipStream_tbENKUlT_T0_SG_SL_E_clISA_SA_SB_SB_EEDaSZ_S10_SG_SL_EUlSZ_E_NS1_11comp_targetILNS1_3genE2ELNS1_11target_archE906ELNS1_3gpuE6ELNS1_3repE0EEENS1_47radix_sort_onesweep_sort_config_static_selectorELNS0_4arch9wavefront6targetE0EEEvSG_
    .private_segment_fixed_size: 0
    .sgpr_count:     0
    .sgpr_spill_count: 0
    .symbol:         _ZN7rocprim17ROCPRIM_400000_NS6detail17trampoline_kernelINS0_14default_configENS1_35radix_sort_onesweep_config_selectorIjNS0_10empty_typeEEEZZNS1_29radix_sort_onesweep_iterationIS3_Lb0EPKjPjPS5_SB_mNS0_19identity_decomposerENS1_16block_id_wrapperIjLb1EEEEE10hipError_tT1_PNSt15iterator_traitsISG_E10value_typeET2_T3_PNSH_ISM_E10value_typeET4_T5_PSR_SS_PNS1_23onesweep_lookback_stateEbbT6_jjT7_P12ihipStream_tbENKUlT_T0_SG_SL_E_clISA_SA_SB_SB_EEDaSZ_S10_SG_SL_EUlSZ_E_NS1_11comp_targetILNS1_3genE2ELNS1_11target_archE906ELNS1_3gpuE6ELNS1_3repE0EEENS1_47radix_sort_onesweep_sort_config_static_selectorELNS0_4arch9wavefront6targetE0EEEvSG_.kd
    .uniform_work_group_size: 1
    .uses_dynamic_stack: false
    .vgpr_count:     0
    .vgpr_spill_count: 0
    .wavefront_size: 32
  - .args:
      - .offset:         0
        .size:           88
        .value_kind:     by_value
    .group_segment_fixed_size: 0
    .kernarg_segment_align: 8
    .kernarg_segment_size: 88
    .language:       OpenCL C
    .language_version:
      - 2
      - 0
    .max_flat_workgroup_size: 1024
    .name:           _ZN7rocprim17ROCPRIM_400000_NS6detail17trampoline_kernelINS0_14default_configENS1_35radix_sort_onesweep_config_selectorIjNS0_10empty_typeEEEZZNS1_29radix_sort_onesweep_iterationIS3_Lb0EPKjPjPS5_SB_mNS0_19identity_decomposerENS1_16block_id_wrapperIjLb1EEEEE10hipError_tT1_PNSt15iterator_traitsISG_E10value_typeET2_T3_PNSH_ISM_E10value_typeET4_T5_PSR_SS_PNS1_23onesweep_lookback_stateEbbT6_jjT7_P12ihipStream_tbENKUlT_T0_SG_SL_E_clISA_SA_SB_SB_EEDaSZ_S10_SG_SL_EUlSZ_E_NS1_11comp_targetILNS1_3genE4ELNS1_11target_archE910ELNS1_3gpuE8ELNS1_3repE0EEENS1_47radix_sort_onesweep_sort_config_static_selectorELNS0_4arch9wavefront6targetE0EEEvSG_
    .private_segment_fixed_size: 0
    .sgpr_count:     0
    .sgpr_spill_count: 0
    .symbol:         _ZN7rocprim17ROCPRIM_400000_NS6detail17trampoline_kernelINS0_14default_configENS1_35radix_sort_onesweep_config_selectorIjNS0_10empty_typeEEEZZNS1_29radix_sort_onesweep_iterationIS3_Lb0EPKjPjPS5_SB_mNS0_19identity_decomposerENS1_16block_id_wrapperIjLb1EEEEE10hipError_tT1_PNSt15iterator_traitsISG_E10value_typeET2_T3_PNSH_ISM_E10value_typeET4_T5_PSR_SS_PNS1_23onesweep_lookback_stateEbbT6_jjT7_P12ihipStream_tbENKUlT_T0_SG_SL_E_clISA_SA_SB_SB_EEDaSZ_S10_SG_SL_EUlSZ_E_NS1_11comp_targetILNS1_3genE4ELNS1_11target_archE910ELNS1_3gpuE8ELNS1_3repE0EEENS1_47radix_sort_onesweep_sort_config_static_selectorELNS0_4arch9wavefront6targetE0EEEvSG_.kd
    .uniform_work_group_size: 1
    .uses_dynamic_stack: false
    .vgpr_count:     0
    .vgpr_spill_count: 0
    .wavefront_size: 32
  - .args:
      - .offset:         0
        .size:           88
        .value_kind:     by_value
    .group_segment_fixed_size: 0
    .kernarg_segment_align: 8
    .kernarg_segment_size: 88
    .language:       OpenCL C
    .language_version:
      - 2
      - 0
    .max_flat_workgroup_size: 512
    .name:           _ZN7rocprim17ROCPRIM_400000_NS6detail17trampoline_kernelINS0_14default_configENS1_35radix_sort_onesweep_config_selectorIjNS0_10empty_typeEEEZZNS1_29radix_sort_onesweep_iterationIS3_Lb0EPKjPjPS5_SB_mNS0_19identity_decomposerENS1_16block_id_wrapperIjLb1EEEEE10hipError_tT1_PNSt15iterator_traitsISG_E10value_typeET2_T3_PNSH_ISM_E10value_typeET4_T5_PSR_SS_PNS1_23onesweep_lookback_stateEbbT6_jjT7_P12ihipStream_tbENKUlT_T0_SG_SL_E_clISA_SA_SB_SB_EEDaSZ_S10_SG_SL_EUlSZ_E_NS1_11comp_targetILNS1_3genE3ELNS1_11target_archE908ELNS1_3gpuE7ELNS1_3repE0EEENS1_47radix_sort_onesweep_sort_config_static_selectorELNS0_4arch9wavefront6targetE0EEEvSG_
    .private_segment_fixed_size: 0
    .sgpr_count:     0
    .sgpr_spill_count: 0
    .symbol:         _ZN7rocprim17ROCPRIM_400000_NS6detail17trampoline_kernelINS0_14default_configENS1_35radix_sort_onesweep_config_selectorIjNS0_10empty_typeEEEZZNS1_29radix_sort_onesweep_iterationIS3_Lb0EPKjPjPS5_SB_mNS0_19identity_decomposerENS1_16block_id_wrapperIjLb1EEEEE10hipError_tT1_PNSt15iterator_traitsISG_E10value_typeET2_T3_PNSH_ISM_E10value_typeET4_T5_PSR_SS_PNS1_23onesweep_lookback_stateEbbT6_jjT7_P12ihipStream_tbENKUlT_T0_SG_SL_E_clISA_SA_SB_SB_EEDaSZ_S10_SG_SL_EUlSZ_E_NS1_11comp_targetILNS1_3genE3ELNS1_11target_archE908ELNS1_3gpuE7ELNS1_3repE0EEENS1_47radix_sort_onesweep_sort_config_static_selectorELNS0_4arch9wavefront6targetE0EEEvSG_.kd
    .uniform_work_group_size: 1
    .uses_dynamic_stack: false
    .vgpr_count:     0
    .vgpr_spill_count: 0
    .wavefront_size: 32
  - .args:
      - .offset:         0
        .size:           88
        .value_kind:     by_value
    .group_segment_fixed_size: 0
    .kernarg_segment_align: 8
    .kernarg_segment_size: 88
    .language:       OpenCL C
    .language_version:
      - 2
      - 0
    .max_flat_workgroup_size: 1024
    .name:           _ZN7rocprim17ROCPRIM_400000_NS6detail17trampoline_kernelINS0_14default_configENS1_35radix_sort_onesweep_config_selectorIjNS0_10empty_typeEEEZZNS1_29radix_sort_onesweep_iterationIS3_Lb0EPKjPjPS5_SB_mNS0_19identity_decomposerENS1_16block_id_wrapperIjLb1EEEEE10hipError_tT1_PNSt15iterator_traitsISG_E10value_typeET2_T3_PNSH_ISM_E10value_typeET4_T5_PSR_SS_PNS1_23onesweep_lookback_stateEbbT6_jjT7_P12ihipStream_tbENKUlT_T0_SG_SL_E_clISA_SA_SB_SB_EEDaSZ_S10_SG_SL_EUlSZ_E_NS1_11comp_targetILNS1_3genE10ELNS1_11target_archE1201ELNS1_3gpuE5ELNS1_3repE0EEENS1_47radix_sort_onesweep_sort_config_static_selectorELNS0_4arch9wavefront6targetE0EEEvSG_
    .private_segment_fixed_size: 0
    .sgpr_count:     0
    .sgpr_spill_count: 0
    .symbol:         _ZN7rocprim17ROCPRIM_400000_NS6detail17trampoline_kernelINS0_14default_configENS1_35radix_sort_onesweep_config_selectorIjNS0_10empty_typeEEEZZNS1_29radix_sort_onesweep_iterationIS3_Lb0EPKjPjPS5_SB_mNS0_19identity_decomposerENS1_16block_id_wrapperIjLb1EEEEE10hipError_tT1_PNSt15iterator_traitsISG_E10value_typeET2_T3_PNSH_ISM_E10value_typeET4_T5_PSR_SS_PNS1_23onesweep_lookback_stateEbbT6_jjT7_P12ihipStream_tbENKUlT_T0_SG_SL_E_clISA_SA_SB_SB_EEDaSZ_S10_SG_SL_EUlSZ_E_NS1_11comp_targetILNS1_3genE10ELNS1_11target_archE1201ELNS1_3gpuE5ELNS1_3repE0EEENS1_47radix_sort_onesweep_sort_config_static_selectorELNS0_4arch9wavefront6targetE0EEEvSG_.kd
    .uniform_work_group_size: 1
    .uses_dynamic_stack: false
    .vgpr_count:     0
    .vgpr_spill_count: 0
    .wavefront_size: 32
  - .args:
      - .offset:         0
        .size:           88
        .value_kind:     by_value
    .group_segment_fixed_size: 0
    .kernarg_segment_align: 8
    .kernarg_segment_size: 88
    .language:       OpenCL C
    .language_version:
      - 2
      - 0
    .max_flat_workgroup_size: 1024
    .name:           _ZN7rocprim17ROCPRIM_400000_NS6detail17trampoline_kernelINS0_14default_configENS1_35radix_sort_onesweep_config_selectorIjNS0_10empty_typeEEEZZNS1_29radix_sort_onesweep_iterationIS3_Lb0EPKjPjPS5_SB_mNS0_19identity_decomposerENS1_16block_id_wrapperIjLb1EEEEE10hipError_tT1_PNSt15iterator_traitsISG_E10value_typeET2_T3_PNSH_ISM_E10value_typeET4_T5_PSR_SS_PNS1_23onesweep_lookback_stateEbbT6_jjT7_P12ihipStream_tbENKUlT_T0_SG_SL_E_clISA_SA_SB_SB_EEDaSZ_S10_SG_SL_EUlSZ_E_NS1_11comp_targetILNS1_3genE9ELNS1_11target_archE1100ELNS1_3gpuE3ELNS1_3repE0EEENS1_47radix_sort_onesweep_sort_config_static_selectorELNS0_4arch9wavefront6targetE0EEEvSG_
    .private_segment_fixed_size: 0
    .sgpr_count:     0
    .sgpr_spill_count: 0
    .symbol:         _ZN7rocprim17ROCPRIM_400000_NS6detail17trampoline_kernelINS0_14default_configENS1_35radix_sort_onesweep_config_selectorIjNS0_10empty_typeEEEZZNS1_29radix_sort_onesweep_iterationIS3_Lb0EPKjPjPS5_SB_mNS0_19identity_decomposerENS1_16block_id_wrapperIjLb1EEEEE10hipError_tT1_PNSt15iterator_traitsISG_E10value_typeET2_T3_PNSH_ISM_E10value_typeET4_T5_PSR_SS_PNS1_23onesweep_lookback_stateEbbT6_jjT7_P12ihipStream_tbENKUlT_T0_SG_SL_E_clISA_SA_SB_SB_EEDaSZ_S10_SG_SL_EUlSZ_E_NS1_11comp_targetILNS1_3genE9ELNS1_11target_archE1100ELNS1_3gpuE3ELNS1_3repE0EEENS1_47radix_sort_onesweep_sort_config_static_selectorELNS0_4arch9wavefront6targetE0EEEvSG_.kd
    .uniform_work_group_size: 1
    .uses_dynamic_stack: false
    .vgpr_count:     0
    .vgpr_spill_count: 0
    .wavefront_size: 32
  - .args:
      - .offset:         0
        .size:           88
        .value_kind:     by_value
    .group_segment_fixed_size: 0
    .kernarg_segment_align: 8
    .kernarg_segment_size: 88
    .language:       OpenCL C
    .language_version:
      - 2
      - 0
    .max_flat_workgroup_size: 1024
    .name:           _ZN7rocprim17ROCPRIM_400000_NS6detail17trampoline_kernelINS0_14default_configENS1_35radix_sort_onesweep_config_selectorIjNS0_10empty_typeEEEZZNS1_29radix_sort_onesweep_iterationIS3_Lb0EPKjPjPS5_SB_mNS0_19identity_decomposerENS1_16block_id_wrapperIjLb1EEEEE10hipError_tT1_PNSt15iterator_traitsISG_E10value_typeET2_T3_PNSH_ISM_E10value_typeET4_T5_PSR_SS_PNS1_23onesweep_lookback_stateEbbT6_jjT7_P12ihipStream_tbENKUlT_T0_SG_SL_E_clISA_SA_SB_SB_EEDaSZ_S10_SG_SL_EUlSZ_E_NS1_11comp_targetILNS1_3genE8ELNS1_11target_archE1030ELNS1_3gpuE2ELNS1_3repE0EEENS1_47radix_sort_onesweep_sort_config_static_selectorELNS0_4arch9wavefront6targetE0EEEvSG_
    .private_segment_fixed_size: 0
    .sgpr_count:     0
    .sgpr_spill_count: 0
    .symbol:         _ZN7rocprim17ROCPRIM_400000_NS6detail17trampoline_kernelINS0_14default_configENS1_35radix_sort_onesweep_config_selectorIjNS0_10empty_typeEEEZZNS1_29radix_sort_onesweep_iterationIS3_Lb0EPKjPjPS5_SB_mNS0_19identity_decomposerENS1_16block_id_wrapperIjLb1EEEEE10hipError_tT1_PNSt15iterator_traitsISG_E10value_typeET2_T3_PNSH_ISM_E10value_typeET4_T5_PSR_SS_PNS1_23onesweep_lookback_stateEbbT6_jjT7_P12ihipStream_tbENKUlT_T0_SG_SL_E_clISA_SA_SB_SB_EEDaSZ_S10_SG_SL_EUlSZ_E_NS1_11comp_targetILNS1_3genE8ELNS1_11target_archE1030ELNS1_3gpuE2ELNS1_3repE0EEENS1_47radix_sort_onesweep_sort_config_static_selectorELNS0_4arch9wavefront6targetE0EEEvSG_.kd
    .uniform_work_group_size: 1
    .uses_dynamic_stack: false
    .vgpr_count:     0
    .vgpr_spill_count: 0
    .wavefront_size: 32
  - .args:
      - .offset:         0
        .size:           88
        .value_kind:     by_value
      - .offset:         88
        .size:           4
        .value_kind:     hidden_block_count_x
      - .offset:         92
        .size:           4
        .value_kind:     hidden_block_count_y
      - .offset:         96
        .size:           4
        .value_kind:     hidden_block_count_z
      - .offset:         100
        .size:           2
        .value_kind:     hidden_group_size_x
      - .offset:         102
        .size:           2
        .value_kind:     hidden_group_size_y
      - .offset:         104
        .size:           2
        .value_kind:     hidden_group_size_z
      - .offset:         106
        .size:           2
        .value_kind:     hidden_remainder_x
      - .offset:         108
        .size:           2
        .value_kind:     hidden_remainder_y
      - .offset:         110
        .size:           2
        .value_kind:     hidden_remainder_z
      - .offset:         128
        .size:           8
        .value_kind:     hidden_global_offset_x
      - .offset:         136
        .size:           8
        .value_kind:     hidden_global_offset_y
      - .offset:         144
        .size:           8
        .value_kind:     hidden_global_offset_z
      - .offset:         152
        .size:           2
        .value_kind:     hidden_grid_dims
    .group_segment_fixed_size: 18504
    .kernarg_segment_align: 8
    .kernarg_segment_size: 344
    .language:       OpenCL C
    .language_version:
      - 2
      - 0
    .max_flat_workgroup_size: 512
    .name:           _ZN7rocprim17ROCPRIM_400000_NS6detail17trampoline_kernelINS0_14default_configENS1_35radix_sort_onesweep_config_selectorIjNS0_10empty_typeEEEZZNS1_29radix_sort_onesweep_iterationIS3_Lb0EPKjPjPS5_SB_mNS0_19identity_decomposerENS1_16block_id_wrapperIjLb0EEEEE10hipError_tT1_PNSt15iterator_traitsISG_E10value_typeET2_T3_PNSH_ISM_E10value_typeET4_T5_PSR_SS_PNS1_23onesweep_lookback_stateEbbT6_jjT7_P12ihipStream_tbENKUlT_T0_SG_SL_E_clIS9_SA_SB_SB_EEDaSZ_S10_SG_SL_EUlSZ_E_NS1_11comp_targetILNS1_3genE0ELNS1_11target_archE4294967295ELNS1_3gpuE0ELNS1_3repE0EEENS1_47radix_sort_onesweep_sort_config_static_selectorELNS0_4arch9wavefront6targetE0EEEvSG_
    .private_segment_fixed_size: 0
    .sgpr_count:     31
    .sgpr_spill_count: 0
    .symbol:         _ZN7rocprim17ROCPRIM_400000_NS6detail17trampoline_kernelINS0_14default_configENS1_35radix_sort_onesweep_config_selectorIjNS0_10empty_typeEEEZZNS1_29radix_sort_onesweep_iterationIS3_Lb0EPKjPjPS5_SB_mNS0_19identity_decomposerENS1_16block_id_wrapperIjLb0EEEEE10hipError_tT1_PNSt15iterator_traitsISG_E10value_typeET2_T3_PNSH_ISM_E10value_typeET4_T5_PSR_SS_PNS1_23onesweep_lookback_stateEbbT6_jjT7_P12ihipStream_tbENKUlT_T0_SG_SL_E_clIS9_SA_SB_SB_EEDaSZ_S10_SG_SL_EUlSZ_E_NS1_11comp_targetILNS1_3genE0ELNS1_11target_archE4294967295ELNS1_3gpuE0ELNS1_3repE0EEENS1_47radix_sort_onesweep_sort_config_static_selectorELNS0_4arch9wavefront6targetE0EEEvSG_.kd
    .uniform_work_group_size: 1
    .uses_dynamic_stack: false
    .vgpr_count:     65
    .vgpr_spill_count: 0
    .wavefront_size: 32
  - .args:
      - .offset:         0
        .size:           88
        .value_kind:     by_value
    .group_segment_fixed_size: 0
    .kernarg_segment_align: 8
    .kernarg_segment_size: 88
    .language:       OpenCL C
    .language_version:
      - 2
      - 0
    .max_flat_workgroup_size: 1024
    .name:           _ZN7rocprim17ROCPRIM_400000_NS6detail17trampoline_kernelINS0_14default_configENS1_35radix_sort_onesweep_config_selectorIjNS0_10empty_typeEEEZZNS1_29radix_sort_onesweep_iterationIS3_Lb0EPKjPjPS5_SB_mNS0_19identity_decomposerENS1_16block_id_wrapperIjLb0EEEEE10hipError_tT1_PNSt15iterator_traitsISG_E10value_typeET2_T3_PNSH_ISM_E10value_typeET4_T5_PSR_SS_PNS1_23onesweep_lookback_stateEbbT6_jjT7_P12ihipStream_tbENKUlT_T0_SG_SL_E_clIS9_SA_SB_SB_EEDaSZ_S10_SG_SL_EUlSZ_E_NS1_11comp_targetILNS1_3genE6ELNS1_11target_archE950ELNS1_3gpuE13ELNS1_3repE0EEENS1_47radix_sort_onesweep_sort_config_static_selectorELNS0_4arch9wavefront6targetE0EEEvSG_
    .private_segment_fixed_size: 0
    .sgpr_count:     0
    .sgpr_spill_count: 0
    .symbol:         _ZN7rocprim17ROCPRIM_400000_NS6detail17trampoline_kernelINS0_14default_configENS1_35radix_sort_onesweep_config_selectorIjNS0_10empty_typeEEEZZNS1_29radix_sort_onesweep_iterationIS3_Lb0EPKjPjPS5_SB_mNS0_19identity_decomposerENS1_16block_id_wrapperIjLb0EEEEE10hipError_tT1_PNSt15iterator_traitsISG_E10value_typeET2_T3_PNSH_ISM_E10value_typeET4_T5_PSR_SS_PNS1_23onesweep_lookback_stateEbbT6_jjT7_P12ihipStream_tbENKUlT_T0_SG_SL_E_clIS9_SA_SB_SB_EEDaSZ_S10_SG_SL_EUlSZ_E_NS1_11comp_targetILNS1_3genE6ELNS1_11target_archE950ELNS1_3gpuE13ELNS1_3repE0EEENS1_47radix_sort_onesweep_sort_config_static_selectorELNS0_4arch9wavefront6targetE0EEEvSG_.kd
    .uniform_work_group_size: 1
    .uses_dynamic_stack: false
    .vgpr_count:     0
    .vgpr_spill_count: 0
    .wavefront_size: 32
  - .args:
      - .offset:         0
        .size:           88
        .value_kind:     by_value
    .group_segment_fixed_size: 0
    .kernarg_segment_align: 8
    .kernarg_segment_size: 88
    .language:       OpenCL C
    .language_version:
      - 2
      - 0
    .max_flat_workgroup_size: 1024
    .name:           _ZN7rocprim17ROCPRIM_400000_NS6detail17trampoline_kernelINS0_14default_configENS1_35radix_sort_onesweep_config_selectorIjNS0_10empty_typeEEEZZNS1_29radix_sort_onesweep_iterationIS3_Lb0EPKjPjPS5_SB_mNS0_19identity_decomposerENS1_16block_id_wrapperIjLb0EEEEE10hipError_tT1_PNSt15iterator_traitsISG_E10value_typeET2_T3_PNSH_ISM_E10value_typeET4_T5_PSR_SS_PNS1_23onesweep_lookback_stateEbbT6_jjT7_P12ihipStream_tbENKUlT_T0_SG_SL_E_clIS9_SA_SB_SB_EEDaSZ_S10_SG_SL_EUlSZ_E_NS1_11comp_targetILNS1_3genE5ELNS1_11target_archE942ELNS1_3gpuE9ELNS1_3repE0EEENS1_47radix_sort_onesweep_sort_config_static_selectorELNS0_4arch9wavefront6targetE0EEEvSG_
    .private_segment_fixed_size: 0
    .sgpr_count:     0
    .sgpr_spill_count: 0
    .symbol:         _ZN7rocprim17ROCPRIM_400000_NS6detail17trampoline_kernelINS0_14default_configENS1_35radix_sort_onesweep_config_selectorIjNS0_10empty_typeEEEZZNS1_29radix_sort_onesweep_iterationIS3_Lb0EPKjPjPS5_SB_mNS0_19identity_decomposerENS1_16block_id_wrapperIjLb0EEEEE10hipError_tT1_PNSt15iterator_traitsISG_E10value_typeET2_T3_PNSH_ISM_E10value_typeET4_T5_PSR_SS_PNS1_23onesweep_lookback_stateEbbT6_jjT7_P12ihipStream_tbENKUlT_T0_SG_SL_E_clIS9_SA_SB_SB_EEDaSZ_S10_SG_SL_EUlSZ_E_NS1_11comp_targetILNS1_3genE5ELNS1_11target_archE942ELNS1_3gpuE9ELNS1_3repE0EEENS1_47radix_sort_onesweep_sort_config_static_selectorELNS0_4arch9wavefront6targetE0EEEvSG_.kd
    .uniform_work_group_size: 1
    .uses_dynamic_stack: false
    .vgpr_count:     0
    .vgpr_spill_count: 0
    .wavefront_size: 32
  - .args:
      - .offset:         0
        .size:           88
        .value_kind:     by_value
    .group_segment_fixed_size: 0
    .kernarg_segment_align: 8
    .kernarg_segment_size: 88
    .language:       OpenCL C
    .language_version:
      - 2
      - 0
    .max_flat_workgroup_size: 1024
    .name:           _ZN7rocprim17ROCPRIM_400000_NS6detail17trampoline_kernelINS0_14default_configENS1_35radix_sort_onesweep_config_selectorIjNS0_10empty_typeEEEZZNS1_29radix_sort_onesweep_iterationIS3_Lb0EPKjPjPS5_SB_mNS0_19identity_decomposerENS1_16block_id_wrapperIjLb0EEEEE10hipError_tT1_PNSt15iterator_traitsISG_E10value_typeET2_T3_PNSH_ISM_E10value_typeET4_T5_PSR_SS_PNS1_23onesweep_lookback_stateEbbT6_jjT7_P12ihipStream_tbENKUlT_T0_SG_SL_E_clIS9_SA_SB_SB_EEDaSZ_S10_SG_SL_EUlSZ_E_NS1_11comp_targetILNS1_3genE2ELNS1_11target_archE906ELNS1_3gpuE6ELNS1_3repE0EEENS1_47radix_sort_onesweep_sort_config_static_selectorELNS0_4arch9wavefront6targetE0EEEvSG_
    .private_segment_fixed_size: 0
    .sgpr_count:     0
    .sgpr_spill_count: 0
    .symbol:         _ZN7rocprim17ROCPRIM_400000_NS6detail17trampoline_kernelINS0_14default_configENS1_35radix_sort_onesweep_config_selectorIjNS0_10empty_typeEEEZZNS1_29radix_sort_onesweep_iterationIS3_Lb0EPKjPjPS5_SB_mNS0_19identity_decomposerENS1_16block_id_wrapperIjLb0EEEEE10hipError_tT1_PNSt15iterator_traitsISG_E10value_typeET2_T3_PNSH_ISM_E10value_typeET4_T5_PSR_SS_PNS1_23onesweep_lookback_stateEbbT6_jjT7_P12ihipStream_tbENKUlT_T0_SG_SL_E_clIS9_SA_SB_SB_EEDaSZ_S10_SG_SL_EUlSZ_E_NS1_11comp_targetILNS1_3genE2ELNS1_11target_archE906ELNS1_3gpuE6ELNS1_3repE0EEENS1_47radix_sort_onesweep_sort_config_static_selectorELNS0_4arch9wavefront6targetE0EEEvSG_.kd
    .uniform_work_group_size: 1
    .uses_dynamic_stack: false
    .vgpr_count:     0
    .vgpr_spill_count: 0
    .wavefront_size: 32
  - .args:
      - .offset:         0
        .size:           88
        .value_kind:     by_value
    .group_segment_fixed_size: 0
    .kernarg_segment_align: 8
    .kernarg_segment_size: 88
    .language:       OpenCL C
    .language_version:
      - 2
      - 0
    .max_flat_workgroup_size: 1024
    .name:           _ZN7rocprim17ROCPRIM_400000_NS6detail17trampoline_kernelINS0_14default_configENS1_35radix_sort_onesweep_config_selectorIjNS0_10empty_typeEEEZZNS1_29radix_sort_onesweep_iterationIS3_Lb0EPKjPjPS5_SB_mNS0_19identity_decomposerENS1_16block_id_wrapperIjLb0EEEEE10hipError_tT1_PNSt15iterator_traitsISG_E10value_typeET2_T3_PNSH_ISM_E10value_typeET4_T5_PSR_SS_PNS1_23onesweep_lookback_stateEbbT6_jjT7_P12ihipStream_tbENKUlT_T0_SG_SL_E_clIS9_SA_SB_SB_EEDaSZ_S10_SG_SL_EUlSZ_E_NS1_11comp_targetILNS1_3genE4ELNS1_11target_archE910ELNS1_3gpuE8ELNS1_3repE0EEENS1_47radix_sort_onesweep_sort_config_static_selectorELNS0_4arch9wavefront6targetE0EEEvSG_
    .private_segment_fixed_size: 0
    .sgpr_count:     0
    .sgpr_spill_count: 0
    .symbol:         _ZN7rocprim17ROCPRIM_400000_NS6detail17trampoline_kernelINS0_14default_configENS1_35radix_sort_onesweep_config_selectorIjNS0_10empty_typeEEEZZNS1_29radix_sort_onesweep_iterationIS3_Lb0EPKjPjPS5_SB_mNS0_19identity_decomposerENS1_16block_id_wrapperIjLb0EEEEE10hipError_tT1_PNSt15iterator_traitsISG_E10value_typeET2_T3_PNSH_ISM_E10value_typeET4_T5_PSR_SS_PNS1_23onesweep_lookback_stateEbbT6_jjT7_P12ihipStream_tbENKUlT_T0_SG_SL_E_clIS9_SA_SB_SB_EEDaSZ_S10_SG_SL_EUlSZ_E_NS1_11comp_targetILNS1_3genE4ELNS1_11target_archE910ELNS1_3gpuE8ELNS1_3repE0EEENS1_47radix_sort_onesweep_sort_config_static_selectorELNS0_4arch9wavefront6targetE0EEEvSG_.kd
    .uniform_work_group_size: 1
    .uses_dynamic_stack: false
    .vgpr_count:     0
    .vgpr_spill_count: 0
    .wavefront_size: 32
  - .args:
      - .offset:         0
        .size:           88
        .value_kind:     by_value
    .group_segment_fixed_size: 0
    .kernarg_segment_align: 8
    .kernarg_segment_size: 88
    .language:       OpenCL C
    .language_version:
      - 2
      - 0
    .max_flat_workgroup_size: 512
    .name:           _ZN7rocprim17ROCPRIM_400000_NS6detail17trampoline_kernelINS0_14default_configENS1_35radix_sort_onesweep_config_selectorIjNS0_10empty_typeEEEZZNS1_29radix_sort_onesweep_iterationIS3_Lb0EPKjPjPS5_SB_mNS0_19identity_decomposerENS1_16block_id_wrapperIjLb0EEEEE10hipError_tT1_PNSt15iterator_traitsISG_E10value_typeET2_T3_PNSH_ISM_E10value_typeET4_T5_PSR_SS_PNS1_23onesweep_lookback_stateEbbT6_jjT7_P12ihipStream_tbENKUlT_T0_SG_SL_E_clIS9_SA_SB_SB_EEDaSZ_S10_SG_SL_EUlSZ_E_NS1_11comp_targetILNS1_3genE3ELNS1_11target_archE908ELNS1_3gpuE7ELNS1_3repE0EEENS1_47radix_sort_onesweep_sort_config_static_selectorELNS0_4arch9wavefront6targetE0EEEvSG_
    .private_segment_fixed_size: 0
    .sgpr_count:     0
    .sgpr_spill_count: 0
    .symbol:         _ZN7rocprim17ROCPRIM_400000_NS6detail17trampoline_kernelINS0_14default_configENS1_35radix_sort_onesweep_config_selectorIjNS0_10empty_typeEEEZZNS1_29radix_sort_onesweep_iterationIS3_Lb0EPKjPjPS5_SB_mNS0_19identity_decomposerENS1_16block_id_wrapperIjLb0EEEEE10hipError_tT1_PNSt15iterator_traitsISG_E10value_typeET2_T3_PNSH_ISM_E10value_typeET4_T5_PSR_SS_PNS1_23onesweep_lookback_stateEbbT6_jjT7_P12ihipStream_tbENKUlT_T0_SG_SL_E_clIS9_SA_SB_SB_EEDaSZ_S10_SG_SL_EUlSZ_E_NS1_11comp_targetILNS1_3genE3ELNS1_11target_archE908ELNS1_3gpuE7ELNS1_3repE0EEENS1_47radix_sort_onesweep_sort_config_static_selectorELNS0_4arch9wavefront6targetE0EEEvSG_.kd
    .uniform_work_group_size: 1
    .uses_dynamic_stack: false
    .vgpr_count:     0
    .vgpr_spill_count: 0
    .wavefront_size: 32
  - .args:
      - .offset:         0
        .size:           88
        .value_kind:     by_value
    .group_segment_fixed_size: 0
    .kernarg_segment_align: 8
    .kernarg_segment_size: 88
    .language:       OpenCL C
    .language_version:
      - 2
      - 0
    .max_flat_workgroup_size: 1024
    .name:           _ZN7rocprim17ROCPRIM_400000_NS6detail17trampoline_kernelINS0_14default_configENS1_35radix_sort_onesweep_config_selectorIjNS0_10empty_typeEEEZZNS1_29radix_sort_onesweep_iterationIS3_Lb0EPKjPjPS5_SB_mNS0_19identity_decomposerENS1_16block_id_wrapperIjLb0EEEEE10hipError_tT1_PNSt15iterator_traitsISG_E10value_typeET2_T3_PNSH_ISM_E10value_typeET4_T5_PSR_SS_PNS1_23onesweep_lookback_stateEbbT6_jjT7_P12ihipStream_tbENKUlT_T0_SG_SL_E_clIS9_SA_SB_SB_EEDaSZ_S10_SG_SL_EUlSZ_E_NS1_11comp_targetILNS1_3genE10ELNS1_11target_archE1201ELNS1_3gpuE5ELNS1_3repE0EEENS1_47radix_sort_onesweep_sort_config_static_selectorELNS0_4arch9wavefront6targetE0EEEvSG_
    .private_segment_fixed_size: 0
    .sgpr_count:     0
    .sgpr_spill_count: 0
    .symbol:         _ZN7rocprim17ROCPRIM_400000_NS6detail17trampoline_kernelINS0_14default_configENS1_35radix_sort_onesweep_config_selectorIjNS0_10empty_typeEEEZZNS1_29radix_sort_onesweep_iterationIS3_Lb0EPKjPjPS5_SB_mNS0_19identity_decomposerENS1_16block_id_wrapperIjLb0EEEEE10hipError_tT1_PNSt15iterator_traitsISG_E10value_typeET2_T3_PNSH_ISM_E10value_typeET4_T5_PSR_SS_PNS1_23onesweep_lookback_stateEbbT6_jjT7_P12ihipStream_tbENKUlT_T0_SG_SL_E_clIS9_SA_SB_SB_EEDaSZ_S10_SG_SL_EUlSZ_E_NS1_11comp_targetILNS1_3genE10ELNS1_11target_archE1201ELNS1_3gpuE5ELNS1_3repE0EEENS1_47radix_sort_onesweep_sort_config_static_selectorELNS0_4arch9wavefront6targetE0EEEvSG_.kd
    .uniform_work_group_size: 1
    .uses_dynamic_stack: false
    .vgpr_count:     0
    .vgpr_spill_count: 0
    .wavefront_size: 32
  - .args:
      - .offset:         0
        .size:           88
        .value_kind:     by_value
    .group_segment_fixed_size: 0
    .kernarg_segment_align: 8
    .kernarg_segment_size: 88
    .language:       OpenCL C
    .language_version:
      - 2
      - 0
    .max_flat_workgroup_size: 1024
    .name:           _ZN7rocprim17ROCPRIM_400000_NS6detail17trampoline_kernelINS0_14default_configENS1_35radix_sort_onesweep_config_selectorIjNS0_10empty_typeEEEZZNS1_29radix_sort_onesweep_iterationIS3_Lb0EPKjPjPS5_SB_mNS0_19identity_decomposerENS1_16block_id_wrapperIjLb0EEEEE10hipError_tT1_PNSt15iterator_traitsISG_E10value_typeET2_T3_PNSH_ISM_E10value_typeET4_T5_PSR_SS_PNS1_23onesweep_lookback_stateEbbT6_jjT7_P12ihipStream_tbENKUlT_T0_SG_SL_E_clIS9_SA_SB_SB_EEDaSZ_S10_SG_SL_EUlSZ_E_NS1_11comp_targetILNS1_3genE9ELNS1_11target_archE1100ELNS1_3gpuE3ELNS1_3repE0EEENS1_47radix_sort_onesweep_sort_config_static_selectorELNS0_4arch9wavefront6targetE0EEEvSG_
    .private_segment_fixed_size: 0
    .sgpr_count:     0
    .sgpr_spill_count: 0
    .symbol:         _ZN7rocprim17ROCPRIM_400000_NS6detail17trampoline_kernelINS0_14default_configENS1_35radix_sort_onesweep_config_selectorIjNS0_10empty_typeEEEZZNS1_29radix_sort_onesweep_iterationIS3_Lb0EPKjPjPS5_SB_mNS0_19identity_decomposerENS1_16block_id_wrapperIjLb0EEEEE10hipError_tT1_PNSt15iterator_traitsISG_E10value_typeET2_T3_PNSH_ISM_E10value_typeET4_T5_PSR_SS_PNS1_23onesweep_lookback_stateEbbT6_jjT7_P12ihipStream_tbENKUlT_T0_SG_SL_E_clIS9_SA_SB_SB_EEDaSZ_S10_SG_SL_EUlSZ_E_NS1_11comp_targetILNS1_3genE9ELNS1_11target_archE1100ELNS1_3gpuE3ELNS1_3repE0EEENS1_47radix_sort_onesweep_sort_config_static_selectorELNS0_4arch9wavefront6targetE0EEEvSG_.kd
    .uniform_work_group_size: 1
    .uses_dynamic_stack: false
    .vgpr_count:     0
    .vgpr_spill_count: 0
    .wavefront_size: 32
  - .args:
      - .offset:         0
        .size:           88
        .value_kind:     by_value
    .group_segment_fixed_size: 0
    .kernarg_segment_align: 8
    .kernarg_segment_size: 88
    .language:       OpenCL C
    .language_version:
      - 2
      - 0
    .max_flat_workgroup_size: 1024
    .name:           _ZN7rocprim17ROCPRIM_400000_NS6detail17trampoline_kernelINS0_14default_configENS1_35radix_sort_onesweep_config_selectorIjNS0_10empty_typeEEEZZNS1_29radix_sort_onesweep_iterationIS3_Lb0EPKjPjPS5_SB_mNS0_19identity_decomposerENS1_16block_id_wrapperIjLb0EEEEE10hipError_tT1_PNSt15iterator_traitsISG_E10value_typeET2_T3_PNSH_ISM_E10value_typeET4_T5_PSR_SS_PNS1_23onesweep_lookback_stateEbbT6_jjT7_P12ihipStream_tbENKUlT_T0_SG_SL_E_clIS9_SA_SB_SB_EEDaSZ_S10_SG_SL_EUlSZ_E_NS1_11comp_targetILNS1_3genE8ELNS1_11target_archE1030ELNS1_3gpuE2ELNS1_3repE0EEENS1_47radix_sort_onesweep_sort_config_static_selectorELNS0_4arch9wavefront6targetE0EEEvSG_
    .private_segment_fixed_size: 0
    .sgpr_count:     0
    .sgpr_spill_count: 0
    .symbol:         _ZN7rocprim17ROCPRIM_400000_NS6detail17trampoline_kernelINS0_14default_configENS1_35radix_sort_onesweep_config_selectorIjNS0_10empty_typeEEEZZNS1_29radix_sort_onesweep_iterationIS3_Lb0EPKjPjPS5_SB_mNS0_19identity_decomposerENS1_16block_id_wrapperIjLb0EEEEE10hipError_tT1_PNSt15iterator_traitsISG_E10value_typeET2_T3_PNSH_ISM_E10value_typeET4_T5_PSR_SS_PNS1_23onesweep_lookback_stateEbbT6_jjT7_P12ihipStream_tbENKUlT_T0_SG_SL_E_clIS9_SA_SB_SB_EEDaSZ_S10_SG_SL_EUlSZ_E_NS1_11comp_targetILNS1_3genE8ELNS1_11target_archE1030ELNS1_3gpuE2ELNS1_3repE0EEENS1_47radix_sort_onesweep_sort_config_static_selectorELNS0_4arch9wavefront6targetE0EEEvSG_.kd
    .uniform_work_group_size: 1
    .uses_dynamic_stack: false
    .vgpr_count:     0
    .vgpr_spill_count: 0
    .wavefront_size: 32
  - .args:
      - .offset:         0
        .size:           88
        .value_kind:     by_value
      - .offset:         88
        .size:           4
        .value_kind:     hidden_block_count_x
      - .offset:         92
        .size:           4
        .value_kind:     hidden_block_count_y
      - .offset:         96
        .size:           4
        .value_kind:     hidden_block_count_z
      - .offset:         100
        .size:           2
        .value_kind:     hidden_group_size_x
      - .offset:         102
        .size:           2
        .value_kind:     hidden_group_size_y
      - .offset:         104
        .size:           2
        .value_kind:     hidden_group_size_z
      - .offset:         106
        .size:           2
        .value_kind:     hidden_remainder_x
      - .offset:         108
        .size:           2
        .value_kind:     hidden_remainder_y
      - .offset:         110
        .size:           2
        .value_kind:     hidden_remainder_z
      - .offset:         128
        .size:           8
        .value_kind:     hidden_global_offset_x
      - .offset:         136
        .size:           8
        .value_kind:     hidden_global_offset_y
      - .offset:         144
        .size:           8
        .value_kind:     hidden_global_offset_z
      - .offset:         152
        .size:           2
        .value_kind:     hidden_grid_dims
    .group_segment_fixed_size: 18504
    .kernarg_segment_align: 8
    .kernarg_segment_size: 344
    .language:       OpenCL C
    .language_version:
      - 2
      - 0
    .max_flat_workgroup_size: 512
    .name:           _ZN7rocprim17ROCPRIM_400000_NS6detail17trampoline_kernelINS0_14default_configENS1_35radix_sort_onesweep_config_selectorIjNS0_10empty_typeEEEZZNS1_29radix_sort_onesweep_iterationIS3_Lb0EPKjPjPS5_SB_mNS0_19identity_decomposerENS1_16block_id_wrapperIjLb0EEEEE10hipError_tT1_PNSt15iterator_traitsISG_E10value_typeET2_T3_PNSH_ISM_E10value_typeET4_T5_PSR_SS_PNS1_23onesweep_lookback_stateEbbT6_jjT7_P12ihipStream_tbENKUlT_T0_SG_SL_E_clISA_SA_SB_SB_EEDaSZ_S10_SG_SL_EUlSZ_E_NS1_11comp_targetILNS1_3genE0ELNS1_11target_archE4294967295ELNS1_3gpuE0ELNS1_3repE0EEENS1_47radix_sort_onesweep_sort_config_static_selectorELNS0_4arch9wavefront6targetE0EEEvSG_
    .private_segment_fixed_size: 0
    .sgpr_count:     31
    .sgpr_spill_count: 0
    .symbol:         _ZN7rocprim17ROCPRIM_400000_NS6detail17trampoline_kernelINS0_14default_configENS1_35radix_sort_onesweep_config_selectorIjNS0_10empty_typeEEEZZNS1_29radix_sort_onesweep_iterationIS3_Lb0EPKjPjPS5_SB_mNS0_19identity_decomposerENS1_16block_id_wrapperIjLb0EEEEE10hipError_tT1_PNSt15iterator_traitsISG_E10value_typeET2_T3_PNSH_ISM_E10value_typeET4_T5_PSR_SS_PNS1_23onesweep_lookback_stateEbbT6_jjT7_P12ihipStream_tbENKUlT_T0_SG_SL_E_clISA_SA_SB_SB_EEDaSZ_S10_SG_SL_EUlSZ_E_NS1_11comp_targetILNS1_3genE0ELNS1_11target_archE4294967295ELNS1_3gpuE0ELNS1_3repE0EEENS1_47radix_sort_onesweep_sort_config_static_selectorELNS0_4arch9wavefront6targetE0EEEvSG_.kd
    .uniform_work_group_size: 1
    .uses_dynamic_stack: false
    .vgpr_count:     65
    .vgpr_spill_count: 0
    .wavefront_size: 32
  - .args:
      - .offset:         0
        .size:           88
        .value_kind:     by_value
    .group_segment_fixed_size: 0
    .kernarg_segment_align: 8
    .kernarg_segment_size: 88
    .language:       OpenCL C
    .language_version:
      - 2
      - 0
    .max_flat_workgroup_size: 1024
    .name:           _ZN7rocprim17ROCPRIM_400000_NS6detail17trampoline_kernelINS0_14default_configENS1_35radix_sort_onesweep_config_selectorIjNS0_10empty_typeEEEZZNS1_29radix_sort_onesweep_iterationIS3_Lb0EPKjPjPS5_SB_mNS0_19identity_decomposerENS1_16block_id_wrapperIjLb0EEEEE10hipError_tT1_PNSt15iterator_traitsISG_E10value_typeET2_T3_PNSH_ISM_E10value_typeET4_T5_PSR_SS_PNS1_23onesweep_lookback_stateEbbT6_jjT7_P12ihipStream_tbENKUlT_T0_SG_SL_E_clISA_SA_SB_SB_EEDaSZ_S10_SG_SL_EUlSZ_E_NS1_11comp_targetILNS1_3genE6ELNS1_11target_archE950ELNS1_3gpuE13ELNS1_3repE0EEENS1_47radix_sort_onesweep_sort_config_static_selectorELNS0_4arch9wavefront6targetE0EEEvSG_
    .private_segment_fixed_size: 0
    .sgpr_count:     0
    .sgpr_spill_count: 0
    .symbol:         _ZN7rocprim17ROCPRIM_400000_NS6detail17trampoline_kernelINS0_14default_configENS1_35radix_sort_onesweep_config_selectorIjNS0_10empty_typeEEEZZNS1_29radix_sort_onesweep_iterationIS3_Lb0EPKjPjPS5_SB_mNS0_19identity_decomposerENS1_16block_id_wrapperIjLb0EEEEE10hipError_tT1_PNSt15iterator_traitsISG_E10value_typeET2_T3_PNSH_ISM_E10value_typeET4_T5_PSR_SS_PNS1_23onesweep_lookback_stateEbbT6_jjT7_P12ihipStream_tbENKUlT_T0_SG_SL_E_clISA_SA_SB_SB_EEDaSZ_S10_SG_SL_EUlSZ_E_NS1_11comp_targetILNS1_3genE6ELNS1_11target_archE950ELNS1_3gpuE13ELNS1_3repE0EEENS1_47radix_sort_onesweep_sort_config_static_selectorELNS0_4arch9wavefront6targetE0EEEvSG_.kd
    .uniform_work_group_size: 1
    .uses_dynamic_stack: false
    .vgpr_count:     0
    .vgpr_spill_count: 0
    .wavefront_size: 32
  - .args:
      - .offset:         0
        .size:           88
        .value_kind:     by_value
    .group_segment_fixed_size: 0
    .kernarg_segment_align: 8
    .kernarg_segment_size: 88
    .language:       OpenCL C
    .language_version:
      - 2
      - 0
    .max_flat_workgroup_size: 1024
    .name:           _ZN7rocprim17ROCPRIM_400000_NS6detail17trampoline_kernelINS0_14default_configENS1_35radix_sort_onesweep_config_selectorIjNS0_10empty_typeEEEZZNS1_29radix_sort_onesweep_iterationIS3_Lb0EPKjPjPS5_SB_mNS0_19identity_decomposerENS1_16block_id_wrapperIjLb0EEEEE10hipError_tT1_PNSt15iterator_traitsISG_E10value_typeET2_T3_PNSH_ISM_E10value_typeET4_T5_PSR_SS_PNS1_23onesweep_lookback_stateEbbT6_jjT7_P12ihipStream_tbENKUlT_T0_SG_SL_E_clISA_SA_SB_SB_EEDaSZ_S10_SG_SL_EUlSZ_E_NS1_11comp_targetILNS1_3genE5ELNS1_11target_archE942ELNS1_3gpuE9ELNS1_3repE0EEENS1_47radix_sort_onesweep_sort_config_static_selectorELNS0_4arch9wavefront6targetE0EEEvSG_
    .private_segment_fixed_size: 0
    .sgpr_count:     0
    .sgpr_spill_count: 0
    .symbol:         _ZN7rocprim17ROCPRIM_400000_NS6detail17trampoline_kernelINS0_14default_configENS1_35radix_sort_onesweep_config_selectorIjNS0_10empty_typeEEEZZNS1_29radix_sort_onesweep_iterationIS3_Lb0EPKjPjPS5_SB_mNS0_19identity_decomposerENS1_16block_id_wrapperIjLb0EEEEE10hipError_tT1_PNSt15iterator_traitsISG_E10value_typeET2_T3_PNSH_ISM_E10value_typeET4_T5_PSR_SS_PNS1_23onesweep_lookback_stateEbbT6_jjT7_P12ihipStream_tbENKUlT_T0_SG_SL_E_clISA_SA_SB_SB_EEDaSZ_S10_SG_SL_EUlSZ_E_NS1_11comp_targetILNS1_3genE5ELNS1_11target_archE942ELNS1_3gpuE9ELNS1_3repE0EEENS1_47radix_sort_onesweep_sort_config_static_selectorELNS0_4arch9wavefront6targetE0EEEvSG_.kd
    .uniform_work_group_size: 1
    .uses_dynamic_stack: false
    .vgpr_count:     0
    .vgpr_spill_count: 0
    .wavefront_size: 32
  - .args:
      - .offset:         0
        .size:           88
        .value_kind:     by_value
    .group_segment_fixed_size: 0
    .kernarg_segment_align: 8
    .kernarg_segment_size: 88
    .language:       OpenCL C
    .language_version:
      - 2
      - 0
    .max_flat_workgroup_size: 1024
    .name:           _ZN7rocprim17ROCPRIM_400000_NS6detail17trampoline_kernelINS0_14default_configENS1_35radix_sort_onesweep_config_selectorIjNS0_10empty_typeEEEZZNS1_29radix_sort_onesweep_iterationIS3_Lb0EPKjPjPS5_SB_mNS0_19identity_decomposerENS1_16block_id_wrapperIjLb0EEEEE10hipError_tT1_PNSt15iterator_traitsISG_E10value_typeET2_T3_PNSH_ISM_E10value_typeET4_T5_PSR_SS_PNS1_23onesweep_lookback_stateEbbT6_jjT7_P12ihipStream_tbENKUlT_T0_SG_SL_E_clISA_SA_SB_SB_EEDaSZ_S10_SG_SL_EUlSZ_E_NS1_11comp_targetILNS1_3genE2ELNS1_11target_archE906ELNS1_3gpuE6ELNS1_3repE0EEENS1_47radix_sort_onesweep_sort_config_static_selectorELNS0_4arch9wavefront6targetE0EEEvSG_
    .private_segment_fixed_size: 0
    .sgpr_count:     0
    .sgpr_spill_count: 0
    .symbol:         _ZN7rocprim17ROCPRIM_400000_NS6detail17trampoline_kernelINS0_14default_configENS1_35radix_sort_onesweep_config_selectorIjNS0_10empty_typeEEEZZNS1_29radix_sort_onesweep_iterationIS3_Lb0EPKjPjPS5_SB_mNS0_19identity_decomposerENS1_16block_id_wrapperIjLb0EEEEE10hipError_tT1_PNSt15iterator_traitsISG_E10value_typeET2_T3_PNSH_ISM_E10value_typeET4_T5_PSR_SS_PNS1_23onesweep_lookback_stateEbbT6_jjT7_P12ihipStream_tbENKUlT_T0_SG_SL_E_clISA_SA_SB_SB_EEDaSZ_S10_SG_SL_EUlSZ_E_NS1_11comp_targetILNS1_3genE2ELNS1_11target_archE906ELNS1_3gpuE6ELNS1_3repE0EEENS1_47radix_sort_onesweep_sort_config_static_selectorELNS0_4arch9wavefront6targetE0EEEvSG_.kd
    .uniform_work_group_size: 1
    .uses_dynamic_stack: false
    .vgpr_count:     0
    .vgpr_spill_count: 0
    .wavefront_size: 32
  - .args:
      - .offset:         0
        .size:           88
        .value_kind:     by_value
    .group_segment_fixed_size: 0
    .kernarg_segment_align: 8
    .kernarg_segment_size: 88
    .language:       OpenCL C
    .language_version:
      - 2
      - 0
    .max_flat_workgroup_size: 1024
    .name:           _ZN7rocprim17ROCPRIM_400000_NS6detail17trampoline_kernelINS0_14default_configENS1_35radix_sort_onesweep_config_selectorIjNS0_10empty_typeEEEZZNS1_29radix_sort_onesweep_iterationIS3_Lb0EPKjPjPS5_SB_mNS0_19identity_decomposerENS1_16block_id_wrapperIjLb0EEEEE10hipError_tT1_PNSt15iterator_traitsISG_E10value_typeET2_T3_PNSH_ISM_E10value_typeET4_T5_PSR_SS_PNS1_23onesweep_lookback_stateEbbT6_jjT7_P12ihipStream_tbENKUlT_T0_SG_SL_E_clISA_SA_SB_SB_EEDaSZ_S10_SG_SL_EUlSZ_E_NS1_11comp_targetILNS1_3genE4ELNS1_11target_archE910ELNS1_3gpuE8ELNS1_3repE0EEENS1_47radix_sort_onesweep_sort_config_static_selectorELNS0_4arch9wavefront6targetE0EEEvSG_
    .private_segment_fixed_size: 0
    .sgpr_count:     0
    .sgpr_spill_count: 0
    .symbol:         _ZN7rocprim17ROCPRIM_400000_NS6detail17trampoline_kernelINS0_14default_configENS1_35radix_sort_onesweep_config_selectorIjNS0_10empty_typeEEEZZNS1_29radix_sort_onesweep_iterationIS3_Lb0EPKjPjPS5_SB_mNS0_19identity_decomposerENS1_16block_id_wrapperIjLb0EEEEE10hipError_tT1_PNSt15iterator_traitsISG_E10value_typeET2_T3_PNSH_ISM_E10value_typeET4_T5_PSR_SS_PNS1_23onesweep_lookback_stateEbbT6_jjT7_P12ihipStream_tbENKUlT_T0_SG_SL_E_clISA_SA_SB_SB_EEDaSZ_S10_SG_SL_EUlSZ_E_NS1_11comp_targetILNS1_3genE4ELNS1_11target_archE910ELNS1_3gpuE8ELNS1_3repE0EEENS1_47radix_sort_onesweep_sort_config_static_selectorELNS0_4arch9wavefront6targetE0EEEvSG_.kd
    .uniform_work_group_size: 1
    .uses_dynamic_stack: false
    .vgpr_count:     0
    .vgpr_spill_count: 0
    .wavefront_size: 32
  - .args:
      - .offset:         0
        .size:           88
        .value_kind:     by_value
    .group_segment_fixed_size: 0
    .kernarg_segment_align: 8
    .kernarg_segment_size: 88
    .language:       OpenCL C
    .language_version:
      - 2
      - 0
    .max_flat_workgroup_size: 512
    .name:           _ZN7rocprim17ROCPRIM_400000_NS6detail17trampoline_kernelINS0_14default_configENS1_35radix_sort_onesweep_config_selectorIjNS0_10empty_typeEEEZZNS1_29radix_sort_onesweep_iterationIS3_Lb0EPKjPjPS5_SB_mNS0_19identity_decomposerENS1_16block_id_wrapperIjLb0EEEEE10hipError_tT1_PNSt15iterator_traitsISG_E10value_typeET2_T3_PNSH_ISM_E10value_typeET4_T5_PSR_SS_PNS1_23onesweep_lookback_stateEbbT6_jjT7_P12ihipStream_tbENKUlT_T0_SG_SL_E_clISA_SA_SB_SB_EEDaSZ_S10_SG_SL_EUlSZ_E_NS1_11comp_targetILNS1_3genE3ELNS1_11target_archE908ELNS1_3gpuE7ELNS1_3repE0EEENS1_47radix_sort_onesweep_sort_config_static_selectorELNS0_4arch9wavefront6targetE0EEEvSG_
    .private_segment_fixed_size: 0
    .sgpr_count:     0
    .sgpr_spill_count: 0
    .symbol:         _ZN7rocprim17ROCPRIM_400000_NS6detail17trampoline_kernelINS0_14default_configENS1_35radix_sort_onesweep_config_selectorIjNS0_10empty_typeEEEZZNS1_29radix_sort_onesweep_iterationIS3_Lb0EPKjPjPS5_SB_mNS0_19identity_decomposerENS1_16block_id_wrapperIjLb0EEEEE10hipError_tT1_PNSt15iterator_traitsISG_E10value_typeET2_T3_PNSH_ISM_E10value_typeET4_T5_PSR_SS_PNS1_23onesweep_lookback_stateEbbT6_jjT7_P12ihipStream_tbENKUlT_T0_SG_SL_E_clISA_SA_SB_SB_EEDaSZ_S10_SG_SL_EUlSZ_E_NS1_11comp_targetILNS1_3genE3ELNS1_11target_archE908ELNS1_3gpuE7ELNS1_3repE0EEENS1_47radix_sort_onesweep_sort_config_static_selectorELNS0_4arch9wavefront6targetE0EEEvSG_.kd
    .uniform_work_group_size: 1
    .uses_dynamic_stack: false
    .vgpr_count:     0
    .vgpr_spill_count: 0
    .wavefront_size: 32
  - .args:
      - .offset:         0
        .size:           88
        .value_kind:     by_value
    .group_segment_fixed_size: 0
    .kernarg_segment_align: 8
    .kernarg_segment_size: 88
    .language:       OpenCL C
    .language_version:
      - 2
      - 0
    .max_flat_workgroup_size: 1024
    .name:           _ZN7rocprim17ROCPRIM_400000_NS6detail17trampoline_kernelINS0_14default_configENS1_35radix_sort_onesweep_config_selectorIjNS0_10empty_typeEEEZZNS1_29radix_sort_onesweep_iterationIS3_Lb0EPKjPjPS5_SB_mNS0_19identity_decomposerENS1_16block_id_wrapperIjLb0EEEEE10hipError_tT1_PNSt15iterator_traitsISG_E10value_typeET2_T3_PNSH_ISM_E10value_typeET4_T5_PSR_SS_PNS1_23onesweep_lookback_stateEbbT6_jjT7_P12ihipStream_tbENKUlT_T0_SG_SL_E_clISA_SA_SB_SB_EEDaSZ_S10_SG_SL_EUlSZ_E_NS1_11comp_targetILNS1_3genE10ELNS1_11target_archE1201ELNS1_3gpuE5ELNS1_3repE0EEENS1_47radix_sort_onesweep_sort_config_static_selectorELNS0_4arch9wavefront6targetE0EEEvSG_
    .private_segment_fixed_size: 0
    .sgpr_count:     0
    .sgpr_spill_count: 0
    .symbol:         _ZN7rocprim17ROCPRIM_400000_NS6detail17trampoline_kernelINS0_14default_configENS1_35radix_sort_onesweep_config_selectorIjNS0_10empty_typeEEEZZNS1_29radix_sort_onesweep_iterationIS3_Lb0EPKjPjPS5_SB_mNS0_19identity_decomposerENS1_16block_id_wrapperIjLb0EEEEE10hipError_tT1_PNSt15iterator_traitsISG_E10value_typeET2_T3_PNSH_ISM_E10value_typeET4_T5_PSR_SS_PNS1_23onesweep_lookback_stateEbbT6_jjT7_P12ihipStream_tbENKUlT_T0_SG_SL_E_clISA_SA_SB_SB_EEDaSZ_S10_SG_SL_EUlSZ_E_NS1_11comp_targetILNS1_3genE10ELNS1_11target_archE1201ELNS1_3gpuE5ELNS1_3repE0EEENS1_47radix_sort_onesweep_sort_config_static_selectorELNS0_4arch9wavefront6targetE0EEEvSG_.kd
    .uniform_work_group_size: 1
    .uses_dynamic_stack: false
    .vgpr_count:     0
    .vgpr_spill_count: 0
    .wavefront_size: 32
  - .args:
      - .offset:         0
        .size:           88
        .value_kind:     by_value
    .group_segment_fixed_size: 0
    .kernarg_segment_align: 8
    .kernarg_segment_size: 88
    .language:       OpenCL C
    .language_version:
      - 2
      - 0
    .max_flat_workgroup_size: 1024
    .name:           _ZN7rocprim17ROCPRIM_400000_NS6detail17trampoline_kernelINS0_14default_configENS1_35radix_sort_onesweep_config_selectorIjNS0_10empty_typeEEEZZNS1_29radix_sort_onesweep_iterationIS3_Lb0EPKjPjPS5_SB_mNS0_19identity_decomposerENS1_16block_id_wrapperIjLb0EEEEE10hipError_tT1_PNSt15iterator_traitsISG_E10value_typeET2_T3_PNSH_ISM_E10value_typeET4_T5_PSR_SS_PNS1_23onesweep_lookback_stateEbbT6_jjT7_P12ihipStream_tbENKUlT_T0_SG_SL_E_clISA_SA_SB_SB_EEDaSZ_S10_SG_SL_EUlSZ_E_NS1_11comp_targetILNS1_3genE9ELNS1_11target_archE1100ELNS1_3gpuE3ELNS1_3repE0EEENS1_47radix_sort_onesweep_sort_config_static_selectorELNS0_4arch9wavefront6targetE0EEEvSG_
    .private_segment_fixed_size: 0
    .sgpr_count:     0
    .sgpr_spill_count: 0
    .symbol:         _ZN7rocprim17ROCPRIM_400000_NS6detail17trampoline_kernelINS0_14default_configENS1_35radix_sort_onesweep_config_selectorIjNS0_10empty_typeEEEZZNS1_29radix_sort_onesweep_iterationIS3_Lb0EPKjPjPS5_SB_mNS0_19identity_decomposerENS1_16block_id_wrapperIjLb0EEEEE10hipError_tT1_PNSt15iterator_traitsISG_E10value_typeET2_T3_PNSH_ISM_E10value_typeET4_T5_PSR_SS_PNS1_23onesweep_lookback_stateEbbT6_jjT7_P12ihipStream_tbENKUlT_T0_SG_SL_E_clISA_SA_SB_SB_EEDaSZ_S10_SG_SL_EUlSZ_E_NS1_11comp_targetILNS1_3genE9ELNS1_11target_archE1100ELNS1_3gpuE3ELNS1_3repE0EEENS1_47radix_sort_onesweep_sort_config_static_selectorELNS0_4arch9wavefront6targetE0EEEvSG_.kd
    .uniform_work_group_size: 1
    .uses_dynamic_stack: false
    .vgpr_count:     0
    .vgpr_spill_count: 0
    .wavefront_size: 32
  - .args:
      - .offset:         0
        .size:           88
        .value_kind:     by_value
    .group_segment_fixed_size: 0
    .kernarg_segment_align: 8
    .kernarg_segment_size: 88
    .language:       OpenCL C
    .language_version:
      - 2
      - 0
    .max_flat_workgroup_size: 1024
    .name:           _ZN7rocprim17ROCPRIM_400000_NS6detail17trampoline_kernelINS0_14default_configENS1_35radix_sort_onesweep_config_selectorIjNS0_10empty_typeEEEZZNS1_29radix_sort_onesweep_iterationIS3_Lb0EPKjPjPS5_SB_mNS0_19identity_decomposerENS1_16block_id_wrapperIjLb0EEEEE10hipError_tT1_PNSt15iterator_traitsISG_E10value_typeET2_T3_PNSH_ISM_E10value_typeET4_T5_PSR_SS_PNS1_23onesweep_lookback_stateEbbT6_jjT7_P12ihipStream_tbENKUlT_T0_SG_SL_E_clISA_SA_SB_SB_EEDaSZ_S10_SG_SL_EUlSZ_E_NS1_11comp_targetILNS1_3genE8ELNS1_11target_archE1030ELNS1_3gpuE2ELNS1_3repE0EEENS1_47radix_sort_onesweep_sort_config_static_selectorELNS0_4arch9wavefront6targetE0EEEvSG_
    .private_segment_fixed_size: 0
    .sgpr_count:     0
    .sgpr_spill_count: 0
    .symbol:         _ZN7rocprim17ROCPRIM_400000_NS6detail17trampoline_kernelINS0_14default_configENS1_35radix_sort_onesweep_config_selectorIjNS0_10empty_typeEEEZZNS1_29radix_sort_onesweep_iterationIS3_Lb0EPKjPjPS5_SB_mNS0_19identity_decomposerENS1_16block_id_wrapperIjLb0EEEEE10hipError_tT1_PNSt15iterator_traitsISG_E10value_typeET2_T3_PNSH_ISM_E10value_typeET4_T5_PSR_SS_PNS1_23onesweep_lookback_stateEbbT6_jjT7_P12ihipStream_tbENKUlT_T0_SG_SL_E_clISA_SA_SB_SB_EEDaSZ_S10_SG_SL_EUlSZ_E_NS1_11comp_targetILNS1_3genE8ELNS1_11target_archE1030ELNS1_3gpuE2ELNS1_3repE0EEENS1_47radix_sort_onesweep_sort_config_static_selectorELNS0_4arch9wavefront6targetE0EEEvSG_.kd
    .uniform_work_group_size: 1
    .uses_dynamic_stack: false
    .vgpr_count:     0
    .vgpr_spill_count: 0
    .wavefront_size: 32
  - .args:
      - .offset:         0
        .size:           48
        .value_kind:     by_value
      - .offset:         48
        .size:           4
        .value_kind:     hidden_block_count_x
      - .offset:         52
        .size:           4
        .value_kind:     hidden_block_count_y
      - .offset:         56
        .size:           4
        .value_kind:     hidden_block_count_z
      - .offset:         60
        .size:           2
        .value_kind:     hidden_group_size_x
      - .offset:         62
        .size:           2
        .value_kind:     hidden_group_size_y
      - .offset:         64
        .size:           2
        .value_kind:     hidden_group_size_z
      - .offset:         66
        .size:           2
        .value_kind:     hidden_remainder_x
      - .offset:         68
        .size:           2
        .value_kind:     hidden_remainder_y
      - .offset:         70
        .size:           2
        .value_kind:     hidden_remainder_z
      - .offset:         88
        .size:           8
        .value_kind:     hidden_global_offset_x
      - .offset:         96
        .size:           8
        .value_kind:     hidden_global_offset_y
      - .offset:         104
        .size:           8
        .value_kind:     hidden_global_offset_z
      - .offset:         112
        .size:           2
        .value_kind:     hidden_grid_dims
    .group_segment_fixed_size: 8224
    .kernarg_segment_align: 8
    .kernarg_segment_size: 304
    .language:       OpenCL C
    .language_version:
      - 2
      - 0
    .max_flat_workgroup_size: 256
    .name:           _ZN7rocprim17ROCPRIM_400000_NS6detail17trampoline_kernelINS0_13kernel_configILj256ELj4ELj4294967295EEENS1_37radix_sort_block_sort_config_selectorImNS0_10empty_typeEEEZNS1_21radix_sort_block_sortIS4_Lb1EPKmPmPS6_SC_NS0_19identity_decomposerEEE10hipError_tT1_T2_T3_T4_jRjT5_jjP12ihipStream_tbEUlT_E_NS1_11comp_targetILNS1_3genE0ELNS1_11target_archE4294967295ELNS1_3gpuE0ELNS1_3repE0EEENS1_44radix_sort_block_sort_config_static_selectorELNS0_4arch9wavefront6targetE0EEEvSF_
    .private_segment_fixed_size: 0
    .sgpr_count:     32
    .sgpr_spill_count: 0
    .symbol:         _ZN7rocprim17ROCPRIM_400000_NS6detail17trampoline_kernelINS0_13kernel_configILj256ELj4ELj4294967295EEENS1_37radix_sort_block_sort_config_selectorImNS0_10empty_typeEEEZNS1_21radix_sort_block_sortIS4_Lb1EPKmPmPS6_SC_NS0_19identity_decomposerEEE10hipError_tT1_T2_T3_T4_jRjT5_jjP12ihipStream_tbEUlT_E_NS1_11comp_targetILNS1_3genE0ELNS1_11target_archE4294967295ELNS1_3gpuE0ELNS1_3repE0EEENS1_44radix_sort_block_sort_config_static_selectorELNS0_4arch9wavefront6targetE0EEEvSF_.kd
    .uniform_work_group_size: 1
    .uses_dynamic_stack: false
    .vgpr_count:     42
    .vgpr_spill_count: 0
    .wavefront_size: 32
  - .args:
      - .offset:         0
        .size:           48
        .value_kind:     by_value
    .group_segment_fixed_size: 0
    .kernarg_segment_align: 8
    .kernarg_segment_size: 48
    .language:       OpenCL C
    .language_version:
      - 2
      - 0
    .max_flat_workgroup_size: 256
    .name:           _ZN7rocprim17ROCPRIM_400000_NS6detail17trampoline_kernelINS0_13kernel_configILj256ELj4ELj4294967295EEENS1_37radix_sort_block_sort_config_selectorImNS0_10empty_typeEEEZNS1_21radix_sort_block_sortIS4_Lb1EPKmPmPS6_SC_NS0_19identity_decomposerEEE10hipError_tT1_T2_T3_T4_jRjT5_jjP12ihipStream_tbEUlT_E_NS1_11comp_targetILNS1_3genE5ELNS1_11target_archE942ELNS1_3gpuE9ELNS1_3repE0EEENS1_44radix_sort_block_sort_config_static_selectorELNS0_4arch9wavefront6targetE0EEEvSF_
    .private_segment_fixed_size: 0
    .sgpr_count:     0
    .sgpr_spill_count: 0
    .symbol:         _ZN7rocprim17ROCPRIM_400000_NS6detail17trampoline_kernelINS0_13kernel_configILj256ELj4ELj4294967295EEENS1_37radix_sort_block_sort_config_selectorImNS0_10empty_typeEEEZNS1_21radix_sort_block_sortIS4_Lb1EPKmPmPS6_SC_NS0_19identity_decomposerEEE10hipError_tT1_T2_T3_T4_jRjT5_jjP12ihipStream_tbEUlT_E_NS1_11comp_targetILNS1_3genE5ELNS1_11target_archE942ELNS1_3gpuE9ELNS1_3repE0EEENS1_44radix_sort_block_sort_config_static_selectorELNS0_4arch9wavefront6targetE0EEEvSF_.kd
    .uniform_work_group_size: 1
    .uses_dynamic_stack: false
    .vgpr_count:     0
    .vgpr_spill_count: 0
    .wavefront_size: 32
  - .args:
      - .offset:         0
        .size:           48
        .value_kind:     by_value
    .group_segment_fixed_size: 0
    .kernarg_segment_align: 8
    .kernarg_segment_size: 48
    .language:       OpenCL C
    .language_version:
      - 2
      - 0
    .max_flat_workgroup_size: 256
    .name:           _ZN7rocprim17ROCPRIM_400000_NS6detail17trampoline_kernelINS0_13kernel_configILj256ELj4ELj4294967295EEENS1_37radix_sort_block_sort_config_selectorImNS0_10empty_typeEEEZNS1_21radix_sort_block_sortIS4_Lb1EPKmPmPS6_SC_NS0_19identity_decomposerEEE10hipError_tT1_T2_T3_T4_jRjT5_jjP12ihipStream_tbEUlT_E_NS1_11comp_targetILNS1_3genE4ELNS1_11target_archE910ELNS1_3gpuE8ELNS1_3repE0EEENS1_44radix_sort_block_sort_config_static_selectorELNS0_4arch9wavefront6targetE0EEEvSF_
    .private_segment_fixed_size: 0
    .sgpr_count:     0
    .sgpr_spill_count: 0
    .symbol:         _ZN7rocprim17ROCPRIM_400000_NS6detail17trampoline_kernelINS0_13kernel_configILj256ELj4ELj4294967295EEENS1_37radix_sort_block_sort_config_selectorImNS0_10empty_typeEEEZNS1_21radix_sort_block_sortIS4_Lb1EPKmPmPS6_SC_NS0_19identity_decomposerEEE10hipError_tT1_T2_T3_T4_jRjT5_jjP12ihipStream_tbEUlT_E_NS1_11comp_targetILNS1_3genE4ELNS1_11target_archE910ELNS1_3gpuE8ELNS1_3repE0EEENS1_44radix_sort_block_sort_config_static_selectorELNS0_4arch9wavefront6targetE0EEEvSF_.kd
    .uniform_work_group_size: 1
    .uses_dynamic_stack: false
    .vgpr_count:     0
    .vgpr_spill_count: 0
    .wavefront_size: 32
  - .args:
      - .offset:         0
        .size:           48
        .value_kind:     by_value
    .group_segment_fixed_size: 0
    .kernarg_segment_align: 8
    .kernarg_segment_size: 48
    .language:       OpenCL C
    .language_version:
      - 2
      - 0
    .max_flat_workgroup_size: 256
    .name:           _ZN7rocprim17ROCPRIM_400000_NS6detail17trampoline_kernelINS0_13kernel_configILj256ELj4ELj4294967295EEENS1_37radix_sort_block_sort_config_selectorImNS0_10empty_typeEEEZNS1_21radix_sort_block_sortIS4_Lb1EPKmPmPS6_SC_NS0_19identity_decomposerEEE10hipError_tT1_T2_T3_T4_jRjT5_jjP12ihipStream_tbEUlT_E_NS1_11comp_targetILNS1_3genE3ELNS1_11target_archE908ELNS1_3gpuE7ELNS1_3repE0EEENS1_44radix_sort_block_sort_config_static_selectorELNS0_4arch9wavefront6targetE0EEEvSF_
    .private_segment_fixed_size: 0
    .sgpr_count:     0
    .sgpr_spill_count: 0
    .symbol:         _ZN7rocprim17ROCPRIM_400000_NS6detail17trampoline_kernelINS0_13kernel_configILj256ELj4ELj4294967295EEENS1_37radix_sort_block_sort_config_selectorImNS0_10empty_typeEEEZNS1_21radix_sort_block_sortIS4_Lb1EPKmPmPS6_SC_NS0_19identity_decomposerEEE10hipError_tT1_T2_T3_T4_jRjT5_jjP12ihipStream_tbEUlT_E_NS1_11comp_targetILNS1_3genE3ELNS1_11target_archE908ELNS1_3gpuE7ELNS1_3repE0EEENS1_44radix_sort_block_sort_config_static_selectorELNS0_4arch9wavefront6targetE0EEEvSF_.kd
    .uniform_work_group_size: 1
    .uses_dynamic_stack: false
    .vgpr_count:     0
    .vgpr_spill_count: 0
    .wavefront_size: 32
  - .args:
      - .offset:         0
        .size:           48
        .value_kind:     by_value
    .group_segment_fixed_size: 0
    .kernarg_segment_align: 8
    .kernarg_segment_size: 48
    .language:       OpenCL C
    .language_version:
      - 2
      - 0
    .max_flat_workgroup_size: 256
    .name:           _ZN7rocprim17ROCPRIM_400000_NS6detail17trampoline_kernelINS0_13kernel_configILj256ELj4ELj4294967295EEENS1_37radix_sort_block_sort_config_selectorImNS0_10empty_typeEEEZNS1_21radix_sort_block_sortIS4_Lb1EPKmPmPS6_SC_NS0_19identity_decomposerEEE10hipError_tT1_T2_T3_T4_jRjT5_jjP12ihipStream_tbEUlT_E_NS1_11comp_targetILNS1_3genE2ELNS1_11target_archE906ELNS1_3gpuE6ELNS1_3repE0EEENS1_44radix_sort_block_sort_config_static_selectorELNS0_4arch9wavefront6targetE0EEEvSF_
    .private_segment_fixed_size: 0
    .sgpr_count:     0
    .sgpr_spill_count: 0
    .symbol:         _ZN7rocprim17ROCPRIM_400000_NS6detail17trampoline_kernelINS0_13kernel_configILj256ELj4ELj4294967295EEENS1_37radix_sort_block_sort_config_selectorImNS0_10empty_typeEEEZNS1_21radix_sort_block_sortIS4_Lb1EPKmPmPS6_SC_NS0_19identity_decomposerEEE10hipError_tT1_T2_T3_T4_jRjT5_jjP12ihipStream_tbEUlT_E_NS1_11comp_targetILNS1_3genE2ELNS1_11target_archE906ELNS1_3gpuE6ELNS1_3repE0EEENS1_44radix_sort_block_sort_config_static_selectorELNS0_4arch9wavefront6targetE0EEEvSF_.kd
    .uniform_work_group_size: 1
    .uses_dynamic_stack: false
    .vgpr_count:     0
    .vgpr_spill_count: 0
    .wavefront_size: 32
  - .args:
      - .offset:         0
        .size:           48
        .value_kind:     by_value
    .group_segment_fixed_size: 0
    .kernarg_segment_align: 8
    .kernarg_segment_size: 48
    .language:       OpenCL C
    .language_version:
      - 2
      - 0
    .max_flat_workgroup_size: 256
    .name:           _ZN7rocprim17ROCPRIM_400000_NS6detail17trampoline_kernelINS0_13kernel_configILj256ELj4ELj4294967295EEENS1_37radix_sort_block_sort_config_selectorImNS0_10empty_typeEEEZNS1_21radix_sort_block_sortIS4_Lb1EPKmPmPS6_SC_NS0_19identity_decomposerEEE10hipError_tT1_T2_T3_T4_jRjT5_jjP12ihipStream_tbEUlT_E_NS1_11comp_targetILNS1_3genE10ELNS1_11target_archE1201ELNS1_3gpuE5ELNS1_3repE0EEENS1_44radix_sort_block_sort_config_static_selectorELNS0_4arch9wavefront6targetE0EEEvSF_
    .private_segment_fixed_size: 0
    .sgpr_count:     0
    .sgpr_spill_count: 0
    .symbol:         _ZN7rocprim17ROCPRIM_400000_NS6detail17trampoline_kernelINS0_13kernel_configILj256ELj4ELj4294967295EEENS1_37radix_sort_block_sort_config_selectorImNS0_10empty_typeEEEZNS1_21radix_sort_block_sortIS4_Lb1EPKmPmPS6_SC_NS0_19identity_decomposerEEE10hipError_tT1_T2_T3_T4_jRjT5_jjP12ihipStream_tbEUlT_E_NS1_11comp_targetILNS1_3genE10ELNS1_11target_archE1201ELNS1_3gpuE5ELNS1_3repE0EEENS1_44radix_sort_block_sort_config_static_selectorELNS0_4arch9wavefront6targetE0EEEvSF_.kd
    .uniform_work_group_size: 1
    .uses_dynamic_stack: false
    .vgpr_count:     0
    .vgpr_spill_count: 0
    .wavefront_size: 32
  - .args:
      - .offset:         0
        .size:           48
        .value_kind:     by_value
    .group_segment_fixed_size: 0
    .kernarg_segment_align: 8
    .kernarg_segment_size: 48
    .language:       OpenCL C
    .language_version:
      - 2
      - 0
    .max_flat_workgroup_size: 256
    .name:           _ZN7rocprim17ROCPRIM_400000_NS6detail17trampoline_kernelINS0_13kernel_configILj256ELj4ELj4294967295EEENS1_37radix_sort_block_sort_config_selectorImNS0_10empty_typeEEEZNS1_21radix_sort_block_sortIS4_Lb1EPKmPmPS6_SC_NS0_19identity_decomposerEEE10hipError_tT1_T2_T3_T4_jRjT5_jjP12ihipStream_tbEUlT_E_NS1_11comp_targetILNS1_3genE10ELNS1_11target_archE1200ELNS1_3gpuE4ELNS1_3repE0EEENS1_44radix_sort_block_sort_config_static_selectorELNS0_4arch9wavefront6targetE0EEEvSF_
    .private_segment_fixed_size: 0
    .sgpr_count:     0
    .sgpr_spill_count: 0
    .symbol:         _ZN7rocprim17ROCPRIM_400000_NS6detail17trampoline_kernelINS0_13kernel_configILj256ELj4ELj4294967295EEENS1_37radix_sort_block_sort_config_selectorImNS0_10empty_typeEEEZNS1_21radix_sort_block_sortIS4_Lb1EPKmPmPS6_SC_NS0_19identity_decomposerEEE10hipError_tT1_T2_T3_T4_jRjT5_jjP12ihipStream_tbEUlT_E_NS1_11comp_targetILNS1_3genE10ELNS1_11target_archE1200ELNS1_3gpuE4ELNS1_3repE0EEENS1_44radix_sort_block_sort_config_static_selectorELNS0_4arch9wavefront6targetE0EEEvSF_.kd
    .uniform_work_group_size: 1
    .uses_dynamic_stack: false
    .vgpr_count:     0
    .vgpr_spill_count: 0
    .wavefront_size: 32
  - .args:
      - .offset:         0
        .size:           48
        .value_kind:     by_value
    .group_segment_fixed_size: 0
    .kernarg_segment_align: 8
    .kernarg_segment_size: 48
    .language:       OpenCL C
    .language_version:
      - 2
      - 0
    .max_flat_workgroup_size: 256
    .name:           _ZN7rocprim17ROCPRIM_400000_NS6detail17trampoline_kernelINS0_13kernel_configILj256ELj4ELj4294967295EEENS1_37radix_sort_block_sort_config_selectorImNS0_10empty_typeEEEZNS1_21radix_sort_block_sortIS4_Lb1EPKmPmPS6_SC_NS0_19identity_decomposerEEE10hipError_tT1_T2_T3_T4_jRjT5_jjP12ihipStream_tbEUlT_E_NS1_11comp_targetILNS1_3genE9ELNS1_11target_archE1100ELNS1_3gpuE3ELNS1_3repE0EEENS1_44radix_sort_block_sort_config_static_selectorELNS0_4arch9wavefront6targetE0EEEvSF_
    .private_segment_fixed_size: 0
    .sgpr_count:     0
    .sgpr_spill_count: 0
    .symbol:         _ZN7rocprim17ROCPRIM_400000_NS6detail17trampoline_kernelINS0_13kernel_configILj256ELj4ELj4294967295EEENS1_37radix_sort_block_sort_config_selectorImNS0_10empty_typeEEEZNS1_21radix_sort_block_sortIS4_Lb1EPKmPmPS6_SC_NS0_19identity_decomposerEEE10hipError_tT1_T2_T3_T4_jRjT5_jjP12ihipStream_tbEUlT_E_NS1_11comp_targetILNS1_3genE9ELNS1_11target_archE1100ELNS1_3gpuE3ELNS1_3repE0EEENS1_44radix_sort_block_sort_config_static_selectorELNS0_4arch9wavefront6targetE0EEEvSF_.kd
    .uniform_work_group_size: 1
    .uses_dynamic_stack: false
    .vgpr_count:     0
    .vgpr_spill_count: 0
    .wavefront_size: 32
  - .args:
      - .offset:         0
        .size:           48
        .value_kind:     by_value
    .group_segment_fixed_size: 0
    .kernarg_segment_align: 8
    .kernarg_segment_size: 48
    .language:       OpenCL C
    .language_version:
      - 2
      - 0
    .max_flat_workgroup_size: 256
    .name:           _ZN7rocprim17ROCPRIM_400000_NS6detail17trampoline_kernelINS0_13kernel_configILj256ELj4ELj4294967295EEENS1_37radix_sort_block_sort_config_selectorImNS0_10empty_typeEEEZNS1_21radix_sort_block_sortIS4_Lb1EPKmPmPS6_SC_NS0_19identity_decomposerEEE10hipError_tT1_T2_T3_T4_jRjT5_jjP12ihipStream_tbEUlT_E_NS1_11comp_targetILNS1_3genE8ELNS1_11target_archE1030ELNS1_3gpuE2ELNS1_3repE0EEENS1_44radix_sort_block_sort_config_static_selectorELNS0_4arch9wavefront6targetE0EEEvSF_
    .private_segment_fixed_size: 0
    .sgpr_count:     0
    .sgpr_spill_count: 0
    .symbol:         _ZN7rocprim17ROCPRIM_400000_NS6detail17trampoline_kernelINS0_13kernel_configILj256ELj4ELj4294967295EEENS1_37radix_sort_block_sort_config_selectorImNS0_10empty_typeEEEZNS1_21radix_sort_block_sortIS4_Lb1EPKmPmPS6_SC_NS0_19identity_decomposerEEE10hipError_tT1_T2_T3_T4_jRjT5_jjP12ihipStream_tbEUlT_E_NS1_11comp_targetILNS1_3genE8ELNS1_11target_archE1030ELNS1_3gpuE2ELNS1_3repE0EEENS1_44radix_sort_block_sort_config_static_selectorELNS0_4arch9wavefront6targetE0EEEvSF_.kd
    .uniform_work_group_size: 1
    .uses_dynamic_stack: false
    .vgpr_count:     0
    .vgpr_spill_count: 0
    .wavefront_size: 32
  - .args:           []
    .group_segment_fixed_size: 0
    .kernarg_segment_align: 4
    .kernarg_segment_size: 0
    .language:       OpenCL C
    .language_version:
      - 2
      - 0
    .max_flat_workgroup_size: 1024
    .name:           _ZN7rocprim17ROCPRIM_400000_NS6detail44device_merge_sort_compile_time_verifier_archINS1_11comp_targetILNS1_3genE0ELNS1_11target_archE4294967295ELNS1_3gpuE0ELNS1_3repE0EEES8_NS1_28merge_sort_block_sort_configILj256ELj4ELNS0_20block_sort_algorithmE0EEENS0_14default_configENS1_37merge_sort_block_sort_config_selectorImNS0_10empty_typeEEENS1_38merge_sort_block_merge_config_selectorImSE_EEEEvv
    .private_segment_fixed_size: 0
    .sgpr_count:     0
    .sgpr_spill_count: 0
    .symbol:         _ZN7rocprim17ROCPRIM_400000_NS6detail44device_merge_sort_compile_time_verifier_archINS1_11comp_targetILNS1_3genE0ELNS1_11target_archE4294967295ELNS1_3gpuE0ELNS1_3repE0EEES8_NS1_28merge_sort_block_sort_configILj256ELj4ELNS0_20block_sort_algorithmE0EEENS0_14default_configENS1_37merge_sort_block_sort_config_selectorImNS0_10empty_typeEEENS1_38merge_sort_block_merge_config_selectorImSE_EEEEvv.kd
    .uniform_work_group_size: 1
    .uses_dynamic_stack: false
    .vgpr_count:     0
    .vgpr_spill_count: 0
    .wavefront_size: 32
  - .args:           []
    .group_segment_fixed_size: 0
    .kernarg_segment_align: 4
    .kernarg_segment_size: 0
    .language:       OpenCL C
    .language_version:
      - 2
      - 0
    .max_flat_workgroup_size: 1024
    .name:           _ZN7rocprim17ROCPRIM_400000_NS6detail44device_merge_sort_compile_time_verifier_archINS1_11comp_targetILNS1_3genE5ELNS1_11target_archE942ELNS1_3gpuE9ELNS1_3repE0EEES8_NS1_28merge_sort_block_sort_configILj256ELj4ELNS0_20block_sort_algorithmE0EEENS0_14default_configENS1_37merge_sort_block_sort_config_selectorImNS0_10empty_typeEEENS1_38merge_sort_block_merge_config_selectorImSE_EEEEvv
    .private_segment_fixed_size: 0
    .sgpr_count:     0
    .sgpr_spill_count: 0
    .symbol:         _ZN7rocprim17ROCPRIM_400000_NS6detail44device_merge_sort_compile_time_verifier_archINS1_11comp_targetILNS1_3genE5ELNS1_11target_archE942ELNS1_3gpuE9ELNS1_3repE0EEES8_NS1_28merge_sort_block_sort_configILj256ELj4ELNS0_20block_sort_algorithmE0EEENS0_14default_configENS1_37merge_sort_block_sort_config_selectorImNS0_10empty_typeEEENS1_38merge_sort_block_merge_config_selectorImSE_EEEEvv.kd
    .uniform_work_group_size: 1
    .uses_dynamic_stack: false
    .vgpr_count:     0
    .vgpr_spill_count: 0
    .wavefront_size: 32
  - .args:           []
    .group_segment_fixed_size: 0
    .kernarg_segment_align: 4
    .kernarg_segment_size: 0
    .language:       OpenCL C
    .language_version:
      - 2
      - 0
    .max_flat_workgroup_size: 1024
    .name:           _ZN7rocprim17ROCPRIM_400000_NS6detail44device_merge_sort_compile_time_verifier_archINS1_11comp_targetILNS1_3genE4ELNS1_11target_archE910ELNS1_3gpuE8ELNS1_3repE0EEES8_NS1_28merge_sort_block_sort_configILj256ELj4ELNS0_20block_sort_algorithmE0EEENS0_14default_configENS1_37merge_sort_block_sort_config_selectorImNS0_10empty_typeEEENS1_38merge_sort_block_merge_config_selectorImSE_EEEEvv
    .private_segment_fixed_size: 0
    .sgpr_count:     0
    .sgpr_spill_count: 0
    .symbol:         _ZN7rocprim17ROCPRIM_400000_NS6detail44device_merge_sort_compile_time_verifier_archINS1_11comp_targetILNS1_3genE4ELNS1_11target_archE910ELNS1_3gpuE8ELNS1_3repE0EEES8_NS1_28merge_sort_block_sort_configILj256ELj4ELNS0_20block_sort_algorithmE0EEENS0_14default_configENS1_37merge_sort_block_sort_config_selectorImNS0_10empty_typeEEENS1_38merge_sort_block_merge_config_selectorImSE_EEEEvv.kd
    .uniform_work_group_size: 1
    .uses_dynamic_stack: false
    .vgpr_count:     0
    .vgpr_spill_count: 0
    .wavefront_size: 32
  - .args:           []
    .group_segment_fixed_size: 0
    .kernarg_segment_align: 4
    .kernarg_segment_size: 0
    .language:       OpenCL C
    .language_version:
      - 2
      - 0
    .max_flat_workgroup_size: 1024
    .name:           _ZN7rocprim17ROCPRIM_400000_NS6detail44device_merge_sort_compile_time_verifier_archINS1_11comp_targetILNS1_3genE3ELNS1_11target_archE908ELNS1_3gpuE7ELNS1_3repE0EEES8_NS1_28merge_sort_block_sort_configILj256ELj4ELNS0_20block_sort_algorithmE0EEENS0_14default_configENS1_37merge_sort_block_sort_config_selectorImNS0_10empty_typeEEENS1_38merge_sort_block_merge_config_selectorImSE_EEEEvv
    .private_segment_fixed_size: 0
    .sgpr_count:     0
    .sgpr_spill_count: 0
    .symbol:         _ZN7rocprim17ROCPRIM_400000_NS6detail44device_merge_sort_compile_time_verifier_archINS1_11comp_targetILNS1_3genE3ELNS1_11target_archE908ELNS1_3gpuE7ELNS1_3repE0EEES8_NS1_28merge_sort_block_sort_configILj256ELj4ELNS0_20block_sort_algorithmE0EEENS0_14default_configENS1_37merge_sort_block_sort_config_selectorImNS0_10empty_typeEEENS1_38merge_sort_block_merge_config_selectorImSE_EEEEvv.kd
    .uniform_work_group_size: 1
    .uses_dynamic_stack: false
    .vgpr_count:     0
    .vgpr_spill_count: 0
    .wavefront_size: 32
  - .args:           []
    .group_segment_fixed_size: 0
    .kernarg_segment_align: 4
    .kernarg_segment_size: 0
    .language:       OpenCL C
    .language_version:
      - 2
      - 0
    .max_flat_workgroup_size: 1024
    .name:           _ZN7rocprim17ROCPRIM_400000_NS6detail44device_merge_sort_compile_time_verifier_archINS1_11comp_targetILNS1_3genE2ELNS1_11target_archE906ELNS1_3gpuE6ELNS1_3repE0EEES8_NS1_28merge_sort_block_sort_configILj256ELj4ELNS0_20block_sort_algorithmE0EEENS0_14default_configENS1_37merge_sort_block_sort_config_selectorImNS0_10empty_typeEEENS1_38merge_sort_block_merge_config_selectorImSE_EEEEvv
    .private_segment_fixed_size: 0
    .sgpr_count:     0
    .sgpr_spill_count: 0
    .symbol:         _ZN7rocprim17ROCPRIM_400000_NS6detail44device_merge_sort_compile_time_verifier_archINS1_11comp_targetILNS1_3genE2ELNS1_11target_archE906ELNS1_3gpuE6ELNS1_3repE0EEES8_NS1_28merge_sort_block_sort_configILj256ELj4ELNS0_20block_sort_algorithmE0EEENS0_14default_configENS1_37merge_sort_block_sort_config_selectorImNS0_10empty_typeEEENS1_38merge_sort_block_merge_config_selectorImSE_EEEEvv.kd
    .uniform_work_group_size: 1
    .uses_dynamic_stack: false
    .vgpr_count:     0
    .vgpr_spill_count: 0
    .wavefront_size: 32
  - .args:           []
    .group_segment_fixed_size: 0
    .kernarg_segment_align: 4
    .kernarg_segment_size: 0
    .language:       OpenCL C
    .language_version:
      - 2
      - 0
    .max_flat_workgroup_size: 1024
    .name:           _ZN7rocprim17ROCPRIM_400000_NS6detail44device_merge_sort_compile_time_verifier_archINS1_11comp_targetILNS1_3genE10ELNS1_11target_archE1201ELNS1_3gpuE5ELNS1_3repE0EEES8_NS1_28merge_sort_block_sort_configILj256ELj4ELNS0_20block_sort_algorithmE0EEENS0_14default_configENS1_37merge_sort_block_sort_config_selectorImNS0_10empty_typeEEENS1_38merge_sort_block_merge_config_selectorImSE_EEEEvv
    .private_segment_fixed_size: 0
    .sgpr_count:     0
    .sgpr_spill_count: 0
    .symbol:         _ZN7rocprim17ROCPRIM_400000_NS6detail44device_merge_sort_compile_time_verifier_archINS1_11comp_targetILNS1_3genE10ELNS1_11target_archE1201ELNS1_3gpuE5ELNS1_3repE0EEES8_NS1_28merge_sort_block_sort_configILj256ELj4ELNS0_20block_sort_algorithmE0EEENS0_14default_configENS1_37merge_sort_block_sort_config_selectorImNS0_10empty_typeEEENS1_38merge_sort_block_merge_config_selectorImSE_EEEEvv.kd
    .uniform_work_group_size: 1
    .uses_dynamic_stack: false
    .vgpr_count:     0
    .vgpr_spill_count: 0
    .wavefront_size: 32
  - .args:           []
    .group_segment_fixed_size: 0
    .kernarg_segment_align: 4
    .kernarg_segment_size: 0
    .language:       OpenCL C
    .language_version:
      - 2
      - 0
    .max_flat_workgroup_size: 1024
    .name:           _ZN7rocprim17ROCPRIM_400000_NS6detail44device_merge_sort_compile_time_verifier_archINS1_11comp_targetILNS1_3genE10ELNS1_11target_archE1200ELNS1_3gpuE4ELNS1_3repE0EEENS3_ILS4_10ELS5_1201ELS6_5ELS7_0EEENS1_28merge_sort_block_sort_configILj256ELj4ELNS0_20block_sort_algorithmE0EEENS0_14default_configENS1_37merge_sort_block_sort_config_selectorImNS0_10empty_typeEEENS1_38merge_sort_block_merge_config_selectorImSF_EEEEvv
    .private_segment_fixed_size: 0
    .sgpr_count:     0
    .sgpr_spill_count: 0
    .symbol:         _ZN7rocprim17ROCPRIM_400000_NS6detail44device_merge_sort_compile_time_verifier_archINS1_11comp_targetILNS1_3genE10ELNS1_11target_archE1200ELNS1_3gpuE4ELNS1_3repE0EEENS3_ILS4_10ELS5_1201ELS6_5ELS7_0EEENS1_28merge_sort_block_sort_configILj256ELj4ELNS0_20block_sort_algorithmE0EEENS0_14default_configENS1_37merge_sort_block_sort_config_selectorImNS0_10empty_typeEEENS1_38merge_sort_block_merge_config_selectorImSF_EEEEvv.kd
    .uniform_work_group_size: 1
    .uses_dynamic_stack: false
    .vgpr_count:     0
    .vgpr_spill_count: 0
    .wavefront_size: 32
  - .args:           []
    .group_segment_fixed_size: 0
    .kernarg_segment_align: 4
    .kernarg_segment_size: 0
    .language:       OpenCL C
    .language_version:
      - 2
      - 0
    .max_flat_workgroup_size: 1024
    .name:           _ZN7rocprim17ROCPRIM_400000_NS6detail44device_merge_sort_compile_time_verifier_archINS1_11comp_targetILNS1_3genE9ELNS1_11target_archE1100ELNS1_3gpuE3ELNS1_3repE0EEES8_NS1_28merge_sort_block_sort_configILj256ELj4ELNS0_20block_sort_algorithmE0EEENS0_14default_configENS1_37merge_sort_block_sort_config_selectorImNS0_10empty_typeEEENS1_38merge_sort_block_merge_config_selectorImSE_EEEEvv
    .private_segment_fixed_size: 0
    .sgpr_count:     0
    .sgpr_spill_count: 0
    .symbol:         _ZN7rocprim17ROCPRIM_400000_NS6detail44device_merge_sort_compile_time_verifier_archINS1_11comp_targetILNS1_3genE9ELNS1_11target_archE1100ELNS1_3gpuE3ELNS1_3repE0EEES8_NS1_28merge_sort_block_sort_configILj256ELj4ELNS0_20block_sort_algorithmE0EEENS0_14default_configENS1_37merge_sort_block_sort_config_selectorImNS0_10empty_typeEEENS1_38merge_sort_block_merge_config_selectorImSE_EEEEvv.kd
    .uniform_work_group_size: 1
    .uses_dynamic_stack: false
    .vgpr_count:     0
    .vgpr_spill_count: 0
    .wavefront_size: 32
  - .args:           []
    .group_segment_fixed_size: 0
    .kernarg_segment_align: 4
    .kernarg_segment_size: 0
    .language:       OpenCL C
    .language_version:
      - 2
      - 0
    .max_flat_workgroup_size: 1024
    .name:           _ZN7rocprim17ROCPRIM_400000_NS6detail44device_merge_sort_compile_time_verifier_archINS1_11comp_targetILNS1_3genE8ELNS1_11target_archE1030ELNS1_3gpuE2ELNS1_3repE0EEES8_NS1_28merge_sort_block_sort_configILj256ELj4ELNS0_20block_sort_algorithmE0EEENS0_14default_configENS1_37merge_sort_block_sort_config_selectorImNS0_10empty_typeEEENS1_38merge_sort_block_merge_config_selectorImSE_EEEEvv
    .private_segment_fixed_size: 0
    .sgpr_count:     0
    .sgpr_spill_count: 0
    .symbol:         _ZN7rocprim17ROCPRIM_400000_NS6detail44device_merge_sort_compile_time_verifier_archINS1_11comp_targetILNS1_3genE8ELNS1_11target_archE1030ELNS1_3gpuE2ELNS1_3repE0EEES8_NS1_28merge_sort_block_sort_configILj256ELj4ELNS0_20block_sort_algorithmE0EEENS0_14default_configENS1_37merge_sort_block_sort_config_selectorImNS0_10empty_typeEEENS1_38merge_sort_block_merge_config_selectorImSE_EEEEvv.kd
    .uniform_work_group_size: 1
    .uses_dynamic_stack: false
    .vgpr_count:     0
    .vgpr_spill_count: 0
    .wavefront_size: 32
  - .args:
      - .offset:         0
        .size:           40
        .value_kind:     by_value
    .group_segment_fixed_size: 0
    .kernarg_segment_align: 8
    .kernarg_segment_size: 40
    .language:       OpenCL C
    .language_version:
      - 2
      - 0
    .max_flat_workgroup_size: 128
    .name:           _ZN7rocprim17ROCPRIM_400000_NS6detail17trampoline_kernelINS0_14default_configENS1_38merge_sort_block_merge_config_selectorImNS0_10empty_typeEEEZZNS1_27merge_sort_block_merge_implIS3_PmPS5_jNS1_19radix_merge_compareILb1ELb0EmNS0_19identity_decomposerEEEEE10hipError_tT0_T1_T2_jT3_P12ihipStream_tbPNSt15iterator_traitsISE_E10value_typeEPNSK_ISF_E10value_typeEPSG_NS1_7vsmem_tEENKUlT_SE_SF_SG_E_clIS8_S8_S9_S9_EESD_ST_SE_SF_SG_EUlST_E_NS1_11comp_targetILNS1_3genE0ELNS1_11target_archE4294967295ELNS1_3gpuE0ELNS1_3repE0EEENS1_48merge_mergepath_partition_config_static_selectorELNS0_4arch9wavefront6targetE0EEEvSF_
    .private_segment_fixed_size: 0
    .sgpr_count:     8
    .sgpr_spill_count: 0
    .symbol:         _ZN7rocprim17ROCPRIM_400000_NS6detail17trampoline_kernelINS0_14default_configENS1_38merge_sort_block_merge_config_selectorImNS0_10empty_typeEEEZZNS1_27merge_sort_block_merge_implIS3_PmPS5_jNS1_19radix_merge_compareILb1ELb0EmNS0_19identity_decomposerEEEEE10hipError_tT0_T1_T2_jT3_P12ihipStream_tbPNSt15iterator_traitsISE_E10value_typeEPNSK_ISF_E10value_typeEPSG_NS1_7vsmem_tEENKUlT_SE_SF_SG_E_clIS8_S8_S9_S9_EESD_ST_SE_SF_SG_EUlST_E_NS1_11comp_targetILNS1_3genE0ELNS1_11target_archE4294967295ELNS1_3gpuE0ELNS1_3repE0EEENS1_48merge_mergepath_partition_config_static_selectorELNS0_4arch9wavefront6targetE0EEEvSF_.kd
    .uniform_work_group_size: 1
    .uses_dynamic_stack: false
    .vgpr_count:     20
    .vgpr_spill_count: 0
    .wavefront_size: 32
  - .args:
      - .offset:         0
        .size:           40
        .value_kind:     by_value
    .group_segment_fixed_size: 0
    .kernarg_segment_align: 8
    .kernarg_segment_size: 40
    .language:       OpenCL C
    .language_version:
      - 2
      - 0
    .max_flat_workgroup_size: 128
    .name:           _ZN7rocprim17ROCPRIM_400000_NS6detail17trampoline_kernelINS0_14default_configENS1_38merge_sort_block_merge_config_selectorImNS0_10empty_typeEEEZZNS1_27merge_sort_block_merge_implIS3_PmPS5_jNS1_19radix_merge_compareILb1ELb0EmNS0_19identity_decomposerEEEEE10hipError_tT0_T1_T2_jT3_P12ihipStream_tbPNSt15iterator_traitsISE_E10value_typeEPNSK_ISF_E10value_typeEPSG_NS1_7vsmem_tEENKUlT_SE_SF_SG_E_clIS8_S8_S9_S9_EESD_ST_SE_SF_SG_EUlST_E_NS1_11comp_targetILNS1_3genE10ELNS1_11target_archE1201ELNS1_3gpuE5ELNS1_3repE0EEENS1_48merge_mergepath_partition_config_static_selectorELNS0_4arch9wavefront6targetE0EEEvSF_
    .private_segment_fixed_size: 0
    .sgpr_count:     0
    .sgpr_spill_count: 0
    .symbol:         _ZN7rocprim17ROCPRIM_400000_NS6detail17trampoline_kernelINS0_14default_configENS1_38merge_sort_block_merge_config_selectorImNS0_10empty_typeEEEZZNS1_27merge_sort_block_merge_implIS3_PmPS5_jNS1_19radix_merge_compareILb1ELb0EmNS0_19identity_decomposerEEEEE10hipError_tT0_T1_T2_jT3_P12ihipStream_tbPNSt15iterator_traitsISE_E10value_typeEPNSK_ISF_E10value_typeEPSG_NS1_7vsmem_tEENKUlT_SE_SF_SG_E_clIS8_S8_S9_S9_EESD_ST_SE_SF_SG_EUlST_E_NS1_11comp_targetILNS1_3genE10ELNS1_11target_archE1201ELNS1_3gpuE5ELNS1_3repE0EEENS1_48merge_mergepath_partition_config_static_selectorELNS0_4arch9wavefront6targetE0EEEvSF_.kd
    .uniform_work_group_size: 1
    .uses_dynamic_stack: false
    .vgpr_count:     0
    .vgpr_spill_count: 0
    .wavefront_size: 32
  - .args:
      - .offset:         0
        .size:           40
        .value_kind:     by_value
    .group_segment_fixed_size: 0
    .kernarg_segment_align: 8
    .kernarg_segment_size: 40
    .language:       OpenCL C
    .language_version:
      - 2
      - 0
    .max_flat_workgroup_size: 128
    .name:           _ZN7rocprim17ROCPRIM_400000_NS6detail17trampoline_kernelINS0_14default_configENS1_38merge_sort_block_merge_config_selectorImNS0_10empty_typeEEEZZNS1_27merge_sort_block_merge_implIS3_PmPS5_jNS1_19radix_merge_compareILb1ELb0EmNS0_19identity_decomposerEEEEE10hipError_tT0_T1_T2_jT3_P12ihipStream_tbPNSt15iterator_traitsISE_E10value_typeEPNSK_ISF_E10value_typeEPSG_NS1_7vsmem_tEENKUlT_SE_SF_SG_E_clIS8_S8_S9_S9_EESD_ST_SE_SF_SG_EUlST_E_NS1_11comp_targetILNS1_3genE5ELNS1_11target_archE942ELNS1_3gpuE9ELNS1_3repE0EEENS1_48merge_mergepath_partition_config_static_selectorELNS0_4arch9wavefront6targetE0EEEvSF_
    .private_segment_fixed_size: 0
    .sgpr_count:     0
    .sgpr_spill_count: 0
    .symbol:         _ZN7rocprim17ROCPRIM_400000_NS6detail17trampoline_kernelINS0_14default_configENS1_38merge_sort_block_merge_config_selectorImNS0_10empty_typeEEEZZNS1_27merge_sort_block_merge_implIS3_PmPS5_jNS1_19radix_merge_compareILb1ELb0EmNS0_19identity_decomposerEEEEE10hipError_tT0_T1_T2_jT3_P12ihipStream_tbPNSt15iterator_traitsISE_E10value_typeEPNSK_ISF_E10value_typeEPSG_NS1_7vsmem_tEENKUlT_SE_SF_SG_E_clIS8_S8_S9_S9_EESD_ST_SE_SF_SG_EUlST_E_NS1_11comp_targetILNS1_3genE5ELNS1_11target_archE942ELNS1_3gpuE9ELNS1_3repE0EEENS1_48merge_mergepath_partition_config_static_selectorELNS0_4arch9wavefront6targetE0EEEvSF_.kd
    .uniform_work_group_size: 1
    .uses_dynamic_stack: false
    .vgpr_count:     0
    .vgpr_spill_count: 0
    .wavefront_size: 32
  - .args:
      - .offset:         0
        .size:           40
        .value_kind:     by_value
    .group_segment_fixed_size: 0
    .kernarg_segment_align: 8
    .kernarg_segment_size: 40
    .language:       OpenCL C
    .language_version:
      - 2
      - 0
    .max_flat_workgroup_size: 128
    .name:           _ZN7rocprim17ROCPRIM_400000_NS6detail17trampoline_kernelINS0_14default_configENS1_38merge_sort_block_merge_config_selectorImNS0_10empty_typeEEEZZNS1_27merge_sort_block_merge_implIS3_PmPS5_jNS1_19radix_merge_compareILb1ELb0EmNS0_19identity_decomposerEEEEE10hipError_tT0_T1_T2_jT3_P12ihipStream_tbPNSt15iterator_traitsISE_E10value_typeEPNSK_ISF_E10value_typeEPSG_NS1_7vsmem_tEENKUlT_SE_SF_SG_E_clIS8_S8_S9_S9_EESD_ST_SE_SF_SG_EUlST_E_NS1_11comp_targetILNS1_3genE4ELNS1_11target_archE910ELNS1_3gpuE8ELNS1_3repE0EEENS1_48merge_mergepath_partition_config_static_selectorELNS0_4arch9wavefront6targetE0EEEvSF_
    .private_segment_fixed_size: 0
    .sgpr_count:     0
    .sgpr_spill_count: 0
    .symbol:         _ZN7rocprim17ROCPRIM_400000_NS6detail17trampoline_kernelINS0_14default_configENS1_38merge_sort_block_merge_config_selectorImNS0_10empty_typeEEEZZNS1_27merge_sort_block_merge_implIS3_PmPS5_jNS1_19radix_merge_compareILb1ELb0EmNS0_19identity_decomposerEEEEE10hipError_tT0_T1_T2_jT3_P12ihipStream_tbPNSt15iterator_traitsISE_E10value_typeEPNSK_ISF_E10value_typeEPSG_NS1_7vsmem_tEENKUlT_SE_SF_SG_E_clIS8_S8_S9_S9_EESD_ST_SE_SF_SG_EUlST_E_NS1_11comp_targetILNS1_3genE4ELNS1_11target_archE910ELNS1_3gpuE8ELNS1_3repE0EEENS1_48merge_mergepath_partition_config_static_selectorELNS0_4arch9wavefront6targetE0EEEvSF_.kd
    .uniform_work_group_size: 1
    .uses_dynamic_stack: false
    .vgpr_count:     0
    .vgpr_spill_count: 0
    .wavefront_size: 32
  - .args:
      - .offset:         0
        .size:           40
        .value_kind:     by_value
    .group_segment_fixed_size: 0
    .kernarg_segment_align: 8
    .kernarg_segment_size: 40
    .language:       OpenCL C
    .language_version:
      - 2
      - 0
    .max_flat_workgroup_size: 128
    .name:           _ZN7rocprim17ROCPRIM_400000_NS6detail17trampoline_kernelINS0_14default_configENS1_38merge_sort_block_merge_config_selectorImNS0_10empty_typeEEEZZNS1_27merge_sort_block_merge_implIS3_PmPS5_jNS1_19radix_merge_compareILb1ELb0EmNS0_19identity_decomposerEEEEE10hipError_tT0_T1_T2_jT3_P12ihipStream_tbPNSt15iterator_traitsISE_E10value_typeEPNSK_ISF_E10value_typeEPSG_NS1_7vsmem_tEENKUlT_SE_SF_SG_E_clIS8_S8_S9_S9_EESD_ST_SE_SF_SG_EUlST_E_NS1_11comp_targetILNS1_3genE3ELNS1_11target_archE908ELNS1_3gpuE7ELNS1_3repE0EEENS1_48merge_mergepath_partition_config_static_selectorELNS0_4arch9wavefront6targetE0EEEvSF_
    .private_segment_fixed_size: 0
    .sgpr_count:     0
    .sgpr_spill_count: 0
    .symbol:         _ZN7rocprim17ROCPRIM_400000_NS6detail17trampoline_kernelINS0_14default_configENS1_38merge_sort_block_merge_config_selectorImNS0_10empty_typeEEEZZNS1_27merge_sort_block_merge_implIS3_PmPS5_jNS1_19radix_merge_compareILb1ELb0EmNS0_19identity_decomposerEEEEE10hipError_tT0_T1_T2_jT3_P12ihipStream_tbPNSt15iterator_traitsISE_E10value_typeEPNSK_ISF_E10value_typeEPSG_NS1_7vsmem_tEENKUlT_SE_SF_SG_E_clIS8_S8_S9_S9_EESD_ST_SE_SF_SG_EUlST_E_NS1_11comp_targetILNS1_3genE3ELNS1_11target_archE908ELNS1_3gpuE7ELNS1_3repE0EEENS1_48merge_mergepath_partition_config_static_selectorELNS0_4arch9wavefront6targetE0EEEvSF_.kd
    .uniform_work_group_size: 1
    .uses_dynamic_stack: false
    .vgpr_count:     0
    .vgpr_spill_count: 0
    .wavefront_size: 32
  - .args:
      - .offset:         0
        .size:           40
        .value_kind:     by_value
    .group_segment_fixed_size: 0
    .kernarg_segment_align: 8
    .kernarg_segment_size: 40
    .language:       OpenCL C
    .language_version:
      - 2
      - 0
    .max_flat_workgroup_size: 128
    .name:           _ZN7rocprim17ROCPRIM_400000_NS6detail17trampoline_kernelINS0_14default_configENS1_38merge_sort_block_merge_config_selectorImNS0_10empty_typeEEEZZNS1_27merge_sort_block_merge_implIS3_PmPS5_jNS1_19radix_merge_compareILb1ELb0EmNS0_19identity_decomposerEEEEE10hipError_tT0_T1_T2_jT3_P12ihipStream_tbPNSt15iterator_traitsISE_E10value_typeEPNSK_ISF_E10value_typeEPSG_NS1_7vsmem_tEENKUlT_SE_SF_SG_E_clIS8_S8_S9_S9_EESD_ST_SE_SF_SG_EUlST_E_NS1_11comp_targetILNS1_3genE2ELNS1_11target_archE906ELNS1_3gpuE6ELNS1_3repE0EEENS1_48merge_mergepath_partition_config_static_selectorELNS0_4arch9wavefront6targetE0EEEvSF_
    .private_segment_fixed_size: 0
    .sgpr_count:     0
    .sgpr_spill_count: 0
    .symbol:         _ZN7rocprim17ROCPRIM_400000_NS6detail17trampoline_kernelINS0_14default_configENS1_38merge_sort_block_merge_config_selectorImNS0_10empty_typeEEEZZNS1_27merge_sort_block_merge_implIS3_PmPS5_jNS1_19radix_merge_compareILb1ELb0EmNS0_19identity_decomposerEEEEE10hipError_tT0_T1_T2_jT3_P12ihipStream_tbPNSt15iterator_traitsISE_E10value_typeEPNSK_ISF_E10value_typeEPSG_NS1_7vsmem_tEENKUlT_SE_SF_SG_E_clIS8_S8_S9_S9_EESD_ST_SE_SF_SG_EUlST_E_NS1_11comp_targetILNS1_3genE2ELNS1_11target_archE906ELNS1_3gpuE6ELNS1_3repE0EEENS1_48merge_mergepath_partition_config_static_selectorELNS0_4arch9wavefront6targetE0EEEvSF_.kd
    .uniform_work_group_size: 1
    .uses_dynamic_stack: false
    .vgpr_count:     0
    .vgpr_spill_count: 0
    .wavefront_size: 32
  - .args:
      - .offset:         0
        .size:           40
        .value_kind:     by_value
    .group_segment_fixed_size: 0
    .kernarg_segment_align: 8
    .kernarg_segment_size: 40
    .language:       OpenCL C
    .language_version:
      - 2
      - 0
    .max_flat_workgroup_size: 128
    .name:           _ZN7rocprim17ROCPRIM_400000_NS6detail17trampoline_kernelINS0_14default_configENS1_38merge_sort_block_merge_config_selectorImNS0_10empty_typeEEEZZNS1_27merge_sort_block_merge_implIS3_PmPS5_jNS1_19radix_merge_compareILb1ELb0EmNS0_19identity_decomposerEEEEE10hipError_tT0_T1_T2_jT3_P12ihipStream_tbPNSt15iterator_traitsISE_E10value_typeEPNSK_ISF_E10value_typeEPSG_NS1_7vsmem_tEENKUlT_SE_SF_SG_E_clIS8_S8_S9_S9_EESD_ST_SE_SF_SG_EUlST_E_NS1_11comp_targetILNS1_3genE9ELNS1_11target_archE1100ELNS1_3gpuE3ELNS1_3repE0EEENS1_48merge_mergepath_partition_config_static_selectorELNS0_4arch9wavefront6targetE0EEEvSF_
    .private_segment_fixed_size: 0
    .sgpr_count:     0
    .sgpr_spill_count: 0
    .symbol:         _ZN7rocprim17ROCPRIM_400000_NS6detail17trampoline_kernelINS0_14default_configENS1_38merge_sort_block_merge_config_selectorImNS0_10empty_typeEEEZZNS1_27merge_sort_block_merge_implIS3_PmPS5_jNS1_19radix_merge_compareILb1ELb0EmNS0_19identity_decomposerEEEEE10hipError_tT0_T1_T2_jT3_P12ihipStream_tbPNSt15iterator_traitsISE_E10value_typeEPNSK_ISF_E10value_typeEPSG_NS1_7vsmem_tEENKUlT_SE_SF_SG_E_clIS8_S8_S9_S9_EESD_ST_SE_SF_SG_EUlST_E_NS1_11comp_targetILNS1_3genE9ELNS1_11target_archE1100ELNS1_3gpuE3ELNS1_3repE0EEENS1_48merge_mergepath_partition_config_static_selectorELNS0_4arch9wavefront6targetE0EEEvSF_.kd
    .uniform_work_group_size: 1
    .uses_dynamic_stack: false
    .vgpr_count:     0
    .vgpr_spill_count: 0
    .wavefront_size: 32
  - .args:
      - .offset:         0
        .size:           40
        .value_kind:     by_value
    .group_segment_fixed_size: 0
    .kernarg_segment_align: 8
    .kernarg_segment_size: 40
    .language:       OpenCL C
    .language_version:
      - 2
      - 0
    .max_flat_workgroup_size: 128
    .name:           _ZN7rocprim17ROCPRIM_400000_NS6detail17trampoline_kernelINS0_14default_configENS1_38merge_sort_block_merge_config_selectorImNS0_10empty_typeEEEZZNS1_27merge_sort_block_merge_implIS3_PmPS5_jNS1_19radix_merge_compareILb1ELb0EmNS0_19identity_decomposerEEEEE10hipError_tT0_T1_T2_jT3_P12ihipStream_tbPNSt15iterator_traitsISE_E10value_typeEPNSK_ISF_E10value_typeEPSG_NS1_7vsmem_tEENKUlT_SE_SF_SG_E_clIS8_S8_S9_S9_EESD_ST_SE_SF_SG_EUlST_E_NS1_11comp_targetILNS1_3genE8ELNS1_11target_archE1030ELNS1_3gpuE2ELNS1_3repE0EEENS1_48merge_mergepath_partition_config_static_selectorELNS0_4arch9wavefront6targetE0EEEvSF_
    .private_segment_fixed_size: 0
    .sgpr_count:     0
    .sgpr_spill_count: 0
    .symbol:         _ZN7rocprim17ROCPRIM_400000_NS6detail17trampoline_kernelINS0_14default_configENS1_38merge_sort_block_merge_config_selectorImNS0_10empty_typeEEEZZNS1_27merge_sort_block_merge_implIS3_PmPS5_jNS1_19radix_merge_compareILb1ELb0EmNS0_19identity_decomposerEEEEE10hipError_tT0_T1_T2_jT3_P12ihipStream_tbPNSt15iterator_traitsISE_E10value_typeEPNSK_ISF_E10value_typeEPSG_NS1_7vsmem_tEENKUlT_SE_SF_SG_E_clIS8_S8_S9_S9_EESD_ST_SE_SF_SG_EUlST_E_NS1_11comp_targetILNS1_3genE8ELNS1_11target_archE1030ELNS1_3gpuE2ELNS1_3repE0EEENS1_48merge_mergepath_partition_config_static_selectorELNS0_4arch9wavefront6targetE0EEEvSF_.kd
    .uniform_work_group_size: 1
    .uses_dynamic_stack: false
    .vgpr_count:     0
    .vgpr_spill_count: 0
    .wavefront_size: 32
  - .args:
      - .offset:         0
        .size:           64
        .value_kind:     by_value
      - .offset:         64
        .size:           4
        .value_kind:     hidden_block_count_x
      - .offset:         68
        .size:           4
        .value_kind:     hidden_block_count_y
      - .offset:         72
        .size:           4
        .value_kind:     hidden_block_count_z
      - .offset:         76
        .size:           2
        .value_kind:     hidden_group_size_x
      - .offset:         78
        .size:           2
        .value_kind:     hidden_group_size_y
      - .offset:         80
        .size:           2
        .value_kind:     hidden_group_size_z
      - .offset:         82
        .size:           2
        .value_kind:     hidden_remainder_x
      - .offset:         84
        .size:           2
        .value_kind:     hidden_remainder_y
      - .offset:         86
        .size:           2
        .value_kind:     hidden_remainder_z
      - .offset:         104
        .size:           8
        .value_kind:     hidden_global_offset_x
      - .offset:         112
        .size:           8
        .value_kind:     hidden_global_offset_y
      - .offset:         120
        .size:           8
        .value_kind:     hidden_global_offset_z
      - .offset:         128
        .size:           2
        .value_kind:     hidden_grid_dims
    .group_segment_fixed_size: 8448
    .kernarg_segment_align: 8
    .kernarg_segment_size: 320
    .language:       OpenCL C
    .language_version:
      - 2
      - 0
    .max_flat_workgroup_size: 128
    .name:           _ZN7rocprim17ROCPRIM_400000_NS6detail17trampoline_kernelINS0_14default_configENS1_38merge_sort_block_merge_config_selectorImNS0_10empty_typeEEEZZNS1_27merge_sort_block_merge_implIS3_PmPS5_jNS1_19radix_merge_compareILb1ELb0EmNS0_19identity_decomposerEEEEE10hipError_tT0_T1_T2_jT3_P12ihipStream_tbPNSt15iterator_traitsISE_E10value_typeEPNSK_ISF_E10value_typeEPSG_NS1_7vsmem_tEENKUlT_SE_SF_SG_E_clIS8_S8_S9_S9_EESD_ST_SE_SF_SG_EUlST_E0_NS1_11comp_targetILNS1_3genE0ELNS1_11target_archE4294967295ELNS1_3gpuE0ELNS1_3repE0EEENS1_38merge_mergepath_config_static_selectorELNS0_4arch9wavefront6targetE0EEEvSF_
    .private_segment_fixed_size: 0
    .sgpr_count:     25
    .sgpr_spill_count: 0
    .symbol:         _ZN7rocprim17ROCPRIM_400000_NS6detail17trampoline_kernelINS0_14default_configENS1_38merge_sort_block_merge_config_selectorImNS0_10empty_typeEEEZZNS1_27merge_sort_block_merge_implIS3_PmPS5_jNS1_19radix_merge_compareILb1ELb0EmNS0_19identity_decomposerEEEEE10hipError_tT0_T1_T2_jT3_P12ihipStream_tbPNSt15iterator_traitsISE_E10value_typeEPNSK_ISF_E10value_typeEPSG_NS1_7vsmem_tEENKUlT_SE_SF_SG_E_clIS8_S8_S9_S9_EESD_ST_SE_SF_SG_EUlST_E0_NS1_11comp_targetILNS1_3genE0ELNS1_11target_archE4294967295ELNS1_3gpuE0ELNS1_3repE0EEENS1_38merge_mergepath_config_static_selectorELNS0_4arch9wavefront6targetE0EEEvSF_.kd
    .uniform_work_group_size: 1
    .uses_dynamic_stack: false
    .vgpr_count:     38
    .vgpr_spill_count: 0
    .wavefront_size: 32
  - .args:
      - .offset:         0
        .size:           64
        .value_kind:     by_value
    .group_segment_fixed_size: 0
    .kernarg_segment_align: 8
    .kernarg_segment_size: 64
    .language:       OpenCL C
    .language_version:
      - 2
      - 0
    .max_flat_workgroup_size: 512
    .name:           _ZN7rocprim17ROCPRIM_400000_NS6detail17trampoline_kernelINS0_14default_configENS1_38merge_sort_block_merge_config_selectorImNS0_10empty_typeEEEZZNS1_27merge_sort_block_merge_implIS3_PmPS5_jNS1_19radix_merge_compareILb1ELb0EmNS0_19identity_decomposerEEEEE10hipError_tT0_T1_T2_jT3_P12ihipStream_tbPNSt15iterator_traitsISE_E10value_typeEPNSK_ISF_E10value_typeEPSG_NS1_7vsmem_tEENKUlT_SE_SF_SG_E_clIS8_S8_S9_S9_EESD_ST_SE_SF_SG_EUlST_E0_NS1_11comp_targetILNS1_3genE10ELNS1_11target_archE1201ELNS1_3gpuE5ELNS1_3repE0EEENS1_38merge_mergepath_config_static_selectorELNS0_4arch9wavefront6targetE0EEEvSF_
    .private_segment_fixed_size: 0
    .sgpr_count:     0
    .sgpr_spill_count: 0
    .symbol:         _ZN7rocprim17ROCPRIM_400000_NS6detail17trampoline_kernelINS0_14default_configENS1_38merge_sort_block_merge_config_selectorImNS0_10empty_typeEEEZZNS1_27merge_sort_block_merge_implIS3_PmPS5_jNS1_19radix_merge_compareILb1ELb0EmNS0_19identity_decomposerEEEEE10hipError_tT0_T1_T2_jT3_P12ihipStream_tbPNSt15iterator_traitsISE_E10value_typeEPNSK_ISF_E10value_typeEPSG_NS1_7vsmem_tEENKUlT_SE_SF_SG_E_clIS8_S8_S9_S9_EESD_ST_SE_SF_SG_EUlST_E0_NS1_11comp_targetILNS1_3genE10ELNS1_11target_archE1201ELNS1_3gpuE5ELNS1_3repE0EEENS1_38merge_mergepath_config_static_selectorELNS0_4arch9wavefront6targetE0EEEvSF_.kd
    .uniform_work_group_size: 1
    .uses_dynamic_stack: false
    .vgpr_count:     0
    .vgpr_spill_count: 0
    .wavefront_size: 32
  - .args:
      - .offset:         0
        .size:           64
        .value_kind:     by_value
    .group_segment_fixed_size: 0
    .kernarg_segment_align: 8
    .kernarg_segment_size: 64
    .language:       OpenCL C
    .language_version:
      - 2
      - 0
    .max_flat_workgroup_size: 128
    .name:           _ZN7rocprim17ROCPRIM_400000_NS6detail17trampoline_kernelINS0_14default_configENS1_38merge_sort_block_merge_config_selectorImNS0_10empty_typeEEEZZNS1_27merge_sort_block_merge_implIS3_PmPS5_jNS1_19radix_merge_compareILb1ELb0EmNS0_19identity_decomposerEEEEE10hipError_tT0_T1_T2_jT3_P12ihipStream_tbPNSt15iterator_traitsISE_E10value_typeEPNSK_ISF_E10value_typeEPSG_NS1_7vsmem_tEENKUlT_SE_SF_SG_E_clIS8_S8_S9_S9_EESD_ST_SE_SF_SG_EUlST_E0_NS1_11comp_targetILNS1_3genE5ELNS1_11target_archE942ELNS1_3gpuE9ELNS1_3repE0EEENS1_38merge_mergepath_config_static_selectorELNS0_4arch9wavefront6targetE0EEEvSF_
    .private_segment_fixed_size: 0
    .sgpr_count:     0
    .sgpr_spill_count: 0
    .symbol:         _ZN7rocprim17ROCPRIM_400000_NS6detail17trampoline_kernelINS0_14default_configENS1_38merge_sort_block_merge_config_selectorImNS0_10empty_typeEEEZZNS1_27merge_sort_block_merge_implIS3_PmPS5_jNS1_19radix_merge_compareILb1ELb0EmNS0_19identity_decomposerEEEEE10hipError_tT0_T1_T2_jT3_P12ihipStream_tbPNSt15iterator_traitsISE_E10value_typeEPNSK_ISF_E10value_typeEPSG_NS1_7vsmem_tEENKUlT_SE_SF_SG_E_clIS8_S8_S9_S9_EESD_ST_SE_SF_SG_EUlST_E0_NS1_11comp_targetILNS1_3genE5ELNS1_11target_archE942ELNS1_3gpuE9ELNS1_3repE0EEENS1_38merge_mergepath_config_static_selectorELNS0_4arch9wavefront6targetE0EEEvSF_.kd
    .uniform_work_group_size: 1
    .uses_dynamic_stack: false
    .vgpr_count:     0
    .vgpr_spill_count: 0
    .wavefront_size: 32
  - .args:
      - .offset:         0
        .size:           64
        .value_kind:     by_value
    .group_segment_fixed_size: 0
    .kernarg_segment_align: 8
    .kernarg_segment_size: 64
    .language:       OpenCL C
    .language_version:
      - 2
      - 0
    .max_flat_workgroup_size: 256
    .name:           _ZN7rocprim17ROCPRIM_400000_NS6detail17trampoline_kernelINS0_14default_configENS1_38merge_sort_block_merge_config_selectorImNS0_10empty_typeEEEZZNS1_27merge_sort_block_merge_implIS3_PmPS5_jNS1_19radix_merge_compareILb1ELb0EmNS0_19identity_decomposerEEEEE10hipError_tT0_T1_T2_jT3_P12ihipStream_tbPNSt15iterator_traitsISE_E10value_typeEPNSK_ISF_E10value_typeEPSG_NS1_7vsmem_tEENKUlT_SE_SF_SG_E_clIS8_S8_S9_S9_EESD_ST_SE_SF_SG_EUlST_E0_NS1_11comp_targetILNS1_3genE4ELNS1_11target_archE910ELNS1_3gpuE8ELNS1_3repE0EEENS1_38merge_mergepath_config_static_selectorELNS0_4arch9wavefront6targetE0EEEvSF_
    .private_segment_fixed_size: 0
    .sgpr_count:     0
    .sgpr_spill_count: 0
    .symbol:         _ZN7rocprim17ROCPRIM_400000_NS6detail17trampoline_kernelINS0_14default_configENS1_38merge_sort_block_merge_config_selectorImNS0_10empty_typeEEEZZNS1_27merge_sort_block_merge_implIS3_PmPS5_jNS1_19radix_merge_compareILb1ELb0EmNS0_19identity_decomposerEEEEE10hipError_tT0_T1_T2_jT3_P12ihipStream_tbPNSt15iterator_traitsISE_E10value_typeEPNSK_ISF_E10value_typeEPSG_NS1_7vsmem_tEENKUlT_SE_SF_SG_E_clIS8_S8_S9_S9_EESD_ST_SE_SF_SG_EUlST_E0_NS1_11comp_targetILNS1_3genE4ELNS1_11target_archE910ELNS1_3gpuE8ELNS1_3repE0EEENS1_38merge_mergepath_config_static_selectorELNS0_4arch9wavefront6targetE0EEEvSF_.kd
    .uniform_work_group_size: 1
    .uses_dynamic_stack: false
    .vgpr_count:     0
    .vgpr_spill_count: 0
    .wavefront_size: 32
  - .args:
      - .offset:         0
        .size:           64
        .value_kind:     by_value
    .group_segment_fixed_size: 0
    .kernarg_segment_align: 8
    .kernarg_segment_size: 64
    .language:       OpenCL C
    .language_version:
      - 2
      - 0
    .max_flat_workgroup_size: 128
    .name:           _ZN7rocprim17ROCPRIM_400000_NS6detail17trampoline_kernelINS0_14default_configENS1_38merge_sort_block_merge_config_selectorImNS0_10empty_typeEEEZZNS1_27merge_sort_block_merge_implIS3_PmPS5_jNS1_19radix_merge_compareILb1ELb0EmNS0_19identity_decomposerEEEEE10hipError_tT0_T1_T2_jT3_P12ihipStream_tbPNSt15iterator_traitsISE_E10value_typeEPNSK_ISF_E10value_typeEPSG_NS1_7vsmem_tEENKUlT_SE_SF_SG_E_clIS8_S8_S9_S9_EESD_ST_SE_SF_SG_EUlST_E0_NS1_11comp_targetILNS1_3genE3ELNS1_11target_archE908ELNS1_3gpuE7ELNS1_3repE0EEENS1_38merge_mergepath_config_static_selectorELNS0_4arch9wavefront6targetE0EEEvSF_
    .private_segment_fixed_size: 0
    .sgpr_count:     0
    .sgpr_spill_count: 0
    .symbol:         _ZN7rocprim17ROCPRIM_400000_NS6detail17trampoline_kernelINS0_14default_configENS1_38merge_sort_block_merge_config_selectorImNS0_10empty_typeEEEZZNS1_27merge_sort_block_merge_implIS3_PmPS5_jNS1_19radix_merge_compareILb1ELb0EmNS0_19identity_decomposerEEEEE10hipError_tT0_T1_T2_jT3_P12ihipStream_tbPNSt15iterator_traitsISE_E10value_typeEPNSK_ISF_E10value_typeEPSG_NS1_7vsmem_tEENKUlT_SE_SF_SG_E_clIS8_S8_S9_S9_EESD_ST_SE_SF_SG_EUlST_E0_NS1_11comp_targetILNS1_3genE3ELNS1_11target_archE908ELNS1_3gpuE7ELNS1_3repE0EEENS1_38merge_mergepath_config_static_selectorELNS0_4arch9wavefront6targetE0EEEvSF_.kd
    .uniform_work_group_size: 1
    .uses_dynamic_stack: false
    .vgpr_count:     0
    .vgpr_spill_count: 0
    .wavefront_size: 32
  - .args:
      - .offset:         0
        .size:           64
        .value_kind:     by_value
    .group_segment_fixed_size: 0
    .kernarg_segment_align: 8
    .kernarg_segment_size: 64
    .language:       OpenCL C
    .language_version:
      - 2
      - 0
    .max_flat_workgroup_size: 256
    .name:           _ZN7rocprim17ROCPRIM_400000_NS6detail17trampoline_kernelINS0_14default_configENS1_38merge_sort_block_merge_config_selectorImNS0_10empty_typeEEEZZNS1_27merge_sort_block_merge_implIS3_PmPS5_jNS1_19radix_merge_compareILb1ELb0EmNS0_19identity_decomposerEEEEE10hipError_tT0_T1_T2_jT3_P12ihipStream_tbPNSt15iterator_traitsISE_E10value_typeEPNSK_ISF_E10value_typeEPSG_NS1_7vsmem_tEENKUlT_SE_SF_SG_E_clIS8_S8_S9_S9_EESD_ST_SE_SF_SG_EUlST_E0_NS1_11comp_targetILNS1_3genE2ELNS1_11target_archE906ELNS1_3gpuE6ELNS1_3repE0EEENS1_38merge_mergepath_config_static_selectorELNS0_4arch9wavefront6targetE0EEEvSF_
    .private_segment_fixed_size: 0
    .sgpr_count:     0
    .sgpr_spill_count: 0
    .symbol:         _ZN7rocprim17ROCPRIM_400000_NS6detail17trampoline_kernelINS0_14default_configENS1_38merge_sort_block_merge_config_selectorImNS0_10empty_typeEEEZZNS1_27merge_sort_block_merge_implIS3_PmPS5_jNS1_19radix_merge_compareILb1ELb0EmNS0_19identity_decomposerEEEEE10hipError_tT0_T1_T2_jT3_P12ihipStream_tbPNSt15iterator_traitsISE_E10value_typeEPNSK_ISF_E10value_typeEPSG_NS1_7vsmem_tEENKUlT_SE_SF_SG_E_clIS8_S8_S9_S9_EESD_ST_SE_SF_SG_EUlST_E0_NS1_11comp_targetILNS1_3genE2ELNS1_11target_archE906ELNS1_3gpuE6ELNS1_3repE0EEENS1_38merge_mergepath_config_static_selectorELNS0_4arch9wavefront6targetE0EEEvSF_.kd
    .uniform_work_group_size: 1
    .uses_dynamic_stack: false
    .vgpr_count:     0
    .vgpr_spill_count: 0
    .wavefront_size: 32
  - .args:
      - .offset:         0
        .size:           64
        .value_kind:     by_value
    .group_segment_fixed_size: 0
    .kernarg_segment_align: 8
    .kernarg_segment_size: 64
    .language:       OpenCL C
    .language_version:
      - 2
      - 0
    .max_flat_workgroup_size: 512
    .name:           _ZN7rocprim17ROCPRIM_400000_NS6detail17trampoline_kernelINS0_14default_configENS1_38merge_sort_block_merge_config_selectorImNS0_10empty_typeEEEZZNS1_27merge_sort_block_merge_implIS3_PmPS5_jNS1_19radix_merge_compareILb1ELb0EmNS0_19identity_decomposerEEEEE10hipError_tT0_T1_T2_jT3_P12ihipStream_tbPNSt15iterator_traitsISE_E10value_typeEPNSK_ISF_E10value_typeEPSG_NS1_7vsmem_tEENKUlT_SE_SF_SG_E_clIS8_S8_S9_S9_EESD_ST_SE_SF_SG_EUlST_E0_NS1_11comp_targetILNS1_3genE9ELNS1_11target_archE1100ELNS1_3gpuE3ELNS1_3repE0EEENS1_38merge_mergepath_config_static_selectorELNS0_4arch9wavefront6targetE0EEEvSF_
    .private_segment_fixed_size: 0
    .sgpr_count:     0
    .sgpr_spill_count: 0
    .symbol:         _ZN7rocprim17ROCPRIM_400000_NS6detail17trampoline_kernelINS0_14default_configENS1_38merge_sort_block_merge_config_selectorImNS0_10empty_typeEEEZZNS1_27merge_sort_block_merge_implIS3_PmPS5_jNS1_19radix_merge_compareILb1ELb0EmNS0_19identity_decomposerEEEEE10hipError_tT0_T1_T2_jT3_P12ihipStream_tbPNSt15iterator_traitsISE_E10value_typeEPNSK_ISF_E10value_typeEPSG_NS1_7vsmem_tEENKUlT_SE_SF_SG_E_clIS8_S8_S9_S9_EESD_ST_SE_SF_SG_EUlST_E0_NS1_11comp_targetILNS1_3genE9ELNS1_11target_archE1100ELNS1_3gpuE3ELNS1_3repE0EEENS1_38merge_mergepath_config_static_selectorELNS0_4arch9wavefront6targetE0EEEvSF_.kd
    .uniform_work_group_size: 1
    .uses_dynamic_stack: false
    .vgpr_count:     0
    .vgpr_spill_count: 0
    .wavefront_size: 32
  - .args:
      - .offset:         0
        .size:           64
        .value_kind:     by_value
    .group_segment_fixed_size: 0
    .kernarg_segment_align: 8
    .kernarg_segment_size: 64
    .language:       OpenCL C
    .language_version:
      - 2
      - 0
    .max_flat_workgroup_size: 1024
    .name:           _ZN7rocprim17ROCPRIM_400000_NS6detail17trampoline_kernelINS0_14default_configENS1_38merge_sort_block_merge_config_selectorImNS0_10empty_typeEEEZZNS1_27merge_sort_block_merge_implIS3_PmPS5_jNS1_19radix_merge_compareILb1ELb0EmNS0_19identity_decomposerEEEEE10hipError_tT0_T1_T2_jT3_P12ihipStream_tbPNSt15iterator_traitsISE_E10value_typeEPNSK_ISF_E10value_typeEPSG_NS1_7vsmem_tEENKUlT_SE_SF_SG_E_clIS8_S8_S9_S9_EESD_ST_SE_SF_SG_EUlST_E0_NS1_11comp_targetILNS1_3genE8ELNS1_11target_archE1030ELNS1_3gpuE2ELNS1_3repE0EEENS1_38merge_mergepath_config_static_selectorELNS0_4arch9wavefront6targetE0EEEvSF_
    .private_segment_fixed_size: 0
    .sgpr_count:     0
    .sgpr_spill_count: 0
    .symbol:         _ZN7rocprim17ROCPRIM_400000_NS6detail17trampoline_kernelINS0_14default_configENS1_38merge_sort_block_merge_config_selectorImNS0_10empty_typeEEEZZNS1_27merge_sort_block_merge_implIS3_PmPS5_jNS1_19radix_merge_compareILb1ELb0EmNS0_19identity_decomposerEEEEE10hipError_tT0_T1_T2_jT3_P12ihipStream_tbPNSt15iterator_traitsISE_E10value_typeEPNSK_ISF_E10value_typeEPSG_NS1_7vsmem_tEENKUlT_SE_SF_SG_E_clIS8_S8_S9_S9_EESD_ST_SE_SF_SG_EUlST_E0_NS1_11comp_targetILNS1_3genE8ELNS1_11target_archE1030ELNS1_3gpuE2ELNS1_3repE0EEENS1_38merge_mergepath_config_static_selectorELNS0_4arch9wavefront6targetE0EEEvSF_.kd
    .uniform_work_group_size: 1
    .uses_dynamic_stack: false
    .vgpr_count:     0
    .vgpr_spill_count: 0
    .wavefront_size: 32
  - .args:
      - .offset:         0
        .size:           48
        .value_kind:     by_value
    .group_segment_fixed_size: 0
    .kernarg_segment_align: 8
    .kernarg_segment_size: 48
    .language:       OpenCL C
    .language_version:
      - 2
      - 0
    .max_flat_workgroup_size: 256
    .name:           _ZN7rocprim17ROCPRIM_400000_NS6detail17trampoline_kernelINS0_14default_configENS1_38merge_sort_block_merge_config_selectorImNS0_10empty_typeEEEZZNS1_27merge_sort_block_merge_implIS3_PmPS5_jNS1_19radix_merge_compareILb1ELb0EmNS0_19identity_decomposerEEEEE10hipError_tT0_T1_T2_jT3_P12ihipStream_tbPNSt15iterator_traitsISE_E10value_typeEPNSK_ISF_E10value_typeEPSG_NS1_7vsmem_tEENKUlT_SE_SF_SG_E_clIS8_S8_S9_S9_EESD_ST_SE_SF_SG_EUlST_E1_NS1_11comp_targetILNS1_3genE0ELNS1_11target_archE4294967295ELNS1_3gpuE0ELNS1_3repE0EEENS1_36merge_oddeven_config_static_selectorELNS0_4arch9wavefront6targetE0EEEvSF_
    .private_segment_fixed_size: 0
    .sgpr_count:     18
    .sgpr_spill_count: 0
    .symbol:         _ZN7rocprim17ROCPRIM_400000_NS6detail17trampoline_kernelINS0_14default_configENS1_38merge_sort_block_merge_config_selectorImNS0_10empty_typeEEEZZNS1_27merge_sort_block_merge_implIS3_PmPS5_jNS1_19radix_merge_compareILb1ELb0EmNS0_19identity_decomposerEEEEE10hipError_tT0_T1_T2_jT3_P12ihipStream_tbPNSt15iterator_traitsISE_E10value_typeEPNSK_ISF_E10value_typeEPSG_NS1_7vsmem_tEENKUlT_SE_SF_SG_E_clIS8_S8_S9_S9_EESD_ST_SE_SF_SG_EUlST_E1_NS1_11comp_targetILNS1_3genE0ELNS1_11target_archE4294967295ELNS1_3gpuE0ELNS1_3repE0EEENS1_36merge_oddeven_config_static_selectorELNS0_4arch9wavefront6targetE0EEEvSF_.kd
    .uniform_work_group_size: 1
    .uses_dynamic_stack: false
    .vgpr_count:     9
    .vgpr_spill_count: 0
    .wavefront_size: 32
  - .args:
      - .offset:         0
        .size:           48
        .value_kind:     by_value
    .group_segment_fixed_size: 0
    .kernarg_segment_align: 8
    .kernarg_segment_size: 48
    .language:       OpenCL C
    .language_version:
      - 2
      - 0
    .max_flat_workgroup_size: 256
    .name:           _ZN7rocprim17ROCPRIM_400000_NS6detail17trampoline_kernelINS0_14default_configENS1_38merge_sort_block_merge_config_selectorImNS0_10empty_typeEEEZZNS1_27merge_sort_block_merge_implIS3_PmPS5_jNS1_19radix_merge_compareILb1ELb0EmNS0_19identity_decomposerEEEEE10hipError_tT0_T1_T2_jT3_P12ihipStream_tbPNSt15iterator_traitsISE_E10value_typeEPNSK_ISF_E10value_typeEPSG_NS1_7vsmem_tEENKUlT_SE_SF_SG_E_clIS8_S8_S9_S9_EESD_ST_SE_SF_SG_EUlST_E1_NS1_11comp_targetILNS1_3genE10ELNS1_11target_archE1201ELNS1_3gpuE5ELNS1_3repE0EEENS1_36merge_oddeven_config_static_selectorELNS0_4arch9wavefront6targetE0EEEvSF_
    .private_segment_fixed_size: 0
    .sgpr_count:     0
    .sgpr_spill_count: 0
    .symbol:         _ZN7rocprim17ROCPRIM_400000_NS6detail17trampoline_kernelINS0_14default_configENS1_38merge_sort_block_merge_config_selectorImNS0_10empty_typeEEEZZNS1_27merge_sort_block_merge_implIS3_PmPS5_jNS1_19radix_merge_compareILb1ELb0EmNS0_19identity_decomposerEEEEE10hipError_tT0_T1_T2_jT3_P12ihipStream_tbPNSt15iterator_traitsISE_E10value_typeEPNSK_ISF_E10value_typeEPSG_NS1_7vsmem_tEENKUlT_SE_SF_SG_E_clIS8_S8_S9_S9_EESD_ST_SE_SF_SG_EUlST_E1_NS1_11comp_targetILNS1_3genE10ELNS1_11target_archE1201ELNS1_3gpuE5ELNS1_3repE0EEENS1_36merge_oddeven_config_static_selectorELNS0_4arch9wavefront6targetE0EEEvSF_.kd
    .uniform_work_group_size: 1
    .uses_dynamic_stack: false
    .vgpr_count:     0
    .vgpr_spill_count: 0
    .wavefront_size: 32
  - .args:
      - .offset:         0
        .size:           48
        .value_kind:     by_value
    .group_segment_fixed_size: 0
    .kernarg_segment_align: 8
    .kernarg_segment_size: 48
    .language:       OpenCL C
    .language_version:
      - 2
      - 0
    .max_flat_workgroup_size: 256
    .name:           _ZN7rocprim17ROCPRIM_400000_NS6detail17trampoline_kernelINS0_14default_configENS1_38merge_sort_block_merge_config_selectorImNS0_10empty_typeEEEZZNS1_27merge_sort_block_merge_implIS3_PmPS5_jNS1_19radix_merge_compareILb1ELb0EmNS0_19identity_decomposerEEEEE10hipError_tT0_T1_T2_jT3_P12ihipStream_tbPNSt15iterator_traitsISE_E10value_typeEPNSK_ISF_E10value_typeEPSG_NS1_7vsmem_tEENKUlT_SE_SF_SG_E_clIS8_S8_S9_S9_EESD_ST_SE_SF_SG_EUlST_E1_NS1_11comp_targetILNS1_3genE5ELNS1_11target_archE942ELNS1_3gpuE9ELNS1_3repE0EEENS1_36merge_oddeven_config_static_selectorELNS0_4arch9wavefront6targetE0EEEvSF_
    .private_segment_fixed_size: 0
    .sgpr_count:     0
    .sgpr_spill_count: 0
    .symbol:         _ZN7rocprim17ROCPRIM_400000_NS6detail17trampoline_kernelINS0_14default_configENS1_38merge_sort_block_merge_config_selectorImNS0_10empty_typeEEEZZNS1_27merge_sort_block_merge_implIS3_PmPS5_jNS1_19radix_merge_compareILb1ELb0EmNS0_19identity_decomposerEEEEE10hipError_tT0_T1_T2_jT3_P12ihipStream_tbPNSt15iterator_traitsISE_E10value_typeEPNSK_ISF_E10value_typeEPSG_NS1_7vsmem_tEENKUlT_SE_SF_SG_E_clIS8_S8_S9_S9_EESD_ST_SE_SF_SG_EUlST_E1_NS1_11comp_targetILNS1_3genE5ELNS1_11target_archE942ELNS1_3gpuE9ELNS1_3repE0EEENS1_36merge_oddeven_config_static_selectorELNS0_4arch9wavefront6targetE0EEEvSF_.kd
    .uniform_work_group_size: 1
    .uses_dynamic_stack: false
    .vgpr_count:     0
    .vgpr_spill_count: 0
    .wavefront_size: 32
  - .args:
      - .offset:         0
        .size:           48
        .value_kind:     by_value
    .group_segment_fixed_size: 0
    .kernarg_segment_align: 8
    .kernarg_segment_size: 48
    .language:       OpenCL C
    .language_version:
      - 2
      - 0
    .max_flat_workgroup_size: 256
    .name:           _ZN7rocprim17ROCPRIM_400000_NS6detail17trampoline_kernelINS0_14default_configENS1_38merge_sort_block_merge_config_selectorImNS0_10empty_typeEEEZZNS1_27merge_sort_block_merge_implIS3_PmPS5_jNS1_19radix_merge_compareILb1ELb0EmNS0_19identity_decomposerEEEEE10hipError_tT0_T1_T2_jT3_P12ihipStream_tbPNSt15iterator_traitsISE_E10value_typeEPNSK_ISF_E10value_typeEPSG_NS1_7vsmem_tEENKUlT_SE_SF_SG_E_clIS8_S8_S9_S9_EESD_ST_SE_SF_SG_EUlST_E1_NS1_11comp_targetILNS1_3genE4ELNS1_11target_archE910ELNS1_3gpuE8ELNS1_3repE0EEENS1_36merge_oddeven_config_static_selectorELNS0_4arch9wavefront6targetE0EEEvSF_
    .private_segment_fixed_size: 0
    .sgpr_count:     0
    .sgpr_spill_count: 0
    .symbol:         _ZN7rocprim17ROCPRIM_400000_NS6detail17trampoline_kernelINS0_14default_configENS1_38merge_sort_block_merge_config_selectorImNS0_10empty_typeEEEZZNS1_27merge_sort_block_merge_implIS3_PmPS5_jNS1_19radix_merge_compareILb1ELb0EmNS0_19identity_decomposerEEEEE10hipError_tT0_T1_T2_jT3_P12ihipStream_tbPNSt15iterator_traitsISE_E10value_typeEPNSK_ISF_E10value_typeEPSG_NS1_7vsmem_tEENKUlT_SE_SF_SG_E_clIS8_S8_S9_S9_EESD_ST_SE_SF_SG_EUlST_E1_NS1_11comp_targetILNS1_3genE4ELNS1_11target_archE910ELNS1_3gpuE8ELNS1_3repE0EEENS1_36merge_oddeven_config_static_selectorELNS0_4arch9wavefront6targetE0EEEvSF_.kd
    .uniform_work_group_size: 1
    .uses_dynamic_stack: false
    .vgpr_count:     0
    .vgpr_spill_count: 0
    .wavefront_size: 32
  - .args:
      - .offset:         0
        .size:           48
        .value_kind:     by_value
    .group_segment_fixed_size: 0
    .kernarg_segment_align: 8
    .kernarg_segment_size: 48
    .language:       OpenCL C
    .language_version:
      - 2
      - 0
    .max_flat_workgroup_size: 256
    .name:           _ZN7rocprim17ROCPRIM_400000_NS6detail17trampoline_kernelINS0_14default_configENS1_38merge_sort_block_merge_config_selectorImNS0_10empty_typeEEEZZNS1_27merge_sort_block_merge_implIS3_PmPS5_jNS1_19radix_merge_compareILb1ELb0EmNS0_19identity_decomposerEEEEE10hipError_tT0_T1_T2_jT3_P12ihipStream_tbPNSt15iterator_traitsISE_E10value_typeEPNSK_ISF_E10value_typeEPSG_NS1_7vsmem_tEENKUlT_SE_SF_SG_E_clIS8_S8_S9_S9_EESD_ST_SE_SF_SG_EUlST_E1_NS1_11comp_targetILNS1_3genE3ELNS1_11target_archE908ELNS1_3gpuE7ELNS1_3repE0EEENS1_36merge_oddeven_config_static_selectorELNS0_4arch9wavefront6targetE0EEEvSF_
    .private_segment_fixed_size: 0
    .sgpr_count:     0
    .sgpr_spill_count: 0
    .symbol:         _ZN7rocprim17ROCPRIM_400000_NS6detail17trampoline_kernelINS0_14default_configENS1_38merge_sort_block_merge_config_selectorImNS0_10empty_typeEEEZZNS1_27merge_sort_block_merge_implIS3_PmPS5_jNS1_19radix_merge_compareILb1ELb0EmNS0_19identity_decomposerEEEEE10hipError_tT0_T1_T2_jT3_P12ihipStream_tbPNSt15iterator_traitsISE_E10value_typeEPNSK_ISF_E10value_typeEPSG_NS1_7vsmem_tEENKUlT_SE_SF_SG_E_clIS8_S8_S9_S9_EESD_ST_SE_SF_SG_EUlST_E1_NS1_11comp_targetILNS1_3genE3ELNS1_11target_archE908ELNS1_3gpuE7ELNS1_3repE0EEENS1_36merge_oddeven_config_static_selectorELNS0_4arch9wavefront6targetE0EEEvSF_.kd
    .uniform_work_group_size: 1
    .uses_dynamic_stack: false
    .vgpr_count:     0
    .vgpr_spill_count: 0
    .wavefront_size: 32
  - .args:
      - .offset:         0
        .size:           48
        .value_kind:     by_value
    .group_segment_fixed_size: 0
    .kernarg_segment_align: 8
    .kernarg_segment_size: 48
    .language:       OpenCL C
    .language_version:
      - 2
      - 0
    .max_flat_workgroup_size: 256
    .name:           _ZN7rocprim17ROCPRIM_400000_NS6detail17trampoline_kernelINS0_14default_configENS1_38merge_sort_block_merge_config_selectorImNS0_10empty_typeEEEZZNS1_27merge_sort_block_merge_implIS3_PmPS5_jNS1_19radix_merge_compareILb1ELb0EmNS0_19identity_decomposerEEEEE10hipError_tT0_T1_T2_jT3_P12ihipStream_tbPNSt15iterator_traitsISE_E10value_typeEPNSK_ISF_E10value_typeEPSG_NS1_7vsmem_tEENKUlT_SE_SF_SG_E_clIS8_S8_S9_S9_EESD_ST_SE_SF_SG_EUlST_E1_NS1_11comp_targetILNS1_3genE2ELNS1_11target_archE906ELNS1_3gpuE6ELNS1_3repE0EEENS1_36merge_oddeven_config_static_selectorELNS0_4arch9wavefront6targetE0EEEvSF_
    .private_segment_fixed_size: 0
    .sgpr_count:     0
    .sgpr_spill_count: 0
    .symbol:         _ZN7rocprim17ROCPRIM_400000_NS6detail17trampoline_kernelINS0_14default_configENS1_38merge_sort_block_merge_config_selectorImNS0_10empty_typeEEEZZNS1_27merge_sort_block_merge_implIS3_PmPS5_jNS1_19radix_merge_compareILb1ELb0EmNS0_19identity_decomposerEEEEE10hipError_tT0_T1_T2_jT3_P12ihipStream_tbPNSt15iterator_traitsISE_E10value_typeEPNSK_ISF_E10value_typeEPSG_NS1_7vsmem_tEENKUlT_SE_SF_SG_E_clIS8_S8_S9_S9_EESD_ST_SE_SF_SG_EUlST_E1_NS1_11comp_targetILNS1_3genE2ELNS1_11target_archE906ELNS1_3gpuE6ELNS1_3repE0EEENS1_36merge_oddeven_config_static_selectorELNS0_4arch9wavefront6targetE0EEEvSF_.kd
    .uniform_work_group_size: 1
    .uses_dynamic_stack: false
    .vgpr_count:     0
    .vgpr_spill_count: 0
    .wavefront_size: 32
  - .args:
      - .offset:         0
        .size:           48
        .value_kind:     by_value
    .group_segment_fixed_size: 0
    .kernarg_segment_align: 8
    .kernarg_segment_size: 48
    .language:       OpenCL C
    .language_version:
      - 2
      - 0
    .max_flat_workgroup_size: 256
    .name:           _ZN7rocprim17ROCPRIM_400000_NS6detail17trampoline_kernelINS0_14default_configENS1_38merge_sort_block_merge_config_selectorImNS0_10empty_typeEEEZZNS1_27merge_sort_block_merge_implIS3_PmPS5_jNS1_19radix_merge_compareILb1ELb0EmNS0_19identity_decomposerEEEEE10hipError_tT0_T1_T2_jT3_P12ihipStream_tbPNSt15iterator_traitsISE_E10value_typeEPNSK_ISF_E10value_typeEPSG_NS1_7vsmem_tEENKUlT_SE_SF_SG_E_clIS8_S8_S9_S9_EESD_ST_SE_SF_SG_EUlST_E1_NS1_11comp_targetILNS1_3genE9ELNS1_11target_archE1100ELNS1_3gpuE3ELNS1_3repE0EEENS1_36merge_oddeven_config_static_selectorELNS0_4arch9wavefront6targetE0EEEvSF_
    .private_segment_fixed_size: 0
    .sgpr_count:     0
    .sgpr_spill_count: 0
    .symbol:         _ZN7rocprim17ROCPRIM_400000_NS6detail17trampoline_kernelINS0_14default_configENS1_38merge_sort_block_merge_config_selectorImNS0_10empty_typeEEEZZNS1_27merge_sort_block_merge_implIS3_PmPS5_jNS1_19radix_merge_compareILb1ELb0EmNS0_19identity_decomposerEEEEE10hipError_tT0_T1_T2_jT3_P12ihipStream_tbPNSt15iterator_traitsISE_E10value_typeEPNSK_ISF_E10value_typeEPSG_NS1_7vsmem_tEENKUlT_SE_SF_SG_E_clIS8_S8_S9_S9_EESD_ST_SE_SF_SG_EUlST_E1_NS1_11comp_targetILNS1_3genE9ELNS1_11target_archE1100ELNS1_3gpuE3ELNS1_3repE0EEENS1_36merge_oddeven_config_static_selectorELNS0_4arch9wavefront6targetE0EEEvSF_.kd
    .uniform_work_group_size: 1
    .uses_dynamic_stack: false
    .vgpr_count:     0
    .vgpr_spill_count: 0
    .wavefront_size: 32
  - .args:
      - .offset:         0
        .size:           48
        .value_kind:     by_value
    .group_segment_fixed_size: 0
    .kernarg_segment_align: 8
    .kernarg_segment_size: 48
    .language:       OpenCL C
    .language_version:
      - 2
      - 0
    .max_flat_workgroup_size: 256
    .name:           _ZN7rocprim17ROCPRIM_400000_NS6detail17trampoline_kernelINS0_14default_configENS1_38merge_sort_block_merge_config_selectorImNS0_10empty_typeEEEZZNS1_27merge_sort_block_merge_implIS3_PmPS5_jNS1_19radix_merge_compareILb1ELb0EmNS0_19identity_decomposerEEEEE10hipError_tT0_T1_T2_jT3_P12ihipStream_tbPNSt15iterator_traitsISE_E10value_typeEPNSK_ISF_E10value_typeEPSG_NS1_7vsmem_tEENKUlT_SE_SF_SG_E_clIS8_S8_S9_S9_EESD_ST_SE_SF_SG_EUlST_E1_NS1_11comp_targetILNS1_3genE8ELNS1_11target_archE1030ELNS1_3gpuE2ELNS1_3repE0EEENS1_36merge_oddeven_config_static_selectorELNS0_4arch9wavefront6targetE0EEEvSF_
    .private_segment_fixed_size: 0
    .sgpr_count:     0
    .sgpr_spill_count: 0
    .symbol:         _ZN7rocprim17ROCPRIM_400000_NS6detail17trampoline_kernelINS0_14default_configENS1_38merge_sort_block_merge_config_selectorImNS0_10empty_typeEEEZZNS1_27merge_sort_block_merge_implIS3_PmPS5_jNS1_19radix_merge_compareILb1ELb0EmNS0_19identity_decomposerEEEEE10hipError_tT0_T1_T2_jT3_P12ihipStream_tbPNSt15iterator_traitsISE_E10value_typeEPNSK_ISF_E10value_typeEPSG_NS1_7vsmem_tEENKUlT_SE_SF_SG_E_clIS8_S8_S9_S9_EESD_ST_SE_SF_SG_EUlST_E1_NS1_11comp_targetILNS1_3genE8ELNS1_11target_archE1030ELNS1_3gpuE2ELNS1_3repE0EEENS1_36merge_oddeven_config_static_selectorELNS0_4arch9wavefront6targetE0EEEvSF_.kd
    .uniform_work_group_size: 1
    .uses_dynamic_stack: false
    .vgpr_count:     0
    .vgpr_spill_count: 0
    .wavefront_size: 32
  - .args:
      - .offset:         0
        .size:           40
        .value_kind:     by_value
      - .offset:         40
        .size:           4
        .value_kind:     hidden_block_count_x
      - .offset:         44
        .size:           4
        .value_kind:     hidden_block_count_y
      - .offset:         48
        .size:           4
        .value_kind:     hidden_block_count_z
      - .offset:         52
        .size:           2
        .value_kind:     hidden_group_size_x
      - .offset:         54
        .size:           2
        .value_kind:     hidden_group_size_y
      - .offset:         56
        .size:           2
        .value_kind:     hidden_group_size_z
      - .offset:         58
        .size:           2
        .value_kind:     hidden_remainder_x
      - .offset:         60
        .size:           2
        .value_kind:     hidden_remainder_y
      - .offset:         62
        .size:           2
        .value_kind:     hidden_remainder_z
      - .offset:         80
        .size:           8
        .value_kind:     hidden_global_offset_x
      - .offset:         88
        .size:           8
        .value_kind:     hidden_global_offset_y
      - .offset:         96
        .size:           8
        .value_kind:     hidden_global_offset_z
      - .offset:         104
        .size:           2
        .value_kind:     hidden_grid_dims
    .group_segment_fixed_size: 0
    .kernarg_segment_align: 8
    .kernarg_segment_size: 296
    .language:       OpenCL C
    .language_version:
      - 2
      - 0
    .max_flat_workgroup_size: 128
    .name:           _ZN7rocprim17ROCPRIM_400000_NS6detail17trampoline_kernelINS0_14default_configENS1_25transform_config_selectorImLb1EEEZNS1_14transform_implILb1ES3_S5_PmS7_NS0_8identityImEEEE10hipError_tT2_T3_mT4_P12ihipStream_tbEUlT_E_NS1_11comp_targetILNS1_3genE0ELNS1_11target_archE4294967295ELNS1_3gpuE0ELNS1_3repE0EEENS1_30default_config_static_selectorELNS0_4arch9wavefront6targetE0EEEvT1_
    .private_segment_fixed_size: 0
    .sgpr_count:     12
    .sgpr_spill_count: 0
    .symbol:         _ZN7rocprim17ROCPRIM_400000_NS6detail17trampoline_kernelINS0_14default_configENS1_25transform_config_selectorImLb1EEEZNS1_14transform_implILb1ES3_S5_PmS7_NS0_8identityImEEEE10hipError_tT2_T3_mT4_P12ihipStream_tbEUlT_E_NS1_11comp_targetILNS1_3genE0ELNS1_11target_archE4294967295ELNS1_3gpuE0ELNS1_3repE0EEENS1_30default_config_static_selectorELNS0_4arch9wavefront6targetE0EEEvT1_.kd
    .uniform_work_group_size: 1
    .uses_dynamic_stack: false
    .vgpr_count:     4
    .vgpr_spill_count: 0
    .wavefront_size: 32
  - .args:
      - .offset:         0
        .size:           40
        .value_kind:     by_value
    .group_segment_fixed_size: 0
    .kernarg_segment_align: 8
    .kernarg_segment_size: 40
    .language:       OpenCL C
    .language_version:
      - 2
      - 0
    .max_flat_workgroup_size: 1024
    .name:           _ZN7rocprim17ROCPRIM_400000_NS6detail17trampoline_kernelINS0_14default_configENS1_25transform_config_selectorImLb1EEEZNS1_14transform_implILb1ES3_S5_PmS7_NS0_8identityImEEEE10hipError_tT2_T3_mT4_P12ihipStream_tbEUlT_E_NS1_11comp_targetILNS1_3genE10ELNS1_11target_archE1201ELNS1_3gpuE5ELNS1_3repE0EEENS1_30default_config_static_selectorELNS0_4arch9wavefront6targetE0EEEvT1_
    .private_segment_fixed_size: 0
    .sgpr_count:     0
    .sgpr_spill_count: 0
    .symbol:         _ZN7rocprim17ROCPRIM_400000_NS6detail17trampoline_kernelINS0_14default_configENS1_25transform_config_selectorImLb1EEEZNS1_14transform_implILb1ES3_S5_PmS7_NS0_8identityImEEEE10hipError_tT2_T3_mT4_P12ihipStream_tbEUlT_E_NS1_11comp_targetILNS1_3genE10ELNS1_11target_archE1201ELNS1_3gpuE5ELNS1_3repE0EEENS1_30default_config_static_selectorELNS0_4arch9wavefront6targetE0EEEvT1_.kd
    .uniform_work_group_size: 1
    .uses_dynamic_stack: false
    .vgpr_count:     0
    .vgpr_spill_count: 0
    .wavefront_size: 32
  - .args:
      - .offset:         0
        .size:           40
        .value_kind:     by_value
    .group_segment_fixed_size: 0
    .kernarg_segment_align: 8
    .kernarg_segment_size: 40
    .language:       OpenCL C
    .language_version:
      - 2
      - 0
    .max_flat_workgroup_size: 512
    .name:           _ZN7rocprim17ROCPRIM_400000_NS6detail17trampoline_kernelINS0_14default_configENS1_25transform_config_selectorImLb1EEEZNS1_14transform_implILb1ES3_S5_PmS7_NS0_8identityImEEEE10hipError_tT2_T3_mT4_P12ihipStream_tbEUlT_E_NS1_11comp_targetILNS1_3genE5ELNS1_11target_archE942ELNS1_3gpuE9ELNS1_3repE0EEENS1_30default_config_static_selectorELNS0_4arch9wavefront6targetE0EEEvT1_
    .private_segment_fixed_size: 0
    .sgpr_count:     0
    .sgpr_spill_count: 0
    .symbol:         _ZN7rocprim17ROCPRIM_400000_NS6detail17trampoline_kernelINS0_14default_configENS1_25transform_config_selectorImLb1EEEZNS1_14transform_implILb1ES3_S5_PmS7_NS0_8identityImEEEE10hipError_tT2_T3_mT4_P12ihipStream_tbEUlT_E_NS1_11comp_targetILNS1_3genE5ELNS1_11target_archE942ELNS1_3gpuE9ELNS1_3repE0EEENS1_30default_config_static_selectorELNS0_4arch9wavefront6targetE0EEEvT1_.kd
    .uniform_work_group_size: 1
    .uses_dynamic_stack: false
    .vgpr_count:     0
    .vgpr_spill_count: 0
    .wavefront_size: 32
  - .args:
      - .offset:         0
        .size:           40
        .value_kind:     by_value
    .group_segment_fixed_size: 0
    .kernarg_segment_align: 8
    .kernarg_segment_size: 40
    .language:       OpenCL C
    .language_version:
      - 2
      - 0
    .max_flat_workgroup_size: 1024
    .name:           _ZN7rocprim17ROCPRIM_400000_NS6detail17trampoline_kernelINS0_14default_configENS1_25transform_config_selectorImLb1EEEZNS1_14transform_implILb1ES3_S5_PmS7_NS0_8identityImEEEE10hipError_tT2_T3_mT4_P12ihipStream_tbEUlT_E_NS1_11comp_targetILNS1_3genE4ELNS1_11target_archE910ELNS1_3gpuE8ELNS1_3repE0EEENS1_30default_config_static_selectorELNS0_4arch9wavefront6targetE0EEEvT1_
    .private_segment_fixed_size: 0
    .sgpr_count:     0
    .sgpr_spill_count: 0
    .symbol:         _ZN7rocprim17ROCPRIM_400000_NS6detail17trampoline_kernelINS0_14default_configENS1_25transform_config_selectorImLb1EEEZNS1_14transform_implILb1ES3_S5_PmS7_NS0_8identityImEEEE10hipError_tT2_T3_mT4_P12ihipStream_tbEUlT_E_NS1_11comp_targetILNS1_3genE4ELNS1_11target_archE910ELNS1_3gpuE8ELNS1_3repE0EEENS1_30default_config_static_selectorELNS0_4arch9wavefront6targetE0EEEvT1_.kd
    .uniform_work_group_size: 1
    .uses_dynamic_stack: false
    .vgpr_count:     0
    .vgpr_spill_count: 0
    .wavefront_size: 32
  - .args:
      - .offset:         0
        .size:           40
        .value_kind:     by_value
    .group_segment_fixed_size: 0
    .kernarg_segment_align: 8
    .kernarg_segment_size: 40
    .language:       OpenCL C
    .language_version:
      - 2
      - 0
    .max_flat_workgroup_size: 128
    .name:           _ZN7rocprim17ROCPRIM_400000_NS6detail17trampoline_kernelINS0_14default_configENS1_25transform_config_selectorImLb1EEEZNS1_14transform_implILb1ES3_S5_PmS7_NS0_8identityImEEEE10hipError_tT2_T3_mT4_P12ihipStream_tbEUlT_E_NS1_11comp_targetILNS1_3genE3ELNS1_11target_archE908ELNS1_3gpuE7ELNS1_3repE0EEENS1_30default_config_static_selectorELNS0_4arch9wavefront6targetE0EEEvT1_
    .private_segment_fixed_size: 0
    .sgpr_count:     0
    .sgpr_spill_count: 0
    .symbol:         _ZN7rocprim17ROCPRIM_400000_NS6detail17trampoline_kernelINS0_14default_configENS1_25transform_config_selectorImLb1EEEZNS1_14transform_implILb1ES3_S5_PmS7_NS0_8identityImEEEE10hipError_tT2_T3_mT4_P12ihipStream_tbEUlT_E_NS1_11comp_targetILNS1_3genE3ELNS1_11target_archE908ELNS1_3gpuE7ELNS1_3repE0EEENS1_30default_config_static_selectorELNS0_4arch9wavefront6targetE0EEEvT1_.kd
    .uniform_work_group_size: 1
    .uses_dynamic_stack: false
    .vgpr_count:     0
    .vgpr_spill_count: 0
    .wavefront_size: 32
  - .args:
      - .offset:         0
        .size:           40
        .value_kind:     by_value
    .group_segment_fixed_size: 0
    .kernarg_segment_align: 8
    .kernarg_segment_size: 40
    .language:       OpenCL C
    .language_version:
      - 2
      - 0
    .max_flat_workgroup_size: 512
    .name:           _ZN7rocprim17ROCPRIM_400000_NS6detail17trampoline_kernelINS0_14default_configENS1_25transform_config_selectorImLb1EEEZNS1_14transform_implILb1ES3_S5_PmS7_NS0_8identityImEEEE10hipError_tT2_T3_mT4_P12ihipStream_tbEUlT_E_NS1_11comp_targetILNS1_3genE2ELNS1_11target_archE906ELNS1_3gpuE6ELNS1_3repE0EEENS1_30default_config_static_selectorELNS0_4arch9wavefront6targetE0EEEvT1_
    .private_segment_fixed_size: 0
    .sgpr_count:     0
    .sgpr_spill_count: 0
    .symbol:         _ZN7rocprim17ROCPRIM_400000_NS6detail17trampoline_kernelINS0_14default_configENS1_25transform_config_selectorImLb1EEEZNS1_14transform_implILb1ES3_S5_PmS7_NS0_8identityImEEEE10hipError_tT2_T3_mT4_P12ihipStream_tbEUlT_E_NS1_11comp_targetILNS1_3genE2ELNS1_11target_archE906ELNS1_3gpuE6ELNS1_3repE0EEENS1_30default_config_static_selectorELNS0_4arch9wavefront6targetE0EEEvT1_.kd
    .uniform_work_group_size: 1
    .uses_dynamic_stack: false
    .vgpr_count:     0
    .vgpr_spill_count: 0
    .wavefront_size: 32
  - .args:
      - .offset:         0
        .size:           40
        .value_kind:     by_value
    .group_segment_fixed_size: 0
    .kernarg_segment_align: 8
    .kernarg_segment_size: 40
    .language:       OpenCL C
    .language_version:
      - 2
      - 0
    .max_flat_workgroup_size: 1024
    .name:           _ZN7rocprim17ROCPRIM_400000_NS6detail17trampoline_kernelINS0_14default_configENS1_25transform_config_selectorImLb1EEEZNS1_14transform_implILb1ES3_S5_PmS7_NS0_8identityImEEEE10hipError_tT2_T3_mT4_P12ihipStream_tbEUlT_E_NS1_11comp_targetILNS1_3genE9ELNS1_11target_archE1100ELNS1_3gpuE3ELNS1_3repE0EEENS1_30default_config_static_selectorELNS0_4arch9wavefront6targetE0EEEvT1_
    .private_segment_fixed_size: 0
    .sgpr_count:     0
    .sgpr_spill_count: 0
    .symbol:         _ZN7rocprim17ROCPRIM_400000_NS6detail17trampoline_kernelINS0_14default_configENS1_25transform_config_selectorImLb1EEEZNS1_14transform_implILb1ES3_S5_PmS7_NS0_8identityImEEEE10hipError_tT2_T3_mT4_P12ihipStream_tbEUlT_E_NS1_11comp_targetILNS1_3genE9ELNS1_11target_archE1100ELNS1_3gpuE3ELNS1_3repE0EEENS1_30default_config_static_selectorELNS0_4arch9wavefront6targetE0EEEvT1_.kd
    .uniform_work_group_size: 1
    .uses_dynamic_stack: false
    .vgpr_count:     0
    .vgpr_spill_count: 0
    .wavefront_size: 32
  - .args:
      - .offset:         0
        .size:           40
        .value_kind:     by_value
    .group_segment_fixed_size: 0
    .kernarg_segment_align: 8
    .kernarg_segment_size: 40
    .language:       OpenCL C
    .language_version:
      - 2
      - 0
    .max_flat_workgroup_size: 1024
    .name:           _ZN7rocprim17ROCPRIM_400000_NS6detail17trampoline_kernelINS0_14default_configENS1_25transform_config_selectorImLb1EEEZNS1_14transform_implILb1ES3_S5_PmS7_NS0_8identityImEEEE10hipError_tT2_T3_mT4_P12ihipStream_tbEUlT_E_NS1_11comp_targetILNS1_3genE8ELNS1_11target_archE1030ELNS1_3gpuE2ELNS1_3repE0EEENS1_30default_config_static_selectorELNS0_4arch9wavefront6targetE0EEEvT1_
    .private_segment_fixed_size: 0
    .sgpr_count:     0
    .sgpr_spill_count: 0
    .symbol:         _ZN7rocprim17ROCPRIM_400000_NS6detail17trampoline_kernelINS0_14default_configENS1_25transform_config_selectorImLb1EEEZNS1_14transform_implILb1ES3_S5_PmS7_NS0_8identityImEEEE10hipError_tT2_T3_mT4_P12ihipStream_tbEUlT_E_NS1_11comp_targetILNS1_3genE8ELNS1_11target_archE1030ELNS1_3gpuE2ELNS1_3repE0EEENS1_30default_config_static_selectorELNS0_4arch9wavefront6targetE0EEEvT1_.kd
    .uniform_work_group_size: 1
    .uses_dynamic_stack: false
    .vgpr_count:     0
    .vgpr_spill_count: 0
    .wavefront_size: 32
  - .args:
      - .offset:         0
        .size:           40
        .value_kind:     by_value
    .group_segment_fixed_size: 0
    .kernarg_segment_align: 8
    .kernarg_segment_size: 40
    .language:       OpenCL C
    .language_version:
      - 2
      - 0
    .max_flat_workgroup_size: 128
    .name:           _ZN7rocprim17ROCPRIM_400000_NS6detail17trampoline_kernelINS0_14default_configENS1_38merge_sort_block_merge_config_selectorImNS0_10empty_typeEEEZZNS1_27merge_sort_block_merge_implIS3_PmPS5_jNS1_19radix_merge_compareILb1ELb1EmNS0_19identity_decomposerEEEEE10hipError_tT0_T1_T2_jT3_P12ihipStream_tbPNSt15iterator_traitsISE_E10value_typeEPNSK_ISF_E10value_typeEPSG_NS1_7vsmem_tEENKUlT_SE_SF_SG_E_clIS8_S8_S9_S9_EESD_ST_SE_SF_SG_EUlST_E_NS1_11comp_targetILNS1_3genE0ELNS1_11target_archE4294967295ELNS1_3gpuE0ELNS1_3repE0EEENS1_48merge_mergepath_partition_config_static_selectorELNS0_4arch9wavefront6targetE0EEEvSF_
    .private_segment_fixed_size: 0
    .sgpr_count:     10
    .sgpr_spill_count: 0
    .symbol:         _ZN7rocprim17ROCPRIM_400000_NS6detail17trampoline_kernelINS0_14default_configENS1_38merge_sort_block_merge_config_selectorImNS0_10empty_typeEEEZZNS1_27merge_sort_block_merge_implIS3_PmPS5_jNS1_19radix_merge_compareILb1ELb1EmNS0_19identity_decomposerEEEEE10hipError_tT0_T1_T2_jT3_P12ihipStream_tbPNSt15iterator_traitsISE_E10value_typeEPNSK_ISF_E10value_typeEPSG_NS1_7vsmem_tEENKUlT_SE_SF_SG_E_clIS8_S8_S9_S9_EESD_ST_SE_SF_SG_EUlST_E_NS1_11comp_targetILNS1_3genE0ELNS1_11target_archE4294967295ELNS1_3gpuE0ELNS1_3repE0EEENS1_48merge_mergepath_partition_config_static_selectorELNS0_4arch9wavefront6targetE0EEEvSF_.kd
    .uniform_work_group_size: 1
    .uses_dynamic_stack: false
    .vgpr_count:     20
    .vgpr_spill_count: 0
    .wavefront_size: 32
  - .args:
      - .offset:         0
        .size:           40
        .value_kind:     by_value
    .group_segment_fixed_size: 0
    .kernarg_segment_align: 8
    .kernarg_segment_size: 40
    .language:       OpenCL C
    .language_version:
      - 2
      - 0
    .max_flat_workgroup_size: 128
    .name:           _ZN7rocprim17ROCPRIM_400000_NS6detail17trampoline_kernelINS0_14default_configENS1_38merge_sort_block_merge_config_selectorImNS0_10empty_typeEEEZZNS1_27merge_sort_block_merge_implIS3_PmPS5_jNS1_19radix_merge_compareILb1ELb1EmNS0_19identity_decomposerEEEEE10hipError_tT0_T1_T2_jT3_P12ihipStream_tbPNSt15iterator_traitsISE_E10value_typeEPNSK_ISF_E10value_typeEPSG_NS1_7vsmem_tEENKUlT_SE_SF_SG_E_clIS8_S8_S9_S9_EESD_ST_SE_SF_SG_EUlST_E_NS1_11comp_targetILNS1_3genE10ELNS1_11target_archE1201ELNS1_3gpuE5ELNS1_3repE0EEENS1_48merge_mergepath_partition_config_static_selectorELNS0_4arch9wavefront6targetE0EEEvSF_
    .private_segment_fixed_size: 0
    .sgpr_count:     0
    .sgpr_spill_count: 0
    .symbol:         _ZN7rocprim17ROCPRIM_400000_NS6detail17trampoline_kernelINS0_14default_configENS1_38merge_sort_block_merge_config_selectorImNS0_10empty_typeEEEZZNS1_27merge_sort_block_merge_implIS3_PmPS5_jNS1_19radix_merge_compareILb1ELb1EmNS0_19identity_decomposerEEEEE10hipError_tT0_T1_T2_jT3_P12ihipStream_tbPNSt15iterator_traitsISE_E10value_typeEPNSK_ISF_E10value_typeEPSG_NS1_7vsmem_tEENKUlT_SE_SF_SG_E_clIS8_S8_S9_S9_EESD_ST_SE_SF_SG_EUlST_E_NS1_11comp_targetILNS1_3genE10ELNS1_11target_archE1201ELNS1_3gpuE5ELNS1_3repE0EEENS1_48merge_mergepath_partition_config_static_selectorELNS0_4arch9wavefront6targetE0EEEvSF_.kd
    .uniform_work_group_size: 1
    .uses_dynamic_stack: false
    .vgpr_count:     0
    .vgpr_spill_count: 0
    .wavefront_size: 32
  - .args:
      - .offset:         0
        .size:           40
        .value_kind:     by_value
    .group_segment_fixed_size: 0
    .kernarg_segment_align: 8
    .kernarg_segment_size: 40
    .language:       OpenCL C
    .language_version:
      - 2
      - 0
    .max_flat_workgroup_size: 128
    .name:           _ZN7rocprim17ROCPRIM_400000_NS6detail17trampoline_kernelINS0_14default_configENS1_38merge_sort_block_merge_config_selectorImNS0_10empty_typeEEEZZNS1_27merge_sort_block_merge_implIS3_PmPS5_jNS1_19radix_merge_compareILb1ELb1EmNS0_19identity_decomposerEEEEE10hipError_tT0_T1_T2_jT3_P12ihipStream_tbPNSt15iterator_traitsISE_E10value_typeEPNSK_ISF_E10value_typeEPSG_NS1_7vsmem_tEENKUlT_SE_SF_SG_E_clIS8_S8_S9_S9_EESD_ST_SE_SF_SG_EUlST_E_NS1_11comp_targetILNS1_3genE5ELNS1_11target_archE942ELNS1_3gpuE9ELNS1_3repE0EEENS1_48merge_mergepath_partition_config_static_selectorELNS0_4arch9wavefront6targetE0EEEvSF_
    .private_segment_fixed_size: 0
    .sgpr_count:     0
    .sgpr_spill_count: 0
    .symbol:         _ZN7rocprim17ROCPRIM_400000_NS6detail17trampoline_kernelINS0_14default_configENS1_38merge_sort_block_merge_config_selectorImNS0_10empty_typeEEEZZNS1_27merge_sort_block_merge_implIS3_PmPS5_jNS1_19radix_merge_compareILb1ELb1EmNS0_19identity_decomposerEEEEE10hipError_tT0_T1_T2_jT3_P12ihipStream_tbPNSt15iterator_traitsISE_E10value_typeEPNSK_ISF_E10value_typeEPSG_NS1_7vsmem_tEENKUlT_SE_SF_SG_E_clIS8_S8_S9_S9_EESD_ST_SE_SF_SG_EUlST_E_NS1_11comp_targetILNS1_3genE5ELNS1_11target_archE942ELNS1_3gpuE9ELNS1_3repE0EEENS1_48merge_mergepath_partition_config_static_selectorELNS0_4arch9wavefront6targetE0EEEvSF_.kd
    .uniform_work_group_size: 1
    .uses_dynamic_stack: false
    .vgpr_count:     0
    .vgpr_spill_count: 0
    .wavefront_size: 32
  - .args:
      - .offset:         0
        .size:           40
        .value_kind:     by_value
    .group_segment_fixed_size: 0
    .kernarg_segment_align: 8
    .kernarg_segment_size: 40
    .language:       OpenCL C
    .language_version:
      - 2
      - 0
    .max_flat_workgroup_size: 128
    .name:           _ZN7rocprim17ROCPRIM_400000_NS6detail17trampoline_kernelINS0_14default_configENS1_38merge_sort_block_merge_config_selectorImNS0_10empty_typeEEEZZNS1_27merge_sort_block_merge_implIS3_PmPS5_jNS1_19radix_merge_compareILb1ELb1EmNS0_19identity_decomposerEEEEE10hipError_tT0_T1_T2_jT3_P12ihipStream_tbPNSt15iterator_traitsISE_E10value_typeEPNSK_ISF_E10value_typeEPSG_NS1_7vsmem_tEENKUlT_SE_SF_SG_E_clIS8_S8_S9_S9_EESD_ST_SE_SF_SG_EUlST_E_NS1_11comp_targetILNS1_3genE4ELNS1_11target_archE910ELNS1_3gpuE8ELNS1_3repE0EEENS1_48merge_mergepath_partition_config_static_selectorELNS0_4arch9wavefront6targetE0EEEvSF_
    .private_segment_fixed_size: 0
    .sgpr_count:     0
    .sgpr_spill_count: 0
    .symbol:         _ZN7rocprim17ROCPRIM_400000_NS6detail17trampoline_kernelINS0_14default_configENS1_38merge_sort_block_merge_config_selectorImNS0_10empty_typeEEEZZNS1_27merge_sort_block_merge_implIS3_PmPS5_jNS1_19radix_merge_compareILb1ELb1EmNS0_19identity_decomposerEEEEE10hipError_tT0_T1_T2_jT3_P12ihipStream_tbPNSt15iterator_traitsISE_E10value_typeEPNSK_ISF_E10value_typeEPSG_NS1_7vsmem_tEENKUlT_SE_SF_SG_E_clIS8_S8_S9_S9_EESD_ST_SE_SF_SG_EUlST_E_NS1_11comp_targetILNS1_3genE4ELNS1_11target_archE910ELNS1_3gpuE8ELNS1_3repE0EEENS1_48merge_mergepath_partition_config_static_selectorELNS0_4arch9wavefront6targetE0EEEvSF_.kd
    .uniform_work_group_size: 1
    .uses_dynamic_stack: false
    .vgpr_count:     0
    .vgpr_spill_count: 0
    .wavefront_size: 32
  - .args:
      - .offset:         0
        .size:           40
        .value_kind:     by_value
    .group_segment_fixed_size: 0
    .kernarg_segment_align: 8
    .kernarg_segment_size: 40
    .language:       OpenCL C
    .language_version:
      - 2
      - 0
    .max_flat_workgroup_size: 128
    .name:           _ZN7rocprim17ROCPRIM_400000_NS6detail17trampoline_kernelINS0_14default_configENS1_38merge_sort_block_merge_config_selectorImNS0_10empty_typeEEEZZNS1_27merge_sort_block_merge_implIS3_PmPS5_jNS1_19radix_merge_compareILb1ELb1EmNS0_19identity_decomposerEEEEE10hipError_tT0_T1_T2_jT3_P12ihipStream_tbPNSt15iterator_traitsISE_E10value_typeEPNSK_ISF_E10value_typeEPSG_NS1_7vsmem_tEENKUlT_SE_SF_SG_E_clIS8_S8_S9_S9_EESD_ST_SE_SF_SG_EUlST_E_NS1_11comp_targetILNS1_3genE3ELNS1_11target_archE908ELNS1_3gpuE7ELNS1_3repE0EEENS1_48merge_mergepath_partition_config_static_selectorELNS0_4arch9wavefront6targetE0EEEvSF_
    .private_segment_fixed_size: 0
    .sgpr_count:     0
    .sgpr_spill_count: 0
    .symbol:         _ZN7rocprim17ROCPRIM_400000_NS6detail17trampoline_kernelINS0_14default_configENS1_38merge_sort_block_merge_config_selectorImNS0_10empty_typeEEEZZNS1_27merge_sort_block_merge_implIS3_PmPS5_jNS1_19radix_merge_compareILb1ELb1EmNS0_19identity_decomposerEEEEE10hipError_tT0_T1_T2_jT3_P12ihipStream_tbPNSt15iterator_traitsISE_E10value_typeEPNSK_ISF_E10value_typeEPSG_NS1_7vsmem_tEENKUlT_SE_SF_SG_E_clIS8_S8_S9_S9_EESD_ST_SE_SF_SG_EUlST_E_NS1_11comp_targetILNS1_3genE3ELNS1_11target_archE908ELNS1_3gpuE7ELNS1_3repE0EEENS1_48merge_mergepath_partition_config_static_selectorELNS0_4arch9wavefront6targetE0EEEvSF_.kd
    .uniform_work_group_size: 1
    .uses_dynamic_stack: false
    .vgpr_count:     0
    .vgpr_spill_count: 0
    .wavefront_size: 32
  - .args:
      - .offset:         0
        .size:           40
        .value_kind:     by_value
    .group_segment_fixed_size: 0
    .kernarg_segment_align: 8
    .kernarg_segment_size: 40
    .language:       OpenCL C
    .language_version:
      - 2
      - 0
    .max_flat_workgroup_size: 128
    .name:           _ZN7rocprim17ROCPRIM_400000_NS6detail17trampoline_kernelINS0_14default_configENS1_38merge_sort_block_merge_config_selectorImNS0_10empty_typeEEEZZNS1_27merge_sort_block_merge_implIS3_PmPS5_jNS1_19radix_merge_compareILb1ELb1EmNS0_19identity_decomposerEEEEE10hipError_tT0_T1_T2_jT3_P12ihipStream_tbPNSt15iterator_traitsISE_E10value_typeEPNSK_ISF_E10value_typeEPSG_NS1_7vsmem_tEENKUlT_SE_SF_SG_E_clIS8_S8_S9_S9_EESD_ST_SE_SF_SG_EUlST_E_NS1_11comp_targetILNS1_3genE2ELNS1_11target_archE906ELNS1_3gpuE6ELNS1_3repE0EEENS1_48merge_mergepath_partition_config_static_selectorELNS0_4arch9wavefront6targetE0EEEvSF_
    .private_segment_fixed_size: 0
    .sgpr_count:     0
    .sgpr_spill_count: 0
    .symbol:         _ZN7rocprim17ROCPRIM_400000_NS6detail17trampoline_kernelINS0_14default_configENS1_38merge_sort_block_merge_config_selectorImNS0_10empty_typeEEEZZNS1_27merge_sort_block_merge_implIS3_PmPS5_jNS1_19radix_merge_compareILb1ELb1EmNS0_19identity_decomposerEEEEE10hipError_tT0_T1_T2_jT3_P12ihipStream_tbPNSt15iterator_traitsISE_E10value_typeEPNSK_ISF_E10value_typeEPSG_NS1_7vsmem_tEENKUlT_SE_SF_SG_E_clIS8_S8_S9_S9_EESD_ST_SE_SF_SG_EUlST_E_NS1_11comp_targetILNS1_3genE2ELNS1_11target_archE906ELNS1_3gpuE6ELNS1_3repE0EEENS1_48merge_mergepath_partition_config_static_selectorELNS0_4arch9wavefront6targetE0EEEvSF_.kd
    .uniform_work_group_size: 1
    .uses_dynamic_stack: false
    .vgpr_count:     0
    .vgpr_spill_count: 0
    .wavefront_size: 32
  - .args:
      - .offset:         0
        .size:           40
        .value_kind:     by_value
    .group_segment_fixed_size: 0
    .kernarg_segment_align: 8
    .kernarg_segment_size: 40
    .language:       OpenCL C
    .language_version:
      - 2
      - 0
    .max_flat_workgroup_size: 128
    .name:           _ZN7rocprim17ROCPRIM_400000_NS6detail17trampoline_kernelINS0_14default_configENS1_38merge_sort_block_merge_config_selectorImNS0_10empty_typeEEEZZNS1_27merge_sort_block_merge_implIS3_PmPS5_jNS1_19radix_merge_compareILb1ELb1EmNS0_19identity_decomposerEEEEE10hipError_tT0_T1_T2_jT3_P12ihipStream_tbPNSt15iterator_traitsISE_E10value_typeEPNSK_ISF_E10value_typeEPSG_NS1_7vsmem_tEENKUlT_SE_SF_SG_E_clIS8_S8_S9_S9_EESD_ST_SE_SF_SG_EUlST_E_NS1_11comp_targetILNS1_3genE9ELNS1_11target_archE1100ELNS1_3gpuE3ELNS1_3repE0EEENS1_48merge_mergepath_partition_config_static_selectorELNS0_4arch9wavefront6targetE0EEEvSF_
    .private_segment_fixed_size: 0
    .sgpr_count:     0
    .sgpr_spill_count: 0
    .symbol:         _ZN7rocprim17ROCPRIM_400000_NS6detail17trampoline_kernelINS0_14default_configENS1_38merge_sort_block_merge_config_selectorImNS0_10empty_typeEEEZZNS1_27merge_sort_block_merge_implIS3_PmPS5_jNS1_19radix_merge_compareILb1ELb1EmNS0_19identity_decomposerEEEEE10hipError_tT0_T1_T2_jT3_P12ihipStream_tbPNSt15iterator_traitsISE_E10value_typeEPNSK_ISF_E10value_typeEPSG_NS1_7vsmem_tEENKUlT_SE_SF_SG_E_clIS8_S8_S9_S9_EESD_ST_SE_SF_SG_EUlST_E_NS1_11comp_targetILNS1_3genE9ELNS1_11target_archE1100ELNS1_3gpuE3ELNS1_3repE0EEENS1_48merge_mergepath_partition_config_static_selectorELNS0_4arch9wavefront6targetE0EEEvSF_.kd
    .uniform_work_group_size: 1
    .uses_dynamic_stack: false
    .vgpr_count:     0
    .vgpr_spill_count: 0
    .wavefront_size: 32
  - .args:
      - .offset:         0
        .size:           40
        .value_kind:     by_value
    .group_segment_fixed_size: 0
    .kernarg_segment_align: 8
    .kernarg_segment_size: 40
    .language:       OpenCL C
    .language_version:
      - 2
      - 0
    .max_flat_workgroup_size: 128
    .name:           _ZN7rocprim17ROCPRIM_400000_NS6detail17trampoline_kernelINS0_14default_configENS1_38merge_sort_block_merge_config_selectorImNS0_10empty_typeEEEZZNS1_27merge_sort_block_merge_implIS3_PmPS5_jNS1_19radix_merge_compareILb1ELb1EmNS0_19identity_decomposerEEEEE10hipError_tT0_T1_T2_jT3_P12ihipStream_tbPNSt15iterator_traitsISE_E10value_typeEPNSK_ISF_E10value_typeEPSG_NS1_7vsmem_tEENKUlT_SE_SF_SG_E_clIS8_S8_S9_S9_EESD_ST_SE_SF_SG_EUlST_E_NS1_11comp_targetILNS1_3genE8ELNS1_11target_archE1030ELNS1_3gpuE2ELNS1_3repE0EEENS1_48merge_mergepath_partition_config_static_selectorELNS0_4arch9wavefront6targetE0EEEvSF_
    .private_segment_fixed_size: 0
    .sgpr_count:     0
    .sgpr_spill_count: 0
    .symbol:         _ZN7rocprim17ROCPRIM_400000_NS6detail17trampoline_kernelINS0_14default_configENS1_38merge_sort_block_merge_config_selectorImNS0_10empty_typeEEEZZNS1_27merge_sort_block_merge_implIS3_PmPS5_jNS1_19radix_merge_compareILb1ELb1EmNS0_19identity_decomposerEEEEE10hipError_tT0_T1_T2_jT3_P12ihipStream_tbPNSt15iterator_traitsISE_E10value_typeEPNSK_ISF_E10value_typeEPSG_NS1_7vsmem_tEENKUlT_SE_SF_SG_E_clIS8_S8_S9_S9_EESD_ST_SE_SF_SG_EUlST_E_NS1_11comp_targetILNS1_3genE8ELNS1_11target_archE1030ELNS1_3gpuE2ELNS1_3repE0EEENS1_48merge_mergepath_partition_config_static_selectorELNS0_4arch9wavefront6targetE0EEEvSF_.kd
    .uniform_work_group_size: 1
    .uses_dynamic_stack: false
    .vgpr_count:     0
    .vgpr_spill_count: 0
    .wavefront_size: 32
  - .args:
      - .offset:         0
        .size:           72
        .value_kind:     by_value
      - .offset:         72
        .size:           4
        .value_kind:     hidden_block_count_x
      - .offset:         76
        .size:           4
        .value_kind:     hidden_block_count_y
      - .offset:         80
        .size:           4
        .value_kind:     hidden_block_count_z
      - .offset:         84
        .size:           2
        .value_kind:     hidden_group_size_x
      - .offset:         86
        .size:           2
        .value_kind:     hidden_group_size_y
      - .offset:         88
        .size:           2
        .value_kind:     hidden_group_size_z
      - .offset:         90
        .size:           2
        .value_kind:     hidden_remainder_x
      - .offset:         92
        .size:           2
        .value_kind:     hidden_remainder_y
      - .offset:         94
        .size:           2
        .value_kind:     hidden_remainder_z
      - .offset:         112
        .size:           8
        .value_kind:     hidden_global_offset_x
      - .offset:         120
        .size:           8
        .value_kind:     hidden_global_offset_y
      - .offset:         128
        .size:           8
        .value_kind:     hidden_global_offset_z
      - .offset:         136
        .size:           2
        .value_kind:     hidden_grid_dims
    .group_segment_fixed_size: 8448
    .kernarg_segment_align: 8
    .kernarg_segment_size: 328
    .language:       OpenCL C
    .language_version:
      - 2
      - 0
    .max_flat_workgroup_size: 128
    .name:           _ZN7rocprim17ROCPRIM_400000_NS6detail17trampoline_kernelINS0_14default_configENS1_38merge_sort_block_merge_config_selectorImNS0_10empty_typeEEEZZNS1_27merge_sort_block_merge_implIS3_PmPS5_jNS1_19radix_merge_compareILb1ELb1EmNS0_19identity_decomposerEEEEE10hipError_tT0_T1_T2_jT3_P12ihipStream_tbPNSt15iterator_traitsISE_E10value_typeEPNSK_ISF_E10value_typeEPSG_NS1_7vsmem_tEENKUlT_SE_SF_SG_E_clIS8_S8_S9_S9_EESD_ST_SE_SF_SG_EUlST_E0_NS1_11comp_targetILNS1_3genE0ELNS1_11target_archE4294967295ELNS1_3gpuE0ELNS1_3repE0EEENS1_38merge_mergepath_config_static_selectorELNS0_4arch9wavefront6targetE0EEEvSF_
    .private_segment_fixed_size: 0
    .sgpr_count:     25
    .sgpr_spill_count: 0
    .symbol:         _ZN7rocprim17ROCPRIM_400000_NS6detail17trampoline_kernelINS0_14default_configENS1_38merge_sort_block_merge_config_selectorImNS0_10empty_typeEEEZZNS1_27merge_sort_block_merge_implIS3_PmPS5_jNS1_19radix_merge_compareILb1ELb1EmNS0_19identity_decomposerEEEEE10hipError_tT0_T1_T2_jT3_P12ihipStream_tbPNSt15iterator_traitsISE_E10value_typeEPNSK_ISF_E10value_typeEPSG_NS1_7vsmem_tEENKUlT_SE_SF_SG_E_clIS8_S8_S9_S9_EESD_ST_SE_SF_SG_EUlST_E0_NS1_11comp_targetILNS1_3genE0ELNS1_11target_archE4294967295ELNS1_3gpuE0ELNS1_3repE0EEENS1_38merge_mergepath_config_static_selectorELNS0_4arch9wavefront6targetE0EEEvSF_.kd
    .uniform_work_group_size: 1
    .uses_dynamic_stack: false
    .vgpr_count:     38
    .vgpr_spill_count: 0
    .wavefront_size: 32
  - .args:
      - .offset:         0
        .size:           72
        .value_kind:     by_value
    .group_segment_fixed_size: 0
    .kernarg_segment_align: 8
    .kernarg_segment_size: 72
    .language:       OpenCL C
    .language_version:
      - 2
      - 0
    .max_flat_workgroup_size: 512
    .name:           _ZN7rocprim17ROCPRIM_400000_NS6detail17trampoline_kernelINS0_14default_configENS1_38merge_sort_block_merge_config_selectorImNS0_10empty_typeEEEZZNS1_27merge_sort_block_merge_implIS3_PmPS5_jNS1_19radix_merge_compareILb1ELb1EmNS0_19identity_decomposerEEEEE10hipError_tT0_T1_T2_jT3_P12ihipStream_tbPNSt15iterator_traitsISE_E10value_typeEPNSK_ISF_E10value_typeEPSG_NS1_7vsmem_tEENKUlT_SE_SF_SG_E_clIS8_S8_S9_S9_EESD_ST_SE_SF_SG_EUlST_E0_NS1_11comp_targetILNS1_3genE10ELNS1_11target_archE1201ELNS1_3gpuE5ELNS1_3repE0EEENS1_38merge_mergepath_config_static_selectorELNS0_4arch9wavefront6targetE0EEEvSF_
    .private_segment_fixed_size: 0
    .sgpr_count:     0
    .sgpr_spill_count: 0
    .symbol:         _ZN7rocprim17ROCPRIM_400000_NS6detail17trampoline_kernelINS0_14default_configENS1_38merge_sort_block_merge_config_selectorImNS0_10empty_typeEEEZZNS1_27merge_sort_block_merge_implIS3_PmPS5_jNS1_19radix_merge_compareILb1ELb1EmNS0_19identity_decomposerEEEEE10hipError_tT0_T1_T2_jT3_P12ihipStream_tbPNSt15iterator_traitsISE_E10value_typeEPNSK_ISF_E10value_typeEPSG_NS1_7vsmem_tEENKUlT_SE_SF_SG_E_clIS8_S8_S9_S9_EESD_ST_SE_SF_SG_EUlST_E0_NS1_11comp_targetILNS1_3genE10ELNS1_11target_archE1201ELNS1_3gpuE5ELNS1_3repE0EEENS1_38merge_mergepath_config_static_selectorELNS0_4arch9wavefront6targetE0EEEvSF_.kd
    .uniform_work_group_size: 1
    .uses_dynamic_stack: false
    .vgpr_count:     0
    .vgpr_spill_count: 0
    .wavefront_size: 32
  - .args:
      - .offset:         0
        .size:           72
        .value_kind:     by_value
    .group_segment_fixed_size: 0
    .kernarg_segment_align: 8
    .kernarg_segment_size: 72
    .language:       OpenCL C
    .language_version:
      - 2
      - 0
    .max_flat_workgroup_size: 128
    .name:           _ZN7rocprim17ROCPRIM_400000_NS6detail17trampoline_kernelINS0_14default_configENS1_38merge_sort_block_merge_config_selectorImNS0_10empty_typeEEEZZNS1_27merge_sort_block_merge_implIS3_PmPS5_jNS1_19radix_merge_compareILb1ELb1EmNS0_19identity_decomposerEEEEE10hipError_tT0_T1_T2_jT3_P12ihipStream_tbPNSt15iterator_traitsISE_E10value_typeEPNSK_ISF_E10value_typeEPSG_NS1_7vsmem_tEENKUlT_SE_SF_SG_E_clIS8_S8_S9_S9_EESD_ST_SE_SF_SG_EUlST_E0_NS1_11comp_targetILNS1_3genE5ELNS1_11target_archE942ELNS1_3gpuE9ELNS1_3repE0EEENS1_38merge_mergepath_config_static_selectorELNS0_4arch9wavefront6targetE0EEEvSF_
    .private_segment_fixed_size: 0
    .sgpr_count:     0
    .sgpr_spill_count: 0
    .symbol:         _ZN7rocprim17ROCPRIM_400000_NS6detail17trampoline_kernelINS0_14default_configENS1_38merge_sort_block_merge_config_selectorImNS0_10empty_typeEEEZZNS1_27merge_sort_block_merge_implIS3_PmPS5_jNS1_19radix_merge_compareILb1ELb1EmNS0_19identity_decomposerEEEEE10hipError_tT0_T1_T2_jT3_P12ihipStream_tbPNSt15iterator_traitsISE_E10value_typeEPNSK_ISF_E10value_typeEPSG_NS1_7vsmem_tEENKUlT_SE_SF_SG_E_clIS8_S8_S9_S9_EESD_ST_SE_SF_SG_EUlST_E0_NS1_11comp_targetILNS1_3genE5ELNS1_11target_archE942ELNS1_3gpuE9ELNS1_3repE0EEENS1_38merge_mergepath_config_static_selectorELNS0_4arch9wavefront6targetE0EEEvSF_.kd
    .uniform_work_group_size: 1
    .uses_dynamic_stack: false
    .vgpr_count:     0
    .vgpr_spill_count: 0
    .wavefront_size: 32
  - .args:
      - .offset:         0
        .size:           72
        .value_kind:     by_value
    .group_segment_fixed_size: 0
    .kernarg_segment_align: 8
    .kernarg_segment_size: 72
    .language:       OpenCL C
    .language_version:
      - 2
      - 0
    .max_flat_workgroup_size: 256
    .name:           _ZN7rocprim17ROCPRIM_400000_NS6detail17trampoline_kernelINS0_14default_configENS1_38merge_sort_block_merge_config_selectorImNS0_10empty_typeEEEZZNS1_27merge_sort_block_merge_implIS3_PmPS5_jNS1_19radix_merge_compareILb1ELb1EmNS0_19identity_decomposerEEEEE10hipError_tT0_T1_T2_jT3_P12ihipStream_tbPNSt15iterator_traitsISE_E10value_typeEPNSK_ISF_E10value_typeEPSG_NS1_7vsmem_tEENKUlT_SE_SF_SG_E_clIS8_S8_S9_S9_EESD_ST_SE_SF_SG_EUlST_E0_NS1_11comp_targetILNS1_3genE4ELNS1_11target_archE910ELNS1_3gpuE8ELNS1_3repE0EEENS1_38merge_mergepath_config_static_selectorELNS0_4arch9wavefront6targetE0EEEvSF_
    .private_segment_fixed_size: 0
    .sgpr_count:     0
    .sgpr_spill_count: 0
    .symbol:         _ZN7rocprim17ROCPRIM_400000_NS6detail17trampoline_kernelINS0_14default_configENS1_38merge_sort_block_merge_config_selectorImNS0_10empty_typeEEEZZNS1_27merge_sort_block_merge_implIS3_PmPS5_jNS1_19radix_merge_compareILb1ELb1EmNS0_19identity_decomposerEEEEE10hipError_tT0_T1_T2_jT3_P12ihipStream_tbPNSt15iterator_traitsISE_E10value_typeEPNSK_ISF_E10value_typeEPSG_NS1_7vsmem_tEENKUlT_SE_SF_SG_E_clIS8_S8_S9_S9_EESD_ST_SE_SF_SG_EUlST_E0_NS1_11comp_targetILNS1_3genE4ELNS1_11target_archE910ELNS1_3gpuE8ELNS1_3repE0EEENS1_38merge_mergepath_config_static_selectorELNS0_4arch9wavefront6targetE0EEEvSF_.kd
    .uniform_work_group_size: 1
    .uses_dynamic_stack: false
    .vgpr_count:     0
    .vgpr_spill_count: 0
    .wavefront_size: 32
  - .args:
      - .offset:         0
        .size:           72
        .value_kind:     by_value
    .group_segment_fixed_size: 0
    .kernarg_segment_align: 8
    .kernarg_segment_size: 72
    .language:       OpenCL C
    .language_version:
      - 2
      - 0
    .max_flat_workgroup_size: 128
    .name:           _ZN7rocprim17ROCPRIM_400000_NS6detail17trampoline_kernelINS0_14default_configENS1_38merge_sort_block_merge_config_selectorImNS0_10empty_typeEEEZZNS1_27merge_sort_block_merge_implIS3_PmPS5_jNS1_19radix_merge_compareILb1ELb1EmNS0_19identity_decomposerEEEEE10hipError_tT0_T1_T2_jT3_P12ihipStream_tbPNSt15iterator_traitsISE_E10value_typeEPNSK_ISF_E10value_typeEPSG_NS1_7vsmem_tEENKUlT_SE_SF_SG_E_clIS8_S8_S9_S9_EESD_ST_SE_SF_SG_EUlST_E0_NS1_11comp_targetILNS1_3genE3ELNS1_11target_archE908ELNS1_3gpuE7ELNS1_3repE0EEENS1_38merge_mergepath_config_static_selectorELNS0_4arch9wavefront6targetE0EEEvSF_
    .private_segment_fixed_size: 0
    .sgpr_count:     0
    .sgpr_spill_count: 0
    .symbol:         _ZN7rocprim17ROCPRIM_400000_NS6detail17trampoline_kernelINS0_14default_configENS1_38merge_sort_block_merge_config_selectorImNS0_10empty_typeEEEZZNS1_27merge_sort_block_merge_implIS3_PmPS5_jNS1_19radix_merge_compareILb1ELb1EmNS0_19identity_decomposerEEEEE10hipError_tT0_T1_T2_jT3_P12ihipStream_tbPNSt15iterator_traitsISE_E10value_typeEPNSK_ISF_E10value_typeEPSG_NS1_7vsmem_tEENKUlT_SE_SF_SG_E_clIS8_S8_S9_S9_EESD_ST_SE_SF_SG_EUlST_E0_NS1_11comp_targetILNS1_3genE3ELNS1_11target_archE908ELNS1_3gpuE7ELNS1_3repE0EEENS1_38merge_mergepath_config_static_selectorELNS0_4arch9wavefront6targetE0EEEvSF_.kd
    .uniform_work_group_size: 1
    .uses_dynamic_stack: false
    .vgpr_count:     0
    .vgpr_spill_count: 0
    .wavefront_size: 32
  - .args:
      - .offset:         0
        .size:           72
        .value_kind:     by_value
    .group_segment_fixed_size: 0
    .kernarg_segment_align: 8
    .kernarg_segment_size: 72
    .language:       OpenCL C
    .language_version:
      - 2
      - 0
    .max_flat_workgroup_size: 256
    .name:           _ZN7rocprim17ROCPRIM_400000_NS6detail17trampoline_kernelINS0_14default_configENS1_38merge_sort_block_merge_config_selectorImNS0_10empty_typeEEEZZNS1_27merge_sort_block_merge_implIS3_PmPS5_jNS1_19radix_merge_compareILb1ELb1EmNS0_19identity_decomposerEEEEE10hipError_tT0_T1_T2_jT3_P12ihipStream_tbPNSt15iterator_traitsISE_E10value_typeEPNSK_ISF_E10value_typeEPSG_NS1_7vsmem_tEENKUlT_SE_SF_SG_E_clIS8_S8_S9_S9_EESD_ST_SE_SF_SG_EUlST_E0_NS1_11comp_targetILNS1_3genE2ELNS1_11target_archE906ELNS1_3gpuE6ELNS1_3repE0EEENS1_38merge_mergepath_config_static_selectorELNS0_4arch9wavefront6targetE0EEEvSF_
    .private_segment_fixed_size: 0
    .sgpr_count:     0
    .sgpr_spill_count: 0
    .symbol:         _ZN7rocprim17ROCPRIM_400000_NS6detail17trampoline_kernelINS0_14default_configENS1_38merge_sort_block_merge_config_selectorImNS0_10empty_typeEEEZZNS1_27merge_sort_block_merge_implIS3_PmPS5_jNS1_19radix_merge_compareILb1ELb1EmNS0_19identity_decomposerEEEEE10hipError_tT0_T1_T2_jT3_P12ihipStream_tbPNSt15iterator_traitsISE_E10value_typeEPNSK_ISF_E10value_typeEPSG_NS1_7vsmem_tEENKUlT_SE_SF_SG_E_clIS8_S8_S9_S9_EESD_ST_SE_SF_SG_EUlST_E0_NS1_11comp_targetILNS1_3genE2ELNS1_11target_archE906ELNS1_3gpuE6ELNS1_3repE0EEENS1_38merge_mergepath_config_static_selectorELNS0_4arch9wavefront6targetE0EEEvSF_.kd
    .uniform_work_group_size: 1
    .uses_dynamic_stack: false
    .vgpr_count:     0
    .vgpr_spill_count: 0
    .wavefront_size: 32
  - .args:
      - .offset:         0
        .size:           72
        .value_kind:     by_value
    .group_segment_fixed_size: 0
    .kernarg_segment_align: 8
    .kernarg_segment_size: 72
    .language:       OpenCL C
    .language_version:
      - 2
      - 0
    .max_flat_workgroup_size: 512
    .name:           _ZN7rocprim17ROCPRIM_400000_NS6detail17trampoline_kernelINS0_14default_configENS1_38merge_sort_block_merge_config_selectorImNS0_10empty_typeEEEZZNS1_27merge_sort_block_merge_implIS3_PmPS5_jNS1_19radix_merge_compareILb1ELb1EmNS0_19identity_decomposerEEEEE10hipError_tT0_T1_T2_jT3_P12ihipStream_tbPNSt15iterator_traitsISE_E10value_typeEPNSK_ISF_E10value_typeEPSG_NS1_7vsmem_tEENKUlT_SE_SF_SG_E_clIS8_S8_S9_S9_EESD_ST_SE_SF_SG_EUlST_E0_NS1_11comp_targetILNS1_3genE9ELNS1_11target_archE1100ELNS1_3gpuE3ELNS1_3repE0EEENS1_38merge_mergepath_config_static_selectorELNS0_4arch9wavefront6targetE0EEEvSF_
    .private_segment_fixed_size: 0
    .sgpr_count:     0
    .sgpr_spill_count: 0
    .symbol:         _ZN7rocprim17ROCPRIM_400000_NS6detail17trampoline_kernelINS0_14default_configENS1_38merge_sort_block_merge_config_selectorImNS0_10empty_typeEEEZZNS1_27merge_sort_block_merge_implIS3_PmPS5_jNS1_19radix_merge_compareILb1ELb1EmNS0_19identity_decomposerEEEEE10hipError_tT0_T1_T2_jT3_P12ihipStream_tbPNSt15iterator_traitsISE_E10value_typeEPNSK_ISF_E10value_typeEPSG_NS1_7vsmem_tEENKUlT_SE_SF_SG_E_clIS8_S8_S9_S9_EESD_ST_SE_SF_SG_EUlST_E0_NS1_11comp_targetILNS1_3genE9ELNS1_11target_archE1100ELNS1_3gpuE3ELNS1_3repE0EEENS1_38merge_mergepath_config_static_selectorELNS0_4arch9wavefront6targetE0EEEvSF_.kd
    .uniform_work_group_size: 1
    .uses_dynamic_stack: false
    .vgpr_count:     0
    .vgpr_spill_count: 0
    .wavefront_size: 32
  - .args:
      - .offset:         0
        .size:           72
        .value_kind:     by_value
    .group_segment_fixed_size: 0
    .kernarg_segment_align: 8
    .kernarg_segment_size: 72
    .language:       OpenCL C
    .language_version:
      - 2
      - 0
    .max_flat_workgroup_size: 1024
    .name:           _ZN7rocprim17ROCPRIM_400000_NS6detail17trampoline_kernelINS0_14default_configENS1_38merge_sort_block_merge_config_selectorImNS0_10empty_typeEEEZZNS1_27merge_sort_block_merge_implIS3_PmPS5_jNS1_19radix_merge_compareILb1ELb1EmNS0_19identity_decomposerEEEEE10hipError_tT0_T1_T2_jT3_P12ihipStream_tbPNSt15iterator_traitsISE_E10value_typeEPNSK_ISF_E10value_typeEPSG_NS1_7vsmem_tEENKUlT_SE_SF_SG_E_clIS8_S8_S9_S9_EESD_ST_SE_SF_SG_EUlST_E0_NS1_11comp_targetILNS1_3genE8ELNS1_11target_archE1030ELNS1_3gpuE2ELNS1_3repE0EEENS1_38merge_mergepath_config_static_selectorELNS0_4arch9wavefront6targetE0EEEvSF_
    .private_segment_fixed_size: 0
    .sgpr_count:     0
    .sgpr_spill_count: 0
    .symbol:         _ZN7rocprim17ROCPRIM_400000_NS6detail17trampoline_kernelINS0_14default_configENS1_38merge_sort_block_merge_config_selectorImNS0_10empty_typeEEEZZNS1_27merge_sort_block_merge_implIS3_PmPS5_jNS1_19radix_merge_compareILb1ELb1EmNS0_19identity_decomposerEEEEE10hipError_tT0_T1_T2_jT3_P12ihipStream_tbPNSt15iterator_traitsISE_E10value_typeEPNSK_ISF_E10value_typeEPSG_NS1_7vsmem_tEENKUlT_SE_SF_SG_E_clIS8_S8_S9_S9_EESD_ST_SE_SF_SG_EUlST_E0_NS1_11comp_targetILNS1_3genE8ELNS1_11target_archE1030ELNS1_3gpuE2ELNS1_3repE0EEENS1_38merge_mergepath_config_static_selectorELNS0_4arch9wavefront6targetE0EEEvSF_.kd
    .uniform_work_group_size: 1
    .uses_dynamic_stack: false
    .vgpr_count:     0
    .vgpr_spill_count: 0
    .wavefront_size: 32
  - .args:
      - .offset:         0
        .size:           48
        .value_kind:     by_value
    .group_segment_fixed_size: 0
    .kernarg_segment_align: 8
    .kernarg_segment_size: 48
    .language:       OpenCL C
    .language_version:
      - 2
      - 0
    .max_flat_workgroup_size: 256
    .name:           _ZN7rocprim17ROCPRIM_400000_NS6detail17trampoline_kernelINS0_14default_configENS1_38merge_sort_block_merge_config_selectorImNS0_10empty_typeEEEZZNS1_27merge_sort_block_merge_implIS3_PmPS5_jNS1_19radix_merge_compareILb1ELb1EmNS0_19identity_decomposerEEEEE10hipError_tT0_T1_T2_jT3_P12ihipStream_tbPNSt15iterator_traitsISE_E10value_typeEPNSK_ISF_E10value_typeEPSG_NS1_7vsmem_tEENKUlT_SE_SF_SG_E_clIS8_S8_S9_S9_EESD_ST_SE_SF_SG_EUlST_E1_NS1_11comp_targetILNS1_3genE0ELNS1_11target_archE4294967295ELNS1_3gpuE0ELNS1_3repE0EEENS1_36merge_oddeven_config_static_selectorELNS0_4arch9wavefront6targetE0EEEvSF_
    .private_segment_fixed_size: 0
    .sgpr_count:     20
    .sgpr_spill_count: 0
    .symbol:         _ZN7rocprim17ROCPRIM_400000_NS6detail17trampoline_kernelINS0_14default_configENS1_38merge_sort_block_merge_config_selectorImNS0_10empty_typeEEEZZNS1_27merge_sort_block_merge_implIS3_PmPS5_jNS1_19radix_merge_compareILb1ELb1EmNS0_19identity_decomposerEEEEE10hipError_tT0_T1_T2_jT3_P12ihipStream_tbPNSt15iterator_traitsISE_E10value_typeEPNSK_ISF_E10value_typeEPSG_NS1_7vsmem_tEENKUlT_SE_SF_SG_E_clIS8_S8_S9_S9_EESD_ST_SE_SF_SG_EUlST_E1_NS1_11comp_targetILNS1_3genE0ELNS1_11target_archE4294967295ELNS1_3gpuE0ELNS1_3repE0EEENS1_36merge_oddeven_config_static_selectorELNS0_4arch9wavefront6targetE0EEEvSF_.kd
    .uniform_work_group_size: 1
    .uses_dynamic_stack: false
    .vgpr_count:     11
    .vgpr_spill_count: 0
    .wavefront_size: 32
  - .args:
      - .offset:         0
        .size:           48
        .value_kind:     by_value
    .group_segment_fixed_size: 0
    .kernarg_segment_align: 8
    .kernarg_segment_size: 48
    .language:       OpenCL C
    .language_version:
      - 2
      - 0
    .max_flat_workgroup_size: 256
    .name:           _ZN7rocprim17ROCPRIM_400000_NS6detail17trampoline_kernelINS0_14default_configENS1_38merge_sort_block_merge_config_selectorImNS0_10empty_typeEEEZZNS1_27merge_sort_block_merge_implIS3_PmPS5_jNS1_19radix_merge_compareILb1ELb1EmNS0_19identity_decomposerEEEEE10hipError_tT0_T1_T2_jT3_P12ihipStream_tbPNSt15iterator_traitsISE_E10value_typeEPNSK_ISF_E10value_typeEPSG_NS1_7vsmem_tEENKUlT_SE_SF_SG_E_clIS8_S8_S9_S9_EESD_ST_SE_SF_SG_EUlST_E1_NS1_11comp_targetILNS1_3genE10ELNS1_11target_archE1201ELNS1_3gpuE5ELNS1_3repE0EEENS1_36merge_oddeven_config_static_selectorELNS0_4arch9wavefront6targetE0EEEvSF_
    .private_segment_fixed_size: 0
    .sgpr_count:     0
    .sgpr_spill_count: 0
    .symbol:         _ZN7rocprim17ROCPRIM_400000_NS6detail17trampoline_kernelINS0_14default_configENS1_38merge_sort_block_merge_config_selectorImNS0_10empty_typeEEEZZNS1_27merge_sort_block_merge_implIS3_PmPS5_jNS1_19radix_merge_compareILb1ELb1EmNS0_19identity_decomposerEEEEE10hipError_tT0_T1_T2_jT3_P12ihipStream_tbPNSt15iterator_traitsISE_E10value_typeEPNSK_ISF_E10value_typeEPSG_NS1_7vsmem_tEENKUlT_SE_SF_SG_E_clIS8_S8_S9_S9_EESD_ST_SE_SF_SG_EUlST_E1_NS1_11comp_targetILNS1_3genE10ELNS1_11target_archE1201ELNS1_3gpuE5ELNS1_3repE0EEENS1_36merge_oddeven_config_static_selectorELNS0_4arch9wavefront6targetE0EEEvSF_.kd
    .uniform_work_group_size: 1
    .uses_dynamic_stack: false
    .vgpr_count:     0
    .vgpr_spill_count: 0
    .wavefront_size: 32
  - .args:
      - .offset:         0
        .size:           48
        .value_kind:     by_value
    .group_segment_fixed_size: 0
    .kernarg_segment_align: 8
    .kernarg_segment_size: 48
    .language:       OpenCL C
    .language_version:
      - 2
      - 0
    .max_flat_workgroup_size: 256
    .name:           _ZN7rocprim17ROCPRIM_400000_NS6detail17trampoline_kernelINS0_14default_configENS1_38merge_sort_block_merge_config_selectorImNS0_10empty_typeEEEZZNS1_27merge_sort_block_merge_implIS3_PmPS5_jNS1_19radix_merge_compareILb1ELb1EmNS0_19identity_decomposerEEEEE10hipError_tT0_T1_T2_jT3_P12ihipStream_tbPNSt15iterator_traitsISE_E10value_typeEPNSK_ISF_E10value_typeEPSG_NS1_7vsmem_tEENKUlT_SE_SF_SG_E_clIS8_S8_S9_S9_EESD_ST_SE_SF_SG_EUlST_E1_NS1_11comp_targetILNS1_3genE5ELNS1_11target_archE942ELNS1_3gpuE9ELNS1_3repE0EEENS1_36merge_oddeven_config_static_selectorELNS0_4arch9wavefront6targetE0EEEvSF_
    .private_segment_fixed_size: 0
    .sgpr_count:     0
    .sgpr_spill_count: 0
    .symbol:         _ZN7rocprim17ROCPRIM_400000_NS6detail17trampoline_kernelINS0_14default_configENS1_38merge_sort_block_merge_config_selectorImNS0_10empty_typeEEEZZNS1_27merge_sort_block_merge_implIS3_PmPS5_jNS1_19radix_merge_compareILb1ELb1EmNS0_19identity_decomposerEEEEE10hipError_tT0_T1_T2_jT3_P12ihipStream_tbPNSt15iterator_traitsISE_E10value_typeEPNSK_ISF_E10value_typeEPSG_NS1_7vsmem_tEENKUlT_SE_SF_SG_E_clIS8_S8_S9_S9_EESD_ST_SE_SF_SG_EUlST_E1_NS1_11comp_targetILNS1_3genE5ELNS1_11target_archE942ELNS1_3gpuE9ELNS1_3repE0EEENS1_36merge_oddeven_config_static_selectorELNS0_4arch9wavefront6targetE0EEEvSF_.kd
    .uniform_work_group_size: 1
    .uses_dynamic_stack: false
    .vgpr_count:     0
    .vgpr_spill_count: 0
    .wavefront_size: 32
  - .args:
      - .offset:         0
        .size:           48
        .value_kind:     by_value
    .group_segment_fixed_size: 0
    .kernarg_segment_align: 8
    .kernarg_segment_size: 48
    .language:       OpenCL C
    .language_version:
      - 2
      - 0
    .max_flat_workgroup_size: 256
    .name:           _ZN7rocprim17ROCPRIM_400000_NS6detail17trampoline_kernelINS0_14default_configENS1_38merge_sort_block_merge_config_selectorImNS0_10empty_typeEEEZZNS1_27merge_sort_block_merge_implIS3_PmPS5_jNS1_19radix_merge_compareILb1ELb1EmNS0_19identity_decomposerEEEEE10hipError_tT0_T1_T2_jT3_P12ihipStream_tbPNSt15iterator_traitsISE_E10value_typeEPNSK_ISF_E10value_typeEPSG_NS1_7vsmem_tEENKUlT_SE_SF_SG_E_clIS8_S8_S9_S9_EESD_ST_SE_SF_SG_EUlST_E1_NS1_11comp_targetILNS1_3genE4ELNS1_11target_archE910ELNS1_3gpuE8ELNS1_3repE0EEENS1_36merge_oddeven_config_static_selectorELNS0_4arch9wavefront6targetE0EEEvSF_
    .private_segment_fixed_size: 0
    .sgpr_count:     0
    .sgpr_spill_count: 0
    .symbol:         _ZN7rocprim17ROCPRIM_400000_NS6detail17trampoline_kernelINS0_14default_configENS1_38merge_sort_block_merge_config_selectorImNS0_10empty_typeEEEZZNS1_27merge_sort_block_merge_implIS3_PmPS5_jNS1_19radix_merge_compareILb1ELb1EmNS0_19identity_decomposerEEEEE10hipError_tT0_T1_T2_jT3_P12ihipStream_tbPNSt15iterator_traitsISE_E10value_typeEPNSK_ISF_E10value_typeEPSG_NS1_7vsmem_tEENKUlT_SE_SF_SG_E_clIS8_S8_S9_S9_EESD_ST_SE_SF_SG_EUlST_E1_NS1_11comp_targetILNS1_3genE4ELNS1_11target_archE910ELNS1_3gpuE8ELNS1_3repE0EEENS1_36merge_oddeven_config_static_selectorELNS0_4arch9wavefront6targetE0EEEvSF_.kd
    .uniform_work_group_size: 1
    .uses_dynamic_stack: false
    .vgpr_count:     0
    .vgpr_spill_count: 0
    .wavefront_size: 32
  - .args:
      - .offset:         0
        .size:           48
        .value_kind:     by_value
    .group_segment_fixed_size: 0
    .kernarg_segment_align: 8
    .kernarg_segment_size: 48
    .language:       OpenCL C
    .language_version:
      - 2
      - 0
    .max_flat_workgroup_size: 256
    .name:           _ZN7rocprim17ROCPRIM_400000_NS6detail17trampoline_kernelINS0_14default_configENS1_38merge_sort_block_merge_config_selectorImNS0_10empty_typeEEEZZNS1_27merge_sort_block_merge_implIS3_PmPS5_jNS1_19radix_merge_compareILb1ELb1EmNS0_19identity_decomposerEEEEE10hipError_tT0_T1_T2_jT3_P12ihipStream_tbPNSt15iterator_traitsISE_E10value_typeEPNSK_ISF_E10value_typeEPSG_NS1_7vsmem_tEENKUlT_SE_SF_SG_E_clIS8_S8_S9_S9_EESD_ST_SE_SF_SG_EUlST_E1_NS1_11comp_targetILNS1_3genE3ELNS1_11target_archE908ELNS1_3gpuE7ELNS1_3repE0EEENS1_36merge_oddeven_config_static_selectorELNS0_4arch9wavefront6targetE0EEEvSF_
    .private_segment_fixed_size: 0
    .sgpr_count:     0
    .sgpr_spill_count: 0
    .symbol:         _ZN7rocprim17ROCPRIM_400000_NS6detail17trampoline_kernelINS0_14default_configENS1_38merge_sort_block_merge_config_selectorImNS0_10empty_typeEEEZZNS1_27merge_sort_block_merge_implIS3_PmPS5_jNS1_19radix_merge_compareILb1ELb1EmNS0_19identity_decomposerEEEEE10hipError_tT0_T1_T2_jT3_P12ihipStream_tbPNSt15iterator_traitsISE_E10value_typeEPNSK_ISF_E10value_typeEPSG_NS1_7vsmem_tEENKUlT_SE_SF_SG_E_clIS8_S8_S9_S9_EESD_ST_SE_SF_SG_EUlST_E1_NS1_11comp_targetILNS1_3genE3ELNS1_11target_archE908ELNS1_3gpuE7ELNS1_3repE0EEENS1_36merge_oddeven_config_static_selectorELNS0_4arch9wavefront6targetE0EEEvSF_.kd
    .uniform_work_group_size: 1
    .uses_dynamic_stack: false
    .vgpr_count:     0
    .vgpr_spill_count: 0
    .wavefront_size: 32
  - .args:
      - .offset:         0
        .size:           48
        .value_kind:     by_value
    .group_segment_fixed_size: 0
    .kernarg_segment_align: 8
    .kernarg_segment_size: 48
    .language:       OpenCL C
    .language_version:
      - 2
      - 0
    .max_flat_workgroup_size: 256
    .name:           _ZN7rocprim17ROCPRIM_400000_NS6detail17trampoline_kernelINS0_14default_configENS1_38merge_sort_block_merge_config_selectorImNS0_10empty_typeEEEZZNS1_27merge_sort_block_merge_implIS3_PmPS5_jNS1_19radix_merge_compareILb1ELb1EmNS0_19identity_decomposerEEEEE10hipError_tT0_T1_T2_jT3_P12ihipStream_tbPNSt15iterator_traitsISE_E10value_typeEPNSK_ISF_E10value_typeEPSG_NS1_7vsmem_tEENKUlT_SE_SF_SG_E_clIS8_S8_S9_S9_EESD_ST_SE_SF_SG_EUlST_E1_NS1_11comp_targetILNS1_3genE2ELNS1_11target_archE906ELNS1_3gpuE6ELNS1_3repE0EEENS1_36merge_oddeven_config_static_selectorELNS0_4arch9wavefront6targetE0EEEvSF_
    .private_segment_fixed_size: 0
    .sgpr_count:     0
    .sgpr_spill_count: 0
    .symbol:         _ZN7rocprim17ROCPRIM_400000_NS6detail17trampoline_kernelINS0_14default_configENS1_38merge_sort_block_merge_config_selectorImNS0_10empty_typeEEEZZNS1_27merge_sort_block_merge_implIS3_PmPS5_jNS1_19radix_merge_compareILb1ELb1EmNS0_19identity_decomposerEEEEE10hipError_tT0_T1_T2_jT3_P12ihipStream_tbPNSt15iterator_traitsISE_E10value_typeEPNSK_ISF_E10value_typeEPSG_NS1_7vsmem_tEENKUlT_SE_SF_SG_E_clIS8_S8_S9_S9_EESD_ST_SE_SF_SG_EUlST_E1_NS1_11comp_targetILNS1_3genE2ELNS1_11target_archE906ELNS1_3gpuE6ELNS1_3repE0EEENS1_36merge_oddeven_config_static_selectorELNS0_4arch9wavefront6targetE0EEEvSF_.kd
    .uniform_work_group_size: 1
    .uses_dynamic_stack: false
    .vgpr_count:     0
    .vgpr_spill_count: 0
    .wavefront_size: 32
  - .args:
      - .offset:         0
        .size:           48
        .value_kind:     by_value
    .group_segment_fixed_size: 0
    .kernarg_segment_align: 8
    .kernarg_segment_size: 48
    .language:       OpenCL C
    .language_version:
      - 2
      - 0
    .max_flat_workgroup_size: 256
    .name:           _ZN7rocprim17ROCPRIM_400000_NS6detail17trampoline_kernelINS0_14default_configENS1_38merge_sort_block_merge_config_selectorImNS0_10empty_typeEEEZZNS1_27merge_sort_block_merge_implIS3_PmPS5_jNS1_19radix_merge_compareILb1ELb1EmNS0_19identity_decomposerEEEEE10hipError_tT0_T1_T2_jT3_P12ihipStream_tbPNSt15iterator_traitsISE_E10value_typeEPNSK_ISF_E10value_typeEPSG_NS1_7vsmem_tEENKUlT_SE_SF_SG_E_clIS8_S8_S9_S9_EESD_ST_SE_SF_SG_EUlST_E1_NS1_11comp_targetILNS1_3genE9ELNS1_11target_archE1100ELNS1_3gpuE3ELNS1_3repE0EEENS1_36merge_oddeven_config_static_selectorELNS0_4arch9wavefront6targetE0EEEvSF_
    .private_segment_fixed_size: 0
    .sgpr_count:     0
    .sgpr_spill_count: 0
    .symbol:         _ZN7rocprim17ROCPRIM_400000_NS6detail17trampoline_kernelINS0_14default_configENS1_38merge_sort_block_merge_config_selectorImNS0_10empty_typeEEEZZNS1_27merge_sort_block_merge_implIS3_PmPS5_jNS1_19radix_merge_compareILb1ELb1EmNS0_19identity_decomposerEEEEE10hipError_tT0_T1_T2_jT3_P12ihipStream_tbPNSt15iterator_traitsISE_E10value_typeEPNSK_ISF_E10value_typeEPSG_NS1_7vsmem_tEENKUlT_SE_SF_SG_E_clIS8_S8_S9_S9_EESD_ST_SE_SF_SG_EUlST_E1_NS1_11comp_targetILNS1_3genE9ELNS1_11target_archE1100ELNS1_3gpuE3ELNS1_3repE0EEENS1_36merge_oddeven_config_static_selectorELNS0_4arch9wavefront6targetE0EEEvSF_.kd
    .uniform_work_group_size: 1
    .uses_dynamic_stack: false
    .vgpr_count:     0
    .vgpr_spill_count: 0
    .wavefront_size: 32
  - .args:
      - .offset:         0
        .size:           48
        .value_kind:     by_value
    .group_segment_fixed_size: 0
    .kernarg_segment_align: 8
    .kernarg_segment_size: 48
    .language:       OpenCL C
    .language_version:
      - 2
      - 0
    .max_flat_workgroup_size: 256
    .name:           _ZN7rocprim17ROCPRIM_400000_NS6detail17trampoline_kernelINS0_14default_configENS1_38merge_sort_block_merge_config_selectorImNS0_10empty_typeEEEZZNS1_27merge_sort_block_merge_implIS3_PmPS5_jNS1_19radix_merge_compareILb1ELb1EmNS0_19identity_decomposerEEEEE10hipError_tT0_T1_T2_jT3_P12ihipStream_tbPNSt15iterator_traitsISE_E10value_typeEPNSK_ISF_E10value_typeEPSG_NS1_7vsmem_tEENKUlT_SE_SF_SG_E_clIS8_S8_S9_S9_EESD_ST_SE_SF_SG_EUlST_E1_NS1_11comp_targetILNS1_3genE8ELNS1_11target_archE1030ELNS1_3gpuE2ELNS1_3repE0EEENS1_36merge_oddeven_config_static_selectorELNS0_4arch9wavefront6targetE0EEEvSF_
    .private_segment_fixed_size: 0
    .sgpr_count:     0
    .sgpr_spill_count: 0
    .symbol:         _ZN7rocprim17ROCPRIM_400000_NS6detail17trampoline_kernelINS0_14default_configENS1_38merge_sort_block_merge_config_selectorImNS0_10empty_typeEEEZZNS1_27merge_sort_block_merge_implIS3_PmPS5_jNS1_19radix_merge_compareILb1ELb1EmNS0_19identity_decomposerEEEEE10hipError_tT0_T1_T2_jT3_P12ihipStream_tbPNSt15iterator_traitsISE_E10value_typeEPNSK_ISF_E10value_typeEPSG_NS1_7vsmem_tEENKUlT_SE_SF_SG_E_clIS8_S8_S9_S9_EESD_ST_SE_SF_SG_EUlST_E1_NS1_11comp_targetILNS1_3genE8ELNS1_11target_archE1030ELNS1_3gpuE2ELNS1_3repE0EEENS1_36merge_oddeven_config_static_selectorELNS0_4arch9wavefront6targetE0EEEvSF_.kd
    .uniform_work_group_size: 1
    .uses_dynamic_stack: false
    .vgpr_count:     0
    .vgpr_spill_count: 0
    .wavefront_size: 32
  - .args:
      - .offset:         0
        .size:           48
        .value_kind:     by_value
    .group_segment_fixed_size: 32768
    .kernarg_segment_align: 8
    .kernarg_segment_size: 48
    .language:       OpenCL C
    .language_version:
      - 2
      - 0
    .max_flat_workgroup_size: 512
    .name:           _ZN7rocprim17ROCPRIM_400000_NS6detail17trampoline_kernelINS0_14default_configENS1_35radix_sort_onesweep_config_selectorImNS0_10empty_typeEEEZNS1_34radix_sort_onesweep_global_offsetsIS3_Lb1EPKmPS5_mNS0_19identity_decomposerEEE10hipError_tT1_T2_PT3_SF_jT4_jjP12ihipStream_tbEUlT_E_NS1_11comp_targetILNS1_3genE0ELNS1_11target_archE4294967295ELNS1_3gpuE0ELNS1_3repE0EEENS1_52radix_sort_onesweep_histogram_config_static_selectorELNS0_4arch9wavefront6targetE0EEEvSD_
    .private_segment_fixed_size: 0
    .sgpr_count:     15
    .sgpr_spill_count: 0
    .symbol:         _ZN7rocprim17ROCPRIM_400000_NS6detail17trampoline_kernelINS0_14default_configENS1_35radix_sort_onesweep_config_selectorImNS0_10empty_typeEEEZNS1_34radix_sort_onesweep_global_offsetsIS3_Lb1EPKmPS5_mNS0_19identity_decomposerEEE10hipError_tT1_T2_PT3_SF_jT4_jjP12ihipStream_tbEUlT_E_NS1_11comp_targetILNS1_3genE0ELNS1_11target_archE4294967295ELNS1_3gpuE0ELNS1_3repE0EEENS1_52radix_sort_onesweep_histogram_config_static_selectorELNS0_4arch9wavefront6targetE0EEEvSD_.kd
    .uniform_work_group_size: 1
    .uses_dynamic_stack: false
    .vgpr_count:     30
    .vgpr_spill_count: 0
    .wavefront_size: 32
  - .args:
      - .offset:         0
        .size:           48
        .value_kind:     by_value
    .group_segment_fixed_size: 0
    .kernarg_segment_align: 8
    .kernarg_segment_size: 48
    .language:       OpenCL C
    .language_version:
      - 2
      - 0
    .max_flat_workgroup_size: 512
    .name:           _ZN7rocprim17ROCPRIM_400000_NS6detail17trampoline_kernelINS0_14default_configENS1_35radix_sort_onesweep_config_selectorImNS0_10empty_typeEEEZNS1_34radix_sort_onesweep_global_offsetsIS3_Lb1EPKmPS5_mNS0_19identity_decomposerEEE10hipError_tT1_T2_PT3_SF_jT4_jjP12ihipStream_tbEUlT_E_NS1_11comp_targetILNS1_3genE6ELNS1_11target_archE950ELNS1_3gpuE13ELNS1_3repE0EEENS1_52radix_sort_onesweep_histogram_config_static_selectorELNS0_4arch9wavefront6targetE0EEEvSD_
    .private_segment_fixed_size: 0
    .sgpr_count:     0
    .sgpr_spill_count: 0
    .symbol:         _ZN7rocprim17ROCPRIM_400000_NS6detail17trampoline_kernelINS0_14default_configENS1_35radix_sort_onesweep_config_selectorImNS0_10empty_typeEEEZNS1_34radix_sort_onesweep_global_offsetsIS3_Lb1EPKmPS5_mNS0_19identity_decomposerEEE10hipError_tT1_T2_PT3_SF_jT4_jjP12ihipStream_tbEUlT_E_NS1_11comp_targetILNS1_3genE6ELNS1_11target_archE950ELNS1_3gpuE13ELNS1_3repE0EEENS1_52radix_sort_onesweep_histogram_config_static_selectorELNS0_4arch9wavefront6targetE0EEEvSD_.kd
    .uniform_work_group_size: 1
    .uses_dynamic_stack: false
    .vgpr_count:     0
    .vgpr_spill_count: 0
    .wavefront_size: 32
  - .args:
      - .offset:         0
        .size:           48
        .value_kind:     by_value
    .group_segment_fixed_size: 0
    .kernarg_segment_align: 8
    .kernarg_segment_size: 48
    .language:       OpenCL C
    .language_version:
      - 2
      - 0
    .max_flat_workgroup_size: 512
    .name:           _ZN7rocprim17ROCPRIM_400000_NS6detail17trampoline_kernelINS0_14default_configENS1_35radix_sort_onesweep_config_selectorImNS0_10empty_typeEEEZNS1_34radix_sort_onesweep_global_offsetsIS3_Lb1EPKmPS5_mNS0_19identity_decomposerEEE10hipError_tT1_T2_PT3_SF_jT4_jjP12ihipStream_tbEUlT_E_NS1_11comp_targetILNS1_3genE5ELNS1_11target_archE942ELNS1_3gpuE9ELNS1_3repE0EEENS1_52radix_sort_onesweep_histogram_config_static_selectorELNS0_4arch9wavefront6targetE0EEEvSD_
    .private_segment_fixed_size: 0
    .sgpr_count:     0
    .sgpr_spill_count: 0
    .symbol:         _ZN7rocprim17ROCPRIM_400000_NS6detail17trampoline_kernelINS0_14default_configENS1_35radix_sort_onesweep_config_selectorImNS0_10empty_typeEEEZNS1_34radix_sort_onesweep_global_offsetsIS3_Lb1EPKmPS5_mNS0_19identity_decomposerEEE10hipError_tT1_T2_PT3_SF_jT4_jjP12ihipStream_tbEUlT_E_NS1_11comp_targetILNS1_3genE5ELNS1_11target_archE942ELNS1_3gpuE9ELNS1_3repE0EEENS1_52radix_sort_onesweep_histogram_config_static_selectorELNS0_4arch9wavefront6targetE0EEEvSD_.kd
    .uniform_work_group_size: 1
    .uses_dynamic_stack: false
    .vgpr_count:     0
    .vgpr_spill_count: 0
    .wavefront_size: 32
  - .args:
      - .offset:         0
        .size:           48
        .value_kind:     by_value
    .group_segment_fixed_size: 0
    .kernarg_segment_align: 8
    .kernarg_segment_size: 48
    .language:       OpenCL C
    .language_version:
      - 2
      - 0
    .max_flat_workgroup_size: 512
    .name:           _ZN7rocprim17ROCPRIM_400000_NS6detail17trampoline_kernelINS0_14default_configENS1_35radix_sort_onesweep_config_selectorImNS0_10empty_typeEEEZNS1_34radix_sort_onesweep_global_offsetsIS3_Lb1EPKmPS5_mNS0_19identity_decomposerEEE10hipError_tT1_T2_PT3_SF_jT4_jjP12ihipStream_tbEUlT_E_NS1_11comp_targetILNS1_3genE2ELNS1_11target_archE906ELNS1_3gpuE6ELNS1_3repE0EEENS1_52radix_sort_onesweep_histogram_config_static_selectorELNS0_4arch9wavefront6targetE0EEEvSD_
    .private_segment_fixed_size: 0
    .sgpr_count:     0
    .sgpr_spill_count: 0
    .symbol:         _ZN7rocprim17ROCPRIM_400000_NS6detail17trampoline_kernelINS0_14default_configENS1_35radix_sort_onesweep_config_selectorImNS0_10empty_typeEEEZNS1_34radix_sort_onesweep_global_offsetsIS3_Lb1EPKmPS5_mNS0_19identity_decomposerEEE10hipError_tT1_T2_PT3_SF_jT4_jjP12ihipStream_tbEUlT_E_NS1_11comp_targetILNS1_3genE2ELNS1_11target_archE906ELNS1_3gpuE6ELNS1_3repE0EEENS1_52radix_sort_onesweep_histogram_config_static_selectorELNS0_4arch9wavefront6targetE0EEEvSD_.kd
    .uniform_work_group_size: 1
    .uses_dynamic_stack: false
    .vgpr_count:     0
    .vgpr_spill_count: 0
    .wavefront_size: 32
  - .args:
      - .offset:         0
        .size:           48
        .value_kind:     by_value
    .group_segment_fixed_size: 0
    .kernarg_segment_align: 8
    .kernarg_segment_size: 48
    .language:       OpenCL C
    .language_version:
      - 2
      - 0
    .max_flat_workgroup_size: 1024
    .name:           _ZN7rocprim17ROCPRIM_400000_NS6detail17trampoline_kernelINS0_14default_configENS1_35radix_sort_onesweep_config_selectorImNS0_10empty_typeEEEZNS1_34radix_sort_onesweep_global_offsetsIS3_Lb1EPKmPS5_mNS0_19identity_decomposerEEE10hipError_tT1_T2_PT3_SF_jT4_jjP12ihipStream_tbEUlT_E_NS1_11comp_targetILNS1_3genE4ELNS1_11target_archE910ELNS1_3gpuE8ELNS1_3repE0EEENS1_52radix_sort_onesweep_histogram_config_static_selectorELNS0_4arch9wavefront6targetE0EEEvSD_
    .private_segment_fixed_size: 0
    .sgpr_count:     0
    .sgpr_spill_count: 0
    .symbol:         _ZN7rocprim17ROCPRIM_400000_NS6detail17trampoline_kernelINS0_14default_configENS1_35radix_sort_onesweep_config_selectorImNS0_10empty_typeEEEZNS1_34radix_sort_onesweep_global_offsetsIS3_Lb1EPKmPS5_mNS0_19identity_decomposerEEE10hipError_tT1_T2_PT3_SF_jT4_jjP12ihipStream_tbEUlT_E_NS1_11comp_targetILNS1_3genE4ELNS1_11target_archE910ELNS1_3gpuE8ELNS1_3repE0EEENS1_52radix_sort_onesweep_histogram_config_static_selectorELNS0_4arch9wavefront6targetE0EEEvSD_.kd
    .uniform_work_group_size: 1
    .uses_dynamic_stack: false
    .vgpr_count:     0
    .vgpr_spill_count: 0
    .wavefront_size: 32
  - .args:
      - .offset:         0
        .size:           48
        .value_kind:     by_value
    .group_segment_fixed_size: 0
    .kernarg_segment_align: 8
    .kernarg_segment_size: 48
    .language:       OpenCL C
    .language_version:
      - 2
      - 0
    .max_flat_workgroup_size: 512
    .name:           _ZN7rocprim17ROCPRIM_400000_NS6detail17trampoline_kernelINS0_14default_configENS1_35radix_sort_onesweep_config_selectorImNS0_10empty_typeEEEZNS1_34radix_sort_onesweep_global_offsetsIS3_Lb1EPKmPS5_mNS0_19identity_decomposerEEE10hipError_tT1_T2_PT3_SF_jT4_jjP12ihipStream_tbEUlT_E_NS1_11comp_targetILNS1_3genE3ELNS1_11target_archE908ELNS1_3gpuE7ELNS1_3repE0EEENS1_52radix_sort_onesweep_histogram_config_static_selectorELNS0_4arch9wavefront6targetE0EEEvSD_
    .private_segment_fixed_size: 0
    .sgpr_count:     0
    .sgpr_spill_count: 0
    .symbol:         _ZN7rocprim17ROCPRIM_400000_NS6detail17trampoline_kernelINS0_14default_configENS1_35radix_sort_onesweep_config_selectorImNS0_10empty_typeEEEZNS1_34radix_sort_onesweep_global_offsetsIS3_Lb1EPKmPS5_mNS0_19identity_decomposerEEE10hipError_tT1_T2_PT3_SF_jT4_jjP12ihipStream_tbEUlT_E_NS1_11comp_targetILNS1_3genE3ELNS1_11target_archE908ELNS1_3gpuE7ELNS1_3repE0EEENS1_52radix_sort_onesweep_histogram_config_static_selectorELNS0_4arch9wavefront6targetE0EEEvSD_.kd
    .uniform_work_group_size: 1
    .uses_dynamic_stack: false
    .vgpr_count:     0
    .vgpr_spill_count: 0
    .wavefront_size: 32
  - .args:
      - .offset:         0
        .size:           48
        .value_kind:     by_value
    .group_segment_fixed_size: 0
    .kernarg_segment_align: 8
    .kernarg_segment_size: 48
    .language:       OpenCL C
    .language_version:
      - 2
      - 0
    .max_flat_workgroup_size: 512
    .name:           _ZN7rocprim17ROCPRIM_400000_NS6detail17trampoline_kernelINS0_14default_configENS1_35radix_sort_onesweep_config_selectorImNS0_10empty_typeEEEZNS1_34radix_sort_onesweep_global_offsetsIS3_Lb1EPKmPS5_mNS0_19identity_decomposerEEE10hipError_tT1_T2_PT3_SF_jT4_jjP12ihipStream_tbEUlT_E_NS1_11comp_targetILNS1_3genE10ELNS1_11target_archE1201ELNS1_3gpuE5ELNS1_3repE0EEENS1_52radix_sort_onesweep_histogram_config_static_selectorELNS0_4arch9wavefront6targetE0EEEvSD_
    .private_segment_fixed_size: 0
    .sgpr_count:     0
    .sgpr_spill_count: 0
    .symbol:         _ZN7rocprim17ROCPRIM_400000_NS6detail17trampoline_kernelINS0_14default_configENS1_35radix_sort_onesweep_config_selectorImNS0_10empty_typeEEEZNS1_34radix_sort_onesweep_global_offsetsIS3_Lb1EPKmPS5_mNS0_19identity_decomposerEEE10hipError_tT1_T2_PT3_SF_jT4_jjP12ihipStream_tbEUlT_E_NS1_11comp_targetILNS1_3genE10ELNS1_11target_archE1201ELNS1_3gpuE5ELNS1_3repE0EEENS1_52radix_sort_onesweep_histogram_config_static_selectorELNS0_4arch9wavefront6targetE0EEEvSD_.kd
    .uniform_work_group_size: 1
    .uses_dynamic_stack: false
    .vgpr_count:     0
    .vgpr_spill_count: 0
    .wavefront_size: 32
  - .args:
      - .offset:         0
        .size:           48
        .value_kind:     by_value
    .group_segment_fixed_size: 0
    .kernarg_segment_align: 8
    .kernarg_segment_size: 48
    .language:       OpenCL C
    .language_version:
      - 2
      - 0
    .max_flat_workgroup_size: 1024
    .name:           _ZN7rocprim17ROCPRIM_400000_NS6detail17trampoline_kernelINS0_14default_configENS1_35radix_sort_onesweep_config_selectorImNS0_10empty_typeEEEZNS1_34radix_sort_onesweep_global_offsetsIS3_Lb1EPKmPS5_mNS0_19identity_decomposerEEE10hipError_tT1_T2_PT3_SF_jT4_jjP12ihipStream_tbEUlT_E_NS1_11comp_targetILNS1_3genE9ELNS1_11target_archE1100ELNS1_3gpuE3ELNS1_3repE0EEENS1_52radix_sort_onesweep_histogram_config_static_selectorELNS0_4arch9wavefront6targetE0EEEvSD_
    .private_segment_fixed_size: 0
    .sgpr_count:     0
    .sgpr_spill_count: 0
    .symbol:         _ZN7rocprim17ROCPRIM_400000_NS6detail17trampoline_kernelINS0_14default_configENS1_35radix_sort_onesweep_config_selectorImNS0_10empty_typeEEEZNS1_34radix_sort_onesweep_global_offsetsIS3_Lb1EPKmPS5_mNS0_19identity_decomposerEEE10hipError_tT1_T2_PT3_SF_jT4_jjP12ihipStream_tbEUlT_E_NS1_11comp_targetILNS1_3genE9ELNS1_11target_archE1100ELNS1_3gpuE3ELNS1_3repE0EEENS1_52radix_sort_onesweep_histogram_config_static_selectorELNS0_4arch9wavefront6targetE0EEEvSD_.kd
    .uniform_work_group_size: 1
    .uses_dynamic_stack: false
    .vgpr_count:     0
    .vgpr_spill_count: 0
    .wavefront_size: 32
  - .args:
      - .offset:         0
        .size:           48
        .value_kind:     by_value
    .group_segment_fixed_size: 0
    .kernarg_segment_align: 8
    .kernarg_segment_size: 48
    .language:       OpenCL C
    .language_version:
      - 2
      - 0
    .max_flat_workgroup_size: 1024
    .name:           _ZN7rocprim17ROCPRIM_400000_NS6detail17trampoline_kernelINS0_14default_configENS1_35radix_sort_onesweep_config_selectorImNS0_10empty_typeEEEZNS1_34radix_sort_onesweep_global_offsetsIS3_Lb1EPKmPS5_mNS0_19identity_decomposerEEE10hipError_tT1_T2_PT3_SF_jT4_jjP12ihipStream_tbEUlT_E_NS1_11comp_targetILNS1_3genE8ELNS1_11target_archE1030ELNS1_3gpuE2ELNS1_3repE0EEENS1_52radix_sort_onesweep_histogram_config_static_selectorELNS0_4arch9wavefront6targetE0EEEvSD_
    .private_segment_fixed_size: 0
    .sgpr_count:     0
    .sgpr_spill_count: 0
    .symbol:         _ZN7rocprim17ROCPRIM_400000_NS6detail17trampoline_kernelINS0_14default_configENS1_35radix_sort_onesweep_config_selectorImNS0_10empty_typeEEEZNS1_34radix_sort_onesweep_global_offsetsIS3_Lb1EPKmPS5_mNS0_19identity_decomposerEEE10hipError_tT1_T2_PT3_SF_jT4_jjP12ihipStream_tbEUlT_E_NS1_11comp_targetILNS1_3genE8ELNS1_11target_archE1030ELNS1_3gpuE2ELNS1_3repE0EEENS1_52radix_sort_onesweep_histogram_config_static_selectorELNS0_4arch9wavefront6targetE0EEEvSD_.kd
    .uniform_work_group_size: 1
    .uses_dynamic_stack: false
    .vgpr_count:     0
    .vgpr_spill_count: 0
    .wavefront_size: 32
  - .args:
      - .address_space:  global
        .offset:         0
        .size:           8
        .value_kind:     global_buffer
    .group_segment_fixed_size: 128
    .kernarg_segment_align: 8
    .kernarg_segment_size: 8
    .language:       OpenCL C
    .language_version:
      - 2
      - 0
    .max_flat_workgroup_size: 512
    .name:           _ZN7rocprim17ROCPRIM_400000_NS6detail17trampoline_kernelINS0_14default_configENS1_35radix_sort_onesweep_config_selectorImNS0_10empty_typeEEEZNS1_34radix_sort_onesweep_global_offsetsIS3_Lb1EPKmPS5_mNS0_19identity_decomposerEEE10hipError_tT1_T2_PT3_SF_jT4_jjP12ihipStream_tbEUlT_E0_NS1_11comp_targetILNS1_3genE0ELNS1_11target_archE4294967295ELNS1_3gpuE0ELNS1_3repE0EEENS1_52radix_sort_onesweep_histogram_config_static_selectorELNS0_4arch9wavefront6targetE0EEEvSD_
    .private_segment_fixed_size: 0
    .sgpr_count:     10
    .sgpr_spill_count: 0
    .symbol:         _ZN7rocprim17ROCPRIM_400000_NS6detail17trampoline_kernelINS0_14default_configENS1_35radix_sort_onesweep_config_selectorImNS0_10empty_typeEEEZNS1_34radix_sort_onesweep_global_offsetsIS3_Lb1EPKmPS5_mNS0_19identity_decomposerEEE10hipError_tT1_T2_PT3_SF_jT4_jjP12ihipStream_tbEUlT_E0_NS1_11comp_targetILNS1_3genE0ELNS1_11target_archE4294967295ELNS1_3gpuE0ELNS1_3repE0EEENS1_52radix_sort_onesweep_histogram_config_static_selectorELNS0_4arch9wavefront6targetE0EEEvSD_.kd
    .uniform_work_group_size: 1
    .uses_dynamic_stack: false
    .vgpr_count:     14
    .vgpr_spill_count: 0
    .wavefront_size: 32
  - .args:
      - .address_space:  global
        .offset:         0
        .size:           8
        .value_kind:     global_buffer
    .group_segment_fixed_size: 0
    .kernarg_segment_align: 8
    .kernarg_segment_size: 8
    .language:       OpenCL C
    .language_version:
      - 2
      - 0
    .max_flat_workgroup_size: 512
    .name:           _ZN7rocprim17ROCPRIM_400000_NS6detail17trampoline_kernelINS0_14default_configENS1_35radix_sort_onesweep_config_selectorImNS0_10empty_typeEEEZNS1_34radix_sort_onesweep_global_offsetsIS3_Lb1EPKmPS5_mNS0_19identity_decomposerEEE10hipError_tT1_T2_PT3_SF_jT4_jjP12ihipStream_tbEUlT_E0_NS1_11comp_targetILNS1_3genE6ELNS1_11target_archE950ELNS1_3gpuE13ELNS1_3repE0EEENS1_52radix_sort_onesweep_histogram_config_static_selectorELNS0_4arch9wavefront6targetE0EEEvSD_
    .private_segment_fixed_size: 0
    .sgpr_count:     0
    .sgpr_spill_count: 0
    .symbol:         _ZN7rocprim17ROCPRIM_400000_NS6detail17trampoline_kernelINS0_14default_configENS1_35radix_sort_onesweep_config_selectorImNS0_10empty_typeEEEZNS1_34radix_sort_onesweep_global_offsetsIS3_Lb1EPKmPS5_mNS0_19identity_decomposerEEE10hipError_tT1_T2_PT3_SF_jT4_jjP12ihipStream_tbEUlT_E0_NS1_11comp_targetILNS1_3genE6ELNS1_11target_archE950ELNS1_3gpuE13ELNS1_3repE0EEENS1_52radix_sort_onesweep_histogram_config_static_selectorELNS0_4arch9wavefront6targetE0EEEvSD_.kd
    .uniform_work_group_size: 1
    .uses_dynamic_stack: false
    .vgpr_count:     0
    .vgpr_spill_count: 0
    .wavefront_size: 32
  - .args:
      - .address_space:  global
        .offset:         0
        .size:           8
        .value_kind:     global_buffer
    .group_segment_fixed_size: 0
    .kernarg_segment_align: 8
    .kernarg_segment_size: 8
    .language:       OpenCL C
    .language_version:
      - 2
      - 0
    .max_flat_workgroup_size: 512
    .name:           _ZN7rocprim17ROCPRIM_400000_NS6detail17trampoline_kernelINS0_14default_configENS1_35radix_sort_onesweep_config_selectorImNS0_10empty_typeEEEZNS1_34radix_sort_onesweep_global_offsetsIS3_Lb1EPKmPS5_mNS0_19identity_decomposerEEE10hipError_tT1_T2_PT3_SF_jT4_jjP12ihipStream_tbEUlT_E0_NS1_11comp_targetILNS1_3genE5ELNS1_11target_archE942ELNS1_3gpuE9ELNS1_3repE0EEENS1_52radix_sort_onesweep_histogram_config_static_selectorELNS0_4arch9wavefront6targetE0EEEvSD_
    .private_segment_fixed_size: 0
    .sgpr_count:     0
    .sgpr_spill_count: 0
    .symbol:         _ZN7rocprim17ROCPRIM_400000_NS6detail17trampoline_kernelINS0_14default_configENS1_35radix_sort_onesweep_config_selectorImNS0_10empty_typeEEEZNS1_34radix_sort_onesweep_global_offsetsIS3_Lb1EPKmPS5_mNS0_19identity_decomposerEEE10hipError_tT1_T2_PT3_SF_jT4_jjP12ihipStream_tbEUlT_E0_NS1_11comp_targetILNS1_3genE5ELNS1_11target_archE942ELNS1_3gpuE9ELNS1_3repE0EEENS1_52radix_sort_onesweep_histogram_config_static_selectorELNS0_4arch9wavefront6targetE0EEEvSD_.kd
    .uniform_work_group_size: 1
    .uses_dynamic_stack: false
    .vgpr_count:     0
    .vgpr_spill_count: 0
    .wavefront_size: 32
  - .args:
      - .address_space:  global
        .offset:         0
        .size:           8
        .value_kind:     global_buffer
    .group_segment_fixed_size: 0
    .kernarg_segment_align: 8
    .kernarg_segment_size: 8
    .language:       OpenCL C
    .language_version:
      - 2
      - 0
    .max_flat_workgroup_size: 512
    .name:           _ZN7rocprim17ROCPRIM_400000_NS6detail17trampoline_kernelINS0_14default_configENS1_35radix_sort_onesweep_config_selectorImNS0_10empty_typeEEEZNS1_34radix_sort_onesweep_global_offsetsIS3_Lb1EPKmPS5_mNS0_19identity_decomposerEEE10hipError_tT1_T2_PT3_SF_jT4_jjP12ihipStream_tbEUlT_E0_NS1_11comp_targetILNS1_3genE2ELNS1_11target_archE906ELNS1_3gpuE6ELNS1_3repE0EEENS1_52radix_sort_onesweep_histogram_config_static_selectorELNS0_4arch9wavefront6targetE0EEEvSD_
    .private_segment_fixed_size: 0
    .sgpr_count:     0
    .sgpr_spill_count: 0
    .symbol:         _ZN7rocprim17ROCPRIM_400000_NS6detail17trampoline_kernelINS0_14default_configENS1_35radix_sort_onesweep_config_selectorImNS0_10empty_typeEEEZNS1_34radix_sort_onesweep_global_offsetsIS3_Lb1EPKmPS5_mNS0_19identity_decomposerEEE10hipError_tT1_T2_PT3_SF_jT4_jjP12ihipStream_tbEUlT_E0_NS1_11comp_targetILNS1_3genE2ELNS1_11target_archE906ELNS1_3gpuE6ELNS1_3repE0EEENS1_52radix_sort_onesweep_histogram_config_static_selectorELNS0_4arch9wavefront6targetE0EEEvSD_.kd
    .uniform_work_group_size: 1
    .uses_dynamic_stack: false
    .vgpr_count:     0
    .vgpr_spill_count: 0
    .wavefront_size: 32
  - .args:
      - .address_space:  global
        .offset:         0
        .size:           8
        .value_kind:     global_buffer
    .group_segment_fixed_size: 0
    .kernarg_segment_align: 8
    .kernarg_segment_size: 8
    .language:       OpenCL C
    .language_version:
      - 2
      - 0
    .max_flat_workgroup_size: 1024
    .name:           _ZN7rocprim17ROCPRIM_400000_NS6detail17trampoline_kernelINS0_14default_configENS1_35radix_sort_onesweep_config_selectorImNS0_10empty_typeEEEZNS1_34radix_sort_onesweep_global_offsetsIS3_Lb1EPKmPS5_mNS0_19identity_decomposerEEE10hipError_tT1_T2_PT3_SF_jT4_jjP12ihipStream_tbEUlT_E0_NS1_11comp_targetILNS1_3genE4ELNS1_11target_archE910ELNS1_3gpuE8ELNS1_3repE0EEENS1_52radix_sort_onesweep_histogram_config_static_selectorELNS0_4arch9wavefront6targetE0EEEvSD_
    .private_segment_fixed_size: 0
    .sgpr_count:     0
    .sgpr_spill_count: 0
    .symbol:         _ZN7rocprim17ROCPRIM_400000_NS6detail17trampoline_kernelINS0_14default_configENS1_35radix_sort_onesweep_config_selectorImNS0_10empty_typeEEEZNS1_34radix_sort_onesweep_global_offsetsIS3_Lb1EPKmPS5_mNS0_19identity_decomposerEEE10hipError_tT1_T2_PT3_SF_jT4_jjP12ihipStream_tbEUlT_E0_NS1_11comp_targetILNS1_3genE4ELNS1_11target_archE910ELNS1_3gpuE8ELNS1_3repE0EEENS1_52radix_sort_onesweep_histogram_config_static_selectorELNS0_4arch9wavefront6targetE0EEEvSD_.kd
    .uniform_work_group_size: 1
    .uses_dynamic_stack: false
    .vgpr_count:     0
    .vgpr_spill_count: 0
    .wavefront_size: 32
  - .args:
      - .address_space:  global
        .offset:         0
        .size:           8
        .value_kind:     global_buffer
    .group_segment_fixed_size: 0
    .kernarg_segment_align: 8
    .kernarg_segment_size: 8
    .language:       OpenCL C
    .language_version:
      - 2
      - 0
    .max_flat_workgroup_size: 512
    .name:           _ZN7rocprim17ROCPRIM_400000_NS6detail17trampoline_kernelINS0_14default_configENS1_35radix_sort_onesweep_config_selectorImNS0_10empty_typeEEEZNS1_34radix_sort_onesweep_global_offsetsIS3_Lb1EPKmPS5_mNS0_19identity_decomposerEEE10hipError_tT1_T2_PT3_SF_jT4_jjP12ihipStream_tbEUlT_E0_NS1_11comp_targetILNS1_3genE3ELNS1_11target_archE908ELNS1_3gpuE7ELNS1_3repE0EEENS1_52radix_sort_onesweep_histogram_config_static_selectorELNS0_4arch9wavefront6targetE0EEEvSD_
    .private_segment_fixed_size: 0
    .sgpr_count:     0
    .sgpr_spill_count: 0
    .symbol:         _ZN7rocprim17ROCPRIM_400000_NS6detail17trampoline_kernelINS0_14default_configENS1_35radix_sort_onesweep_config_selectorImNS0_10empty_typeEEEZNS1_34radix_sort_onesweep_global_offsetsIS3_Lb1EPKmPS5_mNS0_19identity_decomposerEEE10hipError_tT1_T2_PT3_SF_jT4_jjP12ihipStream_tbEUlT_E0_NS1_11comp_targetILNS1_3genE3ELNS1_11target_archE908ELNS1_3gpuE7ELNS1_3repE0EEENS1_52radix_sort_onesweep_histogram_config_static_selectorELNS0_4arch9wavefront6targetE0EEEvSD_.kd
    .uniform_work_group_size: 1
    .uses_dynamic_stack: false
    .vgpr_count:     0
    .vgpr_spill_count: 0
    .wavefront_size: 32
  - .args:
      - .address_space:  global
        .offset:         0
        .size:           8
        .value_kind:     global_buffer
    .group_segment_fixed_size: 0
    .kernarg_segment_align: 8
    .kernarg_segment_size: 8
    .language:       OpenCL C
    .language_version:
      - 2
      - 0
    .max_flat_workgroup_size: 512
    .name:           _ZN7rocprim17ROCPRIM_400000_NS6detail17trampoline_kernelINS0_14default_configENS1_35radix_sort_onesweep_config_selectorImNS0_10empty_typeEEEZNS1_34radix_sort_onesweep_global_offsetsIS3_Lb1EPKmPS5_mNS0_19identity_decomposerEEE10hipError_tT1_T2_PT3_SF_jT4_jjP12ihipStream_tbEUlT_E0_NS1_11comp_targetILNS1_3genE10ELNS1_11target_archE1201ELNS1_3gpuE5ELNS1_3repE0EEENS1_52radix_sort_onesweep_histogram_config_static_selectorELNS0_4arch9wavefront6targetE0EEEvSD_
    .private_segment_fixed_size: 0
    .sgpr_count:     0
    .sgpr_spill_count: 0
    .symbol:         _ZN7rocprim17ROCPRIM_400000_NS6detail17trampoline_kernelINS0_14default_configENS1_35radix_sort_onesweep_config_selectorImNS0_10empty_typeEEEZNS1_34radix_sort_onesweep_global_offsetsIS3_Lb1EPKmPS5_mNS0_19identity_decomposerEEE10hipError_tT1_T2_PT3_SF_jT4_jjP12ihipStream_tbEUlT_E0_NS1_11comp_targetILNS1_3genE10ELNS1_11target_archE1201ELNS1_3gpuE5ELNS1_3repE0EEENS1_52radix_sort_onesweep_histogram_config_static_selectorELNS0_4arch9wavefront6targetE0EEEvSD_.kd
    .uniform_work_group_size: 1
    .uses_dynamic_stack: false
    .vgpr_count:     0
    .vgpr_spill_count: 0
    .wavefront_size: 32
  - .args:
      - .address_space:  global
        .offset:         0
        .size:           8
        .value_kind:     global_buffer
    .group_segment_fixed_size: 0
    .kernarg_segment_align: 8
    .kernarg_segment_size: 8
    .language:       OpenCL C
    .language_version:
      - 2
      - 0
    .max_flat_workgroup_size: 1024
    .name:           _ZN7rocprim17ROCPRIM_400000_NS6detail17trampoline_kernelINS0_14default_configENS1_35radix_sort_onesweep_config_selectorImNS0_10empty_typeEEEZNS1_34radix_sort_onesweep_global_offsetsIS3_Lb1EPKmPS5_mNS0_19identity_decomposerEEE10hipError_tT1_T2_PT3_SF_jT4_jjP12ihipStream_tbEUlT_E0_NS1_11comp_targetILNS1_3genE9ELNS1_11target_archE1100ELNS1_3gpuE3ELNS1_3repE0EEENS1_52radix_sort_onesweep_histogram_config_static_selectorELNS0_4arch9wavefront6targetE0EEEvSD_
    .private_segment_fixed_size: 0
    .sgpr_count:     0
    .sgpr_spill_count: 0
    .symbol:         _ZN7rocprim17ROCPRIM_400000_NS6detail17trampoline_kernelINS0_14default_configENS1_35radix_sort_onesweep_config_selectorImNS0_10empty_typeEEEZNS1_34radix_sort_onesweep_global_offsetsIS3_Lb1EPKmPS5_mNS0_19identity_decomposerEEE10hipError_tT1_T2_PT3_SF_jT4_jjP12ihipStream_tbEUlT_E0_NS1_11comp_targetILNS1_3genE9ELNS1_11target_archE1100ELNS1_3gpuE3ELNS1_3repE0EEENS1_52radix_sort_onesweep_histogram_config_static_selectorELNS0_4arch9wavefront6targetE0EEEvSD_.kd
    .uniform_work_group_size: 1
    .uses_dynamic_stack: false
    .vgpr_count:     0
    .vgpr_spill_count: 0
    .wavefront_size: 32
  - .args:
      - .address_space:  global
        .offset:         0
        .size:           8
        .value_kind:     global_buffer
    .group_segment_fixed_size: 0
    .kernarg_segment_align: 8
    .kernarg_segment_size: 8
    .language:       OpenCL C
    .language_version:
      - 2
      - 0
    .max_flat_workgroup_size: 1024
    .name:           _ZN7rocprim17ROCPRIM_400000_NS6detail17trampoline_kernelINS0_14default_configENS1_35radix_sort_onesweep_config_selectorImNS0_10empty_typeEEEZNS1_34radix_sort_onesweep_global_offsetsIS3_Lb1EPKmPS5_mNS0_19identity_decomposerEEE10hipError_tT1_T2_PT3_SF_jT4_jjP12ihipStream_tbEUlT_E0_NS1_11comp_targetILNS1_3genE8ELNS1_11target_archE1030ELNS1_3gpuE2ELNS1_3repE0EEENS1_52radix_sort_onesweep_histogram_config_static_selectorELNS0_4arch9wavefront6targetE0EEEvSD_
    .private_segment_fixed_size: 0
    .sgpr_count:     0
    .sgpr_spill_count: 0
    .symbol:         _ZN7rocprim17ROCPRIM_400000_NS6detail17trampoline_kernelINS0_14default_configENS1_35radix_sort_onesweep_config_selectorImNS0_10empty_typeEEEZNS1_34radix_sort_onesweep_global_offsetsIS3_Lb1EPKmPS5_mNS0_19identity_decomposerEEE10hipError_tT1_T2_PT3_SF_jT4_jjP12ihipStream_tbEUlT_E0_NS1_11comp_targetILNS1_3genE8ELNS1_11target_archE1030ELNS1_3gpuE2ELNS1_3repE0EEENS1_52radix_sort_onesweep_histogram_config_static_selectorELNS0_4arch9wavefront6targetE0EEEvSD_.kd
    .uniform_work_group_size: 1
    .uses_dynamic_stack: false
    .vgpr_count:     0
    .vgpr_spill_count: 0
    .wavefront_size: 32
  - .args:
      - .offset:         0
        .size:           40
        .value_kind:     by_value
      - .offset:         40
        .size:           4
        .value_kind:     hidden_block_count_x
      - .offset:         44
        .size:           4
        .value_kind:     hidden_block_count_y
      - .offset:         48
        .size:           4
        .value_kind:     hidden_block_count_z
      - .offset:         52
        .size:           2
        .value_kind:     hidden_group_size_x
      - .offset:         54
        .size:           2
        .value_kind:     hidden_group_size_y
      - .offset:         56
        .size:           2
        .value_kind:     hidden_group_size_z
      - .offset:         58
        .size:           2
        .value_kind:     hidden_remainder_x
      - .offset:         60
        .size:           2
        .value_kind:     hidden_remainder_y
      - .offset:         62
        .size:           2
        .value_kind:     hidden_remainder_z
      - .offset:         80
        .size:           8
        .value_kind:     hidden_global_offset_x
      - .offset:         88
        .size:           8
        .value_kind:     hidden_global_offset_y
      - .offset:         96
        .size:           8
        .value_kind:     hidden_global_offset_z
      - .offset:         104
        .size:           2
        .value_kind:     hidden_grid_dims
    .group_segment_fixed_size: 0
    .kernarg_segment_align: 8
    .kernarg_segment_size: 296
    .language:       OpenCL C
    .language_version:
      - 2
      - 0
    .max_flat_workgroup_size: 128
    .name:           _ZN7rocprim17ROCPRIM_400000_NS6detail17trampoline_kernelINS0_14default_configENS1_25transform_config_selectorImLb1EEEZNS1_14transform_implILb1ES3_S5_PKmPmNS0_8identityImEEEE10hipError_tT2_T3_mT4_P12ihipStream_tbEUlT_E_NS1_11comp_targetILNS1_3genE0ELNS1_11target_archE4294967295ELNS1_3gpuE0ELNS1_3repE0EEENS1_30default_config_static_selectorELNS0_4arch9wavefront6targetE0EEEvT1_
    .private_segment_fixed_size: 0
    .sgpr_count:     12
    .sgpr_spill_count: 0
    .symbol:         _ZN7rocprim17ROCPRIM_400000_NS6detail17trampoline_kernelINS0_14default_configENS1_25transform_config_selectorImLb1EEEZNS1_14transform_implILb1ES3_S5_PKmPmNS0_8identityImEEEE10hipError_tT2_T3_mT4_P12ihipStream_tbEUlT_E_NS1_11comp_targetILNS1_3genE0ELNS1_11target_archE4294967295ELNS1_3gpuE0ELNS1_3repE0EEENS1_30default_config_static_selectorELNS0_4arch9wavefront6targetE0EEEvT1_.kd
    .uniform_work_group_size: 1
    .uses_dynamic_stack: false
    .vgpr_count:     4
    .vgpr_spill_count: 0
    .wavefront_size: 32
  - .args:
      - .offset:         0
        .size:           40
        .value_kind:     by_value
    .group_segment_fixed_size: 0
    .kernarg_segment_align: 8
    .kernarg_segment_size: 40
    .language:       OpenCL C
    .language_version:
      - 2
      - 0
    .max_flat_workgroup_size: 1024
    .name:           _ZN7rocprim17ROCPRIM_400000_NS6detail17trampoline_kernelINS0_14default_configENS1_25transform_config_selectorImLb1EEEZNS1_14transform_implILb1ES3_S5_PKmPmNS0_8identityImEEEE10hipError_tT2_T3_mT4_P12ihipStream_tbEUlT_E_NS1_11comp_targetILNS1_3genE10ELNS1_11target_archE1201ELNS1_3gpuE5ELNS1_3repE0EEENS1_30default_config_static_selectorELNS0_4arch9wavefront6targetE0EEEvT1_
    .private_segment_fixed_size: 0
    .sgpr_count:     0
    .sgpr_spill_count: 0
    .symbol:         _ZN7rocprim17ROCPRIM_400000_NS6detail17trampoline_kernelINS0_14default_configENS1_25transform_config_selectorImLb1EEEZNS1_14transform_implILb1ES3_S5_PKmPmNS0_8identityImEEEE10hipError_tT2_T3_mT4_P12ihipStream_tbEUlT_E_NS1_11comp_targetILNS1_3genE10ELNS1_11target_archE1201ELNS1_3gpuE5ELNS1_3repE0EEENS1_30default_config_static_selectorELNS0_4arch9wavefront6targetE0EEEvT1_.kd
    .uniform_work_group_size: 1
    .uses_dynamic_stack: false
    .vgpr_count:     0
    .vgpr_spill_count: 0
    .wavefront_size: 32
  - .args:
      - .offset:         0
        .size:           40
        .value_kind:     by_value
    .group_segment_fixed_size: 0
    .kernarg_segment_align: 8
    .kernarg_segment_size: 40
    .language:       OpenCL C
    .language_version:
      - 2
      - 0
    .max_flat_workgroup_size: 512
    .name:           _ZN7rocprim17ROCPRIM_400000_NS6detail17trampoline_kernelINS0_14default_configENS1_25transform_config_selectorImLb1EEEZNS1_14transform_implILb1ES3_S5_PKmPmNS0_8identityImEEEE10hipError_tT2_T3_mT4_P12ihipStream_tbEUlT_E_NS1_11comp_targetILNS1_3genE5ELNS1_11target_archE942ELNS1_3gpuE9ELNS1_3repE0EEENS1_30default_config_static_selectorELNS0_4arch9wavefront6targetE0EEEvT1_
    .private_segment_fixed_size: 0
    .sgpr_count:     0
    .sgpr_spill_count: 0
    .symbol:         _ZN7rocprim17ROCPRIM_400000_NS6detail17trampoline_kernelINS0_14default_configENS1_25transform_config_selectorImLb1EEEZNS1_14transform_implILb1ES3_S5_PKmPmNS0_8identityImEEEE10hipError_tT2_T3_mT4_P12ihipStream_tbEUlT_E_NS1_11comp_targetILNS1_3genE5ELNS1_11target_archE942ELNS1_3gpuE9ELNS1_3repE0EEENS1_30default_config_static_selectorELNS0_4arch9wavefront6targetE0EEEvT1_.kd
    .uniform_work_group_size: 1
    .uses_dynamic_stack: false
    .vgpr_count:     0
    .vgpr_spill_count: 0
    .wavefront_size: 32
  - .args:
      - .offset:         0
        .size:           40
        .value_kind:     by_value
    .group_segment_fixed_size: 0
    .kernarg_segment_align: 8
    .kernarg_segment_size: 40
    .language:       OpenCL C
    .language_version:
      - 2
      - 0
    .max_flat_workgroup_size: 1024
    .name:           _ZN7rocprim17ROCPRIM_400000_NS6detail17trampoline_kernelINS0_14default_configENS1_25transform_config_selectorImLb1EEEZNS1_14transform_implILb1ES3_S5_PKmPmNS0_8identityImEEEE10hipError_tT2_T3_mT4_P12ihipStream_tbEUlT_E_NS1_11comp_targetILNS1_3genE4ELNS1_11target_archE910ELNS1_3gpuE8ELNS1_3repE0EEENS1_30default_config_static_selectorELNS0_4arch9wavefront6targetE0EEEvT1_
    .private_segment_fixed_size: 0
    .sgpr_count:     0
    .sgpr_spill_count: 0
    .symbol:         _ZN7rocprim17ROCPRIM_400000_NS6detail17trampoline_kernelINS0_14default_configENS1_25transform_config_selectorImLb1EEEZNS1_14transform_implILb1ES3_S5_PKmPmNS0_8identityImEEEE10hipError_tT2_T3_mT4_P12ihipStream_tbEUlT_E_NS1_11comp_targetILNS1_3genE4ELNS1_11target_archE910ELNS1_3gpuE8ELNS1_3repE0EEENS1_30default_config_static_selectorELNS0_4arch9wavefront6targetE0EEEvT1_.kd
    .uniform_work_group_size: 1
    .uses_dynamic_stack: false
    .vgpr_count:     0
    .vgpr_spill_count: 0
    .wavefront_size: 32
  - .args:
      - .offset:         0
        .size:           40
        .value_kind:     by_value
    .group_segment_fixed_size: 0
    .kernarg_segment_align: 8
    .kernarg_segment_size: 40
    .language:       OpenCL C
    .language_version:
      - 2
      - 0
    .max_flat_workgroup_size: 128
    .name:           _ZN7rocprim17ROCPRIM_400000_NS6detail17trampoline_kernelINS0_14default_configENS1_25transform_config_selectorImLb1EEEZNS1_14transform_implILb1ES3_S5_PKmPmNS0_8identityImEEEE10hipError_tT2_T3_mT4_P12ihipStream_tbEUlT_E_NS1_11comp_targetILNS1_3genE3ELNS1_11target_archE908ELNS1_3gpuE7ELNS1_3repE0EEENS1_30default_config_static_selectorELNS0_4arch9wavefront6targetE0EEEvT1_
    .private_segment_fixed_size: 0
    .sgpr_count:     0
    .sgpr_spill_count: 0
    .symbol:         _ZN7rocprim17ROCPRIM_400000_NS6detail17trampoline_kernelINS0_14default_configENS1_25transform_config_selectorImLb1EEEZNS1_14transform_implILb1ES3_S5_PKmPmNS0_8identityImEEEE10hipError_tT2_T3_mT4_P12ihipStream_tbEUlT_E_NS1_11comp_targetILNS1_3genE3ELNS1_11target_archE908ELNS1_3gpuE7ELNS1_3repE0EEENS1_30default_config_static_selectorELNS0_4arch9wavefront6targetE0EEEvT1_.kd
    .uniform_work_group_size: 1
    .uses_dynamic_stack: false
    .vgpr_count:     0
    .vgpr_spill_count: 0
    .wavefront_size: 32
  - .args:
      - .offset:         0
        .size:           40
        .value_kind:     by_value
    .group_segment_fixed_size: 0
    .kernarg_segment_align: 8
    .kernarg_segment_size: 40
    .language:       OpenCL C
    .language_version:
      - 2
      - 0
    .max_flat_workgroup_size: 512
    .name:           _ZN7rocprim17ROCPRIM_400000_NS6detail17trampoline_kernelINS0_14default_configENS1_25transform_config_selectorImLb1EEEZNS1_14transform_implILb1ES3_S5_PKmPmNS0_8identityImEEEE10hipError_tT2_T3_mT4_P12ihipStream_tbEUlT_E_NS1_11comp_targetILNS1_3genE2ELNS1_11target_archE906ELNS1_3gpuE6ELNS1_3repE0EEENS1_30default_config_static_selectorELNS0_4arch9wavefront6targetE0EEEvT1_
    .private_segment_fixed_size: 0
    .sgpr_count:     0
    .sgpr_spill_count: 0
    .symbol:         _ZN7rocprim17ROCPRIM_400000_NS6detail17trampoline_kernelINS0_14default_configENS1_25transform_config_selectorImLb1EEEZNS1_14transform_implILb1ES3_S5_PKmPmNS0_8identityImEEEE10hipError_tT2_T3_mT4_P12ihipStream_tbEUlT_E_NS1_11comp_targetILNS1_3genE2ELNS1_11target_archE906ELNS1_3gpuE6ELNS1_3repE0EEENS1_30default_config_static_selectorELNS0_4arch9wavefront6targetE0EEEvT1_.kd
    .uniform_work_group_size: 1
    .uses_dynamic_stack: false
    .vgpr_count:     0
    .vgpr_spill_count: 0
    .wavefront_size: 32
  - .args:
      - .offset:         0
        .size:           40
        .value_kind:     by_value
    .group_segment_fixed_size: 0
    .kernarg_segment_align: 8
    .kernarg_segment_size: 40
    .language:       OpenCL C
    .language_version:
      - 2
      - 0
    .max_flat_workgroup_size: 1024
    .name:           _ZN7rocprim17ROCPRIM_400000_NS6detail17trampoline_kernelINS0_14default_configENS1_25transform_config_selectorImLb1EEEZNS1_14transform_implILb1ES3_S5_PKmPmNS0_8identityImEEEE10hipError_tT2_T3_mT4_P12ihipStream_tbEUlT_E_NS1_11comp_targetILNS1_3genE9ELNS1_11target_archE1100ELNS1_3gpuE3ELNS1_3repE0EEENS1_30default_config_static_selectorELNS0_4arch9wavefront6targetE0EEEvT1_
    .private_segment_fixed_size: 0
    .sgpr_count:     0
    .sgpr_spill_count: 0
    .symbol:         _ZN7rocprim17ROCPRIM_400000_NS6detail17trampoline_kernelINS0_14default_configENS1_25transform_config_selectorImLb1EEEZNS1_14transform_implILb1ES3_S5_PKmPmNS0_8identityImEEEE10hipError_tT2_T3_mT4_P12ihipStream_tbEUlT_E_NS1_11comp_targetILNS1_3genE9ELNS1_11target_archE1100ELNS1_3gpuE3ELNS1_3repE0EEENS1_30default_config_static_selectorELNS0_4arch9wavefront6targetE0EEEvT1_.kd
    .uniform_work_group_size: 1
    .uses_dynamic_stack: false
    .vgpr_count:     0
    .vgpr_spill_count: 0
    .wavefront_size: 32
  - .args:
      - .offset:         0
        .size:           40
        .value_kind:     by_value
    .group_segment_fixed_size: 0
    .kernarg_segment_align: 8
    .kernarg_segment_size: 40
    .language:       OpenCL C
    .language_version:
      - 2
      - 0
    .max_flat_workgroup_size: 1024
    .name:           _ZN7rocprim17ROCPRIM_400000_NS6detail17trampoline_kernelINS0_14default_configENS1_25transform_config_selectorImLb1EEEZNS1_14transform_implILb1ES3_S5_PKmPmNS0_8identityImEEEE10hipError_tT2_T3_mT4_P12ihipStream_tbEUlT_E_NS1_11comp_targetILNS1_3genE8ELNS1_11target_archE1030ELNS1_3gpuE2ELNS1_3repE0EEENS1_30default_config_static_selectorELNS0_4arch9wavefront6targetE0EEEvT1_
    .private_segment_fixed_size: 0
    .sgpr_count:     0
    .sgpr_spill_count: 0
    .symbol:         _ZN7rocprim17ROCPRIM_400000_NS6detail17trampoline_kernelINS0_14default_configENS1_25transform_config_selectorImLb1EEEZNS1_14transform_implILb1ES3_S5_PKmPmNS0_8identityImEEEE10hipError_tT2_T3_mT4_P12ihipStream_tbEUlT_E_NS1_11comp_targetILNS1_3genE8ELNS1_11target_archE1030ELNS1_3gpuE2ELNS1_3repE0EEENS1_30default_config_static_selectorELNS0_4arch9wavefront6targetE0EEEvT1_.kd
    .uniform_work_group_size: 1
    .uses_dynamic_stack: false
    .vgpr_count:     0
    .vgpr_spill_count: 0
    .wavefront_size: 32
  - .args:
      - .offset:         0
        .size:           88
        .value_kind:     by_value
      - .offset:         88
        .size:           4
        .value_kind:     hidden_block_count_x
      - .offset:         92
        .size:           4
        .value_kind:     hidden_block_count_y
      - .offset:         96
        .size:           4
        .value_kind:     hidden_block_count_z
      - .offset:         100
        .size:           2
        .value_kind:     hidden_group_size_x
      - .offset:         102
        .size:           2
        .value_kind:     hidden_group_size_y
      - .offset:         104
        .size:           2
        .value_kind:     hidden_group_size_z
      - .offset:         106
        .size:           2
        .value_kind:     hidden_remainder_x
      - .offset:         108
        .size:           2
        .value_kind:     hidden_remainder_y
      - .offset:         110
        .size:           2
        .value_kind:     hidden_remainder_z
      - .offset:         128
        .size:           8
        .value_kind:     hidden_global_offset_x
      - .offset:         136
        .size:           8
        .value_kind:     hidden_global_offset_y
      - .offset:         144
        .size:           8
        .value_kind:     hidden_global_offset_z
      - .offset:         152
        .size:           2
        .value_kind:     hidden_grid_dims
    .group_segment_fixed_size: 18504
    .kernarg_segment_align: 8
    .kernarg_segment_size: 344
    .language:       OpenCL C
    .language_version:
      - 2
      - 0
    .max_flat_workgroup_size: 512
    .name:           _ZN7rocprim17ROCPRIM_400000_NS6detail17trampoline_kernelINS0_14default_configENS1_35radix_sort_onesweep_config_selectorImNS0_10empty_typeEEEZZNS1_29radix_sort_onesweep_iterationIS3_Lb1EPKmPmPS5_SB_mNS0_19identity_decomposerENS1_16block_id_wrapperIjLb1EEEEE10hipError_tT1_PNSt15iterator_traitsISG_E10value_typeET2_T3_PNSH_ISM_E10value_typeET4_T5_PSR_SS_PNS1_23onesweep_lookback_stateEbbT6_jjT7_P12ihipStream_tbENKUlT_T0_SG_SL_E_clIS9_SA_SB_SB_EEDaSZ_S10_SG_SL_EUlSZ_E_NS1_11comp_targetILNS1_3genE0ELNS1_11target_archE4294967295ELNS1_3gpuE0ELNS1_3repE0EEENS1_47radix_sort_onesweep_sort_config_static_selectorELNS0_4arch9wavefront6targetE0EEEvSG_
    .private_segment_fixed_size: 0
    .sgpr_count:     30
    .sgpr_spill_count: 0
    .symbol:         _ZN7rocprim17ROCPRIM_400000_NS6detail17trampoline_kernelINS0_14default_configENS1_35radix_sort_onesweep_config_selectorImNS0_10empty_typeEEEZZNS1_29radix_sort_onesweep_iterationIS3_Lb1EPKmPmPS5_SB_mNS0_19identity_decomposerENS1_16block_id_wrapperIjLb1EEEEE10hipError_tT1_PNSt15iterator_traitsISG_E10value_typeET2_T3_PNSH_ISM_E10value_typeET4_T5_PSR_SS_PNS1_23onesweep_lookback_stateEbbT6_jjT7_P12ihipStream_tbENKUlT_T0_SG_SL_E_clIS9_SA_SB_SB_EEDaSZ_S10_SG_SL_EUlSZ_E_NS1_11comp_targetILNS1_3genE0ELNS1_11target_archE4294967295ELNS1_3gpuE0ELNS1_3repE0EEENS1_47radix_sort_onesweep_sort_config_static_selectorELNS0_4arch9wavefront6targetE0EEEvSG_.kd
    .uniform_work_group_size: 1
    .uses_dynamic_stack: false
    .vgpr_count:     57
    .vgpr_spill_count: 0
    .wavefront_size: 32
  - .args:
      - .offset:         0
        .size:           88
        .value_kind:     by_value
    .group_segment_fixed_size: 0
    .kernarg_segment_align: 8
    .kernarg_segment_size: 88
    .language:       OpenCL C
    .language_version:
      - 2
      - 0
    .max_flat_workgroup_size: 512
    .name:           _ZN7rocprim17ROCPRIM_400000_NS6detail17trampoline_kernelINS0_14default_configENS1_35radix_sort_onesweep_config_selectorImNS0_10empty_typeEEEZZNS1_29radix_sort_onesweep_iterationIS3_Lb1EPKmPmPS5_SB_mNS0_19identity_decomposerENS1_16block_id_wrapperIjLb1EEEEE10hipError_tT1_PNSt15iterator_traitsISG_E10value_typeET2_T3_PNSH_ISM_E10value_typeET4_T5_PSR_SS_PNS1_23onesweep_lookback_stateEbbT6_jjT7_P12ihipStream_tbENKUlT_T0_SG_SL_E_clIS9_SA_SB_SB_EEDaSZ_S10_SG_SL_EUlSZ_E_NS1_11comp_targetILNS1_3genE6ELNS1_11target_archE950ELNS1_3gpuE13ELNS1_3repE0EEENS1_47radix_sort_onesweep_sort_config_static_selectorELNS0_4arch9wavefront6targetE0EEEvSG_
    .private_segment_fixed_size: 0
    .sgpr_count:     0
    .sgpr_spill_count: 0
    .symbol:         _ZN7rocprim17ROCPRIM_400000_NS6detail17trampoline_kernelINS0_14default_configENS1_35radix_sort_onesweep_config_selectorImNS0_10empty_typeEEEZZNS1_29radix_sort_onesweep_iterationIS3_Lb1EPKmPmPS5_SB_mNS0_19identity_decomposerENS1_16block_id_wrapperIjLb1EEEEE10hipError_tT1_PNSt15iterator_traitsISG_E10value_typeET2_T3_PNSH_ISM_E10value_typeET4_T5_PSR_SS_PNS1_23onesweep_lookback_stateEbbT6_jjT7_P12ihipStream_tbENKUlT_T0_SG_SL_E_clIS9_SA_SB_SB_EEDaSZ_S10_SG_SL_EUlSZ_E_NS1_11comp_targetILNS1_3genE6ELNS1_11target_archE950ELNS1_3gpuE13ELNS1_3repE0EEENS1_47radix_sort_onesweep_sort_config_static_selectorELNS0_4arch9wavefront6targetE0EEEvSG_.kd
    .uniform_work_group_size: 1
    .uses_dynamic_stack: false
    .vgpr_count:     0
    .vgpr_spill_count: 0
    .wavefront_size: 32
  - .args:
      - .offset:         0
        .size:           88
        .value_kind:     by_value
    .group_segment_fixed_size: 0
    .kernarg_segment_align: 8
    .kernarg_segment_size: 88
    .language:       OpenCL C
    .language_version:
      - 2
      - 0
    .max_flat_workgroup_size: 512
    .name:           _ZN7rocprim17ROCPRIM_400000_NS6detail17trampoline_kernelINS0_14default_configENS1_35radix_sort_onesweep_config_selectorImNS0_10empty_typeEEEZZNS1_29radix_sort_onesweep_iterationIS3_Lb1EPKmPmPS5_SB_mNS0_19identity_decomposerENS1_16block_id_wrapperIjLb1EEEEE10hipError_tT1_PNSt15iterator_traitsISG_E10value_typeET2_T3_PNSH_ISM_E10value_typeET4_T5_PSR_SS_PNS1_23onesweep_lookback_stateEbbT6_jjT7_P12ihipStream_tbENKUlT_T0_SG_SL_E_clIS9_SA_SB_SB_EEDaSZ_S10_SG_SL_EUlSZ_E_NS1_11comp_targetILNS1_3genE5ELNS1_11target_archE942ELNS1_3gpuE9ELNS1_3repE0EEENS1_47radix_sort_onesweep_sort_config_static_selectorELNS0_4arch9wavefront6targetE0EEEvSG_
    .private_segment_fixed_size: 0
    .sgpr_count:     0
    .sgpr_spill_count: 0
    .symbol:         _ZN7rocprim17ROCPRIM_400000_NS6detail17trampoline_kernelINS0_14default_configENS1_35radix_sort_onesweep_config_selectorImNS0_10empty_typeEEEZZNS1_29radix_sort_onesweep_iterationIS3_Lb1EPKmPmPS5_SB_mNS0_19identity_decomposerENS1_16block_id_wrapperIjLb1EEEEE10hipError_tT1_PNSt15iterator_traitsISG_E10value_typeET2_T3_PNSH_ISM_E10value_typeET4_T5_PSR_SS_PNS1_23onesweep_lookback_stateEbbT6_jjT7_P12ihipStream_tbENKUlT_T0_SG_SL_E_clIS9_SA_SB_SB_EEDaSZ_S10_SG_SL_EUlSZ_E_NS1_11comp_targetILNS1_3genE5ELNS1_11target_archE942ELNS1_3gpuE9ELNS1_3repE0EEENS1_47radix_sort_onesweep_sort_config_static_selectorELNS0_4arch9wavefront6targetE0EEEvSG_.kd
    .uniform_work_group_size: 1
    .uses_dynamic_stack: false
    .vgpr_count:     0
    .vgpr_spill_count: 0
    .wavefront_size: 32
  - .args:
      - .offset:         0
        .size:           88
        .value_kind:     by_value
    .group_segment_fixed_size: 0
    .kernarg_segment_align: 8
    .kernarg_segment_size: 88
    .language:       OpenCL C
    .language_version:
      - 2
      - 0
    .max_flat_workgroup_size: 512
    .name:           _ZN7rocprim17ROCPRIM_400000_NS6detail17trampoline_kernelINS0_14default_configENS1_35radix_sort_onesweep_config_selectorImNS0_10empty_typeEEEZZNS1_29radix_sort_onesweep_iterationIS3_Lb1EPKmPmPS5_SB_mNS0_19identity_decomposerENS1_16block_id_wrapperIjLb1EEEEE10hipError_tT1_PNSt15iterator_traitsISG_E10value_typeET2_T3_PNSH_ISM_E10value_typeET4_T5_PSR_SS_PNS1_23onesweep_lookback_stateEbbT6_jjT7_P12ihipStream_tbENKUlT_T0_SG_SL_E_clIS9_SA_SB_SB_EEDaSZ_S10_SG_SL_EUlSZ_E_NS1_11comp_targetILNS1_3genE2ELNS1_11target_archE906ELNS1_3gpuE6ELNS1_3repE0EEENS1_47radix_sort_onesweep_sort_config_static_selectorELNS0_4arch9wavefront6targetE0EEEvSG_
    .private_segment_fixed_size: 0
    .sgpr_count:     0
    .sgpr_spill_count: 0
    .symbol:         _ZN7rocprim17ROCPRIM_400000_NS6detail17trampoline_kernelINS0_14default_configENS1_35radix_sort_onesweep_config_selectorImNS0_10empty_typeEEEZZNS1_29radix_sort_onesweep_iterationIS3_Lb1EPKmPmPS5_SB_mNS0_19identity_decomposerENS1_16block_id_wrapperIjLb1EEEEE10hipError_tT1_PNSt15iterator_traitsISG_E10value_typeET2_T3_PNSH_ISM_E10value_typeET4_T5_PSR_SS_PNS1_23onesweep_lookback_stateEbbT6_jjT7_P12ihipStream_tbENKUlT_T0_SG_SL_E_clIS9_SA_SB_SB_EEDaSZ_S10_SG_SL_EUlSZ_E_NS1_11comp_targetILNS1_3genE2ELNS1_11target_archE906ELNS1_3gpuE6ELNS1_3repE0EEENS1_47radix_sort_onesweep_sort_config_static_selectorELNS0_4arch9wavefront6targetE0EEEvSG_.kd
    .uniform_work_group_size: 1
    .uses_dynamic_stack: false
    .vgpr_count:     0
    .vgpr_spill_count: 0
    .wavefront_size: 32
  - .args:
      - .offset:         0
        .size:           88
        .value_kind:     by_value
    .group_segment_fixed_size: 0
    .kernarg_segment_align: 8
    .kernarg_segment_size: 88
    .language:       OpenCL C
    .language_version:
      - 2
      - 0
    .max_flat_workgroup_size: 1024
    .name:           _ZN7rocprim17ROCPRIM_400000_NS6detail17trampoline_kernelINS0_14default_configENS1_35radix_sort_onesweep_config_selectorImNS0_10empty_typeEEEZZNS1_29radix_sort_onesweep_iterationIS3_Lb1EPKmPmPS5_SB_mNS0_19identity_decomposerENS1_16block_id_wrapperIjLb1EEEEE10hipError_tT1_PNSt15iterator_traitsISG_E10value_typeET2_T3_PNSH_ISM_E10value_typeET4_T5_PSR_SS_PNS1_23onesweep_lookback_stateEbbT6_jjT7_P12ihipStream_tbENKUlT_T0_SG_SL_E_clIS9_SA_SB_SB_EEDaSZ_S10_SG_SL_EUlSZ_E_NS1_11comp_targetILNS1_3genE4ELNS1_11target_archE910ELNS1_3gpuE8ELNS1_3repE0EEENS1_47radix_sort_onesweep_sort_config_static_selectorELNS0_4arch9wavefront6targetE0EEEvSG_
    .private_segment_fixed_size: 0
    .sgpr_count:     0
    .sgpr_spill_count: 0
    .symbol:         _ZN7rocprim17ROCPRIM_400000_NS6detail17trampoline_kernelINS0_14default_configENS1_35radix_sort_onesweep_config_selectorImNS0_10empty_typeEEEZZNS1_29radix_sort_onesweep_iterationIS3_Lb1EPKmPmPS5_SB_mNS0_19identity_decomposerENS1_16block_id_wrapperIjLb1EEEEE10hipError_tT1_PNSt15iterator_traitsISG_E10value_typeET2_T3_PNSH_ISM_E10value_typeET4_T5_PSR_SS_PNS1_23onesweep_lookback_stateEbbT6_jjT7_P12ihipStream_tbENKUlT_T0_SG_SL_E_clIS9_SA_SB_SB_EEDaSZ_S10_SG_SL_EUlSZ_E_NS1_11comp_targetILNS1_3genE4ELNS1_11target_archE910ELNS1_3gpuE8ELNS1_3repE0EEENS1_47radix_sort_onesweep_sort_config_static_selectorELNS0_4arch9wavefront6targetE0EEEvSG_.kd
    .uniform_work_group_size: 1
    .uses_dynamic_stack: false
    .vgpr_count:     0
    .vgpr_spill_count: 0
    .wavefront_size: 32
  - .args:
      - .offset:         0
        .size:           88
        .value_kind:     by_value
    .group_segment_fixed_size: 0
    .kernarg_segment_align: 8
    .kernarg_segment_size: 88
    .language:       OpenCL C
    .language_version:
      - 2
      - 0
    .max_flat_workgroup_size: 512
    .name:           _ZN7rocprim17ROCPRIM_400000_NS6detail17trampoline_kernelINS0_14default_configENS1_35radix_sort_onesweep_config_selectorImNS0_10empty_typeEEEZZNS1_29radix_sort_onesweep_iterationIS3_Lb1EPKmPmPS5_SB_mNS0_19identity_decomposerENS1_16block_id_wrapperIjLb1EEEEE10hipError_tT1_PNSt15iterator_traitsISG_E10value_typeET2_T3_PNSH_ISM_E10value_typeET4_T5_PSR_SS_PNS1_23onesweep_lookback_stateEbbT6_jjT7_P12ihipStream_tbENKUlT_T0_SG_SL_E_clIS9_SA_SB_SB_EEDaSZ_S10_SG_SL_EUlSZ_E_NS1_11comp_targetILNS1_3genE3ELNS1_11target_archE908ELNS1_3gpuE7ELNS1_3repE0EEENS1_47radix_sort_onesweep_sort_config_static_selectorELNS0_4arch9wavefront6targetE0EEEvSG_
    .private_segment_fixed_size: 0
    .sgpr_count:     0
    .sgpr_spill_count: 0
    .symbol:         _ZN7rocprim17ROCPRIM_400000_NS6detail17trampoline_kernelINS0_14default_configENS1_35radix_sort_onesweep_config_selectorImNS0_10empty_typeEEEZZNS1_29radix_sort_onesweep_iterationIS3_Lb1EPKmPmPS5_SB_mNS0_19identity_decomposerENS1_16block_id_wrapperIjLb1EEEEE10hipError_tT1_PNSt15iterator_traitsISG_E10value_typeET2_T3_PNSH_ISM_E10value_typeET4_T5_PSR_SS_PNS1_23onesweep_lookback_stateEbbT6_jjT7_P12ihipStream_tbENKUlT_T0_SG_SL_E_clIS9_SA_SB_SB_EEDaSZ_S10_SG_SL_EUlSZ_E_NS1_11comp_targetILNS1_3genE3ELNS1_11target_archE908ELNS1_3gpuE7ELNS1_3repE0EEENS1_47radix_sort_onesweep_sort_config_static_selectorELNS0_4arch9wavefront6targetE0EEEvSG_.kd
    .uniform_work_group_size: 1
    .uses_dynamic_stack: false
    .vgpr_count:     0
    .vgpr_spill_count: 0
    .wavefront_size: 32
  - .args:
      - .offset:         0
        .size:           88
        .value_kind:     by_value
    .group_segment_fixed_size: 0
    .kernarg_segment_align: 8
    .kernarg_segment_size: 88
    .language:       OpenCL C
    .language_version:
      - 2
      - 0
    .max_flat_workgroup_size: 512
    .name:           _ZN7rocprim17ROCPRIM_400000_NS6detail17trampoline_kernelINS0_14default_configENS1_35radix_sort_onesweep_config_selectorImNS0_10empty_typeEEEZZNS1_29radix_sort_onesweep_iterationIS3_Lb1EPKmPmPS5_SB_mNS0_19identity_decomposerENS1_16block_id_wrapperIjLb1EEEEE10hipError_tT1_PNSt15iterator_traitsISG_E10value_typeET2_T3_PNSH_ISM_E10value_typeET4_T5_PSR_SS_PNS1_23onesweep_lookback_stateEbbT6_jjT7_P12ihipStream_tbENKUlT_T0_SG_SL_E_clIS9_SA_SB_SB_EEDaSZ_S10_SG_SL_EUlSZ_E_NS1_11comp_targetILNS1_3genE10ELNS1_11target_archE1201ELNS1_3gpuE5ELNS1_3repE0EEENS1_47radix_sort_onesweep_sort_config_static_selectorELNS0_4arch9wavefront6targetE0EEEvSG_
    .private_segment_fixed_size: 0
    .sgpr_count:     0
    .sgpr_spill_count: 0
    .symbol:         _ZN7rocprim17ROCPRIM_400000_NS6detail17trampoline_kernelINS0_14default_configENS1_35radix_sort_onesweep_config_selectorImNS0_10empty_typeEEEZZNS1_29radix_sort_onesweep_iterationIS3_Lb1EPKmPmPS5_SB_mNS0_19identity_decomposerENS1_16block_id_wrapperIjLb1EEEEE10hipError_tT1_PNSt15iterator_traitsISG_E10value_typeET2_T3_PNSH_ISM_E10value_typeET4_T5_PSR_SS_PNS1_23onesweep_lookback_stateEbbT6_jjT7_P12ihipStream_tbENKUlT_T0_SG_SL_E_clIS9_SA_SB_SB_EEDaSZ_S10_SG_SL_EUlSZ_E_NS1_11comp_targetILNS1_3genE10ELNS1_11target_archE1201ELNS1_3gpuE5ELNS1_3repE0EEENS1_47radix_sort_onesweep_sort_config_static_selectorELNS0_4arch9wavefront6targetE0EEEvSG_.kd
    .uniform_work_group_size: 1
    .uses_dynamic_stack: false
    .vgpr_count:     0
    .vgpr_spill_count: 0
    .wavefront_size: 32
  - .args:
      - .offset:         0
        .size:           88
        .value_kind:     by_value
    .group_segment_fixed_size: 0
    .kernarg_segment_align: 8
    .kernarg_segment_size: 88
    .language:       OpenCL C
    .language_version:
      - 2
      - 0
    .max_flat_workgroup_size: 1024
    .name:           _ZN7rocprim17ROCPRIM_400000_NS6detail17trampoline_kernelINS0_14default_configENS1_35radix_sort_onesweep_config_selectorImNS0_10empty_typeEEEZZNS1_29radix_sort_onesweep_iterationIS3_Lb1EPKmPmPS5_SB_mNS0_19identity_decomposerENS1_16block_id_wrapperIjLb1EEEEE10hipError_tT1_PNSt15iterator_traitsISG_E10value_typeET2_T3_PNSH_ISM_E10value_typeET4_T5_PSR_SS_PNS1_23onesweep_lookback_stateEbbT6_jjT7_P12ihipStream_tbENKUlT_T0_SG_SL_E_clIS9_SA_SB_SB_EEDaSZ_S10_SG_SL_EUlSZ_E_NS1_11comp_targetILNS1_3genE9ELNS1_11target_archE1100ELNS1_3gpuE3ELNS1_3repE0EEENS1_47radix_sort_onesweep_sort_config_static_selectorELNS0_4arch9wavefront6targetE0EEEvSG_
    .private_segment_fixed_size: 0
    .sgpr_count:     0
    .sgpr_spill_count: 0
    .symbol:         _ZN7rocprim17ROCPRIM_400000_NS6detail17trampoline_kernelINS0_14default_configENS1_35radix_sort_onesweep_config_selectorImNS0_10empty_typeEEEZZNS1_29radix_sort_onesweep_iterationIS3_Lb1EPKmPmPS5_SB_mNS0_19identity_decomposerENS1_16block_id_wrapperIjLb1EEEEE10hipError_tT1_PNSt15iterator_traitsISG_E10value_typeET2_T3_PNSH_ISM_E10value_typeET4_T5_PSR_SS_PNS1_23onesweep_lookback_stateEbbT6_jjT7_P12ihipStream_tbENKUlT_T0_SG_SL_E_clIS9_SA_SB_SB_EEDaSZ_S10_SG_SL_EUlSZ_E_NS1_11comp_targetILNS1_3genE9ELNS1_11target_archE1100ELNS1_3gpuE3ELNS1_3repE0EEENS1_47radix_sort_onesweep_sort_config_static_selectorELNS0_4arch9wavefront6targetE0EEEvSG_.kd
    .uniform_work_group_size: 1
    .uses_dynamic_stack: false
    .vgpr_count:     0
    .vgpr_spill_count: 0
    .wavefront_size: 32
  - .args:
      - .offset:         0
        .size:           88
        .value_kind:     by_value
    .group_segment_fixed_size: 0
    .kernarg_segment_align: 8
    .kernarg_segment_size: 88
    .language:       OpenCL C
    .language_version:
      - 2
      - 0
    .max_flat_workgroup_size: 1024
    .name:           _ZN7rocprim17ROCPRIM_400000_NS6detail17trampoline_kernelINS0_14default_configENS1_35radix_sort_onesweep_config_selectorImNS0_10empty_typeEEEZZNS1_29radix_sort_onesweep_iterationIS3_Lb1EPKmPmPS5_SB_mNS0_19identity_decomposerENS1_16block_id_wrapperIjLb1EEEEE10hipError_tT1_PNSt15iterator_traitsISG_E10value_typeET2_T3_PNSH_ISM_E10value_typeET4_T5_PSR_SS_PNS1_23onesweep_lookback_stateEbbT6_jjT7_P12ihipStream_tbENKUlT_T0_SG_SL_E_clIS9_SA_SB_SB_EEDaSZ_S10_SG_SL_EUlSZ_E_NS1_11comp_targetILNS1_3genE8ELNS1_11target_archE1030ELNS1_3gpuE2ELNS1_3repE0EEENS1_47radix_sort_onesweep_sort_config_static_selectorELNS0_4arch9wavefront6targetE0EEEvSG_
    .private_segment_fixed_size: 0
    .sgpr_count:     0
    .sgpr_spill_count: 0
    .symbol:         _ZN7rocprim17ROCPRIM_400000_NS6detail17trampoline_kernelINS0_14default_configENS1_35radix_sort_onesweep_config_selectorImNS0_10empty_typeEEEZZNS1_29radix_sort_onesweep_iterationIS3_Lb1EPKmPmPS5_SB_mNS0_19identity_decomposerENS1_16block_id_wrapperIjLb1EEEEE10hipError_tT1_PNSt15iterator_traitsISG_E10value_typeET2_T3_PNSH_ISM_E10value_typeET4_T5_PSR_SS_PNS1_23onesweep_lookback_stateEbbT6_jjT7_P12ihipStream_tbENKUlT_T0_SG_SL_E_clIS9_SA_SB_SB_EEDaSZ_S10_SG_SL_EUlSZ_E_NS1_11comp_targetILNS1_3genE8ELNS1_11target_archE1030ELNS1_3gpuE2ELNS1_3repE0EEENS1_47radix_sort_onesweep_sort_config_static_selectorELNS0_4arch9wavefront6targetE0EEEvSG_.kd
    .uniform_work_group_size: 1
    .uses_dynamic_stack: false
    .vgpr_count:     0
    .vgpr_spill_count: 0
    .wavefront_size: 32
  - .args:
      - .offset:         0
        .size:           88
        .value_kind:     by_value
      - .offset:         88
        .size:           4
        .value_kind:     hidden_block_count_x
      - .offset:         92
        .size:           4
        .value_kind:     hidden_block_count_y
      - .offset:         96
        .size:           4
        .value_kind:     hidden_block_count_z
      - .offset:         100
        .size:           2
        .value_kind:     hidden_group_size_x
      - .offset:         102
        .size:           2
        .value_kind:     hidden_group_size_y
      - .offset:         104
        .size:           2
        .value_kind:     hidden_group_size_z
      - .offset:         106
        .size:           2
        .value_kind:     hidden_remainder_x
      - .offset:         108
        .size:           2
        .value_kind:     hidden_remainder_y
      - .offset:         110
        .size:           2
        .value_kind:     hidden_remainder_z
      - .offset:         128
        .size:           8
        .value_kind:     hidden_global_offset_x
      - .offset:         136
        .size:           8
        .value_kind:     hidden_global_offset_y
      - .offset:         144
        .size:           8
        .value_kind:     hidden_global_offset_z
      - .offset:         152
        .size:           2
        .value_kind:     hidden_grid_dims
    .group_segment_fixed_size: 18504
    .kernarg_segment_align: 8
    .kernarg_segment_size: 344
    .language:       OpenCL C
    .language_version:
      - 2
      - 0
    .max_flat_workgroup_size: 512
    .name:           _ZN7rocprim17ROCPRIM_400000_NS6detail17trampoline_kernelINS0_14default_configENS1_35radix_sort_onesweep_config_selectorImNS0_10empty_typeEEEZZNS1_29radix_sort_onesweep_iterationIS3_Lb1EPKmPmPS5_SB_mNS0_19identity_decomposerENS1_16block_id_wrapperIjLb1EEEEE10hipError_tT1_PNSt15iterator_traitsISG_E10value_typeET2_T3_PNSH_ISM_E10value_typeET4_T5_PSR_SS_PNS1_23onesweep_lookback_stateEbbT6_jjT7_P12ihipStream_tbENKUlT_T0_SG_SL_E_clISA_SA_SB_SB_EEDaSZ_S10_SG_SL_EUlSZ_E_NS1_11comp_targetILNS1_3genE0ELNS1_11target_archE4294967295ELNS1_3gpuE0ELNS1_3repE0EEENS1_47radix_sort_onesweep_sort_config_static_selectorELNS0_4arch9wavefront6targetE0EEEvSG_
    .private_segment_fixed_size: 0
    .sgpr_count:     30
    .sgpr_spill_count: 0
    .symbol:         _ZN7rocprim17ROCPRIM_400000_NS6detail17trampoline_kernelINS0_14default_configENS1_35radix_sort_onesweep_config_selectorImNS0_10empty_typeEEEZZNS1_29radix_sort_onesweep_iterationIS3_Lb1EPKmPmPS5_SB_mNS0_19identity_decomposerENS1_16block_id_wrapperIjLb1EEEEE10hipError_tT1_PNSt15iterator_traitsISG_E10value_typeET2_T3_PNSH_ISM_E10value_typeET4_T5_PSR_SS_PNS1_23onesweep_lookback_stateEbbT6_jjT7_P12ihipStream_tbENKUlT_T0_SG_SL_E_clISA_SA_SB_SB_EEDaSZ_S10_SG_SL_EUlSZ_E_NS1_11comp_targetILNS1_3genE0ELNS1_11target_archE4294967295ELNS1_3gpuE0ELNS1_3repE0EEENS1_47radix_sort_onesweep_sort_config_static_selectorELNS0_4arch9wavefront6targetE0EEEvSG_.kd
    .uniform_work_group_size: 1
    .uses_dynamic_stack: false
    .vgpr_count:     57
    .vgpr_spill_count: 0
    .wavefront_size: 32
  - .args:
      - .offset:         0
        .size:           88
        .value_kind:     by_value
    .group_segment_fixed_size: 0
    .kernarg_segment_align: 8
    .kernarg_segment_size: 88
    .language:       OpenCL C
    .language_version:
      - 2
      - 0
    .max_flat_workgroup_size: 512
    .name:           _ZN7rocprim17ROCPRIM_400000_NS6detail17trampoline_kernelINS0_14default_configENS1_35radix_sort_onesweep_config_selectorImNS0_10empty_typeEEEZZNS1_29radix_sort_onesweep_iterationIS3_Lb1EPKmPmPS5_SB_mNS0_19identity_decomposerENS1_16block_id_wrapperIjLb1EEEEE10hipError_tT1_PNSt15iterator_traitsISG_E10value_typeET2_T3_PNSH_ISM_E10value_typeET4_T5_PSR_SS_PNS1_23onesweep_lookback_stateEbbT6_jjT7_P12ihipStream_tbENKUlT_T0_SG_SL_E_clISA_SA_SB_SB_EEDaSZ_S10_SG_SL_EUlSZ_E_NS1_11comp_targetILNS1_3genE6ELNS1_11target_archE950ELNS1_3gpuE13ELNS1_3repE0EEENS1_47radix_sort_onesweep_sort_config_static_selectorELNS0_4arch9wavefront6targetE0EEEvSG_
    .private_segment_fixed_size: 0
    .sgpr_count:     0
    .sgpr_spill_count: 0
    .symbol:         _ZN7rocprim17ROCPRIM_400000_NS6detail17trampoline_kernelINS0_14default_configENS1_35radix_sort_onesweep_config_selectorImNS0_10empty_typeEEEZZNS1_29radix_sort_onesweep_iterationIS3_Lb1EPKmPmPS5_SB_mNS0_19identity_decomposerENS1_16block_id_wrapperIjLb1EEEEE10hipError_tT1_PNSt15iterator_traitsISG_E10value_typeET2_T3_PNSH_ISM_E10value_typeET4_T5_PSR_SS_PNS1_23onesweep_lookback_stateEbbT6_jjT7_P12ihipStream_tbENKUlT_T0_SG_SL_E_clISA_SA_SB_SB_EEDaSZ_S10_SG_SL_EUlSZ_E_NS1_11comp_targetILNS1_3genE6ELNS1_11target_archE950ELNS1_3gpuE13ELNS1_3repE0EEENS1_47radix_sort_onesweep_sort_config_static_selectorELNS0_4arch9wavefront6targetE0EEEvSG_.kd
    .uniform_work_group_size: 1
    .uses_dynamic_stack: false
    .vgpr_count:     0
    .vgpr_spill_count: 0
    .wavefront_size: 32
  - .args:
      - .offset:         0
        .size:           88
        .value_kind:     by_value
    .group_segment_fixed_size: 0
    .kernarg_segment_align: 8
    .kernarg_segment_size: 88
    .language:       OpenCL C
    .language_version:
      - 2
      - 0
    .max_flat_workgroup_size: 512
    .name:           _ZN7rocprim17ROCPRIM_400000_NS6detail17trampoline_kernelINS0_14default_configENS1_35radix_sort_onesweep_config_selectorImNS0_10empty_typeEEEZZNS1_29radix_sort_onesweep_iterationIS3_Lb1EPKmPmPS5_SB_mNS0_19identity_decomposerENS1_16block_id_wrapperIjLb1EEEEE10hipError_tT1_PNSt15iterator_traitsISG_E10value_typeET2_T3_PNSH_ISM_E10value_typeET4_T5_PSR_SS_PNS1_23onesweep_lookback_stateEbbT6_jjT7_P12ihipStream_tbENKUlT_T0_SG_SL_E_clISA_SA_SB_SB_EEDaSZ_S10_SG_SL_EUlSZ_E_NS1_11comp_targetILNS1_3genE5ELNS1_11target_archE942ELNS1_3gpuE9ELNS1_3repE0EEENS1_47radix_sort_onesweep_sort_config_static_selectorELNS0_4arch9wavefront6targetE0EEEvSG_
    .private_segment_fixed_size: 0
    .sgpr_count:     0
    .sgpr_spill_count: 0
    .symbol:         _ZN7rocprim17ROCPRIM_400000_NS6detail17trampoline_kernelINS0_14default_configENS1_35radix_sort_onesweep_config_selectorImNS0_10empty_typeEEEZZNS1_29radix_sort_onesweep_iterationIS3_Lb1EPKmPmPS5_SB_mNS0_19identity_decomposerENS1_16block_id_wrapperIjLb1EEEEE10hipError_tT1_PNSt15iterator_traitsISG_E10value_typeET2_T3_PNSH_ISM_E10value_typeET4_T5_PSR_SS_PNS1_23onesweep_lookback_stateEbbT6_jjT7_P12ihipStream_tbENKUlT_T0_SG_SL_E_clISA_SA_SB_SB_EEDaSZ_S10_SG_SL_EUlSZ_E_NS1_11comp_targetILNS1_3genE5ELNS1_11target_archE942ELNS1_3gpuE9ELNS1_3repE0EEENS1_47radix_sort_onesweep_sort_config_static_selectorELNS0_4arch9wavefront6targetE0EEEvSG_.kd
    .uniform_work_group_size: 1
    .uses_dynamic_stack: false
    .vgpr_count:     0
    .vgpr_spill_count: 0
    .wavefront_size: 32
  - .args:
      - .offset:         0
        .size:           88
        .value_kind:     by_value
    .group_segment_fixed_size: 0
    .kernarg_segment_align: 8
    .kernarg_segment_size: 88
    .language:       OpenCL C
    .language_version:
      - 2
      - 0
    .max_flat_workgroup_size: 512
    .name:           _ZN7rocprim17ROCPRIM_400000_NS6detail17trampoline_kernelINS0_14default_configENS1_35radix_sort_onesweep_config_selectorImNS0_10empty_typeEEEZZNS1_29radix_sort_onesweep_iterationIS3_Lb1EPKmPmPS5_SB_mNS0_19identity_decomposerENS1_16block_id_wrapperIjLb1EEEEE10hipError_tT1_PNSt15iterator_traitsISG_E10value_typeET2_T3_PNSH_ISM_E10value_typeET4_T5_PSR_SS_PNS1_23onesweep_lookback_stateEbbT6_jjT7_P12ihipStream_tbENKUlT_T0_SG_SL_E_clISA_SA_SB_SB_EEDaSZ_S10_SG_SL_EUlSZ_E_NS1_11comp_targetILNS1_3genE2ELNS1_11target_archE906ELNS1_3gpuE6ELNS1_3repE0EEENS1_47radix_sort_onesweep_sort_config_static_selectorELNS0_4arch9wavefront6targetE0EEEvSG_
    .private_segment_fixed_size: 0
    .sgpr_count:     0
    .sgpr_spill_count: 0
    .symbol:         _ZN7rocprim17ROCPRIM_400000_NS6detail17trampoline_kernelINS0_14default_configENS1_35radix_sort_onesweep_config_selectorImNS0_10empty_typeEEEZZNS1_29radix_sort_onesweep_iterationIS3_Lb1EPKmPmPS5_SB_mNS0_19identity_decomposerENS1_16block_id_wrapperIjLb1EEEEE10hipError_tT1_PNSt15iterator_traitsISG_E10value_typeET2_T3_PNSH_ISM_E10value_typeET4_T5_PSR_SS_PNS1_23onesweep_lookback_stateEbbT6_jjT7_P12ihipStream_tbENKUlT_T0_SG_SL_E_clISA_SA_SB_SB_EEDaSZ_S10_SG_SL_EUlSZ_E_NS1_11comp_targetILNS1_3genE2ELNS1_11target_archE906ELNS1_3gpuE6ELNS1_3repE0EEENS1_47radix_sort_onesweep_sort_config_static_selectorELNS0_4arch9wavefront6targetE0EEEvSG_.kd
    .uniform_work_group_size: 1
    .uses_dynamic_stack: false
    .vgpr_count:     0
    .vgpr_spill_count: 0
    .wavefront_size: 32
  - .args:
      - .offset:         0
        .size:           88
        .value_kind:     by_value
    .group_segment_fixed_size: 0
    .kernarg_segment_align: 8
    .kernarg_segment_size: 88
    .language:       OpenCL C
    .language_version:
      - 2
      - 0
    .max_flat_workgroup_size: 1024
    .name:           _ZN7rocprim17ROCPRIM_400000_NS6detail17trampoline_kernelINS0_14default_configENS1_35radix_sort_onesweep_config_selectorImNS0_10empty_typeEEEZZNS1_29radix_sort_onesweep_iterationIS3_Lb1EPKmPmPS5_SB_mNS0_19identity_decomposerENS1_16block_id_wrapperIjLb1EEEEE10hipError_tT1_PNSt15iterator_traitsISG_E10value_typeET2_T3_PNSH_ISM_E10value_typeET4_T5_PSR_SS_PNS1_23onesweep_lookback_stateEbbT6_jjT7_P12ihipStream_tbENKUlT_T0_SG_SL_E_clISA_SA_SB_SB_EEDaSZ_S10_SG_SL_EUlSZ_E_NS1_11comp_targetILNS1_3genE4ELNS1_11target_archE910ELNS1_3gpuE8ELNS1_3repE0EEENS1_47radix_sort_onesweep_sort_config_static_selectorELNS0_4arch9wavefront6targetE0EEEvSG_
    .private_segment_fixed_size: 0
    .sgpr_count:     0
    .sgpr_spill_count: 0
    .symbol:         _ZN7rocprim17ROCPRIM_400000_NS6detail17trampoline_kernelINS0_14default_configENS1_35radix_sort_onesweep_config_selectorImNS0_10empty_typeEEEZZNS1_29radix_sort_onesweep_iterationIS3_Lb1EPKmPmPS5_SB_mNS0_19identity_decomposerENS1_16block_id_wrapperIjLb1EEEEE10hipError_tT1_PNSt15iterator_traitsISG_E10value_typeET2_T3_PNSH_ISM_E10value_typeET4_T5_PSR_SS_PNS1_23onesweep_lookback_stateEbbT6_jjT7_P12ihipStream_tbENKUlT_T0_SG_SL_E_clISA_SA_SB_SB_EEDaSZ_S10_SG_SL_EUlSZ_E_NS1_11comp_targetILNS1_3genE4ELNS1_11target_archE910ELNS1_3gpuE8ELNS1_3repE0EEENS1_47radix_sort_onesweep_sort_config_static_selectorELNS0_4arch9wavefront6targetE0EEEvSG_.kd
    .uniform_work_group_size: 1
    .uses_dynamic_stack: false
    .vgpr_count:     0
    .vgpr_spill_count: 0
    .wavefront_size: 32
  - .args:
      - .offset:         0
        .size:           88
        .value_kind:     by_value
    .group_segment_fixed_size: 0
    .kernarg_segment_align: 8
    .kernarg_segment_size: 88
    .language:       OpenCL C
    .language_version:
      - 2
      - 0
    .max_flat_workgroup_size: 512
    .name:           _ZN7rocprim17ROCPRIM_400000_NS6detail17trampoline_kernelINS0_14default_configENS1_35radix_sort_onesweep_config_selectorImNS0_10empty_typeEEEZZNS1_29radix_sort_onesweep_iterationIS3_Lb1EPKmPmPS5_SB_mNS0_19identity_decomposerENS1_16block_id_wrapperIjLb1EEEEE10hipError_tT1_PNSt15iterator_traitsISG_E10value_typeET2_T3_PNSH_ISM_E10value_typeET4_T5_PSR_SS_PNS1_23onesweep_lookback_stateEbbT6_jjT7_P12ihipStream_tbENKUlT_T0_SG_SL_E_clISA_SA_SB_SB_EEDaSZ_S10_SG_SL_EUlSZ_E_NS1_11comp_targetILNS1_3genE3ELNS1_11target_archE908ELNS1_3gpuE7ELNS1_3repE0EEENS1_47radix_sort_onesweep_sort_config_static_selectorELNS0_4arch9wavefront6targetE0EEEvSG_
    .private_segment_fixed_size: 0
    .sgpr_count:     0
    .sgpr_spill_count: 0
    .symbol:         _ZN7rocprim17ROCPRIM_400000_NS6detail17trampoline_kernelINS0_14default_configENS1_35radix_sort_onesweep_config_selectorImNS0_10empty_typeEEEZZNS1_29radix_sort_onesweep_iterationIS3_Lb1EPKmPmPS5_SB_mNS0_19identity_decomposerENS1_16block_id_wrapperIjLb1EEEEE10hipError_tT1_PNSt15iterator_traitsISG_E10value_typeET2_T3_PNSH_ISM_E10value_typeET4_T5_PSR_SS_PNS1_23onesweep_lookback_stateEbbT6_jjT7_P12ihipStream_tbENKUlT_T0_SG_SL_E_clISA_SA_SB_SB_EEDaSZ_S10_SG_SL_EUlSZ_E_NS1_11comp_targetILNS1_3genE3ELNS1_11target_archE908ELNS1_3gpuE7ELNS1_3repE0EEENS1_47radix_sort_onesweep_sort_config_static_selectorELNS0_4arch9wavefront6targetE0EEEvSG_.kd
    .uniform_work_group_size: 1
    .uses_dynamic_stack: false
    .vgpr_count:     0
    .vgpr_spill_count: 0
    .wavefront_size: 32
  - .args:
      - .offset:         0
        .size:           88
        .value_kind:     by_value
    .group_segment_fixed_size: 0
    .kernarg_segment_align: 8
    .kernarg_segment_size: 88
    .language:       OpenCL C
    .language_version:
      - 2
      - 0
    .max_flat_workgroup_size: 512
    .name:           _ZN7rocprim17ROCPRIM_400000_NS6detail17trampoline_kernelINS0_14default_configENS1_35radix_sort_onesweep_config_selectorImNS0_10empty_typeEEEZZNS1_29radix_sort_onesweep_iterationIS3_Lb1EPKmPmPS5_SB_mNS0_19identity_decomposerENS1_16block_id_wrapperIjLb1EEEEE10hipError_tT1_PNSt15iterator_traitsISG_E10value_typeET2_T3_PNSH_ISM_E10value_typeET4_T5_PSR_SS_PNS1_23onesweep_lookback_stateEbbT6_jjT7_P12ihipStream_tbENKUlT_T0_SG_SL_E_clISA_SA_SB_SB_EEDaSZ_S10_SG_SL_EUlSZ_E_NS1_11comp_targetILNS1_3genE10ELNS1_11target_archE1201ELNS1_3gpuE5ELNS1_3repE0EEENS1_47radix_sort_onesweep_sort_config_static_selectorELNS0_4arch9wavefront6targetE0EEEvSG_
    .private_segment_fixed_size: 0
    .sgpr_count:     0
    .sgpr_spill_count: 0
    .symbol:         _ZN7rocprim17ROCPRIM_400000_NS6detail17trampoline_kernelINS0_14default_configENS1_35radix_sort_onesweep_config_selectorImNS0_10empty_typeEEEZZNS1_29radix_sort_onesweep_iterationIS3_Lb1EPKmPmPS5_SB_mNS0_19identity_decomposerENS1_16block_id_wrapperIjLb1EEEEE10hipError_tT1_PNSt15iterator_traitsISG_E10value_typeET2_T3_PNSH_ISM_E10value_typeET4_T5_PSR_SS_PNS1_23onesweep_lookback_stateEbbT6_jjT7_P12ihipStream_tbENKUlT_T0_SG_SL_E_clISA_SA_SB_SB_EEDaSZ_S10_SG_SL_EUlSZ_E_NS1_11comp_targetILNS1_3genE10ELNS1_11target_archE1201ELNS1_3gpuE5ELNS1_3repE0EEENS1_47radix_sort_onesweep_sort_config_static_selectorELNS0_4arch9wavefront6targetE0EEEvSG_.kd
    .uniform_work_group_size: 1
    .uses_dynamic_stack: false
    .vgpr_count:     0
    .vgpr_spill_count: 0
    .wavefront_size: 32
  - .args:
      - .offset:         0
        .size:           88
        .value_kind:     by_value
    .group_segment_fixed_size: 0
    .kernarg_segment_align: 8
    .kernarg_segment_size: 88
    .language:       OpenCL C
    .language_version:
      - 2
      - 0
    .max_flat_workgroup_size: 1024
    .name:           _ZN7rocprim17ROCPRIM_400000_NS6detail17trampoline_kernelINS0_14default_configENS1_35radix_sort_onesweep_config_selectorImNS0_10empty_typeEEEZZNS1_29radix_sort_onesweep_iterationIS3_Lb1EPKmPmPS5_SB_mNS0_19identity_decomposerENS1_16block_id_wrapperIjLb1EEEEE10hipError_tT1_PNSt15iterator_traitsISG_E10value_typeET2_T3_PNSH_ISM_E10value_typeET4_T5_PSR_SS_PNS1_23onesweep_lookback_stateEbbT6_jjT7_P12ihipStream_tbENKUlT_T0_SG_SL_E_clISA_SA_SB_SB_EEDaSZ_S10_SG_SL_EUlSZ_E_NS1_11comp_targetILNS1_3genE9ELNS1_11target_archE1100ELNS1_3gpuE3ELNS1_3repE0EEENS1_47radix_sort_onesweep_sort_config_static_selectorELNS0_4arch9wavefront6targetE0EEEvSG_
    .private_segment_fixed_size: 0
    .sgpr_count:     0
    .sgpr_spill_count: 0
    .symbol:         _ZN7rocprim17ROCPRIM_400000_NS6detail17trampoline_kernelINS0_14default_configENS1_35radix_sort_onesweep_config_selectorImNS0_10empty_typeEEEZZNS1_29radix_sort_onesweep_iterationIS3_Lb1EPKmPmPS5_SB_mNS0_19identity_decomposerENS1_16block_id_wrapperIjLb1EEEEE10hipError_tT1_PNSt15iterator_traitsISG_E10value_typeET2_T3_PNSH_ISM_E10value_typeET4_T5_PSR_SS_PNS1_23onesweep_lookback_stateEbbT6_jjT7_P12ihipStream_tbENKUlT_T0_SG_SL_E_clISA_SA_SB_SB_EEDaSZ_S10_SG_SL_EUlSZ_E_NS1_11comp_targetILNS1_3genE9ELNS1_11target_archE1100ELNS1_3gpuE3ELNS1_3repE0EEENS1_47radix_sort_onesweep_sort_config_static_selectorELNS0_4arch9wavefront6targetE0EEEvSG_.kd
    .uniform_work_group_size: 1
    .uses_dynamic_stack: false
    .vgpr_count:     0
    .vgpr_spill_count: 0
    .wavefront_size: 32
  - .args:
      - .offset:         0
        .size:           88
        .value_kind:     by_value
    .group_segment_fixed_size: 0
    .kernarg_segment_align: 8
    .kernarg_segment_size: 88
    .language:       OpenCL C
    .language_version:
      - 2
      - 0
    .max_flat_workgroup_size: 1024
    .name:           _ZN7rocprim17ROCPRIM_400000_NS6detail17trampoline_kernelINS0_14default_configENS1_35radix_sort_onesweep_config_selectorImNS0_10empty_typeEEEZZNS1_29radix_sort_onesweep_iterationIS3_Lb1EPKmPmPS5_SB_mNS0_19identity_decomposerENS1_16block_id_wrapperIjLb1EEEEE10hipError_tT1_PNSt15iterator_traitsISG_E10value_typeET2_T3_PNSH_ISM_E10value_typeET4_T5_PSR_SS_PNS1_23onesweep_lookback_stateEbbT6_jjT7_P12ihipStream_tbENKUlT_T0_SG_SL_E_clISA_SA_SB_SB_EEDaSZ_S10_SG_SL_EUlSZ_E_NS1_11comp_targetILNS1_3genE8ELNS1_11target_archE1030ELNS1_3gpuE2ELNS1_3repE0EEENS1_47radix_sort_onesweep_sort_config_static_selectorELNS0_4arch9wavefront6targetE0EEEvSG_
    .private_segment_fixed_size: 0
    .sgpr_count:     0
    .sgpr_spill_count: 0
    .symbol:         _ZN7rocprim17ROCPRIM_400000_NS6detail17trampoline_kernelINS0_14default_configENS1_35radix_sort_onesweep_config_selectorImNS0_10empty_typeEEEZZNS1_29radix_sort_onesweep_iterationIS3_Lb1EPKmPmPS5_SB_mNS0_19identity_decomposerENS1_16block_id_wrapperIjLb1EEEEE10hipError_tT1_PNSt15iterator_traitsISG_E10value_typeET2_T3_PNSH_ISM_E10value_typeET4_T5_PSR_SS_PNS1_23onesweep_lookback_stateEbbT6_jjT7_P12ihipStream_tbENKUlT_T0_SG_SL_E_clISA_SA_SB_SB_EEDaSZ_S10_SG_SL_EUlSZ_E_NS1_11comp_targetILNS1_3genE8ELNS1_11target_archE1030ELNS1_3gpuE2ELNS1_3repE0EEENS1_47radix_sort_onesweep_sort_config_static_selectorELNS0_4arch9wavefront6targetE0EEEvSG_.kd
    .uniform_work_group_size: 1
    .uses_dynamic_stack: false
    .vgpr_count:     0
    .vgpr_spill_count: 0
    .wavefront_size: 32
  - .args:
      - .offset:         0
        .size:           88
        .value_kind:     by_value
      - .offset:         88
        .size:           4
        .value_kind:     hidden_block_count_x
      - .offset:         92
        .size:           4
        .value_kind:     hidden_block_count_y
      - .offset:         96
        .size:           4
        .value_kind:     hidden_block_count_z
      - .offset:         100
        .size:           2
        .value_kind:     hidden_group_size_x
      - .offset:         102
        .size:           2
        .value_kind:     hidden_group_size_y
      - .offset:         104
        .size:           2
        .value_kind:     hidden_group_size_z
      - .offset:         106
        .size:           2
        .value_kind:     hidden_remainder_x
      - .offset:         108
        .size:           2
        .value_kind:     hidden_remainder_y
      - .offset:         110
        .size:           2
        .value_kind:     hidden_remainder_z
      - .offset:         128
        .size:           8
        .value_kind:     hidden_global_offset_x
      - .offset:         136
        .size:           8
        .value_kind:     hidden_global_offset_y
      - .offset:         144
        .size:           8
        .value_kind:     hidden_global_offset_z
      - .offset:         152
        .size:           2
        .value_kind:     hidden_grid_dims
    .group_segment_fixed_size: 18504
    .kernarg_segment_align: 8
    .kernarg_segment_size: 344
    .language:       OpenCL C
    .language_version:
      - 2
      - 0
    .max_flat_workgroup_size: 512
    .name:           _ZN7rocprim17ROCPRIM_400000_NS6detail17trampoline_kernelINS0_14default_configENS1_35radix_sort_onesweep_config_selectorImNS0_10empty_typeEEEZZNS1_29radix_sort_onesweep_iterationIS3_Lb1EPKmPmPS5_SB_mNS0_19identity_decomposerENS1_16block_id_wrapperIjLb0EEEEE10hipError_tT1_PNSt15iterator_traitsISG_E10value_typeET2_T3_PNSH_ISM_E10value_typeET4_T5_PSR_SS_PNS1_23onesweep_lookback_stateEbbT6_jjT7_P12ihipStream_tbENKUlT_T0_SG_SL_E_clIS9_SA_SB_SB_EEDaSZ_S10_SG_SL_EUlSZ_E_NS1_11comp_targetILNS1_3genE0ELNS1_11target_archE4294967295ELNS1_3gpuE0ELNS1_3repE0EEENS1_47radix_sort_onesweep_sort_config_static_selectorELNS0_4arch9wavefront6targetE0EEEvSG_
    .private_segment_fixed_size: 0
    .sgpr_count:     30
    .sgpr_spill_count: 0
    .symbol:         _ZN7rocprim17ROCPRIM_400000_NS6detail17trampoline_kernelINS0_14default_configENS1_35radix_sort_onesweep_config_selectorImNS0_10empty_typeEEEZZNS1_29radix_sort_onesweep_iterationIS3_Lb1EPKmPmPS5_SB_mNS0_19identity_decomposerENS1_16block_id_wrapperIjLb0EEEEE10hipError_tT1_PNSt15iterator_traitsISG_E10value_typeET2_T3_PNSH_ISM_E10value_typeET4_T5_PSR_SS_PNS1_23onesweep_lookback_stateEbbT6_jjT7_P12ihipStream_tbENKUlT_T0_SG_SL_E_clIS9_SA_SB_SB_EEDaSZ_S10_SG_SL_EUlSZ_E_NS1_11comp_targetILNS1_3genE0ELNS1_11target_archE4294967295ELNS1_3gpuE0ELNS1_3repE0EEENS1_47radix_sort_onesweep_sort_config_static_selectorELNS0_4arch9wavefront6targetE0EEEvSG_.kd
    .uniform_work_group_size: 1
    .uses_dynamic_stack: false
    .vgpr_count:     57
    .vgpr_spill_count: 0
    .wavefront_size: 32
  - .args:
      - .offset:         0
        .size:           88
        .value_kind:     by_value
    .group_segment_fixed_size: 0
    .kernarg_segment_align: 8
    .kernarg_segment_size: 88
    .language:       OpenCL C
    .language_version:
      - 2
      - 0
    .max_flat_workgroup_size: 512
    .name:           _ZN7rocprim17ROCPRIM_400000_NS6detail17trampoline_kernelINS0_14default_configENS1_35radix_sort_onesweep_config_selectorImNS0_10empty_typeEEEZZNS1_29radix_sort_onesweep_iterationIS3_Lb1EPKmPmPS5_SB_mNS0_19identity_decomposerENS1_16block_id_wrapperIjLb0EEEEE10hipError_tT1_PNSt15iterator_traitsISG_E10value_typeET2_T3_PNSH_ISM_E10value_typeET4_T5_PSR_SS_PNS1_23onesweep_lookback_stateEbbT6_jjT7_P12ihipStream_tbENKUlT_T0_SG_SL_E_clIS9_SA_SB_SB_EEDaSZ_S10_SG_SL_EUlSZ_E_NS1_11comp_targetILNS1_3genE6ELNS1_11target_archE950ELNS1_3gpuE13ELNS1_3repE0EEENS1_47radix_sort_onesweep_sort_config_static_selectorELNS0_4arch9wavefront6targetE0EEEvSG_
    .private_segment_fixed_size: 0
    .sgpr_count:     0
    .sgpr_spill_count: 0
    .symbol:         _ZN7rocprim17ROCPRIM_400000_NS6detail17trampoline_kernelINS0_14default_configENS1_35radix_sort_onesweep_config_selectorImNS0_10empty_typeEEEZZNS1_29radix_sort_onesweep_iterationIS3_Lb1EPKmPmPS5_SB_mNS0_19identity_decomposerENS1_16block_id_wrapperIjLb0EEEEE10hipError_tT1_PNSt15iterator_traitsISG_E10value_typeET2_T3_PNSH_ISM_E10value_typeET4_T5_PSR_SS_PNS1_23onesweep_lookback_stateEbbT6_jjT7_P12ihipStream_tbENKUlT_T0_SG_SL_E_clIS9_SA_SB_SB_EEDaSZ_S10_SG_SL_EUlSZ_E_NS1_11comp_targetILNS1_3genE6ELNS1_11target_archE950ELNS1_3gpuE13ELNS1_3repE0EEENS1_47radix_sort_onesweep_sort_config_static_selectorELNS0_4arch9wavefront6targetE0EEEvSG_.kd
    .uniform_work_group_size: 1
    .uses_dynamic_stack: false
    .vgpr_count:     0
    .vgpr_spill_count: 0
    .wavefront_size: 32
  - .args:
      - .offset:         0
        .size:           88
        .value_kind:     by_value
    .group_segment_fixed_size: 0
    .kernarg_segment_align: 8
    .kernarg_segment_size: 88
    .language:       OpenCL C
    .language_version:
      - 2
      - 0
    .max_flat_workgroup_size: 512
    .name:           _ZN7rocprim17ROCPRIM_400000_NS6detail17trampoline_kernelINS0_14default_configENS1_35radix_sort_onesweep_config_selectorImNS0_10empty_typeEEEZZNS1_29radix_sort_onesweep_iterationIS3_Lb1EPKmPmPS5_SB_mNS0_19identity_decomposerENS1_16block_id_wrapperIjLb0EEEEE10hipError_tT1_PNSt15iterator_traitsISG_E10value_typeET2_T3_PNSH_ISM_E10value_typeET4_T5_PSR_SS_PNS1_23onesweep_lookback_stateEbbT6_jjT7_P12ihipStream_tbENKUlT_T0_SG_SL_E_clIS9_SA_SB_SB_EEDaSZ_S10_SG_SL_EUlSZ_E_NS1_11comp_targetILNS1_3genE5ELNS1_11target_archE942ELNS1_3gpuE9ELNS1_3repE0EEENS1_47radix_sort_onesweep_sort_config_static_selectorELNS0_4arch9wavefront6targetE0EEEvSG_
    .private_segment_fixed_size: 0
    .sgpr_count:     0
    .sgpr_spill_count: 0
    .symbol:         _ZN7rocprim17ROCPRIM_400000_NS6detail17trampoline_kernelINS0_14default_configENS1_35radix_sort_onesweep_config_selectorImNS0_10empty_typeEEEZZNS1_29radix_sort_onesweep_iterationIS3_Lb1EPKmPmPS5_SB_mNS0_19identity_decomposerENS1_16block_id_wrapperIjLb0EEEEE10hipError_tT1_PNSt15iterator_traitsISG_E10value_typeET2_T3_PNSH_ISM_E10value_typeET4_T5_PSR_SS_PNS1_23onesweep_lookback_stateEbbT6_jjT7_P12ihipStream_tbENKUlT_T0_SG_SL_E_clIS9_SA_SB_SB_EEDaSZ_S10_SG_SL_EUlSZ_E_NS1_11comp_targetILNS1_3genE5ELNS1_11target_archE942ELNS1_3gpuE9ELNS1_3repE0EEENS1_47radix_sort_onesweep_sort_config_static_selectorELNS0_4arch9wavefront6targetE0EEEvSG_.kd
    .uniform_work_group_size: 1
    .uses_dynamic_stack: false
    .vgpr_count:     0
    .vgpr_spill_count: 0
    .wavefront_size: 32
  - .args:
      - .offset:         0
        .size:           88
        .value_kind:     by_value
    .group_segment_fixed_size: 0
    .kernarg_segment_align: 8
    .kernarg_segment_size: 88
    .language:       OpenCL C
    .language_version:
      - 2
      - 0
    .max_flat_workgroup_size: 512
    .name:           _ZN7rocprim17ROCPRIM_400000_NS6detail17trampoline_kernelINS0_14default_configENS1_35radix_sort_onesweep_config_selectorImNS0_10empty_typeEEEZZNS1_29radix_sort_onesweep_iterationIS3_Lb1EPKmPmPS5_SB_mNS0_19identity_decomposerENS1_16block_id_wrapperIjLb0EEEEE10hipError_tT1_PNSt15iterator_traitsISG_E10value_typeET2_T3_PNSH_ISM_E10value_typeET4_T5_PSR_SS_PNS1_23onesweep_lookback_stateEbbT6_jjT7_P12ihipStream_tbENKUlT_T0_SG_SL_E_clIS9_SA_SB_SB_EEDaSZ_S10_SG_SL_EUlSZ_E_NS1_11comp_targetILNS1_3genE2ELNS1_11target_archE906ELNS1_3gpuE6ELNS1_3repE0EEENS1_47radix_sort_onesweep_sort_config_static_selectorELNS0_4arch9wavefront6targetE0EEEvSG_
    .private_segment_fixed_size: 0
    .sgpr_count:     0
    .sgpr_spill_count: 0
    .symbol:         _ZN7rocprim17ROCPRIM_400000_NS6detail17trampoline_kernelINS0_14default_configENS1_35radix_sort_onesweep_config_selectorImNS0_10empty_typeEEEZZNS1_29radix_sort_onesweep_iterationIS3_Lb1EPKmPmPS5_SB_mNS0_19identity_decomposerENS1_16block_id_wrapperIjLb0EEEEE10hipError_tT1_PNSt15iterator_traitsISG_E10value_typeET2_T3_PNSH_ISM_E10value_typeET4_T5_PSR_SS_PNS1_23onesweep_lookback_stateEbbT6_jjT7_P12ihipStream_tbENKUlT_T0_SG_SL_E_clIS9_SA_SB_SB_EEDaSZ_S10_SG_SL_EUlSZ_E_NS1_11comp_targetILNS1_3genE2ELNS1_11target_archE906ELNS1_3gpuE6ELNS1_3repE0EEENS1_47radix_sort_onesweep_sort_config_static_selectorELNS0_4arch9wavefront6targetE0EEEvSG_.kd
    .uniform_work_group_size: 1
    .uses_dynamic_stack: false
    .vgpr_count:     0
    .vgpr_spill_count: 0
    .wavefront_size: 32
  - .args:
      - .offset:         0
        .size:           88
        .value_kind:     by_value
    .group_segment_fixed_size: 0
    .kernarg_segment_align: 8
    .kernarg_segment_size: 88
    .language:       OpenCL C
    .language_version:
      - 2
      - 0
    .max_flat_workgroup_size: 1024
    .name:           _ZN7rocprim17ROCPRIM_400000_NS6detail17trampoline_kernelINS0_14default_configENS1_35radix_sort_onesweep_config_selectorImNS0_10empty_typeEEEZZNS1_29radix_sort_onesweep_iterationIS3_Lb1EPKmPmPS5_SB_mNS0_19identity_decomposerENS1_16block_id_wrapperIjLb0EEEEE10hipError_tT1_PNSt15iterator_traitsISG_E10value_typeET2_T3_PNSH_ISM_E10value_typeET4_T5_PSR_SS_PNS1_23onesweep_lookback_stateEbbT6_jjT7_P12ihipStream_tbENKUlT_T0_SG_SL_E_clIS9_SA_SB_SB_EEDaSZ_S10_SG_SL_EUlSZ_E_NS1_11comp_targetILNS1_3genE4ELNS1_11target_archE910ELNS1_3gpuE8ELNS1_3repE0EEENS1_47radix_sort_onesweep_sort_config_static_selectorELNS0_4arch9wavefront6targetE0EEEvSG_
    .private_segment_fixed_size: 0
    .sgpr_count:     0
    .sgpr_spill_count: 0
    .symbol:         _ZN7rocprim17ROCPRIM_400000_NS6detail17trampoline_kernelINS0_14default_configENS1_35radix_sort_onesweep_config_selectorImNS0_10empty_typeEEEZZNS1_29radix_sort_onesweep_iterationIS3_Lb1EPKmPmPS5_SB_mNS0_19identity_decomposerENS1_16block_id_wrapperIjLb0EEEEE10hipError_tT1_PNSt15iterator_traitsISG_E10value_typeET2_T3_PNSH_ISM_E10value_typeET4_T5_PSR_SS_PNS1_23onesweep_lookback_stateEbbT6_jjT7_P12ihipStream_tbENKUlT_T0_SG_SL_E_clIS9_SA_SB_SB_EEDaSZ_S10_SG_SL_EUlSZ_E_NS1_11comp_targetILNS1_3genE4ELNS1_11target_archE910ELNS1_3gpuE8ELNS1_3repE0EEENS1_47radix_sort_onesweep_sort_config_static_selectorELNS0_4arch9wavefront6targetE0EEEvSG_.kd
    .uniform_work_group_size: 1
    .uses_dynamic_stack: false
    .vgpr_count:     0
    .vgpr_spill_count: 0
    .wavefront_size: 32
  - .args:
      - .offset:         0
        .size:           88
        .value_kind:     by_value
    .group_segment_fixed_size: 0
    .kernarg_segment_align: 8
    .kernarg_segment_size: 88
    .language:       OpenCL C
    .language_version:
      - 2
      - 0
    .max_flat_workgroup_size: 512
    .name:           _ZN7rocprim17ROCPRIM_400000_NS6detail17trampoline_kernelINS0_14default_configENS1_35radix_sort_onesweep_config_selectorImNS0_10empty_typeEEEZZNS1_29radix_sort_onesweep_iterationIS3_Lb1EPKmPmPS5_SB_mNS0_19identity_decomposerENS1_16block_id_wrapperIjLb0EEEEE10hipError_tT1_PNSt15iterator_traitsISG_E10value_typeET2_T3_PNSH_ISM_E10value_typeET4_T5_PSR_SS_PNS1_23onesweep_lookback_stateEbbT6_jjT7_P12ihipStream_tbENKUlT_T0_SG_SL_E_clIS9_SA_SB_SB_EEDaSZ_S10_SG_SL_EUlSZ_E_NS1_11comp_targetILNS1_3genE3ELNS1_11target_archE908ELNS1_3gpuE7ELNS1_3repE0EEENS1_47radix_sort_onesweep_sort_config_static_selectorELNS0_4arch9wavefront6targetE0EEEvSG_
    .private_segment_fixed_size: 0
    .sgpr_count:     0
    .sgpr_spill_count: 0
    .symbol:         _ZN7rocprim17ROCPRIM_400000_NS6detail17trampoline_kernelINS0_14default_configENS1_35radix_sort_onesweep_config_selectorImNS0_10empty_typeEEEZZNS1_29radix_sort_onesweep_iterationIS3_Lb1EPKmPmPS5_SB_mNS0_19identity_decomposerENS1_16block_id_wrapperIjLb0EEEEE10hipError_tT1_PNSt15iterator_traitsISG_E10value_typeET2_T3_PNSH_ISM_E10value_typeET4_T5_PSR_SS_PNS1_23onesweep_lookback_stateEbbT6_jjT7_P12ihipStream_tbENKUlT_T0_SG_SL_E_clIS9_SA_SB_SB_EEDaSZ_S10_SG_SL_EUlSZ_E_NS1_11comp_targetILNS1_3genE3ELNS1_11target_archE908ELNS1_3gpuE7ELNS1_3repE0EEENS1_47radix_sort_onesweep_sort_config_static_selectorELNS0_4arch9wavefront6targetE0EEEvSG_.kd
    .uniform_work_group_size: 1
    .uses_dynamic_stack: false
    .vgpr_count:     0
    .vgpr_spill_count: 0
    .wavefront_size: 32
  - .args:
      - .offset:         0
        .size:           88
        .value_kind:     by_value
    .group_segment_fixed_size: 0
    .kernarg_segment_align: 8
    .kernarg_segment_size: 88
    .language:       OpenCL C
    .language_version:
      - 2
      - 0
    .max_flat_workgroup_size: 512
    .name:           _ZN7rocprim17ROCPRIM_400000_NS6detail17trampoline_kernelINS0_14default_configENS1_35radix_sort_onesweep_config_selectorImNS0_10empty_typeEEEZZNS1_29radix_sort_onesweep_iterationIS3_Lb1EPKmPmPS5_SB_mNS0_19identity_decomposerENS1_16block_id_wrapperIjLb0EEEEE10hipError_tT1_PNSt15iterator_traitsISG_E10value_typeET2_T3_PNSH_ISM_E10value_typeET4_T5_PSR_SS_PNS1_23onesweep_lookback_stateEbbT6_jjT7_P12ihipStream_tbENKUlT_T0_SG_SL_E_clIS9_SA_SB_SB_EEDaSZ_S10_SG_SL_EUlSZ_E_NS1_11comp_targetILNS1_3genE10ELNS1_11target_archE1201ELNS1_3gpuE5ELNS1_3repE0EEENS1_47radix_sort_onesweep_sort_config_static_selectorELNS0_4arch9wavefront6targetE0EEEvSG_
    .private_segment_fixed_size: 0
    .sgpr_count:     0
    .sgpr_spill_count: 0
    .symbol:         _ZN7rocprim17ROCPRIM_400000_NS6detail17trampoline_kernelINS0_14default_configENS1_35radix_sort_onesweep_config_selectorImNS0_10empty_typeEEEZZNS1_29radix_sort_onesweep_iterationIS3_Lb1EPKmPmPS5_SB_mNS0_19identity_decomposerENS1_16block_id_wrapperIjLb0EEEEE10hipError_tT1_PNSt15iterator_traitsISG_E10value_typeET2_T3_PNSH_ISM_E10value_typeET4_T5_PSR_SS_PNS1_23onesweep_lookback_stateEbbT6_jjT7_P12ihipStream_tbENKUlT_T0_SG_SL_E_clIS9_SA_SB_SB_EEDaSZ_S10_SG_SL_EUlSZ_E_NS1_11comp_targetILNS1_3genE10ELNS1_11target_archE1201ELNS1_3gpuE5ELNS1_3repE0EEENS1_47radix_sort_onesweep_sort_config_static_selectorELNS0_4arch9wavefront6targetE0EEEvSG_.kd
    .uniform_work_group_size: 1
    .uses_dynamic_stack: false
    .vgpr_count:     0
    .vgpr_spill_count: 0
    .wavefront_size: 32
  - .args:
      - .offset:         0
        .size:           88
        .value_kind:     by_value
    .group_segment_fixed_size: 0
    .kernarg_segment_align: 8
    .kernarg_segment_size: 88
    .language:       OpenCL C
    .language_version:
      - 2
      - 0
    .max_flat_workgroup_size: 1024
    .name:           _ZN7rocprim17ROCPRIM_400000_NS6detail17trampoline_kernelINS0_14default_configENS1_35radix_sort_onesweep_config_selectorImNS0_10empty_typeEEEZZNS1_29radix_sort_onesweep_iterationIS3_Lb1EPKmPmPS5_SB_mNS0_19identity_decomposerENS1_16block_id_wrapperIjLb0EEEEE10hipError_tT1_PNSt15iterator_traitsISG_E10value_typeET2_T3_PNSH_ISM_E10value_typeET4_T5_PSR_SS_PNS1_23onesweep_lookback_stateEbbT6_jjT7_P12ihipStream_tbENKUlT_T0_SG_SL_E_clIS9_SA_SB_SB_EEDaSZ_S10_SG_SL_EUlSZ_E_NS1_11comp_targetILNS1_3genE9ELNS1_11target_archE1100ELNS1_3gpuE3ELNS1_3repE0EEENS1_47radix_sort_onesweep_sort_config_static_selectorELNS0_4arch9wavefront6targetE0EEEvSG_
    .private_segment_fixed_size: 0
    .sgpr_count:     0
    .sgpr_spill_count: 0
    .symbol:         _ZN7rocprim17ROCPRIM_400000_NS6detail17trampoline_kernelINS0_14default_configENS1_35radix_sort_onesweep_config_selectorImNS0_10empty_typeEEEZZNS1_29radix_sort_onesweep_iterationIS3_Lb1EPKmPmPS5_SB_mNS0_19identity_decomposerENS1_16block_id_wrapperIjLb0EEEEE10hipError_tT1_PNSt15iterator_traitsISG_E10value_typeET2_T3_PNSH_ISM_E10value_typeET4_T5_PSR_SS_PNS1_23onesweep_lookback_stateEbbT6_jjT7_P12ihipStream_tbENKUlT_T0_SG_SL_E_clIS9_SA_SB_SB_EEDaSZ_S10_SG_SL_EUlSZ_E_NS1_11comp_targetILNS1_3genE9ELNS1_11target_archE1100ELNS1_3gpuE3ELNS1_3repE0EEENS1_47radix_sort_onesweep_sort_config_static_selectorELNS0_4arch9wavefront6targetE0EEEvSG_.kd
    .uniform_work_group_size: 1
    .uses_dynamic_stack: false
    .vgpr_count:     0
    .vgpr_spill_count: 0
    .wavefront_size: 32
  - .args:
      - .offset:         0
        .size:           88
        .value_kind:     by_value
    .group_segment_fixed_size: 0
    .kernarg_segment_align: 8
    .kernarg_segment_size: 88
    .language:       OpenCL C
    .language_version:
      - 2
      - 0
    .max_flat_workgroup_size: 1024
    .name:           _ZN7rocprim17ROCPRIM_400000_NS6detail17trampoline_kernelINS0_14default_configENS1_35radix_sort_onesweep_config_selectorImNS0_10empty_typeEEEZZNS1_29radix_sort_onesweep_iterationIS3_Lb1EPKmPmPS5_SB_mNS0_19identity_decomposerENS1_16block_id_wrapperIjLb0EEEEE10hipError_tT1_PNSt15iterator_traitsISG_E10value_typeET2_T3_PNSH_ISM_E10value_typeET4_T5_PSR_SS_PNS1_23onesweep_lookback_stateEbbT6_jjT7_P12ihipStream_tbENKUlT_T0_SG_SL_E_clIS9_SA_SB_SB_EEDaSZ_S10_SG_SL_EUlSZ_E_NS1_11comp_targetILNS1_3genE8ELNS1_11target_archE1030ELNS1_3gpuE2ELNS1_3repE0EEENS1_47radix_sort_onesweep_sort_config_static_selectorELNS0_4arch9wavefront6targetE0EEEvSG_
    .private_segment_fixed_size: 0
    .sgpr_count:     0
    .sgpr_spill_count: 0
    .symbol:         _ZN7rocprim17ROCPRIM_400000_NS6detail17trampoline_kernelINS0_14default_configENS1_35radix_sort_onesweep_config_selectorImNS0_10empty_typeEEEZZNS1_29radix_sort_onesweep_iterationIS3_Lb1EPKmPmPS5_SB_mNS0_19identity_decomposerENS1_16block_id_wrapperIjLb0EEEEE10hipError_tT1_PNSt15iterator_traitsISG_E10value_typeET2_T3_PNSH_ISM_E10value_typeET4_T5_PSR_SS_PNS1_23onesweep_lookback_stateEbbT6_jjT7_P12ihipStream_tbENKUlT_T0_SG_SL_E_clIS9_SA_SB_SB_EEDaSZ_S10_SG_SL_EUlSZ_E_NS1_11comp_targetILNS1_3genE8ELNS1_11target_archE1030ELNS1_3gpuE2ELNS1_3repE0EEENS1_47radix_sort_onesweep_sort_config_static_selectorELNS0_4arch9wavefront6targetE0EEEvSG_.kd
    .uniform_work_group_size: 1
    .uses_dynamic_stack: false
    .vgpr_count:     0
    .vgpr_spill_count: 0
    .wavefront_size: 32
  - .args:
      - .offset:         0
        .size:           88
        .value_kind:     by_value
      - .offset:         88
        .size:           4
        .value_kind:     hidden_block_count_x
      - .offset:         92
        .size:           4
        .value_kind:     hidden_block_count_y
      - .offset:         96
        .size:           4
        .value_kind:     hidden_block_count_z
      - .offset:         100
        .size:           2
        .value_kind:     hidden_group_size_x
      - .offset:         102
        .size:           2
        .value_kind:     hidden_group_size_y
      - .offset:         104
        .size:           2
        .value_kind:     hidden_group_size_z
      - .offset:         106
        .size:           2
        .value_kind:     hidden_remainder_x
      - .offset:         108
        .size:           2
        .value_kind:     hidden_remainder_y
      - .offset:         110
        .size:           2
        .value_kind:     hidden_remainder_z
      - .offset:         128
        .size:           8
        .value_kind:     hidden_global_offset_x
      - .offset:         136
        .size:           8
        .value_kind:     hidden_global_offset_y
      - .offset:         144
        .size:           8
        .value_kind:     hidden_global_offset_z
      - .offset:         152
        .size:           2
        .value_kind:     hidden_grid_dims
    .group_segment_fixed_size: 18504
    .kernarg_segment_align: 8
    .kernarg_segment_size: 344
    .language:       OpenCL C
    .language_version:
      - 2
      - 0
    .max_flat_workgroup_size: 512
    .name:           _ZN7rocprim17ROCPRIM_400000_NS6detail17trampoline_kernelINS0_14default_configENS1_35radix_sort_onesweep_config_selectorImNS0_10empty_typeEEEZZNS1_29radix_sort_onesweep_iterationIS3_Lb1EPKmPmPS5_SB_mNS0_19identity_decomposerENS1_16block_id_wrapperIjLb0EEEEE10hipError_tT1_PNSt15iterator_traitsISG_E10value_typeET2_T3_PNSH_ISM_E10value_typeET4_T5_PSR_SS_PNS1_23onesweep_lookback_stateEbbT6_jjT7_P12ihipStream_tbENKUlT_T0_SG_SL_E_clISA_SA_SB_SB_EEDaSZ_S10_SG_SL_EUlSZ_E_NS1_11comp_targetILNS1_3genE0ELNS1_11target_archE4294967295ELNS1_3gpuE0ELNS1_3repE0EEENS1_47radix_sort_onesweep_sort_config_static_selectorELNS0_4arch9wavefront6targetE0EEEvSG_
    .private_segment_fixed_size: 0
    .sgpr_count:     30
    .sgpr_spill_count: 0
    .symbol:         _ZN7rocprim17ROCPRIM_400000_NS6detail17trampoline_kernelINS0_14default_configENS1_35radix_sort_onesweep_config_selectorImNS0_10empty_typeEEEZZNS1_29radix_sort_onesweep_iterationIS3_Lb1EPKmPmPS5_SB_mNS0_19identity_decomposerENS1_16block_id_wrapperIjLb0EEEEE10hipError_tT1_PNSt15iterator_traitsISG_E10value_typeET2_T3_PNSH_ISM_E10value_typeET4_T5_PSR_SS_PNS1_23onesweep_lookback_stateEbbT6_jjT7_P12ihipStream_tbENKUlT_T0_SG_SL_E_clISA_SA_SB_SB_EEDaSZ_S10_SG_SL_EUlSZ_E_NS1_11comp_targetILNS1_3genE0ELNS1_11target_archE4294967295ELNS1_3gpuE0ELNS1_3repE0EEENS1_47radix_sort_onesweep_sort_config_static_selectorELNS0_4arch9wavefront6targetE0EEEvSG_.kd
    .uniform_work_group_size: 1
    .uses_dynamic_stack: false
    .vgpr_count:     57
    .vgpr_spill_count: 0
    .wavefront_size: 32
  - .args:
      - .offset:         0
        .size:           88
        .value_kind:     by_value
    .group_segment_fixed_size: 0
    .kernarg_segment_align: 8
    .kernarg_segment_size: 88
    .language:       OpenCL C
    .language_version:
      - 2
      - 0
    .max_flat_workgroup_size: 512
    .name:           _ZN7rocprim17ROCPRIM_400000_NS6detail17trampoline_kernelINS0_14default_configENS1_35radix_sort_onesweep_config_selectorImNS0_10empty_typeEEEZZNS1_29radix_sort_onesweep_iterationIS3_Lb1EPKmPmPS5_SB_mNS0_19identity_decomposerENS1_16block_id_wrapperIjLb0EEEEE10hipError_tT1_PNSt15iterator_traitsISG_E10value_typeET2_T3_PNSH_ISM_E10value_typeET4_T5_PSR_SS_PNS1_23onesweep_lookback_stateEbbT6_jjT7_P12ihipStream_tbENKUlT_T0_SG_SL_E_clISA_SA_SB_SB_EEDaSZ_S10_SG_SL_EUlSZ_E_NS1_11comp_targetILNS1_3genE6ELNS1_11target_archE950ELNS1_3gpuE13ELNS1_3repE0EEENS1_47radix_sort_onesweep_sort_config_static_selectorELNS0_4arch9wavefront6targetE0EEEvSG_
    .private_segment_fixed_size: 0
    .sgpr_count:     0
    .sgpr_spill_count: 0
    .symbol:         _ZN7rocprim17ROCPRIM_400000_NS6detail17trampoline_kernelINS0_14default_configENS1_35radix_sort_onesweep_config_selectorImNS0_10empty_typeEEEZZNS1_29radix_sort_onesweep_iterationIS3_Lb1EPKmPmPS5_SB_mNS0_19identity_decomposerENS1_16block_id_wrapperIjLb0EEEEE10hipError_tT1_PNSt15iterator_traitsISG_E10value_typeET2_T3_PNSH_ISM_E10value_typeET4_T5_PSR_SS_PNS1_23onesweep_lookback_stateEbbT6_jjT7_P12ihipStream_tbENKUlT_T0_SG_SL_E_clISA_SA_SB_SB_EEDaSZ_S10_SG_SL_EUlSZ_E_NS1_11comp_targetILNS1_3genE6ELNS1_11target_archE950ELNS1_3gpuE13ELNS1_3repE0EEENS1_47radix_sort_onesweep_sort_config_static_selectorELNS0_4arch9wavefront6targetE0EEEvSG_.kd
    .uniform_work_group_size: 1
    .uses_dynamic_stack: false
    .vgpr_count:     0
    .vgpr_spill_count: 0
    .wavefront_size: 32
  - .args:
      - .offset:         0
        .size:           88
        .value_kind:     by_value
    .group_segment_fixed_size: 0
    .kernarg_segment_align: 8
    .kernarg_segment_size: 88
    .language:       OpenCL C
    .language_version:
      - 2
      - 0
    .max_flat_workgroup_size: 512
    .name:           _ZN7rocprim17ROCPRIM_400000_NS6detail17trampoline_kernelINS0_14default_configENS1_35radix_sort_onesweep_config_selectorImNS0_10empty_typeEEEZZNS1_29radix_sort_onesweep_iterationIS3_Lb1EPKmPmPS5_SB_mNS0_19identity_decomposerENS1_16block_id_wrapperIjLb0EEEEE10hipError_tT1_PNSt15iterator_traitsISG_E10value_typeET2_T3_PNSH_ISM_E10value_typeET4_T5_PSR_SS_PNS1_23onesweep_lookback_stateEbbT6_jjT7_P12ihipStream_tbENKUlT_T0_SG_SL_E_clISA_SA_SB_SB_EEDaSZ_S10_SG_SL_EUlSZ_E_NS1_11comp_targetILNS1_3genE5ELNS1_11target_archE942ELNS1_3gpuE9ELNS1_3repE0EEENS1_47radix_sort_onesweep_sort_config_static_selectorELNS0_4arch9wavefront6targetE0EEEvSG_
    .private_segment_fixed_size: 0
    .sgpr_count:     0
    .sgpr_spill_count: 0
    .symbol:         _ZN7rocprim17ROCPRIM_400000_NS6detail17trampoline_kernelINS0_14default_configENS1_35radix_sort_onesweep_config_selectorImNS0_10empty_typeEEEZZNS1_29radix_sort_onesweep_iterationIS3_Lb1EPKmPmPS5_SB_mNS0_19identity_decomposerENS1_16block_id_wrapperIjLb0EEEEE10hipError_tT1_PNSt15iterator_traitsISG_E10value_typeET2_T3_PNSH_ISM_E10value_typeET4_T5_PSR_SS_PNS1_23onesweep_lookback_stateEbbT6_jjT7_P12ihipStream_tbENKUlT_T0_SG_SL_E_clISA_SA_SB_SB_EEDaSZ_S10_SG_SL_EUlSZ_E_NS1_11comp_targetILNS1_3genE5ELNS1_11target_archE942ELNS1_3gpuE9ELNS1_3repE0EEENS1_47radix_sort_onesweep_sort_config_static_selectorELNS0_4arch9wavefront6targetE0EEEvSG_.kd
    .uniform_work_group_size: 1
    .uses_dynamic_stack: false
    .vgpr_count:     0
    .vgpr_spill_count: 0
    .wavefront_size: 32
  - .args:
      - .offset:         0
        .size:           88
        .value_kind:     by_value
    .group_segment_fixed_size: 0
    .kernarg_segment_align: 8
    .kernarg_segment_size: 88
    .language:       OpenCL C
    .language_version:
      - 2
      - 0
    .max_flat_workgroup_size: 512
    .name:           _ZN7rocprim17ROCPRIM_400000_NS6detail17trampoline_kernelINS0_14default_configENS1_35radix_sort_onesweep_config_selectorImNS0_10empty_typeEEEZZNS1_29radix_sort_onesweep_iterationIS3_Lb1EPKmPmPS5_SB_mNS0_19identity_decomposerENS1_16block_id_wrapperIjLb0EEEEE10hipError_tT1_PNSt15iterator_traitsISG_E10value_typeET2_T3_PNSH_ISM_E10value_typeET4_T5_PSR_SS_PNS1_23onesweep_lookback_stateEbbT6_jjT7_P12ihipStream_tbENKUlT_T0_SG_SL_E_clISA_SA_SB_SB_EEDaSZ_S10_SG_SL_EUlSZ_E_NS1_11comp_targetILNS1_3genE2ELNS1_11target_archE906ELNS1_3gpuE6ELNS1_3repE0EEENS1_47radix_sort_onesweep_sort_config_static_selectorELNS0_4arch9wavefront6targetE0EEEvSG_
    .private_segment_fixed_size: 0
    .sgpr_count:     0
    .sgpr_spill_count: 0
    .symbol:         _ZN7rocprim17ROCPRIM_400000_NS6detail17trampoline_kernelINS0_14default_configENS1_35radix_sort_onesweep_config_selectorImNS0_10empty_typeEEEZZNS1_29radix_sort_onesweep_iterationIS3_Lb1EPKmPmPS5_SB_mNS0_19identity_decomposerENS1_16block_id_wrapperIjLb0EEEEE10hipError_tT1_PNSt15iterator_traitsISG_E10value_typeET2_T3_PNSH_ISM_E10value_typeET4_T5_PSR_SS_PNS1_23onesweep_lookback_stateEbbT6_jjT7_P12ihipStream_tbENKUlT_T0_SG_SL_E_clISA_SA_SB_SB_EEDaSZ_S10_SG_SL_EUlSZ_E_NS1_11comp_targetILNS1_3genE2ELNS1_11target_archE906ELNS1_3gpuE6ELNS1_3repE0EEENS1_47radix_sort_onesweep_sort_config_static_selectorELNS0_4arch9wavefront6targetE0EEEvSG_.kd
    .uniform_work_group_size: 1
    .uses_dynamic_stack: false
    .vgpr_count:     0
    .vgpr_spill_count: 0
    .wavefront_size: 32
  - .args:
      - .offset:         0
        .size:           88
        .value_kind:     by_value
    .group_segment_fixed_size: 0
    .kernarg_segment_align: 8
    .kernarg_segment_size: 88
    .language:       OpenCL C
    .language_version:
      - 2
      - 0
    .max_flat_workgroup_size: 1024
    .name:           _ZN7rocprim17ROCPRIM_400000_NS6detail17trampoline_kernelINS0_14default_configENS1_35radix_sort_onesweep_config_selectorImNS0_10empty_typeEEEZZNS1_29radix_sort_onesweep_iterationIS3_Lb1EPKmPmPS5_SB_mNS0_19identity_decomposerENS1_16block_id_wrapperIjLb0EEEEE10hipError_tT1_PNSt15iterator_traitsISG_E10value_typeET2_T3_PNSH_ISM_E10value_typeET4_T5_PSR_SS_PNS1_23onesweep_lookback_stateEbbT6_jjT7_P12ihipStream_tbENKUlT_T0_SG_SL_E_clISA_SA_SB_SB_EEDaSZ_S10_SG_SL_EUlSZ_E_NS1_11comp_targetILNS1_3genE4ELNS1_11target_archE910ELNS1_3gpuE8ELNS1_3repE0EEENS1_47radix_sort_onesweep_sort_config_static_selectorELNS0_4arch9wavefront6targetE0EEEvSG_
    .private_segment_fixed_size: 0
    .sgpr_count:     0
    .sgpr_spill_count: 0
    .symbol:         _ZN7rocprim17ROCPRIM_400000_NS6detail17trampoline_kernelINS0_14default_configENS1_35radix_sort_onesweep_config_selectorImNS0_10empty_typeEEEZZNS1_29radix_sort_onesweep_iterationIS3_Lb1EPKmPmPS5_SB_mNS0_19identity_decomposerENS1_16block_id_wrapperIjLb0EEEEE10hipError_tT1_PNSt15iterator_traitsISG_E10value_typeET2_T3_PNSH_ISM_E10value_typeET4_T5_PSR_SS_PNS1_23onesweep_lookback_stateEbbT6_jjT7_P12ihipStream_tbENKUlT_T0_SG_SL_E_clISA_SA_SB_SB_EEDaSZ_S10_SG_SL_EUlSZ_E_NS1_11comp_targetILNS1_3genE4ELNS1_11target_archE910ELNS1_3gpuE8ELNS1_3repE0EEENS1_47radix_sort_onesweep_sort_config_static_selectorELNS0_4arch9wavefront6targetE0EEEvSG_.kd
    .uniform_work_group_size: 1
    .uses_dynamic_stack: false
    .vgpr_count:     0
    .vgpr_spill_count: 0
    .wavefront_size: 32
  - .args:
      - .offset:         0
        .size:           88
        .value_kind:     by_value
    .group_segment_fixed_size: 0
    .kernarg_segment_align: 8
    .kernarg_segment_size: 88
    .language:       OpenCL C
    .language_version:
      - 2
      - 0
    .max_flat_workgroup_size: 512
    .name:           _ZN7rocprim17ROCPRIM_400000_NS6detail17trampoline_kernelINS0_14default_configENS1_35radix_sort_onesweep_config_selectorImNS0_10empty_typeEEEZZNS1_29radix_sort_onesweep_iterationIS3_Lb1EPKmPmPS5_SB_mNS0_19identity_decomposerENS1_16block_id_wrapperIjLb0EEEEE10hipError_tT1_PNSt15iterator_traitsISG_E10value_typeET2_T3_PNSH_ISM_E10value_typeET4_T5_PSR_SS_PNS1_23onesweep_lookback_stateEbbT6_jjT7_P12ihipStream_tbENKUlT_T0_SG_SL_E_clISA_SA_SB_SB_EEDaSZ_S10_SG_SL_EUlSZ_E_NS1_11comp_targetILNS1_3genE3ELNS1_11target_archE908ELNS1_3gpuE7ELNS1_3repE0EEENS1_47radix_sort_onesweep_sort_config_static_selectorELNS0_4arch9wavefront6targetE0EEEvSG_
    .private_segment_fixed_size: 0
    .sgpr_count:     0
    .sgpr_spill_count: 0
    .symbol:         _ZN7rocprim17ROCPRIM_400000_NS6detail17trampoline_kernelINS0_14default_configENS1_35radix_sort_onesweep_config_selectorImNS0_10empty_typeEEEZZNS1_29radix_sort_onesweep_iterationIS3_Lb1EPKmPmPS5_SB_mNS0_19identity_decomposerENS1_16block_id_wrapperIjLb0EEEEE10hipError_tT1_PNSt15iterator_traitsISG_E10value_typeET2_T3_PNSH_ISM_E10value_typeET4_T5_PSR_SS_PNS1_23onesweep_lookback_stateEbbT6_jjT7_P12ihipStream_tbENKUlT_T0_SG_SL_E_clISA_SA_SB_SB_EEDaSZ_S10_SG_SL_EUlSZ_E_NS1_11comp_targetILNS1_3genE3ELNS1_11target_archE908ELNS1_3gpuE7ELNS1_3repE0EEENS1_47radix_sort_onesweep_sort_config_static_selectorELNS0_4arch9wavefront6targetE0EEEvSG_.kd
    .uniform_work_group_size: 1
    .uses_dynamic_stack: false
    .vgpr_count:     0
    .vgpr_spill_count: 0
    .wavefront_size: 32
  - .args:
      - .offset:         0
        .size:           88
        .value_kind:     by_value
    .group_segment_fixed_size: 0
    .kernarg_segment_align: 8
    .kernarg_segment_size: 88
    .language:       OpenCL C
    .language_version:
      - 2
      - 0
    .max_flat_workgroup_size: 512
    .name:           _ZN7rocprim17ROCPRIM_400000_NS6detail17trampoline_kernelINS0_14default_configENS1_35radix_sort_onesweep_config_selectorImNS0_10empty_typeEEEZZNS1_29radix_sort_onesweep_iterationIS3_Lb1EPKmPmPS5_SB_mNS0_19identity_decomposerENS1_16block_id_wrapperIjLb0EEEEE10hipError_tT1_PNSt15iterator_traitsISG_E10value_typeET2_T3_PNSH_ISM_E10value_typeET4_T5_PSR_SS_PNS1_23onesweep_lookback_stateEbbT6_jjT7_P12ihipStream_tbENKUlT_T0_SG_SL_E_clISA_SA_SB_SB_EEDaSZ_S10_SG_SL_EUlSZ_E_NS1_11comp_targetILNS1_3genE10ELNS1_11target_archE1201ELNS1_3gpuE5ELNS1_3repE0EEENS1_47radix_sort_onesweep_sort_config_static_selectorELNS0_4arch9wavefront6targetE0EEEvSG_
    .private_segment_fixed_size: 0
    .sgpr_count:     0
    .sgpr_spill_count: 0
    .symbol:         _ZN7rocprim17ROCPRIM_400000_NS6detail17trampoline_kernelINS0_14default_configENS1_35radix_sort_onesweep_config_selectorImNS0_10empty_typeEEEZZNS1_29radix_sort_onesweep_iterationIS3_Lb1EPKmPmPS5_SB_mNS0_19identity_decomposerENS1_16block_id_wrapperIjLb0EEEEE10hipError_tT1_PNSt15iterator_traitsISG_E10value_typeET2_T3_PNSH_ISM_E10value_typeET4_T5_PSR_SS_PNS1_23onesweep_lookback_stateEbbT6_jjT7_P12ihipStream_tbENKUlT_T0_SG_SL_E_clISA_SA_SB_SB_EEDaSZ_S10_SG_SL_EUlSZ_E_NS1_11comp_targetILNS1_3genE10ELNS1_11target_archE1201ELNS1_3gpuE5ELNS1_3repE0EEENS1_47radix_sort_onesweep_sort_config_static_selectorELNS0_4arch9wavefront6targetE0EEEvSG_.kd
    .uniform_work_group_size: 1
    .uses_dynamic_stack: false
    .vgpr_count:     0
    .vgpr_spill_count: 0
    .wavefront_size: 32
  - .args:
      - .offset:         0
        .size:           88
        .value_kind:     by_value
    .group_segment_fixed_size: 0
    .kernarg_segment_align: 8
    .kernarg_segment_size: 88
    .language:       OpenCL C
    .language_version:
      - 2
      - 0
    .max_flat_workgroup_size: 1024
    .name:           _ZN7rocprim17ROCPRIM_400000_NS6detail17trampoline_kernelINS0_14default_configENS1_35radix_sort_onesweep_config_selectorImNS0_10empty_typeEEEZZNS1_29radix_sort_onesweep_iterationIS3_Lb1EPKmPmPS5_SB_mNS0_19identity_decomposerENS1_16block_id_wrapperIjLb0EEEEE10hipError_tT1_PNSt15iterator_traitsISG_E10value_typeET2_T3_PNSH_ISM_E10value_typeET4_T5_PSR_SS_PNS1_23onesweep_lookback_stateEbbT6_jjT7_P12ihipStream_tbENKUlT_T0_SG_SL_E_clISA_SA_SB_SB_EEDaSZ_S10_SG_SL_EUlSZ_E_NS1_11comp_targetILNS1_3genE9ELNS1_11target_archE1100ELNS1_3gpuE3ELNS1_3repE0EEENS1_47radix_sort_onesweep_sort_config_static_selectorELNS0_4arch9wavefront6targetE0EEEvSG_
    .private_segment_fixed_size: 0
    .sgpr_count:     0
    .sgpr_spill_count: 0
    .symbol:         _ZN7rocprim17ROCPRIM_400000_NS6detail17trampoline_kernelINS0_14default_configENS1_35radix_sort_onesweep_config_selectorImNS0_10empty_typeEEEZZNS1_29radix_sort_onesweep_iterationIS3_Lb1EPKmPmPS5_SB_mNS0_19identity_decomposerENS1_16block_id_wrapperIjLb0EEEEE10hipError_tT1_PNSt15iterator_traitsISG_E10value_typeET2_T3_PNSH_ISM_E10value_typeET4_T5_PSR_SS_PNS1_23onesweep_lookback_stateEbbT6_jjT7_P12ihipStream_tbENKUlT_T0_SG_SL_E_clISA_SA_SB_SB_EEDaSZ_S10_SG_SL_EUlSZ_E_NS1_11comp_targetILNS1_3genE9ELNS1_11target_archE1100ELNS1_3gpuE3ELNS1_3repE0EEENS1_47radix_sort_onesweep_sort_config_static_selectorELNS0_4arch9wavefront6targetE0EEEvSG_.kd
    .uniform_work_group_size: 1
    .uses_dynamic_stack: false
    .vgpr_count:     0
    .vgpr_spill_count: 0
    .wavefront_size: 32
  - .args:
      - .offset:         0
        .size:           88
        .value_kind:     by_value
    .group_segment_fixed_size: 0
    .kernarg_segment_align: 8
    .kernarg_segment_size: 88
    .language:       OpenCL C
    .language_version:
      - 2
      - 0
    .max_flat_workgroup_size: 1024
    .name:           _ZN7rocprim17ROCPRIM_400000_NS6detail17trampoline_kernelINS0_14default_configENS1_35radix_sort_onesweep_config_selectorImNS0_10empty_typeEEEZZNS1_29radix_sort_onesweep_iterationIS3_Lb1EPKmPmPS5_SB_mNS0_19identity_decomposerENS1_16block_id_wrapperIjLb0EEEEE10hipError_tT1_PNSt15iterator_traitsISG_E10value_typeET2_T3_PNSH_ISM_E10value_typeET4_T5_PSR_SS_PNS1_23onesweep_lookback_stateEbbT6_jjT7_P12ihipStream_tbENKUlT_T0_SG_SL_E_clISA_SA_SB_SB_EEDaSZ_S10_SG_SL_EUlSZ_E_NS1_11comp_targetILNS1_3genE8ELNS1_11target_archE1030ELNS1_3gpuE2ELNS1_3repE0EEENS1_47radix_sort_onesweep_sort_config_static_selectorELNS0_4arch9wavefront6targetE0EEEvSG_
    .private_segment_fixed_size: 0
    .sgpr_count:     0
    .sgpr_spill_count: 0
    .symbol:         _ZN7rocprim17ROCPRIM_400000_NS6detail17trampoline_kernelINS0_14default_configENS1_35radix_sort_onesweep_config_selectorImNS0_10empty_typeEEEZZNS1_29radix_sort_onesweep_iterationIS3_Lb1EPKmPmPS5_SB_mNS0_19identity_decomposerENS1_16block_id_wrapperIjLb0EEEEE10hipError_tT1_PNSt15iterator_traitsISG_E10value_typeET2_T3_PNSH_ISM_E10value_typeET4_T5_PSR_SS_PNS1_23onesweep_lookback_stateEbbT6_jjT7_P12ihipStream_tbENKUlT_T0_SG_SL_E_clISA_SA_SB_SB_EEDaSZ_S10_SG_SL_EUlSZ_E_NS1_11comp_targetILNS1_3genE8ELNS1_11target_archE1030ELNS1_3gpuE2ELNS1_3repE0EEENS1_47radix_sort_onesweep_sort_config_static_selectorELNS0_4arch9wavefront6targetE0EEEvSG_.kd
    .uniform_work_group_size: 1
    .uses_dynamic_stack: false
    .vgpr_count:     0
    .vgpr_spill_count: 0
    .wavefront_size: 32
  - .args:
      - .offset:         0
        .size:           48
        .value_kind:     by_value
      - .offset:         48
        .size:           4
        .value_kind:     hidden_block_count_x
      - .offset:         52
        .size:           4
        .value_kind:     hidden_block_count_y
      - .offset:         56
        .size:           4
        .value_kind:     hidden_block_count_z
      - .offset:         60
        .size:           2
        .value_kind:     hidden_group_size_x
      - .offset:         62
        .size:           2
        .value_kind:     hidden_group_size_y
      - .offset:         64
        .size:           2
        .value_kind:     hidden_group_size_z
      - .offset:         66
        .size:           2
        .value_kind:     hidden_remainder_x
      - .offset:         68
        .size:           2
        .value_kind:     hidden_remainder_y
      - .offset:         70
        .size:           2
        .value_kind:     hidden_remainder_z
      - .offset:         88
        .size:           8
        .value_kind:     hidden_global_offset_x
      - .offset:         96
        .size:           8
        .value_kind:     hidden_global_offset_y
      - .offset:         104
        .size:           8
        .value_kind:     hidden_global_offset_z
      - .offset:         112
        .size:           2
        .value_kind:     hidden_grid_dims
    .group_segment_fixed_size: 8224
    .kernarg_segment_align: 8
    .kernarg_segment_size: 304
    .language:       OpenCL C
    .language_version:
      - 2
      - 0
    .max_flat_workgroup_size: 256
    .name:           _ZN7rocprim17ROCPRIM_400000_NS6detail17trampoline_kernelINS0_13kernel_configILj256ELj4ELj4294967295EEENS1_37radix_sort_block_sort_config_selectorImNS0_10empty_typeEEEZNS1_21radix_sort_block_sortIS4_Lb0EPKmPmPS6_SC_NS0_19identity_decomposerEEE10hipError_tT1_T2_T3_T4_jRjT5_jjP12ihipStream_tbEUlT_E_NS1_11comp_targetILNS1_3genE0ELNS1_11target_archE4294967295ELNS1_3gpuE0ELNS1_3repE0EEENS1_44radix_sort_block_sort_config_static_selectorELNS0_4arch9wavefront6targetE0EEEvSF_
    .private_segment_fixed_size: 0
    .sgpr_count:     32
    .sgpr_spill_count: 0
    .symbol:         _ZN7rocprim17ROCPRIM_400000_NS6detail17trampoline_kernelINS0_13kernel_configILj256ELj4ELj4294967295EEENS1_37radix_sort_block_sort_config_selectorImNS0_10empty_typeEEEZNS1_21radix_sort_block_sortIS4_Lb0EPKmPmPS6_SC_NS0_19identity_decomposerEEE10hipError_tT1_T2_T3_T4_jRjT5_jjP12ihipStream_tbEUlT_E_NS1_11comp_targetILNS1_3genE0ELNS1_11target_archE4294967295ELNS1_3gpuE0ELNS1_3repE0EEENS1_44radix_sort_block_sort_config_static_selectorELNS0_4arch9wavefront6targetE0EEEvSF_.kd
    .uniform_work_group_size: 1
    .uses_dynamic_stack: false
    .vgpr_count:     42
    .vgpr_spill_count: 0
    .wavefront_size: 32
  - .args:
      - .offset:         0
        .size:           48
        .value_kind:     by_value
    .group_segment_fixed_size: 0
    .kernarg_segment_align: 8
    .kernarg_segment_size: 48
    .language:       OpenCL C
    .language_version:
      - 2
      - 0
    .max_flat_workgroup_size: 256
    .name:           _ZN7rocprim17ROCPRIM_400000_NS6detail17trampoline_kernelINS0_13kernel_configILj256ELj4ELj4294967295EEENS1_37radix_sort_block_sort_config_selectorImNS0_10empty_typeEEEZNS1_21radix_sort_block_sortIS4_Lb0EPKmPmPS6_SC_NS0_19identity_decomposerEEE10hipError_tT1_T2_T3_T4_jRjT5_jjP12ihipStream_tbEUlT_E_NS1_11comp_targetILNS1_3genE5ELNS1_11target_archE942ELNS1_3gpuE9ELNS1_3repE0EEENS1_44radix_sort_block_sort_config_static_selectorELNS0_4arch9wavefront6targetE0EEEvSF_
    .private_segment_fixed_size: 0
    .sgpr_count:     0
    .sgpr_spill_count: 0
    .symbol:         _ZN7rocprim17ROCPRIM_400000_NS6detail17trampoline_kernelINS0_13kernel_configILj256ELj4ELj4294967295EEENS1_37radix_sort_block_sort_config_selectorImNS0_10empty_typeEEEZNS1_21radix_sort_block_sortIS4_Lb0EPKmPmPS6_SC_NS0_19identity_decomposerEEE10hipError_tT1_T2_T3_T4_jRjT5_jjP12ihipStream_tbEUlT_E_NS1_11comp_targetILNS1_3genE5ELNS1_11target_archE942ELNS1_3gpuE9ELNS1_3repE0EEENS1_44radix_sort_block_sort_config_static_selectorELNS0_4arch9wavefront6targetE0EEEvSF_.kd
    .uniform_work_group_size: 1
    .uses_dynamic_stack: false
    .vgpr_count:     0
    .vgpr_spill_count: 0
    .wavefront_size: 32
  - .args:
      - .offset:         0
        .size:           48
        .value_kind:     by_value
    .group_segment_fixed_size: 0
    .kernarg_segment_align: 8
    .kernarg_segment_size: 48
    .language:       OpenCL C
    .language_version:
      - 2
      - 0
    .max_flat_workgroup_size: 256
    .name:           _ZN7rocprim17ROCPRIM_400000_NS6detail17trampoline_kernelINS0_13kernel_configILj256ELj4ELj4294967295EEENS1_37radix_sort_block_sort_config_selectorImNS0_10empty_typeEEEZNS1_21radix_sort_block_sortIS4_Lb0EPKmPmPS6_SC_NS0_19identity_decomposerEEE10hipError_tT1_T2_T3_T4_jRjT5_jjP12ihipStream_tbEUlT_E_NS1_11comp_targetILNS1_3genE4ELNS1_11target_archE910ELNS1_3gpuE8ELNS1_3repE0EEENS1_44radix_sort_block_sort_config_static_selectorELNS0_4arch9wavefront6targetE0EEEvSF_
    .private_segment_fixed_size: 0
    .sgpr_count:     0
    .sgpr_spill_count: 0
    .symbol:         _ZN7rocprim17ROCPRIM_400000_NS6detail17trampoline_kernelINS0_13kernel_configILj256ELj4ELj4294967295EEENS1_37radix_sort_block_sort_config_selectorImNS0_10empty_typeEEEZNS1_21radix_sort_block_sortIS4_Lb0EPKmPmPS6_SC_NS0_19identity_decomposerEEE10hipError_tT1_T2_T3_T4_jRjT5_jjP12ihipStream_tbEUlT_E_NS1_11comp_targetILNS1_3genE4ELNS1_11target_archE910ELNS1_3gpuE8ELNS1_3repE0EEENS1_44radix_sort_block_sort_config_static_selectorELNS0_4arch9wavefront6targetE0EEEvSF_.kd
    .uniform_work_group_size: 1
    .uses_dynamic_stack: false
    .vgpr_count:     0
    .vgpr_spill_count: 0
    .wavefront_size: 32
  - .args:
      - .offset:         0
        .size:           48
        .value_kind:     by_value
    .group_segment_fixed_size: 0
    .kernarg_segment_align: 8
    .kernarg_segment_size: 48
    .language:       OpenCL C
    .language_version:
      - 2
      - 0
    .max_flat_workgroup_size: 256
    .name:           _ZN7rocprim17ROCPRIM_400000_NS6detail17trampoline_kernelINS0_13kernel_configILj256ELj4ELj4294967295EEENS1_37radix_sort_block_sort_config_selectorImNS0_10empty_typeEEEZNS1_21radix_sort_block_sortIS4_Lb0EPKmPmPS6_SC_NS0_19identity_decomposerEEE10hipError_tT1_T2_T3_T4_jRjT5_jjP12ihipStream_tbEUlT_E_NS1_11comp_targetILNS1_3genE3ELNS1_11target_archE908ELNS1_3gpuE7ELNS1_3repE0EEENS1_44radix_sort_block_sort_config_static_selectorELNS0_4arch9wavefront6targetE0EEEvSF_
    .private_segment_fixed_size: 0
    .sgpr_count:     0
    .sgpr_spill_count: 0
    .symbol:         _ZN7rocprim17ROCPRIM_400000_NS6detail17trampoline_kernelINS0_13kernel_configILj256ELj4ELj4294967295EEENS1_37radix_sort_block_sort_config_selectorImNS0_10empty_typeEEEZNS1_21radix_sort_block_sortIS4_Lb0EPKmPmPS6_SC_NS0_19identity_decomposerEEE10hipError_tT1_T2_T3_T4_jRjT5_jjP12ihipStream_tbEUlT_E_NS1_11comp_targetILNS1_3genE3ELNS1_11target_archE908ELNS1_3gpuE7ELNS1_3repE0EEENS1_44radix_sort_block_sort_config_static_selectorELNS0_4arch9wavefront6targetE0EEEvSF_.kd
    .uniform_work_group_size: 1
    .uses_dynamic_stack: false
    .vgpr_count:     0
    .vgpr_spill_count: 0
    .wavefront_size: 32
  - .args:
      - .offset:         0
        .size:           48
        .value_kind:     by_value
    .group_segment_fixed_size: 0
    .kernarg_segment_align: 8
    .kernarg_segment_size: 48
    .language:       OpenCL C
    .language_version:
      - 2
      - 0
    .max_flat_workgroup_size: 256
    .name:           _ZN7rocprim17ROCPRIM_400000_NS6detail17trampoline_kernelINS0_13kernel_configILj256ELj4ELj4294967295EEENS1_37radix_sort_block_sort_config_selectorImNS0_10empty_typeEEEZNS1_21radix_sort_block_sortIS4_Lb0EPKmPmPS6_SC_NS0_19identity_decomposerEEE10hipError_tT1_T2_T3_T4_jRjT5_jjP12ihipStream_tbEUlT_E_NS1_11comp_targetILNS1_3genE2ELNS1_11target_archE906ELNS1_3gpuE6ELNS1_3repE0EEENS1_44radix_sort_block_sort_config_static_selectorELNS0_4arch9wavefront6targetE0EEEvSF_
    .private_segment_fixed_size: 0
    .sgpr_count:     0
    .sgpr_spill_count: 0
    .symbol:         _ZN7rocprim17ROCPRIM_400000_NS6detail17trampoline_kernelINS0_13kernel_configILj256ELj4ELj4294967295EEENS1_37radix_sort_block_sort_config_selectorImNS0_10empty_typeEEEZNS1_21radix_sort_block_sortIS4_Lb0EPKmPmPS6_SC_NS0_19identity_decomposerEEE10hipError_tT1_T2_T3_T4_jRjT5_jjP12ihipStream_tbEUlT_E_NS1_11comp_targetILNS1_3genE2ELNS1_11target_archE906ELNS1_3gpuE6ELNS1_3repE0EEENS1_44radix_sort_block_sort_config_static_selectorELNS0_4arch9wavefront6targetE0EEEvSF_.kd
    .uniform_work_group_size: 1
    .uses_dynamic_stack: false
    .vgpr_count:     0
    .vgpr_spill_count: 0
    .wavefront_size: 32
  - .args:
      - .offset:         0
        .size:           48
        .value_kind:     by_value
    .group_segment_fixed_size: 0
    .kernarg_segment_align: 8
    .kernarg_segment_size: 48
    .language:       OpenCL C
    .language_version:
      - 2
      - 0
    .max_flat_workgroup_size: 256
    .name:           _ZN7rocprim17ROCPRIM_400000_NS6detail17trampoline_kernelINS0_13kernel_configILj256ELj4ELj4294967295EEENS1_37radix_sort_block_sort_config_selectorImNS0_10empty_typeEEEZNS1_21radix_sort_block_sortIS4_Lb0EPKmPmPS6_SC_NS0_19identity_decomposerEEE10hipError_tT1_T2_T3_T4_jRjT5_jjP12ihipStream_tbEUlT_E_NS1_11comp_targetILNS1_3genE10ELNS1_11target_archE1201ELNS1_3gpuE5ELNS1_3repE0EEENS1_44radix_sort_block_sort_config_static_selectorELNS0_4arch9wavefront6targetE0EEEvSF_
    .private_segment_fixed_size: 0
    .sgpr_count:     0
    .sgpr_spill_count: 0
    .symbol:         _ZN7rocprim17ROCPRIM_400000_NS6detail17trampoline_kernelINS0_13kernel_configILj256ELj4ELj4294967295EEENS1_37radix_sort_block_sort_config_selectorImNS0_10empty_typeEEEZNS1_21radix_sort_block_sortIS4_Lb0EPKmPmPS6_SC_NS0_19identity_decomposerEEE10hipError_tT1_T2_T3_T4_jRjT5_jjP12ihipStream_tbEUlT_E_NS1_11comp_targetILNS1_3genE10ELNS1_11target_archE1201ELNS1_3gpuE5ELNS1_3repE0EEENS1_44radix_sort_block_sort_config_static_selectorELNS0_4arch9wavefront6targetE0EEEvSF_.kd
    .uniform_work_group_size: 1
    .uses_dynamic_stack: false
    .vgpr_count:     0
    .vgpr_spill_count: 0
    .wavefront_size: 32
  - .args:
      - .offset:         0
        .size:           48
        .value_kind:     by_value
    .group_segment_fixed_size: 0
    .kernarg_segment_align: 8
    .kernarg_segment_size: 48
    .language:       OpenCL C
    .language_version:
      - 2
      - 0
    .max_flat_workgroup_size: 256
    .name:           _ZN7rocprim17ROCPRIM_400000_NS6detail17trampoline_kernelINS0_13kernel_configILj256ELj4ELj4294967295EEENS1_37radix_sort_block_sort_config_selectorImNS0_10empty_typeEEEZNS1_21radix_sort_block_sortIS4_Lb0EPKmPmPS6_SC_NS0_19identity_decomposerEEE10hipError_tT1_T2_T3_T4_jRjT5_jjP12ihipStream_tbEUlT_E_NS1_11comp_targetILNS1_3genE10ELNS1_11target_archE1200ELNS1_3gpuE4ELNS1_3repE0EEENS1_44radix_sort_block_sort_config_static_selectorELNS0_4arch9wavefront6targetE0EEEvSF_
    .private_segment_fixed_size: 0
    .sgpr_count:     0
    .sgpr_spill_count: 0
    .symbol:         _ZN7rocprim17ROCPRIM_400000_NS6detail17trampoline_kernelINS0_13kernel_configILj256ELj4ELj4294967295EEENS1_37radix_sort_block_sort_config_selectorImNS0_10empty_typeEEEZNS1_21radix_sort_block_sortIS4_Lb0EPKmPmPS6_SC_NS0_19identity_decomposerEEE10hipError_tT1_T2_T3_T4_jRjT5_jjP12ihipStream_tbEUlT_E_NS1_11comp_targetILNS1_3genE10ELNS1_11target_archE1200ELNS1_3gpuE4ELNS1_3repE0EEENS1_44radix_sort_block_sort_config_static_selectorELNS0_4arch9wavefront6targetE0EEEvSF_.kd
    .uniform_work_group_size: 1
    .uses_dynamic_stack: false
    .vgpr_count:     0
    .vgpr_spill_count: 0
    .wavefront_size: 32
  - .args:
      - .offset:         0
        .size:           48
        .value_kind:     by_value
    .group_segment_fixed_size: 0
    .kernarg_segment_align: 8
    .kernarg_segment_size: 48
    .language:       OpenCL C
    .language_version:
      - 2
      - 0
    .max_flat_workgroup_size: 256
    .name:           _ZN7rocprim17ROCPRIM_400000_NS6detail17trampoline_kernelINS0_13kernel_configILj256ELj4ELj4294967295EEENS1_37radix_sort_block_sort_config_selectorImNS0_10empty_typeEEEZNS1_21radix_sort_block_sortIS4_Lb0EPKmPmPS6_SC_NS0_19identity_decomposerEEE10hipError_tT1_T2_T3_T4_jRjT5_jjP12ihipStream_tbEUlT_E_NS1_11comp_targetILNS1_3genE9ELNS1_11target_archE1100ELNS1_3gpuE3ELNS1_3repE0EEENS1_44radix_sort_block_sort_config_static_selectorELNS0_4arch9wavefront6targetE0EEEvSF_
    .private_segment_fixed_size: 0
    .sgpr_count:     0
    .sgpr_spill_count: 0
    .symbol:         _ZN7rocprim17ROCPRIM_400000_NS6detail17trampoline_kernelINS0_13kernel_configILj256ELj4ELj4294967295EEENS1_37radix_sort_block_sort_config_selectorImNS0_10empty_typeEEEZNS1_21radix_sort_block_sortIS4_Lb0EPKmPmPS6_SC_NS0_19identity_decomposerEEE10hipError_tT1_T2_T3_T4_jRjT5_jjP12ihipStream_tbEUlT_E_NS1_11comp_targetILNS1_3genE9ELNS1_11target_archE1100ELNS1_3gpuE3ELNS1_3repE0EEENS1_44radix_sort_block_sort_config_static_selectorELNS0_4arch9wavefront6targetE0EEEvSF_.kd
    .uniform_work_group_size: 1
    .uses_dynamic_stack: false
    .vgpr_count:     0
    .vgpr_spill_count: 0
    .wavefront_size: 32
  - .args:
      - .offset:         0
        .size:           48
        .value_kind:     by_value
    .group_segment_fixed_size: 0
    .kernarg_segment_align: 8
    .kernarg_segment_size: 48
    .language:       OpenCL C
    .language_version:
      - 2
      - 0
    .max_flat_workgroup_size: 256
    .name:           _ZN7rocprim17ROCPRIM_400000_NS6detail17trampoline_kernelINS0_13kernel_configILj256ELj4ELj4294967295EEENS1_37radix_sort_block_sort_config_selectorImNS0_10empty_typeEEEZNS1_21radix_sort_block_sortIS4_Lb0EPKmPmPS6_SC_NS0_19identity_decomposerEEE10hipError_tT1_T2_T3_T4_jRjT5_jjP12ihipStream_tbEUlT_E_NS1_11comp_targetILNS1_3genE8ELNS1_11target_archE1030ELNS1_3gpuE2ELNS1_3repE0EEENS1_44radix_sort_block_sort_config_static_selectorELNS0_4arch9wavefront6targetE0EEEvSF_
    .private_segment_fixed_size: 0
    .sgpr_count:     0
    .sgpr_spill_count: 0
    .symbol:         _ZN7rocprim17ROCPRIM_400000_NS6detail17trampoline_kernelINS0_13kernel_configILj256ELj4ELj4294967295EEENS1_37radix_sort_block_sort_config_selectorImNS0_10empty_typeEEEZNS1_21radix_sort_block_sortIS4_Lb0EPKmPmPS6_SC_NS0_19identity_decomposerEEE10hipError_tT1_T2_T3_T4_jRjT5_jjP12ihipStream_tbEUlT_E_NS1_11comp_targetILNS1_3genE8ELNS1_11target_archE1030ELNS1_3gpuE2ELNS1_3repE0EEENS1_44radix_sort_block_sort_config_static_selectorELNS0_4arch9wavefront6targetE0EEEvSF_.kd
    .uniform_work_group_size: 1
    .uses_dynamic_stack: false
    .vgpr_count:     0
    .vgpr_spill_count: 0
    .wavefront_size: 32
  - .args:
      - .offset:         0
        .size:           40
        .value_kind:     by_value
    .group_segment_fixed_size: 0
    .kernarg_segment_align: 8
    .kernarg_segment_size: 40
    .language:       OpenCL C
    .language_version:
      - 2
      - 0
    .max_flat_workgroup_size: 128
    .name:           _ZN7rocprim17ROCPRIM_400000_NS6detail17trampoline_kernelINS0_14default_configENS1_38merge_sort_block_merge_config_selectorImNS0_10empty_typeEEEZZNS1_27merge_sort_block_merge_implIS3_PmPS5_jNS1_19radix_merge_compareILb0ELb0EmNS0_19identity_decomposerEEEEE10hipError_tT0_T1_T2_jT3_P12ihipStream_tbPNSt15iterator_traitsISE_E10value_typeEPNSK_ISF_E10value_typeEPSG_NS1_7vsmem_tEENKUlT_SE_SF_SG_E_clIS8_S8_S9_S9_EESD_ST_SE_SF_SG_EUlST_E_NS1_11comp_targetILNS1_3genE0ELNS1_11target_archE4294967295ELNS1_3gpuE0ELNS1_3repE0EEENS1_48merge_mergepath_partition_config_static_selectorELNS0_4arch9wavefront6targetE0EEEvSF_
    .private_segment_fixed_size: 0
    .sgpr_count:     8
    .sgpr_spill_count: 0
    .symbol:         _ZN7rocprim17ROCPRIM_400000_NS6detail17trampoline_kernelINS0_14default_configENS1_38merge_sort_block_merge_config_selectorImNS0_10empty_typeEEEZZNS1_27merge_sort_block_merge_implIS3_PmPS5_jNS1_19radix_merge_compareILb0ELb0EmNS0_19identity_decomposerEEEEE10hipError_tT0_T1_T2_jT3_P12ihipStream_tbPNSt15iterator_traitsISE_E10value_typeEPNSK_ISF_E10value_typeEPSG_NS1_7vsmem_tEENKUlT_SE_SF_SG_E_clIS8_S8_S9_S9_EESD_ST_SE_SF_SG_EUlST_E_NS1_11comp_targetILNS1_3genE0ELNS1_11target_archE4294967295ELNS1_3gpuE0ELNS1_3repE0EEENS1_48merge_mergepath_partition_config_static_selectorELNS0_4arch9wavefront6targetE0EEEvSF_.kd
    .uniform_work_group_size: 1
    .uses_dynamic_stack: false
    .vgpr_count:     20
    .vgpr_spill_count: 0
    .wavefront_size: 32
  - .args:
      - .offset:         0
        .size:           40
        .value_kind:     by_value
    .group_segment_fixed_size: 0
    .kernarg_segment_align: 8
    .kernarg_segment_size: 40
    .language:       OpenCL C
    .language_version:
      - 2
      - 0
    .max_flat_workgroup_size: 128
    .name:           _ZN7rocprim17ROCPRIM_400000_NS6detail17trampoline_kernelINS0_14default_configENS1_38merge_sort_block_merge_config_selectorImNS0_10empty_typeEEEZZNS1_27merge_sort_block_merge_implIS3_PmPS5_jNS1_19radix_merge_compareILb0ELb0EmNS0_19identity_decomposerEEEEE10hipError_tT0_T1_T2_jT3_P12ihipStream_tbPNSt15iterator_traitsISE_E10value_typeEPNSK_ISF_E10value_typeEPSG_NS1_7vsmem_tEENKUlT_SE_SF_SG_E_clIS8_S8_S9_S9_EESD_ST_SE_SF_SG_EUlST_E_NS1_11comp_targetILNS1_3genE10ELNS1_11target_archE1201ELNS1_3gpuE5ELNS1_3repE0EEENS1_48merge_mergepath_partition_config_static_selectorELNS0_4arch9wavefront6targetE0EEEvSF_
    .private_segment_fixed_size: 0
    .sgpr_count:     0
    .sgpr_spill_count: 0
    .symbol:         _ZN7rocprim17ROCPRIM_400000_NS6detail17trampoline_kernelINS0_14default_configENS1_38merge_sort_block_merge_config_selectorImNS0_10empty_typeEEEZZNS1_27merge_sort_block_merge_implIS3_PmPS5_jNS1_19radix_merge_compareILb0ELb0EmNS0_19identity_decomposerEEEEE10hipError_tT0_T1_T2_jT3_P12ihipStream_tbPNSt15iterator_traitsISE_E10value_typeEPNSK_ISF_E10value_typeEPSG_NS1_7vsmem_tEENKUlT_SE_SF_SG_E_clIS8_S8_S9_S9_EESD_ST_SE_SF_SG_EUlST_E_NS1_11comp_targetILNS1_3genE10ELNS1_11target_archE1201ELNS1_3gpuE5ELNS1_3repE0EEENS1_48merge_mergepath_partition_config_static_selectorELNS0_4arch9wavefront6targetE0EEEvSF_.kd
    .uniform_work_group_size: 1
    .uses_dynamic_stack: false
    .vgpr_count:     0
    .vgpr_spill_count: 0
    .wavefront_size: 32
  - .args:
      - .offset:         0
        .size:           40
        .value_kind:     by_value
    .group_segment_fixed_size: 0
    .kernarg_segment_align: 8
    .kernarg_segment_size: 40
    .language:       OpenCL C
    .language_version:
      - 2
      - 0
    .max_flat_workgroup_size: 128
    .name:           _ZN7rocprim17ROCPRIM_400000_NS6detail17trampoline_kernelINS0_14default_configENS1_38merge_sort_block_merge_config_selectorImNS0_10empty_typeEEEZZNS1_27merge_sort_block_merge_implIS3_PmPS5_jNS1_19radix_merge_compareILb0ELb0EmNS0_19identity_decomposerEEEEE10hipError_tT0_T1_T2_jT3_P12ihipStream_tbPNSt15iterator_traitsISE_E10value_typeEPNSK_ISF_E10value_typeEPSG_NS1_7vsmem_tEENKUlT_SE_SF_SG_E_clIS8_S8_S9_S9_EESD_ST_SE_SF_SG_EUlST_E_NS1_11comp_targetILNS1_3genE5ELNS1_11target_archE942ELNS1_3gpuE9ELNS1_3repE0EEENS1_48merge_mergepath_partition_config_static_selectorELNS0_4arch9wavefront6targetE0EEEvSF_
    .private_segment_fixed_size: 0
    .sgpr_count:     0
    .sgpr_spill_count: 0
    .symbol:         _ZN7rocprim17ROCPRIM_400000_NS6detail17trampoline_kernelINS0_14default_configENS1_38merge_sort_block_merge_config_selectorImNS0_10empty_typeEEEZZNS1_27merge_sort_block_merge_implIS3_PmPS5_jNS1_19radix_merge_compareILb0ELb0EmNS0_19identity_decomposerEEEEE10hipError_tT0_T1_T2_jT3_P12ihipStream_tbPNSt15iterator_traitsISE_E10value_typeEPNSK_ISF_E10value_typeEPSG_NS1_7vsmem_tEENKUlT_SE_SF_SG_E_clIS8_S8_S9_S9_EESD_ST_SE_SF_SG_EUlST_E_NS1_11comp_targetILNS1_3genE5ELNS1_11target_archE942ELNS1_3gpuE9ELNS1_3repE0EEENS1_48merge_mergepath_partition_config_static_selectorELNS0_4arch9wavefront6targetE0EEEvSF_.kd
    .uniform_work_group_size: 1
    .uses_dynamic_stack: false
    .vgpr_count:     0
    .vgpr_spill_count: 0
    .wavefront_size: 32
  - .args:
      - .offset:         0
        .size:           40
        .value_kind:     by_value
    .group_segment_fixed_size: 0
    .kernarg_segment_align: 8
    .kernarg_segment_size: 40
    .language:       OpenCL C
    .language_version:
      - 2
      - 0
    .max_flat_workgroup_size: 128
    .name:           _ZN7rocprim17ROCPRIM_400000_NS6detail17trampoline_kernelINS0_14default_configENS1_38merge_sort_block_merge_config_selectorImNS0_10empty_typeEEEZZNS1_27merge_sort_block_merge_implIS3_PmPS5_jNS1_19radix_merge_compareILb0ELb0EmNS0_19identity_decomposerEEEEE10hipError_tT0_T1_T2_jT3_P12ihipStream_tbPNSt15iterator_traitsISE_E10value_typeEPNSK_ISF_E10value_typeEPSG_NS1_7vsmem_tEENKUlT_SE_SF_SG_E_clIS8_S8_S9_S9_EESD_ST_SE_SF_SG_EUlST_E_NS1_11comp_targetILNS1_3genE4ELNS1_11target_archE910ELNS1_3gpuE8ELNS1_3repE0EEENS1_48merge_mergepath_partition_config_static_selectorELNS0_4arch9wavefront6targetE0EEEvSF_
    .private_segment_fixed_size: 0
    .sgpr_count:     0
    .sgpr_spill_count: 0
    .symbol:         _ZN7rocprim17ROCPRIM_400000_NS6detail17trampoline_kernelINS0_14default_configENS1_38merge_sort_block_merge_config_selectorImNS0_10empty_typeEEEZZNS1_27merge_sort_block_merge_implIS3_PmPS5_jNS1_19radix_merge_compareILb0ELb0EmNS0_19identity_decomposerEEEEE10hipError_tT0_T1_T2_jT3_P12ihipStream_tbPNSt15iterator_traitsISE_E10value_typeEPNSK_ISF_E10value_typeEPSG_NS1_7vsmem_tEENKUlT_SE_SF_SG_E_clIS8_S8_S9_S9_EESD_ST_SE_SF_SG_EUlST_E_NS1_11comp_targetILNS1_3genE4ELNS1_11target_archE910ELNS1_3gpuE8ELNS1_3repE0EEENS1_48merge_mergepath_partition_config_static_selectorELNS0_4arch9wavefront6targetE0EEEvSF_.kd
    .uniform_work_group_size: 1
    .uses_dynamic_stack: false
    .vgpr_count:     0
    .vgpr_spill_count: 0
    .wavefront_size: 32
  - .args:
      - .offset:         0
        .size:           40
        .value_kind:     by_value
    .group_segment_fixed_size: 0
    .kernarg_segment_align: 8
    .kernarg_segment_size: 40
    .language:       OpenCL C
    .language_version:
      - 2
      - 0
    .max_flat_workgroup_size: 128
    .name:           _ZN7rocprim17ROCPRIM_400000_NS6detail17trampoline_kernelINS0_14default_configENS1_38merge_sort_block_merge_config_selectorImNS0_10empty_typeEEEZZNS1_27merge_sort_block_merge_implIS3_PmPS5_jNS1_19radix_merge_compareILb0ELb0EmNS0_19identity_decomposerEEEEE10hipError_tT0_T1_T2_jT3_P12ihipStream_tbPNSt15iterator_traitsISE_E10value_typeEPNSK_ISF_E10value_typeEPSG_NS1_7vsmem_tEENKUlT_SE_SF_SG_E_clIS8_S8_S9_S9_EESD_ST_SE_SF_SG_EUlST_E_NS1_11comp_targetILNS1_3genE3ELNS1_11target_archE908ELNS1_3gpuE7ELNS1_3repE0EEENS1_48merge_mergepath_partition_config_static_selectorELNS0_4arch9wavefront6targetE0EEEvSF_
    .private_segment_fixed_size: 0
    .sgpr_count:     0
    .sgpr_spill_count: 0
    .symbol:         _ZN7rocprim17ROCPRIM_400000_NS6detail17trampoline_kernelINS0_14default_configENS1_38merge_sort_block_merge_config_selectorImNS0_10empty_typeEEEZZNS1_27merge_sort_block_merge_implIS3_PmPS5_jNS1_19radix_merge_compareILb0ELb0EmNS0_19identity_decomposerEEEEE10hipError_tT0_T1_T2_jT3_P12ihipStream_tbPNSt15iterator_traitsISE_E10value_typeEPNSK_ISF_E10value_typeEPSG_NS1_7vsmem_tEENKUlT_SE_SF_SG_E_clIS8_S8_S9_S9_EESD_ST_SE_SF_SG_EUlST_E_NS1_11comp_targetILNS1_3genE3ELNS1_11target_archE908ELNS1_3gpuE7ELNS1_3repE0EEENS1_48merge_mergepath_partition_config_static_selectorELNS0_4arch9wavefront6targetE0EEEvSF_.kd
    .uniform_work_group_size: 1
    .uses_dynamic_stack: false
    .vgpr_count:     0
    .vgpr_spill_count: 0
    .wavefront_size: 32
  - .args:
      - .offset:         0
        .size:           40
        .value_kind:     by_value
    .group_segment_fixed_size: 0
    .kernarg_segment_align: 8
    .kernarg_segment_size: 40
    .language:       OpenCL C
    .language_version:
      - 2
      - 0
    .max_flat_workgroup_size: 128
    .name:           _ZN7rocprim17ROCPRIM_400000_NS6detail17trampoline_kernelINS0_14default_configENS1_38merge_sort_block_merge_config_selectorImNS0_10empty_typeEEEZZNS1_27merge_sort_block_merge_implIS3_PmPS5_jNS1_19radix_merge_compareILb0ELb0EmNS0_19identity_decomposerEEEEE10hipError_tT0_T1_T2_jT3_P12ihipStream_tbPNSt15iterator_traitsISE_E10value_typeEPNSK_ISF_E10value_typeEPSG_NS1_7vsmem_tEENKUlT_SE_SF_SG_E_clIS8_S8_S9_S9_EESD_ST_SE_SF_SG_EUlST_E_NS1_11comp_targetILNS1_3genE2ELNS1_11target_archE906ELNS1_3gpuE6ELNS1_3repE0EEENS1_48merge_mergepath_partition_config_static_selectorELNS0_4arch9wavefront6targetE0EEEvSF_
    .private_segment_fixed_size: 0
    .sgpr_count:     0
    .sgpr_spill_count: 0
    .symbol:         _ZN7rocprim17ROCPRIM_400000_NS6detail17trampoline_kernelINS0_14default_configENS1_38merge_sort_block_merge_config_selectorImNS0_10empty_typeEEEZZNS1_27merge_sort_block_merge_implIS3_PmPS5_jNS1_19radix_merge_compareILb0ELb0EmNS0_19identity_decomposerEEEEE10hipError_tT0_T1_T2_jT3_P12ihipStream_tbPNSt15iterator_traitsISE_E10value_typeEPNSK_ISF_E10value_typeEPSG_NS1_7vsmem_tEENKUlT_SE_SF_SG_E_clIS8_S8_S9_S9_EESD_ST_SE_SF_SG_EUlST_E_NS1_11comp_targetILNS1_3genE2ELNS1_11target_archE906ELNS1_3gpuE6ELNS1_3repE0EEENS1_48merge_mergepath_partition_config_static_selectorELNS0_4arch9wavefront6targetE0EEEvSF_.kd
    .uniform_work_group_size: 1
    .uses_dynamic_stack: false
    .vgpr_count:     0
    .vgpr_spill_count: 0
    .wavefront_size: 32
  - .args:
      - .offset:         0
        .size:           40
        .value_kind:     by_value
    .group_segment_fixed_size: 0
    .kernarg_segment_align: 8
    .kernarg_segment_size: 40
    .language:       OpenCL C
    .language_version:
      - 2
      - 0
    .max_flat_workgroup_size: 128
    .name:           _ZN7rocprim17ROCPRIM_400000_NS6detail17trampoline_kernelINS0_14default_configENS1_38merge_sort_block_merge_config_selectorImNS0_10empty_typeEEEZZNS1_27merge_sort_block_merge_implIS3_PmPS5_jNS1_19radix_merge_compareILb0ELb0EmNS0_19identity_decomposerEEEEE10hipError_tT0_T1_T2_jT3_P12ihipStream_tbPNSt15iterator_traitsISE_E10value_typeEPNSK_ISF_E10value_typeEPSG_NS1_7vsmem_tEENKUlT_SE_SF_SG_E_clIS8_S8_S9_S9_EESD_ST_SE_SF_SG_EUlST_E_NS1_11comp_targetILNS1_3genE9ELNS1_11target_archE1100ELNS1_3gpuE3ELNS1_3repE0EEENS1_48merge_mergepath_partition_config_static_selectorELNS0_4arch9wavefront6targetE0EEEvSF_
    .private_segment_fixed_size: 0
    .sgpr_count:     0
    .sgpr_spill_count: 0
    .symbol:         _ZN7rocprim17ROCPRIM_400000_NS6detail17trampoline_kernelINS0_14default_configENS1_38merge_sort_block_merge_config_selectorImNS0_10empty_typeEEEZZNS1_27merge_sort_block_merge_implIS3_PmPS5_jNS1_19radix_merge_compareILb0ELb0EmNS0_19identity_decomposerEEEEE10hipError_tT0_T1_T2_jT3_P12ihipStream_tbPNSt15iterator_traitsISE_E10value_typeEPNSK_ISF_E10value_typeEPSG_NS1_7vsmem_tEENKUlT_SE_SF_SG_E_clIS8_S8_S9_S9_EESD_ST_SE_SF_SG_EUlST_E_NS1_11comp_targetILNS1_3genE9ELNS1_11target_archE1100ELNS1_3gpuE3ELNS1_3repE0EEENS1_48merge_mergepath_partition_config_static_selectorELNS0_4arch9wavefront6targetE0EEEvSF_.kd
    .uniform_work_group_size: 1
    .uses_dynamic_stack: false
    .vgpr_count:     0
    .vgpr_spill_count: 0
    .wavefront_size: 32
  - .args:
      - .offset:         0
        .size:           40
        .value_kind:     by_value
    .group_segment_fixed_size: 0
    .kernarg_segment_align: 8
    .kernarg_segment_size: 40
    .language:       OpenCL C
    .language_version:
      - 2
      - 0
    .max_flat_workgroup_size: 128
    .name:           _ZN7rocprim17ROCPRIM_400000_NS6detail17trampoline_kernelINS0_14default_configENS1_38merge_sort_block_merge_config_selectorImNS0_10empty_typeEEEZZNS1_27merge_sort_block_merge_implIS3_PmPS5_jNS1_19radix_merge_compareILb0ELb0EmNS0_19identity_decomposerEEEEE10hipError_tT0_T1_T2_jT3_P12ihipStream_tbPNSt15iterator_traitsISE_E10value_typeEPNSK_ISF_E10value_typeEPSG_NS1_7vsmem_tEENKUlT_SE_SF_SG_E_clIS8_S8_S9_S9_EESD_ST_SE_SF_SG_EUlST_E_NS1_11comp_targetILNS1_3genE8ELNS1_11target_archE1030ELNS1_3gpuE2ELNS1_3repE0EEENS1_48merge_mergepath_partition_config_static_selectorELNS0_4arch9wavefront6targetE0EEEvSF_
    .private_segment_fixed_size: 0
    .sgpr_count:     0
    .sgpr_spill_count: 0
    .symbol:         _ZN7rocprim17ROCPRIM_400000_NS6detail17trampoline_kernelINS0_14default_configENS1_38merge_sort_block_merge_config_selectorImNS0_10empty_typeEEEZZNS1_27merge_sort_block_merge_implIS3_PmPS5_jNS1_19radix_merge_compareILb0ELb0EmNS0_19identity_decomposerEEEEE10hipError_tT0_T1_T2_jT3_P12ihipStream_tbPNSt15iterator_traitsISE_E10value_typeEPNSK_ISF_E10value_typeEPSG_NS1_7vsmem_tEENKUlT_SE_SF_SG_E_clIS8_S8_S9_S9_EESD_ST_SE_SF_SG_EUlST_E_NS1_11comp_targetILNS1_3genE8ELNS1_11target_archE1030ELNS1_3gpuE2ELNS1_3repE0EEENS1_48merge_mergepath_partition_config_static_selectorELNS0_4arch9wavefront6targetE0EEEvSF_.kd
    .uniform_work_group_size: 1
    .uses_dynamic_stack: false
    .vgpr_count:     0
    .vgpr_spill_count: 0
    .wavefront_size: 32
  - .args:
      - .offset:         0
        .size:           64
        .value_kind:     by_value
      - .offset:         64
        .size:           4
        .value_kind:     hidden_block_count_x
      - .offset:         68
        .size:           4
        .value_kind:     hidden_block_count_y
      - .offset:         72
        .size:           4
        .value_kind:     hidden_block_count_z
      - .offset:         76
        .size:           2
        .value_kind:     hidden_group_size_x
      - .offset:         78
        .size:           2
        .value_kind:     hidden_group_size_y
      - .offset:         80
        .size:           2
        .value_kind:     hidden_group_size_z
      - .offset:         82
        .size:           2
        .value_kind:     hidden_remainder_x
      - .offset:         84
        .size:           2
        .value_kind:     hidden_remainder_y
      - .offset:         86
        .size:           2
        .value_kind:     hidden_remainder_z
      - .offset:         104
        .size:           8
        .value_kind:     hidden_global_offset_x
      - .offset:         112
        .size:           8
        .value_kind:     hidden_global_offset_y
      - .offset:         120
        .size:           8
        .value_kind:     hidden_global_offset_z
      - .offset:         128
        .size:           2
        .value_kind:     hidden_grid_dims
    .group_segment_fixed_size: 8448
    .kernarg_segment_align: 8
    .kernarg_segment_size: 320
    .language:       OpenCL C
    .language_version:
      - 2
      - 0
    .max_flat_workgroup_size: 128
    .name:           _ZN7rocprim17ROCPRIM_400000_NS6detail17trampoline_kernelINS0_14default_configENS1_38merge_sort_block_merge_config_selectorImNS0_10empty_typeEEEZZNS1_27merge_sort_block_merge_implIS3_PmPS5_jNS1_19radix_merge_compareILb0ELb0EmNS0_19identity_decomposerEEEEE10hipError_tT0_T1_T2_jT3_P12ihipStream_tbPNSt15iterator_traitsISE_E10value_typeEPNSK_ISF_E10value_typeEPSG_NS1_7vsmem_tEENKUlT_SE_SF_SG_E_clIS8_S8_S9_S9_EESD_ST_SE_SF_SG_EUlST_E0_NS1_11comp_targetILNS1_3genE0ELNS1_11target_archE4294967295ELNS1_3gpuE0ELNS1_3repE0EEENS1_38merge_mergepath_config_static_selectorELNS0_4arch9wavefront6targetE0EEEvSF_
    .private_segment_fixed_size: 0
    .sgpr_count:     25
    .sgpr_spill_count: 0
    .symbol:         _ZN7rocprim17ROCPRIM_400000_NS6detail17trampoline_kernelINS0_14default_configENS1_38merge_sort_block_merge_config_selectorImNS0_10empty_typeEEEZZNS1_27merge_sort_block_merge_implIS3_PmPS5_jNS1_19radix_merge_compareILb0ELb0EmNS0_19identity_decomposerEEEEE10hipError_tT0_T1_T2_jT3_P12ihipStream_tbPNSt15iterator_traitsISE_E10value_typeEPNSK_ISF_E10value_typeEPSG_NS1_7vsmem_tEENKUlT_SE_SF_SG_E_clIS8_S8_S9_S9_EESD_ST_SE_SF_SG_EUlST_E0_NS1_11comp_targetILNS1_3genE0ELNS1_11target_archE4294967295ELNS1_3gpuE0ELNS1_3repE0EEENS1_38merge_mergepath_config_static_selectorELNS0_4arch9wavefront6targetE0EEEvSF_.kd
    .uniform_work_group_size: 1
    .uses_dynamic_stack: false
    .vgpr_count:     38
    .vgpr_spill_count: 0
    .wavefront_size: 32
  - .args:
      - .offset:         0
        .size:           64
        .value_kind:     by_value
    .group_segment_fixed_size: 0
    .kernarg_segment_align: 8
    .kernarg_segment_size: 64
    .language:       OpenCL C
    .language_version:
      - 2
      - 0
    .max_flat_workgroup_size: 512
    .name:           _ZN7rocprim17ROCPRIM_400000_NS6detail17trampoline_kernelINS0_14default_configENS1_38merge_sort_block_merge_config_selectorImNS0_10empty_typeEEEZZNS1_27merge_sort_block_merge_implIS3_PmPS5_jNS1_19radix_merge_compareILb0ELb0EmNS0_19identity_decomposerEEEEE10hipError_tT0_T1_T2_jT3_P12ihipStream_tbPNSt15iterator_traitsISE_E10value_typeEPNSK_ISF_E10value_typeEPSG_NS1_7vsmem_tEENKUlT_SE_SF_SG_E_clIS8_S8_S9_S9_EESD_ST_SE_SF_SG_EUlST_E0_NS1_11comp_targetILNS1_3genE10ELNS1_11target_archE1201ELNS1_3gpuE5ELNS1_3repE0EEENS1_38merge_mergepath_config_static_selectorELNS0_4arch9wavefront6targetE0EEEvSF_
    .private_segment_fixed_size: 0
    .sgpr_count:     0
    .sgpr_spill_count: 0
    .symbol:         _ZN7rocprim17ROCPRIM_400000_NS6detail17trampoline_kernelINS0_14default_configENS1_38merge_sort_block_merge_config_selectorImNS0_10empty_typeEEEZZNS1_27merge_sort_block_merge_implIS3_PmPS5_jNS1_19radix_merge_compareILb0ELb0EmNS0_19identity_decomposerEEEEE10hipError_tT0_T1_T2_jT3_P12ihipStream_tbPNSt15iterator_traitsISE_E10value_typeEPNSK_ISF_E10value_typeEPSG_NS1_7vsmem_tEENKUlT_SE_SF_SG_E_clIS8_S8_S9_S9_EESD_ST_SE_SF_SG_EUlST_E0_NS1_11comp_targetILNS1_3genE10ELNS1_11target_archE1201ELNS1_3gpuE5ELNS1_3repE0EEENS1_38merge_mergepath_config_static_selectorELNS0_4arch9wavefront6targetE0EEEvSF_.kd
    .uniform_work_group_size: 1
    .uses_dynamic_stack: false
    .vgpr_count:     0
    .vgpr_spill_count: 0
    .wavefront_size: 32
  - .args:
      - .offset:         0
        .size:           64
        .value_kind:     by_value
    .group_segment_fixed_size: 0
    .kernarg_segment_align: 8
    .kernarg_segment_size: 64
    .language:       OpenCL C
    .language_version:
      - 2
      - 0
    .max_flat_workgroup_size: 128
    .name:           _ZN7rocprim17ROCPRIM_400000_NS6detail17trampoline_kernelINS0_14default_configENS1_38merge_sort_block_merge_config_selectorImNS0_10empty_typeEEEZZNS1_27merge_sort_block_merge_implIS3_PmPS5_jNS1_19radix_merge_compareILb0ELb0EmNS0_19identity_decomposerEEEEE10hipError_tT0_T1_T2_jT3_P12ihipStream_tbPNSt15iterator_traitsISE_E10value_typeEPNSK_ISF_E10value_typeEPSG_NS1_7vsmem_tEENKUlT_SE_SF_SG_E_clIS8_S8_S9_S9_EESD_ST_SE_SF_SG_EUlST_E0_NS1_11comp_targetILNS1_3genE5ELNS1_11target_archE942ELNS1_3gpuE9ELNS1_3repE0EEENS1_38merge_mergepath_config_static_selectorELNS0_4arch9wavefront6targetE0EEEvSF_
    .private_segment_fixed_size: 0
    .sgpr_count:     0
    .sgpr_spill_count: 0
    .symbol:         _ZN7rocprim17ROCPRIM_400000_NS6detail17trampoline_kernelINS0_14default_configENS1_38merge_sort_block_merge_config_selectorImNS0_10empty_typeEEEZZNS1_27merge_sort_block_merge_implIS3_PmPS5_jNS1_19radix_merge_compareILb0ELb0EmNS0_19identity_decomposerEEEEE10hipError_tT0_T1_T2_jT3_P12ihipStream_tbPNSt15iterator_traitsISE_E10value_typeEPNSK_ISF_E10value_typeEPSG_NS1_7vsmem_tEENKUlT_SE_SF_SG_E_clIS8_S8_S9_S9_EESD_ST_SE_SF_SG_EUlST_E0_NS1_11comp_targetILNS1_3genE5ELNS1_11target_archE942ELNS1_3gpuE9ELNS1_3repE0EEENS1_38merge_mergepath_config_static_selectorELNS0_4arch9wavefront6targetE0EEEvSF_.kd
    .uniform_work_group_size: 1
    .uses_dynamic_stack: false
    .vgpr_count:     0
    .vgpr_spill_count: 0
    .wavefront_size: 32
  - .args:
      - .offset:         0
        .size:           64
        .value_kind:     by_value
    .group_segment_fixed_size: 0
    .kernarg_segment_align: 8
    .kernarg_segment_size: 64
    .language:       OpenCL C
    .language_version:
      - 2
      - 0
    .max_flat_workgroup_size: 256
    .name:           _ZN7rocprim17ROCPRIM_400000_NS6detail17trampoline_kernelINS0_14default_configENS1_38merge_sort_block_merge_config_selectorImNS0_10empty_typeEEEZZNS1_27merge_sort_block_merge_implIS3_PmPS5_jNS1_19radix_merge_compareILb0ELb0EmNS0_19identity_decomposerEEEEE10hipError_tT0_T1_T2_jT3_P12ihipStream_tbPNSt15iterator_traitsISE_E10value_typeEPNSK_ISF_E10value_typeEPSG_NS1_7vsmem_tEENKUlT_SE_SF_SG_E_clIS8_S8_S9_S9_EESD_ST_SE_SF_SG_EUlST_E0_NS1_11comp_targetILNS1_3genE4ELNS1_11target_archE910ELNS1_3gpuE8ELNS1_3repE0EEENS1_38merge_mergepath_config_static_selectorELNS0_4arch9wavefront6targetE0EEEvSF_
    .private_segment_fixed_size: 0
    .sgpr_count:     0
    .sgpr_spill_count: 0
    .symbol:         _ZN7rocprim17ROCPRIM_400000_NS6detail17trampoline_kernelINS0_14default_configENS1_38merge_sort_block_merge_config_selectorImNS0_10empty_typeEEEZZNS1_27merge_sort_block_merge_implIS3_PmPS5_jNS1_19radix_merge_compareILb0ELb0EmNS0_19identity_decomposerEEEEE10hipError_tT0_T1_T2_jT3_P12ihipStream_tbPNSt15iterator_traitsISE_E10value_typeEPNSK_ISF_E10value_typeEPSG_NS1_7vsmem_tEENKUlT_SE_SF_SG_E_clIS8_S8_S9_S9_EESD_ST_SE_SF_SG_EUlST_E0_NS1_11comp_targetILNS1_3genE4ELNS1_11target_archE910ELNS1_3gpuE8ELNS1_3repE0EEENS1_38merge_mergepath_config_static_selectorELNS0_4arch9wavefront6targetE0EEEvSF_.kd
    .uniform_work_group_size: 1
    .uses_dynamic_stack: false
    .vgpr_count:     0
    .vgpr_spill_count: 0
    .wavefront_size: 32
  - .args:
      - .offset:         0
        .size:           64
        .value_kind:     by_value
    .group_segment_fixed_size: 0
    .kernarg_segment_align: 8
    .kernarg_segment_size: 64
    .language:       OpenCL C
    .language_version:
      - 2
      - 0
    .max_flat_workgroup_size: 128
    .name:           _ZN7rocprim17ROCPRIM_400000_NS6detail17trampoline_kernelINS0_14default_configENS1_38merge_sort_block_merge_config_selectorImNS0_10empty_typeEEEZZNS1_27merge_sort_block_merge_implIS3_PmPS5_jNS1_19radix_merge_compareILb0ELb0EmNS0_19identity_decomposerEEEEE10hipError_tT0_T1_T2_jT3_P12ihipStream_tbPNSt15iterator_traitsISE_E10value_typeEPNSK_ISF_E10value_typeEPSG_NS1_7vsmem_tEENKUlT_SE_SF_SG_E_clIS8_S8_S9_S9_EESD_ST_SE_SF_SG_EUlST_E0_NS1_11comp_targetILNS1_3genE3ELNS1_11target_archE908ELNS1_3gpuE7ELNS1_3repE0EEENS1_38merge_mergepath_config_static_selectorELNS0_4arch9wavefront6targetE0EEEvSF_
    .private_segment_fixed_size: 0
    .sgpr_count:     0
    .sgpr_spill_count: 0
    .symbol:         _ZN7rocprim17ROCPRIM_400000_NS6detail17trampoline_kernelINS0_14default_configENS1_38merge_sort_block_merge_config_selectorImNS0_10empty_typeEEEZZNS1_27merge_sort_block_merge_implIS3_PmPS5_jNS1_19radix_merge_compareILb0ELb0EmNS0_19identity_decomposerEEEEE10hipError_tT0_T1_T2_jT3_P12ihipStream_tbPNSt15iterator_traitsISE_E10value_typeEPNSK_ISF_E10value_typeEPSG_NS1_7vsmem_tEENKUlT_SE_SF_SG_E_clIS8_S8_S9_S9_EESD_ST_SE_SF_SG_EUlST_E0_NS1_11comp_targetILNS1_3genE3ELNS1_11target_archE908ELNS1_3gpuE7ELNS1_3repE0EEENS1_38merge_mergepath_config_static_selectorELNS0_4arch9wavefront6targetE0EEEvSF_.kd
    .uniform_work_group_size: 1
    .uses_dynamic_stack: false
    .vgpr_count:     0
    .vgpr_spill_count: 0
    .wavefront_size: 32
  - .args:
      - .offset:         0
        .size:           64
        .value_kind:     by_value
    .group_segment_fixed_size: 0
    .kernarg_segment_align: 8
    .kernarg_segment_size: 64
    .language:       OpenCL C
    .language_version:
      - 2
      - 0
    .max_flat_workgroup_size: 256
    .name:           _ZN7rocprim17ROCPRIM_400000_NS6detail17trampoline_kernelINS0_14default_configENS1_38merge_sort_block_merge_config_selectorImNS0_10empty_typeEEEZZNS1_27merge_sort_block_merge_implIS3_PmPS5_jNS1_19radix_merge_compareILb0ELb0EmNS0_19identity_decomposerEEEEE10hipError_tT0_T1_T2_jT3_P12ihipStream_tbPNSt15iterator_traitsISE_E10value_typeEPNSK_ISF_E10value_typeEPSG_NS1_7vsmem_tEENKUlT_SE_SF_SG_E_clIS8_S8_S9_S9_EESD_ST_SE_SF_SG_EUlST_E0_NS1_11comp_targetILNS1_3genE2ELNS1_11target_archE906ELNS1_3gpuE6ELNS1_3repE0EEENS1_38merge_mergepath_config_static_selectorELNS0_4arch9wavefront6targetE0EEEvSF_
    .private_segment_fixed_size: 0
    .sgpr_count:     0
    .sgpr_spill_count: 0
    .symbol:         _ZN7rocprim17ROCPRIM_400000_NS6detail17trampoline_kernelINS0_14default_configENS1_38merge_sort_block_merge_config_selectorImNS0_10empty_typeEEEZZNS1_27merge_sort_block_merge_implIS3_PmPS5_jNS1_19radix_merge_compareILb0ELb0EmNS0_19identity_decomposerEEEEE10hipError_tT0_T1_T2_jT3_P12ihipStream_tbPNSt15iterator_traitsISE_E10value_typeEPNSK_ISF_E10value_typeEPSG_NS1_7vsmem_tEENKUlT_SE_SF_SG_E_clIS8_S8_S9_S9_EESD_ST_SE_SF_SG_EUlST_E0_NS1_11comp_targetILNS1_3genE2ELNS1_11target_archE906ELNS1_3gpuE6ELNS1_3repE0EEENS1_38merge_mergepath_config_static_selectorELNS0_4arch9wavefront6targetE0EEEvSF_.kd
    .uniform_work_group_size: 1
    .uses_dynamic_stack: false
    .vgpr_count:     0
    .vgpr_spill_count: 0
    .wavefront_size: 32
  - .args:
      - .offset:         0
        .size:           64
        .value_kind:     by_value
    .group_segment_fixed_size: 0
    .kernarg_segment_align: 8
    .kernarg_segment_size: 64
    .language:       OpenCL C
    .language_version:
      - 2
      - 0
    .max_flat_workgroup_size: 512
    .name:           _ZN7rocprim17ROCPRIM_400000_NS6detail17trampoline_kernelINS0_14default_configENS1_38merge_sort_block_merge_config_selectorImNS0_10empty_typeEEEZZNS1_27merge_sort_block_merge_implIS3_PmPS5_jNS1_19radix_merge_compareILb0ELb0EmNS0_19identity_decomposerEEEEE10hipError_tT0_T1_T2_jT3_P12ihipStream_tbPNSt15iterator_traitsISE_E10value_typeEPNSK_ISF_E10value_typeEPSG_NS1_7vsmem_tEENKUlT_SE_SF_SG_E_clIS8_S8_S9_S9_EESD_ST_SE_SF_SG_EUlST_E0_NS1_11comp_targetILNS1_3genE9ELNS1_11target_archE1100ELNS1_3gpuE3ELNS1_3repE0EEENS1_38merge_mergepath_config_static_selectorELNS0_4arch9wavefront6targetE0EEEvSF_
    .private_segment_fixed_size: 0
    .sgpr_count:     0
    .sgpr_spill_count: 0
    .symbol:         _ZN7rocprim17ROCPRIM_400000_NS6detail17trampoline_kernelINS0_14default_configENS1_38merge_sort_block_merge_config_selectorImNS0_10empty_typeEEEZZNS1_27merge_sort_block_merge_implIS3_PmPS5_jNS1_19radix_merge_compareILb0ELb0EmNS0_19identity_decomposerEEEEE10hipError_tT0_T1_T2_jT3_P12ihipStream_tbPNSt15iterator_traitsISE_E10value_typeEPNSK_ISF_E10value_typeEPSG_NS1_7vsmem_tEENKUlT_SE_SF_SG_E_clIS8_S8_S9_S9_EESD_ST_SE_SF_SG_EUlST_E0_NS1_11comp_targetILNS1_3genE9ELNS1_11target_archE1100ELNS1_3gpuE3ELNS1_3repE0EEENS1_38merge_mergepath_config_static_selectorELNS0_4arch9wavefront6targetE0EEEvSF_.kd
    .uniform_work_group_size: 1
    .uses_dynamic_stack: false
    .vgpr_count:     0
    .vgpr_spill_count: 0
    .wavefront_size: 32
  - .args:
      - .offset:         0
        .size:           64
        .value_kind:     by_value
    .group_segment_fixed_size: 0
    .kernarg_segment_align: 8
    .kernarg_segment_size: 64
    .language:       OpenCL C
    .language_version:
      - 2
      - 0
    .max_flat_workgroup_size: 1024
    .name:           _ZN7rocprim17ROCPRIM_400000_NS6detail17trampoline_kernelINS0_14default_configENS1_38merge_sort_block_merge_config_selectorImNS0_10empty_typeEEEZZNS1_27merge_sort_block_merge_implIS3_PmPS5_jNS1_19radix_merge_compareILb0ELb0EmNS0_19identity_decomposerEEEEE10hipError_tT0_T1_T2_jT3_P12ihipStream_tbPNSt15iterator_traitsISE_E10value_typeEPNSK_ISF_E10value_typeEPSG_NS1_7vsmem_tEENKUlT_SE_SF_SG_E_clIS8_S8_S9_S9_EESD_ST_SE_SF_SG_EUlST_E0_NS1_11comp_targetILNS1_3genE8ELNS1_11target_archE1030ELNS1_3gpuE2ELNS1_3repE0EEENS1_38merge_mergepath_config_static_selectorELNS0_4arch9wavefront6targetE0EEEvSF_
    .private_segment_fixed_size: 0
    .sgpr_count:     0
    .sgpr_spill_count: 0
    .symbol:         _ZN7rocprim17ROCPRIM_400000_NS6detail17trampoline_kernelINS0_14default_configENS1_38merge_sort_block_merge_config_selectorImNS0_10empty_typeEEEZZNS1_27merge_sort_block_merge_implIS3_PmPS5_jNS1_19radix_merge_compareILb0ELb0EmNS0_19identity_decomposerEEEEE10hipError_tT0_T1_T2_jT3_P12ihipStream_tbPNSt15iterator_traitsISE_E10value_typeEPNSK_ISF_E10value_typeEPSG_NS1_7vsmem_tEENKUlT_SE_SF_SG_E_clIS8_S8_S9_S9_EESD_ST_SE_SF_SG_EUlST_E0_NS1_11comp_targetILNS1_3genE8ELNS1_11target_archE1030ELNS1_3gpuE2ELNS1_3repE0EEENS1_38merge_mergepath_config_static_selectorELNS0_4arch9wavefront6targetE0EEEvSF_.kd
    .uniform_work_group_size: 1
    .uses_dynamic_stack: false
    .vgpr_count:     0
    .vgpr_spill_count: 0
    .wavefront_size: 32
  - .args:
      - .offset:         0
        .size:           48
        .value_kind:     by_value
    .group_segment_fixed_size: 0
    .kernarg_segment_align: 8
    .kernarg_segment_size: 48
    .language:       OpenCL C
    .language_version:
      - 2
      - 0
    .max_flat_workgroup_size: 256
    .name:           _ZN7rocprim17ROCPRIM_400000_NS6detail17trampoline_kernelINS0_14default_configENS1_38merge_sort_block_merge_config_selectorImNS0_10empty_typeEEEZZNS1_27merge_sort_block_merge_implIS3_PmPS5_jNS1_19radix_merge_compareILb0ELb0EmNS0_19identity_decomposerEEEEE10hipError_tT0_T1_T2_jT3_P12ihipStream_tbPNSt15iterator_traitsISE_E10value_typeEPNSK_ISF_E10value_typeEPSG_NS1_7vsmem_tEENKUlT_SE_SF_SG_E_clIS8_S8_S9_S9_EESD_ST_SE_SF_SG_EUlST_E1_NS1_11comp_targetILNS1_3genE0ELNS1_11target_archE4294967295ELNS1_3gpuE0ELNS1_3repE0EEENS1_36merge_oddeven_config_static_selectorELNS0_4arch9wavefront6targetE0EEEvSF_
    .private_segment_fixed_size: 0
    .sgpr_count:     18
    .sgpr_spill_count: 0
    .symbol:         _ZN7rocprim17ROCPRIM_400000_NS6detail17trampoline_kernelINS0_14default_configENS1_38merge_sort_block_merge_config_selectorImNS0_10empty_typeEEEZZNS1_27merge_sort_block_merge_implIS3_PmPS5_jNS1_19radix_merge_compareILb0ELb0EmNS0_19identity_decomposerEEEEE10hipError_tT0_T1_T2_jT3_P12ihipStream_tbPNSt15iterator_traitsISE_E10value_typeEPNSK_ISF_E10value_typeEPSG_NS1_7vsmem_tEENKUlT_SE_SF_SG_E_clIS8_S8_S9_S9_EESD_ST_SE_SF_SG_EUlST_E1_NS1_11comp_targetILNS1_3genE0ELNS1_11target_archE4294967295ELNS1_3gpuE0ELNS1_3repE0EEENS1_36merge_oddeven_config_static_selectorELNS0_4arch9wavefront6targetE0EEEvSF_.kd
    .uniform_work_group_size: 1
    .uses_dynamic_stack: false
    .vgpr_count:     9
    .vgpr_spill_count: 0
    .wavefront_size: 32
  - .args:
      - .offset:         0
        .size:           48
        .value_kind:     by_value
    .group_segment_fixed_size: 0
    .kernarg_segment_align: 8
    .kernarg_segment_size: 48
    .language:       OpenCL C
    .language_version:
      - 2
      - 0
    .max_flat_workgroup_size: 256
    .name:           _ZN7rocprim17ROCPRIM_400000_NS6detail17trampoline_kernelINS0_14default_configENS1_38merge_sort_block_merge_config_selectorImNS0_10empty_typeEEEZZNS1_27merge_sort_block_merge_implIS3_PmPS5_jNS1_19radix_merge_compareILb0ELb0EmNS0_19identity_decomposerEEEEE10hipError_tT0_T1_T2_jT3_P12ihipStream_tbPNSt15iterator_traitsISE_E10value_typeEPNSK_ISF_E10value_typeEPSG_NS1_7vsmem_tEENKUlT_SE_SF_SG_E_clIS8_S8_S9_S9_EESD_ST_SE_SF_SG_EUlST_E1_NS1_11comp_targetILNS1_3genE10ELNS1_11target_archE1201ELNS1_3gpuE5ELNS1_3repE0EEENS1_36merge_oddeven_config_static_selectorELNS0_4arch9wavefront6targetE0EEEvSF_
    .private_segment_fixed_size: 0
    .sgpr_count:     0
    .sgpr_spill_count: 0
    .symbol:         _ZN7rocprim17ROCPRIM_400000_NS6detail17trampoline_kernelINS0_14default_configENS1_38merge_sort_block_merge_config_selectorImNS0_10empty_typeEEEZZNS1_27merge_sort_block_merge_implIS3_PmPS5_jNS1_19radix_merge_compareILb0ELb0EmNS0_19identity_decomposerEEEEE10hipError_tT0_T1_T2_jT3_P12ihipStream_tbPNSt15iterator_traitsISE_E10value_typeEPNSK_ISF_E10value_typeEPSG_NS1_7vsmem_tEENKUlT_SE_SF_SG_E_clIS8_S8_S9_S9_EESD_ST_SE_SF_SG_EUlST_E1_NS1_11comp_targetILNS1_3genE10ELNS1_11target_archE1201ELNS1_3gpuE5ELNS1_3repE0EEENS1_36merge_oddeven_config_static_selectorELNS0_4arch9wavefront6targetE0EEEvSF_.kd
    .uniform_work_group_size: 1
    .uses_dynamic_stack: false
    .vgpr_count:     0
    .vgpr_spill_count: 0
    .wavefront_size: 32
  - .args:
      - .offset:         0
        .size:           48
        .value_kind:     by_value
    .group_segment_fixed_size: 0
    .kernarg_segment_align: 8
    .kernarg_segment_size: 48
    .language:       OpenCL C
    .language_version:
      - 2
      - 0
    .max_flat_workgroup_size: 256
    .name:           _ZN7rocprim17ROCPRIM_400000_NS6detail17trampoline_kernelINS0_14default_configENS1_38merge_sort_block_merge_config_selectorImNS0_10empty_typeEEEZZNS1_27merge_sort_block_merge_implIS3_PmPS5_jNS1_19radix_merge_compareILb0ELb0EmNS0_19identity_decomposerEEEEE10hipError_tT0_T1_T2_jT3_P12ihipStream_tbPNSt15iterator_traitsISE_E10value_typeEPNSK_ISF_E10value_typeEPSG_NS1_7vsmem_tEENKUlT_SE_SF_SG_E_clIS8_S8_S9_S9_EESD_ST_SE_SF_SG_EUlST_E1_NS1_11comp_targetILNS1_3genE5ELNS1_11target_archE942ELNS1_3gpuE9ELNS1_3repE0EEENS1_36merge_oddeven_config_static_selectorELNS0_4arch9wavefront6targetE0EEEvSF_
    .private_segment_fixed_size: 0
    .sgpr_count:     0
    .sgpr_spill_count: 0
    .symbol:         _ZN7rocprim17ROCPRIM_400000_NS6detail17trampoline_kernelINS0_14default_configENS1_38merge_sort_block_merge_config_selectorImNS0_10empty_typeEEEZZNS1_27merge_sort_block_merge_implIS3_PmPS5_jNS1_19radix_merge_compareILb0ELb0EmNS0_19identity_decomposerEEEEE10hipError_tT0_T1_T2_jT3_P12ihipStream_tbPNSt15iterator_traitsISE_E10value_typeEPNSK_ISF_E10value_typeEPSG_NS1_7vsmem_tEENKUlT_SE_SF_SG_E_clIS8_S8_S9_S9_EESD_ST_SE_SF_SG_EUlST_E1_NS1_11comp_targetILNS1_3genE5ELNS1_11target_archE942ELNS1_3gpuE9ELNS1_3repE0EEENS1_36merge_oddeven_config_static_selectorELNS0_4arch9wavefront6targetE0EEEvSF_.kd
    .uniform_work_group_size: 1
    .uses_dynamic_stack: false
    .vgpr_count:     0
    .vgpr_spill_count: 0
    .wavefront_size: 32
  - .args:
      - .offset:         0
        .size:           48
        .value_kind:     by_value
    .group_segment_fixed_size: 0
    .kernarg_segment_align: 8
    .kernarg_segment_size: 48
    .language:       OpenCL C
    .language_version:
      - 2
      - 0
    .max_flat_workgroup_size: 256
    .name:           _ZN7rocprim17ROCPRIM_400000_NS6detail17trampoline_kernelINS0_14default_configENS1_38merge_sort_block_merge_config_selectorImNS0_10empty_typeEEEZZNS1_27merge_sort_block_merge_implIS3_PmPS5_jNS1_19radix_merge_compareILb0ELb0EmNS0_19identity_decomposerEEEEE10hipError_tT0_T1_T2_jT3_P12ihipStream_tbPNSt15iterator_traitsISE_E10value_typeEPNSK_ISF_E10value_typeEPSG_NS1_7vsmem_tEENKUlT_SE_SF_SG_E_clIS8_S8_S9_S9_EESD_ST_SE_SF_SG_EUlST_E1_NS1_11comp_targetILNS1_3genE4ELNS1_11target_archE910ELNS1_3gpuE8ELNS1_3repE0EEENS1_36merge_oddeven_config_static_selectorELNS0_4arch9wavefront6targetE0EEEvSF_
    .private_segment_fixed_size: 0
    .sgpr_count:     0
    .sgpr_spill_count: 0
    .symbol:         _ZN7rocprim17ROCPRIM_400000_NS6detail17trampoline_kernelINS0_14default_configENS1_38merge_sort_block_merge_config_selectorImNS0_10empty_typeEEEZZNS1_27merge_sort_block_merge_implIS3_PmPS5_jNS1_19radix_merge_compareILb0ELb0EmNS0_19identity_decomposerEEEEE10hipError_tT0_T1_T2_jT3_P12ihipStream_tbPNSt15iterator_traitsISE_E10value_typeEPNSK_ISF_E10value_typeEPSG_NS1_7vsmem_tEENKUlT_SE_SF_SG_E_clIS8_S8_S9_S9_EESD_ST_SE_SF_SG_EUlST_E1_NS1_11comp_targetILNS1_3genE4ELNS1_11target_archE910ELNS1_3gpuE8ELNS1_3repE0EEENS1_36merge_oddeven_config_static_selectorELNS0_4arch9wavefront6targetE0EEEvSF_.kd
    .uniform_work_group_size: 1
    .uses_dynamic_stack: false
    .vgpr_count:     0
    .vgpr_spill_count: 0
    .wavefront_size: 32
  - .args:
      - .offset:         0
        .size:           48
        .value_kind:     by_value
    .group_segment_fixed_size: 0
    .kernarg_segment_align: 8
    .kernarg_segment_size: 48
    .language:       OpenCL C
    .language_version:
      - 2
      - 0
    .max_flat_workgroup_size: 256
    .name:           _ZN7rocprim17ROCPRIM_400000_NS6detail17trampoline_kernelINS0_14default_configENS1_38merge_sort_block_merge_config_selectorImNS0_10empty_typeEEEZZNS1_27merge_sort_block_merge_implIS3_PmPS5_jNS1_19radix_merge_compareILb0ELb0EmNS0_19identity_decomposerEEEEE10hipError_tT0_T1_T2_jT3_P12ihipStream_tbPNSt15iterator_traitsISE_E10value_typeEPNSK_ISF_E10value_typeEPSG_NS1_7vsmem_tEENKUlT_SE_SF_SG_E_clIS8_S8_S9_S9_EESD_ST_SE_SF_SG_EUlST_E1_NS1_11comp_targetILNS1_3genE3ELNS1_11target_archE908ELNS1_3gpuE7ELNS1_3repE0EEENS1_36merge_oddeven_config_static_selectorELNS0_4arch9wavefront6targetE0EEEvSF_
    .private_segment_fixed_size: 0
    .sgpr_count:     0
    .sgpr_spill_count: 0
    .symbol:         _ZN7rocprim17ROCPRIM_400000_NS6detail17trampoline_kernelINS0_14default_configENS1_38merge_sort_block_merge_config_selectorImNS0_10empty_typeEEEZZNS1_27merge_sort_block_merge_implIS3_PmPS5_jNS1_19radix_merge_compareILb0ELb0EmNS0_19identity_decomposerEEEEE10hipError_tT0_T1_T2_jT3_P12ihipStream_tbPNSt15iterator_traitsISE_E10value_typeEPNSK_ISF_E10value_typeEPSG_NS1_7vsmem_tEENKUlT_SE_SF_SG_E_clIS8_S8_S9_S9_EESD_ST_SE_SF_SG_EUlST_E1_NS1_11comp_targetILNS1_3genE3ELNS1_11target_archE908ELNS1_3gpuE7ELNS1_3repE0EEENS1_36merge_oddeven_config_static_selectorELNS0_4arch9wavefront6targetE0EEEvSF_.kd
    .uniform_work_group_size: 1
    .uses_dynamic_stack: false
    .vgpr_count:     0
    .vgpr_spill_count: 0
    .wavefront_size: 32
  - .args:
      - .offset:         0
        .size:           48
        .value_kind:     by_value
    .group_segment_fixed_size: 0
    .kernarg_segment_align: 8
    .kernarg_segment_size: 48
    .language:       OpenCL C
    .language_version:
      - 2
      - 0
    .max_flat_workgroup_size: 256
    .name:           _ZN7rocprim17ROCPRIM_400000_NS6detail17trampoline_kernelINS0_14default_configENS1_38merge_sort_block_merge_config_selectorImNS0_10empty_typeEEEZZNS1_27merge_sort_block_merge_implIS3_PmPS5_jNS1_19radix_merge_compareILb0ELb0EmNS0_19identity_decomposerEEEEE10hipError_tT0_T1_T2_jT3_P12ihipStream_tbPNSt15iterator_traitsISE_E10value_typeEPNSK_ISF_E10value_typeEPSG_NS1_7vsmem_tEENKUlT_SE_SF_SG_E_clIS8_S8_S9_S9_EESD_ST_SE_SF_SG_EUlST_E1_NS1_11comp_targetILNS1_3genE2ELNS1_11target_archE906ELNS1_3gpuE6ELNS1_3repE0EEENS1_36merge_oddeven_config_static_selectorELNS0_4arch9wavefront6targetE0EEEvSF_
    .private_segment_fixed_size: 0
    .sgpr_count:     0
    .sgpr_spill_count: 0
    .symbol:         _ZN7rocprim17ROCPRIM_400000_NS6detail17trampoline_kernelINS0_14default_configENS1_38merge_sort_block_merge_config_selectorImNS0_10empty_typeEEEZZNS1_27merge_sort_block_merge_implIS3_PmPS5_jNS1_19radix_merge_compareILb0ELb0EmNS0_19identity_decomposerEEEEE10hipError_tT0_T1_T2_jT3_P12ihipStream_tbPNSt15iterator_traitsISE_E10value_typeEPNSK_ISF_E10value_typeEPSG_NS1_7vsmem_tEENKUlT_SE_SF_SG_E_clIS8_S8_S9_S9_EESD_ST_SE_SF_SG_EUlST_E1_NS1_11comp_targetILNS1_3genE2ELNS1_11target_archE906ELNS1_3gpuE6ELNS1_3repE0EEENS1_36merge_oddeven_config_static_selectorELNS0_4arch9wavefront6targetE0EEEvSF_.kd
    .uniform_work_group_size: 1
    .uses_dynamic_stack: false
    .vgpr_count:     0
    .vgpr_spill_count: 0
    .wavefront_size: 32
  - .args:
      - .offset:         0
        .size:           48
        .value_kind:     by_value
    .group_segment_fixed_size: 0
    .kernarg_segment_align: 8
    .kernarg_segment_size: 48
    .language:       OpenCL C
    .language_version:
      - 2
      - 0
    .max_flat_workgroup_size: 256
    .name:           _ZN7rocprim17ROCPRIM_400000_NS6detail17trampoline_kernelINS0_14default_configENS1_38merge_sort_block_merge_config_selectorImNS0_10empty_typeEEEZZNS1_27merge_sort_block_merge_implIS3_PmPS5_jNS1_19radix_merge_compareILb0ELb0EmNS0_19identity_decomposerEEEEE10hipError_tT0_T1_T2_jT3_P12ihipStream_tbPNSt15iterator_traitsISE_E10value_typeEPNSK_ISF_E10value_typeEPSG_NS1_7vsmem_tEENKUlT_SE_SF_SG_E_clIS8_S8_S9_S9_EESD_ST_SE_SF_SG_EUlST_E1_NS1_11comp_targetILNS1_3genE9ELNS1_11target_archE1100ELNS1_3gpuE3ELNS1_3repE0EEENS1_36merge_oddeven_config_static_selectorELNS0_4arch9wavefront6targetE0EEEvSF_
    .private_segment_fixed_size: 0
    .sgpr_count:     0
    .sgpr_spill_count: 0
    .symbol:         _ZN7rocprim17ROCPRIM_400000_NS6detail17trampoline_kernelINS0_14default_configENS1_38merge_sort_block_merge_config_selectorImNS0_10empty_typeEEEZZNS1_27merge_sort_block_merge_implIS3_PmPS5_jNS1_19radix_merge_compareILb0ELb0EmNS0_19identity_decomposerEEEEE10hipError_tT0_T1_T2_jT3_P12ihipStream_tbPNSt15iterator_traitsISE_E10value_typeEPNSK_ISF_E10value_typeEPSG_NS1_7vsmem_tEENKUlT_SE_SF_SG_E_clIS8_S8_S9_S9_EESD_ST_SE_SF_SG_EUlST_E1_NS1_11comp_targetILNS1_3genE9ELNS1_11target_archE1100ELNS1_3gpuE3ELNS1_3repE0EEENS1_36merge_oddeven_config_static_selectorELNS0_4arch9wavefront6targetE0EEEvSF_.kd
    .uniform_work_group_size: 1
    .uses_dynamic_stack: false
    .vgpr_count:     0
    .vgpr_spill_count: 0
    .wavefront_size: 32
  - .args:
      - .offset:         0
        .size:           48
        .value_kind:     by_value
    .group_segment_fixed_size: 0
    .kernarg_segment_align: 8
    .kernarg_segment_size: 48
    .language:       OpenCL C
    .language_version:
      - 2
      - 0
    .max_flat_workgroup_size: 256
    .name:           _ZN7rocprim17ROCPRIM_400000_NS6detail17trampoline_kernelINS0_14default_configENS1_38merge_sort_block_merge_config_selectorImNS0_10empty_typeEEEZZNS1_27merge_sort_block_merge_implIS3_PmPS5_jNS1_19radix_merge_compareILb0ELb0EmNS0_19identity_decomposerEEEEE10hipError_tT0_T1_T2_jT3_P12ihipStream_tbPNSt15iterator_traitsISE_E10value_typeEPNSK_ISF_E10value_typeEPSG_NS1_7vsmem_tEENKUlT_SE_SF_SG_E_clIS8_S8_S9_S9_EESD_ST_SE_SF_SG_EUlST_E1_NS1_11comp_targetILNS1_3genE8ELNS1_11target_archE1030ELNS1_3gpuE2ELNS1_3repE0EEENS1_36merge_oddeven_config_static_selectorELNS0_4arch9wavefront6targetE0EEEvSF_
    .private_segment_fixed_size: 0
    .sgpr_count:     0
    .sgpr_spill_count: 0
    .symbol:         _ZN7rocprim17ROCPRIM_400000_NS6detail17trampoline_kernelINS0_14default_configENS1_38merge_sort_block_merge_config_selectorImNS0_10empty_typeEEEZZNS1_27merge_sort_block_merge_implIS3_PmPS5_jNS1_19radix_merge_compareILb0ELb0EmNS0_19identity_decomposerEEEEE10hipError_tT0_T1_T2_jT3_P12ihipStream_tbPNSt15iterator_traitsISE_E10value_typeEPNSK_ISF_E10value_typeEPSG_NS1_7vsmem_tEENKUlT_SE_SF_SG_E_clIS8_S8_S9_S9_EESD_ST_SE_SF_SG_EUlST_E1_NS1_11comp_targetILNS1_3genE8ELNS1_11target_archE1030ELNS1_3gpuE2ELNS1_3repE0EEENS1_36merge_oddeven_config_static_selectorELNS0_4arch9wavefront6targetE0EEEvSF_.kd
    .uniform_work_group_size: 1
    .uses_dynamic_stack: false
    .vgpr_count:     0
    .vgpr_spill_count: 0
    .wavefront_size: 32
  - .args:
      - .offset:         0
        .size:           40
        .value_kind:     by_value
    .group_segment_fixed_size: 0
    .kernarg_segment_align: 8
    .kernarg_segment_size: 40
    .language:       OpenCL C
    .language_version:
      - 2
      - 0
    .max_flat_workgroup_size: 128
    .name:           _ZN7rocprim17ROCPRIM_400000_NS6detail17trampoline_kernelINS0_14default_configENS1_38merge_sort_block_merge_config_selectorImNS0_10empty_typeEEEZZNS1_27merge_sort_block_merge_implIS3_PmPS5_jNS1_19radix_merge_compareILb0ELb1EmNS0_19identity_decomposerEEEEE10hipError_tT0_T1_T2_jT3_P12ihipStream_tbPNSt15iterator_traitsISE_E10value_typeEPNSK_ISF_E10value_typeEPSG_NS1_7vsmem_tEENKUlT_SE_SF_SG_E_clIS8_S8_S9_S9_EESD_ST_SE_SF_SG_EUlST_E_NS1_11comp_targetILNS1_3genE0ELNS1_11target_archE4294967295ELNS1_3gpuE0ELNS1_3repE0EEENS1_48merge_mergepath_partition_config_static_selectorELNS0_4arch9wavefront6targetE0EEEvSF_
    .private_segment_fixed_size: 0
    .sgpr_count:     10
    .sgpr_spill_count: 0
    .symbol:         _ZN7rocprim17ROCPRIM_400000_NS6detail17trampoline_kernelINS0_14default_configENS1_38merge_sort_block_merge_config_selectorImNS0_10empty_typeEEEZZNS1_27merge_sort_block_merge_implIS3_PmPS5_jNS1_19radix_merge_compareILb0ELb1EmNS0_19identity_decomposerEEEEE10hipError_tT0_T1_T2_jT3_P12ihipStream_tbPNSt15iterator_traitsISE_E10value_typeEPNSK_ISF_E10value_typeEPSG_NS1_7vsmem_tEENKUlT_SE_SF_SG_E_clIS8_S8_S9_S9_EESD_ST_SE_SF_SG_EUlST_E_NS1_11comp_targetILNS1_3genE0ELNS1_11target_archE4294967295ELNS1_3gpuE0ELNS1_3repE0EEENS1_48merge_mergepath_partition_config_static_selectorELNS0_4arch9wavefront6targetE0EEEvSF_.kd
    .uniform_work_group_size: 1
    .uses_dynamic_stack: false
    .vgpr_count:     20
    .vgpr_spill_count: 0
    .wavefront_size: 32
  - .args:
      - .offset:         0
        .size:           40
        .value_kind:     by_value
    .group_segment_fixed_size: 0
    .kernarg_segment_align: 8
    .kernarg_segment_size: 40
    .language:       OpenCL C
    .language_version:
      - 2
      - 0
    .max_flat_workgroup_size: 128
    .name:           _ZN7rocprim17ROCPRIM_400000_NS6detail17trampoline_kernelINS0_14default_configENS1_38merge_sort_block_merge_config_selectorImNS0_10empty_typeEEEZZNS1_27merge_sort_block_merge_implIS3_PmPS5_jNS1_19radix_merge_compareILb0ELb1EmNS0_19identity_decomposerEEEEE10hipError_tT0_T1_T2_jT3_P12ihipStream_tbPNSt15iterator_traitsISE_E10value_typeEPNSK_ISF_E10value_typeEPSG_NS1_7vsmem_tEENKUlT_SE_SF_SG_E_clIS8_S8_S9_S9_EESD_ST_SE_SF_SG_EUlST_E_NS1_11comp_targetILNS1_3genE10ELNS1_11target_archE1201ELNS1_3gpuE5ELNS1_3repE0EEENS1_48merge_mergepath_partition_config_static_selectorELNS0_4arch9wavefront6targetE0EEEvSF_
    .private_segment_fixed_size: 0
    .sgpr_count:     0
    .sgpr_spill_count: 0
    .symbol:         _ZN7rocprim17ROCPRIM_400000_NS6detail17trampoline_kernelINS0_14default_configENS1_38merge_sort_block_merge_config_selectorImNS0_10empty_typeEEEZZNS1_27merge_sort_block_merge_implIS3_PmPS5_jNS1_19radix_merge_compareILb0ELb1EmNS0_19identity_decomposerEEEEE10hipError_tT0_T1_T2_jT3_P12ihipStream_tbPNSt15iterator_traitsISE_E10value_typeEPNSK_ISF_E10value_typeEPSG_NS1_7vsmem_tEENKUlT_SE_SF_SG_E_clIS8_S8_S9_S9_EESD_ST_SE_SF_SG_EUlST_E_NS1_11comp_targetILNS1_3genE10ELNS1_11target_archE1201ELNS1_3gpuE5ELNS1_3repE0EEENS1_48merge_mergepath_partition_config_static_selectorELNS0_4arch9wavefront6targetE0EEEvSF_.kd
    .uniform_work_group_size: 1
    .uses_dynamic_stack: false
    .vgpr_count:     0
    .vgpr_spill_count: 0
    .wavefront_size: 32
  - .args:
      - .offset:         0
        .size:           40
        .value_kind:     by_value
    .group_segment_fixed_size: 0
    .kernarg_segment_align: 8
    .kernarg_segment_size: 40
    .language:       OpenCL C
    .language_version:
      - 2
      - 0
    .max_flat_workgroup_size: 128
    .name:           _ZN7rocprim17ROCPRIM_400000_NS6detail17trampoline_kernelINS0_14default_configENS1_38merge_sort_block_merge_config_selectorImNS0_10empty_typeEEEZZNS1_27merge_sort_block_merge_implIS3_PmPS5_jNS1_19radix_merge_compareILb0ELb1EmNS0_19identity_decomposerEEEEE10hipError_tT0_T1_T2_jT3_P12ihipStream_tbPNSt15iterator_traitsISE_E10value_typeEPNSK_ISF_E10value_typeEPSG_NS1_7vsmem_tEENKUlT_SE_SF_SG_E_clIS8_S8_S9_S9_EESD_ST_SE_SF_SG_EUlST_E_NS1_11comp_targetILNS1_3genE5ELNS1_11target_archE942ELNS1_3gpuE9ELNS1_3repE0EEENS1_48merge_mergepath_partition_config_static_selectorELNS0_4arch9wavefront6targetE0EEEvSF_
    .private_segment_fixed_size: 0
    .sgpr_count:     0
    .sgpr_spill_count: 0
    .symbol:         _ZN7rocprim17ROCPRIM_400000_NS6detail17trampoline_kernelINS0_14default_configENS1_38merge_sort_block_merge_config_selectorImNS0_10empty_typeEEEZZNS1_27merge_sort_block_merge_implIS3_PmPS5_jNS1_19radix_merge_compareILb0ELb1EmNS0_19identity_decomposerEEEEE10hipError_tT0_T1_T2_jT3_P12ihipStream_tbPNSt15iterator_traitsISE_E10value_typeEPNSK_ISF_E10value_typeEPSG_NS1_7vsmem_tEENKUlT_SE_SF_SG_E_clIS8_S8_S9_S9_EESD_ST_SE_SF_SG_EUlST_E_NS1_11comp_targetILNS1_3genE5ELNS1_11target_archE942ELNS1_3gpuE9ELNS1_3repE0EEENS1_48merge_mergepath_partition_config_static_selectorELNS0_4arch9wavefront6targetE0EEEvSF_.kd
    .uniform_work_group_size: 1
    .uses_dynamic_stack: false
    .vgpr_count:     0
    .vgpr_spill_count: 0
    .wavefront_size: 32
  - .args:
      - .offset:         0
        .size:           40
        .value_kind:     by_value
    .group_segment_fixed_size: 0
    .kernarg_segment_align: 8
    .kernarg_segment_size: 40
    .language:       OpenCL C
    .language_version:
      - 2
      - 0
    .max_flat_workgroup_size: 128
    .name:           _ZN7rocprim17ROCPRIM_400000_NS6detail17trampoline_kernelINS0_14default_configENS1_38merge_sort_block_merge_config_selectorImNS0_10empty_typeEEEZZNS1_27merge_sort_block_merge_implIS3_PmPS5_jNS1_19radix_merge_compareILb0ELb1EmNS0_19identity_decomposerEEEEE10hipError_tT0_T1_T2_jT3_P12ihipStream_tbPNSt15iterator_traitsISE_E10value_typeEPNSK_ISF_E10value_typeEPSG_NS1_7vsmem_tEENKUlT_SE_SF_SG_E_clIS8_S8_S9_S9_EESD_ST_SE_SF_SG_EUlST_E_NS1_11comp_targetILNS1_3genE4ELNS1_11target_archE910ELNS1_3gpuE8ELNS1_3repE0EEENS1_48merge_mergepath_partition_config_static_selectorELNS0_4arch9wavefront6targetE0EEEvSF_
    .private_segment_fixed_size: 0
    .sgpr_count:     0
    .sgpr_spill_count: 0
    .symbol:         _ZN7rocprim17ROCPRIM_400000_NS6detail17trampoline_kernelINS0_14default_configENS1_38merge_sort_block_merge_config_selectorImNS0_10empty_typeEEEZZNS1_27merge_sort_block_merge_implIS3_PmPS5_jNS1_19radix_merge_compareILb0ELb1EmNS0_19identity_decomposerEEEEE10hipError_tT0_T1_T2_jT3_P12ihipStream_tbPNSt15iterator_traitsISE_E10value_typeEPNSK_ISF_E10value_typeEPSG_NS1_7vsmem_tEENKUlT_SE_SF_SG_E_clIS8_S8_S9_S9_EESD_ST_SE_SF_SG_EUlST_E_NS1_11comp_targetILNS1_3genE4ELNS1_11target_archE910ELNS1_3gpuE8ELNS1_3repE0EEENS1_48merge_mergepath_partition_config_static_selectorELNS0_4arch9wavefront6targetE0EEEvSF_.kd
    .uniform_work_group_size: 1
    .uses_dynamic_stack: false
    .vgpr_count:     0
    .vgpr_spill_count: 0
    .wavefront_size: 32
  - .args:
      - .offset:         0
        .size:           40
        .value_kind:     by_value
    .group_segment_fixed_size: 0
    .kernarg_segment_align: 8
    .kernarg_segment_size: 40
    .language:       OpenCL C
    .language_version:
      - 2
      - 0
    .max_flat_workgroup_size: 128
    .name:           _ZN7rocprim17ROCPRIM_400000_NS6detail17trampoline_kernelINS0_14default_configENS1_38merge_sort_block_merge_config_selectorImNS0_10empty_typeEEEZZNS1_27merge_sort_block_merge_implIS3_PmPS5_jNS1_19radix_merge_compareILb0ELb1EmNS0_19identity_decomposerEEEEE10hipError_tT0_T1_T2_jT3_P12ihipStream_tbPNSt15iterator_traitsISE_E10value_typeEPNSK_ISF_E10value_typeEPSG_NS1_7vsmem_tEENKUlT_SE_SF_SG_E_clIS8_S8_S9_S9_EESD_ST_SE_SF_SG_EUlST_E_NS1_11comp_targetILNS1_3genE3ELNS1_11target_archE908ELNS1_3gpuE7ELNS1_3repE0EEENS1_48merge_mergepath_partition_config_static_selectorELNS0_4arch9wavefront6targetE0EEEvSF_
    .private_segment_fixed_size: 0
    .sgpr_count:     0
    .sgpr_spill_count: 0
    .symbol:         _ZN7rocprim17ROCPRIM_400000_NS6detail17trampoline_kernelINS0_14default_configENS1_38merge_sort_block_merge_config_selectorImNS0_10empty_typeEEEZZNS1_27merge_sort_block_merge_implIS3_PmPS5_jNS1_19radix_merge_compareILb0ELb1EmNS0_19identity_decomposerEEEEE10hipError_tT0_T1_T2_jT3_P12ihipStream_tbPNSt15iterator_traitsISE_E10value_typeEPNSK_ISF_E10value_typeEPSG_NS1_7vsmem_tEENKUlT_SE_SF_SG_E_clIS8_S8_S9_S9_EESD_ST_SE_SF_SG_EUlST_E_NS1_11comp_targetILNS1_3genE3ELNS1_11target_archE908ELNS1_3gpuE7ELNS1_3repE0EEENS1_48merge_mergepath_partition_config_static_selectorELNS0_4arch9wavefront6targetE0EEEvSF_.kd
    .uniform_work_group_size: 1
    .uses_dynamic_stack: false
    .vgpr_count:     0
    .vgpr_spill_count: 0
    .wavefront_size: 32
  - .args:
      - .offset:         0
        .size:           40
        .value_kind:     by_value
    .group_segment_fixed_size: 0
    .kernarg_segment_align: 8
    .kernarg_segment_size: 40
    .language:       OpenCL C
    .language_version:
      - 2
      - 0
    .max_flat_workgroup_size: 128
    .name:           _ZN7rocprim17ROCPRIM_400000_NS6detail17trampoline_kernelINS0_14default_configENS1_38merge_sort_block_merge_config_selectorImNS0_10empty_typeEEEZZNS1_27merge_sort_block_merge_implIS3_PmPS5_jNS1_19radix_merge_compareILb0ELb1EmNS0_19identity_decomposerEEEEE10hipError_tT0_T1_T2_jT3_P12ihipStream_tbPNSt15iterator_traitsISE_E10value_typeEPNSK_ISF_E10value_typeEPSG_NS1_7vsmem_tEENKUlT_SE_SF_SG_E_clIS8_S8_S9_S9_EESD_ST_SE_SF_SG_EUlST_E_NS1_11comp_targetILNS1_3genE2ELNS1_11target_archE906ELNS1_3gpuE6ELNS1_3repE0EEENS1_48merge_mergepath_partition_config_static_selectorELNS0_4arch9wavefront6targetE0EEEvSF_
    .private_segment_fixed_size: 0
    .sgpr_count:     0
    .sgpr_spill_count: 0
    .symbol:         _ZN7rocprim17ROCPRIM_400000_NS6detail17trampoline_kernelINS0_14default_configENS1_38merge_sort_block_merge_config_selectorImNS0_10empty_typeEEEZZNS1_27merge_sort_block_merge_implIS3_PmPS5_jNS1_19radix_merge_compareILb0ELb1EmNS0_19identity_decomposerEEEEE10hipError_tT0_T1_T2_jT3_P12ihipStream_tbPNSt15iterator_traitsISE_E10value_typeEPNSK_ISF_E10value_typeEPSG_NS1_7vsmem_tEENKUlT_SE_SF_SG_E_clIS8_S8_S9_S9_EESD_ST_SE_SF_SG_EUlST_E_NS1_11comp_targetILNS1_3genE2ELNS1_11target_archE906ELNS1_3gpuE6ELNS1_3repE0EEENS1_48merge_mergepath_partition_config_static_selectorELNS0_4arch9wavefront6targetE0EEEvSF_.kd
    .uniform_work_group_size: 1
    .uses_dynamic_stack: false
    .vgpr_count:     0
    .vgpr_spill_count: 0
    .wavefront_size: 32
  - .args:
      - .offset:         0
        .size:           40
        .value_kind:     by_value
    .group_segment_fixed_size: 0
    .kernarg_segment_align: 8
    .kernarg_segment_size: 40
    .language:       OpenCL C
    .language_version:
      - 2
      - 0
    .max_flat_workgroup_size: 128
    .name:           _ZN7rocprim17ROCPRIM_400000_NS6detail17trampoline_kernelINS0_14default_configENS1_38merge_sort_block_merge_config_selectorImNS0_10empty_typeEEEZZNS1_27merge_sort_block_merge_implIS3_PmPS5_jNS1_19radix_merge_compareILb0ELb1EmNS0_19identity_decomposerEEEEE10hipError_tT0_T1_T2_jT3_P12ihipStream_tbPNSt15iterator_traitsISE_E10value_typeEPNSK_ISF_E10value_typeEPSG_NS1_7vsmem_tEENKUlT_SE_SF_SG_E_clIS8_S8_S9_S9_EESD_ST_SE_SF_SG_EUlST_E_NS1_11comp_targetILNS1_3genE9ELNS1_11target_archE1100ELNS1_3gpuE3ELNS1_3repE0EEENS1_48merge_mergepath_partition_config_static_selectorELNS0_4arch9wavefront6targetE0EEEvSF_
    .private_segment_fixed_size: 0
    .sgpr_count:     0
    .sgpr_spill_count: 0
    .symbol:         _ZN7rocprim17ROCPRIM_400000_NS6detail17trampoline_kernelINS0_14default_configENS1_38merge_sort_block_merge_config_selectorImNS0_10empty_typeEEEZZNS1_27merge_sort_block_merge_implIS3_PmPS5_jNS1_19radix_merge_compareILb0ELb1EmNS0_19identity_decomposerEEEEE10hipError_tT0_T1_T2_jT3_P12ihipStream_tbPNSt15iterator_traitsISE_E10value_typeEPNSK_ISF_E10value_typeEPSG_NS1_7vsmem_tEENKUlT_SE_SF_SG_E_clIS8_S8_S9_S9_EESD_ST_SE_SF_SG_EUlST_E_NS1_11comp_targetILNS1_3genE9ELNS1_11target_archE1100ELNS1_3gpuE3ELNS1_3repE0EEENS1_48merge_mergepath_partition_config_static_selectorELNS0_4arch9wavefront6targetE0EEEvSF_.kd
    .uniform_work_group_size: 1
    .uses_dynamic_stack: false
    .vgpr_count:     0
    .vgpr_spill_count: 0
    .wavefront_size: 32
  - .args:
      - .offset:         0
        .size:           40
        .value_kind:     by_value
    .group_segment_fixed_size: 0
    .kernarg_segment_align: 8
    .kernarg_segment_size: 40
    .language:       OpenCL C
    .language_version:
      - 2
      - 0
    .max_flat_workgroup_size: 128
    .name:           _ZN7rocprim17ROCPRIM_400000_NS6detail17trampoline_kernelINS0_14default_configENS1_38merge_sort_block_merge_config_selectorImNS0_10empty_typeEEEZZNS1_27merge_sort_block_merge_implIS3_PmPS5_jNS1_19radix_merge_compareILb0ELb1EmNS0_19identity_decomposerEEEEE10hipError_tT0_T1_T2_jT3_P12ihipStream_tbPNSt15iterator_traitsISE_E10value_typeEPNSK_ISF_E10value_typeEPSG_NS1_7vsmem_tEENKUlT_SE_SF_SG_E_clIS8_S8_S9_S9_EESD_ST_SE_SF_SG_EUlST_E_NS1_11comp_targetILNS1_3genE8ELNS1_11target_archE1030ELNS1_3gpuE2ELNS1_3repE0EEENS1_48merge_mergepath_partition_config_static_selectorELNS0_4arch9wavefront6targetE0EEEvSF_
    .private_segment_fixed_size: 0
    .sgpr_count:     0
    .sgpr_spill_count: 0
    .symbol:         _ZN7rocprim17ROCPRIM_400000_NS6detail17trampoline_kernelINS0_14default_configENS1_38merge_sort_block_merge_config_selectorImNS0_10empty_typeEEEZZNS1_27merge_sort_block_merge_implIS3_PmPS5_jNS1_19radix_merge_compareILb0ELb1EmNS0_19identity_decomposerEEEEE10hipError_tT0_T1_T2_jT3_P12ihipStream_tbPNSt15iterator_traitsISE_E10value_typeEPNSK_ISF_E10value_typeEPSG_NS1_7vsmem_tEENKUlT_SE_SF_SG_E_clIS8_S8_S9_S9_EESD_ST_SE_SF_SG_EUlST_E_NS1_11comp_targetILNS1_3genE8ELNS1_11target_archE1030ELNS1_3gpuE2ELNS1_3repE0EEENS1_48merge_mergepath_partition_config_static_selectorELNS0_4arch9wavefront6targetE0EEEvSF_.kd
    .uniform_work_group_size: 1
    .uses_dynamic_stack: false
    .vgpr_count:     0
    .vgpr_spill_count: 0
    .wavefront_size: 32
  - .args:
      - .offset:         0
        .size:           72
        .value_kind:     by_value
      - .offset:         72
        .size:           4
        .value_kind:     hidden_block_count_x
      - .offset:         76
        .size:           4
        .value_kind:     hidden_block_count_y
      - .offset:         80
        .size:           4
        .value_kind:     hidden_block_count_z
      - .offset:         84
        .size:           2
        .value_kind:     hidden_group_size_x
      - .offset:         86
        .size:           2
        .value_kind:     hidden_group_size_y
      - .offset:         88
        .size:           2
        .value_kind:     hidden_group_size_z
      - .offset:         90
        .size:           2
        .value_kind:     hidden_remainder_x
      - .offset:         92
        .size:           2
        .value_kind:     hidden_remainder_y
      - .offset:         94
        .size:           2
        .value_kind:     hidden_remainder_z
      - .offset:         112
        .size:           8
        .value_kind:     hidden_global_offset_x
      - .offset:         120
        .size:           8
        .value_kind:     hidden_global_offset_y
      - .offset:         128
        .size:           8
        .value_kind:     hidden_global_offset_z
      - .offset:         136
        .size:           2
        .value_kind:     hidden_grid_dims
    .group_segment_fixed_size: 8448
    .kernarg_segment_align: 8
    .kernarg_segment_size: 328
    .language:       OpenCL C
    .language_version:
      - 2
      - 0
    .max_flat_workgroup_size: 128
    .name:           _ZN7rocprim17ROCPRIM_400000_NS6detail17trampoline_kernelINS0_14default_configENS1_38merge_sort_block_merge_config_selectorImNS0_10empty_typeEEEZZNS1_27merge_sort_block_merge_implIS3_PmPS5_jNS1_19radix_merge_compareILb0ELb1EmNS0_19identity_decomposerEEEEE10hipError_tT0_T1_T2_jT3_P12ihipStream_tbPNSt15iterator_traitsISE_E10value_typeEPNSK_ISF_E10value_typeEPSG_NS1_7vsmem_tEENKUlT_SE_SF_SG_E_clIS8_S8_S9_S9_EESD_ST_SE_SF_SG_EUlST_E0_NS1_11comp_targetILNS1_3genE0ELNS1_11target_archE4294967295ELNS1_3gpuE0ELNS1_3repE0EEENS1_38merge_mergepath_config_static_selectorELNS0_4arch9wavefront6targetE0EEEvSF_
    .private_segment_fixed_size: 0
    .sgpr_count:     25
    .sgpr_spill_count: 0
    .symbol:         _ZN7rocprim17ROCPRIM_400000_NS6detail17trampoline_kernelINS0_14default_configENS1_38merge_sort_block_merge_config_selectorImNS0_10empty_typeEEEZZNS1_27merge_sort_block_merge_implIS3_PmPS5_jNS1_19radix_merge_compareILb0ELb1EmNS0_19identity_decomposerEEEEE10hipError_tT0_T1_T2_jT3_P12ihipStream_tbPNSt15iterator_traitsISE_E10value_typeEPNSK_ISF_E10value_typeEPSG_NS1_7vsmem_tEENKUlT_SE_SF_SG_E_clIS8_S8_S9_S9_EESD_ST_SE_SF_SG_EUlST_E0_NS1_11comp_targetILNS1_3genE0ELNS1_11target_archE4294967295ELNS1_3gpuE0ELNS1_3repE0EEENS1_38merge_mergepath_config_static_selectorELNS0_4arch9wavefront6targetE0EEEvSF_.kd
    .uniform_work_group_size: 1
    .uses_dynamic_stack: false
    .vgpr_count:     38
    .vgpr_spill_count: 0
    .wavefront_size: 32
  - .args:
      - .offset:         0
        .size:           72
        .value_kind:     by_value
    .group_segment_fixed_size: 0
    .kernarg_segment_align: 8
    .kernarg_segment_size: 72
    .language:       OpenCL C
    .language_version:
      - 2
      - 0
    .max_flat_workgroup_size: 512
    .name:           _ZN7rocprim17ROCPRIM_400000_NS6detail17trampoline_kernelINS0_14default_configENS1_38merge_sort_block_merge_config_selectorImNS0_10empty_typeEEEZZNS1_27merge_sort_block_merge_implIS3_PmPS5_jNS1_19radix_merge_compareILb0ELb1EmNS0_19identity_decomposerEEEEE10hipError_tT0_T1_T2_jT3_P12ihipStream_tbPNSt15iterator_traitsISE_E10value_typeEPNSK_ISF_E10value_typeEPSG_NS1_7vsmem_tEENKUlT_SE_SF_SG_E_clIS8_S8_S9_S9_EESD_ST_SE_SF_SG_EUlST_E0_NS1_11comp_targetILNS1_3genE10ELNS1_11target_archE1201ELNS1_3gpuE5ELNS1_3repE0EEENS1_38merge_mergepath_config_static_selectorELNS0_4arch9wavefront6targetE0EEEvSF_
    .private_segment_fixed_size: 0
    .sgpr_count:     0
    .sgpr_spill_count: 0
    .symbol:         _ZN7rocprim17ROCPRIM_400000_NS6detail17trampoline_kernelINS0_14default_configENS1_38merge_sort_block_merge_config_selectorImNS0_10empty_typeEEEZZNS1_27merge_sort_block_merge_implIS3_PmPS5_jNS1_19radix_merge_compareILb0ELb1EmNS0_19identity_decomposerEEEEE10hipError_tT0_T1_T2_jT3_P12ihipStream_tbPNSt15iterator_traitsISE_E10value_typeEPNSK_ISF_E10value_typeEPSG_NS1_7vsmem_tEENKUlT_SE_SF_SG_E_clIS8_S8_S9_S9_EESD_ST_SE_SF_SG_EUlST_E0_NS1_11comp_targetILNS1_3genE10ELNS1_11target_archE1201ELNS1_3gpuE5ELNS1_3repE0EEENS1_38merge_mergepath_config_static_selectorELNS0_4arch9wavefront6targetE0EEEvSF_.kd
    .uniform_work_group_size: 1
    .uses_dynamic_stack: false
    .vgpr_count:     0
    .vgpr_spill_count: 0
    .wavefront_size: 32
  - .args:
      - .offset:         0
        .size:           72
        .value_kind:     by_value
    .group_segment_fixed_size: 0
    .kernarg_segment_align: 8
    .kernarg_segment_size: 72
    .language:       OpenCL C
    .language_version:
      - 2
      - 0
    .max_flat_workgroup_size: 128
    .name:           _ZN7rocprim17ROCPRIM_400000_NS6detail17trampoline_kernelINS0_14default_configENS1_38merge_sort_block_merge_config_selectorImNS0_10empty_typeEEEZZNS1_27merge_sort_block_merge_implIS3_PmPS5_jNS1_19radix_merge_compareILb0ELb1EmNS0_19identity_decomposerEEEEE10hipError_tT0_T1_T2_jT3_P12ihipStream_tbPNSt15iterator_traitsISE_E10value_typeEPNSK_ISF_E10value_typeEPSG_NS1_7vsmem_tEENKUlT_SE_SF_SG_E_clIS8_S8_S9_S9_EESD_ST_SE_SF_SG_EUlST_E0_NS1_11comp_targetILNS1_3genE5ELNS1_11target_archE942ELNS1_3gpuE9ELNS1_3repE0EEENS1_38merge_mergepath_config_static_selectorELNS0_4arch9wavefront6targetE0EEEvSF_
    .private_segment_fixed_size: 0
    .sgpr_count:     0
    .sgpr_spill_count: 0
    .symbol:         _ZN7rocprim17ROCPRIM_400000_NS6detail17trampoline_kernelINS0_14default_configENS1_38merge_sort_block_merge_config_selectorImNS0_10empty_typeEEEZZNS1_27merge_sort_block_merge_implIS3_PmPS5_jNS1_19radix_merge_compareILb0ELb1EmNS0_19identity_decomposerEEEEE10hipError_tT0_T1_T2_jT3_P12ihipStream_tbPNSt15iterator_traitsISE_E10value_typeEPNSK_ISF_E10value_typeEPSG_NS1_7vsmem_tEENKUlT_SE_SF_SG_E_clIS8_S8_S9_S9_EESD_ST_SE_SF_SG_EUlST_E0_NS1_11comp_targetILNS1_3genE5ELNS1_11target_archE942ELNS1_3gpuE9ELNS1_3repE0EEENS1_38merge_mergepath_config_static_selectorELNS0_4arch9wavefront6targetE0EEEvSF_.kd
    .uniform_work_group_size: 1
    .uses_dynamic_stack: false
    .vgpr_count:     0
    .vgpr_spill_count: 0
    .wavefront_size: 32
  - .args:
      - .offset:         0
        .size:           72
        .value_kind:     by_value
    .group_segment_fixed_size: 0
    .kernarg_segment_align: 8
    .kernarg_segment_size: 72
    .language:       OpenCL C
    .language_version:
      - 2
      - 0
    .max_flat_workgroup_size: 256
    .name:           _ZN7rocprim17ROCPRIM_400000_NS6detail17trampoline_kernelINS0_14default_configENS1_38merge_sort_block_merge_config_selectorImNS0_10empty_typeEEEZZNS1_27merge_sort_block_merge_implIS3_PmPS5_jNS1_19radix_merge_compareILb0ELb1EmNS0_19identity_decomposerEEEEE10hipError_tT0_T1_T2_jT3_P12ihipStream_tbPNSt15iterator_traitsISE_E10value_typeEPNSK_ISF_E10value_typeEPSG_NS1_7vsmem_tEENKUlT_SE_SF_SG_E_clIS8_S8_S9_S9_EESD_ST_SE_SF_SG_EUlST_E0_NS1_11comp_targetILNS1_3genE4ELNS1_11target_archE910ELNS1_3gpuE8ELNS1_3repE0EEENS1_38merge_mergepath_config_static_selectorELNS0_4arch9wavefront6targetE0EEEvSF_
    .private_segment_fixed_size: 0
    .sgpr_count:     0
    .sgpr_spill_count: 0
    .symbol:         _ZN7rocprim17ROCPRIM_400000_NS6detail17trampoline_kernelINS0_14default_configENS1_38merge_sort_block_merge_config_selectorImNS0_10empty_typeEEEZZNS1_27merge_sort_block_merge_implIS3_PmPS5_jNS1_19radix_merge_compareILb0ELb1EmNS0_19identity_decomposerEEEEE10hipError_tT0_T1_T2_jT3_P12ihipStream_tbPNSt15iterator_traitsISE_E10value_typeEPNSK_ISF_E10value_typeEPSG_NS1_7vsmem_tEENKUlT_SE_SF_SG_E_clIS8_S8_S9_S9_EESD_ST_SE_SF_SG_EUlST_E0_NS1_11comp_targetILNS1_3genE4ELNS1_11target_archE910ELNS1_3gpuE8ELNS1_3repE0EEENS1_38merge_mergepath_config_static_selectorELNS0_4arch9wavefront6targetE0EEEvSF_.kd
    .uniform_work_group_size: 1
    .uses_dynamic_stack: false
    .vgpr_count:     0
    .vgpr_spill_count: 0
    .wavefront_size: 32
  - .args:
      - .offset:         0
        .size:           72
        .value_kind:     by_value
    .group_segment_fixed_size: 0
    .kernarg_segment_align: 8
    .kernarg_segment_size: 72
    .language:       OpenCL C
    .language_version:
      - 2
      - 0
    .max_flat_workgroup_size: 128
    .name:           _ZN7rocprim17ROCPRIM_400000_NS6detail17trampoline_kernelINS0_14default_configENS1_38merge_sort_block_merge_config_selectorImNS0_10empty_typeEEEZZNS1_27merge_sort_block_merge_implIS3_PmPS5_jNS1_19radix_merge_compareILb0ELb1EmNS0_19identity_decomposerEEEEE10hipError_tT0_T1_T2_jT3_P12ihipStream_tbPNSt15iterator_traitsISE_E10value_typeEPNSK_ISF_E10value_typeEPSG_NS1_7vsmem_tEENKUlT_SE_SF_SG_E_clIS8_S8_S9_S9_EESD_ST_SE_SF_SG_EUlST_E0_NS1_11comp_targetILNS1_3genE3ELNS1_11target_archE908ELNS1_3gpuE7ELNS1_3repE0EEENS1_38merge_mergepath_config_static_selectorELNS0_4arch9wavefront6targetE0EEEvSF_
    .private_segment_fixed_size: 0
    .sgpr_count:     0
    .sgpr_spill_count: 0
    .symbol:         _ZN7rocprim17ROCPRIM_400000_NS6detail17trampoline_kernelINS0_14default_configENS1_38merge_sort_block_merge_config_selectorImNS0_10empty_typeEEEZZNS1_27merge_sort_block_merge_implIS3_PmPS5_jNS1_19radix_merge_compareILb0ELb1EmNS0_19identity_decomposerEEEEE10hipError_tT0_T1_T2_jT3_P12ihipStream_tbPNSt15iterator_traitsISE_E10value_typeEPNSK_ISF_E10value_typeEPSG_NS1_7vsmem_tEENKUlT_SE_SF_SG_E_clIS8_S8_S9_S9_EESD_ST_SE_SF_SG_EUlST_E0_NS1_11comp_targetILNS1_3genE3ELNS1_11target_archE908ELNS1_3gpuE7ELNS1_3repE0EEENS1_38merge_mergepath_config_static_selectorELNS0_4arch9wavefront6targetE0EEEvSF_.kd
    .uniform_work_group_size: 1
    .uses_dynamic_stack: false
    .vgpr_count:     0
    .vgpr_spill_count: 0
    .wavefront_size: 32
  - .args:
      - .offset:         0
        .size:           72
        .value_kind:     by_value
    .group_segment_fixed_size: 0
    .kernarg_segment_align: 8
    .kernarg_segment_size: 72
    .language:       OpenCL C
    .language_version:
      - 2
      - 0
    .max_flat_workgroup_size: 256
    .name:           _ZN7rocprim17ROCPRIM_400000_NS6detail17trampoline_kernelINS0_14default_configENS1_38merge_sort_block_merge_config_selectorImNS0_10empty_typeEEEZZNS1_27merge_sort_block_merge_implIS3_PmPS5_jNS1_19radix_merge_compareILb0ELb1EmNS0_19identity_decomposerEEEEE10hipError_tT0_T1_T2_jT3_P12ihipStream_tbPNSt15iterator_traitsISE_E10value_typeEPNSK_ISF_E10value_typeEPSG_NS1_7vsmem_tEENKUlT_SE_SF_SG_E_clIS8_S8_S9_S9_EESD_ST_SE_SF_SG_EUlST_E0_NS1_11comp_targetILNS1_3genE2ELNS1_11target_archE906ELNS1_3gpuE6ELNS1_3repE0EEENS1_38merge_mergepath_config_static_selectorELNS0_4arch9wavefront6targetE0EEEvSF_
    .private_segment_fixed_size: 0
    .sgpr_count:     0
    .sgpr_spill_count: 0
    .symbol:         _ZN7rocprim17ROCPRIM_400000_NS6detail17trampoline_kernelINS0_14default_configENS1_38merge_sort_block_merge_config_selectorImNS0_10empty_typeEEEZZNS1_27merge_sort_block_merge_implIS3_PmPS5_jNS1_19radix_merge_compareILb0ELb1EmNS0_19identity_decomposerEEEEE10hipError_tT0_T1_T2_jT3_P12ihipStream_tbPNSt15iterator_traitsISE_E10value_typeEPNSK_ISF_E10value_typeEPSG_NS1_7vsmem_tEENKUlT_SE_SF_SG_E_clIS8_S8_S9_S9_EESD_ST_SE_SF_SG_EUlST_E0_NS1_11comp_targetILNS1_3genE2ELNS1_11target_archE906ELNS1_3gpuE6ELNS1_3repE0EEENS1_38merge_mergepath_config_static_selectorELNS0_4arch9wavefront6targetE0EEEvSF_.kd
    .uniform_work_group_size: 1
    .uses_dynamic_stack: false
    .vgpr_count:     0
    .vgpr_spill_count: 0
    .wavefront_size: 32
  - .args:
      - .offset:         0
        .size:           72
        .value_kind:     by_value
    .group_segment_fixed_size: 0
    .kernarg_segment_align: 8
    .kernarg_segment_size: 72
    .language:       OpenCL C
    .language_version:
      - 2
      - 0
    .max_flat_workgroup_size: 512
    .name:           _ZN7rocprim17ROCPRIM_400000_NS6detail17trampoline_kernelINS0_14default_configENS1_38merge_sort_block_merge_config_selectorImNS0_10empty_typeEEEZZNS1_27merge_sort_block_merge_implIS3_PmPS5_jNS1_19radix_merge_compareILb0ELb1EmNS0_19identity_decomposerEEEEE10hipError_tT0_T1_T2_jT3_P12ihipStream_tbPNSt15iterator_traitsISE_E10value_typeEPNSK_ISF_E10value_typeEPSG_NS1_7vsmem_tEENKUlT_SE_SF_SG_E_clIS8_S8_S9_S9_EESD_ST_SE_SF_SG_EUlST_E0_NS1_11comp_targetILNS1_3genE9ELNS1_11target_archE1100ELNS1_3gpuE3ELNS1_3repE0EEENS1_38merge_mergepath_config_static_selectorELNS0_4arch9wavefront6targetE0EEEvSF_
    .private_segment_fixed_size: 0
    .sgpr_count:     0
    .sgpr_spill_count: 0
    .symbol:         _ZN7rocprim17ROCPRIM_400000_NS6detail17trampoline_kernelINS0_14default_configENS1_38merge_sort_block_merge_config_selectorImNS0_10empty_typeEEEZZNS1_27merge_sort_block_merge_implIS3_PmPS5_jNS1_19radix_merge_compareILb0ELb1EmNS0_19identity_decomposerEEEEE10hipError_tT0_T1_T2_jT3_P12ihipStream_tbPNSt15iterator_traitsISE_E10value_typeEPNSK_ISF_E10value_typeEPSG_NS1_7vsmem_tEENKUlT_SE_SF_SG_E_clIS8_S8_S9_S9_EESD_ST_SE_SF_SG_EUlST_E0_NS1_11comp_targetILNS1_3genE9ELNS1_11target_archE1100ELNS1_3gpuE3ELNS1_3repE0EEENS1_38merge_mergepath_config_static_selectorELNS0_4arch9wavefront6targetE0EEEvSF_.kd
    .uniform_work_group_size: 1
    .uses_dynamic_stack: false
    .vgpr_count:     0
    .vgpr_spill_count: 0
    .wavefront_size: 32
  - .args:
      - .offset:         0
        .size:           72
        .value_kind:     by_value
    .group_segment_fixed_size: 0
    .kernarg_segment_align: 8
    .kernarg_segment_size: 72
    .language:       OpenCL C
    .language_version:
      - 2
      - 0
    .max_flat_workgroup_size: 1024
    .name:           _ZN7rocprim17ROCPRIM_400000_NS6detail17trampoline_kernelINS0_14default_configENS1_38merge_sort_block_merge_config_selectorImNS0_10empty_typeEEEZZNS1_27merge_sort_block_merge_implIS3_PmPS5_jNS1_19radix_merge_compareILb0ELb1EmNS0_19identity_decomposerEEEEE10hipError_tT0_T1_T2_jT3_P12ihipStream_tbPNSt15iterator_traitsISE_E10value_typeEPNSK_ISF_E10value_typeEPSG_NS1_7vsmem_tEENKUlT_SE_SF_SG_E_clIS8_S8_S9_S9_EESD_ST_SE_SF_SG_EUlST_E0_NS1_11comp_targetILNS1_3genE8ELNS1_11target_archE1030ELNS1_3gpuE2ELNS1_3repE0EEENS1_38merge_mergepath_config_static_selectorELNS0_4arch9wavefront6targetE0EEEvSF_
    .private_segment_fixed_size: 0
    .sgpr_count:     0
    .sgpr_spill_count: 0
    .symbol:         _ZN7rocprim17ROCPRIM_400000_NS6detail17trampoline_kernelINS0_14default_configENS1_38merge_sort_block_merge_config_selectorImNS0_10empty_typeEEEZZNS1_27merge_sort_block_merge_implIS3_PmPS5_jNS1_19radix_merge_compareILb0ELb1EmNS0_19identity_decomposerEEEEE10hipError_tT0_T1_T2_jT3_P12ihipStream_tbPNSt15iterator_traitsISE_E10value_typeEPNSK_ISF_E10value_typeEPSG_NS1_7vsmem_tEENKUlT_SE_SF_SG_E_clIS8_S8_S9_S9_EESD_ST_SE_SF_SG_EUlST_E0_NS1_11comp_targetILNS1_3genE8ELNS1_11target_archE1030ELNS1_3gpuE2ELNS1_3repE0EEENS1_38merge_mergepath_config_static_selectorELNS0_4arch9wavefront6targetE0EEEvSF_.kd
    .uniform_work_group_size: 1
    .uses_dynamic_stack: false
    .vgpr_count:     0
    .vgpr_spill_count: 0
    .wavefront_size: 32
  - .args:
      - .offset:         0
        .size:           48
        .value_kind:     by_value
    .group_segment_fixed_size: 0
    .kernarg_segment_align: 8
    .kernarg_segment_size: 48
    .language:       OpenCL C
    .language_version:
      - 2
      - 0
    .max_flat_workgroup_size: 256
    .name:           _ZN7rocprim17ROCPRIM_400000_NS6detail17trampoline_kernelINS0_14default_configENS1_38merge_sort_block_merge_config_selectorImNS0_10empty_typeEEEZZNS1_27merge_sort_block_merge_implIS3_PmPS5_jNS1_19radix_merge_compareILb0ELb1EmNS0_19identity_decomposerEEEEE10hipError_tT0_T1_T2_jT3_P12ihipStream_tbPNSt15iterator_traitsISE_E10value_typeEPNSK_ISF_E10value_typeEPSG_NS1_7vsmem_tEENKUlT_SE_SF_SG_E_clIS8_S8_S9_S9_EESD_ST_SE_SF_SG_EUlST_E1_NS1_11comp_targetILNS1_3genE0ELNS1_11target_archE4294967295ELNS1_3gpuE0ELNS1_3repE0EEENS1_36merge_oddeven_config_static_selectorELNS0_4arch9wavefront6targetE0EEEvSF_
    .private_segment_fixed_size: 0
    .sgpr_count:     20
    .sgpr_spill_count: 0
    .symbol:         _ZN7rocprim17ROCPRIM_400000_NS6detail17trampoline_kernelINS0_14default_configENS1_38merge_sort_block_merge_config_selectorImNS0_10empty_typeEEEZZNS1_27merge_sort_block_merge_implIS3_PmPS5_jNS1_19radix_merge_compareILb0ELb1EmNS0_19identity_decomposerEEEEE10hipError_tT0_T1_T2_jT3_P12ihipStream_tbPNSt15iterator_traitsISE_E10value_typeEPNSK_ISF_E10value_typeEPSG_NS1_7vsmem_tEENKUlT_SE_SF_SG_E_clIS8_S8_S9_S9_EESD_ST_SE_SF_SG_EUlST_E1_NS1_11comp_targetILNS1_3genE0ELNS1_11target_archE4294967295ELNS1_3gpuE0ELNS1_3repE0EEENS1_36merge_oddeven_config_static_selectorELNS0_4arch9wavefront6targetE0EEEvSF_.kd
    .uniform_work_group_size: 1
    .uses_dynamic_stack: false
    .vgpr_count:     11
    .vgpr_spill_count: 0
    .wavefront_size: 32
  - .args:
      - .offset:         0
        .size:           48
        .value_kind:     by_value
    .group_segment_fixed_size: 0
    .kernarg_segment_align: 8
    .kernarg_segment_size: 48
    .language:       OpenCL C
    .language_version:
      - 2
      - 0
    .max_flat_workgroup_size: 256
    .name:           _ZN7rocprim17ROCPRIM_400000_NS6detail17trampoline_kernelINS0_14default_configENS1_38merge_sort_block_merge_config_selectorImNS0_10empty_typeEEEZZNS1_27merge_sort_block_merge_implIS3_PmPS5_jNS1_19radix_merge_compareILb0ELb1EmNS0_19identity_decomposerEEEEE10hipError_tT0_T1_T2_jT3_P12ihipStream_tbPNSt15iterator_traitsISE_E10value_typeEPNSK_ISF_E10value_typeEPSG_NS1_7vsmem_tEENKUlT_SE_SF_SG_E_clIS8_S8_S9_S9_EESD_ST_SE_SF_SG_EUlST_E1_NS1_11comp_targetILNS1_3genE10ELNS1_11target_archE1201ELNS1_3gpuE5ELNS1_3repE0EEENS1_36merge_oddeven_config_static_selectorELNS0_4arch9wavefront6targetE0EEEvSF_
    .private_segment_fixed_size: 0
    .sgpr_count:     0
    .sgpr_spill_count: 0
    .symbol:         _ZN7rocprim17ROCPRIM_400000_NS6detail17trampoline_kernelINS0_14default_configENS1_38merge_sort_block_merge_config_selectorImNS0_10empty_typeEEEZZNS1_27merge_sort_block_merge_implIS3_PmPS5_jNS1_19radix_merge_compareILb0ELb1EmNS0_19identity_decomposerEEEEE10hipError_tT0_T1_T2_jT3_P12ihipStream_tbPNSt15iterator_traitsISE_E10value_typeEPNSK_ISF_E10value_typeEPSG_NS1_7vsmem_tEENKUlT_SE_SF_SG_E_clIS8_S8_S9_S9_EESD_ST_SE_SF_SG_EUlST_E1_NS1_11comp_targetILNS1_3genE10ELNS1_11target_archE1201ELNS1_3gpuE5ELNS1_3repE0EEENS1_36merge_oddeven_config_static_selectorELNS0_4arch9wavefront6targetE0EEEvSF_.kd
    .uniform_work_group_size: 1
    .uses_dynamic_stack: false
    .vgpr_count:     0
    .vgpr_spill_count: 0
    .wavefront_size: 32
  - .args:
      - .offset:         0
        .size:           48
        .value_kind:     by_value
    .group_segment_fixed_size: 0
    .kernarg_segment_align: 8
    .kernarg_segment_size: 48
    .language:       OpenCL C
    .language_version:
      - 2
      - 0
    .max_flat_workgroup_size: 256
    .name:           _ZN7rocprim17ROCPRIM_400000_NS6detail17trampoline_kernelINS0_14default_configENS1_38merge_sort_block_merge_config_selectorImNS0_10empty_typeEEEZZNS1_27merge_sort_block_merge_implIS3_PmPS5_jNS1_19radix_merge_compareILb0ELb1EmNS0_19identity_decomposerEEEEE10hipError_tT0_T1_T2_jT3_P12ihipStream_tbPNSt15iterator_traitsISE_E10value_typeEPNSK_ISF_E10value_typeEPSG_NS1_7vsmem_tEENKUlT_SE_SF_SG_E_clIS8_S8_S9_S9_EESD_ST_SE_SF_SG_EUlST_E1_NS1_11comp_targetILNS1_3genE5ELNS1_11target_archE942ELNS1_3gpuE9ELNS1_3repE0EEENS1_36merge_oddeven_config_static_selectorELNS0_4arch9wavefront6targetE0EEEvSF_
    .private_segment_fixed_size: 0
    .sgpr_count:     0
    .sgpr_spill_count: 0
    .symbol:         _ZN7rocprim17ROCPRIM_400000_NS6detail17trampoline_kernelINS0_14default_configENS1_38merge_sort_block_merge_config_selectorImNS0_10empty_typeEEEZZNS1_27merge_sort_block_merge_implIS3_PmPS5_jNS1_19radix_merge_compareILb0ELb1EmNS0_19identity_decomposerEEEEE10hipError_tT0_T1_T2_jT3_P12ihipStream_tbPNSt15iterator_traitsISE_E10value_typeEPNSK_ISF_E10value_typeEPSG_NS1_7vsmem_tEENKUlT_SE_SF_SG_E_clIS8_S8_S9_S9_EESD_ST_SE_SF_SG_EUlST_E1_NS1_11comp_targetILNS1_3genE5ELNS1_11target_archE942ELNS1_3gpuE9ELNS1_3repE0EEENS1_36merge_oddeven_config_static_selectorELNS0_4arch9wavefront6targetE0EEEvSF_.kd
    .uniform_work_group_size: 1
    .uses_dynamic_stack: false
    .vgpr_count:     0
    .vgpr_spill_count: 0
    .wavefront_size: 32
  - .args:
      - .offset:         0
        .size:           48
        .value_kind:     by_value
    .group_segment_fixed_size: 0
    .kernarg_segment_align: 8
    .kernarg_segment_size: 48
    .language:       OpenCL C
    .language_version:
      - 2
      - 0
    .max_flat_workgroup_size: 256
    .name:           _ZN7rocprim17ROCPRIM_400000_NS6detail17trampoline_kernelINS0_14default_configENS1_38merge_sort_block_merge_config_selectorImNS0_10empty_typeEEEZZNS1_27merge_sort_block_merge_implIS3_PmPS5_jNS1_19radix_merge_compareILb0ELb1EmNS0_19identity_decomposerEEEEE10hipError_tT0_T1_T2_jT3_P12ihipStream_tbPNSt15iterator_traitsISE_E10value_typeEPNSK_ISF_E10value_typeEPSG_NS1_7vsmem_tEENKUlT_SE_SF_SG_E_clIS8_S8_S9_S9_EESD_ST_SE_SF_SG_EUlST_E1_NS1_11comp_targetILNS1_3genE4ELNS1_11target_archE910ELNS1_3gpuE8ELNS1_3repE0EEENS1_36merge_oddeven_config_static_selectorELNS0_4arch9wavefront6targetE0EEEvSF_
    .private_segment_fixed_size: 0
    .sgpr_count:     0
    .sgpr_spill_count: 0
    .symbol:         _ZN7rocprim17ROCPRIM_400000_NS6detail17trampoline_kernelINS0_14default_configENS1_38merge_sort_block_merge_config_selectorImNS0_10empty_typeEEEZZNS1_27merge_sort_block_merge_implIS3_PmPS5_jNS1_19radix_merge_compareILb0ELb1EmNS0_19identity_decomposerEEEEE10hipError_tT0_T1_T2_jT3_P12ihipStream_tbPNSt15iterator_traitsISE_E10value_typeEPNSK_ISF_E10value_typeEPSG_NS1_7vsmem_tEENKUlT_SE_SF_SG_E_clIS8_S8_S9_S9_EESD_ST_SE_SF_SG_EUlST_E1_NS1_11comp_targetILNS1_3genE4ELNS1_11target_archE910ELNS1_3gpuE8ELNS1_3repE0EEENS1_36merge_oddeven_config_static_selectorELNS0_4arch9wavefront6targetE0EEEvSF_.kd
    .uniform_work_group_size: 1
    .uses_dynamic_stack: false
    .vgpr_count:     0
    .vgpr_spill_count: 0
    .wavefront_size: 32
  - .args:
      - .offset:         0
        .size:           48
        .value_kind:     by_value
    .group_segment_fixed_size: 0
    .kernarg_segment_align: 8
    .kernarg_segment_size: 48
    .language:       OpenCL C
    .language_version:
      - 2
      - 0
    .max_flat_workgroup_size: 256
    .name:           _ZN7rocprim17ROCPRIM_400000_NS6detail17trampoline_kernelINS0_14default_configENS1_38merge_sort_block_merge_config_selectorImNS0_10empty_typeEEEZZNS1_27merge_sort_block_merge_implIS3_PmPS5_jNS1_19radix_merge_compareILb0ELb1EmNS0_19identity_decomposerEEEEE10hipError_tT0_T1_T2_jT3_P12ihipStream_tbPNSt15iterator_traitsISE_E10value_typeEPNSK_ISF_E10value_typeEPSG_NS1_7vsmem_tEENKUlT_SE_SF_SG_E_clIS8_S8_S9_S9_EESD_ST_SE_SF_SG_EUlST_E1_NS1_11comp_targetILNS1_3genE3ELNS1_11target_archE908ELNS1_3gpuE7ELNS1_3repE0EEENS1_36merge_oddeven_config_static_selectorELNS0_4arch9wavefront6targetE0EEEvSF_
    .private_segment_fixed_size: 0
    .sgpr_count:     0
    .sgpr_spill_count: 0
    .symbol:         _ZN7rocprim17ROCPRIM_400000_NS6detail17trampoline_kernelINS0_14default_configENS1_38merge_sort_block_merge_config_selectorImNS0_10empty_typeEEEZZNS1_27merge_sort_block_merge_implIS3_PmPS5_jNS1_19radix_merge_compareILb0ELb1EmNS0_19identity_decomposerEEEEE10hipError_tT0_T1_T2_jT3_P12ihipStream_tbPNSt15iterator_traitsISE_E10value_typeEPNSK_ISF_E10value_typeEPSG_NS1_7vsmem_tEENKUlT_SE_SF_SG_E_clIS8_S8_S9_S9_EESD_ST_SE_SF_SG_EUlST_E1_NS1_11comp_targetILNS1_3genE3ELNS1_11target_archE908ELNS1_3gpuE7ELNS1_3repE0EEENS1_36merge_oddeven_config_static_selectorELNS0_4arch9wavefront6targetE0EEEvSF_.kd
    .uniform_work_group_size: 1
    .uses_dynamic_stack: false
    .vgpr_count:     0
    .vgpr_spill_count: 0
    .wavefront_size: 32
  - .args:
      - .offset:         0
        .size:           48
        .value_kind:     by_value
    .group_segment_fixed_size: 0
    .kernarg_segment_align: 8
    .kernarg_segment_size: 48
    .language:       OpenCL C
    .language_version:
      - 2
      - 0
    .max_flat_workgroup_size: 256
    .name:           _ZN7rocprim17ROCPRIM_400000_NS6detail17trampoline_kernelINS0_14default_configENS1_38merge_sort_block_merge_config_selectorImNS0_10empty_typeEEEZZNS1_27merge_sort_block_merge_implIS3_PmPS5_jNS1_19radix_merge_compareILb0ELb1EmNS0_19identity_decomposerEEEEE10hipError_tT0_T1_T2_jT3_P12ihipStream_tbPNSt15iterator_traitsISE_E10value_typeEPNSK_ISF_E10value_typeEPSG_NS1_7vsmem_tEENKUlT_SE_SF_SG_E_clIS8_S8_S9_S9_EESD_ST_SE_SF_SG_EUlST_E1_NS1_11comp_targetILNS1_3genE2ELNS1_11target_archE906ELNS1_3gpuE6ELNS1_3repE0EEENS1_36merge_oddeven_config_static_selectorELNS0_4arch9wavefront6targetE0EEEvSF_
    .private_segment_fixed_size: 0
    .sgpr_count:     0
    .sgpr_spill_count: 0
    .symbol:         _ZN7rocprim17ROCPRIM_400000_NS6detail17trampoline_kernelINS0_14default_configENS1_38merge_sort_block_merge_config_selectorImNS0_10empty_typeEEEZZNS1_27merge_sort_block_merge_implIS3_PmPS5_jNS1_19radix_merge_compareILb0ELb1EmNS0_19identity_decomposerEEEEE10hipError_tT0_T1_T2_jT3_P12ihipStream_tbPNSt15iterator_traitsISE_E10value_typeEPNSK_ISF_E10value_typeEPSG_NS1_7vsmem_tEENKUlT_SE_SF_SG_E_clIS8_S8_S9_S9_EESD_ST_SE_SF_SG_EUlST_E1_NS1_11comp_targetILNS1_3genE2ELNS1_11target_archE906ELNS1_3gpuE6ELNS1_3repE0EEENS1_36merge_oddeven_config_static_selectorELNS0_4arch9wavefront6targetE0EEEvSF_.kd
    .uniform_work_group_size: 1
    .uses_dynamic_stack: false
    .vgpr_count:     0
    .vgpr_spill_count: 0
    .wavefront_size: 32
  - .args:
      - .offset:         0
        .size:           48
        .value_kind:     by_value
    .group_segment_fixed_size: 0
    .kernarg_segment_align: 8
    .kernarg_segment_size: 48
    .language:       OpenCL C
    .language_version:
      - 2
      - 0
    .max_flat_workgroup_size: 256
    .name:           _ZN7rocprim17ROCPRIM_400000_NS6detail17trampoline_kernelINS0_14default_configENS1_38merge_sort_block_merge_config_selectorImNS0_10empty_typeEEEZZNS1_27merge_sort_block_merge_implIS3_PmPS5_jNS1_19radix_merge_compareILb0ELb1EmNS0_19identity_decomposerEEEEE10hipError_tT0_T1_T2_jT3_P12ihipStream_tbPNSt15iterator_traitsISE_E10value_typeEPNSK_ISF_E10value_typeEPSG_NS1_7vsmem_tEENKUlT_SE_SF_SG_E_clIS8_S8_S9_S9_EESD_ST_SE_SF_SG_EUlST_E1_NS1_11comp_targetILNS1_3genE9ELNS1_11target_archE1100ELNS1_3gpuE3ELNS1_3repE0EEENS1_36merge_oddeven_config_static_selectorELNS0_4arch9wavefront6targetE0EEEvSF_
    .private_segment_fixed_size: 0
    .sgpr_count:     0
    .sgpr_spill_count: 0
    .symbol:         _ZN7rocprim17ROCPRIM_400000_NS6detail17trampoline_kernelINS0_14default_configENS1_38merge_sort_block_merge_config_selectorImNS0_10empty_typeEEEZZNS1_27merge_sort_block_merge_implIS3_PmPS5_jNS1_19radix_merge_compareILb0ELb1EmNS0_19identity_decomposerEEEEE10hipError_tT0_T1_T2_jT3_P12ihipStream_tbPNSt15iterator_traitsISE_E10value_typeEPNSK_ISF_E10value_typeEPSG_NS1_7vsmem_tEENKUlT_SE_SF_SG_E_clIS8_S8_S9_S9_EESD_ST_SE_SF_SG_EUlST_E1_NS1_11comp_targetILNS1_3genE9ELNS1_11target_archE1100ELNS1_3gpuE3ELNS1_3repE0EEENS1_36merge_oddeven_config_static_selectorELNS0_4arch9wavefront6targetE0EEEvSF_.kd
    .uniform_work_group_size: 1
    .uses_dynamic_stack: false
    .vgpr_count:     0
    .vgpr_spill_count: 0
    .wavefront_size: 32
  - .args:
      - .offset:         0
        .size:           48
        .value_kind:     by_value
    .group_segment_fixed_size: 0
    .kernarg_segment_align: 8
    .kernarg_segment_size: 48
    .language:       OpenCL C
    .language_version:
      - 2
      - 0
    .max_flat_workgroup_size: 256
    .name:           _ZN7rocprim17ROCPRIM_400000_NS6detail17trampoline_kernelINS0_14default_configENS1_38merge_sort_block_merge_config_selectorImNS0_10empty_typeEEEZZNS1_27merge_sort_block_merge_implIS3_PmPS5_jNS1_19radix_merge_compareILb0ELb1EmNS0_19identity_decomposerEEEEE10hipError_tT0_T1_T2_jT3_P12ihipStream_tbPNSt15iterator_traitsISE_E10value_typeEPNSK_ISF_E10value_typeEPSG_NS1_7vsmem_tEENKUlT_SE_SF_SG_E_clIS8_S8_S9_S9_EESD_ST_SE_SF_SG_EUlST_E1_NS1_11comp_targetILNS1_3genE8ELNS1_11target_archE1030ELNS1_3gpuE2ELNS1_3repE0EEENS1_36merge_oddeven_config_static_selectorELNS0_4arch9wavefront6targetE0EEEvSF_
    .private_segment_fixed_size: 0
    .sgpr_count:     0
    .sgpr_spill_count: 0
    .symbol:         _ZN7rocprim17ROCPRIM_400000_NS6detail17trampoline_kernelINS0_14default_configENS1_38merge_sort_block_merge_config_selectorImNS0_10empty_typeEEEZZNS1_27merge_sort_block_merge_implIS3_PmPS5_jNS1_19radix_merge_compareILb0ELb1EmNS0_19identity_decomposerEEEEE10hipError_tT0_T1_T2_jT3_P12ihipStream_tbPNSt15iterator_traitsISE_E10value_typeEPNSK_ISF_E10value_typeEPSG_NS1_7vsmem_tEENKUlT_SE_SF_SG_E_clIS8_S8_S9_S9_EESD_ST_SE_SF_SG_EUlST_E1_NS1_11comp_targetILNS1_3genE8ELNS1_11target_archE1030ELNS1_3gpuE2ELNS1_3repE0EEENS1_36merge_oddeven_config_static_selectorELNS0_4arch9wavefront6targetE0EEEvSF_.kd
    .uniform_work_group_size: 1
    .uses_dynamic_stack: false
    .vgpr_count:     0
    .vgpr_spill_count: 0
    .wavefront_size: 32
  - .args:
      - .offset:         0
        .size:           48
        .value_kind:     by_value
    .group_segment_fixed_size: 32768
    .kernarg_segment_align: 8
    .kernarg_segment_size: 48
    .language:       OpenCL C
    .language_version:
      - 2
      - 0
    .max_flat_workgroup_size: 512
    .name:           _ZN7rocprim17ROCPRIM_400000_NS6detail17trampoline_kernelINS0_14default_configENS1_35radix_sort_onesweep_config_selectorImNS0_10empty_typeEEEZNS1_34radix_sort_onesweep_global_offsetsIS3_Lb0EPKmPS5_mNS0_19identity_decomposerEEE10hipError_tT1_T2_PT3_SF_jT4_jjP12ihipStream_tbEUlT_E_NS1_11comp_targetILNS1_3genE0ELNS1_11target_archE4294967295ELNS1_3gpuE0ELNS1_3repE0EEENS1_52radix_sort_onesweep_histogram_config_static_selectorELNS0_4arch9wavefront6targetE0EEEvSD_
    .private_segment_fixed_size: 0
    .sgpr_count:     15
    .sgpr_spill_count: 0
    .symbol:         _ZN7rocprim17ROCPRIM_400000_NS6detail17trampoline_kernelINS0_14default_configENS1_35radix_sort_onesweep_config_selectorImNS0_10empty_typeEEEZNS1_34radix_sort_onesweep_global_offsetsIS3_Lb0EPKmPS5_mNS0_19identity_decomposerEEE10hipError_tT1_T2_PT3_SF_jT4_jjP12ihipStream_tbEUlT_E_NS1_11comp_targetILNS1_3genE0ELNS1_11target_archE4294967295ELNS1_3gpuE0ELNS1_3repE0EEENS1_52radix_sort_onesweep_histogram_config_static_selectorELNS0_4arch9wavefront6targetE0EEEvSD_.kd
    .uniform_work_group_size: 1
    .uses_dynamic_stack: false
    .vgpr_count:     28
    .vgpr_spill_count: 0
    .wavefront_size: 32
  - .args:
      - .offset:         0
        .size:           48
        .value_kind:     by_value
    .group_segment_fixed_size: 0
    .kernarg_segment_align: 8
    .kernarg_segment_size: 48
    .language:       OpenCL C
    .language_version:
      - 2
      - 0
    .max_flat_workgroup_size: 512
    .name:           _ZN7rocprim17ROCPRIM_400000_NS6detail17trampoline_kernelINS0_14default_configENS1_35radix_sort_onesweep_config_selectorImNS0_10empty_typeEEEZNS1_34radix_sort_onesweep_global_offsetsIS3_Lb0EPKmPS5_mNS0_19identity_decomposerEEE10hipError_tT1_T2_PT3_SF_jT4_jjP12ihipStream_tbEUlT_E_NS1_11comp_targetILNS1_3genE6ELNS1_11target_archE950ELNS1_3gpuE13ELNS1_3repE0EEENS1_52radix_sort_onesweep_histogram_config_static_selectorELNS0_4arch9wavefront6targetE0EEEvSD_
    .private_segment_fixed_size: 0
    .sgpr_count:     0
    .sgpr_spill_count: 0
    .symbol:         _ZN7rocprim17ROCPRIM_400000_NS6detail17trampoline_kernelINS0_14default_configENS1_35radix_sort_onesweep_config_selectorImNS0_10empty_typeEEEZNS1_34radix_sort_onesweep_global_offsetsIS3_Lb0EPKmPS5_mNS0_19identity_decomposerEEE10hipError_tT1_T2_PT3_SF_jT4_jjP12ihipStream_tbEUlT_E_NS1_11comp_targetILNS1_3genE6ELNS1_11target_archE950ELNS1_3gpuE13ELNS1_3repE0EEENS1_52radix_sort_onesweep_histogram_config_static_selectorELNS0_4arch9wavefront6targetE0EEEvSD_.kd
    .uniform_work_group_size: 1
    .uses_dynamic_stack: false
    .vgpr_count:     0
    .vgpr_spill_count: 0
    .wavefront_size: 32
  - .args:
      - .offset:         0
        .size:           48
        .value_kind:     by_value
    .group_segment_fixed_size: 0
    .kernarg_segment_align: 8
    .kernarg_segment_size: 48
    .language:       OpenCL C
    .language_version:
      - 2
      - 0
    .max_flat_workgroup_size: 512
    .name:           _ZN7rocprim17ROCPRIM_400000_NS6detail17trampoline_kernelINS0_14default_configENS1_35radix_sort_onesweep_config_selectorImNS0_10empty_typeEEEZNS1_34radix_sort_onesweep_global_offsetsIS3_Lb0EPKmPS5_mNS0_19identity_decomposerEEE10hipError_tT1_T2_PT3_SF_jT4_jjP12ihipStream_tbEUlT_E_NS1_11comp_targetILNS1_3genE5ELNS1_11target_archE942ELNS1_3gpuE9ELNS1_3repE0EEENS1_52radix_sort_onesweep_histogram_config_static_selectorELNS0_4arch9wavefront6targetE0EEEvSD_
    .private_segment_fixed_size: 0
    .sgpr_count:     0
    .sgpr_spill_count: 0
    .symbol:         _ZN7rocprim17ROCPRIM_400000_NS6detail17trampoline_kernelINS0_14default_configENS1_35radix_sort_onesweep_config_selectorImNS0_10empty_typeEEEZNS1_34radix_sort_onesweep_global_offsetsIS3_Lb0EPKmPS5_mNS0_19identity_decomposerEEE10hipError_tT1_T2_PT3_SF_jT4_jjP12ihipStream_tbEUlT_E_NS1_11comp_targetILNS1_3genE5ELNS1_11target_archE942ELNS1_3gpuE9ELNS1_3repE0EEENS1_52radix_sort_onesweep_histogram_config_static_selectorELNS0_4arch9wavefront6targetE0EEEvSD_.kd
    .uniform_work_group_size: 1
    .uses_dynamic_stack: false
    .vgpr_count:     0
    .vgpr_spill_count: 0
    .wavefront_size: 32
  - .args:
      - .offset:         0
        .size:           48
        .value_kind:     by_value
    .group_segment_fixed_size: 0
    .kernarg_segment_align: 8
    .kernarg_segment_size: 48
    .language:       OpenCL C
    .language_version:
      - 2
      - 0
    .max_flat_workgroup_size: 512
    .name:           _ZN7rocprim17ROCPRIM_400000_NS6detail17trampoline_kernelINS0_14default_configENS1_35radix_sort_onesweep_config_selectorImNS0_10empty_typeEEEZNS1_34radix_sort_onesweep_global_offsetsIS3_Lb0EPKmPS5_mNS0_19identity_decomposerEEE10hipError_tT1_T2_PT3_SF_jT4_jjP12ihipStream_tbEUlT_E_NS1_11comp_targetILNS1_3genE2ELNS1_11target_archE906ELNS1_3gpuE6ELNS1_3repE0EEENS1_52radix_sort_onesweep_histogram_config_static_selectorELNS0_4arch9wavefront6targetE0EEEvSD_
    .private_segment_fixed_size: 0
    .sgpr_count:     0
    .sgpr_spill_count: 0
    .symbol:         _ZN7rocprim17ROCPRIM_400000_NS6detail17trampoline_kernelINS0_14default_configENS1_35radix_sort_onesweep_config_selectorImNS0_10empty_typeEEEZNS1_34radix_sort_onesweep_global_offsetsIS3_Lb0EPKmPS5_mNS0_19identity_decomposerEEE10hipError_tT1_T2_PT3_SF_jT4_jjP12ihipStream_tbEUlT_E_NS1_11comp_targetILNS1_3genE2ELNS1_11target_archE906ELNS1_3gpuE6ELNS1_3repE0EEENS1_52radix_sort_onesweep_histogram_config_static_selectorELNS0_4arch9wavefront6targetE0EEEvSD_.kd
    .uniform_work_group_size: 1
    .uses_dynamic_stack: false
    .vgpr_count:     0
    .vgpr_spill_count: 0
    .wavefront_size: 32
  - .args:
      - .offset:         0
        .size:           48
        .value_kind:     by_value
    .group_segment_fixed_size: 0
    .kernarg_segment_align: 8
    .kernarg_segment_size: 48
    .language:       OpenCL C
    .language_version:
      - 2
      - 0
    .max_flat_workgroup_size: 1024
    .name:           _ZN7rocprim17ROCPRIM_400000_NS6detail17trampoline_kernelINS0_14default_configENS1_35radix_sort_onesweep_config_selectorImNS0_10empty_typeEEEZNS1_34radix_sort_onesweep_global_offsetsIS3_Lb0EPKmPS5_mNS0_19identity_decomposerEEE10hipError_tT1_T2_PT3_SF_jT4_jjP12ihipStream_tbEUlT_E_NS1_11comp_targetILNS1_3genE4ELNS1_11target_archE910ELNS1_3gpuE8ELNS1_3repE0EEENS1_52radix_sort_onesweep_histogram_config_static_selectorELNS0_4arch9wavefront6targetE0EEEvSD_
    .private_segment_fixed_size: 0
    .sgpr_count:     0
    .sgpr_spill_count: 0
    .symbol:         _ZN7rocprim17ROCPRIM_400000_NS6detail17trampoline_kernelINS0_14default_configENS1_35radix_sort_onesweep_config_selectorImNS0_10empty_typeEEEZNS1_34radix_sort_onesweep_global_offsetsIS3_Lb0EPKmPS5_mNS0_19identity_decomposerEEE10hipError_tT1_T2_PT3_SF_jT4_jjP12ihipStream_tbEUlT_E_NS1_11comp_targetILNS1_3genE4ELNS1_11target_archE910ELNS1_3gpuE8ELNS1_3repE0EEENS1_52radix_sort_onesweep_histogram_config_static_selectorELNS0_4arch9wavefront6targetE0EEEvSD_.kd
    .uniform_work_group_size: 1
    .uses_dynamic_stack: false
    .vgpr_count:     0
    .vgpr_spill_count: 0
    .wavefront_size: 32
  - .args:
      - .offset:         0
        .size:           48
        .value_kind:     by_value
    .group_segment_fixed_size: 0
    .kernarg_segment_align: 8
    .kernarg_segment_size: 48
    .language:       OpenCL C
    .language_version:
      - 2
      - 0
    .max_flat_workgroup_size: 512
    .name:           _ZN7rocprim17ROCPRIM_400000_NS6detail17trampoline_kernelINS0_14default_configENS1_35radix_sort_onesweep_config_selectorImNS0_10empty_typeEEEZNS1_34radix_sort_onesweep_global_offsetsIS3_Lb0EPKmPS5_mNS0_19identity_decomposerEEE10hipError_tT1_T2_PT3_SF_jT4_jjP12ihipStream_tbEUlT_E_NS1_11comp_targetILNS1_3genE3ELNS1_11target_archE908ELNS1_3gpuE7ELNS1_3repE0EEENS1_52radix_sort_onesweep_histogram_config_static_selectorELNS0_4arch9wavefront6targetE0EEEvSD_
    .private_segment_fixed_size: 0
    .sgpr_count:     0
    .sgpr_spill_count: 0
    .symbol:         _ZN7rocprim17ROCPRIM_400000_NS6detail17trampoline_kernelINS0_14default_configENS1_35radix_sort_onesweep_config_selectorImNS0_10empty_typeEEEZNS1_34radix_sort_onesweep_global_offsetsIS3_Lb0EPKmPS5_mNS0_19identity_decomposerEEE10hipError_tT1_T2_PT3_SF_jT4_jjP12ihipStream_tbEUlT_E_NS1_11comp_targetILNS1_3genE3ELNS1_11target_archE908ELNS1_3gpuE7ELNS1_3repE0EEENS1_52radix_sort_onesweep_histogram_config_static_selectorELNS0_4arch9wavefront6targetE0EEEvSD_.kd
    .uniform_work_group_size: 1
    .uses_dynamic_stack: false
    .vgpr_count:     0
    .vgpr_spill_count: 0
    .wavefront_size: 32
  - .args:
      - .offset:         0
        .size:           48
        .value_kind:     by_value
    .group_segment_fixed_size: 0
    .kernarg_segment_align: 8
    .kernarg_segment_size: 48
    .language:       OpenCL C
    .language_version:
      - 2
      - 0
    .max_flat_workgroup_size: 512
    .name:           _ZN7rocprim17ROCPRIM_400000_NS6detail17trampoline_kernelINS0_14default_configENS1_35radix_sort_onesweep_config_selectorImNS0_10empty_typeEEEZNS1_34radix_sort_onesweep_global_offsetsIS3_Lb0EPKmPS5_mNS0_19identity_decomposerEEE10hipError_tT1_T2_PT3_SF_jT4_jjP12ihipStream_tbEUlT_E_NS1_11comp_targetILNS1_3genE10ELNS1_11target_archE1201ELNS1_3gpuE5ELNS1_3repE0EEENS1_52radix_sort_onesweep_histogram_config_static_selectorELNS0_4arch9wavefront6targetE0EEEvSD_
    .private_segment_fixed_size: 0
    .sgpr_count:     0
    .sgpr_spill_count: 0
    .symbol:         _ZN7rocprim17ROCPRIM_400000_NS6detail17trampoline_kernelINS0_14default_configENS1_35radix_sort_onesweep_config_selectorImNS0_10empty_typeEEEZNS1_34radix_sort_onesweep_global_offsetsIS3_Lb0EPKmPS5_mNS0_19identity_decomposerEEE10hipError_tT1_T2_PT3_SF_jT4_jjP12ihipStream_tbEUlT_E_NS1_11comp_targetILNS1_3genE10ELNS1_11target_archE1201ELNS1_3gpuE5ELNS1_3repE0EEENS1_52radix_sort_onesweep_histogram_config_static_selectorELNS0_4arch9wavefront6targetE0EEEvSD_.kd
    .uniform_work_group_size: 1
    .uses_dynamic_stack: false
    .vgpr_count:     0
    .vgpr_spill_count: 0
    .wavefront_size: 32
  - .args:
      - .offset:         0
        .size:           48
        .value_kind:     by_value
    .group_segment_fixed_size: 0
    .kernarg_segment_align: 8
    .kernarg_segment_size: 48
    .language:       OpenCL C
    .language_version:
      - 2
      - 0
    .max_flat_workgroup_size: 1024
    .name:           _ZN7rocprim17ROCPRIM_400000_NS6detail17trampoline_kernelINS0_14default_configENS1_35radix_sort_onesweep_config_selectorImNS0_10empty_typeEEEZNS1_34radix_sort_onesweep_global_offsetsIS3_Lb0EPKmPS5_mNS0_19identity_decomposerEEE10hipError_tT1_T2_PT3_SF_jT4_jjP12ihipStream_tbEUlT_E_NS1_11comp_targetILNS1_3genE9ELNS1_11target_archE1100ELNS1_3gpuE3ELNS1_3repE0EEENS1_52radix_sort_onesweep_histogram_config_static_selectorELNS0_4arch9wavefront6targetE0EEEvSD_
    .private_segment_fixed_size: 0
    .sgpr_count:     0
    .sgpr_spill_count: 0
    .symbol:         _ZN7rocprim17ROCPRIM_400000_NS6detail17trampoline_kernelINS0_14default_configENS1_35radix_sort_onesweep_config_selectorImNS0_10empty_typeEEEZNS1_34radix_sort_onesweep_global_offsetsIS3_Lb0EPKmPS5_mNS0_19identity_decomposerEEE10hipError_tT1_T2_PT3_SF_jT4_jjP12ihipStream_tbEUlT_E_NS1_11comp_targetILNS1_3genE9ELNS1_11target_archE1100ELNS1_3gpuE3ELNS1_3repE0EEENS1_52radix_sort_onesweep_histogram_config_static_selectorELNS0_4arch9wavefront6targetE0EEEvSD_.kd
    .uniform_work_group_size: 1
    .uses_dynamic_stack: false
    .vgpr_count:     0
    .vgpr_spill_count: 0
    .wavefront_size: 32
  - .args:
      - .offset:         0
        .size:           48
        .value_kind:     by_value
    .group_segment_fixed_size: 0
    .kernarg_segment_align: 8
    .kernarg_segment_size: 48
    .language:       OpenCL C
    .language_version:
      - 2
      - 0
    .max_flat_workgroup_size: 1024
    .name:           _ZN7rocprim17ROCPRIM_400000_NS6detail17trampoline_kernelINS0_14default_configENS1_35radix_sort_onesweep_config_selectorImNS0_10empty_typeEEEZNS1_34radix_sort_onesweep_global_offsetsIS3_Lb0EPKmPS5_mNS0_19identity_decomposerEEE10hipError_tT1_T2_PT3_SF_jT4_jjP12ihipStream_tbEUlT_E_NS1_11comp_targetILNS1_3genE8ELNS1_11target_archE1030ELNS1_3gpuE2ELNS1_3repE0EEENS1_52radix_sort_onesweep_histogram_config_static_selectorELNS0_4arch9wavefront6targetE0EEEvSD_
    .private_segment_fixed_size: 0
    .sgpr_count:     0
    .sgpr_spill_count: 0
    .symbol:         _ZN7rocprim17ROCPRIM_400000_NS6detail17trampoline_kernelINS0_14default_configENS1_35radix_sort_onesweep_config_selectorImNS0_10empty_typeEEEZNS1_34radix_sort_onesweep_global_offsetsIS3_Lb0EPKmPS5_mNS0_19identity_decomposerEEE10hipError_tT1_T2_PT3_SF_jT4_jjP12ihipStream_tbEUlT_E_NS1_11comp_targetILNS1_3genE8ELNS1_11target_archE1030ELNS1_3gpuE2ELNS1_3repE0EEENS1_52radix_sort_onesweep_histogram_config_static_selectorELNS0_4arch9wavefront6targetE0EEEvSD_.kd
    .uniform_work_group_size: 1
    .uses_dynamic_stack: false
    .vgpr_count:     0
    .vgpr_spill_count: 0
    .wavefront_size: 32
  - .args:
      - .address_space:  global
        .offset:         0
        .size:           8
        .value_kind:     global_buffer
    .group_segment_fixed_size: 128
    .kernarg_segment_align: 8
    .kernarg_segment_size: 8
    .language:       OpenCL C
    .language_version:
      - 2
      - 0
    .max_flat_workgroup_size: 512
    .name:           _ZN7rocprim17ROCPRIM_400000_NS6detail17trampoline_kernelINS0_14default_configENS1_35radix_sort_onesweep_config_selectorImNS0_10empty_typeEEEZNS1_34radix_sort_onesweep_global_offsetsIS3_Lb0EPKmPS5_mNS0_19identity_decomposerEEE10hipError_tT1_T2_PT3_SF_jT4_jjP12ihipStream_tbEUlT_E0_NS1_11comp_targetILNS1_3genE0ELNS1_11target_archE4294967295ELNS1_3gpuE0ELNS1_3repE0EEENS1_52radix_sort_onesweep_histogram_config_static_selectorELNS0_4arch9wavefront6targetE0EEEvSD_
    .private_segment_fixed_size: 0
    .sgpr_count:     10
    .sgpr_spill_count: 0
    .symbol:         _ZN7rocprim17ROCPRIM_400000_NS6detail17trampoline_kernelINS0_14default_configENS1_35radix_sort_onesweep_config_selectorImNS0_10empty_typeEEEZNS1_34radix_sort_onesweep_global_offsetsIS3_Lb0EPKmPS5_mNS0_19identity_decomposerEEE10hipError_tT1_T2_PT3_SF_jT4_jjP12ihipStream_tbEUlT_E0_NS1_11comp_targetILNS1_3genE0ELNS1_11target_archE4294967295ELNS1_3gpuE0ELNS1_3repE0EEENS1_52radix_sort_onesweep_histogram_config_static_selectorELNS0_4arch9wavefront6targetE0EEEvSD_.kd
    .uniform_work_group_size: 1
    .uses_dynamic_stack: false
    .vgpr_count:     14
    .vgpr_spill_count: 0
    .wavefront_size: 32
  - .args:
      - .address_space:  global
        .offset:         0
        .size:           8
        .value_kind:     global_buffer
    .group_segment_fixed_size: 0
    .kernarg_segment_align: 8
    .kernarg_segment_size: 8
    .language:       OpenCL C
    .language_version:
      - 2
      - 0
    .max_flat_workgroup_size: 512
    .name:           _ZN7rocprim17ROCPRIM_400000_NS6detail17trampoline_kernelINS0_14default_configENS1_35radix_sort_onesweep_config_selectorImNS0_10empty_typeEEEZNS1_34radix_sort_onesweep_global_offsetsIS3_Lb0EPKmPS5_mNS0_19identity_decomposerEEE10hipError_tT1_T2_PT3_SF_jT4_jjP12ihipStream_tbEUlT_E0_NS1_11comp_targetILNS1_3genE6ELNS1_11target_archE950ELNS1_3gpuE13ELNS1_3repE0EEENS1_52radix_sort_onesweep_histogram_config_static_selectorELNS0_4arch9wavefront6targetE0EEEvSD_
    .private_segment_fixed_size: 0
    .sgpr_count:     0
    .sgpr_spill_count: 0
    .symbol:         _ZN7rocprim17ROCPRIM_400000_NS6detail17trampoline_kernelINS0_14default_configENS1_35radix_sort_onesweep_config_selectorImNS0_10empty_typeEEEZNS1_34radix_sort_onesweep_global_offsetsIS3_Lb0EPKmPS5_mNS0_19identity_decomposerEEE10hipError_tT1_T2_PT3_SF_jT4_jjP12ihipStream_tbEUlT_E0_NS1_11comp_targetILNS1_3genE6ELNS1_11target_archE950ELNS1_3gpuE13ELNS1_3repE0EEENS1_52radix_sort_onesweep_histogram_config_static_selectorELNS0_4arch9wavefront6targetE0EEEvSD_.kd
    .uniform_work_group_size: 1
    .uses_dynamic_stack: false
    .vgpr_count:     0
    .vgpr_spill_count: 0
    .wavefront_size: 32
  - .args:
      - .address_space:  global
        .offset:         0
        .size:           8
        .value_kind:     global_buffer
    .group_segment_fixed_size: 0
    .kernarg_segment_align: 8
    .kernarg_segment_size: 8
    .language:       OpenCL C
    .language_version:
      - 2
      - 0
    .max_flat_workgroup_size: 512
    .name:           _ZN7rocprim17ROCPRIM_400000_NS6detail17trampoline_kernelINS0_14default_configENS1_35radix_sort_onesweep_config_selectorImNS0_10empty_typeEEEZNS1_34radix_sort_onesweep_global_offsetsIS3_Lb0EPKmPS5_mNS0_19identity_decomposerEEE10hipError_tT1_T2_PT3_SF_jT4_jjP12ihipStream_tbEUlT_E0_NS1_11comp_targetILNS1_3genE5ELNS1_11target_archE942ELNS1_3gpuE9ELNS1_3repE0EEENS1_52radix_sort_onesweep_histogram_config_static_selectorELNS0_4arch9wavefront6targetE0EEEvSD_
    .private_segment_fixed_size: 0
    .sgpr_count:     0
    .sgpr_spill_count: 0
    .symbol:         _ZN7rocprim17ROCPRIM_400000_NS6detail17trampoline_kernelINS0_14default_configENS1_35radix_sort_onesweep_config_selectorImNS0_10empty_typeEEEZNS1_34radix_sort_onesweep_global_offsetsIS3_Lb0EPKmPS5_mNS0_19identity_decomposerEEE10hipError_tT1_T2_PT3_SF_jT4_jjP12ihipStream_tbEUlT_E0_NS1_11comp_targetILNS1_3genE5ELNS1_11target_archE942ELNS1_3gpuE9ELNS1_3repE0EEENS1_52radix_sort_onesweep_histogram_config_static_selectorELNS0_4arch9wavefront6targetE0EEEvSD_.kd
    .uniform_work_group_size: 1
    .uses_dynamic_stack: false
    .vgpr_count:     0
    .vgpr_spill_count: 0
    .wavefront_size: 32
  - .args:
      - .address_space:  global
        .offset:         0
        .size:           8
        .value_kind:     global_buffer
    .group_segment_fixed_size: 0
    .kernarg_segment_align: 8
    .kernarg_segment_size: 8
    .language:       OpenCL C
    .language_version:
      - 2
      - 0
    .max_flat_workgroup_size: 512
    .name:           _ZN7rocprim17ROCPRIM_400000_NS6detail17trampoline_kernelINS0_14default_configENS1_35radix_sort_onesweep_config_selectorImNS0_10empty_typeEEEZNS1_34radix_sort_onesweep_global_offsetsIS3_Lb0EPKmPS5_mNS0_19identity_decomposerEEE10hipError_tT1_T2_PT3_SF_jT4_jjP12ihipStream_tbEUlT_E0_NS1_11comp_targetILNS1_3genE2ELNS1_11target_archE906ELNS1_3gpuE6ELNS1_3repE0EEENS1_52radix_sort_onesweep_histogram_config_static_selectorELNS0_4arch9wavefront6targetE0EEEvSD_
    .private_segment_fixed_size: 0
    .sgpr_count:     0
    .sgpr_spill_count: 0
    .symbol:         _ZN7rocprim17ROCPRIM_400000_NS6detail17trampoline_kernelINS0_14default_configENS1_35radix_sort_onesweep_config_selectorImNS0_10empty_typeEEEZNS1_34radix_sort_onesweep_global_offsetsIS3_Lb0EPKmPS5_mNS0_19identity_decomposerEEE10hipError_tT1_T2_PT3_SF_jT4_jjP12ihipStream_tbEUlT_E0_NS1_11comp_targetILNS1_3genE2ELNS1_11target_archE906ELNS1_3gpuE6ELNS1_3repE0EEENS1_52radix_sort_onesweep_histogram_config_static_selectorELNS0_4arch9wavefront6targetE0EEEvSD_.kd
    .uniform_work_group_size: 1
    .uses_dynamic_stack: false
    .vgpr_count:     0
    .vgpr_spill_count: 0
    .wavefront_size: 32
  - .args:
      - .address_space:  global
        .offset:         0
        .size:           8
        .value_kind:     global_buffer
    .group_segment_fixed_size: 0
    .kernarg_segment_align: 8
    .kernarg_segment_size: 8
    .language:       OpenCL C
    .language_version:
      - 2
      - 0
    .max_flat_workgroup_size: 1024
    .name:           _ZN7rocprim17ROCPRIM_400000_NS6detail17trampoline_kernelINS0_14default_configENS1_35radix_sort_onesweep_config_selectorImNS0_10empty_typeEEEZNS1_34radix_sort_onesweep_global_offsetsIS3_Lb0EPKmPS5_mNS0_19identity_decomposerEEE10hipError_tT1_T2_PT3_SF_jT4_jjP12ihipStream_tbEUlT_E0_NS1_11comp_targetILNS1_3genE4ELNS1_11target_archE910ELNS1_3gpuE8ELNS1_3repE0EEENS1_52radix_sort_onesweep_histogram_config_static_selectorELNS0_4arch9wavefront6targetE0EEEvSD_
    .private_segment_fixed_size: 0
    .sgpr_count:     0
    .sgpr_spill_count: 0
    .symbol:         _ZN7rocprim17ROCPRIM_400000_NS6detail17trampoline_kernelINS0_14default_configENS1_35radix_sort_onesweep_config_selectorImNS0_10empty_typeEEEZNS1_34radix_sort_onesweep_global_offsetsIS3_Lb0EPKmPS5_mNS0_19identity_decomposerEEE10hipError_tT1_T2_PT3_SF_jT4_jjP12ihipStream_tbEUlT_E0_NS1_11comp_targetILNS1_3genE4ELNS1_11target_archE910ELNS1_3gpuE8ELNS1_3repE0EEENS1_52radix_sort_onesweep_histogram_config_static_selectorELNS0_4arch9wavefront6targetE0EEEvSD_.kd
    .uniform_work_group_size: 1
    .uses_dynamic_stack: false
    .vgpr_count:     0
    .vgpr_spill_count: 0
    .wavefront_size: 32
  - .args:
      - .address_space:  global
        .offset:         0
        .size:           8
        .value_kind:     global_buffer
    .group_segment_fixed_size: 0
    .kernarg_segment_align: 8
    .kernarg_segment_size: 8
    .language:       OpenCL C
    .language_version:
      - 2
      - 0
    .max_flat_workgroup_size: 512
    .name:           _ZN7rocprim17ROCPRIM_400000_NS6detail17trampoline_kernelINS0_14default_configENS1_35radix_sort_onesweep_config_selectorImNS0_10empty_typeEEEZNS1_34radix_sort_onesweep_global_offsetsIS3_Lb0EPKmPS5_mNS0_19identity_decomposerEEE10hipError_tT1_T2_PT3_SF_jT4_jjP12ihipStream_tbEUlT_E0_NS1_11comp_targetILNS1_3genE3ELNS1_11target_archE908ELNS1_3gpuE7ELNS1_3repE0EEENS1_52radix_sort_onesweep_histogram_config_static_selectorELNS0_4arch9wavefront6targetE0EEEvSD_
    .private_segment_fixed_size: 0
    .sgpr_count:     0
    .sgpr_spill_count: 0
    .symbol:         _ZN7rocprim17ROCPRIM_400000_NS6detail17trampoline_kernelINS0_14default_configENS1_35radix_sort_onesweep_config_selectorImNS0_10empty_typeEEEZNS1_34radix_sort_onesweep_global_offsetsIS3_Lb0EPKmPS5_mNS0_19identity_decomposerEEE10hipError_tT1_T2_PT3_SF_jT4_jjP12ihipStream_tbEUlT_E0_NS1_11comp_targetILNS1_3genE3ELNS1_11target_archE908ELNS1_3gpuE7ELNS1_3repE0EEENS1_52radix_sort_onesweep_histogram_config_static_selectorELNS0_4arch9wavefront6targetE0EEEvSD_.kd
    .uniform_work_group_size: 1
    .uses_dynamic_stack: false
    .vgpr_count:     0
    .vgpr_spill_count: 0
    .wavefront_size: 32
  - .args:
      - .address_space:  global
        .offset:         0
        .size:           8
        .value_kind:     global_buffer
    .group_segment_fixed_size: 0
    .kernarg_segment_align: 8
    .kernarg_segment_size: 8
    .language:       OpenCL C
    .language_version:
      - 2
      - 0
    .max_flat_workgroup_size: 512
    .name:           _ZN7rocprim17ROCPRIM_400000_NS6detail17trampoline_kernelINS0_14default_configENS1_35radix_sort_onesweep_config_selectorImNS0_10empty_typeEEEZNS1_34radix_sort_onesweep_global_offsetsIS3_Lb0EPKmPS5_mNS0_19identity_decomposerEEE10hipError_tT1_T2_PT3_SF_jT4_jjP12ihipStream_tbEUlT_E0_NS1_11comp_targetILNS1_3genE10ELNS1_11target_archE1201ELNS1_3gpuE5ELNS1_3repE0EEENS1_52radix_sort_onesweep_histogram_config_static_selectorELNS0_4arch9wavefront6targetE0EEEvSD_
    .private_segment_fixed_size: 0
    .sgpr_count:     0
    .sgpr_spill_count: 0
    .symbol:         _ZN7rocprim17ROCPRIM_400000_NS6detail17trampoline_kernelINS0_14default_configENS1_35radix_sort_onesweep_config_selectorImNS0_10empty_typeEEEZNS1_34radix_sort_onesweep_global_offsetsIS3_Lb0EPKmPS5_mNS0_19identity_decomposerEEE10hipError_tT1_T2_PT3_SF_jT4_jjP12ihipStream_tbEUlT_E0_NS1_11comp_targetILNS1_3genE10ELNS1_11target_archE1201ELNS1_3gpuE5ELNS1_3repE0EEENS1_52radix_sort_onesweep_histogram_config_static_selectorELNS0_4arch9wavefront6targetE0EEEvSD_.kd
    .uniform_work_group_size: 1
    .uses_dynamic_stack: false
    .vgpr_count:     0
    .vgpr_spill_count: 0
    .wavefront_size: 32
  - .args:
      - .address_space:  global
        .offset:         0
        .size:           8
        .value_kind:     global_buffer
    .group_segment_fixed_size: 0
    .kernarg_segment_align: 8
    .kernarg_segment_size: 8
    .language:       OpenCL C
    .language_version:
      - 2
      - 0
    .max_flat_workgroup_size: 1024
    .name:           _ZN7rocprim17ROCPRIM_400000_NS6detail17trampoline_kernelINS0_14default_configENS1_35radix_sort_onesweep_config_selectorImNS0_10empty_typeEEEZNS1_34radix_sort_onesweep_global_offsetsIS3_Lb0EPKmPS5_mNS0_19identity_decomposerEEE10hipError_tT1_T2_PT3_SF_jT4_jjP12ihipStream_tbEUlT_E0_NS1_11comp_targetILNS1_3genE9ELNS1_11target_archE1100ELNS1_3gpuE3ELNS1_3repE0EEENS1_52radix_sort_onesweep_histogram_config_static_selectorELNS0_4arch9wavefront6targetE0EEEvSD_
    .private_segment_fixed_size: 0
    .sgpr_count:     0
    .sgpr_spill_count: 0
    .symbol:         _ZN7rocprim17ROCPRIM_400000_NS6detail17trampoline_kernelINS0_14default_configENS1_35radix_sort_onesweep_config_selectorImNS0_10empty_typeEEEZNS1_34radix_sort_onesweep_global_offsetsIS3_Lb0EPKmPS5_mNS0_19identity_decomposerEEE10hipError_tT1_T2_PT3_SF_jT4_jjP12ihipStream_tbEUlT_E0_NS1_11comp_targetILNS1_3genE9ELNS1_11target_archE1100ELNS1_3gpuE3ELNS1_3repE0EEENS1_52radix_sort_onesweep_histogram_config_static_selectorELNS0_4arch9wavefront6targetE0EEEvSD_.kd
    .uniform_work_group_size: 1
    .uses_dynamic_stack: false
    .vgpr_count:     0
    .vgpr_spill_count: 0
    .wavefront_size: 32
  - .args:
      - .address_space:  global
        .offset:         0
        .size:           8
        .value_kind:     global_buffer
    .group_segment_fixed_size: 0
    .kernarg_segment_align: 8
    .kernarg_segment_size: 8
    .language:       OpenCL C
    .language_version:
      - 2
      - 0
    .max_flat_workgroup_size: 1024
    .name:           _ZN7rocprim17ROCPRIM_400000_NS6detail17trampoline_kernelINS0_14default_configENS1_35radix_sort_onesweep_config_selectorImNS0_10empty_typeEEEZNS1_34radix_sort_onesweep_global_offsetsIS3_Lb0EPKmPS5_mNS0_19identity_decomposerEEE10hipError_tT1_T2_PT3_SF_jT4_jjP12ihipStream_tbEUlT_E0_NS1_11comp_targetILNS1_3genE8ELNS1_11target_archE1030ELNS1_3gpuE2ELNS1_3repE0EEENS1_52radix_sort_onesweep_histogram_config_static_selectorELNS0_4arch9wavefront6targetE0EEEvSD_
    .private_segment_fixed_size: 0
    .sgpr_count:     0
    .sgpr_spill_count: 0
    .symbol:         _ZN7rocprim17ROCPRIM_400000_NS6detail17trampoline_kernelINS0_14default_configENS1_35radix_sort_onesweep_config_selectorImNS0_10empty_typeEEEZNS1_34radix_sort_onesweep_global_offsetsIS3_Lb0EPKmPS5_mNS0_19identity_decomposerEEE10hipError_tT1_T2_PT3_SF_jT4_jjP12ihipStream_tbEUlT_E0_NS1_11comp_targetILNS1_3genE8ELNS1_11target_archE1030ELNS1_3gpuE2ELNS1_3repE0EEENS1_52radix_sort_onesweep_histogram_config_static_selectorELNS0_4arch9wavefront6targetE0EEEvSD_.kd
    .uniform_work_group_size: 1
    .uses_dynamic_stack: false
    .vgpr_count:     0
    .vgpr_spill_count: 0
    .wavefront_size: 32
  - .args:
      - .offset:         0
        .size:           88
        .value_kind:     by_value
      - .offset:         88
        .size:           4
        .value_kind:     hidden_block_count_x
      - .offset:         92
        .size:           4
        .value_kind:     hidden_block_count_y
      - .offset:         96
        .size:           4
        .value_kind:     hidden_block_count_z
      - .offset:         100
        .size:           2
        .value_kind:     hidden_group_size_x
      - .offset:         102
        .size:           2
        .value_kind:     hidden_group_size_y
      - .offset:         104
        .size:           2
        .value_kind:     hidden_group_size_z
      - .offset:         106
        .size:           2
        .value_kind:     hidden_remainder_x
      - .offset:         108
        .size:           2
        .value_kind:     hidden_remainder_y
      - .offset:         110
        .size:           2
        .value_kind:     hidden_remainder_z
      - .offset:         128
        .size:           8
        .value_kind:     hidden_global_offset_x
      - .offset:         136
        .size:           8
        .value_kind:     hidden_global_offset_y
      - .offset:         144
        .size:           8
        .value_kind:     hidden_global_offset_z
      - .offset:         152
        .size:           2
        .value_kind:     hidden_grid_dims
    .group_segment_fixed_size: 18504
    .kernarg_segment_align: 8
    .kernarg_segment_size: 344
    .language:       OpenCL C
    .language_version:
      - 2
      - 0
    .max_flat_workgroup_size: 512
    .name:           _ZN7rocprim17ROCPRIM_400000_NS6detail17trampoline_kernelINS0_14default_configENS1_35radix_sort_onesweep_config_selectorImNS0_10empty_typeEEEZZNS1_29radix_sort_onesweep_iterationIS3_Lb0EPKmPmPS5_SB_mNS0_19identity_decomposerENS1_16block_id_wrapperIjLb1EEEEE10hipError_tT1_PNSt15iterator_traitsISG_E10value_typeET2_T3_PNSH_ISM_E10value_typeET4_T5_PSR_SS_PNS1_23onesweep_lookback_stateEbbT6_jjT7_P12ihipStream_tbENKUlT_T0_SG_SL_E_clIS9_SA_SB_SB_EEDaSZ_S10_SG_SL_EUlSZ_E_NS1_11comp_targetILNS1_3genE0ELNS1_11target_archE4294967295ELNS1_3gpuE0ELNS1_3repE0EEENS1_47radix_sort_onesweep_sort_config_static_selectorELNS0_4arch9wavefront6targetE0EEEvSG_
    .private_segment_fixed_size: 0
    .sgpr_count:     30
    .sgpr_spill_count: 0
    .symbol:         _ZN7rocprim17ROCPRIM_400000_NS6detail17trampoline_kernelINS0_14default_configENS1_35radix_sort_onesweep_config_selectorImNS0_10empty_typeEEEZZNS1_29radix_sort_onesweep_iterationIS3_Lb0EPKmPmPS5_SB_mNS0_19identity_decomposerENS1_16block_id_wrapperIjLb1EEEEE10hipError_tT1_PNSt15iterator_traitsISG_E10value_typeET2_T3_PNSH_ISM_E10value_typeET4_T5_PSR_SS_PNS1_23onesweep_lookback_stateEbbT6_jjT7_P12ihipStream_tbENKUlT_T0_SG_SL_E_clIS9_SA_SB_SB_EEDaSZ_S10_SG_SL_EUlSZ_E_NS1_11comp_targetILNS1_3genE0ELNS1_11target_archE4294967295ELNS1_3gpuE0ELNS1_3repE0EEENS1_47radix_sort_onesweep_sort_config_static_selectorELNS0_4arch9wavefront6targetE0EEEvSG_.kd
    .uniform_work_group_size: 1
    .uses_dynamic_stack: false
    .vgpr_count:     57
    .vgpr_spill_count: 0
    .wavefront_size: 32
  - .args:
      - .offset:         0
        .size:           88
        .value_kind:     by_value
    .group_segment_fixed_size: 0
    .kernarg_segment_align: 8
    .kernarg_segment_size: 88
    .language:       OpenCL C
    .language_version:
      - 2
      - 0
    .max_flat_workgroup_size: 512
    .name:           _ZN7rocprim17ROCPRIM_400000_NS6detail17trampoline_kernelINS0_14default_configENS1_35radix_sort_onesweep_config_selectorImNS0_10empty_typeEEEZZNS1_29radix_sort_onesweep_iterationIS3_Lb0EPKmPmPS5_SB_mNS0_19identity_decomposerENS1_16block_id_wrapperIjLb1EEEEE10hipError_tT1_PNSt15iterator_traitsISG_E10value_typeET2_T3_PNSH_ISM_E10value_typeET4_T5_PSR_SS_PNS1_23onesweep_lookback_stateEbbT6_jjT7_P12ihipStream_tbENKUlT_T0_SG_SL_E_clIS9_SA_SB_SB_EEDaSZ_S10_SG_SL_EUlSZ_E_NS1_11comp_targetILNS1_3genE6ELNS1_11target_archE950ELNS1_3gpuE13ELNS1_3repE0EEENS1_47radix_sort_onesweep_sort_config_static_selectorELNS0_4arch9wavefront6targetE0EEEvSG_
    .private_segment_fixed_size: 0
    .sgpr_count:     0
    .sgpr_spill_count: 0
    .symbol:         _ZN7rocprim17ROCPRIM_400000_NS6detail17trampoline_kernelINS0_14default_configENS1_35radix_sort_onesweep_config_selectorImNS0_10empty_typeEEEZZNS1_29radix_sort_onesweep_iterationIS3_Lb0EPKmPmPS5_SB_mNS0_19identity_decomposerENS1_16block_id_wrapperIjLb1EEEEE10hipError_tT1_PNSt15iterator_traitsISG_E10value_typeET2_T3_PNSH_ISM_E10value_typeET4_T5_PSR_SS_PNS1_23onesweep_lookback_stateEbbT6_jjT7_P12ihipStream_tbENKUlT_T0_SG_SL_E_clIS9_SA_SB_SB_EEDaSZ_S10_SG_SL_EUlSZ_E_NS1_11comp_targetILNS1_3genE6ELNS1_11target_archE950ELNS1_3gpuE13ELNS1_3repE0EEENS1_47radix_sort_onesweep_sort_config_static_selectorELNS0_4arch9wavefront6targetE0EEEvSG_.kd
    .uniform_work_group_size: 1
    .uses_dynamic_stack: false
    .vgpr_count:     0
    .vgpr_spill_count: 0
    .wavefront_size: 32
  - .args:
      - .offset:         0
        .size:           88
        .value_kind:     by_value
    .group_segment_fixed_size: 0
    .kernarg_segment_align: 8
    .kernarg_segment_size: 88
    .language:       OpenCL C
    .language_version:
      - 2
      - 0
    .max_flat_workgroup_size: 512
    .name:           _ZN7rocprim17ROCPRIM_400000_NS6detail17trampoline_kernelINS0_14default_configENS1_35radix_sort_onesweep_config_selectorImNS0_10empty_typeEEEZZNS1_29radix_sort_onesweep_iterationIS3_Lb0EPKmPmPS5_SB_mNS0_19identity_decomposerENS1_16block_id_wrapperIjLb1EEEEE10hipError_tT1_PNSt15iterator_traitsISG_E10value_typeET2_T3_PNSH_ISM_E10value_typeET4_T5_PSR_SS_PNS1_23onesweep_lookback_stateEbbT6_jjT7_P12ihipStream_tbENKUlT_T0_SG_SL_E_clIS9_SA_SB_SB_EEDaSZ_S10_SG_SL_EUlSZ_E_NS1_11comp_targetILNS1_3genE5ELNS1_11target_archE942ELNS1_3gpuE9ELNS1_3repE0EEENS1_47radix_sort_onesweep_sort_config_static_selectorELNS0_4arch9wavefront6targetE0EEEvSG_
    .private_segment_fixed_size: 0
    .sgpr_count:     0
    .sgpr_spill_count: 0
    .symbol:         _ZN7rocprim17ROCPRIM_400000_NS6detail17trampoline_kernelINS0_14default_configENS1_35radix_sort_onesweep_config_selectorImNS0_10empty_typeEEEZZNS1_29radix_sort_onesweep_iterationIS3_Lb0EPKmPmPS5_SB_mNS0_19identity_decomposerENS1_16block_id_wrapperIjLb1EEEEE10hipError_tT1_PNSt15iterator_traitsISG_E10value_typeET2_T3_PNSH_ISM_E10value_typeET4_T5_PSR_SS_PNS1_23onesweep_lookback_stateEbbT6_jjT7_P12ihipStream_tbENKUlT_T0_SG_SL_E_clIS9_SA_SB_SB_EEDaSZ_S10_SG_SL_EUlSZ_E_NS1_11comp_targetILNS1_3genE5ELNS1_11target_archE942ELNS1_3gpuE9ELNS1_3repE0EEENS1_47radix_sort_onesweep_sort_config_static_selectorELNS0_4arch9wavefront6targetE0EEEvSG_.kd
    .uniform_work_group_size: 1
    .uses_dynamic_stack: false
    .vgpr_count:     0
    .vgpr_spill_count: 0
    .wavefront_size: 32
  - .args:
      - .offset:         0
        .size:           88
        .value_kind:     by_value
    .group_segment_fixed_size: 0
    .kernarg_segment_align: 8
    .kernarg_segment_size: 88
    .language:       OpenCL C
    .language_version:
      - 2
      - 0
    .max_flat_workgroup_size: 512
    .name:           _ZN7rocprim17ROCPRIM_400000_NS6detail17trampoline_kernelINS0_14default_configENS1_35radix_sort_onesweep_config_selectorImNS0_10empty_typeEEEZZNS1_29radix_sort_onesweep_iterationIS3_Lb0EPKmPmPS5_SB_mNS0_19identity_decomposerENS1_16block_id_wrapperIjLb1EEEEE10hipError_tT1_PNSt15iterator_traitsISG_E10value_typeET2_T3_PNSH_ISM_E10value_typeET4_T5_PSR_SS_PNS1_23onesweep_lookback_stateEbbT6_jjT7_P12ihipStream_tbENKUlT_T0_SG_SL_E_clIS9_SA_SB_SB_EEDaSZ_S10_SG_SL_EUlSZ_E_NS1_11comp_targetILNS1_3genE2ELNS1_11target_archE906ELNS1_3gpuE6ELNS1_3repE0EEENS1_47radix_sort_onesweep_sort_config_static_selectorELNS0_4arch9wavefront6targetE0EEEvSG_
    .private_segment_fixed_size: 0
    .sgpr_count:     0
    .sgpr_spill_count: 0
    .symbol:         _ZN7rocprim17ROCPRIM_400000_NS6detail17trampoline_kernelINS0_14default_configENS1_35radix_sort_onesweep_config_selectorImNS0_10empty_typeEEEZZNS1_29radix_sort_onesweep_iterationIS3_Lb0EPKmPmPS5_SB_mNS0_19identity_decomposerENS1_16block_id_wrapperIjLb1EEEEE10hipError_tT1_PNSt15iterator_traitsISG_E10value_typeET2_T3_PNSH_ISM_E10value_typeET4_T5_PSR_SS_PNS1_23onesweep_lookback_stateEbbT6_jjT7_P12ihipStream_tbENKUlT_T0_SG_SL_E_clIS9_SA_SB_SB_EEDaSZ_S10_SG_SL_EUlSZ_E_NS1_11comp_targetILNS1_3genE2ELNS1_11target_archE906ELNS1_3gpuE6ELNS1_3repE0EEENS1_47radix_sort_onesweep_sort_config_static_selectorELNS0_4arch9wavefront6targetE0EEEvSG_.kd
    .uniform_work_group_size: 1
    .uses_dynamic_stack: false
    .vgpr_count:     0
    .vgpr_spill_count: 0
    .wavefront_size: 32
  - .args:
      - .offset:         0
        .size:           88
        .value_kind:     by_value
    .group_segment_fixed_size: 0
    .kernarg_segment_align: 8
    .kernarg_segment_size: 88
    .language:       OpenCL C
    .language_version:
      - 2
      - 0
    .max_flat_workgroup_size: 1024
    .name:           _ZN7rocprim17ROCPRIM_400000_NS6detail17trampoline_kernelINS0_14default_configENS1_35radix_sort_onesweep_config_selectorImNS0_10empty_typeEEEZZNS1_29radix_sort_onesweep_iterationIS3_Lb0EPKmPmPS5_SB_mNS0_19identity_decomposerENS1_16block_id_wrapperIjLb1EEEEE10hipError_tT1_PNSt15iterator_traitsISG_E10value_typeET2_T3_PNSH_ISM_E10value_typeET4_T5_PSR_SS_PNS1_23onesweep_lookback_stateEbbT6_jjT7_P12ihipStream_tbENKUlT_T0_SG_SL_E_clIS9_SA_SB_SB_EEDaSZ_S10_SG_SL_EUlSZ_E_NS1_11comp_targetILNS1_3genE4ELNS1_11target_archE910ELNS1_3gpuE8ELNS1_3repE0EEENS1_47radix_sort_onesweep_sort_config_static_selectorELNS0_4arch9wavefront6targetE0EEEvSG_
    .private_segment_fixed_size: 0
    .sgpr_count:     0
    .sgpr_spill_count: 0
    .symbol:         _ZN7rocprim17ROCPRIM_400000_NS6detail17trampoline_kernelINS0_14default_configENS1_35radix_sort_onesweep_config_selectorImNS0_10empty_typeEEEZZNS1_29radix_sort_onesweep_iterationIS3_Lb0EPKmPmPS5_SB_mNS0_19identity_decomposerENS1_16block_id_wrapperIjLb1EEEEE10hipError_tT1_PNSt15iterator_traitsISG_E10value_typeET2_T3_PNSH_ISM_E10value_typeET4_T5_PSR_SS_PNS1_23onesweep_lookback_stateEbbT6_jjT7_P12ihipStream_tbENKUlT_T0_SG_SL_E_clIS9_SA_SB_SB_EEDaSZ_S10_SG_SL_EUlSZ_E_NS1_11comp_targetILNS1_3genE4ELNS1_11target_archE910ELNS1_3gpuE8ELNS1_3repE0EEENS1_47radix_sort_onesweep_sort_config_static_selectorELNS0_4arch9wavefront6targetE0EEEvSG_.kd
    .uniform_work_group_size: 1
    .uses_dynamic_stack: false
    .vgpr_count:     0
    .vgpr_spill_count: 0
    .wavefront_size: 32
  - .args:
      - .offset:         0
        .size:           88
        .value_kind:     by_value
    .group_segment_fixed_size: 0
    .kernarg_segment_align: 8
    .kernarg_segment_size: 88
    .language:       OpenCL C
    .language_version:
      - 2
      - 0
    .max_flat_workgroup_size: 512
    .name:           _ZN7rocprim17ROCPRIM_400000_NS6detail17trampoline_kernelINS0_14default_configENS1_35radix_sort_onesweep_config_selectorImNS0_10empty_typeEEEZZNS1_29radix_sort_onesweep_iterationIS3_Lb0EPKmPmPS5_SB_mNS0_19identity_decomposerENS1_16block_id_wrapperIjLb1EEEEE10hipError_tT1_PNSt15iterator_traitsISG_E10value_typeET2_T3_PNSH_ISM_E10value_typeET4_T5_PSR_SS_PNS1_23onesweep_lookback_stateEbbT6_jjT7_P12ihipStream_tbENKUlT_T0_SG_SL_E_clIS9_SA_SB_SB_EEDaSZ_S10_SG_SL_EUlSZ_E_NS1_11comp_targetILNS1_3genE3ELNS1_11target_archE908ELNS1_3gpuE7ELNS1_3repE0EEENS1_47radix_sort_onesweep_sort_config_static_selectorELNS0_4arch9wavefront6targetE0EEEvSG_
    .private_segment_fixed_size: 0
    .sgpr_count:     0
    .sgpr_spill_count: 0
    .symbol:         _ZN7rocprim17ROCPRIM_400000_NS6detail17trampoline_kernelINS0_14default_configENS1_35radix_sort_onesweep_config_selectorImNS0_10empty_typeEEEZZNS1_29radix_sort_onesweep_iterationIS3_Lb0EPKmPmPS5_SB_mNS0_19identity_decomposerENS1_16block_id_wrapperIjLb1EEEEE10hipError_tT1_PNSt15iterator_traitsISG_E10value_typeET2_T3_PNSH_ISM_E10value_typeET4_T5_PSR_SS_PNS1_23onesweep_lookback_stateEbbT6_jjT7_P12ihipStream_tbENKUlT_T0_SG_SL_E_clIS9_SA_SB_SB_EEDaSZ_S10_SG_SL_EUlSZ_E_NS1_11comp_targetILNS1_3genE3ELNS1_11target_archE908ELNS1_3gpuE7ELNS1_3repE0EEENS1_47radix_sort_onesweep_sort_config_static_selectorELNS0_4arch9wavefront6targetE0EEEvSG_.kd
    .uniform_work_group_size: 1
    .uses_dynamic_stack: false
    .vgpr_count:     0
    .vgpr_spill_count: 0
    .wavefront_size: 32
  - .args:
      - .offset:         0
        .size:           88
        .value_kind:     by_value
    .group_segment_fixed_size: 0
    .kernarg_segment_align: 8
    .kernarg_segment_size: 88
    .language:       OpenCL C
    .language_version:
      - 2
      - 0
    .max_flat_workgroup_size: 512
    .name:           _ZN7rocprim17ROCPRIM_400000_NS6detail17trampoline_kernelINS0_14default_configENS1_35radix_sort_onesweep_config_selectorImNS0_10empty_typeEEEZZNS1_29radix_sort_onesweep_iterationIS3_Lb0EPKmPmPS5_SB_mNS0_19identity_decomposerENS1_16block_id_wrapperIjLb1EEEEE10hipError_tT1_PNSt15iterator_traitsISG_E10value_typeET2_T3_PNSH_ISM_E10value_typeET4_T5_PSR_SS_PNS1_23onesweep_lookback_stateEbbT6_jjT7_P12ihipStream_tbENKUlT_T0_SG_SL_E_clIS9_SA_SB_SB_EEDaSZ_S10_SG_SL_EUlSZ_E_NS1_11comp_targetILNS1_3genE10ELNS1_11target_archE1201ELNS1_3gpuE5ELNS1_3repE0EEENS1_47radix_sort_onesweep_sort_config_static_selectorELNS0_4arch9wavefront6targetE0EEEvSG_
    .private_segment_fixed_size: 0
    .sgpr_count:     0
    .sgpr_spill_count: 0
    .symbol:         _ZN7rocprim17ROCPRIM_400000_NS6detail17trampoline_kernelINS0_14default_configENS1_35radix_sort_onesweep_config_selectorImNS0_10empty_typeEEEZZNS1_29radix_sort_onesweep_iterationIS3_Lb0EPKmPmPS5_SB_mNS0_19identity_decomposerENS1_16block_id_wrapperIjLb1EEEEE10hipError_tT1_PNSt15iterator_traitsISG_E10value_typeET2_T3_PNSH_ISM_E10value_typeET4_T5_PSR_SS_PNS1_23onesweep_lookback_stateEbbT6_jjT7_P12ihipStream_tbENKUlT_T0_SG_SL_E_clIS9_SA_SB_SB_EEDaSZ_S10_SG_SL_EUlSZ_E_NS1_11comp_targetILNS1_3genE10ELNS1_11target_archE1201ELNS1_3gpuE5ELNS1_3repE0EEENS1_47radix_sort_onesweep_sort_config_static_selectorELNS0_4arch9wavefront6targetE0EEEvSG_.kd
    .uniform_work_group_size: 1
    .uses_dynamic_stack: false
    .vgpr_count:     0
    .vgpr_spill_count: 0
    .wavefront_size: 32
  - .args:
      - .offset:         0
        .size:           88
        .value_kind:     by_value
    .group_segment_fixed_size: 0
    .kernarg_segment_align: 8
    .kernarg_segment_size: 88
    .language:       OpenCL C
    .language_version:
      - 2
      - 0
    .max_flat_workgroup_size: 1024
    .name:           _ZN7rocprim17ROCPRIM_400000_NS6detail17trampoline_kernelINS0_14default_configENS1_35radix_sort_onesweep_config_selectorImNS0_10empty_typeEEEZZNS1_29radix_sort_onesweep_iterationIS3_Lb0EPKmPmPS5_SB_mNS0_19identity_decomposerENS1_16block_id_wrapperIjLb1EEEEE10hipError_tT1_PNSt15iterator_traitsISG_E10value_typeET2_T3_PNSH_ISM_E10value_typeET4_T5_PSR_SS_PNS1_23onesweep_lookback_stateEbbT6_jjT7_P12ihipStream_tbENKUlT_T0_SG_SL_E_clIS9_SA_SB_SB_EEDaSZ_S10_SG_SL_EUlSZ_E_NS1_11comp_targetILNS1_3genE9ELNS1_11target_archE1100ELNS1_3gpuE3ELNS1_3repE0EEENS1_47radix_sort_onesweep_sort_config_static_selectorELNS0_4arch9wavefront6targetE0EEEvSG_
    .private_segment_fixed_size: 0
    .sgpr_count:     0
    .sgpr_spill_count: 0
    .symbol:         _ZN7rocprim17ROCPRIM_400000_NS6detail17trampoline_kernelINS0_14default_configENS1_35radix_sort_onesweep_config_selectorImNS0_10empty_typeEEEZZNS1_29radix_sort_onesweep_iterationIS3_Lb0EPKmPmPS5_SB_mNS0_19identity_decomposerENS1_16block_id_wrapperIjLb1EEEEE10hipError_tT1_PNSt15iterator_traitsISG_E10value_typeET2_T3_PNSH_ISM_E10value_typeET4_T5_PSR_SS_PNS1_23onesweep_lookback_stateEbbT6_jjT7_P12ihipStream_tbENKUlT_T0_SG_SL_E_clIS9_SA_SB_SB_EEDaSZ_S10_SG_SL_EUlSZ_E_NS1_11comp_targetILNS1_3genE9ELNS1_11target_archE1100ELNS1_3gpuE3ELNS1_3repE0EEENS1_47radix_sort_onesweep_sort_config_static_selectorELNS0_4arch9wavefront6targetE0EEEvSG_.kd
    .uniform_work_group_size: 1
    .uses_dynamic_stack: false
    .vgpr_count:     0
    .vgpr_spill_count: 0
    .wavefront_size: 32
  - .args:
      - .offset:         0
        .size:           88
        .value_kind:     by_value
    .group_segment_fixed_size: 0
    .kernarg_segment_align: 8
    .kernarg_segment_size: 88
    .language:       OpenCL C
    .language_version:
      - 2
      - 0
    .max_flat_workgroup_size: 1024
    .name:           _ZN7rocprim17ROCPRIM_400000_NS6detail17trampoline_kernelINS0_14default_configENS1_35radix_sort_onesweep_config_selectorImNS0_10empty_typeEEEZZNS1_29radix_sort_onesweep_iterationIS3_Lb0EPKmPmPS5_SB_mNS0_19identity_decomposerENS1_16block_id_wrapperIjLb1EEEEE10hipError_tT1_PNSt15iterator_traitsISG_E10value_typeET2_T3_PNSH_ISM_E10value_typeET4_T5_PSR_SS_PNS1_23onesweep_lookback_stateEbbT6_jjT7_P12ihipStream_tbENKUlT_T0_SG_SL_E_clIS9_SA_SB_SB_EEDaSZ_S10_SG_SL_EUlSZ_E_NS1_11comp_targetILNS1_3genE8ELNS1_11target_archE1030ELNS1_3gpuE2ELNS1_3repE0EEENS1_47radix_sort_onesweep_sort_config_static_selectorELNS0_4arch9wavefront6targetE0EEEvSG_
    .private_segment_fixed_size: 0
    .sgpr_count:     0
    .sgpr_spill_count: 0
    .symbol:         _ZN7rocprim17ROCPRIM_400000_NS6detail17trampoline_kernelINS0_14default_configENS1_35radix_sort_onesweep_config_selectorImNS0_10empty_typeEEEZZNS1_29radix_sort_onesweep_iterationIS3_Lb0EPKmPmPS5_SB_mNS0_19identity_decomposerENS1_16block_id_wrapperIjLb1EEEEE10hipError_tT1_PNSt15iterator_traitsISG_E10value_typeET2_T3_PNSH_ISM_E10value_typeET4_T5_PSR_SS_PNS1_23onesweep_lookback_stateEbbT6_jjT7_P12ihipStream_tbENKUlT_T0_SG_SL_E_clIS9_SA_SB_SB_EEDaSZ_S10_SG_SL_EUlSZ_E_NS1_11comp_targetILNS1_3genE8ELNS1_11target_archE1030ELNS1_3gpuE2ELNS1_3repE0EEENS1_47radix_sort_onesweep_sort_config_static_selectorELNS0_4arch9wavefront6targetE0EEEvSG_.kd
    .uniform_work_group_size: 1
    .uses_dynamic_stack: false
    .vgpr_count:     0
    .vgpr_spill_count: 0
    .wavefront_size: 32
  - .args:
      - .offset:         0
        .size:           88
        .value_kind:     by_value
      - .offset:         88
        .size:           4
        .value_kind:     hidden_block_count_x
      - .offset:         92
        .size:           4
        .value_kind:     hidden_block_count_y
      - .offset:         96
        .size:           4
        .value_kind:     hidden_block_count_z
      - .offset:         100
        .size:           2
        .value_kind:     hidden_group_size_x
      - .offset:         102
        .size:           2
        .value_kind:     hidden_group_size_y
      - .offset:         104
        .size:           2
        .value_kind:     hidden_group_size_z
      - .offset:         106
        .size:           2
        .value_kind:     hidden_remainder_x
      - .offset:         108
        .size:           2
        .value_kind:     hidden_remainder_y
      - .offset:         110
        .size:           2
        .value_kind:     hidden_remainder_z
      - .offset:         128
        .size:           8
        .value_kind:     hidden_global_offset_x
      - .offset:         136
        .size:           8
        .value_kind:     hidden_global_offset_y
      - .offset:         144
        .size:           8
        .value_kind:     hidden_global_offset_z
      - .offset:         152
        .size:           2
        .value_kind:     hidden_grid_dims
    .group_segment_fixed_size: 18504
    .kernarg_segment_align: 8
    .kernarg_segment_size: 344
    .language:       OpenCL C
    .language_version:
      - 2
      - 0
    .max_flat_workgroup_size: 512
    .name:           _ZN7rocprim17ROCPRIM_400000_NS6detail17trampoline_kernelINS0_14default_configENS1_35radix_sort_onesweep_config_selectorImNS0_10empty_typeEEEZZNS1_29radix_sort_onesweep_iterationIS3_Lb0EPKmPmPS5_SB_mNS0_19identity_decomposerENS1_16block_id_wrapperIjLb1EEEEE10hipError_tT1_PNSt15iterator_traitsISG_E10value_typeET2_T3_PNSH_ISM_E10value_typeET4_T5_PSR_SS_PNS1_23onesweep_lookback_stateEbbT6_jjT7_P12ihipStream_tbENKUlT_T0_SG_SL_E_clISA_SA_SB_SB_EEDaSZ_S10_SG_SL_EUlSZ_E_NS1_11comp_targetILNS1_3genE0ELNS1_11target_archE4294967295ELNS1_3gpuE0ELNS1_3repE0EEENS1_47radix_sort_onesweep_sort_config_static_selectorELNS0_4arch9wavefront6targetE0EEEvSG_
    .private_segment_fixed_size: 0
    .sgpr_count:     30
    .sgpr_spill_count: 0
    .symbol:         _ZN7rocprim17ROCPRIM_400000_NS6detail17trampoline_kernelINS0_14default_configENS1_35radix_sort_onesweep_config_selectorImNS0_10empty_typeEEEZZNS1_29radix_sort_onesweep_iterationIS3_Lb0EPKmPmPS5_SB_mNS0_19identity_decomposerENS1_16block_id_wrapperIjLb1EEEEE10hipError_tT1_PNSt15iterator_traitsISG_E10value_typeET2_T3_PNSH_ISM_E10value_typeET4_T5_PSR_SS_PNS1_23onesweep_lookback_stateEbbT6_jjT7_P12ihipStream_tbENKUlT_T0_SG_SL_E_clISA_SA_SB_SB_EEDaSZ_S10_SG_SL_EUlSZ_E_NS1_11comp_targetILNS1_3genE0ELNS1_11target_archE4294967295ELNS1_3gpuE0ELNS1_3repE0EEENS1_47radix_sort_onesweep_sort_config_static_selectorELNS0_4arch9wavefront6targetE0EEEvSG_.kd
    .uniform_work_group_size: 1
    .uses_dynamic_stack: false
    .vgpr_count:     57
    .vgpr_spill_count: 0
    .wavefront_size: 32
  - .args:
      - .offset:         0
        .size:           88
        .value_kind:     by_value
    .group_segment_fixed_size: 0
    .kernarg_segment_align: 8
    .kernarg_segment_size: 88
    .language:       OpenCL C
    .language_version:
      - 2
      - 0
    .max_flat_workgroup_size: 512
    .name:           _ZN7rocprim17ROCPRIM_400000_NS6detail17trampoline_kernelINS0_14default_configENS1_35radix_sort_onesweep_config_selectorImNS0_10empty_typeEEEZZNS1_29radix_sort_onesweep_iterationIS3_Lb0EPKmPmPS5_SB_mNS0_19identity_decomposerENS1_16block_id_wrapperIjLb1EEEEE10hipError_tT1_PNSt15iterator_traitsISG_E10value_typeET2_T3_PNSH_ISM_E10value_typeET4_T5_PSR_SS_PNS1_23onesweep_lookback_stateEbbT6_jjT7_P12ihipStream_tbENKUlT_T0_SG_SL_E_clISA_SA_SB_SB_EEDaSZ_S10_SG_SL_EUlSZ_E_NS1_11comp_targetILNS1_3genE6ELNS1_11target_archE950ELNS1_3gpuE13ELNS1_3repE0EEENS1_47radix_sort_onesweep_sort_config_static_selectorELNS0_4arch9wavefront6targetE0EEEvSG_
    .private_segment_fixed_size: 0
    .sgpr_count:     0
    .sgpr_spill_count: 0
    .symbol:         _ZN7rocprim17ROCPRIM_400000_NS6detail17trampoline_kernelINS0_14default_configENS1_35radix_sort_onesweep_config_selectorImNS0_10empty_typeEEEZZNS1_29radix_sort_onesweep_iterationIS3_Lb0EPKmPmPS5_SB_mNS0_19identity_decomposerENS1_16block_id_wrapperIjLb1EEEEE10hipError_tT1_PNSt15iterator_traitsISG_E10value_typeET2_T3_PNSH_ISM_E10value_typeET4_T5_PSR_SS_PNS1_23onesweep_lookback_stateEbbT6_jjT7_P12ihipStream_tbENKUlT_T0_SG_SL_E_clISA_SA_SB_SB_EEDaSZ_S10_SG_SL_EUlSZ_E_NS1_11comp_targetILNS1_3genE6ELNS1_11target_archE950ELNS1_3gpuE13ELNS1_3repE0EEENS1_47radix_sort_onesweep_sort_config_static_selectorELNS0_4arch9wavefront6targetE0EEEvSG_.kd
    .uniform_work_group_size: 1
    .uses_dynamic_stack: false
    .vgpr_count:     0
    .vgpr_spill_count: 0
    .wavefront_size: 32
  - .args:
      - .offset:         0
        .size:           88
        .value_kind:     by_value
    .group_segment_fixed_size: 0
    .kernarg_segment_align: 8
    .kernarg_segment_size: 88
    .language:       OpenCL C
    .language_version:
      - 2
      - 0
    .max_flat_workgroup_size: 512
    .name:           _ZN7rocprim17ROCPRIM_400000_NS6detail17trampoline_kernelINS0_14default_configENS1_35radix_sort_onesweep_config_selectorImNS0_10empty_typeEEEZZNS1_29radix_sort_onesweep_iterationIS3_Lb0EPKmPmPS5_SB_mNS0_19identity_decomposerENS1_16block_id_wrapperIjLb1EEEEE10hipError_tT1_PNSt15iterator_traitsISG_E10value_typeET2_T3_PNSH_ISM_E10value_typeET4_T5_PSR_SS_PNS1_23onesweep_lookback_stateEbbT6_jjT7_P12ihipStream_tbENKUlT_T0_SG_SL_E_clISA_SA_SB_SB_EEDaSZ_S10_SG_SL_EUlSZ_E_NS1_11comp_targetILNS1_3genE5ELNS1_11target_archE942ELNS1_3gpuE9ELNS1_3repE0EEENS1_47radix_sort_onesweep_sort_config_static_selectorELNS0_4arch9wavefront6targetE0EEEvSG_
    .private_segment_fixed_size: 0
    .sgpr_count:     0
    .sgpr_spill_count: 0
    .symbol:         _ZN7rocprim17ROCPRIM_400000_NS6detail17trampoline_kernelINS0_14default_configENS1_35radix_sort_onesweep_config_selectorImNS0_10empty_typeEEEZZNS1_29radix_sort_onesweep_iterationIS3_Lb0EPKmPmPS5_SB_mNS0_19identity_decomposerENS1_16block_id_wrapperIjLb1EEEEE10hipError_tT1_PNSt15iterator_traitsISG_E10value_typeET2_T3_PNSH_ISM_E10value_typeET4_T5_PSR_SS_PNS1_23onesweep_lookback_stateEbbT6_jjT7_P12ihipStream_tbENKUlT_T0_SG_SL_E_clISA_SA_SB_SB_EEDaSZ_S10_SG_SL_EUlSZ_E_NS1_11comp_targetILNS1_3genE5ELNS1_11target_archE942ELNS1_3gpuE9ELNS1_3repE0EEENS1_47radix_sort_onesweep_sort_config_static_selectorELNS0_4arch9wavefront6targetE0EEEvSG_.kd
    .uniform_work_group_size: 1
    .uses_dynamic_stack: false
    .vgpr_count:     0
    .vgpr_spill_count: 0
    .wavefront_size: 32
  - .args:
      - .offset:         0
        .size:           88
        .value_kind:     by_value
    .group_segment_fixed_size: 0
    .kernarg_segment_align: 8
    .kernarg_segment_size: 88
    .language:       OpenCL C
    .language_version:
      - 2
      - 0
    .max_flat_workgroup_size: 512
    .name:           _ZN7rocprim17ROCPRIM_400000_NS6detail17trampoline_kernelINS0_14default_configENS1_35radix_sort_onesweep_config_selectorImNS0_10empty_typeEEEZZNS1_29radix_sort_onesweep_iterationIS3_Lb0EPKmPmPS5_SB_mNS0_19identity_decomposerENS1_16block_id_wrapperIjLb1EEEEE10hipError_tT1_PNSt15iterator_traitsISG_E10value_typeET2_T3_PNSH_ISM_E10value_typeET4_T5_PSR_SS_PNS1_23onesweep_lookback_stateEbbT6_jjT7_P12ihipStream_tbENKUlT_T0_SG_SL_E_clISA_SA_SB_SB_EEDaSZ_S10_SG_SL_EUlSZ_E_NS1_11comp_targetILNS1_3genE2ELNS1_11target_archE906ELNS1_3gpuE6ELNS1_3repE0EEENS1_47radix_sort_onesweep_sort_config_static_selectorELNS0_4arch9wavefront6targetE0EEEvSG_
    .private_segment_fixed_size: 0
    .sgpr_count:     0
    .sgpr_spill_count: 0
    .symbol:         _ZN7rocprim17ROCPRIM_400000_NS6detail17trampoline_kernelINS0_14default_configENS1_35radix_sort_onesweep_config_selectorImNS0_10empty_typeEEEZZNS1_29radix_sort_onesweep_iterationIS3_Lb0EPKmPmPS5_SB_mNS0_19identity_decomposerENS1_16block_id_wrapperIjLb1EEEEE10hipError_tT1_PNSt15iterator_traitsISG_E10value_typeET2_T3_PNSH_ISM_E10value_typeET4_T5_PSR_SS_PNS1_23onesweep_lookback_stateEbbT6_jjT7_P12ihipStream_tbENKUlT_T0_SG_SL_E_clISA_SA_SB_SB_EEDaSZ_S10_SG_SL_EUlSZ_E_NS1_11comp_targetILNS1_3genE2ELNS1_11target_archE906ELNS1_3gpuE6ELNS1_3repE0EEENS1_47radix_sort_onesweep_sort_config_static_selectorELNS0_4arch9wavefront6targetE0EEEvSG_.kd
    .uniform_work_group_size: 1
    .uses_dynamic_stack: false
    .vgpr_count:     0
    .vgpr_spill_count: 0
    .wavefront_size: 32
  - .args:
      - .offset:         0
        .size:           88
        .value_kind:     by_value
    .group_segment_fixed_size: 0
    .kernarg_segment_align: 8
    .kernarg_segment_size: 88
    .language:       OpenCL C
    .language_version:
      - 2
      - 0
    .max_flat_workgroup_size: 1024
    .name:           _ZN7rocprim17ROCPRIM_400000_NS6detail17trampoline_kernelINS0_14default_configENS1_35radix_sort_onesweep_config_selectorImNS0_10empty_typeEEEZZNS1_29radix_sort_onesweep_iterationIS3_Lb0EPKmPmPS5_SB_mNS0_19identity_decomposerENS1_16block_id_wrapperIjLb1EEEEE10hipError_tT1_PNSt15iterator_traitsISG_E10value_typeET2_T3_PNSH_ISM_E10value_typeET4_T5_PSR_SS_PNS1_23onesweep_lookback_stateEbbT6_jjT7_P12ihipStream_tbENKUlT_T0_SG_SL_E_clISA_SA_SB_SB_EEDaSZ_S10_SG_SL_EUlSZ_E_NS1_11comp_targetILNS1_3genE4ELNS1_11target_archE910ELNS1_3gpuE8ELNS1_3repE0EEENS1_47radix_sort_onesweep_sort_config_static_selectorELNS0_4arch9wavefront6targetE0EEEvSG_
    .private_segment_fixed_size: 0
    .sgpr_count:     0
    .sgpr_spill_count: 0
    .symbol:         _ZN7rocprim17ROCPRIM_400000_NS6detail17trampoline_kernelINS0_14default_configENS1_35radix_sort_onesweep_config_selectorImNS0_10empty_typeEEEZZNS1_29radix_sort_onesweep_iterationIS3_Lb0EPKmPmPS5_SB_mNS0_19identity_decomposerENS1_16block_id_wrapperIjLb1EEEEE10hipError_tT1_PNSt15iterator_traitsISG_E10value_typeET2_T3_PNSH_ISM_E10value_typeET4_T5_PSR_SS_PNS1_23onesweep_lookback_stateEbbT6_jjT7_P12ihipStream_tbENKUlT_T0_SG_SL_E_clISA_SA_SB_SB_EEDaSZ_S10_SG_SL_EUlSZ_E_NS1_11comp_targetILNS1_3genE4ELNS1_11target_archE910ELNS1_3gpuE8ELNS1_3repE0EEENS1_47radix_sort_onesweep_sort_config_static_selectorELNS0_4arch9wavefront6targetE0EEEvSG_.kd
    .uniform_work_group_size: 1
    .uses_dynamic_stack: false
    .vgpr_count:     0
    .vgpr_spill_count: 0
    .wavefront_size: 32
  - .args:
      - .offset:         0
        .size:           88
        .value_kind:     by_value
    .group_segment_fixed_size: 0
    .kernarg_segment_align: 8
    .kernarg_segment_size: 88
    .language:       OpenCL C
    .language_version:
      - 2
      - 0
    .max_flat_workgroup_size: 512
    .name:           _ZN7rocprim17ROCPRIM_400000_NS6detail17trampoline_kernelINS0_14default_configENS1_35radix_sort_onesweep_config_selectorImNS0_10empty_typeEEEZZNS1_29radix_sort_onesweep_iterationIS3_Lb0EPKmPmPS5_SB_mNS0_19identity_decomposerENS1_16block_id_wrapperIjLb1EEEEE10hipError_tT1_PNSt15iterator_traitsISG_E10value_typeET2_T3_PNSH_ISM_E10value_typeET4_T5_PSR_SS_PNS1_23onesweep_lookback_stateEbbT6_jjT7_P12ihipStream_tbENKUlT_T0_SG_SL_E_clISA_SA_SB_SB_EEDaSZ_S10_SG_SL_EUlSZ_E_NS1_11comp_targetILNS1_3genE3ELNS1_11target_archE908ELNS1_3gpuE7ELNS1_3repE0EEENS1_47radix_sort_onesweep_sort_config_static_selectorELNS0_4arch9wavefront6targetE0EEEvSG_
    .private_segment_fixed_size: 0
    .sgpr_count:     0
    .sgpr_spill_count: 0
    .symbol:         _ZN7rocprim17ROCPRIM_400000_NS6detail17trampoline_kernelINS0_14default_configENS1_35radix_sort_onesweep_config_selectorImNS0_10empty_typeEEEZZNS1_29radix_sort_onesweep_iterationIS3_Lb0EPKmPmPS5_SB_mNS0_19identity_decomposerENS1_16block_id_wrapperIjLb1EEEEE10hipError_tT1_PNSt15iterator_traitsISG_E10value_typeET2_T3_PNSH_ISM_E10value_typeET4_T5_PSR_SS_PNS1_23onesweep_lookback_stateEbbT6_jjT7_P12ihipStream_tbENKUlT_T0_SG_SL_E_clISA_SA_SB_SB_EEDaSZ_S10_SG_SL_EUlSZ_E_NS1_11comp_targetILNS1_3genE3ELNS1_11target_archE908ELNS1_3gpuE7ELNS1_3repE0EEENS1_47radix_sort_onesweep_sort_config_static_selectorELNS0_4arch9wavefront6targetE0EEEvSG_.kd
    .uniform_work_group_size: 1
    .uses_dynamic_stack: false
    .vgpr_count:     0
    .vgpr_spill_count: 0
    .wavefront_size: 32
  - .args:
      - .offset:         0
        .size:           88
        .value_kind:     by_value
    .group_segment_fixed_size: 0
    .kernarg_segment_align: 8
    .kernarg_segment_size: 88
    .language:       OpenCL C
    .language_version:
      - 2
      - 0
    .max_flat_workgroup_size: 512
    .name:           _ZN7rocprim17ROCPRIM_400000_NS6detail17trampoline_kernelINS0_14default_configENS1_35radix_sort_onesweep_config_selectorImNS0_10empty_typeEEEZZNS1_29radix_sort_onesweep_iterationIS3_Lb0EPKmPmPS5_SB_mNS0_19identity_decomposerENS1_16block_id_wrapperIjLb1EEEEE10hipError_tT1_PNSt15iterator_traitsISG_E10value_typeET2_T3_PNSH_ISM_E10value_typeET4_T5_PSR_SS_PNS1_23onesweep_lookback_stateEbbT6_jjT7_P12ihipStream_tbENKUlT_T0_SG_SL_E_clISA_SA_SB_SB_EEDaSZ_S10_SG_SL_EUlSZ_E_NS1_11comp_targetILNS1_3genE10ELNS1_11target_archE1201ELNS1_3gpuE5ELNS1_3repE0EEENS1_47radix_sort_onesweep_sort_config_static_selectorELNS0_4arch9wavefront6targetE0EEEvSG_
    .private_segment_fixed_size: 0
    .sgpr_count:     0
    .sgpr_spill_count: 0
    .symbol:         _ZN7rocprim17ROCPRIM_400000_NS6detail17trampoline_kernelINS0_14default_configENS1_35radix_sort_onesweep_config_selectorImNS0_10empty_typeEEEZZNS1_29radix_sort_onesweep_iterationIS3_Lb0EPKmPmPS5_SB_mNS0_19identity_decomposerENS1_16block_id_wrapperIjLb1EEEEE10hipError_tT1_PNSt15iterator_traitsISG_E10value_typeET2_T3_PNSH_ISM_E10value_typeET4_T5_PSR_SS_PNS1_23onesweep_lookback_stateEbbT6_jjT7_P12ihipStream_tbENKUlT_T0_SG_SL_E_clISA_SA_SB_SB_EEDaSZ_S10_SG_SL_EUlSZ_E_NS1_11comp_targetILNS1_3genE10ELNS1_11target_archE1201ELNS1_3gpuE5ELNS1_3repE0EEENS1_47radix_sort_onesweep_sort_config_static_selectorELNS0_4arch9wavefront6targetE0EEEvSG_.kd
    .uniform_work_group_size: 1
    .uses_dynamic_stack: false
    .vgpr_count:     0
    .vgpr_spill_count: 0
    .wavefront_size: 32
  - .args:
      - .offset:         0
        .size:           88
        .value_kind:     by_value
    .group_segment_fixed_size: 0
    .kernarg_segment_align: 8
    .kernarg_segment_size: 88
    .language:       OpenCL C
    .language_version:
      - 2
      - 0
    .max_flat_workgroup_size: 1024
    .name:           _ZN7rocprim17ROCPRIM_400000_NS6detail17trampoline_kernelINS0_14default_configENS1_35radix_sort_onesweep_config_selectorImNS0_10empty_typeEEEZZNS1_29radix_sort_onesweep_iterationIS3_Lb0EPKmPmPS5_SB_mNS0_19identity_decomposerENS1_16block_id_wrapperIjLb1EEEEE10hipError_tT1_PNSt15iterator_traitsISG_E10value_typeET2_T3_PNSH_ISM_E10value_typeET4_T5_PSR_SS_PNS1_23onesweep_lookback_stateEbbT6_jjT7_P12ihipStream_tbENKUlT_T0_SG_SL_E_clISA_SA_SB_SB_EEDaSZ_S10_SG_SL_EUlSZ_E_NS1_11comp_targetILNS1_3genE9ELNS1_11target_archE1100ELNS1_3gpuE3ELNS1_3repE0EEENS1_47radix_sort_onesweep_sort_config_static_selectorELNS0_4arch9wavefront6targetE0EEEvSG_
    .private_segment_fixed_size: 0
    .sgpr_count:     0
    .sgpr_spill_count: 0
    .symbol:         _ZN7rocprim17ROCPRIM_400000_NS6detail17trampoline_kernelINS0_14default_configENS1_35radix_sort_onesweep_config_selectorImNS0_10empty_typeEEEZZNS1_29radix_sort_onesweep_iterationIS3_Lb0EPKmPmPS5_SB_mNS0_19identity_decomposerENS1_16block_id_wrapperIjLb1EEEEE10hipError_tT1_PNSt15iterator_traitsISG_E10value_typeET2_T3_PNSH_ISM_E10value_typeET4_T5_PSR_SS_PNS1_23onesweep_lookback_stateEbbT6_jjT7_P12ihipStream_tbENKUlT_T0_SG_SL_E_clISA_SA_SB_SB_EEDaSZ_S10_SG_SL_EUlSZ_E_NS1_11comp_targetILNS1_3genE9ELNS1_11target_archE1100ELNS1_3gpuE3ELNS1_3repE0EEENS1_47radix_sort_onesweep_sort_config_static_selectorELNS0_4arch9wavefront6targetE0EEEvSG_.kd
    .uniform_work_group_size: 1
    .uses_dynamic_stack: false
    .vgpr_count:     0
    .vgpr_spill_count: 0
    .wavefront_size: 32
  - .args:
      - .offset:         0
        .size:           88
        .value_kind:     by_value
    .group_segment_fixed_size: 0
    .kernarg_segment_align: 8
    .kernarg_segment_size: 88
    .language:       OpenCL C
    .language_version:
      - 2
      - 0
    .max_flat_workgroup_size: 1024
    .name:           _ZN7rocprim17ROCPRIM_400000_NS6detail17trampoline_kernelINS0_14default_configENS1_35radix_sort_onesweep_config_selectorImNS0_10empty_typeEEEZZNS1_29radix_sort_onesweep_iterationIS3_Lb0EPKmPmPS5_SB_mNS0_19identity_decomposerENS1_16block_id_wrapperIjLb1EEEEE10hipError_tT1_PNSt15iterator_traitsISG_E10value_typeET2_T3_PNSH_ISM_E10value_typeET4_T5_PSR_SS_PNS1_23onesweep_lookback_stateEbbT6_jjT7_P12ihipStream_tbENKUlT_T0_SG_SL_E_clISA_SA_SB_SB_EEDaSZ_S10_SG_SL_EUlSZ_E_NS1_11comp_targetILNS1_3genE8ELNS1_11target_archE1030ELNS1_3gpuE2ELNS1_3repE0EEENS1_47radix_sort_onesweep_sort_config_static_selectorELNS0_4arch9wavefront6targetE0EEEvSG_
    .private_segment_fixed_size: 0
    .sgpr_count:     0
    .sgpr_spill_count: 0
    .symbol:         _ZN7rocprim17ROCPRIM_400000_NS6detail17trampoline_kernelINS0_14default_configENS1_35radix_sort_onesweep_config_selectorImNS0_10empty_typeEEEZZNS1_29radix_sort_onesweep_iterationIS3_Lb0EPKmPmPS5_SB_mNS0_19identity_decomposerENS1_16block_id_wrapperIjLb1EEEEE10hipError_tT1_PNSt15iterator_traitsISG_E10value_typeET2_T3_PNSH_ISM_E10value_typeET4_T5_PSR_SS_PNS1_23onesweep_lookback_stateEbbT6_jjT7_P12ihipStream_tbENKUlT_T0_SG_SL_E_clISA_SA_SB_SB_EEDaSZ_S10_SG_SL_EUlSZ_E_NS1_11comp_targetILNS1_3genE8ELNS1_11target_archE1030ELNS1_3gpuE2ELNS1_3repE0EEENS1_47radix_sort_onesweep_sort_config_static_selectorELNS0_4arch9wavefront6targetE0EEEvSG_.kd
    .uniform_work_group_size: 1
    .uses_dynamic_stack: false
    .vgpr_count:     0
    .vgpr_spill_count: 0
    .wavefront_size: 32
  - .args:
      - .offset:         0
        .size:           88
        .value_kind:     by_value
      - .offset:         88
        .size:           4
        .value_kind:     hidden_block_count_x
      - .offset:         92
        .size:           4
        .value_kind:     hidden_block_count_y
      - .offset:         96
        .size:           4
        .value_kind:     hidden_block_count_z
      - .offset:         100
        .size:           2
        .value_kind:     hidden_group_size_x
      - .offset:         102
        .size:           2
        .value_kind:     hidden_group_size_y
      - .offset:         104
        .size:           2
        .value_kind:     hidden_group_size_z
      - .offset:         106
        .size:           2
        .value_kind:     hidden_remainder_x
      - .offset:         108
        .size:           2
        .value_kind:     hidden_remainder_y
      - .offset:         110
        .size:           2
        .value_kind:     hidden_remainder_z
      - .offset:         128
        .size:           8
        .value_kind:     hidden_global_offset_x
      - .offset:         136
        .size:           8
        .value_kind:     hidden_global_offset_y
      - .offset:         144
        .size:           8
        .value_kind:     hidden_global_offset_z
      - .offset:         152
        .size:           2
        .value_kind:     hidden_grid_dims
    .group_segment_fixed_size: 18504
    .kernarg_segment_align: 8
    .kernarg_segment_size: 344
    .language:       OpenCL C
    .language_version:
      - 2
      - 0
    .max_flat_workgroup_size: 512
    .name:           _ZN7rocprim17ROCPRIM_400000_NS6detail17trampoline_kernelINS0_14default_configENS1_35radix_sort_onesweep_config_selectorImNS0_10empty_typeEEEZZNS1_29radix_sort_onesweep_iterationIS3_Lb0EPKmPmPS5_SB_mNS0_19identity_decomposerENS1_16block_id_wrapperIjLb0EEEEE10hipError_tT1_PNSt15iterator_traitsISG_E10value_typeET2_T3_PNSH_ISM_E10value_typeET4_T5_PSR_SS_PNS1_23onesweep_lookback_stateEbbT6_jjT7_P12ihipStream_tbENKUlT_T0_SG_SL_E_clIS9_SA_SB_SB_EEDaSZ_S10_SG_SL_EUlSZ_E_NS1_11comp_targetILNS1_3genE0ELNS1_11target_archE4294967295ELNS1_3gpuE0ELNS1_3repE0EEENS1_47radix_sort_onesweep_sort_config_static_selectorELNS0_4arch9wavefront6targetE0EEEvSG_
    .private_segment_fixed_size: 0
    .sgpr_count:     30
    .sgpr_spill_count: 0
    .symbol:         _ZN7rocprim17ROCPRIM_400000_NS6detail17trampoline_kernelINS0_14default_configENS1_35radix_sort_onesweep_config_selectorImNS0_10empty_typeEEEZZNS1_29radix_sort_onesweep_iterationIS3_Lb0EPKmPmPS5_SB_mNS0_19identity_decomposerENS1_16block_id_wrapperIjLb0EEEEE10hipError_tT1_PNSt15iterator_traitsISG_E10value_typeET2_T3_PNSH_ISM_E10value_typeET4_T5_PSR_SS_PNS1_23onesweep_lookback_stateEbbT6_jjT7_P12ihipStream_tbENKUlT_T0_SG_SL_E_clIS9_SA_SB_SB_EEDaSZ_S10_SG_SL_EUlSZ_E_NS1_11comp_targetILNS1_3genE0ELNS1_11target_archE4294967295ELNS1_3gpuE0ELNS1_3repE0EEENS1_47radix_sort_onesweep_sort_config_static_selectorELNS0_4arch9wavefront6targetE0EEEvSG_.kd
    .uniform_work_group_size: 1
    .uses_dynamic_stack: false
    .vgpr_count:     57
    .vgpr_spill_count: 0
    .wavefront_size: 32
  - .args:
      - .offset:         0
        .size:           88
        .value_kind:     by_value
    .group_segment_fixed_size: 0
    .kernarg_segment_align: 8
    .kernarg_segment_size: 88
    .language:       OpenCL C
    .language_version:
      - 2
      - 0
    .max_flat_workgroup_size: 512
    .name:           _ZN7rocprim17ROCPRIM_400000_NS6detail17trampoline_kernelINS0_14default_configENS1_35radix_sort_onesweep_config_selectorImNS0_10empty_typeEEEZZNS1_29radix_sort_onesweep_iterationIS3_Lb0EPKmPmPS5_SB_mNS0_19identity_decomposerENS1_16block_id_wrapperIjLb0EEEEE10hipError_tT1_PNSt15iterator_traitsISG_E10value_typeET2_T3_PNSH_ISM_E10value_typeET4_T5_PSR_SS_PNS1_23onesweep_lookback_stateEbbT6_jjT7_P12ihipStream_tbENKUlT_T0_SG_SL_E_clIS9_SA_SB_SB_EEDaSZ_S10_SG_SL_EUlSZ_E_NS1_11comp_targetILNS1_3genE6ELNS1_11target_archE950ELNS1_3gpuE13ELNS1_3repE0EEENS1_47radix_sort_onesweep_sort_config_static_selectorELNS0_4arch9wavefront6targetE0EEEvSG_
    .private_segment_fixed_size: 0
    .sgpr_count:     0
    .sgpr_spill_count: 0
    .symbol:         _ZN7rocprim17ROCPRIM_400000_NS6detail17trampoline_kernelINS0_14default_configENS1_35radix_sort_onesweep_config_selectorImNS0_10empty_typeEEEZZNS1_29radix_sort_onesweep_iterationIS3_Lb0EPKmPmPS5_SB_mNS0_19identity_decomposerENS1_16block_id_wrapperIjLb0EEEEE10hipError_tT1_PNSt15iterator_traitsISG_E10value_typeET2_T3_PNSH_ISM_E10value_typeET4_T5_PSR_SS_PNS1_23onesweep_lookback_stateEbbT6_jjT7_P12ihipStream_tbENKUlT_T0_SG_SL_E_clIS9_SA_SB_SB_EEDaSZ_S10_SG_SL_EUlSZ_E_NS1_11comp_targetILNS1_3genE6ELNS1_11target_archE950ELNS1_3gpuE13ELNS1_3repE0EEENS1_47radix_sort_onesweep_sort_config_static_selectorELNS0_4arch9wavefront6targetE0EEEvSG_.kd
    .uniform_work_group_size: 1
    .uses_dynamic_stack: false
    .vgpr_count:     0
    .vgpr_spill_count: 0
    .wavefront_size: 32
  - .args:
      - .offset:         0
        .size:           88
        .value_kind:     by_value
    .group_segment_fixed_size: 0
    .kernarg_segment_align: 8
    .kernarg_segment_size: 88
    .language:       OpenCL C
    .language_version:
      - 2
      - 0
    .max_flat_workgroup_size: 512
    .name:           _ZN7rocprim17ROCPRIM_400000_NS6detail17trampoline_kernelINS0_14default_configENS1_35radix_sort_onesweep_config_selectorImNS0_10empty_typeEEEZZNS1_29radix_sort_onesweep_iterationIS3_Lb0EPKmPmPS5_SB_mNS0_19identity_decomposerENS1_16block_id_wrapperIjLb0EEEEE10hipError_tT1_PNSt15iterator_traitsISG_E10value_typeET2_T3_PNSH_ISM_E10value_typeET4_T5_PSR_SS_PNS1_23onesweep_lookback_stateEbbT6_jjT7_P12ihipStream_tbENKUlT_T0_SG_SL_E_clIS9_SA_SB_SB_EEDaSZ_S10_SG_SL_EUlSZ_E_NS1_11comp_targetILNS1_3genE5ELNS1_11target_archE942ELNS1_3gpuE9ELNS1_3repE0EEENS1_47radix_sort_onesweep_sort_config_static_selectorELNS0_4arch9wavefront6targetE0EEEvSG_
    .private_segment_fixed_size: 0
    .sgpr_count:     0
    .sgpr_spill_count: 0
    .symbol:         _ZN7rocprim17ROCPRIM_400000_NS6detail17trampoline_kernelINS0_14default_configENS1_35radix_sort_onesweep_config_selectorImNS0_10empty_typeEEEZZNS1_29radix_sort_onesweep_iterationIS3_Lb0EPKmPmPS5_SB_mNS0_19identity_decomposerENS1_16block_id_wrapperIjLb0EEEEE10hipError_tT1_PNSt15iterator_traitsISG_E10value_typeET2_T3_PNSH_ISM_E10value_typeET4_T5_PSR_SS_PNS1_23onesweep_lookback_stateEbbT6_jjT7_P12ihipStream_tbENKUlT_T0_SG_SL_E_clIS9_SA_SB_SB_EEDaSZ_S10_SG_SL_EUlSZ_E_NS1_11comp_targetILNS1_3genE5ELNS1_11target_archE942ELNS1_3gpuE9ELNS1_3repE0EEENS1_47radix_sort_onesweep_sort_config_static_selectorELNS0_4arch9wavefront6targetE0EEEvSG_.kd
    .uniform_work_group_size: 1
    .uses_dynamic_stack: false
    .vgpr_count:     0
    .vgpr_spill_count: 0
    .wavefront_size: 32
  - .args:
      - .offset:         0
        .size:           88
        .value_kind:     by_value
    .group_segment_fixed_size: 0
    .kernarg_segment_align: 8
    .kernarg_segment_size: 88
    .language:       OpenCL C
    .language_version:
      - 2
      - 0
    .max_flat_workgroup_size: 512
    .name:           _ZN7rocprim17ROCPRIM_400000_NS6detail17trampoline_kernelINS0_14default_configENS1_35radix_sort_onesweep_config_selectorImNS0_10empty_typeEEEZZNS1_29radix_sort_onesweep_iterationIS3_Lb0EPKmPmPS5_SB_mNS0_19identity_decomposerENS1_16block_id_wrapperIjLb0EEEEE10hipError_tT1_PNSt15iterator_traitsISG_E10value_typeET2_T3_PNSH_ISM_E10value_typeET4_T5_PSR_SS_PNS1_23onesweep_lookback_stateEbbT6_jjT7_P12ihipStream_tbENKUlT_T0_SG_SL_E_clIS9_SA_SB_SB_EEDaSZ_S10_SG_SL_EUlSZ_E_NS1_11comp_targetILNS1_3genE2ELNS1_11target_archE906ELNS1_3gpuE6ELNS1_3repE0EEENS1_47radix_sort_onesweep_sort_config_static_selectorELNS0_4arch9wavefront6targetE0EEEvSG_
    .private_segment_fixed_size: 0
    .sgpr_count:     0
    .sgpr_spill_count: 0
    .symbol:         _ZN7rocprim17ROCPRIM_400000_NS6detail17trampoline_kernelINS0_14default_configENS1_35radix_sort_onesweep_config_selectorImNS0_10empty_typeEEEZZNS1_29radix_sort_onesweep_iterationIS3_Lb0EPKmPmPS5_SB_mNS0_19identity_decomposerENS1_16block_id_wrapperIjLb0EEEEE10hipError_tT1_PNSt15iterator_traitsISG_E10value_typeET2_T3_PNSH_ISM_E10value_typeET4_T5_PSR_SS_PNS1_23onesweep_lookback_stateEbbT6_jjT7_P12ihipStream_tbENKUlT_T0_SG_SL_E_clIS9_SA_SB_SB_EEDaSZ_S10_SG_SL_EUlSZ_E_NS1_11comp_targetILNS1_3genE2ELNS1_11target_archE906ELNS1_3gpuE6ELNS1_3repE0EEENS1_47radix_sort_onesweep_sort_config_static_selectorELNS0_4arch9wavefront6targetE0EEEvSG_.kd
    .uniform_work_group_size: 1
    .uses_dynamic_stack: false
    .vgpr_count:     0
    .vgpr_spill_count: 0
    .wavefront_size: 32
  - .args:
      - .offset:         0
        .size:           88
        .value_kind:     by_value
    .group_segment_fixed_size: 0
    .kernarg_segment_align: 8
    .kernarg_segment_size: 88
    .language:       OpenCL C
    .language_version:
      - 2
      - 0
    .max_flat_workgroup_size: 1024
    .name:           _ZN7rocprim17ROCPRIM_400000_NS6detail17trampoline_kernelINS0_14default_configENS1_35radix_sort_onesweep_config_selectorImNS0_10empty_typeEEEZZNS1_29radix_sort_onesweep_iterationIS3_Lb0EPKmPmPS5_SB_mNS0_19identity_decomposerENS1_16block_id_wrapperIjLb0EEEEE10hipError_tT1_PNSt15iterator_traitsISG_E10value_typeET2_T3_PNSH_ISM_E10value_typeET4_T5_PSR_SS_PNS1_23onesweep_lookback_stateEbbT6_jjT7_P12ihipStream_tbENKUlT_T0_SG_SL_E_clIS9_SA_SB_SB_EEDaSZ_S10_SG_SL_EUlSZ_E_NS1_11comp_targetILNS1_3genE4ELNS1_11target_archE910ELNS1_3gpuE8ELNS1_3repE0EEENS1_47radix_sort_onesweep_sort_config_static_selectorELNS0_4arch9wavefront6targetE0EEEvSG_
    .private_segment_fixed_size: 0
    .sgpr_count:     0
    .sgpr_spill_count: 0
    .symbol:         _ZN7rocprim17ROCPRIM_400000_NS6detail17trampoline_kernelINS0_14default_configENS1_35radix_sort_onesweep_config_selectorImNS0_10empty_typeEEEZZNS1_29radix_sort_onesweep_iterationIS3_Lb0EPKmPmPS5_SB_mNS0_19identity_decomposerENS1_16block_id_wrapperIjLb0EEEEE10hipError_tT1_PNSt15iterator_traitsISG_E10value_typeET2_T3_PNSH_ISM_E10value_typeET4_T5_PSR_SS_PNS1_23onesweep_lookback_stateEbbT6_jjT7_P12ihipStream_tbENKUlT_T0_SG_SL_E_clIS9_SA_SB_SB_EEDaSZ_S10_SG_SL_EUlSZ_E_NS1_11comp_targetILNS1_3genE4ELNS1_11target_archE910ELNS1_3gpuE8ELNS1_3repE0EEENS1_47radix_sort_onesweep_sort_config_static_selectorELNS0_4arch9wavefront6targetE0EEEvSG_.kd
    .uniform_work_group_size: 1
    .uses_dynamic_stack: false
    .vgpr_count:     0
    .vgpr_spill_count: 0
    .wavefront_size: 32
  - .args:
      - .offset:         0
        .size:           88
        .value_kind:     by_value
    .group_segment_fixed_size: 0
    .kernarg_segment_align: 8
    .kernarg_segment_size: 88
    .language:       OpenCL C
    .language_version:
      - 2
      - 0
    .max_flat_workgroup_size: 512
    .name:           _ZN7rocprim17ROCPRIM_400000_NS6detail17trampoline_kernelINS0_14default_configENS1_35radix_sort_onesweep_config_selectorImNS0_10empty_typeEEEZZNS1_29radix_sort_onesweep_iterationIS3_Lb0EPKmPmPS5_SB_mNS0_19identity_decomposerENS1_16block_id_wrapperIjLb0EEEEE10hipError_tT1_PNSt15iterator_traitsISG_E10value_typeET2_T3_PNSH_ISM_E10value_typeET4_T5_PSR_SS_PNS1_23onesweep_lookback_stateEbbT6_jjT7_P12ihipStream_tbENKUlT_T0_SG_SL_E_clIS9_SA_SB_SB_EEDaSZ_S10_SG_SL_EUlSZ_E_NS1_11comp_targetILNS1_3genE3ELNS1_11target_archE908ELNS1_3gpuE7ELNS1_3repE0EEENS1_47radix_sort_onesweep_sort_config_static_selectorELNS0_4arch9wavefront6targetE0EEEvSG_
    .private_segment_fixed_size: 0
    .sgpr_count:     0
    .sgpr_spill_count: 0
    .symbol:         _ZN7rocprim17ROCPRIM_400000_NS6detail17trampoline_kernelINS0_14default_configENS1_35radix_sort_onesweep_config_selectorImNS0_10empty_typeEEEZZNS1_29radix_sort_onesweep_iterationIS3_Lb0EPKmPmPS5_SB_mNS0_19identity_decomposerENS1_16block_id_wrapperIjLb0EEEEE10hipError_tT1_PNSt15iterator_traitsISG_E10value_typeET2_T3_PNSH_ISM_E10value_typeET4_T5_PSR_SS_PNS1_23onesweep_lookback_stateEbbT6_jjT7_P12ihipStream_tbENKUlT_T0_SG_SL_E_clIS9_SA_SB_SB_EEDaSZ_S10_SG_SL_EUlSZ_E_NS1_11comp_targetILNS1_3genE3ELNS1_11target_archE908ELNS1_3gpuE7ELNS1_3repE0EEENS1_47radix_sort_onesweep_sort_config_static_selectorELNS0_4arch9wavefront6targetE0EEEvSG_.kd
    .uniform_work_group_size: 1
    .uses_dynamic_stack: false
    .vgpr_count:     0
    .vgpr_spill_count: 0
    .wavefront_size: 32
  - .args:
      - .offset:         0
        .size:           88
        .value_kind:     by_value
    .group_segment_fixed_size: 0
    .kernarg_segment_align: 8
    .kernarg_segment_size: 88
    .language:       OpenCL C
    .language_version:
      - 2
      - 0
    .max_flat_workgroup_size: 512
    .name:           _ZN7rocprim17ROCPRIM_400000_NS6detail17trampoline_kernelINS0_14default_configENS1_35radix_sort_onesweep_config_selectorImNS0_10empty_typeEEEZZNS1_29radix_sort_onesweep_iterationIS3_Lb0EPKmPmPS5_SB_mNS0_19identity_decomposerENS1_16block_id_wrapperIjLb0EEEEE10hipError_tT1_PNSt15iterator_traitsISG_E10value_typeET2_T3_PNSH_ISM_E10value_typeET4_T5_PSR_SS_PNS1_23onesweep_lookback_stateEbbT6_jjT7_P12ihipStream_tbENKUlT_T0_SG_SL_E_clIS9_SA_SB_SB_EEDaSZ_S10_SG_SL_EUlSZ_E_NS1_11comp_targetILNS1_3genE10ELNS1_11target_archE1201ELNS1_3gpuE5ELNS1_3repE0EEENS1_47radix_sort_onesweep_sort_config_static_selectorELNS0_4arch9wavefront6targetE0EEEvSG_
    .private_segment_fixed_size: 0
    .sgpr_count:     0
    .sgpr_spill_count: 0
    .symbol:         _ZN7rocprim17ROCPRIM_400000_NS6detail17trampoline_kernelINS0_14default_configENS1_35radix_sort_onesweep_config_selectorImNS0_10empty_typeEEEZZNS1_29radix_sort_onesweep_iterationIS3_Lb0EPKmPmPS5_SB_mNS0_19identity_decomposerENS1_16block_id_wrapperIjLb0EEEEE10hipError_tT1_PNSt15iterator_traitsISG_E10value_typeET2_T3_PNSH_ISM_E10value_typeET4_T5_PSR_SS_PNS1_23onesweep_lookback_stateEbbT6_jjT7_P12ihipStream_tbENKUlT_T0_SG_SL_E_clIS9_SA_SB_SB_EEDaSZ_S10_SG_SL_EUlSZ_E_NS1_11comp_targetILNS1_3genE10ELNS1_11target_archE1201ELNS1_3gpuE5ELNS1_3repE0EEENS1_47radix_sort_onesweep_sort_config_static_selectorELNS0_4arch9wavefront6targetE0EEEvSG_.kd
    .uniform_work_group_size: 1
    .uses_dynamic_stack: false
    .vgpr_count:     0
    .vgpr_spill_count: 0
    .wavefront_size: 32
  - .args:
      - .offset:         0
        .size:           88
        .value_kind:     by_value
    .group_segment_fixed_size: 0
    .kernarg_segment_align: 8
    .kernarg_segment_size: 88
    .language:       OpenCL C
    .language_version:
      - 2
      - 0
    .max_flat_workgroup_size: 1024
    .name:           _ZN7rocprim17ROCPRIM_400000_NS6detail17trampoline_kernelINS0_14default_configENS1_35radix_sort_onesweep_config_selectorImNS0_10empty_typeEEEZZNS1_29radix_sort_onesweep_iterationIS3_Lb0EPKmPmPS5_SB_mNS0_19identity_decomposerENS1_16block_id_wrapperIjLb0EEEEE10hipError_tT1_PNSt15iterator_traitsISG_E10value_typeET2_T3_PNSH_ISM_E10value_typeET4_T5_PSR_SS_PNS1_23onesweep_lookback_stateEbbT6_jjT7_P12ihipStream_tbENKUlT_T0_SG_SL_E_clIS9_SA_SB_SB_EEDaSZ_S10_SG_SL_EUlSZ_E_NS1_11comp_targetILNS1_3genE9ELNS1_11target_archE1100ELNS1_3gpuE3ELNS1_3repE0EEENS1_47radix_sort_onesweep_sort_config_static_selectorELNS0_4arch9wavefront6targetE0EEEvSG_
    .private_segment_fixed_size: 0
    .sgpr_count:     0
    .sgpr_spill_count: 0
    .symbol:         _ZN7rocprim17ROCPRIM_400000_NS6detail17trampoline_kernelINS0_14default_configENS1_35radix_sort_onesweep_config_selectorImNS0_10empty_typeEEEZZNS1_29radix_sort_onesweep_iterationIS3_Lb0EPKmPmPS5_SB_mNS0_19identity_decomposerENS1_16block_id_wrapperIjLb0EEEEE10hipError_tT1_PNSt15iterator_traitsISG_E10value_typeET2_T3_PNSH_ISM_E10value_typeET4_T5_PSR_SS_PNS1_23onesweep_lookback_stateEbbT6_jjT7_P12ihipStream_tbENKUlT_T0_SG_SL_E_clIS9_SA_SB_SB_EEDaSZ_S10_SG_SL_EUlSZ_E_NS1_11comp_targetILNS1_3genE9ELNS1_11target_archE1100ELNS1_3gpuE3ELNS1_3repE0EEENS1_47radix_sort_onesweep_sort_config_static_selectorELNS0_4arch9wavefront6targetE0EEEvSG_.kd
    .uniform_work_group_size: 1
    .uses_dynamic_stack: false
    .vgpr_count:     0
    .vgpr_spill_count: 0
    .wavefront_size: 32
  - .args:
      - .offset:         0
        .size:           88
        .value_kind:     by_value
    .group_segment_fixed_size: 0
    .kernarg_segment_align: 8
    .kernarg_segment_size: 88
    .language:       OpenCL C
    .language_version:
      - 2
      - 0
    .max_flat_workgroup_size: 1024
    .name:           _ZN7rocprim17ROCPRIM_400000_NS6detail17trampoline_kernelINS0_14default_configENS1_35radix_sort_onesweep_config_selectorImNS0_10empty_typeEEEZZNS1_29radix_sort_onesweep_iterationIS3_Lb0EPKmPmPS5_SB_mNS0_19identity_decomposerENS1_16block_id_wrapperIjLb0EEEEE10hipError_tT1_PNSt15iterator_traitsISG_E10value_typeET2_T3_PNSH_ISM_E10value_typeET4_T5_PSR_SS_PNS1_23onesweep_lookback_stateEbbT6_jjT7_P12ihipStream_tbENKUlT_T0_SG_SL_E_clIS9_SA_SB_SB_EEDaSZ_S10_SG_SL_EUlSZ_E_NS1_11comp_targetILNS1_3genE8ELNS1_11target_archE1030ELNS1_3gpuE2ELNS1_3repE0EEENS1_47radix_sort_onesweep_sort_config_static_selectorELNS0_4arch9wavefront6targetE0EEEvSG_
    .private_segment_fixed_size: 0
    .sgpr_count:     0
    .sgpr_spill_count: 0
    .symbol:         _ZN7rocprim17ROCPRIM_400000_NS6detail17trampoline_kernelINS0_14default_configENS1_35radix_sort_onesweep_config_selectorImNS0_10empty_typeEEEZZNS1_29radix_sort_onesweep_iterationIS3_Lb0EPKmPmPS5_SB_mNS0_19identity_decomposerENS1_16block_id_wrapperIjLb0EEEEE10hipError_tT1_PNSt15iterator_traitsISG_E10value_typeET2_T3_PNSH_ISM_E10value_typeET4_T5_PSR_SS_PNS1_23onesweep_lookback_stateEbbT6_jjT7_P12ihipStream_tbENKUlT_T0_SG_SL_E_clIS9_SA_SB_SB_EEDaSZ_S10_SG_SL_EUlSZ_E_NS1_11comp_targetILNS1_3genE8ELNS1_11target_archE1030ELNS1_3gpuE2ELNS1_3repE0EEENS1_47radix_sort_onesweep_sort_config_static_selectorELNS0_4arch9wavefront6targetE0EEEvSG_.kd
    .uniform_work_group_size: 1
    .uses_dynamic_stack: false
    .vgpr_count:     0
    .vgpr_spill_count: 0
    .wavefront_size: 32
  - .args:
      - .offset:         0
        .size:           88
        .value_kind:     by_value
      - .offset:         88
        .size:           4
        .value_kind:     hidden_block_count_x
      - .offset:         92
        .size:           4
        .value_kind:     hidden_block_count_y
      - .offset:         96
        .size:           4
        .value_kind:     hidden_block_count_z
      - .offset:         100
        .size:           2
        .value_kind:     hidden_group_size_x
      - .offset:         102
        .size:           2
        .value_kind:     hidden_group_size_y
      - .offset:         104
        .size:           2
        .value_kind:     hidden_group_size_z
      - .offset:         106
        .size:           2
        .value_kind:     hidden_remainder_x
      - .offset:         108
        .size:           2
        .value_kind:     hidden_remainder_y
      - .offset:         110
        .size:           2
        .value_kind:     hidden_remainder_z
      - .offset:         128
        .size:           8
        .value_kind:     hidden_global_offset_x
      - .offset:         136
        .size:           8
        .value_kind:     hidden_global_offset_y
      - .offset:         144
        .size:           8
        .value_kind:     hidden_global_offset_z
      - .offset:         152
        .size:           2
        .value_kind:     hidden_grid_dims
    .group_segment_fixed_size: 18504
    .kernarg_segment_align: 8
    .kernarg_segment_size: 344
    .language:       OpenCL C
    .language_version:
      - 2
      - 0
    .max_flat_workgroup_size: 512
    .name:           _ZN7rocprim17ROCPRIM_400000_NS6detail17trampoline_kernelINS0_14default_configENS1_35radix_sort_onesweep_config_selectorImNS0_10empty_typeEEEZZNS1_29radix_sort_onesweep_iterationIS3_Lb0EPKmPmPS5_SB_mNS0_19identity_decomposerENS1_16block_id_wrapperIjLb0EEEEE10hipError_tT1_PNSt15iterator_traitsISG_E10value_typeET2_T3_PNSH_ISM_E10value_typeET4_T5_PSR_SS_PNS1_23onesweep_lookback_stateEbbT6_jjT7_P12ihipStream_tbENKUlT_T0_SG_SL_E_clISA_SA_SB_SB_EEDaSZ_S10_SG_SL_EUlSZ_E_NS1_11comp_targetILNS1_3genE0ELNS1_11target_archE4294967295ELNS1_3gpuE0ELNS1_3repE0EEENS1_47radix_sort_onesweep_sort_config_static_selectorELNS0_4arch9wavefront6targetE0EEEvSG_
    .private_segment_fixed_size: 0
    .sgpr_count:     30
    .sgpr_spill_count: 0
    .symbol:         _ZN7rocprim17ROCPRIM_400000_NS6detail17trampoline_kernelINS0_14default_configENS1_35radix_sort_onesweep_config_selectorImNS0_10empty_typeEEEZZNS1_29radix_sort_onesweep_iterationIS3_Lb0EPKmPmPS5_SB_mNS0_19identity_decomposerENS1_16block_id_wrapperIjLb0EEEEE10hipError_tT1_PNSt15iterator_traitsISG_E10value_typeET2_T3_PNSH_ISM_E10value_typeET4_T5_PSR_SS_PNS1_23onesweep_lookback_stateEbbT6_jjT7_P12ihipStream_tbENKUlT_T0_SG_SL_E_clISA_SA_SB_SB_EEDaSZ_S10_SG_SL_EUlSZ_E_NS1_11comp_targetILNS1_3genE0ELNS1_11target_archE4294967295ELNS1_3gpuE0ELNS1_3repE0EEENS1_47radix_sort_onesweep_sort_config_static_selectorELNS0_4arch9wavefront6targetE0EEEvSG_.kd
    .uniform_work_group_size: 1
    .uses_dynamic_stack: false
    .vgpr_count:     57
    .vgpr_spill_count: 0
    .wavefront_size: 32
  - .args:
      - .offset:         0
        .size:           88
        .value_kind:     by_value
    .group_segment_fixed_size: 0
    .kernarg_segment_align: 8
    .kernarg_segment_size: 88
    .language:       OpenCL C
    .language_version:
      - 2
      - 0
    .max_flat_workgroup_size: 512
    .name:           _ZN7rocprim17ROCPRIM_400000_NS6detail17trampoline_kernelINS0_14default_configENS1_35radix_sort_onesweep_config_selectorImNS0_10empty_typeEEEZZNS1_29radix_sort_onesweep_iterationIS3_Lb0EPKmPmPS5_SB_mNS0_19identity_decomposerENS1_16block_id_wrapperIjLb0EEEEE10hipError_tT1_PNSt15iterator_traitsISG_E10value_typeET2_T3_PNSH_ISM_E10value_typeET4_T5_PSR_SS_PNS1_23onesweep_lookback_stateEbbT6_jjT7_P12ihipStream_tbENKUlT_T0_SG_SL_E_clISA_SA_SB_SB_EEDaSZ_S10_SG_SL_EUlSZ_E_NS1_11comp_targetILNS1_3genE6ELNS1_11target_archE950ELNS1_3gpuE13ELNS1_3repE0EEENS1_47radix_sort_onesweep_sort_config_static_selectorELNS0_4arch9wavefront6targetE0EEEvSG_
    .private_segment_fixed_size: 0
    .sgpr_count:     0
    .sgpr_spill_count: 0
    .symbol:         _ZN7rocprim17ROCPRIM_400000_NS6detail17trampoline_kernelINS0_14default_configENS1_35radix_sort_onesweep_config_selectorImNS0_10empty_typeEEEZZNS1_29radix_sort_onesweep_iterationIS3_Lb0EPKmPmPS5_SB_mNS0_19identity_decomposerENS1_16block_id_wrapperIjLb0EEEEE10hipError_tT1_PNSt15iterator_traitsISG_E10value_typeET2_T3_PNSH_ISM_E10value_typeET4_T5_PSR_SS_PNS1_23onesweep_lookback_stateEbbT6_jjT7_P12ihipStream_tbENKUlT_T0_SG_SL_E_clISA_SA_SB_SB_EEDaSZ_S10_SG_SL_EUlSZ_E_NS1_11comp_targetILNS1_3genE6ELNS1_11target_archE950ELNS1_3gpuE13ELNS1_3repE0EEENS1_47radix_sort_onesweep_sort_config_static_selectorELNS0_4arch9wavefront6targetE0EEEvSG_.kd
    .uniform_work_group_size: 1
    .uses_dynamic_stack: false
    .vgpr_count:     0
    .vgpr_spill_count: 0
    .wavefront_size: 32
  - .args:
      - .offset:         0
        .size:           88
        .value_kind:     by_value
    .group_segment_fixed_size: 0
    .kernarg_segment_align: 8
    .kernarg_segment_size: 88
    .language:       OpenCL C
    .language_version:
      - 2
      - 0
    .max_flat_workgroup_size: 512
    .name:           _ZN7rocprim17ROCPRIM_400000_NS6detail17trampoline_kernelINS0_14default_configENS1_35radix_sort_onesweep_config_selectorImNS0_10empty_typeEEEZZNS1_29radix_sort_onesweep_iterationIS3_Lb0EPKmPmPS5_SB_mNS0_19identity_decomposerENS1_16block_id_wrapperIjLb0EEEEE10hipError_tT1_PNSt15iterator_traitsISG_E10value_typeET2_T3_PNSH_ISM_E10value_typeET4_T5_PSR_SS_PNS1_23onesweep_lookback_stateEbbT6_jjT7_P12ihipStream_tbENKUlT_T0_SG_SL_E_clISA_SA_SB_SB_EEDaSZ_S10_SG_SL_EUlSZ_E_NS1_11comp_targetILNS1_3genE5ELNS1_11target_archE942ELNS1_3gpuE9ELNS1_3repE0EEENS1_47radix_sort_onesweep_sort_config_static_selectorELNS0_4arch9wavefront6targetE0EEEvSG_
    .private_segment_fixed_size: 0
    .sgpr_count:     0
    .sgpr_spill_count: 0
    .symbol:         _ZN7rocprim17ROCPRIM_400000_NS6detail17trampoline_kernelINS0_14default_configENS1_35radix_sort_onesweep_config_selectorImNS0_10empty_typeEEEZZNS1_29radix_sort_onesweep_iterationIS3_Lb0EPKmPmPS5_SB_mNS0_19identity_decomposerENS1_16block_id_wrapperIjLb0EEEEE10hipError_tT1_PNSt15iterator_traitsISG_E10value_typeET2_T3_PNSH_ISM_E10value_typeET4_T5_PSR_SS_PNS1_23onesweep_lookback_stateEbbT6_jjT7_P12ihipStream_tbENKUlT_T0_SG_SL_E_clISA_SA_SB_SB_EEDaSZ_S10_SG_SL_EUlSZ_E_NS1_11comp_targetILNS1_3genE5ELNS1_11target_archE942ELNS1_3gpuE9ELNS1_3repE0EEENS1_47radix_sort_onesweep_sort_config_static_selectorELNS0_4arch9wavefront6targetE0EEEvSG_.kd
    .uniform_work_group_size: 1
    .uses_dynamic_stack: false
    .vgpr_count:     0
    .vgpr_spill_count: 0
    .wavefront_size: 32
  - .args:
      - .offset:         0
        .size:           88
        .value_kind:     by_value
    .group_segment_fixed_size: 0
    .kernarg_segment_align: 8
    .kernarg_segment_size: 88
    .language:       OpenCL C
    .language_version:
      - 2
      - 0
    .max_flat_workgroup_size: 512
    .name:           _ZN7rocprim17ROCPRIM_400000_NS6detail17trampoline_kernelINS0_14default_configENS1_35radix_sort_onesweep_config_selectorImNS0_10empty_typeEEEZZNS1_29radix_sort_onesweep_iterationIS3_Lb0EPKmPmPS5_SB_mNS0_19identity_decomposerENS1_16block_id_wrapperIjLb0EEEEE10hipError_tT1_PNSt15iterator_traitsISG_E10value_typeET2_T3_PNSH_ISM_E10value_typeET4_T5_PSR_SS_PNS1_23onesweep_lookback_stateEbbT6_jjT7_P12ihipStream_tbENKUlT_T0_SG_SL_E_clISA_SA_SB_SB_EEDaSZ_S10_SG_SL_EUlSZ_E_NS1_11comp_targetILNS1_3genE2ELNS1_11target_archE906ELNS1_3gpuE6ELNS1_3repE0EEENS1_47radix_sort_onesweep_sort_config_static_selectorELNS0_4arch9wavefront6targetE0EEEvSG_
    .private_segment_fixed_size: 0
    .sgpr_count:     0
    .sgpr_spill_count: 0
    .symbol:         _ZN7rocprim17ROCPRIM_400000_NS6detail17trampoline_kernelINS0_14default_configENS1_35radix_sort_onesweep_config_selectorImNS0_10empty_typeEEEZZNS1_29radix_sort_onesweep_iterationIS3_Lb0EPKmPmPS5_SB_mNS0_19identity_decomposerENS1_16block_id_wrapperIjLb0EEEEE10hipError_tT1_PNSt15iterator_traitsISG_E10value_typeET2_T3_PNSH_ISM_E10value_typeET4_T5_PSR_SS_PNS1_23onesweep_lookback_stateEbbT6_jjT7_P12ihipStream_tbENKUlT_T0_SG_SL_E_clISA_SA_SB_SB_EEDaSZ_S10_SG_SL_EUlSZ_E_NS1_11comp_targetILNS1_3genE2ELNS1_11target_archE906ELNS1_3gpuE6ELNS1_3repE0EEENS1_47radix_sort_onesweep_sort_config_static_selectorELNS0_4arch9wavefront6targetE0EEEvSG_.kd
    .uniform_work_group_size: 1
    .uses_dynamic_stack: false
    .vgpr_count:     0
    .vgpr_spill_count: 0
    .wavefront_size: 32
  - .args:
      - .offset:         0
        .size:           88
        .value_kind:     by_value
    .group_segment_fixed_size: 0
    .kernarg_segment_align: 8
    .kernarg_segment_size: 88
    .language:       OpenCL C
    .language_version:
      - 2
      - 0
    .max_flat_workgroup_size: 1024
    .name:           _ZN7rocprim17ROCPRIM_400000_NS6detail17trampoline_kernelINS0_14default_configENS1_35radix_sort_onesweep_config_selectorImNS0_10empty_typeEEEZZNS1_29radix_sort_onesweep_iterationIS3_Lb0EPKmPmPS5_SB_mNS0_19identity_decomposerENS1_16block_id_wrapperIjLb0EEEEE10hipError_tT1_PNSt15iterator_traitsISG_E10value_typeET2_T3_PNSH_ISM_E10value_typeET4_T5_PSR_SS_PNS1_23onesweep_lookback_stateEbbT6_jjT7_P12ihipStream_tbENKUlT_T0_SG_SL_E_clISA_SA_SB_SB_EEDaSZ_S10_SG_SL_EUlSZ_E_NS1_11comp_targetILNS1_3genE4ELNS1_11target_archE910ELNS1_3gpuE8ELNS1_3repE0EEENS1_47radix_sort_onesweep_sort_config_static_selectorELNS0_4arch9wavefront6targetE0EEEvSG_
    .private_segment_fixed_size: 0
    .sgpr_count:     0
    .sgpr_spill_count: 0
    .symbol:         _ZN7rocprim17ROCPRIM_400000_NS6detail17trampoline_kernelINS0_14default_configENS1_35radix_sort_onesweep_config_selectorImNS0_10empty_typeEEEZZNS1_29radix_sort_onesweep_iterationIS3_Lb0EPKmPmPS5_SB_mNS0_19identity_decomposerENS1_16block_id_wrapperIjLb0EEEEE10hipError_tT1_PNSt15iterator_traitsISG_E10value_typeET2_T3_PNSH_ISM_E10value_typeET4_T5_PSR_SS_PNS1_23onesweep_lookback_stateEbbT6_jjT7_P12ihipStream_tbENKUlT_T0_SG_SL_E_clISA_SA_SB_SB_EEDaSZ_S10_SG_SL_EUlSZ_E_NS1_11comp_targetILNS1_3genE4ELNS1_11target_archE910ELNS1_3gpuE8ELNS1_3repE0EEENS1_47radix_sort_onesweep_sort_config_static_selectorELNS0_4arch9wavefront6targetE0EEEvSG_.kd
    .uniform_work_group_size: 1
    .uses_dynamic_stack: false
    .vgpr_count:     0
    .vgpr_spill_count: 0
    .wavefront_size: 32
  - .args:
      - .offset:         0
        .size:           88
        .value_kind:     by_value
    .group_segment_fixed_size: 0
    .kernarg_segment_align: 8
    .kernarg_segment_size: 88
    .language:       OpenCL C
    .language_version:
      - 2
      - 0
    .max_flat_workgroup_size: 512
    .name:           _ZN7rocprim17ROCPRIM_400000_NS6detail17trampoline_kernelINS0_14default_configENS1_35radix_sort_onesweep_config_selectorImNS0_10empty_typeEEEZZNS1_29radix_sort_onesweep_iterationIS3_Lb0EPKmPmPS5_SB_mNS0_19identity_decomposerENS1_16block_id_wrapperIjLb0EEEEE10hipError_tT1_PNSt15iterator_traitsISG_E10value_typeET2_T3_PNSH_ISM_E10value_typeET4_T5_PSR_SS_PNS1_23onesweep_lookback_stateEbbT6_jjT7_P12ihipStream_tbENKUlT_T0_SG_SL_E_clISA_SA_SB_SB_EEDaSZ_S10_SG_SL_EUlSZ_E_NS1_11comp_targetILNS1_3genE3ELNS1_11target_archE908ELNS1_3gpuE7ELNS1_3repE0EEENS1_47radix_sort_onesweep_sort_config_static_selectorELNS0_4arch9wavefront6targetE0EEEvSG_
    .private_segment_fixed_size: 0
    .sgpr_count:     0
    .sgpr_spill_count: 0
    .symbol:         _ZN7rocprim17ROCPRIM_400000_NS6detail17trampoline_kernelINS0_14default_configENS1_35radix_sort_onesweep_config_selectorImNS0_10empty_typeEEEZZNS1_29radix_sort_onesweep_iterationIS3_Lb0EPKmPmPS5_SB_mNS0_19identity_decomposerENS1_16block_id_wrapperIjLb0EEEEE10hipError_tT1_PNSt15iterator_traitsISG_E10value_typeET2_T3_PNSH_ISM_E10value_typeET4_T5_PSR_SS_PNS1_23onesweep_lookback_stateEbbT6_jjT7_P12ihipStream_tbENKUlT_T0_SG_SL_E_clISA_SA_SB_SB_EEDaSZ_S10_SG_SL_EUlSZ_E_NS1_11comp_targetILNS1_3genE3ELNS1_11target_archE908ELNS1_3gpuE7ELNS1_3repE0EEENS1_47radix_sort_onesweep_sort_config_static_selectorELNS0_4arch9wavefront6targetE0EEEvSG_.kd
    .uniform_work_group_size: 1
    .uses_dynamic_stack: false
    .vgpr_count:     0
    .vgpr_spill_count: 0
    .wavefront_size: 32
  - .args:
      - .offset:         0
        .size:           88
        .value_kind:     by_value
    .group_segment_fixed_size: 0
    .kernarg_segment_align: 8
    .kernarg_segment_size: 88
    .language:       OpenCL C
    .language_version:
      - 2
      - 0
    .max_flat_workgroup_size: 512
    .name:           _ZN7rocprim17ROCPRIM_400000_NS6detail17trampoline_kernelINS0_14default_configENS1_35radix_sort_onesweep_config_selectorImNS0_10empty_typeEEEZZNS1_29radix_sort_onesweep_iterationIS3_Lb0EPKmPmPS5_SB_mNS0_19identity_decomposerENS1_16block_id_wrapperIjLb0EEEEE10hipError_tT1_PNSt15iterator_traitsISG_E10value_typeET2_T3_PNSH_ISM_E10value_typeET4_T5_PSR_SS_PNS1_23onesweep_lookback_stateEbbT6_jjT7_P12ihipStream_tbENKUlT_T0_SG_SL_E_clISA_SA_SB_SB_EEDaSZ_S10_SG_SL_EUlSZ_E_NS1_11comp_targetILNS1_3genE10ELNS1_11target_archE1201ELNS1_3gpuE5ELNS1_3repE0EEENS1_47radix_sort_onesweep_sort_config_static_selectorELNS0_4arch9wavefront6targetE0EEEvSG_
    .private_segment_fixed_size: 0
    .sgpr_count:     0
    .sgpr_spill_count: 0
    .symbol:         _ZN7rocprim17ROCPRIM_400000_NS6detail17trampoline_kernelINS0_14default_configENS1_35radix_sort_onesweep_config_selectorImNS0_10empty_typeEEEZZNS1_29radix_sort_onesweep_iterationIS3_Lb0EPKmPmPS5_SB_mNS0_19identity_decomposerENS1_16block_id_wrapperIjLb0EEEEE10hipError_tT1_PNSt15iterator_traitsISG_E10value_typeET2_T3_PNSH_ISM_E10value_typeET4_T5_PSR_SS_PNS1_23onesweep_lookback_stateEbbT6_jjT7_P12ihipStream_tbENKUlT_T0_SG_SL_E_clISA_SA_SB_SB_EEDaSZ_S10_SG_SL_EUlSZ_E_NS1_11comp_targetILNS1_3genE10ELNS1_11target_archE1201ELNS1_3gpuE5ELNS1_3repE0EEENS1_47radix_sort_onesweep_sort_config_static_selectorELNS0_4arch9wavefront6targetE0EEEvSG_.kd
    .uniform_work_group_size: 1
    .uses_dynamic_stack: false
    .vgpr_count:     0
    .vgpr_spill_count: 0
    .wavefront_size: 32
  - .args:
      - .offset:         0
        .size:           88
        .value_kind:     by_value
    .group_segment_fixed_size: 0
    .kernarg_segment_align: 8
    .kernarg_segment_size: 88
    .language:       OpenCL C
    .language_version:
      - 2
      - 0
    .max_flat_workgroup_size: 1024
    .name:           _ZN7rocprim17ROCPRIM_400000_NS6detail17trampoline_kernelINS0_14default_configENS1_35radix_sort_onesweep_config_selectorImNS0_10empty_typeEEEZZNS1_29radix_sort_onesweep_iterationIS3_Lb0EPKmPmPS5_SB_mNS0_19identity_decomposerENS1_16block_id_wrapperIjLb0EEEEE10hipError_tT1_PNSt15iterator_traitsISG_E10value_typeET2_T3_PNSH_ISM_E10value_typeET4_T5_PSR_SS_PNS1_23onesweep_lookback_stateEbbT6_jjT7_P12ihipStream_tbENKUlT_T0_SG_SL_E_clISA_SA_SB_SB_EEDaSZ_S10_SG_SL_EUlSZ_E_NS1_11comp_targetILNS1_3genE9ELNS1_11target_archE1100ELNS1_3gpuE3ELNS1_3repE0EEENS1_47radix_sort_onesweep_sort_config_static_selectorELNS0_4arch9wavefront6targetE0EEEvSG_
    .private_segment_fixed_size: 0
    .sgpr_count:     0
    .sgpr_spill_count: 0
    .symbol:         _ZN7rocprim17ROCPRIM_400000_NS6detail17trampoline_kernelINS0_14default_configENS1_35radix_sort_onesweep_config_selectorImNS0_10empty_typeEEEZZNS1_29radix_sort_onesweep_iterationIS3_Lb0EPKmPmPS5_SB_mNS0_19identity_decomposerENS1_16block_id_wrapperIjLb0EEEEE10hipError_tT1_PNSt15iterator_traitsISG_E10value_typeET2_T3_PNSH_ISM_E10value_typeET4_T5_PSR_SS_PNS1_23onesweep_lookback_stateEbbT6_jjT7_P12ihipStream_tbENKUlT_T0_SG_SL_E_clISA_SA_SB_SB_EEDaSZ_S10_SG_SL_EUlSZ_E_NS1_11comp_targetILNS1_3genE9ELNS1_11target_archE1100ELNS1_3gpuE3ELNS1_3repE0EEENS1_47radix_sort_onesweep_sort_config_static_selectorELNS0_4arch9wavefront6targetE0EEEvSG_.kd
    .uniform_work_group_size: 1
    .uses_dynamic_stack: false
    .vgpr_count:     0
    .vgpr_spill_count: 0
    .wavefront_size: 32
  - .args:
      - .offset:         0
        .size:           88
        .value_kind:     by_value
    .group_segment_fixed_size: 0
    .kernarg_segment_align: 8
    .kernarg_segment_size: 88
    .language:       OpenCL C
    .language_version:
      - 2
      - 0
    .max_flat_workgroup_size: 1024
    .name:           _ZN7rocprim17ROCPRIM_400000_NS6detail17trampoline_kernelINS0_14default_configENS1_35radix_sort_onesweep_config_selectorImNS0_10empty_typeEEEZZNS1_29radix_sort_onesweep_iterationIS3_Lb0EPKmPmPS5_SB_mNS0_19identity_decomposerENS1_16block_id_wrapperIjLb0EEEEE10hipError_tT1_PNSt15iterator_traitsISG_E10value_typeET2_T3_PNSH_ISM_E10value_typeET4_T5_PSR_SS_PNS1_23onesweep_lookback_stateEbbT6_jjT7_P12ihipStream_tbENKUlT_T0_SG_SL_E_clISA_SA_SB_SB_EEDaSZ_S10_SG_SL_EUlSZ_E_NS1_11comp_targetILNS1_3genE8ELNS1_11target_archE1030ELNS1_3gpuE2ELNS1_3repE0EEENS1_47radix_sort_onesweep_sort_config_static_selectorELNS0_4arch9wavefront6targetE0EEEvSG_
    .private_segment_fixed_size: 0
    .sgpr_count:     0
    .sgpr_spill_count: 0
    .symbol:         _ZN7rocprim17ROCPRIM_400000_NS6detail17trampoline_kernelINS0_14default_configENS1_35radix_sort_onesweep_config_selectorImNS0_10empty_typeEEEZZNS1_29radix_sort_onesweep_iterationIS3_Lb0EPKmPmPS5_SB_mNS0_19identity_decomposerENS1_16block_id_wrapperIjLb0EEEEE10hipError_tT1_PNSt15iterator_traitsISG_E10value_typeET2_T3_PNSH_ISM_E10value_typeET4_T5_PSR_SS_PNS1_23onesweep_lookback_stateEbbT6_jjT7_P12ihipStream_tbENKUlT_T0_SG_SL_E_clISA_SA_SB_SB_EEDaSZ_S10_SG_SL_EUlSZ_E_NS1_11comp_targetILNS1_3genE8ELNS1_11target_archE1030ELNS1_3gpuE2ELNS1_3repE0EEENS1_47radix_sort_onesweep_sort_config_static_selectorELNS0_4arch9wavefront6targetE0EEEvSG_.kd
    .uniform_work_group_size: 1
    .uses_dynamic_stack: false
    .vgpr_count:     0
    .vgpr_spill_count: 0
    .wavefront_size: 32
amdhsa.target:   amdgcn-amd-amdhsa--gfx1250
amdhsa.version:
  - 1
  - 2
...

	.end_amdgpu_metadata
